;; amdgpu-corpus repo=ROCm/composable_kernel kind=compiled arch=gfx90a opt=O3
	.text
	.amdgcn_target "amdgcn-amd-amdhsa--gfx90a"
	.amdhsa_code_object_version 6
	.section	.text._ZN2ckL12flush_icacheEv,"axG",@progbits,_ZN2ckL12flush_icacheEv,comdat
	.globl	_ZN2ckL12flush_icacheEv         ; -- Begin function _ZN2ckL12flush_icacheEv
	.p2align	8
	.type	_ZN2ckL12flush_icacheEv,@function
_ZN2ckL12flush_icacheEv:                ; @_ZN2ckL12flush_icacheEv
; %bb.0:
	;;#ASMSTART
	s_icache_inv 
	s_nop 0 
	s_nop 0 
	;; [unrolled: 1-line block ×16, first 2 shown]
	
	;;#ASMEND
	s_endpgm
	.section	.rodata,"a",@progbits
	.p2align	6, 0x0
	.amdhsa_kernel _ZN2ckL12flush_icacheEv
		.amdhsa_group_segment_fixed_size 0
		.amdhsa_private_segment_fixed_size 0
		.amdhsa_kernarg_size 0
		.amdhsa_user_sgpr_count 4
		.amdhsa_user_sgpr_private_segment_buffer 1
		.amdhsa_user_sgpr_dispatch_ptr 0
		.amdhsa_user_sgpr_queue_ptr 0
		.amdhsa_user_sgpr_kernarg_segment_ptr 0
		.amdhsa_user_sgpr_dispatch_id 0
		.amdhsa_user_sgpr_flat_scratch_init 0
		.amdhsa_user_sgpr_kernarg_preload_length 0
		.amdhsa_user_sgpr_kernarg_preload_offset 0
		.amdhsa_user_sgpr_private_segment_size 0
		.amdhsa_uses_dynamic_stack 0
		.amdhsa_system_sgpr_private_segment_wavefront_offset 0
		.amdhsa_system_sgpr_workgroup_id_x 1
		.amdhsa_system_sgpr_workgroup_id_y 0
		.amdhsa_system_sgpr_workgroup_id_z 0
		.amdhsa_system_sgpr_workgroup_info 0
		.amdhsa_system_vgpr_workitem_id 0
		.amdhsa_next_free_vgpr 1
		.amdhsa_next_free_sgpr 0
		.amdhsa_accum_offset 4
		.amdhsa_reserve_vcc 0
		.amdhsa_reserve_flat_scratch 0
		.amdhsa_float_round_mode_32 0
		.amdhsa_float_round_mode_16_64 0
		.amdhsa_float_denorm_mode_32 3
		.amdhsa_float_denorm_mode_16_64 3
		.amdhsa_dx10_clamp 1
		.amdhsa_ieee_mode 1
		.amdhsa_fp16_overflow 0
		.amdhsa_tg_split 0
		.amdhsa_exception_fp_ieee_invalid_op 0
		.amdhsa_exception_fp_denorm_src 0
		.amdhsa_exception_fp_ieee_div_zero 0
		.amdhsa_exception_fp_ieee_overflow 0
		.amdhsa_exception_fp_ieee_underflow 0
		.amdhsa_exception_fp_ieee_inexact 0
		.amdhsa_exception_int_div_zero 0
	.end_amdhsa_kernel
	.section	.text._ZN2ckL12flush_icacheEv,"axG",@progbits,_ZN2ckL12flush_icacheEv,comdat
.Lfunc_end0:
	.size	_ZN2ckL12flush_icacheEv, .Lfunc_end0-_ZN2ckL12flush_icacheEv
                                        ; -- End function
	.section	.AMDGPU.csdata,"",@progbits
; Kernel info:
; codeLenInByte = 140
; NumSgprs: 4
; NumVgprs: 0
; NumAgprs: 0
; TotalNumVgprs: 0
; ScratchSize: 0
; MemoryBound: 0
; FloatMode: 240
; IeeeMode: 1
; LDSByteSize: 0 bytes/workgroup (compile time only)
; SGPRBlocks: 0
; VGPRBlocks: 0
; NumSGPRsForWavesPerEU: 4
; NumVGPRsForWavesPerEU: 1
; AccumOffset: 4
; Occupancy: 8
; WaveLimiterHint : 0
; COMPUTE_PGM_RSRC2:SCRATCH_EN: 0
; COMPUTE_PGM_RSRC2:USER_SGPR: 4
; COMPUTE_PGM_RSRC2:TRAP_HANDLER: 0
; COMPUTE_PGM_RSRC2:TGID_X_EN: 1
; COMPUTE_PGM_RSRC2:TGID_Y_EN: 0
; COMPUTE_PGM_RSRC2:TGID_Z_EN: 0
; COMPUTE_PGM_RSRC2:TIDIG_COMP_CNT: 0
; COMPUTE_PGM_RSRC3_GFX90A:ACCUM_OFFSET: 0
; COMPUTE_PGM_RSRC3_GFX90A:TG_SPLIT: 0
	.text
	.p2align	2                               ; -- Begin function _ZNK2ck6detail7applierIiJLi0ELi1ELi2ELi3ELi4ELi5ELi6ELi7EEEclIZNKS_11static_fordINS_8SequenceIJLi1ELi8EEEENS5_IJLi0ELi1EEEEEclIZZZNKS_52BlockwiseGemmXdlops_pipeline_bpreshuffle_bdequant_v3ILNS_26BlockGemmPipelineSchedulerE0ELi256ENS_9f8_fnuz_tENS_7pk_i4_tESC_fNS_16TensorDescriptorINS_5TupleIJNS_5EmbedINSF_IJNS_17integral_constantIiLi8EEENSH_IiLi256EEENSH_IiLi16EEEEEENSF_IJSK_NSH_IiLi128EEENSH_IiLi1EEEEEELb0EEENS_3XorINSF_IJSJ_SI_EEELb1EEENS_11PassThroughISK_EENS_7UnMergeINSF_IJSI_SN_EEELb0EEENST_ISJ_EESU_NST_ISI_EENS_21Merge_v3_division_modINSF_IJSJ_SN_EEEEESU_EEENSF_IJNS5_IJLi0EEEENS5_IJLi2ELi1EEEENS5_IJLi3EEEENS5_IJLi5EEEENS5_IJLi4EEEENS5_IJLi6EEEENS5_IJLi7EEEENS5_IJLi9ELi8EEEENS5_IJLi10EEEEEEENSF_IJNS5_IJLi1ELi2ELi3EEEENS5_IJLi4ELi5EEEES19_NS5_IJLi7ELi8EEEENS5_IJLi9EEEES1C_NS5_IJLi11EEEENS5_IJLi12EEEENS5_IJLi13EEEEEEENS5_IJLi11ELi12ELi13EEEENSH_IlLl32768EEEEENSE_INSF_IJNSV_INSF_IJSI_SN_SN_NSH_IiLi32EEEEEELb0EEEEEENSF_IJS14_EEENSF_IJNS5_IJLi1ELi2ELi3ELi4EEEEEEES1U_NSH_IlLl256EEEEENSE_INSF_IJSP_SS_SU_SX_SY_SU_SZ_S12_SU_NS10_INSF_IJSI_SK_EEEEENSV_INSF_IJSI_NSH_IiLi2EEESK_EEELb0EEEEEENSF_IJS14_S15_S16_S17_S18_S19_S1A_S1B_S1C_NS5_IJLi11ELi13EEEES1J_EEENSF_IJS1E_S1F_S19_S1G_S1H_S1C_S1I_S1J_S1K_NS5_IJLi14EEEENS5_IJLi15ELi16ELi17EEEEEEENS5_IJLi15ELi16ELi17ELi14EEEES1N_EENSE_INSF_IJS1R_NS10_ISW_EES22_EEENSF_IJS14_NS5_IJLi1ELi3EEEENS5_IJLi2EEEEEEENSF_IJS1U_S17_NS5_IJLi6ELi7ELi8EEEEEEENS5_IJLi6ELi7ELi8ELi5EEEES1W_EELi16ELi32ELi256ELi256ELi128ELi16ELi16ELi8ELi8ELi32ELb0EE3RunILb1ELNS_10TailNumberE0ENSE_INSF_IJNSG_INSF_IJiiEEENSF_IJiSN_EEELb0EEENSV_IS2N_Lb0EEENST_IiEEEEENSF_IJS14_S2E_NS5_IJLi1EEEEEEENSF_IJNS5_IJLi1ELi2EEEENS5_IJLi3ELi4EEEES17_EEENS5_IJLi3ELi5ELi4EEEElEES1O_NS_35ThreadGroupTensorSliceTransfer_v4r1INS_15ThisThreadBlockILi256EEENS_16tensor_operation12element_wise11PassThroughES35_LNS_25InMemoryDataOperationEnumE0ENS5_IJLi8ELi256ELi16EEEENS5_IJLi8ELi32ELi1EEEENS5_IJLi1ELi0ELi2EEEESC_SC_RKS2Z_KS1O_S39_NS5_IJLi0ELi1ELi2EEEELi2ELi2ELi16ELi16ELi1ELi1ELb0ELb1ELi2EiEENS_13DynamicBufferILNS_16AddressSpaceEnumE1EKSC_lLb1ELNS_22AmdBufferCoherenceEnumE0EiEENSF_IJNS3F_ILS3G_2ESC_S1N_Lb1ELS3I_0EiEES3K_EEENSF_IJiiiEEENSE_INSF_IJNSG_INSF_IJiiiiEEENSF_IJiiiSN_EEELb0EEEEEES1T_S1V_S1U_lEENS_32ThreadwiseTensorSliceTransfer_v2ISD_SD_RKS3R_KS1X_NS5_IJLi8ELi1ELi1ELi32EEEENS5_IJLi1ELi2ELi0ELi3EEEELi3ELi32ELi0ELb1ELb0ELb0EEENS3F_ILS3G_1EKSD_lLb1ELS3I_0EiEENSF_IJNS_12StaticBufferILS3G_4ESD_Li256ELb1EEES42_EEES3N_NS_25StaticBufferTupleOfVectorILS3G_4EfLi64ELi4ELb1ELb0EEEEEvRKT1_RKT2_RT3_RKT4_RT5_RKT6_RKT7_RT8_RKT9_RT10_RKT11_RT12_iENKUlT_T0_E_clINSH_IiLi0EEESN_EEDaS51_S52_ENKUlS51_E_clIS55_EEDaS51_EUlS51_E_EEvS51_EUlS51_E_EEvS51_
	.type	_ZNK2ck6detail7applierIiJLi0ELi1ELi2ELi3ELi4ELi5ELi6ELi7EEEclIZNKS_11static_fordINS_8SequenceIJLi1ELi8EEEENS5_IJLi0ELi1EEEEEclIZZZNKS_52BlockwiseGemmXdlops_pipeline_bpreshuffle_bdequant_v3ILNS_26BlockGemmPipelineSchedulerE0ELi256ENS_9f8_fnuz_tENS_7pk_i4_tESC_fNS_16TensorDescriptorINS_5TupleIJNS_5EmbedINSF_IJNS_17integral_constantIiLi8EEENSH_IiLi256EEENSH_IiLi16EEEEEENSF_IJSK_NSH_IiLi128EEENSH_IiLi1EEEEEELb0EEENS_3XorINSF_IJSJ_SI_EEELb1EEENS_11PassThroughISK_EENS_7UnMergeINSF_IJSI_SN_EEELb0EEENST_ISJ_EESU_NST_ISI_EENS_21Merge_v3_division_modINSF_IJSJ_SN_EEEEESU_EEENSF_IJNS5_IJLi0EEEENS5_IJLi2ELi1EEEENS5_IJLi3EEEENS5_IJLi5EEEENS5_IJLi4EEEENS5_IJLi6EEEENS5_IJLi7EEEENS5_IJLi9ELi8EEEENS5_IJLi10EEEEEEENSF_IJNS5_IJLi1ELi2ELi3EEEENS5_IJLi4ELi5EEEES19_NS5_IJLi7ELi8EEEENS5_IJLi9EEEES1C_NS5_IJLi11EEEENS5_IJLi12EEEENS5_IJLi13EEEEEEENS5_IJLi11ELi12ELi13EEEENSH_IlLl32768EEEEENSE_INSF_IJNSV_INSF_IJSI_SN_SN_NSH_IiLi32EEEEEELb0EEEEEENSF_IJS14_EEENSF_IJNS5_IJLi1ELi2ELi3ELi4EEEEEEES1U_NSH_IlLl256EEEEENSE_INSF_IJSP_SS_SU_SX_SY_SU_SZ_S12_SU_NS10_INSF_IJSI_SK_EEEEENSV_INSF_IJSI_NSH_IiLi2EEESK_EEELb0EEEEEENSF_IJS14_S15_S16_S17_S18_S19_S1A_S1B_S1C_NS5_IJLi11ELi13EEEES1J_EEENSF_IJS1E_S1F_S19_S1G_S1H_S1C_S1I_S1J_S1K_NS5_IJLi14EEEENS5_IJLi15ELi16ELi17EEEEEEENS5_IJLi15ELi16ELi17ELi14EEEES1N_EENSE_INSF_IJS1R_NS10_ISW_EES22_EEENSF_IJS14_NS5_IJLi1ELi3EEEENS5_IJLi2EEEEEEENSF_IJS1U_S17_NS5_IJLi6ELi7ELi8EEEEEEENS5_IJLi6ELi7ELi8ELi5EEEES1W_EELi16ELi32ELi256ELi256ELi128ELi16ELi16ELi8ELi8ELi32ELb0EE3RunILb1ELNS_10TailNumberE0ENSE_INSF_IJNSG_INSF_IJiiEEENSF_IJiSN_EEELb0EEENSV_IS2N_Lb0EEENST_IiEEEEENSF_IJS14_S2E_NS5_IJLi1EEEEEEENSF_IJNS5_IJLi1ELi2EEEENS5_IJLi3ELi4EEEES17_EEENS5_IJLi3ELi5ELi4EEEElEES1O_NS_35ThreadGroupTensorSliceTransfer_v4r1INS_15ThisThreadBlockILi256EEENS_16tensor_operation12element_wise11PassThroughES35_LNS_25InMemoryDataOperationEnumE0ENS5_IJLi8ELi256ELi16EEEENS5_IJLi8ELi32ELi1EEEENS5_IJLi1ELi0ELi2EEEESC_SC_RKS2Z_KS1O_S39_NS5_IJLi0ELi1ELi2EEEELi2ELi2ELi16ELi16ELi1ELi1ELb0ELb1ELi2EiEENS_13DynamicBufferILNS_16AddressSpaceEnumE1EKSC_lLb1ELNS_22AmdBufferCoherenceEnumE0EiEENSF_IJNS3F_ILS3G_2ESC_S1N_Lb1ELS3I_0EiEES3K_EEENSF_IJiiiEEENSE_INSF_IJNSG_INSF_IJiiiiEEENSF_IJiiiSN_EEELb0EEEEEES1T_S1V_S1U_lEENS_32ThreadwiseTensorSliceTransfer_v2ISD_SD_RKS3R_KS1X_NS5_IJLi8ELi1ELi1ELi32EEEENS5_IJLi1ELi2ELi0ELi3EEEELi3ELi32ELi0ELb1ELb0ELb0EEENS3F_ILS3G_1EKSD_lLb1ELS3I_0EiEENSF_IJNS_12StaticBufferILS3G_4ESD_Li256ELb1EEES42_EEES3N_NS_25StaticBufferTupleOfVectorILS3G_4EfLi64ELi4ELb1ELb0EEEEEvRKT1_RKT2_RT3_RKT4_RT5_RKT6_RKT7_RT8_RKT9_RT10_RKT11_RT12_iENKUlT_T0_E_clINSH_IiLi0EEESN_EEDaS51_S52_ENKUlS51_E_clIS55_EEDaS51_EUlS51_E_EEvS51_EUlS51_E_EEvS51_,@function
_ZNK2ck6detail7applierIiJLi0ELi1ELi2ELi3ELi4ELi5ELi6ELi7EEEclIZNKS_11static_fordINS_8SequenceIJLi1ELi8EEEENS5_IJLi0ELi1EEEEEclIZZZNKS_52BlockwiseGemmXdlops_pipeline_bpreshuffle_bdequant_v3ILNS_26BlockGemmPipelineSchedulerE0ELi256ENS_9f8_fnuz_tENS_7pk_i4_tESC_fNS_16TensorDescriptorINS_5TupleIJNS_5EmbedINSF_IJNS_17integral_constantIiLi8EEENSH_IiLi256EEENSH_IiLi16EEEEEENSF_IJSK_NSH_IiLi128EEENSH_IiLi1EEEEEELb0EEENS_3XorINSF_IJSJ_SI_EEELb1EEENS_11PassThroughISK_EENS_7UnMergeINSF_IJSI_SN_EEELb0EEENST_ISJ_EESU_NST_ISI_EENS_21Merge_v3_division_modINSF_IJSJ_SN_EEEEESU_EEENSF_IJNS5_IJLi0EEEENS5_IJLi2ELi1EEEENS5_IJLi3EEEENS5_IJLi5EEEENS5_IJLi4EEEENS5_IJLi6EEEENS5_IJLi7EEEENS5_IJLi9ELi8EEEENS5_IJLi10EEEEEEENSF_IJNS5_IJLi1ELi2ELi3EEEENS5_IJLi4ELi5EEEES19_NS5_IJLi7ELi8EEEENS5_IJLi9EEEES1C_NS5_IJLi11EEEENS5_IJLi12EEEENS5_IJLi13EEEEEEENS5_IJLi11ELi12ELi13EEEENSH_IlLl32768EEEEENSE_INSF_IJNSV_INSF_IJSI_SN_SN_NSH_IiLi32EEEEEELb0EEEEEENSF_IJS14_EEENSF_IJNS5_IJLi1ELi2ELi3ELi4EEEEEEES1U_NSH_IlLl256EEEEENSE_INSF_IJSP_SS_SU_SX_SY_SU_SZ_S12_SU_NS10_INSF_IJSI_SK_EEEEENSV_INSF_IJSI_NSH_IiLi2EEESK_EEELb0EEEEEENSF_IJS14_S15_S16_S17_S18_S19_S1A_S1B_S1C_NS5_IJLi11ELi13EEEES1J_EEENSF_IJS1E_S1F_S19_S1G_S1H_S1C_S1I_S1J_S1K_NS5_IJLi14EEEENS5_IJLi15ELi16ELi17EEEEEEENS5_IJLi15ELi16ELi17ELi14EEEES1N_EENSE_INSF_IJS1R_NS10_ISW_EES22_EEENSF_IJS14_NS5_IJLi1ELi3EEEENS5_IJLi2EEEEEEENSF_IJS1U_S17_NS5_IJLi6ELi7ELi8EEEEEEENS5_IJLi6ELi7ELi8ELi5EEEES1W_EELi16ELi32ELi256ELi256ELi128ELi16ELi16ELi8ELi8ELi32ELb0EE3RunILb1ELNS_10TailNumberE0ENSE_INSF_IJNSG_INSF_IJiiEEENSF_IJiSN_EEELb0EEENSV_IS2N_Lb0EEENST_IiEEEEENSF_IJS14_S2E_NS5_IJLi1EEEEEEENSF_IJNS5_IJLi1ELi2EEEENS5_IJLi3ELi4EEEES17_EEENS5_IJLi3ELi5ELi4EEEElEES1O_NS_35ThreadGroupTensorSliceTransfer_v4r1INS_15ThisThreadBlockILi256EEENS_16tensor_operation12element_wise11PassThroughES35_LNS_25InMemoryDataOperationEnumE0ENS5_IJLi8ELi256ELi16EEEENS5_IJLi8ELi32ELi1EEEENS5_IJLi1ELi0ELi2EEEESC_SC_RKS2Z_KS1O_S39_NS5_IJLi0ELi1ELi2EEEELi2ELi2ELi16ELi16ELi1ELi1ELb0ELb1ELi2EiEENS_13DynamicBufferILNS_16AddressSpaceEnumE1EKSC_lLb1ELNS_22AmdBufferCoherenceEnumE0EiEENSF_IJNS3F_ILS3G_2ESC_S1N_Lb1ELS3I_0EiEES3K_EEENSF_IJiiiEEENSE_INSF_IJNSG_INSF_IJiiiiEEENSF_IJiiiSN_EEELb0EEEEEES1T_S1V_S1U_lEENS_32ThreadwiseTensorSliceTransfer_v2ISD_SD_RKS3R_KS1X_NS5_IJLi8ELi1ELi1ELi32EEEENS5_IJLi1ELi2ELi0ELi3EEEELi3ELi32ELi0ELb1ELb0ELb0EEENS3F_ILS3G_1EKSD_lLb1ELS3I_0EiEENSF_IJNS_12StaticBufferILS3G_4ESD_Li256ELb1EEES42_EEES3N_NS_25StaticBufferTupleOfVectorILS3G_4EfLi64ELi4ELb1ELb0EEEEEvRKT1_RKT2_RT3_RKT4_RT5_RKT6_RKT7_RT8_RKT9_RT10_RKT11_RT12_iENKUlT_T0_E_clINSH_IiLi0EEESN_EEDaS51_S52_ENKUlS51_E_clIS55_EEDaS51_EUlS51_E_EEvS51_EUlS51_E_EEvS51_: ; @_ZNK2ck6detail7applierIiJLi0ELi1ELi2ELi3ELi4ELi5ELi6ELi7EEEclIZNKS_11static_fordINS_8SequenceIJLi1ELi8EEEENS5_IJLi0ELi1EEEEEclIZZZNKS_52BlockwiseGemmXdlops_pipeline_bpreshuffle_bdequant_v3ILNS_26BlockGemmPipelineSchedulerE0ELi256ENS_9f8_fnuz_tENS_7pk_i4_tESC_fNS_16TensorDescriptorINS_5TupleIJNS_5EmbedINSF_IJNS_17integral_constantIiLi8EEENSH_IiLi256EEENSH_IiLi16EEEEEENSF_IJSK_NSH_IiLi128EEENSH_IiLi1EEEEEELb0EEENS_3XorINSF_IJSJ_SI_EEELb1EEENS_11PassThroughISK_EENS_7UnMergeINSF_IJSI_SN_EEELb0EEENST_ISJ_EESU_NST_ISI_EENS_21Merge_v3_division_modINSF_IJSJ_SN_EEEEESU_EEENSF_IJNS5_IJLi0EEEENS5_IJLi2ELi1EEEENS5_IJLi3EEEENS5_IJLi5EEEENS5_IJLi4EEEENS5_IJLi6EEEENS5_IJLi7EEEENS5_IJLi9ELi8EEEENS5_IJLi10EEEEEEENSF_IJNS5_IJLi1ELi2ELi3EEEENS5_IJLi4ELi5EEEES19_NS5_IJLi7ELi8EEEENS5_IJLi9EEEES1C_NS5_IJLi11EEEENS5_IJLi12EEEENS5_IJLi13EEEEEEENS5_IJLi11ELi12ELi13EEEENSH_IlLl32768EEEEENSE_INSF_IJNSV_INSF_IJSI_SN_SN_NSH_IiLi32EEEEEELb0EEEEEENSF_IJS14_EEENSF_IJNS5_IJLi1ELi2ELi3ELi4EEEEEEES1U_NSH_IlLl256EEEEENSE_INSF_IJSP_SS_SU_SX_SY_SU_SZ_S12_SU_NS10_INSF_IJSI_SK_EEEEENSV_INSF_IJSI_NSH_IiLi2EEESK_EEELb0EEEEEENSF_IJS14_S15_S16_S17_S18_S19_S1A_S1B_S1C_NS5_IJLi11ELi13EEEES1J_EEENSF_IJS1E_S1F_S19_S1G_S1H_S1C_S1I_S1J_S1K_NS5_IJLi14EEEENS5_IJLi15ELi16ELi17EEEEEEENS5_IJLi15ELi16ELi17ELi14EEEES1N_EENSE_INSF_IJS1R_NS10_ISW_EES22_EEENSF_IJS14_NS5_IJLi1ELi3EEEENS5_IJLi2EEEEEEENSF_IJS1U_S17_NS5_IJLi6ELi7ELi8EEEEEEENS5_IJLi6ELi7ELi8ELi5EEEES1W_EELi16ELi32ELi256ELi256ELi128ELi16ELi16ELi8ELi8ELi32ELb0EE3RunILb1ELNS_10TailNumberE0ENSE_INSF_IJNSG_INSF_IJiiEEENSF_IJiSN_EEELb0EEENSV_IS2N_Lb0EEENST_IiEEEEENSF_IJS14_S2E_NS5_IJLi1EEEEEEENSF_IJNS5_IJLi1ELi2EEEENS5_IJLi3ELi4EEEES17_EEENS5_IJLi3ELi5ELi4EEEElEES1O_NS_35ThreadGroupTensorSliceTransfer_v4r1INS_15ThisThreadBlockILi256EEENS_16tensor_operation12element_wise11PassThroughES35_LNS_25InMemoryDataOperationEnumE0ENS5_IJLi8ELi256ELi16EEEENS5_IJLi8ELi32ELi1EEEENS5_IJLi1ELi0ELi2EEEESC_SC_RKS2Z_KS1O_S39_NS5_IJLi0ELi1ELi2EEEELi2ELi2ELi16ELi16ELi1ELi1ELb0ELb1ELi2EiEENS_13DynamicBufferILNS_16AddressSpaceEnumE1EKSC_lLb1ELNS_22AmdBufferCoherenceEnumE0EiEENSF_IJNS3F_ILS3G_2ESC_S1N_Lb1ELS3I_0EiEES3K_EEENSF_IJiiiEEENSE_INSF_IJNSG_INSF_IJiiiiEEENSF_IJiiiSN_EEELb0EEEEEES1T_S1V_S1U_lEENS_32ThreadwiseTensorSliceTransfer_v2ISD_SD_RKS3R_KS1X_NS5_IJLi8ELi1ELi1ELi32EEEENS5_IJLi1ELi2ELi0ELi3EEEELi3ELi32ELi0ELb1ELb0ELb0EEENS3F_ILS3G_1EKSD_lLb1ELS3I_0EiEENSF_IJNS_12StaticBufferILS3G_4ESD_Li256ELb1EEES42_EEES3N_NS_25StaticBufferTupleOfVectorILS3G_4EfLi64ELi4ELb1ELb0EEEEEvRKT1_RKT2_RT3_RKT4_RT5_RKT6_RKT7_RT8_RKT9_RT10_RKT11_RT12_iENKUlT_T0_E_clINSH_IiLi0EEESN_EEDaS51_S52_ENKUlS51_E_clIS55_EEDaS51_EUlS51_E_EEvS51_EUlS51_E_EEvS51_
; %bb.0:
	s_waitcnt vmcnt(0) expcnt(0) lgkmcnt(0)
	flat_load_dwordx4 v[20:23], v[0:1] offset:16
	flat_load_dwordx2 v[18:19], v[0:1] offset:32
	s_movk_i32 s4, 0x7f
                                        ; implicit-def: $sgpr10
	s_waitcnt vmcnt(0) lgkmcnt(0)
	flat_load_dwordx4 v[14:17], v[20:21]
	flat_load_dwordx4 v[10:13], v[22:23]
	flat_load_dwordx4 v[6:9], v[20:21] offset:16
	flat_load_dwordx4 v[2:5], v[22:23] offset:16
	s_waitcnt vmcnt(0) lgkmcnt(0)
	v_cmp_gt_i16_sdwa s[6:7], v14, s4 src0_sel:BYTE_0 src1_sel:DWORD
	s_mov_b64 s[4:5], 0
	s_and_saveexec_b64 s[8:9], s[6:7]
	s_xor_b64 s[6:7], exec, s[8:9]
	s_cbranch_execnz .LBB1_2049
; %bb.1:
	s_or_saveexec_b64 s[6:7], s[6:7]
	v_mov_b32_e32 v20, s10
	s_xor_b64 exec, exec, s[6:7]
	s_cbranch_execnz .LBB1_2052
.LBB1_2:
	s_or_b64 exec, exec, s[6:7]
	s_and_saveexec_b64 s[6:7], s[4:5]
	s_cbranch_execz .LBB1_4
.LBB1_3:
	v_and_b32_e32 v20, 7, v14
	v_ffbh_u32_e32 v22, v20
	v_min_u32_e32 v22, 32, v22
	v_lshrrev_b16_e32 v21, 3, v14
	v_subrev_u32_e32 v23, 28, v22
	v_and_b32_e32 v21, 15, v21
	v_lshlrev_b32_e32 v23, v23, v14
	v_sub_u32_e32 v22, 29, v22
	v_and_b32_e32 v23, 7, v23
	v_cmp_eq_u16_e32 vcc, 0, v21
	v_cndmask_b32_e32 v20, v20, v23, vcc
	v_cndmask_b32_e32 v21, v21, v22, vcc
	v_lshlrev_b32_e32 v22, 24, v14
	v_mov_b32_e32 v23, 0x3b800000
	v_lshlrev_b32_e32 v20, 20, v20
	v_and_b32_e32 v22, 0x80000000, v22
	v_lshl_add_u32 v21, v21, 23, v23
	v_or3_b32 v20, v22, v21, v20
.LBB1_4:
	s_or_b64 exec, exec, s[6:7]
	s_movk_i32 s4, 0x7f
	v_cmp_gt_i16_sdwa s[6:7], v10, s4 src0_sel:BYTE_0 src1_sel:DWORD
	s_mov_b64 s[4:5], 0
                                        ; implicit-def: $sgpr10
	s_and_saveexec_b64 s[8:9], s[6:7]
	s_xor_b64 s[6:7], exec, s[8:9]
	s_cbranch_execnz .LBB1_2053
; %bb.5:
	s_or_saveexec_b64 s[6:7], s[6:7]
	v_mov_b32_e32 v21, s10
	s_xor_b64 exec, exec, s[6:7]
	s_cbranch_execnz .LBB1_2056
.LBB1_6:
	s_or_b64 exec, exec, s[6:7]
	s_and_saveexec_b64 s[6:7], s[4:5]
	s_cbranch_execz .LBB1_8
.LBB1_7:
	v_and_b32_e32 v21, 7, v10
	v_ffbh_u32_e32 v23, v21
	v_min_u32_e32 v23, 32, v23
	v_lshrrev_b16_e32 v22, 3, v10
	v_subrev_u32_e32 v24, 28, v23
	v_and_b32_e32 v22, 15, v22
	v_lshlrev_b32_e32 v24, v24, v10
	v_sub_u32_e32 v23, 29, v23
	v_and_b32_e32 v24, 7, v24
	v_cmp_eq_u16_e32 vcc, 0, v22
	v_cndmask_b32_e32 v21, v21, v24, vcc
	v_cndmask_b32_e32 v22, v22, v23, vcc
	v_lshlrev_b32_e32 v23, 24, v10
	v_mov_b32_e32 v24, 0x3b800000
	v_lshlrev_b32_e32 v21, 20, v21
	v_and_b32_e32 v23, 0x80000000, v23
	v_lshl_add_u32 v22, v22, 23, v24
	v_or3_b32 v21, v23, v22, v21
.LBB1_8:
	s_or_b64 exec, exec, s[6:7]
	flat_load_dwordx4 a[0:3], v[18:19]
	s_movk_i32 s4, 0x7f
                                        ; implicit-def: $sgpr10
	s_waitcnt vmcnt(0) lgkmcnt(0)
	v_mfma_f32_16x16x4f32 a[0:3], v20, v21, a[0:3]
	v_lshrrev_b32_e32 v21, 8, v14
	v_cmp_gt_i16_sdwa s[6:7], v21, s4 src0_sel:BYTE_0 src1_sel:DWORD
	s_mov_b64 s[4:5], 0
	s_and_saveexec_b64 s[8:9], s[6:7]
	s_xor_b64 s[6:7], exec, s[8:9]
	s_cbranch_execnz .LBB1_2057
; %bb.9:
	s_or_saveexec_b64 s[6:7], s[6:7]
	v_mov_b32_e32 v20, s10
	s_xor_b64 exec, exec, s[6:7]
	s_cbranch_execnz .LBB1_2060
.LBB1_10:
	s_or_b64 exec, exec, s[6:7]
	s_and_saveexec_b64 s[6:7], s[4:5]
	s_cbranch_execz .LBB1_12
.LBB1_11:
	v_bfe_u32 v20, v14, 8, 3
	v_ffbh_u32_e32 v23, v20
	v_min_u32_e32 v23, 32, v23
	v_lshrrev_b16_e32 v22, 3, v21
	v_subrev_u32_e32 v24, 28, v23
	v_and_b32_e32 v22, 15, v22
	v_lshlrev_b32_e32 v21, v24, v21
	v_sub_u32_e32 v23, 29, v23
	v_and_b32_e32 v21, 7, v21
	v_cmp_eq_u16_e32 vcc, 0, v22
	v_cndmask_b32_e32 v20, v20, v21, vcc
	v_cndmask_b32_e32 v21, v22, v23, vcc
	v_lshlrev_b32_e32 v22, 16, v14
	v_mov_b32_e32 v23, 0x3b800000
	v_lshlrev_b32_e32 v20, 20, v20
	v_and_b32_e32 v22, 0x80000000, v22
	v_lshl_add_u32 v21, v21, 23, v23
	v_or3_b32 v20, v22, v21, v20
.LBB1_12:
	s_or_b64 exec, exec, s[6:7]
	v_lshrrev_b32_e32 v21, 8, v10
	s_movk_i32 s4, 0x7f
	v_cmp_gt_i16_sdwa s[6:7], v21, s4 src0_sel:BYTE_0 src1_sel:DWORD
	s_mov_b64 s[4:5], 0
                                        ; implicit-def: $sgpr10
	s_and_saveexec_b64 s[8:9], s[6:7]
	s_xor_b64 s[6:7], exec, s[8:9]
	s_cbranch_execnz .LBB1_2061
; %bb.13:
	s_or_saveexec_b64 s[6:7], s[6:7]
	v_mov_b32_e32 v22, s10
	s_xor_b64 exec, exec, s[6:7]
	s_cbranch_execnz .LBB1_2064
.LBB1_14:
	s_or_b64 exec, exec, s[6:7]
	s_and_saveexec_b64 s[6:7], s[4:5]
	s_cbranch_execz .LBB1_16
.LBB1_15:
	v_bfe_u32 v22, v10, 8, 3
	v_ffbh_u32_e32 v24, v22
	v_min_u32_e32 v24, 32, v24
	v_lshrrev_b16_e32 v23, 3, v21
	v_subrev_u32_e32 v25, 28, v24
	v_and_b32_e32 v23, 15, v23
	v_lshlrev_b32_e32 v21, v25, v21
	v_sub_u32_e32 v24, 29, v24
	v_and_b32_e32 v21, 7, v21
	v_cmp_eq_u16_e32 vcc, 0, v23
	v_cndmask_b32_e32 v21, v22, v21, vcc
	v_cndmask_b32_e32 v22, v23, v24, vcc
	v_lshlrev_b32_e32 v23, 16, v10
	v_mov_b32_e32 v24, 0x3b800000
	v_lshlrev_b32_e32 v21, 20, v21
	v_and_b32_e32 v23, 0x80000000, v23
	v_lshl_add_u32 v22, v22, 23, v24
	v_or3_b32 v22, v23, v22, v21
.LBB1_16:
	s_or_b64 exec, exec, s[6:7]
	s_nop 0
	v_mfma_f32_16x16x4f32 a[0:3], v20, v22, a[0:3]
	s_movk_i32 s4, 0xff
	v_and_b32_sdwa v21, v14, s4 dst_sel:DWORD dst_unused:UNUSED_PAD src0_sel:WORD_1 src1_sel:DWORD
	s_movk_i32 s4, 0x7f
	v_cmp_lt_i16_e32 vcc, s4, v21
	s_mov_b64 s[4:5], 0
                                        ; implicit-def: $sgpr10
	s_and_saveexec_b64 s[6:7], vcc
	s_xor_b64 s[6:7], exec, s[6:7]
	s_cbranch_execnz .LBB1_2065
; %bb.17:
	s_or_saveexec_b64 s[6:7], s[6:7]
	v_mov_b32_e32 v20, s10
	s_xor_b64 exec, exec, s[6:7]
	s_cbranch_execnz .LBB1_2068
.LBB1_18:
	s_or_b64 exec, exec, s[6:7]
	s_and_saveexec_b64 s[6:7], s[4:5]
	s_cbranch_execz .LBB1_20
.LBB1_19:
	v_bfe_u32 v20, v14, 16, 3
	v_ffbh_u32_e32 v23, v20
	v_min_u32_e32 v23, 32, v23
	v_lshrrev_b32_e32 v21, 19, v14
	v_subrev_u32_e32 v24, 28, v23
	v_and_b32_e32 v21, 15, v21
	v_lshlrev_b32_sdwa v24, v24, v14 dst_sel:DWORD dst_unused:UNUSED_PAD src0_sel:DWORD src1_sel:WORD_1
	v_bfe_u32 v22, v14, 19, 4
	v_sub_u32_e32 v23, 29, v23
	v_and_b32_e32 v24, 7, v24
	v_cmp_eq_u16_e32 vcc, 0, v21
	v_cndmask_b32_e32 v20, v20, v24, vcc
	v_cndmask_b32_e32 v21, v22, v23, vcc
	v_lshlrev_b32_e32 v22, 8, v14
	v_mov_b32_e32 v23, 0x3b800000
	v_lshlrev_b32_e32 v20, 20, v20
	v_and_b32_e32 v22, 0x80000000, v22
	v_lshl_add_u32 v21, v21, 23, v23
	v_or3_b32 v20, v22, v21, v20
.LBB1_20:
	s_or_b64 exec, exec, s[6:7]
	s_movk_i32 s4, 0xff
	v_and_b32_sdwa v21, v10, s4 dst_sel:DWORD dst_unused:UNUSED_PAD src0_sel:WORD_1 src1_sel:DWORD
	s_movk_i32 s4, 0x7f
	v_cmp_lt_i16_e32 vcc, s4, v21
	s_mov_b64 s[4:5], 0
                                        ; implicit-def: $sgpr10
	s_and_saveexec_b64 s[6:7], vcc
	s_xor_b64 s[6:7], exec, s[6:7]
	s_cbranch_execnz .LBB1_2069
; %bb.21:
	s_or_saveexec_b64 s[6:7], s[6:7]
	v_mov_b32_e32 v22, s10
	s_xor_b64 exec, exec, s[6:7]
	s_cbranch_execnz .LBB1_2072
.LBB1_22:
	s_or_b64 exec, exec, s[6:7]
	s_and_saveexec_b64 s[6:7], s[4:5]
	s_cbranch_execz .LBB1_24
.LBB1_23:
	v_bfe_u32 v21, v10, 16, 3
	v_ffbh_u32_e32 v24, v21
	v_min_u32_e32 v24, 32, v24
	v_lshrrev_b32_e32 v22, 19, v10
	v_subrev_u32_e32 v25, 28, v24
	v_and_b32_e32 v22, 15, v22
	v_lshlrev_b32_sdwa v25, v25, v10 dst_sel:DWORD dst_unused:UNUSED_PAD src0_sel:DWORD src1_sel:WORD_1
	v_bfe_u32 v23, v10, 19, 4
	v_sub_u32_e32 v24, 29, v24
	v_and_b32_e32 v25, 7, v25
	v_cmp_eq_u16_e32 vcc, 0, v22
	v_cndmask_b32_e32 v21, v21, v25, vcc
	v_cndmask_b32_e32 v22, v23, v24, vcc
	v_lshlrev_b32_e32 v23, 8, v10
	v_mov_b32_e32 v24, 0x3b800000
	v_lshlrev_b32_e32 v21, 20, v21
	v_and_b32_e32 v23, 0x80000000, v23
	v_lshl_add_u32 v22, v22, 23, v24
	v_or3_b32 v22, v23, v22, v21
.LBB1_24:
	s_or_b64 exec, exec, s[6:7]
	s_nop 0
	v_mfma_f32_16x16x4f32 a[0:3], v20, v22, a[0:3]
	s_movk_i32 s4, 0x7f
	v_cmp_gt_i16_sdwa s[6:7], v14, s4 src0_sel:BYTE_3 src1_sel:DWORD
	s_mov_b64 s[4:5], 0
                                        ; implicit-def: $sgpr10
	s_and_saveexec_b64 s[8:9], s[6:7]
	s_xor_b64 s[6:7], exec, s[8:9]
	s_cbranch_execnz .LBB1_2073
; %bb.25:
	s_or_saveexec_b64 s[6:7], s[6:7]
	v_mov_b32_e32 v20, s10
	s_xor_b64 exec, exec, s[6:7]
	s_cbranch_execnz .LBB1_2076
.LBB1_26:
	s_or_b64 exec, exec, s[6:7]
	s_and_saveexec_b64 s[6:7], s[4:5]
	s_cbranch_execz .LBB1_28
.LBB1_27:
	v_bfe_u32 v20, v14, 24, 3
	v_ffbh_u32_e32 v24, v20
	v_min_u32_e32 v24, 32, v24
	v_lshrrev_b32_e32 v22, 27, v14
	v_subrev_u32_e32 v25, 28, v24
	v_and_b32_e32 v21, 0x80000000, v14
	v_and_b32_e32 v22, 15, v22
	v_bfe_u32 v23, v14, 27, 4
	v_lshlrev_b32_sdwa v14, v25, v14 dst_sel:DWORD dst_unused:UNUSED_PAD src0_sel:DWORD src1_sel:BYTE_3
	v_sub_u32_e32 v24, 29, v24
	v_and_b32_e32 v14, 7, v14
	v_cmp_eq_u16_e32 vcc, 0, v22
	v_cndmask_b32_e32 v14, v20, v14, vcc
	v_cndmask_b32_e32 v20, v23, v24, vcc
	v_mov_b32_e32 v22, 0x3b800000
	v_lshlrev_b32_e32 v14, 20, v14
	v_lshl_add_u32 v20, v20, 23, v22
	v_or3_b32 v20, v21, v20, v14
.LBB1_28:
	s_or_b64 exec, exec, s[6:7]
	s_movk_i32 s4, 0x7f
	v_cmp_gt_i16_sdwa s[6:7], v10, s4 src0_sel:BYTE_3 src1_sel:DWORD
	s_mov_b64 s[4:5], 0
                                        ; implicit-def: $sgpr10
	s_and_saveexec_b64 s[8:9], s[6:7]
	s_xor_b64 s[6:7], exec, s[8:9]
	s_cbranch_execnz .LBB1_2077
; %bb.29:
	s_or_saveexec_b64 s[6:7], s[6:7]
	v_mov_b32_e32 v14, s10
	s_xor_b64 exec, exec, s[6:7]
	s_cbranch_execnz .LBB1_2080
.LBB1_30:
	s_or_b64 exec, exec, s[6:7]
	s_and_saveexec_b64 s[6:7], s[4:5]
	s_cbranch_execz .LBB1_32
.LBB1_31:
	v_bfe_u32 v14, v10, 24, 3
	v_ffbh_u32_e32 v24, v14
	v_min_u32_e32 v24, 32, v24
	v_lshrrev_b32_e32 v22, 27, v10
	v_subrev_u32_e32 v25, 28, v24
	v_and_b32_e32 v21, 0x80000000, v10
	v_and_b32_e32 v22, 15, v22
	v_bfe_u32 v23, v10, 27, 4
	v_lshlrev_b32_sdwa v10, v25, v10 dst_sel:DWORD dst_unused:UNUSED_PAD src0_sel:DWORD src1_sel:BYTE_3
	v_sub_u32_e32 v24, 29, v24
	v_and_b32_e32 v10, 7, v10
	v_cmp_eq_u16_e32 vcc, 0, v22
	v_cndmask_b32_e32 v10, v14, v10, vcc
	v_cndmask_b32_e32 v14, v23, v24, vcc
	v_mov_b32_e32 v22, 0x3b800000
	v_lshlrev_b32_e32 v10, 20, v10
	v_lshl_add_u32 v14, v14, 23, v22
	v_or3_b32 v14, v21, v14, v10
.LBB1_32:
	s_or_b64 exec, exec, s[6:7]
	s_nop 0
	v_mfma_f32_16x16x4f32 a[0:3], v20, v14, a[0:3]
	s_movk_i32 s4, 0x7f
	v_cmp_gt_i16_sdwa s[6:7], v15, s4 src0_sel:BYTE_0 src1_sel:DWORD
	s_mov_b64 s[4:5], 0
                                        ; implicit-def: $sgpr10
	s_and_saveexec_b64 s[8:9], s[6:7]
	s_xor_b64 s[6:7], exec, s[8:9]
	s_cbranch_execnz .LBB1_2081
; %bb.33:
	s_or_saveexec_b64 s[6:7], s[6:7]
	v_mov_b32_e32 v10, s10
	s_xor_b64 exec, exec, s[6:7]
	s_cbranch_execnz .LBB1_2084
.LBB1_34:
	s_or_b64 exec, exec, s[6:7]
	s_and_saveexec_b64 s[6:7], s[4:5]
	s_cbranch_execz .LBB1_36
.LBB1_35:
	v_and_b32_e32 v10, 7, v15
	v_ffbh_u32_e32 v20, v10
	v_min_u32_e32 v20, 32, v20
	v_lshrrev_b16_e32 v14, 3, v15
	v_subrev_u32_e32 v21, 28, v20
	v_and_b32_e32 v14, 15, v14
	v_lshlrev_b32_e32 v21, v21, v15
	v_sub_u32_e32 v20, 29, v20
	v_and_b32_e32 v21, 7, v21
	v_cmp_eq_u16_e32 vcc, 0, v14
	v_cndmask_b32_e32 v10, v10, v21, vcc
	v_cndmask_b32_e32 v14, v14, v20, vcc
	v_lshlrev_b32_e32 v20, 24, v15
	v_mov_b32_e32 v21, 0x3b800000
	v_lshlrev_b32_e32 v10, 20, v10
	v_and_b32_e32 v20, 0x80000000, v20
	v_lshl_add_u32 v14, v14, 23, v21
	v_or3_b32 v10, v20, v14, v10
.LBB1_36:
	s_or_b64 exec, exec, s[6:7]
	s_movk_i32 s4, 0x7f
	v_cmp_gt_i16_sdwa s[6:7], v11, s4 src0_sel:BYTE_0 src1_sel:DWORD
	s_mov_b64 s[4:5], 0
                                        ; implicit-def: $sgpr10
	s_and_saveexec_b64 s[8:9], s[6:7]
	s_xor_b64 s[6:7], exec, s[8:9]
	s_cbranch_execnz .LBB1_2085
; %bb.37:
	s_or_saveexec_b64 s[6:7], s[6:7]
	v_mov_b32_e32 v14, s10
	s_xor_b64 exec, exec, s[6:7]
	s_cbranch_execnz .LBB1_2088
.LBB1_38:
	s_or_b64 exec, exec, s[6:7]
	s_and_saveexec_b64 s[6:7], s[4:5]
	s_cbranch_execz .LBB1_40
.LBB1_39:
	v_and_b32_e32 v14, 7, v11
	v_ffbh_u32_e32 v21, v14
	v_min_u32_e32 v21, 32, v21
	v_lshrrev_b16_e32 v20, 3, v11
	v_subrev_u32_e32 v22, 28, v21
	v_and_b32_e32 v20, 15, v20
	v_lshlrev_b32_e32 v22, v22, v11
	v_sub_u32_e32 v21, 29, v21
	v_and_b32_e32 v22, 7, v22
	v_cmp_eq_u16_e32 vcc, 0, v20
	v_cndmask_b32_e32 v14, v14, v22, vcc
	v_cndmask_b32_e32 v20, v20, v21, vcc
	v_lshlrev_b32_e32 v21, 24, v11
	v_mov_b32_e32 v22, 0x3b800000
	v_lshlrev_b32_e32 v14, 20, v14
	v_and_b32_e32 v21, 0x80000000, v21
	v_lshl_add_u32 v20, v20, 23, v22
	v_or3_b32 v14, v21, v20, v14
.LBB1_40:
	s_or_b64 exec, exec, s[6:7]
	s_nop 0
	v_mfma_f32_16x16x4f32 a[0:3], v10, v14, a[0:3]
	v_lshrrev_b32_e32 v14, 8, v15
	s_movk_i32 s4, 0x7f
	v_cmp_gt_i16_sdwa s[6:7], v14, s4 src0_sel:BYTE_0 src1_sel:DWORD
	s_mov_b64 s[4:5], 0
                                        ; implicit-def: $sgpr10
	s_and_saveexec_b64 s[8:9], s[6:7]
	s_xor_b64 s[6:7], exec, s[8:9]
	s_cbranch_execnz .LBB1_2089
; %bb.41:
	s_or_saveexec_b64 s[6:7], s[6:7]
	v_mov_b32_e32 v10, s10
	s_xor_b64 exec, exec, s[6:7]
	s_cbranch_execnz .LBB1_2092
.LBB1_42:
	s_or_b64 exec, exec, s[6:7]
	s_and_saveexec_b64 s[6:7], s[4:5]
	s_cbranch_execz .LBB1_44
.LBB1_43:
	v_bfe_u32 v10, v15, 8, 3
	v_ffbh_u32_e32 v21, v10
	v_min_u32_e32 v21, 32, v21
	v_lshrrev_b16_e32 v20, 3, v14
	v_subrev_u32_e32 v22, 28, v21
	v_and_b32_e32 v20, 15, v20
	v_lshlrev_b32_e32 v14, v22, v14
	v_sub_u32_e32 v21, 29, v21
	v_and_b32_e32 v14, 7, v14
	v_cmp_eq_u16_e32 vcc, 0, v20
	v_cndmask_b32_e32 v10, v10, v14, vcc
	v_cndmask_b32_e32 v14, v20, v21, vcc
	v_lshlrev_b32_e32 v20, 16, v15
	v_mov_b32_e32 v21, 0x3b800000
	v_lshlrev_b32_e32 v10, 20, v10
	v_and_b32_e32 v20, 0x80000000, v20
	v_lshl_add_u32 v14, v14, 23, v21
	v_or3_b32 v10, v20, v14, v10
.LBB1_44:
	s_or_b64 exec, exec, s[6:7]
	v_lshrrev_b32_e32 v14, 8, v11
	s_movk_i32 s4, 0x7f
	v_cmp_gt_i16_sdwa s[6:7], v14, s4 src0_sel:BYTE_0 src1_sel:DWORD
	s_mov_b64 s[4:5], 0
                                        ; implicit-def: $sgpr10
	s_and_saveexec_b64 s[8:9], s[6:7]
	s_xor_b64 s[6:7], exec, s[8:9]
	s_cbranch_execnz .LBB1_2093
; %bb.45:
	s_or_saveexec_b64 s[6:7], s[6:7]
	v_mov_b32_e32 v20, s10
	s_xor_b64 exec, exec, s[6:7]
	s_cbranch_execnz .LBB1_2096
.LBB1_46:
	s_or_b64 exec, exec, s[6:7]
	s_and_saveexec_b64 s[6:7], s[4:5]
	s_cbranch_execz .LBB1_48
.LBB1_47:
	v_bfe_u32 v20, v11, 8, 3
	v_ffbh_u32_e32 v22, v20
	v_min_u32_e32 v22, 32, v22
	v_lshrrev_b16_e32 v21, 3, v14
	v_subrev_u32_e32 v23, 28, v22
	v_and_b32_e32 v21, 15, v21
	v_lshlrev_b32_e32 v14, v23, v14
	v_sub_u32_e32 v22, 29, v22
	v_and_b32_e32 v14, 7, v14
	v_cmp_eq_u16_e32 vcc, 0, v21
	v_cndmask_b32_e32 v14, v20, v14, vcc
	v_cndmask_b32_e32 v20, v21, v22, vcc
	v_lshlrev_b32_e32 v21, 16, v11
	v_mov_b32_e32 v22, 0x3b800000
	v_lshlrev_b32_e32 v14, 20, v14
	v_and_b32_e32 v21, 0x80000000, v21
	v_lshl_add_u32 v20, v20, 23, v22
	v_or3_b32 v20, v21, v20, v14
.LBB1_48:
	s_or_b64 exec, exec, s[6:7]
	s_nop 0
	v_mfma_f32_16x16x4f32 a[0:3], v10, v20, a[0:3]
	s_movk_i32 s4, 0xff
	v_and_b32_sdwa v14, v15, s4 dst_sel:DWORD dst_unused:UNUSED_PAD src0_sel:WORD_1 src1_sel:DWORD
	s_movk_i32 s4, 0x7f
	v_cmp_lt_i16_e32 vcc, s4, v14
	s_mov_b64 s[4:5], 0
                                        ; implicit-def: $sgpr10
	s_and_saveexec_b64 s[6:7], vcc
	s_xor_b64 s[6:7], exec, s[6:7]
	s_cbranch_execnz .LBB1_2097
; %bb.49:
	s_or_saveexec_b64 s[6:7], s[6:7]
	v_mov_b32_e32 v10, s10
	s_xor_b64 exec, exec, s[6:7]
	s_cbranch_execnz .LBB1_2100
.LBB1_50:
	s_or_b64 exec, exec, s[6:7]
	s_and_saveexec_b64 s[6:7], s[4:5]
	s_cbranch_execz .LBB1_52
.LBB1_51:
	v_bfe_u32 v10, v15, 16, 3
	v_ffbh_u32_e32 v21, v10
	v_min_u32_e32 v21, 32, v21
	v_lshrrev_b32_e32 v14, 19, v15
	v_subrev_u32_e32 v22, 28, v21
	v_and_b32_e32 v14, 15, v14
	v_lshlrev_b32_sdwa v22, v22, v15 dst_sel:DWORD dst_unused:UNUSED_PAD src0_sel:DWORD src1_sel:WORD_1
	v_bfe_u32 v20, v15, 19, 4
	v_sub_u32_e32 v21, 29, v21
	v_and_b32_e32 v22, 7, v22
	v_cmp_eq_u16_e32 vcc, 0, v14
	v_cndmask_b32_e32 v10, v10, v22, vcc
	v_cndmask_b32_e32 v14, v20, v21, vcc
	v_lshlrev_b32_e32 v20, 8, v15
	v_mov_b32_e32 v21, 0x3b800000
	v_lshlrev_b32_e32 v10, 20, v10
	v_and_b32_e32 v20, 0x80000000, v20
	v_lshl_add_u32 v14, v14, 23, v21
	v_or3_b32 v10, v20, v14, v10
.LBB1_52:
	s_or_b64 exec, exec, s[6:7]
	s_movk_i32 s4, 0xff
	v_and_b32_sdwa v14, v11, s4 dst_sel:DWORD dst_unused:UNUSED_PAD src0_sel:WORD_1 src1_sel:DWORD
	s_movk_i32 s4, 0x7f
	v_cmp_lt_i16_e32 vcc, s4, v14
	s_mov_b64 s[4:5], 0
                                        ; implicit-def: $sgpr10
	s_and_saveexec_b64 s[6:7], vcc
	s_xor_b64 s[6:7], exec, s[6:7]
	s_cbranch_execnz .LBB1_2101
; %bb.53:
	s_or_saveexec_b64 s[6:7], s[6:7]
	v_mov_b32_e32 v20, s10
	s_xor_b64 exec, exec, s[6:7]
	s_cbranch_execnz .LBB1_2104
.LBB1_54:
	s_or_b64 exec, exec, s[6:7]
	s_and_saveexec_b64 s[6:7], s[4:5]
	s_cbranch_execz .LBB1_56
.LBB1_55:
	v_bfe_u32 v14, v11, 16, 3
	v_ffbh_u32_e32 v22, v14
	v_min_u32_e32 v22, 32, v22
	v_lshrrev_b32_e32 v20, 19, v11
	v_subrev_u32_e32 v23, 28, v22
	v_and_b32_e32 v20, 15, v20
	v_lshlrev_b32_sdwa v23, v23, v11 dst_sel:DWORD dst_unused:UNUSED_PAD src0_sel:DWORD src1_sel:WORD_1
	v_bfe_u32 v21, v11, 19, 4
	v_sub_u32_e32 v22, 29, v22
	v_and_b32_e32 v23, 7, v23
	v_cmp_eq_u16_e32 vcc, 0, v20
	v_cndmask_b32_e32 v14, v14, v23, vcc
	v_cndmask_b32_e32 v20, v21, v22, vcc
	v_lshlrev_b32_e32 v21, 8, v11
	v_mov_b32_e32 v22, 0x3b800000
	v_lshlrev_b32_e32 v14, 20, v14
	v_and_b32_e32 v21, 0x80000000, v21
	v_lshl_add_u32 v20, v20, 23, v22
	v_or3_b32 v20, v21, v20, v14
.LBB1_56:
	s_or_b64 exec, exec, s[6:7]
	s_nop 0
	v_mfma_f32_16x16x4f32 a[0:3], v10, v20, a[0:3]
	s_movk_i32 s4, 0x7f
	v_cmp_gt_i16_sdwa s[6:7], v15, s4 src0_sel:BYTE_3 src1_sel:DWORD
	s_mov_b64 s[4:5], 0
                                        ; implicit-def: $sgpr10
	s_and_saveexec_b64 s[8:9], s[6:7]
	s_xor_b64 s[6:7], exec, s[8:9]
	s_cbranch_execnz .LBB1_2105
; %bb.57:
	s_or_saveexec_b64 s[6:7], s[6:7]
	v_mov_b32_e32 v10, s10
	s_xor_b64 exec, exec, s[6:7]
	s_cbranch_execnz .LBB1_2108
.LBB1_58:
	s_or_b64 exec, exec, s[6:7]
	s_and_saveexec_b64 s[6:7], s[4:5]
	s_cbranch_execz .LBB1_60
.LBB1_59:
	v_bfe_u32 v10, v15, 24, 3
	v_ffbh_u32_e32 v22, v10
	v_min_u32_e32 v22, 32, v22
	v_lshrrev_b32_e32 v20, 27, v15
	v_subrev_u32_e32 v23, 28, v22
	v_and_b32_e32 v14, 0x80000000, v15
	v_and_b32_e32 v20, 15, v20
	v_bfe_u32 v21, v15, 27, 4
	v_lshlrev_b32_sdwa v15, v23, v15 dst_sel:DWORD dst_unused:UNUSED_PAD src0_sel:DWORD src1_sel:BYTE_3
	v_sub_u32_e32 v22, 29, v22
	v_and_b32_e32 v15, 7, v15
	v_cmp_eq_u16_e32 vcc, 0, v20
	v_cndmask_b32_e32 v10, v10, v15, vcc
	v_cndmask_b32_e32 v15, v21, v22, vcc
	v_mov_b32_e32 v20, 0x3b800000
	v_lshlrev_b32_e32 v10, 20, v10
	v_lshl_add_u32 v15, v15, 23, v20
	v_or3_b32 v10, v14, v15, v10
.LBB1_60:
	s_or_b64 exec, exec, s[6:7]
	s_movk_i32 s4, 0x7f
	v_cmp_gt_i16_sdwa s[6:7], v11, s4 src0_sel:BYTE_3 src1_sel:DWORD
	s_mov_b64 s[4:5], 0
                                        ; implicit-def: $sgpr10
	s_and_saveexec_b64 s[8:9], s[6:7]
	s_xor_b64 s[6:7], exec, s[8:9]
	s_cbranch_execnz .LBB1_2109
; %bb.61:
	s_or_saveexec_b64 s[6:7], s[6:7]
	v_mov_b32_e32 v14, s10
	s_xor_b64 exec, exec, s[6:7]
	s_cbranch_execnz .LBB1_2112
.LBB1_62:
	s_or_b64 exec, exec, s[6:7]
	s_and_saveexec_b64 s[6:7], s[4:5]
	s_cbranch_execz .LBB1_64
.LBB1_63:
	v_bfe_u32 v14, v11, 24, 3
	v_ffbh_u32_e32 v22, v14
	v_min_u32_e32 v22, 32, v22
	v_lshrrev_b32_e32 v20, 27, v11
	v_subrev_u32_e32 v23, 28, v22
	v_and_b32_e32 v15, 0x80000000, v11
	v_and_b32_e32 v20, 15, v20
	v_bfe_u32 v21, v11, 27, 4
	v_lshlrev_b32_sdwa v11, v23, v11 dst_sel:DWORD dst_unused:UNUSED_PAD src0_sel:DWORD src1_sel:BYTE_3
	v_sub_u32_e32 v22, 29, v22
	v_and_b32_e32 v11, 7, v11
	v_cmp_eq_u16_e32 vcc, 0, v20
	v_cndmask_b32_e32 v11, v14, v11, vcc
	v_cndmask_b32_e32 v14, v21, v22, vcc
	v_mov_b32_e32 v20, 0x3b800000
	v_lshlrev_b32_e32 v11, 20, v11
	v_lshl_add_u32 v14, v14, 23, v20
	v_or3_b32 v14, v15, v14, v11
.LBB1_64:
	s_or_b64 exec, exec, s[6:7]
	s_nop 0
	v_mfma_f32_16x16x4f32 a[0:3], v10, v14, a[0:3]
	s_movk_i32 s4, 0x7f
	v_cmp_gt_i16_sdwa s[6:7], v16, s4 src0_sel:BYTE_0 src1_sel:DWORD
	s_mov_b64 s[4:5], 0
                                        ; implicit-def: $sgpr10
	s_and_saveexec_b64 s[8:9], s[6:7]
	s_xor_b64 s[6:7], exec, s[8:9]
	s_cbranch_execnz .LBB1_2113
; %bb.65:
	s_or_saveexec_b64 s[6:7], s[6:7]
	v_mov_b32_e32 v10, s10
	s_xor_b64 exec, exec, s[6:7]
	s_cbranch_execnz .LBB1_2116
.LBB1_66:
	s_or_b64 exec, exec, s[6:7]
	s_and_saveexec_b64 s[6:7], s[4:5]
	s_cbranch_execz .LBB1_68
.LBB1_67:
	v_and_b32_e32 v10, 7, v16
	v_ffbh_u32_e32 v14, v10
	v_min_u32_e32 v14, 32, v14
	v_lshrrev_b16_e32 v11, 3, v16
	v_subrev_u32_e32 v15, 28, v14
	v_and_b32_e32 v11, 15, v11
	v_lshlrev_b32_e32 v15, v15, v16
	v_sub_u32_e32 v14, 29, v14
	v_and_b32_e32 v15, 7, v15
	v_cmp_eq_u16_e32 vcc, 0, v11
	v_cndmask_b32_e32 v10, v10, v15, vcc
	v_cndmask_b32_e32 v11, v11, v14, vcc
	v_lshlrev_b32_e32 v14, 24, v16
	v_mov_b32_e32 v15, 0x3b800000
	v_lshlrev_b32_e32 v10, 20, v10
	v_and_b32_e32 v14, 0x80000000, v14
	v_lshl_add_u32 v11, v11, 23, v15
	v_or3_b32 v10, v14, v11, v10
.LBB1_68:
	s_or_b64 exec, exec, s[6:7]
	s_movk_i32 s4, 0x7f
	v_cmp_gt_i16_sdwa s[6:7], v12, s4 src0_sel:BYTE_0 src1_sel:DWORD
	s_mov_b64 s[4:5], 0
                                        ; implicit-def: $sgpr10
	s_and_saveexec_b64 s[8:9], s[6:7]
	s_xor_b64 s[6:7], exec, s[8:9]
	s_cbranch_execnz .LBB1_2117
; %bb.69:
	s_or_saveexec_b64 s[6:7], s[6:7]
	v_mov_b32_e32 v11, s10
	s_xor_b64 exec, exec, s[6:7]
	s_cbranch_execnz .LBB1_2120
.LBB1_70:
	s_or_b64 exec, exec, s[6:7]
	s_and_saveexec_b64 s[6:7], s[4:5]
	s_cbranch_execz .LBB1_72
.LBB1_71:
	v_and_b32_e32 v11, 7, v12
	v_ffbh_u32_e32 v15, v11
	v_min_u32_e32 v15, 32, v15
	v_lshrrev_b16_e32 v14, 3, v12
	v_subrev_u32_e32 v20, 28, v15
	v_and_b32_e32 v14, 15, v14
	v_lshlrev_b32_e32 v20, v20, v12
	v_sub_u32_e32 v15, 29, v15
	v_and_b32_e32 v20, 7, v20
	v_cmp_eq_u16_e32 vcc, 0, v14
	v_cndmask_b32_e32 v11, v11, v20, vcc
	v_cndmask_b32_e32 v14, v14, v15, vcc
	v_lshlrev_b32_e32 v15, 24, v12
	v_mov_b32_e32 v20, 0x3b800000
	v_lshlrev_b32_e32 v11, 20, v11
	v_and_b32_e32 v15, 0x80000000, v15
	v_lshl_add_u32 v14, v14, 23, v20
	v_or3_b32 v11, v15, v14, v11
.LBB1_72:
	s_or_b64 exec, exec, s[6:7]
	s_nop 0
	v_mfma_f32_16x16x4f32 a[0:3], v10, v11, a[0:3]
	v_lshrrev_b32_e32 v11, 8, v16
	s_movk_i32 s4, 0x7f
	v_cmp_gt_i16_sdwa s[6:7], v11, s4 src0_sel:BYTE_0 src1_sel:DWORD
	s_mov_b64 s[4:5], 0
                                        ; implicit-def: $sgpr10
	s_and_saveexec_b64 s[8:9], s[6:7]
	s_xor_b64 s[6:7], exec, s[8:9]
	s_cbranch_execnz .LBB1_2121
; %bb.73:
	s_or_saveexec_b64 s[6:7], s[6:7]
	v_mov_b32_e32 v10, s10
	s_xor_b64 exec, exec, s[6:7]
	s_cbranch_execnz .LBB1_2124
.LBB1_74:
	s_or_b64 exec, exec, s[6:7]
	s_and_saveexec_b64 s[6:7], s[4:5]
	s_cbranch_execz .LBB1_76
.LBB1_75:
	v_bfe_u32 v10, v16, 8, 3
	v_ffbh_u32_e32 v15, v10
	v_min_u32_e32 v15, 32, v15
	v_lshrrev_b16_e32 v14, 3, v11
	v_subrev_u32_e32 v20, 28, v15
	v_and_b32_e32 v14, 15, v14
	v_lshlrev_b32_e32 v11, v20, v11
	v_sub_u32_e32 v15, 29, v15
	v_and_b32_e32 v11, 7, v11
	v_cmp_eq_u16_e32 vcc, 0, v14
	v_cndmask_b32_e32 v10, v10, v11, vcc
	v_cndmask_b32_e32 v11, v14, v15, vcc
	v_lshlrev_b32_e32 v14, 16, v16
	v_mov_b32_e32 v15, 0x3b800000
	v_lshlrev_b32_e32 v10, 20, v10
	v_and_b32_e32 v14, 0x80000000, v14
	v_lshl_add_u32 v11, v11, 23, v15
	v_or3_b32 v10, v14, v11, v10
.LBB1_76:
	s_or_b64 exec, exec, s[6:7]
	v_lshrrev_b32_e32 v11, 8, v12
	s_movk_i32 s4, 0x7f
	v_cmp_gt_i16_sdwa s[6:7], v11, s4 src0_sel:BYTE_0 src1_sel:DWORD
	s_mov_b64 s[4:5], 0
                                        ; implicit-def: $sgpr10
	s_and_saveexec_b64 s[8:9], s[6:7]
	s_xor_b64 s[6:7], exec, s[8:9]
	s_cbranch_execnz .LBB1_2125
; %bb.77:
	s_or_saveexec_b64 s[6:7], s[6:7]
	v_mov_b32_e32 v14, s10
	s_xor_b64 exec, exec, s[6:7]
	s_cbranch_execnz .LBB1_2128
.LBB1_78:
	s_or_b64 exec, exec, s[6:7]
	s_and_saveexec_b64 s[6:7], s[4:5]
	s_cbranch_execz .LBB1_80
.LBB1_79:
	v_bfe_u32 v14, v12, 8, 3
	v_ffbh_u32_e32 v20, v14
	v_min_u32_e32 v20, 32, v20
	v_lshrrev_b16_e32 v15, 3, v11
	v_subrev_u32_e32 v21, 28, v20
	v_and_b32_e32 v15, 15, v15
	v_lshlrev_b32_e32 v11, v21, v11
	v_sub_u32_e32 v20, 29, v20
	v_and_b32_e32 v11, 7, v11
	v_cmp_eq_u16_e32 vcc, 0, v15
	v_cndmask_b32_e32 v11, v14, v11, vcc
	v_cndmask_b32_e32 v14, v15, v20, vcc
	v_lshlrev_b32_e32 v15, 16, v12
	v_mov_b32_e32 v20, 0x3b800000
	v_lshlrev_b32_e32 v11, 20, v11
	v_and_b32_e32 v15, 0x80000000, v15
	v_lshl_add_u32 v14, v14, 23, v20
	v_or3_b32 v14, v15, v14, v11
.LBB1_80:
	s_or_b64 exec, exec, s[6:7]
	s_nop 0
	v_mfma_f32_16x16x4f32 a[0:3], v10, v14, a[0:3]
	s_movk_i32 s4, 0xff
	v_and_b32_sdwa v11, v16, s4 dst_sel:DWORD dst_unused:UNUSED_PAD src0_sel:WORD_1 src1_sel:DWORD
	s_movk_i32 s4, 0x7f
	v_cmp_lt_i16_e32 vcc, s4, v11
	s_mov_b64 s[4:5], 0
                                        ; implicit-def: $sgpr10
	s_and_saveexec_b64 s[6:7], vcc
	s_xor_b64 s[6:7], exec, s[6:7]
	s_cbranch_execnz .LBB1_2129
; %bb.81:
	s_or_saveexec_b64 s[6:7], s[6:7]
	v_mov_b32_e32 v10, s10
	s_xor_b64 exec, exec, s[6:7]
	s_cbranch_execnz .LBB1_2132
.LBB1_82:
	s_or_b64 exec, exec, s[6:7]
	s_and_saveexec_b64 s[6:7], s[4:5]
	s_cbranch_execz .LBB1_84
.LBB1_83:
	v_bfe_u32 v10, v16, 16, 3
	v_ffbh_u32_e32 v15, v10
	v_min_u32_e32 v15, 32, v15
	v_lshrrev_b32_e32 v11, 19, v16
	v_subrev_u32_e32 v20, 28, v15
	v_and_b32_e32 v11, 15, v11
	v_lshlrev_b32_sdwa v20, v20, v16 dst_sel:DWORD dst_unused:UNUSED_PAD src0_sel:DWORD src1_sel:WORD_1
	v_bfe_u32 v14, v16, 19, 4
	v_sub_u32_e32 v15, 29, v15
	v_and_b32_e32 v20, 7, v20
	v_cmp_eq_u16_e32 vcc, 0, v11
	v_cndmask_b32_e32 v10, v10, v20, vcc
	v_cndmask_b32_e32 v11, v14, v15, vcc
	v_lshlrev_b32_e32 v14, 8, v16
	v_mov_b32_e32 v15, 0x3b800000
	v_lshlrev_b32_e32 v10, 20, v10
	v_and_b32_e32 v14, 0x80000000, v14
	v_lshl_add_u32 v11, v11, 23, v15
	v_or3_b32 v10, v14, v11, v10
.LBB1_84:
	s_or_b64 exec, exec, s[6:7]
	s_movk_i32 s4, 0xff
	v_and_b32_sdwa v11, v12, s4 dst_sel:DWORD dst_unused:UNUSED_PAD src0_sel:WORD_1 src1_sel:DWORD
	s_movk_i32 s4, 0x7f
	v_cmp_lt_i16_e32 vcc, s4, v11
	s_mov_b64 s[4:5], 0
                                        ; implicit-def: $sgpr10
	s_and_saveexec_b64 s[6:7], vcc
	s_xor_b64 s[6:7], exec, s[6:7]
	s_cbranch_execnz .LBB1_2133
; %bb.85:
	s_or_saveexec_b64 s[6:7], s[6:7]
	v_mov_b32_e32 v14, s10
	s_xor_b64 exec, exec, s[6:7]
	s_cbranch_execnz .LBB1_2136
.LBB1_86:
	s_or_b64 exec, exec, s[6:7]
	s_and_saveexec_b64 s[6:7], s[4:5]
	s_cbranch_execz .LBB1_88
.LBB1_87:
	v_bfe_u32 v11, v12, 16, 3
	v_ffbh_u32_e32 v20, v11
	v_min_u32_e32 v20, 32, v20
	v_lshrrev_b32_e32 v14, 19, v12
	v_subrev_u32_e32 v21, 28, v20
	v_and_b32_e32 v14, 15, v14
	v_lshlrev_b32_sdwa v21, v21, v12 dst_sel:DWORD dst_unused:UNUSED_PAD src0_sel:DWORD src1_sel:WORD_1
	v_bfe_u32 v15, v12, 19, 4
	v_sub_u32_e32 v20, 29, v20
	v_and_b32_e32 v21, 7, v21
	v_cmp_eq_u16_e32 vcc, 0, v14
	v_cndmask_b32_e32 v11, v11, v21, vcc
	v_cndmask_b32_e32 v14, v15, v20, vcc
	v_lshlrev_b32_e32 v15, 8, v12
	v_mov_b32_e32 v20, 0x3b800000
	v_lshlrev_b32_e32 v11, 20, v11
	v_and_b32_e32 v15, 0x80000000, v15
	v_lshl_add_u32 v14, v14, 23, v20
	v_or3_b32 v14, v15, v14, v11
.LBB1_88:
	s_or_b64 exec, exec, s[6:7]
	s_nop 0
	v_mfma_f32_16x16x4f32 a[0:3], v10, v14, a[0:3]
	s_movk_i32 s4, 0x7f
	v_cmp_gt_i16_sdwa s[6:7], v16, s4 src0_sel:BYTE_3 src1_sel:DWORD
	s_mov_b64 s[4:5], 0
                                        ; implicit-def: $sgpr10
	s_and_saveexec_b64 s[8:9], s[6:7]
	s_xor_b64 s[6:7], exec, s[8:9]
	s_cbranch_execnz .LBB1_2137
; %bb.89:
	s_or_saveexec_b64 s[6:7], s[6:7]
	v_mov_b32_e32 v10, s10
	s_xor_b64 exec, exec, s[6:7]
	s_cbranch_execnz .LBB1_2140
.LBB1_90:
	s_or_b64 exec, exec, s[6:7]
	s_and_saveexec_b64 s[6:7], s[4:5]
	s_cbranch_execz .LBB1_92
.LBB1_91:
	v_bfe_u32 v10, v16, 24, 3
	v_ffbh_u32_e32 v20, v10
	v_min_u32_e32 v20, 32, v20
	v_lshrrev_b32_e32 v14, 27, v16
	v_subrev_u32_e32 v21, 28, v20
	v_and_b32_e32 v11, 0x80000000, v16
	v_and_b32_e32 v14, 15, v14
	v_bfe_u32 v15, v16, 27, 4
	v_lshlrev_b32_sdwa v16, v21, v16 dst_sel:DWORD dst_unused:UNUSED_PAD src0_sel:DWORD src1_sel:BYTE_3
	v_sub_u32_e32 v20, 29, v20
	v_and_b32_e32 v16, 7, v16
	v_cmp_eq_u16_e32 vcc, 0, v14
	v_cndmask_b32_e32 v10, v10, v16, vcc
	v_cndmask_b32_e32 v14, v15, v20, vcc
	v_mov_b32_e32 v15, 0x3b800000
	v_lshlrev_b32_e32 v10, 20, v10
	v_lshl_add_u32 v14, v14, 23, v15
	v_or3_b32 v10, v11, v14, v10
.LBB1_92:
	s_or_b64 exec, exec, s[6:7]
	s_movk_i32 s4, 0x7f
	v_cmp_gt_i16_sdwa s[6:7], v12, s4 src0_sel:BYTE_3 src1_sel:DWORD
	s_mov_b64 s[4:5], 0
                                        ; implicit-def: $sgpr10
	s_and_saveexec_b64 s[8:9], s[6:7]
	s_xor_b64 s[6:7], exec, s[8:9]
	s_cbranch_execnz .LBB1_2141
; %bb.93:
	s_or_saveexec_b64 s[6:7], s[6:7]
	v_mov_b32_e32 v11, s10
	s_xor_b64 exec, exec, s[6:7]
	s_cbranch_execnz .LBB1_2144
.LBB1_94:
	s_or_b64 exec, exec, s[6:7]
	s_and_saveexec_b64 s[6:7], s[4:5]
	s_cbranch_execz .LBB1_96
.LBB1_95:
	v_bfe_u32 v11, v12, 24, 3
	v_ffbh_u32_e32 v20, v11
	v_min_u32_e32 v20, 32, v20
	v_lshrrev_b32_e32 v15, 27, v12
	v_subrev_u32_e32 v21, 28, v20
	v_and_b32_e32 v14, 0x80000000, v12
	v_and_b32_e32 v15, 15, v15
	v_bfe_u32 v16, v12, 27, 4
	v_lshlrev_b32_sdwa v12, v21, v12 dst_sel:DWORD dst_unused:UNUSED_PAD src0_sel:DWORD src1_sel:BYTE_3
	v_sub_u32_e32 v20, 29, v20
	v_and_b32_e32 v12, 7, v12
	v_cmp_eq_u16_e32 vcc, 0, v15
	v_cndmask_b32_e32 v11, v11, v12, vcc
	v_cndmask_b32_e32 v12, v16, v20, vcc
	v_mov_b32_e32 v15, 0x3b800000
	v_lshlrev_b32_e32 v11, 20, v11
	v_lshl_add_u32 v12, v12, 23, v15
	v_or3_b32 v11, v14, v12, v11
.LBB1_96:
	s_or_b64 exec, exec, s[6:7]
	s_nop 0
	v_mfma_f32_16x16x4f32 a[0:3], v10, v11, a[0:3]
	s_movk_i32 s4, 0x7f
	v_cmp_gt_i16_sdwa s[6:7], v17, s4 src0_sel:BYTE_0 src1_sel:DWORD
	s_mov_b64 s[4:5], 0
                                        ; implicit-def: $sgpr10
	s_and_saveexec_b64 s[8:9], s[6:7]
	s_xor_b64 s[6:7], exec, s[8:9]
	s_cbranch_execnz .LBB1_2145
; %bb.97:
	s_or_saveexec_b64 s[6:7], s[6:7]
	v_mov_b32_e32 v10, s10
	s_xor_b64 exec, exec, s[6:7]
	s_cbranch_execnz .LBB1_2148
.LBB1_98:
	s_or_b64 exec, exec, s[6:7]
	s_and_saveexec_b64 s[6:7], s[4:5]
	s_cbranch_execz .LBB1_100
.LBB1_99:
	v_and_b32_e32 v10, 7, v17
	v_ffbh_u32_e32 v12, v10
	v_min_u32_e32 v12, 32, v12
	v_lshrrev_b16_e32 v11, 3, v17
	v_subrev_u32_e32 v14, 28, v12
	v_and_b32_e32 v11, 15, v11
	v_lshlrev_b32_e32 v14, v14, v17
	v_sub_u32_e32 v12, 29, v12
	v_and_b32_e32 v14, 7, v14
	v_cmp_eq_u16_e32 vcc, 0, v11
	v_cndmask_b32_e32 v10, v10, v14, vcc
	v_cndmask_b32_e32 v11, v11, v12, vcc
	v_lshlrev_b32_e32 v12, 24, v17
	v_mov_b32_e32 v14, 0x3b800000
	v_lshlrev_b32_e32 v10, 20, v10
	v_and_b32_e32 v12, 0x80000000, v12
	v_lshl_add_u32 v11, v11, 23, v14
	v_or3_b32 v10, v12, v11, v10
.LBB1_100:
	s_or_b64 exec, exec, s[6:7]
	s_movk_i32 s4, 0x7f
	v_cmp_gt_i16_sdwa s[6:7], v13, s4 src0_sel:BYTE_0 src1_sel:DWORD
	s_mov_b64 s[4:5], 0
                                        ; implicit-def: $sgpr10
	s_and_saveexec_b64 s[8:9], s[6:7]
	s_xor_b64 s[6:7], exec, s[8:9]
	s_cbranch_execnz .LBB1_2149
; %bb.101:
	s_or_saveexec_b64 s[6:7], s[6:7]
	v_mov_b32_e32 v11, s10
	s_xor_b64 exec, exec, s[6:7]
	s_cbranch_execnz .LBB1_2152
.LBB1_102:
	s_or_b64 exec, exec, s[6:7]
	s_and_saveexec_b64 s[6:7], s[4:5]
	s_cbranch_execz .LBB1_104
.LBB1_103:
	v_and_b32_e32 v11, 7, v13
	v_ffbh_u32_e32 v14, v11
	v_min_u32_e32 v14, 32, v14
	v_lshrrev_b16_e32 v12, 3, v13
	v_subrev_u32_e32 v15, 28, v14
	v_and_b32_e32 v12, 15, v12
	v_lshlrev_b32_e32 v15, v15, v13
	v_sub_u32_e32 v14, 29, v14
	v_and_b32_e32 v15, 7, v15
	v_cmp_eq_u16_e32 vcc, 0, v12
	v_cndmask_b32_e32 v11, v11, v15, vcc
	v_cndmask_b32_e32 v12, v12, v14, vcc
	v_lshlrev_b32_e32 v14, 24, v13
	v_mov_b32_e32 v15, 0x3b800000
	v_lshlrev_b32_e32 v11, 20, v11
	v_and_b32_e32 v14, 0x80000000, v14
	v_lshl_add_u32 v12, v12, 23, v15
	v_or3_b32 v11, v14, v12, v11
.LBB1_104:
	s_or_b64 exec, exec, s[6:7]
	s_nop 0
	v_mfma_f32_16x16x4f32 a[0:3], v10, v11, a[0:3]
	v_lshrrev_b32_e32 v11, 8, v17
	s_movk_i32 s4, 0x7f
	v_cmp_gt_i16_sdwa s[6:7], v11, s4 src0_sel:BYTE_0 src1_sel:DWORD
	s_mov_b64 s[4:5], 0
                                        ; implicit-def: $sgpr10
	s_and_saveexec_b64 s[8:9], s[6:7]
	s_xor_b64 s[6:7], exec, s[8:9]
	s_cbranch_execnz .LBB1_2153
; %bb.105:
	s_or_saveexec_b64 s[6:7], s[6:7]
	v_mov_b32_e32 v10, s10
	s_xor_b64 exec, exec, s[6:7]
	s_cbranch_execnz .LBB1_2156
.LBB1_106:
	s_or_b64 exec, exec, s[6:7]
	s_and_saveexec_b64 s[6:7], s[4:5]
	s_cbranch_execz .LBB1_108
.LBB1_107:
	v_bfe_u32 v10, v17, 8, 3
	v_ffbh_u32_e32 v14, v10
	v_min_u32_e32 v14, 32, v14
	v_lshrrev_b16_e32 v12, 3, v11
	v_subrev_u32_e32 v15, 28, v14
	v_and_b32_e32 v12, 15, v12
	v_lshlrev_b32_e32 v11, v15, v11
	v_sub_u32_e32 v14, 29, v14
	v_and_b32_e32 v11, 7, v11
	v_cmp_eq_u16_e32 vcc, 0, v12
	v_cndmask_b32_e32 v10, v10, v11, vcc
	v_cndmask_b32_e32 v11, v12, v14, vcc
	v_lshlrev_b32_e32 v12, 16, v17
	v_mov_b32_e32 v14, 0x3b800000
	v_lshlrev_b32_e32 v10, 20, v10
	v_and_b32_e32 v12, 0x80000000, v12
	v_lshl_add_u32 v11, v11, 23, v14
	v_or3_b32 v10, v12, v11, v10
.LBB1_108:
	s_or_b64 exec, exec, s[6:7]
	v_lshrrev_b32_e32 v11, 8, v13
	s_movk_i32 s4, 0x7f
	v_cmp_gt_i16_sdwa s[6:7], v11, s4 src0_sel:BYTE_0 src1_sel:DWORD
	s_mov_b64 s[4:5], 0
                                        ; implicit-def: $sgpr10
	s_and_saveexec_b64 s[8:9], s[6:7]
	s_xor_b64 s[6:7], exec, s[8:9]
	s_cbranch_execnz .LBB1_2157
; %bb.109:
	s_or_saveexec_b64 s[6:7], s[6:7]
	v_mov_b32_e32 v12, s10
	s_xor_b64 exec, exec, s[6:7]
	s_cbranch_execnz .LBB1_2160
.LBB1_110:
	s_or_b64 exec, exec, s[6:7]
	s_and_saveexec_b64 s[6:7], s[4:5]
	s_cbranch_execz .LBB1_112
.LBB1_111:
	v_bfe_u32 v12, v13, 8, 3
	v_ffbh_u32_e32 v15, v12
	v_min_u32_e32 v15, 32, v15
	v_lshrrev_b16_e32 v14, 3, v11
	v_subrev_u32_e32 v16, 28, v15
	v_and_b32_e32 v14, 15, v14
	v_lshlrev_b32_e32 v11, v16, v11
	v_sub_u32_e32 v15, 29, v15
	v_and_b32_e32 v11, 7, v11
	v_cmp_eq_u16_e32 vcc, 0, v14
	v_cndmask_b32_e32 v11, v12, v11, vcc
	v_cndmask_b32_e32 v12, v14, v15, vcc
	v_lshlrev_b32_e32 v14, 16, v13
	v_mov_b32_e32 v15, 0x3b800000
	v_lshlrev_b32_e32 v11, 20, v11
	v_and_b32_e32 v14, 0x80000000, v14
	v_lshl_add_u32 v12, v12, 23, v15
	v_or3_b32 v12, v14, v12, v11
.LBB1_112:
	s_or_b64 exec, exec, s[6:7]
	s_nop 0
	v_mfma_f32_16x16x4f32 a[0:3], v10, v12, a[0:3]
	s_movk_i32 s4, 0xff
	v_and_b32_sdwa v11, v17, s4 dst_sel:DWORD dst_unused:UNUSED_PAD src0_sel:WORD_1 src1_sel:DWORD
	s_movk_i32 s4, 0x7f
	v_cmp_lt_i16_e32 vcc, s4, v11
	s_mov_b64 s[4:5], 0
                                        ; implicit-def: $sgpr10
	s_and_saveexec_b64 s[6:7], vcc
	s_xor_b64 s[6:7], exec, s[6:7]
	s_cbranch_execnz .LBB1_2161
; %bb.113:
	s_or_saveexec_b64 s[6:7], s[6:7]
	v_mov_b32_e32 v10, s10
	s_xor_b64 exec, exec, s[6:7]
	s_cbranch_execnz .LBB1_2164
.LBB1_114:
	s_or_b64 exec, exec, s[6:7]
	s_and_saveexec_b64 s[6:7], s[4:5]
	s_cbranch_execz .LBB1_116
.LBB1_115:
	v_bfe_u32 v10, v17, 16, 3
	v_ffbh_u32_e32 v14, v10
	v_min_u32_e32 v14, 32, v14
	v_lshrrev_b32_e32 v11, 19, v17
	v_subrev_u32_e32 v15, 28, v14
	v_and_b32_e32 v11, 15, v11
	v_lshlrev_b32_sdwa v15, v15, v17 dst_sel:DWORD dst_unused:UNUSED_PAD src0_sel:DWORD src1_sel:WORD_1
	v_bfe_u32 v12, v17, 19, 4
	v_sub_u32_e32 v14, 29, v14
	v_and_b32_e32 v15, 7, v15
	v_cmp_eq_u16_e32 vcc, 0, v11
	v_cndmask_b32_e32 v10, v10, v15, vcc
	v_cndmask_b32_e32 v11, v12, v14, vcc
	v_lshlrev_b32_e32 v12, 8, v17
	v_mov_b32_e32 v14, 0x3b800000
	v_lshlrev_b32_e32 v10, 20, v10
	v_and_b32_e32 v12, 0x80000000, v12
	v_lshl_add_u32 v11, v11, 23, v14
	v_or3_b32 v10, v12, v11, v10
.LBB1_116:
	s_or_b64 exec, exec, s[6:7]
	s_movk_i32 s4, 0xff
	v_and_b32_sdwa v11, v13, s4 dst_sel:DWORD dst_unused:UNUSED_PAD src0_sel:WORD_1 src1_sel:DWORD
	s_movk_i32 s4, 0x7f
	v_cmp_lt_i16_e32 vcc, s4, v11
	s_mov_b64 s[4:5], 0
                                        ; implicit-def: $sgpr10
	s_and_saveexec_b64 s[6:7], vcc
	s_xor_b64 s[6:7], exec, s[6:7]
	s_cbranch_execnz .LBB1_2165
; %bb.117:
	s_or_saveexec_b64 s[6:7], s[6:7]
	v_mov_b32_e32 v12, s10
	s_xor_b64 exec, exec, s[6:7]
	s_cbranch_execnz .LBB1_2168
.LBB1_118:
	s_or_b64 exec, exec, s[6:7]
	s_and_saveexec_b64 s[6:7], s[4:5]
	s_cbranch_execz .LBB1_120
.LBB1_119:
	v_bfe_u32 v11, v13, 16, 3
	v_ffbh_u32_e32 v15, v11
	v_min_u32_e32 v15, 32, v15
	v_lshrrev_b32_e32 v12, 19, v13
	v_subrev_u32_e32 v16, 28, v15
	v_and_b32_e32 v12, 15, v12
	v_lshlrev_b32_sdwa v16, v16, v13 dst_sel:DWORD dst_unused:UNUSED_PAD src0_sel:DWORD src1_sel:WORD_1
	v_bfe_u32 v14, v13, 19, 4
	v_sub_u32_e32 v15, 29, v15
	v_and_b32_e32 v16, 7, v16
	v_cmp_eq_u16_e32 vcc, 0, v12
	v_cndmask_b32_e32 v11, v11, v16, vcc
	v_cndmask_b32_e32 v12, v14, v15, vcc
	v_lshlrev_b32_e32 v14, 8, v13
	v_mov_b32_e32 v15, 0x3b800000
	v_lshlrev_b32_e32 v11, 20, v11
	v_and_b32_e32 v14, 0x80000000, v14
	v_lshl_add_u32 v12, v12, 23, v15
	v_or3_b32 v12, v14, v12, v11
.LBB1_120:
	s_or_b64 exec, exec, s[6:7]
	s_nop 0
	v_mfma_f32_16x16x4f32 a[0:3], v10, v12, a[0:3]
	s_movk_i32 s4, 0x7f
	v_cmp_gt_i16_sdwa s[6:7], v17, s4 src0_sel:BYTE_3 src1_sel:DWORD
	s_mov_b64 s[4:5], 0
                                        ; implicit-def: $sgpr10
	s_and_saveexec_b64 s[8:9], s[6:7]
	s_xor_b64 s[6:7], exec, s[8:9]
	s_cbranch_execnz .LBB1_2169
; %bb.121:
	s_or_saveexec_b64 s[6:7], s[6:7]
	v_mov_b32_e32 v10, s10
	s_xor_b64 exec, exec, s[6:7]
	s_cbranch_execnz .LBB1_2172
.LBB1_122:
	s_or_b64 exec, exec, s[6:7]
	s_and_saveexec_b64 s[6:7], s[4:5]
	s_cbranch_execz .LBB1_124
.LBB1_123:
	v_bfe_u32 v10, v17, 24, 3
	v_ffbh_u32_e32 v15, v10
	v_min_u32_e32 v15, 32, v15
	v_lshrrev_b32_e32 v12, 27, v17
	v_subrev_u32_e32 v16, 28, v15
	v_and_b32_e32 v12, 15, v12
	v_lshlrev_b32_sdwa v16, v16, v17 dst_sel:DWORD dst_unused:UNUSED_PAD src0_sel:DWORD src1_sel:BYTE_3
	v_bfe_u32 v14, v17, 27, 4
	v_sub_u32_e32 v15, 29, v15
	v_and_b32_e32 v16, 7, v16
	v_cmp_eq_u16_e32 vcc, 0, v12
	v_cndmask_b32_e32 v10, v10, v16, vcc
	v_cndmask_b32_e32 v12, v14, v15, vcc
	v_mov_b32_e32 v14, 0x3b800000
	v_and_b32_e32 v11, 0x80000000, v17
	v_lshlrev_b32_e32 v10, 20, v10
	v_lshl_add_u32 v12, v12, 23, v14
	v_or3_b32 v10, v11, v12, v10
.LBB1_124:
	s_or_b64 exec, exec, s[6:7]
	s_movk_i32 s4, 0x7f
	v_cmp_gt_i16_sdwa s[6:7], v13, s4 src0_sel:BYTE_3 src1_sel:DWORD
	s_mov_b64 s[4:5], 0
                                        ; implicit-def: $sgpr10
	s_and_saveexec_b64 s[8:9], s[6:7]
	s_xor_b64 s[6:7], exec, s[8:9]
	s_cbranch_execnz .LBB1_2173
; %bb.125:
	s_or_saveexec_b64 s[6:7], s[6:7]
	v_mov_b32_e32 v11, s10
	s_xor_b64 exec, exec, s[6:7]
	s_cbranch_execnz .LBB1_2176
.LBB1_126:
	s_or_b64 exec, exec, s[6:7]
	s_and_saveexec_b64 s[6:7], s[4:5]
	s_cbranch_execz .LBB1_128
.LBB1_127:
	v_bfe_u32 v11, v13, 24, 3
	v_ffbh_u32_e32 v16, v11
	v_min_u32_e32 v16, 32, v16
	v_lshrrev_b32_e32 v14, 27, v13
	v_subrev_u32_e32 v17, 28, v16
	v_and_b32_e32 v12, 0x80000000, v13
	v_and_b32_e32 v14, 15, v14
	v_bfe_u32 v15, v13, 27, 4
	v_lshlrev_b32_sdwa v13, v17, v13 dst_sel:DWORD dst_unused:UNUSED_PAD src0_sel:DWORD src1_sel:BYTE_3
	v_sub_u32_e32 v16, 29, v16
	v_and_b32_e32 v13, 7, v13
	v_cmp_eq_u16_e32 vcc, 0, v14
	v_cndmask_b32_e32 v11, v11, v13, vcc
	v_cndmask_b32_e32 v13, v15, v16, vcc
	v_mov_b32_e32 v14, 0x3b800000
	v_lshlrev_b32_e32 v11, 20, v11
	v_lshl_add_u32 v13, v13, 23, v14
	v_or3_b32 v11, v12, v13, v11
.LBB1_128:
	s_or_b64 exec, exec, s[6:7]
	s_nop 0
	v_mfma_f32_16x16x4f32 a[0:3], v10, v11, a[0:3]
	s_movk_i32 s4, 0x7f
	v_cmp_gt_i16_sdwa s[6:7], v6, s4 src0_sel:BYTE_0 src1_sel:DWORD
	s_mov_b64 s[4:5], 0
                                        ; implicit-def: $sgpr10
	s_and_saveexec_b64 s[8:9], s[6:7]
	s_xor_b64 s[6:7], exec, s[8:9]
	s_cbranch_execnz .LBB1_2177
; %bb.129:
	s_or_saveexec_b64 s[6:7], s[6:7]
	v_mov_b32_e32 v10, s10
	s_xor_b64 exec, exec, s[6:7]
	s_cbranch_execnz .LBB1_2180
.LBB1_130:
	s_or_b64 exec, exec, s[6:7]
	s_and_saveexec_b64 s[6:7], s[4:5]
	s_cbranch_execz .LBB1_132
.LBB1_131:
	v_and_b32_e32 v10, 7, v6
	v_ffbh_u32_e32 v12, v10
	v_min_u32_e32 v12, 32, v12
	v_lshrrev_b16_e32 v11, 3, v6
	v_subrev_u32_e32 v13, 28, v12
	v_and_b32_e32 v11, 15, v11
	v_lshlrev_b32_e32 v13, v13, v6
	v_sub_u32_e32 v12, 29, v12
	v_and_b32_e32 v13, 7, v13
	v_cmp_eq_u16_e32 vcc, 0, v11
	v_cndmask_b32_e32 v10, v10, v13, vcc
	v_cndmask_b32_e32 v11, v11, v12, vcc
	v_lshlrev_b32_e32 v12, 24, v6
	v_mov_b32_e32 v13, 0x3b800000
	v_lshlrev_b32_e32 v10, 20, v10
	v_and_b32_e32 v12, 0x80000000, v12
	v_lshl_add_u32 v11, v11, 23, v13
	v_or3_b32 v10, v12, v11, v10
.LBB1_132:
	s_or_b64 exec, exec, s[6:7]
	s_movk_i32 s4, 0x7f
	v_cmp_gt_i16_sdwa s[6:7], v2, s4 src0_sel:BYTE_0 src1_sel:DWORD
	s_mov_b64 s[4:5], 0
                                        ; implicit-def: $sgpr10
	s_and_saveexec_b64 s[8:9], s[6:7]
	s_xor_b64 s[6:7], exec, s[8:9]
	s_cbranch_execnz .LBB1_2181
; %bb.133:
	s_or_saveexec_b64 s[6:7], s[6:7]
	v_mov_b32_e32 v11, s10
	s_xor_b64 exec, exec, s[6:7]
	s_cbranch_execnz .LBB1_2184
.LBB1_134:
	s_or_b64 exec, exec, s[6:7]
	s_and_saveexec_b64 s[6:7], s[4:5]
	s_cbranch_execz .LBB1_136
.LBB1_135:
	v_and_b32_e32 v11, 7, v2
	v_ffbh_u32_e32 v13, v11
	v_min_u32_e32 v13, 32, v13
	v_lshrrev_b16_e32 v12, 3, v2
	v_subrev_u32_e32 v14, 28, v13
	v_and_b32_e32 v12, 15, v12
	v_lshlrev_b32_e32 v14, v14, v2
	v_sub_u32_e32 v13, 29, v13
	v_and_b32_e32 v14, 7, v14
	v_cmp_eq_u16_e32 vcc, 0, v12
	v_cndmask_b32_e32 v11, v11, v14, vcc
	v_cndmask_b32_e32 v12, v12, v13, vcc
	v_lshlrev_b32_e32 v13, 24, v2
	v_mov_b32_e32 v14, 0x3b800000
	v_lshlrev_b32_e32 v11, 20, v11
	v_and_b32_e32 v13, 0x80000000, v13
	v_lshl_add_u32 v12, v12, 23, v14
	v_or3_b32 v11, v13, v12, v11
.LBB1_136:
	s_or_b64 exec, exec, s[6:7]
	s_nop 0
	v_mfma_f32_16x16x4f32 a[0:3], v10, v11, a[0:3]
	v_lshrrev_b32_e32 v11, 8, v6
	s_movk_i32 s4, 0x7f
	v_cmp_gt_i16_sdwa s[6:7], v11, s4 src0_sel:BYTE_0 src1_sel:DWORD
	s_mov_b64 s[4:5], 0
                                        ; implicit-def: $sgpr10
	s_and_saveexec_b64 s[8:9], s[6:7]
	s_xor_b64 s[6:7], exec, s[8:9]
	s_cbranch_execnz .LBB1_2185
; %bb.137:
	s_or_saveexec_b64 s[6:7], s[6:7]
	v_mov_b32_e32 v10, s10
	s_xor_b64 exec, exec, s[6:7]
	s_cbranch_execnz .LBB1_2188
.LBB1_138:
	s_or_b64 exec, exec, s[6:7]
	s_and_saveexec_b64 s[6:7], s[4:5]
	s_cbranch_execz .LBB1_140
.LBB1_139:
	v_bfe_u32 v10, v6, 8, 3
	v_ffbh_u32_e32 v13, v10
	v_min_u32_e32 v13, 32, v13
	v_lshrrev_b16_e32 v12, 3, v11
	v_subrev_u32_e32 v14, 28, v13
	v_and_b32_e32 v12, 15, v12
	v_lshlrev_b32_e32 v11, v14, v11
	v_sub_u32_e32 v13, 29, v13
	v_and_b32_e32 v11, 7, v11
	v_cmp_eq_u16_e32 vcc, 0, v12
	v_cndmask_b32_e32 v10, v10, v11, vcc
	v_cndmask_b32_e32 v11, v12, v13, vcc
	v_lshlrev_b32_e32 v12, 16, v6
	v_mov_b32_e32 v13, 0x3b800000
	v_lshlrev_b32_e32 v10, 20, v10
	v_and_b32_e32 v12, 0x80000000, v12
	v_lshl_add_u32 v11, v11, 23, v13
	v_or3_b32 v10, v12, v11, v10
.LBB1_140:
	s_or_b64 exec, exec, s[6:7]
	v_lshrrev_b32_e32 v11, 8, v2
	s_movk_i32 s4, 0x7f
	v_cmp_gt_i16_sdwa s[6:7], v11, s4 src0_sel:BYTE_0 src1_sel:DWORD
	s_mov_b64 s[4:5], 0
                                        ; implicit-def: $sgpr10
	s_and_saveexec_b64 s[8:9], s[6:7]
	s_xor_b64 s[6:7], exec, s[8:9]
	s_cbranch_execnz .LBB1_2189
; %bb.141:
	s_or_saveexec_b64 s[6:7], s[6:7]
	v_mov_b32_e32 v12, s10
	s_xor_b64 exec, exec, s[6:7]
	s_cbranch_execnz .LBB1_2192
.LBB1_142:
	s_or_b64 exec, exec, s[6:7]
	s_and_saveexec_b64 s[6:7], s[4:5]
	s_cbranch_execz .LBB1_144
.LBB1_143:
	v_bfe_u32 v12, v2, 8, 3
	v_ffbh_u32_e32 v14, v12
	v_min_u32_e32 v14, 32, v14
	v_lshrrev_b16_e32 v13, 3, v11
	v_subrev_u32_e32 v15, 28, v14
	v_and_b32_e32 v13, 15, v13
	v_lshlrev_b32_e32 v11, v15, v11
	v_sub_u32_e32 v14, 29, v14
	v_and_b32_e32 v11, 7, v11
	v_cmp_eq_u16_e32 vcc, 0, v13
	v_cndmask_b32_e32 v11, v12, v11, vcc
	v_cndmask_b32_e32 v12, v13, v14, vcc
	v_lshlrev_b32_e32 v13, 16, v2
	v_mov_b32_e32 v14, 0x3b800000
	v_lshlrev_b32_e32 v11, 20, v11
	v_and_b32_e32 v13, 0x80000000, v13
	v_lshl_add_u32 v12, v12, 23, v14
	v_or3_b32 v12, v13, v12, v11
.LBB1_144:
	s_or_b64 exec, exec, s[6:7]
	s_nop 0
	v_mfma_f32_16x16x4f32 a[0:3], v10, v12, a[0:3]
	s_movk_i32 s4, 0xff
	v_and_b32_sdwa v11, v6, s4 dst_sel:DWORD dst_unused:UNUSED_PAD src0_sel:WORD_1 src1_sel:DWORD
	s_movk_i32 s4, 0x7f
	v_cmp_lt_i16_e32 vcc, s4, v11
	s_mov_b64 s[4:5], 0
                                        ; implicit-def: $sgpr10
	s_and_saveexec_b64 s[6:7], vcc
	s_xor_b64 s[6:7], exec, s[6:7]
	s_cbranch_execnz .LBB1_2193
; %bb.145:
	s_or_saveexec_b64 s[6:7], s[6:7]
	v_mov_b32_e32 v10, s10
	s_xor_b64 exec, exec, s[6:7]
	s_cbranch_execnz .LBB1_2196
.LBB1_146:
	s_or_b64 exec, exec, s[6:7]
	s_and_saveexec_b64 s[6:7], s[4:5]
	s_cbranch_execz .LBB1_148
.LBB1_147:
	v_bfe_u32 v10, v6, 16, 3
	v_ffbh_u32_e32 v13, v10
	v_min_u32_e32 v13, 32, v13
	v_lshrrev_b32_e32 v11, 19, v6
	v_subrev_u32_e32 v14, 28, v13
	v_and_b32_e32 v11, 15, v11
	v_lshlrev_b32_sdwa v14, v14, v6 dst_sel:DWORD dst_unused:UNUSED_PAD src0_sel:DWORD src1_sel:WORD_1
	v_bfe_u32 v12, v6, 19, 4
	v_sub_u32_e32 v13, 29, v13
	v_and_b32_e32 v14, 7, v14
	v_cmp_eq_u16_e32 vcc, 0, v11
	v_cndmask_b32_e32 v10, v10, v14, vcc
	v_cndmask_b32_e32 v11, v12, v13, vcc
	v_lshlrev_b32_e32 v12, 8, v6
	v_mov_b32_e32 v13, 0x3b800000
	v_lshlrev_b32_e32 v10, 20, v10
	v_and_b32_e32 v12, 0x80000000, v12
	v_lshl_add_u32 v11, v11, 23, v13
	v_or3_b32 v10, v12, v11, v10
.LBB1_148:
	s_or_b64 exec, exec, s[6:7]
	s_movk_i32 s4, 0xff
	v_and_b32_sdwa v11, v2, s4 dst_sel:DWORD dst_unused:UNUSED_PAD src0_sel:WORD_1 src1_sel:DWORD
	s_movk_i32 s4, 0x7f
	v_cmp_lt_i16_e32 vcc, s4, v11
	s_mov_b64 s[4:5], 0
                                        ; implicit-def: $sgpr10
	s_and_saveexec_b64 s[6:7], vcc
	s_xor_b64 s[6:7], exec, s[6:7]
	s_cbranch_execnz .LBB1_2197
; %bb.149:
	s_or_saveexec_b64 s[6:7], s[6:7]
	v_mov_b32_e32 v12, s10
	s_xor_b64 exec, exec, s[6:7]
	s_cbranch_execnz .LBB1_2200
.LBB1_150:
	s_or_b64 exec, exec, s[6:7]
	s_and_saveexec_b64 s[6:7], s[4:5]
	s_cbranch_execz .LBB1_152
.LBB1_151:
	v_bfe_u32 v11, v2, 16, 3
	v_ffbh_u32_e32 v14, v11
	v_min_u32_e32 v14, 32, v14
	v_lshrrev_b32_e32 v12, 19, v2
	v_subrev_u32_e32 v15, 28, v14
	v_and_b32_e32 v12, 15, v12
	v_lshlrev_b32_sdwa v15, v15, v2 dst_sel:DWORD dst_unused:UNUSED_PAD src0_sel:DWORD src1_sel:WORD_1
	v_bfe_u32 v13, v2, 19, 4
	v_sub_u32_e32 v14, 29, v14
	v_and_b32_e32 v15, 7, v15
	v_cmp_eq_u16_e32 vcc, 0, v12
	v_cndmask_b32_e32 v11, v11, v15, vcc
	v_cndmask_b32_e32 v12, v13, v14, vcc
	v_lshlrev_b32_e32 v13, 8, v2
	v_mov_b32_e32 v14, 0x3b800000
	v_lshlrev_b32_e32 v11, 20, v11
	v_and_b32_e32 v13, 0x80000000, v13
	v_lshl_add_u32 v12, v12, 23, v14
	v_or3_b32 v12, v13, v12, v11
.LBB1_152:
	s_or_b64 exec, exec, s[6:7]
	s_nop 0
	v_mfma_f32_16x16x4f32 a[0:3], v10, v12, a[0:3]
	s_movk_i32 s4, 0x7f
	v_cmp_gt_i16_sdwa s[6:7], v6, s4 src0_sel:BYTE_3 src1_sel:DWORD
	s_mov_b64 s[4:5], 0
                                        ; implicit-def: $sgpr10
	s_and_saveexec_b64 s[8:9], s[6:7]
	s_xor_b64 s[6:7], exec, s[8:9]
	s_cbranch_execnz .LBB1_2201
; %bb.153:
	s_or_saveexec_b64 s[6:7], s[6:7]
	v_mov_b32_e32 v10, s10
	s_xor_b64 exec, exec, s[6:7]
	s_cbranch_execnz .LBB1_2204
.LBB1_154:
	s_or_b64 exec, exec, s[6:7]
	s_and_saveexec_b64 s[6:7], s[4:5]
	s_cbranch_execz .LBB1_156
.LBB1_155:
	v_bfe_u32 v10, v6, 24, 3
	v_ffbh_u32_e32 v14, v10
	v_min_u32_e32 v14, 32, v14
	v_lshrrev_b32_e32 v12, 27, v6
	v_subrev_u32_e32 v15, 28, v14
	v_and_b32_e32 v11, 0x80000000, v6
	v_and_b32_e32 v12, 15, v12
	v_bfe_u32 v13, v6, 27, 4
	v_lshlrev_b32_sdwa v6, v15, v6 dst_sel:DWORD dst_unused:UNUSED_PAD src0_sel:DWORD src1_sel:BYTE_3
	v_sub_u32_e32 v14, 29, v14
	v_and_b32_e32 v6, 7, v6
	v_cmp_eq_u16_e32 vcc, 0, v12
	v_cndmask_b32_e32 v6, v10, v6, vcc
	v_cndmask_b32_e32 v10, v13, v14, vcc
	v_mov_b32_e32 v12, 0x3b800000
	v_lshlrev_b32_e32 v6, 20, v6
	v_lshl_add_u32 v10, v10, 23, v12
	v_or3_b32 v10, v11, v10, v6
.LBB1_156:
	s_or_b64 exec, exec, s[6:7]
	s_movk_i32 s4, 0x7f
	v_cmp_gt_i16_sdwa s[6:7], v2, s4 src0_sel:BYTE_3 src1_sel:DWORD
	s_mov_b64 s[4:5], 0
                                        ; implicit-def: $sgpr10
	s_and_saveexec_b64 s[8:9], s[6:7]
	s_xor_b64 s[6:7], exec, s[8:9]
	s_cbranch_execnz .LBB1_2205
; %bb.157:
	s_or_saveexec_b64 s[6:7], s[6:7]
	v_mov_b32_e32 v6, s10
	s_xor_b64 exec, exec, s[6:7]
	s_cbranch_execnz .LBB1_2208
.LBB1_158:
	s_or_b64 exec, exec, s[6:7]
	s_and_saveexec_b64 s[6:7], s[4:5]
	s_cbranch_execz .LBB1_160
.LBB1_159:
	v_bfe_u32 v6, v2, 24, 3
	v_ffbh_u32_e32 v14, v6
	v_min_u32_e32 v14, 32, v14
	v_lshrrev_b32_e32 v12, 27, v2
	v_subrev_u32_e32 v15, 28, v14
	v_and_b32_e32 v11, 0x80000000, v2
	v_and_b32_e32 v12, 15, v12
	v_bfe_u32 v13, v2, 27, 4
	v_lshlrev_b32_sdwa v2, v15, v2 dst_sel:DWORD dst_unused:UNUSED_PAD src0_sel:DWORD src1_sel:BYTE_3
	v_sub_u32_e32 v14, 29, v14
	v_and_b32_e32 v2, 7, v2
	v_cmp_eq_u16_e32 vcc, 0, v12
	v_cndmask_b32_e32 v2, v6, v2, vcc
	v_cndmask_b32_e32 v6, v13, v14, vcc
	v_mov_b32_e32 v12, 0x3b800000
	v_lshlrev_b32_e32 v2, 20, v2
	v_lshl_add_u32 v6, v6, 23, v12
	v_or3_b32 v6, v11, v6, v2
.LBB1_160:
	s_or_b64 exec, exec, s[6:7]
	s_nop 0
	v_mfma_f32_16x16x4f32 a[0:3], v10, v6, a[0:3]
	s_movk_i32 s4, 0x7f
	v_cmp_gt_i16_sdwa s[6:7], v7, s4 src0_sel:BYTE_0 src1_sel:DWORD
	s_mov_b64 s[4:5], 0
                                        ; implicit-def: $sgpr10
	s_and_saveexec_b64 s[8:9], s[6:7]
	s_xor_b64 s[6:7], exec, s[8:9]
	s_cbranch_execnz .LBB1_2209
; %bb.161:
	s_or_saveexec_b64 s[6:7], s[6:7]
	v_mov_b32_e32 v2, s10
	s_xor_b64 exec, exec, s[6:7]
	s_cbranch_execnz .LBB1_2212
.LBB1_162:
	s_or_b64 exec, exec, s[6:7]
	s_and_saveexec_b64 s[6:7], s[4:5]
	s_cbranch_execz .LBB1_164
.LBB1_163:
	v_and_b32_e32 v2, 7, v7
	v_ffbh_u32_e32 v10, v2
	v_min_u32_e32 v10, 32, v10
	v_lshrrev_b16_e32 v6, 3, v7
	v_subrev_u32_e32 v11, 28, v10
	v_and_b32_e32 v6, 15, v6
	v_lshlrev_b32_e32 v11, v11, v7
	v_sub_u32_e32 v10, 29, v10
	v_and_b32_e32 v11, 7, v11
	v_cmp_eq_u16_e32 vcc, 0, v6
	v_cndmask_b32_e32 v2, v2, v11, vcc
	v_cndmask_b32_e32 v6, v6, v10, vcc
	v_lshlrev_b32_e32 v10, 24, v7
	v_mov_b32_e32 v11, 0x3b800000
	v_lshlrev_b32_e32 v2, 20, v2
	v_and_b32_e32 v10, 0x80000000, v10
	v_lshl_add_u32 v6, v6, 23, v11
	v_or3_b32 v2, v10, v6, v2
.LBB1_164:
	s_or_b64 exec, exec, s[6:7]
	s_movk_i32 s4, 0x7f
	v_cmp_gt_i16_sdwa s[6:7], v3, s4 src0_sel:BYTE_0 src1_sel:DWORD
	s_mov_b64 s[4:5], 0
                                        ; implicit-def: $sgpr10
	s_and_saveexec_b64 s[8:9], s[6:7]
	s_xor_b64 s[6:7], exec, s[8:9]
	s_cbranch_execnz .LBB1_2213
; %bb.165:
	s_or_saveexec_b64 s[6:7], s[6:7]
	v_mov_b32_e32 v6, s10
	s_xor_b64 exec, exec, s[6:7]
	s_cbranch_execnz .LBB1_2216
.LBB1_166:
	s_or_b64 exec, exec, s[6:7]
	s_and_saveexec_b64 s[6:7], s[4:5]
	s_cbranch_execz .LBB1_168
.LBB1_167:
	v_and_b32_e32 v6, 7, v3
	v_ffbh_u32_e32 v11, v6
	v_min_u32_e32 v11, 32, v11
	v_lshrrev_b16_e32 v10, 3, v3
	v_subrev_u32_e32 v12, 28, v11
	v_and_b32_e32 v10, 15, v10
	v_lshlrev_b32_e32 v12, v12, v3
	v_sub_u32_e32 v11, 29, v11
	v_and_b32_e32 v12, 7, v12
	v_cmp_eq_u16_e32 vcc, 0, v10
	v_cndmask_b32_e32 v6, v6, v12, vcc
	v_cndmask_b32_e32 v10, v10, v11, vcc
	v_lshlrev_b32_e32 v11, 24, v3
	v_mov_b32_e32 v12, 0x3b800000
	v_lshlrev_b32_e32 v6, 20, v6
	v_and_b32_e32 v11, 0x80000000, v11
	v_lshl_add_u32 v10, v10, 23, v12
	v_or3_b32 v6, v11, v10, v6
.LBB1_168:
	s_or_b64 exec, exec, s[6:7]
	s_nop 0
	v_mfma_f32_16x16x4f32 a[0:3], v2, v6, a[0:3]
	v_lshrrev_b32_e32 v6, 8, v7
	s_movk_i32 s4, 0x7f
	v_cmp_gt_i16_sdwa s[6:7], v6, s4 src0_sel:BYTE_0 src1_sel:DWORD
	s_mov_b64 s[4:5], 0
                                        ; implicit-def: $sgpr10
	s_and_saveexec_b64 s[8:9], s[6:7]
	s_xor_b64 s[6:7], exec, s[8:9]
	s_cbranch_execnz .LBB1_2217
; %bb.169:
	s_or_saveexec_b64 s[6:7], s[6:7]
	v_mov_b32_e32 v2, s10
	s_xor_b64 exec, exec, s[6:7]
	s_cbranch_execnz .LBB1_2220
.LBB1_170:
	s_or_b64 exec, exec, s[6:7]
	s_and_saveexec_b64 s[6:7], s[4:5]
	s_cbranch_execz .LBB1_172
.LBB1_171:
	v_bfe_u32 v2, v7, 8, 3
	v_ffbh_u32_e32 v11, v2
	v_min_u32_e32 v11, 32, v11
	v_lshrrev_b16_e32 v10, 3, v6
	v_subrev_u32_e32 v12, 28, v11
	v_and_b32_e32 v10, 15, v10
	v_lshlrev_b32_e32 v6, v12, v6
	v_sub_u32_e32 v11, 29, v11
	v_and_b32_e32 v6, 7, v6
	v_cmp_eq_u16_e32 vcc, 0, v10
	v_cndmask_b32_e32 v2, v2, v6, vcc
	v_cndmask_b32_e32 v6, v10, v11, vcc
	v_lshlrev_b32_e32 v10, 16, v7
	v_mov_b32_e32 v11, 0x3b800000
	v_lshlrev_b32_e32 v2, 20, v2
	v_and_b32_e32 v10, 0x80000000, v10
	v_lshl_add_u32 v6, v6, 23, v11
	v_or3_b32 v2, v10, v6, v2
.LBB1_172:
	s_or_b64 exec, exec, s[6:7]
	v_lshrrev_b32_e32 v6, 8, v3
	s_movk_i32 s4, 0x7f
	v_cmp_gt_i16_sdwa s[6:7], v6, s4 src0_sel:BYTE_0 src1_sel:DWORD
	s_mov_b64 s[4:5], 0
                                        ; implicit-def: $sgpr10
	s_and_saveexec_b64 s[8:9], s[6:7]
	s_xor_b64 s[6:7], exec, s[8:9]
	s_cbranch_execnz .LBB1_2221
; %bb.173:
	s_or_saveexec_b64 s[6:7], s[6:7]
	v_mov_b32_e32 v10, s10
	s_xor_b64 exec, exec, s[6:7]
	s_cbranch_execnz .LBB1_2224
.LBB1_174:
	s_or_b64 exec, exec, s[6:7]
	s_and_saveexec_b64 s[6:7], s[4:5]
	s_cbranch_execz .LBB1_176
.LBB1_175:
	v_bfe_u32 v10, v3, 8, 3
	v_ffbh_u32_e32 v12, v10
	v_min_u32_e32 v12, 32, v12
	v_lshrrev_b16_e32 v11, 3, v6
	v_subrev_u32_e32 v13, 28, v12
	v_and_b32_e32 v11, 15, v11
	v_lshlrev_b32_e32 v6, v13, v6
	v_sub_u32_e32 v12, 29, v12
	v_and_b32_e32 v6, 7, v6
	v_cmp_eq_u16_e32 vcc, 0, v11
	v_cndmask_b32_e32 v6, v10, v6, vcc
	v_cndmask_b32_e32 v10, v11, v12, vcc
	v_lshlrev_b32_e32 v11, 16, v3
	v_mov_b32_e32 v12, 0x3b800000
	v_lshlrev_b32_e32 v6, 20, v6
	v_and_b32_e32 v11, 0x80000000, v11
	v_lshl_add_u32 v10, v10, 23, v12
	v_or3_b32 v10, v11, v10, v6
.LBB1_176:
	s_or_b64 exec, exec, s[6:7]
	s_nop 0
	v_mfma_f32_16x16x4f32 a[0:3], v2, v10, a[0:3]
	s_movk_i32 s4, 0xff
	v_and_b32_sdwa v6, v7, s4 dst_sel:DWORD dst_unused:UNUSED_PAD src0_sel:WORD_1 src1_sel:DWORD
	s_movk_i32 s4, 0x7f
	v_cmp_lt_i16_e32 vcc, s4, v6
	s_mov_b64 s[4:5], 0
                                        ; implicit-def: $sgpr10
	s_and_saveexec_b64 s[6:7], vcc
	s_xor_b64 s[6:7], exec, s[6:7]
	s_cbranch_execnz .LBB1_2225
; %bb.177:
	s_or_saveexec_b64 s[6:7], s[6:7]
	v_mov_b32_e32 v2, s10
	s_xor_b64 exec, exec, s[6:7]
	s_cbranch_execnz .LBB1_2228
.LBB1_178:
	s_or_b64 exec, exec, s[6:7]
	s_and_saveexec_b64 s[6:7], s[4:5]
	s_cbranch_execz .LBB1_180
.LBB1_179:
	v_bfe_u32 v2, v7, 16, 3
	v_ffbh_u32_e32 v11, v2
	v_min_u32_e32 v11, 32, v11
	v_lshrrev_b32_e32 v6, 19, v7
	v_subrev_u32_e32 v12, 28, v11
	v_and_b32_e32 v6, 15, v6
	v_lshlrev_b32_sdwa v12, v12, v7 dst_sel:DWORD dst_unused:UNUSED_PAD src0_sel:DWORD src1_sel:WORD_1
	v_bfe_u32 v10, v7, 19, 4
	v_sub_u32_e32 v11, 29, v11
	v_and_b32_e32 v12, 7, v12
	v_cmp_eq_u16_e32 vcc, 0, v6
	v_cndmask_b32_e32 v2, v2, v12, vcc
	v_cndmask_b32_e32 v6, v10, v11, vcc
	v_lshlrev_b32_e32 v10, 8, v7
	v_mov_b32_e32 v11, 0x3b800000
	v_lshlrev_b32_e32 v2, 20, v2
	v_and_b32_e32 v10, 0x80000000, v10
	v_lshl_add_u32 v6, v6, 23, v11
	v_or3_b32 v2, v10, v6, v2
.LBB1_180:
	s_or_b64 exec, exec, s[6:7]
	s_movk_i32 s4, 0xff
	v_and_b32_sdwa v6, v3, s4 dst_sel:DWORD dst_unused:UNUSED_PAD src0_sel:WORD_1 src1_sel:DWORD
	s_movk_i32 s4, 0x7f
	v_cmp_lt_i16_e32 vcc, s4, v6
	s_mov_b64 s[4:5], 0
                                        ; implicit-def: $sgpr10
	s_and_saveexec_b64 s[6:7], vcc
	s_xor_b64 s[6:7], exec, s[6:7]
	s_cbranch_execnz .LBB1_2229
; %bb.181:
	s_or_saveexec_b64 s[6:7], s[6:7]
	v_mov_b32_e32 v10, s10
	s_xor_b64 exec, exec, s[6:7]
	s_cbranch_execnz .LBB1_2232
.LBB1_182:
	s_or_b64 exec, exec, s[6:7]
	s_and_saveexec_b64 s[6:7], s[4:5]
	s_cbranch_execz .LBB1_184
.LBB1_183:
	v_bfe_u32 v6, v3, 16, 3
	v_ffbh_u32_e32 v12, v6
	v_min_u32_e32 v12, 32, v12
	v_lshrrev_b32_e32 v10, 19, v3
	v_subrev_u32_e32 v13, 28, v12
	v_and_b32_e32 v10, 15, v10
	v_lshlrev_b32_sdwa v13, v13, v3 dst_sel:DWORD dst_unused:UNUSED_PAD src0_sel:DWORD src1_sel:WORD_1
	v_bfe_u32 v11, v3, 19, 4
	v_sub_u32_e32 v12, 29, v12
	v_and_b32_e32 v13, 7, v13
	v_cmp_eq_u16_e32 vcc, 0, v10
	v_cndmask_b32_e32 v6, v6, v13, vcc
	v_cndmask_b32_e32 v10, v11, v12, vcc
	v_lshlrev_b32_e32 v11, 8, v3
	v_mov_b32_e32 v12, 0x3b800000
	v_lshlrev_b32_e32 v6, 20, v6
	v_and_b32_e32 v11, 0x80000000, v11
	v_lshl_add_u32 v10, v10, 23, v12
	v_or3_b32 v10, v11, v10, v6
.LBB1_184:
	s_or_b64 exec, exec, s[6:7]
	s_nop 0
	v_mfma_f32_16x16x4f32 a[0:3], v2, v10, a[0:3]
	s_movk_i32 s4, 0x7f
	v_cmp_gt_i16_sdwa s[6:7], v7, s4 src0_sel:BYTE_3 src1_sel:DWORD
	s_mov_b64 s[4:5], 0
                                        ; implicit-def: $sgpr10
	s_and_saveexec_b64 s[8:9], s[6:7]
	s_xor_b64 s[6:7], exec, s[8:9]
	s_cbranch_execnz .LBB1_2233
; %bb.185:
	s_or_saveexec_b64 s[6:7], s[6:7]
	v_mov_b32_e32 v2, s10
	s_xor_b64 exec, exec, s[6:7]
	s_cbranch_execnz .LBB1_2236
.LBB1_186:
	s_or_b64 exec, exec, s[6:7]
	s_and_saveexec_b64 s[6:7], s[4:5]
	s_cbranch_execz .LBB1_188
.LBB1_187:
	v_bfe_u32 v2, v7, 24, 3
	v_ffbh_u32_e32 v12, v2
	v_min_u32_e32 v12, 32, v12
	v_lshrrev_b32_e32 v10, 27, v7
	v_subrev_u32_e32 v13, 28, v12
	v_and_b32_e32 v6, 0x80000000, v7
	v_and_b32_e32 v10, 15, v10
	v_bfe_u32 v11, v7, 27, 4
	v_lshlrev_b32_sdwa v7, v13, v7 dst_sel:DWORD dst_unused:UNUSED_PAD src0_sel:DWORD src1_sel:BYTE_3
	v_sub_u32_e32 v12, 29, v12
	v_and_b32_e32 v7, 7, v7
	v_cmp_eq_u16_e32 vcc, 0, v10
	v_cndmask_b32_e32 v2, v2, v7, vcc
	v_cndmask_b32_e32 v7, v11, v12, vcc
	v_mov_b32_e32 v10, 0x3b800000
	v_lshlrev_b32_e32 v2, 20, v2
	v_lshl_add_u32 v7, v7, 23, v10
	v_or3_b32 v2, v6, v7, v2
.LBB1_188:
	s_or_b64 exec, exec, s[6:7]
	s_movk_i32 s4, 0x7f
	v_cmp_gt_i16_sdwa s[6:7], v3, s4 src0_sel:BYTE_3 src1_sel:DWORD
	s_mov_b64 s[4:5], 0
                                        ; implicit-def: $sgpr10
	s_and_saveexec_b64 s[8:9], s[6:7]
	s_xor_b64 s[6:7], exec, s[8:9]
	s_cbranch_execnz .LBB1_2237
; %bb.189:
	s_or_saveexec_b64 s[6:7], s[6:7]
	v_mov_b32_e32 v6, s10
	s_xor_b64 exec, exec, s[6:7]
	s_cbranch_execnz .LBB1_2240
.LBB1_190:
	s_or_b64 exec, exec, s[6:7]
	s_and_saveexec_b64 s[6:7], s[4:5]
	s_cbranch_execz .LBB1_192
.LBB1_191:
	v_bfe_u32 v6, v3, 24, 3
	v_ffbh_u32_e32 v12, v6
	v_min_u32_e32 v12, 32, v12
	v_lshrrev_b32_e32 v10, 27, v3
	v_subrev_u32_e32 v13, 28, v12
	v_and_b32_e32 v7, 0x80000000, v3
	v_and_b32_e32 v10, 15, v10
	v_bfe_u32 v11, v3, 27, 4
	v_lshlrev_b32_sdwa v3, v13, v3 dst_sel:DWORD dst_unused:UNUSED_PAD src0_sel:DWORD src1_sel:BYTE_3
	v_sub_u32_e32 v12, 29, v12
	v_and_b32_e32 v3, 7, v3
	v_cmp_eq_u16_e32 vcc, 0, v10
	v_cndmask_b32_e32 v3, v6, v3, vcc
	v_cndmask_b32_e32 v6, v11, v12, vcc
	v_mov_b32_e32 v10, 0x3b800000
	v_lshlrev_b32_e32 v3, 20, v3
	v_lshl_add_u32 v6, v6, 23, v10
	v_or3_b32 v6, v7, v6, v3
.LBB1_192:
	s_or_b64 exec, exec, s[6:7]
	s_nop 0
	v_mfma_f32_16x16x4f32 a[0:3], v2, v6, a[0:3]
	s_movk_i32 s4, 0x7f
	v_cmp_gt_i16_sdwa s[6:7], v8, s4 src0_sel:BYTE_0 src1_sel:DWORD
	s_mov_b64 s[4:5], 0
                                        ; implicit-def: $sgpr10
	s_and_saveexec_b64 s[8:9], s[6:7]
	s_xor_b64 s[6:7], exec, s[8:9]
	s_cbranch_execnz .LBB1_2241
; %bb.193:
	s_or_saveexec_b64 s[6:7], s[6:7]
	v_mov_b32_e32 v2, s10
	s_xor_b64 exec, exec, s[6:7]
	s_cbranch_execnz .LBB1_2244
.LBB1_194:
	s_or_b64 exec, exec, s[6:7]
	s_and_saveexec_b64 s[6:7], s[4:5]
	s_cbranch_execz .LBB1_196
.LBB1_195:
	v_and_b32_e32 v2, 7, v8
	v_ffbh_u32_e32 v6, v2
	v_min_u32_e32 v6, 32, v6
	v_lshrrev_b16_e32 v3, 3, v8
	v_subrev_u32_e32 v7, 28, v6
	v_and_b32_e32 v3, 15, v3
	v_lshlrev_b32_e32 v7, v7, v8
	v_sub_u32_e32 v6, 29, v6
	v_and_b32_e32 v7, 7, v7
	v_cmp_eq_u16_e32 vcc, 0, v3
	v_cndmask_b32_e32 v2, v2, v7, vcc
	v_cndmask_b32_e32 v3, v3, v6, vcc
	v_lshlrev_b32_e32 v6, 24, v8
	v_mov_b32_e32 v7, 0x3b800000
	v_lshlrev_b32_e32 v2, 20, v2
	v_and_b32_e32 v6, 0x80000000, v6
	v_lshl_add_u32 v3, v3, 23, v7
	v_or3_b32 v2, v6, v3, v2
.LBB1_196:
	s_or_b64 exec, exec, s[6:7]
	s_movk_i32 s4, 0x7f
	v_cmp_gt_i16_sdwa s[6:7], v4, s4 src0_sel:BYTE_0 src1_sel:DWORD
	s_mov_b64 s[4:5], 0
                                        ; implicit-def: $sgpr10
	s_and_saveexec_b64 s[8:9], s[6:7]
	s_xor_b64 s[6:7], exec, s[8:9]
	s_cbranch_execnz .LBB1_2245
; %bb.197:
	s_or_saveexec_b64 s[6:7], s[6:7]
	v_mov_b32_e32 v3, s10
	s_xor_b64 exec, exec, s[6:7]
	s_cbranch_execnz .LBB1_2248
.LBB1_198:
	s_or_b64 exec, exec, s[6:7]
	s_and_saveexec_b64 s[6:7], s[4:5]
	s_cbranch_execz .LBB1_200
.LBB1_199:
	v_and_b32_e32 v3, 7, v4
	v_ffbh_u32_e32 v7, v3
	v_min_u32_e32 v7, 32, v7
	v_lshrrev_b16_e32 v6, 3, v4
	v_subrev_u32_e32 v10, 28, v7
	v_and_b32_e32 v6, 15, v6
	v_lshlrev_b32_e32 v10, v10, v4
	v_sub_u32_e32 v7, 29, v7
	v_and_b32_e32 v10, 7, v10
	v_cmp_eq_u16_e32 vcc, 0, v6
	v_cndmask_b32_e32 v3, v3, v10, vcc
	v_cndmask_b32_e32 v6, v6, v7, vcc
	v_lshlrev_b32_e32 v7, 24, v4
	v_mov_b32_e32 v10, 0x3b800000
	v_lshlrev_b32_e32 v3, 20, v3
	v_and_b32_e32 v7, 0x80000000, v7
	v_lshl_add_u32 v6, v6, 23, v10
	v_or3_b32 v3, v7, v6, v3
.LBB1_200:
	s_or_b64 exec, exec, s[6:7]
	s_nop 0
	v_mfma_f32_16x16x4f32 a[0:3], v2, v3, a[0:3]
	v_lshrrev_b32_e32 v3, 8, v8
	s_movk_i32 s4, 0x7f
	v_cmp_gt_i16_sdwa s[6:7], v3, s4 src0_sel:BYTE_0 src1_sel:DWORD
	s_mov_b64 s[4:5], 0
                                        ; implicit-def: $sgpr10
	s_and_saveexec_b64 s[8:9], s[6:7]
	s_xor_b64 s[6:7], exec, s[8:9]
	s_cbranch_execnz .LBB1_2249
; %bb.201:
	s_or_saveexec_b64 s[6:7], s[6:7]
	v_mov_b32_e32 v2, s10
	s_xor_b64 exec, exec, s[6:7]
	s_cbranch_execnz .LBB1_2252
.LBB1_202:
	s_or_b64 exec, exec, s[6:7]
	s_and_saveexec_b64 s[6:7], s[4:5]
	s_cbranch_execz .LBB1_204
.LBB1_203:
	v_bfe_u32 v2, v8, 8, 3
	v_ffbh_u32_e32 v7, v2
	v_min_u32_e32 v7, 32, v7
	v_lshrrev_b16_e32 v6, 3, v3
	v_subrev_u32_e32 v10, 28, v7
	v_and_b32_e32 v6, 15, v6
	v_lshlrev_b32_e32 v3, v10, v3
	v_sub_u32_e32 v7, 29, v7
	v_and_b32_e32 v3, 7, v3
	v_cmp_eq_u16_e32 vcc, 0, v6
	v_cndmask_b32_e32 v2, v2, v3, vcc
	v_cndmask_b32_e32 v3, v6, v7, vcc
	v_lshlrev_b32_e32 v6, 16, v8
	v_mov_b32_e32 v7, 0x3b800000
	v_lshlrev_b32_e32 v2, 20, v2
	v_and_b32_e32 v6, 0x80000000, v6
	v_lshl_add_u32 v3, v3, 23, v7
	v_or3_b32 v2, v6, v3, v2
.LBB1_204:
	s_or_b64 exec, exec, s[6:7]
	v_lshrrev_b32_e32 v3, 8, v4
	s_movk_i32 s4, 0x7f
	v_cmp_gt_i16_sdwa s[6:7], v3, s4 src0_sel:BYTE_0 src1_sel:DWORD
	s_mov_b64 s[4:5], 0
                                        ; implicit-def: $sgpr10
	s_and_saveexec_b64 s[8:9], s[6:7]
	s_xor_b64 s[6:7], exec, s[8:9]
	s_cbranch_execnz .LBB1_2253
; %bb.205:
	s_or_saveexec_b64 s[6:7], s[6:7]
	v_mov_b32_e32 v6, s10
	s_xor_b64 exec, exec, s[6:7]
	s_cbranch_execnz .LBB1_2256
.LBB1_206:
	s_or_b64 exec, exec, s[6:7]
	s_and_saveexec_b64 s[6:7], s[4:5]
	s_cbranch_execz .LBB1_208
.LBB1_207:
	v_bfe_u32 v6, v4, 8, 3
	v_ffbh_u32_e32 v10, v6
	v_min_u32_e32 v10, 32, v10
	v_lshrrev_b16_e32 v7, 3, v3
	v_subrev_u32_e32 v11, 28, v10
	v_and_b32_e32 v7, 15, v7
	v_lshlrev_b32_e32 v3, v11, v3
	v_sub_u32_e32 v10, 29, v10
	v_and_b32_e32 v3, 7, v3
	v_cmp_eq_u16_e32 vcc, 0, v7
	v_cndmask_b32_e32 v3, v6, v3, vcc
	v_cndmask_b32_e32 v6, v7, v10, vcc
	v_lshlrev_b32_e32 v7, 16, v4
	v_mov_b32_e32 v10, 0x3b800000
	v_lshlrev_b32_e32 v3, 20, v3
	v_and_b32_e32 v7, 0x80000000, v7
	v_lshl_add_u32 v6, v6, 23, v10
	v_or3_b32 v6, v7, v6, v3
.LBB1_208:
	s_or_b64 exec, exec, s[6:7]
	s_nop 0
	v_mfma_f32_16x16x4f32 a[0:3], v2, v6, a[0:3]
	s_movk_i32 s4, 0xff
	v_and_b32_sdwa v3, v8, s4 dst_sel:DWORD dst_unused:UNUSED_PAD src0_sel:WORD_1 src1_sel:DWORD
	s_movk_i32 s4, 0x7f
	v_cmp_lt_i16_e32 vcc, s4, v3
	s_mov_b64 s[4:5], 0
                                        ; implicit-def: $sgpr10
	s_and_saveexec_b64 s[6:7], vcc
	s_xor_b64 s[6:7], exec, s[6:7]
	s_cbranch_execnz .LBB1_2257
; %bb.209:
	s_or_saveexec_b64 s[6:7], s[6:7]
	v_mov_b32_e32 v2, s10
	s_xor_b64 exec, exec, s[6:7]
	s_cbranch_execnz .LBB1_2260
.LBB1_210:
	s_or_b64 exec, exec, s[6:7]
	s_and_saveexec_b64 s[6:7], s[4:5]
	s_cbranch_execz .LBB1_212
.LBB1_211:
	v_bfe_u32 v2, v8, 16, 3
	v_ffbh_u32_e32 v7, v2
	v_min_u32_e32 v7, 32, v7
	v_lshrrev_b32_e32 v3, 19, v8
	v_subrev_u32_e32 v10, 28, v7
	v_and_b32_e32 v3, 15, v3
	v_lshlrev_b32_sdwa v10, v10, v8 dst_sel:DWORD dst_unused:UNUSED_PAD src0_sel:DWORD src1_sel:WORD_1
	v_bfe_u32 v6, v8, 19, 4
	v_sub_u32_e32 v7, 29, v7
	v_and_b32_e32 v10, 7, v10
	v_cmp_eq_u16_e32 vcc, 0, v3
	v_cndmask_b32_e32 v2, v2, v10, vcc
	v_cndmask_b32_e32 v3, v6, v7, vcc
	v_lshlrev_b32_e32 v6, 8, v8
	v_mov_b32_e32 v7, 0x3b800000
	v_lshlrev_b32_e32 v2, 20, v2
	v_and_b32_e32 v6, 0x80000000, v6
	v_lshl_add_u32 v3, v3, 23, v7
	v_or3_b32 v2, v6, v3, v2
.LBB1_212:
	s_or_b64 exec, exec, s[6:7]
	s_movk_i32 s4, 0xff
	v_and_b32_sdwa v3, v4, s4 dst_sel:DWORD dst_unused:UNUSED_PAD src0_sel:WORD_1 src1_sel:DWORD
	s_movk_i32 s4, 0x7f
	v_cmp_lt_i16_e32 vcc, s4, v3
	s_mov_b64 s[4:5], 0
                                        ; implicit-def: $sgpr10
	s_and_saveexec_b64 s[6:7], vcc
	s_xor_b64 s[6:7], exec, s[6:7]
	s_cbranch_execnz .LBB1_2261
; %bb.213:
	s_or_saveexec_b64 s[6:7], s[6:7]
	v_mov_b32_e32 v6, s10
	s_xor_b64 exec, exec, s[6:7]
	s_cbranch_execnz .LBB1_2264
.LBB1_214:
	s_or_b64 exec, exec, s[6:7]
	s_and_saveexec_b64 s[6:7], s[4:5]
	s_cbranch_execz .LBB1_216
.LBB1_215:
	v_bfe_u32 v3, v4, 16, 3
	v_ffbh_u32_e32 v10, v3
	v_min_u32_e32 v10, 32, v10
	v_lshrrev_b32_e32 v6, 19, v4
	v_subrev_u32_e32 v11, 28, v10
	v_and_b32_e32 v6, 15, v6
	v_lshlrev_b32_sdwa v11, v11, v4 dst_sel:DWORD dst_unused:UNUSED_PAD src0_sel:DWORD src1_sel:WORD_1
	v_bfe_u32 v7, v4, 19, 4
	v_sub_u32_e32 v10, 29, v10
	v_and_b32_e32 v11, 7, v11
	v_cmp_eq_u16_e32 vcc, 0, v6
	v_cndmask_b32_e32 v3, v3, v11, vcc
	v_cndmask_b32_e32 v6, v7, v10, vcc
	v_lshlrev_b32_e32 v7, 8, v4
	v_mov_b32_e32 v10, 0x3b800000
	v_lshlrev_b32_e32 v3, 20, v3
	v_and_b32_e32 v7, 0x80000000, v7
	v_lshl_add_u32 v6, v6, 23, v10
	v_or3_b32 v6, v7, v6, v3
.LBB1_216:
	s_or_b64 exec, exec, s[6:7]
	s_nop 0
	v_mfma_f32_16x16x4f32 a[0:3], v2, v6, a[0:3]
	s_movk_i32 s4, 0x7f
	v_cmp_gt_i16_sdwa s[6:7], v8, s4 src0_sel:BYTE_3 src1_sel:DWORD
	s_mov_b64 s[4:5], 0
                                        ; implicit-def: $sgpr10
	s_and_saveexec_b64 s[8:9], s[6:7]
	s_xor_b64 s[6:7], exec, s[8:9]
	s_cbranch_execnz .LBB1_2265
; %bb.217:
	s_or_saveexec_b64 s[6:7], s[6:7]
	v_mov_b32_e32 v2, s10
	s_xor_b64 exec, exec, s[6:7]
	s_cbranch_execnz .LBB1_2268
.LBB1_218:
	s_or_b64 exec, exec, s[6:7]
	s_and_saveexec_b64 s[6:7], s[4:5]
	s_cbranch_execz .LBB1_220
.LBB1_219:
	v_bfe_u32 v2, v8, 24, 3
	v_ffbh_u32_e32 v10, v2
	v_min_u32_e32 v10, 32, v10
	v_lshrrev_b32_e32 v6, 27, v8
	v_subrev_u32_e32 v11, 28, v10
	v_and_b32_e32 v3, 0x80000000, v8
	v_and_b32_e32 v6, 15, v6
	v_bfe_u32 v7, v8, 27, 4
	v_lshlrev_b32_sdwa v8, v11, v8 dst_sel:DWORD dst_unused:UNUSED_PAD src0_sel:DWORD src1_sel:BYTE_3
	v_sub_u32_e32 v10, 29, v10
	v_and_b32_e32 v8, 7, v8
	v_cmp_eq_u16_e32 vcc, 0, v6
	v_cndmask_b32_e32 v2, v2, v8, vcc
	v_cndmask_b32_e32 v6, v7, v10, vcc
	v_mov_b32_e32 v7, 0x3b800000
	v_lshlrev_b32_e32 v2, 20, v2
	v_lshl_add_u32 v6, v6, 23, v7
	v_or3_b32 v2, v3, v6, v2
.LBB1_220:
	s_or_b64 exec, exec, s[6:7]
	s_movk_i32 s4, 0x7f
	v_cmp_gt_i16_sdwa s[6:7], v4, s4 src0_sel:BYTE_3 src1_sel:DWORD
	s_mov_b64 s[4:5], 0
                                        ; implicit-def: $sgpr10
	s_and_saveexec_b64 s[8:9], s[6:7]
	s_xor_b64 s[6:7], exec, s[8:9]
	s_cbranch_execnz .LBB1_2269
; %bb.221:
	s_or_saveexec_b64 s[6:7], s[6:7]
	v_mov_b32_e32 v3, s10
	s_xor_b64 exec, exec, s[6:7]
	s_cbranch_execnz .LBB1_2272
.LBB1_222:
	s_or_b64 exec, exec, s[6:7]
	s_and_saveexec_b64 s[6:7], s[4:5]
	s_cbranch_execz .LBB1_224
.LBB1_223:
	v_bfe_u32 v3, v4, 24, 3
	v_ffbh_u32_e32 v10, v3
	v_min_u32_e32 v10, 32, v10
	v_lshrrev_b32_e32 v7, 27, v4
	v_subrev_u32_e32 v11, 28, v10
	v_and_b32_e32 v6, 0x80000000, v4
	v_and_b32_e32 v7, 15, v7
	v_bfe_u32 v8, v4, 27, 4
	v_lshlrev_b32_sdwa v4, v11, v4 dst_sel:DWORD dst_unused:UNUSED_PAD src0_sel:DWORD src1_sel:BYTE_3
	v_sub_u32_e32 v10, 29, v10
	v_and_b32_e32 v4, 7, v4
	v_cmp_eq_u16_e32 vcc, 0, v7
	v_cndmask_b32_e32 v3, v3, v4, vcc
	v_cndmask_b32_e32 v4, v8, v10, vcc
	v_mov_b32_e32 v7, 0x3b800000
	v_lshlrev_b32_e32 v3, 20, v3
	v_lshl_add_u32 v4, v4, 23, v7
	v_or3_b32 v3, v6, v4, v3
.LBB1_224:
	s_or_b64 exec, exec, s[6:7]
	s_nop 0
	v_mfma_f32_16x16x4f32 a[0:3], v2, v3, a[0:3]
	s_movk_i32 s4, 0x7f
	v_cmp_gt_i16_sdwa s[6:7], v9, s4 src0_sel:BYTE_0 src1_sel:DWORD
	s_mov_b64 s[4:5], 0
                                        ; implicit-def: $sgpr10
	s_and_saveexec_b64 s[8:9], s[6:7]
	s_xor_b64 s[6:7], exec, s[8:9]
	s_cbranch_execnz .LBB1_2273
; %bb.225:
	s_or_saveexec_b64 s[6:7], s[6:7]
	v_mov_b32_e32 v2, s10
	s_xor_b64 exec, exec, s[6:7]
	s_cbranch_execnz .LBB1_2276
.LBB1_226:
	s_or_b64 exec, exec, s[6:7]
	s_and_saveexec_b64 s[6:7], s[4:5]
	s_cbranch_execz .LBB1_228
.LBB1_227:
	v_mov_b32_e32 v2, 8
	v_and_b32_e32 v3, 7, v9
	v_lshrrev_b32_sdwa v2, v2, v9 dst_sel:BYTE_1 dst_unused:UNUSED_PAD src0_sel:DWORD src1_sel:DWORD
	v_ffbh_u32_e32 v4, v3
	v_or_b32_sdwa v2, v9, v2 dst_sel:DWORD dst_unused:UNUSED_PAD src0_sel:BYTE_0 src1_sel:DWORD
	v_min_u32_e32 v4, 32, v4
	v_lshrrev_b16_e32 v2, 3, v2
	v_subrev_u32_e32 v6, 28, v4
	v_and_b32_e32 v2, 15, v2
	v_lshlrev_b32_e32 v6, v6, v9
	v_sub_u32_e32 v4, 29, v4
	v_and_b32_e32 v6, 7, v6
	v_cmp_eq_u16_e32 vcc, 0, v2
	v_cndmask_b32_e32 v3, v3, v6, vcc
	v_cndmask_b32_e32 v2, v2, v4, vcc
	v_lshlrev_b32_e32 v4, 24, v9
	v_mov_b32_e32 v6, 0x3b800000
	v_lshlrev_b32_e32 v3, 20, v3
	v_and_b32_e32 v4, 0x80000000, v4
	v_lshl_add_u32 v2, v2, 23, v6
	v_or3_b32 v2, v4, v2, v3
.LBB1_228:
	s_or_b64 exec, exec, s[6:7]
	s_movk_i32 s4, 0x7f
	v_cmp_gt_i16_sdwa s[6:7], v5, s4 src0_sel:BYTE_0 src1_sel:DWORD
	s_mov_b64 s[4:5], 0
                                        ; implicit-def: $sgpr10
	s_and_saveexec_b64 s[8:9], s[6:7]
	s_xor_b64 s[6:7], exec, s[8:9]
	s_cbranch_execnz .LBB1_2277
; %bb.229:
	s_or_saveexec_b64 s[6:7], s[6:7]
	v_mov_b32_e32 v3, s10
	s_xor_b64 exec, exec, s[6:7]
	s_cbranch_execnz .LBB1_2280
.LBB1_230:
	s_or_b64 exec, exec, s[6:7]
	s_and_saveexec_b64 s[6:7], s[4:5]
	s_cbranch_execz .LBB1_232
.LBB1_231:
	v_mov_b32_e32 v3, 8
	v_and_b32_e32 v4, 7, v5
	v_lshrrev_b32_sdwa v3, v3, v5 dst_sel:BYTE_1 dst_unused:UNUSED_PAD src0_sel:DWORD src1_sel:DWORD
	v_ffbh_u32_e32 v6, v4
	v_or_b32_sdwa v3, v5, v3 dst_sel:DWORD dst_unused:UNUSED_PAD src0_sel:BYTE_0 src1_sel:DWORD
	v_min_u32_e32 v6, 32, v6
	v_lshrrev_b16_e32 v3, 3, v3
	v_subrev_u32_e32 v7, 28, v6
	v_and_b32_e32 v3, 15, v3
	v_lshlrev_b32_e32 v7, v7, v5
	v_sub_u32_e32 v6, 29, v6
	v_and_b32_e32 v7, 7, v7
	v_cmp_eq_u16_e32 vcc, 0, v3
	v_cndmask_b32_e32 v4, v4, v7, vcc
	v_cndmask_b32_e32 v3, v3, v6, vcc
	v_lshlrev_b32_e32 v6, 24, v5
	v_mov_b32_e32 v7, 0x3b800000
	v_lshlrev_b32_e32 v4, 20, v4
	v_and_b32_e32 v6, 0x80000000, v6
	v_lshl_add_u32 v3, v3, 23, v7
	v_or3_b32 v3, v6, v3, v4
.LBB1_232:
	s_or_b64 exec, exec, s[6:7]
	s_nop 0
	v_mfma_f32_16x16x4f32 a[0:3], v2, v3, a[0:3]
	v_lshrrev_b32_e32 v3, 8, v9
	s_movk_i32 s4, 0x7f
	v_cmp_gt_i16_sdwa s[6:7], v3, s4 src0_sel:BYTE_0 src1_sel:DWORD
	s_mov_b64 s[4:5], 0
                                        ; implicit-def: $sgpr10
	s_and_saveexec_b64 s[8:9], s[6:7]
	s_xor_b64 s[6:7], exec, s[8:9]
	s_cbranch_execnz .LBB1_2281
; %bb.233:
	s_or_saveexec_b64 s[6:7], s[6:7]
	v_mov_b32_e32 v2, s10
	s_xor_b64 exec, exec, s[6:7]
	s_cbranch_execnz .LBB1_2284
.LBB1_234:
	s_or_b64 exec, exec, s[6:7]
	s_and_saveexec_b64 s[6:7], s[4:5]
	s_cbranch_execz .LBB1_236
.LBB1_235:
	v_bfe_u32 v2, v9, 8, 3
	v_ffbh_u32_e32 v6, v2
	v_min_u32_e32 v6, 32, v6
	v_lshrrev_b16_e32 v4, 3, v3
	v_subrev_u32_e32 v7, 28, v6
	v_and_b32_e32 v4, 15, v4
	v_lshlrev_b32_e32 v3, v7, v3
	v_sub_u32_e32 v6, 29, v6
	v_and_b32_e32 v3, 7, v3
	v_cmp_eq_u16_e32 vcc, 0, v4
	v_cndmask_b32_e32 v2, v2, v3, vcc
	v_cndmask_b32_e32 v3, v4, v6, vcc
	v_lshlrev_b32_e32 v4, 16, v9
	v_mov_b32_e32 v6, 0x3b800000
	v_lshlrev_b32_e32 v2, 20, v2
	v_and_b32_e32 v4, 0x80000000, v4
	v_lshl_add_u32 v3, v3, 23, v6
	v_or3_b32 v2, v4, v3, v2
.LBB1_236:
	s_or_b64 exec, exec, s[6:7]
	v_lshrrev_b32_e32 v3, 8, v5
	s_movk_i32 s4, 0x7f
	v_cmp_gt_i16_sdwa s[6:7], v3, s4 src0_sel:BYTE_0 src1_sel:DWORD
	s_mov_b64 s[4:5], 0
                                        ; implicit-def: $sgpr10
	s_and_saveexec_b64 s[8:9], s[6:7]
	s_xor_b64 s[6:7], exec, s[8:9]
	s_cbranch_execnz .LBB1_2285
; %bb.237:
	s_or_saveexec_b64 s[6:7], s[6:7]
	v_mov_b32_e32 v4, s10
	s_xor_b64 exec, exec, s[6:7]
	s_cbranch_execnz .LBB1_2288
.LBB1_238:
	s_or_b64 exec, exec, s[6:7]
	s_and_saveexec_b64 s[6:7], s[4:5]
	s_cbranch_execz .LBB1_240
.LBB1_239:
	v_bfe_u32 v4, v5, 8, 3
	v_ffbh_u32_e32 v7, v4
	v_min_u32_e32 v7, 32, v7
	v_lshrrev_b16_e32 v6, 3, v3
	v_subrev_u32_e32 v8, 28, v7
	v_and_b32_e32 v6, 15, v6
	v_lshlrev_b32_e32 v3, v8, v3
	v_sub_u32_e32 v7, 29, v7
	v_and_b32_e32 v3, 7, v3
	v_cmp_eq_u16_e32 vcc, 0, v6
	v_cndmask_b32_e32 v3, v4, v3, vcc
	v_cndmask_b32_e32 v4, v6, v7, vcc
	v_lshlrev_b32_e32 v6, 16, v5
	v_mov_b32_e32 v7, 0x3b800000
	v_lshlrev_b32_e32 v3, 20, v3
	v_and_b32_e32 v6, 0x80000000, v6
	v_lshl_add_u32 v4, v4, 23, v7
	v_or3_b32 v4, v6, v4, v3
.LBB1_240:
	s_or_b64 exec, exec, s[6:7]
	s_nop 0
	v_mfma_f32_16x16x4f32 a[0:3], v2, v4, a[0:3]
	s_movk_i32 s4, 0xff
	v_and_b32_sdwa v3, v9, s4 dst_sel:DWORD dst_unused:UNUSED_PAD src0_sel:WORD_1 src1_sel:DWORD
	s_movk_i32 s4, 0x7f
	v_cmp_lt_i16_e32 vcc, s4, v3
	s_mov_b64 s[4:5], 0
                                        ; implicit-def: $sgpr10
	s_and_saveexec_b64 s[6:7], vcc
	s_xor_b64 s[6:7], exec, s[6:7]
	s_cbranch_execnz .LBB1_2289
; %bb.241:
	s_or_saveexec_b64 s[6:7], s[6:7]
	v_mov_b32_e32 v2, s10
	s_xor_b64 exec, exec, s[6:7]
	s_cbranch_execnz .LBB1_2292
.LBB1_242:
	s_or_b64 exec, exec, s[6:7]
	s_and_saveexec_b64 s[6:7], s[4:5]
	s_cbranch_execz .LBB1_244
.LBB1_243:
	v_bfe_u32 v2, v9, 16, 3
	v_ffbh_u32_e32 v6, v2
	v_min_u32_e32 v6, 32, v6
	v_lshrrev_b32_e32 v3, 19, v9
	v_subrev_u32_e32 v7, 28, v6
	v_and_b32_e32 v3, 15, v3
	v_lshlrev_b32_sdwa v7, v7, v9 dst_sel:DWORD dst_unused:UNUSED_PAD src0_sel:DWORD src1_sel:WORD_1
	v_bfe_u32 v4, v9, 19, 4
	v_sub_u32_e32 v6, 29, v6
	v_and_b32_e32 v7, 7, v7
	v_cmp_eq_u16_e32 vcc, 0, v3
	v_cndmask_b32_e32 v2, v2, v7, vcc
	v_cndmask_b32_e32 v3, v4, v6, vcc
	v_lshlrev_b32_e32 v4, 8, v9
	v_mov_b32_e32 v6, 0x3b800000
	v_lshlrev_b32_e32 v2, 20, v2
	v_and_b32_e32 v4, 0x80000000, v4
	v_lshl_add_u32 v3, v3, 23, v6
	v_or3_b32 v2, v4, v3, v2
.LBB1_244:
	s_or_b64 exec, exec, s[6:7]
	s_movk_i32 s4, 0xff
	v_and_b32_sdwa v3, v5, s4 dst_sel:DWORD dst_unused:UNUSED_PAD src0_sel:WORD_1 src1_sel:DWORD
	s_movk_i32 s4, 0x7f
	v_cmp_lt_i16_e32 vcc, s4, v3
	s_mov_b64 s[4:5], 0
                                        ; implicit-def: $sgpr10
	s_and_saveexec_b64 s[6:7], vcc
	s_xor_b64 s[6:7], exec, s[6:7]
	s_cbranch_execnz .LBB1_2293
; %bb.245:
	s_or_saveexec_b64 s[6:7], s[6:7]
	v_mov_b32_e32 v4, s10
	s_xor_b64 exec, exec, s[6:7]
	s_cbranch_execnz .LBB1_2296
.LBB1_246:
	s_or_b64 exec, exec, s[6:7]
	s_and_saveexec_b64 s[6:7], s[4:5]
	s_cbranch_execz .LBB1_248
.LBB1_247:
	v_bfe_u32 v3, v5, 16, 3
	v_ffbh_u32_e32 v7, v3
	v_min_u32_e32 v7, 32, v7
	v_lshrrev_b32_e32 v4, 19, v5
	v_subrev_u32_e32 v8, 28, v7
	v_and_b32_e32 v4, 15, v4
	v_lshlrev_b32_sdwa v8, v8, v5 dst_sel:DWORD dst_unused:UNUSED_PAD src0_sel:DWORD src1_sel:WORD_1
	v_bfe_u32 v6, v5, 19, 4
	v_sub_u32_e32 v7, 29, v7
	v_and_b32_e32 v8, 7, v8
	v_cmp_eq_u16_e32 vcc, 0, v4
	v_cndmask_b32_e32 v3, v3, v8, vcc
	v_cndmask_b32_e32 v4, v6, v7, vcc
	v_lshlrev_b32_e32 v6, 8, v5
	v_mov_b32_e32 v7, 0x3b800000
	v_lshlrev_b32_e32 v3, 20, v3
	v_and_b32_e32 v6, 0x80000000, v6
	v_lshl_add_u32 v4, v4, 23, v7
	v_or3_b32 v4, v6, v4, v3
.LBB1_248:
	s_or_b64 exec, exec, s[6:7]
	s_nop 0
	v_mfma_f32_16x16x4f32 a[0:3], v2, v4, a[0:3]
	s_movk_i32 s4, 0x7f
	v_cmp_gt_i16_sdwa s[6:7], v9, s4 src0_sel:BYTE_3 src1_sel:DWORD
	s_mov_b64 s[4:5], 0
                                        ; implicit-def: $sgpr10
	s_and_saveexec_b64 s[8:9], s[6:7]
	s_xor_b64 s[6:7], exec, s[8:9]
	s_cbranch_execnz .LBB1_2297
; %bb.249:
	s_or_saveexec_b64 s[6:7], s[6:7]
	v_mov_b32_e32 v2, s10
	s_xor_b64 exec, exec, s[6:7]
	s_cbranch_execnz .LBB1_2300
.LBB1_250:
	s_or_b64 exec, exec, s[6:7]
	s_and_saveexec_b64 s[6:7], s[4:5]
	s_cbranch_execz .LBB1_252
.LBB1_251:
	v_bfe_u32 v2, v9, 24, 3
	v_ffbh_u32_e32 v7, v2
	v_min_u32_e32 v7, 32, v7
	v_lshrrev_b32_e32 v4, 27, v9
	v_subrev_u32_e32 v8, 28, v7
	v_and_b32_e32 v4, 15, v4
	v_lshlrev_b32_sdwa v8, v8, v9 dst_sel:DWORD dst_unused:UNUSED_PAD src0_sel:DWORD src1_sel:BYTE_3
	v_bfe_u32 v6, v9, 27, 4
	v_sub_u32_e32 v7, 29, v7
	v_and_b32_e32 v8, 7, v8
	v_cmp_eq_u16_e32 vcc, 0, v4
	v_cndmask_b32_e32 v2, v2, v8, vcc
	v_cndmask_b32_e32 v4, v6, v7, vcc
	v_mov_b32_e32 v6, 0x3b800000
	v_and_b32_e32 v3, 0x80000000, v9
	v_lshlrev_b32_e32 v2, 20, v2
	v_lshl_add_u32 v4, v4, 23, v6
	v_or3_b32 v2, v3, v4, v2
.LBB1_252:
	s_or_b64 exec, exec, s[6:7]
	s_movk_i32 s4, 0x7f
	v_cmp_gt_i16_sdwa s[6:7], v5, s4 src0_sel:BYTE_3 src1_sel:DWORD
	s_mov_b64 s[4:5], 0
                                        ; implicit-def: $sgpr10
	s_and_saveexec_b64 s[8:9], s[6:7]
	s_xor_b64 s[6:7], exec, s[8:9]
	s_cbranch_execnz .LBB1_2301
; %bb.253:
	s_or_saveexec_b64 s[6:7], s[6:7]
	v_mov_b32_e32 v3, s10
	s_xor_b64 exec, exec, s[6:7]
	s_cbranch_execnz .LBB1_2304
.LBB1_254:
	s_or_b64 exec, exec, s[6:7]
	s_and_saveexec_b64 s[6:7], s[4:5]
	s_cbranch_execz .LBB1_256
.LBB1_255:
	v_bfe_u32 v3, v5, 24, 3
	v_ffbh_u32_e32 v8, v3
	v_min_u32_e32 v8, 32, v8
	v_lshrrev_b32_e32 v6, 27, v5
	v_subrev_u32_e32 v9, 28, v8
	v_and_b32_e32 v4, 0x80000000, v5
	v_and_b32_e32 v6, 15, v6
	v_bfe_u32 v7, v5, 27, 4
	v_lshlrev_b32_sdwa v5, v9, v5 dst_sel:DWORD dst_unused:UNUSED_PAD src0_sel:DWORD src1_sel:BYTE_3
	v_sub_u32_e32 v8, 29, v8
	v_and_b32_e32 v5, 7, v5
	v_cmp_eq_u16_e32 vcc, 0, v6
	v_cndmask_b32_e32 v3, v3, v5, vcc
	v_cndmask_b32_e32 v5, v7, v8, vcc
	v_mov_b32_e32 v6, 0x3b800000
	v_lshlrev_b32_e32 v3, 20, v3
	v_lshl_add_u32 v5, v5, 23, v6
	v_or3_b32 v3, v4, v5, v3
.LBB1_256:
	s_or_b64 exec, exec, s[6:7]
	s_nop 0
	v_mfma_f32_16x16x4f32 a[0:3], v2, v3, a[0:3]
	s_movk_i32 s4, 0x7f
                                        ; implicit-def: $sgpr10
	s_nop 7
	s_nop 1
	flat_store_dwordx4 v[18:19], a[0:3]
	flat_load_dwordx4 v[20:23], v[0:1] offset:16
	s_nop 0
	flat_load_dwordx2 v[18:19], v[0:1] offset:32
	s_waitcnt vmcnt(0) lgkmcnt(0)
	flat_load_dwordx4 v[14:17], v[20:21]
	flat_load_dwordx4 v[6:9], v[20:21] offset:16
	flat_load_dwordx4 v[10:13], v[22:23] offset:32
	;; [unrolled: 1-line block ×3, first 2 shown]
	s_waitcnt vmcnt(0) lgkmcnt(0)
	v_cmp_gt_i16_sdwa s[6:7], v14, s4 src0_sel:BYTE_0 src1_sel:DWORD
	s_mov_b64 s[4:5], 0
	s_and_saveexec_b64 s[8:9], s[6:7]
	s_xor_b64 s[6:7], exec, s[8:9]
	s_cbranch_execnz .LBB1_2305
; %bb.257:
	s_or_saveexec_b64 s[6:7], s[6:7]
	v_mov_b32_e32 v20, s10
	s_xor_b64 exec, exec, s[6:7]
	s_cbranch_execnz .LBB1_2308
.LBB1_258:
	s_or_b64 exec, exec, s[6:7]
	s_and_saveexec_b64 s[6:7], s[4:5]
	s_cbranch_execz .LBB1_260
.LBB1_259:
	v_and_b32_e32 v20, 7, v14
	v_ffbh_u32_e32 v22, v20
	v_min_u32_e32 v22, 32, v22
	v_lshrrev_b16_e32 v21, 3, v14
	v_subrev_u32_e32 v23, 28, v22
	v_and_b32_e32 v21, 15, v21
	v_lshlrev_b32_e32 v23, v23, v14
	v_sub_u32_e32 v22, 29, v22
	v_and_b32_e32 v23, 7, v23
	v_cmp_eq_u16_e32 vcc, 0, v21
	v_cndmask_b32_e32 v20, v20, v23, vcc
	v_cndmask_b32_e32 v21, v21, v22, vcc
	v_lshlrev_b32_e32 v22, 24, v14
	v_mov_b32_e32 v23, 0x3b800000
	v_lshlrev_b32_e32 v20, 20, v20
	v_and_b32_e32 v22, 0x80000000, v22
	v_lshl_add_u32 v21, v21, 23, v23
	v_or3_b32 v20, v22, v21, v20
.LBB1_260:
	s_or_b64 exec, exec, s[6:7]
	s_movk_i32 s4, 0x7f
	v_cmp_gt_i16_sdwa s[6:7], v10, s4 src0_sel:BYTE_0 src1_sel:DWORD
	s_mov_b64 s[4:5], 0
                                        ; implicit-def: $sgpr10
	s_and_saveexec_b64 s[8:9], s[6:7]
	s_xor_b64 s[6:7], exec, s[8:9]
	s_cbranch_execnz .LBB1_2309
; %bb.261:
	s_or_saveexec_b64 s[6:7], s[6:7]
	v_mov_b32_e32 v21, s10
	s_xor_b64 exec, exec, s[6:7]
	s_cbranch_execnz .LBB1_2312
.LBB1_262:
	s_or_b64 exec, exec, s[6:7]
	s_and_saveexec_b64 s[6:7], s[4:5]
	s_cbranch_execz .LBB1_264
.LBB1_263:
	v_and_b32_e32 v21, 7, v10
	v_ffbh_u32_e32 v23, v21
	v_min_u32_e32 v23, 32, v23
	v_lshrrev_b16_e32 v22, 3, v10
	v_subrev_u32_e32 v24, 28, v23
	v_and_b32_e32 v22, 15, v22
	v_lshlrev_b32_e32 v24, v24, v10
	v_sub_u32_e32 v23, 29, v23
	v_and_b32_e32 v24, 7, v24
	v_cmp_eq_u16_e32 vcc, 0, v22
	v_cndmask_b32_e32 v21, v21, v24, vcc
	v_cndmask_b32_e32 v22, v22, v23, vcc
	v_lshlrev_b32_e32 v23, 24, v10
	v_mov_b32_e32 v24, 0x3b800000
	v_lshlrev_b32_e32 v21, 20, v21
	v_and_b32_e32 v23, 0x80000000, v23
	v_lshl_add_u32 v22, v22, 23, v24
	v_or3_b32 v21, v23, v22, v21
.LBB1_264:
	s_or_b64 exec, exec, s[6:7]
	flat_load_dwordx4 a[0:3], v[18:19] offset:16
	s_movk_i32 s4, 0x7f
                                        ; implicit-def: $sgpr10
	s_waitcnt vmcnt(0) lgkmcnt(0)
	v_mfma_f32_16x16x4f32 a[0:3], v20, v21, a[0:3]
	v_lshrrev_b32_e32 v21, 8, v14
	v_cmp_gt_i16_sdwa s[6:7], v21, s4 src0_sel:BYTE_0 src1_sel:DWORD
	s_mov_b64 s[4:5], 0
	s_and_saveexec_b64 s[8:9], s[6:7]
	s_xor_b64 s[6:7], exec, s[8:9]
	s_cbranch_execnz .LBB1_2313
; %bb.265:
	s_or_saveexec_b64 s[6:7], s[6:7]
	v_mov_b32_e32 v20, s10
	s_xor_b64 exec, exec, s[6:7]
	s_cbranch_execnz .LBB1_2316
.LBB1_266:
	s_or_b64 exec, exec, s[6:7]
	s_and_saveexec_b64 s[6:7], s[4:5]
	s_cbranch_execz .LBB1_268
.LBB1_267:
	v_bfe_u32 v20, v14, 8, 3
	v_ffbh_u32_e32 v23, v20
	v_min_u32_e32 v23, 32, v23
	v_lshrrev_b16_e32 v22, 3, v21
	v_subrev_u32_e32 v24, 28, v23
	v_and_b32_e32 v22, 15, v22
	v_lshlrev_b32_e32 v21, v24, v21
	v_sub_u32_e32 v23, 29, v23
	v_and_b32_e32 v21, 7, v21
	v_cmp_eq_u16_e32 vcc, 0, v22
	v_cndmask_b32_e32 v20, v20, v21, vcc
	v_cndmask_b32_e32 v21, v22, v23, vcc
	v_lshlrev_b32_e32 v22, 16, v14
	v_mov_b32_e32 v23, 0x3b800000
	v_lshlrev_b32_e32 v20, 20, v20
	v_and_b32_e32 v22, 0x80000000, v22
	v_lshl_add_u32 v21, v21, 23, v23
	v_or3_b32 v20, v22, v21, v20
.LBB1_268:
	s_or_b64 exec, exec, s[6:7]
	v_lshrrev_b32_e32 v21, 8, v10
	s_movk_i32 s4, 0x7f
	v_cmp_gt_i16_sdwa s[6:7], v21, s4 src0_sel:BYTE_0 src1_sel:DWORD
	s_mov_b64 s[4:5], 0
                                        ; implicit-def: $sgpr10
	s_and_saveexec_b64 s[8:9], s[6:7]
	s_xor_b64 s[6:7], exec, s[8:9]
	s_cbranch_execnz .LBB1_2317
; %bb.269:
	s_or_saveexec_b64 s[6:7], s[6:7]
	v_mov_b32_e32 v22, s10
	s_xor_b64 exec, exec, s[6:7]
	s_cbranch_execnz .LBB1_2320
.LBB1_270:
	s_or_b64 exec, exec, s[6:7]
	s_and_saveexec_b64 s[6:7], s[4:5]
	s_cbranch_execz .LBB1_272
.LBB1_271:
	v_bfe_u32 v22, v10, 8, 3
	v_ffbh_u32_e32 v24, v22
	v_min_u32_e32 v24, 32, v24
	v_lshrrev_b16_e32 v23, 3, v21
	v_subrev_u32_e32 v25, 28, v24
	v_and_b32_e32 v23, 15, v23
	v_lshlrev_b32_e32 v21, v25, v21
	v_sub_u32_e32 v24, 29, v24
	v_and_b32_e32 v21, 7, v21
	v_cmp_eq_u16_e32 vcc, 0, v23
	v_cndmask_b32_e32 v21, v22, v21, vcc
	v_cndmask_b32_e32 v22, v23, v24, vcc
	v_lshlrev_b32_e32 v23, 16, v10
	v_mov_b32_e32 v24, 0x3b800000
	v_lshlrev_b32_e32 v21, 20, v21
	v_and_b32_e32 v23, 0x80000000, v23
	v_lshl_add_u32 v22, v22, 23, v24
	v_or3_b32 v22, v23, v22, v21
.LBB1_272:
	s_or_b64 exec, exec, s[6:7]
	s_nop 0
	v_mfma_f32_16x16x4f32 a[0:3], v20, v22, a[0:3]
	s_movk_i32 s4, 0xff
	v_and_b32_sdwa v21, v14, s4 dst_sel:DWORD dst_unused:UNUSED_PAD src0_sel:WORD_1 src1_sel:DWORD
	s_movk_i32 s4, 0x7f
	v_cmp_lt_i16_e32 vcc, s4, v21
	s_mov_b64 s[4:5], 0
                                        ; implicit-def: $sgpr10
	s_and_saveexec_b64 s[6:7], vcc
	s_xor_b64 s[6:7], exec, s[6:7]
	s_cbranch_execnz .LBB1_2321
; %bb.273:
	s_or_saveexec_b64 s[6:7], s[6:7]
	v_mov_b32_e32 v20, s10
	s_xor_b64 exec, exec, s[6:7]
	s_cbranch_execnz .LBB1_2324
.LBB1_274:
	s_or_b64 exec, exec, s[6:7]
	s_and_saveexec_b64 s[6:7], s[4:5]
	s_cbranch_execz .LBB1_276
.LBB1_275:
	v_bfe_u32 v20, v14, 16, 3
	v_ffbh_u32_e32 v23, v20
	v_min_u32_e32 v23, 32, v23
	v_lshrrev_b32_e32 v21, 19, v14
	v_subrev_u32_e32 v24, 28, v23
	v_and_b32_e32 v21, 15, v21
	v_lshlrev_b32_sdwa v24, v24, v14 dst_sel:DWORD dst_unused:UNUSED_PAD src0_sel:DWORD src1_sel:WORD_1
	v_bfe_u32 v22, v14, 19, 4
	v_sub_u32_e32 v23, 29, v23
	v_and_b32_e32 v24, 7, v24
	v_cmp_eq_u16_e32 vcc, 0, v21
	v_cndmask_b32_e32 v20, v20, v24, vcc
	v_cndmask_b32_e32 v21, v22, v23, vcc
	v_lshlrev_b32_e32 v22, 8, v14
	v_mov_b32_e32 v23, 0x3b800000
	v_lshlrev_b32_e32 v20, 20, v20
	v_and_b32_e32 v22, 0x80000000, v22
	v_lshl_add_u32 v21, v21, 23, v23
	v_or3_b32 v20, v22, v21, v20
.LBB1_276:
	s_or_b64 exec, exec, s[6:7]
	s_movk_i32 s4, 0xff
	v_and_b32_sdwa v21, v10, s4 dst_sel:DWORD dst_unused:UNUSED_PAD src0_sel:WORD_1 src1_sel:DWORD
	s_movk_i32 s4, 0x7f
	v_cmp_lt_i16_e32 vcc, s4, v21
	s_mov_b64 s[4:5], 0
                                        ; implicit-def: $sgpr10
	s_and_saveexec_b64 s[6:7], vcc
	s_xor_b64 s[6:7], exec, s[6:7]
	s_cbranch_execnz .LBB1_2325
; %bb.277:
	s_or_saveexec_b64 s[6:7], s[6:7]
	v_mov_b32_e32 v22, s10
	s_xor_b64 exec, exec, s[6:7]
	s_cbranch_execnz .LBB1_2328
.LBB1_278:
	s_or_b64 exec, exec, s[6:7]
	s_and_saveexec_b64 s[6:7], s[4:5]
	s_cbranch_execz .LBB1_280
.LBB1_279:
	v_bfe_u32 v21, v10, 16, 3
	v_ffbh_u32_e32 v24, v21
	v_min_u32_e32 v24, 32, v24
	v_lshrrev_b32_e32 v22, 19, v10
	v_subrev_u32_e32 v25, 28, v24
	v_and_b32_e32 v22, 15, v22
	v_lshlrev_b32_sdwa v25, v25, v10 dst_sel:DWORD dst_unused:UNUSED_PAD src0_sel:DWORD src1_sel:WORD_1
	v_bfe_u32 v23, v10, 19, 4
	v_sub_u32_e32 v24, 29, v24
	v_and_b32_e32 v25, 7, v25
	v_cmp_eq_u16_e32 vcc, 0, v22
	v_cndmask_b32_e32 v21, v21, v25, vcc
	v_cndmask_b32_e32 v22, v23, v24, vcc
	v_lshlrev_b32_e32 v23, 8, v10
	v_mov_b32_e32 v24, 0x3b800000
	v_lshlrev_b32_e32 v21, 20, v21
	v_and_b32_e32 v23, 0x80000000, v23
	v_lshl_add_u32 v22, v22, 23, v24
	v_or3_b32 v22, v23, v22, v21
.LBB1_280:
	s_or_b64 exec, exec, s[6:7]
	s_nop 0
	v_mfma_f32_16x16x4f32 a[0:3], v20, v22, a[0:3]
	s_movk_i32 s4, 0x7f
	v_cmp_gt_i16_sdwa s[6:7], v14, s4 src0_sel:BYTE_3 src1_sel:DWORD
	s_mov_b64 s[4:5], 0
                                        ; implicit-def: $sgpr10
	s_and_saveexec_b64 s[8:9], s[6:7]
	s_xor_b64 s[6:7], exec, s[8:9]
	s_cbranch_execnz .LBB1_2329
; %bb.281:
	s_or_saveexec_b64 s[6:7], s[6:7]
	v_mov_b32_e32 v20, s10
	s_xor_b64 exec, exec, s[6:7]
	s_cbranch_execnz .LBB1_2332
.LBB1_282:
	s_or_b64 exec, exec, s[6:7]
	s_and_saveexec_b64 s[6:7], s[4:5]
	s_cbranch_execz .LBB1_284
.LBB1_283:
	v_bfe_u32 v20, v14, 24, 3
	v_ffbh_u32_e32 v24, v20
	v_min_u32_e32 v24, 32, v24
	v_lshrrev_b32_e32 v22, 27, v14
	v_subrev_u32_e32 v25, 28, v24
	v_and_b32_e32 v21, 0x80000000, v14
	v_and_b32_e32 v22, 15, v22
	v_bfe_u32 v23, v14, 27, 4
	v_lshlrev_b32_sdwa v14, v25, v14 dst_sel:DWORD dst_unused:UNUSED_PAD src0_sel:DWORD src1_sel:BYTE_3
	v_sub_u32_e32 v24, 29, v24
	v_and_b32_e32 v14, 7, v14
	v_cmp_eq_u16_e32 vcc, 0, v22
	v_cndmask_b32_e32 v14, v20, v14, vcc
	v_cndmask_b32_e32 v20, v23, v24, vcc
	v_mov_b32_e32 v22, 0x3b800000
	v_lshlrev_b32_e32 v14, 20, v14
	v_lshl_add_u32 v20, v20, 23, v22
	v_or3_b32 v20, v21, v20, v14
.LBB1_284:
	s_or_b64 exec, exec, s[6:7]
	s_movk_i32 s4, 0x7f
	v_cmp_gt_i16_sdwa s[6:7], v10, s4 src0_sel:BYTE_3 src1_sel:DWORD
	s_mov_b64 s[4:5], 0
                                        ; implicit-def: $sgpr10
	s_and_saveexec_b64 s[8:9], s[6:7]
	s_xor_b64 s[6:7], exec, s[8:9]
	s_cbranch_execnz .LBB1_2333
; %bb.285:
	s_or_saveexec_b64 s[6:7], s[6:7]
	v_mov_b32_e32 v14, s10
	s_xor_b64 exec, exec, s[6:7]
	s_cbranch_execnz .LBB1_2336
.LBB1_286:
	s_or_b64 exec, exec, s[6:7]
	s_and_saveexec_b64 s[6:7], s[4:5]
	s_cbranch_execz .LBB1_288
.LBB1_287:
	v_bfe_u32 v14, v10, 24, 3
	v_ffbh_u32_e32 v24, v14
	v_min_u32_e32 v24, 32, v24
	v_lshrrev_b32_e32 v22, 27, v10
	v_subrev_u32_e32 v25, 28, v24
	v_and_b32_e32 v21, 0x80000000, v10
	v_and_b32_e32 v22, 15, v22
	v_bfe_u32 v23, v10, 27, 4
	v_lshlrev_b32_sdwa v10, v25, v10 dst_sel:DWORD dst_unused:UNUSED_PAD src0_sel:DWORD src1_sel:BYTE_3
	v_sub_u32_e32 v24, 29, v24
	v_and_b32_e32 v10, 7, v10
	v_cmp_eq_u16_e32 vcc, 0, v22
	v_cndmask_b32_e32 v10, v14, v10, vcc
	v_cndmask_b32_e32 v14, v23, v24, vcc
	v_mov_b32_e32 v22, 0x3b800000
	v_lshlrev_b32_e32 v10, 20, v10
	v_lshl_add_u32 v14, v14, 23, v22
	v_or3_b32 v14, v21, v14, v10
.LBB1_288:
	s_or_b64 exec, exec, s[6:7]
	s_nop 0
	v_mfma_f32_16x16x4f32 a[0:3], v20, v14, a[0:3]
	s_movk_i32 s4, 0x7f
	v_cmp_gt_i16_sdwa s[6:7], v15, s4 src0_sel:BYTE_0 src1_sel:DWORD
	s_mov_b64 s[4:5], 0
                                        ; implicit-def: $sgpr10
	s_and_saveexec_b64 s[8:9], s[6:7]
	s_xor_b64 s[6:7], exec, s[8:9]
	s_cbranch_execnz .LBB1_2337
; %bb.289:
	s_or_saveexec_b64 s[6:7], s[6:7]
	v_mov_b32_e32 v10, s10
	s_xor_b64 exec, exec, s[6:7]
	s_cbranch_execnz .LBB1_2340
.LBB1_290:
	s_or_b64 exec, exec, s[6:7]
	s_and_saveexec_b64 s[6:7], s[4:5]
	s_cbranch_execz .LBB1_292
.LBB1_291:
	v_and_b32_e32 v10, 7, v15
	v_ffbh_u32_e32 v20, v10
	v_min_u32_e32 v20, 32, v20
	v_lshrrev_b16_e32 v14, 3, v15
	v_subrev_u32_e32 v21, 28, v20
	v_and_b32_e32 v14, 15, v14
	v_lshlrev_b32_e32 v21, v21, v15
	v_sub_u32_e32 v20, 29, v20
	v_and_b32_e32 v21, 7, v21
	v_cmp_eq_u16_e32 vcc, 0, v14
	v_cndmask_b32_e32 v10, v10, v21, vcc
	v_cndmask_b32_e32 v14, v14, v20, vcc
	v_lshlrev_b32_e32 v20, 24, v15
	v_mov_b32_e32 v21, 0x3b800000
	v_lshlrev_b32_e32 v10, 20, v10
	v_and_b32_e32 v20, 0x80000000, v20
	v_lshl_add_u32 v14, v14, 23, v21
	v_or3_b32 v10, v20, v14, v10
.LBB1_292:
	s_or_b64 exec, exec, s[6:7]
	s_movk_i32 s4, 0x7f
	v_cmp_gt_i16_sdwa s[6:7], v11, s4 src0_sel:BYTE_0 src1_sel:DWORD
	s_mov_b64 s[4:5], 0
                                        ; implicit-def: $sgpr10
	s_and_saveexec_b64 s[8:9], s[6:7]
	s_xor_b64 s[6:7], exec, s[8:9]
	s_cbranch_execnz .LBB1_2341
; %bb.293:
	s_or_saveexec_b64 s[6:7], s[6:7]
	v_mov_b32_e32 v14, s10
	s_xor_b64 exec, exec, s[6:7]
	s_cbranch_execnz .LBB1_2344
.LBB1_294:
	s_or_b64 exec, exec, s[6:7]
	s_and_saveexec_b64 s[6:7], s[4:5]
	s_cbranch_execz .LBB1_296
.LBB1_295:
	v_and_b32_e32 v14, 7, v11
	v_ffbh_u32_e32 v21, v14
	v_min_u32_e32 v21, 32, v21
	v_lshrrev_b16_e32 v20, 3, v11
	v_subrev_u32_e32 v22, 28, v21
	v_and_b32_e32 v20, 15, v20
	v_lshlrev_b32_e32 v22, v22, v11
	v_sub_u32_e32 v21, 29, v21
	v_and_b32_e32 v22, 7, v22
	v_cmp_eq_u16_e32 vcc, 0, v20
	v_cndmask_b32_e32 v14, v14, v22, vcc
	v_cndmask_b32_e32 v20, v20, v21, vcc
	v_lshlrev_b32_e32 v21, 24, v11
	v_mov_b32_e32 v22, 0x3b800000
	v_lshlrev_b32_e32 v14, 20, v14
	v_and_b32_e32 v21, 0x80000000, v21
	v_lshl_add_u32 v20, v20, 23, v22
	v_or3_b32 v14, v21, v20, v14
.LBB1_296:
	s_or_b64 exec, exec, s[6:7]
	s_nop 0
	v_mfma_f32_16x16x4f32 a[0:3], v10, v14, a[0:3]
	v_lshrrev_b32_e32 v14, 8, v15
	s_movk_i32 s4, 0x7f
	v_cmp_gt_i16_sdwa s[6:7], v14, s4 src0_sel:BYTE_0 src1_sel:DWORD
	s_mov_b64 s[4:5], 0
                                        ; implicit-def: $sgpr10
	s_and_saveexec_b64 s[8:9], s[6:7]
	s_xor_b64 s[6:7], exec, s[8:9]
	s_cbranch_execnz .LBB1_2345
; %bb.297:
	s_or_saveexec_b64 s[6:7], s[6:7]
	v_mov_b32_e32 v10, s10
	s_xor_b64 exec, exec, s[6:7]
	s_cbranch_execnz .LBB1_2348
.LBB1_298:
	s_or_b64 exec, exec, s[6:7]
	s_and_saveexec_b64 s[6:7], s[4:5]
	s_cbranch_execz .LBB1_300
.LBB1_299:
	v_bfe_u32 v10, v15, 8, 3
	v_ffbh_u32_e32 v21, v10
	v_min_u32_e32 v21, 32, v21
	v_lshrrev_b16_e32 v20, 3, v14
	v_subrev_u32_e32 v22, 28, v21
	v_and_b32_e32 v20, 15, v20
	v_lshlrev_b32_e32 v14, v22, v14
	v_sub_u32_e32 v21, 29, v21
	v_and_b32_e32 v14, 7, v14
	v_cmp_eq_u16_e32 vcc, 0, v20
	v_cndmask_b32_e32 v10, v10, v14, vcc
	v_cndmask_b32_e32 v14, v20, v21, vcc
	v_lshlrev_b32_e32 v20, 16, v15
	v_mov_b32_e32 v21, 0x3b800000
	v_lshlrev_b32_e32 v10, 20, v10
	v_and_b32_e32 v20, 0x80000000, v20
	v_lshl_add_u32 v14, v14, 23, v21
	v_or3_b32 v10, v20, v14, v10
.LBB1_300:
	s_or_b64 exec, exec, s[6:7]
	v_lshrrev_b32_e32 v14, 8, v11
	s_movk_i32 s4, 0x7f
	v_cmp_gt_i16_sdwa s[6:7], v14, s4 src0_sel:BYTE_0 src1_sel:DWORD
	s_mov_b64 s[4:5], 0
                                        ; implicit-def: $sgpr10
	s_and_saveexec_b64 s[8:9], s[6:7]
	s_xor_b64 s[6:7], exec, s[8:9]
	s_cbranch_execnz .LBB1_2349
; %bb.301:
	s_or_saveexec_b64 s[6:7], s[6:7]
	v_mov_b32_e32 v20, s10
	s_xor_b64 exec, exec, s[6:7]
	s_cbranch_execnz .LBB1_2352
.LBB1_302:
	s_or_b64 exec, exec, s[6:7]
	s_and_saveexec_b64 s[6:7], s[4:5]
	s_cbranch_execz .LBB1_304
.LBB1_303:
	v_bfe_u32 v20, v11, 8, 3
	v_ffbh_u32_e32 v22, v20
	v_min_u32_e32 v22, 32, v22
	v_lshrrev_b16_e32 v21, 3, v14
	v_subrev_u32_e32 v23, 28, v22
	v_and_b32_e32 v21, 15, v21
	v_lshlrev_b32_e32 v14, v23, v14
	v_sub_u32_e32 v22, 29, v22
	v_and_b32_e32 v14, 7, v14
	v_cmp_eq_u16_e32 vcc, 0, v21
	v_cndmask_b32_e32 v14, v20, v14, vcc
	v_cndmask_b32_e32 v20, v21, v22, vcc
	v_lshlrev_b32_e32 v21, 16, v11
	v_mov_b32_e32 v22, 0x3b800000
	v_lshlrev_b32_e32 v14, 20, v14
	v_and_b32_e32 v21, 0x80000000, v21
	v_lshl_add_u32 v20, v20, 23, v22
	v_or3_b32 v20, v21, v20, v14
.LBB1_304:
	s_or_b64 exec, exec, s[6:7]
	s_nop 0
	v_mfma_f32_16x16x4f32 a[0:3], v10, v20, a[0:3]
	s_movk_i32 s4, 0xff
	v_and_b32_sdwa v14, v15, s4 dst_sel:DWORD dst_unused:UNUSED_PAD src0_sel:WORD_1 src1_sel:DWORD
	s_movk_i32 s4, 0x7f
	v_cmp_lt_i16_e32 vcc, s4, v14
	s_mov_b64 s[4:5], 0
                                        ; implicit-def: $sgpr10
	s_and_saveexec_b64 s[6:7], vcc
	s_xor_b64 s[6:7], exec, s[6:7]
	s_cbranch_execnz .LBB1_2353
; %bb.305:
	s_or_saveexec_b64 s[6:7], s[6:7]
	v_mov_b32_e32 v10, s10
	s_xor_b64 exec, exec, s[6:7]
	s_cbranch_execnz .LBB1_2356
.LBB1_306:
	s_or_b64 exec, exec, s[6:7]
	s_and_saveexec_b64 s[6:7], s[4:5]
	s_cbranch_execz .LBB1_308
.LBB1_307:
	v_bfe_u32 v10, v15, 16, 3
	v_ffbh_u32_e32 v21, v10
	v_min_u32_e32 v21, 32, v21
	v_lshrrev_b32_e32 v14, 19, v15
	v_subrev_u32_e32 v22, 28, v21
	v_and_b32_e32 v14, 15, v14
	v_lshlrev_b32_sdwa v22, v22, v15 dst_sel:DWORD dst_unused:UNUSED_PAD src0_sel:DWORD src1_sel:WORD_1
	v_bfe_u32 v20, v15, 19, 4
	v_sub_u32_e32 v21, 29, v21
	v_and_b32_e32 v22, 7, v22
	v_cmp_eq_u16_e32 vcc, 0, v14
	v_cndmask_b32_e32 v10, v10, v22, vcc
	v_cndmask_b32_e32 v14, v20, v21, vcc
	v_lshlrev_b32_e32 v20, 8, v15
	v_mov_b32_e32 v21, 0x3b800000
	v_lshlrev_b32_e32 v10, 20, v10
	v_and_b32_e32 v20, 0x80000000, v20
	v_lshl_add_u32 v14, v14, 23, v21
	v_or3_b32 v10, v20, v14, v10
.LBB1_308:
	s_or_b64 exec, exec, s[6:7]
	s_movk_i32 s4, 0xff
	v_and_b32_sdwa v14, v11, s4 dst_sel:DWORD dst_unused:UNUSED_PAD src0_sel:WORD_1 src1_sel:DWORD
	s_movk_i32 s4, 0x7f
	v_cmp_lt_i16_e32 vcc, s4, v14
	s_mov_b64 s[4:5], 0
                                        ; implicit-def: $sgpr10
	s_and_saveexec_b64 s[6:7], vcc
	s_xor_b64 s[6:7], exec, s[6:7]
	s_cbranch_execnz .LBB1_2357
; %bb.309:
	s_or_saveexec_b64 s[6:7], s[6:7]
	v_mov_b32_e32 v20, s10
	s_xor_b64 exec, exec, s[6:7]
	s_cbranch_execnz .LBB1_2360
.LBB1_310:
	s_or_b64 exec, exec, s[6:7]
	s_and_saveexec_b64 s[6:7], s[4:5]
	s_cbranch_execz .LBB1_312
.LBB1_311:
	v_bfe_u32 v14, v11, 16, 3
	v_ffbh_u32_e32 v22, v14
	v_min_u32_e32 v22, 32, v22
	v_lshrrev_b32_e32 v20, 19, v11
	v_subrev_u32_e32 v23, 28, v22
	v_and_b32_e32 v20, 15, v20
	v_lshlrev_b32_sdwa v23, v23, v11 dst_sel:DWORD dst_unused:UNUSED_PAD src0_sel:DWORD src1_sel:WORD_1
	v_bfe_u32 v21, v11, 19, 4
	v_sub_u32_e32 v22, 29, v22
	v_and_b32_e32 v23, 7, v23
	v_cmp_eq_u16_e32 vcc, 0, v20
	v_cndmask_b32_e32 v14, v14, v23, vcc
	v_cndmask_b32_e32 v20, v21, v22, vcc
	v_lshlrev_b32_e32 v21, 8, v11
	v_mov_b32_e32 v22, 0x3b800000
	v_lshlrev_b32_e32 v14, 20, v14
	v_and_b32_e32 v21, 0x80000000, v21
	v_lshl_add_u32 v20, v20, 23, v22
	v_or3_b32 v20, v21, v20, v14
.LBB1_312:
	s_or_b64 exec, exec, s[6:7]
	s_nop 0
	v_mfma_f32_16x16x4f32 a[0:3], v10, v20, a[0:3]
	s_movk_i32 s4, 0x7f
	v_cmp_gt_i16_sdwa s[6:7], v15, s4 src0_sel:BYTE_3 src1_sel:DWORD
	s_mov_b64 s[4:5], 0
                                        ; implicit-def: $sgpr10
	s_and_saveexec_b64 s[8:9], s[6:7]
	s_xor_b64 s[6:7], exec, s[8:9]
	s_cbranch_execnz .LBB1_2361
; %bb.313:
	s_or_saveexec_b64 s[6:7], s[6:7]
	v_mov_b32_e32 v10, s10
	s_xor_b64 exec, exec, s[6:7]
	s_cbranch_execnz .LBB1_2364
.LBB1_314:
	s_or_b64 exec, exec, s[6:7]
	s_and_saveexec_b64 s[6:7], s[4:5]
	s_cbranch_execz .LBB1_316
.LBB1_315:
	v_bfe_u32 v10, v15, 24, 3
	v_ffbh_u32_e32 v22, v10
	v_min_u32_e32 v22, 32, v22
	v_lshrrev_b32_e32 v20, 27, v15
	v_subrev_u32_e32 v23, 28, v22
	v_and_b32_e32 v14, 0x80000000, v15
	v_and_b32_e32 v20, 15, v20
	v_bfe_u32 v21, v15, 27, 4
	v_lshlrev_b32_sdwa v15, v23, v15 dst_sel:DWORD dst_unused:UNUSED_PAD src0_sel:DWORD src1_sel:BYTE_3
	v_sub_u32_e32 v22, 29, v22
	v_and_b32_e32 v15, 7, v15
	v_cmp_eq_u16_e32 vcc, 0, v20
	v_cndmask_b32_e32 v10, v10, v15, vcc
	v_cndmask_b32_e32 v15, v21, v22, vcc
	v_mov_b32_e32 v20, 0x3b800000
	v_lshlrev_b32_e32 v10, 20, v10
	v_lshl_add_u32 v15, v15, 23, v20
	v_or3_b32 v10, v14, v15, v10
.LBB1_316:
	s_or_b64 exec, exec, s[6:7]
	s_movk_i32 s4, 0x7f
	v_cmp_gt_i16_sdwa s[6:7], v11, s4 src0_sel:BYTE_3 src1_sel:DWORD
	s_mov_b64 s[4:5], 0
                                        ; implicit-def: $sgpr10
	s_and_saveexec_b64 s[8:9], s[6:7]
	s_xor_b64 s[6:7], exec, s[8:9]
	s_cbranch_execnz .LBB1_2365
; %bb.317:
	s_or_saveexec_b64 s[6:7], s[6:7]
	v_mov_b32_e32 v14, s10
	s_xor_b64 exec, exec, s[6:7]
	s_cbranch_execnz .LBB1_2368
.LBB1_318:
	s_or_b64 exec, exec, s[6:7]
	s_and_saveexec_b64 s[6:7], s[4:5]
	s_cbranch_execz .LBB1_320
.LBB1_319:
	v_bfe_u32 v14, v11, 24, 3
	v_ffbh_u32_e32 v22, v14
	v_min_u32_e32 v22, 32, v22
	v_lshrrev_b32_e32 v20, 27, v11
	v_subrev_u32_e32 v23, 28, v22
	v_and_b32_e32 v15, 0x80000000, v11
	v_and_b32_e32 v20, 15, v20
	v_bfe_u32 v21, v11, 27, 4
	v_lshlrev_b32_sdwa v11, v23, v11 dst_sel:DWORD dst_unused:UNUSED_PAD src0_sel:DWORD src1_sel:BYTE_3
	v_sub_u32_e32 v22, 29, v22
	v_and_b32_e32 v11, 7, v11
	v_cmp_eq_u16_e32 vcc, 0, v20
	v_cndmask_b32_e32 v11, v14, v11, vcc
	v_cndmask_b32_e32 v14, v21, v22, vcc
	v_mov_b32_e32 v20, 0x3b800000
	v_lshlrev_b32_e32 v11, 20, v11
	v_lshl_add_u32 v14, v14, 23, v20
	v_or3_b32 v14, v15, v14, v11
.LBB1_320:
	s_or_b64 exec, exec, s[6:7]
	s_nop 0
	v_mfma_f32_16x16x4f32 a[0:3], v10, v14, a[0:3]
	s_movk_i32 s4, 0x7f
	v_cmp_gt_i16_sdwa s[6:7], v16, s4 src0_sel:BYTE_0 src1_sel:DWORD
	s_mov_b64 s[4:5], 0
                                        ; implicit-def: $sgpr10
	s_and_saveexec_b64 s[8:9], s[6:7]
	s_xor_b64 s[6:7], exec, s[8:9]
	s_cbranch_execnz .LBB1_2369
; %bb.321:
	s_or_saveexec_b64 s[6:7], s[6:7]
	v_mov_b32_e32 v10, s10
	s_xor_b64 exec, exec, s[6:7]
	s_cbranch_execnz .LBB1_2372
.LBB1_322:
	s_or_b64 exec, exec, s[6:7]
	s_and_saveexec_b64 s[6:7], s[4:5]
	s_cbranch_execz .LBB1_324
.LBB1_323:
	v_and_b32_e32 v10, 7, v16
	v_ffbh_u32_e32 v14, v10
	v_min_u32_e32 v14, 32, v14
	v_lshrrev_b16_e32 v11, 3, v16
	v_subrev_u32_e32 v15, 28, v14
	v_and_b32_e32 v11, 15, v11
	v_lshlrev_b32_e32 v15, v15, v16
	v_sub_u32_e32 v14, 29, v14
	v_and_b32_e32 v15, 7, v15
	v_cmp_eq_u16_e32 vcc, 0, v11
	v_cndmask_b32_e32 v10, v10, v15, vcc
	v_cndmask_b32_e32 v11, v11, v14, vcc
	v_lshlrev_b32_e32 v14, 24, v16
	v_mov_b32_e32 v15, 0x3b800000
	v_lshlrev_b32_e32 v10, 20, v10
	v_and_b32_e32 v14, 0x80000000, v14
	v_lshl_add_u32 v11, v11, 23, v15
	v_or3_b32 v10, v14, v11, v10
.LBB1_324:
	s_or_b64 exec, exec, s[6:7]
	s_movk_i32 s4, 0x7f
	v_cmp_gt_i16_sdwa s[6:7], v12, s4 src0_sel:BYTE_0 src1_sel:DWORD
	s_mov_b64 s[4:5], 0
                                        ; implicit-def: $sgpr10
	s_and_saveexec_b64 s[8:9], s[6:7]
	s_xor_b64 s[6:7], exec, s[8:9]
	s_cbranch_execnz .LBB1_2373
; %bb.325:
	s_or_saveexec_b64 s[6:7], s[6:7]
	v_mov_b32_e32 v11, s10
	s_xor_b64 exec, exec, s[6:7]
	s_cbranch_execnz .LBB1_2376
.LBB1_326:
	s_or_b64 exec, exec, s[6:7]
	s_and_saveexec_b64 s[6:7], s[4:5]
	s_cbranch_execz .LBB1_328
.LBB1_327:
	v_and_b32_e32 v11, 7, v12
	v_ffbh_u32_e32 v15, v11
	v_min_u32_e32 v15, 32, v15
	v_lshrrev_b16_e32 v14, 3, v12
	v_subrev_u32_e32 v20, 28, v15
	v_and_b32_e32 v14, 15, v14
	v_lshlrev_b32_e32 v20, v20, v12
	v_sub_u32_e32 v15, 29, v15
	v_and_b32_e32 v20, 7, v20
	v_cmp_eq_u16_e32 vcc, 0, v14
	v_cndmask_b32_e32 v11, v11, v20, vcc
	v_cndmask_b32_e32 v14, v14, v15, vcc
	v_lshlrev_b32_e32 v15, 24, v12
	v_mov_b32_e32 v20, 0x3b800000
	v_lshlrev_b32_e32 v11, 20, v11
	v_and_b32_e32 v15, 0x80000000, v15
	v_lshl_add_u32 v14, v14, 23, v20
	v_or3_b32 v11, v15, v14, v11
.LBB1_328:
	s_or_b64 exec, exec, s[6:7]
	s_nop 0
	v_mfma_f32_16x16x4f32 a[0:3], v10, v11, a[0:3]
	v_lshrrev_b32_e32 v11, 8, v16
	s_movk_i32 s4, 0x7f
	v_cmp_gt_i16_sdwa s[6:7], v11, s4 src0_sel:BYTE_0 src1_sel:DWORD
	s_mov_b64 s[4:5], 0
                                        ; implicit-def: $sgpr10
	s_and_saveexec_b64 s[8:9], s[6:7]
	s_xor_b64 s[6:7], exec, s[8:9]
	s_cbranch_execnz .LBB1_2377
; %bb.329:
	s_or_saveexec_b64 s[6:7], s[6:7]
	v_mov_b32_e32 v10, s10
	s_xor_b64 exec, exec, s[6:7]
	s_cbranch_execnz .LBB1_2380
.LBB1_330:
	s_or_b64 exec, exec, s[6:7]
	s_and_saveexec_b64 s[6:7], s[4:5]
	s_cbranch_execz .LBB1_332
.LBB1_331:
	v_bfe_u32 v10, v16, 8, 3
	v_ffbh_u32_e32 v15, v10
	v_min_u32_e32 v15, 32, v15
	v_lshrrev_b16_e32 v14, 3, v11
	v_subrev_u32_e32 v20, 28, v15
	v_and_b32_e32 v14, 15, v14
	v_lshlrev_b32_e32 v11, v20, v11
	v_sub_u32_e32 v15, 29, v15
	v_and_b32_e32 v11, 7, v11
	v_cmp_eq_u16_e32 vcc, 0, v14
	v_cndmask_b32_e32 v10, v10, v11, vcc
	v_cndmask_b32_e32 v11, v14, v15, vcc
	v_lshlrev_b32_e32 v14, 16, v16
	v_mov_b32_e32 v15, 0x3b800000
	v_lshlrev_b32_e32 v10, 20, v10
	v_and_b32_e32 v14, 0x80000000, v14
	v_lshl_add_u32 v11, v11, 23, v15
	v_or3_b32 v10, v14, v11, v10
.LBB1_332:
	s_or_b64 exec, exec, s[6:7]
	v_lshrrev_b32_e32 v11, 8, v12
	s_movk_i32 s4, 0x7f
	v_cmp_gt_i16_sdwa s[6:7], v11, s4 src0_sel:BYTE_0 src1_sel:DWORD
	s_mov_b64 s[4:5], 0
                                        ; implicit-def: $sgpr10
	s_and_saveexec_b64 s[8:9], s[6:7]
	s_xor_b64 s[6:7], exec, s[8:9]
	s_cbranch_execnz .LBB1_2381
; %bb.333:
	s_or_saveexec_b64 s[6:7], s[6:7]
	v_mov_b32_e32 v14, s10
	s_xor_b64 exec, exec, s[6:7]
	s_cbranch_execnz .LBB1_2384
.LBB1_334:
	s_or_b64 exec, exec, s[6:7]
	s_and_saveexec_b64 s[6:7], s[4:5]
	s_cbranch_execz .LBB1_336
.LBB1_335:
	v_bfe_u32 v14, v12, 8, 3
	v_ffbh_u32_e32 v20, v14
	v_min_u32_e32 v20, 32, v20
	v_lshrrev_b16_e32 v15, 3, v11
	v_subrev_u32_e32 v21, 28, v20
	v_and_b32_e32 v15, 15, v15
	v_lshlrev_b32_e32 v11, v21, v11
	v_sub_u32_e32 v20, 29, v20
	v_and_b32_e32 v11, 7, v11
	v_cmp_eq_u16_e32 vcc, 0, v15
	v_cndmask_b32_e32 v11, v14, v11, vcc
	v_cndmask_b32_e32 v14, v15, v20, vcc
	v_lshlrev_b32_e32 v15, 16, v12
	v_mov_b32_e32 v20, 0x3b800000
	v_lshlrev_b32_e32 v11, 20, v11
	v_and_b32_e32 v15, 0x80000000, v15
	v_lshl_add_u32 v14, v14, 23, v20
	v_or3_b32 v14, v15, v14, v11
.LBB1_336:
	s_or_b64 exec, exec, s[6:7]
	s_nop 0
	v_mfma_f32_16x16x4f32 a[0:3], v10, v14, a[0:3]
	s_movk_i32 s4, 0xff
	v_and_b32_sdwa v11, v16, s4 dst_sel:DWORD dst_unused:UNUSED_PAD src0_sel:WORD_1 src1_sel:DWORD
	s_movk_i32 s4, 0x7f
	v_cmp_lt_i16_e32 vcc, s4, v11
	s_mov_b64 s[4:5], 0
                                        ; implicit-def: $sgpr10
	s_and_saveexec_b64 s[6:7], vcc
	s_xor_b64 s[6:7], exec, s[6:7]
	s_cbranch_execnz .LBB1_2385
; %bb.337:
	s_or_saveexec_b64 s[6:7], s[6:7]
	v_mov_b32_e32 v10, s10
	s_xor_b64 exec, exec, s[6:7]
	s_cbranch_execnz .LBB1_2388
.LBB1_338:
	s_or_b64 exec, exec, s[6:7]
	s_and_saveexec_b64 s[6:7], s[4:5]
	s_cbranch_execz .LBB1_340
.LBB1_339:
	v_bfe_u32 v10, v16, 16, 3
	v_ffbh_u32_e32 v15, v10
	v_min_u32_e32 v15, 32, v15
	v_lshrrev_b32_e32 v11, 19, v16
	v_subrev_u32_e32 v20, 28, v15
	v_and_b32_e32 v11, 15, v11
	v_lshlrev_b32_sdwa v20, v20, v16 dst_sel:DWORD dst_unused:UNUSED_PAD src0_sel:DWORD src1_sel:WORD_1
	v_bfe_u32 v14, v16, 19, 4
	v_sub_u32_e32 v15, 29, v15
	v_and_b32_e32 v20, 7, v20
	v_cmp_eq_u16_e32 vcc, 0, v11
	v_cndmask_b32_e32 v10, v10, v20, vcc
	v_cndmask_b32_e32 v11, v14, v15, vcc
	v_lshlrev_b32_e32 v14, 8, v16
	v_mov_b32_e32 v15, 0x3b800000
	v_lshlrev_b32_e32 v10, 20, v10
	v_and_b32_e32 v14, 0x80000000, v14
	v_lshl_add_u32 v11, v11, 23, v15
	v_or3_b32 v10, v14, v11, v10
.LBB1_340:
	s_or_b64 exec, exec, s[6:7]
	s_movk_i32 s4, 0xff
	v_and_b32_sdwa v11, v12, s4 dst_sel:DWORD dst_unused:UNUSED_PAD src0_sel:WORD_1 src1_sel:DWORD
	s_movk_i32 s4, 0x7f
	v_cmp_lt_i16_e32 vcc, s4, v11
	s_mov_b64 s[4:5], 0
                                        ; implicit-def: $sgpr10
	s_and_saveexec_b64 s[6:7], vcc
	s_xor_b64 s[6:7], exec, s[6:7]
	s_cbranch_execnz .LBB1_2389
; %bb.341:
	s_or_saveexec_b64 s[6:7], s[6:7]
	v_mov_b32_e32 v14, s10
	s_xor_b64 exec, exec, s[6:7]
	s_cbranch_execnz .LBB1_2392
.LBB1_342:
	s_or_b64 exec, exec, s[6:7]
	s_and_saveexec_b64 s[6:7], s[4:5]
	s_cbranch_execz .LBB1_344
.LBB1_343:
	v_bfe_u32 v11, v12, 16, 3
	v_ffbh_u32_e32 v20, v11
	v_min_u32_e32 v20, 32, v20
	v_lshrrev_b32_e32 v14, 19, v12
	v_subrev_u32_e32 v21, 28, v20
	v_and_b32_e32 v14, 15, v14
	v_lshlrev_b32_sdwa v21, v21, v12 dst_sel:DWORD dst_unused:UNUSED_PAD src0_sel:DWORD src1_sel:WORD_1
	v_bfe_u32 v15, v12, 19, 4
	v_sub_u32_e32 v20, 29, v20
	v_and_b32_e32 v21, 7, v21
	v_cmp_eq_u16_e32 vcc, 0, v14
	v_cndmask_b32_e32 v11, v11, v21, vcc
	v_cndmask_b32_e32 v14, v15, v20, vcc
	v_lshlrev_b32_e32 v15, 8, v12
	v_mov_b32_e32 v20, 0x3b800000
	v_lshlrev_b32_e32 v11, 20, v11
	v_and_b32_e32 v15, 0x80000000, v15
	v_lshl_add_u32 v14, v14, 23, v20
	v_or3_b32 v14, v15, v14, v11
.LBB1_344:
	s_or_b64 exec, exec, s[6:7]
	s_nop 0
	v_mfma_f32_16x16x4f32 a[0:3], v10, v14, a[0:3]
	s_movk_i32 s4, 0x7f
	v_cmp_gt_i16_sdwa s[6:7], v16, s4 src0_sel:BYTE_3 src1_sel:DWORD
	s_mov_b64 s[4:5], 0
                                        ; implicit-def: $sgpr10
	s_and_saveexec_b64 s[8:9], s[6:7]
	s_xor_b64 s[6:7], exec, s[8:9]
	s_cbranch_execnz .LBB1_2393
; %bb.345:
	s_or_saveexec_b64 s[6:7], s[6:7]
	v_mov_b32_e32 v10, s10
	s_xor_b64 exec, exec, s[6:7]
	s_cbranch_execnz .LBB1_2396
.LBB1_346:
	s_or_b64 exec, exec, s[6:7]
	s_and_saveexec_b64 s[6:7], s[4:5]
	s_cbranch_execz .LBB1_348
.LBB1_347:
	v_bfe_u32 v10, v16, 24, 3
	v_ffbh_u32_e32 v20, v10
	v_min_u32_e32 v20, 32, v20
	v_lshrrev_b32_e32 v14, 27, v16
	v_subrev_u32_e32 v21, 28, v20
	v_and_b32_e32 v11, 0x80000000, v16
	v_and_b32_e32 v14, 15, v14
	v_bfe_u32 v15, v16, 27, 4
	v_lshlrev_b32_sdwa v16, v21, v16 dst_sel:DWORD dst_unused:UNUSED_PAD src0_sel:DWORD src1_sel:BYTE_3
	v_sub_u32_e32 v20, 29, v20
	v_and_b32_e32 v16, 7, v16
	v_cmp_eq_u16_e32 vcc, 0, v14
	v_cndmask_b32_e32 v10, v10, v16, vcc
	v_cndmask_b32_e32 v14, v15, v20, vcc
	v_mov_b32_e32 v15, 0x3b800000
	v_lshlrev_b32_e32 v10, 20, v10
	v_lshl_add_u32 v14, v14, 23, v15
	v_or3_b32 v10, v11, v14, v10
.LBB1_348:
	s_or_b64 exec, exec, s[6:7]
	s_movk_i32 s4, 0x7f
	v_cmp_gt_i16_sdwa s[6:7], v12, s4 src0_sel:BYTE_3 src1_sel:DWORD
	s_mov_b64 s[4:5], 0
                                        ; implicit-def: $sgpr10
	s_and_saveexec_b64 s[8:9], s[6:7]
	s_xor_b64 s[6:7], exec, s[8:9]
	s_cbranch_execnz .LBB1_2397
; %bb.349:
	s_or_saveexec_b64 s[6:7], s[6:7]
	v_mov_b32_e32 v11, s10
	s_xor_b64 exec, exec, s[6:7]
	s_cbranch_execnz .LBB1_2400
.LBB1_350:
	s_or_b64 exec, exec, s[6:7]
	s_and_saveexec_b64 s[6:7], s[4:5]
	s_cbranch_execz .LBB1_352
.LBB1_351:
	v_bfe_u32 v11, v12, 24, 3
	v_ffbh_u32_e32 v20, v11
	v_min_u32_e32 v20, 32, v20
	v_lshrrev_b32_e32 v15, 27, v12
	v_subrev_u32_e32 v21, 28, v20
	v_and_b32_e32 v14, 0x80000000, v12
	v_and_b32_e32 v15, 15, v15
	v_bfe_u32 v16, v12, 27, 4
	v_lshlrev_b32_sdwa v12, v21, v12 dst_sel:DWORD dst_unused:UNUSED_PAD src0_sel:DWORD src1_sel:BYTE_3
	v_sub_u32_e32 v20, 29, v20
	v_and_b32_e32 v12, 7, v12
	v_cmp_eq_u16_e32 vcc, 0, v15
	v_cndmask_b32_e32 v11, v11, v12, vcc
	v_cndmask_b32_e32 v12, v16, v20, vcc
	v_mov_b32_e32 v15, 0x3b800000
	v_lshlrev_b32_e32 v11, 20, v11
	v_lshl_add_u32 v12, v12, 23, v15
	v_or3_b32 v11, v14, v12, v11
.LBB1_352:
	s_or_b64 exec, exec, s[6:7]
	s_nop 0
	v_mfma_f32_16x16x4f32 a[0:3], v10, v11, a[0:3]
	s_movk_i32 s4, 0x7f
	v_cmp_gt_i16_sdwa s[6:7], v17, s4 src0_sel:BYTE_0 src1_sel:DWORD
	s_mov_b64 s[4:5], 0
                                        ; implicit-def: $sgpr10
	s_and_saveexec_b64 s[8:9], s[6:7]
	s_xor_b64 s[6:7], exec, s[8:9]
	s_cbranch_execnz .LBB1_2401
; %bb.353:
	s_or_saveexec_b64 s[6:7], s[6:7]
	v_mov_b32_e32 v10, s10
	s_xor_b64 exec, exec, s[6:7]
	s_cbranch_execnz .LBB1_2404
.LBB1_354:
	s_or_b64 exec, exec, s[6:7]
	s_and_saveexec_b64 s[6:7], s[4:5]
	s_cbranch_execz .LBB1_356
.LBB1_355:
	v_and_b32_e32 v10, 7, v17
	v_ffbh_u32_e32 v12, v10
	v_min_u32_e32 v12, 32, v12
	v_lshrrev_b16_e32 v11, 3, v17
	v_subrev_u32_e32 v14, 28, v12
	v_and_b32_e32 v11, 15, v11
	v_lshlrev_b32_e32 v14, v14, v17
	v_sub_u32_e32 v12, 29, v12
	v_and_b32_e32 v14, 7, v14
	v_cmp_eq_u16_e32 vcc, 0, v11
	v_cndmask_b32_e32 v10, v10, v14, vcc
	v_cndmask_b32_e32 v11, v11, v12, vcc
	v_lshlrev_b32_e32 v12, 24, v17
	v_mov_b32_e32 v14, 0x3b800000
	v_lshlrev_b32_e32 v10, 20, v10
	v_and_b32_e32 v12, 0x80000000, v12
	v_lshl_add_u32 v11, v11, 23, v14
	v_or3_b32 v10, v12, v11, v10
.LBB1_356:
	s_or_b64 exec, exec, s[6:7]
	s_movk_i32 s4, 0x7f
	v_cmp_gt_i16_sdwa s[6:7], v13, s4 src0_sel:BYTE_0 src1_sel:DWORD
	s_mov_b64 s[4:5], 0
                                        ; implicit-def: $sgpr10
	s_and_saveexec_b64 s[8:9], s[6:7]
	s_xor_b64 s[6:7], exec, s[8:9]
	s_cbranch_execnz .LBB1_2405
; %bb.357:
	s_or_saveexec_b64 s[6:7], s[6:7]
	v_mov_b32_e32 v11, s10
	s_xor_b64 exec, exec, s[6:7]
	s_cbranch_execnz .LBB1_2408
.LBB1_358:
	s_or_b64 exec, exec, s[6:7]
	s_and_saveexec_b64 s[6:7], s[4:5]
	s_cbranch_execz .LBB1_360
.LBB1_359:
	v_and_b32_e32 v11, 7, v13
	v_ffbh_u32_e32 v14, v11
	v_min_u32_e32 v14, 32, v14
	v_lshrrev_b16_e32 v12, 3, v13
	v_subrev_u32_e32 v15, 28, v14
	v_and_b32_e32 v12, 15, v12
	v_lshlrev_b32_e32 v15, v15, v13
	v_sub_u32_e32 v14, 29, v14
	v_and_b32_e32 v15, 7, v15
	v_cmp_eq_u16_e32 vcc, 0, v12
	v_cndmask_b32_e32 v11, v11, v15, vcc
	v_cndmask_b32_e32 v12, v12, v14, vcc
	v_lshlrev_b32_e32 v14, 24, v13
	v_mov_b32_e32 v15, 0x3b800000
	v_lshlrev_b32_e32 v11, 20, v11
	v_and_b32_e32 v14, 0x80000000, v14
	v_lshl_add_u32 v12, v12, 23, v15
	v_or3_b32 v11, v14, v12, v11
.LBB1_360:
	s_or_b64 exec, exec, s[6:7]
	s_nop 0
	v_mfma_f32_16x16x4f32 a[0:3], v10, v11, a[0:3]
	v_lshrrev_b32_e32 v11, 8, v17
	s_movk_i32 s4, 0x7f
	v_cmp_gt_i16_sdwa s[6:7], v11, s4 src0_sel:BYTE_0 src1_sel:DWORD
	s_mov_b64 s[4:5], 0
                                        ; implicit-def: $sgpr10
	s_and_saveexec_b64 s[8:9], s[6:7]
	s_xor_b64 s[6:7], exec, s[8:9]
	s_cbranch_execnz .LBB1_2409
; %bb.361:
	s_or_saveexec_b64 s[6:7], s[6:7]
	v_mov_b32_e32 v10, s10
	s_xor_b64 exec, exec, s[6:7]
	s_cbranch_execnz .LBB1_2412
.LBB1_362:
	s_or_b64 exec, exec, s[6:7]
	s_and_saveexec_b64 s[6:7], s[4:5]
	s_cbranch_execz .LBB1_364
.LBB1_363:
	v_bfe_u32 v10, v17, 8, 3
	v_ffbh_u32_e32 v14, v10
	v_min_u32_e32 v14, 32, v14
	v_lshrrev_b16_e32 v12, 3, v11
	v_subrev_u32_e32 v15, 28, v14
	v_and_b32_e32 v12, 15, v12
	v_lshlrev_b32_e32 v11, v15, v11
	v_sub_u32_e32 v14, 29, v14
	v_and_b32_e32 v11, 7, v11
	v_cmp_eq_u16_e32 vcc, 0, v12
	v_cndmask_b32_e32 v10, v10, v11, vcc
	v_cndmask_b32_e32 v11, v12, v14, vcc
	v_lshlrev_b32_e32 v12, 16, v17
	v_mov_b32_e32 v14, 0x3b800000
	v_lshlrev_b32_e32 v10, 20, v10
	v_and_b32_e32 v12, 0x80000000, v12
	v_lshl_add_u32 v11, v11, 23, v14
	v_or3_b32 v10, v12, v11, v10
.LBB1_364:
	s_or_b64 exec, exec, s[6:7]
	v_lshrrev_b32_e32 v11, 8, v13
	s_movk_i32 s4, 0x7f
	v_cmp_gt_i16_sdwa s[6:7], v11, s4 src0_sel:BYTE_0 src1_sel:DWORD
	s_mov_b64 s[4:5], 0
                                        ; implicit-def: $sgpr10
	s_and_saveexec_b64 s[8:9], s[6:7]
	s_xor_b64 s[6:7], exec, s[8:9]
	s_cbranch_execnz .LBB1_2413
; %bb.365:
	s_or_saveexec_b64 s[6:7], s[6:7]
	v_mov_b32_e32 v12, s10
	s_xor_b64 exec, exec, s[6:7]
	s_cbranch_execnz .LBB1_2416
.LBB1_366:
	s_or_b64 exec, exec, s[6:7]
	s_and_saveexec_b64 s[6:7], s[4:5]
	s_cbranch_execz .LBB1_368
.LBB1_367:
	v_bfe_u32 v12, v13, 8, 3
	v_ffbh_u32_e32 v15, v12
	v_min_u32_e32 v15, 32, v15
	v_lshrrev_b16_e32 v14, 3, v11
	v_subrev_u32_e32 v16, 28, v15
	v_and_b32_e32 v14, 15, v14
	v_lshlrev_b32_e32 v11, v16, v11
	v_sub_u32_e32 v15, 29, v15
	v_and_b32_e32 v11, 7, v11
	v_cmp_eq_u16_e32 vcc, 0, v14
	v_cndmask_b32_e32 v11, v12, v11, vcc
	v_cndmask_b32_e32 v12, v14, v15, vcc
	v_lshlrev_b32_e32 v14, 16, v13
	v_mov_b32_e32 v15, 0x3b800000
	v_lshlrev_b32_e32 v11, 20, v11
	v_and_b32_e32 v14, 0x80000000, v14
	v_lshl_add_u32 v12, v12, 23, v15
	v_or3_b32 v12, v14, v12, v11
.LBB1_368:
	s_or_b64 exec, exec, s[6:7]
	s_nop 0
	v_mfma_f32_16x16x4f32 a[0:3], v10, v12, a[0:3]
	s_movk_i32 s4, 0xff
	v_and_b32_sdwa v11, v17, s4 dst_sel:DWORD dst_unused:UNUSED_PAD src0_sel:WORD_1 src1_sel:DWORD
	s_movk_i32 s4, 0x7f
	v_cmp_lt_i16_e32 vcc, s4, v11
	s_mov_b64 s[4:5], 0
                                        ; implicit-def: $sgpr10
	s_and_saveexec_b64 s[6:7], vcc
	s_xor_b64 s[6:7], exec, s[6:7]
	s_cbranch_execnz .LBB1_2417
; %bb.369:
	s_or_saveexec_b64 s[6:7], s[6:7]
	v_mov_b32_e32 v10, s10
	s_xor_b64 exec, exec, s[6:7]
	s_cbranch_execnz .LBB1_2420
.LBB1_370:
	s_or_b64 exec, exec, s[6:7]
	s_and_saveexec_b64 s[6:7], s[4:5]
	s_cbranch_execz .LBB1_372
.LBB1_371:
	v_bfe_u32 v10, v17, 16, 3
	v_ffbh_u32_e32 v14, v10
	v_min_u32_e32 v14, 32, v14
	v_lshrrev_b32_e32 v11, 19, v17
	v_subrev_u32_e32 v15, 28, v14
	v_and_b32_e32 v11, 15, v11
	v_lshlrev_b32_sdwa v15, v15, v17 dst_sel:DWORD dst_unused:UNUSED_PAD src0_sel:DWORD src1_sel:WORD_1
	v_bfe_u32 v12, v17, 19, 4
	v_sub_u32_e32 v14, 29, v14
	v_and_b32_e32 v15, 7, v15
	v_cmp_eq_u16_e32 vcc, 0, v11
	v_cndmask_b32_e32 v10, v10, v15, vcc
	v_cndmask_b32_e32 v11, v12, v14, vcc
	v_lshlrev_b32_e32 v12, 8, v17
	v_mov_b32_e32 v14, 0x3b800000
	v_lshlrev_b32_e32 v10, 20, v10
	v_and_b32_e32 v12, 0x80000000, v12
	v_lshl_add_u32 v11, v11, 23, v14
	v_or3_b32 v10, v12, v11, v10
.LBB1_372:
	s_or_b64 exec, exec, s[6:7]
	s_movk_i32 s4, 0xff
	v_and_b32_sdwa v11, v13, s4 dst_sel:DWORD dst_unused:UNUSED_PAD src0_sel:WORD_1 src1_sel:DWORD
	s_movk_i32 s4, 0x7f
	v_cmp_lt_i16_e32 vcc, s4, v11
	s_mov_b64 s[4:5], 0
                                        ; implicit-def: $sgpr10
	s_and_saveexec_b64 s[6:7], vcc
	s_xor_b64 s[6:7], exec, s[6:7]
	s_cbranch_execnz .LBB1_2421
; %bb.373:
	s_or_saveexec_b64 s[6:7], s[6:7]
	v_mov_b32_e32 v12, s10
	s_xor_b64 exec, exec, s[6:7]
	s_cbranch_execnz .LBB1_2424
.LBB1_374:
	s_or_b64 exec, exec, s[6:7]
	s_and_saveexec_b64 s[6:7], s[4:5]
	s_cbranch_execz .LBB1_376
.LBB1_375:
	v_bfe_u32 v11, v13, 16, 3
	v_ffbh_u32_e32 v15, v11
	v_min_u32_e32 v15, 32, v15
	v_lshrrev_b32_e32 v12, 19, v13
	v_subrev_u32_e32 v16, 28, v15
	v_and_b32_e32 v12, 15, v12
	v_lshlrev_b32_sdwa v16, v16, v13 dst_sel:DWORD dst_unused:UNUSED_PAD src0_sel:DWORD src1_sel:WORD_1
	v_bfe_u32 v14, v13, 19, 4
	v_sub_u32_e32 v15, 29, v15
	v_and_b32_e32 v16, 7, v16
	v_cmp_eq_u16_e32 vcc, 0, v12
	v_cndmask_b32_e32 v11, v11, v16, vcc
	v_cndmask_b32_e32 v12, v14, v15, vcc
	v_lshlrev_b32_e32 v14, 8, v13
	v_mov_b32_e32 v15, 0x3b800000
	v_lshlrev_b32_e32 v11, 20, v11
	v_and_b32_e32 v14, 0x80000000, v14
	v_lshl_add_u32 v12, v12, 23, v15
	v_or3_b32 v12, v14, v12, v11
.LBB1_376:
	s_or_b64 exec, exec, s[6:7]
	s_nop 0
	v_mfma_f32_16x16x4f32 a[0:3], v10, v12, a[0:3]
	s_movk_i32 s4, 0x7f
	v_cmp_gt_i16_sdwa s[6:7], v17, s4 src0_sel:BYTE_3 src1_sel:DWORD
	s_mov_b64 s[4:5], 0
                                        ; implicit-def: $sgpr10
	s_and_saveexec_b64 s[8:9], s[6:7]
	s_xor_b64 s[6:7], exec, s[8:9]
	s_cbranch_execnz .LBB1_2425
; %bb.377:
	s_or_saveexec_b64 s[6:7], s[6:7]
	v_mov_b32_e32 v10, s10
	s_xor_b64 exec, exec, s[6:7]
	s_cbranch_execnz .LBB1_2428
.LBB1_378:
	s_or_b64 exec, exec, s[6:7]
	s_and_saveexec_b64 s[6:7], s[4:5]
	s_cbranch_execz .LBB1_380
.LBB1_379:
	v_bfe_u32 v10, v17, 24, 3
	v_ffbh_u32_e32 v15, v10
	v_min_u32_e32 v15, 32, v15
	v_lshrrev_b32_e32 v12, 27, v17
	v_subrev_u32_e32 v16, 28, v15
	v_and_b32_e32 v12, 15, v12
	v_lshlrev_b32_sdwa v16, v16, v17 dst_sel:DWORD dst_unused:UNUSED_PAD src0_sel:DWORD src1_sel:BYTE_3
	v_bfe_u32 v14, v17, 27, 4
	v_sub_u32_e32 v15, 29, v15
	v_and_b32_e32 v16, 7, v16
	v_cmp_eq_u16_e32 vcc, 0, v12
	v_cndmask_b32_e32 v10, v10, v16, vcc
	v_cndmask_b32_e32 v12, v14, v15, vcc
	v_mov_b32_e32 v14, 0x3b800000
	v_and_b32_e32 v11, 0x80000000, v17
	v_lshlrev_b32_e32 v10, 20, v10
	v_lshl_add_u32 v12, v12, 23, v14
	v_or3_b32 v10, v11, v12, v10
.LBB1_380:
	s_or_b64 exec, exec, s[6:7]
	s_movk_i32 s4, 0x7f
	v_cmp_gt_i16_sdwa s[6:7], v13, s4 src0_sel:BYTE_3 src1_sel:DWORD
	s_mov_b64 s[4:5], 0
                                        ; implicit-def: $sgpr10
	s_and_saveexec_b64 s[8:9], s[6:7]
	s_xor_b64 s[6:7], exec, s[8:9]
	s_cbranch_execnz .LBB1_2429
; %bb.381:
	s_or_saveexec_b64 s[6:7], s[6:7]
	v_mov_b32_e32 v11, s10
	s_xor_b64 exec, exec, s[6:7]
	s_cbranch_execnz .LBB1_2432
.LBB1_382:
	s_or_b64 exec, exec, s[6:7]
	s_and_saveexec_b64 s[6:7], s[4:5]
	s_cbranch_execz .LBB1_384
.LBB1_383:
	v_bfe_u32 v11, v13, 24, 3
	v_ffbh_u32_e32 v16, v11
	v_min_u32_e32 v16, 32, v16
	v_lshrrev_b32_e32 v14, 27, v13
	v_subrev_u32_e32 v17, 28, v16
	v_and_b32_e32 v12, 0x80000000, v13
	v_and_b32_e32 v14, 15, v14
	v_bfe_u32 v15, v13, 27, 4
	v_lshlrev_b32_sdwa v13, v17, v13 dst_sel:DWORD dst_unused:UNUSED_PAD src0_sel:DWORD src1_sel:BYTE_3
	v_sub_u32_e32 v16, 29, v16
	v_and_b32_e32 v13, 7, v13
	v_cmp_eq_u16_e32 vcc, 0, v14
	v_cndmask_b32_e32 v11, v11, v13, vcc
	v_cndmask_b32_e32 v13, v15, v16, vcc
	v_mov_b32_e32 v14, 0x3b800000
	v_lshlrev_b32_e32 v11, 20, v11
	v_lshl_add_u32 v13, v13, 23, v14
	v_or3_b32 v11, v12, v13, v11
.LBB1_384:
	s_or_b64 exec, exec, s[6:7]
	s_nop 0
	v_mfma_f32_16x16x4f32 a[0:3], v10, v11, a[0:3]
	s_movk_i32 s4, 0x7f
	v_cmp_gt_i16_sdwa s[6:7], v6, s4 src0_sel:BYTE_0 src1_sel:DWORD
	s_mov_b64 s[4:5], 0
                                        ; implicit-def: $sgpr10
	s_and_saveexec_b64 s[8:9], s[6:7]
	s_xor_b64 s[6:7], exec, s[8:9]
	s_cbranch_execnz .LBB1_2433
; %bb.385:
	s_or_saveexec_b64 s[6:7], s[6:7]
	v_mov_b32_e32 v10, s10
	s_xor_b64 exec, exec, s[6:7]
	s_cbranch_execnz .LBB1_2436
.LBB1_386:
	s_or_b64 exec, exec, s[6:7]
	s_and_saveexec_b64 s[6:7], s[4:5]
	s_cbranch_execz .LBB1_388
.LBB1_387:
	v_and_b32_e32 v10, 7, v6
	v_ffbh_u32_e32 v12, v10
	v_min_u32_e32 v12, 32, v12
	v_lshrrev_b16_e32 v11, 3, v6
	v_subrev_u32_e32 v13, 28, v12
	v_and_b32_e32 v11, 15, v11
	v_lshlrev_b32_e32 v13, v13, v6
	v_sub_u32_e32 v12, 29, v12
	v_and_b32_e32 v13, 7, v13
	v_cmp_eq_u16_e32 vcc, 0, v11
	v_cndmask_b32_e32 v10, v10, v13, vcc
	v_cndmask_b32_e32 v11, v11, v12, vcc
	v_lshlrev_b32_e32 v12, 24, v6
	v_mov_b32_e32 v13, 0x3b800000
	v_lshlrev_b32_e32 v10, 20, v10
	v_and_b32_e32 v12, 0x80000000, v12
	v_lshl_add_u32 v11, v11, 23, v13
	v_or3_b32 v10, v12, v11, v10
.LBB1_388:
	s_or_b64 exec, exec, s[6:7]
	s_movk_i32 s4, 0x7f
	v_cmp_gt_i16_sdwa s[6:7], v2, s4 src0_sel:BYTE_0 src1_sel:DWORD
	s_mov_b64 s[4:5], 0
                                        ; implicit-def: $sgpr10
	s_and_saveexec_b64 s[8:9], s[6:7]
	s_xor_b64 s[6:7], exec, s[8:9]
	s_cbranch_execnz .LBB1_2437
; %bb.389:
	s_or_saveexec_b64 s[6:7], s[6:7]
	v_mov_b32_e32 v11, s10
	s_xor_b64 exec, exec, s[6:7]
	s_cbranch_execnz .LBB1_2440
.LBB1_390:
	s_or_b64 exec, exec, s[6:7]
	s_and_saveexec_b64 s[6:7], s[4:5]
	s_cbranch_execz .LBB1_392
.LBB1_391:
	v_and_b32_e32 v11, 7, v2
	v_ffbh_u32_e32 v13, v11
	v_min_u32_e32 v13, 32, v13
	v_lshrrev_b16_e32 v12, 3, v2
	v_subrev_u32_e32 v14, 28, v13
	v_and_b32_e32 v12, 15, v12
	v_lshlrev_b32_e32 v14, v14, v2
	v_sub_u32_e32 v13, 29, v13
	v_and_b32_e32 v14, 7, v14
	v_cmp_eq_u16_e32 vcc, 0, v12
	v_cndmask_b32_e32 v11, v11, v14, vcc
	v_cndmask_b32_e32 v12, v12, v13, vcc
	v_lshlrev_b32_e32 v13, 24, v2
	v_mov_b32_e32 v14, 0x3b800000
	v_lshlrev_b32_e32 v11, 20, v11
	v_and_b32_e32 v13, 0x80000000, v13
	v_lshl_add_u32 v12, v12, 23, v14
	v_or3_b32 v11, v13, v12, v11
.LBB1_392:
	s_or_b64 exec, exec, s[6:7]
	s_nop 0
	v_mfma_f32_16x16x4f32 a[0:3], v10, v11, a[0:3]
	v_lshrrev_b32_e32 v11, 8, v6
	s_movk_i32 s4, 0x7f
	v_cmp_gt_i16_sdwa s[6:7], v11, s4 src0_sel:BYTE_0 src1_sel:DWORD
	s_mov_b64 s[4:5], 0
                                        ; implicit-def: $sgpr10
	s_and_saveexec_b64 s[8:9], s[6:7]
	s_xor_b64 s[6:7], exec, s[8:9]
	s_cbranch_execnz .LBB1_2441
; %bb.393:
	s_or_saveexec_b64 s[6:7], s[6:7]
	v_mov_b32_e32 v10, s10
	s_xor_b64 exec, exec, s[6:7]
	s_cbranch_execnz .LBB1_2444
.LBB1_394:
	s_or_b64 exec, exec, s[6:7]
	s_and_saveexec_b64 s[6:7], s[4:5]
	s_cbranch_execz .LBB1_396
.LBB1_395:
	v_bfe_u32 v10, v6, 8, 3
	v_ffbh_u32_e32 v13, v10
	v_min_u32_e32 v13, 32, v13
	v_lshrrev_b16_e32 v12, 3, v11
	v_subrev_u32_e32 v14, 28, v13
	v_and_b32_e32 v12, 15, v12
	v_lshlrev_b32_e32 v11, v14, v11
	v_sub_u32_e32 v13, 29, v13
	v_and_b32_e32 v11, 7, v11
	v_cmp_eq_u16_e32 vcc, 0, v12
	v_cndmask_b32_e32 v10, v10, v11, vcc
	v_cndmask_b32_e32 v11, v12, v13, vcc
	v_lshlrev_b32_e32 v12, 16, v6
	v_mov_b32_e32 v13, 0x3b800000
	v_lshlrev_b32_e32 v10, 20, v10
	v_and_b32_e32 v12, 0x80000000, v12
	v_lshl_add_u32 v11, v11, 23, v13
	v_or3_b32 v10, v12, v11, v10
.LBB1_396:
	s_or_b64 exec, exec, s[6:7]
	v_lshrrev_b32_e32 v11, 8, v2
	s_movk_i32 s4, 0x7f
	v_cmp_gt_i16_sdwa s[6:7], v11, s4 src0_sel:BYTE_0 src1_sel:DWORD
	s_mov_b64 s[4:5], 0
                                        ; implicit-def: $sgpr10
	s_and_saveexec_b64 s[8:9], s[6:7]
	s_xor_b64 s[6:7], exec, s[8:9]
	s_cbranch_execnz .LBB1_2445
; %bb.397:
	s_or_saveexec_b64 s[6:7], s[6:7]
	v_mov_b32_e32 v12, s10
	s_xor_b64 exec, exec, s[6:7]
	s_cbranch_execnz .LBB1_2448
.LBB1_398:
	s_or_b64 exec, exec, s[6:7]
	s_and_saveexec_b64 s[6:7], s[4:5]
	s_cbranch_execz .LBB1_400
.LBB1_399:
	v_bfe_u32 v12, v2, 8, 3
	v_ffbh_u32_e32 v14, v12
	v_min_u32_e32 v14, 32, v14
	v_lshrrev_b16_e32 v13, 3, v11
	v_subrev_u32_e32 v15, 28, v14
	v_and_b32_e32 v13, 15, v13
	v_lshlrev_b32_e32 v11, v15, v11
	v_sub_u32_e32 v14, 29, v14
	v_and_b32_e32 v11, 7, v11
	v_cmp_eq_u16_e32 vcc, 0, v13
	v_cndmask_b32_e32 v11, v12, v11, vcc
	v_cndmask_b32_e32 v12, v13, v14, vcc
	v_lshlrev_b32_e32 v13, 16, v2
	v_mov_b32_e32 v14, 0x3b800000
	v_lshlrev_b32_e32 v11, 20, v11
	v_and_b32_e32 v13, 0x80000000, v13
	v_lshl_add_u32 v12, v12, 23, v14
	v_or3_b32 v12, v13, v12, v11
.LBB1_400:
	s_or_b64 exec, exec, s[6:7]
	s_nop 0
	v_mfma_f32_16x16x4f32 a[0:3], v10, v12, a[0:3]
	s_movk_i32 s4, 0xff
	v_and_b32_sdwa v11, v6, s4 dst_sel:DWORD dst_unused:UNUSED_PAD src0_sel:WORD_1 src1_sel:DWORD
	s_movk_i32 s4, 0x7f
	v_cmp_lt_i16_e32 vcc, s4, v11
	s_mov_b64 s[4:5], 0
                                        ; implicit-def: $sgpr10
	s_and_saveexec_b64 s[6:7], vcc
	s_xor_b64 s[6:7], exec, s[6:7]
	s_cbranch_execnz .LBB1_2449
; %bb.401:
	s_or_saveexec_b64 s[6:7], s[6:7]
	v_mov_b32_e32 v10, s10
	s_xor_b64 exec, exec, s[6:7]
	s_cbranch_execnz .LBB1_2452
.LBB1_402:
	s_or_b64 exec, exec, s[6:7]
	s_and_saveexec_b64 s[6:7], s[4:5]
	s_cbranch_execz .LBB1_404
.LBB1_403:
	v_bfe_u32 v10, v6, 16, 3
	v_ffbh_u32_e32 v13, v10
	v_min_u32_e32 v13, 32, v13
	v_lshrrev_b32_e32 v11, 19, v6
	v_subrev_u32_e32 v14, 28, v13
	v_and_b32_e32 v11, 15, v11
	v_lshlrev_b32_sdwa v14, v14, v6 dst_sel:DWORD dst_unused:UNUSED_PAD src0_sel:DWORD src1_sel:WORD_1
	v_bfe_u32 v12, v6, 19, 4
	v_sub_u32_e32 v13, 29, v13
	v_and_b32_e32 v14, 7, v14
	v_cmp_eq_u16_e32 vcc, 0, v11
	v_cndmask_b32_e32 v10, v10, v14, vcc
	v_cndmask_b32_e32 v11, v12, v13, vcc
	v_lshlrev_b32_e32 v12, 8, v6
	v_mov_b32_e32 v13, 0x3b800000
	v_lshlrev_b32_e32 v10, 20, v10
	v_and_b32_e32 v12, 0x80000000, v12
	v_lshl_add_u32 v11, v11, 23, v13
	v_or3_b32 v10, v12, v11, v10
.LBB1_404:
	s_or_b64 exec, exec, s[6:7]
	s_movk_i32 s4, 0xff
	v_and_b32_sdwa v11, v2, s4 dst_sel:DWORD dst_unused:UNUSED_PAD src0_sel:WORD_1 src1_sel:DWORD
	s_movk_i32 s4, 0x7f
	v_cmp_lt_i16_e32 vcc, s4, v11
	s_mov_b64 s[4:5], 0
                                        ; implicit-def: $sgpr10
	s_and_saveexec_b64 s[6:7], vcc
	s_xor_b64 s[6:7], exec, s[6:7]
	s_cbranch_execnz .LBB1_2453
; %bb.405:
	s_or_saveexec_b64 s[6:7], s[6:7]
	v_mov_b32_e32 v12, s10
	s_xor_b64 exec, exec, s[6:7]
	s_cbranch_execnz .LBB1_2456
.LBB1_406:
	s_or_b64 exec, exec, s[6:7]
	s_and_saveexec_b64 s[6:7], s[4:5]
	s_cbranch_execz .LBB1_408
.LBB1_407:
	v_bfe_u32 v11, v2, 16, 3
	v_ffbh_u32_e32 v14, v11
	v_min_u32_e32 v14, 32, v14
	v_lshrrev_b32_e32 v12, 19, v2
	v_subrev_u32_e32 v15, 28, v14
	v_and_b32_e32 v12, 15, v12
	v_lshlrev_b32_sdwa v15, v15, v2 dst_sel:DWORD dst_unused:UNUSED_PAD src0_sel:DWORD src1_sel:WORD_1
	v_bfe_u32 v13, v2, 19, 4
	v_sub_u32_e32 v14, 29, v14
	v_and_b32_e32 v15, 7, v15
	v_cmp_eq_u16_e32 vcc, 0, v12
	v_cndmask_b32_e32 v11, v11, v15, vcc
	v_cndmask_b32_e32 v12, v13, v14, vcc
	v_lshlrev_b32_e32 v13, 8, v2
	v_mov_b32_e32 v14, 0x3b800000
	v_lshlrev_b32_e32 v11, 20, v11
	v_and_b32_e32 v13, 0x80000000, v13
	v_lshl_add_u32 v12, v12, 23, v14
	v_or3_b32 v12, v13, v12, v11
.LBB1_408:
	s_or_b64 exec, exec, s[6:7]
	s_nop 0
	v_mfma_f32_16x16x4f32 a[0:3], v10, v12, a[0:3]
	s_movk_i32 s4, 0x7f
	v_cmp_gt_i16_sdwa s[6:7], v6, s4 src0_sel:BYTE_3 src1_sel:DWORD
	s_mov_b64 s[4:5], 0
                                        ; implicit-def: $sgpr10
	s_and_saveexec_b64 s[8:9], s[6:7]
	s_xor_b64 s[6:7], exec, s[8:9]
	s_cbranch_execnz .LBB1_2457
; %bb.409:
	s_or_saveexec_b64 s[6:7], s[6:7]
	v_mov_b32_e32 v10, s10
	s_xor_b64 exec, exec, s[6:7]
	s_cbranch_execnz .LBB1_2460
.LBB1_410:
	s_or_b64 exec, exec, s[6:7]
	s_and_saveexec_b64 s[6:7], s[4:5]
	s_cbranch_execz .LBB1_412
.LBB1_411:
	v_bfe_u32 v10, v6, 24, 3
	v_ffbh_u32_e32 v14, v10
	v_min_u32_e32 v14, 32, v14
	v_lshrrev_b32_e32 v12, 27, v6
	v_subrev_u32_e32 v15, 28, v14
	v_and_b32_e32 v11, 0x80000000, v6
	v_and_b32_e32 v12, 15, v12
	v_bfe_u32 v13, v6, 27, 4
	v_lshlrev_b32_sdwa v6, v15, v6 dst_sel:DWORD dst_unused:UNUSED_PAD src0_sel:DWORD src1_sel:BYTE_3
	v_sub_u32_e32 v14, 29, v14
	v_and_b32_e32 v6, 7, v6
	v_cmp_eq_u16_e32 vcc, 0, v12
	v_cndmask_b32_e32 v6, v10, v6, vcc
	v_cndmask_b32_e32 v10, v13, v14, vcc
	v_mov_b32_e32 v12, 0x3b800000
	v_lshlrev_b32_e32 v6, 20, v6
	v_lshl_add_u32 v10, v10, 23, v12
	v_or3_b32 v10, v11, v10, v6
.LBB1_412:
	s_or_b64 exec, exec, s[6:7]
	s_movk_i32 s4, 0x7f
	v_cmp_gt_i16_sdwa s[6:7], v2, s4 src0_sel:BYTE_3 src1_sel:DWORD
	s_mov_b64 s[4:5], 0
                                        ; implicit-def: $sgpr10
	s_and_saveexec_b64 s[8:9], s[6:7]
	s_xor_b64 s[6:7], exec, s[8:9]
	s_cbranch_execnz .LBB1_2461
; %bb.413:
	s_or_saveexec_b64 s[6:7], s[6:7]
	v_mov_b32_e32 v6, s10
	s_xor_b64 exec, exec, s[6:7]
	s_cbranch_execnz .LBB1_2464
.LBB1_414:
	s_or_b64 exec, exec, s[6:7]
	s_and_saveexec_b64 s[6:7], s[4:5]
	s_cbranch_execz .LBB1_416
.LBB1_415:
	v_bfe_u32 v6, v2, 24, 3
	v_ffbh_u32_e32 v14, v6
	v_min_u32_e32 v14, 32, v14
	v_lshrrev_b32_e32 v12, 27, v2
	v_subrev_u32_e32 v15, 28, v14
	v_and_b32_e32 v11, 0x80000000, v2
	v_and_b32_e32 v12, 15, v12
	v_bfe_u32 v13, v2, 27, 4
	v_lshlrev_b32_sdwa v2, v15, v2 dst_sel:DWORD dst_unused:UNUSED_PAD src0_sel:DWORD src1_sel:BYTE_3
	v_sub_u32_e32 v14, 29, v14
	v_and_b32_e32 v2, 7, v2
	v_cmp_eq_u16_e32 vcc, 0, v12
	v_cndmask_b32_e32 v2, v6, v2, vcc
	v_cndmask_b32_e32 v6, v13, v14, vcc
	v_mov_b32_e32 v12, 0x3b800000
	v_lshlrev_b32_e32 v2, 20, v2
	v_lshl_add_u32 v6, v6, 23, v12
	v_or3_b32 v6, v11, v6, v2
.LBB1_416:
	s_or_b64 exec, exec, s[6:7]
	s_nop 0
	v_mfma_f32_16x16x4f32 a[0:3], v10, v6, a[0:3]
	s_movk_i32 s4, 0x7f
	v_cmp_gt_i16_sdwa s[6:7], v7, s4 src0_sel:BYTE_0 src1_sel:DWORD
	s_mov_b64 s[4:5], 0
                                        ; implicit-def: $sgpr10
	s_and_saveexec_b64 s[8:9], s[6:7]
	s_xor_b64 s[6:7], exec, s[8:9]
	s_cbranch_execnz .LBB1_2465
; %bb.417:
	s_or_saveexec_b64 s[6:7], s[6:7]
	v_mov_b32_e32 v2, s10
	s_xor_b64 exec, exec, s[6:7]
	s_cbranch_execnz .LBB1_2468
.LBB1_418:
	s_or_b64 exec, exec, s[6:7]
	s_and_saveexec_b64 s[6:7], s[4:5]
	s_cbranch_execz .LBB1_420
.LBB1_419:
	v_and_b32_e32 v2, 7, v7
	v_ffbh_u32_e32 v10, v2
	v_min_u32_e32 v10, 32, v10
	v_lshrrev_b16_e32 v6, 3, v7
	v_subrev_u32_e32 v11, 28, v10
	v_and_b32_e32 v6, 15, v6
	v_lshlrev_b32_e32 v11, v11, v7
	v_sub_u32_e32 v10, 29, v10
	v_and_b32_e32 v11, 7, v11
	v_cmp_eq_u16_e32 vcc, 0, v6
	v_cndmask_b32_e32 v2, v2, v11, vcc
	v_cndmask_b32_e32 v6, v6, v10, vcc
	v_lshlrev_b32_e32 v10, 24, v7
	v_mov_b32_e32 v11, 0x3b800000
	v_lshlrev_b32_e32 v2, 20, v2
	v_and_b32_e32 v10, 0x80000000, v10
	v_lshl_add_u32 v6, v6, 23, v11
	v_or3_b32 v2, v10, v6, v2
.LBB1_420:
	s_or_b64 exec, exec, s[6:7]
	s_movk_i32 s4, 0x7f
	v_cmp_gt_i16_sdwa s[6:7], v3, s4 src0_sel:BYTE_0 src1_sel:DWORD
	s_mov_b64 s[4:5], 0
                                        ; implicit-def: $sgpr10
	s_and_saveexec_b64 s[8:9], s[6:7]
	s_xor_b64 s[6:7], exec, s[8:9]
	s_cbranch_execnz .LBB1_2469
; %bb.421:
	s_or_saveexec_b64 s[6:7], s[6:7]
	v_mov_b32_e32 v6, s10
	s_xor_b64 exec, exec, s[6:7]
	s_cbranch_execnz .LBB1_2472
.LBB1_422:
	s_or_b64 exec, exec, s[6:7]
	s_and_saveexec_b64 s[6:7], s[4:5]
	s_cbranch_execz .LBB1_424
.LBB1_423:
	v_and_b32_e32 v6, 7, v3
	v_ffbh_u32_e32 v11, v6
	v_min_u32_e32 v11, 32, v11
	v_lshrrev_b16_e32 v10, 3, v3
	v_subrev_u32_e32 v12, 28, v11
	v_and_b32_e32 v10, 15, v10
	v_lshlrev_b32_e32 v12, v12, v3
	v_sub_u32_e32 v11, 29, v11
	v_and_b32_e32 v12, 7, v12
	v_cmp_eq_u16_e32 vcc, 0, v10
	v_cndmask_b32_e32 v6, v6, v12, vcc
	v_cndmask_b32_e32 v10, v10, v11, vcc
	v_lshlrev_b32_e32 v11, 24, v3
	v_mov_b32_e32 v12, 0x3b800000
	v_lshlrev_b32_e32 v6, 20, v6
	v_and_b32_e32 v11, 0x80000000, v11
	v_lshl_add_u32 v10, v10, 23, v12
	v_or3_b32 v6, v11, v10, v6
.LBB1_424:
	s_or_b64 exec, exec, s[6:7]
	s_nop 0
	v_mfma_f32_16x16x4f32 a[0:3], v2, v6, a[0:3]
	v_lshrrev_b32_e32 v6, 8, v7
	s_movk_i32 s4, 0x7f
	v_cmp_gt_i16_sdwa s[6:7], v6, s4 src0_sel:BYTE_0 src1_sel:DWORD
	s_mov_b64 s[4:5], 0
                                        ; implicit-def: $sgpr10
	s_and_saveexec_b64 s[8:9], s[6:7]
	s_xor_b64 s[6:7], exec, s[8:9]
	s_cbranch_execnz .LBB1_2473
; %bb.425:
	s_or_saveexec_b64 s[6:7], s[6:7]
	v_mov_b32_e32 v2, s10
	s_xor_b64 exec, exec, s[6:7]
	s_cbranch_execnz .LBB1_2476
.LBB1_426:
	s_or_b64 exec, exec, s[6:7]
	s_and_saveexec_b64 s[6:7], s[4:5]
	s_cbranch_execz .LBB1_428
.LBB1_427:
	v_bfe_u32 v2, v7, 8, 3
	v_ffbh_u32_e32 v11, v2
	v_min_u32_e32 v11, 32, v11
	v_lshrrev_b16_e32 v10, 3, v6
	v_subrev_u32_e32 v12, 28, v11
	v_and_b32_e32 v10, 15, v10
	v_lshlrev_b32_e32 v6, v12, v6
	v_sub_u32_e32 v11, 29, v11
	v_and_b32_e32 v6, 7, v6
	v_cmp_eq_u16_e32 vcc, 0, v10
	v_cndmask_b32_e32 v2, v2, v6, vcc
	v_cndmask_b32_e32 v6, v10, v11, vcc
	v_lshlrev_b32_e32 v10, 16, v7
	v_mov_b32_e32 v11, 0x3b800000
	v_lshlrev_b32_e32 v2, 20, v2
	v_and_b32_e32 v10, 0x80000000, v10
	v_lshl_add_u32 v6, v6, 23, v11
	v_or3_b32 v2, v10, v6, v2
.LBB1_428:
	s_or_b64 exec, exec, s[6:7]
	v_lshrrev_b32_e32 v6, 8, v3
	s_movk_i32 s4, 0x7f
	v_cmp_gt_i16_sdwa s[6:7], v6, s4 src0_sel:BYTE_0 src1_sel:DWORD
	s_mov_b64 s[4:5], 0
                                        ; implicit-def: $sgpr10
	s_and_saveexec_b64 s[8:9], s[6:7]
	s_xor_b64 s[6:7], exec, s[8:9]
	s_cbranch_execnz .LBB1_2477
; %bb.429:
	s_or_saveexec_b64 s[6:7], s[6:7]
	v_mov_b32_e32 v10, s10
	s_xor_b64 exec, exec, s[6:7]
	s_cbranch_execnz .LBB1_2480
.LBB1_430:
	s_or_b64 exec, exec, s[6:7]
	s_and_saveexec_b64 s[6:7], s[4:5]
	s_cbranch_execz .LBB1_432
.LBB1_431:
	v_bfe_u32 v10, v3, 8, 3
	v_ffbh_u32_e32 v12, v10
	v_min_u32_e32 v12, 32, v12
	v_lshrrev_b16_e32 v11, 3, v6
	v_subrev_u32_e32 v13, 28, v12
	v_and_b32_e32 v11, 15, v11
	v_lshlrev_b32_e32 v6, v13, v6
	v_sub_u32_e32 v12, 29, v12
	v_and_b32_e32 v6, 7, v6
	v_cmp_eq_u16_e32 vcc, 0, v11
	v_cndmask_b32_e32 v6, v10, v6, vcc
	v_cndmask_b32_e32 v10, v11, v12, vcc
	v_lshlrev_b32_e32 v11, 16, v3
	v_mov_b32_e32 v12, 0x3b800000
	v_lshlrev_b32_e32 v6, 20, v6
	v_and_b32_e32 v11, 0x80000000, v11
	v_lshl_add_u32 v10, v10, 23, v12
	v_or3_b32 v10, v11, v10, v6
.LBB1_432:
	s_or_b64 exec, exec, s[6:7]
	s_nop 0
	v_mfma_f32_16x16x4f32 a[0:3], v2, v10, a[0:3]
	s_movk_i32 s4, 0xff
	v_and_b32_sdwa v6, v7, s4 dst_sel:DWORD dst_unused:UNUSED_PAD src0_sel:WORD_1 src1_sel:DWORD
	s_movk_i32 s4, 0x7f
	v_cmp_lt_i16_e32 vcc, s4, v6
	s_mov_b64 s[4:5], 0
                                        ; implicit-def: $sgpr10
	s_and_saveexec_b64 s[6:7], vcc
	s_xor_b64 s[6:7], exec, s[6:7]
	s_cbranch_execnz .LBB1_2481
; %bb.433:
	s_or_saveexec_b64 s[6:7], s[6:7]
	v_mov_b32_e32 v2, s10
	s_xor_b64 exec, exec, s[6:7]
	s_cbranch_execnz .LBB1_2484
.LBB1_434:
	s_or_b64 exec, exec, s[6:7]
	s_and_saveexec_b64 s[6:7], s[4:5]
	s_cbranch_execz .LBB1_436
.LBB1_435:
	v_bfe_u32 v2, v7, 16, 3
	v_ffbh_u32_e32 v11, v2
	v_min_u32_e32 v11, 32, v11
	v_lshrrev_b32_e32 v6, 19, v7
	v_subrev_u32_e32 v12, 28, v11
	v_and_b32_e32 v6, 15, v6
	v_lshlrev_b32_sdwa v12, v12, v7 dst_sel:DWORD dst_unused:UNUSED_PAD src0_sel:DWORD src1_sel:WORD_1
	v_bfe_u32 v10, v7, 19, 4
	v_sub_u32_e32 v11, 29, v11
	v_and_b32_e32 v12, 7, v12
	v_cmp_eq_u16_e32 vcc, 0, v6
	v_cndmask_b32_e32 v2, v2, v12, vcc
	v_cndmask_b32_e32 v6, v10, v11, vcc
	v_lshlrev_b32_e32 v10, 8, v7
	v_mov_b32_e32 v11, 0x3b800000
	v_lshlrev_b32_e32 v2, 20, v2
	v_and_b32_e32 v10, 0x80000000, v10
	v_lshl_add_u32 v6, v6, 23, v11
	v_or3_b32 v2, v10, v6, v2
.LBB1_436:
	s_or_b64 exec, exec, s[6:7]
	s_movk_i32 s4, 0xff
	v_and_b32_sdwa v6, v3, s4 dst_sel:DWORD dst_unused:UNUSED_PAD src0_sel:WORD_1 src1_sel:DWORD
	s_movk_i32 s4, 0x7f
	v_cmp_lt_i16_e32 vcc, s4, v6
	s_mov_b64 s[4:5], 0
                                        ; implicit-def: $sgpr10
	s_and_saveexec_b64 s[6:7], vcc
	s_xor_b64 s[6:7], exec, s[6:7]
	s_cbranch_execnz .LBB1_2485
; %bb.437:
	s_or_saveexec_b64 s[6:7], s[6:7]
	v_mov_b32_e32 v10, s10
	s_xor_b64 exec, exec, s[6:7]
	s_cbranch_execnz .LBB1_2488
.LBB1_438:
	s_or_b64 exec, exec, s[6:7]
	s_and_saveexec_b64 s[6:7], s[4:5]
	s_cbranch_execz .LBB1_440
.LBB1_439:
	v_bfe_u32 v6, v3, 16, 3
	v_ffbh_u32_e32 v12, v6
	v_min_u32_e32 v12, 32, v12
	v_lshrrev_b32_e32 v10, 19, v3
	v_subrev_u32_e32 v13, 28, v12
	v_and_b32_e32 v10, 15, v10
	v_lshlrev_b32_sdwa v13, v13, v3 dst_sel:DWORD dst_unused:UNUSED_PAD src0_sel:DWORD src1_sel:WORD_1
	v_bfe_u32 v11, v3, 19, 4
	v_sub_u32_e32 v12, 29, v12
	v_and_b32_e32 v13, 7, v13
	v_cmp_eq_u16_e32 vcc, 0, v10
	v_cndmask_b32_e32 v6, v6, v13, vcc
	v_cndmask_b32_e32 v10, v11, v12, vcc
	v_lshlrev_b32_e32 v11, 8, v3
	v_mov_b32_e32 v12, 0x3b800000
	v_lshlrev_b32_e32 v6, 20, v6
	v_and_b32_e32 v11, 0x80000000, v11
	v_lshl_add_u32 v10, v10, 23, v12
	v_or3_b32 v10, v11, v10, v6
.LBB1_440:
	s_or_b64 exec, exec, s[6:7]
	s_nop 0
	v_mfma_f32_16x16x4f32 a[0:3], v2, v10, a[0:3]
	s_movk_i32 s4, 0x7f
	v_cmp_gt_i16_sdwa s[6:7], v7, s4 src0_sel:BYTE_3 src1_sel:DWORD
	s_mov_b64 s[4:5], 0
                                        ; implicit-def: $sgpr10
	s_and_saveexec_b64 s[8:9], s[6:7]
	s_xor_b64 s[6:7], exec, s[8:9]
	s_cbranch_execnz .LBB1_2489
; %bb.441:
	s_or_saveexec_b64 s[6:7], s[6:7]
	v_mov_b32_e32 v2, s10
	s_xor_b64 exec, exec, s[6:7]
	s_cbranch_execnz .LBB1_2492
.LBB1_442:
	s_or_b64 exec, exec, s[6:7]
	s_and_saveexec_b64 s[6:7], s[4:5]
	s_cbranch_execz .LBB1_444
.LBB1_443:
	v_bfe_u32 v2, v7, 24, 3
	v_ffbh_u32_e32 v12, v2
	v_min_u32_e32 v12, 32, v12
	v_lshrrev_b32_e32 v10, 27, v7
	v_subrev_u32_e32 v13, 28, v12
	v_and_b32_e32 v6, 0x80000000, v7
	v_and_b32_e32 v10, 15, v10
	v_bfe_u32 v11, v7, 27, 4
	v_lshlrev_b32_sdwa v7, v13, v7 dst_sel:DWORD dst_unused:UNUSED_PAD src0_sel:DWORD src1_sel:BYTE_3
	v_sub_u32_e32 v12, 29, v12
	v_and_b32_e32 v7, 7, v7
	v_cmp_eq_u16_e32 vcc, 0, v10
	v_cndmask_b32_e32 v2, v2, v7, vcc
	v_cndmask_b32_e32 v7, v11, v12, vcc
	v_mov_b32_e32 v10, 0x3b800000
	v_lshlrev_b32_e32 v2, 20, v2
	v_lshl_add_u32 v7, v7, 23, v10
	v_or3_b32 v2, v6, v7, v2
.LBB1_444:
	s_or_b64 exec, exec, s[6:7]
	s_movk_i32 s4, 0x7f
	v_cmp_gt_i16_sdwa s[6:7], v3, s4 src0_sel:BYTE_3 src1_sel:DWORD
	s_mov_b64 s[4:5], 0
                                        ; implicit-def: $sgpr10
	s_and_saveexec_b64 s[8:9], s[6:7]
	s_xor_b64 s[6:7], exec, s[8:9]
	s_cbranch_execnz .LBB1_2493
; %bb.445:
	s_or_saveexec_b64 s[6:7], s[6:7]
	v_mov_b32_e32 v6, s10
	s_xor_b64 exec, exec, s[6:7]
	s_cbranch_execnz .LBB1_2496
.LBB1_446:
	s_or_b64 exec, exec, s[6:7]
	s_and_saveexec_b64 s[6:7], s[4:5]
	s_cbranch_execz .LBB1_448
.LBB1_447:
	v_bfe_u32 v6, v3, 24, 3
	v_ffbh_u32_e32 v12, v6
	v_min_u32_e32 v12, 32, v12
	v_lshrrev_b32_e32 v10, 27, v3
	v_subrev_u32_e32 v13, 28, v12
	v_and_b32_e32 v7, 0x80000000, v3
	v_and_b32_e32 v10, 15, v10
	v_bfe_u32 v11, v3, 27, 4
	v_lshlrev_b32_sdwa v3, v13, v3 dst_sel:DWORD dst_unused:UNUSED_PAD src0_sel:DWORD src1_sel:BYTE_3
	v_sub_u32_e32 v12, 29, v12
	v_and_b32_e32 v3, 7, v3
	v_cmp_eq_u16_e32 vcc, 0, v10
	v_cndmask_b32_e32 v3, v6, v3, vcc
	v_cndmask_b32_e32 v6, v11, v12, vcc
	v_mov_b32_e32 v10, 0x3b800000
	v_lshlrev_b32_e32 v3, 20, v3
	v_lshl_add_u32 v6, v6, 23, v10
	v_or3_b32 v6, v7, v6, v3
.LBB1_448:
	s_or_b64 exec, exec, s[6:7]
	s_nop 0
	v_mfma_f32_16x16x4f32 a[0:3], v2, v6, a[0:3]
	s_movk_i32 s4, 0x7f
	v_cmp_gt_i16_sdwa s[6:7], v8, s4 src0_sel:BYTE_0 src1_sel:DWORD
	s_mov_b64 s[4:5], 0
                                        ; implicit-def: $sgpr10
	s_and_saveexec_b64 s[8:9], s[6:7]
	s_xor_b64 s[6:7], exec, s[8:9]
	s_cbranch_execnz .LBB1_2497
; %bb.449:
	s_or_saveexec_b64 s[6:7], s[6:7]
	v_mov_b32_e32 v2, s10
	s_xor_b64 exec, exec, s[6:7]
	s_cbranch_execnz .LBB1_2500
.LBB1_450:
	s_or_b64 exec, exec, s[6:7]
	s_and_saveexec_b64 s[6:7], s[4:5]
	s_cbranch_execz .LBB1_452
.LBB1_451:
	v_and_b32_e32 v2, 7, v8
	v_ffbh_u32_e32 v6, v2
	v_min_u32_e32 v6, 32, v6
	v_lshrrev_b16_e32 v3, 3, v8
	v_subrev_u32_e32 v7, 28, v6
	v_and_b32_e32 v3, 15, v3
	v_lshlrev_b32_e32 v7, v7, v8
	v_sub_u32_e32 v6, 29, v6
	v_and_b32_e32 v7, 7, v7
	v_cmp_eq_u16_e32 vcc, 0, v3
	v_cndmask_b32_e32 v2, v2, v7, vcc
	v_cndmask_b32_e32 v3, v3, v6, vcc
	v_lshlrev_b32_e32 v6, 24, v8
	v_mov_b32_e32 v7, 0x3b800000
	v_lshlrev_b32_e32 v2, 20, v2
	v_and_b32_e32 v6, 0x80000000, v6
	v_lshl_add_u32 v3, v3, 23, v7
	v_or3_b32 v2, v6, v3, v2
.LBB1_452:
	s_or_b64 exec, exec, s[6:7]
	s_movk_i32 s4, 0x7f
	v_cmp_gt_i16_sdwa s[6:7], v4, s4 src0_sel:BYTE_0 src1_sel:DWORD
	s_mov_b64 s[4:5], 0
                                        ; implicit-def: $sgpr10
	s_and_saveexec_b64 s[8:9], s[6:7]
	s_xor_b64 s[6:7], exec, s[8:9]
	s_cbranch_execnz .LBB1_2501
; %bb.453:
	s_or_saveexec_b64 s[6:7], s[6:7]
	v_mov_b32_e32 v3, s10
	s_xor_b64 exec, exec, s[6:7]
	s_cbranch_execnz .LBB1_2504
.LBB1_454:
	s_or_b64 exec, exec, s[6:7]
	s_and_saveexec_b64 s[6:7], s[4:5]
	s_cbranch_execz .LBB1_456
.LBB1_455:
	v_and_b32_e32 v3, 7, v4
	v_ffbh_u32_e32 v7, v3
	v_min_u32_e32 v7, 32, v7
	v_lshrrev_b16_e32 v6, 3, v4
	v_subrev_u32_e32 v10, 28, v7
	v_and_b32_e32 v6, 15, v6
	v_lshlrev_b32_e32 v10, v10, v4
	v_sub_u32_e32 v7, 29, v7
	v_and_b32_e32 v10, 7, v10
	v_cmp_eq_u16_e32 vcc, 0, v6
	v_cndmask_b32_e32 v3, v3, v10, vcc
	v_cndmask_b32_e32 v6, v6, v7, vcc
	v_lshlrev_b32_e32 v7, 24, v4
	v_mov_b32_e32 v10, 0x3b800000
	v_lshlrev_b32_e32 v3, 20, v3
	v_and_b32_e32 v7, 0x80000000, v7
	v_lshl_add_u32 v6, v6, 23, v10
	v_or3_b32 v3, v7, v6, v3
.LBB1_456:
	s_or_b64 exec, exec, s[6:7]
	s_nop 0
	v_mfma_f32_16x16x4f32 a[0:3], v2, v3, a[0:3]
	v_lshrrev_b32_e32 v3, 8, v8
	s_movk_i32 s4, 0x7f
	v_cmp_gt_i16_sdwa s[6:7], v3, s4 src0_sel:BYTE_0 src1_sel:DWORD
	s_mov_b64 s[4:5], 0
                                        ; implicit-def: $sgpr10
	s_and_saveexec_b64 s[8:9], s[6:7]
	s_xor_b64 s[6:7], exec, s[8:9]
	s_cbranch_execnz .LBB1_2505
; %bb.457:
	s_or_saveexec_b64 s[6:7], s[6:7]
	v_mov_b32_e32 v2, s10
	s_xor_b64 exec, exec, s[6:7]
	s_cbranch_execnz .LBB1_2508
.LBB1_458:
	s_or_b64 exec, exec, s[6:7]
	s_and_saveexec_b64 s[6:7], s[4:5]
	s_cbranch_execz .LBB1_460
.LBB1_459:
	v_bfe_u32 v2, v8, 8, 3
	v_ffbh_u32_e32 v7, v2
	v_min_u32_e32 v7, 32, v7
	v_lshrrev_b16_e32 v6, 3, v3
	v_subrev_u32_e32 v10, 28, v7
	v_and_b32_e32 v6, 15, v6
	v_lshlrev_b32_e32 v3, v10, v3
	v_sub_u32_e32 v7, 29, v7
	v_and_b32_e32 v3, 7, v3
	v_cmp_eq_u16_e32 vcc, 0, v6
	v_cndmask_b32_e32 v2, v2, v3, vcc
	v_cndmask_b32_e32 v3, v6, v7, vcc
	v_lshlrev_b32_e32 v6, 16, v8
	v_mov_b32_e32 v7, 0x3b800000
	v_lshlrev_b32_e32 v2, 20, v2
	v_and_b32_e32 v6, 0x80000000, v6
	v_lshl_add_u32 v3, v3, 23, v7
	v_or3_b32 v2, v6, v3, v2
.LBB1_460:
	s_or_b64 exec, exec, s[6:7]
	v_lshrrev_b32_e32 v3, 8, v4
	s_movk_i32 s4, 0x7f
	v_cmp_gt_i16_sdwa s[6:7], v3, s4 src0_sel:BYTE_0 src1_sel:DWORD
	s_mov_b64 s[4:5], 0
                                        ; implicit-def: $sgpr10
	s_and_saveexec_b64 s[8:9], s[6:7]
	s_xor_b64 s[6:7], exec, s[8:9]
	s_cbranch_execnz .LBB1_2509
; %bb.461:
	s_or_saveexec_b64 s[6:7], s[6:7]
	v_mov_b32_e32 v6, s10
	s_xor_b64 exec, exec, s[6:7]
	s_cbranch_execnz .LBB1_2512
.LBB1_462:
	s_or_b64 exec, exec, s[6:7]
	s_and_saveexec_b64 s[6:7], s[4:5]
	s_cbranch_execz .LBB1_464
.LBB1_463:
	v_bfe_u32 v6, v4, 8, 3
	v_ffbh_u32_e32 v10, v6
	v_min_u32_e32 v10, 32, v10
	v_lshrrev_b16_e32 v7, 3, v3
	v_subrev_u32_e32 v11, 28, v10
	v_and_b32_e32 v7, 15, v7
	v_lshlrev_b32_e32 v3, v11, v3
	v_sub_u32_e32 v10, 29, v10
	v_and_b32_e32 v3, 7, v3
	v_cmp_eq_u16_e32 vcc, 0, v7
	v_cndmask_b32_e32 v3, v6, v3, vcc
	v_cndmask_b32_e32 v6, v7, v10, vcc
	v_lshlrev_b32_e32 v7, 16, v4
	v_mov_b32_e32 v10, 0x3b800000
	v_lshlrev_b32_e32 v3, 20, v3
	v_and_b32_e32 v7, 0x80000000, v7
	v_lshl_add_u32 v6, v6, 23, v10
	v_or3_b32 v6, v7, v6, v3
.LBB1_464:
	s_or_b64 exec, exec, s[6:7]
	s_nop 0
	v_mfma_f32_16x16x4f32 a[0:3], v2, v6, a[0:3]
	s_movk_i32 s4, 0xff
	v_and_b32_sdwa v3, v8, s4 dst_sel:DWORD dst_unused:UNUSED_PAD src0_sel:WORD_1 src1_sel:DWORD
	s_movk_i32 s4, 0x7f
	v_cmp_lt_i16_e32 vcc, s4, v3
	s_mov_b64 s[4:5], 0
                                        ; implicit-def: $sgpr10
	s_and_saveexec_b64 s[6:7], vcc
	s_xor_b64 s[6:7], exec, s[6:7]
	s_cbranch_execnz .LBB1_2513
; %bb.465:
	s_or_saveexec_b64 s[6:7], s[6:7]
	v_mov_b32_e32 v2, s10
	s_xor_b64 exec, exec, s[6:7]
	s_cbranch_execnz .LBB1_2516
.LBB1_466:
	s_or_b64 exec, exec, s[6:7]
	s_and_saveexec_b64 s[6:7], s[4:5]
	s_cbranch_execz .LBB1_468
.LBB1_467:
	v_bfe_u32 v2, v8, 16, 3
	v_ffbh_u32_e32 v7, v2
	v_min_u32_e32 v7, 32, v7
	v_lshrrev_b32_e32 v3, 19, v8
	v_subrev_u32_e32 v10, 28, v7
	v_and_b32_e32 v3, 15, v3
	v_lshlrev_b32_sdwa v10, v10, v8 dst_sel:DWORD dst_unused:UNUSED_PAD src0_sel:DWORD src1_sel:WORD_1
	v_bfe_u32 v6, v8, 19, 4
	v_sub_u32_e32 v7, 29, v7
	v_and_b32_e32 v10, 7, v10
	v_cmp_eq_u16_e32 vcc, 0, v3
	v_cndmask_b32_e32 v2, v2, v10, vcc
	v_cndmask_b32_e32 v3, v6, v7, vcc
	v_lshlrev_b32_e32 v6, 8, v8
	v_mov_b32_e32 v7, 0x3b800000
	v_lshlrev_b32_e32 v2, 20, v2
	v_and_b32_e32 v6, 0x80000000, v6
	v_lshl_add_u32 v3, v3, 23, v7
	v_or3_b32 v2, v6, v3, v2
.LBB1_468:
	s_or_b64 exec, exec, s[6:7]
	s_movk_i32 s4, 0xff
	v_and_b32_sdwa v3, v4, s4 dst_sel:DWORD dst_unused:UNUSED_PAD src0_sel:WORD_1 src1_sel:DWORD
	s_movk_i32 s4, 0x7f
	v_cmp_lt_i16_e32 vcc, s4, v3
	s_mov_b64 s[4:5], 0
                                        ; implicit-def: $sgpr10
	s_and_saveexec_b64 s[6:7], vcc
	s_xor_b64 s[6:7], exec, s[6:7]
	s_cbranch_execnz .LBB1_2517
; %bb.469:
	s_or_saveexec_b64 s[6:7], s[6:7]
	v_mov_b32_e32 v6, s10
	s_xor_b64 exec, exec, s[6:7]
	s_cbranch_execnz .LBB1_2520
.LBB1_470:
	s_or_b64 exec, exec, s[6:7]
	s_and_saveexec_b64 s[6:7], s[4:5]
	s_cbranch_execz .LBB1_472
.LBB1_471:
	v_bfe_u32 v3, v4, 16, 3
	v_ffbh_u32_e32 v10, v3
	v_min_u32_e32 v10, 32, v10
	v_lshrrev_b32_e32 v6, 19, v4
	v_subrev_u32_e32 v11, 28, v10
	v_and_b32_e32 v6, 15, v6
	v_lshlrev_b32_sdwa v11, v11, v4 dst_sel:DWORD dst_unused:UNUSED_PAD src0_sel:DWORD src1_sel:WORD_1
	v_bfe_u32 v7, v4, 19, 4
	v_sub_u32_e32 v10, 29, v10
	v_and_b32_e32 v11, 7, v11
	v_cmp_eq_u16_e32 vcc, 0, v6
	v_cndmask_b32_e32 v3, v3, v11, vcc
	v_cndmask_b32_e32 v6, v7, v10, vcc
	v_lshlrev_b32_e32 v7, 8, v4
	v_mov_b32_e32 v10, 0x3b800000
	v_lshlrev_b32_e32 v3, 20, v3
	v_and_b32_e32 v7, 0x80000000, v7
	v_lshl_add_u32 v6, v6, 23, v10
	v_or3_b32 v6, v7, v6, v3
.LBB1_472:
	s_or_b64 exec, exec, s[6:7]
	s_nop 0
	v_mfma_f32_16x16x4f32 a[0:3], v2, v6, a[0:3]
	s_movk_i32 s4, 0x7f
	v_cmp_gt_i16_sdwa s[6:7], v8, s4 src0_sel:BYTE_3 src1_sel:DWORD
	s_mov_b64 s[4:5], 0
                                        ; implicit-def: $sgpr10
	s_and_saveexec_b64 s[8:9], s[6:7]
	s_xor_b64 s[6:7], exec, s[8:9]
	s_cbranch_execnz .LBB1_2521
; %bb.473:
	s_or_saveexec_b64 s[6:7], s[6:7]
	v_mov_b32_e32 v2, s10
	s_xor_b64 exec, exec, s[6:7]
	s_cbranch_execnz .LBB1_2524
.LBB1_474:
	s_or_b64 exec, exec, s[6:7]
	s_and_saveexec_b64 s[6:7], s[4:5]
	s_cbranch_execz .LBB1_476
.LBB1_475:
	v_bfe_u32 v2, v8, 24, 3
	v_ffbh_u32_e32 v10, v2
	v_min_u32_e32 v10, 32, v10
	v_lshrrev_b32_e32 v6, 27, v8
	v_subrev_u32_e32 v11, 28, v10
	v_and_b32_e32 v3, 0x80000000, v8
	v_and_b32_e32 v6, 15, v6
	v_bfe_u32 v7, v8, 27, 4
	v_lshlrev_b32_sdwa v8, v11, v8 dst_sel:DWORD dst_unused:UNUSED_PAD src0_sel:DWORD src1_sel:BYTE_3
	v_sub_u32_e32 v10, 29, v10
	v_and_b32_e32 v8, 7, v8
	v_cmp_eq_u16_e32 vcc, 0, v6
	v_cndmask_b32_e32 v2, v2, v8, vcc
	v_cndmask_b32_e32 v6, v7, v10, vcc
	v_mov_b32_e32 v7, 0x3b800000
	v_lshlrev_b32_e32 v2, 20, v2
	v_lshl_add_u32 v6, v6, 23, v7
	v_or3_b32 v2, v3, v6, v2
.LBB1_476:
	s_or_b64 exec, exec, s[6:7]
	s_movk_i32 s4, 0x7f
	v_cmp_gt_i16_sdwa s[6:7], v4, s4 src0_sel:BYTE_3 src1_sel:DWORD
	s_mov_b64 s[4:5], 0
                                        ; implicit-def: $sgpr10
	s_and_saveexec_b64 s[8:9], s[6:7]
	s_xor_b64 s[6:7], exec, s[8:9]
	s_cbranch_execnz .LBB1_2525
; %bb.477:
	s_or_saveexec_b64 s[6:7], s[6:7]
	v_mov_b32_e32 v3, s10
	s_xor_b64 exec, exec, s[6:7]
	s_cbranch_execnz .LBB1_2528
.LBB1_478:
	s_or_b64 exec, exec, s[6:7]
	s_and_saveexec_b64 s[6:7], s[4:5]
	s_cbranch_execz .LBB1_480
.LBB1_479:
	v_bfe_u32 v3, v4, 24, 3
	v_ffbh_u32_e32 v10, v3
	v_min_u32_e32 v10, 32, v10
	v_lshrrev_b32_e32 v7, 27, v4
	v_subrev_u32_e32 v11, 28, v10
	v_and_b32_e32 v6, 0x80000000, v4
	v_and_b32_e32 v7, 15, v7
	v_bfe_u32 v8, v4, 27, 4
	v_lshlrev_b32_sdwa v4, v11, v4 dst_sel:DWORD dst_unused:UNUSED_PAD src0_sel:DWORD src1_sel:BYTE_3
	v_sub_u32_e32 v10, 29, v10
	v_and_b32_e32 v4, 7, v4
	v_cmp_eq_u16_e32 vcc, 0, v7
	v_cndmask_b32_e32 v3, v3, v4, vcc
	v_cndmask_b32_e32 v4, v8, v10, vcc
	v_mov_b32_e32 v7, 0x3b800000
	v_lshlrev_b32_e32 v3, 20, v3
	v_lshl_add_u32 v4, v4, 23, v7
	v_or3_b32 v3, v6, v4, v3
.LBB1_480:
	s_or_b64 exec, exec, s[6:7]
	s_nop 0
	v_mfma_f32_16x16x4f32 a[0:3], v2, v3, a[0:3]
	s_movk_i32 s4, 0x7f
	v_cmp_gt_i16_sdwa s[6:7], v9, s4 src0_sel:BYTE_0 src1_sel:DWORD
	s_mov_b64 s[4:5], 0
                                        ; implicit-def: $sgpr10
	s_and_saveexec_b64 s[8:9], s[6:7]
	s_xor_b64 s[6:7], exec, s[8:9]
	s_cbranch_execnz .LBB1_2529
; %bb.481:
	s_or_saveexec_b64 s[6:7], s[6:7]
	v_mov_b32_e32 v2, s10
	s_xor_b64 exec, exec, s[6:7]
	s_cbranch_execnz .LBB1_2532
.LBB1_482:
	s_or_b64 exec, exec, s[6:7]
	s_and_saveexec_b64 s[6:7], s[4:5]
	s_cbranch_execz .LBB1_484
.LBB1_483:
	v_mov_b32_e32 v2, 8
	v_and_b32_e32 v3, 7, v9
	v_lshrrev_b32_sdwa v2, v2, v9 dst_sel:BYTE_1 dst_unused:UNUSED_PAD src0_sel:DWORD src1_sel:DWORD
	v_ffbh_u32_e32 v4, v3
	v_or_b32_sdwa v2, v9, v2 dst_sel:DWORD dst_unused:UNUSED_PAD src0_sel:BYTE_0 src1_sel:DWORD
	v_min_u32_e32 v4, 32, v4
	v_lshrrev_b16_e32 v2, 3, v2
	v_subrev_u32_e32 v6, 28, v4
	v_and_b32_e32 v2, 15, v2
	v_lshlrev_b32_e32 v6, v6, v9
	v_sub_u32_e32 v4, 29, v4
	v_and_b32_e32 v6, 7, v6
	v_cmp_eq_u16_e32 vcc, 0, v2
	v_cndmask_b32_e32 v3, v3, v6, vcc
	v_cndmask_b32_e32 v2, v2, v4, vcc
	v_lshlrev_b32_e32 v4, 24, v9
	v_mov_b32_e32 v6, 0x3b800000
	v_lshlrev_b32_e32 v3, 20, v3
	v_and_b32_e32 v4, 0x80000000, v4
	v_lshl_add_u32 v2, v2, 23, v6
	v_or3_b32 v2, v4, v2, v3
.LBB1_484:
	s_or_b64 exec, exec, s[6:7]
	s_movk_i32 s4, 0x7f
	v_cmp_gt_i16_sdwa s[6:7], v5, s4 src0_sel:BYTE_0 src1_sel:DWORD
	s_mov_b64 s[4:5], 0
                                        ; implicit-def: $sgpr10
	s_and_saveexec_b64 s[8:9], s[6:7]
	s_xor_b64 s[6:7], exec, s[8:9]
	s_cbranch_execnz .LBB1_2533
; %bb.485:
	s_or_saveexec_b64 s[6:7], s[6:7]
	v_mov_b32_e32 v3, s10
	s_xor_b64 exec, exec, s[6:7]
	s_cbranch_execnz .LBB1_2536
.LBB1_486:
	s_or_b64 exec, exec, s[6:7]
	s_and_saveexec_b64 s[6:7], s[4:5]
	s_cbranch_execz .LBB1_488
.LBB1_487:
	v_mov_b32_e32 v3, 8
	v_and_b32_e32 v4, 7, v5
	v_lshrrev_b32_sdwa v3, v3, v5 dst_sel:BYTE_1 dst_unused:UNUSED_PAD src0_sel:DWORD src1_sel:DWORD
	v_ffbh_u32_e32 v6, v4
	v_or_b32_sdwa v3, v5, v3 dst_sel:DWORD dst_unused:UNUSED_PAD src0_sel:BYTE_0 src1_sel:DWORD
	v_min_u32_e32 v6, 32, v6
	v_lshrrev_b16_e32 v3, 3, v3
	v_subrev_u32_e32 v7, 28, v6
	v_and_b32_e32 v3, 15, v3
	v_lshlrev_b32_e32 v7, v7, v5
	v_sub_u32_e32 v6, 29, v6
	v_and_b32_e32 v7, 7, v7
	v_cmp_eq_u16_e32 vcc, 0, v3
	v_cndmask_b32_e32 v4, v4, v7, vcc
	v_cndmask_b32_e32 v3, v3, v6, vcc
	v_lshlrev_b32_e32 v6, 24, v5
	v_mov_b32_e32 v7, 0x3b800000
	v_lshlrev_b32_e32 v4, 20, v4
	v_and_b32_e32 v6, 0x80000000, v6
	v_lshl_add_u32 v3, v3, 23, v7
	v_or3_b32 v3, v6, v3, v4
.LBB1_488:
	s_or_b64 exec, exec, s[6:7]
	s_nop 0
	v_mfma_f32_16x16x4f32 a[0:3], v2, v3, a[0:3]
	v_lshrrev_b32_e32 v3, 8, v9
	s_movk_i32 s4, 0x7f
	v_cmp_gt_i16_sdwa s[6:7], v3, s4 src0_sel:BYTE_0 src1_sel:DWORD
	s_mov_b64 s[4:5], 0
                                        ; implicit-def: $sgpr10
	s_and_saveexec_b64 s[8:9], s[6:7]
	s_xor_b64 s[6:7], exec, s[8:9]
	s_cbranch_execnz .LBB1_2537
; %bb.489:
	s_or_saveexec_b64 s[6:7], s[6:7]
	v_mov_b32_e32 v2, s10
	s_xor_b64 exec, exec, s[6:7]
	s_cbranch_execnz .LBB1_2540
.LBB1_490:
	s_or_b64 exec, exec, s[6:7]
	s_and_saveexec_b64 s[6:7], s[4:5]
	s_cbranch_execz .LBB1_492
.LBB1_491:
	v_bfe_u32 v2, v9, 8, 3
	v_ffbh_u32_e32 v6, v2
	v_min_u32_e32 v6, 32, v6
	v_lshrrev_b16_e32 v4, 3, v3
	v_subrev_u32_e32 v7, 28, v6
	v_and_b32_e32 v4, 15, v4
	v_lshlrev_b32_e32 v3, v7, v3
	v_sub_u32_e32 v6, 29, v6
	v_and_b32_e32 v3, 7, v3
	v_cmp_eq_u16_e32 vcc, 0, v4
	v_cndmask_b32_e32 v2, v2, v3, vcc
	v_cndmask_b32_e32 v3, v4, v6, vcc
	v_lshlrev_b32_e32 v4, 16, v9
	v_mov_b32_e32 v6, 0x3b800000
	v_lshlrev_b32_e32 v2, 20, v2
	v_and_b32_e32 v4, 0x80000000, v4
	v_lshl_add_u32 v3, v3, 23, v6
	v_or3_b32 v2, v4, v3, v2
.LBB1_492:
	s_or_b64 exec, exec, s[6:7]
	v_lshrrev_b32_e32 v3, 8, v5
	s_movk_i32 s4, 0x7f
	v_cmp_gt_i16_sdwa s[6:7], v3, s4 src0_sel:BYTE_0 src1_sel:DWORD
	s_mov_b64 s[4:5], 0
                                        ; implicit-def: $sgpr10
	s_and_saveexec_b64 s[8:9], s[6:7]
	s_xor_b64 s[6:7], exec, s[8:9]
	s_cbranch_execnz .LBB1_2541
; %bb.493:
	s_or_saveexec_b64 s[6:7], s[6:7]
	v_mov_b32_e32 v4, s10
	s_xor_b64 exec, exec, s[6:7]
	s_cbranch_execnz .LBB1_2544
.LBB1_494:
	s_or_b64 exec, exec, s[6:7]
	s_and_saveexec_b64 s[6:7], s[4:5]
	s_cbranch_execz .LBB1_496
.LBB1_495:
	v_bfe_u32 v4, v5, 8, 3
	v_ffbh_u32_e32 v7, v4
	v_min_u32_e32 v7, 32, v7
	v_lshrrev_b16_e32 v6, 3, v3
	v_subrev_u32_e32 v8, 28, v7
	v_and_b32_e32 v6, 15, v6
	v_lshlrev_b32_e32 v3, v8, v3
	v_sub_u32_e32 v7, 29, v7
	v_and_b32_e32 v3, 7, v3
	v_cmp_eq_u16_e32 vcc, 0, v6
	v_cndmask_b32_e32 v3, v4, v3, vcc
	v_cndmask_b32_e32 v4, v6, v7, vcc
	v_lshlrev_b32_e32 v6, 16, v5
	v_mov_b32_e32 v7, 0x3b800000
	v_lshlrev_b32_e32 v3, 20, v3
	v_and_b32_e32 v6, 0x80000000, v6
	v_lshl_add_u32 v4, v4, 23, v7
	v_or3_b32 v4, v6, v4, v3
.LBB1_496:
	s_or_b64 exec, exec, s[6:7]
	s_nop 0
	v_mfma_f32_16x16x4f32 a[0:3], v2, v4, a[0:3]
	s_movk_i32 s4, 0xff
	v_and_b32_sdwa v3, v9, s4 dst_sel:DWORD dst_unused:UNUSED_PAD src0_sel:WORD_1 src1_sel:DWORD
	s_movk_i32 s4, 0x7f
	v_cmp_lt_i16_e32 vcc, s4, v3
	s_mov_b64 s[4:5], 0
                                        ; implicit-def: $sgpr10
	s_and_saveexec_b64 s[6:7], vcc
	s_xor_b64 s[6:7], exec, s[6:7]
	s_cbranch_execnz .LBB1_2545
; %bb.497:
	s_or_saveexec_b64 s[6:7], s[6:7]
	v_mov_b32_e32 v2, s10
	s_xor_b64 exec, exec, s[6:7]
	s_cbranch_execnz .LBB1_2548
.LBB1_498:
	s_or_b64 exec, exec, s[6:7]
	s_and_saveexec_b64 s[6:7], s[4:5]
	s_cbranch_execz .LBB1_500
.LBB1_499:
	v_bfe_u32 v2, v9, 16, 3
	v_ffbh_u32_e32 v6, v2
	v_min_u32_e32 v6, 32, v6
	v_lshrrev_b32_e32 v3, 19, v9
	v_subrev_u32_e32 v7, 28, v6
	v_and_b32_e32 v3, 15, v3
	v_lshlrev_b32_sdwa v7, v7, v9 dst_sel:DWORD dst_unused:UNUSED_PAD src0_sel:DWORD src1_sel:WORD_1
	v_bfe_u32 v4, v9, 19, 4
	v_sub_u32_e32 v6, 29, v6
	v_and_b32_e32 v7, 7, v7
	v_cmp_eq_u16_e32 vcc, 0, v3
	v_cndmask_b32_e32 v2, v2, v7, vcc
	v_cndmask_b32_e32 v3, v4, v6, vcc
	v_lshlrev_b32_e32 v4, 8, v9
	v_mov_b32_e32 v6, 0x3b800000
	v_lshlrev_b32_e32 v2, 20, v2
	v_and_b32_e32 v4, 0x80000000, v4
	v_lshl_add_u32 v3, v3, 23, v6
	v_or3_b32 v2, v4, v3, v2
.LBB1_500:
	s_or_b64 exec, exec, s[6:7]
	s_movk_i32 s4, 0xff
	v_and_b32_sdwa v3, v5, s4 dst_sel:DWORD dst_unused:UNUSED_PAD src0_sel:WORD_1 src1_sel:DWORD
	s_movk_i32 s4, 0x7f
	v_cmp_lt_i16_e32 vcc, s4, v3
	s_mov_b64 s[4:5], 0
                                        ; implicit-def: $sgpr10
	s_and_saveexec_b64 s[6:7], vcc
	s_xor_b64 s[6:7], exec, s[6:7]
	s_cbranch_execnz .LBB1_2549
; %bb.501:
	s_or_saveexec_b64 s[6:7], s[6:7]
	v_mov_b32_e32 v4, s10
	s_xor_b64 exec, exec, s[6:7]
	s_cbranch_execnz .LBB1_2552
.LBB1_502:
	s_or_b64 exec, exec, s[6:7]
	s_and_saveexec_b64 s[6:7], s[4:5]
	s_cbranch_execz .LBB1_504
.LBB1_503:
	v_bfe_u32 v3, v5, 16, 3
	v_ffbh_u32_e32 v7, v3
	v_min_u32_e32 v7, 32, v7
	v_lshrrev_b32_e32 v4, 19, v5
	v_subrev_u32_e32 v8, 28, v7
	v_and_b32_e32 v4, 15, v4
	v_lshlrev_b32_sdwa v8, v8, v5 dst_sel:DWORD dst_unused:UNUSED_PAD src0_sel:DWORD src1_sel:WORD_1
	v_bfe_u32 v6, v5, 19, 4
	v_sub_u32_e32 v7, 29, v7
	v_and_b32_e32 v8, 7, v8
	v_cmp_eq_u16_e32 vcc, 0, v4
	v_cndmask_b32_e32 v3, v3, v8, vcc
	v_cndmask_b32_e32 v4, v6, v7, vcc
	v_lshlrev_b32_e32 v6, 8, v5
	v_mov_b32_e32 v7, 0x3b800000
	v_lshlrev_b32_e32 v3, 20, v3
	v_and_b32_e32 v6, 0x80000000, v6
	v_lshl_add_u32 v4, v4, 23, v7
	v_or3_b32 v4, v6, v4, v3
.LBB1_504:
	s_or_b64 exec, exec, s[6:7]
	s_nop 0
	v_mfma_f32_16x16x4f32 a[0:3], v2, v4, a[0:3]
	s_movk_i32 s4, 0x7f
	v_cmp_gt_i16_sdwa s[6:7], v9, s4 src0_sel:BYTE_3 src1_sel:DWORD
	s_mov_b64 s[4:5], 0
                                        ; implicit-def: $sgpr10
	s_and_saveexec_b64 s[8:9], s[6:7]
	s_xor_b64 s[6:7], exec, s[8:9]
	s_cbranch_execnz .LBB1_2553
; %bb.505:
	s_or_saveexec_b64 s[6:7], s[6:7]
	v_mov_b32_e32 v2, s10
	s_xor_b64 exec, exec, s[6:7]
	s_cbranch_execnz .LBB1_2556
.LBB1_506:
	s_or_b64 exec, exec, s[6:7]
	s_and_saveexec_b64 s[6:7], s[4:5]
	s_cbranch_execz .LBB1_508
.LBB1_507:
	v_bfe_u32 v2, v9, 24, 3
	v_ffbh_u32_e32 v7, v2
	v_min_u32_e32 v7, 32, v7
	v_lshrrev_b32_e32 v4, 27, v9
	v_subrev_u32_e32 v8, 28, v7
	v_and_b32_e32 v4, 15, v4
	v_lshlrev_b32_sdwa v8, v8, v9 dst_sel:DWORD dst_unused:UNUSED_PAD src0_sel:DWORD src1_sel:BYTE_3
	v_bfe_u32 v6, v9, 27, 4
	v_sub_u32_e32 v7, 29, v7
	v_and_b32_e32 v8, 7, v8
	v_cmp_eq_u16_e32 vcc, 0, v4
	v_cndmask_b32_e32 v2, v2, v8, vcc
	v_cndmask_b32_e32 v4, v6, v7, vcc
	v_mov_b32_e32 v6, 0x3b800000
	v_and_b32_e32 v3, 0x80000000, v9
	v_lshlrev_b32_e32 v2, 20, v2
	v_lshl_add_u32 v4, v4, 23, v6
	v_or3_b32 v2, v3, v4, v2
.LBB1_508:
	s_or_b64 exec, exec, s[6:7]
	s_movk_i32 s4, 0x7f
	v_cmp_gt_i16_sdwa s[6:7], v5, s4 src0_sel:BYTE_3 src1_sel:DWORD
	s_mov_b64 s[4:5], 0
                                        ; implicit-def: $sgpr10
	s_and_saveexec_b64 s[8:9], s[6:7]
	s_xor_b64 s[6:7], exec, s[8:9]
	s_cbranch_execnz .LBB1_2557
; %bb.509:
	s_or_saveexec_b64 s[6:7], s[6:7]
	v_mov_b32_e32 v3, s10
	s_xor_b64 exec, exec, s[6:7]
	s_cbranch_execnz .LBB1_2560
.LBB1_510:
	s_or_b64 exec, exec, s[6:7]
	s_and_saveexec_b64 s[6:7], s[4:5]
	s_cbranch_execz .LBB1_512
.LBB1_511:
	v_bfe_u32 v3, v5, 24, 3
	v_ffbh_u32_e32 v8, v3
	v_min_u32_e32 v8, 32, v8
	v_lshrrev_b32_e32 v6, 27, v5
	v_subrev_u32_e32 v9, 28, v8
	v_and_b32_e32 v4, 0x80000000, v5
	v_and_b32_e32 v6, 15, v6
	v_bfe_u32 v7, v5, 27, 4
	v_lshlrev_b32_sdwa v5, v9, v5 dst_sel:DWORD dst_unused:UNUSED_PAD src0_sel:DWORD src1_sel:BYTE_3
	v_sub_u32_e32 v8, 29, v8
	v_and_b32_e32 v5, 7, v5
	v_cmp_eq_u16_e32 vcc, 0, v6
	v_cndmask_b32_e32 v3, v3, v5, vcc
	v_cndmask_b32_e32 v5, v7, v8, vcc
	v_mov_b32_e32 v6, 0x3b800000
	v_lshlrev_b32_e32 v3, 20, v3
	v_lshl_add_u32 v5, v5, 23, v6
	v_or3_b32 v3, v4, v5, v3
.LBB1_512:
	s_or_b64 exec, exec, s[6:7]
	s_nop 0
	v_mfma_f32_16x16x4f32 a[0:3], v2, v3, a[0:3]
	s_movk_i32 s4, 0x7f
                                        ; implicit-def: $sgpr10
	s_nop 7
	s_nop 1
	flat_store_dwordx4 v[18:19], a[0:3] offset:16
	flat_load_dwordx4 v[20:23], v[0:1] offset:16
	s_nop 0
	flat_load_dwordx2 v[18:19], v[0:1] offset:32
	s_waitcnt vmcnt(0) lgkmcnt(0)
	flat_load_dwordx4 v[14:17], v[20:21]
	flat_load_dwordx4 v[6:9], v[20:21] offset:16
	flat_load_dwordx4 v[10:13], v[22:23] offset:64
	;; [unrolled: 1-line block ×3, first 2 shown]
	s_waitcnt vmcnt(0) lgkmcnt(0)
	v_cmp_gt_i16_sdwa s[6:7], v14, s4 src0_sel:BYTE_0 src1_sel:DWORD
	s_mov_b64 s[4:5], 0
	s_and_saveexec_b64 s[8:9], s[6:7]
	s_xor_b64 s[6:7], exec, s[8:9]
	s_cbranch_execnz .LBB1_2561
; %bb.513:
	s_or_saveexec_b64 s[6:7], s[6:7]
	v_mov_b32_e32 v20, s10
	s_xor_b64 exec, exec, s[6:7]
	s_cbranch_execnz .LBB1_2564
.LBB1_514:
	s_or_b64 exec, exec, s[6:7]
	s_and_saveexec_b64 s[6:7], s[4:5]
	s_cbranch_execz .LBB1_516
.LBB1_515:
	v_and_b32_e32 v20, 7, v14
	v_ffbh_u32_e32 v22, v20
	v_min_u32_e32 v22, 32, v22
	v_lshrrev_b16_e32 v21, 3, v14
	v_subrev_u32_e32 v23, 28, v22
	v_and_b32_e32 v21, 15, v21
	v_lshlrev_b32_e32 v23, v23, v14
	v_sub_u32_e32 v22, 29, v22
	v_and_b32_e32 v23, 7, v23
	v_cmp_eq_u16_e32 vcc, 0, v21
	v_cndmask_b32_e32 v20, v20, v23, vcc
	v_cndmask_b32_e32 v21, v21, v22, vcc
	v_lshlrev_b32_e32 v22, 24, v14
	v_mov_b32_e32 v23, 0x3b800000
	v_lshlrev_b32_e32 v20, 20, v20
	v_and_b32_e32 v22, 0x80000000, v22
	v_lshl_add_u32 v21, v21, 23, v23
	v_or3_b32 v20, v22, v21, v20
.LBB1_516:
	s_or_b64 exec, exec, s[6:7]
	s_movk_i32 s4, 0x7f
	v_cmp_gt_i16_sdwa s[6:7], v10, s4 src0_sel:BYTE_0 src1_sel:DWORD
	s_mov_b64 s[4:5], 0
                                        ; implicit-def: $sgpr10
	s_and_saveexec_b64 s[8:9], s[6:7]
	s_xor_b64 s[6:7], exec, s[8:9]
	s_cbranch_execnz .LBB1_2565
; %bb.517:
	s_or_saveexec_b64 s[6:7], s[6:7]
	v_mov_b32_e32 v21, s10
	s_xor_b64 exec, exec, s[6:7]
	s_cbranch_execnz .LBB1_2568
.LBB1_518:
	s_or_b64 exec, exec, s[6:7]
	s_and_saveexec_b64 s[6:7], s[4:5]
	s_cbranch_execz .LBB1_520
.LBB1_519:
	v_and_b32_e32 v21, 7, v10
	v_ffbh_u32_e32 v23, v21
	v_min_u32_e32 v23, 32, v23
	v_lshrrev_b16_e32 v22, 3, v10
	v_subrev_u32_e32 v24, 28, v23
	v_and_b32_e32 v22, 15, v22
	v_lshlrev_b32_e32 v24, v24, v10
	v_sub_u32_e32 v23, 29, v23
	v_and_b32_e32 v24, 7, v24
	v_cmp_eq_u16_e32 vcc, 0, v22
	v_cndmask_b32_e32 v21, v21, v24, vcc
	v_cndmask_b32_e32 v22, v22, v23, vcc
	v_lshlrev_b32_e32 v23, 24, v10
	v_mov_b32_e32 v24, 0x3b800000
	v_lshlrev_b32_e32 v21, 20, v21
	v_and_b32_e32 v23, 0x80000000, v23
	v_lshl_add_u32 v22, v22, 23, v24
	v_or3_b32 v21, v23, v22, v21
.LBB1_520:
	s_or_b64 exec, exec, s[6:7]
	flat_load_dwordx4 a[0:3], v[18:19] offset:32
	s_movk_i32 s4, 0x7f
                                        ; implicit-def: $sgpr10
	s_waitcnt vmcnt(0) lgkmcnt(0)
	v_mfma_f32_16x16x4f32 a[0:3], v20, v21, a[0:3]
	v_lshrrev_b32_e32 v21, 8, v14
	v_cmp_gt_i16_sdwa s[6:7], v21, s4 src0_sel:BYTE_0 src1_sel:DWORD
	s_mov_b64 s[4:5], 0
	s_and_saveexec_b64 s[8:9], s[6:7]
	s_xor_b64 s[6:7], exec, s[8:9]
	s_cbranch_execnz .LBB1_2569
; %bb.521:
	s_or_saveexec_b64 s[6:7], s[6:7]
	v_mov_b32_e32 v20, s10
	s_xor_b64 exec, exec, s[6:7]
	s_cbranch_execnz .LBB1_2572
.LBB1_522:
	s_or_b64 exec, exec, s[6:7]
	s_and_saveexec_b64 s[6:7], s[4:5]
	s_cbranch_execz .LBB1_524
.LBB1_523:
	v_bfe_u32 v20, v14, 8, 3
	v_ffbh_u32_e32 v23, v20
	v_min_u32_e32 v23, 32, v23
	v_lshrrev_b16_e32 v22, 3, v21
	v_subrev_u32_e32 v24, 28, v23
	v_and_b32_e32 v22, 15, v22
	v_lshlrev_b32_e32 v21, v24, v21
	v_sub_u32_e32 v23, 29, v23
	v_and_b32_e32 v21, 7, v21
	v_cmp_eq_u16_e32 vcc, 0, v22
	v_cndmask_b32_e32 v20, v20, v21, vcc
	v_cndmask_b32_e32 v21, v22, v23, vcc
	v_lshlrev_b32_e32 v22, 16, v14
	v_mov_b32_e32 v23, 0x3b800000
	v_lshlrev_b32_e32 v20, 20, v20
	v_and_b32_e32 v22, 0x80000000, v22
	v_lshl_add_u32 v21, v21, 23, v23
	v_or3_b32 v20, v22, v21, v20
.LBB1_524:
	s_or_b64 exec, exec, s[6:7]
	v_lshrrev_b32_e32 v21, 8, v10
	s_movk_i32 s4, 0x7f
	v_cmp_gt_i16_sdwa s[6:7], v21, s4 src0_sel:BYTE_0 src1_sel:DWORD
	s_mov_b64 s[4:5], 0
                                        ; implicit-def: $sgpr10
	s_and_saveexec_b64 s[8:9], s[6:7]
	s_xor_b64 s[6:7], exec, s[8:9]
	s_cbranch_execnz .LBB1_2573
; %bb.525:
	s_or_saveexec_b64 s[6:7], s[6:7]
	v_mov_b32_e32 v22, s10
	s_xor_b64 exec, exec, s[6:7]
	s_cbranch_execnz .LBB1_2576
.LBB1_526:
	s_or_b64 exec, exec, s[6:7]
	s_and_saveexec_b64 s[6:7], s[4:5]
	s_cbranch_execz .LBB1_528
.LBB1_527:
	v_bfe_u32 v22, v10, 8, 3
	v_ffbh_u32_e32 v24, v22
	v_min_u32_e32 v24, 32, v24
	v_lshrrev_b16_e32 v23, 3, v21
	v_subrev_u32_e32 v25, 28, v24
	v_and_b32_e32 v23, 15, v23
	v_lshlrev_b32_e32 v21, v25, v21
	v_sub_u32_e32 v24, 29, v24
	v_and_b32_e32 v21, 7, v21
	v_cmp_eq_u16_e32 vcc, 0, v23
	v_cndmask_b32_e32 v21, v22, v21, vcc
	v_cndmask_b32_e32 v22, v23, v24, vcc
	v_lshlrev_b32_e32 v23, 16, v10
	v_mov_b32_e32 v24, 0x3b800000
	v_lshlrev_b32_e32 v21, 20, v21
	v_and_b32_e32 v23, 0x80000000, v23
	v_lshl_add_u32 v22, v22, 23, v24
	v_or3_b32 v22, v23, v22, v21
.LBB1_528:
	s_or_b64 exec, exec, s[6:7]
	s_nop 0
	v_mfma_f32_16x16x4f32 a[0:3], v20, v22, a[0:3]
	s_movk_i32 s4, 0xff
	v_and_b32_sdwa v21, v14, s4 dst_sel:DWORD dst_unused:UNUSED_PAD src0_sel:WORD_1 src1_sel:DWORD
	s_movk_i32 s4, 0x7f
	v_cmp_lt_i16_e32 vcc, s4, v21
	s_mov_b64 s[4:5], 0
                                        ; implicit-def: $sgpr10
	s_and_saveexec_b64 s[6:7], vcc
	s_xor_b64 s[6:7], exec, s[6:7]
	s_cbranch_execnz .LBB1_2577
; %bb.529:
	s_or_saveexec_b64 s[6:7], s[6:7]
	v_mov_b32_e32 v20, s10
	s_xor_b64 exec, exec, s[6:7]
	s_cbranch_execnz .LBB1_2580
.LBB1_530:
	s_or_b64 exec, exec, s[6:7]
	s_and_saveexec_b64 s[6:7], s[4:5]
	s_cbranch_execz .LBB1_532
.LBB1_531:
	v_bfe_u32 v20, v14, 16, 3
	v_ffbh_u32_e32 v23, v20
	v_min_u32_e32 v23, 32, v23
	v_lshrrev_b32_e32 v21, 19, v14
	v_subrev_u32_e32 v24, 28, v23
	v_and_b32_e32 v21, 15, v21
	v_lshlrev_b32_sdwa v24, v24, v14 dst_sel:DWORD dst_unused:UNUSED_PAD src0_sel:DWORD src1_sel:WORD_1
	v_bfe_u32 v22, v14, 19, 4
	v_sub_u32_e32 v23, 29, v23
	v_and_b32_e32 v24, 7, v24
	v_cmp_eq_u16_e32 vcc, 0, v21
	v_cndmask_b32_e32 v20, v20, v24, vcc
	v_cndmask_b32_e32 v21, v22, v23, vcc
	v_lshlrev_b32_e32 v22, 8, v14
	v_mov_b32_e32 v23, 0x3b800000
	v_lshlrev_b32_e32 v20, 20, v20
	v_and_b32_e32 v22, 0x80000000, v22
	v_lshl_add_u32 v21, v21, 23, v23
	v_or3_b32 v20, v22, v21, v20
.LBB1_532:
	s_or_b64 exec, exec, s[6:7]
	s_movk_i32 s4, 0xff
	v_and_b32_sdwa v21, v10, s4 dst_sel:DWORD dst_unused:UNUSED_PAD src0_sel:WORD_1 src1_sel:DWORD
	s_movk_i32 s4, 0x7f
	v_cmp_lt_i16_e32 vcc, s4, v21
	s_mov_b64 s[4:5], 0
                                        ; implicit-def: $sgpr10
	s_and_saveexec_b64 s[6:7], vcc
	s_xor_b64 s[6:7], exec, s[6:7]
	s_cbranch_execnz .LBB1_2581
; %bb.533:
	s_or_saveexec_b64 s[6:7], s[6:7]
	v_mov_b32_e32 v22, s10
	s_xor_b64 exec, exec, s[6:7]
	s_cbranch_execnz .LBB1_2584
.LBB1_534:
	s_or_b64 exec, exec, s[6:7]
	s_and_saveexec_b64 s[6:7], s[4:5]
	s_cbranch_execz .LBB1_536
.LBB1_535:
	v_bfe_u32 v21, v10, 16, 3
	v_ffbh_u32_e32 v24, v21
	v_min_u32_e32 v24, 32, v24
	v_lshrrev_b32_e32 v22, 19, v10
	v_subrev_u32_e32 v25, 28, v24
	v_and_b32_e32 v22, 15, v22
	v_lshlrev_b32_sdwa v25, v25, v10 dst_sel:DWORD dst_unused:UNUSED_PAD src0_sel:DWORD src1_sel:WORD_1
	v_bfe_u32 v23, v10, 19, 4
	v_sub_u32_e32 v24, 29, v24
	v_and_b32_e32 v25, 7, v25
	v_cmp_eq_u16_e32 vcc, 0, v22
	v_cndmask_b32_e32 v21, v21, v25, vcc
	v_cndmask_b32_e32 v22, v23, v24, vcc
	v_lshlrev_b32_e32 v23, 8, v10
	v_mov_b32_e32 v24, 0x3b800000
	v_lshlrev_b32_e32 v21, 20, v21
	v_and_b32_e32 v23, 0x80000000, v23
	v_lshl_add_u32 v22, v22, 23, v24
	v_or3_b32 v22, v23, v22, v21
.LBB1_536:
	s_or_b64 exec, exec, s[6:7]
	s_nop 0
	v_mfma_f32_16x16x4f32 a[0:3], v20, v22, a[0:3]
	s_movk_i32 s4, 0x7f
	v_cmp_gt_i16_sdwa s[6:7], v14, s4 src0_sel:BYTE_3 src1_sel:DWORD
	s_mov_b64 s[4:5], 0
                                        ; implicit-def: $sgpr10
	s_and_saveexec_b64 s[8:9], s[6:7]
	s_xor_b64 s[6:7], exec, s[8:9]
	s_cbranch_execnz .LBB1_2585
; %bb.537:
	s_or_saveexec_b64 s[6:7], s[6:7]
	v_mov_b32_e32 v20, s10
	s_xor_b64 exec, exec, s[6:7]
	s_cbranch_execnz .LBB1_2588
.LBB1_538:
	s_or_b64 exec, exec, s[6:7]
	s_and_saveexec_b64 s[6:7], s[4:5]
	s_cbranch_execz .LBB1_540
.LBB1_539:
	v_bfe_u32 v20, v14, 24, 3
	v_ffbh_u32_e32 v24, v20
	v_min_u32_e32 v24, 32, v24
	v_lshrrev_b32_e32 v22, 27, v14
	v_subrev_u32_e32 v25, 28, v24
	v_and_b32_e32 v21, 0x80000000, v14
	v_and_b32_e32 v22, 15, v22
	v_bfe_u32 v23, v14, 27, 4
	v_lshlrev_b32_sdwa v14, v25, v14 dst_sel:DWORD dst_unused:UNUSED_PAD src0_sel:DWORD src1_sel:BYTE_3
	v_sub_u32_e32 v24, 29, v24
	v_and_b32_e32 v14, 7, v14
	v_cmp_eq_u16_e32 vcc, 0, v22
	v_cndmask_b32_e32 v14, v20, v14, vcc
	v_cndmask_b32_e32 v20, v23, v24, vcc
	v_mov_b32_e32 v22, 0x3b800000
	v_lshlrev_b32_e32 v14, 20, v14
	v_lshl_add_u32 v20, v20, 23, v22
	v_or3_b32 v20, v21, v20, v14
.LBB1_540:
	s_or_b64 exec, exec, s[6:7]
	s_movk_i32 s4, 0x7f
	v_cmp_gt_i16_sdwa s[6:7], v10, s4 src0_sel:BYTE_3 src1_sel:DWORD
	s_mov_b64 s[4:5], 0
                                        ; implicit-def: $sgpr10
	s_and_saveexec_b64 s[8:9], s[6:7]
	s_xor_b64 s[6:7], exec, s[8:9]
	s_cbranch_execnz .LBB1_2589
; %bb.541:
	s_or_saveexec_b64 s[6:7], s[6:7]
	v_mov_b32_e32 v14, s10
	s_xor_b64 exec, exec, s[6:7]
	s_cbranch_execnz .LBB1_2592
.LBB1_542:
	s_or_b64 exec, exec, s[6:7]
	s_and_saveexec_b64 s[6:7], s[4:5]
	s_cbranch_execz .LBB1_544
.LBB1_543:
	v_bfe_u32 v14, v10, 24, 3
	v_ffbh_u32_e32 v24, v14
	v_min_u32_e32 v24, 32, v24
	v_lshrrev_b32_e32 v22, 27, v10
	v_subrev_u32_e32 v25, 28, v24
	v_and_b32_e32 v21, 0x80000000, v10
	v_and_b32_e32 v22, 15, v22
	v_bfe_u32 v23, v10, 27, 4
	v_lshlrev_b32_sdwa v10, v25, v10 dst_sel:DWORD dst_unused:UNUSED_PAD src0_sel:DWORD src1_sel:BYTE_3
	v_sub_u32_e32 v24, 29, v24
	v_and_b32_e32 v10, 7, v10
	v_cmp_eq_u16_e32 vcc, 0, v22
	v_cndmask_b32_e32 v10, v14, v10, vcc
	v_cndmask_b32_e32 v14, v23, v24, vcc
	v_mov_b32_e32 v22, 0x3b800000
	v_lshlrev_b32_e32 v10, 20, v10
	v_lshl_add_u32 v14, v14, 23, v22
	v_or3_b32 v14, v21, v14, v10
.LBB1_544:
	s_or_b64 exec, exec, s[6:7]
	s_nop 0
	v_mfma_f32_16x16x4f32 a[0:3], v20, v14, a[0:3]
	s_movk_i32 s4, 0x7f
	v_cmp_gt_i16_sdwa s[6:7], v15, s4 src0_sel:BYTE_0 src1_sel:DWORD
	s_mov_b64 s[4:5], 0
                                        ; implicit-def: $sgpr10
	s_and_saveexec_b64 s[8:9], s[6:7]
	s_xor_b64 s[6:7], exec, s[8:9]
	s_cbranch_execnz .LBB1_2593
; %bb.545:
	s_or_saveexec_b64 s[6:7], s[6:7]
	v_mov_b32_e32 v10, s10
	s_xor_b64 exec, exec, s[6:7]
	s_cbranch_execnz .LBB1_2596
.LBB1_546:
	s_or_b64 exec, exec, s[6:7]
	s_and_saveexec_b64 s[6:7], s[4:5]
	s_cbranch_execz .LBB1_548
.LBB1_547:
	v_and_b32_e32 v10, 7, v15
	v_ffbh_u32_e32 v20, v10
	v_min_u32_e32 v20, 32, v20
	v_lshrrev_b16_e32 v14, 3, v15
	v_subrev_u32_e32 v21, 28, v20
	v_and_b32_e32 v14, 15, v14
	v_lshlrev_b32_e32 v21, v21, v15
	v_sub_u32_e32 v20, 29, v20
	v_and_b32_e32 v21, 7, v21
	v_cmp_eq_u16_e32 vcc, 0, v14
	v_cndmask_b32_e32 v10, v10, v21, vcc
	v_cndmask_b32_e32 v14, v14, v20, vcc
	v_lshlrev_b32_e32 v20, 24, v15
	v_mov_b32_e32 v21, 0x3b800000
	v_lshlrev_b32_e32 v10, 20, v10
	v_and_b32_e32 v20, 0x80000000, v20
	v_lshl_add_u32 v14, v14, 23, v21
	v_or3_b32 v10, v20, v14, v10
.LBB1_548:
	s_or_b64 exec, exec, s[6:7]
	s_movk_i32 s4, 0x7f
	v_cmp_gt_i16_sdwa s[6:7], v11, s4 src0_sel:BYTE_0 src1_sel:DWORD
	s_mov_b64 s[4:5], 0
                                        ; implicit-def: $sgpr10
	s_and_saveexec_b64 s[8:9], s[6:7]
	s_xor_b64 s[6:7], exec, s[8:9]
	s_cbranch_execnz .LBB1_2597
; %bb.549:
	s_or_saveexec_b64 s[6:7], s[6:7]
	v_mov_b32_e32 v14, s10
	s_xor_b64 exec, exec, s[6:7]
	s_cbranch_execnz .LBB1_2600
.LBB1_550:
	s_or_b64 exec, exec, s[6:7]
	s_and_saveexec_b64 s[6:7], s[4:5]
	s_cbranch_execz .LBB1_552
.LBB1_551:
	v_and_b32_e32 v14, 7, v11
	v_ffbh_u32_e32 v21, v14
	v_min_u32_e32 v21, 32, v21
	v_lshrrev_b16_e32 v20, 3, v11
	v_subrev_u32_e32 v22, 28, v21
	v_and_b32_e32 v20, 15, v20
	v_lshlrev_b32_e32 v22, v22, v11
	v_sub_u32_e32 v21, 29, v21
	v_and_b32_e32 v22, 7, v22
	v_cmp_eq_u16_e32 vcc, 0, v20
	v_cndmask_b32_e32 v14, v14, v22, vcc
	v_cndmask_b32_e32 v20, v20, v21, vcc
	v_lshlrev_b32_e32 v21, 24, v11
	v_mov_b32_e32 v22, 0x3b800000
	v_lshlrev_b32_e32 v14, 20, v14
	v_and_b32_e32 v21, 0x80000000, v21
	v_lshl_add_u32 v20, v20, 23, v22
	v_or3_b32 v14, v21, v20, v14
.LBB1_552:
	s_or_b64 exec, exec, s[6:7]
	s_nop 0
	v_mfma_f32_16x16x4f32 a[0:3], v10, v14, a[0:3]
	v_lshrrev_b32_e32 v14, 8, v15
	s_movk_i32 s4, 0x7f
	v_cmp_gt_i16_sdwa s[6:7], v14, s4 src0_sel:BYTE_0 src1_sel:DWORD
	s_mov_b64 s[4:5], 0
                                        ; implicit-def: $sgpr10
	s_and_saveexec_b64 s[8:9], s[6:7]
	s_xor_b64 s[6:7], exec, s[8:9]
	s_cbranch_execnz .LBB1_2601
; %bb.553:
	s_or_saveexec_b64 s[6:7], s[6:7]
	v_mov_b32_e32 v10, s10
	s_xor_b64 exec, exec, s[6:7]
	s_cbranch_execnz .LBB1_2604
.LBB1_554:
	s_or_b64 exec, exec, s[6:7]
	s_and_saveexec_b64 s[6:7], s[4:5]
	s_cbranch_execz .LBB1_556
.LBB1_555:
	v_bfe_u32 v10, v15, 8, 3
	v_ffbh_u32_e32 v21, v10
	v_min_u32_e32 v21, 32, v21
	v_lshrrev_b16_e32 v20, 3, v14
	v_subrev_u32_e32 v22, 28, v21
	v_and_b32_e32 v20, 15, v20
	v_lshlrev_b32_e32 v14, v22, v14
	v_sub_u32_e32 v21, 29, v21
	v_and_b32_e32 v14, 7, v14
	v_cmp_eq_u16_e32 vcc, 0, v20
	v_cndmask_b32_e32 v10, v10, v14, vcc
	v_cndmask_b32_e32 v14, v20, v21, vcc
	v_lshlrev_b32_e32 v20, 16, v15
	v_mov_b32_e32 v21, 0x3b800000
	v_lshlrev_b32_e32 v10, 20, v10
	v_and_b32_e32 v20, 0x80000000, v20
	v_lshl_add_u32 v14, v14, 23, v21
	v_or3_b32 v10, v20, v14, v10
.LBB1_556:
	s_or_b64 exec, exec, s[6:7]
	v_lshrrev_b32_e32 v14, 8, v11
	s_movk_i32 s4, 0x7f
	v_cmp_gt_i16_sdwa s[6:7], v14, s4 src0_sel:BYTE_0 src1_sel:DWORD
	s_mov_b64 s[4:5], 0
                                        ; implicit-def: $sgpr10
	s_and_saveexec_b64 s[8:9], s[6:7]
	s_xor_b64 s[6:7], exec, s[8:9]
	s_cbranch_execnz .LBB1_2605
; %bb.557:
	s_or_saveexec_b64 s[6:7], s[6:7]
	v_mov_b32_e32 v20, s10
	s_xor_b64 exec, exec, s[6:7]
	s_cbranch_execnz .LBB1_2608
.LBB1_558:
	s_or_b64 exec, exec, s[6:7]
	s_and_saveexec_b64 s[6:7], s[4:5]
	s_cbranch_execz .LBB1_560
.LBB1_559:
	v_bfe_u32 v20, v11, 8, 3
	v_ffbh_u32_e32 v22, v20
	v_min_u32_e32 v22, 32, v22
	v_lshrrev_b16_e32 v21, 3, v14
	v_subrev_u32_e32 v23, 28, v22
	v_and_b32_e32 v21, 15, v21
	v_lshlrev_b32_e32 v14, v23, v14
	v_sub_u32_e32 v22, 29, v22
	v_and_b32_e32 v14, 7, v14
	v_cmp_eq_u16_e32 vcc, 0, v21
	v_cndmask_b32_e32 v14, v20, v14, vcc
	v_cndmask_b32_e32 v20, v21, v22, vcc
	v_lshlrev_b32_e32 v21, 16, v11
	v_mov_b32_e32 v22, 0x3b800000
	v_lshlrev_b32_e32 v14, 20, v14
	v_and_b32_e32 v21, 0x80000000, v21
	v_lshl_add_u32 v20, v20, 23, v22
	v_or3_b32 v20, v21, v20, v14
.LBB1_560:
	s_or_b64 exec, exec, s[6:7]
	s_nop 0
	v_mfma_f32_16x16x4f32 a[0:3], v10, v20, a[0:3]
	s_movk_i32 s4, 0xff
	v_and_b32_sdwa v14, v15, s4 dst_sel:DWORD dst_unused:UNUSED_PAD src0_sel:WORD_1 src1_sel:DWORD
	s_movk_i32 s4, 0x7f
	v_cmp_lt_i16_e32 vcc, s4, v14
	s_mov_b64 s[4:5], 0
                                        ; implicit-def: $sgpr10
	s_and_saveexec_b64 s[6:7], vcc
	s_xor_b64 s[6:7], exec, s[6:7]
	s_cbranch_execnz .LBB1_2609
; %bb.561:
	s_or_saveexec_b64 s[6:7], s[6:7]
	v_mov_b32_e32 v10, s10
	s_xor_b64 exec, exec, s[6:7]
	s_cbranch_execnz .LBB1_2612
.LBB1_562:
	s_or_b64 exec, exec, s[6:7]
	s_and_saveexec_b64 s[6:7], s[4:5]
	s_cbranch_execz .LBB1_564
.LBB1_563:
	v_bfe_u32 v10, v15, 16, 3
	v_ffbh_u32_e32 v21, v10
	v_min_u32_e32 v21, 32, v21
	v_lshrrev_b32_e32 v14, 19, v15
	v_subrev_u32_e32 v22, 28, v21
	v_and_b32_e32 v14, 15, v14
	v_lshlrev_b32_sdwa v22, v22, v15 dst_sel:DWORD dst_unused:UNUSED_PAD src0_sel:DWORD src1_sel:WORD_1
	v_bfe_u32 v20, v15, 19, 4
	v_sub_u32_e32 v21, 29, v21
	v_and_b32_e32 v22, 7, v22
	v_cmp_eq_u16_e32 vcc, 0, v14
	v_cndmask_b32_e32 v10, v10, v22, vcc
	v_cndmask_b32_e32 v14, v20, v21, vcc
	v_lshlrev_b32_e32 v20, 8, v15
	v_mov_b32_e32 v21, 0x3b800000
	v_lshlrev_b32_e32 v10, 20, v10
	v_and_b32_e32 v20, 0x80000000, v20
	v_lshl_add_u32 v14, v14, 23, v21
	v_or3_b32 v10, v20, v14, v10
.LBB1_564:
	s_or_b64 exec, exec, s[6:7]
	s_movk_i32 s4, 0xff
	v_and_b32_sdwa v14, v11, s4 dst_sel:DWORD dst_unused:UNUSED_PAD src0_sel:WORD_1 src1_sel:DWORD
	s_movk_i32 s4, 0x7f
	v_cmp_lt_i16_e32 vcc, s4, v14
	s_mov_b64 s[4:5], 0
                                        ; implicit-def: $sgpr10
	s_and_saveexec_b64 s[6:7], vcc
	s_xor_b64 s[6:7], exec, s[6:7]
	s_cbranch_execnz .LBB1_2613
; %bb.565:
	s_or_saveexec_b64 s[6:7], s[6:7]
	v_mov_b32_e32 v20, s10
	s_xor_b64 exec, exec, s[6:7]
	s_cbranch_execnz .LBB1_2616
.LBB1_566:
	s_or_b64 exec, exec, s[6:7]
	s_and_saveexec_b64 s[6:7], s[4:5]
	s_cbranch_execz .LBB1_568
.LBB1_567:
	v_bfe_u32 v14, v11, 16, 3
	v_ffbh_u32_e32 v22, v14
	v_min_u32_e32 v22, 32, v22
	v_lshrrev_b32_e32 v20, 19, v11
	v_subrev_u32_e32 v23, 28, v22
	v_and_b32_e32 v20, 15, v20
	v_lshlrev_b32_sdwa v23, v23, v11 dst_sel:DWORD dst_unused:UNUSED_PAD src0_sel:DWORD src1_sel:WORD_1
	v_bfe_u32 v21, v11, 19, 4
	v_sub_u32_e32 v22, 29, v22
	v_and_b32_e32 v23, 7, v23
	v_cmp_eq_u16_e32 vcc, 0, v20
	v_cndmask_b32_e32 v14, v14, v23, vcc
	v_cndmask_b32_e32 v20, v21, v22, vcc
	v_lshlrev_b32_e32 v21, 8, v11
	v_mov_b32_e32 v22, 0x3b800000
	v_lshlrev_b32_e32 v14, 20, v14
	v_and_b32_e32 v21, 0x80000000, v21
	v_lshl_add_u32 v20, v20, 23, v22
	v_or3_b32 v20, v21, v20, v14
.LBB1_568:
	s_or_b64 exec, exec, s[6:7]
	s_nop 0
	v_mfma_f32_16x16x4f32 a[0:3], v10, v20, a[0:3]
	s_movk_i32 s4, 0x7f
	v_cmp_gt_i16_sdwa s[6:7], v15, s4 src0_sel:BYTE_3 src1_sel:DWORD
	s_mov_b64 s[4:5], 0
                                        ; implicit-def: $sgpr10
	s_and_saveexec_b64 s[8:9], s[6:7]
	s_xor_b64 s[6:7], exec, s[8:9]
	s_cbranch_execnz .LBB1_2617
; %bb.569:
	s_or_saveexec_b64 s[6:7], s[6:7]
	v_mov_b32_e32 v10, s10
	s_xor_b64 exec, exec, s[6:7]
	s_cbranch_execnz .LBB1_2620
.LBB1_570:
	s_or_b64 exec, exec, s[6:7]
	s_and_saveexec_b64 s[6:7], s[4:5]
	s_cbranch_execz .LBB1_572
.LBB1_571:
	v_bfe_u32 v10, v15, 24, 3
	v_ffbh_u32_e32 v22, v10
	v_min_u32_e32 v22, 32, v22
	v_lshrrev_b32_e32 v20, 27, v15
	v_subrev_u32_e32 v23, 28, v22
	v_and_b32_e32 v14, 0x80000000, v15
	v_and_b32_e32 v20, 15, v20
	v_bfe_u32 v21, v15, 27, 4
	v_lshlrev_b32_sdwa v15, v23, v15 dst_sel:DWORD dst_unused:UNUSED_PAD src0_sel:DWORD src1_sel:BYTE_3
	v_sub_u32_e32 v22, 29, v22
	v_and_b32_e32 v15, 7, v15
	v_cmp_eq_u16_e32 vcc, 0, v20
	v_cndmask_b32_e32 v10, v10, v15, vcc
	v_cndmask_b32_e32 v15, v21, v22, vcc
	v_mov_b32_e32 v20, 0x3b800000
	v_lshlrev_b32_e32 v10, 20, v10
	v_lshl_add_u32 v15, v15, 23, v20
	v_or3_b32 v10, v14, v15, v10
.LBB1_572:
	s_or_b64 exec, exec, s[6:7]
	s_movk_i32 s4, 0x7f
	v_cmp_gt_i16_sdwa s[6:7], v11, s4 src0_sel:BYTE_3 src1_sel:DWORD
	s_mov_b64 s[4:5], 0
                                        ; implicit-def: $sgpr10
	s_and_saveexec_b64 s[8:9], s[6:7]
	s_xor_b64 s[6:7], exec, s[8:9]
	s_cbranch_execnz .LBB1_2621
; %bb.573:
	s_or_saveexec_b64 s[6:7], s[6:7]
	v_mov_b32_e32 v14, s10
	s_xor_b64 exec, exec, s[6:7]
	s_cbranch_execnz .LBB1_2624
.LBB1_574:
	s_or_b64 exec, exec, s[6:7]
	s_and_saveexec_b64 s[6:7], s[4:5]
	s_cbranch_execz .LBB1_576
.LBB1_575:
	v_bfe_u32 v14, v11, 24, 3
	v_ffbh_u32_e32 v22, v14
	v_min_u32_e32 v22, 32, v22
	v_lshrrev_b32_e32 v20, 27, v11
	v_subrev_u32_e32 v23, 28, v22
	v_and_b32_e32 v15, 0x80000000, v11
	v_and_b32_e32 v20, 15, v20
	v_bfe_u32 v21, v11, 27, 4
	v_lshlrev_b32_sdwa v11, v23, v11 dst_sel:DWORD dst_unused:UNUSED_PAD src0_sel:DWORD src1_sel:BYTE_3
	v_sub_u32_e32 v22, 29, v22
	v_and_b32_e32 v11, 7, v11
	v_cmp_eq_u16_e32 vcc, 0, v20
	v_cndmask_b32_e32 v11, v14, v11, vcc
	v_cndmask_b32_e32 v14, v21, v22, vcc
	v_mov_b32_e32 v20, 0x3b800000
	v_lshlrev_b32_e32 v11, 20, v11
	v_lshl_add_u32 v14, v14, 23, v20
	v_or3_b32 v14, v15, v14, v11
.LBB1_576:
	s_or_b64 exec, exec, s[6:7]
	s_nop 0
	v_mfma_f32_16x16x4f32 a[0:3], v10, v14, a[0:3]
	s_movk_i32 s4, 0x7f
	v_cmp_gt_i16_sdwa s[6:7], v16, s4 src0_sel:BYTE_0 src1_sel:DWORD
	s_mov_b64 s[4:5], 0
                                        ; implicit-def: $sgpr10
	s_and_saveexec_b64 s[8:9], s[6:7]
	s_xor_b64 s[6:7], exec, s[8:9]
	s_cbranch_execnz .LBB1_2625
; %bb.577:
	s_or_saveexec_b64 s[6:7], s[6:7]
	v_mov_b32_e32 v10, s10
	s_xor_b64 exec, exec, s[6:7]
	s_cbranch_execnz .LBB1_2628
.LBB1_578:
	s_or_b64 exec, exec, s[6:7]
	s_and_saveexec_b64 s[6:7], s[4:5]
	s_cbranch_execz .LBB1_580
.LBB1_579:
	v_and_b32_e32 v10, 7, v16
	v_ffbh_u32_e32 v14, v10
	v_min_u32_e32 v14, 32, v14
	v_lshrrev_b16_e32 v11, 3, v16
	v_subrev_u32_e32 v15, 28, v14
	v_and_b32_e32 v11, 15, v11
	v_lshlrev_b32_e32 v15, v15, v16
	v_sub_u32_e32 v14, 29, v14
	v_and_b32_e32 v15, 7, v15
	v_cmp_eq_u16_e32 vcc, 0, v11
	v_cndmask_b32_e32 v10, v10, v15, vcc
	v_cndmask_b32_e32 v11, v11, v14, vcc
	v_lshlrev_b32_e32 v14, 24, v16
	v_mov_b32_e32 v15, 0x3b800000
	v_lshlrev_b32_e32 v10, 20, v10
	v_and_b32_e32 v14, 0x80000000, v14
	v_lshl_add_u32 v11, v11, 23, v15
	v_or3_b32 v10, v14, v11, v10
.LBB1_580:
	s_or_b64 exec, exec, s[6:7]
	s_movk_i32 s4, 0x7f
	v_cmp_gt_i16_sdwa s[6:7], v12, s4 src0_sel:BYTE_0 src1_sel:DWORD
	s_mov_b64 s[4:5], 0
                                        ; implicit-def: $sgpr10
	s_and_saveexec_b64 s[8:9], s[6:7]
	s_xor_b64 s[6:7], exec, s[8:9]
	s_cbranch_execnz .LBB1_2629
; %bb.581:
	s_or_saveexec_b64 s[6:7], s[6:7]
	v_mov_b32_e32 v11, s10
	s_xor_b64 exec, exec, s[6:7]
	s_cbranch_execnz .LBB1_2632
.LBB1_582:
	s_or_b64 exec, exec, s[6:7]
	s_and_saveexec_b64 s[6:7], s[4:5]
	s_cbranch_execz .LBB1_584
.LBB1_583:
	v_and_b32_e32 v11, 7, v12
	v_ffbh_u32_e32 v15, v11
	v_min_u32_e32 v15, 32, v15
	v_lshrrev_b16_e32 v14, 3, v12
	v_subrev_u32_e32 v20, 28, v15
	v_and_b32_e32 v14, 15, v14
	v_lshlrev_b32_e32 v20, v20, v12
	v_sub_u32_e32 v15, 29, v15
	v_and_b32_e32 v20, 7, v20
	v_cmp_eq_u16_e32 vcc, 0, v14
	v_cndmask_b32_e32 v11, v11, v20, vcc
	v_cndmask_b32_e32 v14, v14, v15, vcc
	v_lshlrev_b32_e32 v15, 24, v12
	v_mov_b32_e32 v20, 0x3b800000
	v_lshlrev_b32_e32 v11, 20, v11
	v_and_b32_e32 v15, 0x80000000, v15
	v_lshl_add_u32 v14, v14, 23, v20
	v_or3_b32 v11, v15, v14, v11
.LBB1_584:
	s_or_b64 exec, exec, s[6:7]
	s_nop 0
	v_mfma_f32_16x16x4f32 a[0:3], v10, v11, a[0:3]
	v_lshrrev_b32_e32 v11, 8, v16
	s_movk_i32 s4, 0x7f
	v_cmp_gt_i16_sdwa s[6:7], v11, s4 src0_sel:BYTE_0 src1_sel:DWORD
	s_mov_b64 s[4:5], 0
                                        ; implicit-def: $sgpr10
	s_and_saveexec_b64 s[8:9], s[6:7]
	s_xor_b64 s[6:7], exec, s[8:9]
	s_cbranch_execnz .LBB1_2633
; %bb.585:
	s_or_saveexec_b64 s[6:7], s[6:7]
	v_mov_b32_e32 v10, s10
	s_xor_b64 exec, exec, s[6:7]
	s_cbranch_execnz .LBB1_2636
.LBB1_586:
	s_or_b64 exec, exec, s[6:7]
	s_and_saveexec_b64 s[6:7], s[4:5]
	s_cbranch_execz .LBB1_588
.LBB1_587:
	v_bfe_u32 v10, v16, 8, 3
	v_ffbh_u32_e32 v15, v10
	v_min_u32_e32 v15, 32, v15
	v_lshrrev_b16_e32 v14, 3, v11
	v_subrev_u32_e32 v20, 28, v15
	v_and_b32_e32 v14, 15, v14
	v_lshlrev_b32_e32 v11, v20, v11
	v_sub_u32_e32 v15, 29, v15
	v_and_b32_e32 v11, 7, v11
	v_cmp_eq_u16_e32 vcc, 0, v14
	v_cndmask_b32_e32 v10, v10, v11, vcc
	v_cndmask_b32_e32 v11, v14, v15, vcc
	v_lshlrev_b32_e32 v14, 16, v16
	v_mov_b32_e32 v15, 0x3b800000
	v_lshlrev_b32_e32 v10, 20, v10
	v_and_b32_e32 v14, 0x80000000, v14
	v_lshl_add_u32 v11, v11, 23, v15
	v_or3_b32 v10, v14, v11, v10
.LBB1_588:
	s_or_b64 exec, exec, s[6:7]
	v_lshrrev_b32_e32 v11, 8, v12
	s_movk_i32 s4, 0x7f
	v_cmp_gt_i16_sdwa s[6:7], v11, s4 src0_sel:BYTE_0 src1_sel:DWORD
	s_mov_b64 s[4:5], 0
                                        ; implicit-def: $sgpr10
	s_and_saveexec_b64 s[8:9], s[6:7]
	s_xor_b64 s[6:7], exec, s[8:9]
	s_cbranch_execnz .LBB1_2637
; %bb.589:
	s_or_saveexec_b64 s[6:7], s[6:7]
	v_mov_b32_e32 v14, s10
	s_xor_b64 exec, exec, s[6:7]
	s_cbranch_execnz .LBB1_2640
.LBB1_590:
	s_or_b64 exec, exec, s[6:7]
	s_and_saveexec_b64 s[6:7], s[4:5]
	s_cbranch_execz .LBB1_592
.LBB1_591:
	v_bfe_u32 v14, v12, 8, 3
	v_ffbh_u32_e32 v20, v14
	v_min_u32_e32 v20, 32, v20
	v_lshrrev_b16_e32 v15, 3, v11
	v_subrev_u32_e32 v21, 28, v20
	v_and_b32_e32 v15, 15, v15
	v_lshlrev_b32_e32 v11, v21, v11
	v_sub_u32_e32 v20, 29, v20
	v_and_b32_e32 v11, 7, v11
	v_cmp_eq_u16_e32 vcc, 0, v15
	v_cndmask_b32_e32 v11, v14, v11, vcc
	v_cndmask_b32_e32 v14, v15, v20, vcc
	v_lshlrev_b32_e32 v15, 16, v12
	v_mov_b32_e32 v20, 0x3b800000
	v_lshlrev_b32_e32 v11, 20, v11
	v_and_b32_e32 v15, 0x80000000, v15
	v_lshl_add_u32 v14, v14, 23, v20
	v_or3_b32 v14, v15, v14, v11
.LBB1_592:
	s_or_b64 exec, exec, s[6:7]
	s_nop 0
	v_mfma_f32_16x16x4f32 a[0:3], v10, v14, a[0:3]
	s_movk_i32 s4, 0xff
	v_and_b32_sdwa v11, v16, s4 dst_sel:DWORD dst_unused:UNUSED_PAD src0_sel:WORD_1 src1_sel:DWORD
	s_movk_i32 s4, 0x7f
	v_cmp_lt_i16_e32 vcc, s4, v11
	s_mov_b64 s[4:5], 0
                                        ; implicit-def: $sgpr10
	s_and_saveexec_b64 s[6:7], vcc
	s_xor_b64 s[6:7], exec, s[6:7]
	s_cbranch_execnz .LBB1_2641
; %bb.593:
	s_or_saveexec_b64 s[6:7], s[6:7]
	v_mov_b32_e32 v10, s10
	s_xor_b64 exec, exec, s[6:7]
	s_cbranch_execnz .LBB1_2644
.LBB1_594:
	s_or_b64 exec, exec, s[6:7]
	s_and_saveexec_b64 s[6:7], s[4:5]
	s_cbranch_execz .LBB1_596
.LBB1_595:
	v_bfe_u32 v10, v16, 16, 3
	v_ffbh_u32_e32 v15, v10
	v_min_u32_e32 v15, 32, v15
	v_lshrrev_b32_e32 v11, 19, v16
	v_subrev_u32_e32 v20, 28, v15
	v_and_b32_e32 v11, 15, v11
	v_lshlrev_b32_sdwa v20, v20, v16 dst_sel:DWORD dst_unused:UNUSED_PAD src0_sel:DWORD src1_sel:WORD_1
	v_bfe_u32 v14, v16, 19, 4
	v_sub_u32_e32 v15, 29, v15
	v_and_b32_e32 v20, 7, v20
	v_cmp_eq_u16_e32 vcc, 0, v11
	v_cndmask_b32_e32 v10, v10, v20, vcc
	v_cndmask_b32_e32 v11, v14, v15, vcc
	v_lshlrev_b32_e32 v14, 8, v16
	v_mov_b32_e32 v15, 0x3b800000
	v_lshlrev_b32_e32 v10, 20, v10
	v_and_b32_e32 v14, 0x80000000, v14
	v_lshl_add_u32 v11, v11, 23, v15
	v_or3_b32 v10, v14, v11, v10
.LBB1_596:
	s_or_b64 exec, exec, s[6:7]
	s_movk_i32 s4, 0xff
	v_and_b32_sdwa v11, v12, s4 dst_sel:DWORD dst_unused:UNUSED_PAD src0_sel:WORD_1 src1_sel:DWORD
	s_movk_i32 s4, 0x7f
	v_cmp_lt_i16_e32 vcc, s4, v11
	s_mov_b64 s[4:5], 0
                                        ; implicit-def: $sgpr10
	s_and_saveexec_b64 s[6:7], vcc
	s_xor_b64 s[6:7], exec, s[6:7]
	s_cbranch_execnz .LBB1_2645
; %bb.597:
	s_or_saveexec_b64 s[6:7], s[6:7]
	v_mov_b32_e32 v14, s10
	s_xor_b64 exec, exec, s[6:7]
	s_cbranch_execnz .LBB1_2648
.LBB1_598:
	s_or_b64 exec, exec, s[6:7]
	s_and_saveexec_b64 s[6:7], s[4:5]
	s_cbranch_execz .LBB1_600
.LBB1_599:
	v_bfe_u32 v11, v12, 16, 3
	v_ffbh_u32_e32 v20, v11
	v_min_u32_e32 v20, 32, v20
	v_lshrrev_b32_e32 v14, 19, v12
	v_subrev_u32_e32 v21, 28, v20
	v_and_b32_e32 v14, 15, v14
	v_lshlrev_b32_sdwa v21, v21, v12 dst_sel:DWORD dst_unused:UNUSED_PAD src0_sel:DWORD src1_sel:WORD_1
	v_bfe_u32 v15, v12, 19, 4
	v_sub_u32_e32 v20, 29, v20
	v_and_b32_e32 v21, 7, v21
	v_cmp_eq_u16_e32 vcc, 0, v14
	v_cndmask_b32_e32 v11, v11, v21, vcc
	v_cndmask_b32_e32 v14, v15, v20, vcc
	v_lshlrev_b32_e32 v15, 8, v12
	v_mov_b32_e32 v20, 0x3b800000
	v_lshlrev_b32_e32 v11, 20, v11
	v_and_b32_e32 v15, 0x80000000, v15
	v_lshl_add_u32 v14, v14, 23, v20
	v_or3_b32 v14, v15, v14, v11
.LBB1_600:
	s_or_b64 exec, exec, s[6:7]
	s_nop 0
	v_mfma_f32_16x16x4f32 a[0:3], v10, v14, a[0:3]
	s_movk_i32 s4, 0x7f
	v_cmp_gt_i16_sdwa s[6:7], v16, s4 src0_sel:BYTE_3 src1_sel:DWORD
	s_mov_b64 s[4:5], 0
                                        ; implicit-def: $sgpr10
	s_and_saveexec_b64 s[8:9], s[6:7]
	s_xor_b64 s[6:7], exec, s[8:9]
	s_cbranch_execnz .LBB1_2649
; %bb.601:
	s_or_saveexec_b64 s[6:7], s[6:7]
	v_mov_b32_e32 v10, s10
	s_xor_b64 exec, exec, s[6:7]
	s_cbranch_execnz .LBB1_2652
.LBB1_602:
	s_or_b64 exec, exec, s[6:7]
	s_and_saveexec_b64 s[6:7], s[4:5]
	s_cbranch_execz .LBB1_604
.LBB1_603:
	v_bfe_u32 v10, v16, 24, 3
	v_ffbh_u32_e32 v20, v10
	v_min_u32_e32 v20, 32, v20
	v_lshrrev_b32_e32 v14, 27, v16
	v_subrev_u32_e32 v21, 28, v20
	v_and_b32_e32 v11, 0x80000000, v16
	v_and_b32_e32 v14, 15, v14
	v_bfe_u32 v15, v16, 27, 4
	v_lshlrev_b32_sdwa v16, v21, v16 dst_sel:DWORD dst_unused:UNUSED_PAD src0_sel:DWORD src1_sel:BYTE_3
	v_sub_u32_e32 v20, 29, v20
	v_and_b32_e32 v16, 7, v16
	v_cmp_eq_u16_e32 vcc, 0, v14
	v_cndmask_b32_e32 v10, v10, v16, vcc
	v_cndmask_b32_e32 v14, v15, v20, vcc
	v_mov_b32_e32 v15, 0x3b800000
	v_lshlrev_b32_e32 v10, 20, v10
	v_lshl_add_u32 v14, v14, 23, v15
	v_or3_b32 v10, v11, v14, v10
.LBB1_604:
	s_or_b64 exec, exec, s[6:7]
	s_movk_i32 s4, 0x7f
	v_cmp_gt_i16_sdwa s[6:7], v12, s4 src0_sel:BYTE_3 src1_sel:DWORD
	s_mov_b64 s[4:5], 0
                                        ; implicit-def: $sgpr10
	s_and_saveexec_b64 s[8:9], s[6:7]
	s_xor_b64 s[6:7], exec, s[8:9]
	s_cbranch_execnz .LBB1_2653
; %bb.605:
	s_or_saveexec_b64 s[6:7], s[6:7]
	v_mov_b32_e32 v11, s10
	s_xor_b64 exec, exec, s[6:7]
	s_cbranch_execnz .LBB1_2656
.LBB1_606:
	s_or_b64 exec, exec, s[6:7]
	s_and_saveexec_b64 s[6:7], s[4:5]
	s_cbranch_execz .LBB1_608
.LBB1_607:
	v_bfe_u32 v11, v12, 24, 3
	v_ffbh_u32_e32 v20, v11
	v_min_u32_e32 v20, 32, v20
	v_lshrrev_b32_e32 v15, 27, v12
	v_subrev_u32_e32 v21, 28, v20
	v_and_b32_e32 v14, 0x80000000, v12
	v_and_b32_e32 v15, 15, v15
	v_bfe_u32 v16, v12, 27, 4
	v_lshlrev_b32_sdwa v12, v21, v12 dst_sel:DWORD dst_unused:UNUSED_PAD src0_sel:DWORD src1_sel:BYTE_3
	v_sub_u32_e32 v20, 29, v20
	v_and_b32_e32 v12, 7, v12
	v_cmp_eq_u16_e32 vcc, 0, v15
	v_cndmask_b32_e32 v11, v11, v12, vcc
	v_cndmask_b32_e32 v12, v16, v20, vcc
	v_mov_b32_e32 v15, 0x3b800000
	v_lshlrev_b32_e32 v11, 20, v11
	v_lshl_add_u32 v12, v12, 23, v15
	v_or3_b32 v11, v14, v12, v11
.LBB1_608:
	s_or_b64 exec, exec, s[6:7]
	s_nop 0
	v_mfma_f32_16x16x4f32 a[0:3], v10, v11, a[0:3]
	s_movk_i32 s4, 0x7f
	v_cmp_gt_i16_sdwa s[6:7], v17, s4 src0_sel:BYTE_0 src1_sel:DWORD
	s_mov_b64 s[4:5], 0
                                        ; implicit-def: $sgpr10
	s_and_saveexec_b64 s[8:9], s[6:7]
	s_xor_b64 s[6:7], exec, s[8:9]
	s_cbranch_execnz .LBB1_2657
; %bb.609:
	s_or_saveexec_b64 s[6:7], s[6:7]
	v_mov_b32_e32 v10, s10
	s_xor_b64 exec, exec, s[6:7]
	s_cbranch_execnz .LBB1_2660
.LBB1_610:
	s_or_b64 exec, exec, s[6:7]
	s_and_saveexec_b64 s[6:7], s[4:5]
	s_cbranch_execz .LBB1_612
.LBB1_611:
	v_and_b32_e32 v10, 7, v17
	v_ffbh_u32_e32 v12, v10
	v_min_u32_e32 v12, 32, v12
	v_lshrrev_b16_e32 v11, 3, v17
	v_subrev_u32_e32 v14, 28, v12
	v_and_b32_e32 v11, 15, v11
	v_lshlrev_b32_e32 v14, v14, v17
	v_sub_u32_e32 v12, 29, v12
	v_and_b32_e32 v14, 7, v14
	v_cmp_eq_u16_e32 vcc, 0, v11
	v_cndmask_b32_e32 v10, v10, v14, vcc
	v_cndmask_b32_e32 v11, v11, v12, vcc
	v_lshlrev_b32_e32 v12, 24, v17
	v_mov_b32_e32 v14, 0x3b800000
	v_lshlrev_b32_e32 v10, 20, v10
	v_and_b32_e32 v12, 0x80000000, v12
	v_lshl_add_u32 v11, v11, 23, v14
	v_or3_b32 v10, v12, v11, v10
.LBB1_612:
	s_or_b64 exec, exec, s[6:7]
	s_movk_i32 s4, 0x7f
	v_cmp_gt_i16_sdwa s[6:7], v13, s4 src0_sel:BYTE_0 src1_sel:DWORD
	s_mov_b64 s[4:5], 0
                                        ; implicit-def: $sgpr10
	s_and_saveexec_b64 s[8:9], s[6:7]
	s_xor_b64 s[6:7], exec, s[8:9]
	s_cbranch_execnz .LBB1_2661
; %bb.613:
	s_or_saveexec_b64 s[6:7], s[6:7]
	v_mov_b32_e32 v11, s10
	s_xor_b64 exec, exec, s[6:7]
	s_cbranch_execnz .LBB1_2664
.LBB1_614:
	s_or_b64 exec, exec, s[6:7]
	s_and_saveexec_b64 s[6:7], s[4:5]
	s_cbranch_execz .LBB1_616
.LBB1_615:
	v_and_b32_e32 v11, 7, v13
	v_ffbh_u32_e32 v14, v11
	v_min_u32_e32 v14, 32, v14
	v_lshrrev_b16_e32 v12, 3, v13
	v_subrev_u32_e32 v15, 28, v14
	v_and_b32_e32 v12, 15, v12
	v_lshlrev_b32_e32 v15, v15, v13
	v_sub_u32_e32 v14, 29, v14
	v_and_b32_e32 v15, 7, v15
	v_cmp_eq_u16_e32 vcc, 0, v12
	v_cndmask_b32_e32 v11, v11, v15, vcc
	v_cndmask_b32_e32 v12, v12, v14, vcc
	v_lshlrev_b32_e32 v14, 24, v13
	v_mov_b32_e32 v15, 0x3b800000
	v_lshlrev_b32_e32 v11, 20, v11
	v_and_b32_e32 v14, 0x80000000, v14
	v_lshl_add_u32 v12, v12, 23, v15
	v_or3_b32 v11, v14, v12, v11
.LBB1_616:
	s_or_b64 exec, exec, s[6:7]
	s_nop 0
	v_mfma_f32_16x16x4f32 a[0:3], v10, v11, a[0:3]
	v_lshrrev_b32_e32 v11, 8, v17
	s_movk_i32 s4, 0x7f
	v_cmp_gt_i16_sdwa s[6:7], v11, s4 src0_sel:BYTE_0 src1_sel:DWORD
	s_mov_b64 s[4:5], 0
                                        ; implicit-def: $sgpr10
	s_and_saveexec_b64 s[8:9], s[6:7]
	s_xor_b64 s[6:7], exec, s[8:9]
	s_cbranch_execnz .LBB1_2665
; %bb.617:
	s_or_saveexec_b64 s[6:7], s[6:7]
	v_mov_b32_e32 v10, s10
	s_xor_b64 exec, exec, s[6:7]
	s_cbranch_execnz .LBB1_2668
.LBB1_618:
	s_or_b64 exec, exec, s[6:7]
	s_and_saveexec_b64 s[6:7], s[4:5]
	s_cbranch_execz .LBB1_620
.LBB1_619:
	v_bfe_u32 v10, v17, 8, 3
	v_ffbh_u32_e32 v14, v10
	v_min_u32_e32 v14, 32, v14
	v_lshrrev_b16_e32 v12, 3, v11
	v_subrev_u32_e32 v15, 28, v14
	v_and_b32_e32 v12, 15, v12
	v_lshlrev_b32_e32 v11, v15, v11
	v_sub_u32_e32 v14, 29, v14
	v_and_b32_e32 v11, 7, v11
	v_cmp_eq_u16_e32 vcc, 0, v12
	v_cndmask_b32_e32 v10, v10, v11, vcc
	v_cndmask_b32_e32 v11, v12, v14, vcc
	v_lshlrev_b32_e32 v12, 16, v17
	v_mov_b32_e32 v14, 0x3b800000
	v_lshlrev_b32_e32 v10, 20, v10
	v_and_b32_e32 v12, 0x80000000, v12
	v_lshl_add_u32 v11, v11, 23, v14
	v_or3_b32 v10, v12, v11, v10
.LBB1_620:
	s_or_b64 exec, exec, s[6:7]
	v_lshrrev_b32_e32 v11, 8, v13
	s_movk_i32 s4, 0x7f
	v_cmp_gt_i16_sdwa s[6:7], v11, s4 src0_sel:BYTE_0 src1_sel:DWORD
	s_mov_b64 s[4:5], 0
                                        ; implicit-def: $sgpr10
	s_and_saveexec_b64 s[8:9], s[6:7]
	s_xor_b64 s[6:7], exec, s[8:9]
	s_cbranch_execnz .LBB1_2669
; %bb.621:
	s_or_saveexec_b64 s[6:7], s[6:7]
	v_mov_b32_e32 v12, s10
	s_xor_b64 exec, exec, s[6:7]
	s_cbranch_execnz .LBB1_2672
.LBB1_622:
	s_or_b64 exec, exec, s[6:7]
	s_and_saveexec_b64 s[6:7], s[4:5]
	s_cbranch_execz .LBB1_624
.LBB1_623:
	v_bfe_u32 v12, v13, 8, 3
	v_ffbh_u32_e32 v15, v12
	v_min_u32_e32 v15, 32, v15
	v_lshrrev_b16_e32 v14, 3, v11
	v_subrev_u32_e32 v16, 28, v15
	v_and_b32_e32 v14, 15, v14
	v_lshlrev_b32_e32 v11, v16, v11
	v_sub_u32_e32 v15, 29, v15
	v_and_b32_e32 v11, 7, v11
	v_cmp_eq_u16_e32 vcc, 0, v14
	v_cndmask_b32_e32 v11, v12, v11, vcc
	v_cndmask_b32_e32 v12, v14, v15, vcc
	v_lshlrev_b32_e32 v14, 16, v13
	v_mov_b32_e32 v15, 0x3b800000
	v_lshlrev_b32_e32 v11, 20, v11
	v_and_b32_e32 v14, 0x80000000, v14
	v_lshl_add_u32 v12, v12, 23, v15
	v_or3_b32 v12, v14, v12, v11
.LBB1_624:
	s_or_b64 exec, exec, s[6:7]
	s_nop 0
	v_mfma_f32_16x16x4f32 a[0:3], v10, v12, a[0:3]
	s_movk_i32 s4, 0xff
	v_and_b32_sdwa v11, v17, s4 dst_sel:DWORD dst_unused:UNUSED_PAD src0_sel:WORD_1 src1_sel:DWORD
	s_movk_i32 s4, 0x7f
	v_cmp_lt_i16_e32 vcc, s4, v11
	s_mov_b64 s[4:5], 0
                                        ; implicit-def: $sgpr10
	s_and_saveexec_b64 s[6:7], vcc
	s_xor_b64 s[6:7], exec, s[6:7]
	s_cbranch_execnz .LBB1_2673
; %bb.625:
	s_or_saveexec_b64 s[6:7], s[6:7]
	v_mov_b32_e32 v10, s10
	s_xor_b64 exec, exec, s[6:7]
	s_cbranch_execnz .LBB1_2676
.LBB1_626:
	s_or_b64 exec, exec, s[6:7]
	s_and_saveexec_b64 s[6:7], s[4:5]
	s_cbranch_execz .LBB1_628
.LBB1_627:
	v_bfe_u32 v10, v17, 16, 3
	v_ffbh_u32_e32 v14, v10
	v_min_u32_e32 v14, 32, v14
	v_lshrrev_b32_e32 v11, 19, v17
	v_subrev_u32_e32 v15, 28, v14
	v_and_b32_e32 v11, 15, v11
	v_lshlrev_b32_sdwa v15, v15, v17 dst_sel:DWORD dst_unused:UNUSED_PAD src0_sel:DWORD src1_sel:WORD_1
	v_bfe_u32 v12, v17, 19, 4
	v_sub_u32_e32 v14, 29, v14
	v_and_b32_e32 v15, 7, v15
	v_cmp_eq_u16_e32 vcc, 0, v11
	v_cndmask_b32_e32 v10, v10, v15, vcc
	v_cndmask_b32_e32 v11, v12, v14, vcc
	v_lshlrev_b32_e32 v12, 8, v17
	v_mov_b32_e32 v14, 0x3b800000
	v_lshlrev_b32_e32 v10, 20, v10
	v_and_b32_e32 v12, 0x80000000, v12
	v_lshl_add_u32 v11, v11, 23, v14
	v_or3_b32 v10, v12, v11, v10
.LBB1_628:
	s_or_b64 exec, exec, s[6:7]
	s_movk_i32 s4, 0xff
	v_and_b32_sdwa v11, v13, s4 dst_sel:DWORD dst_unused:UNUSED_PAD src0_sel:WORD_1 src1_sel:DWORD
	s_movk_i32 s4, 0x7f
	v_cmp_lt_i16_e32 vcc, s4, v11
	s_mov_b64 s[4:5], 0
                                        ; implicit-def: $sgpr10
	s_and_saveexec_b64 s[6:7], vcc
	s_xor_b64 s[6:7], exec, s[6:7]
	s_cbranch_execnz .LBB1_2677
; %bb.629:
	s_or_saveexec_b64 s[6:7], s[6:7]
	v_mov_b32_e32 v12, s10
	s_xor_b64 exec, exec, s[6:7]
	s_cbranch_execnz .LBB1_2680
.LBB1_630:
	s_or_b64 exec, exec, s[6:7]
	s_and_saveexec_b64 s[6:7], s[4:5]
	s_cbranch_execz .LBB1_632
.LBB1_631:
	v_bfe_u32 v11, v13, 16, 3
	v_ffbh_u32_e32 v15, v11
	v_min_u32_e32 v15, 32, v15
	v_lshrrev_b32_e32 v12, 19, v13
	v_subrev_u32_e32 v16, 28, v15
	v_and_b32_e32 v12, 15, v12
	v_lshlrev_b32_sdwa v16, v16, v13 dst_sel:DWORD dst_unused:UNUSED_PAD src0_sel:DWORD src1_sel:WORD_1
	v_bfe_u32 v14, v13, 19, 4
	v_sub_u32_e32 v15, 29, v15
	v_and_b32_e32 v16, 7, v16
	v_cmp_eq_u16_e32 vcc, 0, v12
	v_cndmask_b32_e32 v11, v11, v16, vcc
	v_cndmask_b32_e32 v12, v14, v15, vcc
	v_lshlrev_b32_e32 v14, 8, v13
	v_mov_b32_e32 v15, 0x3b800000
	v_lshlrev_b32_e32 v11, 20, v11
	v_and_b32_e32 v14, 0x80000000, v14
	v_lshl_add_u32 v12, v12, 23, v15
	v_or3_b32 v12, v14, v12, v11
.LBB1_632:
	s_or_b64 exec, exec, s[6:7]
	s_nop 0
	v_mfma_f32_16x16x4f32 a[0:3], v10, v12, a[0:3]
	s_movk_i32 s4, 0x7f
	v_cmp_gt_i16_sdwa s[6:7], v17, s4 src0_sel:BYTE_3 src1_sel:DWORD
	s_mov_b64 s[4:5], 0
                                        ; implicit-def: $sgpr10
	s_and_saveexec_b64 s[8:9], s[6:7]
	s_xor_b64 s[6:7], exec, s[8:9]
	s_cbranch_execnz .LBB1_2681
; %bb.633:
	s_or_saveexec_b64 s[6:7], s[6:7]
	v_mov_b32_e32 v10, s10
	s_xor_b64 exec, exec, s[6:7]
	s_cbranch_execnz .LBB1_2684
.LBB1_634:
	s_or_b64 exec, exec, s[6:7]
	s_and_saveexec_b64 s[6:7], s[4:5]
	s_cbranch_execz .LBB1_636
.LBB1_635:
	v_bfe_u32 v10, v17, 24, 3
	v_ffbh_u32_e32 v15, v10
	v_min_u32_e32 v15, 32, v15
	v_lshrrev_b32_e32 v12, 27, v17
	v_subrev_u32_e32 v16, 28, v15
	v_and_b32_e32 v12, 15, v12
	v_lshlrev_b32_sdwa v16, v16, v17 dst_sel:DWORD dst_unused:UNUSED_PAD src0_sel:DWORD src1_sel:BYTE_3
	v_bfe_u32 v14, v17, 27, 4
	v_sub_u32_e32 v15, 29, v15
	v_and_b32_e32 v16, 7, v16
	v_cmp_eq_u16_e32 vcc, 0, v12
	v_cndmask_b32_e32 v10, v10, v16, vcc
	v_cndmask_b32_e32 v12, v14, v15, vcc
	v_mov_b32_e32 v14, 0x3b800000
	v_and_b32_e32 v11, 0x80000000, v17
	v_lshlrev_b32_e32 v10, 20, v10
	v_lshl_add_u32 v12, v12, 23, v14
	v_or3_b32 v10, v11, v12, v10
.LBB1_636:
	s_or_b64 exec, exec, s[6:7]
	s_movk_i32 s4, 0x7f
	v_cmp_gt_i16_sdwa s[6:7], v13, s4 src0_sel:BYTE_3 src1_sel:DWORD
	s_mov_b64 s[4:5], 0
                                        ; implicit-def: $sgpr10
	s_and_saveexec_b64 s[8:9], s[6:7]
	s_xor_b64 s[6:7], exec, s[8:9]
	s_cbranch_execnz .LBB1_2685
; %bb.637:
	s_or_saveexec_b64 s[6:7], s[6:7]
	v_mov_b32_e32 v11, s10
	s_xor_b64 exec, exec, s[6:7]
	s_cbranch_execnz .LBB1_2688
.LBB1_638:
	s_or_b64 exec, exec, s[6:7]
	s_and_saveexec_b64 s[6:7], s[4:5]
	s_cbranch_execz .LBB1_640
.LBB1_639:
	v_bfe_u32 v11, v13, 24, 3
	v_ffbh_u32_e32 v16, v11
	v_min_u32_e32 v16, 32, v16
	v_lshrrev_b32_e32 v14, 27, v13
	v_subrev_u32_e32 v17, 28, v16
	v_and_b32_e32 v12, 0x80000000, v13
	v_and_b32_e32 v14, 15, v14
	v_bfe_u32 v15, v13, 27, 4
	v_lshlrev_b32_sdwa v13, v17, v13 dst_sel:DWORD dst_unused:UNUSED_PAD src0_sel:DWORD src1_sel:BYTE_3
	v_sub_u32_e32 v16, 29, v16
	v_and_b32_e32 v13, 7, v13
	v_cmp_eq_u16_e32 vcc, 0, v14
	v_cndmask_b32_e32 v11, v11, v13, vcc
	v_cndmask_b32_e32 v13, v15, v16, vcc
	v_mov_b32_e32 v14, 0x3b800000
	v_lshlrev_b32_e32 v11, 20, v11
	v_lshl_add_u32 v13, v13, 23, v14
	v_or3_b32 v11, v12, v13, v11
.LBB1_640:
	s_or_b64 exec, exec, s[6:7]
	s_nop 0
	v_mfma_f32_16x16x4f32 a[0:3], v10, v11, a[0:3]
	s_movk_i32 s4, 0x7f
	v_cmp_gt_i16_sdwa s[6:7], v6, s4 src0_sel:BYTE_0 src1_sel:DWORD
	s_mov_b64 s[4:5], 0
                                        ; implicit-def: $sgpr10
	s_and_saveexec_b64 s[8:9], s[6:7]
	s_xor_b64 s[6:7], exec, s[8:9]
	s_cbranch_execnz .LBB1_2689
; %bb.641:
	s_or_saveexec_b64 s[6:7], s[6:7]
	v_mov_b32_e32 v10, s10
	s_xor_b64 exec, exec, s[6:7]
	s_cbranch_execnz .LBB1_2692
.LBB1_642:
	s_or_b64 exec, exec, s[6:7]
	s_and_saveexec_b64 s[6:7], s[4:5]
	s_cbranch_execz .LBB1_644
.LBB1_643:
	v_and_b32_e32 v10, 7, v6
	v_ffbh_u32_e32 v12, v10
	v_min_u32_e32 v12, 32, v12
	v_lshrrev_b16_e32 v11, 3, v6
	v_subrev_u32_e32 v13, 28, v12
	v_and_b32_e32 v11, 15, v11
	v_lshlrev_b32_e32 v13, v13, v6
	v_sub_u32_e32 v12, 29, v12
	v_and_b32_e32 v13, 7, v13
	v_cmp_eq_u16_e32 vcc, 0, v11
	v_cndmask_b32_e32 v10, v10, v13, vcc
	v_cndmask_b32_e32 v11, v11, v12, vcc
	v_lshlrev_b32_e32 v12, 24, v6
	v_mov_b32_e32 v13, 0x3b800000
	v_lshlrev_b32_e32 v10, 20, v10
	v_and_b32_e32 v12, 0x80000000, v12
	v_lshl_add_u32 v11, v11, 23, v13
	v_or3_b32 v10, v12, v11, v10
.LBB1_644:
	s_or_b64 exec, exec, s[6:7]
	s_movk_i32 s4, 0x7f
	v_cmp_gt_i16_sdwa s[6:7], v2, s4 src0_sel:BYTE_0 src1_sel:DWORD
	s_mov_b64 s[4:5], 0
                                        ; implicit-def: $sgpr10
	s_and_saveexec_b64 s[8:9], s[6:7]
	s_xor_b64 s[6:7], exec, s[8:9]
	s_cbranch_execnz .LBB1_2693
; %bb.645:
	s_or_saveexec_b64 s[6:7], s[6:7]
	v_mov_b32_e32 v11, s10
	s_xor_b64 exec, exec, s[6:7]
	s_cbranch_execnz .LBB1_2696
.LBB1_646:
	s_or_b64 exec, exec, s[6:7]
	s_and_saveexec_b64 s[6:7], s[4:5]
	s_cbranch_execz .LBB1_648
.LBB1_647:
	v_and_b32_e32 v11, 7, v2
	v_ffbh_u32_e32 v13, v11
	v_min_u32_e32 v13, 32, v13
	v_lshrrev_b16_e32 v12, 3, v2
	v_subrev_u32_e32 v14, 28, v13
	v_and_b32_e32 v12, 15, v12
	v_lshlrev_b32_e32 v14, v14, v2
	v_sub_u32_e32 v13, 29, v13
	v_and_b32_e32 v14, 7, v14
	v_cmp_eq_u16_e32 vcc, 0, v12
	v_cndmask_b32_e32 v11, v11, v14, vcc
	v_cndmask_b32_e32 v12, v12, v13, vcc
	v_lshlrev_b32_e32 v13, 24, v2
	v_mov_b32_e32 v14, 0x3b800000
	v_lshlrev_b32_e32 v11, 20, v11
	v_and_b32_e32 v13, 0x80000000, v13
	v_lshl_add_u32 v12, v12, 23, v14
	v_or3_b32 v11, v13, v12, v11
.LBB1_648:
	s_or_b64 exec, exec, s[6:7]
	s_nop 0
	v_mfma_f32_16x16x4f32 a[0:3], v10, v11, a[0:3]
	v_lshrrev_b32_e32 v11, 8, v6
	s_movk_i32 s4, 0x7f
	v_cmp_gt_i16_sdwa s[6:7], v11, s4 src0_sel:BYTE_0 src1_sel:DWORD
	s_mov_b64 s[4:5], 0
                                        ; implicit-def: $sgpr10
	s_and_saveexec_b64 s[8:9], s[6:7]
	s_xor_b64 s[6:7], exec, s[8:9]
	s_cbranch_execnz .LBB1_2697
; %bb.649:
	s_or_saveexec_b64 s[6:7], s[6:7]
	v_mov_b32_e32 v10, s10
	s_xor_b64 exec, exec, s[6:7]
	s_cbranch_execnz .LBB1_2700
.LBB1_650:
	s_or_b64 exec, exec, s[6:7]
	s_and_saveexec_b64 s[6:7], s[4:5]
	s_cbranch_execz .LBB1_652
.LBB1_651:
	v_bfe_u32 v10, v6, 8, 3
	v_ffbh_u32_e32 v13, v10
	v_min_u32_e32 v13, 32, v13
	v_lshrrev_b16_e32 v12, 3, v11
	v_subrev_u32_e32 v14, 28, v13
	v_and_b32_e32 v12, 15, v12
	v_lshlrev_b32_e32 v11, v14, v11
	v_sub_u32_e32 v13, 29, v13
	v_and_b32_e32 v11, 7, v11
	v_cmp_eq_u16_e32 vcc, 0, v12
	v_cndmask_b32_e32 v10, v10, v11, vcc
	v_cndmask_b32_e32 v11, v12, v13, vcc
	v_lshlrev_b32_e32 v12, 16, v6
	v_mov_b32_e32 v13, 0x3b800000
	v_lshlrev_b32_e32 v10, 20, v10
	v_and_b32_e32 v12, 0x80000000, v12
	v_lshl_add_u32 v11, v11, 23, v13
	v_or3_b32 v10, v12, v11, v10
.LBB1_652:
	s_or_b64 exec, exec, s[6:7]
	v_lshrrev_b32_e32 v11, 8, v2
	s_movk_i32 s4, 0x7f
	v_cmp_gt_i16_sdwa s[6:7], v11, s4 src0_sel:BYTE_0 src1_sel:DWORD
	s_mov_b64 s[4:5], 0
                                        ; implicit-def: $sgpr10
	s_and_saveexec_b64 s[8:9], s[6:7]
	s_xor_b64 s[6:7], exec, s[8:9]
	s_cbranch_execnz .LBB1_2701
; %bb.653:
	s_or_saveexec_b64 s[6:7], s[6:7]
	v_mov_b32_e32 v12, s10
	s_xor_b64 exec, exec, s[6:7]
	s_cbranch_execnz .LBB1_2704
.LBB1_654:
	s_or_b64 exec, exec, s[6:7]
	s_and_saveexec_b64 s[6:7], s[4:5]
	s_cbranch_execz .LBB1_656
.LBB1_655:
	v_bfe_u32 v12, v2, 8, 3
	v_ffbh_u32_e32 v14, v12
	v_min_u32_e32 v14, 32, v14
	v_lshrrev_b16_e32 v13, 3, v11
	v_subrev_u32_e32 v15, 28, v14
	v_and_b32_e32 v13, 15, v13
	v_lshlrev_b32_e32 v11, v15, v11
	v_sub_u32_e32 v14, 29, v14
	v_and_b32_e32 v11, 7, v11
	v_cmp_eq_u16_e32 vcc, 0, v13
	v_cndmask_b32_e32 v11, v12, v11, vcc
	v_cndmask_b32_e32 v12, v13, v14, vcc
	v_lshlrev_b32_e32 v13, 16, v2
	v_mov_b32_e32 v14, 0x3b800000
	v_lshlrev_b32_e32 v11, 20, v11
	v_and_b32_e32 v13, 0x80000000, v13
	v_lshl_add_u32 v12, v12, 23, v14
	v_or3_b32 v12, v13, v12, v11
.LBB1_656:
	s_or_b64 exec, exec, s[6:7]
	s_nop 0
	v_mfma_f32_16x16x4f32 a[0:3], v10, v12, a[0:3]
	s_movk_i32 s4, 0xff
	v_and_b32_sdwa v11, v6, s4 dst_sel:DWORD dst_unused:UNUSED_PAD src0_sel:WORD_1 src1_sel:DWORD
	s_movk_i32 s4, 0x7f
	v_cmp_lt_i16_e32 vcc, s4, v11
	s_mov_b64 s[4:5], 0
                                        ; implicit-def: $sgpr10
	s_and_saveexec_b64 s[6:7], vcc
	s_xor_b64 s[6:7], exec, s[6:7]
	s_cbranch_execnz .LBB1_2705
; %bb.657:
	s_or_saveexec_b64 s[6:7], s[6:7]
	v_mov_b32_e32 v10, s10
	s_xor_b64 exec, exec, s[6:7]
	s_cbranch_execnz .LBB1_2708
.LBB1_658:
	s_or_b64 exec, exec, s[6:7]
	s_and_saveexec_b64 s[6:7], s[4:5]
	s_cbranch_execz .LBB1_660
.LBB1_659:
	v_bfe_u32 v10, v6, 16, 3
	v_ffbh_u32_e32 v13, v10
	v_min_u32_e32 v13, 32, v13
	v_lshrrev_b32_e32 v11, 19, v6
	v_subrev_u32_e32 v14, 28, v13
	v_and_b32_e32 v11, 15, v11
	v_lshlrev_b32_sdwa v14, v14, v6 dst_sel:DWORD dst_unused:UNUSED_PAD src0_sel:DWORD src1_sel:WORD_1
	v_bfe_u32 v12, v6, 19, 4
	v_sub_u32_e32 v13, 29, v13
	v_and_b32_e32 v14, 7, v14
	v_cmp_eq_u16_e32 vcc, 0, v11
	v_cndmask_b32_e32 v10, v10, v14, vcc
	v_cndmask_b32_e32 v11, v12, v13, vcc
	v_lshlrev_b32_e32 v12, 8, v6
	v_mov_b32_e32 v13, 0x3b800000
	v_lshlrev_b32_e32 v10, 20, v10
	v_and_b32_e32 v12, 0x80000000, v12
	v_lshl_add_u32 v11, v11, 23, v13
	v_or3_b32 v10, v12, v11, v10
.LBB1_660:
	s_or_b64 exec, exec, s[6:7]
	s_movk_i32 s4, 0xff
	v_and_b32_sdwa v11, v2, s4 dst_sel:DWORD dst_unused:UNUSED_PAD src0_sel:WORD_1 src1_sel:DWORD
	s_movk_i32 s4, 0x7f
	v_cmp_lt_i16_e32 vcc, s4, v11
	s_mov_b64 s[4:5], 0
                                        ; implicit-def: $sgpr10
	s_and_saveexec_b64 s[6:7], vcc
	s_xor_b64 s[6:7], exec, s[6:7]
	s_cbranch_execnz .LBB1_2709
; %bb.661:
	s_or_saveexec_b64 s[6:7], s[6:7]
	v_mov_b32_e32 v12, s10
	s_xor_b64 exec, exec, s[6:7]
	s_cbranch_execnz .LBB1_2712
.LBB1_662:
	s_or_b64 exec, exec, s[6:7]
	s_and_saveexec_b64 s[6:7], s[4:5]
	s_cbranch_execz .LBB1_664
.LBB1_663:
	v_bfe_u32 v11, v2, 16, 3
	v_ffbh_u32_e32 v14, v11
	v_min_u32_e32 v14, 32, v14
	v_lshrrev_b32_e32 v12, 19, v2
	v_subrev_u32_e32 v15, 28, v14
	v_and_b32_e32 v12, 15, v12
	v_lshlrev_b32_sdwa v15, v15, v2 dst_sel:DWORD dst_unused:UNUSED_PAD src0_sel:DWORD src1_sel:WORD_1
	v_bfe_u32 v13, v2, 19, 4
	v_sub_u32_e32 v14, 29, v14
	v_and_b32_e32 v15, 7, v15
	v_cmp_eq_u16_e32 vcc, 0, v12
	v_cndmask_b32_e32 v11, v11, v15, vcc
	v_cndmask_b32_e32 v12, v13, v14, vcc
	v_lshlrev_b32_e32 v13, 8, v2
	v_mov_b32_e32 v14, 0x3b800000
	v_lshlrev_b32_e32 v11, 20, v11
	v_and_b32_e32 v13, 0x80000000, v13
	v_lshl_add_u32 v12, v12, 23, v14
	v_or3_b32 v12, v13, v12, v11
.LBB1_664:
	s_or_b64 exec, exec, s[6:7]
	s_nop 0
	v_mfma_f32_16x16x4f32 a[0:3], v10, v12, a[0:3]
	s_movk_i32 s4, 0x7f
	v_cmp_gt_i16_sdwa s[6:7], v6, s4 src0_sel:BYTE_3 src1_sel:DWORD
	s_mov_b64 s[4:5], 0
                                        ; implicit-def: $sgpr10
	s_and_saveexec_b64 s[8:9], s[6:7]
	s_xor_b64 s[6:7], exec, s[8:9]
	s_cbranch_execnz .LBB1_2713
; %bb.665:
	s_or_saveexec_b64 s[6:7], s[6:7]
	v_mov_b32_e32 v10, s10
	s_xor_b64 exec, exec, s[6:7]
	s_cbranch_execnz .LBB1_2716
.LBB1_666:
	s_or_b64 exec, exec, s[6:7]
	s_and_saveexec_b64 s[6:7], s[4:5]
	s_cbranch_execz .LBB1_668
.LBB1_667:
	v_bfe_u32 v10, v6, 24, 3
	v_ffbh_u32_e32 v14, v10
	v_min_u32_e32 v14, 32, v14
	v_lshrrev_b32_e32 v12, 27, v6
	v_subrev_u32_e32 v15, 28, v14
	v_and_b32_e32 v11, 0x80000000, v6
	v_and_b32_e32 v12, 15, v12
	v_bfe_u32 v13, v6, 27, 4
	v_lshlrev_b32_sdwa v6, v15, v6 dst_sel:DWORD dst_unused:UNUSED_PAD src0_sel:DWORD src1_sel:BYTE_3
	v_sub_u32_e32 v14, 29, v14
	v_and_b32_e32 v6, 7, v6
	v_cmp_eq_u16_e32 vcc, 0, v12
	v_cndmask_b32_e32 v6, v10, v6, vcc
	v_cndmask_b32_e32 v10, v13, v14, vcc
	v_mov_b32_e32 v12, 0x3b800000
	v_lshlrev_b32_e32 v6, 20, v6
	v_lshl_add_u32 v10, v10, 23, v12
	v_or3_b32 v10, v11, v10, v6
.LBB1_668:
	s_or_b64 exec, exec, s[6:7]
	s_movk_i32 s4, 0x7f
	v_cmp_gt_i16_sdwa s[6:7], v2, s4 src0_sel:BYTE_3 src1_sel:DWORD
	s_mov_b64 s[4:5], 0
                                        ; implicit-def: $sgpr10
	s_and_saveexec_b64 s[8:9], s[6:7]
	s_xor_b64 s[6:7], exec, s[8:9]
	s_cbranch_execnz .LBB1_2717
; %bb.669:
	s_or_saveexec_b64 s[6:7], s[6:7]
	v_mov_b32_e32 v6, s10
	s_xor_b64 exec, exec, s[6:7]
	s_cbranch_execnz .LBB1_2720
.LBB1_670:
	s_or_b64 exec, exec, s[6:7]
	s_and_saveexec_b64 s[6:7], s[4:5]
	s_cbranch_execz .LBB1_672
.LBB1_671:
	v_bfe_u32 v6, v2, 24, 3
	v_ffbh_u32_e32 v14, v6
	v_min_u32_e32 v14, 32, v14
	v_lshrrev_b32_e32 v12, 27, v2
	v_subrev_u32_e32 v15, 28, v14
	v_and_b32_e32 v11, 0x80000000, v2
	v_and_b32_e32 v12, 15, v12
	v_bfe_u32 v13, v2, 27, 4
	v_lshlrev_b32_sdwa v2, v15, v2 dst_sel:DWORD dst_unused:UNUSED_PAD src0_sel:DWORD src1_sel:BYTE_3
	v_sub_u32_e32 v14, 29, v14
	v_and_b32_e32 v2, 7, v2
	v_cmp_eq_u16_e32 vcc, 0, v12
	v_cndmask_b32_e32 v2, v6, v2, vcc
	v_cndmask_b32_e32 v6, v13, v14, vcc
	v_mov_b32_e32 v12, 0x3b800000
	v_lshlrev_b32_e32 v2, 20, v2
	v_lshl_add_u32 v6, v6, 23, v12
	v_or3_b32 v6, v11, v6, v2
.LBB1_672:
	s_or_b64 exec, exec, s[6:7]
	s_nop 0
	v_mfma_f32_16x16x4f32 a[0:3], v10, v6, a[0:3]
	s_movk_i32 s4, 0x7f
	v_cmp_gt_i16_sdwa s[6:7], v7, s4 src0_sel:BYTE_0 src1_sel:DWORD
	s_mov_b64 s[4:5], 0
                                        ; implicit-def: $sgpr10
	s_and_saveexec_b64 s[8:9], s[6:7]
	s_xor_b64 s[6:7], exec, s[8:9]
	s_cbranch_execnz .LBB1_2721
; %bb.673:
	s_or_saveexec_b64 s[6:7], s[6:7]
	v_mov_b32_e32 v2, s10
	s_xor_b64 exec, exec, s[6:7]
	s_cbranch_execnz .LBB1_2724
.LBB1_674:
	s_or_b64 exec, exec, s[6:7]
	s_and_saveexec_b64 s[6:7], s[4:5]
	s_cbranch_execz .LBB1_676
.LBB1_675:
	v_and_b32_e32 v2, 7, v7
	v_ffbh_u32_e32 v10, v2
	v_min_u32_e32 v10, 32, v10
	v_lshrrev_b16_e32 v6, 3, v7
	v_subrev_u32_e32 v11, 28, v10
	v_and_b32_e32 v6, 15, v6
	v_lshlrev_b32_e32 v11, v11, v7
	v_sub_u32_e32 v10, 29, v10
	v_and_b32_e32 v11, 7, v11
	v_cmp_eq_u16_e32 vcc, 0, v6
	v_cndmask_b32_e32 v2, v2, v11, vcc
	v_cndmask_b32_e32 v6, v6, v10, vcc
	v_lshlrev_b32_e32 v10, 24, v7
	v_mov_b32_e32 v11, 0x3b800000
	v_lshlrev_b32_e32 v2, 20, v2
	v_and_b32_e32 v10, 0x80000000, v10
	v_lshl_add_u32 v6, v6, 23, v11
	v_or3_b32 v2, v10, v6, v2
.LBB1_676:
	s_or_b64 exec, exec, s[6:7]
	s_movk_i32 s4, 0x7f
	v_cmp_gt_i16_sdwa s[6:7], v3, s4 src0_sel:BYTE_0 src1_sel:DWORD
	s_mov_b64 s[4:5], 0
                                        ; implicit-def: $sgpr10
	s_and_saveexec_b64 s[8:9], s[6:7]
	s_xor_b64 s[6:7], exec, s[8:9]
	s_cbranch_execnz .LBB1_2725
; %bb.677:
	s_or_saveexec_b64 s[6:7], s[6:7]
	v_mov_b32_e32 v6, s10
	s_xor_b64 exec, exec, s[6:7]
	s_cbranch_execnz .LBB1_2728
.LBB1_678:
	s_or_b64 exec, exec, s[6:7]
	s_and_saveexec_b64 s[6:7], s[4:5]
	s_cbranch_execz .LBB1_680
.LBB1_679:
	v_and_b32_e32 v6, 7, v3
	v_ffbh_u32_e32 v11, v6
	v_min_u32_e32 v11, 32, v11
	v_lshrrev_b16_e32 v10, 3, v3
	v_subrev_u32_e32 v12, 28, v11
	v_and_b32_e32 v10, 15, v10
	v_lshlrev_b32_e32 v12, v12, v3
	v_sub_u32_e32 v11, 29, v11
	v_and_b32_e32 v12, 7, v12
	v_cmp_eq_u16_e32 vcc, 0, v10
	v_cndmask_b32_e32 v6, v6, v12, vcc
	v_cndmask_b32_e32 v10, v10, v11, vcc
	v_lshlrev_b32_e32 v11, 24, v3
	v_mov_b32_e32 v12, 0x3b800000
	v_lshlrev_b32_e32 v6, 20, v6
	v_and_b32_e32 v11, 0x80000000, v11
	v_lshl_add_u32 v10, v10, 23, v12
	v_or3_b32 v6, v11, v10, v6
.LBB1_680:
	s_or_b64 exec, exec, s[6:7]
	s_nop 0
	v_mfma_f32_16x16x4f32 a[0:3], v2, v6, a[0:3]
	v_lshrrev_b32_e32 v6, 8, v7
	s_movk_i32 s4, 0x7f
	v_cmp_gt_i16_sdwa s[6:7], v6, s4 src0_sel:BYTE_0 src1_sel:DWORD
	s_mov_b64 s[4:5], 0
                                        ; implicit-def: $sgpr10
	s_and_saveexec_b64 s[8:9], s[6:7]
	s_xor_b64 s[6:7], exec, s[8:9]
	s_cbranch_execnz .LBB1_2729
; %bb.681:
	s_or_saveexec_b64 s[6:7], s[6:7]
	v_mov_b32_e32 v2, s10
	s_xor_b64 exec, exec, s[6:7]
	s_cbranch_execnz .LBB1_2732
.LBB1_682:
	s_or_b64 exec, exec, s[6:7]
	s_and_saveexec_b64 s[6:7], s[4:5]
	s_cbranch_execz .LBB1_684
.LBB1_683:
	v_bfe_u32 v2, v7, 8, 3
	v_ffbh_u32_e32 v11, v2
	v_min_u32_e32 v11, 32, v11
	v_lshrrev_b16_e32 v10, 3, v6
	v_subrev_u32_e32 v12, 28, v11
	v_and_b32_e32 v10, 15, v10
	v_lshlrev_b32_e32 v6, v12, v6
	v_sub_u32_e32 v11, 29, v11
	v_and_b32_e32 v6, 7, v6
	v_cmp_eq_u16_e32 vcc, 0, v10
	v_cndmask_b32_e32 v2, v2, v6, vcc
	v_cndmask_b32_e32 v6, v10, v11, vcc
	v_lshlrev_b32_e32 v10, 16, v7
	v_mov_b32_e32 v11, 0x3b800000
	v_lshlrev_b32_e32 v2, 20, v2
	v_and_b32_e32 v10, 0x80000000, v10
	v_lshl_add_u32 v6, v6, 23, v11
	v_or3_b32 v2, v10, v6, v2
.LBB1_684:
	s_or_b64 exec, exec, s[6:7]
	v_lshrrev_b32_e32 v6, 8, v3
	s_movk_i32 s4, 0x7f
	v_cmp_gt_i16_sdwa s[6:7], v6, s4 src0_sel:BYTE_0 src1_sel:DWORD
	s_mov_b64 s[4:5], 0
                                        ; implicit-def: $sgpr10
	s_and_saveexec_b64 s[8:9], s[6:7]
	s_xor_b64 s[6:7], exec, s[8:9]
	s_cbranch_execnz .LBB1_2733
; %bb.685:
	s_or_saveexec_b64 s[6:7], s[6:7]
	v_mov_b32_e32 v10, s10
	s_xor_b64 exec, exec, s[6:7]
	s_cbranch_execnz .LBB1_2736
.LBB1_686:
	s_or_b64 exec, exec, s[6:7]
	s_and_saveexec_b64 s[6:7], s[4:5]
	s_cbranch_execz .LBB1_688
.LBB1_687:
	v_bfe_u32 v10, v3, 8, 3
	v_ffbh_u32_e32 v12, v10
	v_min_u32_e32 v12, 32, v12
	v_lshrrev_b16_e32 v11, 3, v6
	v_subrev_u32_e32 v13, 28, v12
	v_and_b32_e32 v11, 15, v11
	v_lshlrev_b32_e32 v6, v13, v6
	v_sub_u32_e32 v12, 29, v12
	v_and_b32_e32 v6, 7, v6
	v_cmp_eq_u16_e32 vcc, 0, v11
	v_cndmask_b32_e32 v6, v10, v6, vcc
	v_cndmask_b32_e32 v10, v11, v12, vcc
	v_lshlrev_b32_e32 v11, 16, v3
	v_mov_b32_e32 v12, 0x3b800000
	v_lshlrev_b32_e32 v6, 20, v6
	v_and_b32_e32 v11, 0x80000000, v11
	v_lshl_add_u32 v10, v10, 23, v12
	v_or3_b32 v10, v11, v10, v6
.LBB1_688:
	s_or_b64 exec, exec, s[6:7]
	s_nop 0
	v_mfma_f32_16x16x4f32 a[0:3], v2, v10, a[0:3]
	s_movk_i32 s4, 0xff
	v_and_b32_sdwa v6, v7, s4 dst_sel:DWORD dst_unused:UNUSED_PAD src0_sel:WORD_1 src1_sel:DWORD
	s_movk_i32 s4, 0x7f
	v_cmp_lt_i16_e32 vcc, s4, v6
	s_mov_b64 s[4:5], 0
                                        ; implicit-def: $sgpr10
	s_and_saveexec_b64 s[6:7], vcc
	s_xor_b64 s[6:7], exec, s[6:7]
	s_cbranch_execnz .LBB1_2737
; %bb.689:
	s_or_saveexec_b64 s[6:7], s[6:7]
	v_mov_b32_e32 v2, s10
	s_xor_b64 exec, exec, s[6:7]
	s_cbranch_execnz .LBB1_2740
.LBB1_690:
	s_or_b64 exec, exec, s[6:7]
	s_and_saveexec_b64 s[6:7], s[4:5]
	s_cbranch_execz .LBB1_692
.LBB1_691:
	v_bfe_u32 v2, v7, 16, 3
	v_ffbh_u32_e32 v11, v2
	v_min_u32_e32 v11, 32, v11
	v_lshrrev_b32_e32 v6, 19, v7
	v_subrev_u32_e32 v12, 28, v11
	v_and_b32_e32 v6, 15, v6
	v_lshlrev_b32_sdwa v12, v12, v7 dst_sel:DWORD dst_unused:UNUSED_PAD src0_sel:DWORD src1_sel:WORD_1
	v_bfe_u32 v10, v7, 19, 4
	v_sub_u32_e32 v11, 29, v11
	v_and_b32_e32 v12, 7, v12
	v_cmp_eq_u16_e32 vcc, 0, v6
	v_cndmask_b32_e32 v2, v2, v12, vcc
	v_cndmask_b32_e32 v6, v10, v11, vcc
	v_lshlrev_b32_e32 v10, 8, v7
	v_mov_b32_e32 v11, 0x3b800000
	v_lshlrev_b32_e32 v2, 20, v2
	v_and_b32_e32 v10, 0x80000000, v10
	v_lshl_add_u32 v6, v6, 23, v11
	v_or3_b32 v2, v10, v6, v2
.LBB1_692:
	s_or_b64 exec, exec, s[6:7]
	s_movk_i32 s4, 0xff
	v_and_b32_sdwa v6, v3, s4 dst_sel:DWORD dst_unused:UNUSED_PAD src0_sel:WORD_1 src1_sel:DWORD
	s_movk_i32 s4, 0x7f
	v_cmp_lt_i16_e32 vcc, s4, v6
	s_mov_b64 s[4:5], 0
                                        ; implicit-def: $sgpr10
	s_and_saveexec_b64 s[6:7], vcc
	s_xor_b64 s[6:7], exec, s[6:7]
	s_cbranch_execnz .LBB1_2741
; %bb.693:
	s_or_saveexec_b64 s[6:7], s[6:7]
	v_mov_b32_e32 v10, s10
	s_xor_b64 exec, exec, s[6:7]
	s_cbranch_execnz .LBB1_2744
.LBB1_694:
	s_or_b64 exec, exec, s[6:7]
	s_and_saveexec_b64 s[6:7], s[4:5]
	s_cbranch_execz .LBB1_696
.LBB1_695:
	v_bfe_u32 v6, v3, 16, 3
	v_ffbh_u32_e32 v12, v6
	v_min_u32_e32 v12, 32, v12
	v_lshrrev_b32_e32 v10, 19, v3
	v_subrev_u32_e32 v13, 28, v12
	v_and_b32_e32 v10, 15, v10
	v_lshlrev_b32_sdwa v13, v13, v3 dst_sel:DWORD dst_unused:UNUSED_PAD src0_sel:DWORD src1_sel:WORD_1
	v_bfe_u32 v11, v3, 19, 4
	v_sub_u32_e32 v12, 29, v12
	v_and_b32_e32 v13, 7, v13
	v_cmp_eq_u16_e32 vcc, 0, v10
	v_cndmask_b32_e32 v6, v6, v13, vcc
	v_cndmask_b32_e32 v10, v11, v12, vcc
	v_lshlrev_b32_e32 v11, 8, v3
	v_mov_b32_e32 v12, 0x3b800000
	v_lshlrev_b32_e32 v6, 20, v6
	v_and_b32_e32 v11, 0x80000000, v11
	v_lshl_add_u32 v10, v10, 23, v12
	v_or3_b32 v10, v11, v10, v6
.LBB1_696:
	s_or_b64 exec, exec, s[6:7]
	s_nop 0
	v_mfma_f32_16x16x4f32 a[0:3], v2, v10, a[0:3]
	s_movk_i32 s4, 0x7f
	v_cmp_gt_i16_sdwa s[6:7], v7, s4 src0_sel:BYTE_3 src1_sel:DWORD
	s_mov_b64 s[4:5], 0
                                        ; implicit-def: $sgpr10
	s_and_saveexec_b64 s[8:9], s[6:7]
	s_xor_b64 s[6:7], exec, s[8:9]
	s_cbranch_execnz .LBB1_2745
; %bb.697:
	s_or_saveexec_b64 s[6:7], s[6:7]
	v_mov_b32_e32 v2, s10
	s_xor_b64 exec, exec, s[6:7]
	s_cbranch_execnz .LBB1_2748
.LBB1_698:
	s_or_b64 exec, exec, s[6:7]
	s_and_saveexec_b64 s[6:7], s[4:5]
	s_cbranch_execz .LBB1_700
.LBB1_699:
	v_bfe_u32 v2, v7, 24, 3
	v_ffbh_u32_e32 v12, v2
	v_min_u32_e32 v12, 32, v12
	v_lshrrev_b32_e32 v10, 27, v7
	v_subrev_u32_e32 v13, 28, v12
	v_and_b32_e32 v6, 0x80000000, v7
	v_and_b32_e32 v10, 15, v10
	v_bfe_u32 v11, v7, 27, 4
	v_lshlrev_b32_sdwa v7, v13, v7 dst_sel:DWORD dst_unused:UNUSED_PAD src0_sel:DWORD src1_sel:BYTE_3
	v_sub_u32_e32 v12, 29, v12
	v_and_b32_e32 v7, 7, v7
	v_cmp_eq_u16_e32 vcc, 0, v10
	v_cndmask_b32_e32 v2, v2, v7, vcc
	v_cndmask_b32_e32 v7, v11, v12, vcc
	v_mov_b32_e32 v10, 0x3b800000
	v_lshlrev_b32_e32 v2, 20, v2
	v_lshl_add_u32 v7, v7, 23, v10
	v_or3_b32 v2, v6, v7, v2
.LBB1_700:
	s_or_b64 exec, exec, s[6:7]
	s_movk_i32 s4, 0x7f
	v_cmp_gt_i16_sdwa s[6:7], v3, s4 src0_sel:BYTE_3 src1_sel:DWORD
	s_mov_b64 s[4:5], 0
                                        ; implicit-def: $sgpr10
	s_and_saveexec_b64 s[8:9], s[6:7]
	s_xor_b64 s[6:7], exec, s[8:9]
	s_cbranch_execnz .LBB1_2749
; %bb.701:
	s_or_saveexec_b64 s[6:7], s[6:7]
	v_mov_b32_e32 v6, s10
	s_xor_b64 exec, exec, s[6:7]
	s_cbranch_execnz .LBB1_2752
.LBB1_702:
	s_or_b64 exec, exec, s[6:7]
	s_and_saveexec_b64 s[6:7], s[4:5]
	s_cbranch_execz .LBB1_704
.LBB1_703:
	v_bfe_u32 v6, v3, 24, 3
	v_ffbh_u32_e32 v12, v6
	v_min_u32_e32 v12, 32, v12
	v_lshrrev_b32_e32 v10, 27, v3
	v_subrev_u32_e32 v13, 28, v12
	v_and_b32_e32 v7, 0x80000000, v3
	v_and_b32_e32 v10, 15, v10
	v_bfe_u32 v11, v3, 27, 4
	v_lshlrev_b32_sdwa v3, v13, v3 dst_sel:DWORD dst_unused:UNUSED_PAD src0_sel:DWORD src1_sel:BYTE_3
	v_sub_u32_e32 v12, 29, v12
	v_and_b32_e32 v3, 7, v3
	v_cmp_eq_u16_e32 vcc, 0, v10
	v_cndmask_b32_e32 v3, v6, v3, vcc
	v_cndmask_b32_e32 v6, v11, v12, vcc
	v_mov_b32_e32 v10, 0x3b800000
	v_lshlrev_b32_e32 v3, 20, v3
	v_lshl_add_u32 v6, v6, 23, v10
	v_or3_b32 v6, v7, v6, v3
.LBB1_704:
	s_or_b64 exec, exec, s[6:7]
	s_nop 0
	v_mfma_f32_16x16x4f32 a[0:3], v2, v6, a[0:3]
	s_movk_i32 s4, 0x7f
	v_cmp_gt_i16_sdwa s[6:7], v8, s4 src0_sel:BYTE_0 src1_sel:DWORD
	s_mov_b64 s[4:5], 0
                                        ; implicit-def: $sgpr10
	s_and_saveexec_b64 s[8:9], s[6:7]
	s_xor_b64 s[6:7], exec, s[8:9]
	s_cbranch_execnz .LBB1_2753
; %bb.705:
	s_or_saveexec_b64 s[6:7], s[6:7]
	v_mov_b32_e32 v2, s10
	s_xor_b64 exec, exec, s[6:7]
	s_cbranch_execnz .LBB1_2756
.LBB1_706:
	s_or_b64 exec, exec, s[6:7]
	s_and_saveexec_b64 s[6:7], s[4:5]
	s_cbranch_execz .LBB1_708
.LBB1_707:
	v_and_b32_e32 v2, 7, v8
	v_ffbh_u32_e32 v6, v2
	v_min_u32_e32 v6, 32, v6
	v_lshrrev_b16_e32 v3, 3, v8
	v_subrev_u32_e32 v7, 28, v6
	v_and_b32_e32 v3, 15, v3
	v_lshlrev_b32_e32 v7, v7, v8
	v_sub_u32_e32 v6, 29, v6
	v_and_b32_e32 v7, 7, v7
	v_cmp_eq_u16_e32 vcc, 0, v3
	v_cndmask_b32_e32 v2, v2, v7, vcc
	v_cndmask_b32_e32 v3, v3, v6, vcc
	v_lshlrev_b32_e32 v6, 24, v8
	v_mov_b32_e32 v7, 0x3b800000
	v_lshlrev_b32_e32 v2, 20, v2
	v_and_b32_e32 v6, 0x80000000, v6
	v_lshl_add_u32 v3, v3, 23, v7
	v_or3_b32 v2, v6, v3, v2
.LBB1_708:
	s_or_b64 exec, exec, s[6:7]
	s_movk_i32 s4, 0x7f
	v_cmp_gt_i16_sdwa s[6:7], v4, s4 src0_sel:BYTE_0 src1_sel:DWORD
	s_mov_b64 s[4:5], 0
                                        ; implicit-def: $sgpr10
	s_and_saveexec_b64 s[8:9], s[6:7]
	s_xor_b64 s[6:7], exec, s[8:9]
	s_cbranch_execnz .LBB1_2757
; %bb.709:
	s_or_saveexec_b64 s[6:7], s[6:7]
	v_mov_b32_e32 v3, s10
	s_xor_b64 exec, exec, s[6:7]
	s_cbranch_execnz .LBB1_2760
.LBB1_710:
	s_or_b64 exec, exec, s[6:7]
	s_and_saveexec_b64 s[6:7], s[4:5]
	s_cbranch_execz .LBB1_712
.LBB1_711:
	v_and_b32_e32 v3, 7, v4
	v_ffbh_u32_e32 v7, v3
	v_min_u32_e32 v7, 32, v7
	v_lshrrev_b16_e32 v6, 3, v4
	v_subrev_u32_e32 v10, 28, v7
	v_and_b32_e32 v6, 15, v6
	v_lshlrev_b32_e32 v10, v10, v4
	v_sub_u32_e32 v7, 29, v7
	v_and_b32_e32 v10, 7, v10
	v_cmp_eq_u16_e32 vcc, 0, v6
	v_cndmask_b32_e32 v3, v3, v10, vcc
	v_cndmask_b32_e32 v6, v6, v7, vcc
	v_lshlrev_b32_e32 v7, 24, v4
	v_mov_b32_e32 v10, 0x3b800000
	v_lshlrev_b32_e32 v3, 20, v3
	v_and_b32_e32 v7, 0x80000000, v7
	v_lshl_add_u32 v6, v6, 23, v10
	v_or3_b32 v3, v7, v6, v3
.LBB1_712:
	s_or_b64 exec, exec, s[6:7]
	s_nop 0
	v_mfma_f32_16x16x4f32 a[0:3], v2, v3, a[0:3]
	v_lshrrev_b32_e32 v3, 8, v8
	s_movk_i32 s4, 0x7f
	v_cmp_gt_i16_sdwa s[6:7], v3, s4 src0_sel:BYTE_0 src1_sel:DWORD
	s_mov_b64 s[4:5], 0
                                        ; implicit-def: $sgpr10
	s_and_saveexec_b64 s[8:9], s[6:7]
	s_xor_b64 s[6:7], exec, s[8:9]
	s_cbranch_execnz .LBB1_2761
; %bb.713:
	s_or_saveexec_b64 s[6:7], s[6:7]
	v_mov_b32_e32 v2, s10
	s_xor_b64 exec, exec, s[6:7]
	s_cbranch_execnz .LBB1_2764
.LBB1_714:
	s_or_b64 exec, exec, s[6:7]
	s_and_saveexec_b64 s[6:7], s[4:5]
	s_cbranch_execz .LBB1_716
.LBB1_715:
	v_bfe_u32 v2, v8, 8, 3
	v_ffbh_u32_e32 v7, v2
	v_min_u32_e32 v7, 32, v7
	v_lshrrev_b16_e32 v6, 3, v3
	v_subrev_u32_e32 v10, 28, v7
	v_and_b32_e32 v6, 15, v6
	v_lshlrev_b32_e32 v3, v10, v3
	v_sub_u32_e32 v7, 29, v7
	v_and_b32_e32 v3, 7, v3
	v_cmp_eq_u16_e32 vcc, 0, v6
	v_cndmask_b32_e32 v2, v2, v3, vcc
	v_cndmask_b32_e32 v3, v6, v7, vcc
	v_lshlrev_b32_e32 v6, 16, v8
	v_mov_b32_e32 v7, 0x3b800000
	v_lshlrev_b32_e32 v2, 20, v2
	v_and_b32_e32 v6, 0x80000000, v6
	v_lshl_add_u32 v3, v3, 23, v7
	v_or3_b32 v2, v6, v3, v2
.LBB1_716:
	s_or_b64 exec, exec, s[6:7]
	v_lshrrev_b32_e32 v3, 8, v4
	s_movk_i32 s4, 0x7f
	v_cmp_gt_i16_sdwa s[6:7], v3, s4 src0_sel:BYTE_0 src1_sel:DWORD
	s_mov_b64 s[4:5], 0
                                        ; implicit-def: $sgpr10
	s_and_saveexec_b64 s[8:9], s[6:7]
	s_xor_b64 s[6:7], exec, s[8:9]
	s_cbranch_execnz .LBB1_2765
; %bb.717:
	s_or_saveexec_b64 s[6:7], s[6:7]
	v_mov_b32_e32 v6, s10
	s_xor_b64 exec, exec, s[6:7]
	s_cbranch_execnz .LBB1_2768
.LBB1_718:
	s_or_b64 exec, exec, s[6:7]
	s_and_saveexec_b64 s[6:7], s[4:5]
	s_cbranch_execz .LBB1_720
.LBB1_719:
	v_bfe_u32 v6, v4, 8, 3
	v_ffbh_u32_e32 v10, v6
	v_min_u32_e32 v10, 32, v10
	v_lshrrev_b16_e32 v7, 3, v3
	v_subrev_u32_e32 v11, 28, v10
	v_and_b32_e32 v7, 15, v7
	v_lshlrev_b32_e32 v3, v11, v3
	v_sub_u32_e32 v10, 29, v10
	v_and_b32_e32 v3, 7, v3
	v_cmp_eq_u16_e32 vcc, 0, v7
	v_cndmask_b32_e32 v3, v6, v3, vcc
	v_cndmask_b32_e32 v6, v7, v10, vcc
	v_lshlrev_b32_e32 v7, 16, v4
	v_mov_b32_e32 v10, 0x3b800000
	v_lshlrev_b32_e32 v3, 20, v3
	v_and_b32_e32 v7, 0x80000000, v7
	v_lshl_add_u32 v6, v6, 23, v10
	v_or3_b32 v6, v7, v6, v3
.LBB1_720:
	s_or_b64 exec, exec, s[6:7]
	s_nop 0
	v_mfma_f32_16x16x4f32 a[0:3], v2, v6, a[0:3]
	s_movk_i32 s4, 0xff
	v_and_b32_sdwa v3, v8, s4 dst_sel:DWORD dst_unused:UNUSED_PAD src0_sel:WORD_1 src1_sel:DWORD
	s_movk_i32 s4, 0x7f
	v_cmp_lt_i16_e32 vcc, s4, v3
	s_mov_b64 s[4:5], 0
                                        ; implicit-def: $sgpr10
	s_and_saveexec_b64 s[6:7], vcc
	s_xor_b64 s[6:7], exec, s[6:7]
	s_cbranch_execnz .LBB1_2769
; %bb.721:
	s_or_saveexec_b64 s[6:7], s[6:7]
	v_mov_b32_e32 v2, s10
	s_xor_b64 exec, exec, s[6:7]
	s_cbranch_execnz .LBB1_2772
.LBB1_722:
	s_or_b64 exec, exec, s[6:7]
	s_and_saveexec_b64 s[6:7], s[4:5]
	s_cbranch_execz .LBB1_724
.LBB1_723:
	v_bfe_u32 v2, v8, 16, 3
	v_ffbh_u32_e32 v7, v2
	v_min_u32_e32 v7, 32, v7
	v_lshrrev_b32_e32 v3, 19, v8
	v_subrev_u32_e32 v10, 28, v7
	v_and_b32_e32 v3, 15, v3
	v_lshlrev_b32_sdwa v10, v10, v8 dst_sel:DWORD dst_unused:UNUSED_PAD src0_sel:DWORD src1_sel:WORD_1
	v_bfe_u32 v6, v8, 19, 4
	v_sub_u32_e32 v7, 29, v7
	v_and_b32_e32 v10, 7, v10
	v_cmp_eq_u16_e32 vcc, 0, v3
	v_cndmask_b32_e32 v2, v2, v10, vcc
	v_cndmask_b32_e32 v3, v6, v7, vcc
	v_lshlrev_b32_e32 v6, 8, v8
	v_mov_b32_e32 v7, 0x3b800000
	v_lshlrev_b32_e32 v2, 20, v2
	v_and_b32_e32 v6, 0x80000000, v6
	v_lshl_add_u32 v3, v3, 23, v7
	v_or3_b32 v2, v6, v3, v2
.LBB1_724:
	s_or_b64 exec, exec, s[6:7]
	s_movk_i32 s4, 0xff
	v_and_b32_sdwa v3, v4, s4 dst_sel:DWORD dst_unused:UNUSED_PAD src0_sel:WORD_1 src1_sel:DWORD
	s_movk_i32 s4, 0x7f
	v_cmp_lt_i16_e32 vcc, s4, v3
	s_mov_b64 s[4:5], 0
                                        ; implicit-def: $sgpr10
	s_and_saveexec_b64 s[6:7], vcc
	s_xor_b64 s[6:7], exec, s[6:7]
	s_cbranch_execnz .LBB1_2773
; %bb.725:
	s_or_saveexec_b64 s[6:7], s[6:7]
	v_mov_b32_e32 v6, s10
	s_xor_b64 exec, exec, s[6:7]
	s_cbranch_execnz .LBB1_2776
.LBB1_726:
	s_or_b64 exec, exec, s[6:7]
	s_and_saveexec_b64 s[6:7], s[4:5]
	s_cbranch_execz .LBB1_728
.LBB1_727:
	v_bfe_u32 v3, v4, 16, 3
	v_ffbh_u32_e32 v10, v3
	v_min_u32_e32 v10, 32, v10
	v_lshrrev_b32_e32 v6, 19, v4
	v_subrev_u32_e32 v11, 28, v10
	v_and_b32_e32 v6, 15, v6
	v_lshlrev_b32_sdwa v11, v11, v4 dst_sel:DWORD dst_unused:UNUSED_PAD src0_sel:DWORD src1_sel:WORD_1
	v_bfe_u32 v7, v4, 19, 4
	v_sub_u32_e32 v10, 29, v10
	v_and_b32_e32 v11, 7, v11
	v_cmp_eq_u16_e32 vcc, 0, v6
	v_cndmask_b32_e32 v3, v3, v11, vcc
	v_cndmask_b32_e32 v6, v7, v10, vcc
	v_lshlrev_b32_e32 v7, 8, v4
	v_mov_b32_e32 v10, 0x3b800000
	v_lshlrev_b32_e32 v3, 20, v3
	v_and_b32_e32 v7, 0x80000000, v7
	v_lshl_add_u32 v6, v6, 23, v10
	v_or3_b32 v6, v7, v6, v3
.LBB1_728:
	s_or_b64 exec, exec, s[6:7]
	s_nop 0
	v_mfma_f32_16x16x4f32 a[0:3], v2, v6, a[0:3]
	s_movk_i32 s4, 0x7f
	v_cmp_gt_i16_sdwa s[6:7], v8, s4 src0_sel:BYTE_3 src1_sel:DWORD
	s_mov_b64 s[4:5], 0
                                        ; implicit-def: $sgpr10
	s_and_saveexec_b64 s[8:9], s[6:7]
	s_xor_b64 s[6:7], exec, s[8:9]
	s_cbranch_execnz .LBB1_2777
; %bb.729:
	s_or_saveexec_b64 s[6:7], s[6:7]
	v_mov_b32_e32 v2, s10
	s_xor_b64 exec, exec, s[6:7]
	s_cbranch_execnz .LBB1_2780
.LBB1_730:
	s_or_b64 exec, exec, s[6:7]
	s_and_saveexec_b64 s[6:7], s[4:5]
	s_cbranch_execz .LBB1_732
.LBB1_731:
	v_bfe_u32 v2, v8, 24, 3
	v_ffbh_u32_e32 v10, v2
	v_min_u32_e32 v10, 32, v10
	v_lshrrev_b32_e32 v6, 27, v8
	v_subrev_u32_e32 v11, 28, v10
	v_and_b32_e32 v3, 0x80000000, v8
	v_and_b32_e32 v6, 15, v6
	v_bfe_u32 v7, v8, 27, 4
	v_lshlrev_b32_sdwa v8, v11, v8 dst_sel:DWORD dst_unused:UNUSED_PAD src0_sel:DWORD src1_sel:BYTE_3
	v_sub_u32_e32 v10, 29, v10
	v_and_b32_e32 v8, 7, v8
	v_cmp_eq_u16_e32 vcc, 0, v6
	v_cndmask_b32_e32 v2, v2, v8, vcc
	v_cndmask_b32_e32 v6, v7, v10, vcc
	v_mov_b32_e32 v7, 0x3b800000
	v_lshlrev_b32_e32 v2, 20, v2
	v_lshl_add_u32 v6, v6, 23, v7
	v_or3_b32 v2, v3, v6, v2
.LBB1_732:
	s_or_b64 exec, exec, s[6:7]
	s_movk_i32 s4, 0x7f
	v_cmp_gt_i16_sdwa s[6:7], v4, s4 src0_sel:BYTE_3 src1_sel:DWORD
	s_mov_b64 s[4:5], 0
                                        ; implicit-def: $sgpr10
	s_and_saveexec_b64 s[8:9], s[6:7]
	s_xor_b64 s[6:7], exec, s[8:9]
	s_cbranch_execnz .LBB1_2781
; %bb.733:
	s_or_saveexec_b64 s[6:7], s[6:7]
	v_mov_b32_e32 v3, s10
	s_xor_b64 exec, exec, s[6:7]
	s_cbranch_execnz .LBB1_2784
.LBB1_734:
	s_or_b64 exec, exec, s[6:7]
	s_and_saveexec_b64 s[6:7], s[4:5]
	s_cbranch_execz .LBB1_736
.LBB1_735:
	v_bfe_u32 v3, v4, 24, 3
	v_ffbh_u32_e32 v10, v3
	v_min_u32_e32 v10, 32, v10
	v_lshrrev_b32_e32 v7, 27, v4
	v_subrev_u32_e32 v11, 28, v10
	v_and_b32_e32 v6, 0x80000000, v4
	v_and_b32_e32 v7, 15, v7
	v_bfe_u32 v8, v4, 27, 4
	v_lshlrev_b32_sdwa v4, v11, v4 dst_sel:DWORD dst_unused:UNUSED_PAD src0_sel:DWORD src1_sel:BYTE_3
	v_sub_u32_e32 v10, 29, v10
	v_and_b32_e32 v4, 7, v4
	v_cmp_eq_u16_e32 vcc, 0, v7
	v_cndmask_b32_e32 v3, v3, v4, vcc
	v_cndmask_b32_e32 v4, v8, v10, vcc
	v_mov_b32_e32 v7, 0x3b800000
	v_lshlrev_b32_e32 v3, 20, v3
	v_lshl_add_u32 v4, v4, 23, v7
	v_or3_b32 v3, v6, v4, v3
.LBB1_736:
	s_or_b64 exec, exec, s[6:7]
	s_nop 0
	v_mfma_f32_16x16x4f32 a[0:3], v2, v3, a[0:3]
	s_movk_i32 s4, 0x7f
	v_cmp_gt_i16_sdwa s[6:7], v9, s4 src0_sel:BYTE_0 src1_sel:DWORD
	s_mov_b64 s[4:5], 0
                                        ; implicit-def: $sgpr10
	s_and_saveexec_b64 s[8:9], s[6:7]
	s_xor_b64 s[6:7], exec, s[8:9]
	s_cbranch_execnz .LBB1_2785
; %bb.737:
	s_or_saveexec_b64 s[6:7], s[6:7]
	v_mov_b32_e32 v2, s10
	s_xor_b64 exec, exec, s[6:7]
	s_cbranch_execnz .LBB1_2788
.LBB1_738:
	s_or_b64 exec, exec, s[6:7]
	s_and_saveexec_b64 s[6:7], s[4:5]
	s_cbranch_execz .LBB1_740
.LBB1_739:
	v_mov_b32_e32 v2, 8
	v_and_b32_e32 v3, 7, v9
	v_lshrrev_b32_sdwa v2, v2, v9 dst_sel:BYTE_1 dst_unused:UNUSED_PAD src0_sel:DWORD src1_sel:DWORD
	v_ffbh_u32_e32 v4, v3
	v_or_b32_sdwa v2, v9, v2 dst_sel:DWORD dst_unused:UNUSED_PAD src0_sel:BYTE_0 src1_sel:DWORD
	v_min_u32_e32 v4, 32, v4
	v_lshrrev_b16_e32 v2, 3, v2
	v_subrev_u32_e32 v6, 28, v4
	v_and_b32_e32 v2, 15, v2
	v_lshlrev_b32_e32 v6, v6, v9
	v_sub_u32_e32 v4, 29, v4
	v_and_b32_e32 v6, 7, v6
	v_cmp_eq_u16_e32 vcc, 0, v2
	v_cndmask_b32_e32 v3, v3, v6, vcc
	v_cndmask_b32_e32 v2, v2, v4, vcc
	v_lshlrev_b32_e32 v4, 24, v9
	v_mov_b32_e32 v6, 0x3b800000
	v_lshlrev_b32_e32 v3, 20, v3
	v_and_b32_e32 v4, 0x80000000, v4
	v_lshl_add_u32 v2, v2, 23, v6
	v_or3_b32 v2, v4, v2, v3
.LBB1_740:
	s_or_b64 exec, exec, s[6:7]
	s_movk_i32 s4, 0x7f
	v_cmp_gt_i16_sdwa s[6:7], v5, s4 src0_sel:BYTE_0 src1_sel:DWORD
	s_mov_b64 s[4:5], 0
                                        ; implicit-def: $sgpr10
	s_and_saveexec_b64 s[8:9], s[6:7]
	s_xor_b64 s[6:7], exec, s[8:9]
	s_cbranch_execnz .LBB1_2789
; %bb.741:
	s_or_saveexec_b64 s[6:7], s[6:7]
	v_mov_b32_e32 v3, s10
	s_xor_b64 exec, exec, s[6:7]
	s_cbranch_execnz .LBB1_2792
.LBB1_742:
	s_or_b64 exec, exec, s[6:7]
	s_and_saveexec_b64 s[6:7], s[4:5]
	s_cbranch_execz .LBB1_744
.LBB1_743:
	v_mov_b32_e32 v3, 8
	v_and_b32_e32 v4, 7, v5
	v_lshrrev_b32_sdwa v3, v3, v5 dst_sel:BYTE_1 dst_unused:UNUSED_PAD src0_sel:DWORD src1_sel:DWORD
	v_ffbh_u32_e32 v6, v4
	v_or_b32_sdwa v3, v5, v3 dst_sel:DWORD dst_unused:UNUSED_PAD src0_sel:BYTE_0 src1_sel:DWORD
	v_min_u32_e32 v6, 32, v6
	v_lshrrev_b16_e32 v3, 3, v3
	v_subrev_u32_e32 v7, 28, v6
	v_and_b32_e32 v3, 15, v3
	v_lshlrev_b32_e32 v7, v7, v5
	v_sub_u32_e32 v6, 29, v6
	v_and_b32_e32 v7, 7, v7
	v_cmp_eq_u16_e32 vcc, 0, v3
	v_cndmask_b32_e32 v4, v4, v7, vcc
	v_cndmask_b32_e32 v3, v3, v6, vcc
	v_lshlrev_b32_e32 v6, 24, v5
	v_mov_b32_e32 v7, 0x3b800000
	v_lshlrev_b32_e32 v4, 20, v4
	v_and_b32_e32 v6, 0x80000000, v6
	v_lshl_add_u32 v3, v3, 23, v7
	v_or3_b32 v3, v6, v3, v4
.LBB1_744:
	s_or_b64 exec, exec, s[6:7]
	s_nop 0
	v_mfma_f32_16x16x4f32 a[0:3], v2, v3, a[0:3]
	v_lshrrev_b32_e32 v3, 8, v9
	s_movk_i32 s4, 0x7f
	v_cmp_gt_i16_sdwa s[6:7], v3, s4 src0_sel:BYTE_0 src1_sel:DWORD
	s_mov_b64 s[4:5], 0
                                        ; implicit-def: $sgpr10
	s_and_saveexec_b64 s[8:9], s[6:7]
	s_xor_b64 s[6:7], exec, s[8:9]
	s_cbranch_execnz .LBB1_2793
; %bb.745:
	s_or_saveexec_b64 s[6:7], s[6:7]
	v_mov_b32_e32 v2, s10
	s_xor_b64 exec, exec, s[6:7]
	s_cbranch_execnz .LBB1_2796
.LBB1_746:
	s_or_b64 exec, exec, s[6:7]
	s_and_saveexec_b64 s[6:7], s[4:5]
	s_cbranch_execz .LBB1_748
.LBB1_747:
	v_bfe_u32 v2, v9, 8, 3
	v_ffbh_u32_e32 v6, v2
	v_min_u32_e32 v6, 32, v6
	v_lshrrev_b16_e32 v4, 3, v3
	v_subrev_u32_e32 v7, 28, v6
	v_and_b32_e32 v4, 15, v4
	v_lshlrev_b32_e32 v3, v7, v3
	v_sub_u32_e32 v6, 29, v6
	v_and_b32_e32 v3, 7, v3
	v_cmp_eq_u16_e32 vcc, 0, v4
	v_cndmask_b32_e32 v2, v2, v3, vcc
	v_cndmask_b32_e32 v3, v4, v6, vcc
	v_lshlrev_b32_e32 v4, 16, v9
	v_mov_b32_e32 v6, 0x3b800000
	v_lshlrev_b32_e32 v2, 20, v2
	v_and_b32_e32 v4, 0x80000000, v4
	v_lshl_add_u32 v3, v3, 23, v6
	v_or3_b32 v2, v4, v3, v2
.LBB1_748:
	s_or_b64 exec, exec, s[6:7]
	v_lshrrev_b32_e32 v3, 8, v5
	s_movk_i32 s4, 0x7f
	v_cmp_gt_i16_sdwa s[6:7], v3, s4 src0_sel:BYTE_0 src1_sel:DWORD
	s_mov_b64 s[4:5], 0
                                        ; implicit-def: $sgpr10
	s_and_saveexec_b64 s[8:9], s[6:7]
	s_xor_b64 s[6:7], exec, s[8:9]
	s_cbranch_execnz .LBB1_2797
; %bb.749:
	s_or_saveexec_b64 s[6:7], s[6:7]
	v_mov_b32_e32 v4, s10
	s_xor_b64 exec, exec, s[6:7]
	s_cbranch_execnz .LBB1_2800
.LBB1_750:
	s_or_b64 exec, exec, s[6:7]
	s_and_saveexec_b64 s[6:7], s[4:5]
	s_cbranch_execz .LBB1_752
.LBB1_751:
	v_bfe_u32 v4, v5, 8, 3
	v_ffbh_u32_e32 v7, v4
	v_min_u32_e32 v7, 32, v7
	v_lshrrev_b16_e32 v6, 3, v3
	v_subrev_u32_e32 v8, 28, v7
	v_and_b32_e32 v6, 15, v6
	v_lshlrev_b32_e32 v3, v8, v3
	v_sub_u32_e32 v7, 29, v7
	v_and_b32_e32 v3, 7, v3
	v_cmp_eq_u16_e32 vcc, 0, v6
	v_cndmask_b32_e32 v3, v4, v3, vcc
	v_cndmask_b32_e32 v4, v6, v7, vcc
	v_lshlrev_b32_e32 v6, 16, v5
	v_mov_b32_e32 v7, 0x3b800000
	v_lshlrev_b32_e32 v3, 20, v3
	v_and_b32_e32 v6, 0x80000000, v6
	v_lshl_add_u32 v4, v4, 23, v7
	v_or3_b32 v4, v6, v4, v3
.LBB1_752:
	s_or_b64 exec, exec, s[6:7]
	s_nop 0
	v_mfma_f32_16x16x4f32 a[0:3], v2, v4, a[0:3]
	s_movk_i32 s4, 0xff
	v_and_b32_sdwa v3, v9, s4 dst_sel:DWORD dst_unused:UNUSED_PAD src0_sel:WORD_1 src1_sel:DWORD
	s_movk_i32 s4, 0x7f
	v_cmp_lt_i16_e32 vcc, s4, v3
	s_mov_b64 s[4:5], 0
                                        ; implicit-def: $sgpr10
	s_and_saveexec_b64 s[6:7], vcc
	s_xor_b64 s[6:7], exec, s[6:7]
	s_cbranch_execnz .LBB1_2801
; %bb.753:
	s_or_saveexec_b64 s[6:7], s[6:7]
	v_mov_b32_e32 v2, s10
	s_xor_b64 exec, exec, s[6:7]
	s_cbranch_execnz .LBB1_2804
.LBB1_754:
	s_or_b64 exec, exec, s[6:7]
	s_and_saveexec_b64 s[6:7], s[4:5]
	s_cbranch_execz .LBB1_756
.LBB1_755:
	v_bfe_u32 v2, v9, 16, 3
	v_ffbh_u32_e32 v6, v2
	v_min_u32_e32 v6, 32, v6
	v_lshrrev_b32_e32 v3, 19, v9
	v_subrev_u32_e32 v7, 28, v6
	v_and_b32_e32 v3, 15, v3
	v_lshlrev_b32_sdwa v7, v7, v9 dst_sel:DWORD dst_unused:UNUSED_PAD src0_sel:DWORD src1_sel:WORD_1
	v_bfe_u32 v4, v9, 19, 4
	v_sub_u32_e32 v6, 29, v6
	v_and_b32_e32 v7, 7, v7
	v_cmp_eq_u16_e32 vcc, 0, v3
	v_cndmask_b32_e32 v2, v2, v7, vcc
	v_cndmask_b32_e32 v3, v4, v6, vcc
	v_lshlrev_b32_e32 v4, 8, v9
	v_mov_b32_e32 v6, 0x3b800000
	v_lshlrev_b32_e32 v2, 20, v2
	v_and_b32_e32 v4, 0x80000000, v4
	v_lshl_add_u32 v3, v3, 23, v6
	v_or3_b32 v2, v4, v3, v2
.LBB1_756:
	s_or_b64 exec, exec, s[6:7]
	s_movk_i32 s4, 0xff
	v_and_b32_sdwa v3, v5, s4 dst_sel:DWORD dst_unused:UNUSED_PAD src0_sel:WORD_1 src1_sel:DWORD
	s_movk_i32 s4, 0x7f
	v_cmp_lt_i16_e32 vcc, s4, v3
	s_mov_b64 s[4:5], 0
                                        ; implicit-def: $sgpr10
	s_and_saveexec_b64 s[6:7], vcc
	s_xor_b64 s[6:7], exec, s[6:7]
	s_cbranch_execnz .LBB1_2805
; %bb.757:
	s_or_saveexec_b64 s[6:7], s[6:7]
	v_mov_b32_e32 v4, s10
	s_xor_b64 exec, exec, s[6:7]
	s_cbranch_execnz .LBB1_2808
.LBB1_758:
	s_or_b64 exec, exec, s[6:7]
	s_and_saveexec_b64 s[6:7], s[4:5]
	s_cbranch_execz .LBB1_760
.LBB1_759:
	v_bfe_u32 v3, v5, 16, 3
	v_ffbh_u32_e32 v7, v3
	v_min_u32_e32 v7, 32, v7
	v_lshrrev_b32_e32 v4, 19, v5
	v_subrev_u32_e32 v8, 28, v7
	v_and_b32_e32 v4, 15, v4
	v_lshlrev_b32_sdwa v8, v8, v5 dst_sel:DWORD dst_unused:UNUSED_PAD src0_sel:DWORD src1_sel:WORD_1
	v_bfe_u32 v6, v5, 19, 4
	v_sub_u32_e32 v7, 29, v7
	v_and_b32_e32 v8, 7, v8
	v_cmp_eq_u16_e32 vcc, 0, v4
	v_cndmask_b32_e32 v3, v3, v8, vcc
	v_cndmask_b32_e32 v4, v6, v7, vcc
	v_lshlrev_b32_e32 v6, 8, v5
	v_mov_b32_e32 v7, 0x3b800000
	v_lshlrev_b32_e32 v3, 20, v3
	v_and_b32_e32 v6, 0x80000000, v6
	v_lshl_add_u32 v4, v4, 23, v7
	v_or3_b32 v4, v6, v4, v3
.LBB1_760:
	s_or_b64 exec, exec, s[6:7]
	s_nop 0
	v_mfma_f32_16x16x4f32 a[0:3], v2, v4, a[0:3]
	s_movk_i32 s4, 0x7f
	v_cmp_gt_i16_sdwa s[6:7], v9, s4 src0_sel:BYTE_3 src1_sel:DWORD
	s_mov_b64 s[4:5], 0
                                        ; implicit-def: $sgpr10
	s_and_saveexec_b64 s[8:9], s[6:7]
	s_xor_b64 s[6:7], exec, s[8:9]
	s_cbranch_execnz .LBB1_2809
; %bb.761:
	s_or_saveexec_b64 s[6:7], s[6:7]
	v_mov_b32_e32 v2, s10
	s_xor_b64 exec, exec, s[6:7]
	s_cbranch_execnz .LBB1_2812
.LBB1_762:
	s_or_b64 exec, exec, s[6:7]
	s_and_saveexec_b64 s[6:7], s[4:5]
	s_cbranch_execz .LBB1_764
.LBB1_763:
	v_bfe_u32 v2, v9, 24, 3
	v_ffbh_u32_e32 v7, v2
	v_min_u32_e32 v7, 32, v7
	v_lshrrev_b32_e32 v4, 27, v9
	v_subrev_u32_e32 v8, 28, v7
	v_and_b32_e32 v4, 15, v4
	v_lshlrev_b32_sdwa v8, v8, v9 dst_sel:DWORD dst_unused:UNUSED_PAD src0_sel:DWORD src1_sel:BYTE_3
	v_bfe_u32 v6, v9, 27, 4
	v_sub_u32_e32 v7, 29, v7
	v_and_b32_e32 v8, 7, v8
	v_cmp_eq_u16_e32 vcc, 0, v4
	v_cndmask_b32_e32 v2, v2, v8, vcc
	v_cndmask_b32_e32 v4, v6, v7, vcc
	v_mov_b32_e32 v6, 0x3b800000
	v_and_b32_e32 v3, 0x80000000, v9
	v_lshlrev_b32_e32 v2, 20, v2
	v_lshl_add_u32 v4, v4, 23, v6
	v_or3_b32 v2, v3, v4, v2
.LBB1_764:
	s_or_b64 exec, exec, s[6:7]
	s_movk_i32 s4, 0x7f
	v_cmp_gt_i16_sdwa s[6:7], v5, s4 src0_sel:BYTE_3 src1_sel:DWORD
	s_mov_b64 s[4:5], 0
                                        ; implicit-def: $sgpr10
	s_and_saveexec_b64 s[8:9], s[6:7]
	s_xor_b64 s[6:7], exec, s[8:9]
	s_cbranch_execnz .LBB1_2813
; %bb.765:
	s_or_saveexec_b64 s[6:7], s[6:7]
	v_mov_b32_e32 v3, s10
	s_xor_b64 exec, exec, s[6:7]
	s_cbranch_execnz .LBB1_2816
.LBB1_766:
	s_or_b64 exec, exec, s[6:7]
	s_and_saveexec_b64 s[6:7], s[4:5]
	s_cbranch_execz .LBB1_768
.LBB1_767:
	v_bfe_u32 v3, v5, 24, 3
	v_ffbh_u32_e32 v8, v3
	v_min_u32_e32 v8, 32, v8
	v_lshrrev_b32_e32 v6, 27, v5
	v_subrev_u32_e32 v9, 28, v8
	v_and_b32_e32 v4, 0x80000000, v5
	v_and_b32_e32 v6, 15, v6
	v_bfe_u32 v7, v5, 27, 4
	v_lshlrev_b32_sdwa v5, v9, v5 dst_sel:DWORD dst_unused:UNUSED_PAD src0_sel:DWORD src1_sel:BYTE_3
	v_sub_u32_e32 v8, 29, v8
	v_and_b32_e32 v5, 7, v5
	v_cmp_eq_u16_e32 vcc, 0, v6
	v_cndmask_b32_e32 v3, v3, v5, vcc
	v_cndmask_b32_e32 v5, v7, v8, vcc
	v_mov_b32_e32 v6, 0x3b800000
	v_lshlrev_b32_e32 v3, 20, v3
	v_lshl_add_u32 v5, v5, 23, v6
	v_or3_b32 v3, v4, v5, v3
.LBB1_768:
	s_or_b64 exec, exec, s[6:7]
	s_nop 0
	v_mfma_f32_16x16x4f32 a[0:3], v2, v3, a[0:3]
	s_movk_i32 s4, 0x7f
                                        ; implicit-def: $sgpr10
	s_nop 7
	s_nop 1
	flat_store_dwordx4 v[18:19], a[0:3] offset:32
	flat_load_dwordx4 v[20:23], v[0:1] offset:16
	s_nop 0
	flat_load_dwordx2 v[18:19], v[0:1] offset:32
	s_waitcnt vmcnt(0) lgkmcnt(0)
	flat_load_dwordx4 v[14:17], v[20:21]
	flat_load_dwordx4 v[6:9], v[20:21] offset:16
	flat_load_dwordx4 v[10:13], v[22:23] offset:96
	;; [unrolled: 1-line block ×3, first 2 shown]
	s_waitcnt vmcnt(0) lgkmcnt(0)
	v_cmp_gt_i16_sdwa s[6:7], v14, s4 src0_sel:BYTE_0 src1_sel:DWORD
	s_mov_b64 s[4:5], 0
	s_and_saveexec_b64 s[8:9], s[6:7]
	s_xor_b64 s[6:7], exec, s[8:9]
	s_cbranch_execnz .LBB1_2817
; %bb.769:
	s_or_saveexec_b64 s[6:7], s[6:7]
	v_mov_b32_e32 v20, s10
	s_xor_b64 exec, exec, s[6:7]
	s_cbranch_execnz .LBB1_2820
.LBB1_770:
	s_or_b64 exec, exec, s[6:7]
	s_and_saveexec_b64 s[6:7], s[4:5]
	s_cbranch_execz .LBB1_772
.LBB1_771:
	v_and_b32_e32 v20, 7, v14
	v_ffbh_u32_e32 v22, v20
	v_min_u32_e32 v22, 32, v22
	v_lshrrev_b16_e32 v21, 3, v14
	v_subrev_u32_e32 v23, 28, v22
	v_and_b32_e32 v21, 15, v21
	v_lshlrev_b32_e32 v23, v23, v14
	v_sub_u32_e32 v22, 29, v22
	v_and_b32_e32 v23, 7, v23
	v_cmp_eq_u16_e32 vcc, 0, v21
	v_cndmask_b32_e32 v20, v20, v23, vcc
	v_cndmask_b32_e32 v21, v21, v22, vcc
	v_lshlrev_b32_e32 v22, 24, v14
	v_mov_b32_e32 v23, 0x3b800000
	v_lshlrev_b32_e32 v20, 20, v20
	v_and_b32_e32 v22, 0x80000000, v22
	v_lshl_add_u32 v21, v21, 23, v23
	v_or3_b32 v20, v22, v21, v20
.LBB1_772:
	s_or_b64 exec, exec, s[6:7]
	s_movk_i32 s4, 0x7f
	v_cmp_gt_i16_sdwa s[6:7], v10, s4 src0_sel:BYTE_0 src1_sel:DWORD
	s_mov_b64 s[4:5], 0
                                        ; implicit-def: $sgpr10
	s_and_saveexec_b64 s[8:9], s[6:7]
	s_xor_b64 s[6:7], exec, s[8:9]
	s_cbranch_execnz .LBB1_2821
; %bb.773:
	s_or_saveexec_b64 s[6:7], s[6:7]
	v_mov_b32_e32 v21, s10
	s_xor_b64 exec, exec, s[6:7]
	s_cbranch_execnz .LBB1_2824
.LBB1_774:
	s_or_b64 exec, exec, s[6:7]
	s_and_saveexec_b64 s[6:7], s[4:5]
	s_cbranch_execz .LBB1_776
.LBB1_775:
	v_and_b32_e32 v21, 7, v10
	v_ffbh_u32_e32 v23, v21
	v_min_u32_e32 v23, 32, v23
	v_lshrrev_b16_e32 v22, 3, v10
	v_subrev_u32_e32 v24, 28, v23
	v_and_b32_e32 v22, 15, v22
	v_lshlrev_b32_e32 v24, v24, v10
	v_sub_u32_e32 v23, 29, v23
	v_and_b32_e32 v24, 7, v24
	v_cmp_eq_u16_e32 vcc, 0, v22
	v_cndmask_b32_e32 v21, v21, v24, vcc
	v_cndmask_b32_e32 v22, v22, v23, vcc
	v_lshlrev_b32_e32 v23, 24, v10
	v_mov_b32_e32 v24, 0x3b800000
	v_lshlrev_b32_e32 v21, 20, v21
	v_and_b32_e32 v23, 0x80000000, v23
	v_lshl_add_u32 v22, v22, 23, v24
	v_or3_b32 v21, v23, v22, v21
.LBB1_776:
	s_or_b64 exec, exec, s[6:7]
	flat_load_dwordx4 a[0:3], v[18:19] offset:48
	s_movk_i32 s4, 0x7f
                                        ; implicit-def: $sgpr10
	s_waitcnt vmcnt(0) lgkmcnt(0)
	v_mfma_f32_16x16x4f32 a[0:3], v20, v21, a[0:3]
	v_lshrrev_b32_e32 v21, 8, v14
	v_cmp_gt_i16_sdwa s[6:7], v21, s4 src0_sel:BYTE_0 src1_sel:DWORD
	s_mov_b64 s[4:5], 0
	s_and_saveexec_b64 s[8:9], s[6:7]
	s_xor_b64 s[6:7], exec, s[8:9]
	s_cbranch_execnz .LBB1_2825
; %bb.777:
	s_or_saveexec_b64 s[6:7], s[6:7]
	v_mov_b32_e32 v20, s10
	s_xor_b64 exec, exec, s[6:7]
	s_cbranch_execnz .LBB1_2828
.LBB1_778:
	s_or_b64 exec, exec, s[6:7]
	s_and_saveexec_b64 s[6:7], s[4:5]
	s_cbranch_execz .LBB1_780
.LBB1_779:
	v_bfe_u32 v20, v14, 8, 3
	v_ffbh_u32_e32 v23, v20
	v_min_u32_e32 v23, 32, v23
	v_lshrrev_b16_e32 v22, 3, v21
	v_subrev_u32_e32 v24, 28, v23
	v_and_b32_e32 v22, 15, v22
	v_lshlrev_b32_e32 v21, v24, v21
	v_sub_u32_e32 v23, 29, v23
	v_and_b32_e32 v21, 7, v21
	v_cmp_eq_u16_e32 vcc, 0, v22
	v_cndmask_b32_e32 v20, v20, v21, vcc
	v_cndmask_b32_e32 v21, v22, v23, vcc
	v_lshlrev_b32_e32 v22, 16, v14
	v_mov_b32_e32 v23, 0x3b800000
	v_lshlrev_b32_e32 v20, 20, v20
	v_and_b32_e32 v22, 0x80000000, v22
	v_lshl_add_u32 v21, v21, 23, v23
	v_or3_b32 v20, v22, v21, v20
.LBB1_780:
	s_or_b64 exec, exec, s[6:7]
	v_lshrrev_b32_e32 v21, 8, v10
	s_movk_i32 s4, 0x7f
	v_cmp_gt_i16_sdwa s[6:7], v21, s4 src0_sel:BYTE_0 src1_sel:DWORD
	s_mov_b64 s[4:5], 0
                                        ; implicit-def: $sgpr10
	s_and_saveexec_b64 s[8:9], s[6:7]
	s_xor_b64 s[6:7], exec, s[8:9]
	s_cbranch_execnz .LBB1_2829
; %bb.781:
	s_or_saveexec_b64 s[6:7], s[6:7]
	v_mov_b32_e32 v22, s10
	s_xor_b64 exec, exec, s[6:7]
	s_cbranch_execnz .LBB1_2832
.LBB1_782:
	s_or_b64 exec, exec, s[6:7]
	s_and_saveexec_b64 s[6:7], s[4:5]
	s_cbranch_execz .LBB1_784
.LBB1_783:
	v_bfe_u32 v22, v10, 8, 3
	v_ffbh_u32_e32 v24, v22
	v_min_u32_e32 v24, 32, v24
	v_lshrrev_b16_e32 v23, 3, v21
	v_subrev_u32_e32 v25, 28, v24
	v_and_b32_e32 v23, 15, v23
	v_lshlrev_b32_e32 v21, v25, v21
	v_sub_u32_e32 v24, 29, v24
	v_and_b32_e32 v21, 7, v21
	v_cmp_eq_u16_e32 vcc, 0, v23
	v_cndmask_b32_e32 v21, v22, v21, vcc
	v_cndmask_b32_e32 v22, v23, v24, vcc
	v_lshlrev_b32_e32 v23, 16, v10
	v_mov_b32_e32 v24, 0x3b800000
	v_lshlrev_b32_e32 v21, 20, v21
	v_and_b32_e32 v23, 0x80000000, v23
	v_lshl_add_u32 v22, v22, 23, v24
	v_or3_b32 v22, v23, v22, v21
.LBB1_784:
	s_or_b64 exec, exec, s[6:7]
	s_nop 0
	v_mfma_f32_16x16x4f32 a[0:3], v20, v22, a[0:3]
	s_movk_i32 s4, 0xff
	v_and_b32_sdwa v21, v14, s4 dst_sel:DWORD dst_unused:UNUSED_PAD src0_sel:WORD_1 src1_sel:DWORD
	s_movk_i32 s4, 0x7f
	v_cmp_lt_i16_e32 vcc, s4, v21
	s_mov_b64 s[4:5], 0
                                        ; implicit-def: $sgpr10
	s_and_saveexec_b64 s[6:7], vcc
	s_xor_b64 s[6:7], exec, s[6:7]
	s_cbranch_execnz .LBB1_2833
; %bb.785:
	s_or_saveexec_b64 s[6:7], s[6:7]
	v_mov_b32_e32 v20, s10
	s_xor_b64 exec, exec, s[6:7]
	s_cbranch_execnz .LBB1_2836
.LBB1_786:
	s_or_b64 exec, exec, s[6:7]
	s_and_saveexec_b64 s[6:7], s[4:5]
	s_cbranch_execz .LBB1_788
.LBB1_787:
	v_bfe_u32 v20, v14, 16, 3
	v_ffbh_u32_e32 v23, v20
	v_min_u32_e32 v23, 32, v23
	v_lshrrev_b32_e32 v21, 19, v14
	v_subrev_u32_e32 v24, 28, v23
	v_and_b32_e32 v21, 15, v21
	v_lshlrev_b32_sdwa v24, v24, v14 dst_sel:DWORD dst_unused:UNUSED_PAD src0_sel:DWORD src1_sel:WORD_1
	v_bfe_u32 v22, v14, 19, 4
	v_sub_u32_e32 v23, 29, v23
	v_and_b32_e32 v24, 7, v24
	v_cmp_eq_u16_e32 vcc, 0, v21
	v_cndmask_b32_e32 v20, v20, v24, vcc
	v_cndmask_b32_e32 v21, v22, v23, vcc
	v_lshlrev_b32_e32 v22, 8, v14
	v_mov_b32_e32 v23, 0x3b800000
	v_lshlrev_b32_e32 v20, 20, v20
	v_and_b32_e32 v22, 0x80000000, v22
	v_lshl_add_u32 v21, v21, 23, v23
	v_or3_b32 v20, v22, v21, v20
.LBB1_788:
	s_or_b64 exec, exec, s[6:7]
	s_movk_i32 s4, 0xff
	v_and_b32_sdwa v21, v10, s4 dst_sel:DWORD dst_unused:UNUSED_PAD src0_sel:WORD_1 src1_sel:DWORD
	s_movk_i32 s4, 0x7f
	v_cmp_lt_i16_e32 vcc, s4, v21
	s_mov_b64 s[4:5], 0
                                        ; implicit-def: $sgpr10
	s_and_saveexec_b64 s[6:7], vcc
	s_xor_b64 s[6:7], exec, s[6:7]
	s_cbranch_execnz .LBB1_2837
; %bb.789:
	s_or_saveexec_b64 s[6:7], s[6:7]
	v_mov_b32_e32 v22, s10
	s_xor_b64 exec, exec, s[6:7]
	s_cbranch_execnz .LBB1_2840
.LBB1_790:
	s_or_b64 exec, exec, s[6:7]
	s_and_saveexec_b64 s[6:7], s[4:5]
	s_cbranch_execz .LBB1_792
.LBB1_791:
	v_bfe_u32 v21, v10, 16, 3
	v_ffbh_u32_e32 v24, v21
	v_min_u32_e32 v24, 32, v24
	v_lshrrev_b32_e32 v22, 19, v10
	v_subrev_u32_e32 v25, 28, v24
	v_and_b32_e32 v22, 15, v22
	v_lshlrev_b32_sdwa v25, v25, v10 dst_sel:DWORD dst_unused:UNUSED_PAD src0_sel:DWORD src1_sel:WORD_1
	v_bfe_u32 v23, v10, 19, 4
	v_sub_u32_e32 v24, 29, v24
	v_and_b32_e32 v25, 7, v25
	v_cmp_eq_u16_e32 vcc, 0, v22
	v_cndmask_b32_e32 v21, v21, v25, vcc
	v_cndmask_b32_e32 v22, v23, v24, vcc
	v_lshlrev_b32_e32 v23, 8, v10
	v_mov_b32_e32 v24, 0x3b800000
	v_lshlrev_b32_e32 v21, 20, v21
	v_and_b32_e32 v23, 0x80000000, v23
	v_lshl_add_u32 v22, v22, 23, v24
	v_or3_b32 v22, v23, v22, v21
.LBB1_792:
	s_or_b64 exec, exec, s[6:7]
	s_nop 0
	v_mfma_f32_16x16x4f32 a[0:3], v20, v22, a[0:3]
	s_movk_i32 s4, 0x7f
	v_cmp_gt_i16_sdwa s[6:7], v14, s4 src0_sel:BYTE_3 src1_sel:DWORD
	s_mov_b64 s[4:5], 0
                                        ; implicit-def: $sgpr10
	s_and_saveexec_b64 s[8:9], s[6:7]
	s_xor_b64 s[6:7], exec, s[8:9]
	s_cbranch_execnz .LBB1_2841
; %bb.793:
	s_or_saveexec_b64 s[6:7], s[6:7]
	v_mov_b32_e32 v20, s10
	s_xor_b64 exec, exec, s[6:7]
	s_cbranch_execnz .LBB1_2844
.LBB1_794:
	s_or_b64 exec, exec, s[6:7]
	s_and_saveexec_b64 s[6:7], s[4:5]
	s_cbranch_execz .LBB1_796
.LBB1_795:
	v_bfe_u32 v20, v14, 24, 3
	v_ffbh_u32_e32 v24, v20
	v_min_u32_e32 v24, 32, v24
	v_lshrrev_b32_e32 v22, 27, v14
	v_subrev_u32_e32 v25, 28, v24
	v_and_b32_e32 v21, 0x80000000, v14
	v_and_b32_e32 v22, 15, v22
	v_bfe_u32 v23, v14, 27, 4
	v_lshlrev_b32_sdwa v14, v25, v14 dst_sel:DWORD dst_unused:UNUSED_PAD src0_sel:DWORD src1_sel:BYTE_3
	v_sub_u32_e32 v24, 29, v24
	v_and_b32_e32 v14, 7, v14
	v_cmp_eq_u16_e32 vcc, 0, v22
	v_cndmask_b32_e32 v14, v20, v14, vcc
	v_cndmask_b32_e32 v20, v23, v24, vcc
	v_mov_b32_e32 v22, 0x3b800000
	v_lshlrev_b32_e32 v14, 20, v14
	v_lshl_add_u32 v20, v20, 23, v22
	v_or3_b32 v20, v21, v20, v14
.LBB1_796:
	s_or_b64 exec, exec, s[6:7]
	s_movk_i32 s4, 0x7f
	v_cmp_gt_i16_sdwa s[6:7], v10, s4 src0_sel:BYTE_3 src1_sel:DWORD
	s_mov_b64 s[4:5], 0
                                        ; implicit-def: $sgpr10
	s_and_saveexec_b64 s[8:9], s[6:7]
	s_xor_b64 s[6:7], exec, s[8:9]
	s_cbranch_execnz .LBB1_2845
; %bb.797:
	s_or_saveexec_b64 s[6:7], s[6:7]
	v_mov_b32_e32 v14, s10
	s_xor_b64 exec, exec, s[6:7]
	s_cbranch_execnz .LBB1_2848
.LBB1_798:
	s_or_b64 exec, exec, s[6:7]
	s_and_saveexec_b64 s[6:7], s[4:5]
	s_cbranch_execz .LBB1_800
.LBB1_799:
	v_bfe_u32 v14, v10, 24, 3
	v_ffbh_u32_e32 v24, v14
	v_min_u32_e32 v24, 32, v24
	v_lshrrev_b32_e32 v22, 27, v10
	v_subrev_u32_e32 v25, 28, v24
	v_and_b32_e32 v21, 0x80000000, v10
	v_and_b32_e32 v22, 15, v22
	v_bfe_u32 v23, v10, 27, 4
	v_lshlrev_b32_sdwa v10, v25, v10 dst_sel:DWORD dst_unused:UNUSED_PAD src0_sel:DWORD src1_sel:BYTE_3
	v_sub_u32_e32 v24, 29, v24
	v_and_b32_e32 v10, 7, v10
	v_cmp_eq_u16_e32 vcc, 0, v22
	v_cndmask_b32_e32 v10, v14, v10, vcc
	v_cndmask_b32_e32 v14, v23, v24, vcc
	v_mov_b32_e32 v22, 0x3b800000
	v_lshlrev_b32_e32 v10, 20, v10
	v_lshl_add_u32 v14, v14, 23, v22
	v_or3_b32 v14, v21, v14, v10
.LBB1_800:
	s_or_b64 exec, exec, s[6:7]
	s_nop 0
	v_mfma_f32_16x16x4f32 a[0:3], v20, v14, a[0:3]
	s_movk_i32 s4, 0x7f
	v_cmp_gt_i16_sdwa s[6:7], v15, s4 src0_sel:BYTE_0 src1_sel:DWORD
	s_mov_b64 s[4:5], 0
                                        ; implicit-def: $sgpr10
	s_and_saveexec_b64 s[8:9], s[6:7]
	s_xor_b64 s[6:7], exec, s[8:9]
	s_cbranch_execnz .LBB1_2849
; %bb.801:
	s_or_saveexec_b64 s[6:7], s[6:7]
	v_mov_b32_e32 v10, s10
	s_xor_b64 exec, exec, s[6:7]
	s_cbranch_execnz .LBB1_2852
.LBB1_802:
	s_or_b64 exec, exec, s[6:7]
	s_and_saveexec_b64 s[6:7], s[4:5]
	s_cbranch_execz .LBB1_804
.LBB1_803:
	v_and_b32_e32 v10, 7, v15
	v_ffbh_u32_e32 v20, v10
	v_min_u32_e32 v20, 32, v20
	v_lshrrev_b16_e32 v14, 3, v15
	v_subrev_u32_e32 v21, 28, v20
	v_and_b32_e32 v14, 15, v14
	v_lshlrev_b32_e32 v21, v21, v15
	v_sub_u32_e32 v20, 29, v20
	v_and_b32_e32 v21, 7, v21
	v_cmp_eq_u16_e32 vcc, 0, v14
	v_cndmask_b32_e32 v10, v10, v21, vcc
	v_cndmask_b32_e32 v14, v14, v20, vcc
	v_lshlrev_b32_e32 v20, 24, v15
	v_mov_b32_e32 v21, 0x3b800000
	v_lshlrev_b32_e32 v10, 20, v10
	v_and_b32_e32 v20, 0x80000000, v20
	v_lshl_add_u32 v14, v14, 23, v21
	v_or3_b32 v10, v20, v14, v10
.LBB1_804:
	s_or_b64 exec, exec, s[6:7]
	s_movk_i32 s4, 0x7f
	v_cmp_gt_i16_sdwa s[6:7], v11, s4 src0_sel:BYTE_0 src1_sel:DWORD
	s_mov_b64 s[4:5], 0
                                        ; implicit-def: $sgpr10
	s_and_saveexec_b64 s[8:9], s[6:7]
	s_xor_b64 s[6:7], exec, s[8:9]
	s_cbranch_execnz .LBB1_2853
; %bb.805:
	s_or_saveexec_b64 s[6:7], s[6:7]
	v_mov_b32_e32 v14, s10
	s_xor_b64 exec, exec, s[6:7]
	s_cbranch_execnz .LBB1_2856
.LBB1_806:
	s_or_b64 exec, exec, s[6:7]
	s_and_saveexec_b64 s[6:7], s[4:5]
	s_cbranch_execz .LBB1_808
.LBB1_807:
	v_and_b32_e32 v14, 7, v11
	v_ffbh_u32_e32 v21, v14
	v_min_u32_e32 v21, 32, v21
	v_lshrrev_b16_e32 v20, 3, v11
	v_subrev_u32_e32 v22, 28, v21
	v_and_b32_e32 v20, 15, v20
	v_lshlrev_b32_e32 v22, v22, v11
	v_sub_u32_e32 v21, 29, v21
	v_and_b32_e32 v22, 7, v22
	v_cmp_eq_u16_e32 vcc, 0, v20
	v_cndmask_b32_e32 v14, v14, v22, vcc
	v_cndmask_b32_e32 v20, v20, v21, vcc
	v_lshlrev_b32_e32 v21, 24, v11
	v_mov_b32_e32 v22, 0x3b800000
	v_lshlrev_b32_e32 v14, 20, v14
	v_and_b32_e32 v21, 0x80000000, v21
	v_lshl_add_u32 v20, v20, 23, v22
	v_or3_b32 v14, v21, v20, v14
.LBB1_808:
	s_or_b64 exec, exec, s[6:7]
	s_nop 0
	v_mfma_f32_16x16x4f32 a[0:3], v10, v14, a[0:3]
	v_lshrrev_b32_e32 v14, 8, v15
	s_movk_i32 s4, 0x7f
	v_cmp_gt_i16_sdwa s[6:7], v14, s4 src0_sel:BYTE_0 src1_sel:DWORD
	s_mov_b64 s[4:5], 0
                                        ; implicit-def: $sgpr10
	s_and_saveexec_b64 s[8:9], s[6:7]
	s_xor_b64 s[6:7], exec, s[8:9]
	s_cbranch_execnz .LBB1_2857
; %bb.809:
	s_or_saveexec_b64 s[6:7], s[6:7]
	v_mov_b32_e32 v10, s10
	s_xor_b64 exec, exec, s[6:7]
	s_cbranch_execnz .LBB1_2860
.LBB1_810:
	s_or_b64 exec, exec, s[6:7]
	s_and_saveexec_b64 s[6:7], s[4:5]
	s_cbranch_execz .LBB1_812
.LBB1_811:
	v_bfe_u32 v10, v15, 8, 3
	v_ffbh_u32_e32 v21, v10
	v_min_u32_e32 v21, 32, v21
	v_lshrrev_b16_e32 v20, 3, v14
	v_subrev_u32_e32 v22, 28, v21
	v_and_b32_e32 v20, 15, v20
	v_lshlrev_b32_e32 v14, v22, v14
	v_sub_u32_e32 v21, 29, v21
	v_and_b32_e32 v14, 7, v14
	v_cmp_eq_u16_e32 vcc, 0, v20
	v_cndmask_b32_e32 v10, v10, v14, vcc
	v_cndmask_b32_e32 v14, v20, v21, vcc
	v_lshlrev_b32_e32 v20, 16, v15
	v_mov_b32_e32 v21, 0x3b800000
	v_lshlrev_b32_e32 v10, 20, v10
	v_and_b32_e32 v20, 0x80000000, v20
	v_lshl_add_u32 v14, v14, 23, v21
	v_or3_b32 v10, v20, v14, v10
.LBB1_812:
	s_or_b64 exec, exec, s[6:7]
	v_lshrrev_b32_e32 v14, 8, v11
	s_movk_i32 s4, 0x7f
	v_cmp_gt_i16_sdwa s[6:7], v14, s4 src0_sel:BYTE_0 src1_sel:DWORD
	s_mov_b64 s[4:5], 0
                                        ; implicit-def: $sgpr10
	s_and_saveexec_b64 s[8:9], s[6:7]
	s_xor_b64 s[6:7], exec, s[8:9]
	s_cbranch_execnz .LBB1_2861
; %bb.813:
	s_or_saveexec_b64 s[6:7], s[6:7]
	v_mov_b32_e32 v20, s10
	s_xor_b64 exec, exec, s[6:7]
	s_cbranch_execnz .LBB1_2864
.LBB1_814:
	s_or_b64 exec, exec, s[6:7]
	s_and_saveexec_b64 s[6:7], s[4:5]
	s_cbranch_execz .LBB1_816
.LBB1_815:
	v_bfe_u32 v20, v11, 8, 3
	v_ffbh_u32_e32 v22, v20
	v_min_u32_e32 v22, 32, v22
	v_lshrrev_b16_e32 v21, 3, v14
	v_subrev_u32_e32 v23, 28, v22
	v_and_b32_e32 v21, 15, v21
	v_lshlrev_b32_e32 v14, v23, v14
	v_sub_u32_e32 v22, 29, v22
	v_and_b32_e32 v14, 7, v14
	v_cmp_eq_u16_e32 vcc, 0, v21
	v_cndmask_b32_e32 v14, v20, v14, vcc
	v_cndmask_b32_e32 v20, v21, v22, vcc
	v_lshlrev_b32_e32 v21, 16, v11
	v_mov_b32_e32 v22, 0x3b800000
	v_lshlrev_b32_e32 v14, 20, v14
	v_and_b32_e32 v21, 0x80000000, v21
	v_lshl_add_u32 v20, v20, 23, v22
	v_or3_b32 v20, v21, v20, v14
.LBB1_816:
	s_or_b64 exec, exec, s[6:7]
	s_nop 0
	v_mfma_f32_16x16x4f32 a[0:3], v10, v20, a[0:3]
	s_movk_i32 s4, 0xff
	v_and_b32_sdwa v14, v15, s4 dst_sel:DWORD dst_unused:UNUSED_PAD src0_sel:WORD_1 src1_sel:DWORD
	s_movk_i32 s4, 0x7f
	v_cmp_lt_i16_e32 vcc, s4, v14
	s_mov_b64 s[4:5], 0
                                        ; implicit-def: $sgpr10
	s_and_saveexec_b64 s[6:7], vcc
	s_xor_b64 s[6:7], exec, s[6:7]
	s_cbranch_execnz .LBB1_2865
; %bb.817:
	s_or_saveexec_b64 s[6:7], s[6:7]
	v_mov_b32_e32 v10, s10
	s_xor_b64 exec, exec, s[6:7]
	s_cbranch_execnz .LBB1_2868
.LBB1_818:
	s_or_b64 exec, exec, s[6:7]
	s_and_saveexec_b64 s[6:7], s[4:5]
	s_cbranch_execz .LBB1_820
.LBB1_819:
	v_bfe_u32 v10, v15, 16, 3
	v_ffbh_u32_e32 v21, v10
	v_min_u32_e32 v21, 32, v21
	v_lshrrev_b32_e32 v14, 19, v15
	v_subrev_u32_e32 v22, 28, v21
	v_and_b32_e32 v14, 15, v14
	v_lshlrev_b32_sdwa v22, v22, v15 dst_sel:DWORD dst_unused:UNUSED_PAD src0_sel:DWORD src1_sel:WORD_1
	v_bfe_u32 v20, v15, 19, 4
	v_sub_u32_e32 v21, 29, v21
	v_and_b32_e32 v22, 7, v22
	v_cmp_eq_u16_e32 vcc, 0, v14
	v_cndmask_b32_e32 v10, v10, v22, vcc
	v_cndmask_b32_e32 v14, v20, v21, vcc
	v_lshlrev_b32_e32 v20, 8, v15
	v_mov_b32_e32 v21, 0x3b800000
	v_lshlrev_b32_e32 v10, 20, v10
	v_and_b32_e32 v20, 0x80000000, v20
	v_lshl_add_u32 v14, v14, 23, v21
	v_or3_b32 v10, v20, v14, v10
.LBB1_820:
	s_or_b64 exec, exec, s[6:7]
	s_movk_i32 s4, 0xff
	v_and_b32_sdwa v14, v11, s4 dst_sel:DWORD dst_unused:UNUSED_PAD src0_sel:WORD_1 src1_sel:DWORD
	s_movk_i32 s4, 0x7f
	v_cmp_lt_i16_e32 vcc, s4, v14
	s_mov_b64 s[4:5], 0
                                        ; implicit-def: $sgpr10
	s_and_saveexec_b64 s[6:7], vcc
	s_xor_b64 s[6:7], exec, s[6:7]
	s_cbranch_execnz .LBB1_2869
; %bb.821:
	s_or_saveexec_b64 s[6:7], s[6:7]
	v_mov_b32_e32 v20, s10
	s_xor_b64 exec, exec, s[6:7]
	s_cbranch_execnz .LBB1_2872
.LBB1_822:
	s_or_b64 exec, exec, s[6:7]
	s_and_saveexec_b64 s[6:7], s[4:5]
	s_cbranch_execz .LBB1_824
.LBB1_823:
	v_bfe_u32 v14, v11, 16, 3
	v_ffbh_u32_e32 v22, v14
	v_min_u32_e32 v22, 32, v22
	v_lshrrev_b32_e32 v20, 19, v11
	v_subrev_u32_e32 v23, 28, v22
	v_and_b32_e32 v20, 15, v20
	v_lshlrev_b32_sdwa v23, v23, v11 dst_sel:DWORD dst_unused:UNUSED_PAD src0_sel:DWORD src1_sel:WORD_1
	v_bfe_u32 v21, v11, 19, 4
	v_sub_u32_e32 v22, 29, v22
	v_and_b32_e32 v23, 7, v23
	v_cmp_eq_u16_e32 vcc, 0, v20
	v_cndmask_b32_e32 v14, v14, v23, vcc
	v_cndmask_b32_e32 v20, v21, v22, vcc
	v_lshlrev_b32_e32 v21, 8, v11
	v_mov_b32_e32 v22, 0x3b800000
	v_lshlrev_b32_e32 v14, 20, v14
	v_and_b32_e32 v21, 0x80000000, v21
	v_lshl_add_u32 v20, v20, 23, v22
	v_or3_b32 v20, v21, v20, v14
.LBB1_824:
	s_or_b64 exec, exec, s[6:7]
	s_nop 0
	v_mfma_f32_16x16x4f32 a[0:3], v10, v20, a[0:3]
	s_movk_i32 s4, 0x7f
	v_cmp_gt_i16_sdwa s[6:7], v15, s4 src0_sel:BYTE_3 src1_sel:DWORD
	s_mov_b64 s[4:5], 0
                                        ; implicit-def: $sgpr10
	s_and_saveexec_b64 s[8:9], s[6:7]
	s_xor_b64 s[6:7], exec, s[8:9]
	s_cbranch_execnz .LBB1_2873
; %bb.825:
	s_or_saveexec_b64 s[6:7], s[6:7]
	v_mov_b32_e32 v10, s10
	s_xor_b64 exec, exec, s[6:7]
	s_cbranch_execnz .LBB1_2876
.LBB1_826:
	s_or_b64 exec, exec, s[6:7]
	s_and_saveexec_b64 s[6:7], s[4:5]
	s_cbranch_execz .LBB1_828
.LBB1_827:
	v_bfe_u32 v10, v15, 24, 3
	v_ffbh_u32_e32 v22, v10
	v_min_u32_e32 v22, 32, v22
	v_lshrrev_b32_e32 v20, 27, v15
	v_subrev_u32_e32 v23, 28, v22
	v_and_b32_e32 v14, 0x80000000, v15
	v_and_b32_e32 v20, 15, v20
	v_bfe_u32 v21, v15, 27, 4
	v_lshlrev_b32_sdwa v15, v23, v15 dst_sel:DWORD dst_unused:UNUSED_PAD src0_sel:DWORD src1_sel:BYTE_3
	v_sub_u32_e32 v22, 29, v22
	v_and_b32_e32 v15, 7, v15
	v_cmp_eq_u16_e32 vcc, 0, v20
	v_cndmask_b32_e32 v10, v10, v15, vcc
	v_cndmask_b32_e32 v15, v21, v22, vcc
	v_mov_b32_e32 v20, 0x3b800000
	v_lshlrev_b32_e32 v10, 20, v10
	v_lshl_add_u32 v15, v15, 23, v20
	v_or3_b32 v10, v14, v15, v10
.LBB1_828:
	s_or_b64 exec, exec, s[6:7]
	s_movk_i32 s4, 0x7f
	v_cmp_gt_i16_sdwa s[6:7], v11, s4 src0_sel:BYTE_3 src1_sel:DWORD
	s_mov_b64 s[4:5], 0
                                        ; implicit-def: $sgpr10
	s_and_saveexec_b64 s[8:9], s[6:7]
	s_xor_b64 s[6:7], exec, s[8:9]
	s_cbranch_execnz .LBB1_2877
; %bb.829:
	s_or_saveexec_b64 s[6:7], s[6:7]
	v_mov_b32_e32 v14, s10
	s_xor_b64 exec, exec, s[6:7]
	s_cbranch_execnz .LBB1_2880
.LBB1_830:
	s_or_b64 exec, exec, s[6:7]
	s_and_saveexec_b64 s[6:7], s[4:5]
	s_cbranch_execz .LBB1_832
.LBB1_831:
	v_bfe_u32 v14, v11, 24, 3
	v_ffbh_u32_e32 v22, v14
	v_min_u32_e32 v22, 32, v22
	v_lshrrev_b32_e32 v20, 27, v11
	v_subrev_u32_e32 v23, 28, v22
	v_and_b32_e32 v15, 0x80000000, v11
	v_and_b32_e32 v20, 15, v20
	v_bfe_u32 v21, v11, 27, 4
	v_lshlrev_b32_sdwa v11, v23, v11 dst_sel:DWORD dst_unused:UNUSED_PAD src0_sel:DWORD src1_sel:BYTE_3
	v_sub_u32_e32 v22, 29, v22
	v_and_b32_e32 v11, 7, v11
	v_cmp_eq_u16_e32 vcc, 0, v20
	v_cndmask_b32_e32 v11, v14, v11, vcc
	v_cndmask_b32_e32 v14, v21, v22, vcc
	v_mov_b32_e32 v20, 0x3b800000
	v_lshlrev_b32_e32 v11, 20, v11
	v_lshl_add_u32 v14, v14, 23, v20
	v_or3_b32 v14, v15, v14, v11
.LBB1_832:
	s_or_b64 exec, exec, s[6:7]
	s_nop 0
	v_mfma_f32_16x16x4f32 a[0:3], v10, v14, a[0:3]
	s_movk_i32 s4, 0x7f
	v_cmp_gt_i16_sdwa s[6:7], v16, s4 src0_sel:BYTE_0 src1_sel:DWORD
	s_mov_b64 s[4:5], 0
                                        ; implicit-def: $sgpr10
	s_and_saveexec_b64 s[8:9], s[6:7]
	s_xor_b64 s[6:7], exec, s[8:9]
	s_cbranch_execnz .LBB1_2881
; %bb.833:
	s_or_saveexec_b64 s[6:7], s[6:7]
	v_mov_b32_e32 v10, s10
	s_xor_b64 exec, exec, s[6:7]
	s_cbranch_execnz .LBB1_2884
.LBB1_834:
	s_or_b64 exec, exec, s[6:7]
	s_and_saveexec_b64 s[6:7], s[4:5]
	s_cbranch_execz .LBB1_836
.LBB1_835:
	v_and_b32_e32 v10, 7, v16
	v_ffbh_u32_e32 v14, v10
	v_min_u32_e32 v14, 32, v14
	v_lshrrev_b16_e32 v11, 3, v16
	v_subrev_u32_e32 v15, 28, v14
	v_and_b32_e32 v11, 15, v11
	v_lshlrev_b32_e32 v15, v15, v16
	v_sub_u32_e32 v14, 29, v14
	v_and_b32_e32 v15, 7, v15
	v_cmp_eq_u16_e32 vcc, 0, v11
	v_cndmask_b32_e32 v10, v10, v15, vcc
	v_cndmask_b32_e32 v11, v11, v14, vcc
	v_lshlrev_b32_e32 v14, 24, v16
	v_mov_b32_e32 v15, 0x3b800000
	v_lshlrev_b32_e32 v10, 20, v10
	v_and_b32_e32 v14, 0x80000000, v14
	v_lshl_add_u32 v11, v11, 23, v15
	v_or3_b32 v10, v14, v11, v10
.LBB1_836:
	s_or_b64 exec, exec, s[6:7]
	s_movk_i32 s4, 0x7f
	v_cmp_gt_i16_sdwa s[6:7], v12, s4 src0_sel:BYTE_0 src1_sel:DWORD
	s_mov_b64 s[4:5], 0
                                        ; implicit-def: $sgpr10
	s_and_saveexec_b64 s[8:9], s[6:7]
	s_xor_b64 s[6:7], exec, s[8:9]
	s_cbranch_execnz .LBB1_2885
; %bb.837:
	s_or_saveexec_b64 s[6:7], s[6:7]
	v_mov_b32_e32 v11, s10
	s_xor_b64 exec, exec, s[6:7]
	s_cbranch_execnz .LBB1_2888
.LBB1_838:
	s_or_b64 exec, exec, s[6:7]
	s_and_saveexec_b64 s[6:7], s[4:5]
	s_cbranch_execz .LBB1_840
.LBB1_839:
	v_and_b32_e32 v11, 7, v12
	v_ffbh_u32_e32 v15, v11
	v_min_u32_e32 v15, 32, v15
	v_lshrrev_b16_e32 v14, 3, v12
	v_subrev_u32_e32 v20, 28, v15
	v_and_b32_e32 v14, 15, v14
	v_lshlrev_b32_e32 v20, v20, v12
	v_sub_u32_e32 v15, 29, v15
	v_and_b32_e32 v20, 7, v20
	v_cmp_eq_u16_e32 vcc, 0, v14
	v_cndmask_b32_e32 v11, v11, v20, vcc
	v_cndmask_b32_e32 v14, v14, v15, vcc
	v_lshlrev_b32_e32 v15, 24, v12
	v_mov_b32_e32 v20, 0x3b800000
	v_lshlrev_b32_e32 v11, 20, v11
	v_and_b32_e32 v15, 0x80000000, v15
	v_lshl_add_u32 v14, v14, 23, v20
	v_or3_b32 v11, v15, v14, v11
.LBB1_840:
	s_or_b64 exec, exec, s[6:7]
	s_nop 0
	v_mfma_f32_16x16x4f32 a[0:3], v10, v11, a[0:3]
	v_lshrrev_b32_e32 v11, 8, v16
	s_movk_i32 s4, 0x7f
	v_cmp_gt_i16_sdwa s[6:7], v11, s4 src0_sel:BYTE_0 src1_sel:DWORD
	s_mov_b64 s[4:5], 0
                                        ; implicit-def: $sgpr10
	s_and_saveexec_b64 s[8:9], s[6:7]
	s_xor_b64 s[6:7], exec, s[8:9]
	s_cbranch_execnz .LBB1_2889
; %bb.841:
	s_or_saveexec_b64 s[6:7], s[6:7]
	v_mov_b32_e32 v10, s10
	s_xor_b64 exec, exec, s[6:7]
	s_cbranch_execnz .LBB1_2892
.LBB1_842:
	s_or_b64 exec, exec, s[6:7]
	s_and_saveexec_b64 s[6:7], s[4:5]
	s_cbranch_execz .LBB1_844
.LBB1_843:
	v_bfe_u32 v10, v16, 8, 3
	v_ffbh_u32_e32 v15, v10
	v_min_u32_e32 v15, 32, v15
	v_lshrrev_b16_e32 v14, 3, v11
	v_subrev_u32_e32 v20, 28, v15
	v_and_b32_e32 v14, 15, v14
	v_lshlrev_b32_e32 v11, v20, v11
	v_sub_u32_e32 v15, 29, v15
	v_and_b32_e32 v11, 7, v11
	v_cmp_eq_u16_e32 vcc, 0, v14
	v_cndmask_b32_e32 v10, v10, v11, vcc
	v_cndmask_b32_e32 v11, v14, v15, vcc
	v_lshlrev_b32_e32 v14, 16, v16
	v_mov_b32_e32 v15, 0x3b800000
	v_lshlrev_b32_e32 v10, 20, v10
	v_and_b32_e32 v14, 0x80000000, v14
	v_lshl_add_u32 v11, v11, 23, v15
	v_or3_b32 v10, v14, v11, v10
.LBB1_844:
	s_or_b64 exec, exec, s[6:7]
	v_lshrrev_b32_e32 v11, 8, v12
	s_movk_i32 s4, 0x7f
	v_cmp_gt_i16_sdwa s[6:7], v11, s4 src0_sel:BYTE_0 src1_sel:DWORD
	s_mov_b64 s[4:5], 0
                                        ; implicit-def: $sgpr10
	s_and_saveexec_b64 s[8:9], s[6:7]
	s_xor_b64 s[6:7], exec, s[8:9]
	s_cbranch_execnz .LBB1_2893
; %bb.845:
	s_or_saveexec_b64 s[6:7], s[6:7]
	v_mov_b32_e32 v14, s10
	s_xor_b64 exec, exec, s[6:7]
	s_cbranch_execnz .LBB1_2896
.LBB1_846:
	s_or_b64 exec, exec, s[6:7]
	s_and_saveexec_b64 s[6:7], s[4:5]
	s_cbranch_execz .LBB1_848
.LBB1_847:
	v_bfe_u32 v14, v12, 8, 3
	v_ffbh_u32_e32 v20, v14
	v_min_u32_e32 v20, 32, v20
	v_lshrrev_b16_e32 v15, 3, v11
	v_subrev_u32_e32 v21, 28, v20
	v_and_b32_e32 v15, 15, v15
	v_lshlrev_b32_e32 v11, v21, v11
	v_sub_u32_e32 v20, 29, v20
	v_and_b32_e32 v11, 7, v11
	v_cmp_eq_u16_e32 vcc, 0, v15
	v_cndmask_b32_e32 v11, v14, v11, vcc
	v_cndmask_b32_e32 v14, v15, v20, vcc
	v_lshlrev_b32_e32 v15, 16, v12
	v_mov_b32_e32 v20, 0x3b800000
	v_lshlrev_b32_e32 v11, 20, v11
	v_and_b32_e32 v15, 0x80000000, v15
	v_lshl_add_u32 v14, v14, 23, v20
	v_or3_b32 v14, v15, v14, v11
.LBB1_848:
	s_or_b64 exec, exec, s[6:7]
	s_nop 0
	v_mfma_f32_16x16x4f32 a[0:3], v10, v14, a[0:3]
	s_movk_i32 s4, 0xff
	v_and_b32_sdwa v11, v16, s4 dst_sel:DWORD dst_unused:UNUSED_PAD src0_sel:WORD_1 src1_sel:DWORD
	s_movk_i32 s4, 0x7f
	v_cmp_lt_i16_e32 vcc, s4, v11
	s_mov_b64 s[4:5], 0
                                        ; implicit-def: $sgpr10
	s_and_saveexec_b64 s[6:7], vcc
	s_xor_b64 s[6:7], exec, s[6:7]
	s_cbranch_execnz .LBB1_2897
; %bb.849:
	s_or_saveexec_b64 s[6:7], s[6:7]
	v_mov_b32_e32 v10, s10
	s_xor_b64 exec, exec, s[6:7]
	s_cbranch_execnz .LBB1_2900
.LBB1_850:
	s_or_b64 exec, exec, s[6:7]
	s_and_saveexec_b64 s[6:7], s[4:5]
	s_cbranch_execz .LBB1_852
.LBB1_851:
	v_bfe_u32 v10, v16, 16, 3
	v_ffbh_u32_e32 v15, v10
	v_min_u32_e32 v15, 32, v15
	v_lshrrev_b32_e32 v11, 19, v16
	v_subrev_u32_e32 v20, 28, v15
	v_and_b32_e32 v11, 15, v11
	v_lshlrev_b32_sdwa v20, v20, v16 dst_sel:DWORD dst_unused:UNUSED_PAD src0_sel:DWORD src1_sel:WORD_1
	v_bfe_u32 v14, v16, 19, 4
	v_sub_u32_e32 v15, 29, v15
	v_and_b32_e32 v20, 7, v20
	v_cmp_eq_u16_e32 vcc, 0, v11
	v_cndmask_b32_e32 v10, v10, v20, vcc
	v_cndmask_b32_e32 v11, v14, v15, vcc
	v_lshlrev_b32_e32 v14, 8, v16
	v_mov_b32_e32 v15, 0x3b800000
	v_lshlrev_b32_e32 v10, 20, v10
	v_and_b32_e32 v14, 0x80000000, v14
	v_lshl_add_u32 v11, v11, 23, v15
	v_or3_b32 v10, v14, v11, v10
.LBB1_852:
	s_or_b64 exec, exec, s[6:7]
	s_movk_i32 s4, 0xff
	v_and_b32_sdwa v11, v12, s4 dst_sel:DWORD dst_unused:UNUSED_PAD src0_sel:WORD_1 src1_sel:DWORD
	s_movk_i32 s4, 0x7f
	v_cmp_lt_i16_e32 vcc, s4, v11
	s_mov_b64 s[4:5], 0
                                        ; implicit-def: $sgpr10
	s_and_saveexec_b64 s[6:7], vcc
	s_xor_b64 s[6:7], exec, s[6:7]
	s_cbranch_execnz .LBB1_2901
; %bb.853:
	s_or_saveexec_b64 s[6:7], s[6:7]
	v_mov_b32_e32 v14, s10
	s_xor_b64 exec, exec, s[6:7]
	s_cbranch_execnz .LBB1_2904
.LBB1_854:
	s_or_b64 exec, exec, s[6:7]
	s_and_saveexec_b64 s[6:7], s[4:5]
	s_cbranch_execz .LBB1_856
.LBB1_855:
	v_bfe_u32 v11, v12, 16, 3
	v_ffbh_u32_e32 v20, v11
	v_min_u32_e32 v20, 32, v20
	v_lshrrev_b32_e32 v14, 19, v12
	v_subrev_u32_e32 v21, 28, v20
	v_and_b32_e32 v14, 15, v14
	v_lshlrev_b32_sdwa v21, v21, v12 dst_sel:DWORD dst_unused:UNUSED_PAD src0_sel:DWORD src1_sel:WORD_1
	v_bfe_u32 v15, v12, 19, 4
	v_sub_u32_e32 v20, 29, v20
	v_and_b32_e32 v21, 7, v21
	v_cmp_eq_u16_e32 vcc, 0, v14
	v_cndmask_b32_e32 v11, v11, v21, vcc
	v_cndmask_b32_e32 v14, v15, v20, vcc
	v_lshlrev_b32_e32 v15, 8, v12
	v_mov_b32_e32 v20, 0x3b800000
	v_lshlrev_b32_e32 v11, 20, v11
	v_and_b32_e32 v15, 0x80000000, v15
	v_lshl_add_u32 v14, v14, 23, v20
	v_or3_b32 v14, v15, v14, v11
.LBB1_856:
	s_or_b64 exec, exec, s[6:7]
	s_nop 0
	v_mfma_f32_16x16x4f32 a[0:3], v10, v14, a[0:3]
	s_movk_i32 s4, 0x7f
	v_cmp_gt_i16_sdwa s[6:7], v16, s4 src0_sel:BYTE_3 src1_sel:DWORD
	s_mov_b64 s[4:5], 0
                                        ; implicit-def: $sgpr10
	s_and_saveexec_b64 s[8:9], s[6:7]
	s_xor_b64 s[6:7], exec, s[8:9]
	s_cbranch_execnz .LBB1_2905
; %bb.857:
	s_or_saveexec_b64 s[6:7], s[6:7]
	v_mov_b32_e32 v10, s10
	s_xor_b64 exec, exec, s[6:7]
	s_cbranch_execnz .LBB1_2908
.LBB1_858:
	s_or_b64 exec, exec, s[6:7]
	s_and_saveexec_b64 s[6:7], s[4:5]
	s_cbranch_execz .LBB1_860
.LBB1_859:
	v_bfe_u32 v10, v16, 24, 3
	v_ffbh_u32_e32 v20, v10
	v_min_u32_e32 v20, 32, v20
	v_lshrrev_b32_e32 v14, 27, v16
	v_subrev_u32_e32 v21, 28, v20
	v_and_b32_e32 v11, 0x80000000, v16
	v_and_b32_e32 v14, 15, v14
	v_bfe_u32 v15, v16, 27, 4
	v_lshlrev_b32_sdwa v16, v21, v16 dst_sel:DWORD dst_unused:UNUSED_PAD src0_sel:DWORD src1_sel:BYTE_3
	v_sub_u32_e32 v20, 29, v20
	v_and_b32_e32 v16, 7, v16
	v_cmp_eq_u16_e32 vcc, 0, v14
	v_cndmask_b32_e32 v10, v10, v16, vcc
	v_cndmask_b32_e32 v14, v15, v20, vcc
	v_mov_b32_e32 v15, 0x3b800000
	v_lshlrev_b32_e32 v10, 20, v10
	v_lshl_add_u32 v14, v14, 23, v15
	v_or3_b32 v10, v11, v14, v10
.LBB1_860:
	s_or_b64 exec, exec, s[6:7]
	s_movk_i32 s4, 0x7f
	v_cmp_gt_i16_sdwa s[6:7], v12, s4 src0_sel:BYTE_3 src1_sel:DWORD
	s_mov_b64 s[4:5], 0
                                        ; implicit-def: $sgpr10
	s_and_saveexec_b64 s[8:9], s[6:7]
	s_xor_b64 s[6:7], exec, s[8:9]
	s_cbranch_execnz .LBB1_2909
; %bb.861:
	s_or_saveexec_b64 s[6:7], s[6:7]
	v_mov_b32_e32 v11, s10
	s_xor_b64 exec, exec, s[6:7]
	s_cbranch_execnz .LBB1_2912
.LBB1_862:
	s_or_b64 exec, exec, s[6:7]
	s_and_saveexec_b64 s[6:7], s[4:5]
	s_cbranch_execz .LBB1_864
.LBB1_863:
	v_bfe_u32 v11, v12, 24, 3
	v_ffbh_u32_e32 v20, v11
	v_min_u32_e32 v20, 32, v20
	v_lshrrev_b32_e32 v15, 27, v12
	v_subrev_u32_e32 v21, 28, v20
	v_and_b32_e32 v14, 0x80000000, v12
	v_and_b32_e32 v15, 15, v15
	v_bfe_u32 v16, v12, 27, 4
	v_lshlrev_b32_sdwa v12, v21, v12 dst_sel:DWORD dst_unused:UNUSED_PAD src0_sel:DWORD src1_sel:BYTE_3
	v_sub_u32_e32 v20, 29, v20
	v_and_b32_e32 v12, 7, v12
	v_cmp_eq_u16_e32 vcc, 0, v15
	v_cndmask_b32_e32 v11, v11, v12, vcc
	v_cndmask_b32_e32 v12, v16, v20, vcc
	v_mov_b32_e32 v15, 0x3b800000
	v_lshlrev_b32_e32 v11, 20, v11
	v_lshl_add_u32 v12, v12, 23, v15
	v_or3_b32 v11, v14, v12, v11
.LBB1_864:
	s_or_b64 exec, exec, s[6:7]
	s_nop 0
	v_mfma_f32_16x16x4f32 a[0:3], v10, v11, a[0:3]
	s_movk_i32 s4, 0x7f
	v_cmp_gt_i16_sdwa s[6:7], v17, s4 src0_sel:BYTE_0 src1_sel:DWORD
	s_mov_b64 s[4:5], 0
                                        ; implicit-def: $sgpr10
	s_and_saveexec_b64 s[8:9], s[6:7]
	s_xor_b64 s[6:7], exec, s[8:9]
	s_cbranch_execnz .LBB1_2913
; %bb.865:
	s_or_saveexec_b64 s[6:7], s[6:7]
	v_mov_b32_e32 v10, s10
	s_xor_b64 exec, exec, s[6:7]
	s_cbranch_execnz .LBB1_2916
.LBB1_866:
	s_or_b64 exec, exec, s[6:7]
	s_and_saveexec_b64 s[6:7], s[4:5]
	s_cbranch_execz .LBB1_868
.LBB1_867:
	v_and_b32_e32 v10, 7, v17
	v_ffbh_u32_e32 v12, v10
	v_min_u32_e32 v12, 32, v12
	v_lshrrev_b16_e32 v11, 3, v17
	v_subrev_u32_e32 v14, 28, v12
	v_and_b32_e32 v11, 15, v11
	v_lshlrev_b32_e32 v14, v14, v17
	v_sub_u32_e32 v12, 29, v12
	v_and_b32_e32 v14, 7, v14
	v_cmp_eq_u16_e32 vcc, 0, v11
	v_cndmask_b32_e32 v10, v10, v14, vcc
	v_cndmask_b32_e32 v11, v11, v12, vcc
	v_lshlrev_b32_e32 v12, 24, v17
	v_mov_b32_e32 v14, 0x3b800000
	v_lshlrev_b32_e32 v10, 20, v10
	v_and_b32_e32 v12, 0x80000000, v12
	v_lshl_add_u32 v11, v11, 23, v14
	v_or3_b32 v10, v12, v11, v10
.LBB1_868:
	s_or_b64 exec, exec, s[6:7]
	s_movk_i32 s4, 0x7f
	v_cmp_gt_i16_sdwa s[6:7], v13, s4 src0_sel:BYTE_0 src1_sel:DWORD
	s_mov_b64 s[4:5], 0
                                        ; implicit-def: $sgpr10
	s_and_saveexec_b64 s[8:9], s[6:7]
	s_xor_b64 s[6:7], exec, s[8:9]
	s_cbranch_execnz .LBB1_2917
; %bb.869:
	s_or_saveexec_b64 s[6:7], s[6:7]
	v_mov_b32_e32 v11, s10
	s_xor_b64 exec, exec, s[6:7]
	s_cbranch_execnz .LBB1_2920
.LBB1_870:
	s_or_b64 exec, exec, s[6:7]
	s_and_saveexec_b64 s[6:7], s[4:5]
	s_cbranch_execz .LBB1_872
.LBB1_871:
	v_and_b32_e32 v11, 7, v13
	v_ffbh_u32_e32 v14, v11
	v_min_u32_e32 v14, 32, v14
	v_lshrrev_b16_e32 v12, 3, v13
	v_subrev_u32_e32 v15, 28, v14
	v_and_b32_e32 v12, 15, v12
	v_lshlrev_b32_e32 v15, v15, v13
	v_sub_u32_e32 v14, 29, v14
	v_and_b32_e32 v15, 7, v15
	v_cmp_eq_u16_e32 vcc, 0, v12
	v_cndmask_b32_e32 v11, v11, v15, vcc
	v_cndmask_b32_e32 v12, v12, v14, vcc
	v_lshlrev_b32_e32 v14, 24, v13
	v_mov_b32_e32 v15, 0x3b800000
	v_lshlrev_b32_e32 v11, 20, v11
	v_and_b32_e32 v14, 0x80000000, v14
	v_lshl_add_u32 v12, v12, 23, v15
	v_or3_b32 v11, v14, v12, v11
.LBB1_872:
	s_or_b64 exec, exec, s[6:7]
	s_nop 0
	v_mfma_f32_16x16x4f32 a[0:3], v10, v11, a[0:3]
	v_lshrrev_b32_e32 v11, 8, v17
	s_movk_i32 s4, 0x7f
	v_cmp_gt_i16_sdwa s[6:7], v11, s4 src0_sel:BYTE_0 src1_sel:DWORD
	s_mov_b64 s[4:5], 0
                                        ; implicit-def: $sgpr10
	s_and_saveexec_b64 s[8:9], s[6:7]
	s_xor_b64 s[6:7], exec, s[8:9]
	s_cbranch_execnz .LBB1_2921
; %bb.873:
	s_or_saveexec_b64 s[6:7], s[6:7]
	v_mov_b32_e32 v10, s10
	s_xor_b64 exec, exec, s[6:7]
	s_cbranch_execnz .LBB1_2924
.LBB1_874:
	s_or_b64 exec, exec, s[6:7]
	s_and_saveexec_b64 s[6:7], s[4:5]
	s_cbranch_execz .LBB1_876
.LBB1_875:
	v_bfe_u32 v10, v17, 8, 3
	v_ffbh_u32_e32 v14, v10
	v_min_u32_e32 v14, 32, v14
	v_lshrrev_b16_e32 v12, 3, v11
	v_subrev_u32_e32 v15, 28, v14
	v_and_b32_e32 v12, 15, v12
	v_lshlrev_b32_e32 v11, v15, v11
	v_sub_u32_e32 v14, 29, v14
	v_and_b32_e32 v11, 7, v11
	v_cmp_eq_u16_e32 vcc, 0, v12
	v_cndmask_b32_e32 v10, v10, v11, vcc
	v_cndmask_b32_e32 v11, v12, v14, vcc
	v_lshlrev_b32_e32 v12, 16, v17
	v_mov_b32_e32 v14, 0x3b800000
	v_lshlrev_b32_e32 v10, 20, v10
	v_and_b32_e32 v12, 0x80000000, v12
	v_lshl_add_u32 v11, v11, 23, v14
	v_or3_b32 v10, v12, v11, v10
.LBB1_876:
	s_or_b64 exec, exec, s[6:7]
	v_lshrrev_b32_e32 v11, 8, v13
	s_movk_i32 s4, 0x7f
	v_cmp_gt_i16_sdwa s[6:7], v11, s4 src0_sel:BYTE_0 src1_sel:DWORD
	s_mov_b64 s[4:5], 0
                                        ; implicit-def: $sgpr10
	s_and_saveexec_b64 s[8:9], s[6:7]
	s_xor_b64 s[6:7], exec, s[8:9]
	s_cbranch_execnz .LBB1_2925
; %bb.877:
	s_or_saveexec_b64 s[6:7], s[6:7]
	v_mov_b32_e32 v12, s10
	s_xor_b64 exec, exec, s[6:7]
	s_cbranch_execnz .LBB1_2928
.LBB1_878:
	s_or_b64 exec, exec, s[6:7]
	s_and_saveexec_b64 s[6:7], s[4:5]
	s_cbranch_execz .LBB1_880
.LBB1_879:
	v_bfe_u32 v12, v13, 8, 3
	v_ffbh_u32_e32 v15, v12
	v_min_u32_e32 v15, 32, v15
	v_lshrrev_b16_e32 v14, 3, v11
	v_subrev_u32_e32 v16, 28, v15
	v_and_b32_e32 v14, 15, v14
	v_lshlrev_b32_e32 v11, v16, v11
	v_sub_u32_e32 v15, 29, v15
	v_and_b32_e32 v11, 7, v11
	v_cmp_eq_u16_e32 vcc, 0, v14
	v_cndmask_b32_e32 v11, v12, v11, vcc
	v_cndmask_b32_e32 v12, v14, v15, vcc
	v_lshlrev_b32_e32 v14, 16, v13
	v_mov_b32_e32 v15, 0x3b800000
	v_lshlrev_b32_e32 v11, 20, v11
	v_and_b32_e32 v14, 0x80000000, v14
	v_lshl_add_u32 v12, v12, 23, v15
	v_or3_b32 v12, v14, v12, v11
.LBB1_880:
	s_or_b64 exec, exec, s[6:7]
	s_nop 0
	v_mfma_f32_16x16x4f32 a[0:3], v10, v12, a[0:3]
	s_movk_i32 s4, 0xff
	v_and_b32_sdwa v11, v17, s4 dst_sel:DWORD dst_unused:UNUSED_PAD src0_sel:WORD_1 src1_sel:DWORD
	s_movk_i32 s4, 0x7f
	v_cmp_lt_i16_e32 vcc, s4, v11
	s_mov_b64 s[4:5], 0
                                        ; implicit-def: $sgpr10
	s_and_saveexec_b64 s[6:7], vcc
	s_xor_b64 s[6:7], exec, s[6:7]
	s_cbranch_execnz .LBB1_2929
; %bb.881:
	s_or_saveexec_b64 s[6:7], s[6:7]
	v_mov_b32_e32 v10, s10
	s_xor_b64 exec, exec, s[6:7]
	s_cbranch_execnz .LBB1_2932
.LBB1_882:
	s_or_b64 exec, exec, s[6:7]
	s_and_saveexec_b64 s[6:7], s[4:5]
	s_cbranch_execz .LBB1_884
.LBB1_883:
	v_bfe_u32 v10, v17, 16, 3
	v_ffbh_u32_e32 v14, v10
	v_min_u32_e32 v14, 32, v14
	v_lshrrev_b32_e32 v11, 19, v17
	v_subrev_u32_e32 v15, 28, v14
	v_and_b32_e32 v11, 15, v11
	v_lshlrev_b32_sdwa v15, v15, v17 dst_sel:DWORD dst_unused:UNUSED_PAD src0_sel:DWORD src1_sel:WORD_1
	v_bfe_u32 v12, v17, 19, 4
	v_sub_u32_e32 v14, 29, v14
	v_and_b32_e32 v15, 7, v15
	v_cmp_eq_u16_e32 vcc, 0, v11
	v_cndmask_b32_e32 v10, v10, v15, vcc
	v_cndmask_b32_e32 v11, v12, v14, vcc
	v_lshlrev_b32_e32 v12, 8, v17
	v_mov_b32_e32 v14, 0x3b800000
	v_lshlrev_b32_e32 v10, 20, v10
	v_and_b32_e32 v12, 0x80000000, v12
	v_lshl_add_u32 v11, v11, 23, v14
	v_or3_b32 v10, v12, v11, v10
.LBB1_884:
	s_or_b64 exec, exec, s[6:7]
	s_movk_i32 s4, 0xff
	v_and_b32_sdwa v11, v13, s4 dst_sel:DWORD dst_unused:UNUSED_PAD src0_sel:WORD_1 src1_sel:DWORD
	s_movk_i32 s4, 0x7f
	v_cmp_lt_i16_e32 vcc, s4, v11
	s_mov_b64 s[4:5], 0
                                        ; implicit-def: $sgpr10
	s_and_saveexec_b64 s[6:7], vcc
	s_xor_b64 s[6:7], exec, s[6:7]
	s_cbranch_execnz .LBB1_2933
; %bb.885:
	s_or_saveexec_b64 s[6:7], s[6:7]
	v_mov_b32_e32 v12, s10
	s_xor_b64 exec, exec, s[6:7]
	s_cbranch_execnz .LBB1_2936
.LBB1_886:
	s_or_b64 exec, exec, s[6:7]
	s_and_saveexec_b64 s[6:7], s[4:5]
	s_cbranch_execz .LBB1_888
.LBB1_887:
	v_bfe_u32 v11, v13, 16, 3
	v_ffbh_u32_e32 v15, v11
	v_min_u32_e32 v15, 32, v15
	v_lshrrev_b32_e32 v12, 19, v13
	v_subrev_u32_e32 v16, 28, v15
	v_and_b32_e32 v12, 15, v12
	v_lshlrev_b32_sdwa v16, v16, v13 dst_sel:DWORD dst_unused:UNUSED_PAD src0_sel:DWORD src1_sel:WORD_1
	v_bfe_u32 v14, v13, 19, 4
	v_sub_u32_e32 v15, 29, v15
	v_and_b32_e32 v16, 7, v16
	v_cmp_eq_u16_e32 vcc, 0, v12
	v_cndmask_b32_e32 v11, v11, v16, vcc
	v_cndmask_b32_e32 v12, v14, v15, vcc
	v_lshlrev_b32_e32 v14, 8, v13
	v_mov_b32_e32 v15, 0x3b800000
	v_lshlrev_b32_e32 v11, 20, v11
	v_and_b32_e32 v14, 0x80000000, v14
	v_lshl_add_u32 v12, v12, 23, v15
	v_or3_b32 v12, v14, v12, v11
.LBB1_888:
	s_or_b64 exec, exec, s[6:7]
	s_nop 0
	v_mfma_f32_16x16x4f32 a[0:3], v10, v12, a[0:3]
	s_movk_i32 s4, 0x7f
	v_cmp_gt_i16_sdwa s[6:7], v17, s4 src0_sel:BYTE_3 src1_sel:DWORD
	s_mov_b64 s[4:5], 0
                                        ; implicit-def: $sgpr10
	s_and_saveexec_b64 s[8:9], s[6:7]
	s_xor_b64 s[6:7], exec, s[8:9]
	s_cbranch_execnz .LBB1_2937
; %bb.889:
	s_or_saveexec_b64 s[6:7], s[6:7]
	v_mov_b32_e32 v10, s10
	s_xor_b64 exec, exec, s[6:7]
	s_cbranch_execnz .LBB1_2940
.LBB1_890:
	s_or_b64 exec, exec, s[6:7]
	s_and_saveexec_b64 s[6:7], s[4:5]
	s_cbranch_execz .LBB1_892
.LBB1_891:
	v_bfe_u32 v10, v17, 24, 3
	v_ffbh_u32_e32 v15, v10
	v_min_u32_e32 v15, 32, v15
	v_lshrrev_b32_e32 v12, 27, v17
	v_subrev_u32_e32 v16, 28, v15
	v_and_b32_e32 v12, 15, v12
	v_lshlrev_b32_sdwa v16, v16, v17 dst_sel:DWORD dst_unused:UNUSED_PAD src0_sel:DWORD src1_sel:BYTE_3
	v_bfe_u32 v14, v17, 27, 4
	v_sub_u32_e32 v15, 29, v15
	v_and_b32_e32 v16, 7, v16
	v_cmp_eq_u16_e32 vcc, 0, v12
	v_cndmask_b32_e32 v10, v10, v16, vcc
	v_cndmask_b32_e32 v12, v14, v15, vcc
	v_mov_b32_e32 v14, 0x3b800000
	v_and_b32_e32 v11, 0x80000000, v17
	v_lshlrev_b32_e32 v10, 20, v10
	v_lshl_add_u32 v12, v12, 23, v14
	v_or3_b32 v10, v11, v12, v10
.LBB1_892:
	s_or_b64 exec, exec, s[6:7]
	s_movk_i32 s4, 0x7f
	v_cmp_gt_i16_sdwa s[6:7], v13, s4 src0_sel:BYTE_3 src1_sel:DWORD
	s_mov_b64 s[4:5], 0
                                        ; implicit-def: $sgpr10
	s_and_saveexec_b64 s[8:9], s[6:7]
	s_xor_b64 s[6:7], exec, s[8:9]
	s_cbranch_execnz .LBB1_2941
; %bb.893:
	s_or_saveexec_b64 s[6:7], s[6:7]
	v_mov_b32_e32 v11, s10
	s_xor_b64 exec, exec, s[6:7]
	s_cbranch_execnz .LBB1_2944
.LBB1_894:
	s_or_b64 exec, exec, s[6:7]
	s_and_saveexec_b64 s[6:7], s[4:5]
	s_cbranch_execz .LBB1_896
.LBB1_895:
	v_bfe_u32 v11, v13, 24, 3
	v_ffbh_u32_e32 v16, v11
	v_min_u32_e32 v16, 32, v16
	v_lshrrev_b32_e32 v14, 27, v13
	v_subrev_u32_e32 v17, 28, v16
	v_and_b32_e32 v12, 0x80000000, v13
	v_and_b32_e32 v14, 15, v14
	v_bfe_u32 v15, v13, 27, 4
	v_lshlrev_b32_sdwa v13, v17, v13 dst_sel:DWORD dst_unused:UNUSED_PAD src0_sel:DWORD src1_sel:BYTE_3
	v_sub_u32_e32 v16, 29, v16
	v_and_b32_e32 v13, 7, v13
	v_cmp_eq_u16_e32 vcc, 0, v14
	v_cndmask_b32_e32 v11, v11, v13, vcc
	v_cndmask_b32_e32 v13, v15, v16, vcc
	v_mov_b32_e32 v14, 0x3b800000
	v_lshlrev_b32_e32 v11, 20, v11
	v_lshl_add_u32 v13, v13, 23, v14
	v_or3_b32 v11, v12, v13, v11
.LBB1_896:
	s_or_b64 exec, exec, s[6:7]
	s_nop 0
	v_mfma_f32_16x16x4f32 a[0:3], v10, v11, a[0:3]
	s_movk_i32 s4, 0x7f
	v_cmp_gt_i16_sdwa s[6:7], v6, s4 src0_sel:BYTE_0 src1_sel:DWORD
	s_mov_b64 s[4:5], 0
                                        ; implicit-def: $sgpr10
	s_and_saveexec_b64 s[8:9], s[6:7]
	s_xor_b64 s[6:7], exec, s[8:9]
	s_cbranch_execnz .LBB1_2945
; %bb.897:
	s_or_saveexec_b64 s[6:7], s[6:7]
	v_mov_b32_e32 v10, s10
	s_xor_b64 exec, exec, s[6:7]
	s_cbranch_execnz .LBB1_2948
.LBB1_898:
	s_or_b64 exec, exec, s[6:7]
	s_and_saveexec_b64 s[6:7], s[4:5]
	s_cbranch_execz .LBB1_900
.LBB1_899:
	v_and_b32_e32 v10, 7, v6
	v_ffbh_u32_e32 v12, v10
	v_min_u32_e32 v12, 32, v12
	v_lshrrev_b16_e32 v11, 3, v6
	v_subrev_u32_e32 v13, 28, v12
	v_and_b32_e32 v11, 15, v11
	v_lshlrev_b32_e32 v13, v13, v6
	v_sub_u32_e32 v12, 29, v12
	v_and_b32_e32 v13, 7, v13
	v_cmp_eq_u16_e32 vcc, 0, v11
	v_cndmask_b32_e32 v10, v10, v13, vcc
	v_cndmask_b32_e32 v11, v11, v12, vcc
	v_lshlrev_b32_e32 v12, 24, v6
	v_mov_b32_e32 v13, 0x3b800000
	v_lshlrev_b32_e32 v10, 20, v10
	v_and_b32_e32 v12, 0x80000000, v12
	v_lshl_add_u32 v11, v11, 23, v13
	v_or3_b32 v10, v12, v11, v10
.LBB1_900:
	s_or_b64 exec, exec, s[6:7]
	s_movk_i32 s4, 0x7f
	v_cmp_gt_i16_sdwa s[6:7], v2, s4 src0_sel:BYTE_0 src1_sel:DWORD
	s_mov_b64 s[4:5], 0
                                        ; implicit-def: $sgpr10
	s_and_saveexec_b64 s[8:9], s[6:7]
	s_xor_b64 s[6:7], exec, s[8:9]
	s_cbranch_execnz .LBB1_2949
; %bb.901:
	s_or_saveexec_b64 s[6:7], s[6:7]
	v_mov_b32_e32 v11, s10
	s_xor_b64 exec, exec, s[6:7]
	s_cbranch_execnz .LBB1_2952
.LBB1_902:
	s_or_b64 exec, exec, s[6:7]
	s_and_saveexec_b64 s[6:7], s[4:5]
	s_cbranch_execz .LBB1_904
.LBB1_903:
	v_and_b32_e32 v11, 7, v2
	v_ffbh_u32_e32 v13, v11
	v_min_u32_e32 v13, 32, v13
	v_lshrrev_b16_e32 v12, 3, v2
	v_subrev_u32_e32 v14, 28, v13
	v_and_b32_e32 v12, 15, v12
	v_lshlrev_b32_e32 v14, v14, v2
	v_sub_u32_e32 v13, 29, v13
	v_and_b32_e32 v14, 7, v14
	v_cmp_eq_u16_e32 vcc, 0, v12
	v_cndmask_b32_e32 v11, v11, v14, vcc
	v_cndmask_b32_e32 v12, v12, v13, vcc
	v_lshlrev_b32_e32 v13, 24, v2
	v_mov_b32_e32 v14, 0x3b800000
	v_lshlrev_b32_e32 v11, 20, v11
	v_and_b32_e32 v13, 0x80000000, v13
	v_lshl_add_u32 v12, v12, 23, v14
	v_or3_b32 v11, v13, v12, v11
.LBB1_904:
	s_or_b64 exec, exec, s[6:7]
	s_nop 0
	v_mfma_f32_16x16x4f32 a[0:3], v10, v11, a[0:3]
	v_lshrrev_b32_e32 v11, 8, v6
	s_movk_i32 s4, 0x7f
	v_cmp_gt_i16_sdwa s[6:7], v11, s4 src0_sel:BYTE_0 src1_sel:DWORD
	s_mov_b64 s[4:5], 0
                                        ; implicit-def: $sgpr10
	s_and_saveexec_b64 s[8:9], s[6:7]
	s_xor_b64 s[6:7], exec, s[8:9]
	s_cbranch_execnz .LBB1_2953
; %bb.905:
	s_or_saveexec_b64 s[6:7], s[6:7]
	v_mov_b32_e32 v10, s10
	s_xor_b64 exec, exec, s[6:7]
	s_cbranch_execnz .LBB1_2956
.LBB1_906:
	s_or_b64 exec, exec, s[6:7]
	s_and_saveexec_b64 s[6:7], s[4:5]
	s_cbranch_execz .LBB1_908
.LBB1_907:
	v_bfe_u32 v10, v6, 8, 3
	v_ffbh_u32_e32 v13, v10
	v_min_u32_e32 v13, 32, v13
	v_lshrrev_b16_e32 v12, 3, v11
	v_subrev_u32_e32 v14, 28, v13
	v_and_b32_e32 v12, 15, v12
	v_lshlrev_b32_e32 v11, v14, v11
	v_sub_u32_e32 v13, 29, v13
	v_and_b32_e32 v11, 7, v11
	v_cmp_eq_u16_e32 vcc, 0, v12
	v_cndmask_b32_e32 v10, v10, v11, vcc
	v_cndmask_b32_e32 v11, v12, v13, vcc
	v_lshlrev_b32_e32 v12, 16, v6
	v_mov_b32_e32 v13, 0x3b800000
	v_lshlrev_b32_e32 v10, 20, v10
	v_and_b32_e32 v12, 0x80000000, v12
	v_lshl_add_u32 v11, v11, 23, v13
	v_or3_b32 v10, v12, v11, v10
.LBB1_908:
	s_or_b64 exec, exec, s[6:7]
	v_lshrrev_b32_e32 v11, 8, v2
	s_movk_i32 s4, 0x7f
	v_cmp_gt_i16_sdwa s[6:7], v11, s4 src0_sel:BYTE_0 src1_sel:DWORD
	s_mov_b64 s[4:5], 0
                                        ; implicit-def: $sgpr10
	s_and_saveexec_b64 s[8:9], s[6:7]
	s_xor_b64 s[6:7], exec, s[8:9]
	s_cbranch_execnz .LBB1_2957
; %bb.909:
	s_or_saveexec_b64 s[6:7], s[6:7]
	v_mov_b32_e32 v12, s10
	s_xor_b64 exec, exec, s[6:7]
	s_cbranch_execnz .LBB1_2960
.LBB1_910:
	s_or_b64 exec, exec, s[6:7]
	s_and_saveexec_b64 s[6:7], s[4:5]
	s_cbranch_execz .LBB1_912
.LBB1_911:
	v_bfe_u32 v12, v2, 8, 3
	v_ffbh_u32_e32 v14, v12
	v_min_u32_e32 v14, 32, v14
	v_lshrrev_b16_e32 v13, 3, v11
	v_subrev_u32_e32 v15, 28, v14
	v_and_b32_e32 v13, 15, v13
	v_lshlrev_b32_e32 v11, v15, v11
	v_sub_u32_e32 v14, 29, v14
	v_and_b32_e32 v11, 7, v11
	v_cmp_eq_u16_e32 vcc, 0, v13
	v_cndmask_b32_e32 v11, v12, v11, vcc
	v_cndmask_b32_e32 v12, v13, v14, vcc
	v_lshlrev_b32_e32 v13, 16, v2
	v_mov_b32_e32 v14, 0x3b800000
	v_lshlrev_b32_e32 v11, 20, v11
	v_and_b32_e32 v13, 0x80000000, v13
	v_lshl_add_u32 v12, v12, 23, v14
	v_or3_b32 v12, v13, v12, v11
.LBB1_912:
	s_or_b64 exec, exec, s[6:7]
	s_nop 0
	v_mfma_f32_16x16x4f32 a[0:3], v10, v12, a[0:3]
	s_movk_i32 s4, 0xff
	v_and_b32_sdwa v11, v6, s4 dst_sel:DWORD dst_unused:UNUSED_PAD src0_sel:WORD_1 src1_sel:DWORD
	s_movk_i32 s4, 0x7f
	v_cmp_lt_i16_e32 vcc, s4, v11
	s_mov_b64 s[4:5], 0
                                        ; implicit-def: $sgpr10
	s_and_saveexec_b64 s[6:7], vcc
	s_xor_b64 s[6:7], exec, s[6:7]
	s_cbranch_execnz .LBB1_2961
; %bb.913:
	s_or_saveexec_b64 s[6:7], s[6:7]
	v_mov_b32_e32 v10, s10
	s_xor_b64 exec, exec, s[6:7]
	s_cbranch_execnz .LBB1_2964
.LBB1_914:
	s_or_b64 exec, exec, s[6:7]
	s_and_saveexec_b64 s[6:7], s[4:5]
	s_cbranch_execz .LBB1_916
.LBB1_915:
	v_bfe_u32 v10, v6, 16, 3
	v_ffbh_u32_e32 v13, v10
	v_min_u32_e32 v13, 32, v13
	v_lshrrev_b32_e32 v11, 19, v6
	v_subrev_u32_e32 v14, 28, v13
	v_and_b32_e32 v11, 15, v11
	v_lshlrev_b32_sdwa v14, v14, v6 dst_sel:DWORD dst_unused:UNUSED_PAD src0_sel:DWORD src1_sel:WORD_1
	v_bfe_u32 v12, v6, 19, 4
	v_sub_u32_e32 v13, 29, v13
	v_and_b32_e32 v14, 7, v14
	v_cmp_eq_u16_e32 vcc, 0, v11
	v_cndmask_b32_e32 v10, v10, v14, vcc
	v_cndmask_b32_e32 v11, v12, v13, vcc
	v_lshlrev_b32_e32 v12, 8, v6
	v_mov_b32_e32 v13, 0x3b800000
	v_lshlrev_b32_e32 v10, 20, v10
	v_and_b32_e32 v12, 0x80000000, v12
	v_lshl_add_u32 v11, v11, 23, v13
	v_or3_b32 v10, v12, v11, v10
.LBB1_916:
	s_or_b64 exec, exec, s[6:7]
	s_movk_i32 s4, 0xff
	v_and_b32_sdwa v11, v2, s4 dst_sel:DWORD dst_unused:UNUSED_PAD src0_sel:WORD_1 src1_sel:DWORD
	s_movk_i32 s4, 0x7f
	v_cmp_lt_i16_e32 vcc, s4, v11
	s_mov_b64 s[4:5], 0
                                        ; implicit-def: $sgpr10
	s_and_saveexec_b64 s[6:7], vcc
	s_xor_b64 s[6:7], exec, s[6:7]
	s_cbranch_execnz .LBB1_2965
; %bb.917:
	s_or_saveexec_b64 s[6:7], s[6:7]
	v_mov_b32_e32 v12, s10
	s_xor_b64 exec, exec, s[6:7]
	s_cbranch_execnz .LBB1_2968
.LBB1_918:
	s_or_b64 exec, exec, s[6:7]
	s_and_saveexec_b64 s[6:7], s[4:5]
	s_cbranch_execz .LBB1_920
.LBB1_919:
	v_bfe_u32 v11, v2, 16, 3
	v_ffbh_u32_e32 v14, v11
	v_min_u32_e32 v14, 32, v14
	v_lshrrev_b32_e32 v12, 19, v2
	v_subrev_u32_e32 v15, 28, v14
	v_and_b32_e32 v12, 15, v12
	v_lshlrev_b32_sdwa v15, v15, v2 dst_sel:DWORD dst_unused:UNUSED_PAD src0_sel:DWORD src1_sel:WORD_1
	v_bfe_u32 v13, v2, 19, 4
	v_sub_u32_e32 v14, 29, v14
	v_and_b32_e32 v15, 7, v15
	v_cmp_eq_u16_e32 vcc, 0, v12
	v_cndmask_b32_e32 v11, v11, v15, vcc
	v_cndmask_b32_e32 v12, v13, v14, vcc
	v_lshlrev_b32_e32 v13, 8, v2
	v_mov_b32_e32 v14, 0x3b800000
	v_lshlrev_b32_e32 v11, 20, v11
	v_and_b32_e32 v13, 0x80000000, v13
	v_lshl_add_u32 v12, v12, 23, v14
	v_or3_b32 v12, v13, v12, v11
.LBB1_920:
	s_or_b64 exec, exec, s[6:7]
	s_nop 0
	v_mfma_f32_16x16x4f32 a[0:3], v10, v12, a[0:3]
	s_movk_i32 s4, 0x7f
	v_cmp_gt_i16_sdwa s[6:7], v6, s4 src0_sel:BYTE_3 src1_sel:DWORD
	s_mov_b64 s[4:5], 0
                                        ; implicit-def: $sgpr10
	s_and_saveexec_b64 s[8:9], s[6:7]
	s_xor_b64 s[6:7], exec, s[8:9]
	s_cbranch_execnz .LBB1_2969
; %bb.921:
	s_or_saveexec_b64 s[6:7], s[6:7]
	v_mov_b32_e32 v10, s10
	s_xor_b64 exec, exec, s[6:7]
	s_cbranch_execnz .LBB1_2972
.LBB1_922:
	s_or_b64 exec, exec, s[6:7]
	s_and_saveexec_b64 s[6:7], s[4:5]
	s_cbranch_execz .LBB1_924
.LBB1_923:
	v_bfe_u32 v10, v6, 24, 3
	v_ffbh_u32_e32 v14, v10
	v_min_u32_e32 v14, 32, v14
	v_lshrrev_b32_e32 v12, 27, v6
	v_subrev_u32_e32 v15, 28, v14
	v_and_b32_e32 v11, 0x80000000, v6
	v_and_b32_e32 v12, 15, v12
	v_bfe_u32 v13, v6, 27, 4
	v_lshlrev_b32_sdwa v6, v15, v6 dst_sel:DWORD dst_unused:UNUSED_PAD src0_sel:DWORD src1_sel:BYTE_3
	v_sub_u32_e32 v14, 29, v14
	v_and_b32_e32 v6, 7, v6
	v_cmp_eq_u16_e32 vcc, 0, v12
	v_cndmask_b32_e32 v6, v10, v6, vcc
	v_cndmask_b32_e32 v10, v13, v14, vcc
	v_mov_b32_e32 v12, 0x3b800000
	v_lshlrev_b32_e32 v6, 20, v6
	v_lshl_add_u32 v10, v10, 23, v12
	v_or3_b32 v10, v11, v10, v6
.LBB1_924:
	s_or_b64 exec, exec, s[6:7]
	s_movk_i32 s4, 0x7f
	v_cmp_gt_i16_sdwa s[6:7], v2, s4 src0_sel:BYTE_3 src1_sel:DWORD
	s_mov_b64 s[4:5], 0
                                        ; implicit-def: $sgpr10
	s_and_saveexec_b64 s[8:9], s[6:7]
	s_xor_b64 s[6:7], exec, s[8:9]
	s_cbranch_execnz .LBB1_2973
; %bb.925:
	s_or_saveexec_b64 s[6:7], s[6:7]
	v_mov_b32_e32 v6, s10
	s_xor_b64 exec, exec, s[6:7]
	s_cbranch_execnz .LBB1_2976
.LBB1_926:
	s_or_b64 exec, exec, s[6:7]
	s_and_saveexec_b64 s[6:7], s[4:5]
	s_cbranch_execz .LBB1_928
.LBB1_927:
	v_bfe_u32 v6, v2, 24, 3
	v_ffbh_u32_e32 v14, v6
	v_min_u32_e32 v14, 32, v14
	v_lshrrev_b32_e32 v12, 27, v2
	v_subrev_u32_e32 v15, 28, v14
	v_and_b32_e32 v11, 0x80000000, v2
	v_and_b32_e32 v12, 15, v12
	v_bfe_u32 v13, v2, 27, 4
	v_lshlrev_b32_sdwa v2, v15, v2 dst_sel:DWORD dst_unused:UNUSED_PAD src0_sel:DWORD src1_sel:BYTE_3
	v_sub_u32_e32 v14, 29, v14
	v_and_b32_e32 v2, 7, v2
	v_cmp_eq_u16_e32 vcc, 0, v12
	v_cndmask_b32_e32 v2, v6, v2, vcc
	v_cndmask_b32_e32 v6, v13, v14, vcc
	v_mov_b32_e32 v12, 0x3b800000
	v_lshlrev_b32_e32 v2, 20, v2
	v_lshl_add_u32 v6, v6, 23, v12
	v_or3_b32 v6, v11, v6, v2
.LBB1_928:
	s_or_b64 exec, exec, s[6:7]
	s_nop 0
	v_mfma_f32_16x16x4f32 a[0:3], v10, v6, a[0:3]
	s_movk_i32 s4, 0x7f
	v_cmp_gt_i16_sdwa s[6:7], v7, s4 src0_sel:BYTE_0 src1_sel:DWORD
	s_mov_b64 s[4:5], 0
                                        ; implicit-def: $sgpr10
	s_and_saveexec_b64 s[8:9], s[6:7]
	s_xor_b64 s[6:7], exec, s[8:9]
	s_cbranch_execnz .LBB1_2977
; %bb.929:
	s_or_saveexec_b64 s[6:7], s[6:7]
	v_mov_b32_e32 v2, s10
	s_xor_b64 exec, exec, s[6:7]
	s_cbranch_execnz .LBB1_2980
.LBB1_930:
	s_or_b64 exec, exec, s[6:7]
	s_and_saveexec_b64 s[6:7], s[4:5]
	s_cbranch_execz .LBB1_932
.LBB1_931:
	v_and_b32_e32 v2, 7, v7
	v_ffbh_u32_e32 v10, v2
	v_min_u32_e32 v10, 32, v10
	v_lshrrev_b16_e32 v6, 3, v7
	v_subrev_u32_e32 v11, 28, v10
	v_and_b32_e32 v6, 15, v6
	v_lshlrev_b32_e32 v11, v11, v7
	v_sub_u32_e32 v10, 29, v10
	v_and_b32_e32 v11, 7, v11
	v_cmp_eq_u16_e32 vcc, 0, v6
	v_cndmask_b32_e32 v2, v2, v11, vcc
	v_cndmask_b32_e32 v6, v6, v10, vcc
	v_lshlrev_b32_e32 v10, 24, v7
	v_mov_b32_e32 v11, 0x3b800000
	v_lshlrev_b32_e32 v2, 20, v2
	v_and_b32_e32 v10, 0x80000000, v10
	v_lshl_add_u32 v6, v6, 23, v11
	v_or3_b32 v2, v10, v6, v2
.LBB1_932:
	s_or_b64 exec, exec, s[6:7]
	s_movk_i32 s4, 0x7f
	v_cmp_gt_i16_sdwa s[6:7], v3, s4 src0_sel:BYTE_0 src1_sel:DWORD
	s_mov_b64 s[4:5], 0
                                        ; implicit-def: $sgpr10
	s_and_saveexec_b64 s[8:9], s[6:7]
	s_xor_b64 s[6:7], exec, s[8:9]
	s_cbranch_execnz .LBB1_2981
; %bb.933:
	s_or_saveexec_b64 s[6:7], s[6:7]
	v_mov_b32_e32 v6, s10
	s_xor_b64 exec, exec, s[6:7]
	s_cbranch_execnz .LBB1_2984
.LBB1_934:
	s_or_b64 exec, exec, s[6:7]
	s_and_saveexec_b64 s[6:7], s[4:5]
	s_cbranch_execz .LBB1_936
.LBB1_935:
	v_and_b32_e32 v6, 7, v3
	v_ffbh_u32_e32 v11, v6
	v_min_u32_e32 v11, 32, v11
	v_lshrrev_b16_e32 v10, 3, v3
	v_subrev_u32_e32 v12, 28, v11
	v_and_b32_e32 v10, 15, v10
	v_lshlrev_b32_e32 v12, v12, v3
	v_sub_u32_e32 v11, 29, v11
	v_and_b32_e32 v12, 7, v12
	v_cmp_eq_u16_e32 vcc, 0, v10
	v_cndmask_b32_e32 v6, v6, v12, vcc
	v_cndmask_b32_e32 v10, v10, v11, vcc
	v_lshlrev_b32_e32 v11, 24, v3
	v_mov_b32_e32 v12, 0x3b800000
	v_lshlrev_b32_e32 v6, 20, v6
	v_and_b32_e32 v11, 0x80000000, v11
	v_lshl_add_u32 v10, v10, 23, v12
	v_or3_b32 v6, v11, v10, v6
.LBB1_936:
	s_or_b64 exec, exec, s[6:7]
	s_nop 0
	v_mfma_f32_16x16x4f32 a[0:3], v2, v6, a[0:3]
	v_lshrrev_b32_e32 v6, 8, v7
	s_movk_i32 s4, 0x7f
	v_cmp_gt_i16_sdwa s[6:7], v6, s4 src0_sel:BYTE_0 src1_sel:DWORD
	s_mov_b64 s[4:5], 0
                                        ; implicit-def: $sgpr10
	s_and_saveexec_b64 s[8:9], s[6:7]
	s_xor_b64 s[6:7], exec, s[8:9]
	s_cbranch_execnz .LBB1_2985
; %bb.937:
	s_or_saveexec_b64 s[6:7], s[6:7]
	v_mov_b32_e32 v2, s10
	s_xor_b64 exec, exec, s[6:7]
	s_cbranch_execnz .LBB1_2988
.LBB1_938:
	s_or_b64 exec, exec, s[6:7]
	s_and_saveexec_b64 s[6:7], s[4:5]
	s_cbranch_execz .LBB1_940
.LBB1_939:
	v_bfe_u32 v2, v7, 8, 3
	v_ffbh_u32_e32 v11, v2
	v_min_u32_e32 v11, 32, v11
	v_lshrrev_b16_e32 v10, 3, v6
	v_subrev_u32_e32 v12, 28, v11
	v_and_b32_e32 v10, 15, v10
	v_lshlrev_b32_e32 v6, v12, v6
	v_sub_u32_e32 v11, 29, v11
	v_and_b32_e32 v6, 7, v6
	v_cmp_eq_u16_e32 vcc, 0, v10
	v_cndmask_b32_e32 v2, v2, v6, vcc
	v_cndmask_b32_e32 v6, v10, v11, vcc
	v_lshlrev_b32_e32 v10, 16, v7
	v_mov_b32_e32 v11, 0x3b800000
	v_lshlrev_b32_e32 v2, 20, v2
	v_and_b32_e32 v10, 0x80000000, v10
	v_lshl_add_u32 v6, v6, 23, v11
	v_or3_b32 v2, v10, v6, v2
.LBB1_940:
	s_or_b64 exec, exec, s[6:7]
	v_lshrrev_b32_e32 v6, 8, v3
	s_movk_i32 s4, 0x7f
	v_cmp_gt_i16_sdwa s[6:7], v6, s4 src0_sel:BYTE_0 src1_sel:DWORD
	s_mov_b64 s[4:5], 0
                                        ; implicit-def: $sgpr10
	s_and_saveexec_b64 s[8:9], s[6:7]
	s_xor_b64 s[6:7], exec, s[8:9]
	s_cbranch_execnz .LBB1_2989
; %bb.941:
	s_or_saveexec_b64 s[6:7], s[6:7]
	v_mov_b32_e32 v10, s10
	s_xor_b64 exec, exec, s[6:7]
	s_cbranch_execnz .LBB1_2992
.LBB1_942:
	s_or_b64 exec, exec, s[6:7]
	s_and_saveexec_b64 s[6:7], s[4:5]
	s_cbranch_execz .LBB1_944
.LBB1_943:
	v_bfe_u32 v10, v3, 8, 3
	v_ffbh_u32_e32 v12, v10
	v_min_u32_e32 v12, 32, v12
	v_lshrrev_b16_e32 v11, 3, v6
	v_subrev_u32_e32 v13, 28, v12
	v_and_b32_e32 v11, 15, v11
	v_lshlrev_b32_e32 v6, v13, v6
	v_sub_u32_e32 v12, 29, v12
	v_and_b32_e32 v6, 7, v6
	v_cmp_eq_u16_e32 vcc, 0, v11
	v_cndmask_b32_e32 v6, v10, v6, vcc
	v_cndmask_b32_e32 v10, v11, v12, vcc
	v_lshlrev_b32_e32 v11, 16, v3
	v_mov_b32_e32 v12, 0x3b800000
	v_lshlrev_b32_e32 v6, 20, v6
	v_and_b32_e32 v11, 0x80000000, v11
	v_lshl_add_u32 v10, v10, 23, v12
	v_or3_b32 v10, v11, v10, v6
.LBB1_944:
	s_or_b64 exec, exec, s[6:7]
	s_nop 0
	v_mfma_f32_16x16x4f32 a[0:3], v2, v10, a[0:3]
	s_movk_i32 s4, 0xff
	v_and_b32_sdwa v6, v7, s4 dst_sel:DWORD dst_unused:UNUSED_PAD src0_sel:WORD_1 src1_sel:DWORD
	s_movk_i32 s4, 0x7f
	v_cmp_lt_i16_e32 vcc, s4, v6
	s_mov_b64 s[4:5], 0
                                        ; implicit-def: $sgpr10
	s_and_saveexec_b64 s[6:7], vcc
	s_xor_b64 s[6:7], exec, s[6:7]
	s_cbranch_execnz .LBB1_2993
; %bb.945:
	s_or_saveexec_b64 s[6:7], s[6:7]
	v_mov_b32_e32 v2, s10
	s_xor_b64 exec, exec, s[6:7]
	s_cbranch_execnz .LBB1_2996
.LBB1_946:
	s_or_b64 exec, exec, s[6:7]
	s_and_saveexec_b64 s[6:7], s[4:5]
	s_cbranch_execz .LBB1_948
.LBB1_947:
	v_bfe_u32 v2, v7, 16, 3
	v_ffbh_u32_e32 v11, v2
	v_min_u32_e32 v11, 32, v11
	v_lshrrev_b32_e32 v6, 19, v7
	v_subrev_u32_e32 v12, 28, v11
	v_and_b32_e32 v6, 15, v6
	v_lshlrev_b32_sdwa v12, v12, v7 dst_sel:DWORD dst_unused:UNUSED_PAD src0_sel:DWORD src1_sel:WORD_1
	v_bfe_u32 v10, v7, 19, 4
	v_sub_u32_e32 v11, 29, v11
	v_and_b32_e32 v12, 7, v12
	v_cmp_eq_u16_e32 vcc, 0, v6
	v_cndmask_b32_e32 v2, v2, v12, vcc
	v_cndmask_b32_e32 v6, v10, v11, vcc
	v_lshlrev_b32_e32 v10, 8, v7
	v_mov_b32_e32 v11, 0x3b800000
	v_lshlrev_b32_e32 v2, 20, v2
	v_and_b32_e32 v10, 0x80000000, v10
	v_lshl_add_u32 v6, v6, 23, v11
	v_or3_b32 v2, v10, v6, v2
.LBB1_948:
	s_or_b64 exec, exec, s[6:7]
	s_movk_i32 s4, 0xff
	v_and_b32_sdwa v6, v3, s4 dst_sel:DWORD dst_unused:UNUSED_PAD src0_sel:WORD_1 src1_sel:DWORD
	s_movk_i32 s4, 0x7f
	v_cmp_lt_i16_e32 vcc, s4, v6
	s_mov_b64 s[4:5], 0
                                        ; implicit-def: $sgpr10
	s_and_saveexec_b64 s[6:7], vcc
	s_xor_b64 s[6:7], exec, s[6:7]
	s_cbranch_execnz .LBB1_2997
; %bb.949:
	s_or_saveexec_b64 s[6:7], s[6:7]
	v_mov_b32_e32 v10, s10
	s_xor_b64 exec, exec, s[6:7]
	s_cbranch_execnz .LBB1_3000
.LBB1_950:
	s_or_b64 exec, exec, s[6:7]
	s_and_saveexec_b64 s[6:7], s[4:5]
	s_cbranch_execz .LBB1_952
.LBB1_951:
	v_bfe_u32 v6, v3, 16, 3
	v_ffbh_u32_e32 v12, v6
	v_min_u32_e32 v12, 32, v12
	v_lshrrev_b32_e32 v10, 19, v3
	v_subrev_u32_e32 v13, 28, v12
	v_and_b32_e32 v10, 15, v10
	v_lshlrev_b32_sdwa v13, v13, v3 dst_sel:DWORD dst_unused:UNUSED_PAD src0_sel:DWORD src1_sel:WORD_1
	v_bfe_u32 v11, v3, 19, 4
	v_sub_u32_e32 v12, 29, v12
	v_and_b32_e32 v13, 7, v13
	v_cmp_eq_u16_e32 vcc, 0, v10
	v_cndmask_b32_e32 v6, v6, v13, vcc
	v_cndmask_b32_e32 v10, v11, v12, vcc
	v_lshlrev_b32_e32 v11, 8, v3
	v_mov_b32_e32 v12, 0x3b800000
	v_lshlrev_b32_e32 v6, 20, v6
	v_and_b32_e32 v11, 0x80000000, v11
	v_lshl_add_u32 v10, v10, 23, v12
	v_or3_b32 v10, v11, v10, v6
.LBB1_952:
	s_or_b64 exec, exec, s[6:7]
	s_nop 0
	v_mfma_f32_16x16x4f32 a[0:3], v2, v10, a[0:3]
	s_movk_i32 s4, 0x7f
	v_cmp_gt_i16_sdwa s[6:7], v7, s4 src0_sel:BYTE_3 src1_sel:DWORD
	s_mov_b64 s[4:5], 0
                                        ; implicit-def: $sgpr10
	s_and_saveexec_b64 s[8:9], s[6:7]
	s_xor_b64 s[6:7], exec, s[8:9]
	s_cbranch_execnz .LBB1_3001
; %bb.953:
	s_or_saveexec_b64 s[6:7], s[6:7]
	v_mov_b32_e32 v2, s10
	s_xor_b64 exec, exec, s[6:7]
	s_cbranch_execnz .LBB1_3004
.LBB1_954:
	s_or_b64 exec, exec, s[6:7]
	s_and_saveexec_b64 s[6:7], s[4:5]
	s_cbranch_execz .LBB1_956
.LBB1_955:
	v_bfe_u32 v2, v7, 24, 3
	v_ffbh_u32_e32 v12, v2
	v_min_u32_e32 v12, 32, v12
	v_lshrrev_b32_e32 v10, 27, v7
	v_subrev_u32_e32 v13, 28, v12
	v_and_b32_e32 v6, 0x80000000, v7
	v_and_b32_e32 v10, 15, v10
	v_bfe_u32 v11, v7, 27, 4
	v_lshlrev_b32_sdwa v7, v13, v7 dst_sel:DWORD dst_unused:UNUSED_PAD src0_sel:DWORD src1_sel:BYTE_3
	v_sub_u32_e32 v12, 29, v12
	v_and_b32_e32 v7, 7, v7
	v_cmp_eq_u16_e32 vcc, 0, v10
	v_cndmask_b32_e32 v2, v2, v7, vcc
	v_cndmask_b32_e32 v7, v11, v12, vcc
	v_mov_b32_e32 v10, 0x3b800000
	v_lshlrev_b32_e32 v2, 20, v2
	v_lshl_add_u32 v7, v7, 23, v10
	v_or3_b32 v2, v6, v7, v2
.LBB1_956:
	s_or_b64 exec, exec, s[6:7]
	s_movk_i32 s4, 0x7f
	v_cmp_gt_i16_sdwa s[6:7], v3, s4 src0_sel:BYTE_3 src1_sel:DWORD
	s_mov_b64 s[4:5], 0
                                        ; implicit-def: $sgpr10
	s_and_saveexec_b64 s[8:9], s[6:7]
	s_xor_b64 s[6:7], exec, s[8:9]
	s_cbranch_execnz .LBB1_3005
; %bb.957:
	s_or_saveexec_b64 s[6:7], s[6:7]
	v_mov_b32_e32 v6, s10
	s_xor_b64 exec, exec, s[6:7]
	s_cbranch_execnz .LBB1_3008
.LBB1_958:
	s_or_b64 exec, exec, s[6:7]
	s_and_saveexec_b64 s[6:7], s[4:5]
	s_cbranch_execz .LBB1_960
.LBB1_959:
	v_bfe_u32 v6, v3, 24, 3
	v_ffbh_u32_e32 v12, v6
	v_min_u32_e32 v12, 32, v12
	v_lshrrev_b32_e32 v10, 27, v3
	v_subrev_u32_e32 v13, 28, v12
	v_and_b32_e32 v7, 0x80000000, v3
	v_and_b32_e32 v10, 15, v10
	v_bfe_u32 v11, v3, 27, 4
	v_lshlrev_b32_sdwa v3, v13, v3 dst_sel:DWORD dst_unused:UNUSED_PAD src0_sel:DWORD src1_sel:BYTE_3
	v_sub_u32_e32 v12, 29, v12
	v_and_b32_e32 v3, 7, v3
	v_cmp_eq_u16_e32 vcc, 0, v10
	v_cndmask_b32_e32 v3, v6, v3, vcc
	v_cndmask_b32_e32 v6, v11, v12, vcc
	v_mov_b32_e32 v10, 0x3b800000
	v_lshlrev_b32_e32 v3, 20, v3
	v_lshl_add_u32 v6, v6, 23, v10
	v_or3_b32 v6, v7, v6, v3
.LBB1_960:
	s_or_b64 exec, exec, s[6:7]
	s_nop 0
	v_mfma_f32_16x16x4f32 a[0:3], v2, v6, a[0:3]
	s_movk_i32 s4, 0x7f
	v_cmp_gt_i16_sdwa s[6:7], v8, s4 src0_sel:BYTE_0 src1_sel:DWORD
	s_mov_b64 s[4:5], 0
                                        ; implicit-def: $sgpr10
	s_and_saveexec_b64 s[8:9], s[6:7]
	s_xor_b64 s[6:7], exec, s[8:9]
	s_cbranch_execnz .LBB1_3009
; %bb.961:
	s_or_saveexec_b64 s[6:7], s[6:7]
	v_mov_b32_e32 v2, s10
	s_xor_b64 exec, exec, s[6:7]
	s_cbranch_execnz .LBB1_3012
.LBB1_962:
	s_or_b64 exec, exec, s[6:7]
	s_and_saveexec_b64 s[6:7], s[4:5]
	s_cbranch_execz .LBB1_964
.LBB1_963:
	v_and_b32_e32 v2, 7, v8
	v_ffbh_u32_e32 v6, v2
	v_min_u32_e32 v6, 32, v6
	v_lshrrev_b16_e32 v3, 3, v8
	v_subrev_u32_e32 v7, 28, v6
	v_and_b32_e32 v3, 15, v3
	v_lshlrev_b32_e32 v7, v7, v8
	v_sub_u32_e32 v6, 29, v6
	v_and_b32_e32 v7, 7, v7
	v_cmp_eq_u16_e32 vcc, 0, v3
	v_cndmask_b32_e32 v2, v2, v7, vcc
	v_cndmask_b32_e32 v3, v3, v6, vcc
	v_lshlrev_b32_e32 v6, 24, v8
	v_mov_b32_e32 v7, 0x3b800000
	v_lshlrev_b32_e32 v2, 20, v2
	v_and_b32_e32 v6, 0x80000000, v6
	v_lshl_add_u32 v3, v3, 23, v7
	v_or3_b32 v2, v6, v3, v2
.LBB1_964:
	s_or_b64 exec, exec, s[6:7]
	s_movk_i32 s4, 0x7f
	v_cmp_gt_i16_sdwa s[6:7], v4, s4 src0_sel:BYTE_0 src1_sel:DWORD
	s_mov_b64 s[4:5], 0
                                        ; implicit-def: $sgpr10
	s_and_saveexec_b64 s[8:9], s[6:7]
	s_xor_b64 s[6:7], exec, s[8:9]
	s_cbranch_execnz .LBB1_3013
; %bb.965:
	s_or_saveexec_b64 s[6:7], s[6:7]
	v_mov_b32_e32 v3, s10
	s_xor_b64 exec, exec, s[6:7]
	s_cbranch_execnz .LBB1_3016
.LBB1_966:
	s_or_b64 exec, exec, s[6:7]
	s_and_saveexec_b64 s[6:7], s[4:5]
	s_cbranch_execz .LBB1_968
.LBB1_967:
	v_and_b32_e32 v3, 7, v4
	v_ffbh_u32_e32 v7, v3
	v_min_u32_e32 v7, 32, v7
	v_lshrrev_b16_e32 v6, 3, v4
	v_subrev_u32_e32 v10, 28, v7
	v_and_b32_e32 v6, 15, v6
	v_lshlrev_b32_e32 v10, v10, v4
	v_sub_u32_e32 v7, 29, v7
	v_and_b32_e32 v10, 7, v10
	v_cmp_eq_u16_e32 vcc, 0, v6
	v_cndmask_b32_e32 v3, v3, v10, vcc
	v_cndmask_b32_e32 v6, v6, v7, vcc
	v_lshlrev_b32_e32 v7, 24, v4
	v_mov_b32_e32 v10, 0x3b800000
	v_lshlrev_b32_e32 v3, 20, v3
	v_and_b32_e32 v7, 0x80000000, v7
	v_lshl_add_u32 v6, v6, 23, v10
	v_or3_b32 v3, v7, v6, v3
.LBB1_968:
	s_or_b64 exec, exec, s[6:7]
	s_nop 0
	v_mfma_f32_16x16x4f32 a[0:3], v2, v3, a[0:3]
	v_lshrrev_b32_e32 v3, 8, v8
	s_movk_i32 s4, 0x7f
	v_cmp_gt_i16_sdwa s[6:7], v3, s4 src0_sel:BYTE_0 src1_sel:DWORD
	s_mov_b64 s[4:5], 0
                                        ; implicit-def: $sgpr10
	s_and_saveexec_b64 s[8:9], s[6:7]
	s_xor_b64 s[6:7], exec, s[8:9]
	s_cbranch_execnz .LBB1_3017
; %bb.969:
	s_or_saveexec_b64 s[6:7], s[6:7]
	v_mov_b32_e32 v2, s10
	s_xor_b64 exec, exec, s[6:7]
	s_cbranch_execnz .LBB1_3020
.LBB1_970:
	s_or_b64 exec, exec, s[6:7]
	s_and_saveexec_b64 s[6:7], s[4:5]
	s_cbranch_execz .LBB1_972
.LBB1_971:
	v_bfe_u32 v2, v8, 8, 3
	v_ffbh_u32_e32 v7, v2
	v_min_u32_e32 v7, 32, v7
	v_lshrrev_b16_e32 v6, 3, v3
	v_subrev_u32_e32 v10, 28, v7
	v_and_b32_e32 v6, 15, v6
	v_lshlrev_b32_e32 v3, v10, v3
	v_sub_u32_e32 v7, 29, v7
	v_and_b32_e32 v3, 7, v3
	v_cmp_eq_u16_e32 vcc, 0, v6
	v_cndmask_b32_e32 v2, v2, v3, vcc
	v_cndmask_b32_e32 v3, v6, v7, vcc
	v_lshlrev_b32_e32 v6, 16, v8
	v_mov_b32_e32 v7, 0x3b800000
	v_lshlrev_b32_e32 v2, 20, v2
	v_and_b32_e32 v6, 0x80000000, v6
	v_lshl_add_u32 v3, v3, 23, v7
	v_or3_b32 v2, v6, v3, v2
.LBB1_972:
	s_or_b64 exec, exec, s[6:7]
	v_lshrrev_b32_e32 v3, 8, v4
	s_movk_i32 s4, 0x7f
	v_cmp_gt_i16_sdwa s[6:7], v3, s4 src0_sel:BYTE_0 src1_sel:DWORD
	s_mov_b64 s[4:5], 0
                                        ; implicit-def: $sgpr10
	s_and_saveexec_b64 s[8:9], s[6:7]
	s_xor_b64 s[6:7], exec, s[8:9]
	s_cbranch_execnz .LBB1_3021
; %bb.973:
	s_or_saveexec_b64 s[6:7], s[6:7]
	v_mov_b32_e32 v6, s10
	s_xor_b64 exec, exec, s[6:7]
	s_cbranch_execnz .LBB1_3024
.LBB1_974:
	s_or_b64 exec, exec, s[6:7]
	s_and_saveexec_b64 s[6:7], s[4:5]
	s_cbranch_execz .LBB1_976
.LBB1_975:
	v_bfe_u32 v6, v4, 8, 3
	v_ffbh_u32_e32 v10, v6
	v_min_u32_e32 v10, 32, v10
	v_lshrrev_b16_e32 v7, 3, v3
	v_subrev_u32_e32 v11, 28, v10
	v_and_b32_e32 v7, 15, v7
	v_lshlrev_b32_e32 v3, v11, v3
	v_sub_u32_e32 v10, 29, v10
	v_and_b32_e32 v3, 7, v3
	v_cmp_eq_u16_e32 vcc, 0, v7
	v_cndmask_b32_e32 v3, v6, v3, vcc
	v_cndmask_b32_e32 v6, v7, v10, vcc
	v_lshlrev_b32_e32 v7, 16, v4
	v_mov_b32_e32 v10, 0x3b800000
	v_lshlrev_b32_e32 v3, 20, v3
	v_and_b32_e32 v7, 0x80000000, v7
	v_lshl_add_u32 v6, v6, 23, v10
	v_or3_b32 v6, v7, v6, v3
.LBB1_976:
	s_or_b64 exec, exec, s[6:7]
	s_nop 0
	v_mfma_f32_16x16x4f32 a[0:3], v2, v6, a[0:3]
	s_movk_i32 s4, 0xff
	v_and_b32_sdwa v3, v8, s4 dst_sel:DWORD dst_unused:UNUSED_PAD src0_sel:WORD_1 src1_sel:DWORD
	s_movk_i32 s4, 0x7f
	v_cmp_lt_i16_e32 vcc, s4, v3
	s_mov_b64 s[4:5], 0
                                        ; implicit-def: $sgpr10
	s_and_saveexec_b64 s[6:7], vcc
	s_xor_b64 s[6:7], exec, s[6:7]
	s_cbranch_execnz .LBB1_3025
; %bb.977:
	s_or_saveexec_b64 s[6:7], s[6:7]
	v_mov_b32_e32 v2, s10
	s_xor_b64 exec, exec, s[6:7]
	s_cbranch_execnz .LBB1_3028
.LBB1_978:
	s_or_b64 exec, exec, s[6:7]
	s_and_saveexec_b64 s[6:7], s[4:5]
	s_cbranch_execz .LBB1_980
.LBB1_979:
	v_bfe_u32 v2, v8, 16, 3
	v_ffbh_u32_e32 v7, v2
	v_min_u32_e32 v7, 32, v7
	v_lshrrev_b32_e32 v3, 19, v8
	v_subrev_u32_e32 v10, 28, v7
	v_and_b32_e32 v3, 15, v3
	v_lshlrev_b32_sdwa v10, v10, v8 dst_sel:DWORD dst_unused:UNUSED_PAD src0_sel:DWORD src1_sel:WORD_1
	v_bfe_u32 v6, v8, 19, 4
	v_sub_u32_e32 v7, 29, v7
	v_and_b32_e32 v10, 7, v10
	v_cmp_eq_u16_e32 vcc, 0, v3
	v_cndmask_b32_e32 v2, v2, v10, vcc
	v_cndmask_b32_e32 v3, v6, v7, vcc
	v_lshlrev_b32_e32 v6, 8, v8
	v_mov_b32_e32 v7, 0x3b800000
	v_lshlrev_b32_e32 v2, 20, v2
	v_and_b32_e32 v6, 0x80000000, v6
	v_lshl_add_u32 v3, v3, 23, v7
	v_or3_b32 v2, v6, v3, v2
.LBB1_980:
	s_or_b64 exec, exec, s[6:7]
	s_movk_i32 s4, 0xff
	v_and_b32_sdwa v3, v4, s4 dst_sel:DWORD dst_unused:UNUSED_PAD src0_sel:WORD_1 src1_sel:DWORD
	s_movk_i32 s4, 0x7f
	v_cmp_lt_i16_e32 vcc, s4, v3
	s_mov_b64 s[4:5], 0
                                        ; implicit-def: $sgpr10
	s_and_saveexec_b64 s[6:7], vcc
	s_xor_b64 s[6:7], exec, s[6:7]
	s_cbranch_execnz .LBB1_3029
; %bb.981:
	s_or_saveexec_b64 s[6:7], s[6:7]
	v_mov_b32_e32 v6, s10
	s_xor_b64 exec, exec, s[6:7]
	s_cbranch_execnz .LBB1_3032
.LBB1_982:
	s_or_b64 exec, exec, s[6:7]
	s_and_saveexec_b64 s[6:7], s[4:5]
	s_cbranch_execz .LBB1_984
.LBB1_983:
	v_bfe_u32 v3, v4, 16, 3
	v_ffbh_u32_e32 v10, v3
	v_min_u32_e32 v10, 32, v10
	v_lshrrev_b32_e32 v6, 19, v4
	v_subrev_u32_e32 v11, 28, v10
	v_and_b32_e32 v6, 15, v6
	v_lshlrev_b32_sdwa v11, v11, v4 dst_sel:DWORD dst_unused:UNUSED_PAD src0_sel:DWORD src1_sel:WORD_1
	v_bfe_u32 v7, v4, 19, 4
	v_sub_u32_e32 v10, 29, v10
	v_and_b32_e32 v11, 7, v11
	v_cmp_eq_u16_e32 vcc, 0, v6
	v_cndmask_b32_e32 v3, v3, v11, vcc
	v_cndmask_b32_e32 v6, v7, v10, vcc
	v_lshlrev_b32_e32 v7, 8, v4
	v_mov_b32_e32 v10, 0x3b800000
	v_lshlrev_b32_e32 v3, 20, v3
	v_and_b32_e32 v7, 0x80000000, v7
	v_lshl_add_u32 v6, v6, 23, v10
	v_or3_b32 v6, v7, v6, v3
.LBB1_984:
	s_or_b64 exec, exec, s[6:7]
	s_nop 0
	v_mfma_f32_16x16x4f32 a[0:3], v2, v6, a[0:3]
	s_movk_i32 s4, 0x7f
	v_cmp_gt_i16_sdwa s[6:7], v8, s4 src0_sel:BYTE_3 src1_sel:DWORD
	s_mov_b64 s[4:5], 0
                                        ; implicit-def: $sgpr10
	s_and_saveexec_b64 s[8:9], s[6:7]
	s_xor_b64 s[6:7], exec, s[8:9]
	s_cbranch_execnz .LBB1_3033
; %bb.985:
	s_or_saveexec_b64 s[6:7], s[6:7]
	v_mov_b32_e32 v2, s10
	s_xor_b64 exec, exec, s[6:7]
	s_cbranch_execnz .LBB1_3036
.LBB1_986:
	s_or_b64 exec, exec, s[6:7]
	s_and_saveexec_b64 s[6:7], s[4:5]
	s_cbranch_execz .LBB1_988
.LBB1_987:
	v_bfe_u32 v2, v8, 24, 3
	v_ffbh_u32_e32 v10, v2
	v_min_u32_e32 v10, 32, v10
	v_lshrrev_b32_e32 v6, 27, v8
	v_subrev_u32_e32 v11, 28, v10
	v_and_b32_e32 v3, 0x80000000, v8
	v_and_b32_e32 v6, 15, v6
	v_bfe_u32 v7, v8, 27, 4
	v_lshlrev_b32_sdwa v8, v11, v8 dst_sel:DWORD dst_unused:UNUSED_PAD src0_sel:DWORD src1_sel:BYTE_3
	v_sub_u32_e32 v10, 29, v10
	v_and_b32_e32 v8, 7, v8
	v_cmp_eq_u16_e32 vcc, 0, v6
	v_cndmask_b32_e32 v2, v2, v8, vcc
	v_cndmask_b32_e32 v6, v7, v10, vcc
	v_mov_b32_e32 v7, 0x3b800000
	v_lshlrev_b32_e32 v2, 20, v2
	v_lshl_add_u32 v6, v6, 23, v7
	v_or3_b32 v2, v3, v6, v2
.LBB1_988:
	s_or_b64 exec, exec, s[6:7]
	s_movk_i32 s4, 0x7f
	v_cmp_gt_i16_sdwa s[6:7], v4, s4 src0_sel:BYTE_3 src1_sel:DWORD
	s_mov_b64 s[4:5], 0
                                        ; implicit-def: $sgpr10
	s_and_saveexec_b64 s[8:9], s[6:7]
	s_xor_b64 s[6:7], exec, s[8:9]
	s_cbranch_execnz .LBB1_3037
; %bb.989:
	s_or_saveexec_b64 s[6:7], s[6:7]
	v_mov_b32_e32 v3, s10
	s_xor_b64 exec, exec, s[6:7]
	s_cbranch_execnz .LBB1_3040
.LBB1_990:
	s_or_b64 exec, exec, s[6:7]
	s_and_saveexec_b64 s[6:7], s[4:5]
	s_cbranch_execz .LBB1_992
.LBB1_991:
	v_bfe_u32 v3, v4, 24, 3
	v_ffbh_u32_e32 v10, v3
	v_min_u32_e32 v10, 32, v10
	v_lshrrev_b32_e32 v7, 27, v4
	v_subrev_u32_e32 v11, 28, v10
	v_and_b32_e32 v6, 0x80000000, v4
	v_and_b32_e32 v7, 15, v7
	v_bfe_u32 v8, v4, 27, 4
	v_lshlrev_b32_sdwa v4, v11, v4 dst_sel:DWORD dst_unused:UNUSED_PAD src0_sel:DWORD src1_sel:BYTE_3
	v_sub_u32_e32 v10, 29, v10
	v_and_b32_e32 v4, 7, v4
	v_cmp_eq_u16_e32 vcc, 0, v7
	v_cndmask_b32_e32 v3, v3, v4, vcc
	v_cndmask_b32_e32 v4, v8, v10, vcc
	v_mov_b32_e32 v7, 0x3b800000
	v_lshlrev_b32_e32 v3, 20, v3
	v_lshl_add_u32 v4, v4, 23, v7
	v_or3_b32 v3, v6, v4, v3
.LBB1_992:
	s_or_b64 exec, exec, s[6:7]
	s_nop 0
	v_mfma_f32_16x16x4f32 a[0:3], v2, v3, a[0:3]
	s_movk_i32 s4, 0x7f
	v_cmp_gt_i16_sdwa s[6:7], v9, s4 src0_sel:BYTE_0 src1_sel:DWORD
	s_mov_b64 s[4:5], 0
                                        ; implicit-def: $sgpr10
	s_and_saveexec_b64 s[8:9], s[6:7]
	s_xor_b64 s[6:7], exec, s[8:9]
	s_cbranch_execnz .LBB1_3041
; %bb.993:
	s_or_saveexec_b64 s[6:7], s[6:7]
	v_mov_b32_e32 v2, s10
	s_xor_b64 exec, exec, s[6:7]
	s_cbranch_execnz .LBB1_3044
.LBB1_994:
	s_or_b64 exec, exec, s[6:7]
	s_and_saveexec_b64 s[6:7], s[4:5]
	s_cbranch_execz .LBB1_996
.LBB1_995:
	v_mov_b32_e32 v2, 8
	v_and_b32_e32 v3, 7, v9
	v_lshrrev_b32_sdwa v2, v2, v9 dst_sel:BYTE_1 dst_unused:UNUSED_PAD src0_sel:DWORD src1_sel:DWORD
	v_ffbh_u32_e32 v4, v3
	v_or_b32_sdwa v2, v9, v2 dst_sel:DWORD dst_unused:UNUSED_PAD src0_sel:BYTE_0 src1_sel:DWORD
	v_min_u32_e32 v4, 32, v4
	v_lshrrev_b16_e32 v2, 3, v2
	v_subrev_u32_e32 v6, 28, v4
	v_and_b32_e32 v2, 15, v2
	v_lshlrev_b32_e32 v6, v6, v9
	v_sub_u32_e32 v4, 29, v4
	v_and_b32_e32 v6, 7, v6
	v_cmp_eq_u16_e32 vcc, 0, v2
	v_cndmask_b32_e32 v3, v3, v6, vcc
	v_cndmask_b32_e32 v2, v2, v4, vcc
	v_lshlrev_b32_e32 v4, 24, v9
	v_mov_b32_e32 v6, 0x3b800000
	v_lshlrev_b32_e32 v3, 20, v3
	v_and_b32_e32 v4, 0x80000000, v4
	v_lshl_add_u32 v2, v2, 23, v6
	v_or3_b32 v2, v4, v2, v3
.LBB1_996:
	s_or_b64 exec, exec, s[6:7]
	s_movk_i32 s4, 0x7f
	v_cmp_gt_i16_sdwa s[6:7], v5, s4 src0_sel:BYTE_0 src1_sel:DWORD
	s_mov_b64 s[4:5], 0
                                        ; implicit-def: $sgpr10
	s_and_saveexec_b64 s[8:9], s[6:7]
	s_xor_b64 s[6:7], exec, s[8:9]
	s_cbranch_execnz .LBB1_3045
; %bb.997:
	s_or_saveexec_b64 s[6:7], s[6:7]
	v_mov_b32_e32 v3, s10
	s_xor_b64 exec, exec, s[6:7]
	s_cbranch_execnz .LBB1_3048
.LBB1_998:
	s_or_b64 exec, exec, s[6:7]
	s_and_saveexec_b64 s[6:7], s[4:5]
	s_cbranch_execz .LBB1_1000
.LBB1_999:
	v_mov_b32_e32 v3, 8
	v_and_b32_e32 v4, 7, v5
	v_lshrrev_b32_sdwa v3, v3, v5 dst_sel:BYTE_1 dst_unused:UNUSED_PAD src0_sel:DWORD src1_sel:DWORD
	v_ffbh_u32_e32 v6, v4
	v_or_b32_sdwa v3, v5, v3 dst_sel:DWORD dst_unused:UNUSED_PAD src0_sel:BYTE_0 src1_sel:DWORD
	v_min_u32_e32 v6, 32, v6
	v_lshrrev_b16_e32 v3, 3, v3
	v_subrev_u32_e32 v7, 28, v6
	v_and_b32_e32 v3, 15, v3
	v_lshlrev_b32_e32 v7, v7, v5
	v_sub_u32_e32 v6, 29, v6
	v_and_b32_e32 v7, 7, v7
	v_cmp_eq_u16_e32 vcc, 0, v3
	v_cndmask_b32_e32 v4, v4, v7, vcc
	v_cndmask_b32_e32 v3, v3, v6, vcc
	v_lshlrev_b32_e32 v6, 24, v5
	v_mov_b32_e32 v7, 0x3b800000
	v_lshlrev_b32_e32 v4, 20, v4
	v_and_b32_e32 v6, 0x80000000, v6
	v_lshl_add_u32 v3, v3, 23, v7
	v_or3_b32 v3, v6, v3, v4
.LBB1_1000:
	s_or_b64 exec, exec, s[6:7]
	s_nop 0
	v_mfma_f32_16x16x4f32 a[0:3], v2, v3, a[0:3]
	v_lshrrev_b32_e32 v3, 8, v9
	s_movk_i32 s4, 0x7f
	v_cmp_gt_i16_sdwa s[6:7], v3, s4 src0_sel:BYTE_0 src1_sel:DWORD
	s_mov_b64 s[4:5], 0
                                        ; implicit-def: $sgpr10
	s_and_saveexec_b64 s[8:9], s[6:7]
	s_xor_b64 s[6:7], exec, s[8:9]
	s_cbranch_execnz .LBB1_3049
; %bb.1001:
	s_or_saveexec_b64 s[6:7], s[6:7]
	v_mov_b32_e32 v2, s10
	s_xor_b64 exec, exec, s[6:7]
	s_cbranch_execnz .LBB1_3052
.LBB1_1002:
	s_or_b64 exec, exec, s[6:7]
	s_and_saveexec_b64 s[6:7], s[4:5]
	s_cbranch_execz .LBB1_1004
.LBB1_1003:
	v_bfe_u32 v2, v9, 8, 3
	v_ffbh_u32_e32 v6, v2
	v_min_u32_e32 v6, 32, v6
	v_lshrrev_b16_e32 v4, 3, v3
	v_subrev_u32_e32 v7, 28, v6
	v_and_b32_e32 v4, 15, v4
	v_lshlrev_b32_e32 v3, v7, v3
	v_sub_u32_e32 v6, 29, v6
	v_and_b32_e32 v3, 7, v3
	v_cmp_eq_u16_e32 vcc, 0, v4
	v_cndmask_b32_e32 v2, v2, v3, vcc
	v_cndmask_b32_e32 v3, v4, v6, vcc
	v_lshlrev_b32_e32 v4, 16, v9
	v_mov_b32_e32 v6, 0x3b800000
	v_lshlrev_b32_e32 v2, 20, v2
	v_and_b32_e32 v4, 0x80000000, v4
	v_lshl_add_u32 v3, v3, 23, v6
	v_or3_b32 v2, v4, v3, v2
.LBB1_1004:
	s_or_b64 exec, exec, s[6:7]
	v_lshrrev_b32_e32 v3, 8, v5
	s_movk_i32 s4, 0x7f
	v_cmp_gt_i16_sdwa s[6:7], v3, s4 src0_sel:BYTE_0 src1_sel:DWORD
	s_mov_b64 s[4:5], 0
                                        ; implicit-def: $sgpr10
	s_and_saveexec_b64 s[8:9], s[6:7]
	s_xor_b64 s[6:7], exec, s[8:9]
	s_cbranch_execnz .LBB1_3053
; %bb.1005:
	s_or_saveexec_b64 s[6:7], s[6:7]
	v_mov_b32_e32 v4, s10
	s_xor_b64 exec, exec, s[6:7]
	s_cbranch_execnz .LBB1_3056
.LBB1_1006:
	s_or_b64 exec, exec, s[6:7]
	s_and_saveexec_b64 s[6:7], s[4:5]
	s_cbranch_execz .LBB1_1008
.LBB1_1007:
	v_bfe_u32 v4, v5, 8, 3
	v_ffbh_u32_e32 v7, v4
	v_min_u32_e32 v7, 32, v7
	v_lshrrev_b16_e32 v6, 3, v3
	v_subrev_u32_e32 v8, 28, v7
	v_and_b32_e32 v6, 15, v6
	v_lshlrev_b32_e32 v3, v8, v3
	v_sub_u32_e32 v7, 29, v7
	v_and_b32_e32 v3, 7, v3
	v_cmp_eq_u16_e32 vcc, 0, v6
	v_cndmask_b32_e32 v3, v4, v3, vcc
	v_cndmask_b32_e32 v4, v6, v7, vcc
	v_lshlrev_b32_e32 v6, 16, v5
	v_mov_b32_e32 v7, 0x3b800000
	v_lshlrev_b32_e32 v3, 20, v3
	v_and_b32_e32 v6, 0x80000000, v6
	v_lshl_add_u32 v4, v4, 23, v7
	v_or3_b32 v4, v6, v4, v3
.LBB1_1008:
	s_or_b64 exec, exec, s[6:7]
	s_nop 0
	v_mfma_f32_16x16x4f32 a[0:3], v2, v4, a[0:3]
	s_movk_i32 s4, 0xff
	v_and_b32_sdwa v3, v9, s4 dst_sel:DWORD dst_unused:UNUSED_PAD src0_sel:WORD_1 src1_sel:DWORD
	s_movk_i32 s4, 0x7f
	v_cmp_lt_i16_e32 vcc, s4, v3
	s_mov_b64 s[4:5], 0
                                        ; implicit-def: $sgpr10
	s_and_saveexec_b64 s[6:7], vcc
	s_xor_b64 s[6:7], exec, s[6:7]
	s_cbranch_execnz .LBB1_3057
; %bb.1009:
	s_or_saveexec_b64 s[6:7], s[6:7]
	v_mov_b32_e32 v2, s10
	s_xor_b64 exec, exec, s[6:7]
	s_cbranch_execnz .LBB1_3060
.LBB1_1010:
	s_or_b64 exec, exec, s[6:7]
	s_and_saveexec_b64 s[6:7], s[4:5]
	s_cbranch_execz .LBB1_1012
.LBB1_1011:
	v_bfe_u32 v2, v9, 16, 3
	v_ffbh_u32_e32 v6, v2
	v_min_u32_e32 v6, 32, v6
	v_lshrrev_b32_e32 v3, 19, v9
	v_subrev_u32_e32 v7, 28, v6
	v_and_b32_e32 v3, 15, v3
	v_lshlrev_b32_sdwa v7, v7, v9 dst_sel:DWORD dst_unused:UNUSED_PAD src0_sel:DWORD src1_sel:WORD_1
	v_bfe_u32 v4, v9, 19, 4
	v_sub_u32_e32 v6, 29, v6
	v_and_b32_e32 v7, 7, v7
	v_cmp_eq_u16_e32 vcc, 0, v3
	v_cndmask_b32_e32 v2, v2, v7, vcc
	v_cndmask_b32_e32 v3, v4, v6, vcc
	v_lshlrev_b32_e32 v4, 8, v9
	v_mov_b32_e32 v6, 0x3b800000
	v_lshlrev_b32_e32 v2, 20, v2
	v_and_b32_e32 v4, 0x80000000, v4
	v_lshl_add_u32 v3, v3, 23, v6
	v_or3_b32 v2, v4, v3, v2
.LBB1_1012:
	s_or_b64 exec, exec, s[6:7]
	s_movk_i32 s4, 0xff
	v_and_b32_sdwa v3, v5, s4 dst_sel:DWORD dst_unused:UNUSED_PAD src0_sel:WORD_1 src1_sel:DWORD
	s_movk_i32 s4, 0x7f
	v_cmp_lt_i16_e32 vcc, s4, v3
	s_mov_b64 s[4:5], 0
                                        ; implicit-def: $sgpr10
	s_and_saveexec_b64 s[6:7], vcc
	s_xor_b64 s[6:7], exec, s[6:7]
	s_cbranch_execnz .LBB1_3061
; %bb.1013:
	s_or_saveexec_b64 s[6:7], s[6:7]
	v_mov_b32_e32 v4, s10
	s_xor_b64 exec, exec, s[6:7]
	s_cbranch_execnz .LBB1_3064
.LBB1_1014:
	s_or_b64 exec, exec, s[6:7]
	s_and_saveexec_b64 s[6:7], s[4:5]
	s_cbranch_execz .LBB1_1016
.LBB1_1015:
	v_bfe_u32 v3, v5, 16, 3
	v_ffbh_u32_e32 v7, v3
	v_min_u32_e32 v7, 32, v7
	v_lshrrev_b32_e32 v4, 19, v5
	v_subrev_u32_e32 v8, 28, v7
	v_and_b32_e32 v4, 15, v4
	v_lshlrev_b32_sdwa v8, v8, v5 dst_sel:DWORD dst_unused:UNUSED_PAD src0_sel:DWORD src1_sel:WORD_1
	v_bfe_u32 v6, v5, 19, 4
	v_sub_u32_e32 v7, 29, v7
	v_and_b32_e32 v8, 7, v8
	v_cmp_eq_u16_e32 vcc, 0, v4
	v_cndmask_b32_e32 v3, v3, v8, vcc
	v_cndmask_b32_e32 v4, v6, v7, vcc
	v_lshlrev_b32_e32 v6, 8, v5
	v_mov_b32_e32 v7, 0x3b800000
	v_lshlrev_b32_e32 v3, 20, v3
	v_and_b32_e32 v6, 0x80000000, v6
	v_lshl_add_u32 v4, v4, 23, v7
	v_or3_b32 v4, v6, v4, v3
.LBB1_1016:
	s_or_b64 exec, exec, s[6:7]
	s_nop 0
	v_mfma_f32_16x16x4f32 a[0:3], v2, v4, a[0:3]
	s_movk_i32 s4, 0x7f
	v_cmp_gt_i16_sdwa s[6:7], v9, s4 src0_sel:BYTE_3 src1_sel:DWORD
	s_mov_b64 s[4:5], 0
                                        ; implicit-def: $sgpr10
	s_and_saveexec_b64 s[8:9], s[6:7]
	s_xor_b64 s[6:7], exec, s[8:9]
	s_cbranch_execnz .LBB1_3065
; %bb.1017:
	s_or_saveexec_b64 s[6:7], s[6:7]
	v_mov_b32_e32 v2, s10
	s_xor_b64 exec, exec, s[6:7]
	s_cbranch_execnz .LBB1_3068
.LBB1_1018:
	s_or_b64 exec, exec, s[6:7]
	s_and_saveexec_b64 s[6:7], s[4:5]
	s_cbranch_execz .LBB1_1020
.LBB1_1019:
	v_bfe_u32 v2, v9, 24, 3
	v_ffbh_u32_e32 v7, v2
	v_min_u32_e32 v7, 32, v7
	v_lshrrev_b32_e32 v4, 27, v9
	v_subrev_u32_e32 v8, 28, v7
	v_and_b32_e32 v4, 15, v4
	v_lshlrev_b32_sdwa v8, v8, v9 dst_sel:DWORD dst_unused:UNUSED_PAD src0_sel:DWORD src1_sel:BYTE_3
	v_bfe_u32 v6, v9, 27, 4
	v_sub_u32_e32 v7, 29, v7
	v_and_b32_e32 v8, 7, v8
	v_cmp_eq_u16_e32 vcc, 0, v4
	v_cndmask_b32_e32 v2, v2, v8, vcc
	v_cndmask_b32_e32 v4, v6, v7, vcc
	v_mov_b32_e32 v6, 0x3b800000
	v_and_b32_e32 v3, 0x80000000, v9
	v_lshlrev_b32_e32 v2, 20, v2
	v_lshl_add_u32 v4, v4, 23, v6
	v_or3_b32 v2, v3, v4, v2
.LBB1_1020:
	s_or_b64 exec, exec, s[6:7]
	s_movk_i32 s4, 0x7f
	v_cmp_gt_i16_sdwa s[6:7], v5, s4 src0_sel:BYTE_3 src1_sel:DWORD
	s_mov_b64 s[4:5], 0
                                        ; implicit-def: $sgpr10
	s_and_saveexec_b64 s[8:9], s[6:7]
	s_xor_b64 s[6:7], exec, s[8:9]
	s_cbranch_execnz .LBB1_3069
; %bb.1021:
	s_or_saveexec_b64 s[6:7], s[6:7]
	v_mov_b32_e32 v3, s10
	s_xor_b64 exec, exec, s[6:7]
	s_cbranch_execnz .LBB1_3072
.LBB1_1022:
	s_or_b64 exec, exec, s[6:7]
	s_and_saveexec_b64 s[6:7], s[4:5]
	s_cbranch_execz .LBB1_1024
.LBB1_1023:
	v_bfe_u32 v3, v5, 24, 3
	v_ffbh_u32_e32 v8, v3
	v_min_u32_e32 v8, 32, v8
	v_lshrrev_b32_e32 v6, 27, v5
	v_subrev_u32_e32 v9, 28, v8
	v_and_b32_e32 v4, 0x80000000, v5
	v_and_b32_e32 v6, 15, v6
	v_bfe_u32 v7, v5, 27, 4
	v_lshlrev_b32_sdwa v5, v9, v5 dst_sel:DWORD dst_unused:UNUSED_PAD src0_sel:DWORD src1_sel:BYTE_3
	v_sub_u32_e32 v8, 29, v8
	v_and_b32_e32 v5, 7, v5
	v_cmp_eq_u16_e32 vcc, 0, v6
	v_cndmask_b32_e32 v3, v3, v5, vcc
	v_cndmask_b32_e32 v5, v7, v8, vcc
	v_mov_b32_e32 v6, 0x3b800000
	v_lshlrev_b32_e32 v3, 20, v3
	v_lshl_add_u32 v5, v5, 23, v6
	v_or3_b32 v3, v4, v5, v3
.LBB1_1024:
	s_or_b64 exec, exec, s[6:7]
	s_nop 0
	v_mfma_f32_16x16x4f32 a[0:3], v2, v3, a[0:3]
	s_movk_i32 s4, 0x7f
                                        ; implicit-def: $sgpr10
	s_nop 7
	s_nop 1
	flat_store_dwordx4 v[18:19], a[0:3] offset:48
	flat_load_dwordx4 v[20:23], v[0:1] offset:16
	s_nop 0
	flat_load_dwordx2 v[18:19], v[0:1] offset:32
	s_waitcnt vmcnt(0) lgkmcnt(0)
	flat_load_dwordx4 v[14:17], v[20:21]
	flat_load_dwordx4 v[6:9], v[20:21] offset:16
	flat_load_dwordx4 v[10:13], v[22:23] offset:128
	;; [unrolled: 1-line block ×3, first 2 shown]
	s_waitcnt vmcnt(0) lgkmcnt(0)
	v_cmp_gt_i16_sdwa s[6:7], v14, s4 src0_sel:BYTE_0 src1_sel:DWORD
	s_mov_b64 s[4:5], 0
	s_and_saveexec_b64 s[8:9], s[6:7]
	s_xor_b64 s[6:7], exec, s[8:9]
	s_cbranch_execnz .LBB1_3073
; %bb.1025:
	s_or_saveexec_b64 s[6:7], s[6:7]
	v_mov_b32_e32 v20, s10
	s_xor_b64 exec, exec, s[6:7]
	s_cbranch_execnz .LBB1_3076
.LBB1_1026:
	s_or_b64 exec, exec, s[6:7]
	s_and_saveexec_b64 s[6:7], s[4:5]
	s_cbranch_execz .LBB1_1028
.LBB1_1027:
	v_and_b32_e32 v20, 7, v14
	v_ffbh_u32_e32 v22, v20
	v_min_u32_e32 v22, 32, v22
	v_lshrrev_b16_e32 v21, 3, v14
	v_subrev_u32_e32 v23, 28, v22
	v_and_b32_e32 v21, 15, v21
	v_lshlrev_b32_e32 v23, v23, v14
	v_sub_u32_e32 v22, 29, v22
	v_and_b32_e32 v23, 7, v23
	v_cmp_eq_u16_e32 vcc, 0, v21
	v_cndmask_b32_e32 v20, v20, v23, vcc
	v_cndmask_b32_e32 v21, v21, v22, vcc
	v_lshlrev_b32_e32 v22, 24, v14
	v_mov_b32_e32 v23, 0x3b800000
	v_lshlrev_b32_e32 v20, 20, v20
	v_and_b32_e32 v22, 0x80000000, v22
	v_lshl_add_u32 v21, v21, 23, v23
	v_or3_b32 v20, v22, v21, v20
.LBB1_1028:
	s_or_b64 exec, exec, s[6:7]
	s_movk_i32 s4, 0x7f
	v_cmp_gt_i16_sdwa s[6:7], v10, s4 src0_sel:BYTE_0 src1_sel:DWORD
	s_mov_b64 s[4:5], 0
                                        ; implicit-def: $sgpr10
	s_and_saveexec_b64 s[8:9], s[6:7]
	s_xor_b64 s[6:7], exec, s[8:9]
	s_cbranch_execnz .LBB1_3077
; %bb.1029:
	s_or_saveexec_b64 s[6:7], s[6:7]
	v_mov_b32_e32 v21, s10
	s_xor_b64 exec, exec, s[6:7]
	s_cbranch_execnz .LBB1_3080
.LBB1_1030:
	s_or_b64 exec, exec, s[6:7]
	s_and_saveexec_b64 s[6:7], s[4:5]
	s_cbranch_execz .LBB1_1032
.LBB1_1031:
	v_and_b32_e32 v21, 7, v10
	v_ffbh_u32_e32 v23, v21
	v_min_u32_e32 v23, 32, v23
	v_lshrrev_b16_e32 v22, 3, v10
	v_subrev_u32_e32 v24, 28, v23
	v_and_b32_e32 v22, 15, v22
	v_lshlrev_b32_e32 v24, v24, v10
	v_sub_u32_e32 v23, 29, v23
	v_and_b32_e32 v24, 7, v24
	v_cmp_eq_u16_e32 vcc, 0, v22
	v_cndmask_b32_e32 v21, v21, v24, vcc
	v_cndmask_b32_e32 v22, v22, v23, vcc
	v_lshlrev_b32_e32 v23, 24, v10
	v_mov_b32_e32 v24, 0x3b800000
	v_lshlrev_b32_e32 v21, 20, v21
	v_and_b32_e32 v23, 0x80000000, v23
	v_lshl_add_u32 v22, v22, 23, v24
	v_or3_b32 v21, v23, v22, v21
.LBB1_1032:
	s_or_b64 exec, exec, s[6:7]
	flat_load_dwordx4 a[0:3], v[18:19] offset:64
	s_movk_i32 s4, 0x7f
                                        ; implicit-def: $sgpr10
	s_waitcnt vmcnt(0) lgkmcnt(0)
	v_mfma_f32_16x16x4f32 a[0:3], v20, v21, a[0:3]
	v_lshrrev_b32_e32 v21, 8, v14
	v_cmp_gt_i16_sdwa s[6:7], v21, s4 src0_sel:BYTE_0 src1_sel:DWORD
	s_mov_b64 s[4:5], 0
	s_and_saveexec_b64 s[8:9], s[6:7]
	s_xor_b64 s[6:7], exec, s[8:9]
	s_cbranch_execnz .LBB1_3081
; %bb.1033:
	s_or_saveexec_b64 s[6:7], s[6:7]
	v_mov_b32_e32 v20, s10
	s_xor_b64 exec, exec, s[6:7]
	s_cbranch_execnz .LBB1_3084
.LBB1_1034:
	s_or_b64 exec, exec, s[6:7]
	s_and_saveexec_b64 s[6:7], s[4:5]
	s_cbranch_execz .LBB1_1036
.LBB1_1035:
	v_bfe_u32 v20, v14, 8, 3
	v_ffbh_u32_e32 v23, v20
	v_min_u32_e32 v23, 32, v23
	v_lshrrev_b16_e32 v22, 3, v21
	v_subrev_u32_e32 v24, 28, v23
	v_and_b32_e32 v22, 15, v22
	v_lshlrev_b32_e32 v21, v24, v21
	v_sub_u32_e32 v23, 29, v23
	v_and_b32_e32 v21, 7, v21
	v_cmp_eq_u16_e32 vcc, 0, v22
	v_cndmask_b32_e32 v20, v20, v21, vcc
	v_cndmask_b32_e32 v21, v22, v23, vcc
	v_lshlrev_b32_e32 v22, 16, v14
	v_mov_b32_e32 v23, 0x3b800000
	v_lshlrev_b32_e32 v20, 20, v20
	v_and_b32_e32 v22, 0x80000000, v22
	v_lshl_add_u32 v21, v21, 23, v23
	v_or3_b32 v20, v22, v21, v20
.LBB1_1036:
	s_or_b64 exec, exec, s[6:7]
	v_lshrrev_b32_e32 v21, 8, v10
	s_movk_i32 s4, 0x7f
	v_cmp_gt_i16_sdwa s[6:7], v21, s4 src0_sel:BYTE_0 src1_sel:DWORD
	s_mov_b64 s[4:5], 0
                                        ; implicit-def: $sgpr10
	s_and_saveexec_b64 s[8:9], s[6:7]
	s_xor_b64 s[6:7], exec, s[8:9]
	s_cbranch_execnz .LBB1_3085
; %bb.1037:
	s_or_saveexec_b64 s[6:7], s[6:7]
	v_mov_b32_e32 v22, s10
	s_xor_b64 exec, exec, s[6:7]
	s_cbranch_execnz .LBB1_3088
.LBB1_1038:
	s_or_b64 exec, exec, s[6:7]
	s_and_saveexec_b64 s[6:7], s[4:5]
	s_cbranch_execz .LBB1_1040
.LBB1_1039:
	v_bfe_u32 v22, v10, 8, 3
	v_ffbh_u32_e32 v24, v22
	v_min_u32_e32 v24, 32, v24
	v_lshrrev_b16_e32 v23, 3, v21
	v_subrev_u32_e32 v25, 28, v24
	v_and_b32_e32 v23, 15, v23
	v_lshlrev_b32_e32 v21, v25, v21
	v_sub_u32_e32 v24, 29, v24
	v_and_b32_e32 v21, 7, v21
	v_cmp_eq_u16_e32 vcc, 0, v23
	v_cndmask_b32_e32 v21, v22, v21, vcc
	v_cndmask_b32_e32 v22, v23, v24, vcc
	v_lshlrev_b32_e32 v23, 16, v10
	v_mov_b32_e32 v24, 0x3b800000
	v_lshlrev_b32_e32 v21, 20, v21
	v_and_b32_e32 v23, 0x80000000, v23
	v_lshl_add_u32 v22, v22, 23, v24
	v_or3_b32 v22, v23, v22, v21
.LBB1_1040:
	s_or_b64 exec, exec, s[6:7]
	s_nop 0
	v_mfma_f32_16x16x4f32 a[0:3], v20, v22, a[0:3]
	s_movk_i32 s4, 0xff
	v_and_b32_sdwa v21, v14, s4 dst_sel:DWORD dst_unused:UNUSED_PAD src0_sel:WORD_1 src1_sel:DWORD
	s_movk_i32 s4, 0x7f
	v_cmp_lt_i16_e32 vcc, s4, v21
	s_mov_b64 s[4:5], 0
                                        ; implicit-def: $sgpr10
	s_and_saveexec_b64 s[6:7], vcc
	s_xor_b64 s[6:7], exec, s[6:7]
	s_cbranch_execnz .LBB1_3089
; %bb.1041:
	s_or_saveexec_b64 s[6:7], s[6:7]
	v_mov_b32_e32 v20, s10
	s_xor_b64 exec, exec, s[6:7]
	s_cbranch_execnz .LBB1_3092
.LBB1_1042:
	s_or_b64 exec, exec, s[6:7]
	s_and_saveexec_b64 s[6:7], s[4:5]
	s_cbranch_execz .LBB1_1044
.LBB1_1043:
	v_bfe_u32 v20, v14, 16, 3
	v_ffbh_u32_e32 v23, v20
	v_min_u32_e32 v23, 32, v23
	v_lshrrev_b32_e32 v21, 19, v14
	v_subrev_u32_e32 v24, 28, v23
	v_and_b32_e32 v21, 15, v21
	v_lshlrev_b32_sdwa v24, v24, v14 dst_sel:DWORD dst_unused:UNUSED_PAD src0_sel:DWORD src1_sel:WORD_1
	v_bfe_u32 v22, v14, 19, 4
	v_sub_u32_e32 v23, 29, v23
	v_and_b32_e32 v24, 7, v24
	v_cmp_eq_u16_e32 vcc, 0, v21
	v_cndmask_b32_e32 v20, v20, v24, vcc
	v_cndmask_b32_e32 v21, v22, v23, vcc
	v_lshlrev_b32_e32 v22, 8, v14
	v_mov_b32_e32 v23, 0x3b800000
	v_lshlrev_b32_e32 v20, 20, v20
	v_and_b32_e32 v22, 0x80000000, v22
	v_lshl_add_u32 v21, v21, 23, v23
	v_or3_b32 v20, v22, v21, v20
.LBB1_1044:
	s_or_b64 exec, exec, s[6:7]
	s_movk_i32 s4, 0xff
	v_and_b32_sdwa v21, v10, s4 dst_sel:DWORD dst_unused:UNUSED_PAD src0_sel:WORD_1 src1_sel:DWORD
	s_movk_i32 s4, 0x7f
	v_cmp_lt_i16_e32 vcc, s4, v21
	s_mov_b64 s[4:5], 0
                                        ; implicit-def: $sgpr10
	s_and_saveexec_b64 s[6:7], vcc
	s_xor_b64 s[6:7], exec, s[6:7]
	s_cbranch_execnz .LBB1_3093
; %bb.1045:
	s_or_saveexec_b64 s[6:7], s[6:7]
	v_mov_b32_e32 v22, s10
	s_xor_b64 exec, exec, s[6:7]
	s_cbranch_execnz .LBB1_3096
.LBB1_1046:
	s_or_b64 exec, exec, s[6:7]
	s_and_saveexec_b64 s[6:7], s[4:5]
	s_cbranch_execz .LBB1_1048
.LBB1_1047:
	v_bfe_u32 v21, v10, 16, 3
	v_ffbh_u32_e32 v24, v21
	v_min_u32_e32 v24, 32, v24
	v_lshrrev_b32_e32 v22, 19, v10
	v_subrev_u32_e32 v25, 28, v24
	v_and_b32_e32 v22, 15, v22
	v_lshlrev_b32_sdwa v25, v25, v10 dst_sel:DWORD dst_unused:UNUSED_PAD src0_sel:DWORD src1_sel:WORD_1
	v_bfe_u32 v23, v10, 19, 4
	v_sub_u32_e32 v24, 29, v24
	v_and_b32_e32 v25, 7, v25
	v_cmp_eq_u16_e32 vcc, 0, v22
	v_cndmask_b32_e32 v21, v21, v25, vcc
	v_cndmask_b32_e32 v22, v23, v24, vcc
	v_lshlrev_b32_e32 v23, 8, v10
	v_mov_b32_e32 v24, 0x3b800000
	v_lshlrev_b32_e32 v21, 20, v21
	v_and_b32_e32 v23, 0x80000000, v23
	v_lshl_add_u32 v22, v22, 23, v24
	v_or3_b32 v22, v23, v22, v21
.LBB1_1048:
	s_or_b64 exec, exec, s[6:7]
	s_nop 0
	v_mfma_f32_16x16x4f32 a[0:3], v20, v22, a[0:3]
	s_movk_i32 s4, 0x7f
	v_cmp_gt_i16_sdwa s[6:7], v14, s4 src0_sel:BYTE_3 src1_sel:DWORD
	s_mov_b64 s[4:5], 0
                                        ; implicit-def: $sgpr10
	s_and_saveexec_b64 s[8:9], s[6:7]
	s_xor_b64 s[6:7], exec, s[8:9]
	s_cbranch_execnz .LBB1_3097
; %bb.1049:
	s_or_saveexec_b64 s[6:7], s[6:7]
	v_mov_b32_e32 v20, s10
	s_xor_b64 exec, exec, s[6:7]
	s_cbranch_execnz .LBB1_3100
.LBB1_1050:
	s_or_b64 exec, exec, s[6:7]
	s_and_saveexec_b64 s[6:7], s[4:5]
	s_cbranch_execz .LBB1_1052
.LBB1_1051:
	v_bfe_u32 v20, v14, 24, 3
	v_ffbh_u32_e32 v24, v20
	v_min_u32_e32 v24, 32, v24
	v_lshrrev_b32_e32 v22, 27, v14
	v_subrev_u32_e32 v25, 28, v24
	v_and_b32_e32 v21, 0x80000000, v14
	v_and_b32_e32 v22, 15, v22
	v_bfe_u32 v23, v14, 27, 4
	v_lshlrev_b32_sdwa v14, v25, v14 dst_sel:DWORD dst_unused:UNUSED_PAD src0_sel:DWORD src1_sel:BYTE_3
	v_sub_u32_e32 v24, 29, v24
	v_and_b32_e32 v14, 7, v14
	v_cmp_eq_u16_e32 vcc, 0, v22
	v_cndmask_b32_e32 v14, v20, v14, vcc
	v_cndmask_b32_e32 v20, v23, v24, vcc
	v_mov_b32_e32 v22, 0x3b800000
	v_lshlrev_b32_e32 v14, 20, v14
	v_lshl_add_u32 v20, v20, 23, v22
	v_or3_b32 v20, v21, v20, v14
.LBB1_1052:
	s_or_b64 exec, exec, s[6:7]
	s_movk_i32 s4, 0x7f
	v_cmp_gt_i16_sdwa s[6:7], v10, s4 src0_sel:BYTE_3 src1_sel:DWORD
	s_mov_b64 s[4:5], 0
                                        ; implicit-def: $sgpr10
	s_and_saveexec_b64 s[8:9], s[6:7]
	s_xor_b64 s[6:7], exec, s[8:9]
	s_cbranch_execnz .LBB1_3101
; %bb.1053:
	s_or_saveexec_b64 s[6:7], s[6:7]
	v_mov_b32_e32 v14, s10
	s_xor_b64 exec, exec, s[6:7]
	s_cbranch_execnz .LBB1_3104
.LBB1_1054:
	s_or_b64 exec, exec, s[6:7]
	s_and_saveexec_b64 s[6:7], s[4:5]
	s_cbranch_execz .LBB1_1056
.LBB1_1055:
	v_bfe_u32 v14, v10, 24, 3
	v_ffbh_u32_e32 v24, v14
	v_min_u32_e32 v24, 32, v24
	v_lshrrev_b32_e32 v22, 27, v10
	v_subrev_u32_e32 v25, 28, v24
	v_and_b32_e32 v21, 0x80000000, v10
	v_and_b32_e32 v22, 15, v22
	v_bfe_u32 v23, v10, 27, 4
	v_lshlrev_b32_sdwa v10, v25, v10 dst_sel:DWORD dst_unused:UNUSED_PAD src0_sel:DWORD src1_sel:BYTE_3
	v_sub_u32_e32 v24, 29, v24
	v_and_b32_e32 v10, 7, v10
	v_cmp_eq_u16_e32 vcc, 0, v22
	v_cndmask_b32_e32 v10, v14, v10, vcc
	v_cndmask_b32_e32 v14, v23, v24, vcc
	v_mov_b32_e32 v22, 0x3b800000
	v_lshlrev_b32_e32 v10, 20, v10
	v_lshl_add_u32 v14, v14, 23, v22
	v_or3_b32 v14, v21, v14, v10
.LBB1_1056:
	s_or_b64 exec, exec, s[6:7]
	s_nop 0
	v_mfma_f32_16x16x4f32 a[0:3], v20, v14, a[0:3]
	s_movk_i32 s4, 0x7f
	v_cmp_gt_i16_sdwa s[6:7], v15, s4 src0_sel:BYTE_0 src1_sel:DWORD
	s_mov_b64 s[4:5], 0
                                        ; implicit-def: $sgpr10
	s_and_saveexec_b64 s[8:9], s[6:7]
	s_xor_b64 s[6:7], exec, s[8:9]
	s_cbranch_execnz .LBB1_3105
; %bb.1057:
	s_or_saveexec_b64 s[6:7], s[6:7]
	v_mov_b32_e32 v10, s10
	s_xor_b64 exec, exec, s[6:7]
	s_cbranch_execnz .LBB1_3108
.LBB1_1058:
	s_or_b64 exec, exec, s[6:7]
	s_and_saveexec_b64 s[6:7], s[4:5]
	s_cbranch_execz .LBB1_1060
.LBB1_1059:
	v_and_b32_e32 v10, 7, v15
	v_ffbh_u32_e32 v20, v10
	v_min_u32_e32 v20, 32, v20
	v_lshrrev_b16_e32 v14, 3, v15
	v_subrev_u32_e32 v21, 28, v20
	v_and_b32_e32 v14, 15, v14
	v_lshlrev_b32_e32 v21, v21, v15
	v_sub_u32_e32 v20, 29, v20
	v_and_b32_e32 v21, 7, v21
	v_cmp_eq_u16_e32 vcc, 0, v14
	v_cndmask_b32_e32 v10, v10, v21, vcc
	v_cndmask_b32_e32 v14, v14, v20, vcc
	v_lshlrev_b32_e32 v20, 24, v15
	v_mov_b32_e32 v21, 0x3b800000
	v_lshlrev_b32_e32 v10, 20, v10
	v_and_b32_e32 v20, 0x80000000, v20
	v_lshl_add_u32 v14, v14, 23, v21
	v_or3_b32 v10, v20, v14, v10
.LBB1_1060:
	s_or_b64 exec, exec, s[6:7]
	s_movk_i32 s4, 0x7f
	v_cmp_gt_i16_sdwa s[6:7], v11, s4 src0_sel:BYTE_0 src1_sel:DWORD
	s_mov_b64 s[4:5], 0
                                        ; implicit-def: $sgpr10
	s_and_saveexec_b64 s[8:9], s[6:7]
	s_xor_b64 s[6:7], exec, s[8:9]
	s_cbranch_execnz .LBB1_3109
; %bb.1061:
	s_or_saveexec_b64 s[6:7], s[6:7]
	v_mov_b32_e32 v14, s10
	s_xor_b64 exec, exec, s[6:7]
	s_cbranch_execnz .LBB1_3112
.LBB1_1062:
	s_or_b64 exec, exec, s[6:7]
	s_and_saveexec_b64 s[6:7], s[4:5]
	s_cbranch_execz .LBB1_1064
.LBB1_1063:
	v_and_b32_e32 v14, 7, v11
	v_ffbh_u32_e32 v21, v14
	v_min_u32_e32 v21, 32, v21
	v_lshrrev_b16_e32 v20, 3, v11
	v_subrev_u32_e32 v22, 28, v21
	v_and_b32_e32 v20, 15, v20
	v_lshlrev_b32_e32 v22, v22, v11
	v_sub_u32_e32 v21, 29, v21
	v_and_b32_e32 v22, 7, v22
	v_cmp_eq_u16_e32 vcc, 0, v20
	v_cndmask_b32_e32 v14, v14, v22, vcc
	v_cndmask_b32_e32 v20, v20, v21, vcc
	v_lshlrev_b32_e32 v21, 24, v11
	v_mov_b32_e32 v22, 0x3b800000
	v_lshlrev_b32_e32 v14, 20, v14
	v_and_b32_e32 v21, 0x80000000, v21
	v_lshl_add_u32 v20, v20, 23, v22
	v_or3_b32 v14, v21, v20, v14
.LBB1_1064:
	s_or_b64 exec, exec, s[6:7]
	s_nop 0
	v_mfma_f32_16x16x4f32 a[0:3], v10, v14, a[0:3]
	v_lshrrev_b32_e32 v14, 8, v15
	s_movk_i32 s4, 0x7f
	v_cmp_gt_i16_sdwa s[6:7], v14, s4 src0_sel:BYTE_0 src1_sel:DWORD
	s_mov_b64 s[4:5], 0
                                        ; implicit-def: $sgpr10
	s_and_saveexec_b64 s[8:9], s[6:7]
	s_xor_b64 s[6:7], exec, s[8:9]
	s_cbranch_execnz .LBB1_3113
; %bb.1065:
	s_or_saveexec_b64 s[6:7], s[6:7]
	v_mov_b32_e32 v10, s10
	s_xor_b64 exec, exec, s[6:7]
	s_cbranch_execnz .LBB1_3116
.LBB1_1066:
	s_or_b64 exec, exec, s[6:7]
	s_and_saveexec_b64 s[6:7], s[4:5]
	s_cbranch_execz .LBB1_1068
.LBB1_1067:
	v_bfe_u32 v10, v15, 8, 3
	v_ffbh_u32_e32 v21, v10
	v_min_u32_e32 v21, 32, v21
	v_lshrrev_b16_e32 v20, 3, v14
	v_subrev_u32_e32 v22, 28, v21
	v_and_b32_e32 v20, 15, v20
	v_lshlrev_b32_e32 v14, v22, v14
	v_sub_u32_e32 v21, 29, v21
	v_and_b32_e32 v14, 7, v14
	v_cmp_eq_u16_e32 vcc, 0, v20
	v_cndmask_b32_e32 v10, v10, v14, vcc
	v_cndmask_b32_e32 v14, v20, v21, vcc
	v_lshlrev_b32_e32 v20, 16, v15
	v_mov_b32_e32 v21, 0x3b800000
	v_lshlrev_b32_e32 v10, 20, v10
	v_and_b32_e32 v20, 0x80000000, v20
	v_lshl_add_u32 v14, v14, 23, v21
	v_or3_b32 v10, v20, v14, v10
.LBB1_1068:
	s_or_b64 exec, exec, s[6:7]
	v_lshrrev_b32_e32 v14, 8, v11
	s_movk_i32 s4, 0x7f
	v_cmp_gt_i16_sdwa s[6:7], v14, s4 src0_sel:BYTE_0 src1_sel:DWORD
	s_mov_b64 s[4:5], 0
                                        ; implicit-def: $sgpr10
	s_and_saveexec_b64 s[8:9], s[6:7]
	s_xor_b64 s[6:7], exec, s[8:9]
	s_cbranch_execnz .LBB1_3117
; %bb.1069:
	s_or_saveexec_b64 s[6:7], s[6:7]
	v_mov_b32_e32 v20, s10
	s_xor_b64 exec, exec, s[6:7]
	s_cbranch_execnz .LBB1_3120
.LBB1_1070:
	s_or_b64 exec, exec, s[6:7]
	s_and_saveexec_b64 s[6:7], s[4:5]
	s_cbranch_execz .LBB1_1072
.LBB1_1071:
	v_bfe_u32 v20, v11, 8, 3
	v_ffbh_u32_e32 v22, v20
	v_min_u32_e32 v22, 32, v22
	v_lshrrev_b16_e32 v21, 3, v14
	v_subrev_u32_e32 v23, 28, v22
	v_and_b32_e32 v21, 15, v21
	v_lshlrev_b32_e32 v14, v23, v14
	v_sub_u32_e32 v22, 29, v22
	v_and_b32_e32 v14, 7, v14
	v_cmp_eq_u16_e32 vcc, 0, v21
	v_cndmask_b32_e32 v14, v20, v14, vcc
	v_cndmask_b32_e32 v20, v21, v22, vcc
	v_lshlrev_b32_e32 v21, 16, v11
	v_mov_b32_e32 v22, 0x3b800000
	v_lshlrev_b32_e32 v14, 20, v14
	v_and_b32_e32 v21, 0x80000000, v21
	v_lshl_add_u32 v20, v20, 23, v22
	v_or3_b32 v20, v21, v20, v14
.LBB1_1072:
	s_or_b64 exec, exec, s[6:7]
	s_nop 0
	v_mfma_f32_16x16x4f32 a[0:3], v10, v20, a[0:3]
	s_movk_i32 s4, 0xff
	v_and_b32_sdwa v14, v15, s4 dst_sel:DWORD dst_unused:UNUSED_PAD src0_sel:WORD_1 src1_sel:DWORD
	s_movk_i32 s4, 0x7f
	v_cmp_lt_i16_e32 vcc, s4, v14
	s_mov_b64 s[4:5], 0
                                        ; implicit-def: $sgpr10
	s_and_saveexec_b64 s[6:7], vcc
	s_xor_b64 s[6:7], exec, s[6:7]
	s_cbranch_execnz .LBB1_3121
; %bb.1073:
	s_or_saveexec_b64 s[6:7], s[6:7]
	v_mov_b32_e32 v10, s10
	s_xor_b64 exec, exec, s[6:7]
	s_cbranch_execnz .LBB1_3124
.LBB1_1074:
	s_or_b64 exec, exec, s[6:7]
	s_and_saveexec_b64 s[6:7], s[4:5]
	s_cbranch_execz .LBB1_1076
.LBB1_1075:
	v_bfe_u32 v10, v15, 16, 3
	v_ffbh_u32_e32 v21, v10
	v_min_u32_e32 v21, 32, v21
	v_lshrrev_b32_e32 v14, 19, v15
	v_subrev_u32_e32 v22, 28, v21
	v_and_b32_e32 v14, 15, v14
	v_lshlrev_b32_sdwa v22, v22, v15 dst_sel:DWORD dst_unused:UNUSED_PAD src0_sel:DWORD src1_sel:WORD_1
	v_bfe_u32 v20, v15, 19, 4
	v_sub_u32_e32 v21, 29, v21
	v_and_b32_e32 v22, 7, v22
	v_cmp_eq_u16_e32 vcc, 0, v14
	v_cndmask_b32_e32 v10, v10, v22, vcc
	v_cndmask_b32_e32 v14, v20, v21, vcc
	v_lshlrev_b32_e32 v20, 8, v15
	v_mov_b32_e32 v21, 0x3b800000
	v_lshlrev_b32_e32 v10, 20, v10
	v_and_b32_e32 v20, 0x80000000, v20
	v_lshl_add_u32 v14, v14, 23, v21
	v_or3_b32 v10, v20, v14, v10
.LBB1_1076:
	s_or_b64 exec, exec, s[6:7]
	s_movk_i32 s4, 0xff
	v_and_b32_sdwa v14, v11, s4 dst_sel:DWORD dst_unused:UNUSED_PAD src0_sel:WORD_1 src1_sel:DWORD
	s_movk_i32 s4, 0x7f
	v_cmp_lt_i16_e32 vcc, s4, v14
	s_mov_b64 s[4:5], 0
                                        ; implicit-def: $sgpr10
	s_and_saveexec_b64 s[6:7], vcc
	s_xor_b64 s[6:7], exec, s[6:7]
	s_cbranch_execnz .LBB1_3125
; %bb.1077:
	s_or_saveexec_b64 s[6:7], s[6:7]
	v_mov_b32_e32 v20, s10
	s_xor_b64 exec, exec, s[6:7]
	s_cbranch_execnz .LBB1_3128
.LBB1_1078:
	s_or_b64 exec, exec, s[6:7]
	s_and_saveexec_b64 s[6:7], s[4:5]
	s_cbranch_execz .LBB1_1080
.LBB1_1079:
	v_bfe_u32 v14, v11, 16, 3
	v_ffbh_u32_e32 v22, v14
	v_min_u32_e32 v22, 32, v22
	v_lshrrev_b32_e32 v20, 19, v11
	v_subrev_u32_e32 v23, 28, v22
	v_and_b32_e32 v20, 15, v20
	v_lshlrev_b32_sdwa v23, v23, v11 dst_sel:DWORD dst_unused:UNUSED_PAD src0_sel:DWORD src1_sel:WORD_1
	v_bfe_u32 v21, v11, 19, 4
	v_sub_u32_e32 v22, 29, v22
	v_and_b32_e32 v23, 7, v23
	v_cmp_eq_u16_e32 vcc, 0, v20
	v_cndmask_b32_e32 v14, v14, v23, vcc
	v_cndmask_b32_e32 v20, v21, v22, vcc
	v_lshlrev_b32_e32 v21, 8, v11
	v_mov_b32_e32 v22, 0x3b800000
	v_lshlrev_b32_e32 v14, 20, v14
	v_and_b32_e32 v21, 0x80000000, v21
	v_lshl_add_u32 v20, v20, 23, v22
	v_or3_b32 v20, v21, v20, v14
.LBB1_1080:
	s_or_b64 exec, exec, s[6:7]
	s_nop 0
	v_mfma_f32_16x16x4f32 a[0:3], v10, v20, a[0:3]
	s_movk_i32 s4, 0x7f
	v_cmp_gt_i16_sdwa s[6:7], v15, s4 src0_sel:BYTE_3 src1_sel:DWORD
	s_mov_b64 s[4:5], 0
                                        ; implicit-def: $sgpr10
	s_and_saveexec_b64 s[8:9], s[6:7]
	s_xor_b64 s[6:7], exec, s[8:9]
	s_cbranch_execnz .LBB1_3129
; %bb.1081:
	s_or_saveexec_b64 s[6:7], s[6:7]
	v_mov_b32_e32 v10, s10
	s_xor_b64 exec, exec, s[6:7]
	s_cbranch_execnz .LBB1_3132
.LBB1_1082:
	s_or_b64 exec, exec, s[6:7]
	s_and_saveexec_b64 s[6:7], s[4:5]
	s_cbranch_execz .LBB1_1084
.LBB1_1083:
	v_bfe_u32 v10, v15, 24, 3
	v_ffbh_u32_e32 v22, v10
	v_min_u32_e32 v22, 32, v22
	v_lshrrev_b32_e32 v20, 27, v15
	v_subrev_u32_e32 v23, 28, v22
	v_and_b32_e32 v14, 0x80000000, v15
	v_and_b32_e32 v20, 15, v20
	v_bfe_u32 v21, v15, 27, 4
	v_lshlrev_b32_sdwa v15, v23, v15 dst_sel:DWORD dst_unused:UNUSED_PAD src0_sel:DWORD src1_sel:BYTE_3
	v_sub_u32_e32 v22, 29, v22
	v_and_b32_e32 v15, 7, v15
	v_cmp_eq_u16_e32 vcc, 0, v20
	v_cndmask_b32_e32 v10, v10, v15, vcc
	v_cndmask_b32_e32 v15, v21, v22, vcc
	v_mov_b32_e32 v20, 0x3b800000
	v_lshlrev_b32_e32 v10, 20, v10
	v_lshl_add_u32 v15, v15, 23, v20
	v_or3_b32 v10, v14, v15, v10
.LBB1_1084:
	s_or_b64 exec, exec, s[6:7]
	s_movk_i32 s4, 0x7f
	v_cmp_gt_i16_sdwa s[6:7], v11, s4 src0_sel:BYTE_3 src1_sel:DWORD
	s_mov_b64 s[4:5], 0
                                        ; implicit-def: $sgpr10
	s_and_saveexec_b64 s[8:9], s[6:7]
	s_xor_b64 s[6:7], exec, s[8:9]
	s_cbranch_execnz .LBB1_3133
; %bb.1085:
	s_or_saveexec_b64 s[6:7], s[6:7]
	v_mov_b32_e32 v14, s10
	s_xor_b64 exec, exec, s[6:7]
	s_cbranch_execnz .LBB1_3136
.LBB1_1086:
	s_or_b64 exec, exec, s[6:7]
	s_and_saveexec_b64 s[6:7], s[4:5]
	s_cbranch_execz .LBB1_1088
.LBB1_1087:
	v_bfe_u32 v14, v11, 24, 3
	v_ffbh_u32_e32 v22, v14
	v_min_u32_e32 v22, 32, v22
	v_lshrrev_b32_e32 v20, 27, v11
	v_subrev_u32_e32 v23, 28, v22
	v_and_b32_e32 v15, 0x80000000, v11
	v_and_b32_e32 v20, 15, v20
	v_bfe_u32 v21, v11, 27, 4
	v_lshlrev_b32_sdwa v11, v23, v11 dst_sel:DWORD dst_unused:UNUSED_PAD src0_sel:DWORD src1_sel:BYTE_3
	v_sub_u32_e32 v22, 29, v22
	v_and_b32_e32 v11, 7, v11
	v_cmp_eq_u16_e32 vcc, 0, v20
	v_cndmask_b32_e32 v11, v14, v11, vcc
	v_cndmask_b32_e32 v14, v21, v22, vcc
	v_mov_b32_e32 v20, 0x3b800000
	v_lshlrev_b32_e32 v11, 20, v11
	v_lshl_add_u32 v14, v14, 23, v20
	v_or3_b32 v14, v15, v14, v11
.LBB1_1088:
	s_or_b64 exec, exec, s[6:7]
	s_nop 0
	v_mfma_f32_16x16x4f32 a[0:3], v10, v14, a[0:3]
	s_movk_i32 s4, 0x7f
	v_cmp_gt_i16_sdwa s[6:7], v16, s4 src0_sel:BYTE_0 src1_sel:DWORD
	s_mov_b64 s[4:5], 0
                                        ; implicit-def: $sgpr10
	s_and_saveexec_b64 s[8:9], s[6:7]
	s_xor_b64 s[6:7], exec, s[8:9]
	s_cbranch_execnz .LBB1_3137
; %bb.1089:
	s_or_saveexec_b64 s[6:7], s[6:7]
	v_mov_b32_e32 v10, s10
	s_xor_b64 exec, exec, s[6:7]
	s_cbranch_execnz .LBB1_3140
.LBB1_1090:
	s_or_b64 exec, exec, s[6:7]
	s_and_saveexec_b64 s[6:7], s[4:5]
	s_cbranch_execz .LBB1_1092
.LBB1_1091:
	v_and_b32_e32 v10, 7, v16
	v_ffbh_u32_e32 v14, v10
	v_min_u32_e32 v14, 32, v14
	v_lshrrev_b16_e32 v11, 3, v16
	v_subrev_u32_e32 v15, 28, v14
	v_and_b32_e32 v11, 15, v11
	v_lshlrev_b32_e32 v15, v15, v16
	v_sub_u32_e32 v14, 29, v14
	v_and_b32_e32 v15, 7, v15
	v_cmp_eq_u16_e32 vcc, 0, v11
	v_cndmask_b32_e32 v10, v10, v15, vcc
	v_cndmask_b32_e32 v11, v11, v14, vcc
	v_lshlrev_b32_e32 v14, 24, v16
	v_mov_b32_e32 v15, 0x3b800000
	v_lshlrev_b32_e32 v10, 20, v10
	v_and_b32_e32 v14, 0x80000000, v14
	v_lshl_add_u32 v11, v11, 23, v15
	v_or3_b32 v10, v14, v11, v10
.LBB1_1092:
	s_or_b64 exec, exec, s[6:7]
	s_movk_i32 s4, 0x7f
	v_cmp_gt_i16_sdwa s[6:7], v12, s4 src0_sel:BYTE_0 src1_sel:DWORD
	s_mov_b64 s[4:5], 0
                                        ; implicit-def: $sgpr10
	s_and_saveexec_b64 s[8:9], s[6:7]
	s_xor_b64 s[6:7], exec, s[8:9]
	s_cbranch_execnz .LBB1_3141
; %bb.1093:
	s_or_saveexec_b64 s[6:7], s[6:7]
	v_mov_b32_e32 v11, s10
	s_xor_b64 exec, exec, s[6:7]
	s_cbranch_execnz .LBB1_3144
.LBB1_1094:
	s_or_b64 exec, exec, s[6:7]
	s_and_saveexec_b64 s[6:7], s[4:5]
	s_cbranch_execz .LBB1_1096
.LBB1_1095:
	v_and_b32_e32 v11, 7, v12
	v_ffbh_u32_e32 v15, v11
	v_min_u32_e32 v15, 32, v15
	v_lshrrev_b16_e32 v14, 3, v12
	v_subrev_u32_e32 v20, 28, v15
	v_and_b32_e32 v14, 15, v14
	v_lshlrev_b32_e32 v20, v20, v12
	v_sub_u32_e32 v15, 29, v15
	v_and_b32_e32 v20, 7, v20
	v_cmp_eq_u16_e32 vcc, 0, v14
	v_cndmask_b32_e32 v11, v11, v20, vcc
	v_cndmask_b32_e32 v14, v14, v15, vcc
	v_lshlrev_b32_e32 v15, 24, v12
	v_mov_b32_e32 v20, 0x3b800000
	v_lshlrev_b32_e32 v11, 20, v11
	v_and_b32_e32 v15, 0x80000000, v15
	v_lshl_add_u32 v14, v14, 23, v20
	v_or3_b32 v11, v15, v14, v11
.LBB1_1096:
	s_or_b64 exec, exec, s[6:7]
	s_nop 0
	v_mfma_f32_16x16x4f32 a[0:3], v10, v11, a[0:3]
	v_lshrrev_b32_e32 v11, 8, v16
	s_movk_i32 s4, 0x7f
	v_cmp_gt_i16_sdwa s[6:7], v11, s4 src0_sel:BYTE_0 src1_sel:DWORD
	s_mov_b64 s[4:5], 0
                                        ; implicit-def: $sgpr10
	s_and_saveexec_b64 s[8:9], s[6:7]
	s_xor_b64 s[6:7], exec, s[8:9]
	s_cbranch_execnz .LBB1_3145
; %bb.1097:
	s_or_saveexec_b64 s[6:7], s[6:7]
	v_mov_b32_e32 v10, s10
	s_xor_b64 exec, exec, s[6:7]
	s_cbranch_execnz .LBB1_3148
.LBB1_1098:
	s_or_b64 exec, exec, s[6:7]
	s_and_saveexec_b64 s[6:7], s[4:5]
	s_cbranch_execz .LBB1_1100
.LBB1_1099:
	v_bfe_u32 v10, v16, 8, 3
	v_ffbh_u32_e32 v15, v10
	v_min_u32_e32 v15, 32, v15
	v_lshrrev_b16_e32 v14, 3, v11
	v_subrev_u32_e32 v20, 28, v15
	v_and_b32_e32 v14, 15, v14
	v_lshlrev_b32_e32 v11, v20, v11
	v_sub_u32_e32 v15, 29, v15
	v_and_b32_e32 v11, 7, v11
	v_cmp_eq_u16_e32 vcc, 0, v14
	v_cndmask_b32_e32 v10, v10, v11, vcc
	v_cndmask_b32_e32 v11, v14, v15, vcc
	v_lshlrev_b32_e32 v14, 16, v16
	v_mov_b32_e32 v15, 0x3b800000
	v_lshlrev_b32_e32 v10, 20, v10
	v_and_b32_e32 v14, 0x80000000, v14
	v_lshl_add_u32 v11, v11, 23, v15
	v_or3_b32 v10, v14, v11, v10
.LBB1_1100:
	s_or_b64 exec, exec, s[6:7]
	v_lshrrev_b32_e32 v11, 8, v12
	s_movk_i32 s4, 0x7f
	v_cmp_gt_i16_sdwa s[6:7], v11, s4 src0_sel:BYTE_0 src1_sel:DWORD
	s_mov_b64 s[4:5], 0
                                        ; implicit-def: $sgpr10
	s_and_saveexec_b64 s[8:9], s[6:7]
	s_xor_b64 s[6:7], exec, s[8:9]
	s_cbranch_execnz .LBB1_3149
; %bb.1101:
	s_or_saveexec_b64 s[6:7], s[6:7]
	v_mov_b32_e32 v14, s10
	s_xor_b64 exec, exec, s[6:7]
	s_cbranch_execnz .LBB1_3152
.LBB1_1102:
	s_or_b64 exec, exec, s[6:7]
	s_and_saveexec_b64 s[6:7], s[4:5]
	s_cbranch_execz .LBB1_1104
.LBB1_1103:
	v_bfe_u32 v14, v12, 8, 3
	v_ffbh_u32_e32 v20, v14
	v_min_u32_e32 v20, 32, v20
	v_lshrrev_b16_e32 v15, 3, v11
	v_subrev_u32_e32 v21, 28, v20
	v_and_b32_e32 v15, 15, v15
	v_lshlrev_b32_e32 v11, v21, v11
	v_sub_u32_e32 v20, 29, v20
	v_and_b32_e32 v11, 7, v11
	v_cmp_eq_u16_e32 vcc, 0, v15
	v_cndmask_b32_e32 v11, v14, v11, vcc
	v_cndmask_b32_e32 v14, v15, v20, vcc
	v_lshlrev_b32_e32 v15, 16, v12
	v_mov_b32_e32 v20, 0x3b800000
	v_lshlrev_b32_e32 v11, 20, v11
	v_and_b32_e32 v15, 0x80000000, v15
	v_lshl_add_u32 v14, v14, 23, v20
	v_or3_b32 v14, v15, v14, v11
.LBB1_1104:
	s_or_b64 exec, exec, s[6:7]
	s_nop 0
	v_mfma_f32_16x16x4f32 a[0:3], v10, v14, a[0:3]
	s_movk_i32 s4, 0xff
	v_and_b32_sdwa v11, v16, s4 dst_sel:DWORD dst_unused:UNUSED_PAD src0_sel:WORD_1 src1_sel:DWORD
	s_movk_i32 s4, 0x7f
	v_cmp_lt_i16_e32 vcc, s4, v11
	s_mov_b64 s[4:5], 0
                                        ; implicit-def: $sgpr10
	s_and_saveexec_b64 s[6:7], vcc
	s_xor_b64 s[6:7], exec, s[6:7]
	s_cbranch_execnz .LBB1_3153
; %bb.1105:
	s_or_saveexec_b64 s[6:7], s[6:7]
	v_mov_b32_e32 v10, s10
	s_xor_b64 exec, exec, s[6:7]
	s_cbranch_execnz .LBB1_3156
.LBB1_1106:
	s_or_b64 exec, exec, s[6:7]
	s_and_saveexec_b64 s[6:7], s[4:5]
	s_cbranch_execz .LBB1_1108
.LBB1_1107:
	v_bfe_u32 v10, v16, 16, 3
	v_ffbh_u32_e32 v15, v10
	v_min_u32_e32 v15, 32, v15
	v_lshrrev_b32_e32 v11, 19, v16
	v_subrev_u32_e32 v20, 28, v15
	v_and_b32_e32 v11, 15, v11
	v_lshlrev_b32_sdwa v20, v20, v16 dst_sel:DWORD dst_unused:UNUSED_PAD src0_sel:DWORD src1_sel:WORD_1
	v_bfe_u32 v14, v16, 19, 4
	v_sub_u32_e32 v15, 29, v15
	v_and_b32_e32 v20, 7, v20
	v_cmp_eq_u16_e32 vcc, 0, v11
	v_cndmask_b32_e32 v10, v10, v20, vcc
	v_cndmask_b32_e32 v11, v14, v15, vcc
	v_lshlrev_b32_e32 v14, 8, v16
	v_mov_b32_e32 v15, 0x3b800000
	v_lshlrev_b32_e32 v10, 20, v10
	v_and_b32_e32 v14, 0x80000000, v14
	v_lshl_add_u32 v11, v11, 23, v15
	v_or3_b32 v10, v14, v11, v10
.LBB1_1108:
	s_or_b64 exec, exec, s[6:7]
	s_movk_i32 s4, 0xff
	v_and_b32_sdwa v11, v12, s4 dst_sel:DWORD dst_unused:UNUSED_PAD src0_sel:WORD_1 src1_sel:DWORD
	s_movk_i32 s4, 0x7f
	v_cmp_lt_i16_e32 vcc, s4, v11
	s_mov_b64 s[4:5], 0
                                        ; implicit-def: $sgpr10
	s_and_saveexec_b64 s[6:7], vcc
	s_xor_b64 s[6:7], exec, s[6:7]
	s_cbranch_execnz .LBB1_3157
; %bb.1109:
	s_or_saveexec_b64 s[6:7], s[6:7]
	v_mov_b32_e32 v14, s10
	s_xor_b64 exec, exec, s[6:7]
	s_cbranch_execnz .LBB1_3160
.LBB1_1110:
	s_or_b64 exec, exec, s[6:7]
	s_and_saveexec_b64 s[6:7], s[4:5]
	s_cbranch_execz .LBB1_1112
.LBB1_1111:
	v_bfe_u32 v11, v12, 16, 3
	v_ffbh_u32_e32 v20, v11
	v_min_u32_e32 v20, 32, v20
	v_lshrrev_b32_e32 v14, 19, v12
	v_subrev_u32_e32 v21, 28, v20
	v_and_b32_e32 v14, 15, v14
	v_lshlrev_b32_sdwa v21, v21, v12 dst_sel:DWORD dst_unused:UNUSED_PAD src0_sel:DWORD src1_sel:WORD_1
	v_bfe_u32 v15, v12, 19, 4
	v_sub_u32_e32 v20, 29, v20
	v_and_b32_e32 v21, 7, v21
	v_cmp_eq_u16_e32 vcc, 0, v14
	v_cndmask_b32_e32 v11, v11, v21, vcc
	v_cndmask_b32_e32 v14, v15, v20, vcc
	v_lshlrev_b32_e32 v15, 8, v12
	v_mov_b32_e32 v20, 0x3b800000
	v_lshlrev_b32_e32 v11, 20, v11
	v_and_b32_e32 v15, 0x80000000, v15
	v_lshl_add_u32 v14, v14, 23, v20
	v_or3_b32 v14, v15, v14, v11
.LBB1_1112:
	s_or_b64 exec, exec, s[6:7]
	s_nop 0
	v_mfma_f32_16x16x4f32 a[0:3], v10, v14, a[0:3]
	s_movk_i32 s4, 0x7f
	v_cmp_gt_i16_sdwa s[6:7], v16, s4 src0_sel:BYTE_3 src1_sel:DWORD
	s_mov_b64 s[4:5], 0
                                        ; implicit-def: $sgpr10
	s_and_saveexec_b64 s[8:9], s[6:7]
	s_xor_b64 s[6:7], exec, s[8:9]
	s_cbranch_execnz .LBB1_3161
; %bb.1113:
	s_or_saveexec_b64 s[6:7], s[6:7]
	v_mov_b32_e32 v10, s10
	s_xor_b64 exec, exec, s[6:7]
	s_cbranch_execnz .LBB1_3164
.LBB1_1114:
	s_or_b64 exec, exec, s[6:7]
	s_and_saveexec_b64 s[6:7], s[4:5]
	s_cbranch_execz .LBB1_1116
.LBB1_1115:
	v_bfe_u32 v10, v16, 24, 3
	v_ffbh_u32_e32 v20, v10
	v_min_u32_e32 v20, 32, v20
	v_lshrrev_b32_e32 v14, 27, v16
	v_subrev_u32_e32 v21, 28, v20
	v_and_b32_e32 v11, 0x80000000, v16
	v_and_b32_e32 v14, 15, v14
	v_bfe_u32 v15, v16, 27, 4
	v_lshlrev_b32_sdwa v16, v21, v16 dst_sel:DWORD dst_unused:UNUSED_PAD src0_sel:DWORD src1_sel:BYTE_3
	v_sub_u32_e32 v20, 29, v20
	v_and_b32_e32 v16, 7, v16
	v_cmp_eq_u16_e32 vcc, 0, v14
	v_cndmask_b32_e32 v10, v10, v16, vcc
	v_cndmask_b32_e32 v14, v15, v20, vcc
	v_mov_b32_e32 v15, 0x3b800000
	v_lshlrev_b32_e32 v10, 20, v10
	v_lshl_add_u32 v14, v14, 23, v15
	v_or3_b32 v10, v11, v14, v10
.LBB1_1116:
	s_or_b64 exec, exec, s[6:7]
	s_movk_i32 s4, 0x7f
	v_cmp_gt_i16_sdwa s[6:7], v12, s4 src0_sel:BYTE_3 src1_sel:DWORD
	s_mov_b64 s[4:5], 0
                                        ; implicit-def: $sgpr10
	s_and_saveexec_b64 s[8:9], s[6:7]
	s_xor_b64 s[6:7], exec, s[8:9]
	s_cbranch_execnz .LBB1_3165
; %bb.1117:
	s_or_saveexec_b64 s[6:7], s[6:7]
	v_mov_b32_e32 v11, s10
	s_xor_b64 exec, exec, s[6:7]
	s_cbranch_execnz .LBB1_3168
.LBB1_1118:
	s_or_b64 exec, exec, s[6:7]
	s_and_saveexec_b64 s[6:7], s[4:5]
	s_cbranch_execz .LBB1_1120
.LBB1_1119:
	v_bfe_u32 v11, v12, 24, 3
	v_ffbh_u32_e32 v20, v11
	v_min_u32_e32 v20, 32, v20
	v_lshrrev_b32_e32 v15, 27, v12
	v_subrev_u32_e32 v21, 28, v20
	v_and_b32_e32 v14, 0x80000000, v12
	v_and_b32_e32 v15, 15, v15
	v_bfe_u32 v16, v12, 27, 4
	v_lshlrev_b32_sdwa v12, v21, v12 dst_sel:DWORD dst_unused:UNUSED_PAD src0_sel:DWORD src1_sel:BYTE_3
	v_sub_u32_e32 v20, 29, v20
	v_and_b32_e32 v12, 7, v12
	v_cmp_eq_u16_e32 vcc, 0, v15
	v_cndmask_b32_e32 v11, v11, v12, vcc
	v_cndmask_b32_e32 v12, v16, v20, vcc
	v_mov_b32_e32 v15, 0x3b800000
	v_lshlrev_b32_e32 v11, 20, v11
	v_lshl_add_u32 v12, v12, 23, v15
	v_or3_b32 v11, v14, v12, v11
.LBB1_1120:
	s_or_b64 exec, exec, s[6:7]
	s_nop 0
	v_mfma_f32_16x16x4f32 a[0:3], v10, v11, a[0:3]
	s_movk_i32 s4, 0x7f
	v_cmp_gt_i16_sdwa s[6:7], v17, s4 src0_sel:BYTE_0 src1_sel:DWORD
	s_mov_b64 s[4:5], 0
                                        ; implicit-def: $sgpr10
	s_and_saveexec_b64 s[8:9], s[6:7]
	s_xor_b64 s[6:7], exec, s[8:9]
	s_cbranch_execnz .LBB1_3169
; %bb.1121:
	s_or_saveexec_b64 s[6:7], s[6:7]
	v_mov_b32_e32 v10, s10
	s_xor_b64 exec, exec, s[6:7]
	s_cbranch_execnz .LBB1_3172
.LBB1_1122:
	s_or_b64 exec, exec, s[6:7]
	s_and_saveexec_b64 s[6:7], s[4:5]
	s_cbranch_execz .LBB1_1124
.LBB1_1123:
	v_and_b32_e32 v10, 7, v17
	v_ffbh_u32_e32 v12, v10
	v_min_u32_e32 v12, 32, v12
	v_lshrrev_b16_e32 v11, 3, v17
	v_subrev_u32_e32 v14, 28, v12
	v_and_b32_e32 v11, 15, v11
	v_lshlrev_b32_e32 v14, v14, v17
	v_sub_u32_e32 v12, 29, v12
	v_and_b32_e32 v14, 7, v14
	v_cmp_eq_u16_e32 vcc, 0, v11
	v_cndmask_b32_e32 v10, v10, v14, vcc
	v_cndmask_b32_e32 v11, v11, v12, vcc
	v_lshlrev_b32_e32 v12, 24, v17
	v_mov_b32_e32 v14, 0x3b800000
	v_lshlrev_b32_e32 v10, 20, v10
	v_and_b32_e32 v12, 0x80000000, v12
	v_lshl_add_u32 v11, v11, 23, v14
	v_or3_b32 v10, v12, v11, v10
.LBB1_1124:
	s_or_b64 exec, exec, s[6:7]
	s_movk_i32 s4, 0x7f
	v_cmp_gt_i16_sdwa s[6:7], v13, s4 src0_sel:BYTE_0 src1_sel:DWORD
	s_mov_b64 s[4:5], 0
                                        ; implicit-def: $sgpr10
	s_and_saveexec_b64 s[8:9], s[6:7]
	s_xor_b64 s[6:7], exec, s[8:9]
	s_cbranch_execnz .LBB1_3173
; %bb.1125:
	s_or_saveexec_b64 s[6:7], s[6:7]
	v_mov_b32_e32 v11, s10
	s_xor_b64 exec, exec, s[6:7]
	s_cbranch_execnz .LBB1_3176
.LBB1_1126:
	s_or_b64 exec, exec, s[6:7]
	s_and_saveexec_b64 s[6:7], s[4:5]
	s_cbranch_execz .LBB1_1128
.LBB1_1127:
	v_and_b32_e32 v11, 7, v13
	v_ffbh_u32_e32 v14, v11
	v_min_u32_e32 v14, 32, v14
	v_lshrrev_b16_e32 v12, 3, v13
	v_subrev_u32_e32 v15, 28, v14
	v_and_b32_e32 v12, 15, v12
	v_lshlrev_b32_e32 v15, v15, v13
	v_sub_u32_e32 v14, 29, v14
	v_and_b32_e32 v15, 7, v15
	v_cmp_eq_u16_e32 vcc, 0, v12
	v_cndmask_b32_e32 v11, v11, v15, vcc
	v_cndmask_b32_e32 v12, v12, v14, vcc
	v_lshlrev_b32_e32 v14, 24, v13
	v_mov_b32_e32 v15, 0x3b800000
	v_lshlrev_b32_e32 v11, 20, v11
	v_and_b32_e32 v14, 0x80000000, v14
	v_lshl_add_u32 v12, v12, 23, v15
	v_or3_b32 v11, v14, v12, v11
.LBB1_1128:
	s_or_b64 exec, exec, s[6:7]
	s_nop 0
	v_mfma_f32_16x16x4f32 a[0:3], v10, v11, a[0:3]
	v_lshrrev_b32_e32 v11, 8, v17
	s_movk_i32 s4, 0x7f
	v_cmp_gt_i16_sdwa s[6:7], v11, s4 src0_sel:BYTE_0 src1_sel:DWORD
	s_mov_b64 s[4:5], 0
                                        ; implicit-def: $sgpr10
	s_and_saveexec_b64 s[8:9], s[6:7]
	s_xor_b64 s[6:7], exec, s[8:9]
	s_cbranch_execnz .LBB1_3177
; %bb.1129:
	s_or_saveexec_b64 s[6:7], s[6:7]
	v_mov_b32_e32 v10, s10
	s_xor_b64 exec, exec, s[6:7]
	s_cbranch_execnz .LBB1_3180
.LBB1_1130:
	s_or_b64 exec, exec, s[6:7]
	s_and_saveexec_b64 s[6:7], s[4:5]
	s_cbranch_execz .LBB1_1132
.LBB1_1131:
	v_bfe_u32 v10, v17, 8, 3
	v_ffbh_u32_e32 v14, v10
	v_min_u32_e32 v14, 32, v14
	v_lshrrev_b16_e32 v12, 3, v11
	v_subrev_u32_e32 v15, 28, v14
	v_and_b32_e32 v12, 15, v12
	v_lshlrev_b32_e32 v11, v15, v11
	v_sub_u32_e32 v14, 29, v14
	v_and_b32_e32 v11, 7, v11
	v_cmp_eq_u16_e32 vcc, 0, v12
	v_cndmask_b32_e32 v10, v10, v11, vcc
	v_cndmask_b32_e32 v11, v12, v14, vcc
	v_lshlrev_b32_e32 v12, 16, v17
	v_mov_b32_e32 v14, 0x3b800000
	v_lshlrev_b32_e32 v10, 20, v10
	v_and_b32_e32 v12, 0x80000000, v12
	v_lshl_add_u32 v11, v11, 23, v14
	v_or3_b32 v10, v12, v11, v10
.LBB1_1132:
	s_or_b64 exec, exec, s[6:7]
	v_lshrrev_b32_e32 v11, 8, v13
	s_movk_i32 s4, 0x7f
	v_cmp_gt_i16_sdwa s[6:7], v11, s4 src0_sel:BYTE_0 src1_sel:DWORD
	s_mov_b64 s[4:5], 0
                                        ; implicit-def: $sgpr10
	s_and_saveexec_b64 s[8:9], s[6:7]
	s_xor_b64 s[6:7], exec, s[8:9]
	s_cbranch_execnz .LBB1_3181
; %bb.1133:
	s_or_saveexec_b64 s[6:7], s[6:7]
	v_mov_b32_e32 v12, s10
	s_xor_b64 exec, exec, s[6:7]
	s_cbranch_execnz .LBB1_3184
.LBB1_1134:
	s_or_b64 exec, exec, s[6:7]
	s_and_saveexec_b64 s[6:7], s[4:5]
	s_cbranch_execz .LBB1_1136
.LBB1_1135:
	v_bfe_u32 v12, v13, 8, 3
	v_ffbh_u32_e32 v15, v12
	v_min_u32_e32 v15, 32, v15
	v_lshrrev_b16_e32 v14, 3, v11
	v_subrev_u32_e32 v16, 28, v15
	v_and_b32_e32 v14, 15, v14
	v_lshlrev_b32_e32 v11, v16, v11
	v_sub_u32_e32 v15, 29, v15
	v_and_b32_e32 v11, 7, v11
	v_cmp_eq_u16_e32 vcc, 0, v14
	v_cndmask_b32_e32 v11, v12, v11, vcc
	v_cndmask_b32_e32 v12, v14, v15, vcc
	v_lshlrev_b32_e32 v14, 16, v13
	v_mov_b32_e32 v15, 0x3b800000
	v_lshlrev_b32_e32 v11, 20, v11
	v_and_b32_e32 v14, 0x80000000, v14
	v_lshl_add_u32 v12, v12, 23, v15
	v_or3_b32 v12, v14, v12, v11
.LBB1_1136:
	s_or_b64 exec, exec, s[6:7]
	s_nop 0
	v_mfma_f32_16x16x4f32 a[0:3], v10, v12, a[0:3]
	s_movk_i32 s4, 0xff
	v_and_b32_sdwa v11, v17, s4 dst_sel:DWORD dst_unused:UNUSED_PAD src0_sel:WORD_1 src1_sel:DWORD
	s_movk_i32 s4, 0x7f
	v_cmp_lt_i16_e32 vcc, s4, v11
	s_mov_b64 s[4:5], 0
                                        ; implicit-def: $sgpr10
	s_and_saveexec_b64 s[6:7], vcc
	s_xor_b64 s[6:7], exec, s[6:7]
	s_cbranch_execnz .LBB1_3185
; %bb.1137:
	s_or_saveexec_b64 s[6:7], s[6:7]
	v_mov_b32_e32 v10, s10
	s_xor_b64 exec, exec, s[6:7]
	s_cbranch_execnz .LBB1_3188
.LBB1_1138:
	s_or_b64 exec, exec, s[6:7]
	s_and_saveexec_b64 s[6:7], s[4:5]
	s_cbranch_execz .LBB1_1140
.LBB1_1139:
	v_bfe_u32 v10, v17, 16, 3
	v_ffbh_u32_e32 v14, v10
	v_min_u32_e32 v14, 32, v14
	v_lshrrev_b32_e32 v11, 19, v17
	v_subrev_u32_e32 v15, 28, v14
	v_and_b32_e32 v11, 15, v11
	v_lshlrev_b32_sdwa v15, v15, v17 dst_sel:DWORD dst_unused:UNUSED_PAD src0_sel:DWORD src1_sel:WORD_1
	v_bfe_u32 v12, v17, 19, 4
	v_sub_u32_e32 v14, 29, v14
	v_and_b32_e32 v15, 7, v15
	v_cmp_eq_u16_e32 vcc, 0, v11
	v_cndmask_b32_e32 v10, v10, v15, vcc
	v_cndmask_b32_e32 v11, v12, v14, vcc
	v_lshlrev_b32_e32 v12, 8, v17
	v_mov_b32_e32 v14, 0x3b800000
	v_lshlrev_b32_e32 v10, 20, v10
	v_and_b32_e32 v12, 0x80000000, v12
	v_lshl_add_u32 v11, v11, 23, v14
	v_or3_b32 v10, v12, v11, v10
.LBB1_1140:
	s_or_b64 exec, exec, s[6:7]
	s_movk_i32 s4, 0xff
	v_and_b32_sdwa v11, v13, s4 dst_sel:DWORD dst_unused:UNUSED_PAD src0_sel:WORD_1 src1_sel:DWORD
	s_movk_i32 s4, 0x7f
	v_cmp_lt_i16_e32 vcc, s4, v11
	s_mov_b64 s[4:5], 0
                                        ; implicit-def: $sgpr10
	s_and_saveexec_b64 s[6:7], vcc
	s_xor_b64 s[6:7], exec, s[6:7]
	s_cbranch_execnz .LBB1_3189
; %bb.1141:
	s_or_saveexec_b64 s[6:7], s[6:7]
	v_mov_b32_e32 v12, s10
	s_xor_b64 exec, exec, s[6:7]
	s_cbranch_execnz .LBB1_3192
.LBB1_1142:
	s_or_b64 exec, exec, s[6:7]
	s_and_saveexec_b64 s[6:7], s[4:5]
	s_cbranch_execz .LBB1_1144
.LBB1_1143:
	v_bfe_u32 v11, v13, 16, 3
	v_ffbh_u32_e32 v15, v11
	v_min_u32_e32 v15, 32, v15
	v_lshrrev_b32_e32 v12, 19, v13
	v_subrev_u32_e32 v16, 28, v15
	v_and_b32_e32 v12, 15, v12
	v_lshlrev_b32_sdwa v16, v16, v13 dst_sel:DWORD dst_unused:UNUSED_PAD src0_sel:DWORD src1_sel:WORD_1
	v_bfe_u32 v14, v13, 19, 4
	v_sub_u32_e32 v15, 29, v15
	v_and_b32_e32 v16, 7, v16
	v_cmp_eq_u16_e32 vcc, 0, v12
	v_cndmask_b32_e32 v11, v11, v16, vcc
	v_cndmask_b32_e32 v12, v14, v15, vcc
	v_lshlrev_b32_e32 v14, 8, v13
	v_mov_b32_e32 v15, 0x3b800000
	v_lshlrev_b32_e32 v11, 20, v11
	v_and_b32_e32 v14, 0x80000000, v14
	v_lshl_add_u32 v12, v12, 23, v15
	v_or3_b32 v12, v14, v12, v11
.LBB1_1144:
	s_or_b64 exec, exec, s[6:7]
	s_nop 0
	v_mfma_f32_16x16x4f32 a[0:3], v10, v12, a[0:3]
	s_movk_i32 s4, 0x7f
	v_cmp_gt_i16_sdwa s[6:7], v17, s4 src0_sel:BYTE_3 src1_sel:DWORD
	s_mov_b64 s[4:5], 0
                                        ; implicit-def: $sgpr10
	s_and_saveexec_b64 s[8:9], s[6:7]
	s_xor_b64 s[6:7], exec, s[8:9]
	s_cbranch_execnz .LBB1_3193
; %bb.1145:
	s_or_saveexec_b64 s[6:7], s[6:7]
	v_mov_b32_e32 v10, s10
	s_xor_b64 exec, exec, s[6:7]
	s_cbranch_execnz .LBB1_3196
.LBB1_1146:
	s_or_b64 exec, exec, s[6:7]
	s_and_saveexec_b64 s[6:7], s[4:5]
	s_cbranch_execz .LBB1_1148
.LBB1_1147:
	v_bfe_u32 v10, v17, 24, 3
	v_ffbh_u32_e32 v15, v10
	v_min_u32_e32 v15, 32, v15
	v_lshrrev_b32_e32 v12, 27, v17
	v_subrev_u32_e32 v16, 28, v15
	v_and_b32_e32 v12, 15, v12
	v_lshlrev_b32_sdwa v16, v16, v17 dst_sel:DWORD dst_unused:UNUSED_PAD src0_sel:DWORD src1_sel:BYTE_3
	v_bfe_u32 v14, v17, 27, 4
	v_sub_u32_e32 v15, 29, v15
	v_and_b32_e32 v16, 7, v16
	v_cmp_eq_u16_e32 vcc, 0, v12
	v_cndmask_b32_e32 v10, v10, v16, vcc
	v_cndmask_b32_e32 v12, v14, v15, vcc
	v_mov_b32_e32 v14, 0x3b800000
	v_and_b32_e32 v11, 0x80000000, v17
	v_lshlrev_b32_e32 v10, 20, v10
	v_lshl_add_u32 v12, v12, 23, v14
	v_or3_b32 v10, v11, v12, v10
.LBB1_1148:
	s_or_b64 exec, exec, s[6:7]
	s_movk_i32 s4, 0x7f
	v_cmp_gt_i16_sdwa s[6:7], v13, s4 src0_sel:BYTE_3 src1_sel:DWORD
	s_mov_b64 s[4:5], 0
                                        ; implicit-def: $sgpr10
	s_and_saveexec_b64 s[8:9], s[6:7]
	s_xor_b64 s[6:7], exec, s[8:9]
	s_cbranch_execnz .LBB1_3197
; %bb.1149:
	s_or_saveexec_b64 s[6:7], s[6:7]
	v_mov_b32_e32 v11, s10
	s_xor_b64 exec, exec, s[6:7]
	s_cbranch_execnz .LBB1_3200
.LBB1_1150:
	s_or_b64 exec, exec, s[6:7]
	s_and_saveexec_b64 s[6:7], s[4:5]
	s_cbranch_execz .LBB1_1152
.LBB1_1151:
	v_bfe_u32 v11, v13, 24, 3
	v_ffbh_u32_e32 v16, v11
	v_min_u32_e32 v16, 32, v16
	v_lshrrev_b32_e32 v14, 27, v13
	v_subrev_u32_e32 v17, 28, v16
	v_and_b32_e32 v12, 0x80000000, v13
	v_and_b32_e32 v14, 15, v14
	v_bfe_u32 v15, v13, 27, 4
	v_lshlrev_b32_sdwa v13, v17, v13 dst_sel:DWORD dst_unused:UNUSED_PAD src0_sel:DWORD src1_sel:BYTE_3
	v_sub_u32_e32 v16, 29, v16
	v_and_b32_e32 v13, 7, v13
	v_cmp_eq_u16_e32 vcc, 0, v14
	v_cndmask_b32_e32 v11, v11, v13, vcc
	v_cndmask_b32_e32 v13, v15, v16, vcc
	v_mov_b32_e32 v14, 0x3b800000
	v_lshlrev_b32_e32 v11, 20, v11
	v_lshl_add_u32 v13, v13, 23, v14
	v_or3_b32 v11, v12, v13, v11
.LBB1_1152:
	s_or_b64 exec, exec, s[6:7]
	s_nop 0
	v_mfma_f32_16x16x4f32 a[0:3], v10, v11, a[0:3]
	s_movk_i32 s4, 0x7f
	v_cmp_gt_i16_sdwa s[6:7], v6, s4 src0_sel:BYTE_0 src1_sel:DWORD
	s_mov_b64 s[4:5], 0
                                        ; implicit-def: $sgpr10
	s_and_saveexec_b64 s[8:9], s[6:7]
	s_xor_b64 s[6:7], exec, s[8:9]
	s_cbranch_execnz .LBB1_3201
; %bb.1153:
	s_or_saveexec_b64 s[6:7], s[6:7]
	v_mov_b32_e32 v10, s10
	s_xor_b64 exec, exec, s[6:7]
	s_cbranch_execnz .LBB1_3204
.LBB1_1154:
	s_or_b64 exec, exec, s[6:7]
	s_and_saveexec_b64 s[6:7], s[4:5]
	s_cbranch_execz .LBB1_1156
.LBB1_1155:
	v_and_b32_e32 v10, 7, v6
	v_ffbh_u32_e32 v12, v10
	v_min_u32_e32 v12, 32, v12
	v_lshrrev_b16_e32 v11, 3, v6
	v_subrev_u32_e32 v13, 28, v12
	v_and_b32_e32 v11, 15, v11
	v_lshlrev_b32_e32 v13, v13, v6
	v_sub_u32_e32 v12, 29, v12
	v_and_b32_e32 v13, 7, v13
	v_cmp_eq_u16_e32 vcc, 0, v11
	v_cndmask_b32_e32 v10, v10, v13, vcc
	v_cndmask_b32_e32 v11, v11, v12, vcc
	v_lshlrev_b32_e32 v12, 24, v6
	v_mov_b32_e32 v13, 0x3b800000
	v_lshlrev_b32_e32 v10, 20, v10
	v_and_b32_e32 v12, 0x80000000, v12
	v_lshl_add_u32 v11, v11, 23, v13
	v_or3_b32 v10, v12, v11, v10
.LBB1_1156:
	s_or_b64 exec, exec, s[6:7]
	s_movk_i32 s4, 0x7f
	v_cmp_gt_i16_sdwa s[6:7], v2, s4 src0_sel:BYTE_0 src1_sel:DWORD
	s_mov_b64 s[4:5], 0
                                        ; implicit-def: $sgpr10
	s_and_saveexec_b64 s[8:9], s[6:7]
	s_xor_b64 s[6:7], exec, s[8:9]
	s_cbranch_execnz .LBB1_3205
; %bb.1157:
	s_or_saveexec_b64 s[6:7], s[6:7]
	v_mov_b32_e32 v11, s10
	s_xor_b64 exec, exec, s[6:7]
	s_cbranch_execnz .LBB1_3208
.LBB1_1158:
	s_or_b64 exec, exec, s[6:7]
	s_and_saveexec_b64 s[6:7], s[4:5]
	s_cbranch_execz .LBB1_1160
.LBB1_1159:
	v_and_b32_e32 v11, 7, v2
	v_ffbh_u32_e32 v13, v11
	v_min_u32_e32 v13, 32, v13
	v_lshrrev_b16_e32 v12, 3, v2
	v_subrev_u32_e32 v14, 28, v13
	v_and_b32_e32 v12, 15, v12
	v_lshlrev_b32_e32 v14, v14, v2
	v_sub_u32_e32 v13, 29, v13
	v_and_b32_e32 v14, 7, v14
	v_cmp_eq_u16_e32 vcc, 0, v12
	v_cndmask_b32_e32 v11, v11, v14, vcc
	v_cndmask_b32_e32 v12, v12, v13, vcc
	v_lshlrev_b32_e32 v13, 24, v2
	v_mov_b32_e32 v14, 0x3b800000
	v_lshlrev_b32_e32 v11, 20, v11
	v_and_b32_e32 v13, 0x80000000, v13
	v_lshl_add_u32 v12, v12, 23, v14
	v_or3_b32 v11, v13, v12, v11
.LBB1_1160:
	s_or_b64 exec, exec, s[6:7]
	s_nop 0
	v_mfma_f32_16x16x4f32 a[0:3], v10, v11, a[0:3]
	v_lshrrev_b32_e32 v11, 8, v6
	s_movk_i32 s4, 0x7f
	v_cmp_gt_i16_sdwa s[6:7], v11, s4 src0_sel:BYTE_0 src1_sel:DWORD
	s_mov_b64 s[4:5], 0
                                        ; implicit-def: $sgpr10
	s_and_saveexec_b64 s[8:9], s[6:7]
	s_xor_b64 s[6:7], exec, s[8:9]
	s_cbranch_execnz .LBB1_3209
; %bb.1161:
	s_or_saveexec_b64 s[6:7], s[6:7]
	v_mov_b32_e32 v10, s10
	s_xor_b64 exec, exec, s[6:7]
	s_cbranch_execnz .LBB1_3212
.LBB1_1162:
	s_or_b64 exec, exec, s[6:7]
	s_and_saveexec_b64 s[6:7], s[4:5]
	s_cbranch_execz .LBB1_1164
.LBB1_1163:
	v_bfe_u32 v10, v6, 8, 3
	v_ffbh_u32_e32 v13, v10
	v_min_u32_e32 v13, 32, v13
	v_lshrrev_b16_e32 v12, 3, v11
	v_subrev_u32_e32 v14, 28, v13
	v_and_b32_e32 v12, 15, v12
	v_lshlrev_b32_e32 v11, v14, v11
	v_sub_u32_e32 v13, 29, v13
	v_and_b32_e32 v11, 7, v11
	v_cmp_eq_u16_e32 vcc, 0, v12
	v_cndmask_b32_e32 v10, v10, v11, vcc
	v_cndmask_b32_e32 v11, v12, v13, vcc
	v_lshlrev_b32_e32 v12, 16, v6
	v_mov_b32_e32 v13, 0x3b800000
	v_lshlrev_b32_e32 v10, 20, v10
	v_and_b32_e32 v12, 0x80000000, v12
	v_lshl_add_u32 v11, v11, 23, v13
	v_or3_b32 v10, v12, v11, v10
.LBB1_1164:
	s_or_b64 exec, exec, s[6:7]
	v_lshrrev_b32_e32 v11, 8, v2
	s_movk_i32 s4, 0x7f
	v_cmp_gt_i16_sdwa s[6:7], v11, s4 src0_sel:BYTE_0 src1_sel:DWORD
	s_mov_b64 s[4:5], 0
                                        ; implicit-def: $sgpr10
	s_and_saveexec_b64 s[8:9], s[6:7]
	s_xor_b64 s[6:7], exec, s[8:9]
	s_cbranch_execnz .LBB1_3213
; %bb.1165:
	s_or_saveexec_b64 s[6:7], s[6:7]
	v_mov_b32_e32 v12, s10
	s_xor_b64 exec, exec, s[6:7]
	s_cbranch_execnz .LBB1_3216
.LBB1_1166:
	s_or_b64 exec, exec, s[6:7]
	s_and_saveexec_b64 s[6:7], s[4:5]
	s_cbranch_execz .LBB1_1168
.LBB1_1167:
	v_bfe_u32 v12, v2, 8, 3
	v_ffbh_u32_e32 v14, v12
	v_min_u32_e32 v14, 32, v14
	v_lshrrev_b16_e32 v13, 3, v11
	v_subrev_u32_e32 v15, 28, v14
	v_and_b32_e32 v13, 15, v13
	v_lshlrev_b32_e32 v11, v15, v11
	v_sub_u32_e32 v14, 29, v14
	v_and_b32_e32 v11, 7, v11
	v_cmp_eq_u16_e32 vcc, 0, v13
	v_cndmask_b32_e32 v11, v12, v11, vcc
	v_cndmask_b32_e32 v12, v13, v14, vcc
	v_lshlrev_b32_e32 v13, 16, v2
	v_mov_b32_e32 v14, 0x3b800000
	v_lshlrev_b32_e32 v11, 20, v11
	v_and_b32_e32 v13, 0x80000000, v13
	v_lshl_add_u32 v12, v12, 23, v14
	v_or3_b32 v12, v13, v12, v11
.LBB1_1168:
	s_or_b64 exec, exec, s[6:7]
	s_nop 0
	v_mfma_f32_16x16x4f32 a[0:3], v10, v12, a[0:3]
	s_movk_i32 s4, 0xff
	v_and_b32_sdwa v11, v6, s4 dst_sel:DWORD dst_unused:UNUSED_PAD src0_sel:WORD_1 src1_sel:DWORD
	s_movk_i32 s4, 0x7f
	v_cmp_lt_i16_e32 vcc, s4, v11
	s_mov_b64 s[4:5], 0
                                        ; implicit-def: $sgpr10
	s_and_saveexec_b64 s[6:7], vcc
	s_xor_b64 s[6:7], exec, s[6:7]
	s_cbranch_execnz .LBB1_3217
; %bb.1169:
	s_or_saveexec_b64 s[6:7], s[6:7]
	v_mov_b32_e32 v10, s10
	s_xor_b64 exec, exec, s[6:7]
	s_cbranch_execnz .LBB1_3220
.LBB1_1170:
	s_or_b64 exec, exec, s[6:7]
	s_and_saveexec_b64 s[6:7], s[4:5]
	s_cbranch_execz .LBB1_1172
.LBB1_1171:
	v_bfe_u32 v10, v6, 16, 3
	v_ffbh_u32_e32 v13, v10
	v_min_u32_e32 v13, 32, v13
	v_lshrrev_b32_e32 v11, 19, v6
	v_subrev_u32_e32 v14, 28, v13
	v_and_b32_e32 v11, 15, v11
	v_lshlrev_b32_sdwa v14, v14, v6 dst_sel:DWORD dst_unused:UNUSED_PAD src0_sel:DWORD src1_sel:WORD_1
	v_bfe_u32 v12, v6, 19, 4
	v_sub_u32_e32 v13, 29, v13
	v_and_b32_e32 v14, 7, v14
	v_cmp_eq_u16_e32 vcc, 0, v11
	v_cndmask_b32_e32 v10, v10, v14, vcc
	v_cndmask_b32_e32 v11, v12, v13, vcc
	v_lshlrev_b32_e32 v12, 8, v6
	v_mov_b32_e32 v13, 0x3b800000
	v_lshlrev_b32_e32 v10, 20, v10
	v_and_b32_e32 v12, 0x80000000, v12
	v_lshl_add_u32 v11, v11, 23, v13
	v_or3_b32 v10, v12, v11, v10
.LBB1_1172:
	s_or_b64 exec, exec, s[6:7]
	s_movk_i32 s4, 0xff
	v_and_b32_sdwa v11, v2, s4 dst_sel:DWORD dst_unused:UNUSED_PAD src0_sel:WORD_1 src1_sel:DWORD
	s_movk_i32 s4, 0x7f
	v_cmp_lt_i16_e32 vcc, s4, v11
	s_mov_b64 s[4:5], 0
                                        ; implicit-def: $sgpr10
	s_and_saveexec_b64 s[6:7], vcc
	s_xor_b64 s[6:7], exec, s[6:7]
	s_cbranch_execnz .LBB1_3221
; %bb.1173:
	s_or_saveexec_b64 s[6:7], s[6:7]
	v_mov_b32_e32 v12, s10
	s_xor_b64 exec, exec, s[6:7]
	s_cbranch_execnz .LBB1_3224
.LBB1_1174:
	s_or_b64 exec, exec, s[6:7]
	s_and_saveexec_b64 s[6:7], s[4:5]
	s_cbranch_execz .LBB1_1176
.LBB1_1175:
	v_bfe_u32 v11, v2, 16, 3
	v_ffbh_u32_e32 v14, v11
	v_min_u32_e32 v14, 32, v14
	v_lshrrev_b32_e32 v12, 19, v2
	v_subrev_u32_e32 v15, 28, v14
	v_and_b32_e32 v12, 15, v12
	v_lshlrev_b32_sdwa v15, v15, v2 dst_sel:DWORD dst_unused:UNUSED_PAD src0_sel:DWORD src1_sel:WORD_1
	v_bfe_u32 v13, v2, 19, 4
	v_sub_u32_e32 v14, 29, v14
	v_and_b32_e32 v15, 7, v15
	v_cmp_eq_u16_e32 vcc, 0, v12
	v_cndmask_b32_e32 v11, v11, v15, vcc
	v_cndmask_b32_e32 v12, v13, v14, vcc
	v_lshlrev_b32_e32 v13, 8, v2
	v_mov_b32_e32 v14, 0x3b800000
	v_lshlrev_b32_e32 v11, 20, v11
	v_and_b32_e32 v13, 0x80000000, v13
	v_lshl_add_u32 v12, v12, 23, v14
	v_or3_b32 v12, v13, v12, v11
.LBB1_1176:
	s_or_b64 exec, exec, s[6:7]
	s_nop 0
	v_mfma_f32_16x16x4f32 a[0:3], v10, v12, a[0:3]
	s_movk_i32 s4, 0x7f
	v_cmp_gt_i16_sdwa s[6:7], v6, s4 src0_sel:BYTE_3 src1_sel:DWORD
	s_mov_b64 s[4:5], 0
                                        ; implicit-def: $sgpr10
	s_and_saveexec_b64 s[8:9], s[6:7]
	s_xor_b64 s[6:7], exec, s[8:9]
	s_cbranch_execnz .LBB1_3225
; %bb.1177:
	s_or_saveexec_b64 s[6:7], s[6:7]
	v_mov_b32_e32 v10, s10
	s_xor_b64 exec, exec, s[6:7]
	s_cbranch_execnz .LBB1_3228
.LBB1_1178:
	s_or_b64 exec, exec, s[6:7]
	s_and_saveexec_b64 s[6:7], s[4:5]
	s_cbranch_execz .LBB1_1180
.LBB1_1179:
	v_bfe_u32 v10, v6, 24, 3
	v_ffbh_u32_e32 v14, v10
	v_min_u32_e32 v14, 32, v14
	v_lshrrev_b32_e32 v12, 27, v6
	v_subrev_u32_e32 v15, 28, v14
	v_and_b32_e32 v11, 0x80000000, v6
	v_and_b32_e32 v12, 15, v12
	v_bfe_u32 v13, v6, 27, 4
	v_lshlrev_b32_sdwa v6, v15, v6 dst_sel:DWORD dst_unused:UNUSED_PAD src0_sel:DWORD src1_sel:BYTE_3
	v_sub_u32_e32 v14, 29, v14
	v_and_b32_e32 v6, 7, v6
	v_cmp_eq_u16_e32 vcc, 0, v12
	v_cndmask_b32_e32 v6, v10, v6, vcc
	v_cndmask_b32_e32 v10, v13, v14, vcc
	v_mov_b32_e32 v12, 0x3b800000
	v_lshlrev_b32_e32 v6, 20, v6
	v_lshl_add_u32 v10, v10, 23, v12
	v_or3_b32 v10, v11, v10, v6
.LBB1_1180:
	s_or_b64 exec, exec, s[6:7]
	s_movk_i32 s4, 0x7f
	v_cmp_gt_i16_sdwa s[6:7], v2, s4 src0_sel:BYTE_3 src1_sel:DWORD
	s_mov_b64 s[4:5], 0
                                        ; implicit-def: $sgpr10
	s_and_saveexec_b64 s[8:9], s[6:7]
	s_xor_b64 s[6:7], exec, s[8:9]
	s_cbranch_execnz .LBB1_3229
; %bb.1181:
	s_or_saveexec_b64 s[6:7], s[6:7]
	v_mov_b32_e32 v6, s10
	s_xor_b64 exec, exec, s[6:7]
	s_cbranch_execnz .LBB1_3232
.LBB1_1182:
	s_or_b64 exec, exec, s[6:7]
	s_and_saveexec_b64 s[6:7], s[4:5]
	s_cbranch_execz .LBB1_1184
.LBB1_1183:
	v_bfe_u32 v6, v2, 24, 3
	v_ffbh_u32_e32 v14, v6
	v_min_u32_e32 v14, 32, v14
	v_lshrrev_b32_e32 v12, 27, v2
	v_subrev_u32_e32 v15, 28, v14
	v_and_b32_e32 v11, 0x80000000, v2
	v_and_b32_e32 v12, 15, v12
	v_bfe_u32 v13, v2, 27, 4
	v_lshlrev_b32_sdwa v2, v15, v2 dst_sel:DWORD dst_unused:UNUSED_PAD src0_sel:DWORD src1_sel:BYTE_3
	v_sub_u32_e32 v14, 29, v14
	v_and_b32_e32 v2, 7, v2
	v_cmp_eq_u16_e32 vcc, 0, v12
	v_cndmask_b32_e32 v2, v6, v2, vcc
	v_cndmask_b32_e32 v6, v13, v14, vcc
	v_mov_b32_e32 v12, 0x3b800000
	v_lshlrev_b32_e32 v2, 20, v2
	v_lshl_add_u32 v6, v6, 23, v12
	v_or3_b32 v6, v11, v6, v2
.LBB1_1184:
	s_or_b64 exec, exec, s[6:7]
	s_nop 0
	v_mfma_f32_16x16x4f32 a[0:3], v10, v6, a[0:3]
	s_movk_i32 s4, 0x7f
	v_cmp_gt_i16_sdwa s[6:7], v7, s4 src0_sel:BYTE_0 src1_sel:DWORD
	s_mov_b64 s[4:5], 0
                                        ; implicit-def: $sgpr10
	s_and_saveexec_b64 s[8:9], s[6:7]
	s_xor_b64 s[6:7], exec, s[8:9]
	s_cbranch_execnz .LBB1_3233
; %bb.1185:
	s_or_saveexec_b64 s[6:7], s[6:7]
	v_mov_b32_e32 v2, s10
	s_xor_b64 exec, exec, s[6:7]
	s_cbranch_execnz .LBB1_3236
.LBB1_1186:
	s_or_b64 exec, exec, s[6:7]
	s_and_saveexec_b64 s[6:7], s[4:5]
	s_cbranch_execz .LBB1_1188
.LBB1_1187:
	v_and_b32_e32 v2, 7, v7
	v_ffbh_u32_e32 v10, v2
	v_min_u32_e32 v10, 32, v10
	v_lshrrev_b16_e32 v6, 3, v7
	v_subrev_u32_e32 v11, 28, v10
	v_and_b32_e32 v6, 15, v6
	v_lshlrev_b32_e32 v11, v11, v7
	v_sub_u32_e32 v10, 29, v10
	v_and_b32_e32 v11, 7, v11
	v_cmp_eq_u16_e32 vcc, 0, v6
	v_cndmask_b32_e32 v2, v2, v11, vcc
	v_cndmask_b32_e32 v6, v6, v10, vcc
	v_lshlrev_b32_e32 v10, 24, v7
	v_mov_b32_e32 v11, 0x3b800000
	v_lshlrev_b32_e32 v2, 20, v2
	v_and_b32_e32 v10, 0x80000000, v10
	v_lshl_add_u32 v6, v6, 23, v11
	v_or3_b32 v2, v10, v6, v2
.LBB1_1188:
	s_or_b64 exec, exec, s[6:7]
	s_movk_i32 s4, 0x7f
	v_cmp_gt_i16_sdwa s[6:7], v3, s4 src0_sel:BYTE_0 src1_sel:DWORD
	s_mov_b64 s[4:5], 0
                                        ; implicit-def: $sgpr10
	s_and_saveexec_b64 s[8:9], s[6:7]
	s_xor_b64 s[6:7], exec, s[8:9]
	s_cbranch_execnz .LBB1_3237
; %bb.1189:
	s_or_saveexec_b64 s[6:7], s[6:7]
	v_mov_b32_e32 v6, s10
	s_xor_b64 exec, exec, s[6:7]
	s_cbranch_execnz .LBB1_3240
.LBB1_1190:
	s_or_b64 exec, exec, s[6:7]
	s_and_saveexec_b64 s[6:7], s[4:5]
	s_cbranch_execz .LBB1_1192
.LBB1_1191:
	v_and_b32_e32 v6, 7, v3
	v_ffbh_u32_e32 v11, v6
	v_min_u32_e32 v11, 32, v11
	v_lshrrev_b16_e32 v10, 3, v3
	v_subrev_u32_e32 v12, 28, v11
	v_and_b32_e32 v10, 15, v10
	v_lshlrev_b32_e32 v12, v12, v3
	v_sub_u32_e32 v11, 29, v11
	v_and_b32_e32 v12, 7, v12
	v_cmp_eq_u16_e32 vcc, 0, v10
	v_cndmask_b32_e32 v6, v6, v12, vcc
	v_cndmask_b32_e32 v10, v10, v11, vcc
	v_lshlrev_b32_e32 v11, 24, v3
	v_mov_b32_e32 v12, 0x3b800000
	v_lshlrev_b32_e32 v6, 20, v6
	v_and_b32_e32 v11, 0x80000000, v11
	v_lshl_add_u32 v10, v10, 23, v12
	v_or3_b32 v6, v11, v10, v6
.LBB1_1192:
	s_or_b64 exec, exec, s[6:7]
	s_nop 0
	v_mfma_f32_16x16x4f32 a[0:3], v2, v6, a[0:3]
	v_lshrrev_b32_e32 v6, 8, v7
	s_movk_i32 s4, 0x7f
	v_cmp_gt_i16_sdwa s[6:7], v6, s4 src0_sel:BYTE_0 src1_sel:DWORD
	s_mov_b64 s[4:5], 0
                                        ; implicit-def: $sgpr10
	s_and_saveexec_b64 s[8:9], s[6:7]
	s_xor_b64 s[6:7], exec, s[8:9]
	s_cbranch_execnz .LBB1_3241
; %bb.1193:
	s_or_saveexec_b64 s[6:7], s[6:7]
	v_mov_b32_e32 v2, s10
	s_xor_b64 exec, exec, s[6:7]
	s_cbranch_execnz .LBB1_3244
.LBB1_1194:
	s_or_b64 exec, exec, s[6:7]
	s_and_saveexec_b64 s[6:7], s[4:5]
	s_cbranch_execz .LBB1_1196
.LBB1_1195:
	v_bfe_u32 v2, v7, 8, 3
	v_ffbh_u32_e32 v11, v2
	v_min_u32_e32 v11, 32, v11
	v_lshrrev_b16_e32 v10, 3, v6
	v_subrev_u32_e32 v12, 28, v11
	v_and_b32_e32 v10, 15, v10
	v_lshlrev_b32_e32 v6, v12, v6
	v_sub_u32_e32 v11, 29, v11
	v_and_b32_e32 v6, 7, v6
	v_cmp_eq_u16_e32 vcc, 0, v10
	v_cndmask_b32_e32 v2, v2, v6, vcc
	v_cndmask_b32_e32 v6, v10, v11, vcc
	v_lshlrev_b32_e32 v10, 16, v7
	v_mov_b32_e32 v11, 0x3b800000
	v_lshlrev_b32_e32 v2, 20, v2
	v_and_b32_e32 v10, 0x80000000, v10
	v_lshl_add_u32 v6, v6, 23, v11
	v_or3_b32 v2, v10, v6, v2
.LBB1_1196:
	s_or_b64 exec, exec, s[6:7]
	v_lshrrev_b32_e32 v6, 8, v3
	s_movk_i32 s4, 0x7f
	v_cmp_gt_i16_sdwa s[6:7], v6, s4 src0_sel:BYTE_0 src1_sel:DWORD
	s_mov_b64 s[4:5], 0
                                        ; implicit-def: $sgpr10
	s_and_saveexec_b64 s[8:9], s[6:7]
	s_xor_b64 s[6:7], exec, s[8:9]
	s_cbranch_execnz .LBB1_3245
; %bb.1197:
	s_or_saveexec_b64 s[6:7], s[6:7]
	v_mov_b32_e32 v10, s10
	s_xor_b64 exec, exec, s[6:7]
	s_cbranch_execnz .LBB1_3248
.LBB1_1198:
	s_or_b64 exec, exec, s[6:7]
	s_and_saveexec_b64 s[6:7], s[4:5]
	s_cbranch_execz .LBB1_1200
.LBB1_1199:
	v_bfe_u32 v10, v3, 8, 3
	v_ffbh_u32_e32 v12, v10
	v_min_u32_e32 v12, 32, v12
	v_lshrrev_b16_e32 v11, 3, v6
	v_subrev_u32_e32 v13, 28, v12
	v_and_b32_e32 v11, 15, v11
	v_lshlrev_b32_e32 v6, v13, v6
	v_sub_u32_e32 v12, 29, v12
	v_and_b32_e32 v6, 7, v6
	v_cmp_eq_u16_e32 vcc, 0, v11
	v_cndmask_b32_e32 v6, v10, v6, vcc
	v_cndmask_b32_e32 v10, v11, v12, vcc
	v_lshlrev_b32_e32 v11, 16, v3
	v_mov_b32_e32 v12, 0x3b800000
	v_lshlrev_b32_e32 v6, 20, v6
	v_and_b32_e32 v11, 0x80000000, v11
	v_lshl_add_u32 v10, v10, 23, v12
	v_or3_b32 v10, v11, v10, v6
.LBB1_1200:
	s_or_b64 exec, exec, s[6:7]
	s_nop 0
	v_mfma_f32_16x16x4f32 a[0:3], v2, v10, a[0:3]
	s_movk_i32 s4, 0xff
	v_and_b32_sdwa v6, v7, s4 dst_sel:DWORD dst_unused:UNUSED_PAD src0_sel:WORD_1 src1_sel:DWORD
	s_movk_i32 s4, 0x7f
	v_cmp_lt_i16_e32 vcc, s4, v6
	s_mov_b64 s[4:5], 0
                                        ; implicit-def: $sgpr10
	s_and_saveexec_b64 s[6:7], vcc
	s_xor_b64 s[6:7], exec, s[6:7]
	s_cbranch_execnz .LBB1_3249
; %bb.1201:
	s_or_saveexec_b64 s[6:7], s[6:7]
	v_mov_b32_e32 v2, s10
	s_xor_b64 exec, exec, s[6:7]
	s_cbranch_execnz .LBB1_3252
.LBB1_1202:
	s_or_b64 exec, exec, s[6:7]
	s_and_saveexec_b64 s[6:7], s[4:5]
	s_cbranch_execz .LBB1_1204
.LBB1_1203:
	v_bfe_u32 v2, v7, 16, 3
	v_ffbh_u32_e32 v11, v2
	v_min_u32_e32 v11, 32, v11
	v_lshrrev_b32_e32 v6, 19, v7
	v_subrev_u32_e32 v12, 28, v11
	v_and_b32_e32 v6, 15, v6
	v_lshlrev_b32_sdwa v12, v12, v7 dst_sel:DWORD dst_unused:UNUSED_PAD src0_sel:DWORD src1_sel:WORD_1
	v_bfe_u32 v10, v7, 19, 4
	v_sub_u32_e32 v11, 29, v11
	v_and_b32_e32 v12, 7, v12
	v_cmp_eq_u16_e32 vcc, 0, v6
	v_cndmask_b32_e32 v2, v2, v12, vcc
	v_cndmask_b32_e32 v6, v10, v11, vcc
	v_lshlrev_b32_e32 v10, 8, v7
	v_mov_b32_e32 v11, 0x3b800000
	v_lshlrev_b32_e32 v2, 20, v2
	v_and_b32_e32 v10, 0x80000000, v10
	v_lshl_add_u32 v6, v6, 23, v11
	v_or3_b32 v2, v10, v6, v2
.LBB1_1204:
	s_or_b64 exec, exec, s[6:7]
	s_movk_i32 s4, 0xff
	v_and_b32_sdwa v6, v3, s4 dst_sel:DWORD dst_unused:UNUSED_PAD src0_sel:WORD_1 src1_sel:DWORD
	s_movk_i32 s4, 0x7f
	v_cmp_lt_i16_e32 vcc, s4, v6
	s_mov_b64 s[4:5], 0
                                        ; implicit-def: $sgpr10
	s_and_saveexec_b64 s[6:7], vcc
	s_xor_b64 s[6:7], exec, s[6:7]
	s_cbranch_execnz .LBB1_3253
; %bb.1205:
	s_or_saveexec_b64 s[6:7], s[6:7]
	v_mov_b32_e32 v10, s10
	s_xor_b64 exec, exec, s[6:7]
	s_cbranch_execnz .LBB1_3256
.LBB1_1206:
	s_or_b64 exec, exec, s[6:7]
	s_and_saveexec_b64 s[6:7], s[4:5]
	s_cbranch_execz .LBB1_1208
.LBB1_1207:
	v_bfe_u32 v6, v3, 16, 3
	v_ffbh_u32_e32 v12, v6
	v_min_u32_e32 v12, 32, v12
	v_lshrrev_b32_e32 v10, 19, v3
	v_subrev_u32_e32 v13, 28, v12
	v_and_b32_e32 v10, 15, v10
	v_lshlrev_b32_sdwa v13, v13, v3 dst_sel:DWORD dst_unused:UNUSED_PAD src0_sel:DWORD src1_sel:WORD_1
	v_bfe_u32 v11, v3, 19, 4
	v_sub_u32_e32 v12, 29, v12
	v_and_b32_e32 v13, 7, v13
	v_cmp_eq_u16_e32 vcc, 0, v10
	v_cndmask_b32_e32 v6, v6, v13, vcc
	v_cndmask_b32_e32 v10, v11, v12, vcc
	v_lshlrev_b32_e32 v11, 8, v3
	v_mov_b32_e32 v12, 0x3b800000
	v_lshlrev_b32_e32 v6, 20, v6
	v_and_b32_e32 v11, 0x80000000, v11
	v_lshl_add_u32 v10, v10, 23, v12
	v_or3_b32 v10, v11, v10, v6
.LBB1_1208:
	s_or_b64 exec, exec, s[6:7]
	s_nop 0
	v_mfma_f32_16x16x4f32 a[0:3], v2, v10, a[0:3]
	s_movk_i32 s4, 0x7f
	v_cmp_gt_i16_sdwa s[6:7], v7, s4 src0_sel:BYTE_3 src1_sel:DWORD
	s_mov_b64 s[4:5], 0
                                        ; implicit-def: $sgpr10
	s_and_saveexec_b64 s[8:9], s[6:7]
	s_xor_b64 s[6:7], exec, s[8:9]
	s_cbranch_execnz .LBB1_3257
; %bb.1209:
	s_or_saveexec_b64 s[6:7], s[6:7]
	v_mov_b32_e32 v2, s10
	s_xor_b64 exec, exec, s[6:7]
	s_cbranch_execnz .LBB1_3260
.LBB1_1210:
	s_or_b64 exec, exec, s[6:7]
	s_and_saveexec_b64 s[6:7], s[4:5]
	s_cbranch_execz .LBB1_1212
.LBB1_1211:
	v_bfe_u32 v2, v7, 24, 3
	v_ffbh_u32_e32 v12, v2
	v_min_u32_e32 v12, 32, v12
	v_lshrrev_b32_e32 v10, 27, v7
	v_subrev_u32_e32 v13, 28, v12
	v_and_b32_e32 v6, 0x80000000, v7
	v_and_b32_e32 v10, 15, v10
	v_bfe_u32 v11, v7, 27, 4
	v_lshlrev_b32_sdwa v7, v13, v7 dst_sel:DWORD dst_unused:UNUSED_PAD src0_sel:DWORD src1_sel:BYTE_3
	v_sub_u32_e32 v12, 29, v12
	v_and_b32_e32 v7, 7, v7
	v_cmp_eq_u16_e32 vcc, 0, v10
	v_cndmask_b32_e32 v2, v2, v7, vcc
	v_cndmask_b32_e32 v7, v11, v12, vcc
	v_mov_b32_e32 v10, 0x3b800000
	v_lshlrev_b32_e32 v2, 20, v2
	v_lshl_add_u32 v7, v7, 23, v10
	v_or3_b32 v2, v6, v7, v2
.LBB1_1212:
	s_or_b64 exec, exec, s[6:7]
	s_movk_i32 s4, 0x7f
	v_cmp_gt_i16_sdwa s[6:7], v3, s4 src0_sel:BYTE_3 src1_sel:DWORD
	s_mov_b64 s[4:5], 0
                                        ; implicit-def: $sgpr10
	s_and_saveexec_b64 s[8:9], s[6:7]
	s_xor_b64 s[6:7], exec, s[8:9]
	s_cbranch_execnz .LBB1_3261
; %bb.1213:
	s_or_saveexec_b64 s[6:7], s[6:7]
	v_mov_b32_e32 v6, s10
	s_xor_b64 exec, exec, s[6:7]
	s_cbranch_execnz .LBB1_3264
.LBB1_1214:
	s_or_b64 exec, exec, s[6:7]
	s_and_saveexec_b64 s[6:7], s[4:5]
	s_cbranch_execz .LBB1_1216
.LBB1_1215:
	v_bfe_u32 v6, v3, 24, 3
	v_ffbh_u32_e32 v12, v6
	v_min_u32_e32 v12, 32, v12
	v_lshrrev_b32_e32 v10, 27, v3
	v_subrev_u32_e32 v13, 28, v12
	v_and_b32_e32 v7, 0x80000000, v3
	v_and_b32_e32 v10, 15, v10
	v_bfe_u32 v11, v3, 27, 4
	v_lshlrev_b32_sdwa v3, v13, v3 dst_sel:DWORD dst_unused:UNUSED_PAD src0_sel:DWORD src1_sel:BYTE_3
	v_sub_u32_e32 v12, 29, v12
	v_and_b32_e32 v3, 7, v3
	v_cmp_eq_u16_e32 vcc, 0, v10
	v_cndmask_b32_e32 v3, v6, v3, vcc
	v_cndmask_b32_e32 v6, v11, v12, vcc
	v_mov_b32_e32 v10, 0x3b800000
	v_lshlrev_b32_e32 v3, 20, v3
	v_lshl_add_u32 v6, v6, 23, v10
	v_or3_b32 v6, v7, v6, v3
.LBB1_1216:
	s_or_b64 exec, exec, s[6:7]
	s_nop 0
	v_mfma_f32_16x16x4f32 a[0:3], v2, v6, a[0:3]
	s_movk_i32 s4, 0x7f
	v_cmp_gt_i16_sdwa s[6:7], v8, s4 src0_sel:BYTE_0 src1_sel:DWORD
	s_mov_b64 s[4:5], 0
                                        ; implicit-def: $sgpr10
	s_and_saveexec_b64 s[8:9], s[6:7]
	s_xor_b64 s[6:7], exec, s[8:9]
	s_cbranch_execnz .LBB1_3265
; %bb.1217:
	s_or_saveexec_b64 s[6:7], s[6:7]
	v_mov_b32_e32 v2, s10
	s_xor_b64 exec, exec, s[6:7]
	s_cbranch_execnz .LBB1_3268
.LBB1_1218:
	s_or_b64 exec, exec, s[6:7]
	s_and_saveexec_b64 s[6:7], s[4:5]
	s_cbranch_execz .LBB1_1220
.LBB1_1219:
	v_and_b32_e32 v2, 7, v8
	v_ffbh_u32_e32 v6, v2
	v_min_u32_e32 v6, 32, v6
	v_lshrrev_b16_e32 v3, 3, v8
	v_subrev_u32_e32 v7, 28, v6
	v_and_b32_e32 v3, 15, v3
	v_lshlrev_b32_e32 v7, v7, v8
	v_sub_u32_e32 v6, 29, v6
	v_and_b32_e32 v7, 7, v7
	v_cmp_eq_u16_e32 vcc, 0, v3
	v_cndmask_b32_e32 v2, v2, v7, vcc
	v_cndmask_b32_e32 v3, v3, v6, vcc
	v_lshlrev_b32_e32 v6, 24, v8
	v_mov_b32_e32 v7, 0x3b800000
	v_lshlrev_b32_e32 v2, 20, v2
	v_and_b32_e32 v6, 0x80000000, v6
	v_lshl_add_u32 v3, v3, 23, v7
	v_or3_b32 v2, v6, v3, v2
.LBB1_1220:
	s_or_b64 exec, exec, s[6:7]
	s_movk_i32 s4, 0x7f
	v_cmp_gt_i16_sdwa s[6:7], v4, s4 src0_sel:BYTE_0 src1_sel:DWORD
	s_mov_b64 s[4:5], 0
                                        ; implicit-def: $sgpr10
	s_and_saveexec_b64 s[8:9], s[6:7]
	s_xor_b64 s[6:7], exec, s[8:9]
	s_cbranch_execnz .LBB1_3269
; %bb.1221:
	s_or_saveexec_b64 s[6:7], s[6:7]
	v_mov_b32_e32 v3, s10
	s_xor_b64 exec, exec, s[6:7]
	s_cbranch_execnz .LBB1_3272
.LBB1_1222:
	s_or_b64 exec, exec, s[6:7]
	s_and_saveexec_b64 s[6:7], s[4:5]
	s_cbranch_execz .LBB1_1224
.LBB1_1223:
	v_and_b32_e32 v3, 7, v4
	v_ffbh_u32_e32 v7, v3
	v_min_u32_e32 v7, 32, v7
	v_lshrrev_b16_e32 v6, 3, v4
	v_subrev_u32_e32 v10, 28, v7
	v_and_b32_e32 v6, 15, v6
	v_lshlrev_b32_e32 v10, v10, v4
	v_sub_u32_e32 v7, 29, v7
	v_and_b32_e32 v10, 7, v10
	v_cmp_eq_u16_e32 vcc, 0, v6
	v_cndmask_b32_e32 v3, v3, v10, vcc
	v_cndmask_b32_e32 v6, v6, v7, vcc
	v_lshlrev_b32_e32 v7, 24, v4
	v_mov_b32_e32 v10, 0x3b800000
	v_lshlrev_b32_e32 v3, 20, v3
	v_and_b32_e32 v7, 0x80000000, v7
	v_lshl_add_u32 v6, v6, 23, v10
	v_or3_b32 v3, v7, v6, v3
.LBB1_1224:
	s_or_b64 exec, exec, s[6:7]
	s_nop 0
	v_mfma_f32_16x16x4f32 a[0:3], v2, v3, a[0:3]
	v_lshrrev_b32_e32 v3, 8, v8
	s_movk_i32 s4, 0x7f
	v_cmp_gt_i16_sdwa s[6:7], v3, s4 src0_sel:BYTE_0 src1_sel:DWORD
	s_mov_b64 s[4:5], 0
                                        ; implicit-def: $sgpr10
	s_and_saveexec_b64 s[8:9], s[6:7]
	s_xor_b64 s[6:7], exec, s[8:9]
	s_cbranch_execnz .LBB1_3273
; %bb.1225:
	s_or_saveexec_b64 s[6:7], s[6:7]
	v_mov_b32_e32 v2, s10
	s_xor_b64 exec, exec, s[6:7]
	s_cbranch_execnz .LBB1_3276
.LBB1_1226:
	s_or_b64 exec, exec, s[6:7]
	s_and_saveexec_b64 s[6:7], s[4:5]
	s_cbranch_execz .LBB1_1228
.LBB1_1227:
	v_bfe_u32 v2, v8, 8, 3
	v_ffbh_u32_e32 v7, v2
	v_min_u32_e32 v7, 32, v7
	v_lshrrev_b16_e32 v6, 3, v3
	v_subrev_u32_e32 v10, 28, v7
	v_and_b32_e32 v6, 15, v6
	v_lshlrev_b32_e32 v3, v10, v3
	v_sub_u32_e32 v7, 29, v7
	v_and_b32_e32 v3, 7, v3
	v_cmp_eq_u16_e32 vcc, 0, v6
	v_cndmask_b32_e32 v2, v2, v3, vcc
	v_cndmask_b32_e32 v3, v6, v7, vcc
	v_lshlrev_b32_e32 v6, 16, v8
	v_mov_b32_e32 v7, 0x3b800000
	v_lshlrev_b32_e32 v2, 20, v2
	v_and_b32_e32 v6, 0x80000000, v6
	v_lshl_add_u32 v3, v3, 23, v7
	v_or3_b32 v2, v6, v3, v2
.LBB1_1228:
	s_or_b64 exec, exec, s[6:7]
	v_lshrrev_b32_e32 v3, 8, v4
	s_movk_i32 s4, 0x7f
	v_cmp_gt_i16_sdwa s[6:7], v3, s4 src0_sel:BYTE_0 src1_sel:DWORD
	s_mov_b64 s[4:5], 0
                                        ; implicit-def: $sgpr10
	s_and_saveexec_b64 s[8:9], s[6:7]
	s_xor_b64 s[6:7], exec, s[8:9]
	s_cbranch_execnz .LBB1_3277
; %bb.1229:
	s_or_saveexec_b64 s[6:7], s[6:7]
	v_mov_b32_e32 v6, s10
	s_xor_b64 exec, exec, s[6:7]
	s_cbranch_execnz .LBB1_3280
.LBB1_1230:
	s_or_b64 exec, exec, s[6:7]
	s_and_saveexec_b64 s[6:7], s[4:5]
	s_cbranch_execz .LBB1_1232
.LBB1_1231:
	v_bfe_u32 v6, v4, 8, 3
	v_ffbh_u32_e32 v10, v6
	v_min_u32_e32 v10, 32, v10
	v_lshrrev_b16_e32 v7, 3, v3
	v_subrev_u32_e32 v11, 28, v10
	v_and_b32_e32 v7, 15, v7
	v_lshlrev_b32_e32 v3, v11, v3
	v_sub_u32_e32 v10, 29, v10
	v_and_b32_e32 v3, 7, v3
	v_cmp_eq_u16_e32 vcc, 0, v7
	v_cndmask_b32_e32 v3, v6, v3, vcc
	v_cndmask_b32_e32 v6, v7, v10, vcc
	v_lshlrev_b32_e32 v7, 16, v4
	v_mov_b32_e32 v10, 0x3b800000
	v_lshlrev_b32_e32 v3, 20, v3
	v_and_b32_e32 v7, 0x80000000, v7
	v_lshl_add_u32 v6, v6, 23, v10
	v_or3_b32 v6, v7, v6, v3
.LBB1_1232:
	s_or_b64 exec, exec, s[6:7]
	s_nop 0
	v_mfma_f32_16x16x4f32 a[0:3], v2, v6, a[0:3]
	s_movk_i32 s4, 0xff
	v_and_b32_sdwa v3, v8, s4 dst_sel:DWORD dst_unused:UNUSED_PAD src0_sel:WORD_1 src1_sel:DWORD
	s_movk_i32 s4, 0x7f
	v_cmp_lt_i16_e32 vcc, s4, v3
	s_mov_b64 s[4:5], 0
                                        ; implicit-def: $sgpr10
	s_and_saveexec_b64 s[6:7], vcc
	s_xor_b64 s[6:7], exec, s[6:7]
	s_cbranch_execnz .LBB1_3281
; %bb.1233:
	s_or_saveexec_b64 s[6:7], s[6:7]
	v_mov_b32_e32 v2, s10
	s_xor_b64 exec, exec, s[6:7]
	s_cbranch_execnz .LBB1_3284
.LBB1_1234:
	s_or_b64 exec, exec, s[6:7]
	s_and_saveexec_b64 s[6:7], s[4:5]
	s_cbranch_execz .LBB1_1236
.LBB1_1235:
	v_bfe_u32 v2, v8, 16, 3
	v_ffbh_u32_e32 v7, v2
	v_min_u32_e32 v7, 32, v7
	v_lshrrev_b32_e32 v3, 19, v8
	v_subrev_u32_e32 v10, 28, v7
	v_and_b32_e32 v3, 15, v3
	v_lshlrev_b32_sdwa v10, v10, v8 dst_sel:DWORD dst_unused:UNUSED_PAD src0_sel:DWORD src1_sel:WORD_1
	v_bfe_u32 v6, v8, 19, 4
	v_sub_u32_e32 v7, 29, v7
	v_and_b32_e32 v10, 7, v10
	v_cmp_eq_u16_e32 vcc, 0, v3
	v_cndmask_b32_e32 v2, v2, v10, vcc
	v_cndmask_b32_e32 v3, v6, v7, vcc
	v_lshlrev_b32_e32 v6, 8, v8
	v_mov_b32_e32 v7, 0x3b800000
	v_lshlrev_b32_e32 v2, 20, v2
	v_and_b32_e32 v6, 0x80000000, v6
	v_lshl_add_u32 v3, v3, 23, v7
	v_or3_b32 v2, v6, v3, v2
.LBB1_1236:
	s_or_b64 exec, exec, s[6:7]
	s_movk_i32 s4, 0xff
	v_and_b32_sdwa v3, v4, s4 dst_sel:DWORD dst_unused:UNUSED_PAD src0_sel:WORD_1 src1_sel:DWORD
	s_movk_i32 s4, 0x7f
	v_cmp_lt_i16_e32 vcc, s4, v3
	s_mov_b64 s[4:5], 0
                                        ; implicit-def: $sgpr10
	s_and_saveexec_b64 s[6:7], vcc
	s_xor_b64 s[6:7], exec, s[6:7]
	s_cbranch_execnz .LBB1_3285
; %bb.1237:
	s_or_saveexec_b64 s[6:7], s[6:7]
	v_mov_b32_e32 v6, s10
	s_xor_b64 exec, exec, s[6:7]
	s_cbranch_execnz .LBB1_3288
.LBB1_1238:
	s_or_b64 exec, exec, s[6:7]
	s_and_saveexec_b64 s[6:7], s[4:5]
	s_cbranch_execz .LBB1_1240
.LBB1_1239:
	v_bfe_u32 v3, v4, 16, 3
	v_ffbh_u32_e32 v10, v3
	v_min_u32_e32 v10, 32, v10
	v_lshrrev_b32_e32 v6, 19, v4
	v_subrev_u32_e32 v11, 28, v10
	v_and_b32_e32 v6, 15, v6
	v_lshlrev_b32_sdwa v11, v11, v4 dst_sel:DWORD dst_unused:UNUSED_PAD src0_sel:DWORD src1_sel:WORD_1
	v_bfe_u32 v7, v4, 19, 4
	v_sub_u32_e32 v10, 29, v10
	v_and_b32_e32 v11, 7, v11
	v_cmp_eq_u16_e32 vcc, 0, v6
	v_cndmask_b32_e32 v3, v3, v11, vcc
	v_cndmask_b32_e32 v6, v7, v10, vcc
	v_lshlrev_b32_e32 v7, 8, v4
	v_mov_b32_e32 v10, 0x3b800000
	v_lshlrev_b32_e32 v3, 20, v3
	v_and_b32_e32 v7, 0x80000000, v7
	v_lshl_add_u32 v6, v6, 23, v10
	v_or3_b32 v6, v7, v6, v3
.LBB1_1240:
	s_or_b64 exec, exec, s[6:7]
	s_nop 0
	v_mfma_f32_16x16x4f32 a[0:3], v2, v6, a[0:3]
	s_movk_i32 s4, 0x7f
	v_cmp_gt_i16_sdwa s[6:7], v8, s4 src0_sel:BYTE_3 src1_sel:DWORD
	s_mov_b64 s[4:5], 0
                                        ; implicit-def: $sgpr10
	s_and_saveexec_b64 s[8:9], s[6:7]
	s_xor_b64 s[6:7], exec, s[8:9]
	s_cbranch_execnz .LBB1_3289
; %bb.1241:
	s_or_saveexec_b64 s[6:7], s[6:7]
	v_mov_b32_e32 v2, s10
	s_xor_b64 exec, exec, s[6:7]
	s_cbranch_execnz .LBB1_3292
.LBB1_1242:
	s_or_b64 exec, exec, s[6:7]
	s_and_saveexec_b64 s[6:7], s[4:5]
	s_cbranch_execz .LBB1_1244
.LBB1_1243:
	v_bfe_u32 v2, v8, 24, 3
	v_ffbh_u32_e32 v10, v2
	v_min_u32_e32 v10, 32, v10
	v_lshrrev_b32_e32 v6, 27, v8
	v_subrev_u32_e32 v11, 28, v10
	v_and_b32_e32 v3, 0x80000000, v8
	v_and_b32_e32 v6, 15, v6
	v_bfe_u32 v7, v8, 27, 4
	v_lshlrev_b32_sdwa v8, v11, v8 dst_sel:DWORD dst_unused:UNUSED_PAD src0_sel:DWORD src1_sel:BYTE_3
	v_sub_u32_e32 v10, 29, v10
	v_and_b32_e32 v8, 7, v8
	v_cmp_eq_u16_e32 vcc, 0, v6
	v_cndmask_b32_e32 v2, v2, v8, vcc
	v_cndmask_b32_e32 v6, v7, v10, vcc
	v_mov_b32_e32 v7, 0x3b800000
	v_lshlrev_b32_e32 v2, 20, v2
	v_lshl_add_u32 v6, v6, 23, v7
	v_or3_b32 v2, v3, v6, v2
.LBB1_1244:
	s_or_b64 exec, exec, s[6:7]
	s_movk_i32 s4, 0x7f
	v_cmp_gt_i16_sdwa s[6:7], v4, s4 src0_sel:BYTE_3 src1_sel:DWORD
	s_mov_b64 s[4:5], 0
                                        ; implicit-def: $sgpr10
	s_and_saveexec_b64 s[8:9], s[6:7]
	s_xor_b64 s[6:7], exec, s[8:9]
	s_cbranch_execnz .LBB1_3293
; %bb.1245:
	s_or_saveexec_b64 s[6:7], s[6:7]
	v_mov_b32_e32 v3, s10
	s_xor_b64 exec, exec, s[6:7]
	s_cbranch_execnz .LBB1_3296
.LBB1_1246:
	s_or_b64 exec, exec, s[6:7]
	s_and_saveexec_b64 s[6:7], s[4:5]
	s_cbranch_execz .LBB1_1248
.LBB1_1247:
	v_bfe_u32 v3, v4, 24, 3
	v_ffbh_u32_e32 v10, v3
	v_min_u32_e32 v10, 32, v10
	v_lshrrev_b32_e32 v7, 27, v4
	v_subrev_u32_e32 v11, 28, v10
	v_and_b32_e32 v6, 0x80000000, v4
	v_and_b32_e32 v7, 15, v7
	v_bfe_u32 v8, v4, 27, 4
	v_lshlrev_b32_sdwa v4, v11, v4 dst_sel:DWORD dst_unused:UNUSED_PAD src0_sel:DWORD src1_sel:BYTE_3
	v_sub_u32_e32 v10, 29, v10
	v_and_b32_e32 v4, 7, v4
	v_cmp_eq_u16_e32 vcc, 0, v7
	v_cndmask_b32_e32 v3, v3, v4, vcc
	v_cndmask_b32_e32 v4, v8, v10, vcc
	v_mov_b32_e32 v7, 0x3b800000
	v_lshlrev_b32_e32 v3, 20, v3
	v_lshl_add_u32 v4, v4, 23, v7
	v_or3_b32 v3, v6, v4, v3
.LBB1_1248:
	s_or_b64 exec, exec, s[6:7]
	s_nop 0
	v_mfma_f32_16x16x4f32 a[0:3], v2, v3, a[0:3]
	s_movk_i32 s4, 0x7f
	v_cmp_gt_i16_sdwa s[6:7], v9, s4 src0_sel:BYTE_0 src1_sel:DWORD
	s_mov_b64 s[4:5], 0
                                        ; implicit-def: $sgpr10
	s_and_saveexec_b64 s[8:9], s[6:7]
	s_xor_b64 s[6:7], exec, s[8:9]
	s_cbranch_execnz .LBB1_3297
; %bb.1249:
	s_or_saveexec_b64 s[6:7], s[6:7]
	v_mov_b32_e32 v2, s10
	s_xor_b64 exec, exec, s[6:7]
	s_cbranch_execnz .LBB1_3300
.LBB1_1250:
	s_or_b64 exec, exec, s[6:7]
	s_and_saveexec_b64 s[6:7], s[4:5]
	s_cbranch_execz .LBB1_1252
.LBB1_1251:
	v_mov_b32_e32 v2, 8
	v_and_b32_e32 v3, 7, v9
	v_lshrrev_b32_sdwa v2, v2, v9 dst_sel:BYTE_1 dst_unused:UNUSED_PAD src0_sel:DWORD src1_sel:DWORD
	v_ffbh_u32_e32 v4, v3
	v_or_b32_sdwa v2, v9, v2 dst_sel:DWORD dst_unused:UNUSED_PAD src0_sel:BYTE_0 src1_sel:DWORD
	v_min_u32_e32 v4, 32, v4
	v_lshrrev_b16_e32 v2, 3, v2
	v_subrev_u32_e32 v6, 28, v4
	v_and_b32_e32 v2, 15, v2
	v_lshlrev_b32_e32 v6, v6, v9
	v_sub_u32_e32 v4, 29, v4
	v_and_b32_e32 v6, 7, v6
	v_cmp_eq_u16_e32 vcc, 0, v2
	v_cndmask_b32_e32 v3, v3, v6, vcc
	v_cndmask_b32_e32 v2, v2, v4, vcc
	v_lshlrev_b32_e32 v4, 24, v9
	v_mov_b32_e32 v6, 0x3b800000
	v_lshlrev_b32_e32 v3, 20, v3
	v_and_b32_e32 v4, 0x80000000, v4
	v_lshl_add_u32 v2, v2, 23, v6
	v_or3_b32 v2, v4, v2, v3
.LBB1_1252:
	s_or_b64 exec, exec, s[6:7]
	s_movk_i32 s4, 0x7f
	v_cmp_gt_i16_sdwa s[6:7], v5, s4 src0_sel:BYTE_0 src1_sel:DWORD
	s_mov_b64 s[4:5], 0
                                        ; implicit-def: $sgpr10
	s_and_saveexec_b64 s[8:9], s[6:7]
	s_xor_b64 s[6:7], exec, s[8:9]
	s_cbranch_execnz .LBB1_3301
; %bb.1253:
	s_or_saveexec_b64 s[6:7], s[6:7]
	v_mov_b32_e32 v3, s10
	s_xor_b64 exec, exec, s[6:7]
	s_cbranch_execnz .LBB1_3304
.LBB1_1254:
	s_or_b64 exec, exec, s[6:7]
	s_and_saveexec_b64 s[6:7], s[4:5]
	s_cbranch_execz .LBB1_1256
.LBB1_1255:
	v_mov_b32_e32 v3, 8
	v_and_b32_e32 v4, 7, v5
	v_lshrrev_b32_sdwa v3, v3, v5 dst_sel:BYTE_1 dst_unused:UNUSED_PAD src0_sel:DWORD src1_sel:DWORD
	v_ffbh_u32_e32 v6, v4
	v_or_b32_sdwa v3, v5, v3 dst_sel:DWORD dst_unused:UNUSED_PAD src0_sel:BYTE_0 src1_sel:DWORD
	v_min_u32_e32 v6, 32, v6
	v_lshrrev_b16_e32 v3, 3, v3
	v_subrev_u32_e32 v7, 28, v6
	v_and_b32_e32 v3, 15, v3
	v_lshlrev_b32_e32 v7, v7, v5
	v_sub_u32_e32 v6, 29, v6
	v_and_b32_e32 v7, 7, v7
	v_cmp_eq_u16_e32 vcc, 0, v3
	v_cndmask_b32_e32 v4, v4, v7, vcc
	v_cndmask_b32_e32 v3, v3, v6, vcc
	v_lshlrev_b32_e32 v6, 24, v5
	v_mov_b32_e32 v7, 0x3b800000
	v_lshlrev_b32_e32 v4, 20, v4
	v_and_b32_e32 v6, 0x80000000, v6
	v_lshl_add_u32 v3, v3, 23, v7
	v_or3_b32 v3, v6, v3, v4
.LBB1_1256:
	s_or_b64 exec, exec, s[6:7]
	s_nop 0
	v_mfma_f32_16x16x4f32 a[0:3], v2, v3, a[0:3]
	v_lshrrev_b32_e32 v3, 8, v9
	s_movk_i32 s4, 0x7f
	v_cmp_gt_i16_sdwa s[6:7], v3, s4 src0_sel:BYTE_0 src1_sel:DWORD
	s_mov_b64 s[4:5], 0
                                        ; implicit-def: $sgpr10
	s_and_saveexec_b64 s[8:9], s[6:7]
	s_xor_b64 s[6:7], exec, s[8:9]
	s_cbranch_execnz .LBB1_3305
; %bb.1257:
	s_or_saveexec_b64 s[6:7], s[6:7]
	v_mov_b32_e32 v2, s10
	s_xor_b64 exec, exec, s[6:7]
	s_cbranch_execnz .LBB1_3308
.LBB1_1258:
	s_or_b64 exec, exec, s[6:7]
	s_and_saveexec_b64 s[6:7], s[4:5]
	s_cbranch_execz .LBB1_1260
.LBB1_1259:
	v_bfe_u32 v2, v9, 8, 3
	v_ffbh_u32_e32 v6, v2
	v_min_u32_e32 v6, 32, v6
	v_lshrrev_b16_e32 v4, 3, v3
	v_subrev_u32_e32 v7, 28, v6
	v_and_b32_e32 v4, 15, v4
	v_lshlrev_b32_e32 v3, v7, v3
	v_sub_u32_e32 v6, 29, v6
	v_and_b32_e32 v3, 7, v3
	v_cmp_eq_u16_e32 vcc, 0, v4
	v_cndmask_b32_e32 v2, v2, v3, vcc
	v_cndmask_b32_e32 v3, v4, v6, vcc
	v_lshlrev_b32_e32 v4, 16, v9
	v_mov_b32_e32 v6, 0x3b800000
	v_lshlrev_b32_e32 v2, 20, v2
	v_and_b32_e32 v4, 0x80000000, v4
	v_lshl_add_u32 v3, v3, 23, v6
	v_or3_b32 v2, v4, v3, v2
.LBB1_1260:
	s_or_b64 exec, exec, s[6:7]
	v_lshrrev_b32_e32 v3, 8, v5
	s_movk_i32 s4, 0x7f
	v_cmp_gt_i16_sdwa s[6:7], v3, s4 src0_sel:BYTE_0 src1_sel:DWORD
	s_mov_b64 s[4:5], 0
                                        ; implicit-def: $sgpr10
	s_and_saveexec_b64 s[8:9], s[6:7]
	s_xor_b64 s[6:7], exec, s[8:9]
	s_cbranch_execnz .LBB1_3309
; %bb.1261:
	s_or_saveexec_b64 s[6:7], s[6:7]
	v_mov_b32_e32 v4, s10
	s_xor_b64 exec, exec, s[6:7]
	s_cbranch_execnz .LBB1_3312
.LBB1_1262:
	s_or_b64 exec, exec, s[6:7]
	s_and_saveexec_b64 s[6:7], s[4:5]
	s_cbranch_execz .LBB1_1264
.LBB1_1263:
	v_bfe_u32 v4, v5, 8, 3
	v_ffbh_u32_e32 v7, v4
	v_min_u32_e32 v7, 32, v7
	v_lshrrev_b16_e32 v6, 3, v3
	v_subrev_u32_e32 v8, 28, v7
	v_and_b32_e32 v6, 15, v6
	v_lshlrev_b32_e32 v3, v8, v3
	v_sub_u32_e32 v7, 29, v7
	v_and_b32_e32 v3, 7, v3
	v_cmp_eq_u16_e32 vcc, 0, v6
	v_cndmask_b32_e32 v3, v4, v3, vcc
	v_cndmask_b32_e32 v4, v6, v7, vcc
	v_lshlrev_b32_e32 v6, 16, v5
	v_mov_b32_e32 v7, 0x3b800000
	v_lshlrev_b32_e32 v3, 20, v3
	v_and_b32_e32 v6, 0x80000000, v6
	v_lshl_add_u32 v4, v4, 23, v7
	v_or3_b32 v4, v6, v4, v3
.LBB1_1264:
	s_or_b64 exec, exec, s[6:7]
	s_nop 0
	v_mfma_f32_16x16x4f32 a[0:3], v2, v4, a[0:3]
	s_movk_i32 s4, 0xff
	v_and_b32_sdwa v3, v9, s4 dst_sel:DWORD dst_unused:UNUSED_PAD src0_sel:WORD_1 src1_sel:DWORD
	s_movk_i32 s4, 0x7f
	v_cmp_lt_i16_e32 vcc, s4, v3
	s_mov_b64 s[4:5], 0
                                        ; implicit-def: $sgpr10
	s_and_saveexec_b64 s[6:7], vcc
	s_xor_b64 s[6:7], exec, s[6:7]
	s_cbranch_execnz .LBB1_3313
; %bb.1265:
	s_or_saveexec_b64 s[6:7], s[6:7]
	v_mov_b32_e32 v2, s10
	s_xor_b64 exec, exec, s[6:7]
	s_cbranch_execnz .LBB1_3316
.LBB1_1266:
	s_or_b64 exec, exec, s[6:7]
	s_and_saveexec_b64 s[6:7], s[4:5]
	s_cbranch_execz .LBB1_1268
.LBB1_1267:
	v_bfe_u32 v2, v9, 16, 3
	v_ffbh_u32_e32 v6, v2
	v_min_u32_e32 v6, 32, v6
	v_lshrrev_b32_e32 v3, 19, v9
	v_subrev_u32_e32 v7, 28, v6
	v_and_b32_e32 v3, 15, v3
	v_lshlrev_b32_sdwa v7, v7, v9 dst_sel:DWORD dst_unused:UNUSED_PAD src0_sel:DWORD src1_sel:WORD_1
	v_bfe_u32 v4, v9, 19, 4
	v_sub_u32_e32 v6, 29, v6
	v_and_b32_e32 v7, 7, v7
	v_cmp_eq_u16_e32 vcc, 0, v3
	v_cndmask_b32_e32 v2, v2, v7, vcc
	v_cndmask_b32_e32 v3, v4, v6, vcc
	v_lshlrev_b32_e32 v4, 8, v9
	v_mov_b32_e32 v6, 0x3b800000
	v_lshlrev_b32_e32 v2, 20, v2
	v_and_b32_e32 v4, 0x80000000, v4
	v_lshl_add_u32 v3, v3, 23, v6
	v_or3_b32 v2, v4, v3, v2
.LBB1_1268:
	s_or_b64 exec, exec, s[6:7]
	s_movk_i32 s4, 0xff
	v_and_b32_sdwa v3, v5, s4 dst_sel:DWORD dst_unused:UNUSED_PAD src0_sel:WORD_1 src1_sel:DWORD
	s_movk_i32 s4, 0x7f
	v_cmp_lt_i16_e32 vcc, s4, v3
	s_mov_b64 s[4:5], 0
                                        ; implicit-def: $sgpr10
	s_and_saveexec_b64 s[6:7], vcc
	s_xor_b64 s[6:7], exec, s[6:7]
	s_cbranch_execnz .LBB1_3317
; %bb.1269:
	s_or_saveexec_b64 s[6:7], s[6:7]
	v_mov_b32_e32 v4, s10
	s_xor_b64 exec, exec, s[6:7]
	s_cbranch_execnz .LBB1_3320
.LBB1_1270:
	s_or_b64 exec, exec, s[6:7]
	s_and_saveexec_b64 s[6:7], s[4:5]
	s_cbranch_execz .LBB1_1272
.LBB1_1271:
	v_bfe_u32 v3, v5, 16, 3
	v_ffbh_u32_e32 v7, v3
	v_min_u32_e32 v7, 32, v7
	v_lshrrev_b32_e32 v4, 19, v5
	v_subrev_u32_e32 v8, 28, v7
	v_and_b32_e32 v4, 15, v4
	v_lshlrev_b32_sdwa v8, v8, v5 dst_sel:DWORD dst_unused:UNUSED_PAD src0_sel:DWORD src1_sel:WORD_1
	v_bfe_u32 v6, v5, 19, 4
	v_sub_u32_e32 v7, 29, v7
	v_and_b32_e32 v8, 7, v8
	v_cmp_eq_u16_e32 vcc, 0, v4
	v_cndmask_b32_e32 v3, v3, v8, vcc
	v_cndmask_b32_e32 v4, v6, v7, vcc
	v_lshlrev_b32_e32 v6, 8, v5
	v_mov_b32_e32 v7, 0x3b800000
	v_lshlrev_b32_e32 v3, 20, v3
	v_and_b32_e32 v6, 0x80000000, v6
	v_lshl_add_u32 v4, v4, 23, v7
	v_or3_b32 v4, v6, v4, v3
.LBB1_1272:
	s_or_b64 exec, exec, s[6:7]
	s_nop 0
	v_mfma_f32_16x16x4f32 a[0:3], v2, v4, a[0:3]
	s_movk_i32 s4, 0x7f
	v_cmp_gt_i16_sdwa s[6:7], v9, s4 src0_sel:BYTE_3 src1_sel:DWORD
	s_mov_b64 s[4:5], 0
                                        ; implicit-def: $sgpr10
	s_and_saveexec_b64 s[8:9], s[6:7]
	s_xor_b64 s[6:7], exec, s[8:9]
	s_cbranch_execnz .LBB1_3321
; %bb.1273:
	s_or_saveexec_b64 s[6:7], s[6:7]
	v_mov_b32_e32 v2, s10
	s_xor_b64 exec, exec, s[6:7]
	s_cbranch_execnz .LBB1_3324
.LBB1_1274:
	s_or_b64 exec, exec, s[6:7]
	s_and_saveexec_b64 s[6:7], s[4:5]
	s_cbranch_execz .LBB1_1276
.LBB1_1275:
	v_bfe_u32 v2, v9, 24, 3
	v_ffbh_u32_e32 v7, v2
	v_min_u32_e32 v7, 32, v7
	v_lshrrev_b32_e32 v4, 27, v9
	v_subrev_u32_e32 v8, 28, v7
	v_and_b32_e32 v4, 15, v4
	v_lshlrev_b32_sdwa v8, v8, v9 dst_sel:DWORD dst_unused:UNUSED_PAD src0_sel:DWORD src1_sel:BYTE_3
	v_bfe_u32 v6, v9, 27, 4
	v_sub_u32_e32 v7, 29, v7
	v_and_b32_e32 v8, 7, v8
	v_cmp_eq_u16_e32 vcc, 0, v4
	v_cndmask_b32_e32 v2, v2, v8, vcc
	v_cndmask_b32_e32 v4, v6, v7, vcc
	v_mov_b32_e32 v6, 0x3b800000
	v_and_b32_e32 v3, 0x80000000, v9
	v_lshlrev_b32_e32 v2, 20, v2
	v_lshl_add_u32 v4, v4, 23, v6
	v_or3_b32 v2, v3, v4, v2
.LBB1_1276:
	s_or_b64 exec, exec, s[6:7]
	s_movk_i32 s4, 0x7f
	v_cmp_gt_i16_sdwa s[6:7], v5, s4 src0_sel:BYTE_3 src1_sel:DWORD
	s_mov_b64 s[4:5], 0
                                        ; implicit-def: $sgpr10
	s_and_saveexec_b64 s[8:9], s[6:7]
	s_xor_b64 s[6:7], exec, s[8:9]
	s_cbranch_execnz .LBB1_3325
; %bb.1277:
	s_or_saveexec_b64 s[6:7], s[6:7]
	v_mov_b32_e32 v3, s10
	s_xor_b64 exec, exec, s[6:7]
	s_cbranch_execnz .LBB1_3328
.LBB1_1278:
	s_or_b64 exec, exec, s[6:7]
	s_and_saveexec_b64 s[6:7], s[4:5]
	s_cbranch_execz .LBB1_1280
.LBB1_1279:
	v_bfe_u32 v3, v5, 24, 3
	v_ffbh_u32_e32 v8, v3
	v_min_u32_e32 v8, 32, v8
	v_lshrrev_b32_e32 v6, 27, v5
	v_subrev_u32_e32 v9, 28, v8
	v_and_b32_e32 v4, 0x80000000, v5
	v_and_b32_e32 v6, 15, v6
	v_bfe_u32 v7, v5, 27, 4
	v_lshlrev_b32_sdwa v5, v9, v5 dst_sel:DWORD dst_unused:UNUSED_PAD src0_sel:DWORD src1_sel:BYTE_3
	v_sub_u32_e32 v8, 29, v8
	v_and_b32_e32 v5, 7, v5
	v_cmp_eq_u16_e32 vcc, 0, v6
	v_cndmask_b32_e32 v3, v3, v5, vcc
	v_cndmask_b32_e32 v5, v7, v8, vcc
	v_mov_b32_e32 v6, 0x3b800000
	v_lshlrev_b32_e32 v3, 20, v3
	v_lshl_add_u32 v5, v5, 23, v6
	v_or3_b32 v3, v4, v5, v3
.LBB1_1280:
	s_or_b64 exec, exec, s[6:7]
	s_nop 0
	v_mfma_f32_16x16x4f32 a[0:3], v2, v3, a[0:3]
	s_movk_i32 s4, 0x7f
                                        ; implicit-def: $sgpr10
	s_nop 7
	s_nop 1
	flat_store_dwordx4 v[18:19], a[0:3] offset:64
	flat_load_dwordx4 v[20:23], v[0:1] offset:16
	s_nop 0
	flat_load_dwordx2 v[18:19], v[0:1] offset:32
	s_waitcnt vmcnt(0) lgkmcnt(0)
	flat_load_dwordx4 v[14:17], v[20:21]
	flat_load_dwordx4 v[6:9], v[20:21] offset:16
	flat_load_dwordx4 v[10:13], v[22:23] offset:160
	;; [unrolled: 1-line block ×3, first 2 shown]
	s_waitcnt vmcnt(0) lgkmcnt(0)
	v_cmp_gt_i16_sdwa s[6:7], v14, s4 src0_sel:BYTE_0 src1_sel:DWORD
	s_mov_b64 s[4:5], 0
	s_and_saveexec_b64 s[8:9], s[6:7]
	s_xor_b64 s[6:7], exec, s[8:9]
	s_cbranch_execnz .LBB1_3329
; %bb.1281:
	s_or_saveexec_b64 s[6:7], s[6:7]
	v_mov_b32_e32 v20, s10
	s_xor_b64 exec, exec, s[6:7]
	s_cbranch_execnz .LBB1_3332
.LBB1_1282:
	s_or_b64 exec, exec, s[6:7]
	s_and_saveexec_b64 s[6:7], s[4:5]
	s_cbranch_execz .LBB1_1284
.LBB1_1283:
	v_and_b32_e32 v20, 7, v14
	v_ffbh_u32_e32 v22, v20
	v_min_u32_e32 v22, 32, v22
	v_lshrrev_b16_e32 v21, 3, v14
	v_subrev_u32_e32 v23, 28, v22
	v_and_b32_e32 v21, 15, v21
	v_lshlrev_b32_e32 v23, v23, v14
	v_sub_u32_e32 v22, 29, v22
	v_and_b32_e32 v23, 7, v23
	v_cmp_eq_u16_e32 vcc, 0, v21
	v_cndmask_b32_e32 v20, v20, v23, vcc
	v_cndmask_b32_e32 v21, v21, v22, vcc
	v_lshlrev_b32_e32 v22, 24, v14
	v_mov_b32_e32 v23, 0x3b800000
	v_lshlrev_b32_e32 v20, 20, v20
	v_and_b32_e32 v22, 0x80000000, v22
	v_lshl_add_u32 v21, v21, 23, v23
	v_or3_b32 v20, v22, v21, v20
.LBB1_1284:
	s_or_b64 exec, exec, s[6:7]
	s_movk_i32 s4, 0x7f
	v_cmp_gt_i16_sdwa s[6:7], v10, s4 src0_sel:BYTE_0 src1_sel:DWORD
	s_mov_b64 s[4:5], 0
                                        ; implicit-def: $sgpr10
	s_and_saveexec_b64 s[8:9], s[6:7]
	s_xor_b64 s[6:7], exec, s[8:9]
	s_cbranch_execnz .LBB1_3333
; %bb.1285:
	s_or_saveexec_b64 s[6:7], s[6:7]
	v_mov_b32_e32 v21, s10
	s_xor_b64 exec, exec, s[6:7]
	s_cbranch_execnz .LBB1_3336
.LBB1_1286:
	s_or_b64 exec, exec, s[6:7]
	s_and_saveexec_b64 s[6:7], s[4:5]
	s_cbranch_execz .LBB1_1288
.LBB1_1287:
	v_and_b32_e32 v21, 7, v10
	v_ffbh_u32_e32 v23, v21
	v_min_u32_e32 v23, 32, v23
	v_lshrrev_b16_e32 v22, 3, v10
	v_subrev_u32_e32 v24, 28, v23
	v_and_b32_e32 v22, 15, v22
	v_lshlrev_b32_e32 v24, v24, v10
	v_sub_u32_e32 v23, 29, v23
	v_and_b32_e32 v24, 7, v24
	v_cmp_eq_u16_e32 vcc, 0, v22
	v_cndmask_b32_e32 v21, v21, v24, vcc
	v_cndmask_b32_e32 v22, v22, v23, vcc
	v_lshlrev_b32_e32 v23, 24, v10
	v_mov_b32_e32 v24, 0x3b800000
	v_lshlrev_b32_e32 v21, 20, v21
	v_and_b32_e32 v23, 0x80000000, v23
	v_lshl_add_u32 v22, v22, 23, v24
	v_or3_b32 v21, v23, v22, v21
.LBB1_1288:
	s_or_b64 exec, exec, s[6:7]
	flat_load_dwordx4 a[0:3], v[18:19] offset:80
	s_movk_i32 s4, 0x7f
                                        ; implicit-def: $sgpr10
	s_waitcnt vmcnt(0) lgkmcnt(0)
	v_mfma_f32_16x16x4f32 a[0:3], v20, v21, a[0:3]
	v_lshrrev_b32_e32 v21, 8, v14
	v_cmp_gt_i16_sdwa s[6:7], v21, s4 src0_sel:BYTE_0 src1_sel:DWORD
	s_mov_b64 s[4:5], 0
	s_and_saveexec_b64 s[8:9], s[6:7]
	s_xor_b64 s[6:7], exec, s[8:9]
	s_cbranch_execnz .LBB1_3337
; %bb.1289:
	s_or_saveexec_b64 s[6:7], s[6:7]
	v_mov_b32_e32 v20, s10
	s_xor_b64 exec, exec, s[6:7]
	s_cbranch_execnz .LBB1_3340
.LBB1_1290:
	s_or_b64 exec, exec, s[6:7]
	s_and_saveexec_b64 s[6:7], s[4:5]
	s_cbranch_execz .LBB1_1292
.LBB1_1291:
	v_bfe_u32 v20, v14, 8, 3
	v_ffbh_u32_e32 v23, v20
	v_min_u32_e32 v23, 32, v23
	v_lshrrev_b16_e32 v22, 3, v21
	v_subrev_u32_e32 v24, 28, v23
	v_and_b32_e32 v22, 15, v22
	v_lshlrev_b32_e32 v21, v24, v21
	v_sub_u32_e32 v23, 29, v23
	v_and_b32_e32 v21, 7, v21
	v_cmp_eq_u16_e32 vcc, 0, v22
	v_cndmask_b32_e32 v20, v20, v21, vcc
	v_cndmask_b32_e32 v21, v22, v23, vcc
	v_lshlrev_b32_e32 v22, 16, v14
	v_mov_b32_e32 v23, 0x3b800000
	v_lshlrev_b32_e32 v20, 20, v20
	v_and_b32_e32 v22, 0x80000000, v22
	v_lshl_add_u32 v21, v21, 23, v23
	v_or3_b32 v20, v22, v21, v20
.LBB1_1292:
	s_or_b64 exec, exec, s[6:7]
	v_lshrrev_b32_e32 v21, 8, v10
	s_movk_i32 s4, 0x7f
	v_cmp_gt_i16_sdwa s[6:7], v21, s4 src0_sel:BYTE_0 src1_sel:DWORD
	s_mov_b64 s[4:5], 0
                                        ; implicit-def: $sgpr10
	s_and_saveexec_b64 s[8:9], s[6:7]
	s_xor_b64 s[6:7], exec, s[8:9]
	s_cbranch_execnz .LBB1_3341
; %bb.1293:
	s_or_saveexec_b64 s[6:7], s[6:7]
	v_mov_b32_e32 v22, s10
	s_xor_b64 exec, exec, s[6:7]
	s_cbranch_execnz .LBB1_3344
.LBB1_1294:
	s_or_b64 exec, exec, s[6:7]
	s_and_saveexec_b64 s[6:7], s[4:5]
	s_cbranch_execz .LBB1_1296
.LBB1_1295:
	v_bfe_u32 v22, v10, 8, 3
	v_ffbh_u32_e32 v24, v22
	v_min_u32_e32 v24, 32, v24
	v_lshrrev_b16_e32 v23, 3, v21
	v_subrev_u32_e32 v25, 28, v24
	v_and_b32_e32 v23, 15, v23
	v_lshlrev_b32_e32 v21, v25, v21
	v_sub_u32_e32 v24, 29, v24
	v_and_b32_e32 v21, 7, v21
	v_cmp_eq_u16_e32 vcc, 0, v23
	v_cndmask_b32_e32 v21, v22, v21, vcc
	v_cndmask_b32_e32 v22, v23, v24, vcc
	v_lshlrev_b32_e32 v23, 16, v10
	v_mov_b32_e32 v24, 0x3b800000
	v_lshlrev_b32_e32 v21, 20, v21
	v_and_b32_e32 v23, 0x80000000, v23
	v_lshl_add_u32 v22, v22, 23, v24
	v_or3_b32 v22, v23, v22, v21
.LBB1_1296:
	s_or_b64 exec, exec, s[6:7]
	s_nop 0
	v_mfma_f32_16x16x4f32 a[0:3], v20, v22, a[0:3]
	s_movk_i32 s4, 0xff
	v_and_b32_sdwa v21, v14, s4 dst_sel:DWORD dst_unused:UNUSED_PAD src0_sel:WORD_1 src1_sel:DWORD
	s_movk_i32 s4, 0x7f
	v_cmp_lt_i16_e32 vcc, s4, v21
	s_mov_b64 s[4:5], 0
                                        ; implicit-def: $sgpr10
	s_and_saveexec_b64 s[6:7], vcc
	s_xor_b64 s[6:7], exec, s[6:7]
	s_cbranch_execnz .LBB1_3345
; %bb.1297:
	s_or_saveexec_b64 s[6:7], s[6:7]
	v_mov_b32_e32 v20, s10
	s_xor_b64 exec, exec, s[6:7]
	s_cbranch_execnz .LBB1_3348
.LBB1_1298:
	s_or_b64 exec, exec, s[6:7]
	s_and_saveexec_b64 s[6:7], s[4:5]
	s_cbranch_execz .LBB1_1300
.LBB1_1299:
	v_bfe_u32 v20, v14, 16, 3
	v_ffbh_u32_e32 v23, v20
	v_min_u32_e32 v23, 32, v23
	v_lshrrev_b32_e32 v21, 19, v14
	v_subrev_u32_e32 v24, 28, v23
	v_and_b32_e32 v21, 15, v21
	v_lshlrev_b32_sdwa v24, v24, v14 dst_sel:DWORD dst_unused:UNUSED_PAD src0_sel:DWORD src1_sel:WORD_1
	v_bfe_u32 v22, v14, 19, 4
	v_sub_u32_e32 v23, 29, v23
	v_and_b32_e32 v24, 7, v24
	v_cmp_eq_u16_e32 vcc, 0, v21
	v_cndmask_b32_e32 v20, v20, v24, vcc
	v_cndmask_b32_e32 v21, v22, v23, vcc
	v_lshlrev_b32_e32 v22, 8, v14
	v_mov_b32_e32 v23, 0x3b800000
	v_lshlrev_b32_e32 v20, 20, v20
	v_and_b32_e32 v22, 0x80000000, v22
	v_lshl_add_u32 v21, v21, 23, v23
	v_or3_b32 v20, v22, v21, v20
.LBB1_1300:
	s_or_b64 exec, exec, s[6:7]
	s_movk_i32 s4, 0xff
	v_and_b32_sdwa v21, v10, s4 dst_sel:DWORD dst_unused:UNUSED_PAD src0_sel:WORD_1 src1_sel:DWORD
	s_movk_i32 s4, 0x7f
	v_cmp_lt_i16_e32 vcc, s4, v21
	s_mov_b64 s[4:5], 0
                                        ; implicit-def: $sgpr10
	s_and_saveexec_b64 s[6:7], vcc
	s_xor_b64 s[6:7], exec, s[6:7]
	s_cbranch_execnz .LBB1_3349
; %bb.1301:
	s_or_saveexec_b64 s[6:7], s[6:7]
	v_mov_b32_e32 v22, s10
	s_xor_b64 exec, exec, s[6:7]
	s_cbranch_execnz .LBB1_3352
.LBB1_1302:
	s_or_b64 exec, exec, s[6:7]
	s_and_saveexec_b64 s[6:7], s[4:5]
	s_cbranch_execz .LBB1_1304
.LBB1_1303:
	v_bfe_u32 v21, v10, 16, 3
	v_ffbh_u32_e32 v24, v21
	v_min_u32_e32 v24, 32, v24
	v_lshrrev_b32_e32 v22, 19, v10
	v_subrev_u32_e32 v25, 28, v24
	v_and_b32_e32 v22, 15, v22
	v_lshlrev_b32_sdwa v25, v25, v10 dst_sel:DWORD dst_unused:UNUSED_PAD src0_sel:DWORD src1_sel:WORD_1
	v_bfe_u32 v23, v10, 19, 4
	v_sub_u32_e32 v24, 29, v24
	v_and_b32_e32 v25, 7, v25
	v_cmp_eq_u16_e32 vcc, 0, v22
	v_cndmask_b32_e32 v21, v21, v25, vcc
	v_cndmask_b32_e32 v22, v23, v24, vcc
	v_lshlrev_b32_e32 v23, 8, v10
	v_mov_b32_e32 v24, 0x3b800000
	v_lshlrev_b32_e32 v21, 20, v21
	v_and_b32_e32 v23, 0x80000000, v23
	v_lshl_add_u32 v22, v22, 23, v24
	v_or3_b32 v22, v23, v22, v21
.LBB1_1304:
	s_or_b64 exec, exec, s[6:7]
	s_nop 0
	v_mfma_f32_16x16x4f32 a[0:3], v20, v22, a[0:3]
	s_movk_i32 s4, 0x7f
	v_cmp_gt_i16_sdwa s[6:7], v14, s4 src0_sel:BYTE_3 src1_sel:DWORD
	s_mov_b64 s[4:5], 0
                                        ; implicit-def: $sgpr10
	s_and_saveexec_b64 s[8:9], s[6:7]
	s_xor_b64 s[6:7], exec, s[8:9]
	s_cbranch_execnz .LBB1_3353
; %bb.1305:
	s_or_saveexec_b64 s[6:7], s[6:7]
	v_mov_b32_e32 v20, s10
	s_xor_b64 exec, exec, s[6:7]
	s_cbranch_execnz .LBB1_3356
.LBB1_1306:
	s_or_b64 exec, exec, s[6:7]
	s_and_saveexec_b64 s[6:7], s[4:5]
	s_cbranch_execz .LBB1_1308
.LBB1_1307:
	v_bfe_u32 v20, v14, 24, 3
	v_ffbh_u32_e32 v24, v20
	v_min_u32_e32 v24, 32, v24
	v_lshrrev_b32_e32 v22, 27, v14
	v_subrev_u32_e32 v25, 28, v24
	v_and_b32_e32 v21, 0x80000000, v14
	v_and_b32_e32 v22, 15, v22
	v_bfe_u32 v23, v14, 27, 4
	v_lshlrev_b32_sdwa v14, v25, v14 dst_sel:DWORD dst_unused:UNUSED_PAD src0_sel:DWORD src1_sel:BYTE_3
	v_sub_u32_e32 v24, 29, v24
	v_and_b32_e32 v14, 7, v14
	v_cmp_eq_u16_e32 vcc, 0, v22
	v_cndmask_b32_e32 v14, v20, v14, vcc
	v_cndmask_b32_e32 v20, v23, v24, vcc
	v_mov_b32_e32 v22, 0x3b800000
	v_lshlrev_b32_e32 v14, 20, v14
	v_lshl_add_u32 v20, v20, 23, v22
	v_or3_b32 v20, v21, v20, v14
.LBB1_1308:
	s_or_b64 exec, exec, s[6:7]
	s_movk_i32 s4, 0x7f
	v_cmp_gt_i16_sdwa s[6:7], v10, s4 src0_sel:BYTE_3 src1_sel:DWORD
	s_mov_b64 s[4:5], 0
                                        ; implicit-def: $sgpr10
	s_and_saveexec_b64 s[8:9], s[6:7]
	s_xor_b64 s[6:7], exec, s[8:9]
	s_cbranch_execnz .LBB1_3357
; %bb.1309:
	s_or_saveexec_b64 s[6:7], s[6:7]
	v_mov_b32_e32 v14, s10
	s_xor_b64 exec, exec, s[6:7]
	s_cbranch_execnz .LBB1_3360
.LBB1_1310:
	s_or_b64 exec, exec, s[6:7]
	s_and_saveexec_b64 s[6:7], s[4:5]
	s_cbranch_execz .LBB1_1312
.LBB1_1311:
	v_bfe_u32 v14, v10, 24, 3
	v_ffbh_u32_e32 v24, v14
	v_min_u32_e32 v24, 32, v24
	v_lshrrev_b32_e32 v22, 27, v10
	v_subrev_u32_e32 v25, 28, v24
	v_and_b32_e32 v21, 0x80000000, v10
	v_and_b32_e32 v22, 15, v22
	v_bfe_u32 v23, v10, 27, 4
	v_lshlrev_b32_sdwa v10, v25, v10 dst_sel:DWORD dst_unused:UNUSED_PAD src0_sel:DWORD src1_sel:BYTE_3
	v_sub_u32_e32 v24, 29, v24
	v_and_b32_e32 v10, 7, v10
	v_cmp_eq_u16_e32 vcc, 0, v22
	v_cndmask_b32_e32 v10, v14, v10, vcc
	v_cndmask_b32_e32 v14, v23, v24, vcc
	v_mov_b32_e32 v22, 0x3b800000
	v_lshlrev_b32_e32 v10, 20, v10
	v_lshl_add_u32 v14, v14, 23, v22
	v_or3_b32 v14, v21, v14, v10
.LBB1_1312:
	s_or_b64 exec, exec, s[6:7]
	s_nop 0
	v_mfma_f32_16x16x4f32 a[0:3], v20, v14, a[0:3]
	s_movk_i32 s4, 0x7f
	v_cmp_gt_i16_sdwa s[6:7], v15, s4 src0_sel:BYTE_0 src1_sel:DWORD
	s_mov_b64 s[4:5], 0
                                        ; implicit-def: $sgpr10
	s_and_saveexec_b64 s[8:9], s[6:7]
	s_xor_b64 s[6:7], exec, s[8:9]
	s_cbranch_execnz .LBB1_3361
; %bb.1313:
	s_or_saveexec_b64 s[6:7], s[6:7]
	v_mov_b32_e32 v10, s10
	s_xor_b64 exec, exec, s[6:7]
	s_cbranch_execnz .LBB1_3364
.LBB1_1314:
	s_or_b64 exec, exec, s[6:7]
	s_and_saveexec_b64 s[6:7], s[4:5]
	s_cbranch_execz .LBB1_1316
.LBB1_1315:
	v_and_b32_e32 v10, 7, v15
	v_ffbh_u32_e32 v20, v10
	v_min_u32_e32 v20, 32, v20
	v_lshrrev_b16_e32 v14, 3, v15
	v_subrev_u32_e32 v21, 28, v20
	v_and_b32_e32 v14, 15, v14
	v_lshlrev_b32_e32 v21, v21, v15
	v_sub_u32_e32 v20, 29, v20
	v_and_b32_e32 v21, 7, v21
	v_cmp_eq_u16_e32 vcc, 0, v14
	v_cndmask_b32_e32 v10, v10, v21, vcc
	v_cndmask_b32_e32 v14, v14, v20, vcc
	v_lshlrev_b32_e32 v20, 24, v15
	v_mov_b32_e32 v21, 0x3b800000
	v_lshlrev_b32_e32 v10, 20, v10
	v_and_b32_e32 v20, 0x80000000, v20
	v_lshl_add_u32 v14, v14, 23, v21
	v_or3_b32 v10, v20, v14, v10
.LBB1_1316:
	s_or_b64 exec, exec, s[6:7]
	s_movk_i32 s4, 0x7f
	v_cmp_gt_i16_sdwa s[6:7], v11, s4 src0_sel:BYTE_0 src1_sel:DWORD
	s_mov_b64 s[4:5], 0
                                        ; implicit-def: $sgpr10
	s_and_saveexec_b64 s[8:9], s[6:7]
	s_xor_b64 s[6:7], exec, s[8:9]
	s_cbranch_execnz .LBB1_3365
; %bb.1317:
	s_or_saveexec_b64 s[6:7], s[6:7]
	v_mov_b32_e32 v14, s10
	s_xor_b64 exec, exec, s[6:7]
	s_cbranch_execnz .LBB1_3368
.LBB1_1318:
	s_or_b64 exec, exec, s[6:7]
	s_and_saveexec_b64 s[6:7], s[4:5]
	s_cbranch_execz .LBB1_1320
.LBB1_1319:
	v_and_b32_e32 v14, 7, v11
	v_ffbh_u32_e32 v21, v14
	v_min_u32_e32 v21, 32, v21
	v_lshrrev_b16_e32 v20, 3, v11
	v_subrev_u32_e32 v22, 28, v21
	v_and_b32_e32 v20, 15, v20
	v_lshlrev_b32_e32 v22, v22, v11
	v_sub_u32_e32 v21, 29, v21
	v_and_b32_e32 v22, 7, v22
	v_cmp_eq_u16_e32 vcc, 0, v20
	v_cndmask_b32_e32 v14, v14, v22, vcc
	v_cndmask_b32_e32 v20, v20, v21, vcc
	v_lshlrev_b32_e32 v21, 24, v11
	v_mov_b32_e32 v22, 0x3b800000
	v_lshlrev_b32_e32 v14, 20, v14
	v_and_b32_e32 v21, 0x80000000, v21
	v_lshl_add_u32 v20, v20, 23, v22
	v_or3_b32 v14, v21, v20, v14
.LBB1_1320:
	s_or_b64 exec, exec, s[6:7]
	s_nop 0
	v_mfma_f32_16x16x4f32 a[0:3], v10, v14, a[0:3]
	v_lshrrev_b32_e32 v14, 8, v15
	s_movk_i32 s4, 0x7f
	v_cmp_gt_i16_sdwa s[6:7], v14, s4 src0_sel:BYTE_0 src1_sel:DWORD
	s_mov_b64 s[4:5], 0
                                        ; implicit-def: $sgpr10
	s_and_saveexec_b64 s[8:9], s[6:7]
	s_xor_b64 s[6:7], exec, s[8:9]
	s_cbranch_execnz .LBB1_3369
; %bb.1321:
	s_or_saveexec_b64 s[6:7], s[6:7]
	v_mov_b32_e32 v10, s10
	s_xor_b64 exec, exec, s[6:7]
	s_cbranch_execnz .LBB1_3372
.LBB1_1322:
	s_or_b64 exec, exec, s[6:7]
	s_and_saveexec_b64 s[6:7], s[4:5]
	s_cbranch_execz .LBB1_1324
.LBB1_1323:
	v_bfe_u32 v10, v15, 8, 3
	v_ffbh_u32_e32 v21, v10
	v_min_u32_e32 v21, 32, v21
	v_lshrrev_b16_e32 v20, 3, v14
	v_subrev_u32_e32 v22, 28, v21
	v_and_b32_e32 v20, 15, v20
	v_lshlrev_b32_e32 v14, v22, v14
	v_sub_u32_e32 v21, 29, v21
	v_and_b32_e32 v14, 7, v14
	v_cmp_eq_u16_e32 vcc, 0, v20
	v_cndmask_b32_e32 v10, v10, v14, vcc
	v_cndmask_b32_e32 v14, v20, v21, vcc
	v_lshlrev_b32_e32 v20, 16, v15
	v_mov_b32_e32 v21, 0x3b800000
	v_lshlrev_b32_e32 v10, 20, v10
	v_and_b32_e32 v20, 0x80000000, v20
	v_lshl_add_u32 v14, v14, 23, v21
	v_or3_b32 v10, v20, v14, v10
.LBB1_1324:
	s_or_b64 exec, exec, s[6:7]
	v_lshrrev_b32_e32 v14, 8, v11
	s_movk_i32 s4, 0x7f
	v_cmp_gt_i16_sdwa s[6:7], v14, s4 src0_sel:BYTE_0 src1_sel:DWORD
	s_mov_b64 s[4:5], 0
                                        ; implicit-def: $sgpr10
	s_and_saveexec_b64 s[8:9], s[6:7]
	s_xor_b64 s[6:7], exec, s[8:9]
	s_cbranch_execnz .LBB1_3373
; %bb.1325:
	s_or_saveexec_b64 s[6:7], s[6:7]
	v_mov_b32_e32 v20, s10
	s_xor_b64 exec, exec, s[6:7]
	s_cbranch_execnz .LBB1_3376
.LBB1_1326:
	s_or_b64 exec, exec, s[6:7]
	s_and_saveexec_b64 s[6:7], s[4:5]
	s_cbranch_execz .LBB1_1328
.LBB1_1327:
	v_bfe_u32 v20, v11, 8, 3
	v_ffbh_u32_e32 v22, v20
	v_min_u32_e32 v22, 32, v22
	v_lshrrev_b16_e32 v21, 3, v14
	v_subrev_u32_e32 v23, 28, v22
	v_and_b32_e32 v21, 15, v21
	v_lshlrev_b32_e32 v14, v23, v14
	v_sub_u32_e32 v22, 29, v22
	v_and_b32_e32 v14, 7, v14
	v_cmp_eq_u16_e32 vcc, 0, v21
	v_cndmask_b32_e32 v14, v20, v14, vcc
	v_cndmask_b32_e32 v20, v21, v22, vcc
	v_lshlrev_b32_e32 v21, 16, v11
	v_mov_b32_e32 v22, 0x3b800000
	v_lshlrev_b32_e32 v14, 20, v14
	v_and_b32_e32 v21, 0x80000000, v21
	v_lshl_add_u32 v20, v20, 23, v22
	v_or3_b32 v20, v21, v20, v14
.LBB1_1328:
	s_or_b64 exec, exec, s[6:7]
	s_nop 0
	v_mfma_f32_16x16x4f32 a[0:3], v10, v20, a[0:3]
	s_movk_i32 s4, 0xff
	v_and_b32_sdwa v14, v15, s4 dst_sel:DWORD dst_unused:UNUSED_PAD src0_sel:WORD_1 src1_sel:DWORD
	s_movk_i32 s4, 0x7f
	v_cmp_lt_i16_e32 vcc, s4, v14
	s_mov_b64 s[4:5], 0
                                        ; implicit-def: $sgpr10
	s_and_saveexec_b64 s[6:7], vcc
	s_xor_b64 s[6:7], exec, s[6:7]
	s_cbranch_execnz .LBB1_3377
; %bb.1329:
	s_or_saveexec_b64 s[6:7], s[6:7]
	v_mov_b32_e32 v10, s10
	s_xor_b64 exec, exec, s[6:7]
	s_cbranch_execnz .LBB1_3380
.LBB1_1330:
	s_or_b64 exec, exec, s[6:7]
	s_and_saveexec_b64 s[6:7], s[4:5]
	s_cbranch_execz .LBB1_1332
.LBB1_1331:
	v_bfe_u32 v10, v15, 16, 3
	v_ffbh_u32_e32 v21, v10
	v_min_u32_e32 v21, 32, v21
	v_lshrrev_b32_e32 v14, 19, v15
	v_subrev_u32_e32 v22, 28, v21
	v_and_b32_e32 v14, 15, v14
	v_lshlrev_b32_sdwa v22, v22, v15 dst_sel:DWORD dst_unused:UNUSED_PAD src0_sel:DWORD src1_sel:WORD_1
	v_bfe_u32 v20, v15, 19, 4
	v_sub_u32_e32 v21, 29, v21
	v_and_b32_e32 v22, 7, v22
	v_cmp_eq_u16_e32 vcc, 0, v14
	v_cndmask_b32_e32 v10, v10, v22, vcc
	v_cndmask_b32_e32 v14, v20, v21, vcc
	v_lshlrev_b32_e32 v20, 8, v15
	v_mov_b32_e32 v21, 0x3b800000
	v_lshlrev_b32_e32 v10, 20, v10
	v_and_b32_e32 v20, 0x80000000, v20
	v_lshl_add_u32 v14, v14, 23, v21
	v_or3_b32 v10, v20, v14, v10
.LBB1_1332:
	s_or_b64 exec, exec, s[6:7]
	s_movk_i32 s4, 0xff
	v_and_b32_sdwa v14, v11, s4 dst_sel:DWORD dst_unused:UNUSED_PAD src0_sel:WORD_1 src1_sel:DWORD
	s_movk_i32 s4, 0x7f
	v_cmp_lt_i16_e32 vcc, s4, v14
	s_mov_b64 s[4:5], 0
                                        ; implicit-def: $sgpr10
	s_and_saveexec_b64 s[6:7], vcc
	s_xor_b64 s[6:7], exec, s[6:7]
	s_cbranch_execnz .LBB1_3381
; %bb.1333:
	s_or_saveexec_b64 s[6:7], s[6:7]
	v_mov_b32_e32 v20, s10
	s_xor_b64 exec, exec, s[6:7]
	s_cbranch_execnz .LBB1_3384
.LBB1_1334:
	s_or_b64 exec, exec, s[6:7]
	s_and_saveexec_b64 s[6:7], s[4:5]
	s_cbranch_execz .LBB1_1336
.LBB1_1335:
	v_bfe_u32 v14, v11, 16, 3
	v_ffbh_u32_e32 v22, v14
	v_min_u32_e32 v22, 32, v22
	v_lshrrev_b32_e32 v20, 19, v11
	v_subrev_u32_e32 v23, 28, v22
	v_and_b32_e32 v20, 15, v20
	v_lshlrev_b32_sdwa v23, v23, v11 dst_sel:DWORD dst_unused:UNUSED_PAD src0_sel:DWORD src1_sel:WORD_1
	v_bfe_u32 v21, v11, 19, 4
	v_sub_u32_e32 v22, 29, v22
	v_and_b32_e32 v23, 7, v23
	v_cmp_eq_u16_e32 vcc, 0, v20
	v_cndmask_b32_e32 v14, v14, v23, vcc
	v_cndmask_b32_e32 v20, v21, v22, vcc
	v_lshlrev_b32_e32 v21, 8, v11
	v_mov_b32_e32 v22, 0x3b800000
	v_lshlrev_b32_e32 v14, 20, v14
	v_and_b32_e32 v21, 0x80000000, v21
	v_lshl_add_u32 v20, v20, 23, v22
	v_or3_b32 v20, v21, v20, v14
.LBB1_1336:
	s_or_b64 exec, exec, s[6:7]
	s_nop 0
	v_mfma_f32_16x16x4f32 a[0:3], v10, v20, a[0:3]
	s_movk_i32 s4, 0x7f
	v_cmp_gt_i16_sdwa s[6:7], v15, s4 src0_sel:BYTE_3 src1_sel:DWORD
	s_mov_b64 s[4:5], 0
                                        ; implicit-def: $sgpr10
	s_and_saveexec_b64 s[8:9], s[6:7]
	s_xor_b64 s[6:7], exec, s[8:9]
	s_cbranch_execnz .LBB1_3385
; %bb.1337:
	s_or_saveexec_b64 s[6:7], s[6:7]
	v_mov_b32_e32 v10, s10
	s_xor_b64 exec, exec, s[6:7]
	s_cbranch_execnz .LBB1_3388
.LBB1_1338:
	s_or_b64 exec, exec, s[6:7]
	s_and_saveexec_b64 s[6:7], s[4:5]
	s_cbranch_execz .LBB1_1340
.LBB1_1339:
	v_bfe_u32 v10, v15, 24, 3
	v_ffbh_u32_e32 v22, v10
	v_min_u32_e32 v22, 32, v22
	v_lshrrev_b32_e32 v20, 27, v15
	v_subrev_u32_e32 v23, 28, v22
	v_and_b32_e32 v14, 0x80000000, v15
	v_and_b32_e32 v20, 15, v20
	v_bfe_u32 v21, v15, 27, 4
	v_lshlrev_b32_sdwa v15, v23, v15 dst_sel:DWORD dst_unused:UNUSED_PAD src0_sel:DWORD src1_sel:BYTE_3
	v_sub_u32_e32 v22, 29, v22
	v_and_b32_e32 v15, 7, v15
	v_cmp_eq_u16_e32 vcc, 0, v20
	v_cndmask_b32_e32 v10, v10, v15, vcc
	v_cndmask_b32_e32 v15, v21, v22, vcc
	v_mov_b32_e32 v20, 0x3b800000
	v_lshlrev_b32_e32 v10, 20, v10
	v_lshl_add_u32 v15, v15, 23, v20
	v_or3_b32 v10, v14, v15, v10
.LBB1_1340:
	s_or_b64 exec, exec, s[6:7]
	s_movk_i32 s4, 0x7f
	v_cmp_gt_i16_sdwa s[6:7], v11, s4 src0_sel:BYTE_3 src1_sel:DWORD
	s_mov_b64 s[4:5], 0
                                        ; implicit-def: $sgpr10
	s_and_saveexec_b64 s[8:9], s[6:7]
	s_xor_b64 s[6:7], exec, s[8:9]
	s_cbranch_execnz .LBB1_3389
; %bb.1341:
	s_or_saveexec_b64 s[6:7], s[6:7]
	v_mov_b32_e32 v14, s10
	s_xor_b64 exec, exec, s[6:7]
	s_cbranch_execnz .LBB1_3392
.LBB1_1342:
	s_or_b64 exec, exec, s[6:7]
	s_and_saveexec_b64 s[6:7], s[4:5]
	s_cbranch_execz .LBB1_1344
.LBB1_1343:
	v_bfe_u32 v14, v11, 24, 3
	v_ffbh_u32_e32 v22, v14
	v_min_u32_e32 v22, 32, v22
	v_lshrrev_b32_e32 v20, 27, v11
	v_subrev_u32_e32 v23, 28, v22
	v_and_b32_e32 v15, 0x80000000, v11
	v_and_b32_e32 v20, 15, v20
	v_bfe_u32 v21, v11, 27, 4
	v_lshlrev_b32_sdwa v11, v23, v11 dst_sel:DWORD dst_unused:UNUSED_PAD src0_sel:DWORD src1_sel:BYTE_3
	v_sub_u32_e32 v22, 29, v22
	v_and_b32_e32 v11, 7, v11
	v_cmp_eq_u16_e32 vcc, 0, v20
	v_cndmask_b32_e32 v11, v14, v11, vcc
	v_cndmask_b32_e32 v14, v21, v22, vcc
	v_mov_b32_e32 v20, 0x3b800000
	v_lshlrev_b32_e32 v11, 20, v11
	v_lshl_add_u32 v14, v14, 23, v20
	v_or3_b32 v14, v15, v14, v11
.LBB1_1344:
	s_or_b64 exec, exec, s[6:7]
	s_nop 0
	v_mfma_f32_16x16x4f32 a[0:3], v10, v14, a[0:3]
	s_movk_i32 s4, 0x7f
	v_cmp_gt_i16_sdwa s[6:7], v16, s4 src0_sel:BYTE_0 src1_sel:DWORD
	s_mov_b64 s[4:5], 0
                                        ; implicit-def: $sgpr10
	s_and_saveexec_b64 s[8:9], s[6:7]
	s_xor_b64 s[6:7], exec, s[8:9]
	s_cbranch_execnz .LBB1_3393
; %bb.1345:
	s_or_saveexec_b64 s[6:7], s[6:7]
	v_mov_b32_e32 v10, s10
	s_xor_b64 exec, exec, s[6:7]
	s_cbranch_execnz .LBB1_3396
.LBB1_1346:
	s_or_b64 exec, exec, s[6:7]
	s_and_saveexec_b64 s[6:7], s[4:5]
	s_cbranch_execz .LBB1_1348
.LBB1_1347:
	v_and_b32_e32 v10, 7, v16
	v_ffbh_u32_e32 v14, v10
	v_min_u32_e32 v14, 32, v14
	v_lshrrev_b16_e32 v11, 3, v16
	v_subrev_u32_e32 v15, 28, v14
	v_and_b32_e32 v11, 15, v11
	v_lshlrev_b32_e32 v15, v15, v16
	v_sub_u32_e32 v14, 29, v14
	v_and_b32_e32 v15, 7, v15
	v_cmp_eq_u16_e32 vcc, 0, v11
	v_cndmask_b32_e32 v10, v10, v15, vcc
	v_cndmask_b32_e32 v11, v11, v14, vcc
	v_lshlrev_b32_e32 v14, 24, v16
	v_mov_b32_e32 v15, 0x3b800000
	v_lshlrev_b32_e32 v10, 20, v10
	v_and_b32_e32 v14, 0x80000000, v14
	v_lshl_add_u32 v11, v11, 23, v15
	v_or3_b32 v10, v14, v11, v10
.LBB1_1348:
	s_or_b64 exec, exec, s[6:7]
	s_movk_i32 s4, 0x7f
	v_cmp_gt_i16_sdwa s[6:7], v12, s4 src0_sel:BYTE_0 src1_sel:DWORD
	s_mov_b64 s[4:5], 0
                                        ; implicit-def: $sgpr10
	s_and_saveexec_b64 s[8:9], s[6:7]
	s_xor_b64 s[6:7], exec, s[8:9]
	s_cbranch_execnz .LBB1_3397
; %bb.1349:
	s_or_saveexec_b64 s[6:7], s[6:7]
	v_mov_b32_e32 v11, s10
	s_xor_b64 exec, exec, s[6:7]
	s_cbranch_execnz .LBB1_3400
.LBB1_1350:
	s_or_b64 exec, exec, s[6:7]
	s_and_saveexec_b64 s[6:7], s[4:5]
	s_cbranch_execz .LBB1_1352
.LBB1_1351:
	v_and_b32_e32 v11, 7, v12
	v_ffbh_u32_e32 v15, v11
	v_min_u32_e32 v15, 32, v15
	v_lshrrev_b16_e32 v14, 3, v12
	v_subrev_u32_e32 v20, 28, v15
	v_and_b32_e32 v14, 15, v14
	v_lshlrev_b32_e32 v20, v20, v12
	v_sub_u32_e32 v15, 29, v15
	v_and_b32_e32 v20, 7, v20
	v_cmp_eq_u16_e32 vcc, 0, v14
	v_cndmask_b32_e32 v11, v11, v20, vcc
	v_cndmask_b32_e32 v14, v14, v15, vcc
	v_lshlrev_b32_e32 v15, 24, v12
	v_mov_b32_e32 v20, 0x3b800000
	v_lshlrev_b32_e32 v11, 20, v11
	v_and_b32_e32 v15, 0x80000000, v15
	v_lshl_add_u32 v14, v14, 23, v20
	v_or3_b32 v11, v15, v14, v11
.LBB1_1352:
	s_or_b64 exec, exec, s[6:7]
	s_nop 0
	v_mfma_f32_16x16x4f32 a[0:3], v10, v11, a[0:3]
	v_lshrrev_b32_e32 v11, 8, v16
	s_movk_i32 s4, 0x7f
	v_cmp_gt_i16_sdwa s[6:7], v11, s4 src0_sel:BYTE_0 src1_sel:DWORD
	s_mov_b64 s[4:5], 0
                                        ; implicit-def: $sgpr10
	s_and_saveexec_b64 s[8:9], s[6:7]
	s_xor_b64 s[6:7], exec, s[8:9]
	s_cbranch_execnz .LBB1_3401
; %bb.1353:
	s_or_saveexec_b64 s[6:7], s[6:7]
	v_mov_b32_e32 v10, s10
	s_xor_b64 exec, exec, s[6:7]
	s_cbranch_execnz .LBB1_3404
.LBB1_1354:
	s_or_b64 exec, exec, s[6:7]
	s_and_saveexec_b64 s[6:7], s[4:5]
	s_cbranch_execz .LBB1_1356
.LBB1_1355:
	v_bfe_u32 v10, v16, 8, 3
	v_ffbh_u32_e32 v15, v10
	v_min_u32_e32 v15, 32, v15
	v_lshrrev_b16_e32 v14, 3, v11
	v_subrev_u32_e32 v20, 28, v15
	v_and_b32_e32 v14, 15, v14
	v_lshlrev_b32_e32 v11, v20, v11
	v_sub_u32_e32 v15, 29, v15
	v_and_b32_e32 v11, 7, v11
	v_cmp_eq_u16_e32 vcc, 0, v14
	v_cndmask_b32_e32 v10, v10, v11, vcc
	v_cndmask_b32_e32 v11, v14, v15, vcc
	v_lshlrev_b32_e32 v14, 16, v16
	v_mov_b32_e32 v15, 0x3b800000
	v_lshlrev_b32_e32 v10, 20, v10
	v_and_b32_e32 v14, 0x80000000, v14
	v_lshl_add_u32 v11, v11, 23, v15
	v_or3_b32 v10, v14, v11, v10
.LBB1_1356:
	s_or_b64 exec, exec, s[6:7]
	v_lshrrev_b32_e32 v11, 8, v12
	s_movk_i32 s4, 0x7f
	v_cmp_gt_i16_sdwa s[6:7], v11, s4 src0_sel:BYTE_0 src1_sel:DWORD
	s_mov_b64 s[4:5], 0
                                        ; implicit-def: $sgpr10
	s_and_saveexec_b64 s[8:9], s[6:7]
	s_xor_b64 s[6:7], exec, s[8:9]
	s_cbranch_execnz .LBB1_3405
; %bb.1357:
	s_or_saveexec_b64 s[6:7], s[6:7]
	v_mov_b32_e32 v14, s10
	s_xor_b64 exec, exec, s[6:7]
	s_cbranch_execnz .LBB1_3408
.LBB1_1358:
	s_or_b64 exec, exec, s[6:7]
	s_and_saveexec_b64 s[6:7], s[4:5]
	s_cbranch_execz .LBB1_1360
.LBB1_1359:
	v_bfe_u32 v14, v12, 8, 3
	v_ffbh_u32_e32 v20, v14
	v_min_u32_e32 v20, 32, v20
	v_lshrrev_b16_e32 v15, 3, v11
	v_subrev_u32_e32 v21, 28, v20
	v_and_b32_e32 v15, 15, v15
	v_lshlrev_b32_e32 v11, v21, v11
	v_sub_u32_e32 v20, 29, v20
	v_and_b32_e32 v11, 7, v11
	v_cmp_eq_u16_e32 vcc, 0, v15
	v_cndmask_b32_e32 v11, v14, v11, vcc
	v_cndmask_b32_e32 v14, v15, v20, vcc
	v_lshlrev_b32_e32 v15, 16, v12
	v_mov_b32_e32 v20, 0x3b800000
	v_lshlrev_b32_e32 v11, 20, v11
	v_and_b32_e32 v15, 0x80000000, v15
	v_lshl_add_u32 v14, v14, 23, v20
	v_or3_b32 v14, v15, v14, v11
.LBB1_1360:
	s_or_b64 exec, exec, s[6:7]
	s_nop 0
	v_mfma_f32_16x16x4f32 a[0:3], v10, v14, a[0:3]
	s_movk_i32 s4, 0xff
	v_and_b32_sdwa v11, v16, s4 dst_sel:DWORD dst_unused:UNUSED_PAD src0_sel:WORD_1 src1_sel:DWORD
	s_movk_i32 s4, 0x7f
	v_cmp_lt_i16_e32 vcc, s4, v11
	s_mov_b64 s[4:5], 0
                                        ; implicit-def: $sgpr10
	s_and_saveexec_b64 s[6:7], vcc
	s_xor_b64 s[6:7], exec, s[6:7]
	s_cbranch_execnz .LBB1_3409
; %bb.1361:
	s_or_saveexec_b64 s[6:7], s[6:7]
	v_mov_b32_e32 v10, s10
	s_xor_b64 exec, exec, s[6:7]
	s_cbranch_execnz .LBB1_3412
.LBB1_1362:
	s_or_b64 exec, exec, s[6:7]
	s_and_saveexec_b64 s[6:7], s[4:5]
	s_cbranch_execz .LBB1_1364
.LBB1_1363:
	v_bfe_u32 v10, v16, 16, 3
	v_ffbh_u32_e32 v15, v10
	v_min_u32_e32 v15, 32, v15
	v_lshrrev_b32_e32 v11, 19, v16
	v_subrev_u32_e32 v20, 28, v15
	v_and_b32_e32 v11, 15, v11
	v_lshlrev_b32_sdwa v20, v20, v16 dst_sel:DWORD dst_unused:UNUSED_PAD src0_sel:DWORD src1_sel:WORD_1
	v_bfe_u32 v14, v16, 19, 4
	v_sub_u32_e32 v15, 29, v15
	v_and_b32_e32 v20, 7, v20
	v_cmp_eq_u16_e32 vcc, 0, v11
	v_cndmask_b32_e32 v10, v10, v20, vcc
	v_cndmask_b32_e32 v11, v14, v15, vcc
	v_lshlrev_b32_e32 v14, 8, v16
	v_mov_b32_e32 v15, 0x3b800000
	v_lshlrev_b32_e32 v10, 20, v10
	v_and_b32_e32 v14, 0x80000000, v14
	v_lshl_add_u32 v11, v11, 23, v15
	v_or3_b32 v10, v14, v11, v10
.LBB1_1364:
	s_or_b64 exec, exec, s[6:7]
	s_movk_i32 s4, 0xff
	v_and_b32_sdwa v11, v12, s4 dst_sel:DWORD dst_unused:UNUSED_PAD src0_sel:WORD_1 src1_sel:DWORD
	s_movk_i32 s4, 0x7f
	v_cmp_lt_i16_e32 vcc, s4, v11
	s_mov_b64 s[4:5], 0
                                        ; implicit-def: $sgpr10
	s_and_saveexec_b64 s[6:7], vcc
	s_xor_b64 s[6:7], exec, s[6:7]
	s_cbranch_execnz .LBB1_3413
; %bb.1365:
	s_or_saveexec_b64 s[6:7], s[6:7]
	v_mov_b32_e32 v14, s10
	s_xor_b64 exec, exec, s[6:7]
	s_cbranch_execnz .LBB1_3416
.LBB1_1366:
	s_or_b64 exec, exec, s[6:7]
	s_and_saveexec_b64 s[6:7], s[4:5]
	s_cbranch_execz .LBB1_1368
.LBB1_1367:
	v_bfe_u32 v11, v12, 16, 3
	v_ffbh_u32_e32 v20, v11
	v_min_u32_e32 v20, 32, v20
	v_lshrrev_b32_e32 v14, 19, v12
	v_subrev_u32_e32 v21, 28, v20
	v_and_b32_e32 v14, 15, v14
	v_lshlrev_b32_sdwa v21, v21, v12 dst_sel:DWORD dst_unused:UNUSED_PAD src0_sel:DWORD src1_sel:WORD_1
	v_bfe_u32 v15, v12, 19, 4
	v_sub_u32_e32 v20, 29, v20
	v_and_b32_e32 v21, 7, v21
	v_cmp_eq_u16_e32 vcc, 0, v14
	v_cndmask_b32_e32 v11, v11, v21, vcc
	v_cndmask_b32_e32 v14, v15, v20, vcc
	v_lshlrev_b32_e32 v15, 8, v12
	v_mov_b32_e32 v20, 0x3b800000
	v_lshlrev_b32_e32 v11, 20, v11
	v_and_b32_e32 v15, 0x80000000, v15
	v_lshl_add_u32 v14, v14, 23, v20
	v_or3_b32 v14, v15, v14, v11
.LBB1_1368:
	s_or_b64 exec, exec, s[6:7]
	s_nop 0
	v_mfma_f32_16x16x4f32 a[0:3], v10, v14, a[0:3]
	s_movk_i32 s4, 0x7f
	v_cmp_gt_i16_sdwa s[6:7], v16, s4 src0_sel:BYTE_3 src1_sel:DWORD
	s_mov_b64 s[4:5], 0
                                        ; implicit-def: $sgpr10
	s_and_saveexec_b64 s[8:9], s[6:7]
	s_xor_b64 s[6:7], exec, s[8:9]
	s_cbranch_execnz .LBB1_3417
; %bb.1369:
	s_or_saveexec_b64 s[6:7], s[6:7]
	v_mov_b32_e32 v10, s10
	s_xor_b64 exec, exec, s[6:7]
	s_cbranch_execnz .LBB1_3420
.LBB1_1370:
	s_or_b64 exec, exec, s[6:7]
	s_and_saveexec_b64 s[6:7], s[4:5]
	s_cbranch_execz .LBB1_1372
.LBB1_1371:
	v_bfe_u32 v10, v16, 24, 3
	v_ffbh_u32_e32 v20, v10
	v_min_u32_e32 v20, 32, v20
	v_lshrrev_b32_e32 v14, 27, v16
	v_subrev_u32_e32 v21, 28, v20
	v_and_b32_e32 v11, 0x80000000, v16
	v_and_b32_e32 v14, 15, v14
	v_bfe_u32 v15, v16, 27, 4
	v_lshlrev_b32_sdwa v16, v21, v16 dst_sel:DWORD dst_unused:UNUSED_PAD src0_sel:DWORD src1_sel:BYTE_3
	v_sub_u32_e32 v20, 29, v20
	v_and_b32_e32 v16, 7, v16
	v_cmp_eq_u16_e32 vcc, 0, v14
	v_cndmask_b32_e32 v10, v10, v16, vcc
	v_cndmask_b32_e32 v14, v15, v20, vcc
	v_mov_b32_e32 v15, 0x3b800000
	v_lshlrev_b32_e32 v10, 20, v10
	v_lshl_add_u32 v14, v14, 23, v15
	v_or3_b32 v10, v11, v14, v10
.LBB1_1372:
	s_or_b64 exec, exec, s[6:7]
	s_movk_i32 s4, 0x7f
	v_cmp_gt_i16_sdwa s[6:7], v12, s4 src0_sel:BYTE_3 src1_sel:DWORD
	s_mov_b64 s[4:5], 0
                                        ; implicit-def: $sgpr10
	s_and_saveexec_b64 s[8:9], s[6:7]
	s_xor_b64 s[6:7], exec, s[8:9]
	s_cbranch_execnz .LBB1_3421
; %bb.1373:
	s_or_saveexec_b64 s[6:7], s[6:7]
	v_mov_b32_e32 v11, s10
	s_xor_b64 exec, exec, s[6:7]
	s_cbranch_execnz .LBB1_3424
.LBB1_1374:
	s_or_b64 exec, exec, s[6:7]
	s_and_saveexec_b64 s[6:7], s[4:5]
	s_cbranch_execz .LBB1_1376
.LBB1_1375:
	v_bfe_u32 v11, v12, 24, 3
	v_ffbh_u32_e32 v20, v11
	v_min_u32_e32 v20, 32, v20
	v_lshrrev_b32_e32 v15, 27, v12
	v_subrev_u32_e32 v21, 28, v20
	v_and_b32_e32 v14, 0x80000000, v12
	v_and_b32_e32 v15, 15, v15
	v_bfe_u32 v16, v12, 27, 4
	v_lshlrev_b32_sdwa v12, v21, v12 dst_sel:DWORD dst_unused:UNUSED_PAD src0_sel:DWORD src1_sel:BYTE_3
	v_sub_u32_e32 v20, 29, v20
	v_and_b32_e32 v12, 7, v12
	v_cmp_eq_u16_e32 vcc, 0, v15
	v_cndmask_b32_e32 v11, v11, v12, vcc
	v_cndmask_b32_e32 v12, v16, v20, vcc
	v_mov_b32_e32 v15, 0x3b800000
	v_lshlrev_b32_e32 v11, 20, v11
	v_lshl_add_u32 v12, v12, 23, v15
	v_or3_b32 v11, v14, v12, v11
.LBB1_1376:
	s_or_b64 exec, exec, s[6:7]
	s_nop 0
	v_mfma_f32_16x16x4f32 a[0:3], v10, v11, a[0:3]
	s_movk_i32 s4, 0x7f
	v_cmp_gt_i16_sdwa s[6:7], v17, s4 src0_sel:BYTE_0 src1_sel:DWORD
	s_mov_b64 s[4:5], 0
                                        ; implicit-def: $sgpr10
	s_and_saveexec_b64 s[8:9], s[6:7]
	s_xor_b64 s[6:7], exec, s[8:9]
	s_cbranch_execnz .LBB1_3425
; %bb.1377:
	s_or_saveexec_b64 s[6:7], s[6:7]
	v_mov_b32_e32 v10, s10
	s_xor_b64 exec, exec, s[6:7]
	s_cbranch_execnz .LBB1_3428
.LBB1_1378:
	s_or_b64 exec, exec, s[6:7]
	s_and_saveexec_b64 s[6:7], s[4:5]
	s_cbranch_execz .LBB1_1380
.LBB1_1379:
	v_and_b32_e32 v10, 7, v17
	v_ffbh_u32_e32 v12, v10
	v_min_u32_e32 v12, 32, v12
	v_lshrrev_b16_e32 v11, 3, v17
	v_subrev_u32_e32 v14, 28, v12
	v_and_b32_e32 v11, 15, v11
	v_lshlrev_b32_e32 v14, v14, v17
	v_sub_u32_e32 v12, 29, v12
	v_and_b32_e32 v14, 7, v14
	v_cmp_eq_u16_e32 vcc, 0, v11
	v_cndmask_b32_e32 v10, v10, v14, vcc
	v_cndmask_b32_e32 v11, v11, v12, vcc
	v_lshlrev_b32_e32 v12, 24, v17
	v_mov_b32_e32 v14, 0x3b800000
	v_lshlrev_b32_e32 v10, 20, v10
	v_and_b32_e32 v12, 0x80000000, v12
	v_lshl_add_u32 v11, v11, 23, v14
	v_or3_b32 v10, v12, v11, v10
.LBB1_1380:
	s_or_b64 exec, exec, s[6:7]
	s_movk_i32 s4, 0x7f
	v_cmp_gt_i16_sdwa s[6:7], v13, s4 src0_sel:BYTE_0 src1_sel:DWORD
	s_mov_b64 s[4:5], 0
                                        ; implicit-def: $sgpr10
	s_and_saveexec_b64 s[8:9], s[6:7]
	s_xor_b64 s[6:7], exec, s[8:9]
	s_cbranch_execnz .LBB1_3429
; %bb.1381:
	s_or_saveexec_b64 s[6:7], s[6:7]
	v_mov_b32_e32 v11, s10
	s_xor_b64 exec, exec, s[6:7]
	s_cbranch_execnz .LBB1_3432
.LBB1_1382:
	s_or_b64 exec, exec, s[6:7]
	s_and_saveexec_b64 s[6:7], s[4:5]
	s_cbranch_execz .LBB1_1384
.LBB1_1383:
	v_and_b32_e32 v11, 7, v13
	v_ffbh_u32_e32 v14, v11
	v_min_u32_e32 v14, 32, v14
	v_lshrrev_b16_e32 v12, 3, v13
	v_subrev_u32_e32 v15, 28, v14
	v_and_b32_e32 v12, 15, v12
	v_lshlrev_b32_e32 v15, v15, v13
	v_sub_u32_e32 v14, 29, v14
	v_and_b32_e32 v15, 7, v15
	v_cmp_eq_u16_e32 vcc, 0, v12
	v_cndmask_b32_e32 v11, v11, v15, vcc
	v_cndmask_b32_e32 v12, v12, v14, vcc
	v_lshlrev_b32_e32 v14, 24, v13
	v_mov_b32_e32 v15, 0x3b800000
	v_lshlrev_b32_e32 v11, 20, v11
	v_and_b32_e32 v14, 0x80000000, v14
	v_lshl_add_u32 v12, v12, 23, v15
	v_or3_b32 v11, v14, v12, v11
.LBB1_1384:
	s_or_b64 exec, exec, s[6:7]
	s_nop 0
	v_mfma_f32_16x16x4f32 a[0:3], v10, v11, a[0:3]
	v_lshrrev_b32_e32 v11, 8, v17
	s_movk_i32 s4, 0x7f
	v_cmp_gt_i16_sdwa s[6:7], v11, s4 src0_sel:BYTE_0 src1_sel:DWORD
	s_mov_b64 s[4:5], 0
                                        ; implicit-def: $sgpr10
	s_and_saveexec_b64 s[8:9], s[6:7]
	s_xor_b64 s[6:7], exec, s[8:9]
	s_cbranch_execnz .LBB1_3433
; %bb.1385:
	s_or_saveexec_b64 s[6:7], s[6:7]
	v_mov_b32_e32 v10, s10
	s_xor_b64 exec, exec, s[6:7]
	s_cbranch_execnz .LBB1_3436
.LBB1_1386:
	s_or_b64 exec, exec, s[6:7]
	s_and_saveexec_b64 s[6:7], s[4:5]
	s_cbranch_execz .LBB1_1388
.LBB1_1387:
	v_bfe_u32 v10, v17, 8, 3
	v_ffbh_u32_e32 v14, v10
	v_min_u32_e32 v14, 32, v14
	v_lshrrev_b16_e32 v12, 3, v11
	v_subrev_u32_e32 v15, 28, v14
	v_and_b32_e32 v12, 15, v12
	v_lshlrev_b32_e32 v11, v15, v11
	v_sub_u32_e32 v14, 29, v14
	v_and_b32_e32 v11, 7, v11
	v_cmp_eq_u16_e32 vcc, 0, v12
	v_cndmask_b32_e32 v10, v10, v11, vcc
	v_cndmask_b32_e32 v11, v12, v14, vcc
	v_lshlrev_b32_e32 v12, 16, v17
	v_mov_b32_e32 v14, 0x3b800000
	v_lshlrev_b32_e32 v10, 20, v10
	v_and_b32_e32 v12, 0x80000000, v12
	v_lshl_add_u32 v11, v11, 23, v14
	v_or3_b32 v10, v12, v11, v10
.LBB1_1388:
	s_or_b64 exec, exec, s[6:7]
	v_lshrrev_b32_e32 v11, 8, v13
	s_movk_i32 s4, 0x7f
	v_cmp_gt_i16_sdwa s[6:7], v11, s4 src0_sel:BYTE_0 src1_sel:DWORD
	s_mov_b64 s[4:5], 0
                                        ; implicit-def: $sgpr10
	s_and_saveexec_b64 s[8:9], s[6:7]
	s_xor_b64 s[6:7], exec, s[8:9]
	s_cbranch_execnz .LBB1_3437
; %bb.1389:
	s_or_saveexec_b64 s[6:7], s[6:7]
	v_mov_b32_e32 v12, s10
	s_xor_b64 exec, exec, s[6:7]
	s_cbranch_execnz .LBB1_3440
.LBB1_1390:
	s_or_b64 exec, exec, s[6:7]
	s_and_saveexec_b64 s[6:7], s[4:5]
	s_cbranch_execz .LBB1_1392
.LBB1_1391:
	v_bfe_u32 v12, v13, 8, 3
	v_ffbh_u32_e32 v15, v12
	v_min_u32_e32 v15, 32, v15
	v_lshrrev_b16_e32 v14, 3, v11
	v_subrev_u32_e32 v16, 28, v15
	v_and_b32_e32 v14, 15, v14
	v_lshlrev_b32_e32 v11, v16, v11
	v_sub_u32_e32 v15, 29, v15
	v_and_b32_e32 v11, 7, v11
	v_cmp_eq_u16_e32 vcc, 0, v14
	v_cndmask_b32_e32 v11, v12, v11, vcc
	v_cndmask_b32_e32 v12, v14, v15, vcc
	v_lshlrev_b32_e32 v14, 16, v13
	v_mov_b32_e32 v15, 0x3b800000
	v_lshlrev_b32_e32 v11, 20, v11
	v_and_b32_e32 v14, 0x80000000, v14
	v_lshl_add_u32 v12, v12, 23, v15
	v_or3_b32 v12, v14, v12, v11
.LBB1_1392:
	s_or_b64 exec, exec, s[6:7]
	s_nop 0
	v_mfma_f32_16x16x4f32 a[0:3], v10, v12, a[0:3]
	s_movk_i32 s4, 0xff
	v_and_b32_sdwa v11, v17, s4 dst_sel:DWORD dst_unused:UNUSED_PAD src0_sel:WORD_1 src1_sel:DWORD
	s_movk_i32 s4, 0x7f
	v_cmp_lt_i16_e32 vcc, s4, v11
	s_mov_b64 s[4:5], 0
                                        ; implicit-def: $sgpr10
	s_and_saveexec_b64 s[6:7], vcc
	s_xor_b64 s[6:7], exec, s[6:7]
	s_cbranch_execnz .LBB1_3441
; %bb.1393:
	s_or_saveexec_b64 s[6:7], s[6:7]
	v_mov_b32_e32 v10, s10
	s_xor_b64 exec, exec, s[6:7]
	s_cbranch_execnz .LBB1_3444
.LBB1_1394:
	s_or_b64 exec, exec, s[6:7]
	s_and_saveexec_b64 s[6:7], s[4:5]
	s_cbranch_execz .LBB1_1396
.LBB1_1395:
	v_bfe_u32 v10, v17, 16, 3
	v_ffbh_u32_e32 v14, v10
	v_min_u32_e32 v14, 32, v14
	v_lshrrev_b32_e32 v11, 19, v17
	v_subrev_u32_e32 v15, 28, v14
	v_and_b32_e32 v11, 15, v11
	v_lshlrev_b32_sdwa v15, v15, v17 dst_sel:DWORD dst_unused:UNUSED_PAD src0_sel:DWORD src1_sel:WORD_1
	v_bfe_u32 v12, v17, 19, 4
	v_sub_u32_e32 v14, 29, v14
	v_and_b32_e32 v15, 7, v15
	v_cmp_eq_u16_e32 vcc, 0, v11
	v_cndmask_b32_e32 v10, v10, v15, vcc
	v_cndmask_b32_e32 v11, v12, v14, vcc
	v_lshlrev_b32_e32 v12, 8, v17
	v_mov_b32_e32 v14, 0x3b800000
	v_lshlrev_b32_e32 v10, 20, v10
	v_and_b32_e32 v12, 0x80000000, v12
	v_lshl_add_u32 v11, v11, 23, v14
	v_or3_b32 v10, v12, v11, v10
.LBB1_1396:
	s_or_b64 exec, exec, s[6:7]
	s_movk_i32 s4, 0xff
	v_and_b32_sdwa v11, v13, s4 dst_sel:DWORD dst_unused:UNUSED_PAD src0_sel:WORD_1 src1_sel:DWORD
	s_movk_i32 s4, 0x7f
	v_cmp_lt_i16_e32 vcc, s4, v11
	s_mov_b64 s[4:5], 0
                                        ; implicit-def: $sgpr10
	s_and_saveexec_b64 s[6:7], vcc
	s_xor_b64 s[6:7], exec, s[6:7]
	s_cbranch_execnz .LBB1_3445
; %bb.1397:
	s_or_saveexec_b64 s[6:7], s[6:7]
	v_mov_b32_e32 v12, s10
	s_xor_b64 exec, exec, s[6:7]
	s_cbranch_execnz .LBB1_3448
.LBB1_1398:
	s_or_b64 exec, exec, s[6:7]
	s_and_saveexec_b64 s[6:7], s[4:5]
	s_cbranch_execz .LBB1_1400
.LBB1_1399:
	v_bfe_u32 v11, v13, 16, 3
	v_ffbh_u32_e32 v15, v11
	v_min_u32_e32 v15, 32, v15
	v_lshrrev_b32_e32 v12, 19, v13
	v_subrev_u32_e32 v16, 28, v15
	v_and_b32_e32 v12, 15, v12
	v_lshlrev_b32_sdwa v16, v16, v13 dst_sel:DWORD dst_unused:UNUSED_PAD src0_sel:DWORD src1_sel:WORD_1
	v_bfe_u32 v14, v13, 19, 4
	v_sub_u32_e32 v15, 29, v15
	v_and_b32_e32 v16, 7, v16
	v_cmp_eq_u16_e32 vcc, 0, v12
	v_cndmask_b32_e32 v11, v11, v16, vcc
	v_cndmask_b32_e32 v12, v14, v15, vcc
	v_lshlrev_b32_e32 v14, 8, v13
	v_mov_b32_e32 v15, 0x3b800000
	v_lshlrev_b32_e32 v11, 20, v11
	v_and_b32_e32 v14, 0x80000000, v14
	v_lshl_add_u32 v12, v12, 23, v15
	v_or3_b32 v12, v14, v12, v11
.LBB1_1400:
	s_or_b64 exec, exec, s[6:7]
	s_nop 0
	v_mfma_f32_16x16x4f32 a[0:3], v10, v12, a[0:3]
	s_movk_i32 s4, 0x7f
	v_cmp_gt_i16_sdwa s[6:7], v17, s4 src0_sel:BYTE_3 src1_sel:DWORD
	s_mov_b64 s[4:5], 0
                                        ; implicit-def: $sgpr10
	s_and_saveexec_b64 s[8:9], s[6:7]
	s_xor_b64 s[6:7], exec, s[8:9]
	s_cbranch_execnz .LBB1_3449
; %bb.1401:
	s_or_saveexec_b64 s[6:7], s[6:7]
	v_mov_b32_e32 v10, s10
	s_xor_b64 exec, exec, s[6:7]
	s_cbranch_execnz .LBB1_3452
.LBB1_1402:
	s_or_b64 exec, exec, s[6:7]
	s_and_saveexec_b64 s[6:7], s[4:5]
	s_cbranch_execz .LBB1_1404
.LBB1_1403:
	v_bfe_u32 v10, v17, 24, 3
	v_ffbh_u32_e32 v15, v10
	v_min_u32_e32 v15, 32, v15
	v_lshrrev_b32_e32 v12, 27, v17
	v_subrev_u32_e32 v16, 28, v15
	v_and_b32_e32 v12, 15, v12
	v_lshlrev_b32_sdwa v16, v16, v17 dst_sel:DWORD dst_unused:UNUSED_PAD src0_sel:DWORD src1_sel:BYTE_3
	v_bfe_u32 v14, v17, 27, 4
	v_sub_u32_e32 v15, 29, v15
	v_and_b32_e32 v16, 7, v16
	v_cmp_eq_u16_e32 vcc, 0, v12
	v_cndmask_b32_e32 v10, v10, v16, vcc
	v_cndmask_b32_e32 v12, v14, v15, vcc
	v_mov_b32_e32 v14, 0x3b800000
	v_and_b32_e32 v11, 0x80000000, v17
	v_lshlrev_b32_e32 v10, 20, v10
	v_lshl_add_u32 v12, v12, 23, v14
	v_or3_b32 v10, v11, v12, v10
.LBB1_1404:
	s_or_b64 exec, exec, s[6:7]
	s_movk_i32 s4, 0x7f
	v_cmp_gt_i16_sdwa s[6:7], v13, s4 src0_sel:BYTE_3 src1_sel:DWORD
	s_mov_b64 s[4:5], 0
                                        ; implicit-def: $sgpr10
	s_and_saveexec_b64 s[8:9], s[6:7]
	s_xor_b64 s[6:7], exec, s[8:9]
	s_cbranch_execnz .LBB1_3453
; %bb.1405:
	s_or_saveexec_b64 s[6:7], s[6:7]
	v_mov_b32_e32 v11, s10
	s_xor_b64 exec, exec, s[6:7]
	s_cbranch_execnz .LBB1_3456
.LBB1_1406:
	s_or_b64 exec, exec, s[6:7]
	s_and_saveexec_b64 s[6:7], s[4:5]
	s_cbranch_execz .LBB1_1408
.LBB1_1407:
	v_bfe_u32 v11, v13, 24, 3
	v_ffbh_u32_e32 v16, v11
	v_min_u32_e32 v16, 32, v16
	v_lshrrev_b32_e32 v14, 27, v13
	v_subrev_u32_e32 v17, 28, v16
	v_and_b32_e32 v12, 0x80000000, v13
	v_and_b32_e32 v14, 15, v14
	v_bfe_u32 v15, v13, 27, 4
	v_lshlrev_b32_sdwa v13, v17, v13 dst_sel:DWORD dst_unused:UNUSED_PAD src0_sel:DWORD src1_sel:BYTE_3
	v_sub_u32_e32 v16, 29, v16
	v_and_b32_e32 v13, 7, v13
	v_cmp_eq_u16_e32 vcc, 0, v14
	v_cndmask_b32_e32 v11, v11, v13, vcc
	v_cndmask_b32_e32 v13, v15, v16, vcc
	v_mov_b32_e32 v14, 0x3b800000
	v_lshlrev_b32_e32 v11, 20, v11
	v_lshl_add_u32 v13, v13, 23, v14
	v_or3_b32 v11, v12, v13, v11
.LBB1_1408:
	s_or_b64 exec, exec, s[6:7]
	s_nop 0
	v_mfma_f32_16x16x4f32 a[0:3], v10, v11, a[0:3]
	s_movk_i32 s4, 0x7f
	v_cmp_gt_i16_sdwa s[6:7], v6, s4 src0_sel:BYTE_0 src1_sel:DWORD
	s_mov_b64 s[4:5], 0
                                        ; implicit-def: $sgpr10
	s_and_saveexec_b64 s[8:9], s[6:7]
	s_xor_b64 s[6:7], exec, s[8:9]
	s_cbranch_execnz .LBB1_3457
; %bb.1409:
	s_or_saveexec_b64 s[6:7], s[6:7]
	v_mov_b32_e32 v10, s10
	s_xor_b64 exec, exec, s[6:7]
	s_cbranch_execnz .LBB1_3460
.LBB1_1410:
	s_or_b64 exec, exec, s[6:7]
	s_and_saveexec_b64 s[6:7], s[4:5]
	s_cbranch_execz .LBB1_1412
.LBB1_1411:
	v_and_b32_e32 v10, 7, v6
	v_ffbh_u32_e32 v12, v10
	v_min_u32_e32 v12, 32, v12
	v_lshrrev_b16_e32 v11, 3, v6
	v_subrev_u32_e32 v13, 28, v12
	v_and_b32_e32 v11, 15, v11
	v_lshlrev_b32_e32 v13, v13, v6
	v_sub_u32_e32 v12, 29, v12
	v_and_b32_e32 v13, 7, v13
	v_cmp_eq_u16_e32 vcc, 0, v11
	v_cndmask_b32_e32 v10, v10, v13, vcc
	v_cndmask_b32_e32 v11, v11, v12, vcc
	v_lshlrev_b32_e32 v12, 24, v6
	v_mov_b32_e32 v13, 0x3b800000
	v_lshlrev_b32_e32 v10, 20, v10
	v_and_b32_e32 v12, 0x80000000, v12
	v_lshl_add_u32 v11, v11, 23, v13
	v_or3_b32 v10, v12, v11, v10
.LBB1_1412:
	s_or_b64 exec, exec, s[6:7]
	s_movk_i32 s4, 0x7f
	v_cmp_gt_i16_sdwa s[6:7], v2, s4 src0_sel:BYTE_0 src1_sel:DWORD
	s_mov_b64 s[4:5], 0
                                        ; implicit-def: $sgpr10
	s_and_saveexec_b64 s[8:9], s[6:7]
	s_xor_b64 s[6:7], exec, s[8:9]
	s_cbranch_execnz .LBB1_3461
; %bb.1413:
	s_or_saveexec_b64 s[6:7], s[6:7]
	v_mov_b32_e32 v11, s10
	s_xor_b64 exec, exec, s[6:7]
	s_cbranch_execnz .LBB1_3464
.LBB1_1414:
	s_or_b64 exec, exec, s[6:7]
	s_and_saveexec_b64 s[6:7], s[4:5]
	s_cbranch_execz .LBB1_1416
.LBB1_1415:
	v_and_b32_e32 v11, 7, v2
	v_ffbh_u32_e32 v13, v11
	v_min_u32_e32 v13, 32, v13
	v_lshrrev_b16_e32 v12, 3, v2
	v_subrev_u32_e32 v14, 28, v13
	v_and_b32_e32 v12, 15, v12
	v_lshlrev_b32_e32 v14, v14, v2
	v_sub_u32_e32 v13, 29, v13
	v_and_b32_e32 v14, 7, v14
	v_cmp_eq_u16_e32 vcc, 0, v12
	v_cndmask_b32_e32 v11, v11, v14, vcc
	v_cndmask_b32_e32 v12, v12, v13, vcc
	v_lshlrev_b32_e32 v13, 24, v2
	v_mov_b32_e32 v14, 0x3b800000
	v_lshlrev_b32_e32 v11, 20, v11
	v_and_b32_e32 v13, 0x80000000, v13
	v_lshl_add_u32 v12, v12, 23, v14
	v_or3_b32 v11, v13, v12, v11
.LBB1_1416:
	s_or_b64 exec, exec, s[6:7]
	s_nop 0
	v_mfma_f32_16x16x4f32 a[0:3], v10, v11, a[0:3]
	v_lshrrev_b32_e32 v11, 8, v6
	s_movk_i32 s4, 0x7f
	v_cmp_gt_i16_sdwa s[6:7], v11, s4 src0_sel:BYTE_0 src1_sel:DWORD
	s_mov_b64 s[4:5], 0
                                        ; implicit-def: $sgpr10
	s_and_saveexec_b64 s[8:9], s[6:7]
	s_xor_b64 s[6:7], exec, s[8:9]
	s_cbranch_execnz .LBB1_3465
; %bb.1417:
	s_or_saveexec_b64 s[6:7], s[6:7]
	v_mov_b32_e32 v10, s10
	s_xor_b64 exec, exec, s[6:7]
	s_cbranch_execnz .LBB1_3468
.LBB1_1418:
	s_or_b64 exec, exec, s[6:7]
	s_and_saveexec_b64 s[6:7], s[4:5]
	s_cbranch_execz .LBB1_1420
.LBB1_1419:
	v_bfe_u32 v10, v6, 8, 3
	v_ffbh_u32_e32 v13, v10
	v_min_u32_e32 v13, 32, v13
	v_lshrrev_b16_e32 v12, 3, v11
	v_subrev_u32_e32 v14, 28, v13
	v_and_b32_e32 v12, 15, v12
	v_lshlrev_b32_e32 v11, v14, v11
	v_sub_u32_e32 v13, 29, v13
	v_and_b32_e32 v11, 7, v11
	v_cmp_eq_u16_e32 vcc, 0, v12
	v_cndmask_b32_e32 v10, v10, v11, vcc
	v_cndmask_b32_e32 v11, v12, v13, vcc
	v_lshlrev_b32_e32 v12, 16, v6
	v_mov_b32_e32 v13, 0x3b800000
	v_lshlrev_b32_e32 v10, 20, v10
	v_and_b32_e32 v12, 0x80000000, v12
	v_lshl_add_u32 v11, v11, 23, v13
	v_or3_b32 v10, v12, v11, v10
.LBB1_1420:
	s_or_b64 exec, exec, s[6:7]
	v_lshrrev_b32_e32 v11, 8, v2
	s_movk_i32 s4, 0x7f
	v_cmp_gt_i16_sdwa s[6:7], v11, s4 src0_sel:BYTE_0 src1_sel:DWORD
	s_mov_b64 s[4:5], 0
                                        ; implicit-def: $sgpr10
	s_and_saveexec_b64 s[8:9], s[6:7]
	s_xor_b64 s[6:7], exec, s[8:9]
	s_cbranch_execnz .LBB1_3469
; %bb.1421:
	s_or_saveexec_b64 s[6:7], s[6:7]
	v_mov_b32_e32 v12, s10
	s_xor_b64 exec, exec, s[6:7]
	s_cbranch_execnz .LBB1_3472
.LBB1_1422:
	s_or_b64 exec, exec, s[6:7]
	s_and_saveexec_b64 s[6:7], s[4:5]
	s_cbranch_execz .LBB1_1424
.LBB1_1423:
	v_bfe_u32 v12, v2, 8, 3
	v_ffbh_u32_e32 v14, v12
	v_min_u32_e32 v14, 32, v14
	v_lshrrev_b16_e32 v13, 3, v11
	v_subrev_u32_e32 v15, 28, v14
	v_and_b32_e32 v13, 15, v13
	v_lshlrev_b32_e32 v11, v15, v11
	v_sub_u32_e32 v14, 29, v14
	v_and_b32_e32 v11, 7, v11
	v_cmp_eq_u16_e32 vcc, 0, v13
	v_cndmask_b32_e32 v11, v12, v11, vcc
	v_cndmask_b32_e32 v12, v13, v14, vcc
	v_lshlrev_b32_e32 v13, 16, v2
	v_mov_b32_e32 v14, 0x3b800000
	v_lshlrev_b32_e32 v11, 20, v11
	v_and_b32_e32 v13, 0x80000000, v13
	v_lshl_add_u32 v12, v12, 23, v14
	v_or3_b32 v12, v13, v12, v11
.LBB1_1424:
	s_or_b64 exec, exec, s[6:7]
	s_nop 0
	v_mfma_f32_16x16x4f32 a[0:3], v10, v12, a[0:3]
	s_movk_i32 s4, 0xff
	v_and_b32_sdwa v11, v6, s4 dst_sel:DWORD dst_unused:UNUSED_PAD src0_sel:WORD_1 src1_sel:DWORD
	s_movk_i32 s4, 0x7f
	v_cmp_lt_i16_e32 vcc, s4, v11
	s_mov_b64 s[4:5], 0
                                        ; implicit-def: $sgpr10
	s_and_saveexec_b64 s[6:7], vcc
	s_xor_b64 s[6:7], exec, s[6:7]
	s_cbranch_execnz .LBB1_3473
; %bb.1425:
	s_or_saveexec_b64 s[6:7], s[6:7]
	v_mov_b32_e32 v10, s10
	s_xor_b64 exec, exec, s[6:7]
	s_cbranch_execnz .LBB1_3476
.LBB1_1426:
	s_or_b64 exec, exec, s[6:7]
	s_and_saveexec_b64 s[6:7], s[4:5]
	s_cbranch_execz .LBB1_1428
.LBB1_1427:
	v_bfe_u32 v10, v6, 16, 3
	v_ffbh_u32_e32 v13, v10
	v_min_u32_e32 v13, 32, v13
	v_lshrrev_b32_e32 v11, 19, v6
	v_subrev_u32_e32 v14, 28, v13
	v_and_b32_e32 v11, 15, v11
	v_lshlrev_b32_sdwa v14, v14, v6 dst_sel:DWORD dst_unused:UNUSED_PAD src0_sel:DWORD src1_sel:WORD_1
	v_bfe_u32 v12, v6, 19, 4
	v_sub_u32_e32 v13, 29, v13
	v_and_b32_e32 v14, 7, v14
	v_cmp_eq_u16_e32 vcc, 0, v11
	v_cndmask_b32_e32 v10, v10, v14, vcc
	v_cndmask_b32_e32 v11, v12, v13, vcc
	v_lshlrev_b32_e32 v12, 8, v6
	v_mov_b32_e32 v13, 0x3b800000
	v_lshlrev_b32_e32 v10, 20, v10
	v_and_b32_e32 v12, 0x80000000, v12
	v_lshl_add_u32 v11, v11, 23, v13
	v_or3_b32 v10, v12, v11, v10
.LBB1_1428:
	s_or_b64 exec, exec, s[6:7]
	s_movk_i32 s4, 0xff
	v_and_b32_sdwa v11, v2, s4 dst_sel:DWORD dst_unused:UNUSED_PAD src0_sel:WORD_1 src1_sel:DWORD
	s_movk_i32 s4, 0x7f
	v_cmp_lt_i16_e32 vcc, s4, v11
	s_mov_b64 s[4:5], 0
                                        ; implicit-def: $sgpr10
	s_and_saveexec_b64 s[6:7], vcc
	s_xor_b64 s[6:7], exec, s[6:7]
	s_cbranch_execnz .LBB1_3477
; %bb.1429:
	s_or_saveexec_b64 s[6:7], s[6:7]
	v_mov_b32_e32 v12, s10
	s_xor_b64 exec, exec, s[6:7]
	s_cbranch_execnz .LBB1_3480
.LBB1_1430:
	s_or_b64 exec, exec, s[6:7]
	s_and_saveexec_b64 s[6:7], s[4:5]
	s_cbranch_execz .LBB1_1432
.LBB1_1431:
	v_bfe_u32 v11, v2, 16, 3
	v_ffbh_u32_e32 v14, v11
	v_min_u32_e32 v14, 32, v14
	v_lshrrev_b32_e32 v12, 19, v2
	v_subrev_u32_e32 v15, 28, v14
	v_and_b32_e32 v12, 15, v12
	v_lshlrev_b32_sdwa v15, v15, v2 dst_sel:DWORD dst_unused:UNUSED_PAD src0_sel:DWORD src1_sel:WORD_1
	v_bfe_u32 v13, v2, 19, 4
	v_sub_u32_e32 v14, 29, v14
	v_and_b32_e32 v15, 7, v15
	v_cmp_eq_u16_e32 vcc, 0, v12
	v_cndmask_b32_e32 v11, v11, v15, vcc
	v_cndmask_b32_e32 v12, v13, v14, vcc
	v_lshlrev_b32_e32 v13, 8, v2
	v_mov_b32_e32 v14, 0x3b800000
	v_lshlrev_b32_e32 v11, 20, v11
	v_and_b32_e32 v13, 0x80000000, v13
	v_lshl_add_u32 v12, v12, 23, v14
	v_or3_b32 v12, v13, v12, v11
.LBB1_1432:
	s_or_b64 exec, exec, s[6:7]
	s_nop 0
	v_mfma_f32_16x16x4f32 a[0:3], v10, v12, a[0:3]
	s_movk_i32 s4, 0x7f
	v_cmp_gt_i16_sdwa s[6:7], v6, s4 src0_sel:BYTE_3 src1_sel:DWORD
	s_mov_b64 s[4:5], 0
                                        ; implicit-def: $sgpr10
	s_and_saveexec_b64 s[8:9], s[6:7]
	s_xor_b64 s[6:7], exec, s[8:9]
	s_cbranch_execnz .LBB1_3481
; %bb.1433:
	s_or_saveexec_b64 s[6:7], s[6:7]
	v_mov_b32_e32 v10, s10
	s_xor_b64 exec, exec, s[6:7]
	s_cbranch_execnz .LBB1_3484
.LBB1_1434:
	s_or_b64 exec, exec, s[6:7]
	s_and_saveexec_b64 s[6:7], s[4:5]
	s_cbranch_execz .LBB1_1436
.LBB1_1435:
	v_bfe_u32 v10, v6, 24, 3
	v_ffbh_u32_e32 v14, v10
	v_min_u32_e32 v14, 32, v14
	v_lshrrev_b32_e32 v12, 27, v6
	v_subrev_u32_e32 v15, 28, v14
	v_and_b32_e32 v11, 0x80000000, v6
	v_and_b32_e32 v12, 15, v12
	v_bfe_u32 v13, v6, 27, 4
	v_lshlrev_b32_sdwa v6, v15, v6 dst_sel:DWORD dst_unused:UNUSED_PAD src0_sel:DWORD src1_sel:BYTE_3
	v_sub_u32_e32 v14, 29, v14
	v_and_b32_e32 v6, 7, v6
	v_cmp_eq_u16_e32 vcc, 0, v12
	v_cndmask_b32_e32 v6, v10, v6, vcc
	v_cndmask_b32_e32 v10, v13, v14, vcc
	v_mov_b32_e32 v12, 0x3b800000
	v_lshlrev_b32_e32 v6, 20, v6
	v_lshl_add_u32 v10, v10, 23, v12
	v_or3_b32 v10, v11, v10, v6
.LBB1_1436:
	s_or_b64 exec, exec, s[6:7]
	s_movk_i32 s4, 0x7f
	v_cmp_gt_i16_sdwa s[6:7], v2, s4 src0_sel:BYTE_3 src1_sel:DWORD
	s_mov_b64 s[4:5], 0
                                        ; implicit-def: $sgpr10
	s_and_saveexec_b64 s[8:9], s[6:7]
	s_xor_b64 s[6:7], exec, s[8:9]
	s_cbranch_execnz .LBB1_3485
; %bb.1437:
	s_or_saveexec_b64 s[6:7], s[6:7]
	v_mov_b32_e32 v6, s10
	s_xor_b64 exec, exec, s[6:7]
	s_cbranch_execnz .LBB1_3488
.LBB1_1438:
	s_or_b64 exec, exec, s[6:7]
	s_and_saveexec_b64 s[6:7], s[4:5]
	s_cbranch_execz .LBB1_1440
.LBB1_1439:
	v_bfe_u32 v6, v2, 24, 3
	v_ffbh_u32_e32 v14, v6
	v_min_u32_e32 v14, 32, v14
	v_lshrrev_b32_e32 v12, 27, v2
	v_subrev_u32_e32 v15, 28, v14
	v_and_b32_e32 v11, 0x80000000, v2
	v_and_b32_e32 v12, 15, v12
	v_bfe_u32 v13, v2, 27, 4
	v_lshlrev_b32_sdwa v2, v15, v2 dst_sel:DWORD dst_unused:UNUSED_PAD src0_sel:DWORD src1_sel:BYTE_3
	v_sub_u32_e32 v14, 29, v14
	v_and_b32_e32 v2, 7, v2
	v_cmp_eq_u16_e32 vcc, 0, v12
	v_cndmask_b32_e32 v2, v6, v2, vcc
	v_cndmask_b32_e32 v6, v13, v14, vcc
	v_mov_b32_e32 v12, 0x3b800000
	v_lshlrev_b32_e32 v2, 20, v2
	v_lshl_add_u32 v6, v6, 23, v12
	v_or3_b32 v6, v11, v6, v2
.LBB1_1440:
	s_or_b64 exec, exec, s[6:7]
	s_nop 0
	v_mfma_f32_16x16x4f32 a[0:3], v10, v6, a[0:3]
	s_movk_i32 s4, 0x7f
	v_cmp_gt_i16_sdwa s[6:7], v7, s4 src0_sel:BYTE_0 src1_sel:DWORD
	s_mov_b64 s[4:5], 0
                                        ; implicit-def: $sgpr10
	s_and_saveexec_b64 s[8:9], s[6:7]
	s_xor_b64 s[6:7], exec, s[8:9]
	s_cbranch_execnz .LBB1_3489
; %bb.1441:
	s_or_saveexec_b64 s[6:7], s[6:7]
	v_mov_b32_e32 v2, s10
	s_xor_b64 exec, exec, s[6:7]
	s_cbranch_execnz .LBB1_3492
.LBB1_1442:
	s_or_b64 exec, exec, s[6:7]
	s_and_saveexec_b64 s[6:7], s[4:5]
	s_cbranch_execz .LBB1_1444
.LBB1_1443:
	v_and_b32_e32 v2, 7, v7
	v_ffbh_u32_e32 v10, v2
	v_min_u32_e32 v10, 32, v10
	v_lshrrev_b16_e32 v6, 3, v7
	v_subrev_u32_e32 v11, 28, v10
	v_and_b32_e32 v6, 15, v6
	v_lshlrev_b32_e32 v11, v11, v7
	v_sub_u32_e32 v10, 29, v10
	v_and_b32_e32 v11, 7, v11
	v_cmp_eq_u16_e32 vcc, 0, v6
	v_cndmask_b32_e32 v2, v2, v11, vcc
	v_cndmask_b32_e32 v6, v6, v10, vcc
	v_lshlrev_b32_e32 v10, 24, v7
	v_mov_b32_e32 v11, 0x3b800000
	v_lshlrev_b32_e32 v2, 20, v2
	v_and_b32_e32 v10, 0x80000000, v10
	v_lshl_add_u32 v6, v6, 23, v11
	v_or3_b32 v2, v10, v6, v2
.LBB1_1444:
	s_or_b64 exec, exec, s[6:7]
	s_movk_i32 s4, 0x7f
	v_cmp_gt_i16_sdwa s[6:7], v3, s4 src0_sel:BYTE_0 src1_sel:DWORD
	s_mov_b64 s[4:5], 0
                                        ; implicit-def: $sgpr10
	s_and_saveexec_b64 s[8:9], s[6:7]
	s_xor_b64 s[6:7], exec, s[8:9]
	s_cbranch_execnz .LBB1_3493
; %bb.1445:
	s_or_saveexec_b64 s[6:7], s[6:7]
	v_mov_b32_e32 v6, s10
	s_xor_b64 exec, exec, s[6:7]
	s_cbranch_execnz .LBB1_3496
.LBB1_1446:
	s_or_b64 exec, exec, s[6:7]
	s_and_saveexec_b64 s[6:7], s[4:5]
	s_cbranch_execz .LBB1_1448
.LBB1_1447:
	v_and_b32_e32 v6, 7, v3
	v_ffbh_u32_e32 v11, v6
	v_min_u32_e32 v11, 32, v11
	v_lshrrev_b16_e32 v10, 3, v3
	v_subrev_u32_e32 v12, 28, v11
	v_and_b32_e32 v10, 15, v10
	v_lshlrev_b32_e32 v12, v12, v3
	v_sub_u32_e32 v11, 29, v11
	v_and_b32_e32 v12, 7, v12
	v_cmp_eq_u16_e32 vcc, 0, v10
	v_cndmask_b32_e32 v6, v6, v12, vcc
	v_cndmask_b32_e32 v10, v10, v11, vcc
	v_lshlrev_b32_e32 v11, 24, v3
	v_mov_b32_e32 v12, 0x3b800000
	v_lshlrev_b32_e32 v6, 20, v6
	v_and_b32_e32 v11, 0x80000000, v11
	v_lshl_add_u32 v10, v10, 23, v12
	v_or3_b32 v6, v11, v10, v6
.LBB1_1448:
	s_or_b64 exec, exec, s[6:7]
	s_nop 0
	v_mfma_f32_16x16x4f32 a[0:3], v2, v6, a[0:3]
	v_lshrrev_b32_e32 v6, 8, v7
	s_movk_i32 s4, 0x7f
	v_cmp_gt_i16_sdwa s[6:7], v6, s4 src0_sel:BYTE_0 src1_sel:DWORD
	s_mov_b64 s[4:5], 0
                                        ; implicit-def: $sgpr10
	s_and_saveexec_b64 s[8:9], s[6:7]
	s_xor_b64 s[6:7], exec, s[8:9]
	s_cbranch_execnz .LBB1_3497
; %bb.1449:
	s_or_saveexec_b64 s[6:7], s[6:7]
	v_mov_b32_e32 v2, s10
	s_xor_b64 exec, exec, s[6:7]
	s_cbranch_execnz .LBB1_3500
.LBB1_1450:
	s_or_b64 exec, exec, s[6:7]
	s_and_saveexec_b64 s[6:7], s[4:5]
	s_cbranch_execz .LBB1_1452
.LBB1_1451:
	v_bfe_u32 v2, v7, 8, 3
	v_ffbh_u32_e32 v11, v2
	v_min_u32_e32 v11, 32, v11
	v_lshrrev_b16_e32 v10, 3, v6
	v_subrev_u32_e32 v12, 28, v11
	v_and_b32_e32 v10, 15, v10
	v_lshlrev_b32_e32 v6, v12, v6
	v_sub_u32_e32 v11, 29, v11
	v_and_b32_e32 v6, 7, v6
	v_cmp_eq_u16_e32 vcc, 0, v10
	v_cndmask_b32_e32 v2, v2, v6, vcc
	v_cndmask_b32_e32 v6, v10, v11, vcc
	v_lshlrev_b32_e32 v10, 16, v7
	v_mov_b32_e32 v11, 0x3b800000
	v_lshlrev_b32_e32 v2, 20, v2
	v_and_b32_e32 v10, 0x80000000, v10
	v_lshl_add_u32 v6, v6, 23, v11
	v_or3_b32 v2, v10, v6, v2
.LBB1_1452:
	s_or_b64 exec, exec, s[6:7]
	v_lshrrev_b32_e32 v6, 8, v3
	s_movk_i32 s4, 0x7f
	v_cmp_gt_i16_sdwa s[6:7], v6, s4 src0_sel:BYTE_0 src1_sel:DWORD
	s_mov_b64 s[4:5], 0
                                        ; implicit-def: $sgpr10
	s_and_saveexec_b64 s[8:9], s[6:7]
	s_xor_b64 s[6:7], exec, s[8:9]
	s_cbranch_execnz .LBB1_3501
; %bb.1453:
	s_or_saveexec_b64 s[6:7], s[6:7]
	v_mov_b32_e32 v10, s10
	s_xor_b64 exec, exec, s[6:7]
	s_cbranch_execnz .LBB1_3504
.LBB1_1454:
	s_or_b64 exec, exec, s[6:7]
	s_and_saveexec_b64 s[6:7], s[4:5]
	s_cbranch_execz .LBB1_1456
.LBB1_1455:
	v_bfe_u32 v10, v3, 8, 3
	v_ffbh_u32_e32 v12, v10
	v_min_u32_e32 v12, 32, v12
	v_lshrrev_b16_e32 v11, 3, v6
	v_subrev_u32_e32 v13, 28, v12
	v_and_b32_e32 v11, 15, v11
	v_lshlrev_b32_e32 v6, v13, v6
	v_sub_u32_e32 v12, 29, v12
	v_and_b32_e32 v6, 7, v6
	v_cmp_eq_u16_e32 vcc, 0, v11
	v_cndmask_b32_e32 v6, v10, v6, vcc
	v_cndmask_b32_e32 v10, v11, v12, vcc
	v_lshlrev_b32_e32 v11, 16, v3
	v_mov_b32_e32 v12, 0x3b800000
	v_lshlrev_b32_e32 v6, 20, v6
	v_and_b32_e32 v11, 0x80000000, v11
	v_lshl_add_u32 v10, v10, 23, v12
	v_or3_b32 v10, v11, v10, v6
.LBB1_1456:
	s_or_b64 exec, exec, s[6:7]
	s_nop 0
	v_mfma_f32_16x16x4f32 a[0:3], v2, v10, a[0:3]
	s_movk_i32 s4, 0xff
	v_and_b32_sdwa v6, v7, s4 dst_sel:DWORD dst_unused:UNUSED_PAD src0_sel:WORD_1 src1_sel:DWORD
	s_movk_i32 s4, 0x7f
	v_cmp_lt_i16_e32 vcc, s4, v6
	s_mov_b64 s[4:5], 0
                                        ; implicit-def: $sgpr10
	s_and_saveexec_b64 s[6:7], vcc
	s_xor_b64 s[6:7], exec, s[6:7]
	s_cbranch_execnz .LBB1_3505
; %bb.1457:
	s_or_saveexec_b64 s[6:7], s[6:7]
	v_mov_b32_e32 v2, s10
	s_xor_b64 exec, exec, s[6:7]
	s_cbranch_execnz .LBB1_3508
.LBB1_1458:
	s_or_b64 exec, exec, s[6:7]
	s_and_saveexec_b64 s[6:7], s[4:5]
	s_cbranch_execz .LBB1_1460
.LBB1_1459:
	v_bfe_u32 v2, v7, 16, 3
	v_ffbh_u32_e32 v11, v2
	v_min_u32_e32 v11, 32, v11
	v_lshrrev_b32_e32 v6, 19, v7
	v_subrev_u32_e32 v12, 28, v11
	v_and_b32_e32 v6, 15, v6
	v_lshlrev_b32_sdwa v12, v12, v7 dst_sel:DWORD dst_unused:UNUSED_PAD src0_sel:DWORD src1_sel:WORD_1
	v_bfe_u32 v10, v7, 19, 4
	v_sub_u32_e32 v11, 29, v11
	v_and_b32_e32 v12, 7, v12
	v_cmp_eq_u16_e32 vcc, 0, v6
	v_cndmask_b32_e32 v2, v2, v12, vcc
	v_cndmask_b32_e32 v6, v10, v11, vcc
	v_lshlrev_b32_e32 v10, 8, v7
	v_mov_b32_e32 v11, 0x3b800000
	v_lshlrev_b32_e32 v2, 20, v2
	v_and_b32_e32 v10, 0x80000000, v10
	v_lshl_add_u32 v6, v6, 23, v11
	v_or3_b32 v2, v10, v6, v2
.LBB1_1460:
	s_or_b64 exec, exec, s[6:7]
	s_movk_i32 s4, 0xff
	v_and_b32_sdwa v6, v3, s4 dst_sel:DWORD dst_unused:UNUSED_PAD src0_sel:WORD_1 src1_sel:DWORD
	s_movk_i32 s4, 0x7f
	v_cmp_lt_i16_e32 vcc, s4, v6
	s_mov_b64 s[4:5], 0
                                        ; implicit-def: $sgpr10
	s_and_saveexec_b64 s[6:7], vcc
	s_xor_b64 s[6:7], exec, s[6:7]
	s_cbranch_execnz .LBB1_3509
; %bb.1461:
	s_or_saveexec_b64 s[6:7], s[6:7]
	v_mov_b32_e32 v10, s10
	s_xor_b64 exec, exec, s[6:7]
	s_cbranch_execnz .LBB1_3512
.LBB1_1462:
	s_or_b64 exec, exec, s[6:7]
	s_and_saveexec_b64 s[6:7], s[4:5]
	s_cbranch_execz .LBB1_1464
.LBB1_1463:
	v_bfe_u32 v6, v3, 16, 3
	v_ffbh_u32_e32 v12, v6
	v_min_u32_e32 v12, 32, v12
	v_lshrrev_b32_e32 v10, 19, v3
	v_subrev_u32_e32 v13, 28, v12
	v_and_b32_e32 v10, 15, v10
	v_lshlrev_b32_sdwa v13, v13, v3 dst_sel:DWORD dst_unused:UNUSED_PAD src0_sel:DWORD src1_sel:WORD_1
	v_bfe_u32 v11, v3, 19, 4
	v_sub_u32_e32 v12, 29, v12
	v_and_b32_e32 v13, 7, v13
	v_cmp_eq_u16_e32 vcc, 0, v10
	v_cndmask_b32_e32 v6, v6, v13, vcc
	v_cndmask_b32_e32 v10, v11, v12, vcc
	v_lshlrev_b32_e32 v11, 8, v3
	v_mov_b32_e32 v12, 0x3b800000
	v_lshlrev_b32_e32 v6, 20, v6
	v_and_b32_e32 v11, 0x80000000, v11
	v_lshl_add_u32 v10, v10, 23, v12
	v_or3_b32 v10, v11, v10, v6
.LBB1_1464:
	s_or_b64 exec, exec, s[6:7]
	s_nop 0
	v_mfma_f32_16x16x4f32 a[0:3], v2, v10, a[0:3]
	s_movk_i32 s4, 0x7f
	v_cmp_gt_i16_sdwa s[6:7], v7, s4 src0_sel:BYTE_3 src1_sel:DWORD
	s_mov_b64 s[4:5], 0
                                        ; implicit-def: $sgpr10
	s_and_saveexec_b64 s[8:9], s[6:7]
	s_xor_b64 s[6:7], exec, s[8:9]
	s_cbranch_execnz .LBB1_3513
; %bb.1465:
	s_or_saveexec_b64 s[6:7], s[6:7]
	v_mov_b32_e32 v2, s10
	s_xor_b64 exec, exec, s[6:7]
	s_cbranch_execnz .LBB1_3516
.LBB1_1466:
	s_or_b64 exec, exec, s[6:7]
	s_and_saveexec_b64 s[6:7], s[4:5]
	s_cbranch_execz .LBB1_1468
.LBB1_1467:
	v_bfe_u32 v2, v7, 24, 3
	v_ffbh_u32_e32 v12, v2
	v_min_u32_e32 v12, 32, v12
	v_lshrrev_b32_e32 v10, 27, v7
	v_subrev_u32_e32 v13, 28, v12
	v_and_b32_e32 v6, 0x80000000, v7
	v_and_b32_e32 v10, 15, v10
	v_bfe_u32 v11, v7, 27, 4
	v_lshlrev_b32_sdwa v7, v13, v7 dst_sel:DWORD dst_unused:UNUSED_PAD src0_sel:DWORD src1_sel:BYTE_3
	v_sub_u32_e32 v12, 29, v12
	v_and_b32_e32 v7, 7, v7
	v_cmp_eq_u16_e32 vcc, 0, v10
	v_cndmask_b32_e32 v2, v2, v7, vcc
	v_cndmask_b32_e32 v7, v11, v12, vcc
	v_mov_b32_e32 v10, 0x3b800000
	v_lshlrev_b32_e32 v2, 20, v2
	v_lshl_add_u32 v7, v7, 23, v10
	v_or3_b32 v2, v6, v7, v2
.LBB1_1468:
	s_or_b64 exec, exec, s[6:7]
	s_movk_i32 s4, 0x7f
	v_cmp_gt_i16_sdwa s[6:7], v3, s4 src0_sel:BYTE_3 src1_sel:DWORD
	s_mov_b64 s[4:5], 0
                                        ; implicit-def: $sgpr10
	s_and_saveexec_b64 s[8:9], s[6:7]
	s_xor_b64 s[6:7], exec, s[8:9]
	s_cbranch_execnz .LBB1_3517
; %bb.1469:
	s_or_saveexec_b64 s[6:7], s[6:7]
	v_mov_b32_e32 v6, s10
	s_xor_b64 exec, exec, s[6:7]
	s_cbranch_execnz .LBB1_3520
.LBB1_1470:
	s_or_b64 exec, exec, s[6:7]
	s_and_saveexec_b64 s[6:7], s[4:5]
	s_cbranch_execz .LBB1_1472
.LBB1_1471:
	v_bfe_u32 v6, v3, 24, 3
	v_ffbh_u32_e32 v12, v6
	v_min_u32_e32 v12, 32, v12
	v_lshrrev_b32_e32 v10, 27, v3
	v_subrev_u32_e32 v13, 28, v12
	v_and_b32_e32 v7, 0x80000000, v3
	v_and_b32_e32 v10, 15, v10
	v_bfe_u32 v11, v3, 27, 4
	v_lshlrev_b32_sdwa v3, v13, v3 dst_sel:DWORD dst_unused:UNUSED_PAD src0_sel:DWORD src1_sel:BYTE_3
	v_sub_u32_e32 v12, 29, v12
	v_and_b32_e32 v3, 7, v3
	v_cmp_eq_u16_e32 vcc, 0, v10
	v_cndmask_b32_e32 v3, v6, v3, vcc
	v_cndmask_b32_e32 v6, v11, v12, vcc
	v_mov_b32_e32 v10, 0x3b800000
	v_lshlrev_b32_e32 v3, 20, v3
	v_lshl_add_u32 v6, v6, 23, v10
	v_or3_b32 v6, v7, v6, v3
.LBB1_1472:
	s_or_b64 exec, exec, s[6:7]
	s_nop 0
	v_mfma_f32_16x16x4f32 a[0:3], v2, v6, a[0:3]
	s_movk_i32 s4, 0x7f
	v_cmp_gt_i16_sdwa s[6:7], v8, s4 src0_sel:BYTE_0 src1_sel:DWORD
	s_mov_b64 s[4:5], 0
                                        ; implicit-def: $sgpr10
	s_and_saveexec_b64 s[8:9], s[6:7]
	s_xor_b64 s[6:7], exec, s[8:9]
	s_cbranch_execnz .LBB1_3521
; %bb.1473:
	s_or_saveexec_b64 s[6:7], s[6:7]
	v_mov_b32_e32 v2, s10
	s_xor_b64 exec, exec, s[6:7]
	s_cbranch_execnz .LBB1_3524
.LBB1_1474:
	s_or_b64 exec, exec, s[6:7]
	s_and_saveexec_b64 s[6:7], s[4:5]
	s_cbranch_execz .LBB1_1476
.LBB1_1475:
	v_and_b32_e32 v2, 7, v8
	v_ffbh_u32_e32 v6, v2
	v_min_u32_e32 v6, 32, v6
	v_lshrrev_b16_e32 v3, 3, v8
	v_subrev_u32_e32 v7, 28, v6
	v_and_b32_e32 v3, 15, v3
	v_lshlrev_b32_e32 v7, v7, v8
	v_sub_u32_e32 v6, 29, v6
	v_and_b32_e32 v7, 7, v7
	v_cmp_eq_u16_e32 vcc, 0, v3
	v_cndmask_b32_e32 v2, v2, v7, vcc
	v_cndmask_b32_e32 v3, v3, v6, vcc
	v_lshlrev_b32_e32 v6, 24, v8
	v_mov_b32_e32 v7, 0x3b800000
	v_lshlrev_b32_e32 v2, 20, v2
	v_and_b32_e32 v6, 0x80000000, v6
	v_lshl_add_u32 v3, v3, 23, v7
	v_or3_b32 v2, v6, v3, v2
.LBB1_1476:
	s_or_b64 exec, exec, s[6:7]
	s_movk_i32 s4, 0x7f
	v_cmp_gt_i16_sdwa s[6:7], v4, s4 src0_sel:BYTE_0 src1_sel:DWORD
	s_mov_b64 s[4:5], 0
                                        ; implicit-def: $sgpr10
	s_and_saveexec_b64 s[8:9], s[6:7]
	s_xor_b64 s[6:7], exec, s[8:9]
	s_cbranch_execnz .LBB1_3525
; %bb.1477:
	s_or_saveexec_b64 s[6:7], s[6:7]
	v_mov_b32_e32 v3, s10
	s_xor_b64 exec, exec, s[6:7]
	s_cbranch_execnz .LBB1_3528
.LBB1_1478:
	s_or_b64 exec, exec, s[6:7]
	s_and_saveexec_b64 s[6:7], s[4:5]
	s_cbranch_execz .LBB1_1480
.LBB1_1479:
	v_and_b32_e32 v3, 7, v4
	v_ffbh_u32_e32 v7, v3
	v_min_u32_e32 v7, 32, v7
	v_lshrrev_b16_e32 v6, 3, v4
	v_subrev_u32_e32 v10, 28, v7
	v_and_b32_e32 v6, 15, v6
	v_lshlrev_b32_e32 v10, v10, v4
	v_sub_u32_e32 v7, 29, v7
	v_and_b32_e32 v10, 7, v10
	v_cmp_eq_u16_e32 vcc, 0, v6
	v_cndmask_b32_e32 v3, v3, v10, vcc
	v_cndmask_b32_e32 v6, v6, v7, vcc
	v_lshlrev_b32_e32 v7, 24, v4
	v_mov_b32_e32 v10, 0x3b800000
	v_lshlrev_b32_e32 v3, 20, v3
	v_and_b32_e32 v7, 0x80000000, v7
	v_lshl_add_u32 v6, v6, 23, v10
	v_or3_b32 v3, v7, v6, v3
.LBB1_1480:
	s_or_b64 exec, exec, s[6:7]
	s_nop 0
	v_mfma_f32_16x16x4f32 a[0:3], v2, v3, a[0:3]
	v_lshrrev_b32_e32 v3, 8, v8
	s_movk_i32 s4, 0x7f
	v_cmp_gt_i16_sdwa s[6:7], v3, s4 src0_sel:BYTE_0 src1_sel:DWORD
	s_mov_b64 s[4:5], 0
                                        ; implicit-def: $sgpr10
	s_and_saveexec_b64 s[8:9], s[6:7]
	s_xor_b64 s[6:7], exec, s[8:9]
	s_cbranch_execnz .LBB1_3529
; %bb.1481:
	s_or_saveexec_b64 s[6:7], s[6:7]
	v_mov_b32_e32 v2, s10
	s_xor_b64 exec, exec, s[6:7]
	s_cbranch_execnz .LBB1_3532
.LBB1_1482:
	s_or_b64 exec, exec, s[6:7]
	s_and_saveexec_b64 s[6:7], s[4:5]
	s_cbranch_execz .LBB1_1484
.LBB1_1483:
	v_bfe_u32 v2, v8, 8, 3
	v_ffbh_u32_e32 v7, v2
	v_min_u32_e32 v7, 32, v7
	v_lshrrev_b16_e32 v6, 3, v3
	v_subrev_u32_e32 v10, 28, v7
	v_and_b32_e32 v6, 15, v6
	v_lshlrev_b32_e32 v3, v10, v3
	v_sub_u32_e32 v7, 29, v7
	v_and_b32_e32 v3, 7, v3
	v_cmp_eq_u16_e32 vcc, 0, v6
	v_cndmask_b32_e32 v2, v2, v3, vcc
	v_cndmask_b32_e32 v3, v6, v7, vcc
	v_lshlrev_b32_e32 v6, 16, v8
	v_mov_b32_e32 v7, 0x3b800000
	v_lshlrev_b32_e32 v2, 20, v2
	v_and_b32_e32 v6, 0x80000000, v6
	v_lshl_add_u32 v3, v3, 23, v7
	v_or3_b32 v2, v6, v3, v2
.LBB1_1484:
	s_or_b64 exec, exec, s[6:7]
	v_lshrrev_b32_e32 v3, 8, v4
	s_movk_i32 s4, 0x7f
	v_cmp_gt_i16_sdwa s[6:7], v3, s4 src0_sel:BYTE_0 src1_sel:DWORD
	s_mov_b64 s[4:5], 0
                                        ; implicit-def: $sgpr10
	s_and_saveexec_b64 s[8:9], s[6:7]
	s_xor_b64 s[6:7], exec, s[8:9]
	s_cbranch_execnz .LBB1_3533
; %bb.1485:
	s_or_saveexec_b64 s[6:7], s[6:7]
	v_mov_b32_e32 v6, s10
	s_xor_b64 exec, exec, s[6:7]
	s_cbranch_execnz .LBB1_3536
.LBB1_1486:
	s_or_b64 exec, exec, s[6:7]
	s_and_saveexec_b64 s[6:7], s[4:5]
	s_cbranch_execz .LBB1_1488
.LBB1_1487:
	v_bfe_u32 v6, v4, 8, 3
	v_ffbh_u32_e32 v10, v6
	v_min_u32_e32 v10, 32, v10
	v_lshrrev_b16_e32 v7, 3, v3
	v_subrev_u32_e32 v11, 28, v10
	v_and_b32_e32 v7, 15, v7
	v_lshlrev_b32_e32 v3, v11, v3
	v_sub_u32_e32 v10, 29, v10
	v_and_b32_e32 v3, 7, v3
	v_cmp_eq_u16_e32 vcc, 0, v7
	v_cndmask_b32_e32 v3, v6, v3, vcc
	v_cndmask_b32_e32 v6, v7, v10, vcc
	v_lshlrev_b32_e32 v7, 16, v4
	v_mov_b32_e32 v10, 0x3b800000
	v_lshlrev_b32_e32 v3, 20, v3
	v_and_b32_e32 v7, 0x80000000, v7
	v_lshl_add_u32 v6, v6, 23, v10
	v_or3_b32 v6, v7, v6, v3
.LBB1_1488:
	s_or_b64 exec, exec, s[6:7]
	s_nop 0
	v_mfma_f32_16x16x4f32 a[0:3], v2, v6, a[0:3]
	s_movk_i32 s4, 0xff
	v_and_b32_sdwa v3, v8, s4 dst_sel:DWORD dst_unused:UNUSED_PAD src0_sel:WORD_1 src1_sel:DWORD
	s_movk_i32 s4, 0x7f
	v_cmp_lt_i16_e32 vcc, s4, v3
	s_mov_b64 s[4:5], 0
                                        ; implicit-def: $sgpr10
	s_and_saveexec_b64 s[6:7], vcc
	s_xor_b64 s[6:7], exec, s[6:7]
	s_cbranch_execnz .LBB1_3537
; %bb.1489:
	s_or_saveexec_b64 s[6:7], s[6:7]
	v_mov_b32_e32 v2, s10
	s_xor_b64 exec, exec, s[6:7]
	s_cbranch_execnz .LBB1_3540
.LBB1_1490:
	s_or_b64 exec, exec, s[6:7]
	s_and_saveexec_b64 s[6:7], s[4:5]
	s_cbranch_execz .LBB1_1492
.LBB1_1491:
	v_bfe_u32 v2, v8, 16, 3
	v_ffbh_u32_e32 v7, v2
	v_min_u32_e32 v7, 32, v7
	v_lshrrev_b32_e32 v3, 19, v8
	v_subrev_u32_e32 v10, 28, v7
	v_and_b32_e32 v3, 15, v3
	v_lshlrev_b32_sdwa v10, v10, v8 dst_sel:DWORD dst_unused:UNUSED_PAD src0_sel:DWORD src1_sel:WORD_1
	v_bfe_u32 v6, v8, 19, 4
	v_sub_u32_e32 v7, 29, v7
	v_and_b32_e32 v10, 7, v10
	v_cmp_eq_u16_e32 vcc, 0, v3
	v_cndmask_b32_e32 v2, v2, v10, vcc
	v_cndmask_b32_e32 v3, v6, v7, vcc
	v_lshlrev_b32_e32 v6, 8, v8
	v_mov_b32_e32 v7, 0x3b800000
	v_lshlrev_b32_e32 v2, 20, v2
	v_and_b32_e32 v6, 0x80000000, v6
	v_lshl_add_u32 v3, v3, 23, v7
	v_or3_b32 v2, v6, v3, v2
.LBB1_1492:
	s_or_b64 exec, exec, s[6:7]
	s_movk_i32 s4, 0xff
	v_and_b32_sdwa v3, v4, s4 dst_sel:DWORD dst_unused:UNUSED_PAD src0_sel:WORD_1 src1_sel:DWORD
	s_movk_i32 s4, 0x7f
	v_cmp_lt_i16_e32 vcc, s4, v3
	s_mov_b64 s[4:5], 0
                                        ; implicit-def: $sgpr10
	s_and_saveexec_b64 s[6:7], vcc
	s_xor_b64 s[6:7], exec, s[6:7]
	s_cbranch_execnz .LBB1_3541
; %bb.1493:
	s_or_saveexec_b64 s[6:7], s[6:7]
	v_mov_b32_e32 v6, s10
	s_xor_b64 exec, exec, s[6:7]
	s_cbranch_execnz .LBB1_3544
.LBB1_1494:
	s_or_b64 exec, exec, s[6:7]
	s_and_saveexec_b64 s[6:7], s[4:5]
	s_cbranch_execz .LBB1_1496
.LBB1_1495:
	v_bfe_u32 v3, v4, 16, 3
	v_ffbh_u32_e32 v10, v3
	v_min_u32_e32 v10, 32, v10
	v_lshrrev_b32_e32 v6, 19, v4
	v_subrev_u32_e32 v11, 28, v10
	v_and_b32_e32 v6, 15, v6
	v_lshlrev_b32_sdwa v11, v11, v4 dst_sel:DWORD dst_unused:UNUSED_PAD src0_sel:DWORD src1_sel:WORD_1
	v_bfe_u32 v7, v4, 19, 4
	v_sub_u32_e32 v10, 29, v10
	v_and_b32_e32 v11, 7, v11
	v_cmp_eq_u16_e32 vcc, 0, v6
	v_cndmask_b32_e32 v3, v3, v11, vcc
	v_cndmask_b32_e32 v6, v7, v10, vcc
	v_lshlrev_b32_e32 v7, 8, v4
	v_mov_b32_e32 v10, 0x3b800000
	v_lshlrev_b32_e32 v3, 20, v3
	v_and_b32_e32 v7, 0x80000000, v7
	v_lshl_add_u32 v6, v6, 23, v10
	v_or3_b32 v6, v7, v6, v3
.LBB1_1496:
	s_or_b64 exec, exec, s[6:7]
	s_nop 0
	v_mfma_f32_16x16x4f32 a[0:3], v2, v6, a[0:3]
	s_movk_i32 s4, 0x7f
	v_cmp_gt_i16_sdwa s[6:7], v8, s4 src0_sel:BYTE_3 src1_sel:DWORD
	s_mov_b64 s[4:5], 0
                                        ; implicit-def: $sgpr10
	s_and_saveexec_b64 s[8:9], s[6:7]
	s_xor_b64 s[6:7], exec, s[8:9]
	s_cbranch_execnz .LBB1_3545
; %bb.1497:
	s_or_saveexec_b64 s[6:7], s[6:7]
	v_mov_b32_e32 v2, s10
	s_xor_b64 exec, exec, s[6:7]
	s_cbranch_execnz .LBB1_3548
.LBB1_1498:
	s_or_b64 exec, exec, s[6:7]
	s_and_saveexec_b64 s[6:7], s[4:5]
	s_cbranch_execz .LBB1_1500
.LBB1_1499:
	v_bfe_u32 v2, v8, 24, 3
	v_ffbh_u32_e32 v10, v2
	v_min_u32_e32 v10, 32, v10
	v_lshrrev_b32_e32 v6, 27, v8
	v_subrev_u32_e32 v11, 28, v10
	v_and_b32_e32 v3, 0x80000000, v8
	v_and_b32_e32 v6, 15, v6
	v_bfe_u32 v7, v8, 27, 4
	v_lshlrev_b32_sdwa v8, v11, v8 dst_sel:DWORD dst_unused:UNUSED_PAD src0_sel:DWORD src1_sel:BYTE_3
	v_sub_u32_e32 v10, 29, v10
	v_and_b32_e32 v8, 7, v8
	v_cmp_eq_u16_e32 vcc, 0, v6
	v_cndmask_b32_e32 v2, v2, v8, vcc
	v_cndmask_b32_e32 v6, v7, v10, vcc
	v_mov_b32_e32 v7, 0x3b800000
	v_lshlrev_b32_e32 v2, 20, v2
	v_lshl_add_u32 v6, v6, 23, v7
	v_or3_b32 v2, v3, v6, v2
.LBB1_1500:
	s_or_b64 exec, exec, s[6:7]
	s_movk_i32 s4, 0x7f
	v_cmp_gt_i16_sdwa s[6:7], v4, s4 src0_sel:BYTE_3 src1_sel:DWORD
	s_mov_b64 s[4:5], 0
                                        ; implicit-def: $sgpr10
	s_and_saveexec_b64 s[8:9], s[6:7]
	s_xor_b64 s[6:7], exec, s[8:9]
	s_cbranch_execnz .LBB1_3549
; %bb.1501:
	s_or_saveexec_b64 s[6:7], s[6:7]
	v_mov_b32_e32 v3, s10
	s_xor_b64 exec, exec, s[6:7]
	s_cbranch_execnz .LBB1_3552
.LBB1_1502:
	s_or_b64 exec, exec, s[6:7]
	s_and_saveexec_b64 s[6:7], s[4:5]
	s_cbranch_execz .LBB1_1504
.LBB1_1503:
	v_bfe_u32 v3, v4, 24, 3
	v_ffbh_u32_e32 v10, v3
	v_min_u32_e32 v10, 32, v10
	v_lshrrev_b32_e32 v7, 27, v4
	v_subrev_u32_e32 v11, 28, v10
	v_and_b32_e32 v6, 0x80000000, v4
	v_and_b32_e32 v7, 15, v7
	v_bfe_u32 v8, v4, 27, 4
	v_lshlrev_b32_sdwa v4, v11, v4 dst_sel:DWORD dst_unused:UNUSED_PAD src0_sel:DWORD src1_sel:BYTE_3
	v_sub_u32_e32 v10, 29, v10
	v_and_b32_e32 v4, 7, v4
	v_cmp_eq_u16_e32 vcc, 0, v7
	v_cndmask_b32_e32 v3, v3, v4, vcc
	v_cndmask_b32_e32 v4, v8, v10, vcc
	v_mov_b32_e32 v7, 0x3b800000
	v_lshlrev_b32_e32 v3, 20, v3
	v_lshl_add_u32 v4, v4, 23, v7
	v_or3_b32 v3, v6, v4, v3
.LBB1_1504:
	s_or_b64 exec, exec, s[6:7]
	s_nop 0
	v_mfma_f32_16x16x4f32 a[0:3], v2, v3, a[0:3]
	s_movk_i32 s4, 0x7f
	v_cmp_gt_i16_sdwa s[6:7], v9, s4 src0_sel:BYTE_0 src1_sel:DWORD
	s_mov_b64 s[4:5], 0
                                        ; implicit-def: $sgpr10
	s_and_saveexec_b64 s[8:9], s[6:7]
	s_xor_b64 s[6:7], exec, s[8:9]
	s_cbranch_execnz .LBB1_3553
; %bb.1505:
	s_or_saveexec_b64 s[6:7], s[6:7]
	v_mov_b32_e32 v2, s10
	s_xor_b64 exec, exec, s[6:7]
	s_cbranch_execnz .LBB1_3556
.LBB1_1506:
	s_or_b64 exec, exec, s[6:7]
	s_and_saveexec_b64 s[6:7], s[4:5]
	s_cbranch_execz .LBB1_1508
.LBB1_1507:
	v_mov_b32_e32 v2, 8
	v_and_b32_e32 v3, 7, v9
	v_lshrrev_b32_sdwa v2, v2, v9 dst_sel:BYTE_1 dst_unused:UNUSED_PAD src0_sel:DWORD src1_sel:DWORD
	v_ffbh_u32_e32 v4, v3
	v_or_b32_sdwa v2, v9, v2 dst_sel:DWORD dst_unused:UNUSED_PAD src0_sel:BYTE_0 src1_sel:DWORD
	v_min_u32_e32 v4, 32, v4
	v_lshrrev_b16_e32 v2, 3, v2
	v_subrev_u32_e32 v6, 28, v4
	v_and_b32_e32 v2, 15, v2
	v_lshlrev_b32_e32 v6, v6, v9
	v_sub_u32_e32 v4, 29, v4
	v_and_b32_e32 v6, 7, v6
	v_cmp_eq_u16_e32 vcc, 0, v2
	v_cndmask_b32_e32 v3, v3, v6, vcc
	v_cndmask_b32_e32 v2, v2, v4, vcc
	v_lshlrev_b32_e32 v4, 24, v9
	v_mov_b32_e32 v6, 0x3b800000
	v_lshlrev_b32_e32 v3, 20, v3
	v_and_b32_e32 v4, 0x80000000, v4
	v_lshl_add_u32 v2, v2, 23, v6
	v_or3_b32 v2, v4, v2, v3
.LBB1_1508:
	s_or_b64 exec, exec, s[6:7]
	s_movk_i32 s4, 0x7f
	v_cmp_gt_i16_sdwa s[6:7], v5, s4 src0_sel:BYTE_0 src1_sel:DWORD
	s_mov_b64 s[4:5], 0
                                        ; implicit-def: $sgpr10
	s_and_saveexec_b64 s[8:9], s[6:7]
	s_xor_b64 s[6:7], exec, s[8:9]
	s_cbranch_execnz .LBB1_3557
; %bb.1509:
	s_or_saveexec_b64 s[6:7], s[6:7]
	v_mov_b32_e32 v3, s10
	s_xor_b64 exec, exec, s[6:7]
	s_cbranch_execnz .LBB1_3560
.LBB1_1510:
	s_or_b64 exec, exec, s[6:7]
	s_and_saveexec_b64 s[6:7], s[4:5]
	s_cbranch_execz .LBB1_1512
.LBB1_1511:
	v_mov_b32_e32 v3, 8
	v_and_b32_e32 v4, 7, v5
	v_lshrrev_b32_sdwa v3, v3, v5 dst_sel:BYTE_1 dst_unused:UNUSED_PAD src0_sel:DWORD src1_sel:DWORD
	v_ffbh_u32_e32 v6, v4
	v_or_b32_sdwa v3, v5, v3 dst_sel:DWORD dst_unused:UNUSED_PAD src0_sel:BYTE_0 src1_sel:DWORD
	v_min_u32_e32 v6, 32, v6
	v_lshrrev_b16_e32 v3, 3, v3
	v_subrev_u32_e32 v7, 28, v6
	v_and_b32_e32 v3, 15, v3
	v_lshlrev_b32_e32 v7, v7, v5
	v_sub_u32_e32 v6, 29, v6
	v_and_b32_e32 v7, 7, v7
	v_cmp_eq_u16_e32 vcc, 0, v3
	v_cndmask_b32_e32 v4, v4, v7, vcc
	v_cndmask_b32_e32 v3, v3, v6, vcc
	v_lshlrev_b32_e32 v6, 24, v5
	v_mov_b32_e32 v7, 0x3b800000
	v_lshlrev_b32_e32 v4, 20, v4
	v_and_b32_e32 v6, 0x80000000, v6
	v_lshl_add_u32 v3, v3, 23, v7
	v_or3_b32 v3, v6, v3, v4
.LBB1_1512:
	s_or_b64 exec, exec, s[6:7]
	s_nop 0
	v_mfma_f32_16x16x4f32 a[0:3], v2, v3, a[0:3]
	v_lshrrev_b32_e32 v3, 8, v9
	s_movk_i32 s4, 0x7f
	v_cmp_gt_i16_sdwa s[6:7], v3, s4 src0_sel:BYTE_0 src1_sel:DWORD
	s_mov_b64 s[4:5], 0
                                        ; implicit-def: $sgpr10
	s_and_saveexec_b64 s[8:9], s[6:7]
	s_xor_b64 s[6:7], exec, s[8:9]
	s_cbranch_execnz .LBB1_3561
; %bb.1513:
	s_or_saveexec_b64 s[6:7], s[6:7]
	v_mov_b32_e32 v2, s10
	s_xor_b64 exec, exec, s[6:7]
	s_cbranch_execnz .LBB1_3564
.LBB1_1514:
	s_or_b64 exec, exec, s[6:7]
	s_and_saveexec_b64 s[6:7], s[4:5]
	s_cbranch_execz .LBB1_1516
.LBB1_1515:
	v_bfe_u32 v2, v9, 8, 3
	v_ffbh_u32_e32 v6, v2
	v_min_u32_e32 v6, 32, v6
	v_lshrrev_b16_e32 v4, 3, v3
	v_subrev_u32_e32 v7, 28, v6
	v_and_b32_e32 v4, 15, v4
	v_lshlrev_b32_e32 v3, v7, v3
	v_sub_u32_e32 v6, 29, v6
	v_and_b32_e32 v3, 7, v3
	v_cmp_eq_u16_e32 vcc, 0, v4
	v_cndmask_b32_e32 v2, v2, v3, vcc
	v_cndmask_b32_e32 v3, v4, v6, vcc
	v_lshlrev_b32_e32 v4, 16, v9
	v_mov_b32_e32 v6, 0x3b800000
	v_lshlrev_b32_e32 v2, 20, v2
	v_and_b32_e32 v4, 0x80000000, v4
	v_lshl_add_u32 v3, v3, 23, v6
	v_or3_b32 v2, v4, v3, v2
.LBB1_1516:
	s_or_b64 exec, exec, s[6:7]
	v_lshrrev_b32_e32 v3, 8, v5
	s_movk_i32 s4, 0x7f
	v_cmp_gt_i16_sdwa s[6:7], v3, s4 src0_sel:BYTE_0 src1_sel:DWORD
	s_mov_b64 s[4:5], 0
                                        ; implicit-def: $sgpr10
	s_and_saveexec_b64 s[8:9], s[6:7]
	s_xor_b64 s[6:7], exec, s[8:9]
	s_cbranch_execnz .LBB1_3565
; %bb.1517:
	s_or_saveexec_b64 s[6:7], s[6:7]
	v_mov_b32_e32 v4, s10
	s_xor_b64 exec, exec, s[6:7]
	s_cbranch_execnz .LBB1_3568
.LBB1_1518:
	s_or_b64 exec, exec, s[6:7]
	s_and_saveexec_b64 s[6:7], s[4:5]
	s_cbranch_execz .LBB1_1520
.LBB1_1519:
	v_bfe_u32 v4, v5, 8, 3
	v_ffbh_u32_e32 v7, v4
	v_min_u32_e32 v7, 32, v7
	v_lshrrev_b16_e32 v6, 3, v3
	v_subrev_u32_e32 v8, 28, v7
	v_and_b32_e32 v6, 15, v6
	v_lshlrev_b32_e32 v3, v8, v3
	v_sub_u32_e32 v7, 29, v7
	v_and_b32_e32 v3, 7, v3
	v_cmp_eq_u16_e32 vcc, 0, v6
	v_cndmask_b32_e32 v3, v4, v3, vcc
	v_cndmask_b32_e32 v4, v6, v7, vcc
	v_lshlrev_b32_e32 v6, 16, v5
	v_mov_b32_e32 v7, 0x3b800000
	v_lshlrev_b32_e32 v3, 20, v3
	v_and_b32_e32 v6, 0x80000000, v6
	v_lshl_add_u32 v4, v4, 23, v7
	v_or3_b32 v4, v6, v4, v3
.LBB1_1520:
	s_or_b64 exec, exec, s[6:7]
	s_nop 0
	v_mfma_f32_16x16x4f32 a[0:3], v2, v4, a[0:3]
	s_movk_i32 s4, 0xff
	v_and_b32_sdwa v3, v9, s4 dst_sel:DWORD dst_unused:UNUSED_PAD src0_sel:WORD_1 src1_sel:DWORD
	s_movk_i32 s4, 0x7f
	v_cmp_lt_i16_e32 vcc, s4, v3
	s_mov_b64 s[4:5], 0
                                        ; implicit-def: $sgpr10
	s_and_saveexec_b64 s[6:7], vcc
	s_xor_b64 s[6:7], exec, s[6:7]
	s_cbranch_execnz .LBB1_3569
; %bb.1521:
	s_or_saveexec_b64 s[6:7], s[6:7]
	v_mov_b32_e32 v2, s10
	s_xor_b64 exec, exec, s[6:7]
	s_cbranch_execnz .LBB1_3572
.LBB1_1522:
	s_or_b64 exec, exec, s[6:7]
	s_and_saveexec_b64 s[6:7], s[4:5]
	s_cbranch_execz .LBB1_1524
.LBB1_1523:
	v_bfe_u32 v2, v9, 16, 3
	v_ffbh_u32_e32 v6, v2
	v_min_u32_e32 v6, 32, v6
	v_lshrrev_b32_e32 v3, 19, v9
	v_subrev_u32_e32 v7, 28, v6
	v_and_b32_e32 v3, 15, v3
	v_lshlrev_b32_sdwa v7, v7, v9 dst_sel:DWORD dst_unused:UNUSED_PAD src0_sel:DWORD src1_sel:WORD_1
	v_bfe_u32 v4, v9, 19, 4
	v_sub_u32_e32 v6, 29, v6
	v_and_b32_e32 v7, 7, v7
	v_cmp_eq_u16_e32 vcc, 0, v3
	v_cndmask_b32_e32 v2, v2, v7, vcc
	v_cndmask_b32_e32 v3, v4, v6, vcc
	v_lshlrev_b32_e32 v4, 8, v9
	v_mov_b32_e32 v6, 0x3b800000
	v_lshlrev_b32_e32 v2, 20, v2
	v_and_b32_e32 v4, 0x80000000, v4
	v_lshl_add_u32 v3, v3, 23, v6
	v_or3_b32 v2, v4, v3, v2
.LBB1_1524:
	s_or_b64 exec, exec, s[6:7]
	s_movk_i32 s4, 0xff
	v_and_b32_sdwa v3, v5, s4 dst_sel:DWORD dst_unused:UNUSED_PAD src0_sel:WORD_1 src1_sel:DWORD
	s_movk_i32 s4, 0x7f
	v_cmp_lt_i16_e32 vcc, s4, v3
	s_mov_b64 s[4:5], 0
                                        ; implicit-def: $sgpr10
	s_and_saveexec_b64 s[6:7], vcc
	s_xor_b64 s[6:7], exec, s[6:7]
	s_cbranch_execnz .LBB1_3573
; %bb.1525:
	s_or_saveexec_b64 s[6:7], s[6:7]
	v_mov_b32_e32 v4, s10
	s_xor_b64 exec, exec, s[6:7]
	s_cbranch_execnz .LBB1_3576
.LBB1_1526:
	s_or_b64 exec, exec, s[6:7]
	s_and_saveexec_b64 s[6:7], s[4:5]
	s_cbranch_execz .LBB1_1528
.LBB1_1527:
	v_bfe_u32 v3, v5, 16, 3
	v_ffbh_u32_e32 v7, v3
	v_min_u32_e32 v7, 32, v7
	v_lshrrev_b32_e32 v4, 19, v5
	v_subrev_u32_e32 v8, 28, v7
	v_and_b32_e32 v4, 15, v4
	v_lshlrev_b32_sdwa v8, v8, v5 dst_sel:DWORD dst_unused:UNUSED_PAD src0_sel:DWORD src1_sel:WORD_1
	v_bfe_u32 v6, v5, 19, 4
	v_sub_u32_e32 v7, 29, v7
	v_and_b32_e32 v8, 7, v8
	v_cmp_eq_u16_e32 vcc, 0, v4
	v_cndmask_b32_e32 v3, v3, v8, vcc
	v_cndmask_b32_e32 v4, v6, v7, vcc
	v_lshlrev_b32_e32 v6, 8, v5
	v_mov_b32_e32 v7, 0x3b800000
	v_lshlrev_b32_e32 v3, 20, v3
	v_and_b32_e32 v6, 0x80000000, v6
	v_lshl_add_u32 v4, v4, 23, v7
	v_or3_b32 v4, v6, v4, v3
.LBB1_1528:
	s_or_b64 exec, exec, s[6:7]
	s_nop 0
	v_mfma_f32_16x16x4f32 a[0:3], v2, v4, a[0:3]
	s_movk_i32 s4, 0x7f
	v_cmp_gt_i16_sdwa s[6:7], v9, s4 src0_sel:BYTE_3 src1_sel:DWORD
	s_mov_b64 s[4:5], 0
                                        ; implicit-def: $sgpr10
	s_and_saveexec_b64 s[8:9], s[6:7]
	s_xor_b64 s[6:7], exec, s[8:9]
	s_cbranch_execnz .LBB1_3577
; %bb.1529:
	s_or_saveexec_b64 s[6:7], s[6:7]
	v_mov_b32_e32 v2, s10
	s_xor_b64 exec, exec, s[6:7]
	s_cbranch_execnz .LBB1_3580
.LBB1_1530:
	s_or_b64 exec, exec, s[6:7]
	s_and_saveexec_b64 s[6:7], s[4:5]
	s_cbranch_execz .LBB1_1532
.LBB1_1531:
	v_bfe_u32 v2, v9, 24, 3
	v_ffbh_u32_e32 v7, v2
	v_min_u32_e32 v7, 32, v7
	v_lshrrev_b32_e32 v4, 27, v9
	v_subrev_u32_e32 v8, 28, v7
	v_and_b32_e32 v4, 15, v4
	v_lshlrev_b32_sdwa v8, v8, v9 dst_sel:DWORD dst_unused:UNUSED_PAD src0_sel:DWORD src1_sel:BYTE_3
	v_bfe_u32 v6, v9, 27, 4
	v_sub_u32_e32 v7, 29, v7
	v_and_b32_e32 v8, 7, v8
	v_cmp_eq_u16_e32 vcc, 0, v4
	v_cndmask_b32_e32 v2, v2, v8, vcc
	v_cndmask_b32_e32 v4, v6, v7, vcc
	v_mov_b32_e32 v6, 0x3b800000
	v_and_b32_e32 v3, 0x80000000, v9
	v_lshlrev_b32_e32 v2, 20, v2
	v_lshl_add_u32 v4, v4, 23, v6
	v_or3_b32 v2, v3, v4, v2
.LBB1_1532:
	s_or_b64 exec, exec, s[6:7]
	s_movk_i32 s4, 0x7f
	v_cmp_gt_i16_sdwa s[6:7], v5, s4 src0_sel:BYTE_3 src1_sel:DWORD
	s_mov_b64 s[4:5], 0
                                        ; implicit-def: $sgpr10
	s_and_saveexec_b64 s[8:9], s[6:7]
	s_xor_b64 s[6:7], exec, s[8:9]
	s_cbranch_execnz .LBB1_3581
; %bb.1533:
	s_or_saveexec_b64 s[6:7], s[6:7]
	v_mov_b32_e32 v3, s10
	s_xor_b64 exec, exec, s[6:7]
	s_cbranch_execnz .LBB1_3584
.LBB1_1534:
	s_or_b64 exec, exec, s[6:7]
	s_and_saveexec_b64 s[6:7], s[4:5]
	s_cbranch_execz .LBB1_1536
.LBB1_1535:
	v_bfe_u32 v3, v5, 24, 3
	v_ffbh_u32_e32 v8, v3
	v_min_u32_e32 v8, 32, v8
	v_lshrrev_b32_e32 v6, 27, v5
	v_subrev_u32_e32 v9, 28, v8
	v_and_b32_e32 v4, 0x80000000, v5
	v_and_b32_e32 v6, 15, v6
	v_bfe_u32 v7, v5, 27, 4
	v_lshlrev_b32_sdwa v5, v9, v5 dst_sel:DWORD dst_unused:UNUSED_PAD src0_sel:DWORD src1_sel:BYTE_3
	v_sub_u32_e32 v8, 29, v8
	v_and_b32_e32 v5, 7, v5
	v_cmp_eq_u16_e32 vcc, 0, v6
	v_cndmask_b32_e32 v3, v3, v5, vcc
	v_cndmask_b32_e32 v5, v7, v8, vcc
	v_mov_b32_e32 v6, 0x3b800000
	v_lshlrev_b32_e32 v3, 20, v3
	v_lshl_add_u32 v5, v5, 23, v6
	v_or3_b32 v3, v4, v5, v3
.LBB1_1536:
	s_or_b64 exec, exec, s[6:7]
	s_nop 0
	v_mfma_f32_16x16x4f32 a[0:3], v2, v3, a[0:3]
	s_movk_i32 s4, 0x7f
                                        ; implicit-def: $sgpr10
	s_nop 7
	s_nop 1
	flat_store_dwordx4 v[18:19], a[0:3] offset:80
	flat_load_dwordx4 v[20:23], v[0:1] offset:16
	s_nop 0
	flat_load_dwordx2 v[18:19], v[0:1] offset:32
	s_waitcnt vmcnt(0) lgkmcnt(0)
	flat_load_dwordx4 v[14:17], v[20:21]
	flat_load_dwordx4 v[6:9], v[20:21] offset:16
	flat_load_dwordx4 v[10:13], v[22:23] offset:192
	;; [unrolled: 1-line block ×3, first 2 shown]
	s_waitcnt vmcnt(0) lgkmcnt(0)
	v_cmp_gt_i16_sdwa s[6:7], v14, s4 src0_sel:BYTE_0 src1_sel:DWORD
	s_mov_b64 s[4:5], 0
	s_and_saveexec_b64 s[8:9], s[6:7]
	s_xor_b64 s[6:7], exec, s[8:9]
	s_cbranch_execnz .LBB1_3585
; %bb.1537:
	s_or_saveexec_b64 s[6:7], s[6:7]
	v_mov_b32_e32 v20, s10
	s_xor_b64 exec, exec, s[6:7]
	s_cbranch_execnz .LBB1_3588
.LBB1_1538:
	s_or_b64 exec, exec, s[6:7]
	s_and_saveexec_b64 s[6:7], s[4:5]
	s_cbranch_execz .LBB1_1540
.LBB1_1539:
	v_and_b32_e32 v20, 7, v14
	v_ffbh_u32_e32 v22, v20
	v_min_u32_e32 v22, 32, v22
	v_lshrrev_b16_e32 v21, 3, v14
	v_subrev_u32_e32 v23, 28, v22
	v_and_b32_e32 v21, 15, v21
	v_lshlrev_b32_e32 v23, v23, v14
	v_sub_u32_e32 v22, 29, v22
	v_and_b32_e32 v23, 7, v23
	v_cmp_eq_u16_e32 vcc, 0, v21
	v_cndmask_b32_e32 v20, v20, v23, vcc
	v_cndmask_b32_e32 v21, v21, v22, vcc
	v_lshlrev_b32_e32 v22, 24, v14
	v_mov_b32_e32 v23, 0x3b800000
	v_lshlrev_b32_e32 v20, 20, v20
	v_and_b32_e32 v22, 0x80000000, v22
	v_lshl_add_u32 v21, v21, 23, v23
	v_or3_b32 v20, v22, v21, v20
.LBB1_1540:
	s_or_b64 exec, exec, s[6:7]
	s_movk_i32 s4, 0x7f
	v_cmp_gt_i16_sdwa s[6:7], v10, s4 src0_sel:BYTE_0 src1_sel:DWORD
	s_mov_b64 s[4:5], 0
                                        ; implicit-def: $sgpr10
	s_and_saveexec_b64 s[8:9], s[6:7]
	s_xor_b64 s[6:7], exec, s[8:9]
	s_cbranch_execnz .LBB1_3589
; %bb.1541:
	s_or_saveexec_b64 s[6:7], s[6:7]
	v_mov_b32_e32 v21, s10
	s_xor_b64 exec, exec, s[6:7]
	s_cbranch_execnz .LBB1_3592
.LBB1_1542:
	s_or_b64 exec, exec, s[6:7]
	s_and_saveexec_b64 s[6:7], s[4:5]
	s_cbranch_execz .LBB1_1544
.LBB1_1543:
	v_and_b32_e32 v21, 7, v10
	v_ffbh_u32_e32 v23, v21
	v_min_u32_e32 v23, 32, v23
	v_lshrrev_b16_e32 v22, 3, v10
	v_subrev_u32_e32 v24, 28, v23
	v_and_b32_e32 v22, 15, v22
	v_lshlrev_b32_e32 v24, v24, v10
	v_sub_u32_e32 v23, 29, v23
	v_and_b32_e32 v24, 7, v24
	v_cmp_eq_u16_e32 vcc, 0, v22
	v_cndmask_b32_e32 v21, v21, v24, vcc
	v_cndmask_b32_e32 v22, v22, v23, vcc
	v_lshlrev_b32_e32 v23, 24, v10
	v_mov_b32_e32 v24, 0x3b800000
	v_lshlrev_b32_e32 v21, 20, v21
	v_and_b32_e32 v23, 0x80000000, v23
	v_lshl_add_u32 v22, v22, 23, v24
	v_or3_b32 v21, v23, v22, v21
.LBB1_1544:
	s_or_b64 exec, exec, s[6:7]
	flat_load_dwordx4 a[0:3], v[18:19] offset:96
	s_movk_i32 s4, 0x7f
                                        ; implicit-def: $sgpr10
	s_waitcnt vmcnt(0) lgkmcnt(0)
	v_mfma_f32_16x16x4f32 a[0:3], v20, v21, a[0:3]
	v_lshrrev_b32_e32 v21, 8, v14
	v_cmp_gt_i16_sdwa s[6:7], v21, s4 src0_sel:BYTE_0 src1_sel:DWORD
	s_mov_b64 s[4:5], 0
	s_and_saveexec_b64 s[8:9], s[6:7]
	s_xor_b64 s[6:7], exec, s[8:9]
	s_cbranch_execnz .LBB1_3593
; %bb.1545:
	s_or_saveexec_b64 s[6:7], s[6:7]
	v_mov_b32_e32 v20, s10
	s_xor_b64 exec, exec, s[6:7]
	s_cbranch_execnz .LBB1_3596
.LBB1_1546:
	s_or_b64 exec, exec, s[6:7]
	s_and_saveexec_b64 s[6:7], s[4:5]
	s_cbranch_execz .LBB1_1548
.LBB1_1547:
	v_bfe_u32 v20, v14, 8, 3
	v_ffbh_u32_e32 v23, v20
	v_min_u32_e32 v23, 32, v23
	v_lshrrev_b16_e32 v22, 3, v21
	v_subrev_u32_e32 v24, 28, v23
	v_and_b32_e32 v22, 15, v22
	v_lshlrev_b32_e32 v21, v24, v21
	v_sub_u32_e32 v23, 29, v23
	v_and_b32_e32 v21, 7, v21
	v_cmp_eq_u16_e32 vcc, 0, v22
	v_cndmask_b32_e32 v20, v20, v21, vcc
	v_cndmask_b32_e32 v21, v22, v23, vcc
	v_lshlrev_b32_e32 v22, 16, v14
	v_mov_b32_e32 v23, 0x3b800000
	v_lshlrev_b32_e32 v20, 20, v20
	v_and_b32_e32 v22, 0x80000000, v22
	v_lshl_add_u32 v21, v21, 23, v23
	v_or3_b32 v20, v22, v21, v20
.LBB1_1548:
	s_or_b64 exec, exec, s[6:7]
	v_lshrrev_b32_e32 v21, 8, v10
	s_movk_i32 s4, 0x7f
	v_cmp_gt_i16_sdwa s[6:7], v21, s4 src0_sel:BYTE_0 src1_sel:DWORD
	s_mov_b64 s[4:5], 0
                                        ; implicit-def: $sgpr10
	s_and_saveexec_b64 s[8:9], s[6:7]
	s_xor_b64 s[6:7], exec, s[8:9]
	s_cbranch_execnz .LBB1_3597
; %bb.1549:
	s_or_saveexec_b64 s[6:7], s[6:7]
	v_mov_b32_e32 v22, s10
	s_xor_b64 exec, exec, s[6:7]
	s_cbranch_execnz .LBB1_3600
.LBB1_1550:
	s_or_b64 exec, exec, s[6:7]
	s_and_saveexec_b64 s[6:7], s[4:5]
	s_cbranch_execz .LBB1_1552
.LBB1_1551:
	v_bfe_u32 v22, v10, 8, 3
	v_ffbh_u32_e32 v24, v22
	v_min_u32_e32 v24, 32, v24
	v_lshrrev_b16_e32 v23, 3, v21
	v_subrev_u32_e32 v25, 28, v24
	v_and_b32_e32 v23, 15, v23
	v_lshlrev_b32_e32 v21, v25, v21
	v_sub_u32_e32 v24, 29, v24
	v_and_b32_e32 v21, 7, v21
	v_cmp_eq_u16_e32 vcc, 0, v23
	v_cndmask_b32_e32 v21, v22, v21, vcc
	v_cndmask_b32_e32 v22, v23, v24, vcc
	v_lshlrev_b32_e32 v23, 16, v10
	v_mov_b32_e32 v24, 0x3b800000
	v_lshlrev_b32_e32 v21, 20, v21
	v_and_b32_e32 v23, 0x80000000, v23
	v_lshl_add_u32 v22, v22, 23, v24
	v_or3_b32 v22, v23, v22, v21
.LBB1_1552:
	s_or_b64 exec, exec, s[6:7]
	s_nop 0
	v_mfma_f32_16x16x4f32 a[0:3], v20, v22, a[0:3]
	s_movk_i32 s4, 0xff
	v_and_b32_sdwa v21, v14, s4 dst_sel:DWORD dst_unused:UNUSED_PAD src0_sel:WORD_1 src1_sel:DWORD
	s_movk_i32 s4, 0x7f
	v_cmp_lt_i16_e32 vcc, s4, v21
	s_mov_b64 s[4:5], 0
                                        ; implicit-def: $sgpr10
	s_and_saveexec_b64 s[6:7], vcc
	s_xor_b64 s[6:7], exec, s[6:7]
	s_cbranch_execnz .LBB1_3601
; %bb.1553:
	s_or_saveexec_b64 s[6:7], s[6:7]
	v_mov_b32_e32 v20, s10
	s_xor_b64 exec, exec, s[6:7]
	s_cbranch_execnz .LBB1_3604
.LBB1_1554:
	s_or_b64 exec, exec, s[6:7]
	s_and_saveexec_b64 s[6:7], s[4:5]
	s_cbranch_execz .LBB1_1556
.LBB1_1555:
	v_bfe_u32 v20, v14, 16, 3
	v_ffbh_u32_e32 v23, v20
	v_min_u32_e32 v23, 32, v23
	v_lshrrev_b32_e32 v21, 19, v14
	v_subrev_u32_e32 v24, 28, v23
	v_and_b32_e32 v21, 15, v21
	v_lshlrev_b32_sdwa v24, v24, v14 dst_sel:DWORD dst_unused:UNUSED_PAD src0_sel:DWORD src1_sel:WORD_1
	v_bfe_u32 v22, v14, 19, 4
	v_sub_u32_e32 v23, 29, v23
	v_and_b32_e32 v24, 7, v24
	v_cmp_eq_u16_e32 vcc, 0, v21
	v_cndmask_b32_e32 v20, v20, v24, vcc
	v_cndmask_b32_e32 v21, v22, v23, vcc
	v_lshlrev_b32_e32 v22, 8, v14
	v_mov_b32_e32 v23, 0x3b800000
	v_lshlrev_b32_e32 v20, 20, v20
	v_and_b32_e32 v22, 0x80000000, v22
	v_lshl_add_u32 v21, v21, 23, v23
	v_or3_b32 v20, v22, v21, v20
.LBB1_1556:
	s_or_b64 exec, exec, s[6:7]
	s_movk_i32 s4, 0xff
	v_and_b32_sdwa v21, v10, s4 dst_sel:DWORD dst_unused:UNUSED_PAD src0_sel:WORD_1 src1_sel:DWORD
	s_movk_i32 s4, 0x7f
	v_cmp_lt_i16_e32 vcc, s4, v21
	s_mov_b64 s[4:5], 0
                                        ; implicit-def: $sgpr10
	s_and_saveexec_b64 s[6:7], vcc
	s_xor_b64 s[6:7], exec, s[6:7]
	s_cbranch_execnz .LBB1_3605
; %bb.1557:
	s_or_saveexec_b64 s[6:7], s[6:7]
	v_mov_b32_e32 v22, s10
	s_xor_b64 exec, exec, s[6:7]
	s_cbranch_execnz .LBB1_3608
.LBB1_1558:
	s_or_b64 exec, exec, s[6:7]
	s_and_saveexec_b64 s[6:7], s[4:5]
	s_cbranch_execz .LBB1_1560
.LBB1_1559:
	v_bfe_u32 v21, v10, 16, 3
	v_ffbh_u32_e32 v24, v21
	v_min_u32_e32 v24, 32, v24
	v_lshrrev_b32_e32 v22, 19, v10
	v_subrev_u32_e32 v25, 28, v24
	v_and_b32_e32 v22, 15, v22
	v_lshlrev_b32_sdwa v25, v25, v10 dst_sel:DWORD dst_unused:UNUSED_PAD src0_sel:DWORD src1_sel:WORD_1
	v_bfe_u32 v23, v10, 19, 4
	v_sub_u32_e32 v24, 29, v24
	v_and_b32_e32 v25, 7, v25
	v_cmp_eq_u16_e32 vcc, 0, v22
	v_cndmask_b32_e32 v21, v21, v25, vcc
	v_cndmask_b32_e32 v22, v23, v24, vcc
	v_lshlrev_b32_e32 v23, 8, v10
	v_mov_b32_e32 v24, 0x3b800000
	v_lshlrev_b32_e32 v21, 20, v21
	v_and_b32_e32 v23, 0x80000000, v23
	v_lshl_add_u32 v22, v22, 23, v24
	v_or3_b32 v22, v23, v22, v21
.LBB1_1560:
	s_or_b64 exec, exec, s[6:7]
	s_nop 0
	v_mfma_f32_16x16x4f32 a[0:3], v20, v22, a[0:3]
	s_movk_i32 s4, 0x7f
	v_cmp_gt_i16_sdwa s[6:7], v14, s4 src0_sel:BYTE_3 src1_sel:DWORD
	s_mov_b64 s[4:5], 0
                                        ; implicit-def: $sgpr10
	s_and_saveexec_b64 s[8:9], s[6:7]
	s_xor_b64 s[6:7], exec, s[8:9]
	s_cbranch_execnz .LBB1_3609
; %bb.1561:
	s_or_saveexec_b64 s[6:7], s[6:7]
	v_mov_b32_e32 v20, s10
	s_xor_b64 exec, exec, s[6:7]
	s_cbranch_execnz .LBB1_3612
.LBB1_1562:
	s_or_b64 exec, exec, s[6:7]
	s_and_saveexec_b64 s[6:7], s[4:5]
	s_cbranch_execz .LBB1_1564
.LBB1_1563:
	v_bfe_u32 v20, v14, 24, 3
	v_ffbh_u32_e32 v24, v20
	v_min_u32_e32 v24, 32, v24
	v_lshrrev_b32_e32 v22, 27, v14
	v_subrev_u32_e32 v25, 28, v24
	v_and_b32_e32 v21, 0x80000000, v14
	v_and_b32_e32 v22, 15, v22
	v_bfe_u32 v23, v14, 27, 4
	v_lshlrev_b32_sdwa v14, v25, v14 dst_sel:DWORD dst_unused:UNUSED_PAD src0_sel:DWORD src1_sel:BYTE_3
	v_sub_u32_e32 v24, 29, v24
	v_and_b32_e32 v14, 7, v14
	v_cmp_eq_u16_e32 vcc, 0, v22
	v_cndmask_b32_e32 v14, v20, v14, vcc
	v_cndmask_b32_e32 v20, v23, v24, vcc
	v_mov_b32_e32 v22, 0x3b800000
	v_lshlrev_b32_e32 v14, 20, v14
	v_lshl_add_u32 v20, v20, 23, v22
	v_or3_b32 v20, v21, v20, v14
.LBB1_1564:
	s_or_b64 exec, exec, s[6:7]
	s_movk_i32 s4, 0x7f
	v_cmp_gt_i16_sdwa s[6:7], v10, s4 src0_sel:BYTE_3 src1_sel:DWORD
	s_mov_b64 s[4:5], 0
                                        ; implicit-def: $sgpr10
	s_and_saveexec_b64 s[8:9], s[6:7]
	s_xor_b64 s[6:7], exec, s[8:9]
	s_cbranch_execnz .LBB1_3613
; %bb.1565:
	s_or_saveexec_b64 s[6:7], s[6:7]
	v_mov_b32_e32 v14, s10
	s_xor_b64 exec, exec, s[6:7]
	s_cbranch_execnz .LBB1_3616
.LBB1_1566:
	s_or_b64 exec, exec, s[6:7]
	s_and_saveexec_b64 s[6:7], s[4:5]
	s_cbranch_execz .LBB1_1568
.LBB1_1567:
	v_bfe_u32 v14, v10, 24, 3
	v_ffbh_u32_e32 v24, v14
	v_min_u32_e32 v24, 32, v24
	v_lshrrev_b32_e32 v22, 27, v10
	v_subrev_u32_e32 v25, 28, v24
	v_and_b32_e32 v21, 0x80000000, v10
	v_and_b32_e32 v22, 15, v22
	v_bfe_u32 v23, v10, 27, 4
	v_lshlrev_b32_sdwa v10, v25, v10 dst_sel:DWORD dst_unused:UNUSED_PAD src0_sel:DWORD src1_sel:BYTE_3
	v_sub_u32_e32 v24, 29, v24
	v_and_b32_e32 v10, 7, v10
	v_cmp_eq_u16_e32 vcc, 0, v22
	v_cndmask_b32_e32 v10, v14, v10, vcc
	v_cndmask_b32_e32 v14, v23, v24, vcc
	v_mov_b32_e32 v22, 0x3b800000
	v_lshlrev_b32_e32 v10, 20, v10
	v_lshl_add_u32 v14, v14, 23, v22
	v_or3_b32 v14, v21, v14, v10
.LBB1_1568:
	s_or_b64 exec, exec, s[6:7]
	s_nop 0
	v_mfma_f32_16x16x4f32 a[0:3], v20, v14, a[0:3]
	s_movk_i32 s4, 0x7f
	v_cmp_gt_i16_sdwa s[6:7], v15, s4 src0_sel:BYTE_0 src1_sel:DWORD
	s_mov_b64 s[4:5], 0
                                        ; implicit-def: $sgpr10
	s_and_saveexec_b64 s[8:9], s[6:7]
	s_xor_b64 s[6:7], exec, s[8:9]
	s_cbranch_execnz .LBB1_3617
; %bb.1569:
	s_or_saveexec_b64 s[6:7], s[6:7]
	v_mov_b32_e32 v10, s10
	s_xor_b64 exec, exec, s[6:7]
	s_cbranch_execnz .LBB1_3620
.LBB1_1570:
	s_or_b64 exec, exec, s[6:7]
	s_and_saveexec_b64 s[6:7], s[4:5]
	s_cbranch_execz .LBB1_1572
.LBB1_1571:
	v_and_b32_e32 v10, 7, v15
	v_ffbh_u32_e32 v20, v10
	v_min_u32_e32 v20, 32, v20
	v_lshrrev_b16_e32 v14, 3, v15
	v_subrev_u32_e32 v21, 28, v20
	v_and_b32_e32 v14, 15, v14
	v_lshlrev_b32_e32 v21, v21, v15
	v_sub_u32_e32 v20, 29, v20
	v_and_b32_e32 v21, 7, v21
	v_cmp_eq_u16_e32 vcc, 0, v14
	v_cndmask_b32_e32 v10, v10, v21, vcc
	v_cndmask_b32_e32 v14, v14, v20, vcc
	v_lshlrev_b32_e32 v20, 24, v15
	v_mov_b32_e32 v21, 0x3b800000
	v_lshlrev_b32_e32 v10, 20, v10
	v_and_b32_e32 v20, 0x80000000, v20
	v_lshl_add_u32 v14, v14, 23, v21
	v_or3_b32 v10, v20, v14, v10
.LBB1_1572:
	s_or_b64 exec, exec, s[6:7]
	s_movk_i32 s4, 0x7f
	v_cmp_gt_i16_sdwa s[6:7], v11, s4 src0_sel:BYTE_0 src1_sel:DWORD
	s_mov_b64 s[4:5], 0
                                        ; implicit-def: $sgpr10
	s_and_saveexec_b64 s[8:9], s[6:7]
	s_xor_b64 s[6:7], exec, s[8:9]
	s_cbranch_execnz .LBB1_3621
; %bb.1573:
	s_or_saveexec_b64 s[6:7], s[6:7]
	v_mov_b32_e32 v14, s10
	s_xor_b64 exec, exec, s[6:7]
	s_cbranch_execnz .LBB1_3624
.LBB1_1574:
	s_or_b64 exec, exec, s[6:7]
	s_and_saveexec_b64 s[6:7], s[4:5]
	s_cbranch_execz .LBB1_1576
.LBB1_1575:
	v_and_b32_e32 v14, 7, v11
	v_ffbh_u32_e32 v21, v14
	v_min_u32_e32 v21, 32, v21
	v_lshrrev_b16_e32 v20, 3, v11
	v_subrev_u32_e32 v22, 28, v21
	v_and_b32_e32 v20, 15, v20
	v_lshlrev_b32_e32 v22, v22, v11
	v_sub_u32_e32 v21, 29, v21
	v_and_b32_e32 v22, 7, v22
	v_cmp_eq_u16_e32 vcc, 0, v20
	v_cndmask_b32_e32 v14, v14, v22, vcc
	v_cndmask_b32_e32 v20, v20, v21, vcc
	v_lshlrev_b32_e32 v21, 24, v11
	v_mov_b32_e32 v22, 0x3b800000
	v_lshlrev_b32_e32 v14, 20, v14
	v_and_b32_e32 v21, 0x80000000, v21
	v_lshl_add_u32 v20, v20, 23, v22
	v_or3_b32 v14, v21, v20, v14
.LBB1_1576:
	s_or_b64 exec, exec, s[6:7]
	s_nop 0
	v_mfma_f32_16x16x4f32 a[0:3], v10, v14, a[0:3]
	v_lshrrev_b32_e32 v14, 8, v15
	s_movk_i32 s4, 0x7f
	v_cmp_gt_i16_sdwa s[6:7], v14, s4 src0_sel:BYTE_0 src1_sel:DWORD
	s_mov_b64 s[4:5], 0
                                        ; implicit-def: $sgpr10
	s_and_saveexec_b64 s[8:9], s[6:7]
	s_xor_b64 s[6:7], exec, s[8:9]
	s_cbranch_execnz .LBB1_3625
; %bb.1577:
	s_or_saveexec_b64 s[6:7], s[6:7]
	v_mov_b32_e32 v10, s10
	s_xor_b64 exec, exec, s[6:7]
	s_cbranch_execnz .LBB1_3628
.LBB1_1578:
	s_or_b64 exec, exec, s[6:7]
	s_and_saveexec_b64 s[6:7], s[4:5]
	s_cbranch_execz .LBB1_1580
.LBB1_1579:
	v_bfe_u32 v10, v15, 8, 3
	v_ffbh_u32_e32 v21, v10
	v_min_u32_e32 v21, 32, v21
	v_lshrrev_b16_e32 v20, 3, v14
	v_subrev_u32_e32 v22, 28, v21
	v_and_b32_e32 v20, 15, v20
	v_lshlrev_b32_e32 v14, v22, v14
	v_sub_u32_e32 v21, 29, v21
	v_and_b32_e32 v14, 7, v14
	v_cmp_eq_u16_e32 vcc, 0, v20
	v_cndmask_b32_e32 v10, v10, v14, vcc
	v_cndmask_b32_e32 v14, v20, v21, vcc
	v_lshlrev_b32_e32 v20, 16, v15
	v_mov_b32_e32 v21, 0x3b800000
	v_lshlrev_b32_e32 v10, 20, v10
	v_and_b32_e32 v20, 0x80000000, v20
	v_lshl_add_u32 v14, v14, 23, v21
	v_or3_b32 v10, v20, v14, v10
.LBB1_1580:
	s_or_b64 exec, exec, s[6:7]
	v_lshrrev_b32_e32 v14, 8, v11
	s_movk_i32 s4, 0x7f
	v_cmp_gt_i16_sdwa s[6:7], v14, s4 src0_sel:BYTE_0 src1_sel:DWORD
	s_mov_b64 s[4:5], 0
                                        ; implicit-def: $sgpr10
	s_and_saveexec_b64 s[8:9], s[6:7]
	s_xor_b64 s[6:7], exec, s[8:9]
	s_cbranch_execnz .LBB1_3629
; %bb.1581:
	s_or_saveexec_b64 s[6:7], s[6:7]
	v_mov_b32_e32 v20, s10
	s_xor_b64 exec, exec, s[6:7]
	s_cbranch_execnz .LBB1_3632
.LBB1_1582:
	s_or_b64 exec, exec, s[6:7]
	s_and_saveexec_b64 s[6:7], s[4:5]
	s_cbranch_execz .LBB1_1584
.LBB1_1583:
	v_bfe_u32 v20, v11, 8, 3
	v_ffbh_u32_e32 v22, v20
	v_min_u32_e32 v22, 32, v22
	v_lshrrev_b16_e32 v21, 3, v14
	v_subrev_u32_e32 v23, 28, v22
	v_and_b32_e32 v21, 15, v21
	v_lshlrev_b32_e32 v14, v23, v14
	v_sub_u32_e32 v22, 29, v22
	v_and_b32_e32 v14, 7, v14
	v_cmp_eq_u16_e32 vcc, 0, v21
	v_cndmask_b32_e32 v14, v20, v14, vcc
	v_cndmask_b32_e32 v20, v21, v22, vcc
	v_lshlrev_b32_e32 v21, 16, v11
	v_mov_b32_e32 v22, 0x3b800000
	v_lshlrev_b32_e32 v14, 20, v14
	v_and_b32_e32 v21, 0x80000000, v21
	v_lshl_add_u32 v20, v20, 23, v22
	v_or3_b32 v20, v21, v20, v14
.LBB1_1584:
	s_or_b64 exec, exec, s[6:7]
	s_nop 0
	v_mfma_f32_16x16x4f32 a[0:3], v10, v20, a[0:3]
	s_movk_i32 s4, 0xff
	v_and_b32_sdwa v14, v15, s4 dst_sel:DWORD dst_unused:UNUSED_PAD src0_sel:WORD_1 src1_sel:DWORD
	s_movk_i32 s4, 0x7f
	v_cmp_lt_i16_e32 vcc, s4, v14
	s_mov_b64 s[4:5], 0
                                        ; implicit-def: $sgpr10
	s_and_saveexec_b64 s[6:7], vcc
	s_xor_b64 s[6:7], exec, s[6:7]
	s_cbranch_execnz .LBB1_3633
; %bb.1585:
	s_or_saveexec_b64 s[6:7], s[6:7]
	v_mov_b32_e32 v10, s10
	s_xor_b64 exec, exec, s[6:7]
	s_cbranch_execnz .LBB1_3636
.LBB1_1586:
	s_or_b64 exec, exec, s[6:7]
	s_and_saveexec_b64 s[6:7], s[4:5]
	s_cbranch_execz .LBB1_1588
.LBB1_1587:
	v_bfe_u32 v10, v15, 16, 3
	v_ffbh_u32_e32 v21, v10
	v_min_u32_e32 v21, 32, v21
	v_lshrrev_b32_e32 v14, 19, v15
	v_subrev_u32_e32 v22, 28, v21
	v_and_b32_e32 v14, 15, v14
	v_lshlrev_b32_sdwa v22, v22, v15 dst_sel:DWORD dst_unused:UNUSED_PAD src0_sel:DWORD src1_sel:WORD_1
	v_bfe_u32 v20, v15, 19, 4
	v_sub_u32_e32 v21, 29, v21
	v_and_b32_e32 v22, 7, v22
	v_cmp_eq_u16_e32 vcc, 0, v14
	v_cndmask_b32_e32 v10, v10, v22, vcc
	v_cndmask_b32_e32 v14, v20, v21, vcc
	v_lshlrev_b32_e32 v20, 8, v15
	v_mov_b32_e32 v21, 0x3b800000
	v_lshlrev_b32_e32 v10, 20, v10
	v_and_b32_e32 v20, 0x80000000, v20
	v_lshl_add_u32 v14, v14, 23, v21
	v_or3_b32 v10, v20, v14, v10
.LBB1_1588:
	s_or_b64 exec, exec, s[6:7]
	s_movk_i32 s4, 0xff
	v_and_b32_sdwa v14, v11, s4 dst_sel:DWORD dst_unused:UNUSED_PAD src0_sel:WORD_1 src1_sel:DWORD
	s_movk_i32 s4, 0x7f
	v_cmp_lt_i16_e32 vcc, s4, v14
	s_mov_b64 s[4:5], 0
                                        ; implicit-def: $sgpr10
	s_and_saveexec_b64 s[6:7], vcc
	s_xor_b64 s[6:7], exec, s[6:7]
	s_cbranch_execnz .LBB1_3637
; %bb.1589:
	s_or_saveexec_b64 s[6:7], s[6:7]
	v_mov_b32_e32 v20, s10
	s_xor_b64 exec, exec, s[6:7]
	s_cbranch_execnz .LBB1_3640
.LBB1_1590:
	s_or_b64 exec, exec, s[6:7]
	s_and_saveexec_b64 s[6:7], s[4:5]
	s_cbranch_execz .LBB1_1592
.LBB1_1591:
	v_bfe_u32 v14, v11, 16, 3
	v_ffbh_u32_e32 v22, v14
	v_min_u32_e32 v22, 32, v22
	v_lshrrev_b32_e32 v20, 19, v11
	v_subrev_u32_e32 v23, 28, v22
	v_and_b32_e32 v20, 15, v20
	v_lshlrev_b32_sdwa v23, v23, v11 dst_sel:DWORD dst_unused:UNUSED_PAD src0_sel:DWORD src1_sel:WORD_1
	v_bfe_u32 v21, v11, 19, 4
	v_sub_u32_e32 v22, 29, v22
	v_and_b32_e32 v23, 7, v23
	v_cmp_eq_u16_e32 vcc, 0, v20
	v_cndmask_b32_e32 v14, v14, v23, vcc
	v_cndmask_b32_e32 v20, v21, v22, vcc
	v_lshlrev_b32_e32 v21, 8, v11
	v_mov_b32_e32 v22, 0x3b800000
	v_lshlrev_b32_e32 v14, 20, v14
	v_and_b32_e32 v21, 0x80000000, v21
	v_lshl_add_u32 v20, v20, 23, v22
	v_or3_b32 v20, v21, v20, v14
.LBB1_1592:
	s_or_b64 exec, exec, s[6:7]
	s_nop 0
	v_mfma_f32_16x16x4f32 a[0:3], v10, v20, a[0:3]
	s_movk_i32 s4, 0x7f
	v_cmp_gt_i16_sdwa s[6:7], v15, s4 src0_sel:BYTE_3 src1_sel:DWORD
	s_mov_b64 s[4:5], 0
                                        ; implicit-def: $sgpr10
	s_and_saveexec_b64 s[8:9], s[6:7]
	s_xor_b64 s[6:7], exec, s[8:9]
	s_cbranch_execnz .LBB1_3641
; %bb.1593:
	s_or_saveexec_b64 s[6:7], s[6:7]
	v_mov_b32_e32 v10, s10
	s_xor_b64 exec, exec, s[6:7]
	s_cbranch_execnz .LBB1_3644
.LBB1_1594:
	s_or_b64 exec, exec, s[6:7]
	s_and_saveexec_b64 s[6:7], s[4:5]
	s_cbranch_execz .LBB1_1596
.LBB1_1595:
	v_bfe_u32 v10, v15, 24, 3
	v_ffbh_u32_e32 v22, v10
	v_min_u32_e32 v22, 32, v22
	v_lshrrev_b32_e32 v20, 27, v15
	v_subrev_u32_e32 v23, 28, v22
	v_and_b32_e32 v14, 0x80000000, v15
	v_and_b32_e32 v20, 15, v20
	v_bfe_u32 v21, v15, 27, 4
	v_lshlrev_b32_sdwa v15, v23, v15 dst_sel:DWORD dst_unused:UNUSED_PAD src0_sel:DWORD src1_sel:BYTE_3
	v_sub_u32_e32 v22, 29, v22
	v_and_b32_e32 v15, 7, v15
	v_cmp_eq_u16_e32 vcc, 0, v20
	v_cndmask_b32_e32 v10, v10, v15, vcc
	v_cndmask_b32_e32 v15, v21, v22, vcc
	v_mov_b32_e32 v20, 0x3b800000
	v_lshlrev_b32_e32 v10, 20, v10
	v_lshl_add_u32 v15, v15, 23, v20
	v_or3_b32 v10, v14, v15, v10
.LBB1_1596:
	s_or_b64 exec, exec, s[6:7]
	s_movk_i32 s4, 0x7f
	v_cmp_gt_i16_sdwa s[6:7], v11, s4 src0_sel:BYTE_3 src1_sel:DWORD
	s_mov_b64 s[4:5], 0
                                        ; implicit-def: $sgpr10
	s_and_saveexec_b64 s[8:9], s[6:7]
	s_xor_b64 s[6:7], exec, s[8:9]
	s_cbranch_execnz .LBB1_3645
; %bb.1597:
	s_or_saveexec_b64 s[6:7], s[6:7]
	v_mov_b32_e32 v14, s10
	s_xor_b64 exec, exec, s[6:7]
	s_cbranch_execnz .LBB1_3648
.LBB1_1598:
	s_or_b64 exec, exec, s[6:7]
	s_and_saveexec_b64 s[6:7], s[4:5]
	s_cbranch_execz .LBB1_1600
.LBB1_1599:
	v_bfe_u32 v14, v11, 24, 3
	v_ffbh_u32_e32 v22, v14
	v_min_u32_e32 v22, 32, v22
	v_lshrrev_b32_e32 v20, 27, v11
	v_subrev_u32_e32 v23, 28, v22
	v_and_b32_e32 v15, 0x80000000, v11
	v_and_b32_e32 v20, 15, v20
	v_bfe_u32 v21, v11, 27, 4
	v_lshlrev_b32_sdwa v11, v23, v11 dst_sel:DWORD dst_unused:UNUSED_PAD src0_sel:DWORD src1_sel:BYTE_3
	v_sub_u32_e32 v22, 29, v22
	v_and_b32_e32 v11, 7, v11
	v_cmp_eq_u16_e32 vcc, 0, v20
	v_cndmask_b32_e32 v11, v14, v11, vcc
	v_cndmask_b32_e32 v14, v21, v22, vcc
	v_mov_b32_e32 v20, 0x3b800000
	v_lshlrev_b32_e32 v11, 20, v11
	v_lshl_add_u32 v14, v14, 23, v20
	v_or3_b32 v14, v15, v14, v11
.LBB1_1600:
	s_or_b64 exec, exec, s[6:7]
	s_nop 0
	v_mfma_f32_16x16x4f32 a[0:3], v10, v14, a[0:3]
	s_movk_i32 s4, 0x7f
	v_cmp_gt_i16_sdwa s[6:7], v16, s4 src0_sel:BYTE_0 src1_sel:DWORD
	s_mov_b64 s[4:5], 0
                                        ; implicit-def: $sgpr10
	s_and_saveexec_b64 s[8:9], s[6:7]
	s_xor_b64 s[6:7], exec, s[8:9]
	s_cbranch_execnz .LBB1_3649
; %bb.1601:
	s_or_saveexec_b64 s[6:7], s[6:7]
	v_mov_b32_e32 v10, s10
	s_xor_b64 exec, exec, s[6:7]
	s_cbranch_execnz .LBB1_3652
.LBB1_1602:
	s_or_b64 exec, exec, s[6:7]
	s_and_saveexec_b64 s[6:7], s[4:5]
	s_cbranch_execz .LBB1_1604
.LBB1_1603:
	v_and_b32_e32 v10, 7, v16
	v_ffbh_u32_e32 v14, v10
	v_min_u32_e32 v14, 32, v14
	v_lshrrev_b16_e32 v11, 3, v16
	v_subrev_u32_e32 v15, 28, v14
	v_and_b32_e32 v11, 15, v11
	v_lshlrev_b32_e32 v15, v15, v16
	v_sub_u32_e32 v14, 29, v14
	v_and_b32_e32 v15, 7, v15
	v_cmp_eq_u16_e32 vcc, 0, v11
	v_cndmask_b32_e32 v10, v10, v15, vcc
	v_cndmask_b32_e32 v11, v11, v14, vcc
	v_lshlrev_b32_e32 v14, 24, v16
	v_mov_b32_e32 v15, 0x3b800000
	v_lshlrev_b32_e32 v10, 20, v10
	v_and_b32_e32 v14, 0x80000000, v14
	v_lshl_add_u32 v11, v11, 23, v15
	v_or3_b32 v10, v14, v11, v10
.LBB1_1604:
	s_or_b64 exec, exec, s[6:7]
	s_movk_i32 s4, 0x7f
	v_cmp_gt_i16_sdwa s[6:7], v12, s4 src0_sel:BYTE_0 src1_sel:DWORD
	s_mov_b64 s[4:5], 0
                                        ; implicit-def: $sgpr10
	s_and_saveexec_b64 s[8:9], s[6:7]
	s_xor_b64 s[6:7], exec, s[8:9]
	s_cbranch_execnz .LBB1_3653
; %bb.1605:
	s_or_saveexec_b64 s[6:7], s[6:7]
	v_mov_b32_e32 v11, s10
	s_xor_b64 exec, exec, s[6:7]
	s_cbranch_execnz .LBB1_3656
.LBB1_1606:
	s_or_b64 exec, exec, s[6:7]
	s_and_saveexec_b64 s[6:7], s[4:5]
	s_cbranch_execz .LBB1_1608
.LBB1_1607:
	v_and_b32_e32 v11, 7, v12
	v_ffbh_u32_e32 v15, v11
	v_min_u32_e32 v15, 32, v15
	v_lshrrev_b16_e32 v14, 3, v12
	v_subrev_u32_e32 v20, 28, v15
	v_and_b32_e32 v14, 15, v14
	v_lshlrev_b32_e32 v20, v20, v12
	v_sub_u32_e32 v15, 29, v15
	v_and_b32_e32 v20, 7, v20
	v_cmp_eq_u16_e32 vcc, 0, v14
	v_cndmask_b32_e32 v11, v11, v20, vcc
	v_cndmask_b32_e32 v14, v14, v15, vcc
	v_lshlrev_b32_e32 v15, 24, v12
	v_mov_b32_e32 v20, 0x3b800000
	v_lshlrev_b32_e32 v11, 20, v11
	v_and_b32_e32 v15, 0x80000000, v15
	v_lshl_add_u32 v14, v14, 23, v20
	v_or3_b32 v11, v15, v14, v11
.LBB1_1608:
	s_or_b64 exec, exec, s[6:7]
	s_nop 0
	v_mfma_f32_16x16x4f32 a[0:3], v10, v11, a[0:3]
	v_lshrrev_b32_e32 v11, 8, v16
	s_movk_i32 s4, 0x7f
	v_cmp_gt_i16_sdwa s[6:7], v11, s4 src0_sel:BYTE_0 src1_sel:DWORD
	s_mov_b64 s[4:5], 0
                                        ; implicit-def: $sgpr10
	s_and_saveexec_b64 s[8:9], s[6:7]
	s_xor_b64 s[6:7], exec, s[8:9]
	s_cbranch_execnz .LBB1_3657
; %bb.1609:
	s_or_saveexec_b64 s[6:7], s[6:7]
	v_mov_b32_e32 v10, s10
	s_xor_b64 exec, exec, s[6:7]
	s_cbranch_execnz .LBB1_3660
.LBB1_1610:
	s_or_b64 exec, exec, s[6:7]
	s_and_saveexec_b64 s[6:7], s[4:5]
	s_cbranch_execz .LBB1_1612
.LBB1_1611:
	v_bfe_u32 v10, v16, 8, 3
	v_ffbh_u32_e32 v15, v10
	v_min_u32_e32 v15, 32, v15
	v_lshrrev_b16_e32 v14, 3, v11
	v_subrev_u32_e32 v20, 28, v15
	v_and_b32_e32 v14, 15, v14
	v_lshlrev_b32_e32 v11, v20, v11
	v_sub_u32_e32 v15, 29, v15
	v_and_b32_e32 v11, 7, v11
	v_cmp_eq_u16_e32 vcc, 0, v14
	v_cndmask_b32_e32 v10, v10, v11, vcc
	v_cndmask_b32_e32 v11, v14, v15, vcc
	v_lshlrev_b32_e32 v14, 16, v16
	v_mov_b32_e32 v15, 0x3b800000
	v_lshlrev_b32_e32 v10, 20, v10
	v_and_b32_e32 v14, 0x80000000, v14
	v_lshl_add_u32 v11, v11, 23, v15
	v_or3_b32 v10, v14, v11, v10
.LBB1_1612:
	s_or_b64 exec, exec, s[6:7]
	v_lshrrev_b32_e32 v11, 8, v12
	s_movk_i32 s4, 0x7f
	v_cmp_gt_i16_sdwa s[6:7], v11, s4 src0_sel:BYTE_0 src1_sel:DWORD
	s_mov_b64 s[4:5], 0
                                        ; implicit-def: $sgpr10
	s_and_saveexec_b64 s[8:9], s[6:7]
	s_xor_b64 s[6:7], exec, s[8:9]
	s_cbranch_execnz .LBB1_3661
; %bb.1613:
	s_or_saveexec_b64 s[6:7], s[6:7]
	v_mov_b32_e32 v14, s10
	s_xor_b64 exec, exec, s[6:7]
	s_cbranch_execnz .LBB1_3664
.LBB1_1614:
	s_or_b64 exec, exec, s[6:7]
	s_and_saveexec_b64 s[6:7], s[4:5]
	s_cbranch_execz .LBB1_1616
.LBB1_1615:
	v_bfe_u32 v14, v12, 8, 3
	v_ffbh_u32_e32 v20, v14
	v_min_u32_e32 v20, 32, v20
	v_lshrrev_b16_e32 v15, 3, v11
	v_subrev_u32_e32 v21, 28, v20
	v_and_b32_e32 v15, 15, v15
	v_lshlrev_b32_e32 v11, v21, v11
	v_sub_u32_e32 v20, 29, v20
	v_and_b32_e32 v11, 7, v11
	v_cmp_eq_u16_e32 vcc, 0, v15
	v_cndmask_b32_e32 v11, v14, v11, vcc
	v_cndmask_b32_e32 v14, v15, v20, vcc
	v_lshlrev_b32_e32 v15, 16, v12
	v_mov_b32_e32 v20, 0x3b800000
	v_lshlrev_b32_e32 v11, 20, v11
	v_and_b32_e32 v15, 0x80000000, v15
	v_lshl_add_u32 v14, v14, 23, v20
	v_or3_b32 v14, v15, v14, v11
.LBB1_1616:
	s_or_b64 exec, exec, s[6:7]
	s_nop 0
	v_mfma_f32_16x16x4f32 a[0:3], v10, v14, a[0:3]
	s_movk_i32 s4, 0xff
	v_and_b32_sdwa v11, v16, s4 dst_sel:DWORD dst_unused:UNUSED_PAD src0_sel:WORD_1 src1_sel:DWORD
	s_movk_i32 s4, 0x7f
	v_cmp_lt_i16_e32 vcc, s4, v11
	s_mov_b64 s[4:5], 0
                                        ; implicit-def: $sgpr10
	s_and_saveexec_b64 s[6:7], vcc
	s_xor_b64 s[6:7], exec, s[6:7]
	s_cbranch_execnz .LBB1_3665
; %bb.1617:
	s_or_saveexec_b64 s[6:7], s[6:7]
	v_mov_b32_e32 v10, s10
	s_xor_b64 exec, exec, s[6:7]
	s_cbranch_execnz .LBB1_3668
.LBB1_1618:
	s_or_b64 exec, exec, s[6:7]
	s_and_saveexec_b64 s[6:7], s[4:5]
	s_cbranch_execz .LBB1_1620
.LBB1_1619:
	v_bfe_u32 v10, v16, 16, 3
	v_ffbh_u32_e32 v15, v10
	v_min_u32_e32 v15, 32, v15
	v_lshrrev_b32_e32 v11, 19, v16
	v_subrev_u32_e32 v20, 28, v15
	v_and_b32_e32 v11, 15, v11
	v_lshlrev_b32_sdwa v20, v20, v16 dst_sel:DWORD dst_unused:UNUSED_PAD src0_sel:DWORD src1_sel:WORD_1
	v_bfe_u32 v14, v16, 19, 4
	v_sub_u32_e32 v15, 29, v15
	v_and_b32_e32 v20, 7, v20
	v_cmp_eq_u16_e32 vcc, 0, v11
	v_cndmask_b32_e32 v10, v10, v20, vcc
	v_cndmask_b32_e32 v11, v14, v15, vcc
	v_lshlrev_b32_e32 v14, 8, v16
	v_mov_b32_e32 v15, 0x3b800000
	v_lshlrev_b32_e32 v10, 20, v10
	v_and_b32_e32 v14, 0x80000000, v14
	v_lshl_add_u32 v11, v11, 23, v15
	v_or3_b32 v10, v14, v11, v10
.LBB1_1620:
	s_or_b64 exec, exec, s[6:7]
	s_movk_i32 s4, 0xff
	v_and_b32_sdwa v11, v12, s4 dst_sel:DWORD dst_unused:UNUSED_PAD src0_sel:WORD_1 src1_sel:DWORD
	s_movk_i32 s4, 0x7f
	v_cmp_lt_i16_e32 vcc, s4, v11
	s_mov_b64 s[4:5], 0
                                        ; implicit-def: $sgpr10
	s_and_saveexec_b64 s[6:7], vcc
	s_xor_b64 s[6:7], exec, s[6:7]
	s_cbranch_execnz .LBB1_3669
; %bb.1621:
	s_or_saveexec_b64 s[6:7], s[6:7]
	v_mov_b32_e32 v14, s10
	s_xor_b64 exec, exec, s[6:7]
	s_cbranch_execnz .LBB1_3672
.LBB1_1622:
	s_or_b64 exec, exec, s[6:7]
	s_and_saveexec_b64 s[6:7], s[4:5]
	s_cbranch_execz .LBB1_1624
.LBB1_1623:
	v_bfe_u32 v11, v12, 16, 3
	v_ffbh_u32_e32 v20, v11
	v_min_u32_e32 v20, 32, v20
	v_lshrrev_b32_e32 v14, 19, v12
	v_subrev_u32_e32 v21, 28, v20
	v_and_b32_e32 v14, 15, v14
	v_lshlrev_b32_sdwa v21, v21, v12 dst_sel:DWORD dst_unused:UNUSED_PAD src0_sel:DWORD src1_sel:WORD_1
	v_bfe_u32 v15, v12, 19, 4
	v_sub_u32_e32 v20, 29, v20
	v_and_b32_e32 v21, 7, v21
	v_cmp_eq_u16_e32 vcc, 0, v14
	v_cndmask_b32_e32 v11, v11, v21, vcc
	v_cndmask_b32_e32 v14, v15, v20, vcc
	v_lshlrev_b32_e32 v15, 8, v12
	v_mov_b32_e32 v20, 0x3b800000
	v_lshlrev_b32_e32 v11, 20, v11
	v_and_b32_e32 v15, 0x80000000, v15
	v_lshl_add_u32 v14, v14, 23, v20
	v_or3_b32 v14, v15, v14, v11
.LBB1_1624:
	s_or_b64 exec, exec, s[6:7]
	s_nop 0
	v_mfma_f32_16x16x4f32 a[0:3], v10, v14, a[0:3]
	s_movk_i32 s4, 0x7f
	v_cmp_gt_i16_sdwa s[6:7], v16, s4 src0_sel:BYTE_3 src1_sel:DWORD
	s_mov_b64 s[4:5], 0
                                        ; implicit-def: $sgpr10
	s_and_saveexec_b64 s[8:9], s[6:7]
	s_xor_b64 s[6:7], exec, s[8:9]
	s_cbranch_execnz .LBB1_3673
; %bb.1625:
	s_or_saveexec_b64 s[6:7], s[6:7]
	v_mov_b32_e32 v10, s10
	s_xor_b64 exec, exec, s[6:7]
	s_cbranch_execnz .LBB1_3676
.LBB1_1626:
	s_or_b64 exec, exec, s[6:7]
	s_and_saveexec_b64 s[6:7], s[4:5]
	s_cbranch_execz .LBB1_1628
.LBB1_1627:
	v_bfe_u32 v10, v16, 24, 3
	v_ffbh_u32_e32 v20, v10
	v_min_u32_e32 v20, 32, v20
	v_lshrrev_b32_e32 v14, 27, v16
	v_subrev_u32_e32 v21, 28, v20
	v_and_b32_e32 v11, 0x80000000, v16
	v_and_b32_e32 v14, 15, v14
	v_bfe_u32 v15, v16, 27, 4
	v_lshlrev_b32_sdwa v16, v21, v16 dst_sel:DWORD dst_unused:UNUSED_PAD src0_sel:DWORD src1_sel:BYTE_3
	v_sub_u32_e32 v20, 29, v20
	v_and_b32_e32 v16, 7, v16
	v_cmp_eq_u16_e32 vcc, 0, v14
	v_cndmask_b32_e32 v10, v10, v16, vcc
	v_cndmask_b32_e32 v14, v15, v20, vcc
	v_mov_b32_e32 v15, 0x3b800000
	v_lshlrev_b32_e32 v10, 20, v10
	v_lshl_add_u32 v14, v14, 23, v15
	v_or3_b32 v10, v11, v14, v10
.LBB1_1628:
	s_or_b64 exec, exec, s[6:7]
	s_movk_i32 s4, 0x7f
	v_cmp_gt_i16_sdwa s[6:7], v12, s4 src0_sel:BYTE_3 src1_sel:DWORD
	s_mov_b64 s[4:5], 0
                                        ; implicit-def: $sgpr10
	s_and_saveexec_b64 s[8:9], s[6:7]
	s_xor_b64 s[6:7], exec, s[8:9]
	s_cbranch_execnz .LBB1_3677
; %bb.1629:
	s_or_saveexec_b64 s[6:7], s[6:7]
	v_mov_b32_e32 v11, s10
	s_xor_b64 exec, exec, s[6:7]
	s_cbranch_execnz .LBB1_3680
.LBB1_1630:
	s_or_b64 exec, exec, s[6:7]
	s_and_saveexec_b64 s[6:7], s[4:5]
	s_cbranch_execz .LBB1_1632
.LBB1_1631:
	v_bfe_u32 v11, v12, 24, 3
	v_ffbh_u32_e32 v20, v11
	v_min_u32_e32 v20, 32, v20
	v_lshrrev_b32_e32 v15, 27, v12
	v_subrev_u32_e32 v21, 28, v20
	v_and_b32_e32 v14, 0x80000000, v12
	v_and_b32_e32 v15, 15, v15
	v_bfe_u32 v16, v12, 27, 4
	v_lshlrev_b32_sdwa v12, v21, v12 dst_sel:DWORD dst_unused:UNUSED_PAD src0_sel:DWORD src1_sel:BYTE_3
	v_sub_u32_e32 v20, 29, v20
	v_and_b32_e32 v12, 7, v12
	v_cmp_eq_u16_e32 vcc, 0, v15
	v_cndmask_b32_e32 v11, v11, v12, vcc
	v_cndmask_b32_e32 v12, v16, v20, vcc
	v_mov_b32_e32 v15, 0x3b800000
	v_lshlrev_b32_e32 v11, 20, v11
	v_lshl_add_u32 v12, v12, 23, v15
	v_or3_b32 v11, v14, v12, v11
.LBB1_1632:
	s_or_b64 exec, exec, s[6:7]
	s_nop 0
	v_mfma_f32_16x16x4f32 a[0:3], v10, v11, a[0:3]
	s_movk_i32 s4, 0x7f
	v_cmp_gt_i16_sdwa s[6:7], v17, s4 src0_sel:BYTE_0 src1_sel:DWORD
	s_mov_b64 s[4:5], 0
                                        ; implicit-def: $sgpr10
	s_and_saveexec_b64 s[8:9], s[6:7]
	s_xor_b64 s[6:7], exec, s[8:9]
	s_cbranch_execnz .LBB1_3681
; %bb.1633:
	s_or_saveexec_b64 s[6:7], s[6:7]
	v_mov_b32_e32 v10, s10
	s_xor_b64 exec, exec, s[6:7]
	s_cbranch_execnz .LBB1_3684
.LBB1_1634:
	s_or_b64 exec, exec, s[6:7]
	s_and_saveexec_b64 s[6:7], s[4:5]
	s_cbranch_execz .LBB1_1636
.LBB1_1635:
	v_and_b32_e32 v10, 7, v17
	v_ffbh_u32_e32 v12, v10
	v_min_u32_e32 v12, 32, v12
	v_lshrrev_b16_e32 v11, 3, v17
	v_subrev_u32_e32 v14, 28, v12
	v_and_b32_e32 v11, 15, v11
	v_lshlrev_b32_e32 v14, v14, v17
	v_sub_u32_e32 v12, 29, v12
	v_and_b32_e32 v14, 7, v14
	v_cmp_eq_u16_e32 vcc, 0, v11
	v_cndmask_b32_e32 v10, v10, v14, vcc
	v_cndmask_b32_e32 v11, v11, v12, vcc
	v_lshlrev_b32_e32 v12, 24, v17
	v_mov_b32_e32 v14, 0x3b800000
	v_lshlrev_b32_e32 v10, 20, v10
	v_and_b32_e32 v12, 0x80000000, v12
	v_lshl_add_u32 v11, v11, 23, v14
	v_or3_b32 v10, v12, v11, v10
.LBB1_1636:
	s_or_b64 exec, exec, s[6:7]
	s_movk_i32 s4, 0x7f
	v_cmp_gt_i16_sdwa s[6:7], v13, s4 src0_sel:BYTE_0 src1_sel:DWORD
	s_mov_b64 s[4:5], 0
                                        ; implicit-def: $sgpr10
	s_and_saveexec_b64 s[8:9], s[6:7]
	s_xor_b64 s[6:7], exec, s[8:9]
	s_cbranch_execnz .LBB1_3685
; %bb.1637:
	s_or_saveexec_b64 s[6:7], s[6:7]
	v_mov_b32_e32 v11, s10
	s_xor_b64 exec, exec, s[6:7]
	s_cbranch_execnz .LBB1_3688
.LBB1_1638:
	s_or_b64 exec, exec, s[6:7]
	s_and_saveexec_b64 s[6:7], s[4:5]
	s_cbranch_execz .LBB1_1640
.LBB1_1639:
	v_and_b32_e32 v11, 7, v13
	v_ffbh_u32_e32 v14, v11
	v_min_u32_e32 v14, 32, v14
	v_lshrrev_b16_e32 v12, 3, v13
	v_subrev_u32_e32 v15, 28, v14
	v_and_b32_e32 v12, 15, v12
	v_lshlrev_b32_e32 v15, v15, v13
	v_sub_u32_e32 v14, 29, v14
	v_and_b32_e32 v15, 7, v15
	v_cmp_eq_u16_e32 vcc, 0, v12
	v_cndmask_b32_e32 v11, v11, v15, vcc
	v_cndmask_b32_e32 v12, v12, v14, vcc
	v_lshlrev_b32_e32 v14, 24, v13
	v_mov_b32_e32 v15, 0x3b800000
	v_lshlrev_b32_e32 v11, 20, v11
	v_and_b32_e32 v14, 0x80000000, v14
	v_lshl_add_u32 v12, v12, 23, v15
	v_or3_b32 v11, v14, v12, v11
.LBB1_1640:
	s_or_b64 exec, exec, s[6:7]
	s_nop 0
	v_mfma_f32_16x16x4f32 a[0:3], v10, v11, a[0:3]
	v_lshrrev_b32_e32 v11, 8, v17
	s_movk_i32 s4, 0x7f
	v_cmp_gt_i16_sdwa s[6:7], v11, s4 src0_sel:BYTE_0 src1_sel:DWORD
	s_mov_b64 s[4:5], 0
                                        ; implicit-def: $sgpr10
	s_and_saveexec_b64 s[8:9], s[6:7]
	s_xor_b64 s[6:7], exec, s[8:9]
	s_cbranch_execnz .LBB1_3689
; %bb.1641:
	s_or_saveexec_b64 s[6:7], s[6:7]
	v_mov_b32_e32 v10, s10
	s_xor_b64 exec, exec, s[6:7]
	s_cbranch_execnz .LBB1_3692
.LBB1_1642:
	s_or_b64 exec, exec, s[6:7]
	s_and_saveexec_b64 s[6:7], s[4:5]
	s_cbranch_execz .LBB1_1644
.LBB1_1643:
	v_bfe_u32 v10, v17, 8, 3
	v_ffbh_u32_e32 v14, v10
	v_min_u32_e32 v14, 32, v14
	v_lshrrev_b16_e32 v12, 3, v11
	v_subrev_u32_e32 v15, 28, v14
	v_and_b32_e32 v12, 15, v12
	v_lshlrev_b32_e32 v11, v15, v11
	v_sub_u32_e32 v14, 29, v14
	v_and_b32_e32 v11, 7, v11
	v_cmp_eq_u16_e32 vcc, 0, v12
	v_cndmask_b32_e32 v10, v10, v11, vcc
	v_cndmask_b32_e32 v11, v12, v14, vcc
	v_lshlrev_b32_e32 v12, 16, v17
	v_mov_b32_e32 v14, 0x3b800000
	v_lshlrev_b32_e32 v10, 20, v10
	v_and_b32_e32 v12, 0x80000000, v12
	v_lshl_add_u32 v11, v11, 23, v14
	v_or3_b32 v10, v12, v11, v10
.LBB1_1644:
	s_or_b64 exec, exec, s[6:7]
	v_lshrrev_b32_e32 v11, 8, v13
	s_movk_i32 s4, 0x7f
	v_cmp_gt_i16_sdwa s[6:7], v11, s4 src0_sel:BYTE_0 src1_sel:DWORD
	s_mov_b64 s[4:5], 0
                                        ; implicit-def: $sgpr10
	s_and_saveexec_b64 s[8:9], s[6:7]
	s_xor_b64 s[6:7], exec, s[8:9]
	s_cbranch_execnz .LBB1_3693
; %bb.1645:
	s_or_saveexec_b64 s[6:7], s[6:7]
	v_mov_b32_e32 v12, s10
	s_xor_b64 exec, exec, s[6:7]
	s_cbranch_execnz .LBB1_3696
.LBB1_1646:
	s_or_b64 exec, exec, s[6:7]
	s_and_saveexec_b64 s[6:7], s[4:5]
	s_cbranch_execz .LBB1_1648
.LBB1_1647:
	v_bfe_u32 v12, v13, 8, 3
	v_ffbh_u32_e32 v15, v12
	v_min_u32_e32 v15, 32, v15
	v_lshrrev_b16_e32 v14, 3, v11
	v_subrev_u32_e32 v16, 28, v15
	v_and_b32_e32 v14, 15, v14
	v_lshlrev_b32_e32 v11, v16, v11
	v_sub_u32_e32 v15, 29, v15
	v_and_b32_e32 v11, 7, v11
	v_cmp_eq_u16_e32 vcc, 0, v14
	v_cndmask_b32_e32 v11, v12, v11, vcc
	v_cndmask_b32_e32 v12, v14, v15, vcc
	v_lshlrev_b32_e32 v14, 16, v13
	v_mov_b32_e32 v15, 0x3b800000
	v_lshlrev_b32_e32 v11, 20, v11
	v_and_b32_e32 v14, 0x80000000, v14
	v_lshl_add_u32 v12, v12, 23, v15
	v_or3_b32 v12, v14, v12, v11
.LBB1_1648:
	s_or_b64 exec, exec, s[6:7]
	s_nop 0
	v_mfma_f32_16x16x4f32 a[0:3], v10, v12, a[0:3]
	s_movk_i32 s4, 0xff
	v_and_b32_sdwa v11, v17, s4 dst_sel:DWORD dst_unused:UNUSED_PAD src0_sel:WORD_1 src1_sel:DWORD
	s_movk_i32 s4, 0x7f
	v_cmp_lt_i16_e32 vcc, s4, v11
	s_mov_b64 s[4:5], 0
                                        ; implicit-def: $sgpr10
	s_and_saveexec_b64 s[6:7], vcc
	s_xor_b64 s[6:7], exec, s[6:7]
	s_cbranch_execnz .LBB1_3697
; %bb.1649:
	s_or_saveexec_b64 s[6:7], s[6:7]
	v_mov_b32_e32 v10, s10
	s_xor_b64 exec, exec, s[6:7]
	s_cbranch_execnz .LBB1_3700
.LBB1_1650:
	s_or_b64 exec, exec, s[6:7]
	s_and_saveexec_b64 s[6:7], s[4:5]
	s_cbranch_execz .LBB1_1652
.LBB1_1651:
	v_bfe_u32 v10, v17, 16, 3
	v_ffbh_u32_e32 v14, v10
	v_min_u32_e32 v14, 32, v14
	v_lshrrev_b32_e32 v11, 19, v17
	v_subrev_u32_e32 v15, 28, v14
	v_and_b32_e32 v11, 15, v11
	v_lshlrev_b32_sdwa v15, v15, v17 dst_sel:DWORD dst_unused:UNUSED_PAD src0_sel:DWORD src1_sel:WORD_1
	v_bfe_u32 v12, v17, 19, 4
	v_sub_u32_e32 v14, 29, v14
	v_and_b32_e32 v15, 7, v15
	v_cmp_eq_u16_e32 vcc, 0, v11
	v_cndmask_b32_e32 v10, v10, v15, vcc
	v_cndmask_b32_e32 v11, v12, v14, vcc
	v_lshlrev_b32_e32 v12, 8, v17
	v_mov_b32_e32 v14, 0x3b800000
	v_lshlrev_b32_e32 v10, 20, v10
	v_and_b32_e32 v12, 0x80000000, v12
	v_lshl_add_u32 v11, v11, 23, v14
	v_or3_b32 v10, v12, v11, v10
.LBB1_1652:
	s_or_b64 exec, exec, s[6:7]
	s_movk_i32 s4, 0xff
	v_and_b32_sdwa v11, v13, s4 dst_sel:DWORD dst_unused:UNUSED_PAD src0_sel:WORD_1 src1_sel:DWORD
	s_movk_i32 s4, 0x7f
	v_cmp_lt_i16_e32 vcc, s4, v11
	s_mov_b64 s[4:5], 0
                                        ; implicit-def: $sgpr10
	s_and_saveexec_b64 s[6:7], vcc
	s_xor_b64 s[6:7], exec, s[6:7]
	s_cbranch_execnz .LBB1_3701
; %bb.1653:
	s_or_saveexec_b64 s[6:7], s[6:7]
	v_mov_b32_e32 v12, s10
	s_xor_b64 exec, exec, s[6:7]
	s_cbranch_execnz .LBB1_3704
.LBB1_1654:
	s_or_b64 exec, exec, s[6:7]
	s_and_saveexec_b64 s[6:7], s[4:5]
	s_cbranch_execz .LBB1_1656
.LBB1_1655:
	v_bfe_u32 v11, v13, 16, 3
	v_ffbh_u32_e32 v15, v11
	v_min_u32_e32 v15, 32, v15
	v_lshrrev_b32_e32 v12, 19, v13
	v_subrev_u32_e32 v16, 28, v15
	v_and_b32_e32 v12, 15, v12
	v_lshlrev_b32_sdwa v16, v16, v13 dst_sel:DWORD dst_unused:UNUSED_PAD src0_sel:DWORD src1_sel:WORD_1
	v_bfe_u32 v14, v13, 19, 4
	v_sub_u32_e32 v15, 29, v15
	v_and_b32_e32 v16, 7, v16
	v_cmp_eq_u16_e32 vcc, 0, v12
	v_cndmask_b32_e32 v11, v11, v16, vcc
	v_cndmask_b32_e32 v12, v14, v15, vcc
	v_lshlrev_b32_e32 v14, 8, v13
	v_mov_b32_e32 v15, 0x3b800000
	v_lshlrev_b32_e32 v11, 20, v11
	v_and_b32_e32 v14, 0x80000000, v14
	v_lshl_add_u32 v12, v12, 23, v15
	v_or3_b32 v12, v14, v12, v11
.LBB1_1656:
	s_or_b64 exec, exec, s[6:7]
	s_nop 0
	v_mfma_f32_16x16x4f32 a[0:3], v10, v12, a[0:3]
	s_movk_i32 s4, 0x7f
	v_cmp_gt_i16_sdwa s[6:7], v17, s4 src0_sel:BYTE_3 src1_sel:DWORD
	s_mov_b64 s[4:5], 0
                                        ; implicit-def: $sgpr10
	s_and_saveexec_b64 s[8:9], s[6:7]
	s_xor_b64 s[6:7], exec, s[8:9]
	s_cbranch_execnz .LBB1_3705
; %bb.1657:
	s_or_saveexec_b64 s[6:7], s[6:7]
	v_mov_b32_e32 v10, s10
	s_xor_b64 exec, exec, s[6:7]
	s_cbranch_execnz .LBB1_3708
.LBB1_1658:
	s_or_b64 exec, exec, s[6:7]
	s_and_saveexec_b64 s[6:7], s[4:5]
	s_cbranch_execz .LBB1_1660
.LBB1_1659:
	v_bfe_u32 v10, v17, 24, 3
	v_ffbh_u32_e32 v15, v10
	v_min_u32_e32 v15, 32, v15
	v_lshrrev_b32_e32 v12, 27, v17
	v_subrev_u32_e32 v16, 28, v15
	v_and_b32_e32 v12, 15, v12
	v_lshlrev_b32_sdwa v16, v16, v17 dst_sel:DWORD dst_unused:UNUSED_PAD src0_sel:DWORD src1_sel:BYTE_3
	v_bfe_u32 v14, v17, 27, 4
	v_sub_u32_e32 v15, 29, v15
	v_and_b32_e32 v16, 7, v16
	v_cmp_eq_u16_e32 vcc, 0, v12
	v_cndmask_b32_e32 v10, v10, v16, vcc
	v_cndmask_b32_e32 v12, v14, v15, vcc
	v_mov_b32_e32 v14, 0x3b800000
	v_and_b32_e32 v11, 0x80000000, v17
	v_lshlrev_b32_e32 v10, 20, v10
	v_lshl_add_u32 v12, v12, 23, v14
	v_or3_b32 v10, v11, v12, v10
.LBB1_1660:
	s_or_b64 exec, exec, s[6:7]
	s_movk_i32 s4, 0x7f
	v_cmp_gt_i16_sdwa s[6:7], v13, s4 src0_sel:BYTE_3 src1_sel:DWORD
	s_mov_b64 s[4:5], 0
                                        ; implicit-def: $sgpr10
	s_and_saveexec_b64 s[8:9], s[6:7]
	s_xor_b64 s[6:7], exec, s[8:9]
	s_cbranch_execnz .LBB1_3709
; %bb.1661:
	s_or_saveexec_b64 s[6:7], s[6:7]
	v_mov_b32_e32 v11, s10
	s_xor_b64 exec, exec, s[6:7]
	s_cbranch_execnz .LBB1_3712
.LBB1_1662:
	s_or_b64 exec, exec, s[6:7]
	s_and_saveexec_b64 s[6:7], s[4:5]
	s_cbranch_execz .LBB1_1664
.LBB1_1663:
	v_bfe_u32 v11, v13, 24, 3
	v_ffbh_u32_e32 v16, v11
	v_min_u32_e32 v16, 32, v16
	v_lshrrev_b32_e32 v14, 27, v13
	v_subrev_u32_e32 v17, 28, v16
	v_and_b32_e32 v12, 0x80000000, v13
	v_and_b32_e32 v14, 15, v14
	v_bfe_u32 v15, v13, 27, 4
	v_lshlrev_b32_sdwa v13, v17, v13 dst_sel:DWORD dst_unused:UNUSED_PAD src0_sel:DWORD src1_sel:BYTE_3
	v_sub_u32_e32 v16, 29, v16
	v_and_b32_e32 v13, 7, v13
	v_cmp_eq_u16_e32 vcc, 0, v14
	v_cndmask_b32_e32 v11, v11, v13, vcc
	v_cndmask_b32_e32 v13, v15, v16, vcc
	v_mov_b32_e32 v14, 0x3b800000
	v_lshlrev_b32_e32 v11, 20, v11
	v_lshl_add_u32 v13, v13, 23, v14
	v_or3_b32 v11, v12, v13, v11
.LBB1_1664:
	s_or_b64 exec, exec, s[6:7]
	s_nop 0
	v_mfma_f32_16x16x4f32 a[0:3], v10, v11, a[0:3]
	s_movk_i32 s4, 0x7f
	v_cmp_gt_i16_sdwa s[6:7], v6, s4 src0_sel:BYTE_0 src1_sel:DWORD
	s_mov_b64 s[4:5], 0
                                        ; implicit-def: $sgpr10
	s_and_saveexec_b64 s[8:9], s[6:7]
	s_xor_b64 s[6:7], exec, s[8:9]
	s_cbranch_execnz .LBB1_3713
; %bb.1665:
	s_or_saveexec_b64 s[6:7], s[6:7]
	v_mov_b32_e32 v10, s10
	s_xor_b64 exec, exec, s[6:7]
	s_cbranch_execnz .LBB1_3716
.LBB1_1666:
	s_or_b64 exec, exec, s[6:7]
	s_and_saveexec_b64 s[6:7], s[4:5]
	s_cbranch_execz .LBB1_1668
.LBB1_1667:
	v_and_b32_e32 v10, 7, v6
	v_ffbh_u32_e32 v12, v10
	v_min_u32_e32 v12, 32, v12
	v_lshrrev_b16_e32 v11, 3, v6
	v_subrev_u32_e32 v13, 28, v12
	v_and_b32_e32 v11, 15, v11
	v_lshlrev_b32_e32 v13, v13, v6
	v_sub_u32_e32 v12, 29, v12
	v_and_b32_e32 v13, 7, v13
	v_cmp_eq_u16_e32 vcc, 0, v11
	v_cndmask_b32_e32 v10, v10, v13, vcc
	v_cndmask_b32_e32 v11, v11, v12, vcc
	v_lshlrev_b32_e32 v12, 24, v6
	v_mov_b32_e32 v13, 0x3b800000
	v_lshlrev_b32_e32 v10, 20, v10
	v_and_b32_e32 v12, 0x80000000, v12
	v_lshl_add_u32 v11, v11, 23, v13
	v_or3_b32 v10, v12, v11, v10
.LBB1_1668:
	s_or_b64 exec, exec, s[6:7]
	s_movk_i32 s4, 0x7f
	v_cmp_gt_i16_sdwa s[6:7], v2, s4 src0_sel:BYTE_0 src1_sel:DWORD
	s_mov_b64 s[4:5], 0
                                        ; implicit-def: $sgpr10
	s_and_saveexec_b64 s[8:9], s[6:7]
	s_xor_b64 s[6:7], exec, s[8:9]
	s_cbranch_execnz .LBB1_3717
; %bb.1669:
	s_or_saveexec_b64 s[6:7], s[6:7]
	v_mov_b32_e32 v11, s10
	s_xor_b64 exec, exec, s[6:7]
	s_cbranch_execnz .LBB1_3720
.LBB1_1670:
	s_or_b64 exec, exec, s[6:7]
	s_and_saveexec_b64 s[6:7], s[4:5]
	s_cbranch_execz .LBB1_1672
.LBB1_1671:
	v_and_b32_e32 v11, 7, v2
	v_ffbh_u32_e32 v13, v11
	v_min_u32_e32 v13, 32, v13
	v_lshrrev_b16_e32 v12, 3, v2
	v_subrev_u32_e32 v14, 28, v13
	v_and_b32_e32 v12, 15, v12
	v_lshlrev_b32_e32 v14, v14, v2
	v_sub_u32_e32 v13, 29, v13
	v_and_b32_e32 v14, 7, v14
	v_cmp_eq_u16_e32 vcc, 0, v12
	v_cndmask_b32_e32 v11, v11, v14, vcc
	v_cndmask_b32_e32 v12, v12, v13, vcc
	v_lshlrev_b32_e32 v13, 24, v2
	v_mov_b32_e32 v14, 0x3b800000
	v_lshlrev_b32_e32 v11, 20, v11
	v_and_b32_e32 v13, 0x80000000, v13
	v_lshl_add_u32 v12, v12, 23, v14
	v_or3_b32 v11, v13, v12, v11
.LBB1_1672:
	s_or_b64 exec, exec, s[6:7]
	s_nop 0
	v_mfma_f32_16x16x4f32 a[0:3], v10, v11, a[0:3]
	v_lshrrev_b32_e32 v11, 8, v6
	s_movk_i32 s4, 0x7f
	v_cmp_gt_i16_sdwa s[6:7], v11, s4 src0_sel:BYTE_0 src1_sel:DWORD
	s_mov_b64 s[4:5], 0
                                        ; implicit-def: $sgpr10
	s_and_saveexec_b64 s[8:9], s[6:7]
	s_xor_b64 s[6:7], exec, s[8:9]
	s_cbranch_execnz .LBB1_3721
; %bb.1673:
	s_or_saveexec_b64 s[6:7], s[6:7]
	v_mov_b32_e32 v10, s10
	s_xor_b64 exec, exec, s[6:7]
	s_cbranch_execnz .LBB1_3724
.LBB1_1674:
	s_or_b64 exec, exec, s[6:7]
	s_and_saveexec_b64 s[6:7], s[4:5]
	s_cbranch_execz .LBB1_1676
.LBB1_1675:
	v_bfe_u32 v10, v6, 8, 3
	v_ffbh_u32_e32 v13, v10
	v_min_u32_e32 v13, 32, v13
	v_lshrrev_b16_e32 v12, 3, v11
	v_subrev_u32_e32 v14, 28, v13
	v_and_b32_e32 v12, 15, v12
	v_lshlrev_b32_e32 v11, v14, v11
	v_sub_u32_e32 v13, 29, v13
	v_and_b32_e32 v11, 7, v11
	v_cmp_eq_u16_e32 vcc, 0, v12
	v_cndmask_b32_e32 v10, v10, v11, vcc
	v_cndmask_b32_e32 v11, v12, v13, vcc
	v_lshlrev_b32_e32 v12, 16, v6
	v_mov_b32_e32 v13, 0x3b800000
	v_lshlrev_b32_e32 v10, 20, v10
	v_and_b32_e32 v12, 0x80000000, v12
	v_lshl_add_u32 v11, v11, 23, v13
	v_or3_b32 v10, v12, v11, v10
.LBB1_1676:
	s_or_b64 exec, exec, s[6:7]
	v_lshrrev_b32_e32 v11, 8, v2
	s_movk_i32 s4, 0x7f
	v_cmp_gt_i16_sdwa s[6:7], v11, s4 src0_sel:BYTE_0 src1_sel:DWORD
	s_mov_b64 s[4:5], 0
                                        ; implicit-def: $sgpr10
	s_and_saveexec_b64 s[8:9], s[6:7]
	s_xor_b64 s[6:7], exec, s[8:9]
	s_cbranch_execnz .LBB1_3725
; %bb.1677:
	s_or_saveexec_b64 s[6:7], s[6:7]
	v_mov_b32_e32 v12, s10
	s_xor_b64 exec, exec, s[6:7]
	s_cbranch_execnz .LBB1_3728
.LBB1_1678:
	s_or_b64 exec, exec, s[6:7]
	s_and_saveexec_b64 s[6:7], s[4:5]
	s_cbranch_execz .LBB1_1680
.LBB1_1679:
	v_bfe_u32 v12, v2, 8, 3
	v_ffbh_u32_e32 v14, v12
	v_min_u32_e32 v14, 32, v14
	v_lshrrev_b16_e32 v13, 3, v11
	v_subrev_u32_e32 v15, 28, v14
	v_and_b32_e32 v13, 15, v13
	v_lshlrev_b32_e32 v11, v15, v11
	v_sub_u32_e32 v14, 29, v14
	v_and_b32_e32 v11, 7, v11
	v_cmp_eq_u16_e32 vcc, 0, v13
	v_cndmask_b32_e32 v11, v12, v11, vcc
	v_cndmask_b32_e32 v12, v13, v14, vcc
	v_lshlrev_b32_e32 v13, 16, v2
	v_mov_b32_e32 v14, 0x3b800000
	v_lshlrev_b32_e32 v11, 20, v11
	v_and_b32_e32 v13, 0x80000000, v13
	v_lshl_add_u32 v12, v12, 23, v14
	v_or3_b32 v12, v13, v12, v11
.LBB1_1680:
	s_or_b64 exec, exec, s[6:7]
	s_nop 0
	v_mfma_f32_16x16x4f32 a[0:3], v10, v12, a[0:3]
	s_movk_i32 s4, 0xff
	v_and_b32_sdwa v11, v6, s4 dst_sel:DWORD dst_unused:UNUSED_PAD src0_sel:WORD_1 src1_sel:DWORD
	s_movk_i32 s4, 0x7f
	v_cmp_lt_i16_e32 vcc, s4, v11
	s_mov_b64 s[4:5], 0
                                        ; implicit-def: $sgpr10
	s_and_saveexec_b64 s[6:7], vcc
	s_xor_b64 s[6:7], exec, s[6:7]
	s_cbranch_execnz .LBB1_3729
; %bb.1681:
	s_or_saveexec_b64 s[6:7], s[6:7]
	v_mov_b32_e32 v10, s10
	s_xor_b64 exec, exec, s[6:7]
	s_cbranch_execnz .LBB1_3732
.LBB1_1682:
	s_or_b64 exec, exec, s[6:7]
	s_and_saveexec_b64 s[6:7], s[4:5]
	s_cbranch_execz .LBB1_1684
.LBB1_1683:
	v_bfe_u32 v10, v6, 16, 3
	v_ffbh_u32_e32 v13, v10
	v_min_u32_e32 v13, 32, v13
	v_lshrrev_b32_e32 v11, 19, v6
	v_subrev_u32_e32 v14, 28, v13
	v_and_b32_e32 v11, 15, v11
	v_lshlrev_b32_sdwa v14, v14, v6 dst_sel:DWORD dst_unused:UNUSED_PAD src0_sel:DWORD src1_sel:WORD_1
	v_bfe_u32 v12, v6, 19, 4
	v_sub_u32_e32 v13, 29, v13
	v_and_b32_e32 v14, 7, v14
	v_cmp_eq_u16_e32 vcc, 0, v11
	v_cndmask_b32_e32 v10, v10, v14, vcc
	v_cndmask_b32_e32 v11, v12, v13, vcc
	v_lshlrev_b32_e32 v12, 8, v6
	v_mov_b32_e32 v13, 0x3b800000
	v_lshlrev_b32_e32 v10, 20, v10
	v_and_b32_e32 v12, 0x80000000, v12
	v_lshl_add_u32 v11, v11, 23, v13
	v_or3_b32 v10, v12, v11, v10
.LBB1_1684:
	s_or_b64 exec, exec, s[6:7]
	s_movk_i32 s4, 0xff
	v_and_b32_sdwa v11, v2, s4 dst_sel:DWORD dst_unused:UNUSED_PAD src0_sel:WORD_1 src1_sel:DWORD
	s_movk_i32 s4, 0x7f
	v_cmp_lt_i16_e32 vcc, s4, v11
	s_mov_b64 s[4:5], 0
                                        ; implicit-def: $sgpr10
	s_and_saveexec_b64 s[6:7], vcc
	s_xor_b64 s[6:7], exec, s[6:7]
	s_cbranch_execnz .LBB1_3733
; %bb.1685:
	s_or_saveexec_b64 s[6:7], s[6:7]
	v_mov_b32_e32 v12, s10
	s_xor_b64 exec, exec, s[6:7]
	s_cbranch_execnz .LBB1_3736
.LBB1_1686:
	s_or_b64 exec, exec, s[6:7]
	s_and_saveexec_b64 s[6:7], s[4:5]
	s_cbranch_execz .LBB1_1688
.LBB1_1687:
	v_bfe_u32 v11, v2, 16, 3
	v_ffbh_u32_e32 v14, v11
	v_min_u32_e32 v14, 32, v14
	v_lshrrev_b32_e32 v12, 19, v2
	v_subrev_u32_e32 v15, 28, v14
	v_and_b32_e32 v12, 15, v12
	v_lshlrev_b32_sdwa v15, v15, v2 dst_sel:DWORD dst_unused:UNUSED_PAD src0_sel:DWORD src1_sel:WORD_1
	v_bfe_u32 v13, v2, 19, 4
	v_sub_u32_e32 v14, 29, v14
	v_and_b32_e32 v15, 7, v15
	v_cmp_eq_u16_e32 vcc, 0, v12
	v_cndmask_b32_e32 v11, v11, v15, vcc
	v_cndmask_b32_e32 v12, v13, v14, vcc
	v_lshlrev_b32_e32 v13, 8, v2
	v_mov_b32_e32 v14, 0x3b800000
	v_lshlrev_b32_e32 v11, 20, v11
	v_and_b32_e32 v13, 0x80000000, v13
	v_lshl_add_u32 v12, v12, 23, v14
	v_or3_b32 v12, v13, v12, v11
.LBB1_1688:
	s_or_b64 exec, exec, s[6:7]
	s_nop 0
	v_mfma_f32_16x16x4f32 a[0:3], v10, v12, a[0:3]
	s_movk_i32 s4, 0x7f
	v_cmp_gt_i16_sdwa s[6:7], v6, s4 src0_sel:BYTE_3 src1_sel:DWORD
	s_mov_b64 s[4:5], 0
                                        ; implicit-def: $sgpr10
	s_and_saveexec_b64 s[8:9], s[6:7]
	s_xor_b64 s[6:7], exec, s[8:9]
	s_cbranch_execnz .LBB1_3737
; %bb.1689:
	s_or_saveexec_b64 s[6:7], s[6:7]
	v_mov_b32_e32 v10, s10
	s_xor_b64 exec, exec, s[6:7]
	s_cbranch_execnz .LBB1_3740
.LBB1_1690:
	s_or_b64 exec, exec, s[6:7]
	s_and_saveexec_b64 s[6:7], s[4:5]
	s_cbranch_execz .LBB1_1692
.LBB1_1691:
	v_bfe_u32 v10, v6, 24, 3
	v_ffbh_u32_e32 v14, v10
	v_min_u32_e32 v14, 32, v14
	v_lshrrev_b32_e32 v12, 27, v6
	v_subrev_u32_e32 v15, 28, v14
	v_and_b32_e32 v11, 0x80000000, v6
	v_and_b32_e32 v12, 15, v12
	v_bfe_u32 v13, v6, 27, 4
	v_lshlrev_b32_sdwa v6, v15, v6 dst_sel:DWORD dst_unused:UNUSED_PAD src0_sel:DWORD src1_sel:BYTE_3
	v_sub_u32_e32 v14, 29, v14
	v_and_b32_e32 v6, 7, v6
	v_cmp_eq_u16_e32 vcc, 0, v12
	v_cndmask_b32_e32 v6, v10, v6, vcc
	v_cndmask_b32_e32 v10, v13, v14, vcc
	v_mov_b32_e32 v12, 0x3b800000
	v_lshlrev_b32_e32 v6, 20, v6
	v_lshl_add_u32 v10, v10, 23, v12
	v_or3_b32 v10, v11, v10, v6
.LBB1_1692:
	s_or_b64 exec, exec, s[6:7]
	s_movk_i32 s4, 0x7f
	v_cmp_gt_i16_sdwa s[6:7], v2, s4 src0_sel:BYTE_3 src1_sel:DWORD
	s_mov_b64 s[4:5], 0
                                        ; implicit-def: $sgpr10
	s_and_saveexec_b64 s[8:9], s[6:7]
	s_xor_b64 s[6:7], exec, s[8:9]
	s_cbranch_execnz .LBB1_3741
; %bb.1693:
	s_or_saveexec_b64 s[6:7], s[6:7]
	v_mov_b32_e32 v6, s10
	s_xor_b64 exec, exec, s[6:7]
	s_cbranch_execnz .LBB1_3744
.LBB1_1694:
	s_or_b64 exec, exec, s[6:7]
	s_and_saveexec_b64 s[6:7], s[4:5]
	s_cbranch_execz .LBB1_1696
.LBB1_1695:
	v_bfe_u32 v6, v2, 24, 3
	v_ffbh_u32_e32 v14, v6
	v_min_u32_e32 v14, 32, v14
	v_lshrrev_b32_e32 v12, 27, v2
	v_subrev_u32_e32 v15, 28, v14
	v_and_b32_e32 v11, 0x80000000, v2
	v_and_b32_e32 v12, 15, v12
	v_bfe_u32 v13, v2, 27, 4
	v_lshlrev_b32_sdwa v2, v15, v2 dst_sel:DWORD dst_unused:UNUSED_PAD src0_sel:DWORD src1_sel:BYTE_3
	v_sub_u32_e32 v14, 29, v14
	v_and_b32_e32 v2, 7, v2
	v_cmp_eq_u16_e32 vcc, 0, v12
	v_cndmask_b32_e32 v2, v6, v2, vcc
	v_cndmask_b32_e32 v6, v13, v14, vcc
	v_mov_b32_e32 v12, 0x3b800000
	v_lshlrev_b32_e32 v2, 20, v2
	v_lshl_add_u32 v6, v6, 23, v12
	v_or3_b32 v6, v11, v6, v2
.LBB1_1696:
	s_or_b64 exec, exec, s[6:7]
	s_nop 0
	v_mfma_f32_16x16x4f32 a[0:3], v10, v6, a[0:3]
	s_movk_i32 s4, 0x7f
	v_cmp_gt_i16_sdwa s[6:7], v7, s4 src0_sel:BYTE_0 src1_sel:DWORD
	s_mov_b64 s[4:5], 0
                                        ; implicit-def: $sgpr10
	s_and_saveexec_b64 s[8:9], s[6:7]
	s_xor_b64 s[6:7], exec, s[8:9]
	s_cbranch_execnz .LBB1_3745
; %bb.1697:
	s_or_saveexec_b64 s[6:7], s[6:7]
	v_mov_b32_e32 v2, s10
	s_xor_b64 exec, exec, s[6:7]
	s_cbranch_execnz .LBB1_3748
.LBB1_1698:
	s_or_b64 exec, exec, s[6:7]
	s_and_saveexec_b64 s[6:7], s[4:5]
	s_cbranch_execz .LBB1_1700
.LBB1_1699:
	v_and_b32_e32 v2, 7, v7
	v_ffbh_u32_e32 v10, v2
	v_min_u32_e32 v10, 32, v10
	v_lshrrev_b16_e32 v6, 3, v7
	v_subrev_u32_e32 v11, 28, v10
	v_and_b32_e32 v6, 15, v6
	v_lshlrev_b32_e32 v11, v11, v7
	v_sub_u32_e32 v10, 29, v10
	v_and_b32_e32 v11, 7, v11
	v_cmp_eq_u16_e32 vcc, 0, v6
	v_cndmask_b32_e32 v2, v2, v11, vcc
	v_cndmask_b32_e32 v6, v6, v10, vcc
	v_lshlrev_b32_e32 v10, 24, v7
	v_mov_b32_e32 v11, 0x3b800000
	v_lshlrev_b32_e32 v2, 20, v2
	v_and_b32_e32 v10, 0x80000000, v10
	v_lshl_add_u32 v6, v6, 23, v11
	v_or3_b32 v2, v10, v6, v2
.LBB1_1700:
	s_or_b64 exec, exec, s[6:7]
	s_movk_i32 s4, 0x7f
	v_cmp_gt_i16_sdwa s[6:7], v3, s4 src0_sel:BYTE_0 src1_sel:DWORD
	s_mov_b64 s[4:5], 0
                                        ; implicit-def: $sgpr10
	s_and_saveexec_b64 s[8:9], s[6:7]
	s_xor_b64 s[6:7], exec, s[8:9]
	s_cbranch_execnz .LBB1_3749
; %bb.1701:
	s_or_saveexec_b64 s[6:7], s[6:7]
	v_mov_b32_e32 v6, s10
	s_xor_b64 exec, exec, s[6:7]
	s_cbranch_execnz .LBB1_3752
.LBB1_1702:
	s_or_b64 exec, exec, s[6:7]
	s_and_saveexec_b64 s[6:7], s[4:5]
	s_cbranch_execz .LBB1_1704
.LBB1_1703:
	v_and_b32_e32 v6, 7, v3
	v_ffbh_u32_e32 v11, v6
	v_min_u32_e32 v11, 32, v11
	v_lshrrev_b16_e32 v10, 3, v3
	v_subrev_u32_e32 v12, 28, v11
	v_and_b32_e32 v10, 15, v10
	v_lshlrev_b32_e32 v12, v12, v3
	v_sub_u32_e32 v11, 29, v11
	v_and_b32_e32 v12, 7, v12
	v_cmp_eq_u16_e32 vcc, 0, v10
	v_cndmask_b32_e32 v6, v6, v12, vcc
	v_cndmask_b32_e32 v10, v10, v11, vcc
	v_lshlrev_b32_e32 v11, 24, v3
	v_mov_b32_e32 v12, 0x3b800000
	v_lshlrev_b32_e32 v6, 20, v6
	v_and_b32_e32 v11, 0x80000000, v11
	v_lshl_add_u32 v10, v10, 23, v12
	v_or3_b32 v6, v11, v10, v6
.LBB1_1704:
	s_or_b64 exec, exec, s[6:7]
	s_nop 0
	v_mfma_f32_16x16x4f32 a[0:3], v2, v6, a[0:3]
	v_lshrrev_b32_e32 v6, 8, v7
	s_movk_i32 s4, 0x7f
	v_cmp_gt_i16_sdwa s[6:7], v6, s4 src0_sel:BYTE_0 src1_sel:DWORD
	s_mov_b64 s[4:5], 0
                                        ; implicit-def: $sgpr10
	s_and_saveexec_b64 s[8:9], s[6:7]
	s_xor_b64 s[6:7], exec, s[8:9]
	s_cbranch_execnz .LBB1_3753
; %bb.1705:
	s_or_saveexec_b64 s[6:7], s[6:7]
	v_mov_b32_e32 v2, s10
	s_xor_b64 exec, exec, s[6:7]
	s_cbranch_execnz .LBB1_3756
.LBB1_1706:
	s_or_b64 exec, exec, s[6:7]
	s_and_saveexec_b64 s[6:7], s[4:5]
	s_cbranch_execz .LBB1_1708
.LBB1_1707:
	v_bfe_u32 v2, v7, 8, 3
	v_ffbh_u32_e32 v11, v2
	v_min_u32_e32 v11, 32, v11
	v_lshrrev_b16_e32 v10, 3, v6
	v_subrev_u32_e32 v12, 28, v11
	v_and_b32_e32 v10, 15, v10
	v_lshlrev_b32_e32 v6, v12, v6
	v_sub_u32_e32 v11, 29, v11
	v_and_b32_e32 v6, 7, v6
	v_cmp_eq_u16_e32 vcc, 0, v10
	v_cndmask_b32_e32 v2, v2, v6, vcc
	v_cndmask_b32_e32 v6, v10, v11, vcc
	v_lshlrev_b32_e32 v10, 16, v7
	v_mov_b32_e32 v11, 0x3b800000
	v_lshlrev_b32_e32 v2, 20, v2
	v_and_b32_e32 v10, 0x80000000, v10
	v_lshl_add_u32 v6, v6, 23, v11
	v_or3_b32 v2, v10, v6, v2
.LBB1_1708:
	s_or_b64 exec, exec, s[6:7]
	v_lshrrev_b32_e32 v6, 8, v3
	s_movk_i32 s4, 0x7f
	v_cmp_gt_i16_sdwa s[6:7], v6, s4 src0_sel:BYTE_0 src1_sel:DWORD
	s_mov_b64 s[4:5], 0
                                        ; implicit-def: $sgpr10
	s_and_saveexec_b64 s[8:9], s[6:7]
	s_xor_b64 s[6:7], exec, s[8:9]
	s_cbranch_execnz .LBB1_3757
; %bb.1709:
	s_or_saveexec_b64 s[6:7], s[6:7]
	v_mov_b32_e32 v10, s10
	s_xor_b64 exec, exec, s[6:7]
	s_cbranch_execnz .LBB1_3760
.LBB1_1710:
	s_or_b64 exec, exec, s[6:7]
	s_and_saveexec_b64 s[6:7], s[4:5]
	s_cbranch_execz .LBB1_1712
.LBB1_1711:
	v_bfe_u32 v10, v3, 8, 3
	v_ffbh_u32_e32 v12, v10
	v_min_u32_e32 v12, 32, v12
	v_lshrrev_b16_e32 v11, 3, v6
	v_subrev_u32_e32 v13, 28, v12
	v_and_b32_e32 v11, 15, v11
	v_lshlrev_b32_e32 v6, v13, v6
	v_sub_u32_e32 v12, 29, v12
	v_and_b32_e32 v6, 7, v6
	v_cmp_eq_u16_e32 vcc, 0, v11
	v_cndmask_b32_e32 v6, v10, v6, vcc
	v_cndmask_b32_e32 v10, v11, v12, vcc
	v_lshlrev_b32_e32 v11, 16, v3
	v_mov_b32_e32 v12, 0x3b800000
	v_lshlrev_b32_e32 v6, 20, v6
	v_and_b32_e32 v11, 0x80000000, v11
	v_lshl_add_u32 v10, v10, 23, v12
	v_or3_b32 v10, v11, v10, v6
.LBB1_1712:
	s_or_b64 exec, exec, s[6:7]
	s_nop 0
	v_mfma_f32_16x16x4f32 a[0:3], v2, v10, a[0:3]
	s_movk_i32 s4, 0xff
	v_and_b32_sdwa v6, v7, s4 dst_sel:DWORD dst_unused:UNUSED_PAD src0_sel:WORD_1 src1_sel:DWORD
	s_movk_i32 s4, 0x7f
	v_cmp_lt_i16_e32 vcc, s4, v6
	s_mov_b64 s[4:5], 0
                                        ; implicit-def: $sgpr10
	s_and_saveexec_b64 s[6:7], vcc
	s_xor_b64 s[6:7], exec, s[6:7]
	s_cbranch_execnz .LBB1_3761
; %bb.1713:
	s_or_saveexec_b64 s[6:7], s[6:7]
	v_mov_b32_e32 v2, s10
	s_xor_b64 exec, exec, s[6:7]
	s_cbranch_execnz .LBB1_3764
.LBB1_1714:
	s_or_b64 exec, exec, s[6:7]
	s_and_saveexec_b64 s[6:7], s[4:5]
	s_cbranch_execz .LBB1_1716
.LBB1_1715:
	v_bfe_u32 v2, v7, 16, 3
	v_ffbh_u32_e32 v11, v2
	v_min_u32_e32 v11, 32, v11
	v_lshrrev_b32_e32 v6, 19, v7
	v_subrev_u32_e32 v12, 28, v11
	v_and_b32_e32 v6, 15, v6
	v_lshlrev_b32_sdwa v12, v12, v7 dst_sel:DWORD dst_unused:UNUSED_PAD src0_sel:DWORD src1_sel:WORD_1
	v_bfe_u32 v10, v7, 19, 4
	v_sub_u32_e32 v11, 29, v11
	v_and_b32_e32 v12, 7, v12
	v_cmp_eq_u16_e32 vcc, 0, v6
	v_cndmask_b32_e32 v2, v2, v12, vcc
	v_cndmask_b32_e32 v6, v10, v11, vcc
	v_lshlrev_b32_e32 v10, 8, v7
	v_mov_b32_e32 v11, 0x3b800000
	v_lshlrev_b32_e32 v2, 20, v2
	v_and_b32_e32 v10, 0x80000000, v10
	v_lshl_add_u32 v6, v6, 23, v11
	v_or3_b32 v2, v10, v6, v2
.LBB1_1716:
	s_or_b64 exec, exec, s[6:7]
	s_movk_i32 s4, 0xff
	v_and_b32_sdwa v6, v3, s4 dst_sel:DWORD dst_unused:UNUSED_PAD src0_sel:WORD_1 src1_sel:DWORD
	s_movk_i32 s4, 0x7f
	v_cmp_lt_i16_e32 vcc, s4, v6
	s_mov_b64 s[4:5], 0
                                        ; implicit-def: $sgpr10
	s_and_saveexec_b64 s[6:7], vcc
	s_xor_b64 s[6:7], exec, s[6:7]
	s_cbranch_execnz .LBB1_3765
; %bb.1717:
	s_or_saveexec_b64 s[6:7], s[6:7]
	v_mov_b32_e32 v10, s10
	s_xor_b64 exec, exec, s[6:7]
	s_cbranch_execnz .LBB1_3768
.LBB1_1718:
	s_or_b64 exec, exec, s[6:7]
	s_and_saveexec_b64 s[6:7], s[4:5]
	s_cbranch_execz .LBB1_1720
.LBB1_1719:
	v_bfe_u32 v6, v3, 16, 3
	v_ffbh_u32_e32 v12, v6
	v_min_u32_e32 v12, 32, v12
	v_lshrrev_b32_e32 v10, 19, v3
	v_subrev_u32_e32 v13, 28, v12
	v_and_b32_e32 v10, 15, v10
	v_lshlrev_b32_sdwa v13, v13, v3 dst_sel:DWORD dst_unused:UNUSED_PAD src0_sel:DWORD src1_sel:WORD_1
	v_bfe_u32 v11, v3, 19, 4
	v_sub_u32_e32 v12, 29, v12
	v_and_b32_e32 v13, 7, v13
	v_cmp_eq_u16_e32 vcc, 0, v10
	v_cndmask_b32_e32 v6, v6, v13, vcc
	v_cndmask_b32_e32 v10, v11, v12, vcc
	v_lshlrev_b32_e32 v11, 8, v3
	v_mov_b32_e32 v12, 0x3b800000
	v_lshlrev_b32_e32 v6, 20, v6
	v_and_b32_e32 v11, 0x80000000, v11
	v_lshl_add_u32 v10, v10, 23, v12
	v_or3_b32 v10, v11, v10, v6
.LBB1_1720:
	s_or_b64 exec, exec, s[6:7]
	s_nop 0
	v_mfma_f32_16x16x4f32 a[0:3], v2, v10, a[0:3]
	s_movk_i32 s4, 0x7f
	v_cmp_gt_i16_sdwa s[6:7], v7, s4 src0_sel:BYTE_3 src1_sel:DWORD
	s_mov_b64 s[4:5], 0
                                        ; implicit-def: $sgpr10
	s_and_saveexec_b64 s[8:9], s[6:7]
	s_xor_b64 s[6:7], exec, s[8:9]
	s_cbranch_execnz .LBB1_3769
; %bb.1721:
	s_or_saveexec_b64 s[6:7], s[6:7]
	v_mov_b32_e32 v2, s10
	s_xor_b64 exec, exec, s[6:7]
	s_cbranch_execnz .LBB1_3772
.LBB1_1722:
	s_or_b64 exec, exec, s[6:7]
	s_and_saveexec_b64 s[6:7], s[4:5]
	s_cbranch_execz .LBB1_1724
.LBB1_1723:
	v_bfe_u32 v2, v7, 24, 3
	v_ffbh_u32_e32 v12, v2
	v_min_u32_e32 v12, 32, v12
	v_lshrrev_b32_e32 v10, 27, v7
	v_subrev_u32_e32 v13, 28, v12
	v_and_b32_e32 v6, 0x80000000, v7
	v_and_b32_e32 v10, 15, v10
	v_bfe_u32 v11, v7, 27, 4
	v_lshlrev_b32_sdwa v7, v13, v7 dst_sel:DWORD dst_unused:UNUSED_PAD src0_sel:DWORD src1_sel:BYTE_3
	v_sub_u32_e32 v12, 29, v12
	v_and_b32_e32 v7, 7, v7
	v_cmp_eq_u16_e32 vcc, 0, v10
	v_cndmask_b32_e32 v2, v2, v7, vcc
	v_cndmask_b32_e32 v7, v11, v12, vcc
	v_mov_b32_e32 v10, 0x3b800000
	v_lshlrev_b32_e32 v2, 20, v2
	v_lshl_add_u32 v7, v7, 23, v10
	v_or3_b32 v2, v6, v7, v2
.LBB1_1724:
	s_or_b64 exec, exec, s[6:7]
	s_movk_i32 s4, 0x7f
	v_cmp_gt_i16_sdwa s[6:7], v3, s4 src0_sel:BYTE_3 src1_sel:DWORD
	s_mov_b64 s[4:5], 0
                                        ; implicit-def: $sgpr10
	s_and_saveexec_b64 s[8:9], s[6:7]
	s_xor_b64 s[6:7], exec, s[8:9]
	s_cbranch_execnz .LBB1_3773
; %bb.1725:
	s_or_saveexec_b64 s[6:7], s[6:7]
	v_mov_b32_e32 v6, s10
	s_xor_b64 exec, exec, s[6:7]
	s_cbranch_execnz .LBB1_3776
.LBB1_1726:
	s_or_b64 exec, exec, s[6:7]
	s_and_saveexec_b64 s[6:7], s[4:5]
	s_cbranch_execz .LBB1_1728
.LBB1_1727:
	v_bfe_u32 v6, v3, 24, 3
	v_ffbh_u32_e32 v12, v6
	v_min_u32_e32 v12, 32, v12
	v_lshrrev_b32_e32 v10, 27, v3
	v_subrev_u32_e32 v13, 28, v12
	v_and_b32_e32 v7, 0x80000000, v3
	v_and_b32_e32 v10, 15, v10
	v_bfe_u32 v11, v3, 27, 4
	v_lshlrev_b32_sdwa v3, v13, v3 dst_sel:DWORD dst_unused:UNUSED_PAD src0_sel:DWORD src1_sel:BYTE_3
	v_sub_u32_e32 v12, 29, v12
	v_and_b32_e32 v3, 7, v3
	v_cmp_eq_u16_e32 vcc, 0, v10
	v_cndmask_b32_e32 v3, v6, v3, vcc
	v_cndmask_b32_e32 v6, v11, v12, vcc
	v_mov_b32_e32 v10, 0x3b800000
	v_lshlrev_b32_e32 v3, 20, v3
	v_lshl_add_u32 v6, v6, 23, v10
	v_or3_b32 v6, v7, v6, v3
.LBB1_1728:
	s_or_b64 exec, exec, s[6:7]
	s_nop 0
	v_mfma_f32_16x16x4f32 a[0:3], v2, v6, a[0:3]
	s_movk_i32 s4, 0x7f
	v_cmp_gt_i16_sdwa s[6:7], v8, s4 src0_sel:BYTE_0 src1_sel:DWORD
	s_mov_b64 s[4:5], 0
                                        ; implicit-def: $sgpr10
	s_and_saveexec_b64 s[8:9], s[6:7]
	s_xor_b64 s[6:7], exec, s[8:9]
	s_cbranch_execnz .LBB1_3777
; %bb.1729:
	s_or_saveexec_b64 s[6:7], s[6:7]
	v_mov_b32_e32 v2, s10
	s_xor_b64 exec, exec, s[6:7]
	s_cbranch_execnz .LBB1_3780
.LBB1_1730:
	s_or_b64 exec, exec, s[6:7]
	s_and_saveexec_b64 s[6:7], s[4:5]
	s_cbranch_execz .LBB1_1732
.LBB1_1731:
	v_and_b32_e32 v2, 7, v8
	v_ffbh_u32_e32 v6, v2
	v_min_u32_e32 v6, 32, v6
	v_lshrrev_b16_e32 v3, 3, v8
	v_subrev_u32_e32 v7, 28, v6
	v_and_b32_e32 v3, 15, v3
	v_lshlrev_b32_e32 v7, v7, v8
	v_sub_u32_e32 v6, 29, v6
	v_and_b32_e32 v7, 7, v7
	v_cmp_eq_u16_e32 vcc, 0, v3
	v_cndmask_b32_e32 v2, v2, v7, vcc
	v_cndmask_b32_e32 v3, v3, v6, vcc
	v_lshlrev_b32_e32 v6, 24, v8
	v_mov_b32_e32 v7, 0x3b800000
	v_lshlrev_b32_e32 v2, 20, v2
	v_and_b32_e32 v6, 0x80000000, v6
	v_lshl_add_u32 v3, v3, 23, v7
	v_or3_b32 v2, v6, v3, v2
.LBB1_1732:
	s_or_b64 exec, exec, s[6:7]
	s_movk_i32 s4, 0x7f
	v_cmp_gt_i16_sdwa s[6:7], v4, s4 src0_sel:BYTE_0 src1_sel:DWORD
	s_mov_b64 s[4:5], 0
                                        ; implicit-def: $sgpr10
	s_and_saveexec_b64 s[8:9], s[6:7]
	s_xor_b64 s[6:7], exec, s[8:9]
	s_cbranch_execnz .LBB1_3781
; %bb.1733:
	s_or_saveexec_b64 s[6:7], s[6:7]
	v_mov_b32_e32 v3, s10
	s_xor_b64 exec, exec, s[6:7]
	s_cbranch_execnz .LBB1_3784
.LBB1_1734:
	s_or_b64 exec, exec, s[6:7]
	s_and_saveexec_b64 s[6:7], s[4:5]
	s_cbranch_execz .LBB1_1736
.LBB1_1735:
	v_and_b32_e32 v3, 7, v4
	v_ffbh_u32_e32 v7, v3
	v_min_u32_e32 v7, 32, v7
	v_lshrrev_b16_e32 v6, 3, v4
	v_subrev_u32_e32 v10, 28, v7
	v_and_b32_e32 v6, 15, v6
	v_lshlrev_b32_e32 v10, v10, v4
	v_sub_u32_e32 v7, 29, v7
	v_and_b32_e32 v10, 7, v10
	v_cmp_eq_u16_e32 vcc, 0, v6
	v_cndmask_b32_e32 v3, v3, v10, vcc
	v_cndmask_b32_e32 v6, v6, v7, vcc
	v_lshlrev_b32_e32 v7, 24, v4
	v_mov_b32_e32 v10, 0x3b800000
	v_lshlrev_b32_e32 v3, 20, v3
	v_and_b32_e32 v7, 0x80000000, v7
	v_lshl_add_u32 v6, v6, 23, v10
	v_or3_b32 v3, v7, v6, v3
.LBB1_1736:
	s_or_b64 exec, exec, s[6:7]
	s_nop 0
	v_mfma_f32_16x16x4f32 a[0:3], v2, v3, a[0:3]
	v_lshrrev_b32_e32 v3, 8, v8
	s_movk_i32 s4, 0x7f
	v_cmp_gt_i16_sdwa s[6:7], v3, s4 src0_sel:BYTE_0 src1_sel:DWORD
	s_mov_b64 s[4:5], 0
                                        ; implicit-def: $sgpr10
	s_and_saveexec_b64 s[8:9], s[6:7]
	s_xor_b64 s[6:7], exec, s[8:9]
	s_cbranch_execnz .LBB1_3785
; %bb.1737:
	s_or_saveexec_b64 s[6:7], s[6:7]
	v_mov_b32_e32 v2, s10
	s_xor_b64 exec, exec, s[6:7]
	s_cbranch_execnz .LBB1_3788
.LBB1_1738:
	s_or_b64 exec, exec, s[6:7]
	s_and_saveexec_b64 s[6:7], s[4:5]
	s_cbranch_execz .LBB1_1740
.LBB1_1739:
	v_bfe_u32 v2, v8, 8, 3
	v_ffbh_u32_e32 v7, v2
	v_min_u32_e32 v7, 32, v7
	v_lshrrev_b16_e32 v6, 3, v3
	v_subrev_u32_e32 v10, 28, v7
	v_and_b32_e32 v6, 15, v6
	v_lshlrev_b32_e32 v3, v10, v3
	v_sub_u32_e32 v7, 29, v7
	v_and_b32_e32 v3, 7, v3
	v_cmp_eq_u16_e32 vcc, 0, v6
	v_cndmask_b32_e32 v2, v2, v3, vcc
	v_cndmask_b32_e32 v3, v6, v7, vcc
	v_lshlrev_b32_e32 v6, 16, v8
	v_mov_b32_e32 v7, 0x3b800000
	v_lshlrev_b32_e32 v2, 20, v2
	v_and_b32_e32 v6, 0x80000000, v6
	v_lshl_add_u32 v3, v3, 23, v7
	v_or3_b32 v2, v6, v3, v2
.LBB1_1740:
	s_or_b64 exec, exec, s[6:7]
	v_lshrrev_b32_e32 v3, 8, v4
	s_movk_i32 s4, 0x7f
	v_cmp_gt_i16_sdwa s[6:7], v3, s4 src0_sel:BYTE_0 src1_sel:DWORD
	s_mov_b64 s[4:5], 0
                                        ; implicit-def: $sgpr10
	s_and_saveexec_b64 s[8:9], s[6:7]
	s_xor_b64 s[6:7], exec, s[8:9]
	s_cbranch_execnz .LBB1_3789
; %bb.1741:
	s_or_saveexec_b64 s[6:7], s[6:7]
	v_mov_b32_e32 v6, s10
	s_xor_b64 exec, exec, s[6:7]
	s_cbranch_execnz .LBB1_3792
.LBB1_1742:
	s_or_b64 exec, exec, s[6:7]
	s_and_saveexec_b64 s[6:7], s[4:5]
	s_cbranch_execz .LBB1_1744
.LBB1_1743:
	v_bfe_u32 v6, v4, 8, 3
	v_ffbh_u32_e32 v10, v6
	v_min_u32_e32 v10, 32, v10
	v_lshrrev_b16_e32 v7, 3, v3
	v_subrev_u32_e32 v11, 28, v10
	v_and_b32_e32 v7, 15, v7
	v_lshlrev_b32_e32 v3, v11, v3
	v_sub_u32_e32 v10, 29, v10
	v_and_b32_e32 v3, 7, v3
	v_cmp_eq_u16_e32 vcc, 0, v7
	v_cndmask_b32_e32 v3, v6, v3, vcc
	v_cndmask_b32_e32 v6, v7, v10, vcc
	v_lshlrev_b32_e32 v7, 16, v4
	v_mov_b32_e32 v10, 0x3b800000
	v_lshlrev_b32_e32 v3, 20, v3
	v_and_b32_e32 v7, 0x80000000, v7
	v_lshl_add_u32 v6, v6, 23, v10
	v_or3_b32 v6, v7, v6, v3
.LBB1_1744:
	s_or_b64 exec, exec, s[6:7]
	s_nop 0
	v_mfma_f32_16x16x4f32 a[0:3], v2, v6, a[0:3]
	s_movk_i32 s4, 0xff
	v_and_b32_sdwa v3, v8, s4 dst_sel:DWORD dst_unused:UNUSED_PAD src0_sel:WORD_1 src1_sel:DWORD
	s_movk_i32 s4, 0x7f
	v_cmp_lt_i16_e32 vcc, s4, v3
	s_mov_b64 s[4:5], 0
                                        ; implicit-def: $sgpr10
	s_and_saveexec_b64 s[6:7], vcc
	s_xor_b64 s[6:7], exec, s[6:7]
	s_cbranch_execnz .LBB1_3793
; %bb.1745:
	s_or_saveexec_b64 s[6:7], s[6:7]
	v_mov_b32_e32 v2, s10
	s_xor_b64 exec, exec, s[6:7]
	s_cbranch_execnz .LBB1_3796
.LBB1_1746:
	s_or_b64 exec, exec, s[6:7]
	s_and_saveexec_b64 s[6:7], s[4:5]
	s_cbranch_execz .LBB1_1748
.LBB1_1747:
	v_bfe_u32 v2, v8, 16, 3
	v_ffbh_u32_e32 v7, v2
	v_min_u32_e32 v7, 32, v7
	v_lshrrev_b32_e32 v3, 19, v8
	v_subrev_u32_e32 v10, 28, v7
	v_and_b32_e32 v3, 15, v3
	v_lshlrev_b32_sdwa v10, v10, v8 dst_sel:DWORD dst_unused:UNUSED_PAD src0_sel:DWORD src1_sel:WORD_1
	v_bfe_u32 v6, v8, 19, 4
	v_sub_u32_e32 v7, 29, v7
	v_and_b32_e32 v10, 7, v10
	v_cmp_eq_u16_e32 vcc, 0, v3
	v_cndmask_b32_e32 v2, v2, v10, vcc
	v_cndmask_b32_e32 v3, v6, v7, vcc
	v_lshlrev_b32_e32 v6, 8, v8
	v_mov_b32_e32 v7, 0x3b800000
	v_lshlrev_b32_e32 v2, 20, v2
	v_and_b32_e32 v6, 0x80000000, v6
	v_lshl_add_u32 v3, v3, 23, v7
	v_or3_b32 v2, v6, v3, v2
.LBB1_1748:
	s_or_b64 exec, exec, s[6:7]
	s_movk_i32 s4, 0xff
	v_and_b32_sdwa v3, v4, s4 dst_sel:DWORD dst_unused:UNUSED_PAD src0_sel:WORD_1 src1_sel:DWORD
	s_movk_i32 s4, 0x7f
	v_cmp_lt_i16_e32 vcc, s4, v3
	s_mov_b64 s[4:5], 0
                                        ; implicit-def: $sgpr10
	s_and_saveexec_b64 s[6:7], vcc
	s_xor_b64 s[6:7], exec, s[6:7]
	s_cbranch_execnz .LBB1_3797
; %bb.1749:
	s_or_saveexec_b64 s[6:7], s[6:7]
	v_mov_b32_e32 v6, s10
	s_xor_b64 exec, exec, s[6:7]
	s_cbranch_execnz .LBB1_3800
.LBB1_1750:
	s_or_b64 exec, exec, s[6:7]
	s_and_saveexec_b64 s[6:7], s[4:5]
	s_cbranch_execz .LBB1_1752
.LBB1_1751:
	v_bfe_u32 v3, v4, 16, 3
	v_ffbh_u32_e32 v10, v3
	v_min_u32_e32 v10, 32, v10
	v_lshrrev_b32_e32 v6, 19, v4
	v_subrev_u32_e32 v11, 28, v10
	v_and_b32_e32 v6, 15, v6
	v_lshlrev_b32_sdwa v11, v11, v4 dst_sel:DWORD dst_unused:UNUSED_PAD src0_sel:DWORD src1_sel:WORD_1
	v_bfe_u32 v7, v4, 19, 4
	v_sub_u32_e32 v10, 29, v10
	v_and_b32_e32 v11, 7, v11
	v_cmp_eq_u16_e32 vcc, 0, v6
	v_cndmask_b32_e32 v3, v3, v11, vcc
	v_cndmask_b32_e32 v6, v7, v10, vcc
	v_lshlrev_b32_e32 v7, 8, v4
	v_mov_b32_e32 v10, 0x3b800000
	v_lshlrev_b32_e32 v3, 20, v3
	v_and_b32_e32 v7, 0x80000000, v7
	v_lshl_add_u32 v6, v6, 23, v10
	v_or3_b32 v6, v7, v6, v3
.LBB1_1752:
	s_or_b64 exec, exec, s[6:7]
	s_nop 0
	v_mfma_f32_16x16x4f32 a[0:3], v2, v6, a[0:3]
	s_movk_i32 s4, 0x7f
	v_cmp_gt_i16_sdwa s[6:7], v8, s4 src0_sel:BYTE_3 src1_sel:DWORD
	s_mov_b64 s[4:5], 0
                                        ; implicit-def: $sgpr10
	s_and_saveexec_b64 s[8:9], s[6:7]
	s_xor_b64 s[6:7], exec, s[8:9]
	s_cbranch_execnz .LBB1_3801
; %bb.1753:
	s_or_saveexec_b64 s[6:7], s[6:7]
	v_mov_b32_e32 v2, s10
	s_xor_b64 exec, exec, s[6:7]
	s_cbranch_execnz .LBB1_3804
.LBB1_1754:
	s_or_b64 exec, exec, s[6:7]
	s_and_saveexec_b64 s[6:7], s[4:5]
	s_cbranch_execz .LBB1_1756
.LBB1_1755:
	v_bfe_u32 v2, v8, 24, 3
	v_ffbh_u32_e32 v10, v2
	v_min_u32_e32 v10, 32, v10
	v_lshrrev_b32_e32 v6, 27, v8
	v_subrev_u32_e32 v11, 28, v10
	v_and_b32_e32 v3, 0x80000000, v8
	v_and_b32_e32 v6, 15, v6
	v_bfe_u32 v7, v8, 27, 4
	v_lshlrev_b32_sdwa v8, v11, v8 dst_sel:DWORD dst_unused:UNUSED_PAD src0_sel:DWORD src1_sel:BYTE_3
	v_sub_u32_e32 v10, 29, v10
	v_and_b32_e32 v8, 7, v8
	v_cmp_eq_u16_e32 vcc, 0, v6
	v_cndmask_b32_e32 v2, v2, v8, vcc
	v_cndmask_b32_e32 v6, v7, v10, vcc
	v_mov_b32_e32 v7, 0x3b800000
	v_lshlrev_b32_e32 v2, 20, v2
	v_lshl_add_u32 v6, v6, 23, v7
	v_or3_b32 v2, v3, v6, v2
.LBB1_1756:
	s_or_b64 exec, exec, s[6:7]
	s_movk_i32 s4, 0x7f
	v_cmp_gt_i16_sdwa s[6:7], v4, s4 src0_sel:BYTE_3 src1_sel:DWORD
	s_mov_b64 s[4:5], 0
                                        ; implicit-def: $sgpr10
	s_and_saveexec_b64 s[8:9], s[6:7]
	s_xor_b64 s[6:7], exec, s[8:9]
	s_cbranch_execnz .LBB1_3805
; %bb.1757:
	s_or_saveexec_b64 s[6:7], s[6:7]
	v_mov_b32_e32 v3, s10
	s_xor_b64 exec, exec, s[6:7]
	s_cbranch_execnz .LBB1_3808
.LBB1_1758:
	s_or_b64 exec, exec, s[6:7]
	s_and_saveexec_b64 s[6:7], s[4:5]
	s_cbranch_execz .LBB1_1760
.LBB1_1759:
	v_bfe_u32 v3, v4, 24, 3
	v_ffbh_u32_e32 v10, v3
	v_min_u32_e32 v10, 32, v10
	v_lshrrev_b32_e32 v7, 27, v4
	v_subrev_u32_e32 v11, 28, v10
	v_and_b32_e32 v6, 0x80000000, v4
	v_and_b32_e32 v7, 15, v7
	v_bfe_u32 v8, v4, 27, 4
	v_lshlrev_b32_sdwa v4, v11, v4 dst_sel:DWORD dst_unused:UNUSED_PAD src0_sel:DWORD src1_sel:BYTE_3
	v_sub_u32_e32 v10, 29, v10
	v_and_b32_e32 v4, 7, v4
	v_cmp_eq_u16_e32 vcc, 0, v7
	v_cndmask_b32_e32 v3, v3, v4, vcc
	v_cndmask_b32_e32 v4, v8, v10, vcc
	v_mov_b32_e32 v7, 0x3b800000
	v_lshlrev_b32_e32 v3, 20, v3
	v_lshl_add_u32 v4, v4, 23, v7
	v_or3_b32 v3, v6, v4, v3
.LBB1_1760:
	s_or_b64 exec, exec, s[6:7]
	s_nop 0
	v_mfma_f32_16x16x4f32 a[0:3], v2, v3, a[0:3]
	s_movk_i32 s4, 0x7f
	v_cmp_gt_i16_sdwa s[6:7], v9, s4 src0_sel:BYTE_0 src1_sel:DWORD
	s_mov_b64 s[4:5], 0
                                        ; implicit-def: $sgpr10
	s_and_saveexec_b64 s[8:9], s[6:7]
	s_xor_b64 s[6:7], exec, s[8:9]
	s_cbranch_execnz .LBB1_3809
; %bb.1761:
	s_or_saveexec_b64 s[6:7], s[6:7]
	v_mov_b32_e32 v2, s10
	s_xor_b64 exec, exec, s[6:7]
	s_cbranch_execnz .LBB1_3812
.LBB1_1762:
	s_or_b64 exec, exec, s[6:7]
	s_and_saveexec_b64 s[6:7], s[4:5]
	s_cbranch_execz .LBB1_1764
.LBB1_1763:
	v_mov_b32_e32 v2, 8
	v_and_b32_e32 v3, 7, v9
	v_lshrrev_b32_sdwa v2, v2, v9 dst_sel:BYTE_1 dst_unused:UNUSED_PAD src0_sel:DWORD src1_sel:DWORD
	v_ffbh_u32_e32 v4, v3
	v_or_b32_sdwa v2, v9, v2 dst_sel:DWORD dst_unused:UNUSED_PAD src0_sel:BYTE_0 src1_sel:DWORD
	v_min_u32_e32 v4, 32, v4
	v_lshrrev_b16_e32 v2, 3, v2
	v_subrev_u32_e32 v6, 28, v4
	v_and_b32_e32 v2, 15, v2
	v_lshlrev_b32_e32 v6, v6, v9
	v_sub_u32_e32 v4, 29, v4
	v_and_b32_e32 v6, 7, v6
	v_cmp_eq_u16_e32 vcc, 0, v2
	v_cndmask_b32_e32 v3, v3, v6, vcc
	v_cndmask_b32_e32 v2, v2, v4, vcc
	v_lshlrev_b32_e32 v4, 24, v9
	v_mov_b32_e32 v6, 0x3b800000
	v_lshlrev_b32_e32 v3, 20, v3
	v_and_b32_e32 v4, 0x80000000, v4
	v_lshl_add_u32 v2, v2, 23, v6
	v_or3_b32 v2, v4, v2, v3
.LBB1_1764:
	s_or_b64 exec, exec, s[6:7]
	s_movk_i32 s4, 0x7f
	v_cmp_gt_i16_sdwa s[6:7], v5, s4 src0_sel:BYTE_0 src1_sel:DWORD
	s_mov_b64 s[4:5], 0
                                        ; implicit-def: $sgpr10
	s_and_saveexec_b64 s[8:9], s[6:7]
	s_xor_b64 s[6:7], exec, s[8:9]
	s_cbranch_execnz .LBB1_3813
; %bb.1765:
	s_or_saveexec_b64 s[6:7], s[6:7]
	v_mov_b32_e32 v3, s10
	s_xor_b64 exec, exec, s[6:7]
	s_cbranch_execnz .LBB1_3816
.LBB1_1766:
	s_or_b64 exec, exec, s[6:7]
	s_and_saveexec_b64 s[6:7], s[4:5]
	s_cbranch_execz .LBB1_1768
.LBB1_1767:
	v_mov_b32_e32 v3, 8
	v_and_b32_e32 v4, 7, v5
	v_lshrrev_b32_sdwa v3, v3, v5 dst_sel:BYTE_1 dst_unused:UNUSED_PAD src0_sel:DWORD src1_sel:DWORD
	v_ffbh_u32_e32 v6, v4
	v_or_b32_sdwa v3, v5, v3 dst_sel:DWORD dst_unused:UNUSED_PAD src0_sel:BYTE_0 src1_sel:DWORD
	v_min_u32_e32 v6, 32, v6
	v_lshrrev_b16_e32 v3, 3, v3
	v_subrev_u32_e32 v7, 28, v6
	v_and_b32_e32 v3, 15, v3
	v_lshlrev_b32_e32 v7, v7, v5
	v_sub_u32_e32 v6, 29, v6
	v_and_b32_e32 v7, 7, v7
	v_cmp_eq_u16_e32 vcc, 0, v3
	v_cndmask_b32_e32 v4, v4, v7, vcc
	v_cndmask_b32_e32 v3, v3, v6, vcc
	v_lshlrev_b32_e32 v6, 24, v5
	v_mov_b32_e32 v7, 0x3b800000
	v_lshlrev_b32_e32 v4, 20, v4
	v_and_b32_e32 v6, 0x80000000, v6
	v_lshl_add_u32 v3, v3, 23, v7
	v_or3_b32 v3, v6, v3, v4
.LBB1_1768:
	s_or_b64 exec, exec, s[6:7]
	s_nop 0
	v_mfma_f32_16x16x4f32 a[0:3], v2, v3, a[0:3]
	v_lshrrev_b32_e32 v3, 8, v9
	s_movk_i32 s4, 0x7f
	v_cmp_gt_i16_sdwa s[6:7], v3, s4 src0_sel:BYTE_0 src1_sel:DWORD
	s_mov_b64 s[4:5], 0
                                        ; implicit-def: $sgpr10
	s_and_saveexec_b64 s[8:9], s[6:7]
	s_xor_b64 s[6:7], exec, s[8:9]
	s_cbranch_execnz .LBB1_3817
; %bb.1769:
	s_or_saveexec_b64 s[6:7], s[6:7]
	v_mov_b32_e32 v2, s10
	s_xor_b64 exec, exec, s[6:7]
	s_cbranch_execnz .LBB1_3820
.LBB1_1770:
	s_or_b64 exec, exec, s[6:7]
	s_and_saveexec_b64 s[6:7], s[4:5]
	s_cbranch_execz .LBB1_1772
.LBB1_1771:
	v_bfe_u32 v2, v9, 8, 3
	v_ffbh_u32_e32 v6, v2
	v_min_u32_e32 v6, 32, v6
	v_lshrrev_b16_e32 v4, 3, v3
	v_subrev_u32_e32 v7, 28, v6
	v_and_b32_e32 v4, 15, v4
	v_lshlrev_b32_e32 v3, v7, v3
	v_sub_u32_e32 v6, 29, v6
	v_and_b32_e32 v3, 7, v3
	v_cmp_eq_u16_e32 vcc, 0, v4
	v_cndmask_b32_e32 v2, v2, v3, vcc
	v_cndmask_b32_e32 v3, v4, v6, vcc
	v_lshlrev_b32_e32 v4, 16, v9
	v_mov_b32_e32 v6, 0x3b800000
	v_lshlrev_b32_e32 v2, 20, v2
	v_and_b32_e32 v4, 0x80000000, v4
	v_lshl_add_u32 v3, v3, 23, v6
	v_or3_b32 v2, v4, v3, v2
.LBB1_1772:
	s_or_b64 exec, exec, s[6:7]
	v_lshrrev_b32_e32 v3, 8, v5
	s_movk_i32 s4, 0x7f
	v_cmp_gt_i16_sdwa s[6:7], v3, s4 src0_sel:BYTE_0 src1_sel:DWORD
	s_mov_b64 s[4:5], 0
                                        ; implicit-def: $sgpr10
	s_and_saveexec_b64 s[8:9], s[6:7]
	s_xor_b64 s[6:7], exec, s[8:9]
	s_cbranch_execnz .LBB1_3821
; %bb.1773:
	s_or_saveexec_b64 s[6:7], s[6:7]
	v_mov_b32_e32 v4, s10
	s_xor_b64 exec, exec, s[6:7]
	s_cbranch_execnz .LBB1_3824
.LBB1_1774:
	s_or_b64 exec, exec, s[6:7]
	s_and_saveexec_b64 s[6:7], s[4:5]
	s_cbranch_execz .LBB1_1776
.LBB1_1775:
	v_bfe_u32 v4, v5, 8, 3
	v_ffbh_u32_e32 v7, v4
	v_min_u32_e32 v7, 32, v7
	v_lshrrev_b16_e32 v6, 3, v3
	v_subrev_u32_e32 v8, 28, v7
	v_and_b32_e32 v6, 15, v6
	v_lshlrev_b32_e32 v3, v8, v3
	v_sub_u32_e32 v7, 29, v7
	v_and_b32_e32 v3, 7, v3
	v_cmp_eq_u16_e32 vcc, 0, v6
	v_cndmask_b32_e32 v3, v4, v3, vcc
	v_cndmask_b32_e32 v4, v6, v7, vcc
	v_lshlrev_b32_e32 v6, 16, v5
	v_mov_b32_e32 v7, 0x3b800000
	v_lshlrev_b32_e32 v3, 20, v3
	v_and_b32_e32 v6, 0x80000000, v6
	v_lshl_add_u32 v4, v4, 23, v7
	v_or3_b32 v4, v6, v4, v3
.LBB1_1776:
	s_or_b64 exec, exec, s[6:7]
	s_nop 0
	v_mfma_f32_16x16x4f32 a[0:3], v2, v4, a[0:3]
	s_movk_i32 s4, 0xff
	v_and_b32_sdwa v3, v9, s4 dst_sel:DWORD dst_unused:UNUSED_PAD src0_sel:WORD_1 src1_sel:DWORD
	s_movk_i32 s4, 0x7f
	v_cmp_lt_i16_e32 vcc, s4, v3
	s_mov_b64 s[4:5], 0
                                        ; implicit-def: $sgpr10
	s_and_saveexec_b64 s[6:7], vcc
	s_xor_b64 s[6:7], exec, s[6:7]
	s_cbranch_execnz .LBB1_3825
; %bb.1777:
	s_or_saveexec_b64 s[6:7], s[6:7]
	v_mov_b32_e32 v2, s10
	s_xor_b64 exec, exec, s[6:7]
	s_cbranch_execnz .LBB1_3828
.LBB1_1778:
	s_or_b64 exec, exec, s[6:7]
	s_and_saveexec_b64 s[6:7], s[4:5]
	s_cbranch_execz .LBB1_1780
.LBB1_1779:
	v_bfe_u32 v2, v9, 16, 3
	v_ffbh_u32_e32 v6, v2
	v_min_u32_e32 v6, 32, v6
	v_lshrrev_b32_e32 v3, 19, v9
	v_subrev_u32_e32 v7, 28, v6
	v_and_b32_e32 v3, 15, v3
	v_lshlrev_b32_sdwa v7, v7, v9 dst_sel:DWORD dst_unused:UNUSED_PAD src0_sel:DWORD src1_sel:WORD_1
	v_bfe_u32 v4, v9, 19, 4
	v_sub_u32_e32 v6, 29, v6
	v_and_b32_e32 v7, 7, v7
	v_cmp_eq_u16_e32 vcc, 0, v3
	v_cndmask_b32_e32 v2, v2, v7, vcc
	v_cndmask_b32_e32 v3, v4, v6, vcc
	v_lshlrev_b32_e32 v4, 8, v9
	v_mov_b32_e32 v6, 0x3b800000
	v_lshlrev_b32_e32 v2, 20, v2
	v_and_b32_e32 v4, 0x80000000, v4
	v_lshl_add_u32 v3, v3, 23, v6
	v_or3_b32 v2, v4, v3, v2
.LBB1_1780:
	s_or_b64 exec, exec, s[6:7]
	s_movk_i32 s4, 0xff
	v_and_b32_sdwa v3, v5, s4 dst_sel:DWORD dst_unused:UNUSED_PAD src0_sel:WORD_1 src1_sel:DWORD
	s_movk_i32 s4, 0x7f
	v_cmp_lt_i16_e32 vcc, s4, v3
	s_mov_b64 s[4:5], 0
                                        ; implicit-def: $sgpr10
	s_and_saveexec_b64 s[6:7], vcc
	s_xor_b64 s[6:7], exec, s[6:7]
	s_cbranch_execnz .LBB1_3829
; %bb.1781:
	s_or_saveexec_b64 s[6:7], s[6:7]
	v_mov_b32_e32 v4, s10
	s_xor_b64 exec, exec, s[6:7]
	s_cbranch_execnz .LBB1_3832
.LBB1_1782:
	s_or_b64 exec, exec, s[6:7]
	s_and_saveexec_b64 s[6:7], s[4:5]
	s_cbranch_execz .LBB1_1784
.LBB1_1783:
	v_bfe_u32 v3, v5, 16, 3
	v_ffbh_u32_e32 v7, v3
	v_min_u32_e32 v7, 32, v7
	v_lshrrev_b32_e32 v4, 19, v5
	v_subrev_u32_e32 v8, 28, v7
	v_and_b32_e32 v4, 15, v4
	v_lshlrev_b32_sdwa v8, v8, v5 dst_sel:DWORD dst_unused:UNUSED_PAD src0_sel:DWORD src1_sel:WORD_1
	v_bfe_u32 v6, v5, 19, 4
	v_sub_u32_e32 v7, 29, v7
	v_and_b32_e32 v8, 7, v8
	v_cmp_eq_u16_e32 vcc, 0, v4
	v_cndmask_b32_e32 v3, v3, v8, vcc
	v_cndmask_b32_e32 v4, v6, v7, vcc
	v_lshlrev_b32_e32 v6, 8, v5
	v_mov_b32_e32 v7, 0x3b800000
	v_lshlrev_b32_e32 v3, 20, v3
	v_and_b32_e32 v6, 0x80000000, v6
	v_lshl_add_u32 v4, v4, 23, v7
	v_or3_b32 v4, v6, v4, v3
.LBB1_1784:
	s_or_b64 exec, exec, s[6:7]
	s_nop 0
	v_mfma_f32_16x16x4f32 a[0:3], v2, v4, a[0:3]
	s_movk_i32 s4, 0x7f
	v_cmp_gt_i16_sdwa s[6:7], v9, s4 src0_sel:BYTE_3 src1_sel:DWORD
	s_mov_b64 s[4:5], 0
                                        ; implicit-def: $sgpr10
	s_and_saveexec_b64 s[8:9], s[6:7]
	s_xor_b64 s[6:7], exec, s[8:9]
	s_cbranch_execnz .LBB1_3833
; %bb.1785:
	s_or_saveexec_b64 s[6:7], s[6:7]
	v_mov_b32_e32 v2, s10
	s_xor_b64 exec, exec, s[6:7]
	s_cbranch_execnz .LBB1_3836
.LBB1_1786:
	s_or_b64 exec, exec, s[6:7]
	s_and_saveexec_b64 s[6:7], s[4:5]
	s_cbranch_execz .LBB1_1788
.LBB1_1787:
	v_bfe_u32 v2, v9, 24, 3
	v_ffbh_u32_e32 v7, v2
	v_min_u32_e32 v7, 32, v7
	v_lshrrev_b32_e32 v4, 27, v9
	v_subrev_u32_e32 v8, 28, v7
	v_and_b32_e32 v4, 15, v4
	v_lshlrev_b32_sdwa v8, v8, v9 dst_sel:DWORD dst_unused:UNUSED_PAD src0_sel:DWORD src1_sel:BYTE_3
	v_bfe_u32 v6, v9, 27, 4
	v_sub_u32_e32 v7, 29, v7
	v_and_b32_e32 v8, 7, v8
	v_cmp_eq_u16_e32 vcc, 0, v4
	v_cndmask_b32_e32 v2, v2, v8, vcc
	v_cndmask_b32_e32 v4, v6, v7, vcc
	v_mov_b32_e32 v6, 0x3b800000
	v_and_b32_e32 v3, 0x80000000, v9
	v_lshlrev_b32_e32 v2, 20, v2
	v_lshl_add_u32 v4, v4, 23, v6
	v_or3_b32 v2, v3, v4, v2
.LBB1_1788:
	s_or_b64 exec, exec, s[6:7]
	s_movk_i32 s4, 0x7f
	v_cmp_gt_i16_sdwa s[6:7], v5, s4 src0_sel:BYTE_3 src1_sel:DWORD
	s_mov_b64 s[4:5], 0
                                        ; implicit-def: $sgpr10
	s_and_saveexec_b64 s[8:9], s[6:7]
	s_xor_b64 s[6:7], exec, s[8:9]
	s_cbranch_execnz .LBB1_3837
; %bb.1789:
	s_or_saveexec_b64 s[6:7], s[6:7]
	v_mov_b32_e32 v3, s10
	s_xor_b64 exec, exec, s[6:7]
	s_cbranch_execnz .LBB1_3840
.LBB1_1790:
	s_or_b64 exec, exec, s[6:7]
	s_and_saveexec_b64 s[6:7], s[4:5]
	s_cbranch_execz .LBB1_1792
.LBB1_1791:
	v_bfe_u32 v3, v5, 24, 3
	v_ffbh_u32_e32 v8, v3
	v_min_u32_e32 v8, 32, v8
	v_lshrrev_b32_e32 v6, 27, v5
	v_subrev_u32_e32 v9, 28, v8
	v_and_b32_e32 v4, 0x80000000, v5
	v_and_b32_e32 v6, 15, v6
	v_bfe_u32 v7, v5, 27, 4
	v_lshlrev_b32_sdwa v5, v9, v5 dst_sel:DWORD dst_unused:UNUSED_PAD src0_sel:DWORD src1_sel:BYTE_3
	v_sub_u32_e32 v8, 29, v8
	v_and_b32_e32 v5, 7, v5
	v_cmp_eq_u16_e32 vcc, 0, v6
	v_cndmask_b32_e32 v3, v3, v5, vcc
	v_cndmask_b32_e32 v5, v7, v8, vcc
	v_mov_b32_e32 v6, 0x3b800000
	v_lshlrev_b32_e32 v3, 20, v3
	v_lshl_add_u32 v5, v5, 23, v6
	v_or3_b32 v3, v4, v5, v3
.LBB1_1792:
	s_or_b64 exec, exec, s[6:7]
	s_nop 0
	v_mfma_f32_16x16x4f32 a[0:3], v2, v3, a[0:3]
	s_movk_i32 s4, 0x7f
                                        ; implicit-def: $sgpr10
	s_nop 7
	s_nop 1
	flat_store_dwordx4 v[18:19], a[0:3] offset:96
	flat_load_dwordx4 v[18:21], v[0:1] offset:16
	s_nop 0
	flat_load_dwordx2 v[16:17], v[0:1] offset:32
	s_waitcnt vmcnt(0) lgkmcnt(0)
	flat_load_dwordx4 v[12:15], v[18:19]
	flat_load_dwordx4 v[4:7], v[18:19] offset:16
	flat_load_dwordx4 v[8:11], v[20:21] offset:224
	;; [unrolled: 1-line block ×3, first 2 shown]
	s_waitcnt vmcnt(0) lgkmcnt(0)
	v_cmp_gt_i16_sdwa s[6:7], v12, s4 src0_sel:BYTE_0 src1_sel:DWORD
	s_mov_b64 s[4:5], 0
	s_and_saveexec_b64 s[8:9], s[6:7]
	s_xor_b64 s[6:7], exec, s[8:9]
	s_cbranch_execnz .LBB1_3841
; %bb.1793:
	s_or_saveexec_b64 s[6:7], s[6:7]
	v_mov_b32_e32 v18, s10
	s_xor_b64 exec, exec, s[6:7]
	s_cbranch_execnz .LBB1_3844
.LBB1_1794:
	s_or_b64 exec, exec, s[6:7]
	s_and_saveexec_b64 s[6:7], s[4:5]
	s_cbranch_execz .LBB1_1796
.LBB1_1795:
	v_and_b32_e32 v18, 7, v12
	v_ffbh_u32_e32 v20, v18
	v_min_u32_e32 v20, 32, v20
	v_lshrrev_b16_e32 v19, 3, v12
	v_subrev_u32_e32 v21, 28, v20
	v_and_b32_e32 v19, 15, v19
	v_lshlrev_b32_e32 v21, v21, v12
	v_sub_u32_e32 v20, 29, v20
	v_and_b32_e32 v21, 7, v21
	v_cmp_eq_u16_e32 vcc, 0, v19
	v_cndmask_b32_e32 v18, v18, v21, vcc
	v_cndmask_b32_e32 v19, v19, v20, vcc
	v_lshlrev_b32_e32 v20, 24, v12
	v_mov_b32_e32 v21, 0x3b800000
	v_lshlrev_b32_e32 v18, 20, v18
	v_and_b32_e32 v20, 0x80000000, v20
	v_lshl_add_u32 v19, v19, 23, v21
	v_or3_b32 v18, v20, v19, v18
.LBB1_1796:
	s_or_b64 exec, exec, s[6:7]
	s_movk_i32 s4, 0x7f
	v_cmp_gt_i16_sdwa s[6:7], v8, s4 src0_sel:BYTE_0 src1_sel:DWORD
	s_mov_b64 s[4:5], 0
                                        ; implicit-def: $sgpr10
	s_and_saveexec_b64 s[8:9], s[6:7]
	s_xor_b64 s[6:7], exec, s[8:9]
	s_cbranch_execnz .LBB1_3845
; %bb.1797:
	s_or_saveexec_b64 s[6:7], s[6:7]
	v_mov_b32_e32 v19, s10
	s_xor_b64 exec, exec, s[6:7]
	s_cbranch_execnz .LBB1_3848
.LBB1_1798:
	s_or_b64 exec, exec, s[6:7]
	s_and_saveexec_b64 s[6:7], s[4:5]
	s_cbranch_execz .LBB1_1800
.LBB1_1799:
	v_and_b32_e32 v19, 7, v8
	v_ffbh_u32_e32 v21, v19
	v_min_u32_e32 v21, 32, v21
	v_lshrrev_b16_e32 v20, 3, v8
	v_subrev_u32_e32 v22, 28, v21
	v_and_b32_e32 v20, 15, v20
	v_lshlrev_b32_e32 v22, v22, v8
	v_sub_u32_e32 v21, 29, v21
	v_and_b32_e32 v22, 7, v22
	v_cmp_eq_u16_e32 vcc, 0, v20
	v_cndmask_b32_e32 v19, v19, v22, vcc
	v_cndmask_b32_e32 v20, v20, v21, vcc
	v_lshlrev_b32_e32 v21, 24, v8
	v_mov_b32_e32 v22, 0x3b800000
	v_lshlrev_b32_e32 v19, 20, v19
	v_and_b32_e32 v21, 0x80000000, v21
	v_lshl_add_u32 v20, v20, 23, v22
	v_or3_b32 v19, v21, v20, v19
.LBB1_1800:
	s_or_b64 exec, exec, s[6:7]
	flat_load_dwordx4 a[0:3], v[16:17] offset:112
	s_movk_i32 s4, 0x7f
                                        ; implicit-def: $sgpr10
	s_waitcnt vmcnt(0) lgkmcnt(0)
	v_mfma_f32_16x16x4f32 a[0:3], v18, v19, a[0:3]
	v_lshrrev_b32_e32 v19, 8, v12
	v_cmp_gt_i16_sdwa s[6:7], v19, s4 src0_sel:BYTE_0 src1_sel:DWORD
	s_mov_b64 s[4:5], 0
	s_and_saveexec_b64 s[8:9], s[6:7]
	s_xor_b64 s[6:7], exec, s[8:9]
	s_cbranch_execnz .LBB1_3849
; %bb.1801:
	s_or_saveexec_b64 s[6:7], s[6:7]
	v_mov_b32_e32 v18, s10
	s_xor_b64 exec, exec, s[6:7]
	s_cbranch_execnz .LBB1_3852
.LBB1_1802:
	s_or_b64 exec, exec, s[6:7]
	s_and_saveexec_b64 s[6:7], s[4:5]
	s_cbranch_execz .LBB1_1804
.LBB1_1803:
	v_bfe_u32 v18, v12, 8, 3
	v_ffbh_u32_e32 v21, v18
	v_min_u32_e32 v21, 32, v21
	v_lshrrev_b16_e32 v20, 3, v19
	v_subrev_u32_e32 v22, 28, v21
	v_and_b32_e32 v20, 15, v20
	v_lshlrev_b32_e32 v19, v22, v19
	v_sub_u32_e32 v21, 29, v21
	v_and_b32_e32 v19, 7, v19
	v_cmp_eq_u16_e32 vcc, 0, v20
	v_cndmask_b32_e32 v18, v18, v19, vcc
	v_cndmask_b32_e32 v19, v20, v21, vcc
	v_lshlrev_b32_e32 v20, 16, v12
	v_mov_b32_e32 v21, 0x3b800000
	v_lshlrev_b32_e32 v18, 20, v18
	v_and_b32_e32 v20, 0x80000000, v20
	v_lshl_add_u32 v19, v19, 23, v21
	v_or3_b32 v18, v20, v19, v18
.LBB1_1804:
	s_or_b64 exec, exec, s[6:7]
	v_lshrrev_b32_e32 v19, 8, v8
	s_movk_i32 s4, 0x7f
	v_cmp_gt_i16_sdwa s[6:7], v19, s4 src0_sel:BYTE_0 src1_sel:DWORD
	s_mov_b64 s[4:5], 0
                                        ; implicit-def: $sgpr10
	s_and_saveexec_b64 s[8:9], s[6:7]
	s_xor_b64 s[6:7], exec, s[8:9]
	s_cbranch_execnz .LBB1_3853
; %bb.1805:
	s_or_saveexec_b64 s[6:7], s[6:7]
	v_mov_b32_e32 v20, s10
	s_xor_b64 exec, exec, s[6:7]
	s_cbranch_execnz .LBB1_3856
.LBB1_1806:
	s_or_b64 exec, exec, s[6:7]
	s_and_saveexec_b64 s[6:7], s[4:5]
	s_cbranch_execz .LBB1_1808
.LBB1_1807:
	v_bfe_u32 v20, v8, 8, 3
	v_ffbh_u32_e32 v22, v20
	v_min_u32_e32 v22, 32, v22
	v_lshrrev_b16_e32 v21, 3, v19
	v_subrev_u32_e32 v23, 28, v22
	v_and_b32_e32 v21, 15, v21
	v_lshlrev_b32_e32 v19, v23, v19
	v_sub_u32_e32 v22, 29, v22
	v_and_b32_e32 v19, 7, v19
	v_cmp_eq_u16_e32 vcc, 0, v21
	v_cndmask_b32_e32 v19, v20, v19, vcc
	v_cndmask_b32_e32 v20, v21, v22, vcc
	v_lshlrev_b32_e32 v21, 16, v8
	v_mov_b32_e32 v22, 0x3b800000
	v_lshlrev_b32_e32 v19, 20, v19
	v_and_b32_e32 v21, 0x80000000, v21
	v_lshl_add_u32 v20, v20, 23, v22
	v_or3_b32 v20, v21, v20, v19
.LBB1_1808:
	s_or_b64 exec, exec, s[6:7]
	s_nop 0
	v_mfma_f32_16x16x4f32 a[0:3], v18, v20, a[0:3]
	s_movk_i32 s4, 0xff
	v_and_b32_sdwa v19, v12, s4 dst_sel:DWORD dst_unused:UNUSED_PAD src0_sel:WORD_1 src1_sel:DWORD
	s_movk_i32 s4, 0x7f
	v_cmp_lt_i16_e32 vcc, s4, v19
	s_mov_b64 s[4:5], 0
                                        ; implicit-def: $sgpr10
	s_and_saveexec_b64 s[6:7], vcc
	s_xor_b64 s[6:7], exec, s[6:7]
	s_cbranch_execnz .LBB1_3857
; %bb.1809:
	s_or_saveexec_b64 s[6:7], s[6:7]
	v_mov_b32_e32 v18, s10
	s_xor_b64 exec, exec, s[6:7]
	s_cbranch_execnz .LBB1_3860
.LBB1_1810:
	s_or_b64 exec, exec, s[6:7]
	s_and_saveexec_b64 s[6:7], s[4:5]
	s_cbranch_execz .LBB1_1812
.LBB1_1811:
	v_bfe_u32 v18, v12, 16, 3
	v_ffbh_u32_e32 v21, v18
	v_min_u32_e32 v21, 32, v21
	v_lshrrev_b32_e32 v19, 19, v12
	v_subrev_u32_e32 v22, 28, v21
	v_and_b32_e32 v19, 15, v19
	v_lshlrev_b32_sdwa v22, v22, v12 dst_sel:DWORD dst_unused:UNUSED_PAD src0_sel:DWORD src1_sel:WORD_1
	v_bfe_u32 v20, v12, 19, 4
	v_sub_u32_e32 v21, 29, v21
	v_and_b32_e32 v22, 7, v22
	v_cmp_eq_u16_e32 vcc, 0, v19
	v_cndmask_b32_e32 v18, v18, v22, vcc
	v_cndmask_b32_e32 v19, v20, v21, vcc
	v_lshlrev_b32_e32 v20, 8, v12
	v_mov_b32_e32 v21, 0x3b800000
	v_lshlrev_b32_e32 v18, 20, v18
	v_and_b32_e32 v20, 0x80000000, v20
	v_lshl_add_u32 v19, v19, 23, v21
	v_or3_b32 v18, v20, v19, v18
.LBB1_1812:
	s_or_b64 exec, exec, s[6:7]
	s_movk_i32 s4, 0xff
	v_and_b32_sdwa v19, v8, s4 dst_sel:DWORD dst_unused:UNUSED_PAD src0_sel:WORD_1 src1_sel:DWORD
	s_movk_i32 s4, 0x7f
	v_cmp_lt_i16_e32 vcc, s4, v19
	s_mov_b64 s[4:5], 0
                                        ; implicit-def: $sgpr10
	s_and_saveexec_b64 s[6:7], vcc
	s_xor_b64 s[6:7], exec, s[6:7]
	s_cbranch_execnz .LBB1_3861
; %bb.1813:
	s_or_saveexec_b64 s[6:7], s[6:7]
	v_mov_b32_e32 v20, s10
	s_xor_b64 exec, exec, s[6:7]
	s_cbranch_execnz .LBB1_3864
.LBB1_1814:
	s_or_b64 exec, exec, s[6:7]
	s_and_saveexec_b64 s[6:7], s[4:5]
	s_cbranch_execz .LBB1_1816
.LBB1_1815:
	v_bfe_u32 v19, v8, 16, 3
	v_ffbh_u32_e32 v22, v19
	v_min_u32_e32 v22, 32, v22
	v_lshrrev_b32_e32 v20, 19, v8
	v_subrev_u32_e32 v23, 28, v22
	v_and_b32_e32 v20, 15, v20
	v_lshlrev_b32_sdwa v23, v23, v8 dst_sel:DWORD dst_unused:UNUSED_PAD src0_sel:DWORD src1_sel:WORD_1
	v_bfe_u32 v21, v8, 19, 4
	v_sub_u32_e32 v22, 29, v22
	v_and_b32_e32 v23, 7, v23
	v_cmp_eq_u16_e32 vcc, 0, v20
	v_cndmask_b32_e32 v19, v19, v23, vcc
	v_cndmask_b32_e32 v20, v21, v22, vcc
	v_lshlrev_b32_e32 v21, 8, v8
	v_mov_b32_e32 v22, 0x3b800000
	v_lshlrev_b32_e32 v19, 20, v19
	v_and_b32_e32 v21, 0x80000000, v21
	v_lshl_add_u32 v20, v20, 23, v22
	v_or3_b32 v20, v21, v20, v19
.LBB1_1816:
	s_or_b64 exec, exec, s[6:7]
	s_nop 0
	v_mfma_f32_16x16x4f32 a[0:3], v18, v20, a[0:3]
	s_movk_i32 s4, 0x7f
	v_cmp_gt_i16_sdwa s[6:7], v12, s4 src0_sel:BYTE_3 src1_sel:DWORD
	s_mov_b64 s[4:5], 0
                                        ; implicit-def: $sgpr10
	s_and_saveexec_b64 s[8:9], s[6:7]
	s_xor_b64 s[6:7], exec, s[8:9]
	s_cbranch_execnz .LBB1_3865
; %bb.1817:
	s_or_saveexec_b64 s[6:7], s[6:7]
	v_mov_b32_e32 v18, s10
	s_xor_b64 exec, exec, s[6:7]
	s_cbranch_execnz .LBB1_3868
.LBB1_1818:
	s_or_b64 exec, exec, s[6:7]
	s_and_saveexec_b64 s[6:7], s[4:5]
	s_cbranch_execz .LBB1_1820
.LBB1_1819:
	v_bfe_u32 v18, v12, 24, 3
	v_ffbh_u32_e32 v22, v18
	v_min_u32_e32 v22, 32, v22
	v_lshrrev_b32_e32 v20, 27, v12
	v_subrev_u32_e32 v23, 28, v22
	v_and_b32_e32 v19, 0x80000000, v12
	v_and_b32_e32 v20, 15, v20
	v_bfe_u32 v21, v12, 27, 4
	v_lshlrev_b32_sdwa v12, v23, v12 dst_sel:DWORD dst_unused:UNUSED_PAD src0_sel:DWORD src1_sel:BYTE_3
	v_sub_u32_e32 v22, 29, v22
	v_and_b32_e32 v12, 7, v12
	v_cmp_eq_u16_e32 vcc, 0, v20
	v_cndmask_b32_e32 v12, v18, v12, vcc
	v_cndmask_b32_e32 v18, v21, v22, vcc
	v_mov_b32_e32 v20, 0x3b800000
	v_lshlrev_b32_e32 v12, 20, v12
	v_lshl_add_u32 v18, v18, 23, v20
	v_or3_b32 v18, v19, v18, v12
.LBB1_1820:
	s_or_b64 exec, exec, s[6:7]
	s_movk_i32 s4, 0x7f
	v_cmp_gt_i16_sdwa s[6:7], v8, s4 src0_sel:BYTE_3 src1_sel:DWORD
	s_mov_b64 s[4:5], 0
                                        ; implicit-def: $sgpr10
	s_and_saveexec_b64 s[8:9], s[6:7]
	s_xor_b64 s[6:7], exec, s[8:9]
	s_cbranch_execnz .LBB1_3869
; %bb.1821:
	s_or_saveexec_b64 s[6:7], s[6:7]
	v_mov_b32_e32 v12, s10
	s_xor_b64 exec, exec, s[6:7]
	s_cbranch_execnz .LBB1_3872
.LBB1_1822:
	s_or_b64 exec, exec, s[6:7]
	s_and_saveexec_b64 s[6:7], s[4:5]
	s_cbranch_execz .LBB1_1824
.LBB1_1823:
	v_bfe_u32 v12, v8, 24, 3
	v_ffbh_u32_e32 v22, v12
	v_min_u32_e32 v22, 32, v22
	v_lshrrev_b32_e32 v20, 27, v8
	v_subrev_u32_e32 v23, 28, v22
	v_and_b32_e32 v19, 0x80000000, v8
	v_and_b32_e32 v20, 15, v20
	v_bfe_u32 v21, v8, 27, 4
	v_lshlrev_b32_sdwa v8, v23, v8 dst_sel:DWORD dst_unused:UNUSED_PAD src0_sel:DWORD src1_sel:BYTE_3
	v_sub_u32_e32 v22, 29, v22
	v_and_b32_e32 v8, 7, v8
	v_cmp_eq_u16_e32 vcc, 0, v20
	v_cndmask_b32_e32 v8, v12, v8, vcc
	v_cndmask_b32_e32 v12, v21, v22, vcc
	v_mov_b32_e32 v20, 0x3b800000
	v_lshlrev_b32_e32 v8, 20, v8
	v_lshl_add_u32 v12, v12, 23, v20
	v_or3_b32 v12, v19, v12, v8
.LBB1_1824:
	s_or_b64 exec, exec, s[6:7]
	s_nop 0
	v_mfma_f32_16x16x4f32 a[0:3], v18, v12, a[0:3]
	s_movk_i32 s4, 0x7f
	v_cmp_gt_i16_sdwa s[6:7], v13, s4 src0_sel:BYTE_0 src1_sel:DWORD
	s_mov_b64 s[4:5], 0
                                        ; implicit-def: $sgpr10
	s_and_saveexec_b64 s[8:9], s[6:7]
	s_xor_b64 s[6:7], exec, s[8:9]
	s_cbranch_execnz .LBB1_3873
; %bb.1825:
	s_or_saveexec_b64 s[6:7], s[6:7]
	v_mov_b32_e32 v8, s10
	s_xor_b64 exec, exec, s[6:7]
	s_cbranch_execnz .LBB1_3876
.LBB1_1826:
	s_or_b64 exec, exec, s[6:7]
	s_and_saveexec_b64 s[6:7], s[4:5]
	s_cbranch_execz .LBB1_1828
.LBB1_1827:
	v_and_b32_e32 v8, 7, v13
	v_ffbh_u32_e32 v18, v8
	v_min_u32_e32 v18, 32, v18
	v_lshrrev_b16_e32 v12, 3, v13
	v_subrev_u32_e32 v19, 28, v18
	v_and_b32_e32 v12, 15, v12
	v_lshlrev_b32_e32 v19, v19, v13
	v_sub_u32_e32 v18, 29, v18
	v_and_b32_e32 v19, 7, v19
	v_cmp_eq_u16_e32 vcc, 0, v12
	v_cndmask_b32_e32 v8, v8, v19, vcc
	v_cndmask_b32_e32 v12, v12, v18, vcc
	v_lshlrev_b32_e32 v18, 24, v13
	v_mov_b32_e32 v19, 0x3b800000
	v_lshlrev_b32_e32 v8, 20, v8
	v_and_b32_e32 v18, 0x80000000, v18
	v_lshl_add_u32 v12, v12, 23, v19
	v_or3_b32 v8, v18, v12, v8
.LBB1_1828:
	s_or_b64 exec, exec, s[6:7]
	s_movk_i32 s4, 0x7f
	v_cmp_gt_i16_sdwa s[6:7], v9, s4 src0_sel:BYTE_0 src1_sel:DWORD
	s_mov_b64 s[4:5], 0
                                        ; implicit-def: $sgpr10
	s_and_saveexec_b64 s[8:9], s[6:7]
	s_xor_b64 s[6:7], exec, s[8:9]
	s_cbranch_execnz .LBB1_3877
; %bb.1829:
	s_or_saveexec_b64 s[6:7], s[6:7]
	v_mov_b32_e32 v12, s10
	s_xor_b64 exec, exec, s[6:7]
	s_cbranch_execnz .LBB1_3880
.LBB1_1830:
	s_or_b64 exec, exec, s[6:7]
	s_and_saveexec_b64 s[6:7], s[4:5]
	s_cbranch_execz .LBB1_1832
.LBB1_1831:
	v_and_b32_e32 v12, 7, v9
	v_ffbh_u32_e32 v19, v12
	v_min_u32_e32 v19, 32, v19
	v_lshrrev_b16_e32 v18, 3, v9
	v_subrev_u32_e32 v20, 28, v19
	v_and_b32_e32 v18, 15, v18
	v_lshlrev_b32_e32 v20, v20, v9
	v_sub_u32_e32 v19, 29, v19
	v_and_b32_e32 v20, 7, v20
	v_cmp_eq_u16_e32 vcc, 0, v18
	v_cndmask_b32_e32 v12, v12, v20, vcc
	v_cndmask_b32_e32 v18, v18, v19, vcc
	v_lshlrev_b32_e32 v19, 24, v9
	v_mov_b32_e32 v20, 0x3b800000
	v_lshlrev_b32_e32 v12, 20, v12
	v_and_b32_e32 v19, 0x80000000, v19
	v_lshl_add_u32 v18, v18, 23, v20
	v_or3_b32 v12, v19, v18, v12
.LBB1_1832:
	s_or_b64 exec, exec, s[6:7]
	s_nop 0
	v_mfma_f32_16x16x4f32 a[0:3], v8, v12, a[0:3]
	v_lshrrev_b32_e32 v12, 8, v13
	s_movk_i32 s4, 0x7f
	v_cmp_gt_i16_sdwa s[6:7], v12, s4 src0_sel:BYTE_0 src1_sel:DWORD
	s_mov_b64 s[4:5], 0
                                        ; implicit-def: $sgpr10
	s_and_saveexec_b64 s[8:9], s[6:7]
	s_xor_b64 s[6:7], exec, s[8:9]
	s_cbranch_execnz .LBB1_3881
; %bb.1833:
	s_or_saveexec_b64 s[6:7], s[6:7]
	v_mov_b32_e32 v8, s10
	s_xor_b64 exec, exec, s[6:7]
	s_cbranch_execnz .LBB1_3884
.LBB1_1834:
	s_or_b64 exec, exec, s[6:7]
	s_and_saveexec_b64 s[6:7], s[4:5]
	s_cbranch_execz .LBB1_1836
.LBB1_1835:
	v_bfe_u32 v8, v13, 8, 3
	v_ffbh_u32_e32 v19, v8
	v_min_u32_e32 v19, 32, v19
	v_lshrrev_b16_e32 v18, 3, v12
	v_subrev_u32_e32 v20, 28, v19
	v_and_b32_e32 v18, 15, v18
	v_lshlrev_b32_e32 v12, v20, v12
	v_sub_u32_e32 v19, 29, v19
	v_and_b32_e32 v12, 7, v12
	v_cmp_eq_u16_e32 vcc, 0, v18
	v_cndmask_b32_e32 v8, v8, v12, vcc
	v_cndmask_b32_e32 v12, v18, v19, vcc
	v_lshlrev_b32_e32 v18, 16, v13
	v_mov_b32_e32 v19, 0x3b800000
	v_lshlrev_b32_e32 v8, 20, v8
	v_and_b32_e32 v18, 0x80000000, v18
	v_lshl_add_u32 v12, v12, 23, v19
	v_or3_b32 v8, v18, v12, v8
.LBB1_1836:
	s_or_b64 exec, exec, s[6:7]
	v_lshrrev_b32_e32 v12, 8, v9
	s_movk_i32 s4, 0x7f
	v_cmp_gt_i16_sdwa s[6:7], v12, s4 src0_sel:BYTE_0 src1_sel:DWORD
	s_mov_b64 s[4:5], 0
                                        ; implicit-def: $sgpr10
	s_and_saveexec_b64 s[8:9], s[6:7]
	s_xor_b64 s[6:7], exec, s[8:9]
	s_cbranch_execnz .LBB1_3885
; %bb.1837:
	s_or_saveexec_b64 s[6:7], s[6:7]
	v_mov_b32_e32 v18, s10
	s_xor_b64 exec, exec, s[6:7]
	s_cbranch_execnz .LBB1_3888
.LBB1_1838:
	s_or_b64 exec, exec, s[6:7]
	s_and_saveexec_b64 s[6:7], s[4:5]
	s_cbranch_execz .LBB1_1840
.LBB1_1839:
	v_bfe_u32 v18, v9, 8, 3
	v_ffbh_u32_e32 v20, v18
	v_min_u32_e32 v20, 32, v20
	v_lshrrev_b16_e32 v19, 3, v12
	v_subrev_u32_e32 v21, 28, v20
	v_and_b32_e32 v19, 15, v19
	v_lshlrev_b32_e32 v12, v21, v12
	v_sub_u32_e32 v20, 29, v20
	v_and_b32_e32 v12, 7, v12
	v_cmp_eq_u16_e32 vcc, 0, v19
	v_cndmask_b32_e32 v12, v18, v12, vcc
	v_cndmask_b32_e32 v18, v19, v20, vcc
	v_lshlrev_b32_e32 v19, 16, v9
	v_mov_b32_e32 v20, 0x3b800000
	v_lshlrev_b32_e32 v12, 20, v12
	v_and_b32_e32 v19, 0x80000000, v19
	v_lshl_add_u32 v18, v18, 23, v20
	v_or3_b32 v18, v19, v18, v12
.LBB1_1840:
	s_or_b64 exec, exec, s[6:7]
	s_nop 0
	v_mfma_f32_16x16x4f32 a[0:3], v8, v18, a[0:3]
	s_movk_i32 s4, 0xff
	v_and_b32_sdwa v12, v13, s4 dst_sel:DWORD dst_unused:UNUSED_PAD src0_sel:WORD_1 src1_sel:DWORD
	s_movk_i32 s4, 0x7f
	v_cmp_lt_i16_e32 vcc, s4, v12
	s_mov_b64 s[4:5], 0
                                        ; implicit-def: $sgpr10
	s_and_saveexec_b64 s[6:7], vcc
	s_xor_b64 s[6:7], exec, s[6:7]
	s_cbranch_execnz .LBB1_3889
; %bb.1841:
	s_or_saveexec_b64 s[6:7], s[6:7]
	v_mov_b32_e32 v8, s10
	s_xor_b64 exec, exec, s[6:7]
	s_cbranch_execnz .LBB1_3892
.LBB1_1842:
	s_or_b64 exec, exec, s[6:7]
	s_and_saveexec_b64 s[6:7], s[4:5]
	s_cbranch_execz .LBB1_1844
.LBB1_1843:
	v_bfe_u32 v8, v13, 16, 3
	v_ffbh_u32_e32 v19, v8
	v_min_u32_e32 v19, 32, v19
	v_lshrrev_b32_e32 v12, 19, v13
	v_subrev_u32_e32 v20, 28, v19
	v_and_b32_e32 v12, 15, v12
	v_lshlrev_b32_sdwa v20, v20, v13 dst_sel:DWORD dst_unused:UNUSED_PAD src0_sel:DWORD src1_sel:WORD_1
	v_bfe_u32 v18, v13, 19, 4
	v_sub_u32_e32 v19, 29, v19
	v_and_b32_e32 v20, 7, v20
	v_cmp_eq_u16_e32 vcc, 0, v12
	v_cndmask_b32_e32 v8, v8, v20, vcc
	v_cndmask_b32_e32 v12, v18, v19, vcc
	v_lshlrev_b32_e32 v18, 8, v13
	v_mov_b32_e32 v19, 0x3b800000
	v_lshlrev_b32_e32 v8, 20, v8
	v_and_b32_e32 v18, 0x80000000, v18
	v_lshl_add_u32 v12, v12, 23, v19
	v_or3_b32 v8, v18, v12, v8
.LBB1_1844:
	s_or_b64 exec, exec, s[6:7]
	s_movk_i32 s4, 0xff
	v_and_b32_sdwa v12, v9, s4 dst_sel:DWORD dst_unused:UNUSED_PAD src0_sel:WORD_1 src1_sel:DWORD
	s_movk_i32 s4, 0x7f
	v_cmp_lt_i16_e32 vcc, s4, v12
	s_mov_b64 s[4:5], 0
                                        ; implicit-def: $sgpr10
	s_and_saveexec_b64 s[6:7], vcc
	s_xor_b64 s[6:7], exec, s[6:7]
	s_cbranch_execnz .LBB1_3893
; %bb.1845:
	s_or_saveexec_b64 s[6:7], s[6:7]
	v_mov_b32_e32 v18, s10
	s_xor_b64 exec, exec, s[6:7]
	s_cbranch_execnz .LBB1_3896
.LBB1_1846:
	s_or_b64 exec, exec, s[6:7]
	s_and_saveexec_b64 s[6:7], s[4:5]
	s_cbranch_execz .LBB1_1848
.LBB1_1847:
	v_bfe_u32 v12, v9, 16, 3
	v_ffbh_u32_e32 v20, v12
	v_min_u32_e32 v20, 32, v20
	v_lshrrev_b32_e32 v18, 19, v9
	v_subrev_u32_e32 v21, 28, v20
	v_and_b32_e32 v18, 15, v18
	v_lshlrev_b32_sdwa v21, v21, v9 dst_sel:DWORD dst_unused:UNUSED_PAD src0_sel:DWORD src1_sel:WORD_1
	v_bfe_u32 v19, v9, 19, 4
	v_sub_u32_e32 v20, 29, v20
	v_and_b32_e32 v21, 7, v21
	v_cmp_eq_u16_e32 vcc, 0, v18
	v_cndmask_b32_e32 v12, v12, v21, vcc
	v_cndmask_b32_e32 v18, v19, v20, vcc
	v_lshlrev_b32_e32 v19, 8, v9
	v_mov_b32_e32 v20, 0x3b800000
	v_lshlrev_b32_e32 v12, 20, v12
	v_and_b32_e32 v19, 0x80000000, v19
	v_lshl_add_u32 v18, v18, 23, v20
	v_or3_b32 v18, v19, v18, v12
.LBB1_1848:
	s_or_b64 exec, exec, s[6:7]
	s_nop 0
	v_mfma_f32_16x16x4f32 a[0:3], v8, v18, a[0:3]
	s_movk_i32 s4, 0x7f
	v_cmp_gt_i16_sdwa s[6:7], v13, s4 src0_sel:BYTE_3 src1_sel:DWORD
	s_mov_b64 s[4:5], 0
                                        ; implicit-def: $sgpr10
	s_and_saveexec_b64 s[8:9], s[6:7]
	s_xor_b64 s[6:7], exec, s[8:9]
	s_cbranch_execnz .LBB1_3897
; %bb.1849:
	s_or_saveexec_b64 s[6:7], s[6:7]
	v_mov_b32_e32 v8, s10
	s_xor_b64 exec, exec, s[6:7]
	s_cbranch_execnz .LBB1_3900
.LBB1_1850:
	s_or_b64 exec, exec, s[6:7]
	s_and_saveexec_b64 s[6:7], s[4:5]
	s_cbranch_execz .LBB1_1852
.LBB1_1851:
	v_bfe_u32 v8, v13, 24, 3
	v_ffbh_u32_e32 v20, v8
	v_min_u32_e32 v20, 32, v20
	v_lshrrev_b32_e32 v18, 27, v13
	v_subrev_u32_e32 v21, 28, v20
	v_and_b32_e32 v12, 0x80000000, v13
	v_and_b32_e32 v18, 15, v18
	v_bfe_u32 v19, v13, 27, 4
	v_lshlrev_b32_sdwa v13, v21, v13 dst_sel:DWORD dst_unused:UNUSED_PAD src0_sel:DWORD src1_sel:BYTE_3
	v_sub_u32_e32 v20, 29, v20
	v_and_b32_e32 v13, 7, v13
	v_cmp_eq_u16_e32 vcc, 0, v18
	v_cndmask_b32_e32 v8, v8, v13, vcc
	v_cndmask_b32_e32 v13, v19, v20, vcc
	v_mov_b32_e32 v18, 0x3b800000
	v_lshlrev_b32_e32 v8, 20, v8
	v_lshl_add_u32 v13, v13, 23, v18
	v_or3_b32 v8, v12, v13, v8
.LBB1_1852:
	s_or_b64 exec, exec, s[6:7]
	s_movk_i32 s4, 0x7f
	v_cmp_gt_i16_sdwa s[6:7], v9, s4 src0_sel:BYTE_3 src1_sel:DWORD
	s_mov_b64 s[4:5], 0
                                        ; implicit-def: $sgpr10
	s_and_saveexec_b64 s[8:9], s[6:7]
	s_xor_b64 s[6:7], exec, s[8:9]
	s_cbranch_execnz .LBB1_3901
; %bb.1853:
	s_or_saveexec_b64 s[6:7], s[6:7]
	v_mov_b32_e32 v12, s10
	s_xor_b64 exec, exec, s[6:7]
	s_cbranch_execnz .LBB1_3904
.LBB1_1854:
	s_or_b64 exec, exec, s[6:7]
	s_and_saveexec_b64 s[6:7], s[4:5]
	s_cbranch_execz .LBB1_1856
.LBB1_1855:
	v_bfe_u32 v12, v9, 24, 3
	v_ffbh_u32_e32 v20, v12
	v_min_u32_e32 v20, 32, v20
	v_lshrrev_b32_e32 v18, 27, v9
	v_subrev_u32_e32 v21, 28, v20
	v_and_b32_e32 v13, 0x80000000, v9
	v_and_b32_e32 v18, 15, v18
	v_bfe_u32 v19, v9, 27, 4
	v_lshlrev_b32_sdwa v9, v21, v9 dst_sel:DWORD dst_unused:UNUSED_PAD src0_sel:DWORD src1_sel:BYTE_3
	v_sub_u32_e32 v20, 29, v20
	v_and_b32_e32 v9, 7, v9
	v_cmp_eq_u16_e32 vcc, 0, v18
	v_cndmask_b32_e32 v9, v12, v9, vcc
	v_cndmask_b32_e32 v12, v19, v20, vcc
	v_mov_b32_e32 v18, 0x3b800000
	v_lshlrev_b32_e32 v9, 20, v9
	v_lshl_add_u32 v12, v12, 23, v18
	v_or3_b32 v12, v13, v12, v9
.LBB1_1856:
	s_or_b64 exec, exec, s[6:7]
	s_nop 0
	v_mfma_f32_16x16x4f32 a[0:3], v8, v12, a[0:3]
	s_movk_i32 s4, 0x7f
	v_cmp_gt_i16_sdwa s[6:7], v14, s4 src0_sel:BYTE_0 src1_sel:DWORD
	s_mov_b64 s[4:5], 0
                                        ; implicit-def: $sgpr10
	s_and_saveexec_b64 s[8:9], s[6:7]
	s_xor_b64 s[6:7], exec, s[8:9]
	s_cbranch_execnz .LBB1_3905
; %bb.1857:
	s_or_saveexec_b64 s[6:7], s[6:7]
	v_mov_b32_e32 v8, s10
	s_xor_b64 exec, exec, s[6:7]
	s_cbranch_execnz .LBB1_3908
.LBB1_1858:
	s_or_b64 exec, exec, s[6:7]
	s_and_saveexec_b64 s[6:7], s[4:5]
	s_cbranch_execz .LBB1_1860
.LBB1_1859:
	v_and_b32_e32 v8, 7, v14
	v_ffbh_u32_e32 v12, v8
	v_min_u32_e32 v12, 32, v12
	v_lshrrev_b16_e32 v9, 3, v14
	v_subrev_u32_e32 v13, 28, v12
	v_and_b32_e32 v9, 15, v9
	v_lshlrev_b32_e32 v13, v13, v14
	v_sub_u32_e32 v12, 29, v12
	v_and_b32_e32 v13, 7, v13
	v_cmp_eq_u16_e32 vcc, 0, v9
	v_cndmask_b32_e32 v8, v8, v13, vcc
	v_cndmask_b32_e32 v9, v9, v12, vcc
	v_lshlrev_b32_e32 v12, 24, v14
	v_mov_b32_e32 v13, 0x3b800000
	v_lshlrev_b32_e32 v8, 20, v8
	v_and_b32_e32 v12, 0x80000000, v12
	v_lshl_add_u32 v9, v9, 23, v13
	v_or3_b32 v8, v12, v9, v8
.LBB1_1860:
	s_or_b64 exec, exec, s[6:7]
	s_movk_i32 s4, 0x7f
	v_cmp_gt_i16_sdwa s[6:7], v10, s4 src0_sel:BYTE_0 src1_sel:DWORD
	s_mov_b64 s[4:5], 0
                                        ; implicit-def: $sgpr10
	s_and_saveexec_b64 s[8:9], s[6:7]
	s_xor_b64 s[6:7], exec, s[8:9]
	s_cbranch_execnz .LBB1_3909
; %bb.1861:
	s_or_saveexec_b64 s[6:7], s[6:7]
	v_mov_b32_e32 v9, s10
	s_xor_b64 exec, exec, s[6:7]
	s_cbranch_execnz .LBB1_3912
.LBB1_1862:
	s_or_b64 exec, exec, s[6:7]
	s_and_saveexec_b64 s[6:7], s[4:5]
	s_cbranch_execz .LBB1_1864
.LBB1_1863:
	v_and_b32_e32 v9, 7, v10
	v_ffbh_u32_e32 v13, v9
	v_min_u32_e32 v13, 32, v13
	v_lshrrev_b16_e32 v12, 3, v10
	v_subrev_u32_e32 v18, 28, v13
	v_and_b32_e32 v12, 15, v12
	v_lshlrev_b32_e32 v18, v18, v10
	v_sub_u32_e32 v13, 29, v13
	v_and_b32_e32 v18, 7, v18
	v_cmp_eq_u16_e32 vcc, 0, v12
	v_cndmask_b32_e32 v9, v9, v18, vcc
	v_cndmask_b32_e32 v12, v12, v13, vcc
	v_lshlrev_b32_e32 v13, 24, v10
	v_mov_b32_e32 v18, 0x3b800000
	v_lshlrev_b32_e32 v9, 20, v9
	v_and_b32_e32 v13, 0x80000000, v13
	v_lshl_add_u32 v12, v12, 23, v18
	v_or3_b32 v9, v13, v12, v9
.LBB1_1864:
	s_or_b64 exec, exec, s[6:7]
	s_nop 0
	v_mfma_f32_16x16x4f32 a[0:3], v8, v9, a[0:3]
	v_lshrrev_b32_e32 v9, 8, v14
	s_movk_i32 s4, 0x7f
	v_cmp_gt_i16_sdwa s[6:7], v9, s4 src0_sel:BYTE_0 src1_sel:DWORD
	s_mov_b64 s[4:5], 0
                                        ; implicit-def: $sgpr10
	s_and_saveexec_b64 s[8:9], s[6:7]
	s_xor_b64 s[6:7], exec, s[8:9]
	s_cbranch_execnz .LBB1_3913
; %bb.1865:
	s_or_saveexec_b64 s[6:7], s[6:7]
	v_mov_b32_e32 v8, s10
	s_xor_b64 exec, exec, s[6:7]
	s_cbranch_execnz .LBB1_3916
.LBB1_1866:
	s_or_b64 exec, exec, s[6:7]
	s_and_saveexec_b64 s[6:7], s[4:5]
	s_cbranch_execz .LBB1_1868
.LBB1_1867:
	v_bfe_u32 v8, v14, 8, 3
	v_ffbh_u32_e32 v13, v8
	v_min_u32_e32 v13, 32, v13
	v_lshrrev_b16_e32 v12, 3, v9
	v_subrev_u32_e32 v18, 28, v13
	v_and_b32_e32 v12, 15, v12
	v_lshlrev_b32_e32 v9, v18, v9
	v_sub_u32_e32 v13, 29, v13
	v_and_b32_e32 v9, 7, v9
	v_cmp_eq_u16_e32 vcc, 0, v12
	v_cndmask_b32_e32 v8, v8, v9, vcc
	v_cndmask_b32_e32 v9, v12, v13, vcc
	v_lshlrev_b32_e32 v12, 16, v14
	v_mov_b32_e32 v13, 0x3b800000
	v_lshlrev_b32_e32 v8, 20, v8
	v_and_b32_e32 v12, 0x80000000, v12
	v_lshl_add_u32 v9, v9, 23, v13
	v_or3_b32 v8, v12, v9, v8
.LBB1_1868:
	s_or_b64 exec, exec, s[6:7]
	v_lshrrev_b32_e32 v9, 8, v10
	s_movk_i32 s4, 0x7f
	v_cmp_gt_i16_sdwa s[6:7], v9, s4 src0_sel:BYTE_0 src1_sel:DWORD
	s_mov_b64 s[4:5], 0
                                        ; implicit-def: $sgpr10
	s_and_saveexec_b64 s[8:9], s[6:7]
	s_xor_b64 s[6:7], exec, s[8:9]
	s_cbranch_execnz .LBB1_3917
; %bb.1869:
	s_or_saveexec_b64 s[6:7], s[6:7]
	v_mov_b32_e32 v12, s10
	s_xor_b64 exec, exec, s[6:7]
	s_cbranch_execnz .LBB1_3920
.LBB1_1870:
	s_or_b64 exec, exec, s[6:7]
	s_and_saveexec_b64 s[6:7], s[4:5]
	s_cbranch_execz .LBB1_1872
.LBB1_1871:
	v_bfe_u32 v12, v10, 8, 3
	v_ffbh_u32_e32 v18, v12
	v_min_u32_e32 v18, 32, v18
	v_lshrrev_b16_e32 v13, 3, v9
	v_subrev_u32_e32 v19, 28, v18
	v_and_b32_e32 v13, 15, v13
	v_lshlrev_b32_e32 v9, v19, v9
	v_sub_u32_e32 v18, 29, v18
	v_and_b32_e32 v9, 7, v9
	v_cmp_eq_u16_e32 vcc, 0, v13
	v_cndmask_b32_e32 v9, v12, v9, vcc
	v_cndmask_b32_e32 v12, v13, v18, vcc
	v_lshlrev_b32_e32 v13, 16, v10
	v_mov_b32_e32 v18, 0x3b800000
	v_lshlrev_b32_e32 v9, 20, v9
	v_and_b32_e32 v13, 0x80000000, v13
	v_lshl_add_u32 v12, v12, 23, v18
	v_or3_b32 v12, v13, v12, v9
.LBB1_1872:
	s_or_b64 exec, exec, s[6:7]
	s_nop 0
	v_mfma_f32_16x16x4f32 a[0:3], v8, v12, a[0:3]
	s_movk_i32 s4, 0xff
	v_and_b32_sdwa v9, v14, s4 dst_sel:DWORD dst_unused:UNUSED_PAD src0_sel:WORD_1 src1_sel:DWORD
	s_movk_i32 s4, 0x7f
	v_cmp_lt_i16_e32 vcc, s4, v9
	s_mov_b64 s[4:5], 0
                                        ; implicit-def: $sgpr10
	s_and_saveexec_b64 s[6:7], vcc
	s_xor_b64 s[6:7], exec, s[6:7]
	s_cbranch_execnz .LBB1_3921
; %bb.1873:
	s_or_saveexec_b64 s[6:7], s[6:7]
	v_mov_b32_e32 v8, s10
	s_xor_b64 exec, exec, s[6:7]
	s_cbranch_execnz .LBB1_3924
.LBB1_1874:
	s_or_b64 exec, exec, s[6:7]
	s_and_saveexec_b64 s[6:7], s[4:5]
	s_cbranch_execz .LBB1_1876
.LBB1_1875:
	v_bfe_u32 v8, v14, 16, 3
	v_ffbh_u32_e32 v13, v8
	v_min_u32_e32 v13, 32, v13
	v_lshrrev_b32_e32 v9, 19, v14
	v_subrev_u32_e32 v18, 28, v13
	v_and_b32_e32 v9, 15, v9
	v_lshlrev_b32_sdwa v18, v18, v14 dst_sel:DWORD dst_unused:UNUSED_PAD src0_sel:DWORD src1_sel:WORD_1
	v_bfe_u32 v12, v14, 19, 4
	v_sub_u32_e32 v13, 29, v13
	v_and_b32_e32 v18, 7, v18
	v_cmp_eq_u16_e32 vcc, 0, v9
	v_cndmask_b32_e32 v8, v8, v18, vcc
	v_cndmask_b32_e32 v9, v12, v13, vcc
	v_lshlrev_b32_e32 v12, 8, v14
	v_mov_b32_e32 v13, 0x3b800000
	v_lshlrev_b32_e32 v8, 20, v8
	v_and_b32_e32 v12, 0x80000000, v12
	v_lshl_add_u32 v9, v9, 23, v13
	v_or3_b32 v8, v12, v9, v8
.LBB1_1876:
	s_or_b64 exec, exec, s[6:7]
	s_movk_i32 s4, 0xff
	v_and_b32_sdwa v9, v10, s4 dst_sel:DWORD dst_unused:UNUSED_PAD src0_sel:WORD_1 src1_sel:DWORD
	s_movk_i32 s4, 0x7f
	v_cmp_lt_i16_e32 vcc, s4, v9
	s_mov_b64 s[4:5], 0
                                        ; implicit-def: $sgpr10
	s_and_saveexec_b64 s[6:7], vcc
	s_xor_b64 s[6:7], exec, s[6:7]
	s_cbranch_execnz .LBB1_3925
; %bb.1877:
	s_or_saveexec_b64 s[6:7], s[6:7]
	v_mov_b32_e32 v12, s10
	s_xor_b64 exec, exec, s[6:7]
	s_cbranch_execnz .LBB1_3928
.LBB1_1878:
	s_or_b64 exec, exec, s[6:7]
	s_and_saveexec_b64 s[6:7], s[4:5]
	s_cbranch_execz .LBB1_1880
.LBB1_1879:
	v_bfe_u32 v9, v10, 16, 3
	v_ffbh_u32_e32 v18, v9
	v_min_u32_e32 v18, 32, v18
	v_lshrrev_b32_e32 v12, 19, v10
	v_subrev_u32_e32 v19, 28, v18
	v_and_b32_e32 v12, 15, v12
	v_lshlrev_b32_sdwa v19, v19, v10 dst_sel:DWORD dst_unused:UNUSED_PAD src0_sel:DWORD src1_sel:WORD_1
	v_bfe_u32 v13, v10, 19, 4
	v_sub_u32_e32 v18, 29, v18
	v_and_b32_e32 v19, 7, v19
	v_cmp_eq_u16_e32 vcc, 0, v12
	v_cndmask_b32_e32 v9, v9, v19, vcc
	v_cndmask_b32_e32 v12, v13, v18, vcc
	v_lshlrev_b32_e32 v13, 8, v10
	v_mov_b32_e32 v18, 0x3b800000
	v_lshlrev_b32_e32 v9, 20, v9
	v_and_b32_e32 v13, 0x80000000, v13
	v_lshl_add_u32 v12, v12, 23, v18
	v_or3_b32 v12, v13, v12, v9
.LBB1_1880:
	s_or_b64 exec, exec, s[6:7]
	s_nop 0
	v_mfma_f32_16x16x4f32 a[0:3], v8, v12, a[0:3]
	s_movk_i32 s4, 0x7f
	v_cmp_gt_i16_sdwa s[6:7], v14, s4 src0_sel:BYTE_3 src1_sel:DWORD
	s_mov_b64 s[4:5], 0
                                        ; implicit-def: $sgpr10
	s_and_saveexec_b64 s[8:9], s[6:7]
	s_xor_b64 s[6:7], exec, s[8:9]
	s_cbranch_execnz .LBB1_3929
; %bb.1881:
	s_or_saveexec_b64 s[6:7], s[6:7]
	v_mov_b32_e32 v8, s10
	s_xor_b64 exec, exec, s[6:7]
	s_cbranch_execnz .LBB1_3932
.LBB1_1882:
	s_or_b64 exec, exec, s[6:7]
	s_and_saveexec_b64 s[6:7], s[4:5]
	s_cbranch_execz .LBB1_1884
.LBB1_1883:
	v_bfe_u32 v8, v14, 24, 3
	v_ffbh_u32_e32 v18, v8
	v_min_u32_e32 v18, 32, v18
	v_lshrrev_b32_e32 v12, 27, v14
	v_subrev_u32_e32 v19, 28, v18
	v_and_b32_e32 v9, 0x80000000, v14
	v_and_b32_e32 v12, 15, v12
	v_bfe_u32 v13, v14, 27, 4
	v_lshlrev_b32_sdwa v14, v19, v14 dst_sel:DWORD dst_unused:UNUSED_PAD src0_sel:DWORD src1_sel:BYTE_3
	v_sub_u32_e32 v18, 29, v18
	v_and_b32_e32 v14, 7, v14
	v_cmp_eq_u16_e32 vcc, 0, v12
	v_cndmask_b32_e32 v8, v8, v14, vcc
	v_cndmask_b32_e32 v12, v13, v18, vcc
	v_mov_b32_e32 v13, 0x3b800000
	v_lshlrev_b32_e32 v8, 20, v8
	v_lshl_add_u32 v12, v12, 23, v13
	v_or3_b32 v8, v9, v12, v8
.LBB1_1884:
	s_or_b64 exec, exec, s[6:7]
	s_movk_i32 s4, 0x7f
	v_cmp_gt_i16_sdwa s[6:7], v10, s4 src0_sel:BYTE_3 src1_sel:DWORD
	s_mov_b64 s[4:5], 0
                                        ; implicit-def: $sgpr10
	s_and_saveexec_b64 s[8:9], s[6:7]
	s_xor_b64 s[6:7], exec, s[8:9]
	s_cbranch_execnz .LBB1_3933
; %bb.1885:
	s_or_saveexec_b64 s[6:7], s[6:7]
	v_mov_b32_e32 v9, s10
	s_xor_b64 exec, exec, s[6:7]
	s_cbranch_execnz .LBB1_3936
.LBB1_1886:
	s_or_b64 exec, exec, s[6:7]
	s_and_saveexec_b64 s[6:7], s[4:5]
	s_cbranch_execz .LBB1_1888
.LBB1_1887:
	v_bfe_u32 v9, v10, 24, 3
	v_ffbh_u32_e32 v18, v9
	v_min_u32_e32 v18, 32, v18
	v_lshrrev_b32_e32 v13, 27, v10
	v_subrev_u32_e32 v19, 28, v18
	v_and_b32_e32 v12, 0x80000000, v10
	v_and_b32_e32 v13, 15, v13
	v_bfe_u32 v14, v10, 27, 4
	v_lshlrev_b32_sdwa v10, v19, v10 dst_sel:DWORD dst_unused:UNUSED_PAD src0_sel:DWORD src1_sel:BYTE_3
	v_sub_u32_e32 v18, 29, v18
	v_and_b32_e32 v10, 7, v10
	v_cmp_eq_u16_e32 vcc, 0, v13
	v_cndmask_b32_e32 v9, v9, v10, vcc
	v_cndmask_b32_e32 v10, v14, v18, vcc
	v_mov_b32_e32 v13, 0x3b800000
	v_lshlrev_b32_e32 v9, 20, v9
	v_lshl_add_u32 v10, v10, 23, v13
	v_or3_b32 v9, v12, v10, v9
.LBB1_1888:
	s_or_b64 exec, exec, s[6:7]
	s_nop 0
	v_mfma_f32_16x16x4f32 a[0:3], v8, v9, a[0:3]
	s_movk_i32 s4, 0x7f
	v_cmp_gt_i16_sdwa s[6:7], v15, s4 src0_sel:BYTE_0 src1_sel:DWORD
	s_mov_b64 s[4:5], 0
                                        ; implicit-def: $sgpr10
	s_and_saveexec_b64 s[8:9], s[6:7]
	s_xor_b64 s[6:7], exec, s[8:9]
	s_cbranch_execnz .LBB1_3937
; %bb.1889:
	s_or_saveexec_b64 s[6:7], s[6:7]
	v_mov_b32_e32 v8, s10
	s_xor_b64 exec, exec, s[6:7]
	s_cbranch_execnz .LBB1_3940
.LBB1_1890:
	s_or_b64 exec, exec, s[6:7]
	s_and_saveexec_b64 s[6:7], s[4:5]
	s_cbranch_execz .LBB1_1892
.LBB1_1891:
	v_and_b32_e32 v8, 7, v15
	v_ffbh_u32_e32 v10, v8
	v_min_u32_e32 v10, 32, v10
	v_lshrrev_b16_e32 v9, 3, v15
	v_subrev_u32_e32 v12, 28, v10
	v_and_b32_e32 v9, 15, v9
	v_lshlrev_b32_e32 v12, v12, v15
	v_sub_u32_e32 v10, 29, v10
	v_and_b32_e32 v12, 7, v12
	v_cmp_eq_u16_e32 vcc, 0, v9
	v_cndmask_b32_e32 v8, v8, v12, vcc
	v_cndmask_b32_e32 v9, v9, v10, vcc
	v_lshlrev_b32_e32 v10, 24, v15
	v_mov_b32_e32 v12, 0x3b800000
	v_lshlrev_b32_e32 v8, 20, v8
	v_and_b32_e32 v10, 0x80000000, v10
	v_lshl_add_u32 v9, v9, 23, v12
	v_or3_b32 v8, v10, v9, v8
.LBB1_1892:
	s_or_b64 exec, exec, s[6:7]
	s_movk_i32 s4, 0x7f
	v_cmp_gt_i16_sdwa s[6:7], v11, s4 src0_sel:BYTE_0 src1_sel:DWORD
	s_mov_b64 s[4:5], 0
                                        ; implicit-def: $sgpr10
	s_and_saveexec_b64 s[8:9], s[6:7]
	s_xor_b64 s[6:7], exec, s[8:9]
	s_cbranch_execnz .LBB1_3941
; %bb.1893:
	s_or_saveexec_b64 s[6:7], s[6:7]
	v_mov_b32_e32 v9, s10
	s_xor_b64 exec, exec, s[6:7]
	s_cbranch_execnz .LBB1_3944
.LBB1_1894:
	s_or_b64 exec, exec, s[6:7]
	s_and_saveexec_b64 s[6:7], s[4:5]
	s_cbranch_execz .LBB1_1896
.LBB1_1895:
	v_and_b32_e32 v9, 7, v11
	v_ffbh_u32_e32 v12, v9
	v_min_u32_e32 v12, 32, v12
	v_lshrrev_b16_e32 v10, 3, v11
	v_subrev_u32_e32 v13, 28, v12
	v_and_b32_e32 v10, 15, v10
	v_lshlrev_b32_e32 v13, v13, v11
	v_sub_u32_e32 v12, 29, v12
	v_and_b32_e32 v13, 7, v13
	v_cmp_eq_u16_e32 vcc, 0, v10
	v_cndmask_b32_e32 v9, v9, v13, vcc
	v_cndmask_b32_e32 v10, v10, v12, vcc
	v_lshlrev_b32_e32 v12, 24, v11
	v_mov_b32_e32 v13, 0x3b800000
	v_lshlrev_b32_e32 v9, 20, v9
	v_and_b32_e32 v12, 0x80000000, v12
	v_lshl_add_u32 v10, v10, 23, v13
	v_or3_b32 v9, v12, v10, v9
.LBB1_1896:
	s_or_b64 exec, exec, s[6:7]
	s_nop 0
	v_mfma_f32_16x16x4f32 a[0:3], v8, v9, a[0:3]
	v_lshrrev_b32_e32 v9, 8, v15
	s_movk_i32 s4, 0x7f
	v_cmp_gt_i16_sdwa s[6:7], v9, s4 src0_sel:BYTE_0 src1_sel:DWORD
	s_mov_b64 s[4:5], 0
                                        ; implicit-def: $sgpr10
	s_and_saveexec_b64 s[8:9], s[6:7]
	s_xor_b64 s[6:7], exec, s[8:9]
	s_cbranch_execnz .LBB1_3945
; %bb.1897:
	s_or_saveexec_b64 s[6:7], s[6:7]
	v_mov_b32_e32 v8, s10
	s_xor_b64 exec, exec, s[6:7]
	s_cbranch_execnz .LBB1_3948
.LBB1_1898:
	s_or_b64 exec, exec, s[6:7]
	s_and_saveexec_b64 s[6:7], s[4:5]
	s_cbranch_execz .LBB1_1900
.LBB1_1899:
	v_bfe_u32 v8, v15, 8, 3
	v_ffbh_u32_e32 v12, v8
	v_min_u32_e32 v12, 32, v12
	v_lshrrev_b16_e32 v10, 3, v9
	v_subrev_u32_e32 v13, 28, v12
	v_and_b32_e32 v10, 15, v10
	v_lshlrev_b32_e32 v9, v13, v9
	v_sub_u32_e32 v12, 29, v12
	v_and_b32_e32 v9, 7, v9
	v_cmp_eq_u16_e32 vcc, 0, v10
	v_cndmask_b32_e32 v8, v8, v9, vcc
	v_cndmask_b32_e32 v9, v10, v12, vcc
	v_lshlrev_b32_e32 v10, 16, v15
	v_mov_b32_e32 v12, 0x3b800000
	v_lshlrev_b32_e32 v8, 20, v8
	v_and_b32_e32 v10, 0x80000000, v10
	v_lshl_add_u32 v9, v9, 23, v12
	v_or3_b32 v8, v10, v9, v8
.LBB1_1900:
	s_or_b64 exec, exec, s[6:7]
	v_lshrrev_b32_e32 v9, 8, v11
	s_movk_i32 s4, 0x7f
	v_cmp_gt_i16_sdwa s[6:7], v9, s4 src0_sel:BYTE_0 src1_sel:DWORD
	s_mov_b64 s[4:5], 0
                                        ; implicit-def: $sgpr10
	s_and_saveexec_b64 s[8:9], s[6:7]
	s_xor_b64 s[6:7], exec, s[8:9]
	s_cbranch_execnz .LBB1_3949
; %bb.1901:
	s_or_saveexec_b64 s[6:7], s[6:7]
	v_mov_b32_e32 v10, s10
	s_xor_b64 exec, exec, s[6:7]
	s_cbranch_execnz .LBB1_3952
.LBB1_1902:
	s_or_b64 exec, exec, s[6:7]
	s_and_saveexec_b64 s[6:7], s[4:5]
	s_cbranch_execz .LBB1_1904
.LBB1_1903:
	v_bfe_u32 v10, v11, 8, 3
	v_ffbh_u32_e32 v13, v10
	v_min_u32_e32 v13, 32, v13
	v_lshrrev_b16_e32 v12, 3, v9
	v_subrev_u32_e32 v14, 28, v13
	v_and_b32_e32 v12, 15, v12
	v_lshlrev_b32_e32 v9, v14, v9
	v_sub_u32_e32 v13, 29, v13
	v_and_b32_e32 v9, 7, v9
	v_cmp_eq_u16_e32 vcc, 0, v12
	v_cndmask_b32_e32 v9, v10, v9, vcc
	v_cndmask_b32_e32 v10, v12, v13, vcc
	v_lshlrev_b32_e32 v12, 16, v11
	v_mov_b32_e32 v13, 0x3b800000
	v_lshlrev_b32_e32 v9, 20, v9
	v_and_b32_e32 v12, 0x80000000, v12
	v_lshl_add_u32 v10, v10, 23, v13
	v_or3_b32 v10, v12, v10, v9
.LBB1_1904:
	s_or_b64 exec, exec, s[6:7]
	s_nop 0
	v_mfma_f32_16x16x4f32 a[0:3], v8, v10, a[0:3]
	s_movk_i32 s4, 0xff
	v_and_b32_sdwa v9, v15, s4 dst_sel:DWORD dst_unused:UNUSED_PAD src0_sel:WORD_1 src1_sel:DWORD
	s_movk_i32 s4, 0x7f
	v_cmp_lt_i16_e32 vcc, s4, v9
	s_mov_b64 s[4:5], 0
                                        ; implicit-def: $sgpr10
	s_and_saveexec_b64 s[6:7], vcc
	s_xor_b64 s[6:7], exec, s[6:7]
	s_cbranch_execnz .LBB1_3953
; %bb.1905:
	s_or_saveexec_b64 s[6:7], s[6:7]
	v_mov_b32_e32 v8, s10
	s_xor_b64 exec, exec, s[6:7]
	s_cbranch_execnz .LBB1_3956
.LBB1_1906:
	s_or_b64 exec, exec, s[6:7]
	s_and_saveexec_b64 s[6:7], s[4:5]
	s_cbranch_execz .LBB1_1908
.LBB1_1907:
	v_bfe_u32 v8, v15, 16, 3
	v_ffbh_u32_e32 v12, v8
	v_min_u32_e32 v12, 32, v12
	v_lshrrev_b32_e32 v9, 19, v15
	v_subrev_u32_e32 v13, 28, v12
	v_and_b32_e32 v9, 15, v9
	v_lshlrev_b32_sdwa v13, v13, v15 dst_sel:DWORD dst_unused:UNUSED_PAD src0_sel:DWORD src1_sel:WORD_1
	v_bfe_u32 v10, v15, 19, 4
	v_sub_u32_e32 v12, 29, v12
	v_and_b32_e32 v13, 7, v13
	v_cmp_eq_u16_e32 vcc, 0, v9
	v_cndmask_b32_e32 v8, v8, v13, vcc
	v_cndmask_b32_e32 v9, v10, v12, vcc
	v_lshlrev_b32_e32 v10, 8, v15
	v_mov_b32_e32 v12, 0x3b800000
	v_lshlrev_b32_e32 v8, 20, v8
	v_and_b32_e32 v10, 0x80000000, v10
	v_lshl_add_u32 v9, v9, 23, v12
	v_or3_b32 v8, v10, v9, v8
.LBB1_1908:
	s_or_b64 exec, exec, s[6:7]
	s_movk_i32 s4, 0xff
	v_and_b32_sdwa v9, v11, s4 dst_sel:DWORD dst_unused:UNUSED_PAD src0_sel:WORD_1 src1_sel:DWORD
	s_movk_i32 s4, 0x7f
	v_cmp_lt_i16_e32 vcc, s4, v9
	s_mov_b64 s[4:5], 0
                                        ; implicit-def: $sgpr10
	s_and_saveexec_b64 s[6:7], vcc
	s_xor_b64 s[6:7], exec, s[6:7]
	s_cbranch_execnz .LBB1_3957
; %bb.1909:
	s_or_saveexec_b64 s[6:7], s[6:7]
	v_mov_b32_e32 v10, s10
	s_xor_b64 exec, exec, s[6:7]
	s_cbranch_execnz .LBB1_3960
.LBB1_1910:
	s_or_b64 exec, exec, s[6:7]
	s_and_saveexec_b64 s[6:7], s[4:5]
	s_cbranch_execz .LBB1_1912
.LBB1_1911:
	v_bfe_u32 v9, v11, 16, 3
	v_ffbh_u32_e32 v13, v9
	v_min_u32_e32 v13, 32, v13
	v_lshrrev_b32_e32 v10, 19, v11
	v_subrev_u32_e32 v14, 28, v13
	v_and_b32_e32 v10, 15, v10
	v_lshlrev_b32_sdwa v14, v14, v11 dst_sel:DWORD dst_unused:UNUSED_PAD src0_sel:DWORD src1_sel:WORD_1
	v_bfe_u32 v12, v11, 19, 4
	v_sub_u32_e32 v13, 29, v13
	v_and_b32_e32 v14, 7, v14
	v_cmp_eq_u16_e32 vcc, 0, v10
	v_cndmask_b32_e32 v9, v9, v14, vcc
	v_cndmask_b32_e32 v10, v12, v13, vcc
	v_lshlrev_b32_e32 v12, 8, v11
	v_mov_b32_e32 v13, 0x3b800000
	v_lshlrev_b32_e32 v9, 20, v9
	v_and_b32_e32 v12, 0x80000000, v12
	v_lshl_add_u32 v10, v10, 23, v13
	v_or3_b32 v10, v12, v10, v9
.LBB1_1912:
	s_or_b64 exec, exec, s[6:7]
	s_nop 0
	v_mfma_f32_16x16x4f32 a[0:3], v8, v10, a[0:3]
	s_movk_i32 s4, 0x7f
	v_cmp_gt_i16_sdwa s[6:7], v15, s4 src0_sel:BYTE_3 src1_sel:DWORD
	s_mov_b64 s[4:5], 0
                                        ; implicit-def: $sgpr10
	s_and_saveexec_b64 s[8:9], s[6:7]
	s_xor_b64 s[6:7], exec, s[8:9]
	s_cbranch_execnz .LBB1_3961
; %bb.1913:
	s_or_saveexec_b64 s[6:7], s[6:7]
	v_mov_b32_e32 v8, s10
	s_xor_b64 exec, exec, s[6:7]
	s_cbranch_execnz .LBB1_3964
.LBB1_1914:
	s_or_b64 exec, exec, s[6:7]
	s_and_saveexec_b64 s[6:7], s[4:5]
	s_cbranch_execz .LBB1_1916
.LBB1_1915:
	v_bfe_u32 v8, v15, 24, 3
	v_ffbh_u32_e32 v13, v8
	v_min_u32_e32 v13, 32, v13
	v_lshrrev_b32_e32 v10, 27, v15
	v_subrev_u32_e32 v14, 28, v13
	v_and_b32_e32 v10, 15, v10
	v_lshlrev_b32_sdwa v14, v14, v15 dst_sel:DWORD dst_unused:UNUSED_PAD src0_sel:DWORD src1_sel:BYTE_3
	v_bfe_u32 v12, v15, 27, 4
	v_sub_u32_e32 v13, 29, v13
	v_and_b32_e32 v14, 7, v14
	v_cmp_eq_u16_e32 vcc, 0, v10
	v_cndmask_b32_e32 v8, v8, v14, vcc
	v_cndmask_b32_e32 v10, v12, v13, vcc
	v_mov_b32_e32 v12, 0x3b800000
	v_and_b32_e32 v9, 0x80000000, v15
	v_lshlrev_b32_e32 v8, 20, v8
	v_lshl_add_u32 v10, v10, 23, v12
	v_or3_b32 v8, v9, v10, v8
.LBB1_1916:
	s_or_b64 exec, exec, s[6:7]
	s_movk_i32 s4, 0x7f
	v_cmp_gt_i16_sdwa s[6:7], v11, s4 src0_sel:BYTE_3 src1_sel:DWORD
	s_mov_b64 s[4:5], 0
                                        ; implicit-def: $sgpr10
	s_and_saveexec_b64 s[8:9], s[6:7]
	s_xor_b64 s[6:7], exec, s[8:9]
	s_cbranch_execnz .LBB1_3965
; %bb.1917:
	s_or_saveexec_b64 s[6:7], s[6:7]
	v_mov_b32_e32 v9, s10
	s_xor_b64 exec, exec, s[6:7]
	s_cbranch_execnz .LBB1_3968
.LBB1_1918:
	s_or_b64 exec, exec, s[6:7]
	s_and_saveexec_b64 s[6:7], s[4:5]
	s_cbranch_execz .LBB1_1920
.LBB1_1919:
	v_bfe_u32 v9, v11, 24, 3
	v_ffbh_u32_e32 v14, v9
	v_min_u32_e32 v14, 32, v14
	v_lshrrev_b32_e32 v12, 27, v11
	v_subrev_u32_e32 v15, 28, v14
	v_and_b32_e32 v10, 0x80000000, v11
	v_and_b32_e32 v12, 15, v12
	v_bfe_u32 v13, v11, 27, 4
	v_lshlrev_b32_sdwa v11, v15, v11 dst_sel:DWORD dst_unused:UNUSED_PAD src0_sel:DWORD src1_sel:BYTE_3
	v_sub_u32_e32 v14, 29, v14
	v_and_b32_e32 v11, 7, v11
	v_cmp_eq_u16_e32 vcc, 0, v12
	v_cndmask_b32_e32 v9, v9, v11, vcc
	v_cndmask_b32_e32 v11, v13, v14, vcc
	v_mov_b32_e32 v12, 0x3b800000
	v_lshlrev_b32_e32 v9, 20, v9
	v_lshl_add_u32 v11, v11, 23, v12
	v_or3_b32 v9, v10, v11, v9
.LBB1_1920:
	s_or_b64 exec, exec, s[6:7]
	s_nop 0
	v_mfma_f32_16x16x4f32 a[0:3], v8, v9, a[0:3]
	s_movk_i32 s4, 0x7f
	v_cmp_gt_i16_sdwa s[6:7], v4, s4 src0_sel:BYTE_0 src1_sel:DWORD
	s_mov_b64 s[4:5], 0
                                        ; implicit-def: $sgpr10
	s_and_saveexec_b64 s[8:9], s[6:7]
	s_xor_b64 s[6:7], exec, s[8:9]
	s_cbranch_execnz .LBB1_3969
; %bb.1921:
	s_or_saveexec_b64 s[6:7], s[6:7]
	v_mov_b32_e32 v8, s10
	s_xor_b64 exec, exec, s[6:7]
	s_cbranch_execnz .LBB1_3972
.LBB1_1922:
	s_or_b64 exec, exec, s[6:7]
	s_and_saveexec_b64 s[6:7], s[4:5]
	s_cbranch_execz .LBB1_1924
.LBB1_1923:
	v_and_b32_e32 v8, 7, v4
	v_ffbh_u32_e32 v10, v8
	v_min_u32_e32 v10, 32, v10
	v_lshrrev_b16_e32 v9, 3, v4
	v_subrev_u32_e32 v11, 28, v10
	v_and_b32_e32 v9, 15, v9
	v_lshlrev_b32_e32 v11, v11, v4
	v_sub_u32_e32 v10, 29, v10
	v_and_b32_e32 v11, 7, v11
	v_cmp_eq_u16_e32 vcc, 0, v9
	v_cndmask_b32_e32 v8, v8, v11, vcc
	v_cndmask_b32_e32 v9, v9, v10, vcc
	v_lshlrev_b32_e32 v10, 24, v4
	v_mov_b32_e32 v11, 0x3b800000
	v_lshlrev_b32_e32 v8, 20, v8
	v_and_b32_e32 v10, 0x80000000, v10
	v_lshl_add_u32 v9, v9, 23, v11
	v_or3_b32 v8, v10, v9, v8
.LBB1_1924:
	s_or_b64 exec, exec, s[6:7]
	s_movk_i32 s4, 0x7f
	v_cmp_gt_i16_sdwa s[6:7], v0, s4 src0_sel:BYTE_0 src1_sel:DWORD
	s_mov_b64 s[4:5], 0
                                        ; implicit-def: $sgpr10
	s_and_saveexec_b64 s[8:9], s[6:7]
	s_xor_b64 s[6:7], exec, s[8:9]
	s_cbranch_execnz .LBB1_3973
; %bb.1925:
	s_or_saveexec_b64 s[6:7], s[6:7]
	v_mov_b32_e32 v9, s10
	s_xor_b64 exec, exec, s[6:7]
	s_cbranch_execnz .LBB1_3976
.LBB1_1926:
	s_or_b64 exec, exec, s[6:7]
	s_and_saveexec_b64 s[6:7], s[4:5]
	s_cbranch_execz .LBB1_1928
.LBB1_1927:
	v_and_b32_e32 v9, 7, v0
	v_ffbh_u32_e32 v11, v9
	v_min_u32_e32 v11, 32, v11
	v_lshrrev_b16_e32 v10, 3, v0
	v_subrev_u32_e32 v12, 28, v11
	v_and_b32_e32 v10, 15, v10
	v_lshlrev_b32_e32 v12, v12, v0
	v_sub_u32_e32 v11, 29, v11
	v_and_b32_e32 v12, 7, v12
	v_cmp_eq_u16_e32 vcc, 0, v10
	v_cndmask_b32_e32 v9, v9, v12, vcc
	v_cndmask_b32_e32 v10, v10, v11, vcc
	v_lshlrev_b32_e32 v11, 24, v0
	v_mov_b32_e32 v12, 0x3b800000
	v_lshlrev_b32_e32 v9, 20, v9
	v_and_b32_e32 v11, 0x80000000, v11
	v_lshl_add_u32 v10, v10, 23, v12
	v_or3_b32 v9, v11, v10, v9
.LBB1_1928:
	s_or_b64 exec, exec, s[6:7]
	s_nop 0
	v_mfma_f32_16x16x4f32 a[0:3], v8, v9, a[0:3]
	v_lshrrev_b32_e32 v9, 8, v4
	s_movk_i32 s4, 0x7f
	v_cmp_gt_i16_sdwa s[6:7], v9, s4 src0_sel:BYTE_0 src1_sel:DWORD
	s_mov_b64 s[4:5], 0
                                        ; implicit-def: $sgpr10
	s_and_saveexec_b64 s[8:9], s[6:7]
	s_xor_b64 s[6:7], exec, s[8:9]
	s_cbranch_execnz .LBB1_3977
; %bb.1929:
	s_or_saveexec_b64 s[6:7], s[6:7]
	v_mov_b32_e32 v8, s10
	s_xor_b64 exec, exec, s[6:7]
	s_cbranch_execnz .LBB1_3980
.LBB1_1930:
	s_or_b64 exec, exec, s[6:7]
	s_and_saveexec_b64 s[6:7], s[4:5]
	s_cbranch_execz .LBB1_1932
.LBB1_1931:
	v_bfe_u32 v8, v4, 8, 3
	v_ffbh_u32_e32 v11, v8
	v_min_u32_e32 v11, 32, v11
	v_lshrrev_b16_e32 v10, 3, v9
	v_subrev_u32_e32 v12, 28, v11
	v_and_b32_e32 v10, 15, v10
	v_lshlrev_b32_e32 v9, v12, v9
	v_sub_u32_e32 v11, 29, v11
	v_and_b32_e32 v9, 7, v9
	v_cmp_eq_u16_e32 vcc, 0, v10
	v_cndmask_b32_e32 v8, v8, v9, vcc
	v_cndmask_b32_e32 v9, v10, v11, vcc
	v_lshlrev_b32_e32 v10, 16, v4
	v_mov_b32_e32 v11, 0x3b800000
	v_lshlrev_b32_e32 v8, 20, v8
	v_and_b32_e32 v10, 0x80000000, v10
	v_lshl_add_u32 v9, v9, 23, v11
	v_or3_b32 v8, v10, v9, v8
.LBB1_1932:
	s_or_b64 exec, exec, s[6:7]
	v_lshrrev_b32_e32 v9, 8, v0
	s_movk_i32 s4, 0x7f
	v_cmp_gt_i16_sdwa s[6:7], v9, s4 src0_sel:BYTE_0 src1_sel:DWORD
	s_mov_b64 s[4:5], 0
                                        ; implicit-def: $sgpr10
	s_and_saveexec_b64 s[8:9], s[6:7]
	s_xor_b64 s[6:7], exec, s[8:9]
	s_cbranch_execnz .LBB1_3981
; %bb.1933:
	s_or_saveexec_b64 s[6:7], s[6:7]
	v_mov_b32_e32 v10, s10
	s_xor_b64 exec, exec, s[6:7]
	s_cbranch_execnz .LBB1_3984
.LBB1_1934:
	s_or_b64 exec, exec, s[6:7]
	s_and_saveexec_b64 s[6:7], s[4:5]
	s_cbranch_execz .LBB1_1936
.LBB1_1935:
	v_bfe_u32 v10, v0, 8, 3
	v_ffbh_u32_e32 v12, v10
	v_min_u32_e32 v12, 32, v12
	v_lshrrev_b16_e32 v11, 3, v9
	v_subrev_u32_e32 v13, 28, v12
	v_and_b32_e32 v11, 15, v11
	v_lshlrev_b32_e32 v9, v13, v9
	v_sub_u32_e32 v12, 29, v12
	v_and_b32_e32 v9, 7, v9
	v_cmp_eq_u16_e32 vcc, 0, v11
	v_cndmask_b32_e32 v9, v10, v9, vcc
	v_cndmask_b32_e32 v10, v11, v12, vcc
	v_lshlrev_b32_e32 v11, 16, v0
	v_mov_b32_e32 v12, 0x3b800000
	v_lshlrev_b32_e32 v9, 20, v9
	v_and_b32_e32 v11, 0x80000000, v11
	v_lshl_add_u32 v10, v10, 23, v12
	v_or3_b32 v10, v11, v10, v9
.LBB1_1936:
	s_or_b64 exec, exec, s[6:7]
	s_nop 0
	v_mfma_f32_16x16x4f32 a[0:3], v8, v10, a[0:3]
	s_movk_i32 s4, 0xff
	v_and_b32_sdwa v9, v4, s4 dst_sel:DWORD dst_unused:UNUSED_PAD src0_sel:WORD_1 src1_sel:DWORD
	s_movk_i32 s4, 0x7f
	v_cmp_lt_i16_e32 vcc, s4, v9
	s_mov_b64 s[4:5], 0
                                        ; implicit-def: $sgpr10
	s_and_saveexec_b64 s[6:7], vcc
	s_xor_b64 s[6:7], exec, s[6:7]
	s_cbranch_execnz .LBB1_3985
; %bb.1937:
	s_or_saveexec_b64 s[6:7], s[6:7]
	v_mov_b32_e32 v8, s10
	s_xor_b64 exec, exec, s[6:7]
	s_cbranch_execnz .LBB1_3988
.LBB1_1938:
	s_or_b64 exec, exec, s[6:7]
	s_and_saveexec_b64 s[6:7], s[4:5]
	s_cbranch_execz .LBB1_1940
.LBB1_1939:
	v_bfe_u32 v8, v4, 16, 3
	v_ffbh_u32_e32 v11, v8
	v_min_u32_e32 v11, 32, v11
	v_lshrrev_b32_e32 v9, 19, v4
	v_subrev_u32_e32 v12, 28, v11
	v_and_b32_e32 v9, 15, v9
	v_lshlrev_b32_sdwa v12, v12, v4 dst_sel:DWORD dst_unused:UNUSED_PAD src0_sel:DWORD src1_sel:WORD_1
	v_bfe_u32 v10, v4, 19, 4
	v_sub_u32_e32 v11, 29, v11
	v_and_b32_e32 v12, 7, v12
	v_cmp_eq_u16_e32 vcc, 0, v9
	v_cndmask_b32_e32 v8, v8, v12, vcc
	v_cndmask_b32_e32 v9, v10, v11, vcc
	v_lshlrev_b32_e32 v10, 8, v4
	v_mov_b32_e32 v11, 0x3b800000
	v_lshlrev_b32_e32 v8, 20, v8
	v_and_b32_e32 v10, 0x80000000, v10
	v_lshl_add_u32 v9, v9, 23, v11
	v_or3_b32 v8, v10, v9, v8
.LBB1_1940:
	s_or_b64 exec, exec, s[6:7]
	s_movk_i32 s4, 0xff
	v_and_b32_sdwa v9, v0, s4 dst_sel:DWORD dst_unused:UNUSED_PAD src0_sel:WORD_1 src1_sel:DWORD
	s_movk_i32 s4, 0x7f
	v_cmp_lt_i16_e32 vcc, s4, v9
	s_mov_b64 s[4:5], 0
                                        ; implicit-def: $sgpr10
	s_and_saveexec_b64 s[6:7], vcc
	s_xor_b64 s[6:7], exec, s[6:7]
	s_cbranch_execnz .LBB1_3989
; %bb.1941:
	s_or_saveexec_b64 s[6:7], s[6:7]
	v_mov_b32_e32 v10, s10
	s_xor_b64 exec, exec, s[6:7]
	s_cbranch_execnz .LBB1_3992
.LBB1_1942:
	s_or_b64 exec, exec, s[6:7]
	s_and_saveexec_b64 s[6:7], s[4:5]
	s_cbranch_execz .LBB1_1944
.LBB1_1943:
	v_bfe_u32 v9, v0, 16, 3
	v_ffbh_u32_e32 v12, v9
	v_min_u32_e32 v12, 32, v12
	v_lshrrev_b32_e32 v10, 19, v0
	v_subrev_u32_e32 v13, 28, v12
	v_and_b32_e32 v10, 15, v10
	v_lshlrev_b32_sdwa v13, v13, v0 dst_sel:DWORD dst_unused:UNUSED_PAD src0_sel:DWORD src1_sel:WORD_1
	v_bfe_u32 v11, v0, 19, 4
	v_sub_u32_e32 v12, 29, v12
	v_and_b32_e32 v13, 7, v13
	v_cmp_eq_u16_e32 vcc, 0, v10
	v_cndmask_b32_e32 v9, v9, v13, vcc
	v_cndmask_b32_e32 v10, v11, v12, vcc
	v_lshlrev_b32_e32 v11, 8, v0
	v_mov_b32_e32 v12, 0x3b800000
	v_lshlrev_b32_e32 v9, 20, v9
	v_and_b32_e32 v11, 0x80000000, v11
	v_lshl_add_u32 v10, v10, 23, v12
	v_or3_b32 v10, v11, v10, v9
.LBB1_1944:
	s_or_b64 exec, exec, s[6:7]
	s_nop 0
	v_mfma_f32_16x16x4f32 a[0:3], v8, v10, a[0:3]
	s_movk_i32 s4, 0x7f
	v_cmp_gt_i16_sdwa s[6:7], v4, s4 src0_sel:BYTE_3 src1_sel:DWORD
	s_mov_b64 s[4:5], 0
                                        ; implicit-def: $sgpr10
	s_and_saveexec_b64 s[8:9], s[6:7]
	s_xor_b64 s[6:7], exec, s[8:9]
	s_cbranch_execnz .LBB1_3993
; %bb.1945:
	s_or_saveexec_b64 s[6:7], s[6:7]
	v_mov_b32_e32 v8, s10
	s_xor_b64 exec, exec, s[6:7]
	s_cbranch_execnz .LBB1_3996
.LBB1_1946:
	s_or_b64 exec, exec, s[6:7]
	s_and_saveexec_b64 s[6:7], s[4:5]
	s_cbranch_execz .LBB1_1948
.LBB1_1947:
	v_bfe_u32 v8, v4, 24, 3
	v_ffbh_u32_e32 v12, v8
	v_min_u32_e32 v12, 32, v12
	v_lshrrev_b32_e32 v10, 27, v4
	v_subrev_u32_e32 v13, 28, v12
	v_and_b32_e32 v9, 0x80000000, v4
	v_and_b32_e32 v10, 15, v10
	v_bfe_u32 v11, v4, 27, 4
	v_lshlrev_b32_sdwa v4, v13, v4 dst_sel:DWORD dst_unused:UNUSED_PAD src0_sel:DWORD src1_sel:BYTE_3
	v_sub_u32_e32 v12, 29, v12
	v_and_b32_e32 v4, 7, v4
	v_cmp_eq_u16_e32 vcc, 0, v10
	v_cndmask_b32_e32 v4, v8, v4, vcc
	v_cndmask_b32_e32 v8, v11, v12, vcc
	v_mov_b32_e32 v10, 0x3b800000
	v_lshlrev_b32_e32 v4, 20, v4
	v_lshl_add_u32 v8, v8, 23, v10
	v_or3_b32 v8, v9, v8, v4
.LBB1_1948:
	s_or_b64 exec, exec, s[6:7]
	s_movk_i32 s4, 0x7f
	v_cmp_gt_i16_sdwa s[6:7], v0, s4 src0_sel:BYTE_3 src1_sel:DWORD
	s_mov_b64 s[4:5], 0
                                        ; implicit-def: $sgpr10
	s_and_saveexec_b64 s[8:9], s[6:7]
	s_xor_b64 s[6:7], exec, s[8:9]
	s_cbranch_execnz .LBB1_3997
; %bb.1949:
	s_or_saveexec_b64 s[6:7], s[6:7]
	v_mov_b32_e32 v4, s10
	s_xor_b64 exec, exec, s[6:7]
	s_cbranch_execnz .LBB1_4000
.LBB1_1950:
	s_or_b64 exec, exec, s[6:7]
	s_and_saveexec_b64 s[6:7], s[4:5]
	s_cbranch_execz .LBB1_1952
.LBB1_1951:
	v_bfe_u32 v4, v0, 24, 3
	v_ffbh_u32_e32 v12, v4
	v_min_u32_e32 v12, 32, v12
	v_lshrrev_b32_e32 v10, 27, v0
	v_subrev_u32_e32 v13, 28, v12
	v_and_b32_e32 v9, 0x80000000, v0
	v_and_b32_e32 v10, 15, v10
	v_bfe_u32 v11, v0, 27, 4
	v_lshlrev_b32_sdwa v0, v13, v0 dst_sel:DWORD dst_unused:UNUSED_PAD src0_sel:DWORD src1_sel:BYTE_3
	v_sub_u32_e32 v12, 29, v12
	v_and_b32_e32 v0, 7, v0
	v_cmp_eq_u16_e32 vcc, 0, v10
	v_cndmask_b32_e32 v0, v4, v0, vcc
	v_cndmask_b32_e32 v4, v11, v12, vcc
	v_mov_b32_e32 v10, 0x3b800000
	v_lshlrev_b32_e32 v0, 20, v0
	v_lshl_add_u32 v4, v4, 23, v10
	v_or3_b32 v4, v9, v4, v0
.LBB1_1952:
	s_or_b64 exec, exec, s[6:7]
	s_nop 0
	v_mfma_f32_16x16x4f32 a[0:3], v8, v4, a[0:3]
	s_movk_i32 s4, 0x7f
	v_cmp_gt_i16_sdwa s[6:7], v5, s4 src0_sel:BYTE_0 src1_sel:DWORD
	s_mov_b64 s[4:5], 0
                                        ; implicit-def: $sgpr10
	s_and_saveexec_b64 s[8:9], s[6:7]
	s_xor_b64 s[6:7], exec, s[8:9]
	s_cbranch_execnz .LBB1_4001
; %bb.1953:
	s_or_saveexec_b64 s[6:7], s[6:7]
	v_mov_b32_e32 v0, s10
	s_xor_b64 exec, exec, s[6:7]
	s_cbranch_execnz .LBB1_4004
.LBB1_1954:
	s_or_b64 exec, exec, s[6:7]
	s_and_saveexec_b64 s[6:7], s[4:5]
	s_cbranch_execz .LBB1_1956
.LBB1_1955:
	v_and_b32_e32 v0, 7, v5
	v_ffbh_u32_e32 v8, v0
	v_min_u32_e32 v8, 32, v8
	v_lshrrev_b16_e32 v4, 3, v5
	v_subrev_u32_e32 v9, 28, v8
	v_and_b32_e32 v4, 15, v4
	v_lshlrev_b32_e32 v9, v9, v5
	v_sub_u32_e32 v8, 29, v8
	v_and_b32_e32 v9, 7, v9
	v_cmp_eq_u16_e32 vcc, 0, v4
	v_cndmask_b32_e32 v0, v0, v9, vcc
	v_cndmask_b32_e32 v4, v4, v8, vcc
	v_lshlrev_b32_e32 v8, 24, v5
	v_mov_b32_e32 v9, 0x3b800000
	v_lshlrev_b32_e32 v0, 20, v0
	v_and_b32_e32 v8, 0x80000000, v8
	v_lshl_add_u32 v4, v4, 23, v9
	v_or3_b32 v0, v8, v4, v0
.LBB1_1956:
	s_or_b64 exec, exec, s[6:7]
	s_movk_i32 s4, 0x7f
	v_cmp_gt_i16_sdwa s[6:7], v1, s4 src0_sel:BYTE_0 src1_sel:DWORD
	s_mov_b64 s[4:5], 0
                                        ; implicit-def: $sgpr10
	s_and_saveexec_b64 s[8:9], s[6:7]
	s_xor_b64 s[6:7], exec, s[8:9]
	s_cbranch_execnz .LBB1_4005
; %bb.1957:
	s_or_saveexec_b64 s[6:7], s[6:7]
	v_mov_b32_e32 v4, s10
	s_xor_b64 exec, exec, s[6:7]
	s_cbranch_execnz .LBB1_4008
.LBB1_1958:
	s_or_b64 exec, exec, s[6:7]
	s_and_saveexec_b64 s[6:7], s[4:5]
	s_cbranch_execz .LBB1_1960
.LBB1_1959:
	v_and_b32_e32 v4, 7, v1
	v_ffbh_u32_e32 v9, v4
	v_min_u32_e32 v9, 32, v9
	v_lshrrev_b16_e32 v8, 3, v1
	v_subrev_u32_e32 v10, 28, v9
	v_and_b32_e32 v8, 15, v8
	v_lshlrev_b32_e32 v10, v10, v1
	v_sub_u32_e32 v9, 29, v9
	v_and_b32_e32 v10, 7, v10
	v_cmp_eq_u16_e32 vcc, 0, v8
	v_cndmask_b32_e32 v4, v4, v10, vcc
	v_cndmask_b32_e32 v8, v8, v9, vcc
	v_lshlrev_b32_e32 v9, 24, v1
	v_mov_b32_e32 v10, 0x3b800000
	v_lshlrev_b32_e32 v4, 20, v4
	v_and_b32_e32 v9, 0x80000000, v9
	v_lshl_add_u32 v8, v8, 23, v10
	v_or3_b32 v4, v9, v8, v4
.LBB1_1960:
	s_or_b64 exec, exec, s[6:7]
	s_nop 0
	v_mfma_f32_16x16x4f32 a[0:3], v0, v4, a[0:3]
	v_lshrrev_b32_e32 v4, 8, v5
	s_movk_i32 s4, 0x7f
	v_cmp_gt_i16_sdwa s[6:7], v4, s4 src0_sel:BYTE_0 src1_sel:DWORD
	s_mov_b64 s[4:5], 0
                                        ; implicit-def: $sgpr10
	s_and_saveexec_b64 s[8:9], s[6:7]
	s_xor_b64 s[6:7], exec, s[8:9]
	s_cbranch_execnz .LBB1_4009
; %bb.1961:
	s_or_saveexec_b64 s[6:7], s[6:7]
	v_mov_b32_e32 v0, s10
	s_xor_b64 exec, exec, s[6:7]
	s_cbranch_execnz .LBB1_4012
.LBB1_1962:
	s_or_b64 exec, exec, s[6:7]
	s_and_saveexec_b64 s[6:7], s[4:5]
	s_cbranch_execz .LBB1_1964
.LBB1_1963:
	v_bfe_u32 v0, v5, 8, 3
	v_ffbh_u32_e32 v9, v0
	v_min_u32_e32 v9, 32, v9
	v_lshrrev_b16_e32 v8, 3, v4
	v_subrev_u32_e32 v10, 28, v9
	v_and_b32_e32 v8, 15, v8
	v_lshlrev_b32_e32 v4, v10, v4
	v_sub_u32_e32 v9, 29, v9
	v_and_b32_e32 v4, 7, v4
	v_cmp_eq_u16_e32 vcc, 0, v8
	v_cndmask_b32_e32 v0, v0, v4, vcc
	v_cndmask_b32_e32 v4, v8, v9, vcc
	v_lshlrev_b32_e32 v8, 16, v5
	v_mov_b32_e32 v9, 0x3b800000
	v_lshlrev_b32_e32 v0, 20, v0
	v_and_b32_e32 v8, 0x80000000, v8
	v_lshl_add_u32 v4, v4, 23, v9
	v_or3_b32 v0, v8, v4, v0
.LBB1_1964:
	s_or_b64 exec, exec, s[6:7]
	v_lshrrev_b32_e32 v4, 8, v1
	s_movk_i32 s4, 0x7f
	v_cmp_gt_i16_sdwa s[6:7], v4, s4 src0_sel:BYTE_0 src1_sel:DWORD
	s_mov_b64 s[4:5], 0
                                        ; implicit-def: $sgpr10
	s_and_saveexec_b64 s[8:9], s[6:7]
	s_xor_b64 s[6:7], exec, s[8:9]
	s_cbranch_execnz .LBB1_4013
; %bb.1965:
	s_or_saveexec_b64 s[6:7], s[6:7]
	v_mov_b32_e32 v8, s10
	s_xor_b64 exec, exec, s[6:7]
	s_cbranch_execnz .LBB1_4016
.LBB1_1966:
	s_or_b64 exec, exec, s[6:7]
	s_and_saveexec_b64 s[6:7], s[4:5]
	s_cbranch_execz .LBB1_1968
.LBB1_1967:
	v_bfe_u32 v8, v1, 8, 3
	v_ffbh_u32_e32 v10, v8
	v_min_u32_e32 v10, 32, v10
	v_lshrrev_b16_e32 v9, 3, v4
	v_subrev_u32_e32 v11, 28, v10
	v_and_b32_e32 v9, 15, v9
	v_lshlrev_b32_e32 v4, v11, v4
	v_sub_u32_e32 v10, 29, v10
	v_and_b32_e32 v4, 7, v4
	v_cmp_eq_u16_e32 vcc, 0, v9
	v_cndmask_b32_e32 v4, v8, v4, vcc
	v_cndmask_b32_e32 v8, v9, v10, vcc
	v_lshlrev_b32_e32 v9, 16, v1
	v_mov_b32_e32 v10, 0x3b800000
	v_lshlrev_b32_e32 v4, 20, v4
	v_and_b32_e32 v9, 0x80000000, v9
	v_lshl_add_u32 v8, v8, 23, v10
	v_or3_b32 v8, v9, v8, v4
.LBB1_1968:
	s_or_b64 exec, exec, s[6:7]
	s_nop 0
	v_mfma_f32_16x16x4f32 a[0:3], v0, v8, a[0:3]
	s_movk_i32 s4, 0xff
	v_and_b32_sdwa v4, v5, s4 dst_sel:DWORD dst_unused:UNUSED_PAD src0_sel:WORD_1 src1_sel:DWORD
	s_movk_i32 s4, 0x7f
	v_cmp_lt_i16_e32 vcc, s4, v4
	s_mov_b64 s[4:5], 0
                                        ; implicit-def: $sgpr10
	s_and_saveexec_b64 s[6:7], vcc
	s_xor_b64 s[6:7], exec, s[6:7]
	s_cbranch_execnz .LBB1_4017
; %bb.1969:
	s_or_saveexec_b64 s[6:7], s[6:7]
	v_mov_b32_e32 v0, s10
	s_xor_b64 exec, exec, s[6:7]
	s_cbranch_execnz .LBB1_4020
.LBB1_1970:
	s_or_b64 exec, exec, s[6:7]
	s_and_saveexec_b64 s[6:7], s[4:5]
	s_cbranch_execz .LBB1_1972
.LBB1_1971:
	v_bfe_u32 v0, v5, 16, 3
	v_ffbh_u32_e32 v9, v0
	v_min_u32_e32 v9, 32, v9
	v_lshrrev_b32_e32 v4, 19, v5
	v_subrev_u32_e32 v10, 28, v9
	v_and_b32_e32 v4, 15, v4
	v_lshlrev_b32_sdwa v10, v10, v5 dst_sel:DWORD dst_unused:UNUSED_PAD src0_sel:DWORD src1_sel:WORD_1
	v_bfe_u32 v8, v5, 19, 4
	v_sub_u32_e32 v9, 29, v9
	v_and_b32_e32 v10, 7, v10
	v_cmp_eq_u16_e32 vcc, 0, v4
	v_cndmask_b32_e32 v0, v0, v10, vcc
	v_cndmask_b32_e32 v4, v8, v9, vcc
	v_lshlrev_b32_e32 v8, 8, v5
	v_mov_b32_e32 v9, 0x3b800000
	v_lshlrev_b32_e32 v0, 20, v0
	v_and_b32_e32 v8, 0x80000000, v8
	v_lshl_add_u32 v4, v4, 23, v9
	v_or3_b32 v0, v8, v4, v0
.LBB1_1972:
	s_or_b64 exec, exec, s[6:7]
	s_movk_i32 s4, 0xff
	v_and_b32_sdwa v4, v1, s4 dst_sel:DWORD dst_unused:UNUSED_PAD src0_sel:WORD_1 src1_sel:DWORD
	s_movk_i32 s4, 0x7f
	v_cmp_lt_i16_e32 vcc, s4, v4
	s_mov_b64 s[4:5], 0
                                        ; implicit-def: $sgpr10
	s_and_saveexec_b64 s[6:7], vcc
	s_xor_b64 s[6:7], exec, s[6:7]
	s_cbranch_execnz .LBB1_4021
; %bb.1973:
	s_or_saveexec_b64 s[6:7], s[6:7]
	v_mov_b32_e32 v8, s10
	s_xor_b64 exec, exec, s[6:7]
	s_cbranch_execnz .LBB1_4024
.LBB1_1974:
	s_or_b64 exec, exec, s[6:7]
	s_and_saveexec_b64 s[6:7], s[4:5]
	s_cbranch_execz .LBB1_1976
.LBB1_1975:
	v_bfe_u32 v4, v1, 16, 3
	v_ffbh_u32_e32 v10, v4
	v_min_u32_e32 v10, 32, v10
	v_lshrrev_b32_e32 v8, 19, v1
	v_subrev_u32_e32 v11, 28, v10
	v_and_b32_e32 v8, 15, v8
	v_lshlrev_b32_sdwa v11, v11, v1 dst_sel:DWORD dst_unused:UNUSED_PAD src0_sel:DWORD src1_sel:WORD_1
	v_bfe_u32 v9, v1, 19, 4
	v_sub_u32_e32 v10, 29, v10
	v_and_b32_e32 v11, 7, v11
	v_cmp_eq_u16_e32 vcc, 0, v8
	v_cndmask_b32_e32 v4, v4, v11, vcc
	v_cndmask_b32_e32 v8, v9, v10, vcc
	v_lshlrev_b32_e32 v9, 8, v1
	v_mov_b32_e32 v10, 0x3b800000
	v_lshlrev_b32_e32 v4, 20, v4
	v_and_b32_e32 v9, 0x80000000, v9
	v_lshl_add_u32 v8, v8, 23, v10
	v_or3_b32 v8, v9, v8, v4
.LBB1_1976:
	s_or_b64 exec, exec, s[6:7]
	s_nop 0
	v_mfma_f32_16x16x4f32 a[0:3], v0, v8, a[0:3]
	s_movk_i32 s4, 0x7f
	v_cmp_gt_i16_sdwa s[6:7], v5, s4 src0_sel:BYTE_3 src1_sel:DWORD
	s_mov_b64 s[4:5], 0
                                        ; implicit-def: $sgpr10
	s_and_saveexec_b64 s[8:9], s[6:7]
	s_xor_b64 s[6:7], exec, s[8:9]
	s_cbranch_execnz .LBB1_4025
; %bb.1977:
	s_or_saveexec_b64 s[6:7], s[6:7]
	v_mov_b32_e32 v0, s10
	s_xor_b64 exec, exec, s[6:7]
	s_cbranch_execnz .LBB1_4028
.LBB1_1978:
	s_or_b64 exec, exec, s[6:7]
	s_and_saveexec_b64 s[6:7], s[4:5]
	s_cbranch_execz .LBB1_1980
.LBB1_1979:
	v_bfe_u32 v0, v5, 24, 3
	v_ffbh_u32_e32 v10, v0
	v_min_u32_e32 v10, 32, v10
	v_lshrrev_b32_e32 v8, 27, v5
	v_subrev_u32_e32 v11, 28, v10
	v_and_b32_e32 v4, 0x80000000, v5
	v_and_b32_e32 v8, 15, v8
	v_bfe_u32 v9, v5, 27, 4
	v_lshlrev_b32_sdwa v5, v11, v5 dst_sel:DWORD dst_unused:UNUSED_PAD src0_sel:DWORD src1_sel:BYTE_3
	v_sub_u32_e32 v10, 29, v10
	v_and_b32_e32 v5, 7, v5
	v_cmp_eq_u16_e32 vcc, 0, v8
	v_cndmask_b32_e32 v0, v0, v5, vcc
	v_cndmask_b32_e32 v5, v9, v10, vcc
	v_mov_b32_e32 v8, 0x3b800000
	v_lshlrev_b32_e32 v0, 20, v0
	v_lshl_add_u32 v5, v5, 23, v8
	v_or3_b32 v0, v4, v5, v0
.LBB1_1980:
	s_or_b64 exec, exec, s[6:7]
	s_movk_i32 s4, 0x7f
	v_cmp_gt_i16_sdwa s[6:7], v1, s4 src0_sel:BYTE_3 src1_sel:DWORD
	s_mov_b64 s[4:5], 0
                                        ; implicit-def: $sgpr10
	s_and_saveexec_b64 s[8:9], s[6:7]
	s_xor_b64 s[6:7], exec, s[8:9]
	s_cbranch_execnz .LBB1_4029
; %bb.1981:
	s_or_saveexec_b64 s[6:7], s[6:7]
	v_mov_b32_e32 v4, s10
	s_xor_b64 exec, exec, s[6:7]
	s_cbranch_execnz .LBB1_4032
.LBB1_1982:
	s_or_b64 exec, exec, s[6:7]
	s_and_saveexec_b64 s[6:7], s[4:5]
	s_cbranch_execz .LBB1_1984
.LBB1_1983:
	v_bfe_u32 v4, v1, 24, 3
	v_ffbh_u32_e32 v10, v4
	v_min_u32_e32 v10, 32, v10
	v_lshrrev_b32_e32 v8, 27, v1
	v_subrev_u32_e32 v11, 28, v10
	v_and_b32_e32 v5, 0x80000000, v1
	v_and_b32_e32 v8, 15, v8
	v_bfe_u32 v9, v1, 27, 4
	v_lshlrev_b32_sdwa v1, v11, v1 dst_sel:DWORD dst_unused:UNUSED_PAD src0_sel:DWORD src1_sel:BYTE_3
	v_sub_u32_e32 v10, 29, v10
	v_and_b32_e32 v1, 7, v1
	v_cmp_eq_u16_e32 vcc, 0, v8
	v_cndmask_b32_e32 v1, v4, v1, vcc
	v_cndmask_b32_e32 v4, v9, v10, vcc
	v_mov_b32_e32 v8, 0x3b800000
	v_lshlrev_b32_e32 v1, 20, v1
	v_lshl_add_u32 v4, v4, 23, v8
	v_or3_b32 v4, v5, v4, v1
.LBB1_1984:
	s_or_b64 exec, exec, s[6:7]
	s_nop 0
	v_mfma_f32_16x16x4f32 a[0:3], v0, v4, a[0:3]
	s_movk_i32 s4, 0x7f
	v_cmp_gt_i16_sdwa s[6:7], v6, s4 src0_sel:BYTE_0 src1_sel:DWORD
	s_mov_b64 s[4:5], 0
                                        ; implicit-def: $sgpr10
	s_and_saveexec_b64 s[8:9], s[6:7]
	s_xor_b64 s[6:7], exec, s[8:9]
	s_cbranch_execnz .LBB1_4033
; %bb.1985:
	s_or_saveexec_b64 s[6:7], s[6:7]
	v_mov_b32_e32 v0, s10
	s_xor_b64 exec, exec, s[6:7]
	s_cbranch_execnz .LBB1_4036
.LBB1_1986:
	s_or_b64 exec, exec, s[6:7]
	s_and_saveexec_b64 s[6:7], s[4:5]
	s_cbranch_execz .LBB1_1988
.LBB1_1987:
	v_and_b32_e32 v0, 7, v6
	v_ffbh_u32_e32 v4, v0
	v_min_u32_e32 v4, 32, v4
	v_lshrrev_b16_e32 v1, 3, v6
	v_subrev_u32_e32 v5, 28, v4
	v_and_b32_e32 v1, 15, v1
	v_lshlrev_b32_e32 v5, v5, v6
	v_sub_u32_e32 v4, 29, v4
	v_and_b32_e32 v5, 7, v5
	v_cmp_eq_u16_e32 vcc, 0, v1
	v_cndmask_b32_e32 v0, v0, v5, vcc
	v_cndmask_b32_e32 v1, v1, v4, vcc
	v_lshlrev_b32_e32 v4, 24, v6
	v_mov_b32_e32 v5, 0x3b800000
	v_lshlrev_b32_e32 v0, 20, v0
	v_and_b32_e32 v4, 0x80000000, v4
	v_lshl_add_u32 v1, v1, 23, v5
	v_or3_b32 v0, v4, v1, v0
.LBB1_1988:
	s_or_b64 exec, exec, s[6:7]
	s_movk_i32 s4, 0x7f
	v_cmp_gt_i16_sdwa s[6:7], v2, s4 src0_sel:BYTE_0 src1_sel:DWORD
	s_mov_b64 s[4:5], 0
                                        ; implicit-def: $sgpr10
	s_and_saveexec_b64 s[8:9], s[6:7]
	s_xor_b64 s[6:7], exec, s[8:9]
	s_cbranch_execnz .LBB1_4037
; %bb.1989:
	s_or_saveexec_b64 s[6:7], s[6:7]
	v_mov_b32_e32 v1, s10
	s_xor_b64 exec, exec, s[6:7]
	s_cbranch_execnz .LBB1_4040
.LBB1_1990:
	s_or_b64 exec, exec, s[6:7]
	s_and_saveexec_b64 s[6:7], s[4:5]
	s_cbranch_execz .LBB1_1992
.LBB1_1991:
	v_and_b32_e32 v1, 7, v2
	v_ffbh_u32_e32 v5, v1
	v_min_u32_e32 v5, 32, v5
	v_lshrrev_b16_e32 v4, 3, v2
	v_subrev_u32_e32 v8, 28, v5
	v_and_b32_e32 v4, 15, v4
	v_lshlrev_b32_e32 v8, v8, v2
	v_sub_u32_e32 v5, 29, v5
	v_and_b32_e32 v8, 7, v8
	v_cmp_eq_u16_e32 vcc, 0, v4
	v_cndmask_b32_e32 v1, v1, v8, vcc
	v_cndmask_b32_e32 v4, v4, v5, vcc
	v_lshlrev_b32_e32 v5, 24, v2
	v_mov_b32_e32 v8, 0x3b800000
	v_lshlrev_b32_e32 v1, 20, v1
	v_and_b32_e32 v5, 0x80000000, v5
	v_lshl_add_u32 v4, v4, 23, v8
	v_or3_b32 v1, v5, v4, v1
.LBB1_1992:
	s_or_b64 exec, exec, s[6:7]
	s_nop 0
	v_mfma_f32_16x16x4f32 a[0:3], v0, v1, a[0:3]
	v_lshrrev_b32_e32 v1, 8, v6
	s_movk_i32 s4, 0x7f
	v_cmp_gt_i16_sdwa s[6:7], v1, s4 src0_sel:BYTE_0 src1_sel:DWORD
	s_mov_b64 s[4:5], 0
                                        ; implicit-def: $sgpr10
	s_and_saveexec_b64 s[8:9], s[6:7]
	s_xor_b64 s[6:7], exec, s[8:9]
	s_cbranch_execnz .LBB1_4041
; %bb.1993:
	s_or_saveexec_b64 s[6:7], s[6:7]
	v_mov_b32_e32 v0, s10
	s_xor_b64 exec, exec, s[6:7]
	s_cbranch_execnz .LBB1_4044
.LBB1_1994:
	s_or_b64 exec, exec, s[6:7]
	s_and_saveexec_b64 s[6:7], s[4:5]
	s_cbranch_execz .LBB1_1996
.LBB1_1995:
	v_bfe_u32 v0, v6, 8, 3
	v_ffbh_u32_e32 v5, v0
	v_min_u32_e32 v5, 32, v5
	v_lshrrev_b16_e32 v4, 3, v1
	v_subrev_u32_e32 v8, 28, v5
	v_and_b32_e32 v4, 15, v4
	v_lshlrev_b32_e32 v1, v8, v1
	v_sub_u32_e32 v5, 29, v5
	v_and_b32_e32 v1, 7, v1
	v_cmp_eq_u16_e32 vcc, 0, v4
	v_cndmask_b32_e32 v0, v0, v1, vcc
	v_cndmask_b32_e32 v1, v4, v5, vcc
	v_lshlrev_b32_e32 v4, 16, v6
	v_mov_b32_e32 v5, 0x3b800000
	v_lshlrev_b32_e32 v0, 20, v0
	v_and_b32_e32 v4, 0x80000000, v4
	v_lshl_add_u32 v1, v1, 23, v5
	v_or3_b32 v0, v4, v1, v0
.LBB1_1996:
	s_or_b64 exec, exec, s[6:7]
	v_lshrrev_b32_e32 v1, 8, v2
	s_movk_i32 s4, 0x7f
	v_cmp_gt_i16_sdwa s[6:7], v1, s4 src0_sel:BYTE_0 src1_sel:DWORD
	s_mov_b64 s[4:5], 0
                                        ; implicit-def: $sgpr10
	s_and_saveexec_b64 s[8:9], s[6:7]
	s_xor_b64 s[6:7], exec, s[8:9]
	s_cbranch_execnz .LBB1_4045
; %bb.1997:
	s_or_saveexec_b64 s[6:7], s[6:7]
	v_mov_b32_e32 v4, s10
	s_xor_b64 exec, exec, s[6:7]
	s_cbranch_execnz .LBB1_4048
.LBB1_1998:
	s_or_b64 exec, exec, s[6:7]
	s_and_saveexec_b64 s[6:7], s[4:5]
	s_cbranch_execz .LBB1_2000
.LBB1_1999:
	v_bfe_u32 v4, v2, 8, 3
	v_ffbh_u32_e32 v8, v4
	v_min_u32_e32 v8, 32, v8
	v_lshrrev_b16_e32 v5, 3, v1
	v_subrev_u32_e32 v9, 28, v8
	v_and_b32_e32 v5, 15, v5
	v_lshlrev_b32_e32 v1, v9, v1
	v_sub_u32_e32 v8, 29, v8
	v_and_b32_e32 v1, 7, v1
	v_cmp_eq_u16_e32 vcc, 0, v5
	v_cndmask_b32_e32 v1, v4, v1, vcc
	v_cndmask_b32_e32 v4, v5, v8, vcc
	v_lshlrev_b32_e32 v5, 16, v2
	v_mov_b32_e32 v8, 0x3b800000
	v_lshlrev_b32_e32 v1, 20, v1
	v_and_b32_e32 v5, 0x80000000, v5
	v_lshl_add_u32 v4, v4, 23, v8
	v_or3_b32 v4, v5, v4, v1
.LBB1_2000:
	s_or_b64 exec, exec, s[6:7]
	s_nop 0
	v_mfma_f32_16x16x4f32 a[0:3], v0, v4, a[0:3]
	s_movk_i32 s4, 0xff
	v_and_b32_sdwa v1, v6, s4 dst_sel:DWORD dst_unused:UNUSED_PAD src0_sel:WORD_1 src1_sel:DWORD
	s_movk_i32 s4, 0x7f
	v_cmp_lt_i16_e32 vcc, s4, v1
	s_mov_b64 s[4:5], 0
                                        ; implicit-def: $sgpr10
	s_and_saveexec_b64 s[6:7], vcc
	s_xor_b64 s[6:7], exec, s[6:7]
	s_cbranch_execnz .LBB1_4049
; %bb.2001:
	s_or_saveexec_b64 s[6:7], s[6:7]
	v_mov_b32_e32 v0, s10
	s_xor_b64 exec, exec, s[6:7]
	s_cbranch_execnz .LBB1_4052
.LBB1_2002:
	s_or_b64 exec, exec, s[6:7]
	s_and_saveexec_b64 s[6:7], s[4:5]
	s_cbranch_execz .LBB1_2004
.LBB1_2003:
	v_bfe_u32 v0, v6, 16, 3
	v_ffbh_u32_e32 v5, v0
	v_min_u32_e32 v5, 32, v5
	v_lshrrev_b32_e32 v1, 19, v6
	v_subrev_u32_e32 v8, 28, v5
	v_and_b32_e32 v1, 15, v1
	v_lshlrev_b32_sdwa v8, v8, v6 dst_sel:DWORD dst_unused:UNUSED_PAD src0_sel:DWORD src1_sel:WORD_1
	v_bfe_u32 v4, v6, 19, 4
	v_sub_u32_e32 v5, 29, v5
	v_and_b32_e32 v8, 7, v8
	v_cmp_eq_u16_e32 vcc, 0, v1
	v_cndmask_b32_e32 v0, v0, v8, vcc
	v_cndmask_b32_e32 v1, v4, v5, vcc
	v_lshlrev_b32_e32 v4, 8, v6
	v_mov_b32_e32 v5, 0x3b800000
	v_lshlrev_b32_e32 v0, 20, v0
	v_and_b32_e32 v4, 0x80000000, v4
	v_lshl_add_u32 v1, v1, 23, v5
	v_or3_b32 v0, v4, v1, v0
.LBB1_2004:
	s_or_b64 exec, exec, s[6:7]
	s_movk_i32 s4, 0xff
	v_and_b32_sdwa v1, v2, s4 dst_sel:DWORD dst_unused:UNUSED_PAD src0_sel:WORD_1 src1_sel:DWORD
	s_movk_i32 s4, 0x7f
	v_cmp_lt_i16_e32 vcc, s4, v1
	s_mov_b64 s[4:5], 0
                                        ; implicit-def: $sgpr10
	s_and_saveexec_b64 s[6:7], vcc
	s_xor_b64 s[6:7], exec, s[6:7]
	s_cbranch_execnz .LBB1_4053
; %bb.2005:
	s_or_saveexec_b64 s[6:7], s[6:7]
	v_mov_b32_e32 v4, s10
	s_xor_b64 exec, exec, s[6:7]
	s_cbranch_execnz .LBB1_4056
.LBB1_2006:
	s_or_b64 exec, exec, s[6:7]
	s_and_saveexec_b64 s[6:7], s[4:5]
	s_cbranch_execz .LBB1_2008
.LBB1_2007:
	v_bfe_u32 v1, v2, 16, 3
	v_ffbh_u32_e32 v8, v1
	v_min_u32_e32 v8, 32, v8
	v_lshrrev_b32_e32 v4, 19, v2
	v_subrev_u32_e32 v9, 28, v8
	v_and_b32_e32 v4, 15, v4
	v_lshlrev_b32_sdwa v9, v9, v2 dst_sel:DWORD dst_unused:UNUSED_PAD src0_sel:DWORD src1_sel:WORD_1
	v_bfe_u32 v5, v2, 19, 4
	v_sub_u32_e32 v8, 29, v8
	v_and_b32_e32 v9, 7, v9
	v_cmp_eq_u16_e32 vcc, 0, v4
	v_cndmask_b32_e32 v1, v1, v9, vcc
	v_cndmask_b32_e32 v4, v5, v8, vcc
	v_lshlrev_b32_e32 v5, 8, v2
	v_mov_b32_e32 v8, 0x3b800000
	v_lshlrev_b32_e32 v1, 20, v1
	v_and_b32_e32 v5, 0x80000000, v5
	v_lshl_add_u32 v4, v4, 23, v8
	v_or3_b32 v4, v5, v4, v1
.LBB1_2008:
	s_or_b64 exec, exec, s[6:7]
	s_nop 0
	v_mfma_f32_16x16x4f32 a[0:3], v0, v4, a[0:3]
	s_movk_i32 s4, 0x7f
	v_cmp_gt_i16_sdwa s[6:7], v6, s4 src0_sel:BYTE_3 src1_sel:DWORD
	s_mov_b64 s[4:5], 0
                                        ; implicit-def: $sgpr10
	s_and_saveexec_b64 s[8:9], s[6:7]
	s_xor_b64 s[6:7], exec, s[8:9]
	s_cbranch_execnz .LBB1_4057
; %bb.2009:
	s_or_saveexec_b64 s[6:7], s[6:7]
	v_mov_b32_e32 v0, s10
	s_xor_b64 exec, exec, s[6:7]
	s_cbranch_execnz .LBB1_4060
.LBB1_2010:
	s_or_b64 exec, exec, s[6:7]
	s_and_saveexec_b64 s[6:7], s[4:5]
	s_cbranch_execz .LBB1_2012
.LBB1_2011:
	v_bfe_u32 v0, v6, 24, 3
	v_ffbh_u32_e32 v8, v0
	v_min_u32_e32 v8, 32, v8
	v_lshrrev_b32_e32 v4, 27, v6
	v_subrev_u32_e32 v9, 28, v8
	v_and_b32_e32 v1, 0x80000000, v6
	v_and_b32_e32 v4, 15, v4
	v_bfe_u32 v5, v6, 27, 4
	v_lshlrev_b32_sdwa v6, v9, v6 dst_sel:DWORD dst_unused:UNUSED_PAD src0_sel:DWORD src1_sel:BYTE_3
	v_sub_u32_e32 v8, 29, v8
	v_and_b32_e32 v6, 7, v6
	v_cmp_eq_u16_e32 vcc, 0, v4
	v_cndmask_b32_e32 v0, v0, v6, vcc
	v_cndmask_b32_e32 v4, v5, v8, vcc
	v_mov_b32_e32 v5, 0x3b800000
	v_lshlrev_b32_e32 v0, 20, v0
	v_lshl_add_u32 v4, v4, 23, v5
	v_or3_b32 v0, v1, v4, v0
.LBB1_2012:
	s_or_b64 exec, exec, s[6:7]
	s_movk_i32 s4, 0x7f
	v_cmp_gt_i16_sdwa s[6:7], v2, s4 src0_sel:BYTE_3 src1_sel:DWORD
	s_mov_b64 s[4:5], 0
                                        ; implicit-def: $sgpr10
	s_and_saveexec_b64 s[8:9], s[6:7]
	s_xor_b64 s[6:7], exec, s[8:9]
	s_cbranch_execnz .LBB1_4061
; %bb.2013:
	s_or_saveexec_b64 s[6:7], s[6:7]
	v_mov_b32_e32 v1, s10
	s_xor_b64 exec, exec, s[6:7]
	s_cbranch_execnz .LBB1_4064
.LBB1_2014:
	s_or_b64 exec, exec, s[6:7]
	s_and_saveexec_b64 s[6:7], s[4:5]
	s_cbranch_execz .LBB1_2016
.LBB1_2015:
	v_bfe_u32 v1, v2, 24, 3
	v_ffbh_u32_e32 v8, v1
	v_min_u32_e32 v8, 32, v8
	v_lshrrev_b32_e32 v5, 27, v2
	v_subrev_u32_e32 v9, 28, v8
	v_and_b32_e32 v4, 0x80000000, v2
	v_and_b32_e32 v5, 15, v5
	v_bfe_u32 v6, v2, 27, 4
	v_lshlrev_b32_sdwa v2, v9, v2 dst_sel:DWORD dst_unused:UNUSED_PAD src0_sel:DWORD src1_sel:BYTE_3
	v_sub_u32_e32 v8, 29, v8
	v_and_b32_e32 v2, 7, v2
	v_cmp_eq_u16_e32 vcc, 0, v5
	v_cndmask_b32_e32 v1, v1, v2, vcc
	v_cndmask_b32_e32 v2, v6, v8, vcc
	v_mov_b32_e32 v5, 0x3b800000
	v_lshlrev_b32_e32 v1, 20, v1
	v_lshl_add_u32 v2, v2, 23, v5
	v_or3_b32 v1, v4, v2, v1
.LBB1_2016:
	s_or_b64 exec, exec, s[6:7]
	s_nop 0
	v_mfma_f32_16x16x4f32 a[0:3], v0, v1, a[0:3]
	s_movk_i32 s4, 0x7f
	v_cmp_gt_i16_sdwa s[6:7], v7, s4 src0_sel:BYTE_0 src1_sel:DWORD
	s_mov_b64 s[4:5], 0
                                        ; implicit-def: $sgpr10
	s_and_saveexec_b64 s[8:9], s[6:7]
	s_xor_b64 s[6:7], exec, s[8:9]
	s_cbranch_execnz .LBB1_4065
; %bb.2017:
	s_or_saveexec_b64 s[6:7], s[6:7]
	v_mov_b32_e32 v0, s10
	s_xor_b64 exec, exec, s[6:7]
	s_cbranch_execnz .LBB1_4068
.LBB1_2018:
	s_or_b64 exec, exec, s[6:7]
	s_and_saveexec_b64 s[6:7], s[4:5]
	s_cbranch_execz .LBB1_2020
.LBB1_2019:
	v_mov_b32_e32 v0, 8
	v_and_b32_e32 v1, 7, v7
	v_lshrrev_b32_sdwa v0, v0, v7 dst_sel:BYTE_1 dst_unused:UNUSED_PAD src0_sel:DWORD src1_sel:DWORD
	v_ffbh_u32_e32 v2, v1
	v_or_b32_sdwa v0, v7, v0 dst_sel:DWORD dst_unused:UNUSED_PAD src0_sel:BYTE_0 src1_sel:DWORD
	v_min_u32_e32 v2, 32, v2
	v_lshrrev_b16_e32 v0, 3, v0
	v_subrev_u32_e32 v4, 28, v2
	v_and_b32_e32 v0, 15, v0
	v_lshlrev_b32_e32 v4, v4, v7
	v_sub_u32_e32 v2, 29, v2
	v_and_b32_e32 v4, 7, v4
	v_cmp_eq_u16_e32 vcc, 0, v0
	v_cndmask_b32_e32 v1, v1, v4, vcc
	v_cndmask_b32_e32 v0, v0, v2, vcc
	v_lshlrev_b32_e32 v2, 24, v7
	v_mov_b32_e32 v4, 0x3b800000
	v_lshlrev_b32_e32 v1, 20, v1
	v_and_b32_e32 v2, 0x80000000, v2
	v_lshl_add_u32 v0, v0, 23, v4
	v_or3_b32 v0, v2, v0, v1
.LBB1_2020:
	s_or_b64 exec, exec, s[6:7]
	s_movk_i32 s4, 0x7f
	v_cmp_gt_i16_sdwa s[6:7], v3, s4 src0_sel:BYTE_0 src1_sel:DWORD
	s_mov_b64 s[4:5], 0
                                        ; implicit-def: $sgpr10
	s_and_saveexec_b64 s[8:9], s[6:7]
	s_xor_b64 s[6:7], exec, s[8:9]
	s_cbranch_execnz .LBB1_4069
; %bb.2021:
	s_or_saveexec_b64 s[6:7], s[6:7]
	v_mov_b32_e32 v1, s10
	s_xor_b64 exec, exec, s[6:7]
	s_cbranch_execnz .LBB1_4072
.LBB1_2022:
	s_or_b64 exec, exec, s[6:7]
	s_and_saveexec_b64 s[6:7], s[4:5]
	s_cbranch_execz .LBB1_2024
.LBB1_2023:
	v_mov_b32_e32 v1, 8
	v_and_b32_e32 v2, 7, v3
	v_lshrrev_b32_sdwa v1, v1, v3 dst_sel:BYTE_1 dst_unused:UNUSED_PAD src0_sel:DWORD src1_sel:DWORD
	v_ffbh_u32_e32 v4, v2
	v_or_b32_sdwa v1, v3, v1 dst_sel:DWORD dst_unused:UNUSED_PAD src0_sel:BYTE_0 src1_sel:DWORD
	v_min_u32_e32 v4, 32, v4
	v_lshrrev_b16_e32 v1, 3, v1
	v_subrev_u32_e32 v5, 28, v4
	v_and_b32_e32 v1, 15, v1
	v_lshlrev_b32_e32 v5, v5, v3
	v_sub_u32_e32 v4, 29, v4
	v_and_b32_e32 v5, 7, v5
	v_cmp_eq_u16_e32 vcc, 0, v1
	v_cndmask_b32_e32 v2, v2, v5, vcc
	v_cndmask_b32_e32 v1, v1, v4, vcc
	v_lshlrev_b32_e32 v4, 24, v3
	v_mov_b32_e32 v5, 0x3b800000
	v_lshlrev_b32_e32 v2, 20, v2
	v_and_b32_e32 v4, 0x80000000, v4
	v_lshl_add_u32 v1, v1, 23, v5
	v_or3_b32 v1, v4, v1, v2
.LBB1_2024:
	s_or_b64 exec, exec, s[6:7]
	s_nop 0
	v_mfma_f32_16x16x4f32 a[0:3], v0, v1, a[0:3]
	v_lshrrev_b32_e32 v1, 8, v7
	s_movk_i32 s4, 0x7f
	v_cmp_gt_i16_sdwa s[6:7], v1, s4 src0_sel:BYTE_0 src1_sel:DWORD
	s_mov_b64 s[4:5], 0
                                        ; implicit-def: $sgpr10
	s_and_saveexec_b64 s[8:9], s[6:7]
	s_xor_b64 s[6:7], exec, s[8:9]
	s_cbranch_execnz .LBB1_4073
; %bb.2025:
	s_or_saveexec_b64 s[6:7], s[6:7]
	v_mov_b32_e32 v0, s10
	s_xor_b64 exec, exec, s[6:7]
	s_cbranch_execnz .LBB1_4076
.LBB1_2026:
	s_or_b64 exec, exec, s[6:7]
	s_and_saveexec_b64 s[6:7], s[4:5]
	s_cbranch_execz .LBB1_2028
.LBB1_2027:
	v_bfe_u32 v0, v7, 8, 3
	v_ffbh_u32_e32 v4, v0
	v_min_u32_e32 v4, 32, v4
	v_lshrrev_b16_e32 v2, 3, v1
	v_subrev_u32_e32 v5, 28, v4
	v_and_b32_e32 v2, 15, v2
	v_lshlrev_b32_e32 v1, v5, v1
	v_sub_u32_e32 v4, 29, v4
	v_and_b32_e32 v1, 7, v1
	v_cmp_eq_u16_e32 vcc, 0, v2
	v_cndmask_b32_e32 v0, v0, v1, vcc
	v_cndmask_b32_e32 v1, v2, v4, vcc
	v_lshlrev_b32_e32 v2, 16, v7
	v_mov_b32_e32 v4, 0x3b800000
	v_lshlrev_b32_e32 v0, 20, v0
	v_and_b32_e32 v2, 0x80000000, v2
	v_lshl_add_u32 v1, v1, 23, v4
	v_or3_b32 v0, v2, v1, v0
.LBB1_2028:
	s_or_b64 exec, exec, s[6:7]
	v_lshrrev_b32_e32 v1, 8, v3
	s_movk_i32 s4, 0x7f
	v_cmp_gt_i16_sdwa s[6:7], v1, s4 src0_sel:BYTE_0 src1_sel:DWORD
	s_mov_b64 s[4:5], 0
                                        ; implicit-def: $sgpr10
	s_and_saveexec_b64 s[8:9], s[6:7]
	s_xor_b64 s[6:7], exec, s[8:9]
	s_cbranch_execnz .LBB1_4077
; %bb.2029:
	s_or_saveexec_b64 s[6:7], s[6:7]
	v_mov_b32_e32 v2, s10
	s_xor_b64 exec, exec, s[6:7]
	s_cbranch_execnz .LBB1_4080
.LBB1_2030:
	s_or_b64 exec, exec, s[6:7]
	s_and_saveexec_b64 s[6:7], s[4:5]
	s_cbranch_execz .LBB1_2032
.LBB1_2031:
	v_bfe_u32 v2, v3, 8, 3
	v_ffbh_u32_e32 v5, v2
	v_min_u32_e32 v5, 32, v5
	v_lshrrev_b16_e32 v4, 3, v1
	v_subrev_u32_e32 v6, 28, v5
	v_and_b32_e32 v4, 15, v4
	v_lshlrev_b32_e32 v1, v6, v1
	v_sub_u32_e32 v5, 29, v5
	v_and_b32_e32 v1, 7, v1
	v_cmp_eq_u16_e32 vcc, 0, v4
	v_cndmask_b32_e32 v1, v2, v1, vcc
	v_cndmask_b32_e32 v2, v4, v5, vcc
	v_lshlrev_b32_e32 v4, 16, v3
	v_mov_b32_e32 v5, 0x3b800000
	v_lshlrev_b32_e32 v1, 20, v1
	v_and_b32_e32 v4, 0x80000000, v4
	v_lshl_add_u32 v2, v2, 23, v5
	v_or3_b32 v2, v4, v2, v1
.LBB1_2032:
	s_or_b64 exec, exec, s[6:7]
	s_nop 0
	v_mfma_f32_16x16x4f32 a[0:3], v0, v2, a[0:3]
	s_movk_i32 s4, 0xff
	v_and_b32_sdwa v1, v7, s4 dst_sel:DWORD dst_unused:UNUSED_PAD src0_sel:WORD_1 src1_sel:DWORD
	s_movk_i32 s4, 0x7f
	v_cmp_lt_i16_e32 vcc, s4, v1
	s_mov_b64 s[4:5], 0
                                        ; implicit-def: $sgpr10
	s_and_saveexec_b64 s[6:7], vcc
	s_xor_b64 s[6:7], exec, s[6:7]
	s_cbranch_execnz .LBB1_4081
; %bb.2033:
	s_or_saveexec_b64 s[6:7], s[6:7]
	v_mov_b32_e32 v0, s10
	s_xor_b64 exec, exec, s[6:7]
	s_cbranch_execnz .LBB1_4084
.LBB1_2034:
	s_or_b64 exec, exec, s[6:7]
	s_and_saveexec_b64 s[6:7], s[4:5]
	s_cbranch_execz .LBB1_2036
.LBB1_2035:
	v_bfe_u32 v0, v7, 16, 3
	v_ffbh_u32_e32 v4, v0
	v_min_u32_e32 v4, 32, v4
	v_lshrrev_b32_e32 v1, 19, v7
	v_subrev_u32_e32 v5, 28, v4
	v_and_b32_e32 v1, 15, v1
	v_lshlrev_b32_sdwa v5, v5, v7 dst_sel:DWORD dst_unused:UNUSED_PAD src0_sel:DWORD src1_sel:WORD_1
	v_bfe_u32 v2, v7, 19, 4
	v_sub_u32_e32 v4, 29, v4
	v_and_b32_e32 v5, 7, v5
	v_cmp_eq_u16_e32 vcc, 0, v1
	v_cndmask_b32_e32 v0, v0, v5, vcc
	v_cndmask_b32_e32 v1, v2, v4, vcc
	v_lshlrev_b32_e32 v2, 8, v7
	v_mov_b32_e32 v4, 0x3b800000
	v_lshlrev_b32_e32 v0, 20, v0
	v_and_b32_e32 v2, 0x80000000, v2
	v_lshl_add_u32 v1, v1, 23, v4
	v_or3_b32 v0, v2, v1, v0
.LBB1_2036:
	s_or_b64 exec, exec, s[6:7]
	s_movk_i32 s4, 0xff
	v_and_b32_sdwa v1, v3, s4 dst_sel:DWORD dst_unused:UNUSED_PAD src0_sel:WORD_1 src1_sel:DWORD
	s_movk_i32 s4, 0x7f
	v_cmp_lt_i16_e32 vcc, s4, v1
	s_mov_b64 s[4:5], 0
                                        ; implicit-def: $sgpr10
	s_and_saveexec_b64 s[6:7], vcc
	s_xor_b64 s[6:7], exec, s[6:7]
	s_cbranch_execnz .LBB1_4085
; %bb.2037:
	s_or_saveexec_b64 s[6:7], s[6:7]
	v_mov_b32_e32 v2, s10
	s_xor_b64 exec, exec, s[6:7]
	s_cbranch_execnz .LBB1_4088
.LBB1_2038:
	s_or_b64 exec, exec, s[6:7]
	s_and_saveexec_b64 s[6:7], s[4:5]
	s_cbranch_execz .LBB1_2040
.LBB1_2039:
	v_bfe_u32 v1, v3, 16, 3
	v_ffbh_u32_e32 v5, v1
	v_min_u32_e32 v5, 32, v5
	v_lshrrev_b32_e32 v2, 19, v3
	v_subrev_u32_e32 v6, 28, v5
	v_and_b32_e32 v2, 15, v2
	v_lshlrev_b32_sdwa v6, v6, v3 dst_sel:DWORD dst_unused:UNUSED_PAD src0_sel:DWORD src1_sel:WORD_1
	v_bfe_u32 v4, v3, 19, 4
	v_sub_u32_e32 v5, 29, v5
	v_and_b32_e32 v6, 7, v6
	v_cmp_eq_u16_e32 vcc, 0, v2
	v_cndmask_b32_e32 v1, v1, v6, vcc
	v_cndmask_b32_e32 v2, v4, v5, vcc
	v_lshlrev_b32_e32 v4, 8, v3
	v_mov_b32_e32 v5, 0x3b800000
	v_lshlrev_b32_e32 v1, 20, v1
	v_and_b32_e32 v4, 0x80000000, v4
	v_lshl_add_u32 v2, v2, 23, v5
	v_or3_b32 v2, v4, v2, v1
.LBB1_2040:
	s_or_b64 exec, exec, s[6:7]
	s_nop 0
	v_mfma_f32_16x16x4f32 a[0:3], v0, v2, a[0:3]
	s_movk_i32 s4, 0x7f
	v_cmp_gt_i16_sdwa s[6:7], v7, s4 src0_sel:BYTE_3 src1_sel:DWORD
	s_mov_b64 s[4:5], 0
                                        ; implicit-def: $sgpr10
	s_and_saveexec_b64 s[8:9], s[6:7]
	s_xor_b64 s[6:7], exec, s[8:9]
	s_cbranch_execnz .LBB1_4089
; %bb.2041:
	s_or_saveexec_b64 s[6:7], s[6:7]
	v_mov_b32_e32 v0, s10
	s_xor_b64 exec, exec, s[6:7]
	s_cbranch_execnz .LBB1_4092
.LBB1_2042:
	s_or_b64 exec, exec, s[6:7]
	s_and_saveexec_b64 s[6:7], s[4:5]
	s_cbranch_execz .LBB1_2044
.LBB1_2043:
	v_bfe_u32 v0, v7, 24, 3
	v_ffbh_u32_e32 v5, v0
	v_min_u32_e32 v5, 32, v5
	v_lshrrev_b32_e32 v2, 27, v7
	v_subrev_u32_e32 v6, 28, v5
	v_and_b32_e32 v2, 15, v2
	v_lshlrev_b32_sdwa v6, v6, v7 dst_sel:DWORD dst_unused:UNUSED_PAD src0_sel:DWORD src1_sel:BYTE_3
	v_bfe_u32 v4, v7, 27, 4
	v_sub_u32_e32 v5, 29, v5
	v_and_b32_e32 v6, 7, v6
	v_cmp_eq_u16_e32 vcc, 0, v2
	v_cndmask_b32_e32 v0, v0, v6, vcc
	v_cndmask_b32_e32 v2, v4, v5, vcc
	v_mov_b32_e32 v4, 0x3b800000
	v_and_b32_e32 v1, 0x80000000, v7
	v_lshlrev_b32_e32 v0, 20, v0
	v_lshl_add_u32 v2, v2, 23, v4
	v_or3_b32 v0, v1, v2, v0
.LBB1_2044:
	s_or_b64 exec, exec, s[6:7]
	s_movk_i32 s4, 0x7f
	v_cmp_gt_i16_sdwa s[6:7], v3, s4 src0_sel:BYTE_3 src1_sel:DWORD
	s_mov_b64 s[4:5], 0
                                        ; implicit-def: $sgpr10
	s_and_saveexec_b64 s[8:9], s[6:7]
	s_xor_b64 s[6:7], exec, s[8:9]
	s_cbranch_execnz .LBB1_4093
; %bb.2045:
	s_or_saveexec_b64 s[6:7], s[6:7]
	v_mov_b32_e32 v1, s10
	s_xor_b64 exec, exec, s[6:7]
	s_cbranch_execnz .LBB1_4096
.LBB1_2046:
	s_or_b64 exec, exec, s[6:7]
	s_and_saveexec_b64 s[6:7], s[4:5]
	s_cbranch_execz .LBB1_2048
.LBB1_2047:
	v_bfe_u32 v1, v3, 24, 3
	v_ffbh_u32_e32 v6, v1
	v_min_u32_e32 v6, 32, v6
	v_lshrrev_b32_e32 v4, 27, v3
	v_subrev_u32_e32 v7, 28, v6
	v_and_b32_e32 v2, 0x80000000, v3
	v_and_b32_e32 v4, 15, v4
	v_bfe_u32 v5, v3, 27, 4
	v_lshlrev_b32_sdwa v3, v7, v3 dst_sel:DWORD dst_unused:UNUSED_PAD src0_sel:DWORD src1_sel:BYTE_3
	v_sub_u32_e32 v6, 29, v6
	v_and_b32_e32 v3, 7, v3
	v_cmp_eq_u16_e32 vcc, 0, v4
	v_cndmask_b32_e32 v1, v1, v3, vcc
	v_cndmask_b32_e32 v3, v5, v6, vcc
	v_mov_b32_e32 v4, 0x3b800000
	v_lshlrev_b32_e32 v1, 20, v1
	v_lshl_add_u32 v3, v3, 23, v4
	v_or3_b32 v1, v2, v3, v1
.LBB1_2048:
	s_or_b64 exec, exec, s[6:7]
	s_nop 0
	v_mfma_f32_16x16x4f32 a[0:3], v0, v1, a[0:3]
	s_nop 7
	s_nop 2
	flat_store_dwordx4 v[16:17], a[0:3] offset:112
	s_waitcnt vmcnt(0) lgkmcnt(0)
	s_setpc_b64 s[30:31]
.LBB1_2049:
	s_movk_i32 s4, 0x80
	v_cmp_eq_u16_sdwa s[12:13], v14, s4 src0_sel:BYTE_0 src1_sel:DWORD
	s_mov_b64 s[4:5], -1
                                        ; implicit-def: $sgpr10
	s_and_saveexec_b64 s[8:9], s[12:13]
; %bb.2050:
	s_mov_b32 s10, 0x7f800001
	s_xor_b64 s[4:5], exec, -1
; %bb.2051:
	s_or_b64 exec, exec, s[8:9]
	s_and_b64 s[4:5], s[4:5], exec
	s_or_saveexec_b64 s[6:7], s[6:7]
	v_mov_b32_e32 v20, s10
	s_xor_b64 exec, exec, s[6:7]
	s_cbranch_execz .LBB1_2
.LBB1_2052:
	v_mov_b32_e32 v20, 0
	v_cmp_ne_u16_sdwa s[8:9], v14, v20 src0_sel:BYTE_0 src1_sel:DWORD
	s_andn2_b64 s[4:5], s[4:5], exec
	s_and_b64 s[8:9], s[8:9], exec
	s_or_b64 s[4:5], s[4:5], s[8:9]
	s_or_b64 exec, exec, s[6:7]
	s_and_saveexec_b64 s[6:7], s[4:5]
	s_cbranch_execnz .LBB1_3
	s_branch .LBB1_4
.LBB1_2053:
	s_movk_i32 s4, 0x80
	v_cmp_eq_u16_sdwa s[12:13], v10, s4 src0_sel:BYTE_0 src1_sel:DWORD
	s_mov_b64 s[4:5], -1
                                        ; implicit-def: $sgpr10
	s_and_saveexec_b64 s[8:9], s[12:13]
; %bb.2054:
	s_mov_b32 s10, 0x7f800001
	s_xor_b64 s[4:5], exec, -1
; %bb.2055:
	s_or_b64 exec, exec, s[8:9]
	s_and_b64 s[4:5], s[4:5], exec
	s_or_saveexec_b64 s[6:7], s[6:7]
	v_mov_b32_e32 v21, s10
	s_xor_b64 exec, exec, s[6:7]
	s_cbranch_execz .LBB1_6
.LBB1_2056:
	v_mov_b32_e32 v21, 0
	v_cmp_ne_u16_sdwa s[8:9], v10, v21 src0_sel:BYTE_0 src1_sel:DWORD
	s_andn2_b64 s[4:5], s[4:5], exec
	s_and_b64 s[8:9], s[8:9], exec
	s_or_b64 s[4:5], s[4:5], s[8:9]
	s_or_b64 exec, exec, s[6:7]
	s_and_saveexec_b64 s[6:7], s[4:5]
	s_cbranch_execnz .LBB1_7
	s_branch .LBB1_8
.LBB1_2057:
	s_movk_i32 s4, 0x80
	v_cmp_eq_u16_sdwa s[12:13], v21, s4 src0_sel:BYTE_0 src1_sel:DWORD
	s_mov_b64 s[4:5], -1
                                        ; implicit-def: $sgpr10
	s_and_saveexec_b64 s[8:9], s[12:13]
; %bb.2058:
	s_mov_b32 s10, 0x7f800001
	s_xor_b64 s[4:5], exec, -1
; %bb.2059:
	s_or_b64 exec, exec, s[8:9]
	s_and_b64 s[4:5], s[4:5], exec
	s_or_saveexec_b64 s[6:7], s[6:7]
	v_mov_b32_e32 v20, s10
	s_xor_b64 exec, exec, s[6:7]
	s_cbranch_execz .LBB1_10
.LBB1_2060:
	v_mov_b32_e32 v20, 0
	v_cmp_ne_u16_sdwa s[8:9], v21, v20 src0_sel:BYTE_0 src1_sel:DWORD
	s_andn2_b64 s[4:5], s[4:5], exec
	s_and_b64 s[8:9], s[8:9], exec
	s_or_b64 s[4:5], s[4:5], s[8:9]
	s_or_b64 exec, exec, s[6:7]
	s_and_saveexec_b64 s[6:7], s[4:5]
	s_cbranch_execnz .LBB1_11
	s_branch .LBB1_12
.LBB1_2061:
	s_movk_i32 s4, 0x80
	v_cmp_eq_u16_sdwa s[12:13], v21, s4 src0_sel:BYTE_0 src1_sel:DWORD
	s_mov_b64 s[4:5], -1
                                        ; implicit-def: $sgpr10
	s_and_saveexec_b64 s[8:9], s[12:13]
; %bb.2062:
	s_mov_b32 s10, 0x7f800001
	s_xor_b64 s[4:5], exec, -1
; %bb.2063:
	s_or_b64 exec, exec, s[8:9]
	s_and_b64 s[4:5], s[4:5], exec
	s_or_saveexec_b64 s[6:7], s[6:7]
	v_mov_b32_e32 v22, s10
	s_xor_b64 exec, exec, s[6:7]
	s_cbranch_execz .LBB1_14
.LBB1_2064:
	v_mov_b32_e32 v22, 0
	v_cmp_ne_u16_sdwa s[8:9], v21, v22 src0_sel:BYTE_0 src1_sel:DWORD
	s_andn2_b64 s[4:5], s[4:5], exec
	s_and_b64 s[8:9], s[8:9], exec
	s_or_b64 s[4:5], s[4:5], s[8:9]
	s_or_b64 exec, exec, s[6:7]
	s_and_saveexec_b64 s[6:7], s[4:5]
	s_cbranch_execnz .LBB1_15
	s_branch .LBB1_16
.LBB1_2065:
	s_movk_i32 s4, 0x80
	v_cmp_eq_u16_e32 vcc, s4, v21
	s_mov_b64 s[4:5], -1
                                        ; implicit-def: $sgpr10
	s_and_saveexec_b64 s[8:9], vcc
; %bb.2066:
	s_mov_b32 s10, 0x7f800001
	s_xor_b64 s[4:5], exec, -1
; %bb.2067:
	s_or_b64 exec, exec, s[8:9]
	s_and_b64 s[4:5], s[4:5], exec
                                        ; implicit-def: $vgpr21
	s_or_saveexec_b64 s[6:7], s[6:7]
	v_mov_b32_e32 v20, s10
	s_xor_b64 exec, exec, s[6:7]
	s_cbranch_execz .LBB1_18
.LBB1_2068:
	v_cmp_ne_u16_e32 vcc, 0, v21
	s_andn2_b64 s[4:5], s[4:5], exec
	s_and_b64 s[8:9], vcc, exec
	v_mov_b32_e32 v20, 0
	s_or_b64 s[4:5], s[4:5], s[8:9]
	s_or_b64 exec, exec, s[6:7]
	s_and_saveexec_b64 s[6:7], s[4:5]
	s_cbranch_execnz .LBB1_19
	s_branch .LBB1_20
.LBB1_2069:
	s_movk_i32 s4, 0x80
	v_cmp_eq_u16_e32 vcc, s4, v21
	s_mov_b64 s[4:5], -1
                                        ; implicit-def: $sgpr10
	s_and_saveexec_b64 s[8:9], vcc
; %bb.2070:
	s_mov_b32 s10, 0x7f800001
	s_xor_b64 s[4:5], exec, -1
; %bb.2071:
	s_or_b64 exec, exec, s[8:9]
	s_and_b64 s[4:5], s[4:5], exec
                                        ; implicit-def: $vgpr21
	s_or_saveexec_b64 s[6:7], s[6:7]
	v_mov_b32_e32 v22, s10
	s_xor_b64 exec, exec, s[6:7]
	s_cbranch_execz .LBB1_22
.LBB1_2072:
	v_cmp_ne_u16_e32 vcc, 0, v21
	s_andn2_b64 s[4:5], s[4:5], exec
	s_and_b64 s[8:9], vcc, exec
	v_mov_b32_e32 v22, 0
	s_or_b64 s[4:5], s[4:5], s[8:9]
	s_or_b64 exec, exec, s[6:7]
	s_and_saveexec_b64 s[6:7], s[4:5]
	s_cbranch_execnz .LBB1_23
	s_branch .LBB1_24
.LBB1_2073:
	s_movk_i32 s4, 0x80
	v_cmp_eq_u16_sdwa s[12:13], v14, s4 src0_sel:BYTE_3 src1_sel:DWORD
	s_mov_b64 s[4:5], -1
                                        ; implicit-def: $sgpr10
	s_and_saveexec_b64 s[8:9], s[12:13]
; %bb.2074:
	s_mov_b32 s10, 0x7f800001
	s_xor_b64 s[4:5], exec, -1
; %bb.2075:
	s_or_b64 exec, exec, s[8:9]
	s_and_b64 s[4:5], s[4:5], exec
	s_or_saveexec_b64 s[6:7], s[6:7]
	v_mov_b32_e32 v20, s10
	s_xor_b64 exec, exec, s[6:7]
	s_cbranch_execz .LBB1_26
.LBB1_2076:
	v_mov_b32_e32 v20, 0
	v_cmp_ne_u16_sdwa s[8:9], v14, v20 src0_sel:BYTE_3 src1_sel:DWORD
	s_andn2_b64 s[4:5], s[4:5], exec
	s_and_b64 s[8:9], s[8:9], exec
	s_or_b64 s[4:5], s[4:5], s[8:9]
	s_or_b64 exec, exec, s[6:7]
	s_and_saveexec_b64 s[6:7], s[4:5]
	s_cbranch_execnz .LBB1_27
	s_branch .LBB1_28
.LBB1_2077:
	s_movk_i32 s4, 0x80
	v_cmp_eq_u16_sdwa s[12:13], v10, s4 src0_sel:BYTE_3 src1_sel:DWORD
	s_mov_b64 s[4:5], -1
                                        ; implicit-def: $sgpr10
	s_and_saveexec_b64 s[8:9], s[12:13]
; %bb.2078:
	s_mov_b32 s10, 0x7f800001
	s_xor_b64 s[4:5], exec, -1
; %bb.2079:
	s_or_b64 exec, exec, s[8:9]
	s_and_b64 s[4:5], s[4:5], exec
	s_or_saveexec_b64 s[6:7], s[6:7]
	v_mov_b32_e32 v14, s10
	s_xor_b64 exec, exec, s[6:7]
	s_cbranch_execz .LBB1_30
.LBB1_2080:
	v_mov_b32_e32 v14, 0
	v_cmp_ne_u16_sdwa s[8:9], v10, v14 src0_sel:BYTE_3 src1_sel:DWORD
	s_andn2_b64 s[4:5], s[4:5], exec
	s_and_b64 s[8:9], s[8:9], exec
	s_or_b64 s[4:5], s[4:5], s[8:9]
	s_or_b64 exec, exec, s[6:7]
	s_and_saveexec_b64 s[6:7], s[4:5]
	s_cbranch_execnz .LBB1_31
	s_branch .LBB1_32
.LBB1_2081:
	s_movk_i32 s4, 0x80
	v_cmp_eq_u16_sdwa s[12:13], v15, s4 src0_sel:BYTE_0 src1_sel:DWORD
	s_mov_b64 s[4:5], -1
                                        ; implicit-def: $sgpr10
	s_and_saveexec_b64 s[8:9], s[12:13]
; %bb.2082:
	s_mov_b32 s10, 0x7f800001
	s_xor_b64 s[4:5], exec, -1
; %bb.2083:
	s_or_b64 exec, exec, s[8:9]
	s_and_b64 s[4:5], s[4:5], exec
	s_or_saveexec_b64 s[6:7], s[6:7]
	v_mov_b32_e32 v10, s10
	s_xor_b64 exec, exec, s[6:7]
	s_cbranch_execz .LBB1_34
.LBB1_2084:
	v_mov_b32_e32 v10, 0
	v_cmp_ne_u16_sdwa s[8:9], v15, v10 src0_sel:BYTE_0 src1_sel:DWORD
	s_andn2_b64 s[4:5], s[4:5], exec
	s_and_b64 s[8:9], s[8:9], exec
	s_or_b64 s[4:5], s[4:5], s[8:9]
	s_or_b64 exec, exec, s[6:7]
	s_and_saveexec_b64 s[6:7], s[4:5]
	s_cbranch_execnz .LBB1_35
	s_branch .LBB1_36
.LBB1_2085:
	s_movk_i32 s4, 0x80
	v_cmp_eq_u16_sdwa s[12:13], v11, s4 src0_sel:BYTE_0 src1_sel:DWORD
	s_mov_b64 s[4:5], -1
                                        ; implicit-def: $sgpr10
	s_and_saveexec_b64 s[8:9], s[12:13]
; %bb.2086:
	s_mov_b32 s10, 0x7f800001
	s_xor_b64 s[4:5], exec, -1
; %bb.2087:
	s_or_b64 exec, exec, s[8:9]
	s_and_b64 s[4:5], s[4:5], exec
	s_or_saveexec_b64 s[6:7], s[6:7]
	v_mov_b32_e32 v14, s10
	s_xor_b64 exec, exec, s[6:7]
	s_cbranch_execz .LBB1_38
.LBB1_2088:
	v_mov_b32_e32 v14, 0
	v_cmp_ne_u16_sdwa s[8:9], v11, v14 src0_sel:BYTE_0 src1_sel:DWORD
	s_andn2_b64 s[4:5], s[4:5], exec
	s_and_b64 s[8:9], s[8:9], exec
	s_or_b64 s[4:5], s[4:5], s[8:9]
	s_or_b64 exec, exec, s[6:7]
	s_and_saveexec_b64 s[6:7], s[4:5]
	s_cbranch_execnz .LBB1_39
	s_branch .LBB1_40
.LBB1_2089:
	s_movk_i32 s4, 0x80
	v_cmp_eq_u16_sdwa s[12:13], v14, s4 src0_sel:BYTE_0 src1_sel:DWORD
	s_mov_b64 s[4:5], -1
                                        ; implicit-def: $sgpr10
	s_and_saveexec_b64 s[8:9], s[12:13]
; %bb.2090:
	s_mov_b32 s10, 0x7f800001
	s_xor_b64 s[4:5], exec, -1
; %bb.2091:
	s_or_b64 exec, exec, s[8:9]
	s_and_b64 s[4:5], s[4:5], exec
	s_or_saveexec_b64 s[6:7], s[6:7]
	v_mov_b32_e32 v10, s10
	s_xor_b64 exec, exec, s[6:7]
	s_cbranch_execz .LBB1_42
.LBB1_2092:
	v_mov_b32_e32 v10, 0
	v_cmp_ne_u16_sdwa s[8:9], v14, v10 src0_sel:BYTE_0 src1_sel:DWORD
	s_andn2_b64 s[4:5], s[4:5], exec
	s_and_b64 s[8:9], s[8:9], exec
	s_or_b64 s[4:5], s[4:5], s[8:9]
	s_or_b64 exec, exec, s[6:7]
	s_and_saveexec_b64 s[6:7], s[4:5]
	s_cbranch_execnz .LBB1_43
	s_branch .LBB1_44
.LBB1_2093:
	s_movk_i32 s4, 0x80
	v_cmp_eq_u16_sdwa s[12:13], v14, s4 src0_sel:BYTE_0 src1_sel:DWORD
	s_mov_b64 s[4:5], -1
                                        ; implicit-def: $sgpr10
	s_and_saveexec_b64 s[8:9], s[12:13]
; %bb.2094:
	s_mov_b32 s10, 0x7f800001
	s_xor_b64 s[4:5], exec, -1
; %bb.2095:
	s_or_b64 exec, exec, s[8:9]
	s_and_b64 s[4:5], s[4:5], exec
	s_or_saveexec_b64 s[6:7], s[6:7]
	v_mov_b32_e32 v20, s10
	s_xor_b64 exec, exec, s[6:7]
	s_cbranch_execz .LBB1_46
.LBB1_2096:
	v_mov_b32_e32 v20, 0
	v_cmp_ne_u16_sdwa s[8:9], v14, v20 src0_sel:BYTE_0 src1_sel:DWORD
	s_andn2_b64 s[4:5], s[4:5], exec
	s_and_b64 s[8:9], s[8:9], exec
	s_or_b64 s[4:5], s[4:5], s[8:9]
	s_or_b64 exec, exec, s[6:7]
	s_and_saveexec_b64 s[6:7], s[4:5]
	s_cbranch_execnz .LBB1_47
	s_branch .LBB1_48
.LBB1_2097:
	s_movk_i32 s4, 0x80
	v_cmp_eq_u16_e32 vcc, s4, v14
	s_mov_b64 s[4:5], -1
                                        ; implicit-def: $sgpr10
	s_and_saveexec_b64 s[8:9], vcc
; %bb.2098:
	s_mov_b32 s10, 0x7f800001
	s_xor_b64 s[4:5], exec, -1
; %bb.2099:
	s_or_b64 exec, exec, s[8:9]
	s_and_b64 s[4:5], s[4:5], exec
                                        ; implicit-def: $vgpr14
	s_or_saveexec_b64 s[6:7], s[6:7]
	v_mov_b32_e32 v10, s10
	s_xor_b64 exec, exec, s[6:7]
	s_cbranch_execz .LBB1_50
.LBB1_2100:
	v_cmp_ne_u16_e32 vcc, 0, v14
	s_andn2_b64 s[4:5], s[4:5], exec
	s_and_b64 s[8:9], vcc, exec
	v_mov_b32_e32 v10, 0
	s_or_b64 s[4:5], s[4:5], s[8:9]
	s_or_b64 exec, exec, s[6:7]
	s_and_saveexec_b64 s[6:7], s[4:5]
	s_cbranch_execnz .LBB1_51
	s_branch .LBB1_52
.LBB1_2101:
	s_movk_i32 s4, 0x80
	v_cmp_eq_u16_e32 vcc, s4, v14
	s_mov_b64 s[4:5], -1
                                        ; implicit-def: $sgpr10
	s_and_saveexec_b64 s[8:9], vcc
; %bb.2102:
	s_mov_b32 s10, 0x7f800001
	s_xor_b64 s[4:5], exec, -1
; %bb.2103:
	s_or_b64 exec, exec, s[8:9]
	s_and_b64 s[4:5], s[4:5], exec
                                        ; implicit-def: $vgpr14
	s_or_saveexec_b64 s[6:7], s[6:7]
	v_mov_b32_e32 v20, s10
	s_xor_b64 exec, exec, s[6:7]
	s_cbranch_execz .LBB1_54
.LBB1_2104:
	v_cmp_ne_u16_e32 vcc, 0, v14
	s_andn2_b64 s[4:5], s[4:5], exec
	s_and_b64 s[8:9], vcc, exec
	v_mov_b32_e32 v20, 0
	s_or_b64 s[4:5], s[4:5], s[8:9]
	s_or_b64 exec, exec, s[6:7]
	s_and_saveexec_b64 s[6:7], s[4:5]
	s_cbranch_execnz .LBB1_55
	s_branch .LBB1_56
.LBB1_2105:
	s_movk_i32 s4, 0x80
	v_cmp_eq_u16_sdwa s[12:13], v15, s4 src0_sel:BYTE_3 src1_sel:DWORD
	s_mov_b64 s[4:5], -1
                                        ; implicit-def: $sgpr10
	s_and_saveexec_b64 s[8:9], s[12:13]
; %bb.2106:
	s_mov_b32 s10, 0x7f800001
	s_xor_b64 s[4:5], exec, -1
; %bb.2107:
	s_or_b64 exec, exec, s[8:9]
	s_and_b64 s[4:5], s[4:5], exec
	s_or_saveexec_b64 s[6:7], s[6:7]
	v_mov_b32_e32 v10, s10
	s_xor_b64 exec, exec, s[6:7]
	s_cbranch_execz .LBB1_58
.LBB1_2108:
	v_mov_b32_e32 v10, 0
	v_cmp_ne_u16_sdwa s[8:9], v15, v10 src0_sel:BYTE_3 src1_sel:DWORD
	s_andn2_b64 s[4:5], s[4:5], exec
	s_and_b64 s[8:9], s[8:9], exec
	s_or_b64 s[4:5], s[4:5], s[8:9]
	s_or_b64 exec, exec, s[6:7]
	s_and_saveexec_b64 s[6:7], s[4:5]
	s_cbranch_execnz .LBB1_59
	s_branch .LBB1_60
.LBB1_2109:
	s_movk_i32 s4, 0x80
	v_cmp_eq_u16_sdwa s[12:13], v11, s4 src0_sel:BYTE_3 src1_sel:DWORD
	s_mov_b64 s[4:5], -1
                                        ; implicit-def: $sgpr10
	s_and_saveexec_b64 s[8:9], s[12:13]
; %bb.2110:
	s_mov_b32 s10, 0x7f800001
	s_xor_b64 s[4:5], exec, -1
; %bb.2111:
	s_or_b64 exec, exec, s[8:9]
	s_and_b64 s[4:5], s[4:5], exec
	s_or_saveexec_b64 s[6:7], s[6:7]
	v_mov_b32_e32 v14, s10
	s_xor_b64 exec, exec, s[6:7]
	s_cbranch_execz .LBB1_62
.LBB1_2112:
	v_mov_b32_e32 v14, 0
	v_cmp_ne_u16_sdwa s[8:9], v11, v14 src0_sel:BYTE_3 src1_sel:DWORD
	s_andn2_b64 s[4:5], s[4:5], exec
	s_and_b64 s[8:9], s[8:9], exec
	s_or_b64 s[4:5], s[4:5], s[8:9]
	s_or_b64 exec, exec, s[6:7]
	s_and_saveexec_b64 s[6:7], s[4:5]
	s_cbranch_execnz .LBB1_63
	s_branch .LBB1_64
.LBB1_2113:
	s_movk_i32 s4, 0x80
	v_cmp_eq_u16_sdwa s[12:13], v16, s4 src0_sel:BYTE_0 src1_sel:DWORD
	s_mov_b64 s[4:5], -1
                                        ; implicit-def: $sgpr10
	s_and_saveexec_b64 s[8:9], s[12:13]
; %bb.2114:
	s_mov_b32 s10, 0x7f800001
	s_xor_b64 s[4:5], exec, -1
; %bb.2115:
	s_or_b64 exec, exec, s[8:9]
	s_and_b64 s[4:5], s[4:5], exec
	s_or_saveexec_b64 s[6:7], s[6:7]
	v_mov_b32_e32 v10, s10
	s_xor_b64 exec, exec, s[6:7]
	s_cbranch_execz .LBB1_66
.LBB1_2116:
	v_mov_b32_e32 v10, 0
	v_cmp_ne_u16_sdwa s[8:9], v16, v10 src0_sel:BYTE_0 src1_sel:DWORD
	s_andn2_b64 s[4:5], s[4:5], exec
	s_and_b64 s[8:9], s[8:9], exec
	s_or_b64 s[4:5], s[4:5], s[8:9]
	s_or_b64 exec, exec, s[6:7]
	s_and_saveexec_b64 s[6:7], s[4:5]
	s_cbranch_execnz .LBB1_67
	s_branch .LBB1_68
.LBB1_2117:
	s_movk_i32 s4, 0x80
	v_cmp_eq_u16_sdwa s[12:13], v12, s4 src0_sel:BYTE_0 src1_sel:DWORD
	s_mov_b64 s[4:5], -1
                                        ; implicit-def: $sgpr10
	s_and_saveexec_b64 s[8:9], s[12:13]
; %bb.2118:
	s_mov_b32 s10, 0x7f800001
	s_xor_b64 s[4:5], exec, -1
; %bb.2119:
	s_or_b64 exec, exec, s[8:9]
	s_and_b64 s[4:5], s[4:5], exec
	s_or_saveexec_b64 s[6:7], s[6:7]
	v_mov_b32_e32 v11, s10
	s_xor_b64 exec, exec, s[6:7]
	s_cbranch_execz .LBB1_70
.LBB1_2120:
	v_mov_b32_e32 v11, 0
	v_cmp_ne_u16_sdwa s[8:9], v12, v11 src0_sel:BYTE_0 src1_sel:DWORD
	s_andn2_b64 s[4:5], s[4:5], exec
	s_and_b64 s[8:9], s[8:9], exec
	s_or_b64 s[4:5], s[4:5], s[8:9]
	s_or_b64 exec, exec, s[6:7]
	s_and_saveexec_b64 s[6:7], s[4:5]
	s_cbranch_execnz .LBB1_71
	s_branch .LBB1_72
.LBB1_2121:
	s_movk_i32 s4, 0x80
	v_cmp_eq_u16_sdwa s[12:13], v11, s4 src0_sel:BYTE_0 src1_sel:DWORD
	s_mov_b64 s[4:5], -1
                                        ; implicit-def: $sgpr10
	s_and_saveexec_b64 s[8:9], s[12:13]
; %bb.2122:
	s_mov_b32 s10, 0x7f800001
	s_xor_b64 s[4:5], exec, -1
; %bb.2123:
	s_or_b64 exec, exec, s[8:9]
	s_and_b64 s[4:5], s[4:5], exec
	s_or_saveexec_b64 s[6:7], s[6:7]
	v_mov_b32_e32 v10, s10
	s_xor_b64 exec, exec, s[6:7]
	s_cbranch_execz .LBB1_74
.LBB1_2124:
	v_mov_b32_e32 v10, 0
	v_cmp_ne_u16_sdwa s[8:9], v11, v10 src0_sel:BYTE_0 src1_sel:DWORD
	s_andn2_b64 s[4:5], s[4:5], exec
	s_and_b64 s[8:9], s[8:9], exec
	s_or_b64 s[4:5], s[4:5], s[8:9]
	s_or_b64 exec, exec, s[6:7]
	s_and_saveexec_b64 s[6:7], s[4:5]
	s_cbranch_execnz .LBB1_75
	s_branch .LBB1_76
.LBB1_2125:
	s_movk_i32 s4, 0x80
	v_cmp_eq_u16_sdwa s[12:13], v11, s4 src0_sel:BYTE_0 src1_sel:DWORD
	s_mov_b64 s[4:5], -1
                                        ; implicit-def: $sgpr10
	s_and_saveexec_b64 s[8:9], s[12:13]
; %bb.2126:
	s_mov_b32 s10, 0x7f800001
	s_xor_b64 s[4:5], exec, -1
; %bb.2127:
	s_or_b64 exec, exec, s[8:9]
	s_and_b64 s[4:5], s[4:5], exec
	s_or_saveexec_b64 s[6:7], s[6:7]
	v_mov_b32_e32 v14, s10
	s_xor_b64 exec, exec, s[6:7]
	s_cbranch_execz .LBB1_78
.LBB1_2128:
	v_mov_b32_e32 v14, 0
	v_cmp_ne_u16_sdwa s[8:9], v11, v14 src0_sel:BYTE_0 src1_sel:DWORD
	s_andn2_b64 s[4:5], s[4:5], exec
	s_and_b64 s[8:9], s[8:9], exec
	s_or_b64 s[4:5], s[4:5], s[8:9]
	s_or_b64 exec, exec, s[6:7]
	s_and_saveexec_b64 s[6:7], s[4:5]
	s_cbranch_execnz .LBB1_79
	s_branch .LBB1_80
.LBB1_2129:
	s_movk_i32 s4, 0x80
	v_cmp_eq_u16_e32 vcc, s4, v11
	s_mov_b64 s[4:5], -1
                                        ; implicit-def: $sgpr10
	s_and_saveexec_b64 s[8:9], vcc
; %bb.2130:
	s_mov_b32 s10, 0x7f800001
	s_xor_b64 s[4:5], exec, -1
; %bb.2131:
	s_or_b64 exec, exec, s[8:9]
	s_and_b64 s[4:5], s[4:5], exec
                                        ; implicit-def: $vgpr11
	s_or_saveexec_b64 s[6:7], s[6:7]
	v_mov_b32_e32 v10, s10
	s_xor_b64 exec, exec, s[6:7]
	s_cbranch_execz .LBB1_82
.LBB1_2132:
	v_cmp_ne_u16_e32 vcc, 0, v11
	s_andn2_b64 s[4:5], s[4:5], exec
	s_and_b64 s[8:9], vcc, exec
	v_mov_b32_e32 v10, 0
	s_or_b64 s[4:5], s[4:5], s[8:9]
	s_or_b64 exec, exec, s[6:7]
	s_and_saveexec_b64 s[6:7], s[4:5]
	s_cbranch_execnz .LBB1_83
	s_branch .LBB1_84
.LBB1_2133:
	s_movk_i32 s4, 0x80
	v_cmp_eq_u16_e32 vcc, s4, v11
	s_mov_b64 s[4:5], -1
                                        ; implicit-def: $sgpr10
	s_and_saveexec_b64 s[8:9], vcc
; %bb.2134:
	s_mov_b32 s10, 0x7f800001
	s_xor_b64 s[4:5], exec, -1
; %bb.2135:
	s_or_b64 exec, exec, s[8:9]
	s_and_b64 s[4:5], s[4:5], exec
                                        ; implicit-def: $vgpr11
	s_or_saveexec_b64 s[6:7], s[6:7]
	v_mov_b32_e32 v14, s10
	s_xor_b64 exec, exec, s[6:7]
	s_cbranch_execz .LBB1_86
.LBB1_2136:
	v_cmp_ne_u16_e32 vcc, 0, v11
	s_andn2_b64 s[4:5], s[4:5], exec
	s_and_b64 s[8:9], vcc, exec
	v_mov_b32_e32 v14, 0
	s_or_b64 s[4:5], s[4:5], s[8:9]
	s_or_b64 exec, exec, s[6:7]
	s_and_saveexec_b64 s[6:7], s[4:5]
	s_cbranch_execnz .LBB1_87
	s_branch .LBB1_88
.LBB1_2137:
	s_movk_i32 s4, 0x80
	v_cmp_eq_u16_sdwa s[12:13], v16, s4 src0_sel:BYTE_3 src1_sel:DWORD
	s_mov_b64 s[4:5], -1
                                        ; implicit-def: $sgpr10
	s_and_saveexec_b64 s[8:9], s[12:13]
; %bb.2138:
	s_mov_b32 s10, 0x7f800001
	s_xor_b64 s[4:5], exec, -1
; %bb.2139:
	s_or_b64 exec, exec, s[8:9]
	s_and_b64 s[4:5], s[4:5], exec
	s_or_saveexec_b64 s[6:7], s[6:7]
	v_mov_b32_e32 v10, s10
	s_xor_b64 exec, exec, s[6:7]
	s_cbranch_execz .LBB1_90
.LBB1_2140:
	v_mov_b32_e32 v10, 0
	v_cmp_ne_u16_sdwa s[8:9], v16, v10 src0_sel:BYTE_3 src1_sel:DWORD
	s_andn2_b64 s[4:5], s[4:5], exec
	s_and_b64 s[8:9], s[8:9], exec
	s_or_b64 s[4:5], s[4:5], s[8:9]
	s_or_b64 exec, exec, s[6:7]
	s_and_saveexec_b64 s[6:7], s[4:5]
	s_cbranch_execnz .LBB1_91
	s_branch .LBB1_92
.LBB1_2141:
	s_movk_i32 s4, 0x80
	v_cmp_eq_u16_sdwa s[12:13], v12, s4 src0_sel:BYTE_3 src1_sel:DWORD
	s_mov_b64 s[4:5], -1
                                        ; implicit-def: $sgpr10
	s_and_saveexec_b64 s[8:9], s[12:13]
; %bb.2142:
	s_mov_b32 s10, 0x7f800001
	s_xor_b64 s[4:5], exec, -1
; %bb.2143:
	s_or_b64 exec, exec, s[8:9]
	s_and_b64 s[4:5], s[4:5], exec
	s_or_saveexec_b64 s[6:7], s[6:7]
	v_mov_b32_e32 v11, s10
	s_xor_b64 exec, exec, s[6:7]
	s_cbranch_execz .LBB1_94
.LBB1_2144:
	v_mov_b32_e32 v11, 0
	v_cmp_ne_u16_sdwa s[8:9], v12, v11 src0_sel:BYTE_3 src1_sel:DWORD
	s_andn2_b64 s[4:5], s[4:5], exec
	s_and_b64 s[8:9], s[8:9], exec
	s_or_b64 s[4:5], s[4:5], s[8:9]
	s_or_b64 exec, exec, s[6:7]
	s_and_saveexec_b64 s[6:7], s[4:5]
	s_cbranch_execnz .LBB1_95
	s_branch .LBB1_96
.LBB1_2145:
	s_movk_i32 s4, 0x80
	v_cmp_eq_u16_sdwa s[12:13], v17, s4 src0_sel:BYTE_0 src1_sel:DWORD
	s_mov_b64 s[4:5], -1
                                        ; implicit-def: $sgpr10
	s_and_saveexec_b64 s[8:9], s[12:13]
; %bb.2146:
	s_mov_b32 s10, 0x7f800001
	s_xor_b64 s[4:5], exec, -1
; %bb.2147:
	s_or_b64 exec, exec, s[8:9]
	s_and_b64 s[4:5], s[4:5], exec
	s_or_saveexec_b64 s[6:7], s[6:7]
	v_mov_b32_e32 v10, s10
	s_xor_b64 exec, exec, s[6:7]
	s_cbranch_execz .LBB1_98
.LBB1_2148:
	v_mov_b32_e32 v10, 0
	v_cmp_ne_u16_sdwa s[8:9], v17, v10 src0_sel:BYTE_0 src1_sel:DWORD
	s_andn2_b64 s[4:5], s[4:5], exec
	s_and_b64 s[8:9], s[8:9], exec
	s_or_b64 s[4:5], s[4:5], s[8:9]
	s_or_b64 exec, exec, s[6:7]
	s_and_saveexec_b64 s[6:7], s[4:5]
	s_cbranch_execnz .LBB1_99
	s_branch .LBB1_100
.LBB1_2149:
	s_movk_i32 s4, 0x80
	v_cmp_eq_u16_sdwa s[12:13], v13, s4 src0_sel:BYTE_0 src1_sel:DWORD
	s_mov_b64 s[4:5], -1
                                        ; implicit-def: $sgpr10
	s_and_saveexec_b64 s[8:9], s[12:13]
; %bb.2150:
	s_mov_b32 s10, 0x7f800001
	s_xor_b64 s[4:5], exec, -1
; %bb.2151:
	s_or_b64 exec, exec, s[8:9]
	s_and_b64 s[4:5], s[4:5], exec
	s_or_saveexec_b64 s[6:7], s[6:7]
	v_mov_b32_e32 v11, s10
	s_xor_b64 exec, exec, s[6:7]
	s_cbranch_execz .LBB1_102
.LBB1_2152:
	v_mov_b32_e32 v11, 0
	v_cmp_ne_u16_sdwa s[8:9], v13, v11 src0_sel:BYTE_0 src1_sel:DWORD
	s_andn2_b64 s[4:5], s[4:5], exec
	s_and_b64 s[8:9], s[8:9], exec
	s_or_b64 s[4:5], s[4:5], s[8:9]
	s_or_b64 exec, exec, s[6:7]
	s_and_saveexec_b64 s[6:7], s[4:5]
	s_cbranch_execnz .LBB1_103
	s_branch .LBB1_104
.LBB1_2153:
	s_movk_i32 s4, 0x80
	v_cmp_eq_u16_sdwa s[12:13], v11, s4 src0_sel:BYTE_0 src1_sel:DWORD
	s_mov_b64 s[4:5], -1
                                        ; implicit-def: $sgpr10
	s_and_saveexec_b64 s[8:9], s[12:13]
; %bb.2154:
	s_mov_b32 s10, 0x7f800001
	s_xor_b64 s[4:5], exec, -1
; %bb.2155:
	s_or_b64 exec, exec, s[8:9]
	s_and_b64 s[4:5], s[4:5], exec
	s_or_saveexec_b64 s[6:7], s[6:7]
	v_mov_b32_e32 v10, s10
	s_xor_b64 exec, exec, s[6:7]
	s_cbranch_execz .LBB1_106
.LBB1_2156:
	v_mov_b32_e32 v10, 0
	v_cmp_ne_u16_sdwa s[8:9], v11, v10 src0_sel:BYTE_0 src1_sel:DWORD
	s_andn2_b64 s[4:5], s[4:5], exec
	s_and_b64 s[8:9], s[8:9], exec
	s_or_b64 s[4:5], s[4:5], s[8:9]
	s_or_b64 exec, exec, s[6:7]
	s_and_saveexec_b64 s[6:7], s[4:5]
	s_cbranch_execnz .LBB1_107
	s_branch .LBB1_108
.LBB1_2157:
	s_movk_i32 s4, 0x80
	v_cmp_eq_u16_sdwa s[12:13], v11, s4 src0_sel:BYTE_0 src1_sel:DWORD
	s_mov_b64 s[4:5], -1
                                        ; implicit-def: $sgpr10
	s_and_saveexec_b64 s[8:9], s[12:13]
; %bb.2158:
	s_mov_b32 s10, 0x7f800001
	s_xor_b64 s[4:5], exec, -1
; %bb.2159:
	s_or_b64 exec, exec, s[8:9]
	s_and_b64 s[4:5], s[4:5], exec
	s_or_saveexec_b64 s[6:7], s[6:7]
	v_mov_b32_e32 v12, s10
	s_xor_b64 exec, exec, s[6:7]
	s_cbranch_execz .LBB1_110
.LBB1_2160:
	v_mov_b32_e32 v12, 0
	v_cmp_ne_u16_sdwa s[8:9], v11, v12 src0_sel:BYTE_0 src1_sel:DWORD
	s_andn2_b64 s[4:5], s[4:5], exec
	s_and_b64 s[8:9], s[8:9], exec
	s_or_b64 s[4:5], s[4:5], s[8:9]
	s_or_b64 exec, exec, s[6:7]
	s_and_saveexec_b64 s[6:7], s[4:5]
	s_cbranch_execnz .LBB1_111
	s_branch .LBB1_112
.LBB1_2161:
	s_movk_i32 s4, 0x80
	v_cmp_eq_u16_e32 vcc, s4, v11
	s_mov_b64 s[4:5], -1
                                        ; implicit-def: $sgpr10
	s_and_saveexec_b64 s[8:9], vcc
; %bb.2162:
	s_mov_b32 s10, 0x7f800001
	s_xor_b64 s[4:5], exec, -1
; %bb.2163:
	s_or_b64 exec, exec, s[8:9]
	s_and_b64 s[4:5], s[4:5], exec
                                        ; implicit-def: $vgpr11
	s_or_saveexec_b64 s[6:7], s[6:7]
	v_mov_b32_e32 v10, s10
	s_xor_b64 exec, exec, s[6:7]
	s_cbranch_execz .LBB1_114
.LBB1_2164:
	v_cmp_ne_u16_e32 vcc, 0, v11
	s_andn2_b64 s[4:5], s[4:5], exec
	s_and_b64 s[8:9], vcc, exec
	v_mov_b32_e32 v10, 0
	s_or_b64 s[4:5], s[4:5], s[8:9]
	s_or_b64 exec, exec, s[6:7]
	s_and_saveexec_b64 s[6:7], s[4:5]
	s_cbranch_execnz .LBB1_115
	s_branch .LBB1_116
.LBB1_2165:
	s_movk_i32 s4, 0x80
	v_cmp_eq_u16_e32 vcc, s4, v11
	s_mov_b64 s[4:5], -1
                                        ; implicit-def: $sgpr10
	s_and_saveexec_b64 s[8:9], vcc
; %bb.2166:
	s_mov_b32 s10, 0x7f800001
	s_xor_b64 s[4:5], exec, -1
; %bb.2167:
	s_or_b64 exec, exec, s[8:9]
	s_and_b64 s[4:5], s[4:5], exec
                                        ; implicit-def: $vgpr11
	s_or_saveexec_b64 s[6:7], s[6:7]
	v_mov_b32_e32 v12, s10
	s_xor_b64 exec, exec, s[6:7]
	s_cbranch_execz .LBB1_118
.LBB1_2168:
	v_cmp_ne_u16_e32 vcc, 0, v11
	s_andn2_b64 s[4:5], s[4:5], exec
	s_and_b64 s[8:9], vcc, exec
	v_mov_b32_e32 v12, 0
	s_or_b64 s[4:5], s[4:5], s[8:9]
	s_or_b64 exec, exec, s[6:7]
	s_and_saveexec_b64 s[6:7], s[4:5]
	s_cbranch_execnz .LBB1_119
	s_branch .LBB1_120
.LBB1_2169:
	s_movk_i32 s4, 0x80
	v_cmp_eq_u16_sdwa s[12:13], v17, s4 src0_sel:BYTE_3 src1_sel:DWORD
	s_mov_b64 s[4:5], -1
                                        ; implicit-def: $sgpr10
	s_and_saveexec_b64 s[8:9], s[12:13]
; %bb.2170:
	s_mov_b32 s10, 0x7f800001
	s_xor_b64 s[4:5], exec, -1
; %bb.2171:
	s_or_b64 exec, exec, s[8:9]
	s_and_b64 s[4:5], s[4:5], exec
	s_or_saveexec_b64 s[6:7], s[6:7]
	v_mov_b32_e32 v10, s10
	s_xor_b64 exec, exec, s[6:7]
	s_cbranch_execz .LBB1_122
.LBB1_2172:
	v_mov_b32_e32 v10, 0
	v_cmp_ne_u16_sdwa s[8:9], v17, v10 src0_sel:BYTE_3 src1_sel:DWORD
	s_andn2_b64 s[4:5], s[4:5], exec
	s_and_b64 s[8:9], s[8:9], exec
	s_or_b64 s[4:5], s[4:5], s[8:9]
	s_or_b64 exec, exec, s[6:7]
	s_and_saveexec_b64 s[6:7], s[4:5]
	s_cbranch_execnz .LBB1_123
	s_branch .LBB1_124
.LBB1_2173:
	s_movk_i32 s4, 0x80
	v_cmp_eq_u16_sdwa s[12:13], v13, s4 src0_sel:BYTE_3 src1_sel:DWORD
	s_mov_b64 s[4:5], -1
                                        ; implicit-def: $sgpr10
	s_and_saveexec_b64 s[8:9], s[12:13]
; %bb.2174:
	s_mov_b32 s10, 0x7f800001
	s_xor_b64 s[4:5], exec, -1
; %bb.2175:
	s_or_b64 exec, exec, s[8:9]
	s_and_b64 s[4:5], s[4:5], exec
	s_or_saveexec_b64 s[6:7], s[6:7]
	v_mov_b32_e32 v11, s10
	s_xor_b64 exec, exec, s[6:7]
	s_cbranch_execz .LBB1_126
.LBB1_2176:
	v_mov_b32_e32 v11, 0
	v_cmp_ne_u16_sdwa s[8:9], v13, v11 src0_sel:BYTE_3 src1_sel:DWORD
	s_andn2_b64 s[4:5], s[4:5], exec
	s_and_b64 s[8:9], s[8:9], exec
	s_or_b64 s[4:5], s[4:5], s[8:9]
	s_or_b64 exec, exec, s[6:7]
	s_and_saveexec_b64 s[6:7], s[4:5]
	s_cbranch_execnz .LBB1_127
	s_branch .LBB1_128
.LBB1_2177:
	s_movk_i32 s4, 0x80
	v_cmp_eq_u16_sdwa s[12:13], v6, s4 src0_sel:BYTE_0 src1_sel:DWORD
	s_mov_b64 s[4:5], -1
                                        ; implicit-def: $sgpr10
	s_and_saveexec_b64 s[8:9], s[12:13]
; %bb.2178:
	s_mov_b32 s10, 0x7f800001
	s_xor_b64 s[4:5], exec, -1
; %bb.2179:
	s_or_b64 exec, exec, s[8:9]
	s_and_b64 s[4:5], s[4:5], exec
	s_or_saveexec_b64 s[6:7], s[6:7]
	v_mov_b32_e32 v10, s10
	s_xor_b64 exec, exec, s[6:7]
	s_cbranch_execz .LBB1_130
.LBB1_2180:
	v_mov_b32_e32 v10, 0
	v_cmp_ne_u16_sdwa s[8:9], v6, v10 src0_sel:BYTE_0 src1_sel:DWORD
	s_andn2_b64 s[4:5], s[4:5], exec
	s_and_b64 s[8:9], s[8:9], exec
	s_or_b64 s[4:5], s[4:5], s[8:9]
	s_or_b64 exec, exec, s[6:7]
	s_and_saveexec_b64 s[6:7], s[4:5]
	s_cbranch_execnz .LBB1_131
	s_branch .LBB1_132
.LBB1_2181:
	s_movk_i32 s4, 0x80
	v_cmp_eq_u16_sdwa s[12:13], v2, s4 src0_sel:BYTE_0 src1_sel:DWORD
	s_mov_b64 s[4:5], -1
                                        ; implicit-def: $sgpr10
	s_and_saveexec_b64 s[8:9], s[12:13]
; %bb.2182:
	s_mov_b32 s10, 0x7f800001
	s_xor_b64 s[4:5], exec, -1
; %bb.2183:
	s_or_b64 exec, exec, s[8:9]
	s_and_b64 s[4:5], s[4:5], exec
	s_or_saveexec_b64 s[6:7], s[6:7]
	v_mov_b32_e32 v11, s10
	s_xor_b64 exec, exec, s[6:7]
	s_cbranch_execz .LBB1_134
.LBB1_2184:
	v_mov_b32_e32 v11, 0
	v_cmp_ne_u16_sdwa s[8:9], v2, v11 src0_sel:BYTE_0 src1_sel:DWORD
	s_andn2_b64 s[4:5], s[4:5], exec
	s_and_b64 s[8:9], s[8:9], exec
	s_or_b64 s[4:5], s[4:5], s[8:9]
	s_or_b64 exec, exec, s[6:7]
	s_and_saveexec_b64 s[6:7], s[4:5]
	s_cbranch_execnz .LBB1_135
	s_branch .LBB1_136
.LBB1_2185:
	s_movk_i32 s4, 0x80
	v_cmp_eq_u16_sdwa s[12:13], v11, s4 src0_sel:BYTE_0 src1_sel:DWORD
	s_mov_b64 s[4:5], -1
                                        ; implicit-def: $sgpr10
	s_and_saveexec_b64 s[8:9], s[12:13]
; %bb.2186:
	s_mov_b32 s10, 0x7f800001
	s_xor_b64 s[4:5], exec, -1
; %bb.2187:
	s_or_b64 exec, exec, s[8:9]
	s_and_b64 s[4:5], s[4:5], exec
	s_or_saveexec_b64 s[6:7], s[6:7]
	v_mov_b32_e32 v10, s10
	s_xor_b64 exec, exec, s[6:7]
	s_cbranch_execz .LBB1_138
.LBB1_2188:
	v_mov_b32_e32 v10, 0
	v_cmp_ne_u16_sdwa s[8:9], v11, v10 src0_sel:BYTE_0 src1_sel:DWORD
	s_andn2_b64 s[4:5], s[4:5], exec
	s_and_b64 s[8:9], s[8:9], exec
	s_or_b64 s[4:5], s[4:5], s[8:9]
	s_or_b64 exec, exec, s[6:7]
	s_and_saveexec_b64 s[6:7], s[4:5]
	s_cbranch_execnz .LBB1_139
	s_branch .LBB1_140
.LBB1_2189:
	s_movk_i32 s4, 0x80
	v_cmp_eq_u16_sdwa s[12:13], v11, s4 src0_sel:BYTE_0 src1_sel:DWORD
	s_mov_b64 s[4:5], -1
                                        ; implicit-def: $sgpr10
	s_and_saveexec_b64 s[8:9], s[12:13]
; %bb.2190:
	s_mov_b32 s10, 0x7f800001
	s_xor_b64 s[4:5], exec, -1
; %bb.2191:
	s_or_b64 exec, exec, s[8:9]
	s_and_b64 s[4:5], s[4:5], exec
	s_or_saveexec_b64 s[6:7], s[6:7]
	v_mov_b32_e32 v12, s10
	s_xor_b64 exec, exec, s[6:7]
	s_cbranch_execz .LBB1_142
.LBB1_2192:
	v_mov_b32_e32 v12, 0
	v_cmp_ne_u16_sdwa s[8:9], v11, v12 src0_sel:BYTE_0 src1_sel:DWORD
	s_andn2_b64 s[4:5], s[4:5], exec
	s_and_b64 s[8:9], s[8:9], exec
	s_or_b64 s[4:5], s[4:5], s[8:9]
	s_or_b64 exec, exec, s[6:7]
	s_and_saveexec_b64 s[6:7], s[4:5]
	s_cbranch_execnz .LBB1_143
	s_branch .LBB1_144
.LBB1_2193:
	s_movk_i32 s4, 0x80
	v_cmp_eq_u16_e32 vcc, s4, v11
	s_mov_b64 s[4:5], -1
                                        ; implicit-def: $sgpr10
	s_and_saveexec_b64 s[8:9], vcc
; %bb.2194:
	s_mov_b32 s10, 0x7f800001
	s_xor_b64 s[4:5], exec, -1
; %bb.2195:
	s_or_b64 exec, exec, s[8:9]
	s_and_b64 s[4:5], s[4:5], exec
                                        ; implicit-def: $vgpr11
	s_or_saveexec_b64 s[6:7], s[6:7]
	v_mov_b32_e32 v10, s10
	s_xor_b64 exec, exec, s[6:7]
	s_cbranch_execz .LBB1_146
.LBB1_2196:
	v_cmp_ne_u16_e32 vcc, 0, v11
	s_andn2_b64 s[4:5], s[4:5], exec
	s_and_b64 s[8:9], vcc, exec
	v_mov_b32_e32 v10, 0
	s_or_b64 s[4:5], s[4:5], s[8:9]
	s_or_b64 exec, exec, s[6:7]
	s_and_saveexec_b64 s[6:7], s[4:5]
	s_cbranch_execnz .LBB1_147
	s_branch .LBB1_148
.LBB1_2197:
	s_movk_i32 s4, 0x80
	v_cmp_eq_u16_e32 vcc, s4, v11
	s_mov_b64 s[4:5], -1
                                        ; implicit-def: $sgpr10
	s_and_saveexec_b64 s[8:9], vcc
; %bb.2198:
	s_mov_b32 s10, 0x7f800001
	s_xor_b64 s[4:5], exec, -1
; %bb.2199:
	s_or_b64 exec, exec, s[8:9]
	s_and_b64 s[4:5], s[4:5], exec
                                        ; implicit-def: $vgpr11
	s_or_saveexec_b64 s[6:7], s[6:7]
	v_mov_b32_e32 v12, s10
	s_xor_b64 exec, exec, s[6:7]
	s_cbranch_execz .LBB1_150
.LBB1_2200:
	v_cmp_ne_u16_e32 vcc, 0, v11
	s_andn2_b64 s[4:5], s[4:5], exec
	s_and_b64 s[8:9], vcc, exec
	v_mov_b32_e32 v12, 0
	s_or_b64 s[4:5], s[4:5], s[8:9]
	s_or_b64 exec, exec, s[6:7]
	s_and_saveexec_b64 s[6:7], s[4:5]
	s_cbranch_execnz .LBB1_151
	s_branch .LBB1_152
.LBB1_2201:
	s_movk_i32 s4, 0x80
	v_cmp_eq_u16_sdwa s[12:13], v6, s4 src0_sel:BYTE_3 src1_sel:DWORD
	s_mov_b64 s[4:5], -1
                                        ; implicit-def: $sgpr10
	s_and_saveexec_b64 s[8:9], s[12:13]
; %bb.2202:
	s_mov_b32 s10, 0x7f800001
	s_xor_b64 s[4:5], exec, -1
; %bb.2203:
	s_or_b64 exec, exec, s[8:9]
	s_and_b64 s[4:5], s[4:5], exec
	s_or_saveexec_b64 s[6:7], s[6:7]
	v_mov_b32_e32 v10, s10
	s_xor_b64 exec, exec, s[6:7]
	s_cbranch_execz .LBB1_154
.LBB1_2204:
	v_mov_b32_e32 v10, 0
	v_cmp_ne_u16_sdwa s[8:9], v6, v10 src0_sel:BYTE_3 src1_sel:DWORD
	s_andn2_b64 s[4:5], s[4:5], exec
	s_and_b64 s[8:9], s[8:9], exec
	s_or_b64 s[4:5], s[4:5], s[8:9]
	s_or_b64 exec, exec, s[6:7]
	s_and_saveexec_b64 s[6:7], s[4:5]
	s_cbranch_execnz .LBB1_155
	s_branch .LBB1_156
.LBB1_2205:
	s_movk_i32 s4, 0x80
	v_cmp_eq_u16_sdwa s[12:13], v2, s4 src0_sel:BYTE_3 src1_sel:DWORD
	s_mov_b64 s[4:5], -1
                                        ; implicit-def: $sgpr10
	s_and_saveexec_b64 s[8:9], s[12:13]
; %bb.2206:
	s_mov_b32 s10, 0x7f800001
	s_xor_b64 s[4:5], exec, -1
; %bb.2207:
	s_or_b64 exec, exec, s[8:9]
	s_and_b64 s[4:5], s[4:5], exec
	s_or_saveexec_b64 s[6:7], s[6:7]
	v_mov_b32_e32 v6, s10
	s_xor_b64 exec, exec, s[6:7]
	s_cbranch_execz .LBB1_158
.LBB1_2208:
	v_mov_b32_e32 v6, 0
	v_cmp_ne_u16_sdwa s[8:9], v2, v6 src0_sel:BYTE_3 src1_sel:DWORD
	s_andn2_b64 s[4:5], s[4:5], exec
	s_and_b64 s[8:9], s[8:9], exec
	s_or_b64 s[4:5], s[4:5], s[8:9]
	s_or_b64 exec, exec, s[6:7]
	s_and_saveexec_b64 s[6:7], s[4:5]
	s_cbranch_execnz .LBB1_159
	s_branch .LBB1_160
.LBB1_2209:
	s_movk_i32 s4, 0x80
	v_cmp_eq_u16_sdwa s[12:13], v7, s4 src0_sel:BYTE_0 src1_sel:DWORD
	s_mov_b64 s[4:5], -1
                                        ; implicit-def: $sgpr10
	s_and_saveexec_b64 s[8:9], s[12:13]
; %bb.2210:
	s_mov_b32 s10, 0x7f800001
	s_xor_b64 s[4:5], exec, -1
; %bb.2211:
	s_or_b64 exec, exec, s[8:9]
	s_and_b64 s[4:5], s[4:5], exec
	s_or_saveexec_b64 s[6:7], s[6:7]
	v_mov_b32_e32 v2, s10
	s_xor_b64 exec, exec, s[6:7]
	s_cbranch_execz .LBB1_162
.LBB1_2212:
	v_mov_b32_e32 v2, 0
	v_cmp_ne_u16_sdwa s[8:9], v7, v2 src0_sel:BYTE_0 src1_sel:DWORD
	s_andn2_b64 s[4:5], s[4:5], exec
	s_and_b64 s[8:9], s[8:9], exec
	s_or_b64 s[4:5], s[4:5], s[8:9]
	s_or_b64 exec, exec, s[6:7]
	s_and_saveexec_b64 s[6:7], s[4:5]
	s_cbranch_execnz .LBB1_163
	s_branch .LBB1_164
.LBB1_2213:
	s_movk_i32 s4, 0x80
	v_cmp_eq_u16_sdwa s[12:13], v3, s4 src0_sel:BYTE_0 src1_sel:DWORD
	s_mov_b64 s[4:5], -1
                                        ; implicit-def: $sgpr10
	s_and_saveexec_b64 s[8:9], s[12:13]
; %bb.2214:
	s_mov_b32 s10, 0x7f800001
	s_xor_b64 s[4:5], exec, -1
; %bb.2215:
	s_or_b64 exec, exec, s[8:9]
	s_and_b64 s[4:5], s[4:5], exec
	s_or_saveexec_b64 s[6:7], s[6:7]
	v_mov_b32_e32 v6, s10
	s_xor_b64 exec, exec, s[6:7]
	s_cbranch_execz .LBB1_166
.LBB1_2216:
	v_mov_b32_e32 v6, 0
	v_cmp_ne_u16_sdwa s[8:9], v3, v6 src0_sel:BYTE_0 src1_sel:DWORD
	s_andn2_b64 s[4:5], s[4:5], exec
	s_and_b64 s[8:9], s[8:9], exec
	s_or_b64 s[4:5], s[4:5], s[8:9]
	s_or_b64 exec, exec, s[6:7]
	s_and_saveexec_b64 s[6:7], s[4:5]
	s_cbranch_execnz .LBB1_167
	s_branch .LBB1_168
.LBB1_2217:
	s_movk_i32 s4, 0x80
	v_cmp_eq_u16_sdwa s[12:13], v6, s4 src0_sel:BYTE_0 src1_sel:DWORD
	s_mov_b64 s[4:5], -1
                                        ; implicit-def: $sgpr10
	s_and_saveexec_b64 s[8:9], s[12:13]
; %bb.2218:
	s_mov_b32 s10, 0x7f800001
	s_xor_b64 s[4:5], exec, -1
; %bb.2219:
	s_or_b64 exec, exec, s[8:9]
	s_and_b64 s[4:5], s[4:5], exec
	s_or_saveexec_b64 s[6:7], s[6:7]
	v_mov_b32_e32 v2, s10
	s_xor_b64 exec, exec, s[6:7]
	s_cbranch_execz .LBB1_170
.LBB1_2220:
	v_mov_b32_e32 v2, 0
	v_cmp_ne_u16_sdwa s[8:9], v6, v2 src0_sel:BYTE_0 src1_sel:DWORD
	s_andn2_b64 s[4:5], s[4:5], exec
	s_and_b64 s[8:9], s[8:9], exec
	s_or_b64 s[4:5], s[4:5], s[8:9]
	s_or_b64 exec, exec, s[6:7]
	s_and_saveexec_b64 s[6:7], s[4:5]
	s_cbranch_execnz .LBB1_171
	s_branch .LBB1_172
.LBB1_2221:
	s_movk_i32 s4, 0x80
	v_cmp_eq_u16_sdwa s[12:13], v6, s4 src0_sel:BYTE_0 src1_sel:DWORD
	s_mov_b64 s[4:5], -1
                                        ; implicit-def: $sgpr10
	s_and_saveexec_b64 s[8:9], s[12:13]
; %bb.2222:
	s_mov_b32 s10, 0x7f800001
	s_xor_b64 s[4:5], exec, -1
; %bb.2223:
	s_or_b64 exec, exec, s[8:9]
	s_and_b64 s[4:5], s[4:5], exec
	s_or_saveexec_b64 s[6:7], s[6:7]
	v_mov_b32_e32 v10, s10
	s_xor_b64 exec, exec, s[6:7]
	s_cbranch_execz .LBB1_174
.LBB1_2224:
	v_mov_b32_e32 v10, 0
	v_cmp_ne_u16_sdwa s[8:9], v6, v10 src0_sel:BYTE_0 src1_sel:DWORD
	s_andn2_b64 s[4:5], s[4:5], exec
	s_and_b64 s[8:9], s[8:9], exec
	s_or_b64 s[4:5], s[4:5], s[8:9]
	s_or_b64 exec, exec, s[6:7]
	s_and_saveexec_b64 s[6:7], s[4:5]
	s_cbranch_execnz .LBB1_175
	s_branch .LBB1_176
.LBB1_2225:
	s_movk_i32 s4, 0x80
	v_cmp_eq_u16_e32 vcc, s4, v6
	s_mov_b64 s[4:5], -1
                                        ; implicit-def: $sgpr10
	s_and_saveexec_b64 s[8:9], vcc
; %bb.2226:
	s_mov_b32 s10, 0x7f800001
	s_xor_b64 s[4:5], exec, -1
; %bb.2227:
	s_or_b64 exec, exec, s[8:9]
	s_and_b64 s[4:5], s[4:5], exec
                                        ; implicit-def: $vgpr6
	s_or_saveexec_b64 s[6:7], s[6:7]
	v_mov_b32_e32 v2, s10
	s_xor_b64 exec, exec, s[6:7]
	s_cbranch_execz .LBB1_178
.LBB1_2228:
	v_cmp_ne_u16_e32 vcc, 0, v6
	s_andn2_b64 s[4:5], s[4:5], exec
	s_and_b64 s[8:9], vcc, exec
	v_mov_b32_e32 v2, 0
	s_or_b64 s[4:5], s[4:5], s[8:9]
	s_or_b64 exec, exec, s[6:7]
	s_and_saveexec_b64 s[6:7], s[4:5]
	s_cbranch_execnz .LBB1_179
	s_branch .LBB1_180
.LBB1_2229:
	s_movk_i32 s4, 0x80
	v_cmp_eq_u16_e32 vcc, s4, v6
	s_mov_b64 s[4:5], -1
                                        ; implicit-def: $sgpr10
	s_and_saveexec_b64 s[8:9], vcc
; %bb.2230:
	s_mov_b32 s10, 0x7f800001
	s_xor_b64 s[4:5], exec, -1
; %bb.2231:
	s_or_b64 exec, exec, s[8:9]
	s_and_b64 s[4:5], s[4:5], exec
                                        ; implicit-def: $vgpr6
	s_or_saveexec_b64 s[6:7], s[6:7]
	v_mov_b32_e32 v10, s10
	s_xor_b64 exec, exec, s[6:7]
	s_cbranch_execz .LBB1_182
.LBB1_2232:
	v_cmp_ne_u16_e32 vcc, 0, v6
	s_andn2_b64 s[4:5], s[4:5], exec
	s_and_b64 s[8:9], vcc, exec
	v_mov_b32_e32 v10, 0
	s_or_b64 s[4:5], s[4:5], s[8:9]
	s_or_b64 exec, exec, s[6:7]
	s_and_saveexec_b64 s[6:7], s[4:5]
	s_cbranch_execnz .LBB1_183
	s_branch .LBB1_184
.LBB1_2233:
	s_movk_i32 s4, 0x80
	v_cmp_eq_u16_sdwa s[12:13], v7, s4 src0_sel:BYTE_3 src1_sel:DWORD
	s_mov_b64 s[4:5], -1
                                        ; implicit-def: $sgpr10
	s_and_saveexec_b64 s[8:9], s[12:13]
; %bb.2234:
	s_mov_b32 s10, 0x7f800001
	s_xor_b64 s[4:5], exec, -1
; %bb.2235:
	s_or_b64 exec, exec, s[8:9]
	s_and_b64 s[4:5], s[4:5], exec
	s_or_saveexec_b64 s[6:7], s[6:7]
	v_mov_b32_e32 v2, s10
	s_xor_b64 exec, exec, s[6:7]
	s_cbranch_execz .LBB1_186
.LBB1_2236:
	v_mov_b32_e32 v2, 0
	v_cmp_ne_u16_sdwa s[8:9], v7, v2 src0_sel:BYTE_3 src1_sel:DWORD
	s_andn2_b64 s[4:5], s[4:5], exec
	s_and_b64 s[8:9], s[8:9], exec
	s_or_b64 s[4:5], s[4:5], s[8:9]
	s_or_b64 exec, exec, s[6:7]
	s_and_saveexec_b64 s[6:7], s[4:5]
	s_cbranch_execnz .LBB1_187
	s_branch .LBB1_188
.LBB1_2237:
	s_movk_i32 s4, 0x80
	v_cmp_eq_u16_sdwa s[12:13], v3, s4 src0_sel:BYTE_3 src1_sel:DWORD
	s_mov_b64 s[4:5], -1
                                        ; implicit-def: $sgpr10
	s_and_saveexec_b64 s[8:9], s[12:13]
; %bb.2238:
	s_mov_b32 s10, 0x7f800001
	s_xor_b64 s[4:5], exec, -1
; %bb.2239:
	s_or_b64 exec, exec, s[8:9]
	s_and_b64 s[4:5], s[4:5], exec
	s_or_saveexec_b64 s[6:7], s[6:7]
	v_mov_b32_e32 v6, s10
	s_xor_b64 exec, exec, s[6:7]
	s_cbranch_execz .LBB1_190
.LBB1_2240:
	v_mov_b32_e32 v6, 0
	v_cmp_ne_u16_sdwa s[8:9], v3, v6 src0_sel:BYTE_3 src1_sel:DWORD
	s_andn2_b64 s[4:5], s[4:5], exec
	s_and_b64 s[8:9], s[8:9], exec
	s_or_b64 s[4:5], s[4:5], s[8:9]
	s_or_b64 exec, exec, s[6:7]
	s_and_saveexec_b64 s[6:7], s[4:5]
	s_cbranch_execnz .LBB1_191
	s_branch .LBB1_192
.LBB1_2241:
	s_movk_i32 s4, 0x80
	v_cmp_eq_u16_sdwa s[12:13], v8, s4 src0_sel:BYTE_0 src1_sel:DWORD
	s_mov_b64 s[4:5], -1
                                        ; implicit-def: $sgpr10
	s_and_saveexec_b64 s[8:9], s[12:13]
; %bb.2242:
	s_mov_b32 s10, 0x7f800001
	s_xor_b64 s[4:5], exec, -1
; %bb.2243:
	s_or_b64 exec, exec, s[8:9]
	s_and_b64 s[4:5], s[4:5], exec
	s_or_saveexec_b64 s[6:7], s[6:7]
	v_mov_b32_e32 v2, s10
	s_xor_b64 exec, exec, s[6:7]
	s_cbranch_execz .LBB1_194
.LBB1_2244:
	v_mov_b32_e32 v2, 0
	v_cmp_ne_u16_sdwa s[8:9], v8, v2 src0_sel:BYTE_0 src1_sel:DWORD
	s_andn2_b64 s[4:5], s[4:5], exec
	s_and_b64 s[8:9], s[8:9], exec
	s_or_b64 s[4:5], s[4:5], s[8:9]
	s_or_b64 exec, exec, s[6:7]
	s_and_saveexec_b64 s[6:7], s[4:5]
	s_cbranch_execnz .LBB1_195
	s_branch .LBB1_196
.LBB1_2245:
	s_movk_i32 s4, 0x80
	v_cmp_eq_u16_sdwa s[12:13], v4, s4 src0_sel:BYTE_0 src1_sel:DWORD
	s_mov_b64 s[4:5], -1
                                        ; implicit-def: $sgpr10
	s_and_saveexec_b64 s[8:9], s[12:13]
; %bb.2246:
	s_mov_b32 s10, 0x7f800001
	s_xor_b64 s[4:5], exec, -1
; %bb.2247:
	s_or_b64 exec, exec, s[8:9]
	s_and_b64 s[4:5], s[4:5], exec
	s_or_saveexec_b64 s[6:7], s[6:7]
	v_mov_b32_e32 v3, s10
	s_xor_b64 exec, exec, s[6:7]
	s_cbranch_execz .LBB1_198
.LBB1_2248:
	v_mov_b32_e32 v3, 0
	v_cmp_ne_u16_sdwa s[8:9], v4, v3 src0_sel:BYTE_0 src1_sel:DWORD
	s_andn2_b64 s[4:5], s[4:5], exec
	s_and_b64 s[8:9], s[8:9], exec
	s_or_b64 s[4:5], s[4:5], s[8:9]
	s_or_b64 exec, exec, s[6:7]
	s_and_saveexec_b64 s[6:7], s[4:5]
	s_cbranch_execnz .LBB1_199
	s_branch .LBB1_200
.LBB1_2249:
	s_movk_i32 s4, 0x80
	v_cmp_eq_u16_sdwa s[12:13], v3, s4 src0_sel:BYTE_0 src1_sel:DWORD
	s_mov_b64 s[4:5], -1
                                        ; implicit-def: $sgpr10
	s_and_saveexec_b64 s[8:9], s[12:13]
; %bb.2250:
	s_mov_b32 s10, 0x7f800001
	s_xor_b64 s[4:5], exec, -1
; %bb.2251:
	s_or_b64 exec, exec, s[8:9]
	s_and_b64 s[4:5], s[4:5], exec
	s_or_saveexec_b64 s[6:7], s[6:7]
	v_mov_b32_e32 v2, s10
	s_xor_b64 exec, exec, s[6:7]
	s_cbranch_execz .LBB1_202
.LBB1_2252:
	v_mov_b32_e32 v2, 0
	v_cmp_ne_u16_sdwa s[8:9], v3, v2 src0_sel:BYTE_0 src1_sel:DWORD
	s_andn2_b64 s[4:5], s[4:5], exec
	s_and_b64 s[8:9], s[8:9], exec
	s_or_b64 s[4:5], s[4:5], s[8:9]
	s_or_b64 exec, exec, s[6:7]
	s_and_saveexec_b64 s[6:7], s[4:5]
	s_cbranch_execnz .LBB1_203
	s_branch .LBB1_204
.LBB1_2253:
	s_movk_i32 s4, 0x80
	v_cmp_eq_u16_sdwa s[12:13], v3, s4 src0_sel:BYTE_0 src1_sel:DWORD
	s_mov_b64 s[4:5], -1
                                        ; implicit-def: $sgpr10
	s_and_saveexec_b64 s[8:9], s[12:13]
; %bb.2254:
	s_mov_b32 s10, 0x7f800001
	s_xor_b64 s[4:5], exec, -1
; %bb.2255:
	s_or_b64 exec, exec, s[8:9]
	s_and_b64 s[4:5], s[4:5], exec
	s_or_saveexec_b64 s[6:7], s[6:7]
	v_mov_b32_e32 v6, s10
	s_xor_b64 exec, exec, s[6:7]
	s_cbranch_execz .LBB1_206
.LBB1_2256:
	v_mov_b32_e32 v6, 0
	v_cmp_ne_u16_sdwa s[8:9], v3, v6 src0_sel:BYTE_0 src1_sel:DWORD
	s_andn2_b64 s[4:5], s[4:5], exec
	s_and_b64 s[8:9], s[8:9], exec
	s_or_b64 s[4:5], s[4:5], s[8:9]
	s_or_b64 exec, exec, s[6:7]
	s_and_saveexec_b64 s[6:7], s[4:5]
	s_cbranch_execnz .LBB1_207
	s_branch .LBB1_208
.LBB1_2257:
	s_movk_i32 s4, 0x80
	v_cmp_eq_u16_e32 vcc, s4, v3
	s_mov_b64 s[4:5], -1
                                        ; implicit-def: $sgpr10
	s_and_saveexec_b64 s[8:9], vcc
; %bb.2258:
	s_mov_b32 s10, 0x7f800001
	s_xor_b64 s[4:5], exec, -1
; %bb.2259:
	s_or_b64 exec, exec, s[8:9]
	s_and_b64 s[4:5], s[4:5], exec
                                        ; implicit-def: $vgpr3
	s_or_saveexec_b64 s[6:7], s[6:7]
	v_mov_b32_e32 v2, s10
	s_xor_b64 exec, exec, s[6:7]
	s_cbranch_execz .LBB1_210
.LBB1_2260:
	v_cmp_ne_u16_e32 vcc, 0, v3
	s_andn2_b64 s[4:5], s[4:5], exec
	s_and_b64 s[8:9], vcc, exec
	v_mov_b32_e32 v2, 0
	s_or_b64 s[4:5], s[4:5], s[8:9]
	s_or_b64 exec, exec, s[6:7]
	s_and_saveexec_b64 s[6:7], s[4:5]
	s_cbranch_execnz .LBB1_211
	s_branch .LBB1_212
.LBB1_2261:
	s_movk_i32 s4, 0x80
	v_cmp_eq_u16_e32 vcc, s4, v3
	s_mov_b64 s[4:5], -1
                                        ; implicit-def: $sgpr10
	s_and_saveexec_b64 s[8:9], vcc
; %bb.2262:
	s_mov_b32 s10, 0x7f800001
	s_xor_b64 s[4:5], exec, -1
; %bb.2263:
	s_or_b64 exec, exec, s[8:9]
	s_and_b64 s[4:5], s[4:5], exec
                                        ; implicit-def: $vgpr3
	s_or_saveexec_b64 s[6:7], s[6:7]
	v_mov_b32_e32 v6, s10
	s_xor_b64 exec, exec, s[6:7]
	s_cbranch_execz .LBB1_214
.LBB1_2264:
	v_cmp_ne_u16_e32 vcc, 0, v3
	s_andn2_b64 s[4:5], s[4:5], exec
	s_and_b64 s[8:9], vcc, exec
	v_mov_b32_e32 v6, 0
	s_or_b64 s[4:5], s[4:5], s[8:9]
	s_or_b64 exec, exec, s[6:7]
	s_and_saveexec_b64 s[6:7], s[4:5]
	s_cbranch_execnz .LBB1_215
	s_branch .LBB1_216
.LBB1_2265:
	s_movk_i32 s4, 0x80
	v_cmp_eq_u16_sdwa s[12:13], v8, s4 src0_sel:BYTE_3 src1_sel:DWORD
	s_mov_b64 s[4:5], -1
                                        ; implicit-def: $sgpr10
	s_and_saveexec_b64 s[8:9], s[12:13]
; %bb.2266:
	s_mov_b32 s10, 0x7f800001
	s_xor_b64 s[4:5], exec, -1
; %bb.2267:
	s_or_b64 exec, exec, s[8:9]
	s_and_b64 s[4:5], s[4:5], exec
	s_or_saveexec_b64 s[6:7], s[6:7]
	v_mov_b32_e32 v2, s10
	s_xor_b64 exec, exec, s[6:7]
	s_cbranch_execz .LBB1_218
.LBB1_2268:
	v_mov_b32_e32 v2, 0
	v_cmp_ne_u16_sdwa s[8:9], v8, v2 src0_sel:BYTE_3 src1_sel:DWORD
	s_andn2_b64 s[4:5], s[4:5], exec
	s_and_b64 s[8:9], s[8:9], exec
	s_or_b64 s[4:5], s[4:5], s[8:9]
	s_or_b64 exec, exec, s[6:7]
	s_and_saveexec_b64 s[6:7], s[4:5]
	s_cbranch_execnz .LBB1_219
	s_branch .LBB1_220
.LBB1_2269:
	s_movk_i32 s4, 0x80
	v_cmp_eq_u16_sdwa s[12:13], v4, s4 src0_sel:BYTE_3 src1_sel:DWORD
	s_mov_b64 s[4:5], -1
                                        ; implicit-def: $sgpr10
	s_and_saveexec_b64 s[8:9], s[12:13]
; %bb.2270:
	s_mov_b32 s10, 0x7f800001
	s_xor_b64 s[4:5], exec, -1
; %bb.2271:
	s_or_b64 exec, exec, s[8:9]
	s_and_b64 s[4:5], s[4:5], exec
	s_or_saveexec_b64 s[6:7], s[6:7]
	v_mov_b32_e32 v3, s10
	s_xor_b64 exec, exec, s[6:7]
	s_cbranch_execz .LBB1_222
.LBB1_2272:
	v_mov_b32_e32 v3, 0
	v_cmp_ne_u16_sdwa s[8:9], v4, v3 src0_sel:BYTE_3 src1_sel:DWORD
	s_andn2_b64 s[4:5], s[4:5], exec
	s_and_b64 s[8:9], s[8:9], exec
	s_or_b64 s[4:5], s[4:5], s[8:9]
	s_or_b64 exec, exec, s[6:7]
	s_and_saveexec_b64 s[6:7], s[4:5]
	s_cbranch_execnz .LBB1_223
	s_branch .LBB1_224
.LBB1_2273:
	s_movk_i32 s4, 0x80
	v_cmp_eq_u16_sdwa s[12:13], v9, s4 src0_sel:BYTE_0 src1_sel:DWORD
	s_mov_b64 s[4:5], -1
                                        ; implicit-def: $sgpr10
	s_and_saveexec_b64 s[8:9], s[12:13]
; %bb.2274:
	s_mov_b32 s10, 0x7f800001
	s_xor_b64 s[4:5], exec, -1
; %bb.2275:
	s_or_b64 exec, exec, s[8:9]
	s_and_b64 s[4:5], s[4:5], exec
	s_or_saveexec_b64 s[6:7], s[6:7]
	v_mov_b32_e32 v2, s10
	s_xor_b64 exec, exec, s[6:7]
	s_cbranch_execz .LBB1_226
.LBB1_2276:
	v_mov_b32_e32 v2, 0
	v_cmp_ne_u16_sdwa s[8:9], v9, v2 src0_sel:BYTE_0 src1_sel:DWORD
	s_andn2_b64 s[4:5], s[4:5], exec
	s_and_b64 s[8:9], s[8:9], exec
	s_or_b64 s[4:5], s[4:5], s[8:9]
	s_or_b64 exec, exec, s[6:7]
	s_and_saveexec_b64 s[6:7], s[4:5]
	s_cbranch_execnz .LBB1_227
	s_branch .LBB1_228
.LBB1_2277:
	s_movk_i32 s4, 0x80
	v_cmp_eq_u16_sdwa s[12:13], v5, s4 src0_sel:BYTE_0 src1_sel:DWORD
	s_mov_b64 s[4:5], -1
                                        ; implicit-def: $sgpr10
	s_and_saveexec_b64 s[8:9], s[12:13]
; %bb.2278:
	s_mov_b32 s10, 0x7f800001
	s_xor_b64 s[4:5], exec, -1
; %bb.2279:
	s_or_b64 exec, exec, s[8:9]
	s_and_b64 s[4:5], s[4:5], exec
	s_or_saveexec_b64 s[6:7], s[6:7]
	v_mov_b32_e32 v3, s10
	s_xor_b64 exec, exec, s[6:7]
	s_cbranch_execz .LBB1_230
.LBB1_2280:
	v_mov_b32_e32 v3, 0
	v_cmp_ne_u16_sdwa s[8:9], v5, v3 src0_sel:BYTE_0 src1_sel:DWORD
	s_andn2_b64 s[4:5], s[4:5], exec
	s_and_b64 s[8:9], s[8:9], exec
	s_or_b64 s[4:5], s[4:5], s[8:9]
	s_or_b64 exec, exec, s[6:7]
	s_and_saveexec_b64 s[6:7], s[4:5]
	s_cbranch_execnz .LBB1_231
	s_branch .LBB1_232
.LBB1_2281:
	s_movk_i32 s4, 0x80
	v_cmp_eq_u16_sdwa s[12:13], v3, s4 src0_sel:BYTE_0 src1_sel:DWORD
	s_mov_b64 s[4:5], -1
                                        ; implicit-def: $sgpr10
	s_and_saveexec_b64 s[8:9], s[12:13]
; %bb.2282:
	s_mov_b32 s10, 0x7f800001
	s_xor_b64 s[4:5], exec, -1
; %bb.2283:
	s_or_b64 exec, exec, s[8:9]
	s_and_b64 s[4:5], s[4:5], exec
	s_or_saveexec_b64 s[6:7], s[6:7]
	v_mov_b32_e32 v2, s10
	s_xor_b64 exec, exec, s[6:7]
	s_cbranch_execz .LBB1_234
.LBB1_2284:
	v_mov_b32_e32 v2, 0
	v_cmp_ne_u16_sdwa s[8:9], v3, v2 src0_sel:BYTE_0 src1_sel:DWORD
	s_andn2_b64 s[4:5], s[4:5], exec
	s_and_b64 s[8:9], s[8:9], exec
	s_or_b64 s[4:5], s[4:5], s[8:9]
	s_or_b64 exec, exec, s[6:7]
	s_and_saveexec_b64 s[6:7], s[4:5]
	s_cbranch_execnz .LBB1_235
	s_branch .LBB1_236
.LBB1_2285:
	s_movk_i32 s4, 0x80
	v_cmp_eq_u16_sdwa s[12:13], v3, s4 src0_sel:BYTE_0 src1_sel:DWORD
	s_mov_b64 s[4:5], -1
                                        ; implicit-def: $sgpr10
	s_and_saveexec_b64 s[8:9], s[12:13]
; %bb.2286:
	s_mov_b32 s10, 0x7f800001
	s_xor_b64 s[4:5], exec, -1
; %bb.2287:
	s_or_b64 exec, exec, s[8:9]
	s_and_b64 s[4:5], s[4:5], exec
	s_or_saveexec_b64 s[6:7], s[6:7]
	v_mov_b32_e32 v4, s10
	s_xor_b64 exec, exec, s[6:7]
	s_cbranch_execz .LBB1_238
.LBB1_2288:
	v_mov_b32_e32 v4, 0
	v_cmp_ne_u16_sdwa s[8:9], v3, v4 src0_sel:BYTE_0 src1_sel:DWORD
	s_andn2_b64 s[4:5], s[4:5], exec
	s_and_b64 s[8:9], s[8:9], exec
	s_or_b64 s[4:5], s[4:5], s[8:9]
	s_or_b64 exec, exec, s[6:7]
	s_and_saveexec_b64 s[6:7], s[4:5]
	s_cbranch_execnz .LBB1_239
	s_branch .LBB1_240
.LBB1_2289:
	s_movk_i32 s4, 0x80
	v_cmp_eq_u16_e32 vcc, s4, v3
	s_mov_b64 s[4:5], -1
                                        ; implicit-def: $sgpr10
	s_and_saveexec_b64 s[8:9], vcc
; %bb.2290:
	s_mov_b32 s10, 0x7f800001
	s_xor_b64 s[4:5], exec, -1
; %bb.2291:
	s_or_b64 exec, exec, s[8:9]
	s_and_b64 s[4:5], s[4:5], exec
                                        ; implicit-def: $vgpr3
	s_or_saveexec_b64 s[6:7], s[6:7]
	v_mov_b32_e32 v2, s10
	s_xor_b64 exec, exec, s[6:7]
	s_cbranch_execz .LBB1_242
.LBB1_2292:
	v_cmp_ne_u16_e32 vcc, 0, v3
	s_andn2_b64 s[4:5], s[4:5], exec
	s_and_b64 s[8:9], vcc, exec
	v_mov_b32_e32 v2, 0
	s_or_b64 s[4:5], s[4:5], s[8:9]
	s_or_b64 exec, exec, s[6:7]
	s_and_saveexec_b64 s[6:7], s[4:5]
	s_cbranch_execnz .LBB1_243
	s_branch .LBB1_244
.LBB1_2293:
	s_movk_i32 s4, 0x80
	v_cmp_eq_u16_e32 vcc, s4, v3
	s_mov_b64 s[4:5], -1
                                        ; implicit-def: $sgpr10
	s_and_saveexec_b64 s[8:9], vcc
; %bb.2294:
	s_mov_b32 s10, 0x7f800001
	s_xor_b64 s[4:5], exec, -1
; %bb.2295:
	s_or_b64 exec, exec, s[8:9]
	s_and_b64 s[4:5], s[4:5], exec
                                        ; implicit-def: $vgpr3
	s_or_saveexec_b64 s[6:7], s[6:7]
	v_mov_b32_e32 v4, s10
	s_xor_b64 exec, exec, s[6:7]
	s_cbranch_execz .LBB1_246
.LBB1_2296:
	v_cmp_ne_u16_e32 vcc, 0, v3
	s_andn2_b64 s[4:5], s[4:5], exec
	s_and_b64 s[8:9], vcc, exec
	v_mov_b32_e32 v4, 0
	s_or_b64 s[4:5], s[4:5], s[8:9]
	s_or_b64 exec, exec, s[6:7]
	s_and_saveexec_b64 s[6:7], s[4:5]
	s_cbranch_execnz .LBB1_247
	s_branch .LBB1_248
.LBB1_2297:
	s_movk_i32 s4, 0x80
	v_cmp_eq_u16_sdwa s[12:13], v9, s4 src0_sel:BYTE_3 src1_sel:DWORD
	s_mov_b64 s[4:5], -1
                                        ; implicit-def: $sgpr10
	s_and_saveexec_b64 s[8:9], s[12:13]
; %bb.2298:
	s_mov_b32 s10, 0x7f800001
	s_xor_b64 s[4:5], exec, -1
; %bb.2299:
	s_or_b64 exec, exec, s[8:9]
	s_and_b64 s[4:5], s[4:5], exec
	s_or_saveexec_b64 s[6:7], s[6:7]
	v_mov_b32_e32 v2, s10
	s_xor_b64 exec, exec, s[6:7]
	s_cbranch_execz .LBB1_250
.LBB1_2300:
	v_mov_b32_e32 v2, 0
	v_cmp_ne_u16_sdwa s[8:9], v9, v2 src0_sel:BYTE_3 src1_sel:DWORD
	s_andn2_b64 s[4:5], s[4:5], exec
	s_and_b64 s[8:9], s[8:9], exec
	s_or_b64 s[4:5], s[4:5], s[8:9]
	s_or_b64 exec, exec, s[6:7]
	s_and_saveexec_b64 s[6:7], s[4:5]
	s_cbranch_execnz .LBB1_251
	s_branch .LBB1_252
.LBB1_2301:
	s_movk_i32 s4, 0x80
	v_cmp_eq_u16_sdwa s[12:13], v5, s4 src0_sel:BYTE_3 src1_sel:DWORD
	s_mov_b64 s[4:5], -1
                                        ; implicit-def: $sgpr10
	s_and_saveexec_b64 s[8:9], s[12:13]
; %bb.2302:
	s_mov_b32 s10, 0x7f800001
	s_xor_b64 s[4:5], exec, -1
; %bb.2303:
	s_or_b64 exec, exec, s[8:9]
	s_and_b64 s[4:5], s[4:5], exec
	s_or_saveexec_b64 s[6:7], s[6:7]
	v_mov_b32_e32 v3, s10
	s_xor_b64 exec, exec, s[6:7]
	s_cbranch_execz .LBB1_254
.LBB1_2304:
	v_mov_b32_e32 v3, 0
	v_cmp_ne_u16_sdwa s[8:9], v5, v3 src0_sel:BYTE_3 src1_sel:DWORD
	s_andn2_b64 s[4:5], s[4:5], exec
	s_and_b64 s[8:9], s[8:9], exec
	s_or_b64 s[4:5], s[4:5], s[8:9]
	s_or_b64 exec, exec, s[6:7]
	s_and_saveexec_b64 s[6:7], s[4:5]
	s_cbranch_execnz .LBB1_255
	s_branch .LBB1_256
.LBB1_2305:
	s_movk_i32 s4, 0x80
	v_cmp_eq_u16_sdwa s[12:13], v14, s4 src0_sel:BYTE_0 src1_sel:DWORD
	s_mov_b64 s[4:5], -1
                                        ; implicit-def: $sgpr10
	s_and_saveexec_b64 s[8:9], s[12:13]
; %bb.2306:
	s_mov_b32 s10, 0x7f800001
	s_xor_b64 s[4:5], exec, -1
; %bb.2307:
	s_or_b64 exec, exec, s[8:9]
	s_and_b64 s[4:5], s[4:5], exec
	s_or_saveexec_b64 s[6:7], s[6:7]
	v_mov_b32_e32 v20, s10
	s_xor_b64 exec, exec, s[6:7]
	s_cbranch_execz .LBB1_258
.LBB1_2308:
	v_mov_b32_e32 v20, 0
	v_cmp_ne_u16_sdwa s[8:9], v14, v20 src0_sel:BYTE_0 src1_sel:DWORD
	s_andn2_b64 s[4:5], s[4:5], exec
	s_and_b64 s[8:9], s[8:9], exec
	s_or_b64 s[4:5], s[4:5], s[8:9]
	s_or_b64 exec, exec, s[6:7]
	s_and_saveexec_b64 s[6:7], s[4:5]
	s_cbranch_execnz .LBB1_259
	s_branch .LBB1_260
.LBB1_2309:
	s_movk_i32 s4, 0x80
	v_cmp_eq_u16_sdwa s[12:13], v10, s4 src0_sel:BYTE_0 src1_sel:DWORD
	s_mov_b64 s[4:5], -1
                                        ; implicit-def: $sgpr10
	s_and_saveexec_b64 s[8:9], s[12:13]
; %bb.2310:
	s_mov_b32 s10, 0x7f800001
	s_xor_b64 s[4:5], exec, -1
; %bb.2311:
	s_or_b64 exec, exec, s[8:9]
	s_and_b64 s[4:5], s[4:5], exec
	s_or_saveexec_b64 s[6:7], s[6:7]
	v_mov_b32_e32 v21, s10
	s_xor_b64 exec, exec, s[6:7]
	s_cbranch_execz .LBB1_262
.LBB1_2312:
	v_mov_b32_e32 v21, 0
	v_cmp_ne_u16_sdwa s[8:9], v10, v21 src0_sel:BYTE_0 src1_sel:DWORD
	s_andn2_b64 s[4:5], s[4:5], exec
	s_and_b64 s[8:9], s[8:9], exec
	s_or_b64 s[4:5], s[4:5], s[8:9]
	s_or_b64 exec, exec, s[6:7]
	s_and_saveexec_b64 s[6:7], s[4:5]
	s_cbranch_execnz .LBB1_263
	s_branch .LBB1_264
.LBB1_2313:
	s_movk_i32 s4, 0x80
	v_cmp_eq_u16_sdwa s[12:13], v21, s4 src0_sel:BYTE_0 src1_sel:DWORD
	s_mov_b64 s[4:5], -1
                                        ; implicit-def: $sgpr10
	s_and_saveexec_b64 s[8:9], s[12:13]
; %bb.2314:
	s_mov_b32 s10, 0x7f800001
	s_xor_b64 s[4:5], exec, -1
; %bb.2315:
	s_or_b64 exec, exec, s[8:9]
	s_and_b64 s[4:5], s[4:5], exec
	s_or_saveexec_b64 s[6:7], s[6:7]
	v_mov_b32_e32 v20, s10
	s_xor_b64 exec, exec, s[6:7]
	s_cbranch_execz .LBB1_266
.LBB1_2316:
	v_mov_b32_e32 v20, 0
	v_cmp_ne_u16_sdwa s[8:9], v21, v20 src0_sel:BYTE_0 src1_sel:DWORD
	s_andn2_b64 s[4:5], s[4:5], exec
	s_and_b64 s[8:9], s[8:9], exec
	s_or_b64 s[4:5], s[4:5], s[8:9]
	s_or_b64 exec, exec, s[6:7]
	s_and_saveexec_b64 s[6:7], s[4:5]
	s_cbranch_execnz .LBB1_267
	s_branch .LBB1_268
.LBB1_2317:
	s_movk_i32 s4, 0x80
	v_cmp_eq_u16_sdwa s[12:13], v21, s4 src0_sel:BYTE_0 src1_sel:DWORD
	s_mov_b64 s[4:5], -1
                                        ; implicit-def: $sgpr10
	s_and_saveexec_b64 s[8:9], s[12:13]
; %bb.2318:
	s_mov_b32 s10, 0x7f800001
	s_xor_b64 s[4:5], exec, -1
; %bb.2319:
	s_or_b64 exec, exec, s[8:9]
	s_and_b64 s[4:5], s[4:5], exec
	s_or_saveexec_b64 s[6:7], s[6:7]
	v_mov_b32_e32 v22, s10
	s_xor_b64 exec, exec, s[6:7]
	s_cbranch_execz .LBB1_270
.LBB1_2320:
	v_mov_b32_e32 v22, 0
	v_cmp_ne_u16_sdwa s[8:9], v21, v22 src0_sel:BYTE_0 src1_sel:DWORD
	s_andn2_b64 s[4:5], s[4:5], exec
	s_and_b64 s[8:9], s[8:9], exec
	s_or_b64 s[4:5], s[4:5], s[8:9]
	s_or_b64 exec, exec, s[6:7]
	s_and_saveexec_b64 s[6:7], s[4:5]
	s_cbranch_execnz .LBB1_271
	s_branch .LBB1_272
.LBB1_2321:
	s_movk_i32 s4, 0x80
	v_cmp_eq_u16_e32 vcc, s4, v21
	s_mov_b64 s[4:5], -1
                                        ; implicit-def: $sgpr10
	s_and_saveexec_b64 s[8:9], vcc
; %bb.2322:
	s_mov_b32 s10, 0x7f800001
	s_xor_b64 s[4:5], exec, -1
; %bb.2323:
	s_or_b64 exec, exec, s[8:9]
	s_and_b64 s[4:5], s[4:5], exec
                                        ; implicit-def: $vgpr21
	s_or_saveexec_b64 s[6:7], s[6:7]
	v_mov_b32_e32 v20, s10
	s_xor_b64 exec, exec, s[6:7]
	s_cbranch_execz .LBB1_274
.LBB1_2324:
	v_cmp_ne_u16_e32 vcc, 0, v21
	s_andn2_b64 s[4:5], s[4:5], exec
	s_and_b64 s[8:9], vcc, exec
	v_mov_b32_e32 v20, 0
	s_or_b64 s[4:5], s[4:5], s[8:9]
	s_or_b64 exec, exec, s[6:7]
	s_and_saveexec_b64 s[6:7], s[4:5]
	s_cbranch_execnz .LBB1_275
	s_branch .LBB1_276
.LBB1_2325:
	s_movk_i32 s4, 0x80
	v_cmp_eq_u16_e32 vcc, s4, v21
	s_mov_b64 s[4:5], -1
                                        ; implicit-def: $sgpr10
	s_and_saveexec_b64 s[8:9], vcc
; %bb.2326:
	s_mov_b32 s10, 0x7f800001
	s_xor_b64 s[4:5], exec, -1
; %bb.2327:
	s_or_b64 exec, exec, s[8:9]
	s_and_b64 s[4:5], s[4:5], exec
                                        ; implicit-def: $vgpr21
	s_or_saveexec_b64 s[6:7], s[6:7]
	v_mov_b32_e32 v22, s10
	s_xor_b64 exec, exec, s[6:7]
	s_cbranch_execz .LBB1_278
.LBB1_2328:
	v_cmp_ne_u16_e32 vcc, 0, v21
	s_andn2_b64 s[4:5], s[4:5], exec
	s_and_b64 s[8:9], vcc, exec
	v_mov_b32_e32 v22, 0
	s_or_b64 s[4:5], s[4:5], s[8:9]
	s_or_b64 exec, exec, s[6:7]
	s_and_saveexec_b64 s[6:7], s[4:5]
	s_cbranch_execnz .LBB1_279
	s_branch .LBB1_280
.LBB1_2329:
	s_movk_i32 s4, 0x80
	v_cmp_eq_u16_sdwa s[12:13], v14, s4 src0_sel:BYTE_3 src1_sel:DWORD
	s_mov_b64 s[4:5], -1
                                        ; implicit-def: $sgpr10
	s_and_saveexec_b64 s[8:9], s[12:13]
; %bb.2330:
	s_mov_b32 s10, 0x7f800001
	s_xor_b64 s[4:5], exec, -1
; %bb.2331:
	s_or_b64 exec, exec, s[8:9]
	s_and_b64 s[4:5], s[4:5], exec
	s_or_saveexec_b64 s[6:7], s[6:7]
	v_mov_b32_e32 v20, s10
	s_xor_b64 exec, exec, s[6:7]
	s_cbranch_execz .LBB1_282
.LBB1_2332:
	v_mov_b32_e32 v20, 0
	v_cmp_ne_u16_sdwa s[8:9], v14, v20 src0_sel:BYTE_3 src1_sel:DWORD
	s_andn2_b64 s[4:5], s[4:5], exec
	s_and_b64 s[8:9], s[8:9], exec
	s_or_b64 s[4:5], s[4:5], s[8:9]
	s_or_b64 exec, exec, s[6:7]
	s_and_saveexec_b64 s[6:7], s[4:5]
	s_cbranch_execnz .LBB1_283
	s_branch .LBB1_284
.LBB1_2333:
	s_movk_i32 s4, 0x80
	v_cmp_eq_u16_sdwa s[12:13], v10, s4 src0_sel:BYTE_3 src1_sel:DWORD
	s_mov_b64 s[4:5], -1
                                        ; implicit-def: $sgpr10
	s_and_saveexec_b64 s[8:9], s[12:13]
; %bb.2334:
	s_mov_b32 s10, 0x7f800001
	s_xor_b64 s[4:5], exec, -1
; %bb.2335:
	s_or_b64 exec, exec, s[8:9]
	s_and_b64 s[4:5], s[4:5], exec
	s_or_saveexec_b64 s[6:7], s[6:7]
	v_mov_b32_e32 v14, s10
	s_xor_b64 exec, exec, s[6:7]
	s_cbranch_execz .LBB1_286
.LBB1_2336:
	v_mov_b32_e32 v14, 0
	v_cmp_ne_u16_sdwa s[8:9], v10, v14 src0_sel:BYTE_3 src1_sel:DWORD
	s_andn2_b64 s[4:5], s[4:5], exec
	s_and_b64 s[8:9], s[8:9], exec
	s_or_b64 s[4:5], s[4:5], s[8:9]
	s_or_b64 exec, exec, s[6:7]
	s_and_saveexec_b64 s[6:7], s[4:5]
	s_cbranch_execnz .LBB1_287
	s_branch .LBB1_288
.LBB1_2337:
	s_movk_i32 s4, 0x80
	v_cmp_eq_u16_sdwa s[12:13], v15, s4 src0_sel:BYTE_0 src1_sel:DWORD
	s_mov_b64 s[4:5], -1
                                        ; implicit-def: $sgpr10
	s_and_saveexec_b64 s[8:9], s[12:13]
; %bb.2338:
	s_mov_b32 s10, 0x7f800001
	s_xor_b64 s[4:5], exec, -1
; %bb.2339:
	s_or_b64 exec, exec, s[8:9]
	s_and_b64 s[4:5], s[4:5], exec
	s_or_saveexec_b64 s[6:7], s[6:7]
	v_mov_b32_e32 v10, s10
	s_xor_b64 exec, exec, s[6:7]
	s_cbranch_execz .LBB1_290
.LBB1_2340:
	v_mov_b32_e32 v10, 0
	v_cmp_ne_u16_sdwa s[8:9], v15, v10 src0_sel:BYTE_0 src1_sel:DWORD
	s_andn2_b64 s[4:5], s[4:5], exec
	s_and_b64 s[8:9], s[8:9], exec
	s_or_b64 s[4:5], s[4:5], s[8:9]
	s_or_b64 exec, exec, s[6:7]
	s_and_saveexec_b64 s[6:7], s[4:5]
	s_cbranch_execnz .LBB1_291
	s_branch .LBB1_292
.LBB1_2341:
	s_movk_i32 s4, 0x80
	v_cmp_eq_u16_sdwa s[12:13], v11, s4 src0_sel:BYTE_0 src1_sel:DWORD
	s_mov_b64 s[4:5], -1
                                        ; implicit-def: $sgpr10
	s_and_saveexec_b64 s[8:9], s[12:13]
; %bb.2342:
	s_mov_b32 s10, 0x7f800001
	s_xor_b64 s[4:5], exec, -1
; %bb.2343:
	s_or_b64 exec, exec, s[8:9]
	s_and_b64 s[4:5], s[4:5], exec
	s_or_saveexec_b64 s[6:7], s[6:7]
	v_mov_b32_e32 v14, s10
	s_xor_b64 exec, exec, s[6:7]
	s_cbranch_execz .LBB1_294
.LBB1_2344:
	v_mov_b32_e32 v14, 0
	v_cmp_ne_u16_sdwa s[8:9], v11, v14 src0_sel:BYTE_0 src1_sel:DWORD
	s_andn2_b64 s[4:5], s[4:5], exec
	s_and_b64 s[8:9], s[8:9], exec
	s_or_b64 s[4:5], s[4:5], s[8:9]
	s_or_b64 exec, exec, s[6:7]
	s_and_saveexec_b64 s[6:7], s[4:5]
	s_cbranch_execnz .LBB1_295
	s_branch .LBB1_296
.LBB1_2345:
	s_movk_i32 s4, 0x80
	v_cmp_eq_u16_sdwa s[12:13], v14, s4 src0_sel:BYTE_0 src1_sel:DWORD
	s_mov_b64 s[4:5], -1
                                        ; implicit-def: $sgpr10
	s_and_saveexec_b64 s[8:9], s[12:13]
; %bb.2346:
	s_mov_b32 s10, 0x7f800001
	s_xor_b64 s[4:5], exec, -1
; %bb.2347:
	s_or_b64 exec, exec, s[8:9]
	s_and_b64 s[4:5], s[4:5], exec
	s_or_saveexec_b64 s[6:7], s[6:7]
	v_mov_b32_e32 v10, s10
	s_xor_b64 exec, exec, s[6:7]
	s_cbranch_execz .LBB1_298
.LBB1_2348:
	v_mov_b32_e32 v10, 0
	v_cmp_ne_u16_sdwa s[8:9], v14, v10 src0_sel:BYTE_0 src1_sel:DWORD
	s_andn2_b64 s[4:5], s[4:5], exec
	s_and_b64 s[8:9], s[8:9], exec
	s_or_b64 s[4:5], s[4:5], s[8:9]
	s_or_b64 exec, exec, s[6:7]
	s_and_saveexec_b64 s[6:7], s[4:5]
	s_cbranch_execnz .LBB1_299
	s_branch .LBB1_300
.LBB1_2349:
	s_movk_i32 s4, 0x80
	v_cmp_eq_u16_sdwa s[12:13], v14, s4 src0_sel:BYTE_0 src1_sel:DWORD
	s_mov_b64 s[4:5], -1
                                        ; implicit-def: $sgpr10
	s_and_saveexec_b64 s[8:9], s[12:13]
; %bb.2350:
	s_mov_b32 s10, 0x7f800001
	s_xor_b64 s[4:5], exec, -1
; %bb.2351:
	s_or_b64 exec, exec, s[8:9]
	s_and_b64 s[4:5], s[4:5], exec
	s_or_saveexec_b64 s[6:7], s[6:7]
	v_mov_b32_e32 v20, s10
	s_xor_b64 exec, exec, s[6:7]
	s_cbranch_execz .LBB1_302
.LBB1_2352:
	v_mov_b32_e32 v20, 0
	v_cmp_ne_u16_sdwa s[8:9], v14, v20 src0_sel:BYTE_0 src1_sel:DWORD
	s_andn2_b64 s[4:5], s[4:5], exec
	s_and_b64 s[8:9], s[8:9], exec
	s_or_b64 s[4:5], s[4:5], s[8:9]
	s_or_b64 exec, exec, s[6:7]
	s_and_saveexec_b64 s[6:7], s[4:5]
	s_cbranch_execnz .LBB1_303
	s_branch .LBB1_304
.LBB1_2353:
	s_movk_i32 s4, 0x80
	v_cmp_eq_u16_e32 vcc, s4, v14
	s_mov_b64 s[4:5], -1
                                        ; implicit-def: $sgpr10
	s_and_saveexec_b64 s[8:9], vcc
; %bb.2354:
	s_mov_b32 s10, 0x7f800001
	s_xor_b64 s[4:5], exec, -1
; %bb.2355:
	s_or_b64 exec, exec, s[8:9]
	s_and_b64 s[4:5], s[4:5], exec
                                        ; implicit-def: $vgpr14
	s_or_saveexec_b64 s[6:7], s[6:7]
	v_mov_b32_e32 v10, s10
	s_xor_b64 exec, exec, s[6:7]
	s_cbranch_execz .LBB1_306
.LBB1_2356:
	v_cmp_ne_u16_e32 vcc, 0, v14
	s_andn2_b64 s[4:5], s[4:5], exec
	s_and_b64 s[8:9], vcc, exec
	v_mov_b32_e32 v10, 0
	s_or_b64 s[4:5], s[4:5], s[8:9]
	s_or_b64 exec, exec, s[6:7]
	s_and_saveexec_b64 s[6:7], s[4:5]
	s_cbranch_execnz .LBB1_307
	s_branch .LBB1_308
.LBB1_2357:
	s_movk_i32 s4, 0x80
	v_cmp_eq_u16_e32 vcc, s4, v14
	s_mov_b64 s[4:5], -1
                                        ; implicit-def: $sgpr10
	s_and_saveexec_b64 s[8:9], vcc
; %bb.2358:
	s_mov_b32 s10, 0x7f800001
	s_xor_b64 s[4:5], exec, -1
; %bb.2359:
	s_or_b64 exec, exec, s[8:9]
	s_and_b64 s[4:5], s[4:5], exec
                                        ; implicit-def: $vgpr14
	s_or_saveexec_b64 s[6:7], s[6:7]
	v_mov_b32_e32 v20, s10
	s_xor_b64 exec, exec, s[6:7]
	s_cbranch_execz .LBB1_310
.LBB1_2360:
	v_cmp_ne_u16_e32 vcc, 0, v14
	s_andn2_b64 s[4:5], s[4:5], exec
	s_and_b64 s[8:9], vcc, exec
	v_mov_b32_e32 v20, 0
	s_or_b64 s[4:5], s[4:5], s[8:9]
	s_or_b64 exec, exec, s[6:7]
	s_and_saveexec_b64 s[6:7], s[4:5]
	s_cbranch_execnz .LBB1_311
	s_branch .LBB1_312
.LBB1_2361:
	s_movk_i32 s4, 0x80
	v_cmp_eq_u16_sdwa s[12:13], v15, s4 src0_sel:BYTE_3 src1_sel:DWORD
	s_mov_b64 s[4:5], -1
                                        ; implicit-def: $sgpr10
	s_and_saveexec_b64 s[8:9], s[12:13]
; %bb.2362:
	s_mov_b32 s10, 0x7f800001
	s_xor_b64 s[4:5], exec, -1
; %bb.2363:
	s_or_b64 exec, exec, s[8:9]
	s_and_b64 s[4:5], s[4:5], exec
	s_or_saveexec_b64 s[6:7], s[6:7]
	v_mov_b32_e32 v10, s10
	s_xor_b64 exec, exec, s[6:7]
	s_cbranch_execz .LBB1_314
.LBB1_2364:
	v_mov_b32_e32 v10, 0
	v_cmp_ne_u16_sdwa s[8:9], v15, v10 src0_sel:BYTE_3 src1_sel:DWORD
	s_andn2_b64 s[4:5], s[4:5], exec
	s_and_b64 s[8:9], s[8:9], exec
	s_or_b64 s[4:5], s[4:5], s[8:9]
	s_or_b64 exec, exec, s[6:7]
	s_and_saveexec_b64 s[6:7], s[4:5]
	s_cbranch_execnz .LBB1_315
	s_branch .LBB1_316
.LBB1_2365:
	s_movk_i32 s4, 0x80
	v_cmp_eq_u16_sdwa s[12:13], v11, s4 src0_sel:BYTE_3 src1_sel:DWORD
	s_mov_b64 s[4:5], -1
                                        ; implicit-def: $sgpr10
	s_and_saveexec_b64 s[8:9], s[12:13]
; %bb.2366:
	s_mov_b32 s10, 0x7f800001
	s_xor_b64 s[4:5], exec, -1
; %bb.2367:
	s_or_b64 exec, exec, s[8:9]
	s_and_b64 s[4:5], s[4:5], exec
	s_or_saveexec_b64 s[6:7], s[6:7]
	v_mov_b32_e32 v14, s10
	s_xor_b64 exec, exec, s[6:7]
	s_cbranch_execz .LBB1_318
.LBB1_2368:
	v_mov_b32_e32 v14, 0
	v_cmp_ne_u16_sdwa s[8:9], v11, v14 src0_sel:BYTE_3 src1_sel:DWORD
	s_andn2_b64 s[4:5], s[4:5], exec
	s_and_b64 s[8:9], s[8:9], exec
	s_or_b64 s[4:5], s[4:5], s[8:9]
	s_or_b64 exec, exec, s[6:7]
	s_and_saveexec_b64 s[6:7], s[4:5]
	s_cbranch_execnz .LBB1_319
	s_branch .LBB1_320
.LBB1_2369:
	s_movk_i32 s4, 0x80
	v_cmp_eq_u16_sdwa s[12:13], v16, s4 src0_sel:BYTE_0 src1_sel:DWORD
	s_mov_b64 s[4:5], -1
                                        ; implicit-def: $sgpr10
	s_and_saveexec_b64 s[8:9], s[12:13]
; %bb.2370:
	s_mov_b32 s10, 0x7f800001
	s_xor_b64 s[4:5], exec, -1
; %bb.2371:
	s_or_b64 exec, exec, s[8:9]
	s_and_b64 s[4:5], s[4:5], exec
	s_or_saveexec_b64 s[6:7], s[6:7]
	v_mov_b32_e32 v10, s10
	s_xor_b64 exec, exec, s[6:7]
	s_cbranch_execz .LBB1_322
.LBB1_2372:
	v_mov_b32_e32 v10, 0
	v_cmp_ne_u16_sdwa s[8:9], v16, v10 src0_sel:BYTE_0 src1_sel:DWORD
	s_andn2_b64 s[4:5], s[4:5], exec
	s_and_b64 s[8:9], s[8:9], exec
	s_or_b64 s[4:5], s[4:5], s[8:9]
	s_or_b64 exec, exec, s[6:7]
	s_and_saveexec_b64 s[6:7], s[4:5]
	s_cbranch_execnz .LBB1_323
	s_branch .LBB1_324
.LBB1_2373:
	s_movk_i32 s4, 0x80
	v_cmp_eq_u16_sdwa s[12:13], v12, s4 src0_sel:BYTE_0 src1_sel:DWORD
	s_mov_b64 s[4:5], -1
                                        ; implicit-def: $sgpr10
	s_and_saveexec_b64 s[8:9], s[12:13]
; %bb.2374:
	s_mov_b32 s10, 0x7f800001
	s_xor_b64 s[4:5], exec, -1
; %bb.2375:
	s_or_b64 exec, exec, s[8:9]
	s_and_b64 s[4:5], s[4:5], exec
	s_or_saveexec_b64 s[6:7], s[6:7]
	v_mov_b32_e32 v11, s10
	s_xor_b64 exec, exec, s[6:7]
	s_cbranch_execz .LBB1_326
.LBB1_2376:
	v_mov_b32_e32 v11, 0
	v_cmp_ne_u16_sdwa s[8:9], v12, v11 src0_sel:BYTE_0 src1_sel:DWORD
	s_andn2_b64 s[4:5], s[4:5], exec
	s_and_b64 s[8:9], s[8:9], exec
	s_or_b64 s[4:5], s[4:5], s[8:9]
	s_or_b64 exec, exec, s[6:7]
	s_and_saveexec_b64 s[6:7], s[4:5]
	s_cbranch_execnz .LBB1_327
	s_branch .LBB1_328
.LBB1_2377:
	s_movk_i32 s4, 0x80
	v_cmp_eq_u16_sdwa s[12:13], v11, s4 src0_sel:BYTE_0 src1_sel:DWORD
	s_mov_b64 s[4:5], -1
                                        ; implicit-def: $sgpr10
	s_and_saveexec_b64 s[8:9], s[12:13]
; %bb.2378:
	s_mov_b32 s10, 0x7f800001
	s_xor_b64 s[4:5], exec, -1
; %bb.2379:
	s_or_b64 exec, exec, s[8:9]
	s_and_b64 s[4:5], s[4:5], exec
	s_or_saveexec_b64 s[6:7], s[6:7]
	v_mov_b32_e32 v10, s10
	s_xor_b64 exec, exec, s[6:7]
	s_cbranch_execz .LBB1_330
.LBB1_2380:
	v_mov_b32_e32 v10, 0
	v_cmp_ne_u16_sdwa s[8:9], v11, v10 src0_sel:BYTE_0 src1_sel:DWORD
	s_andn2_b64 s[4:5], s[4:5], exec
	s_and_b64 s[8:9], s[8:9], exec
	s_or_b64 s[4:5], s[4:5], s[8:9]
	s_or_b64 exec, exec, s[6:7]
	s_and_saveexec_b64 s[6:7], s[4:5]
	s_cbranch_execnz .LBB1_331
	s_branch .LBB1_332
.LBB1_2381:
	s_movk_i32 s4, 0x80
	v_cmp_eq_u16_sdwa s[12:13], v11, s4 src0_sel:BYTE_0 src1_sel:DWORD
	s_mov_b64 s[4:5], -1
                                        ; implicit-def: $sgpr10
	s_and_saveexec_b64 s[8:9], s[12:13]
; %bb.2382:
	s_mov_b32 s10, 0x7f800001
	s_xor_b64 s[4:5], exec, -1
; %bb.2383:
	s_or_b64 exec, exec, s[8:9]
	s_and_b64 s[4:5], s[4:5], exec
	s_or_saveexec_b64 s[6:7], s[6:7]
	v_mov_b32_e32 v14, s10
	s_xor_b64 exec, exec, s[6:7]
	s_cbranch_execz .LBB1_334
.LBB1_2384:
	v_mov_b32_e32 v14, 0
	v_cmp_ne_u16_sdwa s[8:9], v11, v14 src0_sel:BYTE_0 src1_sel:DWORD
	s_andn2_b64 s[4:5], s[4:5], exec
	s_and_b64 s[8:9], s[8:9], exec
	s_or_b64 s[4:5], s[4:5], s[8:9]
	s_or_b64 exec, exec, s[6:7]
	s_and_saveexec_b64 s[6:7], s[4:5]
	s_cbranch_execnz .LBB1_335
	s_branch .LBB1_336
.LBB1_2385:
	s_movk_i32 s4, 0x80
	v_cmp_eq_u16_e32 vcc, s4, v11
	s_mov_b64 s[4:5], -1
                                        ; implicit-def: $sgpr10
	s_and_saveexec_b64 s[8:9], vcc
; %bb.2386:
	s_mov_b32 s10, 0x7f800001
	s_xor_b64 s[4:5], exec, -1
; %bb.2387:
	s_or_b64 exec, exec, s[8:9]
	s_and_b64 s[4:5], s[4:5], exec
                                        ; implicit-def: $vgpr11
	s_or_saveexec_b64 s[6:7], s[6:7]
	v_mov_b32_e32 v10, s10
	s_xor_b64 exec, exec, s[6:7]
	s_cbranch_execz .LBB1_338
.LBB1_2388:
	v_cmp_ne_u16_e32 vcc, 0, v11
	s_andn2_b64 s[4:5], s[4:5], exec
	s_and_b64 s[8:9], vcc, exec
	v_mov_b32_e32 v10, 0
	s_or_b64 s[4:5], s[4:5], s[8:9]
	s_or_b64 exec, exec, s[6:7]
	s_and_saveexec_b64 s[6:7], s[4:5]
	s_cbranch_execnz .LBB1_339
	s_branch .LBB1_340
.LBB1_2389:
	s_movk_i32 s4, 0x80
	v_cmp_eq_u16_e32 vcc, s4, v11
	s_mov_b64 s[4:5], -1
                                        ; implicit-def: $sgpr10
	s_and_saveexec_b64 s[8:9], vcc
; %bb.2390:
	s_mov_b32 s10, 0x7f800001
	s_xor_b64 s[4:5], exec, -1
; %bb.2391:
	s_or_b64 exec, exec, s[8:9]
	s_and_b64 s[4:5], s[4:5], exec
                                        ; implicit-def: $vgpr11
	s_or_saveexec_b64 s[6:7], s[6:7]
	v_mov_b32_e32 v14, s10
	s_xor_b64 exec, exec, s[6:7]
	s_cbranch_execz .LBB1_342
.LBB1_2392:
	v_cmp_ne_u16_e32 vcc, 0, v11
	s_andn2_b64 s[4:5], s[4:5], exec
	s_and_b64 s[8:9], vcc, exec
	v_mov_b32_e32 v14, 0
	s_or_b64 s[4:5], s[4:5], s[8:9]
	s_or_b64 exec, exec, s[6:7]
	s_and_saveexec_b64 s[6:7], s[4:5]
	s_cbranch_execnz .LBB1_343
	s_branch .LBB1_344
.LBB1_2393:
	s_movk_i32 s4, 0x80
	v_cmp_eq_u16_sdwa s[12:13], v16, s4 src0_sel:BYTE_3 src1_sel:DWORD
	s_mov_b64 s[4:5], -1
                                        ; implicit-def: $sgpr10
	s_and_saveexec_b64 s[8:9], s[12:13]
; %bb.2394:
	s_mov_b32 s10, 0x7f800001
	s_xor_b64 s[4:5], exec, -1
; %bb.2395:
	s_or_b64 exec, exec, s[8:9]
	s_and_b64 s[4:5], s[4:5], exec
	s_or_saveexec_b64 s[6:7], s[6:7]
	v_mov_b32_e32 v10, s10
	s_xor_b64 exec, exec, s[6:7]
	s_cbranch_execz .LBB1_346
.LBB1_2396:
	v_mov_b32_e32 v10, 0
	v_cmp_ne_u16_sdwa s[8:9], v16, v10 src0_sel:BYTE_3 src1_sel:DWORD
	s_andn2_b64 s[4:5], s[4:5], exec
	s_and_b64 s[8:9], s[8:9], exec
	s_or_b64 s[4:5], s[4:5], s[8:9]
	s_or_b64 exec, exec, s[6:7]
	s_and_saveexec_b64 s[6:7], s[4:5]
	s_cbranch_execnz .LBB1_347
	s_branch .LBB1_348
.LBB1_2397:
	s_movk_i32 s4, 0x80
	v_cmp_eq_u16_sdwa s[12:13], v12, s4 src0_sel:BYTE_3 src1_sel:DWORD
	s_mov_b64 s[4:5], -1
                                        ; implicit-def: $sgpr10
	s_and_saveexec_b64 s[8:9], s[12:13]
; %bb.2398:
	s_mov_b32 s10, 0x7f800001
	s_xor_b64 s[4:5], exec, -1
; %bb.2399:
	s_or_b64 exec, exec, s[8:9]
	s_and_b64 s[4:5], s[4:5], exec
	s_or_saveexec_b64 s[6:7], s[6:7]
	v_mov_b32_e32 v11, s10
	s_xor_b64 exec, exec, s[6:7]
	s_cbranch_execz .LBB1_350
.LBB1_2400:
	v_mov_b32_e32 v11, 0
	v_cmp_ne_u16_sdwa s[8:9], v12, v11 src0_sel:BYTE_3 src1_sel:DWORD
	s_andn2_b64 s[4:5], s[4:5], exec
	s_and_b64 s[8:9], s[8:9], exec
	s_or_b64 s[4:5], s[4:5], s[8:9]
	s_or_b64 exec, exec, s[6:7]
	s_and_saveexec_b64 s[6:7], s[4:5]
	s_cbranch_execnz .LBB1_351
	s_branch .LBB1_352
.LBB1_2401:
	s_movk_i32 s4, 0x80
	v_cmp_eq_u16_sdwa s[12:13], v17, s4 src0_sel:BYTE_0 src1_sel:DWORD
	s_mov_b64 s[4:5], -1
                                        ; implicit-def: $sgpr10
	s_and_saveexec_b64 s[8:9], s[12:13]
; %bb.2402:
	s_mov_b32 s10, 0x7f800001
	s_xor_b64 s[4:5], exec, -1
; %bb.2403:
	s_or_b64 exec, exec, s[8:9]
	s_and_b64 s[4:5], s[4:5], exec
	s_or_saveexec_b64 s[6:7], s[6:7]
	v_mov_b32_e32 v10, s10
	s_xor_b64 exec, exec, s[6:7]
	s_cbranch_execz .LBB1_354
.LBB1_2404:
	v_mov_b32_e32 v10, 0
	v_cmp_ne_u16_sdwa s[8:9], v17, v10 src0_sel:BYTE_0 src1_sel:DWORD
	s_andn2_b64 s[4:5], s[4:5], exec
	s_and_b64 s[8:9], s[8:9], exec
	s_or_b64 s[4:5], s[4:5], s[8:9]
	s_or_b64 exec, exec, s[6:7]
	s_and_saveexec_b64 s[6:7], s[4:5]
	s_cbranch_execnz .LBB1_355
	s_branch .LBB1_356
.LBB1_2405:
	s_movk_i32 s4, 0x80
	v_cmp_eq_u16_sdwa s[12:13], v13, s4 src0_sel:BYTE_0 src1_sel:DWORD
	s_mov_b64 s[4:5], -1
                                        ; implicit-def: $sgpr10
	s_and_saveexec_b64 s[8:9], s[12:13]
; %bb.2406:
	s_mov_b32 s10, 0x7f800001
	s_xor_b64 s[4:5], exec, -1
; %bb.2407:
	s_or_b64 exec, exec, s[8:9]
	s_and_b64 s[4:5], s[4:5], exec
	s_or_saveexec_b64 s[6:7], s[6:7]
	v_mov_b32_e32 v11, s10
	s_xor_b64 exec, exec, s[6:7]
	s_cbranch_execz .LBB1_358
.LBB1_2408:
	v_mov_b32_e32 v11, 0
	v_cmp_ne_u16_sdwa s[8:9], v13, v11 src0_sel:BYTE_0 src1_sel:DWORD
	s_andn2_b64 s[4:5], s[4:5], exec
	s_and_b64 s[8:9], s[8:9], exec
	s_or_b64 s[4:5], s[4:5], s[8:9]
	s_or_b64 exec, exec, s[6:7]
	s_and_saveexec_b64 s[6:7], s[4:5]
	s_cbranch_execnz .LBB1_359
	s_branch .LBB1_360
.LBB1_2409:
	s_movk_i32 s4, 0x80
	v_cmp_eq_u16_sdwa s[12:13], v11, s4 src0_sel:BYTE_0 src1_sel:DWORD
	s_mov_b64 s[4:5], -1
                                        ; implicit-def: $sgpr10
	s_and_saveexec_b64 s[8:9], s[12:13]
; %bb.2410:
	s_mov_b32 s10, 0x7f800001
	s_xor_b64 s[4:5], exec, -1
; %bb.2411:
	s_or_b64 exec, exec, s[8:9]
	s_and_b64 s[4:5], s[4:5], exec
	s_or_saveexec_b64 s[6:7], s[6:7]
	v_mov_b32_e32 v10, s10
	s_xor_b64 exec, exec, s[6:7]
	s_cbranch_execz .LBB1_362
.LBB1_2412:
	v_mov_b32_e32 v10, 0
	v_cmp_ne_u16_sdwa s[8:9], v11, v10 src0_sel:BYTE_0 src1_sel:DWORD
	s_andn2_b64 s[4:5], s[4:5], exec
	s_and_b64 s[8:9], s[8:9], exec
	s_or_b64 s[4:5], s[4:5], s[8:9]
	s_or_b64 exec, exec, s[6:7]
	s_and_saveexec_b64 s[6:7], s[4:5]
	s_cbranch_execnz .LBB1_363
	s_branch .LBB1_364
.LBB1_2413:
	s_movk_i32 s4, 0x80
	v_cmp_eq_u16_sdwa s[12:13], v11, s4 src0_sel:BYTE_0 src1_sel:DWORD
	s_mov_b64 s[4:5], -1
                                        ; implicit-def: $sgpr10
	s_and_saveexec_b64 s[8:9], s[12:13]
; %bb.2414:
	s_mov_b32 s10, 0x7f800001
	s_xor_b64 s[4:5], exec, -1
; %bb.2415:
	s_or_b64 exec, exec, s[8:9]
	s_and_b64 s[4:5], s[4:5], exec
	s_or_saveexec_b64 s[6:7], s[6:7]
	v_mov_b32_e32 v12, s10
	s_xor_b64 exec, exec, s[6:7]
	s_cbranch_execz .LBB1_366
.LBB1_2416:
	v_mov_b32_e32 v12, 0
	v_cmp_ne_u16_sdwa s[8:9], v11, v12 src0_sel:BYTE_0 src1_sel:DWORD
	s_andn2_b64 s[4:5], s[4:5], exec
	s_and_b64 s[8:9], s[8:9], exec
	s_or_b64 s[4:5], s[4:5], s[8:9]
	s_or_b64 exec, exec, s[6:7]
	s_and_saveexec_b64 s[6:7], s[4:5]
	s_cbranch_execnz .LBB1_367
	s_branch .LBB1_368
.LBB1_2417:
	s_movk_i32 s4, 0x80
	v_cmp_eq_u16_e32 vcc, s4, v11
	s_mov_b64 s[4:5], -1
                                        ; implicit-def: $sgpr10
	s_and_saveexec_b64 s[8:9], vcc
; %bb.2418:
	s_mov_b32 s10, 0x7f800001
	s_xor_b64 s[4:5], exec, -1
; %bb.2419:
	s_or_b64 exec, exec, s[8:9]
	s_and_b64 s[4:5], s[4:5], exec
                                        ; implicit-def: $vgpr11
	s_or_saveexec_b64 s[6:7], s[6:7]
	v_mov_b32_e32 v10, s10
	s_xor_b64 exec, exec, s[6:7]
	s_cbranch_execz .LBB1_370
.LBB1_2420:
	v_cmp_ne_u16_e32 vcc, 0, v11
	s_andn2_b64 s[4:5], s[4:5], exec
	s_and_b64 s[8:9], vcc, exec
	v_mov_b32_e32 v10, 0
	s_or_b64 s[4:5], s[4:5], s[8:9]
	s_or_b64 exec, exec, s[6:7]
	s_and_saveexec_b64 s[6:7], s[4:5]
	s_cbranch_execnz .LBB1_371
	s_branch .LBB1_372
.LBB1_2421:
	s_movk_i32 s4, 0x80
	v_cmp_eq_u16_e32 vcc, s4, v11
	s_mov_b64 s[4:5], -1
                                        ; implicit-def: $sgpr10
	s_and_saveexec_b64 s[8:9], vcc
; %bb.2422:
	s_mov_b32 s10, 0x7f800001
	s_xor_b64 s[4:5], exec, -1
; %bb.2423:
	s_or_b64 exec, exec, s[8:9]
	s_and_b64 s[4:5], s[4:5], exec
                                        ; implicit-def: $vgpr11
	s_or_saveexec_b64 s[6:7], s[6:7]
	v_mov_b32_e32 v12, s10
	s_xor_b64 exec, exec, s[6:7]
	s_cbranch_execz .LBB1_374
.LBB1_2424:
	v_cmp_ne_u16_e32 vcc, 0, v11
	s_andn2_b64 s[4:5], s[4:5], exec
	s_and_b64 s[8:9], vcc, exec
	v_mov_b32_e32 v12, 0
	s_or_b64 s[4:5], s[4:5], s[8:9]
	s_or_b64 exec, exec, s[6:7]
	s_and_saveexec_b64 s[6:7], s[4:5]
	s_cbranch_execnz .LBB1_375
	s_branch .LBB1_376
.LBB1_2425:
	s_movk_i32 s4, 0x80
	v_cmp_eq_u16_sdwa s[12:13], v17, s4 src0_sel:BYTE_3 src1_sel:DWORD
	s_mov_b64 s[4:5], -1
                                        ; implicit-def: $sgpr10
	s_and_saveexec_b64 s[8:9], s[12:13]
; %bb.2426:
	s_mov_b32 s10, 0x7f800001
	s_xor_b64 s[4:5], exec, -1
; %bb.2427:
	s_or_b64 exec, exec, s[8:9]
	s_and_b64 s[4:5], s[4:5], exec
	s_or_saveexec_b64 s[6:7], s[6:7]
	v_mov_b32_e32 v10, s10
	s_xor_b64 exec, exec, s[6:7]
	s_cbranch_execz .LBB1_378
.LBB1_2428:
	v_mov_b32_e32 v10, 0
	v_cmp_ne_u16_sdwa s[8:9], v17, v10 src0_sel:BYTE_3 src1_sel:DWORD
	s_andn2_b64 s[4:5], s[4:5], exec
	s_and_b64 s[8:9], s[8:9], exec
	s_or_b64 s[4:5], s[4:5], s[8:9]
	s_or_b64 exec, exec, s[6:7]
	s_and_saveexec_b64 s[6:7], s[4:5]
	s_cbranch_execnz .LBB1_379
	s_branch .LBB1_380
.LBB1_2429:
	s_movk_i32 s4, 0x80
	v_cmp_eq_u16_sdwa s[12:13], v13, s4 src0_sel:BYTE_3 src1_sel:DWORD
	s_mov_b64 s[4:5], -1
                                        ; implicit-def: $sgpr10
	s_and_saveexec_b64 s[8:9], s[12:13]
; %bb.2430:
	s_mov_b32 s10, 0x7f800001
	s_xor_b64 s[4:5], exec, -1
; %bb.2431:
	s_or_b64 exec, exec, s[8:9]
	s_and_b64 s[4:5], s[4:5], exec
	s_or_saveexec_b64 s[6:7], s[6:7]
	v_mov_b32_e32 v11, s10
	s_xor_b64 exec, exec, s[6:7]
	s_cbranch_execz .LBB1_382
.LBB1_2432:
	v_mov_b32_e32 v11, 0
	v_cmp_ne_u16_sdwa s[8:9], v13, v11 src0_sel:BYTE_3 src1_sel:DWORD
	s_andn2_b64 s[4:5], s[4:5], exec
	s_and_b64 s[8:9], s[8:9], exec
	s_or_b64 s[4:5], s[4:5], s[8:9]
	s_or_b64 exec, exec, s[6:7]
	s_and_saveexec_b64 s[6:7], s[4:5]
	s_cbranch_execnz .LBB1_383
	s_branch .LBB1_384
.LBB1_2433:
	s_movk_i32 s4, 0x80
	v_cmp_eq_u16_sdwa s[12:13], v6, s4 src0_sel:BYTE_0 src1_sel:DWORD
	s_mov_b64 s[4:5], -1
                                        ; implicit-def: $sgpr10
	s_and_saveexec_b64 s[8:9], s[12:13]
; %bb.2434:
	s_mov_b32 s10, 0x7f800001
	s_xor_b64 s[4:5], exec, -1
; %bb.2435:
	s_or_b64 exec, exec, s[8:9]
	s_and_b64 s[4:5], s[4:5], exec
	s_or_saveexec_b64 s[6:7], s[6:7]
	v_mov_b32_e32 v10, s10
	s_xor_b64 exec, exec, s[6:7]
	s_cbranch_execz .LBB1_386
.LBB1_2436:
	v_mov_b32_e32 v10, 0
	v_cmp_ne_u16_sdwa s[8:9], v6, v10 src0_sel:BYTE_0 src1_sel:DWORD
	s_andn2_b64 s[4:5], s[4:5], exec
	s_and_b64 s[8:9], s[8:9], exec
	s_or_b64 s[4:5], s[4:5], s[8:9]
	s_or_b64 exec, exec, s[6:7]
	s_and_saveexec_b64 s[6:7], s[4:5]
	s_cbranch_execnz .LBB1_387
	s_branch .LBB1_388
.LBB1_2437:
	s_movk_i32 s4, 0x80
	v_cmp_eq_u16_sdwa s[12:13], v2, s4 src0_sel:BYTE_0 src1_sel:DWORD
	s_mov_b64 s[4:5], -1
                                        ; implicit-def: $sgpr10
	s_and_saveexec_b64 s[8:9], s[12:13]
; %bb.2438:
	s_mov_b32 s10, 0x7f800001
	s_xor_b64 s[4:5], exec, -1
; %bb.2439:
	s_or_b64 exec, exec, s[8:9]
	s_and_b64 s[4:5], s[4:5], exec
	s_or_saveexec_b64 s[6:7], s[6:7]
	v_mov_b32_e32 v11, s10
	s_xor_b64 exec, exec, s[6:7]
	s_cbranch_execz .LBB1_390
.LBB1_2440:
	v_mov_b32_e32 v11, 0
	v_cmp_ne_u16_sdwa s[8:9], v2, v11 src0_sel:BYTE_0 src1_sel:DWORD
	s_andn2_b64 s[4:5], s[4:5], exec
	s_and_b64 s[8:9], s[8:9], exec
	s_or_b64 s[4:5], s[4:5], s[8:9]
	s_or_b64 exec, exec, s[6:7]
	s_and_saveexec_b64 s[6:7], s[4:5]
	s_cbranch_execnz .LBB1_391
	s_branch .LBB1_392
.LBB1_2441:
	s_movk_i32 s4, 0x80
	v_cmp_eq_u16_sdwa s[12:13], v11, s4 src0_sel:BYTE_0 src1_sel:DWORD
	s_mov_b64 s[4:5], -1
                                        ; implicit-def: $sgpr10
	s_and_saveexec_b64 s[8:9], s[12:13]
; %bb.2442:
	s_mov_b32 s10, 0x7f800001
	s_xor_b64 s[4:5], exec, -1
; %bb.2443:
	s_or_b64 exec, exec, s[8:9]
	s_and_b64 s[4:5], s[4:5], exec
	s_or_saveexec_b64 s[6:7], s[6:7]
	v_mov_b32_e32 v10, s10
	s_xor_b64 exec, exec, s[6:7]
	s_cbranch_execz .LBB1_394
.LBB1_2444:
	v_mov_b32_e32 v10, 0
	v_cmp_ne_u16_sdwa s[8:9], v11, v10 src0_sel:BYTE_0 src1_sel:DWORD
	s_andn2_b64 s[4:5], s[4:5], exec
	s_and_b64 s[8:9], s[8:9], exec
	s_or_b64 s[4:5], s[4:5], s[8:9]
	s_or_b64 exec, exec, s[6:7]
	s_and_saveexec_b64 s[6:7], s[4:5]
	s_cbranch_execnz .LBB1_395
	s_branch .LBB1_396
.LBB1_2445:
	s_movk_i32 s4, 0x80
	v_cmp_eq_u16_sdwa s[12:13], v11, s4 src0_sel:BYTE_0 src1_sel:DWORD
	s_mov_b64 s[4:5], -1
                                        ; implicit-def: $sgpr10
	s_and_saveexec_b64 s[8:9], s[12:13]
; %bb.2446:
	s_mov_b32 s10, 0x7f800001
	s_xor_b64 s[4:5], exec, -1
; %bb.2447:
	s_or_b64 exec, exec, s[8:9]
	s_and_b64 s[4:5], s[4:5], exec
	s_or_saveexec_b64 s[6:7], s[6:7]
	v_mov_b32_e32 v12, s10
	s_xor_b64 exec, exec, s[6:7]
	s_cbranch_execz .LBB1_398
.LBB1_2448:
	v_mov_b32_e32 v12, 0
	v_cmp_ne_u16_sdwa s[8:9], v11, v12 src0_sel:BYTE_0 src1_sel:DWORD
	s_andn2_b64 s[4:5], s[4:5], exec
	s_and_b64 s[8:9], s[8:9], exec
	s_or_b64 s[4:5], s[4:5], s[8:9]
	s_or_b64 exec, exec, s[6:7]
	s_and_saveexec_b64 s[6:7], s[4:5]
	s_cbranch_execnz .LBB1_399
	s_branch .LBB1_400
.LBB1_2449:
	s_movk_i32 s4, 0x80
	v_cmp_eq_u16_e32 vcc, s4, v11
	s_mov_b64 s[4:5], -1
                                        ; implicit-def: $sgpr10
	s_and_saveexec_b64 s[8:9], vcc
; %bb.2450:
	s_mov_b32 s10, 0x7f800001
	s_xor_b64 s[4:5], exec, -1
; %bb.2451:
	s_or_b64 exec, exec, s[8:9]
	s_and_b64 s[4:5], s[4:5], exec
                                        ; implicit-def: $vgpr11
	s_or_saveexec_b64 s[6:7], s[6:7]
	v_mov_b32_e32 v10, s10
	s_xor_b64 exec, exec, s[6:7]
	s_cbranch_execz .LBB1_402
.LBB1_2452:
	v_cmp_ne_u16_e32 vcc, 0, v11
	s_andn2_b64 s[4:5], s[4:5], exec
	s_and_b64 s[8:9], vcc, exec
	v_mov_b32_e32 v10, 0
	s_or_b64 s[4:5], s[4:5], s[8:9]
	s_or_b64 exec, exec, s[6:7]
	s_and_saveexec_b64 s[6:7], s[4:5]
	s_cbranch_execnz .LBB1_403
	s_branch .LBB1_404
.LBB1_2453:
	s_movk_i32 s4, 0x80
	v_cmp_eq_u16_e32 vcc, s4, v11
	s_mov_b64 s[4:5], -1
                                        ; implicit-def: $sgpr10
	s_and_saveexec_b64 s[8:9], vcc
; %bb.2454:
	s_mov_b32 s10, 0x7f800001
	s_xor_b64 s[4:5], exec, -1
; %bb.2455:
	s_or_b64 exec, exec, s[8:9]
	s_and_b64 s[4:5], s[4:5], exec
                                        ; implicit-def: $vgpr11
	s_or_saveexec_b64 s[6:7], s[6:7]
	v_mov_b32_e32 v12, s10
	s_xor_b64 exec, exec, s[6:7]
	s_cbranch_execz .LBB1_406
.LBB1_2456:
	v_cmp_ne_u16_e32 vcc, 0, v11
	s_andn2_b64 s[4:5], s[4:5], exec
	s_and_b64 s[8:9], vcc, exec
	v_mov_b32_e32 v12, 0
	s_or_b64 s[4:5], s[4:5], s[8:9]
	s_or_b64 exec, exec, s[6:7]
	s_and_saveexec_b64 s[6:7], s[4:5]
	s_cbranch_execnz .LBB1_407
	s_branch .LBB1_408
.LBB1_2457:
	s_movk_i32 s4, 0x80
	v_cmp_eq_u16_sdwa s[12:13], v6, s4 src0_sel:BYTE_3 src1_sel:DWORD
	s_mov_b64 s[4:5], -1
                                        ; implicit-def: $sgpr10
	s_and_saveexec_b64 s[8:9], s[12:13]
; %bb.2458:
	s_mov_b32 s10, 0x7f800001
	s_xor_b64 s[4:5], exec, -1
; %bb.2459:
	s_or_b64 exec, exec, s[8:9]
	s_and_b64 s[4:5], s[4:5], exec
	s_or_saveexec_b64 s[6:7], s[6:7]
	v_mov_b32_e32 v10, s10
	s_xor_b64 exec, exec, s[6:7]
	s_cbranch_execz .LBB1_410
.LBB1_2460:
	v_mov_b32_e32 v10, 0
	v_cmp_ne_u16_sdwa s[8:9], v6, v10 src0_sel:BYTE_3 src1_sel:DWORD
	s_andn2_b64 s[4:5], s[4:5], exec
	s_and_b64 s[8:9], s[8:9], exec
	s_or_b64 s[4:5], s[4:5], s[8:9]
	s_or_b64 exec, exec, s[6:7]
	s_and_saveexec_b64 s[6:7], s[4:5]
	s_cbranch_execnz .LBB1_411
	s_branch .LBB1_412
.LBB1_2461:
	s_movk_i32 s4, 0x80
	v_cmp_eq_u16_sdwa s[12:13], v2, s4 src0_sel:BYTE_3 src1_sel:DWORD
	s_mov_b64 s[4:5], -1
                                        ; implicit-def: $sgpr10
	s_and_saveexec_b64 s[8:9], s[12:13]
; %bb.2462:
	s_mov_b32 s10, 0x7f800001
	s_xor_b64 s[4:5], exec, -1
; %bb.2463:
	s_or_b64 exec, exec, s[8:9]
	s_and_b64 s[4:5], s[4:5], exec
	s_or_saveexec_b64 s[6:7], s[6:7]
	v_mov_b32_e32 v6, s10
	s_xor_b64 exec, exec, s[6:7]
	s_cbranch_execz .LBB1_414
.LBB1_2464:
	v_mov_b32_e32 v6, 0
	v_cmp_ne_u16_sdwa s[8:9], v2, v6 src0_sel:BYTE_3 src1_sel:DWORD
	s_andn2_b64 s[4:5], s[4:5], exec
	s_and_b64 s[8:9], s[8:9], exec
	s_or_b64 s[4:5], s[4:5], s[8:9]
	s_or_b64 exec, exec, s[6:7]
	s_and_saveexec_b64 s[6:7], s[4:5]
	s_cbranch_execnz .LBB1_415
	s_branch .LBB1_416
.LBB1_2465:
	s_movk_i32 s4, 0x80
	v_cmp_eq_u16_sdwa s[12:13], v7, s4 src0_sel:BYTE_0 src1_sel:DWORD
	s_mov_b64 s[4:5], -1
                                        ; implicit-def: $sgpr10
	s_and_saveexec_b64 s[8:9], s[12:13]
; %bb.2466:
	s_mov_b32 s10, 0x7f800001
	s_xor_b64 s[4:5], exec, -1
; %bb.2467:
	s_or_b64 exec, exec, s[8:9]
	s_and_b64 s[4:5], s[4:5], exec
	s_or_saveexec_b64 s[6:7], s[6:7]
	v_mov_b32_e32 v2, s10
	s_xor_b64 exec, exec, s[6:7]
	s_cbranch_execz .LBB1_418
.LBB1_2468:
	v_mov_b32_e32 v2, 0
	v_cmp_ne_u16_sdwa s[8:9], v7, v2 src0_sel:BYTE_0 src1_sel:DWORD
	s_andn2_b64 s[4:5], s[4:5], exec
	s_and_b64 s[8:9], s[8:9], exec
	s_or_b64 s[4:5], s[4:5], s[8:9]
	s_or_b64 exec, exec, s[6:7]
	s_and_saveexec_b64 s[6:7], s[4:5]
	s_cbranch_execnz .LBB1_419
	s_branch .LBB1_420
.LBB1_2469:
	s_movk_i32 s4, 0x80
	v_cmp_eq_u16_sdwa s[12:13], v3, s4 src0_sel:BYTE_0 src1_sel:DWORD
	s_mov_b64 s[4:5], -1
                                        ; implicit-def: $sgpr10
	s_and_saveexec_b64 s[8:9], s[12:13]
; %bb.2470:
	s_mov_b32 s10, 0x7f800001
	s_xor_b64 s[4:5], exec, -1
; %bb.2471:
	s_or_b64 exec, exec, s[8:9]
	s_and_b64 s[4:5], s[4:5], exec
	s_or_saveexec_b64 s[6:7], s[6:7]
	v_mov_b32_e32 v6, s10
	s_xor_b64 exec, exec, s[6:7]
	s_cbranch_execz .LBB1_422
.LBB1_2472:
	v_mov_b32_e32 v6, 0
	v_cmp_ne_u16_sdwa s[8:9], v3, v6 src0_sel:BYTE_0 src1_sel:DWORD
	s_andn2_b64 s[4:5], s[4:5], exec
	s_and_b64 s[8:9], s[8:9], exec
	s_or_b64 s[4:5], s[4:5], s[8:9]
	s_or_b64 exec, exec, s[6:7]
	s_and_saveexec_b64 s[6:7], s[4:5]
	s_cbranch_execnz .LBB1_423
	s_branch .LBB1_424
.LBB1_2473:
	s_movk_i32 s4, 0x80
	v_cmp_eq_u16_sdwa s[12:13], v6, s4 src0_sel:BYTE_0 src1_sel:DWORD
	s_mov_b64 s[4:5], -1
                                        ; implicit-def: $sgpr10
	s_and_saveexec_b64 s[8:9], s[12:13]
; %bb.2474:
	s_mov_b32 s10, 0x7f800001
	s_xor_b64 s[4:5], exec, -1
; %bb.2475:
	s_or_b64 exec, exec, s[8:9]
	s_and_b64 s[4:5], s[4:5], exec
	s_or_saveexec_b64 s[6:7], s[6:7]
	v_mov_b32_e32 v2, s10
	s_xor_b64 exec, exec, s[6:7]
	s_cbranch_execz .LBB1_426
.LBB1_2476:
	v_mov_b32_e32 v2, 0
	v_cmp_ne_u16_sdwa s[8:9], v6, v2 src0_sel:BYTE_0 src1_sel:DWORD
	s_andn2_b64 s[4:5], s[4:5], exec
	s_and_b64 s[8:9], s[8:9], exec
	s_or_b64 s[4:5], s[4:5], s[8:9]
	s_or_b64 exec, exec, s[6:7]
	s_and_saveexec_b64 s[6:7], s[4:5]
	s_cbranch_execnz .LBB1_427
	s_branch .LBB1_428
.LBB1_2477:
	s_movk_i32 s4, 0x80
	v_cmp_eq_u16_sdwa s[12:13], v6, s4 src0_sel:BYTE_0 src1_sel:DWORD
	s_mov_b64 s[4:5], -1
                                        ; implicit-def: $sgpr10
	s_and_saveexec_b64 s[8:9], s[12:13]
; %bb.2478:
	s_mov_b32 s10, 0x7f800001
	s_xor_b64 s[4:5], exec, -1
; %bb.2479:
	s_or_b64 exec, exec, s[8:9]
	s_and_b64 s[4:5], s[4:5], exec
	s_or_saveexec_b64 s[6:7], s[6:7]
	v_mov_b32_e32 v10, s10
	s_xor_b64 exec, exec, s[6:7]
	s_cbranch_execz .LBB1_430
.LBB1_2480:
	v_mov_b32_e32 v10, 0
	v_cmp_ne_u16_sdwa s[8:9], v6, v10 src0_sel:BYTE_0 src1_sel:DWORD
	s_andn2_b64 s[4:5], s[4:5], exec
	s_and_b64 s[8:9], s[8:9], exec
	s_or_b64 s[4:5], s[4:5], s[8:9]
	s_or_b64 exec, exec, s[6:7]
	s_and_saveexec_b64 s[6:7], s[4:5]
	s_cbranch_execnz .LBB1_431
	s_branch .LBB1_432
.LBB1_2481:
	s_movk_i32 s4, 0x80
	v_cmp_eq_u16_e32 vcc, s4, v6
	s_mov_b64 s[4:5], -1
                                        ; implicit-def: $sgpr10
	s_and_saveexec_b64 s[8:9], vcc
; %bb.2482:
	s_mov_b32 s10, 0x7f800001
	s_xor_b64 s[4:5], exec, -1
; %bb.2483:
	s_or_b64 exec, exec, s[8:9]
	s_and_b64 s[4:5], s[4:5], exec
                                        ; implicit-def: $vgpr6
	s_or_saveexec_b64 s[6:7], s[6:7]
	v_mov_b32_e32 v2, s10
	s_xor_b64 exec, exec, s[6:7]
	s_cbranch_execz .LBB1_434
.LBB1_2484:
	v_cmp_ne_u16_e32 vcc, 0, v6
	s_andn2_b64 s[4:5], s[4:5], exec
	s_and_b64 s[8:9], vcc, exec
	v_mov_b32_e32 v2, 0
	s_or_b64 s[4:5], s[4:5], s[8:9]
	s_or_b64 exec, exec, s[6:7]
	s_and_saveexec_b64 s[6:7], s[4:5]
	s_cbranch_execnz .LBB1_435
	s_branch .LBB1_436
.LBB1_2485:
	s_movk_i32 s4, 0x80
	v_cmp_eq_u16_e32 vcc, s4, v6
	s_mov_b64 s[4:5], -1
                                        ; implicit-def: $sgpr10
	s_and_saveexec_b64 s[8:9], vcc
; %bb.2486:
	s_mov_b32 s10, 0x7f800001
	s_xor_b64 s[4:5], exec, -1
; %bb.2487:
	s_or_b64 exec, exec, s[8:9]
	s_and_b64 s[4:5], s[4:5], exec
                                        ; implicit-def: $vgpr6
	s_or_saveexec_b64 s[6:7], s[6:7]
	v_mov_b32_e32 v10, s10
	s_xor_b64 exec, exec, s[6:7]
	s_cbranch_execz .LBB1_438
.LBB1_2488:
	v_cmp_ne_u16_e32 vcc, 0, v6
	s_andn2_b64 s[4:5], s[4:5], exec
	s_and_b64 s[8:9], vcc, exec
	v_mov_b32_e32 v10, 0
	s_or_b64 s[4:5], s[4:5], s[8:9]
	s_or_b64 exec, exec, s[6:7]
	s_and_saveexec_b64 s[6:7], s[4:5]
	s_cbranch_execnz .LBB1_439
	s_branch .LBB1_440
.LBB1_2489:
	s_movk_i32 s4, 0x80
	v_cmp_eq_u16_sdwa s[12:13], v7, s4 src0_sel:BYTE_3 src1_sel:DWORD
	s_mov_b64 s[4:5], -1
                                        ; implicit-def: $sgpr10
	s_and_saveexec_b64 s[8:9], s[12:13]
; %bb.2490:
	s_mov_b32 s10, 0x7f800001
	s_xor_b64 s[4:5], exec, -1
; %bb.2491:
	s_or_b64 exec, exec, s[8:9]
	s_and_b64 s[4:5], s[4:5], exec
	s_or_saveexec_b64 s[6:7], s[6:7]
	v_mov_b32_e32 v2, s10
	s_xor_b64 exec, exec, s[6:7]
	s_cbranch_execz .LBB1_442
.LBB1_2492:
	v_mov_b32_e32 v2, 0
	v_cmp_ne_u16_sdwa s[8:9], v7, v2 src0_sel:BYTE_3 src1_sel:DWORD
	s_andn2_b64 s[4:5], s[4:5], exec
	s_and_b64 s[8:9], s[8:9], exec
	s_or_b64 s[4:5], s[4:5], s[8:9]
	s_or_b64 exec, exec, s[6:7]
	s_and_saveexec_b64 s[6:7], s[4:5]
	s_cbranch_execnz .LBB1_443
	s_branch .LBB1_444
.LBB1_2493:
	s_movk_i32 s4, 0x80
	v_cmp_eq_u16_sdwa s[12:13], v3, s4 src0_sel:BYTE_3 src1_sel:DWORD
	s_mov_b64 s[4:5], -1
                                        ; implicit-def: $sgpr10
	s_and_saveexec_b64 s[8:9], s[12:13]
; %bb.2494:
	s_mov_b32 s10, 0x7f800001
	s_xor_b64 s[4:5], exec, -1
; %bb.2495:
	s_or_b64 exec, exec, s[8:9]
	s_and_b64 s[4:5], s[4:5], exec
	s_or_saveexec_b64 s[6:7], s[6:7]
	v_mov_b32_e32 v6, s10
	s_xor_b64 exec, exec, s[6:7]
	s_cbranch_execz .LBB1_446
.LBB1_2496:
	v_mov_b32_e32 v6, 0
	v_cmp_ne_u16_sdwa s[8:9], v3, v6 src0_sel:BYTE_3 src1_sel:DWORD
	s_andn2_b64 s[4:5], s[4:5], exec
	s_and_b64 s[8:9], s[8:9], exec
	s_or_b64 s[4:5], s[4:5], s[8:9]
	s_or_b64 exec, exec, s[6:7]
	s_and_saveexec_b64 s[6:7], s[4:5]
	s_cbranch_execnz .LBB1_447
	s_branch .LBB1_448
.LBB1_2497:
	s_movk_i32 s4, 0x80
	v_cmp_eq_u16_sdwa s[12:13], v8, s4 src0_sel:BYTE_0 src1_sel:DWORD
	s_mov_b64 s[4:5], -1
                                        ; implicit-def: $sgpr10
	s_and_saveexec_b64 s[8:9], s[12:13]
; %bb.2498:
	s_mov_b32 s10, 0x7f800001
	s_xor_b64 s[4:5], exec, -1
; %bb.2499:
	s_or_b64 exec, exec, s[8:9]
	s_and_b64 s[4:5], s[4:5], exec
	s_or_saveexec_b64 s[6:7], s[6:7]
	v_mov_b32_e32 v2, s10
	s_xor_b64 exec, exec, s[6:7]
	s_cbranch_execz .LBB1_450
.LBB1_2500:
	v_mov_b32_e32 v2, 0
	v_cmp_ne_u16_sdwa s[8:9], v8, v2 src0_sel:BYTE_0 src1_sel:DWORD
	s_andn2_b64 s[4:5], s[4:5], exec
	s_and_b64 s[8:9], s[8:9], exec
	s_or_b64 s[4:5], s[4:5], s[8:9]
	s_or_b64 exec, exec, s[6:7]
	s_and_saveexec_b64 s[6:7], s[4:5]
	s_cbranch_execnz .LBB1_451
	s_branch .LBB1_452
.LBB1_2501:
	s_movk_i32 s4, 0x80
	v_cmp_eq_u16_sdwa s[12:13], v4, s4 src0_sel:BYTE_0 src1_sel:DWORD
	s_mov_b64 s[4:5], -1
                                        ; implicit-def: $sgpr10
	s_and_saveexec_b64 s[8:9], s[12:13]
; %bb.2502:
	s_mov_b32 s10, 0x7f800001
	s_xor_b64 s[4:5], exec, -1
; %bb.2503:
	s_or_b64 exec, exec, s[8:9]
	s_and_b64 s[4:5], s[4:5], exec
	s_or_saveexec_b64 s[6:7], s[6:7]
	v_mov_b32_e32 v3, s10
	s_xor_b64 exec, exec, s[6:7]
	s_cbranch_execz .LBB1_454
.LBB1_2504:
	v_mov_b32_e32 v3, 0
	v_cmp_ne_u16_sdwa s[8:9], v4, v3 src0_sel:BYTE_0 src1_sel:DWORD
	s_andn2_b64 s[4:5], s[4:5], exec
	s_and_b64 s[8:9], s[8:9], exec
	s_or_b64 s[4:5], s[4:5], s[8:9]
	s_or_b64 exec, exec, s[6:7]
	s_and_saveexec_b64 s[6:7], s[4:5]
	s_cbranch_execnz .LBB1_455
	s_branch .LBB1_456
.LBB1_2505:
	s_movk_i32 s4, 0x80
	v_cmp_eq_u16_sdwa s[12:13], v3, s4 src0_sel:BYTE_0 src1_sel:DWORD
	s_mov_b64 s[4:5], -1
                                        ; implicit-def: $sgpr10
	s_and_saveexec_b64 s[8:9], s[12:13]
; %bb.2506:
	s_mov_b32 s10, 0x7f800001
	s_xor_b64 s[4:5], exec, -1
; %bb.2507:
	s_or_b64 exec, exec, s[8:9]
	s_and_b64 s[4:5], s[4:5], exec
	s_or_saveexec_b64 s[6:7], s[6:7]
	v_mov_b32_e32 v2, s10
	s_xor_b64 exec, exec, s[6:7]
	s_cbranch_execz .LBB1_458
.LBB1_2508:
	v_mov_b32_e32 v2, 0
	v_cmp_ne_u16_sdwa s[8:9], v3, v2 src0_sel:BYTE_0 src1_sel:DWORD
	s_andn2_b64 s[4:5], s[4:5], exec
	s_and_b64 s[8:9], s[8:9], exec
	s_or_b64 s[4:5], s[4:5], s[8:9]
	s_or_b64 exec, exec, s[6:7]
	s_and_saveexec_b64 s[6:7], s[4:5]
	s_cbranch_execnz .LBB1_459
	s_branch .LBB1_460
.LBB1_2509:
	s_movk_i32 s4, 0x80
	v_cmp_eq_u16_sdwa s[12:13], v3, s4 src0_sel:BYTE_0 src1_sel:DWORD
	s_mov_b64 s[4:5], -1
                                        ; implicit-def: $sgpr10
	s_and_saveexec_b64 s[8:9], s[12:13]
; %bb.2510:
	s_mov_b32 s10, 0x7f800001
	s_xor_b64 s[4:5], exec, -1
; %bb.2511:
	s_or_b64 exec, exec, s[8:9]
	s_and_b64 s[4:5], s[4:5], exec
	s_or_saveexec_b64 s[6:7], s[6:7]
	v_mov_b32_e32 v6, s10
	s_xor_b64 exec, exec, s[6:7]
	s_cbranch_execz .LBB1_462
.LBB1_2512:
	v_mov_b32_e32 v6, 0
	v_cmp_ne_u16_sdwa s[8:9], v3, v6 src0_sel:BYTE_0 src1_sel:DWORD
	s_andn2_b64 s[4:5], s[4:5], exec
	s_and_b64 s[8:9], s[8:9], exec
	s_or_b64 s[4:5], s[4:5], s[8:9]
	s_or_b64 exec, exec, s[6:7]
	s_and_saveexec_b64 s[6:7], s[4:5]
	s_cbranch_execnz .LBB1_463
	s_branch .LBB1_464
.LBB1_2513:
	s_movk_i32 s4, 0x80
	v_cmp_eq_u16_e32 vcc, s4, v3
	s_mov_b64 s[4:5], -1
                                        ; implicit-def: $sgpr10
	s_and_saveexec_b64 s[8:9], vcc
; %bb.2514:
	s_mov_b32 s10, 0x7f800001
	s_xor_b64 s[4:5], exec, -1
; %bb.2515:
	s_or_b64 exec, exec, s[8:9]
	s_and_b64 s[4:5], s[4:5], exec
                                        ; implicit-def: $vgpr3
	s_or_saveexec_b64 s[6:7], s[6:7]
	v_mov_b32_e32 v2, s10
	s_xor_b64 exec, exec, s[6:7]
	s_cbranch_execz .LBB1_466
.LBB1_2516:
	v_cmp_ne_u16_e32 vcc, 0, v3
	s_andn2_b64 s[4:5], s[4:5], exec
	s_and_b64 s[8:9], vcc, exec
	v_mov_b32_e32 v2, 0
	s_or_b64 s[4:5], s[4:5], s[8:9]
	s_or_b64 exec, exec, s[6:7]
	s_and_saveexec_b64 s[6:7], s[4:5]
	s_cbranch_execnz .LBB1_467
	s_branch .LBB1_468
.LBB1_2517:
	s_movk_i32 s4, 0x80
	v_cmp_eq_u16_e32 vcc, s4, v3
	s_mov_b64 s[4:5], -1
                                        ; implicit-def: $sgpr10
	s_and_saveexec_b64 s[8:9], vcc
; %bb.2518:
	s_mov_b32 s10, 0x7f800001
	s_xor_b64 s[4:5], exec, -1
; %bb.2519:
	s_or_b64 exec, exec, s[8:9]
	s_and_b64 s[4:5], s[4:5], exec
                                        ; implicit-def: $vgpr3
	s_or_saveexec_b64 s[6:7], s[6:7]
	v_mov_b32_e32 v6, s10
	s_xor_b64 exec, exec, s[6:7]
	s_cbranch_execz .LBB1_470
.LBB1_2520:
	v_cmp_ne_u16_e32 vcc, 0, v3
	s_andn2_b64 s[4:5], s[4:5], exec
	s_and_b64 s[8:9], vcc, exec
	v_mov_b32_e32 v6, 0
	s_or_b64 s[4:5], s[4:5], s[8:9]
	s_or_b64 exec, exec, s[6:7]
	s_and_saveexec_b64 s[6:7], s[4:5]
	s_cbranch_execnz .LBB1_471
	s_branch .LBB1_472
.LBB1_2521:
	s_movk_i32 s4, 0x80
	v_cmp_eq_u16_sdwa s[12:13], v8, s4 src0_sel:BYTE_3 src1_sel:DWORD
	s_mov_b64 s[4:5], -1
                                        ; implicit-def: $sgpr10
	s_and_saveexec_b64 s[8:9], s[12:13]
; %bb.2522:
	s_mov_b32 s10, 0x7f800001
	s_xor_b64 s[4:5], exec, -1
; %bb.2523:
	s_or_b64 exec, exec, s[8:9]
	s_and_b64 s[4:5], s[4:5], exec
	s_or_saveexec_b64 s[6:7], s[6:7]
	v_mov_b32_e32 v2, s10
	s_xor_b64 exec, exec, s[6:7]
	s_cbranch_execz .LBB1_474
.LBB1_2524:
	v_mov_b32_e32 v2, 0
	v_cmp_ne_u16_sdwa s[8:9], v8, v2 src0_sel:BYTE_3 src1_sel:DWORD
	s_andn2_b64 s[4:5], s[4:5], exec
	s_and_b64 s[8:9], s[8:9], exec
	s_or_b64 s[4:5], s[4:5], s[8:9]
	s_or_b64 exec, exec, s[6:7]
	s_and_saveexec_b64 s[6:7], s[4:5]
	s_cbranch_execnz .LBB1_475
	s_branch .LBB1_476
.LBB1_2525:
	s_movk_i32 s4, 0x80
	v_cmp_eq_u16_sdwa s[12:13], v4, s4 src0_sel:BYTE_3 src1_sel:DWORD
	s_mov_b64 s[4:5], -1
                                        ; implicit-def: $sgpr10
	s_and_saveexec_b64 s[8:9], s[12:13]
; %bb.2526:
	s_mov_b32 s10, 0x7f800001
	s_xor_b64 s[4:5], exec, -1
; %bb.2527:
	s_or_b64 exec, exec, s[8:9]
	s_and_b64 s[4:5], s[4:5], exec
	s_or_saveexec_b64 s[6:7], s[6:7]
	v_mov_b32_e32 v3, s10
	s_xor_b64 exec, exec, s[6:7]
	s_cbranch_execz .LBB1_478
.LBB1_2528:
	v_mov_b32_e32 v3, 0
	v_cmp_ne_u16_sdwa s[8:9], v4, v3 src0_sel:BYTE_3 src1_sel:DWORD
	s_andn2_b64 s[4:5], s[4:5], exec
	s_and_b64 s[8:9], s[8:9], exec
	s_or_b64 s[4:5], s[4:5], s[8:9]
	s_or_b64 exec, exec, s[6:7]
	s_and_saveexec_b64 s[6:7], s[4:5]
	s_cbranch_execnz .LBB1_479
	s_branch .LBB1_480
.LBB1_2529:
	s_movk_i32 s4, 0x80
	v_cmp_eq_u16_sdwa s[12:13], v9, s4 src0_sel:BYTE_0 src1_sel:DWORD
	s_mov_b64 s[4:5], -1
                                        ; implicit-def: $sgpr10
	s_and_saveexec_b64 s[8:9], s[12:13]
; %bb.2530:
	s_mov_b32 s10, 0x7f800001
	s_xor_b64 s[4:5], exec, -1
; %bb.2531:
	s_or_b64 exec, exec, s[8:9]
	s_and_b64 s[4:5], s[4:5], exec
	s_or_saveexec_b64 s[6:7], s[6:7]
	v_mov_b32_e32 v2, s10
	s_xor_b64 exec, exec, s[6:7]
	s_cbranch_execz .LBB1_482
.LBB1_2532:
	v_mov_b32_e32 v2, 0
	v_cmp_ne_u16_sdwa s[8:9], v9, v2 src0_sel:BYTE_0 src1_sel:DWORD
	s_andn2_b64 s[4:5], s[4:5], exec
	s_and_b64 s[8:9], s[8:9], exec
	s_or_b64 s[4:5], s[4:5], s[8:9]
	s_or_b64 exec, exec, s[6:7]
	s_and_saveexec_b64 s[6:7], s[4:5]
	s_cbranch_execnz .LBB1_483
	s_branch .LBB1_484
.LBB1_2533:
	s_movk_i32 s4, 0x80
	v_cmp_eq_u16_sdwa s[12:13], v5, s4 src0_sel:BYTE_0 src1_sel:DWORD
	s_mov_b64 s[4:5], -1
                                        ; implicit-def: $sgpr10
	s_and_saveexec_b64 s[8:9], s[12:13]
; %bb.2534:
	s_mov_b32 s10, 0x7f800001
	s_xor_b64 s[4:5], exec, -1
; %bb.2535:
	s_or_b64 exec, exec, s[8:9]
	s_and_b64 s[4:5], s[4:5], exec
	s_or_saveexec_b64 s[6:7], s[6:7]
	v_mov_b32_e32 v3, s10
	s_xor_b64 exec, exec, s[6:7]
	s_cbranch_execz .LBB1_486
.LBB1_2536:
	v_mov_b32_e32 v3, 0
	v_cmp_ne_u16_sdwa s[8:9], v5, v3 src0_sel:BYTE_0 src1_sel:DWORD
	s_andn2_b64 s[4:5], s[4:5], exec
	s_and_b64 s[8:9], s[8:9], exec
	s_or_b64 s[4:5], s[4:5], s[8:9]
	s_or_b64 exec, exec, s[6:7]
	s_and_saveexec_b64 s[6:7], s[4:5]
	s_cbranch_execnz .LBB1_487
	s_branch .LBB1_488
.LBB1_2537:
	s_movk_i32 s4, 0x80
	v_cmp_eq_u16_sdwa s[12:13], v3, s4 src0_sel:BYTE_0 src1_sel:DWORD
	s_mov_b64 s[4:5], -1
                                        ; implicit-def: $sgpr10
	s_and_saveexec_b64 s[8:9], s[12:13]
; %bb.2538:
	s_mov_b32 s10, 0x7f800001
	s_xor_b64 s[4:5], exec, -1
; %bb.2539:
	s_or_b64 exec, exec, s[8:9]
	s_and_b64 s[4:5], s[4:5], exec
	s_or_saveexec_b64 s[6:7], s[6:7]
	v_mov_b32_e32 v2, s10
	s_xor_b64 exec, exec, s[6:7]
	s_cbranch_execz .LBB1_490
.LBB1_2540:
	v_mov_b32_e32 v2, 0
	v_cmp_ne_u16_sdwa s[8:9], v3, v2 src0_sel:BYTE_0 src1_sel:DWORD
	s_andn2_b64 s[4:5], s[4:5], exec
	s_and_b64 s[8:9], s[8:9], exec
	s_or_b64 s[4:5], s[4:5], s[8:9]
	s_or_b64 exec, exec, s[6:7]
	s_and_saveexec_b64 s[6:7], s[4:5]
	s_cbranch_execnz .LBB1_491
	s_branch .LBB1_492
.LBB1_2541:
	s_movk_i32 s4, 0x80
	v_cmp_eq_u16_sdwa s[12:13], v3, s4 src0_sel:BYTE_0 src1_sel:DWORD
	s_mov_b64 s[4:5], -1
                                        ; implicit-def: $sgpr10
	s_and_saveexec_b64 s[8:9], s[12:13]
; %bb.2542:
	s_mov_b32 s10, 0x7f800001
	s_xor_b64 s[4:5], exec, -1
; %bb.2543:
	s_or_b64 exec, exec, s[8:9]
	s_and_b64 s[4:5], s[4:5], exec
	s_or_saveexec_b64 s[6:7], s[6:7]
	v_mov_b32_e32 v4, s10
	s_xor_b64 exec, exec, s[6:7]
	s_cbranch_execz .LBB1_494
.LBB1_2544:
	v_mov_b32_e32 v4, 0
	v_cmp_ne_u16_sdwa s[8:9], v3, v4 src0_sel:BYTE_0 src1_sel:DWORD
	s_andn2_b64 s[4:5], s[4:5], exec
	s_and_b64 s[8:9], s[8:9], exec
	s_or_b64 s[4:5], s[4:5], s[8:9]
	s_or_b64 exec, exec, s[6:7]
	s_and_saveexec_b64 s[6:7], s[4:5]
	s_cbranch_execnz .LBB1_495
	s_branch .LBB1_496
.LBB1_2545:
	s_movk_i32 s4, 0x80
	v_cmp_eq_u16_e32 vcc, s4, v3
	s_mov_b64 s[4:5], -1
                                        ; implicit-def: $sgpr10
	s_and_saveexec_b64 s[8:9], vcc
; %bb.2546:
	s_mov_b32 s10, 0x7f800001
	s_xor_b64 s[4:5], exec, -1
; %bb.2547:
	s_or_b64 exec, exec, s[8:9]
	s_and_b64 s[4:5], s[4:5], exec
                                        ; implicit-def: $vgpr3
	s_or_saveexec_b64 s[6:7], s[6:7]
	v_mov_b32_e32 v2, s10
	s_xor_b64 exec, exec, s[6:7]
	s_cbranch_execz .LBB1_498
.LBB1_2548:
	v_cmp_ne_u16_e32 vcc, 0, v3
	s_andn2_b64 s[4:5], s[4:5], exec
	s_and_b64 s[8:9], vcc, exec
	v_mov_b32_e32 v2, 0
	s_or_b64 s[4:5], s[4:5], s[8:9]
	s_or_b64 exec, exec, s[6:7]
	s_and_saveexec_b64 s[6:7], s[4:5]
	s_cbranch_execnz .LBB1_499
	s_branch .LBB1_500
.LBB1_2549:
	s_movk_i32 s4, 0x80
	v_cmp_eq_u16_e32 vcc, s4, v3
	s_mov_b64 s[4:5], -1
                                        ; implicit-def: $sgpr10
	s_and_saveexec_b64 s[8:9], vcc
; %bb.2550:
	s_mov_b32 s10, 0x7f800001
	s_xor_b64 s[4:5], exec, -1
; %bb.2551:
	s_or_b64 exec, exec, s[8:9]
	s_and_b64 s[4:5], s[4:5], exec
                                        ; implicit-def: $vgpr3
	s_or_saveexec_b64 s[6:7], s[6:7]
	v_mov_b32_e32 v4, s10
	s_xor_b64 exec, exec, s[6:7]
	s_cbranch_execz .LBB1_502
.LBB1_2552:
	v_cmp_ne_u16_e32 vcc, 0, v3
	s_andn2_b64 s[4:5], s[4:5], exec
	s_and_b64 s[8:9], vcc, exec
	v_mov_b32_e32 v4, 0
	s_or_b64 s[4:5], s[4:5], s[8:9]
	s_or_b64 exec, exec, s[6:7]
	s_and_saveexec_b64 s[6:7], s[4:5]
	s_cbranch_execnz .LBB1_503
	s_branch .LBB1_504
.LBB1_2553:
	s_movk_i32 s4, 0x80
	v_cmp_eq_u16_sdwa s[12:13], v9, s4 src0_sel:BYTE_3 src1_sel:DWORD
	s_mov_b64 s[4:5], -1
                                        ; implicit-def: $sgpr10
	s_and_saveexec_b64 s[8:9], s[12:13]
; %bb.2554:
	s_mov_b32 s10, 0x7f800001
	s_xor_b64 s[4:5], exec, -1
; %bb.2555:
	s_or_b64 exec, exec, s[8:9]
	s_and_b64 s[4:5], s[4:5], exec
	s_or_saveexec_b64 s[6:7], s[6:7]
	v_mov_b32_e32 v2, s10
	s_xor_b64 exec, exec, s[6:7]
	s_cbranch_execz .LBB1_506
.LBB1_2556:
	v_mov_b32_e32 v2, 0
	v_cmp_ne_u16_sdwa s[8:9], v9, v2 src0_sel:BYTE_3 src1_sel:DWORD
	s_andn2_b64 s[4:5], s[4:5], exec
	s_and_b64 s[8:9], s[8:9], exec
	s_or_b64 s[4:5], s[4:5], s[8:9]
	s_or_b64 exec, exec, s[6:7]
	s_and_saveexec_b64 s[6:7], s[4:5]
	s_cbranch_execnz .LBB1_507
	s_branch .LBB1_508
.LBB1_2557:
	s_movk_i32 s4, 0x80
	v_cmp_eq_u16_sdwa s[12:13], v5, s4 src0_sel:BYTE_3 src1_sel:DWORD
	s_mov_b64 s[4:5], -1
                                        ; implicit-def: $sgpr10
	s_and_saveexec_b64 s[8:9], s[12:13]
; %bb.2558:
	s_mov_b32 s10, 0x7f800001
	s_xor_b64 s[4:5], exec, -1
; %bb.2559:
	s_or_b64 exec, exec, s[8:9]
	s_and_b64 s[4:5], s[4:5], exec
	s_or_saveexec_b64 s[6:7], s[6:7]
	v_mov_b32_e32 v3, s10
	s_xor_b64 exec, exec, s[6:7]
	s_cbranch_execz .LBB1_510
.LBB1_2560:
	v_mov_b32_e32 v3, 0
	v_cmp_ne_u16_sdwa s[8:9], v5, v3 src0_sel:BYTE_3 src1_sel:DWORD
	s_andn2_b64 s[4:5], s[4:5], exec
	s_and_b64 s[8:9], s[8:9], exec
	s_or_b64 s[4:5], s[4:5], s[8:9]
	s_or_b64 exec, exec, s[6:7]
	s_and_saveexec_b64 s[6:7], s[4:5]
	s_cbranch_execnz .LBB1_511
	s_branch .LBB1_512
.LBB1_2561:
	s_movk_i32 s4, 0x80
	v_cmp_eq_u16_sdwa s[12:13], v14, s4 src0_sel:BYTE_0 src1_sel:DWORD
	s_mov_b64 s[4:5], -1
                                        ; implicit-def: $sgpr10
	s_and_saveexec_b64 s[8:9], s[12:13]
; %bb.2562:
	s_mov_b32 s10, 0x7f800001
	s_xor_b64 s[4:5], exec, -1
; %bb.2563:
	s_or_b64 exec, exec, s[8:9]
	s_and_b64 s[4:5], s[4:5], exec
	s_or_saveexec_b64 s[6:7], s[6:7]
	v_mov_b32_e32 v20, s10
	s_xor_b64 exec, exec, s[6:7]
	s_cbranch_execz .LBB1_514
.LBB1_2564:
	v_mov_b32_e32 v20, 0
	v_cmp_ne_u16_sdwa s[8:9], v14, v20 src0_sel:BYTE_0 src1_sel:DWORD
	s_andn2_b64 s[4:5], s[4:5], exec
	s_and_b64 s[8:9], s[8:9], exec
	s_or_b64 s[4:5], s[4:5], s[8:9]
	s_or_b64 exec, exec, s[6:7]
	s_and_saveexec_b64 s[6:7], s[4:5]
	s_cbranch_execnz .LBB1_515
	s_branch .LBB1_516
.LBB1_2565:
	s_movk_i32 s4, 0x80
	v_cmp_eq_u16_sdwa s[12:13], v10, s4 src0_sel:BYTE_0 src1_sel:DWORD
	s_mov_b64 s[4:5], -1
                                        ; implicit-def: $sgpr10
	s_and_saveexec_b64 s[8:9], s[12:13]
; %bb.2566:
	s_mov_b32 s10, 0x7f800001
	s_xor_b64 s[4:5], exec, -1
; %bb.2567:
	s_or_b64 exec, exec, s[8:9]
	s_and_b64 s[4:5], s[4:5], exec
	s_or_saveexec_b64 s[6:7], s[6:7]
	v_mov_b32_e32 v21, s10
	s_xor_b64 exec, exec, s[6:7]
	s_cbranch_execz .LBB1_518
.LBB1_2568:
	v_mov_b32_e32 v21, 0
	v_cmp_ne_u16_sdwa s[8:9], v10, v21 src0_sel:BYTE_0 src1_sel:DWORD
	s_andn2_b64 s[4:5], s[4:5], exec
	s_and_b64 s[8:9], s[8:9], exec
	s_or_b64 s[4:5], s[4:5], s[8:9]
	s_or_b64 exec, exec, s[6:7]
	s_and_saveexec_b64 s[6:7], s[4:5]
	s_cbranch_execnz .LBB1_519
	s_branch .LBB1_520
.LBB1_2569:
	s_movk_i32 s4, 0x80
	v_cmp_eq_u16_sdwa s[12:13], v21, s4 src0_sel:BYTE_0 src1_sel:DWORD
	s_mov_b64 s[4:5], -1
                                        ; implicit-def: $sgpr10
	s_and_saveexec_b64 s[8:9], s[12:13]
; %bb.2570:
	s_mov_b32 s10, 0x7f800001
	s_xor_b64 s[4:5], exec, -1
; %bb.2571:
	s_or_b64 exec, exec, s[8:9]
	s_and_b64 s[4:5], s[4:5], exec
	s_or_saveexec_b64 s[6:7], s[6:7]
	v_mov_b32_e32 v20, s10
	s_xor_b64 exec, exec, s[6:7]
	s_cbranch_execz .LBB1_522
.LBB1_2572:
	v_mov_b32_e32 v20, 0
	v_cmp_ne_u16_sdwa s[8:9], v21, v20 src0_sel:BYTE_0 src1_sel:DWORD
	s_andn2_b64 s[4:5], s[4:5], exec
	s_and_b64 s[8:9], s[8:9], exec
	s_or_b64 s[4:5], s[4:5], s[8:9]
	s_or_b64 exec, exec, s[6:7]
	s_and_saveexec_b64 s[6:7], s[4:5]
	s_cbranch_execnz .LBB1_523
	s_branch .LBB1_524
.LBB1_2573:
	s_movk_i32 s4, 0x80
	v_cmp_eq_u16_sdwa s[12:13], v21, s4 src0_sel:BYTE_0 src1_sel:DWORD
	s_mov_b64 s[4:5], -1
                                        ; implicit-def: $sgpr10
	s_and_saveexec_b64 s[8:9], s[12:13]
; %bb.2574:
	s_mov_b32 s10, 0x7f800001
	s_xor_b64 s[4:5], exec, -1
; %bb.2575:
	s_or_b64 exec, exec, s[8:9]
	s_and_b64 s[4:5], s[4:5], exec
	s_or_saveexec_b64 s[6:7], s[6:7]
	v_mov_b32_e32 v22, s10
	s_xor_b64 exec, exec, s[6:7]
	s_cbranch_execz .LBB1_526
.LBB1_2576:
	v_mov_b32_e32 v22, 0
	v_cmp_ne_u16_sdwa s[8:9], v21, v22 src0_sel:BYTE_0 src1_sel:DWORD
	s_andn2_b64 s[4:5], s[4:5], exec
	s_and_b64 s[8:9], s[8:9], exec
	s_or_b64 s[4:5], s[4:5], s[8:9]
	s_or_b64 exec, exec, s[6:7]
	s_and_saveexec_b64 s[6:7], s[4:5]
	s_cbranch_execnz .LBB1_527
	s_branch .LBB1_528
.LBB1_2577:
	s_movk_i32 s4, 0x80
	v_cmp_eq_u16_e32 vcc, s4, v21
	s_mov_b64 s[4:5], -1
                                        ; implicit-def: $sgpr10
	s_and_saveexec_b64 s[8:9], vcc
; %bb.2578:
	s_mov_b32 s10, 0x7f800001
	s_xor_b64 s[4:5], exec, -1
; %bb.2579:
	s_or_b64 exec, exec, s[8:9]
	s_and_b64 s[4:5], s[4:5], exec
                                        ; implicit-def: $vgpr21
	s_or_saveexec_b64 s[6:7], s[6:7]
	v_mov_b32_e32 v20, s10
	s_xor_b64 exec, exec, s[6:7]
	s_cbranch_execz .LBB1_530
.LBB1_2580:
	v_cmp_ne_u16_e32 vcc, 0, v21
	s_andn2_b64 s[4:5], s[4:5], exec
	s_and_b64 s[8:9], vcc, exec
	v_mov_b32_e32 v20, 0
	s_or_b64 s[4:5], s[4:5], s[8:9]
	s_or_b64 exec, exec, s[6:7]
	s_and_saveexec_b64 s[6:7], s[4:5]
	s_cbranch_execnz .LBB1_531
	s_branch .LBB1_532
.LBB1_2581:
	s_movk_i32 s4, 0x80
	v_cmp_eq_u16_e32 vcc, s4, v21
	s_mov_b64 s[4:5], -1
                                        ; implicit-def: $sgpr10
	s_and_saveexec_b64 s[8:9], vcc
; %bb.2582:
	s_mov_b32 s10, 0x7f800001
	s_xor_b64 s[4:5], exec, -1
; %bb.2583:
	s_or_b64 exec, exec, s[8:9]
	s_and_b64 s[4:5], s[4:5], exec
                                        ; implicit-def: $vgpr21
	s_or_saveexec_b64 s[6:7], s[6:7]
	v_mov_b32_e32 v22, s10
	s_xor_b64 exec, exec, s[6:7]
	s_cbranch_execz .LBB1_534
.LBB1_2584:
	v_cmp_ne_u16_e32 vcc, 0, v21
	s_andn2_b64 s[4:5], s[4:5], exec
	s_and_b64 s[8:9], vcc, exec
	v_mov_b32_e32 v22, 0
	s_or_b64 s[4:5], s[4:5], s[8:9]
	s_or_b64 exec, exec, s[6:7]
	s_and_saveexec_b64 s[6:7], s[4:5]
	s_cbranch_execnz .LBB1_535
	s_branch .LBB1_536
.LBB1_2585:
	s_movk_i32 s4, 0x80
	v_cmp_eq_u16_sdwa s[12:13], v14, s4 src0_sel:BYTE_3 src1_sel:DWORD
	s_mov_b64 s[4:5], -1
                                        ; implicit-def: $sgpr10
	s_and_saveexec_b64 s[8:9], s[12:13]
; %bb.2586:
	s_mov_b32 s10, 0x7f800001
	s_xor_b64 s[4:5], exec, -1
; %bb.2587:
	s_or_b64 exec, exec, s[8:9]
	s_and_b64 s[4:5], s[4:5], exec
	s_or_saveexec_b64 s[6:7], s[6:7]
	v_mov_b32_e32 v20, s10
	s_xor_b64 exec, exec, s[6:7]
	s_cbranch_execz .LBB1_538
.LBB1_2588:
	v_mov_b32_e32 v20, 0
	v_cmp_ne_u16_sdwa s[8:9], v14, v20 src0_sel:BYTE_3 src1_sel:DWORD
	s_andn2_b64 s[4:5], s[4:5], exec
	s_and_b64 s[8:9], s[8:9], exec
	s_or_b64 s[4:5], s[4:5], s[8:9]
	s_or_b64 exec, exec, s[6:7]
	s_and_saveexec_b64 s[6:7], s[4:5]
	s_cbranch_execnz .LBB1_539
	s_branch .LBB1_540
.LBB1_2589:
	s_movk_i32 s4, 0x80
	v_cmp_eq_u16_sdwa s[12:13], v10, s4 src0_sel:BYTE_3 src1_sel:DWORD
	s_mov_b64 s[4:5], -1
                                        ; implicit-def: $sgpr10
	s_and_saveexec_b64 s[8:9], s[12:13]
; %bb.2590:
	s_mov_b32 s10, 0x7f800001
	s_xor_b64 s[4:5], exec, -1
; %bb.2591:
	s_or_b64 exec, exec, s[8:9]
	s_and_b64 s[4:5], s[4:5], exec
	s_or_saveexec_b64 s[6:7], s[6:7]
	v_mov_b32_e32 v14, s10
	s_xor_b64 exec, exec, s[6:7]
	s_cbranch_execz .LBB1_542
.LBB1_2592:
	v_mov_b32_e32 v14, 0
	v_cmp_ne_u16_sdwa s[8:9], v10, v14 src0_sel:BYTE_3 src1_sel:DWORD
	s_andn2_b64 s[4:5], s[4:5], exec
	s_and_b64 s[8:9], s[8:9], exec
	s_or_b64 s[4:5], s[4:5], s[8:9]
	s_or_b64 exec, exec, s[6:7]
	s_and_saveexec_b64 s[6:7], s[4:5]
	s_cbranch_execnz .LBB1_543
	s_branch .LBB1_544
.LBB1_2593:
	s_movk_i32 s4, 0x80
	v_cmp_eq_u16_sdwa s[12:13], v15, s4 src0_sel:BYTE_0 src1_sel:DWORD
	s_mov_b64 s[4:5], -1
                                        ; implicit-def: $sgpr10
	s_and_saveexec_b64 s[8:9], s[12:13]
; %bb.2594:
	s_mov_b32 s10, 0x7f800001
	s_xor_b64 s[4:5], exec, -1
; %bb.2595:
	s_or_b64 exec, exec, s[8:9]
	s_and_b64 s[4:5], s[4:5], exec
	s_or_saveexec_b64 s[6:7], s[6:7]
	v_mov_b32_e32 v10, s10
	s_xor_b64 exec, exec, s[6:7]
	s_cbranch_execz .LBB1_546
.LBB1_2596:
	v_mov_b32_e32 v10, 0
	v_cmp_ne_u16_sdwa s[8:9], v15, v10 src0_sel:BYTE_0 src1_sel:DWORD
	s_andn2_b64 s[4:5], s[4:5], exec
	s_and_b64 s[8:9], s[8:9], exec
	s_or_b64 s[4:5], s[4:5], s[8:9]
	s_or_b64 exec, exec, s[6:7]
	s_and_saveexec_b64 s[6:7], s[4:5]
	s_cbranch_execnz .LBB1_547
	s_branch .LBB1_548
.LBB1_2597:
	s_movk_i32 s4, 0x80
	v_cmp_eq_u16_sdwa s[12:13], v11, s4 src0_sel:BYTE_0 src1_sel:DWORD
	s_mov_b64 s[4:5], -1
                                        ; implicit-def: $sgpr10
	s_and_saveexec_b64 s[8:9], s[12:13]
; %bb.2598:
	s_mov_b32 s10, 0x7f800001
	s_xor_b64 s[4:5], exec, -1
; %bb.2599:
	s_or_b64 exec, exec, s[8:9]
	s_and_b64 s[4:5], s[4:5], exec
	s_or_saveexec_b64 s[6:7], s[6:7]
	v_mov_b32_e32 v14, s10
	s_xor_b64 exec, exec, s[6:7]
	s_cbranch_execz .LBB1_550
.LBB1_2600:
	v_mov_b32_e32 v14, 0
	v_cmp_ne_u16_sdwa s[8:9], v11, v14 src0_sel:BYTE_0 src1_sel:DWORD
	s_andn2_b64 s[4:5], s[4:5], exec
	s_and_b64 s[8:9], s[8:9], exec
	s_or_b64 s[4:5], s[4:5], s[8:9]
	s_or_b64 exec, exec, s[6:7]
	s_and_saveexec_b64 s[6:7], s[4:5]
	s_cbranch_execnz .LBB1_551
	s_branch .LBB1_552
.LBB1_2601:
	s_movk_i32 s4, 0x80
	v_cmp_eq_u16_sdwa s[12:13], v14, s4 src0_sel:BYTE_0 src1_sel:DWORD
	s_mov_b64 s[4:5], -1
                                        ; implicit-def: $sgpr10
	s_and_saveexec_b64 s[8:9], s[12:13]
; %bb.2602:
	s_mov_b32 s10, 0x7f800001
	s_xor_b64 s[4:5], exec, -1
; %bb.2603:
	s_or_b64 exec, exec, s[8:9]
	s_and_b64 s[4:5], s[4:5], exec
	s_or_saveexec_b64 s[6:7], s[6:7]
	v_mov_b32_e32 v10, s10
	s_xor_b64 exec, exec, s[6:7]
	s_cbranch_execz .LBB1_554
.LBB1_2604:
	v_mov_b32_e32 v10, 0
	v_cmp_ne_u16_sdwa s[8:9], v14, v10 src0_sel:BYTE_0 src1_sel:DWORD
	s_andn2_b64 s[4:5], s[4:5], exec
	s_and_b64 s[8:9], s[8:9], exec
	s_or_b64 s[4:5], s[4:5], s[8:9]
	s_or_b64 exec, exec, s[6:7]
	s_and_saveexec_b64 s[6:7], s[4:5]
	s_cbranch_execnz .LBB1_555
	s_branch .LBB1_556
.LBB1_2605:
	s_movk_i32 s4, 0x80
	v_cmp_eq_u16_sdwa s[12:13], v14, s4 src0_sel:BYTE_0 src1_sel:DWORD
	s_mov_b64 s[4:5], -1
                                        ; implicit-def: $sgpr10
	s_and_saveexec_b64 s[8:9], s[12:13]
; %bb.2606:
	s_mov_b32 s10, 0x7f800001
	s_xor_b64 s[4:5], exec, -1
; %bb.2607:
	s_or_b64 exec, exec, s[8:9]
	s_and_b64 s[4:5], s[4:5], exec
	s_or_saveexec_b64 s[6:7], s[6:7]
	v_mov_b32_e32 v20, s10
	s_xor_b64 exec, exec, s[6:7]
	s_cbranch_execz .LBB1_558
.LBB1_2608:
	v_mov_b32_e32 v20, 0
	v_cmp_ne_u16_sdwa s[8:9], v14, v20 src0_sel:BYTE_0 src1_sel:DWORD
	s_andn2_b64 s[4:5], s[4:5], exec
	s_and_b64 s[8:9], s[8:9], exec
	s_or_b64 s[4:5], s[4:5], s[8:9]
	s_or_b64 exec, exec, s[6:7]
	s_and_saveexec_b64 s[6:7], s[4:5]
	s_cbranch_execnz .LBB1_559
	s_branch .LBB1_560
.LBB1_2609:
	s_movk_i32 s4, 0x80
	v_cmp_eq_u16_e32 vcc, s4, v14
	s_mov_b64 s[4:5], -1
                                        ; implicit-def: $sgpr10
	s_and_saveexec_b64 s[8:9], vcc
; %bb.2610:
	s_mov_b32 s10, 0x7f800001
	s_xor_b64 s[4:5], exec, -1
; %bb.2611:
	s_or_b64 exec, exec, s[8:9]
	s_and_b64 s[4:5], s[4:5], exec
                                        ; implicit-def: $vgpr14
	s_or_saveexec_b64 s[6:7], s[6:7]
	v_mov_b32_e32 v10, s10
	s_xor_b64 exec, exec, s[6:7]
	s_cbranch_execz .LBB1_562
.LBB1_2612:
	v_cmp_ne_u16_e32 vcc, 0, v14
	s_andn2_b64 s[4:5], s[4:5], exec
	s_and_b64 s[8:9], vcc, exec
	v_mov_b32_e32 v10, 0
	s_or_b64 s[4:5], s[4:5], s[8:9]
	s_or_b64 exec, exec, s[6:7]
	s_and_saveexec_b64 s[6:7], s[4:5]
	s_cbranch_execnz .LBB1_563
	s_branch .LBB1_564
.LBB1_2613:
	s_movk_i32 s4, 0x80
	v_cmp_eq_u16_e32 vcc, s4, v14
	s_mov_b64 s[4:5], -1
                                        ; implicit-def: $sgpr10
	s_and_saveexec_b64 s[8:9], vcc
; %bb.2614:
	s_mov_b32 s10, 0x7f800001
	s_xor_b64 s[4:5], exec, -1
; %bb.2615:
	s_or_b64 exec, exec, s[8:9]
	s_and_b64 s[4:5], s[4:5], exec
                                        ; implicit-def: $vgpr14
	s_or_saveexec_b64 s[6:7], s[6:7]
	v_mov_b32_e32 v20, s10
	s_xor_b64 exec, exec, s[6:7]
	s_cbranch_execz .LBB1_566
.LBB1_2616:
	v_cmp_ne_u16_e32 vcc, 0, v14
	s_andn2_b64 s[4:5], s[4:5], exec
	s_and_b64 s[8:9], vcc, exec
	v_mov_b32_e32 v20, 0
	s_or_b64 s[4:5], s[4:5], s[8:9]
	s_or_b64 exec, exec, s[6:7]
	s_and_saveexec_b64 s[6:7], s[4:5]
	s_cbranch_execnz .LBB1_567
	s_branch .LBB1_568
.LBB1_2617:
	s_movk_i32 s4, 0x80
	v_cmp_eq_u16_sdwa s[12:13], v15, s4 src0_sel:BYTE_3 src1_sel:DWORD
	s_mov_b64 s[4:5], -1
                                        ; implicit-def: $sgpr10
	s_and_saveexec_b64 s[8:9], s[12:13]
; %bb.2618:
	s_mov_b32 s10, 0x7f800001
	s_xor_b64 s[4:5], exec, -1
; %bb.2619:
	s_or_b64 exec, exec, s[8:9]
	s_and_b64 s[4:5], s[4:5], exec
	s_or_saveexec_b64 s[6:7], s[6:7]
	v_mov_b32_e32 v10, s10
	s_xor_b64 exec, exec, s[6:7]
	s_cbranch_execz .LBB1_570
.LBB1_2620:
	v_mov_b32_e32 v10, 0
	v_cmp_ne_u16_sdwa s[8:9], v15, v10 src0_sel:BYTE_3 src1_sel:DWORD
	s_andn2_b64 s[4:5], s[4:5], exec
	s_and_b64 s[8:9], s[8:9], exec
	s_or_b64 s[4:5], s[4:5], s[8:9]
	s_or_b64 exec, exec, s[6:7]
	s_and_saveexec_b64 s[6:7], s[4:5]
	s_cbranch_execnz .LBB1_571
	s_branch .LBB1_572
.LBB1_2621:
	s_movk_i32 s4, 0x80
	v_cmp_eq_u16_sdwa s[12:13], v11, s4 src0_sel:BYTE_3 src1_sel:DWORD
	s_mov_b64 s[4:5], -1
                                        ; implicit-def: $sgpr10
	s_and_saveexec_b64 s[8:9], s[12:13]
; %bb.2622:
	s_mov_b32 s10, 0x7f800001
	s_xor_b64 s[4:5], exec, -1
; %bb.2623:
	s_or_b64 exec, exec, s[8:9]
	s_and_b64 s[4:5], s[4:5], exec
	s_or_saveexec_b64 s[6:7], s[6:7]
	v_mov_b32_e32 v14, s10
	s_xor_b64 exec, exec, s[6:7]
	s_cbranch_execz .LBB1_574
.LBB1_2624:
	v_mov_b32_e32 v14, 0
	v_cmp_ne_u16_sdwa s[8:9], v11, v14 src0_sel:BYTE_3 src1_sel:DWORD
	s_andn2_b64 s[4:5], s[4:5], exec
	s_and_b64 s[8:9], s[8:9], exec
	s_or_b64 s[4:5], s[4:5], s[8:9]
	s_or_b64 exec, exec, s[6:7]
	s_and_saveexec_b64 s[6:7], s[4:5]
	s_cbranch_execnz .LBB1_575
	s_branch .LBB1_576
.LBB1_2625:
	s_movk_i32 s4, 0x80
	v_cmp_eq_u16_sdwa s[12:13], v16, s4 src0_sel:BYTE_0 src1_sel:DWORD
	s_mov_b64 s[4:5], -1
                                        ; implicit-def: $sgpr10
	s_and_saveexec_b64 s[8:9], s[12:13]
; %bb.2626:
	s_mov_b32 s10, 0x7f800001
	s_xor_b64 s[4:5], exec, -1
; %bb.2627:
	s_or_b64 exec, exec, s[8:9]
	s_and_b64 s[4:5], s[4:5], exec
	s_or_saveexec_b64 s[6:7], s[6:7]
	v_mov_b32_e32 v10, s10
	s_xor_b64 exec, exec, s[6:7]
	s_cbranch_execz .LBB1_578
.LBB1_2628:
	v_mov_b32_e32 v10, 0
	v_cmp_ne_u16_sdwa s[8:9], v16, v10 src0_sel:BYTE_0 src1_sel:DWORD
	s_andn2_b64 s[4:5], s[4:5], exec
	s_and_b64 s[8:9], s[8:9], exec
	s_or_b64 s[4:5], s[4:5], s[8:9]
	s_or_b64 exec, exec, s[6:7]
	s_and_saveexec_b64 s[6:7], s[4:5]
	s_cbranch_execnz .LBB1_579
	s_branch .LBB1_580
.LBB1_2629:
	s_movk_i32 s4, 0x80
	v_cmp_eq_u16_sdwa s[12:13], v12, s4 src0_sel:BYTE_0 src1_sel:DWORD
	s_mov_b64 s[4:5], -1
                                        ; implicit-def: $sgpr10
	s_and_saveexec_b64 s[8:9], s[12:13]
; %bb.2630:
	s_mov_b32 s10, 0x7f800001
	s_xor_b64 s[4:5], exec, -1
; %bb.2631:
	s_or_b64 exec, exec, s[8:9]
	s_and_b64 s[4:5], s[4:5], exec
	s_or_saveexec_b64 s[6:7], s[6:7]
	v_mov_b32_e32 v11, s10
	s_xor_b64 exec, exec, s[6:7]
	s_cbranch_execz .LBB1_582
.LBB1_2632:
	v_mov_b32_e32 v11, 0
	v_cmp_ne_u16_sdwa s[8:9], v12, v11 src0_sel:BYTE_0 src1_sel:DWORD
	s_andn2_b64 s[4:5], s[4:5], exec
	s_and_b64 s[8:9], s[8:9], exec
	s_or_b64 s[4:5], s[4:5], s[8:9]
	s_or_b64 exec, exec, s[6:7]
	s_and_saveexec_b64 s[6:7], s[4:5]
	s_cbranch_execnz .LBB1_583
	s_branch .LBB1_584
.LBB1_2633:
	s_movk_i32 s4, 0x80
	v_cmp_eq_u16_sdwa s[12:13], v11, s4 src0_sel:BYTE_0 src1_sel:DWORD
	s_mov_b64 s[4:5], -1
                                        ; implicit-def: $sgpr10
	s_and_saveexec_b64 s[8:9], s[12:13]
; %bb.2634:
	s_mov_b32 s10, 0x7f800001
	s_xor_b64 s[4:5], exec, -1
; %bb.2635:
	s_or_b64 exec, exec, s[8:9]
	s_and_b64 s[4:5], s[4:5], exec
	s_or_saveexec_b64 s[6:7], s[6:7]
	v_mov_b32_e32 v10, s10
	s_xor_b64 exec, exec, s[6:7]
	s_cbranch_execz .LBB1_586
.LBB1_2636:
	v_mov_b32_e32 v10, 0
	v_cmp_ne_u16_sdwa s[8:9], v11, v10 src0_sel:BYTE_0 src1_sel:DWORD
	s_andn2_b64 s[4:5], s[4:5], exec
	s_and_b64 s[8:9], s[8:9], exec
	s_or_b64 s[4:5], s[4:5], s[8:9]
	s_or_b64 exec, exec, s[6:7]
	s_and_saveexec_b64 s[6:7], s[4:5]
	s_cbranch_execnz .LBB1_587
	s_branch .LBB1_588
.LBB1_2637:
	s_movk_i32 s4, 0x80
	v_cmp_eq_u16_sdwa s[12:13], v11, s4 src0_sel:BYTE_0 src1_sel:DWORD
	s_mov_b64 s[4:5], -1
                                        ; implicit-def: $sgpr10
	s_and_saveexec_b64 s[8:9], s[12:13]
; %bb.2638:
	s_mov_b32 s10, 0x7f800001
	s_xor_b64 s[4:5], exec, -1
; %bb.2639:
	s_or_b64 exec, exec, s[8:9]
	s_and_b64 s[4:5], s[4:5], exec
	s_or_saveexec_b64 s[6:7], s[6:7]
	v_mov_b32_e32 v14, s10
	s_xor_b64 exec, exec, s[6:7]
	s_cbranch_execz .LBB1_590
.LBB1_2640:
	v_mov_b32_e32 v14, 0
	v_cmp_ne_u16_sdwa s[8:9], v11, v14 src0_sel:BYTE_0 src1_sel:DWORD
	s_andn2_b64 s[4:5], s[4:5], exec
	s_and_b64 s[8:9], s[8:9], exec
	s_or_b64 s[4:5], s[4:5], s[8:9]
	s_or_b64 exec, exec, s[6:7]
	s_and_saveexec_b64 s[6:7], s[4:5]
	s_cbranch_execnz .LBB1_591
	s_branch .LBB1_592
.LBB1_2641:
	s_movk_i32 s4, 0x80
	v_cmp_eq_u16_e32 vcc, s4, v11
	s_mov_b64 s[4:5], -1
                                        ; implicit-def: $sgpr10
	s_and_saveexec_b64 s[8:9], vcc
; %bb.2642:
	s_mov_b32 s10, 0x7f800001
	s_xor_b64 s[4:5], exec, -1
; %bb.2643:
	s_or_b64 exec, exec, s[8:9]
	s_and_b64 s[4:5], s[4:5], exec
                                        ; implicit-def: $vgpr11
	s_or_saveexec_b64 s[6:7], s[6:7]
	v_mov_b32_e32 v10, s10
	s_xor_b64 exec, exec, s[6:7]
	s_cbranch_execz .LBB1_594
.LBB1_2644:
	v_cmp_ne_u16_e32 vcc, 0, v11
	s_andn2_b64 s[4:5], s[4:5], exec
	s_and_b64 s[8:9], vcc, exec
	v_mov_b32_e32 v10, 0
	s_or_b64 s[4:5], s[4:5], s[8:9]
	s_or_b64 exec, exec, s[6:7]
	s_and_saveexec_b64 s[6:7], s[4:5]
	s_cbranch_execnz .LBB1_595
	s_branch .LBB1_596
.LBB1_2645:
	s_movk_i32 s4, 0x80
	v_cmp_eq_u16_e32 vcc, s4, v11
	s_mov_b64 s[4:5], -1
                                        ; implicit-def: $sgpr10
	s_and_saveexec_b64 s[8:9], vcc
; %bb.2646:
	s_mov_b32 s10, 0x7f800001
	s_xor_b64 s[4:5], exec, -1
; %bb.2647:
	s_or_b64 exec, exec, s[8:9]
	s_and_b64 s[4:5], s[4:5], exec
                                        ; implicit-def: $vgpr11
	s_or_saveexec_b64 s[6:7], s[6:7]
	v_mov_b32_e32 v14, s10
	s_xor_b64 exec, exec, s[6:7]
	s_cbranch_execz .LBB1_598
.LBB1_2648:
	v_cmp_ne_u16_e32 vcc, 0, v11
	s_andn2_b64 s[4:5], s[4:5], exec
	s_and_b64 s[8:9], vcc, exec
	v_mov_b32_e32 v14, 0
	s_or_b64 s[4:5], s[4:5], s[8:9]
	s_or_b64 exec, exec, s[6:7]
	s_and_saveexec_b64 s[6:7], s[4:5]
	s_cbranch_execnz .LBB1_599
	s_branch .LBB1_600
.LBB1_2649:
	s_movk_i32 s4, 0x80
	v_cmp_eq_u16_sdwa s[12:13], v16, s4 src0_sel:BYTE_3 src1_sel:DWORD
	s_mov_b64 s[4:5], -1
                                        ; implicit-def: $sgpr10
	s_and_saveexec_b64 s[8:9], s[12:13]
; %bb.2650:
	s_mov_b32 s10, 0x7f800001
	s_xor_b64 s[4:5], exec, -1
; %bb.2651:
	s_or_b64 exec, exec, s[8:9]
	s_and_b64 s[4:5], s[4:5], exec
	s_or_saveexec_b64 s[6:7], s[6:7]
	v_mov_b32_e32 v10, s10
	s_xor_b64 exec, exec, s[6:7]
	s_cbranch_execz .LBB1_602
.LBB1_2652:
	v_mov_b32_e32 v10, 0
	v_cmp_ne_u16_sdwa s[8:9], v16, v10 src0_sel:BYTE_3 src1_sel:DWORD
	s_andn2_b64 s[4:5], s[4:5], exec
	s_and_b64 s[8:9], s[8:9], exec
	s_or_b64 s[4:5], s[4:5], s[8:9]
	s_or_b64 exec, exec, s[6:7]
	s_and_saveexec_b64 s[6:7], s[4:5]
	s_cbranch_execnz .LBB1_603
	s_branch .LBB1_604
.LBB1_2653:
	s_movk_i32 s4, 0x80
	v_cmp_eq_u16_sdwa s[12:13], v12, s4 src0_sel:BYTE_3 src1_sel:DWORD
	s_mov_b64 s[4:5], -1
                                        ; implicit-def: $sgpr10
	s_and_saveexec_b64 s[8:9], s[12:13]
; %bb.2654:
	s_mov_b32 s10, 0x7f800001
	s_xor_b64 s[4:5], exec, -1
; %bb.2655:
	s_or_b64 exec, exec, s[8:9]
	s_and_b64 s[4:5], s[4:5], exec
	s_or_saveexec_b64 s[6:7], s[6:7]
	v_mov_b32_e32 v11, s10
	s_xor_b64 exec, exec, s[6:7]
	s_cbranch_execz .LBB1_606
.LBB1_2656:
	v_mov_b32_e32 v11, 0
	v_cmp_ne_u16_sdwa s[8:9], v12, v11 src0_sel:BYTE_3 src1_sel:DWORD
	s_andn2_b64 s[4:5], s[4:5], exec
	s_and_b64 s[8:9], s[8:9], exec
	s_or_b64 s[4:5], s[4:5], s[8:9]
	s_or_b64 exec, exec, s[6:7]
	s_and_saveexec_b64 s[6:7], s[4:5]
	s_cbranch_execnz .LBB1_607
	s_branch .LBB1_608
.LBB1_2657:
	s_movk_i32 s4, 0x80
	v_cmp_eq_u16_sdwa s[12:13], v17, s4 src0_sel:BYTE_0 src1_sel:DWORD
	s_mov_b64 s[4:5], -1
                                        ; implicit-def: $sgpr10
	s_and_saveexec_b64 s[8:9], s[12:13]
; %bb.2658:
	s_mov_b32 s10, 0x7f800001
	s_xor_b64 s[4:5], exec, -1
; %bb.2659:
	s_or_b64 exec, exec, s[8:9]
	s_and_b64 s[4:5], s[4:5], exec
	s_or_saveexec_b64 s[6:7], s[6:7]
	v_mov_b32_e32 v10, s10
	s_xor_b64 exec, exec, s[6:7]
	s_cbranch_execz .LBB1_610
.LBB1_2660:
	v_mov_b32_e32 v10, 0
	v_cmp_ne_u16_sdwa s[8:9], v17, v10 src0_sel:BYTE_0 src1_sel:DWORD
	s_andn2_b64 s[4:5], s[4:5], exec
	s_and_b64 s[8:9], s[8:9], exec
	s_or_b64 s[4:5], s[4:5], s[8:9]
	s_or_b64 exec, exec, s[6:7]
	s_and_saveexec_b64 s[6:7], s[4:5]
	s_cbranch_execnz .LBB1_611
	s_branch .LBB1_612
.LBB1_2661:
	s_movk_i32 s4, 0x80
	v_cmp_eq_u16_sdwa s[12:13], v13, s4 src0_sel:BYTE_0 src1_sel:DWORD
	s_mov_b64 s[4:5], -1
                                        ; implicit-def: $sgpr10
	s_and_saveexec_b64 s[8:9], s[12:13]
; %bb.2662:
	s_mov_b32 s10, 0x7f800001
	s_xor_b64 s[4:5], exec, -1
; %bb.2663:
	s_or_b64 exec, exec, s[8:9]
	s_and_b64 s[4:5], s[4:5], exec
	s_or_saveexec_b64 s[6:7], s[6:7]
	v_mov_b32_e32 v11, s10
	s_xor_b64 exec, exec, s[6:7]
	s_cbranch_execz .LBB1_614
.LBB1_2664:
	v_mov_b32_e32 v11, 0
	v_cmp_ne_u16_sdwa s[8:9], v13, v11 src0_sel:BYTE_0 src1_sel:DWORD
	s_andn2_b64 s[4:5], s[4:5], exec
	s_and_b64 s[8:9], s[8:9], exec
	s_or_b64 s[4:5], s[4:5], s[8:9]
	s_or_b64 exec, exec, s[6:7]
	s_and_saveexec_b64 s[6:7], s[4:5]
	s_cbranch_execnz .LBB1_615
	s_branch .LBB1_616
.LBB1_2665:
	s_movk_i32 s4, 0x80
	v_cmp_eq_u16_sdwa s[12:13], v11, s4 src0_sel:BYTE_0 src1_sel:DWORD
	s_mov_b64 s[4:5], -1
                                        ; implicit-def: $sgpr10
	s_and_saveexec_b64 s[8:9], s[12:13]
; %bb.2666:
	s_mov_b32 s10, 0x7f800001
	s_xor_b64 s[4:5], exec, -1
; %bb.2667:
	s_or_b64 exec, exec, s[8:9]
	s_and_b64 s[4:5], s[4:5], exec
	s_or_saveexec_b64 s[6:7], s[6:7]
	v_mov_b32_e32 v10, s10
	s_xor_b64 exec, exec, s[6:7]
	s_cbranch_execz .LBB1_618
.LBB1_2668:
	v_mov_b32_e32 v10, 0
	v_cmp_ne_u16_sdwa s[8:9], v11, v10 src0_sel:BYTE_0 src1_sel:DWORD
	s_andn2_b64 s[4:5], s[4:5], exec
	s_and_b64 s[8:9], s[8:9], exec
	s_or_b64 s[4:5], s[4:5], s[8:9]
	s_or_b64 exec, exec, s[6:7]
	s_and_saveexec_b64 s[6:7], s[4:5]
	s_cbranch_execnz .LBB1_619
	s_branch .LBB1_620
.LBB1_2669:
	s_movk_i32 s4, 0x80
	v_cmp_eq_u16_sdwa s[12:13], v11, s4 src0_sel:BYTE_0 src1_sel:DWORD
	s_mov_b64 s[4:5], -1
                                        ; implicit-def: $sgpr10
	s_and_saveexec_b64 s[8:9], s[12:13]
; %bb.2670:
	s_mov_b32 s10, 0x7f800001
	s_xor_b64 s[4:5], exec, -1
; %bb.2671:
	s_or_b64 exec, exec, s[8:9]
	s_and_b64 s[4:5], s[4:5], exec
	s_or_saveexec_b64 s[6:7], s[6:7]
	v_mov_b32_e32 v12, s10
	s_xor_b64 exec, exec, s[6:7]
	s_cbranch_execz .LBB1_622
.LBB1_2672:
	v_mov_b32_e32 v12, 0
	v_cmp_ne_u16_sdwa s[8:9], v11, v12 src0_sel:BYTE_0 src1_sel:DWORD
	s_andn2_b64 s[4:5], s[4:5], exec
	s_and_b64 s[8:9], s[8:9], exec
	s_or_b64 s[4:5], s[4:5], s[8:9]
	s_or_b64 exec, exec, s[6:7]
	s_and_saveexec_b64 s[6:7], s[4:5]
	s_cbranch_execnz .LBB1_623
	s_branch .LBB1_624
.LBB1_2673:
	s_movk_i32 s4, 0x80
	v_cmp_eq_u16_e32 vcc, s4, v11
	s_mov_b64 s[4:5], -1
                                        ; implicit-def: $sgpr10
	s_and_saveexec_b64 s[8:9], vcc
; %bb.2674:
	s_mov_b32 s10, 0x7f800001
	s_xor_b64 s[4:5], exec, -1
; %bb.2675:
	s_or_b64 exec, exec, s[8:9]
	s_and_b64 s[4:5], s[4:5], exec
                                        ; implicit-def: $vgpr11
	s_or_saveexec_b64 s[6:7], s[6:7]
	v_mov_b32_e32 v10, s10
	s_xor_b64 exec, exec, s[6:7]
	s_cbranch_execz .LBB1_626
.LBB1_2676:
	v_cmp_ne_u16_e32 vcc, 0, v11
	s_andn2_b64 s[4:5], s[4:5], exec
	s_and_b64 s[8:9], vcc, exec
	v_mov_b32_e32 v10, 0
	s_or_b64 s[4:5], s[4:5], s[8:9]
	s_or_b64 exec, exec, s[6:7]
	s_and_saveexec_b64 s[6:7], s[4:5]
	s_cbranch_execnz .LBB1_627
	s_branch .LBB1_628
.LBB1_2677:
	s_movk_i32 s4, 0x80
	v_cmp_eq_u16_e32 vcc, s4, v11
	s_mov_b64 s[4:5], -1
                                        ; implicit-def: $sgpr10
	s_and_saveexec_b64 s[8:9], vcc
; %bb.2678:
	s_mov_b32 s10, 0x7f800001
	s_xor_b64 s[4:5], exec, -1
; %bb.2679:
	s_or_b64 exec, exec, s[8:9]
	s_and_b64 s[4:5], s[4:5], exec
                                        ; implicit-def: $vgpr11
	s_or_saveexec_b64 s[6:7], s[6:7]
	v_mov_b32_e32 v12, s10
	s_xor_b64 exec, exec, s[6:7]
	s_cbranch_execz .LBB1_630
.LBB1_2680:
	v_cmp_ne_u16_e32 vcc, 0, v11
	s_andn2_b64 s[4:5], s[4:5], exec
	s_and_b64 s[8:9], vcc, exec
	v_mov_b32_e32 v12, 0
	s_or_b64 s[4:5], s[4:5], s[8:9]
	s_or_b64 exec, exec, s[6:7]
	s_and_saveexec_b64 s[6:7], s[4:5]
	s_cbranch_execnz .LBB1_631
	s_branch .LBB1_632
.LBB1_2681:
	s_movk_i32 s4, 0x80
	v_cmp_eq_u16_sdwa s[12:13], v17, s4 src0_sel:BYTE_3 src1_sel:DWORD
	s_mov_b64 s[4:5], -1
                                        ; implicit-def: $sgpr10
	s_and_saveexec_b64 s[8:9], s[12:13]
; %bb.2682:
	s_mov_b32 s10, 0x7f800001
	s_xor_b64 s[4:5], exec, -1
; %bb.2683:
	s_or_b64 exec, exec, s[8:9]
	s_and_b64 s[4:5], s[4:5], exec
	s_or_saveexec_b64 s[6:7], s[6:7]
	v_mov_b32_e32 v10, s10
	s_xor_b64 exec, exec, s[6:7]
	s_cbranch_execz .LBB1_634
.LBB1_2684:
	v_mov_b32_e32 v10, 0
	v_cmp_ne_u16_sdwa s[8:9], v17, v10 src0_sel:BYTE_3 src1_sel:DWORD
	s_andn2_b64 s[4:5], s[4:5], exec
	s_and_b64 s[8:9], s[8:9], exec
	s_or_b64 s[4:5], s[4:5], s[8:9]
	s_or_b64 exec, exec, s[6:7]
	s_and_saveexec_b64 s[6:7], s[4:5]
	s_cbranch_execnz .LBB1_635
	s_branch .LBB1_636
.LBB1_2685:
	s_movk_i32 s4, 0x80
	v_cmp_eq_u16_sdwa s[12:13], v13, s4 src0_sel:BYTE_3 src1_sel:DWORD
	s_mov_b64 s[4:5], -1
                                        ; implicit-def: $sgpr10
	s_and_saveexec_b64 s[8:9], s[12:13]
; %bb.2686:
	s_mov_b32 s10, 0x7f800001
	s_xor_b64 s[4:5], exec, -1
; %bb.2687:
	s_or_b64 exec, exec, s[8:9]
	s_and_b64 s[4:5], s[4:5], exec
	s_or_saveexec_b64 s[6:7], s[6:7]
	v_mov_b32_e32 v11, s10
	s_xor_b64 exec, exec, s[6:7]
	s_cbranch_execz .LBB1_638
.LBB1_2688:
	v_mov_b32_e32 v11, 0
	v_cmp_ne_u16_sdwa s[8:9], v13, v11 src0_sel:BYTE_3 src1_sel:DWORD
	s_andn2_b64 s[4:5], s[4:5], exec
	s_and_b64 s[8:9], s[8:9], exec
	s_or_b64 s[4:5], s[4:5], s[8:9]
	s_or_b64 exec, exec, s[6:7]
	s_and_saveexec_b64 s[6:7], s[4:5]
	s_cbranch_execnz .LBB1_639
	s_branch .LBB1_640
.LBB1_2689:
	s_movk_i32 s4, 0x80
	v_cmp_eq_u16_sdwa s[12:13], v6, s4 src0_sel:BYTE_0 src1_sel:DWORD
	s_mov_b64 s[4:5], -1
                                        ; implicit-def: $sgpr10
	s_and_saveexec_b64 s[8:9], s[12:13]
; %bb.2690:
	s_mov_b32 s10, 0x7f800001
	s_xor_b64 s[4:5], exec, -1
; %bb.2691:
	s_or_b64 exec, exec, s[8:9]
	s_and_b64 s[4:5], s[4:5], exec
	s_or_saveexec_b64 s[6:7], s[6:7]
	v_mov_b32_e32 v10, s10
	s_xor_b64 exec, exec, s[6:7]
	s_cbranch_execz .LBB1_642
.LBB1_2692:
	v_mov_b32_e32 v10, 0
	v_cmp_ne_u16_sdwa s[8:9], v6, v10 src0_sel:BYTE_0 src1_sel:DWORD
	s_andn2_b64 s[4:5], s[4:5], exec
	s_and_b64 s[8:9], s[8:9], exec
	s_or_b64 s[4:5], s[4:5], s[8:9]
	s_or_b64 exec, exec, s[6:7]
	s_and_saveexec_b64 s[6:7], s[4:5]
	s_cbranch_execnz .LBB1_643
	s_branch .LBB1_644
.LBB1_2693:
	s_movk_i32 s4, 0x80
	v_cmp_eq_u16_sdwa s[12:13], v2, s4 src0_sel:BYTE_0 src1_sel:DWORD
	s_mov_b64 s[4:5], -1
                                        ; implicit-def: $sgpr10
	s_and_saveexec_b64 s[8:9], s[12:13]
; %bb.2694:
	s_mov_b32 s10, 0x7f800001
	s_xor_b64 s[4:5], exec, -1
; %bb.2695:
	s_or_b64 exec, exec, s[8:9]
	s_and_b64 s[4:5], s[4:5], exec
	s_or_saveexec_b64 s[6:7], s[6:7]
	v_mov_b32_e32 v11, s10
	s_xor_b64 exec, exec, s[6:7]
	s_cbranch_execz .LBB1_646
.LBB1_2696:
	v_mov_b32_e32 v11, 0
	v_cmp_ne_u16_sdwa s[8:9], v2, v11 src0_sel:BYTE_0 src1_sel:DWORD
	s_andn2_b64 s[4:5], s[4:5], exec
	s_and_b64 s[8:9], s[8:9], exec
	s_or_b64 s[4:5], s[4:5], s[8:9]
	s_or_b64 exec, exec, s[6:7]
	s_and_saveexec_b64 s[6:7], s[4:5]
	s_cbranch_execnz .LBB1_647
	s_branch .LBB1_648
.LBB1_2697:
	s_movk_i32 s4, 0x80
	v_cmp_eq_u16_sdwa s[12:13], v11, s4 src0_sel:BYTE_0 src1_sel:DWORD
	s_mov_b64 s[4:5], -1
                                        ; implicit-def: $sgpr10
	s_and_saveexec_b64 s[8:9], s[12:13]
; %bb.2698:
	s_mov_b32 s10, 0x7f800001
	s_xor_b64 s[4:5], exec, -1
; %bb.2699:
	s_or_b64 exec, exec, s[8:9]
	s_and_b64 s[4:5], s[4:5], exec
	s_or_saveexec_b64 s[6:7], s[6:7]
	v_mov_b32_e32 v10, s10
	s_xor_b64 exec, exec, s[6:7]
	s_cbranch_execz .LBB1_650
.LBB1_2700:
	v_mov_b32_e32 v10, 0
	v_cmp_ne_u16_sdwa s[8:9], v11, v10 src0_sel:BYTE_0 src1_sel:DWORD
	s_andn2_b64 s[4:5], s[4:5], exec
	s_and_b64 s[8:9], s[8:9], exec
	s_or_b64 s[4:5], s[4:5], s[8:9]
	s_or_b64 exec, exec, s[6:7]
	s_and_saveexec_b64 s[6:7], s[4:5]
	s_cbranch_execnz .LBB1_651
	s_branch .LBB1_652
.LBB1_2701:
	s_movk_i32 s4, 0x80
	v_cmp_eq_u16_sdwa s[12:13], v11, s4 src0_sel:BYTE_0 src1_sel:DWORD
	s_mov_b64 s[4:5], -1
                                        ; implicit-def: $sgpr10
	s_and_saveexec_b64 s[8:9], s[12:13]
; %bb.2702:
	s_mov_b32 s10, 0x7f800001
	s_xor_b64 s[4:5], exec, -1
; %bb.2703:
	s_or_b64 exec, exec, s[8:9]
	s_and_b64 s[4:5], s[4:5], exec
	s_or_saveexec_b64 s[6:7], s[6:7]
	v_mov_b32_e32 v12, s10
	s_xor_b64 exec, exec, s[6:7]
	s_cbranch_execz .LBB1_654
.LBB1_2704:
	v_mov_b32_e32 v12, 0
	v_cmp_ne_u16_sdwa s[8:9], v11, v12 src0_sel:BYTE_0 src1_sel:DWORD
	s_andn2_b64 s[4:5], s[4:5], exec
	s_and_b64 s[8:9], s[8:9], exec
	s_or_b64 s[4:5], s[4:5], s[8:9]
	s_or_b64 exec, exec, s[6:7]
	s_and_saveexec_b64 s[6:7], s[4:5]
	s_cbranch_execnz .LBB1_655
	s_branch .LBB1_656
.LBB1_2705:
	s_movk_i32 s4, 0x80
	v_cmp_eq_u16_e32 vcc, s4, v11
	s_mov_b64 s[4:5], -1
                                        ; implicit-def: $sgpr10
	s_and_saveexec_b64 s[8:9], vcc
; %bb.2706:
	s_mov_b32 s10, 0x7f800001
	s_xor_b64 s[4:5], exec, -1
; %bb.2707:
	s_or_b64 exec, exec, s[8:9]
	s_and_b64 s[4:5], s[4:5], exec
                                        ; implicit-def: $vgpr11
	s_or_saveexec_b64 s[6:7], s[6:7]
	v_mov_b32_e32 v10, s10
	s_xor_b64 exec, exec, s[6:7]
	s_cbranch_execz .LBB1_658
.LBB1_2708:
	v_cmp_ne_u16_e32 vcc, 0, v11
	s_andn2_b64 s[4:5], s[4:5], exec
	s_and_b64 s[8:9], vcc, exec
	v_mov_b32_e32 v10, 0
	s_or_b64 s[4:5], s[4:5], s[8:9]
	s_or_b64 exec, exec, s[6:7]
	s_and_saveexec_b64 s[6:7], s[4:5]
	s_cbranch_execnz .LBB1_659
	s_branch .LBB1_660
.LBB1_2709:
	s_movk_i32 s4, 0x80
	v_cmp_eq_u16_e32 vcc, s4, v11
	s_mov_b64 s[4:5], -1
                                        ; implicit-def: $sgpr10
	s_and_saveexec_b64 s[8:9], vcc
; %bb.2710:
	s_mov_b32 s10, 0x7f800001
	s_xor_b64 s[4:5], exec, -1
; %bb.2711:
	s_or_b64 exec, exec, s[8:9]
	s_and_b64 s[4:5], s[4:5], exec
                                        ; implicit-def: $vgpr11
	s_or_saveexec_b64 s[6:7], s[6:7]
	v_mov_b32_e32 v12, s10
	s_xor_b64 exec, exec, s[6:7]
	s_cbranch_execz .LBB1_662
.LBB1_2712:
	v_cmp_ne_u16_e32 vcc, 0, v11
	s_andn2_b64 s[4:5], s[4:5], exec
	s_and_b64 s[8:9], vcc, exec
	v_mov_b32_e32 v12, 0
	s_or_b64 s[4:5], s[4:5], s[8:9]
	s_or_b64 exec, exec, s[6:7]
	s_and_saveexec_b64 s[6:7], s[4:5]
	s_cbranch_execnz .LBB1_663
	s_branch .LBB1_664
.LBB1_2713:
	s_movk_i32 s4, 0x80
	v_cmp_eq_u16_sdwa s[12:13], v6, s4 src0_sel:BYTE_3 src1_sel:DWORD
	s_mov_b64 s[4:5], -1
                                        ; implicit-def: $sgpr10
	s_and_saveexec_b64 s[8:9], s[12:13]
; %bb.2714:
	s_mov_b32 s10, 0x7f800001
	s_xor_b64 s[4:5], exec, -1
; %bb.2715:
	s_or_b64 exec, exec, s[8:9]
	s_and_b64 s[4:5], s[4:5], exec
	s_or_saveexec_b64 s[6:7], s[6:7]
	v_mov_b32_e32 v10, s10
	s_xor_b64 exec, exec, s[6:7]
	s_cbranch_execz .LBB1_666
.LBB1_2716:
	v_mov_b32_e32 v10, 0
	v_cmp_ne_u16_sdwa s[8:9], v6, v10 src0_sel:BYTE_3 src1_sel:DWORD
	s_andn2_b64 s[4:5], s[4:5], exec
	s_and_b64 s[8:9], s[8:9], exec
	s_or_b64 s[4:5], s[4:5], s[8:9]
	s_or_b64 exec, exec, s[6:7]
	s_and_saveexec_b64 s[6:7], s[4:5]
	s_cbranch_execnz .LBB1_667
	s_branch .LBB1_668
.LBB1_2717:
	s_movk_i32 s4, 0x80
	v_cmp_eq_u16_sdwa s[12:13], v2, s4 src0_sel:BYTE_3 src1_sel:DWORD
	s_mov_b64 s[4:5], -1
                                        ; implicit-def: $sgpr10
	s_and_saveexec_b64 s[8:9], s[12:13]
; %bb.2718:
	s_mov_b32 s10, 0x7f800001
	s_xor_b64 s[4:5], exec, -1
; %bb.2719:
	s_or_b64 exec, exec, s[8:9]
	s_and_b64 s[4:5], s[4:5], exec
	s_or_saveexec_b64 s[6:7], s[6:7]
	v_mov_b32_e32 v6, s10
	s_xor_b64 exec, exec, s[6:7]
	s_cbranch_execz .LBB1_670
.LBB1_2720:
	v_mov_b32_e32 v6, 0
	v_cmp_ne_u16_sdwa s[8:9], v2, v6 src0_sel:BYTE_3 src1_sel:DWORD
	s_andn2_b64 s[4:5], s[4:5], exec
	s_and_b64 s[8:9], s[8:9], exec
	s_or_b64 s[4:5], s[4:5], s[8:9]
	s_or_b64 exec, exec, s[6:7]
	s_and_saveexec_b64 s[6:7], s[4:5]
	s_cbranch_execnz .LBB1_671
	s_branch .LBB1_672
.LBB1_2721:
	s_movk_i32 s4, 0x80
	v_cmp_eq_u16_sdwa s[12:13], v7, s4 src0_sel:BYTE_0 src1_sel:DWORD
	s_mov_b64 s[4:5], -1
                                        ; implicit-def: $sgpr10
	s_and_saveexec_b64 s[8:9], s[12:13]
; %bb.2722:
	s_mov_b32 s10, 0x7f800001
	s_xor_b64 s[4:5], exec, -1
; %bb.2723:
	s_or_b64 exec, exec, s[8:9]
	s_and_b64 s[4:5], s[4:5], exec
	s_or_saveexec_b64 s[6:7], s[6:7]
	v_mov_b32_e32 v2, s10
	s_xor_b64 exec, exec, s[6:7]
	s_cbranch_execz .LBB1_674
.LBB1_2724:
	v_mov_b32_e32 v2, 0
	v_cmp_ne_u16_sdwa s[8:9], v7, v2 src0_sel:BYTE_0 src1_sel:DWORD
	s_andn2_b64 s[4:5], s[4:5], exec
	s_and_b64 s[8:9], s[8:9], exec
	s_or_b64 s[4:5], s[4:5], s[8:9]
	s_or_b64 exec, exec, s[6:7]
	s_and_saveexec_b64 s[6:7], s[4:5]
	s_cbranch_execnz .LBB1_675
	s_branch .LBB1_676
.LBB1_2725:
	s_movk_i32 s4, 0x80
	v_cmp_eq_u16_sdwa s[12:13], v3, s4 src0_sel:BYTE_0 src1_sel:DWORD
	s_mov_b64 s[4:5], -1
                                        ; implicit-def: $sgpr10
	s_and_saveexec_b64 s[8:9], s[12:13]
; %bb.2726:
	s_mov_b32 s10, 0x7f800001
	s_xor_b64 s[4:5], exec, -1
; %bb.2727:
	s_or_b64 exec, exec, s[8:9]
	s_and_b64 s[4:5], s[4:5], exec
	s_or_saveexec_b64 s[6:7], s[6:7]
	v_mov_b32_e32 v6, s10
	s_xor_b64 exec, exec, s[6:7]
	s_cbranch_execz .LBB1_678
.LBB1_2728:
	v_mov_b32_e32 v6, 0
	v_cmp_ne_u16_sdwa s[8:9], v3, v6 src0_sel:BYTE_0 src1_sel:DWORD
	s_andn2_b64 s[4:5], s[4:5], exec
	s_and_b64 s[8:9], s[8:9], exec
	s_or_b64 s[4:5], s[4:5], s[8:9]
	s_or_b64 exec, exec, s[6:7]
	s_and_saveexec_b64 s[6:7], s[4:5]
	s_cbranch_execnz .LBB1_679
	s_branch .LBB1_680
.LBB1_2729:
	s_movk_i32 s4, 0x80
	v_cmp_eq_u16_sdwa s[12:13], v6, s4 src0_sel:BYTE_0 src1_sel:DWORD
	s_mov_b64 s[4:5], -1
                                        ; implicit-def: $sgpr10
	s_and_saveexec_b64 s[8:9], s[12:13]
; %bb.2730:
	s_mov_b32 s10, 0x7f800001
	s_xor_b64 s[4:5], exec, -1
; %bb.2731:
	s_or_b64 exec, exec, s[8:9]
	s_and_b64 s[4:5], s[4:5], exec
	s_or_saveexec_b64 s[6:7], s[6:7]
	v_mov_b32_e32 v2, s10
	s_xor_b64 exec, exec, s[6:7]
	s_cbranch_execz .LBB1_682
.LBB1_2732:
	v_mov_b32_e32 v2, 0
	v_cmp_ne_u16_sdwa s[8:9], v6, v2 src0_sel:BYTE_0 src1_sel:DWORD
	s_andn2_b64 s[4:5], s[4:5], exec
	s_and_b64 s[8:9], s[8:9], exec
	s_or_b64 s[4:5], s[4:5], s[8:9]
	s_or_b64 exec, exec, s[6:7]
	s_and_saveexec_b64 s[6:7], s[4:5]
	s_cbranch_execnz .LBB1_683
	s_branch .LBB1_684
.LBB1_2733:
	s_movk_i32 s4, 0x80
	v_cmp_eq_u16_sdwa s[12:13], v6, s4 src0_sel:BYTE_0 src1_sel:DWORD
	s_mov_b64 s[4:5], -1
                                        ; implicit-def: $sgpr10
	s_and_saveexec_b64 s[8:9], s[12:13]
; %bb.2734:
	s_mov_b32 s10, 0x7f800001
	s_xor_b64 s[4:5], exec, -1
; %bb.2735:
	s_or_b64 exec, exec, s[8:9]
	s_and_b64 s[4:5], s[4:5], exec
	s_or_saveexec_b64 s[6:7], s[6:7]
	v_mov_b32_e32 v10, s10
	s_xor_b64 exec, exec, s[6:7]
	s_cbranch_execz .LBB1_686
.LBB1_2736:
	v_mov_b32_e32 v10, 0
	v_cmp_ne_u16_sdwa s[8:9], v6, v10 src0_sel:BYTE_0 src1_sel:DWORD
	s_andn2_b64 s[4:5], s[4:5], exec
	s_and_b64 s[8:9], s[8:9], exec
	s_or_b64 s[4:5], s[4:5], s[8:9]
	s_or_b64 exec, exec, s[6:7]
	s_and_saveexec_b64 s[6:7], s[4:5]
	s_cbranch_execnz .LBB1_687
	s_branch .LBB1_688
.LBB1_2737:
	s_movk_i32 s4, 0x80
	v_cmp_eq_u16_e32 vcc, s4, v6
	s_mov_b64 s[4:5], -1
                                        ; implicit-def: $sgpr10
	s_and_saveexec_b64 s[8:9], vcc
; %bb.2738:
	s_mov_b32 s10, 0x7f800001
	s_xor_b64 s[4:5], exec, -1
; %bb.2739:
	s_or_b64 exec, exec, s[8:9]
	s_and_b64 s[4:5], s[4:5], exec
                                        ; implicit-def: $vgpr6
	s_or_saveexec_b64 s[6:7], s[6:7]
	v_mov_b32_e32 v2, s10
	s_xor_b64 exec, exec, s[6:7]
	s_cbranch_execz .LBB1_690
.LBB1_2740:
	v_cmp_ne_u16_e32 vcc, 0, v6
	s_andn2_b64 s[4:5], s[4:5], exec
	s_and_b64 s[8:9], vcc, exec
	v_mov_b32_e32 v2, 0
	s_or_b64 s[4:5], s[4:5], s[8:9]
	s_or_b64 exec, exec, s[6:7]
	s_and_saveexec_b64 s[6:7], s[4:5]
	s_cbranch_execnz .LBB1_691
	s_branch .LBB1_692
.LBB1_2741:
	s_movk_i32 s4, 0x80
	v_cmp_eq_u16_e32 vcc, s4, v6
	s_mov_b64 s[4:5], -1
                                        ; implicit-def: $sgpr10
	s_and_saveexec_b64 s[8:9], vcc
; %bb.2742:
	s_mov_b32 s10, 0x7f800001
	s_xor_b64 s[4:5], exec, -1
; %bb.2743:
	s_or_b64 exec, exec, s[8:9]
	s_and_b64 s[4:5], s[4:5], exec
                                        ; implicit-def: $vgpr6
	s_or_saveexec_b64 s[6:7], s[6:7]
	v_mov_b32_e32 v10, s10
	s_xor_b64 exec, exec, s[6:7]
	s_cbranch_execz .LBB1_694
.LBB1_2744:
	v_cmp_ne_u16_e32 vcc, 0, v6
	s_andn2_b64 s[4:5], s[4:5], exec
	s_and_b64 s[8:9], vcc, exec
	v_mov_b32_e32 v10, 0
	s_or_b64 s[4:5], s[4:5], s[8:9]
	s_or_b64 exec, exec, s[6:7]
	s_and_saveexec_b64 s[6:7], s[4:5]
	s_cbranch_execnz .LBB1_695
	s_branch .LBB1_696
.LBB1_2745:
	s_movk_i32 s4, 0x80
	v_cmp_eq_u16_sdwa s[12:13], v7, s4 src0_sel:BYTE_3 src1_sel:DWORD
	s_mov_b64 s[4:5], -1
                                        ; implicit-def: $sgpr10
	s_and_saveexec_b64 s[8:9], s[12:13]
; %bb.2746:
	s_mov_b32 s10, 0x7f800001
	s_xor_b64 s[4:5], exec, -1
; %bb.2747:
	s_or_b64 exec, exec, s[8:9]
	s_and_b64 s[4:5], s[4:5], exec
	s_or_saveexec_b64 s[6:7], s[6:7]
	v_mov_b32_e32 v2, s10
	s_xor_b64 exec, exec, s[6:7]
	s_cbranch_execz .LBB1_698
.LBB1_2748:
	v_mov_b32_e32 v2, 0
	v_cmp_ne_u16_sdwa s[8:9], v7, v2 src0_sel:BYTE_3 src1_sel:DWORD
	s_andn2_b64 s[4:5], s[4:5], exec
	s_and_b64 s[8:9], s[8:9], exec
	s_or_b64 s[4:5], s[4:5], s[8:9]
	s_or_b64 exec, exec, s[6:7]
	s_and_saveexec_b64 s[6:7], s[4:5]
	s_cbranch_execnz .LBB1_699
	s_branch .LBB1_700
.LBB1_2749:
	s_movk_i32 s4, 0x80
	v_cmp_eq_u16_sdwa s[12:13], v3, s4 src0_sel:BYTE_3 src1_sel:DWORD
	s_mov_b64 s[4:5], -1
                                        ; implicit-def: $sgpr10
	s_and_saveexec_b64 s[8:9], s[12:13]
; %bb.2750:
	s_mov_b32 s10, 0x7f800001
	s_xor_b64 s[4:5], exec, -1
; %bb.2751:
	s_or_b64 exec, exec, s[8:9]
	s_and_b64 s[4:5], s[4:5], exec
	s_or_saveexec_b64 s[6:7], s[6:7]
	v_mov_b32_e32 v6, s10
	s_xor_b64 exec, exec, s[6:7]
	s_cbranch_execz .LBB1_702
.LBB1_2752:
	v_mov_b32_e32 v6, 0
	v_cmp_ne_u16_sdwa s[8:9], v3, v6 src0_sel:BYTE_3 src1_sel:DWORD
	s_andn2_b64 s[4:5], s[4:5], exec
	s_and_b64 s[8:9], s[8:9], exec
	s_or_b64 s[4:5], s[4:5], s[8:9]
	s_or_b64 exec, exec, s[6:7]
	s_and_saveexec_b64 s[6:7], s[4:5]
	s_cbranch_execnz .LBB1_703
	s_branch .LBB1_704
.LBB1_2753:
	s_movk_i32 s4, 0x80
	v_cmp_eq_u16_sdwa s[12:13], v8, s4 src0_sel:BYTE_0 src1_sel:DWORD
	s_mov_b64 s[4:5], -1
                                        ; implicit-def: $sgpr10
	s_and_saveexec_b64 s[8:9], s[12:13]
; %bb.2754:
	s_mov_b32 s10, 0x7f800001
	s_xor_b64 s[4:5], exec, -1
; %bb.2755:
	s_or_b64 exec, exec, s[8:9]
	s_and_b64 s[4:5], s[4:5], exec
	s_or_saveexec_b64 s[6:7], s[6:7]
	v_mov_b32_e32 v2, s10
	s_xor_b64 exec, exec, s[6:7]
	s_cbranch_execz .LBB1_706
.LBB1_2756:
	v_mov_b32_e32 v2, 0
	v_cmp_ne_u16_sdwa s[8:9], v8, v2 src0_sel:BYTE_0 src1_sel:DWORD
	s_andn2_b64 s[4:5], s[4:5], exec
	s_and_b64 s[8:9], s[8:9], exec
	s_or_b64 s[4:5], s[4:5], s[8:9]
	s_or_b64 exec, exec, s[6:7]
	s_and_saveexec_b64 s[6:7], s[4:5]
	s_cbranch_execnz .LBB1_707
	s_branch .LBB1_708
.LBB1_2757:
	s_movk_i32 s4, 0x80
	v_cmp_eq_u16_sdwa s[12:13], v4, s4 src0_sel:BYTE_0 src1_sel:DWORD
	s_mov_b64 s[4:5], -1
                                        ; implicit-def: $sgpr10
	s_and_saveexec_b64 s[8:9], s[12:13]
; %bb.2758:
	s_mov_b32 s10, 0x7f800001
	s_xor_b64 s[4:5], exec, -1
; %bb.2759:
	s_or_b64 exec, exec, s[8:9]
	s_and_b64 s[4:5], s[4:5], exec
	s_or_saveexec_b64 s[6:7], s[6:7]
	v_mov_b32_e32 v3, s10
	s_xor_b64 exec, exec, s[6:7]
	s_cbranch_execz .LBB1_710
.LBB1_2760:
	v_mov_b32_e32 v3, 0
	v_cmp_ne_u16_sdwa s[8:9], v4, v3 src0_sel:BYTE_0 src1_sel:DWORD
	s_andn2_b64 s[4:5], s[4:5], exec
	s_and_b64 s[8:9], s[8:9], exec
	s_or_b64 s[4:5], s[4:5], s[8:9]
	s_or_b64 exec, exec, s[6:7]
	s_and_saveexec_b64 s[6:7], s[4:5]
	s_cbranch_execnz .LBB1_711
	s_branch .LBB1_712
.LBB1_2761:
	s_movk_i32 s4, 0x80
	v_cmp_eq_u16_sdwa s[12:13], v3, s4 src0_sel:BYTE_0 src1_sel:DWORD
	s_mov_b64 s[4:5], -1
                                        ; implicit-def: $sgpr10
	s_and_saveexec_b64 s[8:9], s[12:13]
; %bb.2762:
	s_mov_b32 s10, 0x7f800001
	s_xor_b64 s[4:5], exec, -1
; %bb.2763:
	s_or_b64 exec, exec, s[8:9]
	s_and_b64 s[4:5], s[4:5], exec
	s_or_saveexec_b64 s[6:7], s[6:7]
	v_mov_b32_e32 v2, s10
	s_xor_b64 exec, exec, s[6:7]
	s_cbranch_execz .LBB1_714
.LBB1_2764:
	v_mov_b32_e32 v2, 0
	v_cmp_ne_u16_sdwa s[8:9], v3, v2 src0_sel:BYTE_0 src1_sel:DWORD
	s_andn2_b64 s[4:5], s[4:5], exec
	s_and_b64 s[8:9], s[8:9], exec
	s_or_b64 s[4:5], s[4:5], s[8:9]
	s_or_b64 exec, exec, s[6:7]
	s_and_saveexec_b64 s[6:7], s[4:5]
	s_cbranch_execnz .LBB1_715
	s_branch .LBB1_716
.LBB1_2765:
	s_movk_i32 s4, 0x80
	v_cmp_eq_u16_sdwa s[12:13], v3, s4 src0_sel:BYTE_0 src1_sel:DWORD
	s_mov_b64 s[4:5], -1
                                        ; implicit-def: $sgpr10
	s_and_saveexec_b64 s[8:9], s[12:13]
; %bb.2766:
	s_mov_b32 s10, 0x7f800001
	s_xor_b64 s[4:5], exec, -1
; %bb.2767:
	s_or_b64 exec, exec, s[8:9]
	s_and_b64 s[4:5], s[4:5], exec
	s_or_saveexec_b64 s[6:7], s[6:7]
	v_mov_b32_e32 v6, s10
	s_xor_b64 exec, exec, s[6:7]
	s_cbranch_execz .LBB1_718
.LBB1_2768:
	v_mov_b32_e32 v6, 0
	v_cmp_ne_u16_sdwa s[8:9], v3, v6 src0_sel:BYTE_0 src1_sel:DWORD
	s_andn2_b64 s[4:5], s[4:5], exec
	s_and_b64 s[8:9], s[8:9], exec
	s_or_b64 s[4:5], s[4:5], s[8:9]
	s_or_b64 exec, exec, s[6:7]
	s_and_saveexec_b64 s[6:7], s[4:5]
	s_cbranch_execnz .LBB1_719
	s_branch .LBB1_720
.LBB1_2769:
	s_movk_i32 s4, 0x80
	v_cmp_eq_u16_e32 vcc, s4, v3
	s_mov_b64 s[4:5], -1
                                        ; implicit-def: $sgpr10
	s_and_saveexec_b64 s[8:9], vcc
; %bb.2770:
	s_mov_b32 s10, 0x7f800001
	s_xor_b64 s[4:5], exec, -1
; %bb.2771:
	s_or_b64 exec, exec, s[8:9]
	s_and_b64 s[4:5], s[4:5], exec
                                        ; implicit-def: $vgpr3
	s_or_saveexec_b64 s[6:7], s[6:7]
	v_mov_b32_e32 v2, s10
	s_xor_b64 exec, exec, s[6:7]
	s_cbranch_execz .LBB1_722
.LBB1_2772:
	v_cmp_ne_u16_e32 vcc, 0, v3
	s_andn2_b64 s[4:5], s[4:5], exec
	s_and_b64 s[8:9], vcc, exec
	v_mov_b32_e32 v2, 0
	s_or_b64 s[4:5], s[4:5], s[8:9]
	s_or_b64 exec, exec, s[6:7]
	s_and_saveexec_b64 s[6:7], s[4:5]
	s_cbranch_execnz .LBB1_723
	s_branch .LBB1_724
.LBB1_2773:
	s_movk_i32 s4, 0x80
	v_cmp_eq_u16_e32 vcc, s4, v3
	s_mov_b64 s[4:5], -1
                                        ; implicit-def: $sgpr10
	s_and_saveexec_b64 s[8:9], vcc
; %bb.2774:
	s_mov_b32 s10, 0x7f800001
	s_xor_b64 s[4:5], exec, -1
; %bb.2775:
	s_or_b64 exec, exec, s[8:9]
	s_and_b64 s[4:5], s[4:5], exec
                                        ; implicit-def: $vgpr3
	s_or_saveexec_b64 s[6:7], s[6:7]
	v_mov_b32_e32 v6, s10
	s_xor_b64 exec, exec, s[6:7]
	s_cbranch_execz .LBB1_726
.LBB1_2776:
	v_cmp_ne_u16_e32 vcc, 0, v3
	s_andn2_b64 s[4:5], s[4:5], exec
	s_and_b64 s[8:9], vcc, exec
	v_mov_b32_e32 v6, 0
	s_or_b64 s[4:5], s[4:5], s[8:9]
	s_or_b64 exec, exec, s[6:7]
	s_and_saveexec_b64 s[6:7], s[4:5]
	s_cbranch_execnz .LBB1_727
	s_branch .LBB1_728
.LBB1_2777:
	s_movk_i32 s4, 0x80
	v_cmp_eq_u16_sdwa s[12:13], v8, s4 src0_sel:BYTE_3 src1_sel:DWORD
	s_mov_b64 s[4:5], -1
                                        ; implicit-def: $sgpr10
	s_and_saveexec_b64 s[8:9], s[12:13]
; %bb.2778:
	s_mov_b32 s10, 0x7f800001
	s_xor_b64 s[4:5], exec, -1
; %bb.2779:
	s_or_b64 exec, exec, s[8:9]
	s_and_b64 s[4:5], s[4:5], exec
	s_or_saveexec_b64 s[6:7], s[6:7]
	v_mov_b32_e32 v2, s10
	s_xor_b64 exec, exec, s[6:7]
	s_cbranch_execz .LBB1_730
.LBB1_2780:
	v_mov_b32_e32 v2, 0
	v_cmp_ne_u16_sdwa s[8:9], v8, v2 src0_sel:BYTE_3 src1_sel:DWORD
	s_andn2_b64 s[4:5], s[4:5], exec
	s_and_b64 s[8:9], s[8:9], exec
	s_or_b64 s[4:5], s[4:5], s[8:9]
	s_or_b64 exec, exec, s[6:7]
	s_and_saveexec_b64 s[6:7], s[4:5]
	s_cbranch_execnz .LBB1_731
	s_branch .LBB1_732
.LBB1_2781:
	s_movk_i32 s4, 0x80
	v_cmp_eq_u16_sdwa s[12:13], v4, s4 src0_sel:BYTE_3 src1_sel:DWORD
	s_mov_b64 s[4:5], -1
                                        ; implicit-def: $sgpr10
	s_and_saveexec_b64 s[8:9], s[12:13]
; %bb.2782:
	s_mov_b32 s10, 0x7f800001
	s_xor_b64 s[4:5], exec, -1
; %bb.2783:
	s_or_b64 exec, exec, s[8:9]
	s_and_b64 s[4:5], s[4:5], exec
	s_or_saveexec_b64 s[6:7], s[6:7]
	v_mov_b32_e32 v3, s10
	s_xor_b64 exec, exec, s[6:7]
	s_cbranch_execz .LBB1_734
.LBB1_2784:
	v_mov_b32_e32 v3, 0
	v_cmp_ne_u16_sdwa s[8:9], v4, v3 src0_sel:BYTE_3 src1_sel:DWORD
	s_andn2_b64 s[4:5], s[4:5], exec
	s_and_b64 s[8:9], s[8:9], exec
	s_or_b64 s[4:5], s[4:5], s[8:9]
	s_or_b64 exec, exec, s[6:7]
	s_and_saveexec_b64 s[6:7], s[4:5]
	s_cbranch_execnz .LBB1_735
	s_branch .LBB1_736
.LBB1_2785:
	s_movk_i32 s4, 0x80
	v_cmp_eq_u16_sdwa s[12:13], v9, s4 src0_sel:BYTE_0 src1_sel:DWORD
	s_mov_b64 s[4:5], -1
                                        ; implicit-def: $sgpr10
	s_and_saveexec_b64 s[8:9], s[12:13]
; %bb.2786:
	s_mov_b32 s10, 0x7f800001
	s_xor_b64 s[4:5], exec, -1
; %bb.2787:
	s_or_b64 exec, exec, s[8:9]
	s_and_b64 s[4:5], s[4:5], exec
	s_or_saveexec_b64 s[6:7], s[6:7]
	v_mov_b32_e32 v2, s10
	s_xor_b64 exec, exec, s[6:7]
	s_cbranch_execz .LBB1_738
.LBB1_2788:
	v_mov_b32_e32 v2, 0
	v_cmp_ne_u16_sdwa s[8:9], v9, v2 src0_sel:BYTE_0 src1_sel:DWORD
	s_andn2_b64 s[4:5], s[4:5], exec
	s_and_b64 s[8:9], s[8:9], exec
	s_or_b64 s[4:5], s[4:5], s[8:9]
	s_or_b64 exec, exec, s[6:7]
	s_and_saveexec_b64 s[6:7], s[4:5]
	s_cbranch_execnz .LBB1_739
	s_branch .LBB1_740
.LBB1_2789:
	s_movk_i32 s4, 0x80
	v_cmp_eq_u16_sdwa s[12:13], v5, s4 src0_sel:BYTE_0 src1_sel:DWORD
	s_mov_b64 s[4:5], -1
                                        ; implicit-def: $sgpr10
	s_and_saveexec_b64 s[8:9], s[12:13]
; %bb.2790:
	s_mov_b32 s10, 0x7f800001
	s_xor_b64 s[4:5], exec, -1
; %bb.2791:
	s_or_b64 exec, exec, s[8:9]
	s_and_b64 s[4:5], s[4:5], exec
	s_or_saveexec_b64 s[6:7], s[6:7]
	v_mov_b32_e32 v3, s10
	s_xor_b64 exec, exec, s[6:7]
	s_cbranch_execz .LBB1_742
.LBB1_2792:
	v_mov_b32_e32 v3, 0
	v_cmp_ne_u16_sdwa s[8:9], v5, v3 src0_sel:BYTE_0 src1_sel:DWORD
	s_andn2_b64 s[4:5], s[4:5], exec
	s_and_b64 s[8:9], s[8:9], exec
	s_or_b64 s[4:5], s[4:5], s[8:9]
	s_or_b64 exec, exec, s[6:7]
	s_and_saveexec_b64 s[6:7], s[4:5]
	s_cbranch_execnz .LBB1_743
	s_branch .LBB1_744
.LBB1_2793:
	s_movk_i32 s4, 0x80
	v_cmp_eq_u16_sdwa s[12:13], v3, s4 src0_sel:BYTE_0 src1_sel:DWORD
	s_mov_b64 s[4:5], -1
                                        ; implicit-def: $sgpr10
	s_and_saveexec_b64 s[8:9], s[12:13]
; %bb.2794:
	s_mov_b32 s10, 0x7f800001
	s_xor_b64 s[4:5], exec, -1
; %bb.2795:
	s_or_b64 exec, exec, s[8:9]
	s_and_b64 s[4:5], s[4:5], exec
	s_or_saveexec_b64 s[6:7], s[6:7]
	v_mov_b32_e32 v2, s10
	s_xor_b64 exec, exec, s[6:7]
	s_cbranch_execz .LBB1_746
.LBB1_2796:
	v_mov_b32_e32 v2, 0
	v_cmp_ne_u16_sdwa s[8:9], v3, v2 src0_sel:BYTE_0 src1_sel:DWORD
	s_andn2_b64 s[4:5], s[4:5], exec
	s_and_b64 s[8:9], s[8:9], exec
	s_or_b64 s[4:5], s[4:5], s[8:9]
	s_or_b64 exec, exec, s[6:7]
	s_and_saveexec_b64 s[6:7], s[4:5]
	s_cbranch_execnz .LBB1_747
	s_branch .LBB1_748
.LBB1_2797:
	s_movk_i32 s4, 0x80
	v_cmp_eq_u16_sdwa s[12:13], v3, s4 src0_sel:BYTE_0 src1_sel:DWORD
	s_mov_b64 s[4:5], -1
                                        ; implicit-def: $sgpr10
	s_and_saveexec_b64 s[8:9], s[12:13]
; %bb.2798:
	s_mov_b32 s10, 0x7f800001
	s_xor_b64 s[4:5], exec, -1
; %bb.2799:
	s_or_b64 exec, exec, s[8:9]
	s_and_b64 s[4:5], s[4:5], exec
	s_or_saveexec_b64 s[6:7], s[6:7]
	v_mov_b32_e32 v4, s10
	s_xor_b64 exec, exec, s[6:7]
	s_cbranch_execz .LBB1_750
.LBB1_2800:
	v_mov_b32_e32 v4, 0
	v_cmp_ne_u16_sdwa s[8:9], v3, v4 src0_sel:BYTE_0 src1_sel:DWORD
	s_andn2_b64 s[4:5], s[4:5], exec
	s_and_b64 s[8:9], s[8:9], exec
	s_or_b64 s[4:5], s[4:5], s[8:9]
	s_or_b64 exec, exec, s[6:7]
	s_and_saveexec_b64 s[6:7], s[4:5]
	s_cbranch_execnz .LBB1_751
	s_branch .LBB1_752
.LBB1_2801:
	s_movk_i32 s4, 0x80
	v_cmp_eq_u16_e32 vcc, s4, v3
	s_mov_b64 s[4:5], -1
                                        ; implicit-def: $sgpr10
	s_and_saveexec_b64 s[8:9], vcc
; %bb.2802:
	s_mov_b32 s10, 0x7f800001
	s_xor_b64 s[4:5], exec, -1
; %bb.2803:
	s_or_b64 exec, exec, s[8:9]
	s_and_b64 s[4:5], s[4:5], exec
                                        ; implicit-def: $vgpr3
	s_or_saveexec_b64 s[6:7], s[6:7]
	v_mov_b32_e32 v2, s10
	s_xor_b64 exec, exec, s[6:7]
	s_cbranch_execz .LBB1_754
.LBB1_2804:
	v_cmp_ne_u16_e32 vcc, 0, v3
	s_andn2_b64 s[4:5], s[4:5], exec
	s_and_b64 s[8:9], vcc, exec
	v_mov_b32_e32 v2, 0
	s_or_b64 s[4:5], s[4:5], s[8:9]
	s_or_b64 exec, exec, s[6:7]
	s_and_saveexec_b64 s[6:7], s[4:5]
	s_cbranch_execnz .LBB1_755
	s_branch .LBB1_756
.LBB1_2805:
	s_movk_i32 s4, 0x80
	v_cmp_eq_u16_e32 vcc, s4, v3
	s_mov_b64 s[4:5], -1
                                        ; implicit-def: $sgpr10
	s_and_saveexec_b64 s[8:9], vcc
; %bb.2806:
	s_mov_b32 s10, 0x7f800001
	s_xor_b64 s[4:5], exec, -1
; %bb.2807:
	s_or_b64 exec, exec, s[8:9]
	s_and_b64 s[4:5], s[4:5], exec
                                        ; implicit-def: $vgpr3
	s_or_saveexec_b64 s[6:7], s[6:7]
	v_mov_b32_e32 v4, s10
	s_xor_b64 exec, exec, s[6:7]
	s_cbranch_execz .LBB1_758
.LBB1_2808:
	v_cmp_ne_u16_e32 vcc, 0, v3
	s_andn2_b64 s[4:5], s[4:5], exec
	s_and_b64 s[8:9], vcc, exec
	v_mov_b32_e32 v4, 0
	s_or_b64 s[4:5], s[4:5], s[8:9]
	s_or_b64 exec, exec, s[6:7]
	s_and_saveexec_b64 s[6:7], s[4:5]
	s_cbranch_execnz .LBB1_759
	s_branch .LBB1_760
.LBB1_2809:
	s_movk_i32 s4, 0x80
	v_cmp_eq_u16_sdwa s[12:13], v9, s4 src0_sel:BYTE_3 src1_sel:DWORD
	s_mov_b64 s[4:5], -1
                                        ; implicit-def: $sgpr10
	s_and_saveexec_b64 s[8:9], s[12:13]
; %bb.2810:
	s_mov_b32 s10, 0x7f800001
	s_xor_b64 s[4:5], exec, -1
; %bb.2811:
	s_or_b64 exec, exec, s[8:9]
	s_and_b64 s[4:5], s[4:5], exec
	s_or_saveexec_b64 s[6:7], s[6:7]
	v_mov_b32_e32 v2, s10
	s_xor_b64 exec, exec, s[6:7]
	s_cbranch_execz .LBB1_762
.LBB1_2812:
	v_mov_b32_e32 v2, 0
	v_cmp_ne_u16_sdwa s[8:9], v9, v2 src0_sel:BYTE_3 src1_sel:DWORD
	s_andn2_b64 s[4:5], s[4:5], exec
	s_and_b64 s[8:9], s[8:9], exec
	s_or_b64 s[4:5], s[4:5], s[8:9]
	s_or_b64 exec, exec, s[6:7]
	s_and_saveexec_b64 s[6:7], s[4:5]
	s_cbranch_execnz .LBB1_763
	s_branch .LBB1_764
.LBB1_2813:
	s_movk_i32 s4, 0x80
	v_cmp_eq_u16_sdwa s[12:13], v5, s4 src0_sel:BYTE_3 src1_sel:DWORD
	s_mov_b64 s[4:5], -1
                                        ; implicit-def: $sgpr10
	s_and_saveexec_b64 s[8:9], s[12:13]
; %bb.2814:
	s_mov_b32 s10, 0x7f800001
	s_xor_b64 s[4:5], exec, -1
; %bb.2815:
	s_or_b64 exec, exec, s[8:9]
	s_and_b64 s[4:5], s[4:5], exec
	s_or_saveexec_b64 s[6:7], s[6:7]
	v_mov_b32_e32 v3, s10
	s_xor_b64 exec, exec, s[6:7]
	s_cbranch_execz .LBB1_766
.LBB1_2816:
	v_mov_b32_e32 v3, 0
	v_cmp_ne_u16_sdwa s[8:9], v5, v3 src0_sel:BYTE_3 src1_sel:DWORD
	s_andn2_b64 s[4:5], s[4:5], exec
	s_and_b64 s[8:9], s[8:9], exec
	s_or_b64 s[4:5], s[4:5], s[8:9]
	s_or_b64 exec, exec, s[6:7]
	s_and_saveexec_b64 s[6:7], s[4:5]
	s_cbranch_execnz .LBB1_767
	s_branch .LBB1_768
.LBB1_2817:
	s_movk_i32 s4, 0x80
	v_cmp_eq_u16_sdwa s[12:13], v14, s4 src0_sel:BYTE_0 src1_sel:DWORD
	s_mov_b64 s[4:5], -1
                                        ; implicit-def: $sgpr10
	s_and_saveexec_b64 s[8:9], s[12:13]
; %bb.2818:
	s_mov_b32 s10, 0x7f800001
	s_xor_b64 s[4:5], exec, -1
; %bb.2819:
	s_or_b64 exec, exec, s[8:9]
	s_and_b64 s[4:5], s[4:5], exec
	s_or_saveexec_b64 s[6:7], s[6:7]
	v_mov_b32_e32 v20, s10
	s_xor_b64 exec, exec, s[6:7]
	s_cbranch_execz .LBB1_770
.LBB1_2820:
	v_mov_b32_e32 v20, 0
	v_cmp_ne_u16_sdwa s[8:9], v14, v20 src0_sel:BYTE_0 src1_sel:DWORD
	s_andn2_b64 s[4:5], s[4:5], exec
	s_and_b64 s[8:9], s[8:9], exec
	s_or_b64 s[4:5], s[4:5], s[8:9]
	s_or_b64 exec, exec, s[6:7]
	s_and_saveexec_b64 s[6:7], s[4:5]
	s_cbranch_execnz .LBB1_771
	s_branch .LBB1_772
.LBB1_2821:
	s_movk_i32 s4, 0x80
	v_cmp_eq_u16_sdwa s[12:13], v10, s4 src0_sel:BYTE_0 src1_sel:DWORD
	s_mov_b64 s[4:5], -1
                                        ; implicit-def: $sgpr10
	s_and_saveexec_b64 s[8:9], s[12:13]
; %bb.2822:
	s_mov_b32 s10, 0x7f800001
	s_xor_b64 s[4:5], exec, -1
; %bb.2823:
	s_or_b64 exec, exec, s[8:9]
	s_and_b64 s[4:5], s[4:5], exec
	s_or_saveexec_b64 s[6:7], s[6:7]
	v_mov_b32_e32 v21, s10
	s_xor_b64 exec, exec, s[6:7]
	s_cbranch_execz .LBB1_774
.LBB1_2824:
	v_mov_b32_e32 v21, 0
	v_cmp_ne_u16_sdwa s[8:9], v10, v21 src0_sel:BYTE_0 src1_sel:DWORD
	s_andn2_b64 s[4:5], s[4:5], exec
	s_and_b64 s[8:9], s[8:9], exec
	s_or_b64 s[4:5], s[4:5], s[8:9]
	s_or_b64 exec, exec, s[6:7]
	s_and_saveexec_b64 s[6:7], s[4:5]
	s_cbranch_execnz .LBB1_775
	s_branch .LBB1_776
.LBB1_2825:
	s_movk_i32 s4, 0x80
	v_cmp_eq_u16_sdwa s[12:13], v21, s4 src0_sel:BYTE_0 src1_sel:DWORD
	s_mov_b64 s[4:5], -1
                                        ; implicit-def: $sgpr10
	s_and_saveexec_b64 s[8:9], s[12:13]
; %bb.2826:
	s_mov_b32 s10, 0x7f800001
	s_xor_b64 s[4:5], exec, -1
; %bb.2827:
	s_or_b64 exec, exec, s[8:9]
	s_and_b64 s[4:5], s[4:5], exec
	s_or_saveexec_b64 s[6:7], s[6:7]
	v_mov_b32_e32 v20, s10
	s_xor_b64 exec, exec, s[6:7]
	s_cbranch_execz .LBB1_778
.LBB1_2828:
	v_mov_b32_e32 v20, 0
	v_cmp_ne_u16_sdwa s[8:9], v21, v20 src0_sel:BYTE_0 src1_sel:DWORD
	s_andn2_b64 s[4:5], s[4:5], exec
	s_and_b64 s[8:9], s[8:9], exec
	s_or_b64 s[4:5], s[4:5], s[8:9]
	s_or_b64 exec, exec, s[6:7]
	s_and_saveexec_b64 s[6:7], s[4:5]
	s_cbranch_execnz .LBB1_779
	s_branch .LBB1_780
.LBB1_2829:
	s_movk_i32 s4, 0x80
	v_cmp_eq_u16_sdwa s[12:13], v21, s4 src0_sel:BYTE_0 src1_sel:DWORD
	s_mov_b64 s[4:5], -1
                                        ; implicit-def: $sgpr10
	s_and_saveexec_b64 s[8:9], s[12:13]
; %bb.2830:
	s_mov_b32 s10, 0x7f800001
	s_xor_b64 s[4:5], exec, -1
; %bb.2831:
	s_or_b64 exec, exec, s[8:9]
	s_and_b64 s[4:5], s[4:5], exec
	s_or_saveexec_b64 s[6:7], s[6:7]
	v_mov_b32_e32 v22, s10
	s_xor_b64 exec, exec, s[6:7]
	s_cbranch_execz .LBB1_782
.LBB1_2832:
	v_mov_b32_e32 v22, 0
	v_cmp_ne_u16_sdwa s[8:9], v21, v22 src0_sel:BYTE_0 src1_sel:DWORD
	s_andn2_b64 s[4:5], s[4:5], exec
	s_and_b64 s[8:9], s[8:9], exec
	s_or_b64 s[4:5], s[4:5], s[8:9]
	s_or_b64 exec, exec, s[6:7]
	s_and_saveexec_b64 s[6:7], s[4:5]
	s_cbranch_execnz .LBB1_783
	s_branch .LBB1_784
.LBB1_2833:
	s_movk_i32 s4, 0x80
	v_cmp_eq_u16_e32 vcc, s4, v21
	s_mov_b64 s[4:5], -1
                                        ; implicit-def: $sgpr10
	s_and_saveexec_b64 s[8:9], vcc
; %bb.2834:
	s_mov_b32 s10, 0x7f800001
	s_xor_b64 s[4:5], exec, -1
; %bb.2835:
	s_or_b64 exec, exec, s[8:9]
	s_and_b64 s[4:5], s[4:5], exec
                                        ; implicit-def: $vgpr21
	s_or_saveexec_b64 s[6:7], s[6:7]
	v_mov_b32_e32 v20, s10
	s_xor_b64 exec, exec, s[6:7]
	s_cbranch_execz .LBB1_786
.LBB1_2836:
	v_cmp_ne_u16_e32 vcc, 0, v21
	s_andn2_b64 s[4:5], s[4:5], exec
	s_and_b64 s[8:9], vcc, exec
	v_mov_b32_e32 v20, 0
	s_or_b64 s[4:5], s[4:5], s[8:9]
	s_or_b64 exec, exec, s[6:7]
	s_and_saveexec_b64 s[6:7], s[4:5]
	s_cbranch_execnz .LBB1_787
	s_branch .LBB1_788
.LBB1_2837:
	s_movk_i32 s4, 0x80
	v_cmp_eq_u16_e32 vcc, s4, v21
	s_mov_b64 s[4:5], -1
                                        ; implicit-def: $sgpr10
	s_and_saveexec_b64 s[8:9], vcc
; %bb.2838:
	s_mov_b32 s10, 0x7f800001
	s_xor_b64 s[4:5], exec, -1
; %bb.2839:
	s_or_b64 exec, exec, s[8:9]
	s_and_b64 s[4:5], s[4:5], exec
                                        ; implicit-def: $vgpr21
	s_or_saveexec_b64 s[6:7], s[6:7]
	v_mov_b32_e32 v22, s10
	s_xor_b64 exec, exec, s[6:7]
	s_cbranch_execz .LBB1_790
.LBB1_2840:
	v_cmp_ne_u16_e32 vcc, 0, v21
	s_andn2_b64 s[4:5], s[4:5], exec
	s_and_b64 s[8:9], vcc, exec
	v_mov_b32_e32 v22, 0
	s_or_b64 s[4:5], s[4:5], s[8:9]
	s_or_b64 exec, exec, s[6:7]
	s_and_saveexec_b64 s[6:7], s[4:5]
	s_cbranch_execnz .LBB1_791
	s_branch .LBB1_792
.LBB1_2841:
	s_movk_i32 s4, 0x80
	v_cmp_eq_u16_sdwa s[12:13], v14, s4 src0_sel:BYTE_3 src1_sel:DWORD
	s_mov_b64 s[4:5], -1
                                        ; implicit-def: $sgpr10
	s_and_saveexec_b64 s[8:9], s[12:13]
; %bb.2842:
	s_mov_b32 s10, 0x7f800001
	s_xor_b64 s[4:5], exec, -1
; %bb.2843:
	s_or_b64 exec, exec, s[8:9]
	s_and_b64 s[4:5], s[4:5], exec
	s_or_saveexec_b64 s[6:7], s[6:7]
	v_mov_b32_e32 v20, s10
	s_xor_b64 exec, exec, s[6:7]
	s_cbranch_execz .LBB1_794
.LBB1_2844:
	v_mov_b32_e32 v20, 0
	v_cmp_ne_u16_sdwa s[8:9], v14, v20 src0_sel:BYTE_3 src1_sel:DWORD
	s_andn2_b64 s[4:5], s[4:5], exec
	s_and_b64 s[8:9], s[8:9], exec
	s_or_b64 s[4:5], s[4:5], s[8:9]
	s_or_b64 exec, exec, s[6:7]
	s_and_saveexec_b64 s[6:7], s[4:5]
	s_cbranch_execnz .LBB1_795
	s_branch .LBB1_796
.LBB1_2845:
	s_movk_i32 s4, 0x80
	v_cmp_eq_u16_sdwa s[12:13], v10, s4 src0_sel:BYTE_3 src1_sel:DWORD
	s_mov_b64 s[4:5], -1
                                        ; implicit-def: $sgpr10
	s_and_saveexec_b64 s[8:9], s[12:13]
; %bb.2846:
	s_mov_b32 s10, 0x7f800001
	s_xor_b64 s[4:5], exec, -1
; %bb.2847:
	s_or_b64 exec, exec, s[8:9]
	s_and_b64 s[4:5], s[4:5], exec
	s_or_saveexec_b64 s[6:7], s[6:7]
	v_mov_b32_e32 v14, s10
	s_xor_b64 exec, exec, s[6:7]
	s_cbranch_execz .LBB1_798
.LBB1_2848:
	v_mov_b32_e32 v14, 0
	v_cmp_ne_u16_sdwa s[8:9], v10, v14 src0_sel:BYTE_3 src1_sel:DWORD
	s_andn2_b64 s[4:5], s[4:5], exec
	s_and_b64 s[8:9], s[8:9], exec
	s_or_b64 s[4:5], s[4:5], s[8:9]
	s_or_b64 exec, exec, s[6:7]
	s_and_saveexec_b64 s[6:7], s[4:5]
	s_cbranch_execnz .LBB1_799
	s_branch .LBB1_800
.LBB1_2849:
	s_movk_i32 s4, 0x80
	v_cmp_eq_u16_sdwa s[12:13], v15, s4 src0_sel:BYTE_0 src1_sel:DWORD
	s_mov_b64 s[4:5], -1
                                        ; implicit-def: $sgpr10
	s_and_saveexec_b64 s[8:9], s[12:13]
; %bb.2850:
	s_mov_b32 s10, 0x7f800001
	s_xor_b64 s[4:5], exec, -1
; %bb.2851:
	s_or_b64 exec, exec, s[8:9]
	s_and_b64 s[4:5], s[4:5], exec
	s_or_saveexec_b64 s[6:7], s[6:7]
	v_mov_b32_e32 v10, s10
	s_xor_b64 exec, exec, s[6:7]
	s_cbranch_execz .LBB1_802
.LBB1_2852:
	v_mov_b32_e32 v10, 0
	v_cmp_ne_u16_sdwa s[8:9], v15, v10 src0_sel:BYTE_0 src1_sel:DWORD
	s_andn2_b64 s[4:5], s[4:5], exec
	s_and_b64 s[8:9], s[8:9], exec
	s_or_b64 s[4:5], s[4:5], s[8:9]
	s_or_b64 exec, exec, s[6:7]
	s_and_saveexec_b64 s[6:7], s[4:5]
	s_cbranch_execnz .LBB1_803
	s_branch .LBB1_804
.LBB1_2853:
	s_movk_i32 s4, 0x80
	v_cmp_eq_u16_sdwa s[12:13], v11, s4 src0_sel:BYTE_0 src1_sel:DWORD
	s_mov_b64 s[4:5], -1
                                        ; implicit-def: $sgpr10
	s_and_saveexec_b64 s[8:9], s[12:13]
; %bb.2854:
	s_mov_b32 s10, 0x7f800001
	s_xor_b64 s[4:5], exec, -1
; %bb.2855:
	s_or_b64 exec, exec, s[8:9]
	s_and_b64 s[4:5], s[4:5], exec
	s_or_saveexec_b64 s[6:7], s[6:7]
	v_mov_b32_e32 v14, s10
	s_xor_b64 exec, exec, s[6:7]
	s_cbranch_execz .LBB1_806
.LBB1_2856:
	v_mov_b32_e32 v14, 0
	v_cmp_ne_u16_sdwa s[8:9], v11, v14 src0_sel:BYTE_0 src1_sel:DWORD
	s_andn2_b64 s[4:5], s[4:5], exec
	s_and_b64 s[8:9], s[8:9], exec
	s_or_b64 s[4:5], s[4:5], s[8:9]
	s_or_b64 exec, exec, s[6:7]
	s_and_saveexec_b64 s[6:7], s[4:5]
	s_cbranch_execnz .LBB1_807
	s_branch .LBB1_808
.LBB1_2857:
	s_movk_i32 s4, 0x80
	v_cmp_eq_u16_sdwa s[12:13], v14, s4 src0_sel:BYTE_0 src1_sel:DWORD
	s_mov_b64 s[4:5], -1
                                        ; implicit-def: $sgpr10
	s_and_saveexec_b64 s[8:9], s[12:13]
; %bb.2858:
	s_mov_b32 s10, 0x7f800001
	s_xor_b64 s[4:5], exec, -1
; %bb.2859:
	s_or_b64 exec, exec, s[8:9]
	s_and_b64 s[4:5], s[4:5], exec
	s_or_saveexec_b64 s[6:7], s[6:7]
	v_mov_b32_e32 v10, s10
	s_xor_b64 exec, exec, s[6:7]
	s_cbranch_execz .LBB1_810
.LBB1_2860:
	v_mov_b32_e32 v10, 0
	v_cmp_ne_u16_sdwa s[8:9], v14, v10 src0_sel:BYTE_0 src1_sel:DWORD
	s_andn2_b64 s[4:5], s[4:5], exec
	s_and_b64 s[8:9], s[8:9], exec
	s_or_b64 s[4:5], s[4:5], s[8:9]
	s_or_b64 exec, exec, s[6:7]
	s_and_saveexec_b64 s[6:7], s[4:5]
	s_cbranch_execnz .LBB1_811
	s_branch .LBB1_812
.LBB1_2861:
	s_movk_i32 s4, 0x80
	v_cmp_eq_u16_sdwa s[12:13], v14, s4 src0_sel:BYTE_0 src1_sel:DWORD
	s_mov_b64 s[4:5], -1
                                        ; implicit-def: $sgpr10
	s_and_saveexec_b64 s[8:9], s[12:13]
; %bb.2862:
	s_mov_b32 s10, 0x7f800001
	s_xor_b64 s[4:5], exec, -1
; %bb.2863:
	s_or_b64 exec, exec, s[8:9]
	s_and_b64 s[4:5], s[4:5], exec
	s_or_saveexec_b64 s[6:7], s[6:7]
	v_mov_b32_e32 v20, s10
	s_xor_b64 exec, exec, s[6:7]
	s_cbranch_execz .LBB1_814
.LBB1_2864:
	v_mov_b32_e32 v20, 0
	v_cmp_ne_u16_sdwa s[8:9], v14, v20 src0_sel:BYTE_0 src1_sel:DWORD
	s_andn2_b64 s[4:5], s[4:5], exec
	s_and_b64 s[8:9], s[8:9], exec
	s_or_b64 s[4:5], s[4:5], s[8:9]
	s_or_b64 exec, exec, s[6:7]
	s_and_saveexec_b64 s[6:7], s[4:5]
	s_cbranch_execnz .LBB1_815
	s_branch .LBB1_816
.LBB1_2865:
	s_movk_i32 s4, 0x80
	v_cmp_eq_u16_e32 vcc, s4, v14
	s_mov_b64 s[4:5], -1
                                        ; implicit-def: $sgpr10
	s_and_saveexec_b64 s[8:9], vcc
; %bb.2866:
	s_mov_b32 s10, 0x7f800001
	s_xor_b64 s[4:5], exec, -1
; %bb.2867:
	s_or_b64 exec, exec, s[8:9]
	s_and_b64 s[4:5], s[4:5], exec
                                        ; implicit-def: $vgpr14
	s_or_saveexec_b64 s[6:7], s[6:7]
	v_mov_b32_e32 v10, s10
	s_xor_b64 exec, exec, s[6:7]
	s_cbranch_execz .LBB1_818
.LBB1_2868:
	v_cmp_ne_u16_e32 vcc, 0, v14
	s_andn2_b64 s[4:5], s[4:5], exec
	s_and_b64 s[8:9], vcc, exec
	v_mov_b32_e32 v10, 0
	s_or_b64 s[4:5], s[4:5], s[8:9]
	s_or_b64 exec, exec, s[6:7]
	s_and_saveexec_b64 s[6:7], s[4:5]
	s_cbranch_execnz .LBB1_819
	s_branch .LBB1_820
.LBB1_2869:
	s_movk_i32 s4, 0x80
	v_cmp_eq_u16_e32 vcc, s4, v14
	s_mov_b64 s[4:5], -1
                                        ; implicit-def: $sgpr10
	s_and_saveexec_b64 s[8:9], vcc
; %bb.2870:
	s_mov_b32 s10, 0x7f800001
	s_xor_b64 s[4:5], exec, -1
; %bb.2871:
	s_or_b64 exec, exec, s[8:9]
	s_and_b64 s[4:5], s[4:5], exec
                                        ; implicit-def: $vgpr14
	s_or_saveexec_b64 s[6:7], s[6:7]
	v_mov_b32_e32 v20, s10
	s_xor_b64 exec, exec, s[6:7]
	s_cbranch_execz .LBB1_822
.LBB1_2872:
	v_cmp_ne_u16_e32 vcc, 0, v14
	s_andn2_b64 s[4:5], s[4:5], exec
	s_and_b64 s[8:9], vcc, exec
	v_mov_b32_e32 v20, 0
	s_or_b64 s[4:5], s[4:5], s[8:9]
	s_or_b64 exec, exec, s[6:7]
	s_and_saveexec_b64 s[6:7], s[4:5]
	s_cbranch_execnz .LBB1_823
	s_branch .LBB1_824
.LBB1_2873:
	s_movk_i32 s4, 0x80
	v_cmp_eq_u16_sdwa s[12:13], v15, s4 src0_sel:BYTE_3 src1_sel:DWORD
	s_mov_b64 s[4:5], -1
                                        ; implicit-def: $sgpr10
	s_and_saveexec_b64 s[8:9], s[12:13]
; %bb.2874:
	s_mov_b32 s10, 0x7f800001
	s_xor_b64 s[4:5], exec, -1
; %bb.2875:
	s_or_b64 exec, exec, s[8:9]
	s_and_b64 s[4:5], s[4:5], exec
	s_or_saveexec_b64 s[6:7], s[6:7]
	v_mov_b32_e32 v10, s10
	s_xor_b64 exec, exec, s[6:7]
	s_cbranch_execz .LBB1_826
.LBB1_2876:
	v_mov_b32_e32 v10, 0
	v_cmp_ne_u16_sdwa s[8:9], v15, v10 src0_sel:BYTE_3 src1_sel:DWORD
	s_andn2_b64 s[4:5], s[4:5], exec
	s_and_b64 s[8:9], s[8:9], exec
	s_or_b64 s[4:5], s[4:5], s[8:9]
	s_or_b64 exec, exec, s[6:7]
	s_and_saveexec_b64 s[6:7], s[4:5]
	s_cbranch_execnz .LBB1_827
	s_branch .LBB1_828
.LBB1_2877:
	s_movk_i32 s4, 0x80
	v_cmp_eq_u16_sdwa s[12:13], v11, s4 src0_sel:BYTE_3 src1_sel:DWORD
	s_mov_b64 s[4:5], -1
                                        ; implicit-def: $sgpr10
	s_and_saveexec_b64 s[8:9], s[12:13]
; %bb.2878:
	s_mov_b32 s10, 0x7f800001
	s_xor_b64 s[4:5], exec, -1
; %bb.2879:
	s_or_b64 exec, exec, s[8:9]
	s_and_b64 s[4:5], s[4:5], exec
	s_or_saveexec_b64 s[6:7], s[6:7]
	v_mov_b32_e32 v14, s10
	s_xor_b64 exec, exec, s[6:7]
	s_cbranch_execz .LBB1_830
.LBB1_2880:
	v_mov_b32_e32 v14, 0
	v_cmp_ne_u16_sdwa s[8:9], v11, v14 src0_sel:BYTE_3 src1_sel:DWORD
	s_andn2_b64 s[4:5], s[4:5], exec
	s_and_b64 s[8:9], s[8:9], exec
	s_or_b64 s[4:5], s[4:5], s[8:9]
	s_or_b64 exec, exec, s[6:7]
	s_and_saveexec_b64 s[6:7], s[4:5]
	s_cbranch_execnz .LBB1_831
	s_branch .LBB1_832
.LBB1_2881:
	s_movk_i32 s4, 0x80
	v_cmp_eq_u16_sdwa s[12:13], v16, s4 src0_sel:BYTE_0 src1_sel:DWORD
	s_mov_b64 s[4:5], -1
                                        ; implicit-def: $sgpr10
	s_and_saveexec_b64 s[8:9], s[12:13]
; %bb.2882:
	s_mov_b32 s10, 0x7f800001
	s_xor_b64 s[4:5], exec, -1
; %bb.2883:
	s_or_b64 exec, exec, s[8:9]
	s_and_b64 s[4:5], s[4:5], exec
	s_or_saveexec_b64 s[6:7], s[6:7]
	v_mov_b32_e32 v10, s10
	s_xor_b64 exec, exec, s[6:7]
	s_cbranch_execz .LBB1_834
.LBB1_2884:
	v_mov_b32_e32 v10, 0
	v_cmp_ne_u16_sdwa s[8:9], v16, v10 src0_sel:BYTE_0 src1_sel:DWORD
	s_andn2_b64 s[4:5], s[4:5], exec
	s_and_b64 s[8:9], s[8:9], exec
	s_or_b64 s[4:5], s[4:5], s[8:9]
	s_or_b64 exec, exec, s[6:7]
	s_and_saveexec_b64 s[6:7], s[4:5]
	s_cbranch_execnz .LBB1_835
	s_branch .LBB1_836
.LBB1_2885:
	s_movk_i32 s4, 0x80
	v_cmp_eq_u16_sdwa s[12:13], v12, s4 src0_sel:BYTE_0 src1_sel:DWORD
	s_mov_b64 s[4:5], -1
                                        ; implicit-def: $sgpr10
	s_and_saveexec_b64 s[8:9], s[12:13]
; %bb.2886:
	s_mov_b32 s10, 0x7f800001
	s_xor_b64 s[4:5], exec, -1
; %bb.2887:
	s_or_b64 exec, exec, s[8:9]
	s_and_b64 s[4:5], s[4:5], exec
	s_or_saveexec_b64 s[6:7], s[6:7]
	v_mov_b32_e32 v11, s10
	s_xor_b64 exec, exec, s[6:7]
	s_cbranch_execz .LBB1_838
.LBB1_2888:
	v_mov_b32_e32 v11, 0
	v_cmp_ne_u16_sdwa s[8:9], v12, v11 src0_sel:BYTE_0 src1_sel:DWORD
	s_andn2_b64 s[4:5], s[4:5], exec
	s_and_b64 s[8:9], s[8:9], exec
	s_or_b64 s[4:5], s[4:5], s[8:9]
	s_or_b64 exec, exec, s[6:7]
	s_and_saveexec_b64 s[6:7], s[4:5]
	s_cbranch_execnz .LBB1_839
	s_branch .LBB1_840
.LBB1_2889:
	s_movk_i32 s4, 0x80
	v_cmp_eq_u16_sdwa s[12:13], v11, s4 src0_sel:BYTE_0 src1_sel:DWORD
	s_mov_b64 s[4:5], -1
                                        ; implicit-def: $sgpr10
	s_and_saveexec_b64 s[8:9], s[12:13]
; %bb.2890:
	s_mov_b32 s10, 0x7f800001
	s_xor_b64 s[4:5], exec, -1
; %bb.2891:
	s_or_b64 exec, exec, s[8:9]
	s_and_b64 s[4:5], s[4:5], exec
	s_or_saveexec_b64 s[6:7], s[6:7]
	v_mov_b32_e32 v10, s10
	s_xor_b64 exec, exec, s[6:7]
	s_cbranch_execz .LBB1_842
.LBB1_2892:
	v_mov_b32_e32 v10, 0
	v_cmp_ne_u16_sdwa s[8:9], v11, v10 src0_sel:BYTE_0 src1_sel:DWORD
	s_andn2_b64 s[4:5], s[4:5], exec
	s_and_b64 s[8:9], s[8:9], exec
	s_or_b64 s[4:5], s[4:5], s[8:9]
	s_or_b64 exec, exec, s[6:7]
	s_and_saveexec_b64 s[6:7], s[4:5]
	s_cbranch_execnz .LBB1_843
	s_branch .LBB1_844
.LBB1_2893:
	s_movk_i32 s4, 0x80
	v_cmp_eq_u16_sdwa s[12:13], v11, s4 src0_sel:BYTE_0 src1_sel:DWORD
	s_mov_b64 s[4:5], -1
                                        ; implicit-def: $sgpr10
	s_and_saveexec_b64 s[8:9], s[12:13]
; %bb.2894:
	s_mov_b32 s10, 0x7f800001
	s_xor_b64 s[4:5], exec, -1
; %bb.2895:
	s_or_b64 exec, exec, s[8:9]
	s_and_b64 s[4:5], s[4:5], exec
	s_or_saveexec_b64 s[6:7], s[6:7]
	v_mov_b32_e32 v14, s10
	s_xor_b64 exec, exec, s[6:7]
	s_cbranch_execz .LBB1_846
.LBB1_2896:
	v_mov_b32_e32 v14, 0
	v_cmp_ne_u16_sdwa s[8:9], v11, v14 src0_sel:BYTE_0 src1_sel:DWORD
	s_andn2_b64 s[4:5], s[4:5], exec
	s_and_b64 s[8:9], s[8:9], exec
	s_or_b64 s[4:5], s[4:5], s[8:9]
	s_or_b64 exec, exec, s[6:7]
	s_and_saveexec_b64 s[6:7], s[4:5]
	s_cbranch_execnz .LBB1_847
	s_branch .LBB1_848
.LBB1_2897:
	s_movk_i32 s4, 0x80
	v_cmp_eq_u16_e32 vcc, s4, v11
	s_mov_b64 s[4:5], -1
                                        ; implicit-def: $sgpr10
	s_and_saveexec_b64 s[8:9], vcc
; %bb.2898:
	s_mov_b32 s10, 0x7f800001
	s_xor_b64 s[4:5], exec, -1
; %bb.2899:
	s_or_b64 exec, exec, s[8:9]
	s_and_b64 s[4:5], s[4:5], exec
                                        ; implicit-def: $vgpr11
	s_or_saveexec_b64 s[6:7], s[6:7]
	v_mov_b32_e32 v10, s10
	s_xor_b64 exec, exec, s[6:7]
	s_cbranch_execz .LBB1_850
.LBB1_2900:
	v_cmp_ne_u16_e32 vcc, 0, v11
	s_andn2_b64 s[4:5], s[4:5], exec
	s_and_b64 s[8:9], vcc, exec
	v_mov_b32_e32 v10, 0
	s_or_b64 s[4:5], s[4:5], s[8:9]
	s_or_b64 exec, exec, s[6:7]
	s_and_saveexec_b64 s[6:7], s[4:5]
	s_cbranch_execnz .LBB1_851
	s_branch .LBB1_852
.LBB1_2901:
	s_movk_i32 s4, 0x80
	v_cmp_eq_u16_e32 vcc, s4, v11
	s_mov_b64 s[4:5], -1
                                        ; implicit-def: $sgpr10
	s_and_saveexec_b64 s[8:9], vcc
; %bb.2902:
	s_mov_b32 s10, 0x7f800001
	s_xor_b64 s[4:5], exec, -1
; %bb.2903:
	s_or_b64 exec, exec, s[8:9]
	s_and_b64 s[4:5], s[4:5], exec
                                        ; implicit-def: $vgpr11
	s_or_saveexec_b64 s[6:7], s[6:7]
	v_mov_b32_e32 v14, s10
	s_xor_b64 exec, exec, s[6:7]
	s_cbranch_execz .LBB1_854
.LBB1_2904:
	v_cmp_ne_u16_e32 vcc, 0, v11
	s_andn2_b64 s[4:5], s[4:5], exec
	s_and_b64 s[8:9], vcc, exec
	v_mov_b32_e32 v14, 0
	s_or_b64 s[4:5], s[4:5], s[8:9]
	s_or_b64 exec, exec, s[6:7]
	s_and_saveexec_b64 s[6:7], s[4:5]
	s_cbranch_execnz .LBB1_855
	s_branch .LBB1_856
.LBB1_2905:
	s_movk_i32 s4, 0x80
	v_cmp_eq_u16_sdwa s[12:13], v16, s4 src0_sel:BYTE_3 src1_sel:DWORD
	s_mov_b64 s[4:5], -1
                                        ; implicit-def: $sgpr10
	s_and_saveexec_b64 s[8:9], s[12:13]
; %bb.2906:
	s_mov_b32 s10, 0x7f800001
	s_xor_b64 s[4:5], exec, -1
; %bb.2907:
	s_or_b64 exec, exec, s[8:9]
	s_and_b64 s[4:5], s[4:5], exec
	s_or_saveexec_b64 s[6:7], s[6:7]
	v_mov_b32_e32 v10, s10
	s_xor_b64 exec, exec, s[6:7]
	s_cbranch_execz .LBB1_858
.LBB1_2908:
	v_mov_b32_e32 v10, 0
	v_cmp_ne_u16_sdwa s[8:9], v16, v10 src0_sel:BYTE_3 src1_sel:DWORD
	s_andn2_b64 s[4:5], s[4:5], exec
	s_and_b64 s[8:9], s[8:9], exec
	s_or_b64 s[4:5], s[4:5], s[8:9]
	s_or_b64 exec, exec, s[6:7]
	s_and_saveexec_b64 s[6:7], s[4:5]
	s_cbranch_execnz .LBB1_859
	s_branch .LBB1_860
.LBB1_2909:
	s_movk_i32 s4, 0x80
	v_cmp_eq_u16_sdwa s[12:13], v12, s4 src0_sel:BYTE_3 src1_sel:DWORD
	s_mov_b64 s[4:5], -1
                                        ; implicit-def: $sgpr10
	s_and_saveexec_b64 s[8:9], s[12:13]
; %bb.2910:
	s_mov_b32 s10, 0x7f800001
	s_xor_b64 s[4:5], exec, -1
; %bb.2911:
	s_or_b64 exec, exec, s[8:9]
	s_and_b64 s[4:5], s[4:5], exec
	s_or_saveexec_b64 s[6:7], s[6:7]
	v_mov_b32_e32 v11, s10
	s_xor_b64 exec, exec, s[6:7]
	s_cbranch_execz .LBB1_862
.LBB1_2912:
	v_mov_b32_e32 v11, 0
	v_cmp_ne_u16_sdwa s[8:9], v12, v11 src0_sel:BYTE_3 src1_sel:DWORD
	s_andn2_b64 s[4:5], s[4:5], exec
	s_and_b64 s[8:9], s[8:9], exec
	s_or_b64 s[4:5], s[4:5], s[8:9]
	s_or_b64 exec, exec, s[6:7]
	s_and_saveexec_b64 s[6:7], s[4:5]
	s_cbranch_execnz .LBB1_863
	s_branch .LBB1_864
.LBB1_2913:
	s_movk_i32 s4, 0x80
	v_cmp_eq_u16_sdwa s[12:13], v17, s4 src0_sel:BYTE_0 src1_sel:DWORD
	s_mov_b64 s[4:5], -1
                                        ; implicit-def: $sgpr10
	s_and_saveexec_b64 s[8:9], s[12:13]
; %bb.2914:
	s_mov_b32 s10, 0x7f800001
	s_xor_b64 s[4:5], exec, -1
; %bb.2915:
	s_or_b64 exec, exec, s[8:9]
	s_and_b64 s[4:5], s[4:5], exec
	s_or_saveexec_b64 s[6:7], s[6:7]
	v_mov_b32_e32 v10, s10
	s_xor_b64 exec, exec, s[6:7]
	s_cbranch_execz .LBB1_866
.LBB1_2916:
	v_mov_b32_e32 v10, 0
	v_cmp_ne_u16_sdwa s[8:9], v17, v10 src0_sel:BYTE_0 src1_sel:DWORD
	s_andn2_b64 s[4:5], s[4:5], exec
	s_and_b64 s[8:9], s[8:9], exec
	s_or_b64 s[4:5], s[4:5], s[8:9]
	s_or_b64 exec, exec, s[6:7]
	s_and_saveexec_b64 s[6:7], s[4:5]
	s_cbranch_execnz .LBB1_867
	s_branch .LBB1_868
.LBB1_2917:
	s_movk_i32 s4, 0x80
	v_cmp_eq_u16_sdwa s[12:13], v13, s4 src0_sel:BYTE_0 src1_sel:DWORD
	s_mov_b64 s[4:5], -1
                                        ; implicit-def: $sgpr10
	s_and_saveexec_b64 s[8:9], s[12:13]
; %bb.2918:
	s_mov_b32 s10, 0x7f800001
	s_xor_b64 s[4:5], exec, -1
; %bb.2919:
	s_or_b64 exec, exec, s[8:9]
	s_and_b64 s[4:5], s[4:5], exec
	s_or_saveexec_b64 s[6:7], s[6:7]
	v_mov_b32_e32 v11, s10
	s_xor_b64 exec, exec, s[6:7]
	s_cbranch_execz .LBB1_870
.LBB1_2920:
	v_mov_b32_e32 v11, 0
	v_cmp_ne_u16_sdwa s[8:9], v13, v11 src0_sel:BYTE_0 src1_sel:DWORD
	s_andn2_b64 s[4:5], s[4:5], exec
	s_and_b64 s[8:9], s[8:9], exec
	s_or_b64 s[4:5], s[4:5], s[8:9]
	s_or_b64 exec, exec, s[6:7]
	s_and_saveexec_b64 s[6:7], s[4:5]
	s_cbranch_execnz .LBB1_871
	s_branch .LBB1_872
.LBB1_2921:
	s_movk_i32 s4, 0x80
	v_cmp_eq_u16_sdwa s[12:13], v11, s4 src0_sel:BYTE_0 src1_sel:DWORD
	s_mov_b64 s[4:5], -1
                                        ; implicit-def: $sgpr10
	s_and_saveexec_b64 s[8:9], s[12:13]
; %bb.2922:
	s_mov_b32 s10, 0x7f800001
	s_xor_b64 s[4:5], exec, -1
; %bb.2923:
	s_or_b64 exec, exec, s[8:9]
	s_and_b64 s[4:5], s[4:5], exec
	s_or_saveexec_b64 s[6:7], s[6:7]
	v_mov_b32_e32 v10, s10
	s_xor_b64 exec, exec, s[6:7]
	s_cbranch_execz .LBB1_874
.LBB1_2924:
	v_mov_b32_e32 v10, 0
	v_cmp_ne_u16_sdwa s[8:9], v11, v10 src0_sel:BYTE_0 src1_sel:DWORD
	s_andn2_b64 s[4:5], s[4:5], exec
	s_and_b64 s[8:9], s[8:9], exec
	s_or_b64 s[4:5], s[4:5], s[8:9]
	s_or_b64 exec, exec, s[6:7]
	s_and_saveexec_b64 s[6:7], s[4:5]
	s_cbranch_execnz .LBB1_875
	s_branch .LBB1_876
.LBB1_2925:
	s_movk_i32 s4, 0x80
	v_cmp_eq_u16_sdwa s[12:13], v11, s4 src0_sel:BYTE_0 src1_sel:DWORD
	s_mov_b64 s[4:5], -1
                                        ; implicit-def: $sgpr10
	s_and_saveexec_b64 s[8:9], s[12:13]
; %bb.2926:
	s_mov_b32 s10, 0x7f800001
	s_xor_b64 s[4:5], exec, -1
; %bb.2927:
	s_or_b64 exec, exec, s[8:9]
	s_and_b64 s[4:5], s[4:5], exec
	s_or_saveexec_b64 s[6:7], s[6:7]
	v_mov_b32_e32 v12, s10
	s_xor_b64 exec, exec, s[6:7]
	s_cbranch_execz .LBB1_878
.LBB1_2928:
	v_mov_b32_e32 v12, 0
	v_cmp_ne_u16_sdwa s[8:9], v11, v12 src0_sel:BYTE_0 src1_sel:DWORD
	s_andn2_b64 s[4:5], s[4:5], exec
	s_and_b64 s[8:9], s[8:9], exec
	s_or_b64 s[4:5], s[4:5], s[8:9]
	s_or_b64 exec, exec, s[6:7]
	s_and_saveexec_b64 s[6:7], s[4:5]
	s_cbranch_execnz .LBB1_879
	s_branch .LBB1_880
.LBB1_2929:
	s_movk_i32 s4, 0x80
	v_cmp_eq_u16_e32 vcc, s4, v11
	s_mov_b64 s[4:5], -1
                                        ; implicit-def: $sgpr10
	s_and_saveexec_b64 s[8:9], vcc
; %bb.2930:
	s_mov_b32 s10, 0x7f800001
	s_xor_b64 s[4:5], exec, -1
; %bb.2931:
	s_or_b64 exec, exec, s[8:9]
	s_and_b64 s[4:5], s[4:5], exec
                                        ; implicit-def: $vgpr11
	s_or_saveexec_b64 s[6:7], s[6:7]
	v_mov_b32_e32 v10, s10
	s_xor_b64 exec, exec, s[6:7]
	s_cbranch_execz .LBB1_882
.LBB1_2932:
	v_cmp_ne_u16_e32 vcc, 0, v11
	s_andn2_b64 s[4:5], s[4:5], exec
	s_and_b64 s[8:9], vcc, exec
	v_mov_b32_e32 v10, 0
	s_or_b64 s[4:5], s[4:5], s[8:9]
	s_or_b64 exec, exec, s[6:7]
	s_and_saveexec_b64 s[6:7], s[4:5]
	s_cbranch_execnz .LBB1_883
	s_branch .LBB1_884
.LBB1_2933:
	s_movk_i32 s4, 0x80
	v_cmp_eq_u16_e32 vcc, s4, v11
	s_mov_b64 s[4:5], -1
                                        ; implicit-def: $sgpr10
	s_and_saveexec_b64 s[8:9], vcc
; %bb.2934:
	s_mov_b32 s10, 0x7f800001
	s_xor_b64 s[4:5], exec, -1
; %bb.2935:
	s_or_b64 exec, exec, s[8:9]
	s_and_b64 s[4:5], s[4:5], exec
                                        ; implicit-def: $vgpr11
	s_or_saveexec_b64 s[6:7], s[6:7]
	v_mov_b32_e32 v12, s10
	s_xor_b64 exec, exec, s[6:7]
	s_cbranch_execz .LBB1_886
.LBB1_2936:
	v_cmp_ne_u16_e32 vcc, 0, v11
	s_andn2_b64 s[4:5], s[4:5], exec
	s_and_b64 s[8:9], vcc, exec
	v_mov_b32_e32 v12, 0
	s_or_b64 s[4:5], s[4:5], s[8:9]
	s_or_b64 exec, exec, s[6:7]
	s_and_saveexec_b64 s[6:7], s[4:5]
	s_cbranch_execnz .LBB1_887
	s_branch .LBB1_888
.LBB1_2937:
	s_movk_i32 s4, 0x80
	v_cmp_eq_u16_sdwa s[12:13], v17, s4 src0_sel:BYTE_3 src1_sel:DWORD
	s_mov_b64 s[4:5], -1
                                        ; implicit-def: $sgpr10
	s_and_saveexec_b64 s[8:9], s[12:13]
; %bb.2938:
	s_mov_b32 s10, 0x7f800001
	s_xor_b64 s[4:5], exec, -1
; %bb.2939:
	s_or_b64 exec, exec, s[8:9]
	s_and_b64 s[4:5], s[4:5], exec
	s_or_saveexec_b64 s[6:7], s[6:7]
	v_mov_b32_e32 v10, s10
	s_xor_b64 exec, exec, s[6:7]
	s_cbranch_execz .LBB1_890
.LBB1_2940:
	v_mov_b32_e32 v10, 0
	v_cmp_ne_u16_sdwa s[8:9], v17, v10 src0_sel:BYTE_3 src1_sel:DWORD
	s_andn2_b64 s[4:5], s[4:5], exec
	s_and_b64 s[8:9], s[8:9], exec
	s_or_b64 s[4:5], s[4:5], s[8:9]
	s_or_b64 exec, exec, s[6:7]
	s_and_saveexec_b64 s[6:7], s[4:5]
	s_cbranch_execnz .LBB1_891
	s_branch .LBB1_892
.LBB1_2941:
	s_movk_i32 s4, 0x80
	v_cmp_eq_u16_sdwa s[12:13], v13, s4 src0_sel:BYTE_3 src1_sel:DWORD
	s_mov_b64 s[4:5], -1
                                        ; implicit-def: $sgpr10
	s_and_saveexec_b64 s[8:9], s[12:13]
; %bb.2942:
	s_mov_b32 s10, 0x7f800001
	s_xor_b64 s[4:5], exec, -1
; %bb.2943:
	s_or_b64 exec, exec, s[8:9]
	s_and_b64 s[4:5], s[4:5], exec
	s_or_saveexec_b64 s[6:7], s[6:7]
	v_mov_b32_e32 v11, s10
	s_xor_b64 exec, exec, s[6:7]
	s_cbranch_execz .LBB1_894
.LBB1_2944:
	v_mov_b32_e32 v11, 0
	v_cmp_ne_u16_sdwa s[8:9], v13, v11 src0_sel:BYTE_3 src1_sel:DWORD
	s_andn2_b64 s[4:5], s[4:5], exec
	s_and_b64 s[8:9], s[8:9], exec
	s_or_b64 s[4:5], s[4:5], s[8:9]
	s_or_b64 exec, exec, s[6:7]
	s_and_saveexec_b64 s[6:7], s[4:5]
	s_cbranch_execnz .LBB1_895
	s_branch .LBB1_896
.LBB1_2945:
	s_movk_i32 s4, 0x80
	v_cmp_eq_u16_sdwa s[12:13], v6, s4 src0_sel:BYTE_0 src1_sel:DWORD
	s_mov_b64 s[4:5], -1
                                        ; implicit-def: $sgpr10
	s_and_saveexec_b64 s[8:9], s[12:13]
; %bb.2946:
	s_mov_b32 s10, 0x7f800001
	s_xor_b64 s[4:5], exec, -1
; %bb.2947:
	s_or_b64 exec, exec, s[8:9]
	s_and_b64 s[4:5], s[4:5], exec
	s_or_saveexec_b64 s[6:7], s[6:7]
	v_mov_b32_e32 v10, s10
	s_xor_b64 exec, exec, s[6:7]
	s_cbranch_execz .LBB1_898
.LBB1_2948:
	v_mov_b32_e32 v10, 0
	v_cmp_ne_u16_sdwa s[8:9], v6, v10 src0_sel:BYTE_0 src1_sel:DWORD
	s_andn2_b64 s[4:5], s[4:5], exec
	s_and_b64 s[8:9], s[8:9], exec
	s_or_b64 s[4:5], s[4:5], s[8:9]
	s_or_b64 exec, exec, s[6:7]
	s_and_saveexec_b64 s[6:7], s[4:5]
	s_cbranch_execnz .LBB1_899
	s_branch .LBB1_900
.LBB1_2949:
	s_movk_i32 s4, 0x80
	v_cmp_eq_u16_sdwa s[12:13], v2, s4 src0_sel:BYTE_0 src1_sel:DWORD
	s_mov_b64 s[4:5], -1
                                        ; implicit-def: $sgpr10
	s_and_saveexec_b64 s[8:9], s[12:13]
; %bb.2950:
	s_mov_b32 s10, 0x7f800001
	s_xor_b64 s[4:5], exec, -1
; %bb.2951:
	s_or_b64 exec, exec, s[8:9]
	s_and_b64 s[4:5], s[4:5], exec
	s_or_saveexec_b64 s[6:7], s[6:7]
	v_mov_b32_e32 v11, s10
	s_xor_b64 exec, exec, s[6:7]
	s_cbranch_execz .LBB1_902
.LBB1_2952:
	v_mov_b32_e32 v11, 0
	v_cmp_ne_u16_sdwa s[8:9], v2, v11 src0_sel:BYTE_0 src1_sel:DWORD
	s_andn2_b64 s[4:5], s[4:5], exec
	s_and_b64 s[8:9], s[8:9], exec
	s_or_b64 s[4:5], s[4:5], s[8:9]
	s_or_b64 exec, exec, s[6:7]
	s_and_saveexec_b64 s[6:7], s[4:5]
	s_cbranch_execnz .LBB1_903
	s_branch .LBB1_904
.LBB1_2953:
	s_movk_i32 s4, 0x80
	v_cmp_eq_u16_sdwa s[12:13], v11, s4 src0_sel:BYTE_0 src1_sel:DWORD
	s_mov_b64 s[4:5], -1
                                        ; implicit-def: $sgpr10
	s_and_saveexec_b64 s[8:9], s[12:13]
; %bb.2954:
	s_mov_b32 s10, 0x7f800001
	s_xor_b64 s[4:5], exec, -1
; %bb.2955:
	s_or_b64 exec, exec, s[8:9]
	s_and_b64 s[4:5], s[4:5], exec
	s_or_saveexec_b64 s[6:7], s[6:7]
	v_mov_b32_e32 v10, s10
	s_xor_b64 exec, exec, s[6:7]
	s_cbranch_execz .LBB1_906
.LBB1_2956:
	v_mov_b32_e32 v10, 0
	v_cmp_ne_u16_sdwa s[8:9], v11, v10 src0_sel:BYTE_0 src1_sel:DWORD
	s_andn2_b64 s[4:5], s[4:5], exec
	s_and_b64 s[8:9], s[8:9], exec
	s_or_b64 s[4:5], s[4:5], s[8:9]
	s_or_b64 exec, exec, s[6:7]
	s_and_saveexec_b64 s[6:7], s[4:5]
	s_cbranch_execnz .LBB1_907
	s_branch .LBB1_908
.LBB1_2957:
	s_movk_i32 s4, 0x80
	v_cmp_eq_u16_sdwa s[12:13], v11, s4 src0_sel:BYTE_0 src1_sel:DWORD
	s_mov_b64 s[4:5], -1
                                        ; implicit-def: $sgpr10
	s_and_saveexec_b64 s[8:9], s[12:13]
; %bb.2958:
	s_mov_b32 s10, 0x7f800001
	s_xor_b64 s[4:5], exec, -1
; %bb.2959:
	s_or_b64 exec, exec, s[8:9]
	s_and_b64 s[4:5], s[4:5], exec
	s_or_saveexec_b64 s[6:7], s[6:7]
	v_mov_b32_e32 v12, s10
	s_xor_b64 exec, exec, s[6:7]
	s_cbranch_execz .LBB1_910
.LBB1_2960:
	v_mov_b32_e32 v12, 0
	v_cmp_ne_u16_sdwa s[8:9], v11, v12 src0_sel:BYTE_0 src1_sel:DWORD
	s_andn2_b64 s[4:5], s[4:5], exec
	s_and_b64 s[8:9], s[8:9], exec
	s_or_b64 s[4:5], s[4:5], s[8:9]
	s_or_b64 exec, exec, s[6:7]
	s_and_saveexec_b64 s[6:7], s[4:5]
	s_cbranch_execnz .LBB1_911
	s_branch .LBB1_912
.LBB1_2961:
	s_movk_i32 s4, 0x80
	v_cmp_eq_u16_e32 vcc, s4, v11
	s_mov_b64 s[4:5], -1
                                        ; implicit-def: $sgpr10
	s_and_saveexec_b64 s[8:9], vcc
; %bb.2962:
	s_mov_b32 s10, 0x7f800001
	s_xor_b64 s[4:5], exec, -1
; %bb.2963:
	s_or_b64 exec, exec, s[8:9]
	s_and_b64 s[4:5], s[4:5], exec
                                        ; implicit-def: $vgpr11
	s_or_saveexec_b64 s[6:7], s[6:7]
	v_mov_b32_e32 v10, s10
	s_xor_b64 exec, exec, s[6:7]
	s_cbranch_execz .LBB1_914
.LBB1_2964:
	v_cmp_ne_u16_e32 vcc, 0, v11
	s_andn2_b64 s[4:5], s[4:5], exec
	s_and_b64 s[8:9], vcc, exec
	v_mov_b32_e32 v10, 0
	s_or_b64 s[4:5], s[4:5], s[8:9]
	s_or_b64 exec, exec, s[6:7]
	s_and_saveexec_b64 s[6:7], s[4:5]
	s_cbranch_execnz .LBB1_915
	s_branch .LBB1_916
.LBB1_2965:
	s_movk_i32 s4, 0x80
	v_cmp_eq_u16_e32 vcc, s4, v11
	s_mov_b64 s[4:5], -1
                                        ; implicit-def: $sgpr10
	s_and_saveexec_b64 s[8:9], vcc
; %bb.2966:
	s_mov_b32 s10, 0x7f800001
	s_xor_b64 s[4:5], exec, -1
; %bb.2967:
	s_or_b64 exec, exec, s[8:9]
	s_and_b64 s[4:5], s[4:5], exec
                                        ; implicit-def: $vgpr11
	s_or_saveexec_b64 s[6:7], s[6:7]
	v_mov_b32_e32 v12, s10
	s_xor_b64 exec, exec, s[6:7]
	s_cbranch_execz .LBB1_918
.LBB1_2968:
	v_cmp_ne_u16_e32 vcc, 0, v11
	s_andn2_b64 s[4:5], s[4:5], exec
	s_and_b64 s[8:9], vcc, exec
	v_mov_b32_e32 v12, 0
	s_or_b64 s[4:5], s[4:5], s[8:9]
	s_or_b64 exec, exec, s[6:7]
	s_and_saveexec_b64 s[6:7], s[4:5]
	s_cbranch_execnz .LBB1_919
	s_branch .LBB1_920
.LBB1_2969:
	s_movk_i32 s4, 0x80
	v_cmp_eq_u16_sdwa s[12:13], v6, s4 src0_sel:BYTE_3 src1_sel:DWORD
	s_mov_b64 s[4:5], -1
                                        ; implicit-def: $sgpr10
	s_and_saveexec_b64 s[8:9], s[12:13]
; %bb.2970:
	s_mov_b32 s10, 0x7f800001
	s_xor_b64 s[4:5], exec, -1
; %bb.2971:
	s_or_b64 exec, exec, s[8:9]
	s_and_b64 s[4:5], s[4:5], exec
	s_or_saveexec_b64 s[6:7], s[6:7]
	v_mov_b32_e32 v10, s10
	s_xor_b64 exec, exec, s[6:7]
	s_cbranch_execz .LBB1_922
.LBB1_2972:
	v_mov_b32_e32 v10, 0
	v_cmp_ne_u16_sdwa s[8:9], v6, v10 src0_sel:BYTE_3 src1_sel:DWORD
	s_andn2_b64 s[4:5], s[4:5], exec
	s_and_b64 s[8:9], s[8:9], exec
	s_or_b64 s[4:5], s[4:5], s[8:9]
	s_or_b64 exec, exec, s[6:7]
	s_and_saveexec_b64 s[6:7], s[4:5]
	s_cbranch_execnz .LBB1_923
	s_branch .LBB1_924
.LBB1_2973:
	s_movk_i32 s4, 0x80
	v_cmp_eq_u16_sdwa s[12:13], v2, s4 src0_sel:BYTE_3 src1_sel:DWORD
	s_mov_b64 s[4:5], -1
                                        ; implicit-def: $sgpr10
	s_and_saveexec_b64 s[8:9], s[12:13]
; %bb.2974:
	s_mov_b32 s10, 0x7f800001
	s_xor_b64 s[4:5], exec, -1
; %bb.2975:
	s_or_b64 exec, exec, s[8:9]
	s_and_b64 s[4:5], s[4:5], exec
	s_or_saveexec_b64 s[6:7], s[6:7]
	v_mov_b32_e32 v6, s10
	s_xor_b64 exec, exec, s[6:7]
	s_cbranch_execz .LBB1_926
.LBB1_2976:
	v_mov_b32_e32 v6, 0
	v_cmp_ne_u16_sdwa s[8:9], v2, v6 src0_sel:BYTE_3 src1_sel:DWORD
	s_andn2_b64 s[4:5], s[4:5], exec
	s_and_b64 s[8:9], s[8:9], exec
	s_or_b64 s[4:5], s[4:5], s[8:9]
	s_or_b64 exec, exec, s[6:7]
	s_and_saveexec_b64 s[6:7], s[4:5]
	s_cbranch_execnz .LBB1_927
	s_branch .LBB1_928
.LBB1_2977:
	s_movk_i32 s4, 0x80
	v_cmp_eq_u16_sdwa s[12:13], v7, s4 src0_sel:BYTE_0 src1_sel:DWORD
	s_mov_b64 s[4:5], -1
                                        ; implicit-def: $sgpr10
	s_and_saveexec_b64 s[8:9], s[12:13]
; %bb.2978:
	s_mov_b32 s10, 0x7f800001
	s_xor_b64 s[4:5], exec, -1
; %bb.2979:
	s_or_b64 exec, exec, s[8:9]
	s_and_b64 s[4:5], s[4:5], exec
	s_or_saveexec_b64 s[6:7], s[6:7]
	v_mov_b32_e32 v2, s10
	s_xor_b64 exec, exec, s[6:7]
	s_cbranch_execz .LBB1_930
.LBB1_2980:
	v_mov_b32_e32 v2, 0
	v_cmp_ne_u16_sdwa s[8:9], v7, v2 src0_sel:BYTE_0 src1_sel:DWORD
	s_andn2_b64 s[4:5], s[4:5], exec
	s_and_b64 s[8:9], s[8:9], exec
	s_or_b64 s[4:5], s[4:5], s[8:9]
	s_or_b64 exec, exec, s[6:7]
	s_and_saveexec_b64 s[6:7], s[4:5]
	s_cbranch_execnz .LBB1_931
	s_branch .LBB1_932
.LBB1_2981:
	s_movk_i32 s4, 0x80
	v_cmp_eq_u16_sdwa s[12:13], v3, s4 src0_sel:BYTE_0 src1_sel:DWORD
	s_mov_b64 s[4:5], -1
                                        ; implicit-def: $sgpr10
	s_and_saveexec_b64 s[8:9], s[12:13]
; %bb.2982:
	s_mov_b32 s10, 0x7f800001
	s_xor_b64 s[4:5], exec, -1
; %bb.2983:
	s_or_b64 exec, exec, s[8:9]
	s_and_b64 s[4:5], s[4:5], exec
	s_or_saveexec_b64 s[6:7], s[6:7]
	v_mov_b32_e32 v6, s10
	s_xor_b64 exec, exec, s[6:7]
	s_cbranch_execz .LBB1_934
.LBB1_2984:
	v_mov_b32_e32 v6, 0
	v_cmp_ne_u16_sdwa s[8:9], v3, v6 src0_sel:BYTE_0 src1_sel:DWORD
	s_andn2_b64 s[4:5], s[4:5], exec
	s_and_b64 s[8:9], s[8:9], exec
	s_or_b64 s[4:5], s[4:5], s[8:9]
	s_or_b64 exec, exec, s[6:7]
	s_and_saveexec_b64 s[6:7], s[4:5]
	s_cbranch_execnz .LBB1_935
	s_branch .LBB1_936
.LBB1_2985:
	s_movk_i32 s4, 0x80
	v_cmp_eq_u16_sdwa s[12:13], v6, s4 src0_sel:BYTE_0 src1_sel:DWORD
	s_mov_b64 s[4:5], -1
                                        ; implicit-def: $sgpr10
	s_and_saveexec_b64 s[8:9], s[12:13]
; %bb.2986:
	s_mov_b32 s10, 0x7f800001
	s_xor_b64 s[4:5], exec, -1
; %bb.2987:
	s_or_b64 exec, exec, s[8:9]
	s_and_b64 s[4:5], s[4:5], exec
	s_or_saveexec_b64 s[6:7], s[6:7]
	v_mov_b32_e32 v2, s10
	s_xor_b64 exec, exec, s[6:7]
	s_cbranch_execz .LBB1_938
.LBB1_2988:
	v_mov_b32_e32 v2, 0
	v_cmp_ne_u16_sdwa s[8:9], v6, v2 src0_sel:BYTE_0 src1_sel:DWORD
	s_andn2_b64 s[4:5], s[4:5], exec
	s_and_b64 s[8:9], s[8:9], exec
	s_or_b64 s[4:5], s[4:5], s[8:9]
	s_or_b64 exec, exec, s[6:7]
	s_and_saveexec_b64 s[6:7], s[4:5]
	s_cbranch_execnz .LBB1_939
	s_branch .LBB1_940
.LBB1_2989:
	s_movk_i32 s4, 0x80
	v_cmp_eq_u16_sdwa s[12:13], v6, s4 src0_sel:BYTE_0 src1_sel:DWORD
	s_mov_b64 s[4:5], -1
                                        ; implicit-def: $sgpr10
	s_and_saveexec_b64 s[8:9], s[12:13]
; %bb.2990:
	s_mov_b32 s10, 0x7f800001
	s_xor_b64 s[4:5], exec, -1
; %bb.2991:
	s_or_b64 exec, exec, s[8:9]
	s_and_b64 s[4:5], s[4:5], exec
	s_or_saveexec_b64 s[6:7], s[6:7]
	v_mov_b32_e32 v10, s10
	s_xor_b64 exec, exec, s[6:7]
	s_cbranch_execz .LBB1_942
.LBB1_2992:
	v_mov_b32_e32 v10, 0
	v_cmp_ne_u16_sdwa s[8:9], v6, v10 src0_sel:BYTE_0 src1_sel:DWORD
	s_andn2_b64 s[4:5], s[4:5], exec
	s_and_b64 s[8:9], s[8:9], exec
	s_or_b64 s[4:5], s[4:5], s[8:9]
	s_or_b64 exec, exec, s[6:7]
	s_and_saveexec_b64 s[6:7], s[4:5]
	s_cbranch_execnz .LBB1_943
	s_branch .LBB1_944
.LBB1_2993:
	s_movk_i32 s4, 0x80
	v_cmp_eq_u16_e32 vcc, s4, v6
	s_mov_b64 s[4:5], -1
                                        ; implicit-def: $sgpr10
	s_and_saveexec_b64 s[8:9], vcc
; %bb.2994:
	s_mov_b32 s10, 0x7f800001
	s_xor_b64 s[4:5], exec, -1
; %bb.2995:
	s_or_b64 exec, exec, s[8:9]
	s_and_b64 s[4:5], s[4:5], exec
                                        ; implicit-def: $vgpr6
	s_or_saveexec_b64 s[6:7], s[6:7]
	v_mov_b32_e32 v2, s10
	s_xor_b64 exec, exec, s[6:7]
	s_cbranch_execz .LBB1_946
.LBB1_2996:
	v_cmp_ne_u16_e32 vcc, 0, v6
	s_andn2_b64 s[4:5], s[4:5], exec
	s_and_b64 s[8:9], vcc, exec
	v_mov_b32_e32 v2, 0
	s_or_b64 s[4:5], s[4:5], s[8:9]
	s_or_b64 exec, exec, s[6:7]
	s_and_saveexec_b64 s[6:7], s[4:5]
	s_cbranch_execnz .LBB1_947
	s_branch .LBB1_948
.LBB1_2997:
	s_movk_i32 s4, 0x80
	v_cmp_eq_u16_e32 vcc, s4, v6
	s_mov_b64 s[4:5], -1
                                        ; implicit-def: $sgpr10
	s_and_saveexec_b64 s[8:9], vcc
; %bb.2998:
	s_mov_b32 s10, 0x7f800001
	s_xor_b64 s[4:5], exec, -1
; %bb.2999:
	s_or_b64 exec, exec, s[8:9]
	s_and_b64 s[4:5], s[4:5], exec
                                        ; implicit-def: $vgpr6
	s_or_saveexec_b64 s[6:7], s[6:7]
	v_mov_b32_e32 v10, s10
	s_xor_b64 exec, exec, s[6:7]
	s_cbranch_execz .LBB1_950
.LBB1_3000:
	v_cmp_ne_u16_e32 vcc, 0, v6
	s_andn2_b64 s[4:5], s[4:5], exec
	s_and_b64 s[8:9], vcc, exec
	v_mov_b32_e32 v10, 0
	s_or_b64 s[4:5], s[4:5], s[8:9]
	s_or_b64 exec, exec, s[6:7]
	s_and_saveexec_b64 s[6:7], s[4:5]
	s_cbranch_execnz .LBB1_951
	s_branch .LBB1_952
.LBB1_3001:
	s_movk_i32 s4, 0x80
	v_cmp_eq_u16_sdwa s[12:13], v7, s4 src0_sel:BYTE_3 src1_sel:DWORD
	s_mov_b64 s[4:5], -1
                                        ; implicit-def: $sgpr10
	s_and_saveexec_b64 s[8:9], s[12:13]
; %bb.3002:
	s_mov_b32 s10, 0x7f800001
	s_xor_b64 s[4:5], exec, -1
; %bb.3003:
	s_or_b64 exec, exec, s[8:9]
	s_and_b64 s[4:5], s[4:5], exec
	s_or_saveexec_b64 s[6:7], s[6:7]
	v_mov_b32_e32 v2, s10
	s_xor_b64 exec, exec, s[6:7]
	s_cbranch_execz .LBB1_954
.LBB1_3004:
	v_mov_b32_e32 v2, 0
	v_cmp_ne_u16_sdwa s[8:9], v7, v2 src0_sel:BYTE_3 src1_sel:DWORD
	s_andn2_b64 s[4:5], s[4:5], exec
	s_and_b64 s[8:9], s[8:9], exec
	s_or_b64 s[4:5], s[4:5], s[8:9]
	s_or_b64 exec, exec, s[6:7]
	s_and_saveexec_b64 s[6:7], s[4:5]
	s_cbranch_execnz .LBB1_955
	s_branch .LBB1_956
.LBB1_3005:
	s_movk_i32 s4, 0x80
	v_cmp_eq_u16_sdwa s[12:13], v3, s4 src0_sel:BYTE_3 src1_sel:DWORD
	s_mov_b64 s[4:5], -1
                                        ; implicit-def: $sgpr10
	s_and_saveexec_b64 s[8:9], s[12:13]
; %bb.3006:
	s_mov_b32 s10, 0x7f800001
	s_xor_b64 s[4:5], exec, -1
; %bb.3007:
	s_or_b64 exec, exec, s[8:9]
	s_and_b64 s[4:5], s[4:5], exec
	s_or_saveexec_b64 s[6:7], s[6:7]
	v_mov_b32_e32 v6, s10
	s_xor_b64 exec, exec, s[6:7]
	s_cbranch_execz .LBB1_958
.LBB1_3008:
	v_mov_b32_e32 v6, 0
	v_cmp_ne_u16_sdwa s[8:9], v3, v6 src0_sel:BYTE_3 src1_sel:DWORD
	s_andn2_b64 s[4:5], s[4:5], exec
	s_and_b64 s[8:9], s[8:9], exec
	s_or_b64 s[4:5], s[4:5], s[8:9]
	s_or_b64 exec, exec, s[6:7]
	s_and_saveexec_b64 s[6:7], s[4:5]
	s_cbranch_execnz .LBB1_959
	s_branch .LBB1_960
.LBB1_3009:
	s_movk_i32 s4, 0x80
	v_cmp_eq_u16_sdwa s[12:13], v8, s4 src0_sel:BYTE_0 src1_sel:DWORD
	s_mov_b64 s[4:5], -1
                                        ; implicit-def: $sgpr10
	s_and_saveexec_b64 s[8:9], s[12:13]
; %bb.3010:
	s_mov_b32 s10, 0x7f800001
	s_xor_b64 s[4:5], exec, -1
; %bb.3011:
	s_or_b64 exec, exec, s[8:9]
	s_and_b64 s[4:5], s[4:5], exec
	s_or_saveexec_b64 s[6:7], s[6:7]
	v_mov_b32_e32 v2, s10
	s_xor_b64 exec, exec, s[6:7]
	s_cbranch_execz .LBB1_962
.LBB1_3012:
	v_mov_b32_e32 v2, 0
	v_cmp_ne_u16_sdwa s[8:9], v8, v2 src0_sel:BYTE_0 src1_sel:DWORD
	s_andn2_b64 s[4:5], s[4:5], exec
	s_and_b64 s[8:9], s[8:9], exec
	s_or_b64 s[4:5], s[4:5], s[8:9]
	s_or_b64 exec, exec, s[6:7]
	s_and_saveexec_b64 s[6:7], s[4:5]
	s_cbranch_execnz .LBB1_963
	s_branch .LBB1_964
.LBB1_3013:
	s_movk_i32 s4, 0x80
	v_cmp_eq_u16_sdwa s[12:13], v4, s4 src0_sel:BYTE_0 src1_sel:DWORD
	s_mov_b64 s[4:5], -1
                                        ; implicit-def: $sgpr10
	s_and_saveexec_b64 s[8:9], s[12:13]
; %bb.3014:
	s_mov_b32 s10, 0x7f800001
	s_xor_b64 s[4:5], exec, -1
; %bb.3015:
	s_or_b64 exec, exec, s[8:9]
	s_and_b64 s[4:5], s[4:5], exec
	s_or_saveexec_b64 s[6:7], s[6:7]
	v_mov_b32_e32 v3, s10
	s_xor_b64 exec, exec, s[6:7]
	s_cbranch_execz .LBB1_966
.LBB1_3016:
	v_mov_b32_e32 v3, 0
	v_cmp_ne_u16_sdwa s[8:9], v4, v3 src0_sel:BYTE_0 src1_sel:DWORD
	s_andn2_b64 s[4:5], s[4:5], exec
	s_and_b64 s[8:9], s[8:9], exec
	s_or_b64 s[4:5], s[4:5], s[8:9]
	s_or_b64 exec, exec, s[6:7]
	s_and_saveexec_b64 s[6:7], s[4:5]
	s_cbranch_execnz .LBB1_967
	s_branch .LBB1_968
.LBB1_3017:
	s_movk_i32 s4, 0x80
	v_cmp_eq_u16_sdwa s[12:13], v3, s4 src0_sel:BYTE_0 src1_sel:DWORD
	s_mov_b64 s[4:5], -1
                                        ; implicit-def: $sgpr10
	s_and_saveexec_b64 s[8:9], s[12:13]
; %bb.3018:
	s_mov_b32 s10, 0x7f800001
	s_xor_b64 s[4:5], exec, -1
; %bb.3019:
	s_or_b64 exec, exec, s[8:9]
	s_and_b64 s[4:5], s[4:5], exec
	s_or_saveexec_b64 s[6:7], s[6:7]
	v_mov_b32_e32 v2, s10
	s_xor_b64 exec, exec, s[6:7]
	s_cbranch_execz .LBB1_970
.LBB1_3020:
	v_mov_b32_e32 v2, 0
	v_cmp_ne_u16_sdwa s[8:9], v3, v2 src0_sel:BYTE_0 src1_sel:DWORD
	s_andn2_b64 s[4:5], s[4:5], exec
	s_and_b64 s[8:9], s[8:9], exec
	s_or_b64 s[4:5], s[4:5], s[8:9]
	s_or_b64 exec, exec, s[6:7]
	s_and_saveexec_b64 s[6:7], s[4:5]
	s_cbranch_execnz .LBB1_971
	s_branch .LBB1_972
.LBB1_3021:
	s_movk_i32 s4, 0x80
	v_cmp_eq_u16_sdwa s[12:13], v3, s4 src0_sel:BYTE_0 src1_sel:DWORD
	s_mov_b64 s[4:5], -1
                                        ; implicit-def: $sgpr10
	s_and_saveexec_b64 s[8:9], s[12:13]
; %bb.3022:
	s_mov_b32 s10, 0x7f800001
	s_xor_b64 s[4:5], exec, -1
; %bb.3023:
	s_or_b64 exec, exec, s[8:9]
	s_and_b64 s[4:5], s[4:5], exec
	s_or_saveexec_b64 s[6:7], s[6:7]
	v_mov_b32_e32 v6, s10
	s_xor_b64 exec, exec, s[6:7]
	s_cbranch_execz .LBB1_974
.LBB1_3024:
	v_mov_b32_e32 v6, 0
	v_cmp_ne_u16_sdwa s[8:9], v3, v6 src0_sel:BYTE_0 src1_sel:DWORD
	s_andn2_b64 s[4:5], s[4:5], exec
	s_and_b64 s[8:9], s[8:9], exec
	s_or_b64 s[4:5], s[4:5], s[8:9]
	s_or_b64 exec, exec, s[6:7]
	s_and_saveexec_b64 s[6:7], s[4:5]
	s_cbranch_execnz .LBB1_975
	s_branch .LBB1_976
.LBB1_3025:
	s_movk_i32 s4, 0x80
	v_cmp_eq_u16_e32 vcc, s4, v3
	s_mov_b64 s[4:5], -1
                                        ; implicit-def: $sgpr10
	s_and_saveexec_b64 s[8:9], vcc
; %bb.3026:
	s_mov_b32 s10, 0x7f800001
	s_xor_b64 s[4:5], exec, -1
; %bb.3027:
	s_or_b64 exec, exec, s[8:9]
	s_and_b64 s[4:5], s[4:5], exec
                                        ; implicit-def: $vgpr3
	s_or_saveexec_b64 s[6:7], s[6:7]
	v_mov_b32_e32 v2, s10
	s_xor_b64 exec, exec, s[6:7]
	s_cbranch_execz .LBB1_978
.LBB1_3028:
	v_cmp_ne_u16_e32 vcc, 0, v3
	s_andn2_b64 s[4:5], s[4:5], exec
	s_and_b64 s[8:9], vcc, exec
	v_mov_b32_e32 v2, 0
	s_or_b64 s[4:5], s[4:5], s[8:9]
	s_or_b64 exec, exec, s[6:7]
	s_and_saveexec_b64 s[6:7], s[4:5]
	s_cbranch_execnz .LBB1_979
	s_branch .LBB1_980
.LBB1_3029:
	s_movk_i32 s4, 0x80
	v_cmp_eq_u16_e32 vcc, s4, v3
	s_mov_b64 s[4:5], -1
                                        ; implicit-def: $sgpr10
	s_and_saveexec_b64 s[8:9], vcc
; %bb.3030:
	s_mov_b32 s10, 0x7f800001
	s_xor_b64 s[4:5], exec, -1
; %bb.3031:
	s_or_b64 exec, exec, s[8:9]
	s_and_b64 s[4:5], s[4:5], exec
                                        ; implicit-def: $vgpr3
	s_or_saveexec_b64 s[6:7], s[6:7]
	v_mov_b32_e32 v6, s10
	s_xor_b64 exec, exec, s[6:7]
	s_cbranch_execz .LBB1_982
.LBB1_3032:
	v_cmp_ne_u16_e32 vcc, 0, v3
	s_andn2_b64 s[4:5], s[4:5], exec
	s_and_b64 s[8:9], vcc, exec
	v_mov_b32_e32 v6, 0
	s_or_b64 s[4:5], s[4:5], s[8:9]
	s_or_b64 exec, exec, s[6:7]
	s_and_saveexec_b64 s[6:7], s[4:5]
	s_cbranch_execnz .LBB1_983
	s_branch .LBB1_984
.LBB1_3033:
	s_movk_i32 s4, 0x80
	v_cmp_eq_u16_sdwa s[12:13], v8, s4 src0_sel:BYTE_3 src1_sel:DWORD
	s_mov_b64 s[4:5], -1
                                        ; implicit-def: $sgpr10
	s_and_saveexec_b64 s[8:9], s[12:13]
; %bb.3034:
	s_mov_b32 s10, 0x7f800001
	s_xor_b64 s[4:5], exec, -1
; %bb.3035:
	s_or_b64 exec, exec, s[8:9]
	s_and_b64 s[4:5], s[4:5], exec
	s_or_saveexec_b64 s[6:7], s[6:7]
	v_mov_b32_e32 v2, s10
	s_xor_b64 exec, exec, s[6:7]
	s_cbranch_execz .LBB1_986
.LBB1_3036:
	v_mov_b32_e32 v2, 0
	v_cmp_ne_u16_sdwa s[8:9], v8, v2 src0_sel:BYTE_3 src1_sel:DWORD
	s_andn2_b64 s[4:5], s[4:5], exec
	s_and_b64 s[8:9], s[8:9], exec
	s_or_b64 s[4:5], s[4:5], s[8:9]
	s_or_b64 exec, exec, s[6:7]
	s_and_saveexec_b64 s[6:7], s[4:5]
	s_cbranch_execnz .LBB1_987
	s_branch .LBB1_988
.LBB1_3037:
	s_movk_i32 s4, 0x80
	v_cmp_eq_u16_sdwa s[12:13], v4, s4 src0_sel:BYTE_3 src1_sel:DWORD
	s_mov_b64 s[4:5], -1
                                        ; implicit-def: $sgpr10
	s_and_saveexec_b64 s[8:9], s[12:13]
; %bb.3038:
	s_mov_b32 s10, 0x7f800001
	s_xor_b64 s[4:5], exec, -1
; %bb.3039:
	s_or_b64 exec, exec, s[8:9]
	s_and_b64 s[4:5], s[4:5], exec
	s_or_saveexec_b64 s[6:7], s[6:7]
	v_mov_b32_e32 v3, s10
	s_xor_b64 exec, exec, s[6:7]
	s_cbranch_execz .LBB1_990
.LBB1_3040:
	v_mov_b32_e32 v3, 0
	v_cmp_ne_u16_sdwa s[8:9], v4, v3 src0_sel:BYTE_3 src1_sel:DWORD
	s_andn2_b64 s[4:5], s[4:5], exec
	s_and_b64 s[8:9], s[8:9], exec
	s_or_b64 s[4:5], s[4:5], s[8:9]
	s_or_b64 exec, exec, s[6:7]
	s_and_saveexec_b64 s[6:7], s[4:5]
	s_cbranch_execnz .LBB1_991
	s_branch .LBB1_992
.LBB1_3041:
	s_movk_i32 s4, 0x80
	v_cmp_eq_u16_sdwa s[12:13], v9, s4 src0_sel:BYTE_0 src1_sel:DWORD
	s_mov_b64 s[4:5], -1
                                        ; implicit-def: $sgpr10
	s_and_saveexec_b64 s[8:9], s[12:13]
; %bb.3042:
	s_mov_b32 s10, 0x7f800001
	s_xor_b64 s[4:5], exec, -1
; %bb.3043:
	s_or_b64 exec, exec, s[8:9]
	s_and_b64 s[4:5], s[4:5], exec
	s_or_saveexec_b64 s[6:7], s[6:7]
	v_mov_b32_e32 v2, s10
	s_xor_b64 exec, exec, s[6:7]
	s_cbranch_execz .LBB1_994
.LBB1_3044:
	v_mov_b32_e32 v2, 0
	v_cmp_ne_u16_sdwa s[8:9], v9, v2 src0_sel:BYTE_0 src1_sel:DWORD
	s_andn2_b64 s[4:5], s[4:5], exec
	s_and_b64 s[8:9], s[8:9], exec
	s_or_b64 s[4:5], s[4:5], s[8:9]
	s_or_b64 exec, exec, s[6:7]
	s_and_saveexec_b64 s[6:7], s[4:5]
	s_cbranch_execnz .LBB1_995
	s_branch .LBB1_996
.LBB1_3045:
	s_movk_i32 s4, 0x80
	v_cmp_eq_u16_sdwa s[12:13], v5, s4 src0_sel:BYTE_0 src1_sel:DWORD
	s_mov_b64 s[4:5], -1
                                        ; implicit-def: $sgpr10
	s_and_saveexec_b64 s[8:9], s[12:13]
; %bb.3046:
	s_mov_b32 s10, 0x7f800001
	s_xor_b64 s[4:5], exec, -1
; %bb.3047:
	s_or_b64 exec, exec, s[8:9]
	s_and_b64 s[4:5], s[4:5], exec
	s_or_saveexec_b64 s[6:7], s[6:7]
	v_mov_b32_e32 v3, s10
	s_xor_b64 exec, exec, s[6:7]
	s_cbranch_execz .LBB1_998
.LBB1_3048:
	v_mov_b32_e32 v3, 0
	v_cmp_ne_u16_sdwa s[8:9], v5, v3 src0_sel:BYTE_0 src1_sel:DWORD
	s_andn2_b64 s[4:5], s[4:5], exec
	s_and_b64 s[8:9], s[8:9], exec
	s_or_b64 s[4:5], s[4:5], s[8:9]
	s_or_b64 exec, exec, s[6:7]
	s_and_saveexec_b64 s[6:7], s[4:5]
	s_cbranch_execnz .LBB1_999
	s_branch .LBB1_1000
.LBB1_3049:
	s_movk_i32 s4, 0x80
	v_cmp_eq_u16_sdwa s[12:13], v3, s4 src0_sel:BYTE_0 src1_sel:DWORD
	s_mov_b64 s[4:5], -1
                                        ; implicit-def: $sgpr10
	s_and_saveexec_b64 s[8:9], s[12:13]
; %bb.3050:
	s_mov_b32 s10, 0x7f800001
	s_xor_b64 s[4:5], exec, -1
; %bb.3051:
	s_or_b64 exec, exec, s[8:9]
	s_and_b64 s[4:5], s[4:5], exec
	s_or_saveexec_b64 s[6:7], s[6:7]
	v_mov_b32_e32 v2, s10
	s_xor_b64 exec, exec, s[6:7]
	s_cbranch_execz .LBB1_1002
.LBB1_3052:
	v_mov_b32_e32 v2, 0
	v_cmp_ne_u16_sdwa s[8:9], v3, v2 src0_sel:BYTE_0 src1_sel:DWORD
	s_andn2_b64 s[4:5], s[4:5], exec
	s_and_b64 s[8:9], s[8:9], exec
	s_or_b64 s[4:5], s[4:5], s[8:9]
	s_or_b64 exec, exec, s[6:7]
	s_and_saveexec_b64 s[6:7], s[4:5]
	s_cbranch_execnz .LBB1_1003
	s_branch .LBB1_1004
.LBB1_3053:
	s_movk_i32 s4, 0x80
	v_cmp_eq_u16_sdwa s[12:13], v3, s4 src0_sel:BYTE_0 src1_sel:DWORD
	s_mov_b64 s[4:5], -1
                                        ; implicit-def: $sgpr10
	s_and_saveexec_b64 s[8:9], s[12:13]
; %bb.3054:
	s_mov_b32 s10, 0x7f800001
	s_xor_b64 s[4:5], exec, -1
; %bb.3055:
	s_or_b64 exec, exec, s[8:9]
	s_and_b64 s[4:5], s[4:5], exec
	s_or_saveexec_b64 s[6:7], s[6:7]
	v_mov_b32_e32 v4, s10
	s_xor_b64 exec, exec, s[6:7]
	s_cbranch_execz .LBB1_1006
.LBB1_3056:
	v_mov_b32_e32 v4, 0
	v_cmp_ne_u16_sdwa s[8:9], v3, v4 src0_sel:BYTE_0 src1_sel:DWORD
	s_andn2_b64 s[4:5], s[4:5], exec
	s_and_b64 s[8:9], s[8:9], exec
	s_or_b64 s[4:5], s[4:5], s[8:9]
	s_or_b64 exec, exec, s[6:7]
	s_and_saveexec_b64 s[6:7], s[4:5]
	s_cbranch_execnz .LBB1_1007
	s_branch .LBB1_1008
.LBB1_3057:
	s_movk_i32 s4, 0x80
	v_cmp_eq_u16_e32 vcc, s4, v3
	s_mov_b64 s[4:5], -1
                                        ; implicit-def: $sgpr10
	s_and_saveexec_b64 s[8:9], vcc
; %bb.3058:
	s_mov_b32 s10, 0x7f800001
	s_xor_b64 s[4:5], exec, -1
; %bb.3059:
	s_or_b64 exec, exec, s[8:9]
	s_and_b64 s[4:5], s[4:5], exec
                                        ; implicit-def: $vgpr3
	s_or_saveexec_b64 s[6:7], s[6:7]
	v_mov_b32_e32 v2, s10
	s_xor_b64 exec, exec, s[6:7]
	s_cbranch_execz .LBB1_1010
.LBB1_3060:
	v_cmp_ne_u16_e32 vcc, 0, v3
	s_andn2_b64 s[4:5], s[4:5], exec
	s_and_b64 s[8:9], vcc, exec
	v_mov_b32_e32 v2, 0
	s_or_b64 s[4:5], s[4:5], s[8:9]
	s_or_b64 exec, exec, s[6:7]
	s_and_saveexec_b64 s[6:7], s[4:5]
	s_cbranch_execnz .LBB1_1011
	s_branch .LBB1_1012
.LBB1_3061:
	s_movk_i32 s4, 0x80
	v_cmp_eq_u16_e32 vcc, s4, v3
	s_mov_b64 s[4:5], -1
                                        ; implicit-def: $sgpr10
	s_and_saveexec_b64 s[8:9], vcc
; %bb.3062:
	s_mov_b32 s10, 0x7f800001
	s_xor_b64 s[4:5], exec, -1
; %bb.3063:
	s_or_b64 exec, exec, s[8:9]
	s_and_b64 s[4:5], s[4:5], exec
                                        ; implicit-def: $vgpr3
	s_or_saveexec_b64 s[6:7], s[6:7]
	v_mov_b32_e32 v4, s10
	s_xor_b64 exec, exec, s[6:7]
	s_cbranch_execz .LBB1_1014
.LBB1_3064:
	v_cmp_ne_u16_e32 vcc, 0, v3
	s_andn2_b64 s[4:5], s[4:5], exec
	s_and_b64 s[8:9], vcc, exec
	v_mov_b32_e32 v4, 0
	s_or_b64 s[4:5], s[4:5], s[8:9]
	s_or_b64 exec, exec, s[6:7]
	s_and_saveexec_b64 s[6:7], s[4:5]
	s_cbranch_execnz .LBB1_1015
	s_branch .LBB1_1016
.LBB1_3065:
	s_movk_i32 s4, 0x80
	v_cmp_eq_u16_sdwa s[12:13], v9, s4 src0_sel:BYTE_3 src1_sel:DWORD
	s_mov_b64 s[4:5], -1
                                        ; implicit-def: $sgpr10
	s_and_saveexec_b64 s[8:9], s[12:13]
; %bb.3066:
	s_mov_b32 s10, 0x7f800001
	s_xor_b64 s[4:5], exec, -1
; %bb.3067:
	s_or_b64 exec, exec, s[8:9]
	s_and_b64 s[4:5], s[4:5], exec
	s_or_saveexec_b64 s[6:7], s[6:7]
	v_mov_b32_e32 v2, s10
	s_xor_b64 exec, exec, s[6:7]
	s_cbranch_execz .LBB1_1018
.LBB1_3068:
	v_mov_b32_e32 v2, 0
	v_cmp_ne_u16_sdwa s[8:9], v9, v2 src0_sel:BYTE_3 src1_sel:DWORD
	s_andn2_b64 s[4:5], s[4:5], exec
	s_and_b64 s[8:9], s[8:9], exec
	s_or_b64 s[4:5], s[4:5], s[8:9]
	s_or_b64 exec, exec, s[6:7]
	s_and_saveexec_b64 s[6:7], s[4:5]
	s_cbranch_execnz .LBB1_1019
	s_branch .LBB1_1020
.LBB1_3069:
	s_movk_i32 s4, 0x80
	v_cmp_eq_u16_sdwa s[12:13], v5, s4 src0_sel:BYTE_3 src1_sel:DWORD
	s_mov_b64 s[4:5], -1
                                        ; implicit-def: $sgpr10
	s_and_saveexec_b64 s[8:9], s[12:13]
; %bb.3070:
	s_mov_b32 s10, 0x7f800001
	s_xor_b64 s[4:5], exec, -1
; %bb.3071:
	s_or_b64 exec, exec, s[8:9]
	s_and_b64 s[4:5], s[4:5], exec
	s_or_saveexec_b64 s[6:7], s[6:7]
	v_mov_b32_e32 v3, s10
	s_xor_b64 exec, exec, s[6:7]
	s_cbranch_execz .LBB1_1022
.LBB1_3072:
	v_mov_b32_e32 v3, 0
	v_cmp_ne_u16_sdwa s[8:9], v5, v3 src0_sel:BYTE_3 src1_sel:DWORD
	s_andn2_b64 s[4:5], s[4:5], exec
	s_and_b64 s[8:9], s[8:9], exec
	s_or_b64 s[4:5], s[4:5], s[8:9]
	s_or_b64 exec, exec, s[6:7]
	s_and_saveexec_b64 s[6:7], s[4:5]
	s_cbranch_execnz .LBB1_1023
	s_branch .LBB1_1024
.LBB1_3073:
	s_movk_i32 s4, 0x80
	v_cmp_eq_u16_sdwa s[12:13], v14, s4 src0_sel:BYTE_0 src1_sel:DWORD
	s_mov_b64 s[4:5], -1
                                        ; implicit-def: $sgpr10
	s_and_saveexec_b64 s[8:9], s[12:13]
; %bb.3074:
	s_mov_b32 s10, 0x7f800001
	s_xor_b64 s[4:5], exec, -1
; %bb.3075:
	s_or_b64 exec, exec, s[8:9]
	s_and_b64 s[4:5], s[4:5], exec
	s_or_saveexec_b64 s[6:7], s[6:7]
	v_mov_b32_e32 v20, s10
	s_xor_b64 exec, exec, s[6:7]
	s_cbranch_execz .LBB1_1026
.LBB1_3076:
	v_mov_b32_e32 v20, 0
	v_cmp_ne_u16_sdwa s[8:9], v14, v20 src0_sel:BYTE_0 src1_sel:DWORD
	s_andn2_b64 s[4:5], s[4:5], exec
	s_and_b64 s[8:9], s[8:9], exec
	s_or_b64 s[4:5], s[4:5], s[8:9]
	s_or_b64 exec, exec, s[6:7]
	s_and_saveexec_b64 s[6:7], s[4:5]
	s_cbranch_execnz .LBB1_1027
	s_branch .LBB1_1028
.LBB1_3077:
	s_movk_i32 s4, 0x80
	v_cmp_eq_u16_sdwa s[12:13], v10, s4 src0_sel:BYTE_0 src1_sel:DWORD
	s_mov_b64 s[4:5], -1
                                        ; implicit-def: $sgpr10
	s_and_saveexec_b64 s[8:9], s[12:13]
; %bb.3078:
	s_mov_b32 s10, 0x7f800001
	s_xor_b64 s[4:5], exec, -1
; %bb.3079:
	s_or_b64 exec, exec, s[8:9]
	s_and_b64 s[4:5], s[4:5], exec
	s_or_saveexec_b64 s[6:7], s[6:7]
	v_mov_b32_e32 v21, s10
	s_xor_b64 exec, exec, s[6:7]
	s_cbranch_execz .LBB1_1030
.LBB1_3080:
	v_mov_b32_e32 v21, 0
	v_cmp_ne_u16_sdwa s[8:9], v10, v21 src0_sel:BYTE_0 src1_sel:DWORD
	s_andn2_b64 s[4:5], s[4:5], exec
	s_and_b64 s[8:9], s[8:9], exec
	s_or_b64 s[4:5], s[4:5], s[8:9]
	s_or_b64 exec, exec, s[6:7]
	s_and_saveexec_b64 s[6:7], s[4:5]
	s_cbranch_execnz .LBB1_1031
	s_branch .LBB1_1032
.LBB1_3081:
	s_movk_i32 s4, 0x80
	v_cmp_eq_u16_sdwa s[12:13], v21, s4 src0_sel:BYTE_0 src1_sel:DWORD
	s_mov_b64 s[4:5], -1
                                        ; implicit-def: $sgpr10
	s_and_saveexec_b64 s[8:9], s[12:13]
; %bb.3082:
	s_mov_b32 s10, 0x7f800001
	s_xor_b64 s[4:5], exec, -1
; %bb.3083:
	s_or_b64 exec, exec, s[8:9]
	s_and_b64 s[4:5], s[4:5], exec
	s_or_saveexec_b64 s[6:7], s[6:7]
	v_mov_b32_e32 v20, s10
	s_xor_b64 exec, exec, s[6:7]
	s_cbranch_execz .LBB1_1034
.LBB1_3084:
	v_mov_b32_e32 v20, 0
	v_cmp_ne_u16_sdwa s[8:9], v21, v20 src0_sel:BYTE_0 src1_sel:DWORD
	s_andn2_b64 s[4:5], s[4:5], exec
	s_and_b64 s[8:9], s[8:9], exec
	s_or_b64 s[4:5], s[4:5], s[8:9]
	s_or_b64 exec, exec, s[6:7]
	s_and_saveexec_b64 s[6:7], s[4:5]
	s_cbranch_execnz .LBB1_1035
	s_branch .LBB1_1036
.LBB1_3085:
	s_movk_i32 s4, 0x80
	v_cmp_eq_u16_sdwa s[12:13], v21, s4 src0_sel:BYTE_0 src1_sel:DWORD
	s_mov_b64 s[4:5], -1
                                        ; implicit-def: $sgpr10
	s_and_saveexec_b64 s[8:9], s[12:13]
; %bb.3086:
	s_mov_b32 s10, 0x7f800001
	s_xor_b64 s[4:5], exec, -1
; %bb.3087:
	s_or_b64 exec, exec, s[8:9]
	s_and_b64 s[4:5], s[4:5], exec
	s_or_saveexec_b64 s[6:7], s[6:7]
	v_mov_b32_e32 v22, s10
	s_xor_b64 exec, exec, s[6:7]
	s_cbranch_execz .LBB1_1038
.LBB1_3088:
	v_mov_b32_e32 v22, 0
	v_cmp_ne_u16_sdwa s[8:9], v21, v22 src0_sel:BYTE_0 src1_sel:DWORD
	s_andn2_b64 s[4:5], s[4:5], exec
	s_and_b64 s[8:9], s[8:9], exec
	s_or_b64 s[4:5], s[4:5], s[8:9]
	s_or_b64 exec, exec, s[6:7]
	s_and_saveexec_b64 s[6:7], s[4:5]
	s_cbranch_execnz .LBB1_1039
	s_branch .LBB1_1040
.LBB1_3089:
	s_movk_i32 s4, 0x80
	v_cmp_eq_u16_e32 vcc, s4, v21
	s_mov_b64 s[4:5], -1
                                        ; implicit-def: $sgpr10
	s_and_saveexec_b64 s[8:9], vcc
; %bb.3090:
	s_mov_b32 s10, 0x7f800001
	s_xor_b64 s[4:5], exec, -1
; %bb.3091:
	s_or_b64 exec, exec, s[8:9]
	s_and_b64 s[4:5], s[4:5], exec
                                        ; implicit-def: $vgpr21
	s_or_saveexec_b64 s[6:7], s[6:7]
	v_mov_b32_e32 v20, s10
	s_xor_b64 exec, exec, s[6:7]
	s_cbranch_execz .LBB1_1042
.LBB1_3092:
	v_cmp_ne_u16_e32 vcc, 0, v21
	s_andn2_b64 s[4:5], s[4:5], exec
	s_and_b64 s[8:9], vcc, exec
	v_mov_b32_e32 v20, 0
	s_or_b64 s[4:5], s[4:5], s[8:9]
	s_or_b64 exec, exec, s[6:7]
	s_and_saveexec_b64 s[6:7], s[4:5]
	s_cbranch_execnz .LBB1_1043
	s_branch .LBB1_1044
.LBB1_3093:
	s_movk_i32 s4, 0x80
	v_cmp_eq_u16_e32 vcc, s4, v21
	s_mov_b64 s[4:5], -1
                                        ; implicit-def: $sgpr10
	s_and_saveexec_b64 s[8:9], vcc
; %bb.3094:
	s_mov_b32 s10, 0x7f800001
	s_xor_b64 s[4:5], exec, -1
; %bb.3095:
	s_or_b64 exec, exec, s[8:9]
	s_and_b64 s[4:5], s[4:5], exec
                                        ; implicit-def: $vgpr21
	s_or_saveexec_b64 s[6:7], s[6:7]
	v_mov_b32_e32 v22, s10
	s_xor_b64 exec, exec, s[6:7]
	s_cbranch_execz .LBB1_1046
.LBB1_3096:
	v_cmp_ne_u16_e32 vcc, 0, v21
	s_andn2_b64 s[4:5], s[4:5], exec
	s_and_b64 s[8:9], vcc, exec
	v_mov_b32_e32 v22, 0
	s_or_b64 s[4:5], s[4:5], s[8:9]
	s_or_b64 exec, exec, s[6:7]
	s_and_saveexec_b64 s[6:7], s[4:5]
	s_cbranch_execnz .LBB1_1047
	s_branch .LBB1_1048
.LBB1_3097:
	s_movk_i32 s4, 0x80
	v_cmp_eq_u16_sdwa s[12:13], v14, s4 src0_sel:BYTE_3 src1_sel:DWORD
	s_mov_b64 s[4:5], -1
                                        ; implicit-def: $sgpr10
	s_and_saveexec_b64 s[8:9], s[12:13]
; %bb.3098:
	s_mov_b32 s10, 0x7f800001
	s_xor_b64 s[4:5], exec, -1
; %bb.3099:
	s_or_b64 exec, exec, s[8:9]
	s_and_b64 s[4:5], s[4:5], exec
	s_or_saveexec_b64 s[6:7], s[6:7]
	v_mov_b32_e32 v20, s10
	s_xor_b64 exec, exec, s[6:7]
	s_cbranch_execz .LBB1_1050
.LBB1_3100:
	v_mov_b32_e32 v20, 0
	v_cmp_ne_u16_sdwa s[8:9], v14, v20 src0_sel:BYTE_3 src1_sel:DWORD
	s_andn2_b64 s[4:5], s[4:5], exec
	s_and_b64 s[8:9], s[8:9], exec
	s_or_b64 s[4:5], s[4:5], s[8:9]
	s_or_b64 exec, exec, s[6:7]
	s_and_saveexec_b64 s[6:7], s[4:5]
	s_cbranch_execnz .LBB1_1051
	s_branch .LBB1_1052
.LBB1_3101:
	s_movk_i32 s4, 0x80
	v_cmp_eq_u16_sdwa s[12:13], v10, s4 src0_sel:BYTE_3 src1_sel:DWORD
	s_mov_b64 s[4:5], -1
                                        ; implicit-def: $sgpr10
	s_and_saveexec_b64 s[8:9], s[12:13]
; %bb.3102:
	s_mov_b32 s10, 0x7f800001
	s_xor_b64 s[4:5], exec, -1
; %bb.3103:
	s_or_b64 exec, exec, s[8:9]
	s_and_b64 s[4:5], s[4:5], exec
	s_or_saveexec_b64 s[6:7], s[6:7]
	v_mov_b32_e32 v14, s10
	s_xor_b64 exec, exec, s[6:7]
	s_cbranch_execz .LBB1_1054
.LBB1_3104:
	v_mov_b32_e32 v14, 0
	v_cmp_ne_u16_sdwa s[8:9], v10, v14 src0_sel:BYTE_3 src1_sel:DWORD
	s_andn2_b64 s[4:5], s[4:5], exec
	s_and_b64 s[8:9], s[8:9], exec
	s_or_b64 s[4:5], s[4:5], s[8:9]
	s_or_b64 exec, exec, s[6:7]
	s_and_saveexec_b64 s[6:7], s[4:5]
	s_cbranch_execnz .LBB1_1055
	s_branch .LBB1_1056
.LBB1_3105:
	s_movk_i32 s4, 0x80
	v_cmp_eq_u16_sdwa s[12:13], v15, s4 src0_sel:BYTE_0 src1_sel:DWORD
	s_mov_b64 s[4:5], -1
                                        ; implicit-def: $sgpr10
	s_and_saveexec_b64 s[8:9], s[12:13]
; %bb.3106:
	s_mov_b32 s10, 0x7f800001
	s_xor_b64 s[4:5], exec, -1
; %bb.3107:
	s_or_b64 exec, exec, s[8:9]
	s_and_b64 s[4:5], s[4:5], exec
	s_or_saveexec_b64 s[6:7], s[6:7]
	v_mov_b32_e32 v10, s10
	s_xor_b64 exec, exec, s[6:7]
	s_cbranch_execz .LBB1_1058
.LBB1_3108:
	v_mov_b32_e32 v10, 0
	v_cmp_ne_u16_sdwa s[8:9], v15, v10 src0_sel:BYTE_0 src1_sel:DWORD
	s_andn2_b64 s[4:5], s[4:5], exec
	s_and_b64 s[8:9], s[8:9], exec
	s_or_b64 s[4:5], s[4:5], s[8:9]
	s_or_b64 exec, exec, s[6:7]
	s_and_saveexec_b64 s[6:7], s[4:5]
	s_cbranch_execnz .LBB1_1059
	s_branch .LBB1_1060
.LBB1_3109:
	s_movk_i32 s4, 0x80
	v_cmp_eq_u16_sdwa s[12:13], v11, s4 src0_sel:BYTE_0 src1_sel:DWORD
	s_mov_b64 s[4:5], -1
                                        ; implicit-def: $sgpr10
	s_and_saveexec_b64 s[8:9], s[12:13]
; %bb.3110:
	s_mov_b32 s10, 0x7f800001
	s_xor_b64 s[4:5], exec, -1
; %bb.3111:
	s_or_b64 exec, exec, s[8:9]
	s_and_b64 s[4:5], s[4:5], exec
	s_or_saveexec_b64 s[6:7], s[6:7]
	v_mov_b32_e32 v14, s10
	s_xor_b64 exec, exec, s[6:7]
	s_cbranch_execz .LBB1_1062
.LBB1_3112:
	v_mov_b32_e32 v14, 0
	v_cmp_ne_u16_sdwa s[8:9], v11, v14 src0_sel:BYTE_0 src1_sel:DWORD
	s_andn2_b64 s[4:5], s[4:5], exec
	s_and_b64 s[8:9], s[8:9], exec
	s_or_b64 s[4:5], s[4:5], s[8:9]
	s_or_b64 exec, exec, s[6:7]
	s_and_saveexec_b64 s[6:7], s[4:5]
	s_cbranch_execnz .LBB1_1063
	s_branch .LBB1_1064
.LBB1_3113:
	s_movk_i32 s4, 0x80
	v_cmp_eq_u16_sdwa s[12:13], v14, s4 src0_sel:BYTE_0 src1_sel:DWORD
	s_mov_b64 s[4:5], -1
                                        ; implicit-def: $sgpr10
	s_and_saveexec_b64 s[8:9], s[12:13]
; %bb.3114:
	s_mov_b32 s10, 0x7f800001
	s_xor_b64 s[4:5], exec, -1
; %bb.3115:
	s_or_b64 exec, exec, s[8:9]
	s_and_b64 s[4:5], s[4:5], exec
	s_or_saveexec_b64 s[6:7], s[6:7]
	v_mov_b32_e32 v10, s10
	s_xor_b64 exec, exec, s[6:7]
	s_cbranch_execz .LBB1_1066
.LBB1_3116:
	v_mov_b32_e32 v10, 0
	v_cmp_ne_u16_sdwa s[8:9], v14, v10 src0_sel:BYTE_0 src1_sel:DWORD
	s_andn2_b64 s[4:5], s[4:5], exec
	s_and_b64 s[8:9], s[8:9], exec
	s_or_b64 s[4:5], s[4:5], s[8:9]
	s_or_b64 exec, exec, s[6:7]
	s_and_saveexec_b64 s[6:7], s[4:5]
	s_cbranch_execnz .LBB1_1067
	s_branch .LBB1_1068
.LBB1_3117:
	s_movk_i32 s4, 0x80
	v_cmp_eq_u16_sdwa s[12:13], v14, s4 src0_sel:BYTE_0 src1_sel:DWORD
	s_mov_b64 s[4:5], -1
                                        ; implicit-def: $sgpr10
	s_and_saveexec_b64 s[8:9], s[12:13]
; %bb.3118:
	s_mov_b32 s10, 0x7f800001
	s_xor_b64 s[4:5], exec, -1
; %bb.3119:
	s_or_b64 exec, exec, s[8:9]
	s_and_b64 s[4:5], s[4:5], exec
	s_or_saveexec_b64 s[6:7], s[6:7]
	v_mov_b32_e32 v20, s10
	s_xor_b64 exec, exec, s[6:7]
	s_cbranch_execz .LBB1_1070
.LBB1_3120:
	v_mov_b32_e32 v20, 0
	v_cmp_ne_u16_sdwa s[8:9], v14, v20 src0_sel:BYTE_0 src1_sel:DWORD
	s_andn2_b64 s[4:5], s[4:5], exec
	s_and_b64 s[8:9], s[8:9], exec
	s_or_b64 s[4:5], s[4:5], s[8:9]
	s_or_b64 exec, exec, s[6:7]
	s_and_saveexec_b64 s[6:7], s[4:5]
	s_cbranch_execnz .LBB1_1071
	s_branch .LBB1_1072
.LBB1_3121:
	s_movk_i32 s4, 0x80
	v_cmp_eq_u16_e32 vcc, s4, v14
	s_mov_b64 s[4:5], -1
                                        ; implicit-def: $sgpr10
	s_and_saveexec_b64 s[8:9], vcc
; %bb.3122:
	s_mov_b32 s10, 0x7f800001
	s_xor_b64 s[4:5], exec, -1
; %bb.3123:
	s_or_b64 exec, exec, s[8:9]
	s_and_b64 s[4:5], s[4:5], exec
                                        ; implicit-def: $vgpr14
	s_or_saveexec_b64 s[6:7], s[6:7]
	v_mov_b32_e32 v10, s10
	s_xor_b64 exec, exec, s[6:7]
	s_cbranch_execz .LBB1_1074
.LBB1_3124:
	v_cmp_ne_u16_e32 vcc, 0, v14
	s_andn2_b64 s[4:5], s[4:5], exec
	s_and_b64 s[8:9], vcc, exec
	v_mov_b32_e32 v10, 0
	s_or_b64 s[4:5], s[4:5], s[8:9]
	s_or_b64 exec, exec, s[6:7]
	s_and_saveexec_b64 s[6:7], s[4:5]
	s_cbranch_execnz .LBB1_1075
	s_branch .LBB1_1076
.LBB1_3125:
	s_movk_i32 s4, 0x80
	v_cmp_eq_u16_e32 vcc, s4, v14
	s_mov_b64 s[4:5], -1
                                        ; implicit-def: $sgpr10
	s_and_saveexec_b64 s[8:9], vcc
; %bb.3126:
	s_mov_b32 s10, 0x7f800001
	s_xor_b64 s[4:5], exec, -1
; %bb.3127:
	s_or_b64 exec, exec, s[8:9]
	s_and_b64 s[4:5], s[4:5], exec
                                        ; implicit-def: $vgpr14
	s_or_saveexec_b64 s[6:7], s[6:7]
	v_mov_b32_e32 v20, s10
	s_xor_b64 exec, exec, s[6:7]
	s_cbranch_execz .LBB1_1078
.LBB1_3128:
	v_cmp_ne_u16_e32 vcc, 0, v14
	s_andn2_b64 s[4:5], s[4:5], exec
	s_and_b64 s[8:9], vcc, exec
	v_mov_b32_e32 v20, 0
	s_or_b64 s[4:5], s[4:5], s[8:9]
	s_or_b64 exec, exec, s[6:7]
	s_and_saveexec_b64 s[6:7], s[4:5]
	s_cbranch_execnz .LBB1_1079
	s_branch .LBB1_1080
.LBB1_3129:
	s_movk_i32 s4, 0x80
	v_cmp_eq_u16_sdwa s[12:13], v15, s4 src0_sel:BYTE_3 src1_sel:DWORD
	s_mov_b64 s[4:5], -1
                                        ; implicit-def: $sgpr10
	s_and_saveexec_b64 s[8:9], s[12:13]
; %bb.3130:
	s_mov_b32 s10, 0x7f800001
	s_xor_b64 s[4:5], exec, -1
; %bb.3131:
	s_or_b64 exec, exec, s[8:9]
	s_and_b64 s[4:5], s[4:5], exec
	s_or_saveexec_b64 s[6:7], s[6:7]
	v_mov_b32_e32 v10, s10
	s_xor_b64 exec, exec, s[6:7]
	s_cbranch_execz .LBB1_1082
.LBB1_3132:
	v_mov_b32_e32 v10, 0
	v_cmp_ne_u16_sdwa s[8:9], v15, v10 src0_sel:BYTE_3 src1_sel:DWORD
	s_andn2_b64 s[4:5], s[4:5], exec
	s_and_b64 s[8:9], s[8:9], exec
	s_or_b64 s[4:5], s[4:5], s[8:9]
	s_or_b64 exec, exec, s[6:7]
	s_and_saveexec_b64 s[6:7], s[4:5]
	s_cbranch_execnz .LBB1_1083
	s_branch .LBB1_1084
.LBB1_3133:
	s_movk_i32 s4, 0x80
	v_cmp_eq_u16_sdwa s[12:13], v11, s4 src0_sel:BYTE_3 src1_sel:DWORD
	s_mov_b64 s[4:5], -1
                                        ; implicit-def: $sgpr10
	s_and_saveexec_b64 s[8:9], s[12:13]
; %bb.3134:
	s_mov_b32 s10, 0x7f800001
	s_xor_b64 s[4:5], exec, -1
; %bb.3135:
	s_or_b64 exec, exec, s[8:9]
	s_and_b64 s[4:5], s[4:5], exec
	s_or_saveexec_b64 s[6:7], s[6:7]
	v_mov_b32_e32 v14, s10
	s_xor_b64 exec, exec, s[6:7]
	s_cbranch_execz .LBB1_1086
.LBB1_3136:
	v_mov_b32_e32 v14, 0
	v_cmp_ne_u16_sdwa s[8:9], v11, v14 src0_sel:BYTE_3 src1_sel:DWORD
	s_andn2_b64 s[4:5], s[4:5], exec
	s_and_b64 s[8:9], s[8:9], exec
	s_or_b64 s[4:5], s[4:5], s[8:9]
	s_or_b64 exec, exec, s[6:7]
	s_and_saveexec_b64 s[6:7], s[4:5]
	s_cbranch_execnz .LBB1_1087
	s_branch .LBB1_1088
.LBB1_3137:
	s_movk_i32 s4, 0x80
	v_cmp_eq_u16_sdwa s[12:13], v16, s4 src0_sel:BYTE_0 src1_sel:DWORD
	s_mov_b64 s[4:5], -1
                                        ; implicit-def: $sgpr10
	s_and_saveexec_b64 s[8:9], s[12:13]
; %bb.3138:
	s_mov_b32 s10, 0x7f800001
	s_xor_b64 s[4:5], exec, -1
; %bb.3139:
	s_or_b64 exec, exec, s[8:9]
	s_and_b64 s[4:5], s[4:5], exec
	s_or_saveexec_b64 s[6:7], s[6:7]
	v_mov_b32_e32 v10, s10
	s_xor_b64 exec, exec, s[6:7]
	s_cbranch_execz .LBB1_1090
.LBB1_3140:
	v_mov_b32_e32 v10, 0
	v_cmp_ne_u16_sdwa s[8:9], v16, v10 src0_sel:BYTE_0 src1_sel:DWORD
	s_andn2_b64 s[4:5], s[4:5], exec
	s_and_b64 s[8:9], s[8:9], exec
	s_or_b64 s[4:5], s[4:5], s[8:9]
	s_or_b64 exec, exec, s[6:7]
	s_and_saveexec_b64 s[6:7], s[4:5]
	s_cbranch_execnz .LBB1_1091
	s_branch .LBB1_1092
.LBB1_3141:
	s_movk_i32 s4, 0x80
	v_cmp_eq_u16_sdwa s[12:13], v12, s4 src0_sel:BYTE_0 src1_sel:DWORD
	s_mov_b64 s[4:5], -1
                                        ; implicit-def: $sgpr10
	s_and_saveexec_b64 s[8:9], s[12:13]
; %bb.3142:
	s_mov_b32 s10, 0x7f800001
	s_xor_b64 s[4:5], exec, -1
; %bb.3143:
	s_or_b64 exec, exec, s[8:9]
	s_and_b64 s[4:5], s[4:5], exec
	s_or_saveexec_b64 s[6:7], s[6:7]
	v_mov_b32_e32 v11, s10
	s_xor_b64 exec, exec, s[6:7]
	s_cbranch_execz .LBB1_1094
.LBB1_3144:
	v_mov_b32_e32 v11, 0
	v_cmp_ne_u16_sdwa s[8:9], v12, v11 src0_sel:BYTE_0 src1_sel:DWORD
	s_andn2_b64 s[4:5], s[4:5], exec
	s_and_b64 s[8:9], s[8:9], exec
	s_or_b64 s[4:5], s[4:5], s[8:9]
	s_or_b64 exec, exec, s[6:7]
	s_and_saveexec_b64 s[6:7], s[4:5]
	s_cbranch_execnz .LBB1_1095
	s_branch .LBB1_1096
.LBB1_3145:
	s_movk_i32 s4, 0x80
	v_cmp_eq_u16_sdwa s[12:13], v11, s4 src0_sel:BYTE_0 src1_sel:DWORD
	s_mov_b64 s[4:5], -1
                                        ; implicit-def: $sgpr10
	s_and_saveexec_b64 s[8:9], s[12:13]
; %bb.3146:
	s_mov_b32 s10, 0x7f800001
	s_xor_b64 s[4:5], exec, -1
; %bb.3147:
	s_or_b64 exec, exec, s[8:9]
	s_and_b64 s[4:5], s[4:5], exec
	s_or_saveexec_b64 s[6:7], s[6:7]
	v_mov_b32_e32 v10, s10
	s_xor_b64 exec, exec, s[6:7]
	s_cbranch_execz .LBB1_1098
.LBB1_3148:
	v_mov_b32_e32 v10, 0
	v_cmp_ne_u16_sdwa s[8:9], v11, v10 src0_sel:BYTE_0 src1_sel:DWORD
	s_andn2_b64 s[4:5], s[4:5], exec
	s_and_b64 s[8:9], s[8:9], exec
	s_or_b64 s[4:5], s[4:5], s[8:9]
	s_or_b64 exec, exec, s[6:7]
	s_and_saveexec_b64 s[6:7], s[4:5]
	s_cbranch_execnz .LBB1_1099
	s_branch .LBB1_1100
.LBB1_3149:
	s_movk_i32 s4, 0x80
	v_cmp_eq_u16_sdwa s[12:13], v11, s4 src0_sel:BYTE_0 src1_sel:DWORD
	s_mov_b64 s[4:5], -1
                                        ; implicit-def: $sgpr10
	s_and_saveexec_b64 s[8:9], s[12:13]
; %bb.3150:
	s_mov_b32 s10, 0x7f800001
	s_xor_b64 s[4:5], exec, -1
; %bb.3151:
	s_or_b64 exec, exec, s[8:9]
	s_and_b64 s[4:5], s[4:5], exec
	s_or_saveexec_b64 s[6:7], s[6:7]
	v_mov_b32_e32 v14, s10
	s_xor_b64 exec, exec, s[6:7]
	s_cbranch_execz .LBB1_1102
.LBB1_3152:
	v_mov_b32_e32 v14, 0
	v_cmp_ne_u16_sdwa s[8:9], v11, v14 src0_sel:BYTE_0 src1_sel:DWORD
	s_andn2_b64 s[4:5], s[4:5], exec
	s_and_b64 s[8:9], s[8:9], exec
	s_or_b64 s[4:5], s[4:5], s[8:9]
	s_or_b64 exec, exec, s[6:7]
	s_and_saveexec_b64 s[6:7], s[4:5]
	s_cbranch_execnz .LBB1_1103
	s_branch .LBB1_1104
.LBB1_3153:
	s_movk_i32 s4, 0x80
	v_cmp_eq_u16_e32 vcc, s4, v11
	s_mov_b64 s[4:5], -1
                                        ; implicit-def: $sgpr10
	s_and_saveexec_b64 s[8:9], vcc
; %bb.3154:
	s_mov_b32 s10, 0x7f800001
	s_xor_b64 s[4:5], exec, -1
; %bb.3155:
	s_or_b64 exec, exec, s[8:9]
	s_and_b64 s[4:5], s[4:5], exec
                                        ; implicit-def: $vgpr11
	s_or_saveexec_b64 s[6:7], s[6:7]
	v_mov_b32_e32 v10, s10
	s_xor_b64 exec, exec, s[6:7]
	s_cbranch_execz .LBB1_1106
.LBB1_3156:
	v_cmp_ne_u16_e32 vcc, 0, v11
	s_andn2_b64 s[4:5], s[4:5], exec
	s_and_b64 s[8:9], vcc, exec
	v_mov_b32_e32 v10, 0
	s_or_b64 s[4:5], s[4:5], s[8:9]
	s_or_b64 exec, exec, s[6:7]
	s_and_saveexec_b64 s[6:7], s[4:5]
	s_cbranch_execnz .LBB1_1107
	s_branch .LBB1_1108
.LBB1_3157:
	s_movk_i32 s4, 0x80
	v_cmp_eq_u16_e32 vcc, s4, v11
	s_mov_b64 s[4:5], -1
                                        ; implicit-def: $sgpr10
	s_and_saveexec_b64 s[8:9], vcc
; %bb.3158:
	s_mov_b32 s10, 0x7f800001
	s_xor_b64 s[4:5], exec, -1
; %bb.3159:
	s_or_b64 exec, exec, s[8:9]
	s_and_b64 s[4:5], s[4:5], exec
                                        ; implicit-def: $vgpr11
	s_or_saveexec_b64 s[6:7], s[6:7]
	v_mov_b32_e32 v14, s10
	s_xor_b64 exec, exec, s[6:7]
	s_cbranch_execz .LBB1_1110
.LBB1_3160:
	v_cmp_ne_u16_e32 vcc, 0, v11
	s_andn2_b64 s[4:5], s[4:5], exec
	s_and_b64 s[8:9], vcc, exec
	v_mov_b32_e32 v14, 0
	s_or_b64 s[4:5], s[4:5], s[8:9]
	s_or_b64 exec, exec, s[6:7]
	s_and_saveexec_b64 s[6:7], s[4:5]
	s_cbranch_execnz .LBB1_1111
	s_branch .LBB1_1112
.LBB1_3161:
	s_movk_i32 s4, 0x80
	v_cmp_eq_u16_sdwa s[12:13], v16, s4 src0_sel:BYTE_3 src1_sel:DWORD
	s_mov_b64 s[4:5], -1
                                        ; implicit-def: $sgpr10
	s_and_saveexec_b64 s[8:9], s[12:13]
; %bb.3162:
	s_mov_b32 s10, 0x7f800001
	s_xor_b64 s[4:5], exec, -1
; %bb.3163:
	s_or_b64 exec, exec, s[8:9]
	s_and_b64 s[4:5], s[4:5], exec
	s_or_saveexec_b64 s[6:7], s[6:7]
	v_mov_b32_e32 v10, s10
	s_xor_b64 exec, exec, s[6:7]
	s_cbranch_execz .LBB1_1114
.LBB1_3164:
	v_mov_b32_e32 v10, 0
	v_cmp_ne_u16_sdwa s[8:9], v16, v10 src0_sel:BYTE_3 src1_sel:DWORD
	s_andn2_b64 s[4:5], s[4:5], exec
	s_and_b64 s[8:9], s[8:9], exec
	s_or_b64 s[4:5], s[4:5], s[8:9]
	s_or_b64 exec, exec, s[6:7]
	s_and_saveexec_b64 s[6:7], s[4:5]
	s_cbranch_execnz .LBB1_1115
	s_branch .LBB1_1116
.LBB1_3165:
	s_movk_i32 s4, 0x80
	v_cmp_eq_u16_sdwa s[12:13], v12, s4 src0_sel:BYTE_3 src1_sel:DWORD
	s_mov_b64 s[4:5], -1
                                        ; implicit-def: $sgpr10
	s_and_saveexec_b64 s[8:9], s[12:13]
; %bb.3166:
	s_mov_b32 s10, 0x7f800001
	s_xor_b64 s[4:5], exec, -1
; %bb.3167:
	s_or_b64 exec, exec, s[8:9]
	s_and_b64 s[4:5], s[4:5], exec
	s_or_saveexec_b64 s[6:7], s[6:7]
	v_mov_b32_e32 v11, s10
	s_xor_b64 exec, exec, s[6:7]
	s_cbranch_execz .LBB1_1118
.LBB1_3168:
	v_mov_b32_e32 v11, 0
	v_cmp_ne_u16_sdwa s[8:9], v12, v11 src0_sel:BYTE_3 src1_sel:DWORD
	s_andn2_b64 s[4:5], s[4:5], exec
	s_and_b64 s[8:9], s[8:9], exec
	s_or_b64 s[4:5], s[4:5], s[8:9]
	s_or_b64 exec, exec, s[6:7]
	s_and_saveexec_b64 s[6:7], s[4:5]
	s_cbranch_execnz .LBB1_1119
	s_branch .LBB1_1120
.LBB1_3169:
	s_movk_i32 s4, 0x80
	v_cmp_eq_u16_sdwa s[12:13], v17, s4 src0_sel:BYTE_0 src1_sel:DWORD
	s_mov_b64 s[4:5], -1
                                        ; implicit-def: $sgpr10
	s_and_saveexec_b64 s[8:9], s[12:13]
; %bb.3170:
	s_mov_b32 s10, 0x7f800001
	s_xor_b64 s[4:5], exec, -1
; %bb.3171:
	s_or_b64 exec, exec, s[8:9]
	s_and_b64 s[4:5], s[4:5], exec
	s_or_saveexec_b64 s[6:7], s[6:7]
	v_mov_b32_e32 v10, s10
	s_xor_b64 exec, exec, s[6:7]
	s_cbranch_execz .LBB1_1122
.LBB1_3172:
	v_mov_b32_e32 v10, 0
	v_cmp_ne_u16_sdwa s[8:9], v17, v10 src0_sel:BYTE_0 src1_sel:DWORD
	s_andn2_b64 s[4:5], s[4:5], exec
	s_and_b64 s[8:9], s[8:9], exec
	s_or_b64 s[4:5], s[4:5], s[8:9]
	s_or_b64 exec, exec, s[6:7]
	s_and_saveexec_b64 s[6:7], s[4:5]
	s_cbranch_execnz .LBB1_1123
	s_branch .LBB1_1124
.LBB1_3173:
	s_movk_i32 s4, 0x80
	v_cmp_eq_u16_sdwa s[12:13], v13, s4 src0_sel:BYTE_0 src1_sel:DWORD
	s_mov_b64 s[4:5], -1
                                        ; implicit-def: $sgpr10
	s_and_saveexec_b64 s[8:9], s[12:13]
; %bb.3174:
	s_mov_b32 s10, 0x7f800001
	s_xor_b64 s[4:5], exec, -1
; %bb.3175:
	s_or_b64 exec, exec, s[8:9]
	s_and_b64 s[4:5], s[4:5], exec
	s_or_saveexec_b64 s[6:7], s[6:7]
	v_mov_b32_e32 v11, s10
	s_xor_b64 exec, exec, s[6:7]
	s_cbranch_execz .LBB1_1126
.LBB1_3176:
	v_mov_b32_e32 v11, 0
	v_cmp_ne_u16_sdwa s[8:9], v13, v11 src0_sel:BYTE_0 src1_sel:DWORD
	s_andn2_b64 s[4:5], s[4:5], exec
	s_and_b64 s[8:9], s[8:9], exec
	s_or_b64 s[4:5], s[4:5], s[8:9]
	s_or_b64 exec, exec, s[6:7]
	s_and_saveexec_b64 s[6:7], s[4:5]
	s_cbranch_execnz .LBB1_1127
	s_branch .LBB1_1128
.LBB1_3177:
	s_movk_i32 s4, 0x80
	v_cmp_eq_u16_sdwa s[12:13], v11, s4 src0_sel:BYTE_0 src1_sel:DWORD
	s_mov_b64 s[4:5], -1
                                        ; implicit-def: $sgpr10
	s_and_saveexec_b64 s[8:9], s[12:13]
; %bb.3178:
	s_mov_b32 s10, 0x7f800001
	s_xor_b64 s[4:5], exec, -1
; %bb.3179:
	s_or_b64 exec, exec, s[8:9]
	s_and_b64 s[4:5], s[4:5], exec
	s_or_saveexec_b64 s[6:7], s[6:7]
	v_mov_b32_e32 v10, s10
	s_xor_b64 exec, exec, s[6:7]
	s_cbranch_execz .LBB1_1130
.LBB1_3180:
	v_mov_b32_e32 v10, 0
	v_cmp_ne_u16_sdwa s[8:9], v11, v10 src0_sel:BYTE_0 src1_sel:DWORD
	s_andn2_b64 s[4:5], s[4:5], exec
	s_and_b64 s[8:9], s[8:9], exec
	s_or_b64 s[4:5], s[4:5], s[8:9]
	s_or_b64 exec, exec, s[6:7]
	s_and_saveexec_b64 s[6:7], s[4:5]
	s_cbranch_execnz .LBB1_1131
	s_branch .LBB1_1132
.LBB1_3181:
	s_movk_i32 s4, 0x80
	v_cmp_eq_u16_sdwa s[12:13], v11, s4 src0_sel:BYTE_0 src1_sel:DWORD
	s_mov_b64 s[4:5], -1
                                        ; implicit-def: $sgpr10
	s_and_saveexec_b64 s[8:9], s[12:13]
; %bb.3182:
	s_mov_b32 s10, 0x7f800001
	s_xor_b64 s[4:5], exec, -1
; %bb.3183:
	s_or_b64 exec, exec, s[8:9]
	s_and_b64 s[4:5], s[4:5], exec
	s_or_saveexec_b64 s[6:7], s[6:7]
	v_mov_b32_e32 v12, s10
	s_xor_b64 exec, exec, s[6:7]
	s_cbranch_execz .LBB1_1134
.LBB1_3184:
	v_mov_b32_e32 v12, 0
	v_cmp_ne_u16_sdwa s[8:9], v11, v12 src0_sel:BYTE_0 src1_sel:DWORD
	s_andn2_b64 s[4:5], s[4:5], exec
	s_and_b64 s[8:9], s[8:9], exec
	s_or_b64 s[4:5], s[4:5], s[8:9]
	s_or_b64 exec, exec, s[6:7]
	s_and_saveexec_b64 s[6:7], s[4:5]
	s_cbranch_execnz .LBB1_1135
	s_branch .LBB1_1136
.LBB1_3185:
	s_movk_i32 s4, 0x80
	v_cmp_eq_u16_e32 vcc, s4, v11
	s_mov_b64 s[4:5], -1
                                        ; implicit-def: $sgpr10
	s_and_saveexec_b64 s[8:9], vcc
; %bb.3186:
	s_mov_b32 s10, 0x7f800001
	s_xor_b64 s[4:5], exec, -1
; %bb.3187:
	s_or_b64 exec, exec, s[8:9]
	s_and_b64 s[4:5], s[4:5], exec
                                        ; implicit-def: $vgpr11
	s_or_saveexec_b64 s[6:7], s[6:7]
	v_mov_b32_e32 v10, s10
	s_xor_b64 exec, exec, s[6:7]
	s_cbranch_execz .LBB1_1138
.LBB1_3188:
	v_cmp_ne_u16_e32 vcc, 0, v11
	s_andn2_b64 s[4:5], s[4:5], exec
	s_and_b64 s[8:9], vcc, exec
	v_mov_b32_e32 v10, 0
	s_or_b64 s[4:5], s[4:5], s[8:9]
	s_or_b64 exec, exec, s[6:7]
	s_and_saveexec_b64 s[6:7], s[4:5]
	s_cbranch_execnz .LBB1_1139
	s_branch .LBB1_1140
.LBB1_3189:
	s_movk_i32 s4, 0x80
	v_cmp_eq_u16_e32 vcc, s4, v11
	s_mov_b64 s[4:5], -1
                                        ; implicit-def: $sgpr10
	s_and_saveexec_b64 s[8:9], vcc
; %bb.3190:
	s_mov_b32 s10, 0x7f800001
	s_xor_b64 s[4:5], exec, -1
; %bb.3191:
	s_or_b64 exec, exec, s[8:9]
	s_and_b64 s[4:5], s[4:5], exec
                                        ; implicit-def: $vgpr11
	s_or_saveexec_b64 s[6:7], s[6:7]
	v_mov_b32_e32 v12, s10
	s_xor_b64 exec, exec, s[6:7]
	s_cbranch_execz .LBB1_1142
.LBB1_3192:
	v_cmp_ne_u16_e32 vcc, 0, v11
	s_andn2_b64 s[4:5], s[4:5], exec
	s_and_b64 s[8:9], vcc, exec
	v_mov_b32_e32 v12, 0
	s_or_b64 s[4:5], s[4:5], s[8:9]
	s_or_b64 exec, exec, s[6:7]
	s_and_saveexec_b64 s[6:7], s[4:5]
	s_cbranch_execnz .LBB1_1143
	s_branch .LBB1_1144
.LBB1_3193:
	s_movk_i32 s4, 0x80
	v_cmp_eq_u16_sdwa s[12:13], v17, s4 src0_sel:BYTE_3 src1_sel:DWORD
	s_mov_b64 s[4:5], -1
                                        ; implicit-def: $sgpr10
	s_and_saveexec_b64 s[8:9], s[12:13]
; %bb.3194:
	s_mov_b32 s10, 0x7f800001
	s_xor_b64 s[4:5], exec, -1
; %bb.3195:
	s_or_b64 exec, exec, s[8:9]
	s_and_b64 s[4:5], s[4:5], exec
	s_or_saveexec_b64 s[6:7], s[6:7]
	v_mov_b32_e32 v10, s10
	s_xor_b64 exec, exec, s[6:7]
	s_cbranch_execz .LBB1_1146
.LBB1_3196:
	v_mov_b32_e32 v10, 0
	v_cmp_ne_u16_sdwa s[8:9], v17, v10 src0_sel:BYTE_3 src1_sel:DWORD
	s_andn2_b64 s[4:5], s[4:5], exec
	s_and_b64 s[8:9], s[8:9], exec
	s_or_b64 s[4:5], s[4:5], s[8:9]
	s_or_b64 exec, exec, s[6:7]
	s_and_saveexec_b64 s[6:7], s[4:5]
	s_cbranch_execnz .LBB1_1147
	s_branch .LBB1_1148
.LBB1_3197:
	s_movk_i32 s4, 0x80
	v_cmp_eq_u16_sdwa s[12:13], v13, s4 src0_sel:BYTE_3 src1_sel:DWORD
	s_mov_b64 s[4:5], -1
                                        ; implicit-def: $sgpr10
	s_and_saveexec_b64 s[8:9], s[12:13]
; %bb.3198:
	s_mov_b32 s10, 0x7f800001
	s_xor_b64 s[4:5], exec, -1
; %bb.3199:
	s_or_b64 exec, exec, s[8:9]
	s_and_b64 s[4:5], s[4:5], exec
	s_or_saveexec_b64 s[6:7], s[6:7]
	v_mov_b32_e32 v11, s10
	s_xor_b64 exec, exec, s[6:7]
	s_cbranch_execz .LBB1_1150
.LBB1_3200:
	v_mov_b32_e32 v11, 0
	v_cmp_ne_u16_sdwa s[8:9], v13, v11 src0_sel:BYTE_3 src1_sel:DWORD
	s_andn2_b64 s[4:5], s[4:5], exec
	s_and_b64 s[8:9], s[8:9], exec
	s_or_b64 s[4:5], s[4:5], s[8:9]
	s_or_b64 exec, exec, s[6:7]
	s_and_saveexec_b64 s[6:7], s[4:5]
	s_cbranch_execnz .LBB1_1151
	s_branch .LBB1_1152
.LBB1_3201:
	s_movk_i32 s4, 0x80
	v_cmp_eq_u16_sdwa s[12:13], v6, s4 src0_sel:BYTE_0 src1_sel:DWORD
	s_mov_b64 s[4:5], -1
                                        ; implicit-def: $sgpr10
	s_and_saveexec_b64 s[8:9], s[12:13]
; %bb.3202:
	s_mov_b32 s10, 0x7f800001
	s_xor_b64 s[4:5], exec, -1
; %bb.3203:
	s_or_b64 exec, exec, s[8:9]
	s_and_b64 s[4:5], s[4:5], exec
	s_or_saveexec_b64 s[6:7], s[6:7]
	v_mov_b32_e32 v10, s10
	s_xor_b64 exec, exec, s[6:7]
	s_cbranch_execz .LBB1_1154
.LBB1_3204:
	v_mov_b32_e32 v10, 0
	v_cmp_ne_u16_sdwa s[8:9], v6, v10 src0_sel:BYTE_0 src1_sel:DWORD
	s_andn2_b64 s[4:5], s[4:5], exec
	s_and_b64 s[8:9], s[8:9], exec
	s_or_b64 s[4:5], s[4:5], s[8:9]
	s_or_b64 exec, exec, s[6:7]
	s_and_saveexec_b64 s[6:7], s[4:5]
	s_cbranch_execnz .LBB1_1155
	s_branch .LBB1_1156
.LBB1_3205:
	s_movk_i32 s4, 0x80
	v_cmp_eq_u16_sdwa s[12:13], v2, s4 src0_sel:BYTE_0 src1_sel:DWORD
	s_mov_b64 s[4:5], -1
                                        ; implicit-def: $sgpr10
	s_and_saveexec_b64 s[8:9], s[12:13]
; %bb.3206:
	s_mov_b32 s10, 0x7f800001
	s_xor_b64 s[4:5], exec, -1
; %bb.3207:
	s_or_b64 exec, exec, s[8:9]
	s_and_b64 s[4:5], s[4:5], exec
	s_or_saveexec_b64 s[6:7], s[6:7]
	v_mov_b32_e32 v11, s10
	s_xor_b64 exec, exec, s[6:7]
	s_cbranch_execz .LBB1_1158
.LBB1_3208:
	v_mov_b32_e32 v11, 0
	v_cmp_ne_u16_sdwa s[8:9], v2, v11 src0_sel:BYTE_0 src1_sel:DWORD
	s_andn2_b64 s[4:5], s[4:5], exec
	s_and_b64 s[8:9], s[8:9], exec
	s_or_b64 s[4:5], s[4:5], s[8:9]
	s_or_b64 exec, exec, s[6:7]
	s_and_saveexec_b64 s[6:7], s[4:5]
	s_cbranch_execnz .LBB1_1159
	s_branch .LBB1_1160
.LBB1_3209:
	s_movk_i32 s4, 0x80
	v_cmp_eq_u16_sdwa s[12:13], v11, s4 src0_sel:BYTE_0 src1_sel:DWORD
	s_mov_b64 s[4:5], -1
                                        ; implicit-def: $sgpr10
	s_and_saveexec_b64 s[8:9], s[12:13]
; %bb.3210:
	s_mov_b32 s10, 0x7f800001
	s_xor_b64 s[4:5], exec, -1
; %bb.3211:
	s_or_b64 exec, exec, s[8:9]
	s_and_b64 s[4:5], s[4:5], exec
	s_or_saveexec_b64 s[6:7], s[6:7]
	v_mov_b32_e32 v10, s10
	s_xor_b64 exec, exec, s[6:7]
	s_cbranch_execz .LBB1_1162
.LBB1_3212:
	v_mov_b32_e32 v10, 0
	v_cmp_ne_u16_sdwa s[8:9], v11, v10 src0_sel:BYTE_0 src1_sel:DWORD
	s_andn2_b64 s[4:5], s[4:5], exec
	s_and_b64 s[8:9], s[8:9], exec
	s_or_b64 s[4:5], s[4:5], s[8:9]
	s_or_b64 exec, exec, s[6:7]
	s_and_saveexec_b64 s[6:7], s[4:5]
	s_cbranch_execnz .LBB1_1163
	s_branch .LBB1_1164
.LBB1_3213:
	s_movk_i32 s4, 0x80
	v_cmp_eq_u16_sdwa s[12:13], v11, s4 src0_sel:BYTE_0 src1_sel:DWORD
	s_mov_b64 s[4:5], -1
                                        ; implicit-def: $sgpr10
	s_and_saveexec_b64 s[8:9], s[12:13]
; %bb.3214:
	s_mov_b32 s10, 0x7f800001
	s_xor_b64 s[4:5], exec, -1
; %bb.3215:
	s_or_b64 exec, exec, s[8:9]
	s_and_b64 s[4:5], s[4:5], exec
	s_or_saveexec_b64 s[6:7], s[6:7]
	v_mov_b32_e32 v12, s10
	s_xor_b64 exec, exec, s[6:7]
	s_cbranch_execz .LBB1_1166
.LBB1_3216:
	v_mov_b32_e32 v12, 0
	v_cmp_ne_u16_sdwa s[8:9], v11, v12 src0_sel:BYTE_0 src1_sel:DWORD
	s_andn2_b64 s[4:5], s[4:5], exec
	s_and_b64 s[8:9], s[8:9], exec
	s_or_b64 s[4:5], s[4:5], s[8:9]
	s_or_b64 exec, exec, s[6:7]
	s_and_saveexec_b64 s[6:7], s[4:5]
	s_cbranch_execnz .LBB1_1167
	s_branch .LBB1_1168
.LBB1_3217:
	s_movk_i32 s4, 0x80
	v_cmp_eq_u16_e32 vcc, s4, v11
	s_mov_b64 s[4:5], -1
                                        ; implicit-def: $sgpr10
	s_and_saveexec_b64 s[8:9], vcc
; %bb.3218:
	s_mov_b32 s10, 0x7f800001
	s_xor_b64 s[4:5], exec, -1
; %bb.3219:
	s_or_b64 exec, exec, s[8:9]
	s_and_b64 s[4:5], s[4:5], exec
                                        ; implicit-def: $vgpr11
	s_or_saveexec_b64 s[6:7], s[6:7]
	v_mov_b32_e32 v10, s10
	s_xor_b64 exec, exec, s[6:7]
	s_cbranch_execz .LBB1_1170
.LBB1_3220:
	v_cmp_ne_u16_e32 vcc, 0, v11
	s_andn2_b64 s[4:5], s[4:5], exec
	s_and_b64 s[8:9], vcc, exec
	v_mov_b32_e32 v10, 0
	s_or_b64 s[4:5], s[4:5], s[8:9]
	s_or_b64 exec, exec, s[6:7]
	s_and_saveexec_b64 s[6:7], s[4:5]
	s_cbranch_execnz .LBB1_1171
	s_branch .LBB1_1172
.LBB1_3221:
	s_movk_i32 s4, 0x80
	v_cmp_eq_u16_e32 vcc, s4, v11
	s_mov_b64 s[4:5], -1
                                        ; implicit-def: $sgpr10
	s_and_saveexec_b64 s[8:9], vcc
; %bb.3222:
	s_mov_b32 s10, 0x7f800001
	s_xor_b64 s[4:5], exec, -1
; %bb.3223:
	s_or_b64 exec, exec, s[8:9]
	s_and_b64 s[4:5], s[4:5], exec
                                        ; implicit-def: $vgpr11
	s_or_saveexec_b64 s[6:7], s[6:7]
	v_mov_b32_e32 v12, s10
	s_xor_b64 exec, exec, s[6:7]
	s_cbranch_execz .LBB1_1174
.LBB1_3224:
	v_cmp_ne_u16_e32 vcc, 0, v11
	s_andn2_b64 s[4:5], s[4:5], exec
	s_and_b64 s[8:9], vcc, exec
	v_mov_b32_e32 v12, 0
	s_or_b64 s[4:5], s[4:5], s[8:9]
	s_or_b64 exec, exec, s[6:7]
	s_and_saveexec_b64 s[6:7], s[4:5]
	s_cbranch_execnz .LBB1_1175
	s_branch .LBB1_1176
.LBB1_3225:
	s_movk_i32 s4, 0x80
	v_cmp_eq_u16_sdwa s[12:13], v6, s4 src0_sel:BYTE_3 src1_sel:DWORD
	s_mov_b64 s[4:5], -1
                                        ; implicit-def: $sgpr10
	s_and_saveexec_b64 s[8:9], s[12:13]
; %bb.3226:
	s_mov_b32 s10, 0x7f800001
	s_xor_b64 s[4:5], exec, -1
; %bb.3227:
	s_or_b64 exec, exec, s[8:9]
	s_and_b64 s[4:5], s[4:5], exec
	s_or_saveexec_b64 s[6:7], s[6:7]
	v_mov_b32_e32 v10, s10
	s_xor_b64 exec, exec, s[6:7]
	s_cbranch_execz .LBB1_1178
.LBB1_3228:
	v_mov_b32_e32 v10, 0
	v_cmp_ne_u16_sdwa s[8:9], v6, v10 src0_sel:BYTE_3 src1_sel:DWORD
	s_andn2_b64 s[4:5], s[4:5], exec
	s_and_b64 s[8:9], s[8:9], exec
	s_or_b64 s[4:5], s[4:5], s[8:9]
	s_or_b64 exec, exec, s[6:7]
	s_and_saveexec_b64 s[6:7], s[4:5]
	s_cbranch_execnz .LBB1_1179
	s_branch .LBB1_1180
.LBB1_3229:
	s_movk_i32 s4, 0x80
	v_cmp_eq_u16_sdwa s[12:13], v2, s4 src0_sel:BYTE_3 src1_sel:DWORD
	s_mov_b64 s[4:5], -1
                                        ; implicit-def: $sgpr10
	s_and_saveexec_b64 s[8:9], s[12:13]
; %bb.3230:
	s_mov_b32 s10, 0x7f800001
	s_xor_b64 s[4:5], exec, -1
; %bb.3231:
	s_or_b64 exec, exec, s[8:9]
	s_and_b64 s[4:5], s[4:5], exec
	s_or_saveexec_b64 s[6:7], s[6:7]
	v_mov_b32_e32 v6, s10
	s_xor_b64 exec, exec, s[6:7]
	s_cbranch_execz .LBB1_1182
.LBB1_3232:
	v_mov_b32_e32 v6, 0
	v_cmp_ne_u16_sdwa s[8:9], v2, v6 src0_sel:BYTE_3 src1_sel:DWORD
	s_andn2_b64 s[4:5], s[4:5], exec
	s_and_b64 s[8:9], s[8:9], exec
	s_or_b64 s[4:5], s[4:5], s[8:9]
	s_or_b64 exec, exec, s[6:7]
	s_and_saveexec_b64 s[6:7], s[4:5]
	s_cbranch_execnz .LBB1_1183
	s_branch .LBB1_1184
.LBB1_3233:
	s_movk_i32 s4, 0x80
	v_cmp_eq_u16_sdwa s[12:13], v7, s4 src0_sel:BYTE_0 src1_sel:DWORD
	s_mov_b64 s[4:5], -1
                                        ; implicit-def: $sgpr10
	s_and_saveexec_b64 s[8:9], s[12:13]
; %bb.3234:
	s_mov_b32 s10, 0x7f800001
	s_xor_b64 s[4:5], exec, -1
; %bb.3235:
	s_or_b64 exec, exec, s[8:9]
	s_and_b64 s[4:5], s[4:5], exec
	s_or_saveexec_b64 s[6:7], s[6:7]
	v_mov_b32_e32 v2, s10
	s_xor_b64 exec, exec, s[6:7]
	s_cbranch_execz .LBB1_1186
.LBB1_3236:
	v_mov_b32_e32 v2, 0
	v_cmp_ne_u16_sdwa s[8:9], v7, v2 src0_sel:BYTE_0 src1_sel:DWORD
	s_andn2_b64 s[4:5], s[4:5], exec
	s_and_b64 s[8:9], s[8:9], exec
	s_or_b64 s[4:5], s[4:5], s[8:9]
	s_or_b64 exec, exec, s[6:7]
	s_and_saveexec_b64 s[6:7], s[4:5]
	s_cbranch_execnz .LBB1_1187
	s_branch .LBB1_1188
.LBB1_3237:
	s_movk_i32 s4, 0x80
	v_cmp_eq_u16_sdwa s[12:13], v3, s4 src0_sel:BYTE_0 src1_sel:DWORD
	s_mov_b64 s[4:5], -1
                                        ; implicit-def: $sgpr10
	s_and_saveexec_b64 s[8:9], s[12:13]
; %bb.3238:
	s_mov_b32 s10, 0x7f800001
	s_xor_b64 s[4:5], exec, -1
; %bb.3239:
	s_or_b64 exec, exec, s[8:9]
	s_and_b64 s[4:5], s[4:5], exec
	s_or_saveexec_b64 s[6:7], s[6:7]
	v_mov_b32_e32 v6, s10
	s_xor_b64 exec, exec, s[6:7]
	s_cbranch_execz .LBB1_1190
.LBB1_3240:
	v_mov_b32_e32 v6, 0
	v_cmp_ne_u16_sdwa s[8:9], v3, v6 src0_sel:BYTE_0 src1_sel:DWORD
	s_andn2_b64 s[4:5], s[4:5], exec
	s_and_b64 s[8:9], s[8:9], exec
	s_or_b64 s[4:5], s[4:5], s[8:9]
	s_or_b64 exec, exec, s[6:7]
	s_and_saveexec_b64 s[6:7], s[4:5]
	s_cbranch_execnz .LBB1_1191
	s_branch .LBB1_1192
.LBB1_3241:
	s_movk_i32 s4, 0x80
	v_cmp_eq_u16_sdwa s[12:13], v6, s4 src0_sel:BYTE_0 src1_sel:DWORD
	s_mov_b64 s[4:5], -1
                                        ; implicit-def: $sgpr10
	s_and_saveexec_b64 s[8:9], s[12:13]
; %bb.3242:
	s_mov_b32 s10, 0x7f800001
	s_xor_b64 s[4:5], exec, -1
; %bb.3243:
	s_or_b64 exec, exec, s[8:9]
	s_and_b64 s[4:5], s[4:5], exec
	s_or_saveexec_b64 s[6:7], s[6:7]
	v_mov_b32_e32 v2, s10
	s_xor_b64 exec, exec, s[6:7]
	s_cbranch_execz .LBB1_1194
.LBB1_3244:
	v_mov_b32_e32 v2, 0
	v_cmp_ne_u16_sdwa s[8:9], v6, v2 src0_sel:BYTE_0 src1_sel:DWORD
	s_andn2_b64 s[4:5], s[4:5], exec
	s_and_b64 s[8:9], s[8:9], exec
	s_or_b64 s[4:5], s[4:5], s[8:9]
	s_or_b64 exec, exec, s[6:7]
	s_and_saveexec_b64 s[6:7], s[4:5]
	s_cbranch_execnz .LBB1_1195
	s_branch .LBB1_1196
.LBB1_3245:
	s_movk_i32 s4, 0x80
	v_cmp_eq_u16_sdwa s[12:13], v6, s4 src0_sel:BYTE_0 src1_sel:DWORD
	s_mov_b64 s[4:5], -1
                                        ; implicit-def: $sgpr10
	s_and_saveexec_b64 s[8:9], s[12:13]
; %bb.3246:
	s_mov_b32 s10, 0x7f800001
	s_xor_b64 s[4:5], exec, -1
; %bb.3247:
	s_or_b64 exec, exec, s[8:9]
	s_and_b64 s[4:5], s[4:5], exec
	s_or_saveexec_b64 s[6:7], s[6:7]
	v_mov_b32_e32 v10, s10
	s_xor_b64 exec, exec, s[6:7]
	s_cbranch_execz .LBB1_1198
.LBB1_3248:
	v_mov_b32_e32 v10, 0
	v_cmp_ne_u16_sdwa s[8:9], v6, v10 src0_sel:BYTE_0 src1_sel:DWORD
	s_andn2_b64 s[4:5], s[4:5], exec
	s_and_b64 s[8:9], s[8:9], exec
	s_or_b64 s[4:5], s[4:5], s[8:9]
	s_or_b64 exec, exec, s[6:7]
	s_and_saveexec_b64 s[6:7], s[4:5]
	s_cbranch_execnz .LBB1_1199
	s_branch .LBB1_1200
.LBB1_3249:
	s_movk_i32 s4, 0x80
	v_cmp_eq_u16_e32 vcc, s4, v6
	s_mov_b64 s[4:5], -1
                                        ; implicit-def: $sgpr10
	s_and_saveexec_b64 s[8:9], vcc
; %bb.3250:
	s_mov_b32 s10, 0x7f800001
	s_xor_b64 s[4:5], exec, -1
; %bb.3251:
	s_or_b64 exec, exec, s[8:9]
	s_and_b64 s[4:5], s[4:5], exec
                                        ; implicit-def: $vgpr6
	s_or_saveexec_b64 s[6:7], s[6:7]
	v_mov_b32_e32 v2, s10
	s_xor_b64 exec, exec, s[6:7]
	s_cbranch_execz .LBB1_1202
.LBB1_3252:
	v_cmp_ne_u16_e32 vcc, 0, v6
	s_andn2_b64 s[4:5], s[4:5], exec
	s_and_b64 s[8:9], vcc, exec
	v_mov_b32_e32 v2, 0
	s_or_b64 s[4:5], s[4:5], s[8:9]
	s_or_b64 exec, exec, s[6:7]
	s_and_saveexec_b64 s[6:7], s[4:5]
	s_cbranch_execnz .LBB1_1203
	s_branch .LBB1_1204
.LBB1_3253:
	s_movk_i32 s4, 0x80
	v_cmp_eq_u16_e32 vcc, s4, v6
	s_mov_b64 s[4:5], -1
                                        ; implicit-def: $sgpr10
	s_and_saveexec_b64 s[8:9], vcc
; %bb.3254:
	s_mov_b32 s10, 0x7f800001
	s_xor_b64 s[4:5], exec, -1
; %bb.3255:
	s_or_b64 exec, exec, s[8:9]
	s_and_b64 s[4:5], s[4:5], exec
                                        ; implicit-def: $vgpr6
	s_or_saveexec_b64 s[6:7], s[6:7]
	v_mov_b32_e32 v10, s10
	s_xor_b64 exec, exec, s[6:7]
	s_cbranch_execz .LBB1_1206
.LBB1_3256:
	v_cmp_ne_u16_e32 vcc, 0, v6
	s_andn2_b64 s[4:5], s[4:5], exec
	s_and_b64 s[8:9], vcc, exec
	v_mov_b32_e32 v10, 0
	s_or_b64 s[4:5], s[4:5], s[8:9]
	s_or_b64 exec, exec, s[6:7]
	s_and_saveexec_b64 s[6:7], s[4:5]
	s_cbranch_execnz .LBB1_1207
	s_branch .LBB1_1208
.LBB1_3257:
	s_movk_i32 s4, 0x80
	v_cmp_eq_u16_sdwa s[12:13], v7, s4 src0_sel:BYTE_3 src1_sel:DWORD
	s_mov_b64 s[4:5], -1
                                        ; implicit-def: $sgpr10
	s_and_saveexec_b64 s[8:9], s[12:13]
; %bb.3258:
	s_mov_b32 s10, 0x7f800001
	s_xor_b64 s[4:5], exec, -1
; %bb.3259:
	s_or_b64 exec, exec, s[8:9]
	s_and_b64 s[4:5], s[4:5], exec
	s_or_saveexec_b64 s[6:7], s[6:7]
	v_mov_b32_e32 v2, s10
	s_xor_b64 exec, exec, s[6:7]
	s_cbranch_execz .LBB1_1210
.LBB1_3260:
	v_mov_b32_e32 v2, 0
	v_cmp_ne_u16_sdwa s[8:9], v7, v2 src0_sel:BYTE_3 src1_sel:DWORD
	s_andn2_b64 s[4:5], s[4:5], exec
	s_and_b64 s[8:9], s[8:9], exec
	s_or_b64 s[4:5], s[4:5], s[8:9]
	s_or_b64 exec, exec, s[6:7]
	s_and_saveexec_b64 s[6:7], s[4:5]
	s_cbranch_execnz .LBB1_1211
	s_branch .LBB1_1212
.LBB1_3261:
	s_movk_i32 s4, 0x80
	v_cmp_eq_u16_sdwa s[12:13], v3, s4 src0_sel:BYTE_3 src1_sel:DWORD
	s_mov_b64 s[4:5], -1
                                        ; implicit-def: $sgpr10
	s_and_saveexec_b64 s[8:9], s[12:13]
; %bb.3262:
	s_mov_b32 s10, 0x7f800001
	s_xor_b64 s[4:5], exec, -1
; %bb.3263:
	s_or_b64 exec, exec, s[8:9]
	s_and_b64 s[4:5], s[4:5], exec
	s_or_saveexec_b64 s[6:7], s[6:7]
	v_mov_b32_e32 v6, s10
	s_xor_b64 exec, exec, s[6:7]
	s_cbranch_execz .LBB1_1214
.LBB1_3264:
	v_mov_b32_e32 v6, 0
	v_cmp_ne_u16_sdwa s[8:9], v3, v6 src0_sel:BYTE_3 src1_sel:DWORD
	s_andn2_b64 s[4:5], s[4:5], exec
	s_and_b64 s[8:9], s[8:9], exec
	s_or_b64 s[4:5], s[4:5], s[8:9]
	s_or_b64 exec, exec, s[6:7]
	s_and_saveexec_b64 s[6:7], s[4:5]
	s_cbranch_execnz .LBB1_1215
	s_branch .LBB1_1216
.LBB1_3265:
	s_movk_i32 s4, 0x80
	v_cmp_eq_u16_sdwa s[12:13], v8, s4 src0_sel:BYTE_0 src1_sel:DWORD
	s_mov_b64 s[4:5], -1
                                        ; implicit-def: $sgpr10
	s_and_saveexec_b64 s[8:9], s[12:13]
; %bb.3266:
	s_mov_b32 s10, 0x7f800001
	s_xor_b64 s[4:5], exec, -1
; %bb.3267:
	s_or_b64 exec, exec, s[8:9]
	s_and_b64 s[4:5], s[4:5], exec
	s_or_saveexec_b64 s[6:7], s[6:7]
	v_mov_b32_e32 v2, s10
	s_xor_b64 exec, exec, s[6:7]
	s_cbranch_execz .LBB1_1218
.LBB1_3268:
	v_mov_b32_e32 v2, 0
	v_cmp_ne_u16_sdwa s[8:9], v8, v2 src0_sel:BYTE_0 src1_sel:DWORD
	s_andn2_b64 s[4:5], s[4:5], exec
	s_and_b64 s[8:9], s[8:9], exec
	s_or_b64 s[4:5], s[4:5], s[8:9]
	s_or_b64 exec, exec, s[6:7]
	s_and_saveexec_b64 s[6:7], s[4:5]
	s_cbranch_execnz .LBB1_1219
	s_branch .LBB1_1220
.LBB1_3269:
	s_movk_i32 s4, 0x80
	v_cmp_eq_u16_sdwa s[12:13], v4, s4 src0_sel:BYTE_0 src1_sel:DWORD
	s_mov_b64 s[4:5], -1
                                        ; implicit-def: $sgpr10
	s_and_saveexec_b64 s[8:9], s[12:13]
; %bb.3270:
	s_mov_b32 s10, 0x7f800001
	s_xor_b64 s[4:5], exec, -1
; %bb.3271:
	s_or_b64 exec, exec, s[8:9]
	s_and_b64 s[4:5], s[4:5], exec
	s_or_saveexec_b64 s[6:7], s[6:7]
	v_mov_b32_e32 v3, s10
	s_xor_b64 exec, exec, s[6:7]
	s_cbranch_execz .LBB1_1222
.LBB1_3272:
	v_mov_b32_e32 v3, 0
	v_cmp_ne_u16_sdwa s[8:9], v4, v3 src0_sel:BYTE_0 src1_sel:DWORD
	s_andn2_b64 s[4:5], s[4:5], exec
	s_and_b64 s[8:9], s[8:9], exec
	s_or_b64 s[4:5], s[4:5], s[8:9]
	s_or_b64 exec, exec, s[6:7]
	s_and_saveexec_b64 s[6:7], s[4:5]
	s_cbranch_execnz .LBB1_1223
	s_branch .LBB1_1224
.LBB1_3273:
	s_movk_i32 s4, 0x80
	v_cmp_eq_u16_sdwa s[12:13], v3, s4 src0_sel:BYTE_0 src1_sel:DWORD
	s_mov_b64 s[4:5], -1
                                        ; implicit-def: $sgpr10
	s_and_saveexec_b64 s[8:9], s[12:13]
; %bb.3274:
	s_mov_b32 s10, 0x7f800001
	s_xor_b64 s[4:5], exec, -1
; %bb.3275:
	s_or_b64 exec, exec, s[8:9]
	s_and_b64 s[4:5], s[4:5], exec
	s_or_saveexec_b64 s[6:7], s[6:7]
	v_mov_b32_e32 v2, s10
	s_xor_b64 exec, exec, s[6:7]
	s_cbranch_execz .LBB1_1226
.LBB1_3276:
	v_mov_b32_e32 v2, 0
	v_cmp_ne_u16_sdwa s[8:9], v3, v2 src0_sel:BYTE_0 src1_sel:DWORD
	s_andn2_b64 s[4:5], s[4:5], exec
	s_and_b64 s[8:9], s[8:9], exec
	s_or_b64 s[4:5], s[4:5], s[8:9]
	s_or_b64 exec, exec, s[6:7]
	s_and_saveexec_b64 s[6:7], s[4:5]
	s_cbranch_execnz .LBB1_1227
	s_branch .LBB1_1228
.LBB1_3277:
	s_movk_i32 s4, 0x80
	v_cmp_eq_u16_sdwa s[12:13], v3, s4 src0_sel:BYTE_0 src1_sel:DWORD
	s_mov_b64 s[4:5], -1
                                        ; implicit-def: $sgpr10
	s_and_saveexec_b64 s[8:9], s[12:13]
; %bb.3278:
	s_mov_b32 s10, 0x7f800001
	s_xor_b64 s[4:5], exec, -1
; %bb.3279:
	s_or_b64 exec, exec, s[8:9]
	s_and_b64 s[4:5], s[4:5], exec
	s_or_saveexec_b64 s[6:7], s[6:7]
	v_mov_b32_e32 v6, s10
	s_xor_b64 exec, exec, s[6:7]
	s_cbranch_execz .LBB1_1230
.LBB1_3280:
	v_mov_b32_e32 v6, 0
	v_cmp_ne_u16_sdwa s[8:9], v3, v6 src0_sel:BYTE_0 src1_sel:DWORD
	s_andn2_b64 s[4:5], s[4:5], exec
	s_and_b64 s[8:9], s[8:9], exec
	s_or_b64 s[4:5], s[4:5], s[8:9]
	s_or_b64 exec, exec, s[6:7]
	s_and_saveexec_b64 s[6:7], s[4:5]
	s_cbranch_execnz .LBB1_1231
	s_branch .LBB1_1232
.LBB1_3281:
	s_movk_i32 s4, 0x80
	v_cmp_eq_u16_e32 vcc, s4, v3
	s_mov_b64 s[4:5], -1
                                        ; implicit-def: $sgpr10
	s_and_saveexec_b64 s[8:9], vcc
; %bb.3282:
	s_mov_b32 s10, 0x7f800001
	s_xor_b64 s[4:5], exec, -1
; %bb.3283:
	s_or_b64 exec, exec, s[8:9]
	s_and_b64 s[4:5], s[4:5], exec
                                        ; implicit-def: $vgpr3
	s_or_saveexec_b64 s[6:7], s[6:7]
	v_mov_b32_e32 v2, s10
	s_xor_b64 exec, exec, s[6:7]
	s_cbranch_execz .LBB1_1234
.LBB1_3284:
	v_cmp_ne_u16_e32 vcc, 0, v3
	s_andn2_b64 s[4:5], s[4:5], exec
	s_and_b64 s[8:9], vcc, exec
	v_mov_b32_e32 v2, 0
	s_or_b64 s[4:5], s[4:5], s[8:9]
	s_or_b64 exec, exec, s[6:7]
	s_and_saveexec_b64 s[6:7], s[4:5]
	s_cbranch_execnz .LBB1_1235
	s_branch .LBB1_1236
.LBB1_3285:
	s_movk_i32 s4, 0x80
	v_cmp_eq_u16_e32 vcc, s4, v3
	s_mov_b64 s[4:5], -1
                                        ; implicit-def: $sgpr10
	s_and_saveexec_b64 s[8:9], vcc
; %bb.3286:
	s_mov_b32 s10, 0x7f800001
	s_xor_b64 s[4:5], exec, -1
; %bb.3287:
	s_or_b64 exec, exec, s[8:9]
	s_and_b64 s[4:5], s[4:5], exec
                                        ; implicit-def: $vgpr3
	s_or_saveexec_b64 s[6:7], s[6:7]
	v_mov_b32_e32 v6, s10
	s_xor_b64 exec, exec, s[6:7]
	s_cbranch_execz .LBB1_1238
.LBB1_3288:
	v_cmp_ne_u16_e32 vcc, 0, v3
	s_andn2_b64 s[4:5], s[4:5], exec
	s_and_b64 s[8:9], vcc, exec
	v_mov_b32_e32 v6, 0
	s_or_b64 s[4:5], s[4:5], s[8:9]
	s_or_b64 exec, exec, s[6:7]
	s_and_saveexec_b64 s[6:7], s[4:5]
	s_cbranch_execnz .LBB1_1239
	s_branch .LBB1_1240
.LBB1_3289:
	s_movk_i32 s4, 0x80
	v_cmp_eq_u16_sdwa s[12:13], v8, s4 src0_sel:BYTE_3 src1_sel:DWORD
	s_mov_b64 s[4:5], -1
                                        ; implicit-def: $sgpr10
	s_and_saveexec_b64 s[8:9], s[12:13]
; %bb.3290:
	s_mov_b32 s10, 0x7f800001
	s_xor_b64 s[4:5], exec, -1
; %bb.3291:
	s_or_b64 exec, exec, s[8:9]
	s_and_b64 s[4:5], s[4:5], exec
	s_or_saveexec_b64 s[6:7], s[6:7]
	v_mov_b32_e32 v2, s10
	s_xor_b64 exec, exec, s[6:7]
	s_cbranch_execz .LBB1_1242
.LBB1_3292:
	v_mov_b32_e32 v2, 0
	v_cmp_ne_u16_sdwa s[8:9], v8, v2 src0_sel:BYTE_3 src1_sel:DWORD
	s_andn2_b64 s[4:5], s[4:5], exec
	s_and_b64 s[8:9], s[8:9], exec
	s_or_b64 s[4:5], s[4:5], s[8:9]
	s_or_b64 exec, exec, s[6:7]
	s_and_saveexec_b64 s[6:7], s[4:5]
	s_cbranch_execnz .LBB1_1243
	s_branch .LBB1_1244
.LBB1_3293:
	s_movk_i32 s4, 0x80
	v_cmp_eq_u16_sdwa s[12:13], v4, s4 src0_sel:BYTE_3 src1_sel:DWORD
	s_mov_b64 s[4:5], -1
                                        ; implicit-def: $sgpr10
	s_and_saveexec_b64 s[8:9], s[12:13]
; %bb.3294:
	s_mov_b32 s10, 0x7f800001
	s_xor_b64 s[4:5], exec, -1
; %bb.3295:
	s_or_b64 exec, exec, s[8:9]
	s_and_b64 s[4:5], s[4:5], exec
	s_or_saveexec_b64 s[6:7], s[6:7]
	v_mov_b32_e32 v3, s10
	s_xor_b64 exec, exec, s[6:7]
	s_cbranch_execz .LBB1_1246
.LBB1_3296:
	v_mov_b32_e32 v3, 0
	v_cmp_ne_u16_sdwa s[8:9], v4, v3 src0_sel:BYTE_3 src1_sel:DWORD
	s_andn2_b64 s[4:5], s[4:5], exec
	s_and_b64 s[8:9], s[8:9], exec
	s_or_b64 s[4:5], s[4:5], s[8:9]
	s_or_b64 exec, exec, s[6:7]
	s_and_saveexec_b64 s[6:7], s[4:5]
	s_cbranch_execnz .LBB1_1247
	s_branch .LBB1_1248
.LBB1_3297:
	s_movk_i32 s4, 0x80
	v_cmp_eq_u16_sdwa s[12:13], v9, s4 src0_sel:BYTE_0 src1_sel:DWORD
	s_mov_b64 s[4:5], -1
                                        ; implicit-def: $sgpr10
	s_and_saveexec_b64 s[8:9], s[12:13]
; %bb.3298:
	s_mov_b32 s10, 0x7f800001
	s_xor_b64 s[4:5], exec, -1
; %bb.3299:
	s_or_b64 exec, exec, s[8:9]
	s_and_b64 s[4:5], s[4:5], exec
	s_or_saveexec_b64 s[6:7], s[6:7]
	v_mov_b32_e32 v2, s10
	s_xor_b64 exec, exec, s[6:7]
	s_cbranch_execz .LBB1_1250
.LBB1_3300:
	v_mov_b32_e32 v2, 0
	v_cmp_ne_u16_sdwa s[8:9], v9, v2 src0_sel:BYTE_0 src1_sel:DWORD
	s_andn2_b64 s[4:5], s[4:5], exec
	s_and_b64 s[8:9], s[8:9], exec
	s_or_b64 s[4:5], s[4:5], s[8:9]
	s_or_b64 exec, exec, s[6:7]
	s_and_saveexec_b64 s[6:7], s[4:5]
	s_cbranch_execnz .LBB1_1251
	s_branch .LBB1_1252
.LBB1_3301:
	s_movk_i32 s4, 0x80
	v_cmp_eq_u16_sdwa s[12:13], v5, s4 src0_sel:BYTE_0 src1_sel:DWORD
	s_mov_b64 s[4:5], -1
                                        ; implicit-def: $sgpr10
	s_and_saveexec_b64 s[8:9], s[12:13]
; %bb.3302:
	s_mov_b32 s10, 0x7f800001
	s_xor_b64 s[4:5], exec, -1
; %bb.3303:
	s_or_b64 exec, exec, s[8:9]
	s_and_b64 s[4:5], s[4:5], exec
	s_or_saveexec_b64 s[6:7], s[6:7]
	v_mov_b32_e32 v3, s10
	s_xor_b64 exec, exec, s[6:7]
	s_cbranch_execz .LBB1_1254
.LBB1_3304:
	v_mov_b32_e32 v3, 0
	v_cmp_ne_u16_sdwa s[8:9], v5, v3 src0_sel:BYTE_0 src1_sel:DWORD
	s_andn2_b64 s[4:5], s[4:5], exec
	s_and_b64 s[8:9], s[8:9], exec
	s_or_b64 s[4:5], s[4:5], s[8:9]
	s_or_b64 exec, exec, s[6:7]
	s_and_saveexec_b64 s[6:7], s[4:5]
	s_cbranch_execnz .LBB1_1255
	s_branch .LBB1_1256
.LBB1_3305:
	s_movk_i32 s4, 0x80
	v_cmp_eq_u16_sdwa s[12:13], v3, s4 src0_sel:BYTE_0 src1_sel:DWORD
	s_mov_b64 s[4:5], -1
                                        ; implicit-def: $sgpr10
	s_and_saveexec_b64 s[8:9], s[12:13]
; %bb.3306:
	s_mov_b32 s10, 0x7f800001
	s_xor_b64 s[4:5], exec, -1
; %bb.3307:
	s_or_b64 exec, exec, s[8:9]
	s_and_b64 s[4:5], s[4:5], exec
	s_or_saveexec_b64 s[6:7], s[6:7]
	v_mov_b32_e32 v2, s10
	s_xor_b64 exec, exec, s[6:7]
	s_cbranch_execz .LBB1_1258
.LBB1_3308:
	v_mov_b32_e32 v2, 0
	v_cmp_ne_u16_sdwa s[8:9], v3, v2 src0_sel:BYTE_0 src1_sel:DWORD
	s_andn2_b64 s[4:5], s[4:5], exec
	s_and_b64 s[8:9], s[8:9], exec
	s_or_b64 s[4:5], s[4:5], s[8:9]
	s_or_b64 exec, exec, s[6:7]
	s_and_saveexec_b64 s[6:7], s[4:5]
	s_cbranch_execnz .LBB1_1259
	s_branch .LBB1_1260
.LBB1_3309:
	s_movk_i32 s4, 0x80
	v_cmp_eq_u16_sdwa s[12:13], v3, s4 src0_sel:BYTE_0 src1_sel:DWORD
	s_mov_b64 s[4:5], -1
                                        ; implicit-def: $sgpr10
	s_and_saveexec_b64 s[8:9], s[12:13]
; %bb.3310:
	s_mov_b32 s10, 0x7f800001
	s_xor_b64 s[4:5], exec, -1
; %bb.3311:
	s_or_b64 exec, exec, s[8:9]
	s_and_b64 s[4:5], s[4:5], exec
	s_or_saveexec_b64 s[6:7], s[6:7]
	v_mov_b32_e32 v4, s10
	s_xor_b64 exec, exec, s[6:7]
	s_cbranch_execz .LBB1_1262
.LBB1_3312:
	v_mov_b32_e32 v4, 0
	v_cmp_ne_u16_sdwa s[8:9], v3, v4 src0_sel:BYTE_0 src1_sel:DWORD
	s_andn2_b64 s[4:5], s[4:5], exec
	s_and_b64 s[8:9], s[8:9], exec
	s_or_b64 s[4:5], s[4:5], s[8:9]
	s_or_b64 exec, exec, s[6:7]
	s_and_saveexec_b64 s[6:7], s[4:5]
	s_cbranch_execnz .LBB1_1263
	s_branch .LBB1_1264
.LBB1_3313:
	s_movk_i32 s4, 0x80
	v_cmp_eq_u16_e32 vcc, s4, v3
	s_mov_b64 s[4:5], -1
                                        ; implicit-def: $sgpr10
	s_and_saveexec_b64 s[8:9], vcc
; %bb.3314:
	s_mov_b32 s10, 0x7f800001
	s_xor_b64 s[4:5], exec, -1
; %bb.3315:
	s_or_b64 exec, exec, s[8:9]
	s_and_b64 s[4:5], s[4:5], exec
                                        ; implicit-def: $vgpr3
	s_or_saveexec_b64 s[6:7], s[6:7]
	v_mov_b32_e32 v2, s10
	s_xor_b64 exec, exec, s[6:7]
	s_cbranch_execz .LBB1_1266
.LBB1_3316:
	v_cmp_ne_u16_e32 vcc, 0, v3
	s_andn2_b64 s[4:5], s[4:5], exec
	s_and_b64 s[8:9], vcc, exec
	v_mov_b32_e32 v2, 0
	s_or_b64 s[4:5], s[4:5], s[8:9]
	s_or_b64 exec, exec, s[6:7]
	s_and_saveexec_b64 s[6:7], s[4:5]
	s_cbranch_execnz .LBB1_1267
	s_branch .LBB1_1268
.LBB1_3317:
	s_movk_i32 s4, 0x80
	v_cmp_eq_u16_e32 vcc, s4, v3
	s_mov_b64 s[4:5], -1
                                        ; implicit-def: $sgpr10
	s_and_saveexec_b64 s[8:9], vcc
; %bb.3318:
	s_mov_b32 s10, 0x7f800001
	s_xor_b64 s[4:5], exec, -1
; %bb.3319:
	s_or_b64 exec, exec, s[8:9]
	s_and_b64 s[4:5], s[4:5], exec
                                        ; implicit-def: $vgpr3
	s_or_saveexec_b64 s[6:7], s[6:7]
	v_mov_b32_e32 v4, s10
	s_xor_b64 exec, exec, s[6:7]
	s_cbranch_execz .LBB1_1270
.LBB1_3320:
	v_cmp_ne_u16_e32 vcc, 0, v3
	s_andn2_b64 s[4:5], s[4:5], exec
	s_and_b64 s[8:9], vcc, exec
	v_mov_b32_e32 v4, 0
	s_or_b64 s[4:5], s[4:5], s[8:9]
	s_or_b64 exec, exec, s[6:7]
	s_and_saveexec_b64 s[6:7], s[4:5]
	s_cbranch_execnz .LBB1_1271
	s_branch .LBB1_1272
.LBB1_3321:
	s_movk_i32 s4, 0x80
	v_cmp_eq_u16_sdwa s[12:13], v9, s4 src0_sel:BYTE_3 src1_sel:DWORD
	s_mov_b64 s[4:5], -1
                                        ; implicit-def: $sgpr10
	s_and_saveexec_b64 s[8:9], s[12:13]
; %bb.3322:
	s_mov_b32 s10, 0x7f800001
	s_xor_b64 s[4:5], exec, -1
; %bb.3323:
	s_or_b64 exec, exec, s[8:9]
	s_and_b64 s[4:5], s[4:5], exec
	s_or_saveexec_b64 s[6:7], s[6:7]
	v_mov_b32_e32 v2, s10
	s_xor_b64 exec, exec, s[6:7]
	s_cbranch_execz .LBB1_1274
.LBB1_3324:
	v_mov_b32_e32 v2, 0
	v_cmp_ne_u16_sdwa s[8:9], v9, v2 src0_sel:BYTE_3 src1_sel:DWORD
	s_andn2_b64 s[4:5], s[4:5], exec
	s_and_b64 s[8:9], s[8:9], exec
	s_or_b64 s[4:5], s[4:5], s[8:9]
	s_or_b64 exec, exec, s[6:7]
	s_and_saveexec_b64 s[6:7], s[4:5]
	s_cbranch_execnz .LBB1_1275
	s_branch .LBB1_1276
.LBB1_3325:
	s_movk_i32 s4, 0x80
	v_cmp_eq_u16_sdwa s[12:13], v5, s4 src0_sel:BYTE_3 src1_sel:DWORD
	s_mov_b64 s[4:5], -1
                                        ; implicit-def: $sgpr10
	s_and_saveexec_b64 s[8:9], s[12:13]
; %bb.3326:
	s_mov_b32 s10, 0x7f800001
	s_xor_b64 s[4:5], exec, -1
; %bb.3327:
	s_or_b64 exec, exec, s[8:9]
	s_and_b64 s[4:5], s[4:5], exec
	s_or_saveexec_b64 s[6:7], s[6:7]
	v_mov_b32_e32 v3, s10
	s_xor_b64 exec, exec, s[6:7]
	s_cbranch_execz .LBB1_1278
.LBB1_3328:
	v_mov_b32_e32 v3, 0
	v_cmp_ne_u16_sdwa s[8:9], v5, v3 src0_sel:BYTE_3 src1_sel:DWORD
	s_andn2_b64 s[4:5], s[4:5], exec
	s_and_b64 s[8:9], s[8:9], exec
	s_or_b64 s[4:5], s[4:5], s[8:9]
	s_or_b64 exec, exec, s[6:7]
	s_and_saveexec_b64 s[6:7], s[4:5]
	s_cbranch_execnz .LBB1_1279
	s_branch .LBB1_1280
.LBB1_3329:
	s_movk_i32 s4, 0x80
	v_cmp_eq_u16_sdwa s[12:13], v14, s4 src0_sel:BYTE_0 src1_sel:DWORD
	s_mov_b64 s[4:5], -1
                                        ; implicit-def: $sgpr10
	s_and_saveexec_b64 s[8:9], s[12:13]
; %bb.3330:
	s_mov_b32 s10, 0x7f800001
	s_xor_b64 s[4:5], exec, -1
; %bb.3331:
	s_or_b64 exec, exec, s[8:9]
	s_and_b64 s[4:5], s[4:5], exec
	s_or_saveexec_b64 s[6:7], s[6:7]
	v_mov_b32_e32 v20, s10
	s_xor_b64 exec, exec, s[6:7]
	s_cbranch_execz .LBB1_1282
.LBB1_3332:
	v_mov_b32_e32 v20, 0
	v_cmp_ne_u16_sdwa s[8:9], v14, v20 src0_sel:BYTE_0 src1_sel:DWORD
	s_andn2_b64 s[4:5], s[4:5], exec
	s_and_b64 s[8:9], s[8:9], exec
	s_or_b64 s[4:5], s[4:5], s[8:9]
	s_or_b64 exec, exec, s[6:7]
	s_and_saveexec_b64 s[6:7], s[4:5]
	s_cbranch_execnz .LBB1_1283
	s_branch .LBB1_1284
.LBB1_3333:
	s_movk_i32 s4, 0x80
	v_cmp_eq_u16_sdwa s[12:13], v10, s4 src0_sel:BYTE_0 src1_sel:DWORD
	s_mov_b64 s[4:5], -1
                                        ; implicit-def: $sgpr10
	s_and_saveexec_b64 s[8:9], s[12:13]
; %bb.3334:
	s_mov_b32 s10, 0x7f800001
	s_xor_b64 s[4:5], exec, -1
; %bb.3335:
	s_or_b64 exec, exec, s[8:9]
	s_and_b64 s[4:5], s[4:5], exec
	s_or_saveexec_b64 s[6:7], s[6:7]
	v_mov_b32_e32 v21, s10
	s_xor_b64 exec, exec, s[6:7]
	s_cbranch_execz .LBB1_1286
.LBB1_3336:
	v_mov_b32_e32 v21, 0
	v_cmp_ne_u16_sdwa s[8:9], v10, v21 src0_sel:BYTE_0 src1_sel:DWORD
	s_andn2_b64 s[4:5], s[4:5], exec
	s_and_b64 s[8:9], s[8:9], exec
	s_or_b64 s[4:5], s[4:5], s[8:9]
	s_or_b64 exec, exec, s[6:7]
	s_and_saveexec_b64 s[6:7], s[4:5]
	s_cbranch_execnz .LBB1_1287
	s_branch .LBB1_1288
.LBB1_3337:
	s_movk_i32 s4, 0x80
	v_cmp_eq_u16_sdwa s[12:13], v21, s4 src0_sel:BYTE_0 src1_sel:DWORD
	s_mov_b64 s[4:5], -1
                                        ; implicit-def: $sgpr10
	s_and_saveexec_b64 s[8:9], s[12:13]
; %bb.3338:
	s_mov_b32 s10, 0x7f800001
	s_xor_b64 s[4:5], exec, -1
; %bb.3339:
	s_or_b64 exec, exec, s[8:9]
	s_and_b64 s[4:5], s[4:5], exec
	s_or_saveexec_b64 s[6:7], s[6:7]
	v_mov_b32_e32 v20, s10
	s_xor_b64 exec, exec, s[6:7]
	s_cbranch_execz .LBB1_1290
.LBB1_3340:
	v_mov_b32_e32 v20, 0
	v_cmp_ne_u16_sdwa s[8:9], v21, v20 src0_sel:BYTE_0 src1_sel:DWORD
	s_andn2_b64 s[4:5], s[4:5], exec
	s_and_b64 s[8:9], s[8:9], exec
	s_or_b64 s[4:5], s[4:5], s[8:9]
	s_or_b64 exec, exec, s[6:7]
	s_and_saveexec_b64 s[6:7], s[4:5]
	s_cbranch_execnz .LBB1_1291
	s_branch .LBB1_1292
.LBB1_3341:
	s_movk_i32 s4, 0x80
	v_cmp_eq_u16_sdwa s[12:13], v21, s4 src0_sel:BYTE_0 src1_sel:DWORD
	s_mov_b64 s[4:5], -1
                                        ; implicit-def: $sgpr10
	s_and_saveexec_b64 s[8:9], s[12:13]
; %bb.3342:
	s_mov_b32 s10, 0x7f800001
	s_xor_b64 s[4:5], exec, -1
; %bb.3343:
	s_or_b64 exec, exec, s[8:9]
	s_and_b64 s[4:5], s[4:5], exec
	s_or_saveexec_b64 s[6:7], s[6:7]
	v_mov_b32_e32 v22, s10
	s_xor_b64 exec, exec, s[6:7]
	s_cbranch_execz .LBB1_1294
.LBB1_3344:
	v_mov_b32_e32 v22, 0
	v_cmp_ne_u16_sdwa s[8:9], v21, v22 src0_sel:BYTE_0 src1_sel:DWORD
	s_andn2_b64 s[4:5], s[4:5], exec
	s_and_b64 s[8:9], s[8:9], exec
	s_or_b64 s[4:5], s[4:5], s[8:9]
	s_or_b64 exec, exec, s[6:7]
	s_and_saveexec_b64 s[6:7], s[4:5]
	s_cbranch_execnz .LBB1_1295
	s_branch .LBB1_1296
.LBB1_3345:
	s_movk_i32 s4, 0x80
	v_cmp_eq_u16_e32 vcc, s4, v21
	s_mov_b64 s[4:5], -1
                                        ; implicit-def: $sgpr10
	s_and_saveexec_b64 s[8:9], vcc
; %bb.3346:
	s_mov_b32 s10, 0x7f800001
	s_xor_b64 s[4:5], exec, -1
; %bb.3347:
	s_or_b64 exec, exec, s[8:9]
	s_and_b64 s[4:5], s[4:5], exec
                                        ; implicit-def: $vgpr21
	s_or_saveexec_b64 s[6:7], s[6:7]
	v_mov_b32_e32 v20, s10
	s_xor_b64 exec, exec, s[6:7]
	s_cbranch_execz .LBB1_1298
.LBB1_3348:
	v_cmp_ne_u16_e32 vcc, 0, v21
	s_andn2_b64 s[4:5], s[4:5], exec
	s_and_b64 s[8:9], vcc, exec
	v_mov_b32_e32 v20, 0
	s_or_b64 s[4:5], s[4:5], s[8:9]
	s_or_b64 exec, exec, s[6:7]
	s_and_saveexec_b64 s[6:7], s[4:5]
	s_cbranch_execnz .LBB1_1299
	s_branch .LBB1_1300
.LBB1_3349:
	s_movk_i32 s4, 0x80
	v_cmp_eq_u16_e32 vcc, s4, v21
	s_mov_b64 s[4:5], -1
                                        ; implicit-def: $sgpr10
	s_and_saveexec_b64 s[8:9], vcc
; %bb.3350:
	s_mov_b32 s10, 0x7f800001
	s_xor_b64 s[4:5], exec, -1
; %bb.3351:
	s_or_b64 exec, exec, s[8:9]
	s_and_b64 s[4:5], s[4:5], exec
                                        ; implicit-def: $vgpr21
	s_or_saveexec_b64 s[6:7], s[6:7]
	v_mov_b32_e32 v22, s10
	s_xor_b64 exec, exec, s[6:7]
	s_cbranch_execz .LBB1_1302
.LBB1_3352:
	v_cmp_ne_u16_e32 vcc, 0, v21
	s_andn2_b64 s[4:5], s[4:5], exec
	s_and_b64 s[8:9], vcc, exec
	v_mov_b32_e32 v22, 0
	s_or_b64 s[4:5], s[4:5], s[8:9]
	s_or_b64 exec, exec, s[6:7]
	s_and_saveexec_b64 s[6:7], s[4:5]
	s_cbranch_execnz .LBB1_1303
	s_branch .LBB1_1304
.LBB1_3353:
	s_movk_i32 s4, 0x80
	v_cmp_eq_u16_sdwa s[12:13], v14, s4 src0_sel:BYTE_3 src1_sel:DWORD
	s_mov_b64 s[4:5], -1
                                        ; implicit-def: $sgpr10
	s_and_saveexec_b64 s[8:9], s[12:13]
; %bb.3354:
	s_mov_b32 s10, 0x7f800001
	s_xor_b64 s[4:5], exec, -1
; %bb.3355:
	s_or_b64 exec, exec, s[8:9]
	s_and_b64 s[4:5], s[4:5], exec
	s_or_saveexec_b64 s[6:7], s[6:7]
	v_mov_b32_e32 v20, s10
	s_xor_b64 exec, exec, s[6:7]
	s_cbranch_execz .LBB1_1306
.LBB1_3356:
	v_mov_b32_e32 v20, 0
	v_cmp_ne_u16_sdwa s[8:9], v14, v20 src0_sel:BYTE_3 src1_sel:DWORD
	s_andn2_b64 s[4:5], s[4:5], exec
	s_and_b64 s[8:9], s[8:9], exec
	s_or_b64 s[4:5], s[4:5], s[8:9]
	s_or_b64 exec, exec, s[6:7]
	s_and_saveexec_b64 s[6:7], s[4:5]
	s_cbranch_execnz .LBB1_1307
	s_branch .LBB1_1308
.LBB1_3357:
	s_movk_i32 s4, 0x80
	v_cmp_eq_u16_sdwa s[12:13], v10, s4 src0_sel:BYTE_3 src1_sel:DWORD
	s_mov_b64 s[4:5], -1
                                        ; implicit-def: $sgpr10
	s_and_saveexec_b64 s[8:9], s[12:13]
; %bb.3358:
	s_mov_b32 s10, 0x7f800001
	s_xor_b64 s[4:5], exec, -1
; %bb.3359:
	s_or_b64 exec, exec, s[8:9]
	s_and_b64 s[4:5], s[4:5], exec
	s_or_saveexec_b64 s[6:7], s[6:7]
	v_mov_b32_e32 v14, s10
	s_xor_b64 exec, exec, s[6:7]
	s_cbranch_execz .LBB1_1310
.LBB1_3360:
	v_mov_b32_e32 v14, 0
	v_cmp_ne_u16_sdwa s[8:9], v10, v14 src0_sel:BYTE_3 src1_sel:DWORD
	s_andn2_b64 s[4:5], s[4:5], exec
	s_and_b64 s[8:9], s[8:9], exec
	s_or_b64 s[4:5], s[4:5], s[8:9]
	s_or_b64 exec, exec, s[6:7]
	s_and_saveexec_b64 s[6:7], s[4:5]
	s_cbranch_execnz .LBB1_1311
	s_branch .LBB1_1312
.LBB1_3361:
	s_movk_i32 s4, 0x80
	v_cmp_eq_u16_sdwa s[12:13], v15, s4 src0_sel:BYTE_0 src1_sel:DWORD
	s_mov_b64 s[4:5], -1
                                        ; implicit-def: $sgpr10
	s_and_saveexec_b64 s[8:9], s[12:13]
; %bb.3362:
	s_mov_b32 s10, 0x7f800001
	s_xor_b64 s[4:5], exec, -1
; %bb.3363:
	s_or_b64 exec, exec, s[8:9]
	s_and_b64 s[4:5], s[4:5], exec
	s_or_saveexec_b64 s[6:7], s[6:7]
	v_mov_b32_e32 v10, s10
	s_xor_b64 exec, exec, s[6:7]
	s_cbranch_execz .LBB1_1314
.LBB1_3364:
	v_mov_b32_e32 v10, 0
	v_cmp_ne_u16_sdwa s[8:9], v15, v10 src0_sel:BYTE_0 src1_sel:DWORD
	s_andn2_b64 s[4:5], s[4:5], exec
	s_and_b64 s[8:9], s[8:9], exec
	s_or_b64 s[4:5], s[4:5], s[8:9]
	s_or_b64 exec, exec, s[6:7]
	s_and_saveexec_b64 s[6:7], s[4:5]
	s_cbranch_execnz .LBB1_1315
	s_branch .LBB1_1316
.LBB1_3365:
	s_movk_i32 s4, 0x80
	v_cmp_eq_u16_sdwa s[12:13], v11, s4 src0_sel:BYTE_0 src1_sel:DWORD
	s_mov_b64 s[4:5], -1
                                        ; implicit-def: $sgpr10
	s_and_saveexec_b64 s[8:9], s[12:13]
; %bb.3366:
	s_mov_b32 s10, 0x7f800001
	s_xor_b64 s[4:5], exec, -1
; %bb.3367:
	s_or_b64 exec, exec, s[8:9]
	s_and_b64 s[4:5], s[4:5], exec
	s_or_saveexec_b64 s[6:7], s[6:7]
	v_mov_b32_e32 v14, s10
	s_xor_b64 exec, exec, s[6:7]
	s_cbranch_execz .LBB1_1318
.LBB1_3368:
	v_mov_b32_e32 v14, 0
	v_cmp_ne_u16_sdwa s[8:9], v11, v14 src0_sel:BYTE_0 src1_sel:DWORD
	s_andn2_b64 s[4:5], s[4:5], exec
	s_and_b64 s[8:9], s[8:9], exec
	s_or_b64 s[4:5], s[4:5], s[8:9]
	s_or_b64 exec, exec, s[6:7]
	s_and_saveexec_b64 s[6:7], s[4:5]
	s_cbranch_execnz .LBB1_1319
	s_branch .LBB1_1320
.LBB1_3369:
	s_movk_i32 s4, 0x80
	v_cmp_eq_u16_sdwa s[12:13], v14, s4 src0_sel:BYTE_0 src1_sel:DWORD
	s_mov_b64 s[4:5], -1
                                        ; implicit-def: $sgpr10
	s_and_saveexec_b64 s[8:9], s[12:13]
; %bb.3370:
	s_mov_b32 s10, 0x7f800001
	s_xor_b64 s[4:5], exec, -1
; %bb.3371:
	s_or_b64 exec, exec, s[8:9]
	s_and_b64 s[4:5], s[4:5], exec
	s_or_saveexec_b64 s[6:7], s[6:7]
	v_mov_b32_e32 v10, s10
	s_xor_b64 exec, exec, s[6:7]
	s_cbranch_execz .LBB1_1322
.LBB1_3372:
	v_mov_b32_e32 v10, 0
	v_cmp_ne_u16_sdwa s[8:9], v14, v10 src0_sel:BYTE_0 src1_sel:DWORD
	s_andn2_b64 s[4:5], s[4:5], exec
	s_and_b64 s[8:9], s[8:9], exec
	s_or_b64 s[4:5], s[4:5], s[8:9]
	s_or_b64 exec, exec, s[6:7]
	s_and_saveexec_b64 s[6:7], s[4:5]
	s_cbranch_execnz .LBB1_1323
	s_branch .LBB1_1324
.LBB1_3373:
	s_movk_i32 s4, 0x80
	v_cmp_eq_u16_sdwa s[12:13], v14, s4 src0_sel:BYTE_0 src1_sel:DWORD
	s_mov_b64 s[4:5], -1
                                        ; implicit-def: $sgpr10
	s_and_saveexec_b64 s[8:9], s[12:13]
; %bb.3374:
	s_mov_b32 s10, 0x7f800001
	s_xor_b64 s[4:5], exec, -1
; %bb.3375:
	s_or_b64 exec, exec, s[8:9]
	s_and_b64 s[4:5], s[4:5], exec
	s_or_saveexec_b64 s[6:7], s[6:7]
	v_mov_b32_e32 v20, s10
	s_xor_b64 exec, exec, s[6:7]
	s_cbranch_execz .LBB1_1326
.LBB1_3376:
	v_mov_b32_e32 v20, 0
	v_cmp_ne_u16_sdwa s[8:9], v14, v20 src0_sel:BYTE_0 src1_sel:DWORD
	s_andn2_b64 s[4:5], s[4:5], exec
	s_and_b64 s[8:9], s[8:9], exec
	s_or_b64 s[4:5], s[4:5], s[8:9]
	s_or_b64 exec, exec, s[6:7]
	s_and_saveexec_b64 s[6:7], s[4:5]
	s_cbranch_execnz .LBB1_1327
	s_branch .LBB1_1328
.LBB1_3377:
	s_movk_i32 s4, 0x80
	v_cmp_eq_u16_e32 vcc, s4, v14
	s_mov_b64 s[4:5], -1
                                        ; implicit-def: $sgpr10
	s_and_saveexec_b64 s[8:9], vcc
; %bb.3378:
	s_mov_b32 s10, 0x7f800001
	s_xor_b64 s[4:5], exec, -1
; %bb.3379:
	s_or_b64 exec, exec, s[8:9]
	s_and_b64 s[4:5], s[4:5], exec
                                        ; implicit-def: $vgpr14
	s_or_saveexec_b64 s[6:7], s[6:7]
	v_mov_b32_e32 v10, s10
	s_xor_b64 exec, exec, s[6:7]
	s_cbranch_execz .LBB1_1330
.LBB1_3380:
	v_cmp_ne_u16_e32 vcc, 0, v14
	s_andn2_b64 s[4:5], s[4:5], exec
	s_and_b64 s[8:9], vcc, exec
	v_mov_b32_e32 v10, 0
	s_or_b64 s[4:5], s[4:5], s[8:9]
	s_or_b64 exec, exec, s[6:7]
	s_and_saveexec_b64 s[6:7], s[4:5]
	s_cbranch_execnz .LBB1_1331
	s_branch .LBB1_1332
.LBB1_3381:
	s_movk_i32 s4, 0x80
	v_cmp_eq_u16_e32 vcc, s4, v14
	s_mov_b64 s[4:5], -1
                                        ; implicit-def: $sgpr10
	s_and_saveexec_b64 s[8:9], vcc
; %bb.3382:
	s_mov_b32 s10, 0x7f800001
	s_xor_b64 s[4:5], exec, -1
; %bb.3383:
	s_or_b64 exec, exec, s[8:9]
	s_and_b64 s[4:5], s[4:5], exec
                                        ; implicit-def: $vgpr14
	s_or_saveexec_b64 s[6:7], s[6:7]
	v_mov_b32_e32 v20, s10
	s_xor_b64 exec, exec, s[6:7]
	s_cbranch_execz .LBB1_1334
.LBB1_3384:
	v_cmp_ne_u16_e32 vcc, 0, v14
	s_andn2_b64 s[4:5], s[4:5], exec
	s_and_b64 s[8:9], vcc, exec
	v_mov_b32_e32 v20, 0
	s_or_b64 s[4:5], s[4:5], s[8:9]
	s_or_b64 exec, exec, s[6:7]
	s_and_saveexec_b64 s[6:7], s[4:5]
	s_cbranch_execnz .LBB1_1335
	s_branch .LBB1_1336
.LBB1_3385:
	s_movk_i32 s4, 0x80
	v_cmp_eq_u16_sdwa s[12:13], v15, s4 src0_sel:BYTE_3 src1_sel:DWORD
	s_mov_b64 s[4:5], -1
                                        ; implicit-def: $sgpr10
	s_and_saveexec_b64 s[8:9], s[12:13]
; %bb.3386:
	s_mov_b32 s10, 0x7f800001
	s_xor_b64 s[4:5], exec, -1
; %bb.3387:
	s_or_b64 exec, exec, s[8:9]
	s_and_b64 s[4:5], s[4:5], exec
	s_or_saveexec_b64 s[6:7], s[6:7]
	v_mov_b32_e32 v10, s10
	s_xor_b64 exec, exec, s[6:7]
	s_cbranch_execz .LBB1_1338
.LBB1_3388:
	v_mov_b32_e32 v10, 0
	v_cmp_ne_u16_sdwa s[8:9], v15, v10 src0_sel:BYTE_3 src1_sel:DWORD
	s_andn2_b64 s[4:5], s[4:5], exec
	s_and_b64 s[8:9], s[8:9], exec
	s_or_b64 s[4:5], s[4:5], s[8:9]
	s_or_b64 exec, exec, s[6:7]
	s_and_saveexec_b64 s[6:7], s[4:5]
	s_cbranch_execnz .LBB1_1339
	s_branch .LBB1_1340
.LBB1_3389:
	s_movk_i32 s4, 0x80
	v_cmp_eq_u16_sdwa s[12:13], v11, s4 src0_sel:BYTE_3 src1_sel:DWORD
	s_mov_b64 s[4:5], -1
                                        ; implicit-def: $sgpr10
	s_and_saveexec_b64 s[8:9], s[12:13]
; %bb.3390:
	s_mov_b32 s10, 0x7f800001
	s_xor_b64 s[4:5], exec, -1
; %bb.3391:
	s_or_b64 exec, exec, s[8:9]
	s_and_b64 s[4:5], s[4:5], exec
	s_or_saveexec_b64 s[6:7], s[6:7]
	v_mov_b32_e32 v14, s10
	s_xor_b64 exec, exec, s[6:7]
	s_cbranch_execz .LBB1_1342
.LBB1_3392:
	v_mov_b32_e32 v14, 0
	v_cmp_ne_u16_sdwa s[8:9], v11, v14 src0_sel:BYTE_3 src1_sel:DWORD
	s_andn2_b64 s[4:5], s[4:5], exec
	s_and_b64 s[8:9], s[8:9], exec
	s_or_b64 s[4:5], s[4:5], s[8:9]
	s_or_b64 exec, exec, s[6:7]
	s_and_saveexec_b64 s[6:7], s[4:5]
	s_cbranch_execnz .LBB1_1343
	s_branch .LBB1_1344
.LBB1_3393:
	s_movk_i32 s4, 0x80
	v_cmp_eq_u16_sdwa s[12:13], v16, s4 src0_sel:BYTE_0 src1_sel:DWORD
	s_mov_b64 s[4:5], -1
                                        ; implicit-def: $sgpr10
	s_and_saveexec_b64 s[8:9], s[12:13]
; %bb.3394:
	s_mov_b32 s10, 0x7f800001
	s_xor_b64 s[4:5], exec, -1
; %bb.3395:
	s_or_b64 exec, exec, s[8:9]
	s_and_b64 s[4:5], s[4:5], exec
	s_or_saveexec_b64 s[6:7], s[6:7]
	v_mov_b32_e32 v10, s10
	s_xor_b64 exec, exec, s[6:7]
	s_cbranch_execz .LBB1_1346
.LBB1_3396:
	v_mov_b32_e32 v10, 0
	v_cmp_ne_u16_sdwa s[8:9], v16, v10 src0_sel:BYTE_0 src1_sel:DWORD
	s_andn2_b64 s[4:5], s[4:5], exec
	s_and_b64 s[8:9], s[8:9], exec
	s_or_b64 s[4:5], s[4:5], s[8:9]
	s_or_b64 exec, exec, s[6:7]
	s_and_saveexec_b64 s[6:7], s[4:5]
	s_cbranch_execnz .LBB1_1347
	s_branch .LBB1_1348
.LBB1_3397:
	s_movk_i32 s4, 0x80
	v_cmp_eq_u16_sdwa s[12:13], v12, s4 src0_sel:BYTE_0 src1_sel:DWORD
	s_mov_b64 s[4:5], -1
                                        ; implicit-def: $sgpr10
	s_and_saveexec_b64 s[8:9], s[12:13]
; %bb.3398:
	s_mov_b32 s10, 0x7f800001
	s_xor_b64 s[4:5], exec, -1
; %bb.3399:
	s_or_b64 exec, exec, s[8:9]
	s_and_b64 s[4:5], s[4:5], exec
	s_or_saveexec_b64 s[6:7], s[6:7]
	v_mov_b32_e32 v11, s10
	s_xor_b64 exec, exec, s[6:7]
	s_cbranch_execz .LBB1_1350
.LBB1_3400:
	v_mov_b32_e32 v11, 0
	v_cmp_ne_u16_sdwa s[8:9], v12, v11 src0_sel:BYTE_0 src1_sel:DWORD
	s_andn2_b64 s[4:5], s[4:5], exec
	s_and_b64 s[8:9], s[8:9], exec
	s_or_b64 s[4:5], s[4:5], s[8:9]
	s_or_b64 exec, exec, s[6:7]
	s_and_saveexec_b64 s[6:7], s[4:5]
	s_cbranch_execnz .LBB1_1351
	s_branch .LBB1_1352
.LBB1_3401:
	s_movk_i32 s4, 0x80
	v_cmp_eq_u16_sdwa s[12:13], v11, s4 src0_sel:BYTE_0 src1_sel:DWORD
	s_mov_b64 s[4:5], -1
                                        ; implicit-def: $sgpr10
	s_and_saveexec_b64 s[8:9], s[12:13]
; %bb.3402:
	s_mov_b32 s10, 0x7f800001
	s_xor_b64 s[4:5], exec, -1
; %bb.3403:
	s_or_b64 exec, exec, s[8:9]
	s_and_b64 s[4:5], s[4:5], exec
	s_or_saveexec_b64 s[6:7], s[6:7]
	v_mov_b32_e32 v10, s10
	s_xor_b64 exec, exec, s[6:7]
	s_cbranch_execz .LBB1_1354
.LBB1_3404:
	v_mov_b32_e32 v10, 0
	v_cmp_ne_u16_sdwa s[8:9], v11, v10 src0_sel:BYTE_0 src1_sel:DWORD
	s_andn2_b64 s[4:5], s[4:5], exec
	s_and_b64 s[8:9], s[8:9], exec
	s_or_b64 s[4:5], s[4:5], s[8:9]
	s_or_b64 exec, exec, s[6:7]
	s_and_saveexec_b64 s[6:7], s[4:5]
	s_cbranch_execnz .LBB1_1355
	s_branch .LBB1_1356
.LBB1_3405:
	s_movk_i32 s4, 0x80
	v_cmp_eq_u16_sdwa s[12:13], v11, s4 src0_sel:BYTE_0 src1_sel:DWORD
	s_mov_b64 s[4:5], -1
                                        ; implicit-def: $sgpr10
	s_and_saveexec_b64 s[8:9], s[12:13]
; %bb.3406:
	s_mov_b32 s10, 0x7f800001
	s_xor_b64 s[4:5], exec, -1
; %bb.3407:
	s_or_b64 exec, exec, s[8:9]
	s_and_b64 s[4:5], s[4:5], exec
	s_or_saveexec_b64 s[6:7], s[6:7]
	v_mov_b32_e32 v14, s10
	s_xor_b64 exec, exec, s[6:7]
	s_cbranch_execz .LBB1_1358
.LBB1_3408:
	v_mov_b32_e32 v14, 0
	v_cmp_ne_u16_sdwa s[8:9], v11, v14 src0_sel:BYTE_0 src1_sel:DWORD
	s_andn2_b64 s[4:5], s[4:5], exec
	s_and_b64 s[8:9], s[8:9], exec
	s_or_b64 s[4:5], s[4:5], s[8:9]
	s_or_b64 exec, exec, s[6:7]
	s_and_saveexec_b64 s[6:7], s[4:5]
	s_cbranch_execnz .LBB1_1359
	s_branch .LBB1_1360
.LBB1_3409:
	s_movk_i32 s4, 0x80
	v_cmp_eq_u16_e32 vcc, s4, v11
	s_mov_b64 s[4:5], -1
                                        ; implicit-def: $sgpr10
	s_and_saveexec_b64 s[8:9], vcc
; %bb.3410:
	s_mov_b32 s10, 0x7f800001
	s_xor_b64 s[4:5], exec, -1
; %bb.3411:
	s_or_b64 exec, exec, s[8:9]
	s_and_b64 s[4:5], s[4:5], exec
                                        ; implicit-def: $vgpr11
	s_or_saveexec_b64 s[6:7], s[6:7]
	v_mov_b32_e32 v10, s10
	s_xor_b64 exec, exec, s[6:7]
	s_cbranch_execz .LBB1_1362
.LBB1_3412:
	v_cmp_ne_u16_e32 vcc, 0, v11
	s_andn2_b64 s[4:5], s[4:5], exec
	s_and_b64 s[8:9], vcc, exec
	v_mov_b32_e32 v10, 0
	s_or_b64 s[4:5], s[4:5], s[8:9]
	s_or_b64 exec, exec, s[6:7]
	s_and_saveexec_b64 s[6:7], s[4:5]
	s_cbranch_execnz .LBB1_1363
	s_branch .LBB1_1364
.LBB1_3413:
	s_movk_i32 s4, 0x80
	v_cmp_eq_u16_e32 vcc, s4, v11
	s_mov_b64 s[4:5], -1
                                        ; implicit-def: $sgpr10
	s_and_saveexec_b64 s[8:9], vcc
; %bb.3414:
	s_mov_b32 s10, 0x7f800001
	s_xor_b64 s[4:5], exec, -1
; %bb.3415:
	s_or_b64 exec, exec, s[8:9]
	s_and_b64 s[4:5], s[4:5], exec
                                        ; implicit-def: $vgpr11
	s_or_saveexec_b64 s[6:7], s[6:7]
	v_mov_b32_e32 v14, s10
	s_xor_b64 exec, exec, s[6:7]
	s_cbranch_execz .LBB1_1366
.LBB1_3416:
	v_cmp_ne_u16_e32 vcc, 0, v11
	s_andn2_b64 s[4:5], s[4:5], exec
	s_and_b64 s[8:9], vcc, exec
	v_mov_b32_e32 v14, 0
	s_or_b64 s[4:5], s[4:5], s[8:9]
	s_or_b64 exec, exec, s[6:7]
	s_and_saveexec_b64 s[6:7], s[4:5]
	s_cbranch_execnz .LBB1_1367
	s_branch .LBB1_1368
.LBB1_3417:
	s_movk_i32 s4, 0x80
	v_cmp_eq_u16_sdwa s[12:13], v16, s4 src0_sel:BYTE_3 src1_sel:DWORD
	s_mov_b64 s[4:5], -1
                                        ; implicit-def: $sgpr10
	s_and_saveexec_b64 s[8:9], s[12:13]
; %bb.3418:
	s_mov_b32 s10, 0x7f800001
	s_xor_b64 s[4:5], exec, -1
; %bb.3419:
	s_or_b64 exec, exec, s[8:9]
	s_and_b64 s[4:5], s[4:5], exec
	s_or_saveexec_b64 s[6:7], s[6:7]
	v_mov_b32_e32 v10, s10
	s_xor_b64 exec, exec, s[6:7]
	s_cbranch_execz .LBB1_1370
.LBB1_3420:
	v_mov_b32_e32 v10, 0
	v_cmp_ne_u16_sdwa s[8:9], v16, v10 src0_sel:BYTE_3 src1_sel:DWORD
	s_andn2_b64 s[4:5], s[4:5], exec
	s_and_b64 s[8:9], s[8:9], exec
	s_or_b64 s[4:5], s[4:5], s[8:9]
	s_or_b64 exec, exec, s[6:7]
	s_and_saveexec_b64 s[6:7], s[4:5]
	s_cbranch_execnz .LBB1_1371
	s_branch .LBB1_1372
.LBB1_3421:
	s_movk_i32 s4, 0x80
	v_cmp_eq_u16_sdwa s[12:13], v12, s4 src0_sel:BYTE_3 src1_sel:DWORD
	s_mov_b64 s[4:5], -1
                                        ; implicit-def: $sgpr10
	s_and_saveexec_b64 s[8:9], s[12:13]
; %bb.3422:
	s_mov_b32 s10, 0x7f800001
	s_xor_b64 s[4:5], exec, -1
; %bb.3423:
	s_or_b64 exec, exec, s[8:9]
	s_and_b64 s[4:5], s[4:5], exec
	s_or_saveexec_b64 s[6:7], s[6:7]
	v_mov_b32_e32 v11, s10
	s_xor_b64 exec, exec, s[6:7]
	s_cbranch_execz .LBB1_1374
.LBB1_3424:
	v_mov_b32_e32 v11, 0
	v_cmp_ne_u16_sdwa s[8:9], v12, v11 src0_sel:BYTE_3 src1_sel:DWORD
	s_andn2_b64 s[4:5], s[4:5], exec
	s_and_b64 s[8:9], s[8:9], exec
	s_or_b64 s[4:5], s[4:5], s[8:9]
	s_or_b64 exec, exec, s[6:7]
	s_and_saveexec_b64 s[6:7], s[4:5]
	s_cbranch_execnz .LBB1_1375
	s_branch .LBB1_1376
.LBB1_3425:
	s_movk_i32 s4, 0x80
	v_cmp_eq_u16_sdwa s[12:13], v17, s4 src0_sel:BYTE_0 src1_sel:DWORD
	s_mov_b64 s[4:5], -1
                                        ; implicit-def: $sgpr10
	s_and_saveexec_b64 s[8:9], s[12:13]
; %bb.3426:
	s_mov_b32 s10, 0x7f800001
	s_xor_b64 s[4:5], exec, -1
; %bb.3427:
	s_or_b64 exec, exec, s[8:9]
	s_and_b64 s[4:5], s[4:5], exec
	s_or_saveexec_b64 s[6:7], s[6:7]
	v_mov_b32_e32 v10, s10
	s_xor_b64 exec, exec, s[6:7]
	s_cbranch_execz .LBB1_1378
.LBB1_3428:
	v_mov_b32_e32 v10, 0
	v_cmp_ne_u16_sdwa s[8:9], v17, v10 src0_sel:BYTE_0 src1_sel:DWORD
	s_andn2_b64 s[4:5], s[4:5], exec
	s_and_b64 s[8:9], s[8:9], exec
	s_or_b64 s[4:5], s[4:5], s[8:9]
	s_or_b64 exec, exec, s[6:7]
	s_and_saveexec_b64 s[6:7], s[4:5]
	s_cbranch_execnz .LBB1_1379
	s_branch .LBB1_1380
.LBB1_3429:
	s_movk_i32 s4, 0x80
	v_cmp_eq_u16_sdwa s[12:13], v13, s4 src0_sel:BYTE_0 src1_sel:DWORD
	s_mov_b64 s[4:5], -1
                                        ; implicit-def: $sgpr10
	s_and_saveexec_b64 s[8:9], s[12:13]
; %bb.3430:
	s_mov_b32 s10, 0x7f800001
	s_xor_b64 s[4:5], exec, -1
; %bb.3431:
	s_or_b64 exec, exec, s[8:9]
	s_and_b64 s[4:5], s[4:5], exec
	s_or_saveexec_b64 s[6:7], s[6:7]
	v_mov_b32_e32 v11, s10
	s_xor_b64 exec, exec, s[6:7]
	s_cbranch_execz .LBB1_1382
.LBB1_3432:
	v_mov_b32_e32 v11, 0
	v_cmp_ne_u16_sdwa s[8:9], v13, v11 src0_sel:BYTE_0 src1_sel:DWORD
	s_andn2_b64 s[4:5], s[4:5], exec
	s_and_b64 s[8:9], s[8:9], exec
	s_or_b64 s[4:5], s[4:5], s[8:9]
	s_or_b64 exec, exec, s[6:7]
	s_and_saveexec_b64 s[6:7], s[4:5]
	s_cbranch_execnz .LBB1_1383
	s_branch .LBB1_1384
.LBB1_3433:
	s_movk_i32 s4, 0x80
	v_cmp_eq_u16_sdwa s[12:13], v11, s4 src0_sel:BYTE_0 src1_sel:DWORD
	s_mov_b64 s[4:5], -1
                                        ; implicit-def: $sgpr10
	s_and_saveexec_b64 s[8:9], s[12:13]
; %bb.3434:
	s_mov_b32 s10, 0x7f800001
	s_xor_b64 s[4:5], exec, -1
; %bb.3435:
	s_or_b64 exec, exec, s[8:9]
	s_and_b64 s[4:5], s[4:5], exec
	s_or_saveexec_b64 s[6:7], s[6:7]
	v_mov_b32_e32 v10, s10
	s_xor_b64 exec, exec, s[6:7]
	s_cbranch_execz .LBB1_1386
.LBB1_3436:
	v_mov_b32_e32 v10, 0
	v_cmp_ne_u16_sdwa s[8:9], v11, v10 src0_sel:BYTE_0 src1_sel:DWORD
	s_andn2_b64 s[4:5], s[4:5], exec
	s_and_b64 s[8:9], s[8:9], exec
	s_or_b64 s[4:5], s[4:5], s[8:9]
	s_or_b64 exec, exec, s[6:7]
	s_and_saveexec_b64 s[6:7], s[4:5]
	s_cbranch_execnz .LBB1_1387
	s_branch .LBB1_1388
.LBB1_3437:
	s_movk_i32 s4, 0x80
	v_cmp_eq_u16_sdwa s[12:13], v11, s4 src0_sel:BYTE_0 src1_sel:DWORD
	s_mov_b64 s[4:5], -1
                                        ; implicit-def: $sgpr10
	s_and_saveexec_b64 s[8:9], s[12:13]
; %bb.3438:
	s_mov_b32 s10, 0x7f800001
	s_xor_b64 s[4:5], exec, -1
; %bb.3439:
	s_or_b64 exec, exec, s[8:9]
	s_and_b64 s[4:5], s[4:5], exec
	s_or_saveexec_b64 s[6:7], s[6:7]
	v_mov_b32_e32 v12, s10
	s_xor_b64 exec, exec, s[6:7]
	s_cbranch_execz .LBB1_1390
.LBB1_3440:
	v_mov_b32_e32 v12, 0
	v_cmp_ne_u16_sdwa s[8:9], v11, v12 src0_sel:BYTE_0 src1_sel:DWORD
	s_andn2_b64 s[4:5], s[4:5], exec
	s_and_b64 s[8:9], s[8:9], exec
	s_or_b64 s[4:5], s[4:5], s[8:9]
	s_or_b64 exec, exec, s[6:7]
	s_and_saveexec_b64 s[6:7], s[4:5]
	s_cbranch_execnz .LBB1_1391
	s_branch .LBB1_1392
.LBB1_3441:
	s_movk_i32 s4, 0x80
	v_cmp_eq_u16_e32 vcc, s4, v11
	s_mov_b64 s[4:5], -1
                                        ; implicit-def: $sgpr10
	s_and_saveexec_b64 s[8:9], vcc
; %bb.3442:
	s_mov_b32 s10, 0x7f800001
	s_xor_b64 s[4:5], exec, -1
; %bb.3443:
	s_or_b64 exec, exec, s[8:9]
	s_and_b64 s[4:5], s[4:5], exec
                                        ; implicit-def: $vgpr11
	s_or_saveexec_b64 s[6:7], s[6:7]
	v_mov_b32_e32 v10, s10
	s_xor_b64 exec, exec, s[6:7]
	s_cbranch_execz .LBB1_1394
.LBB1_3444:
	v_cmp_ne_u16_e32 vcc, 0, v11
	s_andn2_b64 s[4:5], s[4:5], exec
	s_and_b64 s[8:9], vcc, exec
	v_mov_b32_e32 v10, 0
	s_or_b64 s[4:5], s[4:5], s[8:9]
	s_or_b64 exec, exec, s[6:7]
	s_and_saveexec_b64 s[6:7], s[4:5]
	s_cbranch_execnz .LBB1_1395
	s_branch .LBB1_1396
.LBB1_3445:
	s_movk_i32 s4, 0x80
	v_cmp_eq_u16_e32 vcc, s4, v11
	s_mov_b64 s[4:5], -1
                                        ; implicit-def: $sgpr10
	s_and_saveexec_b64 s[8:9], vcc
; %bb.3446:
	s_mov_b32 s10, 0x7f800001
	s_xor_b64 s[4:5], exec, -1
; %bb.3447:
	s_or_b64 exec, exec, s[8:9]
	s_and_b64 s[4:5], s[4:5], exec
                                        ; implicit-def: $vgpr11
	s_or_saveexec_b64 s[6:7], s[6:7]
	v_mov_b32_e32 v12, s10
	s_xor_b64 exec, exec, s[6:7]
	s_cbranch_execz .LBB1_1398
.LBB1_3448:
	v_cmp_ne_u16_e32 vcc, 0, v11
	s_andn2_b64 s[4:5], s[4:5], exec
	s_and_b64 s[8:9], vcc, exec
	v_mov_b32_e32 v12, 0
	s_or_b64 s[4:5], s[4:5], s[8:9]
	s_or_b64 exec, exec, s[6:7]
	s_and_saveexec_b64 s[6:7], s[4:5]
	s_cbranch_execnz .LBB1_1399
	s_branch .LBB1_1400
.LBB1_3449:
	s_movk_i32 s4, 0x80
	v_cmp_eq_u16_sdwa s[12:13], v17, s4 src0_sel:BYTE_3 src1_sel:DWORD
	s_mov_b64 s[4:5], -1
                                        ; implicit-def: $sgpr10
	s_and_saveexec_b64 s[8:9], s[12:13]
; %bb.3450:
	s_mov_b32 s10, 0x7f800001
	s_xor_b64 s[4:5], exec, -1
; %bb.3451:
	s_or_b64 exec, exec, s[8:9]
	s_and_b64 s[4:5], s[4:5], exec
	s_or_saveexec_b64 s[6:7], s[6:7]
	v_mov_b32_e32 v10, s10
	s_xor_b64 exec, exec, s[6:7]
	s_cbranch_execz .LBB1_1402
.LBB1_3452:
	v_mov_b32_e32 v10, 0
	v_cmp_ne_u16_sdwa s[8:9], v17, v10 src0_sel:BYTE_3 src1_sel:DWORD
	s_andn2_b64 s[4:5], s[4:5], exec
	s_and_b64 s[8:9], s[8:9], exec
	s_or_b64 s[4:5], s[4:5], s[8:9]
	s_or_b64 exec, exec, s[6:7]
	s_and_saveexec_b64 s[6:7], s[4:5]
	s_cbranch_execnz .LBB1_1403
	s_branch .LBB1_1404
.LBB1_3453:
	s_movk_i32 s4, 0x80
	v_cmp_eq_u16_sdwa s[12:13], v13, s4 src0_sel:BYTE_3 src1_sel:DWORD
	s_mov_b64 s[4:5], -1
                                        ; implicit-def: $sgpr10
	s_and_saveexec_b64 s[8:9], s[12:13]
; %bb.3454:
	s_mov_b32 s10, 0x7f800001
	s_xor_b64 s[4:5], exec, -1
; %bb.3455:
	s_or_b64 exec, exec, s[8:9]
	s_and_b64 s[4:5], s[4:5], exec
	s_or_saveexec_b64 s[6:7], s[6:7]
	v_mov_b32_e32 v11, s10
	s_xor_b64 exec, exec, s[6:7]
	s_cbranch_execz .LBB1_1406
.LBB1_3456:
	v_mov_b32_e32 v11, 0
	v_cmp_ne_u16_sdwa s[8:9], v13, v11 src0_sel:BYTE_3 src1_sel:DWORD
	s_andn2_b64 s[4:5], s[4:5], exec
	s_and_b64 s[8:9], s[8:9], exec
	s_or_b64 s[4:5], s[4:5], s[8:9]
	s_or_b64 exec, exec, s[6:7]
	s_and_saveexec_b64 s[6:7], s[4:5]
	s_cbranch_execnz .LBB1_1407
	s_branch .LBB1_1408
.LBB1_3457:
	s_movk_i32 s4, 0x80
	v_cmp_eq_u16_sdwa s[12:13], v6, s4 src0_sel:BYTE_0 src1_sel:DWORD
	s_mov_b64 s[4:5], -1
                                        ; implicit-def: $sgpr10
	s_and_saveexec_b64 s[8:9], s[12:13]
; %bb.3458:
	s_mov_b32 s10, 0x7f800001
	s_xor_b64 s[4:5], exec, -1
; %bb.3459:
	s_or_b64 exec, exec, s[8:9]
	s_and_b64 s[4:5], s[4:5], exec
	s_or_saveexec_b64 s[6:7], s[6:7]
	v_mov_b32_e32 v10, s10
	s_xor_b64 exec, exec, s[6:7]
	s_cbranch_execz .LBB1_1410
.LBB1_3460:
	v_mov_b32_e32 v10, 0
	v_cmp_ne_u16_sdwa s[8:9], v6, v10 src0_sel:BYTE_0 src1_sel:DWORD
	s_andn2_b64 s[4:5], s[4:5], exec
	s_and_b64 s[8:9], s[8:9], exec
	s_or_b64 s[4:5], s[4:5], s[8:9]
	s_or_b64 exec, exec, s[6:7]
	s_and_saveexec_b64 s[6:7], s[4:5]
	s_cbranch_execnz .LBB1_1411
	s_branch .LBB1_1412
.LBB1_3461:
	s_movk_i32 s4, 0x80
	v_cmp_eq_u16_sdwa s[12:13], v2, s4 src0_sel:BYTE_0 src1_sel:DWORD
	s_mov_b64 s[4:5], -1
                                        ; implicit-def: $sgpr10
	s_and_saveexec_b64 s[8:9], s[12:13]
; %bb.3462:
	s_mov_b32 s10, 0x7f800001
	s_xor_b64 s[4:5], exec, -1
; %bb.3463:
	s_or_b64 exec, exec, s[8:9]
	s_and_b64 s[4:5], s[4:5], exec
	s_or_saveexec_b64 s[6:7], s[6:7]
	v_mov_b32_e32 v11, s10
	s_xor_b64 exec, exec, s[6:7]
	s_cbranch_execz .LBB1_1414
.LBB1_3464:
	v_mov_b32_e32 v11, 0
	v_cmp_ne_u16_sdwa s[8:9], v2, v11 src0_sel:BYTE_0 src1_sel:DWORD
	s_andn2_b64 s[4:5], s[4:5], exec
	s_and_b64 s[8:9], s[8:9], exec
	s_or_b64 s[4:5], s[4:5], s[8:9]
	s_or_b64 exec, exec, s[6:7]
	s_and_saveexec_b64 s[6:7], s[4:5]
	s_cbranch_execnz .LBB1_1415
	s_branch .LBB1_1416
.LBB1_3465:
	s_movk_i32 s4, 0x80
	v_cmp_eq_u16_sdwa s[12:13], v11, s4 src0_sel:BYTE_0 src1_sel:DWORD
	s_mov_b64 s[4:5], -1
                                        ; implicit-def: $sgpr10
	s_and_saveexec_b64 s[8:9], s[12:13]
; %bb.3466:
	s_mov_b32 s10, 0x7f800001
	s_xor_b64 s[4:5], exec, -1
; %bb.3467:
	s_or_b64 exec, exec, s[8:9]
	s_and_b64 s[4:5], s[4:5], exec
	s_or_saveexec_b64 s[6:7], s[6:7]
	v_mov_b32_e32 v10, s10
	s_xor_b64 exec, exec, s[6:7]
	s_cbranch_execz .LBB1_1418
.LBB1_3468:
	v_mov_b32_e32 v10, 0
	v_cmp_ne_u16_sdwa s[8:9], v11, v10 src0_sel:BYTE_0 src1_sel:DWORD
	s_andn2_b64 s[4:5], s[4:5], exec
	s_and_b64 s[8:9], s[8:9], exec
	s_or_b64 s[4:5], s[4:5], s[8:9]
	s_or_b64 exec, exec, s[6:7]
	s_and_saveexec_b64 s[6:7], s[4:5]
	s_cbranch_execnz .LBB1_1419
	s_branch .LBB1_1420
.LBB1_3469:
	s_movk_i32 s4, 0x80
	v_cmp_eq_u16_sdwa s[12:13], v11, s4 src0_sel:BYTE_0 src1_sel:DWORD
	s_mov_b64 s[4:5], -1
                                        ; implicit-def: $sgpr10
	s_and_saveexec_b64 s[8:9], s[12:13]
; %bb.3470:
	s_mov_b32 s10, 0x7f800001
	s_xor_b64 s[4:5], exec, -1
; %bb.3471:
	s_or_b64 exec, exec, s[8:9]
	s_and_b64 s[4:5], s[4:5], exec
	s_or_saveexec_b64 s[6:7], s[6:7]
	v_mov_b32_e32 v12, s10
	s_xor_b64 exec, exec, s[6:7]
	s_cbranch_execz .LBB1_1422
.LBB1_3472:
	v_mov_b32_e32 v12, 0
	v_cmp_ne_u16_sdwa s[8:9], v11, v12 src0_sel:BYTE_0 src1_sel:DWORD
	s_andn2_b64 s[4:5], s[4:5], exec
	s_and_b64 s[8:9], s[8:9], exec
	s_or_b64 s[4:5], s[4:5], s[8:9]
	s_or_b64 exec, exec, s[6:7]
	s_and_saveexec_b64 s[6:7], s[4:5]
	s_cbranch_execnz .LBB1_1423
	s_branch .LBB1_1424
.LBB1_3473:
	s_movk_i32 s4, 0x80
	v_cmp_eq_u16_e32 vcc, s4, v11
	s_mov_b64 s[4:5], -1
                                        ; implicit-def: $sgpr10
	s_and_saveexec_b64 s[8:9], vcc
; %bb.3474:
	s_mov_b32 s10, 0x7f800001
	s_xor_b64 s[4:5], exec, -1
; %bb.3475:
	s_or_b64 exec, exec, s[8:9]
	s_and_b64 s[4:5], s[4:5], exec
                                        ; implicit-def: $vgpr11
	s_or_saveexec_b64 s[6:7], s[6:7]
	v_mov_b32_e32 v10, s10
	s_xor_b64 exec, exec, s[6:7]
	s_cbranch_execz .LBB1_1426
.LBB1_3476:
	v_cmp_ne_u16_e32 vcc, 0, v11
	s_andn2_b64 s[4:5], s[4:5], exec
	s_and_b64 s[8:9], vcc, exec
	v_mov_b32_e32 v10, 0
	s_or_b64 s[4:5], s[4:5], s[8:9]
	s_or_b64 exec, exec, s[6:7]
	s_and_saveexec_b64 s[6:7], s[4:5]
	s_cbranch_execnz .LBB1_1427
	s_branch .LBB1_1428
.LBB1_3477:
	s_movk_i32 s4, 0x80
	v_cmp_eq_u16_e32 vcc, s4, v11
	s_mov_b64 s[4:5], -1
                                        ; implicit-def: $sgpr10
	s_and_saveexec_b64 s[8:9], vcc
; %bb.3478:
	s_mov_b32 s10, 0x7f800001
	s_xor_b64 s[4:5], exec, -1
; %bb.3479:
	s_or_b64 exec, exec, s[8:9]
	s_and_b64 s[4:5], s[4:5], exec
                                        ; implicit-def: $vgpr11
	s_or_saveexec_b64 s[6:7], s[6:7]
	v_mov_b32_e32 v12, s10
	s_xor_b64 exec, exec, s[6:7]
	s_cbranch_execz .LBB1_1430
.LBB1_3480:
	v_cmp_ne_u16_e32 vcc, 0, v11
	s_andn2_b64 s[4:5], s[4:5], exec
	s_and_b64 s[8:9], vcc, exec
	v_mov_b32_e32 v12, 0
	s_or_b64 s[4:5], s[4:5], s[8:9]
	s_or_b64 exec, exec, s[6:7]
	s_and_saveexec_b64 s[6:7], s[4:5]
	s_cbranch_execnz .LBB1_1431
	s_branch .LBB1_1432
.LBB1_3481:
	s_movk_i32 s4, 0x80
	v_cmp_eq_u16_sdwa s[12:13], v6, s4 src0_sel:BYTE_3 src1_sel:DWORD
	s_mov_b64 s[4:5], -1
                                        ; implicit-def: $sgpr10
	s_and_saveexec_b64 s[8:9], s[12:13]
; %bb.3482:
	s_mov_b32 s10, 0x7f800001
	s_xor_b64 s[4:5], exec, -1
; %bb.3483:
	s_or_b64 exec, exec, s[8:9]
	s_and_b64 s[4:5], s[4:5], exec
	s_or_saveexec_b64 s[6:7], s[6:7]
	v_mov_b32_e32 v10, s10
	s_xor_b64 exec, exec, s[6:7]
	s_cbranch_execz .LBB1_1434
.LBB1_3484:
	v_mov_b32_e32 v10, 0
	v_cmp_ne_u16_sdwa s[8:9], v6, v10 src0_sel:BYTE_3 src1_sel:DWORD
	s_andn2_b64 s[4:5], s[4:5], exec
	s_and_b64 s[8:9], s[8:9], exec
	s_or_b64 s[4:5], s[4:5], s[8:9]
	s_or_b64 exec, exec, s[6:7]
	s_and_saveexec_b64 s[6:7], s[4:5]
	s_cbranch_execnz .LBB1_1435
	s_branch .LBB1_1436
.LBB1_3485:
	s_movk_i32 s4, 0x80
	v_cmp_eq_u16_sdwa s[12:13], v2, s4 src0_sel:BYTE_3 src1_sel:DWORD
	s_mov_b64 s[4:5], -1
                                        ; implicit-def: $sgpr10
	s_and_saveexec_b64 s[8:9], s[12:13]
; %bb.3486:
	s_mov_b32 s10, 0x7f800001
	s_xor_b64 s[4:5], exec, -1
; %bb.3487:
	s_or_b64 exec, exec, s[8:9]
	s_and_b64 s[4:5], s[4:5], exec
	s_or_saveexec_b64 s[6:7], s[6:7]
	v_mov_b32_e32 v6, s10
	s_xor_b64 exec, exec, s[6:7]
	s_cbranch_execz .LBB1_1438
.LBB1_3488:
	v_mov_b32_e32 v6, 0
	v_cmp_ne_u16_sdwa s[8:9], v2, v6 src0_sel:BYTE_3 src1_sel:DWORD
	s_andn2_b64 s[4:5], s[4:5], exec
	s_and_b64 s[8:9], s[8:9], exec
	s_or_b64 s[4:5], s[4:5], s[8:9]
	s_or_b64 exec, exec, s[6:7]
	s_and_saveexec_b64 s[6:7], s[4:5]
	s_cbranch_execnz .LBB1_1439
	s_branch .LBB1_1440
.LBB1_3489:
	s_movk_i32 s4, 0x80
	v_cmp_eq_u16_sdwa s[12:13], v7, s4 src0_sel:BYTE_0 src1_sel:DWORD
	s_mov_b64 s[4:5], -1
                                        ; implicit-def: $sgpr10
	s_and_saveexec_b64 s[8:9], s[12:13]
; %bb.3490:
	s_mov_b32 s10, 0x7f800001
	s_xor_b64 s[4:5], exec, -1
; %bb.3491:
	s_or_b64 exec, exec, s[8:9]
	s_and_b64 s[4:5], s[4:5], exec
	s_or_saveexec_b64 s[6:7], s[6:7]
	v_mov_b32_e32 v2, s10
	s_xor_b64 exec, exec, s[6:7]
	s_cbranch_execz .LBB1_1442
.LBB1_3492:
	v_mov_b32_e32 v2, 0
	v_cmp_ne_u16_sdwa s[8:9], v7, v2 src0_sel:BYTE_0 src1_sel:DWORD
	s_andn2_b64 s[4:5], s[4:5], exec
	s_and_b64 s[8:9], s[8:9], exec
	s_or_b64 s[4:5], s[4:5], s[8:9]
	s_or_b64 exec, exec, s[6:7]
	s_and_saveexec_b64 s[6:7], s[4:5]
	s_cbranch_execnz .LBB1_1443
	s_branch .LBB1_1444
.LBB1_3493:
	s_movk_i32 s4, 0x80
	v_cmp_eq_u16_sdwa s[12:13], v3, s4 src0_sel:BYTE_0 src1_sel:DWORD
	s_mov_b64 s[4:5], -1
                                        ; implicit-def: $sgpr10
	s_and_saveexec_b64 s[8:9], s[12:13]
; %bb.3494:
	s_mov_b32 s10, 0x7f800001
	s_xor_b64 s[4:5], exec, -1
; %bb.3495:
	s_or_b64 exec, exec, s[8:9]
	s_and_b64 s[4:5], s[4:5], exec
	s_or_saveexec_b64 s[6:7], s[6:7]
	v_mov_b32_e32 v6, s10
	s_xor_b64 exec, exec, s[6:7]
	s_cbranch_execz .LBB1_1446
.LBB1_3496:
	v_mov_b32_e32 v6, 0
	v_cmp_ne_u16_sdwa s[8:9], v3, v6 src0_sel:BYTE_0 src1_sel:DWORD
	s_andn2_b64 s[4:5], s[4:5], exec
	s_and_b64 s[8:9], s[8:9], exec
	s_or_b64 s[4:5], s[4:5], s[8:9]
	s_or_b64 exec, exec, s[6:7]
	s_and_saveexec_b64 s[6:7], s[4:5]
	s_cbranch_execnz .LBB1_1447
	s_branch .LBB1_1448
.LBB1_3497:
	s_movk_i32 s4, 0x80
	v_cmp_eq_u16_sdwa s[12:13], v6, s4 src0_sel:BYTE_0 src1_sel:DWORD
	s_mov_b64 s[4:5], -1
                                        ; implicit-def: $sgpr10
	s_and_saveexec_b64 s[8:9], s[12:13]
; %bb.3498:
	s_mov_b32 s10, 0x7f800001
	s_xor_b64 s[4:5], exec, -1
; %bb.3499:
	s_or_b64 exec, exec, s[8:9]
	s_and_b64 s[4:5], s[4:5], exec
	s_or_saveexec_b64 s[6:7], s[6:7]
	v_mov_b32_e32 v2, s10
	s_xor_b64 exec, exec, s[6:7]
	s_cbranch_execz .LBB1_1450
.LBB1_3500:
	v_mov_b32_e32 v2, 0
	v_cmp_ne_u16_sdwa s[8:9], v6, v2 src0_sel:BYTE_0 src1_sel:DWORD
	s_andn2_b64 s[4:5], s[4:5], exec
	s_and_b64 s[8:9], s[8:9], exec
	s_or_b64 s[4:5], s[4:5], s[8:9]
	s_or_b64 exec, exec, s[6:7]
	s_and_saveexec_b64 s[6:7], s[4:5]
	s_cbranch_execnz .LBB1_1451
	s_branch .LBB1_1452
.LBB1_3501:
	s_movk_i32 s4, 0x80
	v_cmp_eq_u16_sdwa s[12:13], v6, s4 src0_sel:BYTE_0 src1_sel:DWORD
	s_mov_b64 s[4:5], -1
                                        ; implicit-def: $sgpr10
	s_and_saveexec_b64 s[8:9], s[12:13]
; %bb.3502:
	s_mov_b32 s10, 0x7f800001
	s_xor_b64 s[4:5], exec, -1
; %bb.3503:
	s_or_b64 exec, exec, s[8:9]
	s_and_b64 s[4:5], s[4:5], exec
	s_or_saveexec_b64 s[6:7], s[6:7]
	v_mov_b32_e32 v10, s10
	s_xor_b64 exec, exec, s[6:7]
	s_cbranch_execz .LBB1_1454
.LBB1_3504:
	v_mov_b32_e32 v10, 0
	v_cmp_ne_u16_sdwa s[8:9], v6, v10 src0_sel:BYTE_0 src1_sel:DWORD
	s_andn2_b64 s[4:5], s[4:5], exec
	s_and_b64 s[8:9], s[8:9], exec
	s_or_b64 s[4:5], s[4:5], s[8:9]
	s_or_b64 exec, exec, s[6:7]
	s_and_saveexec_b64 s[6:7], s[4:5]
	s_cbranch_execnz .LBB1_1455
	s_branch .LBB1_1456
.LBB1_3505:
	s_movk_i32 s4, 0x80
	v_cmp_eq_u16_e32 vcc, s4, v6
	s_mov_b64 s[4:5], -1
                                        ; implicit-def: $sgpr10
	s_and_saveexec_b64 s[8:9], vcc
; %bb.3506:
	s_mov_b32 s10, 0x7f800001
	s_xor_b64 s[4:5], exec, -1
; %bb.3507:
	s_or_b64 exec, exec, s[8:9]
	s_and_b64 s[4:5], s[4:5], exec
                                        ; implicit-def: $vgpr6
	s_or_saveexec_b64 s[6:7], s[6:7]
	v_mov_b32_e32 v2, s10
	s_xor_b64 exec, exec, s[6:7]
	s_cbranch_execz .LBB1_1458
.LBB1_3508:
	v_cmp_ne_u16_e32 vcc, 0, v6
	s_andn2_b64 s[4:5], s[4:5], exec
	s_and_b64 s[8:9], vcc, exec
	v_mov_b32_e32 v2, 0
	s_or_b64 s[4:5], s[4:5], s[8:9]
	s_or_b64 exec, exec, s[6:7]
	s_and_saveexec_b64 s[6:7], s[4:5]
	s_cbranch_execnz .LBB1_1459
	s_branch .LBB1_1460
.LBB1_3509:
	s_movk_i32 s4, 0x80
	v_cmp_eq_u16_e32 vcc, s4, v6
	s_mov_b64 s[4:5], -1
                                        ; implicit-def: $sgpr10
	s_and_saveexec_b64 s[8:9], vcc
; %bb.3510:
	s_mov_b32 s10, 0x7f800001
	s_xor_b64 s[4:5], exec, -1
; %bb.3511:
	s_or_b64 exec, exec, s[8:9]
	s_and_b64 s[4:5], s[4:5], exec
                                        ; implicit-def: $vgpr6
	s_or_saveexec_b64 s[6:7], s[6:7]
	v_mov_b32_e32 v10, s10
	s_xor_b64 exec, exec, s[6:7]
	s_cbranch_execz .LBB1_1462
.LBB1_3512:
	v_cmp_ne_u16_e32 vcc, 0, v6
	s_andn2_b64 s[4:5], s[4:5], exec
	s_and_b64 s[8:9], vcc, exec
	v_mov_b32_e32 v10, 0
	s_or_b64 s[4:5], s[4:5], s[8:9]
	s_or_b64 exec, exec, s[6:7]
	s_and_saveexec_b64 s[6:7], s[4:5]
	s_cbranch_execnz .LBB1_1463
	s_branch .LBB1_1464
.LBB1_3513:
	s_movk_i32 s4, 0x80
	v_cmp_eq_u16_sdwa s[12:13], v7, s4 src0_sel:BYTE_3 src1_sel:DWORD
	s_mov_b64 s[4:5], -1
                                        ; implicit-def: $sgpr10
	s_and_saveexec_b64 s[8:9], s[12:13]
; %bb.3514:
	s_mov_b32 s10, 0x7f800001
	s_xor_b64 s[4:5], exec, -1
; %bb.3515:
	s_or_b64 exec, exec, s[8:9]
	s_and_b64 s[4:5], s[4:5], exec
	s_or_saveexec_b64 s[6:7], s[6:7]
	v_mov_b32_e32 v2, s10
	s_xor_b64 exec, exec, s[6:7]
	s_cbranch_execz .LBB1_1466
.LBB1_3516:
	v_mov_b32_e32 v2, 0
	v_cmp_ne_u16_sdwa s[8:9], v7, v2 src0_sel:BYTE_3 src1_sel:DWORD
	s_andn2_b64 s[4:5], s[4:5], exec
	s_and_b64 s[8:9], s[8:9], exec
	s_or_b64 s[4:5], s[4:5], s[8:9]
	s_or_b64 exec, exec, s[6:7]
	s_and_saveexec_b64 s[6:7], s[4:5]
	s_cbranch_execnz .LBB1_1467
	s_branch .LBB1_1468
.LBB1_3517:
	s_movk_i32 s4, 0x80
	v_cmp_eq_u16_sdwa s[12:13], v3, s4 src0_sel:BYTE_3 src1_sel:DWORD
	s_mov_b64 s[4:5], -1
                                        ; implicit-def: $sgpr10
	s_and_saveexec_b64 s[8:9], s[12:13]
; %bb.3518:
	s_mov_b32 s10, 0x7f800001
	s_xor_b64 s[4:5], exec, -1
; %bb.3519:
	s_or_b64 exec, exec, s[8:9]
	s_and_b64 s[4:5], s[4:5], exec
	s_or_saveexec_b64 s[6:7], s[6:7]
	v_mov_b32_e32 v6, s10
	s_xor_b64 exec, exec, s[6:7]
	s_cbranch_execz .LBB1_1470
.LBB1_3520:
	v_mov_b32_e32 v6, 0
	v_cmp_ne_u16_sdwa s[8:9], v3, v6 src0_sel:BYTE_3 src1_sel:DWORD
	s_andn2_b64 s[4:5], s[4:5], exec
	s_and_b64 s[8:9], s[8:9], exec
	s_or_b64 s[4:5], s[4:5], s[8:9]
	s_or_b64 exec, exec, s[6:7]
	s_and_saveexec_b64 s[6:7], s[4:5]
	s_cbranch_execnz .LBB1_1471
	s_branch .LBB1_1472
.LBB1_3521:
	s_movk_i32 s4, 0x80
	v_cmp_eq_u16_sdwa s[12:13], v8, s4 src0_sel:BYTE_0 src1_sel:DWORD
	s_mov_b64 s[4:5], -1
                                        ; implicit-def: $sgpr10
	s_and_saveexec_b64 s[8:9], s[12:13]
; %bb.3522:
	s_mov_b32 s10, 0x7f800001
	s_xor_b64 s[4:5], exec, -1
; %bb.3523:
	s_or_b64 exec, exec, s[8:9]
	s_and_b64 s[4:5], s[4:5], exec
	s_or_saveexec_b64 s[6:7], s[6:7]
	v_mov_b32_e32 v2, s10
	s_xor_b64 exec, exec, s[6:7]
	s_cbranch_execz .LBB1_1474
.LBB1_3524:
	v_mov_b32_e32 v2, 0
	v_cmp_ne_u16_sdwa s[8:9], v8, v2 src0_sel:BYTE_0 src1_sel:DWORD
	s_andn2_b64 s[4:5], s[4:5], exec
	s_and_b64 s[8:9], s[8:9], exec
	s_or_b64 s[4:5], s[4:5], s[8:9]
	s_or_b64 exec, exec, s[6:7]
	s_and_saveexec_b64 s[6:7], s[4:5]
	s_cbranch_execnz .LBB1_1475
	s_branch .LBB1_1476
.LBB1_3525:
	s_movk_i32 s4, 0x80
	v_cmp_eq_u16_sdwa s[12:13], v4, s4 src0_sel:BYTE_0 src1_sel:DWORD
	s_mov_b64 s[4:5], -1
                                        ; implicit-def: $sgpr10
	s_and_saveexec_b64 s[8:9], s[12:13]
; %bb.3526:
	s_mov_b32 s10, 0x7f800001
	s_xor_b64 s[4:5], exec, -1
; %bb.3527:
	s_or_b64 exec, exec, s[8:9]
	s_and_b64 s[4:5], s[4:5], exec
	s_or_saveexec_b64 s[6:7], s[6:7]
	v_mov_b32_e32 v3, s10
	s_xor_b64 exec, exec, s[6:7]
	s_cbranch_execz .LBB1_1478
.LBB1_3528:
	v_mov_b32_e32 v3, 0
	v_cmp_ne_u16_sdwa s[8:9], v4, v3 src0_sel:BYTE_0 src1_sel:DWORD
	s_andn2_b64 s[4:5], s[4:5], exec
	s_and_b64 s[8:9], s[8:9], exec
	s_or_b64 s[4:5], s[4:5], s[8:9]
	s_or_b64 exec, exec, s[6:7]
	s_and_saveexec_b64 s[6:7], s[4:5]
	s_cbranch_execnz .LBB1_1479
	s_branch .LBB1_1480
.LBB1_3529:
	s_movk_i32 s4, 0x80
	v_cmp_eq_u16_sdwa s[12:13], v3, s4 src0_sel:BYTE_0 src1_sel:DWORD
	s_mov_b64 s[4:5], -1
                                        ; implicit-def: $sgpr10
	s_and_saveexec_b64 s[8:9], s[12:13]
; %bb.3530:
	s_mov_b32 s10, 0x7f800001
	s_xor_b64 s[4:5], exec, -1
; %bb.3531:
	s_or_b64 exec, exec, s[8:9]
	s_and_b64 s[4:5], s[4:5], exec
	s_or_saveexec_b64 s[6:7], s[6:7]
	v_mov_b32_e32 v2, s10
	s_xor_b64 exec, exec, s[6:7]
	s_cbranch_execz .LBB1_1482
.LBB1_3532:
	v_mov_b32_e32 v2, 0
	v_cmp_ne_u16_sdwa s[8:9], v3, v2 src0_sel:BYTE_0 src1_sel:DWORD
	s_andn2_b64 s[4:5], s[4:5], exec
	s_and_b64 s[8:9], s[8:9], exec
	s_or_b64 s[4:5], s[4:5], s[8:9]
	s_or_b64 exec, exec, s[6:7]
	s_and_saveexec_b64 s[6:7], s[4:5]
	s_cbranch_execnz .LBB1_1483
	s_branch .LBB1_1484
.LBB1_3533:
	s_movk_i32 s4, 0x80
	v_cmp_eq_u16_sdwa s[12:13], v3, s4 src0_sel:BYTE_0 src1_sel:DWORD
	s_mov_b64 s[4:5], -1
                                        ; implicit-def: $sgpr10
	s_and_saveexec_b64 s[8:9], s[12:13]
; %bb.3534:
	s_mov_b32 s10, 0x7f800001
	s_xor_b64 s[4:5], exec, -1
; %bb.3535:
	s_or_b64 exec, exec, s[8:9]
	s_and_b64 s[4:5], s[4:5], exec
	s_or_saveexec_b64 s[6:7], s[6:7]
	v_mov_b32_e32 v6, s10
	s_xor_b64 exec, exec, s[6:7]
	s_cbranch_execz .LBB1_1486
.LBB1_3536:
	v_mov_b32_e32 v6, 0
	v_cmp_ne_u16_sdwa s[8:9], v3, v6 src0_sel:BYTE_0 src1_sel:DWORD
	s_andn2_b64 s[4:5], s[4:5], exec
	s_and_b64 s[8:9], s[8:9], exec
	s_or_b64 s[4:5], s[4:5], s[8:9]
	s_or_b64 exec, exec, s[6:7]
	s_and_saveexec_b64 s[6:7], s[4:5]
	s_cbranch_execnz .LBB1_1487
	s_branch .LBB1_1488
.LBB1_3537:
	s_movk_i32 s4, 0x80
	v_cmp_eq_u16_e32 vcc, s4, v3
	s_mov_b64 s[4:5], -1
                                        ; implicit-def: $sgpr10
	s_and_saveexec_b64 s[8:9], vcc
; %bb.3538:
	s_mov_b32 s10, 0x7f800001
	s_xor_b64 s[4:5], exec, -1
; %bb.3539:
	s_or_b64 exec, exec, s[8:9]
	s_and_b64 s[4:5], s[4:5], exec
                                        ; implicit-def: $vgpr3
	s_or_saveexec_b64 s[6:7], s[6:7]
	v_mov_b32_e32 v2, s10
	s_xor_b64 exec, exec, s[6:7]
	s_cbranch_execz .LBB1_1490
.LBB1_3540:
	v_cmp_ne_u16_e32 vcc, 0, v3
	s_andn2_b64 s[4:5], s[4:5], exec
	s_and_b64 s[8:9], vcc, exec
	v_mov_b32_e32 v2, 0
	s_or_b64 s[4:5], s[4:5], s[8:9]
	s_or_b64 exec, exec, s[6:7]
	s_and_saveexec_b64 s[6:7], s[4:5]
	s_cbranch_execnz .LBB1_1491
	s_branch .LBB1_1492
.LBB1_3541:
	s_movk_i32 s4, 0x80
	v_cmp_eq_u16_e32 vcc, s4, v3
	s_mov_b64 s[4:5], -1
                                        ; implicit-def: $sgpr10
	s_and_saveexec_b64 s[8:9], vcc
; %bb.3542:
	s_mov_b32 s10, 0x7f800001
	s_xor_b64 s[4:5], exec, -1
; %bb.3543:
	s_or_b64 exec, exec, s[8:9]
	s_and_b64 s[4:5], s[4:5], exec
                                        ; implicit-def: $vgpr3
	s_or_saveexec_b64 s[6:7], s[6:7]
	v_mov_b32_e32 v6, s10
	s_xor_b64 exec, exec, s[6:7]
	s_cbranch_execz .LBB1_1494
.LBB1_3544:
	v_cmp_ne_u16_e32 vcc, 0, v3
	s_andn2_b64 s[4:5], s[4:5], exec
	s_and_b64 s[8:9], vcc, exec
	v_mov_b32_e32 v6, 0
	s_or_b64 s[4:5], s[4:5], s[8:9]
	s_or_b64 exec, exec, s[6:7]
	s_and_saveexec_b64 s[6:7], s[4:5]
	s_cbranch_execnz .LBB1_1495
	s_branch .LBB1_1496
.LBB1_3545:
	s_movk_i32 s4, 0x80
	v_cmp_eq_u16_sdwa s[12:13], v8, s4 src0_sel:BYTE_3 src1_sel:DWORD
	s_mov_b64 s[4:5], -1
                                        ; implicit-def: $sgpr10
	s_and_saveexec_b64 s[8:9], s[12:13]
; %bb.3546:
	s_mov_b32 s10, 0x7f800001
	s_xor_b64 s[4:5], exec, -1
; %bb.3547:
	s_or_b64 exec, exec, s[8:9]
	s_and_b64 s[4:5], s[4:5], exec
	s_or_saveexec_b64 s[6:7], s[6:7]
	v_mov_b32_e32 v2, s10
	s_xor_b64 exec, exec, s[6:7]
	s_cbranch_execz .LBB1_1498
.LBB1_3548:
	v_mov_b32_e32 v2, 0
	v_cmp_ne_u16_sdwa s[8:9], v8, v2 src0_sel:BYTE_3 src1_sel:DWORD
	s_andn2_b64 s[4:5], s[4:5], exec
	s_and_b64 s[8:9], s[8:9], exec
	s_or_b64 s[4:5], s[4:5], s[8:9]
	s_or_b64 exec, exec, s[6:7]
	s_and_saveexec_b64 s[6:7], s[4:5]
	s_cbranch_execnz .LBB1_1499
	s_branch .LBB1_1500
.LBB1_3549:
	s_movk_i32 s4, 0x80
	v_cmp_eq_u16_sdwa s[12:13], v4, s4 src0_sel:BYTE_3 src1_sel:DWORD
	s_mov_b64 s[4:5], -1
                                        ; implicit-def: $sgpr10
	s_and_saveexec_b64 s[8:9], s[12:13]
; %bb.3550:
	s_mov_b32 s10, 0x7f800001
	s_xor_b64 s[4:5], exec, -1
; %bb.3551:
	s_or_b64 exec, exec, s[8:9]
	s_and_b64 s[4:5], s[4:5], exec
	s_or_saveexec_b64 s[6:7], s[6:7]
	v_mov_b32_e32 v3, s10
	s_xor_b64 exec, exec, s[6:7]
	s_cbranch_execz .LBB1_1502
.LBB1_3552:
	v_mov_b32_e32 v3, 0
	v_cmp_ne_u16_sdwa s[8:9], v4, v3 src0_sel:BYTE_3 src1_sel:DWORD
	s_andn2_b64 s[4:5], s[4:5], exec
	s_and_b64 s[8:9], s[8:9], exec
	s_or_b64 s[4:5], s[4:5], s[8:9]
	s_or_b64 exec, exec, s[6:7]
	s_and_saveexec_b64 s[6:7], s[4:5]
	s_cbranch_execnz .LBB1_1503
	s_branch .LBB1_1504
.LBB1_3553:
	s_movk_i32 s4, 0x80
	v_cmp_eq_u16_sdwa s[12:13], v9, s4 src0_sel:BYTE_0 src1_sel:DWORD
	s_mov_b64 s[4:5], -1
                                        ; implicit-def: $sgpr10
	s_and_saveexec_b64 s[8:9], s[12:13]
; %bb.3554:
	s_mov_b32 s10, 0x7f800001
	s_xor_b64 s[4:5], exec, -1
; %bb.3555:
	s_or_b64 exec, exec, s[8:9]
	s_and_b64 s[4:5], s[4:5], exec
	s_or_saveexec_b64 s[6:7], s[6:7]
	v_mov_b32_e32 v2, s10
	s_xor_b64 exec, exec, s[6:7]
	s_cbranch_execz .LBB1_1506
.LBB1_3556:
	v_mov_b32_e32 v2, 0
	v_cmp_ne_u16_sdwa s[8:9], v9, v2 src0_sel:BYTE_0 src1_sel:DWORD
	s_andn2_b64 s[4:5], s[4:5], exec
	s_and_b64 s[8:9], s[8:9], exec
	s_or_b64 s[4:5], s[4:5], s[8:9]
	s_or_b64 exec, exec, s[6:7]
	s_and_saveexec_b64 s[6:7], s[4:5]
	s_cbranch_execnz .LBB1_1507
	s_branch .LBB1_1508
.LBB1_3557:
	s_movk_i32 s4, 0x80
	v_cmp_eq_u16_sdwa s[12:13], v5, s4 src0_sel:BYTE_0 src1_sel:DWORD
	s_mov_b64 s[4:5], -1
                                        ; implicit-def: $sgpr10
	s_and_saveexec_b64 s[8:9], s[12:13]
; %bb.3558:
	s_mov_b32 s10, 0x7f800001
	s_xor_b64 s[4:5], exec, -1
; %bb.3559:
	s_or_b64 exec, exec, s[8:9]
	s_and_b64 s[4:5], s[4:5], exec
	s_or_saveexec_b64 s[6:7], s[6:7]
	v_mov_b32_e32 v3, s10
	s_xor_b64 exec, exec, s[6:7]
	s_cbranch_execz .LBB1_1510
.LBB1_3560:
	v_mov_b32_e32 v3, 0
	v_cmp_ne_u16_sdwa s[8:9], v5, v3 src0_sel:BYTE_0 src1_sel:DWORD
	s_andn2_b64 s[4:5], s[4:5], exec
	s_and_b64 s[8:9], s[8:9], exec
	s_or_b64 s[4:5], s[4:5], s[8:9]
	s_or_b64 exec, exec, s[6:7]
	s_and_saveexec_b64 s[6:7], s[4:5]
	s_cbranch_execnz .LBB1_1511
	s_branch .LBB1_1512
.LBB1_3561:
	s_movk_i32 s4, 0x80
	v_cmp_eq_u16_sdwa s[12:13], v3, s4 src0_sel:BYTE_0 src1_sel:DWORD
	s_mov_b64 s[4:5], -1
                                        ; implicit-def: $sgpr10
	s_and_saveexec_b64 s[8:9], s[12:13]
; %bb.3562:
	s_mov_b32 s10, 0x7f800001
	s_xor_b64 s[4:5], exec, -1
; %bb.3563:
	s_or_b64 exec, exec, s[8:9]
	s_and_b64 s[4:5], s[4:5], exec
	s_or_saveexec_b64 s[6:7], s[6:7]
	v_mov_b32_e32 v2, s10
	s_xor_b64 exec, exec, s[6:7]
	s_cbranch_execz .LBB1_1514
.LBB1_3564:
	v_mov_b32_e32 v2, 0
	v_cmp_ne_u16_sdwa s[8:9], v3, v2 src0_sel:BYTE_0 src1_sel:DWORD
	s_andn2_b64 s[4:5], s[4:5], exec
	s_and_b64 s[8:9], s[8:9], exec
	s_or_b64 s[4:5], s[4:5], s[8:9]
	s_or_b64 exec, exec, s[6:7]
	s_and_saveexec_b64 s[6:7], s[4:5]
	s_cbranch_execnz .LBB1_1515
	s_branch .LBB1_1516
.LBB1_3565:
	s_movk_i32 s4, 0x80
	v_cmp_eq_u16_sdwa s[12:13], v3, s4 src0_sel:BYTE_0 src1_sel:DWORD
	s_mov_b64 s[4:5], -1
                                        ; implicit-def: $sgpr10
	s_and_saveexec_b64 s[8:9], s[12:13]
; %bb.3566:
	s_mov_b32 s10, 0x7f800001
	s_xor_b64 s[4:5], exec, -1
; %bb.3567:
	s_or_b64 exec, exec, s[8:9]
	s_and_b64 s[4:5], s[4:5], exec
	s_or_saveexec_b64 s[6:7], s[6:7]
	v_mov_b32_e32 v4, s10
	s_xor_b64 exec, exec, s[6:7]
	s_cbranch_execz .LBB1_1518
.LBB1_3568:
	v_mov_b32_e32 v4, 0
	v_cmp_ne_u16_sdwa s[8:9], v3, v4 src0_sel:BYTE_0 src1_sel:DWORD
	s_andn2_b64 s[4:5], s[4:5], exec
	s_and_b64 s[8:9], s[8:9], exec
	s_or_b64 s[4:5], s[4:5], s[8:9]
	s_or_b64 exec, exec, s[6:7]
	s_and_saveexec_b64 s[6:7], s[4:5]
	s_cbranch_execnz .LBB1_1519
	s_branch .LBB1_1520
.LBB1_3569:
	s_movk_i32 s4, 0x80
	v_cmp_eq_u16_e32 vcc, s4, v3
	s_mov_b64 s[4:5], -1
                                        ; implicit-def: $sgpr10
	s_and_saveexec_b64 s[8:9], vcc
; %bb.3570:
	s_mov_b32 s10, 0x7f800001
	s_xor_b64 s[4:5], exec, -1
; %bb.3571:
	s_or_b64 exec, exec, s[8:9]
	s_and_b64 s[4:5], s[4:5], exec
                                        ; implicit-def: $vgpr3
	s_or_saveexec_b64 s[6:7], s[6:7]
	v_mov_b32_e32 v2, s10
	s_xor_b64 exec, exec, s[6:7]
	s_cbranch_execz .LBB1_1522
.LBB1_3572:
	v_cmp_ne_u16_e32 vcc, 0, v3
	s_andn2_b64 s[4:5], s[4:5], exec
	s_and_b64 s[8:9], vcc, exec
	v_mov_b32_e32 v2, 0
	s_or_b64 s[4:5], s[4:5], s[8:9]
	s_or_b64 exec, exec, s[6:7]
	s_and_saveexec_b64 s[6:7], s[4:5]
	s_cbranch_execnz .LBB1_1523
	s_branch .LBB1_1524
.LBB1_3573:
	s_movk_i32 s4, 0x80
	v_cmp_eq_u16_e32 vcc, s4, v3
	s_mov_b64 s[4:5], -1
                                        ; implicit-def: $sgpr10
	s_and_saveexec_b64 s[8:9], vcc
; %bb.3574:
	s_mov_b32 s10, 0x7f800001
	s_xor_b64 s[4:5], exec, -1
; %bb.3575:
	s_or_b64 exec, exec, s[8:9]
	s_and_b64 s[4:5], s[4:5], exec
                                        ; implicit-def: $vgpr3
	s_or_saveexec_b64 s[6:7], s[6:7]
	v_mov_b32_e32 v4, s10
	s_xor_b64 exec, exec, s[6:7]
	s_cbranch_execz .LBB1_1526
.LBB1_3576:
	v_cmp_ne_u16_e32 vcc, 0, v3
	s_andn2_b64 s[4:5], s[4:5], exec
	s_and_b64 s[8:9], vcc, exec
	v_mov_b32_e32 v4, 0
	s_or_b64 s[4:5], s[4:5], s[8:9]
	s_or_b64 exec, exec, s[6:7]
	s_and_saveexec_b64 s[6:7], s[4:5]
	s_cbranch_execnz .LBB1_1527
	s_branch .LBB1_1528
.LBB1_3577:
	s_movk_i32 s4, 0x80
	v_cmp_eq_u16_sdwa s[12:13], v9, s4 src0_sel:BYTE_3 src1_sel:DWORD
	s_mov_b64 s[4:5], -1
                                        ; implicit-def: $sgpr10
	s_and_saveexec_b64 s[8:9], s[12:13]
; %bb.3578:
	s_mov_b32 s10, 0x7f800001
	s_xor_b64 s[4:5], exec, -1
; %bb.3579:
	s_or_b64 exec, exec, s[8:9]
	s_and_b64 s[4:5], s[4:5], exec
	s_or_saveexec_b64 s[6:7], s[6:7]
	v_mov_b32_e32 v2, s10
	s_xor_b64 exec, exec, s[6:7]
	s_cbranch_execz .LBB1_1530
.LBB1_3580:
	v_mov_b32_e32 v2, 0
	v_cmp_ne_u16_sdwa s[8:9], v9, v2 src0_sel:BYTE_3 src1_sel:DWORD
	s_andn2_b64 s[4:5], s[4:5], exec
	s_and_b64 s[8:9], s[8:9], exec
	s_or_b64 s[4:5], s[4:5], s[8:9]
	s_or_b64 exec, exec, s[6:7]
	s_and_saveexec_b64 s[6:7], s[4:5]
	s_cbranch_execnz .LBB1_1531
	s_branch .LBB1_1532
.LBB1_3581:
	s_movk_i32 s4, 0x80
	v_cmp_eq_u16_sdwa s[12:13], v5, s4 src0_sel:BYTE_3 src1_sel:DWORD
	s_mov_b64 s[4:5], -1
                                        ; implicit-def: $sgpr10
	s_and_saveexec_b64 s[8:9], s[12:13]
; %bb.3582:
	s_mov_b32 s10, 0x7f800001
	s_xor_b64 s[4:5], exec, -1
; %bb.3583:
	s_or_b64 exec, exec, s[8:9]
	s_and_b64 s[4:5], s[4:5], exec
	s_or_saveexec_b64 s[6:7], s[6:7]
	v_mov_b32_e32 v3, s10
	s_xor_b64 exec, exec, s[6:7]
	s_cbranch_execz .LBB1_1534
.LBB1_3584:
	v_mov_b32_e32 v3, 0
	v_cmp_ne_u16_sdwa s[8:9], v5, v3 src0_sel:BYTE_3 src1_sel:DWORD
	s_andn2_b64 s[4:5], s[4:5], exec
	s_and_b64 s[8:9], s[8:9], exec
	s_or_b64 s[4:5], s[4:5], s[8:9]
	s_or_b64 exec, exec, s[6:7]
	s_and_saveexec_b64 s[6:7], s[4:5]
	s_cbranch_execnz .LBB1_1535
	s_branch .LBB1_1536
.LBB1_3585:
	s_movk_i32 s4, 0x80
	v_cmp_eq_u16_sdwa s[12:13], v14, s4 src0_sel:BYTE_0 src1_sel:DWORD
	s_mov_b64 s[4:5], -1
                                        ; implicit-def: $sgpr10
	s_and_saveexec_b64 s[8:9], s[12:13]
; %bb.3586:
	s_mov_b32 s10, 0x7f800001
	s_xor_b64 s[4:5], exec, -1
; %bb.3587:
	s_or_b64 exec, exec, s[8:9]
	s_and_b64 s[4:5], s[4:5], exec
	s_or_saveexec_b64 s[6:7], s[6:7]
	v_mov_b32_e32 v20, s10
	s_xor_b64 exec, exec, s[6:7]
	s_cbranch_execz .LBB1_1538
.LBB1_3588:
	v_mov_b32_e32 v20, 0
	v_cmp_ne_u16_sdwa s[8:9], v14, v20 src0_sel:BYTE_0 src1_sel:DWORD
	s_andn2_b64 s[4:5], s[4:5], exec
	s_and_b64 s[8:9], s[8:9], exec
	s_or_b64 s[4:5], s[4:5], s[8:9]
	s_or_b64 exec, exec, s[6:7]
	s_and_saveexec_b64 s[6:7], s[4:5]
	s_cbranch_execnz .LBB1_1539
	s_branch .LBB1_1540
.LBB1_3589:
	s_movk_i32 s4, 0x80
	v_cmp_eq_u16_sdwa s[12:13], v10, s4 src0_sel:BYTE_0 src1_sel:DWORD
	s_mov_b64 s[4:5], -1
                                        ; implicit-def: $sgpr10
	s_and_saveexec_b64 s[8:9], s[12:13]
; %bb.3590:
	s_mov_b32 s10, 0x7f800001
	s_xor_b64 s[4:5], exec, -1
; %bb.3591:
	s_or_b64 exec, exec, s[8:9]
	s_and_b64 s[4:5], s[4:5], exec
	s_or_saveexec_b64 s[6:7], s[6:7]
	v_mov_b32_e32 v21, s10
	s_xor_b64 exec, exec, s[6:7]
	s_cbranch_execz .LBB1_1542
.LBB1_3592:
	v_mov_b32_e32 v21, 0
	v_cmp_ne_u16_sdwa s[8:9], v10, v21 src0_sel:BYTE_0 src1_sel:DWORD
	s_andn2_b64 s[4:5], s[4:5], exec
	s_and_b64 s[8:9], s[8:9], exec
	s_or_b64 s[4:5], s[4:5], s[8:9]
	s_or_b64 exec, exec, s[6:7]
	s_and_saveexec_b64 s[6:7], s[4:5]
	s_cbranch_execnz .LBB1_1543
	s_branch .LBB1_1544
.LBB1_3593:
	s_movk_i32 s4, 0x80
	v_cmp_eq_u16_sdwa s[12:13], v21, s4 src0_sel:BYTE_0 src1_sel:DWORD
	s_mov_b64 s[4:5], -1
                                        ; implicit-def: $sgpr10
	s_and_saveexec_b64 s[8:9], s[12:13]
; %bb.3594:
	s_mov_b32 s10, 0x7f800001
	s_xor_b64 s[4:5], exec, -1
; %bb.3595:
	s_or_b64 exec, exec, s[8:9]
	s_and_b64 s[4:5], s[4:5], exec
	s_or_saveexec_b64 s[6:7], s[6:7]
	v_mov_b32_e32 v20, s10
	s_xor_b64 exec, exec, s[6:7]
	s_cbranch_execz .LBB1_1546
.LBB1_3596:
	v_mov_b32_e32 v20, 0
	v_cmp_ne_u16_sdwa s[8:9], v21, v20 src0_sel:BYTE_0 src1_sel:DWORD
	s_andn2_b64 s[4:5], s[4:5], exec
	s_and_b64 s[8:9], s[8:9], exec
	s_or_b64 s[4:5], s[4:5], s[8:9]
	s_or_b64 exec, exec, s[6:7]
	s_and_saveexec_b64 s[6:7], s[4:5]
	s_cbranch_execnz .LBB1_1547
	s_branch .LBB1_1548
.LBB1_3597:
	s_movk_i32 s4, 0x80
	v_cmp_eq_u16_sdwa s[12:13], v21, s4 src0_sel:BYTE_0 src1_sel:DWORD
	s_mov_b64 s[4:5], -1
                                        ; implicit-def: $sgpr10
	s_and_saveexec_b64 s[8:9], s[12:13]
; %bb.3598:
	s_mov_b32 s10, 0x7f800001
	s_xor_b64 s[4:5], exec, -1
; %bb.3599:
	s_or_b64 exec, exec, s[8:9]
	s_and_b64 s[4:5], s[4:5], exec
	s_or_saveexec_b64 s[6:7], s[6:7]
	v_mov_b32_e32 v22, s10
	s_xor_b64 exec, exec, s[6:7]
	s_cbranch_execz .LBB1_1550
.LBB1_3600:
	v_mov_b32_e32 v22, 0
	v_cmp_ne_u16_sdwa s[8:9], v21, v22 src0_sel:BYTE_0 src1_sel:DWORD
	s_andn2_b64 s[4:5], s[4:5], exec
	s_and_b64 s[8:9], s[8:9], exec
	s_or_b64 s[4:5], s[4:5], s[8:9]
	s_or_b64 exec, exec, s[6:7]
	s_and_saveexec_b64 s[6:7], s[4:5]
	s_cbranch_execnz .LBB1_1551
	s_branch .LBB1_1552
.LBB1_3601:
	s_movk_i32 s4, 0x80
	v_cmp_eq_u16_e32 vcc, s4, v21
	s_mov_b64 s[4:5], -1
                                        ; implicit-def: $sgpr10
	s_and_saveexec_b64 s[8:9], vcc
; %bb.3602:
	s_mov_b32 s10, 0x7f800001
	s_xor_b64 s[4:5], exec, -1
; %bb.3603:
	s_or_b64 exec, exec, s[8:9]
	s_and_b64 s[4:5], s[4:5], exec
                                        ; implicit-def: $vgpr21
	s_or_saveexec_b64 s[6:7], s[6:7]
	v_mov_b32_e32 v20, s10
	s_xor_b64 exec, exec, s[6:7]
	s_cbranch_execz .LBB1_1554
.LBB1_3604:
	v_cmp_ne_u16_e32 vcc, 0, v21
	s_andn2_b64 s[4:5], s[4:5], exec
	s_and_b64 s[8:9], vcc, exec
	v_mov_b32_e32 v20, 0
	s_or_b64 s[4:5], s[4:5], s[8:9]
	s_or_b64 exec, exec, s[6:7]
	s_and_saveexec_b64 s[6:7], s[4:5]
	s_cbranch_execnz .LBB1_1555
	s_branch .LBB1_1556
.LBB1_3605:
	s_movk_i32 s4, 0x80
	v_cmp_eq_u16_e32 vcc, s4, v21
	s_mov_b64 s[4:5], -1
                                        ; implicit-def: $sgpr10
	s_and_saveexec_b64 s[8:9], vcc
; %bb.3606:
	s_mov_b32 s10, 0x7f800001
	s_xor_b64 s[4:5], exec, -1
; %bb.3607:
	s_or_b64 exec, exec, s[8:9]
	s_and_b64 s[4:5], s[4:5], exec
                                        ; implicit-def: $vgpr21
	s_or_saveexec_b64 s[6:7], s[6:7]
	v_mov_b32_e32 v22, s10
	s_xor_b64 exec, exec, s[6:7]
	s_cbranch_execz .LBB1_1558
.LBB1_3608:
	v_cmp_ne_u16_e32 vcc, 0, v21
	s_andn2_b64 s[4:5], s[4:5], exec
	s_and_b64 s[8:9], vcc, exec
	v_mov_b32_e32 v22, 0
	s_or_b64 s[4:5], s[4:5], s[8:9]
	s_or_b64 exec, exec, s[6:7]
	s_and_saveexec_b64 s[6:7], s[4:5]
	s_cbranch_execnz .LBB1_1559
	s_branch .LBB1_1560
.LBB1_3609:
	s_movk_i32 s4, 0x80
	v_cmp_eq_u16_sdwa s[12:13], v14, s4 src0_sel:BYTE_3 src1_sel:DWORD
	s_mov_b64 s[4:5], -1
                                        ; implicit-def: $sgpr10
	s_and_saveexec_b64 s[8:9], s[12:13]
; %bb.3610:
	s_mov_b32 s10, 0x7f800001
	s_xor_b64 s[4:5], exec, -1
; %bb.3611:
	s_or_b64 exec, exec, s[8:9]
	s_and_b64 s[4:5], s[4:5], exec
	s_or_saveexec_b64 s[6:7], s[6:7]
	v_mov_b32_e32 v20, s10
	s_xor_b64 exec, exec, s[6:7]
	s_cbranch_execz .LBB1_1562
.LBB1_3612:
	v_mov_b32_e32 v20, 0
	v_cmp_ne_u16_sdwa s[8:9], v14, v20 src0_sel:BYTE_3 src1_sel:DWORD
	s_andn2_b64 s[4:5], s[4:5], exec
	s_and_b64 s[8:9], s[8:9], exec
	s_or_b64 s[4:5], s[4:5], s[8:9]
	s_or_b64 exec, exec, s[6:7]
	s_and_saveexec_b64 s[6:7], s[4:5]
	s_cbranch_execnz .LBB1_1563
	s_branch .LBB1_1564
.LBB1_3613:
	s_movk_i32 s4, 0x80
	v_cmp_eq_u16_sdwa s[12:13], v10, s4 src0_sel:BYTE_3 src1_sel:DWORD
	s_mov_b64 s[4:5], -1
                                        ; implicit-def: $sgpr10
	s_and_saveexec_b64 s[8:9], s[12:13]
; %bb.3614:
	s_mov_b32 s10, 0x7f800001
	s_xor_b64 s[4:5], exec, -1
; %bb.3615:
	s_or_b64 exec, exec, s[8:9]
	s_and_b64 s[4:5], s[4:5], exec
	s_or_saveexec_b64 s[6:7], s[6:7]
	v_mov_b32_e32 v14, s10
	s_xor_b64 exec, exec, s[6:7]
	s_cbranch_execz .LBB1_1566
.LBB1_3616:
	v_mov_b32_e32 v14, 0
	v_cmp_ne_u16_sdwa s[8:9], v10, v14 src0_sel:BYTE_3 src1_sel:DWORD
	s_andn2_b64 s[4:5], s[4:5], exec
	s_and_b64 s[8:9], s[8:9], exec
	s_or_b64 s[4:5], s[4:5], s[8:9]
	s_or_b64 exec, exec, s[6:7]
	s_and_saveexec_b64 s[6:7], s[4:5]
	s_cbranch_execnz .LBB1_1567
	s_branch .LBB1_1568
.LBB1_3617:
	s_movk_i32 s4, 0x80
	v_cmp_eq_u16_sdwa s[12:13], v15, s4 src0_sel:BYTE_0 src1_sel:DWORD
	s_mov_b64 s[4:5], -1
                                        ; implicit-def: $sgpr10
	s_and_saveexec_b64 s[8:9], s[12:13]
; %bb.3618:
	s_mov_b32 s10, 0x7f800001
	s_xor_b64 s[4:5], exec, -1
; %bb.3619:
	s_or_b64 exec, exec, s[8:9]
	s_and_b64 s[4:5], s[4:5], exec
	s_or_saveexec_b64 s[6:7], s[6:7]
	v_mov_b32_e32 v10, s10
	s_xor_b64 exec, exec, s[6:7]
	s_cbranch_execz .LBB1_1570
.LBB1_3620:
	v_mov_b32_e32 v10, 0
	v_cmp_ne_u16_sdwa s[8:9], v15, v10 src0_sel:BYTE_0 src1_sel:DWORD
	s_andn2_b64 s[4:5], s[4:5], exec
	s_and_b64 s[8:9], s[8:9], exec
	s_or_b64 s[4:5], s[4:5], s[8:9]
	s_or_b64 exec, exec, s[6:7]
	s_and_saveexec_b64 s[6:7], s[4:5]
	s_cbranch_execnz .LBB1_1571
	s_branch .LBB1_1572
.LBB1_3621:
	s_movk_i32 s4, 0x80
	v_cmp_eq_u16_sdwa s[12:13], v11, s4 src0_sel:BYTE_0 src1_sel:DWORD
	s_mov_b64 s[4:5], -1
                                        ; implicit-def: $sgpr10
	s_and_saveexec_b64 s[8:9], s[12:13]
; %bb.3622:
	s_mov_b32 s10, 0x7f800001
	s_xor_b64 s[4:5], exec, -1
; %bb.3623:
	s_or_b64 exec, exec, s[8:9]
	s_and_b64 s[4:5], s[4:5], exec
	s_or_saveexec_b64 s[6:7], s[6:7]
	v_mov_b32_e32 v14, s10
	s_xor_b64 exec, exec, s[6:7]
	s_cbranch_execz .LBB1_1574
.LBB1_3624:
	v_mov_b32_e32 v14, 0
	v_cmp_ne_u16_sdwa s[8:9], v11, v14 src0_sel:BYTE_0 src1_sel:DWORD
	s_andn2_b64 s[4:5], s[4:5], exec
	s_and_b64 s[8:9], s[8:9], exec
	s_or_b64 s[4:5], s[4:5], s[8:9]
	s_or_b64 exec, exec, s[6:7]
	s_and_saveexec_b64 s[6:7], s[4:5]
	s_cbranch_execnz .LBB1_1575
	s_branch .LBB1_1576
.LBB1_3625:
	s_movk_i32 s4, 0x80
	v_cmp_eq_u16_sdwa s[12:13], v14, s4 src0_sel:BYTE_0 src1_sel:DWORD
	s_mov_b64 s[4:5], -1
                                        ; implicit-def: $sgpr10
	s_and_saveexec_b64 s[8:9], s[12:13]
; %bb.3626:
	s_mov_b32 s10, 0x7f800001
	s_xor_b64 s[4:5], exec, -1
; %bb.3627:
	s_or_b64 exec, exec, s[8:9]
	s_and_b64 s[4:5], s[4:5], exec
	s_or_saveexec_b64 s[6:7], s[6:7]
	v_mov_b32_e32 v10, s10
	s_xor_b64 exec, exec, s[6:7]
	s_cbranch_execz .LBB1_1578
.LBB1_3628:
	v_mov_b32_e32 v10, 0
	v_cmp_ne_u16_sdwa s[8:9], v14, v10 src0_sel:BYTE_0 src1_sel:DWORD
	s_andn2_b64 s[4:5], s[4:5], exec
	s_and_b64 s[8:9], s[8:9], exec
	s_or_b64 s[4:5], s[4:5], s[8:9]
	s_or_b64 exec, exec, s[6:7]
	s_and_saveexec_b64 s[6:7], s[4:5]
	s_cbranch_execnz .LBB1_1579
	s_branch .LBB1_1580
.LBB1_3629:
	s_movk_i32 s4, 0x80
	v_cmp_eq_u16_sdwa s[12:13], v14, s4 src0_sel:BYTE_0 src1_sel:DWORD
	s_mov_b64 s[4:5], -1
                                        ; implicit-def: $sgpr10
	s_and_saveexec_b64 s[8:9], s[12:13]
; %bb.3630:
	s_mov_b32 s10, 0x7f800001
	s_xor_b64 s[4:5], exec, -1
; %bb.3631:
	s_or_b64 exec, exec, s[8:9]
	s_and_b64 s[4:5], s[4:5], exec
	s_or_saveexec_b64 s[6:7], s[6:7]
	v_mov_b32_e32 v20, s10
	s_xor_b64 exec, exec, s[6:7]
	s_cbranch_execz .LBB1_1582
.LBB1_3632:
	v_mov_b32_e32 v20, 0
	v_cmp_ne_u16_sdwa s[8:9], v14, v20 src0_sel:BYTE_0 src1_sel:DWORD
	s_andn2_b64 s[4:5], s[4:5], exec
	s_and_b64 s[8:9], s[8:9], exec
	s_or_b64 s[4:5], s[4:5], s[8:9]
	s_or_b64 exec, exec, s[6:7]
	s_and_saveexec_b64 s[6:7], s[4:5]
	s_cbranch_execnz .LBB1_1583
	s_branch .LBB1_1584
.LBB1_3633:
	s_movk_i32 s4, 0x80
	v_cmp_eq_u16_e32 vcc, s4, v14
	s_mov_b64 s[4:5], -1
                                        ; implicit-def: $sgpr10
	s_and_saveexec_b64 s[8:9], vcc
; %bb.3634:
	s_mov_b32 s10, 0x7f800001
	s_xor_b64 s[4:5], exec, -1
; %bb.3635:
	s_or_b64 exec, exec, s[8:9]
	s_and_b64 s[4:5], s[4:5], exec
                                        ; implicit-def: $vgpr14
	s_or_saveexec_b64 s[6:7], s[6:7]
	v_mov_b32_e32 v10, s10
	s_xor_b64 exec, exec, s[6:7]
	s_cbranch_execz .LBB1_1586
.LBB1_3636:
	v_cmp_ne_u16_e32 vcc, 0, v14
	s_andn2_b64 s[4:5], s[4:5], exec
	s_and_b64 s[8:9], vcc, exec
	v_mov_b32_e32 v10, 0
	s_or_b64 s[4:5], s[4:5], s[8:9]
	s_or_b64 exec, exec, s[6:7]
	s_and_saveexec_b64 s[6:7], s[4:5]
	s_cbranch_execnz .LBB1_1587
	s_branch .LBB1_1588
.LBB1_3637:
	s_movk_i32 s4, 0x80
	v_cmp_eq_u16_e32 vcc, s4, v14
	s_mov_b64 s[4:5], -1
                                        ; implicit-def: $sgpr10
	s_and_saveexec_b64 s[8:9], vcc
; %bb.3638:
	s_mov_b32 s10, 0x7f800001
	s_xor_b64 s[4:5], exec, -1
; %bb.3639:
	s_or_b64 exec, exec, s[8:9]
	s_and_b64 s[4:5], s[4:5], exec
                                        ; implicit-def: $vgpr14
	s_or_saveexec_b64 s[6:7], s[6:7]
	v_mov_b32_e32 v20, s10
	s_xor_b64 exec, exec, s[6:7]
	s_cbranch_execz .LBB1_1590
.LBB1_3640:
	v_cmp_ne_u16_e32 vcc, 0, v14
	s_andn2_b64 s[4:5], s[4:5], exec
	s_and_b64 s[8:9], vcc, exec
	v_mov_b32_e32 v20, 0
	s_or_b64 s[4:5], s[4:5], s[8:9]
	s_or_b64 exec, exec, s[6:7]
	s_and_saveexec_b64 s[6:7], s[4:5]
	s_cbranch_execnz .LBB1_1591
	s_branch .LBB1_1592
.LBB1_3641:
	s_movk_i32 s4, 0x80
	v_cmp_eq_u16_sdwa s[12:13], v15, s4 src0_sel:BYTE_3 src1_sel:DWORD
	s_mov_b64 s[4:5], -1
                                        ; implicit-def: $sgpr10
	s_and_saveexec_b64 s[8:9], s[12:13]
; %bb.3642:
	s_mov_b32 s10, 0x7f800001
	s_xor_b64 s[4:5], exec, -1
; %bb.3643:
	s_or_b64 exec, exec, s[8:9]
	s_and_b64 s[4:5], s[4:5], exec
	s_or_saveexec_b64 s[6:7], s[6:7]
	v_mov_b32_e32 v10, s10
	s_xor_b64 exec, exec, s[6:7]
	s_cbranch_execz .LBB1_1594
.LBB1_3644:
	v_mov_b32_e32 v10, 0
	v_cmp_ne_u16_sdwa s[8:9], v15, v10 src0_sel:BYTE_3 src1_sel:DWORD
	s_andn2_b64 s[4:5], s[4:5], exec
	s_and_b64 s[8:9], s[8:9], exec
	s_or_b64 s[4:5], s[4:5], s[8:9]
	s_or_b64 exec, exec, s[6:7]
	s_and_saveexec_b64 s[6:7], s[4:5]
	s_cbranch_execnz .LBB1_1595
	s_branch .LBB1_1596
.LBB1_3645:
	s_movk_i32 s4, 0x80
	v_cmp_eq_u16_sdwa s[12:13], v11, s4 src0_sel:BYTE_3 src1_sel:DWORD
	s_mov_b64 s[4:5], -1
                                        ; implicit-def: $sgpr10
	s_and_saveexec_b64 s[8:9], s[12:13]
; %bb.3646:
	s_mov_b32 s10, 0x7f800001
	s_xor_b64 s[4:5], exec, -1
; %bb.3647:
	s_or_b64 exec, exec, s[8:9]
	s_and_b64 s[4:5], s[4:5], exec
	s_or_saveexec_b64 s[6:7], s[6:7]
	v_mov_b32_e32 v14, s10
	s_xor_b64 exec, exec, s[6:7]
	s_cbranch_execz .LBB1_1598
.LBB1_3648:
	v_mov_b32_e32 v14, 0
	v_cmp_ne_u16_sdwa s[8:9], v11, v14 src0_sel:BYTE_3 src1_sel:DWORD
	s_andn2_b64 s[4:5], s[4:5], exec
	s_and_b64 s[8:9], s[8:9], exec
	s_or_b64 s[4:5], s[4:5], s[8:9]
	s_or_b64 exec, exec, s[6:7]
	s_and_saveexec_b64 s[6:7], s[4:5]
	s_cbranch_execnz .LBB1_1599
	s_branch .LBB1_1600
.LBB1_3649:
	s_movk_i32 s4, 0x80
	v_cmp_eq_u16_sdwa s[12:13], v16, s4 src0_sel:BYTE_0 src1_sel:DWORD
	s_mov_b64 s[4:5], -1
                                        ; implicit-def: $sgpr10
	s_and_saveexec_b64 s[8:9], s[12:13]
; %bb.3650:
	s_mov_b32 s10, 0x7f800001
	s_xor_b64 s[4:5], exec, -1
; %bb.3651:
	s_or_b64 exec, exec, s[8:9]
	s_and_b64 s[4:5], s[4:5], exec
	s_or_saveexec_b64 s[6:7], s[6:7]
	v_mov_b32_e32 v10, s10
	s_xor_b64 exec, exec, s[6:7]
	s_cbranch_execz .LBB1_1602
.LBB1_3652:
	v_mov_b32_e32 v10, 0
	v_cmp_ne_u16_sdwa s[8:9], v16, v10 src0_sel:BYTE_0 src1_sel:DWORD
	s_andn2_b64 s[4:5], s[4:5], exec
	s_and_b64 s[8:9], s[8:9], exec
	s_or_b64 s[4:5], s[4:5], s[8:9]
	s_or_b64 exec, exec, s[6:7]
	s_and_saveexec_b64 s[6:7], s[4:5]
	s_cbranch_execnz .LBB1_1603
	s_branch .LBB1_1604
.LBB1_3653:
	s_movk_i32 s4, 0x80
	v_cmp_eq_u16_sdwa s[12:13], v12, s4 src0_sel:BYTE_0 src1_sel:DWORD
	s_mov_b64 s[4:5], -1
                                        ; implicit-def: $sgpr10
	s_and_saveexec_b64 s[8:9], s[12:13]
; %bb.3654:
	s_mov_b32 s10, 0x7f800001
	s_xor_b64 s[4:5], exec, -1
; %bb.3655:
	s_or_b64 exec, exec, s[8:9]
	s_and_b64 s[4:5], s[4:5], exec
	s_or_saveexec_b64 s[6:7], s[6:7]
	v_mov_b32_e32 v11, s10
	s_xor_b64 exec, exec, s[6:7]
	s_cbranch_execz .LBB1_1606
.LBB1_3656:
	v_mov_b32_e32 v11, 0
	v_cmp_ne_u16_sdwa s[8:9], v12, v11 src0_sel:BYTE_0 src1_sel:DWORD
	s_andn2_b64 s[4:5], s[4:5], exec
	s_and_b64 s[8:9], s[8:9], exec
	s_or_b64 s[4:5], s[4:5], s[8:9]
	s_or_b64 exec, exec, s[6:7]
	s_and_saveexec_b64 s[6:7], s[4:5]
	s_cbranch_execnz .LBB1_1607
	s_branch .LBB1_1608
.LBB1_3657:
	s_movk_i32 s4, 0x80
	v_cmp_eq_u16_sdwa s[12:13], v11, s4 src0_sel:BYTE_0 src1_sel:DWORD
	s_mov_b64 s[4:5], -1
                                        ; implicit-def: $sgpr10
	s_and_saveexec_b64 s[8:9], s[12:13]
; %bb.3658:
	s_mov_b32 s10, 0x7f800001
	s_xor_b64 s[4:5], exec, -1
; %bb.3659:
	s_or_b64 exec, exec, s[8:9]
	s_and_b64 s[4:5], s[4:5], exec
	s_or_saveexec_b64 s[6:7], s[6:7]
	v_mov_b32_e32 v10, s10
	s_xor_b64 exec, exec, s[6:7]
	s_cbranch_execz .LBB1_1610
.LBB1_3660:
	v_mov_b32_e32 v10, 0
	v_cmp_ne_u16_sdwa s[8:9], v11, v10 src0_sel:BYTE_0 src1_sel:DWORD
	s_andn2_b64 s[4:5], s[4:5], exec
	s_and_b64 s[8:9], s[8:9], exec
	s_or_b64 s[4:5], s[4:5], s[8:9]
	s_or_b64 exec, exec, s[6:7]
	s_and_saveexec_b64 s[6:7], s[4:5]
	s_cbranch_execnz .LBB1_1611
	s_branch .LBB1_1612
.LBB1_3661:
	s_movk_i32 s4, 0x80
	v_cmp_eq_u16_sdwa s[12:13], v11, s4 src0_sel:BYTE_0 src1_sel:DWORD
	s_mov_b64 s[4:5], -1
                                        ; implicit-def: $sgpr10
	s_and_saveexec_b64 s[8:9], s[12:13]
; %bb.3662:
	s_mov_b32 s10, 0x7f800001
	s_xor_b64 s[4:5], exec, -1
; %bb.3663:
	s_or_b64 exec, exec, s[8:9]
	s_and_b64 s[4:5], s[4:5], exec
	s_or_saveexec_b64 s[6:7], s[6:7]
	v_mov_b32_e32 v14, s10
	s_xor_b64 exec, exec, s[6:7]
	s_cbranch_execz .LBB1_1614
.LBB1_3664:
	v_mov_b32_e32 v14, 0
	v_cmp_ne_u16_sdwa s[8:9], v11, v14 src0_sel:BYTE_0 src1_sel:DWORD
	s_andn2_b64 s[4:5], s[4:5], exec
	s_and_b64 s[8:9], s[8:9], exec
	s_or_b64 s[4:5], s[4:5], s[8:9]
	s_or_b64 exec, exec, s[6:7]
	s_and_saveexec_b64 s[6:7], s[4:5]
	s_cbranch_execnz .LBB1_1615
	s_branch .LBB1_1616
.LBB1_3665:
	s_movk_i32 s4, 0x80
	v_cmp_eq_u16_e32 vcc, s4, v11
	s_mov_b64 s[4:5], -1
                                        ; implicit-def: $sgpr10
	s_and_saveexec_b64 s[8:9], vcc
; %bb.3666:
	s_mov_b32 s10, 0x7f800001
	s_xor_b64 s[4:5], exec, -1
; %bb.3667:
	s_or_b64 exec, exec, s[8:9]
	s_and_b64 s[4:5], s[4:5], exec
                                        ; implicit-def: $vgpr11
	s_or_saveexec_b64 s[6:7], s[6:7]
	v_mov_b32_e32 v10, s10
	s_xor_b64 exec, exec, s[6:7]
	s_cbranch_execz .LBB1_1618
.LBB1_3668:
	v_cmp_ne_u16_e32 vcc, 0, v11
	s_andn2_b64 s[4:5], s[4:5], exec
	s_and_b64 s[8:9], vcc, exec
	v_mov_b32_e32 v10, 0
	s_or_b64 s[4:5], s[4:5], s[8:9]
	s_or_b64 exec, exec, s[6:7]
	s_and_saveexec_b64 s[6:7], s[4:5]
	s_cbranch_execnz .LBB1_1619
	s_branch .LBB1_1620
.LBB1_3669:
	s_movk_i32 s4, 0x80
	v_cmp_eq_u16_e32 vcc, s4, v11
	s_mov_b64 s[4:5], -1
                                        ; implicit-def: $sgpr10
	s_and_saveexec_b64 s[8:9], vcc
; %bb.3670:
	s_mov_b32 s10, 0x7f800001
	s_xor_b64 s[4:5], exec, -1
; %bb.3671:
	s_or_b64 exec, exec, s[8:9]
	s_and_b64 s[4:5], s[4:5], exec
                                        ; implicit-def: $vgpr11
	s_or_saveexec_b64 s[6:7], s[6:7]
	v_mov_b32_e32 v14, s10
	s_xor_b64 exec, exec, s[6:7]
	s_cbranch_execz .LBB1_1622
.LBB1_3672:
	v_cmp_ne_u16_e32 vcc, 0, v11
	s_andn2_b64 s[4:5], s[4:5], exec
	s_and_b64 s[8:9], vcc, exec
	v_mov_b32_e32 v14, 0
	s_or_b64 s[4:5], s[4:5], s[8:9]
	s_or_b64 exec, exec, s[6:7]
	s_and_saveexec_b64 s[6:7], s[4:5]
	s_cbranch_execnz .LBB1_1623
	s_branch .LBB1_1624
.LBB1_3673:
	s_movk_i32 s4, 0x80
	v_cmp_eq_u16_sdwa s[12:13], v16, s4 src0_sel:BYTE_3 src1_sel:DWORD
	s_mov_b64 s[4:5], -1
                                        ; implicit-def: $sgpr10
	s_and_saveexec_b64 s[8:9], s[12:13]
; %bb.3674:
	s_mov_b32 s10, 0x7f800001
	s_xor_b64 s[4:5], exec, -1
; %bb.3675:
	s_or_b64 exec, exec, s[8:9]
	s_and_b64 s[4:5], s[4:5], exec
	s_or_saveexec_b64 s[6:7], s[6:7]
	v_mov_b32_e32 v10, s10
	s_xor_b64 exec, exec, s[6:7]
	s_cbranch_execz .LBB1_1626
.LBB1_3676:
	v_mov_b32_e32 v10, 0
	v_cmp_ne_u16_sdwa s[8:9], v16, v10 src0_sel:BYTE_3 src1_sel:DWORD
	s_andn2_b64 s[4:5], s[4:5], exec
	s_and_b64 s[8:9], s[8:9], exec
	s_or_b64 s[4:5], s[4:5], s[8:9]
	s_or_b64 exec, exec, s[6:7]
	s_and_saveexec_b64 s[6:7], s[4:5]
	s_cbranch_execnz .LBB1_1627
	s_branch .LBB1_1628
.LBB1_3677:
	s_movk_i32 s4, 0x80
	v_cmp_eq_u16_sdwa s[12:13], v12, s4 src0_sel:BYTE_3 src1_sel:DWORD
	s_mov_b64 s[4:5], -1
                                        ; implicit-def: $sgpr10
	s_and_saveexec_b64 s[8:9], s[12:13]
; %bb.3678:
	s_mov_b32 s10, 0x7f800001
	s_xor_b64 s[4:5], exec, -1
; %bb.3679:
	s_or_b64 exec, exec, s[8:9]
	s_and_b64 s[4:5], s[4:5], exec
	s_or_saveexec_b64 s[6:7], s[6:7]
	v_mov_b32_e32 v11, s10
	s_xor_b64 exec, exec, s[6:7]
	s_cbranch_execz .LBB1_1630
.LBB1_3680:
	v_mov_b32_e32 v11, 0
	v_cmp_ne_u16_sdwa s[8:9], v12, v11 src0_sel:BYTE_3 src1_sel:DWORD
	s_andn2_b64 s[4:5], s[4:5], exec
	s_and_b64 s[8:9], s[8:9], exec
	s_or_b64 s[4:5], s[4:5], s[8:9]
	s_or_b64 exec, exec, s[6:7]
	s_and_saveexec_b64 s[6:7], s[4:5]
	s_cbranch_execnz .LBB1_1631
	s_branch .LBB1_1632
.LBB1_3681:
	s_movk_i32 s4, 0x80
	v_cmp_eq_u16_sdwa s[12:13], v17, s4 src0_sel:BYTE_0 src1_sel:DWORD
	s_mov_b64 s[4:5], -1
                                        ; implicit-def: $sgpr10
	s_and_saveexec_b64 s[8:9], s[12:13]
; %bb.3682:
	s_mov_b32 s10, 0x7f800001
	s_xor_b64 s[4:5], exec, -1
; %bb.3683:
	s_or_b64 exec, exec, s[8:9]
	s_and_b64 s[4:5], s[4:5], exec
	s_or_saveexec_b64 s[6:7], s[6:7]
	v_mov_b32_e32 v10, s10
	s_xor_b64 exec, exec, s[6:7]
	s_cbranch_execz .LBB1_1634
.LBB1_3684:
	v_mov_b32_e32 v10, 0
	v_cmp_ne_u16_sdwa s[8:9], v17, v10 src0_sel:BYTE_0 src1_sel:DWORD
	s_andn2_b64 s[4:5], s[4:5], exec
	s_and_b64 s[8:9], s[8:9], exec
	s_or_b64 s[4:5], s[4:5], s[8:9]
	s_or_b64 exec, exec, s[6:7]
	s_and_saveexec_b64 s[6:7], s[4:5]
	s_cbranch_execnz .LBB1_1635
	s_branch .LBB1_1636
.LBB1_3685:
	s_movk_i32 s4, 0x80
	v_cmp_eq_u16_sdwa s[12:13], v13, s4 src0_sel:BYTE_0 src1_sel:DWORD
	s_mov_b64 s[4:5], -1
                                        ; implicit-def: $sgpr10
	s_and_saveexec_b64 s[8:9], s[12:13]
; %bb.3686:
	s_mov_b32 s10, 0x7f800001
	s_xor_b64 s[4:5], exec, -1
; %bb.3687:
	s_or_b64 exec, exec, s[8:9]
	s_and_b64 s[4:5], s[4:5], exec
	s_or_saveexec_b64 s[6:7], s[6:7]
	v_mov_b32_e32 v11, s10
	s_xor_b64 exec, exec, s[6:7]
	s_cbranch_execz .LBB1_1638
.LBB1_3688:
	v_mov_b32_e32 v11, 0
	v_cmp_ne_u16_sdwa s[8:9], v13, v11 src0_sel:BYTE_0 src1_sel:DWORD
	s_andn2_b64 s[4:5], s[4:5], exec
	s_and_b64 s[8:9], s[8:9], exec
	s_or_b64 s[4:5], s[4:5], s[8:9]
	s_or_b64 exec, exec, s[6:7]
	s_and_saveexec_b64 s[6:7], s[4:5]
	s_cbranch_execnz .LBB1_1639
	s_branch .LBB1_1640
.LBB1_3689:
	s_movk_i32 s4, 0x80
	v_cmp_eq_u16_sdwa s[12:13], v11, s4 src0_sel:BYTE_0 src1_sel:DWORD
	s_mov_b64 s[4:5], -1
                                        ; implicit-def: $sgpr10
	s_and_saveexec_b64 s[8:9], s[12:13]
; %bb.3690:
	s_mov_b32 s10, 0x7f800001
	s_xor_b64 s[4:5], exec, -1
; %bb.3691:
	s_or_b64 exec, exec, s[8:9]
	s_and_b64 s[4:5], s[4:5], exec
	s_or_saveexec_b64 s[6:7], s[6:7]
	v_mov_b32_e32 v10, s10
	s_xor_b64 exec, exec, s[6:7]
	s_cbranch_execz .LBB1_1642
.LBB1_3692:
	v_mov_b32_e32 v10, 0
	v_cmp_ne_u16_sdwa s[8:9], v11, v10 src0_sel:BYTE_0 src1_sel:DWORD
	s_andn2_b64 s[4:5], s[4:5], exec
	s_and_b64 s[8:9], s[8:9], exec
	s_or_b64 s[4:5], s[4:5], s[8:9]
	s_or_b64 exec, exec, s[6:7]
	s_and_saveexec_b64 s[6:7], s[4:5]
	s_cbranch_execnz .LBB1_1643
	s_branch .LBB1_1644
.LBB1_3693:
	s_movk_i32 s4, 0x80
	v_cmp_eq_u16_sdwa s[12:13], v11, s4 src0_sel:BYTE_0 src1_sel:DWORD
	s_mov_b64 s[4:5], -1
                                        ; implicit-def: $sgpr10
	s_and_saveexec_b64 s[8:9], s[12:13]
; %bb.3694:
	s_mov_b32 s10, 0x7f800001
	s_xor_b64 s[4:5], exec, -1
; %bb.3695:
	s_or_b64 exec, exec, s[8:9]
	s_and_b64 s[4:5], s[4:5], exec
	s_or_saveexec_b64 s[6:7], s[6:7]
	v_mov_b32_e32 v12, s10
	s_xor_b64 exec, exec, s[6:7]
	s_cbranch_execz .LBB1_1646
.LBB1_3696:
	v_mov_b32_e32 v12, 0
	v_cmp_ne_u16_sdwa s[8:9], v11, v12 src0_sel:BYTE_0 src1_sel:DWORD
	s_andn2_b64 s[4:5], s[4:5], exec
	s_and_b64 s[8:9], s[8:9], exec
	s_or_b64 s[4:5], s[4:5], s[8:9]
	s_or_b64 exec, exec, s[6:7]
	s_and_saveexec_b64 s[6:7], s[4:5]
	s_cbranch_execnz .LBB1_1647
	s_branch .LBB1_1648
.LBB1_3697:
	s_movk_i32 s4, 0x80
	v_cmp_eq_u16_e32 vcc, s4, v11
	s_mov_b64 s[4:5], -1
                                        ; implicit-def: $sgpr10
	s_and_saveexec_b64 s[8:9], vcc
; %bb.3698:
	s_mov_b32 s10, 0x7f800001
	s_xor_b64 s[4:5], exec, -1
; %bb.3699:
	s_or_b64 exec, exec, s[8:9]
	s_and_b64 s[4:5], s[4:5], exec
                                        ; implicit-def: $vgpr11
	s_or_saveexec_b64 s[6:7], s[6:7]
	v_mov_b32_e32 v10, s10
	s_xor_b64 exec, exec, s[6:7]
	s_cbranch_execz .LBB1_1650
.LBB1_3700:
	v_cmp_ne_u16_e32 vcc, 0, v11
	s_andn2_b64 s[4:5], s[4:5], exec
	s_and_b64 s[8:9], vcc, exec
	v_mov_b32_e32 v10, 0
	s_or_b64 s[4:5], s[4:5], s[8:9]
	s_or_b64 exec, exec, s[6:7]
	s_and_saveexec_b64 s[6:7], s[4:5]
	s_cbranch_execnz .LBB1_1651
	s_branch .LBB1_1652
.LBB1_3701:
	s_movk_i32 s4, 0x80
	v_cmp_eq_u16_e32 vcc, s4, v11
	s_mov_b64 s[4:5], -1
                                        ; implicit-def: $sgpr10
	s_and_saveexec_b64 s[8:9], vcc
; %bb.3702:
	s_mov_b32 s10, 0x7f800001
	s_xor_b64 s[4:5], exec, -1
; %bb.3703:
	s_or_b64 exec, exec, s[8:9]
	s_and_b64 s[4:5], s[4:5], exec
                                        ; implicit-def: $vgpr11
	s_or_saveexec_b64 s[6:7], s[6:7]
	v_mov_b32_e32 v12, s10
	s_xor_b64 exec, exec, s[6:7]
	s_cbranch_execz .LBB1_1654
.LBB1_3704:
	v_cmp_ne_u16_e32 vcc, 0, v11
	s_andn2_b64 s[4:5], s[4:5], exec
	s_and_b64 s[8:9], vcc, exec
	v_mov_b32_e32 v12, 0
	s_or_b64 s[4:5], s[4:5], s[8:9]
	s_or_b64 exec, exec, s[6:7]
	s_and_saveexec_b64 s[6:7], s[4:5]
	s_cbranch_execnz .LBB1_1655
	s_branch .LBB1_1656
.LBB1_3705:
	s_movk_i32 s4, 0x80
	v_cmp_eq_u16_sdwa s[12:13], v17, s4 src0_sel:BYTE_3 src1_sel:DWORD
	s_mov_b64 s[4:5], -1
                                        ; implicit-def: $sgpr10
	s_and_saveexec_b64 s[8:9], s[12:13]
; %bb.3706:
	s_mov_b32 s10, 0x7f800001
	s_xor_b64 s[4:5], exec, -1
; %bb.3707:
	s_or_b64 exec, exec, s[8:9]
	s_and_b64 s[4:5], s[4:5], exec
	s_or_saveexec_b64 s[6:7], s[6:7]
	v_mov_b32_e32 v10, s10
	s_xor_b64 exec, exec, s[6:7]
	s_cbranch_execz .LBB1_1658
.LBB1_3708:
	v_mov_b32_e32 v10, 0
	v_cmp_ne_u16_sdwa s[8:9], v17, v10 src0_sel:BYTE_3 src1_sel:DWORD
	s_andn2_b64 s[4:5], s[4:5], exec
	s_and_b64 s[8:9], s[8:9], exec
	s_or_b64 s[4:5], s[4:5], s[8:9]
	s_or_b64 exec, exec, s[6:7]
	s_and_saveexec_b64 s[6:7], s[4:5]
	s_cbranch_execnz .LBB1_1659
	s_branch .LBB1_1660
.LBB1_3709:
	s_movk_i32 s4, 0x80
	v_cmp_eq_u16_sdwa s[12:13], v13, s4 src0_sel:BYTE_3 src1_sel:DWORD
	s_mov_b64 s[4:5], -1
                                        ; implicit-def: $sgpr10
	s_and_saveexec_b64 s[8:9], s[12:13]
; %bb.3710:
	s_mov_b32 s10, 0x7f800001
	s_xor_b64 s[4:5], exec, -1
; %bb.3711:
	s_or_b64 exec, exec, s[8:9]
	s_and_b64 s[4:5], s[4:5], exec
	s_or_saveexec_b64 s[6:7], s[6:7]
	v_mov_b32_e32 v11, s10
	s_xor_b64 exec, exec, s[6:7]
	s_cbranch_execz .LBB1_1662
.LBB1_3712:
	v_mov_b32_e32 v11, 0
	v_cmp_ne_u16_sdwa s[8:9], v13, v11 src0_sel:BYTE_3 src1_sel:DWORD
	s_andn2_b64 s[4:5], s[4:5], exec
	s_and_b64 s[8:9], s[8:9], exec
	s_or_b64 s[4:5], s[4:5], s[8:9]
	s_or_b64 exec, exec, s[6:7]
	s_and_saveexec_b64 s[6:7], s[4:5]
	s_cbranch_execnz .LBB1_1663
	s_branch .LBB1_1664
.LBB1_3713:
	s_movk_i32 s4, 0x80
	v_cmp_eq_u16_sdwa s[12:13], v6, s4 src0_sel:BYTE_0 src1_sel:DWORD
	s_mov_b64 s[4:5], -1
                                        ; implicit-def: $sgpr10
	s_and_saveexec_b64 s[8:9], s[12:13]
; %bb.3714:
	s_mov_b32 s10, 0x7f800001
	s_xor_b64 s[4:5], exec, -1
; %bb.3715:
	s_or_b64 exec, exec, s[8:9]
	s_and_b64 s[4:5], s[4:5], exec
	s_or_saveexec_b64 s[6:7], s[6:7]
	v_mov_b32_e32 v10, s10
	s_xor_b64 exec, exec, s[6:7]
	s_cbranch_execz .LBB1_1666
.LBB1_3716:
	v_mov_b32_e32 v10, 0
	v_cmp_ne_u16_sdwa s[8:9], v6, v10 src0_sel:BYTE_0 src1_sel:DWORD
	s_andn2_b64 s[4:5], s[4:5], exec
	s_and_b64 s[8:9], s[8:9], exec
	s_or_b64 s[4:5], s[4:5], s[8:9]
	s_or_b64 exec, exec, s[6:7]
	s_and_saveexec_b64 s[6:7], s[4:5]
	s_cbranch_execnz .LBB1_1667
	s_branch .LBB1_1668
.LBB1_3717:
	s_movk_i32 s4, 0x80
	v_cmp_eq_u16_sdwa s[12:13], v2, s4 src0_sel:BYTE_0 src1_sel:DWORD
	s_mov_b64 s[4:5], -1
                                        ; implicit-def: $sgpr10
	s_and_saveexec_b64 s[8:9], s[12:13]
; %bb.3718:
	s_mov_b32 s10, 0x7f800001
	s_xor_b64 s[4:5], exec, -1
; %bb.3719:
	s_or_b64 exec, exec, s[8:9]
	s_and_b64 s[4:5], s[4:5], exec
	s_or_saveexec_b64 s[6:7], s[6:7]
	v_mov_b32_e32 v11, s10
	s_xor_b64 exec, exec, s[6:7]
	s_cbranch_execz .LBB1_1670
.LBB1_3720:
	v_mov_b32_e32 v11, 0
	v_cmp_ne_u16_sdwa s[8:9], v2, v11 src0_sel:BYTE_0 src1_sel:DWORD
	s_andn2_b64 s[4:5], s[4:5], exec
	s_and_b64 s[8:9], s[8:9], exec
	s_or_b64 s[4:5], s[4:5], s[8:9]
	s_or_b64 exec, exec, s[6:7]
	s_and_saveexec_b64 s[6:7], s[4:5]
	s_cbranch_execnz .LBB1_1671
	s_branch .LBB1_1672
.LBB1_3721:
	s_movk_i32 s4, 0x80
	v_cmp_eq_u16_sdwa s[12:13], v11, s4 src0_sel:BYTE_0 src1_sel:DWORD
	s_mov_b64 s[4:5], -1
                                        ; implicit-def: $sgpr10
	s_and_saveexec_b64 s[8:9], s[12:13]
; %bb.3722:
	s_mov_b32 s10, 0x7f800001
	s_xor_b64 s[4:5], exec, -1
; %bb.3723:
	s_or_b64 exec, exec, s[8:9]
	s_and_b64 s[4:5], s[4:5], exec
	s_or_saveexec_b64 s[6:7], s[6:7]
	v_mov_b32_e32 v10, s10
	s_xor_b64 exec, exec, s[6:7]
	s_cbranch_execz .LBB1_1674
.LBB1_3724:
	v_mov_b32_e32 v10, 0
	v_cmp_ne_u16_sdwa s[8:9], v11, v10 src0_sel:BYTE_0 src1_sel:DWORD
	s_andn2_b64 s[4:5], s[4:5], exec
	s_and_b64 s[8:9], s[8:9], exec
	s_or_b64 s[4:5], s[4:5], s[8:9]
	s_or_b64 exec, exec, s[6:7]
	s_and_saveexec_b64 s[6:7], s[4:5]
	s_cbranch_execnz .LBB1_1675
	s_branch .LBB1_1676
.LBB1_3725:
	s_movk_i32 s4, 0x80
	v_cmp_eq_u16_sdwa s[12:13], v11, s4 src0_sel:BYTE_0 src1_sel:DWORD
	s_mov_b64 s[4:5], -1
                                        ; implicit-def: $sgpr10
	s_and_saveexec_b64 s[8:9], s[12:13]
; %bb.3726:
	s_mov_b32 s10, 0x7f800001
	s_xor_b64 s[4:5], exec, -1
; %bb.3727:
	s_or_b64 exec, exec, s[8:9]
	s_and_b64 s[4:5], s[4:5], exec
	s_or_saveexec_b64 s[6:7], s[6:7]
	v_mov_b32_e32 v12, s10
	s_xor_b64 exec, exec, s[6:7]
	s_cbranch_execz .LBB1_1678
.LBB1_3728:
	v_mov_b32_e32 v12, 0
	v_cmp_ne_u16_sdwa s[8:9], v11, v12 src0_sel:BYTE_0 src1_sel:DWORD
	s_andn2_b64 s[4:5], s[4:5], exec
	s_and_b64 s[8:9], s[8:9], exec
	s_or_b64 s[4:5], s[4:5], s[8:9]
	s_or_b64 exec, exec, s[6:7]
	s_and_saveexec_b64 s[6:7], s[4:5]
	s_cbranch_execnz .LBB1_1679
	s_branch .LBB1_1680
.LBB1_3729:
	s_movk_i32 s4, 0x80
	v_cmp_eq_u16_e32 vcc, s4, v11
	s_mov_b64 s[4:5], -1
                                        ; implicit-def: $sgpr10
	s_and_saveexec_b64 s[8:9], vcc
; %bb.3730:
	s_mov_b32 s10, 0x7f800001
	s_xor_b64 s[4:5], exec, -1
; %bb.3731:
	s_or_b64 exec, exec, s[8:9]
	s_and_b64 s[4:5], s[4:5], exec
                                        ; implicit-def: $vgpr11
	s_or_saveexec_b64 s[6:7], s[6:7]
	v_mov_b32_e32 v10, s10
	s_xor_b64 exec, exec, s[6:7]
	s_cbranch_execz .LBB1_1682
.LBB1_3732:
	v_cmp_ne_u16_e32 vcc, 0, v11
	s_andn2_b64 s[4:5], s[4:5], exec
	s_and_b64 s[8:9], vcc, exec
	v_mov_b32_e32 v10, 0
	s_or_b64 s[4:5], s[4:5], s[8:9]
	s_or_b64 exec, exec, s[6:7]
	s_and_saveexec_b64 s[6:7], s[4:5]
	s_cbranch_execnz .LBB1_1683
	s_branch .LBB1_1684
.LBB1_3733:
	s_movk_i32 s4, 0x80
	v_cmp_eq_u16_e32 vcc, s4, v11
	s_mov_b64 s[4:5], -1
                                        ; implicit-def: $sgpr10
	s_and_saveexec_b64 s[8:9], vcc
; %bb.3734:
	s_mov_b32 s10, 0x7f800001
	s_xor_b64 s[4:5], exec, -1
; %bb.3735:
	s_or_b64 exec, exec, s[8:9]
	s_and_b64 s[4:5], s[4:5], exec
                                        ; implicit-def: $vgpr11
	s_or_saveexec_b64 s[6:7], s[6:7]
	v_mov_b32_e32 v12, s10
	s_xor_b64 exec, exec, s[6:7]
	s_cbranch_execz .LBB1_1686
.LBB1_3736:
	v_cmp_ne_u16_e32 vcc, 0, v11
	s_andn2_b64 s[4:5], s[4:5], exec
	s_and_b64 s[8:9], vcc, exec
	v_mov_b32_e32 v12, 0
	s_or_b64 s[4:5], s[4:5], s[8:9]
	s_or_b64 exec, exec, s[6:7]
	s_and_saveexec_b64 s[6:7], s[4:5]
	s_cbranch_execnz .LBB1_1687
	s_branch .LBB1_1688
.LBB1_3737:
	s_movk_i32 s4, 0x80
	v_cmp_eq_u16_sdwa s[12:13], v6, s4 src0_sel:BYTE_3 src1_sel:DWORD
	s_mov_b64 s[4:5], -1
                                        ; implicit-def: $sgpr10
	s_and_saveexec_b64 s[8:9], s[12:13]
; %bb.3738:
	s_mov_b32 s10, 0x7f800001
	s_xor_b64 s[4:5], exec, -1
; %bb.3739:
	s_or_b64 exec, exec, s[8:9]
	s_and_b64 s[4:5], s[4:5], exec
	s_or_saveexec_b64 s[6:7], s[6:7]
	v_mov_b32_e32 v10, s10
	s_xor_b64 exec, exec, s[6:7]
	s_cbranch_execz .LBB1_1690
.LBB1_3740:
	v_mov_b32_e32 v10, 0
	v_cmp_ne_u16_sdwa s[8:9], v6, v10 src0_sel:BYTE_3 src1_sel:DWORD
	s_andn2_b64 s[4:5], s[4:5], exec
	s_and_b64 s[8:9], s[8:9], exec
	s_or_b64 s[4:5], s[4:5], s[8:9]
	s_or_b64 exec, exec, s[6:7]
	s_and_saveexec_b64 s[6:7], s[4:5]
	s_cbranch_execnz .LBB1_1691
	s_branch .LBB1_1692
.LBB1_3741:
	s_movk_i32 s4, 0x80
	v_cmp_eq_u16_sdwa s[12:13], v2, s4 src0_sel:BYTE_3 src1_sel:DWORD
	s_mov_b64 s[4:5], -1
                                        ; implicit-def: $sgpr10
	s_and_saveexec_b64 s[8:9], s[12:13]
; %bb.3742:
	s_mov_b32 s10, 0x7f800001
	s_xor_b64 s[4:5], exec, -1
; %bb.3743:
	s_or_b64 exec, exec, s[8:9]
	s_and_b64 s[4:5], s[4:5], exec
	s_or_saveexec_b64 s[6:7], s[6:7]
	v_mov_b32_e32 v6, s10
	s_xor_b64 exec, exec, s[6:7]
	s_cbranch_execz .LBB1_1694
.LBB1_3744:
	v_mov_b32_e32 v6, 0
	v_cmp_ne_u16_sdwa s[8:9], v2, v6 src0_sel:BYTE_3 src1_sel:DWORD
	s_andn2_b64 s[4:5], s[4:5], exec
	s_and_b64 s[8:9], s[8:9], exec
	s_or_b64 s[4:5], s[4:5], s[8:9]
	s_or_b64 exec, exec, s[6:7]
	s_and_saveexec_b64 s[6:7], s[4:5]
	s_cbranch_execnz .LBB1_1695
	s_branch .LBB1_1696
.LBB1_3745:
	s_movk_i32 s4, 0x80
	v_cmp_eq_u16_sdwa s[12:13], v7, s4 src0_sel:BYTE_0 src1_sel:DWORD
	s_mov_b64 s[4:5], -1
                                        ; implicit-def: $sgpr10
	s_and_saveexec_b64 s[8:9], s[12:13]
; %bb.3746:
	s_mov_b32 s10, 0x7f800001
	s_xor_b64 s[4:5], exec, -1
; %bb.3747:
	s_or_b64 exec, exec, s[8:9]
	s_and_b64 s[4:5], s[4:5], exec
	s_or_saveexec_b64 s[6:7], s[6:7]
	v_mov_b32_e32 v2, s10
	s_xor_b64 exec, exec, s[6:7]
	s_cbranch_execz .LBB1_1698
.LBB1_3748:
	v_mov_b32_e32 v2, 0
	v_cmp_ne_u16_sdwa s[8:9], v7, v2 src0_sel:BYTE_0 src1_sel:DWORD
	s_andn2_b64 s[4:5], s[4:5], exec
	s_and_b64 s[8:9], s[8:9], exec
	s_or_b64 s[4:5], s[4:5], s[8:9]
	s_or_b64 exec, exec, s[6:7]
	s_and_saveexec_b64 s[6:7], s[4:5]
	s_cbranch_execnz .LBB1_1699
	s_branch .LBB1_1700
.LBB1_3749:
	s_movk_i32 s4, 0x80
	v_cmp_eq_u16_sdwa s[12:13], v3, s4 src0_sel:BYTE_0 src1_sel:DWORD
	s_mov_b64 s[4:5], -1
                                        ; implicit-def: $sgpr10
	s_and_saveexec_b64 s[8:9], s[12:13]
; %bb.3750:
	s_mov_b32 s10, 0x7f800001
	s_xor_b64 s[4:5], exec, -1
; %bb.3751:
	s_or_b64 exec, exec, s[8:9]
	s_and_b64 s[4:5], s[4:5], exec
	s_or_saveexec_b64 s[6:7], s[6:7]
	v_mov_b32_e32 v6, s10
	s_xor_b64 exec, exec, s[6:7]
	s_cbranch_execz .LBB1_1702
.LBB1_3752:
	v_mov_b32_e32 v6, 0
	v_cmp_ne_u16_sdwa s[8:9], v3, v6 src0_sel:BYTE_0 src1_sel:DWORD
	s_andn2_b64 s[4:5], s[4:5], exec
	s_and_b64 s[8:9], s[8:9], exec
	s_or_b64 s[4:5], s[4:5], s[8:9]
	s_or_b64 exec, exec, s[6:7]
	s_and_saveexec_b64 s[6:7], s[4:5]
	s_cbranch_execnz .LBB1_1703
	s_branch .LBB1_1704
.LBB1_3753:
	s_movk_i32 s4, 0x80
	v_cmp_eq_u16_sdwa s[12:13], v6, s4 src0_sel:BYTE_0 src1_sel:DWORD
	s_mov_b64 s[4:5], -1
                                        ; implicit-def: $sgpr10
	s_and_saveexec_b64 s[8:9], s[12:13]
; %bb.3754:
	s_mov_b32 s10, 0x7f800001
	s_xor_b64 s[4:5], exec, -1
; %bb.3755:
	s_or_b64 exec, exec, s[8:9]
	s_and_b64 s[4:5], s[4:5], exec
	s_or_saveexec_b64 s[6:7], s[6:7]
	v_mov_b32_e32 v2, s10
	s_xor_b64 exec, exec, s[6:7]
	s_cbranch_execz .LBB1_1706
.LBB1_3756:
	v_mov_b32_e32 v2, 0
	v_cmp_ne_u16_sdwa s[8:9], v6, v2 src0_sel:BYTE_0 src1_sel:DWORD
	s_andn2_b64 s[4:5], s[4:5], exec
	s_and_b64 s[8:9], s[8:9], exec
	s_or_b64 s[4:5], s[4:5], s[8:9]
	s_or_b64 exec, exec, s[6:7]
	s_and_saveexec_b64 s[6:7], s[4:5]
	s_cbranch_execnz .LBB1_1707
	s_branch .LBB1_1708
.LBB1_3757:
	s_movk_i32 s4, 0x80
	v_cmp_eq_u16_sdwa s[12:13], v6, s4 src0_sel:BYTE_0 src1_sel:DWORD
	s_mov_b64 s[4:5], -1
                                        ; implicit-def: $sgpr10
	s_and_saveexec_b64 s[8:9], s[12:13]
; %bb.3758:
	s_mov_b32 s10, 0x7f800001
	s_xor_b64 s[4:5], exec, -1
; %bb.3759:
	s_or_b64 exec, exec, s[8:9]
	s_and_b64 s[4:5], s[4:5], exec
	s_or_saveexec_b64 s[6:7], s[6:7]
	v_mov_b32_e32 v10, s10
	s_xor_b64 exec, exec, s[6:7]
	s_cbranch_execz .LBB1_1710
.LBB1_3760:
	v_mov_b32_e32 v10, 0
	v_cmp_ne_u16_sdwa s[8:9], v6, v10 src0_sel:BYTE_0 src1_sel:DWORD
	s_andn2_b64 s[4:5], s[4:5], exec
	s_and_b64 s[8:9], s[8:9], exec
	s_or_b64 s[4:5], s[4:5], s[8:9]
	s_or_b64 exec, exec, s[6:7]
	s_and_saveexec_b64 s[6:7], s[4:5]
	s_cbranch_execnz .LBB1_1711
	s_branch .LBB1_1712
.LBB1_3761:
	s_movk_i32 s4, 0x80
	v_cmp_eq_u16_e32 vcc, s4, v6
	s_mov_b64 s[4:5], -1
                                        ; implicit-def: $sgpr10
	s_and_saveexec_b64 s[8:9], vcc
; %bb.3762:
	s_mov_b32 s10, 0x7f800001
	s_xor_b64 s[4:5], exec, -1
; %bb.3763:
	s_or_b64 exec, exec, s[8:9]
	s_and_b64 s[4:5], s[4:5], exec
                                        ; implicit-def: $vgpr6
	s_or_saveexec_b64 s[6:7], s[6:7]
	v_mov_b32_e32 v2, s10
	s_xor_b64 exec, exec, s[6:7]
	s_cbranch_execz .LBB1_1714
.LBB1_3764:
	v_cmp_ne_u16_e32 vcc, 0, v6
	s_andn2_b64 s[4:5], s[4:5], exec
	s_and_b64 s[8:9], vcc, exec
	v_mov_b32_e32 v2, 0
	s_or_b64 s[4:5], s[4:5], s[8:9]
	s_or_b64 exec, exec, s[6:7]
	s_and_saveexec_b64 s[6:7], s[4:5]
	s_cbranch_execnz .LBB1_1715
	s_branch .LBB1_1716
.LBB1_3765:
	s_movk_i32 s4, 0x80
	v_cmp_eq_u16_e32 vcc, s4, v6
	s_mov_b64 s[4:5], -1
                                        ; implicit-def: $sgpr10
	s_and_saveexec_b64 s[8:9], vcc
; %bb.3766:
	s_mov_b32 s10, 0x7f800001
	s_xor_b64 s[4:5], exec, -1
; %bb.3767:
	s_or_b64 exec, exec, s[8:9]
	s_and_b64 s[4:5], s[4:5], exec
                                        ; implicit-def: $vgpr6
	s_or_saveexec_b64 s[6:7], s[6:7]
	v_mov_b32_e32 v10, s10
	s_xor_b64 exec, exec, s[6:7]
	s_cbranch_execz .LBB1_1718
.LBB1_3768:
	v_cmp_ne_u16_e32 vcc, 0, v6
	s_andn2_b64 s[4:5], s[4:5], exec
	s_and_b64 s[8:9], vcc, exec
	v_mov_b32_e32 v10, 0
	s_or_b64 s[4:5], s[4:5], s[8:9]
	s_or_b64 exec, exec, s[6:7]
	s_and_saveexec_b64 s[6:7], s[4:5]
	s_cbranch_execnz .LBB1_1719
	s_branch .LBB1_1720
.LBB1_3769:
	s_movk_i32 s4, 0x80
	v_cmp_eq_u16_sdwa s[12:13], v7, s4 src0_sel:BYTE_3 src1_sel:DWORD
	s_mov_b64 s[4:5], -1
                                        ; implicit-def: $sgpr10
	s_and_saveexec_b64 s[8:9], s[12:13]
; %bb.3770:
	s_mov_b32 s10, 0x7f800001
	s_xor_b64 s[4:5], exec, -1
; %bb.3771:
	s_or_b64 exec, exec, s[8:9]
	s_and_b64 s[4:5], s[4:5], exec
	s_or_saveexec_b64 s[6:7], s[6:7]
	v_mov_b32_e32 v2, s10
	s_xor_b64 exec, exec, s[6:7]
	s_cbranch_execz .LBB1_1722
.LBB1_3772:
	v_mov_b32_e32 v2, 0
	v_cmp_ne_u16_sdwa s[8:9], v7, v2 src0_sel:BYTE_3 src1_sel:DWORD
	s_andn2_b64 s[4:5], s[4:5], exec
	s_and_b64 s[8:9], s[8:9], exec
	s_or_b64 s[4:5], s[4:5], s[8:9]
	s_or_b64 exec, exec, s[6:7]
	s_and_saveexec_b64 s[6:7], s[4:5]
	s_cbranch_execnz .LBB1_1723
	s_branch .LBB1_1724
.LBB1_3773:
	s_movk_i32 s4, 0x80
	v_cmp_eq_u16_sdwa s[12:13], v3, s4 src0_sel:BYTE_3 src1_sel:DWORD
	s_mov_b64 s[4:5], -1
                                        ; implicit-def: $sgpr10
	s_and_saveexec_b64 s[8:9], s[12:13]
; %bb.3774:
	s_mov_b32 s10, 0x7f800001
	s_xor_b64 s[4:5], exec, -1
; %bb.3775:
	s_or_b64 exec, exec, s[8:9]
	s_and_b64 s[4:5], s[4:5], exec
	s_or_saveexec_b64 s[6:7], s[6:7]
	v_mov_b32_e32 v6, s10
	s_xor_b64 exec, exec, s[6:7]
	s_cbranch_execz .LBB1_1726
.LBB1_3776:
	v_mov_b32_e32 v6, 0
	v_cmp_ne_u16_sdwa s[8:9], v3, v6 src0_sel:BYTE_3 src1_sel:DWORD
	s_andn2_b64 s[4:5], s[4:5], exec
	s_and_b64 s[8:9], s[8:9], exec
	s_or_b64 s[4:5], s[4:5], s[8:9]
	s_or_b64 exec, exec, s[6:7]
	s_and_saveexec_b64 s[6:7], s[4:5]
	s_cbranch_execnz .LBB1_1727
	s_branch .LBB1_1728
.LBB1_3777:
	s_movk_i32 s4, 0x80
	v_cmp_eq_u16_sdwa s[12:13], v8, s4 src0_sel:BYTE_0 src1_sel:DWORD
	s_mov_b64 s[4:5], -1
                                        ; implicit-def: $sgpr10
	s_and_saveexec_b64 s[8:9], s[12:13]
; %bb.3778:
	s_mov_b32 s10, 0x7f800001
	s_xor_b64 s[4:5], exec, -1
; %bb.3779:
	s_or_b64 exec, exec, s[8:9]
	s_and_b64 s[4:5], s[4:5], exec
	s_or_saveexec_b64 s[6:7], s[6:7]
	v_mov_b32_e32 v2, s10
	s_xor_b64 exec, exec, s[6:7]
	s_cbranch_execz .LBB1_1730
.LBB1_3780:
	v_mov_b32_e32 v2, 0
	v_cmp_ne_u16_sdwa s[8:9], v8, v2 src0_sel:BYTE_0 src1_sel:DWORD
	s_andn2_b64 s[4:5], s[4:5], exec
	s_and_b64 s[8:9], s[8:9], exec
	s_or_b64 s[4:5], s[4:5], s[8:9]
	s_or_b64 exec, exec, s[6:7]
	s_and_saveexec_b64 s[6:7], s[4:5]
	s_cbranch_execnz .LBB1_1731
	s_branch .LBB1_1732
.LBB1_3781:
	s_movk_i32 s4, 0x80
	v_cmp_eq_u16_sdwa s[12:13], v4, s4 src0_sel:BYTE_0 src1_sel:DWORD
	s_mov_b64 s[4:5], -1
                                        ; implicit-def: $sgpr10
	s_and_saveexec_b64 s[8:9], s[12:13]
; %bb.3782:
	s_mov_b32 s10, 0x7f800001
	s_xor_b64 s[4:5], exec, -1
; %bb.3783:
	s_or_b64 exec, exec, s[8:9]
	s_and_b64 s[4:5], s[4:5], exec
	s_or_saveexec_b64 s[6:7], s[6:7]
	v_mov_b32_e32 v3, s10
	s_xor_b64 exec, exec, s[6:7]
	s_cbranch_execz .LBB1_1734
.LBB1_3784:
	v_mov_b32_e32 v3, 0
	v_cmp_ne_u16_sdwa s[8:9], v4, v3 src0_sel:BYTE_0 src1_sel:DWORD
	s_andn2_b64 s[4:5], s[4:5], exec
	s_and_b64 s[8:9], s[8:9], exec
	s_or_b64 s[4:5], s[4:5], s[8:9]
	s_or_b64 exec, exec, s[6:7]
	s_and_saveexec_b64 s[6:7], s[4:5]
	s_cbranch_execnz .LBB1_1735
	s_branch .LBB1_1736
.LBB1_3785:
	s_movk_i32 s4, 0x80
	v_cmp_eq_u16_sdwa s[12:13], v3, s4 src0_sel:BYTE_0 src1_sel:DWORD
	s_mov_b64 s[4:5], -1
                                        ; implicit-def: $sgpr10
	s_and_saveexec_b64 s[8:9], s[12:13]
; %bb.3786:
	s_mov_b32 s10, 0x7f800001
	s_xor_b64 s[4:5], exec, -1
; %bb.3787:
	s_or_b64 exec, exec, s[8:9]
	s_and_b64 s[4:5], s[4:5], exec
	s_or_saveexec_b64 s[6:7], s[6:7]
	v_mov_b32_e32 v2, s10
	s_xor_b64 exec, exec, s[6:7]
	s_cbranch_execz .LBB1_1738
.LBB1_3788:
	v_mov_b32_e32 v2, 0
	v_cmp_ne_u16_sdwa s[8:9], v3, v2 src0_sel:BYTE_0 src1_sel:DWORD
	s_andn2_b64 s[4:5], s[4:5], exec
	s_and_b64 s[8:9], s[8:9], exec
	s_or_b64 s[4:5], s[4:5], s[8:9]
	s_or_b64 exec, exec, s[6:7]
	s_and_saveexec_b64 s[6:7], s[4:5]
	s_cbranch_execnz .LBB1_1739
	s_branch .LBB1_1740
.LBB1_3789:
	s_movk_i32 s4, 0x80
	v_cmp_eq_u16_sdwa s[12:13], v3, s4 src0_sel:BYTE_0 src1_sel:DWORD
	s_mov_b64 s[4:5], -1
                                        ; implicit-def: $sgpr10
	s_and_saveexec_b64 s[8:9], s[12:13]
; %bb.3790:
	s_mov_b32 s10, 0x7f800001
	s_xor_b64 s[4:5], exec, -1
; %bb.3791:
	s_or_b64 exec, exec, s[8:9]
	s_and_b64 s[4:5], s[4:5], exec
	s_or_saveexec_b64 s[6:7], s[6:7]
	v_mov_b32_e32 v6, s10
	s_xor_b64 exec, exec, s[6:7]
	s_cbranch_execz .LBB1_1742
.LBB1_3792:
	v_mov_b32_e32 v6, 0
	v_cmp_ne_u16_sdwa s[8:9], v3, v6 src0_sel:BYTE_0 src1_sel:DWORD
	s_andn2_b64 s[4:5], s[4:5], exec
	s_and_b64 s[8:9], s[8:9], exec
	s_or_b64 s[4:5], s[4:5], s[8:9]
	s_or_b64 exec, exec, s[6:7]
	s_and_saveexec_b64 s[6:7], s[4:5]
	s_cbranch_execnz .LBB1_1743
	s_branch .LBB1_1744
.LBB1_3793:
	s_movk_i32 s4, 0x80
	v_cmp_eq_u16_e32 vcc, s4, v3
	s_mov_b64 s[4:5], -1
                                        ; implicit-def: $sgpr10
	s_and_saveexec_b64 s[8:9], vcc
; %bb.3794:
	s_mov_b32 s10, 0x7f800001
	s_xor_b64 s[4:5], exec, -1
; %bb.3795:
	s_or_b64 exec, exec, s[8:9]
	s_and_b64 s[4:5], s[4:5], exec
                                        ; implicit-def: $vgpr3
	s_or_saveexec_b64 s[6:7], s[6:7]
	v_mov_b32_e32 v2, s10
	s_xor_b64 exec, exec, s[6:7]
	s_cbranch_execz .LBB1_1746
.LBB1_3796:
	v_cmp_ne_u16_e32 vcc, 0, v3
	s_andn2_b64 s[4:5], s[4:5], exec
	s_and_b64 s[8:9], vcc, exec
	v_mov_b32_e32 v2, 0
	s_or_b64 s[4:5], s[4:5], s[8:9]
	s_or_b64 exec, exec, s[6:7]
	s_and_saveexec_b64 s[6:7], s[4:5]
	s_cbranch_execnz .LBB1_1747
	s_branch .LBB1_1748
.LBB1_3797:
	s_movk_i32 s4, 0x80
	v_cmp_eq_u16_e32 vcc, s4, v3
	s_mov_b64 s[4:5], -1
                                        ; implicit-def: $sgpr10
	s_and_saveexec_b64 s[8:9], vcc
; %bb.3798:
	s_mov_b32 s10, 0x7f800001
	s_xor_b64 s[4:5], exec, -1
; %bb.3799:
	s_or_b64 exec, exec, s[8:9]
	s_and_b64 s[4:5], s[4:5], exec
                                        ; implicit-def: $vgpr3
	s_or_saveexec_b64 s[6:7], s[6:7]
	v_mov_b32_e32 v6, s10
	s_xor_b64 exec, exec, s[6:7]
	s_cbranch_execz .LBB1_1750
.LBB1_3800:
	v_cmp_ne_u16_e32 vcc, 0, v3
	s_andn2_b64 s[4:5], s[4:5], exec
	s_and_b64 s[8:9], vcc, exec
	v_mov_b32_e32 v6, 0
	s_or_b64 s[4:5], s[4:5], s[8:9]
	s_or_b64 exec, exec, s[6:7]
	s_and_saveexec_b64 s[6:7], s[4:5]
	s_cbranch_execnz .LBB1_1751
	s_branch .LBB1_1752
.LBB1_3801:
	s_movk_i32 s4, 0x80
	v_cmp_eq_u16_sdwa s[12:13], v8, s4 src0_sel:BYTE_3 src1_sel:DWORD
	s_mov_b64 s[4:5], -1
                                        ; implicit-def: $sgpr10
	s_and_saveexec_b64 s[8:9], s[12:13]
; %bb.3802:
	s_mov_b32 s10, 0x7f800001
	s_xor_b64 s[4:5], exec, -1
; %bb.3803:
	s_or_b64 exec, exec, s[8:9]
	s_and_b64 s[4:5], s[4:5], exec
	s_or_saveexec_b64 s[6:7], s[6:7]
	v_mov_b32_e32 v2, s10
	s_xor_b64 exec, exec, s[6:7]
	s_cbranch_execz .LBB1_1754
.LBB1_3804:
	v_mov_b32_e32 v2, 0
	v_cmp_ne_u16_sdwa s[8:9], v8, v2 src0_sel:BYTE_3 src1_sel:DWORD
	s_andn2_b64 s[4:5], s[4:5], exec
	s_and_b64 s[8:9], s[8:9], exec
	s_or_b64 s[4:5], s[4:5], s[8:9]
	s_or_b64 exec, exec, s[6:7]
	s_and_saveexec_b64 s[6:7], s[4:5]
	s_cbranch_execnz .LBB1_1755
	s_branch .LBB1_1756
.LBB1_3805:
	s_movk_i32 s4, 0x80
	v_cmp_eq_u16_sdwa s[12:13], v4, s4 src0_sel:BYTE_3 src1_sel:DWORD
	s_mov_b64 s[4:5], -1
                                        ; implicit-def: $sgpr10
	s_and_saveexec_b64 s[8:9], s[12:13]
; %bb.3806:
	s_mov_b32 s10, 0x7f800001
	s_xor_b64 s[4:5], exec, -1
; %bb.3807:
	s_or_b64 exec, exec, s[8:9]
	s_and_b64 s[4:5], s[4:5], exec
	s_or_saveexec_b64 s[6:7], s[6:7]
	v_mov_b32_e32 v3, s10
	s_xor_b64 exec, exec, s[6:7]
	s_cbranch_execz .LBB1_1758
.LBB1_3808:
	v_mov_b32_e32 v3, 0
	v_cmp_ne_u16_sdwa s[8:9], v4, v3 src0_sel:BYTE_3 src1_sel:DWORD
	s_andn2_b64 s[4:5], s[4:5], exec
	s_and_b64 s[8:9], s[8:9], exec
	s_or_b64 s[4:5], s[4:5], s[8:9]
	s_or_b64 exec, exec, s[6:7]
	s_and_saveexec_b64 s[6:7], s[4:5]
	s_cbranch_execnz .LBB1_1759
	s_branch .LBB1_1760
.LBB1_3809:
	s_movk_i32 s4, 0x80
	v_cmp_eq_u16_sdwa s[12:13], v9, s4 src0_sel:BYTE_0 src1_sel:DWORD
	s_mov_b64 s[4:5], -1
                                        ; implicit-def: $sgpr10
	s_and_saveexec_b64 s[8:9], s[12:13]
; %bb.3810:
	s_mov_b32 s10, 0x7f800001
	s_xor_b64 s[4:5], exec, -1
; %bb.3811:
	s_or_b64 exec, exec, s[8:9]
	s_and_b64 s[4:5], s[4:5], exec
	s_or_saveexec_b64 s[6:7], s[6:7]
	v_mov_b32_e32 v2, s10
	s_xor_b64 exec, exec, s[6:7]
	s_cbranch_execz .LBB1_1762
.LBB1_3812:
	v_mov_b32_e32 v2, 0
	v_cmp_ne_u16_sdwa s[8:9], v9, v2 src0_sel:BYTE_0 src1_sel:DWORD
	s_andn2_b64 s[4:5], s[4:5], exec
	s_and_b64 s[8:9], s[8:9], exec
	s_or_b64 s[4:5], s[4:5], s[8:9]
	s_or_b64 exec, exec, s[6:7]
	s_and_saveexec_b64 s[6:7], s[4:5]
	s_cbranch_execnz .LBB1_1763
	s_branch .LBB1_1764
.LBB1_3813:
	s_movk_i32 s4, 0x80
	v_cmp_eq_u16_sdwa s[12:13], v5, s4 src0_sel:BYTE_0 src1_sel:DWORD
	s_mov_b64 s[4:5], -1
                                        ; implicit-def: $sgpr10
	s_and_saveexec_b64 s[8:9], s[12:13]
; %bb.3814:
	s_mov_b32 s10, 0x7f800001
	s_xor_b64 s[4:5], exec, -1
; %bb.3815:
	s_or_b64 exec, exec, s[8:9]
	s_and_b64 s[4:5], s[4:5], exec
	s_or_saveexec_b64 s[6:7], s[6:7]
	v_mov_b32_e32 v3, s10
	s_xor_b64 exec, exec, s[6:7]
	s_cbranch_execz .LBB1_1766
.LBB1_3816:
	v_mov_b32_e32 v3, 0
	v_cmp_ne_u16_sdwa s[8:9], v5, v3 src0_sel:BYTE_0 src1_sel:DWORD
	s_andn2_b64 s[4:5], s[4:5], exec
	s_and_b64 s[8:9], s[8:9], exec
	s_or_b64 s[4:5], s[4:5], s[8:9]
	s_or_b64 exec, exec, s[6:7]
	s_and_saveexec_b64 s[6:7], s[4:5]
	s_cbranch_execnz .LBB1_1767
	s_branch .LBB1_1768
.LBB1_3817:
	s_movk_i32 s4, 0x80
	v_cmp_eq_u16_sdwa s[12:13], v3, s4 src0_sel:BYTE_0 src1_sel:DWORD
	s_mov_b64 s[4:5], -1
                                        ; implicit-def: $sgpr10
	s_and_saveexec_b64 s[8:9], s[12:13]
; %bb.3818:
	s_mov_b32 s10, 0x7f800001
	s_xor_b64 s[4:5], exec, -1
; %bb.3819:
	s_or_b64 exec, exec, s[8:9]
	s_and_b64 s[4:5], s[4:5], exec
	s_or_saveexec_b64 s[6:7], s[6:7]
	v_mov_b32_e32 v2, s10
	s_xor_b64 exec, exec, s[6:7]
	s_cbranch_execz .LBB1_1770
.LBB1_3820:
	v_mov_b32_e32 v2, 0
	v_cmp_ne_u16_sdwa s[8:9], v3, v2 src0_sel:BYTE_0 src1_sel:DWORD
	s_andn2_b64 s[4:5], s[4:5], exec
	s_and_b64 s[8:9], s[8:9], exec
	s_or_b64 s[4:5], s[4:5], s[8:9]
	s_or_b64 exec, exec, s[6:7]
	s_and_saveexec_b64 s[6:7], s[4:5]
	s_cbranch_execnz .LBB1_1771
	s_branch .LBB1_1772
.LBB1_3821:
	s_movk_i32 s4, 0x80
	v_cmp_eq_u16_sdwa s[12:13], v3, s4 src0_sel:BYTE_0 src1_sel:DWORD
	s_mov_b64 s[4:5], -1
                                        ; implicit-def: $sgpr10
	s_and_saveexec_b64 s[8:9], s[12:13]
; %bb.3822:
	s_mov_b32 s10, 0x7f800001
	s_xor_b64 s[4:5], exec, -1
; %bb.3823:
	s_or_b64 exec, exec, s[8:9]
	s_and_b64 s[4:5], s[4:5], exec
	s_or_saveexec_b64 s[6:7], s[6:7]
	v_mov_b32_e32 v4, s10
	s_xor_b64 exec, exec, s[6:7]
	s_cbranch_execz .LBB1_1774
.LBB1_3824:
	v_mov_b32_e32 v4, 0
	v_cmp_ne_u16_sdwa s[8:9], v3, v4 src0_sel:BYTE_0 src1_sel:DWORD
	s_andn2_b64 s[4:5], s[4:5], exec
	s_and_b64 s[8:9], s[8:9], exec
	s_or_b64 s[4:5], s[4:5], s[8:9]
	s_or_b64 exec, exec, s[6:7]
	s_and_saveexec_b64 s[6:7], s[4:5]
	s_cbranch_execnz .LBB1_1775
	s_branch .LBB1_1776
.LBB1_3825:
	s_movk_i32 s4, 0x80
	v_cmp_eq_u16_e32 vcc, s4, v3
	s_mov_b64 s[4:5], -1
                                        ; implicit-def: $sgpr10
	s_and_saveexec_b64 s[8:9], vcc
; %bb.3826:
	s_mov_b32 s10, 0x7f800001
	s_xor_b64 s[4:5], exec, -1
; %bb.3827:
	s_or_b64 exec, exec, s[8:9]
	s_and_b64 s[4:5], s[4:5], exec
                                        ; implicit-def: $vgpr3
	s_or_saveexec_b64 s[6:7], s[6:7]
	v_mov_b32_e32 v2, s10
	s_xor_b64 exec, exec, s[6:7]
	s_cbranch_execz .LBB1_1778
.LBB1_3828:
	v_cmp_ne_u16_e32 vcc, 0, v3
	s_andn2_b64 s[4:5], s[4:5], exec
	s_and_b64 s[8:9], vcc, exec
	v_mov_b32_e32 v2, 0
	s_or_b64 s[4:5], s[4:5], s[8:9]
	s_or_b64 exec, exec, s[6:7]
	s_and_saveexec_b64 s[6:7], s[4:5]
	s_cbranch_execnz .LBB1_1779
	s_branch .LBB1_1780
.LBB1_3829:
	s_movk_i32 s4, 0x80
	v_cmp_eq_u16_e32 vcc, s4, v3
	s_mov_b64 s[4:5], -1
                                        ; implicit-def: $sgpr10
	s_and_saveexec_b64 s[8:9], vcc
; %bb.3830:
	s_mov_b32 s10, 0x7f800001
	s_xor_b64 s[4:5], exec, -1
; %bb.3831:
	s_or_b64 exec, exec, s[8:9]
	s_and_b64 s[4:5], s[4:5], exec
                                        ; implicit-def: $vgpr3
	s_or_saveexec_b64 s[6:7], s[6:7]
	v_mov_b32_e32 v4, s10
	s_xor_b64 exec, exec, s[6:7]
	s_cbranch_execz .LBB1_1782
.LBB1_3832:
	v_cmp_ne_u16_e32 vcc, 0, v3
	s_andn2_b64 s[4:5], s[4:5], exec
	s_and_b64 s[8:9], vcc, exec
	v_mov_b32_e32 v4, 0
	s_or_b64 s[4:5], s[4:5], s[8:9]
	s_or_b64 exec, exec, s[6:7]
	s_and_saveexec_b64 s[6:7], s[4:5]
	s_cbranch_execnz .LBB1_1783
	s_branch .LBB1_1784
.LBB1_3833:
	s_movk_i32 s4, 0x80
	v_cmp_eq_u16_sdwa s[12:13], v9, s4 src0_sel:BYTE_3 src1_sel:DWORD
	s_mov_b64 s[4:5], -1
                                        ; implicit-def: $sgpr10
	s_and_saveexec_b64 s[8:9], s[12:13]
; %bb.3834:
	s_mov_b32 s10, 0x7f800001
	s_xor_b64 s[4:5], exec, -1
; %bb.3835:
	s_or_b64 exec, exec, s[8:9]
	s_and_b64 s[4:5], s[4:5], exec
	s_or_saveexec_b64 s[6:7], s[6:7]
	v_mov_b32_e32 v2, s10
	s_xor_b64 exec, exec, s[6:7]
	s_cbranch_execz .LBB1_1786
.LBB1_3836:
	v_mov_b32_e32 v2, 0
	v_cmp_ne_u16_sdwa s[8:9], v9, v2 src0_sel:BYTE_3 src1_sel:DWORD
	s_andn2_b64 s[4:5], s[4:5], exec
	s_and_b64 s[8:9], s[8:9], exec
	s_or_b64 s[4:5], s[4:5], s[8:9]
	s_or_b64 exec, exec, s[6:7]
	s_and_saveexec_b64 s[6:7], s[4:5]
	s_cbranch_execnz .LBB1_1787
	s_branch .LBB1_1788
.LBB1_3837:
	s_movk_i32 s4, 0x80
	v_cmp_eq_u16_sdwa s[12:13], v5, s4 src0_sel:BYTE_3 src1_sel:DWORD
	s_mov_b64 s[4:5], -1
                                        ; implicit-def: $sgpr10
	s_and_saveexec_b64 s[8:9], s[12:13]
; %bb.3838:
	s_mov_b32 s10, 0x7f800001
	s_xor_b64 s[4:5], exec, -1
; %bb.3839:
	s_or_b64 exec, exec, s[8:9]
	s_and_b64 s[4:5], s[4:5], exec
	s_or_saveexec_b64 s[6:7], s[6:7]
	v_mov_b32_e32 v3, s10
	s_xor_b64 exec, exec, s[6:7]
	s_cbranch_execz .LBB1_1790
.LBB1_3840:
	v_mov_b32_e32 v3, 0
	v_cmp_ne_u16_sdwa s[8:9], v5, v3 src0_sel:BYTE_3 src1_sel:DWORD
	s_andn2_b64 s[4:5], s[4:5], exec
	s_and_b64 s[8:9], s[8:9], exec
	s_or_b64 s[4:5], s[4:5], s[8:9]
	s_or_b64 exec, exec, s[6:7]
	s_and_saveexec_b64 s[6:7], s[4:5]
	s_cbranch_execnz .LBB1_1791
	s_branch .LBB1_1792
.LBB1_3841:
	s_movk_i32 s4, 0x80
	v_cmp_eq_u16_sdwa s[12:13], v12, s4 src0_sel:BYTE_0 src1_sel:DWORD
	s_mov_b64 s[4:5], -1
                                        ; implicit-def: $sgpr10
	s_and_saveexec_b64 s[8:9], s[12:13]
; %bb.3842:
	s_mov_b32 s10, 0x7f800001
	s_xor_b64 s[4:5], exec, -1
; %bb.3843:
	s_or_b64 exec, exec, s[8:9]
	s_and_b64 s[4:5], s[4:5], exec
	s_or_saveexec_b64 s[6:7], s[6:7]
	v_mov_b32_e32 v18, s10
	s_xor_b64 exec, exec, s[6:7]
	s_cbranch_execz .LBB1_1794
.LBB1_3844:
	v_mov_b32_e32 v18, 0
	v_cmp_ne_u16_sdwa s[8:9], v12, v18 src0_sel:BYTE_0 src1_sel:DWORD
	s_andn2_b64 s[4:5], s[4:5], exec
	s_and_b64 s[8:9], s[8:9], exec
	s_or_b64 s[4:5], s[4:5], s[8:9]
	s_or_b64 exec, exec, s[6:7]
	s_and_saveexec_b64 s[6:7], s[4:5]
	s_cbranch_execnz .LBB1_1795
	s_branch .LBB1_1796
.LBB1_3845:
	s_movk_i32 s4, 0x80
	v_cmp_eq_u16_sdwa s[12:13], v8, s4 src0_sel:BYTE_0 src1_sel:DWORD
	s_mov_b64 s[4:5], -1
                                        ; implicit-def: $sgpr10
	s_and_saveexec_b64 s[8:9], s[12:13]
; %bb.3846:
	s_mov_b32 s10, 0x7f800001
	s_xor_b64 s[4:5], exec, -1
; %bb.3847:
	s_or_b64 exec, exec, s[8:9]
	s_and_b64 s[4:5], s[4:5], exec
	s_or_saveexec_b64 s[6:7], s[6:7]
	v_mov_b32_e32 v19, s10
	s_xor_b64 exec, exec, s[6:7]
	s_cbranch_execz .LBB1_1798
.LBB1_3848:
	v_mov_b32_e32 v19, 0
	v_cmp_ne_u16_sdwa s[8:9], v8, v19 src0_sel:BYTE_0 src1_sel:DWORD
	s_andn2_b64 s[4:5], s[4:5], exec
	s_and_b64 s[8:9], s[8:9], exec
	s_or_b64 s[4:5], s[4:5], s[8:9]
	s_or_b64 exec, exec, s[6:7]
	s_and_saveexec_b64 s[6:7], s[4:5]
	s_cbranch_execnz .LBB1_1799
	s_branch .LBB1_1800
.LBB1_3849:
	s_movk_i32 s4, 0x80
	v_cmp_eq_u16_sdwa s[12:13], v19, s4 src0_sel:BYTE_0 src1_sel:DWORD
	s_mov_b64 s[4:5], -1
                                        ; implicit-def: $sgpr10
	s_and_saveexec_b64 s[8:9], s[12:13]
; %bb.3850:
	s_mov_b32 s10, 0x7f800001
	s_xor_b64 s[4:5], exec, -1
; %bb.3851:
	s_or_b64 exec, exec, s[8:9]
	s_and_b64 s[4:5], s[4:5], exec
	s_or_saveexec_b64 s[6:7], s[6:7]
	v_mov_b32_e32 v18, s10
	s_xor_b64 exec, exec, s[6:7]
	s_cbranch_execz .LBB1_1802
.LBB1_3852:
	v_mov_b32_e32 v18, 0
	v_cmp_ne_u16_sdwa s[8:9], v19, v18 src0_sel:BYTE_0 src1_sel:DWORD
	s_andn2_b64 s[4:5], s[4:5], exec
	s_and_b64 s[8:9], s[8:9], exec
	s_or_b64 s[4:5], s[4:5], s[8:9]
	s_or_b64 exec, exec, s[6:7]
	s_and_saveexec_b64 s[6:7], s[4:5]
	s_cbranch_execnz .LBB1_1803
	s_branch .LBB1_1804
.LBB1_3853:
	s_movk_i32 s4, 0x80
	v_cmp_eq_u16_sdwa s[12:13], v19, s4 src0_sel:BYTE_0 src1_sel:DWORD
	s_mov_b64 s[4:5], -1
                                        ; implicit-def: $sgpr10
	s_and_saveexec_b64 s[8:9], s[12:13]
; %bb.3854:
	s_mov_b32 s10, 0x7f800001
	s_xor_b64 s[4:5], exec, -1
; %bb.3855:
	s_or_b64 exec, exec, s[8:9]
	s_and_b64 s[4:5], s[4:5], exec
	s_or_saveexec_b64 s[6:7], s[6:7]
	v_mov_b32_e32 v20, s10
	s_xor_b64 exec, exec, s[6:7]
	s_cbranch_execz .LBB1_1806
.LBB1_3856:
	v_mov_b32_e32 v20, 0
	v_cmp_ne_u16_sdwa s[8:9], v19, v20 src0_sel:BYTE_0 src1_sel:DWORD
	s_andn2_b64 s[4:5], s[4:5], exec
	s_and_b64 s[8:9], s[8:9], exec
	s_or_b64 s[4:5], s[4:5], s[8:9]
	s_or_b64 exec, exec, s[6:7]
	s_and_saveexec_b64 s[6:7], s[4:5]
	s_cbranch_execnz .LBB1_1807
	s_branch .LBB1_1808
.LBB1_3857:
	s_movk_i32 s4, 0x80
	v_cmp_eq_u16_e32 vcc, s4, v19
	s_mov_b64 s[4:5], -1
                                        ; implicit-def: $sgpr10
	s_and_saveexec_b64 s[8:9], vcc
; %bb.3858:
	s_mov_b32 s10, 0x7f800001
	s_xor_b64 s[4:5], exec, -1
; %bb.3859:
	s_or_b64 exec, exec, s[8:9]
	s_and_b64 s[4:5], s[4:5], exec
                                        ; implicit-def: $vgpr19
	s_or_saveexec_b64 s[6:7], s[6:7]
	v_mov_b32_e32 v18, s10
	s_xor_b64 exec, exec, s[6:7]
	s_cbranch_execz .LBB1_1810
.LBB1_3860:
	v_cmp_ne_u16_e32 vcc, 0, v19
	s_andn2_b64 s[4:5], s[4:5], exec
	s_and_b64 s[8:9], vcc, exec
	v_mov_b32_e32 v18, 0
	s_or_b64 s[4:5], s[4:5], s[8:9]
	s_or_b64 exec, exec, s[6:7]
	s_and_saveexec_b64 s[6:7], s[4:5]
	s_cbranch_execnz .LBB1_1811
	s_branch .LBB1_1812
.LBB1_3861:
	s_movk_i32 s4, 0x80
	v_cmp_eq_u16_e32 vcc, s4, v19
	s_mov_b64 s[4:5], -1
                                        ; implicit-def: $sgpr10
	s_and_saveexec_b64 s[8:9], vcc
; %bb.3862:
	s_mov_b32 s10, 0x7f800001
	s_xor_b64 s[4:5], exec, -1
; %bb.3863:
	s_or_b64 exec, exec, s[8:9]
	s_and_b64 s[4:5], s[4:5], exec
                                        ; implicit-def: $vgpr19
	s_or_saveexec_b64 s[6:7], s[6:7]
	v_mov_b32_e32 v20, s10
	s_xor_b64 exec, exec, s[6:7]
	s_cbranch_execz .LBB1_1814
.LBB1_3864:
	v_cmp_ne_u16_e32 vcc, 0, v19
	s_andn2_b64 s[4:5], s[4:5], exec
	s_and_b64 s[8:9], vcc, exec
	v_mov_b32_e32 v20, 0
	s_or_b64 s[4:5], s[4:5], s[8:9]
	s_or_b64 exec, exec, s[6:7]
	s_and_saveexec_b64 s[6:7], s[4:5]
	s_cbranch_execnz .LBB1_1815
	s_branch .LBB1_1816
.LBB1_3865:
	s_movk_i32 s4, 0x80
	v_cmp_eq_u16_sdwa s[12:13], v12, s4 src0_sel:BYTE_3 src1_sel:DWORD
	s_mov_b64 s[4:5], -1
                                        ; implicit-def: $sgpr10
	s_and_saveexec_b64 s[8:9], s[12:13]
; %bb.3866:
	s_mov_b32 s10, 0x7f800001
	s_xor_b64 s[4:5], exec, -1
; %bb.3867:
	s_or_b64 exec, exec, s[8:9]
	s_and_b64 s[4:5], s[4:5], exec
	s_or_saveexec_b64 s[6:7], s[6:7]
	v_mov_b32_e32 v18, s10
	s_xor_b64 exec, exec, s[6:7]
	s_cbranch_execz .LBB1_1818
.LBB1_3868:
	v_mov_b32_e32 v18, 0
	v_cmp_ne_u16_sdwa s[8:9], v12, v18 src0_sel:BYTE_3 src1_sel:DWORD
	s_andn2_b64 s[4:5], s[4:5], exec
	s_and_b64 s[8:9], s[8:9], exec
	s_or_b64 s[4:5], s[4:5], s[8:9]
	s_or_b64 exec, exec, s[6:7]
	s_and_saveexec_b64 s[6:7], s[4:5]
	s_cbranch_execnz .LBB1_1819
	s_branch .LBB1_1820
.LBB1_3869:
	s_movk_i32 s4, 0x80
	v_cmp_eq_u16_sdwa s[12:13], v8, s4 src0_sel:BYTE_3 src1_sel:DWORD
	s_mov_b64 s[4:5], -1
                                        ; implicit-def: $sgpr10
	s_and_saveexec_b64 s[8:9], s[12:13]
; %bb.3870:
	s_mov_b32 s10, 0x7f800001
	s_xor_b64 s[4:5], exec, -1
; %bb.3871:
	s_or_b64 exec, exec, s[8:9]
	s_and_b64 s[4:5], s[4:5], exec
	s_or_saveexec_b64 s[6:7], s[6:7]
	v_mov_b32_e32 v12, s10
	s_xor_b64 exec, exec, s[6:7]
	s_cbranch_execz .LBB1_1822
.LBB1_3872:
	v_mov_b32_e32 v12, 0
	v_cmp_ne_u16_sdwa s[8:9], v8, v12 src0_sel:BYTE_3 src1_sel:DWORD
	s_andn2_b64 s[4:5], s[4:5], exec
	s_and_b64 s[8:9], s[8:9], exec
	s_or_b64 s[4:5], s[4:5], s[8:9]
	s_or_b64 exec, exec, s[6:7]
	s_and_saveexec_b64 s[6:7], s[4:5]
	s_cbranch_execnz .LBB1_1823
	s_branch .LBB1_1824
.LBB1_3873:
	s_movk_i32 s4, 0x80
	v_cmp_eq_u16_sdwa s[12:13], v13, s4 src0_sel:BYTE_0 src1_sel:DWORD
	s_mov_b64 s[4:5], -1
                                        ; implicit-def: $sgpr10
	s_and_saveexec_b64 s[8:9], s[12:13]
; %bb.3874:
	s_mov_b32 s10, 0x7f800001
	s_xor_b64 s[4:5], exec, -1
; %bb.3875:
	s_or_b64 exec, exec, s[8:9]
	s_and_b64 s[4:5], s[4:5], exec
	s_or_saveexec_b64 s[6:7], s[6:7]
	v_mov_b32_e32 v8, s10
	s_xor_b64 exec, exec, s[6:7]
	s_cbranch_execz .LBB1_1826
.LBB1_3876:
	v_mov_b32_e32 v8, 0
	v_cmp_ne_u16_sdwa s[8:9], v13, v8 src0_sel:BYTE_0 src1_sel:DWORD
	s_andn2_b64 s[4:5], s[4:5], exec
	s_and_b64 s[8:9], s[8:9], exec
	s_or_b64 s[4:5], s[4:5], s[8:9]
	s_or_b64 exec, exec, s[6:7]
	s_and_saveexec_b64 s[6:7], s[4:5]
	s_cbranch_execnz .LBB1_1827
	s_branch .LBB1_1828
.LBB1_3877:
	s_movk_i32 s4, 0x80
	v_cmp_eq_u16_sdwa s[12:13], v9, s4 src0_sel:BYTE_0 src1_sel:DWORD
	s_mov_b64 s[4:5], -1
                                        ; implicit-def: $sgpr10
	s_and_saveexec_b64 s[8:9], s[12:13]
; %bb.3878:
	s_mov_b32 s10, 0x7f800001
	s_xor_b64 s[4:5], exec, -1
; %bb.3879:
	s_or_b64 exec, exec, s[8:9]
	s_and_b64 s[4:5], s[4:5], exec
	s_or_saveexec_b64 s[6:7], s[6:7]
	v_mov_b32_e32 v12, s10
	s_xor_b64 exec, exec, s[6:7]
	s_cbranch_execz .LBB1_1830
.LBB1_3880:
	v_mov_b32_e32 v12, 0
	v_cmp_ne_u16_sdwa s[8:9], v9, v12 src0_sel:BYTE_0 src1_sel:DWORD
	s_andn2_b64 s[4:5], s[4:5], exec
	s_and_b64 s[8:9], s[8:9], exec
	s_or_b64 s[4:5], s[4:5], s[8:9]
	s_or_b64 exec, exec, s[6:7]
	s_and_saveexec_b64 s[6:7], s[4:5]
	s_cbranch_execnz .LBB1_1831
	s_branch .LBB1_1832
.LBB1_3881:
	s_movk_i32 s4, 0x80
	v_cmp_eq_u16_sdwa s[12:13], v12, s4 src0_sel:BYTE_0 src1_sel:DWORD
	s_mov_b64 s[4:5], -1
                                        ; implicit-def: $sgpr10
	s_and_saveexec_b64 s[8:9], s[12:13]
; %bb.3882:
	s_mov_b32 s10, 0x7f800001
	s_xor_b64 s[4:5], exec, -1
; %bb.3883:
	s_or_b64 exec, exec, s[8:9]
	s_and_b64 s[4:5], s[4:5], exec
	s_or_saveexec_b64 s[6:7], s[6:7]
	v_mov_b32_e32 v8, s10
	s_xor_b64 exec, exec, s[6:7]
	s_cbranch_execz .LBB1_1834
.LBB1_3884:
	v_mov_b32_e32 v8, 0
	v_cmp_ne_u16_sdwa s[8:9], v12, v8 src0_sel:BYTE_0 src1_sel:DWORD
	s_andn2_b64 s[4:5], s[4:5], exec
	s_and_b64 s[8:9], s[8:9], exec
	s_or_b64 s[4:5], s[4:5], s[8:9]
	s_or_b64 exec, exec, s[6:7]
	s_and_saveexec_b64 s[6:7], s[4:5]
	s_cbranch_execnz .LBB1_1835
	s_branch .LBB1_1836
.LBB1_3885:
	s_movk_i32 s4, 0x80
	v_cmp_eq_u16_sdwa s[12:13], v12, s4 src0_sel:BYTE_0 src1_sel:DWORD
	s_mov_b64 s[4:5], -1
                                        ; implicit-def: $sgpr10
	s_and_saveexec_b64 s[8:9], s[12:13]
; %bb.3886:
	s_mov_b32 s10, 0x7f800001
	s_xor_b64 s[4:5], exec, -1
; %bb.3887:
	s_or_b64 exec, exec, s[8:9]
	s_and_b64 s[4:5], s[4:5], exec
	s_or_saveexec_b64 s[6:7], s[6:7]
	v_mov_b32_e32 v18, s10
	s_xor_b64 exec, exec, s[6:7]
	s_cbranch_execz .LBB1_1838
.LBB1_3888:
	v_mov_b32_e32 v18, 0
	v_cmp_ne_u16_sdwa s[8:9], v12, v18 src0_sel:BYTE_0 src1_sel:DWORD
	s_andn2_b64 s[4:5], s[4:5], exec
	s_and_b64 s[8:9], s[8:9], exec
	s_or_b64 s[4:5], s[4:5], s[8:9]
	s_or_b64 exec, exec, s[6:7]
	s_and_saveexec_b64 s[6:7], s[4:5]
	s_cbranch_execnz .LBB1_1839
	s_branch .LBB1_1840
.LBB1_3889:
	s_movk_i32 s4, 0x80
	v_cmp_eq_u16_e32 vcc, s4, v12
	s_mov_b64 s[4:5], -1
                                        ; implicit-def: $sgpr10
	s_and_saveexec_b64 s[8:9], vcc
; %bb.3890:
	s_mov_b32 s10, 0x7f800001
	s_xor_b64 s[4:5], exec, -1
; %bb.3891:
	s_or_b64 exec, exec, s[8:9]
	s_and_b64 s[4:5], s[4:5], exec
                                        ; implicit-def: $vgpr12
	s_or_saveexec_b64 s[6:7], s[6:7]
	v_mov_b32_e32 v8, s10
	s_xor_b64 exec, exec, s[6:7]
	s_cbranch_execz .LBB1_1842
.LBB1_3892:
	v_cmp_ne_u16_e32 vcc, 0, v12
	s_andn2_b64 s[4:5], s[4:5], exec
	s_and_b64 s[8:9], vcc, exec
	v_mov_b32_e32 v8, 0
	s_or_b64 s[4:5], s[4:5], s[8:9]
	s_or_b64 exec, exec, s[6:7]
	s_and_saveexec_b64 s[6:7], s[4:5]
	s_cbranch_execnz .LBB1_1843
	s_branch .LBB1_1844
.LBB1_3893:
	s_movk_i32 s4, 0x80
	v_cmp_eq_u16_e32 vcc, s4, v12
	s_mov_b64 s[4:5], -1
                                        ; implicit-def: $sgpr10
	s_and_saveexec_b64 s[8:9], vcc
; %bb.3894:
	s_mov_b32 s10, 0x7f800001
	s_xor_b64 s[4:5], exec, -1
; %bb.3895:
	s_or_b64 exec, exec, s[8:9]
	s_and_b64 s[4:5], s[4:5], exec
                                        ; implicit-def: $vgpr12
	s_or_saveexec_b64 s[6:7], s[6:7]
	v_mov_b32_e32 v18, s10
	s_xor_b64 exec, exec, s[6:7]
	s_cbranch_execz .LBB1_1846
.LBB1_3896:
	v_cmp_ne_u16_e32 vcc, 0, v12
	s_andn2_b64 s[4:5], s[4:5], exec
	s_and_b64 s[8:9], vcc, exec
	v_mov_b32_e32 v18, 0
	s_or_b64 s[4:5], s[4:5], s[8:9]
	s_or_b64 exec, exec, s[6:7]
	s_and_saveexec_b64 s[6:7], s[4:5]
	s_cbranch_execnz .LBB1_1847
	s_branch .LBB1_1848
.LBB1_3897:
	s_movk_i32 s4, 0x80
	v_cmp_eq_u16_sdwa s[12:13], v13, s4 src0_sel:BYTE_3 src1_sel:DWORD
	s_mov_b64 s[4:5], -1
                                        ; implicit-def: $sgpr10
	s_and_saveexec_b64 s[8:9], s[12:13]
; %bb.3898:
	s_mov_b32 s10, 0x7f800001
	s_xor_b64 s[4:5], exec, -1
; %bb.3899:
	s_or_b64 exec, exec, s[8:9]
	s_and_b64 s[4:5], s[4:5], exec
	s_or_saveexec_b64 s[6:7], s[6:7]
	v_mov_b32_e32 v8, s10
	s_xor_b64 exec, exec, s[6:7]
	s_cbranch_execz .LBB1_1850
.LBB1_3900:
	v_mov_b32_e32 v8, 0
	v_cmp_ne_u16_sdwa s[8:9], v13, v8 src0_sel:BYTE_3 src1_sel:DWORD
	s_andn2_b64 s[4:5], s[4:5], exec
	s_and_b64 s[8:9], s[8:9], exec
	s_or_b64 s[4:5], s[4:5], s[8:9]
	s_or_b64 exec, exec, s[6:7]
	s_and_saveexec_b64 s[6:7], s[4:5]
	s_cbranch_execnz .LBB1_1851
	s_branch .LBB1_1852
.LBB1_3901:
	s_movk_i32 s4, 0x80
	v_cmp_eq_u16_sdwa s[12:13], v9, s4 src0_sel:BYTE_3 src1_sel:DWORD
	s_mov_b64 s[4:5], -1
                                        ; implicit-def: $sgpr10
	s_and_saveexec_b64 s[8:9], s[12:13]
; %bb.3902:
	s_mov_b32 s10, 0x7f800001
	s_xor_b64 s[4:5], exec, -1
; %bb.3903:
	s_or_b64 exec, exec, s[8:9]
	s_and_b64 s[4:5], s[4:5], exec
	s_or_saveexec_b64 s[6:7], s[6:7]
	v_mov_b32_e32 v12, s10
	s_xor_b64 exec, exec, s[6:7]
	s_cbranch_execz .LBB1_1854
.LBB1_3904:
	v_mov_b32_e32 v12, 0
	v_cmp_ne_u16_sdwa s[8:9], v9, v12 src0_sel:BYTE_3 src1_sel:DWORD
	s_andn2_b64 s[4:5], s[4:5], exec
	s_and_b64 s[8:9], s[8:9], exec
	s_or_b64 s[4:5], s[4:5], s[8:9]
	s_or_b64 exec, exec, s[6:7]
	s_and_saveexec_b64 s[6:7], s[4:5]
	s_cbranch_execnz .LBB1_1855
	s_branch .LBB1_1856
.LBB1_3905:
	s_movk_i32 s4, 0x80
	v_cmp_eq_u16_sdwa s[12:13], v14, s4 src0_sel:BYTE_0 src1_sel:DWORD
	s_mov_b64 s[4:5], -1
                                        ; implicit-def: $sgpr10
	s_and_saveexec_b64 s[8:9], s[12:13]
; %bb.3906:
	s_mov_b32 s10, 0x7f800001
	s_xor_b64 s[4:5], exec, -1
; %bb.3907:
	s_or_b64 exec, exec, s[8:9]
	s_and_b64 s[4:5], s[4:5], exec
	s_or_saveexec_b64 s[6:7], s[6:7]
	v_mov_b32_e32 v8, s10
	s_xor_b64 exec, exec, s[6:7]
	s_cbranch_execz .LBB1_1858
.LBB1_3908:
	v_mov_b32_e32 v8, 0
	v_cmp_ne_u16_sdwa s[8:9], v14, v8 src0_sel:BYTE_0 src1_sel:DWORD
	s_andn2_b64 s[4:5], s[4:5], exec
	s_and_b64 s[8:9], s[8:9], exec
	s_or_b64 s[4:5], s[4:5], s[8:9]
	s_or_b64 exec, exec, s[6:7]
	s_and_saveexec_b64 s[6:7], s[4:5]
	s_cbranch_execnz .LBB1_1859
	s_branch .LBB1_1860
.LBB1_3909:
	s_movk_i32 s4, 0x80
	v_cmp_eq_u16_sdwa s[12:13], v10, s4 src0_sel:BYTE_0 src1_sel:DWORD
	s_mov_b64 s[4:5], -1
                                        ; implicit-def: $sgpr10
	s_and_saveexec_b64 s[8:9], s[12:13]
; %bb.3910:
	s_mov_b32 s10, 0x7f800001
	s_xor_b64 s[4:5], exec, -1
; %bb.3911:
	s_or_b64 exec, exec, s[8:9]
	s_and_b64 s[4:5], s[4:5], exec
	s_or_saveexec_b64 s[6:7], s[6:7]
	v_mov_b32_e32 v9, s10
	s_xor_b64 exec, exec, s[6:7]
	s_cbranch_execz .LBB1_1862
.LBB1_3912:
	v_mov_b32_e32 v9, 0
	v_cmp_ne_u16_sdwa s[8:9], v10, v9 src0_sel:BYTE_0 src1_sel:DWORD
	s_andn2_b64 s[4:5], s[4:5], exec
	s_and_b64 s[8:9], s[8:9], exec
	s_or_b64 s[4:5], s[4:5], s[8:9]
	s_or_b64 exec, exec, s[6:7]
	s_and_saveexec_b64 s[6:7], s[4:5]
	s_cbranch_execnz .LBB1_1863
	s_branch .LBB1_1864
.LBB1_3913:
	s_movk_i32 s4, 0x80
	v_cmp_eq_u16_sdwa s[12:13], v9, s4 src0_sel:BYTE_0 src1_sel:DWORD
	s_mov_b64 s[4:5], -1
                                        ; implicit-def: $sgpr10
	s_and_saveexec_b64 s[8:9], s[12:13]
; %bb.3914:
	s_mov_b32 s10, 0x7f800001
	s_xor_b64 s[4:5], exec, -1
; %bb.3915:
	s_or_b64 exec, exec, s[8:9]
	s_and_b64 s[4:5], s[4:5], exec
	s_or_saveexec_b64 s[6:7], s[6:7]
	v_mov_b32_e32 v8, s10
	s_xor_b64 exec, exec, s[6:7]
	s_cbranch_execz .LBB1_1866
.LBB1_3916:
	v_mov_b32_e32 v8, 0
	v_cmp_ne_u16_sdwa s[8:9], v9, v8 src0_sel:BYTE_0 src1_sel:DWORD
	s_andn2_b64 s[4:5], s[4:5], exec
	s_and_b64 s[8:9], s[8:9], exec
	s_or_b64 s[4:5], s[4:5], s[8:9]
	s_or_b64 exec, exec, s[6:7]
	s_and_saveexec_b64 s[6:7], s[4:5]
	s_cbranch_execnz .LBB1_1867
	s_branch .LBB1_1868
.LBB1_3917:
	s_movk_i32 s4, 0x80
	v_cmp_eq_u16_sdwa s[12:13], v9, s4 src0_sel:BYTE_0 src1_sel:DWORD
	s_mov_b64 s[4:5], -1
                                        ; implicit-def: $sgpr10
	s_and_saveexec_b64 s[8:9], s[12:13]
; %bb.3918:
	s_mov_b32 s10, 0x7f800001
	s_xor_b64 s[4:5], exec, -1
; %bb.3919:
	s_or_b64 exec, exec, s[8:9]
	s_and_b64 s[4:5], s[4:5], exec
	s_or_saveexec_b64 s[6:7], s[6:7]
	v_mov_b32_e32 v12, s10
	s_xor_b64 exec, exec, s[6:7]
	s_cbranch_execz .LBB1_1870
.LBB1_3920:
	v_mov_b32_e32 v12, 0
	v_cmp_ne_u16_sdwa s[8:9], v9, v12 src0_sel:BYTE_0 src1_sel:DWORD
	s_andn2_b64 s[4:5], s[4:5], exec
	s_and_b64 s[8:9], s[8:9], exec
	s_or_b64 s[4:5], s[4:5], s[8:9]
	s_or_b64 exec, exec, s[6:7]
	s_and_saveexec_b64 s[6:7], s[4:5]
	s_cbranch_execnz .LBB1_1871
	s_branch .LBB1_1872
.LBB1_3921:
	s_movk_i32 s4, 0x80
	v_cmp_eq_u16_e32 vcc, s4, v9
	s_mov_b64 s[4:5], -1
                                        ; implicit-def: $sgpr10
	s_and_saveexec_b64 s[8:9], vcc
; %bb.3922:
	s_mov_b32 s10, 0x7f800001
	s_xor_b64 s[4:5], exec, -1
; %bb.3923:
	s_or_b64 exec, exec, s[8:9]
	s_and_b64 s[4:5], s[4:5], exec
                                        ; implicit-def: $vgpr9
	s_or_saveexec_b64 s[6:7], s[6:7]
	v_mov_b32_e32 v8, s10
	s_xor_b64 exec, exec, s[6:7]
	s_cbranch_execz .LBB1_1874
.LBB1_3924:
	v_cmp_ne_u16_e32 vcc, 0, v9
	s_andn2_b64 s[4:5], s[4:5], exec
	s_and_b64 s[8:9], vcc, exec
	v_mov_b32_e32 v8, 0
	s_or_b64 s[4:5], s[4:5], s[8:9]
	s_or_b64 exec, exec, s[6:7]
	s_and_saveexec_b64 s[6:7], s[4:5]
	s_cbranch_execnz .LBB1_1875
	s_branch .LBB1_1876
.LBB1_3925:
	s_movk_i32 s4, 0x80
	v_cmp_eq_u16_e32 vcc, s4, v9
	s_mov_b64 s[4:5], -1
                                        ; implicit-def: $sgpr10
	s_and_saveexec_b64 s[8:9], vcc
; %bb.3926:
	s_mov_b32 s10, 0x7f800001
	s_xor_b64 s[4:5], exec, -1
; %bb.3927:
	s_or_b64 exec, exec, s[8:9]
	s_and_b64 s[4:5], s[4:5], exec
                                        ; implicit-def: $vgpr9
	s_or_saveexec_b64 s[6:7], s[6:7]
	v_mov_b32_e32 v12, s10
	s_xor_b64 exec, exec, s[6:7]
	s_cbranch_execz .LBB1_1878
.LBB1_3928:
	v_cmp_ne_u16_e32 vcc, 0, v9
	s_andn2_b64 s[4:5], s[4:5], exec
	s_and_b64 s[8:9], vcc, exec
	v_mov_b32_e32 v12, 0
	s_or_b64 s[4:5], s[4:5], s[8:9]
	s_or_b64 exec, exec, s[6:7]
	s_and_saveexec_b64 s[6:7], s[4:5]
	s_cbranch_execnz .LBB1_1879
	s_branch .LBB1_1880
.LBB1_3929:
	s_movk_i32 s4, 0x80
	v_cmp_eq_u16_sdwa s[12:13], v14, s4 src0_sel:BYTE_3 src1_sel:DWORD
	s_mov_b64 s[4:5], -1
                                        ; implicit-def: $sgpr10
	s_and_saveexec_b64 s[8:9], s[12:13]
; %bb.3930:
	s_mov_b32 s10, 0x7f800001
	s_xor_b64 s[4:5], exec, -1
; %bb.3931:
	s_or_b64 exec, exec, s[8:9]
	s_and_b64 s[4:5], s[4:5], exec
	s_or_saveexec_b64 s[6:7], s[6:7]
	v_mov_b32_e32 v8, s10
	s_xor_b64 exec, exec, s[6:7]
	s_cbranch_execz .LBB1_1882
.LBB1_3932:
	v_mov_b32_e32 v8, 0
	v_cmp_ne_u16_sdwa s[8:9], v14, v8 src0_sel:BYTE_3 src1_sel:DWORD
	s_andn2_b64 s[4:5], s[4:5], exec
	s_and_b64 s[8:9], s[8:9], exec
	s_or_b64 s[4:5], s[4:5], s[8:9]
	s_or_b64 exec, exec, s[6:7]
	s_and_saveexec_b64 s[6:7], s[4:5]
	s_cbranch_execnz .LBB1_1883
	s_branch .LBB1_1884
.LBB1_3933:
	s_movk_i32 s4, 0x80
	v_cmp_eq_u16_sdwa s[12:13], v10, s4 src0_sel:BYTE_3 src1_sel:DWORD
	s_mov_b64 s[4:5], -1
                                        ; implicit-def: $sgpr10
	s_and_saveexec_b64 s[8:9], s[12:13]
; %bb.3934:
	s_mov_b32 s10, 0x7f800001
	s_xor_b64 s[4:5], exec, -1
; %bb.3935:
	s_or_b64 exec, exec, s[8:9]
	s_and_b64 s[4:5], s[4:5], exec
	s_or_saveexec_b64 s[6:7], s[6:7]
	v_mov_b32_e32 v9, s10
	s_xor_b64 exec, exec, s[6:7]
	s_cbranch_execz .LBB1_1886
.LBB1_3936:
	v_mov_b32_e32 v9, 0
	v_cmp_ne_u16_sdwa s[8:9], v10, v9 src0_sel:BYTE_3 src1_sel:DWORD
	s_andn2_b64 s[4:5], s[4:5], exec
	s_and_b64 s[8:9], s[8:9], exec
	s_or_b64 s[4:5], s[4:5], s[8:9]
	s_or_b64 exec, exec, s[6:7]
	s_and_saveexec_b64 s[6:7], s[4:5]
	s_cbranch_execnz .LBB1_1887
	s_branch .LBB1_1888
.LBB1_3937:
	s_movk_i32 s4, 0x80
	v_cmp_eq_u16_sdwa s[12:13], v15, s4 src0_sel:BYTE_0 src1_sel:DWORD
	s_mov_b64 s[4:5], -1
                                        ; implicit-def: $sgpr10
	s_and_saveexec_b64 s[8:9], s[12:13]
; %bb.3938:
	s_mov_b32 s10, 0x7f800001
	s_xor_b64 s[4:5], exec, -1
; %bb.3939:
	s_or_b64 exec, exec, s[8:9]
	s_and_b64 s[4:5], s[4:5], exec
	s_or_saveexec_b64 s[6:7], s[6:7]
	v_mov_b32_e32 v8, s10
	s_xor_b64 exec, exec, s[6:7]
	s_cbranch_execz .LBB1_1890
.LBB1_3940:
	v_mov_b32_e32 v8, 0
	v_cmp_ne_u16_sdwa s[8:9], v15, v8 src0_sel:BYTE_0 src1_sel:DWORD
	s_andn2_b64 s[4:5], s[4:5], exec
	s_and_b64 s[8:9], s[8:9], exec
	s_or_b64 s[4:5], s[4:5], s[8:9]
	s_or_b64 exec, exec, s[6:7]
	s_and_saveexec_b64 s[6:7], s[4:5]
	s_cbranch_execnz .LBB1_1891
	s_branch .LBB1_1892
.LBB1_3941:
	s_movk_i32 s4, 0x80
	v_cmp_eq_u16_sdwa s[12:13], v11, s4 src0_sel:BYTE_0 src1_sel:DWORD
	s_mov_b64 s[4:5], -1
                                        ; implicit-def: $sgpr10
	s_and_saveexec_b64 s[8:9], s[12:13]
; %bb.3942:
	s_mov_b32 s10, 0x7f800001
	s_xor_b64 s[4:5], exec, -1
; %bb.3943:
	s_or_b64 exec, exec, s[8:9]
	s_and_b64 s[4:5], s[4:5], exec
	s_or_saveexec_b64 s[6:7], s[6:7]
	v_mov_b32_e32 v9, s10
	s_xor_b64 exec, exec, s[6:7]
	s_cbranch_execz .LBB1_1894
.LBB1_3944:
	v_mov_b32_e32 v9, 0
	v_cmp_ne_u16_sdwa s[8:9], v11, v9 src0_sel:BYTE_0 src1_sel:DWORD
	s_andn2_b64 s[4:5], s[4:5], exec
	s_and_b64 s[8:9], s[8:9], exec
	s_or_b64 s[4:5], s[4:5], s[8:9]
	s_or_b64 exec, exec, s[6:7]
	s_and_saveexec_b64 s[6:7], s[4:5]
	s_cbranch_execnz .LBB1_1895
	s_branch .LBB1_1896
.LBB1_3945:
	s_movk_i32 s4, 0x80
	v_cmp_eq_u16_sdwa s[12:13], v9, s4 src0_sel:BYTE_0 src1_sel:DWORD
	s_mov_b64 s[4:5], -1
                                        ; implicit-def: $sgpr10
	s_and_saveexec_b64 s[8:9], s[12:13]
; %bb.3946:
	s_mov_b32 s10, 0x7f800001
	s_xor_b64 s[4:5], exec, -1
; %bb.3947:
	s_or_b64 exec, exec, s[8:9]
	s_and_b64 s[4:5], s[4:5], exec
	s_or_saveexec_b64 s[6:7], s[6:7]
	v_mov_b32_e32 v8, s10
	s_xor_b64 exec, exec, s[6:7]
	s_cbranch_execz .LBB1_1898
.LBB1_3948:
	v_mov_b32_e32 v8, 0
	v_cmp_ne_u16_sdwa s[8:9], v9, v8 src0_sel:BYTE_0 src1_sel:DWORD
	s_andn2_b64 s[4:5], s[4:5], exec
	s_and_b64 s[8:9], s[8:9], exec
	s_or_b64 s[4:5], s[4:5], s[8:9]
	s_or_b64 exec, exec, s[6:7]
	s_and_saveexec_b64 s[6:7], s[4:5]
	s_cbranch_execnz .LBB1_1899
	s_branch .LBB1_1900
.LBB1_3949:
	s_movk_i32 s4, 0x80
	v_cmp_eq_u16_sdwa s[12:13], v9, s4 src0_sel:BYTE_0 src1_sel:DWORD
	s_mov_b64 s[4:5], -1
                                        ; implicit-def: $sgpr10
	s_and_saveexec_b64 s[8:9], s[12:13]
; %bb.3950:
	s_mov_b32 s10, 0x7f800001
	s_xor_b64 s[4:5], exec, -1
; %bb.3951:
	s_or_b64 exec, exec, s[8:9]
	s_and_b64 s[4:5], s[4:5], exec
	s_or_saveexec_b64 s[6:7], s[6:7]
	v_mov_b32_e32 v10, s10
	s_xor_b64 exec, exec, s[6:7]
	s_cbranch_execz .LBB1_1902
.LBB1_3952:
	v_mov_b32_e32 v10, 0
	v_cmp_ne_u16_sdwa s[8:9], v9, v10 src0_sel:BYTE_0 src1_sel:DWORD
	s_andn2_b64 s[4:5], s[4:5], exec
	s_and_b64 s[8:9], s[8:9], exec
	s_or_b64 s[4:5], s[4:5], s[8:9]
	s_or_b64 exec, exec, s[6:7]
	s_and_saveexec_b64 s[6:7], s[4:5]
	s_cbranch_execnz .LBB1_1903
	s_branch .LBB1_1904
.LBB1_3953:
	s_movk_i32 s4, 0x80
	v_cmp_eq_u16_e32 vcc, s4, v9
	s_mov_b64 s[4:5], -1
                                        ; implicit-def: $sgpr10
	s_and_saveexec_b64 s[8:9], vcc
; %bb.3954:
	s_mov_b32 s10, 0x7f800001
	s_xor_b64 s[4:5], exec, -1
; %bb.3955:
	s_or_b64 exec, exec, s[8:9]
	s_and_b64 s[4:5], s[4:5], exec
                                        ; implicit-def: $vgpr9
	s_or_saveexec_b64 s[6:7], s[6:7]
	v_mov_b32_e32 v8, s10
	s_xor_b64 exec, exec, s[6:7]
	s_cbranch_execz .LBB1_1906
.LBB1_3956:
	v_cmp_ne_u16_e32 vcc, 0, v9
	s_andn2_b64 s[4:5], s[4:5], exec
	s_and_b64 s[8:9], vcc, exec
	v_mov_b32_e32 v8, 0
	s_or_b64 s[4:5], s[4:5], s[8:9]
	s_or_b64 exec, exec, s[6:7]
	s_and_saveexec_b64 s[6:7], s[4:5]
	s_cbranch_execnz .LBB1_1907
	s_branch .LBB1_1908
.LBB1_3957:
	s_movk_i32 s4, 0x80
	v_cmp_eq_u16_e32 vcc, s4, v9
	s_mov_b64 s[4:5], -1
                                        ; implicit-def: $sgpr10
	s_and_saveexec_b64 s[8:9], vcc
; %bb.3958:
	s_mov_b32 s10, 0x7f800001
	s_xor_b64 s[4:5], exec, -1
; %bb.3959:
	s_or_b64 exec, exec, s[8:9]
	s_and_b64 s[4:5], s[4:5], exec
                                        ; implicit-def: $vgpr9
	s_or_saveexec_b64 s[6:7], s[6:7]
	v_mov_b32_e32 v10, s10
	s_xor_b64 exec, exec, s[6:7]
	s_cbranch_execz .LBB1_1910
.LBB1_3960:
	v_cmp_ne_u16_e32 vcc, 0, v9
	s_andn2_b64 s[4:5], s[4:5], exec
	s_and_b64 s[8:9], vcc, exec
	v_mov_b32_e32 v10, 0
	s_or_b64 s[4:5], s[4:5], s[8:9]
	s_or_b64 exec, exec, s[6:7]
	s_and_saveexec_b64 s[6:7], s[4:5]
	s_cbranch_execnz .LBB1_1911
	s_branch .LBB1_1912
.LBB1_3961:
	s_movk_i32 s4, 0x80
	v_cmp_eq_u16_sdwa s[12:13], v15, s4 src0_sel:BYTE_3 src1_sel:DWORD
	s_mov_b64 s[4:5], -1
                                        ; implicit-def: $sgpr10
	s_and_saveexec_b64 s[8:9], s[12:13]
; %bb.3962:
	s_mov_b32 s10, 0x7f800001
	s_xor_b64 s[4:5], exec, -1
; %bb.3963:
	s_or_b64 exec, exec, s[8:9]
	s_and_b64 s[4:5], s[4:5], exec
	s_or_saveexec_b64 s[6:7], s[6:7]
	v_mov_b32_e32 v8, s10
	s_xor_b64 exec, exec, s[6:7]
	s_cbranch_execz .LBB1_1914
.LBB1_3964:
	v_mov_b32_e32 v8, 0
	v_cmp_ne_u16_sdwa s[8:9], v15, v8 src0_sel:BYTE_3 src1_sel:DWORD
	s_andn2_b64 s[4:5], s[4:5], exec
	s_and_b64 s[8:9], s[8:9], exec
	s_or_b64 s[4:5], s[4:5], s[8:9]
	s_or_b64 exec, exec, s[6:7]
	s_and_saveexec_b64 s[6:7], s[4:5]
	s_cbranch_execnz .LBB1_1915
	s_branch .LBB1_1916
.LBB1_3965:
	s_movk_i32 s4, 0x80
	v_cmp_eq_u16_sdwa s[12:13], v11, s4 src0_sel:BYTE_3 src1_sel:DWORD
	s_mov_b64 s[4:5], -1
                                        ; implicit-def: $sgpr10
	s_and_saveexec_b64 s[8:9], s[12:13]
; %bb.3966:
	s_mov_b32 s10, 0x7f800001
	s_xor_b64 s[4:5], exec, -1
; %bb.3967:
	s_or_b64 exec, exec, s[8:9]
	s_and_b64 s[4:5], s[4:5], exec
	s_or_saveexec_b64 s[6:7], s[6:7]
	v_mov_b32_e32 v9, s10
	s_xor_b64 exec, exec, s[6:7]
	s_cbranch_execz .LBB1_1918
.LBB1_3968:
	v_mov_b32_e32 v9, 0
	v_cmp_ne_u16_sdwa s[8:9], v11, v9 src0_sel:BYTE_3 src1_sel:DWORD
	s_andn2_b64 s[4:5], s[4:5], exec
	s_and_b64 s[8:9], s[8:9], exec
	s_or_b64 s[4:5], s[4:5], s[8:9]
	s_or_b64 exec, exec, s[6:7]
	s_and_saveexec_b64 s[6:7], s[4:5]
	s_cbranch_execnz .LBB1_1919
	s_branch .LBB1_1920
.LBB1_3969:
	s_movk_i32 s4, 0x80
	v_cmp_eq_u16_sdwa s[12:13], v4, s4 src0_sel:BYTE_0 src1_sel:DWORD
	s_mov_b64 s[4:5], -1
                                        ; implicit-def: $sgpr10
	s_and_saveexec_b64 s[8:9], s[12:13]
; %bb.3970:
	s_mov_b32 s10, 0x7f800001
	s_xor_b64 s[4:5], exec, -1
; %bb.3971:
	s_or_b64 exec, exec, s[8:9]
	s_and_b64 s[4:5], s[4:5], exec
	s_or_saveexec_b64 s[6:7], s[6:7]
	v_mov_b32_e32 v8, s10
	s_xor_b64 exec, exec, s[6:7]
	s_cbranch_execz .LBB1_1922
.LBB1_3972:
	v_mov_b32_e32 v8, 0
	v_cmp_ne_u16_sdwa s[8:9], v4, v8 src0_sel:BYTE_0 src1_sel:DWORD
	s_andn2_b64 s[4:5], s[4:5], exec
	s_and_b64 s[8:9], s[8:9], exec
	s_or_b64 s[4:5], s[4:5], s[8:9]
	s_or_b64 exec, exec, s[6:7]
	s_and_saveexec_b64 s[6:7], s[4:5]
	s_cbranch_execnz .LBB1_1923
	s_branch .LBB1_1924
.LBB1_3973:
	s_movk_i32 s4, 0x80
	v_cmp_eq_u16_sdwa s[12:13], v0, s4 src0_sel:BYTE_0 src1_sel:DWORD
	s_mov_b64 s[4:5], -1
                                        ; implicit-def: $sgpr10
	s_and_saveexec_b64 s[8:9], s[12:13]
; %bb.3974:
	s_mov_b32 s10, 0x7f800001
	s_xor_b64 s[4:5], exec, -1
; %bb.3975:
	s_or_b64 exec, exec, s[8:9]
	s_and_b64 s[4:5], s[4:5], exec
	s_or_saveexec_b64 s[6:7], s[6:7]
	v_mov_b32_e32 v9, s10
	s_xor_b64 exec, exec, s[6:7]
	s_cbranch_execz .LBB1_1926
.LBB1_3976:
	v_mov_b32_e32 v9, 0
	v_cmp_ne_u16_sdwa s[8:9], v0, v9 src0_sel:BYTE_0 src1_sel:DWORD
	s_andn2_b64 s[4:5], s[4:5], exec
	s_and_b64 s[8:9], s[8:9], exec
	s_or_b64 s[4:5], s[4:5], s[8:9]
	s_or_b64 exec, exec, s[6:7]
	s_and_saveexec_b64 s[6:7], s[4:5]
	s_cbranch_execnz .LBB1_1927
	s_branch .LBB1_1928
.LBB1_3977:
	s_movk_i32 s4, 0x80
	v_cmp_eq_u16_sdwa s[12:13], v9, s4 src0_sel:BYTE_0 src1_sel:DWORD
	s_mov_b64 s[4:5], -1
                                        ; implicit-def: $sgpr10
	s_and_saveexec_b64 s[8:9], s[12:13]
; %bb.3978:
	s_mov_b32 s10, 0x7f800001
	s_xor_b64 s[4:5], exec, -1
; %bb.3979:
	s_or_b64 exec, exec, s[8:9]
	s_and_b64 s[4:5], s[4:5], exec
	s_or_saveexec_b64 s[6:7], s[6:7]
	v_mov_b32_e32 v8, s10
	s_xor_b64 exec, exec, s[6:7]
	s_cbranch_execz .LBB1_1930
.LBB1_3980:
	v_mov_b32_e32 v8, 0
	v_cmp_ne_u16_sdwa s[8:9], v9, v8 src0_sel:BYTE_0 src1_sel:DWORD
	s_andn2_b64 s[4:5], s[4:5], exec
	s_and_b64 s[8:9], s[8:9], exec
	s_or_b64 s[4:5], s[4:5], s[8:9]
	s_or_b64 exec, exec, s[6:7]
	s_and_saveexec_b64 s[6:7], s[4:5]
	s_cbranch_execnz .LBB1_1931
	s_branch .LBB1_1932
.LBB1_3981:
	s_movk_i32 s4, 0x80
	v_cmp_eq_u16_sdwa s[12:13], v9, s4 src0_sel:BYTE_0 src1_sel:DWORD
	s_mov_b64 s[4:5], -1
                                        ; implicit-def: $sgpr10
	s_and_saveexec_b64 s[8:9], s[12:13]
; %bb.3982:
	s_mov_b32 s10, 0x7f800001
	s_xor_b64 s[4:5], exec, -1
; %bb.3983:
	s_or_b64 exec, exec, s[8:9]
	s_and_b64 s[4:5], s[4:5], exec
	s_or_saveexec_b64 s[6:7], s[6:7]
	v_mov_b32_e32 v10, s10
	s_xor_b64 exec, exec, s[6:7]
	s_cbranch_execz .LBB1_1934
.LBB1_3984:
	v_mov_b32_e32 v10, 0
	v_cmp_ne_u16_sdwa s[8:9], v9, v10 src0_sel:BYTE_0 src1_sel:DWORD
	s_andn2_b64 s[4:5], s[4:5], exec
	s_and_b64 s[8:9], s[8:9], exec
	s_or_b64 s[4:5], s[4:5], s[8:9]
	s_or_b64 exec, exec, s[6:7]
	s_and_saveexec_b64 s[6:7], s[4:5]
	s_cbranch_execnz .LBB1_1935
	s_branch .LBB1_1936
.LBB1_3985:
	s_movk_i32 s4, 0x80
	v_cmp_eq_u16_e32 vcc, s4, v9
	s_mov_b64 s[4:5], -1
                                        ; implicit-def: $sgpr10
	s_and_saveexec_b64 s[8:9], vcc
; %bb.3986:
	s_mov_b32 s10, 0x7f800001
	s_xor_b64 s[4:5], exec, -1
; %bb.3987:
	s_or_b64 exec, exec, s[8:9]
	s_and_b64 s[4:5], s[4:5], exec
                                        ; implicit-def: $vgpr9
	s_or_saveexec_b64 s[6:7], s[6:7]
	v_mov_b32_e32 v8, s10
	s_xor_b64 exec, exec, s[6:7]
	s_cbranch_execz .LBB1_1938
.LBB1_3988:
	v_cmp_ne_u16_e32 vcc, 0, v9
	s_andn2_b64 s[4:5], s[4:5], exec
	s_and_b64 s[8:9], vcc, exec
	v_mov_b32_e32 v8, 0
	s_or_b64 s[4:5], s[4:5], s[8:9]
	s_or_b64 exec, exec, s[6:7]
	s_and_saveexec_b64 s[6:7], s[4:5]
	s_cbranch_execnz .LBB1_1939
	s_branch .LBB1_1940
.LBB1_3989:
	s_movk_i32 s4, 0x80
	v_cmp_eq_u16_e32 vcc, s4, v9
	s_mov_b64 s[4:5], -1
                                        ; implicit-def: $sgpr10
	s_and_saveexec_b64 s[8:9], vcc
; %bb.3990:
	s_mov_b32 s10, 0x7f800001
	s_xor_b64 s[4:5], exec, -1
; %bb.3991:
	s_or_b64 exec, exec, s[8:9]
	s_and_b64 s[4:5], s[4:5], exec
                                        ; implicit-def: $vgpr9
	s_or_saveexec_b64 s[6:7], s[6:7]
	v_mov_b32_e32 v10, s10
	s_xor_b64 exec, exec, s[6:7]
	s_cbranch_execz .LBB1_1942
.LBB1_3992:
	v_cmp_ne_u16_e32 vcc, 0, v9
	s_andn2_b64 s[4:5], s[4:5], exec
	s_and_b64 s[8:9], vcc, exec
	v_mov_b32_e32 v10, 0
	s_or_b64 s[4:5], s[4:5], s[8:9]
	s_or_b64 exec, exec, s[6:7]
	s_and_saveexec_b64 s[6:7], s[4:5]
	s_cbranch_execnz .LBB1_1943
	s_branch .LBB1_1944
.LBB1_3993:
	s_movk_i32 s4, 0x80
	v_cmp_eq_u16_sdwa s[12:13], v4, s4 src0_sel:BYTE_3 src1_sel:DWORD
	s_mov_b64 s[4:5], -1
                                        ; implicit-def: $sgpr10
	s_and_saveexec_b64 s[8:9], s[12:13]
; %bb.3994:
	s_mov_b32 s10, 0x7f800001
	s_xor_b64 s[4:5], exec, -1
; %bb.3995:
	s_or_b64 exec, exec, s[8:9]
	s_and_b64 s[4:5], s[4:5], exec
	s_or_saveexec_b64 s[6:7], s[6:7]
	v_mov_b32_e32 v8, s10
	s_xor_b64 exec, exec, s[6:7]
	s_cbranch_execz .LBB1_1946
.LBB1_3996:
	v_mov_b32_e32 v8, 0
	v_cmp_ne_u16_sdwa s[8:9], v4, v8 src0_sel:BYTE_3 src1_sel:DWORD
	s_andn2_b64 s[4:5], s[4:5], exec
	s_and_b64 s[8:9], s[8:9], exec
	s_or_b64 s[4:5], s[4:5], s[8:9]
	s_or_b64 exec, exec, s[6:7]
	s_and_saveexec_b64 s[6:7], s[4:5]
	s_cbranch_execnz .LBB1_1947
	s_branch .LBB1_1948
.LBB1_3997:
	s_movk_i32 s4, 0x80
	v_cmp_eq_u16_sdwa s[12:13], v0, s4 src0_sel:BYTE_3 src1_sel:DWORD
	s_mov_b64 s[4:5], -1
                                        ; implicit-def: $sgpr10
	s_and_saveexec_b64 s[8:9], s[12:13]
; %bb.3998:
	s_mov_b32 s10, 0x7f800001
	s_xor_b64 s[4:5], exec, -1
; %bb.3999:
	s_or_b64 exec, exec, s[8:9]
	s_and_b64 s[4:5], s[4:5], exec
	s_or_saveexec_b64 s[6:7], s[6:7]
	v_mov_b32_e32 v4, s10
	s_xor_b64 exec, exec, s[6:7]
	s_cbranch_execz .LBB1_1950
.LBB1_4000:
	v_mov_b32_e32 v4, 0
	v_cmp_ne_u16_sdwa s[8:9], v0, v4 src0_sel:BYTE_3 src1_sel:DWORD
	s_andn2_b64 s[4:5], s[4:5], exec
	s_and_b64 s[8:9], s[8:9], exec
	s_or_b64 s[4:5], s[4:5], s[8:9]
	s_or_b64 exec, exec, s[6:7]
	s_and_saveexec_b64 s[6:7], s[4:5]
	s_cbranch_execnz .LBB1_1951
	s_branch .LBB1_1952
.LBB1_4001:
	s_movk_i32 s4, 0x80
	v_cmp_eq_u16_sdwa s[12:13], v5, s4 src0_sel:BYTE_0 src1_sel:DWORD
	s_mov_b64 s[4:5], -1
                                        ; implicit-def: $sgpr10
	s_and_saveexec_b64 s[8:9], s[12:13]
; %bb.4002:
	s_mov_b32 s10, 0x7f800001
	s_xor_b64 s[4:5], exec, -1
; %bb.4003:
	s_or_b64 exec, exec, s[8:9]
	s_and_b64 s[4:5], s[4:5], exec
	s_or_saveexec_b64 s[6:7], s[6:7]
	v_mov_b32_e32 v0, s10
	s_xor_b64 exec, exec, s[6:7]
	s_cbranch_execz .LBB1_1954
.LBB1_4004:
	v_mov_b32_e32 v0, 0
	v_cmp_ne_u16_sdwa s[8:9], v5, v0 src0_sel:BYTE_0 src1_sel:DWORD
	s_andn2_b64 s[4:5], s[4:5], exec
	s_and_b64 s[8:9], s[8:9], exec
	s_or_b64 s[4:5], s[4:5], s[8:9]
	s_or_b64 exec, exec, s[6:7]
	s_and_saveexec_b64 s[6:7], s[4:5]
	s_cbranch_execnz .LBB1_1955
	s_branch .LBB1_1956
.LBB1_4005:
	s_movk_i32 s4, 0x80
	v_cmp_eq_u16_sdwa s[12:13], v1, s4 src0_sel:BYTE_0 src1_sel:DWORD
	s_mov_b64 s[4:5], -1
                                        ; implicit-def: $sgpr10
	s_and_saveexec_b64 s[8:9], s[12:13]
; %bb.4006:
	s_mov_b32 s10, 0x7f800001
	s_xor_b64 s[4:5], exec, -1
; %bb.4007:
	s_or_b64 exec, exec, s[8:9]
	s_and_b64 s[4:5], s[4:5], exec
	s_or_saveexec_b64 s[6:7], s[6:7]
	v_mov_b32_e32 v4, s10
	s_xor_b64 exec, exec, s[6:7]
	s_cbranch_execz .LBB1_1958
.LBB1_4008:
	v_mov_b32_e32 v4, 0
	v_cmp_ne_u16_sdwa s[8:9], v1, v4 src0_sel:BYTE_0 src1_sel:DWORD
	s_andn2_b64 s[4:5], s[4:5], exec
	s_and_b64 s[8:9], s[8:9], exec
	s_or_b64 s[4:5], s[4:5], s[8:9]
	s_or_b64 exec, exec, s[6:7]
	s_and_saveexec_b64 s[6:7], s[4:5]
	s_cbranch_execnz .LBB1_1959
	s_branch .LBB1_1960
.LBB1_4009:
	s_movk_i32 s4, 0x80
	v_cmp_eq_u16_sdwa s[12:13], v4, s4 src0_sel:BYTE_0 src1_sel:DWORD
	s_mov_b64 s[4:5], -1
                                        ; implicit-def: $sgpr10
	s_and_saveexec_b64 s[8:9], s[12:13]
; %bb.4010:
	s_mov_b32 s10, 0x7f800001
	s_xor_b64 s[4:5], exec, -1
; %bb.4011:
	s_or_b64 exec, exec, s[8:9]
	s_and_b64 s[4:5], s[4:5], exec
	s_or_saveexec_b64 s[6:7], s[6:7]
	v_mov_b32_e32 v0, s10
	s_xor_b64 exec, exec, s[6:7]
	s_cbranch_execz .LBB1_1962
.LBB1_4012:
	v_mov_b32_e32 v0, 0
	v_cmp_ne_u16_sdwa s[8:9], v4, v0 src0_sel:BYTE_0 src1_sel:DWORD
	s_andn2_b64 s[4:5], s[4:5], exec
	s_and_b64 s[8:9], s[8:9], exec
	s_or_b64 s[4:5], s[4:5], s[8:9]
	s_or_b64 exec, exec, s[6:7]
	s_and_saveexec_b64 s[6:7], s[4:5]
	s_cbranch_execnz .LBB1_1963
	s_branch .LBB1_1964
.LBB1_4013:
	s_movk_i32 s4, 0x80
	v_cmp_eq_u16_sdwa s[12:13], v4, s4 src0_sel:BYTE_0 src1_sel:DWORD
	s_mov_b64 s[4:5], -1
                                        ; implicit-def: $sgpr10
	s_and_saveexec_b64 s[8:9], s[12:13]
; %bb.4014:
	s_mov_b32 s10, 0x7f800001
	s_xor_b64 s[4:5], exec, -1
; %bb.4015:
	s_or_b64 exec, exec, s[8:9]
	s_and_b64 s[4:5], s[4:5], exec
	s_or_saveexec_b64 s[6:7], s[6:7]
	v_mov_b32_e32 v8, s10
	s_xor_b64 exec, exec, s[6:7]
	s_cbranch_execz .LBB1_1966
.LBB1_4016:
	v_mov_b32_e32 v8, 0
	v_cmp_ne_u16_sdwa s[8:9], v4, v8 src0_sel:BYTE_0 src1_sel:DWORD
	s_andn2_b64 s[4:5], s[4:5], exec
	s_and_b64 s[8:9], s[8:9], exec
	s_or_b64 s[4:5], s[4:5], s[8:9]
	s_or_b64 exec, exec, s[6:7]
	s_and_saveexec_b64 s[6:7], s[4:5]
	s_cbranch_execnz .LBB1_1967
	s_branch .LBB1_1968
.LBB1_4017:
	s_movk_i32 s4, 0x80
	v_cmp_eq_u16_e32 vcc, s4, v4
	s_mov_b64 s[4:5], -1
                                        ; implicit-def: $sgpr10
	s_and_saveexec_b64 s[8:9], vcc
; %bb.4018:
	s_mov_b32 s10, 0x7f800001
	s_xor_b64 s[4:5], exec, -1
; %bb.4019:
	s_or_b64 exec, exec, s[8:9]
	s_and_b64 s[4:5], s[4:5], exec
                                        ; implicit-def: $vgpr4
	s_or_saveexec_b64 s[6:7], s[6:7]
	v_mov_b32_e32 v0, s10
	s_xor_b64 exec, exec, s[6:7]
	s_cbranch_execz .LBB1_1970
.LBB1_4020:
	v_cmp_ne_u16_e32 vcc, 0, v4
	s_andn2_b64 s[4:5], s[4:5], exec
	s_and_b64 s[8:9], vcc, exec
	v_mov_b32_e32 v0, 0
	s_or_b64 s[4:5], s[4:5], s[8:9]
	s_or_b64 exec, exec, s[6:7]
	s_and_saveexec_b64 s[6:7], s[4:5]
	s_cbranch_execnz .LBB1_1971
	s_branch .LBB1_1972
.LBB1_4021:
	s_movk_i32 s4, 0x80
	v_cmp_eq_u16_e32 vcc, s4, v4
	s_mov_b64 s[4:5], -1
                                        ; implicit-def: $sgpr10
	s_and_saveexec_b64 s[8:9], vcc
; %bb.4022:
	s_mov_b32 s10, 0x7f800001
	s_xor_b64 s[4:5], exec, -1
; %bb.4023:
	s_or_b64 exec, exec, s[8:9]
	s_and_b64 s[4:5], s[4:5], exec
                                        ; implicit-def: $vgpr4
	s_or_saveexec_b64 s[6:7], s[6:7]
	v_mov_b32_e32 v8, s10
	s_xor_b64 exec, exec, s[6:7]
	s_cbranch_execz .LBB1_1974
.LBB1_4024:
	v_cmp_ne_u16_e32 vcc, 0, v4
	s_andn2_b64 s[4:5], s[4:5], exec
	s_and_b64 s[8:9], vcc, exec
	v_mov_b32_e32 v8, 0
	s_or_b64 s[4:5], s[4:5], s[8:9]
	s_or_b64 exec, exec, s[6:7]
	s_and_saveexec_b64 s[6:7], s[4:5]
	s_cbranch_execnz .LBB1_1975
	s_branch .LBB1_1976
.LBB1_4025:
	s_movk_i32 s4, 0x80
	v_cmp_eq_u16_sdwa s[12:13], v5, s4 src0_sel:BYTE_3 src1_sel:DWORD
	s_mov_b64 s[4:5], -1
                                        ; implicit-def: $sgpr10
	s_and_saveexec_b64 s[8:9], s[12:13]
; %bb.4026:
	s_mov_b32 s10, 0x7f800001
	s_xor_b64 s[4:5], exec, -1
; %bb.4027:
	s_or_b64 exec, exec, s[8:9]
	s_and_b64 s[4:5], s[4:5], exec
	s_or_saveexec_b64 s[6:7], s[6:7]
	v_mov_b32_e32 v0, s10
	s_xor_b64 exec, exec, s[6:7]
	s_cbranch_execz .LBB1_1978
.LBB1_4028:
	v_mov_b32_e32 v0, 0
	v_cmp_ne_u16_sdwa s[8:9], v5, v0 src0_sel:BYTE_3 src1_sel:DWORD
	s_andn2_b64 s[4:5], s[4:5], exec
	s_and_b64 s[8:9], s[8:9], exec
	s_or_b64 s[4:5], s[4:5], s[8:9]
	s_or_b64 exec, exec, s[6:7]
	s_and_saveexec_b64 s[6:7], s[4:5]
	s_cbranch_execnz .LBB1_1979
	s_branch .LBB1_1980
.LBB1_4029:
	s_movk_i32 s4, 0x80
	v_cmp_eq_u16_sdwa s[12:13], v1, s4 src0_sel:BYTE_3 src1_sel:DWORD
	s_mov_b64 s[4:5], -1
                                        ; implicit-def: $sgpr10
	s_and_saveexec_b64 s[8:9], s[12:13]
; %bb.4030:
	s_mov_b32 s10, 0x7f800001
	s_xor_b64 s[4:5], exec, -1
; %bb.4031:
	s_or_b64 exec, exec, s[8:9]
	s_and_b64 s[4:5], s[4:5], exec
	s_or_saveexec_b64 s[6:7], s[6:7]
	v_mov_b32_e32 v4, s10
	s_xor_b64 exec, exec, s[6:7]
	s_cbranch_execz .LBB1_1982
.LBB1_4032:
	v_mov_b32_e32 v4, 0
	v_cmp_ne_u16_sdwa s[8:9], v1, v4 src0_sel:BYTE_3 src1_sel:DWORD
	s_andn2_b64 s[4:5], s[4:5], exec
	s_and_b64 s[8:9], s[8:9], exec
	s_or_b64 s[4:5], s[4:5], s[8:9]
	s_or_b64 exec, exec, s[6:7]
	s_and_saveexec_b64 s[6:7], s[4:5]
	s_cbranch_execnz .LBB1_1983
	s_branch .LBB1_1984
.LBB1_4033:
	s_movk_i32 s4, 0x80
	v_cmp_eq_u16_sdwa s[12:13], v6, s4 src0_sel:BYTE_0 src1_sel:DWORD
	s_mov_b64 s[4:5], -1
                                        ; implicit-def: $sgpr10
	s_and_saveexec_b64 s[8:9], s[12:13]
; %bb.4034:
	s_mov_b32 s10, 0x7f800001
	s_xor_b64 s[4:5], exec, -1
; %bb.4035:
	s_or_b64 exec, exec, s[8:9]
	s_and_b64 s[4:5], s[4:5], exec
	s_or_saveexec_b64 s[6:7], s[6:7]
	v_mov_b32_e32 v0, s10
	s_xor_b64 exec, exec, s[6:7]
	s_cbranch_execz .LBB1_1986
.LBB1_4036:
	v_mov_b32_e32 v0, 0
	v_cmp_ne_u16_sdwa s[8:9], v6, v0 src0_sel:BYTE_0 src1_sel:DWORD
	s_andn2_b64 s[4:5], s[4:5], exec
	s_and_b64 s[8:9], s[8:9], exec
	s_or_b64 s[4:5], s[4:5], s[8:9]
	s_or_b64 exec, exec, s[6:7]
	s_and_saveexec_b64 s[6:7], s[4:5]
	s_cbranch_execnz .LBB1_1987
	s_branch .LBB1_1988
.LBB1_4037:
	s_movk_i32 s4, 0x80
	v_cmp_eq_u16_sdwa s[12:13], v2, s4 src0_sel:BYTE_0 src1_sel:DWORD
	s_mov_b64 s[4:5], -1
                                        ; implicit-def: $sgpr10
	s_and_saveexec_b64 s[8:9], s[12:13]
; %bb.4038:
	s_mov_b32 s10, 0x7f800001
	s_xor_b64 s[4:5], exec, -1
; %bb.4039:
	s_or_b64 exec, exec, s[8:9]
	s_and_b64 s[4:5], s[4:5], exec
	s_or_saveexec_b64 s[6:7], s[6:7]
	v_mov_b32_e32 v1, s10
	s_xor_b64 exec, exec, s[6:7]
	s_cbranch_execz .LBB1_1990
.LBB1_4040:
	v_mov_b32_e32 v1, 0
	v_cmp_ne_u16_sdwa s[8:9], v2, v1 src0_sel:BYTE_0 src1_sel:DWORD
	s_andn2_b64 s[4:5], s[4:5], exec
	s_and_b64 s[8:9], s[8:9], exec
	s_or_b64 s[4:5], s[4:5], s[8:9]
	s_or_b64 exec, exec, s[6:7]
	s_and_saveexec_b64 s[6:7], s[4:5]
	s_cbranch_execnz .LBB1_1991
	s_branch .LBB1_1992
.LBB1_4041:
	s_movk_i32 s4, 0x80
	v_cmp_eq_u16_sdwa s[12:13], v1, s4 src0_sel:BYTE_0 src1_sel:DWORD
	s_mov_b64 s[4:5], -1
                                        ; implicit-def: $sgpr10
	s_and_saveexec_b64 s[8:9], s[12:13]
; %bb.4042:
	s_mov_b32 s10, 0x7f800001
	s_xor_b64 s[4:5], exec, -1
; %bb.4043:
	s_or_b64 exec, exec, s[8:9]
	s_and_b64 s[4:5], s[4:5], exec
	s_or_saveexec_b64 s[6:7], s[6:7]
	v_mov_b32_e32 v0, s10
	s_xor_b64 exec, exec, s[6:7]
	s_cbranch_execz .LBB1_1994
.LBB1_4044:
	v_mov_b32_e32 v0, 0
	v_cmp_ne_u16_sdwa s[8:9], v1, v0 src0_sel:BYTE_0 src1_sel:DWORD
	s_andn2_b64 s[4:5], s[4:5], exec
	s_and_b64 s[8:9], s[8:9], exec
	s_or_b64 s[4:5], s[4:5], s[8:9]
	s_or_b64 exec, exec, s[6:7]
	s_and_saveexec_b64 s[6:7], s[4:5]
	s_cbranch_execnz .LBB1_1995
	s_branch .LBB1_1996
.LBB1_4045:
	s_movk_i32 s4, 0x80
	v_cmp_eq_u16_sdwa s[12:13], v1, s4 src0_sel:BYTE_0 src1_sel:DWORD
	s_mov_b64 s[4:5], -1
                                        ; implicit-def: $sgpr10
	s_and_saveexec_b64 s[8:9], s[12:13]
; %bb.4046:
	s_mov_b32 s10, 0x7f800001
	s_xor_b64 s[4:5], exec, -1
; %bb.4047:
	s_or_b64 exec, exec, s[8:9]
	s_and_b64 s[4:5], s[4:5], exec
	s_or_saveexec_b64 s[6:7], s[6:7]
	v_mov_b32_e32 v4, s10
	s_xor_b64 exec, exec, s[6:7]
	s_cbranch_execz .LBB1_1998
.LBB1_4048:
	v_mov_b32_e32 v4, 0
	v_cmp_ne_u16_sdwa s[8:9], v1, v4 src0_sel:BYTE_0 src1_sel:DWORD
	s_andn2_b64 s[4:5], s[4:5], exec
	s_and_b64 s[8:9], s[8:9], exec
	s_or_b64 s[4:5], s[4:5], s[8:9]
	s_or_b64 exec, exec, s[6:7]
	s_and_saveexec_b64 s[6:7], s[4:5]
	s_cbranch_execnz .LBB1_1999
	s_branch .LBB1_2000
.LBB1_4049:
	s_movk_i32 s4, 0x80
	v_cmp_eq_u16_e32 vcc, s4, v1
	s_mov_b64 s[4:5], -1
                                        ; implicit-def: $sgpr10
	s_and_saveexec_b64 s[8:9], vcc
; %bb.4050:
	s_mov_b32 s10, 0x7f800001
	s_xor_b64 s[4:5], exec, -1
; %bb.4051:
	s_or_b64 exec, exec, s[8:9]
	s_and_b64 s[4:5], s[4:5], exec
                                        ; implicit-def: $vgpr1
	s_or_saveexec_b64 s[6:7], s[6:7]
	v_mov_b32_e32 v0, s10
	s_xor_b64 exec, exec, s[6:7]
	s_cbranch_execz .LBB1_2002
.LBB1_4052:
	v_cmp_ne_u16_e32 vcc, 0, v1
	s_andn2_b64 s[4:5], s[4:5], exec
	s_and_b64 s[8:9], vcc, exec
	v_mov_b32_e32 v0, 0
	s_or_b64 s[4:5], s[4:5], s[8:9]
	s_or_b64 exec, exec, s[6:7]
	s_and_saveexec_b64 s[6:7], s[4:5]
	s_cbranch_execnz .LBB1_2003
	s_branch .LBB1_2004
.LBB1_4053:
	s_movk_i32 s4, 0x80
	v_cmp_eq_u16_e32 vcc, s4, v1
	s_mov_b64 s[4:5], -1
                                        ; implicit-def: $sgpr10
	s_and_saveexec_b64 s[8:9], vcc
; %bb.4054:
	s_mov_b32 s10, 0x7f800001
	s_xor_b64 s[4:5], exec, -1
; %bb.4055:
	s_or_b64 exec, exec, s[8:9]
	s_and_b64 s[4:5], s[4:5], exec
                                        ; implicit-def: $vgpr1
	s_or_saveexec_b64 s[6:7], s[6:7]
	v_mov_b32_e32 v4, s10
	s_xor_b64 exec, exec, s[6:7]
	s_cbranch_execz .LBB1_2006
.LBB1_4056:
	v_cmp_ne_u16_e32 vcc, 0, v1
	s_andn2_b64 s[4:5], s[4:5], exec
	s_and_b64 s[8:9], vcc, exec
	v_mov_b32_e32 v4, 0
	s_or_b64 s[4:5], s[4:5], s[8:9]
	s_or_b64 exec, exec, s[6:7]
	s_and_saveexec_b64 s[6:7], s[4:5]
	s_cbranch_execnz .LBB1_2007
	s_branch .LBB1_2008
.LBB1_4057:
	s_movk_i32 s4, 0x80
	v_cmp_eq_u16_sdwa s[12:13], v6, s4 src0_sel:BYTE_3 src1_sel:DWORD
	s_mov_b64 s[4:5], -1
                                        ; implicit-def: $sgpr10
	s_and_saveexec_b64 s[8:9], s[12:13]
; %bb.4058:
	s_mov_b32 s10, 0x7f800001
	s_xor_b64 s[4:5], exec, -1
; %bb.4059:
	s_or_b64 exec, exec, s[8:9]
	s_and_b64 s[4:5], s[4:5], exec
	s_or_saveexec_b64 s[6:7], s[6:7]
	v_mov_b32_e32 v0, s10
	s_xor_b64 exec, exec, s[6:7]
	s_cbranch_execz .LBB1_2010
.LBB1_4060:
	v_mov_b32_e32 v0, 0
	v_cmp_ne_u16_sdwa s[8:9], v6, v0 src0_sel:BYTE_3 src1_sel:DWORD
	s_andn2_b64 s[4:5], s[4:5], exec
	s_and_b64 s[8:9], s[8:9], exec
	s_or_b64 s[4:5], s[4:5], s[8:9]
	s_or_b64 exec, exec, s[6:7]
	s_and_saveexec_b64 s[6:7], s[4:5]
	s_cbranch_execnz .LBB1_2011
	s_branch .LBB1_2012
.LBB1_4061:
	s_movk_i32 s4, 0x80
	v_cmp_eq_u16_sdwa s[12:13], v2, s4 src0_sel:BYTE_3 src1_sel:DWORD
	s_mov_b64 s[4:5], -1
                                        ; implicit-def: $sgpr10
	s_and_saveexec_b64 s[8:9], s[12:13]
; %bb.4062:
	s_mov_b32 s10, 0x7f800001
	s_xor_b64 s[4:5], exec, -1
; %bb.4063:
	s_or_b64 exec, exec, s[8:9]
	s_and_b64 s[4:5], s[4:5], exec
	s_or_saveexec_b64 s[6:7], s[6:7]
	v_mov_b32_e32 v1, s10
	s_xor_b64 exec, exec, s[6:7]
	s_cbranch_execz .LBB1_2014
.LBB1_4064:
	v_mov_b32_e32 v1, 0
	v_cmp_ne_u16_sdwa s[8:9], v2, v1 src0_sel:BYTE_3 src1_sel:DWORD
	s_andn2_b64 s[4:5], s[4:5], exec
	s_and_b64 s[8:9], s[8:9], exec
	s_or_b64 s[4:5], s[4:5], s[8:9]
	s_or_b64 exec, exec, s[6:7]
	s_and_saveexec_b64 s[6:7], s[4:5]
	s_cbranch_execnz .LBB1_2015
	s_branch .LBB1_2016
.LBB1_4065:
	s_movk_i32 s4, 0x80
	v_cmp_eq_u16_sdwa s[12:13], v7, s4 src0_sel:BYTE_0 src1_sel:DWORD
	s_mov_b64 s[4:5], -1
                                        ; implicit-def: $sgpr10
	s_and_saveexec_b64 s[8:9], s[12:13]
; %bb.4066:
	s_mov_b32 s10, 0x7f800001
	s_xor_b64 s[4:5], exec, -1
; %bb.4067:
	s_or_b64 exec, exec, s[8:9]
	s_and_b64 s[4:5], s[4:5], exec
	s_or_saveexec_b64 s[6:7], s[6:7]
	v_mov_b32_e32 v0, s10
	s_xor_b64 exec, exec, s[6:7]
	s_cbranch_execz .LBB1_2018
.LBB1_4068:
	v_mov_b32_e32 v0, 0
	v_cmp_ne_u16_sdwa s[8:9], v7, v0 src0_sel:BYTE_0 src1_sel:DWORD
	s_andn2_b64 s[4:5], s[4:5], exec
	s_and_b64 s[8:9], s[8:9], exec
	s_or_b64 s[4:5], s[4:5], s[8:9]
	s_or_b64 exec, exec, s[6:7]
	s_and_saveexec_b64 s[6:7], s[4:5]
	s_cbranch_execnz .LBB1_2019
	s_branch .LBB1_2020
.LBB1_4069:
	s_movk_i32 s4, 0x80
	v_cmp_eq_u16_sdwa s[12:13], v3, s4 src0_sel:BYTE_0 src1_sel:DWORD
	s_mov_b64 s[4:5], -1
                                        ; implicit-def: $sgpr10
	s_and_saveexec_b64 s[8:9], s[12:13]
; %bb.4070:
	s_mov_b32 s10, 0x7f800001
	s_xor_b64 s[4:5], exec, -1
; %bb.4071:
	s_or_b64 exec, exec, s[8:9]
	s_and_b64 s[4:5], s[4:5], exec
	s_or_saveexec_b64 s[6:7], s[6:7]
	v_mov_b32_e32 v1, s10
	s_xor_b64 exec, exec, s[6:7]
	s_cbranch_execz .LBB1_2022
.LBB1_4072:
	v_mov_b32_e32 v1, 0
	v_cmp_ne_u16_sdwa s[8:9], v3, v1 src0_sel:BYTE_0 src1_sel:DWORD
	s_andn2_b64 s[4:5], s[4:5], exec
	s_and_b64 s[8:9], s[8:9], exec
	s_or_b64 s[4:5], s[4:5], s[8:9]
	s_or_b64 exec, exec, s[6:7]
	s_and_saveexec_b64 s[6:7], s[4:5]
	s_cbranch_execnz .LBB1_2023
	s_branch .LBB1_2024
.LBB1_4073:
	s_movk_i32 s4, 0x80
	v_cmp_eq_u16_sdwa s[12:13], v1, s4 src0_sel:BYTE_0 src1_sel:DWORD
	s_mov_b64 s[4:5], -1
                                        ; implicit-def: $sgpr10
	s_and_saveexec_b64 s[8:9], s[12:13]
; %bb.4074:
	s_mov_b32 s10, 0x7f800001
	s_xor_b64 s[4:5], exec, -1
; %bb.4075:
	s_or_b64 exec, exec, s[8:9]
	s_and_b64 s[4:5], s[4:5], exec
	s_or_saveexec_b64 s[6:7], s[6:7]
	v_mov_b32_e32 v0, s10
	s_xor_b64 exec, exec, s[6:7]
	s_cbranch_execz .LBB1_2026
.LBB1_4076:
	v_mov_b32_e32 v0, 0
	v_cmp_ne_u16_sdwa s[8:9], v1, v0 src0_sel:BYTE_0 src1_sel:DWORD
	s_andn2_b64 s[4:5], s[4:5], exec
	s_and_b64 s[8:9], s[8:9], exec
	s_or_b64 s[4:5], s[4:5], s[8:9]
	s_or_b64 exec, exec, s[6:7]
	s_and_saveexec_b64 s[6:7], s[4:5]
	s_cbranch_execnz .LBB1_2027
	s_branch .LBB1_2028
.LBB1_4077:
	s_movk_i32 s4, 0x80
	v_cmp_eq_u16_sdwa s[12:13], v1, s4 src0_sel:BYTE_0 src1_sel:DWORD
	s_mov_b64 s[4:5], -1
                                        ; implicit-def: $sgpr10
	s_and_saveexec_b64 s[8:9], s[12:13]
; %bb.4078:
	s_mov_b32 s10, 0x7f800001
	s_xor_b64 s[4:5], exec, -1
; %bb.4079:
	s_or_b64 exec, exec, s[8:9]
	s_and_b64 s[4:5], s[4:5], exec
	s_or_saveexec_b64 s[6:7], s[6:7]
	v_mov_b32_e32 v2, s10
	s_xor_b64 exec, exec, s[6:7]
	s_cbranch_execz .LBB1_2030
.LBB1_4080:
	v_mov_b32_e32 v2, 0
	v_cmp_ne_u16_sdwa s[8:9], v1, v2 src0_sel:BYTE_0 src1_sel:DWORD
	s_andn2_b64 s[4:5], s[4:5], exec
	s_and_b64 s[8:9], s[8:9], exec
	s_or_b64 s[4:5], s[4:5], s[8:9]
	s_or_b64 exec, exec, s[6:7]
	s_and_saveexec_b64 s[6:7], s[4:5]
	s_cbranch_execnz .LBB1_2031
	s_branch .LBB1_2032
.LBB1_4081:
	s_movk_i32 s4, 0x80
	v_cmp_eq_u16_e32 vcc, s4, v1
	s_mov_b64 s[4:5], -1
                                        ; implicit-def: $sgpr10
	s_and_saveexec_b64 s[8:9], vcc
; %bb.4082:
	s_mov_b32 s10, 0x7f800001
	s_xor_b64 s[4:5], exec, -1
; %bb.4083:
	s_or_b64 exec, exec, s[8:9]
	s_and_b64 s[4:5], s[4:5], exec
                                        ; implicit-def: $vgpr1
	s_or_saveexec_b64 s[6:7], s[6:7]
	v_mov_b32_e32 v0, s10
	s_xor_b64 exec, exec, s[6:7]
	s_cbranch_execz .LBB1_2034
.LBB1_4084:
	v_cmp_ne_u16_e32 vcc, 0, v1
	s_andn2_b64 s[4:5], s[4:5], exec
	s_and_b64 s[8:9], vcc, exec
	v_mov_b32_e32 v0, 0
	s_or_b64 s[4:5], s[4:5], s[8:9]
	s_or_b64 exec, exec, s[6:7]
	s_and_saveexec_b64 s[6:7], s[4:5]
	s_cbranch_execnz .LBB1_2035
	s_branch .LBB1_2036
.LBB1_4085:
	s_movk_i32 s4, 0x80
	v_cmp_eq_u16_e32 vcc, s4, v1
	s_mov_b64 s[4:5], -1
                                        ; implicit-def: $sgpr10
	s_and_saveexec_b64 s[8:9], vcc
; %bb.4086:
	s_mov_b32 s10, 0x7f800001
	s_xor_b64 s[4:5], exec, -1
; %bb.4087:
	s_or_b64 exec, exec, s[8:9]
	s_and_b64 s[4:5], s[4:5], exec
                                        ; implicit-def: $vgpr1
	s_or_saveexec_b64 s[6:7], s[6:7]
	v_mov_b32_e32 v2, s10
	s_xor_b64 exec, exec, s[6:7]
	s_cbranch_execz .LBB1_2038
.LBB1_4088:
	v_cmp_ne_u16_e32 vcc, 0, v1
	s_andn2_b64 s[4:5], s[4:5], exec
	s_and_b64 s[8:9], vcc, exec
	v_mov_b32_e32 v2, 0
	s_or_b64 s[4:5], s[4:5], s[8:9]
	s_or_b64 exec, exec, s[6:7]
	s_and_saveexec_b64 s[6:7], s[4:5]
	s_cbranch_execnz .LBB1_2039
	s_branch .LBB1_2040
.LBB1_4089:
	s_movk_i32 s4, 0x80
	v_cmp_eq_u16_sdwa s[12:13], v7, s4 src0_sel:BYTE_3 src1_sel:DWORD
	s_mov_b64 s[4:5], -1
                                        ; implicit-def: $sgpr10
	s_and_saveexec_b64 s[8:9], s[12:13]
; %bb.4090:
	s_mov_b32 s10, 0x7f800001
	s_xor_b64 s[4:5], exec, -1
; %bb.4091:
	s_or_b64 exec, exec, s[8:9]
	s_and_b64 s[4:5], s[4:5], exec
	s_or_saveexec_b64 s[6:7], s[6:7]
	v_mov_b32_e32 v0, s10
	s_xor_b64 exec, exec, s[6:7]
	s_cbranch_execz .LBB1_2042
.LBB1_4092:
	v_mov_b32_e32 v0, 0
	v_cmp_ne_u16_sdwa s[8:9], v7, v0 src0_sel:BYTE_3 src1_sel:DWORD
	s_andn2_b64 s[4:5], s[4:5], exec
	s_and_b64 s[8:9], s[8:9], exec
	s_or_b64 s[4:5], s[4:5], s[8:9]
	s_or_b64 exec, exec, s[6:7]
	s_and_saveexec_b64 s[6:7], s[4:5]
	s_cbranch_execnz .LBB1_2043
	s_branch .LBB1_2044
.LBB1_4093:
	s_movk_i32 s4, 0x80
	v_cmp_eq_u16_sdwa s[12:13], v3, s4 src0_sel:BYTE_3 src1_sel:DWORD
	s_mov_b64 s[4:5], -1
                                        ; implicit-def: $sgpr10
	s_and_saveexec_b64 s[8:9], s[12:13]
; %bb.4094:
	s_mov_b32 s10, 0x7f800001
	s_xor_b64 s[4:5], exec, -1
; %bb.4095:
	s_or_b64 exec, exec, s[8:9]
	s_and_b64 s[4:5], s[4:5], exec
	s_or_saveexec_b64 s[6:7], s[6:7]
	v_mov_b32_e32 v1, s10
	s_xor_b64 exec, exec, s[6:7]
	s_cbranch_execz .LBB1_2046
.LBB1_4096:
	v_mov_b32_e32 v1, 0
	v_cmp_ne_u16_sdwa s[8:9], v3, v1 src0_sel:BYTE_3 src1_sel:DWORD
	s_andn2_b64 s[4:5], s[4:5], exec
	s_and_b64 s[8:9], s[8:9], exec
	s_or_b64 s[4:5], s[4:5], s[8:9]
	s_or_b64 exec, exec, s[6:7]
	s_and_saveexec_b64 s[6:7], s[4:5]
	s_cbranch_execnz .LBB1_2047
	s_branch .LBB1_2048
.Lfunc_end1:
	.size	_ZNK2ck6detail7applierIiJLi0ELi1ELi2ELi3ELi4ELi5ELi6ELi7EEEclIZNKS_11static_fordINS_8SequenceIJLi1ELi8EEEENS5_IJLi0ELi1EEEEEclIZZZNKS_52BlockwiseGemmXdlops_pipeline_bpreshuffle_bdequant_v3ILNS_26BlockGemmPipelineSchedulerE0ELi256ENS_9f8_fnuz_tENS_7pk_i4_tESC_fNS_16TensorDescriptorINS_5TupleIJNS_5EmbedINSF_IJNS_17integral_constantIiLi8EEENSH_IiLi256EEENSH_IiLi16EEEEEENSF_IJSK_NSH_IiLi128EEENSH_IiLi1EEEEEELb0EEENS_3XorINSF_IJSJ_SI_EEELb1EEENS_11PassThroughISK_EENS_7UnMergeINSF_IJSI_SN_EEELb0EEENST_ISJ_EESU_NST_ISI_EENS_21Merge_v3_division_modINSF_IJSJ_SN_EEEEESU_EEENSF_IJNS5_IJLi0EEEENS5_IJLi2ELi1EEEENS5_IJLi3EEEENS5_IJLi5EEEENS5_IJLi4EEEENS5_IJLi6EEEENS5_IJLi7EEEENS5_IJLi9ELi8EEEENS5_IJLi10EEEEEEENSF_IJNS5_IJLi1ELi2ELi3EEEENS5_IJLi4ELi5EEEES19_NS5_IJLi7ELi8EEEENS5_IJLi9EEEES1C_NS5_IJLi11EEEENS5_IJLi12EEEENS5_IJLi13EEEEEEENS5_IJLi11ELi12ELi13EEEENSH_IlLl32768EEEEENSE_INSF_IJNSV_INSF_IJSI_SN_SN_NSH_IiLi32EEEEEELb0EEEEEENSF_IJS14_EEENSF_IJNS5_IJLi1ELi2ELi3ELi4EEEEEEES1U_NSH_IlLl256EEEEENSE_INSF_IJSP_SS_SU_SX_SY_SU_SZ_S12_SU_NS10_INSF_IJSI_SK_EEEEENSV_INSF_IJSI_NSH_IiLi2EEESK_EEELb0EEEEEENSF_IJS14_S15_S16_S17_S18_S19_S1A_S1B_S1C_NS5_IJLi11ELi13EEEES1J_EEENSF_IJS1E_S1F_S19_S1G_S1H_S1C_S1I_S1J_S1K_NS5_IJLi14EEEENS5_IJLi15ELi16ELi17EEEEEEENS5_IJLi15ELi16ELi17ELi14EEEES1N_EENSE_INSF_IJS1R_NS10_ISW_EES22_EEENSF_IJS14_NS5_IJLi1ELi3EEEENS5_IJLi2EEEEEEENSF_IJS1U_S17_NS5_IJLi6ELi7ELi8EEEEEEENS5_IJLi6ELi7ELi8ELi5EEEES1W_EELi16ELi32ELi256ELi256ELi128ELi16ELi16ELi8ELi8ELi32ELb0EE3RunILb1ELNS_10TailNumberE0ENSE_INSF_IJNSG_INSF_IJiiEEENSF_IJiSN_EEELb0EEENSV_IS2N_Lb0EEENST_IiEEEEENSF_IJS14_S2E_NS5_IJLi1EEEEEEENSF_IJNS5_IJLi1ELi2EEEENS5_IJLi3ELi4EEEES17_EEENS5_IJLi3ELi5ELi4EEEElEES1O_NS_35ThreadGroupTensorSliceTransfer_v4r1INS_15ThisThreadBlockILi256EEENS_16tensor_operation12element_wise11PassThroughES35_LNS_25InMemoryDataOperationEnumE0ENS5_IJLi8ELi256ELi16EEEENS5_IJLi8ELi32ELi1EEEENS5_IJLi1ELi0ELi2EEEESC_SC_RKS2Z_KS1O_S39_NS5_IJLi0ELi1ELi2EEEELi2ELi2ELi16ELi16ELi1ELi1ELb0ELb1ELi2EiEENS_13DynamicBufferILNS_16AddressSpaceEnumE1EKSC_lLb1ELNS_22AmdBufferCoherenceEnumE0EiEENSF_IJNS3F_ILS3G_2ESC_S1N_Lb1ELS3I_0EiEES3K_EEENSF_IJiiiEEENSE_INSF_IJNSG_INSF_IJiiiiEEENSF_IJiiiSN_EEELb0EEEEEES1T_S1V_S1U_lEENS_32ThreadwiseTensorSliceTransfer_v2ISD_SD_RKS3R_KS1X_NS5_IJLi8ELi1ELi1ELi32EEEENS5_IJLi1ELi2ELi0ELi3EEEELi3ELi32ELi0ELb1ELb0ELb0EEENS3F_ILS3G_1EKSD_lLb1ELS3I_0EiEENSF_IJNS_12StaticBufferILS3G_4ESD_Li256ELb1EEES42_EEES3N_NS_25StaticBufferTupleOfVectorILS3G_4EfLi64ELi4ELb1ELb0EEEEEvRKT1_RKT2_RT3_RKT4_RT5_RKT6_RKT7_RT8_RKT9_RT10_RKT11_RT12_iENKUlT_T0_E_clINSH_IiLi0EEESN_EEDaS51_S52_ENKUlS51_E_clIS55_EEDaS51_EUlS51_E_EEvS51_EUlS51_E_EEvS51_, .Lfunc_end1-_ZNK2ck6detail7applierIiJLi0ELi1ELi2ELi3ELi4ELi5ELi6ELi7EEEclIZNKS_11static_fordINS_8SequenceIJLi1ELi8EEEENS5_IJLi0ELi1EEEEEclIZZZNKS_52BlockwiseGemmXdlops_pipeline_bpreshuffle_bdequant_v3ILNS_26BlockGemmPipelineSchedulerE0ELi256ENS_9f8_fnuz_tENS_7pk_i4_tESC_fNS_16TensorDescriptorINS_5TupleIJNS_5EmbedINSF_IJNS_17integral_constantIiLi8EEENSH_IiLi256EEENSH_IiLi16EEEEEENSF_IJSK_NSH_IiLi128EEENSH_IiLi1EEEEEELb0EEENS_3XorINSF_IJSJ_SI_EEELb1EEENS_11PassThroughISK_EENS_7UnMergeINSF_IJSI_SN_EEELb0EEENST_ISJ_EESU_NST_ISI_EENS_21Merge_v3_division_modINSF_IJSJ_SN_EEEEESU_EEENSF_IJNS5_IJLi0EEEENS5_IJLi2ELi1EEEENS5_IJLi3EEEENS5_IJLi5EEEENS5_IJLi4EEEENS5_IJLi6EEEENS5_IJLi7EEEENS5_IJLi9ELi8EEEENS5_IJLi10EEEEEEENSF_IJNS5_IJLi1ELi2ELi3EEEENS5_IJLi4ELi5EEEES19_NS5_IJLi7ELi8EEEENS5_IJLi9EEEES1C_NS5_IJLi11EEEENS5_IJLi12EEEENS5_IJLi13EEEEEEENS5_IJLi11ELi12ELi13EEEENSH_IlLl32768EEEEENSE_INSF_IJNSV_INSF_IJSI_SN_SN_NSH_IiLi32EEEEEELb0EEEEEENSF_IJS14_EEENSF_IJNS5_IJLi1ELi2ELi3ELi4EEEEEEES1U_NSH_IlLl256EEEEENSE_INSF_IJSP_SS_SU_SX_SY_SU_SZ_S12_SU_NS10_INSF_IJSI_SK_EEEEENSV_INSF_IJSI_NSH_IiLi2EEESK_EEELb0EEEEEENSF_IJS14_S15_S16_S17_S18_S19_S1A_S1B_S1C_NS5_IJLi11ELi13EEEES1J_EEENSF_IJS1E_S1F_S19_S1G_S1H_S1C_S1I_S1J_S1K_NS5_IJLi14EEEENS5_IJLi15ELi16ELi17EEEEEEENS5_IJLi15ELi16ELi17ELi14EEEES1N_EENSE_INSF_IJS1R_NS10_ISW_EES22_EEENSF_IJS14_NS5_IJLi1ELi3EEEENS5_IJLi2EEEEEEENSF_IJS1U_S17_NS5_IJLi6ELi7ELi8EEEEEEENS5_IJLi6ELi7ELi8ELi5EEEES1W_EELi16ELi32ELi256ELi256ELi128ELi16ELi16ELi8ELi8ELi32ELb0EE3RunILb1ELNS_10TailNumberE0ENSE_INSF_IJNSG_INSF_IJiiEEENSF_IJiSN_EEELb0EEENSV_IS2N_Lb0EEENST_IiEEEEENSF_IJS14_S2E_NS5_IJLi1EEEEEEENSF_IJNS5_IJLi1ELi2EEEENS5_IJLi3ELi4EEEES17_EEENS5_IJLi3ELi5ELi4EEEElEES1O_NS_35ThreadGroupTensorSliceTransfer_v4r1INS_15ThisThreadBlockILi256EEENS_16tensor_operation12element_wise11PassThroughES35_LNS_25InMemoryDataOperationEnumE0ENS5_IJLi8ELi256ELi16EEEENS5_IJLi8ELi32ELi1EEEENS5_IJLi1ELi0ELi2EEEESC_SC_RKS2Z_KS1O_S39_NS5_IJLi0ELi1ELi2EEEELi2ELi2ELi16ELi16ELi1ELi1ELb0ELb1ELi2EiEENS_13DynamicBufferILNS_16AddressSpaceEnumE1EKSC_lLb1ELNS_22AmdBufferCoherenceEnumE0EiEENSF_IJNS3F_ILS3G_2ESC_S1N_Lb1ELS3I_0EiEES3K_EEENSF_IJiiiEEENSE_INSF_IJNSG_INSF_IJiiiiEEENSF_IJiiiSN_EEELb0EEEEEES1T_S1V_S1U_lEENS_32ThreadwiseTensorSliceTransfer_v2ISD_SD_RKS3R_KS1X_NS5_IJLi8ELi1ELi1ELi32EEEENS5_IJLi1ELi2ELi0ELi3EEEELi3ELi32ELi0ELb1ELb0ELb0EEENS3F_ILS3G_1EKSD_lLb1ELS3I_0EiEENSF_IJNS_12StaticBufferILS3G_4ESD_Li256ELb1EEES42_EEES3N_NS_25StaticBufferTupleOfVectorILS3G_4EfLi64ELi4ELb1ELb0EEEEEvRKT1_RKT2_RT3_RKT4_RT5_RKT6_RKT7_RT8_RKT9_RT10_RKT11_RT12_iENKUlT_T0_E_clINSH_IiLi0EEESN_EEDaS51_S52_ENKUlS51_E_clIS55_EEDaS51_EUlS51_E_EEvS51_EUlS51_E_EEvS51_
                                        ; -- End function
	.section	.AMDGPU.csdata,"",@progbits
; Function info:
; codeLenInByte = 133608
; NumSgprs: 36
; NumVgprs: 26
; NumAgprs: 4
; TotalNumVgprs: 32
; ScratchSize: 0
; MemoryBound: 1
	.text
	.p2align	2                               ; -- Begin function _ZNK2ck44ThreadwiseTensorSliceTransfer_StaticToStaticINS_7pk_i4_tENS_9f8_fnuz_tEKNS_16TensorDescriptorINS_5TupleIJNS_7UnMergeINS4_IJNS_17integral_constantIiLi8EEENS6_IiLi1EEES8_NS6_IiLi32EEEEEELb0EEEEEENS4_IJNS_8SequenceIJLi0EEEEEEENS4_IJNSD_IJLi1ELi2ELi3ELi4EEEEEEESG_NS6_IlLl256EEEEESK_NS_16tensor_operation12element_wise11PassThroughENSD_IJLi8ELi1ELi1ELi32EEEENSD_IJLi1ELi2ELi0ELi3EEEELi3ELi32ELb0EE3RunINS4_IJNS6_IiLi0EEESS_SS_SS_EEEST_NS_12StaticBufferILNS_16AddressSpaceEnumE4ES1_Li256ELb1EEENSU_ILSV_4ES2_Li256ELb1EEEEEvRSK_RKT_RKT1_SY_RKT0_RT2_
	.type	_ZNK2ck44ThreadwiseTensorSliceTransfer_StaticToStaticINS_7pk_i4_tENS_9f8_fnuz_tEKNS_16TensorDescriptorINS_5TupleIJNS_7UnMergeINS4_IJNS_17integral_constantIiLi8EEENS6_IiLi1EEES8_NS6_IiLi32EEEEEELb0EEEEEENS4_IJNS_8SequenceIJLi0EEEEEEENS4_IJNSD_IJLi1ELi2ELi3ELi4EEEEEEESG_NS6_IlLl256EEEEESK_NS_16tensor_operation12element_wise11PassThroughENSD_IJLi8ELi1ELi1ELi32EEEENSD_IJLi1ELi2ELi0ELi3EEEELi3ELi32ELb0EE3RunINS4_IJNS6_IiLi0EEESS_SS_SS_EEEST_NS_12StaticBufferILNS_16AddressSpaceEnumE4ES1_Li256ELb1EEENSU_ILSV_4ES2_Li256ELb1EEEEEvRSK_RKT_RKT1_SY_RKT0_RT2_,@function
_ZNK2ck44ThreadwiseTensorSliceTransfer_StaticToStaticINS_7pk_i4_tENS_9f8_fnuz_tEKNS_16TensorDescriptorINS_5TupleIJNS_7UnMergeINS4_IJNS_17integral_constantIiLi8EEENS6_IiLi1EEES8_NS6_IiLi32EEEEEELb0EEEEEENS4_IJNS_8SequenceIJLi0EEEEEEENS4_IJNSD_IJLi1ELi2ELi3ELi4EEEEEEESG_NS6_IlLl256EEEEESK_NS_16tensor_operation12element_wise11PassThroughENSD_IJLi8ELi1ELi1ELi32EEEENSD_IJLi1ELi2ELi0ELi3EEEELi3ELi32ELb0EE3RunINS4_IJNS6_IiLi0EEESS_SS_SS_EEEST_NS_12StaticBufferILNS_16AddressSpaceEnumE4ES1_Li256ELb1EEENSU_ILSV_4ES2_Li256ELb1EEEEEvRSK_RKT_RKT1_SY_RKT0_RT2_: ; @_ZNK2ck44ThreadwiseTensorSliceTransfer_StaticToStaticINS_7pk_i4_tENS_9f8_fnuz_tEKNS_16TensorDescriptorINS_5TupleIJNS_7UnMergeINS4_IJNS_17integral_constantIiLi8EEENS6_IiLi1EEES8_NS6_IiLi32EEEEEELb0EEEEEENS4_IJNS_8SequenceIJLi0EEEEEEENS4_IJNSD_IJLi1ELi2ELi3ELi4EEEEEEESG_NS6_IlLl256EEEEESK_NS_16tensor_operation12element_wise11PassThroughENSD_IJLi8ELi1ELi1ELi32EEEENSD_IJLi1ELi2ELi0ELi3EEEELi3ELi32ELb0EE3RunINS4_IJNS6_IiLi0EEESS_SS_SS_EEEST_NS_12StaticBufferILNS_16AddressSpaceEnumE4ES1_Li256ELb1EEENSU_ILSV_4ES2_Li256ELb1EEEEEvRSK_RKT_RKT1_SY_RKT0_RT2_
; %bb.0:
	s_waitcnt vmcnt(0) expcnt(0) lgkmcnt(0)
	flat_load_dwordx4 v[4:7], v[0:1]
	s_waitcnt vmcnt(0) lgkmcnt(0)
	;;#ASMSTART
	v_cvt_off_f32_i4 v10, v4
v_cvt_off_f32_i4 v11, v4, src0_sel:BYTE_2
v_cvt_pk_fp8_f32 v8, v10, v11
v_cvt_off_f32_i4 v10, v4, src0_sel:BYTE_1
v_cvt_off_f32_i4 v11, v4, src0_sel:BYTE_3
v_cvt_pk_fp8_f32 v9, v10, v11
v_lshrrev_b32 v12, 4, v4
v_cvt_off_f32_i4 v10, v12
v_cvt_off_f32_i4 v11, v12, src0_sel:BYTE_2
v_cvt_pk_fp8_f32 v8, v10, v11, op_sel:[0, 0, 1]
v_cvt_off_f32_i4 v10, v12, src0_sel:BYTE_1
v_cvt_off_f32_i4 v11, v12, src0_sel:BYTE_3
v_cvt_pk_fp8_f32 v9, v10, v11, op_sel:[0, 0, 1]

	;;#ASMEND
	;;#ASMSTART
	v_cvt_off_f32_i4 v4, v5
v_cvt_off_f32_i4 v12, v5, src0_sel:BYTE_2
v_cvt_pk_fp8_f32 v10, v4, v12
v_cvt_off_f32_i4 v4, v5, src0_sel:BYTE_1
v_cvt_off_f32_i4 v12, v5, src0_sel:BYTE_3
v_cvt_pk_fp8_f32 v11, v4, v12
v_lshrrev_b32 v13, 4, v5
v_cvt_off_f32_i4 v4, v13
v_cvt_off_f32_i4 v12, v13, src0_sel:BYTE_2
v_cvt_pk_fp8_f32 v10, v4, v12, op_sel:[0, 0, 1]
v_cvt_off_f32_i4 v4, v13, src0_sel:BYTE_1
v_cvt_off_f32_i4 v12, v13, src0_sel:BYTE_3
v_cvt_pk_fp8_f32 v11, v4, v12, op_sel:[0, 0, 1]

	;;#ASMEND
	;; [unrolled: 16-line block ×4, first 2 shown]
	flat_store_dwordx4 v[2:3], v[8:11]
	flat_store_dwordx4 v[2:3], v[12:15] offset:16
	flat_load_dwordx4 v[4:7], v[0:1] offset:32
	s_waitcnt vmcnt(0) lgkmcnt(0)
	;;#ASMSTART
	v_cvt_off_f32_i4 v10, v4
v_cvt_off_f32_i4 v11, v4, src0_sel:BYTE_2
v_cvt_pk_fp8_f32 v8, v10, v11
v_cvt_off_f32_i4 v10, v4, src0_sel:BYTE_1
v_cvt_off_f32_i4 v11, v4, src0_sel:BYTE_3
v_cvt_pk_fp8_f32 v9, v10, v11
v_lshrrev_b32 v12, 4, v4
v_cvt_off_f32_i4 v10, v12
v_cvt_off_f32_i4 v11, v12, src0_sel:BYTE_2
v_cvt_pk_fp8_f32 v8, v10, v11, op_sel:[0, 0, 1]
v_cvt_off_f32_i4 v10, v12, src0_sel:BYTE_1
v_cvt_off_f32_i4 v11, v12, src0_sel:BYTE_3
v_cvt_pk_fp8_f32 v9, v10, v11, op_sel:[0, 0, 1]

	;;#ASMEND
	;;#ASMSTART
	v_cvt_off_f32_i4 v4, v5
v_cvt_off_f32_i4 v12, v5, src0_sel:BYTE_2
v_cvt_pk_fp8_f32 v10, v4, v12
v_cvt_off_f32_i4 v4, v5, src0_sel:BYTE_1
v_cvt_off_f32_i4 v12, v5, src0_sel:BYTE_3
v_cvt_pk_fp8_f32 v11, v4, v12
v_lshrrev_b32 v13, 4, v5
v_cvt_off_f32_i4 v4, v13
v_cvt_off_f32_i4 v12, v13, src0_sel:BYTE_2
v_cvt_pk_fp8_f32 v10, v4, v12, op_sel:[0, 0, 1]
v_cvt_off_f32_i4 v4, v13, src0_sel:BYTE_1
v_cvt_off_f32_i4 v12, v13, src0_sel:BYTE_3
v_cvt_pk_fp8_f32 v11, v4, v12, op_sel:[0, 0, 1]

	;;#ASMEND
	;; [unrolled: 16-line block ×4, first 2 shown]
	flat_store_dwordx4 v[2:3], v[8:11] offset:32
	flat_store_dwordx4 v[2:3], v[12:15] offset:48
	flat_load_dwordx4 v[4:7], v[0:1] offset:64
	s_waitcnt vmcnt(0) lgkmcnt(0)
	;;#ASMSTART
	v_cvt_off_f32_i4 v10, v4
v_cvt_off_f32_i4 v11, v4, src0_sel:BYTE_2
v_cvt_pk_fp8_f32 v8, v10, v11
v_cvt_off_f32_i4 v10, v4, src0_sel:BYTE_1
v_cvt_off_f32_i4 v11, v4, src0_sel:BYTE_3
v_cvt_pk_fp8_f32 v9, v10, v11
v_lshrrev_b32 v12, 4, v4
v_cvt_off_f32_i4 v10, v12
v_cvt_off_f32_i4 v11, v12, src0_sel:BYTE_2
v_cvt_pk_fp8_f32 v8, v10, v11, op_sel:[0, 0, 1]
v_cvt_off_f32_i4 v10, v12, src0_sel:BYTE_1
v_cvt_off_f32_i4 v11, v12, src0_sel:BYTE_3
v_cvt_pk_fp8_f32 v9, v10, v11, op_sel:[0, 0, 1]

	;;#ASMEND
	;;#ASMSTART
	v_cvt_off_f32_i4 v4, v5
v_cvt_off_f32_i4 v12, v5, src0_sel:BYTE_2
v_cvt_pk_fp8_f32 v10, v4, v12
v_cvt_off_f32_i4 v4, v5, src0_sel:BYTE_1
v_cvt_off_f32_i4 v12, v5, src0_sel:BYTE_3
v_cvt_pk_fp8_f32 v11, v4, v12
v_lshrrev_b32 v13, 4, v5
v_cvt_off_f32_i4 v4, v13
v_cvt_off_f32_i4 v12, v13, src0_sel:BYTE_2
v_cvt_pk_fp8_f32 v10, v4, v12, op_sel:[0, 0, 1]
v_cvt_off_f32_i4 v4, v13, src0_sel:BYTE_1
v_cvt_off_f32_i4 v12, v13, src0_sel:BYTE_3
v_cvt_pk_fp8_f32 v11, v4, v12, op_sel:[0, 0, 1]

	;;#ASMEND
	;; [unrolled: 16-line block ×4, first 2 shown]
	flat_store_dwordx4 v[2:3], v[8:11] offset:64
	flat_store_dwordx4 v[2:3], v[12:15] offset:80
	flat_load_dwordx4 v[4:7], v[0:1] offset:96
	s_waitcnt vmcnt(0) lgkmcnt(0)
	;;#ASMSTART
	v_cvt_off_f32_i4 v10, v4
v_cvt_off_f32_i4 v11, v4, src0_sel:BYTE_2
v_cvt_pk_fp8_f32 v8, v10, v11
v_cvt_off_f32_i4 v10, v4, src0_sel:BYTE_1
v_cvt_off_f32_i4 v11, v4, src0_sel:BYTE_3
v_cvt_pk_fp8_f32 v9, v10, v11
v_lshrrev_b32 v12, 4, v4
v_cvt_off_f32_i4 v10, v12
v_cvt_off_f32_i4 v11, v12, src0_sel:BYTE_2
v_cvt_pk_fp8_f32 v8, v10, v11, op_sel:[0, 0, 1]
v_cvt_off_f32_i4 v10, v12, src0_sel:BYTE_1
v_cvt_off_f32_i4 v11, v12, src0_sel:BYTE_3
v_cvt_pk_fp8_f32 v9, v10, v11, op_sel:[0, 0, 1]

	;;#ASMEND
	;;#ASMSTART
	v_cvt_off_f32_i4 v4, v5
v_cvt_off_f32_i4 v12, v5, src0_sel:BYTE_2
v_cvt_pk_fp8_f32 v10, v4, v12
v_cvt_off_f32_i4 v4, v5, src0_sel:BYTE_1
v_cvt_off_f32_i4 v12, v5, src0_sel:BYTE_3
v_cvt_pk_fp8_f32 v11, v4, v12
v_lshrrev_b32 v13, 4, v5
v_cvt_off_f32_i4 v4, v13
v_cvt_off_f32_i4 v12, v13, src0_sel:BYTE_2
v_cvt_pk_fp8_f32 v10, v4, v12, op_sel:[0, 0, 1]
v_cvt_off_f32_i4 v4, v13, src0_sel:BYTE_1
v_cvt_off_f32_i4 v12, v13, src0_sel:BYTE_3
v_cvt_pk_fp8_f32 v11, v4, v12, op_sel:[0, 0, 1]

	;;#ASMEND
	;; [unrolled: 16-line block ×4, first 2 shown]
	flat_store_dwordx4 v[2:3], v[8:11] offset:96
	flat_store_dwordx4 v[2:3], v[12:15] offset:112
	flat_load_dwordx4 v[4:7], v[0:1] offset:128
	s_waitcnt vmcnt(0) lgkmcnt(0)
	;;#ASMSTART
	v_cvt_off_f32_i4 v10, v4
v_cvt_off_f32_i4 v11, v4, src0_sel:BYTE_2
v_cvt_pk_fp8_f32 v8, v10, v11
v_cvt_off_f32_i4 v10, v4, src0_sel:BYTE_1
v_cvt_off_f32_i4 v11, v4, src0_sel:BYTE_3
v_cvt_pk_fp8_f32 v9, v10, v11
v_lshrrev_b32 v12, 4, v4
v_cvt_off_f32_i4 v10, v12
v_cvt_off_f32_i4 v11, v12, src0_sel:BYTE_2
v_cvt_pk_fp8_f32 v8, v10, v11, op_sel:[0, 0, 1]
v_cvt_off_f32_i4 v10, v12, src0_sel:BYTE_1
v_cvt_off_f32_i4 v11, v12, src0_sel:BYTE_3
v_cvt_pk_fp8_f32 v9, v10, v11, op_sel:[0, 0, 1]

	;;#ASMEND
	;;#ASMSTART
	v_cvt_off_f32_i4 v4, v5
v_cvt_off_f32_i4 v12, v5, src0_sel:BYTE_2
v_cvt_pk_fp8_f32 v10, v4, v12
v_cvt_off_f32_i4 v4, v5, src0_sel:BYTE_1
v_cvt_off_f32_i4 v12, v5, src0_sel:BYTE_3
v_cvt_pk_fp8_f32 v11, v4, v12
v_lshrrev_b32 v13, 4, v5
v_cvt_off_f32_i4 v4, v13
v_cvt_off_f32_i4 v12, v13, src0_sel:BYTE_2
v_cvt_pk_fp8_f32 v10, v4, v12, op_sel:[0, 0, 1]
v_cvt_off_f32_i4 v4, v13, src0_sel:BYTE_1
v_cvt_off_f32_i4 v12, v13, src0_sel:BYTE_3
v_cvt_pk_fp8_f32 v11, v4, v12, op_sel:[0, 0, 1]

	;;#ASMEND
	;; [unrolled: 16-line block ×4, first 2 shown]
	flat_store_dwordx4 v[2:3], v[8:11] offset:128
	flat_store_dwordx4 v[2:3], v[12:15] offset:144
	flat_load_dwordx4 v[4:7], v[0:1] offset:160
	s_waitcnt vmcnt(0) lgkmcnt(0)
	;;#ASMSTART
	v_cvt_off_f32_i4 v10, v4
v_cvt_off_f32_i4 v11, v4, src0_sel:BYTE_2
v_cvt_pk_fp8_f32 v8, v10, v11
v_cvt_off_f32_i4 v10, v4, src0_sel:BYTE_1
v_cvt_off_f32_i4 v11, v4, src0_sel:BYTE_3
v_cvt_pk_fp8_f32 v9, v10, v11
v_lshrrev_b32 v12, 4, v4
v_cvt_off_f32_i4 v10, v12
v_cvt_off_f32_i4 v11, v12, src0_sel:BYTE_2
v_cvt_pk_fp8_f32 v8, v10, v11, op_sel:[0, 0, 1]
v_cvt_off_f32_i4 v10, v12, src0_sel:BYTE_1
v_cvt_off_f32_i4 v11, v12, src0_sel:BYTE_3
v_cvt_pk_fp8_f32 v9, v10, v11, op_sel:[0, 0, 1]

	;;#ASMEND
	;;#ASMSTART
	v_cvt_off_f32_i4 v4, v5
v_cvt_off_f32_i4 v12, v5, src0_sel:BYTE_2
v_cvt_pk_fp8_f32 v10, v4, v12
v_cvt_off_f32_i4 v4, v5, src0_sel:BYTE_1
v_cvt_off_f32_i4 v12, v5, src0_sel:BYTE_3
v_cvt_pk_fp8_f32 v11, v4, v12
v_lshrrev_b32 v13, 4, v5
v_cvt_off_f32_i4 v4, v13
v_cvt_off_f32_i4 v12, v13, src0_sel:BYTE_2
v_cvt_pk_fp8_f32 v10, v4, v12, op_sel:[0, 0, 1]
v_cvt_off_f32_i4 v4, v13, src0_sel:BYTE_1
v_cvt_off_f32_i4 v12, v13, src0_sel:BYTE_3
v_cvt_pk_fp8_f32 v11, v4, v12, op_sel:[0, 0, 1]

	;;#ASMEND
	;; [unrolled: 16-line block ×4, first 2 shown]
	flat_store_dwordx4 v[2:3], v[8:11] offset:160
	flat_store_dwordx4 v[2:3], v[12:15] offset:176
	flat_load_dwordx4 v[4:7], v[0:1] offset:192
	s_waitcnt vmcnt(0) lgkmcnt(0)
	;;#ASMSTART
	v_cvt_off_f32_i4 v10, v4
v_cvt_off_f32_i4 v11, v4, src0_sel:BYTE_2
v_cvt_pk_fp8_f32 v8, v10, v11
v_cvt_off_f32_i4 v10, v4, src0_sel:BYTE_1
v_cvt_off_f32_i4 v11, v4, src0_sel:BYTE_3
v_cvt_pk_fp8_f32 v9, v10, v11
v_lshrrev_b32 v12, 4, v4
v_cvt_off_f32_i4 v10, v12
v_cvt_off_f32_i4 v11, v12, src0_sel:BYTE_2
v_cvt_pk_fp8_f32 v8, v10, v11, op_sel:[0, 0, 1]
v_cvt_off_f32_i4 v10, v12, src0_sel:BYTE_1
v_cvt_off_f32_i4 v11, v12, src0_sel:BYTE_3
v_cvt_pk_fp8_f32 v9, v10, v11, op_sel:[0, 0, 1]

	;;#ASMEND
	;;#ASMSTART
	v_cvt_off_f32_i4 v4, v5
v_cvt_off_f32_i4 v12, v5, src0_sel:BYTE_2
v_cvt_pk_fp8_f32 v10, v4, v12
v_cvt_off_f32_i4 v4, v5, src0_sel:BYTE_1
v_cvt_off_f32_i4 v12, v5, src0_sel:BYTE_3
v_cvt_pk_fp8_f32 v11, v4, v12
v_lshrrev_b32 v13, 4, v5
v_cvt_off_f32_i4 v4, v13
v_cvt_off_f32_i4 v12, v13, src0_sel:BYTE_2
v_cvt_pk_fp8_f32 v10, v4, v12, op_sel:[0, 0, 1]
v_cvt_off_f32_i4 v4, v13, src0_sel:BYTE_1
v_cvt_off_f32_i4 v12, v13, src0_sel:BYTE_3
v_cvt_pk_fp8_f32 v11, v4, v12, op_sel:[0, 0, 1]

	;;#ASMEND
	;; [unrolled: 16-line block ×4, first 2 shown]
	flat_store_dwordx4 v[2:3], v[8:11] offset:192
	flat_store_dwordx4 v[2:3], v[12:15] offset:208
	flat_load_dwordx4 v[4:7], v[0:1] offset:224
	s_waitcnt vmcnt(0) lgkmcnt(0)
	;;#ASMSTART
	v_cvt_off_f32_i4 v0, v4
v_cvt_off_f32_i4 v1, v4, src0_sel:BYTE_2
v_cvt_pk_fp8_f32 v8, v0, v1
v_cvt_off_f32_i4 v0, v4, src0_sel:BYTE_1
v_cvt_off_f32_i4 v1, v4, src0_sel:BYTE_3
v_cvt_pk_fp8_f32 v9, v0, v1
v_lshrrev_b32 v10, 4, v4
v_cvt_off_f32_i4 v0, v10
v_cvt_off_f32_i4 v1, v10, src0_sel:BYTE_2
v_cvt_pk_fp8_f32 v8, v0, v1, op_sel:[0, 0, 1]
v_cvt_off_f32_i4 v0, v10, src0_sel:BYTE_1
v_cvt_off_f32_i4 v1, v10, src0_sel:BYTE_3
v_cvt_pk_fp8_f32 v9, v0, v1, op_sel:[0, 0, 1]

	;;#ASMEND
	;;#ASMSTART
	v_cvt_off_f32_i4 v0, v5
v_cvt_off_f32_i4 v1, v5, src0_sel:BYTE_2
v_cvt_pk_fp8_f32 v10, v0, v1
v_cvt_off_f32_i4 v0, v5, src0_sel:BYTE_1
v_cvt_off_f32_i4 v1, v5, src0_sel:BYTE_3
v_cvt_pk_fp8_f32 v11, v0, v1
v_lshrrev_b32 v4, 4, v5
v_cvt_off_f32_i4 v0, v4
v_cvt_off_f32_i4 v1, v4, src0_sel:BYTE_2
v_cvt_pk_fp8_f32 v10, v0, v1, op_sel:[0, 0, 1]
v_cvt_off_f32_i4 v0, v4, src0_sel:BYTE_1
v_cvt_off_f32_i4 v1, v4, src0_sel:BYTE_3
v_cvt_pk_fp8_f32 v11, v0, v1, op_sel:[0, 0, 1]

	;;#ASMEND
	;; [unrolled: 16-line block ×4, first 2 shown]
	flat_store_dwordx4 v[2:3], v[8:11] offset:224
	flat_store_dwordx4 v[2:3], v[12:15] offset:240
	s_waitcnt vmcnt(0) lgkmcnt(0)
	s_setpc_b64 s[30:31]
.Lfunc_end2:
	.size	_ZNK2ck44ThreadwiseTensorSliceTransfer_StaticToStaticINS_7pk_i4_tENS_9f8_fnuz_tEKNS_16TensorDescriptorINS_5TupleIJNS_7UnMergeINS4_IJNS_17integral_constantIiLi8EEENS6_IiLi1EEES8_NS6_IiLi32EEEEEELb0EEEEEENS4_IJNS_8SequenceIJLi0EEEEEEENS4_IJNSD_IJLi1ELi2ELi3ELi4EEEEEEESG_NS6_IlLl256EEEEESK_NS_16tensor_operation12element_wise11PassThroughENSD_IJLi8ELi1ELi1ELi32EEEENSD_IJLi1ELi2ELi0ELi3EEEELi3ELi32ELb0EE3RunINS4_IJNS6_IiLi0EEESS_SS_SS_EEEST_NS_12StaticBufferILNS_16AddressSpaceEnumE4ES1_Li256ELb1EEENSU_ILSV_4ES2_Li256ELb1EEEEEvRSK_RKT_RKT1_SY_RKT0_RT2_, .Lfunc_end2-_ZNK2ck44ThreadwiseTensorSliceTransfer_StaticToStaticINS_7pk_i4_tENS_9f8_fnuz_tEKNS_16TensorDescriptorINS_5TupleIJNS_7UnMergeINS4_IJNS_17integral_constantIiLi8EEENS6_IiLi1EEES8_NS6_IiLi32EEEEEELb0EEEEEENS4_IJNS_8SequenceIJLi0EEEEEEENS4_IJNSD_IJLi1ELi2ELi3ELi4EEEEEEESG_NS6_IlLl256EEEEESK_NS_16tensor_operation12element_wise11PassThroughENSD_IJLi8ELi1ELi1ELi32EEEENSD_IJLi1ELi2ELi0ELi3EEEELi3ELi32ELb0EE3RunINS4_IJNS6_IiLi0EEESS_SS_SS_EEEST_NS_12StaticBufferILNS_16AddressSpaceEnumE4ES1_Li256ELb1EEENSU_ILSV_4ES2_Li256ELb1EEEEEvRSK_RKT_RKT1_SY_RKT0_RT2_
                                        ; -- End function
	.section	.AMDGPU.csdata,"",@progbits
; Function info:
; codeLenInByte = 3564
; NumSgprs: 36
; NumVgprs: 16
; NumAgprs: 0
; TotalNumVgprs: 16
; ScratchSize: 0
; MemoryBound: 0
	.text
	.p2align	2                               ; -- Begin function _ZNK2ck6detail7applierIiJLi0ELi1ELi2ELi3ELi4ELi5ELi6ELi7EEEclIZNKS_11static_fordINS_8SequenceIJLi1ELi8EEEENS5_IJLi0ELi1EEEEEclIZZZNKS_52BlockwiseGemmXdlops_pipeline_bpreshuffle_bdequant_v3ILNS_26BlockGemmPipelineSchedulerE0ELi256ENS_9f8_fnuz_tENS_7pk_i4_tESC_fNS_16TensorDescriptorINS_5TupleIJNS_5EmbedINSF_IJNS_17integral_constantIiLi8EEENSH_IiLi256EEENSH_IiLi16EEEEEENSF_IJSK_NSH_IiLi128EEENSH_IiLi1EEEEEELb0EEENS_3XorINSF_IJSJ_SI_EEELb1EEENS_11PassThroughISK_EENS_7UnMergeINSF_IJSI_SN_EEELb0EEENST_ISJ_EESU_NST_ISI_EENS_21Merge_v3_division_modINSF_IJSJ_SN_EEEEESU_EEENSF_IJNS5_IJLi0EEEENS5_IJLi2ELi1EEEENS5_IJLi3EEEENS5_IJLi5EEEENS5_IJLi4EEEENS5_IJLi6EEEENS5_IJLi7EEEENS5_IJLi9ELi8EEEENS5_IJLi10EEEEEEENSF_IJNS5_IJLi1ELi2ELi3EEEENS5_IJLi4ELi5EEEES19_NS5_IJLi7ELi8EEEENS5_IJLi9EEEES1C_NS5_IJLi11EEEENS5_IJLi12EEEENS5_IJLi13EEEEEEENS5_IJLi11ELi12ELi13EEEENSH_IlLl32768EEEEENSE_INSF_IJNSV_INSF_IJSI_SN_SN_NSH_IiLi32EEEEEELb0EEEEEENSF_IJS14_EEENSF_IJNS5_IJLi1ELi2ELi3ELi4EEEEEEES1U_NSH_IlLl256EEEEENSE_INSF_IJSP_SS_SU_SX_SY_SU_SZ_S12_SU_NS10_INSF_IJSI_SK_EEEEENSV_INSF_IJSI_NSH_IiLi2EEESK_EEELb0EEEEEENSF_IJS14_S15_S16_S17_S18_S19_S1A_S1B_S1C_NS5_IJLi11ELi13EEEES1J_EEENSF_IJS1E_S1F_S19_S1G_S1H_S1C_S1I_S1J_S1K_NS5_IJLi14EEEENS5_IJLi15ELi16ELi17EEEEEEENS5_IJLi15ELi16ELi17ELi14EEEES1N_EENSE_INSF_IJS1R_NS10_ISW_EES22_EEENSF_IJS14_NS5_IJLi1ELi3EEEENS5_IJLi2EEEEEEENSF_IJS1U_S17_NS5_IJLi6ELi7ELi8EEEEEEENS5_IJLi6ELi7ELi8ELi5EEEES1W_EELi16ELi32ELi256ELi256ELi128ELi16ELi16ELi8ELi8ELi32ELb0EE3RunILb1ELNS_10TailNumberE0ENSE_INSF_IJNSG_INSF_IJiiEEENSF_IJiSN_EEELb0EEENSV_IS2N_Lb0EEENST_IiEEEEENSF_IJS14_S2E_NS5_IJLi1EEEEEEENSF_IJNS5_IJLi1ELi2EEEENS5_IJLi3ELi4EEEES17_EEENS5_IJLi3ELi5ELi4EEEElEES1O_NS_35ThreadGroupTensorSliceTransfer_v4r1INS_15ThisThreadBlockILi256EEENS_16tensor_operation12element_wise11PassThroughES35_LNS_25InMemoryDataOperationEnumE0ENS5_IJLi8ELi256ELi16EEEENS5_IJLi8ELi32ELi1EEEENS5_IJLi1ELi0ELi2EEEESC_SC_RKS2Z_KS1O_S39_NS5_IJLi0ELi1ELi2EEEELi2ELi2ELi16ELi16ELi1ELi1ELb0ELb1ELi2EiEENS_13DynamicBufferILNS_16AddressSpaceEnumE1EKSC_lLb1ELNS_22AmdBufferCoherenceEnumE0EiEENSF_IJNS3F_ILS3G_2ESC_S1N_Lb1ELS3I_0EiEES3K_EEENSF_IJiiiEEENSE_INSF_IJNSG_INSF_IJiiiiEEENSF_IJiiiSN_EEELb0EEEEEES1T_S1V_S1U_lEENS_32ThreadwiseTensorSliceTransfer_v2ISD_SD_RKS3R_KS1X_NS5_IJLi8ELi1ELi1ELi32EEEENS5_IJLi1ELi2ELi0ELi3EEEELi3ELi32ELi0ELb1ELb0ELb0EEENS3F_ILS3G_1EKSD_lLb1ELS3I_0EiEENSF_IJNS_12StaticBufferILS3G_4ESD_Li256ELb1EEES42_EEES3N_NS_25StaticBufferTupleOfVectorILS3G_4EfLi64ELi4ELb1ELb0EEEEEvRKT1_RKT2_RT3_RKT4_RT5_RKT6_RKT7_RT8_RKT9_RT10_RKT11_RT12_iENKUlT_T0_E_clINSH_IiLi0EEESN_EEDaS51_S52_ENKUlS51_E_clISN_EEDaS51_EUlS51_E_EEvS51_EUlS51_E_EEvS51_
	.type	_ZNK2ck6detail7applierIiJLi0ELi1ELi2ELi3ELi4ELi5ELi6ELi7EEEclIZNKS_11static_fordINS_8SequenceIJLi1ELi8EEEENS5_IJLi0ELi1EEEEEclIZZZNKS_52BlockwiseGemmXdlops_pipeline_bpreshuffle_bdequant_v3ILNS_26BlockGemmPipelineSchedulerE0ELi256ENS_9f8_fnuz_tENS_7pk_i4_tESC_fNS_16TensorDescriptorINS_5TupleIJNS_5EmbedINSF_IJNS_17integral_constantIiLi8EEENSH_IiLi256EEENSH_IiLi16EEEEEENSF_IJSK_NSH_IiLi128EEENSH_IiLi1EEEEEELb0EEENS_3XorINSF_IJSJ_SI_EEELb1EEENS_11PassThroughISK_EENS_7UnMergeINSF_IJSI_SN_EEELb0EEENST_ISJ_EESU_NST_ISI_EENS_21Merge_v3_division_modINSF_IJSJ_SN_EEEEESU_EEENSF_IJNS5_IJLi0EEEENS5_IJLi2ELi1EEEENS5_IJLi3EEEENS5_IJLi5EEEENS5_IJLi4EEEENS5_IJLi6EEEENS5_IJLi7EEEENS5_IJLi9ELi8EEEENS5_IJLi10EEEEEEENSF_IJNS5_IJLi1ELi2ELi3EEEENS5_IJLi4ELi5EEEES19_NS5_IJLi7ELi8EEEENS5_IJLi9EEEES1C_NS5_IJLi11EEEENS5_IJLi12EEEENS5_IJLi13EEEEEEENS5_IJLi11ELi12ELi13EEEENSH_IlLl32768EEEEENSE_INSF_IJNSV_INSF_IJSI_SN_SN_NSH_IiLi32EEEEEELb0EEEEEENSF_IJS14_EEENSF_IJNS5_IJLi1ELi2ELi3ELi4EEEEEEES1U_NSH_IlLl256EEEEENSE_INSF_IJSP_SS_SU_SX_SY_SU_SZ_S12_SU_NS10_INSF_IJSI_SK_EEEEENSV_INSF_IJSI_NSH_IiLi2EEESK_EEELb0EEEEEENSF_IJS14_S15_S16_S17_S18_S19_S1A_S1B_S1C_NS5_IJLi11ELi13EEEES1J_EEENSF_IJS1E_S1F_S19_S1G_S1H_S1C_S1I_S1J_S1K_NS5_IJLi14EEEENS5_IJLi15ELi16ELi17EEEEEEENS5_IJLi15ELi16ELi17ELi14EEEES1N_EENSE_INSF_IJS1R_NS10_ISW_EES22_EEENSF_IJS14_NS5_IJLi1ELi3EEEENS5_IJLi2EEEEEEENSF_IJS1U_S17_NS5_IJLi6ELi7ELi8EEEEEEENS5_IJLi6ELi7ELi8ELi5EEEES1W_EELi16ELi32ELi256ELi256ELi128ELi16ELi16ELi8ELi8ELi32ELb0EE3RunILb1ELNS_10TailNumberE0ENSE_INSF_IJNSG_INSF_IJiiEEENSF_IJiSN_EEELb0EEENSV_IS2N_Lb0EEENST_IiEEEEENSF_IJS14_S2E_NS5_IJLi1EEEEEEENSF_IJNS5_IJLi1ELi2EEEENS5_IJLi3ELi4EEEES17_EEENS5_IJLi3ELi5ELi4EEEElEES1O_NS_35ThreadGroupTensorSliceTransfer_v4r1INS_15ThisThreadBlockILi256EEENS_16tensor_operation12element_wise11PassThroughES35_LNS_25InMemoryDataOperationEnumE0ENS5_IJLi8ELi256ELi16EEEENS5_IJLi8ELi32ELi1EEEENS5_IJLi1ELi0ELi2EEEESC_SC_RKS2Z_KS1O_S39_NS5_IJLi0ELi1ELi2EEEELi2ELi2ELi16ELi16ELi1ELi1ELb0ELb1ELi2EiEENS_13DynamicBufferILNS_16AddressSpaceEnumE1EKSC_lLb1ELNS_22AmdBufferCoherenceEnumE0EiEENSF_IJNS3F_ILS3G_2ESC_S1N_Lb1ELS3I_0EiEES3K_EEENSF_IJiiiEEENSE_INSF_IJNSG_INSF_IJiiiiEEENSF_IJiiiSN_EEELb0EEEEEES1T_S1V_S1U_lEENS_32ThreadwiseTensorSliceTransfer_v2ISD_SD_RKS3R_KS1X_NS5_IJLi8ELi1ELi1ELi32EEEENS5_IJLi1ELi2ELi0ELi3EEEELi3ELi32ELi0ELb1ELb0ELb0EEENS3F_ILS3G_1EKSD_lLb1ELS3I_0EiEENSF_IJNS_12StaticBufferILS3G_4ESD_Li256ELb1EEES42_EEES3N_NS_25StaticBufferTupleOfVectorILS3G_4EfLi64ELi4ELb1ELb0EEEEEvRKT1_RKT2_RT3_RKT4_RT5_RKT6_RKT7_RT8_RKT9_RT10_RKT11_RT12_iENKUlT_T0_E_clINSH_IiLi0EEESN_EEDaS51_S52_ENKUlS51_E_clISN_EEDaS51_EUlS51_E_EEvS51_EUlS51_E_EEvS51_,@function
_ZNK2ck6detail7applierIiJLi0ELi1ELi2ELi3ELi4ELi5ELi6ELi7EEEclIZNKS_11static_fordINS_8SequenceIJLi1ELi8EEEENS5_IJLi0ELi1EEEEEclIZZZNKS_52BlockwiseGemmXdlops_pipeline_bpreshuffle_bdequant_v3ILNS_26BlockGemmPipelineSchedulerE0ELi256ENS_9f8_fnuz_tENS_7pk_i4_tESC_fNS_16TensorDescriptorINS_5TupleIJNS_5EmbedINSF_IJNS_17integral_constantIiLi8EEENSH_IiLi256EEENSH_IiLi16EEEEEENSF_IJSK_NSH_IiLi128EEENSH_IiLi1EEEEEELb0EEENS_3XorINSF_IJSJ_SI_EEELb1EEENS_11PassThroughISK_EENS_7UnMergeINSF_IJSI_SN_EEELb0EEENST_ISJ_EESU_NST_ISI_EENS_21Merge_v3_division_modINSF_IJSJ_SN_EEEEESU_EEENSF_IJNS5_IJLi0EEEENS5_IJLi2ELi1EEEENS5_IJLi3EEEENS5_IJLi5EEEENS5_IJLi4EEEENS5_IJLi6EEEENS5_IJLi7EEEENS5_IJLi9ELi8EEEENS5_IJLi10EEEEEEENSF_IJNS5_IJLi1ELi2ELi3EEEENS5_IJLi4ELi5EEEES19_NS5_IJLi7ELi8EEEENS5_IJLi9EEEES1C_NS5_IJLi11EEEENS5_IJLi12EEEENS5_IJLi13EEEEEEENS5_IJLi11ELi12ELi13EEEENSH_IlLl32768EEEEENSE_INSF_IJNSV_INSF_IJSI_SN_SN_NSH_IiLi32EEEEEELb0EEEEEENSF_IJS14_EEENSF_IJNS5_IJLi1ELi2ELi3ELi4EEEEEEES1U_NSH_IlLl256EEEEENSE_INSF_IJSP_SS_SU_SX_SY_SU_SZ_S12_SU_NS10_INSF_IJSI_SK_EEEEENSV_INSF_IJSI_NSH_IiLi2EEESK_EEELb0EEEEEENSF_IJS14_S15_S16_S17_S18_S19_S1A_S1B_S1C_NS5_IJLi11ELi13EEEES1J_EEENSF_IJS1E_S1F_S19_S1G_S1H_S1C_S1I_S1J_S1K_NS5_IJLi14EEEENS5_IJLi15ELi16ELi17EEEEEEENS5_IJLi15ELi16ELi17ELi14EEEES1N_EENSE_INSF_IJS1R_NS10_ISW_EES22_EEENSF_IJS14_NS5_IJLi1ELi3EEEENS5_IJLi2EEEEEEENSF_IJS1U_S17_NS5_IJLi6ELi7ELi8EEEEEEENS5_IJLi6ELi7ELi8ELi5EEEES1W_EELi16ELi32ELi256ELi256ELi128ELi16ELi16ELi8ELi8ELi32ELb0EE3RunILb1ELNS_10TailNumberE0ENSE_INSF_IJNSG_INSF_IJiiEEENSF_IJiSN_EEELb0EEENSV_IS2N_Lb0EEENST_IiEEEEENSF_IJS14_S2E_NS5_IJLi1EEEEEEENSF_IJNS5_IJLi1ELi2EEEENS5_IJLi3ELi4EEEES17_EEENS5_IJLi3ELi5ELi4EEEElEES1O_NS_35ThreadGroupTensorSliceTransfer_v4r1INS_15ThisThreadBlockILi256EEENS_16tensor_operation12element_wise11PassThroughES35_LNS_25InMemoryDataOperationEnumE0ENS5_IJLi8ELi256ELi16EEEENS5_IJLi8ELi32ELi1EEEENS5_IJLi1ELi0ELi2EEEESC_SC_RKS2Z_KS1O_S39_NS5_IJLi0ELi1ELi2EEEELi2ELi2ELi16ELi16ELi1ELi1ELb0ELb1ELi2EiEENS_13DynamicBufferILNS_16AddressSpaceEnumE1EKSC_lLb1ELNS_22AmdBufferCoherenceEnumE0EiEENSF_IJNS3F_ILS3G_2ESC_S1N_Lb1ELS3I_0EiEES3K_EEENSF_IJiiiEEENSE_INSF_IJNSG_INSF_IJiiiiEEENSF_IJiiiSN_EEELb0EEEEEES1T_S1V_S1U_lEENS_32ThreadwiseTensorSliceTransfer_v2ISD_SD_RKS3R_KS1X_NS5_IJLi8ELi1ELi1ELi32EEEENS5_IJLi1ELi2ELi0ELi3EEEELi3ELi32ELi0ELb1ELb0ELb0EEENS3F_ILS3G_1EKSD_lLb1ELS3I_0EiEENSF_IJNS_12StaticBufferILS3G_4ESD_Li256ELb1EEES42_EEES3N_NS_25StaticBufferTupleOfVectorILS3G_4EfLi64ELi4ELb1ELb0EEEEEvRKT1_RKT2_RT3_RKT4_RT5_RKT6_RKT7_RT8_RKT9_RT10_RKT11_RT12_iENKUlT_T0_E_clINSH_IiLi0EEESN_EEDaS51_S52_ENKUlS51_E_clISN_EEDaS51_EUlS51_E_EEvS51_EUlS51_E_EEvS51_: ; @_ZNK2ck6detail7applierIiJLi0ELi1ELi2ELi3ELi4ELi5ELi6ELi7EEEclIZNKS_11static_fordINS_8SequenceIJLi1ELi8EEEENS5_IJLi0ELi1EEEEEclIZZZNKS_52BlockwiseGemmXdlops_pipeline_bpreshuffle_bdequant_v3ILNS_26BlockGemmPipelineSchedulerE0ELi256ENS_9f8_fnuz_tENS_7pk_i4_tESC_fNS_16TensorDescriptorINS_5TupleIJNS_5EmbedINSF_IJNS_17integral_constantIiLi8EEENSH_IiLi256EEENSH_IiLi16EEEEEENSF_IJSK_NSH_IiLi128EEENSH_IiLi1EEEEEELb0EEENS_3XorINSF_IJSJ_SI_EEELb1EEENS_11PassThroughISK_EENS_7UnMergeINSF_IJSI_SN_EEELb0EEENST_ISJ_EESU_NST_ISI_EENS_21Merge_v3_division_modINSF_IJSJ_SN_EEEEESU_EEENSF_IJNS5_IJLi0EEEENS5_IJLi2ELi1EEEENS5_IJLi3EEEENS5_IJLi5EEEENS5_IJLi4EEEENS5_IJLi6EEEENS5_IJLi7EEEENS5_IJLi9ELi8EEEENS5_IJLi10EEEEEEENSF_IJNS5_IJLi1ELi2ELi3EEEENS5_IJLi4ELi5EEEES19_NS5_IJLi7ELi8EEEENS5_IJLi9EEEES1C_NS5_IJLi11EEEENS5_IJLi12EEEENS5_IJLi13EEEEEEENS5_IJLi11ELi12ELi13EEEENSH_IlLl32768EEEEENSE_INSF_IJNSV_INSF_IJSI_SN_SN_NSH_IiLi32EEEEEELb0EEEEEENSF_IJS14_EEENSF_IJNS5_IJLi1ELi2ELi3ELi4EEEEEEES1U_NSH_IlLl256EEEEENSE_INSF_IJSP_SS_SU_SX_SY_SU_SZ_S12_SU_NS10_INSF_IJSI_SK_EEEEENSV_INSF_IJSI_NSH_IiLi2EEESK_EEELb0EEEEEENSF_IJS14_S15_S16_S17_S18_S19_S1A_S1B_S1C_NS5_IJLi11ELi13EEEES1J_EEENSF_IJS1E_S1F_S19_S1G_S1H_S1C_S1I_S1J_S1K_NS5_IJLi14EEEENS5_IJLi15ELi16ELi17EEEEEEENS5_IJLi15ELi16ELi17ELi14EEEES1N_EENSE_INSF_IJS1R_NS10_ISW_EES22_EEENSF_IJS14_NS5_IJLi1ELi3EEEENS5_IJLi2EEEEEEENSF_IJS1U_S17_NS5_IJLi6ELi7ELi8EEEEEEENS5_IJLi6ELi7ELi8ELi5EEEES1W_EELi16ELi32ELi256ELi256ELi128ELi16ELi16ELi8ELi8ELi32ELb0EE3RunILb1ELNS_10TailNumberE0ENSE_INSF_IJNSG_INSF_IJiiEEENSF_IJiSN_EEELb0EEENSV_IS2N_Lb0EEENST_IiEEEEENSF_IJS14_S2E_NS5_IJLi1EEEEEEENSF_IJNS5_IJLi1ELi2EEEENS5_IJLi3ELi4EEEES17_EEENS5_IJLi3ELi5ELi4EEEElEES1O_NS_35ThreadGroupTensorSliceTransfer_v4r1INS_15ThisThreadBlockILi256EEENS_16tensor_operation12element_wise11PassThroughES35_LNS_25InMemoryDataOperationEnumE0ENS5_IJLi8ELi256ELi16EEEENS5_IJLi8ELi32ELi1EEEENS5_IJLi1ELi0ELi2EEEESC_SC_RKS2Z_KS1O_S39_NS5_IJLi0ELi1ELi2EEEELi2ELi2ELi16ELi16ELi1ELi1ELb0ELb1ELi2EiEENS_13DynamicBufferILNS_16AddressSpaceEnumE1EKSC_lLb1ELNS_22AmdBufferCoherenceEnumE0EiEENSF_IJNS3F_ILS3G_2ESC_S1N_Lb1ELS3I_0EiEES3K_EEENSF_IJiiiEEENSE_INSF_IJNSG_INSF_IJiiiiEEENSF_IJiiiSN_EEELb0EEEEEES1T_S1V_S1U_lEENS_32ThreadwiseTensorSliceTransfer_v2ISD_SD_RKS3R_KS1X_NS5_IJLi8ELi1ELi1ELi32EEEENS5_IJLi1ELi2ELi0ELi3EEEELi3ELi32ELi0ELb1ELb0ELb0EEENS3F_ILS3G_1EKSD_lLb1ELS3I_0EiEENSF_IJNS_12StaticBufferILS3G_4ESD_Li256ELb1EEES42_EEES3N_NS_25StaticBufferTupleOfVectorILS3G_4EfLi64ELi4ELb1ELb0EEEEEvRKT1_RKT2_RT3_RKT4_RT5_RKT6_RKT7_RT8_RKT9_RT10_RKT11_RT12_iENKUlT_T0_E_clINSH_IiLi0EEESN_EEDaS51_S52_ENKUlS51_E_clISN_EEDaS51_EUlS51_E_EEvS51_EUlS51_E_EEvS51_
; %bb.0:
	s_waitcnt vmcnt(0) expcnt(0) lgkmcnt(0)
	flat_load_dwordx4 v[20:23], v[0:1] offset:16
	flat_load_dwordx2 v[18:19], v[0:1] offset:32
	s_movk_i32 s4, 0x7f
                                        ; implicit-def: $sgpr10
	s_waitcnt vmcnt(0) lgkmcnt(0)
	flat_load_dwordx4 v[14:17], v[20:21] offset:32
	flat_load_dwordx4 v[6:9], v[20:21] offset:48
	flat_load_dwordx4 v[10:13], v[22:23]
	flat_load_dwordx4 v[2:5], v[22:23] offset:16
	s_waitcnt vmcnt(0) lgkmcnt(0)
	v_cmp_gt_i16_sdwa s[6:7], v14, s4 src0_sel:BYTE_0 src1_sel:DWORD
	s_mov_b64 s[4:5], 0
	s_and_saveexec_b64 s[8:9], s[6:7]
	s_xor_b64 s[6:7], exec, s[8:9]
	s_cbranch_execnz .LBB3_2049
; %bb.1:
	s_or_saveexec_b64 s[6:7], s[6:7]
	v_mov_b32_e32 v20, s10
	s_xor_b64 exec, exec, s[6:7]
	s_cbranch_execnz .LBB3_2052
.LBB3_2:
	s_or_b64 exec, exec, s[6:7]
	s_and_saveexec_b64 s[6:7], s[4:5]
	s_cbranch_execz .LBB3_4
.LBB3_3:
	v_and_b32_e32 v20, 7, v14
	v_ffbh_u32_e32 v22, v20
	v_min_u32_e32 v22, 32, v22
	v_lshrrev_b16_e32 v21, 3, v14
	v_subrev_u32_e32 v23, 28, v22
	v_and_b32_e32 v21, 15, v21
	v_lshlrev_b32_e32 v23, v23, v14
	v_sub_u32_e32 v22, 29, v22
	v_and_b32_e32 v23, 7, v23
	v_cmp_eq_u16_e32 vcc, 0, v21
	v_cndmask_b32_e32 v20, v20, v23, vcc
	v_cndmask_b32_e32 v21, v21, v22, vcc
	v_lshlrev_b32_e32 v22, 24, v14
	v_mov_b32_e32 v23, 0x3b800000
	v_lshlrev_b32_e32 v20, 20, v20
	v_and_b32_e32 v22, 0x80000000, v22
	v_lshl_add_u32 v21, v21, 23, v23
	v_or3_b32 v20, v22, v21, v20
.LBB3_4:
	s_or_b64 exec, exec, s[6:7]
	s_movk_i32 s4, 0x7f
	v_cmp_gt_i16_sdwa s[6:7], v10, s4 src0_sel:BYTE_0 src1_sel:DWORD
	s_mov_b64 s[4:5], 0
                                        ; implicit-def: $sgpr10
	s_and_saveexec_b64 s[8:9], s[6:7]
	s_xor_b64 s[6:7], exec, s[8:9]
	s_cbranch_execnz .LBB3_2053
; %bb.5:
	s_or_saveexec_b64 s[6:7], s[6:7]
	v_mov_b32_e32 v21, s10
	s_xor_b64 exec, exec, s[6:7]
	s_cbranch_execnz .LBB3_2056
.LBB3_6:
	s_or_b64 exec, exec, s[6:7]
	s_and_saveexec_b64 s[6:7], s[4:5]
	s_cbranch_execz .LBB3_8
.LBB3_7:
	v_and_b32_e32 v21, 7, v10
	v_ffbh_u32_e32 v23, v21
	v_min_u32_e32 v23, 32, v23
	v_lshrrev_b16_e32 v22, 3, v10
	v_subrev_u32_e32 v24, 28, v23
	v_and_b32_e32 v22, 15, v22
	v_lshlrev_b32_e32 v24, v24, v10
	v_sub_u32_e32 v23, 29, v23
	v_and_b32_e32 v24, 7, v24
	v_cmp_eq_u16_e32 vcc, 0, v22
	v_cndmask_b32_e32 v21, v21, v24, vcc
	v_cndmask_b32_e32 v22, v22, v23, vcc
	v_lshlrev_b32_e32 v23, 24, v10
	v_mov_b32_e32 v24, 0x3b800000
	v_lshlrev_b32_e32 v21, 20, v21
	v_and_b32_e32 v23, 0x80000000, v23
	v_lshl_add_u32 v22, v22, 23, v24
	v_or3_b32 v21, v23, v22, v21
.LBB3_8:
	s_or_b64 exec, exec, s[6:7]
	flat_load_dwordx4 a[0:3], v[18:19] offset:128
	s_movk_i32 s4, 0x7f
                                        ; implicit-def: $sgpr10
	s_waitcnt vmcnt(0) lgkmcnt(0)
	v_mfma_f32_16x16x4f32 a[0:3], v20, v21, a[0:3]
	v_lshrrev_b32_e32 v21, 8, v14
	v_cmp_gt_i16_sdwa s[6:7], v21, s4 src0_sel:BYTE_0 src1_sel:DWORD
	s_mov_b64 s[4:5], 0
	s_and_saveexec_b64 s[8:9], s[6:7]
	s_xor_b64 s[6:7], exec, s[8:9]
	s_cbranch_execnz .LBB3_2057
; %bb.9:
	s_or_saveexec_b64 s[6:7], s[6:7]
	v_mov_b32_e32 v20, s10
	s_xor_b64 exec, exec, s[6:7]
	s_cbranch_execnz .LBB3_2060
.LBB3_10:
	s_or_b64 exec, exec, s[6:7]
	s_and_saveexec_b64 s[6:7], s[4:5]
	s_cbranch_execz .LBB3_12
.LBB3_11:
	v_bfe_u32 v20, v14, 8, 3
	v_ffbh_u32_e32 v23, v20
	v_min_u32_e32 v23, 32, v23
	v_lshrrev_b16_e32 v22, 3, v21
	v_subrev_u32_e32 v24, 28, v23
	v_and_b32_e32 v22, 15, v22
	v_lshlrev_b32_e32 v21, v24, v21
	v_sub_u32_e32 v23, 29, v23
	v_and_b32_e32 v21, 7, v21
	v_cmp_eq_u16_e32 vcc, 0, v22
	v_cndmask_b32_e32 v20, v20, v21, vcc
	v_cndmask_b32_e32 v21, v22, v23, vcc
	v_lshlrev_b32_e32 v22, 16, v14
	v_mov_b32_e32 v23, 0x3b800000
	v_lshlrev_b32_e32 v20, 20, v20
	v_and_b32_e32 v22, 0x80000000, v22
	v_lshl_add_u32 v21, v21, 23, v23
	v_or3_b32 v20, v22, v21, v20
.LBB3_12:
	s_or_b64 exec, exec, s[6:7]
	v_lshrrev_b32_e32 v21, 8, v10
	s_movk_i32 s4, 0x7f
	v_cmp_gt_i16_sdwa s[6:7], v21, s4 src0_sel:BYTE_0 src1_sel:DWORD
	s_mov_b64 s[4:5], 0
                                        ; implicit-def: $sgpr10
	s_and_saveexec_b64 s[8:9], s[6:7]
	s_xor_b64 s[6:7], exec, s[8:9]
	s_cbranch_execnz .LBB3_2061
; %bb.13:
	s_or_saveexec_b64 s[6:7], s[6:7]
	v_mov_b32_e32 v22, s10
	s_xor_b64 exec, exec, s[6:7]
	s_cbranch_execnz .LBB3_2064
.LBB3_14:
	s_or_b64 exec, exec, s[6:7]
	s_and_saveexec_b64 s[6:7], s[4:5]
	s_cbranch_execz .LBB3_16
.LBB3_15:
	v_bfe_u32 v22, v10, 8, 3
	v_ffbh_u32_e32 v24, v22
	v_min_u32_e32 v24, 32, v24
	v_lshrrev_b16_e32 v23, 3, v21
	v_subrev_u32_e32 v25, 28, v24
	v_and_b32_e32 v23, 15, v23
	v_lshlrev_b32_e32 v21, v25, v21
	v_sub_u32_e32 v24, 29, v24
	v_and_b32_e32 v21, 7, v21
	v_cmp_eq_u16_e32 vcc, 0, v23
	v_cndmask_b32_e32 v21, v22, v21, vcc
	v_cndmask_b32_e32 v22, v23, v24, vcc
	v_lshlrev_b32_e32 v23, 16, v10
	v_mov_b32_e32 v24, 0x3b800000
	v_lshlrev_b32_e32 v21, 20, v21
	v_and_b32_e32 v23, 0x80000000, v23
	v_lshl_add_u32 v22, v22, 23, v24
	v_or3_b32 v22, v23, v22, v21
.LBB3_16:
	s_or_b64 exec, exec, s[6:7]
	s_nop 0
	v_mfma_f32_16x16x4f32 a[0:3], v20, v22, a[0:3]
	s_movk_i32 s4, 0xff
	v_and_b32_sdwa v21, v14, s4 dst_sel:DWORD dst_unused:UNUSED_PAD src0_sel:WORD_1 src1_sel:DWORD
	s_movk_i32 s4, 0x7f
	v_cmp_lt_i16_e32 vcc, s4, v21
	s_mov_b64 s[4:5], 0
                                        ; implicit-def: $sgpr10
	s_and_saveexec_b64 s[6:7], vcc
	s_xor_b64 s[6:7], exec, s[6:7]
	s_cbranch_execnz .LBB3_2065
; %bb.17:
	s_or_saveexec_b64 s[6:7], s[6:7]
	v_mov_b32_e32 v20, s10
	s_xor_b64 exec, exec, s[6:7]
	s_cbranch_execnz .LBB3_2068
.LBB3_18:
	s_or_b64 exec, exec, s[6:7]
	s_and_saveexec_b64 s[6:7], s[4:5]
	s_cbranch_execz .LBB3_20
.LBB3_19:
	v_bfe_u32 v20, v14, 16, 3
	v_ffbh_u32_e32 v23, v20
	v_min_u32_e32 v23, 32, v23
	v_lshrrev_b32_e32 v21, 19, v14
	v_subrev_u32_e32 v24, 28, v23
	v_and_b32_e32 v21, 15, v21
	v_lshlrev_b32_sdwa v24, v24, v14 dst_sel:DWORD dst_unused:UNUSED_PAD src0_sel:DWORD src1_sel:WORD_1
	v_bfe_u32 v22, v14, 19, 4
	v_sub_u32_e32 v23, 29, v23
	v_and_b32_e32 v24, 7, v24
	v_cmp_eq_u16_e32 vcc, 0, v21
	v_cndmask_b32_e32 v20, v20, v24, vcc
	v_cndmask_b32_e32 v21, v22, v23, vcc
	v_lshlrev_b32_e32 v22, 8, v14
	v_mov_b32_e32 v23, 0x3b800000
	v_lshlrev_b32_e32 v20, 20, v20
	v_and_b32_e32 v22, 0x80000000, v22
	v_lshl_add_u32 v21, v21, 23, v23
	v_or3_b32 v20, v22, v21, v20
.LBB3_20:
	s_or_b64 exec, exec, s[6:7]
	s_movk_i32 s4, 0xff
	v_and_b32_sdwa v21, v10, s4 dst_sel:DWORD dst_unused:UNUSED_PAD src0_sel:WORD_1 src1_sel:DWORD
	s_movk_i32 s4, 0x7f
	v_cmp_lt_i16_e32 vcc, s4, v21
	s_mov_b64 s[4:5], 0
                                        ; implicit-def: $sgpr10
	s_and_saveexec_b64 s[6:7], vcc
	s_xor_b64 s[6:7], exec, s[6:7]
	s_cbranch_execnz .LBB3_2069
; %bb.21:
	s_or_saveexec_b64 s[6:7], s[6:7]
	v_mov_b32_e32 v22, s10
	s_xor_b64 exec, exec, s[6:7]
	s_cbranch_execnz .LBB3_2072
.LBB3_22:
	s_or_b64 exec, exec, s[6:7]
	s_and_saveexec_b64 s[6:7], s[4:5]
	s_cbranch_execz .LBB3_24
.LBB3_23:
	v_bfe_u32 v21, v10, 16, 3
	v_ffbh_u32_e32 v24, v21
	v_min_u32_e32 v24, 32, v24
	v_lshrrev_b32_e32 v22, 19, v10
	v_subrev_u32_e32 v25, 28, v24
	v_and_b32_e32 v22, 15, v22
	v_lshlrev_b32_sdwa v25, v25, v10 dst_sel:DWORD dst_unused:UNUSED_PAD src0_sel:DWORD src1_sel:WORD_1
	v_bfe_u32 v23, v10, 19, 4
	v_sub_u32_e32 v24, 29, v24
	v_and_b32_e32 v25, 7, v25
	v_cmp_eq_u16_e32 vcc, 0, v22
	v_cndmask_b32_e32 v21, v21, v25, vcc
	v_cndmask_b32_e32 v22, v23, v24, vcc
	v_lshlrev_b32_e32 v23, 8, v10
	v_mov_b32_e32 v24, 0x3b800000
	v_lshlrev_b32_e32 v21, 20, v21
	v_and_b32_e32 v23, 0x80000000, v23
	v_lshl_add_u32 v22, v22, 23, v24
	v_or3_b32 v22, v23, v22, v21
.LBB3_24:
	s_or_b64 exec, exec, s[6:7]
	s_nop 0
	v_mfma_f32_16x16x4f32 a[0:3], v20, v22, a[0:3]
	s_movk_i32 s4, 0x7f
	v_cmp_gt_i16_sdwa s[6:7], v14, s4 src0_sel:BYTE_3 src1_sel:DWORD
	s_mov_b64 s[4:5], 0
                                        ; implicit-def: $sgpr10
	s_and_saveexec_b64 s[8:9], s[6:7]
	s_xor_b64 s[6:7], exec, s[8:9]
	s_cbranch_execnz .LBB3_2073
; %bb.25:
	s_or_saveexec_b64 s[6:7], s[6:7]
	v_mov_b32_e32 v20, s10
	s_xor_b64 exec, exec, s[6:7]
	s_cbranch_execnz .LBB3_2076
.LBB3_26:
	s_or_b64 exec, exec, s[6:7]
	s_and_saveexec_b64 s[6:7], s[4:5]
	s_cbranch_execz .LBB3_28
.LBB3_27:
	v_bfe_u32 v20, v14, 24, 3
	v_ffbh_u32_e32 v24, v20
	v_min_u32_e32 v24, 32, v24
	v_lshrrev_b32_e32 v22, 27, v14
	v_subrev_u32_e32 v25, 28, v24
	v_and_b32_e32 v21, 0x80000000, v14
	v_and_b32_e32 v22, 15, v22
	v_bfe_u32 v23, v14, 27, 4
	v_lshlrev_b32_sdwa v14, v25, v14 dst_sel:DWORD dst_unused:UNUSED_PAD src0_sel:DWORD src1_sel:BYTE_3
	v_sub_u32_e32 v24, 29, v24
	v_and_b32_e32 v14, 7, v14
	v_cmp_eq_u16_e32 vcc, 0, v22
	v_cndmask_b32_e32 v14, v20, v14, vcc
	v_cndmask_b32_e32 v20, v23, v24, vcc
	v_mov_b32_e32 v22, 0x3b800000
	v_lshlrev_b32_e32 v14, 20, v14
	v_lshl_add_u32 v20, v20, 23, v22
	v_or3_b32 v20, v21, v20, v14
.LBB3_28:
	s_or_b64 exec, exec, s[6:7]
	s_movk_i32 s4, 0x7f
	v_cmp_gt_i16_sdwa s[6:7], v10, s4 src0_sel:BYTE_3 src1_sel:DWORD
	s_mov_b64 s[4:5], 0
                                        ; implicit-def: $sgpr10
	s_and_saveexec_b64 s[8:9], s[6:7]
	s_xor_b64 s[6:7], exec, s[8:9]
	s_cbranch_execnz .LBB3_2077
; %bb.29:
	s_or_saveexec_b64 s[6:7], s[6:7]
	v_mov_b32_e32 v14, s10
	s_xor_b64 exec, exec, s[6:7]
	s_cbranch_execnz .LBB3_2080
.LBB3_30:
	s_or_b64 exec, exec, s[6:7]
	s_and_saveexec_b64 s[6:7], s[4:5]
	s_cbranch_execz .LBB3_32
.LBB3_31:
	v_bfe_u32 v14, v10, 24, 3
	v_ffbh_u32_e32 v24, v14
	v_min_u32_e32 v24, 32, v24
	v_lshrrev_b32_e32 v22, 27, v10
	v_subrev_u32_e32 v25, 28, v24
	v_and_b32_e32 v21, 0x80000000, v10
	v_and_b32_e32 v22, 15, v22
	v_bfe_u32 v23, v10, 27, 4
	v_lshlrev_b32_sdwa v10, v25, v10 dst_sel:DWORD dst_unused:UNUSED_PAD src0_sel:DWORD src1_sel:BYTE_3
	v_sub_u32_e32 v24, 29, v24
	v_and_b32_e32 v10, 7, v10
	v_cmp_eq_u16_e32 vcc, 0, v22
	v_cndmask_b32_e32 v10, v14, v10, vcc
	v_cndmask_b32_e32 v14, v23, v24, vcc
	v_mov_b32_e32 v22, 0x3b800000
	v_lshlrev_b32_e32 v10, 20, v10
	v_lshl_add_u32 v14, v14, 23, v22
	v_or3_b32 v14, v21, v14, v10
.LBB3_32:
	s_or_b64 exec, exec, s[6:7]
	s_nop 0
	v_mfma_f32_16x16x4f32 a[0:3], v20, v14, a[0:3]
	s_movk_i32 s4, 0x7f
	v_cmp_gt_i16_sdwa s[6:7], v15, s4 src0_sel:BYTE_0 src1_sel:DWORD
	s_mov_b64 s[4:5], 0
                                        ; implicit-def: $sgpr10
	s_and_saveexec_b64 s[8:9], s[6:7]
	s_xor_b64 s[6:7], exec, s[8:9]
	s_cbranch_execnz .LBB3_2081
; %bb.33:
	s_or_saveexec_b64 s[6:7], s[6:7]
	v_mov_b32_e32 v10, s10
	s_xor_b64 exec, exec, s[6:7]
	s_cbranch_execnz .LBB3_2084
.LBB3_34:
	s_or_b64 exec, exec, s[6:7]
	s_and_saveexec_b64 s[6:7], s[4:5]
	s_cbranch_execz .LBB3_36
.LBB3_35:
	v_and_b32_e32 v10, 7, v15
	v_ffbh_u32_e32 v20, v10
	v_min_u32_e32 v20, 32, v20
	v_lshrrev_b16_e32 v14, 3, v15
	v_subrev_u32_e32 v21, 28, v20
	v_and_b32_e32 v14, 15, v14
	v_lshlrev_b32_e32 v21, v21, v15
	v_sub_u32_e32 v20, 29, v20
	v_and_b32_e32 v21, 7, v21
	v_cmp_eq_u16_e32 vcc, 0, v14
	v_cndmask_b32_e32 v10, v10, v21, vcc
	v_cndmask_b32_e32 v14, v14, v20, vcc
	v_lshlrev_b32_e32 v20, 24, v15
	v_mov_b32_e32 v21, 0x3b800000
	v_lshlrev_b32_e32 v10, 20, v10
	v_and_b32_e32 v20, 0x80000000, v20
	v_lshl_add_u32 v14, v14, 23, v21
	v_or3_b32 v10, v20, v14, v10
.LBB3_36:
	s_or_b64 exec, exec, s[6:7]
	s_movk_i32 s4, 0x7f
	v_cmp_gt_i16_sdwa s[6:7], v11, s4 src0_sel:BYTE_0 src1_sel:DWORD
	s_mov_b64 s[4:5], 0
                                        ; implicit-def: $sgpr10
	s_and_saveexec_b64 s[8:9], s[6:7]
	s_xor_b64 s[6:7], exec, s[8:9]
	s_cbranch_execnz .LBB3_2085
; %bb.37:
	s_or_saveexec_b64 s[6:7], s[6:7]
	v_mov_b32_e32 v14, s10
	s_xor_b64 exec, exec, s[6:7]
	s_cbranch_execnz .LBB3_2088
.LBB3_38:
	s_or_b64 exec, exec, s[6:7]
	s_and_saveexec_b64 s[6:7], s[4:5]
	s_cbranch_execz .LBB3_40
.LBB3_39:
	v_and_b32_e32 v14, 7, v11
	v_ffbh_u32_e32 v21, v14
	v_min_u32_e32 v21, 32, v21
	v_lshrrev_b16_e32 v20, 3, v11
	v_subrev_u32_e32 v22, 28, v21
	v_and_b32_e32 v20, 15, v20
	v_lshlrev_b32_e32 v22, v22, v11
	v_sub_u32_e32 v21, 29, v21
	v_and_b32_e32 v22, 7, v22
	v_cmp_eq_u16_e32 vcc, 0, v20
	v_cndmask_b32_e32 v14, v14, v22, vcc
	v_cndmask_b32_e32 v20, v20, v21, vcc
	v_lshlrev_b32_e32 v21, 24, v11
	v_mov_b32_e32 v22, 0x3b800000
	v_lshlrev_b32_e32 v14, 20, v14
	v_and_b32_e32 v21, 0x80000000, v21
	v_lshl_add_u32 v20, v20, 23, v22
	v_or3_b32 v14, v21, v20, v14
.LBB3_40:
	s_or_b64 exec, exec, s[6:7]
	s_nop 0
	v_mfma_f32_16x16x4f32 a[0:3], v10, v14, a[0:3]
	v_lshrrev_b32_e32 v14, 8, v15
	s_movk_i32 s4, 0x7f
	v_cmp_gt_i16_sdwa s[6:7], v14, s4 src0_sel:BYTE_0 src1_sel:DWORD
	s_mov_b64 s[4:5], 0
                                        ; implicit-def: $sgpr10
	s_and_saveexec_b64 s[8:9], s[6:7]
	s_xor_b64 s[6:7], exec, s[8:9]
	s_cbranch_execnz .LBB3_2089
; %bb.41:
	s_or_saveexec_b64 s[6:7], s[6:7]
	v_mov_b32_e32 v10, s10
	s_xor_b64 exec, exec, s[6:7]
	s_cbranch_execnz .LBB3_2092
.LBB3_42:
	s_or_b64 exec, exec, s[6:7]
	s_and_saveexec_b64 s[6:7], s[4:5]
	s_cbranch_execz .LBB3_44
.LBB3_43:
	v_bfe_u32 v10, v15, 8, 3
	v_ffbh_u32_e32 v21, v10
	v_min_u32_e32 v21, 32, v21
	v_lshrrev_b16_e32 v20, 3, v14
	v_subrev_u32_e32 v22, 28, v21
	v_and_b32_e32 v20, 15, v20
	v_lshlrev_b32_e32 v14, v22, v14
	v_sub_u32_e32 v21, 29, v21
	v_and_b32_e32 v14, 7, v14
	v_cmp_eq_u16_e32 vcc, 0, v20
	v_cndmask_b32_e32 v10, v10, v14, vcc
	v_cndmask_b32_e32 v14, v20, v21, vcc
	v_lshlrev_b32_e32 v20, 16, v15
	v_mov_b32_e32 v21, 0x3b800000
	v_lshlrev_b32_e32 v10, 20, v10
	v_and_b32_e32 v20, 0x80000000, v20
	v_lshl_add_u32 v14, v14, 23, v21
	v_or3_b32 v10, v20, v14, v10
.LBB3_44:
	s_or_b64 exec, exec, s[6:7]
	v_lshrrev_b32_e32 v14, 8, v11
	s_movk_i32 s4, 0x7f
	v_cmp_gt_i16_sdwa s[6:7], v14, s4 src0_sel:BYTE_0 src1_sel:DWORD
	s_mov_b64 s[4:5], 0
                                        ; implicit-def: $sgpr10
	s_and_saveexec_b64 s[8:9], s[6:7]
	s_xor_b64 s[6:7], exec, s[8:9]
	s_cbranch_execnz .LBB3_2093
; %bb.45:
	s_or_saveexec_b64 s[6:7], s[6:7]
	v_mov_b32_e32 v20, s10
	s_xor_b64 exec, exec, s[6:7]
	s_cbranch_execnz .LBB3_2096
.LBB3_46:
	s_or_b64 exec, exec, s[6:7]
	s_and_saveexec_b64 s[6:7], s[4:5]
	s_cbranch_execz .LBB3_48
.LBB3_47:
	v_bfe_u32 v20, v11, 8, 3
	v_ffbh_u32_e32 v22, v20
	v_min_u32_e32 v22, 32, v22
	v_lshrrev_b16_e32 v21, 3, v14
	v_subrev_u32_e32 v23, 28, v22
	v_and_b32_e32 v21, 15, v21
	v_lshlrev_b32_e32 v14, v23, v14
	v_sub_u32_e32 v22, 29, v22
	v_and_b32_e32 v14, 7, v14
	v_cmp_eq_u16_e32 vcc, 0, v21
	v_cndmask_b32_e32 v14, v20, v14, vcc
	v_cndmask_b32_e32 v20, v21, v22, vcc
	v_lshlrev_b32_e32 v21, 16, v11
	v_mov_b32_e32 v22, 0x3b800000
	v_lshlrev_b32_e32 v14, 20, v14
	v_and_b32_e32 v21, 0x80000000, v21
	v_lshl_add_u32 v20, v20, 23, v22
	v_or3_b32 v20, v21, v20, v14
.LBB3_48:
	s_or_b64 exec, exec, s[6:7]
	s_nop 0
	v_mfma_f32_16x16x4f32 a[0:3], v10, v20, a[0:3]
	s_movk_i32 s4, 0xff
	v_and_b32_sdwa v14, v15, s4 dst_sel:DWORD dst_unused:UNUSED_PAD src0_sel:WORD_1 src1_sel:DWORD
	s_movk_i32 s4, 0x7f
	v_cmp_lt_i16_e32 vcc, s4, v14
	s_mov_b64 s[4:5], 0
                                        ; implicit-def: $sgpr10
	s_and_saveexec_b64 s[6:7], vcc
	s_xor_b64 s[6:7], exec, s[6:7]
	s_cbranch_execnz .LBB3_2097
; %bb.49:
	s_or_saveexec_b64 s[6:7], s[6:7]
	v_mov_b32_e32 v10, s10
	s_xor_b64 exec, exec, s[6:7]
	s_cbranch_execnz .LBB3_2100
.LBB3_50:
	s_or_b64 exec, exec, s[6:7]
	s_and_saveexec_b64 s[6:7], s[4:5]
	s_cbranch_execz .LBB3_52
.LBB3_51:
	v_bfe_u32 v10, v15, 16, 3
	v_ffbh_u32_e32 v21, v10
	v_min_u32_e32 v21, 32, v21
	v_lshrrev_b32_e32 v14, 19, v15
	v_subrev_u32_e32 v22, 28, v21
	v_and_b32_e32 v14, 15, v14
	v_lshlrev_b32_sdwa v22, v22, v15 dst_sel:DWORD dst_unused:UNUSED_PAD src0_sel:DWORD src1_sel:WORD_1
	v_bfe_u32 v20, v15, 19, 4
	v_sub_u32_e32 v21, 29, v21
	v_and_b32_e32 v22, 7, v22
	v_cmp_eq_u16_e32 vcc, 0, v14
	v_cndmask_b32_e32 v10, v10, v22, vcc
	v_cndmask_b32_e32 v14, v20, v21, vcc
	v_lshlrev_b32_e32 v20, 8, v15
	v_mov_b32_e32 v21, 0x3b800000
	v_lshlrev_b32_e32 v10, 20, v10
	v_and_b32_e32 v20, 0x80000000, v20
	v_lshl_add_u32 v14, v14, 23, v21
	v_or3_b32 v10, v20, v14, v10
.LBB3_52:
	s_or_b64 exec, exec, s[6:7]
	s_movk_i32 s4, 0xff
	v_and_b32_sdwa v14, v11, s4 dst_sel:DWORD dst_unused:UNUSED_PAD src0_sel:WORD_1 src1_sel:DWORD
	s_movk_i32 s4, 0x7f
	v_cmp_lt_i16_e32 vcc, s4, v14
	s_mov_b64 s[4:5], 0
                                        ; implicit-def: $sgpr10
	s_and_saveexec_b64 s[6:7], vcc
	s_xor_b64 s[6:7], exec, s[6:7]
	s_cbranch_execnz .LBB3_2101
; %bb.53:
	s_or_saveexec_b64 s[6:7], s[6:7]
	v_mov_b32_e32 v20, s10
	s_xor_b64 exec, exec, s[6:7]
	s_cbranch_execnz .LBB3_2104
.LBB3_54:
	s_or_b64 exec, exec, s[6:7]
	s_and_saveexec_b64 s[6:7], s[4:5]
	s_cbranch_execz .LBB3_56
.LBB3_55:
	v_bfe_u32 v14, v11, 16, 3
	v_ffbh_u32_e32 v22, v14
	v_min_u32_e32 v22, 32, v22
	v_lshrrev_b32_e32 v20, 19, v11
	v_subrev_u32_e32 v23, 28, v22
	v_and_b32_e32 v20, 15, v20
	v_lshlrev_b32_sdwa v23, v23, v11 dst_sel:DWORD dst_unused:UNUSED_PAD src0_sel:DWORD src1_sel:WORD_1
	v_bfe_u32 v21, v11, 19, 4
	v_sub_u32_e32 v22, 29, v22
	v_and_b32_e32 v23, 7, v23
	v_cmp_eq_u16_e32 vcc, 0, v20
	v_cndmask_b32_e32 v14, v14, v23, vcc
	v_cndmask_b32_e32 v20, v21, v22, vcc
	v_lshlrev_b32_e32 v21, 8, v11
	v_mov_b32_e32 v22, 0x3b800000
	v_lshlrev_b32_e32 v14, 20, v14
	v_and_b32_e32 v21, 0x80000000, v21
	v_lshl_add_u32 v20, v20, 23, v22
	v_or3_b32 v20, v21, v20, v14
.LBB3_56:
	s_or_b64 exec, exec, s[6:7]
	s_nop 0
	v_mfma_f32_16x16x4f32 a[0:3], v10, v20, a[0:3]
	s_movk_i32 s4, 0x7f
	v_cmp_gt_i16_sdwa s[6:7], v15, s4 src0_sel:BYTE_3 src1_sel:DWORD
	s_mov_b64 s[4:5], 0
                                        ; implicit-def: $sgpr10
	s_and_saveexec_b64 s[8:9], s[6:7]
	s_xor_b64 s[6:7], exec, s[8:9]
	s_cbranch_execnz .LBB3_2105
; %bb.57:
	s_or_saveexec_b64 s[6:7], s[6:7]
	v_mov_b32_e32 v10, s10
	s_xor_b64 exec, exec, s[6:7]
	s_cbranch_execnz .LBB3_2108
.LBB3_58:
	s_or_b64 exec, exec, s[6:7]
	s_and_saveexec_b64 s[6:7], s[4:5]
	s_cbranch_execz .LBB3_60
.LBB3_59:
	v_bfe_u32 v10, v15, 24, 3
	v_ffbh_u32_e32 v22, v10
	v_min_u32_e32 v22, 32, v22
	v_lshrrev_b32_e32 v20, 27, v15
	v_subrev_u32_e32 v23, 28, v22
	v_and_b32_e32 v14, 0x80000000, v15
	v_and_b32_e32 v20, 15, v20
	v_bfe_u32 v21, v15, 27, 4
	v_lshlrev_b32_sdwa v15, v23, v15 dst_sel:DWORD dst_unused:UNUSED_PAD src0_sel:DWORD src1_sel:BYTE_3
	v_sub_u32_e32 v22, 29, v22
	v_and_b32_e32 v15, 7, v15
	v_cmp_eq_u16_e32 vcc, 0, v20
	v_cndmask_b32_e32 v10, v10, v15, vcc
	v_cndmask_b32_e32 v15, v21, v22, vcc
	v_mov_b32_e32 v20, 0x3b800000
	v_lshlrev_b32_e32 v10, 20, v10
	v_lshl_add_u32 v15, v15, 23, v20
	v_or3_b32 v10, v14, v15, v10
.LBB3_60:
	s_or_b64 exec, exec, s[6:7]
	s_movk_i32 s4, 0x7f
	v_cmp_gt_i16_sdwa s[6:7], v11, s4 src0_sel:BYTE_3 src1_sel:DWORD
	s_mov_b64 s[4:5], 0
                                        ; implicit-def: $sgpr10
	s_and_saveexec_b64 s[8:9], s[6:7]
	s_xor_b64 s[6:7], exec, s[8:9]
	s_cbranch_execnz .LBB3_2109
; %bb.61:
	s_or_saveexec_b64 s[6:7], s[6:7]
	v_mov_b32_e32 v14, s10
	s_xor_b64 exec, exec, s[6:7]
	s_cbranch_execnz .LBB3_2112
.LBB3_62:
	s_or_b64 exec, exec, s[6:7]
	s_and_saveexec_b64 s[6:7], s[4:5]
	s_cbranch_execz .LBB3_64
.LBB3_63:
	v_bfe_u32 v14, v11, 24, 3
	v_ffbh_u32_e32 v22, v14
	v_min_u32_e32 v22, 32, v22
	v_lshrrev_b32_e32 v20, 27, v11
	v_subrev_u32_e32 v23, 28, v22
	v_and_b32_e32 v15, 0x80000000, v11
	v_and_b32_e32 v20, 15, v20
	v_bfe_u32 v21, v11, 27, 4
	v_lshlrev_b32_sdwa v11, v23, v11 dst_sel:DWORD dst_unused:UNUSED_PAD src0_sel:DWORD src1_sel:BYTE_3
	v_sub_u32_e32 v22, 29, v22
	v_and_b32_e32 v11, 7, v11
	v_cmp_eq_u16_e32 vcc, 0, v20
	v_cndmask_b32_e32 v11, v14, v11, vcc
	v_cndmask_b32_e32 v14, v21, v22, vcc
	v_mov_b32_e32 v20, 0x3b800000
	v_lshlrev_b32_e32 v11, 20, v11
	v_lshl_add_u32 v14, v14, 23, v20
	v_or3_b32 v14, v15, v14, v11
.LBB3_64:
	s_or_b64 exec, exec, s[6:7]
	s_nop 0
	v_mfma_f32_16x16x4f32 a[0:3], v10, v14, a[0:3]
	s_movk_i32 s4, 0x7f
	v_cmp_gt_i16_sdwa s[6:7], v16, s4 src0_sel:BYTE_0 src1_sel:DWORD
	s_mov_b64 s[4:5], 0
                                        ; implicit-def: $sgpr10
	s_and_saveexec_b64 s[8:9], s[6:7]
	s_xor_b64 s[6:7], exec, s[8:9]
	s_cbranch_execnz .LBB3_2113
; %bb.65:
	s_or_saveexec_b64 s[6:7], s[6:7]
	v_mov_b32_e32 v10, s10
	s_xor_b64 exec, exec, s[6:7]
	s_cbranch_execnz .LBB3_2116
.LBB3_66:
	s_or_b64 exec, exec, s[6:7]
	s_and_saveexec_b64 s[6:7], s[4:5]
	s_cbranch_execz .LBB3_68
.LBB3_67:
	v_and_b32_e32 v10, 7, v16
	v_ffbh_u32_e32 v14, v10
	v_min_u32_e32 v14, 32, v14
	v_lshrrev_b16_e32 v11, 3, v16
	v_subrev_u32_e32 v15, 28, v14
	v_and_b32_e32 v11, 15, v11
	v_lshlrev_b32_e32 v15, v15, v16
	v_sub_u32_e32 v14, 29, v14
	v_and_b32_e32 v15, 7, v15
	v_cmp_eq_u16_e32 vcc, 0, v11
	v_cndmask_b32_e32 v10, v10, v15, vcc
	v_cndmask_b32_e32 v11, v11, v14, vcc
	v_lshlrev_b32_e32 v14, 24, v16
	v_mov_b32_e32 v15, 0x3b800000
	v_lshlrev_b32_e32 v10, 20, v10
	v_and_b32_e32 v14, 0x80000000, v14
	v_lshl_add_u32 v11, v11, 23, v15
	v_or3_b32 v10, v14, v11, v10
.LBB3_68:
	s_or_b64 exec, exec, s[6:7]
	s_movk_i32 s4, 0x7f
	v_cmp_gt_i16_sdwa s[6:7], v12, s4 src0_sel:BYTE_0 src1_sel:DWORD
	s_mov_b64 s[4:5], 0
                                        ; implicit-def: $sgpr10
	s_and_saveexec_b64 s[8:9], s[6:7]
	s_xor_b64 s[6:7], exec, s[8:9]
	s_cbranch_execnz .LBB3_2117
; %bb.69:
	s_or_saveexec_b64 s[6:7], s[6:7]
	v_mov_b32_e32 v11, s10
	s_xor_b64 exec, exec, s[6:7]
	s_cbranch_execnz .LBB3_2120
.LBB3_70:
	s_or_b64 exec, exec, s[6:7]
	s_and_saveexec_b64 s[6:7], s[4:5]
	s_cbranch_execz .LBB3_72
.LBB3_71:
	v_and_b32_e32 v11, 7, v12
	v_ffbh_u32_e32 v15, v11
	v_min_u32_e32 v15, 32, v15
	v_lshrrev_b16_e32 v14, 3, v12
	v_subrev_u32_e32 v20, 28, v15
	v_and_b32_e32 v14, 15, v14
	v_lshlrev_b32_e32 v20, v20, v12
	v_sub_u32_e32 v15, 29, v15
	v_and_b32_e32 v20, 7, v20
	v_cmp_eq_u16_e32 vcc, 0, v14
	v_cndmask_b32_e32 v11, v11, v20, vcc
	v_cndmask_b32_e32 v14, v14, v15, vcc
	v_lshlrev_b32_e32 v15, 24, v12
	v_mov_b32_e32 v20, 0x3b800000
	v_lshlrev_b32_e32 v11, 20, v11
	v_and_b32_e32 v15, 0x80000000, v15
	v_lshl_add_u32 v14, v14, 23, v20
	v_or3_b32 v11, v15, v14, v11
.LBB3_72:
	s_or_b64 exec, exec, s[6:7]
	s_nop 0
	v_mfma_f32_16x16x4f32 a[0:3], v10, v11, a[0:3]
	v_lshrrev_b32_e32 v11, 8, v16
	s_movk_i32 s4, 0x7f
	v_cmp_gt_i16_sdwa s[6:7], v11, s4 src0_sel:BYTE_0 src1_sel:DWORD
	s_mov_b64 s[4:5], 0
                                        ; implicit-def: $sgpr10
	s_and_saveexec_b64 s[8:9], s[6:7]
	s_xor_b64 s[6:7], exec, s[8:9]
	s_cbranch_execnz .LBB3_2121
; %bb.73:
	s_or_saveexec_b64 s[6:7], s[6:7]
	v_mov_b32_e32 v10, s10
	s_xor_b64 exec, exec, s[6:7]
	s_cbranch_execnz .LBB3_2124
.LBB3_74:
	s_or_b64 exec, exec, s[6:7]
	s_and_saveexec_b64 s[6:7], s[4:5]
	s_cbranch_execz .LBB3_76
.LBB3_75:
	v_bfe_u32 v10, v16, 8, 3
	v_ffbh_u32_e32 v15, v10
	v_min_u32_e32 v15, 32, v15
	v_lshrrev_b16_e32 v14, 3, v11
	v_subrev_u32_e32 v20, 28, v15
	v_and_b32_e32 v14, 15, v14
	v_lshlrev_b32_e32 v11, v20, v11
	v_sub_u32_e32 v15, 29, v15
	v_and_b32_e32 v11, 7, v11
	v_cmp_eq_u16_e32 vcc, 0, v14
	v_cndmask_b32_e32 v10, v10, v11, vcc
	v_cndmask_b32_e32 v11, v14, v15, vcc
	v_lshlrev_b32_e32 v14, 16, v16
	v_mov_b32_e32 v15, 0x3b800000
	v_lshlrev_b32_e32 v10, 20, v10
	v_and_b32_e32 v14, 0x80000000, v14
	v_lshl_add_u32 v11, v11, 23, v15
	v_or3_b32 v10, v14, v11, v10
.LBB3_76:
	s_or_b64 exec, exec, s[6:7]
	v_lshrrev_b32_e32 v11, 8, v12
	s_movk_i32 s4, 0x7f
	v_cmp_gt_i16_sdwa s[6:7], v11, s4 src0_sel:BYTE_0 src1_sel:DWORD
	s_mov_b64 s[4:5], 0
                                        ; implicit-def: $sgpr10
	s_and_saveexec_b64 s[8:9], s[6:7]
	s_xor_b64 s[6:7], exec, s[8:9]
	s_cbranch_execnz .LBB3_2125
; %bb.77:
	s_or_saveexec_b64 s[6:7], s[6:7]
	v_mov_b32_e32 v14, s10
	s_xor_b64 exec, exec, s[6:7]
	s_cbranch_execnz .LBB3_2128
.LBB3_78:
	s_or_b64 exec, exec, s[6:7]
	s_and_saveexec_b64 s[6:7], s[4:5]
	s_cbranch_execz .LBB3_80
.LBB3_79:
	v_bfe_u32 v14, v12, 8, 3
	v_ffbh_u32_e32 v20, v14
	v_min_u32_e32 v20, 32, v20
	v_lshrrev_b16_e32 v15, 3, v11
	v_subrev_u32_e32 v21, 28, v20
	v_and_b32_e32 v15, 15, v15
	v_lshlrev_b32_e32 v11, v21, v11
	v_sub_u32_e32 v20, 29, v20
	v_and_b32_e32 v11, 7, v11
	v_cmp_eq_u16_e32 vcc, 0, v15
	v_cndmask_b32_e32 v11, v14, v11, vcc
	v_cndmask_b32_e32 v14, v15, v20, vcc
	v_lshlrev_b32_e32 v15, 16, v12
	v_mov_b32_e32 v20, 0x3b800000
	v_lshlrev_b32_e32 v11, 20, v11
	v_and_b32_e32 v15, 0x80000000, v15
	v_lshl_add_u32 v14, v14, 23, v20
	v_or3_b32 v14, v15, v14, v11
.LBB3_80:
	s_or_b64 exec, exec, s[6:7]
	s_nop 0
	v_mfma_f32_16x16x4f32 a[0:3], v10, v14, a[0:3]
	s_movk_i32 s4, 0xff
	v_and_b32_sdwa v11, v16, s4 dst_sel:DWORD dst_unused:UNUSED_PAD src0_sel:WORD_1 src1_sel:DWORD
	s_movk_i32 s4, 0x7f
	v_cmp_lt_i16_e32 vcc, s4, v11
	s_mov_b64 s[4:5], 0
                                        ; implicit-def: $sgpr10
	s_and_saveexec_b64 s[6:7], vcc
	s_xor_b64 s[6:7], exec, s[6:7]
	s_cbranch_execnz .LBB3_2129
; %bb.81:
	s_or_saveexec_b64 s[6:7], s[6:7]
	v_mov_b32_e32 v10, s10
	s_xor_b64 exec, exec, s[6:7]
	s_cbranch_execnz .LBB3_2132
.LBB3_82:
	s_or_b64 exec, exec, s[6:7]
	s_and_saveexec_b64 s[6:7], s[4:5]
	s_cbranch_execz .LBB3_84
.LBB3_83:
	v_bfe_u32 v10, v16, 16, 3
	v_ffbh_u32_e32 v15, v10
	v_min_u32_e32 v15, 32, v15
	v_lshrrev_b32_e32 v11, 19, v16
	v_subrev_u32_e32 v20, 28, v15
	v_and_b32_e32 v11, 15, v11
	v_lshlrev_b32_sdwa v20, v20, v16 dst_sel:DWORD dst_unused:UNUSED_PAD src0_sel:DWORD src1_sel:WORD_1
	v_bfe_u32 v14, v16, 19, 4
	v_sub_u32_e32 v15, 29, v15
	v_and_b32_e32 v20, 7, v20
	v_cmp_eq_u16_e32 vcc, 0, v11
	v_cndmask_b32_e32 v10, v10, v20, vcc
	v_cndmask_b32_e32 v11, v14, v15, vcc
	v_lshlrev_b32_e32 v14, 8, v16
	v_mov_b32_e32 v15, 0x3b800000
	v_lshlrev_b32_e32 v10, 20, v10
	v_and_b32_e32 v14, 0x80000000, v14
	v_lshl_add_u32 v11, v11, 23, v15
	v_or3_b32 v10, v14, v11, v10
.LBB3_84:
	s_or_b64 exec, exec, s[6:7]
	s_movk_i32 s4, 0xff
	v_and_b32_sdwa v11, v12, s4 dst_sel:DWORD dst_unused:UNUSED_PAD src0_sel:WORD_1 src1_sel:DWORD
	s_movk_i32 s4, 0x7f
	v_cmp_lt_i16_e32 vcc, s4, v11
	s_mov_b64 s[4:5], 0
                                        ; implicit-def: $sgpr10
	s_and_saveexec_b64 s[6:7], vcc
	s_xor_b64 s[6:7], exec, s[6:7]
	s_cbranch_execnz .LBB3_2133
; %bb.85:
	s_or_saveexec_b64 s[6:7], s[6:7]
	v_mov_b32_e32 v14, s10
	s_xor_b64 exec, exec, s[6:7]
	s_cbranch_execnz .LBB3_2136
.LBB3_86:
	s_or_b64 exec, exec, s[6:7]
	s_and_saveexec_b64 s[6:7], s[4:5]
	s_cbranch_execz .LBB3_88
.LBB3_87:
	v_bfe_u32 v11, v12, 16, 3
	v_ffbh_u32_e32 v20, v11
	v_min_u32_e32 v20, 32, v20
	v_lshrrev_b32_e32 v14, 19, v12
	v_subrev_u32_e32 v21, 28, v20
	v_and_b32_e32 v14, 15, v14
	v_lshlrev_b32_sdwa v21, v21, v12 dst_sel:DWORD dst_unused:UNUSED_PAD src0_sel:DWORD src1_sel:WORD_1
	v_bfe_u32 v15, v12, 19, 4
	v_sub_u32_e32 v20, 29, v20
	v_and_b32_e32 v21, 7, v21
	v_cmp_eq_u16_e32 vcc, 0, v14
	v_cndmask_b32_e32 v11, v11, v21, vcc
	v_cndmask_b32_e32 v14, v15, v20, vcc
	v_lshlrev_b32_e32 v15, 8, v12
	v_mov_b32_e32 v20, 0x3b800000
	v_lshlrev_b32_e32 v11, 20, v11
	v_and_b32_e32 v15, 0x80000000, v15
	v_lshl_add_u32 v14, v14, 23, v20
	v_or3_b32 v14, v15, v14, v11
.LBB3_88:
	s_or_b64 exec, exec, s[6:7]
	s_nop 0
	v_mfma_f32_16x16x4f32 a[0:3], v10, v14, a[0:3]
	s_movk_i32 s4, 0x7f
	v_cmp_gt_i16_sdwa s[6:7], v16, s4 src0_sel:BYTE_3 src1_sel:DWORD
	s_mov_b64 s[4:5], 0
                                        ; implicit-def: $sgpr10
	s_and_saveexec_b64 s[8:9], s[6:7]
	s_xor_b64 s[6:7], exec, s[8:9]
	s_cbranch_execnz .LBB3_2137
; %bb.89:
	s_or_saveexec_b64 s[6:7], s[6:7]
	v_mov_b32_e32 v10, s10
	s_xor_b64 exec, exec, s[6:7]
	s_cbranch_execnz .LBB3_2140
.LBB3_90:
	s_or_b64 exec, exec, s[6:7]
	s_and_saveexec_b64 s[6:7], s[4:5]
	s_cbranch_execz .LBB3_92
.LBB3_91:
	v_bfe_u32 v10, v16, 24, 3
	v_ffbh_u32_e32 v20, v10
	v_min_u32_e32 v20, 32, v20
	v_lshrrev_b32_e32 v14, 27, v16
	v_subrev_u32_e32 v21, 28, v20
	v_and_b32_e32 v11, 0x80000000, v16
	v_and_b32_e32 v14, 15, v14
	v_bfe_u32 v15, v16, 27, 4
	v_lshlrev_b32_sdwa v16, v21, v16 dst_sel:DWORD dst_unused:UNUSED_PAD src0_sel:DWORD src1_sel:BYTE_3
	v_sub_u32_e32 v20, 29, v20
	v_and_b32_e32 v16, 7, v16
	v_cmp_eq_u16_e32 vcc, 0, v14
	v_cndmask_b32_e32 v10, v10, v16, vcc
	v_cndmask_b32_e32 v14, v15, v20, vcc
	v_mov_b32_e32 v15, 0x3b800000
	v_lshlrev_b32_e32 v10, 20, v10
	v_lshl_add_u32 v14, v14, 23, v15
	v_or3_b32 v10, v11, v14, v10
.LBB3_92:
	s_or_b64 exec, exec, s[6:7]
	s_movk_i32 s4, 0x7f
	v_cmp_gt_i16_sdwa s[6:7], v12, s4 src0_sel:BYTE_3 src1_sel:DWORD
	s_mov_b64 s[4:5], 0
                                        ; implicit-def: $sgpr10
	s_and_saveexec_b64 s[8:9], s[6:7]
	s_xor_b64 s[6:7], exec, s[8:9]
	s_cbranch_execnz .LBB3_2141
; %bb.93:
	s_or_saveexec_b64 s[6:7], s[6:7]
	v_mov_b32_e32 v11, s10
	s_xor_b64 exec, exec, s[6:7]
	s_cbranch_execnz .LBB3_2144
.LBB3_94:
	s_or_b64 exec, exec, s[6:7]
	s_and_saveexec_b64 s[6:7], s[4:5]
	s_cbranch_execz .LBB3_96
.LBB3_95:
	v_bfe_u32 v11, v12, 24, 3
	v_ffbh_u32_e32 v20, v11
	v_min_u32_e32 v20, 32, v20
	v_lshrrev_b32_e32 v15, 27, v12
	v_subrev_u32_e32 v21, 28, v20
	v_and_b32_e32 v14, 0x80000000, v12
	v_and_b32_e32 v15, 15, v15
	v_bfe_u32 v16, v12, 27, 4
	v_lshlrev_b32_sdwa v12, v21, v12 dst_sel:DWORD dst_unused:UNUSED_PAD src0_sel:DWORD src1_sel:BYTE_3
	v_sub_u32_e32 v20, 29, v20
	v_and_b32_e32 v12, 7, v12
	v_cmp_eq_u16_e32 vcc, 0, v15
	v_cndmask_b32_e32 v11, v11, v12, vcc
	v_cndmask_b32_e32 v12, v16, v20, vcc
	v_mov_b32_e32 v15, 0x3b800000
	v_lshlrev_b32_e32 v11, 20, v11
	v_lshl_add_u32 v12, v12, 23, v15
	v_or3_b32 v11, v14, v12, v11
.LBB3_96:
	s_or_b64 exec, exec, s[6:7]
	s_nop 0
	v_mfma_f32_16x16x4f32 a[0:3], v10, v11, a[0:3]
	s_movk_i32 s4, 0x7f
	v_cmp_gt_i16_sdwa s[6:7], v17, s4 src0_sel:BYTE_0 src1_sel:DWORD
	s_mov_b64 s[4:5], 0
                                        ; implicit-def: $sgpr10
	s_and_saveexec_b64 s[8:9], s[6:7]
	s_xor_b64 s[6:7], exec, s[8:9]
	s_cbranch_execnz .LBB3_2145
; %bb.97:
	s_or_saveexec_b64 s[6:7], s[6:7]
	v_mov_b32_e32 v10, s10
	s_xor_b64 exec, exec, s[6:7]
	s_cbranch_execnz .LBB3_2148
.LBB3_98:
	s_or_b64 exec, exec, s[6:7]
	s_and_saveexec_b64 s[6:7], s[4:5]
	s_cbranch_execz .LBB3_100
.LBB3_99:
	v_and_b32_e32 v10, 7, v17
	v_ffbh_u32_e32 v12, v10
	v_min_u32_e32 v12, 32, v12
	v_lshrrev_b16_e32 v11, 3, v17
	v_subrev_u32_e32 v14, 28, v12
	v_and_b32_e32 v11, 15, v11
	v_lshlrev_b32_e32 v14, v14, v17
	v_sub_u32_e32 v12, 29, v12
	v_and_b32_e32 v14, 7, v14
	v_cmp_eq_u16_e32 vcc, 0, v11
	v_cndmask_b32_e32 v10, v10, v14, vcc
	v_cndmask_b32_e32 v11, v11, v12, vcc
	v_lshlrev_b32_e32 v12, 24, v17
	v_mov_b32_e32 v14, 0x3b800000
	v_lshlrev_b32_e32 v10, 20, v10
	v_and_b32_e32 v12, 0x80000000, v12
	v_lshl_add_u32 v11, v11, 23, v14
	v_or3_b32 v10, v12, v11, v10
.LBB3_100:
	s_or_b64 exec, exec, s[6:7]
	s_movk_i32 s4, 0x7f
	v_cmp_gt_i16_sdwa s[6:7], v13, s4 src0_sel:BYTE_0 src1_sel:DWORD
	s_mov_b64 s[4:5], 0
                                        ; implicit-def: $sgpr10
	s_and_saveexec_b64 s[8:9], s[6:7]
	s_xor_b64 s[6:7], exec, s[8:9]
	s_cbranch_execnz .LBB3_2149
; %bb.101:
	s_or_saveexec_b64 s[6:7], s[6:7]
	v_mov_b32_e32 v11, s10
	s_xor_b64 exec, exec, s[6:7]
	s_cbranch_execnz .LBB3_2152
.LBB3_102:
	s_or_b64 exec, exec, s[6:7]
	s_and_saveexec_b64 s[6:7], s[4:5]
	s_cbranch_execz .LBB3_104
.LBB3_103:
	v_and_b32_e32 v11, 7, v13
	v_ffbh_u32_e32 v14, v11
	v_min_u32_e32 v14, 32, v14
	v_lshrrev_b16_e32 v12, 3, v13
	v_subrev_u32_e32 v15, 28, v14
	v_and_b32_e32 v12, 15, v12
	v_lshlrev_b32_e32 v15, v15, v13
	v_sub_u32_e32 v14, 29, v14
	v_and_b32_e32 v15, 7, v15
	v_cmp_eq_u16_e32 vcc, 0, v12
	v_cndmask_b32_e32 v11, v11, v15, vcc
	v_cndmask_b32_e32 v12, v12, v14, vcc
	v_lshlrev_b32_e32 v14, 24, v13
	v_mov_b32_e32 v15, 0x3b800000
	v_lshlrev_b32_e32 v11, 20, v11
	v_and_b32_e32 v14, 0x80000000, v14
	v_lshl_add_u32 v12, v12, 23, v15
	v_or3_b32 v11, v14, v12, v11
.LBB3_104:
	s_or_b64 exec, exec, s[6:7]
	s_nop 0
	v_mfma_f32_16x16x4f32 a[0:3], v10, v11, a[0:3]
	v_lshrrev_b32_e32 v11, 8, v17
	s_movk_i32 s4, 0x7f
	v_cmp_gt_i16_sdwa s[6:7], v11, s4 src0_sel:BYTE_0 src1_sel:DWORD
	s_mov_b64 s[4:5], 0
                                        ; implicit-def: $sgpr10
	s_and_saveexec_b64 s[8:9], s[6:7]
	s_xor_b64 s[6:7], exec, s[8:9]
	s_cbranch_execnz .LBB3_2153
; %bb.105:
	s_or_saveexec_b64 s[6:7], s[6:7]
	v_mov_b32_e32 v10, s10
	s_xor_b64 exec, exec, s[6:7]
	s_cbranch_execnz .LBB3_2156
.LBB3_106:
	s_or_b64 exec, exec, s[6:7]
	s_and_saveexec_b64 s[6:7], s[4:5]
	s_cbranch_execz .LBB3_108
.LBB3_107:
	v_bfe_u32 v10, v17, 8, 3
	v_ffbh_u32_e32 v14, v10
	v_min_u32_e32 v14, 32, v14
	v_lshrrev_b16_e32 v12, 3, v11
	v_subrev_u32_e32 v15, 28, v14
	v_and_b32_e32 v12, 15, v12
	v_lshlrev_b32_e32 v11, v15, v11
	v_sub_u32_e32 v14, 29, v14
	v_and_b32_e32 v11, 7, v11
	v_cmp_eq_u16_e32 vcc, 0, v12
	v_cndmask_b32_e32 v10, v10, v11, vcc
	v_cndmask_b32_e32 v11, v12, v14, vcc
	v_lshlrev_b32_e32 v12, 16, v17
	v_mov_b32_e32 v14, 0x3b800000
	v_lshlrev_b32_e32 v10, 20, v10
	v_and_b32_e32 v12, 0x80000000, v12
	v_lshl_add_u32 v11, v11, 23, v14
	v_or3_b32 v10, v12, v11, v10
.LBB3_108:
	s_or_b64 exec, exec, s[6:7]
	v_lshrrev_b32_e32 v11, 8, v13
	s_movk_i32 s4, 0x7f
	v_cmp_gt_i16_sdwa s[6:7], v11, s4 src0_sel:BYTE_0 src1_sel:DWORD
	s_mov_b64 s[4:5], 0
                                        ; implicit-def: $sgpr10
	s_and_saveexec_b64 s[8:9], s[6:7]
	s_xor_b64 s[6:7], exec, s[8:9]
	s_cbranch_execnz .LBB3_2157
; %bb.109:
	s_or_saveexec_b64 s[6:7], s[6:7]
	v_mov_b32_e32 v12, s10
	s_xor_b64 exec, exec, s[6:7]
	s_cbranch_execnz .LBB3_2160
.LBB3_110:
	s_or_b64 exec, exec, s[6:7]
	s_and_saveexec_b64 s[6:7], s[4:5]
	s_cbranch_execz .LBB3_112
.LBB3_111:
	v_bfe_u32 v12, v13, 8, 3
	v_ffbh_u32_e32 v15, v12
	v_min_u32_e32 v15, 32, v15
	v_lshrrev_b16_e32 v14, 3, v11
	v_subrev_u32_e32 v16, 28, v15
	v_and_b32_e32 v14, 15, v14
	v_lshlrev_b32_e32 v11, v16, v11
	v_sub_u32_e32 v15, 29, v15
	v_and_b32_e32 v11, 7, v11
	v_cmp_eq_u16_e32 vcc, 0, v14
	v_cndmask_b32_e32 v11, v12, v11, vcc
	v_cndmask_b32_e32 v12, v14, v15, vcc
	v_lshlrev_b32_e32 v14, 16, v13
	v_mov_b32_e32 v15, 0x3b800000
	v_lshlrev_b32_e32 v11, 20, v11
	v_and_b32_e32 v14, 0x80000000, v14
	v_lshl_add_u32 v12, v12, 23, v15
	v_or3_b32 v12, v14, v12, v11
.LBB3_112:
	s_or_b64 exec, exec, s[6:7]
	s_nop 0
	v_mfma_f32_16x16x4f32 a[0:3], v10, v12, a[0:3]
	s_movk_i32 s4, 0xff
	v_and_b32_sdwa v11, v17, s4 dst_sel:DWORD dst_unused:UNUSED_PAD src0_sel:WORD_1 src1_sel:DWORD
	s_movk_i32 s4, 0x7f
	v_cmp_lt_i16_e32 vcc, s4, v11
	s_mov_b64 s[4:5], 0
                                        ; implicit-def: $sgpr10
	s_and_saveexec_b64 s[6:7], vcc
	s_xor_b64 s[6:7], exec, s[6:7]
	s_cbranch_execnz .LBB3_2161
; %bb.113:
	s_or_saveexec_b64 s[6:7], s[6:7]
	v_mov_b32_e32 v10, s10
	s_xor_b64 exec, exec, s[6:7]
	s_cbranch_execnz .LBB3_2164
.LBB3_114:
	s_or_b64 exec, exec, s[6:7]
	s_and_saveexec_b64 s[6:7], s[4:5]
	s_cbranch_execz .LBB3_116
.LBB3_115:
	v_bfe_u32 v10, v17, 16, 3
	v_ffbh_u32_e32 v14, v10
	v_min_u32_e32 v14, 32, v14
	v_lshrrev_b32_e32 v11, 19, v17
	v_subrev_u32_e32 v15, 28, v14
	v_and_b32_e32 v11, 15, v11
	v_lshlrev_b32_sdwa v15, v15, v17 dst_sel:DWORD dst_unused:UNUSED_PAD src0_sel:DWORD src1_sel:WORD_1
	v_bfe_u32 v12, v17, 19, 4
	v_sub_u32_e32 v14, 29, v14
	v_and_b32_e32 v15, 7, v15
	v_cmp_eq_u16_e32 vcc, 0, v11
	v_cndmask_b32_e32 v10, v10, v15, vcc
	v_cndmask_b32_e32 v11, v12, v14, vcc
	v_lshlrev_b32_e32 v12, 8, v17
	v_mov_b32_e32 v14, 0x3b800000
	v_lshlrev_b32_e32 v10, 20, v10
	v_and_b32_e32 v12, 0x80000000, v12
	v_lshl_add_u32 v11, v11, 23, v14
	v_or3_b32 v10, v12, v11, v10
.LBB3_116:
	s_or_b64 exec, exec, s[6:7]
	s_movk_i32 s4, 0xff
	v_and_b32_sdwa v11, v13, s4 dst_sel:DWORD dst_unused:UNUSED_PAD src0_sel:WORD_1 src1_sel:DWORD
	s_movk_i32 s4, 0x7f
	v_cmp_lt_i16_e32 vcc, s4, v11
	s_mov_b64 s[4:5], 0
                                        ; implicit-def: $sgpr10
	s_and_saveexec_b64 s[6:7], vcc
	s_xor_b64 s[6:7], exec, s[6:7]
	s_cbranch_execnz .LBB3_2165
; %bb.117:
	s_or_saveexec_b64 s[6:7], s[6:7]
	v_mov_b32_e32 v12, s10
	s_xor_b64 exec, exec, s[6:7]
	s_cbranch_execnz .LBB3_2168
.LBB3_118:
	s_or_b64 exec, exec, s[6:7]
	s_and_saveexec_b64 s[6:7], s[4:5]
	s_cbranch_execz .LBB3_120
.LBB3_119:
	v_bfe_u32 v11, v13, 16, 3
	v_ffbh_u32_e32 v15, v11
	v_min_u32_e32 v15, 32, v15
	v_lshrrev_b32_e32 v12, 19, v13
	v_subrev_u32_e32 v16, 28, v15
	v_and_b32_e32 v12, 15, v12
	v_lshlrev_b32_sdwa v16, v16, v13 dst_sel:DWORD dst_unused:UNUSED_PAD src0_sel:DWORD src1_sel:WORD_1
	v_bfe_u32 v14, v13, 19, 4
	v_sub_u32_e32 v15, 29, v15
	v_and_b32_e32 v16, 7, v16
	v_cmp_eq_u16_e32 vcc, 0, v12
	v_cndmask_b32_e32 v11, v11, v16, vcc
	v_cndmask_b32_e32 v12, v14, v15, vcc
	v_lshlrev_b32_e32 v14, 8, v13
	v_mov_b32_e32 v15, 0x3b800000
	v_lshlrev_b32_e32 v11, 20, v11
	v_and_b32_e32 v14, 0x80000000, v14
	v_lshl_add_u32 v12, v12, 23, v15
	v_or3_b32 v12, v14, v12, v11
.LBB3_120:
	s_or_b64 exec, exec, s[6:7]
	s_nop 0
	v_mfma_f32_16x16x4f32 a[0:3], v10, v12, a[0:3]
	s_movk_i32 s4, 0x7f
	v_cmp_gt_i16_sdwa s[6:7], v17, s4 src0_sel:BYTE_3 src1_sel:DWORD
	s_mov_b64 s[4:5], 0
                                        ; implicit-def: $sgpr10
	s_and_saveexec_b64 s[8:9], s[6:7]
	s_xor_b64 s[6:7], exec, s[8:9]
	s_cbranch_execnz .LBB3_2169
; %bb.121:
	s_or_saveexec_b64 s[6:7], s[6:7]
	v_mov_b32_e32 v10, s10
	s_xor_b64 exec, exec, s[6:7]
	s_cbranch_execnz .LBB3_2172
.LBB3_122:
	s_or_b64 exec, exec, s[6:7]
	s_and_saveexec_b64 s[6:7], s[4:5]
	s_cbranch_execz .LBB3_124
.LBB3_123:
	v_bfe_u32 v10, v17, 24, 3
	v_ffbh_u32_e32 v15, v10
	v_min_u32_e32 v15, 32, v15
	v_lshrrev_b32_e32 v12, 27, v17
	v_subrev_u32_e32 v16, 28, v15
	v_and_b32_e32 v12, 15, v12
	v_lshlrev_b32_sdwa v16, v16, v17 dst_sel:DWORD dst_unused:UNUSED_PAD src0_sel:DWORD src1_sel:BYTE_3
	v_bfe_u32 v14, v17, 27, 4
	v_sub_u32_e32 v15, 29, v15
	v_and_b32_e32 v16, 7, v16
	v_cmp_eq_u16_e32 vcc, 0, v12
	v_cndmask_b32_e32 v10, v10, v16, vcc
	v_cndmask_b32_e32 v12, v14, v15, vcc
	v_mov_b32_e32 v14, 0x3b800000
	v_and_b32_e32 v11, 0x80000000, v17
	v_lshlrev_b32_e32 v10, 20, v10
	v_lshl_add_u32 v12, v12, 23, v14
	v_or3_b32 v10, v11, v12, v10
.LBB3_124:
	s_or_b64 exec, exec, s[6:7]
	s_movk_i32 s4, 0x7f
	v_cmp_gt_i16_sdwa s[6:7], v13, s4 src0_sel:BYTE_3 src1_sel:DWORD
	s_mov_b64 s[4:5], 0
                                        ; implicit-def: $sgpr10
	s_and_saveexec_b64 s[8:9], s[6:7]
	s_xor_b64 s[6:7], exec, s[8:9]
	s_cbranch_execnz .LBB3_2173
; %bb.125:
	s_or_saveexec_b64 s[6:7], s[6:7]
	v_mov_b32_e32 v11, s10
	s_xor_b64 exec, exec, s[6:7]
	s_cbranch_execnz .LBB3_2176
.LBB3_126:
	s_or_b64 exec, exec, s[6:7]
	s_and_saveexec_b64 s[6:7], s[4:5]
	s_cbranch_execz .LBB3_128
.LBB3_127:
	v_bfe_u32 v11, v13, 24, 3
	v_ffbh_u32_e32 v16, v11
	v_min_u32_e32 v16, 32, v16
	v_lshrrev_b32_e32 v14, 27, v13
	v_subrev_u32_e32 v17, 28, v16
	v_and_b32_e32 v12, 0x80000000, v13
	v_and_b32_e32 v14, 15, v14
	v_bfe_u32 v15, v13, 27, 4
	v_lshlrev_b32_sdwa v13, v17, v13 dst_sel:DWORD dst_unused:UNUSED_PAD src0_sel:DWORD src1_sel:BYTE_3
	v_sub_u32_e32 v16, 29, v16
	v_and_b32_e32 v13, 7, v13
	v_cmp_eq_u16_e32 vcc, 0, v14
	v_cndmask_b32_e32 v11, v11, v13, vcc
	v_cndmask_b32_e32 v13, v15, v16, vcc
	v_mov_b32_e32 v14, 0x3b800000
	v_lshlrev_b32_e32 v11, 20, v11
	v_lshl_add_u32 v13, v13, 23, v14
	v_or3_b32 v11, v12, v13, v11
.LBB3_128:
	s_or_b64 exec, exec, s[6:7]
	s_nop 0
	v_mfma_f32_16x16x4f32 a[0:3], v10, v11, a[0:3]
	s_movk_i32 s4, 0x7f
	v_cmp_gt_i16_sdwa s[6:7], v6, s4 src0_sel:BYTE_0 src1_sel:DWORD
	s_mov_b64 s[4:5], 0
                                        ; implicit-def: $sgpr10
	s_and_saveexec_b64 s[8:9], s[6:7]
	s_xor_b64 s[6:7], exec, s[8:9]
	s_cbranch_execnz .LBB3_2177
; %bb.129:
	s_or_saveexec_b64 s[6:7], s[6:7]
	v_mov_b32_e32 v10, s10
	s_xor_b64 exec, exec, s[6:7]
	s_cbranch_execnz .LBB3_2180
.LBB3_130:
	s_or_b64 exec, exec, s[6:7]
	s_and_saveexec_b64 s[6:7], s[4:5]
	s_cbranch_execz .LBB3_132
.LBB3_131:
	v_and_b32_e32 v10, 7, v6
	v_ffbh_u32_e32 v12, v10
	v_min_u32_e32 v12, 32, v12
	v_lshrrev_b16_e32 v11, 3, v6
	v_subrev_u32_e32 v13, 28, v12
	v_and_b32_e32 v11, 15, v11
	v_lshlrev_b32_e32 v13, v13, v6
	v_sub_u32_e32 v12, 29, v12
	v_and_b32_e32 v13, 7, v13
	v_cmp_eq_u16_e32 vcc, 0, v11
	v_cndmask_b32_e32 v10, v10, v13, vcc
	v_cndmask_b32_e32 v11, v11, v12, vcc
	v_lshlrev_b32_e32 v12, 24, v6
	v_mov_b32_e32 v13, 0x3b800000
	v_lshlrev_b32_e32 v10, 20, v10
	v_and_b32_e32 v12, 0x80000000, v12
	v_lshl_add_u32 v11, v11, 23, v13
	v_or3_b32 v10, v12, v11, v10
.LBB3_132:
	s_or_b64 exec, exec, s[6:7]
	s_movk_i32 s4, 0x7f
	v_cmp_gt_i16_sdwa s[6:7], v2, s4 src0_sel:BYTE_0 src1_sel:DWORD
	s_mov_b64 s[4:5], 0
                                        ; implicit-def: $sgpr10
	s_and_saveexec_b64 s[8:9], s[6:7]
	s_xor_b64 s[6:7], exec, s[8:9]
	s_cbranch_execnz .LBB3_2181
; %bb.133:
	s_or_saveexec_b64 s[6:7], s[6:7]
	v_mov_b32_e32 v11, s10
	s_xor_b64 exec, exec, s[6:7]
	s_cbranch_execnz .LBB3_2184
.LBB3_134:
	s_or_b64 exec, exec, s[6:7]
	s_and_saveexec_b64 s[6:7], s[4:5]
	s_cbranch_execz .LBB3_136
.LBB3_135:
	v_and_b32_e32 v11, 7, v2
	v_ffbh_u32_e32 v13, v11
	v_min_u32_e32 v13, 32, v13
	v_lshrrev_b16_e32 v12, 3, v2
	v_subrev_u32_e32 v14, 28, v13
	v_and_b32_e32 v12, 15, v12
	v_lshlrev_b32_e32 v14, v14, v2
	v_sub_u32_e32 v13, 29, v13
	v_and_b32_e32 v14, 7, v14
	v_cmp_eq_u16_e32 vcc, 0, v12
	v_cndmask_b32_e32 v11, v11, v14, vcc
	v_cndmask_b32_e32 v12, v12, v13, vcc
	v_lshlrev_b32_e32 v13, 24, v2
	v_mov_b32_e32 v14, 0x3b800000
	v_lshlrev_b32_e32 v11, 20, v11
	v_and_b32_e32 v13, 0x80000000, v13
	v_lshl_add_u32 v12, v12, 23, v14
	v_or3_b32 v11, v13, v12, v11
.LBB3_136:
	s_or_b64 exec, exec, s[6:7]
	s_nop 0
	v_mfma_f32_16x16x4f32 a[0:3], v10, v11, a[0:3]
	v_lshrrev_b32_e32 v11, 8, v6
	s_movk_i32 s4, 0x7f
	v_cmp_gt_i16_sdwa s[6:7], v11, s4 src0_sel:BYTE_0 src1_sel:DWORD
	s_mov_b64 s[4:5], 0
                                        ; implicit-def: $sgpr10
	s_and_saveexec_b64 s[8:9], s[6:7]
	s_xor_b64 s[6:7], exec, s[8:9]
	s_cbranch_execnz .LBB3_2185
; %bb.137:
	s_or_saveexec_b64 s[6:7], s[6:7]
	v_mov_b32_e32 v10, s10
	s_xor_b64 exec, exec, s[6:7]
	s_cbranch_execnz .LBB3_2188
.LBB3_138:
	s_or_b64 exec, exec, s[6:7]
	s_and_saveexec_b64 s[6:7], s[4:5]
	s_cbranch_execz .LBB3_140
.LBB3_139:
	v_bfe_u32 v10, v6, 8, 3
	v_ffbh_u32_e32 v13, v10
	v_min_u32_e32 v13, 32, v13
	v_lshrrev_b16_e32 v12, 3, v11
	v_subrev_u32_e32 v14, 28, v13
	v_and_b32_e32 v12, 15, v12
	v_lshlrev_b32_e32 v11, v14, v11
	v_sub_u32_e32 v13, 29, v13
	v_and_b32_e32 v11, 7, v11
	v_cmp_eq_u16_e32 vcc, 0, v12
	v_cndmask_b32_e32 v10, v10, v11, vcc
	v_cndmask_b32_e32 v11, v12, v13, vcc
	v_lshlrev_b32_e32 v12, 16, v6
	v_mov_b32_e32 v13, 0x3b800000
	v_lshlrev_b32_e32 v10, 20, v10
	v_and_b32_e32 v12, 0x80000000, v12
	v_lshl_add_u32 v11, v11, 23, v13
	v_or3_b32 v10, v12, v11, v10
.LBB3_140:
	s_or_b64 exec, exec, s[6:7]
	v_lshrrev_b32_e32 v11, 8, v2
	s_movk_i32 s4, 0x7f
	v_cmp_gt_i16_sdwa s[6:7], v11, s4 src0_sel:BYTE_0 src1_sel:DWORD
	s_mov_b64 s[4:5], 0
                                        ; implicit-def: $sgpr10
	s_and_saveexec_b64 s[8:9], s[6:7]
	s_xor_b64 s[6:7], exec, s[8:9]
	s_cbranch_execnz .LBB3_2189
; %bb.141:
	s_or_saveexec_b64 s[6:7], s[6:7]
	v_mov_b32_e32 v12, s10
	s_xor_b64 exec, exec, s[6:7]
	s_cbranch_execnz .LBB3_2192
.LBB3_142:
	s_or_b64 exec, exec, s[6:7]
	s_and_saveexec_b64 s[6:7], s[4:5]
	s_cbranch_execz .LBB3_144
.LBB3_143:
	v_bfe_u32 v12, v2, 8, 3
	v_ffbh_u32_e32 v14, v12
	v_min_u32_e32 v14, 32, v14
	v_lshrrev_b16_e32 v13, 3, v11
	v_subrev_u32_e32 v15, 28, v14
	v_and_b32_e32 v13, 15, v13
	v_lshlrev_b32_e32 v11, v15, v11
	v_sub_u32_e32 v14, 29, v14
	v_and_b32_e32 v11, 7, v11
	v_cmp_eq_u16_e32 vcc, 0, v13
	v_cndmask_b32_e32 v11, v12, v11, vcc
	v_cndmask_b32_e32 v12, v13, v14, vcc
	v_lshlrev_b32_e32 v13, 16, v2
	v_mov_b32_e32 v14, 0x3b800000
	v_lshlrev_b32_e32 v11, 20, v11
	v_and_b32_e32 v13, 0x80000000, v13
	v_lshl_add_u32 v12, v12, 23, v14
	v_or3_b32 v12, v13, v12, v11
.LBB3_144:
	s_or_b64 exec, exec, s[6:7]
	s_nop 0
	v_mfma_f32_16x16x4f32 a[0:3], v10, v12, a[0:3]
	s_movk_i32 s4, 0xff
	v_and_b32_sdwa v11, v6, s4 dst_sel:DWORD dst_unused:UNUSED_PAD src0_sel:WORD_1 src1_sel:DWORD
	s_movk_i32 s4, 0x7f
	v_cmp_lt_i16_e32 vcc, s4, v11
	s_mov_b64 s[4:5], 0
                                        ; implicit-def: $sgpr10
	s_and_saveexec_b64 s[6:7], vcc
	s_xor_b64 s[6:7], exec, s[6:7]
	s_cbranch_execnz .LBB3_2193
; %bb.145:
	s_or_saveexec_b64 s[6:7], s[6:7]
	v_mov_b32_e32 v10, s10
	s_xor_b64 exec, exec, s[6:7]
	s_cbranch_execnz .LBB3_2196
.LBB3_146:
	s_or_b64 exec, exec, s[6:7]
	s_and_saveexec_b64 s[6:7], s[4:5]
	s_cbranch_execz .LBB3_148
.LBB3_147:
	v_bfe_u32 v10, v6, 16, 3
	v_ffbh_u32_e32 v13, v10
	v_min_u32_e32 v13, 32, v13
	v_lshrrev_b32_e32 v11, 19, v6
	v_subrev_u32_e32 v14, 28, v13
	v_and_b32_e32 v11, 15, v11
	v_lshlrev_b32_sdwa v14, v14, v6 dst_sel:DWORD dst_unused:UNUSED_PAD src0_sel:DWORD src1_sel:WORD_1
	v_bfe_u32 v12, v6, 19, 4
	v_sub_u32_e32 v13, 29, v13
	v_and_b32_e32 v14, 7, v14
	v_cmp_eq_u16_e32 vcc, 0, v11
	v_cndmask_b32_e32 v10, v10, v14, vcc
	v_cndmask_b32_e32 v11, v12, v13, vcc
	v_lshlrev_b32_e32 v12, 8, v6
	v_mov_b32_e32 v13, 0x3b800000
	v_lshlrev_b32_e32 v10, 20, v10
	v_and_b32_e32 v12, 0x80000000, v12
	v_lshl_add_u32 v11, v11, 23, v13
	v_or3_b32 v10, v12, v11, v10
.LBB3_148:
	s_or_b64 exec, exec, s[6:7]
	s_movk_i32 s4, 0xff
	v_and_b32_sdwa v11, v2, s4 dst_sel:DWORD dst_unused:UNUSED_PAD src0_sel:WORD_1 src1_sel:DWORD
	s_movk_i32 s4, 0x7f
	v_cmp_lt_i16_e32 vcc, s4, v11
	s_mov_b64 s[4:5], 0
                                        ; implicit-def: $sgpr10
	s_and_saveexec_b64 s[6:7], vcc
	s_xor_b64 s[6:7], exec, s[6:7]
	s_cbranch_execnz .LBB3_2197
; %bb.149:
	s_or_saveexec_b64 s[6:7], s[6:7]
	v_mov_b32_e32 v12, s10
	s_xor_b64 exec, exec, s[6:7]
	s_cbranch_execnz .LBB3_2200
.LBB3_150:
	s_or_b64 exec, exec, s[6:7]
	s_and_saveexec_b64 s[6:7], s[4:5]
	s_cbranch_execz .LBB3_152
.LBB3_151:
	v_bfe_u32 v11, v2, 16, 3
	v_ffbh_u32_e32 v14, v11
	v_min_u32_e32 v14, 32, v14
	v_lshrrev_b32_e32 v12, 19, v2
	v_subrev_u32_e32 v15, 28, v14
	v_and_b32_e32 v12, 15, v12
	v_lshlrev_b32_sdwa v15, v15, v2 dst_sel:DWORD dst_unused:UNUSED_PAD src0_sel:DWORD src1_sel:WORD_1
	v_bfe_u32 v13, v2, 19, 4
	v_sub_u32_e32 v14, 29, v14
	v_and_b32_e32 v15, 7, v15
	v_cmp_eq_u16_e32 vcc, 0, v12
	v_cndmask_b32_e32 v11, v11, v15, vcc
	v_cndmask_b32_e32 v12, v13, v14, vcc
	v_lshlrev_b32_e32 v13, 8, v2
	v_mov_b32_e32 v14, 0x3b800000
	v_lshlrev_b32_e32 v11, 20, v11
	v_and_b32_e32 v13, 0x80000000, v13
	v_lshl_add_u32 v12, v12, 23, v14
	v_or3_b32 v12, v13, v12, v11
.LBB3_152:
	s_or_b64 exec, exec, s[6:7]
	s_nop 0
	v_mfma_f32_16x16x4f32 a[0:3], v10, v12, a[0:3]
	s_movk_i32 s4, 0x7f
	v_cmp_gt_i16_sdwa s[6:7], v6, s4 src0_sel:BYTE_3 src1_sel:DWORD
	s_mov_b64 s[4:5], 0
                                        ; implicit-def: $sgpr10
	s_and_saveexec_b64 s[8:9], s[6:7]
	s_xor_b64 s[6:7], exec, s[8:9]
	s_cbranch_execnz .LBB3_2201
; %bb.153:
	s_or_saveexec_b64 s[6:7], s[6:7]
	v_mov_b32_e32 v10, s10
	s_xor_b64 exec, exec, s[6:7]
	s_cbranch_execnz .LBB3_2204
.LBB3_154:
	s_or_b64 exec, exec, s[6:7]
	s_and_saveexec_b64 s[6:7], s[4:5]
	s_cbranch_execz .LBB3_156
.LBB3_155:
	v_bfe_u32 v10, v6, 24, 3
	v_ffbh_u32_e32 v14, v10
	v_min_u32_e32 v14, 32, v14
	v_lshrrev_b32_e32 v12, 27, v6
	v_subrev_u32_e32 v15, 28, v14
	v_and_b32_e32 v11, 0x80000000, v6
	v_and_b32_e32 v12, 15, v12
	v_bfe_u32 v13, v6, 27, 4
	v_lshlrev_b32_sdwa v6, v15, v6 dst_sel:DWORD dst_unused:UNUSED_PAD src0_sel:DWORD src1_sel:BYTE_3
	v_sub_u32_e32 v14, 29, v14
	v_and_b32_e32 v6, 7, v6
	v_cmp_eq_u16_e32 vcc, 0, v12
	v_cndmask_b32_e32 v6, v10, v6, vcc
	v_cndmask_b32_e32 v10, v13, v14, vcc
	v_mov_b32_e32 v12, 0x3b800000
	v_lshlrev_b32_e32 v6, 20, v6
	v_lshl_add_u32 v10, v10, 23, v12
	v_or3_b32 v10, v11, v10, v6
.LBB3_156:
	s_or_b64 exec, exec, s[6:7]
	s_movk_i32 s4, 0x7f
	v_cmp_gt_i16_sdwa s[6:7], v2, s4 src0_sel:BYTE_3 src1_sel:DWORD
	s_mov_b64 s[4:5], 0
                                        ; implicit-def: $sgpr10
	s_and_saveexec_b64 s[8:9], s[6:7]
	s_xor_b64 s[6:7], exec, s[8:9]
	s_cbranch_execnz .LBB3_2205
; %bb.157:
	s_or_saveexec_b64 s[6:7], s[6:7]
	v_mov_b32_e32 v6, s10
	s_xor_b64 exec, exec, s[6:7]
	s_cbranch_execnz .LBB3_2208
.LBB3_158:
	s_or_b64 exec, exec, s[6:7]
	s_and_saveexec_b64 s[6:7], s[4:5]
	s_cbranch_execz .LBB3_160
.LBB3_159:
	v_bfe_u32 v6, v2, 24, 3
	v_ffbh_u32_e32 v14, v6
	v_min_u32_e32 v14, 32, v14
	v_lshrrev_b32_e32 v12, 27, v2
	v_subrev_u32_e32 v15, 28, v14
	v_and_b32_e32 v11, 0x80000000, v2
	v_and_b32_e32 v12, 15, v12
	v_bfe_u32 v13, v2, 27, 4
	v_lshlrev_b32_sdwa v2, v15, v2 dst_sel:DWORD dst_unused:UNUSED_PAD src0_sel:DWORD src1_sel:BYTE_3
	v_sub_u32_e32 v14, 29, v14
	v_and_b32_e32 v2, 7, v2
	v_cmp_eq_u16_e32 vcc, 0, v12
	v_cndmask_b32_e32 v2, v6, v2, vcc
	v_cndmask_b32_e32 v6, v13, v14, vcc
	v_mov_b32_e32 v12, 0x3b800000
	v_lshlrev_b32_e32 v2, 20, v2
	v_lshl_add_u32 v6, v6, 23, v12
	v_or3_b32 v6, v11, v6, v2
.LBB3_160:
	s_or_b64 exec, exec, s[6:7]
	s_nop 0
	v_mfma_f32_16x16x4f32 a[0:3], v10, v6, a[0:3]
	s_movk_i32 s4, 0x7f
	v_cmp_gt_i16_sdwa s[6:7], v7, s4 src0_sel:BYTE_0 src1_sel:DWORD
	s_mov_b64 s[4:5], 0
                                        ; implicit-def: $sgpr10
	s_and_saveexec_b64 s[8:9], s[6:7]
	s_xor_b64 s[6:7], exec, s[8:9]
	s_cbranch_execnz .LBB3_2209
; %bb.161:
	s_or_saveexec_b64 s[6:7], s[6:7]
	v_mov_b32_e32 v2, s10
	s_xor_b64 exec, exec, s[6:7]
	s_cbranch_execnz .LBB3_2212
.LBB3_162:
	s_or_b64 exec, exec, s[6:7]
	s_and_saveexec_b64 s[6:7], s[4:5]
	s_cbranch_execz .LBB3_164
.LBB3_163:
	v_and_b32_e32 v2, 7, v7
	v_ffbh_u32_e32 v10, v2
	v_min_u32_e32 v10, 32, v10
	v_lshrrev_b16_e32 v6, 3, v7
	v_subrev_u32_e32 v11, 28, v10
	v_and_b32_e32 v6, 15, v6
	v_lshlrev_b32_e32 v11, v11, v7
	v_sub_u32_e32 v10, 29, v10
	v_and_b32_e32 v11, 7, v11
	v_cmp_eq_u16_e32 vcc, 0, v6
	v_cndmask_b32_e32 v2, v2, v11, vcc
	v_cndmask_b32_e32 v6, v6, v10, vcc
	v_lshlrev_b32_e32 v10, 24, v7
	v_mov_b32_e32 v11, 0x3b800000
	v_lshlrev_b32_e32 v2, 20, v2
	v_and_b32_e32 v10, 0x80000000, v10
	v_lshl_add_u32 v6, v6, 23, v11
	v_or3_b32 v2, v10, v6, v2
.LBB3_164:
	s_or_b64 exec, exec, s[6:7]
	s_movk_i32 s4, 0x7f
	v_cmp_gt_i16_sdwa s[6:7], v3, s4 src0_sel:BYTE_0 src1_sel:DWORD
	s_mov_b64 s[4:5], 0
                                        ; implicit-def: $sgpr10
	s_and_saveexec_b64 s[8:9], s[6:7]
	s_xor_b64 s[6:7], exec, s[8:9]
	s_cbranch_execnz .LBB3_2213
; %bb.165:
	s_or_saveexec_b64 s[6:7], s[6:7]
	v_mov_b32_e32 v6, s10
	s_xor_b64 exec, exec, s[6:7]
	s_cbranch_execnz .LBB3_2216
.LBB3_166:
	s_or_b64 exec, exec, s[6:7]
	s_and_saveexec_b64 s[6:7], s[4:5]
	s_cbranch_execz .LBB3_168
.LBB3_167:
	v_and_b32_e32 v6, 7, v3
	v_ffbh_u32_e32 v11, v6
	v_min_u32_e32 v11, 32, v11
	v_lshrrev_b16_e32 v10, 3, v3
	v_subrev_u32_e32 v12, 28, v11
	v_and_b32_e32 v10, 15, v10
	v_lshlrev_b32_e32 v12, v12, v3
	v_sub_u32_e32 v11, 29, v11
	v_and_b32_e32 v12, 7, v12
	v_cmp_eq_u16_e32 vcc, 0, v10
	v_cndmask_b32_e32 v6, v6, v12, vcc
	v_cndmask_b32_e32 v10, v10, v11, vcc
	v_lshlrev_b32_e32 v11, 24, v3
	v_mov_b32_e32 v12, 0x3b800000
	v_lshlrev_b32_e32 v6, 20, v6
	v_and_b32_e32 v11, 0x80000000, v11
	v_lshl_add_u32 v10, v10, 23, v12
	v_or3_b32 v6, v11, v10, v6
.LBB3_168:
	s_or_b64 exec, exec, s[6:7]
	s_nop 0
	v_mfma_f32_16x16x4f32 a[0:3], v2, v6, a[0:3]
	v_lshrrev_b32_e32 v6, 8, v7
	s_movk_i32 s4, 0x7f
	v_cmp_gt_i16_sdwa s[6:7], v6, s4 src0_sel:BYTE_0 src1_sel:DWORD
	s_mov_b64 s[4:5], 0
                                        ; implicit-def: $sgpr10
	s_and_saveexec_b64 s[8:9], s[6:7]
	s_xor_b64 s[6:7], exec, s[8:9]
	s_cbranch_execnz .LBB3_2217
; %bb.169:
	s_or_saveexec_b64 s[6:7], s[6:7]
	v_mov_b32_e32 v2, s10
	s_xor_b64 exec, exec, s[6:7]
	s_cbranch_execnz .LBB3_2220
.LBB3_170:
	s_or_b64 exec, exec, s[6:7]
	s_and_saveexec_b64 s[6:7], s[4:5]
	s_cbranch_execz .LBB3_172
.LBB3_171:
	v_bfe_u32 v2, v7, 8, 3
	v_ffbh_u32_e32 v11, v2
	v_min_u32_e32 v11, 32, v11
	v_lshrrev_b16_e32 v10, 3, v6
	v_subrev_u32_e32 v12, 28, v11
	v_and_b32_e32 v10, 15, v10
	v_lshlrev_b32_e32 v6, v12, v6
	v_sub_u32_e32 v11, 29, v11
	v_and_b32_e32 v6, 7, v6
	v_cmp_eq_u16_e32 vcc, 0, v10
	v_cndmask_b32_e32 v2, v2, v6, vcc
	v_cndmask_b32_e32 v6, v10, v11, vcc
	v_lshlrev_b32_e32 v10, 16, v7
	v_mov_b32_e32 v11, 0x3b800000
	v_lshlrev_b32_e32 v2, 20, v2
	v_and_b32_e32 v10, 0x80000000, v10
	v_lshl_add_u32 v6, v6, 23, v11
	v_or3_b32 v2, v10, v6, v2
.LBB3_172:
	s_or_b64 exec, exec, s[6:7]
	v_lshrrev_b32_e32 v6, 8, v3
	s_movk_i32 s4, 0x7f
	v_cmp_gt_i16_sdwa s[6:7], v6, s4 src0_sel:BYTE_0 src1_sel:DWORD
	s_mov_b64 s[4:5], 0
                                        ; implicit-def: $sgpr10
	s_and_saveexec_b64 s[8:9], s[6:7]
	s_xor_b64 s[6:7], exec, s[8:9]
	s_cbranch_execnz .LBB3_2221
; %bb.173:
	s_or_saveexec_b64 s[6:7], s[6:7]
	v_mov_b32_e32 v10, s10
	s_xor_b64 exec, exec, s[6:7]
	s_cbranch_execnz .LBB3_2224
.LBB3_174:
	s_or_b64 exec, exec, s[6:7]
	s_and_saveexec_b64 s[6:7], s[4:5]
	s_cbranch_execz .LBB3_176
.LBB3_175:
	v_bfe_u32 v10, v3, 8, 3
	v_ffbh_u32_e32 v12, v10
	v_min_u32_e32 v12, 32, v12
	v_lshrrev_b16_e32 v11, 3, v6
	v_subrev_u32_e32 v13, 28, v12
	v_and_b32_e32 v11, 15, v11
	v_lshlrev_b32_e32 v6, v13, v6
	v_sub_u32_e32 v12, 29, v12
	v_and_b32_e32 v6, 7, v6
	v_cmp_eq_u16_e32 vcc, 0, v11
	v_cndmask_b32_e32 v6, v10, v6, vcc
	v_cndmask_b32_e32 v10, v11, v12, vcc
	v_lshlrev_b32_e32 v11, 16, v3
	v_mov_b32_e32 v12, 0x3b800000
	v_lshlrev_b32_e32 v6, 20, v6
	v_and_b32_e32 v11, 0x80000000, v11
	v_lshl_add_u32 v10, v10, 23, v12
	v_or3_b32 v10, v11, v10, v6
.LBB3_176:
	s_or_b64 exec, exec, s[6:7]
	s_nop 0
	v_mfma_f32_16x16x4f32 a[0:3], v2, v10, a[0:3]
	s_movk_i32 s4, 0xff
	v_and_b32_sdwa v6, v7, s4 dst_sel:DWORD dst_unused:UNUSED_PAD src0_sel:WORD_1 src1_sel:DWORD
	s_movk_i32 s4, 0x7f
	v_cmp_lt_i16_e32 vcc, s4, v6
	s_mov_b64 s[4:5], 0
                                        ; implicit-def: $sgpr10
	s_and_saveexec_b64 s[6:7], vcc
	s_xor_b64 s[6:7], exec, s[6:7]
	s_cbranch_execnz .LBB3_2225
; %bb.177:
	s_or_saveexec_b64 s[6:7], s[6:7]
	v_mov_b32_e32 v2, s10
	s_xor_b64 exec, exec, s[6:7]
	s_cbranch_execnz .LBB3_2228
.LBB3_178:
	s_or_b64 exec, exec, s[6:7]
	s_and_saveexec_b64 s[6:7], s[4:5]
	s_cbranch_execz .LBB3_180
.LBB3_179:
	v_bfe_u32 v2, v7, 16, 3
	v_ffbh_u32_e32 v11, v2
	v_min_u32_e32 v11, 32, v11
	v_lshrrev_b32_e32 v6, 19, v7
	v_subrev_u32_e32 v12, 28, v11
	v_and_b32_e32 v6, 15, v6
	v_lshlrev_b32_sdwa v12, v12, v7 dst_sel:DWORD dst_unused:UNUSED_PAD src0_sel:DWORD src1_sel:WORD_1
	v_bfe_u32 v10, v7, 19, 4
	v_sub_u32_e32 v11, 29, v11
	v_and_b32_e32 v12, 7, v12
	v_cmp_eq_u16_e32 vcc, 0, v6
	v_cndmask_b32_e32 v2, v2, v12, vcc
	v_cndmask_b32_e32 v6, v10, v11, vcc
	v_lshlrev_b32_e32 v10, 8, v7
	v_mov_b32_e32 v11, 0x3b800000
	v_lshlrev_b32_e32 v2, 20, v2
	v_and_b32_e32 v10, 0x80000000, v10
	v_lshl_add_u32 v6, v6, 23, v11
	v_or3_b32 v2, v10, v6, v2
.LBB3_180:
	s_or_b64 exec, exec, s[6:7]
	s_movk_i32 s4, 0xff
	v_and_b32_sdwa v6, v3, s4 dst_sel:DWORD dst_unused:UNUSED_PAD src0_sel:WORD_1 src1_sel:DWORD
	s_movk_i32 s4, 0x7f
	v_cmp_lt_i16_e32 vcc, s4, v6
	s_mov_b64 s[4:5], 0
                                        ; implicit-def: $sgpr10
	s_and_saveexec_b64 s[6:7], vcc
	s_xor_b64 s[6:7], exec, s[6:7]
	s_cbranch_execnz .LBB3_2229
; %bb.181:
	s_or_saveexec_b64 s[6:7], s[6:7]
	v_mov_b32_e32 v10, s10
	s_xor_b64 exec, exec, s[6:7]
	s_cbranch_execnz .LBB3_2232
.LBB3_182:
	s_or_b64 exec, exec, s[6:7]
	s_and_saveexec_b64 s[6:7], s[4:5]
	s_cbranch_execz .LBB3_184
.LBB3_183:
	v_bfe_u32 v6, v3, 16, 3
	v_ffbh_u32_e32 v12, v6
	v_min_u32_e32 v12, 32, v12
	v_lshrrev_b32_e32 v10, 19, v3
	v_subrev_u32_e32 v13, 28, v12
	v_and_b32_e32 v10, 15, v10
	v_lshlrev_b32_sdwa v13, v13, v3 dst_sel:DWORD dst_unused:UNUSED_PAD src0_sel:DWORD src1_sel:WORD_1
	v_bfe_u32 v11, v3, 19, 4
	v_sub_u32_e32 v12, 29, v12
	v_and_b32_e32 v13, 7, v13
	v_cmp_eq_u16_e32 vcc, 0, v10
	v_cndmask_b32_e32 v6, v6, v13, vcc
	v_cndmask_b32_e32 v10, v11, v12, vcc
	v_lshlrev_b32_e32 v11, 8, v3
	v_mov_b32_e32 v12, 0x3b800000
	v_lshlrev_b32_e32 v6, 20, v6
	v_and_b32_e32 v11, 0x80000000, v11
	v_lshl_add_u32 v10, v10, 23, v12
	v_or3_b32 v10, v11, v10, v6
.LBB3_184:
	s_or_b64 exec, exec, s[6:7]
	s_nop 0
	v_mfma_f32_16x16x4f32 a[0:3], v2, v10, a[0:3]
	s_movk_i32 s4, 0x7f
	v_cmp_gt_i16_sdwa s[6:7], v7, s4 src0_sel:BYTE_3 src1_sel:DWORD
	s_mov_b64 s[4:5], 0
                                        ; implicit-def: $sgpr10
	s_and_saveexec_b64 s[8:9], s[6:7]
	s_xor_b64 s[6:7], exec, s[8:9]
	s_cbranch_execnz .LBB3_2233
; %bb.185:
	s_or_saveexec_b64 s[6:7], s[6:7]
	v_mov_b32_e32 v2, s10
	s_xor_b64 exec, exec, s[6:7]
	s_cbranch_execnz .LBB3_2236
.LBB3_186:
	s_or_b64 exec, exec, s[6:7]
	s_and_saveexec_b64 s[6:7], s[4:5]
	s_cbranch_execz .LBB3_188
.LBB3_187:
	v_bfe_u32 v2, v7, 24, 3
	v_ffbh_u32_e32 v12, v2
	v_min_u32_e32 v12, 32, v12
	v_lshrrev_b32_e32 v10, 27, v7
	v_subrev_u32_e32 v13, 28, v12
	v_and_b32_e32 v6, 0x80000000, v7
	v_and_b32_e32 v10, 15, v10
	v_bfe_u32 v11, v7, 27, 4
	v_lshlrev_b32_sdwa v7, v13, v7 dst_sel:DWORD dst_unused:UNUSED_PAD src0_sel:DWORD src1_sel:BYTE_3
	v_sub_u32_e32 v12, 29, v12
	v_and_b32_e32 v7, 7, v7
	v_cmp_eq_u16_e32 vcc, 0, v10
	v_cndmask_b32_e32 v2, v2, v7, vcc
	v_cndmask_b32_e32 v7, v11, v12, vcc
	v_mov_b32_e32 v10, 0x3b800000
	v_lshlrev_b32_e32 v2, 20, v2
	v_lshl_add_u32 v7, v7, 23, v10
	v_or3_b32 v2, v6, v7, v2
.LBB3_188:
	s_or_b64 exec, exec, s[6:7]
	s_movk_i32 s4, 0x7f
	v_cmp_gt_i16_sdwa s[6:7], v3, s4 src0_sel:BYTE_3 src1_sel:DWORD
	s_mov_b64 s[4:5], 0
                                        ; implicit-def: $sgpr10
	s_and_saveexec_b64 s[8:9], s[6:7]
	s_xor_b64 s[6:7], exec, s[8:9]
	s_cbranch_execnz .LBB3_2237
; %bb.189:
	s_or_saveexec_b64 s[6:7], s[6:7]
	v_mov_b32_e32 v6, s10
	s_xor_b64 exec, exec, s[6:7]
	s_cbranch_execnz .LBB3_2240
.LBB3_190:
	s_or_b64 exec, exec, s[6:7]
	s_and_saveexec_b64 s[6:7], s[4:5]
	s_cbranch_execz .LBB3_192
.LBB3_191:
	v_bfe_u32 v6, v3, 24, 3
	v_ffbh_u32_e32 v12, v6
	v_min_u32_e32 v12, 32, v12
	v_lshrrev_b32_e32 v10, 27, v3
	v_subrev_u32_e32 v13, 28, v12
	v_and_b32_e32 v7, 0x80000000, v3
	v_and_b32_e32 v10, 15, v10
	v_bfe_u32 v11, v3, 27, 4
	v_lshlrev_b32_sdwa v3, v13, v3 dst_sel:DWORD dst_unused:UNUSED_PAD src0_sel:DWORD src1_sel:BYTE_3
	v_sub_u32_e32 v12, 29, v12
	v_and_b32_e32 v3, 7, v3
	v_cmp_eq_u16_e32 vcc, 0, v10
	v_cndmask_b32_e32 v3, v6, v3, vcc
	v_cndmask_b32_e32 v6, v11, v12, vcc
	v_mov_b32_e32 v10, 0x3b800000
	v_lshlrev_b32_e32 v3, 20, v3
	v_lshl_add_u32 v6, v6, 23, v10
	v_or3_b32 v6, v7, v6, v3
.LBB3_192:
	s_or_b64 exec, exec, s[6:7]
	s_nop 0
	v_mfma_f32_16x16x4f32 a[0:3], v2, v6, a[0:3]
	s_movk_i32 s4, 0x7f
	v_cmp_gt_i16_sdwa s[6:7], v8, s4 src0_sel:BYTE_0 src1_sel:DWORD
	s_mov_b64 s[4:5], 0
                                        ; implicit-def: $sgpr10
	s_and_saveexec_b64 s[8:9], s[6:7]
	s_xor_b64 s[6:7], exec, s[8:9]
	s_cbranch_execnz .LBB3_2241
; %bb.193:
	s_or_saveexec_b64 s[6:7], s[6:7]
	v_mov_b32_e32 v2, s10
	s_xor_b64 exec, exec, s[6:7]
	s_cbranch_execnz .LBB3_2244
.LBB3_194:
	s_or_b64 exec, exec, s[6:7]
	s_and_saveexec_b64 s[6:7], s[4:5]
	s_cbranch_execz .LBB3_196
.LBB3_195:
	v_and_b32_e32 v2, 7, v8
	v_ffbh_u32_e32 v6, v2
	v_min_u32_e32 v6, 32, v6
	v_lshrrev_b16_e32 v3, 3, v8
	v_subrev_u32_e32 v7, 28, v6
	v_and_b32_e32 v3, 15, v3
	v_lshlrev_b32_e32 v7, v7, v8
	v_sub_u32_e32 v6, 29, v6
	v_and_b32_e32 v7, 7, v7
	v_cmp_eq_u16_e32 vcc, 0, v3
	v_cndmask_b32_e32 v2, v2, v7, vcc
	v_cndmask_b32_e32 v3, v3, v6, vcc
	v_lshlrev_b32_e32 v6, 24, v8
	v_mov_b32_e32 v7, 0x3b800000
	v_lshlrev_b32_e32 v2, 20, v2
	v_and_b32_e32 v6, 0x80000000, v6
	v_lshl_add_u32 v3, v3, 23, v7
	v_or3_b32 v2, v6, v3, v2
.LBB3_196:
	s_or_b64 exec, exec, s[6:7]
	s_movk_i32 s4, 0x7f
	v_cmp_gt_i16_sdwa s[6:7], v4, s4 src0_sel:BYTE_0 src1_sel:DWORD
	s_mov_b64 s[4:5], 0
                                        ; implicit-def: $sgpr10
	s_and_saveexec_b64 s[8:9], s[6:7]
	s_xor_b64 s[6:7], exec, s[8:9]
	s_cbranch_execnz .LBB3_2245
; %bb.197:
	s_or_saveexec_b64 s[6:7], s[6:7]
	v_mov_b32_e32 v3, s10
	s_xor_b64 exec, exec, s[6:7]
	s_cbranch_execnz .LBB3_2248
.LBB3_198:
	s_or_b64 exec, exec, s[6:7]
	s_and_saveexec_b64 s[6:7], s[4:5]
	s_cbranch_execz .LBB3_200
.LBB3_199:
	v_and_b32_e32 v3, 7, v4
	v_ffbh_u32_e32 v7, v3
	v_min_u32_e32 v7, 32, v7
	v_lshrrev_b16_e32 v6, 3, v4
	v_subrev_u32_e32 v10, 28, v7
	v_and_b32_e32 v6, 15, v6
	v_lshlrev_b32_e32 v10, v10, v4
	v_sub_u32_e32 v7, 29, v7
	v_and_b32_e32 v10, 7, v10
	v_cmp_eq_u16_e32 vcc, 0, v6
	v_cndmask_b32_e32 v3, v3, v10, vcc
	v_cndmask_b32_e32 v6, v6, v7, vcc
	v_lshlrev_b32_e32 v7, 24, v4
	v_mov_b32_e32 v10, 0x3b800000
	v_lshlrev_b32_e32 v3, 20, v3
	v_and_b32_e32 v7, 0x80000000, v7
	v_lshl_add_u32 v6, v6, 23, v10
	v_or3_b32 v3, v7, v6, v3
.LBB3_200:
	s_or_b64 exec, exec, s[6:7]
	s_nop 0
	v_mfma_f32_16x16x4f32 a[0:3], v2, v3, a[0:3]
	v_lshrrev_b32_e32 v3, 8, v8
	s_movk_i32 s4, 0x7f
	v_cmp_gt_i16_sdwa s[6:7], v3, s4 src0_sel:BYTE_0 src1_sel:DWORD
	s_mov_b64 s[4:5], 0
                                        ; implicit-def: $sgpr10
	s_and_saveexec_b64 s[8:9], s[6:7]
	s_xor_b64 s[6:7], exec, s[8:9]
	s_cbranch_execnz .LBB3_2249
; %bb.201:
	s_or_saveexec_b64 s[6:7], s[6:7]
	v_mov_b32_e32 v2, s10
	s_xor_b64 exec, exec, s[6:7]
	s_cbranch_execnz .LBB3_2252
.LBB3_202:
	s_or_b64 exec, exec, s[6:7]
	s_and_saveexec_b64 s[6:7], s[4:5]
	s_cbranch_execz .LBB3_204
.LBB3_203:
	v_bfe_u32 v2, v8, 8, 3
	v_ffbh_u32_e32 v7, v2
	v_min_u32_e32 v7, 32, v7
	v_lshrrev_b16_e32 v6, 3, v3
	v_subrev_u32_e32 v10, 28, v7
	v_and_b32_e32 v6, 15, v6
	v_lshlrev_b32_e32 v3, v10, v3
	v_sub_u32_e32 v7, 29, v7
	v_and_b32_e32 v3, 7, v3
	v_cmp_eq_u16_e32 vcc, 0, v6
	v_cndmask_b32_e32 v2, v2, v3, vcc
	v_cndmask_b32_e32 v3, v6, v7, vcc
	v_lshlrev_b32_e32 v6, 16, v8
	v_mov_b32_e32 v7, 0x3b800000
	v_lshlrev_b32_e32 v2, 20, v2
	v_and_b32_e32 v6, 0x80000000, v6
	v_lshl_add_u32 v3, v3, 23, v7
	v_or3_b32 v2, v6, v3, v2
.LBB3_204:
	s_or_b64 exec, exec, s[6:7]
	v_lshrrev_b32_e32 v3, 8, v4
	s_movk_i32 s4, 0x7f
	v_cmp_gt_i16_sdwa s[6:7], v3, s4 src0_sel:BYTE_0 src1_sel:DWORD
	s_mov_b64 s[4:5], 0
                                        ; implicit-def: $sgpr10
	s_and_saveexec_b64 s[8:9], s[6:7]
	s_xor_b64 s[6:7], exec, s[8:9]
	s_cbranch_execnz .LBB3_2253
; %bb.205:
	s_or_saveexec_b64 s[6:7], s[6:7]
	v_mov_b32_e32 v6, s10
	s_xor_b64 exec, exec, s[6:7]
	s_cbranch_execnz .LBB3_2256
.LBB3_206:
	s_or_b64 exec, exec, s[6:7]
	s_and_saveexec_b64 s[6:7], s[4:5]
	s_cbranch_execz .LBB3_208
.LBB3_207:
	v_bfe_u32 v6, v4, 8, 3
	v_ffbh_u32_e32 v10, v6
	v_min_u32_e32 v10, 32, v10
	v_lshrrev_b16_e32 v7, 3, v3
	v_subrev_u32_e32 v11, 28, v10
	v_and_b32_e32 v7, 15, v7
	v_lshlrev_b32_e32 v3, v11, v3
	v_sub_u32_e32 v10, 29, v10
	v_and_b32_e32 v3, 7, v3
	v_cmp_eq_u16_e32 vcc, 0, v7
	v_cndmask_b32_e32 v3, v6, v3, vcc
	v_cndmask_b32_e32 v6, v7, v10, vcc
	v_lshlrev_b32_e32 v7, 16, v4
	v_mov_b32_e32 v10, 0x3b800000
	v_lshlrev_b32_e32 v3, 20, v3
	v_and_b32_e32 v7, 0x80000000, v7
	v_lshl_add_u32 v6, v6, 23, v10
	v_or3_b32 v6, v7, v6, v3
.LBB3_208:
	s_or_b64 exec, exec, s[6:7]
	s_nop 0
	v_mfma_f32_16x16x4f32 a[0:3], v2, v6, a[0:3]
	s_movk_i32 s4, 0xff
	v_and_b32_sdwa v3, v8, s4 dst_sel:DWORD dst_unused:UNUSED_PAD src0_sel:WORD_1 src1_sel:DWORD
	s_movk_i32 s4, 0x7f
	v_cmp_lt_i16_e32 vcc, s4, v3
	s_mov_b64 s[4:5], 0
                                        ; implicit-def: $sgpr10
	s_and_saveexec_b64 s[6:7], vcc
	s_xor_b64 s[6:7], exec, s[6:7]
	s_cbranch_execnz .LBB3_2257
; %bb.209:
	s_or_saveexec_b64 s[6:7], s[6:7]
	v_mov_b32_e32 v2, s10
	s_xor_b64 exec, exec, s[6:7]
	s_cbranch_execnz .LBB3_2260
.LBB3_210:
	s_or_b64 exec, exec, s[6:7]
	s_and_saveexec_b64 s[6:7], s[4:5]
	s_cbranch_execz .LBB3_212
.LBB3_211:
	v_bfe_u32 v2, v8, 16, 3
	v_ffbh_u32_e32 v7, v2
	v_min_u32_e32 v7, 32, v7
	v_lshrrev_b32_e32 v3, 19, v8
	v_subrev_u32_e32 v10, 28, v7
	v_and_b32_e32 v3, 15, v3
	v_lshlrev_b32_sdwa v10, v10, v8 dst_sel:DWORD dst_unused:UNUSED_PAD src0_sel:DWORD src1_sel:WORD_1
	v_bfe_u32 v6, v8, 19, 4
	v_sub_u32_e32 v7, 29, v7
	v_and_b32_e32 v10, 7, v10
	v_cmp_eq_u16_e32 vcc, 0, v3
	v_cndmask_b32_e32 v2, v2, v10, vcc
	v_cndmask_b32_e32 v3, v6, v7, vcc
	v_lshlrev_b32_e32 v6, 8, v8
	v_mov_b32_e32 v7, 0x3b800000
	v_lshlrev_b32_e32 v2, 20, v2
	v_and_b32_e32 v6, 0x80000000, v6
	v_lshl_add_u32 v3, v3, 23, v7
	v_or3_b32 v2, v6, v3, v2
.LBB3_212:
	s_or_b64 exec, exec, s[6:7]
	s_movk_i32 s4, 0xff
	v_and_b32_sdwa v3, v4, s4 dst_sel:DWORD dst_unused:UNUSED_PAD src0_sel:WORD_1 src1_sel:DWORD
	s_movk_i32 s4, 0x7f
	v_cmp_lt_i16_e32 vcc, s4, v3
	s_mov_b64 s[4:5], 0
                                        ; implicit-def: $sgpr10
	s_and_saveexec_b64 s[6:7], vcc
	s_xor_b64 s[6:7], exec, s[6:7]
	s_cbranch_execnz .LBB3_2261
; %bb.213:
	s_or_saveexec_b64 s[6:7], s[6:7]
	v_mov_b32_e32 v6, s10
	s_xor_b64 exec, exec, s[6:7]
	s_cbranch_execnz .LBB3_2264
.LBB3_214:
	s_or_b64 exec, exec, s[6:7]
	s_and_saveexec_b64 s[6:7], s[4:5]
	s_cbranch_execz .LBB3_216
.LBB3_215:
	v_bfe_u32 v3, v4, 16, 3
	v_ffbh_u32_e32 v10, v3
	v_min_u32_e32 v10, 32, v10
	v_lshrrev_b32_e32 v6, 19, v4
	v_subrev_u32_e32 v11, 28, v10
	v_and_b32_e32 v6, 15, v6
	v_lshlrev_b32_sdwa v11, v11, v4 dst_sel:DWORD dst_unused:UNUSED_PAD src0_sel:DWORD src1_sel:WORD_1
	v_bfe_u32 v7, v4, 19, 4
	v_sub_u32_e32 v10, 29, v10
	v_and_b32_e32 v11, 7, v11
	v_cmp_eq_u16_e32 vcc, 0, v6
	v_cndmask_b32_e32 v3, v3, v11, vcc
	v_cndmask_b32_e32 v6, v7, v10, vcc
	v_lshlrev_b32_e32 v7, 8, v4
	v_mov_b32_e32 v10, 0x3b800000
	v_lshlrev_b32_e32 v3, 20, v3
	v_and_b32_e32 v7, 0x80000000, v7
	v_lshl_add_u32 v6, v6, 23, v10
	v_or3_b32 v6, v7, v6, v3
.LBB3_216:
	s_or_b64 exec, exec, s[6:7]
	s_nop 0
	v_mfma_f32_16x16x4f32 a[0:3], v2, v6, a[0:3]
	s_movk_i32 s4, 0x7f
	v_cmp_gt_i16_sdwa s[6:7], v8, s4 src0_sel:BYTE_3 src1_sel:DWORD
	s_mov_b64 s[4:5], 0
                                        ; implicit-def: $sgpr10
	s_and_saveexec_b64 s[8:9], s[6:7]
	s_xor_b64 s[6:7], exec, s[8:9]
	s_cbranch_execnz .LBB3_2265
; %bb.217:
	s_or_saveexec_b64 s[6:7], s[6:7]
	v_mov_b32_e32 v2, s10
	s_xor_b64 exec, exec, s[6:7]
	s_cbranch_execnz .LBB3_2268
.LBB3_218:
	s_or_b64 exec, exec, s[6:7]
	s_and_saveexec_b64 s[6:7], s[4:5]
	s_cbranch_execz .LBB3_220
.LBB3_219:
	v_bfe_u32 v2, v8, 24, 3
	v_ffbh_u32_e32 v10, v2
	v_min_u32_e32 v10, 32, v10
	v_lshrrev_b32_e32 v6, 27, v8
	v_subrev_u32_e32 v11, 28, v10
	v_and_b32_e32 v3, 0x80000000, v8
	v_and_b32_e32 v6, 15, v6
	v_bfe_u32 v7, v8, 27, 4
	v_lshlrev_b32_sdwa v8, v11, v8 dst_sel:DWORD dst_unused:UNUSED_PAD src0_sel:DWORD src1_sel:BYTE_3
	v_sub_u32_e32 v10, 29, v10
	v_and_b32_e32 v8, 7, v8
	v_cmp_eq_u16_e32 vcc, 0, v6
	v_cndmask_b32_e32 v2, v2, v8, vcc
	v_cndmask_b32_e32 v6, v7, v10, vcc
	v_mov_b32_e32 v7, 0x3b800000
	v_lshlrev_b32_e32 v2, 20, v2
	v_lshl_add_u32 v6, v6, 23, v7
	v_or3_b32 v2, v3, v6, v2
.LBB3_220:
	s_or_b64 exec, exec, s[6:7]
	s_movk_i32 s4, 0x7f
	v_cmp_gt_i16_sdwa s[6:7], v4, s4 src0_sel:BYTE_3 src1_sel:DWORD
	s_mov_b64 s[4:5], 0
                                        ; implicit-def: $sgpr10
	s_and_saveexec_b64 s[8:9], s[6:7]
	s_xor_b64 s[6:7], exec, s[8:9]
	s_cbranch_execnz .LBB3_2269
; %bb.221:
	s_or_saveexec_b64 s[6:7], s[6:7]
	v_mov_b32_e32 v3, s10
	s_xor_b64 exec, exec, s[6:7]
	s_cbranch_execnz .LBB3_2272
.LBB3_222:
	s_or_b64 exec, exec, s[6:7]
	s_and_saveexec_b64 s[6:7], s[4:5]
	s_cbranch_execz .LBB3_224
.LBB3_223:
	v_bfe_u32 v3, v4, 24, 3
	v_ffbh_u32_e32 v10, v3
	v_min_u32_e32 v10, 32, v10
	v_lshrrev_b32_e32 v7, 27, v4
	v_subrev_u32_e32 v11, 28, v10
	v_and_b32_e32 v6, 0x80000000, v4
	v_and_b32_e32 v7, 15, v7
	v_bfe_u32 v8, v4, 27, 4
	v_lshlrev_b32_sdwa v4, v11, v4 dst_sel:DWORD dst_unused:UNUSED_PAD src0_sel:DWORD src1_sel:BYTE_3
	v_sub_u32_e32 v10, 29, v10
	v_and_b32_e32 v4, 7, v4
	v_cmp_eq_u16_e32 vcc, 0, v7
	v_cndmask_b32_e32 v3, v3, v4, vcc
	v_cndmask_b32_e32 v4, v8, v10, vcc
	v_mov_b32_e32 v7, 0x3b800000
	v_lshlrev_b32_e32 v3, 20, v3
	v_lshl_add_u32 v4, v4, 23, v7
	v_or3_b32 v3, v6, v4, v3
.LBB3_224:
	s_or_b64 exec, exec, s[6:7]
	s_nop 0
	v_mfma_f32_16x16x4f32 a[0:3], v2, v3, a[0:3]
	s_movk_i32 s4, 0x7f
	v_cmp_gt_i16_sdwa s[6:7], v9, s4 src0_sel:BYTE_0 src1_sel:DWORD
	s_mov_b64 s[4:5], 0
                                        ; implicit-def: $sgpr10
	s_and_saveexec_b64 s[8:9], s[6:7]
	s_xor_b64 s[6:7], exec, s[8:9]
	s_cbranch_execnz .LBB3_2273
; %bb.225:
	s_or_saveexec_b64 s[6:7], s[6:7]
	v_mov_b32_e32 v2, s10
	s_xor_b64 exec, exec, s[6:7]
	s_cbranch_execnz .LBB3_2276
.LBB3_226:
	s_or_b64 exec, exec, s[6:7]
	s_and_saveexec_b64 s[6:7], s[4:5]
	s_cbranch_execz .LBB3_228
.LBB3_227:
	v_mov_b32_e32 v2, 8
	v_and_b32_e32 v3, 7, v9
	v_lshrrev_b32_sdwa v2, v2, v9 dst_sel:BYTE_1 dst_unused:UNUSED_PAD src0_sel:DWORD src1_sel:DWORD
	v_ffbh_u32_e32 v4, v3
	v_or_b32_sdwa v2, v9, v2 dst_sel:DWORD dst_unused:UNUSED_PAD src0_sel:BYTE_0 src1_sel:DWORD
	v_min_u32_e32 v4, 32, v4
	v_lshrrev_b16_e32 v2, 3, v2
	v_subrev_u32_e32 v6, 28, v4
	v_and_b32_e32 v2, 15, v2
	v_lshlrev_b32_e32 v6, v6, v9
	v_sub_u32_e32 v4, 29, v4
	v_and_b32_e32 v6, 7, v6
	v_cmp_eq_u16_e32 vcc, 0, v2
	v_cndmask_b32_e32 v3, v3, v6, vcc
	v_cndmask_b32_e32 v2, v2, v4, vcc
	v_lshlrev_b32_e32 v4, 24, v9
	v_mov_b32_e32 v6, 0x3b800000
	v_lshlrev_b32_e32 v3, 20, v3
	v_and_b32_e32 v4, 0x80000000, v4
	v_lshl_add_u32 v2, v2, 23, v6
	v_or3_b32 v2, v4, v2, v3
.LBB3_228:
	s_or_b64 exec, exec, s[6:7]
	s_movk_i32 s4, 0x7f
	v_cmp_gt_i16_sdwa s[6:7], v5, s4 src0_sel:BYTE_0 src1_sel:DWORD
	s_mov_b64 s[4:5], 0
                                        ; implicit-def: $sgpr10
	s_and_saveexec_b64 s[8:9], s[6:7]
	s_xor_b64 s[6:7], exec, s[8:9]
	s_cbranch_execnz .LBB3_2277
; %bb.229:
	s_or_saveexec_b64 s[6:7], s[6:7]
	v_mov_b32_e32 v3, s10
	s_xor_b64 exec, exec, s[6:7]
	s_cbranch_execnz .LBB3_2280
.LBB3_230:
	s_or_b64 exec, exec, s[6:7]
	s_and_saveexec_b64 s[6:7], s[4:5]
	s_cbranch_execz .LBB3_232
.LBB3_231:
	v_mov_b32_e32 v3, 8
	v_and_b32_e32 v4, 7, v5
	v_lshrrev_b32_sdwa v3, v3, v5 dst_sel:BYTE_1 dst_unused:UNUSED_PAD src0_sel:DWORD src1_sel:DWORD
	v_ffbh_u32_e32 v6, v4
	v_or_b32_sdwa v3, v5, v3 dst_sel:DWORD dst_unused:UNUSED_PAD src0_sel:BYTE_0 src1_sel:DWORD
	v_min_u32_e32 v6, 32, v6
	v_lshrrev_b16_e32 v3, 3, v3
	v_subrev_u32_e32 v7, 28, v6
	v_and_b32_e32 v3, 15, v3
	v_lshlrev_b32_e32 v7, v7, v5
	v_sub_u32_e32 v6, 29, v6
	v_and_b32_e32 v7, 7, v7
	v_cmp_eq_u16_e32 vcc, 0, v3
	v_cndmask_b32_e32 v4, v4, v7, vcc
	v_cndmask_b32_e32 v3, v3, v6, vcc
	v_lshlrev_b32_e32 v6, 24, v5
	v_mov_b32_e32 v7, 0x3b800000
	v_lshlrev_b32_e32 v4, 20, v4
	v_and_b32_e32 v6, 0x80000000, v6
	v_lshl_add_u32 v3, v3, 23, v7
	v_or3_b32 v3, v6, v3, v4
.LBB3_232:
	s_or_b64 exec, exec, s[6:7]
	s_nop 0
	v_mfma_f32_16x16x4f32 a[0:3], v2, v3, a[0:3]
	v_lshrrev_b32_e32 v3, 8, v9
	s_movk_i32 s4, 0x7f
	v_cmp_gt_i16_sdwa s[6:7], v3, s4 src0_sel:BYTE_0 src1_sel:DWORD
	s_mov_b64 s[4:5], 0
                                        ; implicit-def: $sgpr10
	s_and_saveexec_b64 s[8:9], s[6:7]
	s_xor_b64 s[6:7], exec, s[8:9]
	s_cbranch_execnz .LBB3_2281
; %bb.233:
	s_or_saveexec_b64 s[6:7], s[6:7]
	v_mov_b32_e32 v2, s10
	s_xor_b64 exec, exec, s[6:7]
	s_cbranch_execnz .LBB3_2284
.LBB3_234:
	s_or_b64 exec, exec, s[6:7]
	s_and_saveexec_b64 s[6:7], s[4:5]
	s_cbranch_execz .LBB3_236
.LBB3_235:
	v_bfe_u32 v2, v9, 8, 3
	v_ffbh_u32_e32 v6, v2
	v_min_u32_e32 v6, 32, v6
	v_lshrrev_b16_e32 v4, 3, v3
	v_subrev_u32_e32 v7, 28, v6
	v_and_b32_e32 v4, 15, v4
	v_lshlrev_b32_e32 v3, v7, v3
	v_sub_u32_e32 v6, 29, v6
	v_and_b32_e32 v3, 7, v3
	v_cmp_eq_u16_e32 vcc, 0, v4
	v_cndmask_b32_e32 v2, v2, v3, vcc
	v_cndmask_b32_e32 v3, v4, v6, vcc
	v_lshlrev_b32_e32 v4, 16, v9
	v_mov_b32_e32 v6, 0x3b800000
	v_lshlrev_b32_e32 v2, 20, v2
	v_and_b32_e32 v4, 0x80000000, v4
	v_lshl_add_u32 v3, v3, 23, v6
	v_or3_b32 v2, v4, v3, v2
.LBB3_236:
	s_or_b64 exec, exec, s[6:7]
	v_lshrrev_b32_e32 v3, 8, v5
	s_movk_i32 s4, 0x7f
	v_cmp_gt_i16_sdwa s[6:7], v3, s4 src0_sel:BYTE_0 src1_sel:DWORD
	s_mov_b64 s[4:5], 0
                                        ; implicit-def: $sgpr10
	s_and_saveexec_b64 s[8:9], s[6:7]
	s_xor_b64 s[6:7], exec, s[8:9]
	s_cbranch_execnz .LBB3_2285
; %bb.237:
	s_or_saveexec_b64 s[6:7], s[6:7]
	v_mov_b32_e32 v4, s10
	s_xor_b64 exec, exec, s[6:7]
	s_cbranch_execnz .LBB3_2288
.LBB3_238:
	s_or_b64 exec, exec, s[6:7]
	s_and_saveexec_b64 s[6:7], s[4:5]
	s_cbranch_execz .LBB3_240
.LBB3_239:
	v_bfe_u32 v4, v5, 8, 3
	v_ffbh_u32_e32 v7, v4
	v_min_u32_e32 v7, 32, v7
	v_lshrrev_b16_e32 v6, 3, v3
	v_subrev_u32_e32 v8, 28, v7
	v_and_b32_e32 v6, 15, v6
	v_lshlrev_b32_e32 v3, v8, v3
	v_sub_u32_e32 v7, 29, v7
	v_and_b32_e32 v3, 7, v3
	v_cmp_eq_u16_e32 vcc, 0, v6
	v_cndmask_b32_e32 v3, v4, v3, vcc
	v_cndmask_b32_e32 v4, v6, v7, vcc
	v_lshlrev_b32_e32 v6, 16, v5
	v_mov_b32_e32 v7, 0x3b800000
	v_lshlrev_b32_e32 v3, 20, v3
	v_and_b32_e32 v6, 0x80000000, v6
	v_lshl_add_u32 v4, v4, 23, v7
	v_or3_b32 v4, v6, v4, v3
.LBB3_240:
	s_or_b64 exec, exec, s[6:7]
	s_nop 0
	v_mfma_f32_16x16x4f32 a[0:3], v2, v4, a[0:3]
	s_movk_i32 s4, 0xff
	v_and_b32_sdwa v3, v9, s4 dst_sel:DWORD dst_unused:UNUSED_PAD src0_sel:WORD_1 src1_sel:DWORD
	s_movk_i32 s4, 0x7f
	v_cmp_lt_i16_e32 vcc, s4, v3
	s_mov_b64 s[4:5], 0
                                        ; implicit-def: $sgpr10
	s_and_saveexec_b64 s[6:7], vcc
	s_xor_b64 s[6:7], exec, s[6:7]
	s_cbranch_execnz .LBB3_2289
; %bb.241:
	s_or_saveexec_b64 s[6:7], s[6:7]
	v_mov_b32_e32 v2, s10
	s_xor_b64 exec, exec, s[6:7]
	s_cbranch_execnz .LBB3_2292
.LBB3_242:
	s_or_b64 exec, exec, s[6:7]
	s_and_saveexec_b64 s[6:7], s[4:5]
	s_cbranch_execz .LBB3_244
.LBB3_243:
	v_bfe_u32 v2, v9, 16, 3
	v_ffbh_u32_e32 v6, v2
	v_min_u32_e32 v6, 32, v6
	v_lshrrev_b32_e32 v3, 19, v9
	v_subrev_u32_e32 v7, 28, v6
	v_and_b32_e32 v3, 15, v3
	v_lshlrev_b32_sdwa v7, v7, v9 dst_sel:DWORD dst_unused:UNUSED_PAD src0_sel:DWORD src1_sel:WORD_1
	v_bfe_u32 v4, v9, 19, 4
	v_sub_u32_e32 v6, 29, v6
	v_and_b32_e32 v7, 7, v7
	v_cmp_eq_u16_e32 vcc, 0, v3
	v_cndmask_b32_e32 v2, v2, v7, vcc
	v_cndmask_b32_e32 v3, v4, v6, vcc
	v_lshlrev_b32_e32 v4, 8, v9
	v_mov_b32_e32 v6, 0x3b800000
	v_lshlrev_b32_e32 v2, 20, v2
	v_and_b32_e32 v4, 0x80000000, v4
	v_lshl_add_u32 v3, v3, 23, v6
	v_or3_b32 v2, v4, v3, v2
.LBB3_244:
	s_or_b64 exec, exec, s[6:7]
	s_movk_i32 s4, 0xff
	v_and_b32_sdwa v3, v5, s4 dst_sel:DWORD dst_unused:UNUSED_PAD src0_sel:WORD_1 src1_sel:DWORD
	s_movk_i32 s4, 0x7f
	v_cmp_lt_i16_e32 vcc, s4, v3
	s_mov_b64 s[4:5], 0
                                        ; implicit-def: $sgpr10
	s_and_saveexec_b64 s[6:7], vcc
	s_xor_b64 s[6:7], exec, s[6:7]
	s_cbranch_execnz .LBB3_2293
; %bb.245:
	s_or_saveexec_b64 s[6:7], s[6:7]
	v_mov_b32_e32 v4, s10
	s_xor_b64 exec, exec, s[6:7]
	s_cbranch_execnz .LBB3_2296
.LBB3_246:
	s_or_b64 exec, exec, s[6:7]
	s_and_saveexec_b64 s[6:7], s[4:5]
	s_cbranch_execz .LBB3_248
.LBB3_247:
	v_bfe_u32 v3, v5, 16, 3
	v_ffbh_u32_e32 v7, v3
	v_min_u32_e32 v7, 32, v7
	v_lshrrev_b32_e32 v4, 19, v5
	v_subrev_u32_e32 v8, 28, v7
	v_and_b32_e32 v4, 15, v4
	v_lshlrev_b32_sdwa v8, v8, v5 dst_sel:DWORD dst_unused:UNUSED_PAD src0_sel:DWORD src1_sel:WORD_1
	v_bfe_u32 v6, v5, 19, 4
	v_sub_u32_e32 v7, 29, v7
	v_and_b32_e32 v8, 7, v8
	v_cmp_eq_u16_e32 vcc, 0, v4
	v_cndmask_b32_e32 v3, v3, v8, vcc
	v_cndmask_b32_e32 v4, v6, v7, vcc
	v_lshlrev_b32_e32 v6, 8, v5
	v_mov_b32_e32 v7, 0x3b800000
	v_lshlrev_b32_e32 v3, 20, v3
	v_and_b32_e32 v6, 0x80000000, v6
	v_lshl_add_u32 v4, v4, 23, v7
	v_or3_b32 v4, v6, v4, v3
.LBB3_248:
	s_or_b64 exec, exec, s[6:7]
	s_nop 0
	v_mfma_f32_16x16x4f32 a[0:3], v2, v4, a[0:3]
	s_movk_i32 s4, 0x7f
	v_cmp_gt_i16_sdwa s[6:7], v9, s4 src0_sel:BYTE_3 src1_sel:DWORD
	s_mov_b64 s[4:5], 0
                                        ; implicit-def: $sgpr10
	s_and_saveexec_b64 s[8:9], s[6:7]
	s_xor_b64 s[6:7], exec, s[8:9]
	s_cbranch_execnz .LBB3_2297
; %bb.249:
	s_or_saveexec_b64 s[6:7], s[6:7]
	v_mov_b32_e32 v2, s10
	s_xor_b64 exec, exec, s[6:7]
	s_cbranch_execnz .LBB3_2300
.LBB3_250:
	s_or_b64 exec, exec, s[6:7]
	s_and_saveexec_b64 s[6:7], s[4:5]
	s_cbranch_execz .LBB3_252
.LBB3_251:
	v_bfe_u32 v2, v9, 24, 3
	v_ffbh_u32_e32 v7, v2
	v_min_u32_e32 v7, 32, v7
	v_lshrrev_b32_e32 v4, 27, v9
	v_subrev_u32_e32 v8, 28, v7
	v_and_b32_e32 v4, 15, v4
	v_lshlrev_b32_sdwa v8, v8, v9 dst_sel:DWORD dst_unused:UNUSED_PAD src0_sel:DWORD src1_sel:BYTE_3
	v_bfe_u32 v6, v9, 27, 4
	v_sub_u32_e32 v7, 29, v7
	v_and_b32_e32 v8, 7, v8
	v_cmp_eq_u16_e32 vcc, 0, v4
	v_cndmask_b32_e32 v2, v2, v8, vcc
	v_cndmask_b32_e32 v4, v6, v7, vcc
	v_mov_b32_e32 v6, 0x3b800000
	v_and_b32_e32 v3, 0x80000000, v9
	v_lshlrev_b32_e32 v2, 20, v2
	v_lshl_add_u32 v4, v4, 23, v6
	v_or3_b32 v2, v3, v4, v2
.LBB3_252:
	s_or_b64 exec, exec, s[6:7]
	s_movk_i32 s4, 0x7f
	v_cmp_gt_i16_sdwa s[6:7], v5, s4 src0_sel:BYTE_3 src1_sel:DWORD
	s_mov_b64 s[4:5], 0
                                        ; implicit-def: $sgpr10
	s_and_saveexec_b64 s[8:9], s[6:7]
	s_xor_b64 s[6:7], exec, s[8:9]
	s_cbranch_execnz .LBB3_2301
; %bb.253:
	s_or_saveexec_b64 s[6:7], s[6:7]
	v_mov_b32_e32 v3, s10
	s_xor_b64 exec, exec, s[6:7]
	s_cbranch_execnz .LBB3_2304
.LBB3_254:
	s_or_b64 exec, exec, s[6:7]
	s_and_saveexec_b64 s[6:7], s[4:5]
	s_cbranch_execz .LBB3_256
.LBB3_255:
	v_bfe_u32 v3, v5, 24, 3
	v_ffbh_u32_e32 v8, v3
	v_min_u32_e32 v8, 32, v8
	v_lshrrev_b32_e32 v6, 27, v5
	v_subrev_u32_e32 v9, 28, v8
	v_and_b32_e32 v4, 0x80000000, v5
	v_and_b32_e32 v6, 15, v6
	v_bfe_u32 v7, v5, 27, 4
	v_lshlrev_b32_sdwa v5, v9, v5 dst_sel:DWORD dst_unused:UNUSED_PAD src0_sel:DWORD src1_sel:BYTE_3
	v_sub_u32_e32 v8, 29, v8
	v_and_b32_e32 v5, 7, v5
	v_cmp_eq_u16_e32 vcc, 0, v6
	v_cndmask_b32_e32 v3, v3, v5, vcc
	v_cndmask_b32_e32 v5, v7, v8, vcc
	v_mov_b32_e32 v6, 0x3b800000
	v_lshlrev_b32_e32 v3, 20, v3
	v_lshl_add_u32 v5, v5, 23, v6
	v_or3_b32 v3, v4, v5, v3
.LBB3_256:
	s_or_b64 exec, exec, s[6:7]
	s_nop 0
	v_mfma_f32_16x16x4f32 a[0:3], v2, v3, a[0:3]
	s_movk_i32 s4, 0x7f
                                        ; implicit-def: $sgpr10
	s_nop 7
	s_nop 1
	flat_store_dwordx4 v[18:19], a[0:3] offset:128
	flat_load_dwordx4 v[20:23], v[0:1] offset:16
	s_nop 0
	flat_load_dwordx2 v[18:19], v[0:1] offset:32
	s_waitcnt vmcnt(0) lgkmcnt(0)
	flat_load_dwordx4 v[14:17], v[20:21] offset:32
	flat_load_dwordx4 v[10:13], v[22:23] offset:32
	;; [unrolled: 1-line block ×4, first 2 shown]
	s_waitcnt vmcnt(0) lgkmcnt(0)
	v_cmp_gt_i16_sdwa s[6:7], v14, s4 src0_sel:BYTE_0 src1_sel:DWORD
	s_mov_b64 s[4:5], 0
	s_and_saveexec_b64 s[8:9], s[6:7]
	s_xor_b64 s[6:7], exec, s[8:9]
	s_cbranch_execnz .LBB3_2305
; %bb.257:
	s_or_saveexec_b64 s[6:7], s[6:7]
	v_mov_b32_e32 v20, s10
	s_xor_b64 exec, exec, s[6:7]
	s_cbranch_execnz .LBB3_2308
.LBB3_258:
	s_or_b64 exec, exec, s[6:7]
	s_and_saveexec_b64 s[6:7], s[4:5]
	s_cbranch_execz .LBB3_260
.LBB3_259:
	v_and_b32_e32 v20, 7, v14
	v_ffbh_u32_e32 v22, v20
	v_min_u32_e32 v22, 32, v22
	v_lshrrev_b16_e32 v21, 3, v14
	v_subrev_u32_e32 v23, 28, v22
	v_and_b32_e32 v21, 15, v21
	v_lshlrev_b32_e32 v23, v23, v14
	v_sub_u32_e32 v22, 29, v22
	v_and_b32_e32 v23, 7, v23
	v_cmp_eq_u16_e32 vcc, 0, v21
	v_cndmask_b32_e32 v20, v20, v23, vcc
	v_cndmask_b32_e32 v21, v21, v22, vcc
	v_lshlrev_b32_e32 v22, 24, v14
	v_mov_b32_e32 v23, 0x3b800000
	v_lshlrev_b32_e32 v20, 20, v20
	v_and_b32_e32 v22, 0x80000000, v22
	v_lshl_add_u32 v21, v21, 23, v23
	v_or3_b32 v20, v22, v21, v20
.LBB3_260:
	s_or_b64 exec, exec, s[6:7]
	s_movk_i32 s4, 0x7f
	v_cmp_gt_i16_sdwa s[6:7], v10, s4 src0_sel:BYTE_0 src1_sel:DWORD
	s_mov_b64 s[4:5], 0
                                        ; implicit-def: $sgpr10
	s_and_saveexec_b64 s[8:9], s[6:7]
	s_xor_b64 s[6:7], exec, s[8:9]
	s_cbranch_execnz .LBB3_2309
; %bb.261:
	s_or_saveexec_b64 s[6:7], s[6:7]
	v_mov_b32_e32 v21, s10
	s_xor_b64 exec, exec, s[6:7]
	s_cbranch_execnz .LBB3_2312
.LBB3_262:
	s_or_b64 exec, exec, s[6:7]
	s_and_saveexec_b64 s[6:7], s[4:5]
	s_cbranch_execz .LBB3_264
.LBB3_263:
	v_and_b32_e32 v21, 7, v10
	v_ffbh_u32_e32 v23, v21
	v_min_u32_e32 v23, 32, v23
	v_lshrrev_b16_e32 v22, 3, v10
	v_subrev_u32_e32 v24, 28, v23
	v_and_b32_e32 v22, 15, v22
	v_lshlrev_b32_e32 v24, v24, v10
	v_sub_u32_e32 v23, 29, v23
	v_and_b32_e32 v24, 7, v24
	v_cmp_eq_u16_e32 vcc, 0, v22
	v_cndmask_b32_e32 v21, v21, v24, vcc
	v_cndmask_b32_e32 v22, v22, v23, vcc
	v_lshlrev_b32_e32 v23, 24, v10
	v_mov_b32_e32 v24, 0x3b800000
	v_lshlrev_b32_e32 v21, 20, v21
	v_and_b32_e32 v23, 0x80000000, v23
	v_lshl_add_u32 v22, v22, 23, v24
	v_or3_b32 v21, v23, v22, v21
.LBB3_264:
	s_or_b64 exec, exec, s[6:7]
	flat_load_dwordx4 a[0:3], v[18:19] offset:144
	s_movk_i32 s4, 0x7f
                                        ; implicit-def: $sgpr10
	s_waitcnt vmcnt(0) lgkmcnt(0)
	v_mfma_f32_16x16x4f32 a[0:3], v20, v21, a[0:3]
	v_lshrrev_b32_e32 v21, 8, v14
	v_cmp_gt_i16_sdwa s[6:7], v21, s4 src0_sel:BYTE_0 src1_sel:DWORD
	s_mov_b64 s[4:5], 0
	s_and_saveexec_b64 s[8:9], s[6:7]
	s_xor_b64 s[6:7], exec, s[8:9]
	s_cbranch_execnz .LBB3_2313
; %bb.265:
	s_or_saveexec_b64 s[6:7], s[6:7]
	v_mov_b32_e32 v20, s10
	s_xor_b64 exec, exec, s[6:7]
	s_cbranch_execnz .LBB3_2316
.LBB3_266:
	s_or_b64 exec, exec, s[6:7]
	s_and_saveexec_b64 s[6:7], s[4:5]
	s_cbranch_execz .LBB3_268
.LBB3_267:
	v_bfe_u32 v20, v14, 8, 3
	v_ffbh_u32_e32 v23, v20
	v_min_u32_e32 v23, 32, v23
	v_lshrrev_b16_e32 v22, 3, v21
	v_subrev_u32_e32 v24, 28, v23
	v_and_b32_e32 v22, 15, v22
	v_lshlrev_b32_e32 v21, v24, v21
	v_sub_u32_e32 v23, 29, v23
	v_and_b32_e32 v21, 7, v21
	v_cmp_eq_u16_e32 vcc, 0, v22
	v_cndmask_b32_e32 v20, v20, v21, vcc
	v_cndmask_b32_e32 v21, v22, v23, vcc
	v_lshlrev_b32_e32 v22, 16, v14
	v_mov_b32_e32 v23, 0x3b800000
	v_lshlrev_b32_e32 v20, 20, v20
	v_and_b32_e32 v22, 0x80000000, v22
	v_lshl_add_u32 v21, v21, 23, v23
	v_or3_b32 v20, v22, v21, v20
.LBB3_268:
	s_or_b64 exec, exec, s[6:7]
	v_lshrrev_b32_e32 v21, 8, v10
	s_movk_i32 s4, 0x7f
	v_cmp_gt_i16_sdwa s[6:7], v21, s4 src0_sel:BYTE_0 src1_sel:DWORD
	s_mov_b64 s[4:5], 0
                                        ; implicit-def: $sgpr10
	s_and_saveexec_b64 s[8:9], s[6:7]
	s_xor_b64 s[6:7], exec, s[8:9]
	s_cbranch_execnz .LBB3_2317
; %bb.269:
	s_or_saveexec_b64 s[6:7], s[6:7]
	v_mov_b32_e32 v22, s10
	s_xor_b64 exec, exec, s[6:7]
	s_cbranch_execnz .LBB3_2320
.LBB3_270:
	s_or_b64 exec, exec, s[6:7]
	s_and_saveexec_b64 s[6:7], s[4:5]
	s_cbranch_execz .LBB3_272
.LBB3_271:
	v_bfe_u32 v22, v10, 8, 3
	v_ffbh_u32_e32 v24, v22
	v_min_u32_e32 v24, 32, v24
	v_lshrrev_b16_e32 v23, 3, v21
	v_subrev_u32_e32 v25, 28, v24
	v_and_b32_e32 v23, 15, v23
	v_lshlrev_b32_e32 v21, v25, v21
	v_sub_u32_e32 v24, 29, v24
	v_and_b32_e32 v21, 7, v21
	v_cmp_eq_u16_e32 vcc, 0, v23
	v_cndmask_b32_e32 v21, v22, v21, vcc
	v_cndmask_b32_e32 v22, v23, v24, vcc
	v_lshlrev_b32_e32 v23, 16, v10
	v_mov_b32_e32 v24, 0x3b800000
	v_lshlrev_b32_e32 v21, 20, v21
	v_and_b32_e32 v23, 0x80000000, v23
	v_lshl_add_u32 v22, v22, 23, v24
	v_or3_b32 v22, v23, v22, v21
.LBB3_272:
	s_or_b64 exec, exec, s[6:7]
	s_nop 0
	v_mfma_f32_16x16x4f32 a[0:3], v20, v22, a[0:3]
	s_movk_i32 s4, 0xff
	v_and_b32_sdwa v21, v14, s4 dst_sel:DWORD dst_unused:UNUSED_PAD src0_sel:WORD_1 src1_sel:DWORD
	s_movk_i32 s4, 0x7f
	v_cmp_lt_i16_e32 vcc, s4, v21
	s_mov_b64 s[4:5], 0
                                        ; implicit-def: $sgpr10
	s_and_saveexec_b64 s[6:7], vcc
	s_xor_b64 s[6:7], exec, s[6:7]
	s_cbranch_execnz .LBB3_2321
; %bb.273:
	s_or_saveexec_b64 s[6:7], s[6:7]
	v_mov_b32_e32 v20, s10
	s_xor_b64 exec, exec, s[6:7]
	s_cbranch_execnz .LBB3_2324
.LBB3_274:
	s_or_b64 exec, exec, s[6:7]
	s_and_saveexec_b64 s[6:7], s[4:5]
	s_cbranch_execz .LBB3_276
.LBB3_275:
	v_bfe_u32 v20, v14, 16, 3
	v_ffbh_u32_e32 v23, v20
	v_min_u32_e32 v23, 32, v23
	v_lshrrev_b32_e32 v21, 19, v14
	v_subrev_u32_e32 v24, 28, v23
	v_and_b32_e32 v21, 15, v21
	v_lshlrev_b32_sdwa v24, v24, v14 dst_sel:DWORD dst_unused:UNUSED_PAD src0_sel:DWORD src1_sel:WORD_1
	v_bfe_u32 v22, v14, 19, 4
	v_sub_u32_e32 v23, 29, v23
	v_and_b32_e32 v24, 7, v24
	v_cmp_eq_u16_e32 vcc, 0, v21
	v_cndmask_b32_e32 v20, v20, v24, vcc
	v_cndmask_b32_e32 v21, v22, v23, vcc
	v_lshlrev_b32_e32 v22, 8, v14
	v_mov_b32_e32 v23, 0x3b800000
	v_lshlrev_b32_e32 v20, 20, v20
	v_and_b32_e32 v22, 0x80000000, v22
	v_lshl_add_u32 v21, v21, 23, v23
	v_or3_b32 v20, v22, v21, v20
.LBB3_276:
	s_or_b64 exec, exec, s[6:7]
	s_movk_i32 s4, 0xff
	v_and_b32_sdwa v21, v10, s4 dst_sel:DWORD dst_unused:UNUSED_PAD src0_sel:WORD_1 src1_sel:DWORD
	s_movk_i32 s4, 0x7f
	v_cmp_lt_i16_e32 vcc, s4, v21
	s_mov_b64 s[4:5], 0
                                        ; implicit-def: $sgpr10
	s_and_saveexec_b64 s[6:7], vcc
	s_xor_b64 s[6:7], exec, s[6:7]
	s_cbranch_execnz .LBB3_2325
; %bb.277:
	s_or_saveexec_b64 s[6:7], s[6:7]
	v_mov_b32_e32 v22, s10
	s_xor_b64 exec, exec, s[6:7]
	s_cbranch_execnz .LBB3_2328
.LBB3_278:
	s_or_b64 exec, exec, s[6:7]
	s_and_saveexec_b64 s[6:7], s[4:5]
	s_cbranch_execz .LBB3_280
.LBB3_279:
	v_bfe_u32 v21, v10, 16, 3
	v_ffbh_u32_e32 v24, v21
	v_min_u32_e32 v24, 32, v24
	v_lshrrev_b32_e32 v22, 19, v10
	v_subrev_u32_e32 v25, 28, v24
	v_and_b32_e32 v22, 15, v22
	v_lshlrev_b32_sdwa v25, v25, v10 dst_sel:DWORD dst_unused:UNUSED_PAD src0_sel:DWORD src1_sel:WORD_1
	v_bfe_u32 v23, v10, 19, 4
	v_sub_u32_e32 v24, 29, v24
	v_and_b32_e32 v25, 7, v25
	v_cmp_eq_u16_e32 vcc, 0, v22
	v_cndmask_b32_e32 v21, v21, v25, vcc
	v_cndmask_b32_e32 v22, v23, v24, vcc
	v_lshlrev_b32_e32 v23, 8, v10
	v_mov_b32_e32 v24, 0x3b800000
	v_lshlrev_b32_e32 v21, 20, v21
	v_and_b32_e32 v23, 0x80000000, v23
	v_lshl_add_u32 v22, v22, 23, v24
	v_or3_b32 v22, v23, v22, v21
.LBB3_280:
	s_or_b64 exec, exec, s[6:7]
	s_nop 0
	v_mfma_f32_16x16x4f32 a[0:3], v20, v22, a[0:3]
	s_movk_i32 s4, 0x7f
	v_cmp_gt_i16_sdwa s[6:7], v14, s4 src0_sel:BYTE_3 src1_sel:DWORD
	s_mov_b64 s[4:5], 0
                                        ; implicit-def: $sgpr10
	s_and_saveexec_b64 s[8:9], s[6:7]
	s_xor_b64 s[6:7], exec, s[8:9]
	s_cbranch_execnz .LBB3_2329
; %bb.281:
	s_or_saveexec_b64 s[6:7], s[6:7]
	v_mov_b32_e32 v20, s10
	s_xor_b64 exec, exec, s[6:7]
	s_cbranch_execnz .LBB3_2332
.LBB3_282:
	s_or_b64 exec, exec, s[6:7]
	s_and_saveexec_b64 s[6:7], s[4:5]
	s_cbranch_execz .LBB3_284
.LBB3_283:
	v_bfe_u32 v20, v14, 24, 3
	v_ffbh_u32_e32 v24, v20
	v_min_u32_e32 v24, 32, v24
	v_lshrrev_b32_e32 v22, 27, v14
	v_subrev_u32_e32 v25, 28, v24
	v_and_b32_e32 v21, 0x80000000, v14
	v_and_b32_e32 v22, 15, v22
	v_bfe_u32 v23, v14, 27, 4
	v_lshlrev_b32_sdwa v14, v25, v14 dst_sel:DWORD dst_unused:UNUSED_PAD src0_sel:DWORD src1_sel:BYTE_3
	v_sub_u32_e32 v24, 29, v24
	v_and_b32_e32 v14, 7, v14
	v_cmp_eq_u16_e32 vcc, 0, v22
	v_cndmask_b32_e32 v14, v20, v14, vcc
	v_cndmask_b32_e32 v20, v23, v24, vcc
	v_mov_b32_e32 v22, 0x3b800000
	v_lshlrev_b32_e32 v14, 20, v14
	v_lshl_add_u32 v20, v20, 23, v22
	v_or3_b32 v20, v21, v20, v14
.LBB3_284:
	s_or_b64 exec, exec, s[6:7]
	s_movk_i32 s4, 0x7f
	v_cmp_gt_i16_sdwa s[6:7], v10, s4 src0_sel:BYTE_3 src1_sel:DWORD
	s_mov_b64 s[4:5], 0
                                        ; implicit-def: $sgpr10
	s_and_saveexec_b64 s[8:9], s[6:7]
	s_xor_b64 s[6:7], exec, s[8:9]
	s_cbranch_execnz .LBB3_2333
; %bb.285:
	s_or_saveexec_b64 s[6:7], s[6:7]
	v_mov_b32_e32 v14, s10
	s_xor_b64 exec, exec, s[6:7]
	s_cbranch_execnz .LBB3_2336
.LBB3_286:
	s_or_b64 exec, exec, s[6:7]
	s_and_saveexec_b64 s[6:7], s[4:5]
	s_cbranch_execz .LBB3_288
.LBB3_287:
	v_bfe_u32 v14, v10, 24, 3
	v_ffbh_u32_e32 v24, v14
	v_min_u32_e32 v24, 32, v24
	v_lshrrev_b32_e32 v22, 27, v10
	v_subrev_u32_e32 v25, 28, v24
	v_and_b32_e32 v21, 0x80000000, v10
	v_and_b32_e32 v22, 15, v22
	v_bfe_u32 v23, v10, 27, 4
	v_lshlrev_b32_sdwa v10, v25, v10 dst_sel:DWORD dst_unused:UNUSED_PAD src0_sel:DWORD src1_sel:BYTE_3
	v_sub_u32_e32 v24, 29, v24
	v_and_b32_e32 v10, 7, v10
	v_cmp_eq_u16_e32 vcc, 0, v22
	v_cndmask_b32_e32 v10, v14, v10, vcc
	v_cndmask_b32_e32 v14, v23, v24, vcc
	v_mov_b32_e32 v22, 0x3b800000
	v_lshlrev_b32_e32 v10, 20, v10
	v_lshl_add_u32 v14, v14, 23, v22
	v_or3_b32 v14, v21, v14, v10
.LBB3_288:
	s_or_b64 exec, exec, s[6:7]
	s_nop 0
	v_mfma_f32_16x16x4f32 a[0:3], v20, v14, a[0:3]
	s_movk_i32 s4, 0x7f
	v_cmp_gt_i16_sdwa s[6:7], v15, s4 src0_sel:BYTE_0 src1_sel:DWORD
	s_mov_b64 s[4:5], 0
                                        ; implicit-def: $sgpr10
	s_and_saveexec_b64 s[8:9], s[6:7]
	s_xor_b64 s[6:7], exec, s[8:9]
	s_cbranch_execnz .LBB3_2337
; %bb.289:
	s_or_saveexec_b64 s[6:7], s[6:7]
	v_mov_b32_e32 v10, s10
	s_xor_b64 exec, exec, s[6:7]
	s_cbranch_execnz .LBB3_2340
.LBB3_290:
	s_or_b64 exec, exec, s[6:7]
	s_and_saveexec_b64 s[6:7], s[4:5]
	s_cbranch_execz .LBB3_292
.LBB3_291:
	v_and_b32_e32 v10, 7, v15
	v_ffbh_u32_e32 v20, v10
	v_min_u32_e32 v20, 32, v20
	v_lshrrev_b16_e32 v14, 3, v15
	v_subrev_u32_e32 v21, 28, v20
	v_and_b32_e32 v14, 15, v14
	v_lshlrev_b32_e32 v21, v21, v15
	v_sub_u32_e32 v20, 29, v20
	v_and_b32_e32 v21, 7, v21
	v_cmp_eq_u16_e32 vcc, 0, v14
	v_cndmask_b32_e32 v10, v10, v21, vcc
	v_cndmask_b32_e32 v14, v14, v20, vcc
	v_lshlrev_b32_e32 v20, 24, v15
	v_mov_b32_e32 v21, 0x3b800000
	v_lshlrev_b32_e32 v10, 20, v10
	v_and_b32_e32 v20, 0x80000000, v20
	v_lshl_add_u32 v14, v14, 23, v21
	v_or3_b32 v10, v20, v14, v10
.LBB3_292:
	s_or_b64 exec, exec, s[6:7]
	s_movk_i32 s4, 0x7f
	v_cmp_gt_i16_sdwa s[6:7], v11, s4 src0_sel:BYTE_0 src1_sel:DWORD
	s_mov_b64 s[4:5], 0
                                        ; implicit-def: $sgpr10
	s_and_saveexec_b64 s[8:9], s[6:7]
	s_xor_b64 s[6:7], exec, s[8:9]
	s_cbranch_execnz .LBB3_2341
; %bb.293:
	s_or_saveexec_b64 s[6:7], s[6:7]
	v_mov_b32_e32 v14, s10
	s_xor_b64 exec, exec, s[6:7]
	s_cbranch_execnz .LBB3_2344
.LBB3_294:
	s_or_b64 exec, exec, s[6:7]
	s_and_saveexec_b64 s[6:7], s[4:5]
	s_cbranch_execz .LBB3_296
.LBB3_295:
	v_and_b32_e32 v14, 7, v11
	v_ffbh_u32_e32 v21, v14
	v_min_u32_e32 v21, 32, v21
	v_lshrrev_b16_e32 v20, 3, v11
	v_subrev_u32_e32 v22, 28, v21
	v_and_b32_e32 v20, 15, v20
	v_lshlrev_b32_e32 v22, v22, v11
	v_sub_u32_e32 v21, 29, v21
	v_and_b32_e32 v22, 7, v22
	v_cmp_eq_u16_e32 vcc, 0, v20
	v_cndmask_b32_e32 v14, v14, v22, vcc
	v_cndmask_b32_e32 v20, v20, v21, vcc
	v_lshlrev_b32_e32 v21, 24, v11
	v_mov_b32_e32 v22, 0x3b800000
	v_lshlrev_b32_e32 v14, 20, v14
	v_and_b32_e32 v21, 0x80000000, v21
	v_lshl_add_u32 v20, v20, 23, v22
	v_or3_b32 v14, v21, v20, v14
.LBB3_296:
	s_or_b64 exec, exec, s[6:7]
	s_nop 0
	v_mfma_f32_16x16x4f32 a[0:3], v10, v14, a[0:3]
	v_lshrrev_b32_e32 v14, 8, v15
	s_movk_i32 s4, 0x7f
	v_cmp_gt_i16_sdwa s[6:7], v14, s4 src0_sel:BYTE_0 src1_sel:DWORD
	s_mov_b64 s[4:5], 0
                                        ; implicit-def: $sgpr10
	s_and_saveexec_b64 s[8:9], s[6:7]
	s_xor_b64 s[6:7], exec, s[8:9]
	s_cbranch_execnz .LBB3_2345
; %bb.297:
	s_or_saveexec_b64 s[6:7], s[6:7]
	v_mov_b32_e32 v10, s10
	s_xor_b64 exec, exec, s[6:7]
	s_cbranch_execnz .LBB3_2348
.LBB3_298:
	s_or_b64 exec, exec, s[6:7]
	s_and_saveexec_b64 s[6:7], s[4:5]
	s_cbranch_execz .LBB3_300
.LBB3_299:
	v_bfe_u32 v10, v15, 8, 3
	v_ffbh_u32_e32 v21, v10
	v_min_u32_e32 v21, 32, v21
	v_lshrrev_b16_e32 v20, 3, v14
	v_subrev_u32_e32 v22, 28, v21
	v_and_b32_e32 v20, 15, v20
	v_lshlrev_b32_e32 v14, v22, v14
	v_sub_u32_e32 v21, 29, v21
	v_and_b32_e32 v14, 7, v14
	v_cmp_eq_u16_e32 vcc, 0, v20
	v_cndmask_b32_e32 v10, v10, v14, vcc
	v_cndmask_b32_e32 v14, v20, v21, vcc
	v_lshlrev_b32_e32 v20, 16, v15
	v_mov_b32_e32 v21, 0x3b800000
	v_lshlrev_b32_e32 v10, 20, v10
	v_and_b32_e32 v20, 0x80000000, v20
	v_lshl_add_u32 v14, v14, 23, v21
	v_or3_b32 v10, v20, v14, v10
.LBB3_300:
	s_or_b64 exec, exec, s[6:7]
	v_lshrrev_b32_e32 v14, 8, v11
	s_movk_i32 s4, 0x7f
	v_cmp_gt_i16_sdwa s[6:7], v14, s4 src0_sel:BYTE_0 src1_sel:DWORD
	s_mov_b64 s[4:5], 0
                                        ; implicit-def: $sgpr10
	s_and_saveexec_b64 s[8:9], s[6:7]
	s_xor_b64 s[6:7], exec, s[8:9]
	s_cbranch_execnz .LBB3_2349
; %bb.301:
	s_or_saveexec_b64 s[6:7], s[6:7]
	v_mov_b32_e32 v20, s10
	s_xor_b64 exec, exec, s[6:7]
	s_cbranch_execnz .LBB3_2352
.LBB3_302:
	s_or_b64 exec, exec, s[6:7]
	s_and_saveexec_b64 s[6:7], s[4:5]
	s_cbranch_execz .LBB3_304
.LBB3_303:
	v_bfe_u32 v20, v11, 8, 3
	v_ffbh_u32_e32 v22, v20
	v_min_u32_e32 v22, 32, v22
	v_lshrrev_b16_e32 v21, 3, v14
	v_subrev_u32_e32 v23, 28, v22
	v_and_b32_e32 v21, 15, v21
	v_lshlrev_b32_e32 v14, v23, v14
	v_sub_u32_e32 v22, 29, v22
	v_and_b32_e32 v14, 7, v14
	v_cmp_eq_u16_e32 vcc, 0, v21
	v_cndmask_b32_e32 v14, v20, v14, vcc
	v_cndmask_b32_e32 v20, v21, v22, vcc
	v_lshlrev_b32_e32 v21, 16, v11
	v_mov_b32_e32 v22, 0x3b800000
	v_lshlrev_b32_e32 v14, 20, v14
	v_and_b32_e32 v21, 0x80000000, v21
	v_lshl_add_u32 v20, v20, 23, v22
	v_or3_b32 v20, v21, v20, v14
.LBB3_304:
	s_or_b64 exec, exec, s[6:7]
	s_nop 0
	v_mfma_f32_16x16x4f32 a[0:3], v10, v20, a[0:3]
	s_movk_i32 s4, 0xff
	v_and_b32_sdwa v14, v15, s4 dst_sel:DWORD dst_unused:UNUSED_PAD src0_sel:WORD_1 src1_sel:DWORD
	s_movk_i32 s4, 0x7f
	v_cmp_lt_i16_e32 vcc, s4, v14
	s_mov_b64 s[4:5], 0
                                        ; implicit-def: $sgpr10
	s_and_saveexec_b64 s[6:7], vcc
	s_xor_b64 s[6:7], exec, s[6:7]
	s_cbranch_execnz .LBB3_2353
; %bb.305:
	s_or_saveexec_b64 s[6:7], s[6:7]
	v_mov_b32_e32 v10, s10
	s_xor_b64 exec, exec, s[6:7]
	s_cbranch_execnz .LBB3_2356
.LBB3_306:
	s_or_b64 exec, exec, s[6:7]
	s_and_saveexec_b64 s[6:7], s[4:5]
	s_cbranch_execz .LBB3_308
.LBB3_307:
	v_bfe_u32 v10, v15, 16, 3
	v_ffbh_u32_e32 v21, v10
	v_min_u32_e32 v21, 32, v21
	v_lshrrev_b32_e32 v14, 19, v15
	v_subrev_u32_e32 v22, 28, v21
	v_and_b32_e32 v14, 15, v14
	v_lshlrev_b32_sdwa v22, v22, v15 dst_sel:DWORD dst_unused:UNUSED_PAD src0_sel:DWORD src1_sel:WORD_1
	v_bfe_u32 v20, v15, 19, 4
	v_sub_u32_e32 v21, 29, v21
	v_and_b32_e32 v22, 7, v22
	v_cmp_eq_u16_e32 vcc, 0, v14
	v_cndmask_b32_e32 v10, v10, v22, vcc
	v_cndmask_b32_e32 v14, v20, v21, vcc
	v_lshlrev_b32_e32 v20, 8, v15
	v_mov_b32_e32 v21, 0x3b800000
	v_lshlrev_b32_e32 v10, 20, v10
	v_and_b32_e32 v20, 0x80000000, v20
	v_lshl_add_u32 v14, v14, 23, v21
	v_or3_b32 v10, v20, v14, v10
.LBB3_308:
	s_or_b64 exec, exec, s[6:7]
	s_movk_i32 s4, 0xff
	v_and_b32_sdwa v14, v11, s4 dst_sel:DWORD dst_unused:UNUSED_PAD src0_sel:WORD_1 src1_sel:DWORD
	s_movk_i32 s4, 0x7f
	v_cmp_lt_i16_e32 vcc, s4, v14
	s_mov_b64 s[4:5], 0
                                        ; implicit-def: $sgpr10
	s_and_saveexec_b64 s[6:7], vcc
	s_xor_b64 s[6:7], exec, s[6:7]
	s_cbranch_execnz .LBB3_2357
; %bb.309:
	s_or_saveexec_b64 s[6:7], s[6:7]
	v_mov_b32_e32 v20, s10
	s_xor_b64 exec, exec, s[6:7]
	s_cbranch_execnz .LBB3_2360
.LBB3_310:
	s_or_b64 exec, exec, s[6:7]
	s_and_saveexec_b64 s[6:7], s[4:5]
	s_cbranch_execz .LBB3_312
.LBB3_311:
	v_bfe_u32 v14, v11, 16, 3
	v_ffbh_u32_e32 v22, v14
	v_min_u32_e32 v22, 32, v22
	v_lshrrev_b32_e32 v20, 19, v11
	v_subrev_u32_e32 v23, 28, v22
	v_and_b32_e32 v20, 15, v20
	v_lshlrev_b32_sdwa v23, v23, v11 dst_sel:DWORD dst_unused:UNUSED_PAD src0_sel:DWORD src1_sel:WORD_1
	v_bfe_u32 v21, v11, 19, 4
	v_sub_u32_e32 v22, 29, v22
	v_and_b32_e32 v23, 7, v23
	v_cmp_eq_u16_e32 vcc, 0, v20
	v_cndmask_b32_e32 v14, v14, v23, vcc
	v_cndmask_b32_e32 v20, v21, v22, vcc
	v_lshlrev_b32_e32 v21, 8, v11
	v_mov_b32_e32 v22, 0x3b800000
	v_lshlrev_b32_e32 v14, 20, v14
	v_and_b32_e32 v21, 0x80000000, v21
	v_lshl_add_u32 v20, v20, 23, v22
	v_or3_b32 v20, v21, v20, v14
.LBB3_312:
	s_or_b64 exec, exec, s[6:7]
	s_nop 0
	v_mfma_f32_16x16x4f32 a[0:3], v10, v20, a[0:3]
	s_movk_i32 s4, 0x7f
	v_cmp_gt_i16_sdwa s[6:7], v15, s4 src0_sel:BYTE_3 src1_sel:DWORD
	s_mov_b64 s[4:5], 0
                                        ; implicit-def: $sgpr10
	s_and_saveexec_b64 s[8:9], s[6:7]
	s_xor_b64 s[6:7], exec, s[8:9]
	s_cbranch_execnz .LBB3_2361
; %bb.313:
	s_or_saveexec_b64 s[6:7], s[6:7]
	v_mov_b32_e32 v10, s10
	s_xor_b64 exec, exec, s[6:7]
	s_cbranch_execnz .LBB3_2364
.LBB3_314:
	s_or_b64 exec, exec, s[6:7]
	s_and_saveexec_b64 s[6:7], s[4:5]
	s_cbranch_execz .LBB3_316
.LBB3_315:
	v_bfe_u32 v10, v15, 24, 3
	v_ffbh_u32_e32 v22, v10
	v_min_u32_e32 v22, 32, v22
	v_lshrrev_b32_e32 v20, 27, v15
	v_subrev_u32_e32 v23, 28, v22
	v_and_b32_e32 v14, 0x80000000, v15
	v_and_b32_e32 v20, 15, v20
	v_bfe_u32 v21, v15, 27, 4
	v_lshlrev_b32_sdwa v15, v23, v15 dst_sel:DWORD dst_unused:UNUSED_PAD src0_sel:DWORD src1_sel:BYTE_3
	v_sub_u32_e32 v22, 29, v22
	v_and_b32_e32 v15, 7, v15
	v_cmp_eq_u16_e32 vcc, 0, v20
	v_cndmask_b32_e32 v10, v10, v15, vcc
	v_cndmask_b32_e32 v15, v21, v22, vcc
	v_mov_b32_e32 v20, 0x3b800000
	v_lshlrev_b32_e32 v10, 20, v10
	v_lshl_add_u32 v15, v15, 23, v20
	v_or3_b32 v10, v14, v15, v10
.LBB3_316:
	s_or_b64 exec, exec, s[6:7]
	s_movk_i32 s4, 0x7f
	v_cmp_gt_i16_sdwa s[6:7], v11, s4 src0_sel:BYTE_3 src1_sel:DWORD
	s_mov_b64 s[4:5], 0
                                        ; implicit-def: $sgpr10
	s_and_saveexec_b64 s[8:9], s[6:7]
	s_xor_b64 s[6:7], exec, s[8:9]
	s_cbranch_execnz .LBB3_2365
; %bb.317:
	s_or_saveexec_b64 s[6:7], s[6:7]
	v_mov_b32_e32 v14, s10
	s_xor_b64 exec, exec, s[6:7]
	s_cbranch_execnz .LBB3_2368
.LBB3_318:
	s_or_b64 exec, exec, s[6:7]
	s_and_saveexec_b64 s[6:7], s[4:5]
	s_cbranch_execz .LBB3_320
.LBB3_319:
	v_bfe_u32 v14, v11, 24, 3
	v_ffbh_u32_e32 v22, v14
	v_min_u32_e32 v22, 32, v22
	v_lshrrev_b32_e32 v20, 27, v11
	v_subrev_u32_e32 v23, 28, v22
	v_and_b32_e32 v15, 0x80000000, v11
	v_and_b32_e32 v20, 15, v20
	v_bfe_u32 v21, v11, 27, 4
	v_lshlrev_b32_sdwa v11, v23, v11 dst_sel:DWORD dst_unused:UNUSED_PAD src0_sel:DWORD src1_sel:BYTE_3
	v_sub_u32_e32 v22, 29, v22
	v_and_b32_e32 v11, 7, v11
	v_cmp_eq_u16_e32 vcc, 0, v20
	v_cndmask_b32_e32 v11, v14, v11, vcc
	v_cndmask_b32_e32 v14, v21, v22, vcc
	v_mov_b32_e32 v20, 0x3b800000
	v_lshlrev_b32_e32 v11, 20, v11
	v_lshl_add_u32 v14, v14, 23, v20
	v_or3_b32 v14, v15, v14, v11
.LBB3_320:
	s_or_b64 exec, exec, s[6:7]
	s_nop 0
	v_mfma_f32_16x16x4f32 a[0:3], v10, v14, a[0:3]
	s_movk_i32 s4, 0x7f
	v_cmp_gt_i16_sdwa s[6:7], v16, s4 src0_sel:BYTE_0 src1_sel:DWORD
	s_mov_b64 s[4:5], 0
                                        ; implicit-def: $sgpr10
	s_and_saveexec_b64 s[8:9], s[6:7]
	s_xor_b64 s[6:7], exec, s[8:9]
	s_cbranch_execnz .LBB3_2369
; %bb.321:
	s_or_saveexec_b64 s[6:7], s[6:7]
	v_mov_b32_e32 v10, s10
	s_xor_b64 exec, exec, s[6:7]
	s_cbranch_execnz .LBB3_2372
.LBB3_322:
	s_or_b64 exec, exec, s[6:7]
	s_and_saveexec_b64 s[6:7], s[4:5]
	s_cbranch_execz .LBB3_324
.LBB3_323:
	v_and_b32_e32 v10, 7, v16
	v_ffbh_u32_e32 v14, v10
	v_min_u32_e32 v14, 32, v14
	v_lshrrev_b16_e32 v11, 3, v16
	v_subrev_u32_e32 v15, 28, v14
	v_and_b32_e32 v11, 15, v11
	v_lshlrev_b32_e32 v15, v15, v16
	v_sub_u32_e32 v14, 29, v14
	v_and_b32_e32 v15, 7, v15
	v_cmp_eq_u16_e32 vcc, 0, v11
	v_cndmask_b32_e32 v10, v10, v15, vcc
	v_cndmask_b32_e32 v11, v11, v14, vcc
	v_lshlrev_b32_e32 v14, 24, v16
	v_mov_b32_e32 v15, 0x3b800000
	v_lshlrev_b32_e32 v10, 20, v10
	v_and_b32_e32 v14, 0x80000000, v14
	v_lshl_add_u32 v11, v11, 23, v15
	v_or3_b32 v10, v14, v11, v10
.LBB3_324:
	s_or_b64 exec, exec, s[6:7]
	s_movk_i32 s4, 0x7f
	v_cmp_gt_i16_sdwa s[6:7], v12, s4 src0_sel:BYTE_0 src1_sel:DWORD
	s_mov_b64 s[4:5], 0
                                        ; implicit-def: $sgpr10
	s_and_saveexec_b64 s[8:9], s[6:7]
	s_xor_b64 s[6:7], exec, s[8:9]
	s_cbranch_execnz .LBB3_2373
; %bb.325:
	s_or_saveexec_b64 s[6:7], s[6:7]
	v_mov_b32_e32 v11, s10
	s_xor_b64 exec, exec, s[6:7]
	s_cbranch_execnz .LBB3_2376
.LBB3_326:
	s_or_b64 exec, exec, s[6:7]
	s_and_saveexec_b64 s[6:7], s[4:5]
	s_cbranch_execz .LBB3_328
.LBB3_327:
	v_and_b32_e32 v11, 7, v12
	v_ffbh_u32_e32 v15, v11
	v_min_u32_e32 v15, 32, v15
	v_lshrrev_b16_e32 v14, 3, v12
	v_subrev_u32_e32 v20, 28, v15
	v_and_b32_e32 v14, 15, v14
	v_lshlrev_b32_e32 v20, v20, v12
	v_sub_u32_e32 v15, 29, v15
	v_and_b32_e32 v20, 7, v20
	v_cmp_eq_u16_e32 vcc, 0, v14
	v_cndmask_b32_e32 v11, v11, v20, vcc
	v_cndmask_b32_e32 v14, v14, v15, vcc
	v_lshlrev_b32_e32 v15, 24, v12
	v_mov_b32_e32 v20, 0x3b800000
	v_lshlrev_b32_e32 v11, 20, v11
	v_and_b32_e32 v15, 0x80000000, v15
	v_lshl_add_u32 v14, v14, 23, v20
	v_or3_b32 v11, v15, v14, v11
.LBB3_328:
	s_or_b64 exec, exec, s[6:7]
	s_nop 0
	v_mfma_f32_16x16x4f32 a[0:3], v10, v11, a[0:3]
	v_lshrrev_b32_e32 v11, 8, v16
	s_movk_i32 s4, 0x7f
	v_cmp_gt_i16_sdwa s[6:7], v11, s4 src0_sel:BYTE_0 src1_sel:DWORD
	s_mov_b64 s[4:5], 0
                                        ; implicit-def: $sgpr10
	s_and_saveexec_b64 s[8:9], s[6:7]
	s_xor_b64 s[6:7], exec, s[8:9]
	s_cbranch_execnz .LBB3_2377
; %bb.329:
	s_or_saveexec_b64 s[6:7], s[6:7]
	v_mov_b32_e32 v10, s10
	s_xor_b64 exec, exec, s[6:7]
	s_cbranch_execnz .LBB3_2380
.LBB3_330:
	s_or_b64 exec, exec, s[6:7]
	s_and_saveexec_b64 s[6:7], s[4:5]
	s_cbranch_execz .LBB3_332
.LBB3_331:
	v_bfe_u32 v10, v16, 8, 3
	v_ffbh_u32_e32 v15, v10
	v_min_u32_e32 v15, 32, v15
	v_lshrrev_b16_e32 v14, 3, v11
	v_subrev_u32_e32 v20, 28, v15
	v_and_b32_e32 v14, 15, v14
	v_lshlrev_b32_e32 v11, v20, v11
	v_sub_u32_e32 v15, 29, v15
	v_and_b32_e32 v11, 7, v11
	v_cmp_eq_u16_e32 vcc, 0, v14
	v_cndmask_b32_e32 v10, v10, v11, vcc
	v_cndmask_b32_e32 v11, v14, v15, vcc
	v_lshlrev_b32_e32 v14, 16, v16
	v_mov_b32_e32 v15, 0x3b800000
	v_lshlrev_b32_e32 v10, 20, v10
	v_and_b32_e32 v14, 0x80000000, v14
	v_lshl_add_u32 v11, v11, 23, v15
	v_or3_b32 v10, v14, v11, v10
.LBB3_332:
	s_or_b64 exec, exec, s[6:7]
	v_lshrrev_b32_e32 v11, 8, v12
	s_movk_i32 s4, 0x7f
	v_cmp_gt_i16_sdwa s[6:7], v11, s4 src0_sel:BYTE_0 src1_sel:DWORD
	s_mov_b64 s[4:5], 0
                                        ; implicit-def: $sgpr10
	s_and_saveexec_b64 s[8:9], s[6:7]
	s_xor_b64 s[6:7], exec, s[8:9]
	s_cbranch_execnz .LBB3_2381
; %bb.333:
	s_or_saveexec_b64 s[6:7], s[6:7]
	v_mov_b32_e32 v14, s10
	s_xor_b64 exec, exec, s[6:7]
	s_cbranch_execnz .LBB3_2384
.LBB3_334:
	s_or_b64 exec, exec, s[6:7]
	s_and_saveexec_b64 s[6:7], s[4:5]
	s_cbranch_execz .LBB3_336
.LBB3_335:
	v_bfe_u32 v14, v12, 8, 3
	v_ffbh_u32_e32 v20, v14
	v_min_u32_e32 v20, 32, v20
	v_lshrrev_b16_e32 v15, 3, v11
	v_subrev_u32_e32 v21, 28, v20
	v_and_b32_e32 v15, 15, v15
	v_lshlrev_b32_e32 v11, v21, v11
	v_sub_u32_e32 v20, 29, v20
	v_and_b32_e32 v11, 7, v11
	v_cmp_eq_u16_e32 vcc, 0, v15
	v_cndmask_b32_e32 v11, v14, v11, vcc
	v_cndmask_b32_e32 v14, v15, v20, vcc
	v_lshlrev_b32_e32 v15, 16, v12
	v_mov_b32_e32 v20, 0x3b800000
	v_lshlrev_b32_e32 v11, 20, v11
	v_and_b32_e32 v15, 0x80000000, v15
	v_lshl_add_u32 v14, v14, 23, v20
	v_or3_b32 v14, v15, v14, v11
.LBB3_336:
	s_or_b64 exec, exec, s[6:7]
	s_nop 0
	v_mfma_f32_16x16x4f32 a[0:3], v10, v14, a[0:3]
	s_movk_i32 s4, 0xff
	v_and_b32_sdwa v11, v16, s4 dst_sel:DWORD dst_unused:UNUSED_PAD src0_sel:WORD_1 src1_sel:DWORD
	s_movk_i32 s4, 0x7f
	v_cmp_lt_i16_e32 vcc, s4, v11
	s_mov_b64 s[4:5], 0
                                        ; implicit-def: $sgpr10
	s_and_saveexec_b64 s[6:7], vcc
	s_xor_b64 s[6:7], exec, s[6:7]
	s_cbranch_execnz .LBB3_2385
; %bb.337:
	s_or_saveexec_b64 s[6:7], s[6:7]
	v_mov_b32_e32 v10, s10
	s_xor_b64 exec, exec, s[6:7]
	s_cbranch_execnz .LBB3_2388
.LBB3_338:
	s_or_b64 exec, exec, s[6:7]
	s_and_saveexec_b64 s[6:7], s[4:5]
	s_cbranch_execz .LBB3_340
.LBB3_339:
	v_bfe_u32 v10, v16, 16, 3
	v_ffbh_u32_e32 v15, v10
	v_min_u32_e32 v15, 32, v15
	v_lshrrev_b32_e32 v11, 19, v16
	v_subrev_u32_e32 v20, 28, v15
	v_and_b32_e32 v11, 15, v11
	v_lshlrev_b32_sdwa v20, v20, v16 dst_sel:DWORD dst_unused:UNUSED_PAD src0_sel:DWORD src1_sel:WORD_1
	v_bfe_u32 v14, v16, 19, 4
	v_sub_u32_e32 v15, 29, v15
	v_and_b32_e32 v20, 7, v20
	v_cmp_eq_u16_e32 vcc, 0, v11
	v_cndmask_b32_e32 v10, v10, v20, vcc
	v_cndmask_b32_e32 v11, v14, v15, vcc
	v_lshlrev_b32_e32 v14, 8, v16
	v_mov_b32_e32 v15, 0x3b800000
	v_lshlrev_b32_e32 v10, 20, v10
	v_and_b32_e32 v14, 0x80000000, v14
	v_lshl_add_u32 v11, v11, 23, v15
	v_or3_b32 v10, v14, v11, v10
.LBB3_340:
	s_or_b64 exec, exec, s[6:7]
	s_movk_i32 s4, 0xff
	v_and_b32_sdwa v11, v12, s4 dst_sel:DWORD dst_unused:UNUSED_PAD src0_sel:WORD_1 src1_sel:DWORD
	s_movk_i32 s4, 0x7f
	v_cmp_lt_i16_e32 vcc, s4, v11
	s_mov_b64 s[4:5], 0
                                        ; implicit-def: $sgpr10
	s_and_saveexec_b64 s[6:7], vcc
	s_xor_b64 s[6:7], exec, s[6:7]
	s_cbranch_execnz .LBB3_2389
; %bb.341:
	s_or_saveexec_b64 s[6:7], s[6:7]
	v_mov_b32_e32 v14, s10
	s_xor_b64 exec, exec, s[6:7]
	s_cbranch_execnz .LBB3_2392
.LBB3_342:
	s_or_b64 exec, exec, s[6:7]
	s_and_saveexec_b64 s[6:7], s[4:5]
	s_cbranch_execz .LBB3_344
.LBB3_343:
	v_bfe_u32 v11, v12, 16, 3
	v_ffbh_u32_e32 v20, v11
	v_min_u32_e32 v20, 32, v20
	v_lshrrev_b32_e32 v14, 19, v12
	v_subrev_u32_e32 v21, 28, v20
	v_and_b32_e32 v14, 15, v14
	v_lshlrev_b32_sdwa v21, v21, v12 dst_sel:DWORD dst_unused:UNUSED_PAD src0_sel:DWORD src1_sel:WORD_1
	v_bfe_u32 v15, v12, 19, 4
	v_sub_u32_e32 v20, 29, v20
	v_and_b32_e32 v21, 7, v21
	v_cmp_eq_u16_e32 vcc, 0, v14
	v_cndmask_b32_e32 v11, v11, v21, vcc
	v_cndmask_b32_e32 v14, v15, v20, vcc
	v_lshlrev_b32_e32 v15, 8, v12
	v_mov_b32_e32 v20, 0x3b800000
	v_lshlrev_b32_e32 v11, 20, v11
	v_and_b32_e32 v15, 0x80000000, v15
	v_lshl_add_u32 v14, v14, 23, v20
	v_or3_b32 v14, v15, v14, v11
.LBB3_344:
	s_or_b64 exec, exec, s[6:7]
	s_nop 0
	v_mfma_f32_16x16x4f32 a[0:3], v10, v14, a[0:3]
	s_movk_i32 s4, 0x7f
	v_cmp_gt_i16_sdwa s[6:7], v16, s4 src0_sel:BYTE_3 src1_sel:DWORD
	s_mov_b64 s[4:5], 0
                                        ; implicit-def: $sgpr10
	s_and_saveexec_b64 s[8:9], s[6:7]
	s_xor_b64 s[6:7], exec, s[8:9]
	s_cbranch_execnz .LBB3_2393
; %bb.345:
	s_or_saveexec_b64 s[6:7], s[6:7]
	v_mov_b32_e32 v10, s10
	s_xor_b64 exec, exec, s[6:7]
	s_cbranch_execnz .LBB3_2396
.LBB3_346:
	s_or_b64 exec, exec, s[6:7]
	s_and_saveexec_b64 s[6:7], s[4:5]
	s_cbranch_execz .LBB3_348
.LBB3_347:
	v_bfe_u32 v10, v16, 24, 3
	v_ffbh_u32_e32 v20, v10
	v_min_u32_e32 v20, 32, v20
	v_lshrrev_b32_e32 v14, 27, v16
	v_subrev_u32_e32 v21, 28, v20
	v_and_b32_e32 v11, 0x80000000, v16
	v_and_b32_e32 v14, 15, v14
	v_bfe_u32 v15, v16, 27, 4
	v_lshlrev_b32_sdwa v16, v21, v16 dst_sel:DWORD dst_unused:UNUSED_PAD src0_sel:DWORD src1_sel:BYTE_3
	v_sub_u32_e32 v20, 29, v20
	v_and_b32_e32 v16, 7, v16
	v_cmp_eq_u16_e32 vcc, 0, v14
	v_cndmask_b32_e32 v10, v10, v16, vcc
	v_cndmask_b32_e32 v14, v15, v20, vcc
	v_mov_b32_e32 v15, 0x3b800000
	v_lshlrev_b32_e32 v10, 20, v10
	v_lshl_add_u32 v14, v14, 23, v15
	v_or3_b32 v10, v11, v14, v10
.LBB3_348:
	s_or_b64 exec, exec, s[6:7]
	s_movk_i32 s4, 0x7f
	v_cmp_gt_i16_sdwa s[6:7], v12, s4 src0_sel:BYTE_3 src1_sel:DWORD
	s_mov_b64 s[4:5], 0
                                        ; implicit-def: $sgpr10
	s_and_saveexec_b64 s[8:9], s[6:7]
	s_xor_b64 s[6:7], exec, s[8:9]
	s_cbranch_execnz .LBB3_2397
; %bb.349:
	s_or_saveexec_b64 s[6:7], s[6:7]
	v_mov_b32_e32 v11, s10
	s_xor_b64 exec, exec, s[6:7]
	s_cbranch_execnz .LBB3_2400
.LBB3_350:
	s_or_b64 exec, exec, s[6:7]
	s_and_saveexec_b64 s[6:7], s[4:5]
	s_cbranch_execz .LBB3_352
.LBB3_351:
	v_bfe_u32 v11, v12, 24, 3
	v_ffbh_u32_e32 v20, v11
	v_min_u32_e32 v20, 32, v20
	v_lshrrev_b32_e32 v15, 27, v12
	v_subrev_u32_e32 v21, 28, v20
	v_and_b32_e32 v14, 0x80000000, v12
	v_and_b32_e32 v15, 15, v15
	v_bfe_u32 v16, v12, 27, 4
	v_lshlrev_b32_sdwa v12, v21, v12 dst_sel:DWORD dst_unused:UNUSED_PAD src0_sel:DWORD src1_sel:BYTE_3
	v_sub_u32_e32 v20, 29, v20
	v_and_b32_e32 v12, 7, v12
	v_cmp_eq_u16_e32 vcc, 0, v15
	v_cndmask_b32_e32 v11, v11, v12, vcc
	v_cndmask_b32_e32 v12, v16, v20, vcc
	v_mov_b32_e32 v15, 0x3b800000
	v_lshlrev_b32_e32 v11, 20, v11
	v_lshl_add_u32 v12, v12, 23, v15
	v_or3_b32 v11, v14, v12, v11
.LBB3_352:
	s_or_b64 exec, exec, s[6:7]
	s_nop 0
	v_mfma_f32_16x16x4f32 a[0:3], v10, v11, a[0:3]
	s_movk_i32 s4, 0x7f
	v_cmp_gt_i16_sdwa s[6:7], v17, s4 src0_sel:BYTE_0 src1_sel:DWORD
	s_mov_b64 s[4:5], 0
                                        ; implicit-def: $sgpr10
	s_and_saveexec_b64 s[8:9], s[6:7]
	s_xor_b64 s[6:7], exec, s[8:9]
	s_cbranch_execnz .LBB3_2401
; %bb.353:
	s_or_saveexec_b64 s[6:7], s[6:7]
	v_mov_b32_e32 v10, s10
	s_xor_b64 exec, exec, s[6:7]
	s_cbranch_execnz .LBB3_2404
.LBB3_354:
	s_or_b64 exec, exec, s[6:7]
	s_and_saveexec_b64 s[6:7], s[4:5]
	s_cbranch_execz .LBB3_356
.LBB3_355:
	v_and_b32_e32 v10, 7, v17
	v_ffbh_u32_e32 v12, v10
	v_min_u32_e32 v12, 32, v12
	v_lshrrev_b16_e32 v11, 3, v17
	v_subrev_u32_e32 v14, 28, v12
	v_and_b32_e32 v11, 15, v11
	v_lshlrev_b32_e32 v14, v14, v17
	v_sub_u32_e32 v12, 29, v12
	v_and_b32_e32 v14, 7, v14
	v_cmp_eq_u16_e32 vcc, 0, v11
	v_cndmask_b32_e32 v10, v10, v14, vcc
	v_cndmask_b32_e32 v11, v11, v12, vcc
	v_lshlrev_b32_e32 v12, 24, v17
	v_mov_b32_e32 v14, 0x3b800000
	v_lshlrev_b32_e32 v10, 20, v10
	v_and_b32_e32 v12, 0x80000000, v12
	v_lshl_add_u32 v11, v11, 23, v14
	v_or3_b32 v10, v12, v11, v10
.LBB3_356:
	s_or_b64 exec, exec, s[6:7]
	s_movk_i32 s4, 0x7f
	v_cmp_gt_i16_sdwa s[6:7], v13, s4 src0_sel:BYTE_0 src1_sel:DWORD
	s_mov_b64 s[4:5], 0
                                        ; implicit-def: $sgpr10
	s_and_saveexec_b64 s[8:9], s[6:7]
	s_xor_b64 s[6:7], exec, s[8:9]
	s_cbranch_execnz .LBB3_2405
; %bb.357:
	s_or_saveexec_b64 s[6:7], s[6:7]
	v_mov_b32_e32 v11, s10
	s_xor_b64 exec, exec, s[6:7]
	s_cbranch_execnz .LBB3_2408
.LBB3_358:
	s_or_b64 exec, exec, s[6:7]
	s_and_saveexec_b64 s[6:7], s[4:5]
	s_cbranch_execz .LBB3_360
.LBB3_359:
	v_and_b32_e32 v11, 7, v13
	v_ffbh_u32_e32 v14, v11
	v_min_u32_e32 v14, 32, v14
	v_lshrrev_b16_e32 v12, 3, v13
	v_subrev_u32_e32 v15, 28, v14
	v_and_b32_e32 v12, 15, v12
	v_lshlrev_b32_e32 v15, v15, v13
	v_sub_u32_e32 v14, 29, v14
	v_and_b32_e32 v15, 7, v15
	v_cmp_eq_u16_e32 vcc, 0, v12
	v_cndmask_b32_e32 v11, v11, v15, vcc
	v_cndmask_b32_e32 v12, v12, v14, vcc
	v_lshlrev_b32_e32 v14, 24, v13
	v_mov_b32_e32 v15, 0x3b800000
	v_lshlrev_b32_e32 v11, 20, v11
	v_and_b32_e32 v14, 0x80000000, v14
	v_lshl_add_u32 v12, v12, 23, v15
	v_or3_b32 v11, v14, v12, v11
.LBB3_360:
	s_or_b64 exec, exec, s[6:7]
	s_nop 0
	v_mfma_f32_16x16x4f32 a[0:3], v10, v11, a[0:3]
	v_lshrrev_b32_e32 v11, 8, v17
	s_movk_i32 s4, 0x7f
	v_cmp_gt_i16_sdwa s[6:7], v11, s4 src0_sel:BYTE_0 src1_sel:DWORD
	s_mov_b64 s[4:5], 0
                                        ; implicit-def: $sgpr10
	s_and_saveexec_b64 s[8:9], s[6:7]
	s_xor_b64 s[6:7], exec, s[8:9]
	s_cbranch_execnz .LBB3_2409
; %bb.361:
	s_or_saveexec_b64 s[6:7], s[6:7]
	v_mov_b32_e32 v10, s10
	s_xor_b64 exec, exec, s[6:7]
	s_cbranch_execnz .LBB3_2412
.LBB3_362:
	s_or_b64 exec, exec, s[6:7]
	s_and_saveexec_b64 s[6:7], s[4:5]
	s_cbranch_execz .LBB3_364
.LBB3_363:
	v_bfe_u32 v10, v17, 8, 3
	v_ffbh_u32_e32 v14, v10
	v_min_u32_e32 v14, 32, v14
	v_lshrrev_b16_e32 v12, 3, v11
	v_subrev_u32_e32 v15, 28, v14
	v_and_b32_e32 v12, 15, v12
	v_lshlrev_b32_e32 v11, v15, v11
	v_sub_u32_e32 v14, 29, v14
	v_and_b32_e32 v11, 7, v11
	v_cmp_eq_u16_e32 vcc, 0, v12
	v_cndmask_b32_e32 v10, v10, v11, vcc
	v_cndmask_b32_e32 v11, v12, v14, vcc
	v_lshlrev_b32_e32 v12, 16, v17
	v_mov_b32_e32 v14, 0x3b800000
	v_lshlrev_b32_e32 v10, 20, v10
	v_and_b32_e32 v12, 0x80000000, v12
	v_lshl_add_u32 v11, v11, 23, v14
	v_or3_b32 v10, v12, v11, v10
.LBB3_364:
	s_or_b64 exec, exec, s[6:7]
	v_lshrrev_b32_e32 v11, 8, v13
	s_movk_i32 s4, 0x7f
	v_cmp_gt_i16_sdwa s[6:7], v11, s4 src0_sel:BYTE_0 src1_sel:DWORD
	s_mov_b64 s[4:5], 0
                                        ; implicit-def: $sgpr10
	s_and_saveexec_b64 s[8:9], s[6:7]
	s_xor_b64 s[6:7], exec, s[8:9]
	s_cbranch_execnz .LBB3_2413
; %bb.365:
	s_or_saveexec_b64 s[6:7], s[6:7]
	v_mov_b32_e32 v12, s10
	s_xor_b64 exec, exec, s[6:7]
	s_cbranch_execnz .LBB3_2416
.LBB3_366:
	s_or_b64 exec, exec, s[6:7]
	s_and_saveexec_b64 s[6:7], s[4:5]
	s_cbranch_execz .LBB3_368
.LBB3_367:
	v_bfe_u32 v12, v13, 8, 3
	v_ffbh_u32_e32 v15, v12
	v_min_u32_e32 v15, 32, v15
	v_lshrrev_b16_e32 v14, 3, v11
	v_subrev_u32_e32 v16, 28, v15
	v_and_b32_e32 v14, 15, v14
	v_lshlrev_b32_e32 v11, v16, v11
	v_sub_u32_e32 v15, 29, v15
	v_and_b32_e32 v11, 7, v11
	v_cmp_eq_u16_e32 vcc, 0, v14
	v_cndmask_b32_e32 v11, v12, v11, vcc
	v_cndmask_b32_e32 v12, v14, v15, vcc
	v_lshlrev_b32_e32 v14, 16, v13
	v_mov_b32_e32 v15, 0x3b800000
	v_lshlrev_b32_e32 v11, 20, v11
	v_and_b32_e32 v14, 0x80000000, v14
	v_lshl_add_u32 v12, v12, 23, v15
	v_or3_b32 v12, v14, v12, v11
.LBB3_368:
	s_or_b64 exec, exec, s[6:7]
	s_nop 0
	v_mfma_f32_16x16x4f32 a[0:3], v10, v12, a[0:3]
	s_movk_i32 s4, 0xff
	v_and_b32_sdwa v11, v17, s4 dst_sel:DWORD dst_unused:UNUSED_PAD src0_sel:WORD_1 src1_sel:DWORD
	s_movk_i32 s4, 0x7f
	v_cmp_lt_i16_e32 vcc, s4, v11
	s_mov_b64 s[4:5], 0
                                        ; implicit-def: $sgpr10
	s_and_saveexec_b64 s[6:7], vcc
	s_xor_b64 s[6:7], exec, s[6:7]
	s_cbranch_execnz .LBB3_2417
; %bb.369:
	s_or_saveexec_b64 s[6:7], s[6:7]
	v_mov_b32_e32 v10, s10
	s_xor_b64 exec, exec, s[6:7]
	s_cbranch_execnz .LBB3_2420
.LBB3_370:
	s_or_b64 exec, exec, s[6:7]
	s_and_saveexec_b64 s[6:7], s[4:5]
	s_cbranch_execz .LBB3_372
.LBB3_371:
	v_bfe_u32 v10, v17, 16, 3
	v_ffbh_u32_e32 v14, v10
	v_min_u32_e32 v14, 32, v14
	v_lshrrev_b32_e32 v11, 19, v17
	v_subrev_u32_e32 v15, 28, v14
	v_and_b32_e32 v11, 15, v11
	v_lshlrev_b32_sdwa v15, v15, v17 dst_sel:DWORD dst_unused:UNUSED_PAD src0_sel:DWORD src1_sel:WORD_1
	v_bfe_u32 v12, v17, 19, 4
	v_sub_u32_e32 v14, 29, v14
	v_and_b32_e32 v15, 7, v15
	v_cmp_eq_u16_e32 vcc, 0, v11
	v_cndmask_b32_e32 v10, v10, v15, vcc
	v_cndmask_b32_e32 v11, v12, v14, vcc
	v_lshlrev_b32_e32 v12, 8, v17
	v_mov_b32_e32 v14, 0x3b800000
	v_lshlrev_b32_e32 v10, 20, v10
	v_and_b32_e32 v12, 0x80000000, v12
	v_lshl_add_u32 v11, v11, 23, v14
	v_or3_b32 v10, v12, v11, v10
.LBB3_372:
	s_or_b64 exec, exec, s[6:7]
	s_movk_i32 s4, 0xff
	v_and_b32_sdwa v11, v13, s4 dst_sel:DWORD dst_unused:UNUSED_PAD src0_sel:WORD_1 src1_sel:DWORD
	s_movk_i32 s4, 0x7f
	v_cmp_lt_i16_e32 vcc, s4, v11
	s_mov_b64 s[4:5], 0
                                        ; implicit-def: $sgpr10
	s_and_saveexec_b64 s[6:7], vcc
	s_xor_b64 s[6:7], exec, s[6:7]
	s_cbranch_execnz .LBB3_2421
; %bb.373:
	s_or_saveexec_b64 s[6:7], s[6:7]
	v_mov_b32_e32 v12, s10
	s_xor_b64 exec, exec, s[6:7]
	s_cbranch_execnz .LBB3_2424
.LBB3_374:
	s_or_b64 exec, exec, s[6:7]
	s_and_saveexec_b64 s[6:7], s[4:5]
	s_cbranch_execz .LBB3_376
.LBB3_375:
	v_bfe_u32 v11, v13, 16, 3
	v_ffbh_u32_e32 v15, v11
	v_min_u32_e32 v15, 32, v15
	v_lshrrev_b32_e32 v12, 19, v13
	v_subrev_u32_e32 v16, 28, v15
	v_and_b32_e32 v12, 15, v12
	v_lshlrev_b32_sdwa v16, v16, v13 dst_sel:DWORD dst_unused:UNUSED_PAD src0_sel:DWORD src1_sel:WORD_1
	v_bfe_u32 v14, v13, 19, 4
	v_sub_u32_e32 v15, 29, v15
	v_and_b32_e32 v16, 7, v16
	v_cmp_eq_u16_e32 vcc, 0, v12
	v_cndmask_b32_e32 v11, v11, v16, vcc
	v_cndmask_b32_e32 v12, v14, v15, vcc
	v_lshlrev_b32_e32 v14, 8, v13
	v_mov_b32_e32 v15, 0x3b800000
	v_lshlrev_b32_e32 v11, 20, v11
	v_and_b32_e32 v14, 0x80000000, v14
	v_lshl_add_u32 v12, v12, 23, v15
	v_or3_b32 v12, v14, v12, v11
.LBB3_376:
	s_or_b64 exec, exec, s[6:7]
	s_nop 0
	v_mfma_f32_16x16x4f32 a[0:3], v10, v12, a[0:3]
	s_movk_i32 s4, 0x7f
	v_cmp_gt_i16_sdwa s[6:7], v17, s4 src0_sel:BYTE_3 src1_sel:DWORD
	s_mov_b64 s[4:5], 0
                                        ; implicit-def: $sgpr10
	s_and_saveexec_b64 s[8:9], s[6:7]
	s_xor_b64 s[6:7], exec, s[8:9]
	s_cbranch_execnz .LBB3_2425
; %bb.377:
	s_or_saveexec_b64 s[6:7], s[6:7]
	v_mov_b32_e32 v10, s10
	s_xor_b64 exec, exec, s[6:7]
	s_cbranch_execnz .LBB3_2428
.LBB3_378:
	s_or_b64 exec, exec, s[6:7]
	s_and_saveexec_b64 s[6:7], s[4:5]
	s_cbranch_execz .LBB3_380
.LBB3_379:
	v_bfe_u32 v10, v17, 24, 3
	v_ffbh_u32_e32 v15, v10
	v_min_u32_e32 v15, 32, v15
	v_lshrrev_b32_e32 v12, 27, v17
	v_subrev_u32_e32 v16, 28, v15
	v_and_b32_e32 v12, 15, v12
	v_lshlrev_b32_sdwa v16, v16, v17 dst_sel:DWORD dst_unused:UNUSED_PAD src0_sel:DWORD src1_sel:BYTE_3
	v_bfe_u32 v14, v17, 27, 4
	v_sub_u32_e32 v15, 29, v15
	v_and_b32_e32 v16, 7, v16
	v_cmp_eq_u16_e32 vcc, 0, v12
	v_cndmask_b32_e32 v10, v10, v16, vcc
	v_cndmask_b32_e32 v12, v14, v15, vcc
	v_mov_b32_e32 v14, 0x3b800000
	v_and_b32_e32 v11, 0x80000000, v17
	v_lshlrev_b32_e32 v10, 20, v10
	v_lshl_add_u32 v12, v12, 23, v14
	v_or3_b32 v10, v11, v12, v10
.LBB3_380:
	s_or_b64 exec, exec, s[6:7]
	s_movk_i32 s4, 0x7f
	v_cmp_gt_i16_sdwa s[6:7], v13, s4 src0_sel:BYTE_3 src1_sel:DWORD
	s_mov_b64 s[4:5], 0
                                        ; implicit-def: $sgpr10
	s_and_saveexec_b64 s[8:9], s[6:7]
	s_xor_b64 s[6:7], exec, s[8:9]
	s_cbranch_execnz .LBB3_2429
; %bb.381:
	s_or_saveexec_b64 s[6:7], s[6:7]
	v_mov_b32_e32 v11, s10
	s_xor_b64 exec, exec, s[6:7]
	s_cbranch_execnz .LBB3_2432
.LBB3_382:
	s_or_b64 exec, exec, s[6:7]
	s_and_saveexec_b64 s[6:7], s[4:5]
	s_cbranch_execz .LBB3_384
.LBB3_383:
	v_bfe_u32 v11, v13, 24, 3
	v_ffbh_u32_e32 v16, v11
	v_min_u32_e32 v16, 32, v16
	v_lshrrev_b32_e32 v14, 27, v13
	v_subrev_u32_e32 v17, 28, v16
	v_and_b32_e32 v12, 0x80000000, v13
	v_and_b32_e32 v14, 15, v14
	v_bfe_u32 v15, v13, 27, 4
	v_lshlrev_b32_sdwa v13, v17, v13 dst_sel:DWORD dst_unused:UNUSED_PAD src0_sel:DWORD src1_sel:BYTE_3
	v_sub_u32_e32 v16, 29, v16
	v_and_b32_e32 v13, 7, v13
	v_cmp_eq_u16_e32 vcc, 0, v14
	v_cndmask_b32_e32 v11, v11, v13, vcc
	v_cndmask_b32_e32 v13, v15, v16, vcc
	v_mov_b32_e32 v14, 0x3b800000
	v_lshlrev_b32_e32 v11, 20, v11
	v_lshl_add_u32 v13, v13, 23, v14
	v_or3_b32 v11, v12, v13, v11
.LBB3_384:
	s_or_b64 exec, exec, s[6:7]
	s_nop 0
	v_mfma_f32_16x16x4f32 a[0:3], v10, v11, a[0:3]
	s_movk_i32 s4, 0x7f
	v_cmp_gt_i16_sdwa s[6:7], v6, s4 src0_sel:BYTE_0 src1_sel:DWORD
	s_mov_b64 s[4:5], 0
                                        ; implicit-def: $sgpr10
	s_and_saveexec_b64 s[8:9], s[6:7]
	s_xor_b64 s[6:7], exec, s[8:9]
	s_cbranch_execnz .LBB3_2433
; %bb.385:
	s_or_saveexec_b64 s[6:7], s[6:7]
	v_mov_b32_e32 v10, s10
	s_xor_b64 exec, exec, s[6:7]
	s_cbranch_execnz .LBB3_2436
.LBB3_386:
	s_or_b64 exec, exec, s[6:7]
	s_and_saveexec_b64 s[6:7], s[4:5]
	s_cbranch_execz .LBB3_388
.LBB3_387:
	v_and_b32_e32 v10, 7, v6
	v_ffbh_u32_e32 v12, v10
	v_min_u32_e32 v12, 32, v12
	v_lshrrev_b16_e32 v11, 3, v6
	v_subrev_u32_e32 v13, 28, v12
	v_and_b32_e32 v11, 15, v11
	v_lshlrev_b32_e32 v13, v13, v6
	v_sub_u32_e32 v12, 29, v12
	v_and_b32_e32 v13, 7, v13
	v_cmp_eq_u16_e32 vcc, 0, v11
	v_cndmask_b32_e32 v10, v10, v13, vcc
	v_cndmask_b32_e32 v11, v11, v12, vcc
	v_lshlrev_b32_e32 v12, 24, v6
	v_mov_b32_e32 v13, 0x3b800000
	v_lshlrev_b32_e32 v10, 20, v10
	v_and_b32_e32 v12, 0x80000000, v12
	v_lshl_add_u32 v11, v11, 23, v13
	v_or3_b32 v10, v12, v11, v10
.LBB3_388:
	s_or_b64 exec, exec, s[6:7]
	s_movk_i32 s4, 0x7f
	v_cmp_gt_i16_sdwa s[6:7], v2, s4 src0_sel:BYTE_0 src1_sel:DWORD
	s_mov_b64 s[4:5], 0
                                        ; implicit-def: $sgpr10
	s_and_saveexec_b64 s[8:9], s[6:7]
	s_xor_b64 s[6:7], exec, s[8:9]
	s_cbranch_execnz .LBB3_2437
; %bb.389:
	s_or_saveexec_b64 s[6:7], s[6:7]
	v_mov_b32_e32 v11, s10
	s_xor_b64 exec, exec, s[6:7]
	s_cbranch_execnz .LBB3_2440
.LBB3_390:
	s_or_b64 exec, exec, s[6:7]
	s_and_saveexec_b64 s[6:7], s[4:5]
	s_cbranch_execz .LBB3_392
.LBB3_391:
	v_and_b32_e32 v11, 7, v2
	v_ffbh_u32_e32 v13, v11
	v_min_u32_e32 v13, 32, v13
	v_lshrrev_b16_e32 v12, 3, v2
	v_subrev_u32_e32 v14, 28, v13
	v_and_b32_e32 v12, 15, v12
	v_lshlrev_b32_e32 v14, v14, v2
	v_sub_u32_e32 v13, 29, v13
	v_and_b32_e32 v14, 7, v14
	v_cmp_eq_u16_e32 vcc, 0, v12
	v_cndmask_b32_e32 v11, v11, v14, vcc
	v_cndmask_b32_e32 v12, v12, v13, vcc
	v_lshlrev_b32_e32 v13, 24, v2
	v_mov_b32_e32 v14, 0x3b800000
	v_lshlrev_b32_e32 v11, 20, v11
	v_and_b32_e32 v13, 0x80000000, v13
	v_lshl_add_u32 v12, v12, 23, v14
	v_or3_b32 v11, v13, v12, v11
.LBB3_392:
	s_or_b64 exec, exec, s[6:7]
	s_nop 0
	v_mfma_f32_16x16x4f32 a[0:3], v10, v11, a[0:3]
	v_lshrrev_b32_e32 v11, 8, v6
	s_movk_i32 s4, 0x7f
	v_cmp_gt_i16_sdwa s[6:7], v11, s4 src0_sel:BYTE_0 src1_sel:DWORD
	s_mov_b64 s[4:5], 0
                                        ; implicit-def: $sgpr10
	s_and_saveexec_b64 s[8:9], s[6:7]
	s_xor_b64 s[6:7], exec, s[8:9]
	s_cbranch_execnz .LBB3_2441
; %bb.393:
	s_or_saveexec_b64 s[6:7], s[6:7]
	v_mov_b32_e32 v10, s10
	s_xor_b64 exec, exec, s[6:7]
	s_cbranch_execnz .LBB3_2444
.LBB3_394:
	s_or_b64 exec, exec, s[6:7]
	s_and_saveexec_b64 s[6:7], s[4:5]
	s_cbranch_execz .LBB3_396
.LBB3_395:
	v_bfe_u32 v10, v6, 8, 3
	v_ffbh_u32_e32 v13, v10
	v_min_u32_e32 v13, 32, v13
	v_lshrrev_b16_e32 v12, 3, v11
	v_subrev_u32_e32 v14, 28, v13
	v_and_b32_e32 v12, 15, v12
	v_lshlrev_b32_e32 v11, v14, v11
	v_sub_u32_e32 v13, 29, v13
	v_and_b32_e32 v11, 7, v11
	v_cmp_eq_u16_e32 vcc, 0, v12
	v_cndmask_b32_e32 v10, v10, v11, vcc
	v_cndmask_b32_e32 v11, v12, v13, vcc
	v_lshlrev_b32_e32 v12, 16, v6
	v_mov_b32_e32 v13, 0x3b800000
	v_lshlrev_b32_e32 v10, 20, v10
	v_and_b32_e32 v12, 0x80000000, v12
	v_lshl_add_u32 v11, v11, 23, v13
	v_or3_b32 v10, v12, v11, v10
.LBB3_396:
	s_or_b64 exec, exec, s[6:7]
	v_lshrrev_b32_e32 v11, 8, v2
	s_movk_i32 s4, 0x7f
	v_cmp_gt_i16_sdwa s[6:7], v11, s4 src0_sel:BYTE_0 src1_sel:DWORD
	s_mov_b64 s[4:5], 0
                                        ; implicit-def: $sgpr10
	s_and_saveexec_b64 s[8:9], s[6:7]
	s_xor_b64 s[6:7], exec, s[8:9]
	s_cbranch_execnz .LBB3_2445
; %bb.397:
	s_or_saveexec_b64 s[6:7], s[6:7]
	v_mov_b32_e32 v12, s10
	s_xor_b64 exec, exec, s[6:7]
	s_cbranch_execnz .LBB3_2448
.LBB3_398:
	s_or_b64 exec, exec, s[6:7]
	s_and_saveexec_b64 s[6:7], s[4:5]
	s_cbranch_execz .LBB3_400
.LBB3_399:
	v_bfe_u32 v12, v2, 8, 3
	v_ffbh_u32_e32 v14, v12
	v_min_u32_e32 v14, 32, v14
	v_lshrrev_b16_e32 v13, 3, v11
	v_subrev_u32_e32 v15, 28, v14
	v_and_b32_e32 v13, 15, v13
	v_lshlrev_b32_e32 v11, v15, v11
	v_sub_u32_e32 v14, 29, v14
	v_and_b32_e32 v11, 7, v11
	v_cmp_eq_u16_e32 vcc, 0, v13
	v_cndmask_b32_e32 v11, v12, v11, vcc
	v_cndmask_b32_e32 v12, v13, v14, vcc
	v_lshlrev_b32_e32 v13, 16, v2
	v_mov_b32_e32 v14, 0x3b800000
	v_lshlrev_b32_e32 v11, 20, v11
	v_and_b32_e32 v13, 0x80000000, v13
	v_lshl_add_u32 v12, v12, 23, v14
	v_or3_b32 v12, v13, v12, v11
.LBB3_400:
	s_or_b64 exec, exec, s[6:7]
	s_nop 0
	v_mfma_f32_16x16x4f32 a[0:3], v10, v12, a[0:3]
	s_movk_i32 s4, 0xff
	v_and_b32_sdwa v11, v6, s4 dst_sel:DWORD dst_unused:UNUSED_PAD src0_sel:WORD_1 src1_sel:DWORD
	s_movk_i32 s4, 0x7f
	v_cmp_lt_i16_e32 vcc, s4, v11
	s_mov_b64 s[4:5], 0
                                        ; implicit-def: $sgpr10
	s_and_saveexec_b64 s[6:7], vcc
	s_xor_b64 s[6:7], exec, s[6:7]
	s_cbranch_execnz .LBB3_2449
; %bb.401:
	s_or_saveexec_b64 s[6:7], s[6:7]
	v_mov_b32_e32 v10, s10
	s_xor_b64 exec, exec, s[6:7]
	s_cbranch_execnz .LBB3_2452
.LBB3_402:
	s_or_b64 exec, exec, s[6:7]
	s_and_saveexec_b64 s[6:7], s[4:5]
	s_cbranch_execz .LBB3_404
.LBB3_403:
	v_bfe_u32 v10, v6, 16, 3
	v_ffbh_u32_e32 v13, v10
	v_min_u32_e32 v13, 32, v13
	v_lshrrev_b32_e32 v11, 19, v6
	v_subrev_u32_e32 v14, 28, v13
	v_and_b32_e32 v11, 15, v11
	v_lshlrev_b32_sdwa v14, v14, v6 dst_sel:DWORD dst_unused:UNUSED_PAD src0_sel:DWORD src1_sel:WORD_1
	v_bfe_u32 v12, v6, 19, 4
	v_sub_u32_e32 v13, 29, v13
	v_and_b32_e32 v14, 7, v14
	v_cmp_eq_u16_e32 vcc, 0, v11
	v_cndmask_b32_e32 v10, v10, v14, vcc
	v_cndmask_b32_e32 v11, v12, v13, vcc
	v_lshlrev_b32_e32 v12, 8, v6
	v_mov_b32_e32 v13, 0x3b800000
	v_lshlrev_b32_e32 v10, 20, v10
	v_and_b32_e32 v12, 0x80000000, v12
	v_lshl_add_u32 v11, v11, 23, v13
	v_or3_b32 v10, v12, v11, v10
.LBB3_404:
	s_or_b64 exec, exec, s[6:7]
	s_movk_i32 s4, 0xff
	v_and_b32_sdwa v11, v2, s4 dst_sel:DWORD dst_unused:UNUSED_PAD src0_sel:WORD_1 src1_sel:DWORD
	s_movk_i32 s4, 0x7f
	v_cmp_lt_i16_e32 vcc, s4, v11
	s_mov_b64 s[4:5], 0
                                        ; implicit-def: $sgpr10
	s_and_saveexec_b64 s[6:7], vcc
	s_xor_b64 s[6:7], exec, s[6:7]
	s_cbranch_execnz .LBB3_2453
; %bb.405:
	s_or_saveexec_b64 s[6:7], s[6:7]
	v_mov_b32_e32 v12, s10
	s_xor_b64 exec, exec, s[6:7]
	s_cbranch_execnz .LBB3_2456
.LBB3_406:
	s_or_b64 exec, exec, s[6:7]
	s_and_saveexec_b64 s[6:7], s[4:5]
	s_cbranch_execz .LBB3_408
.LBB3_407:
	v_bfe_u32 v11, v2, 16, 3
	v_ffbh_u32_e32 v14, v11
	v_min_u32_e32 v14, 32, v14
	v_lshrrev_b32_e32 v12, 19, v2
	v_subrev_u32_e32 v15, 28, v14
	v_and_b32_e32 v12, 15, v12
	v_lshlrev_b32_sdwa v15, v15, v2 dst_sel:DWORD dst_unused:UNUSED_PAD src0_sel:DWORD src1_sel:WORD_1
	v_bfe_u32 v13, v2, 19, 4
	v_sub_u32_e32 v14, 29, v14
	v_and_b32_e32 v15, 7, v15
	v_cmp_eq_u16_e32 vcc, 0, v12
	v_cndmask_b32_e32 v11, v11, v15, vcc
	v_cndmask_b32_e32 v12, v13, v14, vcc
	v_lshlrev_b32_e32 v13, 8, v2
	v_mov_b32_e32 v14, 0x3b800000
	v_lshlrev_b32_e32 v11, 20, v11
	v_and_b32_e32 v13, 0x80000000, v13
	v_lshl_add_u32 v12, v12, 23, v14
	v_or3_b32 v12, v13, v12, v11
.LBB3_408:
	s_or_b64 exec, exec, s[6:7]
	s_nop 0
	v_mfma_f32_16x16x4f32 a[0:3], v10, v12, a[0:3]
	s_movk_i32 s4, 0x7f
	v_cmp_gt_i16_sdwa s[6:7], v6, s4 src0_sel:BYTE_3 src1_sel:DWORD
	s_mov_b64 s[4:5], 0
                                        ; implicit-def: $sgpr10
	s_and_saveexec_b64 s[8:9], s[6:7]
	s_xor_b64 s[6:7], exec, s[8:9]
	s_cbranch_execnz .LBB3_2457
; %bb.409:
	s_or_saveexec_b64 s[6:7], s[6:7]
	v_mov_b32_e32 v10, s10
	s_xor_b64 exec, exec, s[6:7]
	s_cbranch_execnz .LBB3_2460
.LBB3_410:
	s_or_b64 exec, exec, s[6:7]
	s_and_saveexec_b64 s[6:7], s[4:5]
	s_cbranch_execz .LBB3_412
.LBB3_411:
	v_bfe_u32 v10, v6, 24, 3
	v_ffbh_u32_e32 v14, v10
	v_min_u32_e32 v14, 32, v14
	v_lshrrev_b32_e32 v12, 27, v6
	v_subrev_u32_e32 v15, 28, v14
	v_and_b32_e32 v11, 0x80000000, v6
	v_and_b32_e32 v12, 15, v12
	v_bfe_u32 v13, v6, 27, 4
	v_lshlrev_b32_sdwa v6, v15, v6 dst_sel:DWORD dst_unused:UNUSED_PAD src0_sel:DWORD src1_sel:BYTE_3
	v_sub_u32_e32 v14, 29, v14
	v_and_b32_e32 v6, 7, v6
	v_cmp_eq_u16_e32 vcc, 0, v12
	v_cndmask_b32_e32 v6, v10, v6, vcc
	v_cndmask_b32_e32 v10, v13, v14, vcc
	v_mov_b32_e32 v12, 0x3b800000
	v_lshlrev_b32_e32 v6, 20, v6
	v_lshl_add_u32 v10, v10, 23, v12
	v_or3_b32 v10, v11, v10, v6
.LBB3_412:
	s_or_b64 exec, exec, s[6:7]
	s_movk_i32 s4, 0x7f
	v_cmp_gt_i16_sdwa s[6:7], v2, s4 src0_sel:BYTE_3 src1_sel:DWORD
	s_mov_b64 s[4:5], 0
                                        ; implicit-def: $sgpr10
	s_and_saveexec_b64 s[8:9], s[6:7]
	s_xor_b64 s[6:7], exec, s[8:9]
	s_cbranch_execnz .LBB3_2461
; %bb.413:
	s_or_saveexec_b64 s[6:7], s[6:7]
	v_mov_b32_e32 v6, s10
	s_xor_b64 exec, exec, s[6:7]
	s_cbranch_execnz .LBB3_2464
.LBB3_414:
	s_or_b64 exec, exec, s[6:7]
	s_and_saveexec_b64 s[6:7], s[4:5]
	s_cbranch_execz .LBB3_416
.LBB3_415:
	v_bfe_u32 v6, v2, 24, 3
	v_ffbh_u32_e32 v14, v6
	v_min_u32_e32 v14, 32, v14
	v_lshrrev_b32_e32 v12, 27, v2
	v_subrev_u32_e32 v15, 28, v14
	v_and_b32_e32 v11, 0x80000000, v2
	v_and_b32_e32 v12, 15, v12
	v_bfe_u32 v13, v2, 27, 4
	v_lshlrev_b32_sdwa v2, v15, v2 dst_sel:DWORD dst_unused:UNUSED_PAD src0_sel:DWORD src1_sel:BYTE_3
	v_sub_u32_e32 v14, 29, v14
	v_and_b32_e32 v2, 7, v2
	v_cmp_eq_u16_e32 vcc, 0, v12
	v_cndmask_b32_e32 v2, v6, v2, vcc
	v_cndmask_b32_e32 v6, v13, v14, vcc
	v_mov_b32_e32 v12, 0x3b800000
	v_lshlrev_b32_e32 v2, 20, v2
	v_lshl_add_u32 v6, v6, 23, v12
	v_or3_b32 v6, v11, v6, v2
.LBB3_416:
	s_or_b64 exec, exec, s[6:7]
	s_nop 0
	v_mfma_f32_16x16x4f32 a[0:3], v10, v6, a[0:3]
	s_movk_i32 s4, 0x7f
	v_cmp_gt_i16_sdwa s[6:7], v7, s4 src0_sel:BYTE_0 src1_sel:DWORD
	s_mov_b64 s[4:5], 0
                                        ; implicit-def: $sgpr10
	s_and_saveexec_b64 s[8:9], s[6:7]
	s_xor_b64 s[6:7], exec, s[8:9]
	s_cbranch_execnz .LBB3_2465
; %bb.417:
	s_or_saveexec_b64 s[6:7], s[6:7]
	v_mov_b32_e32 v2, s10
	s_xor_b64 exec, exec, s[6:7]
	s_cbranch_execnz .LBB3_2468
.LBB3_418:
	s_or_b64 exec, exec, s[6:7]
	s_and_saveexec_b64 s[6:7], s[4:5]
	s_cbranch_execz .LBB3_420
.LBB3_419:
	v_and_b32_e32 v2, 7, v7
	v_ffbh_u32_e32 v10, v2
	v_min_u32_e32 v10, 32, v10
	v_lshrrev_b16_e32 v6, 3, v7
	v_subrev_u32_e32 v11, 28, v10
	v_and_b32_e32 v6, 15, v6
	v_lshlrev_b32_e32 v11, v11, v7
	v_sub_u32_e32 v10, 29, v10
	v_and_b32_e32 v11, 7, v11
	v_cmp_eq_u16_e32 vcc, 0, v6
	v_cndmask_b32_e32 v2, v2, v11, vcc
	v_cndmask_b32_e32 v6, v6, v10, vcc
	v_lshlrev_b32_e32 v10, 24, v7
	v_mov_b32_e32 v11, 0x3b800000
	v_lshlrev_b32_e32 v2, 20, v2
	v_and_b32_e32 v10, 0x80000000, v10
	v_lshl_add_u32 v6, v6, 23, v11
	v_or3_b32 v2, v10, v6, v2
.LBB3_420:
	s_or_b64 exec, exec, s[6:7]
	s_movk_i32 s4, 0x7f
	v_cmp_gt_i16_sdwa s[6:7], v3, s4 src0_sel:BYTE_0 src1_sel:DWORD
	s_mov_b64 s[4:5], 0
                                        ; implicit-def: $sgpr10
	s_and_saveexec_b64 s[8:9], s[6:7]
	s_xor_b64 s[6:7], exec, s[8:9]
	s_cbranch_execnz .LBB3_2469
; %bb.421:
	s_or_saveexec_b64 s[6:7], s[6:7]
	v_mov_b32_e32 v6, s10
	s_xor_b64 exec, exec, s[6:7]
	s_cbranch_execnz .LBB3_2472
.LBB3_422:
	s_or_b64 exec, exec, s[6:7]
	s_and_saveexec_b64 s[6:7], s[4:5]
	s_cbranch_execz .LBB3_424
.LBB3_423:
	v_and_b32_e32 v6, 7, v3
	v_ffbh_u32_e32 v11, v6
	v_min_u32_e32 v11, 32, v11
	v_lshrrev_b16_e32 v10, 3, v3
	v_subrev_u32_e32 v12, 28, v11
	v_and_b32_e32 v10, 15, v10
	v_lshlrev_b32_e32 v12, v12, v3
	v_sub_u32_e32 v11, 29, v11
	v_and_b32_e32 v12, 7, v12
	v_cmp_eq_u16_e32 vcc, 0, v10
	v_cndmask_b32_e32 v6, v6, v12, vcc
	v_cndmask_b32_e32 v10, v10, v11, vcc
	v_lshlrev_b32_e32 v11, 24, v3
	v_mov_b32_e32 v12, 0x3b800000
	v_lshlrev_b32_e32 v6, 20, v6
	v_and_b32_e32 v11, 0x80000000, v11
	v_lshl_add_u32 v10, v10, 23, v12
	v_or3_b32 v6, v11, v10, v6
.LBB3_424:
	s_or_b64 exec, exec, s[6:7]
	s_nop 0
	v_mfma_f32_16x16x4f32 a[0:3], v2, v6, a[0:3]
	v_lshrrev_b32_e32 v6, 8, v7
	s_movk_i32 s4, 0x7f
	v_cmp_gt_i16_sdwa s[6:7], v6, s4 src0_sel:BYTE_0 src1_sel:DWORD
	s_mov_b64 s[4:5], 0
                                        ; implicit-def: $sgpr10
	s_and_saveexec_b64 s[8:9], s[6:7]
	s_xor_b64 s[6:7], exec, s[8:9]
	s_cbranch_execnz .LBB3_2473
; %bb.425:
	s_or_saveexec_b64 s[6:7], s[6:7]
	v_mov_b32_e32 v2, s10
	s_xor_b64 exec, exec, s[6:7]
	s_cbranch_execnz .LBB3_2476
.LBB3_426:
	s_or_b64 exec, exec, s[6:7]
	s_and_saveexec_b64 s[6:7], s[4:5]
	s_cbranch_execz .LBB3_428
.LBB3_427:
	v_bfe_u32 v2, v7, 8, 3
	v_ffbh_u32_e32 v11, v2
	v_min_u32_e32 v11, 32, v11
	v_lshrrev_b16_e32 v10, 3, v6
	v_subrev_u32_e32 v12, 28, v11
	v_and_b32_e32 v10, 15, v10
	v_lshlrev_b32_e32 v6, v12, v6
	v_sub_u32_e32 v11, 29, v11
	v_and_b32_e32 v6, 7, v6
	v_cmp_eq_u16_e32 vcc, 0, v10
	v_cndmask_b32_e32 v2, v2, v6, vcc
	v_cndmask_b32_e32 v6, v10, v11, vcc
	v_lshlrev_b32_e32 v10, 16, v7
	v_mov_b32_e32 v11, 0x3b800000
	v_lshlrev_b32_e32 v2, 20, v2
	v_and_b32_e32 v10, 0x80000000, v10
	v_lshl_add_u32 v6, v6, 23, v11
	v_or3_b32 v2, v10, v6, v2
.LBB3_428:
	s_or_b64 exec, exec, s[6:7]
	v_lshrrev_b32_e32 v6, 8, v3
	s_movk_i32 s4, 0x7f
	v_cmp_gt_i16_sdwa s[6:7], v6, s4 src0_sel:BYTE_0 src1_sel:DWORD
	s_mov_b64 s[4:5], 0
                                        ; implicit-def: $sgpr10
	s_and_saveexec_b64 s[8:9], s[6:7]
	s_xor_b64 s[6:7], exec, s[8:9]
	s_cbranch_execnz .LBB3_2477
; %bb.429:
	s_or_saveexec_b64 s[6:7], s[6:7]
	v_mov_b32_e32 v10, s10
	s_xor_b64 exec, exec, s[6:7]
	s_cbranch_execnz .LBB3_2480
.LBB3_430:
	s_or_b64 exec, exec, s[6:7]
	s_and_saveexec_b64 s[6:7], s[4:5]
	s_cbranch_execz .LBB3_432
.LBB3_431:
	v_bfe_u32 v10, v3, 8, 3
	v_ffbh_u32_e32 v12, v10
	v_min_u32_e32 v12, 32, v12
	v_lshrrev_b16_e32 v11, 3, v6
	v_subrev_u32_e32 v13, 28, v12
	v_and_b32_e32 v11, 15, v11
	v_lshlrev_b32_e32 v6, v13, v6
	v_sub_u32_e32 v12, 29, v12
	v_and_b32_e32 v6, 7, v6
	v_cmp_eq_u16_e32 vcc, 0, v11
	v_cndmask_b32_e32 v6, v10, v6, vcc
	v_cndmask_b32_e32 v10, v11, v12, vcc
	v_lshlrev_b32_e32 v11, 16, v3
	v_mov_b32_e32 v12, 0x3b800000
	v_lshlrev_b32_e32 v6, 20, v6
	v_and_b32_e32 v11, 0x80000000, v11
	v_lshl_add_u32 v10, v10, 23, v12
	v_or3_b32 v10, v11, v10, v6
.LBB3_432:
	s_or_b64 exec, exec, s[6:7]
	s_nop 0
	v_mfma_f32_16x16x4f32 a[0:3], v2, v10, a[0:3]
	s_movk_i32 s4, 0xff
	v_and_b32_sdwa v6, v7, s4 dst_sel:DWORD dst_unused:UNUSED_PAD src0_sel:WORD_1 src1_sel:DWORD
	s_movk_i32 s4, 0x7f
	v_cmp_lt_i16_e32 vcc, s4, v6
	s_mov_b64 s[4:5], 0
                                        ; implicit-def: $sgpr10
	s_and_saveexec_b64 s[6:7], vcc
	s_xor_b64 s[6:7], exec, s[6:7]
	s_cbranch_execnz .LBB3_2481
; %bb.433:
	s_or_saveexec_b64 s[6:7], s[6:7]
	v_mov_b32_e32 v2, s10
	s_xor_b64 exec, exec, s[6:7]
	s_cbranch_execnz .LBB3_2484
.LBB3_434:
	s_or_b64 exec, exec, s[6:7]
	s_and_saveexec_b64 s[6:7], s[4:5]
	s_cbranch_execz .LBB3_436
.LBB3_435:
	v_bfe_u32 v2, v7, 16, 3
	v_ffbh_u32_e32 v11, v2
	v_min_u32_e32 v11, 32, v11
	v_lshrrev_b32_e32 v6, 19, v7
	v_subrev_u32_e32 v12, 28, v11
	v_and_b32_e32 v6, 15, v6
	v_lshlrev_b32_sdwa v12, v12, v7 dst_sel:DWORD dst_unused:UNUSED_PAD src0_sel:DWORD src1_sel:WORD_1
	v_bfe_u32 v10, v7, 19, 4
	v_sub_u32_e32 v11, 29, v11
	v_and_b32_e32 v12, 7, v12
	v_cmp_eq_u16_e32 vcc, 0, v6
	v_cndmask_b32_e32 v2, v2, v12, vcc
	v_cndmask_b32_e32 v6, v10, v11, vcc
	v_lshlrev_b32_e32 v10, 8, v7
	v_mov_b32_e32 v11, 0x3b800000
	v_lshlrev_b32_e32 v2, 20, v2
	v_and_b32_e32 v10, 0x80000000, v10
	v_lshl_add_u32 v6, v6, 23, v11
	v_or3_b32 v2, v10, v6, v2
.LBB3_436:
	s_or_b64 exec, exec, s[6:7]
	s_movk_i32 s4, 0xff
	v_and_b32_sdwa v6, v3, s4 dst_sel:DWORD dst_unused:UNUSED_PAD src0_sel:WORD_1 src1_sel:DWORD
	s_movk_i32 s4, 0x7f
	v_cmp_lt_i16_e32 vcc, s4, v6
	s_mov_b64 s[4:5], 0
                                        ; implicit-def: $sgpr10
	s_and_saveexec_b64 s[6:7], vcc
	s_xor_b64 s[6:7], exec, s[6:7]
	s_cbranch_execnz .LBB3_2485
; %bb.437:
	s_or_saveexec_b64 s[6:7], s[6:7]
	v_mov_b32_e32 v10, s10
	s_xor_b64 exec, exec, s[6:7]
	s_cbranch_execnz .LBB3_2488
.LBB3_438:
	s_or_b64 exec, exec, s[6:7]
	s_and_saveexec_b64 s[6:7], s[4:5]
	s_cbranch_execz .LBB3_440
.LBB3_439:
	v_bfe_u32 v6, v3, 16, 3
	v_ffbh_u32_e32 v12, v6
	v_min_u32_e32 v12, 32, v12
	v_lshrrev_b32_e32 v10, 19, v3
	v_subrev_u32_e32 v13, 28, v12
	v_and_b32_e32 v10, 15, v10
	v_lshlrev_b32_sdwa v13, v13, v3 dst_sel:DWORD dst_unused:UNUSED_PAD src0_sel:DWORD src1_sel:WORD_1
	v_bfe_u32 v11, v3, 19, 4
	v_sub_u32_e32 v12, 29, v12
	v_and_b32_e32 v13, 7, v13
	v_cmp_eq_u16_e32 vcc, 0, v10
	v_cndmask_b32_e32 v6, v6, v13, vcc
	v_cndmask_b32_e32 v10, v11, v12, vcc
	v_lshlrev_b32_e32 v11, 8, v3
	v_mov_b32_e32 v12, 0x3b800000
	v_lshlrev_b32_e32 v6, 20, v6
	v_and_b32_e32 v11, 0x80000000, v11
	v_lshl_add_u32 v10, v10, 23, v12
	v_or3_b32 v10, v11, v10, v6
.LBB3_440:
	s_or_b64 exec, exec, s[6:7]
	s_nop 0
	v_mfma_f32_16x16x4f32 a[0:3], v2, v10, a[0:3]
	s_movk_i32 s4, 0x7f
	v_cmp_gt_i16_sdwa s[6:7], v7, s4 src0_sel:BYTE_3 src1_sel:DWORD
	s_mov_b64 s[4:5], 0
                                        ; implicit-def: $sgpr10
	s_and_saveexec_b64 s[8:9], s[6:7]
	s_xor_b64 s[6:7], exec, s[8:9]
	s_cbranch_execnz .LBB3_2489
; %bb.441:
	s_or_saveexec_b64 s[6:7], s[6:7]
	v_mov_b32_e32 v2, s10
	s_xor_b64 exec, exec, s[6:7]
	s_cbranch_execnz .LBB3_2492
.LBB3_442:
	s_or_b64 exec, exec, s[6:7]
	s_and_saveexec_b64 s[6:7], s[4:5]
	s_cbranch_execz .LBB3_444
.LBB3_443:
	v_bfe_u32 v2, v7, 24, 3
	v_ffbh_u32_e32 v12, v2
	v_min_u32_e32 v12, 32, v12
	v_lshrrev_b32_e32 v10, 27, v7
	v_subrev_u32_e32 v13, 28, v12
	v_and_b32_e32 v6, 0x80000000, v7
	v_and_b32_e32 v10, 15, v10
	v_bfe_u32 v11, v7, 27, 4
	v_lshlrev_b32_sdwa v7, v13, v7 dst_sel:DWORD dst_unused:UNUSED_PAD src0_sel:DWORD src1_sel:BYTE_3
	v_sub_u32_e32 v12, 29, v12
	v_and_b32_e32 v7, 7, v7
	v_cmp_eq_u16_e32 vcc, 0, v10
	v_cndmask_b32_e32 v2, v2, v7, vcc
	v_cndmask_b32_e32 v7, v11, v12, vcc
	v_mov_b32_e32 v10, 0x3b800000
	v_lshlrev_b32_e32 v2, 20, v2
	v_lshl_add_u32 v7, v7, 23, v10
	v_or3_b32 v2, v6, v7, v2
.LBB3_444:
	s_or_b64 exec, exec, s[6:7]
	s_movk_i32 s4, 0x7f
	v_cmp_gt_i16_sdwa s[6:7], v3, s4 src0_sel:BYTE_3 src1_sel:DWORD
	s_mov_b64 s[4:5], 0
                                        ; implicit-def: $sgpr10
	s_and_saveexec_b64 s[8:9], s[6:7]
	s_xor_b64 s[6:7], exec, s[8:9]
	s_cbranch_execnz .LBB3_2493
; %bb.445:
	s_or_saveexec_b64 s[6:7], s[6:7]
	v_mov_b32_e32 v6, s10
	s_xor_b64 exec, exec, s[6:7]
	s_cbranch_execnz .LBB3_2496
.LBB3_446:
	s_or_b64 exec, exec, s[6:7]
	s_and_saveexec_b64 s[6:7], s[4:5]
	s_cbranch_execz .LBB3_448
.LBB3_447:
	v_bfe_u32 v6, v3, 24, 3
	v_ffbh_u32_e32 v12, v6
	v_min_u32_e32 v12, 32, v12
	v_lshrrev_b32_e32 v10, 27, v3
	v_subrev_u32_e32 v13, 28, v12
	v_and_b32_e32 v7, 0x80000000, v3
	v_and_b32_e32 v10, 15, v10
	v_bfe_u32 v11, v3, 27, 4
	v_lshlrev_b32_sdwa v3, v13, v3 dst_sel:DWORD dst_unused:UNUSED_PAD src0_sel:DWORD src1_sel:BYTE_3
	v_sub_u32_e32 v12, 29, v12
	v_and_b32_e32 v3, 7, v3
	v_cmp_eq_u16_e32 vcc, 0, v10
	v_cndmask_b32_e32 v3, v6, v3, vcc
	v_cndmask_b32_e32 v6, v11, v12, vcc
	v_mov_b32_e32 v10, 0x3b800000
	v_lshlrev_b32_e32 v3, 20, v3
	v_lshl_add_u32 v6, v6, 23, v10
	v_or3_b32 v6, v7, v6, v3
.LBB3_448:
	s_or_b64 exec, exec, s[6:7]
	s_nop 0
	v_mfma_f32_16x16x4f32 a[0:3], v2, v6, a[0:3]
	s_movk_i32 s4, 0x7f
	v_cmp_gt_i16_sdwa s[6:7], v8, s4 src0_sel:BYTE_0 src1_sel:DWORD
	s_mov_b64 s[4:5], 0
                                        ; implicit-def: $sgpr10
	s_and_saveexec_b64 s[8:9], s[6:7]
	s_xor_b64 s[6:7], exec, s[8:9]
	s_cbranch_execnz .LBB3_2497
; %bb.449:
	s_or_saveexec_b64 s[6:7], s[6:7]
	v_mov_b32_e32 v2, s10
	s_xor_b64 exec, exec, s[6:7]
	s_cbranch_execnz .LBB3_2500
.LBB3_450:
	s_or_b64 exec, exec, s[6:7]
	s_and_saveexec_b64 s[6:7], s[4:5]
	s_cbranch_execz .LBB3_452
.LBB3_451:
	v_and_b32_e32 v2, 7, v8
	v_ffbh_u32_e32 v6, v2
	v_min_u32_e32 v6, 32, v6
	v_lshrrev_b16_e32 v3, 3, v8
	v_subrev_u32_e32 v7, 28, v6
	v_and_b32_e32 v3, 15, v3
	v_lshlrev_b32_e32 v7, v7, v8
	v_sub_u32_e32 v6, 29, v6
	v_and_b32_e32 v7, 7, v7
	v_cmp_eq_u16_e32 vcc, 0, v3
	v_cndmask_b32_e32 v2, v2, v7, vcc
	v_cndmask_b32_e32 v3, v3, v6, vcc
	v_lshlrev_b32_e32 v6, 24, v8
	v_mov_b32_e32 v7, 0x3b800000
	v_lshlrev_b32_e32 v2, 20, v2
	v_and_b32_e32 v6, 0x80000000, v6
	v_lshl_add_u32 v3, v3, 23, v7
	v_or3_b32 v2, v6, v3, v2
.LBB3_452:
	s_or_b64 exec, exec, s[6:7]
	s_movk_i32 s4, 0x7f
	v_cmp_gt_i16_sdwa s[6:7], v4, s4 src0_sel:BYTE_0 src1_sel:DWORD
	s_mov_b64 s[4:5], 0
                                        ; implicit-def: $sgpr10
	s_and_saveexec_b64 s[8:9], s[6:7]
	s_xor_b64 s[6:7], exec, s[8:9]
	s_cbranch_execnz .LBB3_2501
; %bb.453:
	s_or_saveexec_b64 s[6:7], s[6:7]
	v_mov_b32_e32 v3, s10
	s_xor_b64 exec, exec, s[6:7]
	s_cbranch_execnz .LBB3_2504
.LBB3_454:
	s_or_b64 exec, exec, s[6:7]
	s_and_saveexec_b64 s[6:7], s[4:5]
	s_cbranch_execz .LBB3_456
.LBB3_455:
	v_and_b32_e32 v3, 7, v4
	v_ffbh_u32_e32 v7, v3
	v_min_u32_e32 v7, 32, v7
	v_lshrrev_b16_e32 v6, 3, v4
	v_subrev_u32_e32 v10, 28, v7
	v_and_b32_e32 v6, 15, v6
	v_lshlrev_b32_e32 v10, v10, v4
	v_sub_u32_e32 v7, 29, v7
	v_and_b32_e32 v10, 7, v10
	v_cmp_eq_u16_e32 vcc, 0, v6
	v_cndmask_b32_e32 v3, v3, v10, vcc
	v_cndmask_b32_e32 v6, v6, v7, vcc
	v_lshlrev_b32_e32 v7, 24, v4
	v_mov_b32_e32 v10, 0x3b800000
	v_lshlrev_b32_e32 v3, 20, v3
	v_and_b32_e32 v7, 0x80000000, v7
	v_lshl_add_u32 v6, v6, 23, v10
	v_or3_b32 v3, v7, v6, v3
.LBB3_456:
	s_or_b64 exec, exec, s[6:7]
	s_nop 0
	v_mfma_f32_16x16x4f32 a[0:3], v2, v3, a[0:3]
	v_lshrrev_b32_e32 v3, 8, v8
	s_movk_i32 s4, 0x7f
	v_cmp_gt_i16_sdwa s[6:7], v3, s4 src0_sel:BYTE_0 src1_sel:DWORD
	s_mov_b64 s[4:5], 0
                                        ; implicit-def: $sgpr10
	s_and_saveexec_b64 s[8:9], s[6:7]
	s_xor_b64 s[6:7], exec, s[8:9]
	s_cbranch_execnz .LBB3_2505
; %bb.457:
	s_or_saveexec_b64 s[6:7], s[6:7]
	v_mov_b32_e32 v2, s10
	s_xor_b64 exec, exec, s[6:7]
	s_cbranch_execnz .LBB3_2508
.LBB3_458:
	s_or_b64 exec, exec, s[6:7]
	s_and_saveexec_b64 s[6:7], s[4:5]
	s_cbranch_execz .LBB3_460
.LBB3_459:
	v_bfe_u32 v2, v8, 8, 3
	v_ffbh_u32_e32 v7, v2
	v_min_u32_e32 v7, 32, v7
	v_lshrrev_b16_e32 v6, 3, v3
	v_subrev_u32_e32 v10, 28, v7
	v_and_b32_e32 v6, 15, v6
	v_lshlrev_b32_e32 v3, v10, v3
	v_sub_u32_e32 v7, 29, v7
	v_and_b32_e32 v3, 7, v3
	v_cmp_eq_u16_e32 vcc, 0, v6
	v_cndmask_b32_e32 v2, v2, v3, vcc
	v_cndmask_b32_e32 v3, v6, v7, vcc
	v_lshlrev_b32_e32 v6, 16, v8
	v_mov_b32_e32 v7, 0x3b800000
	v_lshlrev_b32_e32 v2, 20, v2
	v_and_b32_e32 v6, 0x80000000, v6
	v_lshl_add_u32 v3, v3, 23, v7
	v_or3_b32 v2, v6, v3, v2
.LBB3_460:
	s_or_b64 exec, exec, s[6:7]
	v_lshrrev_b32_e32 v3, 8, v4
	s_movk_i32 s4, 0x7f
	v_cmp_gt_i16_sdwa s[6:7], v3, s4 src0_sel:BYTE_0 src1_sel:DWORD
	s_mov_b64 s[4:5], 0
                                        ; implicit-def: $sgpr10
	s_and_saveexec_b64 s[8:9], s[6:7]
	s_xor_b64 s[6:7], exec, s[8:9]
	s_cbranch_execnz .LBB3_2509
; %bb.461:
	s_or_saveexec_b64 s[6:7], s[6:7]
	v_mov_b32_e32 v6, s10
	s_xor_b64 exec, exec, s[6:7]
	s_cbranch_execnz .LBB3_2512
.LBB3_462:
	s_or_b64 exec, exec, s[6:7]
	s_and_saveexec_b64 s[6:7], s[4:5]
	s_cbranch_execz .LBB3_464
.LBB3_463:
	v_bfe_u32 v6, v4, 8, 3
	v_ffbh_u32_e32 v10, v6
	v_min_u32_e32 v10, 32, v10
	v_lshrrev_b16_e32 v7, 3, v3
	v_subrev_u32_e32 v11, 28, v10
	v_and_b32_e32 v7, 15, v7
	v_lshlrev_b32_e32 v3, v11, v3
	v_sub_u32_e32 v10, 29, v10
	v_and_b32_e32 v3, 7, v3
	v_cmp_eq_u16_e32 vcc, 0, v7
	v_cndmask_b32_e32 v3, v6, v3, vcc
	v_cndmask_b32_e32 v6, v7, v10, vcc
	v_lshlrev_b32_e32 v7, 16, v4
	v_mov_b32_e32 v10, 0x3b800000
	v_lshlrev_b32_e32 v3, 20, v3
	v_and_b32_e32 v7, 0x80000000, v7
	v_lshl_add_u32 v6, v6, 23, v10
	v_or3_b32 v6, v7, v6, v3
.LBB3_464:
	s_or_b64 exec, exec, s[6:7]
	s_nop 0
	v_mfma_f32_16x16x4f32 a[0:3], v2, v6, a[0:3]
	s_movk_i32 s4, 0xff
	v_and_b32_sdwa v3, v8, s4 dst_sel:DWORD dst_unused:UNUSED_PAD src0_sel:WORD_1 src1_sel:DWORD
	s_movk_i32 s4, 0x7f
	v_cmp_lt_i16_e32 vcc, s4, v3
	s_mov_b64 s[4:5], 0
                                        ; implicit-def: $sgpr10
	s_and_saveexec_b64 s[6:7], vcc
	s_xor_b64 s[6:7], exec, s[6:7]
	s_cbranch_execnz .LBB3_2513
; %bb.465:
	s_or_saveexec_b64 s[6:7], s[6:7]
	v_mov_b32_e32 v2, s10
	s_xor_b64 exec, exec, s[6:7]
	s_cbranch_execnz .LBB3_2516
.LBB3_466:
	s_or_b64 exec, exec, s[6:7]
	s_and_saveexec_b64 s[6:7], s[4:5]
	s_cbranch_execz .LBB3_468
.LBB3_467:
	v_bfe_u32 v2, v8, 16, 3
	v_ffbh_u32_e32 v7, v2
	v_min_u32_e32 v7, 32, v7
	v_lshrrev_b32_e32 v3, 19, v8
	v_subrev_u32_e32 v10, 28, v7
	v_and_b32_e32 v3, 15, v3
	v_lshlrev_b32_sdwa v10, v10, v8 dst_sel:DWORD dst_unused:UNUSED_PAD src0_sel:DWORD src1_sel:WORD_1
	v_bfe_u32 v6, v8, 19, 4
	v_sub_u32_e32 v7, 29, v7
	v_and_b32_e32 v10, 7, v10
	v_cmp_eq_u16_e32 vcc, 0, v3
	v_cndmask_b32_e32 v2, v2, v10, vcc
	v_cndmask_b32_e32 v3, v6, v7, vcc
	v_lshlrev_b32_e32 v6, 8, v8
	v_mov_b32_e32 v7, 0x3b800000
	v_lshlrev_b32_e32 v2, 20, v2
	v_and_b32_e32 v6, 0x80000000, v6
	v_lshl_add_u32 v3, v3, 23, v7
	v_or3_b32 v2, v6, v3, v2
.LBB3_468:
	s_or_b64 exec, exec, s[6:7]
	s_movk_i32 s4, 0xff
	v_and_b32_sdwa v3, v4, s4 dst_sel:DWORD dst_unused:UNUSED_PAD src0_sel:WORD_1 src1_sel:DWORD
	s_movk_i32 s4, 0x7f
	v_cmp_lt_i16_e32 vcc, s4, v3
	s_mov_b64 s[4:5], 0
                                        ; implicit-def: $sgpr10
	s_and_saveexec_b64 s[6:7], vcc
	s_xor_b64 s[6:7], exec, s[6:7]
	s_cbranch_execnz .LBB3_2517
; %bb.469:
	s_or_saveexec_b64 s[6:7], s[6:7]
	v_mov_b32_e32 v6, s10
	s_xor_b64 exec, exec, s[6:7]
	s_cbranch_execnz .LBB3_2520
.LBB3_470:
	s_or_b64 exec, exec, s[6:7]
	s_and_saveexec_b64 s[6:7], s[4:5]
	s_cbranch_execz .LBB3_472
.LBB3_471:
	v_bfe_u32 v3, v4, 16, 3
	v_ffbh_u32_e32 v10, v3
	v_min_u32_e32 v10, 32, v10
	v_lshrrev_b32_e32 v6, 19, v4
	v_subrev_u32_e32 v11, 28, v10
	v_and_b32_e32 v6, 15, v6
	v_lshlrev_b32_sdwa v11, v11, v4 dst_sel:DWORD dst_unused:UNUSED_PAD src0_sel:DWORD src1_sel:WORD_1
	v_bfe_u32 v7, v4, 19, 4
	v_sub_u32_e32 v10, 29, v10
	v_and_b32_e32 v11, 7, v11
	v_cmp_eq_u16_e32 vcc, 0, v6
	v_cndmask_b32_e32 v3, v3, v11, vcc
	v_cndmask_b32_e32 v6, v7, v10, vcc
	v_lshlrev_b32_e32 v7, 8, v4
	v_mov_b32_e32 v10, 0x3b800000
	v_lshlrev_b32_e32 v3, 20, v3
	v_and_b32_e32 v7, 0x80000000, v7
	v_lshl_add_u32 v6, v6, 23, v10
	v_or3_b32 v6, v7, v6, v3
.LBB3_472:
	s_or_b64 exec, exec, s[6:7]
	s_nop 0
	v_mfma_f32_16x16x4f32 a[0:3], v2, v6, a[0:3]
	s_movk_i32 s4, 0x7f
	v_cmp_gt_i16_sdwa s[6:7], v8, s4 src0_sel:BYTE_3 src1_sel:DWORD
	s_mov_b64 s[4:5], 0
                                        ; implicit-def: $sgpr10
	s_and_saveexec_b64 s[8:9], s[6:7]
	s_xor_b64 s[6:7], exec, s[8:9]
	s_cbranch_execnz .LBB3_2521
; %bb.473:
	s_or_saveexec_b64 s[6:7], s[6:7]
	v_mov_b32_e32 v2, s10
	s_xor_b64 exec, exec, s[6:7]
	s_cbranch_execnz .LBB3_2524
.LBB3_474:
	s_or_b64 exec, exec, s[6:7]
	s_and_saveexec_b64 s[6:7], s[4:5]
	s_cbranch_execz .LBB3_476
.LBB3_475:
	v_bfe_u32 v2, v8, 24, 3
	v_ffbh_u32_e32 v10, v2
	v_min_u32_e32 v10, 32, v10
	v_lshrrev_b32_e32 v6, 27, v8
	v_subrev_u32_e32 v11, 28, v10
	v_and_b32_e32 v3, 0x80000000, v8
	v_and_b32_e32 v6, 15, v6
	v_bfe_u32 v7, v8, 27, 4
	v_lshlrev_b32_sdwa v8, v11, v8 dst_sel:DWORD dst_unused:UNUSED_PAD src0_sel:DWORD src1_sel:BYTE_3
	v_sub_u32_e32 v10, 29, v10
	v_and_b32_e32 v8, 7, v8
	v_cmp_eq_u16_e32 vcc, 0, v6
	v_cndmask_b32_e32 v2, v2, v8, vcc
	v_cndmask_b32_e32 v6, v7, v10, vcc
	v_mov_b32_e32 v7, 0x3b800000
	v_lshlrev_b32_e32 v2, 20, v2
	v_lshl_add_u32 v6, v6, 23, v7
	v_or3_b32 v2, v3, v6, v2
.LBB3_476:
	s_or_b64 exec, exec, s[6:7]
	s_movk_i32 s4, 0x7f
	v_cmp_gt_i16_sdwa s[6:7], v4, s4 src0_sel:BYTE_3 src1_sel:DWORD
	s_mov_b64 s[4:5], 0
                                        ; implicit-def: $sgpr10
	s_and_saveexec_b64 s[8:9], s[6:7]
	s_xor_b64 s[6:7], exec, s[8:9]
	s_cbranch_execnz .LBB3_2525
; %bb.477:
	s_or_saveexec_b64 s[6:7], s[6:7]
	v_mov_b32_e32 v3, s10
	s_xor_b64 exec, exec, s[6:7]
	s_cbranch_execnz .LBB3_2528
.LBB3_478:
	s_or_b64 exec, exec, s[6:7]
	s_and_saveexec_b64 s[6:7], s[4:5]
	s_cbranch_execz .LBB3_480
.LBB3_479:
	v_bfe_u32 v3, v4, 24, 3
	v_ffbh_u32_e32 v10, v3
	v_min_u32_e32 v10, 32, v10
	v_lshrrev_b32_e32 v7, 27, v4
	v_subrev_u32_e32 v11, 28, v10
	v_and_b32_e32 v6, 0x80000000, v4
	v_and_b32_e32 v7, 15, v7
	v_bfe_u32 v8, v4, 27, 4
	v_lshlrev_b32_sdwa v4, v11, v4 dst_sel:DWORD dst_unused:UNUSED_PAD src0_sel:DWORD src1_sel:BYTE_3
	v_sub_u32_e32 v10, 29, v10
	v_and_b32_e32 v4, 7, v4
	v_cmp_eq_u16_e32 vcc, 0, v7
	v_cndmask_b32_e32 v3, v3, v4, vcc
	v_cndmask_b32_e32 v4, v8, v10, vcc
	v_mov_b32_e32 v7, 0x3b800000
	v_lshlrev_b32_e32 v3, 20, v3
	v_lshl_add_u32 v4, v4, 23, v7
	v_or3_b32 v3, v6, v4, v3
.LBB3_480:
	s_or_b64 exec, exec, s[6:7]
	s_nop 0
	v_mfma_f32_16x16x4f32 a[0:3], v2, v3, a[0:3]
	s_movk_i32 s4, 0x7f
	v_cmp_gt_i16_sdwa s[6:7], v9, s4 src0_sel:BYTE_0 src1_sel:DWORD
	s_mov_b64 s[4:5], 0
                                        ; implicit-def: $sgpr10
	s_and_saveexec_b64 s[8:9], s[6:7]
	s_xor_b64 s[6:7], exec, s[8:9]
	s_cbranch_execnz .LBB3_2529
; %bb.481:
	s_or_saveexec_b64 s[6:7], s[6:7]
	v_mov_b32_e32 v2, s10
	s_xor_b64 exec, exec, s[6:7]
	s_cbranch_execnz .LBB3_2532
.LBB3_482:
	s_or_b64 exec, exec, s[6:7]
	s_and_saveexec_b64 s[6:7], s[4:5]
	s_cbranch_execz .LBB3_484
.LBB3_483:
	v_mov_b32_e32 v2, 8
	v_and_b32_e32 v3, 7, v9
	v_lshrrev_b32_sdwa v2, v2, v9 dst_sel:BYTE_1 dst_unused:UNUSED_PAD src0_sel:DWORD src1_sel:DWORD
	v_ffbh_u32_e32 v4, v3
	v_or_b32_sdwa v2, v9, v2 dst_sel:DWORD dst_unused:UNUSED_PAD src0_sel:BYTE_0 src1_sel:DWORD
	v_min_u32_e32 v4, 32, v4
	v_lshrrev_b16_e32 v2, 3, v2
	v_subrev_u32_e32 v6, 28, v4
	v_and_b32_e32 v2, 15, v2
	v_lshlrev_b32_e32 v6, v6, v9
	v_sub_u32_e32 v4, 29, v4
	v_and_b32_e32 v6, 7, v6
	v_cmp_eq_u16_e32 vcc, 0, v2
	v_cndmask_b32_e32 v3, v3, v6, vcc
	v_cndmask_b32_e32 v2, v2, v4, vcc
	v_lshlrev_b32_e32 v4, 24, v9
	v_mov_b32_e32 v6, 0x3b800000
	v_lshlrev_b32_e32 v3, 20, v3
	v_and_b32_e32 v4, 0x80000000, v4
	v_lshl_add_u32 v2, v2, 23, v6
	v_or3_b32 v2, v4, v2, v3
.LBB3_484:
	s_or_b64 exec, exec, s[6:7]
	s_movk_i32 s4, 0x7f
	v_cmp_gt_i16_sdwa s[6:7], v5, s4 src0_sel:BYTE_0 src1_sel:DWORD
	s_mov_b64 s[4:5], 0
                                        ; implicit-def: $sgpr10
	s_and_saveexec_b64 s[8:9], s[6:7]
	s_xor_b64 s[6:7], exec, s[8:9]
	s_cbranch_execnz .LBB3_2533
; %bb.485:
	s_or_saveexec_b64 s[6:7], s[6:7]
	v_mov_b32_e32 v3, s10
	s_xor_b64 exec, exec, s[6:7]
	s_cbranch_execnz .LBB3_2536
.LBB3_486:
	s_or_b64 exec, exec, s[6:7]
	s_and_saveexec_b64 s[6:7], s[4:5]
	s_cbranch_execz .LBB3_488
.LBB3_487:
	v_mov_b32_e32 v3, 8
	v_and_b32_e32 v4, 7, v5
	v_lshrrev_b32_sdwa v3, v3, v5 dst_sel:BYTE_1 dst_unused:UNUSED_PAD src0_sel:DWORD src1_sel:DWORD
	v_ffbh_u32_e32 v6, v4
	v_or_b32_sdwa v3, v5, v3 dst_sel:DWORD dst_unused:UNUSED_PAD src0_sel:BYTE_0 src1_sel:DWORD
	v_min_u32_e32 v6, 32, v6
	v_lshrrev_b16_e32 v3, 3, v3
	v_subrev_u32_e32 v7, 28, v6
	v_and_b32_e32 v3, 15, v3
	v_lshlrev_b32_e32 v7, v7, v5
	v_sub_u32_e32 v6, 29, v6
	v_and_b32_e32 v7, 7, v7
	v_cmp_eq_u16_e32 vcc, 0, v3
	v_cndmask_b32_e32 v4, v4, v7, vcc
	v_cndmask_b32_e32 v3, v3, v6, vcc
	v_lshlrev_b32_e32 v6, 24, v5
	v_mov_b32_e32 v7, 0x3b800000
	v_lshlrev_b32_e32 v4, 20, v4
	v_and_b32_e32 v6, 0x80000000, v6
	v_lshl_add_u32 v3, v3, 23, v7
	v_or3_b32 v3, v6, v3, v4
.LBB3_488:
	s_or_b64 exec, exec, s[6:7]
	s_nop 0
	v_mfma_f32_16x16x4f32 a[0:3], v2, v3, a[0:3]
	v_lshrrev_b32_e32 v3, 8, v9
	s_movk_i32 s4, 0x7f
	v_cmp_gt_i16_sdwa s[6:7], v3, s4 src0_sel:BYTE_0 src1_sel:DWORD
	s_mov_b64 s[4:5], 0
                                        ; implicit-def: $sgpr10
	s_and_saveexec_b64 s[8:9], s[6:7]
	s_xor_b64 s[6:7], exec, s[8:9]
	s_cbranch_execnz .LBB3_2537
; %bb.489:
	s_or_saveexec_b64 s[6:7], s[6:7]
	v_mov_b32_e32 v2, s10
	s_xor_b64 exec, exec, s[6:7]
	s_cbranch_execnz .LBB3_2540
.LBB3_490:
	s_or_b64 exec, exec, s[6:7]
	s_and_saveexec_b64 s[6:7], s[4:5]
	s_cbranch_execz .LBB3_492
.LBB3_491:
	v_bfe_u32 v2, v9, 8, 3
	v_ffbh_u32_e32 v6, v2
	v_min_u32_e32 v6, 32, v6
	v_lshrrev_b16_e32 v4, 3, v3
	v_subrev_u32_e32 v7, 28, v6
	v_and_b32_e32 v4, 15, v4
	v_lshlrev_b32_e32 v3, v7, v3
	v_sub_u32_e32 v6, 29, v6
	v_and_b32_e32 v3, 7, v3
	v_cmp_eq_u16_e32 vcc, 0, v4
	v_cndmask_b32_e32 v2, v2, v3, vcc
	v_cndmask_b32_e32 v3, v4, v6, vcc
	v_lshlrev_b32_e32 v4, 16, v9
	v_mov_b32_e32 v6, 0x3b800000
	v_lshlrev_b32_e32 v2, 20, v2
	v_and_b32_e32 v4, 0x80000000, v4
	v_lshl_add_u32 v3, v3, 23, v6
	v_or3_b32 v2, v4, v3, v2
.LBB3_492:
	s_or_b64 exec, exec, s[6:7]
	v_lshrrev_b32_e32 v3, 8, v5
	s_movk_i32 s4, 0x7f
	v_cmp_gt_i16_sdwa s[6:7], v3, s4 src0_sel:BYTE_0 src1_sel:DWORD
	s_mov_b64 s[4:5], 0
                                        ; implicit-def: $sgpr10
	s_and_saveexec_b64 s[8:9], s[6:7]
	s_xor_b64 s[6:7], exec, s[8:9]
	s_cbranch_execnz .LBB3_2541
; %bb.493:
	s_or_saveexec_b64 s[6:7], s[6:7]
	v_mov_b32_e32 v4, s10
	s_xor_b64 exec, exec, s[6:7]
	s_cbranch_execnz .LBB3_2544
.LBB3_494:
	s_or_b64 exec, exec, s[6:7]
	s_and_saveexec_b64 s[6:7], s[4:5]
	s_cbranch_execz .LBB3_496
.LBB3_495:
	v_bfe_u32 v4, v5, 8, 3
	v_ffbh_u32_e32 v7, v4
	v_min_u32_e32 v7, 32, v7
	v_lshrrev_b16_e32 v6, 3, v3
	v_subrev_u32_e32 v8, 28, v7
	v_and_b32_e32 v6, 15, v6
	v_lshlrev_b32_e32 v3, v8, v3
	v_sub_u32_e32 v7, 29, v7
	v_and_b32_e32 v3, 7, v3
	v_cmp_eq_u16_e32 vcc, 0, v6
	v_cndmask_b32_e32 v3, v4, v3, vcc
	v_cndmask_b32_e32 v4, v6, v7, vcc
	v_lshlrev_b32_e32 v6, 16, v5
	v_mov_b32_e32 v7, 0x3b800000
	v_lshlrev_b32_e32 v3, 20, v3
	v_and_b32_e32 v6, 0x80000000, v6
	v_lshl_add_u32 v4, v4, 23, v7
	v_or3_b32 v4, v6, v4, v3
.LBB3_496:
	s_or_b64 exec, exec, s[6:7]
	s_nop 0
	v_mfma_f32_16x16x4f32 a[0:3], v2, v4, a[0:3]
	s_movk_i32 s4, 0xff
	v_and_b32_sdwa v3, v9, s4 dst_sel:DWORD dst_unused:UNUSED_PAD src0_sel:WORD_1 src1_sel:DWORD
	s_movk_i32 s4, 0x7f
	v_cmp_lt_i16_e32 vcc, s4, v3
	s_mov_b64 s[4:5], 0
                                        ; implicit-def: $sgpr10
	s_and_saveexec_b64 s[6:7], vcc
	s_xor_b64 s[6:7], exec, s[6:7]
	s_cbranch_execnz .LBB3_2545
; %bb.497:
	s_or_saveexec_b64 s[6:7], s[6:7]
	v_mov_b32_e32 v2, s10
	s_xor_b64 exec, exec, s[6:7]
	s_cbranch_execnz .LBB3_2548
.LBB3_498:
	s_or_b64 exec, exec, s[6:7]
	s_and_saveexec_b64 s[6:7], s[4:5]
	s_cbranch_execz .LBB3_500
.LBB3_499:
	v_bfe_u32 v2, v9, 16, 3
	v_ffbh_u32_e32 v6, v2
	v_min_u32_e32 v6, 32, v6
	v_lshrrev_b32_e32 v3, 19, v9
	v_subrev_u32_e32 v7, 28, v6
	v_and_b32_e32 v3, 15, v3
	v_lshlrev_b32_sdwa v7, v7, v9 dst_sel:DWORD dst_unused:UNUSED_PAD src0_sel:DWORD src1_sel:WORD_1
	v_bfe_u32 v4, v9, 19, 4
	v_sub_u32_e32 v6, 29, v6
	v_and_b32_e32 v7, 7, v7
	v_cmp_eq_u16_e32 vcc, 0, v3
	v_cndmask_b32_e32 v2, v2, v7, vcc
	v_cndmask_b32_e32 v3, v4, v6, vcc
	v_lshlrev_b32_e32 v4, 8, v9
	v_mov_b32_e32 v6, 0x3b800000
	v_lshlrev_b32_e32 v2, 20, v2
	v_and_b32_e32 v4, 0x80000000, v4
	v_lshl_add_u32 v3, v3, 23, v6
	v_or3_b32 v2, v4, v3, v2
.LBB3_500:
	s_or_b64 exec, exec, s[6:7]
	s_movk_i32 s4, 0xff
	v_and_b32_sdwa v3, v5, s4 dst_sel:DWORD dst_unused:UNUSED_PAD src0_sel:WORD_1 src1_sel:DWORD
	s_movk_i32 s4, 0x7f
	v_cmp_lt_i16_e32 vcc, s4, v3
	s_mov_b64 s[4:5], 0
                                        ; implicit-def: $sgpr10
	s_and_saveexec_b64 s[6:7], vcc
	s_xor_b64 s[6:7], exec, s[6:7]
	s_cbranch_execnz .LBB3_2549
; %bb.501:
	s_or_saveexec_b64 s[6:7], s[6:7]
	v_mov_b32_e32 v4, s10
	s_xor_b64 exec, exec, s[6:7]
	s_cbranch_execnz .LBB3_2552
.LBB3_502:
	s_or_b64 exec, exec, s[6:7]
	s_and_saveexec_b64 s[6:7], s[4:5]
	s_cbranch_execz .LBB3_504
.LBB3_503:
	v_bfe_u32 v3, v5, 16, 3
	v_ffbh_u32_e32 v7, v3
	v_min_u32_e32 v7, 32, v7
	v_lshrrev_b32_e32 v4, 19, v5
	v_subrev_u32_e32 v8, 28, v7
	v_and_b32_e32 v4, 15, v4
	v_lshlrev_b32_sdwa v8, v8, v5 dst_sel:DWORD dst_unused:UNUSED_PAD src0_sel:DWORD src1_sel:WORD_1
	v_bfe_u32 v6, v5, 19, 4
	v_sub_u32_e32 v7, 29, v7
	v_and_b32_e32 v8, 7, v8
	v_cmp_eq_u16_e32 vcc, 0, v4
	v_cndmask_b32_e32 v3, v3, v8, vcc
	v_cndmask_b32_e32 v4, v6, v7, vcc
	v_lshlrev_b32_e32 v6, 8, v5
	v_mov_b32_e32 v7, 0x3b800000
	v_lshlrev_b32_e32 v3, 20, v3
	v_and_b32_e32 v6, 0x80000000, v6
	v_lshl_add_u32 v4, v4, 23, v7
	v_or3_b32 v4, v6, v4, v3
.LBB3_504:
	s_or_b64 exec, exec, s[6:7]
	s_nop 0
	v_mfma_f32_16x16x4f32 a[0:3], v2, v4, a[0:3]
	s_movk_i32 s4, 0x7f
	v_cmp_gt_i16_sdwa s[6:7], v9, s4 src0_sel:BYTE_3 src1_sel:DWORD
	s_mov_b64 s[4:5], 0
                                        ; implicit-def: $sgpr10
	s_and_saveexec_b64 s[8:9], s[6:7]
	s_xor_b64 s[6:7], exec, s[8:9]
	s_cbranch_execnz .LBB3_2553
; %bb.505:
	s_or_saveexec_b64 s[6:7], s[6:7]
	v_mov_b32_e32 v2, s10
	s_xor_b64 exec, exec, s[6:7]
	s_cbranch_execnz .LBB3_2556
.LBB3_506:
	s_or_b64 exec, exec, s[6:7]
	s_and_saveexec_b64 s[6:7], s[4:5]
	s_cbranch_execz .LBB3_508
.LBB3_507:
	v_bfe_u32 v2, v9, 24, 3
	v_ffbh_u32_e32 v7, v2
	v_min_u32_e32 v7, 32, v7
	v_lshrrev_b32_e32 v4, 27, v9
	v_subrev_u32_e32 v8, 28, v7
	v_and_b32_e32 v4, 15, v4
	v_lshlrev_b32_sdwa v8, v8, v9 dst_sel:DWORD dst_unused:UNUSED_PAD src0_sel:DWORD src1_sel:BYTE_3
	v_bfe_u32 v6, v9, 27, 4
	v_sub_u32_e32 v7, 29, v7
	v_and_b32_e32 v8, 7, v8
	v_cmp_eq_u16_e32 vcc, 0, v4
	v_cndmask_b32_e32 v2, v2, v8, vcc
	v_cndmask_b32_e32 v4, v6, v7, vcc
	v_mov_b32_e32 v6, 0x3b800000
	v_and_b32_e32 v3, 0x80000000, v9
	v_lshlrev_b32_e32 v2, 20, v2
	v_lshl_add_u32 v4, v4, 23, v6
	v_or3_b32 v2, v3, v4, v2
.LBB3_508:
	s_or_b64 exec, exec, s[6:7]
	s_movk_i32 s4, 0x7f
	v_cmp_gt_i16_sdwa s[6:7], v5, s4 src0_sel:BYTE_3 src1_sel:DWORD
	s_mov_b64 s[4:5], 0
                                        ; implicit-def: $sgpr10
	s_and_saveexec_b64 s[8:9], s[6:7]
	s_xor_b64 s[6:7], exec, s[8:9]
	s_cbranch_execnz .LBB3_2557
; %bb.509:
	s_or_saveexec_b64 s[6:7], s[6:7]
	v_mov_b32_e32 v3, s10
	s_xor_b64 exec, exec, s[6:7]
	s_cbranch_execnz .LBB3_2560
.LBB3_510:
	s_or_b64 exec, exec, s[6:7]
	s_and_saveexec_b64 s[6:7], s[4:5]
	s_cbranch_execz .LBB3_512
.LBB3_511:
	v_bfe_u32 v3, v5, 24, 3
	v_ffbh_u32_e32 v8, v3
	v_min_u32_e32 v8, 32, v8
	v_lshrrev_b32_e32 v6, 27, v5
	v_subrev_u32_e32 v9, 28, v8
	v_and_b32_e32 v4, 0x80000000, v5
	v_and_b32_e32 v6, 15, v6
	v_bfe_u32 v7, v5, 27, 4
	v_lshlrev_b32_sdwa v5, v9, v5 dst_sel:DWORD dst_unused:UNUSED_PAD src0_sel:DWORD src1_sel:BYTE_3
	v_sub_u32_e32 v8, 29, v8
	v_and_b32_e32 v5, 7, v5
	v_cmp_eq_u16_e32 vcc, 0, v6
	v_cndmask_b32_e32 v3, v3, v5, vcc
	v_cndmask_b32_e32 v5, v7, v8, vcc
	v_mov_b32_e32 v6, 0x3b800000
	v_lshlrev_b32_e32 v3, 20, v3
	v_lshl_add_u32 v5, v5, 23, v6
	v_or3_b32 v3, v4, v5, v3
.LBB3_512:
	s_or_b64 exec, exec, s[6:7]
	s_nop 0
	v_mfma_f32_16x16x4f32 a[0:3], v2, v3, a[0:3]
	s_movk_i32 s4, 0x7f
                                        ; implicit-def: $sgpr10
	s_nop 7
	s_nop 1
	flat_store_dwordx4 v[18:19], a[0:3] offset:144
	flat_load_dwordx4 v[20:23], v[0:1] offset:16
	s_nop 0
	flat_load_dwordx2 v[18:19], v[0:1] offset:32
	s_waitcnt vmcnt(0) lgkmcnt(0)
	flat_load_dwordx4 v[14:17], v[20:21] offset:32
	flat_load_dwordx4 v[6:9], v[20:21] offset:48
	flat_load_dwordx4 v[10:13], v[22:23] offset:64
	flat_load_dwordx4 v[2:5], v[22:23] offset:80
	s_waitcnt vmcnt(0) lgkmcnt(0)
	v_cmp_gt_i16_sdwa s[6:7], v14, s4 src0_sel:BYTE_0 src1_sel:DWORD
	s_mov_b64 s[4:5], 0
	s_and_saveexec_b64 s[8:9], s[6:7]
	s_xor_b64 s[6:7], exec, s[8:9]
	s_cbranch_execnz .LBB3_2561
; %bb.513:
	s_or_saveexec_b64 s[6:7], s[6:7]
	v_mov_b32_e32 v20, s10
	s_xor_b64 exec, exec, s[6:7]
	s_cbranch_execnz .LBB3_2564
.LBB3_514:
	s_or_b64 exec, exec, s[6:7]
	s_and_saveexec_b64 s[6:7], s[4:5]
	s_cbranch_execz .LBB3_516
.LBB3_515:
	v_and_b32_e32 v20, 7, v14
	v_ffbh_u32_e32 v22, v20
	v_min_u32_e32 v22, 32, v22
	v_lshrrev_b16_e32 v21, 3, v14
	v_subrev_u32_e32 v23, 28, v22
	v_and_b32_e32 v21, 15, v21
	v_lshlrev_b32_e32 v23, v23, v14
	v_sub_u32_e32 v22, 29, v22
	v_and_b32_e32 v23, 7, v23
	v_cmp_eq_u16_e32 vcc, 0, v21
	v_cndmask_b32_e32 v20, v20, v23, vcc
	v_cndmask_b32_e32 v21, v21, v22, vcc
	v_lshlrev_b32_e32 v22, 24, v14
	v_mov_b32_e32 v23, 0x3b800000
	v_lshlrev_b32_e32 v20, 20, v20
	v_and_b32_e32 v22, 0x80000000, v22
	v_lshl_add_u32 v21, v21, 23, v23
	v_or3_b32 v20, v22, v21, v20
.LBB3_516:
	s_or_b64 exec, exec, s[6:7]
	s_movk_i32 s4, 0x7f
	v_cmp_gt_i16_sdwa s[6:7], v10, s4 src0_sel:BYTE_0 src1_sel:DWORD
	s_mov_b64 s[4:5], 0
                                        ; implicit-def: $sgpr10
	s_and_saveexec_b64 s[8:9], s[6:7]
	s_xor_b64 s[6:7], exec, s[8:9]
	s_cbranch_execnz .LBB3_2565
; %bb.517:
	s_or_saveexec_b64 s[6:7], s[6:7]
	v_mov_b32_e32 v21, s10
	s_xor_b64 exec, exec, s[6:7]
	s_cbranch_execnz .LBB3_2568
.LBB3_518:
	s_or_b64 exec, exec, s[6:7]
	s_and_saveexec_b64 s[6:7], s[4:5]
	s_cbranch_execz .LBB3_520
.LBB3_519:
	v_and_b32_e32 v21, 7, v10
	v_ffbh_u32_e32 v23, v21
	v_min_u32_e32 v23, 32, v23
	v_lshrrev_b16_e32 v22, 3, v10
	v_subrev_u32_e32 v24, 28, v23
	v_and_b32_e32 v22, 15, v22
	v_lshlrev_b32_e32 v24, v24, v10
	v_sub_u32_e32 v23, 29, v23
	v_and_b32_e32 v24, 7, v24
	v_cmp_eq_u16_e32 vcc, 0, v22
	v_cndmask_b32_e32 v21, v21, v24, vcc
	v_cndmask_b32_e32 v22, v22, v23, vcc
	v_lshlrev_b32_e32 v23, 24, v10
	v_mov_b32_e32 v24, 0x3b800000
	v_lshlrev_b32_e32 v21, 20, v21
	v_and_b32_e32 v23, 0x80000000, v23
	v_lshl_add_u32 v22, v22, 23, v24
	v_or3_b32 v21, v23, v22, v21
.LBB3_520:
	s_or_b64 exec, exec, s[6:7]
	flat_load_dwordx4 a[0:3], v[18:19] offset:160
	s_movk_i32 s4, 0x7f
                                        ; implicit-def: $sgpr10
	s_waitcnt vmcnt(0) lgkmcnt(0)
	v_mfma_f32_16x16x4f32 a[0:3], v20, v21, a[0:3]
	v_lshrrev_b32_e32 v21, 8, v14
	v_cmp_gt_i16_sdwa s[6:7], v21, s4 src0_sel:BYTE_0 src1_sel:DWORD
	s_mov_b64 s[4:5], 0
	s_and_saveexec_b64 s[8:9], s[6:7]
	s_xor_b64 s[6:7], exec, s[8:9]
	s_cbranch_execnz .LBB3_2569
; %bb.521:
	s_or_saveexec_b64 s[6:7], s[6:7]
	v_mov_b32_e32 v20, s10
	s_xor_b64 exec, exec, s[6:7]
	s_cbranch_execnz .LBB3_2572
.LBB3_522:
	s_or_b64 exec, exec, s[6:7]
	s_and_saveexec_b64 s[6:7], s[4:5]
	s_cbranch_execz .LBB3_524
.LBB3_523:
	v_bfe_u32 v20, v14, 8, 3
	v_ffbh_u32_e32 v23, v20
	v_min_u32_e32 v23, 32, v23
	v_lshrrev_b16_e32 v22, 3, v21
	v_subrev_u32_e32 v24, 28, v23
	v_and_b32_e32 v22, 15, v22
	v_lshlrev_b32_e32 v21, v24, v21
	v_sub_u32_e32 v23, 29, v23
	v_and_b32_e32 v21, 7, v21
	v_cmp_eq_u16_e32 vcc, 0, v22
	v_cndmask_b32_e32 v20, v20, v21, vcc
	v_cndmask_b32_e32 v21, v22, v23, vcc
	v_lshlrev_b32_e32 v22, 16, v14
	v_mov_b32_e32 v23, 0x3b800000
	v_lshlrev_b32_e32 v20, 20, v20
	v_and_b32_e32 v22, 0x80000000, v22
	v_lshl_add_u32 v21, v21, 23, v23
	v_or3_b32 v20, v22, v21, v20
.LBB3_524:
	s_or_b64 exec, exec, s[6:7]
	v_lshrrev_b32_e32 v21, 8, v10
	s_movk_i32 s4, 0x7f
	v_cmp_gt_i16_sdwa s[6:7], v21, s4 src0_sel:BYTE_0 src1_sel:DWORD
	s_mov_b64 s[4:5], 0
                                        ; implicit-def: $sgpr10
	s_and_saveexec_b64 s[8:9], s[6:7]
	s_xor_b64 s[6:7], exec, s[8:9]
	s_cbranch_execnz .LBB3_2573
; %bb.525:
	s_or_saveexec_b64 s[6:7], s[6:7]
	v_mov_b32_e32 v22, s10
	s_xor_b64 exec, exec, s[6:7]
	s_cbranch_execnz .LBB3_2576
.LBB3_526:
	s_or_b64 exec, exec, s[6:7]
	s_and_saveexec_b64 s[6:7], s[4:5]
	s_cbranch_execz .LBB3_528
.LBB3_527:
	v_bfe_u32 v22, v10, 8, 3
	v_ffbh_u32_e32 v24, v22
	v_min_u32_e32 v24, 32, v24
	v_lshrrev_b16_e32 v23, 3, v21
	v_subrev_u32_e32 v25, 28, v24
	v_and_b32_e32 v23, 15, v23
	v_lshlrev_b32_e32 v21, v25, v21
	v_sub_u32_e32 v24, 29, v24
	v_and_b32_e32 v21, 7, v21
	v_cmp_eq_u16_e32 vcc, 0, v23
	v_cndmask_b32_e32 v21, v22, v21, vcc
	v_cndmask_b32_e32 v22, v23, v24, vcc
	v_lshlrev_b32_e32 v23, 16, v10
	v_mov_b32_e32 v24, 0x3b800000
	v_lshlrev_b32_e32 v21, 20, v21
	v_and_b32_e32 v23, 0x80000000, v23
	v_lshl_add_u32 v22, v22, 23, v24
	v_or3_b32 v22, v23, v22, v21
.LBB3_528:
	s_or_b64 exec, exec, s[6:7]
	s_nop 0
	v_mfma_f32_16x16x4f32 a[0:3], v20, v22, a[0:3]
	s_movk_i32 s4, 0xff
	v_and_b32_sdwa v21, v14, s4 dst_sel:DWORD dst_unused:UNUSED_PAD src0_sel:WORD_1 src1_sel:DWORD
	s_movk_i32 s4, 0x7f
	v_cmp_lt_i16_e32 vcc, s4, v21
	s_mov_b64 s[4:5], 0
                                        ; implicit-def: $sgpr10
	s_and_saveexec_b64 s[6:7], vcc
	s_xor_b64 s[6:7], exec, s[6:7]
	s_cbranch_execnz .LBB3_2577
; %bb.529:
	s_or_saveexec_b64 s[6:7], s[6:7]
	v_mov_b32_e32 v20, s10
	s_xor_b64 exec, exec, s[6:7]
	s_cbranch_execnz .LBB3_2580
.LBB3_530:
	s_or_b64 exec, exec, s[6:7]
	s_and_saveexec_b64 s[6:7], s[4:5]
	s_cbranch_execz .LBB3_532
.LBB3_531:
	v_bfe_u32 v20, v14, 16, 3
	v_ffbh_u32_e32 v23, v20
	v_min_u32_e32 v23, 32, v23
	v_lshrrev_b32_e32 v21, 19, v14
	v_subrev_u32_e32 v24, 28, v23
	v_and_b32_e32 v21, 15, v21
	v_lshlrev_b32_sdwa v24, v24, v14 dst_sel:DWORD dst_unused:UNUSED_PAD src0_sel:DWORD src1_sel:WORD_1
	v_bfe_u32 v22, v14, 19, 4
	v_sub_u32_e32 v23, 29, v23
	v_and_b32_e32 v24, 7, v24
	v_cmp_eq_u16_e32 vcc, 0, v21
	v_cndmask_b32_e32 v20, v20, v24, vcc
	v_cndmask_b32_e32 v21, v22, v23, vcc
	v_lshlrev_b32_e32 v22, 8, v14
	v_mov_b32_e32 v23, 0x3b800000
	v_lshlrev_b32_e32 v20, 20, v20
	v_and_b32_e32 v22, 0x80000000, v22
	v_lshl_add_u32 v21, v21, 23, v23
	v_or3_b32 v20, v22, v21, v20
.LBB3_532:
	s_or_b64 exec, exec, s[6:7]
	s_movk_i32 s4, 0xff
	v_and_b32_sdwa v21, v10, s4 dst_sel:DWORD dst_unused:UNUSED_PAD src0_sel:WORD_1 src1_sel:DWORD
	s_movk_i32 s4, 0x7f
	v_cmp_lt_i16_e32 vcc, s4, v21
	s_mov_b64 s[4:5], 0
                                        ; implicit-def: $sgpr10
	s_and_saveexec_b64 s[6:7], vcc
	s_xor_b64 s[6:7], exec, s[6:7]
	s_cbranch_execnz .LBB3_2581
; %bb.533:
	s_or_saveexec_b64 s[6:7], s[6:7]
	v_mov_b32_e32 v22, s10
	s_xor_b64 exec, exec, s[6:7]
	s_cbranch_execnz .LBB3_2584
.LBB3_534:
	s_or_b64 exec, exec, s[6:7]
	s_and_saveexec_b64 s[6:7], s[4:5]
	s_cbranch_execz .LBB3_536
.LBB3_535:
	v_bfe_u32 v21, v10, 16, 3
	v_ffbh_u32_e32 v24, v21
	v_min_u32_e32 v24, 32, v24
	v_lshrrev_b32_e32 v22, 19, v10
	v_subrev_u32_e32 v25, 28, v24
	v_and_b32_e32 v22, 15, v22
	v_lshlrev_b32_sdwa v25, v25, v10 dst_sel:DWORD dst_unused:UNUSED_PAD src0_sel:DWORD src1_sel:WORD_1
	v_bfe_u32 v23, v10, 19, 4
	v_sub_u32_e32 v24, 29, v24
	v_and_b32_e32 v25, 7, v25
	v_cmp_eq_u16_e32 vcc, 0, v22
	v_cndmask_b32_e32 v21, v21, v25, vcc
	v_cndmask_b32_e32 v22, v23, v24, vcc
	v_lshlrev_b32_e32 v23, 8, v10
	v_mov_b32_e32 v24, 0x3b800000
	v_lshlrev_b32_e32 v21, 20, v21
	v_and_b32_e32 v23, 0x80000000, v23
	v_lshl_add_u32 v22, v22, 23, v24
	v_or3_b32 v22, v23, v22, v21
.LBB3_536:
	s_or_b64 exec, exec, s[6:7]
	s_nop 0
	v_mfma_f32_16x16x4f32 a[0:3], v20, v22, a[0:3]
	s_movk_i32 s4, 0x7f
	v_cmp_gt_i16_sdwa s[6:7], v14, s4 src0_sel:BYTE_3 src1_sel:DWORD
	s_mov_b64 s[4:5], 0
                                        ; implicit-def: $sgpr10
	s_and_saveexec_b64 s[8:9], s[6:7]
	s_xor_b64 s[6:7], exec, s[8:9]
	s_cbranch_execnz .LBB3_2585
; %bb.537:
	s_or_saveexec_b64 s[6:7], s[6:7]
	v_mov_b32_e32 v20, s10
	s_xor_b64 exec, exec, s[6:7]
	s_cbranch_execnz .LBB3_2588
.LBB3_538:
	s_or_b64 exec, exec, s[6:7]
	s_and_saveexec_b64 s[6:7], s[4:5]
	s_cbranch_execz .LBB3_540
.LBB3_539:
	v_bfe_u32 v20, v14, 24, 3
	v_ffbh_u32_e32 v24, v20
	v_min_u32_e32 v24, 32, v24
	v_lshrrev_b32_e32 v22, 27, v14
	v_subrev_u32_e32 v25, 28, v24
	v_and_b32_e32 v21, 0x80000000, v14
	v_and_b32_e32 v22, 15, v22
	v_bfe_u32 v23, v14, 27, 4
	v_lshlrev_b32_sdwa v14, v25, v14 dst_sel:DWORD dst_unused:UNUSED_PAD src0_sel:DWORD src1_sel:BYTE_3
	v_sub_u32_e32 v24, 29, v24
	v_and_b32_e32 v14, 7, v14
	v_cmp_eq_u16_e32 vcc, 0, v22
	v_cndmask_b32_e32 v14, v20, v14, vcc
	v_cndmask_b32_e32 v20, v23, v24, vcc
	v_mov_b32_e32 v22, 0x3b800000
	v_lshlrev_b32_e32 v14, 20, v14
	v_lshl_add_u32 v20, v20, 23, v22
	v_or3_b32 v20, v21, v20, v14
.LBB3_540:
	s_or_b64 exec, exec, s[6:7]
	s_movk_i32 s4, 0x7f
	v_cmp_gt_i16_sdwa s[6:7], v10, s4 src0_sel:BYTE_3 src1_sel:DWORD
	s_mov_b64 s[4:5], 0
                                        ; implicit-def: $sgpr10
	s_and_saveexec_b64 s[8:9], s[6:7]
	s_xor_b64 s[6:7], exec, s[8:9]
	s_cbranch_execnz .LBB3_2589
; %bb.541:
	s_or_saveexec_b64 s[6:7], s[6:7]
	v_mov_b32_e32 v14, s10
	s_xor_b64 exec, exec, s[6:7]
	s_cbranch_execnz .LBB3_2592
.LBB3_542:
	s_or_b64 exec, exec, s[6:7]
	s_and_saveexec_b64 s[6:7], s[4:5]
	s_cbranch_execz .LBB3_544
.LBB3_543:
	v_bfe_u32 v14, v10, 24, 3
	v_ffbh_u32_e32 v24, v14
	v_min_u32_e32 v24, 32, v24
	v_lshrrev_b32_e32 v22, 27, v10
	v_subrev_u32_e32 v25, 28, v24
	v_and_b32_e32 v21, 0x80000000, v10
	v_and_b32_e32 v22, 15, v22
	v_bfe_u32 v23, v10, 27, 4
	v_lshlrev_b32_sdwa v10, v25, v10 dst_sel:DWORD dst_unused:UNUSED_PAD src0_sel:DWORD src1_sel:BYTE_3
	v_sub_u32_e32 v24, 29, v24
	v_and_b32_e32 v10, 7, v10
	v_cmp_eq_u16_e32 vcc, 0, v22
	v_cndmask_b32_e32 v10, v14, v10, vcc
	v_cndmask_b32_e32 v14, v23, v24, vcc
	v_mov_b32_e32 v22, 0x3b800000
	v_lshlrev_b32_e32 v10, 20, v10
	v_lshl_add_u32 v14, v14, 23, v22
	v_or3_b32 v14, v21, v14, v10
.LBB3_544:
	s_or_b64 exec, exec, s[6:7]
	s_nop 0
	v_mfma_f32_16x16x4f32 a[0:3], v20, v14, a[0:3]
	s_movk_i32 s4, 0x7f
	v_cmp_gt_i16_sdwa s[6:7], v15, s4 src0_sel:BYTE_0 src1_sel:DWORD
	s_mov_b64 s[4:5], 0
                                        ; implicit-def: $sgpr10
	s_and_saveexec_b64 s[8:9], s[6:7]
	s_xor_b64 s[6:7], exec, s[8:9]
	s_cbranch_execnz .LBB3_2593
; %bb.545:
	s_or_saveexec_b64 s[6:7], s[6:7]
	v_mov_b32_e32 v10, s10
	s_xor_b64 exec, exec, s[6:7]
	s_cbranch_execnz .LBB3_2596
.LBB3_546:
	s_or_b64 exec, exec, s[6:7]
	s_and_saveexec_b64 s[6:7], s[4:5]
	s_cbranch_execz .LBB3_548
.LBB3_547:
	v_and_b32_e32 v10, 7, v15
	v_ffbh_u32_e32 v20, v10
	v_min_u32_e32 v20, 32, v20
	v_lshrrev_b16_e32 v14, 3, v15
	v_subrev_u32_e32 v21, 28, v20
	v_and_b32_e32 v14, 15, v14
	v_lshlrev_b32_e32 v21, v21, v15
	v_sub_u32_e32 v20, 29, v20
	v_and_b32_e32 v21, 7, v21
	v_cmp_eq_u16_e32 vcc, 0, v14
	v_cndmask_b32_e32 v10, v10, v21, vcc
	v_cndmask_b32_e32 v14, v14, v20, vcc
	v_lshlrev_b32_e32 v20, 24, v15
	v_mov_b32_e32 v21, 0x3b800000
	v_lshlrev_b32_e32 v10, 20, v10
	v_and_b32_e32 v20, 0x80000000, v20
	v_lshl_add_u32 v14, v14, 23, v21
	v_or3_b32 v10, v20, v14, v10
.LBB3_548:
	s_or_b64 exec, exec, s[6:7]
	s_movk_i32 s4, 0x7f
	v_cmp_gt_i16_sdwa s[6:7], v11, s4 src0_sel:BYTE_0 src1_sel:DWORD
	s_mov_b64 s[4:5], 0
                                        ; implicit-def: $sgpr10
	s_and_saveexec_b64 s[8:9], s[6:7]
	s_xor_b64 s[6:7], exec, s[8:9]
	s_cbranch_execnz .LBB3_2597
; %bb.549:
	s_or_saveexec_b64 s[6:7], s[6:7]
	v_mov_b32_e32 v14, s10
	s_xor_b64 exec, exec, s[6:7]
	s_cbranch_execnz .LBB3_2600
.LBB3_550:
	s_or_b64 exec, exec, s[6:7]
	s_and_saveexec_b64 s[6:7], s[4:5]
	s_cbranch_execz .LBB3_552
.LBB3_551:
	v_and_b32_e32 v14, 7, v11
	v_ffbh_u32_e32 v21, v14
	v_min_u32_e32 v21, 32, v21
	v_lshrrev_b16_e32 v20, 3, v11
	v_subrev_u32_e32 v22, 28, v21
	v_and_b32_e32 v20, 15, v20
	v_lshlrev_b32_e32 v22, v22, v11
	v_sub_u32_e32 v21, 29, v21
	v_and_b32_e32 v22, 7, v22
	v_cmp_eq_u16_e32 vcc, 0, v20
	v_cndmask_b32_e32 v14, v14, v22, vcc
	v_cndmask_b32_e32 v20, v20, v21, vcc
	v_lshlrev_b32_e32 v21, 24, v11
	v_mov_b32_e32 v22, 0x3b800000
	v_lshlrev_b32_e32 v14, 20, v14
	v_and_b32_e32 v21, 0x80000000, v21
	v_lshl_add_u32 v20, v20, 23, v22
	v_or3_b32 v14, v21, v20, v14
.LBB3_552:
	s_or_b64 exec, exec, s[6:7]
	s_nop 0
	v_mfma_f32_16x16x4f32 a[0:3], v10, v14, a[0:3]
	v_lshrrev_b32_e32 v14, 8, v15
	s_movk_i32 s4, 0x7f
	v_cmp_gt_i16_sdwa s[6:7], v14, s4 src0_sel:BYTE_0 src1_sel:DWORD
	s_mov_b64 s[4:5], 0
                                        ; implicit-def: $sgpr10
	s_and_saveexec_b64 s[8:9], s[6:7]
	s_xor_b64 s[6:7], exec, s[8:9]
	s_cbranch_execnz .LBB3_2601
; %bb.553:
	s_or_saveexec_b64 s[6:7], s[6:7]
	v_mov_b32_e32 v10, s10
	s_xor_b64 exec, exec, s[6:7]
	s_cbranch_execnz .LBB3_2604
.LBB3_554:
	s_or_b64 exec, exec, s[6:7]
	s_and_saveexec_b64 s[6:7], s[4:5]
	s_cbranch_execz .LBB3_556
.LBB3_555:
	v_bfe_u32 v10, v15, 8, 3
	v_ffbh_u32_e32 v21, v10
	v_min_u32_e32 v21, 32, v21
	v_lshrrev_b16_e32 v20, 3, v14
	v_subrev_u32_e32 v22, 28, v21
	v_and_b32_e32 v20, 15, v20
	v_lshlrev_b32_e32 v14, v22, v14
	v_sub_u32_e32 v21, 29, v21
	v_and_b32_e32 v14, 7, v14
	v_cmp_eq_u16_e32 vcc, 0, v20
	v_cndmask_b32_e32 v10, v10, v14, vcc
	v_cndmask_b32_e32 v14, v20, v21, vcc
	v_lshlrev_b32_e32 v20, 16, v15
	v_mov_b32_e32 v21, 0x3b800000
	v_lshlrev_b32_e32 v10, 20, v10
	v_and_b32_e32 v20, 0x80000000, v20
	v_lshl_add_u32 v14, v14, 23, v21
	v_or3_b32 v10, v20, v14, v10
.LBB3_556:
	s_or_b64 exec, exec, s[6:7]
	v_lshrrev_b32_e32 v14, 8, v11
	s_movk_i32 s4, 0x7f
	v_cmp_gt_i16_sdwa s[6:7], v14, s4 src0_sel:BYTE_0 src1_sel:DWORD
	s_mov_b64 s[4:5], 0
                                        ; implicit-def: $sgpr10
	s_and_saveexec_b64 s[8:9], s[6:7]
	s_xor_b64 s[6:7], exec, s[8:9]
	s_cbranch_execnz .LBB3_2605
; %bb.557:
	s_or_saveexec_b64 s[6:7], s[6:7]
	v_mov_b32_e32 v20, s10
	s_xor_b64 exec, exec, s[6:7]
	s_cbranch_execnz .LBB3_2608
.LBB3_558:
	s_or_b64 exec, exec, s[6:7]
	s_and_saveexec_b64 s[6:7], s[4:5]
	s_cbranch_execz .LBB3_560
.LBB3_559:
	v_bfe_u32 v20, v11, 8, 3
	v_ffbh_u32_e32 v22, v20
	v_min_u32_e32 v22, 32, v22
	v_lshrrev_b16_e32 v21, 3, v14
	v_subrev_u32_e32 v23, 28, v22
	v_and_b32_e32 v21, 15, v21
	v_lshlrev_b32_e32 v14, v23, v14
	v_sub_u32_e32 v22, 29, v22
	v_and_b32_e32 v14, 7, v14
	v_cmp_eq_u16_e32 vcc, 0, v21
	v_cndmask_b32_e32 v14, v20, v14, vcc
	v_cndmask_b32_e32 v20, v21, v22, vcc
	v_lshlrev_b32_e32 v21, 16, v11
	v_mov_b32_e32 v22, 0x3b800000
	v_lshlrev_b32_e32 v14, 20, v14
	v_and_b32_e32 v21, 0x80000000, v21
	v_lshl_add_u32 v20, v20, 23, v22
	v_or3_b32 v20, v21, v20, v14
.LBB3_560:
	s_or_b64 exec, exec, s[6:7]
	s_nop 0
	v_mfma_f32_16x16x4f32 a[0:3], v10, v20, a[0:3]
	s_movk_i32 s4, 0xff
	v_and_b32_sdwa v14, v15, s4 dst_sel:DWORD dst_unused:UNUSED_PAD src0_sel:WORD_1 src1_sel:DWORD
	s_movk_i32 s4, 0x7f
	v_cmp_lt_i16_e32 vcc, s4, v14
	s_mov_b64 s[4:5], 0
                                        ; implicit-def: $sgpr10
	s_and_saveexec_b64 s[6:7], vcc
	s_xor_b64 s[6:7], exec, s[6:7]
	s_cbranch_execnz .LBB3_2609
; %bb.561:
	s_or_saveexec_b64 s[6:7], s[6:7]
	v_mov_b32_e32 v10, s10
	s_xor_b64 exec, exec, s[6:7]
	s_cbranch_execnz .LBB3_2612
.LBB3_562:
	s_or_b64 exec, exec, s[6:7]
	s_and_saveexec_b64 s[6:7], s[4:5]
	s_cbranch_execz .LBB3_564
.LBB3_563:
	v_bfe_u32 v10, v15, 16, 3
	v_ffbh_u32_e32 v21, v10
	v_min_u32_e32 v21, 32, v21
	v_lshrrev_b32_e32 v14, 19, v15
	v_subrev_u32_e32 v22, 28, v21
	v_and_b32_e32 v14, 15, v14
	v_lshlrev_b32_sdwa v22, v22, v15 dst_sel:DWORD dst_unused:UNUSED_PAD src0_sel:DWORD src1_sel:WORD_1
	v_bfe_u32 v20, v15, 19, 4
	v_sub_u32_e32 v21, 29, v21
	v_and_b32_e32 v22, 7, v22
	v_cmp_eq_u16_e32 vcc, 0, v14
	v_cndmask_b32_e32 v10, v10, v22, vcc
	v_cndmask_b32_e32 v14, v20, v21, vcc
	v_lshlrev_b32_e32 v20, 8, v15
	v_mov_b32_e32 v21, 0x3b800000
	v_lshlrev_b32_e32 v10, 20, v10
	v_and_b32_e32 v20, 0x80000000, v20
	v_lshl_add_u32 v14, v14, 23, v21
	v_or3_b32 v10, v20, v14, v10
.LBB3_564:
	s_or_b64 exec, exec, s[6:7]
	s_movk_i32 s4, 0xff
	v_and_b32_sdwa v14, v11, s4 dst_sel:DWORD dst_unused:UNUSED_PAD src0_sel:WORD_1 src1_sel:DWORD
	s_movk_i32 s4, 0x7f
	v_cmp_lt_i16_e32 vcc, s4, v14
	s_mov_b64 s[4:5], 0
                                        ; implicit-def: $sgpr10
	s_and_saveexec_b64 s[6:7], vcc
	s_xor_b64 s[6:7], exec, s[6:7]
	s_cbranch_execnz .LBB3_2613
; %bb.565:
	s_or_saveexec_b64 s[6:7], s[6:7]
	v_mov_b32_e32 v20, s10
	s_xor_b64 exec, exec, s[6:7]
	s_cbranch_execnz .LBB3_2616
.LBB3_566:
	s_or_b64 exec, exec, s[6:7]
	s_and_saveexec_b64 s[6:7], s[4:5]
	s_cbranch_execz .LBB3_568
.LBB3_567:
	v_bfe_u32 v14, v11, 16, 3
	v_ffbh_u32_e32 v22, v14
	v_min_u32_e32 v22, 32, v22
	v_lshrrev_b32_e32 v20, 19, v11
	v_subrev_u32_e32 v23, 28, v22
	v_and_b32_e32 v20, 15, v20
	v_lshlrev_b32_sdwa v23, v23, v11 dst_sel:DWORD dst_unused:UNUSED_PAD src0_sel:DWORD src1_sel:WORD_1
	v_bfe_u32 v21, v11, 19, 4
	v_sub_u32_e32 v22, 29, v22
	v_and_b32_e32 v23, 7, v23
	v_cmp_eq_u16_e32 vcc, 0, v20
	v_cndmask_b32_e32 v14, v14, v23, vcc
	v_cndmask_b32_e32 v20, v21, v22, vcc
	v_lshlrev_b32_e32 v21, 8, v11
	v_mov_b32_e32 v22, 0x3b800000
	v_lshlrev_b32_e32 v14, 20, v14
	v_and_b32_e32 v21, 0x80000000, v21
	v_lshl_add_u32 v20, v20, 23, v22
	v_or3_b32 v20, v21, v20, v14
.LBB3_568:
	s_or_b64 exec, exec, s[6:7]
	s_nop 0
	v_mfma_f32_16x16x4f32 a[0:3], v10, v20, a[0:3]
	s_movk_i32 s4, 0x7f
	v_cmp_gt_i16_sdwa s[6:7], v15, s4 src0_sel:BYTE_3 src1_sel:DWORD
	s_mov_b64 s[4:5], 0
                                        ; implicit-def: $sgpr10
	s_and_saveexec_b64 s[8:9], s[6:7]
	s_xor_b64 s[6:7], exec, s[8:9]
	s_cbranch_execnz .LBB3_2617
; %bb.569:
	s_or_saveexec_b64 s[6:7], s[6:7]
	v_mov_b32_e32 v10, s10
	s_xor_b64 exec, exec, s[6:7]
	s_cbranch_execnz .LBB3_2620
.LBB3_570:
	s_or_b64 exec, exec, s[6:7]
	s_and_saveexec_b64 s[6:7], s[4:5]
	s_cbranch_execz .LBB3_572
.LBB3_571:
	v_bfe_u32 v10, v15, 24, 3
	v_ffbh_u32_e32 v22, v10
	v_min_u32_e32 v22, 32, v22
	v_lshrrev_b32_e32 v20, 27, v15
	v_subrev_u32_e32 v23, 28, v22
	v_and_b32_e32 v14, 0x80000000, v15
	v_and_b32_e32 v20, 15, v20
	v_bfe_u32 v21, v15, 27, 4
	v_lshlrev_b32_sdwa v15, v23, v15 dst_sel:DWORD dst_unused:UNUSED_PAD src0_sel:DWORD src1_sel:BYTE_3
	v_sub_u32_e32 v22, 29, v22
	v_and_b32_e32 v15, 7, v15
	v_cmp_eq_u16_e32 vcc, 0, v20
	v_cndmask_b32_e32 v10, v10, v15, vcc
	v_cndmask_b32_e32 v15, v21, v22, vcc
	v_mov_b32_e32 v20, 0x3b800000
	v_lshlrev_b32_e32 v10, 20, v10
	v_lshl_add_u32 v15, v15, 23, v20
	v_or3_b32 v10, v14, v15, v10
.LBB3_572:
	s_or_b64 exec, exec, s[6:7]
	s_movk_i32 s4, 0x7f
	v_cmp_gt_i16_sdwa s[6:7], v11, s4 src0_sel:BYTE_3 src1_sel:DWORD
	s_mov_b64 s[4:5], 0
                                        ; implicit-def: $sgpr10
	s_and_saveexec_b64 s[8:9], s[6:7]
	s_xor_b64 s[6:7], exec, s[8:9]
	s_cbranch_execnz .LBB3_2621
; %bb.573:
	s_or_saveexec_b64 s[6:7], s[6:7]
	v_mov_b32_e32 v14, s10
	s_xor_b64 exec, exec, s[6:7]
	s_cbranch_execnz .LBB3_2624
.LBB3_574:
	s_or_b64 exec, exec, s[6:7]
	s_and_saveexec_b64 s[6:7], s[4:5]
	s_cbranch_execz .LBB3_576
.LBB3_575:
	v_bfe_u32 v14, v11, 24, 3
	v_ffbh_u32_e32 v22, v14
	v_min_u32_e32 v22, 32, v22
	v_lshrrev_b32_e32 v20, 27, v11
	v_subrev_u32_e32 v23, 28, v22
	v_and_b32_e32 v15, 0x80000000, v11
	v_and_b32_e32 v20, 15, v20
	v_bfe_u32 v21, v11, 27, 4
	v_lshlrev_b32_sdwa v11, v23, v11 dst_sel:DWORD dst_unused:UNUSED_PAD src0_sel:DWORD src1_sel:BYTE_3
	v_sub_u32_e32 v22, 29, v22
	v_and_b32_e32 v11, 7, v11
	v_cmp_eq_u16_e32 vcc, 0, v20
	v_cndmask_b32_e32 v11, v14, v11, vcc
	v_cndmask_b32_e32 v14, v21, v22, vcc
	v_mov_b32_e32 v20, 0x3b800000
	v_lshlrev_b32_e32 v11, 20, v11
	v_lshl_add_u32 v14, v14, 23, v20
	v_or3_b32 v14, v15, v14, v11
.LBB3_576:
	s_or_b64 exec, exec, s[6:7]
	s_nop 0
	v_mfma_f32_16x16x4f32 a[0:3], v10, v14, a[0:3]
	s_movk_i32 s4, 0x7f
	v_cmp_gt_i16_sdwa s[6:7], v16, s4 src0_sel:BYTE_0 src1_sel:DWORD
	s_mov_b64 s[4:5], 0
                                        ; implicit-def: $sgpr10
	s_and_saveexec_b64 s[8:9], s[6:7]
	s_xor_b64 s[6:7], exec, s[8:9]
	s_cbranch_execnz .LBB3_2625
; %bb.577:
	s_or_saveexec_b64 s[6:7], s[6:7]
	v_mov_b32_e32 v10, s10
	s_xor_b64 exec, exec, s[6:7]
	s_cbranch_execnz .LBB3_2628
.LBB3_578:
	s_or_b64 exec, exec, s[6:7]
	s_and_saveexec_b64 s[6:7], s[4:5]
	s_cbranch_execz .LBB3_580
.LBB3_579:
	v_and_b32_e32 v10, 7, v16
	v_ffbh_u32_e32 v14, v10
	v_min_u32_e32 v14, 32, v14
	v_lshrrev_b16_e32 v11, 3, v16
	v_subrev_u32_e32 v15, 28, v14
	v_and_b32_e32 v11, 15, v11
	v_lshlrev_b32_e32 v15, v15, v16
	v_sub_u32_e32 v14, 29, v14
	v_and_b32_e32 v15, 7, v15
	v_cmp_eq_u16_e32 vcc, 0, v11
	v_cndmask_b32_e32 v10, v10, v15, vcc
	v_cndmask_b32_e32 v11, v11, v14, vcc
	v_lshlrev_b32_e32 v14, 24, v16
	v_mov_b32_e32 v15, 0x3b800000
	v_lshlrev_b32_e32 v10, 20, v10
	v_and_b32_e32 v14, 0x80000000, v14
	v_lshl_add_u32 v11, v11, 23, v15
	v_or3_b32 v10, v14, v11, v10
.LBB3_580:
	s_or_b64 exec, exec, s[6:7]
	s_movk_i32 s4, 0x7f
	v_cmp_gt_i16_sdwa s[6:7], v12, s4 src0_sel:BYTE_0 src1_sel:DWORD
	s_mov_b64 s[4:5], 0
                                        ; implicit-def: $sgpr10
	s_and_saveexec_b64 s[8:9], s[6:7]
	s_xor_b64 s[6:7], exec, s[8:9]
	s_cbranch_execnz .LBB3_2629
; %bb.581:
	s_or_saveexec_b64 s[6:7], s[6:7]
	v_mov_b32_e32 v11, s10
	s_xor_b64 exec, exec, s[6:7]
	s_cbranch_execnz .LBB3_2632
.LBB3_582:
	s_or_b64 exec, exec, s[6:7]
	s_and_saveexec_b64 s[6:7], s[4:5]
	s_cbranch_execz .LBB3_584
.LBB3_583:
	v_and_b32_e32 v11, 7, v12
	v_ffbh_u32_e32 v15, v11
	v_min_u32_e32 v15, 32, v15
	v_lshrrev_b16_e32 v14, 3, v12
	v_subrev_u32_e32 v20, 28, v15
	v_and_b32_e32 v14, 15, v14
	v_lshlrev_b32_e32 v20, v20, v12
	v_sub_u32_e32 v15, 29, v15
	v_and_b32_e32 v20, 7, v20
	v_cmp_eq_u16_e32 vcc, 0, v14
	v_cndmask_b32_e32 v11, v11, v20, vcc
	v_cndmask_b32_e32 v14, v14, v15, vcc
	v_lshlrev_b32_e32 v15, 24, v12
	v_mov_b32_e32 v20, 0x3b800000
	v_lshlrev_b32_e32 v11, 20, v11
	v_and_b32_e32 v15, 0x80000000, v15
	v_lshl_add_u32 v14, v14, 23, v20
	v_or3_b32 v11, v15, v14, v11
.LBB3_584:
	s_or_b64 exec, exec, s[6:7]
	s_nop 0
	v_mfma_f32_16x16x4f32 a[0:3], v10, v11, a[0:3]
	v_lshrrev_b32_e32 v11, 8, v16
	s_movk_i32 s4, 0x7f
	v_cmp_gt_i16_sdwa s[6:7], v11, s4 src0_sel:BYTE_0 src1_sel:DWORD
	s_mov_b64 s[4:5], 0
                                        ; implicit-def: $sgpr10
	s_and_saveexec_b64 s[8:9], s[6:7]
	s_xor_b64 s[6:7], exec, s[8:9]
	s_cbranch_execnz .LBB3_2633
; %bb.585:
	s_or_saveexec_b64 s[6:7], s[6:7]
	v_mov_b32_e32 v10, s10
	s_xor_b64 exec, exec, s[6:7]
	s_cbranch_execnz .LBB3_2636
.LBB3_586:
	s_or_b64 exec, exec, s[6:7]
	s_and_saveexec_b64 s[6:7], s[4:5]
	s_cbranch_execz .LBB3_588
.LBB3_587:
	v_bfe_u32 v10, v16, 8, 3
	v_ffbh_u32_e32 v15, v10
	v_min_u32_e32 v15, 32, v15
	v_lshrrev_b16_e32 v14, 3, v11
	v_subrev_u32_e32 v20, 28, v15
	v_and_b32_e32 v14, 15, v14
	v_lshlrev_b32_e32 v11, v20, v11
	v_sub_u32_e32 v15, 29, v15
	v_and_b32_e32 v11, 7, v11
	v_cmp_eq_u16_e32 vcc, 0, v14
	v_cndmask_b32_e32 v10, v10, v11, vcc
	v_cndmask_b32_e32 v11, v14, v15, vcc
	v_lshlrev_b32_e32 v14, 16, v16
	v_mov_b32_e32 v15, 0x3b800000
	v_lshlrev_b32_e32 v10, 20, v10
	v_and_b32_e32 v14, 0x80000000, v14
	v_lshl_add_u32 v11, v11, 23, v15
	v_or3_b32 v10, v14, v11, v10
.LBB3_588:
	s_or_b64 exec, exec, s[6:7]
	v_lshrrev_b32_e32 v11, 8, v12
	s_movk_i32 s4, 0x7f
	v_cmp_gt_i16_sdwa s[6:7], v11, s4 src0_sel:BYTE_0 src1_sel:DWORD
	s_mov_b64 s[4:5], 0
                                        ; implicit-def: $sgpr10
	s_and_saveexec_b64 s[8:9], s[6:7]
	s_xor_b64 s[6:7], exec, s[8:9]
	s_cbranch_execnz .LBB3_2637
; %bb.589:
	s_or_saveexec_b64 s[6:7], s[6:7]
	v_mov_b32_e32 v14, s10
	s_xor_b64 exec, exec, s[6:7]
	s_cbranch_execnz .LBB3_2640
.LBB3_590:
	s_or_b64 exec, exec, s[6:7]
	s_and_saveexec_b64 s[6:7], s[4:5]
	s_cbranch_execz .LBB3_592
.LBB3_591:
	v_bfe_u32 v14, v12, 8, 3
	v_ffbh_u32_e32 v20, v14
	v_min_u32_e32 v20, 32, v20
	v_lshrrev_b16_e32 v15, 3, v11
	v_subrev_u32_e32 v21, 28, v20
	v_and_b32_e32 v15, 15, v15
	v_lshlrev_b32_e32 v11, v21, v11
	v_sub_u32_e32 v20, 29, v20
	v_and_b32_e32 v11, 7, v11
	v_cmp_eq_u16_e32 vcc, 0, v15
	v_cndmask_b32_e32 v11, v14, v11, vcc
	v_cndmask_b32_e32 v14, v15, v20, vcc
	v_lshlrev_b32_e32 v15, 16, v12
	v_mov_b32_e32 v20, 0x3b800000
	v_lshlrev_b32_e32 v11, 20, v11
	v_and_b32_e32 v15, 0x80000000, v15
	v_lshl_add_u32 v14, v14, 23, v20
	v_or3_b32 v14, v15, v14, v11
.LBB3_592:
	s_or_b64 exec, exec, s[6:7]
	s_nop 0
	v_mfma_f32_16x16x4f32 a[0:3], v10, v14, a[0:3]
	s_movk_i32 s4, 0xff
	v_and_b32_sdwa v11, v16, s4 dst_sel:DWORD dst_unused:UNUSED_PAD src0_sel:WORD_1 src1_sel:DWORD
	s_movk_i32 s4, 0x7f
	v_cmp_lt_i16_e32 vcc, s4, v11
	s_mov_b64 s[4:5], 0
                                        ; implicit-def: $sgpr10
	s_and_saveexec_b64 s[6:7], vcc
	s_xor_b64 s[6:7], exec, s[6:7]
	s_cbranch_execnz .LBB3_2641
; %bb.593:
	s_or_saveexec_b64 s[6:7], s[6:7]
	v_mov_b32_e32 v10, s10
	s_xor_b64 exec, exec, s[6:7]
	s_cbranch_execnz .LBB3_2644
.LBB3_594:
	s_or_b64 exec, exec, s[6:7]
	s_and_saveexec_b64 s[6:7], s[4:5]
	s_cbranch_execz .LBB3_596
.LBB3_595:
	v_bfe_u32 v10, v16, 16, 3
	v_ffbh_u32_e32 v15, v10
	v_min_u32_e32 v15, 32, v15
	v_lshrrev_b32_e32 v11, 19, v16
	v_subrev_u32_e32 v20, 28, v15
	v_and_b32_e32 v11, 15, v11
	v_lshlrev_b32_sdwa v20, v20, v16 dst_sel:DWORD dst_unused:UNUSED_PAD src0_sel:DWORD src1_sel:WORD_1
	v_bfe_u32 v14, v16, 19, 4
	v_sub_u32_e32 v15, 29, v15
	v_and_b32_e32 v20, 7, v20
	v_cmp_eq_u16_e32 vcc, 0, v11
	v_cndmask_b32_e32 v10, v10, v20, vcc
	v_cndmask_b32_e32 v11, v14, v15, vcc
	v_lshlrev_b32_e32 v14, 8, v16
	v_mov_b32_e32 v15, 0x3b800000
	v_lshlrev_b32_e32 v10, 20, v10
	v_and_b32_e32 v14, 0x80000000, v14
	v_lshl_add_u32 v11, v11, 23, v15
	v_or3_b32 v10, v14, v11, v10
.LBB3_596:
	s_or_b64 exec, exec, s[6:7]
	s_movk_i32 s4, 0xff
	v_and_b32_sdwa v11, v12, s4 dst_sel:DWORD dst_unused:UNUSED_PAD src0_sel:WORD_1 src1_sel:DWORD
	s_movk_i32 s4, 0x7f
	v_cmp_lt_i16_e32 vcc, s4, v11
	s_mov_b64 s[4:5], 0
                                        ; implicit-def: $sgpr10
	s_and_saveexec_b64 s[6:7], vcc
	s_xor_b64 s[6:7], exec, s[6:7]
	s_cbranch_execnz .LBB3_2645
; %bb.597:
	s_or_saveexec_b64 s[6:7], s[6:7]
	v_mov_b32_e32 v14, s10
	s_xor_b64 exec, exec, s[6:7]
	s_cbranch_execnz .LBB3_2648
.LBB3_598:
	s_or_b64 exec, exec, s[6:7]
	s_and_saveexec_b64 s[6:7], s[4:5]
	s_cbranch_execz .LBB3_600
.LBB3_599:
	v_bfe_u32 v11, v12, 16, 3
	v_ffbh_u32_e32 v20, v11
	v_min_u32_e32 v20, 32, v20
	v_lshrrev_b32_e32 v14, 19, v12
	v_subrev_u32_e32 v21, 28, v20
	v_and_b32_e32 v14, 15, v14
	v_lshlrev_b32_sdwa v21, v21, v12 dst_sel:DWORD dst_unused:UNUSED_PAD src0_sel:DWORD src1_sel:WORD_1
	v_bfe_u32 v15, v12, 19, 4
	v_sub_u32_e32 v20, 29, v20
	v_and_b32_e32 v21, 7, v21
	v_cmp_eq_u16_e32 vcc, 0, v14
	v_cndmask_b32_e32 v11, v11, v21, vcc
	v_cndmask_b32_e32 v14, v15, v20, vcc
	v_lshlrev_b32_e32 v15, 8, v12
	v_mov_b32_e32 v20, 0x3b800000
	v_lshlrev_b32_e32 v11, 20, v11
	v_and_b32_e32 v15, 0x80000000, v15
	v_lshl_add_u32 v14, v14, 23, v20
	v_or3_b32 v14, v15, v14, v11
.LBB3_600:
	s_or_b64 exec, exec, s[6:7]
	s_nop 0
	v_mfma_f32_16x16x4f32 a[0:3], v10, v14, a[0:3]
	s_movk_i32 s4, 0x7f
	v_cmp_gt_i16_sdwa s[6:7], v16, s4 src0_sel:BYTE_3 src1_sel:DWORD
	s_mov_b64 s[4:5], 0
                                        ; implicit-def: $sgpr10
	s_and_saveexec_b64 s[8:9], s[6:7]
	s_xor_b64 s[6:7], exec, s[8:9]
	s_cbranch_execnz .LBB3_2649
; %bb.601:
	s_or_saveexec_b64 s[6:7], s[6:7]
	v_mov_b32_e32 v10, s10
	s_xor_b64 exec, exec, s[6:7]
	s_cbranch_execnz .LBB3_2652
.LBB3_602:
	s_or_b64 exec, exec, s[6:7]
	s_and_saveexec_b64 s[6:7], s[4:5]
	s_cbranch_execz .LBB3_604
.LBB3_603:
	v_bfe_u32 v10, v16, 24, 3
	v_ffbh_u32_e32 v20, v10
	v_min_u32_e32 v20, 32, v20
	v_lshrrev_b32_e32 v14, 27, v16
	v_subrev_u32_e32 v21, 28, v20
	v_and_b32_e32 v11, 0x80000000, v16
	v_and_b32_e32 v14, 15, v14
	v_bfe_u32 v15, v16, 27, 4
	v_lshlrev_b32_sdwa v16, v21, v16 dst_sel:DWORD dst_unused:UNUSED_PAD src0_sel:DWORD src1_sel:BYTE_3
	v_sub_u32_e32 v20, 29, v20
	v_and_b32_e32 v16, 7, v16
	v_cmp_eq_u16_e32 vcc, 0, v14
	v_cndmask_b32_e32 v10, v10, v16, vcc
	v_cndmask_b32_e32 v14, v15, v20, vcc
	v_mov_b32_e32 v15, 0x3b800000
	v_lshlrev_b32_e32 v10, 20, v10
	v_lshl_add_u32 v14, v14, 23, v15
	v_or3_b32 v10, v11, v14, v10
.LBB3_604:
	s_or_b64 exec, exec, s[6:7]
	s_movk_i32 s4, 0x7f
	v_cmp_gt_i16_sdwa s[6:7], v12, s4 src0_sel:BYTE_3 src1_sel:DWORD
	s_mov_b64 s[4:5], 0
                                        ; implicit-def: $sgpr10
	s_and_saveexec_b64 s[8:9], s[6:7]
	s_xor_b64 s[6:7], exec, s[8:9]
	s_cbranch_execnz .LBB3_2653
; %bb.605:
	s_or_saveexec_b64 s[6:7], s[6:7]
	v_mov_b32_e32 v11, s10
	s_xor_b64 exec, exec, s[6:7]
	s_cbranch_execnz .LBB3_2656
.LBB3_606:
	s_or_b64 exec, exec, s[6:7]
	s_and_saveexec_b64 s[6:7], s[4:5]
	s_cbranch_execz .LBB3_608
.LBB3_607:
	v_bfe_u32 v11, v12, 24, 3
	v_ffbh_u32_e32 v20, v11
	v_min_u32_e32 v20, 32, v20
	v_lshrrev_b32_e32 v15, 27, v12
	v_subrev_u32_e32 v21, 28, v20
	v_and_b32_e32 v14, 0x80000000, v12
	v_and_b32_e32 v15, 15, v15
	v_bfe_u32 v16, v12, 27, 4
	v_lshlrev_b32_sdwa v12, v21, v12 dst_sel:DWORD dst_unused:UNUSED_PAD src0_sel:DWORD src1_sel:BYTE_3
	v_sub_u32_e32 v20, 29, v20
	v_and_b32_e32 v12, 7, v12
	v_cmp_eq_u16_e32 vcc, 0, v15
	v_cndmask_b32_e32 v11, v11, v12, vcc
	v_cndmask_b32_e32 v12, v16, v20, vcc
	v_mov_b32_e32 v15, 0x3b800000
	v_lshlrev_b32_e32 v11, 20, v11
	v_lshl_add_u32 v12, v12, 23, v15
	v_or3_b32 v11, v14, v12, v11
.LBB3_608:
	s_or_b64 exec, exec, s[6:7]
	s_nop 0
	v_mfma_f32_16x16x4f32 a[0:3], v10, v11, a[0:3]
	s_movk_i32 s4, 0x7f
	v_cmp_gt_i16_sdwa s[6:7], v17, s4 src0_sel:BYTE_0 src1_sel:DWORD
	s_mov_b64 s[4:5], 0
                                        ; implicit-def: $sgpr10
	s_and_saveexec_b64 s[8:9], s[6:7]
	s_xor_b64 s[6:7], exec, s[8:9]
	s_cbranch_execnz .LBB3_2657
; %bb.609:
	s_or_saveexec_b64 s[6:7], s[6:7]
	v_mov_b32_e32 v10, s10
	s_xor_b64 exec, exec, s[6:7]
	s_cbranch_execnz .LBB3_2660
.LBB3_610:
	s_or_b64 exec, exec, s[6:7]
	s_and_saveexec_b64 s[6:7], s[4:5]
	s_cbranch_execz .LBB3_612
.LBB3_611:
	v_and_b32_e32 v10, 7, v17
	v_ffbh_u32_e32 v12, v10
	v_min_u32_e32 v12, 32, v12
	v_lshrrev_b16_e32 v11, 3, v17
	v_subrev_u32_e32 v14, 28, v12
	v_and_b32_e32 v11, 15, v11
	v_lshlrev_b32_e32 v14, v14, v17
	v_sub_u32_e32 v12, 29, v12
	v_and_b32_e32 v14, 7, v14
	v_cmp_eq_u16_e32 vcc, 0, v11
	v_cndmask_b32_e32 v10, v10, v14, vcc
	v_cndmask_b32_e32 v11, v11, v12, vcc
	v_lshlrev_b32_e32 v12, 24, v17
	v_mov_b32_e32 v14, 0x3b800000
	v_lshlrev_b32_e32 v10, 20, v10
	v_and_b32_e32 v12, 0x80000000, v12
	v_lshl_add_u32 v11, v11, 23, v14
	v_or3_b32 v10, v12, v11, v10
.LBB3_612:
	s_or_b64 exec, exec, s[6:7]
	s_movk_i32 s4, 0x7f
	v_cmp_gt_i16_sdwa s[6:7], v13, s4 src0_sel:BYTE_0 src1_sel:DWORD
	s_mov_b64 s[4:5], 0
                                        ; implicit-def: $sgpr10
	s_and_saveexec_b64 s[8:9], s[6:7]
	s_xor_b64 s[6:7], exec, s[8:9]
	s_cbranch_execnz .LBB3_2661
; %bb.613:
	s_or_saveexec_b64 s[6:7], s[6:7]
	v_mov_b32_e32 v11, s10
	s_xor_b64 exec, exec, s[6:7]
	s_cbranch_execnz .LBB3_2664
.LBB3_614:
	s_or_b64 exec, exec, s[6:7]
	s_and_saveexec_b64 s[6:7], s[4:5]
	s_cbranch_execz .LBB3_616
.LBB3_615:
	v_and_b32_e32 v11, 7, v13
	v_ffbh_u32_e32 v14, v11
	v_min_u32_e32 v14, 32, v14
	v_lshrrev_b16_e32 v12, 3, v13
	v_subrev_u32_e32 v15, 28, v14
	v_and_b32_e32 v12, 15, v12
	v_lshlrev_b32_e32 v15, v15, v13
	v_sub_u32_e32 v14, 29, v14
	v_and_b32_e32 v15, 7, v15
	v_cmp_eq_u16_e32 vcc, 0, v12
	v_cndmask_b32_e32 v11, v11, v15, vcc
	v_cndmask_b32_e32 v12, v12, v14, vcc
	v_lshlrev_b32_e32 v14, 24, v13
	v_mov_b32_e32 v15, 0x3b800000
	v_lshlrev_b32_e32 v11, 20, v11
	v_and_b32_e32 v14, 0x80000000, v14
	v_lshl_add_u32 v12, v12, 23, v15
	v_or3_b32 v11, v14, v12, v11
.LBB3_616:
	s_or_b64 exec, exec, s[6:7]
	s_nop 0
	v_mfma_f32_16x16x4f32 a[0:3], v10, v11, a[0:3]
	v_lshrrev_b32_e32 v11, 8, v17
	s_movk_i32 s4, 0x7f
	v_cmp_gt_i16_sdwa s[6:7], v11, s4 src0_sel:BYTE_0 src1_sel:DWORD
	s_mov_b64 s[4:5], 0
                                        ; implicit-def: $sgpr10
	s_and_saveexec_b64 s[8:9], s[6:7]
	s_xor_b64 s[6:7], exec, s[8:9]
	s_cbranch_execnz .LBB3_2665
; %bb.617:
	s_or_saveexec_b64 s[6:7], s[6:7]
	v_mov_b32_e32 v10, s10
	s_xor_b64 exec, exec, s[6:7]
	s_cbranch_execnz .LBB3_2668
.LBB3_618:
	s_or_b64 exec, exec, s[6:7]
	s_and_saveexec_b64 s[6:7], s[4:5]
	s_cbranch_execz .LBB3_620
.LBB3_619:
	v_bfe_u32 v10, v17, 8, 3
	v_ffbh_u32_e32 v14, v10
	v_min_u32_e32 v14, 32, v14
	v_lshrrev_b16_e32 v12, 3, v11
	v_subrev_u32_e32 v15, 28, v14
	v_and_b32_e32 v12, 15, v12
	v_lshlrev_b32_e32 v11, v15, v11
	v_sub_u32_e32 v14, 29, v14
	v_and_b32_e32 v11, 7, v11
	v_cmp_eq_u16_e32 vcc, 0, v12
	v_cndmask_b32_e32 v10, v10, v11, vcc
	v_cndmask_b32_e32 v11, v12, v14, vcc
	v_lshlrev_b32_e32 v12, 16, v17
	v_mov_b32_e32 v14, 0x3b800000
	v_lshlrev_b32_e32 v10, 20, v10
	v_and_b32_e32 v12, 0x80000000, v12
	v_lshl_add_u32 v11, v11, 23, v14
	v_or3_b32 v10, v12, v11, v10
.LBB3_620:
	s_or_b64 exec, exec, s[6:7]
	v_lshrrev_b32_e32 v11, 8, v13
	s_movk_i32 s4, 0x7f
	v_cmp_gt_i16_sdwa s[6:7], v11, s4 src0_sel:BYTE_0 src1_sel:DWORD
	s_mov_b64 s[4:5], 0
                                        ; implicit-def: $sgpr10
	s_and_saveexec_b64 s[8:9], s[6:7]
	s_xor_b64 s[6:7], exec, s[8:9]
	s_cbranch_execnz .LBB3_2669
; %bb.621:
	s_or_saveexec_b64 s[6:7], s[6:7]
	v_mov_b32_e32 v12, s10
	s_xor_b64 exec, exec, s[6:7]
	s_cbranch_execnz .LBB3_2672
.LBB3_622:
	s_or_b64 exec, exec, s[6:7]
	s_and_saveexec_b64 s[6:7], s[4:5]
	s_cbranch_execz .LBB3_624
.LBB3_623:
	v_bfe_u32 v12, v13, 8, 3
	v_ffbh_u32_e32 v15, v12
	v_min_u32_e32 v15, 32, v15
	v_lshrrev_b16_e32 v14, 3, v11
	v_subrev_u32_e32 v16, 28, v15
	v_and_b32_e32 v14, 15, v14
	v_lshlrev_b32_e32 v11, v16, v11
	v_sub_u32_e32 v15, 29, v15
	v_and_b32_e32 v11, 7, v11
	v_cmp_eq_u16_e32 vcc, 0, v14
	v_cndmask_b32_e32 v11, v12, v11, vcc
	v_cndmask_b32_e32 v12, v14, v15, vcc
	v_lshlrev_b32_e32 v14, 16, v13
	v_mov_b32_e32 v15, 0x3b800000
	v_lshlrev_b32_e32 v11, 20, v11
	v_and_b32_e32 v14, 0x80000000, v14
	v_lshl_add_u32 v12, v12, 23, v15
	v_or3_b32 v12, v14, v12, v11
.LBB3_624:
	s_or_b64 exec, exec, s[6:7]
	s_nop 0
	v_mfma_f32_16x16x4f32 a[0:3], v10, v12, a[0:3]
	s_movk_i32 s4, 0xff
	v_and_b32_sdwa v11, v17, s4 dst_sel:DWORD dst_unused:UNUSED_PAD src0_sel:WORD_1 src1_sel:DWORD
	s_movk_i32 s4, 0x7f
	v_cmp_lt_i16_e32 vcc, s4, v11
	s_mov_b64 s[4:5], 0
                                        ; implicit-def: $sgpr10
	s_and_saveexec_b64 s[6:7], vcc
	s_xor_b64 s[6:7], exec, s[6:7]
	s_cbranch_execnz .LBB3_2673
; %bb.625:
	s_or_saveexec_b64 s[6:7], s[6:7]
	v_mov_b32_e32 v10, s10
	s_xor_b64 exec, exec, s[6:7]
	s_cbranch_execnz .LBB3_2676
.LBB3_626:
	s_or_b64 exec, exec, s[6:7]
	s_and_saveexec_b64 s[6:7], s[4:5]
	s_cbranch_execz .LBB3_628
.LBB3_627:
	v_bfe_u32 v10, v17, 16, 3
	v_ffbh_u32_e32 v14, v10
	v_min_u32_e32 v14, 32, v14
	v_lshrrev_b32_e32 v11, 19, v17
	v_subrev_u32_e32 v15, 28, v14
	v_and_b32_e32 v11, 15, v11
	v_lshlrev_b32_sdwa v15, v15, v17 dst_sel:DWORD dst_unused:UNUSED_PAD src0_sel:DWORD src1_sel:WORD_1
	v_bfe_u32 v12, v17, 19, 4
	v_sub_u32_e32 v14, 29, v14
	v_and_b32_e32 v15, 7, v15
	v_cmp_eq_u16_e32 vcc, 0, v11
	v_cndmask_b32_e32 v10, v10, v15, vcc
	v_cndmask_b32_e32 v11, v12, v14, vcc
	v_lshlrev_b32_e32 v12, 8, v17
	v_mov_b32_e32 v14, 0x3b800000
	v_lshlrev_b32_e32 v10, 20, v10
	v_and_b32_e32 v12, 0x80000000, v12
	v_lshl_add_u32 v11, v11, 23, v14
	v_or3_b32 v10, v12, v11, v10
.LBB3_628:
	s_or_b64 exec, exec, s[6:7]
	s_movk_i32 s4, 0xff
	v_and_b32_sdwa v11, v13, s4 dst_sel:DWORD dst_unused:UNUSED_PAD src0_sel:WORD_1 src1_sel:DWORD
	s_movk_i32 s4, 0x7f
	v_cmp_lt_i16_e32 vcc, s4, v11
	s_mov_b64 s[4:5], 0
                                        ; implicit-def: $sgpr10
	s_and_saveexec_b64 s[6:7], vcc
	s_xor_b64 s[6:7], exec, s[6:7]
	s_cbranch_execnz .LBB3_2677
; %bb.629:
	s_or_saveexec_b64 s[6:7], s[6:7]
	v_mov_b32_e32 v12, s10
	s_xor_b64 exec, exec, s[6:7]
	s_cbranch_execnz .LBB3_2680
.LBB3_630:
	s_or_b64 exec, exec, s[6:7]
	s_and_saveexec_b64 s[6:7], s[4:5]
	s_cbranch_execz .LBB3_632
.LBB3_631:
	v_bfe_u32 v11, v13, 16, 3
	v_ffbh_u32_e32 v15, v11
	v_min_u32_e32 v15, 32, v15
	v_lshrrev_b32_e32 v12, 19, v13
	v_subrev_u32_e32 v16, 28, v15
	v_and_b32_e32 v12, 15, v12
	v_lshlrev_b32_sdwa v16, v16, v13 dst_sel:DWORD dst_unused:UNUSED_PAD src0_sel:DWORD src1_sel:WORD_1
	v_bfe_u32 v14, v13, 19, 4
	v_sub_u32_e32 v15, 29, v15
	v_and_b32_e32 v16, 7, v16
	v_cmp_eq_u16_e32 vcc, 0, v12
	v_cndmask_b32_e32 v11, v11, v16, vcc
	v_cndmask_b32_e32 v12, v14, v15, vcc
	v_lshlrev_b32_e32 v14, 8, v13
	v_mov_b32_e32 v15, 0x3b800000
	v_lshlrev_b32_e32 v11, 20, v11
	v_and_b32_e32 v14, 0x80000000, v14
	v_lshl_add_u32 v12, v12, 23, v15
	v_or3_b32 v12, v14, v12, v11
.LBB3_632:
	s_or_b64 exec, exec, s[6:7]
	s_nop 0
	v_mfma_f32_16x16x4f32 a[0:3], v10, v12, a[0:3]
	s_movk_i32 s4, 0x7f
	v_cmp_gt_i16_sdwa s[6:7], v17, s4 src0_sel:BYTE_3 src1_sel:DWORD
	s_mov_b64 s[4:5], 0
                                        ; implicit-def: $sgpr10
	s_and_saveexec_b64 s[8:9], s[6:7]
	s_xor_b64 s[6:7], exec, s[8:9]
	s_cbranch_execnz .LBB3_2681
; %bb.633:
	s_or_saveexec_b64 s[6:7], s[6:7]
	v_mov_b32_e32 v10, s10
	s_xor_b64 exec, exec, s[6:7]
	s_cbranch_execnz .LBB3_2684
.LBB3_634:
	s_or_b64 exec, exec, s[6:7]
	s_and_saveexec_b64 s[6:7], s[4:5]
	s_cbranch_execz .LBB3_636
.LBB3_635:
	v_bfe_u32 v10, v17, 24, 3
	v_ffbh_u32_e32 v15, v10
	v_min_u32_e32 v15, 32, v15
	v_lshrrev_b32_e32 v12, 27, v17
	v_subrev_u32_e32 v16, 28, v15
	v_and_b32_e32 v12, 15, v12
	v_lshlrev_b32_sdwa v16, v16, v17 dst_sel:DWORD dst_unused:UNUSED_PAD src0_sel:DWORD src1_sel:BYTE_3
	v_bfe_u32 v14, v17, 27, 4
	v_sub_u32_e32 v15, 29, v15
	v_and_b32_e32 v16, 7, v16
	v_cmp_eq_u16_e32 vcc, 0, v12
	v_cndmask_b32_e32 v10, v10, v16, vcc
	v_cndmask_b32_e32 v12, v14, v15, vcc
	v_mov_b32_e32 v14, 0x3b800000
	v_and_b32_e32 v11, 0x80000000, v17
	v_lshlrev_b32_e32 v10, 20, v10
	v_lshl_add_u32 v12, v12, 23, v14
	v_or3_b32 v10, v11, v12, v10
.LBB3_636:
	s_or_b64 exec, exec, s[6:7]
	s_movk_i32 s4, 0x7f
	v_cmp_gt_i16_sdwa s[6:7], v13, s4 src0_sel:BYTE_3 src1_sel:DWORD
	s_mov_b64 s[4:5], 0
                                        ; implicit-def: $sgpr10
	s_and_saveexec_b64 s[8:9], s[6:7]
	s_xor_b64 s[6:7], exec, s[8:9]
	s_cbranch_execnz .LBB3_2685
; %bb.637:
	s_or_saveexec_b64 s[6:7], s[6:7]
	v_mov_b32_e32 v11, s10
	s_xor_b64 exec, exec, s[6:7]
	s_cbranch_execnz .LBB3_2688
.LBB3_638:
	s_or_b64 exec, exec, s[6:7]
	s_and_saveexec_b64 s[6:7], s[4:5]
	s_cbranch_execz .LBB3_640
.LBB3_639:
	v_bfe_u32 v11, v13, 24, 3
	v_ffbh_u32_e32 v16, v11
	v_min_u32_e32 v16, 32, v16
	v_lshrrev_b32_e32 v14, 27, v13
	v_subrev_u32_e32 v17, 28, v16
	v_and_b32_e32 v12, 0x80000000, v13
	v_and_b32_e32 v14, 15, v14
	v_bfe_u32 v15, v13, 27, 4
	v_lshlrev_b32_sdwa v13, v17, v13 dst_sel:DWORD dst_unused:UNUSED_PAD src0_sel:DWORD src1_sel:BYTE_3
	v_sub_u32_e32 v16, 29, v16
	v_and_b32_e32 v13, 7, v13
	v_cmp_eq_u16_e32 vcc, 0, v14
	v_cndmask_b32_e32 v11, v11, v13, vcc
	v_cndmask_b32_e32 v13, v15, v16, vcc
	v_mov_b32_e32 v14, 0x3b800000
	v_lshlrev_b32_e32 v11, 20, v11
	v_lshl_add_u32 v13, v13, 23, v14
	v_or3_b32 v11, v12, v13, v11
.LBB3_640:
	s_or_b64 exec, exec, s[6:7]
	s_nop 0
	v_mfma_f32_16x16x4f32 a[0:3], v10, v11, a[0:3]
	s_movk_i32 s4, 0x7f
	v_cmp_gt_i16_sdwa s[6:7], v6, s4 src0_sel:BYTE_0 src1_sel:DWORD
	s_mov_b64 s[4:5], 0
                                        ; implicit-def: $sgpr10
	s_and_saveexec_b64 s[8:9], s[6:7]
	s_xor_b64 s[6:7], exec, s[8:9]
	s_cbranch_execnz .LBB3_2689
; %bb.641:
	s_or_saveexec_b64 s[6:7], s[6:7]
	v_mov_b32_e32 v10, s10
	s_xor_b64 exec, exec, s[6:7]
	s_cbranch_execnz .LBB3_2692
.LBB3_642:
	s_or_b64 exec, exec, s[6:7]
	s_and_saveexec_b64 s[6:7], s[4:5]
	s_cbranch_execz .LBB3_644
.LBB3_643:
	v_and_b32_e32 v10, 7, v6
	v_ffbh_u32_e32 v12, v10
	v_min_u32_e32 v12, 32, v12
	v_lshrrev_b16_e32 v11, 3, v6
	v_subrev_u32_e32 v13, 28, v12
	v_and_b32_e32 v11, 15, v11
	v_lshlrev_b32_e32 v13, v13, v6
	v_sub_u32_e32 v12, 29, v12
	v_and_b32_e32 v13, 7, v13
	v_cmp_eq_u16_e32 vcc, 0, v11
	v_cndmask_b32_e32 v10, v10, v13, vcc
	v_cndmask_b32_e32 v11, v11, v12, vcc
	v_lshlrev_b32_e32 v12, 24, v6
	v_mov_b32_e32 v13, 0x3b800000
	v_lshlrev_b32_e32 v10, 20, v10
	v_and_b32_e32 v12, 0x80000000, v12
	v_lshl_add_u32 v11, v11, 23, v13
	v_or3_b32 v10, v12, v11, v10
.LBB3_644:
	s_or_b64 exec, exec, s[6:7]
	s_movk_i32 s4, 0x7f
	v_cmp_gt_i16_sdwa s[6:7], v2, s4 src0_sel:BYTE_0 src1_sel:DWORD
	s_mov_b64 s[4:5], 0
                                        ; implicit-def: $sgpr10
	s_and_saveexec_b64 s[8:9], s[6:7]
	s_xor_b64 s[6:7], exec, s[8:9]
	s_cbranch_execnz .LBB3_2693
; %bb.645:
	s_or_saveexec_b64 s[6:7], s[6:7]
	v_mov_b32_e32 v11, s10
	s_xor_b64 exec, exec, s[6:7]
	s_cbranch_execnz .LBB3_2696
.LBB3_646:
	s_or_b64 exec, exec, s[6:7]
	s_and_saveexec_b64 s[6:7], s[4:5]
	s_cbranch_execz .LBB3_648
.LBB3_647:
	v_and_b32_e32 v11, 7, v2
	v_ffbh_u32_e32 v13, v11
	v_min_u32_e32 v13, 32, v13
	v_lshrrev_b16_e32 v12, 3, v2
	v_subrev_u32_e32 v14, 28, v13
	v_and_b32_e32 v12, 15, v12
	v_lshlrev_b32_e32 v14, v14, v2
	v_sub_u32_e32 v13, 29, v13
	v_and_b32_e32 v14, 7, v14
	v_cmp_eq_u16_e32 vcc, 0, v12
	v_cndmask_b32_e32 v11, v11, v14, vcc
	v_cndmask_b32_e32 v12, v12, v13, vcc
	v_lshlrev_b32_e32 v13, 24, v2
	v_mov_b32_e32 v14, 0x3b800000
	v_lshlrev_b32_e32 v11, 20, v11
	v_and_b32_e32 v13, 0x80000000, v13
	v_lshl_add_u32 v12, v12, 23, v14
	v_or3_b32 v11, v13, v12, v11
.LBB3_648:
	s_or_b64 exec, exec, s[6:7]
	s_nop 0
	v_mfma_f32_16x16x4f32 a[0:3], v10, v11, a[0:3]
	v_lshrrev_b32_e32 v11, 8, v6
	s_movk_i32 s4, 0x7f
	v_cmp_gt_i16_sdwa s[6:7], v11, s4 src0_sel:BYTE_0 src1_sel:DWORD
	s_mov_b64 s[4:5], 0
                                        ; implicit-def: $sgpr10
	s_and_saveexec_b64 s[8:9], s[6:7]
	s_xor_b64 s[6:7], exec, s[8:9]
	s_cbranch_execnz .LBB3_2697
; %bb.649:
	s_or_saveexec_b64 s[6:7], s[6:7]
	v_mov_b32_e32 v10, s10
	s_xor_b64 exec, exec, s[6:7]
	s_cbranch_execnz .LBB3_2700
.LBB3_650:
	s_or_b64 exec, exec, s[6:7]
	s_and_saveexec_b64 s[6:7], s[4:5]
	s_cbranch_execz .LBB3_652
.LBB3_651:
	v_bfe_u32 v10, v6, 8, 3
	v_ffbh_u32_e32 v13, v10
	v_min_u32_e32 v13, 32, v13
	v_lshrrev_b16_e32 v12, 3, v11
	v_subrev_u32_e32 v14, 28, v13
	v_and_b32_e32 v12, 15, v12
	v_lshlrev_b32_e32 v11, v14, v11
	v_sub_u32_e32 v13, 29, v13
	v_and_b32_e32 v11, 7, v11
	v_cmp_eq_u16_e32 vcc, 0, v12
	v_cndmask_b32_e32 v10, v10, v11, vcc
	v_cndmask_b32_e32 v11, v12, v13, vcc
	v_lshlrev_b32_e32 v12, 16, v6
	v_mov_b32_e32 v13, 0x3b800000
	v_lshlrev_b32_e32 v10, 20, v10
	v_and_b32_e32 v12, 0x80000000, v12
	v_lshl_add_u32 v11, v11, 23, v13
	v_or3_b32 v10, v12, v11, v10
.LBB3_652:
	s_or_b64 exec, exec, s[6:7]
	v_lshrrev_b32_e32 v11, 8, v2
	s_movk_i32 s4, 0x7f
	v_cmp_gt_i16_sdwa s[6:7], v11, s4 src0_sel:BYTE_0 src1_sel:DWORD
	s_mov_b64 s[4:5], 0
                                        ; implicit-def: $sgpr10
	s_and_saveexec_b64 s[8:9], s[6:7]
	s_xor_b64 s[6:7], exec, s[8:9]
	s_cbranch_execnz .LBB3_2701
; %bb.653:
	s_or_saveexec_b64 s[6:7], s[6:7]
	v_mov_b32_e32 v12, s10
	s_xor_b64 exec, exec, s[6:7]
	s_cbranch_execnz .LBB3_2704
.LBB3_654:
	s_or_b64 exec, exec, s[6:7]
	s_and_saveexec_b64 s[6:7], s[4:5]
	s_cbranch_execz .LBB3_656
.LBB3_655:
	v_bfe_u32 v12, v2, 8, 3
	v_ffbh_u32_e32 v14, v12
	v_min_u32_e32 v14, 32, v14
	v_lshrrev_b16_e32 v13, 3, v11
	v_subrev_u32_e32 v15, 28, v14
	v_and_b32_e32 v13, 15, v13
	v_lshlrev_b32_e32 v11, v15, v11
	v_sub_u32_e32 v14, 29, v14
	v_and_b32_e32 v11, 7, v11
	v_cmp_eq_u16_e32 vcc, 0, v13
	v_cndmask_b32_e32 v11, v12, v11, vcc
	v_cndmask_b32_e32 v12, v13, v14, vcc
	v_lshlrev_b32_e32 v13, 16, v2
	v_mov_b32_e32 v14, 0x3b800000
	v_lshlrev_b32_e32 v11, 20, v11
	v_and_b32_e32 v13, 0x80000000, v13
	v_lshl_add_u32 v12, v12, 23, v14
	v_or3_b32 v12, v13, v12, v11
.LBB3_656:
	s_or_b64 exec, exec, s[6:7]
	s_nop 0
	v_mfma_f32_16x16x4f32 a[0:3], v10, v12, a[0:3]
	s_movk_i32 s4, 0xff
	v_and_b32_sdwa v11, v6, s4 dst_sel:DWORD dst_unused:UNUSED_PAD src0_sel:WORD_1 src1_sel:DWORD
	s_movk_i32 s4, 0x7f
	v_cmp_lt_i16_e32 vcc, s4, v11
	s_mov_b64 s[4:5], 0
                                        ; implicit-def: $sgpr10
	s_and_saveexec_b64 s[6:7], vcc
	s_xor_b64 s[6:7], exec, s[6:7]
	s_cbranch_execnz .LBB3_2705
; %bb.657:
	s_or_saveexec_b64 s[6:7], s[6:7]
	v_mov_b32_e32 v10, s10
	s_xor_b64 exec, exec, s[6:7]
	s_cbranch_execnz .LBB3_2708
.LBB3_658:
	s_or_b64 exec, exec, s[6:7]
	s_and_saveexec_b64 s[6:7], s[4:5]
	s_cbranch_execz .LBB3_660
.LBB3_659:
	v_bfe_u32 v10, v6, 16, 3
	v_ffbh_u32_e32 v13, v10
	v_min_u32_e32 v13, 32, v13
	v_lshrrev_b32_e32 v11, 19, v6
	v_subrev_u32_e32 v14, 28, v13
	v_and_b32_e32 v11, 15, v11
	v_lshlrev_b32_sdwa v14, v14, v6 dst_sel:DWORD dst_unused:UNUSED_PAD src0_sel:DWORD src1_sel:WORD_1
	v_bfe_u32 v12, v6, 19, 4
	v_sub_u32_e32 v13, 29, v13
	v_and_b32_e32 v14, 7, v14
	v_cmp_eq_u16_e32 vcc, 0, v11
	v_cndmask_b32_e32 v10, v10, v14, vcc
	v_cndmask_b32_e32 v11, v12, v13, vcc
	v_lshlrev_b32_e32 v12, 8, v6
	v_mov_b32_e32 v13, 0x3b800000
	v_lshlrev_b32_e32 v10, 20, v10
	v_and_b32_e32 v12, 0x80000000, v12
	v_lshl_add_u32 v11, v11, 23, v13
	v_or3_b32 v10, v12, v11, v10
.LBB3_660:
	s_or_b64 exec, exec, s[6:7]
	s_movk_i32 s4, 0xff
	v_and_b32_sdwa v11, v2, s4 dst_sel:DWORD dst_unused:UNUSED_PAD src0_sel:WORD_1 src1_sel:DWORD
	s_movk_i32 s4, 0x7f
	v_cmp_lt_i16_e32 vcc, s4, v11
	s_mov_b64 s[4:5], 0
                                        ; implicit-def: $sgpr10
	s_and_saveexec_b64 s[6:7], vcc
	s_xor_b64 s[6:7], exec, s[6:7]
	s_cbranch_execnz .LBB3_2709
; %bb.661:
	s_or_saveexec_b64 s[6:7], s[6:7]
	v_mov_b32_e32 v12, s10
	s_xor_b64 exec, exec, s[6:7]
	s_cbranch_execnz .LBB3_2712
.LBB3_662:
	s_or_b64 exec, exec, s[6:7]
	s_and_saveexec_b64 s[6:7], s[4:5]
	s_cbranch_execz .LBB3_664
.LBB3_663:
	v_bfe_u32 v11, v2, 16, 3
	v_ffbh_u32_e32 v14, v11
	v_min_u32_e32 v14, 32, v14
	v_lshrrev_b32_e32 v12, 19, v2
	v_subrev_u32_e32 v15, 28, v14
	v_and_b32_e32 v12, 15, v12
	v_lshlrev_b32_sdwa v15, v15, v2 dst_sel:DWORD dst_unused:UNUSED_PAD src0_sel:DWORD src1_sel:WORD_1
	v_bfe_u32 v13, v2, 19, 4
	v_sub_u32_e32 v14, 29, v14
	v_and_b32_e32 v15, 7, v15
	v_cmp_eq_u16_e32 vcc, 0, v12
	v_cndmask_b32_e32 v11, v11, v15, vcc
	v_cndmask_b32_e32 v12, v13, v14, vcc
	v_lshlrev_b32_e32 v13, 8, v2
	v_mov_b32_e32 v14, 0x3b800000
	v_lshlrev_b32_e32 v11, 20, v11
	v_and_b32_e32 v13, 0x80000000, v13
	v_lshl_add_u32 v12, v12, 23, v14
	v_or3_b32 v12, v13, v12, v11
.LBB3_664:
	s_or_b64 exec, exec, s[6:7]
	s_nop 0
	v_mfma_f32_16x16x4f32 a[0:3], v10, v12, a[0:3]
	s_movk_i32 s4, 0x7f
	v_cmp_gt_i16_sdwa s[6:7], v6, s4 src0_sel:BYTE_3 src1_sel:DWORD
	s_mov_b64 s[4:5], 0
                                        ; implicit-def: $sgpr10
	s_and_saveexec_b64 s[8:9], s[6:7]
	s_xor_b64 s[6:7], exec, s[8:9]
	s_cbranch_execnz .LBB3_2713
; %bb.665:
	s_or_saveexec_b64 s[6:7], s[6:7]
	v_mov_b32_e32 v10, s10
	s_xor_b64 exec, exec, s[6:7]
	s_cbranch_execnz .LBB3_2716
.LBB3_666:
	s_or_b64 exec, exec, s[6:7]
	s_and_saveexec_b64 s[6:7], s[4:5]
	s_cbranch_execz .LBB3_668
.LBB3_667:
	v_bfe_u32 v10, v6, 24, 3
	v_ffbh_u32_e32 v14, v10
	v_min_u32_e32 v14, 32, v14
	v_lshrrev_b32_e32 v12, 27, v6
	v_subrev_u32_e32 v15, 28, v14
	v_and_b32_e32 v11, 0x80000000, v6
	v_and_b32_e32 v12, 15, v12
	v_bfe_u32 v13, v6, 27, 4
	v_lshlrev_b32_sdwa v6, v15, v6 dst_sel:DWORD dst_unused:UNUSED_PAD src0_sel:DWORD src1_sel:BYTE_3
	v_sub_u32_e32 v14, 29, v14
	v_and_b32_e32 v6, 7, v6
	v_cmp_eq_u16_e32 vcc, 0, v12
	v_cndmask_b32_e32 v6, v10, v6, vcc
	v_cndmask_b32_e32 v10, v13, v14, vcc
	v_mov_b32_e32 v12, 0x3b800000
	v_lshlrev_b32_e32 v6, 20, v6
	v_lshl_add_u32 v10, v10, 23, v12
	v_or3_b32 v10, v11, v10, v6
.LBB3_668:
	s_or_b64 exec, exec, s[6:7]
	s_movk_i32 s4, 0x7f
	v_cmp_gt_i16_sdwa s[6:7], v2, s4 src0_sel:BYTE_3 src1_sel:DWORD
	s_mov_b64 s[4:5], 0
                                        ; implicit-def: $sgpr10
	s_and_saveexec_b64 s[8:9], s[6:7]
	s_xor_b64 s[6:7], exec, s[8:9]
	s_cbranch_execnz .LBB3_2717
; %bb.669:
	s_or_saveexec_b64 s[6:7], s[6:7]
	v_mov_b32_e32 v6, s10
	s_xor_b64 exec, exec, s[6:7]
	s_cbranch_execnz .LBB3_2720
.LBB3_670:
	s_or_b64 exec, exec, s[6:7]
	s_and_saveexec_b64 s[6:7], s[4:5]
	s_cbranch_execz .LBB3_672
.LBB3_671:
	v_bfe_u32 v6, v2, 24, 3
	v_ffbh_u32_e32 v14, v6
	v_min_u32_e32 v14, 32, v14
	v_lshrrev_b32_e32 v12, 27, v2
	v_subrev_u32_e32 v15, 28, v14
	v_and_b32_e32 v11, 0x80000000, v2
	v_and_b32_e32 v12, 15, v12
	v_bfe_u32 v13, v2, 27, 4
	v_lshlrev_b32_sdwa v2, v15, v2 dst_sel:DWORD dst_unused:UNUSED_PAD src0_sel:DWORD src1_sel:BYTE_3
	v_sub_u32_e32 v14, 29, v14
	v_and_b32_e32 v2, 7, v2
	v_cmp_eq_u16_e32 vcc, 0, v12
	v_cndmask_b32_e32 v2, v6, v2, vcc
	v_cndmask_b32_e32 v6, v13, v14, vcc
	v_mov_b32_e32 v12, 0x3b800000
	v_lshlrev_b32_e32 v2, 20, v2
	v_lshl_add_u32 v6, v6, 23, v12
	v_or3_b32 v6, v11, v6, v2
.LBB3_672:
	s_or_b64 exec, exec, s[6:7]
	s_nop 0
	v_mfma_f32_16x16x4f32 a[0:3], v10, v6, a[0:3]
	s_movk_i32 s4, 0x7f
	v_cmp_gt_i16_sdwa s[6:7], v7, s4 src0_sel:BYTE_0 src1_sel:DWORD
	s_mov_b64 s[4:5], 0
                                        ; implicit-def: $sgpr10
	s_and_saveexec_b64 s[8:9], s[6:7]
	s_xor_b64 s[6:7], exec, s[8:9]
	s_cbranch_execnz .LBB3_2721
; %bb.673:
	s_or_saveexec_b64 s[6:7], s[6:7]
	v_mov_b32_e32 v2, s10
	s_xor_b64 exec, exec, s[6:7]
	s_cbranch_execnz .LBB3_2724
.LBB3_674:
	s_or_b64 exec, exec, s[6:7]
	s_and_saveexec_b64 s[6:7], s[4:5]
	s_cbranch_execz .LBB3_676
.LBB3_675:
	v_and_b32_e32 v2, 7, v7
	v_ffbh_u32_e32 v10, v2
	v_min_u32_e32 v10, 32, v10
	v_lshrrev_b16_e32 v6, 3, v7
	v_subrev_u32_e32 v11, 28, v10
	v_and_b32_e32 v6, 15, v6
	v_lshlrev_b32_e32 v11, v11, v7
	v_sub_u32_e32 v10, 29, v10
	v_and_b32_e32 v11, 7, v11
	v_cmp_eq_u16_e32 vcc, 0, v6
	v_cndmask_b32_e32 v2, v2, v11, vcc
	v_cndmask_b32_e32 v6, v6, v10, vcc
	v_lshlrev_b32_e32 v10, 24, v7
	v_mov_b32_e32 v11, 0x3b800000
	v_lshlrev_b32_e32 v2, 20, v2
	v_and_b32_e32 v10, 0x80000000, v10
	v_lshl_add_u32 v6, v6, 23, v11
	v_or3_b32 v2, v10, v6, v2
.LBB3_676:
	s_or_b64 exec, exec, s[6:7]
	s_movk_i32 s4, 0x7f
	v_cmp_gt_i16_sdwa s[6:7], v3, s4 src0_sel:BYTE_0 src1_sel:DWORD
	s_mov_b64 s[4:5], 0
                                        ; implicit-def: $sgpr10
	s_and_saveexec_b64 s[8:9], s[6:7]
	s_xor_b64 s[6:7], exec, s[8:9]
	s_cbranch_execnz .LBB3_2725
; %bb.677:
	s_or_saveexec_b64 s[6:7], s[6:7]
	v_mov_b32_e32 v6, s10
	s_xor_b64 exec, exec, s[6:7]
	s_cbranch_execnz .LBB3_2728
.LBB3_678:
	s_or_b64 exec, exec, s[6:7]
	s_and_saveexec_b64 s[6:7], s[4:5]
	s_cbranch_execz .LBB3_680
.LBB3_679:
	v_and_b32_e32 v6, 7, v3
	v_ffbh_u32_e32 v11, v6
	v_min_u32_e32 v11, 32, v11
	v_lshrrev_b16_e32 v10, 3, v3
	v_subrev_u32_e32 v12, 28, v11
	v_and_b32_e32 v10, 15, v10
	v_lshlrev_b32_e32 v12, v12, v3
	v_sub_u32_e32 v11, 29, v11
	v_and_b32_e32 v12, 7, v12
	v_cmp_eq_u16_e32 vcc, 0, v10
	v_cndmask_b32_e32 v6, v6, v12, vcc
	v_cndmask_b32_e32 v10, v10, v11, vcc
	v_lshlrev_b32_e32 v11, 24, v3
	v_mov_b32_e32 v12, 0x3b800000
	v_lshlrev_b32_e32 v6, 20, v6
	v_and_b32_e32 v11, 0x80000000, v11
	v_lshl_add_u32 v10, v10, 23, v12
	v_or3_b32 v6, v11, v10, v6
.LBB3_680:
	s_or_b64 exec, exec, s[6:7]
	s_nop 0
	v_mfma_f32_16x16x4f32 a[0:3], v2, v6, a[0:3]
	v_lshrrev_b32_e32 v6, 8, v7
	s_movk_i32 s4, 0x7f
	v_cmp_gt_i16_sdwa s[6:7], v6, s4 src0_sel:BYTE_0 src1_sel:DWORD
	s_mov_b64 s[4:5], 0
                                        ; implicit-def: $sgpr10
	s_and_saveexec_b64 s[8:9], s[6:7]
	s_xor_b64 s[6:7], exec, s[8:9]
	s_cbranch_execnz .LBB3_2729
; %bb.681:
	s_or_saveexec_b64 s[6:7], s[6:7]
	v_mov_b32_e32 v2, s10
	s_xor_b64 exec, exec, s[6:7]
	s_cbranch_execnz .LBB3_2732
.LBB3_682:
	s_or_b64 exec, exec, s[6:7]
	s_and_saveexec_b64 s[6:7], s[4:5]
	s_cbranch_execz .LBB3_684
.LBB3_683:
	v_bfe_u32 v2, v7, 8, 3
	v_ffbh_u32_e32 v11, v2
	v_min_u32_e32 v11, 32, v11
	v_lshrrev_b16_e32 v10, 3, v6
	v_subrev_u32_e32 v12, 28, v11
	v_and_b32_e32 v10, 15, v10
	v_lshlrev_b32_e32 v6, v12, v6
	v_sub_u32_e32 v11, 29, v11
	v_and_b32_e32 v6, 7, v6
	v_cmp_eq_u16_e32 vcc, 0, v10
	v_cndmask_b32_e32 v2, v2, v6, vcc
	v_cndmask_b32_e32 v6, v10, v11, vcc
	v_lshlrev_b32_e32 v10, 16, v7
	v_mov_b32_e32 v11, 0x3b800000
	v_lshlrev_b32_e32 v2, 20, v2
	v_and_b32_e32 v10, 0x80000000, v10
	v_lshl_add_u32 v6, v6, 23, v11
	v_or3_b32 v2, v10, v6, v2
.LBB3_684:
	s_or_b64 exec, exec, s[6:7]
	v_lshrrev_b32_e32 v6, 8, v3
	s_movk_i32 s4, 0x7f
	v_cmp_gt_i16_sdwa s[6:7], v6, s4 src0_sel:BYTE_0 src1_sel:DWORD
	s_mov_b64 s[4:5], 0
                                        ; implicit-def: $sgpr10
	s_and_saveexec_b64 s[8:9], s[6:7]
	s_xor_b64 s[6:7], exec, s[8:9]
	s_cbranch_execnz .LBB3_2733
; %bb.685:
	s_or_saveexec_b64 s[6:7], s[6:7]
	v_mov_b32_e32 v10, s10
	s_xor_b64 exec, exec, s[6:7]
	s_cbranch_execnz .LBB3_2736
.LBB3_686:
	s_or_b64 exec, exec, s[6:7]
	s_and_saveexec_b64 s[6:7], s[4:5]
	s_cbranch_execz .LBB3_688
.LBB3_687:
	v_bfe_u32 v10, v3, 8, 3
	v_ffbh_u32_e32 v12, v10
	v_min_u32_e32 v12, 32, v12
	v_lshrrev_b16_e32 v11, 3, v6
	v_subrev_u32_e32 v13, 28, v12
	v_and_b32_e32 v11, 15, v11
	v_lshlrev_b32_e32 v6, v13, v6
	v_sub_u32_e32 v12, 29, v12
	v_and_b32_e32 v6, 7, v6
	v_cmp_eq_u16_e32 vcc, 0, v11
	v_cndmask_b32_e32 v6, v10, v6, vcc
	v_cndmask_b32_e32 v10, v11, v12, vcc
	v_lshlrev_b32_e32 v11, 16, v3
	v_mov_b32_e32 v12, 0x3b800000
	v_lshlrev_b32_e32 v6, 20, v6
	v_and_b32_e32 v11, 0x80000000, v11
	v_lshl_add_u32 v10, v10, 23, v12
	v_or3_b32 v10, v11, v10, v6
.LBB3_688:
	s_or_b64 exec, exec, s[6:7]
	s_nop 0
	v_mfma_f32_16x16x4f32 a[0:3], v2, v10, a[0:3]
	s_movk_i32 s4, 0xff
	v_and_b32_sdwa v6, v7, s4 dst_sel:DWORD dst_unused:UNUSED_PAD src0_sel:WORD_1 src1_sel:DWORD
	s_movk_i32 s4, 0x7f
	v_cmp_lt_i16_e32 vcc, s4, v6
	s_mov_b64 s[4:5], 0
                                        ; implicit-def: $sgpr10
	s_and_saveexec_b64 s[6:7], vcc
	s_xor_b64 s[6:7], exec, s[6:7]
	s_cbranch_execnz .LBB3_2737
; %bb.689:
	s_or_saveexec_b64 s[6:7], s[6:7]
	v_mov_b32_e32 v2, s10
	s_xor_b64 exec, exec, s[6:7]
	s_cbranch_execnz .LBB3_2740
.LBB3_690:
	s_or_b64 exec, exec, s[6:7]
	s_and_saveexec_b64 s[6:7], s[4:5]
	s_cbranch_execz .LBB3_692
.LBB3_691:
	v_bfe_u32 v2, v7, 16, 3
	v_ffbh_u32_e32 v11, v2
	v_min_u32_e32 v11, 32, v11
	v_lshrrev_b32_e32 v6, 19, v7
	v_subrev_u32_e32 v12, 28, v11
	v_and_b32_e32 v6, 15, v6
	v_lshlrev_b32_sdwa v12, v12, v7 dst_sel:DWORD dst_unused:UNUSED_PAD src0_sel:DWORD src1_sel:WORD_1
	v_bfe_u32 v10, v7, 19, 4
	v_sub_u32_e32 v11, 29, v11
	v_and_b32_e32 v12, 7, v12
	v_cmp_eq_u16_e32 vcc, 0, v6
	v_cndmask_b32_e32 v2, v2, v12, vcc
	v_cndmask_b32_e32 v6, v10, v11, vcc
	v_lshlrev_b32_e32 v10, 8, v7
	v_mov_b32_e32 v11, 0x3b800000
	v_lshlrev_b32_e32 v2, 20, v2
	v_and_b32_e32 v10, 0x80000000, v10
	v_lshl_add_u32 v6, v6, 23, v11
	v_or3_b32 v2, v10, v6, v2
.LBB3_692:
	s_or_b64 exec, exec, s[6:7]
	s_movk_i32 s4, 0xff
	v_and_b32_sdwa v6, v3, s4 dst_sel:DWORD dst_unused:UNUSED_PAD src0_sel:WORD_1 src1_sel:DWORD
	s_movk_i32 s4, 0x7f
	v_cmp_lt_i16_e32 vcc, s4, v6
	s_mov_b64 s[4:5], 0
                                        ; implicit-def: $sgpr10
	s_and_saveexec_b64 s[6:7], vcc
	s_xor_b64 s[6:7], exec, s[6:7]
	s_cbranch_execnz .LBB3_2741
; %bb.693:
	s_or_saveexec_b64 s[6:7], s[6:7]
	v_mov_b32_e32 v10, s10
	s_xor_b64 exec, exec, s[6:7]
	s_cbranch_execnz .LBB3_2744
.LBB3_694:
	s_or_b64 exec, exec, s[6:7]
	s_and_saveexec_b64 s[6:7], s[4:5]
	s_cbranch_execz .LBB3_696
.LBB3_695:
	v_bfe_u32 v6, v3, 16, 3
	v_ffbh_u32_e32 v12, v6
	v_min_u32_e32 v12, 32, v12
	v_lshrrev_b32_e32 v10, 19, v3
	v_subrev_u32_e32 v13, 28, v12
	v_and_b32_e32 v10, 15, v10
	v_lshlrev_b32_sdwa v13, v13, v3 dst_sel:DWORD dst_unused:UNUSED_PAD src0_sel:DWORD src1_sel:WORD_1
	v_bfe_u32 v11, v3, 19, 4
	v_sub_u32_e32 v12, 29, v12
	v_and_b32_e32 v13, 7, v13
	v_cmp_eq_u16_e32 vcc, 0, v10
	v_cndmask_b32_e32 v6, v6, v13, vcc
	v_cndmask_b32_e32 v10, v11, v12, vcc
	v_lshlrev_b32_e32 v11, 8, v3
	v_mov_b32_e32 v12, 0x3b800000
	v_lshlrev_b32_e32 v6, 20, v6
	v_and_b32_e32 v11, 0x80000000, v11
	v_lshl_add_u32 v10, v10, 23, v12
	v_or3_b32 v10, v11, v10, v6
.LBB3_696:
	s_or_b64 exec, exec, s[6:7]
	s_nop 0
	v_mfma_f32_16x16x4f32 a[0:3], v2, v10, a[0:3]
	s_movk_i32 s4, 0x7f
	v_cmp_gt_i16_sdwa s[6:7], v7, s4 src0_sel:BYTE_3 src1_sel:DWORD
	s_mov_b64 s[4:5], 0
                                        ; implicit-def: $sgpr10
	s_and_saveexec_b64 s[8:9], s[6:7]
	s_xor_b64 s[6:7], exec, s[8:9]
	s_cbranch_execnz .LBB3_2745
; %bb.697:
	s_or_saveexec_b64 s[6:7], s[6:7]
	v_mov_b32_e32 v2, s10
	s_xor_b64 exec, exec, s[6:7]
	s_cbranch_execnz .LBB3_2748
.LBB3_698:
	s_or_b64 exec, exec, s[6:7]
	s_and_saveexec_b64 s[6:7], s[4:5]
	s_cbranch_execz .LBB3_700
.LBB3_699:
	v_bfe_u32 v2, v7, 24, 3
	v_ffbh_u32_e32 v12, v2
	v_min_u32_e32 v12, 32, v12
	v_lshrrev_b32_e32 v10, 27, v7
	v_subrev_u32_e32 v13, 28, v12
	v_and_b32_e32 v6, 0x80000000, v7
	v_and_b32_e32 v10, 15, v10
	v_bfe_u32 v11, v7, 27, 4
	v_lshlrev_b32_sdwa v7, v13, v7 dst_sel:DWORD dst_unused:UNUSED_PAD src0_sel:DWORD src1_sel:BYTE_3
	v_sub_u32_e32 v12, 29, v12
	v_and_b32_e32 v7, 7, v7
	v_cmp_eq_u16_e32 vcc, 0, v10
	v_cndmask_b32_e32 v2, v2, v7, vcc
	v_cndmask_b32_e32 v7, v11, v12, vcc
	v_mov_b32_e32 v10, 0x3b800000
	v_lshlrev_b32_e32 v2, 20, v2
	v_lshl_add_u32 v7, v7, 23, v10
	v_or3_b32 v2, v6, v7, v2
.LBB3_700:
	s_or_b64 exec, exec, s[6:7]
	s_movk_i32 s4, 0x7f
	v_cmp_gt_i16_sdwa s[6:7], v3, s4 src0_sel:BYTE_3 src1_sel:DWORD
	s_mov_b64 s[4:5], 0
                                        ; implicit-def: $sgpr10
	s_and_saveexec_b64 s[8:9], s[6:7]
	s_xor_b64 s[6:7], exec, s[8:9]
	s_cbranch_execnz .LBB3_2749
; %bb.701:
	s_or_saveexec_b64 s[6:7], s[6:7]
	v_mov_b32_e32 v6, s10
	s_xor_b64 exec, exec, s[6:7]
	s_cbranch_execnz .LBB3_2752
.LBB3_702:
	s_or_b64 exec, exec, s[6:7]
	s_and_saveexec_b64 s[6:7], s[4:5]
	s_cbranch_execz .LBB3_704
.LBB3_703:
	v_bfe_u32 v6, v3, 24, 3
	v_ffbh_u32_e32 v12, v6
	v_min_u32_e32 v12, 32, v12
	v_lshrrev_b32_e32 v10, 27, v3
	v_subrev_u32_e32 v13, 28, v12
	v_and_b32_e32 v7, 0x80000000, v3
	v_and_b32_e32 v10, 15, v10
	v_bfe_u32 v11, v3, 27, 4
	v_lshlrev_b32_sdwa v3, v13, v3 dst_sel:DWORD dst_unused:UNUSED_PAD src0_sel:DWORD src1_sel:BYTE_3
	v_sub_u32_e32 v12, 29, v12
	v_and_b32_e32 v3, 7, v3
	v_cmp_eq_u16_e32 vcc, 0, v10
	v_cndmask_b32_e32 v3, v6, v3, vcc
	v_cndmask_b32_e32 v6, v11, v12, vcc
	v_mov_b32_e32 v10, 0x3b800000
	v_lshlrev_b32_e32 v3, 20, v3
	v_lshl_add_u32 v6, v6, 23, v10
	v_or3_b32 v6, v7, v6, v3
.LBB3_704:
	s_or_b64 exec, exec, s[6:7]
	s_nop 0
	v_mfma_f32_16x16x4f32 a[0:3], v2, v6, a[0:3]
	s_movk_i32 s4, 0x7f
	v_cmp_gt_i16_sdwa s[6:7], v8, s4 src0_sel:BYTE_0 src1_sel:DWORD
	s_mov_b64 s[4:5], 0
                                        ; implicit-def: $sgpr10
	s_and_saveexec_b64 s[8:9], s[6:7]
	s_xor_b64 s[6:7], exec, s[8:9]
	s_cbranch_execnz .LBB3_2753
; %bb.705:
	s_or_saveexec_b64 s[6:7], s[6:7]
	v_mov_b32_e32 v2, s10
	s_xor_b64 exec, exec, s[6:7]
	s_cbranch_execnz .LBB3_2756
.LBB3_706:
	s_or_b64 exec, exec, s[6:7]
	s_and_saveexec_b64 s[6:7], s[4:5]
	s_cbranch_execz .LBB3_708
.LBB3_707:
	v_and_b32_e32 v2, 7, v8
	v_ffbh_u32_e32 v6, v2
	v_min_u32_e32 v6, 32, v6
	v_lshrrev_b16_e32 v3, 3, v8
	v_subrev_u32_e32 v7, 28, v6
	v_and_b32_e32 v3, 15, v3
	v_lshlrev_b32_e32 v7, v7, v8
	v_sub_u32_e32 v6, 29, v6
	v_and_b32_e32 v7, 7, v7
	v_cmp_eq_u16_e32 vcc, 0, v3
	v_cndmask_b32_e32 v2, v2, v7, vcc
	v_cndmask_b32_e32 v3, v3, v6, vcc
	v_lshlrev_b32_e32 v6, 24, v8
	v_mov_b32_e32 v7, 0x3b800000
	v_lshlrev_b32_e32 v2, 20, v2
	v_and_b32_e32 v6, 0x80000000, v6
	v_lshl_add_u32 v3, v3, 23, v7
	v_or3_b32 v2, v6, v3, v2
.LBB3_708:
	s_or_b64 exec, exec, s[6:7]
	s_movk_i32 s4, 0x7f
	v_cmp_gt_i16_sdwa s[6:7], v4, s4 src0_sel:BYTE_0 src1_sel:DWORD
	s_mov_b64 s[4:5], 0
                                        ; implicit-def: $sgpr10
	s_and_saveexec_b64 s[8:9], s[6:7]
	s_xor_b64 s[6:7], exec, s[8:9]
	s_cbranch_execnz .LBB3_2757
; %bb.709:
	s_or_saveexec_b64 s[6:7], s[6:7]
	v_mov_b32_e32 v3, s10
	s_xor_b64 exec, exec, s[6:7]
	s_cbranch_execnz .LBB3_2760
.LBB3_710:
	s_or_b64 exec, exec, s[6:7]
	s_and_saveexec_b64 s[6:7], s[4:5]
	s_cbranch_execz .LBB3_712
.LBB3_711:
	v_and_b32_e32 v3, 7, v4
	v_ffbh_u32_e32 v7, v3
	v_min_u32_e32 v7, 32, v7
	v_lshrrev_b16_e32 v6, 3, v4
	v_subrev_u32_e32 v10, 28, v7
	v_and_b32_e32 v6, 15, v6
	v_lshlrev_b32_e32 v10, v10, v4
	v_sub_u32_e32 v7, 29, v7
	v_and_b32_e32 v10, 7, v10
	v_cmp_eq_u16_e32 vcc, 0, v6
	v_cndmask_b32_e32 v3, v3, v10, vcc
	v_cndmask_b32_e32 v6, v6, v7, vcc
	v_lshlrev_b32_e32 v7, 24, v4
	v_mov_b32_e32 v10, 0x3b800000
	v_lshlrev_b32_e32 v3, 20, v3
	v_and_b32_e32 v7, 0x80000000, v7
	v_lshl_add_u32 v6, v6, 23, v10
	v_or3_b32 v3, v7, v6, v3
.LBB3_712:
	s_or_b64 exec, exec, s[6:7]
	s_nop 0
	v_mfma_f32_16x16x4f32 a[0:3], v2, v3, a[0:3]
	v_lshrrev_b32_e32 v3, 8, v8
	s_movk_i32 s4, 0x7f
	v_cmp_gt_i16_sdwa s[6:7], v3, s4 src0_sel:BYTE_0 src1_sel:DWORD
	s_mov_b64 s[4:5], 0
                                        ; implicit-def: $sgpr10
	s_and_saveexec_b64 s[8:9], s[6:7]
	s_xor_b64 s[6:7], exec, s[8:9]
	s_cbranch_execnz .LBB3_2761
; %bb.713:
	s_or_saveexec_b64 s[6:7], s[6:7]
	v_mov_b32_e32 v2, s10
	s_xor_b64 exec, exec, s[6:7]
	s_cbranch_execnz .LBB3_2764
.LBB3_714:
	s_or_b64 exec, exec, s[6:7]
	s_and_saveexec_b64 s[6:7], s[4:5]
	s_cbranch_execz .LBB3_716
.LBB3_715:
	v_bfe_u32 v2, v8, 8, 3
	v_ffbh_u32_e32 v7, v2
	v_min_u32_e32 v7, 32, v7
	v_lshrrev_b16_e32 v6, 3, v3
	v_subrev_u32_e32 v10, 28, v7
	v_and_b32_e32 v6, 15, v6
	v_lshlrev_b32_e32 v3, v10, v3
	v_sub_u32_e32 v7, 29, v7
	v_and_b32_e32 v3, 7, v3
	v_cmp_eq_u16_e32 vcc, 0, v6
	v_cndmask_b32_e32 v2, v2, v3, vcc
	v_cndmask_b32_e32 v3, v6, v7, vcc
	v_lshlrev_b32_e32 v6, 16, v8
	v_mov_b32_e32 v7, 0x3b800000
	v_lshlrev_b32_e32 v2, 20, v2
	v_and_b32_e32 v6, 0x80000000, v6
	v_lshl_add_u32 v3, v3, 23, v7
	v_or3_b32 v2, v6, v3, v2
.LBB3_716:
	s_or_b64 exec, exec, s[6:7]
	v_lshrrev_b32_e32 v3, 8, v4
	s_movk_i32 s4, 0x7f
	v_cmp_gt_i16_sdwa s[6:7], v3, s4 src0_sel:BYTE_0 src1_sel:DWORD
	s_mov_b64 s[4:5], 0
                                        ; implicit-def: $sgpr10
	s_and_saveexec_b64 s[8:9], s[6:7]
	s_xor_b64 s[6:7], exec, s[8:9]
	s_cbranch_execnz .LBB3_2765
; %bb.717:
	s_or_saveexec_b64 s[6:7], s[6:7]
	v_mov_b32_e32 v6, s10
	s_xor_b64 exec, exec, s[6:7]
	s_cbranch_execnz .LBB3_2768
.LBB3_718:
	s_or_b64 exec, exec, s[6:7]
	s_and_saveexec_b64 s[6:7], s[4:5]
	s_cbranch_execz .LBB3_720
.LBB3_719:
	v_bfe_u32 v6, v4, 8, 3
	v_ffbh_u32_e32 v10, v6
	v_min_u32_e32 v10, 32, v10
	v_lshrrev_b16_e32 v7, 3, v3
	v_subrev_u32_e32 v11, 28, v10
	v_and_b32_e32 v7, 15, v7
	v_lshlrev_b32_e32 v3, v11, v3
	v_sub_u32_e32 v10, 29, v10
	v_and_b32_e32 v3, 7, v3
	v_cmp_eq_u16_e32 vcc, 0, v7
	v_cndmask_b32_e32 v3, v6, v3, vcc
	v_cndmask_b32_e32 v6, v7, v10, vcc
	v_lshlrev_b32_e32 v7, 16, v4
	v_mov_b32_e32 v10, 0x3b800000
	v_lshlrev_b32_e32 v3, 20, v3
	v_and_b32_e32 v7, 0x80000000, v7
	v_lshl_add_u32 v6, v6, 23, v10
	v_or3_b32 v6, v7, v6, v3
.LBB3_720:
	s_or_b64 exec, exec, s[6:7]
	s_nop 0
	v_mfma_f32_16x16x4f32 a[0:3], v2, v6, a[0:3]
	s_movk_i32 s4, 0xff
	v_and_b32_sdwa v3, v8, s4 dst_sel:DWORD dst_unused:UNUSED_PAD src0_sel:WORD_1 src1_sel:DWORD
	s_movk_i32 s4, 0x7f
	v_cmp_lt_i16_e32 vcc, s4, v3
	s_mov_b64 s[4:5], 0
                                        ; implicit-def: $sgpr10
	s_and_saveexec_b64 s[6:7], vcc
	s_xor_b64 s[6:7], exec, s[6:7]
	s_cbranch_execnz .LBB3_2769
; %bb.721:
	s_or_saveexec_b64 s[6:7], s[6:7]
	v_mov_b32_e32 v2, s10
	s_xor_b64 exec, exec, s[6:7]
	s_cbranch_execnz .LBB3_2772
.LBB3_722:
	s_or_b64 exec, exec, s[6:7]
	s_and_saveexec_b64 s[6:7], s[4:5]
	s_cbranch_execz .LBB3_724
.LBB3_723:
	v_bfe_u32 v2, v8, 16, 3
	v_ffbh_u32_e32 v7, v2
	v_min_u32_e32 v7, 32, v7
	v_lshrrev_b32_e32 v3, 19, v8
	v_subrev_u32_e32 v10, 28, v7
	v_and_b32_e32 v3, 15, v3
	v_lshlrev_b32_sdwa v10, v10, v8 dst_sel:DWORD dst_unused:UNUSED_PAD src0_sel:DWORD src1_sel:WORD_1
	v_bfe_u32 v6, v8, 19, 4
	v_sub_u32_e32 v7, 29, v7
	v_and_b32_e32 v10, 7, v10
	v_cmp_eq_u16_e32 vcc, 0, v3
	v_cndmask_b32_e32 v2, v2, v10, vcc
	v_cndmask_b32_e32 v3, v6, v7, vcc
	v_lshlrev_b32_e32 v6, 8, v8
	v_mov_b32_e32 v7, 0x3b800000
	v_lshlrev_b32_e32 v2, 20, v2
	v_and_b32_e32 v6, 0x80000000, v6
	v_lshl_add_u32 v3, v3, 23, v7
	v_or3_b32 v2, v6, v3, v2
.LBB3_724:
	s_or_b64 exec, exec, s[6:7]
	s_movk_i32 s4, 0xff
	v_and_b32_sdwa v3, v4, s4 dst_sel:DWORD dst_unused:UNUSED_PAD src0_sel:WORD_1 src1_sel:DWORD
	s_movk_i32 s4, 0x7f
	v_cmp_lt_i16_e32 vcc, s4, v3
	s_mov_b64 s[4:5], 0
                                        ; implicit-def: $sgpr10
	s_and_saveexec_b64 s[6:7], vcc
	s_xor_b64 s[6:7], exec, s[6:7]
	s_cbranch_execnz .LBB3_2773
; %bb.725:
	s_or_saveexec_b64 s[6:7], s[6:7]
	v_mov_b32_e32 v6, s10
	s_xor_b64 exec, exec, s[6:7]
	s_cbranch_execnz .LBB3_2776
.LBB3_726:
	s_or_b64 exec, exec, s[6:7]
	s_and_saveexec_b64 s[6:7], s[4:5]
	s_cbranch_execz .LBB3_728
.LBB3_727:
	v_bfe_u32 v3, v4, 16, 3
	v_ffbh_u32_e32 v10, v3
	v_min_u32_e32 v10, 32, v10
	v_lshrrev_b32_e32 v6, 19, v4
	v_subrev_u32_e32 v11, 28, v10
	v_and_b32_e32 v6, 15, v6
	v_lshlrev_b32_sdwa v11, v11, v4 dst_sel:DWORD dst_unused:UNUSED_PAD src0_sel:DWORD src1_sel:WORD_1
	v_bfe_u32 v7, v4, 19, 4
	v_sub_u32_e32 v10, 29, v10
	v_and_b32_e32 v11, 7, v11
	v_cmp_eq_u16_e32 vcc, 0, v6
	v_cndmask_b32_e32 v3, v3, v11, vcc
	v_cndmask_b32_e32 v6, v7, v10, vcc
	v_lshlrev_b32_e32 v7, 8, v4
	v_mov_b32_e32 v10, 0x3b800000
	v_lshlrev_b32_e32 v3, 20, v3
	v_and_b32_e32 v7, 0x80000000, v7
	v_lshl_add_u32 v6, v6, 23, v10
	v_or3_b32 v6, v7, v6, v3
.LBB3_728:
	s_or_b64 exec, exec, s[6:7]
	s_nop 0
	v_mfma_f32_16x16x4f32 a[0:3], v2, v6, a[0:3]
	s_movk_i32 s4, 0x7f
	v_cmp_gt_i16_sdwa s[6:7], v8, s4 src0_sel:BYTE_3 src1_sel:DWORD
	s_mov_b64 s[4:5], 0
                                        ; implicit-def: $sgpr10
	s_and_saveexec_b64 s[8:9], s[6:7]
	s_xor_b64 s[6:7], exec, s[8:9]
	s_cbranch_execnz .LBB3_2777
; %bb.729:
	s_or_saveexec_b64 s[6:7], s[6:7]
	v_mov_b32_e32 v2, s10
	s_xor_b64 exec, exec, s[6:7]
	s_cbranch_execnz .LBB3_2780
.LBB3_730:
	s_or_b64 exec, exec, s[6:7]
	s_and_saveexec_b64 s[6:7], s[4:5]
	s_cbranch_execz .LBB3_732
.LBB3_731:
	v_bfe_u32 v2, v8, 24, 3
	v_ffbh_u32_e32 v10, v2
	v_min_u32_e32 v10, 32, v10
	v_lshrrev_b32_e32 v6, 27, v8
	v_subrev_u32_e32 v11, 28, v10
	v_and_b32_e32 v3, 0x80000000, v8
	v_and_b32_e32 v6, 15, v6
	v_bfe_u32 v7, v8, 27, 4
	v_lshlrev_b32_sdwa v8, v11, v8 dst_sel:DWORD dst_unused:UNUSED_PAD src0_sel:DWORD src1_sel:BYTE_3
	v_sub_u32_e32 v10, 29, v10
	v_and_b32_e32 v8, 7, v8
	v_cmp_eq_u16_e32 vcc, 0, v6
	v_cndmask_b32_e32 v2, v2, v8, vcc
	v_cndmask_b32_e32 v6, v7, v10, vcc
	v_mov_b32_e32 v7, 0x3b800000
	v_lshlrev_b32_e32 v2, 20, v2
	v_lshl_add_u32 v6, v6, 23, v7
	v_or3_b32 v2, v3, v6, v2
.LBB3_732:
	s_or_b64 exec, exec, s[6:7]
	s_movk_i32 s4, 0x7f
	v_cmp_gt_i16_sdwa s[6:7], v4, s4 src0_sel:BYTE_3 src1_sel:DWORD
	s_mov_b64 s[4:5], 0
                                        ; implicit-def: $sgpr10
	s_and_saveexec_b64 s[8:9], s[6:7]
	s_xor_b64 s[6:7], exec, s[8:9]
	s_cbranch_execnz .LBB3_2781
; %bb.733:
	s_or_saveexec_b64 s[6:7], s[6:7]
	v_mov_b32_e32 v3, s10
	s_xor_b64 exec, exec, s[6:7]
	s_cbranch_execnz .LBB3_2784
.LBB3_734:
	s_or_b64 exec, exec, s[6:7]
	s_and_saveexec_b64 s[6:7], s[4:5]
	s_cbranch_execz .LBB3_736
.LBB3_735:
	v_bfe_u32 v3, v4, 24, 3
	v_ffbh_u32_e32 v10, v3
	v_min_u32_e32 v10, 32, v10
	v_lshrrev_b32_e32 v7, 27, v4
	v_subrev_u32_e32 v11, 28, v10
	v_and_b32_e32 v6, 0x80000000, v4
	v_and_b32_e32 v7, 15, v7
	v_bfe_u32 v8, v4, 27, 4
	v_lshlrev_b32_sdwa v4, v11, v4 dst_sel:DWORD dst_unused:UNUSED_PAD src0_sel:DWORD src1_sel:BYTE_3
	v_sub_u32_e32 v10, 29, v10
	v_and_b32_e32 v4, 7, v4
	v_cmp_eq_u16_e32 vcc, 0, v7
	v_cndmask_b32_e32 v3, v3, v4, vcc
	v_cndmask_b32_e32 v4, v8, v10, vcc
	v_mov_b32_e32 v7, 0x3b800000
	v_lshlrev_b32_e32 v3, 20, v3
	v_lshl_add_u32 v4, v4, 23, v7
	v_or3_b32 v3, v6, v4, v3
.LBB3_736:
	s_or_b64 exec, exec, s[6:7]
	s_nop 0
	v_mfma_f32_16x16x4f32 a[0:3], v2, v3, a[0:3]
	s_movk_i32 s4, 0x7f
	v_cmp_gt_i16_sdwa s[6:7], v9, s4 src0_sel:BYTE_0 src1_sel:DWORD
	s_mov_b64 s[4:5], 0
                                        ; implicit-def: $sgpr10
	s_and_saveexec_b64 s[8:9], s[6:7]
	s_xor_b64 s[6:7], exec, s[8:9]
	s_cbranch_execnz .LBB3_2785
; %bb.737:
	s_or_saveexec_b64 s[6:7], s[6:7]
	v_mov_b32_e32 v2, s10
	s_xor_b64 exec, exec, s[6:7]
	s_cbranch_execnz .LBB3_2788
.LBB3_738:
	s_or_b64 exec, exec, s[6:7]
	s_and_saveexec_b64 s[6:7], s[4:5]
	s_cbranch_execz .LBB3_740
.LBB3_739:
	v_mov_b32_e32 v2, 8
	v_and_b32_e32 v3, 7, v9
	v_lshrrev_b32_sdwa v2, v2, v9 dst_sel:BYTE_1 dst_unused:UNUSED_PAD src0_sel:DWORD src1_sel:DWORD
	v_ffbh_u32_e32 v4, v3
	v_or_b32_sdwa v2, v9, v2 dst_sel:DWORD dst_unused:UNUSED_PAD src0_sel:BYTE_0 src1_sel:DWORD
	v_min_u32_e32 v4, 32, v4
	v_lshrrev_b16_e32 v2, 3, v2
	v_subrev_u32_e32 v6, 28, v4
	v_and_b32_e32 v2, 15, v2
	v_lshlrev_b32_e32 v6, v6, v9
	v_sub_u32_e32 v4, 29, v4
	v_and_b32_e32 v6, 7, v6
	v_cmp_eq_u16_e32 vcc, 0, v2
	v_cndmask_b32_e32 v3, v3, v6, vcc
	v_cndmask_b32_e32 v2, v2, v4, vcc
	v_lshlrev_b32_e32 v4, 24, v9
	v_mov_b32_e32 v6, 0x3b800000
	v_lshlrev_b32_e32 v3, 20, v3
	v_and_b32_e32 v4, 0x80000000, v4
	v_lshl_add_u32 v2, v2, 23, v6
	v_or3_b32 v2, v4, v2, v3
.LBB3_740:
	s_or_b64 exec, exec, s[6:7]
	s_movk_i32 s4, 0x7f
	v_cmp_gt_i16_sdwa s[6:7], v5, s4 src0_sel:BYTE_0 src1_sel:DWORD
	s_mov_b64 s[4:5], 0
                                        ; implicit-def: $sgpr10
	s_and_saveexec_b64 s[8:9], s[6:7]
	s_xor_b64 s[6:7], exec, s[8:9]
	s_cbranch_execnz .LBB3_2789
; %bb.741:
	s_or_saveexec_b64 s[6:7], s[6:7]
	v_mov_b32_e32 v3, s10
	s_xor_b64 exec, exec, s[6:7]
	s_cbranch_execnz .LBB3_2792
.LBB3_742:
	s_or_b64 exec, exec, s[6:7]
	s_and_saveexec_b64 s[6:7], s[4:5]
	s_cbranch_execz .LBB3_744
.LBB3_743:
	v_mov_b32_e32 v3, 8
	v_and_b32_e32 v4, 7, v5
	v_lshrrev_b32_sdwa v3, v3, v5 dst_sel:BYTE_1 dst_unused:UNUSED_PAD src0_sel:DWORD src1_sel:DWORD
	v_ffbh_u32_e32 v6, v4
	v_or_b32_sdwa v3, v5, v3 dst_sel:DWORD dst_unused:UNUSED_PAD src0_sel:BYTE_0 src1_sel:DWORD
	v_min_u32_e32 v6, 32, v6
	v_lshrrev_b16_e32 v3, 3, v3
	v_subrev_u32_e32 v7, 28, v6
	v_and_b32_e32 v3, 15, v3
	v_lshlrev_b32_e32 v7, v7, v5
	v_sub_u32_e32 v6, 29, v6
	v_and_b32_e32 v7, 7, v7
	v_cmp_eq_u16_e32 vcc, 0, v3
	v_cndmask_b32_e32 v4, v4, v7, vcc
	v_cndmask_b32_e32 v3, v3, v6, vcc
	v_lshlrev_b32_e32 v6, 24, v5
	v_mov_b32_e32 v7, 0x3b800000
	v_lshlrev_b32_e32 v4, 20, v4
	v_and_b32_e32 v6, 0x80000000, v6
	v_lshl_add_u32 v3, v3, 23, v7
	v_or3_b32 v3, v6, v3, v4
.LBB3_744:
	s_or_b64 exec, exec, s[6:7]
	s_nop 0
	v_mfma_f32_16x16x4f32 a[0:3], v2, v3, a[0:3]
	v_lshrrev_b32_e32 v3, 8, v9
	s_movk_i32 s4, 0x7f
	v_cmp_gt_i16_sdwa s[6:7], v3, s4 src0_sel:BYTE_0 src1_sel:DWORD
	s_mov_b64 s[4:5], 0
                                        ; implicit-def: $sgpr10
	s_and_saveexec_b64 s[8:9], s[6:7]
	s_xor_b64 s[6:7], exec, s[8:9]
	s_cbranch_execnz .LBB3_2793
; %bb.745:
	s_or_saveexec_b64 s[6:7], s[6:7]
	v_mov_b32_e32 v2, s10
	s_xor_b64 exec, exec, s[6:7]
	s_cbranch_execnz .LBB3_2796
.LBB3_746:
	s_or_b64 exec, exec, s[6:7]
	s_and_saveexec_b64 s[6:7], s[4:5]
	s_cbranch_execz .LBB3_748
.LBB3_747:
	v_bfe_u32 v2, v9, 8, 3
	v_ffbh_u32_e32 v6, v2
	v_min_u32_e32 v6, 32, v6
	v_lshrrev_b16_e32 v4, 3, v3
	v_subrev_u32_e32 v7, 28, v6
	v_and_b32_e32 v4, 15, v4
	v_lshlrev_b32_e32 v3, v7, v3
	v_sub_u32_e32 v6, 29, v6
	v_and_b32_e32 v3, 7, v3
	v_cmp_eq_u16_e32 vcc, 0, v4
	v_cndmask_b32_e32 v2, v2, v3, vcc
	v_cndmask_b32_e32 v3, v4, v6, vcc
	v_lshlrev_b32_e32 v4, 16, v9
	v_mov_b32_e32 v6, 0x3b800000
	v_lshlrev_b32_e32 v2, 20, v2
	v_and_b32_e32 v4, 0x80000000, v4
	v_lshl_add_u32 v3, v3, 23, v6
	v_or3_b32 v2, v4, v3, v2
.LBB3_748:
	s_or_b64 exec, exec, s[6:7]
	v_lshrrev_b32_e32 v3, 8, v5
	s_movk_i32 s4, 0x7f
	v_cmp_gt_i16_sdwa s[6:7], v3, s4 src0_sel:BYTE_0 src1_sel:DWORD
	s_mov_b64 s[4:5], 0
                                        ; implicit-def: $sgpr10
	s_and_saveexec_b64 s[8:9], s[6:7]
	s_xor_b64 s[6:7], exec, s[8:9]
	s_cbranch_execnz .LBB3_2797
; %bb.749:
	s_or_saveexec_b64 s[6:7], s[6:7]
	v_mov_b32_e32 v4, s10
	s_xor_b64 exec, exec, s[6:7]
	s_cbranch_execnz .LBB3_2800
.LBB3_750:
	s_or_b64 exec, exec, s[6:7]
	s_and_saveexec_b64 s[6:7], s[4:5]
	s_cbranch_execz .LBB3_752
.LBB3_751:
	v_bfe_u32 v4, v5, 8, 3
	v_ffbh_u32_e32 v7, v4
	v_min_u32_e32 v7, 32, v7
	v_lshrrev_b16_e32 v6, 3, v3
	v_subrev_u32_e32 v8, 28, v7
	v_and_b32_e32 v6, 15, v6
	v_lshlrev_b32_e32 v3, v8, v3
	v_sub_u32_e32 v7, 29, v7
	v_and_b32_e32 v3, 7, v3
	v_cmp_eq_u16_e32 vcc, 0, v6
	v_cndmask_b32_e32 v3, v4, v3, vcc
	v_cndmask_b32_e32 v4, v6, v7, vcc
	v_lshlrev_b32_e32 v6, 16, v5
	v_mov_b32_e32 v7, 0x3b800000
	v_lshlrev_b32_e32 v3, 20, v3
	v_and_b32_e32 v6, 0x80000000, v6
	v_lshl_add_u32 v4, v4, 23, v7
	v_or3_b32 v4, v6, v4, v3
.LBB3_752:
	s_or_b64 exec, exec, s[6:7]
	s_nop 0
	v_mfma_f32_16x16x4f32 a[0:3], v2, v4, a[0:3]
	s_movk_i32 s4, 0xff
	v_and_b32_sdwa v3, v9, s4 dst_sel:DWORD dst_unused:UNUSED_PAD src0_sel:WORD_1 src1_sel:DWORD
	s_movk_i32 s4, 0x7f
	v_cmp_lt_i16_e32 vcc, s4, v3
	s_mov_b64 s[4:5], 0
                                        ; implicit-def: $sgpr10
	s_and_saveexec_b64 s[6:7], vcc
	s_xor_b64 s[6:7], exec, s[6:7]
	s_cbranch_execnz .LBB3_2801
; %bb.753:
	s_or_saveexec_b64 s[6:7], s[6:7]
	v_mov_b32_e32 v2, s10
	s_xor_b64 exec, exec, s[6:7]
	s_cbranch_execnz .LBB3_2804
.LBB3_754:
	s_or_b64 exec, exec, s[6:7]
	s_and_saveexec_b64 s[6:7], s[4:5]
	s_cbranch_execz .LBB3_756
.LBB3_755:
	v_bfe_u32 v2, v9, 16, 3
	v_ffbh_u32_e32 v6, v2
	v_min_u32_e32 v6, 32, v6
	v_lshrrev_b32_e32 v3, 19, v9
	v_subrev_u32_e32 v7, 28, v6
	v_and_b32_e32 v3, 15, v3
	v_lshlrev_b32_sdwa v7, v7, v9 dst_sel:DWORD dst_unused:UNUSED_PAD src0_sel:DWORD src1_sel:WORD_1
	v_bfe_u32 v4, v9, 19, 4
	v_sub_u32_e32 v6, 29, v6
	v_and_b32_e32 v7, 7, v7
	v_cmp_eq_u16_e32 vcc, 0, v3
	v_cndmask_b32_e32 v2, v2, v7, vcc
	v_cndmask_b32_e32 v3, v4, v6, vcc
	v_lshlrev_b32_e32 v4, 8, v9
	v_mov_b32_e32 v6, 0x3b800000
	v_lshlrev_b32_e32 v2, 20, v2
	v_and_b32_e32 v4, 0x80000000, v4
	v_lshl_add_u32 v3, v3, 23, v6
	v_or3_b32 v2, v4, v3, v2
.LBB3_756:
	s_or_b64 exec, exec, s[6:7]
	s_movk_i32 s4, 0xff
	v_and_b32_sdwa v3, v5, s4 dst_sel:DWORD dst_unused:UNUSED_PAD src0_sel:WORD_1 src1_sel:DWORD
	s_movk_i32 s4, 0x7f
	v_cmp_lt_i16_e32 vcc, s4, v3
	s_mov_b64 s[4:5], 0
                                        ; implicit-def: $sgpr10
	s_and_saveexec_b64 s[6:7], vcc
	s_xor_b64 s[6:7], exec, s[6:7]
	s_cbranch_execnz .LBB3_2805
; %bb.757:
	s_or_saveexec_b64 s[6:7], s[6:7]
	v_mov_b32_e32 v4, s10
	s_xor_b64 exec, exec, s[6:7]
	s_cbranch_execnz .LBB3_2808
.LBB3_758:
	s_or_b64 exec, exec, s[6:7]
	s_and_saveexec_b64 s[6:7], s[4:5]
	s_cbranch_execz .LBB3_760
.LBB3_759:
	v_bfe_u32 v3, v5, 16, 3
	v_ffbh_u32_e32 v7, v3
	v_min_u32_e32 v7, 32, v7
	v_lshrrev_b32_e32 v4, 19, v5
	v_subrev_u32_e32 v8, 28, v7
	v_and_b32_e32 v4, 15, v4
	v_lshlrev_b32_sdwa v8, v8, v5 dst_sel:DWORD dst_unused:UNUSED_PAD src0_sel:DWORD src1_sel:WORD_1
	v_bfe_u32 v6, v5, 19, 4
	v_sub_u32_e32 v7, 29, v7
	v_and_b32_e32 v8, 7, v8
	v_cmp_eq_u16_e32 vcc, 0, v4
	v_cndmask_b32_e32 v3, v3, v8, vcc
	v_cndmask_b32_e32 v4, v6, v7, vcc
	v_lshlrev_b32_e32 v6, 8, v5
	v_mov_b32_e32 v7, 0x3b800000
	v_lshlrev_b32_e32 v3, 20, v3
	v_and_b32_e32 v6, 0x80000000, v6
	v_lshl_add_u32 v4, v4, 23, v7
	v_or3_b32 v4, v6, v4, v3
.LBB3_760:
	s_or_b64 exec, exec, s[6:7]
	s_nop 0
	v_mfma_f32_16x16x4f32 a[0:3], v2, v4, a[0:3]
	s_movk_i32 s4, 0x7f
	v_cmp_gt_i16_sdwa s[6:7], v9, s4 src0_sel:BYTE_3 src1_sel:DWORD
	s_mov_b64 s[4:5], 0
                                        ; implicit-def: $sgpr10
	s_and_saveexec_b64 s[8:9], s[6:7]
	s_xor_b64 s[6:7], exec, s[8:9]
	s_cbranch_execnz .LBB3_2809
; %bb.761:
	s_or_saveexec_b64 s[6:7], s[6:7]
	v_mov_b32_e32 v2, s10
	s_xor_b64 exec, exec, s[6:7]
	s_cbranch_execnz .LBB3_2812
.LBB3_762:
	s_or_b64 exec, exec, s[6:7]
	s_and_saveexec_b64 s[6:7], s[4:5]
	s_cbranch_execz .LBB3_764
.LBB3_763:
	v_bfe_u32 v2, v9, 24, 3
	v_ffbh_u32_e32 v7, v2
	v_min_u32_e32 v7, 32, v7
	v_lshrrev_b32_e32 v4, 27, v9
	v_subrev_u32_e32 v8, 28, v7
	v_and_b32_e32 v4, 15, v4
	v_lshlrev_b32_sdwa v8, v8, v9 dst_sel:DWORD dst_unused:UNUSED_PAD src0_sel:DWORD src1_sel:BYTE_3
	v_bfe_u32 v6, v9, 27, 4
	v_sub_u32_e32 v7, 29, v7
	v_and_b32_e32 v8, 7, v8
	v_cmp_eq_u16_e32 vcc, 0, v4
	v_cndmask_b32_e32 v2, v2, v8, vcc
	v_cndmask_b32_e32 v4, v6, v7, vcc
	v_mov_b32_e32 v6, 0x3b800000
	v_and_b32_e32 v3, 0x80000000, v9
	v_lshlrev_b32_e32 v2, 20, v2
	v_lshl_add_u32 v4, v4, 23, v6
	v_or3_b32 v2, v3, v4, v2
.LBB3_764:
	s_or_b64 exec, exec, s[6:7]
	s_movk_i32 s4, 0x7f
	v_cmp_gt_i16_sdwa s[6:7], v5, s4 src0_sel:BYTE_3 src1_sel:DWORD
	s_mov_b64 s[4:5], 0
                                        ; implicit-def: $sgpr10
	s_and_saveexec_b64 s[8:9], s[6:7]
	s_xor_b64 s[6:7], exec, s[8:9]
	s_cbranch_execnz .LBB3_2813
; %bb.765:
	s_or_saveexec_b64 s[6:7], s[6:7]
	v_mov_b32_e32 v3, s10
	s_xor_b64 exec, exec, s[6:7]
	s_cbranch_execnz .LBB3_2816
.LBB3_766:
	s_or_b64 exec, exec, s[6:7]
	s_and_saveexec_b64 s[6:7], s[4:5]
	s_cbranch_execz .LBB3_768
.LBB3_767:
	v_bfe_u32 v3, v5, 24, 3
	v_ffbh_u32_e32 v8, v3
	v_min_u32_e32 v8, 32, v8
	v_lshrrev_b32_e32 v6, 27, v5
	v_subrev_u32_e32 v9, 28, v8
	v_and_b32_e32 v4, 0x80000000, v5
	v_and_b32_e32 v6, 15, v6
	v_bfe_u32 v7, v5, 27, 4
	v_lshlrev_b32_sdwa v5, v9, v5 dst_sel:DWORD dst_unused:UNUSED_PAD src0_sel:DWORD src1_sel:BYTE_3
	v_sub_u32_e32 v8, 29, v8
	v_and_b32_e32 v5, 7, v5
	v_cmp_eq_u16_e32 vcc, 0, v6
	v_cndmask_b32_e32 v3, v3, v5, vcc
	v_cndmask_b32_e32 v5, v7, v8, vcc
	v_mov_b32_e32 v6, 0x3b800000
	v_lshlrev_b32_e32 v3, 20, v3
	v_lshl_add_u32 v5, v5, 23, v6
	v_or3_b32 v3, v4, v5, v3
.LBB3_768:
	s_or_b64 exec, exec, s[6:7]
	s_nop 0
	v_mfma_f32_16x16x4f32 a[0:3], v2, v3, a[0:3]
	s_movk_i32 s4, 0x7f
                                        ; implicit-def: $sgpr10
	s_nop 7
	s_nop 1
	flat_store_dwordx4 v[18:19], a[0:3] offset:160
	flat_load_dwordx4 v[20:23], v[0:1] offset:16
	s_nop 0
	flat_load_dwordx2 v[18:19], v[0:1] offset:32
	s_waitcnt vmcnt(0) lgkmcnt(0)
	flat_load_dwordx4 v[14:17], v[20:21] offset:32
	flat_load_dwordx4 v[6:9], v[20:21] offset:48
	;; [unrolled: 1-line block ×4, first 2 shown]
	s_waitcnt vmcnt(0) lgkmcnt(0)
	v_cmp_gt_i16_sdwa s[6:7], v14, s4 src0_sel:BYTE_0 src1_sel:DWORD
	s_mov_b64 s[4:5], 0
	s_and_saveexec_b64 s[8:9], s[6:7]
	s_xor_b64 s[6:7], exec, s[8:9]
	s_cbranch_execnz .LBB3_2817
; %bb.769:
	s_or_saveexec_b64 s[6:7], s[6:7]
	v_mov_b32_e32 v20, s10
	s_xor_b64 exec, exec, s[6:7]
	s_cbranch_execnz .LBB3_2820
.LBB3_770:
	s_or_b64 exec, exec, s[6:7]
	s_and_saveexec_b64 s[6:7], s[4:5]
	s_cbranch_execz .LBB3_772
.LBB3_771:
	v_and_b32_e32 v20, 7, v14
	v_ffbh_u32_e32 v22, v20
	v_min_u32_e32 v22, 32, v22
	v_lshrrev_b16_e32 v21, 3, v14
	v_subrev_u32_e32 v23, 28, v22
	v_and_b32_e32 v21, 15, v21
	v_lshlrev_b32_e32 v23, v23, v14
	v_sub_u32_e32 v22, 29, v22
	v_and_b32_e32 v23, 7, v23
	v_cmp_eq_u16_e32 vcc, 0, v21
	v_cndmask_b32_e32 v20, v20, v23, vcc
	v_cndmask_b32_e32 v21, v21, v22, vcc
	v_lshlrev_b32_e32 v22, 24, v14
	v_mov_b32_e32 v23, 0x3b800000
	v_lshlrev_b32_e32 v20, 20, v20
	v_and_b32_e32 v22, 0x80000000, v22
	v_lshl_add_u32 v21, v21, 23, v23
	v_or3_b32 v20, v22, v21, v20
.LBB3_772:
	s_or_b64 exec, exec, s[6:7]
	s_movk_i32 s4, 0x7f
	v_cmp_gt_i16_sdwa s[6:7], v10, s4 src0_sel:BYTE_0 src1_sel:DWORD
	s_mov_b64 s[4:5], 0
                                        ; implicit-def: $sgpr10
	s_and_saveexec_b64 s[8:9], s[6:7]
	s_xor_b64 s[6:7], exec, s[8:9]
	s_cbranch_execnz .LBB3_2821
; %bb.773:
	s_or_saveexec_b64 s[6:7], s[6:7]
	v_mov_b32_e32 v21, s10
	s_xor_b64 exec, exec, s[6:7]
	s_cbranch_execnz .LBB3_2824
.LBB3_774:
	s_or_b64 exec, exec, s[6:7]
	s_and_saveexec_b64 s[6:7], s[4:5]
	s_cbranch_execz .LBB3_776
.LBB3_775:
	v_and_b32_e32 v21, 7, v10
	v_ffbh_u32_e32 v23, v21
	v_min_u32_e32 v23, 32, v23
	v_lshrrev_b16_e32 v22, 3, v10
	v_subrev_u32_e32 v24, 28, v23
	v_and_b32_e32 v22, 15, v22
	v_lshlrev_b32_e32 v24, v24, v10
	v_sub_u32_e32 v23, 29, v23
	v_and_b32_e32 v24, 7, v24
	v_cmp_eq_u16_e32 vcc, 0, v22
	v_cndmask_b32_e32 v21, v21, v24, vcc
	v_cndmask_b32_e32 v22, v22, v23, vcc
	v_lshlrev_b32_e32 v23, 24, v10
	v_mov_b32_e32 v24, 0x3b800000
	v_lshlrev_b32_e32 v21, 20, v21
	v_and_b32_e32 v23, 0x80000000, v23
	v_lshl_add_u32 v22, v22, 23, v24
	v_or3_b32 v21, v23, v22, v21
.LBB3_776:
	s_or_b64 exec, exec, s[6:7]
	flat_load_dwordx4 a[0:3], v[18:19] offset:176
	s_movk_i32 s4, 0x7f
                                        ; implicit-def: $sgpr10
	s_waitcnt vmcnt(0) lgkmcnt(0)
	v_mfma_f32_16x16x4f32 a[0:3], v20, v21, a[0:3]
	v_lshrrev_b32_e32 v21, 8, v14
	v_cmp_gt_i16_sdwa s[6:7], v21, s4 src0_sel:BYTE_0 src1_sel:DWORD
	s_mov_b64 s[4:5], 0
	s_and_saveexec_b64 s[8:9], s[6:7]
	s_xor_b64 s[6:7], exec, s[8:9]
	s_cbranch_execnz .LBB3_2825
; %bb.777:
	s_or_saveexec_b64 s[6:7], s[6:7]
	v_mov_b32_e32 v20, s10
	s_xor_b64 exec, exec, s[6:7]
	s_cbranch_execnz .LBB3_2828
.LBB3_778:
	s_or_b64 exec, exec, s[6:7]
	s_and_saveexec_b64 s[6:7], s[4:5]
	s_cbranch_execz .LBB3_780
.LBB3_779:
	v_bfe_u32 v20, v14, 8, 3
	v_ffbh_u32_e32 v23, v20
	v_min_u32_e32 v23, 32, v23
	v_lshrrev_b16_e32 v22, 3, v21
	v_subrev_u32_e32 v24, 28, v23
	v_and_b32_e32 v22, 15, v22
	v_lshlrev_b32_e32 v21, v24, v21
	v_sub_u32_e32 v23, 29, v23
	v_and_b32_e32 v21, 7, v21
	v_cmp_eq_u16_e32 vcc, 0, v22
	v_cndmask_b32_e32 v20, v20, v21, vcc
	v_cndmask_b32_e32 v21, v22, v23, vcc
	v_lshlrev_b32_e32 v22, 16, v14
	v_mov_b32_e32 v23, 0x3b800000
	v_lshlrev_b32_e32 v20, 20, v20
	v_and_b32_e32 v22, 0x80000000, v22
	v_lshl_add_u32 v21, v21, 23, v23
	v_or3_b32 v20, v22, v21, v20
.LBB3_780:
	s_or_b64 exec, exec, s[6:7]
	v_lshrrev_b32_e32 v21, 8, v10
	s_movk_i32 s4, 0x7f
	v_cmp_gt_i16_sdwa s[6:7], v21, s4 src0_sel:BYTE_0 src1_sel:DWORD
	s_mov_b64 s[4:5], 0
                                        ; implicit-def: $sgpr10
	s_and_saveexec_b64 s[8:9], s[6:7]
	s_xor_b64 s[6:7], exec, s[8:9]
	s_cbranch_execnz .LBB3_2829
; %bb.781:
	s_or_saveexec_b64 s[6:7], s[6:7]
	v_mov_b32_e32 v22, s10
	s_xor_b64 exec, exec, s[6:7]
	s_cbranch_execnz .LBB3_2832
.LBB3_782:
	s_or_b64 exec, exec, s[6:7]
	s_and_saveexec_b64 s[6:7], s[4:5]
	s_cbranch_execz .LBB3_784
.LBB3_783:
	v_bfe_u32 v22, v10, 8, 3
	v_ffbh_u32_e32 v24, v22
	v_min_u32_e32 v24, 32, v24
	v_lshrrev_b16_e32 v23, 3, v21
	v_subrev_u32_e32 v25, 28, v24
	v_and_b32_e32 v23, 15, v23
	v_lshlrev_b32_e32 v21, v25, v21
	v_sub_u32_e32 v24, 29, v24
	v_and_b32_e32 v21, 7, v21
	v_cmp_eq_u16_e32 vcc, 0, v23
	v_cndmask_b32_e32 v21, v22, v21, vcc
	v_cndmask_b32_e32 v22, v23, v24, vcc
	v_lshlrev_b32_e32 v23, 16, v10
	v_mov_b32_e32 v24, 0x3b800000
	v_lshlrev_b32_e32 v21, 20, v21
	v_and_b32_e32 v23, 0x80000000, v23
	v_lshl_add_u32 v22, v22, 23, v24
	v_or3_b32 v22, v23, v22, v21
.LBB3_784:
	s_or_b64 exec, exec, s[6:7]
	s_nop 0
	v_mfma_f32_16x16x4f32 a[0:3], v20, v22, a[0:3]
	s_movk_i32 s4, 0xff
	v_and_b32_sdwa v21, v14, s4 dst_sel:DWORD dst_unused:UNUSED_PAD src0_sel:WORD_1 src1_sel:DWORD
	s_movk_i32 s4, 0x7f
	v_cmp_lt_i16_e32 vcc, s4, v21
	s_mov_b64 s[4:5], 0
                                        ; implicit-def: $sgpr10
	s_and_saveexec_b64 s[6:7], vcc
	s_xor_b64 s[6:7], exec, s[6:7]
	s_cbranch_execnz .LBB3_2833
; %bb.785:
	s_or_saveexec_b64 s[6:7], s[6:7]
	v_mov_b32_e32 v20, s10
	s_xor_b64 exec, exec, s[6:7]
	s_cbranch_execnz .LBB3_2836
.LBB3_786:
	s_or_b64 exec, exec, s[6:7]
	s_and_saveexec_b64 s[6:7], s[4:5]
	s_cbranch_execz .LBB3_788
.LBB3_787:
	v_bfe_u32 v20, v14, 16, 3
	v_ffbh_u32_e32 v23, v20
	v_min_u32_e32 v23, 32, v23
	v_lshrrev_b32_e32 v21, 19, v14
	v_subrev_u32_e32 v24, 28, v23
	v_and_b32_e32 v21, 15, v21
	v_lshlrev_b32_sdwa v24, v24, v14 dst_sel:DWORD dst_unused:UNUSED_PAD src0_sel:DWORD src1_sel:WORD_1
	v_bfe_u32 v22, v14, 19, 4
	v_sub_u32_e32 v23, 29, v23
	v_and_b32_e32 v24, 7, v24
	v_cmp_eq_u16_e32 vcc, 0, v21
	v_cndmask_b32_e32 v20, v20, v24, vcc
	v_cndmask_b32_e32 v21, v22, v23, vcc
	v_lshlrev_b32_e32 v22, 8, v14
	v_mov_b32_e32 v23, 0x3b800000
	v_lshlrev_b32_e32 v20, 20, v20
	v_and_b32_e32 v22, 0x80000000, v22
	v_lshl_add_u32 v21, v21, 23, v23
	v_or3_b32 v20, v22, v21, v20
.LBB3_788:
	s_or_b64 exec, exec, s[6:7]
	s_movk_i32 s4, 0xff
	v_and_b32_sdwa v21, v10, s4 dst_sel:DWORD dst_unused:UNUSED_PAD src0_sel:WORD_1 src1_sel:DWORD
	s_movk_i32 s4, 0x7f
	v_cmp_lt_i16_e32 vcc, s4, v21
	s_mov_b64 s[4:5], 0
                                        ; implicit-def: $sgpr10
	s_and_saveexec_b64 s[6:7], vcc
	s_xor_b64 s[6:7], exec, s[6:7]
	s_cbranch_execnz .LBB3_2837
; %bb.789:
	s_or_saveexec_b64 s[6:7], s[6:7]
	v_mov_b32_e32 v22, s10
	s_xor_b64 exec, exec, s[6:7]
	s_cbranch_execnz .LBB3_2840
.LBB3_790:
	s_or_b64 exec, exec, s[6:7]
	s_and_saveexec_b64 s[6:7], s[4:5]
	s_cbranch_execz .LBB3_792
.LBB3_791:
	v_bfe_u32 v21, v10, 16, 3
	v_ffbh_u32_e32 v24, v21
	v_min_u32_e32 v24, 32, v24
	v_lshrrev_b32_e32 v22, 19, v10
	v_subrev_u32_e32 v25, 28, v24
	v_and_b32_e32 v22, 15, v22
	v_lshlrev_b32_sdwa v25, v25, v10 dst_sel:DWORD dst_unused:UNUSED_PAD src0_sel:DWORD src1_sel:WORD_1
	v_bfe_u32 v23, v10, 19, 4
	v_sub_u32_e32 v24, 29, v24
	v_and_b32_e32 v25, 7, v25
	v_cmp_eq_u16_e32 vcc, 0, v22
	v_cndmask_b32_e32 v21, v21, v25, vcc
	v_cndmask_b32_e32 v22, v23, v24, vcc
	v_lshlrev_b32_e32 v23, 8, v10
	v_mov_b32_e32 v24, 0x3b800000
	v_lshlrev_b32_e32 v21, 20, v21
	v_and_b32_e32 v23, 0x80000000, v23
	v_lshl_add_u32 v22, v22, 23, v24
	v_or3_b32 v22, v23, v22, v21
.LBB3_792:
	s_or_b64 exec, exec, s[6:7]
	s_nop 0
	v_mfma_f32_16x16x4f32 a[0:3], v20, v22, a[0:3]
	s_movk_i32 s4, 0x7f
	v_cmp_gt_i16_sdwa s[6:7], v14, s4 src0_sel:BYTE_3 src1_sel:DWORD
	s_mov_b64 s[4:5], 0
                                        ; implicit-def: $sgpr10
	s_and_saveexec_b64 s[8:9], s[6:7]
	s_xor_b64 s[6:7], exec, s[8:9]
	s_cbranch_execnz .LBB3_2841
; %bb.793:
	s_or_saveexec_b64 s[6:7], s[6:7]
	v_mov_b32_e32 v20, s10
	s_xor_b64 exec, exec, s[6:7]
	s_cbranch_execnz .LBB3_2844
.LBB3_794:
	s_or_b64 exec, exec, s[6:7]
	s_and_saveexec_b64 s[6:7], s[4:5]
	s_cbranch_execz .LBB3_796
.LBB3_795:
	v_bfe_u32 v20, v14, 24, 3
	v_ffbh_u32_e32 v24, v20
	v_min_u32_e32 v24, 32, v24
	v_lshrrev_b32_e32 v22, 27, v14
	v_subrev_u32_e32 v25, 28, v24
	v_and_b32_e32 v21, 0x80000000, v14
	v_and_b32_e32 v22, 15, v22
	v_bfe_u32 v23, v14, 27, 4
	v_lshlrev_b32_sdwa v14, v25, v14 dst_sel:DWORD dst_unused:UNUSED_PAD src0_sel:DWORD src1_sel:BYTE_3
	v_sub_u32_e32 v24, 29, v24
	v_and_b32_e32 v14, 7, v14
	v_cmp_eq_u16_e32 vcc, 0, v22
	v_cndmask_b32_e32 v14, v20, v14, vcc
	v_cndmask_b32_e32 v20, v23, v24, vcc
	v_mov_b32_e32 v22, 0x3b800000
	v_lshlrev_b32_e32 v14, 20, v14
	v_lshl_add_u32 v20, v20, 23, v22
	v_or3_b32 v20, v21, v20, v14
.LBB3_796:
	s_or_b64 exec, exec, s[6:7]
	s_movk_i32 s4, 0x7f
	v_cmp_gt_i16_sdwa s[6:7], v10, s4 src0_sel:BYTE_3 src1_sel:DWORD
	s_mov_b64 s[4:5], 0
                                        ; implicit-def: $sgpr10
	s_and_saveexec_b64 s[8:9], s[6:7]
	s_xor_b64 s[6:7], exec, s[8:9]
	s_cbranch_execnz .LBB3_2845
; %bb.797:
	s_or_saveexec_b64 s[6:7], s[6:7]
	v_mov_b32_e32 v14, s10
	s_xor_b64 exec, exec, s[6:7]
	s_cbranch_execnz .LBB3_2848
.LBB3_798:
	s_or_b64 exec, exec, s[6:7]
	s_and_saveexec_b64 s[6:7], s[4:5]
	s_cbranch_execz .LBB3_800
.LBB3_799:
	v_bfe_u32 v14, v10, 24, 3
	v_ffbh_u32_e32 v24, v14
	v_min_u32_e32 v24, 32, v24
	v_lshrrev_b32_e32 v22, 27, v10
	v_subrev_u32_e32 v25, 28, v24
	v_and_b32_e32 v21, 0x80000000, v10
	v_and_b32_e32 v22, 15, v22
	v_bfe_u32 v23, v10, 27, 4
	v_lshlrev_b32_sdwa v10, v25, v10 dst_sel:DWORD dst_unused:UNUSED_PAD src0_sel:DWORD src1_sel:BYTE_3
	v_sub_u32_e32 v24, 29, v24
	v_and_b32_e32 v10, 7, v10
	v_cmp_eq_u16_e32 vcc, 0, v22
	v_cndmask_b32_e32 v10, v14, v10, vcc
	v_cndmask_b32_e32 v14, v23, v24, vcc
	v_mov_b32_e32 v22, 0x3b800000
	v_lshlrev_b32_e32 v10, 20, v10
	v_lshl_add_u32 v14, v14, 23, v22
	v_or3_b32 v14, v21, v14, v10
.LBB3_800:
	s_or_b64 exec, exec, s[6:7]
	s_nop 0
	v_mfma_f32_16x16x4f32 a[0:3], v20, v14, a[0:3]
	s_movk_i32 s4, 0x7f
	v_cmp_gt_i16_sdwa s[6:7], v15, s4 src0_sel:BYTE_0 src1_sel:DWORD
	s_mov_b64 s[4:5], 0
                                        ; implicit-def: $sgpr10
	s_and_saveexec_b64 s[8:9], s[6:7]
	s_xor_b64 s[6:7], exec, s[8:9]
	s_cbranch_execnz .LBB3_2849
; %bb.801:
	s_or_saveexec_b64 s[6:7], s[6:7]
	v_mov_b32_e32 v10, s10
	s_xor_b64 exec, exec, s[6:7]
	s_cbranch_execnz .LBB3_2852
.LBB3_802:
	s_or_b64 exec, exec, s[6:7]
	s_and_saveexec_b64 s[6:7], s[4:5]
	s_cbranch_execz .LBB3_804
.LBB3_803:
	v_and_b32_e32 v10, 7, v15
	v_ffbh_u32_e32 v20, v10
	v_min_u32_e32 v20, 32, v20
	v_lshrrev_b16_e32 v14, 3, v15
	v_subrev_u32_e32 v21, 28, v20
	v_and_b32_e32 v14, 15, v14
	v_lshlrev_b32_e32 v21, v21, v15
	v_sub_u32_e32 v20, 29, v20
	v_and_b32_e32 v21, 7, v21
	v_cmp_eq_u16_e32 vcc, 0, v14
	v_cndmask_b32_e32 v10, v10, v21, vcc
	v_cndmask_b32_e32 v14, v14, v20, vcc
	v_lshlrev_b32_e32 v20, 24, v15
	v_mov_b32_e32 v21, 0x3b800000
	v_lshlrev_b32_e32 v10, 20, v10
	v_and_b32_e32 v20, 0x80000000, v20
	v_lshl_add_u32 v14, v14, 23, v21
	v_or3_b32 v10, v20, v14, v10
.LBB3_804:
	s_or_b64 exec, exec, s[6:7]
	s_movk_i32 s4, 0x7f
	v_cmp_gt_i16_sdwa s[6:7], v11, s4 src0_sel:BYTE_0 src1_sel:DWORD
	s_mov_b64 s[4:5], 0
                                        ; implicit-def: $sgpr10
	s_and_saveexec_b64 s[8:9], s[6:7]
	s_xor_b64 s[6:7], exec, s[8:9]
	s_cbranch_execnz .LBB3_2853
; %bb.805:
	s_or_saveexec_b64 s[6:7], s[6:7]
	v_mov_b32_e32 v14, s10
	s_xor_b64 exec, exec, s[6:7]
	s_cbranch_execnz .LBB3_2856
.LBB3_806:
	s_or_b64 exec, exec, s[6:7]
	s_and_saveexec_b64 s[6:7], s[4:5]
	s_cbranch_execz .LBB3_808
.LBB3_807:
	v_and_b32_e32 v14, 7, v11
	v_ffbh_u32_e32 v21, v14
	v_min_u32_e32 v21, 32, v21
	v_lshrrev_b16_e32 v20, 3, v11
	v_subrev_u32_e32 v22, 28, v21
	v_and_b32_e32 v20, 15, v20
	v_lshlrev_b32_e32 v22, v22, v11
	v_sub_u32_e32 v21, 29, v21
	v_and_b32_e32 v22, 7, v22
	v_cmp_eq_u16_e32 vcc, 0, v20
	v_cndmask_b32_e32 v14, v14, v22, vcc
	v_cndmask_b32_e32 v20, v20, v21, vcc
	v_lshlrev_b32_e32 v21, 24, v11
	v_mov_b32_e32 v22, 0x3b800000
	v_lshlrev_b32_e32 v14, 20, v14
	v_and_b32_e32 v21, 0x80000000, v21
	v_lshl_add_u32 v20, v20, 23, v22
	v_or3_b32 v14, v21, v20, v14
.LBB3_808:
	s_or_b64 exec, exec, s[6:7]
	s_nop 0
	v_mfma_f32_16x16x4f32 a[0:3], v10, v14, a[0:3]
	v_lshrrev_b32_e32 v14, 8, v15
	s_movk_i32 s4, 0x7f
	v_cmp_gt_i16_sdwa s[6:7], v14, s4 src0_sel:BYTE_0 src1_sel:DWORD
	s_mov_b64 s[4:5], 0
                                        ; implicit-def: $sgpr10
	s_and_saveexec_b64 s[8:9], s[6:7]
	s_xor_b64 s[6:7], exec, s[8:9]
	s_cbranch_execnz .LBB3_2857
; %bb.809:
	s_or_saveexec_b64 s[6:7], s[6:7]
	v_mov_b32_e32 v10, s10
	s_xor_b64 exec, exec, s[6:7]
	s_cbranch_execnz .LBB3_2860
.LBB3_810:
	s_or_b64 exec, exec, s[6:7]
	s_and_saveexec_b64 s[6:7], s[4:5]
	s_cbranch_execz .LBB3_812
.LBB3_811:
	v_bfe_u32 v10, v15, 8, 3
	v_ffbh_u32_e32 v21, v10
	v_min_u32_e32 v21, 32, v21
	v_lshrrev_b16_e32 v20, 3, v14
	v_subrev_u32_e32 v22, 28, v21
	v_and_b32_e32 v20, 15, v20
	v_lshlrev_b32_e32 v14, v22, v14
	v_sub_u32_e32 v21, 29, v21
	v_and_b32_e32 v14, 7, v14
	v_cmp_eq_u16_e32 vcc, 0, v20
	v_cndmask_b32_e32 v10, v10, v14, vcc
	v_cndmask_b32_e32 v14, v20, v21, vcc
	v_lshlrev_b32_e32 v20, 16, v15
	v_mov_b32_e32 v21, 0x3b800000
	v_lshlrev_b32_e32 v10, 20, v10
	v_and_b32_e32 v20, 0x80000000, v20
	v_lshl_add_u32 v14, v14, 23, v21
	v_or3_b32 v10, v20, v14, v10
.LBB3_812:
	s_or_b64 exec, exec, s[6:7]
	v_lshrrev_b32_e32 v14, 8, v11
	s_movk_i32 s4, 0x7f
	v_cmp_gt_i16_sdwa s[6:7], v14, s4 src0_sel:BYTE_0 src1_sel:DWORD
	s_mov_b64 s[4:5], 0
                                        ; implicit-def: $sgpr10
	s_and_saveexec_b64 s[8:9], s[6:7]
	s_xor_b64 s[6:7], exec, s[8:9]
	s_cbranch_execnz .LBB3_2861
; %bb.813:
	s_or_saveexec_b64 s[6:7], s[6:7]
	v_mov_b32_e32 v20, s10
	s_xor_b64 exec, exec, s[6:7]
	s_cbranch_execnz .LBB3_2864
.LBB3_814:
	s_or_b64 exec, exec, s[6:7]
	s_and_saveexec_b64 s[6:7], s[4:5]
	s_cbranch_execz .LBB3_816
.LBB3_815:
	v_bfe_u32 v20, v11, 8, 3
	v_ffbh_u32_e32 v22, v20
	v_min_u32_e32 v22, 32, v22
	v_lshrrev_b16_e32 v21, 3, v14
	v_subrev_u32_e32 v23, 28, v22
	v_and_b32_e32 v21, 15, v21
	v_lshlrev_b32_e32 v14, v23, v14
	v_sub_u32_e32 v22, 29, v22
	v_and_b32_e32 v14, 7, v14
	v_cmp_eq_u16_e32 vcc, 0, v21
	v_cndmask_b32_e32 v14, v20, v14, vcc
	v_cndmask_b32_e32 v20, v21, v22, vcc
	v_lshlrev_b32_e32 v21, 16, v11
	v_mov_b32_e32 v22, 0x3b800000
	v_lshlrev_b32_e32 v14, 20, v14
	v_and_b32_e32 v21, 0x80000000, v21
	v_lshl_add_u32 v20, v20, 23, v22
	v_or3_b32 v20, v21, v20, v14
.LBB3_816:
	s_or_b64 exec, exec, s[6:7]
	s_nop 0
	v_mfma_f32_16x16x4f32 a[0:3], v10, v20, a[0:3]
	s_movk_i32 s4, 0xff
	v_and_b32_sdwa v14, v15, s4 dst_sel:DWORD dst_unused:UNUSED_PAD src0_sel:WORD_1 src1_sel:DWORD
	s_movk_i32 s4, 0x7f
	v_cmp_lt_i16_e32 vcc, s4, v14
	s_mov_b64 s[4:5], 0
                                        ; implicit-def: $sgpr10
	s_and_saveexec_b64 s[6:7], vcc
	s_xor_b64 s[6:7], exec, s[6:7]
	s_cbranch_execnz .LBB3_2865
; %bb.817:
	s_or_saveexec_b64 s[6:7], s[6:7]
	v_mov_b32_e32 v10, s10
	s_xor_b64 exec, exec, s[6:7]
	s_cbranch_execnz .LBB3_2868
.LBB3_818:
	s_or_b64 exec, exec, s[6:7]
	s_and_saveexec_b64 s[6:7], s[4:5]
	s_cbranch_execz .LBB3_820
.LBB3_819:
	v_bfe_u32 v10, v15, 16, 3
	v_ffbh_u32_e32 v21, v10
	v_min_u32_e32 v21, 32, v21
	v_lshrrev_b32_e32 v14, 19, v15
	v_subrev_u32_e32 v22, 28, v21
	v_and_b32_e32 v14, 15, v14
	v_lshlrev_b32_sdwa v22, v22, v15 dst_sel:DWORD dst_unused:UNUSED_PAD src0_sel:DWORD src1_sel:WORD_1
	v_bfe_u32 v20, v15, 19, 4
	v_sub_u32_e32 v21, 29, v21
	v_and_b32_e32 v22, 7, v22
	v_cmp_eq_u16_e32 vcc, 0, v14
	v_cndmask_b32_e32 v10, v10, v22, vcc
	v_cndmask_b32_e32 v14, v20, v21, vcc
	v_lshlrev_b32_e32 v20, 8, v15
	v_mov_b32_e32 v21, 0x3b800000
	v_lshlrev_b32_e32 v10, 20, v10
	v_and_b32_e32 v20, 0x80000000, v20
	v_lshl_add_u32 v14, v14, 23, v21
	v_or3_b32 v10, v20, v14, v10
.LBB3_820:
	s_or_b64 exec, exec, s[6:7]
	s_movk_i32 s4, 0xff
	v_and_b32_sdwa v14, v11, s4 dst_sel:DWORD dst_unused:UNUSED_PAD src0_sel:WORD_1 src1_sel:DWORD
	s_movk_i32 s4, 0x7f
	v_cmp_lt_i16_e32 vcc, s4, v14
	s_mov_b64 s[4:5], 0
                                        ; implicit-def: $sgpr10
	s_and_saveexec_b64 s[6:7], vcc
	s_xor_b64 s[6:7], exec, s[6:7]
	s_cbranch_execnz .LBB3_2869
; %bb.821:
	s_or_saveexec_b64 s[6:7], s[6:7]
	v_mov_b32_e32 v20, s10
	s_xor_b64 exec, exec, s[6:7]
	s_cbranch_execnz .LBB3_2872
.LBB3_822:
	s_or_b64 exec, exec, s[6:7]
	s_and_saveexec_b64 s[6:7], s[4:5]
	s_cbranch_execz .LBB3_824
.LBB3_823:
	v_bfe_u32 v14, v11, 16, 3
	v_ffbh_u32_e32 v22, v14
	v_min_u32_e32 v22, 32, v22
	v_lshrrev_b32_e32 v20, 19, v11
	v_subrev_u32_e32 v23, 28, v22
	v_and_b32_e32 v20, 15, v20
	v_lshlrev_b32_sdwa v23, v23, v11 dst_sel:DWORD dst_unused:UNUSED_PAD src0_sel:DWORD src1_sel:WORD_1
	v_bfe_u32 v21, v11, 19, 4
	v_sub_u32_e32 v22, 29, v22
	v_and_b32_e32 v23, 7, v23
	v_cmp_eq_u16_e32 vcc, 0, v20
	v_cndmask_b32_e32 v14, v14, v23, vcc
	v_cndmask_b32_e32 v20, v21, v22, vcc
	v_lshlrev_b32_e32 v21, 8, v11
	v_mov_b32_e32 v22, 0x3b800000
	v_lshlrev_b32_e32 v14, 20, v14
	v_and_b32_e32 v21, 0x80000000, v21
	v_lshl_add_u32 v20, v20, 23, v22
	v_or3_b32 v20, v21, v20, v14
.LBB3_824:
	s_or_b64 exec, exec, s[6:7]
	s_nop 0
	v_mfma_f32_16x16x4f32 a[0:3], v10, v20, a[0:3]
	s_movk_i32 s4, 0x7f
	v_cmp_gt_i16_sdwa s[6:7], v15, s4 src0_sel:BYTE_3 src1_sel:DWORD
	s_mov_b64 s[4:5], 0
                                        ; implicit-def: $sgpr10
	s_and_saveexec_b64 s[8:9], s[6:7]
	s_xor_b64 s[6:7], exec, s[8:9]
	s_cbranch_execnz .LBB3_2873
; %bb.825:
	s_or_saveexec_b64 s[6:7], s[6:7]
	v_mov_b32_e32 v10, s10
	s_xor_b64 exec, exec, s[6:7]
	s_cbranch_execnz .LBB3_2876
.LBB3_826:
	s_or_b64 exec, exec, s[6:7]
	s_and_saveexec_b64 s[6:7], s[4:5]
	s_cbranch_execz .LBB3_828
.LBB3_827:
	v_bfe_u32 v10, v15, 24, 3
	v_ffbh_u32_e32 v22, v10
	v_min_u32_e32 v22, 32, v22
	v_lshrrev_b32_e32 v20, 27, v15
	v_subrev_u32_e32 v23, 28, v22
	v_and_b32_e32 v14, 0x80000000, v15
	v_and_b32_e32 v20, 15, v20
	v_bfe_u32 v21, v15, 27, 4
	v_lshlrev_b32_sdwa v15, v23, v15 dst_sel:DWORD dst_unused:UNUSED_PAD src0_sel:DWORD src1_sel:BYTE_3
	v_sub_u32_e32 v22, 29, v22
	v_and_b32_e32 v15, 7, v15
	v_cmp_eq_u16_e32 vcc, 0, v20
	v_cndmask_b32_e32 v10, v10, v15, vcc
	v_cndmask_b32_e32 v15, v21, v22, vcc
	v_mov_b32_e32 v20, 0x3b800000
	v_lshlrev_b32_e32 v10, 20, v10
	v_lshl_add_u32 v15, v15, 23, v20
	v_or3_b32 v10, v14, v15, v10
.LBB3_828:
	s_or_b64 exec, exec, s[6:7]
	s_movk_i32 s4, 0x7f
	v_cmp_gt_i16_sdwa s[6:7], v11, s4 src0_sel:BYTE_3 src1_sel:DWORD
	s_mov_b64 s[4:5], 0
                                        ; implicit-def: $sgpr10
	s_and_saveexec_b64 s[8:9], s[6:7]
	s_xor_b64 s[6:7], exec, s[8:9]
	s_cbranch_execnz .LBB3_2877
; %bb.829:
	s_or_saveexec_b64 s[6:7], s[6:7]
	v_mov_b32_e32 v14, s10
	s_xor_b64 exec, exec, s[6:7]
	s_cbranch_execnz .LBB3_2880
.LBB3_830:
	s_or_b64 exec, exec, s[6:7]
	s_and_saveexec_b64 s[6:7], s[4:5]
	s_cbranch_execz .LBB3_832
.LBB3_831:
	v_bfe_u32 v14, v11, 24, 3
	v_ffbh_u32_e32 v22, v14
	v_min_u32_e32 v22, 32, v22
	v_lshrrev_b32_e32 v20, 27, v11
	v_subrev_u32_e32 v23, 28, v22
	v_and_b32_e32 v15, 0x80000000, v11
	v_and_b32_e32 v20, 15, v20
	v_bfe_u32 v21, v11, 27, 4
	v_lshlrev_b32_sdwa v11, v23, v11 dst_sel:DWORD dst_unused:UNUSED_PAD src0_sel:DWORD src1_sel:BYTE_3
	v_sub_u32_e32 v22, 29, v22
	v_and_b32_e32 v11, 7, v11
	v_cmp_eq_u16_e32 vcc, 0, v20
	v_cndmask_b32_e32 v11, v14, v11, vcc
	v_cndmask_b32_e32 v14, v21, v22, vcc
	v_mov_b32_e32 v20, 0x3b800000
	v_lshlrev_b32_e32 v11, 20, v11
	v_lshl_add_u32 v14, v14, 23, v20
	v_or3_b32 v14, v15, v14, v11
.LBB3_832:
	s_or_b64 exec, exec, s[6:7]
	s_nop 0
	v_mfma_f32_16x16x4f32 a[0:3], v10, v14, a[0:3]
	s_movk_i32 s4, 0x7f
	v_cmp_gt_i16_sdwa s[6:7], v16, s4 src0_sel:BYTE_0 src1_sel:DWORD
	s_mov_b64 s[4:5], 0
                                        ; implicit-def: $sgpr10
	s_and_saveexec_b64 s[8:9], s[6:7]
	s_xor_b64 s[6:7], exec, s[8:9]
	s_cbranch_execnz .LBB3_2881
; %bb.833:
	s_or_saveexec_b64 s[6:7], s[6:7]
	v_mov_b32_e32 v10, s10
	s_xor_b64 exec, exec, s[6:7]
	s_cbranch_execnz .LBB3_2884
.LBB3_834:
	s_or_b64 exec, exec, s[6:7]
	s_and_saveexec_b64 s[6:7], s[4:5]
	s_cbranch_execz .LBB3_836
.LBB3_835:
	v_and_b32_e32 v10, 7, v16
	v_ffbh_u32_e32 v14, v10
	v_min_u32_e32 v14, 32, v14
	v_lshrrev_b16_e32 v11, 3, v16
	v_subrev_u32_e32 v15, 28, v14
	v_and_b32_e32 v11, 15, v11
	v_lshlrev_b32_e32 v15, v15, v16
	v_sub_u32_e32 v14, 29, v14
	v_and_b32_e32 v15, 7, v15
	v_cmp_eq_u16_e32 vcc, 0, v11
	v_cndmask_b32_e32 v10, v10, v15, vcc
	v_cndmask_b32_e32 v11, v11, v14, vcc
	v_lshlrev_b32_e32 v14, 24, v16
	v_mov_b32_e32 v15, 0x3b800000
	v_lshlrev_b32_e32 v10, 20, v10
	v_and_b32_e32 v14, 0x80000000, v14
	v_lshl_add_u32 v11, v11, 23, v15
	v_or3_b32 v10, v14, v11, v10
.LBB3_836:
	s_or_b64 exec, exec, s[6:7]
	s_movk_i32 s4, 0x7f
	v_cmp_gt_i16_sdwa s[6:7], v12, s4 src0_sel:BYTE_0 src1_sel:DWORD
	s_mov_b64 s[4:5], 0
                                        ; implicit-def: $sgpr10
	s_and_saveexec_b64 s[8:9], s[6:7]
	s_xor_b64 s[6:7], exec, s[8:9]
	s_cbranch_execnz .LBB3_2885
; %bb.837:
	s_or_saveexec_b64 s[6:7], s[6:7]
	v_mov_b32_e32 v11, s10
	s_xor_b64 exec, exec, s[6:7]
	s_cbranch_execnz .LBB3_2888
.LBB3_838:
	s_or_b64 exec, exec, s[6:7]
	s_and_saveexec_b64 s[6:7], s[4:5]
	s_cbranch_execz .LBB3_840
.LBB3_839:
	v_and_b32_e32 v11, 7, v12
	v_ffbh_u32_e32 v15, v11
	v_min_u32_e32 v15, 32, v15
	v_lshrrev_b16_e32 v14, 3, v12
	v_subrev_u32_e32 v20, 28, v15
	v_and_b32_e32 v14, 15, v14
	v_lshlrev_b32_e32 v20, v20, v12
	v_sub_u32_e32 v15, 29, v15
	v_and_b32_e32 v20, 7, v20
	v_cmp_eq_u16_e32 vcc, 0, v14
	v_cndmask_b32_e32 v11, v11, v20, vcc
	v_cndmask_b32_e32 v14, v14, v15, vcc
	v_lshlrev_b32_e32 v15, 24, v12
	v_mov_b32_e32 v20, 0x3b800000
	v_lshlrev_b32_e32 v11, 20, v11
	v_and_b32_e32 v15, 0x80000000, v15
	v_lshl_add_u32 v14, v14, 23, v20
	v_or3_b32 v11, v15, v14, v11
.LBB3_840:
	s_or_b64 exec, exec, s[6:7]
	s_nop 0
	v_mfma_f32_16x16x4f32 a[0:3], v10, v11, a[0:3]
	v_lshrrev_b32_e32 v11, 8, v16
	s_movk_i32 s4, 0x7f
	v_cmp_gt_i16_sdwa s[6:7], v11, s4 src0_sel:BYTE_0 src1_sel:DWORD
	s_mov_b64 s[4:5], 0
                                        ; implicit-def: $sgpr10
	s_and_saveexec_b64 s[8:9], s[6:7]
	s_xor_b64 s[6:7], exec, s[8:9]
	s_cbranch_execnz .LBB3_2889
; %bb.841:
	s_or_saveexec_b64 s[6:7], s[6:7]
	v_mov_b32_e32 v10, s10
	s_xor_b64 exec, exec, s[6:7]
	s_cbranch_execnz .LBB3_2892
.LBB3_842:
	s_or_b64 exec, exec, s[6:7]
	s_and_saveexec_b64 s[6:7], s[4:5]
	s_cbranch_execz .LBB3_844
.LBB3_843:
	v_bfe_u32 v10, v16, 8, 3
	v_ffbh_u32_e32 v15, v10
	v_min_u32_e32 v15, 32, v15
	v_lshrrev_b16_e32 v14, 3, v11
	v_subrev_u32_e32 v20, 28, v15
	v_and_b32_e32 v14, 15, v14
	v_lshlrev_b32_e32 v11, v20, v11
	v_sub_u32_e32 v15, 29, v15
	v_and_b32_e32 v11, 7, v11
	v_cmp_eq_u16_e32 vcc, 0, v14
	v_cndmask_b32_e32 v10, v10, v11, vcc
	v_cndmask_b32_e32 v11, v14, v15, vcc
	v_lshlrev_b32_e32 v14, 16, v16
	v_mov_b32_e32 v15, 0x3b800000
	v_lshlrev_b32_e32 v10, 20, v10
	v_and_b32_e32 v14, 0x80000000, v14
	v_lshl_add_u32 v11, v11, 23, v15
	v_or3_b32 v10, v14, v11, v10
.LBB3_844:
	s_or_b64 exec, exec, s[6:7]
	v_lshrrev_b32_e32 v11, 8, v12
	s_movk_i32 s4, 0x7f
	v_cmp_gt_i16_sdwa s[6:7], v11, s4 src0_sel:BYTE_0 src1_sel:DWORD
	s_mov_b64 s[4:5], 0
                                        ; implicit-def: $sgpr10
	s_and_saveexec_b64 s[8:9], s[6:7]
	s_xor_b64 s[6:7], exec, s[8:9]
	s_cbranch_execnz .LBB3_2893
; %bb.845:
	s_or_saveexec_b64 s[6:7], s[6:7]
	v_mov_b32_e32 v14, s10
	s_xor_b64 exec, exec, s[6:7]
	s_cbranch_execnz .LBB3_2896
.LBB3_846:
	s_or_b64 exec, exec, s[6:7]
	s_and_saveexec_b64 s[6:7], s[4:5]
	s_cbranch_execz .LBB3_848
.LBB3_847:
	v_bfe_u32 v14, v12, 8, 3
	v_ffbh_u32_e32 v20, v14
	v_min_u32_e32 v20, 32, v20
	v_lshrrev_b16_e32 v15, 3, v11
	v_subrev_u32_e32 v21, 28, v20
	v_and_b32_e32 v15, 15, v15
	v_lshlrev_b32_e32 v11, v21, v11
	v_sub_u32_e32 v20, 29, v20
	v_and_b32_e32 v11, 7, v11
	v_cmp_eq_u16_e32 vcc, 0, v15
	v_cndmask_b32_e32 v11, v14, v11, vcc
	v_cndmask_b32_e32 v14, v15, v20, vcc
	v_lshlrev_b32_e32 v15, 16, v12
	v_mov_b32_e32 v20, 0x3b800000
	v_lshlrev_b32_e32 v11, 20, v11
	v_and_b32_e32 v15, 0x80000000, v15
	v_lshl_add_u32 v14, v14, 23, v20
	v_or3_b32 v14, v15, v14, v11
.LBB3_848:
	s_or_b64 exec, exec, s[6:7]
	s_nop 0
	v_mfma_f32_16x16x4f32 a[0:3], v10, v14, a[0:3]
	s_movk_i32 s4, 0xff
	v_and_b32_sdwa v11, v16, s4 dst_sel:DWORD dst_unused:UNUSED_PAD src0_sel:WORD_1 src1_sel:DWORD
	s_movk_i32 s4, 0x7f
	v_cmp_lt_i16_e32 vcc, s4, v11
	s_mov_b64 s[4:5], 0
                                        ; implicit-def: $sgpr10
	s_and_saveexec_b64 s[6:7], vcc
	s_xor_b64 s[6:7], exec, s[6:7]
	s_cbranch_execnz .LBB3_2897
; %bb.849:
	s_or_saveexec_b64 s[6:7], s[6:7]
	v_mov_b32_e32 v10, s10
	s_xor_b64 exec, exec, s[6:7]
	s_cbranch_execnz .LBB3_2900
.LBB3_850:
	s_or_b64 exec, exec, s[6:7]
	s_and_saveexec_b64 s[6:7], s[4:5]
	s_cbranch_execz .LBB3_852
.LBB3_851:
	v_bfe_u32 v10, v16, 16, 3
	v_ffbh_u32_e32 v15, v10
	v_min_u32_e32 v15, 32, v15
	v_lshrrev_b32_e32 v11, 19, v16
	v_subrev_u32_e32 v20, 28, v15
	v_and_b32_e32 v11, 15, v11
	v_lshlrev_b32_sdwa v20, v20, v16 dst_sel:DWORD dst_unused:UNUSED_PAD src0_sel:DWORD src1_sel:WORD_1
	v_bfe_u32 v14, v16, 19, 4
	v_sub_u32_e32 v15, 29, v15
	v_and_b32_e32 v20, 7, v20
	v_cmp_eq_u16_e32 vcc, 0, v11
	v_cndmask_b32_e32 v10, v10, v20, vcc
	v_cndmask_b32_e32 v11, v14, v15, vcc
	v_lshlrev_b32_e32 v14, 8, v16
	v_mov_b32_e32 v15, 0x3b800000
	v_lshlrev_b32_e32 v10, 20, v10
	v_and_b32_e32 v14, 0x80000000, v14
	v_lshl_add_u32 v11, v11, 23, v15
	v_or3_b32 v10, v14, v11, v10
.LBB3_852:
	s_or_b64 exec, exec, s[6:7]
	s_movk_i32 s4, 0xff
	v_and_b32_sdwa v11, v12, s4 dst_sel:DWORD dst_unused:UNUSED_PAD src0_sel:WORD_1 src1_sel:DWORD
	s_movk_i32 s4, 0x7f
	v_cmp_lt_i16_e32 vcc, s4, v11
	s_mov_b64 s[4:5], 0
                                        ; implicit-def: $sgpr10
	s_and_saveexec_b64 s[6:7], vcc
	s_xor_b64 s[6:7], exec, s[6:7]
	s_cbranch_execnz .LBB3_2901
; %bb.853:
	s_or_saveexec_b64 s[6:7], s[6:7]
	v_mov_b32_e32 v14, s10
	s_xor_b64 exec, exec, s[6:7]
	s_cbranch_execnz .LBB3_2904
.LBB3_854:
	s_or_b64 exec, exec, s[6:7]
	s_and_saveexec_b64 s[6:7], s[4:5]
	s_cbranch_execz .LBB3_856
.LBB3_855:
	v_bfe_u32 v11, v12, 16, 3
	v_ffbh_u32_e32 v20, v11
	v_min_u32_e32 v20, 32, v20
	v_lshrrev_b32_e32 v14, 19, v12
	v_subrev_u32_e32 v21, 28, v20
	v_and_b32_e32 v14, 15, v14
	v_lshlrev_b32_sdwa v21, v21, v12 dst_sel:DWORD dst_unused:UNUSED_PAD src0_sel:DWORD src1_sel:WORD_1
	v_bfe_u32 v15, v12, 19, 4
	v_sub_u32_e32 v20, 29, v20
	v_and_b32_e32 v21, 7, v21
	v_cmp_eq_u16_e32 vcc, 0, v14
	v_cndmask_b32_e32 v11, v11, v21, vcc
	v_cndmask_b32_e32 v14, v15, v20, vcc
	v_lshlrev_b32_e32 v15, 8, v12
	v_mov_b32_e32 v20, 0x3b800000
	v_lshlrev_b32_e32 v11, 20, v11
	v_and_b32_e32 v15, 0x80000000, v15
	v_lshl_add_u32 v14, v14, 23, v20
	v_or3_b32 v14, v15, v14, v11
.LBB3_856:
	s_or_b64 exec, exec, s[6:7]
	s_nop 0
	v_mfma_f32_16x16x4f32 a[0:3], v10, v14, a[0:3]
	s_movk_i32 s4, 0x7f
	v_cmp_gt_i16_sdwa s[6:7], v16, s4 src0_sel:BYTE_3 src1_sel:DWORD
	s_mov_b64 s[4:5], 0
                                        ; implicit-def: $sgpr10
	s_and_saveexec_b64 s[8:9], s[6:7]
	s_xor_b64 s[6:7], exec, s[8:9]
	s_cbranch_execnz .LBB3_2905
; %bb.857:
	s_or_saveexec_b64 s[6:7], s[6:7]
	v_mov_b32_e32 v10, s10
	s_xor_b64 exec, exec, s[6:7]
	s_cbranch_execnz .LBB3_2908
.LBB3_858:
	s_or_b64 exec, exec, s[6:7]
	s_and_saveexec_b64 s[6:7], s[4:5]
	s_cbranch_execz .LBB3_860
.LBB3_859:
	v_bfe_u32 v10, v16, 24, 3
	v_ffbh_u32_e32 v20, v10
	v_min_u32_e32 v20, 32, v20
	v_lshrrev_b32_e32 v14, 27, v16
	v_subrev_u32_e32 v21, 28, v20
	v_and_b32_e32 v11, 0x80000000, v16
	v_and_b32_e32 v14, 15, v14
	v_bfe_u32 v15, v16, 27, 4
	v_lshlrev_b32_sdwa v16, v21, v16 dst_sel:DWORD dst_unused:UNUSED_PAD src0_sel:DWORD src1_sel:BYTE_3
	v_sub_u32_e32 v20, 29, v20
	v_and_b32_e32 v16, 7, v16
	v_cmp_eq_u16_e32 vcc, 0, v14
	v_cndmask_b32_e32 v10, v10, v16, vcc
	v_cndmask_b32_e32 v14, v15, v20, vcc
	v_mov_b32_e32 v15, 0x3b800000
	v_lshlrev_b32_e32 v10, 20, v10
	v_lshl_add_u32 v14, v14, 23, v15
	v_or3_b32 v10, v11, v14, v10
.LBB3_860:
	s_or_b64 exec, exec, s[6:7]
	s_movk_i32 s4, 0x7f
	v_cmp_gt_i16_sdwa s[6:7], v12, s4 src0_sel:BYTE_3 src1_sel:DWORD
	s_mov_b64 s[4:5], 0
                                        ; implicit-def: $sgpr10
	s_and_saveexec_b64 s[8:9], s[6:7]
	s_xor_b64 s[6:7], exec, s[8:9]
	s_cbranch_execnz .LBB3_2909
; %bb.861:
	s_or_saveexec_b64 s[6:7], s[6:7]
	v_mov_b32_e32 v11, s10
	s_xor_b64 exec, exec, s[6:7]
	s_cbranch_execnz .LBB3_2912
.LBB3_862:
	s_or_b64 exec, exec, s[6:7]
	s_and_saveexec_b64 s[6:7], s[4:5]
	s_cbranch_execz .LBB3_864
.LBB3_863:
	v_bfe_u32 v11, v12, 24, 3
	v_ffbh_u32_e32 v20, v11
	v_min_u32_e32 v20, 32, v20
	v_lshrrev_b32_e32 v15, 27, v12
	v_subrev_u32_e32 v21, 28, v20
	v_and_b32_e32 v14, 0x80000000, v12
	v_and_b32_e32 v15, 15, v15
	v_bfe_u32 v16, v12, 27, 4
	v_lshlrev_b32_sdwa v12, v21, v12 dst_sel:DWORD dst_unused:UNUSED_PAD src0_sel:DWORD src1_sel:BYTE_3
	v_sub_u32_e32 v20, 29, v20
	v_and_b32_e32 v12, 7, v12
	v_cmp_eq_u16_e32 vcc, 0, v15
	v_cndmask_b32_e32 v11, v11, v12, vcc
	v_cndmask_b32_e32 v12, v16, v20, vcc
	v_mov_b32_e32 v15, 0x3b800000
	v_lshlrev_b32_e32 v11, 20, v11
	v_lshl_add_u32 v12, v12, 23, v15
	v_or3_b32 v11, v14, v12, v11
.LBB3_864:
	s_or_b64 exec, exec, s[6:7]
	s_nop 0
	v_mfma_f32_16x16x4f32 a[0:3], v10, v11, a[0:3]
	s_movk_i32 s4, 0x7f
	v_cmp_gt_i16_sdwa s[6:7], v17, s4 src0_sel:BYTE_0 src1_sel:DWORD
	s_mov_b64 s[4:5], 0
                                        ; implicit-def: $sgpr10
	s_and_saveexec_b64 s[8:9], s[6:7]
	s_xor_b64 s[6:7], exec, s[8:9]
	s_cbranch_execnz .LBB3_2913
; %bb.865:
	s_or_saveexec_b64 s[6:7], s[6:7]
	v_mov_b32_e32 v10, s10
	s_xor_b64 exec, exec, s[6:7]
	s_cbranch_execnz .LBB3_2916
.LBB3_866:
	s_or_b64 exec, exec, s[6:7]
	s_and_saveexec_b64 s[6:7], s[4:5]
	s_cbranch_execz .LBB3_868
.LBB3_867:
	v_and_b32_e32 v10, 7, v17
	v_ffbh_u32_e32 v12, v10
	v_min_u32_e32 v12, 32, v12
	v_lshrrev_b16_e32 v11, 3, v17
	v_subrev_u32_e32 v14, 28, v12
	v_and_b32_e32 v11, 15, v11
	v_lshlrev_b32_e32 v14, v14, v17
	v_sub_u32_e32 v12, 29, v12
	v_and_b32_e32 v14, 7, v14
	v_cmp_eq_u16_e32 vcc, 0, v11
	v_cndmask_b32_e32 v10, v10, v14, vcc
	v_cndmask_b32_e32 v11, v11, v12, vcc
	v_lshlrev_b32_e32 v12, 24, v17
	v_mov_b32_e32 v14, 0x3b800000
	v_lshlrev_b32_e32 v10, 20, v10
	v_and_b32_e32 v12, 0x80000000, v12
	v_lshl_add_u32 v11, v11, 23, v14
	v_or3_b32 v10, v12, v11, v10
.LBB3_868:
	s_or_b64 exec, exec, s[6:7]
	s_movk_i32 s4, 0x7f
	v_cmp_gt_i16_sdwa s[6:7], v13, s4 src0_sel:BYTE_0 src1_sel:DWORD
	s_mov_b64 s[4:5], 0
                                        ; implicit-def: $sgpr10
	s_and_saveexec_b64 s[8:9], s[6:7]
	s_xor_b64 s[6:7], exec, s[8:9]
	s_cbranch_execnz .LBB3_2917
; %bb.869:
	s_or_saveexec_b64 s[6:7], s[6:7]
	v_mov_b32_e32 v11, s10
	s_xor_b64 exec, exec, s[6:7]
	s_cbranch_execnz .LBB3_2920
.LBB3_870:
	s_or_b64 exec, exec, s[6:7]
	s_and_saveexec_b64 s[6:7], s[4:5]
	s_cbranch_execz .LBB3_872
.LBB3_871:
	v_and_b32_e32 v11, 7, v13
	v_ffbh_u32_e32 v14, v11
	v_min_u32_e32 v14, 32, v14
	v_lshrrev_b16_e32 v12, 3, v13
	v_subrev_u32_e32 v15, 28, v14
	v_and_b32_e32 v12, 15, v12
	v_lshlrev_b32_e32 v15, v15, v13
	v_sub_u32_e32 v14, 29, v14
	v_and_b32_e32 v15, 7, v15
	v_cmp_eq_u16_e32 vcc, 0, v12
	v_cndmask_b32_e32 v11, v11, v15, vcc
	v_cndmask_b32_e32 v12, v12, v14, vcc
	v_lshlrev_b32_e32 v14, 24, v13
	v_mov_b32_e32 v15, 0x3b800000
	v_lshlrev_b32_e32 v11, 20, v11
	v_and_b32_e32 v14, 0x80000000, v14
	v_lshl_add_u32 v12, v12, 23, v15
	v_or3_b32 v11, v14, v12, v11
.LBB3_872:
	s_or_b64 exec, exec, s[6:7]
	s_nop 0
	v_mfma_f32_16x16x4f32 a[0:3], v10, v11, a[0:3]
	v_lshrrev_b32_e32 v11, 8, v17
	s_movk_i32 s4, 0x7f
	v_cmp_gt_i16_sdwa s[6:7], v11, s4 src0_sel:BYTE_0 src1_sel:DWORD
	s_mov_b64 s[4:5], 0
                                        ; implicit-def: $sgpr10
	s_and_saveexec_b64 s[8:9], s[6:7]
	s_xor_b64 s[6:7], exec, s[8:9]
	s_cbranch_execnz .LBB3_2921
; %bb.873:
	s_or_saveexec_b64 s[6:7], s[6:7]
	v_mov_b32_e32 v10, s10
	s_xor_b64 exec, exec, s[6:7]
	s_cbranch_execnz .LBB3_2924
.LBB3_874:
	s_or_b64 exec, exec, s[6:7]
	s_and_saveexec_b64 s[6:7], s[4:5]
	s_cbranch_execz .LBB3_876
.LBB3_875:
	v_bfe_u32 v10, v17, 8, 3
	v_ffbh_u32_e32 v14, v10
	v_min_u32_e32 v14, 32, v14
	v_lshrrev_b16_e32 v12, 3, v11
	v_subrev_u32_e32 v15, 28, v14
	v_and_b32_e32 v12, 15, v12
	v_lshlrev_b32_e32 v11, v15, v11
	v_sub_u32_e32 v14, 29, v14
	v_and_b32_e32 v11, 7, v11
	v_cmp_eq_u16_e32 vcc, 0, v12
	v_cndmask_b32_e32 v10, v10, v11, vcc
	v_cndmask_b32_e32 v11, v12, v14, vcc
	v_lshlrev_b32_e32 v12, 16, v17
	v_mov_b32_e32 v14, 0x3b800000
	v_lshlrev_b32_e32 v10, 20, v10
	v_and_b32_e32 v12, 0x80000000, v12
	v_lshl_add_u32 v11, v11, 23, v14
	v_or3_b32 v10, v12, v11, v10
.LBB3_876:
	s_or_b64 exec, exec, s[6:7]
	v_lshrrev_b32_e32 v11, 8, v13
	s_movk_i32 s4, 0x7f
	v_cmp_gt_i16_sdwa s[6:7], v11, s4 src0_sel:BYTE_0 src1_sel:DWORD
	s_mov_b64 s[4:5], 0
                                        ; implicit-def: $sgpr10
	s_and_saveexec_b64 s[8:9], s[6:7]
	s_xor_b64 s[6:7], exec, s[8:9]
	s_cbranch_execnz .LBB3_2925
; %bb.877:
	s_or_saveexec_b64 s[6:7], s[6:7]
	v_mov_b32_e32 v12, s10
	s_xor_b64 exec, exec, s[6:7]
	s_cbranch_execnz .LBB3_2928
.LBB3_878:
	s_or_b64 exec, exec, s[6:7]
	s_and_saveexec_b64 s[6:7], s[4:5]
	s_cbranch_execz .LBB3_880
.LBB3_879:
	v_bfe_u32 v12, v13, 8, 3
	v_ffbh_u32_e32 v15, v12
	v_min_u32_e32 v15, 32, v15
	v_lshrrev_b16_e32 v14, 3, v11
	v_subrev_u32_e32 v16, 28, v15
	v_and_b32_e32 v14, 15, v14
	v_lshlrev_b32_e32 v11, v16, v11
	v_sub_u32_e32 v15, 29, v15
	v_and_b32_e32 v11, 7, v11
	v_cmp_eq_u16_e32 vcc, 0, v14
	v_cndmask_b32_e32 v11, v12, v11, vcc
	v_cndmask_b32_e32 v12, v14, v15, vcc
	v_lshlrev_b32_e32 v14, 16, v13
	v_mov_b32_e32 v15, 0x3b800000
	v_lshlrev_b32_e32 v11, 20, v11
	v_and_b32_e32 v14, 0x80000000, v14
	v_lshl_add_u32 v12, v12, 23, v15
	v_or3_b32 v12, v14, v12, v11
.LBB3_880:
	s_or_b64 exec, exec, s[6:7]
	s_nop 0
	v_mfma_f32_16x16x4f32 a[0:3], v10, v12, a[0:3]
	s_movk_i32 s4, 0xff
	v_and_b32_sdwa v11, v17, s4 dst_sel:DWORD dst_unused:UNUSED_PAD src0_sel:WORD_1 src1_sel:DWORD
	s_movk_i32 s4, 0x7f
	v_cmp_lt_i16_e32 vcc, s4, v11
	s_mov_b64 s[4:5], 0
                                        ; implicit-def: $sgpr10
	s_and_saveexec_b64 s[6:7], vcc
	s_xor_b64 s[6:7], exec, s[6:7]
	s_cbranch_execnz .LBB3_2929
; %bb.881:
	s_or_saveexec_b64 s[6:7], s[6:7]
	v_mov_b32_e32 v10, s10
	s_xor_b64 exec, exec, s[6:7]
	s_cbranch_execnz .LBB3_2932
.LBB3_882:
	s_or_b64 exec, exec, s[6:7]
	s_and_saveexec_b64 s[6:7], s[4:5]
	s_cbranch_execz .LBB3_884
.LBB3_883:
	v_bfe_u32 v10, v17, 16, 3
	v_ffbh_u32_e32 v14, v10
	v_min_u32_e32 v14, 32, v14
	v_lshrrev_b32_e32 v11, 19, v17
	v_subrev_u32_e32 v15, 28, v14
	v_and_b32_e32 v11, 15, v11
	v_lshlrev_b32_sdwa v15, v15, v17 dst_sel:DWORD dst_unused:UNUSED_PAD src0_sel:DWORD src1_sel:WORD_1
	v_bfe_u32 v12, v17, 19, 4
	v_sub_u32_e32 v14, 29, v14
	v_and_b32_e32 v15, 7, v15
	v_cmp_eq_u16_e32 vcc, 0, v11
	v_cndmask_b32_e32 v10, v10, v15, vcc
	v_cndmask_b32_e32 v11, v12, v14, vcc
	v_lshlrev_b32_e32 v12, 8, v17
	v_mov_b32_e32 v14, 0x3b800000
	v_lshlrev_b32_e32 v10, 20, v10
	v_and_b32_e32 v12, 0x80000000, v12
	v_lshl_add_u32 v11, v11, 23, v14
	v_or3_b32 v10, v12, v11, v10
.LBB3_884:
	s_or_b64 exec, exec, s[6:7]
	s_movk_i32 s4, 0xff
	v_and_b32_sdwa v11, v13, s4 dst_sel:DWORD dst_unused:UNUSED_PAD src0_sel:WORD_1 src1_sel:DWORD
	s_movk_i32 s4, 0x7f
	v_cmp_lt_i16_e32 vcc, s4, v11
	s_mov_b64 s[4:5], 0
                                        ; implicit-def: $sgpr10
	s_and_saveexec_b64 s[6:7], vcc
	s_xor_b64 s[6:7], exec, s[6:7]
	s_cbranch_execnz .LBB3_2933
; %bb.885:
	s_or_saveexec_b64 s[6:7], s[6:7]
	v_mov_b32_e32 v12, s10
	s_xor_b64 exec, exec, s[6:7]
	s_cbranch_execnz .LBB3_2936
.LBB3_886:
	s_or_b64 exec, exec, s[6:7]
	s_and_saveexec_b64 s[6:7], s[4:5]
	s_cbranch_execz .LBB3_888
.LBB3_887:
	v_bfe_u32 v11, v13, 16, 3
	v_ffbh_u32_e32 v15, v11
	v_min_u32_e32 v15, 32, v15
	v_lshrrev_b32_e32 v12, 19, v13
	v_subrev_u32_e32 v16, 28, v15
	v_and_b32_e32 v12, 15, v12
	v_lshlrev_b32_sdwa v16, v16, v13 dst_sel:DWORD dst_unused:UNUSED_PAD src0_sel:DWORD src1_sel:WORD_1
	v_bfe_u32 v14, v13, 19, 4
	v_sub_u32_e32 v15, 29, v15
	v_and_b32_e32 v16, 7, v16
	v_cmp_eq_u16_e32 vcc, 0, v12
	v_cndmask_b32_e32 v11, v11, v16, vcc
	v_cndmask_b32_e32 v12, v14, v15, vcc
	v_lshlrev_b32_e32 v14, 8, v13
	v_mov_b32_e32 v15, 0x3b800000
	v_lshlrev_b32_e32 v11, 20, v11
	v_and_b32_e32 v14, 0x80000000, v14
	v_lshl_add_u32 v12, v12, 23, v15
	v_or3_b32 v12, v14, v12, v11
.LBB3_888:
	s_or_b64 exec, exec, s[6:7]
	s_nop 0
	v_mfma_f32_16x16x4f32 a[0:3], v10, v12, a[0:3]
	s_movk_i32 s4, 0x7f
	v_cmp_gt_i16_sdwa s[6:7], v17, s4 src0_sel:BYTE_3 src1_sel:DWORD
	s_mov_b64 s[4:5], 0
                                        ; implicit-def: $sgpr10
	s_and_saveexec_b64 s[8:9], s[6:7]
	s_xor_b64 s[6:7], exec, s[8:9]
	s_cbranch_execnz .LBB3_2937
; %bb.889:
	s_or_saveexec_b64 s[6:7], s[6:7]
	v_mov_b32_e32 v10, s10
	s_xor_b64 exec, exec, s[6:7]
	s_cbranch_execnz .LBB3_2940
.LBB3_890:
	s_or_b64 exec, exec, s[6:7]
	s_and_saveexec_b64 s[6:7], s[4:5]
	s_cbranch_execz .LBB3_892
.LBB3_891:
	v_bfe_u32 v10, v17, 24, 3
	v_ffbh_u32_e32 v15, v10
	v_min_u32_e32 v15, 32, v15
	v_lshrrev_b32_e32 v12, 27, v17
	v_subrev_u32_e32 v16, 28, v15
	v_and_b32_e32 v12, 15, v12
	v_lshlrev_b32_sdwa v16, v16, v17 dst_sel:DWORD dst_unused:UNUSED_PAD src0_sel:DWORD src1_sel:BYTE_3
	v_bfe_u32 v14, v17, 27, 4
	v_sub_u32_e32 v15, 29, v15
	v_and_b32_e32 v16, 7, v16
	v_cmp_eq_u16_e32 vcc, 0, v12
	v_cndmask_b32_e32 v10, v10, v16, vcc
	v_cndmask_b32_e32 v12, v14, v15, vcc
	v_mov_b32_e32 v14, 0x3b800000
	v_and_b32_e32 v11, 0x80000000, v17
	v_lshlrev_b32_e32 v10, 20, v10
	v_lshl_add_u32 v12, v12, 23, v14
	v_or3_b32 v10, v11, v12, v10
.LBB3_892:
	s_or_b64 exec, exec, s[6:7]
	s_movk_i32 s4, 0x7f
	v_cmp_gt_i16_sdwa s[6:7], v13, s4 src0_sel:BYTE_3 src1_sel:DWORD
	s_mov_b64 s[4:5], 0
                                        ; implicit-def: $sgpr10
	s_and_saveexec_b64 s[8:9], s[6:7]
	s_xor_b64 s[6:7], exec, s[8:9]
	s_cbranch_execnz .LBB3_2941
; %bb.893:
	s_or_saveexec_b64 s[6:7], s[6:7]
	v_mov_b32_e32 v11, s10
	s_xor_b64 exec, exec, s[6:7]
	s_cbranch_execnz .LBB3_2944
.LBB3_894:
	s_or_b64 exec, exec, s[6:7]
	s_and_saveexec_b64 s[6:7], s[4:5]
	s_cbranch_execz .LBB3_896
.LBB3_895:
	v_bfe_u32 v11, v13, 24, 3
	v_ffbh_u32_e32 v16, v11
	v_min_u32_e32 v16, 32, v16
	v_lshrrev_b32_e32 v14, 27, v13
	v_subrev_u32_e32 v17, 28, v16
	v_and_b32_e32 v12, 0x80000000, v13
	v_and_b32_e32 v14, 15, v14
	v_bfe_u32 v15, v13, 27, 4
	v_lshlrev_b32_sdwa v13, v17, v13 dst_sel:DWORD dst_unused:UNUSED_PAD src0_sel:DWORD src1_sel:BYTE_3
	v_sub_u32_e32 v16, 29, v16
	v_and_b32_e32 v13, 7, v13
	v_cmp_eq_u16_e32 vcc, 0, v14
	v_cndmask_b32_e32 v11, v11, v13, vcc
	v_cndmask_b32_e32 v13, v15, v16, vcc
	v_mov_b32_e32 v14, 0x3b800000
	v_lshlrev_b32_e32 v11, 20, v11
	v_lshl_add_u32 v13, v13, 23, v14
	v_or3_b32 v11, v12, v13, v11
.LBB3_896:
	s_or_b64 exec, exec, s[6:7]
	s_nop 0
	v_mfma_f32_16x16x4f32 a[0:3], v10, v11, a[0:3]
	s_movk_i32 s4, 0x7f
	v_cmp_gt_i16_sdwa s[6:7], v6, s4 src0_sel:BYTE_0 src1_sel:DWORD
	s_mov_b64 s[4:5], 0
                                        ; implicit-def: $sgpr10
	s_and_saveexec_b64 s[8:9], s[6:7]
	s_xor_b64 s[6:7], exec, s[8:9]
	s_cbranch_execnz .LBB3_2945
; %bb.897:
	s_or_saveexec_b64 s[6:7], s[6:7]
	v_mov_b32_e32 v10, s10
	s_xor_b64 exec, exec, s[6:7]
	s_cbranch_execnz .LBB3_2948
.LBB3_898:
	s_or_b64 exec, exec, s[6:7]
	s_and_saveexec_b64 s[6:7], s[4:5]
	s_cbranch_execz .LBB3_900
.LBB3_899:
	v_and_b32_e32 v10, 7, v6
	v_ffbh_u32_e32 v12, v10
	v_min_u32_e32 v12, 32, v12
	v_lshrrev_b16_e32 v11, 3, v6
	v_subrev_u32_e32 v13, 28, v12
	v_and_b32_e32 v11, 15, v11
	v_lshlrev_b32_e32 v13, v13, v6
	v_sub_u32_e32 v12, 29, v12
	v_and_b32_e32 v13, 7, v13
	v_cmp_eq_u16_e32 vcc, 0, v11
	v_cndmask_b32_e32 v10, v10, v13, vcc
	v_cndmask_b32_e32 v11, v11, v12, vcc
	v_lshlrev_b32_e32 v12, 24, v6
	v_mov_b32_e32 v13, 0x3b800000
	v_lshlrev_b32_e32 v10, 20, v10
	v_and_b32_e32 v12, 0x80000000, v12
	v_lshl_add_u32 v11, v11, 23, v13
	v_or3_b32 v10, v12, v11, v10
.LBB3_900:
	s_or_b64 exec, exec, s[6:7]
	s_movk_i32 s4, 0x7f
	v_cmp_gt_i16_sdwa s[6:7], v2, s4 src0_sel:BYTE_0 src1_sel:DWORD
	s_mov_b64 s[4:5], 0
                                        ; implicit-def: $sgpr10
	s_and_saveexec_b64 s[8:9], s[6:7]
	s_xor_b64 s[6:7], exec, s[8:9]
	s_cbranch_execnz .LBB3_2949
; %bb.901:
	s_or_saveexec_b64 s[6:7], s[6:7]
	v_mov_b32_e32 v11, s10
	s_xor_b64 exec, exec, s[6:7]
	s_cbranch_execnz .LBB3_2952
.LBB3_902:
	s_or_b64 exec, exec, s[6:7]
	s_and_saveexec_b64 s[6:7], s[4:5]
	s_cbranch_execz .LBB3_904
.LBB3_903:
	v_and_b32_e32 v11, 7, v2
	v_ffbh_u32_e32 v13, v11
	v_min_u32_e32 v13, 32, v13
	v_lshrrev_b16_e32 v12, 3, v2
	v_subrev_u32_e32 v14, 28, v13
	v_and_b32_e32 v12, 15, v12
	v_lshlrev_b32_e32 v14, v14, v2
	v_sub_u32_e32 v13, 29, v13
	v_and_b32_e32 v14, 7, v14
	v_cmp_eq_u16_e32 vcc, 0, v12
	v_cndmask_b32_e32 v11, v11, v14, vcc
	v_cndmask_b32_e32 v12, v12, v13, vcc
	v_lshlrev_b32_e32 v13, 24, v2
	v_mov_b32_e32 v14, 0x3b800000
	v_lshlrev_b32_e32 v11, 20, v11
	v_and_b32_e32 v13, 0x80000000, v13
	v_lshl_add_u32 v12, v12, 23, v14
	v_or3_b32 v11, v13, v12, v11
.LBB3_904:
	s_or_b64 exec, exec, s[6:7]
	s_nop 0
	v_mfma_f32_16x16x4f32 a[0:3], v10, v11, a[0:3]
	v_lshrrev_b32_e32 v11, 8, v6
	s_movk_i32 s4, 0x7f
	v_cmp_gt_i16_sdwa s[6:7], v11, s4 src0_sel:BYTE_0 src1_sel:DWORD
	s_mov_b64 s[4:5], 0
                                        ; implicit-def: $sgpr10
	s_and_saveexec_b64 s[8:9], s[6:7]
	s_xor_b64 s[6:7], exec, s[8:9]
	s_cbranch_execnz .LBB3_2953
; %bb.905:
	s_or_saveexec_b64 s[6:7], s[6:7]
	v_mov_b32_e32 v10, s10
	s_xor_b64 exec, exec, s[6:7]
	s_cbranch_execnz .LBB3_2956
.LBB3_906:
	s_or_b64 exec, exec, s[6:7]
	s_and_saveexec_b64 s[6:7], s[4:5]
	s_cbranch_execz .LBB3_908
.LBB3_907:
	v_bfe_u32 v10, v6, 8, 3
	v_ffbh_u32_e32 v13, v10
	v_min_u32_e32 v13, 32, v13
	v_lshrrev_b16_e32 v12, 3, v11
	v_subrev_u32_e32 v14, 28, v13
	v_and_b32_e32 v12, 15, v12
	v_lshlrev_b32_e32 v11, v14, v11
	v_sub_u32_e32 v13, 29, v13
	v_and_b32_e32 v11, 7, v11
	v_cmp_eq_u16_e32 vcc, 0, v12
	v_cndmask_b32_e32 v10, v10, v11, vcc
	v_cndmask_b32_e32 v11, v12, v13, vcc
	v_lshlrev_b32_e32 v12, 16, v6
	v_mov_b32_e32 v13, 0x3b800000
	v_lshlrev_b32_e32 v10, 20, v10
	v_and_b32_e32 v12, 0x80000000, v12
	v_lshl_add_u32 v11, v11, 23, v13
	v_or3_b32 v10, v12, v11, v10
.LBB3_908:
	s_or_b64 exec, exec, s[6:7]
	v_lshrrev_b32_e32 v11, 8, v2
	s_movk_i32 s4, 0x7f
	v_cmp_gt_i16_sdwa s[6:7], v11, s4 src0_sel:BYTE_0 src1_sel:DWORD
	s_mov_b64 s[4:5], 0
                                        ; implicit-def: $sgpr10
	s_and_saveexec_b64 s[8:9], s[6:7]
	s_xor_b64 s[6:7], exec, s[8:9]
	s_cbranch_execnz .LBB3_2957
; %bb.909:
	s_or_saveexec_b64 s[6:7], s[6:7]
	v_mov_b32_e32 v12, s10
	s_xor_b64 exec, exec, s[6:7]
	s_cbranch_execnz .LBB3_2960
.LBB3_910:
	s_or_b64 exec, exec, s[6:7]
	s_and_saveexec_b64 s[6:7], s[4:5]
	s_cbranch_execz .LBB3_912
.LBB3_911:
	v_bfe_u32 v12, v2, 8, 3
	v_ffbh_u32_e32 v14, v12
	v_min_u32_e32 v14, 32, v14
	v_lshrrev_b16_e32 v13, 3, v11
	v_subrev_u32_e32 v15, 28, v14
	v_and_b32_e32 v13, 15, v13
	v_lshlrev_b32_e32 v11, v15, v11
	v_sub_u32_e32 v14, 29, v14
	v_and_b32_e32 v11, 7, v11
	v_cmp_eq_u16_e32 vcc, 0, v13
	v_cndmask_b32_e32 v11, v12, v11, vcc
	v_cndmask_b32_e32 v12, v13, v14, vcc
	v_lshlrev_b32_e32 v13, 16, v2
	v_mov_b32_e32 v14, 0x3b800000
	v_lshlrev_b32_e32 v11, 20, v11
	v_and_b32_e32 v13, 0x80000000, v13
	v_lshl_add_u32 v12, v12, 23, v14
	v_or3_b32 v12, v13, v12, v11
.LBB3_912:
	s_or_b64 exec, exec, s[6:7]
	s_nop 0
	v_mfma_f32_16x16x4f32 a[0:3], v10, v12, a[0:3]
	s_movk_i32 s4, 0xff
	v_and_b32_sdwa v11, v6, s4 dst_sel:DWORD dst_unused:UNUSED_PAD src0_sel:WORD_1 src1_sel:DWORD
	s_movk_i32 s4, 0x7f
	v_cmp_lt_i16_e32 vcc, s4, v11
	s_mov_b64 s[4:5], 0
                                        ; implicit-def: $sgpr10
	s_and_saveexec_b64 s[6:7], vcc
	s_xor_b64 s[6:7], exec, s[6:7]
	s_cbranch_execnz .LBB3_2961
; %bb.913:
	s_or_saveexec_b64 s[6:7], s[6:7]
	v_mov_b32_e32 v10, s10
	s_xor_b64 exec, exec, s[6:7]
	s_cbranch_execnz .LBB3_2964
.LBB3_914:
	s_or_b64 exec, exec, s[6:7]
	s_and_saveexec_b64 s[6:7], s[4:5]
	s_cbranch_execz .LBB3_916
.LBB3_915:
	v_bfe_u32 v10, v6, 16, 3
	v_ffbh_u32_e32 v13, v10
	v_min_u32_e32 v13, 32, v13
	v_lshrrev_b32_e32 v11, 19, v6
	v_subrev_u32_e32 v14, 28, v13
	v_and_b32_e32 v11, 15, v11
	v_lshlrev_b32_sdwa v14, v14, v6 dst_sel:DWORD dst_unused:UNUSED_PAD src0_sel:DWORD src1_sel:WORD_1
	v_bfe_u32 v12, v6, 19, 4
	v_sub_u32_e32 v13, 29, v13
	v_and_b32_e32 v14, 7, v14
	v_cmp_eq_u16_e32 vcc, 0, v11
	v_cndmask_b32_e32 v10, v10, v14, vcc
	v_cndmask_b32_e32 v11, v12, v13, vcc
	v_lshlrev_b32_e32 v12, 8, v6
	v_mov_b32_e32 v13, 0x3b800000
	v_lshlrev_b32_e32 v10, 20, v10
	v_and_b32_e32 v12, 0x80000000, v12
	v_lshl_add_u32 v11, v11, 23, v13
	v_or3_b32 v10, v12, v11, v10
.LBB3_916:
	s_or_b64 exec, exec, s[6:7]
	s_movk_i32 s4, 0xff
	v_and_b32_sdwa v11, v2, s4 dst_sel:DWORD dst_unused:UNUSED_PAD src0_sel:WORD_1 src1_sel:DWORD
	s_movk_i32 s4, 0x7f
	v_cmp_lt_i16_e32 vcc, s4, v11
	s_mov_b64 s[4:5], 0
                                        ; implicit-def: $sgpr10
	s_and_saveexec_b64 s[6:7], vcc
	s_xor_b64 s[6:7], exec, s[6:7]
	s_cbranch_execnz .LBB3_2965
; %bb.917:
	s_or_saveexec_b64 s[6:7], s[6:7]
	v_mov_b32_e32 v12, s10
	s_xor_b64 exec, exec, s[6:7]
	s_cbranch_execnz .LBB3_2968
.LBB3_918:
	s_or_b64 exec, exec, s[6:7]
	s_and_saveexec_b64 s[6:7], s[4:5]
	s_cbranch_execz .LBB3_920
.LBB3_919:
	v_bfe_u32 v11, v2, 16, 3
	v_ffbh_u32_e32 v14, v11
	v_min_u32_e32 v14, 32, v14
	v_lshrrev_b32_e32 v12, 19, v2
	v_subrev_u32_e32 v15, 28, v14
	v_and_b32_e32 v12, 15, v12
	v_lshlrev_b32_sdwa v15, v15, v2 dst_sel:DWORD dst_unused:UNUSED_PAD src0_sel:DWORD src1_sel:WORD_1
	v_bfe_u32 v13, v2, 19, 4
	v_sub_u32_e32 v14, 29, v14
	v_and_b32_e32 v15, 7, v15
	v_cmp_eq_u16_e32 vcc, 0, v12
	v_cndmask_b32_e32 v11, v11, v15, vcc
	v_cndmask_b32_e32 v12, v13, v14, vcc
	v_lshlrev_b32_e32 v13, 8, v2
	v_mov_b32_e32 v14, 0x3b800000
	v_lshlrev_b32_e32 v11, 20, v11
	v_and_b32_e32 v13, 0x80000000, v13
	v_lshl_add_u32 v12, v12, 23, v14
	v_or3_b32 v12, v13, v12, v11
.LBB3_920:
	s_or_b64 exec, exec, s[6:7]
	s_nop 0
	v_mfma_f32_16x16x4f32 a[0:3], v10, v12, a[0:3]
	s_movk_i32 s4, 0x7f
	v_cmp_gt_i16_sdwa s[6:7], v6, s4 src0_sel:BYTE_3 src1_sel:DWORD
	s_mov_b64 s[4:5], 0
                                        ; implicit-def: $sgpr10
	s_and_saveexec_b64 s[8:9], s[6:7]
	s_xor_b64 s[6:7], exec, s[8:9]
	s_cbranch_execnz .LBB3_2969
; %bb.921:
	s_or_saveexec_b64 s[6:7], s[6:7]
	v_mov_b32_e32 v10, s10
	s_xor_b64 exec, exec, s[6:7]
	s_cbranch_execnz .LBB3_2972
.LBB3_922:
	s_or_b64 exec, exec, s[6:7]
	s_and_saveexec_b64 s[6:7], s[4:5]
	s_cbranch_execz .LBB3_924
.LBB3_923:
	v_bfe_u32 v10, v6, 24, 3
	v_ffbh_u32_e32 v14, v10
	v_min_u32_e32 v14, 32, v14
	v_lshrrev_b32_e32 v12, 27, v6
	v_subrev_u32_e32 v15, 28, v14
	v_and_b32_e32 v11, 0x80000000, v6
	v_and_b32_e32 v12, 15, v12
	v_bfe_u32 v13, v6, 27, 4
	v_lshlrev_b32_sdwa v6, v15, v6 dst_sel:DWORD dst_unused:UNUSED_PAD src0_sel:DWORD src1_sel:BYTE_3
	v_sub_u32_e32 v14, 29, v14
	v_and_b32_e32 v6, 7, v6
	v_cmp_eq_u16_e32 vcc, 0, v12
	v_cndmask_b32_e32 v6, v10, v6, vcc
	v_cndmask_b32_e32 v10, v13, v14, vcc
	v_mov_b32_e32 v12, 0x3b800000
	v_lshlrev_b32_e32 v6, 20, v6
	v_lshl_add_u32 v10, v10, 23, v12
	v_or3_b32 v10, v11, v10, v6
.LBB3_924:
	s_or_b64 exec, exec, s[6:7]
	s_movk_i32 s4, 0x7f
	v_cmp_gt_i16_sdwa s[6:7], v2, s4 src0_sel:BYTE_3 src1_sel:DWORD
	s_mov_b64 s[4:5], 0
                                        ; implicit-def: $sgpr10
	s_and_saveexec_b64 s[8:9], s[6:7]
	s_xor_b64 s[6:7], exec, s[8:9]
	s_cbranch_execnz .LBB3_2973
; %bb.925:
	s_or_saveexec_b64 s[6:7], s[6:7]
	v_mov_b32_e32 v6, s10
	s_xor_b64 exec, exec, s[6:7]
	s_cbranch_execnz .LBB3_2976
.LBB3_926:
	s_or_b64 exec, exec, s[6:7]
	s_and_saveexec_b64 s[6:7], s[4:5]
	s_cbranch_execz .LBB3_928
.LBB3_927:
	v_bfe_u32 v6, v2, 24, 3
	v_ffbh_u32_e32 v14, v6
	v_min_u32_e32 v14, 32, v14
	v_lshrrev_b32_e32 v12, 27, v2
	v_subrev_u32_e32 v15, 28, v14
	v_and_b32_e32 v11, 0x80000000, v2
	v_and_b32_e32 v12, 15, v12
	v_bfe_u32 v13, v2, 27, 4
	v_lshlrev_b32_sdwa v2, v15, v2 dst_sel:DWORD dst_unused:UNUSED_PAD src0_sel:DWORD src1_sel:BYTE_3
	v_sub_u32_e32 v14, 29, v14
	v_and_b32_e32 v2, 7, v2
	v_cmp_eq_u16_e32 vcc, 0, v12
	v_cndmask_b32_e32 v2, v6, v2, vcc
	v_cndmask_b32_e32 v6, v13, v14, vcc
	v_mov_b32_e32 v12, 0x3b800000
	v_lshlrev_b32_e32 v2, 20, v2
	v_lshl_add_u32 v6, v6, 23, v12
	v_or3_b32 v6, v11, v6, v2
.LBB3_928:
	s_or_b64 exec, exec, s[6:7]
	s_nop 0
	v_mfma_f32_16x16x4f32 a[0:3], v10, v6, a[0:3]
	s_movk_i32 s4, 0x7f
	v_cmp_gt_i16_sdwa s[6:7], v7, s4 src0_sel:BYTE_0 src1_sel:DWORD
	s_mov_b64 s[4:5], 0
                                        ; implicit-def: $sgpr10
	s_and_saveexec_b64 s[8:9], s[6:7]
	s_xor_b64 s[6:7], exec, s[8:9]
	s_cbranch_execnz .LBB3_2977
; %bb.929:
	s_or_saveexec_b64 s[6:7], s[6:7]
	v_mov_b32_e32 v2, s10
	s_xor_b64 exec, exec, s[6:7]
	s_cbranch_execnz .LBB3_2980
.LBB3_930:
	s_or_b64 exec, exec, s[6:7]
	s_and_saveexec_b64 s[6:7], s[4:5]
	s_cbranch_execz .LBB3_932
.LBB3_931:
	v_and_b32_e32 v2, 7, v7
	v_ffbh_u32_e32 v10, v2
	v_min_u32_e32 v10, 32, v10
	v_lshrrev_b16_e32 v6, 3, v7
	v_subrev_u32_e32 v11, 28, v10
	v_and_b32_e32 v6, 15, v6
	v_lshlrev_b32_e32 v11, v11, v7
	v_sub_u32_e32 v10, 29, v10
	v_and_b32_e32 v11, 7, v11
	v_cmp_eq_u16_e32 vcc, 0, v6
	v_cndmask_b32_e32 v2, v2, v11, vcc
	v_cndmask_b32_e32 v6, v6, v10, vcc
	v_lshlrev_b32_e32 v10, 24, v7
	v_mov_b32_e32 v11, 0x3b800000
	v_lshlrev_b32_e32 v2, 20, v2
	v_and_b32_e32 v10, 0x80000000, v10
	v_lshl_add_u32 v6, v6, 23, v11
	v_or3_b32 v2, v10, v6, v2
.LBB3_932:
	s_or_b64 exec, exec, s[6:7]
	s_movk_i32 s4, 0x7f
	v_cmp_gt_i16_sdwa s[6:7], v3, s4 src0_sel:BYTE_0 src1_sel:DWORD
	s_mov_b64 s[4:5], 0
                                        ; implicit-def: $sgpr10
	s_and_saveexec_b64 s[8:9], s[6:7]
	s_xor_b64 s[6:7], exec, s[8:9]
	s_cbranch_execnz .LBB3_2981
; %bb.933:
	s_or_saveexec_b64 s[6:7], s[6:7]
	v_mov_b32_e32 v6, s10
	s_xor_b64 exec, exec, s[6:7]
	s_cbranch_execnz .LBB3_2984
.LBB3_934:
	s_or_b64 exec, exec, s[6:7]
	s_and_saveexec_b64 s[6:7], s[4:5]
	s_cbranch_execz .LBB3_936
.LBB3_935:
	v_and_b32_e32 v6, 7, v3
	v_ffbh_u32_e32 v11, v6
	v_min_u32_e32 v11, 32, v11
	v_lshrrev_b16_e32 v10, 3, v3
	v_subrev_u32_e32 v12, 28, v11
	v_and_b32_e32 v10, 15, v10
	v_lshlrev_b32_e32 v12, v12, v3
	v_sub_u32_e32 v11, 29, v11
	v_and_b32_e32 v12, 7, v12
	v_cmp_eq_u16_e32 vcc, 0, v10
	v_cndmask_b32_e32 v6, v6, v12, vcc
	v_cndmask_b32_e32 v10, v10, v11, vcc
	v_lshlrev_b32_e32 v11, 24, v3
	v_mov_b32_e32 v12, 0x3b800000
	v_lshlrev_b32_e32 v6, 20, v6
	v_and_b32_e32 v11, 0x80000000, v11
	v_lshl_add_u32 v10, v10, 23, v12
	v_or3_b32 v6, v11, v10, v6
.LBB3_936:
	s_or_b64 exec, exec, s[6:7]
	s_nop 0
	v_mfma_f32_16x16x4f32 a[0:3], v2, v6, a[0:3]
	v_lshrrev_b32_e32 v6, 8, v7
	s_movk_i32 s4, 0x7f
	v_cmp_gt_i16_sdwa s[6:7], v6, s4 src0_sel:BYTE_0 src1_sel:DWORD
	s_mov_b64 s[4:5], 0
                                        ; implicit-def: $sgpr10
	s_and_saveexec_b64 s[8:9], s[6:7]
	s_xor_b64 s[6:7], exec, s[8:9]
	s_cbranch_execnz .LBB3_2985
; %bb.937:
	s_or_saveexec_b64 s[6:7], s[6:7]
	v_mov_b32_e32 v2, s10
	s_xor_b64 exec, exec, s[6:7]
	s_cbranch_execnz .LBB3_2988
.LBB3_938:
	s_or_b64 exec, exec, s[6:7]
	s_and_saveexec_b64 s[6:7], s[4:5]
	s_cbranch_execz .LBB3_940
.LBB3_939:
	v_bfe_u32 v2, v7, 8, 3
	v_ffbh_u32_e32 v11, v2
	v_min_u32_e32 v11, 32, v11
	v_lshrrev_b16_e32 v10, 3, v6
	v_subrev_u32_e32 v12, 28, v11
	v_and_b32_e32 v10, 15, v10
	v_lshlrev_b32_e32 v6, v12, v6
	v_sub_u32_e32 v11, 29, v11
	v_and_b32_e32 v6, 7, v6
	v_cmp_eq_u16_e32 vcc, 0, v10
	v_cndmask_b32_e32 v2, v2, v6, vcc
	v_cndmask_b32_e32 v6, v10, v11, vcc
	v_lshlrev_b32_e32 v10, 16, v7
	v_mov_b32_e32 v11, 0x3b800000
	v_lshlrev_b32_e32 v2, 20, v2
	v_and_b32_e32 v10, 0x80000000, v10
	v_lshl_add_u32 v6, v6, 23, v11
	v_or3_b32 v2, v10, v6, v2
.LBB3_940:
	s_or_b64 exec, exec, s[6:7]
	v_lshrrev_b32_e32 v6, 8, v3
	s_movk_i32 s4, 0x7f
	v_cmp_gt_i16_sdwa s[6:7], v6, s4 src0_sel:BYTE_0 src1_sel:DWORD
	s_mov_b64 s[4:5], 0
                                        ; implicit-def: $sgpr10
	s_and_saveexec_b64 s[8:9], s[6:7]
	s_xor_b64 s[6:7], exec, s[8:9]
	s_cbranch_execnz .LBB3_2989
; %bb.941:
	s_or_saveexec_b64 s[6:7], s[6:7]
	v_mov_b32_e32 v10, s10
	s_xor_b64 exec, exec, s[6:7]
	s_cbranch_execnz .LBB3_2992
.LBB3_942:
	s_or_b64 exec, exec, s[6:7]
	s_and_saveexec_b64 s[6:7], s[4:5]
	s_cbranch_execz .LBB3_944
.LBB3_943:
	v_bfe_u32 v10, v3, 8, 3
	v_ffbh_u32_e32 v12, v10
	v_min_u32_e32 v12, 32, v12
	v_lshrrev_b16_e32 v11, 3, v6
	v_subrev_u32_e32 v13, 28, v12
	v_and_b32_e32 v11, 15, v11
	v_lshlrev_b32_e32 v6, v13, v6
	v_sub_u32_e32 v12, 29, v12
	v_and_b32_e32 v6, 7, v6
	v_cmp_eq_u16_e32 vcc, 0, v11
	v_cndmask_b32_e32 v6, v10, v6, vcc
	v_cndmask_b32_e32 v10, v11, v12, vcc
	v_lshlrev_b32_e32 v11, 16, v3
	v_mov_b32_e32 v12, 0x3b800000
	v_lshlrev_b32_e32 v6, 20, v6
	v_and_b32_e32 v11, 0x80000000, v11
	v_lshl_add_u32 v10, v10, 23, v12
	v_or3_b32 v10, v11, v10, v6
.LBB3_944:
	s_or_b64 exec, exec, s[6:7]
	s_nop 0
	v_mfma_f32_16x16x4f32 a[0:3], v2, v10, a[0:3]
	s_movk_i32 s4, 0xff
	v_and_b32_sdwa v6, v7, s4 dst_sel:DWORD dst_unused:UNUSED_PAD src0_sel:WORD_1 src1_sel:DWORD
	s_movk_i32 s4, 0x7f
	v_cmp_lt_i16_e32 vcc, s4, v6
	s_mov_b64 s[4:5], 0
                                        ; implicit-def: $sgpr10
	s_and_saveexec_b64 s[6:7], vcc
	s_xor_b64 s[6:7], exec, s[6:7]
	s_cbranch_execnz .LBB3_2993
; %bb.945:
	s_or_saveexec_b64 s[6:7], s[6:7]
	v_mov_b32_e32 v2, s10
	s_xor_b64 exec, exec, s[6:7]
	s_cbranch_execnz .LBB3_2996
.LBB3_946:
	s_or_b64 exec, exec, s[6:7]
	s_and_saveexec_b64 s[6:7], s[4:5]
	s_cbranch_execz .LBB3_948
.LBB3_947:
	v_bfe_u32 v2, v7, 16, 3
	v_ffbh_u32_e32 v11, v2
	v_min_u32_e32 v11, 32, v11
	v_lshrrev_b32_e32 v6, 19, v7
	v_subrev_u32_e32 v12, 28, v11
	v_and_b32_e32 v6, 15, v6
	v_lshlrev_b32_sdwa v12, v12, v7 dst_sel:DWORD dst_unused:UNUSED_PAD src0_sel:DWORD src1_sel:WORD_1
	v_bfe_u32 v10, v7, 19, 4
	v_sub_u32_e32 v11, 29, v11
	v_and_b32_e32 v12, 7, v12
	v_cmp_eq_u16_e32 vcc, 0, v6
	v_cndmask_b32_e32 v2, v2, v12, vcc
	v_cndmask_b32_e32 v6, v10, v11, vcc
	v_lshlrev_b32_e32 v10, 8, v7
	v_mov_b32_e32 v11, 0x3b800000
	v_lshlrev_b32_e32 v2, 20, v2
	v_and_b32_e32 v10, 0x80000000, v10
	v_lshl_add_u32 v6, v6, 23, v11
	v_or3_b32 v2, v10, v6, v2
.LBB3_948:
	s_or_b64 exec, exec, s[6:7]
	s_movk_i32 s4, 0xff
	v_and_b32_sdwa v6, v3, s4 dst_sel:DWORD dst_unused:UNUSED_PAD src0_sel:WORD_1 src1_sel:DWORD
	s_movk_i32 s4, 0x7f
	v_cmp_lt_i16_e32 vcc, s4, v6
	s_mov_b64 s[4:5], 0
                                        ; implicit-def: $sgpr10
	s_and_saveexec_b64 s[6:7], vcc
	s_xor_b64 s[6:7], exec, s[6:7]
	s_cbranch_execnz .LBB3_2997
; %bb.949:
	s_or_saveexec_b64 s[6:7], s[6:7]
	v_mov_b32_e32 v10, s10
	s_xor_b64 exec, exec, s[6:7]
	s_cbranch_execnz .LBB3_3000
.LBB3_950:
	s_or_b64 exec, exec, s[6:7]
	s_and_saveexec_b64 s[6:7], s[4:5]
	s_cbranch_execz .LBB3_952
.LBB3_951:
	v_bfe_u32 v6, v3, 16, 3
	v_ffbh_u32_e32 v12, v6
	v_min_u32_e32 v12, 32, v12
	v_lshrrev_b32_e32 v10, 19, v3
	v_subrev_u32_e32 v13, 28, v12
	v_and_b32_e32 v10, 15, v10
	v_lshlrev_b32_sdwa v13, v13, v3 dst_sel:DWORD dst_unused:UNUSED_PAD src0_sel:DWORD src1_sel:WORD_1
	v_bfe_u32 v11, v3, 19, 4
	v_sub_u32_e32 v12, 29, v12
	v_and_b32_e32 v13, 7, v13
	v_cmp_eq_u16_e32 vcc, 0, v10
	v_cndmask_b32_e32 v6, v6, v13, vcc
	v_cndmask_b32_e32 v10, v11, v12, vcc
	v_lshlrev_b32_e32 v11, 8, v3
	v_mov_b32_e32 v12, 0x3b800000
	v_lshlrev_b32_e32 v6, 20, v6
	v_and_b32_e32 v11, 0x80000000, v11
	v_lshl_add_u32 v10, v10, 23, v12
	v_or3_b32 v10, v11, v10, v6
.LBB3_952:
	s_or_b64 exec, exec, s[6:7]
	s_nop 0
	v_mfma_f32_16x16x4f32 a[0:3], v2, v10, a[0:3]
	s_movk_i32 s4, 0x7f
	v_cmp_gt_i16_sdwa s[6:7], v7, s4 src0_sel:BYTE_3 src1_sel:DWORD
	s_mov_b64 s[4:5], 0
                                        ; implicit-def: $sgpr10
	s_and_saveexec_b64 s[8:9], s[6:7]
	s_xor_b64 s[6:7], exec, s[8:9]
	s_cbranch_execnz .LBB3_3001
; %bb.953:
	s_or_saveexec_b64 s[6:7], s[6:7]
	v_mov_b32_e32 v2, s10
	s_xor_b64 exec, exec, s[6:7]
	s_cbranch_execnz .LBB3_3004
.LBB3_954:
	s_or_b64 exec, exec, s[6:7]
	s_and_saveexec_b64 s[6:7], s[4:5]
	s_cbranch_execz .LBB3_956
.LBB3_955:
	v_bfe_u32 v2, v7, 24, 3
	v_ffbh_u32_e32 v12, v2
	v_min_u32_e32 v12, 32, v12
	v_lshrrev_b32_e32 v10, 27, v7
	v_subrev_u32_e32 v13, 28, v12
	v_and_b32_e32 v6, 0x80000000, v7
	v_and_b32_e32 v10, 15, v10
	v_bfe_u32 v11, v7, 27, 4
	v_lshlrev_b32_sdwa v7, v13, v7 dst_sel:DWORD dst_unused:UNUSED_PAD src0_sel:DWORD src1_sel:BYTE_3
	v_sub_u32_e32 v12, 29, v12
	v_and_b32_e32 v7, 7, v7
	v_cmp_eq_u16_e32 vcc, 0, v10
	v_cndmask_b32_e32 v2, v2, v7, vcc
	v_cndmask_b32_e32 v7, v11, v12, vcc
	v_mov_b32_e32 v10, 0x3b800000
	v_lshlrev_b32_e32 v2, 20, v2
	v_lshl_add_u32 v7, v7, 23, v10
	v_or3_b32 v2, v6, v7, v2
.LBB3_956:
	s_or_b64 exec, exec, s[6:7]
	s_movk_i32 s4, 0x7f
	v_cmp_gt_i16_sdwa s[6:7], v3, s4 src0_sel:BYTE_3 src1_sel:DWORD
	s_mov_b64 s[4:5], 0
                                        ; implicit-def: $sgpr10
	s_and_saveexec_b64 s[8:9], s[6:7]
	s_xor_b64 s[6:7], exec, s[8:9]
	s_cbranch_execnz .LBB3_3005
; %bb.957:
	s_or_saveexec_b64 s[6:7], s[6:7]
	v_mov_b32_e32 v6, s10
	s_xor_b64 exec, exec, s[6:7]
	s_cbranch_execnz .LBB3_3008
.LBB3_958:
	s_or_b64 exec, exec, s[6:7]
	s_and_saveexec_b64 s[6:7], s[4:5]
	s_cbranch_execz .LBB3_960
.LBB3_959:
	v_bfe_u32 v6, v3, 24, 3
	v_ffbh_u32_e32 v12, v6
	v_min_u32_e32 v12, 32, v12
	v_lshrrev_b32_e32 v10, 27, v3
	v_subrev_u32_e32 v13, 28, v12
	v_and_b32_e32 v7, 0x80000000, v3
	v_and_b32_e32 v10, 15, v10
	v_bfe_u32 v11, v3, 27, 4
	v_lshlrev_b32_sdwa v3, v13, v3 dst_sel:DWORD dst_unused:UNUSED_PAD src0_sel:DWORD src1_sel:BYTE_3
	v_sub_u32_e32 v12, 29, v12
	v_and_b32_e32 v3, 7, v3
	v_cmp_eq_u16_e32 vcc, 0, v10
	v_cndmask_b32_e32 v3, v6, v3, vcc
	v_cndmask_b32_e32 v6, v11, v12, vcc
	v_mov_b32_e32 v10, 0x3b800000
	v_lshlrev_b32_e32 v3, 20, v3
	v_lshl_add_u32 v6, v6, 23, v10
	v_or3_b32 v6, v7, v6, v3
.LBB3_960:
	s_or_b64 exec, exec, s[6:7]
	s_nop 0
	v_mfma_f32_16x16x4f32 a[0:3], v2, v6, a[0:3]
	s_movk_i32 s4, 0x7f
	v_cmp_gt_i16_sdwa s[6:7], v8, s4 src0_sel:BYTE_0 src1_sel:DWORD
	s_mov_b64 s[4:5], 0
                                        ; implicit-def: $sgpr10
	s_and_saveexec_b64 s[8:9], s[6:7]
	s_xor_b64 s[6:7], exec, s[8:9]
	s_cbranch_execnz .LBB3_3009
; %bb.961:
	s_or_saveexec_b64 s[6:7], s[6:7]
	v_mov_b32_e32 v2, s10
	s_xor_b64 exec, exec, s[6:7]
	s_cbranch_execnz .LBB3_3012
.LBB3_962:
	s_or_b64 exec, exec, s[6:7]
	s_and_saveexec_b64 s[6:7], s[4:5]
	s_cbranch_execz .LBB3_964
.LBB3_963:
	v_and_b32_e32 v2, 7, v8
	v_ffbh_u32_e32 v6, v2
	v_min_u32_e32 v6, 32, v6
	v_lshrrev_b16_e32 v3, 3, v8
	v_subrev_u32_e32 v7, 28, v6
	v_and_b32_e32 v3, 15, v3
	v_lshlrev_b32_e32 v7, v7, v8
	v_sub_u32_e32 v6, 29, v6
	v_and_b32_e32 v7, 7, v7
	v_cmp_eq_u16_e32 vcc, 0, v3
	v_cndmask_b32_e32 v2, v2, v7, vcc
	v_cndmask_b32_e32 v3, v3, v6, vcc
	v_lshlrev_b32_e32 v6, 24, v8
	v_mov_b32_e32 v7, 0x3b800000
	v_lshlrev_b32_e32 v2, 20, v2
	v_and_b32_e32 v6, 0x80000000, v6
	v_lshl_add_u32 v3, v3, 23, v7
	v_or3_b32 v2, v6, v3, v2
.LBB3_964:
	s_or_b64 exec, exec, s[6:7]
	s_movk_i32 s4, 0x7f
	v_cmp_gt_i16_sdwa s[6:7], v4, s4 src0_sel:BYTE_0 src1_sel:DWORD
	s_mov_b64 s[4:5], 0
                                        ; implicit-def: $sgpr10
	s_and_saveexec_b64 s[8:9], s[6:7]
	s_xor_b64 s[6:7], exec, s[8:9]
	s_cbranch_execnz .LBB3_3013
; %bb.965:
	s_or_saveexec_b64 s[6:7], s[6:7]
	v_mov_b32_e32 v3, s10
	s_xor_b64 exec, exec, s[6:7]
	s_cbranch_execnz .LBB3_3016
.LBB3_966:
	s_or_b64 exec, exec, s[6:7]
	s_and_saveexec_b64 s[6:7], s[4:5]
	s_cbranch_execz .LBB3_968
.LBB3_967:
	v_and_b32_e32 v3, 7, v4
	v_ffbh_u32_e32 v7, v3
	v_min_u32_e32 v7, 32, v7
	v_lshrrev_b16_e32 v6, 3, v4
	v_subrev_u32_e32 v10, 28, v7
	v_and_b32_e32 v6, 15, v6
	v_lshlrev_b32_e32 v10, v10, v4
	v_sub_u32_e32 v7, 29, v7
	v_and_b32_e32 v10, 7, v10
	v_cmp_eq_u16_e32 vcc, 0, v6
	v_cndmask_b32_e32 v3, v3, v10, vcc
	v_cndmask_b32_e32 v6, v6, v7, vcc
	v_lshlrev_b32_e32 v7, 24, v4
	v_mov_b32_e32 v10, 0x3b800000
	v_lshlrev_b32_e32 v3, 20, v3
	v_and_b32_e32 v7, 0x80000000, v7
	v_lshl_add_u32 v6, v6, 23, v10
	v_or3_b32 v3, v7, v6, v3
.LBB3_968:
	s_or_b64 exec, exec, s[6:7]
	s_nop 0
	v_mfma_f32_16x16x4f32 a[0:3], v2, v3, a[0:3]
	v_lshrrev_b32_e32 v3, 8, v8
	s_movk_i32 s4, 0x7f
	v_cmp_gt_i16_sdwa s[6:7], v3, s4 src0_sel:BYTE_0 src1_sel:DWORD
	s_mov_b64 s[4:5], 0
                                        ; implicit-def: $sgpr10
	s_and_saveexec_b64 s[8:9], s[6:7]
	s_xor_b64 s[6:7], exec, s[8:9]
	s_cbranch_execnz .LBB3_3017
; %bb.969:
	s_or_saveexec_b64 s[6:7], s[6:7]
	v_mov_b32_e32 v2, s10
	s_xor_b64 exec, exec, s[6:7]
	s_cbranch_execnz .LBB3_3020
.LBB3_970:
	s_or_b64 exec, exec, s[6:7]
	s_and_saveexec_b64 s[6:7], s[4:5]
	s_cbranch_execz .LBB3_972
.LBB3_971:
	v_bfe_u32 v2, v8, 8, 3
	v_ffbh_u32_e32 v7, v2
	v_min_u32_e32 v7, 32, v7
	v_lshrrev_b16_e32 v6, 3, v3
	v_subrev_u32_e32 v10, 28, v7
	v_and_b32_e32 v6, 15, v6
	v_lshlrev_b32_e32 v3, v10, v3
	v_sub_u32_e32 v7, 29, v7
	v_and_b32_e32 v3, 7, v3
	v_cmp_eq_u16_e32 vcc, 0, v6
	v_cndmask_b32_e32 v2, v2, v3, vcc
	v_cndmask_b32_e32 v3, v6, v7, vcc
	v_lshlrev_b32_e32 v6, 16, v8
	v_mov_b32_e32 v7, 0x3b800000
	v_lshlrev_b32_e32 v2, 20, v2
	v_and_b32_e32 v6, 0x80000000, v6
	v_lshl_add_u32 v3, v3, 23, v7
	v_or3_b32 v2, v6, v3, v2
.LBB3_972:
	s_or_b64 exec, exec, s[6:7]
	v_lshrrev_b32_e32 v3, 8, v4
	s_movk_i32 s4, 0x7f
	v_cmp_gt_i16_sdwa s[6:7], v3, s4 src0_sel:BYTE_0 src1_sel:DWORD
	s_mov_b64 s[4:5], 0
                                        ; implicit-def: $sgpr10
	s_and_saveexec_b64 s[8:9], s[6:7]
	s_xor_b64 s[6:7], exec, s[8:9]
	s_cbranch_execnz .LBB3_3021
; %bb.973:
	s_or_saveexec_b64 s[6:7], s[6:7]
	v_mov_b32_e32 v6, s10
	s_xor_b64 exec, exec, s[6:7]
	s_cbranch_execnz .LBB3_3024
.LBB3_974:
	s_or_b64 exec, exec, s[6:7]
	s_and_saveexec_b64 s[6:7], s[4:5]
	s_cbranch_execz .LBB3_976
.LBB3_975:
	v_bfe_u32 v6, v4, 8, 3
	v_ffbh_u32_e32 v10, v6
	v_min_u32_e32 v10, 32, v10
	v_lshrrev_b16_e32 v7, 3, v3
	v_subrev_u32_e32 v11, 28, v10
	v_and_b32_e32 v7, 15, v7
	v_lshlrev_b32_e32 v3, v11, v3
	v_sub_u32_e32 v10, 29, v10
	v_and_b32_e32 v3, 7, v3
	v_cmp_eq_u16_e32 vcc, 0, v7
	v_cndmask_b32_e32 v3, v6, v3, vcc
	v_cndmask_b32_e32 v6, v7, v10, vcc
	v_lshlrev_b32_e32 v7, 16, v4
	v_mov_b32_e32 v10, 0x3b800000
	v_lshlrev_b32_e32 v3, 20, v3
	v_and_b32_e32 v7, 0x80000000, v7
	v_lshl_add_u32 v6, v6, 23, v10
	v_or3_b32 v6, v7, v6, v3
.LBB3_976:
	s_or_b64 exec, exec, s[6:7]
	s_nop 0
	v_mfma_f32_16x16x4f32 a[0:3], v2, v6, a[0:3]
	s_movk_i32 s4, 0xff
	v_and_b32_sdwa v3, v8, s4 dst_sel:DWORD dst_unused:UNUSED_PAD src0_sel:WORD_1 src1_sel:DWORD
	s_movk_i32 s4, 0x7f
	v_cmp_lt_i16_e32 vcc, s4, v3
	s_mov_b64 s[4:5], 0
                                        ; implicit-def: $sgpr10
	s_and_saveexec_b64 s[6:7], vcc
	s_xor_b64 s[6:7], exec, s[6:7]
	s_cbranch_execnz .LBB3_3025
; %bb.977:
	s_or_saveexec_b64 s[6:7], s[6:7]
	v_mov_b32_e32 v2, s10
	s_xor_b64 exec, exec, s[6:7]
	s_cbranch_execnz .LBB3_3028
.LBB3_978:
	s_or_b64 exec, exec, s[6:7]
	s_and_saveexec_b64 s[6:7], s[4:5]
	s_cbranch_execz .LBB3_980
.LBB3_979:
	v_bfe_u32 v2, v8, 16, 3
	v_ffbh_u32_e32 v7, v2
	v_min_u32_e32 v7, 32, v7
	v_lshrrev_b32_e32 v3, 19, v8
	v_subrev_u32_e32 v10, 28, v7
	v_and_b32_e32 v3, 15, v3
	v_lshlrev_b32_sdwa v10, v10, v8 dst_sel:DWORD dst_unused:UNUSED_PAD src0_sel:DWORD src1_sel:WORD_1
	v_bfe_u32 v6, v8, 19, 4
	v_sub_u32_e32 v7, 29, v7
	v_and_b32_e32 v10, 7, v10
	v_cmp_eq_u16_e32 vcc, 0, v3
	v_cndmask_b32_e32 v2, v2, v10, vcc
	v_cndmask_b32_e32 v3, v6, v7, vcc
	v_lshlrev_b32_e32 v6, 8, v8
	v_mov_b32_e32 v7, 0x3b800000
	v_lshlrev_b32_e32 v2, 20, v2
	v_and_b32_e32 v6, 0x80000000, v6
	v_lshl_add_u32 v3, v3, 23, v7
	v_or3_b32 v2, v6, v3, v2
.LBB3_980:
	s_or_b64 exec, exec, s[6:7]
	s_movk_i32 s4, 0xff
	v_and_b32_sdwa v3, v4, s4 dst_sel:DWORD dst_unused:UNUSED_PAD src0_sel:WORD_1 src1_sel:DWORD
	s_movk_i32 s4, 0x7f
	v_cmp_lt_i16_e32 vcc, s4, v3
	s_mov_b64 s[4:5], 0
                                        ; implicit-def: $sgpr10
	s_and_saveexec_b64 s[6:7], vcc
	s_xor_b64 s[6:7], exec, s[6:7]
	s_cbranch_execnz .LBB3_3029
; %bb.981:
	s_or_saveexec_b64 s[6:7], s[6:7]
	v_mov_b32_e32 v6, s10
	s_xor_b64 exec, exec, s[6:7]
	s_cbranch_execnz .LBB3_3032
.LBB3_982:
	s_or_b64 exec, exec, s[6:7]
	s_and_saveexec_b64 s[6:7], s[4:5]
	s_cbranch_execz .LBB3_984
.LBB3_983:
	v_bfe_u32 v3, v4, 16, 3
	v_ffbh_u32_e32 v10, v3
	v_min_u32_e32 v10, 32, v10
	v_lshrrev_b32_e32 v6, 19, v4
	v_subrev_u32_e32 v11, 28, v10
	v_and_b32_e32 v6, 15, v6
	v_lshlrev_b32_sdwa v11, v11, v4 dst_sel:DWORD dst_unused:UNUSED_PAD src0_sel:DWORD src1_sel:WORD_1
	v_bfe_u32 v7, v4, 19, 4
	v_sub_u32_e32 v10, 29, v10
	v_and_b32_e32 v11, 7, v11
	v_cmp_eq_u16_e32 vcc, 0, v6
	v_cndmask_b32_e32 v3, v3, v11, vcc
	v_cndmask_b32_e32 v6, v7, v10, vcc
	v_lshlrev_b32_e32 v7, 8, v4
	v_mov_b32_e32 v10, 0x3b800000
	v_lshlrev_b32_e32 v3, 20, v3
	v_and_b32_e32 v7, 0x80000000, v7
	v_lshl_add_u32 v6, v6, 23, v10
	v_or3_b32 v6, v7, v6, v3
.LBB3_984:
	s_or_b64 exec, exec, s[6:7]
	s_nop 0
	v_mfma_f32_16x16x4f32 a[0:3], v2, v6, a[0:3]
	s_movk_i32 s4, 0x7f
	v_cmp_gt_i16_sdwa s[6:7], v8, s4 src0_sel:BYTE_3 src1_sel:DWORD
	s_mov_b64 s[4:5], 0
                                        ; implicit-def: $sgpr10
	s_and_saveexec_b64 s[8:9], s[6:7]
	s_xor_b64 s[6:7], exec, s[8:9]
	s_cbranch_execnz .LBB3_3033
; %bb.985:
	s_or_saveexec_b64 s[6:7], s[6:7]
	v_mov_b32_e32 v2, s10
	s_xor_b64 exec, exec, s[6:7]
	s_cbranch_execnz .LBB3_3036
.LBB3_986:
	s_or_b64 exec, exec, s[6:7]
	s_and_saveexec_b64 s[6:7], s[4:5]
	s_cbranch_execz .LBB3_988
.LBB3_987:
	v_bfe_u32 v2, v8, 24, 3
	v_ffbh_u32_e32 v10, v2
	v_min_u32_e32 v10, 32, v10
	v_lshrrev_b32_e32 v6, 27, v8
	v_subrev_u32_e32 v11, 28, v10
	v_and_b32_e32 v3, 0x80000000, v8
	v_and_b32_e32 v6, 15, v6
	v_bfe_u32 v7, v8, 27, 4
	v_lshlrev_b32_sdwa v8, v11, v8 dst_sel:DWORD dst_unused:UNUSED_PAD src0_sel:DWORD src1_sel:BYTE_3
	v_sub_u32_e32 v10, 29, v10
	v_and_b32_e32 v8, 7, v8
	v_cmp_eq_u16_e32 vcc, 0, v6
	v_cndmask_b32_e32 v2, v2, v8, vcc
	v_cndmask_b32_e32 v6, v7, v10, vcc
	v_mov_b32_e32 v7, 0x3b800000
	v_lshlrev_b32_e32 v2, 20, v2
	v_lshl_add_u32 v6, v6, 23, v7
	v_or3_b32 v2, v3, v6, v2
.LBB3_988:
	s_or_b64 exec, exec, s[6:7]
	s_movk_i32 s4, 0x7f
	v_cmp_gt_i16_sdwa s[6:7], v4, s4 src0_sel:BYTE_3 src1_sel:DWORD
	s_mov_b64 s[4:5], 0
                                        ; implicit-def: $sgpr10
	s_and_saveexec_b64 s[8:9], s[6:7]
	s_xor_b64 s[6:7], exec, s[8:9]
	s_cbranch_execnz .LBB3_3037
; %bb.989:
	s_or_saveexec_b64 s[6:7], s[6:7]
	v_mov_b32_e32 v3, s10
	s_xor_b64 exec, exec, s[6:7]
	s_cbranch_execnz .LBB3_3040
.LBB3_990:
	s_or_b64 exec, exec, s[6:7]
	s_and_saveexec_b64 s[6:7], s[4:5]
	s_cbranch_execz .LBB3_992
.LBB3_991:
	v_bfe_u32 v3, v4, 24, 3
	v_ffbh_u32_e32 v10, v3
	v_min_u32_e32 v10, 32, v10
	v_lshrrev_b32_e32 v7, 27, v4
	v_subrev_u32_e32 v11, 28, v10
	v_and_b32_e32 v6, 0x80000000, v4
	v_and_b32_e32 v7, 15, v7
	v_bfe_u32 v8, v4, 27, 4
	v_lshlrev_b32_sdwa v4, v11, v4 dst_sel:DWORD dst_unused:UNUSED_PAD src0_sel:DWORD src1_sel:BYTE_3
	v_sub_u32_e32 v10, 29, v10
	v_and_b32_e32 v4, 7, v4
	v_cmp_eq_u16_e32 vcc, 0, v7
	v_cndmask_b32_e32 v3, v3, v4, vcc
	v_cndmask_b32_e32 v4, v8, v10, vcc
	v_mov_b32_e32 v7, 0x3b800000
	v_lshlrev_b32_e32 v3, 20, v3
	v_lshl_add_u32 v4, v4, 23, v7
	v_or3_b32 v3, v6, v4, v3
.LBB3_992:
	s_or_b64 exec, exec, s[6:7]
	s_nop 0
	v_mfma_f32_16x16x4f32 a[0:3], v2, v3, a[0:3]
	s_movk_i32 s4, 0x7f
	v_cmp_gt_i16_sdwa s[6:7], v9, s4 src0_sel:BYTE_0 src1_sel:DWORD
	s_mov_b64 s[4:5], 0
                                        ; implicit-def: $sgpr10
	s_and_saveexec_b64 s[8:9], s[6:7]
	s_xor_b64 s[6:7], exec, s[8:9]
	s_cbranch_execnz .LBB3_3041
; %bb.993:
	s_or_saveexec_b64 s[6:7], s[6:7]
	v_mov_b32_e32 v2, s10
	s_xor_b64 exec, exec, s[6:7]
	s_cbranch_execnz .LBB3_3044
.LBB3_994:
	s_or_b64 exec, exec, s[6:7]
	s_and_saveexec_b64 s[6:7], s[4:5]
	s_cbranch_execz .LBB3_996
.LBB3_995:
	v_mov_b32_e32 v2, 8
	v_and_b32_e32 v3, 7, v9
	v_lshrrev_b32_sdwa v2, v2, v9 dst_sel:BYTE_1 dst_unused:UNUSED_PAD src0_sel:DWORD src1_sel:DWORD
	v_ffbh_u32_e32 v4, v3
	v_or_b32_sdwa v2, v9, v2 dst_sel:DWORD dst_unused:UNUSED_PAD src0_sel:BYTE_0 src1_sel:DWORD
	v_min_u32_e32 v4, 32, v4
	v_lshrrev_b16_e32 v2, 3, v2
	v_subrev_u32_e32 v6, 28, v4
	v_and_b32_e32 v2, 15, v2
	v_lshlrev_b32_e32 v6, v6, v9
	v_sub_u32_e32 v4, 29, v4
	v_and_b32_e32 v6, 7, v6
	v_cmp_eq_u16_e32 vcc, 0, v2
	v_cndmask_b32_e32 v3, v3, v6, vcc
	v_cndmask_b32_e32 v2, v2, v4, vcc
	v_lshlrev_b32_e32 v4, 24, v9
	v_mov_b32_e32 v6, 0x3b800000
	v_lshlrev_b32_e32 v3, 20, v3
	v_and_b32_e32 v4, 0x80000000, v4
	v_lshl_add_u32 v2, v2, 23, v6
	v_or3_b32 v2, v4, v2, v3
.LBB3_996:
	s_or_b64 exec, exec, s[6:7]
	s_movk_i32 s4, 0x7f
	v_cmp_gt_i16_sdwa s[6:7], v5, s4 src0_sel:BYTE_0 src1_sel:DWORD
	s_mov_b64 s[4:5], 0
                                        ; implicit-def: $sgpr10
	s_and_saveexec_b64 s[8:9], s[6:7]
	s_xor_b64 s[6:7], exec, s[8:9]
	s_cbranch_execnz .LBB3_3045
; %bb.997:
	s_or_saveexec_b64 s[6:7], s[6:7]
	v_mov_b32_e32 v3, s10
	s_xor_b64 exec, exec, s[6:7]
	s_cbranch_execnz .LBB3_3048
.LBB3_998:
	s_or_b64 exec, exec, s[6:7]
	s_and_saveexec_b64 s[6:7], s[4:5]
	s_cbranch_execz .LBB3_1000
.LBB3_999:
	v_mov_b32_e32 v3, 8
	v_and_b32_e32 v4, 7, v5
	v_lshrrev_b32_sdwa v3, v3, v5 dst_sel:BYTE_1 dst_unused:UNUSED_PAD src0_sel:DWORD src1_sel:DWORD
	v_ffbh_u32_e32 v6, v4
	v_or_b32_sdwa v3, v5, v3 dst_sel:DWORD dst_unused:UNUSED_PAD src0_sel:BYTE_0 src1_sel:DWORD
	v_min_u32_e32 v6, 32, v6
	v_lshrrev_b16_e32 v3, 3, v3
	v_subrev_u32_e32 v7, 28, v6
	v_and_b32_e32 v3, 15, v3
	v_lshlrev_b32_e32 v7, v7, v5
	v_sub_u32_e32 v6, 29, v6
	v_and_b32_e32 v7, 7, v7
	v_cmp_eq_u16_e32 vcc, 0, v3
	v_cndmask_b32_e32 v4, v4, v7, vcc
	v_cndmask_b32_e32 v3, v3, v6, vcc
	v_lshlrev_b32_e32 v6, 24, v5
	v_mov_b32_e32 v7, 0x3b800000
	v_lshlrev_b32_e32 v4, 20, v4
	v_and_b32_e32 v6, 0x80000000, v6
	v_lshl_add_u32 v3, v3, 23, v7
	v_or3_b32 v3, v6, v3, v4
.LBB3_1000:
	s_or_b64 exec, exec, s[6:7]
	s_nop 0
	v_mfma_f32_16x16x4f32 a[0:3], v2, v3, a[0:3]
	v_lshrrev_b32_e32 v3, 8, v9
	s_movk_i32 s4, 0x7f
	v_cmp_gt_i16_sdwa s[6:7], v3, s4 src0_sel:BYTE_0 src1_sel:DWORD
	s_mov_b64 s[4:5], 0
                                        ; implicit-def: $sgpr10
	s_and_saveexec_b64 s[8:9], s[6:7]
	s_xor_b64 s[6:7], exec, s[8:9]
	s_cbranch_execnz .LBB3_3049
; %bb.1001:
	s_or_saveexec_b64 s[6:7], s[6:7]
	v_mov_b32_e32 v2, s10
	s_xor_b64 exec, exec, s[6:7]
	s_cbranch_execnz .LBB3_3052
.LBB3_1002:
	s_or_b64 exec, exec, s[6:7]
	s_and_saveexec_b64 s[6:7], s[4:5]
	s_cbranch_execz .LBB3_1004
.LBB3_1003:
	v_bfe_u32 v2, v9, 8, 3
	v_ffbh_u32_e32 v6, v2
	v_min_u32_e32 v6, 32, v6
	v_lshrrev_b16_e32 v4, 3, v3
	v_subrev_u32_e32 v7, 28, v6
	v_and_b32_e32 v4, 15, v4
	v_lshlrev_b32_e32 v3, v7, v3
	v_sub_u32_e32 v6, 29, v6
	v_and_b32_e32 v3, 7, v3
	v_cmp_eq_u16_e32 vcc, 0, v4
	v_cndmask_b32_e32 v2, v2, v3, vcc
	v_cndmask_b32_e32 v3, v4, v6, vcc
	v_lshlrev_b32_e32 v4, 16, v9
	v_mov_b32_e32 v6, 0x3b800000
	v_lshlrev_b32_e32 v2, 20, v2
	v_and_b32_e32 v4, 0x80000000, v4
	v_lshl_add_u32 v3, v3, 23, v6
	v_or3_b32 v2, v4, v3, v2
.LBB3_1004:
	s_or_b64 exec, exec, s[6:7]
	v_lshrrev_b32_e32 v3, 8, v5
	s_movk_i32 s4, 0x7f
	v_cmp_gt_i16_sdwa s[6:7], v3, s4 src0_sel:BYTE_0 src1_sel:DWORD
	s_mov_b64 s[4:5], 0
                                        ; implicit-def: $sgpr10
	s_and_saveexec_b64 s[8:9], s[6:7]
	s_xor_b64 s[6:7], exec, s[8:9]
	s_cbranch_execnz .LBB3_3053
; %bb.1005:
	s_or_saveexec_b64 s[6:7], s[6:7]
	v_mov_b32_e32 v4, s10
	s_xor_b64 exec, exec, s[6:7]
	s_cbranch_execnz .LBB3_3056
.LBB3_1006:
	s_or_b64 exec, exec, s[6:7]
	s_and_saveexec_b64 s[6:7], s[4:5]
	s_cbranch_execz .LBB3_1008
.LBB3_1007:
	v_bfe_u32 v4, v5, 8, 3
	v_ffbh_u32_e32 v7, v4
	v_min_u32_e32 v7, 32, v7
	v_lshrrev_b16_e32 v6, 3, v3
	v_subrev_u32_e32 v8, 28, v7
	v_and_b32_e32 v6, 15, v6
	v_lshlrev_b32_e32 v3, v8, v3
	v_sub_u32_e32 v7, 29, v7
	v_and_b32_e32 v3, 7, v3
	v_cmp_eq_u16_e32 vcc, 0, v6
	v_cndmask_b32_e32 v3, v4, v3, vcc
	v_cndmask_b32_e32 v4, v6, v7, vcc
	v_lshlrev_b32_e32 v6, 16, v5
	v_mov_b32_e32 v7, 0x3b800000
	v_lshlrev_b32_e32 v3, 20, v3
	v_and_b32_e32 v6, 0x80000000, v6
	v_lshl_add_u32 v4, v4, 23, v7
	v_or3_b32 v4, v6, v4, v3
.LBB3_1008:
	s_or_b64 exec, exec, s[6:7]
	s_nop 0
	v_mfma_f32_16x16x4f32 a[0:3], v2, v4, a[0:3]
	s_movk_i32 s4, 0xff
	v_and_b32_sdwa v3, v9, s4 dst_sel:DWORD dst_unused:UNUSED_PAD src0_sel:WORD_1 src1_sel:DWORD
	s_movk_i32 s4, 0x7f
	v_cmp_lt_i16_e32 vcc, s4, v3
	s_mov_b64 s[4:5], 0
                                        ; implicit-def: $sgpr10
	s_and_saveexec_b64 s[6:7], vcc
	s_xor_b64 s[6:7], exec, s[6:7]
	s_cbranch_execnz .LBB3_3057
; %bb.1009:
	s_or_saveexec_b64 s[6:7], s[6:7]
	v_mov_b32_e32 v2, s10
	s_xor_b64 exec, exec, s[6:7]
	s_cbranch_execnz .LBB3_3060
.LBB3_1010:
	s_or_b64 exec, exec, s[6:7]
	s_and_saveexec_b64 s[6:7], s[4:5]
	s_cbranch_execz .LBB3_1012
.LBB3_1011:
	v_bfe_u32 v2, v9, 16, 3
	v_ffbh_u32_e32 v6, v2
	v_min_u32_e32 v6, 32, v6
	v_lshrrev_b32_e32 v3, 19, v9
	v_subrev_u32_e32 v7, 28, v6
	v_and_b32_e32 v3, 15, v3
	v_lshlrev_b32_sdwa v7, v7, v9 dst_sel:DWORD dst_unused:UNUSED_PAD src0_sel:DWORD src1_sel:WORD_1
	v_bfe_u32 v4, v9, 19, 4
	v_sub_u32_e32 v6, 29, v6
	v_and_b32_e32 v7, 7, v7
	v_cmp_eq_u16_e32 vcc, 0, v3
	v_cndmask_b32_e32 v2, v2, v7, vcc
	v_cndmask_b32_e32 v3, v4, v6, vcc
	v_lshlrev_b32_e32 v4, 8, v9
	v_mov_b32_e32 v6, 0x3b800000
	v_lshlrev_b32_e32 v2, 20, v2
	v_and_b32_e32 v4, 0x80000000, v4
	v_lshl_add_u32 v3, v3, 23, v6
	v_or3_b32 v2, v4, v3, v2
.LBB3_1012:
	s_or_b64 exec, exec, s[6:7]
	s_movk_i32 s4, 0xff
	v_and_b32_sdwa v3, v5, s4 dst_sel:DWORD dst_unused:UNUSED_PAD src0_sel:WORD_1 src1_sel:DWORD
	s_movk_i32 s4, 0x7f
	v_cmp_lt_i16_e32 vcc, s4, v3
	s_mov_b64 s[4:5], 0
                                        ; implicit-def: $sgpr10
	s_and_saveexec_b64 s[6:7], vcc
	s_xor_b64 s[6:7], exec, s[6:7]
	s_cbranch_execnz .LBB3_3061
; %bb.1013:
	s_or_saveexec_b64 s[6:7], s[6:7]
	v_mov_b32_e32 v4, s10
	s_xor_b64 exec, exec, s[6:7]
	s_cbranch_execnz .LBB3_3064
.LBB3_1014:
	s_or_b64 exec, exec, s[6:7]
	s_and_saveexec_b64 s[6:7], s[4:5]
	s_cbranch_execz .LBB3_1016
.LBB3_1015:
	v_bfe_u32 v3, v5, 16, 3
	v_ffbh_u32_e32 v7, v3
	v_min_u32_e32 v7, 32, v7
	v_lshrrev_b32_e32 v4, 19, v5
	v_subrev_u32_e32 v8, 28, v7
	v_and_b32_e32 v4, 15, v4
	v_lshlrev_b32_sdwa v8, v8, v5 dst_sel:DWORD dst_unused:UNUSED_PAD src0_sel:DWORD src1_sel:WORD_1
	v_bfe_u32 v6, v5, 19, 4
	v_sub_u32_e32 v7, 29, v7
	v_and_b32_e32 v8, 7, v8
	v_cmp_eq_u16_e32 vcc, 0, v4
	v_cndmask_b32_e32 v3, v3, v8, vcc
	v_cndmask_b32_e32 v4, v6, v7, vcc
	v_lshlrev_b32_e32 v6, 8, v5
	v_mov_b32_e32 v7, 0x3b800000
	v_lshlrev_b32_e32 v3, 20, v3
	v_and_b32_e32 v6, 0x80000000, v6
	v_lshl_add_u32 v4, v4, 23, v7
	v_or3_b32 v4, v6, v4, v3
.LBB3_1016:
	s_or_b64 exec, exec, s[6:7]
	s_nop 0
	v_mfma_f32_16x16x4f32 a[0:3], v2, v4, a[0:3]
	s_movk_i32 s4, 0x7f
	v_cmp_gt_i16_sdwa s[6:7], v9, s4 src0_sel:BYTE_3 src1_sel:DWORD
	s_mov_b64 s[4:5], 0
                                        ; implicit-def: $sgpr10
	s_and_saveexec_b64 s[8:9], s[6:7]
	s_xor_b64 s[6:7], exec, s[8:9]
	s_cbranch_execnz .LBB3_3065
; %bb.1017:
	s_or_saveexec_b64 s[6:7], s[6:7]
	v_mov_b32_e32 v2, s10
	s_xor_b64 exec, exec, s[6:7]
	s_cbranch_execnz .LBB3_3068
.LBB3_1018:
	s_or_b64 exec, exec, s[6:7]
	s_and_saveexec_b64 s[6:7], s[4:5]
	s_cbranch_execz .LBB3_1020
.LBB3_1019:
	v_bfe_u32 v2, v9, 24, 3
	v_ffbh_u32_e32 v7, v2
	v_min_u32_e32 v7, 32, v7
	v_lshrrev_b32_e32 v4, 27, v9
	v_subrev_u32_e32 v8, 28, v7
	v_and_b32_e32 v4, 15, v4
	v_lshlrev_b32_sdwa v8, v8, v9 dst_sel:DWORD dst_unused:UNUSED_PAD src0_sel:DWORD src1_sel:BYTE_3
	v_bfe_u32 v6, v9, 27, 4
	v_sub_u32_e32 v7, 29, v7
	v_and_b32_e32 v8, 7, v8
	v_cmp_eq_u16_e32 vcc, 0, v4
	v_cndmask_b32_e32 v2, v2, v8, vcc
	v_cndmask_b32_e32 v4, v6, v7, vcc
	v_mov_b32_e32 v6, 0x3b800000
	v_and_b32_e32 v3, 0x80000000, v9
	v_lshlrev_b32_e32 v2, 20, v2
	v_lshl_add_u32 v4, v4, 23, v6
	v_or3_b32 v2, v3, v4, v2
.LBB3_1020:
	s_or_b64 exec, exec, s[6:7]
	s_movk_i32 s4, 0x7f
	v_cmp_gt_i16_sdwa s[6:7], v5, s4 src0_sel:BYTE_3 src1_sel:DWORD
	s_mov_b64 s[4:5], 0
                                        ; implicit-def: $sgpr10
	s_and_saveexec_b64 s[8:9], s[6:7]
	s_xor_b64 s[6:7], exec, s[8:9]
	s_cbranch_execnz .LBB3_3069
; %bb.1021:
	s_or_saveexec_b64 s[6:7], s[6:7]
	v_mov_b32_e32 v3, s10
	s_xor_b64 exec, exec, s[6:7]
	s_cbranch_execnz .LBB3_3072
.LBB3_1022:
	s_or_b64 exec, exec, s[6:7]
	s_and_saveexec_b64 s[6:7], s[4:5]
	s_cbranch_execz .LBB3_1024
.LBB3_1023:
	v_bfe_u32 v3, v5, 24, 3
	v_ffbh_u32_e32 v8, v3
	v_min_u32_e32 v8, 32, v8
	v_lshrrev_b32_e32 v6, 27, v5
	v_subrev_u32_e32 v9, 28, v8
	v_and_b32_e32 v4, 0x80000000, v5
	v_and_b32_e32 v6, 15, v6
	v_bfe_u32 v7, v5, 27, 4
	v_lshlrev_b32_sdwa v5, v9, v5 dst_sel:DWORD dst_unused:UNUSED_PAD src0_sel:DWORD src1_sel:BYTE_3
	v_sub_u32_e32 v8, 29, v8
	v_and_b32_e32 v5, 7, v5
	v_cmp_eq_u16_e32 vcc, 0, v6
	v_cndmask_b32_e32 v3, v3, v5, vcc
	v_cndmask_b32_e32 v5, v7, v8, vcc
	v_mov_b32_e32 v6, 0x3b800000
	v_lshlrev_b32_e32 v3, 20, v3
	v_lshl_add_u32 v5, v5, 23, v6
	v_or3_b32 v3, v4, v5, v3
.LBB3_1024:
	s_or_b64 exec, exec, s[6:7]
	s_nop 0
	v_mfma_f32_16x16x4f32 a[0:3], v2, v3, a[0:3]
	s_movk_i32 s4, 0x7f
                                        ; implicit-def: $sgpr10
	s_nop 7
	s_nop 1
	flat_store_dwordx4 v[18:19], a[0:3] offset:176
	flat_load_dwordx4 v[20:23], v[0:1] offset:16
	s_nop 0
	flat_load_dwordx2 v[18:19], v[0:1] offset:32
	s_waitcnt vmcnt(0) lgkmcnt(0)
	flat_load_dwordx4 v[14:17], v[20:21] offset:32
	flat_load_dwordx4 v[6:9], v[20:21] offset:48
	;; [unrolled: 1-line block ×4, first 2 shown]
	s_waitcnt vmcnt(0) lgkmcnt(0)
	v_cmp_gt_i16_sdwa s[6:7], v14, s4 src0_sel:BYTE_0 src1_sel:DWORD
	s_mov_b64 s[4:5], 0
	s_and_saveexec_b64 s[8:9], s[6:7]
	s_xor_b64 s[6:7], exec, s[8:9]
	s_cbranch_execnz .LBB3_3073
; %bb.1025:
	s_or_saveexec_b64 s[6:7], s[6:7]
	v_mov_b32_e32 v20, s10
	s_xor_b64 exec, exec, s[6:7]
	s_cbranch_execnz .LBB3_3076
.LBB3_1026:
	s_or_b64 exec, exec, s[6:7]
	s_and_saveexec_b64 s[6:7], s[4:5]
	s_cbranch_execz .LBB3_1028
.LBB3_1027:
	v_and_b32_e32 v20, 7, v14
	v_ffbh_u32_e32 v22, v20
	v_min_u32_e32 v22, 32, v22
	v_lshrrev_b16_e32 v21, 3, v14
	v_subrev_u32_e32 v23, 28, v22
	v_and_b32_e32 v21, 15, v21
	v_lshlrev_b32_e32 v23, v23, v14
	v_sub_u32_e32 v22, 29, v22
	v_and_b32_e32 v23, 7, v23
	v_cmp_eq_u16_e32 vcc, 0, v21
	v_cndmask_b32_e32 v20, v20, v23, vcc
	v_cndmask_b32_e32 v21, v21, v22, vcc
	v_lshlrev_b32_e32 v22, 24, v14
	v_mov_b32_e32 v23, 0x3b800000
	v_lshlrev_b32_e32 v20, 20, v20
	v_and_b32_e32 v22, 0x80000000, v22
	v_lshl_add_u32 v21, v21, 23, v23
	v_or3_b32 v20, v22, v21, v20
.LBB3_1028:
	s_or_b64 exec, exec, s[6:7]
	s_movk_i32 s4, 0x7f
	v_cmp_gt_i16_sdwa s[6:7], v10, s4 src0_sel:BYTE_0 src1_sel:DWORD
	s_mov_b64 s[4:5], 0
                                        ; implicit-def: $sgpr10
	s_and_saveexec_b64 s[8:9], s[6:7]
	s_xor_b64 s[6:7], exec, s[8:9]
	s_cbranch_execnz .LBB3_3077
; %bb.1029:
	s_or_saveexec_b64 s[6:7], s[6:7]
	v_mov_b32_e32 v21, s10
	s_xor_b64 exec, exec, s[6:7]
	s_cbranch_execnz .LBB3_3080
.LBB3_1030:
	s_or_b64 exec, exec, s[6:7]
	s_and_saveexec_b64 s[6:7], s[4:5]
	s_cbranch_execz .LBB3_1032
.LBB3_1031:
	v_and_b32_e32 v21, 7, v10
	v_ffbh_u32_e32 v23, v21
	v_min_u32_e32 v23, 32, v23
	v_lshrrev_b16_e32 v22, 3, v10
	v_subrev_u32_e32 v24, 28, v23
	v_and_b32_e32 v22, 15, v22
	v_lshlrev_b32_e32 v24, v24, v10
	v_sub_u32_e32 v23, 29, v23
	v_and_b32_e32 v24, 7, v24
	v_cmp_eq_u16_e32 vcc, 0, v22
	v_cndmask_b32_e32 v21, v21, v24, vcc
	v_cndmask_b32_e32 v22, v22, v23, vcc
	v_lshlrev_b32_e32 v23, 24, v10
	v_mov_b32_e32 v24, 0x3b800000
	v_lshlrev_b32_e32 v21, 20, v21
	v_and_b32_e32 v23, 0x80000000, v23
	v_lshl_add_u32 v22, v22, 23, v24
	v_or3_b32 v21, v23, v22, v21
.LBB3_1032:
	s_or_b64 exec, exec, s[6:7]
	flat_load_dwordx4 a[0:3], v[18:19] offset:192
	s_movk_i32 s4, 0x7f
                                        ; implicit-def: $sgpr10
	s_waitcnt vmcnt(0) lgkmcnt(0)
	v_mfma_f32_16x16x4f32 a[0:3], v20, v21, a[0:3]
	v_lshrrev_b32_e32 v21, 8, v14
	v_cmp_gt_i16_sdwa s[6:7], v21, s4 src0_sel:BYTE_0 src1_sel:DWORD
	s_mov_b64 s[4:5], 0
	s_and_saveexec_b64 s[8:9], s[6:7]
	s_xor_b64 s[6:7], exec, s[8:9]
	s_cbranch_execnz .LBB3_3081
; %bb.1033:
	s_or_saveexec_b64 s[6:7], s[6:7]
	v_mov_b32_e32 v20, s10
	s_xor_b64 exec, exec, s[6:7]
	s_cbranch_execnz .LBB3_3084
.LBB3_1034:
	s_or_b64 exec, exec, s[6:7]
	s_and_saveexec_b64 s[6:7], s[4:5]
	s_cbranch_execz .LBB3_1036
.LBB3_1035:
	v_bfe_u32 v20, v14, 8, 3
	v_ffbh_u32_e32 v23, v20
	v_min_u32_e32 v23, 32, v23
	v_lshrrev_b16_e32 v22, 3, v21
	v_subrev_u32_e32 v24, 28, v23
	v_and_b32_e32 v22, 15, v22
	v_lshlrev_b32_e32 v21, v24, v21
	v_sub_u32_e32 v23, 29, v23
	v_and_b32_e32 v21, 7, v21
	v_cmp_eq_u16_e32 vcc, 0, v22
	v_cndmask_b32_e32 v20, v20, v21, vcc
	v_cndmask_b32_e32 v21, v22, v23, vcc
	v_lshlrev_b32_e32 v22, 16, v14
	v_mov_b32_e32 v23, 0x3b800000
	v_lshlrev_b32_e32 v20, 20, v20
	v_and_b32_e32 v22, 0x80000000, v22
	v_lshl_add_u32 v21, v21, 23, v23
	v_or3_b32 v20, v22, v21, v20
.LBB3_1036:
	s_or_b64 exec, exec, s[6:7]
	v_lshrrev_b32_e32 v21, 8, v10
	s_movk_i32 s4, 0x7f
	v_cmp_gt_i16_sdwa s[6:7], v21, s4 src0_sel:BYTE_0 src1_sel:DWORD
	s_mov_b64 s[4:5], 0
                                        ; implicit-def: $sgpr10
	s_and_saveexec_b64 s[8:9], s[6:7]
	s_xor_b64 s[6:7], exec, s[8:9]
	s_cbranch_execnz .LBB3_3085
; %bb.1037:
	s_or_saveexec_b64 s[6:7], s[6:7]
	v_mov_b32_e32 v22, s10
	s_xor_b64 exec, exec, s[6:7]
	s_cbranch_execnz .LBB3_3088
.LBB3_1038:
	s_or_b64 exec, exec, s[6:7]
	s_and_saveexec_b64 s[6:7], s[4:5]
	s_cbranch_execz .LBB3_1040
.LBB3_1039:
	v_bfe_u32 v22, v10, 8, 3
	v_ffbh_u32_e32 v24, v22
	v_min_u32_e32 v24, 32, v24
	v_lshrrev_b16_e32 v23, 3, v21
	v_subrev_u32_e32 v25, 28, v24
	v_and_b32_e32 v23, 15, v23
	v_lshlrev_b32_e32 v21, v25, v21
	v_sub_u32_e32 v24, 29, v24
	v_and_b32_e32 v21, 7, v21
	v_cmp_eq_u16_e32 vcc, 0, v23
	v_cndmask_b32_e32 v21, v22, v21, vcc
	v_cndmask_b32_e32 v22, v23, v24, vcc
	v_lshlrev_b32_e32 v23, 16, v10
	v_mov_b32_e32 v24, 0x3b800000
	v_lshlrev_b32_e32 v21, 20, v21
	v_and_b32_e32 v23, 0x80000000, v23
	v_lshl_add_u32 v22, v22, 23, v24
	v_or3_b32 v22, v23, v22, v21
.LBB3_1040:
	s_or_b64 exec, exec, s[6:7]
	s_nop 0
	v_mfma_f32_16x16x4f32 a[0:3], v20, v22, a[0:3]
	s_movk_i32 s4, 0xff
	v_and_b32_sdwa v21, v14, s4 dst_sel:DWORD dst_unused:UNUSED_PAD src0_sel:WORD_1 src1_sel:DWORD
	s_movk_i32 s4, 0x7f
	v_cmp_lt_i16_e32 vcc, s4, v21
	s_mov_b64 s[4:5], 0
                                        ; implicit-def: $sgpr10
	s_and_saveexec_b64 s[6:7], vcc
	s_xor_b64 s[6:7], exec, s[6:7]
	s_cbranch_execnz .LBB3_3089
; %bb.1041:
	s_or_saveexec_b64 s[6:7], s[6:7]
	v_mov_b32_e32 v20, s10
	s_xor_b64 exec, exec, s[6:7]
	s_cbranch_execnz .LBB3_3092
.LBB3_1042:
	s_or_b64 exec, exec, s[6:7]
	s_and_saveexec_b64 s[6:7], s[4:5]
	s_cbranch_execz .LBB3_1044
.LBB3_1043:
	v_bfe_u32 v20, v14, 16, 3
	v_ffbh_u32_e32 v23, v20
	v_min_u32_e32 v23, 32, v23
	v_lshrrev_b32_e32 v21, 19, v14
	v_subrev_u32_e32 v24, 28, v23
	v_and_b32_e32 v21, 15, v21
	v_lshlrev_b32_sdwa v24, v24, v14 dst_sel:DWORD dst_unused:UNUSED_PAD src0_sel:DWORD src1_sel:WORD_1
	v_bfe_u32 v22, v14, 19, 4
	v_sub_u32_e32 v23, 29, v23
	v_and_b32_e32 v24, 7, v24
	v_cmp_eq_u16_e32 vcc, 0, v21
	v_cndmask_b32_e32 v20, v20, v24, vcc
	v_cndmask_b32_e32 v21, v22, v23, vcc
	v_lshlrev_b32_e32 v22, 8, v14
	v_mov_b32_e32 v23, 0x3b800000
	v_lshlrev_b32_e32 v20, 20, v20
	v_and_b32_e32 v22, 0x80000000, v22
	v_lshl_add_u32 v21, v21, 23, v23
	v_or3_b32 v20, v22, v21, v20
.LBB3_1044:
	s_or_b64 exec, exec, s[6:7]
	s_movk_i32 s4, 0xff
	v_and_b32_sdwa v21, v10, s4 dst_sel:DWORD dst_unused:UNUSED_PAD src0_sel:WORD_1 src1_sel:DWORD
	s_movk_i32 s4, 0x7f
	v_cmp_lt_i16_e32 vcc, s4, v21
	s_mov_b64 s[4:5], 0
                                        ; implicit-def: $sgpr10
	s_and_saveexec_b64 s[6:7], vcc
	s_xor_b64 s[6:7], exec, s[6:7]
	s_cbranch_execnz .LBB3_3093
; %bb.1045:
	s_or_saveexec_b64 s[6:7], s[6:7]
	v_mov_b32_e32 v22, s10
	s_xor_b64 exec, exec, s[6:7]
	s_cbranch_execnz .LBB3_3096
.LBB3_1046:
	s_or_b64 exec, exec, s[6:7]
	s_and_saveexec_b64 s[6:7], s[4:5]
	s_cbranch_execz .LBB3_1048
.LBB3_1047:
	v_bfe_u32 v21, v10, 16, 3
	v_ffbh_u32_e32 v24, v21
	v_min_u32_e32 v24, 32, v24
	v_lshrrev_b32_e32 v22, 19, v10
	v_subrev_u32_e32 v25, 28, v24
	v_and_b32_e32 v22, 15, v22
	v_lshlrev_b32_sdwa v25, v25, v10 dst_sel:DWORD dst_unused:UNUSED_PAD src0_sel:DWORD src1_sel:WORD_1
	v_bfe_u32 v23, v10, 19, 4
	v_sub_u32_e32 v24, 29, v24
	v_and_b32_e32 v25, 7, v25
	v_cmp_eq_u16_e32 vcc, 0, v22
	v_cndmask_b32_e32 v21, v21, v25, vcc
	v_cndmask_b32_e32 v22, v23, v24, vcc
	v_lshlrev_b32_e32 v23, 8, v10
	v_mov_b32_e32 v24, 0x3b800000
	v_lshlrev_b32_e32 v21, 20, v21
	v_and_b32_e32 v23, 0x80000000, v23
	v_lshl_add_u32 v22, v22, 23, v24
	v_or3_b32 v22, v23, v22, v21
.LBB3_1048:
	s_or_b64 exec, exec, s[6:7]
	s_nop 0
	v_mfma_f32_16x16x4f32 a[0:3], v20, v22, a[0:3]
	s_movk_i32 s4, 0x7f
	v_cmp_gt_i16_sdwa s[6:7], v14, s4 src0_sel:BYTE_3 src1_sel:DWORD
	s_mov_b64 s[4:5], 0
                                        ; implicit-def: $sgpr10
	s_and_saveexec_b64 s[8:9], s[6:7]
	s_xor_b64 s[6:7], exec, s[8:9]
	s_cbranch_execnz .LBB3_3097
; %bb.1049:
	s_or_saveexec_b64 s[6:7], s[6:7]
	v_mov_b32_e32 v20, s10
	s_xor_b64 exec, exec, s[6:7]
	s_cbranch_execnz .LBB3_3100
.LBB3_1050:
	s_or_b64 exec, exec, s[6:7]
	s_and_saveexec_b64 s[6:7], s[4:5]
	s_cbranch_execz .LBB3_1052
.LBB3_1051:
	v_bfe_u32 v20, v14, 24, 3
	v_ffbh_u32_e32 v24, v20
	v_min_u32_e32 v24, 32, v24
	v_lshrrev_b32_e32 v22, 27, v14
	v_subrev_u32_e32 v25, 28, v24
	v_and_b32_e32 v21, 0x80000000, v14
	v_and_b32_e32 v22, 15, v22
	v_bfe_u32 v23, v14, 27, 4
	v_lshlrev_b32_sdwa v14, v25, v14 dst_sel:DWORD dst_unused:UNUSED_PAD src0_sel:DWORD src1_sel:BYTE_3
	v_sub_u32_e32 v24, 29, v24
	v_and_b32_e32 v14, 7, v14
	v_cmp_eq_u16_e32 vcc, 0, v22
	v_cndmask_b32_e32 v14, v20, v14, vcc
	v_cndmask_b32_e32 v20, v23, v24, vcc
	v_mov_b32_e32 v22, 0x3b800000
	v_lshlrev_b32_e32 v14, 20, v14
	v_lshl_add_u32 v20, v20, 23, v22
	v_or3_b32 v20, v21, v20, v14
.LBB3_1052:
	s_or_b64 exec, exec, s[6:7]
	s_movk_i32 s4, 0x7f
	v_cmp_gt_i16_sdwa s[6:7], v10, s4 src0_sel:BYTE_3 src1_sel:DWORD
	s_mov_b64 s[4:5], 0
                                        ; implicit-def: $sgpr10
	s_and_saveexec_b64 s[8:9], s[6:7]
	s_xor_b64 s[6:7], exec, s[8:9]
	s_cbranch_execnz .LBB3_3101
; %bb.1053:
	s_or_saveexec_b64 s[6:7], s[6:7]
	v_mov_b32_e32 v14, s10
	s_xor_b64 exec, exec, s[6:7]
	s_cbranch_execnz .LBB3_3104
.LBB3_1054:
	s_or_b64 exec, exec, s[6:7]
	s_and_saveexec_b64 s[6:7], s[4:5]
	s_cbranch_execz .LBB3_1056
.LBB3_1055:
	v_bfe_u32 v14, v10, 24, 3
	v_ffbh_u32_e32 v24, v14
	v_min_u32_e32 v24, 32, v24
	v_lshrrev_b32_e32 v22, 27, v10
	v_subrev_u32_e32 v25, 28, v24
	v_and_b32_e32 v21, 0x80000000, v10
	v_and_b32_e32 v22, 15, v22
	v_bfe_u32 v23, v10, 27, 4
	v_lshlrev_b32_sdwa v10, v25, v10 dst_sel:DWORD dst_unused:UNUSED_PAD src0_sel:DWORD src1_sel:BYTE_3
	v_sub_u32_e32 v24, 29, v24
	v_and_b32_e32 v10, 7, v10
	v_cmp_eq_u16_e32 vcc, 0, v22
	v_cndmask_b32_e32 v10, v14, v10, vcc
	v_cndmask_b32_e32 v14, v23, v24, vcc
	v_mov_b32_e32 v22, 0x3b800000
	v_lshlrev_b32_e32 v10, 20, v10
	v_lshl_add_u32 v14, v14, 23, v22
	v_or3_b32 v14, v21, v14, v10
.LBB3_1056:
	s_or_b64 exec, exec, s[6:7]
	s_nop 0
	v_mfma_f32_16x16x4f32 a[0:3], v20, v14, a[0:3]
	s_movk_i32 s4, 0x7f
	v_cmp_gt_i16_sdwa s[6:7], v15, s4 src0_sel:BYTE_0 src1_sel:DWORD
	s_mov_b64 s[4:5], 0
                                        ; implicit-def: $sgpr10
	s_and_saveexec_b64 s[8:9], s[6:7]
	s_xor_b64 s[6:7], exec, s[8:9]
	s_cbranch_execnz .LBB3_3105
; %bb.1057:
	s_or_saveexec_b64 s[6:7], s[6:7]
	v_mov_b32_e32 v10, s10
	s_xor_b64 exec, exec, s[6:7]
	s_cbranch_execnz .LBB3_3108
.LBB3_1058:
	s_or_b64 exec, exec, s[6:7]
	s_and_saveexec_b64 s[6:7], s[4:5]
	s_cbranch_execz .LBB3_1060
.LBB3_1059:
	v_and_b32_e32 v10, 7, v15
	v_ffbh_u32_e32 v20, v10
	v_min_u32_e32 v20, 32, v20
	v_lshrrev_b16_e32 v14, 3, v15
	v_subrev_u32_e32 v21, 28, v20
	v_and_b32_e32 v14, 15, v14
	v_lshlrev_b32_e32 v21, v21, v15
	v_sub_u32_e32 v20, 29, v20
	v_and_b32_e32 v21, 7, v21
	v_cmp_eq_u16_e32 vcc, 0, v14
	v_cndmask_b32_e32 v10, v10, v21, vcc
	v_cndmask_b32_e32 v14, v14, v20, vcc
	v_lshlrev_b32_e32 v20, 24, v15
	v_mov_b32_e32 v21, 0x3b800000
	v_lshlrev_b32_e32 v10, 20, v10
	v_and_b32_e32 v20, 0x80000000, v20
	v_lshl_add_u32 v14, v14, 23, v21
	v_or3_b32 v10, v20, v14, v10
.LBB3_1060:
	s_or_b64 exec, exec, s[6:7]
	s_movk_i32 s4, 0x7f
	v_cmp_gt_i16_sdwa s[6:7], v11, s4 src0_sel:BYTE_0 src1_sel:DWORD
	s_mov_b64 s[4:5], 0
                                        ; implicit-def: $sgpr10
	s_and_saveexec_b64 s[8:9], s[6:7]
	s_xor_b64 s[6:7], exec, s[8:9]
	s_cbranch_execnz .LBB3_3109
; %bb.1061:
	s_or_saveexec_b64 s[6:7], s[6:7]
	v_mov_b32_e32 v14, s10
	s_xor_b64 exec, exec, s[6:7]
	s_cbranch_execnz .LBB3_3112
.LBB3_1062:
	s_or_b64 exec, exec, s[6:7]
	s_and_saveexec_b64 s[6:7], s[4:5]
	s_cbranch_execz .LBB3_1064
.LBB3_1063:
	v_and_b32_e32 v14, 7, v11
	v_ffbh_u32_e32 v21, v14
	v_min_u32_e32 v21, 32, v21
	v_lshrrev_b16_e32 v20, 3, v11
	v_subrev_u32_e32 v22, 28, v21
	v_and_b32_e32 v20, 15, v20
	v_lshlrev_b32_e32 v22, v22, v11
	v_sub_u32_e32 v21, 29, v21
	v_and_b32_e32 v22, 7, v22
	v_cmp_eq_u16_e32 vcc, 0, v20
	v_cndmask_b32_e32 v14, v14, v22, vcc
	v_cndmask_b32_e32 v20, v20, v21, vcc
	v_lshlrev_b32_e32 v21, 24, v11
	v_mov_b32_e32 v22, 0x3b800000
	v_lshlrev_b32_e32 v14, 20, v14
	v_and_b32_e32 v21, 0x80000000, v21
	v_lshl_add_u32 v20, v20, 23, v22
	v_or3_b32 v14, v21, v20, v14
.LBB3_1064:
	s_or_b64 exec, exec, s[6:7]
	s_nop 0
	v_mfma_f32_16x16x4f32 a[0:3], v10, v14, a[0:3]
	v_lshrrev_b32_e32 v14, 8, v15
	s_movk_i32 s4, 0x7f
	v_cmp_gt_i16_sdwa s[6:7], v14, s4 src0_sel:BYTE_0 src1_sel:DWORD
	s_mov_b64 s[4:5], 0
                                        ; implicit-def: $sgpr10
	s_and_saveexec_b64 s[8:9], s[6:7]
	s_xor_b64 s[6:7], exec, s[8:9]
	s_cbranch_execnz .LBB3_3113
; %bb.1065:
	s_or_saveexec_b64 s[6:7], s[6:7]
	v_mov_b32_e32 v10, s10
	s_xor_b64 exec, exec, s[6:7]
	s_cbranch_execnz .LBB3_3116
.LBB3_1066:
	s_or_b64 exec, exec, s[6:7]
	s_and_saveexec_b64 s[6:7], s[4:5]
	s_cbranch_execz .LBB3_1068
.LBB3_1067:
	v_bfe_u32 v10, v15, 8, 3
	v_ffbh_u32_e32 v21, v10
	v_min_u32_e32 v21, 32, v21
	v_lshrrev_b16_e32 v20, 3, v14
	v_subrev_u32_e32 v22, 28, v21
	v_and_b32_e32 v20, 15, v20
	v_lshlrev_b32_e32 v14, v22, v14
	v_sub_u32_e32 v21, 29, v21
	v_and_b32_e32 v14, 7, v14
	v_cmp_eq_u16_e32 vcc, 0, v20
	v_cndmask_b32_e32 v10, v10, v14, vcc
	v_cndmask_b32_e32 v14, v20, v21, vcc
	v_lshlrev_b32_e32 v20, 16, v15
	v_mov_b32_e32 v21, 0x3b800000
	v_lshlrev_b32_e32 v10, 20, v10
	v_and_b32_e32 v20, 0x80000000, v20
	v_lshl_add_u32 v14, v14, 23, v21
	v_or3_b32 v10, v20, v14, v10
.LBB3_1068:
	s_or_b64 exec, exec, s[6:7]
	v_lshrrev_b32_e32 v14, 8, v11
	s_movk_i32 s4, 0x7f
	v_cmp_gt_i16_sdwa s[6:7], v14, s4 src0_sel:BYTE_0 src1_sel:DWORD
	s_mov_b64 s[4:5], 0
                                        ; implicit-def: $sgpr10
	s_and_saveexec_b64 s[8:9], s[6:7]
	s_xor_b64 s[6:7], exec, s[8:9]
	s_cbranch_execnz .LBB3_3117
; %bb.1069:
	s_or_saveexec_b64 s[6:7], s[6:7]
	v_mov_b32_e32 v20, s10
	s_xor_b64 exec, exec, s[6:7]
	s_cbranch_execnz .LBB3_3120
.LBB3_1070:
	s_or_b64 exec, exec, s[6:7]
	s_and_saveexec_b64 s[6:7], s[4:5]
	s_cbranch_execz .LBB3_1072
.LBB3_1071:
	v_bfe_u32 v20, v11, 8, 3
	v_ffbh_u32_e32 v22, v20
	v_min_u32_e32 v22, 32, v22
	v_lshrrev_b16_e32 v21, 3, v14
	v_subrev_u32_e32 v23, 28, v22
	v_and_b32_e32 v21, 15, v21
	v_lshlrev_b32_e32 v14, v23, v14
	v_sub_u32_e32 v22, 29, v22
	v_and_b32_e32 v14, 7, v14
	v_cmp_eq_u16_e32 vcc, 0, v21
	v_cndmask_b32_e32 v14, v20, v14, vcc
	v_cndmask_b32_e32 v20, v21, v22, vcc
	v_lshlrev_b32_e32 v21, 16, v11
	v_mov_b32_e32 v22, 0x3b800000
	v_lshlrev_b32_e32 v14, 20, v14
	v_and_b32_e32 v21, 0x80000000, v21
	v_lshl_add_u32 v20, v20, 23, v22
	v_or3_b32 v20, v21, v20, v14
.LBB3_1072:
	s_or_b64 exec, exec, s[6:7]
	s_nop 0
	v_mfma_f32_16x16x4f32 a[0:3], v10, v20, a[0:3]
	s_movk_i32 s4, 0xff
	v_and_b32_sdwa v14, v15, s4 dst_sel:DWORD dst_unused:UNUSED_PAD src0_sel:WORD_1 src1_sel:DWORD
	s_movk_i32 s4, 0x7f
	v_cmp_lt_i16_e32 vcc, s4, v14
	s_mov_b64 s[4:5], 0
                                        ; implicit-def: $sgpr10
	s_and_saveexec_b64 s[6:7], vcc
	s_xor_b64 s[6:7], exec, s[6:7]
	s_cbranch_execnz .LBB3_3121
; %bb.1073:
	s_or_saveexec_b64 s[6:7], s[6:7]
	v_mov_b32_e32 v10, s10
	s_xor_b64 exec, exec, s[6:7]
	s_cbranch_execnz .LBB3_3124
.LBB3_1074:
	s_or_b64 exec, exec, s[6:7]
	s_and_saveexec_b64 s[6:7], s[4:5]
	s_cbranch_execz .LBB3_1076
.LBB3_1075:
	v_bfe_u32 v10, v15, 16, 3
	v_ffbh_u32_e32 v21, v10
	v_min_u32_e32 v21, 32, v21
	v_lshrrev_b32_e32 v14, 19, v15
	v_subrev_u32_e32 v22, 28, v21
	v_and_b32_e32 v14, 15, v14
	v_lshlrev_b32_sdwa v22, v22, v15 dst_sel:DWORD dst_unused:UNUSED_PAD src0_sel:DWORD src1_sel:WORD_1
	v_bfe_u32 v20, v15, 19, 4
	v_sub_u32_e32 v21, 29, v21
	v_and_b32_e32 v22, 7, v22
	v_cmp_eq_u16_e32 vcc, 0, v14
	v_cndmask_b32_e32 v10, v10, v22, vcc
	v_cndmask_b32_e32 v14, v20, v21, vcc
	v_lshlrev_b32_e32 v20, 8, v15
	v_mov_b32_e32 v21, 0x3b800000
	v_lshlrev_b32_e32 v10, 20, v10
	v_and_b32_e32 v20, 0x80000000, v20
	v_lshl_add_u32 v14, v14, 23, v21
	v_or3_b32 v10, v20, v14, v10
.LBB3_1076:
	s_or_b64 exec, exec, s[6:7]
	s_movk_i32 s4, 0xff
	v_and_b32_sdwa v14, v11, s4 dst_sel:DWORD dst_unused:UNUSED_PAD src0_sel:WORD_1 src1_sel:DWORD
	s_movk_i32 s4, 0x7f
	v_cmp_lt_i16_e32 vcc, s4, v14
	s_mov_b64 s[4:5], 0
                                        ; implicit-def: $sgpr10
	s_and_saveexec_b64 s[6:7], vcc
	s_xor_b64 s[6:7], exec, s[6:7]
	s_cbranch_execnz .LBB3_3125
; %bb.1077:
	s_or_saveexec_b64 s[6:7], s[6:7]
	v_mov_b32_e32 v20, s10
	s_xor_b64 exec, exec, s[6:7]
	s_cbranch_execnz .LBB3_3128
.LBB3_1078:
	s_or_b64 exec, exec, s[6:7]
	s_and_saveexec_b64 s[6:7], s[4:5]
	s_cbranch_execz .LBB3_1080
.LBB3_1079:
	v_bfe_u32 v14, v11, 16, 3
	v_ffbh_u32_e32 v22, v14
	v_min_u32_e32 v22, 32, v22
	v_lshrrev_b32_e32 v20, 19, v11
	v_subrev_u32_e32 v23, 28, v22
	v_and_b32_e32 v20, 15, v20
	v_lshlrev_b32_sdwa v23, v23, v11 dst_sel:DWORD dst_unused:UNUSED_PAD src0_sel:DWORD src1_sel:WORD_1
	v_bfe_u32 v21, v11, 19, 4
	v_sub_u32_e32 v22, 29, v22
	v_and_b32_e32 v23, 7, v23
	v_cmp_eq_u16_e32 vcc, 0, v20
	v_cndmask_b32_e32 v14, v14, v23, vcc
	v_cndmask_b32_e32 v20, v21, v22, vcc
	v_lshlrev_b32_e32 v21, 8, v11
	v_mov_b32_e32 v22, 0x3b800000
	v_lshlrev_b32_e32 v14, 20, v14
	v_and_b32_e32 v21, 0x80000000, v21
	v_lshl_add_u32 v20, v20, 23, v22
	v_or3_b32 v20, v21, v20, v14
.LBB3_1080:
	s_or_b64 exec, exec, s[6:7]
	s_nop 0
	v_mfma_f32_16x16x4f32 a[0:3], v10, v20, a[0:3]
	s_movk_i32 s4, 0x7f
	v_cmp_gt_i16_sdwa s[6:7], v15, s4 src0_sel:BYTE_3 src1_sel:DWORD
	s_mov_b64 s[4:5], 0
                                        ; implicit-def: $sgpr10
	s_and_saveexec_b64 s[8:9], s[6:7]
	s_xor_b64 s[6:7], exec, s[8:9]
	s_cbranch_execnz .LBB3_3129
; %bb.1081:
	s_or_saveexec_b64 s[6:7], s[6:7]
	v_mov_b32_e32 v10, s10
	s_xor_b64 exec, exec, s[6:7]
	s_cbranch_execnz .LBB3_3132
.LBB3_1082:
	s_or_b64 exec, exec, s[6:7]
	s_and_saveexec_b64 s[6:7], s[4:5]
	s_cbranch_execz .LBB3_1084
.LBB3_1083:
	v_bfe_u32 v10, v15, 24, 3
	v_ffbh_u32_e32 v22, v10
	v_min_u32_e32 v22, 32, v22
	v_lshrrev_b32_e32 v20, 27, v15
	v_subrev_u32_e32 v23, 28, v22
	v_and_b32_e32 v14, 0x80000000, v15
	v_and_b32_e32 v20, 15, v20
	v_bfe_u32 v21, v15, 27, 4
	v_lshlrev_b32_sdwa v15, v23, v15 dst_sel:DWORD dst_unused:UNUSED_PAD src0_sel:DWORD src1_sel:BYTE_3
	v_sub_u32_e32 v22, 29, v22
	v_and_b32_e32 v15, 7, v15
	v_cmp_eq_u16_e32 vcc, 0, v20
	v_cndmask_b32_e32 v10, v10, v15, vcc
	v_cndmask_b32_e32 v15, v21, v22, vcc
	v_mov_b32_e32 v20, 0x3b800000
	v_lshlrev_b32_e32 v10, 20, v10
	v_lshl_add_u32 v15, v15, 23, v20
	v_or3_b32 v10, v14, v15, v10
.LBB3_1084:
	s_or_b64 exec, exec, s[6:7]
	s_movk_i32 s4, 0x7f
	v_cmp_gt_i16_sdwa s[6:7], v11, s4 src0_sel:BYTE_3 src1_sel:DWORD
	s_mov_b64 s[4:5], 0
                                        ; implicit-def: $sgpr10
	s_and_saveexec_b64 s[8:9], s[6:7]
	s_xor_b64 s[6:7], exec, s[8:9]
	s_cbranch_execnz .LBB3_3133
; %bb.1085:
	s_or_saveexec_b64 s[6:7], s[6:7]
	v_mov_b32_e32 v14, s10
	s_xor_b64 exec, exec, s[6:7]
	s_cbranch_execnz .LBB3_3136
.LBB3_1086:
	s_or_b64 exec, exec, s[6:7]
	s_and_saveexec_b64 s[6:7], s[4:5]
	s_cbranch_execz .LBB3_1088
.LBB3_1087:
	v_bfe_u32 v14, v11, 24, 3
	v_ffbh_u32_e32 v22, v14
	v_min_u32_e32 v22, 32, v22
	v_lshrrev_b32_e32 v20, 27, v11
	v_subrev_u32_e32 v23, 28, v22
	v_and_b32_e32 v15, 0x80000000, v11
	v_and_b32_e32 v20, 15, v20
	v_bfe_u32 v21, v11, 27, 4
	v_lshlrev_b32_sdwa v11, v23, v11 dst_sel:DWORD dst_unused:UNUSED_PAD src0_sel:DWORD src1_sel:BYTE_3
	v_sub_u32_e32 v22, 29, v22
	v_and_b32_e32 v11, 7, v11
	v_cmp_eq_u16_e32 vcc, 0, v20
	v_cndmask_b32_e32 v11, v14, v11, vcc
	v_cndmask_b32_e32 v14, v21, v22, vcc
	v_mov_b32_e32 v20, 0x3b800000
	v_lshlrev_b32_e32 v11, 20, v11
	v_lshl_add_u32 v14, v14, 23, v20
	v_or3_b32 v14, v15, v14, v11
.LBB3_1088:
	s_or_b64 exec, exec, s[6:7]
	s_nop 0
	v_mfma_f32_16x16x4f32 a[0:3], v10, v14, a[0:3]
	s_movk_i32 s4, 0x7f
	v_cmp_gt_i16_sdwa s[6:7], v16, s4 src0_sel:BYTE_0 src1_sel:DWORD
	s_mov_b64 s[4:5], 0
                                        ; implicit-def: $sgpr10
	s_and_saveexec_b64 s[8:9], s[6:7]
	s_xor_b64 s[6:7], exec, s[8:9]
	s_cbranch_execnz .LBB3_3137
; %bb.1089:
	s_or_saveexec_b64 s[6:7], s[6:7]
	v_mov_b32_e32 v10, s10
	s_xor_b64 exec, exec, s[6:7]
	s_cbranch_execnz .LBB3_3140
.LBB3_1090:
	s_or_b64 exec, exec, s[6:7]
	s_and_saveexec_b64 s[6:7], s[4:5]
	s_cbranch_execz .LBB3_1092
.LBB3_1091:
	v_and_b32_e32 v10, 7, v16
	v_ffbh_u32_e32 v14, v10
	v_min_u32_e32 v14, 32, v14
	v_lshrrev_b16_e32 v11, 3, v16
	v_subrev_u32_e32 v15, 28, v14
	v_and_b32_e32 v11, 15, v11
	v_lshlrev_b32_e32 v15, v15, v16
	v_sub_u32_e32 v14, 29, v14
	v_and_b32_e32 v15, 7, v15
	v_cmp_eq_u16_e32 vcc, 0, v11
	v_cndmask_b32_e32 v10, v10, v15, vcc
	v_cndmask_b32_e32 v11, v11, v14, vcc
	v_lshlrev_b32_e32 v14, 24, v16
	v_mov_b32_e32 v15, 0x3b800000
	v_lshlrev_b32_e32 v10, 20, v10
	v_and_b32_e32 v14, 0x80000000, v14
	v_lshl_add_u32 v11, v11, 23, v15
	v_or3_b32 v10, v14, v11, v10
.LBB3_1092:
	s_or_b64 exec, exec, s[6:7]
	s_movk_i32 s4, 0x7f
	v_cmp_gt_i16_sdwa s[6:7], v12, s4 src0_sel:BYTE_0 src1_sel:DWORD
	s_mov_b64 s[4:5], 0
                                        ; implicit-def: $sgpr10
	s_and_saveexec_b64 s[8:9], s[6:7]
	s_xor_b64 s[6:7], exec, s[8:9]
	s_cbranch_execnz .LBB3_3141
; %bb.1093:
	s_or_saveexec_b64 s[6:7], s[6:7]
	v_mov_b32_e32 v11, s10
	s_xor_b64 exec, exec, s[6:7]
	s_cbranch_execnz .LBB3_3144
.LBB3_1094:
	s_or_b64 exec, exec, s[6:7]
	s_and_saveexec_b64 s[6:7], s[4:5]
	s_cbranch_execz .LBB3_1096
.LBB3_1095:
	v_and_b32_e32 v11, 7, v12
	v_ffbh_u32_e32 v15, v11
	v_min_u32_e32 v15, 32, v15
	v_lshrrev_b16_e32 v14, 3, v12
	v_subrev_u32_e32 v20, 28, v15
	v_and_b32_e32 v14, 15, v14
	v_lshlrev_b32_e32 v20, v20, v12
	v_sub_u32_e32 v15, 29, v15
	v_and_b32_e32 v20, 7, v20
	v_cmp_eq_u16_e32 vcc, 0, v14
	v_cndmask_b32_e32 v11, v11, v20, vcc
	v_cndmask_b32_e32 v14, v14, v15, vcc
	v_lshlrev_b32_e32 v15, 24, v12
	v_mov_b32_e32 v20, 0x3b800000
	v_lshlrev_b32_e32 v11, 20, v11
	v_and_b32_e32 v15, 0x80000000, v15
	v_lshl_add_u32 v14, v14, 23, v20
	v_or3_b32 v11, v15, v14, v11
.LBB3_1096:
	s_or_b64 exec, exec, s[6:7]
	s_nop 0
	v_mfma_f32_16x16x4f32 a[0:3], v10, v11, a[0:3]
	v_lshrrev_b32_e32 v11, 8, v16
	s_movk_i32 s4, 0x7f
	v_cmp_gt_i16_sdwa s[6:7], v11, s4 src0_sel:BYTE_0 src1_sel:DWORD
	s_mov_b64 s[4:5], 0
                                        ; implicit-def: $sgpr10
	s_and_saveexec_b64 s[8:9], s[6:7]
	s_xor_b64 s[6:7], exec, s[8:9]
	s_cbranch_execnz .LBB3_3145
; %bb.1097:
	s_or_saveexec_b64 s[6:7], s[6:7]
	v_mov_b32_e32 v10, s10
	s_xor_b64 exec, exec, s[6:7]
	s_cbranch_execnz .LBB3_3148
.LBB3_1098:
	s_or_b64 exec, exec, s[6:7]
	s_and_saveexec_b64 s[6:7], s[4:5]
	s_cbranch_execz .LBB3_1100
.LBB3_1099:
	v_bfe_u32 v10, v16, 8, 3
	v_ffbh_u32_e32 v15, v10
	v_min_u32_e32 v15, 32, v15
	v_lshrrev_b16_e32 v14, 3, v11
	v_subrev_u32_e32 v20, 28, v15
	v_and_b32_e32 v14, 15, v14
	v_lshlrev_b32_e32 v11, v20, v11
	v_sub_u32_e32 v15, 29, v15
	v_and_b32_e32 v11, 7, v11
	v_cmp_eq_u16_e32 vcc, 0, v14
	v_cndmask_b32_e32 v10, v10, v11, vcc
	v_cndmask_b32_e32 v11, v14, v15, vcc
	v_lshlrev_b32_e32 v14, 16, v16
	v_mov_b32_e32 v15, 0x3b800000
	v_lshlrev_b32_e32 v10, 20, v10
	v_and_b32_e32 v14, 0x80000000, v14
	v_lshl_add_u32 v11, v11, 23, v15
	v_or3_b32 v10, v14, v11, v10
.LBB3_1100:
	s_or_b64 exec, exec, s[6:7]
	v_lshrrev_b32_e32 v11, 8, v12
	s_movk_i32 s4, 0x7f
	v_cmp_gt_i16_sdwa s[6:7], v11, s4 src0_sel:BYTE_0 src1_sel:DWORD
	s_mov_b64 s[4:5], 0
                                        ; implicit-def: $sgpr10
	s_and_saveexec_b64 s[8:9], s[6:7]
	s_xor_b64 s[6:7], exec, s[8:9]
	s_cbranch_execnz .LBB3_3149
; %bb.1101:
	s_or_saveexec_b64 s[6:7], s[6:7]
	v_mov_b32_e32 v14, s10
	s_xor_b64 exec, exec, s[6:7]
	s_cbranch_execnz .LBB3_3152
.LBB3_1102:
	s_or_b64 exec, exec, s[6:7]
	s_and_saveexec_b64 s[6:7], s[4:5]
	s_cbranch_execz .LBB3_1104
.LBB3_1103:
	v_bfe_u32 v14, v12, 8, 3
	v_ffbh_u32_e32 v20, v14
	v_min_u32_e32 v20, 32, v20
	v_lshrrev_b16_e32 v15, 3, v11
	v_subrev_u32_e32 v21, 28, v20
	v_and_b32_e32 v15, 15, v15
	v_lshlrev_b32_e32 v11, v21, v11
	v_sub_u32_e32 v20, 29, v20
	v_and_b32_e32 v11, 7, v11
	v_cmp_eq_u16_e32 vcc, 0, v15
	v_cndmask_b32_e32 v11, v14, v11, vcc
	v_cndmask_b32_e32 v14, v15, v20, vcc
	v_lshlrev_b32_e32 v15, 16, v12
	v_mov_b32_e32 v20, 0x3b800000
	v_lshlrev_b32_e32 v11, 20, v11
	v_and_b32_e32 v15, 0x80000000, v15
	v_lshl_add_u32 v14, v14, 23, v20
	v_or3_b32 v14, v15, v14, v11
.LBB3_1104:
	s_or_b64 exec, exec, s[6:7]
	s_nop 0
	v_mfma_f32_16x16x4f32 a[0:3], v10, v14, a[0:3]
	s_movk_i32 s4, 0xff
	v_and_b32_sdwa v11, v16, s4 dst_sel:DWORD dst_unused:UNUSED_PAD src0_sel:WORD_1 src1_sel:DWORD
	s_movk_i32 s4, 0x7f
	v_cmp_lt_i16_e32 vcc, s4, v11
	s_mov_b64 s[4:5], 0
                                        ; implicit-def: $sgpr10
	s_and_saveexec_b64 s[6:7], vcc
	s_xor_b64 s[6:7], exec, s[6:7]
	s_cbranch_execnz .LBB3_3153
; %bb.1105:
	s_or_saveexec_b64 s[6:7], s[6:7]
	v_mov_b32_e32 v10, s10
	s_xor_b64 exec, exec, s[6:7]
	s_cbranch_execnz .LBB3_3156
.LBB3_1106:
	s_or_b64 exec, exec, s[6:7]
	s_and_saveexec_b64 s[6:7], s[4:5]
	s_cbranch_execz .LBB3_1108
.LBB3_1107:
	v_bfe_u32 v10, v16, 16, 3
	v_ffbh_u32_e32 v15, v10
	v_min_u32_e32 v15, 32, v15
	v_lshrrev_b32_e32 v11, 19, v16
	v_subrev_u32_e32 v20, 28, v15
	v_and_b32_e32 v11, 15, v11
	v_lshlrev_b32_sdwa v20, v20, v16 dst_sel:DWORD dst_unused:UNUSED_PAD src0_sel:DWORD src1_sel:WORD_1
	v_bfe_u32 v14, v16, 19, 4
	v_sub_u32_e32 v15, 29, v15
	v_and_b32_e32 v20, 7, v20
	v_cmp_eq_u16_e32 vcc, 0, v11
	v_cndmask_b32_e32 v10, v10, v20, vcc
	v_cndmask_b32_e32 v11, v14, v15, vcc
	v_lshlrev_b32_e32 v14, 8, v16
	v_mov_b32_e32 v15, 0x3b800000
	v_lshlrev_b32_e32 v10, 20, v10
	v_and_b32_e32 v14, 0x80000000, v14
	v_lshl_add_u32 v11, v11, 23, v15
	v_or3_b32 v10, v14, v11, v10
.LBB3_1108:
	s_or_b64 exec, exec, s[6:7]
	s_movk_i32 s4, 0xff
	v_and_b32_sdwa v11, v12, s4 dst_sel:DWORD dst_unused:UNUSED_PAD src0_sel:WORD_1 src1_sel:DWORD
	s_movk_i32 s4, 0x7f
	v_cmp_lt_i16_e32 vcc, s4, v11
	s_mov_b64 s[4:5], 0
                                        ; implicit-def: $sgpr10
	s_and_saveexec_b64 s[6:7], vcc
	s_xor_b64 s[6:7], exec, s[6:7]
	s_cbranch_execnz .LBB3_3157
; %bb.1109:
	s_or_saveexec_b64 s[6:7], s[6:7]
	v_mov_b32_e32 v14, s10
	s_xor_b64 exec, exec, s[6:7]
	s_cbranch_execnz .LBB3_3160
.LBB3_1110:
	s_or_b64 exec, exec, s[6:7]
	s_and_saveexec_b64 s[6:7], s[4:5]
	s_cbranch_execz .LBB3_1112
.LBB3_1111:
	v_bfe_u32 v11, v12, 16, 3
	v_ffbh_u32_e32 v20, v11
	v_min_u32_e32 v20, 32, v20
	v_lshrrev_b32_e32 v14, 19, v12
	v_subrev_u32_e32 v21, 28, v20
	v_and_b32_e32 v14, 15, v14
	v_lshlrev_b32_sdwa v21, v21, v12 dst_sel:DWORD dst_unused:UNUSED_PAD src0_sel:DWORD src1_sel:WORD_1
	v_bfe_u32 v15, v12, 19, 4
	v_sub_u32_e32 v20, 29, v20
	v_and_b32_e32 v21, 7, v21
	v_cmp_eq_u16_e32 vcc, 0, v14
	v_cndmask_b32_e32 v11, v11, v21, vcc
	v_cndmask_b32_e32 v14, v15, v20, vcc
	v_lshlrev_b32_e32 v15, 8, v12
	v_mov_b32_e32 v20, 0x3b800000
	v_lshlrev_b32_e32 v11, 20, v11
	v_and_b32_e32 v15, 0x80000000, v15
	v_lshl_add_u32 v14, v14, 23, v20
	v_or3_b32 v14, v15, v14, v11
.LBB3_1112:
	s_or_b64 exec, exec, s[6:7]
	s_nop 0
	v_mfma_f32_16x16x4f32 a[0:3], v10, v14, a[0:3]
	s_movk_i32 s4, 0x7f
	v_cmp_gt_i16_sdwa s[6:7], v16, s4 src0_sel:BYTE_3 src1_sel:DWORD
	s_mov_b64 s[4:5], 0
                                        ; implicit-def: $sgpr10
	s_and_saveexec_b64 s[8:9], s[6:7]
	s_xor_b64 s[6:7], exec, s[8:9]
	s_cbranch_execnz .LBB3_3161
; %bb.1113:
	s_or_saveexec_b64 s[6:7], s[6:7]
	v_mov_b32_e32 v10, s10
	s_xor_b64 exec, exec, s[6:7]
	s_cbranch_execnz .LBB3_3164
.LBB3_1114:
	s_or_b64 exec, exec, s[6:7]
	s_and_saveexec_b64 s[6:7], s[4:5]
	s_cbranch_execz .LBB3_1116
.LBB3_1115:
	v_bfe_u32 v10, v16, 24, 3
	v_ffbh_u32_e32 v20, v10
	v_min_u32_e32 v20, 32, v20
	v_lshrrev_b32_e32 v14, 27, v16
	v_subrev_u32_e32 v21, 28, v20
	v_and_b32_e32 v11, 0x80000000, v16
	v_and_b32_e32 v14, 15, v14
	v_bfe_u32 v15, v16, 27, 4
	v_lshlrev_b32_sdwa v16, v21, v16 dst_sel:DWORD dst_unused:UNUSED_PAD src0_sel:DWORD src1_sel:BYTE_3
	v_sub_u32_e32 v20, 29, v20
	v_and_b32_e32 v16, 7, v16
	v_cmp_eq_u16_e32 vcc, 0, v14
	v_cndmask_b32_e32 v10, v10, v16, vcc
	v_cndmask_b32_e32 v14, v15, v20, vcc
	v_mov_b32_e32 v15, 0x3b800000
	v_lshlrev_b32_e32 v10, 20, v10
	v_lshl_add_u32 v14, v14, 23, v15
	v_or3_b32 v10, v11, v14, v10
.LBB3_1116:
	s_or_b64 exec, exec, s[6:7]
	s_movk_i32 s4, 0x7f
	v_cmp_gt_i16_sdwa s[6:7], v12, s4 src0_sel:BYTE_3 src1_sel:DWORD
	s_mov_b64 s[4:5], 0
                                        ; implicit-def: $sgpr10
	s_and_saveexec_b64 s[8:9], s[6:7]
	s_xor_b64 s[6:7], exec, s[8:9]
	s_cbranch_execnz .LBB3_3165
; %bb.1117:
	s_or_saveexec_b64 s[6:7], s[6:7]
	v_mov_b32_e32 v11, s10
	s_xor_b64 exec, exec, s[6:7]
	s_cbranch_execnz .LBB3_3168
.LBB3_1118:
	s_or_b64 exec, exec, s[6:7]
	s_and_saveexec_b64 s[6:7], s[4:5]
	s_cbranch_execz .LBB3_1120
.LBB3_1119:
	v_bfe_u32 v11, v12, 24, 3
	v_ffbh_u32_e32 v20, v11
	v_min_u32_e32 v20, 32, v20
	v_lshrrev_b32_e32 v15, 27, v12
	v_subrev_u32_e32 v21, 28, v20
	v_and_b32_e32 v14, 0x80000000, v12
	v_and_b32_e32 v15, 15, v15
	v_bfe_u32 v16, v12, 27, 4
	v_lshlrev_b32_sdwa v12, v21, v12 dst_sel:DWORD dst_unused:UNUSED_PAD src0_sel:DWORD src1_sel:BYTE_3
	v_sub_u32_e32 v20, 29, v20
	v_and_b32_e32 v12, 7, v12
	v_cmp_eq_u16_e32 vcc, 0, v15
	v_cndmask_b32_e32 v11, v11, v12, vcc
	v_cndmask_b32_e32 v12, v16, v20, vcc
	v_mov_b32_e32 v15, 0x3b800000
	v_lshlrev_b32_e32 v11, 20, v11
	v_lshl_add_u32 v12, v12, 23, v15
	v_or3_b32 v11, v14, v12, v11
.LBB3_1120:
	s_or_b64 exec, exec, s[6:7]
	s_nop 0
	v_mfma_f32_16x16x4f32 a[0:3], v10, v11, a[0:3]
	s_movk_i32 s4, 0x7f
	v_cmp_gt_i16_sdwa s[6:7], v17, s4 src0_sel:BYTE_0 src1_sel:DWORD
	s_mov_b64 s[4:5], 0
                                        ; implicit-def: $sgpr10
	s_and_saveexec_b64 s[8:9], s[6:7]
	s_xor_b64 s[6:7], exec, s[8:9]
	s_cbranch_execnz .LBB3_3169
; %bb.1121:
	s_or_saveexec_b64 s[6:7], s[6:7]
	v_mov_b32_e32 v10, s10
	s_xor_b64 exec, exec, s[6:7]
	s_cbranch_execnz .LBB3_3172
.LBB3_1122:
	s_or_b64 exec, exec, s[6:7]
	s_and_saveexec_b64 s[6:7], s[4:5]
	s_cbranch_execz .LBB3_1124
.LBB3_1123:
	v_and_b32_e32 v10, 7, v17
	v_ffbh_u32_e32 v12, v10
	v_min_u32_e32 v12, 32, v12
	v_lshrrev_b16_e32 v11, 3, v17
	v_subrev_u32_e32 v14, 28, v12
	v_and_b32_e32 v11, 15, v11
	v_lshlrev_b32_e32 v14, v14, v17
	v_sub_u32_e32 v12, 29, v12
	v_and_b32_e32 v14, 7, v14
	v_cmp_eq_u16_e32 vcc, 0, v11
	v_cndmask_b32_e32 v10, v10, v14, vcc
	v_cndmask_b32_e32 v11, v11, v12, vcc
	v_lshlrev_b32_e32 v12, 24, v17
	v_mov_b32_e32 v14, 0x3b800000
	v_lshlrev_b32_e32 v10, 20, v10
	v_and_b32_e32 v12, 0x80000000, v12
	v_lshl_add_u32 v11, v11, 23, v14
	v_or3_b32 v10, v12, v11, v10
.LBB3_1124:
	s_or_b64 exec, exec, s[6:7]
	s_movk_i32 s4, 0x7f
	v_cmp_gt_i16_sdwa s[6:7], v13, s4 src0_sel:BYTE_0 src1_sel:DWORD
	s_mov_b64 s[4:5], 0
                                        ; implicit-def: $sgpr10
	s_and_saveexec_b64 s[8:9], s[6:7]
	s_xor_b64 s[6:7], exec, s[8:9]
	s_cbranch_execnz .LBB3_3173
; %bb.1125:
	s_or_saveexec_b64 s[6:7], s[6:7]
	v_mov_b32_e32 v11, s10
	s_xor_b64 exec, exec, s[6:7]
	s_cbranch_execnz .LBB3_3176
.LBB3_1126:
	s_or_b64 exec, exec, s[6:7]
	s_and_saveexec_b64 s[6:7], s[4:5]
	s_cbranch_execz .LBB3_1128
.LBB3_1127:
	v_and_b32_e32 v11, 7, v13
	v_ffbh_u32_e32 v14, v11
	v_min_u32_e32 v14, 32, v14
	v_lshrrev_b16_e32 v12, 3, v13
	v_subrev_u32_e32 v15, 28, v14
	v_and_b32_e32 v12, 15, v12
	v_lshlrev_b32_e32 v15, v15, v13
	v_sub_u32_e32 v14, 29, v14
	v_and_b32_e32 v15, 7, v15
	v_cmp_eq_u16_e32 vcc, 0, v12
	v_cndmask_b32_e32 v11, v11, v15, vcc
	v_cndmask_b32_e32 v12, v12, v14, vcc
	v_lshlrev_b32_e32 v14, 24, v13
	v_mov_b32_e32 v15, 0x3b800000
	v_lshlrev_b32_e32 v11, 20, v11
	v_and_b32_e32 v14, 0x80000000, v14
	v_lshl_add_u32 v12, v12, 23, v15
	v_or3_b32 v11, v14, v12, v11
.LBB3_1128:
	s_or_b64 exec, exec, s[6:7]
	s_nop 0
	v_mfma_f32_16x16x4f32 a[0:3], v10, v11, a[0:3]
	v_lshrrev_b32_e32 v11, 8, v17
	s_movk_i32 s4, 0x7f
	v_cmp_gt_i16_sdwa s[6:7], v11, s4 src0_sel:BYTE_0 src1_sel:DWORD
	s_mov_b64 s[4:5], 0
                                        ; implicit-def: $sgpr10
	s_and_saveexec_b64 s[8:9], s[6:7]
	s_xor_b64 s[6:7], exec, s[8:9]
	s_cbranch_execnz .LBB3_3177
; %bb.1129:
	s_or_saveexec_b64 s[6:7], s[6:7]
	v_mov_b32_e32 v10, s10
	s_xor_b64 exec, exec, s[6:7]
	s_cbranch_execnz .LBB3_3180
.LBB3_1130:
	s_or_b64 exec, exec, s[6:7]
	s_and_saveexec_b64 s[6:7], s[4:5]
	s_cbranch_execz .LBB3_1132
.LBB3_1131:
	v_bfe_u32 v10, v17, 8, 3
	v_ffbh_u32_e32 v14, v10
	v_min_u32_e32 v14, 32, v14
	v_lshrrev_b16_e32 v12, 3, v11
	v_subrev_u32_e32 v15, 28, v14
	v_and_b32_e32 v12, 15, v12
	v_lshlrev_b32_e32 v11, v15, v11
	v_sub_u32_e32 v14, 29, v14
	v_and_b32_e32 v11, 7, v11
	v_cmp_eq_u16_e32 vcc, 0, v12
	v_cndmask_b32_e32 v10, v10, v11, vcc
	v_cndmask_b32_e32 v11, v12, v14, vcc
	v_lshlrev_b32_e32 v12, 16, v17
	v_mov_b32_e32 v14, 0x3b800000
	v_lshlrev_b32_e32 v10, 20, v10
	v_and_b32_e32 v12, 0x80000000, v12
	v_lshl_add_u32 v11, v11, 23, v14
	v_or3_b32 v10, v12, v11, v10
.LBB3_1132:
	s_or_b64 exec, exec, s[6:7]
	v_lshrrev_b32_e32 v11, 8, v13
	s_movk_i32 s4, 0x7f
	v_cmp_gt_i16_sdwa s[6:7], v11, s4 src0_sel:BYTE_0 src1_sel:DWORD
	s_mov_b64 s[4:5], 0
                                        ; implicit-def: $sgpr10
	s_and_saveexec_b64 s[8:9], s[6:7]
	s_xor_b64 s[6:7], exec, s[8:9]
	s_cbranch_execnz .LBB3_3181
; %bb.1133:
	s_or_saveexec_b64 s[6:7], s[6:7]
	v_mov_b32_e32 v12, s10
	s_xor_b64 exec, exec, s[6:7]
	s_cbranch_execnz .LBB3_3184
.LBB3_1134:
	s_or_b64 exec, exec, s[6:7]
	s_and_saveexec_b64 s[6:7], s[4:5]
	s_cbranch_execz .LBB3_1136
.LBB3_1135:
	v_bfe_u32 v12, v13, 8, 3
	v_ffbh_u32_e32 v15, v12
	v_min_u32_e32 v15, 32, v15
	v_lshrrev_b16_e32 v14, 3, v11
	v_subrev_u32_e32 v16, 28, v15
	v_and_b32_e32 v14, 15, v14
	v_lshlrev_b32_e32 v11, v16, v11
	v_sub_u32_e32 v15, 29, v15
	v_and_b32_e32 v11, 7, v11
	v_cmp_eq_u16_e32 vcc, 0, v14
	v_cndmask_b32_e32 v11, v12, v11, vcc
	v_cndmask_b32_e32 v12, v14, v15, vcc
	v_lshlrev_b32_e32 v14, 16, v13
	v_mov_b32_e32 v15, 0x3b800000
	v_lshlrev_b32_e32 v11, 20, v11
	v_and_b32_e32 v14, 0x80000000, v14
	v_lshl_add_u32 v12, v12, 23, v15
	v_or3_b32 v12, v14, v12, v11
.LBB3_1136:
	s_or_b64 exec, exec, s[6:7]
	s_nop 0
	v_mfma_f32_16x16x4f32 a[0:3], v10, v12, a[0:3]
	s_movk_i32 s4, 0xff
	v_and_b32_sdwa v11, v17, s4 dst_sel:DWORD dst_unused:UNUSED_PAD src0_sel:WORD_1 src1_sel:DWORD
	s_movk_i32 s4, 0x7f
	v_cmp_lt_i16_e32 vcc, s4, v11
	s_mov_b64 s[4:5], 0
                                        ; implicit-def: $sgpr10
	s_and_saveexec_b64 s[6:7], vcc
	s_xor_b64 s[6:7], exec, s[6:7]
	s_cbranch_execnz .LBB3_3185
; %bb.1137:
	s_or_saveexec_b64 s[6:7], s[6:7]
	v_mov_b32_e32 v10, s10
	s_xor_b64 exec, exec, s[6:7]
	s_cbranch_execnz .LBB3_3188
.LBB3_1138:
	s_or_b64 exec, exec, s[6:7]
	s_and_saveexec_b64 s[6:7], s[4:5]
	s_cbranch_execz .LBB3_1140
.LBB3_1139:
	v_bfe_u32 v10, v17, 16, 3
	v_ffbh_u32_e32 v14, v10
	v_min_u32_e32 v14, 32, v14
	v_lshrrev_b32_e32 v11, 19, v17
	v_subrev_u32_e32 v15, 28, v14
	v_and_b32_e32 v11, 15, v11
	v_lshlrev_b32_sdwa v15, v15, v17 dst_sel:DWORD dst_unused:UNUSED_PAD src0_sel:DWORD src1_sel:WORD_1
	v_bfe_u32 v12, v17, 19, 4
	v_sub_u32_e32 v14, 29, v14
	v_and_b32_e32 v15, 7, v15
	v_cmp_eq_u16_e32 vcc, 0, v11
	v_cndmask_b32_e32 v10, v10, v15, vcc
	v_cndmask_b32_e32 v11, v12, v14, vcc
	v_lshlrev_b32_e32 v12, 8, v17
	v_mov_b32_e32 v14, 0x3b800000
	v_lshlrev_b32_e32 v10, 20, v10
	v_and_b32_e32 v12, 0x80000000, v12
	v_lshl_add_u32 v11, v11, 23, v14
	v_or3_b32 v10, v12, v11, v10
.LBB3_1140:
	s_or_b64 exec, exec, s[6:7]
	s_movk_i32 s4, 0xff
	v_and_b32_sdwa v11, v13, s4 dst_sel:DWORD dst_unused:UNUSED_PAD src0_sel:WORD_1 src1_sel:DWORD
	s_movk_i32 s4, 0x7f
	v_cmp_lt_i16_e32 vcc, s4, v11
	s_mov_b64 s[4:5], 0
                                        ; implicit-def: $sgpr10
	s_and_saveexec_b64 s[6:7], vcc
	s_xor_b64 s[6:7], exec, s[6:7]
	s_cbranch_execnz .LBB3_3189
; %bb.1141:
	s_or_saveexec_b64 s[6:7], s[6:7]
	v_mov_b32_e32 v12, s10
	s_xor_b64 exec, exec, s[6:7]
	s_cbranch_execnz .LBB3_3192
.LBB3_1142:
	s_or_b64 exec, exec, s[6:7]
	s_and_saveexec_b64 s[6:7], s[4:5]
	s_cbranch_execz .LBB3_1144
.LBB3_1143:
	v_bfe_u32 v11, v13, 16, 3
	v_ffbh_u32_e32 v15, v11
	v_min_u32_e32 v15, 32, v15
	v_lshrrev_b32_e32 v12, 19, v13
	v_subrev_u32_e32 v16, 28, v15
	v_and_b32_e32 v12, 15, v12
	v_lshlrev_b32_sdwa v16, v16, v13 dst_sel:DWORD dst_unused:UNUSED_PAD src0_sel:DWORD src1_sel:WORD_1
	v_bfe_u32 v14, v13, 19, 4
	v_sub_u32_e32 v15, 29, v15
	v_and_b32_e32 v16, 7, v16
	v_cmp_eq_u16_e32 vcc, 0, v12
	v_cndmask_b32_e32 v11, v11, v16, vcc
	v_cndmask_b32_e32 v12, v14, v15, vcc
	v_lshlrev_b32_e32 v14, 8, v13
	v_mov_b32_e32 v15, 0x3b800000
	v_lshlrev_b32_e32 v11, 20, v11
	v_and_b32_e32 v14, 0x80000000, v14
	v_lshl_add_u32 v12, v12, 23, v15
	v_or3_b32 v12, v14, v12, v11
.LBB3_1144:
	s_or_b64 exec, exec, s[6:7]
	s_nop 0
	v_mfma_f32_16x16x4f32 a[0:3], v10, v12, a[0:3]
	s_movk_i32 s4, 0x7f
	v_cmp_gt_i16_sdwa s[6:7], v17, s4 src0_sel:BYTE_3 src1_sel:DWORD
	s_mov_b64 s[4:5], 0
                                        ; implicit-def: $sgpr10
	s_and_saveexec_b64 s[8:9], s[6:7]
	s_xor_b64 s[6:7], exec, s[8:9]
	s_cbranch_execnz .LBB3_3193
; %bb.1145:
	s_or_saveexec_b64 s[6:7], s[6:7]
	v_mov_b32_e32 v10, s10
	s_xor_b64 exec, exec, s[6:7]
	s_cbranch_execnz .LBB3_3196
.LBB3_1146:
	s_or_b64 exec, exec, s[6:7]
	s_and_saveexec_b64 s[6:7], s[4:5]
	s_cbranch_execz .LBB3_1148
.LBB3_1147:
	v_bfe_u32 v10, v17, 24, 3
	v_ffbh_u32_e32 v15, v10
	v_min_u32_e32 v15, 32, v15
	v_lshrrev_b32_e32 v12, 27, v17
	v_subrev_u32_e32 v16, 28, v15
	v_and_b32_e32 v12, 15, v12
	v_lshlrev_b32_sdwa v16, v16, v17 dst_sel:DWORD dst_unused:UNUSED_PAD src0_sel:DWORD src1_sel:BYTE_3
	v_bfe_u32 v14, v17, 27, 4
	v_sub_u32_e32 v15, 29, v15
	v_and_b32_e32 v16, 7, v16
	v_cmp_eq_u16_e32 vcc, 0, v12
	v_cndmask_b32_e32 v10, v10, v16, vcc
	v_cndmask_b32_e32 v12, v14, v15, vcc
	v_mov_b32_e32 v14, 0x3b800000
	v_and_b32_e32 v11, 0x80000000, v17
	v_lshlrev_b32_e32 v10, 20, v10
	v_lshl_add_u32 v12, v12, 23, v14
	v_or3_b32 v10, v11, v12, v10
.LBB3_1148:
	s_or_b64 exec, exec, s[6:7]
	s_movk_i32 s4, 0x7f
	v_cmp_gt_i16_sdwa s[6:7], v13, s4 src0_sel:BYTE_3 src1_sel:DWORD
	s_mov_b64 s[4:5], 0
                                        ; implicit-def: $sgpr10
	s_and_saveexec_b64 s[8:9], s[6:7]
	s_xor_b64 s[6:7], exec, s[8:9]
	s_cbranch_execnz .LBB3_3197
; %bb.1149:
	s_or_saveexec_b64 s[6:7], s[6:7]
	v_mov_b32_e32 v11, s10
	s_xor_b64 exec, exec, s[6:7]
	s_cbranch_execnz .LBB3_3200
.LBB3_1150:
	s_or_b64 exec, exec, s[6:7]
	s_and_saveexec_b64 s[6:7], s[4:5]
	s_cbranch_execz .LBB3_1152
.LBB3_1151:
	v_bfe_u32 v11, v13, 24, 3
	v_ffbh_u32_e32 v16, v11
	v_min_u32_e32 v16, 32, v16
	v_lshrrev_b32_e32 v14, 27, v13
	v_subrev_u32_e32 v17, 28, v16
	v_and_b32_e32 v12, 0x80000000, v13
	v_and_b32_e32 v14, 15, v14
	v_bfe_u32 v15, v13, 27, 4
	v_lshlrev_b32_sdwa v13, v17, v13 dst_sel:DWORD dst_unused:UNUSED_PAD src0_sel:DWORD src1_sel:BYTE_3
	v_sub_u32_e32 v16, 29, v16
	v_and_b32_e32 v13, 7, v13
	v_cmp_eq_u16_e32 vcc, 0, v14
	v_cndmask_b32_e32 v11, v11, v13, vcc
	v_cndmask_b32_e32 v13, v15, v16, vcc
	v_mov_b32_e32 v14, 0x3b800000
	v_lshlrev_b32_e32 v11, 20, v11
	v_lshl_add_u32 v13, v13, 23, v14
	v_or3_b32 v11, v12, v13, v11
.LBB3_1152:
	s_or_b64 exec, exec, s[6:7]
	s_nop 0
	v_mfma_f32_16x16x4f32 a[0:3], v10, v11, a[0:3]
	s_movk_i32 s4, 0x7f
	v_cmp_gt_i16_sdwa s[6:7], v6, s4 src0_sel:BYTE_0 src1_sel:DWORD
	s_mov_b64 s[4:5], 0
                                        ; implicit-def: $sgpr10
	s_and_saveexec_b64 s[8:9], s[6:7]
	s_xor_b64 s[6:7], exec, s[8:9]
	s_cbranch_execnz .LBB3_3201
; %bb.1153:
	s_or_saveexec_b64 s[6:7], s[6:7]
	v_mov_b32_e32 v10, s10
	s_xor_b64 exec, exec, s[6:7]
	s_cbranch_execnz .LBB3_3204
.LBB3_1154:
	s_or_b64 exec, exec, s[6:7]
	s_and_saveexec_b64 s[6:7], s[4:5]
	s_cbranch_execz .LBB3_1156
.LBB3_1155:
	v_and_b32_e32 v10, 7, v6
	v_ffbh_u32_e32 v12, v10
	v_min_u32_e32 v12, 32, v12
	v_lshrrev_b16_e32 v11, 3, v6
	v_subrev_u32_e32 v13, 28, v12
	v_and_b32_e32 v11, 15, v11
	v_lshlrev_b32_e32 v13, v13, v6
	v_sub_u32_e32 v12, 29, v12
	v_and_b32_e32 v13, 7, v13
	v_cmp_eq_u16_e32 vcc, 0, v11
	v_cndmask_b32_e32 v10, v10, v13, vcc
	v_cndmask_b32_e32 v11, v11, v12, vcc
	v_lshlrev_b32_e32 v12, 24, v6
	v_mov_b32_e32 v13, 0x3b800000
	v_lshlrev_b32_e32 v10, 20, v10
	v_and_b32_e32 v12, 0x80000000, v12
	v_lshl_add_u32 v11, v11, 23, v13
	v_or3_b32 v10, v12, v11, v10
.LBB3_1156:
	s_or_b64 exec, exec, s[6:7]
	s_movk_i32 s4, 0x7f
	v_cmp_gt_i16_sdwa s[6:7], v2, s4 src0_sel:BYTE_0 src1_sel:DWORD
	s_mov_b64 s[4:5], 0
                                        ; implicit-def: $sgpr10
	s_and_saveexec_b64 s[8:9], s[6:7]
	s_xor_b64 s[6:7], exec, s[8:9]
	s_cbranch_execnz .LBB3_3205
; %bb.1157:
	s_or_saveexec_b64 s[6:7], s[6:7]
	v_mov_b32_e32 v11, s10
	s_xor_b64 exec, exec, s[6:7]
	s_cbranch_execnz .LBB3_3208
.LBB3_1158:
	s_or_b64 exec, exec, s[6:7]
	s_and_saveexec_b64 s[6:7], s[4:5]
	s_cbranch_execz .LBB3_1160
.LBB3_1159:
	v_and_b32_e32 v11, 7, v2
	v_ffbh_u32_e32 v13, v11
	v_min_u32_e32 v13, 32, v13
	v_lshrrev_b16_e32 v12, 3, v2
	v_subrev_u32_e32 v14, 28, v13
	v_and_b32_e32 v12, 15, v12
	v_lshlrev_b32_e32 v14, v14, v2
	v_sub_u32_e32 v13, 29, v13
	v_and_b32_e32 v14, 7, v14
	v_cmp_eq_u16_e32 vcc, 0, v12
	v_cndmask_b32_e32 v11, v11, v14, vcc
	v_cndmask_b32_e32 v12, v12, v13, vcc
	v_lshlrev_b32_e32 v13, 24, v2
	v_mov_b32_e32 v14, 0x3b800000
	v_lshlrev_b32_e32 v11, 20, v11
	v_and_b32_e32 v13, 0x80000000, v13
	v_lshl_add_u32 v12, v12, 23, v14
	v_or3_b32 v11, v13, v12, v11
.LBB3_1160:
	s_or_b64 exec, exec, s[6:7]
	s_nop 0
	v_mfma_f32_16x16x4f32 a[0:3], v10, v11, a[0:3]
	v_lshrrev_b32_e32 v11, 8, v6
	s_movk_i32 s4, 0x7f
	v_cmp_gt_i16_sdwa s[6:7], v11, s4 src0_sel:BYTE_0 src1_sel:DWORD
	s_mov_b64 s[4:5], 0
                                        ; implicit-def: $sgpr10
	s_and_saveexec_b64 s[8:9], s[6:7]
	s_xor_b64 s[6:7], exec, s[8:9]
	s_cbranch_execnz .LBB3_3209
; %bb.1161:
	s_or_saveexec_b64 s[6:7], s[6:7]
	v_mov_b32_e32 v10, s10
	s_xor_b64 exec, exec, s[6:7]
	s_cbranch_execnz .LBB3_3212
.LBB3_1162:
	s_or_b64 exec, exec, s[6:7]
	s_and_saveexec_b64 s[6:7], s[4:5]
	s_cbranch_execz .LBB3_1164
.LBB3_1163:
	v_bfe_u32 v10, v6, 8, 3
	v_ffbh_u32_e32 v13, v10
	v_min_u32_e32 v13, 32, v13
	v_lshrrev_b16_e32 v12, 3, v11
	v_subrev_u32_e32 v14, 28, v13
	v_and_b32_e32 v12, 15, v12
	v_lshlrev_b32_e32 v11, v14, v11
	v_sub_u32_e32 v13, 29, v13
	v_and_b32_e32 v11, 7, v11
	v_cmp_eq_u16_e32 vcc, 0, v12
	v_cndmask_b32_e32 v10, v10, v11, vcc
	v_cndmask_b32_e32 v11, v12, v13, vcc
	v_lshlrev_b32_e32 v12, 16, v6
	v_mov_b32_e32 v13, 0x3b800000
	v_lshlrev_b32_e32 v10, 20, v10
	v_and_b32_e32 v12, 0x80000000, v12
	v_lshl_add_u32 v11, v11, 23, v13
	v_or3_b32 v10, v12, v11, v10
.LBB3_1164:
	s_or_b64 exec, exec, s[6:7]
	v_lshrrev_b32_e32 v11, 8, v2
	s_movk_i32 s4, 0x7f
	v_cmp_gt_i16_sdwa s[6:7], v11, s4 src0_sel:BYTE_0 src1_sel:DWORD
	s_mov_b64 s[4:5], 0
                                        ; implicit-def: $sgpr10
	s_and_saveexec_b64 s[8:9], s[6:7]
	s_xor_b64 s[6:7], exec, s[8:9]
	s_cbranch_execnz .LBB3_3213
; %bb.1165:
	s_or_saveexec_b64 s[6:7], s[6:7]
	v_mov_b32_e32 v12, s10
	s_xor_b64 exec, exec, s[6:7]
	s_cbranch_execnz .LBB3_3216
.LBB3_1166:
	s_or_b64 exec, exec, s[6:7]
	s_and_saveexec_b64 s[6:7], s[4:5]
	s_cbranch_execz .LBB3_1168
.LBB3_1167:
	v_bfe_u32 v12, v2, 8, 3
	v_ffbh_u32_e32 v14, v12
	v_min_u32_e32 v14, 32, v14
	v_lshrrev_b16_e32 v13, 3, v11
	v_subrev_u32_e32 v15, 28, v14
	v_and_b32_e32 v13, 15, v13
	v_lshlrev_b32_e32 v11, v15, v11
	v_sub_u32_e32 v14, 29, v14
	v_and_b32_e32 v11, 7, v11
	v_cmp_eq_u16_e32 vcc, 0, v13
	v_cndmask_b32_e32 v11, v12, v11, vcc
	v_cndmask_b32_e32 v12, v13, v14, vcc
	v_lshlrev_b32_e32 v13, 16, v2
	v_mov_b32_e32 v14, 0x3b800000
	v_lshlrev_b32_e32 v11, 20, v11
	v_and_b32_e32 v13, 0x80000000, v13
	v_lshl_add_u32 v12, v12, 23, v14
	v_or3_b32 v12, v13, v12, v11
.LBB3_1168:
	s_or_b64 exec, exec, s[6:7]
	s_nop 0
	v_mfma_f32_16x16x4f32 a[0:3], v10, v12, a[0:3]
	s_movk_i32 s4, 0xff
	v_and_b32_sdwa v11, v6, s4 dst_sel:DWORD dst_unused:UNUSED_PAD src0_sel:WORD_1 src1_sel:DWORD
	s_movk_i32 s4, 0x7f
	v_cmp_lt_i16_e32 vcc, s4, v11
	s_mov_b64 s[4:5], 0
                                        ; implicit-def: $sgpr10
	s_and_saveexec_b64 s[6:7], vcc
	s_xor_b64 s[6:7], exec, s[6:7]
	s_cbranch_execnz .LBB3_3217
; %bb.1169:
	s_or_saveexec_b64 s[6:7], s[6:7]
	v_mov_b32_e32 v10, s10
	s_xor_b64 exec, exec, s[6:7]
	s_cbranch_execnz .LBB3_3220
.LBB3_1170:
	s_or_b64 exec, exec, s[6:7]
	s_and_saveexec_b64 s[6:7], s[4:5]
	s_cbranch_execz .LBB3_1172
.LBB3_1171:
	v_bfe_u32 v10, v6, 16, 3
	v_ffbh_u32_e32 v13, v10
	v_min_u32_e32 v13, 32, v13
	v_lshrrev_b32_e32 v11, 19, v6
	v_subrev_u32_e32 v14, 28, v13
	v_and_b32_e32 v11, 15, v11
	v_lshlrev_b32_sdwa v14, v14, v6 dst_sel:DWORD dst_unused:UNUSED_PAD src0_sel:DWORD src1_sel:WORD_1
	v_bfe_u32 v12, v6, 19, 4
	v_sub_u32_e32 v13, 29, v13
	v_and_b32_e32 v14, 7, v14
	v_cmp_eq_u16_e32 vcc, 0, v11
	v_cndmask_b32_e32 v10, v10, v14, vcc
	v_cndmask_b32_e32 v11, v12, v13, vcc
	v_lshlrev_b32_e32 v12, 8, v6
	v_mov_b32_e32 v13, 0x3b800000
	v_lshlrev_b32_e32 v10, 20, v10
	v_and_b32_e32 v12, 0x80000000, v12
	v_lshl_add_u32 v11, v11, 23, v13
	v_or3_b32 v10, v12, v11, v10
.LBB3_1172:
	s_or_b64 exec, exec, s[6:7]
	s_movk_i32 s4, 0xff
	v_and_b32_sdwa v11, v2, s4 dst_sel:DWORD dst_unused:UNUSED_PAD src0_sel:WORD_1 src1_sel:DWORD
	s_movk_i32 s4, 0x7f
	v_cmp_lt_i16_e32 vcc, s4, v11
	s_mov_b64 s[4:5], 0
                                        ; implicit-def: $sgpr10
	s_and_saveexec_b64 s[6:7], vcc
	s_xor_b64 s[6:7], exec, s[6:7]
	s_cbranch_execnz .LBB3_3221
; %bb.1173:
	s_or_saveexec_b64 s[6:7], s[6:7]
	v_mov_b32_e32 v12, s10
	s_xor_b64 exec, exec, s[6:7]
	s_cbranch_execnz .LBB3_3224
.LBB3_1174:
	s_or_b64 exec, exec, s[6:7]
	s_and_saveexec_b64 s[6:7], s[4:5]
	s_cbranch_execz .LBB3_1176
.LBB3_1175:
	v_bfe_u32 v11, v2, 16, 3
	v_ffbh_u32_e32 v14, v11
	v_min_u32_e32 v14, 32, v14
	v_lshrrev_b32_e32 v12, 19, v2
	v_subrev_u32_e32 v15, 28, v14
	v_and_b32_e32 v12, 15, v12
	v_lshlrev_b32_sdwa v15, v15, v2 dst_sel:DWORD dst_unused:UNUSED_PAD src0_sel:DWORD src1_sel:WORD_1
	v_bfe_u32 v13, v2, 19, 4
	v_sub_u32_e32 v14, 29, v14
	v_and_b32_e32 v15, 7, v15
	v_cmp_eq_u16_e32 vcc, 0, v12
	v_cndmask_b32_e32 v11, v11, v15, vcc
	v_cndmask_b32_e32 v12, v13, v14, vcc
	v_lshlrev_b32_e32 v13, 8, v2
	v_mov_b32_e32 v14, 0x3b800000
	v_lshlrev_b32_e32 v11, 20, v11
	v_and_b32_e32 v13, 0x80000000, v13
	v_lshl_add_u32 v12, v12, 23, v14
	v_or3_b32 v12, v13, v12, v11
.LBB3_1176:
	s_or_b64 exec, exec, s[6:7]
	s_nop 0
	v_mfma_f32_16x16x4f32 a[0:3], v10, v12, a[0:3]
	s_movk_i32 s4, 0x7f
	v_cmp_gt_i16_sdwa s[6:7], v6, s4 src0_sel:BYTE_3 src1_sel:DWORD
	s_mov_b64 s[4:5], 0
                                        ; implicit-def: $sgpr10
	s_and_saveexec_b64 s[8:9], s[6:7]
	s_xor_b64 s[6:7], exec, s[8:9]
	s_cbranch_execnz .LBB3_3225
; %bb.1177:
	s_or_saveexec_b64 s[6:7], s[6:7]
	v_mov_b32_e32 v10, s10
	s_xor_b64 exec, exec, s[6:7]
	s_cbranch_execnz .LBB3_3228
.LBB3_1178:
	s_or_b64 exec, exec, s[6:7]
	s_and_saveexec_b64 s[6:7], s[4:5]
	s_cbranch_execz .LBB3_1180
.LBB3_1179:
	v_bfe_u32 v10, v6, 24, 3
	v_ffbh_u32_e32 v14, v10
	v_min_u32_e32 v14, 32, v14
	v_lshrrev_b32_e32 v12, 27, v6
	v_subrev_u32_e32 v15, 28, v14
	v_and_b32_e32 v11, 0x80000000, v6
	v_and_b32_e32 v12, 15, v12
	v_bfe_u32 v13, v6, 27, 4
	v_lshlrev_b32_sdwa v6, v15, v6 dst_sel:DWORD dst_unused:UNUSED_PAD src0_sel:DWORD src1_sel:BYTE_3
	v_sub_u32_e32 v14, 29, v14
	v_and_b32_e32 v6, 7, v6
	v_cmp_eq_u16_e32 vcc, 0, v12
	v_cndmask_b32_e32 v6, v10, v6, vcc
	v_cndmask_b32_e32 v10, v13, v14, vcc
	v_mov_b32_e32 v12, 0x3b800000
	v_lshlrev_b32_e32 v6, 20, v6
	v_lshl_add_u32 v10, v10, 23, v12
	v_or3_b32 v10, v11, v10, v6
.LBB3_1180:
	s_or_b64 exec, exec, s[6:7]
	s_movk_i32 s4, 0x7f
	v_cmp_gt_i16_sdwa s[6:7], v2, s4 src0_sel:BYTE_3 src1_sel:DWORD
	s_mov_b64 s[4:5], 0
                                        ; implicit-def: $sgpr10
	s_and_saveexec_b64 s[8:9], s[6:7]
	s_xor_b64 s[6:7], exec, s[8:9]
	s_cbranch_execnz .LBB3_3229
; %bb.1181:
	s_or_saveexec_b64 s[6:7], s[6:7]
	v_mov_b32_e32 v6, s10
	s_xor_b64 exec, exec, s[6:7]
	s_cbranch_execnz .LBB3_3232
.LBB3_1182:
	s_or_b64 exec, exec, s[6:7]
	s_and_saveexec_b64 s[6:7], s[4:5]
	s_cbranch_execz .LBB3_1184
.LBB3_1183:
	v_bfe_u32 v6, v2, 24, 3
	v_ffbh_u32_e32 v14, v6
	v_min_u32_e32 v14, 32, v14
	v_lshrrev_b32_e32 v12, 27, v2
	v_subrev_u32_e32 v15, 28, v14
	v_and_b32_e32 v11, 0x80000000, v2
	v_and_b32_e32 v12, 15, v12
	v_bfe_u32 v13, v2, 27, 4
	v_lshlrev_b32_sdwa v2, v15, v2 dst_sel:DWORD dst_unused:UNUSED_PAD src0_sel:DWORD src1_sel:BYTE_3
	v_sub_u32_e32 v14, 29, v14
	v_and_b32_e32 v2, 7, v2
	v_cmp_eq_u16_e32 vcc, 0, v12
	v_cndmask_b32_e32 v2, v6, v2, vcc
	v_cndmask_b32_e32 v6, v13, v14, vcc
	v_mov_b32_e32 v12, 0x3b800000
	v_lshlrev_b32_e32 v2, 20, v2
	v_lshl_add_u32 v6, v6, 23, v12
	v_or3_b32 v6, v11, v6, v2
.LBB3_1184:
	s_or_b64 exec, exec, s[6:7]
	s_nop 0
	v_mfma_f32_16x16x4f32 a[0:3], v10, v6, a[0:3]
	s_movk_i32 s4, 0x7f
	v_cmp_gt_i16_sdwa s[6:7], v7, s4 src0_sel:BYTE_0 src1_sel:DWORD
	s_mov_b64 s[4:5], 0
                                        ; implicit-def: $sgpr10
	s_and_saveexec_b64 s[8:9], s[6:7]
	s_xor_b64 s[6:7], exec, s[8:9]
	s_cbranch_execnz .LBB3_3233
; %bb.1185:
	s_or_saveexec_b64 s[6:7], s[6:7]
	v_mov_b32_e32 v2, s10
	s_xor_b64 exec, exec, s[6:7]
	s_cbranch_execnz .LBB3_3236
.LBB3_1186:
	s_or_b64 exec, exec, s[6:7]
	s_and_saveexec_b64 s[6:7], s[4:5]
	s_cbranch_execz .LBB3_1188
.LBB3_1187:
	v_and_b32_e32 v2, 7, v7
	v_ffbh_u32_e32 v10, v2
	v_min_u32_e32 v10, 32, v10
	v_lshrrev_b16_e32 v6, 3, v7
	v_subrev_u32_e32 v11, 28, v10
	v_and_b32_e32 v6, 15, v6
	v_lshlrev_b32_e32 v11, v11, v7
	v_sub_u32_e32 v10, 29, v10
	v_and_b32_e32 v11, 7, v11
	v_cmp_eq_u16_e32 vcc, 0, v6
	v_cndmask_b32_e32 v2, v2, v11, vcc
	v_cndmask_b32_e32 v6, v6, v10, vcc
	v_lshlrev_b32_e32 v10, 24, v7
	v_mov_b32_e32 v11, 0x3b800000
	v_lshlrev_b32_e32 v2, 20, v2
	v_and_b32_e32 v10, 0x80000000, v10
	v_lshl_add_u32 v6, v6, 23, v11
	v_or3_b32 v2, v10, v6, v2
.LBB3_1188:
	s_or_b64 exec, exec, s[6:7]
	s_movk_i32 s4, 0x7f
	v_cmp_gt_i16_sdwa s[6:7], v3, s4 src0_sel:BYTE_0 src1_sel:DWORD
	s_mov_b64 s[4:5], 0
                                        ; implicit-def: $sgpr10
	s_and_saveexec_b64 s[8:9], s[6:7]
	s_xor_b64 s[6:7], exec, s[8:9]
	s_cbranch_execnz .LBB3_3237
; %bb.1189:
	s_or_saveexec_b64 s[6:7], s[6:7]
	v_mov_b32_e32 v6, s10
	s_xor_b64 exec, exec, s[6:7]
	s_cbranch_execnz .LBB3_3240
.LBB3_1190:
	s_or_b64 exec, exec, s[6:7]
	s_and_saveexec_b64 s[6:7], s[4:5]
	s_cbranch_execz .LBB3_1192
.LBB3_1191:
	v_and_b32_e32 v6, 7, v3
	v_ffbh_u32_e32 v11, v6
	v_min_u32_e32 v11, 32, v11
	v_lshrrev_b16_e32 v10, 3, v3
	v_subrev_u32_e32 v12, 28, v11
	v_and_b32_e32 v10, 15, v10
	v_lshlrev_b32_e32 v12, v12, v3
	v_sub_u32_e32 v11, 29, v11
	v_and_b32_e32 v12, 7, v12
	v_cmp_eq_u16_e32 vcc, 0, v10
	v_cndmask_b32_e32 v6, v6, v12, vcc
	v_cndmask_b32_e32 v10, v10, v11, vcc
	v_lshlrev_b32_e32 v11, 24, v3
	v_mov_b32_e32 v12, 0x3b800000
	v_lshlrev_b32_e32 v6, 20, v6
	v_and_b32_e32 v11, 0x80000000, v11
	v_lshl_add_u32 v10, v10, 23, v12
	v_or3_b32 v6, v11, v10, v6
.LBB3_1192:
	s_or_b64 exec, exec, s[6:7]
	s_nop 0
	v_mfma_f32_16x16x4f32 a[0:3], v2, v6, a[0:3]
	v_lshrrev_b32_e32 v6, 8, v7
	s_movk_i32 s4, 0x7f
	v_cmp_gt_i16_sdwa s[6:7], v6, s4 src0_sel:BYTE_0 src1_sel:DWORD
	s_mov_b64 s[4:5], 0
                                        ; implicit-def: $sgpr10
	s_and_saveexec_b64 s[8:9], s[6:7]
	s_xor_b64 s[6:7], exec, s[8:9]
	s_cbranch_execnz .LBB3_3241
; %bb.1193:
	s_or_saveexec_b64 s[6:7], s[6:7]
	v_mov_b32_e32 v2, s10
	s_xor_b64 exec, exec, s[6:7]
	s_cbranch_execnz .LBB3_3244
.LBB3_1194:
	s_or_b64 exec, exec, s[6:7]
	s_and_saveexec_b64 s[6:7], s[4:5]
	s_cbranch_execz .LBB3_1196
.LBB3_1195:
	v_bfe_u32 v2, v7, 8, 3
	v_ffbh_u32_e32 v11, v2
	v_min_u32_e32 v11, 32, v11
	v_lshrrev_b16_e32 v10, 3, v6
	v_subrev_u32_e32 v12, 28, v11
	v_and_b32_e32 v10, 15, v10
	v_lshlrev_b32_e32 v6, v12, v6
	v_sub_u32_e32 v11, 29, v11
	v_and_b32_e32 v6, 7, v6
	v_cmp_eq_u16_e32 vcc, 0, v10
	v_cndmask_b32_e32 v2, v2, v6, vcc
	v_cndmask_b32_e32 v6, v10, v11, vcc
	v_lshlrev_b32_e32 v10, 16, v7
	v_mov_b32_e32 v11, 0x3b800000
	v_lshlrev_b32_e32 v2, 20, v2
	v_and_b32_e32 v10, 0x80000000, v10
	v_lshl_add_u32 v6, v6, 23, v11
	v_or3_b32 v2, v10, v6, v2
.LBB3_1196:
	s_or_b64 exec, exec, s[6:7]
	v_lshrrev_b32_e32 v6, 8, v3
	s_movk_i32 s4, 0x7f
	v_cmp_gt_i16_sdwa s[6:7], v6, s4 src0_sel:BYTE_0 src1_sel:DWORD
	s_mov_b64 s[4:5], 0
                                        ; implicit-def: $sgpr10
	s_and_saveexec_b64 s[8:9], s[6:7]
	s_xor_b64 s[6:7], exec, s[8:9]
	s_cbranch_execnz .LBB3_3245
; %bb.1197:
	s_or_saveexec_b64 s[6:7], s[6:7]
	v_mov_b32_e32 v10, s10
	s_xor_b64 exec, exec, s[6:7]
	s_cbranch_execnz .LBB3_3248
.LBB3_1198:
	s_or_b64 exec, exec, s[6:7]
	s_and_saveexec_b64 s[6:7], s[4:5]
	s_cbranch_execz .LBB3_1200
.LBB3_1199:
	v_bfe_u32 v10, v3, 8, 3
	v_ffbh_u32_e32 v12, v10
	v_min_u32_e32 v12, 32, v12
	v_lshrrev_b16_e32 v11, 3, v6
	v_subrev_u32_e32 v13, 28, v12
	v_and_b32_e32 v11, 15, v11
	v_lshlrev_b32_e32 v6, v13, v6
	v_sub_u32_e32 v12, 29, v12
	v_and_b32_e32 v6, 7, v6
	v_cmp_eq_u16_e32 vcc, 0, v11
	v_cndmask_b32_e32 v6, v10, v6, vcc
	v_cndmask_b32_e32 v10, v11, v12, vcc
	v_lshlrev_b32_e32 v11, 16, v3
	v_mov_b32_e32 v12, 0x3b800000
	v_lshlrev_b32_e32 v6, 20, v6
	v_and_b32_e32 v11, 0x80000000, v11
	v_lshl_add_u32 v10, v10, 23, v12
	v_or3_b32 v10, v11, v10, v6
.LBB3_1200:
	s_or_b64 exec, exec, s[6:7]
	s_nop 0
	v_mfma_f32_16x16x4f32 a[0:3], v2, v10, a[0:3]
	s_movk_i32 s4, 0xff
	v_and_b32_sdwa v6, v7, s4 dst_sel:DWORD dst_unused:UNUSED_PAD src0_sel:WORD_1 src1_sel:DWORD
	s_movk_i32 s4, 0x7f
	v_cmp_lt_i16_e32 vcc, s4, v6
	s_mov_b64 s[4:5], 0
                                        ; implicit-def: $sgpr10
	s_and_saveexec_b64 s[6:7], vcc
	s_xor_b64 s[6:7], exec, s[6:7]
	s_cbranch_execnz .LBB3_3249
; %bb.1201:
	s_or_saveexec_b64 s[6:7], s[6:7]
	v_mov_b32_e32 v2, s10
	s_xor_b64 exec, exec, s[6:7]
	s_cbranch_execnz .LBB3_3252
.LBB3_1202:
	s_or_b64 exec, exec, s[6:7]
	s_and_saveexec_b64 s[6:7], s[4:5]
	s_cbranch_execz .LBB3_1204
.LBB3_1203:
	v_bfe_u32 v2, v7, 16, 3
	v_ffbh_u32_e32 v11, v2
	v_min_u32_e32 v11, 32, v11
	v_lshrrev_b32_e32 v6, 19, v7
	v_subrev_u32_e32 v12, 28, v11
	v_and_b32_e32 v6, 15, v6
	v_lshlrev_b32_sdwa v12, v12, v7 dst_sel:DWORD dst_unused:UNUSED_PAD src0_sel:DWORD src1_sel:WORD_1
	v_bfe_u32 v10, v7, 19, 4
	v_sub_u32_e32 v11, 29, v11
	v_and_b32_e32 v12, 7, v12
	v_cmp_eq_u16_e32 vcc, 0, v6
	v_cndmask_b32_e32 v2, v2, v12, vcc
	v_cndmask_b32_e32 v6, v10, v11, vcc
	v_lshlrev_b32_e32 v10, 8, v7
	v_mov_b32_e32 v11, 0x3b800000
	v_lshlrev_b32_e32 v2, 20, v2
	v_and_b32_e32 v10, 0x80000000, v10
	v_lshl_add_u32 v6, v6, 23, v11
	v_or3_b32 v2, v10, v6, v2
.LBB3_1204:
	s_or_b64 exec, exec, s[6:7]
	s_movk_i32 s4, 0xff
	v_and_b32_sdwa v6, v3, s4 dst_sel:DWORD dst_unused:UNUSED_PAD src0_sel:WORD_1 src1_sel:DWORD
	s_movk_i32 s4, 0x7f
	v_cmp_lt_i16_e32 vcc, s4, v6
	s_mov_b64 s[4:5], 0
                                        ; implicit-def: $sgpr10
	s_and_saveexec_b64 s[6:7], vcc
	s_xor_b64 s[6:7], exec, s[6:7]
	s_cbranch_execnz .LBB3_3253
; %bb.1205:
	s_or_saveexec_b64 s[6:7], s[6:7]
	v_mov_b32_e32 v10, s10
	s_xor_b64 exec, exec, s[6:7]
	s_cbranch_execnz .LBB3_3256
.LBB3_1206:
	s_or_b64 exec, exec, s[6:7]
	s_and_saveexec_b64 s[6:7], s[4:5]
	s_cbranch_execz .LBB3_1208
.LBB3_1207:
	v_bfe_u32 v6, v3, 16, 3
	v_ffbh_u32_e32 v12, v6
	v_min_u32_e32 v12, 32, v12
	v_lshrrev_b32_e32 v10, 19, v3
	v_subrev_u32_e32 v13, 28, v12
	v_and_b32_e32 v10, 15, v10
	v_lshlrev_b32_sdwa v13, v13, v3 dst_sel:DWORD dst_unused:UNUSED_PAD src0_sel:DWORD src1_sel:WORD_1
	v_bfe_u32 v11, v3, 19, 4
	v_sub_u32_e32 v12, 29, v12
	v_and_b32_e32 v13, 7, v13
	v_cmp_eq_u16_e32 vcc, 0, v10
	v_cndmask_b32_e32 v6, v6, v13, vcc
	v_cndmask_b32_e32 v10, v11, v12, vcc
	v_lshlrev_b32_e32 v11, 8, v3
	v_mov_b32_e32 v12, 0x3b800000
	v_lshlrev_b32_e32 v6, 20, v6
	v_and_b32_e32 v11, 0x80000000, v11
	v_lshl_add_u32 v10, v10, 23, v12
	v_or3_b32 v10, v11, v10, v6
.LBB3_1208:
	s_or_b64 exec, exec, s[6:7]
	s_nop 0
	v_mfma_f32_16x16x4f32 a[0:3], v2, v10, a[0:3]
	s_movk_i32 s4, 0x7f
	v_cmp_gt_i16_sdwa s[6:7], v7, s4 src0_sel:BYTE_3 src1_sel:DWORD
	s_mov_b64 s[4:5], 0
                                        ; implicit-def: $sgpr10
	s_and_saveexec_b64 s[8:9], s[6:7]
	s_xor_b64 s[6:7], exec, s[8:9]
	s_cbranch_execnz .LBB3_3257
; %bb.1209:
	s_or_saveexec_b64 s[6:7], s[6:7]
	v_mov_b32_e32 v2, s10
	s_xor_b64 exec, exec, s[6:7]
	s_cbranch_execnz .LBB3_3260
.LBB3_1210:
	s_or_b64 exec, exec, s[6:7]
	s_and_saveexec_b64 s[6:7], s[4:5]
	s_cbranch_execz .LBB3_1212
.LBB3_1211:
	v_bfe_u32 v2, v7, 24, 3
	v_ffbh_u32_e32 v12, v2
	v_min_u32_e32 v12, 32, v12
	v_lshrrev_b32_e32 v10, 27, v7
	v_subrev_u32_e32 v13, 28, v12
	v_and_b32_e32 v6, 0x80000000, v7
	v_and_b32_e32 v10, 15, v10
	v_bfe_u32 v11, v7, 27, 4
	v_lshlrev_b32_sdwa v7, v13, v7 dst_sel:DWORD dst_unused:UNUSED_PAD src0_sel:DWORD src1_sel:BYTE_3
	v_sub_u32_e32 v12, 29, v12
	v_and_b32_e32 v7, 7, v7
	v_cmp_eq_u16_e32 vcc, 0, v10
	v_cndmask_b32_e32 v2, v2, v7, vcc
	v_cndmask_b32_e32 v7, v11, v12, vcc
	v_mov_b32_e32 v10, 0x3b800000
	v_lshlrev_b32_e32 v2, 20, v2
	v_lshl_add_u32 v7, v7, 23, v10
	v_or3_b32 v2, v6, v7, v2
.LBB3_1212:
	s_or_b64 exec, exec, s[6:7]
	s_movk_i32 s4, 0x7f
	v_cmp_gt_i16_sdwa s[6:7], v3, s4 src0_sel:BYTE_3 src1_sel:DWORD
	s_mov_b64 s[4:5], 0
                                        ; implicit-def: $sgpr10
	s_and_saveexec_b64 s[8:9], s[6:7]
	s_xor_b64 s[6:7], exec, s[8:9]
	s_cbranch_execnz .LBB3_3261
; %bb.1213:
	s_or_saveexec_b64 s[6:7], s[6:7]
	v_mov_b32_e32 v6, s10
	s_xor_b64 exec, exec, s[6:7]
	s_cbranch_execnz .LBB3_3264
.LBB3_1214:
	s_or_b64 exec, exec, s[6:7]
	s_and_saveexec_b64 s[6:7], s[4:5]
	s_cbranch_execz .LBB3_1216
.LBB3_1215:
	v_bfe_u32 v6, v3, 24, 3
	v_ffbh_u32_e32 v12, v6
	v_min_u32_e32 v12, 32, v12
	v_lshrrev_b32_e32 v10, 27, v3
	v_subrev_u32_e32 v13, 28, v12
	v_and_b32_e32 v7, 0x80000000, v3
	v_and_b32_e32 v10, 15, v10
	v_bfe_u32 v11, v3, 27, 4
	v_lshlrev_b32_sdwa v3, v13, v3 dst_sel:DWORD dst_unused:UNUSED_PAD src0_sel:DWORD src1_sel:BYTE_3
	v_sub_u32_e32 v12, 29, v12
	v_and_b32_e32 v3, 7, v3
	v_cmp_eq_u16_e32 vcc, 0, v10
	v_cndmask_b32_e32 v3, v6, v3, vcc
	v_cndmask_b32_e32 v6, v11, v12, vcc
	v_mov_b32_e32 v10, 0x3b800000
	v_lshlrev_b32_e32 v3, 20, v3
	v_lshl_add_u32 v6, v6, 23, v10
	v_or3_b32 v6, v7, v6, v3
.LBB3_1216:
	s_or_b64 exec, exec, s[6:7]
	s_nop 0
	v_mfma_f32_16x16x4f32 a[0:3], v2, v6, a[0:3]
	s_movk_i32 s4, 0x7f
	v_cmp_gt_i16_sdwa s[6:7], v8, s4 src0_sel:BYTE_0 src1_sel:DWORD
	s_mov_b64 s[4:5], 0
                                        ; implicit-def: $sgpr10
	s_and_saveexec_b64 s[8:9], s[6:7]
	s_xor_b64 s[6:7], exec, s[8:9]
	s_cbranch_execnz .LBB3_3265
; %bb.1217:
	s_or_saveexec_b64 s[6:7], s[6:7]
	v_mov_b32_e32 v2, s10
	s_xor_b64 exec, exec, s[6:7]
	s_cbranch_execnz .LBB3_3268
.LBB3_1218:
	s_or_b64 exec, exec, s[6:7]
	s_and_saveexec_b64 s[6:7], s[4:5]
	s_cbranch_execz .LBB3_1220
.LBB3_1219:
	v_and_b32_e32 v2, 7, v8
	v_ffbh_u32_e32 v6, v2
	v_min_u32_e32 v6, 32, v6
	v_lshrrev_b16_e32 v3, 3, v8
	v_subrev_u32_e32 v7, 28, v6
	v_and_b32_e32 v3, 15, v3
	v_lshlrev_b32_e32 v7, v7, v8
	v_sub_u32_e32 v6, 29, v6
	v_and_b32_e32 v7, 7, v7
	v_cmp_eq_u16_e32 vcc, 0, v3
	v_cndmask_b32_e32 v2, v2, v7, vcc
	v_cndmask_b32_e32 v3, v3, v6, vcc
	v_lshlrev_b32_e32 v6, 24, v8
	v_mov_b32_e32 v7, 0x3b800000
	v_lshlrev_b32_e32 v2, 20, v2
	v_and_b32_e32 v6, 0x80000000, v6
	v_lshl_add_u32 v3, v3, 23, v7
	v_or3_b32 v2, v6, v3, v2
.LBB3_1220:
	s_or_b64 exec, exec, s[6:7]
	s_movk_i32 s4, 0x7f
	v_cmp_gt_i16_sdwa s[6:7], v4, s4 src0_sel:BYTE_0 src1_sel:DWORD
	s_mov_b64 s[4:5], 0
                                        ; implicit-def: $sgpr10
	s_and_saveexec_b64 s[8:9], s[6:7]
	s_xor_b64 s[6:7], exec, s[8:9]
	s_cbranch_execnz .LBB3_3269
; %bb.1221:
	s_or_saveexec_b64 s[6:7], s[6:7]
	v_mov_b32_e32 v3, s10
	s_xor_b64 exec, exec, s[6:7]
	s_cbranch_execnz .LBB3_3272
.LBB3_1222:
	s_or_b64 exec, exec, s[6:7]
	s_and_saveexec_b64 s[6:7], s[4:5]
	s_cbranch_execz .LBB3_1224
.LBB3_1223:
	v_and_b32_e32 v3, 7, v4
	v_ffbh_u32_e32 v7, v3
	v_min_u32_e32 v7, 32, v7
	v_lshrrev_b16_e32 v6, 3, v4
	v_subrev_u32_e32 v10, 28, v7
	v_and_b32_e32 v6, 15, v6
	v_lshlrev_b32_e32 v10, v10, v4
	v_sub_u32_e32 v7, 29, v7
	v_and_b32_e32 v10, 7, v10
	v_cmp_eq_u16_e32 vcc, 0, v6
	v_cndmask_b32_e32 v3, v3, v10, vcc
	v_cndmask_b32_e32 v6, v6, v7, vcc
	v_lshlrev_b32_e32 v7, 24, v4
	v_mov_b32_e32 v10, 0x3b800000
	v_lshlrev_b32_e32 v3, 20, v3
	v_and_b32_e32 v7, 0x80000000, v7
	v_lshl_add_u32 v6, v6, 23, v10
	v_or3_b32 v3, v7, v6, v3
.LBB3_1224:
	s_or_b64 exec, exec, s[6:7]
	s_nop 0
	v_mfma_f32_16x16x4f32 a[0:3], v2, v3, a[0:3]
	v_lshrrev_b32_e32 v3, 8, v8
	s_movk_i32 s4, 0x7f
	v_cmp_gt_i16_sdwa s[6:7], v3, s4 src0_sel:BYTE_0 src1_sel:DWORD
	s_mov_b64 s[4:5], 0
                                        ; implicit-def: $sgpr10
	s_and_saveexec_b64 s[8:9], s[6:7]
	s_xor_b64 s[6:7], exec, s[8:9]
	s_cbranch_execnz .LBB3_3273
; %bb.1225:
	s_or_saveexec_b64 s[6:7], s[6:7]
	v_mov_b32_e32 v2, s10
	s_xor_b64 exec, exec, s[6:7]
	s_cbranch_execnz .LBB3_3276
.LBB3_1226:
	s_or_b64 exec, exec, s[6:7]
	s_and_saveexec_b64 s[6:7], s[4:5]
	s_cbranch_execz .LBB3_1228
.LBB3_1227:
	v_bfe_u32 v2, v8, 8, 3
	v_ffbh_u32_e32 v7, v2
	v_min_u32_e32 v7, 32, v7
	v_lshrrev_b16_e32 v6, 3, v3
	v_subrev_u32_e32 v10, 28, v7
	v_and_b32_e32 v6, 15, v6
	v_lshlrev_b32_e32 v3, v10, v3
	v_sub_u32_e32 v7, 29, v7
	v_and_b32_e32 v3, 7, v3
	v_cmp_eq_u16_e32 vcc, 0, v6
	v_cndmask_b32_e32 v2, v2, v3, vcc
	v_cndmask_b32_e32 v3, v6, v7, vcc
	v_lshlrev_b32_e32 v6, 16, v8
	v_mov_b32_e32 v7, 0x3b800000
	v_lshlrev_b32_e32 v2, 20, v2
	v_and_b32_e32 v6, 0x80000000, v6
	v_lshl_add_u32 v3, v3, 23, v7
	v_or3_b32 v2, v6, v3, v2
.LBB3_1228:
	s_or_b64 exec, exec, s[6:7]
	v_lshrrev_b32_e32 v3, 8, v4
	s_movk_i32 s4, 0x7f
	v_cmp_gt_i16_sdwa s[6:7], v3, s4 src0_sel:BYTE_0 src1_sel:DWORD
	s_mov_b64 s[4:5], 0
                                        ; implicit-def: $sgpr10
	s_and_saveexec_b64 s[8:9], s[6:7]
	s_xor_b64 s[6:7], exec, s[8:9]
	s_cbranch_execnz .LBB3_3277
; %bb.1229:
	s_or_saveexec_b64 s[6:7], s[6:7]
	v_mov_b32_e32 v6, s10
	s_xor_b64 exec, exec, s[6:7]
	s_cbranch_execnz .LBB3_3280
.LBB3_1230:
	s_or_b64 exec, exec, s[6:7]
	s_and_saveexec_b64 s[6:7], s[4:5]
	s_cbranch_execz .LBB3_1232
.LBB3_1231:
	v_bfe_u32 v6, v4, 8, 3
	v_ffbh_u32_e32 v10, v6
	v_min_u32_e32 v10, 32, v10
	v_lshrrev_b16_e32 v7, 3, v3
	v_subrev_u32_e32 v11, 28, v10
	v_and_b32_e32 v7, 15, v7
	v_lshlrev_b32_e32 v3, v11, v3
	v_sub_u32_e32 v10, 29, v10
	v_and_b32_e32 v3, 7, v3
	v_cmp_eq_u16_e32 vcc, 0, v7
	v_cndmask_b32_e32 v3, v6, v3, vcc
	v_cndmask_b32_e32 v6, v7, v10, vcc
	v_lshlrev_b32_e32 v7, 16, v4
	v_mov_b32_e32 v10, 0x3b800000
	v_lshlrev_b32_e32 v3, 20, v3
	v_and_b32_e32 v7, 0x80000000, v7
	v_lshl_add_u32 v6, v6, 23, v10
	v_or3_b32 v6, v7, v6, v3
.LBB3_1232:
	s_or_b64 exec, exec, s[6:7]
	s_nop 0
	v_mfma_f32_16x16x4f32 a[0:3], v2, v6, a[0:3]
	s_movk_i32 s4, 0xff
	v_and_b32_sdwa v3, v8, s4 dst_sel:DWORD dst_unused:UNUSED_PAD src0_sel:WORD_1 src1_sel:DWORD
	s_movk_i32 s4, 0x7f
	v_cmp_lt_i16_e32 vcc, s4, v3
	s_mov_b64 s[4:5], 0
                                        ; implicit-def: $sgpr10
	s_and_saveexec_b64 s[6:7], vcc
	s_xor_b64 s[6:7], exec, s[6:7]
	s_cbranch_execnz .LBB3_3281
; %bb.1233:
	s_or_saveexec_b64 s[6:7], s[6:7]
	v_mov_b32_e32 v2, s10
	s_xor_b64 exec, exec, s[6:7]
	s_cbranch_execnz .LBB3_3284
.LBB3_1234:
	s_or_b64 exec, exec, s[6:7]
	s_and_saveexec_b64 s[6:7], s[4:5]
	s_cbranch_execz .LBB3_1236
.LBB3_1235:
	v_bfe_u32 v2, v8, 16, 3
	v_ffbh_u32_e32 v7, v2
	v_min_u32_e32 v7, 32, v7
	v_lshrrev_b32_e32 v3, 19, v8
	v_subrev_u32_e32 v10, 28, v7
	v_and_b32_e32 v3, 15, v3
	v_lshlrev_b32_sdwa v10, v10, v8 dst_sel:DWORD dst_unused:UNUSED_PAD src0_sel:DWORD src1_sel:WORD_1
	v_bfe_u32 v6, v8, 19, 4
	v_sub_u32_e32 v7, 29, v7
	v_and_b32_e32 v10, 7, v10
	v_cmp_eq_u16_e32 vcc, 0, v3
	v_cndmask_b32_e32 v2, v2, v10, vcc
	v_cndmask_b32_e32 v3, v6, v7, vcc
	v_lshlrev_b32_e32 v6, 8, v8
	v_mov_b32_e32 v7, 0x3b800000
	v_lshlrev_b32_e32 v2, 20, v2
	v_and_b32_e32 v6, 0x80000000, v6
	v_lshl_add_u32 v3, v3, 23, v7
	v_or3_b32 v2, v6, v3, v2
.LBB3_1236:
	s_or_b64 exec, exec, s[6:7]
	s_movk_i32 s4, 0xff
	v_and_b32_sdwa v3, v4, s4 dst_sel:DWORD dst_unused:UNUSED_PAD src0_sel:WORD_1 src1_sel:DWORD
	s_movk_i32 s4, 0x7f
	v_cmp_lt_i16_e32 vcc, s4, v3
	s_mov_b64 s[4:5], 0
                                        ; implicit-def: $sgpr10
	s_and_saveexec_b64 s[6:7], vcc
	s_xor_b64 s[6:7], exec, s[6:7]
	s_cbranch_execnz .LBB3_3285
; %bb.1237:
	s_or_saveexec_b64 s[6:7], s[6:7]
	v_mov_b32_e32 v6, s10
	s_xor_b64 exec, exec, s[6:7]
	s_cbranch_execnz .LBB3_3288
.LBB3_1238:
	s_or_b64 exec, exec, s[6:7]
	s_and_saveexec_b64 s[6:7], s[4:5]
	s_cbranch_execz .LBB3_1240
.LBB3_1239:
	v_bfe_u32 v3, v4, 16, 3
	v_ffbh_u32_e32 v10, v3
	v_min_u32_e32 v10, 32, v10
	v_lshrrev_b32_e32 v6, 19, v4
	v_subrev_u32_e32 v11, 28, v10
	v_and_b32_e32 v6, 15, v6
	v_lshlrev_b32_sdwa v11, v11, v4 dst_sel:DWORD dst_unused:UNUSED_PAD src0_sel:DWORD src1_sel:WORD_1
	v_bfe_u32 v7, v4, 19, 4
	v_sub_u32_e32 v10, 29, v10
	v_and_b32_e32 v11, 7, v11
	v_cmp_eq_u16_e32 vcc, 0, v6
	v_cndmask_b32_e32 v3, v3, v11, vcc
	v_cndmask_b32_e32 v6, v7, v10, vcc
	v_lshlrev_b32_e32 v7, 8, v4
	v_mov_b32_e32 v10, 0x3b800000
	v_lshlrev_b32_e32 v3, 20, v3
	v_and_b32_e32 v7, 0x80000000, v7
	v_lshl_add_u32 v6, v6, 23, v10
	v_or3_b32 v6, v7, v6, v3
.LBB3_1240:
	s_or_b64 exec, exec, s[6:7]
	s_nop 0
	v_mfma_f32_16x16x4f32 a[0:3], v2, v6, a[0:3]
	s_movk_i32 s4, 0x7f
	v_cmp_gt_i16_sdwa s[6:7], v8, s4 src0_sel:BYTE_3 src1_sel:DWORD
	s_mov_b64 s[4:5], 0
                                        ; implicit-def: $sgpr10
	s_and_saveexec_b64 s[8:9], s[6:7]
	s_xor_b64 s[6:7], exec, s[8:9]
	s_cbranch_execnz .LBB3_3289
; %bb.1241:
	s_or_saveexec_b64 s[6:7], s[6:7]
	v_mov_b32_e32 v2, s10
	s_xor_b64 exec, exec, s[6:7]
	s_cbranch_execnz .LBB3_3292
.LBB3_1242:
	s_or_b64 exec, exec, s[6:7]
	s_and_saveexec_b64 s[6:7], s[4:5]
	s_cbranch_execz .LBB3_1244
.LBB3_1243:
	v_bfe_u32 v2, v8, 24, 3
	v_ffbh_u32_e32 v10, v2
	v_min_u32_e32 v10, 32, v10
	v_lshrrev_b32_e32 v6, 27, v8
	v_subrev_u32_e32 v11, 28, v10
	v_and_b32_e32 v3, 0x80000000, v8
	v_and_b32_e32 v6, 15, v6
	v_bfe_u32 v7, v8, 27, 4
	v_lshlrev_b32_sdwa v8, v11, v8 dst_sel:DWORD dst_unused:UNUSED_PAD src0_sel:DWORD src1_sel:BYTE_3
	v_sub_u32_e32 v10, 29, v10
	v_and_b32_e32 v8, 7, v8
	v_cmp_eq_u16_e32 vcc, 0, v6
	v_cndmask_b32_e32 v2, v2, v8, vcc
	v_cndmask_b32_e32 v6, v7, v10, vcc
	v_mov_b32_e32 v7, 0x3b800000
	v_lshlrev_b32_e32 v2, 20, v2
	v_lshl_add_u32 v6, v6, 23, v7
	v_or3_b32 v2, v3, v6, v2
.LBB3_1244:
	s_or_b64 exec, exec, s[6:7]
	s_movk_i32 s4, 0x7f
	v_cmp_gt_i16_sdwa s[6:7], v4, s4 src0_sel:BYTE_3 src1_sel:DWORD
	s_mov_b64 s[4:5], 0
                                        ; implicit-def: $sgpr10
	s_and_saveexec_b64 s[8:9], s[6:7]
	s_xor_b64 s[6:7], exec, s[8:9]
	s_cbranch_execnz .LBB3_3293
; %bb.1245:
	s_or_saveexec_b64 s[6:7], s[6:7]
	v_mov_b32_e32 v3, s10
	s_xor_b64 exec, exec, s[6:7]
	s_cbranch_execnz .LBB3_3296
.LBB3_1246:
	s_or_b64 exec, exec, s[6:7]
	s_and_saveexec_b64 s[6:7], s[4:5]
	s_cbranch_execz .LBB3_1248
.LBB3_1247:
	v_bfe_u32 v3, v4, 24, 3
	v_ffbh_u32_e32 v10, v3
	v_min_u32_e32 v10, 32, v10
	v_lshrrev_b32_e32 v7, 27, v4
	v_subrev_u32_e32 v11, 28, v10
	v_and_b32_e32 v6, 0x80000000, v4
	v_and_b32_e32 v7, 15, v7
	v_bfe_u32 v8, v4, 27, 4
	v_lshlrev_b32_sdwa v4, v11, v4 dst_sel:DWORD dst_unused:UNUSED_PAD src0_sel:DWORD src1_sel:BYTE_3
	v_sub_u32_e32 v10, 29, v10
	v_and_b32_e32 v4, 7, v4
	v_cmp_eq_u16_e32 vcc, 0, v7
	v_cndmask_b32_e32 v3, v3, v4, vcc
	v_cndmask_b32_e32 v4, v8, v10, vcc
	v_mov_b32_e32 v7, 0x3b800000
	v_lshlrev_b32_e32 v3, 20, v3
	v_lshl_add_u32 v4, v4, 23, v7
	v_or3_b32 v3, v6, v4, v3
.LBB3_1248:
	s_or_b64 exec, exec, s[6:7]
	s_nop 0
	v_mfma_f32_16x16x4f32 a[0:3], v2, v3, a[0:3]
	s_movk_i32 s4, 0x7f
	v_cmp_gt_i16_sdwa s[6:7], v9, s4 src0_sel:BYTE_0 src1_sel:DWORD
	s_mov_b64 s[4:5], 0
                                        ; implicit-def: $sgpr10
	s_and_saveexec_b64 s[8:9], s[6:7]
	s_xor_b64 s[6:7], exec, s[8:9]
	s_cbranch_execnz .LBB3_3297
; %bb.1249:
	s_or_saveexec_b64 s[6:7], s[6:7]
	v_mov_b32_e32 v2, s10
	s_xor_b64 exec, exec, s[6:7]
	s_cbranch_execnz .LBB3_3300
.LBB3_1250:
	s_or_b64 exec, exec, s[6:7]
	s_and_saveexec_b64 s[6:7], s[4:5]
	s_cbranch_execz .LBB3_1252
.LBB3_1251:
	v_mov_b32_e32 v2, 8
	v_and_b32_e32 v3, 7, v9
	v_lshrrev_b32_sdwa v2, v2, v9 dst_sel:BYTE_1 dst_unused:UNUSED_PAD src0_sel:DWORD src1_sel:DWORD
	v_ffbh_u32_e32 v4, v3
	v_or_b32_sdwa v2, v9, v2 dst_sel:DWORD dst_unused:UNUSED_PAD src0_sel:BYTE_0 src1_sel:DWORD
	v_min_u32_e32 v4, 32, v4
	v_lshrrev_b16_e32 v2, 3, v2
	v_subrev_u32_e32 v6, 28, v4
	v_and_b32_e32 v2, 15, v2
	v_lshlrev_b32_e32 v6, v6, v9
	v_sub_u32_e32 v4, 29, v4
	v_and_b32_e32 v6, 7, v6
	v_cmp_eq_u16_e32 vcc, 0, v2
	v_cndmask_b32_e32 v3, v3, v6, vcc
	v_cndmask_b32_e32 v2, v2, v4, vcc
	v_lshlrev_b32_e32 v4, 24, v9
	v_mov_b32_e32 v6, 0x3b800000
	v_lshlrev_b32_e32 v3, 20, v3
	v_and_b32_e32 v4, 0x80000000, v4
	v_lshl_add_u32 v2, v2, 23, v6
	v_or3_b32 v2, v4, v2, v3
.LBB3_1252:
	s_or_b64 exec, exec, s[6:7]
	s_movk_i32 s4, 0x7f
	v_cmp_gt_i16_sdwa s[6:7], v5, s4 src0_sel:BYTE_0 src1_sel:DWORD
	s_mov_b64 s[4:5], 0
                                        ; implicit-def: $sgpr10
	s_and_saveexec_b64 s[8:9], s[6:7]
	s_xor_b64 s[6:7], exec, s[8:9]
	s_cbranch_execnz .LBB3_3301
; %bb.1253:
	s_or_saveexec_b64 s[6:7], s[6:7]
	v_mov_b32_e32 v3, s10
	s_xor_b64 exec, exec, s[6:7]
	s_cbranch_execnz .LBB3_3304
.LBB3_1254:
	s_or_b64 exec, exec, s[6:7]
	s_and_saveexec_b64 s[6:7], s[4:5]
	s_cbranch_execz .LBB3_1256
.LBB3_1255:
	v_mov_b32_e32 v3, 8
	v_and_b32_e32 v4, 7, v5
	v_lshrrev_b32_sdwa v3, v3, v5 dst_sel:BYTE_1 dst_unused:UNUSED_PAD src0_sel:DWORD src1_sel:DWORD
	v_ffbh_u32_e32 v6, v4
	v_or_b32_sdwa v3, v5, v3 dst_sel:DWORD dst_unused:UNUSED_PAD src0_sel:BYTE_0 src1_sel:DWORD
	v_min_u32_e32 v6, 32, v6
	v_lshrrev_b16_e32 v3, 3, v3
	v_subrev_u32_e32 v7, 28, v6
	v_and_b32_e32 v3, 15, v3
	v_lshlrev_b32_e32 v7, v7, v5
	v_sub_u32_e32 v6, 29, v6
	v_and_b32_e32 v7, 7, v7
	v_cmp_eq_u16_e32 vcc, 0, v3
	v_cndmask_b32_e32 v4, v4, v7, vcc
	v_cndmask_b32_e32 v3, v3, v6, vcc
	v_lshlrev_b32_e32 v6, 24, v5
	v_mov_b32_e32 v7, 0x3b800000
	v_lshlrev_b32_e32 v4, 20, v4
	v_and_b32_e32 v6, 0x80000000, v6
	v_lshl_add_u32 v3, v3, 23, v7
	v_or3_b32 v3, v6, v3, v4
.LBB3_1256:
	s_or_b64 exec, exec, s[6:7]
	s_nop 0
	v_mfma_f32_16x16x4f32 a[0:3], v2, v3, a[0:3]
	v_lshrrev_b32_e32 v3, 8, v9
	s_movk_i32 s4, 0x7f
	v_cmp_gt_i16_sdwa s[6:7], v3, s4 src0_sel:BYTE_0 src1_sel:DWORD
	s_mov_b64 s[4:5], 0
                                        ; implicit-def: $sgpr10
	s_and_saveexec_b64 s[8:9], s[6:7]
	s_xor_b64 s[6:7], exec, s[8:9]
	s_cbranch_execnz .LBB3_3305
; %bb.1257:
	s_or_saveexec_b64 s[6:7], s[6:7]
	v_mov_b32_e32 v2, s10
	s_xor_b64 exec, exec, s[6:7]
	s_cbranch_execnz .LBB3_3308
.LBB3_1258:
	s_or_b64 exec, exec, s[6:7]
	s_and_saveexec_b64 s[6:7], s[4:5]
	s_cbranch_execz .LBB3_1260
.LBB3_1259:
	v_bfe_u32 v2, v9, 8, 3
	v_ffbh_u32_e32 v6, v2
	v_min_u32_e32 v6, 32, v6
	v_lshrrev_b16_e32 v4, 3, v3
	v_subrev_u32_e32 v7, 28, v6
	v_and_b32_e32 v4, 15, v4
	v_lshlrev_b32_e32 v3, v7, v3
	v_sub_u32_e32 v6, 29, v6
	v_and_b32_e32 v3, 7, v3
	v_cmp_eq_u16_e32 vcc, 0, v4
	v_cndmask_b32_e32 v2, v2, v3, vcc
	v_cndmask_b32_e32 v3, v4, v6, vcc
	v_lshlrev_b32_e32 v4, 16, v9
	v_mov_b32_e32 v6, 0x3b800000
	v_lshlrev_b32_e32 v2, 20, v2
	v_and_b32_e32 v4, 0x80000000, v4
	v_lshl_add_u32 v3, v3, 23, v6
	v_or3_b32 v2, v4, v3, v2
.LBB3_1260:
	s_or_b64 exec, exec, s[6:7]
	v_lshrrev_b32_e32 v3, 8, v5
	s_movk_i32 s4, 0x7f
	v_cmp_gt_i16_sdwa s[6:7], v3, s4 src0_sel:BYTE_0 src1_sel:DWORD
	s_mov_b64 s[4:5], 0
                                        ; implicit-def: $sgpr10
	s_and_saveexec_b64 s[8:9], s[6:7]
	s_xor_b64 s[6:7], exec, s[8:9]
	s_cbranch_execnz .LBB3_3309
; %bb.1261:
	s_or_saveexec_b64 s[6:7], s[6:7]
	v_mov_b32_e32 v4, s10
	s_xor_b64 exec, exec, s[6:7]
	s_cbranch_execnz .LBB3_3312
.LBB3_1262:
	s_or_b64 exec, exec, s[6:7]
	s_and_saveexec_b64 s[6:7], s[4:5]
	s_cbranch_execz .LBB3_1264
.LBB3_1263:
	v_bfe_u32 v4, v5, 8, 3
	v_ffbh_u32_e32 v7, v4
	v_min_u32_e32 v7, 32, v7
	v_lshrrev_b16_e32 v6, 3, v3
	v_subrev_u32_e32 v8, 28, v7
	v_and_b32_e32 v6, 15, v6
	v_lshlrev_b32_e32 v3, v8, v3
	v_sub_u32_e32 v7, 29, v7
	v_and_b32_e32 v3, 7, v3
	v_cmp_eq_u16_e32 vcc, 0, v6
	v_cndmask_b32_e32 v3, v4, v3, vcc
	v_cndmask_b32_e32 v4, v6, v7, vcc
	v_lshlrev_b32_e32 v6, 16, v5
	v_mov_b32_e32 v7, 0x3b800000
	v_lshlrev_b32_e32 v3, 20, v3
	v_and_b32_e32 v6, 0x80000000, v6
	v_lshl_add_u32 v4, v4, 23, v7
	v_or3_b32 v4, v6, v4, v3
.LBB3_1264:
	s_or_b64 exec, exec, s[6:7]
	s_nop 0
	v_mfma_f32_16x16x4f32 a[0:3], v2, v4, a[0:3]
	s_movk_i32 s4, 0xff
	v_and_b32_sdwa v3, v9, s4 dst_sel:DWORD dst_unused:UNUSED_PAD src0_sel:WORD_1 src1_sel:DWORD
	s_movk_i32 s4, 0x7f
	v_cmp_lt_i16_e32 vcc, s4, v3
	s_mov_b64 s[4:5], 0
                                        ; implicit-def: $sgpr10
	s_and_saveexec_b64 s[6:7], vcc
	s_xor_b64 s[6:7], exec, s[6:7]
	s_cbranch_execnz .LBB3_3313
; %bb.1265:
	s_or_saveexec_b64 s[6:7], s[6:7]
	v_mov_b32_e32 v2, s10
	s_xor_b64 exec, exec, s[6:7]
	s_cbranch_execnz .LBB3_3316
.LBB3_1266:
	s_or_b64 exec, exec, s[6:7]
	s_and_saveexec_b64 s[6:7], s[4:5]
	s_cbranch_execz .LBB3_1268
.LBB3_1267:
	v_bfe_u32 v2, v9, 16, 3
	v_ffbh_u32_e32 v6, v2
	v_min_u32_e32 v6, 32, v6
	v_lshrrev_b32_e32 v3, 19, v9
	v_subrev_u32_e32 v7, 28, v6
	v_and_b32_e32 v3, 15, v3
	v_lshlrev_b32_sdwa v7, v7, v9 dst_sel:DWORD dst_unused:UNUSED_PAD src0_sel:DWORD src1_sel:WORD_1
	v_bfe_u32 v4, v9, 19, 4
	v_sub_u32_e32 v6, 29, v6
	v_and_b32_e32 v7, 7, v7
	v_cmp_eq_u16_e32 vcc, 0, v3
	v_cndmask_b32_e32 v2, v2, v7, vcc
	v_cndmask_b32_e32 v3, v4, v6, vcc
	v_lshlrev_b32_e32 v4, 8, v9
	v_mov_b32_e32 v6, 0x3b800000
	v_lshlrev_b32_e32 v2, 20, v2
	v_and_b32_e32 v4, 0x80000000, v4
	v_lshl_add_u32 v3, v3, 23, v6
	v_or3_b32 v2, v4, v3, v2
.LBB3_1268:
	s_or_b64 exec, exec, s[6:7]
	s_movk_i32 s4, 0xff
	v_and_b32_sdwa v3, v5, s4 dst_sel:DWORD dst_unused:UNUSED_PAD src0_sel:WORD_1 src1_sel:DWORD
	s_movk_i32 s4, 0x7f
	v_cmp_lt_i16_e32 vcc, s4, v3
	s_mov_b64 s[4:5], 0
                                        ; implicit-def: $sgpr10
	s_and_saveexec_b64 s[6:7], vcc
	s_xor_b64 s[6:7], exec, s[6:7]
	s_cbranch_execnz .LBB3_3317
; %bb.1269:
	s_or_saveexec_b64 s[6:7], s[6:7]
	v_mov_b32_e32 v4, s10
	s_xor_b64 exec, exec, s[6:7]
	s_cbranch_execnz .LBB3_3320
.LBB3_1270:
	s_or_b64 exec, exec, s[6:7]
	s_and_saveexec_b64 s[6:7], s[4:5]
	s_cbranch_execz .LBB3_1272
.LBB3_1271:
	v_bfe_u32 v3, v5, 16, 3
	v_ffbh_u32_e32 v7, v3
	v_min_u32_e32 v7, 32, v7
	v_lshrrev_b32_e32 v4, 19, v5
	v_subrev_u32_e32 v8, 28, v7
	v_and_b32_e32 v4, 15, v4
	v_lshlrev_b32_sdwa v8, v8, v5 dst_sel:DWORD dst_unused:UNUSED_PAD src0_sel:DWORD src1_sel:WORD_1
	v_bfe_u32 v6, v5, 19, 4
	v_sub_u32_e32 v7, 29, v7
	v_and_b32_e32 v8, 7, v8
	v_cmp_eq_u16_e32 vcc, 0, v4
	v_cndmask_b32_e32 v3, v3, v8, vcc
	v_cndmask_b32_e32 v4, v6, v7, vcc
	v_lshlrev_b32_e32 v6, 8, v5
	v_mov_b32_e32 v7, 0x3b800000
	v_lshlrev_b32_e32 v3, 20, v3
	v_and_b32_e32 v6, 0x80000000, v6
	v_lshl_add_u32 v4, v4, 23, v7
	v_or3_b32 v4, v6, v4, v3
.LBB3_1272:
	s_or_b64 exec, exec, s[6:7]
	s_nop 0
	v_mfma_f32_16x16x4f32 a[0:3], v2, v4, a[0:3]
	s_movk_i32 s4, 0x7f
	v_cmp_gt_i16_sdwa s[6:7], v9, s4 src0_sel:BYTE_3 src1_sel:DWORD
	s_mov_b64 s[4:5], 0
                                        ; implicit-def: $sgpr10
	s_and_saveexec_b64 s[8:9], s[6:7]
	s_xor_b64 s[6:7], exec, s[8:9]
	s_cbranch_execnz .LBB3_3321
; %bb.1273:
	s_or_saveexec_b64 s[6:7], s[6:7]
	v_mov_b32_e32 v2, s10
	s_xor_b64 exec, exec, s[6:7]
	s_cbranch_execnz .LBB3_3324
.LBB3_1274:
	s_or_b64 exec, exec, s[6:7]
	s_and_saveexec_b64 s[6:7], s[4:5]
	s_cbranch_execz .LBB3_1276
.LBB3_1275:
	v_bfe_u32 v2, v9, 24, 3
	v_ffbh_u32_e32 v7, v2
	v_min_u32_e32 v7, 32, v7
	v_lshrrev_b32_e32 v4, 27, v9
	v_subrev_u32_e32 v8, 28, v7
	v_and_b32_e32 v4, 15, v4
	v_lshlrev_b32_sdwa v8, v8, v9 dst_sel:DWORD dst_unused:UNUSED_PAD src0_sel:DWORD src1_sel:BYTE_3
	v_bfe_u32 v6, v9, 27, 4
	v_sub_u32_e32 v7, 29, v7
	v_and_b32_e32 v8, 7, v8
	v_cmp_eq_u16_e32 vcc, 0, v4
	v_cndmask_b32_e32 v2, v2, v8, vcc
	v_cndmask_b32_e32 v4, v6, v7, vcc
	v_mov_b32_e32 v6, 0x3b800000
	v_and_b32_e32 v3, 0x80000000, v9
	v_lshlrev_b32_e32 v2, 20, v2
	v_lshl_add_u32 v4, v4, 23, v6
	v_or3_b32 v2, v3, v4, v2
.LBB3_1276:
	s_or_b64 exec, exec, s[6:7]
	s_movk_i32 s4, 0x7f
	v_cmp_gt_i16_sdwa s[6:7], v5, s4 src0_sel:BYTE_3 src1_sel:DWORD
	s_mov_b64 s[4:5], 0
                                        ; implicit-def: $sgpr10
	s_and_saveexec_b64 s[8:9], s[6:7]
	s_xor_b64 s[6:7], exec, s[8:9]
	s_cbranch_execnz .LBB3_3325
; %bb.1277:
	s_or_saveexec_b64 s[6:7], s[6:7]
	v_mov_b32_e32 v3, s10
	s_xor_b64 exec, exec, s[6:7]
	s_cbranch_execnz .LBB3_3328
.LBB3_1278:
	s_or_b64 exec, exec, s[6:7]
	s_and_saveexec_b64 s[6:7], s[4:5]
	s_cbranch_execz .LBB3_1280
.LBB3_1279:
	v_bfe_u32 v3, v5, 24, 3
	v_ffbh_u32_e32 v8, v3
	v_min_u32_e32 v8, 32, v8
	v_lshrrev_b32_e32 v6, 27, v5
	v_subrev_u32_e32 v9, 28, v8
	v_and_b32_e32 v4, 0x80000000, v5
	v_and_b32_e32 v6, 15, v6
	v_bfe_u32 v7, v5, 27, 4
	v_lshlrev_b32_sdwa v5, v9, v5 dst_sel:DWORD dst_unused:UNUSED_PAD src0_sel:DWORD src1_sel:BYTE_3
	v_sub_u32_e32 v8, 29, v8
	v_and_b32_e32 v5, 7, v5
	v_cmp_eq_u16_e32 vcc, 0, v6
	v_cndmask_b32_e32 v3, v3, v5, vcc
	v_cndmask_b32_e32 v5, v7, v8, vcc
	v_mov_b32_e32 v6, 0x3b800000
	v_lshlrev_b32_e32 v3, 20, v3
	v_lshl_add_u32 v5, v5, 23, v6
	v_or3_b32 v3, v4, v5, v3
.LBB3_1280:
	s_or_b64 exec, exec, s[6:7]
	s_nop 0
	v_mfma_f32_16x16x4f32 a[0:3], v2, v3, a[0:3]
	s_movk_i32 s4, 0x7f
                                        ; implicit-def: $sgpr10
	s_nop 7
	s_nop 1
	flat_store_dwordx4 v[18:19], a[0:3] offset:192
	flat_load_dwordx4 v[20:23], v[0:1] offset:16
	s_nop 0
	flat_load_dwordx2 v[18:19], v[0:1] offset:32
	s_waitcnt vmcnt(0) lgkmcnt(0)
	flat_load_dwordx4 v[14:17], v[20:21] offset:32
	flat_load_dwordx4 v[6:9], v[20:21] offset:48
	;; [unrolled: 1-line block ×4, first 2 shown]
	s_waitcnt vmcnt(0) lgkmcnt(0)
	v_cmp_gt_i16_sdwa s[6:7], v14, s4 src0_sel:BYTE_0 src1_sel:DWORD
	s_mov_b64 s[4:5], 0
	s_and_saveexec_b64 s[8:9], s[6:7]
	s_xor_b64 s[6:7], exec, s[8:9]
	s_cbranch_execnz .LBB3_3329
; %bb.1281:
	s_or_saveexec_b64 s[6:7], s[6:7]
	v_mov_b32_e32 v20, s10
	s_xor_b64 exec, exec, s[6:7]
	s_cbranch_execnz .LBB3_3332
.LBB3_1282:
	s_or_b64 exec, exec, s[6:7]
	s_and_saveexec_b64 s[6:7], s[4:5]
	s_cbranch_execz .LBB3_1284
.LBB3_1283:
	v_and_b32_e32 v20, 7, v14
	v_ffbh_u32_e32 v22, v20
	v_min_u32_e32 v22, 32, v22
	v_lshrrev_b16_e32 v21, 3, v14
	v_subrev_u32_e32 v23, 28, v22
	v_and_b32_e32 v21, 15, v21
	v_lshlrev_b32_e32 v23, v23, v14
	v_sub_u32_e32 v22, 29, v22
	v_and_b32_e32 v23, 7, v23
	v_cmp_eq_u16_e32 vcc, 0, v21
	v_cndmask_b32_e32 v20, v20, v23, vcc
	v_cndmask_b32_e32 v21, v21, v22, vcc
	v_lshlrev_b32_e32 v22, 24, v14
	v_mov_b32_e32 v23, 0x3b800000
	v_lshlrev_b32_e32 v20, 20, v20
	v_and_b32_e32 v22, 0x80000000, v22
	v_lshl_add_u32 v21, v21, 23, v23
	v_or3_b32 v20, v22, v21, v20
.LBB3_1284:
	s_or_b64 exec, exec, s[6:7]
	s_movk_i32 s4, 0x7f
	v_cmp_gt_i16_sdwa s[6:7], v10, s4 src0_sel:BYTE_0 src1_sel:DWORD
	s_mov_b64 s[4:5], 0
                                        ; implicit-def: $sgpr10
	s_and_saveexec_b64 s[8:9], s[6:7]
	s_xor_b64 s[6:7], exec, s[8:9]
	s_cbranch_execnz .LBB3_3333
; %bb.1285:
	s_or_saveexec_b64 s[6:7], s[6:7]
	v_mov_b32_e32 v21, s10
	s_xor_b64 exec, exec, s[6:7]
	s_cbranch_execnz .LBB3_3336
.LBB3_1286:
	s_or_b64 exec, exec, s[6:7]
	s_and_saveexec_b64 s[6:7], s[4:5]
	s_cbranch_execz .LBB3_1288
.LBB3_1287:
	v_and_b32_e32 v21, 7, v10
	v_ffbh_u32_e32 v23, v21
	v_min_u32_e32 v23, 32, v23
	v_lshrrev_b16_e32 v22, 3, v10
	v_subrev_u32_e32 v24, 28, v23
	v_and_b32_e32 v22, 15, v22
	v_lshlrev_b32_e32 v24, v24, v10
	v_sub_u32_e32 v23, 29, v23
	v_and_b32_e32 v24, 7, v24
	v_cmp_eq_u16_e32 vcc, 0, v22
	v_cndmask_b32_e32 v21, v21, v24, vcc
	v_cndmask_b32_e32 v22, v22, v23, vcc
	v_lshlrev_b32_e32 v23, 24, v10
	v_mov_b32_e32 v24, 0x3b800000
	v_lshlrev_b32_e32 v21, 20, v21
	v_and_b32_e32 v23, 0x80000000, v23
	v_lshl_add_u32 v22, v22, 23, v24
	v_or3_b32 v21, v23, v22, v21
.LBB3_1288:
	s_or_b64 exec, exec, s[6:7]
	flat_load_dwordx4 a[0:3], v[18:19] offset:208
	s_movk_i32 s4, 0x7f
                                        ; implicit-def: $sgpr10
	s_waitcnt vmcnt(0) lgkmcnt(0)
	v_mfma_f32_16x16x4f32 a[0:3], v20, v21, a[0:3]
	v_lshrrev_b32_e32 v21, 8, v14
	v_cmp_gt_i16_sdwa s[6:7], v21, s4 src0_sel:BYTE_0 src1_sel:DWORD
	s_mov_b64 s[4:5], 0
	s_and_saveexec_b64 s[8:9], s[6:7]
	s_xor_b64 s[6:7], exec, s[8:9]
	s_cbranch_execnz .LBB3_3337
; %bb.1289:
	s_or_saveexec_b64 s[6:7], s[6:7]
	v_mov_b32_e32 v20, s10
	s_xor_b64 exec, exec, s[6:7]
	s_cbranch_execnz .LBB3_3340
.LBB3_1290:
	s_or_b64 exec, exec, s[6:7]
	s_and_saveexec_b64 s[6:7], s[4:5]
	s_cbranch_execz .LBB3_1292
.LBB3_1291:
	v_bfe_u32 v20, v14, 8, 3
	v_ffbh_u32_e32 v23, v20
	v_min_u32_e32 v23, 32, v23
	v_lshrrev_b16_e32 v22, 3, v21
	v_subrev_u32_e32 v24, 28, v23
	v_and_b32_e32 v22, 15, v22
	v_lshlrev_b32_e32 v21, v24, v21
	v_sub_u32_e32 v23, 29, v23
	v_and_b32_e32 v21, 7, v21
	v_cmp_eq_u16_e32 vcc, 0, v22
	v_cndmask_b32_e32 v20, v20, v21, vcc
	v_cndmask_b32_e32 v21, v22, v23, vcc
	v_lshlrev_b32_e32 v22, 16, v14
	v_mov_b32_e32 v23, 0x3b800000
	v_lshlrev_b32_e32 v20, 20, v20
	v_and_b32_e32 v22, 0x80000000, v22
	v_lshl_add_u32 v21, v21, 23, v23
	v_or3_b32 v20, v22, v21, v20
.LBB3_1292:
	s_or_b64 exec, exec, s[6:7]
	v_lshrrev_b32_e32 v21, 8, v10
	s_movk_i32 s4, 0x7f
	v_cmp_gt_i16_sdwa s[6:7], v21, s4 src0_sel:BYTE_0 src1_sel:DWORD
	s_mov_b64 s[4:5], 0
                                        ; implicit-def: $sgpr10
	s_and_saveexec_b64 s[8:9], s[6:7]
	s_xor_b64 s[6:7], exec, s[8:9]
	s_cbranch_execnz .LBB3_3341
; %bb.1293:
	s_or_saveexec_b64 s[6:7], s[6:7]
	v_mov_b32_e32 v22, s10
	s_xor_b64 exec, exec, s[6:7]
	s_cbranch_execnz .LBB3_3344
.LBB3_1294:
	s_or_b64 exec, exec, s[6:7]
	s_and_saveexec_b64 s[6:7], s[4:5]
	s_cbranch_execz .LBB3_1296
.LBB3_1295:
	v_bfe_u32 v22, v10, 8, 3
	v_ffbh_u32_e32 v24, v22
	v_min_u32_e32 v24, 32, v24
	v_lshrrev_b16_e32 v23, 3, v21
	v_subrev_u32_e32 v25, 28, v24
	v_and_b32_e32 v23, 15, v23
	v_lshlrev_b32_e32 v21, v25, v21
	v_sub_u32_e32 v24, 29, v24
	v_and_b32_e32 v21, 7, v21
	v_cmp_eq_u16_e32 vcc, 0, v23
	v_cndmask_b32_e32 v21, v22, v21, vcc
	v_cndmask_b32_e32 v22, v23, v24, vcc
	v_lshlrev_b32_e32 v23, 16, v10
	v_mov_b32_e32 v24, 0x3b800000
	v_lshlrev_b32_e32 v21, 20, v21
	v_and_b32_e32 v23, 0x80000000, v23
	v_lshl_add_u32 v22, v22, 23, v24
	v_or3_b32 v22, v23, v22, v21
.LBB3_1296:
	s_or_b64 exec, exec, s[6:7]
	s_nop 0
	v_mfma_f32_16x16x4f32 a[0:3], v20, v22, a[0:3]
	s_movk_i32 s4, 0xff
	v_and_b32_sdwa v21, v14, s4 dst_sel:DWORD dst_unused:UNUSED_PAD src0_sel:WORD_1 src1_sel:DWORD
	s_movk_i32 s4, 0x7f
	v_cmp_lt_i16_e32 vcc, s4, v21
	s_mov_b64 s[4:5], 0
                                        ; implicit-def: $sgpr10
	s_and_saveexec_b64 s[6:7], vcc
	s_xor_b64 s[6:7], exec, s[6:7]
	s_cbranch_execnz .LBB3_3345
; %bb.1297:
	s_or_saveexec_b64 s[6:7], s[6:7]
	v_mov_b32_e32 v20, s10
	s_xor_b64 exec, exec, s[6:7]
	s_cbranch_execnz .LBB3_3348
.LBB3_1298:
	s_or_b64 exec, exec, s[6:7]
	s_and_saveexec_b64 s[6:7], s[4:5]
	s_cbranch_execz .LBB3_1300
.LBB3_1299:
	v_bfe_u32 v20, v14, 16, 3
	v_ffbh_u32_e32 v23, v20
	v_min_u32_e32 v23, 32, v23
	v_lshrrev_b32_e32 v21, 19, v14
	v_subrev_u32_e32 v24, 28, v23
	v_and_b32_e32 v21, 15, v21
	v_lshlrev_b32_sdwa v24, v24, v14 dst_sel:DWORD dst_unused:UNUSED_PAD src0_sel:DWORD src1_sel:WORD_1
	v_bfe_u32 v22, v14, 19, 4
	v_sub_u32_e32 v23, 29, v23
	v_and_b32_e32 v24, 7, v24
	v_cmp_eq_u16_e32 vcc, 0, v21
	v_cndmask_b32_e32 v20, v20, v24, vcc
	v_cndmask_b32_e32 v21, v22, v23, vcc
	v_lshlrev_b32_e32 v22, 8, v14
	v_mov_b32_e32 v23, 0x3b800000
	v_lshlrev_b32_e32 v20, 20, v20
	v_and_b32_e32 v22, 0x80000000, v22
	v_lshl_add_u32 v21, v21, 23, v23
	v_or3_b32 v20, v22, v21, v20
.LBB3_1300:
	s_or_b64 exec, exec, s[6:7]
	s_movk_i32 s4, 0xff
	v_and_b32_sdwa v21, v10, s4 dst_sel:DWORD dst_unused:UNUSED_PAD src0_sel:WORD_1 src1_sel:DWORD
	s_movk_i32 s4, 0x7f
	v_cmp_lt_i16_e32 vcc, s4, v21
	s_mov_b64 s[4:5], 0
                                        ; implicit-def: $sgpr10
	s_and_saveexec_b64 s[6:7], vcc
	s_xor_b64 s[6:7], exec, s[6:7]
	s_cbranch_execnz .LBB3_3349
; %bb.1301:
	s_or_saveexec_b64 s[6:7], s[6:7]
	v_mov_b32_e32 v22, s10
	s_xor_b64 exec, exec, s[6:7]
	s_cbranch_execnz .LBB3_3352
.LBB3_1302:
	s_or_b64 exec, exec, s[6:7]
	s_and_saveexec_b64 s[6:7], s[4:5]
	s_cbranch_execz .LBB3_1304
.LBB3_1303:
	v_bfe_u32 v21, v10, 16, 3
	v_ffbh_u32_e32 v24, v21
	v_min_u32_e32 v24, 32, v24
	v_lshrrev_b32_e32 v22, 19, v10
	v_subrev_u32_e32 v25, 28, v24
	v_and_b32_e32 v22, 15, v22
	v_lshlrev_b32_sdwa v25, v25, v10 dst_sel:DWORD dst_unused:UNUSED_PAD src0_sel:DWORD src1_sel:WORD_1
	v_bfe_u32 v23, v10, 19, 4
	v_sub_u32_e32 v24, 29, v24
	v_and_b32_e32 v25, 7, v25
	v_cmp_eq_u16_e32 vcc, 0, v22
	v_cndmask_b32_e32 v21, v21, v25, vcc
	v_cndmask_b32_e32 v22, v23, v24, vcc
	v_lshlrev_b32_e32 v23, 8, v10
	v_mov_b32_e32 v24, 0x3b800000
	v_lshlrev_b32_e32 v21, 20, v21
	v_and_b32_e32 v23, 0x80000000, v23
	v_lshl_add_u32 v22, v22, 23, v24
	v_or3_b32 v22, v23, v22, v21
.LBB3_1304:
	s_or_b64 exec, exec, s[6:7]
	s_nop 0
	v_mfma_f32_16x16x4f32 a[0:3], v20, v22, a[0:3]
	s_movk_i32 s4, 0x7f
	v_cmp_gt_i16_sdwa s[6:7], v14, s4 src0_sel:BYTE_3 src1_sel:DWORD
	s_mov_b64 s[4:5], 0
                                        ; implicit-def: $sgpr10
	s_and_saveexec_b64 s[8:9], s[6:7]
	s_xor_b64 s[6:7], exec, s[8:9]
	s_cbranch_execnz .LBB3_3353
; %bb.1305:
	s_or_saveexec_b64 s[6:7], s[6:7]
	v_mov_b32_e32 v20, s10
	s_xor_b64 exec, exec, s[6:7]
	s_cbranch_execnz .LBB3_3356
.LBB3_1306:
	s_or_b64 exec, exec, s[6:7]
	s_and_saveexec_b64 s[6:7], s[4:5]
	s_cbranch_execz .LBB3_1308
.LBB3_1307:
	v_bfe_u32 v20, v14, 24, 3
	v_ffbh_u32_e32 v24, v20
	v_min_u32_e32 v24, 32, v24
	v_lshrrev_b32_e32 v22, 27, v14
	v_subrev_u32_e32 v25, 28, v24
	v_and_b32_e32 v21, 0x80000000, v14
	v_and_b32_e32 v22, 15, v22
	v_bfe_u32 v23, v14, 27, 4
	v_lshlrev_b32_sdwa v14, v25, v14 dst_sel:DWORD dst_unused:UNUSED_PAD src0_sel:DWORD src1_sel:BYTE_3
	v_sub_u32_e32 v24, 29, v24
	v_and_b32_e32 v14, 7, v14
	v_cmp_eq_u16_e32 vcc, 0, v22
	v_cndmask_b32_e32 v14, v20, v14, vcc
	v_cndmask_b32_e32 v20, v23, v24, vcc
	v_mov_b32_e32 v22, 0x3b800000
	v_lshlrev_b32_e32 v14, 20, v14
	v_lshl_add_u32 v20, v20, 23, v22
	v_or3_b32 v20, v21, v20, v14
.LBB3_1308:
	s_or_b64 exec, exec, s[6:7]
	s_movk_i32 s4, 0x7f
	v_cmp_gt_i16_sdwa s[6:7], v10, s4 src0_sel:BYTE_3 src1_sel:DWORD
	s_mov_b64 s[4:5], 0
                                        ; implicit-def: $sgpr10
	s_and_saveexec_b64 s[8:9], s[6:7]
	s_xor_b64 s[6:7], exec, s[8:9]
	s_cbranch_execnz .LBB3_3357
; %bb.1309:
	s_or_saveexec_b64 s[6:7], s[6:7]
	v_mov_b32_e32 v14, s10
	s_xor_b64 exec, exec, s[6:7]
	s_cbranch_execnz .LBB3_3360
.LBB3_1310:
	s_or_b64 exec, exec, s[6:7]
	s_and_saveexec_b64 s[6:7], s[4:5]
	s_cbranch_execz .LBB3_1312
.LBB3_1311:
	v_bfe_u32 v14, v10, 24, 3
	v_ffbh_u32_e32 v24, v14
	v_min_u32_e32 v24, 32, v24
	v_lshrrev_b32_e32 v22, 27, v10
	v_subrev_u32_e32 v25, 28, v24
	v_and_b32_e32 v21, 0x80000000, v10
	v_and_b32_e32 v22, 15, v22
	v_bfe_u32 v23, v10, 27, 4
	v_lshlrev_b32_sdwa v10, v25, v10 dst_sel:DWORD dst_unused:UNUSED_PAD src0_sel:DWORD src1_sel:BYTE_3
	v_sub_u32_e32 v24, 29, v24
	v_and_b32_e32 v10, 7, v10
	v_cmp_eq_u16_e32 vcc, 0, v22
	v_cndmask_b32_e32 v10, v14, v10, vcc
	v_cndmask_b32_e32 v14, v23, v24, vcc
	v_mov_b32_e32 v22, 0x3b800000
	v_lshlrev_b32_e32 v10, 20, v10
	v_lshl_add_u32 v14, v14, 23, v22
	v_or3_b32 v14, v21, v14, v10
.LBB3_1312:
	s_or_b64 exec, exec, s[6:7]
	s_nop 0
	v_mfma_f32_16x16x4f32 a[0:3], v20, v14, a[0:3]
	s_movk_i32 s4, 0x7f
	v_cmp_gt_i16_sdwa s[6:7], v15, s4 src0_sel:BYTE_0 src1_sel:DWORD
	s_mov_b64 s[4:5], 0
                                        ; implicit-def: $sgpr10
	s_and_saveexec_b64 s[8:9], s[6:7]
	s_xor_b64 s[6:7], exec, s[8:9]
	s_cbranch_execnz .LBB3_3361
; %bb.1313:
	s_or_saveexec_b64 s[6:7], s[6:7]
	v_mov_b32_e32 v10, s10
	s_xor_b64 exec, exec, s[6:7]
	s_cbranch_execnz .LBB3_3364
.LBB3_1314:
	s_or_b64 exec, exec, s[6:7]
	s_and_saveexec_b64 s[6:7], s[4:5]
	s_cbranch_execz .LBB3_1316
.LBB3_1315:
	v_and_b32_e32 v10, 7, v15
	v_ffbh_u32_e32 v20, v10
	v_min_u32_e32 v20, 32, v20
	v_lshrrev_b16_e32 v14, 3, v15
	v_subrev_u32_e32 v21, 28, v20
	v_and_b32_e32 v14, 15, v14
	v_lshlrev_b32_e32 v21, v21, v15
	v_sub_u32_e32 v20, 29, v20
	v_and_b32_e32 v21, 7, v21
	v_cmp_eq_u16_e32 vcc, 0, v14
	v_cndmask_b32_e32 v10, v10, v21, vcc
	v_cndmask_b32_e32 v14, v14, v20, vcc
	v_lshlrev_b32_e32 v20, 24, v15
	v_mov_b32_e32 v21, 0x3b800000
	v_lshlrev_b32_e32 v10, 20, v10
	v_and_b32_e32 v20, 0x80000000, v20
	v_lshl_add_u32 v14, v14, 23, v21
	v_or3_b32 v10, v20, v14, v10
.LBB3_1316:
	s_or_b64 exec, exec, s[6:7]
	s_movk_i32 s4, 0x7f
	v_cmp_gt_i16_sdwa s[6:7], v11, s4 src0_sel:BYTE_0 src1_sel:DWORD
	s_mov_b64 s[4:5], 0
                                        ; implicit-def: $sgpr10
	s_and_saveexec_b64 s[8:9], s[6:7]
	s_xor_b64 s[6:7], exec, s[8:9]
	s_cbranch_execnz .LBB3_3365
; %bb.1317:
	s_or_saveexec_b64 s[6:7], s[6:7]
	v_mov_b32_e32 v14, s10
	s_xor_b64 exec, exec, s[6:7]
	s_cbranch_execnz .LBB3_3368
.LBB3_1318:
	s_or_b64 exec, exec, s[6:7]
	s_and_saveexec_b64 s[6:7], s[4:5]
	s_cbranch_execz .LBB3_1320
.LBB3_1319:
	v_and_b32_e32 v14, 7, v11
	v_ffbh_u32_e32 v21, v14
	v_min_u32_e32 v21, 32, v21
	v_lshrrev_b16_e32 v20, 3, v11
	v_subrev_u32_e32 v22, 28, v21
	v_and_b32_e32 v20, 15, v20
	v_lshlrev_b32_e32 v22, v22, v11
	v_sub_u32_e32 v21, 29, v21
	v_and_b32_e32 v22, 7, v22
	v_cmp_eq_u16_e32 vcc, 0, v20
	v_cndmask_b32_e32 v14, v14, v22, vcc
	v_cndmask_b32_e32 v20, v20, v21, vcc
	v_lshlrev_b32_e32 v21, 24, v11
	v_mov_b32_e32 v22, 0x3b800000
	v_lshlrev_b32_e32 v14, 20, v14
	v_and_b32_e32 v21, 0x80000000, v21
	v_lshl_add_u32 v20, v20, 23, v22
	v_or3_b32 v14, v21, v20, v14
.LBB3_1320:
	s_or_b64 exec, exec, s[6:7]
	s_nop 0
	v_mfma_f32_16x16x4f32 a[0:3], v10, v14, a[0:3]
	v_lshrrev_b32_e32 v14, 8, v15
	s_movk_i32 s4, 0x7f
	v_cmp_gt_i16_sdwa s[6:7], v14, s4 src0_sel:BYTE_0 src1_sel:DWORD
	s_mov_b64 s[4:5], 0
                                        ; implicit-def: $sgpr10
	s_and_saveexec_b64 s[8:9], s[6:7]
	s_xor_b64 s[6:7], exec, s[8:9]
	s_cbranch_execnz .LBB3_3369
; %bb.1321:
	s_or_saveexec_b64 s[6:7], s[6:7]
	v_mov_b32_e32 v10, s10
	s_xor_b64 exec, exec, s[6:7]
	s_cbranch_execnz .LBB3_3372
.LBB3_1322:
	s_or_b64 exec, exec, s[6:7]
	s_and_saveexec_b64 s[6:7], s[4:5]
	s_cbranch_execz .LBB3_1324
.LBB3_1323:
	v_bfe_u32 v10, v15, 8, 3
	v_ffbh_u32_e32 v21, v10
	v_min_u32_e32 v21, 32, v21
	v_lshrrev_b16_e32 v20, 3, v14
	v_subrev_u32_e32 v22, 28, v21
	v_and_b32_e32 v20, 15, v20
	v_lshlrev_b32_e32 v14, v22, v14
	v_sub_u32_e32 v21, 29, v21
	v_and_b32_e32 v14, 7, v14
	v_cmp_eq_u16_e32 vcc, 0, v20
	v_cndmask_b32_e32 v10, v10, v14, vcc
	v_cndmask_b32_e32 v14, v20, v21, vcc
	v_lshlrev_b32_e32 v20, 16, v15
	v_mov_b32_e32 v21, 0x3b800000
	v_lshlrev_b32_e32 v10, 20, v10
	v_and_b32_e32 v20, 0x80000000, v20
	v_lshl_add_u32 v14, v14, 23, v21
	v_or3_b32 v10, v20, v14, v10
.LBB3_1324:
	s_or_b64 exec, exec, s[6:7]
	v_lshrrev_b32_e32 v14, 8, v11
	s_movk_i32 s4, 0x7f
	v_cmp_gt_i16_sdwa s[6:7], v14, s4 src0_sel:BYTE_0 src1_sel:DWORD
	s_mov_b64 s[4:5], 0
                                        ; implicit-def: $sgpr10
	s_and_saveexec_b64 s[8:9], s[6:7]
	s_xor_b64 s[6:7], exec, s[8:9]
	s_cbranch_execnz .LBB3_3373
; %bb.1325:
	s_or_saveexec_b64 s[6:7], s[6:7]
	v_mov_b32_e32 v20, s10
	s_xor_b64 exec, exec, s[6:7]
	s_cbranch_execnz .LBB3_3376
.LBB3_1326:
	s_or_b64 exec, exec, s[6:7]
	s_and_saveexec_b64 s[6:7], s[4:5]
	s_cbranch_execz .LBB3_1328
.LBB3_1327:
	v_bfe_u32 v20, v11, 8, 3
	v_ffbh_u32_e32 v22, v20
	v_min_u32_e32 v22, 32, v22
	v_lshrrev_b16_e32 v21, 3, v14
	v_subrev_u32_e32 v23, 28, v22
	v_and_b32_e32 v21, 15, v21
	v_lshlrev_b32_e32 v14, v23, v14
	v_sub_u32_e32 v22, 29, v22
	v_and_b32_e32 v14, 7, v14
	v_cmp_eq_u16_e32 vcc, 0, v21
	v_cndmask_b32_e32 v14, v20, v14, vcc
	v_cndmask_b32_e32 v20, v21, v22, vcc
	v_lshlrev_b32_e32 v21, 16, v11
	v_mov_b32_e32 v22, 0x3b800000
	v_lshlrev_b32_e32 v14, 20, v14
	v_and_b32_e32 v21, 0x80000000, v21
	v_lshl_add_u32 v20, v20, 23, v22
	v_or3_b32 v20, v21, v20, v14
.LBB3_1328:
	s_or_b64 exec, exec, s[6:7]
	s_nop 0
	v_mfma_f32_16x16x4f32 a[0:3], v10, v20, a[0:3]
	s_movk_i32 s4, 0xff
	v_and_b32_sdwa v14, v15, s4 dst_sel:DWORD dst_unused:UNUSED_PAD src0_sel:WORD_1 src1_sel:DWORD
	s_movk_i32 s4, 0x7f
	v_cmp_lt_i16_e32 vcc, s4, v14
	s_mov_b64 s[4:5], 0
                                        ; implicit-def: $sgpr10
	s_and_saveexec_b64 s[6:7], vcc
	s_xor_b64 s[6:7], exec, s[6:7]
	s_cbranch_execnz .LBB3_3377
; %bb.1329:
	s_or_saveexec_b64 s[6:7], s[6:7]
	v_mov_b32_e32 v10, s10
	s_xor_b64 exec, exec, s[6:7]
	s_cbranch_execnz .LBB3_3380
.LBB3_1330:
	s_or_b64 exec, exec, s[6:7]
	s_and_saveexec_b64 s[6:7], s[4:5]
	s_cbranch_execz .LBB3_1332
.LBB3_1331:
	v_bfe_u32 v10, v15, 16, 3
	v_ffbh_u32_e32 v21, v10
	v_min_u32_e32 v21, 32, v21
	v_lshrrev_b32_e32 v14, 19, v15
	v_subrev_u32_e32 v22, 28, v21
	v_and_b32_e32 v14, 15, v14
	v_lshlrev_b32_sdwa v22, v22, v15 dst_sel:DWORD dst_unused:UNUSED_PAD src0_sel:DWORD src1_sel:WORD_1
	v_bfe_u32 v20, v15, 19, 4
	v_sub_u32_e32 v21, 29, v21
	v_and_b32_e32 v22, 7, v22
	v_cmp_eq_u16_e32 vcc, 0, v14
	v_cndmask_b32_e32 v10, v10, v22, vcc
	v_cndmask_b32_e32 v14, v20, v21, vcc
	v_lshlrev_b32_e32 v20, 8, v15
	v_mov_b32_e32 v21, 0x3b800000
	v_lshlrev_b32_e32 v10, 20, v10
	v_and_b32_e32 v20, 0x80000000, v20
	v_lshl_add_u32 v14, v14, 23, v21
	v_or3_b32 v10, v20, v14, v10
.LBB3_1332:
	s_or_b64 exec, exec, s[6:7]
	s_movk_i32 s4, 0xff
	v_and_b32_sdwa v14, v11, s4 dst_sel:DWORD dst_unused:UNUSED_PAD src0_sel:WORD_1 src1_sel:DWORD
	s_movk_i32 s4, 0x7f
	v_cmp_lt_i16_e32 vcc, s4, v14
	s_mov_b64 s[4:5], 0
                                        ; implicit-def: $sgpr10
	s_and_saveexec_b64 s[6:7], vcc
	s_xor_b64 s[6:7], exec, s[6:7]
	s_cbranch_execnz .LBB3_3381
; %bb.1333:
	s_or_saveexec_b64 s[6:7], s[6:7]
	v_mov_b32_e32 v20, s10
	s_xor_b64 exec, exec, s[6:7]
	s_cbranch_execnz .LBB3_3384
.LBB3_1334:
	s_or_b64 exec, exec, s[6:7]
	s_and_saveexec_b64 s[6:7], s[4:5]
	s_cbranch_execz .LBB3_1336
.LBB3_1335:
	v_bfe_u32 v14, v11, 16, 3
	v_ffbh_u32_e32 v22, v14
	v_min_u32_e32 v22, 32, v22
	v_lshrrev_b32_e32 v20, 19, v11
	v_subrev_u32_e32 v23, 28, v22
	v_and_b32_e32 v20, 15, v20
	v_lshlrev_b32_sdwa v23, v23, v11 dst_sel:DWORD dst_unused:UNUSED_PAD src0_sel:DWORD src1_sel:WORD_1
	v_bfe_u32 v21, v11, 19, 4
	v_sub_u32_e32 v22, 29, v22
	v_and_b32_e32 v23, 7, v23
	v_cmp_eq_u16_e32 vcc, 0, v20
	v_cndmask_b32_e32 v14, v14, v23, vcc
	v_cndmask_b32_e32 v20, v21, v22, vcc
	v_lshlrev_b32_e32 v21, 8, v11
	v_mov_b32_e32 v22, 0x3b800000
	v_lshlrev_b32_e32 v14, 20, v14
	v_and_b32_e32 v21, 0x80000000, v21
	v_lshl_add_u32 v20, v20, 23, v22
	v_or3_b32 v20, v21, v20, v14
.LBB3_1336:
	s_or_b64 exec, exec, s[6:7]
	s_nop 0
	v_mfma_f32_16x16x4f32 a[0:3], v10, v20, a[0:3]
	s_movk_i32 s4, 0x7f
	v_cmp_gt_i16_sdwa s[6:7], v15, s4 src0_sel:BYTE_3 src1_sel:DWORD
	s_mov_b64 s[4:5], 0
                                        ; implicit-def: $sgpr10
	s_and_saveexec_b64 s[8:9], s[6:7]
	s_xor_b64 s[6:7], exec, s[8:9]
	s_cbranch_execnz .LBB3_3385
; %bb.1337:
	s_or_saveexec_b64 s[6:7], s[6:7]
	v_mov_b32_e32 v10, s10
	s_xor_b64 exec, exec, s[6:7]
	s_cbranch_execnz .LBB3_3388
.LBB3_1338:
	s_or_b64 exec, exec, s[6:7]
	s_and_saveexec_b64 s[6:7], s[4:5]
	s_cbranch_execz .LBB3_1340
.LBB3_1339:
	v_bfe_u32 v10, v15, 24, 3
	v_ffbh_u32_e32 v22, v10
	v_min_u32_e32 v22, 32, v22
	v_lshrrev_b32_e32 v20, 27, v15
	v_subrev_u32_e32 v23, 28, v22
	v_and_b32_e32 v14, 0x80000000, v15
	v_and_b32_e32 v20, 15, v20
	v_bfe_u32 v21, v15, 27, 4
	v_lshlrev_b32_sdwa v15, v23, v15 dst_sel:DWORD dst_unused:UNUSED_PAD src0_sel:DWORD src1_sel:BYTE_3
	v_sub_u32_e32 v22, 29, v22
	v_and_b32_e32 v15, 7, v15
	v_cmp_eq_u16_e32 vcc, 0, v20
	v_cndmask_b32_e32 v10, v10, v15, vcc
	v_cndmask_b32_e32 v15, v21, v22, vcc
	v_mov_b32_e32 v20, 0x3b800000
	v_lshlrev_b32_e32 v10, 20, v10
	v_lshl_add_u32 v15, v15, 23, v20
	v_or3_b32 v10, v14, v15, v10
.LBB3_1340:
	s_or_b64 exec, exec, s[6:7]
	s_movk_i32 s4, 0x7f
	v_cmp_gt_i16_sdwa s[6:7], v11, s4 src0_sel:BYTE_3 src1_sel:DWORD
	s_mov_b64 s[4:5], 0
                                        ; implicit-def: $sgpr10
	s_and_saveexec_b64 s[8:9], s[6:7]
	s_xor_b64 s[6:7], exec, s[8:9]
	s_cbranch_execnz .LBB3_3389
; %bb.1341:
	s_or_saveexec_b64 s[6:7], s[6:7]
	v_mov_b32_e32 v14, s10
	s_xor_b64 exec, exec, s[6:7]
	s_cbranch_execnz .LBB3_3392
.LBB3_1342:
	s_or_b64 exec, exec, s[6:7]
	s_and_saveexec_b64 s[6:7], s[4:5]
	s_cbranch_execz .LBB3_1344
.LBB3_1343:
	v_bfe_u32 v14, v11, 24, 3
	v_ffbh_u32_e32 v22, v14
	v_min_u32_e32 v22, 32, v22
	v_lshrrev_b32_e32 v20, 27, v11
	v_subrev_u32_e32 v23, 28, v22
	v_and_b32_e32 v15, 0x80000000, v11
	v_and_b32_e32 v20, 15, v20
	v_bfe_u32 v21, v11, 27, 4
	v_lshlrev_b32_sdwa v11, v23, v11 dst_sel:DWORD dst_unused:UNUSED_PAD src0_sel:DWORD src1_sel:BYTE_3
	v_sub_u32_e32 v22, 29, v22
	v_and_b32_e32 v11, 7, v11
	v_cmp_eq_u16_e32 vcc, 0, v20
	v_cndmask_b32_e32 v11, v14, v11, vcc
	v_cndmask_b32_e32 v14, v21, v22, vcc
	v_mov_b32_e32 v20, 0x3b800000
	v_lshlrev_b32_e32 v11, 20, v11
	v_lshl_add_u32 v14, v14, 23, v20
	v_or3_b32 v14, v15, v14, v11
.LBB3_1344:
	s_or_b64 exec, exec, s[6:7]
	s_nop 0
	v_mfma_f32_16x16x4f32 a[0:3], v10, v14, a[0:3]
	s_movk_i32 s4, 0x7f
	v_cmp_gt_i16_sdwa s[6:7], v16, s4 src0_sel:BYTE_0 src1_sel:DWORD
	s_mov_b64 s[4:5], 0
                                        ; implicit-def: $sgpr10
	s_and_saveexec_b64 s[8:9], s[6:7]
	s_xor_b64 s[6:7], exec, s[8:9]
	s_cbranch_execnz .LBB3_3393
; %bb.1345:
	s_or_saveexec_b64 s[6:7], s[6:7]
	v_mov_b32_e32 v10, s10
	s_xor_b64 exec, exec, s[6:7]
	s_cbranch_execnz .LBB3_3396
.LBB3_1346:
	s_or_b64 exec, exec, s[6:7]
	s_and_saveexec_b64 s[6:7], s[4:5]
	s_cbranch_execz .LBB3_1348
.LBB3_1347:
	v_and_b32_e32 v10, 7, v16
	v_ffbh_u32_e32 v14, v10
	v_min_u32_e32 v14, 32, v14
	v_lshrrev_b16_e32 v11, 3, v16
	v_subrev_u32_e32 v15, 28, v14
	v_and_b32_e32 v11, 15, v11
	v_lshlrev_b32_e32 v15, v15, v16
	v_sub_u32_e32 v14, 29, v14
	v_and_b32_e32 v15, 7, v15
	v_cmp_eq_u16_e32 vcc, 0, v11
	v_cndmask_b32_e32 v10, v10, v15, vcc
	v_cndmask_b32_e32 v11, v11, v14, vcc
	v_lshlrev_b32_e32 v14, 24, v16
	v_mov_b32_e32 v15, 0x3b800000
	v_lshlrev_b32_e32 v10, 20, v10
	v_and_b32_e32 v14, 0x80000000, v14
	v_lshl_add_u32 v11, v11, 23, v15
	v_or3_b32 v10, v14, v11, v10
.LBB3_1348:
	s_or_b64 exec, exec, s[6:7]
	s_movk_i32 s4, 0x7f
	v_cmp_gt_i16_sdwa s[6:7], v12, s4 src0_sel:BYTE_0 src1_sel:DWORD
	s_mov_b64 s[4:5], 0
                                        ; implicit-def: $sgpr10
	s_and_saveexec_b64 s[8:9], s[6:7]
	s_xor_b64 s[6:7], exec, s[8:9]
	s_cbranch_execnz .LBB3_3397
; %bb.1349:
	s_or_saveexec_b64 s[6:7], s[6:7]
	v_mov_b32_e32 v11, s10
	s_xor_b64 exec, exec, s[6:7]
	s_cbranch_execnz .LBB3_3400
.LBB3_1350:
	s_or_b64 exec, exec, s[6:7]
	s_and_saveexec_b64 s[6:7], s[4:5]
	s_cbranch_execz .LBB3_1352
.LBB3_1351:
	v_and_b32_e32 v11, 7, v12
	v_ffbh_u32_e32 v15, v11
	v_min_u32_e32 v15, 32, v15
	v_lshrrev_b16_e32 v14, 3, v12
	v_subrev_u32_e32 v20, 28, v15
	v_and_b32_e32 v14, 15, v14
	v_lshlrev_b32_e32 v20, v20, v12
	v_sub_u32_e32 v15, 29, v15
	v_and_b32_e32 v20, 7, v20
	v_cmp_eq_u16_e32 vcc, 0, v14
	v_cndmask_b32_e32 v11, v11, v20, vcc
	v_cndmask_b32_e32 v14, v14, v15, vcc
	v_lshlrev_b32_e32 v15, 24, v12
	v_mov_b32_e32 v20, 0x3b800000
	v_lshlrev_b32_e32 v11, 20, v11
	v_and_b32_e32 v15, 0x80000000, v15
	v_lshl_add_u32 v14, v14, 23, v20
	v_or3_b32 v11, v15, v14, v11
.LBB3_1352:
	s_or_b64 exec, exec, s[6:7]
	s_nop 0
	v_mfma_f32_16x16x4f32 a[0:3], v10, v11, a[0:3]
	v_lshrrev_b32_e32 v11, 8, v16
	s_movk_i32 s4, 0x7f
	v_cmp_gt_i16_sdwa s[6:7], v11, s4 src0_sel:BYTE_0 src1_sel:DWORD
	s_mov_b64 s[4:5], 0
                                        ; implicit-def: $sgpr10
	s_and_saveexec_b64 s[8:9], s[6:7]
	s_xor_b64 s[6:7], exec, s[8:9]
	s_cbranch_execnz .LBB3_3401
; %bb.1353:
	s_or_saveexec_b64 s[6:7], s[6:7]
	v_mov_b32_e32 v10, s10
	s_xor_b64 exec, exec, s[6:7]
	s_cbranch_execnz .LBB3_3404
.LBB3_1354:
	s_or_b64 exec, exec, s[6:7]
	s_and_saveexec_b64 s[6:7], s[4:5]
	s_cbranch_execz .LBB3_1356
.LBB3_1355:
	v_bfe_u32 v10, v16, 8, 3
	v_ffbh_u32_e32 v15, v10
	v_min_u32_e32 v15, 32, v15
	v_lshrrev_b16_e32 v14, 3, v11
	v_subrev_u32_e32 v20, 28, v15
	v_and_b32_e32 v14, 15, v14
	v_lshlrev_b32_e32 v11, v20, v11
	v_sub_u32_e32 v15, 29, v15
	v_and_b32_e32 v11, 7, v11
	v_cmp_eq_u16_e32 vcc, 0, v14
	v_cndmask_b32_e32 v10, v10, v11, vcc
	v_cndmask_b32_e32 v11, v14, v15, vcc
	v_lshlrev_b32_e32 v14, 16, v16
	v_mov_b32_e32 v15, 0x3b800000
	v_lshlrev_b32_e32 v10, 20, v10
	v_and_b32_e32 v14, 0x80000000, v14
	v_lshl_add_u32 v11, v11, 23, v15
	v_or3_b32 v10, v14, v11, v10
.LBB3_1356:
	s_or_b64 exec, exec, s[6:7]
	v_lshrrev_b32_e32 v11, 8, v12
	s_movk_i32 s4, 0x7f
	v_cmp_gt_i16_sdwa s[6:7], v11, s4 src0_sel:BYTE_0 src1_sel:DWORD
	s_mov_b64 s[4:5], 0
                                        ; implicit-def: $sgpr10
	s_and_saveexec_b64 s[8:9], s[6:7]
	s_xor_b64 s[6:7], exec, s[8:9]
	s_cbranch_execnz .LBB3_3405
; %bb.1357:
	s_or_saveexec_b64 s[6:7], s[6:7]
	v_mov_b32_e32 v14, s10
	s_xor_b64 exec, exec, s[6:7]
	s_cbranch_execnz .LBB3_3408
.LBB3_1358:
	s_or_b64 exec, exec, s[6:7]
	s_and_saveexec_b64 s[6:7], s[4:5]
	s_cbranch_execz .LBB3_1360
.LBB3_1359:
	v_bfe_u32 v14, v12, 8, 3
	v_ffbh_u32_e32 v20, v14
	v_min_u32_e32 v20, 32, v20
	v_lshrrev_b16_e32 v15, 3, v11
	v_subrev_u32_e32 v21, 28, v20
	v_and_b32_e32 v15, 15, v15
	v_lshlrev_b32_e32 v11, v21, v11
	v_sub_u32_e32 v20, 29, v20
	v_and_b32_e32 v11, 7, v11
	v_cmp_eq_u16_e32 vcc, 0, v15
	v_cndmask_b32_e32 v11, v14, v11, vcc
	v_cndmask_b32_e32 v14, v15, v20, vcc
	v_lshlrev_b32_e32 v15, 16, v12
	v_mov_b32_e32 v20, 0x3b800000
	v_lshlrev_b32_e32 v11, 20, v11
	v_and_b32_e32 v15, 0x80000000, v15
	v_lshl_add_u32 v14, v14, 23, v20
	v_or3_b32 v14, v15, v14, v11
.LBB3_1360:
	s_or_b64 exec, exec, s[6:7]
	s_nop 0
	v_mfma_f32_16x16x4f32 a[0:3], v10, v14, a[0:3]
	s_movk_i32 s4, 0xff
	v_and_b32_sdwa v11, v16, s4 dst_sel:DWORD dst_unused:UNUSED_PAD src0_sel:WORD_1 src1_sel:DWORD
	s_movk_i32 s4, 0x7f
	v_cmp_lt_i16_e32 vcc, s4, v11
	s_mov_b64 s[4:5], 0
                                        ; implicit-def: $sgpr10
	s_and_saveexec_b64 s[6:7], vcc
	s_xor_b64 s[6:7], exec, s[6:7]
	s_cbranch_execnz .LBB3_3409
; %bb.1361:
	s_or_saveexec_b64 s[6:7], s[6:7]
	v_mov_b32_e32 v10, s10
	s_xor_b64 exec, exec, s[6:7]
	s_cbranch_execnz .LBB3_3412
.LBB3_1362:
	s_or_b64 exec, exec, s[6:7]
	s_and_saveexec_b64 s[6:7], s[4:5]
	s_cbranch_execz .LBB3_1364
.LBB3_1363:
	v_bfe_u32 v10, v16, 16, 3
	v_ffbh_u32_e32 v15, v10
	v_min_u32_e32 v15, 32, v15
	v_lshrrev_b32_e32 v11, 19, v16
	v_subrev_u32_e32 v20, 28, v15
	v_and_b32_e32 v11, 15, v11
	v_lshlrev_b32_sdwa v20, v20, v16 dst_sel:DWORD dst_unused:UNUSED_PAD src0_sel:DWORD src1_sel:WORD_1
	v_bfe_u32 v14, v16, 19, 4
	v_sub_u32_e32 v15, 29, v15
	v_and_b32_e32 v20, 7, v20
	v_cmp_eq_u16_e32 vcc, 0, v11
	v_cndmask_b32_e32 v10, v10, v20, vcc
	v_cndmask_b32_e32 v11, v14, v15, vcc
	v_lshlrev_b32_e32 v14, 8, v16
	v_mov_b32_e32 v15, 0x3b800000
	v_lshlrev_b32_e32 v10, 20, v10
	v_and_b32_e32 v14, 0x80000000, v14
	v_lshl_add_u32 v11, v11, 23, v15
	v_or3_b32 v10, v14, v11, v10
.LBB3_1364:
	s_or_b64 exec, exec, s[6:7]
	s_movk_i32 s4, 0xff
	v_and_b32_sdwa v11, v12, s4 dst_sel:DWORD dst_unused:UNUSED_PAD src0_sel:WORD_1 src1_sel:DWORD
	s_movk_i32 s4, 0x7f
	v_cmp_lt_i16_e32 vcc, s4, v11
	s_mov_b64 s[4:5], 0
                                        ; implicit-def: $sgpr10
	s_and_saveexec_b64 s[6:7], vcc
	s_xor_b64 s[6:7], exec, s[6:7]
	s_cbranch_execnz .LBB3_3413
; %bb.1365:
	s_or_saveexec_b64 s[6:7], s[6:7]
	v_mov_b32_e32 v14, s10
	s_xor_b64 exec, exec, s[6:7]
	s_cbranch_execnz .LBB3_3416
.LBB3_1366:
	s_or_b64 exec, exec, s[6:7]
	s_and_saveexec_b64 s[6:7], s[4:5]
	s_cbranch_execz .LBB3_1368
.LBB3_1367:
	v_bfe_u32 v11, v12, 16, 3
	v_ffbh_u32_e32 v20, v11
	v_min_u32_e32 v20, 32, v20
	v_lshrrev_b32_e32 v14, 19, v12
	v_subrev_u32_e32 v21, 28, v20
	v_and_b32_e32 v14, 15, v14
	v_lshlrev_b32_sdwa v21, v21, v12 dst_sel:DWORD dst_unused:UNUSED_PAD src0_sel:DWORD src1_sel:WORD_1
	v_bfe_u32 v15, v12, 19, 4
	v_sub_u32_e32 v20, 29, v20
	v_and_b32_e32 v21, 7, v21
	v_cmp_eq_u16_e32 vcc, 0, v14
	v_cndmask_b32_e32 v11, v11, v21, vcc
	v_cndmask_b32_e32 v14, v15, v20, vcc
	v_lshlrev_b32_e32 v15, 8, v12
	v_mov_b32_e32 v20, 0x3b800000
	v_lshlrev_b32_e32 v11, 20, v11
	v_and_b32_e32 v15, 0x80000000, v15
	v_lshl_add_u32 v14, v14, 23, v20
	v_or3_b32 v14, v15, v14, v11
.LBB3_1368:
	s_or_b64 exec, exec, s[6:7]
	s_nop 0
	v_mfma_f32_16x16x4f32 a[0:3], v10, v14, a[0:3]
	s_movk_i32 s4, 0x7f
	v_cmp_gt_i16_sdwa s[6:7], v16, s4 src0_sel:BYTE_3 src1_sel:DWORD
	s_mov_b64 s[4:5], 0
                                        ; implicit-def: $sgpr10
	s_and_saveexec_b64 s[8:9], s[6:7]
	s_xor_b64 s[6:7], exec, s[8:9]
	s_cbranch_execnz .LBB3_3417
; %bb.1369:
	s_or_saveexec_b64 s[6:7], s[6:7]
	v_mov_b32_e32 v10, s10
	s_xor_b64 exec, exec, s[6:7]
	s_cbranch_execnz .LBB3_3420
.LBB3_1370:
	s_or_b64 exec, exec, s[6:7]
	s_and_saveexec_b64 s[6:7], s[4:5]
	s_cbranch_execz .LBB3_1372
.LBB3_1371:
	v_bfe_u32 v10, v16, 24, 3
	v_ffbh_u32_e32 v20, v10
	v_min_u32_e32 v20, 32, v20
	v_lshrrev_b32_e32 v14, 27, v16
	v_subrev_u32_e32 v21, 28, v20
	v_and_b32_e32 v11, 0x80000000, v16
	v_and_b32_e32 v14, 15, v14
	v_bfe_u32 v15, v16, 27, 4
	v_lshlrev_b32_sdwa v16, v21, v16 dst_sel:DWORD dst_unused:UNUSED_PAD src0_sel:DWORD src1_sel:BYTE_3
	v_sub_u32_e32 v20, 29, v20
	v_and_b32_e32 v16, 7, v16
	v_cmp_eq_u16_e32 vcc, 0, v14
	v_cndmask_b32_e32 v10, v10, v16, vcc
	v_cndmask_b32_e32 v14, v15, v20, vcc
	v_mov_b32_e32 v15, 0x3b800000
	v_lshlrev_b32_e32 v10, 20, v10
	v_lshl_add_u32 v14, v14, 23, v15
	v_or3_b32 v10, v11, v14, v10
.LBB3_1372:
	s_or_b64 exec, exec, s[6:7]
	s_movk_i32 s4, 0x7f
	v_cmp_gt_i16_sdwa s[6:7], v12, s4 src0_sel:BYTE_3 src1_sel:DWORD
	s_mov_b64 s[4:5], 0
                                        ; implicit-def: $sgpr10
	s_and_saveexec_b64 s[8:9], s[6:7]
	s_xor_b64 s[6:7], exec, s[8:9]
	s_cbranch_execnz .LBB3_3421
; %bb.1373:
	s_or_saveexec_b64 s[6:7], s[6:7]
	v_mov_b32_e32 v11, s10
	s_xor_b64 exec, exec, s[6:7]
	s_cbranch_execnz .LBB3_3424
.LBB3_1374:
	s_or_b64 exec, exec, s[6:7]
	s_and_saveexec_b64 s[6:7], s[4:5]
	s_cbranch_execz .LBB3_1376
.LBB3_1375:
	v_bfe_u32 v11, v12, 24, 3
	v_ffbh_u32_e32 v20, v11
	v_min_u32_e32 v20, 32, v20
	v_lshrrev_b32_e32 v15, 27, v12
	v_subrev_u32_e32 v21, 28, v20
	v_and_b32_e32 v14, 0x80000000, v12
	v_and_b32_e32 v15, 15, v15
	v_bfe_u32 v16, v12, 27, 4
	v_lshlrev_b32_sdwa v12, v21, v12 dst_sel:DWORD dst_unused:UNUSED_PAD src0_sel:DWORD src1_sel:BYTE_3
	v_sub_u32_e32 v20, 29, v20
	v_and_b32_e32 v12, 7, v12
	v_cmp_eq_u16_e32 vcc, 0, v15
	v_cndmask_b32_e32 v11, v11, v12, vcc
	v_cndmask_b32_e32 v12, v16, v20, vcc
	v_mov_b32_e32 v15, 0x3b800000
	v_lshlrev_b32_e32 v11, 20, v11
	v_lshl_add_u32 v12, v12, 23, v15
	v_or3_b32 v11, v14, v12, v11
.LBB3_1376:
	s_or_b64 exec, exec, s[6:7]
	s_nop 0
	v_mfma_f32_16x16x4f32 a[0:3], v10, v11, a[0:3]
	s_movk_i32 s4, 0x7f
	v_cmp_gt_i16_sdwa s[6:7], v17, s4 src0_sel:BYTE_0 src1_sel:DWORD
	s_mov_b64 s[4:5], 0
                                        ; implicit-def: $sgpr10
	s_and_saveexec_b64 s[8:9], s[6:7]
	s_xor_b64 s[6:7], exec, s[8:9]
	s_cbranch_execnz .LBB3_3425
; %bb.1377:
	s_or_saveexec_b64 s[6:7], s[6:7]
	v_mov_b32_e32 v10, s10
	s_xor_b64 exec, exec, s[6:7]
	s_cbranch_execnz .LBB3_3428
.LBB3_1378:
	s_or_b64 exec, exec, s[6:7]
	s_and_saveexec_b64 s[6:7], s[4:5]
	s_cbranch_execz .LBB3_1380
.LBB3_1379:
	v_and_b32_e32 v10, 7, v17
	v_ffbh_u32_e32 v12, v10
	v_min_u32_e32 v12, 32, v12
	v_lshrrev_b16_e32 v11, 3, v17
	v_subrev_u32_e32 v14, 28, v12
	v_and_b32_e32 v11, 15, v11
	v_lshlrev_b32_e32 v14, v14, v17
	v_sub_u32_e32 v12, 29, v12
	v_and_b32_e32 v14, 7, v14
	v_cmp_eq_u16_e32 vcc, 0, v11
	v_cndmask_b32_e32 v10, v10, v14, vcc
	v_cndmask_b32_e32 v11, v11, v12, vcc
	v_lshlrev_b32_e32 v12, 24, v17
	v_mov_b32_e32 v14, 0x3b800000
	v_lshlrev_b32_e32 v10, 20, v10
	v_and_b32_e32 v12, 0x80000000, v12
	v_lshl_add_u32 v11, v11, 23, v14
	v_or3_b32 v10, v12, v11, v10
.LBB3_1380:
	s_or_b64 exec, exec, s[6:7]
	s_movk_i32 s4, 0x7f
	v_cmp_gt_i16_sdwa s[6:7], v13, s4 src0_sel:BYTE_0 src1_sel:DWORD
	s_mov_b64 s[4:5], 0
                                        ; implicit-def: $sgpr10
	s_and_saveexec_b64 s[8:9], s[6:7]
	s_xor_b64 s[6:7], exec, s[8:9]
	s_cbranch_execnz .LBB3_3429
; %bb.1381:
	s_or_saveexec_b64 s[6:7], s[6:7]
	v_mov_b32_e32 v11, s10
	s_xor_b64 exec, exec, s[6:7]
	s_cbranch_execnz .LBB3_3432
.LBB3_1382:
	s_or_b64 exec, exec, s[6:7]
	s_and_saveexec_b64 s[6:7], s[4:5]
	s_cbranch_execz .LBB3_1384
.LBB3_1383:
	v_and_b32_e32 v11, 7, v13
	v_ffbh_u32_e32 v14, v11
	v_min_u32_e32 v14, 32, v14
	v_lshrrev_b16_e32 v12, 3, v13
	v_subrev_u32_e32 v15, 28, v14
	v_and_b32_e32 v12, 15, v12
	v_lshlrev_b32_e32 v15, v15, v13
	v_sub_u32_e32 v14, 29, v14
	v_and_b32_e32 v15, 7, v15
	v_cmp_eq_u16_e32 vcc, 0, v12
	v_cndmask_b32_e32 v11, v11, v15, vcc
	v_cndmask_b32_e32 v12, v12, v14, vcc
	v_lshlrev_b32_e32 v14, 24, v13
	v_mov_b32_e32 v15, 0x3b800000
	v_lshlrev_b32_e32 v11, 20, v11
	v_and_b32_e32 v14, 0x80000000, v14
	v_lshl_add_u32 v12, v12, 23, v15
	v_or3_b32 v11, v14, v12, v11
.LBB3_1384:
	s_or_b64 exec, exec, s[6:7]
	s_nop 0
	v_mfma_f32_16x16x4f32 a[0:3], v10, v11, a[0:3]
	v_lshrrev_b32_e32 v11, 8, v17
	s_movk_i32 s4, 0x7f
	v_cmp_gt_i16_sdwa s[6:7], v11, s4 src0_sel:BYTE_0 src1_sel:DWORD
	s_mov_b64 s[4:5], 0
                                        ; implicit-def: $sgpr10
	s_and_saveexec_b64 s[8:9], s[6:7]
	s_xor_b64 s[6:7], exec, s[8:9]
	s_cbranch_execnz .LBB3_3433
; %bb.1385:
	s_or_saveexec_b64 s[6:7], s[6:7]
	v_mov_b32_e32 v10, s10
	s_xor_b64 exec, exec, s[6:7]
	s_cbranch_execnz .LBB3_3436
.LBB3_1386:
	s_or_b64 exec, exec, s[6:7]
	s_and_saveexec_b64 s[6:7], s[4:5]
	s_cbranch_execz .LBB3_1388
.LBB3_1387:
	v_bfe_u32 v10, v17, 8, 3
	v_ffbh_u32_e32 v14, v10
	v_min_u32_e32 v14, 32, v14
	v_lshrrev_b16_e32 v12, 3, v11
	v_subrev_u32_e32 v15, 28, v14
	v_and_b32_e32 v12, 15, v12
	v_lshlrev_b32_e32 v11, v15, v11
	v_sub_u32_e32 v14, 29, v14
	v_and_b32_e32 v11, 7, v11
	v_cmp_eq_u16_e32 vcc, 0, v12
	v_cndmask_b32_e32 v10, v10, v11, vcc
	v_cndmask_b32_e32 v11, v12, v14, vcc
	v_lshlrev_b32_e32 v12, 16, v17
	v_mov_b32_e32 v14, 0x3b800000
	v_lshlrev_b32_e32 v10, 20, v10
	v_and_b32_e32 v12, 0x80000000, v12
	v_lshl_add_u32 v11, v11, 23, v14
	v_or3_b32 v10, v12, v11, v10
.LBB3_1388:
	s_or_b64 exec, exec, s[6:7]
	v_lshrrev_b32_e32 v11, 8, v13
	s_movk_i32 s4, 0x7f
	v_cmp_gt_i16_sdwa s[6:7], v11, s4 src0_sel:BYTE_0 src1_sel:DWORD
	s_mov_b64 s[4:5], 0
                                        ; implicit-def: $sgpr10
	s_and_saveexec_b64 s[8:9], s[6:7]
	s_xor_b64 s[6:7], exec, s[8:9]
	s_cbranch_execnz .LBB3_3437
; %bb.1389:
	s_or_saveexec_b64 s[6:7], s[6:7]
	v_mov_b32_e32 v12, s10
	s_xor_b64 exec, exec, s[6:7]
	s_cbranch_execnz .LBB3_3440
.LBB3_1390:
	s_or_b64 exec, exec, s[6:7]
	s_and_saveexec_b64 s[6:7], s[4:5]
	s_cbranch_execz .LBB3_1392
.LBB3_1391:
	v_bfe_u32 v12, v13, 8, 3
	v_ffbh_u32_e32 v15, v12
	v_min_u32_e32 v15, 32, v15
	v_lshrrev_b16_e32 v14, 3, v11
	v_subrev_u32_e32 v16, 28, v15
	v_and_b32_e32 v14, 15, v14
	v_lshlrev_b32_e32 v11, v16, v11
	v_sub_u32_e32 v15, 29, v15
	v_and_b32_e32 v11, 7, v11
	v_cmp_eq_u16_e32 vcc, 0, v14
	v_cndmask_b32_e32 v11, v12, v11, vcc
	v_cndmask_b32_e32 v12, v14, v15, vcc
	v_lshlrev_b32_e32 v14, 16, v13
	v_mov_b32_e32 v15, 0x3b800000
	v_lshlrev_b32_e32 v11, 20, v11
	v_and_b32_e32 v14, 0x80000000, v14
	v_lshl_add_u32 v12, v12, 23, v15
	v_or3_b32 v12, v14, v12, v11
.LBB3_1392:
	s_or_b64 exec, exec, s[6:7]
	s_nop 0
	v_mfma_f32_16x16x4f32 a[0:3], v10, v12, a[0:3]
	s_movk_i32 s4, 0xff
	v_and_b32_sdwa v11, v17, s4 dst_sel:DWORD dst_unused:UNUSED_PAD src0_sel:WORD_1 src1_sel:DWORD
	s_movk_i32 s4, 0x7f
	v_cmp_lt_i16_e32 vcc, s4, v11
	s_mov_b64 s[4:5], 0
                                        ; implicit-def: $sgpr10
	s_and_saveexec_b64 s[6:7], vcc
	s_xor_b64 s[6:7], exec, s[6:7]
	s_cbranch_execnz .LBB3_3441
; %bb.1393:
	s_or_saveexec_b64 s[6:7], s[6:7]
	v_mov_b32_e32 v10, s10
	s_xor_b64 exec, exec, s[6:7]
	s_cbranch_execnz .LBB3_3444
.LBB3_1394:
	s_or_b64 exec, exec, s[6:7]
	s_and_saveexec_b64 s[6:7], s[4:5]
	s_cbranch_execz .LBB3_1396
.LBB3_1395:
	v_bfe_u32 v10, v17, 16, 3
	v_ffbh_u32_e32 v14, v10
	v_min_u32_e32 v14, 32, v14
	v_lshrrev_b32_e32 v11, 19, v17
	v_subrev_u32_e32 v15, 28, v14
	v_and_b32_e32 v11, 15, v11
	v_lshlrev_b32_sdwa v15, v15, v17 dst_sel:DWORD dst_unused:UNUSED_PAD src0_sel:DWORD src1_sel:WORD_1
	v_bfe_u32 v12, v17, 19, 4
	v_sub_u32_e32 v14, 29, v14
	v_and_b32_e32 v15, 7, v15
	v_cmp_eq_u16_e32 vcc, 0, v11
	v_cndmask_b32_e32 v10, v10, v15, vcc
	v_cndmask_b32_e32 v11, v12, v14, vcc
	v_lshlrev_b32_e32 v12, 8, v17
	v_mov_b32_e32 v14, 0x3b800000
	v_lshlrev_b32_e32 v10, 20, v10
	v_and_b32_e32 v12, 0x80000000, v12
	v_lshl_add_u32 v11, v11, 23, v14
	v_or3_b32 v10, v12, v11, v10
.LBB3_1396:
	s_or_b64 exec, exec, s[6:7]
	s_movk_i32 s4, 0xff
	v_and_b32_sdwa v11, v13, s4 dst_sel:DWORD dst_unused:UNUSED_PAD src0_sel:WORD_1 src1_sel:DWORD
	s_movk_i32 s4, 0x7f
	v_cmp_lt_i16_e32 vcc, s4, v11
	s_mov_b64 s[4:5], 0
                                        ; implicit-def: $sgpr10
	s_and_saveexec_b64 s[6:7], vcc
	s_xor_b64 s[6:7], exec, s[6:7]
	s_cbranch_execnz .LBB3_3445
; %bb.1397:
	s_or_saveexec_b64 s[6:7], s[6:7]
	v_mov_b32_e32 v12, s10
	s_xor_b64 exec, exec, s[6:7]
	s_cbranch_execnz .LBB3_3448
.LBB3_1398:
	s_or_b64 exec, exec, s[6:7]
	s_and_saveexec_b64 s[6:7], s[4:5]
	s_cbranch_execz .LBB3_1400
.LBB3_1399:
	v_bfe_u32 v11, v13, 16, 3
	v_ffbh_u32_e32 v15, v11
	v_min_u32_e32 v15, 32, v15
	v_lshrrev_b32_e32 v12, 19, v13
	v_subrev_u32_e32 v16, 28, v15
	v_and_b32_e32 v12, 15, v12
	v_lshlrev_b32_sdwa v16, v16, v13 dst_sel:DWORD dst_unused:UNUSED_PAD src0_sel:DWORD src1_sel:WORD_1
	v_bfe_u32 v14, v13, 19, 4
	v_sub_u32_e32 v15, 29, v15
	v_and_b32_e32 v16, 7, v16
	v_cmp_eq_u16_e32 vcc, 0, v12
	v_cndmask_b32_e32 v11, v11, v16, vcc
	v_cndmask_b32_e32 v12, v14, v15, vcc
	v_lshlrev_b32_e32 v14, 8, v13
	v_mov_b32_e32 v15, 0x3b800000
	v_lshlrev_b32_e32 v11, 20, v11
	v_and_b32_e32 v14, 0x80000000, v14
	v_lshl_add_u32 v12, v12, 23, v15
	v_or3_b32 v12, v14, v12, v11
.LBB3_1400:
	s_or_b64 exec, exec, s[6:7]
	s_nop 0
	v_mfma_f32_16x16x4f32 a[0:3], v10, v12, a[0:3]
	s_movk_i32 s4, 0x7f
	v_cmp_gt_i16_sdwa s[6:7], v17, s4 src0_sel:BYTE_3 src1_sel:DWORD
	s_mov_b64 s[4:5], 0
                                        ; implicit-def: $sgpr10
	s_and_saveexec_b64 s[8:9], s[6:7]
	s_xor_b64 s[6:7], exec, s[8:9]
	s_cbranch_execnz .LBB3_3449
; %bb.1401:
	s_or_saveexec_b64 s[6:7], s[6:7]
	v_mov_b32_e32 v10, s10
	s_xor_b64 exec, exec, s[6:7]
	s_cbranch_execnz .LBB3_3452
.LBB3_1402:
	s_or_b64 exec, exec, s[6:7]
	s_and_saveexec_b64 s[6:7], s[4:5]
	s_cbranch_execz .LBB3_1404
.LBB3_1403:
	v_bfe_u32 v10, v17, 24, 3
	v_ffbh_u32_e32 v15, v10
	v_min_u32_e32 v15, 32, v15
	v_lshrrev_b32_e32 v12, 27, v17
	v_subrev_u32_e32 v16, 28, v15
	v_and_b32_e32 v12, 15, v12
	v_lshlrev_b32_sdwa v16, v16, v17 dst_sel:DWORD dst_unused:UNUSED_PAD src0_sel:DWORD src1_sel:BYTE_3
	v_bfe_u32 v14, v17, 27, 4
	v_sub_u32_e32 v15, 29, v15
	v_and_b32_e32 v16, 7, v16
	v_cmp_eq_u16_e32 vcc, 0, v12
	v_cndmask_b32_e32 v10, v10, v16, vcc
	v_cndmask_b32_e32 v12, v14, v15, vcc
	v_mov_b32_e32 v14, 0x3b800000
	v_and_b32_e32 v11, 0x80000000, v17
	v_lshlrev_b32_e32 v10, 20, v10
	v_lshl_add_u32 v12, v12, 23, v14
	v_or3_b32 v10, v11, v12, v10
.LBB3_1404:
	s_or_b64 exec, exec, s[6:7]
	s_movk_i32 s4, 0x7f
	v_cmp_gt_i16_sdwa s[6:7], v13, s4 src0_sel:BYTE_3 src1_sel:DWORD
	s_mov_b64 s[4:5], 0
                                        ; implicit-def: $sgpr10
	s_and_saveexec_b64 s[8:9], s[6:7]
	s_xor_b64 s[6:7], exec, s[8:9]
	s_cbranch_execnz .LBB3_3453
; %bb.1405:
	s_or_saveexec_b64 s[6:7], s[6:7]
	v_mov_b32_e32 v11, s10
	s_xor_b64 exec, exec, s[6:7]
	s_cbranch_execnz .LBB3_3456
.LBB3_1406:
	s_or_b64 exec, exec, s[6:7]
	s_and_saveexec_b64 s[6:7], s[4:5]
	s_cbranch_execz .LBB3_1408
.LBB3_1407:
	v_bfe_u32 v11, v13, 24, 3
	v_ffbh_u32_e32 v16, v11
	v_min_u32_e32 v16, 32, v16
	v_lshrrev_b32_e32 v14, 27, v13
	v_subrev_u32_e32 v17, 28, v16
	v_and_b32_e32 v12, 0x80000000, v13
	v_and_b32_e32 v14, 15, v14
	v_bfe_u32 v15, v13, 27, 4
	v_lshlrev_b32_sdwa v13, v17, v13 dst_sel:DWORD dst_unused:UNUSED_PAD src0_sel:DWORD src1_sel:BYTE_3
	v_sub_u32_e32 v16, 29, v16
	v_and_b32_e32 v13, 7, v13
	v_cmp_eq_u16_e32 vcc, 0, v14
	v_cndmask_b32_e32 v11, v11, v13, vcc
	v_cndmask_b32_e32 v13, v15, v16, vcc
	v_mov_b32_e32 v14, 0x3b800000
	v_lshlrev_b32_e32 v11, 20, v11
	v_lshl_add_u32 v13, v13, 23, v14
	v_or3_b32 v11, v12, v13, v11
.LBB3_1408:
	s_or_b64 exec, exec, s[6:7]
	s_nop 0
	v_mfma_f32_16x16x4f32 a[0:3], v10, v11, a[0:3]
	s_movk_i32 s4, 0x7f
	v_cmp_gt_i16_sdwa s[6:7], v6, s4 src0_sel:BYTE_0 src1_sel:DWORD
	s_mov_b64 s[4:5], 0
                                        ; implicit-def: $sgpr10
	s_and_saveexec_b64 s[8:9], s[6:7]
	s_xor_b64 s[6:7], exec, s[8:9]
	s_cbranch_execnz .LBB3_3457
; %bb.1409:
	s_or_saveexec_b64 s[6:7], s[6:7]
	v_mov_b32_e32 v10, s10
	s_xor_b64 exec, exec, s[6:7]
	s_cbranch_execnz .LBB3_3460
.LBB3_1410:
	s_or_b64 exec, exec, s[6:7]
	s_and_saveexec_b64 s[6:7], s[4:5]
	s_cbranch_execz .LBB3_1412
.LBB3_1411:
	v_and_b32_e32 v10, 7, v6
	v_ffbh_u32_e32 v12, v10
	v_min_u32_e32 v12, 32, v12
	v_lshrrev_b16_e32 v11, 3, v6
	v_subrev_u32_e32 v13, 28, v12
	v_and_b32_e32 v11, 15, v11
	v_lshlrev_b32_e32 v13, v13, v6
	v_sub_u32_e32 v12, 29, v12
	v_and_b32_e32 v13, 7, v13
	v_cmp_eq_u16_e32 vcc, 0, v11
	v_cndmask_b32_e32 v10, v10, v13, vcc
	v_cndmask_b32_e32 v11, v11, v12, vcc
	v_lshlrev_b32_e32 v12, 24, v6
	v_mov_b32_e32 v13, 0x3b800000
	v_lshlrev_b32_e32 v10, 20, v10
	v_and_b32_e32 v12, 0x80000000, v12
	v_lshl_add_u32 v11, v11, 23, v13
	v_or3_b32 v10, v12, v11, v10
.LBB3_1412:
	s_or_b64 exec, exec, s[6:7]
	s_movk_i32 s4, 0x7f
	v_cmp_gt_i16_sdwa s[6:7], v2, s4 src0_sel:BYTE_0 src1_sel:DWORD
	s_mov_b64 s[4:5], 0
                                        ; implicit-def: $sgpr10
	s_and_saveexec_b64 s[8:9], s[6:7]
	s_xor_b64 s[6:7], exec, s[8:9]
	s_cbranch_execnz .LBB3_3461
; %bb.1413:
	s_or_saveexec_b64 s[6:7], s[6:7]
	v_mov_b32_e32 v11, s10
	s_xor_b64 exec, exec, s[6:7]
	s_cbranch_execnz .LBB3_3464
.LBB3_1414:
	s_or_b64 exec, exec, s[6:7]
	s_and_saveexec_b64 s[6:7], s[4:5]
	s_cbranch_execz .LBB3_1416
.LBB3_1415:
	v_and_b32_e32 v11, 7, v2
	v_ffbh_u32_e32 v13, v11
	v_min_u32_e32 v13, 32, v13
	v_lshrrev_b16_e32 v12, 3, v2
	v_subrev_u32_e32 v14, 28, v13
	v_and_b32_e32 v12, 15, v12
	v_lshlrev_b32_e32 v14, v14, v2
	v_sub_u32_e32 v13, 29, v13
	v_and_b32_e32 v14, 7, v14
	v_cmp_eq_u16_e32 vcc, 0, v12
	v_cndmask_b32_e32 v11, v11, v14, vcc
	v_cndmask_b32_e32 v12, v12, v13, vcc
	v_lshlrev_b32_e32 v13, 24, v2
	v_mov_b32_e32 v14, 0x3b800000
	v_lshlrev_b32_e32 v11, 20, v11
	v_and_b32_e32 v13, 0x80000000, v13
	v_lshl_add_u32 v12, v12, 23, v14
	v_or3_b32 v11, v13, v12, v11
.LBB3_1416:
	s_or_b64 exec, exec, s[6:7]
	s_nop 0
	v_mfma_f32_16x16x4f32 a[0:3], v10, v11, a[0:3]
	v_lshrrev_b32_e32 v11, 8, v6
	s_movk_i32 s4, 0x7f
	v_cmp_gt_i16_sdwa s[6:7], v11, s4 src0_sel:BYTE_0 src1_sel:DWORD
	s_mov_b64 s[4:5], 0
                                        ; implicit-def: $sgpr10
	s_and_saveexec_b64 s[8:9], s[6:7]
	s_xor_b64 s[6:7], exec, s[8:9]
	s_cbranch_execnz .LBB3_3465
; %bb.1417:
	s_or_saveexec_b64 s[6:7], s[6:7]
	v_mov_b32_e32 v10, s10
	s_xor_b64 exec, exec, s[6:7]
	s_cbranch_execnz .LBB3_3468
.LBB3_1418:
	s_or_b64 exec, exec, s[6:7]
	s_and_saveexec_b64 s[6:7], s[4:5]
	s_cbranch_execz .LBB3_1420
.LBB3_1419:
	v_bfe_u32 v10, v6, 8, 3
	v_ffbh_u32_e32 v13, v10
	v_min_u32_e32 v13, 32, v13
	v_lshrrev_b16_e32 v12, 3, v11
	v_subrev_u32_e32 v14, 28, v13
	v_and_b32_e32 v12, 15, v12
	v_lshlrev_b32_e32 v11, v14, v11
	v_sub_u32_e32 v13, 29, v13
	v_and_b32_e32 v11, 7, v11
	v_cmp_eq_u16_e32 vcc, 0, v12
	v_cndmask_b32_e32 v10, v10, v11, vcc
	v_cndmask_b32_e32 v11, v12, v13, vcc
	v_lshlrev_b32_e32 v12, 16, v6
	v_mov_b32_e32 v13, 0x3b800000
	v_lshlrev_b32_e32 v10, 20, v10
	v_and_b32_e32 v12, 0x80000000, v12
	v_lshl_add_u32 v11, v11, 23, v13
	v_or3_b32 v10, v12, v11, v10
.LBB3_1420:
	s_or_b64 exec, exec, s[6:7]
	v_lshrrev_b32_e32 v11, 8, v2
	s_movk_i32 s4, 0x7f
	v_cmp_gt_i16_sdwa s[6:7], v11, s4 src0_sel:BYTE_0 src1_sel:DWORD
	s_mov_b64 s[4:5], 0
                                        ; implicit-def: $sgpr10
	s_and_saveexec_b64 s[8:9], s[6:7]
	s_xor_b64 s[6:7], exec, s[8:9]
	s_cbranch_execnz .LBB3_3469
; %bb.1421:
	s_or_saveexec_b64 s[6:7], s[6:7]
	v_mov_b32_e32 v12, s10
	s_xor_b64 exec, exec, s[6:7]
	s_cbranch_execnz .LBB3_3472
.LBB3_1422:
	s_or_b64 exec, exec, s[6:7]
	s_and_saveexec_b64 s[6:7], s[4:5]
	s_cbranch_execz .LBB3_1424
.LBB3_1423:
	v_bfe_u32 v12, v2, 8, 3
	v_ffbh_u32_e32 v14, v12
	v_min_u32_e32 v14, 32, v14
	v_lshrrev_b16_e32 v13, 3, v11
	v_subrev_u32_e32 v15, 28, v14
	v_and_b32_e32 v13, 15, v13
	v_lshlrev_b32_e32 v11, v15, v11
	v_sub_u32_e32 v14, 29, v14
	v_and_b32_e32 v11, 7, v11
	v_cmp_eq_u16_e32 vcc, 0, v13
	v_cndmask_b32_e32 v11, v12, v11, vcc
	v_cndmask_b32_e32 v12, v13, v14, vcc
	v_lshlrev_b32_e32 v13, 16, v2
	v_mov_b32_e32 v14, 0x3b800000
	v_lshlrev_b32_e32 v11, 20, v11
	v_and_b32_e32 v13, 0x80000000, v13
	v_lshl_add_u32 v12, v12, 23, v14
	v_or3_b32 v12, v13, v12, v11
.LBB3_1424:
	s_or_b64 exec, exec, s[6:7]
	s_nop 0
	v_mfma_f32_16x16x4f32 a[0:3], v10, v12, a[0:3]
	s_movk_i32 s4, 0xff
	v_and_b32_sdwa v11, v6, s4 dst_sel:DWORD dst_unused:UNUSED_PAD src0_sel:WORD_1 src1_sel:DWORD
	s_movk_i32 s4, 0x7f
	v_cmp_lt_i16_e32 vcc, s4, v11
	s_mov_b64 s[4:5], 0
                                        ; implicit-def: $sgpr10
	s_and_saveexec_b64 s[6:7], vcc
	s_xor_b64 s[6:7], exec, s[6:7]
	s_cbranch_execnz .LBB3_3473
; %bb.1425:
	s_or_saveexec_b64 s[6:7], s[6:7]
	v_mov_b32_e32 v10, s10
	s_xor_b64 exec, exec, s[6:7]
	s_cbranch_execnz .LBB3_3476
.LBB3_1426:
	s_or_b64 exec, exec, s[6:7]
	s_and_saveexec_b64 s[6:7], s[4:5]
	s_cbranch_execz .LBB3_1428
.LBB3_1427:
	v_bfe_u32 v10, v6, 16, 3
	v_ffbh_u32_e32 v13, v10
	v_min_u32_e32 v13, 32, v13
	v_lshrrev_b32_e32 v11, 19, v6
	v_subrev_u32_e32 v14, 28, v13
	v_and_b32_e32 v11, 15, v11
	v_lshlrev_b32_sdwa v14, v14, v6 dst_sel:DWORD dst_unused:UNUSED_PAD src0_sel:DWORD src1_sel:WORD_1
	v_bfe_u32 v12, v6, 19, 4
	v_sub_u32_e32 v13, 29, v13
	v_and_b32_e32 v14, 7, v14
	v_cmp_eq_u16_e32 vcc, 0, v11
	v_cndmask_b32_e32 v10, v10, v14, vcc
	v_cndmask_b32_e32 v11, v12, v13, vcc
	v_lshlrev_b32_e32 v12, 8, v6
	v_mov_b32_e32 v13, 0x3b800000
	v_lshlrev_b32_e32 v10, 20, v10
	v_and_b32_e32 v12, 0x80000000, v12
	v_lshl_add_u32 v11, v11, 23, v13
	v_or3_b32 v10, v12, v11, v10
.LBB3_1428:
	s_or_b64 exec, exec, s[6:7]
	s_movk_i32 s4, 0xff
	v_and_b32_sdwa v11, v2, s4 dst_sel:DWORD dst_unused:UNUSED_PAD src0_sel:WORD_1 src1_sel:DWORD
	s_movk_i32 s4, 0x7f
	v_cmp_lt_i16_e32 vcc, s4, v11
	s_mov_b64 s[4:5], 0
                                        ; implicit-def: $sgpr10
	s_and_saveexec_b64 s[6:7], vcc
	s_xor_b64 s[6:7], exec, s[6:7]
	s_cbranch_execnz .LBB3_3477
; %bb.1429:
	s_or_saveexec_b64 s[6:7], s[6:7]
	v_mov_b32_e32 v12, s10
	s_xor_b64 exec, exec, s[6:7]
	s_cbranch_execnz .LBB3_3480
.LBB3_1430:
	s_or_b64 exec, exec, s[6:7]
	s_and_saveexec_b64 s[6:7], s[4:5]
	s_cbranch_execz .LBB3_1432
.LBB3_1431:
	v_bfe_u32 v11, v2, 16, 3
	v_ffbh_u32_e32 v14, v11
	v_min_u32_e32 v14, 32, v14
	v_lshrrev_b32_e32 v12, 19, v2
	v_subrev_u32_e32 v15, 28, v14
	v_and_b32_e32 v12, 15, v12
	v_lshlrev_b32_sdwa v15, v15, v2 dst_sel:DWORD dst_unused:UNUSED_PAD src0_sel:DWORD src1_sel:WORD_1
	v_bfe_u32 v13, v2, 19, 4
	v_sub_u32_e32 v14, 29, v14
	v_and_b32_e32 v15, 7, v15
	v_cmp_eq_u16_e32 vcc, 0, v12
	v_cndmask_b32_e32 v11, v11, v15, vcc
	v_cndmask_b32_e32 v12, v13, v14, vcc
	v_lshlrev_b32_e32 v13, 8, v2
	v_mov_b32_e32 v14, 0x3b800000
	v_lshlrev_b32_e32 v11, 20, v11
	v_and_b32_e32 v13, 0x80000000, v13
	v_lshl_add_u32 v12, v12, 23, v14
	v_or3_b32 v12, v13, v12, v11
.LBB3_1432:
	s_or_b64 exec, exec, s[6:7]
	s_nop 0
	v_mfma_f32_16x16x4f32 a[0:3], v10, v12, a[0:3]
	s_movk_i32 s4, 0x7f
	v_cmp_gt_i16_sdwa s[6:7], v6, s4 src0_sel:BYTE_3 src1_sel:DWORD
	s_mov_b64 s[4:5], 0
                                        ; implicit-def: $sgpr10
	s_and_saveexec_b64 s[8:9], s[6:7]
	s_xor_b64 s[6:7], exec, s[8:9]
	s_cbranch_execnz .LBB3_3481
; %bb.1433:
	s_or_saveexec_b64 s[6:7], s[6:7]
	v_mov_b32_e32 v10, s10
	s_xor_b64 exec, exec, s[6:7]
	s_cbranch_execnz .LBB3_3484
.LBB3_1434:
	s_or_b64 exec, exec, s[6:7]
	s_and_saveexec_b64 s[6:7], s[4:5]
	s_cbranch_execz .LBB3_1436
.LBB3_1435:
	v_bfe_u32 v10, v6, 24, 3
	v_ffbh_u32_e32 v14, v10
	v_min_u32_e32 v14, 32, v14
	v_lshrrev_b32_e32 v12, 27, v6
	v_subrev_u32_e32 v15, 28, v14
	v_and_b32_e32 v11, 0x80000000, v6
	v_and_b32_e32 v12, 15, v12
	v_bfe_u32 v13, v6, 27, 4
	v_lshlrev_b32_sdwa v6, v15, v6 dst_sel:DWORD dst_unused:UNUSED_PAD src0_sel:DWORD src1_sel:BYTE_3
	v_sub_u32_e32 v14, 29, v14
	v_and_b32_e32 v6, 7, v6
	v_cmp_eq_u16_e32 vcc, 0, v12
	v_cndmask_b32_e32 v6, v10, v6, vcc
	v_cndmask_b32_e32 v10, v13, v14, vcc
	v_mov_b32_e32 v12, 0x3b800000
	v_lshlrev_b32_e32 v6, 20, v6
	v_lshl_add_u32 v10, v10, 23, v12
	v_or3_b32 v10, v11, v10, v6
.LBB3_1436:
	s_or_b64 exec, exec, s[6:7]
	s_movk_i32 s4, 0x7f
	v_cmp_gt_i16_sdwa s[6:7], v2, s4 src0_sel:BYTE_3 src1_sel:DWORD
	s_mov_b64 s[4:5], 0
                                        ; implicit-def: $sgpr10
	s_and_saveexec_b64 s[8:9], s[6:7]
	s_xor_b64 s[6:7], exec, s[8:9]
	s_cbranch_execnz .LBB3_3485
; %bb.1437:
	s_or_saveexec_b64 s[6:7], s[6:7]
	v_mov_b32_e32 v6, s10
	s_xor_b64 exec, exec, s[6:7]
	s_cbranch_execnz .LBB3_3488
.LBB3_1438:
	s_or_b64 exec, exec, s[6:7]
	s_and_saveexec_b64 s[6:7], s[4:5]
	s_cbranch_execz .LBB3_1440
.LBB3_1439:
	v_bfe_u32 v6, v2, 24, 3
	v_ffbh_u32_e32 v14, v6
	v_min_u32_e32 v14, 32, v14
	v_lshrrev_b32_e32 v12, 27, v2
	v_subrev_u32_e32 v15, 28, v14
	v_and_b32_e32 v11, 0x80000000, v2
	v_and_b32_e32 v12, 15, v12
	v_bfe_u32 v13, v2, 27, 4
	v_lshlrev_b32_sdwa v2, v15, v2 dst_sel:DWORD dst_unused:UNUSED_PAD src0_sel:DWORD src1_sel:BYTE_3
	v_sub_u32_e32 v14, 29, v14
	v_and_b32_e32 v2, 7, v2
	v_cmp_eq_u16_e32 vcc, 0, v12
	v_cndmask_b32_e32 v2, v6, v2, vcc
	v_cndmask_b32_e32 v6, v13, v14, vcc
	v_mov_b32_e32 v12, 0x3b800000
	v_lshlrev_b32_e32 v2, 20, v2
	v_lshl_add_u32 v6, v6, 23, v12
	v_or3_b32 v6, v11, v6, v2
.LBB3_1440:
	s_or_b64 exec, exec, s[6:7]
	s_nop 0
	v_mfma_f32_16x16x4f32 a[0:3], v10, v6, a[0:3]
	s_movk_i32 s4, 0x7f
	v_cmp_gt_i16_sdwa s[6:7], v7, s4 src0_sel:BYTE_0 src1_sel:DWORD
	s_mov_b64 s[4:5], 0
                                        ; implicit-def: $sgpr10
	s_and_saveexec_b64 s[8:9], s[6:7]
	s_xor_b64 s[6:7], exec, s[8:9]
	s_cbranch_execnz .LBB3_3489
; %bb.1441:
	s_or_saveexec_b64 s[6:7], s[6:7]
	v_mov_b32_e32 v2, s10
	s_xor_b64 exec, exec, s[6:7]
	s_cbranch_execnz .LBB3_3492
.LBB3_1442:
	s_or_b64 exec, exec, s[6:7]
	s_and_saveexec_b64 s[6:7], s[4:5]
	s_cbranch_execz .LBB3_1444
.LBB3_1443:
	v_and_b32_e32 v2, 7, v7
	v_ffbh_u32_e32 v10, v2
	v_min_u32_e32 v10, 32, v10
	v_lshrrev_b16_e32 v6, 3, v7
	v_subrev_u32_e32 v11, 28, v10
	v_and_b32_e32 v6, 15, v6
	v_lshlrev_b32_e32 v11, v11, v7
	v_sub_u32_e32 v10, 29, v10
	v_and_b32_e32 v11, 7, v11
	v_cmp_eq_u16_e32 vcc, 0, v6
	v_cndmask_b32_e32 v2, v2, v11, vcc
	v_cndmask_b32_e32 v6, v6, v10, vcc
	v_lshlrev_b32_e32 v10, 24, v7
	v_mov_b32_e32 v11, 0x3b800000
	v_lshlrev_b32_e32 v2, 20, v2
	v_and_b32_e32 v10, 0x80000000, v10
	v_lshl_add_u32 v6, v6, 23, v11
	v_or3_b32 v2, v10, v6, v2
.LBB3_1444:
	s_or_b64 exec, exec, s[6:7]
	s_movk_i32 s4, 0x7f
	v_cmp_gt_i16_sdwa s[6:7], v3, s4 src0_sel:BYTE_0 src1_sel:DWORD
	s_mov_b64 s[4:5], 0
                                        ; implicit-def: $sgpr10
	s_and_saveexec_b64 s[8:9], s[6:7]
	s_xor_b64 s[6:7], exec, s[8:9]
	s_cbranch_execnz .LBB3_3493
; %bb.1445:
	s_or_saveexec_b64 s[6:7], s[6:7]
	v_mov_b32_e32 v6, s10
	s_xor_b64 exec, exec, s[6:7]
	s_cbranch_execnz .LBB3_3496
.LBB3_1446:
	s_or_b64 exec, exec, s[6:7]
	s_and_saveexec_b64 s[6:7], s[4:5]
	s_cbranch_execz .LBB3_1448
.LBB3_1447:
	v_and_b32_e32 v6, 7, v3
	v_ffbh_u32_e32 v11, v6
	v_min_u32_e32 v11, 32, v11
	v_lshrrev_b16_e32 v10, 3, v3
	v_subrev_u32_e32 v12, 28, v11
	v_and_b32_e32 v10, 15, v10
	v_lshlrev_b32_e32 v12, v12, v3
	v_sub_u32_e32 v11, 29, v11
	v_and_b32_e32 v12, 7, v12
	v_cmp_eq_u16_e32 vcc, 0, v10
	v_cndmask_b32_e32 v6, v6, v12, vcc
	v_cndmask_b32_e32 v10, v10, v11, vcc
	v_lshlrev_b32_e32 v11, 24, v3
	v_mov_b32_e32 v12, 0x3b800000
	v_lshlrev_b32_e32 v6, 20, v6
	v_and_b32_e32 v11, 0x80000000, v11
	v_lshl_add_u32 v10, v10, 23, v12
	v_or3_b32 v6, v11, v10, v6
.LBB3_1448:
	s_or_b64 exec, exec, s[6:7]
	s_nop 0
	v_mfma_f32_16x16x4f32 a[0:3], v2, v6, a[0:3]
	v_lshrrev_b32_e32 v6, 8, v7
	s_movk_i32 s4, 0x7f
	v_cmp_gt_i16_sdwa s[6:7], v6, s4 src0_sel:BYTE_0 src1_sel:DWORD
	s_mov_b64 s[4:5], 0
                                        ; implicit-def: $sgpr10
	s_and_saveexec_b64 s[8:9], s[6:7]
	s_xor_b64 s[6:7], exec, s[8:9]
	s_cbranch_execnz .LBB3_3497
; %bb.1449:
	s_or_saveexec_b64 s[6:7], s[6:7]
	v_mov_b32_e32 v2, s10
	s_xor_b64 exec, exec, s[6:7]
	s_cbranch_execnz .LBB3_3500
.LBB3_1450:
	s_or_b64 exec, exec, s[6:7]
	s_and_saveexec_b64 s[6:7], s[4:5]
	s_cbranch_execz .LBB3_1452
.LBB3_1451:
	v_bfe_u32 v2, v7, 8, 3
	v_ffbh_u32_e32 v11, v2
	v_min_u32_e32 v11, 32, v11
	v_lshrrev_b16_e32 v10, 3, v6
	v_subrev_u32_e32 v12, 28, v11
	v_and_b32_e32 v10, 15, v10
	v_lshlrev_b32_e32 v6, v12, v6
	v_sub_u32_e32 v11, 29, v11
	v_and_b32_e32 v6, 7, v6
	v_cmp_eq_u16_e32 vcc, 0, v10
	v_cndmask_b32_e32 v2, v2, v6, vcc
	v_cndmask_b32_e32 v6, v10, v11, vcc
	v_lshlrev_b32_e32 v10, 16, v7
	v_mov_b32_e32 v11, 0x3b800000
	v_lshlrev_b32_e32 v2, 20, v2
	v_and_b32_e32 v10, 0x80000000, v10
	v_lshl_add_u32 v6, v6, 23, v11
	v_or3_b32 v2, v10, v6, v2
.LBB3_1452:
	s_or_b64 exec, exec, s[6:7]
	v_lshrrev_b32_e32 v6, 8, v3
	s_movk_i32 s4, 0x7f
	v_cmp_gt_i16_sdwa s[6:7], v6, s4 src0_sel:BYTE_0 src1_sel:DWORD
	s_mov_b64 s[4:5], 0
                                        ; implicit-def: $sgpr10
	s_and_saveexec_b64 s[8:9], s[6:7]
	s_xor_b64 s[6:7], exec, s[8:9]
	s_cbranch_execnz .LBB3_3501
; %bb.1453:
	s_or_saveexec_b64 s[6:7], s[6:7]
	v_mov_b32_e32 v10, s10
	s_xor_b64 exec, exec, s[6:7]
	s_cbranch_execnz .LBB3_3504
.LBB3_1454:
	s_or_b64 exec, exec, s[6:7]
	s_and_saveexec_b64 s[6:7], s[4:5]
	s_cbranch_execz .LBB3_1456
.LBB3_1455:
	v_bfe_u32 v10, v3, 8, 3
	v_ffbh_u32_e32 v12, v10
	v_min_u32_e32 v12, 32, v12
	v_lshrrev_b16_e32 v11, 3, v6
	v_subrev_u32_e32 v13, 28, v12
	v_and_b32_e32 v11, 15, v11
	v_lshlrev_b32_e32 v6, v13, v6
	v_sub_u32_e32 v12, 29, v12
	v_and_b32_e32 v6, 7, v6
	v_cmp_eq_u16_e32 vcc, 0, v11
	v_cndmask_b32_e32 v6, v10, v6, vcc
	v_cndmask_b32_e32 v10, v11, v12, vcc
	v_lshlrev_b32_e32 v11, 16, v3
	v_mov_b32_e32 v12, 0x3b800000
	v_lshlrev_b32_e32 v6, 20, v6
	v_and_b32_e32 v11, 0x80000000, v11
	v_lshl_add_u32 v10, v10, 23, v12
	v_or3_b32 v10, v11, v10, v6
.LBB3_1456:
	s_or_b64 exec, exec, s[6:7]
	s_nop 0
	v_mfma_f32_16x16x4f32 a[0:3], v2, v10, a[0:3]
	s_movk_i32 s4, 0xff
	v_and_b32_sdwa v6, v7, s4 dst_sel:DWORD dst_unused:UNUSED_PAD src0_sel:WORD_1 src1_sel:DWORD
	s_movk_i32 s4, 0x7f
	v_cmp_lt_i16_e32 vcc, s4, v6
	s_mov_b64 s[4:5], 0
                                        ; implicit-def: $sgpr10
	s_and_saveexec_b64 s[6:7], vcc
	s_xor_b64 s[6:7], exec, s[6:7]
	s_cbranch_execnz .LBB3_3505
; %bb.1457:
	s_or_saveexec_b64 s[6:7], s[6:7]
	v_mov_b32_e32 v2, s10
	s_xor_b64 exec, exec, s[6:7]
	s_cbranch_execnz .LBB3_3508
.LBB3_1458:
	s_or_b64 exec, exec, s[6:7]
	s_and_saveexec_b64 s[6:7], s[4:5]
	s_cbranch_execz .LBB3_1460
.LBB3_1459:
	v_bfe_u32 v2, v7, 16, 3
	v_ffbh_u32_e32 v11, v2
	v_min_u32_e32 v11, 32, v11
	v_lshrrev_b32_e32 v6, 19, v7
	v_subrev_u32_e32 v12, 28, v11
	v_and_b32_e32 v6, 15, v6
	v_lshlrev_b32_sdwa v12, v12, v7 dst_sel:DWORD dst_unused:UNUSED_PAD src0_sel:DWORD src1_sel:WORD_1
	v_bfe_u32 v10, v7, 19, 4
	v_sub_u32_e32 v11, 29, v11
	v_and_b32_e32 v12, 7, v12
	v_cmp_eq_u16_e32 vcc, 0, v6
	v_cndmask_b32_e32 v2, v2, v12, vcc
	v_cndmask_b32_e32 v6, v10, v11, vcc
	v_lshlrev_b32_e32 v10, 8, v7
	v_mov_b32_e32 v11, 0x3b800000
	v_lshlrev_b32_e32 v2, 20, v2
	v_and_b32_e32 v10, 0x80000000, v10
	v_lshl_add_u32 v6, v6, 23, v11
	v_or3_b32 v2, v10, v6, v2
.LBB3_1460:
	s_or_b64 exec, exec, s[6:7]
	s_movk_i32 s4, 0xff
	v_and_b32_sdwa v6, v3, s4 dst_sel:DWORD dst_unused:UNUSED_PAD src0_sel:WORD_1 src1_sel:DWORD
	s_movk_i32 s4, 0x7f
	v_cmp_lt_i16_e32 vcc, s4, v6
	s_mov_b64 s[4:5], 0
                                        ; implicit-def: $sgpr10
	s_and_saveexec_b64 s[6:7], vcc
	s_xor_b64 s[6:7], exec, s[6:7]
	s_cbranch_execnz .LBB3_3509
; %bb.1461:
	s_or_saveexec_b64 s[6:7], s[6:7]
	v_mov_b32_e32 v10, s10
	s_xor_b64 exec, exec, s[6:7]
	s_cbranch_execnz .LBB3_3512
.LBB3_1462:
	s_or_b64 exec, exec, s[6:7]
	s_and_saveexec_b64 s[6:7], s[4:5]
	s_cbranch_execz .LBB3_1464
.LBB3_1463:
	v_bfe_u32 v6, v3, 16, 3
	v_ffbh_u32_e32 v12, v6
	v_min_u32_e32 v12, 32, v12
	v_lshrrev_b32_e32 v10, 19, v3
	v_subrev_u32_e32 v13, 28, v12
	v_and_b32_e32 v10, 15, v10
	v_lshlrev_b32_sdwa v13, v13, v3 dst_sel:DWORD dst_unused:UNUSED_PAD src0_sel:DWORD src1_sel:WORD_1
	v_bfe_u32 v11, v3, 19, 4
	v_sub_u32_e32 v12, 29, v12
	v_and_b32_e32 v13, 7, v13
	v_cmp_eq_u16_e32 vcc, 0, v10
	v_cndmask_b32_e32 v6, v6, v13, vcc
	v_cndmask_b32_e32 v10, v11, v12, vcc
	v_lshlrev_b32_e32 v11, 8, v3
	v_mov_b32_e32 v12, 0x3b800000
	v_lshlrev_b32_e32 v6, 20, v6
	v_and_b32_e32 v11, 0x80000000, v11
	v_lshl_add_u32 v10, v10, 23, v12
	v_or3_b32 v10, v11, v10, v6
.LBB3_1464:
	s_or_b64 exec, exec, s[6:7]
	s_nop 0
	v_mfma_f32_16x16x4f32 a[0:3], v2, v10, a[0:3]
	s_movk_i32 s4, 0x7f
	v_cmp_gt_i16_sdwa s[6:7], v7, s4 src0_sel:BYTE_3 src1_sel:DWORD
	s_mov_b64 s[4:5], 0
                                        ; implicit-def: $sgpr10
	s_and_saveexec_b64 s[8:9], s[6:7]
	s_xor_b64 s[6:7], exec, s[8:9]
	s_cbranch_execnz .LBB3_3513
; %bb.1465:
	s_or_saveexec_b64 s[6:7], s[6:7]
	v_mov_b32_e32 v2, s10
	s_xor_b64 exec, exec, s[6:7]
	s_cbranch_execnz .LBB3_3516
.LBB3_1466:
	s_or_b64 exec, exec, s[6:7]
	s_and_saveexec_b64 s[6:7], s[4:5]
	s_cbranch_execz .LBB3_1468
.LBB3_1467:
	v_bfe_u32 v2, v7, 24, 3
	v_ffbh_u32_e32 v12, v2
	v_min_u32_e32 v12, 32, v12
	v_lshrrev_b32_e32 v10, 27, v7
	v_subrev_u32_e32 v13, 28, v12
	v_and_b32_e32 v6, 0x80000000, v7
	v_and_b32_e32 v10, 15, v10
	v_bfe_u32 v11, v7, 27, 4
	v_lshlrev_b32_sdwa v7, v13, v7 dst_sel:DWORD dst_unused:UNUSED_PAD src0_sel:DWORD src1_sel:BYTE_3
	v_sub_u32_e32 v12, 29, v12
	v_and_b32_e32 v7, 7, v7
	v_cmp_eq_u16_e32 vcc, 0, v10
	v_cndmask_b32_e32 v2, v2, v7, vcc
	v_cndmask_b32_e32 v7, v11, v12, vcc
	v_mov_b32_e32 v10, 0x3b800000
	v_lshlrev_b32_e32 v2, 20, v2
	v_lshl_add_u32 v7, v7, 23, v10
	v_or3_b32 v2, v6, v7, v2
.LBB3_1468:
	s_or_b64 exec, exec, s[6:7]
	s_movk_i32 s4, 0x7f
	v_cmp_gt_i16_sdwa s[6:7], v3, s4 src0_sel:BYTE_3 src1_sel:DWORD
	s_mov_b64 s[4:5], 0
                                        ; implicit-def: $sgpr10
	s_and_saveexec_b64 s[8:9], s[6:7]
	s_xor_b64 s[6:7], exec, s[8:9]
	s_cbranch_execnz .LBB3_3517
; %bb.1469:
	s_or_saveexec_b64 s[6:7], s[6:7]
	v_mov_b32_e32 v6, s10
	s_xor_b64 exec, exec, s[6:7]
	s_cbranch_execnz .LBB3_3520
.LBB3_1470:
	s_or_b64 exec, exec, s[6:7]
	s_and_saveexec_b64 s[6:7], s[4:5]
	s_cbranch_execz .LBB3_1472
.LBB3_1471:
	v_bfe_u32 v6, v3, 24, 3
	v_ffbh_u32_e32 v12, v6
	v_min_u32_e32 v12, 32, v12
	v_lshrrev_b32_e32 v10, 27, v3
	v_subrev_u32_e32 v13, 28, v12
	v_and_b32_e32 v7, 0x80000000, v3
	v_and_b32_e32 v10, 15, v10
	v_bfe_u32 v11, v3, 27, 4
	v_lshlrev_b32_sdwa v3, v13, v3 dst_sel:DWORD dst_unused:UNUSED_PAD src0_sel:DWORD src1_sel:BYTE_3
	v_sub_u32_e32 v12, 29, v12
	v_and_b32_e32 v3, 7, v3
	v_cmp_eq_u16_e32 vcc, 0, v10
	v_cndmask_b32_e32 v3, v6, v3, vcc
	v_cndmask_b32_e32 v6, v11, v12, vcc
	v_mov_b32_e32 v10, 0x3b800000
	v_lshlrev_b32_e32 v3, 20, v3
	v_lshl_add_u32 v6, v6, 23, v10
	v_or3_b32 v6, v7, v6, v3
.LBB3_1472:
	s_or_b64 exec, exec, s[6:7]
	s_nop 0
	v_mfma_f32_16x16x4f32 a[0:3], v2, v6, a[0:3]
	s_movk_i32 s4, 0x7f
	v_cmp_gt_i16_sdwa s[6:7], v8, s4 src0_sel:BYTE_0 src1_sel:DWORD
	s_mov_b64 s[4:5], 0
                                        ; implicit-def: $sgpr10
	s_and_saveexec_b64 s[8:9], s[6:7]
	s_xor_b64 s[6:7], exec, s[8:9]
	s_cbranch_execnz .LBB3_3521
; %bb.1473:
	s_or_saveexec_b64 s[6:7], s[6:7]
	v_mov_b32_e32 v2, s10
	s_xor_b64 exec, exec, s[6:7]
	s_cbranch_execnz .LBB3_3524
.LBB3_1474:
	s_or_b64 exec, exec, s[6:7]
	s_and_saveexec_b64 s[6:7], s[4:5]
	s_cbranch_execz .LBB3_1476
.LBB3_1475:
	v_and_b32_e32 v2, 7, v8
	v_ffbh_u32_e32 v6, v2
	v_min_u32_e32 v6, 32, v6
	v_lshrrev_b16_e32 v3, 3, v8
	v_subrev_u32_e32 v7, 28, v6
	v_and_b32_e32 v3, 15, v3
	v_lshlrev_b32_e32 v7, v7, v8
	v_sub_u32_e32 v6, 29, v6
	v_and_b32_e32 v7, 7, v7
	v_cmp_eq_u16_e32 vcc, 0, v3
	v_cndmask_b32_e32 v2, v2, v7, vcc
	v_cndmask_b32_e32 v3, v3, v6, vcc
	v_lshlrev_b32_e32 v6, 24, v8
	v_mov_b32_e32 v7, 0x3b800000
	v_lshlrev_b32_e32 v2, 20, v2
	v_and_b32_e32 v6, 0x80000000, v6
	v_lshl_add_u32 v3, v3, 23, v7
	v_or3_b32 v2, v6, v3, v2
.LBB3_1476:
	s_or_b64 exec, exec, s[6:7]
	s_movk_i32 s4, 0x7f
	v_cmp_gt_i16_sdwa s[6:7], v4, s4 src0_sel:BYTE_0 src1_sel:DWORD
	s_mov_b64 s[4:5], 0
                                        ; implicit-def: $sgpr10
	s_and_saveexec_b64 s[8:9], s[6:7]
	s_xor_b64 s[6:7], exec, s[8:9]
	s_cbranch_execnz .LBB3_3525
; %bb.1477:
	s_or_saveexec_b64 s[6:7], s[6:7]
	v_mov_b32_e32 v3, s10
	s_xor_b64 exec, exec, s[6:7]
	s_cbranch_execnz .LBB3_3528
.LBB3_1478:
	s_or_b64 exec, exec, s[6:7]
	s_and_saveexec_b64 s[6:7], s[4:5]
	s_cbranch_execz .LBB3_1480
.LBB3_1479:
	v_and_b32_e32 v3, 7, v4
	v_ffbh_u32_e32 v7, v3
	v_min_u32_e32 v7, 32, v7
	v_lshrrev_b16_e32 v6, 3, v4
	v_subrev_u32_e32 v10, 28, v7
	v_and_b32_e32 v6, 15, v6
	v_lshlrev_b32_e32 v10, v10, v4
	v_sub_u32_e32 v7, 29, v7
	v_and_b32_e32 v10, 7, v10
	v_cmp_eq_u16_e32 vcc, 0, v6
	v_cndmask_b32_e32 v3, v3, v10, vcc
	v_cndmask_b32_e32 v6, v6, v7, vcc
	v_lshlrev_b32_e32 v7, 24, v4
	v_mov_b32_e32 v10, 0x3b800000
	v_lshlrev_b32_e32 v3, 20, v3
	v_and_b32_e32 v7, 0x80000000, v7
	v_lshl_add_u32 v6, v6, 23, v10
	v_or3_b32 v3, v7, v6, v3
.LBB3_1480:
	s_or_b64 exec, exec, s[6:7]
	s_nop 0
	v_mfma_f32_16x16x4f32 a[0:3], v2, v3, a[0:3]
	v_lshrrev_b32_e32 v3, 8, v8
	s_movk_i32 s4, 0x7f
	v_cmp_gt_i16_sdwa s[6:7], v3, s4 src0_sel:BYTE_0 src1_sel:DWORD
	s_mov_b64 s[4:5], 0
                                        ; implicit-def: $sgpr10
	s_and_saveexec_b64 s[8:9], s[6:7]
	s_xor_b64 s[6:7], exec, s[8:9]
	s_cbranch_execnz .LBB3_3529
; %bb.1481:
	s_or_saveexec_b64 s[6:7], s[6:7]
	v_mov_b32_e32 v2, s10
	s_xor_b64 exec, exec, s[6:7]
	s_cbranch_execnz .LBB3_3532
.LBB3_1482:
	s_or_b64 exec, exec, s[6:7]
	s_and_saveexec_b64 s[6:7], s[4:5]
	s_cbranch_execz .LBB3_1484
.LBB3_1483:
	v_bfe_u32 v2, v8, 8, 3
	v_ffbh_u32_e32 v7, v2
	v_min_u32_e32 v7, 32, v7
	v_lshrrev_b16_e32 v6, 3, v3
	v_subrev_u32_e32 v10, 28, v7
	v_and_b32_e32 v6, 15, v6
	v_lshlrev_b32_e32 v3, v10, v3
	v_sub_u32_e32 v7, 29, v7
	v_and_b32_e32 v3, 7, v3
	v_cmp_eq_u16_e32 vcc, 0, v6
	v_cndmask_b32_e32 v2, v2, v3, vcc
	v_cndmask_b32_e32 v3, v6, v7, vcc
	v_lshlrev_b32_e32 v6, 16, v8
	v_mov_b32_e32 v7, 0x3b800000
	v_lshlrev_b32_e32 v2, 20, v2
	v_and_b32_e32 v6, 0x80000000, v6
	v_lshl_add_u32 v3, v3, 23, v7
	v_or3_b32 v2, v6, v3, v2
.LBB3_1484:
	s_or_b64 exec, exec, s[6:7]
	v_lshrrev_b32_e32 v3, 8, v4
	s_movk_i32 s4, 0x7f
	v_cmp_gt_i16_sdwa s[6:7], v3, s4 src0_sel:BYTE_0 src1_sel:DWORD
	s_mov_b64 s[4:5], 0
                                        ; implicit-def: $sgpr10
	s_and_saveexec_b64 s[8:9], s[6:7]
	s_xor_b64 s[6:7], exec, s[8:9]
	s_cbranch_execnz .LBB3_3533
; %bb.1485:
	s_or_saveexec_b64 s[6:7], s[6:7]
	v_mov_b32_e32 v6, s10
	s_xor_b64 exec, exec, s[6:7]
	s_cbranch_execnz .LBB3_3536
.LBB3_1486:
	s_or_b64 exec, exec, s[6:7]
	s_and_saveexec_b64 s[6:7], s[4:5]
	s_cbranch_execz .LBB3_1488
.LBB3_1487:
	v_bfe_u32 v6, v4, 8, 3
	v_ffbh_u32_e32 v10, v6
	v_min_u32_e32 v10, 32, v10
	v_lshrrev_b16_e32 v7, 3, v3
	v_subrev_u32_e32 v11, 28, v10
	v_and_b32_e32 v7, 15, v7
	v_lshlrev_b32_e32 v3, v11, v3
	v_sub_u32_e32 v10, 29, v10
	v_and_b32_e32 v3, 7, v3
	v_cmp_eq_u16_e32 vcc, 0, v7
	v_cndmask_b32_e32 v3, v6, v3, vcc
	v_cndmask_b32_e32 v6, v7, v10, vcc
	v_lshlrev_b32_e32 v7, 16, v4
	v_mov_b32_e32 v10, 0x3b800000
	v_lshlrev_b32_e32 v3, 20, v3
	v_and_b32_e32 v7, 0x80000000, v7
	v_lshl_add_u32 v6, v6, 23, v10
	v_or3_b32 v6, v7, v6, v3
.LBB3_1488:
	s_or_b64 exec, exec, s[6:7]
	s_nop 0
	v_mfma_f32_16x16x4f32 a[0:3], v2, v6, a[0:3]
	s_movk_i32 s4, 0xff
	v_and_b32_sdwa v3, v8, s4 dst_sel:DWORD dst_unused:UNUSED_PAD src0_sel:WORD_1 src1_sel:DWORD
	s_movk_i32 s4, 0x7f
	v_cmp_lt_i16_e32 vcc, s4, v3
	s_mov_b64 s[4:5], 0
                                        ; implicit-def: $sgpr10
	s_and_saveexec_b64 s[6:7], vcc
	s_xor_b64 s[6:7], exec, s[6:7]
	s_cbranch_execnz .LBB3_3537
; %bb.1489:
	s_or_saveexec_b64 s[6:7], s[6:7]
	v_mov_b32_e32 v2, s10
	s_xor_b64 exec, exec, s[6:7]
	s_cbranch_execnz .LBB3_3540
.LBB3_1490:
	s_or_b64 exec, exec, s[6:7]
	s_and_saveexec_b64 s[6:7], s[4:5]
	s_cbranch_execz .LBB3_1492
.LBB3_1491:
	v_bfe_u32 v2, v8, 16, 3
	v_ffbh_u32_e32 v7, v2
	v_min_u32_e32 v7, 32, v7
	v_lshrrev_b32_e32 v3, 19, v8
	v_subrev_u32_e32 v10, 28, v7
	v_and_b32_e32 v3, 15, v3
	v_lshlrev_b32_sdwa v10, v10, v8 dst_sel:DWORD dst_unused:UNUSED_PAD src0_sel:DWORD src1_sel:WORD_1
	v_bfe_u32 v6, v8, 19, 4
	v_sub_u32_e32 v7, 29, v7
	v_and_b32_e32 v10, 7, v10
	v_cmp_eq_u16_e32 vcc, 0, v3
	v_cndmask_b32_e32 v2, v2, v10, vcc
	v_cndmask_b32_e32 v3, v6, v7, vcc
	v_lshlrev_b32_e32 v6, 8, v8
	v_mov_b32_e32 v7, 0x3b800000
	v_lshlrev_b32_e32 v2, 20, v2
	v_and_b32_e32 v6, 0x80000000, v6
	v_lshl_add_u32 v3, v3, 23, v7
	v_or3_b32 v2, v6, v3, v2
.LBB3_1492:
	s_or_b64 exec, exec, s[6:7]
	s_movk_i32 s4, 0xff
	v_and_b32_sdwa v3, v4, s4 dst_sel:DWORD dst_unused:UNUSED_PAD src0_sel:WORD_1 src1_sel:DWORD
	s_movk_i32 s4, 0x7f
	v_cmp_lt_i16_e32 vcc, s4, v3
	s_mov_b64 s[4:5], 0
                                        ; implicit-def: $sgpr10
	s_and_saveexec_b64 s[6:7], vcc
	s_xor_b64 s[6:7], exec, s[6:7]
	s_cbranch_execnz .LBB3_3541
; %bb.1493:
	s_or_saveexec_b64 s[6:7], s[6:7]
	v_mov_b32_e32 v6, s10
	s_xor_b64 exec, exec, s[6:7]
	s_cbranch_execnz .LBB3_3544
.LBB3_1494:
	s_or_b64 exec, exec, s[6:7]
	s_and_saveexec_b64 s[6:7], s[4:5]
	s_cbranch_execz .LBB3_1496
.LBB3_1495:
	v_bfe_u32 v3, v4, 16, 3
	v_ffbh_u32_e32 v10, v3
	v_min_u32_e32 v10, 32, v10
	v_lshrrev_b32_e32 v6, 19, v4
	v_subrev_u32_e32 v11, 28, v10
	v_and_b32_e32 v6, 15, v6
	v_lshlrev_b32_sdwa v11, v11, v4 dst_sel:DWORD dst_unused:UNUSED_PAD src0_sel:DWORD src1_sel:WORD_1
	v_bfe_u32 v7, v4, 19, 4
	v_sub_u32_e32 v10, 29, v10
	v_and_b32_e32 v11, 7, v11
	v_cmp_eq_u16_e32 vcc, 0, v6
	v_cndmask_b32_e32 v3, v3, v11, vcc
	v_cndmask_b32_e32 v6, v7, v10, vcc
	v_lshlrev_b32_e32 v7, 8, v4
	v_mov_b32_e32 v10, 0x3b800000
	v_lshlrev_b32_e32 v3, 20, v3
	v_and_b32_e32 v7, 0x80000000, v7
	v_lshl_add_u32 v6, v6, 23, v10
	v_or3_b32 v6, v7, v6, v3
.LBB3_1496:
	s_or_b64 exec, exec, s[6:7]
	s_nop 0
	v_mfma_f32_16x16x4f32 a[0:3], v2, v6, a[0:3]
	s_movk_i32 s4, 0x7f
	v_cmp_gt_i16_sdwa s[6:7], v8, s4 src0_sel:BYTE_3 src1_sel:DWORD
	s_mov_b64 s[4:5], 0
                                        ; implicit-def: $sgpr10
	s_and_saveexec_b64 s[8:9], s[6:7]
	s_xor_b64 s[6:7], exec, s[8:9]
	s_cbranch_execnz .LBB3_3545
; %bb.1497:
	s_or_saveexec_b64 s[6:7], s[6:7]
	v_mov_b32_e32 v2, s10
	s_xor_b64 exec, exec, s[6:7]
	s_cbranch_execnz .LBB3_3548
.LBB3_1498:
	s_or_b64 exec, exec, s[6:7]
	s_and_saveexec_b64 s[6:7], s[4:5]
	s_cbranch_execz .LBB3_1500
.LBB3_1499:
	v_bfe_u32 v2, v8, 24, 3
	v_ffbh_u32_e32 v10, v2
	v_min_u32_e32 v10, 32, v10
	v_lshrrev_b32_e32 v6, 27, v8
	v_subrev_u32_e32 v11, 28, v10
	v_and_b32_e32 v3, 0x80000000, v8
	v_and_b32_e32 v6, 15, v6
	v_bfe_u32 v7, v8, 27, 4
	v_lshlrev_b32_sdwa v8, v11, v8 dst_sel:DWORD dst_unused:UNUSED_PAD src0_sel:DWORD src1_sel:BYTE_3
	v_sub_u32_e32 v10, 29, v10
	v_and_b32_e32 v8, 7, v8
	v_cmp_eq_u16_e32 vcc, 0, v6
	v_cndmask_b32_e32 v2, v2, v8, vcc
	v_cndmask_b32_e32 v6, v7, v10, vcc
	v_mov_b32_e32 v7, 0x3b800000
	v_lshlrev_b32_e32 v2, 20, v2
	v_lshl_add_u32 v6, v6, 23, v7
	v_or3_b32 v2, v3, v6, v2
.LBB3_1500:
	s_or_b64 exec, exec, s[6:7]
	s_movk_i32 s4, 0x7f
	v_cmp_gt_i16_sdwa s[6:7], v4, s4 src0_sel:BYTE_3 src1_sel:DWORD
	s_mov_b64 s[4:5], 0
                                        ; implicit-def: $sgpr10
	s_and_saveexec_b64 s[8:9], s[6:7]
	s_xor_b64 s[6:7], exec, s[8:9]
	s_cbranch_execnz .LBB3_3549
; %bb.1501:
	s_or_saveexec_b64 s[6:7], s[6:7]
	v_mov_b32_e32 v3, s10
	s_xor_b64 exec, exec, s[6:7]
	s_cbranch_execnz .LBB3_3552
.LBB3_1502:
	s_or_b64 exec, exec, s[6:7]
	s_and_saveexec_b64 s[6:7], s[4:5]
	s_cbranch_execz .LBB3_1504
.LBB3_1503:
	v_bfe_u32 v3, v4, 24, 3
	v_ffbh_u32_e32 v10, v3
	v_min_u32_e32 v10, 32, v10
	v_lshrrev_b32_e32 v7, 27, v4
	v_subrev_u32_e32 v11, 28, v10
	v_and_b32_e32 v6, 0x80000000, v4
	v_and_b32_e32 v7, 15, v7
	v_bfe_u32 v8, v4, 27, 4
	v_lshlrev_b32_sdwa v4, v11, v4 dst_sel:DWORD dst_unused:UNUSED_PAD src0_sel:DWORD src1_sel:BYTE_3
	v_sub_u32_e32 v10, 29, v10
	v_and_b32_e32 v4, 7, v4
	v_cmp_eq_u16_e32 vcc, 0, v7
	v_cndmask_b32_e32 v3, v3, v4, vcc
	v_cndmask_b32_e32 v4, v8, v10, vcc
	v_mov_b32_e32 v7, 0x3b800000
	v_lshlrev_b32_e32 v3, 20, v3
	v_lshl_add_u32 v4, v4, 23, v7
	v_or3_b32 v3, v6, v4, v3
.LBB3_1504:
	s_or_b64 exec, exec, s[6:7]
	s_nop 0
	v_mfma_f32_16x16x4f32 a[0:3], v2, v3, a[0:3]
	s_movk_i32 s4, 0x7f
	v_cmp_gt_i16_sdwa s[6:7], v9, s4 src0_sel:BYTE_0 src1_sel:DWORD
	s_mov_b64 s[4:5], 0
                                        ; implicit-def: $sgpr10
	s_and_saveexec_b64 s[8:9], s[6:7]
	s_xor_b64 s[6:7], exec, s[8:9]
	s_cbranch_execnz .LBB3_3553
; %bb.1505:
	s_or_saveexec_b64 s[6:7], s[6:7]
	v_mov_b32_e32 v2, s10
	s_xor_b64 exec, exec, s[6:7]
	s_cbranch_execnz .LBB3_3556
.LBB3_1506:
	s_or_b64 exec, exec, s[6:7]
	s_and_saveexec_b64 s[6:7], s[4:5]
	s_cbranch_execz .LBB3_1508
.LBB3_1507:
	v_mov_b32_e32 v2, 8
	v_and_b32_e32 v3, 7, v9
	v_lshrrev_b32_sdwa v2, v2, v9 dst_sel:BYTE_1 dst_unused:UNUSED_PAD src0_sel:DWORD src1_sel:DWORD
	v_ffbh_u32_e32 v4, v3
	v_or_b32_sdwa v2, v9, v2 dst_sel:DWORD dst_unused:UNUSED_PAD src0_sel:BYTE_0 src1_sel:DWORD
	v_min_u32_e32 v4, 32, v4
	v_lshrrev_b16_e32 v2, 3, v2
	v_subrev_u32_e32 v6, 28, v4
	v_and_b32_e32 v2, 15, v2
	v_lshlrev_b32_e32 v6, v6, v9
	v_sub_u32_e32 v4, 29, v4
	v_and_b32_e32 v6, 7, v6
	v_cmp_eq_u16_e32 vcc, 0, v2
	v_cndmask_b32_e32 v3, v3, v6, vcc
	v_cndmask_b32_e32 v2, v2, v4, vcc
	v_lshlrev_b32_e32 v4, 24, v9
	v_mov_b32_e32 v6, 0x3b800000
	v_lshlrev_b32_e32 v3, 20, v3
	v_and_b32_e32 v4, 0x80000000, v4
	v_lshl_add_u32 v2, v2, 23, v6
	v_or3_b32 v2, v4, v2, v3
.LBB3_1508:
	s_or_b64 exec, exec, s[6:7]
	s_movk_i32 s4, 0x7f
	v_cmp_gt_i16_sdwa s[6:7], v5, s4 src0_sel:BYTE_0 src1_sel:DWORD
	s_mov_b64 s[4:5], 0
                                        ; implicit-def: $sgpr10
	s_and_saveexec_b64 s[8:9], s[6:7]
	s_xor_b64 s[6:7], exec, s[8:9]
	s_cbranch_execnz .LBB3_3557
; %bb.1509:
	s_or_saveexec_b64 s[6:7], s[6:7]
	v_mov_b32_e32 v3, s10
	s_xor_b64 exec, exec, s[6:7]
	s_cbranch_execnz .LBB3_3560
.LBB3_1510:
	s_or_b64 exec, exec, s[6:7]
	s_and_saveexec_b64 s[6:7], s[4:5]
	s_cbranch_execz .LBB3_1512
.LBB3_1511:
	v_mov_b32_e32 v3, 8
	v_and_b32_e32 v4, 7, v5
	v_lshrrev_b32_sdwa v3, v3, v5 dst_sel:BYTE_1 dst_unused:UNUSED_PAD src0_sel:DWORD src1_sel:DWORD
	v_ffbh_u32_e32 v6, v4
	v_or_b32_sdwa v3, v5, v3 dst_sel:DWORD dst_unused:UNUSED_PAD src0_sel:BYTE_0 src1_sel:DWORD
	v_min_u32_e32 v6, 32, v6
	v_lshrrev_b16_e32 v3, 3, v3
	v_subrev_u32_e32 v7, 28, v6
	v_and_b32_e32 v3, 15, v3
	v_lshlrev_b32_e32 v7, v7, v5
	v_sub_u32_e32 v6, 29, v6
	v_and_b32_e32 v7, 7, v7
	v_cmp_eq_u16_e32 vcc, 0, v3
	v_cndmask_b32_e32 v4, v4, v7, vcc
	v_cndmask_b32_e32 v3, v3, v6, vcc
	v_lshlrev_b32_e32 v6, 24, v5
	v_mov_b32_e32 v7, 0x3b800000
	v_lshlrev_b32_e32 v4, 20, v4
	v_and_b32_e32 v6, 0x80000000, v6
	v_lshl_add_u32 v3, v3, 23, v7
	v_or3_b32 v3, v6, v3, v4
.LBB3_1512:
	s_or_b64 exec, exec, s[6:7]
	s_nop 0
	v_mfma_f32_16x16x4f32 a[0:3], v2, v3, a[0:3]
	v_lshrrev_b32_e32 v3, 8, v9
	s_movk_i32 s4, 0x7f
	v_cmp_gt_i16_sdwa s[6:7], v3, s4 src0_sel:BYTE_0 src1_sel:DWORD
	s_mov_b64 s[4:5], 0
                                        ; implicit-def: $sgpr10
	s_and_saveexec_b64 s[8:9], s[6:7]
	s_xor_b64 s[6:7], exec, s[8:9]
	s_cbranch_execnz .LBB3_3561
; %bb.1513:
	s_or_saveexec_b64 s[6:7], s[6:7]
	v_mov_b32_e32 v2, s10
	s_xor_b64 exec, exec, s[6:7]
	s_cbranch_execnz .LBB3_3564
.LBB3_1514:
	s_or_b64 exec, exec, s[6:7]
	s_and_saveexec_b64 s[6:7], s[4:5]
	s_cbranch_execz .LBB3_1516
.LBB3_1515:
	v_bfe_u32 v2, v9, 8, 3
	v_ffbh_u32_e32 v6, v2
	v_min_u32_e32 v6, 32, v6
	v_lshrrev_b16_e32 v4, 3, v3
	v_subrev_u32_e32 v7, 28, v6
	v_and_b32_e32 v4, 15, v4
	v_lshlrev_b32_e32 v3, v7, v3
	v_sub_u32_e32 v6, 29, v6
	v_and_b32_e32 v3, 7, v3
	v_cmp_eq_u16_e32 vcc, 0, v4
	v_cndmask_b32_e32 v2, v2, v3, vcc
	v_cndmask_b32_e32 v3, v4, v6, vcc
	v_lshlrev_b32_e32 v4, 16, v9
	v_mov_b32_e32 v6, 0x3b800000
	v_lshlrev_b32_e32 v2, 20, v2
	v_and_b32_e32 v4, 0x80000000, v4
	v_lshl_add_u32 v3, v3, 23, v6
	v_or3_b32 v2, v4, v3, v2
.LBB3_1516:
	s_or_b64 exec, exec, s[6:7]
	v_lshrrev_b32_e32 v3, 8, v5
	s_movk_i32 s4, 0x7f
	v_cmp_gt_i16_sdwa s[6:7], v3, s4 src0_sel:BYTE_0 src1_sel:DWORD
	s_mov_b64 s[4:5], 0
                                        ; implicit-def: $sgpr10
	s_and_saveexec_b64 s[8:9], s[6:7]
	s_xor_b64 s[6:7], exec, s[8:9]
	s_cbranch_execnz .LBB3_3565
; %bb.1517:
	s_or_saveexec_b64 s[6:7], s[6:7]
	v_mov_b32_e32 v4, s10
	s_xor_b64 exec, exec, s[6:7]
	s_cbranch_execnz .LBB3_3568
.LBB3_1518:
	s_or_b64 exec, exec, s[6:7]
	s_and_saveexec_b64 s[6:7], s[4:5]
	s_cbranch_execz .LBB3_1520
.LBB3_1519:
	v_bfe_u32 v4, v5, 8, 3
	v_ffbh_u32_e32 v7, v4
	v_min_u32_e32 v7, 32, v7
	v_lshrrev_b16_e32 v6, 3, v3
	v_subrev_u32_e32 v8, 28, v7
	v_and_b32_e32 v6, 15, v6
	v_lshlrev_b32_e32 v3, v8, v3
	v_sub_u32_e32 v7, 29, v7
	v_and_b32_e32 v3, 7, v3
	v_cmp_eq_u16_e32 vcc, 0, v6
	v_cndmask_b32_e32 v3, v4, v3, vcc
	v_cndmask_b32_e32 v4, v6, v7, vcc
	v_lshlrev_b32_e32 v6, 16, v5
	v_mov_b32_e32 v7, 0x3b800000
	v_lshlrev_b32_e32 v3, 20, v3
	v_and_b32_e32 v6, 0x80000000, v6
	v_lshl_add_u32 v4, v4, 23, v7
	v_or3_b32 v4, v6, v4, v3
.LBB3_1520:
	s_or_b64 exec, exec, s[6:7]
	s_nop 0
	v_mfma_f32_16x16x4f32 a[0:3], v2, v4, a[0:3]
	s_movk_i32 s4, 0xff
	v_and_b32_sdwa v3, v9, s4 dst_sel:DWORD dst_unused:UNUSED_PAD src0_sel:WORD_1 src1_sel:DWORD
	s_movk_i32 s4, 0x7f
	v_cmp_lt_i16_e32 vcc, s4, v3
	s_mov_b64 s[4:5], 0
                                        ; implicit-def: $sgpr10
	s_and_saveexec_b64 s[6:7], vcc
	s_xor_b64 s[6:7], exec, s[6:7]
	s_cbranch_execnz .LBB3_3569
; %bb.1521:
	s_or_saveexec_b64 s[6:7], s[6:7]
	v_mov_b32_e32 v2, s10
	s_xor_b64 exec, exec, s[6:7]
	s_cbranch_execnz .LBB3_3572
.LBB3_1522:
	s_or_b64 exec, exec, s[6:7]
	s_and_saveexec_b64 s[6:7], s[4:5]
	s_cbranch_execz .LBB3_1524
.LBB3_1523:
	v_bfe_u32 v2, v9, 16, 3
	v_ffbh_u32_e32 v6, v2
	v_min_u32_e32 v6, 32, v6
	v_lshrrev_b32_e32 v3, 19, v9
	v_subrev_u32_e32 v7, 28, v6
	v_and_b32_e32 v3, 15, v3
	v_lshlrev_b32_sdwa v7, v7, v9 dst_sel:DWORD dst_unused:UNUSED_PAD src0_sel:DWORD src1_sel:WORD_1
	v_bfe_u32 v4, v9, 19, 4
	v_sub_u32_e32 v6, 29, v6
	v_and_b32_e32 v7, 7, v7
	v_cmp_eq_u16_e32 vcc, 0, v3
	v_cndmask_b32_e32 v2, v2, v7, vcc
	v_cndmask_b32_e32 v3, v4, v6, vcc
	v_lshlrev_b32_e32 v4, 8, v9
	v_mov_b32_e32 v6, 0x3b800000
	v_lshlrev_b32_e32 v2, 20, v2
	v_and_b32_e32 v4, 0x80000000, v4
	v_lshl_add_u32 v3, v3, 23, v6
	v_or3_b32 v2, v4, v3, v2
.LBB3_1524:
	s_or_b64 exec, exec, s[6:7]
	s_movk_i32 s4, 0xff
	v_and_b32_sdwa v3, v5, s4 dst_sel:DWORD dst_unused:UNUSED_PAD src0_sel:WORD_1 src1_sel:DWORD
	s_movk_i32 s4, 0x7f
	v_cmp_lt_i16_e32 vcc, s4, v3
	s_mov_b64 s[4:5], 0
                                        ; implicit-def: $sgpr10
	s_and_saveexec_b64 s[6:7], vcc
	s_xor_b64 s[6:7], exec, s[6:7]
	s_cbranch_execnz .LBB3_3573
; %bb.1525:
	s_or_saveexec_b64 s[6:7], s[6:7]
	v_mov_b32_e32 v4, s10
	s_xor_b64 exec, exec, s[6:7]
	s_cbranch_execnz .LBB3_3576
.LBB3_1526:
	s_or_b64 exec, exec, s[6:7]
	s_and_saveexec_b64 s[6:7], s[4:5]
	s_cbranch_execz .LBB3_1528
.LBB3_1527:
	v_bfe_u32 v3, v5, 16, 3
	v_ffbh_u32_e32 v7, v3
	v_min_u32_e32 v7, 32, v7
	v_lshrrev_b32_e32 v4, 19, v5
	v_subrev_u32_e32 v8, 28, v7
	v_and_b32_e32 v4, 15, v4
	v_lshlrev_b32_sdwa v8, v8, v5 dst_sel:DWORD dst_unused:UNUSED_PAD src0_sel:DWORD src1_sel:WORD_1
	v_bfe_u32 v6, v5, 19, 4
	v_sub_u32_e32 v7, 29, v7
	v_and_b32_e32 v8, 7, v8
	v_cmp_eq_u16_e32 vcc, 0, v4
	v_cndmask_b32_e32 v3, v3, v8, vcc
	v_cndmask_b32_e32 v4, v6, v7, vcc
	v_lshlrev_b32_e32 v6, 8, v5
	v_mov_b32_e32 v7, 0x3b800000
	v_lshlrev_b32_e32 v3, 20, v3
	v_and_b32_e32 v6, 0x80000000, v6
	v_lshl_add_u32 v4, v4, 23, v7
	v_or3_b32 v4, v6, v4, v3
.LBB3_1528:
	s_or_b64 exec, exec, s[6:7]
	s_nop 0
	v_mfma_f32_16x16x4f32 a[0:3], v2, v4, a[0:3]
	s_movk_i32 s4, 0x7f
	v_cmp_gt_i16_sdwa s[6:7], v9, s4 src0_sel:BYTE_3 src1_sel:DWORD
	s_mov_b64 s[4:5], 0
                                        ; implicit-def: $sgpr10
	s_and_saveexec_b64 s[8:9], s[6:7]
	s_xor_b64 s[6:7], exec, s[8:9]
	s_cbranch_execnz .LBB3_3577
; %bb.1529:
	s_or_saveexec_b64 s[6:7], s[6:7]
	v_mov_b32_e32 v2, s10
	s_xor_b64 exec, exec, s[6:7]
	s_cbranch_execnz .LBB3_3580
.LBB3_1530:
	s_or_b64 exec, exec, s[6:7]
	s_and_saveexec_b64 s[6:7], s[4:5]
	s_cbranch_execz .LBB3_1532
.LBB3_1531:
	v_bfe_u32 v2, v9, 24, 3
	v_ffbh_u32_e32 v7, v2
	v_min_u32_e32 v7, 32, v7
	v_lshrrev_b32_e32 v4, 27, v9
	v_subrev_u32_e32 v8, 28, v7
	v_and_b32_e32 v4, 15, v4
	v_lshlrev_b32_sdwa v8, v8, v9 dst_sel:DWORD dst_unused:UNUSED_PAD src0_sel:DWORD src1_sel:BYTE_3
	v_bfe_u32 v6, v9, 27, 4
	v_sub_u32_e32 v7, 29, v7
	v_and_b32_e32 v8, 7, v8
	v_cmp_eq_u16_e32 vcc, 0, v4
	v_cndmask_b32_e32 v2, v2, v8, vcc
	v_cndmask_b32_e32 v4, v6, v7, vcc
	v_mov_b32_e32 v6, 0x3b800000
	v_and_b32_e32 v3, 0x80000000, v9
	v_lshlrev_b32_e32 v2, 20, v2
	v_lshl_add_u32 v4, v4, 23, v6
	v_or3_b32 v2, v3, v4, v2
.LBB3_1532:
	s_or_b64 exec, exec, s[6:7]
	s_movk_i32 s4, 0x7f
	v_cmp_gt_i16_sdwa s[6:7], v5, s4 src0_sel:BYTE_3 src1_sel:DWORD
	s_mov_b64 s[4:5], 0
                                        ; implicit-def: $sgpr10
	s_and_saveexec_b64 s[8:9], s[6:7]
	s_xor_b64 s[6:7], exec, s[8:9]
	s_cbranch_execnz .LBB3_3581
; %bb.1533:
	s_or_saveexec_b64 s[6:7], s[6:7]
	v_mov_b32_e32 v3, s10
	s_xor_b64 exec, exec, s[6:7]
	s_cbranch_execnz .LBB3_3584
.LBB3_1534:
	s_or_b64 exec, exec, s[6:7]
	s_and_saveexec_b64 s[6:7], s[4:5]
	s_cbranch_execz .LBB3_1536
.LBB3_1535:
	v_bfe_u32 v3, v5, 24, 3
	v_ffbh_u32_e32 v8, v3
	v_min_u32_e32 v8, 32, v8
	v_lshrrev_b32_e32 v6, 27, v5
	v_subrev_u32_e32 v9, 28, v8
	v_and_b32_e32 v4, 0x80000000, v5
	v_and_b32_e32 v6, 15, v6
	v_bfe_u32 v7, v5, 27, 4
	v_lshlrev_b32_sdwa v5, v9, v5 dst_sel:DWORD dst_unused:UNUSED_PAD src0_sel:DWORD src1_sel:BYTE_3
	v_sub_u32_e32 v8, 29, v8
	v_and_b32_e32 v5, 7, v5
	v_cmp_eq_u16_e32 vcc, 0, v6
	v_cndmask_b32_e32 v3, v3, v5, vcc
	v_cndmask_b32_e32 v5, v7, v8, vcc
	v_mov_b32_e32 v6, 0x3b800000
	v_lshlrev_b32_e32 v3, 20, v3
	v_lshl_add_u32 v5, v5, 23, v6
	v_or3_b32 v3, v4, v5, v3
.LBB3_1536:
	s_or_b64 exec, exec, s[6:7]
	s_nop 0
	v_mfma_f32_16x16x4f32 a[0:3], v2, v3, a[0:3]
	s_movk_i32 s4, 0x7f
                                        ; implicit-def: $sgpr10
	s_nop 7
	s_nop 1
	flat_store_dwordx4 v[18:19], a[0:3] offset:208
	flat_load_dwordx4 v[20:23], v[0:1] offset:16
	s_nop 0
	flat_load_dwordx2 v[18:19], v[0:1] offset:32
	s_waitcnt vmcnt(0) lgkmcnt(0)
	flat_load_dwordx4 v[14:17], v[20:21] offset:32
	flat_load_dwordx4 v[6:9], v[20:21] offset:48
	;; [unrolled: 1-line block ×4, first 2 shown]
	s_waitcnt vmcnt(0) lgkmcnt(0)
	v_cmp_gt_i16_sdwa s[6:7], v14, s4 src0_sel:BYTE_0 src1_sel:DWORD
	s_mov_b64 s[4:5], 0
	s_and_saveexec_b64 s[8:9], s[6:7]
	s_xor_b64 s[6:7], exec, s[8:9]
	s_cbranch_execnz .LBB3_3585
; %bb.1537:
	s_or_saveexec_b64 s[6:7], s[6:7]
	v_mov_b32_e32 v20, s10
	s_xor_b64 exec, exec, s[6:7]
	s_cbranch_execnz .LBB3_3588
.LBB3_1538:
	s_or_b64 exec, exec, s[6:7]
	s_and_saveexec_b64 s[6:7], s[4:5]
	s_cbranch_execz .LBB3_1540
.LBB3_1539:
	v_and_b32_e32 v20, 7, v14
	v_ffbh_u32_e32 v22, v20
	v_min_u32_e32 v22, 32, v22
	v_lshrrev_b16_e32 v21, 3, v14
	v_subrev_u32_e32 v23, 28, v22
	v_and_b32_e32 v21, 15, v21
	v_lshlrev_b32_e32 v23, v23, v14
	v_sub_u32_e32 v22, 29, v22
	v_and_b32_e32 v23, 7, v23
	v_cmp_eq_u16_e32 vcc, 0, v21
	v_cndmask_b32_e32 v20, v20, v23, vcc
	v_cndmask_b32_e32 v21, v21, v22, vcc
	v_lshlrev_b32_e32 v22, 24, v14
	v_mov_b32_e32 v23, 0x3b800000
	v_lshlrev_b32_e32 v20, 20, v20
	v_and_b32_e32 v22, 0x80000000, v22
	v_lshl_add_u32 v21, v21, 23, v23
	v_or3_b32 v20, v22, v21, v20
.LBB3_1540:
	s_or_b64 exec, exec, s[6:7]
	s_movk_i32 s4, 0x7f
	v_cmp_gt_i16_sdwa s[6:7], v10, s4 src0_sel:BYTE_0 src1_sel:DWORD
	s_mov_b64 s[4:5], 0
                                        ; implicit-def: $sgpr10
	s_and_saveexec_b64 s[8:9], s[6:7]
	s_xor_b64 s[6:7], exec, s[8:9]
	s_cbranch_execnz .LBB3_3589
; %bb.1541:
	s_or_saveexec_b64 s[6:7], s[6:7]
	v_mov_b32_e32 v21, s10
	s_xor_b64 exec, exec, s[6:7]
	s_cbranch_execnz .LBB3_3592
.LBB3_1542:
	s_or_b64 exec, exec, s[6:7]
	s_and_saveexec_b64 s[6:7], s[4:5]
	s_cbranch_execz .LBB3_1544
.LBB3_1543:
	v_and_b32_e32 v21, 7, v10
	v_ffbh_u32_e32 v23, v21
	v_min_u32_e32 v23, 32, v23
	v_lshrrev_b16_e32 v22, 3, v10
	v_subrev_u32_e32 v24, 28, v23
	v_and_b32_e32 v22, 15, v22
	v_lshlrev_b32_e32 v24, v24, v10
	v_sub_u32_e32 v23, 29, v23
	v_and_b32_e32 v24, 7, v24
	v_cmp_eq_u16_e32 vcc, 0, v22
	v_cndmask_b32_e32 v21, v21, v24, vcc
	v_cndmask_b32_e32 v22, v22, v23, vcc
	v_lshlrev_b32_e32 v23, 24, v10
	v_mov_b32_e32 v24, 0x3b800000
	v_lshlrev_b32_e32 v21, 20, v21
	v_and_b32_e32 v23, 0x80000000, v23
	v_lshl_add_u32 v22, v22, 23, v24
	v_or3_b32 v21, v23, v22, v21
.LBB3_1544:
	s_or_b64 exec, exec, s[6:7]
	flat_load_dwordx4 a[0:3], v[18:19] offset:224
	s_movk_i32 s4, 0x7f
                                        ; implicit-def: $sgpr10
	s_waitcnt vmcnt(0) lgkmcnt(0)
	v_mfma_f32_16x16x4f32 a[0:3], v20, v21, a[0:3]
	v_lshrrev_b32_e32 v21, 8, v14
	v_cmp_gt_i16_sdwa s[6:7], v21, s4 src0_sel:BYTE_0 src1_sel:DWORD
	s_mov_b64 s[4:5], 0
	s_and_saveexec_b64 s[8:9], s[6:7]
	s_xor_b64 s[6:7], exec, s[8:9]
	s_cbranch_execnz .LBB3_3593
; %bb.1545:
	s_or_saveexec_b64 s[6:7], s[6:7]
	v_mov_b32_e32 v20, s10
	s_xor_b64 exec, exec, s[6:7]
	s_cbranch_execnz .LBB3_3596
.LBB3_1546:
	s_or_b64 exec, exec, s[6:7]
	s_and_saveexec_b64 s[6:7], s[4:5]
	s_cbranch_execz .LBB3_1548
.LBB3_1547:
	v_bfe_u32 v20, v14, 8, 3
	v_ffbh_u32_e32 v23, v20
	v_min_u32_e32 v23, 32, v23
	v_lshrrev_b16_e32 v22, 3, v21
	v_subrev_u32_e32 v24, 28, v23
	v_and_b32_e32 v22, 15, v22
	v_lshlrev_b32_e32 v21, v24, v21
	v_sub_u32_e32 v23, 29, v23
	v_and_b32_e32 v21, 7, v21
	v_cmp_eq_u16_e32 vcc, 0, v22
	v_cndmask_b32_e32 v20, v20, v21, vcc
	v_cndmask_b32_e32 v21, v22, v23, vcc
	v_lshlrev_b32_e32 v22, 16, v14
	v_mov_b32_e32 v23, 0x3b800000
	v_lshlrev_b32_e32 v20, 20, v20
	v_and_b32_e32 v22, 0x80000000, v22
	v_lshl_add_u32 v21, v21, 23, v23
	v_or3_b32 v20, v22, v21, v20
.LBB3_1548:
	s_or_b64 exec, exec, s[6:7]
	v_lshrrev_b32_e32 v21, 8, v10
	s_movk_i32 s4, 0x7f
	v_cmp_gt_i16_sdwa s[6:7], v21, s4 src0_sel:BYTE_0 src1_sel:DWORD
	s_mov_b64 s[4:5], 0
                                        ; implicit-def: $sgpr10
	s_and_saveexec_b64 s[8:9], s[6:7]
	s_xor_b64 s[6:7], exec, s[8:9]
	s_cbranch_execnz .LBB3_3597
; %bb.1549:
	s_or_saveexec_b64 s[6:7], s[6:7]
	v_mov_b32_e32 v22, s10
	s_xor_b64 exec, exec, s[6:7]
	s_cbranch_execnz .LBB3_3600
.LBB3_1550:
	s_or_b64 exec, exec, s[6:7]
	s_and_saveexec_b64 s[6:7], s[4:5]
	s_cbranch_execz .LBB3_1552
.LBB3_1551:
	v_bfe_u32 v22, v10, 8, 3
	v_ffbh_u32_e32 v24, v22
	v_min_u32_e32 v24, 32, v24
	v_lshrrev_b16_e32 v23, 3, v21
	v_subrev_u32_e32 v25, 28, v24
	v_and_b32_e32 v23, 15, v23
	v_lshlrev_b32_e32 v21, v25, v21
	v_sub_u32_e32 v24, 29, v24
	v_and_b32_e32 v21, 7, v21
	v_cmp_eq_u16_e32 vcc, 0, v23
	v_cndmask_b32_e32 v21, v22, v21, vcc
	v_cndmask_b32_e32 v22, v23, v24, vcc
	v_lshlrev_b32_e32 v23, 16, v10
	v_mov_b32_e32 v24, 0x3b800000
	v_lshlrev_b32_e32 v21, 20, v21
	v_and_b32_e32 v23, 0x80000000, v23
	v_lshl_add_u32 v22, v22, 23, v24
	v_or3_b32 v22, v23, v22, v21
.LBB3_1552:
	s_or_b64 exec, exec, s[6:7]
	s_nop 0
	v_mfma_f32_16x16x4f32 a[0:3], v20, v22, a[0:3]
	s_movk_i32 s4, 0xff
	v_and_b32_sdwa v21, v14, s4 dst_sel:DWORD dst_unused:UNUSED_PAD src0_sel:WORD_1 src1_sel:DWORD
	s_movk_i32 s4, 0x7f
	v_cmp_lt_i16_e32 vcc, s4, v21
	s_mov_b64 s[4:5], 0
                                        ; implicit-def: $sgpr10
	s_and_saveexec_b64 s[6:7], vcc
	s_xor_b64 s[6:7], exec, s[6:7]
	s_cbranch_execnz .LBB3_3601
; %bb.1553:
	s_or_saveexec_b64 s[6:7], s[6:7]
	v_mov_b32_e32 v20, s10
	s_xor_b64 exec, exec, s[6:7]
	s_cbranch_execnz .LBB3_3604
.LBB3_1554:
	s_or_b64 exec, exec, s[6:7]
	s_and_saveexec_b64 s[6:7], s[4:5]
	s_cbranch_execz .LBB3_1556
.LBB3_1555:
	v_bfe_u32 v20, v14, 16, 3
	v_ffbh_u32_e32 v23, v20
	v_min_u32_e32 v23, 32, v23
	v_lshrrev_b32_e32 v21, 19, v14
	v_subrev_u32_e32 v24, 28, v23
	v_and_b32_e32 v21, 15, v21
	v_lshlrev_b32_sdwa v24, v24, v14 dst_sel:DWORD dst_unused:UNUSED_PAD src0_sel:DWORD src1_sel:WORD_1
	v_bfe_u32 v22, v14, 19, 4
	v_sub_u32_e32 v23, 29, v23
	v_and_b32_e32 v24, 7, v24
	v_cmp_eq_u16_e32 vcc, 0, v21
	v_cndmask_b32_e32 v20, v20, v24, vcc
	v_cndmask_b32_e32 v21, v22, v23, vcc
	v_lshlrev_b32_e32 v22, 8, v14
	v_mov_b32_e32 v23, 0x3b800000
	v_lshlrev_b32_e32 v20, 20, v20
	v_and_b32_e32 v22, 0x80000000, v22
	v_lshl_add_u32 v21, v21, 23, v23
	v_or3_b32 v20, v22, v21, v20
.LBB3_1556:
	s_or_b64 exec, exec, s[6:7]
	s_movk_i32 s4, 0xff
	v_and_b32_sdwa v21, v10, s4 dst_sel:DWORD dst_unused:UNUSED_PAD src0_sel:WORD_1 src1_sel:DWORD
	s_movk_i32 s4, 0x7f
	v_cmp_lt_i16_e32 vcc, s4, v21
	s_mov_b64 s[4:5], 0
                                        ; implicit-def: $sgpr10
	s_and_saveexec_b64 s[6:7], vcc
	s_xor_b64 s[6:7], exec, s[6:7]
	s_cbranch_execnz .LBB3_3605
; %bb.1557:
	s_or_saveexec_b64 s[6:7], s[6:7]
	v_mov_b32_e32 v22, s10
	s_xor_b64 exec, exec, s[6:7]
	s_cbranch_execnz .LBB3_3608
.LBB3_1558:
	s_or_b64 exec, exec, s[6:7]
	s_and_saveexec_b64 s[6:7], s[4:5]
	s_cbranch_execz .LBB3_1560
.LBB3_1559:
	v_bfe_u32 v21, v10, 16, 3
	v_ffbh_u32_e32 v24, v21
	v_min_u32_e32 v24, 32, v24
	v_lshrrev_b32_e32 v22, 19, v10
	v_subrev_u32_e32 v25, 28, v24
	v_and_b32_e32 v22, 15, v22
	v_lshlrev_b32_sdwa v25, v25, v10 dst_sel:DWORD dst_unused:UNUSED_PAD src0_sel:DWORD src1_sel:WORD_1
	v_bfe_u32 v23, v10, 19, 4
	v_sub_u32_e32 v24, 29, v24
	v_and_b32_e32 v25, 7, v25
	v_cmp_eq_u16_e32 vcc, 0, v22
	v_cndmask_b32_e32 v21, v21, v25, vcc
	v_cndmask_b32_e32 v22, v23, v24, vcc
	v_lshlrev_b32_e32 v23, 8, v10
	v_mov_b32_e32 v24, 0x3b800000
	v_lshlrev_b32_e32 v21, 20, v21
	v_and_b32_e32 v23, 0x80000000, v23
	v_lshl_add_u32 v22, v22, 23, v24
	v_or3_b32 v22, v23, v22, v21
.LBB3_1560:
	s_or_b64 exec, exec, s[6:7]
	s_nop 0
	v_mfma_f32_16x16x4f32 a[0:3], v20, v22, a[0:3]
	s_movk_i32 s4, 0x7f
	v_cmp_gt_i16_sdwa s[6:7], v14, s4 src0_sel:BYTE_3 src1_sel:DWORD
	s_mov_b64 s[4:5], 0
                                        ; implicit-def: $sgpr10
	s_and_saveexec_b64 s[8:9], s[6:7]
	s_xor_b64 s[6:7], exec, s[8:9]
	s_cbranch_execnz .LBB3_3609
; %bb.1561:
	s_or_saveexec_b64 s[6:7], s[6:7]
	v_mov_b32_e32 v20, s10
	s_xor_b64 exec, exec, s[6:7]
	s_cbranch_execnz .LBB3_3612
.LBB3_1562:
	s_or_b64 exec, exec, s[6:7]
	s_and_saveexec_b64 s[6:7], s[4:5]
	s_cbranch_execz .LBB3_1564
.LBB3_1563:
	v_bfe_u32 v20, v14, 24, 3
	v_ffbh_u32_e32 v24, v20
	v_min_u32_e32 v24, 32, v24
	v_lshrrev_b32_e32 v22, 27, v14
	v_subrev_u32_e32 v25, 28, v24
	v_and_b32_e32 v21, 0x80000000, v14
	v_and_b32_e32 v22, 15, v22
	v_bfe_u32 v23, v14, 27, 4
	v_lshlrev_b32_sdwa v14, v25, v14 dst_sel:DWORD dst_unused:UNUSED_PAD src0_sel:DWORD src1_sel:BYTE_3
	v_sub_u32_e32 v24, 29, v24
	v_and_b32_e32 v14, 7, v14
	v_cmp_eq_u16_e32 vcc, 0, v22
	v_cndmask_b32_e32 v14, v20, v14, vcc
	v_cndmask_b32_e32 v20, v23, v24, vcc
	v_mov_b32_e32 v22, 0x3b800000
	v_lshlrev_b32_e32 v14, 20, v14
	v_lshl_add_u32 v20, v20, 23, v22
	v_or3_b32 v20, v21, v20, v14
.LBB3_1564:
	s_or_b64 exec, exec, s[6:7]
	s_movk_i32 s4, 0x7f
	v_cmp_gt_i16_sdwa s[6:7], v10, s4 src0_sel:BYTE_3 src1_sel:DWORD
	s_mov_b64 s[4:5], 0
                                        ; implicit-def: $sgpr10
	s_and_saveexec_b64 s[8:9], s[6:7]
	s_xor_b64 s[6:7], exec, s[8:9]
	s_cbranch_execnz .LBB3_3613
; %bb.1565:
	s_or_saveexec_b64 s[6:7], s[6:7]
	v_mov_b32_e32 v14, s10
	s_xor_b64 exec, exec, s[6:7]
	s_cbranch_execnz .LBB3_3616
.LBB3_1566:
	s_or_b64 exec, exec, s[6:7]
	s_and_saveexec_b64 s[6:7], s[4:5]
	s_cbranch_execz .LBB3_1568
.LBB3_1567:
	v_bfe_u32 v14, v10, 24, 3
	v_ffbh_u32_e32 v24, v14
	v_min_u32_e32 v24, 32, v24
	v_lshrrev_b32_e32 v22, 27, v10
	v_subrev_u32_e32 v25, 28, v24
	v_and_b32_e32 v21, 0x80000000, v10
	v_and_b32_e32 v22, 15, v22
	v_bfe_u32 v23, v10, 27, 4
	v_lshlrev_b32_sdwa v10, v25, v10 dst_sel:DWORD dst_unused:UNUSED_PAD src0_sel:DWORD src1_sel:BYTE_3
	v_sub_u32_e32 v24, 29, v24
	v_and_b32_e32 v10, 7, v10
	v_cmp_eq_u16_e32 vcc, 0, v22
	v_cndmask_b32_e32 v10, v14, v10, vcc
	v_cndmask_b32_e32 v14, v23, v24, vcc
	v_mov_b32_e32 v22, 0x3b800000
	v_lshlrev_b32_e32 v10, 20, v10
	v_lshl_add_u32 v14, v14, 23, v22
	v_or3_b32 v14, v21, v14, v10
.LBB3_1568:
	s_or_b64 exec, exec, s[6:7]
	s_nop 0
	v_mfma_f32_16x16x4f32 a[0:3], v20, v14, a[0:3]
	s_movk_i32 s4, 0x7f
	v_cmp_gt_i16_sdwa s[6:7], v15, s4 src0_sel:BYTE_0 src1_sel:DWORD
	s_mov_b64 s[4:5], 0
                                        ; implicit-def: $sgpr10
	s_and_saveexec_b64 s[8:9], s[6:7]
	s_xor_b64 s[6:7], exec, s[8:9]
	s_cbranch_execnz .LBB3_3617
; %bb.1569:
	s_or_saveexec_b64 s[6:7], s[6:7]
	v_mov_b32_e32 v10, s10
	s_xor_b64 exec, exec, s[6:7]
	s_cbranch_execnz .LBB3_3620
.LBB3_1570:
	s_or_b64 exec, exec, s[6:7]
	s_and_saveexec_b64 s[6:7], s[4:5]
	s_cbranch_execz .LBB3_1572
.LBB3_1571:
	v_and_b32_e32 v10, 7, v15
	v_ffbh_u32_e32 v20, v10
	v_min_u32_e32 v20, 32, v20
	v_lshrrev_b16_e32 v14, 3, v15
	v_subrev_u32_e32 v21, 28, v20
	v_and_b32_e32 v14, 15, v14
	v_lshlrev_b32_e32 v21, v21, v15
	v_sub_u32_e32 v20, 29, v20
	v_and_b32_e32 v21, 7, v21
	v_cmp_eq_u16_e32 vcc, 0, v14
	v_cndmask_b32_e32 v10, v10, v21, vcc
	v_cndmask_b32_e32 v14, v14, v20, vcc
	v_lshlrev_b32_e32 v20, 24, v15
	v_mov_b32_e32 v21, 0x3b800000
	v_lshlrev_b32_e32 v10, 20, v10
	v_and_b32_e32 v20, 0x80000000, v20
	v_lshl_add_u32 v14, v14, 23, v21
	v_or3_b32 v10, v20, v14, v10
.LBB3_1572:
	s_or_b64 exec, exec, s[6:7]
	s_movk_i32 s4, 0x7f
	v_cmp_gt_i16_sdwa s[6:7], v11, s4 src0_sel:BYTE_0 src1_sel:DWORD
	s_mov_b64 s[4:5], 0
                                        ; implicit-def: $sgpr10
	s_and_saveexec_b64 s[8:9], s[6:7]
	s_xor_b64 s[6:7], exec, s[8:9]
	s_cbranch_execnz .LBB3_3621
; %bb.1573:
	s_or_saveexec_b64 s[6:7], s[6:7]
	v_mov_b32_e32 v14, s10
	s_xor_b64 exec, exec, s[6:7]
	s_cbranch_execnz .LBB3_3624
.LBB3_1574:
	s_or_b64 exec, exec, s[6:7]
	s_and_saveexec_b64 s[6:7], s[4:5]
	s_cbranch_execz .LBB3_1576
.LBB3_1575:
	v_and_b32_e32 v14, 7, v11
	v_ffbh_u32_e32 v21, v14
	v_min_u32_e32 v21, 32, v21
	v_lshrrev_b16_e32 v20, 3, v11
	v_subrev_u32_e32 v22, 28, v21
	v_and_b32_e32 v20, 15, v20
	v_lshlrev_b32_e32 v22, v22, v11
	v_sub_u32_e32 v21, 29, v21
	v_and_b32_e32 v22, 7, v22
	v_cmp_eq_u16_e32 vcc, 0, v20
	v_cndmask_b32_e32 v14, v14, v22, vcc
	v_cndmask_b32_e32 v20, v20, v21, vcc
	v_lshlrev_b32_e32 v21, 24, v11
	v_mov_b32_e32 v22, 0x3b800000
	v_lshlrev_b32_e32 v14, 20, v14
	v_and_b32_e32 v21, 0x80000000, v21
	v_lshl_add_u32 v20, v20, 23, v22
	v_or3_b32 v14, v21, v20, v14
.LBB3_1576:
	s_or_b64 exec, exec, s[6:7]
	s_nop 0
	v_mfma_f32_16x16x4f32 a[0:3], v10, v14, a[0:3]
	v_lshrrev_b32_e32 v14, 8, v15
	s_movk_i32 s4, 0x7f
	v_cmp_gt_i16_sdwa s[6:7], v14, s4 src0_sel:BYTE_0 src1_sel:DWORD
	s_mov_b64 s[4:5], 0
                                        ; implicit-def: $sgpr10
	s_and_saveexec_b64 s[8:9], s[6:7]
	s_xor_b64 s[6:7], exec, s[8:9]
	s_cbranch_execnz .LBB3_3625
; %bb.1577:
	s_or_saveexec_b64 s[6:7], s[6:7]
	v_mov_b32_e32 v10, s10
	s_xor_b64 exec, exec, s[6:7]
	s_cbranch_execnz .LBB3_3628
.LBB3_1578:
	s_or_b64 exec, exec, s[6:7]
	s_and_saveexec_b64 s[6:7], s[4:5]
	s_cbranch_execz .LBB3_1580
.LBB3_1579:
	v_bfe_u32 v10, v15, 8, 3
	v_ffbh_u32_e32 v21, v10
	v_min_u32_e32 v21, 32, v21
	v_lshrrev_b16_e32 v20, 3, v14
	v_subrev_u32_e32 v22, 28, v21
	v_and_b32_e32 v20, 15, v20
	v_lshlrev_b32_e32 v14, v22, v14
	v_sub_u32_e32 v21, 29, v21
	v_and_b32_e32 v14, 7, v14
	v_cmp_eq_u16_e32 vcc, 0, v20
	v_cndmask_b32_e32 v10, v10, v14, vcc
	v_cndmask_b32_e32 v14, v20, v21, vcc
	v_lshlrev_b32_e32 v20, 16, v15
	v_mov_b32_e32 v21, 0x3b800000
	v_lshlrev_b32_e32 v10, 20, v10
	v_and_b32_e32 v20, 0x80000000, v20
	v_lshl_add_u32 v14, v14, 23, v21
	v_or3_b32 v10, v20, v14, v10
.LBB3_1580:
	s_or_b64 exec, exec, s[6:7]
	v_lshrrev_b32_e32 v14, 8, v11
	s_movk_i32 s4, 0x7f
	v_cmp_gt_i16_sdwa s[6:7], v14, s4 src0_sel:BYTE_0 src1_sel:DWORD
	s_mov_b64 s[4:5], 0
                                        ; implicit-def: $sgpr10
	s_and_saveexec_b64 s[8:9], s[6:7]
	s_xor_b64 s[6:7], exec, s[8:9]
	s_cbranch_execnz .LBB3_3629
; %bb.1581:
	s_or_saveexec_b64 s[6:7], s[6:7]
	v_mov_b32_e32 v20, s10
	s_xor_b64 exec, exec, s[6:7]
	s_cbranch_execnz .LBB3_3632
.LBB3_1582:
	s_or_b64 exec, exec, s[6:7]
	s_and_saveexec_b64 s[6:7], s[4:5]
	s_cbranch_execz .LBB3_1584
.LBB3_1583:
	v_bfe_u32 v20, v11, 8, 3
	v_ffbh_u32_e32 v22, v20
	v_min_u32_e32 v22, 32, v22
	v_lshrrev_b16_e32 v21, 3, v14
	v_subrev_u32_e32 v23, 28, v22
	v_and_b32_e32 v21, 15, v21
	v_lshlrev_b32_e32 v14, v23, v14
	v_sub_u32_e32 v22, 29, v22
	v_and_b32_e32 v14, 7, v14
	v_cmp_eq_u16_e32 vcc, 0, v21
	v_cndmask_b32_e32 v14, v20, v14, vcc
	v_cndmask_b32_e32 v20, v21, v22, vcc
	v_lshlrev_b32_e32 v21, 16, v11
	v_mov_b32_e32 v22, 0x3b800000
	v_lshlrev_b32_e32 v14, 20, v14
	v_and_b32_e32 v21, 0x80000000, v21
	v_lshl_add_u32 v20, v20, 23, v22
	v_or3_b32 v20, v21, v20, v14
.LBB3_1584:
	s_or_b64 exec, exec, s[6:7]
	s_nop 0
	v_mfma_f32_16x16x4f32 a[0:3], v10, v20, a[0:3]
	s_movk_i32 s4, 0xff
	v_and_b32_sdwa v14, v15, s4 dst_sel:DWORD dst_unused:UNUSED_PAD src0_sel:WORD_1 src1_sel:DWORD
	s_movk_i32 s4, 0x7f
	v_cmp_lt_i16_e32 vcc, s4, v14
	s_mov_b64 s[4:5], 0
                                        ; implicit-def: $sgpr10
	s_and_saveexec_b64 s[6:7], vcc
	s_xor_b64 s[6:7], exec, s[6:7]
	s_cbranch_execnz .LBB3_3633
; %bb.1585:
	s_or_saveexec_b64 s[6:7], s[6:7]
	v_mov_b32_e32 v10, s10
	s_xor_b64 exec, exec, s[6:7]
	s_cbranch_execnz .LBB3_3636
.LBB3_1586:
	s_or_b64 exec, exec, s[6:7]
	s_and_saveexec_b64 s[6:7], s[4:5]
	s_cbranch_execz .LBB3_1588
.LBB3_1587:
	v_bfe_u32 v10, v15, 16, 3
	v_ffbh_u32_e32 v21, v10
	v_min_u32_e32 v21, 32, v21
	v_lshrrev_b32_e32 v14, 19, v15
	v_subrev_u32_e32 v22, 28, v21
	v_and_b32_e32 v14, 15, v14
	v_lshlrev_b32_sdwa v22, v22, v15 dst_sel:DWORD dst_unused:UNUSED_PAD src0_sel:DWORD src1_sel:WORD_1
	v_bfe_u32 v20, v15, 19, 4
	v_sub_u32_e32 v21, 29, v21
	v_and_b32_e32 v22, 7, v22
	v_cmp_eq_u16_e32 vcc, 0, v14
	v_cndmask_b32_e32 v10, v10, v22, vcc
	v_cndmask_b32_e32 v14, v20, v21, vcc
	v_lshlrev_b32_e32 v20, 8, v15
	v_mov_b32_e32 v21, 0x3b800000
	v_lshlrev_b32_e32 v10, 20, v10
	v_and_b32_e32 v20, 0x80000000, v20
	v_lshl_add_u32 v14, v14, 23, v21
	v_or3_b32 v10, v20, v14, v10
.LBB3_1588:
	s_or_b64 exec, exec, s[6:7]
	s_movk_i32 s4, 0xff
	v_and_b32_sdwa v14, v11, s4 dst_sel:DWORD dst_unused:UNUSED_PAD src0_sel:WORD_1 src1_sel:DWORD
	s_movk_i32 s4, 0x7f
	v_cmp_lt_i16_e32 vcc, s4, v14
	s_mov_b64 s[4:5], 0
                                        ; implicit-def: $sgpr10
	s_and_saveexec_b64 s[6:7], vcc
	s_xor_b64 s[6:7], exec, s[6:7]
	s_cbranch_execnz .LBB3_3637
; %bb.1589:
	s_or_saveexec_b64 s[6:7], s[6:7]
	v_mov_b32_e32 v20, s10
	s_xor_b64 exec, exec, s[6:7]
	s_cbranch_execnz .LBB3_3640
.LBB3_1590:
	s_or_b64 exec, exec, s[6:7]
	s_and_saveexec_b64 s[6:7], s[4:5]
	s_cbranch_execz .LBB3_1592
.LBB3_1591:
	v_bfe_u32 v14, v11, 16, 3
	v_ffbh_u32_e32 v22, v14
	v_min_u32_e32 v22, 32, v22
	v_lshrrev_b32_e32 v20, 19, v11
	v_subrev_u32_e32 v23, 28, v22
	v_and_b32_e32 v20, 15, v20
	v_lshlrev_b32_sdwa v23, v23, v11 dst_sel:DWORD dst_unused:UNUSED_PAD src0_sel:DWORD src1_sel:WORD_1
	v_bfe_u32 v21, v11, 19, 4
	v_sub_u32_e32 v22, 29, v22
	v_and_b32_e32 v23, 7, v23
	v_cmp_eq_u16_e32 vcc, 0, v20
	v_cndmask_b32_e32 v14, v14, v23, vcc
	v_cndmask_b32_e32 v20, v21, v22, vcc
	v_lshlrev_b32_e32 v21, 8, v11
	v_mov_b32_e32 v22, 0x3b800000
	v_lshlrev_b32_e32 v14, 20, v14
	v_and_b32_e32 v21, 0x80000000, v21
	v_lshl_add_u32 v20, v20, 23, v22
	v_or3_b32 v20, v21, v20, v14
.LBB3_1592:
	s_or_b64 exec, exec, s[6:7]
	s_nop 0
	v_mfma_f32_16x16x4f32 a[0:3], v10, v20, a[0:3]
	s_movk_i32 s4, 0x7f
	v_cmp_gt_i16_sdwa s[6:7], v15, s4 src0_sel:BYTE_3 src1_sel:DWORD
	s_mov_b64 s[4:5], 0
                                        ; implicit-def: $sgpr10
	s_and_saveexec_b64 s[8:9], s[6:7]
	s_xor_b64 s[6:7], exec, s[8:9]
	s_cbranch_execnz .LBB3_3641
; %bb.1593:
	s_or_saveexec_b64 s[6:7], s[6:7]
	v_mov_b32_e32 v10, s10
	s_xor_b64 exec, exec, s[6:7]
	s_cbranch_execnz .LBB3_3644
.LBB3_1594:
	s_or_b64 exec, exec, s[6:7]
	s_and_saveexec_b64 s[6:7], s[4:5]
	s_cbranch_execz .LBB3_1596
.LBB3_1595:
	v_bfe_u32 v10, v15, 24, 3
	v_ffbh_u32_e32 v22, v10
	v_min_u32_e32 v22, 32, v22
	v_lshrrev_b32_e32 v20, 27, v15
	v_subrev_u32_e32 v23, 28, v22
	v_and_b32_e32 v14, 0x80000000, v15
	v_and_b32_e32 v20, 15, v20
	v_bfe_u32 v21, v15, 27, 4
	v_lshlrev_b32_sdwa v15, v23, v15 dst_sel:DWORD dst_unused:UNUSED_PAD src0_sel:DWORD src1_sel:BYTE_3
	v_sub_u32_e32 v22, 29, v22
	v_and_b32_e32 v15, 7, v15
	v_cmp_eq_u16_e32 vcc, 0, v20
	v_cndmask_b32_e32 v10, v10, v15, vcc
	v_cndmask_b32_e32 v15, v21, v22, vcc
	v_mov_b32_e32 v20, 0x3b800000
	v_lshlrev_b32_e32 v10, 20, v10
	v_lshl_add_u32 v15, v15, 23, v20
	v_or3_b32 v10, v14, v15, v10
.LBB3_1596:
	s_or_b64 exec, exec, s[6:7]
	s_movk_i32 s4, 0x7f
	v_cmp_gt_i16_sdwa s[6:7], v11, s4 src0_sel:BYTE_3 src1_sel:DWORD
	s_mov_b64 s[4:5], 0
                                        ; implicit-def: $sgpr10
	s_and_saveexec_b64 s[8:9], s[6:7]
	s_xor_b64 s[6:7], exec, s[8:9]
	s_cbranch_execnz .LBB3_3645
; %bb.1597:
	s_or_saveexec_b64 s[6:7], s[6:7]
	v_mov_b32_e32 v14, s10
	s_xor_b64 exec, exec, s[6:7]
	s_cbranch_execnz .LBB3_3648
.LBB3_1598:
	s_or_b64 exec, exec, s[6:7]
	s_and_saveexec_b64 s[6:7], s[4:5]
	s_cbranch_execz .LBB3_1600
.LBB3_1599:
	v_bfe_u32 v14, v11, 24, 3
	v_ffbh_u32_e32 v22, v14
	v_min_u32_e32 v22, 32, v22
	v_lshrrev_b32_e32 v20, 27, v11
	v_subrev_u32_e32 v23, 28, v22
	v_and_b32_e32 v15, 0x80000000, v11
	v_and_b32_e32 v20, 15, v20
	v_bfe_u32 v21, v11, 27, 4
	v_lshlrev_b32_sdwa v11, v23, v11 dst_sel:DWORD dst_unused:UNUSED_PAD src0_sel:DWORD src1_sel:BYTE_3
	v_sub_u32_e32 v22, 29, v22
	v_and_b32_e32 v11, 7, v11
	v_cmp_eq_u16_e32 vcc, 0, v20
	v_cndmask_b32_e32 v11, v14, v11, vcc
	v_cndmask_b32_e32 v14, v21, v22, vcc
	v_mov_b32_e32 v20, 0x3b800000
	v_lshlrev_b32_e32 v11, 20, v11
	v_lshl_add_u32 v14, v14, 23, v20
	v_or3_b32 v14, v15, v14, v11
.LBB3_1600:
	s_or_b64 exec, exec, s[6:7]
	s_nop 0
	v_mfma_f32_16x16x4f32 a[0:3], v10, v14, a[0:3]
	s_movk_i32 s4, 0x7f
	v_cmp_gt_i16_sdwa s[6:7], v16, s4 src0_sel:BYTE_0 src1_sel:DWORD
	s_mov_b64 s[4:5], 0
                                        ; implicit-def: $sgpr10
	s_and_saveexec_b64 s[8:9], s[6:7]
	s_xor_b64 s[6:7], exec, s[8:9]
	s_cbranch_execnz .LBB3_3649
; %bb.1601:
	s_or_saveexec_b64 s[6:7], s[6:7]
	v_mov_b32_e32 v10, s10
	s_xor_b64 exec, exec, s[6:7]
	s_cbranch_execnz .LBB3_3652
.LBB3_1602:
	s_or_b64 exec, exec, s[6:7]
	s_and_saveexec_b64 s[6:7], s[4:5]
	s_cbranch_execz .LBB3_1604
.LBB3_1603:
	v_and_b32_e32 v10, 7, v16
	v_ffbh_u32_e32 v14, v10
	v_min_u32_e32 v14, 32, v14
	v_lshrrev_b16_e32 v11, 3, v16
	v_subrev_u32_e32 v15, 28, v14
	v_and_b32_e32 v11, 15, v11
	v_lshlrev_b32_e32 v15, v15, v16
	v_sub_u32_e32 v14, 29, v14
	v_and_b32_e32 v15, 7, v15
	v_cmp_eq_u16_e32 vcc, 0, v11
	v_cndmask_b32_e32 v10, v10, v15, vcc
	v_cndmask_b32_e32 v11, v11, v14, vcc
	v_lshlrev_b32_e32 v14, 24, v16
	v_mov_b32_e32 v15, 0x3b800000
	v_lshlrev_b32_e32 v10, 20, v10
	v_and_b32_e32 v14, 0x80000000, v14
	v_lshl_add_u32 v11, v11, 23, v15
	v_or3_b32 v10, v14, v11, v10
.LBB3_1604:
	s_or_b64 exec, exec, s[6:7]
	s_movk_i32 s4, 0x7f
	v_cmp_gt_i16_sdwa s[6:7], v12, s4 src0_sel:BYTE_0 src1_sel:DWORD
	s_mov_b64 s[4:5], 0
                                        ; implicit-def: $sgpr10
	s_and_saveexec_b64 s[8:9], s[6:7]
	s_xor_b64 s[6:7], exec, s[8:9]
	s_cbranch_execnz .LBB3_3653
; %bb.1605:
	s_or_saveexec_b64 s[6:7], s[6:7]
	v_mov_b32_e32 v11, s10
	s_xor_b64 exec, exec, s[6:7]
	s_cbranch_execnz .LBB3_3656
.LBB3_1606:
	s_or_b64 exec, exec, s[6:7]
	s_and_saveexec_b64 s[6:7], s[4:5]
	s_cbranch_execz .LBB3_1608
.LBB3_1607:
	v_and_b32_e32 v11, 7, v12
	v_ffbh_u32_e32 v15, v11
	v_min_u32_e32 v15, 32, v15
	v_lshrrev_b16_e32 v14, 3, v12
	v_subrev_u32_e32 v20, 28, v15
	v_and_b32_e32 v14, 15, v14
	v_lshlrev_b32_e32 v20, v20, v12
	v_sub_u32_e32 v15, 29, v15
	v_and_b32_e32 v20, 7, v20
	v_cmp_eq_u16_e32 vcc, 0, v14
	v_cndmask_b32_e32 v11, v11, v20, vcc
	v_cndmask_b32_e32 v14, v14, v15, vcc
	v_lshlrev_b32_e32 v15, 24, v12
	v_mov_b32_e32 v20, 0x3b800000
	v_lshlrev_b32_e32 v11, 20, v11
	v_and_b32_e32 v15, 0x80000000, v15
	v_lshl_add_u32 v14, v14, 23, v20
	v_or3_b32 v11, v15, v14, v11
.LBB3_1608:
	s_or_b64 exec, exec, s[6:7]
	s_nop 0
	v_mfma_f32_16x16x4f32 a[0:3], v10, v11, a[0:3]
	v_lshrrev_b32_e32 v11, 8, v16
	s_movk_i32 s4, 0x7f
	v_cmp_gt_i16_sdwa s[6:7], v11, s4 src0_sel:BYTE_0 src1_sel:DWORD
	s_mov_b64 s[4:5], 0
                                        ; implicit-def: $sgpr10
	s_and_saveexec_b64 s[8:9], s[6:7]
	s_xor_b64 s[6:7], exec, s[8:9]
	s_cbranch_execnz .LBB3_3657
; %bb.1609:
	s_or_saveexec_b64 s[6:7], s[6:7]
	v_mov_b32_e32 v10, s10
	s_xor_b64 exec, exec, s[6:7]
	s_cbranch_execnz .LBB3_3660
.LBB3_1610:
	s_or_b64 exec, exec, s[6:7]
	s_and_saveexec_b64 s[6:7], s[4:5]
	s_cbranch_execz .LBB3_1612
.LBB3_1611:
	v_bfe_u32 v10, v16, 8, 3
	v_ffbh_u32_e32 v15, v10
	v_min_u32_e32 v15, 32, v15
	v_lshrrev_b16_e32 v14, 3, v11
	v_subrev_u32_e32 v20, 28, v15
	v_and_b32_e32 v14, 15, v14
	v_lshlrev_b32_e32 v11, v20, v11
	v_sub_u32_e32 v15, 29, v15
	v_and_b32_e32 v11, 7, v11
	v_cmp_eq_u16_e32 vcc, 0, v14
	v_cndmask_b32_e32 v10, v10, v11, vcc
	v_cndmask_b32_e32 v11, v14, v15, vcc
	v_lshlrev_b32_e32 v14, 16, v16
	v_mov_b32_e32 v15, 0x3b800000
	v_lshlrev_b32_e32 v10, 20, v10
	v_and_b32_e32 v14, 0x80000000, v14
	v_lshl_add_u32 v11, v11, 23, v15
	v_or3_b32 v10, v14, v11, v10
.LBB3_1612:
	s_or_b64 exec, exec, s[6:7]
	v_lshrrev_b32_e32 v11, 8, v12
	s_movk_i32 s4, 0x7f
	v_cmp_gt_i16_sdwa s[6:7], v11, s4 src0_sel:BYTE_0 src1_sel:DWORD
	s_mov_b64 s[4:5], 0
                                        ; implicit-def: $sgpr10
	s_and_saveexec_b64 s[8:9], s[6:7]
	s_xor_b64 s[6:7], exec, s[8:9]
	s_cbranch_execnz .LBB3_3661
; %bb.1613:
	s_or_saveexec_b64 s[6:7], s[6:7]
	v_mov_b32_e32 v14, s10
	s_xor_b64 exec, exec, s[6:7]
	s_cbranch_execnz .LBB3_3664
.LBB3_1614:
	s_or_b64 exec, exec, s[6:7]
	s_and_saveexec_b64 s[6:7], s[4:5]
	s_cbranch_execz .LBB3_1616
.LBB3_1615:
	v_bfe_u32 v14, v12, 8, 3
	v_ffbh_u32_e32 v20, v14
	v_min_u32_e32 v20, 32, v20
	v_lshrrev_b16_e32 v15, 3, v11
	v_subrev_u32_e32 v21, 28, v20
	v_and_b32_e32 v15, 15, v15
	v_lshlrev_b32_e32 v11, v21, v11
	v_sub_u32_e32 v20, 29, v20
	v_and_b32_e32 v11, 7, v11
	v_cmp_eq_u16_e32 vcc, 0, v15
	v_cndmask_b32_e32 v11, v14, v11, vcc
	v_cndmask_b32_e32 v14, v15, v20, vcc
	v_lshlrev_b32_e32 v15, 16, v12
	v_mov_b32_e32 v20, 0x3b800000
	v_lshlrev_b32_e32 v11, 20, v11
	v_and_b32_e32 v15, 0x80000000, v15
	v_lshl_add_u32 v14, v14, 23, v20
	v_or3_b32 v14, v15, v14, v11
.LBB3_1616:
	s_or_b64 exec, exec, s[6:7]
	s_nop 0
	v_mfma_f32_16x16x4f32 a[0:3], v10, v14, a[0:3]
	s_movk_i32 s4, 0xff
	v_and_b32_sdwa v11, v16, s4 dst_sel:DWORD dst_unused:UNUSED_PAD src0_sel:WORD_1 src1_sel:DWORD
	s_movk_i32 s4, 0x7f
	v_cmp_lt_i16_e32 vcc, s4, v11
	s_mov_b64 s[4:5], 0
                                        ; implicit-def: $sgpr10
	s_and_saveexec_b64 s[6:7], vcc
	s_xor_b64 s[6:7], exec, s[6:7]
	s_cbranch_execnz .LBB3_3665
; %bb.1617:
	s_or_saveexec_b64 s[6:7], s[6:7]
	v_mov_b32_e32 v10, s10
	s_xor_b64 exec, exec, s[6:7]
	s_cbranch_execnz .LBB3_3668
.LBB3_1618:
	s_or_b64 exec, exec, s[6:7]
	s_and_saveexec_b64 s[6:7], s[4:5]
	s_cbranch_execz .LBB3_1620
.LBB3_1619:
	v_bfe_u32 v10, v16, 16, 3
	v_ffbh_u32_e32 v15, v10
	v_min_u32_e32 v15, 32, v15
	v_lshrrev_b32_e32 v11, 19, v16
	v_subrev_u32_e32 v20, 28, v15
	v_and_b32_e32 v11, 15, v11
	v_lshlrev_b32_sdwa v20, v20, v16 dst_sel:DWORD dst_unused:UNUSED_PAD src0_sel:DWORD src1_sel:WORD_1
	v_bfe_u32 v14, v16, 19, 4
	v_sub_u32_e32 v15, 29, v15
	v_and_b32_e32 v20, 7, v20
	v_cmp_eq_u16_e32 vcc, 0, v11
	v_cndmask_b32_e32 v10, v10, v20, vcc
	v_cndmask_b32_e32 v11, v14, v15, vcc
	v_lshlrev_b32_e32 v14, 8, v16
	v_mov_b32_e32 v15, 0x3b800000
	v_lshlrev_b32_e32 v10, 20, v10
	v_and_b32_e32 v14, 0x80000000, v14
	v_lshl_add_u32 v11, v11, 23, v15
	v_or3_b32 v10, v14, v11, v10
.LBB3_1620:
	s_or_b64 exec, exec, s[6:7]
	s_movk_i32 s4, 0xff
	v_and_b32_sdwa v11, v12, s4 dst_sel:DWORD dst_unused:UNUSED_PAD src0_sel:WORD_1 src1_sel:DWORD
	s_movk_i32 s4, 0x7f
	v_cmp_lt_i16_e32 vcc, s4, v11
	s_mov_b64 s[4:5], 0
                                        ; implicit-def: $sgpr10
	s_and_saveexec_b64 s[6:7], vcc
	s_xor_b64 s[6:7], exec, s[6:7]
	s_cbranch_execnz .LBB3_3669
; %bb.1621:
	s_or_saveexec_b64 s[6:7], s[6:7]
	v_mov_b32_e32 v14, s10
	s_xor_b64 exec, exec, s[6:7]
	s_cbranch_execnz .LBB3_3672
.LBB3_1622:
	s_or_b64 exec, exec, s[6:7]
	s_and_saveexec_b64 s[6:7], s[4:5]
	s_cbranch_execz .LBB3_1624
.LBB3_1623:
	v_bfe_u32 v11, v12, 16, 3
	v_ffbh_u32_e32 v20, v11
	v_min_u32_e32 v20, 32, v20
	v_lshrrev_b32_e32 v14, 19, v12
	v_subrev_u32_e32 v21, 28, v20
	v_and_b32_e32 v14, 15, v14
	v_lshlrev_b32_sdwa v21, v21, v12 dst_sel:DWORD dst_unused:UNUSED_PAD src0_sel:DWORD src1_sel:WORD_1
	v_bfe_u32 v15, v12, 19, 4
	v_sub_u32_e32 v20, 29, v20
	v_and_b32_e32 v21, 7, v21
	v_cmp_eq_u16_e32 vcc, 0, v14
	v_cndmask_b32_e32 v11, v11, v21, vcc
	v_cndmask_b32_e32 v14, v15, v20, vcc
	v_lshlrev_b32_e32 v15, 8, v12
	v_mov_b32_e32 v20, 0x3b800000
	v_lshlrev_b32_e32 v11, 20, v11
	v_and_b32_e32 v15, 0x80000000, v15
	v_lshl_add_u32 v14, v14, 23, v20
	v_or3_b32 v14, v15, v14, v11
.LBB3_1624:
	s_or_b64 exec, exec, s[6:7]
	s_nop 0
	v_mfma_f32_16x16x4f32 a[0:3], v10, v14, a[0:3]
	s_movk_i32 s4, 0x7f
	v_cmp_gt_i16_sdwa s[6:7], v16, s4 src0_sel:BYTE_3 src1_sel:DWORD
	s_mov_b64 s[4:5], 0
                                        ; implicit-def: $sgpr10
	s_and_saveexec_b64 s[8:9], s[6:7]
	s_xor_b64 s[6:7], exec, s[8:9]
	s_cbranch_execnz .LBB3_3673
; %bb.1625:
	s_or_saveexec_b64 s[6:7], s[6:7]
	v_mov_b32_e32 v10, s10
	s_xor_b64 exec, exec, s[6:7]
	s_cbranch_execnz .LBB3_3676
.LBB3_1626:
	s_or_b64 exec, exec, s[6:7]
	s_and_saveexec_b64 s[6:7], s[4:5]
	s_cbranch_execz .LBB3_1628
.LBB3_1627:
	v_bfe_u32 v10, v16, 24, 3
	v_ffbh_u32_e32 v20, v10
	v_min_u32_e32 v20, 32, v20
	v_lshrrev_b32_e32 v14, 27, v16
	v_subrev_u32_e32 v21, 28, v20
	v_and_b32_e32 v11, 0x80000000, v16
	v_and_b32_e32 v14, 15, v14
	v_bfe_u32 v15, v16, 27, 4
	v_lshlrev_b32_sdwa v16, v21, v16 dst_sel:DWORD dst_unused:UNUSED_PAD src0_sel:DWORD src1_sel:BYTE_3
	v_sub_u32_e32 v20, 29, v20
	v_and_b32_e32 v16, 7, v16
	v_cmp_eq_u16_e32 vcc, 0, v14
	v_cndmask_b32_e32 v10, v10, v16, vcc
	v_cndmask_b32_e32 v14, v15, v20, vcc
	v_mov_b32_e32 v15, 0x3b800000
	v_lshlrev_b32_e32 v10, 20, v10
	v_lshl_add_u32 v14, v14, 23, v15
	v_or3_b32 v10, v11, v14, v10
.LBB3_1628:
	s_or_b64 exec, exec, s[6:7]
	s_movk_i32 s4, 0x7f
	v_cmp_gt_i16_sdwa s[6:7], v12, s4 src0_sel:BYTE_3 src1_sel:DWORD
	s_mov_b64 s[4:5], 0
                                        ; implicit-def: $sgpr10
	s_and_saveexec_b64 s[8:9], s[6:7]
	s_xor_b64 s[6:7], exec, s[8:9]
	s_cbranch_execnz .LBB3_3677
; %bb.1629:
	s_or_saveexec_b64 s[6:7], s[6:7]
	v_mov_b32_e32 v11, s10
	s_xor_b64 exec, exec, s[6:7]
	s_cbranch_execnz .LBB3_3680
.LBB3_1630:
	s_or_b64 exec, exec, s[6:7]
	s_and_saveexec_b64 s[6:7], s[4:5]
	s_cbranch_execz .LBB3_1632
.LBB3_1631:
	v_bfe_u32 v11, v12, 24, 3
	v_ffbh_u32_e32 v20, v11
	v_min_u32_e32 v20, 32, v20
	v_lshrrev_b32_e32 v15, 27, v12
	v_subrev_u32_e32 v21, 28, v20
	v_and_b32_e32 v14, 0x80000000, v12
	v_and_b32_e32 v15, 15, v15
	v_bfe_u32 v16, v12, 27, 4
	v_lshlrev_b32_sdwa v12, v21, v12 dst_sel:DWORD dst_unused:UNUSED_PAD src0_sel:DWORD src1_sel:BYTE_3
	v_sub_u32_e32 v20, 29, v20
	v_and_b32_e32 v12, 7, v12
	v_cmp_eq_u16_e32 vcc, 0, v15
	v_cndmask_b32_e32 v11, v11, v12, vcc
	v_cndmask_b32_e32 v12, v16, v20, vcc
	v_mov_b32_e32 v15, 0x3b800000
	v_lshlrev_b32_e32 v11, 20, v11
	v_lshl_add_u32 v12, v12, 23, v15
	v_or3_b32 v11, v14, v12, v11
.LBB3_1632:
	s_or_b64 exec, exec, s[6:7]
	s_nop 0
	v_mfma_f32_16x16x4f32 a[0:3], v10, v11, a[0:3]
	s_movk_i32 s4, 0x7f
	v_cmp_gt_i16_sdwa s[6:7], v17, s4 src0_sel:BYTE_0 src1_sel:DWORD
	s_mov_b64 s[4:5], 0
                                        ; implicit-def: $sgpr10
	s_and_saveexec_b64 s[8:9], s[6:7]
	s_xor_b64 s[6:7], exec, s[8:9]
	s_cbranch_execnz .LBB3_3681
; %bb.1633:
	s_or_saveexec_b64 s[6:7], s[6:7]
	v_mov_b32_e32 v10, s10
	s_xor_b64 exec, exec, s[6:7]
	s_cbranch_execnz .LBB3_3684
.LBB3_1634:
	s_or_b64 exec, exec, s[6:7]
	s_and_saveexec_b64 s[6:7], s[4:5]
	s_cbranch_execz .LBB3_1636
.LBB3_1635:
	v_and_b32_e32 v10, 7, v17
	v_ffbh_u32_e32 v12, v10
	v_min_u32_e32 v12, 32, v12
	v_lshrrev_b16_e32 v11, 3, v17
	v_subrev_u32_e32 v14, 28, v12
	v_and_b32_e32 v11, 15, v11
	v_lshlrev_b32_e32 v14, v14, v17
	v_sub_u32_e32 v12, 29, v12
	v_and_b32_e32 v14, 7, v14
	v_cmp_eq_u16_e32 vcc, 0, v11
	v_cndmask_b32_e32 v10, v10, v14, vcc
	v_cndmask_b32_e32 v11, v11, v12, vcc
	v_lshlrev_b32_e32 v12, 24, v17
	v_mov_b32_e32 v14, 0x3b800000
	v_lshlrev_b32_e32 v10, 20, v10
	v_and_b32_e32 v12, 0x80000000, v12
	v_lshl_add_u32 v11, v11, 23, v14
	v_or3_b32 v10, v12, v11, v10
.LBB3_1636:
	s_or_b64 exec, exec, s[6:7]
	s_movk_i32 s4, 0x7f
	v_cmp_gt_i16_sdwa s[6:7], v13, s4 src0_sel:BYTE_0 src1_sel:DWORD
	s_mov_b64 s[4:5], 0
                                        ; implicit-def: $sgpr10
	s_and_saveexec_b64 s[8:9], s[6:7]
	s_xor_b64 s[6:7], exec, s[8:9]
	s_cbranch_execnz .LBB3_3685
; %bb.1637:
	s_or_saveexec_b64 s[6:7], s[6:7]
	v_mov_b32_e32 v11, s10
	s_xor_b64 exec, exec, s[6:7]
	s_cbranch_execnz .LBB3_3688
.LBB3_1638:
	s_or_b64 exec, exec, s[6:7]
	s_and_saveexec_b64 s[6:7], s[4:5]
	s_cbranch_execz .LBB3_1640
.LBB3_1639:
	v_and_b32_e32 v11, 7, v13
	v_ffbh_u32_e32 v14, v11
	v_min_u32_e32 v14, 32, v14
	v_lshrrev_b16_e32 v12, 3, v13
	v_subrev_u32_e32 v15, 28, v14
	v_and_b32_e32 v12, 15, v12
	v_lshlrev_b32_e32 v15, v15, v13
	v_sub_u32_e32 v14, 29, v14
	v_and_b32_e32 v15, 7, v15
	v_cmp_eq_u16_e32 vcc, 0, v12
	v_cndmask_b32_e32 v11, v11, v15, vcc
	v_cndmask_b32_e32 v12, v12, v14, vcc
	v_lshlrev_b32_e32 v14, 24, v13
	v_mov_b32_e32 v15, 0x3b800000
	v_lshlrev_b32_e32 v11, 20, v11
	v_and_b32_e32 v14, 0x80000000, v14
	v_lshl_add_u32 v12, v12, 23, v15
	v_or3_b32 v11, v14, v12, v11
.LBB3_1640:
	s_or_b64 exec, exec, s[6:7]
	s_nop 0
	v_mfma_f32_16x16x4f32 a[0:3], v10, v11, a[0:3]
	v_lshrrev_b32_e32 v11, 8, v17
	s_movk_i32 s4, 0x7f
	v_cmp_gt_i16_sdwa s[6:7], v11, s4 src0_sel:BYTE_0 src1_sel:DWORD
	s_mov_b64 s[4:5], 0
                                        ; implicit-def: $sgpr10
	s_and_saveexec_b64 s[8:9], s[6:7]
	s_xor_b64 s[6:7], exec, s[8:9]
	s_cbranch_execnz .LBB3_3689
; %bb.1641:
	s_or_saveexec_b64 s[6:7], s[6:7]
	v_mov_b32_e32 v10, s10
	s_xor_b64 exec, exec, s[6:7]
	s_cbranch_execnz .LBB3_3692
.LBB3_1642:
	s_or_b64 exec, exec, s[6:7]
	s_and_saveexec_b64 s[6:7], s[4:5]
	s_cbranch_execz .LBB3_1644
.LBB3_1643:
	v_bfe_u32 v10, v17, 8, 3
	v_ffbh_u32_e32 v14, v10
	v_min_u32_e32 v14, 32, v14
	v_lshrrev_b16_e32 v12, 3, v11
	v_subrev_u32_e32 v15, 28, v14
	v_and_b32_e32 v12, 15, v12
	v_lshlrev_b32_e32 v11, v15, v11
	v_sub_u32_e32 v14, 29, v14
	v_and_b32_e32 v11, 7, v11
	v_cmp_eq_u16_e32 vcc, 0, v12
	v_cndmask_b32_e32 v10, v10, v11, vcc
	v_cndmask_b32_e32 v11, v12, v14, vcc
	v_lshlrev_b32_e32 v12, 16, v17
	v_mov_b32_e32 v14, 0x3b800000
	v_lshlrev_b32_e32 v10, 20, v10
	v_and_b32_e32 v12, 0x80000000, v12
	v_lshl_add_u32 v11, v11, 23, v14
	v_or3_b32 v10, v12, v11, v10
.LBB3_1644:
	s_or_b64 exec, exec, s[6:7]
	v_lshrrev_b32_e32 v11, 8, v13
	s_movk_i32 s4, 0x7f
	v_cmp_gt_i16_sdwa s[6:7], v11, s4 src0_sel:BYTE_0 src1_sel:DWORD
	s_mov_b64 s[4:5], 0
                                        ; implicit-def: $sgpr10
	s_and_saveexec_b64 s[8:9], s[6:7]
	s_xor_b64 s[6:7], exec, s[8:9]
	s_cbranch_execnz .LBB3_3693
; %bb.1645:
	s_or_saveexec_b64 s[6:7], s[6:7]
	v_mov_b32_e32 v12, s10
	s_xor_b64 exec, exec, s[6:7]
	s_cbranch_execnz .LBB3_3696
.LBB3_1646:
	s_or_b64 exec, exec, s[6:7]
	s_and_saveexec_b64 s[6:7], s[4:5]
	s_cbranch_execz .LBB3_1648
.LBB3_1647:
	v_bfe_u32 v12, v13, 8, 3
	v_ffbh_u32_e32 v15, v12
	v_min_u32_e32 v15, 32, v15
	v_lshrrev_b16_e32 v14, 3, v11
	v_subrev_u32_e32 v16, 28, v15
	v_and_b32_e32 v14, 15, v14
	v_lshlrev_b32_e32 v11, v16, v11
	v_sub_u32_e32 v15, 29, v15
	v_and_b32_e32 v11, 7, v11
	v_cmp_eq_u16_e32 vcc, 0, v14
	v_cndmask_b32_e32 v11, v12, v11, vcc
	v_cndmask_b32_e32 v12, v14, v15, vcc
	v_lshlrev_b32_e32 v14, 16, v13
	v_mov_b32_e32 v15, 0x3b800000
	v_lshlrev_b32_e32 v11, 20, v11
	v_and_b32_e32 v14, 0x80000000, v14
	v_lshl_add_u32 v12, v12, 23, v15
	v_or3_b32 v12, v14, v12, v11
.LBB3_1648:
	s_or_b64 exec, exec, s[6:7]
	s_nop 0
	v_mfma_f32_16x16x4f32 a[0:3], v10, v12, a[0:3]
	s_movk_i32 s4, 0xff
	v_and_b32_sdwa v11, v17, s4 dst_sel:DWORD dst_unused:UNUSED_PAD src0_sel:WORD_1 src1_sel:DWORD
	s_movk_i32 s4, 0x7f
	v_cmp_lt_i16_e32 vcc, s4, v11
	s_mov_b64 s[4:5], 0
                                        ; implicit-def: $sgpr10
	s_and_saveexec_b64 s[6:7], vcc
	s_xor_b64 s[6:7], exec, s[6:7]
	s_cbranch_execnz .LBB3_3697
; %bb.1649:
	s_or_saveexec_b64 s[6:7], s[6:7]
	v_mov_b32_e32 v10, s10
	s_xor_b64 exec, exec, s[6:7]
	s_cbranch_execnz .LBB3_3700
.LBB3_1650:
	s_or_b64 exec, exec, s[6:7]
	s_and_saveexec_b64 s[6:7], s[4:5]
	s_cbranch_execz .LBB3_1652
.LBB3_1651:
	v_bfe_u32 v10, v17, 16, 3
	v_ffbh_u32_e32 v14, v10
	v_min_u32_e32 v14, 32, v14
	v_lshrrev_b32_e32 v11, 19, v17
	v_subrev_u32_e32 v15, 28, v14
	v_and_b32_e32 v11, 15, v11
	v_lshlrev_b32_sdwa v15, v15, v17 dst_sel:DWORD dst_unused:UNUSED_PAD src0_sel:DWORD src1_sel:WORD_1
	v_bfe_u32 v12, v17, 19, 4
	v_sub_u32_e32 v14, 29, v14
	v_and_b32_e32 v15, 7, v15
	v_cmp_eq_u16_e32 vcc, 0, v11
	v_cndmask_b32_e32 v10, v10, v15, vcc
	v_cndmask_b32_e32 v11, v12, v14, vcc
	v_lshlrev_b32_e32 v12, 8, v17
	v_mov_b32_e32 v14, 0x3b800000
	v_lshlrev_b32_e32 v10, 20, v10
	v_and_b32_e32 v12, 0x80000000, v12
	v_lshl_add_u32 v11, v11, 23, v14
	v_or3_b32 v10, v12, v11, v10
.LBB3_1652:
	s_or_b64 exec, exec, s[6:7]
	s_movk_i32 s4, 0xff
	v_and_b32_sdwa v11, v13, s4 dst_sel:DWORD dst_unused:UNUSED_PAD src0_sel:WORD_1 src1_sel:DWORD
	s_movk_i32 s4, 0x7f
	v_cmp_lt_i16_e32 vcc, s4, v11
	s_mov_b64 s[4:5], 0
                                        ; implicit-def: $sgpr10
	s_and_saveexec_b64 s[6:7], vcc
	s_xor_b64 s[6:7], exec, s[6:7]
	s_cbranch_execnz .LBB3_3701
; %bb.1653:
	s_or_saveexec_b64 s[6:7], s[6:7]
	v_mov_b32_e32 v12, s10
	s_xor_b64 exec, exec, s[6:7]
	s_cbranch_execnz .LBB3_3704
.LBB3_1654:
	s_or_b64 exec, exec, s[6:7]
	s_and_saveexec_b64 s[6:7], s[4:5]
	s_cbranch_execz .LBB3_1656
.LBB3_1655:
	v_bfe_u32 v11, v13, 16, 3
	v_ffbh_u32_e32 v15, v11
	v_min_u32_e32 v15, 32, v15
	v_lshrrev_b32_e32 v12, 19, v13
	v_subrev_u32_e32 v16, 28, v15
	v_and_b32_e32 v12, 15, v12
	v_lshlrev_b32_sdwa v16, v16, v13 dst_sel:DWORD dst_unused:UNUSED_PAD src0_sel:DWORD src1_sel:WORD_1
	v_bfe_u32 v14, v13, 19, 4
	v_sub_u32_e32 v15, 29, v15
	v_and_b32_e32 v16, 7, v16
	v_cmp_eq_u16_e32 vcc, 0, v12
	v_cndmask_b32_e32 v11, v11, v16, vcc
	v_cndmask_b32_e32 v12, v14, v15, vcc
	v_lshlrev_b32_e32 v14, 8, v13
	v_mov_b32_e32 v15, 0x3b800000
	v_lshlrev_b32_e32 v11, 20, v11
	v_and_b32_e32 v14, 0x80000000, v14
	v_lshl_add_u32 v12, v12, 23, v15
	v_or3_b32 v12, v14, v12, v11
.LBB3_1656:
	s_or_b64 exec, exec, s[6:7]
	s_nop 0
	v_mfma_f32_16x16x4f32 a[0:3], v10, v12, a[0:3]
	s_movk_i32 s4, 0x7f
	v_cmp_gt_i16_sdwa s[6:7], v17, s4 src0_sel:BYTE_3 src1_sel:DWORD
	s_mov_b64 s[4:5], 0
                                        ; implicit-def: $sgpr10
	s_and_saveexec_b64 s[8:9], s[6:7]
	s_xor_b64 s[6:7], exec, s[8:9]
	s_cbranch_execnz .LBB3_3705
; %bb.1657:
	s_or_saveexec_b64 s[6:7], s[6:7]
	v_mov_b32_e32 v10, s10
	s_xor_b64 exec, exec, s[6:7]
	s_cbranch_execnz .LBB3_3708
.LBB3_1658:
	s_or_b64 exec, exec, s[6:7]
	s_and_saveexec_b64 s[6:7], s[4:5]
	s_cbranch_execz .LBB3_1660
.LBB3_1659:
	v_bfe_u32 v10, v17, 24, 3
	v_ffbh_u32_e32 v15, v10
	v_min_u32_e32 v15, 32, v15
	v_lshrrev_b32_e32 v12, 27, v17
	v_subrev_u32_e32 v16, 28, v15
	v_and_b32_e32 v12, 15, v12
	v_lshlrev_b32_sdwa v16, v16, v17 dst_sel:DWORD dst_unused:UNUSED_PAD src0_sel:DWORD src1_sel:BYTE_3
	v_bfe_u32 v14, v17, 27, 4
	v_sub_u32_e32 v15, 29, v15
	v_and_b32_e32 v16, 7, v16
	v_cmp_eq_u16_e32 vcc, 0, v12
	v_cndmask_b32_e32 v10, v10, v16, vcc
	v_cndmask_b32_e32 v12, v14, v15, vcc
	v_mov_b32_e32 v14, 0x3b800000
	v_and_b32_e32 v11, 0x80000000, v17
	v_lshlrev_b32_e32 v10, 20, v10
	v_lshl_add_u32 v12, v12, 23, v14
	v_or3_b32 v10, v11, v12, v10
.LBB3_1660:
	s_or_b64 exec, exec, s[6:7]
	s_movk_i32 s4, 0x7f
	v_cmp_gt_i16_sdwa s[6:7], v13, s4 src0_sel:BYTE_3 src1_sel:DWORD
	s_mov_b64 s[4:5], 0
                                        ; implicit-def: $sgpr10
	s_and_saveexec_b64 s[8:9], s[6:7]
	s_xor_b64 s[6:7], exec, s[8:9]
	s_cbranch_execnz .LBB3_3709
; %bb.1661:
	s_or_saveexec_b64 s[6:7], s[6:7]
	v_mov_b32_e32 v11, s10
	s_xor_b64 exec, exec, s[6:7]
	s_cbranch_execnz .LBB3_3712
.LBB3_1662:
	s_or_b64 exec, exec, s[6:7]
	s_and_saveexec_b64 s[6:7], s[4:5]
	s_cbranch_execz .LBB3_1664
.LBB3_1663:
	v_bfe_u32 v11, v13, 24, 3
	v_ffbh_u32_e32 v16, v11
	v_min_u32_e32 v16, 32, v16
	v_lshrrev_b32_e32 v14, 27, v13
	v_subrev_u32_e32 v17, 28, v16
	v_and_b32_e32 v12, 0x80000000, v13
	v_and_b32_e32 v14, 15, v14
	v_bfe_u32 v15, v13, 27, 4
	v_lshlrev_b32_sdwa v13, v17, v13 dst_sel:DWORD dst_unused:UNUSED_PAD src0_sel:DWORD src1_sel:BYTE_3
	v_sub_u32_e32 v16, 29, v16
	v_and_b32_e32 v13, 7, v13
	v_cmp_eq_u16_e32 vcc, 0, v14
	v_cndmask_b32_e32 v11, v11, v13, vcc
	v_cndmask_b32_e32 v13, v15, v16, vcc
	v_mov_b32_e32 v14, 0x3b800000
	v_lshlrev_b32_e32 v11, 20, v11
	v_lshl_add_u32 v13, v13, 23, v14
	v_or3_b32 v11, v12, v13, v11
.LBB3_1664:
	s_or_b64 exec, exec, s[6:7]
	s_nop 0
	v_mfma_f32_16x16x4f32 a[0:3], v10, v11, a[0:3]
	s_movk_i32 s4, 0x7f
	v_cmp_gt_i16_sdwa s[6:7], v6, s4 src0_sel:BYTE_0 src1_sel:DWORD
	s_mov_b64 s[4:5], 0
                                        ; implicit-def: $sgpr10
	s_and_saveexec_b64 s[8:9], s[6:7]
	s_xor_b64 s[6:7], exec, s[8:9]
	s_cbranch_execnz .LBB3_3713
; %bb.1665:
	s_or_saveexec_b64 s[6:7], s[6:7]
	v_mov_b32_e32 v10, s10
	s_xor_b64 exec, exec, s[6:7]
	s_cbranch_execnz .LBB3_3716
.LBB3_1666:
	s_or_b64 exec, exec, s[6:7]
	s_and_saveexec_b64 s[6:7], s[4:5]
	s_cbranch_execz .LBB3_1668
.LBB3_1667:
	v_and_b32_e32 v10, 7, v6
	v_ffbh_u32_e32 v12, v10
	v_min_u32_e32 v12, 32, v12
	v_lshrrev_b16_e32 v11, 3, v6
	v_subrev_u32_e32 v13, 28, v12
	v_and_b32_e32 v11, 15, v11
	v_lshlrev_b32_e32 v13, v13, v6
	v_sub_u32_e32 v12, 29, v12
	v_and_b32_e32 v13, 7, v13
	v_cmp_eq_u16_e32 vcc, 0, v11
	v_cndmask_b32_e32 v10, v10, v13, vcc
	v_cndmask_b32_e32 v11, v11, v12, vcc
	v_lshlrev_b32_e32 v12, 24, v6
	v_mov_b32_e32 v13, 0x3b800000
	v_lshlrev_b32_e32 v10, 20, v10
	v_and_b32_e32 v12, 0x80000000, v12
	v_lshl_add_u32 v11, v11, 23, v13
	v_or3_b32 v10, v12, v11, v10
.LBB3_1668:
	s_or_b64 exec, exec, s[6:7]
	s_movk_i32 s4, 0x7f
	v_cmp_gt_i16_sdwa s[6:7], v2, s4 src0_sel:BYTE_0 src1_sel:DWORD
	s_mov_b64 s[4:5], 0
                                        ; implicit-def: $sgpr10
	s_and_saveexec_b64 s[8:9], s[6:7]
	s_xor_b64 s[6:7], exec, s[8:9]
	s_cbranch_execnz .LBB3_3717
; %bb.1669:
	s_or_saveexec_b64 s[6:7], s[6:7]
	v_mov_b32_e32 v11, s10
	s_xor_b64 exec, exec, s[6:7]
	s_cbranch_execnz .LBB3_3720
.LBB3_1670:
	s_or_b64 exec, exec, s[6:7]
	s_and_saveexec_b64 s[6:7], s[4:5]
	s_cbranch_execz .LBB3_1672
.LBB3_1671:
	v_and_b32_e32 v11, 7, v2
	v_ffbh_u32_e32 v13, v11
	v_min_u32_e32 v13, 32, v13
	v_lshrrev_b16_e32 v12, 3, v2
	v_subrev_u32_e32 v14, 28, v13
	v_and_b32_e32 v12, 15, v12
	v_lshlrev_b32_e32 v14, v14, v2
	v_sub_u32_e32 v13, 29, v13
	v_and_b32_e32 v14, 7, v14
	v_cmp_eq_u16_e32 vcc, 0, v12
	v_cndmask_b32_e32 v11, v11, v14, vcc
	v_cndmask_b32_e32 v12, v12, v13, vcc
	v_lshlrev_b32_e32 v13, 24, v2
	v_mov_b32_e32 v14, 0x3b800000
	v_lshlrev_b32_e32 v11, 20, v11
	v_and_b32_e32 v13, 0x80000000, v13
	v_lshl_add_u32 v12, v12, 23, v14
	v_or3_b32 v11, v13, v12, v11
.LBB3_1672:
	s_or_b64 exec, exec, s[6:7]
	s_nop 0
	v_mfma_f32_16x16x4f32 a[0:3], v10, v11, a[0:3]
	v_lshrrev_b32_e32 v11, 8, v6
	s_movk_i32 s4, 0x7f
	v_cmp_gt_i16_sdwa s[6:7], v11, s4 src0_sel:BYTE_0 src1_sel:DWORD
	s_mov_b64 s[4:5], 0
                                        ; implicit-def: $sgpr10
	s_and_saveexec_b64 s[8:9], s[6:7]
	s_xor_b64 s[6:7], exec, s[8:9]
	s_cbranch_execnz .LBB3_3721
; %bb.1673:
	s_or_saveexec_b64 s[6:7], s[6:7]
	v_mov_b32_e32 v10, s10
	s_xor_b64 exec, exec, s[6:7]
	s_cbranch_execnz .LBB3_3724
.LBB3_1674:
	s_or_b64 exec, exec, s[6:7]
	s_and_saveexec_b64 s[6:7], s[4:5]
	s_cbranch_execz .LBB3_1676
.LBB3_1675:
	v_bfe_u32 v10, v6, 8, 3
	v_ffbh_u32_e32 v13, v10
	v_min_u32_e32 v13, 32, v13
	v_lshrrev_b16_e32 v12, 3, v11
	v_subrev_u32_e32 v14, 28, v13
	v_and_b32_e32 v12, 15, v12
	v_lshlrev_b32_e32 v11, v14, v11
	v_sub_u32_e32 v13, 29, v13
	v_and_b32_e32 v11, 7, v11
	v_cmp_eq_u16_e32 vcc, 0, v12
	v_cndmask_b32_e32 v10, v10, v11, vcc
	v_cndmask_b32_e32 v11, v12, v13, vcc
	v_lshlrev_b32_e32 v12, 16, v6
	v_mov_b32_e32 v13, 0x3b800000
	v_lshlrev_b32_e32 v10, 20, v10
	v_and_b32_e32 v12, 0x80000000, v12
	v_lshl_add_u32 v11, v11, 23, v13
	v_or3_b32 v10, v12, v11, v10
.LBB3_1676:
	s_or_b64 exec, exec, s[6:7]
	v_lshrrev_b32_e32 v11, 8, v2
	s_movk_i32 s4, 0x7f
	v_cmp_gt_i16_sdwa s[6:7], v11, s4 src0_sel:BYTE_0 src1_sel:DWORD
	s_mov_b64 s[4:5], 0
                                        ; implicit-def: $sgpr10
	s_and_saveexec_b64 s[8:9], s[6:7]
	s_xor_b64 s[6:7], exec, s[8:9]
	s_cbranch_execnz .LBB3_3725
; %bb.1677:
	s_or_saveexec_b64 s[6:7], s[6:7]
	v_mov_b32_e32 v12, s10
	s_xor_b64 exec, exec, s[6:7]
	s_cbranch_execnz .LBB3_3728
.LBB3_1678:
	s_or_b64 exec, exec, s[6:7]
	s_and_saveexec_b64 s[6:7], s[4:5]
	s_cbranch_execz .LBB3_1680
.LBB3_1679:
	v_bfe_u32 v12, v2, 8, 3
	v_ffbh_u32_e32 v14, v12
	v_min_u32_e32 v14, 32, v14
	v_lshrrev_b16_e32 v13, 3, v11
	v_subrev_u32_e32 v15, 28, v14
	v_and_b32_e32 v13, 15, v13
	v_lshlrev_b32_e32 v11, v15, v11
	v_sub_u32_e32 v14, 29, v14
	v_and_b32_e32 v11, 7, v11
	v_cmp_eq_u16_e32 vcc, 0, v13
	v_cndmask_b32_e32 v11, v12, v11, vcc
	v_cndmask_b32_e32 v12, v13, v14, vcc
	v_lshlrev_b32_e32 v13, 16, v2
	v_mov_b32_e32 v14, 0x3b800000
	v_lshlrev_b32_e32 v11, 20, v11
	v_and_b32_e32 v13, 0x80000000, v13
	v_lshl_add_u32 v12, v12, 23, v14
	v_or3_b32 v12, v13, v12, v11
.LBB3_1680:
	s_or_b64 exec, exec, s[6:7]
	s_nop 0
	v_mfma_f32_16x16x4f32 a[0:3], v10, v12, a[0:3]
	s_movk_i32 s4, 0xff
	v_and_b32_sdwa v11, v6, s4 dst_sel:DWORD dst_unused:UNUSED_PAD src0_sel:WORD_1 src1_sel:DWORD
	s_movk_i32 s4, 0x7f
	v_cmp_lt_i16_e32 vcc, s4, v11
	s_mov_b64 s[4:5], 0
                                        ; implicit-def: $sgpr10
	s_and_saveexec_b64 s[6:7], vcc
	s_xor_b64 s[6:7], exec, s[6:7]
	s_cbranch_execnz .LBB3_3729
; %bb.1681:
	s_or_saveexec_b64 s[6:7], s[6:7]
	v_mov_b32_e32 v10, s10
	s_xor_b64 exec, exec, s[6:7]
	s_cbranch_execnz .LBB3_3732
.LBB3_1682:
	s_or_b64 exec, exec, s[6:7]
	s_and_saveexec_b64 s[6:7], s[4:5]
	s_cbranch_execz .LBB3_1684
.LBB3_1683:
	v_bfe_u32 v10, v6, 16, 3
	v_ffbh_u32_e32 v13, v10
	v_min_u32_e32 v13, 32, v13
	v_lshrrev_b32_e32 v11, 19, v6
	v_subrev_u32_e32 v14, 28, v13
	v_and_b32_e32 v11, 15, v11
	v_lshlrev_b32_sdwa v14, v14, v6 dst_sel:DWORD dst_unused:UNUSED_PAD src0_sel:DWORD src1_sel:WORD_1
	v_bfe_u32 v12, v6, 19, 4
	v_sub_u32_e32 v13, 29, v13
	v_and_b32_e32 v14, 7, v14
	v_cmp_eq_u16_e32 vcc, 0, v11
	v_cndmask_b32_e32 v10, v10, v14, vcc
	v_cndmask_b32_e32 v11, v12, v13, vcc
	v_lshlrev_b32_e32 v12, 8, v6
	v_mov_b32_e32 v13, 0x3b800000
	v_lshlrev_b32_e32 v10, 20, v10
	v_and_b32_e32 v12, 0x80000000, v12
	v_lshl_add_u32 v11, v11, 23, v13
	v_or3_b32 v10, v12, v11, v10
.LBB3_1684:
	s_or_b64 exec, exec, s[6:7]
	s_movk_i32 s4, 0xff
	v_and_b32_sdwa v11, v2, s4 dst_sel:DWORD dst_unused:UNUSED_PAD src0_sel:WORD_1 src1_sel:DWORD
	s_movk_i32 s4, 0x7f
	v_cmp_lt_i16_e32 vcc, s4, v11
	s_mov_b64 s[4:5], 0
                                        ; implicit-def: $sgpr10
	s_and_saveexec_b64 s[6:7], vcc
	s_xor_b64 s[6:7], exec, s[6:7]
	s_cbranch_execnz .LBB3_3733
; %bb.1685:
	s_or_saveexec_b64 s[6:7], s[6:7]
	v_mov_b32_e32 v12, s10
	s_xor_b64 exec, exec, s[6:7]
	s_cbranch_execnz .LBB3_3736
.LBB3_1686:
	s_or_b64 exec, exec, s[6:7]
	s_and_saveexec_b64 s[6:7], s[4:5]
	s_cbranch_execz .LBB3_1688
.LBB3_1687:
	v_bfe_u32 v11, v2, 16, 3
	v_ffbh_u32_e32 v14, v11
	v_min_u32_e32 v14, 32, v14
	v_lshrrev_b32_e32 v12, 19, v2
	v_subrev_u32_e32 v15, 28, v14
	v_and_b32_e32 v12, 15, v12
	v_lshlrev_b32_sdwa v15, v15, v2 dst_sel:DWORD dst_unused:UNUSED_PAD src0_sel:DWORD src1_sel:WORD_1
	v_bfe_u32 v13, v2, 19, 4
	v_sub_u32_e32 v14, 29, v14
	v_and_b32_e32 v15, 7, v15
	v_cmp_eq_u16_e32 vcc, 0, v12
	v_cndmask_b32_e32 v11, v11, v15, vcc
	v_cndmask_b32_e32 v12, v13, v14, vcc
	v_lshlrev_b32_e32 v13, 8, v2
	v_mov_b32_e32 v14, 0x3b800000
	v_lshlrev_b32_e32 v11, 20, v11
	v_and_b32_e32 v13, 0x80000000, v13
	v_lshl_add_u32 v12, v12, 23, v14
	v_or3_b32 v12, v13, v12, v11
.LBB3_1688:
	s_or_b64 exec, exec, s[6:7]
	s_nop 0
	v_mfma_f32_16x16x4f32 a[0:3], v10, v12, a[0:3]
	s_movk_i32 s4, 0x7f
	v_cmp_gt_i16_sdwa s[6:7], v6, s4 src0_sel:BYTE_3 src1_sel:DWORD
	s_mov_b64 s[4:5], 0
                                        ; implicit-def: $sgpr10
	s_and_saveexec_b64 s[8:9], s[6:7]
	s_xor_b64 s[6:7], exec, s[8:9]
	s_cbranch_execnz .LBB3_3737
; %bb.1689:
	s_or_saveexec_b64 s[6:7], s[6:7]
	v_mov_b32_e32 v10, s10
	s_xor_b64 exec, exec, s[6:7]
	s_cbranch_execnz .LBB3_3740
.LBB3_1690:
	s_or_b64 exec, exec, s[6:7]
	s_and_saveexec_b64 s[6:7], s[4:5]
	s_cbranch_execz .LBB3_1692
.LBB3_1691:
	v_bfe_u32 v10, v6, 24, 3
	v_ffbh_u32_e32 v14, v10
	v_min_u32_e32 v14, 32, v14
	v_lshrrev_b32_e32 v12, 27, v6
	v_subrev_u32_e32 v15, 28, v14
	v_and_b32_e32 v11, 0x80000000, v6
	v_and_b32_e32 v12, 15, v12
	v_bfe_u32 v13, v6, 27, 4
	v_lshlrev_b32_sdwa v6, v15, v6 dst_sel:DWORD dst_unused:UNUSED_PAD src0_sel:DWORD src1_sel:BYTE_3
	v_sub_u32_e32 v14, 29, v14
	v_and_b32_e32 v6, 7, v6
	v_cmp_eq_u16_e32 vcc, 0, v12
	v_cndmask_b32_e32 v6, v10, v6, vcc
	v_cndmask_b32_e32 v10, v13, v14, vcc
	v_mov_b32_e32 v12, 0x3b800000
	v_lshlrev_b32_e32 v6, 20, v6
	v_lshl_add_u32 v10, v10, 23, v12
	v_or3_b32 v10, v11, v10, v6
.LBB3_1692:
	s_or_b64 exec, exec, s[6:7]
	s_movk_i32 s4, 0x7f
	v_cmp_gt_i16_sdwa s[6:7], v2, s4 src0_sel:BYTE_3 src1_sel:DWORD
	s_mov_b64 s[4:5], 0
                                        ; implicit-def: $sgpr10
	s_and_saveexec_b64 s[8:9], s[6:7]
	s_xor_b64 s[6:7], exec, s[8:9]
	s_cbranch_execnz .LBB3_3741
; %bb.1693:
	s_or_saveexec_b64 s[6:7], s[6:7]
	v_mov_b32_e32 v6, s10
	s_xor_b64 exec, exec, s[6:7]
	s_cbranch_execnz .LBB3_3744
.LBB3_1694:
	s_or_b64 exec, exec, s[6:7]
	s_and_saveexec_b64 s[6:7], s[4:5]
	s_cbranch_execz .LBB3_1696
.LBB3_1695:
	v_bfe_u32 v6, v2, 24, 3
	v_ffbh_u32_e32 v14, v6
	v_min_u32_e32 v14, 32, v14
	v_lshrrev_b32_e32 v12, 27, v2
	v_subrev_u32_e32 v15, 28, v14
	v_and_b32_e32 v11, 0x80000000, v2
	v_and_b32_e32 v12, 15, v12
	v_bfe_u32 v13, v2, 27, 4
	v_lshlrev_b32_sdwa v2, v15, v2 dst_sel:DWORD dst_unused:UNUSED_PAD src0_sel:DWORD src1_sel:BYTE_3
	v_sub_u32_e32 v14, 29, v14
	v_and_b32_e32 v2, 7, v2
	v_cmp_eq_u16_e32 vcc, 0, v12
	v_cndmask_b32_e32 v2, v6, v2, vcc
	v_cndmask_b32_e32 v6, v13, v14, vcc
	v_mov_b32_e32 v12, 0x3b800000
	v_lshlrev_b32_e32 v2, 20, v2
	v_lshl_add_u32 v6, v6, 23, v12
	v_or3_b32 v6, v11, v6, v2
.LBB3_1696:
	s_or_b64 exec, exec, s[6:7]
	s_nop 0
	v_mfma_f32_16x16x4f32 a[0:3], v10, v6, a[0:3]
	s_movk_i32 s4, 0x7f
	v_cmp_gt_i16_sdwa s[6:7], v7, s4 src0_sel:BYTE_0 src1_sel:DWORD
	s_mov_b64 s[4:5], 0
                                        ; implicit-def: $sgpr10
	s_and_saveexec_b64 s[8:9], s[6:7]
	s_xor_b64 s[6:7], exec, s[8:9]
	s_cbranch_execnz .LBB3_3745
; %bb.1697:
	s_or_saveexec_b64 s[6:7], s[6:7]
	v_mov_b32_e32 v2, s10
	s_xor_b64 exec, exec, s[6:7]
	s_cbranch_execnz .LBB3_3748
.LBB3_1698:
	s_or_b64 exec, exec, s[6:7]
	s_and_saveexec_b64 s[6:7], s[4:5]
	s_cbranch_execz .LBB3_1700
.LBB3_1699:
	v_and_b32_e32 v2, 7, v7
	v_ffbh_u32_e32 v10, v2
	v_min_u32_e32 v10, 32, v10
	v_lshrrev_b16_e32 v6, 3, v7
	v_subrev_u32_e32 v11, 28, v10
	v_and_b32_e32 v6, 15, v6
	v_lshlrev_b32_e32 v11, v11, v7
	v_sub_u32_e32 v10, 29, v10
	v_and_b32_e32 v11, 7, v11
	v_cmp_eq_u16_e32 vcc, 0, v6
	v_cndmask_b32_e32 v2, v2, v11, vcc
	v_cndmask_b32_e32 v6, v6, v10, vcc
	v_lshlrev_b32_e32 v10, 24, v7
	v_mov_b32_e32 v11, 0x3b800000
	v_lshlrev_b32_e32 v2, 20, v2
	v_and_b32_e32 v10, 0x80000000, v10
	v_lshl_add_u32 v6, v6, 23, v11
	v_or3_b32 v2, v10, v6, v2
.LBB3_1700:
	s_or_b64 exec, exec, s[6:7]
	s_movk_i32 s4, 0x7f
	v_cmp_gt_i16_sdwa s[6:7], v3, s4 src0_sel:BYTE_0 src1_sel:DWORD
	s_mov_b64 s[4:5], 0
                                        ; implicit-def: $sgpr10
	s_and_saveexec_b64 s[8:9], s[6:7]
	s_xor_b64 s[6:7], exec, s[8:9]
	s_cbranch_execnz .LBB3_3749
; %bb.1701:
	s_or_saveexec_b64 s[6:7], s[6:7]
	v_mov_b32_e32 v6, s10
	s_xor_b64 exec, exec, s[6:7]
	s_cbranch_execnz .LBB3_3752
.LBB3_1702:
	s_or_b64 exec, exec, s[6:7]
	s_and_saveexec_b64 s[6:7], s[4:5]
	s_cbranch_execz .LBB3_1704
.LBB3_1703:
	v_and_b32_e32 v6, 7, v3
	v_ffbh_u32_e32 v11, v6
	v_min_u32_e32 v11, 32, v11
	v_lshrrev_b16_e32 v10, 3, v3
	v_subrev_u32_e32 v12, 28, v11
	v_and_b32_e32 v10, 15, v10
	v_lshlrev_b32_e32 v12, v12, v3
	v_sub_u32_e32 v11, 29, v11
	v_and_b32_e32 v12, 7, v12
	v_cmp_eq_u16_e32 vcc, 0, v10
	v_cndmask_b32_e32 v6, v6, v12, vcc
	v_cndmask_b32_e32 v10, v10, v11, vcc
	v_lshlrev_b32_e32 v11, 24, v3
	v_mov_b32_e32 v12, 0x3b800000
	v_lshlrev_b32_e32 v6, 20, v6
	v_and_b32_e32 v11, 0x80000000, v11
	v_lshl_add_u32 v10, v10, 23, v12
	v_or3_b32 v6, v11, v10, v6
.LBB3_1704:
	s_or_b64 exec, exec, s[6:7]
	s_nop 0
	v_mfma_f32_16x16x4f32 a[0:3], v2, v6, a[0:3]
	v_lshrrev_b32_e32 v6, 8, v7
	s_movk_i32 s4, 0x7f
	v_cmp_gt_i16_sdwa s[6:7], v6, s4 src0_sel:BYTE_0 src1_sel:DWORD
	s_mov_b64 s[4:5], 0
                                        ; implicit-def: $sgpr10
	s_and_saveexec_b64 s[8:9], s[6:7]
	s_xor_b64 s[6:7], exec, s[8:9]
	s_cbranch_execnz .LBB3_3753
; %bb.1705:
	s_or_saveexec_b64 s[6:7], s[6:7]
	v_mov_b32_e32 v2, s10
	s_xor_b64 exec, exec, s[6:7]
	s_cbranch_execnz .LBB3_3756
.LBB3_1706:
	s_or_b64 exec, exec, s[6:7]
	s_and_saveexec_b64 s[6:7], s[4:5]
	s_cbranch_execz .LBB3_1708
.LBB3_1707:
	v_bfe_u32 v2, v7, 8, 3
	v_ffbh_u32_e32 v11, v2
	v_min_u32_e32 v11, 32, v11
	v_lshrrev_b16_e32 v10, 3, v6
	v_subrev_u32_e32 v12, 28, v11
	v_and_b32_e32 v10, 15, v10
	v_lshlrev_b32_e32 v6, v12, v6
	v_sub_u32_e32 v11, 29, v11
	v_and_b32_e32 v6, 7, v6
	v_cmp_eq_u16_e32 vcc, 0, v10
	v_cndmask_b32_e32 v2, v2, v6, vcc
	v_cndmask_b32_e32 v6, v10, v11, vcc
	v_lshlrev_b32_e32 v10, 16, v7
	v_mov_b32_e32 v11, 0x3b800000
	v_lshlrev_b32_e32 v2, 20, v2
	v_and_b32_e32 v10, 0x80000000, v10
	v_lshl_add_u32 v6, v6, 23, v11
	v_or3_b32 v2, v10, v6, v2
.LBB3_1708:
	s_or_b64 exec, exec, s[6:7]
	v_lshrrev_b32_e32 v6, 8, v3
	s_movk_i32 s4, 0x7f
	v_cmp_gt_i16_sdwa s[6:7], v6, s4 src0_sel:BYTE_0 src1_sel:DWORD
	s_mov_b64 s[4:5], 0
                                        ; implicit-def: $sgpr10
	s_and_saveexec_b64 s[8:9], s[6:7]
	s_xor_b64 s[6:7], exec, s[8:9]
	s_cbranch_execnz .LBB3_3757
; %bb.1709:
	s_or_saveexec_b64 s[6:7], s[6:7]
	v_mov_b32_e32 v10, s10
	s_xor_b64 exec, exec, s[6:7]
	s_cbranch_execnz .LBB3_3760
.LBB3_1710:
	s_or_b64 exec, exec, s[6:7]
	s_and_saveexec_b64 s[6:7], s[4:5]
	s_cbranch_execz .LBB3_1712
.LBB3_1711:
	v_bfe_u32 v10, v3, 8, 3
	v_ffbh_u32_e32 v12, v10
	v_min_u32_e32 v12, 32, v12
	v_lshrrev_b16_e32 v11, 3, v6
	v_subrev_u32_e32 v13, 28, v12
	v_and_b32_e32 v11, 15, v11
	v_lshlrev_b32_e32 v6, v13, v6
	v_sub_u32_e32 v12, 29, v12
	v_and_b32_e32 v6, 7, v6
	v_cmp_eq_u16_e32 vcc, 0, v11
	v_cndmask_b32_e32 v6, v10, v6, vcc
	v_cndmask_b32_e32 v10, v11, v12, vcc
	v_lshlrev_b32_e32 v11, 16, v3
	v_mov_b32_e32 v12, 0x3b800000
	v_lshlrev_b32_e32 v6, 20, v6
	v_and_b32_e32 v11, 0x80000000, v11
	v_lshl_add_u32 v10, v10, 23, v12
	v_or3_b32 v10, v11, v10, v6
.LBB3_1712:
	s_or_b64 exec, exec, s[6:7]
	s_nop 0
	v_mfma_f32_16x16x4f32 a[0:3], v2, v10, a[0:3]
	s_movk_i32 s4, 0xff
	v_and_b32_sdwa v6, v7, s4 dst_sel:DWORD dst_unused:UNUSED_PAD src0_sel:WORD_1 src1_sel:DWORD
	s_movk_i32 s4, 0x7f
	v_cmp_lt_i16_e32 vcc, s4, v6
	s_mov_b64 s[4:5], 0
                                        ; implicit-def: $sgpr10
	s_and_saveexec_b64 s[6:7], vcc
	s_xor_b64 s[6:7], exec, s[6:7]
	s_cbranch_execnz .LBB3_3761
; %bb.1713:
	s_or_saveexec_b64 s[6:7], s[6:7]
	v_mov_b32_e32 v2, s10
	s_xor_b64 exec, exec, s[6:7]
	s_cbranch_execnz .LBB3_3764
.LBB3_1714:
	s_or_b64 exec, exec, s[6:7]
	s_and_saveexec_b64 s[6:7], s[4:5]
	s_cbranch_execz .LBB3_1716
.LBB3_1715:
	v_bfe_u32 v2, v7, 16, 3
	v_ffbh_u32_e32 v11, v2
	v_min_u32_e32 v11, 32, v11
	v_lshrrev_b32_e32 v6, 19, v7
	v_subrev_u32_e32 v12, 28, v11
	v_and_b32_e32 v6, 15, v6
	v_lshlrev_b32_sdwa v12, v12, v7 dst_sel:DWORD dst_unused:UNUSED_PAD src0_sel:DWORD src1_sel:WORD_1
	v_bfe_u32 v10, v7, 19, 4
	v_sub_u32_e32 v11, 29, v11
	v_and_b32_e32 v12, 7, v12
	v_cmp_eq_u16_e32 vcc, 0, v6
	v_cndmask_b32_e32 v2, v2, v12, vcc
	v_cndmask_b32_e32 v6, v10, v11, vcc
	v_lshlrev_b32_e32 v10, 8, v7
	v_mov_b32_e32 v11, 0x3b800000
	v_lshlrev_b32_e32 v2, 20, v2
	v_and_b32_e32 v10, 0x80000000, v10
	v_lshl_add_u32 v6, v6, 23, v11
	v_or3_b32 v2, v10, v6, v2
.LBB3_1716:
	s_or_b64 exec, exec, s[6:7]
	s_movk_i32 s4, 0xff
	v_and_b32_sdwa v6, v3, s4 dst_sel:DWORD dst_unused:UNUSED_PAD src0_sel:WORD_1 src1_sel:DWORD
	s_movk_i32 s4, 0x7f
	v_cmp_lt_i16_e32 vcc, s4, v6
	s_mov_b64 s[4:5], 0
                                        ; implicit-def: $sgpr10
	s_and_saveexec_b64 s[6:7], vcc
	s_xor_b64 s[6:7], exec, s[6:7]
	s_cbranch_execnz .LBB3_3765
; %bb.1717:
	s_or_saveexec_b64 s[6:7], s[6:7]
	v_mov_b32_e32 v10, s10
	s_xor_b64 exec, exec, s[6:7]
	s_cbranch_execnz .LBB3_3768
.LBB3_1718:
	s_or_b64 exec, exec, s[6:7]
	s_and_saveexec_b64 s[6:7], s[4:5]
	s_cbranch_execz .LBB3_1720
.LBB3_1719:
	v_bfe_u32 v6, v3, 16, 3
	v_ffbh_u32_e32 v12, v6
	v_min_u32_e32 v12, 32, v12
	v_lshrrev_b32_e32 v10, 19, v3
	v_subrev_u32_e32 v13, 28, v12
	v_and_b32_e32 v10, 15, v10
	v_lshlrev_b32_sdwa v13, v13, v3 dst_sel:DWORD dst_unused:UNUSED_PAD src0_sel:DWORD src1_sel:WORD_1
	v_bfe_u32 v11, v3, 19, 4
	v_sub_u32_e32 v12, 29, v12
	v_and_b32_e32 v13, 7, v13
	v_cmp_eq_u16_e32 vcc, 0, v10
	v_cndmask_b32_e32 v6, v6, v13, vcc
	v_cndmask_b32_e32 v10, v11, v12, vcc
	v_lshlrev_b32_e32 v11, 8, v3
	v_mov_b32_e32 v12, 0x3b800000
	v_lshlrev_b32_e32 v6, 20, v6
	v_and_b32_e32 v11, 0x80000000, v11
	v_lshl_add_u32 v10, v10, 23, v12
	v_or3_b32 v10, v11, v10, v6
.LBB3_1720:
	s_or_b64 exec, exec, s[6:7]
	s_nop 0
	v_mfma_f32_16x16x4f32 a[0:3], v2, v10, a[0:3]
	s_movk_i32 s4, 0x7f
	v_cmp_gt_i16_sdwa s[6:7], v7, s4 src0_sel:BYTE_3 src1_sel:DWORD
	s_mov_b64 s[4:5], 0
                                        ; implicit-def: $sgpr10
	s_and_saveexec_b64 s[8:9], s[6:7]
	s_xor_b64 s[6:7], exec, s[8:9]
	s_cbranch_execnz .LBB3_3769
; %bb.1721:
	s_or_saveexec_b64 s[6:7], s[6:7]
	v_mov_b32_e32 v2, s10
	s_xor_b64 exec, exec, s[6:7]
	s_cbranch_execnz .LBB3_3772
.LBB3_1722:
	s_or_b64 exec, exec, s[6:7]
	s_and_saveexec_b64 s[6:7], s[4:5]
	s_cbranch_execz .LBB3_1724
.LBB3_1723:
	v_bfe_u32 v2, v7, 24, 3
	v_ffbh_u32_e32 v12, v2
	v_min_u32_e32 v12, 32, v12
	v_lshrrev_b32_e32 v10, 27, v7
	v_subrev_u32_e32 v13, 28, v12
	v_and_b32_e32 v6, 0x80000000, v7
	v_and_b32_e32 v10, 15, v10
	v_bfe_u32 v11, v7, 27, 4
	v_lshlrev_b32_sdwa v7, v13, v7 dst_sel:DWORD dst_unused:UNUSED_PAD src0_sel:DWORD src1_sel:BYTE_3
	v_sub_u32_e32 v12, 29, v12
	v_and_b32_e32 v7, 7, v7
	v_cmp_eq_u16_e32 vcc, 0, v10
	v_cndmask_b32_e32 v2, v2, v7, vcc
	v_cndmask_b32_e32 v7, v11, v12, vcc
	v_mov_b32_e32 v10, 0x3b800000
	v_lshlrev_b32_e32 v2, 20, v2
	v_lshl_add_u32 v7, v7, 23, v10
	v_or3_b32 v2, v6, v7, v2
.LBB3_1724:
	s_or_b64 exec, exec, s[6:7]
	s_movk_i32 s4, 0x7f
	v_cmp_gt_i16_sdwa s[6:7], v3, s4 src0_sel:BYTE_3 src1_sel:DWORD
	s_mov_b64 s[4:5], 0
                                        ; implicit-def: $sgpr10
	s_and_saveexec_b64 s[8:9], s[6:7]
	s_xor_b64 s[6:7], exec, s[8:9]
	s_cbranch_execnz .LBB3_3773
; %bb.1725:
	s_or_saveexec_b64 s[6:7], s[6:7]
	v_mov_b32_e32 v6, s10
	s_xor_b64 exec, exec, s[6:7]
	s_cbranch_execnz .LBB3_3776
.LBB3_1726:
	s_or_b64 exec, exec, s[6:7]
	s_and_saveexec_b64 s[6:7], s[4:5]
	s_cbranch_execz .LBB3_1728
.LBB3_1727:
	v_bfe_u32 v6, v3, 24, 3
	v_ffbh_u32_e32 v12, v6
	v_min_u32_e32 v12, 32, v12
	v_lshrrev_b32_e32 v10, 27, v3
	v_subrev_u32_e32 v13, 28, v12
	v_and_b32_e32 v7, 0x80000000, v3
	v_and_b32_e32 v10, 15, v10
	v_bfe_u32 v11, v3, 27, 4
	v_lshlrev_b32_sdwa v3, v13, v3 dst_sel:DWORD dst_unused:UNUSED_PAD src0_sel:DWORD src1_sel:BYTE_3
	v_sub_u32_e32 v12, 29, v12
	v_and_b32_e32 v3, 7, v3
	v_cmp_eq_u16_e32 vcc, 0, v10
	v_cndmask_b32_e32 v3, v6, v3, vcc
	v_cndmask_b32_e32 v6, v11, v12, vcc
	v_mov_b32_e32 v10, 0x3b800000
	v_lshlrev_b32_e32 v3, 20, v3
	v_lshl_add_u32 v6, v6, 23, v10
	v_or3_b32 v6, v7, v6, v3
.LBB3_1728:
	s_or_b64 exec, exec, s[6:7]
	s_nop 0
	v_mfma_f32_16x16x4f32 a[0:3], v2, v6, a[0:3]
	s_movk_i32 s4, 0x7f
	v_cmp_gt_i16_sdwa s[6:7], v8, s4 src0_sel:BYTE_0 src1_sel:DWORD
	s_mov_b64 s[4:5], 0
                                        ; implicit-def: $sgpr10
	s_and_saveexec_b64 s[8:9], s[6:7]
	s_xor_b64 s[6:7], exec, s[8:9]
	s_cbranch_execnz .LBB3_3777
; %bb.1729:
	s_or_saveexec_b64 s[6:7], s[6:7]
	v_mov_b32_e32 v2, s10
	s_xor_b64 exec, exec, s[6:7]
	s_cbranch_execnz .LBB3_3780
.LBB3_1730:
	s_or_b64 exec, exec, s[6:7]
	s_and_saveexec_b64 s[6:7], s[4:5]
	s_cbranch_execz .LBB3_1732
.LBB3_1731:
	v_and_b32_e32 v2, 7, v8
	v_ffbh_u32_e32 v6, v2
	v_min_u32_e32 v6, 32, v6
	v_lshrrev_b16_e32 v3, 3, v8
	v_subrev_u32_e32 v7, 28, v6
	v_and_b32_e32 v3, 15, v3
	v_lshlrev_b32_e32 v7, v7, v8
	v_sub_u32_e32 v6, 29, v6
	v_and_b32_e32 v7, 7, v7
	v_cmp_eq_u16_e32 vcc, 0, v3
	v_cndmask_b32_e32 v2, v2, v7, vcc
	v_cndmask_b32_e32 v3, v3, v6, vcc
	v_lshlrev_b32_e32 v6, 24, v8
	v_mov_b32_e32 v7, 0x3b800000
	v_lshlrev_b32_e32 v2, 20, v2
	v_and_b32_e32 v6, 0x80000000, v6
	v_lshl_add_u32 v3, v3, 23, v7
	v_or3_b32 v2, v6, v3, v2
.LBB3_1732:
	s_or_b64 exec, exec, s[6:7]
	s_movk_i32 s4, 0x7f
	v_cmp_gt_i16_sdwa s[6:7], v4, s4 src0_sel:BYTE_0 src1_sel:DWORD
	s_mov_b64 s[4:5], 0
                                        ; implicit-def: $sgpr10
	s_and_saveexec_b64 s[8:9], s[6:7]
	s_xor_b64 s[6:7], exec, s[8:9]
	s_cbranch_execnz .LBB3_3781
; %bb.1733:
	s_or_saveexec_b64 s[6:7], s[6:7]
	v_mov_b32_e32 v3, s10
	s_xor_b64 exec, exec, s[6:7]
	s_cbranch_execnz .LBB3_3784
.LBB3_1734:
	s_or_b64 exec, exec, s[6:7]
	s_and_saveexec_b64 s[6:7], s[4:5]
	s_cbranch_execz .LBB3_1736
.LBB3_1735:
	v_and_b32_e32 v3, 7, v4
	v_ffbh_u32_e32 v7, v3
	v_min_u32_e32 v7, 32, v7
	v_lshrrev_b16_e32 v6, 3, v4
	v_subrev_u32_e32 v10, 28, v7
	v_and_b32_e32 v6, 15, v6
	v_lshlrev_b32_e32 v10, v10, v4
	v_sub_u32_e32 v7, 29, v7
	v_and_b32_e32 v10, 7, v10
	v_cmp_eq_u16_e32 vcc, 0, v6
	v_cndmask_b32_e32 v3, v3, v10, vcc
	v_cndmask_b32_e32 v6, v6, v7, vcc
	v_lshlrev_b32_e32 v7, 24, v4
	v_mov_b32_e32 v10, 0x3b800000
	v_lshlrev_b32_e32 v3, 20, v3
	v_and_b32_e32 v7, 0x80000000, v7
	v_lshl_add_u32 v6, v6, 23, v10
	v_or3_b32 v3, v7, v6, v3
.LBB3_1736:
	s_or_b64 exec, exec, s[6:7]
	s_nop 0
	v_mfma_f32_16x16x4f32 a[0:3], v2, v3, a[0:3]
	v_lshrrev_b32_e32 v3, 8, v8
	s_movk_i32 s4, 0x7f
	v_cmp_gt_i16_sdwa s[6:7], v3, s4 src0_sel:BYTE_0 src1_sel:DWORD
	s_mov_b64 s[4:5], 0
                                        ; implicit-def: $sgpr10
	s_and_saveexec_b64 s[8:9], s[6:7]
	s_xor_b64 s[6:7], exec, s[8:9]
	s_cbranch_execnz .LBB3_3785
; %bb.1737:
	s_or_saveexec_b64 s[6:7], s[6:7]
	v_mov_b32_e32 v2, s10
	s_xor_b64 exec, exec, s[6:7]
	s_cbranch_execnz .LBB3_3788
.LBB3_1738:
	s_or_b64 exec, exec, s[6:7]
	s_and_saveexec_b64 s[6:7], s[4:5]
	s_cbranch_execz .LBB3_1740
.LBB3_1739:
	v_bfe_u32 v2, v8, 8, 3
	v_ffbh_u32_e32 v7, v2
	v_min_u32_e32 v7, 32, v7
	v_lshrrev_b16_e32 v6, 3, v3
	v_subrev_u32_e32 v10, 28, v7
	v_and_b32_e32 v6, 15, v6
	v_lshlrev_b32_e32 v3, v10, v3
	v_sub_u32_e32 v7, 29, v7
	v_and_b32_e32 v3, 7, v3
	v_cmp_eq_u16_e32 vcc, 0, v6
	v_cndmask_b32_e32 v2, v2, v3, vcc
	v_cndmask_b32_e32 v3, v6, v7, vcc
	v_lshlrev_b32_e32 v6, 16, v8
	v_mov_b32_e32 v7, 0x3b800000
	v_lshlrev_b32_e32 v2, 20, v2
	v_and_b32_e32 v6, 0x80000000, v6
	v_lshl_add_u32 v3, v3, 23, v7
	v_or3_b32 v2, v6, v3, v2
.LBB3_1740:
	s_or_b64 exec, exec, s[6:7]
	v_lshrrev_b32_e32 v3, 8, v4
	s_movk_i32 s4, 0x7f
	v_cmp_gt_i16_sdwa s[6:7], v3, s4 src0_sel:BYTE_0 src1_sel:DWORD
	s_mov_b64 s[4:5], 0
                                        ; implicit-def: $sgpr10
	s_and_saveexec_b64 s[8:9], s[6:7]
	s_xor_b64 s[6:7], exec, s[8:9]
	s_cbranch_execnz .LBB3_3789
; %bb.1741:
	s_or_saveexec_b64 s[6:7], s[6:7]
	v_mov_b32_e32 v6, s10
	s_xor_b64 exec, exec, s[6:7]
	s_cbranch_execnz .LBB3_3792
.LBB3_1742:
	s_or_b64 exec, exec, s[6:7]
	s_and_saveexec_b64 s[6:7], s[4:5]
	s_cbranch_execz .LBB3_1744
.LBB3_1743:
	v_bfe_u32 v6, v4, 8, 3
	v_ffbh_u32_e32 v10, v6
	v_min_u32_e32 v10, 32, v10
	v_lshrrev_b16_e32 v7, 3, v3
	v_subrev_u32_e32 v11, 28, v10
	v_and_b32_e32 v7, 15, v7
	v_lshlrev_b32_e32 v3, v11, v3
	v_sub_u32_e32 v10, 29, v10
	v_and_b32_e32 v3, 7, v3
	v_cmp_eq_u16_e32 vcc, 0, v7
	v_cndmask_b32_e32 v3, v6, v3, vcc
	v_cndmask_b32_e32 v6, v7, v10, vcc
	v_lshlrev_b32_e32 v7, 16, v4
	v_mov_b32_e32 v10, 0x3b800000
	v_lshlrev_b32_e32 v3, 20, v3
	v_and_b32_e32 v7, 0x80000000, v7
	v_lshl_add_u32 v6, v6, 23, v10
	v_or3_b32 v6, v7, v6, v3
.LBB3_1744:
	s_or_b64 exec, exec, s[6:7]
	s_nop 0
	v_mfma_f32_16x16x4f32 a[0:3], v2, v6, a[0:3]
	s_movk_i32 s4, 0xff
	v_and_b32_sdwa v3, v8, s4 dst_sel:DWORD dst_unused:UNUSED_PAD src0_sel:WORD_1 src1_sel:DWORD
	s_movk_i32 s4, 0x7f
	v_cmp_lt_i16_e32 vcc, s4, v3
	s_mov_b64 s[4:5], 0
                                        ; implicit-def: $sgpr10
	s_and_saveexec_b64 s[6:7], vcc
	s_xor_b64 s[6:7], exec, s[6:7]
	s_cbranch_execnz .LBB3_3793
; %bb.1745:
	s_or_saveexec_b64 s[6:7], s[6:7]
	v_mov_b32_e32 v2, s10
	s_xor_b64 exec, exec, s[6:7]
	s_cbranch_execnz .LBB3_3796
.LBB3_1746:
	s_or_b64 exec, exec, s[6:7]
	s_and_saveexec_b64 s[6:7], s[4:5]
	s_cbranch_execz .LBB3_1748
.LBB3_1747:
	v_bfe_u32 v2, v8, 16, 3
	v_ffbh_u32_e32 v7, v2
	v_min_u32_e32 v7, 32, v7
	v_lshrrev_b32_e32 v3, 19, v8
	v_subrev_u32_e32 v10, 28, v7
	v_and_b32_e32 v3, 15, v3
	v_lshlrev_b32_sdwa v10, v10, v8 dst_sel:DWORD dst_unused:UNUSED_PAD src0_sel:DWORD src1_sel:WORD_1
	v_bfe_u32 v6, v8, 19, 4
	v_sub_u32_e32 v7, 29, v7
	v_and_b32_e32 v10, 7, v10
	v_cmp_eq_u16_e32 vcc, 0, v3
	v_cndmask_b32_e32 v2, v2, v10, vcc
	v_cndmask_b32_e32 v3, v6, v7, vcc
	v_lshlrev_b32_e32 v6, 8, v8
	v_mov_b32_e32 v7, 0x3b800000
	v_lshlrev_b32_e32 v2, 20, v2
	v_and_b32_e32 v6, 0x80000000, v6
	v_lshl_add_u32 v3, v3, 23, v7
	v_or3_b32 v2, v6, v3, v2
.LBB3_1748:
	s_or_b64 exec, exec, s[6:7]
	s_movk_i32 s4, 0xff
	v_and_b32_sdwa v3, v4, s4 dst_sel:DWORD dst_unused:UNUSED_PAD src0_sel:WORD_1 src1_sel:DWORD
	s_movk_i32 s4, 0x7f
	v_cmp_lt_i16_e32 vcc, s4, v3
	s_mov_b64 s[4:5], 0
                                        ; implicit-def: $sgpr10
	s_and_saveexec_b64 s[6:7], vcc
	s_xor_b64 s[6:7], exec, s[6:7]
	s_cbranch_execnz .LBB3_3797
; %bb.1749:
	s_or_saveexec_b64 s[6:7], s[6:7]
	v_mov_b32_e32 v6, s10
	s_xor_b64 exec, exec, s[6:7]
	s_cbranch_execnz .LBB3_3800
.LBB3_1750:
	s_or_b64 exec, exec, s[6:7]
	s_and_saveexec_b64 s[6:7], s[4:5]
	s_cbranch_execz .LBB3_1752
.LBB3_1751:
	v_bfe_u32 v3, v4, 16, 3
	v_ffbh_u32_e32 v10, v3
	v_min_u32_e32 v10, 32, v10
	v_lshrrev_b32_e32 v6, 19, v4
	v_subrev_u32_e32 v11, 28, v10
	v_and_b32_e32 v6, 15, v6
	v_lshlrev_b32_sdwa v11, v11, v4 dst_sel:DWORD dst_unused:UNUSED_PAD src0_sel:DWORD src1_sel:WORD_1
	v_bfe_u32 v7, v4, 19, 4
	v_sub_u32_e32 v10, 29, v10
	v_and_b32_e32 v11, 7, v11
	v_cmp_eq_u16_e32 vcc, 0, v6
	v_cndmask_b32_e32 v3, v3, v11, vcc
	v_cndmask_b32_e32 v6, v7, v10, vcc
	v_lshlrev_b32_e32 v7, 8, v4
	v_mov_b32_e32 v10, 0x3b800000
	v_lshlrev_b32_e32 v3, 20, v3
	v_and_b32_e32 v7, 0x80000000, v7
	v_lshl_add_u32 v6, v6, 23, v10
	v_or3_b32 v6, v7, v6, v3
.LBB3_1752:
	s_or_b64 exec, exec, s[6:7]
	s_nop 0
	v_mfma_f32_16x16x4f32 a[0:3], v2, v6, a[0:3]
	s_movk_i32 s4, 0x7f
	v_cmp_gt_i16_sdwa s[6:7], v8, s4 src0_sel:BYTE_3 src1_sel:DWORD
	s_mov_b64 s[4:5], 0
                                        ; implicit-def: $sgpr10
	s_and_saveexec_b64 s[8:9], s[6:7]
	s_xor_b64 s[6:7], exec, s[8:9]
	s_cbranch_execnz .LBB3_3801
; %bb.1753:
	s_or_saveexec_b64 s[6:7], s[6:7]
	v_mov_b32_e32 v2, s10
	s_xor_b64 exec, exec, s[6:7]
	s_cbranch_execnz .LBB3_3804
.LBB3_1754:
	s_or_b64 exec, exec, s[6:7]
	s_and_saveexec_b64 s[6:7], s[4:5]
	s_cbranch_execz .LBB3_1756
.LBB3_1755:
	v_bfe_u32 v2, v8, 24, 3
	v_ffbh_u32_e32 v10, v2
	v_min_u32_e32 v10, 32, v10
	v_lshrrev_b32_e32 v6, 27, v8
	v_subrev_u32_e32 v11, 28, v10
	v_and_b32_e32 v3, 0x80000000, v8
	v_and_b32_e32 v6, 15, v6
	v_bfe_u32 v7, v8, 27, 4
	v_lshlrev_b32_sdwa v8, v11, v8 dst_sel:DWORD dst_unused:UNUSED_PAD src0_sel:DWORD src1_sel:BYTE_3
	v_sub_u32_e32 v10, 29, v10
	v_and_b32_e32 v8, 7, v8
	v_cmp_eq_u16_e32 vcc, 0, v6
	v_cndmask_b32_e32 v2, v2, v8, vcc
	v_cndmask_b32_e32 v6, v7, v10, vcc
	v_mov_b32_e32 v7, 0x3b800000
	v_lshlrev_b32_e32 v2, 20, v2
	v_lshl_add_u32 v6, v6, 23, v7
	v_or3_b32 v2, v3, v6, v2
.LBB3_1756:
	s_or_b64 exec, exec, s[6:7]
	s_movk_i32 s4, 0x7f
	v_cmp_gt_i16_sdwa s[6:7], v4, s4 src0_sel:BYTE_3 src1_sel:DWORD
	s_mov_b64 s[4:5], 0
                                        ; implicit-def: $sgpr10
	s_and_saveexec_b64 s[8:9], s[6:7]
	s_xor_b64 s[6:7], exec, s[8:9]
	s_cbranch_execnz .LBB3_3805
; %bb.1757:
	s_or_saveexec_b64 s[6:7], s[6:7]
	v_mov_b32_e32 v3, s10
	s_xor_b64 exec, exec, s[6:7]
	s_cbranch_execnz .LBB3_3808
.LBB3_1758:
	s_or_b64 exec, exec, s[6:7]
	s_and_saveexec_b64 s[6:7], s[4:5]
	s_cbranch_execz .LBB3_1760
.LBB3_1759:
	v_bfe_u32 v3, v4, 24, 3
	v_ffbh_u32_e32 v10, v3
	v_min_u32_e32 v10, 32, v10
	v_lshrrev_b32_e32 v7, 27, v4
	v_subrev_u32_e32 v11, 28, v10
	v_and_b32_e32 v6, 0x80000000, v4
	v_and_b32_e32 v7, 15, v7
	v_bfe_u32 v8, v4, 27, 4
	v_lshlrev_b32_sdwa v4, v11, v4 dst_sel:DWORD dst_unused:UNUSED_PAD src0_sel:DWORD src1_sel:BYTE_3
	v_sub_u32_e32 v10, 29, v10
	v_and_b32_e32 v4, 7, v4
	v_cmp_eq_u16_e32 vcc, 0, v7
	v_cndmask_b32_e32 v3, v3, v4, vcc
	v_cndmask_b32_e32 v4, v8, v10, vcc
	v_mov_b32_e32 v7, 0x3b800000
	v_lshlrev_b32_e32 v3, 20, v3
	v_lshl_add_u32 v4, v4, 23, v7
	v_or3_b32 v3, v6, v4, v3
.LBB3_1760:
	s_or_b64 exec, exec, s[6:7]
	s_nop 0
	v_mfma_f32_16x16x4f32 a[0:3], v2, v3, a[0:3]
	s_movk_i32 s4, 0x7f
	v_cmp_gt_i16_sdwa s[6:7], v9, s4 src0_sel:BYTE_0 src1_sel:DWORD
	s_mov_b64 s[4:5], 0
                                        ; implicit-def: $sgpr10
	s_and_saveexec_b64 s[8:9], s[6:7]
	s_xor_b64 s[6:7], exec, s[8:9]
	s_cbranch_execnz .LBB3_3809
; %bb.1761:
	s_or_saveexec_b64 s[6:7], s[6:7]
	v_mov_b32_e32 v2, s10
	s_xor_b64 exec, exec, s[6:7]
	s_cbranch_execnz .LBB3_3812
.LBB3_1762:
	s_or_b64 exec, exec, s[6:7]
	s_and_saveexec_b64 s[6:7], s[4:5]
	s_cbranch_execz .LBB3_1764
.LBB3_1763:
	v_mov_b32_e32 v2, 8
	v_and_b32_e32 v3, 7, v9
	v_lshrrev_b32_sdwa v2, v2, v9 dst_sel:BYTE_1 dst_unused:UNUSED_PAD src0_sel:DWORD src1_sel:DWORD
	v_ffbh_u32_e32 v4, v3
	v_or_b32_sdwa v2, v9, v2 dst_sel:DWORD dst_unused:UNUSED_PAD src0_sel:BYTE_0 src1_sel:DWORD
	v_min_u32_e32 v4, 32, v4
	v_lshrrev_b16_e32 v2, 3, v2
	v_subrev_u32_e32 v6, 28, v4
	v_and_b32_e32 v2, 15, v2
	v_lshlrev_b32_e32 v6, v6, v9
	v_sub_u32_e32 v4, 29, v4
	v_and_b32_e32 v6, 7, v6
	v_cmp_eq_u16_e32 vcc, 0, v2
	v_cndmask_b32_e32 v3, v3, v6, vcc
	v_cndmask_b32_e32 v2, v2, v4, vcc
	v_lshlrev_b32_e32 v4, 24, v9
	v_mov_b32_e32 v6, 0x3b800000
	v_lshlrev_b32_e32 v3, 20, v3
	v_and_b32_e32 v4, 0x80000000, v4
	v_lshl_add_u32 v2, v2, 23, v6
	v_or3_b32 v2, v4, v2, v3
.LBB3_1764:
	s_or_b64 exec, exec, s[6:7]
	s_movk_i32 s4, 0x7f
	v_cmp_gt_i16_sdwa s[6:7], v5, s4 src0_sel:BYTE_0 src1_sel:DWORD
	s_mov_b64 s[4:5], 0
                                        ; implicit-def: $sgpr10
	s_and_saveexec_b64 s[8:9], s[6:7]
	s_xor_b64 s[6:7], exec, s[8:9]
	s_cbranch_execnz .LBB3_3813
; %bb.1765:
	s_or_saveexec_b64 s[6:7], s[6:7]
	v_mov_b32_e32 v3, s10
	s_xor_b64 exec, exec, s[6:7]
	s_cbranch_execnz .LBB3_3816
.LBB3_1766:
	s_or_b64 exec, exec, s[6:7]
	s_and_saveexec_b64 s[6:7], s[4:5]
	s_cbranch_execz .LBB3_1768
.LBB3_1767:
	v_mov_b32_e32 v3, 8
	v_and_b32_e32 v4, 7, v5
	v_lshrrev_b32_sdwa v3, v3, v5 dst_sel:BYTE_1 dst_unused:UNUSED_PAD src0_sel:DWORD src1_sel:DWORD
	v_ffbh_u32_e32 v6, v4
	v_or_b32_sdwa v3, v5, v3 dst_sel:DWORD dst_unused:UNUSED_PAD src0_sel:BYTE_0 src1_sel:DWORD
	v_min_u32_e32 v6, 32, v6
	v_lshrrev_b16_e32 v3, 3, v3
	v_subrev_u32_e32 v7, 28, v6
	v_and_b32_e32 v3, 15, v3
	v_lshlrev_b32_e32 v7, v7, v5
	v_sub_u32_e32 v6, 29, v6
	v_and_b32_e32 v7, 7, v7
	v_cmp_eq_u16_e32 vcc, 0, v3
	v_cndmask_b32_e32 v4, v4, v7, vcc
	v_cndmask_b32_e32 v3, v3, v6, vcc
	v_lshlrev_b32_e32 v6, 24, v5
	v_mov_b32_e32 v7, 0x3b800000
	v_lshlrev_b32_e32 v4, 20, v4
	v_and_b32_e32 v6, 0x80000000, v6
	v_lshl_add_u32 v3, v3, 23, v7
	v_or3_b32 v3, v6, v3, v4
.LBB3_1768:
	s_or_b64 exec, exec, s[6:7]
	s_nop 0
	v_mfma_f32_16x16x4f32 a[0:3], v2, v3, a[0:3]
	v_lshrrev_b32_e32 v3, 8, v9
	s_movk_i32 s4, 0x7f
	v_cmp_gt_i16_sdwa s[6:7], v3, s4 src0_sel:BYTE_0 src1_sel:DWORD
	s_mov_b64 s[4:5], 0
                                        ; implicit-def: $sgpr10
	s_and_saveexec_b64 s[8:9], s[6:7]
	s_xor_b64 s[6:7], exec, s[8:9]
	s_cbranch_execnz .LBB3_3817
; %bb.1769:
	s_or_saveexec_b64 s[6:7], s[6:7]
	v_mov_b32_e32 v2, s10
	s_xor_b64 exec, exec, s[6:7]
	s_cbranch_execnz .LBB3_3820
.LBB3_1770:
	s_or_b64 exec, exec, s[6:7]
	s_and_saveexec_b64 s[6:7], s[4:5]
	s_cbranch_execz .LBB3_1772
.LBB3_1771:
	v_bfe_u32 v2, v9, 8, 3
	v_ffbh_u32_e32 v6, v2
	v_min_u32_e32 v6, 32, v6
	v_lshrrev_b16_e32 v4, 3, v3
	v_subrev_u32_e32 v7, 28, v6
	v_and_b32_e32 v4, 15, v4
	v_lshlrev_b32_e32 v3, v7, v3
	v_sub_u32_e32 v6, 29, v6
	v_and_b32_e32 v3, 7, v3
	v_cmp_eq_u16_e32 vcc, 0, v4
	v_cndmask_b32_e32 v2, v2, v3, vcc
	v_cndmask_b32_e32 v3, v4, v6, vcc
	v_lshlrev_b32_e32 v4, 16, v9
	v_mov_b32_e32 v6, 0x3b800000
	v_lshlrev_b32_e32 v2, 20, v2
	v_and_b32_e32 v4, 0x80000000, v4
	v_lshl_add_u32 v3, v3, 23, v6
	v_or3_b32 v2, v4, v3, v2
.LBB3_1772:
	s_or_b64 exec, exec, s[6:7]
	v_lshrrev_b32_e32 v3, 8, v5
	s_movk_i32 s4, 0x7f
	v_cmp_gt_i16_sdwa s[6:7], v3, s4 src0_sel:BYTE_0 src1_sel:DWORD
	s_mov_b64 s[4:5], 0
                                        ; implicit-def: $sgpr10
	s_and_saveexec_b64 s[8:9], s[6:7]
	s_xor_b64 s[6:7], exec, s[8:9]
	s_cbranch_execnz .LBB3_3821
; %bb.1773:
	s_or_saveexec_b64 s[6:7], s[6:7]
	v_mov_b32_e32 v4, s10
	s_xor_b64 exec, exec, s[6:7]
	s_cbranch_execnz .LBB3_3824
.LBB3_1774:
	s_or_b64 exec, exec, s[6:7]
	s_and_saveexec_b64 s[6:7], s[4:5]
	s_cbranch_execz .LBB3_1776
.LBB3_1775:
	v_bfe_u32 v4, v5, 8, 3
	v_ffbh_u32_e32 v7, v4
	v_min_u32_e32 v7, 32, v7
	v_lshrrev_b16_e32 v6, 3, v3
	v_subrev_u32_e32 v8, 28, v7
	v_and_b32_e32 v6, 15, v6
	v_lshlrev_b32_e32 v3, v8, v3
	v_sub_u32_e32 v7, 29, v7
	v_and_b32_e32 v3, 7, v3
	v_cmp_eq_u16_e32 vcc, 0, v6
	v_cndmask_b32_e32 v3, v4, v3, vcc
	v_cndmask_b32_e32 v4, v6, v7, vcc
	v_lshlrev_b32_e32 v6, 16, v5
	v_mov_b32_e32 v7, 0x3b800000
	v_lshlrev_b32_e32 v3, 20, v3
	v_and_b32_e32 v6, 0x80000000, v6
	v_lshl_add_u32 v4, v4, 23, v7
	v_or3_b32 v4, v6, v4, v3
.LBB3_1776:
	s_or_b64 exec, exec, s[6:7]
	s_nop 0
	v_mfma_f32_16x16x4f32 a[0:3], v2, v4, a[0:3]
	s_movk_i32 s4, 0xff
	v_and_b32_sdwa v3, v9, s4 dst_sel:DWORD dst_unused:UNUSED_PAD src0_sel:WORD_1 src1_sel:DWORD
	s_movk_i32 s4, 0x7f
	v_cmp_lt_i16_e32 vcc, s4, v3
	s_mov_b64 s[4:5], 0
                                        ; implicit-def: $sgpr10
	s_and_saveexec_b64 s[6:7], vcc
	s_xor_b64 s[6:7], exec, s[6:7]
	s_cbranch_execnz .LBB3_3825
; %bb.1777:
	s_or_saveexec_b64 s[6:7], s[6:7]
	v_mov_b32_e32 v2, s10
	s_xor_b64 exec, exec, s[6:7]
	s_cbranch_execnz .LBB3_3828
.LBB3_1778:
	s_or_b64 exec, exec, s[6:7]
	s_and_saveexec_b64 s[6:7], s[4:5]
	s_cbranch_execz .LBB3_1780
.LBB3_1779:
	v_bfe_u32 v2, v9, 16, 3
	v_ffbh_u32_e32 v6, v2
	v_min_u32_e32 v6, 32, v6
	v_lshrrev_b32_e32 v3, 19, v9
	v_subrev_u32_e32 v7, 28, v6
	v_and_b32_e32 v3, 15, v3
	v_lshlrev_b32_sdwa v7, v7, v9 dst_sel:DWORD dst_unused:UNUSED_PAD src0_sel:DWORD src1_sel:WORD_1
	v_bfe_u32 v4, v9, 19, 4
	v_sub_u32_e32 v6, 29, v6
	v_and_b32_e32 v7, 7, v7
	v_cmp_eq_u16_e32 vcc, 0, v3
	v_cndmask_b32_e32 v2, v2, v7, vcc
	v_cndmask_b32_e32 v3, v4, v6, vcc
	v_lshlrev_b32_e32 v4, 8, v9
	v_mov_b32_e32 v6, 0x3b800000
	v_lshlrev_b32_e32 v2, 20, v2
	v_and_b32_e32 v4, 0x80000000, v4
	v_lshl_add_u32 v3, v3, 23, v6
	v_or3_b32 v2, v4, v3, v2
.LBB3_1780:
	s_or_b64 exec, exec, s[6:7]
	s_movk_i32 s4, 0xff
	v_and_b32_sdwa v3, v5, s4 dst_sel:DWORD dst_unused:UNUSED_PAD src0_sel:WORD_1 src1_sel:DWORD
	s_movk_i32 s4, 0x7f
	v_cmp_lt_i16_e32 vcc, s4, v3
	s_mov_b64 s[4:5], 0
                                        ; implicit-def: $sgpr10
	s_and_saveexec_b64 s[6:7], vcc
	s_xor_b64 s[6:7], exec, s[6:7]
	s_cbranch_execnz .LBB3_3829
; %bb.1781:
	s_or_saveexec_b64 s[6:7], s[6:7]
	v_mov_b32_e32 v4, s10
	s_xor_b64 exec, exec, s[6:7]
	s_cbranch_execnz .LBB3_3832
.LBB3_1782:
	s_or_b64 exec, exec, s[6:7]
	s_and_saveexec_b64 s[6:7], s[4:5]
	s_cbranch_execz .LBB3_1784
.LBB3_1783:
	v_bfe_u32 v3, v5, 16, 3
	v_ffbh_u32_e32 v7, v3
	v_min_u32_e32 v7, 32, v7
	v_lshrrev_b32_e32 v4, 19, v5
	v_subrev_u32_e32 v8, 28, v7
	v_and_b32_e32 v4, 15, v4
	v_lshlrev_b32_sdwa v8, v8, v5 dst_sel:DWORD dst_unused:UNUSED_PAD src0_sel:DWORD src1_sel:WORD_1
	v_bfe_u32 v6, v5, 19, 4
	v_sub_u32_e32 v7, 29, v7
	v_and_b32_e32 v8, 7, v8
	v_cmp_eq_u16_e32 vcc, 0, v4
	v_cndmask_b32_e32 v3, v3, v8, vcc
	v_cndmask_b32_e32 v4, v6, v7, vcc
	v_lshlrev_b32_e32 v6, 8, v5
	v_mov_b32_e32 v7, 0x3b800000
	v_lshlrev_b32_e32 v3, 20, v3
	v_and_b32_e32 v6, 0x80000000, v6
	v_lshl_add_u32 v4, v4, 23, v7
	v_or3_b32 v4, v6, v4, v3
.LBB3_1784:
	s_or_b64 exec, exec, s[6:7]
	s_nop 0
	v_mfma_f32_16x16x4f32 a[0:3], v2, v4, a[0:3]
	s_movk_i32 s4, 0x7f
	v_cmp_gt_i16_sdwa s[6:7], v9, s4 src0_sel:BYTE_3 src1_sel:DWORD
	s_mov_b64 s[4:5], 0
                                        ; implicit-def: $sgpr10
	s_and_saveexec_b64 s[8:9], s[6:7]
	s_xor_b64 s[6:7], exec, s[8:9]
	s_cbranch_execnz .LBB3_3833
; %bb.1785:
	s_or_saveexec_b64 s[6:7], s[6:7]
	v_mov_b32_e32 v2, s10
	s_xor_b64 exec, exec, s[6:7]
	s_cbranch_execnz .LBB3_3836
.LBB3_1786:
	s_or_b64 exec, exec, s[6:7]
	s_and_saveexec_b64 s[6:7], s[4:5]
	s_cbranch_execz .LBB3_1788
.LBB3_1787:
	v_bfe_u32 v2, v9, 24, 3
	v_ffbh_u32_e32 v7, v2
	v_min_u32_e32 v7, 32, v7
	v_lshrrev_b32_e32 v4, 27, v9
	v_subrev_u32_e32 v8, 28, v7
	v_and_b32_e32 v4, 15, v4
	v_lshlrev_b32_sdwa v8, v8, v9 dst_sel:DWORD dst_unused:UNUSED_PAD src0_sel:DWORD src1_sel:BYTE_3
	v_bfe_u32 v6, v9, 27, 4
	v_sub_u32_e32 v7, 29, v7
	v_and_b32_e32 v8, 7, v8
	v_cmp_eq_u16_e32 vcc, 0, v4
	v_cndmask_b32_e32 v2, v2, v8, vcc
	v_cndmask_b32_e32 v4, v6, v7, vcc
	v_mov_b32_e32 v6, 0x3b800000
	v_and_b32_e32 v3, 0x80000000, v9
	v_lshlrev_b32_e32 v2, 20, v2
	v_lshl_add_u32 v4, v4, 23, v6
	v_or3_b32 v2, v3, v4, v2
.LBB3_1788:
	s_or_b64 exec, exec, s[6:7]
	s_movk_i32 s4, 0x7f
	v_cmp_gt_i16_sdwa s[6:7], v5, s4 src0_sel:BYTE_3 src1_sel:DWORD
	s_mov_b64 s[4:5], 0
                                        ; implicit-def: $sgpr10
	s_and_saveexec_b64 s[8:9], s[6:7]
	s_xor_b64 s[6:7], exec, s[8:9]
	s_cbranch_execnz .LBB3_3837
; %bb.1789:
	s_or_saveexec_b64 s[6:7], s[6:7]
	v_mov_b32_e32 v3, s10
	s_xor_b64 exec, exec, s[6:7]
	s_cbranch_execnz .LBB3_3840
.LBB3_1790:
	s_or_b64 exec, exec, s[6:7]
	s_and_saveexec_b64 s[6:7], s[4:5]
	s_cbranch_execz .LBB3_1792
.LBB3_1791:
	v_bfe_u32 v3, v5, 24, 3
	v_ffbh_u32_e32 v8, v3
	v_min_u32_e32 v8, 32, v8
	v_lshrrev_b32_e32 v6, 27, v5
	v_subrev_u32_e32 v9, 28, v8
	v_and_b32_e32 v4, 0x80000000, v5
	v_and_b32_e32 v6, 15, v6
	v_bfe_u32 v7, v5, 27, 4
	v_lshlrev_b32_sdwa v5, v9, v5 dst_sel:DWORD dst_unused:UNUSED_PAD src0_sel:DWORD src1_sel:BYTE_3
	v_sub_u32_e32 v8, 29, v8
	v_and_b32_e32 v5, 7, v5
	v_cmp_eq_u16_e32 vcc, 0, v6
	v_cndmask_b32_e32 v3, v3, v5, vcc
	v_cndmask_b32_e32 v5, v7, v8, vcc
	v_mov_b32_e32 v6, 0x3b800000
	v_lshlrev_b32_e32 v3, 20, v3
	v_lshl_add_u32 v5, v5, 23, v6
	v_or3_b32 v3, v4, v5, v3
.LBB3_1792:
	s_or_b64 exec, exec, s[6:7]
	s_nop 0
	v_mfma_f32_16x16x4f32 a[0:3], v2, v3, a[0:3]
	s_movk_i32 s4, 0x7f
                                        ; implicit-def: $sgpr10
	s_nop 7
	s_nop 1
	flat_store_dwordx4 v[18:19], a[0:3] offset:224
	flat_load_dwordx4 v[18:21], v[0:1] offset:16
	s_nop 0
	flat_load_dwordx2 v[16:17], v[0:1] offset:32
	s_waitcnt vmcnt(0) lgkmcnt(0)
	flat_load_dwordx4 v[12:15], v[18:19] offset:32
	flat_load_dwordx4 v[4:7], v[18:19] offset:48
	;; [unrolled: 1-line block ×4, first 2 shown]
	s_waitcnt vmcnt(0) lgkmcnt(0)
	v_cmp_gt_i16_sdwa s[6:7], v12, s4 src0_sel:BYTE_0 src1_sel:DWORD
	s_mov_b64 s[4:5], 0
	s_and_saveexec_b64 s[8:9], s[6:7]
	s_xor_b64 s[6:7], exec, s[8:9]
	s_cbranch_execnz .LBB3_3841
; %bb.1793:
	s_or_saveexec_b64 s[6:7], s[6:7]
	v_mov_b32_e32 v18, s10
	s_xor_b64 exec, exec, s[6:7]
	s_cbranch_execnz .LBB3_3844
.LBB3_1794:
	s_or_b64 exec, exec, s[6:7]
	s_and_saveexec_b64 s[6:7], s[4:5]
	s_cbranch_execz .LBB3_1796
.LBB3_1795:
	v_and_b32_e32 v18, 7, v12
	v_ffbh_u32_e32 v20, v18
	v_min_u32_e32 v20, 32, v20
	v_lshrrev_b16_e32 v19, 3, v12
	v_subrev_u32_e32 v21, 28, v20
	v_and_b32_e32 v19, 15, v19
	v_lshlrev_b32_e32 v21, v21, v12
	v_sub_u32_e32 v20, 29, v20
	v_and_b32_e32 v21, 7, v21
	v_cmp_eq_u16_e32 vcc, 0, v19
	v_cndmask_b32_e32 v18, v18, v21, vcc
	v_cndmask_b32_e32 v19, v19, v20, vcc
	v_lshlrev_b32_e32 v20, 24, v12
	v_mov_b32_e32 v21, 0x3b800000
	v_lshlrev_b32_e32 v18, 20, v18
	v_and_b32_e32 v20, 0x80000000, v20
	v_lshl_add_u32 v19, v19, 23, v21
	v_or3_b32 v18, v20, v19, v18
.LBB3_1796:
	s_or_b64 exec, exec, s[6:7]
	s_movk_i32 s4, 0x7f
	v_cmp_gt_i16_sdwa s[6:7], v8, s4 src0_sel:BYTE_0 src1_sel:DWORD
	s_mov_b64 s[4:5], 0
                                        ; implicit-def: $sgpr10
	s_and_saveexec_b64 s[8:9], s[6:7]
	s_xor_b64 s[6:7], exec, s[8:9]
	s_cbranch_execnz .LBB3_3845
; %bb.1797:
	s_or_saveexec_b64 s[6:7], s[6:7]
	v_mov_b32_e32 v19, s10
	s_xor_b64 exec, exec, s[6:7]
	s_cbranch_execnz .LBB3_3848
.LBB3_1798:
	s_or_b64 exec, exec, s[6:7]
	s_and_saveexec_b64 s[6:7], s[4:5]
	s_cbranch_execz .LBB3_1800
.LBB3_1799:
	v_and_b32_e32 v19, 7, v8
	v_ffbh_u32_e32 v21, v19
	v_min_u32_e32 v21, 32, v21
	v_lshrrev_b16_e32 v20, 3, v8
	v_subrev_u32_e32 v22, 28, v21
	v_and_b32_e32 v20, 15, v20
	v_lshlrev_b32_e32 v22, v22, v8
	v_sub_u32_e32 v21, 29, v21
	v_and_b32_e32 v22, 7, v22
	v_cmp_eq_u16_e32 vcc, 0, v20
	v_cndmask_b32_e32 v19, v19, v22, vcc
	v_cndmask_b32_e32 v20, v20, v21, vcc
	v_lshlrev_b32_e32 v21, 24, v8
	v_mov_b32_e32 v22, 0x3b800000
	v_lshlrev_b32_e32 v19, 20, v19
	v_and_b32_e32 v21, 0x80000000, v21
	v_lshl_add_u32 v20, v20, 23, v22
	v_or3_b32 v19, v21, v20, v19
.LBB3_1800:
	s_or_b64 exec, exec, s[6:7]
	flat_load_dwordx4 a[0:3], v[16:17] offset:240
	s_movk_i32 s4, 0x7f
                                        ; implicit-def: $sgpr10
	s_waitcnt vmcnt(0) lgkmcnt(0)
	v_mfma_f32_16x16x4f32 a[0:3], v18, v19, a[0:3]
	v_lshrrev_b32_e32 v19, 8, v12
	v_cmp_gt_i16_sdwa s[6:7], v19, s4 src0_sel:BYTE_0 src1_sel:DWORD
	s_mov_b64 s[4:5], 0
	s_and_saveexec_b64 s[8:9], s[6:7]
	s_xor_b64 s[6:7], exec, s[8:9]
	s_cbranch_execnz .LBB3_3849
; %bb.1801:
	s_or_saveexec_b64 s[6:7], s[6:7]
	v_mov_b32_e32 v18, s10
	s_xor_b64 exec, exec, s[6:7]
	s_cbranch_execnz .LBB3_3852
.LBB3_1802:
	s_or_b64 exec, exec, s[6:7]
	s_and_saveexec_b64 s[6:7], s[4:5]
	s_cbranch_execz .LBB3_1804
.LBB3_1803:
	v_bfe_u32 v18, v12, 8, 3
	v_ffbh_u32_e32 v21, v18
	v_min_u32_e32 v21, 32, v21
	v_lshrrev_b16_e32 v20, 3, v19
	v_subrev_u32_e32 v22, 28, v21
	v_and_b32_e32 v20, 15, v20
	v_lshlrev_b32_e32 v19, v22, v19
	v_sub_u32_e32 v21, 29, v21
	v_and_b32_e32 v19, 7, v19
	v_cmp_eq_u16_e32 vcc, 0, v20
	v_cndmask_b32_e32 v18, v18, v19, vcc
	v_cndmask_b32_e32 v19, v20, v21, vcc
	v_lshlrev_b32_e32 v20, 16, v12
	v_mov_b32_e32 v21, 0x3b800000
	v_lshlrev_b32_e32 v18, 20, v18
	v_and_b32_e32 v20, 0x80000000, v20
	v_lshl_add_u32 v19, v19, 23, v21
	v_or3_b32 v18, v20, v19, v18
.LBB3_1804:
	s_or_b64 exec, exec, s[6:7]
	v_lshrrev_b32_e32 v19, 8, v8
	s_movk_i32 s4, 0x7f
	v_cmp_gt_i16_sdwa s[6:7], v19, s4 src0_sel:BYTE_0 src1_sel:DWORD
	s_mov_b64 s[4:5], 0
                                        ; implicit-def: $sgpr10
	s_and_saveexec_b64 s[8:9], s[6:7]
	s_xor_b64 s[6:7], exec, s[8:9]
	s_cbranch_execnz .LBB3_3853
; %bb.1805:
	s_or_saveexec_b64 s[6:7], s[6:7]
	v_mov_b32_e32 v20, s10
	s_xor_b64 exec, exec, s[6:7]
	s_cbranch_execnz .LBB3_3856
.LBB3_1806:
	s_or_b64 exec, exec, s[6:7]
	s_and_saveexec_b64 s[6:7], s[4:5]
	s_cbranch_execz .LBB3_1808
.LBB3_1807:
	v_bfe_u32 v20, v8, 8, 3
	v_ffbh_u32_e32 v22, v20
	v_min_u32_e32 v22, 32, v22
	v_lshrrev_b16_e32 v21, 3, v19
	v_subrev_u32_e32 v23, 28, v22
	v_and_b32_e32 v21, 15, v21
	v_lshlrev_b32_e32 v19, v23, v19
	v_sub_u32_e32 v22, 29, v22
	v_and_b32_e32 v19, 7, v19
	v_cmp_eq_u16_e32 vcc, 0, v21
	v_cndmask_b32_e32 v19, v20, v19, vcc
	v_cndmask_b32_e32 v20, v21, v22, vcc
	v_lshlrev_b32_e32 v21, 16, v8
	v_mov_b32_e32 v22, 0x3b800000
	v_lshlrev_b32_e32 v19, 20, v19
	v_and_b32_e32 v21, 0x80000000, v21
	v_lshl_add_u32 v20, v20, 23, v22
	v_or3_b32 v20, v21, v20, v19
.LBB3_1808:
	s_or_b64 exec, exec, s[6:7]
	s_nop 0
	v_mfma_f32_16x16x4f32 a[0:3], v18, v20, a[0:3]
	s_movk_i32 s4, 0xff
	v_and_b32_sdwa v19, v12, s4 dst_sel:DWORD dst_unused:UNUSED_PAD src0_sel:WORD_1 src1_sel:DWORD
	s_movk_i32 s4, 0x7f
	v_cmp_lt_i16_e32 vcc, s4, v19
	s_mov_b64 s[4:5], 0
                                        ; implicit-def: $sgpr10
	s_and_saveexec_b64 s[6:7], vcc
	s_xor_b64 s[6:7], exec, s[6:7]
	s_cbranch_execnz .LBB3_3857
; %bb.1809:
	s_or_saveexec_b64 s[6:7], s[6:7]
	v_mov_b32_e32 v18, s10
	s_xor_b64 exec, exec, s[6:7]
	s_cbranch_execnz .LBB3_3860
.LBB3_1810:
	s_or_b64 exec, exec, s[6:7]
	s_and_saveexec_b64 s[6:7], s[4:5]
	s_cbranch_execz .LBB3_1812
.LBB3_1811:
	v_bfe_u32 v18, v12, 16, 3
	v_ffbh_u32_e32 v21, v18
	v_min_u32_e32 v21, 32, v21
	v_lshrrev_b32_e32 v19, 19, v12
	v_subrev_u32_e32 v22, 28, v21
	v_and_b32_e32 v19, 15, v19
	v_lshlrev_b32_sdwa v22, v22, v12 dst_sel:DWORD dst_unused:UNUSED_PAD src0_sel:DWORD src1_sel:WORD_1
	v_bfe_u32 v20, v12, 19, 4
	v_sub_u32_e32 v21, 29, v21
	v_and_b32_e32 v22, 7, v22
	v_cmp_eq_u16_e32 vcc, 0, v19
	v_cndmask_b32_e32 v18, v18, v22, vcc
	v_cndmask_b32_e32 v19, v20, v21, vcc
	v_lshlrev_b32_e32 v20, 8, v12
	v_mov_b32_e32 v21, 0x3b800000
	v_lshlrev_b32_e32 v18, 20, v18
	v_and_b32_e32 v20, 0x80000000, v20
	v_lshl_add_u32 v19, v19, 23, v21
	v_or3_b32 v18, v20, v19, v18
.LBB3_1812:
	s_or_b64 exec, exec, s[6:7]
	s_movk_i32 s4, 0xff
	v_and_b32_sdwa v19, v8, s4 dst_sel:DWORD dst_unused:UNUSED_PAD src0_sel:WORD_1 src1_sel:DWORD
	s_movk_i32 s4, 0x7f
	v_cmp_lt_i16_e32 vcc, s4, v19
	s_mov_b64 s[4:5], 0
                                        ; implicit-def: $sgpr10
	s_and_saveexec_b64 s[6:7], vcc
	s_xor_b64 s[6:7], exec, s[6:7]
	s_cbranch_execnz .LBB3_3861
; %bb.1813:
	s_or_saveexec_b64 s[6:7], s[6:7]
	v_mov_b32_e32 v20, s10
	s_xor_b64 exec, exec, s[6:7]
	s_cbranch_execnz .LBB3_3864
.LBB3_1814:
	s_or_b64 exec, exec, s[6:7]
	s_and_saveexec_b64 s[6:7], s[4:5]
	s_cbranch_execz .LBB3_1816
.LBB3_1815:
	v_bfe_u32 v19, v8, 16, 3
	v_ffbh_u32_e32 v22, v19
	v_min_u32_e32 v22, 32, v22
	v_lshrrev_b32_e32 v20, 19, v8
	v_subrev_u32_e32 v23, 28, v22
	v_and_b32_e32 v20, 15, v20
	v_lshlrev_b32_sdwa v23, v23, v8 dst_sel:DWORD dst_unused:UNUSED_PAD src0_sel:DWORD src1_sel:WORD_1
	v_bfe_u32 v21, v8, 19, 4
	v_sub_u32_e32 v22, 29, v22
	v_and_b32_e32 v23, 7, v23
	v_cmp_eq_u16_e32 vcc, 0, v20
	v_cndmask_b32_e32 v19, v19, v23, vcc
	v_cndmask_b32_e32 v20, v21, v22, vcc
	v_lshlrev_b32_e32 v21, 8, v8
	v_mov_b32_e32 v22, 0x3b800000
	v_lshlrev_b32_e32 v19, 20, v19
	v_and_b32_e32 v21, 0x80000000, v21
	v_lshl_add_u32 v20, v20, 23, v22
	v_or3_b32 v20, v21, v20, v19
.LBB3_1816:
	s_or_b64 exec, exec, s[6:7]
	s_nop 0
	v_mfma_f32_16x16x4f32 a[0:3], v18, v20, a[0:3]
	s_movk_i32 s4, 0x7f
	v_cmp_gt_i16_sdwa s[6:7], v12, s4 src0_sel:BYTE_3 src1_sel:DWORD
	s_mov_b64 s[4:5], 0
                                        ; implicit-def: $sgpr10
	s_and_saveexec_b64 s[8:9], s[6:7]
	s_xor_b64 s[6:7], exec, s[8:9]
	s_cbranch_execnz .LBB3_3865
; %bb.1817:
	s_or_saveexec_b64 s[6:7], s[6:7]
	v_mov_b32_e32 v18, s10
	s_xor_b64 exec, exec, s[6:7]
	s_cbranch_execnz .LBB3_3868
.LBB3_1818:
	s_or_b64 exec, exec, s[6:7]
	s_and_saveexec_b64 s[6:7], s[4:5]
	s_cbranch_execz .LBB3_1820
.LBB3_1819:
	v_bfe_u32 v18, v12, 24, 3
	v_ffbh_u32_e32 v22, v18
	v_min_u32_e32 v22, 32, v22
	v_lshrrev_b32_e32 v20, 27, v12
	v_subrev_u32_e32 v23, 28, v22
	v_and_b32_e32 v19, 0x80000000, v12
	v_and_b32_e32 v20, 15, v20
	v_bfe_u32 v21, v12, 27, 4
	v_lshlrev_b32_sdwa v12, v23, v12 dst_sel:DWORD dst_unused:UNUSED_PAD src0_sel:DWORD src1_sel:BYTE_3
	v_sub_u32_e32 v22, 29, v22
	v_and_b32_e32 v12, 7, v12
	v_cmp_eq_u16_e32 vcc, 0, v20
	v_cndmask_b32_e32 v12, v18, v12, vcc
	v_cndmask_b32_e32 v18, v21, v22, vcc
	v_mov_b32_e32 v20, 0x3b800000
	v_lshlrev_b32_e32 v12, 20, v12
	v_lshl_add_u32 v18, v18, 23, v20
	v_or3_b32 v18, v19, v18, v12
.LBB3_1820:
	s_or_b64 exec, exec, s[6:7]
	s_movk_i32 s4, 0x7f
	v_cmp_gt_i16_sdwa s[6:7], v8, s4 src0_sel:BYTE_3 src1_sel:DWORD
	s_mov_b64 s[4:5], 0
                                        ; implicit-def: $sgpr10
	s_and_saveexec_b64 s[8:9], s[6:7]
	s_xor_b64 s[6:7], exec, s[8:9]
	s_cbranch_execnz .LBB3_3869
; %bb.1821:
	s_or_saveexec_b64 s[6:7], s[6:7]
	v_mov_b32_e32 v12, s10
	s_xor_b64 exec, exec, s[6:7]
	s_cbranch_execnz .LBB3_3872
.LBB3_1822:
	s_or_b64 exec, exec, s[6:7]
	s_and_saveexec_b64 s[6:7], s[4:5]
	s_cbranch_execz .LBB3_1824
.LBB3_1823:
	v_bfe_u32 v12, v8, 24, 3
	v_ffbh_u32_e32 v22, v12
	v_min_u32_e32 v22, 32, v22
	v_lshrrev_b32_e32 v20, 27, v8
	v_subrev_u32_e32 v23, 28, v22
	v_and_b32_e32 v19, 0x80000000, v8
	v_and_b32_e32 v20, 15, v20
	v_bfe_u32 v21, v8, 27, 4
	v_lshlrev_b32_sdwa v8, v23, v8 dst_sel:DWORD dst_unused:UNUSED_PAD src0_sel:DWORD src1_sel:BYTE_3
	v_sub_u32_e32 v22, 29, v22
	v_and_b32_e32 v8, 7, v8
	v_cmp_eq_u16_e32 vcc, 0, v20
	v_cndmask_b32_e32 v8, v12, v8, vcc
	v_cndmask_b32_e32 v12, v21, v22, vcc
	v_mov_b32_e32 v20, 0x3b800000
	v_lshlrev_b32_e32 v8, 20, v8
	v_lshl_add_u32 v12, v12, 23, v20
	v_or3_b32 v12, v19, v12, v8
.LBB3_1824:
	s_or_b64 exec, exec, s[6:7]
	s_nop 0
	v_mfma_f32_16x16x4f32 a[0:3], v18, v12, a[0:3]
	s_movk_i32 s4, 0x7f
	v_cmp_gt_i16_sdwa s[6:7], v13, s4 src0_sel:BYTE_0 src1_sel:DWORD
	s_mov_b64 s[4:5], 0
                                        ; implicit-def: $sgpr10
	s_and_saveexec_b64 s[8:9], s[6:7]
	s_xor_b64 s[6:7], exec, s[8:9]
	s_cbranch_execnz .LBB3_3873
; %bb.1825:
	s_or_saveexec_b64 s[6:7], s[6:7]
	v_mov_b32_e32 v8, s10
	s_xor_b64 exec, exec, s[6:7]
	s_cbranch_execnz .LBB3_3876
.LBB3_1826:
	s_or_b64 exec, exec, s[6:7]
	s_and_saveexec_b64 s[6:7], s[4:5]
	s_cbranch_execz .LBB3_1828
.LBB3_1827:
	v_and_b32_e32 v8, 7, v13
	v_ffbh_u32_e32 v18, v8
	v_min_u32_e32 v18, 32, v18
	v_lshrrev_b16_e32 v12, 3, v13
	v_subrev_u32_e32 v19, 28, v18
	v_and_b32_e32 v12, 15, v12
	v_lshlrev_b32_e32 v19, v19, v13
	v_sub_u32_e32 v18, 29, v18
	v_and_b32_e32 v19, 7, v19
	v_cmp_eq_u16_e32 vcc, 0, v12
	v_cndmask_b32_e32 v8, v8, v19, vcc
	v_cndmask_b32_e32 v12, v12, v18, vcc
	v_lshlrev_b32_e32 v18, 24, v13
	v_mov_b32_e32 v19, 0x3b800000
	v_lshlrev_b32_e32 v8, 20, v8
	v_and_b32_e32 v18, 0x80000000, v18
	v_lshl_add_u32 v12, v12, 23, v19
	v_or3_b32 v8, v18, v12, v8
.LBB3_1828:
	s_or_b64 exec, exec, s[6:7]
	s_movk_i32 s4, 0x7f
	v_cmp_gt_i16_sdwa s[6:7], v9, s4 src0_sel:BYTE_0 src1_sel:DWORD
	s_mov_b64 s[4:5], 0
                                        ; implicit-def: $sgpr10
	s_and_saveexec_b64 s[8:9], s[6:7]
	s_xor_b64 s[6:7], exec, s[8:9]
	s_cbranch_execnz .LBB3_3877
; %bb.1829:
	s_or_saveexec_b64 s[6:7], s[6:7]
	v_mov_b32_e32 v12, s10
	s_xor_b64 exec, exec, s[6:7]
	s_cbranch_execnz .LBB3_3880
.LBB3_1830:
	s_or_b64 exec, exec, s[6:7]
	s_and_saveexec_b64 s[6:7], s[4:5]
	s_cbranch_execz .LBB3_1832
.LBB3_1831:
	v_and_b32_e32 v12, 7, v9
	v_ffbh_u32_e32 v19, v12
	v_min_u32_e32 v19, 32, v19
	v_lshrrev_b16_e32 v18, 3, v9
	v_subrev_u32_e32 v20, 28, v19
	v_and_b32_e32 v18, 15, v18
	v_lshlrev_b32_e32 v20, v20, v9
	v_sub_u32_e32 v19, 29, v19
	v_and_b32_e32 v20, 7, v20
	v_cmp_eq_u16_e32 vcc, 0, v18
	v_cndmask_b32_e32 v12, v12, v20, vcc
	v_cndmask_b32_e32 v18, v18, v19, vcc
	v_lshlrev_b32_e32 v19, 24, v9
	v_mov_b32_e32 v20, 0x3b800000
	v_lshlrev_b32_e32 v12, 20, v12
	v_and_b32_e32 v19, 0x80000000, v19
	v_lshl_add_u32 v18, v18, 23, v20
	v_or3_b32 v12, v19, v18, v12
.LBB3_1832:
	s_or_b64 exec, exec, s[6:7]
	s_nop 0
	v_mfma_f32_16x16x4f32 a[0:3], v8, v12, a[0:3]
	v_lshrrev_b32_e32 v12, 8, v13
	s_movk_i32 s4, 0x7f
	v_cmp_gt_i16_sdwa s[6:7], v12, s4 src0_sel:BYTE_0 src1_sel:DWORD
	s_mov_b64 s[4:5], 0
                                        ; implicit-def: $sgpr10
	s_and_saveexec_b64 s[8:9], s[6:7]
	s_xor_b64 s[6:7], exec, s[8:9]
	s_cbranch_execnz .LBB3_3881
; %bb.1833:
	s_or_saveexec_b64 s[6:7], s[6:7]
	v_mov_b32_e32 v8, s10
	s_xor_b64 exec, exec, s[6:7]
	s_cbranch_execnz .LBB3_3884
.LBB3_1834:
	s_or_b64 exec, exec, s[6:7]
	s_and_saveexec_b64 s[6:7], s[4:5]
	s_cbranch_execz .LBB3_1836
.LBB3_1835:
	v_bfe_u32 v8, v13, 8, 3
	v_ffbh_u32_e32 v19, v8
	v_min_u32_e32 v19, 32, v19
	v_lshrrev_b16_e32 v18, 3, v12
	v_subrev_u32_e32 v20, 28, v19
	v_and_b32_e32 v18, 15, v18
	v_lshlrev_b32_e32 v12, v20, v12
	v_sub_u32_e32 v19, 29, v19
	v_and_b32_e32 v12, 7, v12
	v_cmp_eq_u16_e32 vcc, 0, v18
	v_cndmask_b32_e32 v8, v8, v12, vcc
	v_cndmask_b32_e32 v12, v18, v19, vcc
	v_lshlrev_b32_e32 v18, 16, v13
	v_mov_b32_e32 v19, 0x3b800000
	v_lshlrev_b32_e32 v8, 20, v8
	v_and_b32_e32 v18, 0x80000000, v18
	v_lshl_add_u32 v12, v12, 23, v19
	v_or3_b32 v8, v18, v12, v8
.LBB3_1836:
	s_or_b64 exec, exec, s[6:7]
	v_lshrrev_b32_e32 v12, 8, v9
	s_movk_i32 s4, 0x7f
	v_cmp_gt_i16_sdwa s[6:7], v12, s4 src0_sel:BYTE_0 src1_sel:DWORD
	s_mov_b64 s[4:5], 0
                                        ; implicit-def: $sgpr10
	s_and_saveexec_b64 s[8:9], s[6:7]
	s_xor_b64 s[6:7], exec, s[8:9]
	s_cbranch_execnz .LBB3_3885
; %bb.1837:
	s_or_saveexec_b64 s[6:7], s[6:7]
	v_mov_b32_e32 v18, s10
	s_xor_b64 exec, exec, s[6:7]
	s_cbranch_execnz .LBB3_3888
.LBB3_1838:
	s_or_b64 exec, exec, s[6:7]
	s_and_saveexec_b64 s[6:7], s[4:5]
	s_cbranch_execz .LBB3_1840
.LBB3_1839:
	v_bfe_u32 v18, v9, 8, 3
	v_ffbh_u32_e32 v20, v18
	v_min_u32_e32 v20, 32, v20
	v_lshrrev_b16_e32 v19, 3, v12
	v_subrev_u32_e32 v21, 28, v20
	v_and_b32_e32 v19, 15, v19
	v_lshlrev_b32_e32 v12, v21, v12
	v_sub_u32_e32 v20, 29, v20
	v_and_b32_e32 v12, 7, v12
	v_cmp_eq_u16_e32 vcc, 0, v19
	v_cndmask_b32_e32 v12, v18, v12, vcc
	v_cndmask_b32_e32 v18, v19, v20, vcc
	v_lshlrev_b32_e32 v19, 16, v9
	v_mov_b32_e32 v20, 0x3b800000
	v_lshlrev_b32_e32 v12, 20, v12
	v_and_b32_e32 v19, 0x80000000, v19
	v_lshl_add_u32 v18, v18, 23, v20
	v_or3_b32 v18, v19, v18, v12
.LBB3_1840:
	s_or_b64 exec, exec, s[6:7]
	s_nop 0
	v_mfma_f32_16x16x4f32 a[0:3], v8, v18, a[0:3]
	s_movk_i32 s4, 0xff
	v_and_b32_sdwa v12, v13, s4 dst_sel:DWORD dst_unused:UNUSED_PAD src0_sel:WORD_1 src1_sel:DWORD
	s_movk_i32 s4, 0x7f
	v_cmp_lt_i16_e32 vcc, s4, v12
	s_mov_b64 s[4:5], 0
                                        ; implicit-def: $sgpr10
	s_and_saveexec_b64 s[6:7], vcc
	s_xor_b64 s[6:7], exec, s[6:7]
	s_cbranch_execnz .LBB3_3889
; %bb.1841:
	s_or_saveexec_b64 s[6:7], s[6:7]
	v_mov_b32_e32 v8, s10
	s_xor_b64 exec, exec, s[6:7]
	s_cbranch_execnz .LBB3_3892
.LBB3_1842:
	s_or_b64 exec, exec, s[6:7]
	s_and_saveexec_b64 s[6:7], s[4:5]
	s_cbranch_execz .LBB3_1844
.LBB3_1843:
	v_bfe_u32 v8, v13, 16, 3
	v_ffbh_u32_e32 v19, v8
	v_min_u32_e32 v19, 32, v19
	v_lshrrev_b32_e32 v12, 19, v13
	v_subrev_u32_e32 v20, 28, v19
	v_and_b32_e32 v12, 15, v12
	v_lshlrev_b32_sdwa v20, v20, v13 dst_sel:DWORD dst_unused:UNUSED_PAD src0_sel:DWORD src1_sel:WORD_1
	v_bfe_u32 v18, v13, 19, 4
	v_sub_u32_e32 v19, 29, v19
	v_and_b32_e32 v20, 7, v20
	v_cmp_eq_u16_e32 vcc, 0, v12
	v_cndmask_b32_e32 v8, v8, v20, vcc
	v_cndmask_b32_e32 v12, v18, v19, vcc
	v_lshlrev_b32_e32 v18, 8, v13
	v_mov_b32_e32 v19, 0x3b800000
	v_lshlrev_b32_e32 v8, 20, v8
	v_and_b32_e32 v18, 0x80000000, v18
	v_lshl_add_u32 v12, v12, 23, v19
	v_or3_b32 v8, v18, v12, v8
.LBB3_1844:
	s_or_b64 exec, exec, s[6:7]
	s_movk_i32 s4, 0xff
	v_and_b32_sdwa v12, v9, s4 dst_sel:DWORD dst_unused:UNUSED_PAD src0_sel:WORD_1 src1_sel:DWORD
	s_movk_i32 s4, 0x7f
	v_cmp_lt_i16_e32 vcc, s4, v12
	s_mov_b64 s[4:5], 0
                                        ; implicit-def: $sgpr10
	s_and_saveexec_b64 s[6:7], vcc
	s_xor_b64 s[6:7], exec, s[6:7]
	s_cbranch_execnz .LBB3_3893
; %bb.1845:
	s_or_saveexec_b64 s[6:7], s[6:7]
	v_mov_b32_e32 v18, s10
	s_xor_b64 exec, exec, s[6:7]
	s_cbranch_execnz .LBB3_3896
.LBB3_1846:
	s_or_b64 exec, exec, s[6:7]
	s_and_saveexec_b64 s[6:7], s[4:5]
	s_cbranch_execz .LBB3_1848
.LBB3_1847:
	v_bfe_u32 v12, v9, 16, 3
	v_ffbh_u32_e32 v20, v12
	v_min_u32_e32 v20, 32, v20
	v_lshrrev_b32_e32 v18, 19, v9
	v_subrev_u32_e32 v21, 28, v20
	v_and_b32_e32 v18, 15, v18
	v_lshlrev_b32_sdwa v21, v21, v9 dst_sel:DWORD dst_unused:UNUSED_PAD src0_sel:DWORD src1_sel:WORD_1
	v_bfe_u32 v19, v9, 19, 4
	v_sub_u32_e32 v20, 29, v20
	v_and_b32_e32 v21, 7, v21
	v_cmp_eq_u16_e32 vcc, 0, v18
	v_cndmask_b32_e32 v12, v12, v21, vcc
	v_cndmask_b32_e32 v18, v19, v20, vcc
	v_lshlrev_b32_e32 v19, 8, v9
	v_mov_b32_e32 v20, 0x3b800000
	v_lshlrev_b32_e32 v12, 20, v12
	v_and_b32_e32 v19, 0x80000000, v19
	v_lshl_add_u32 v18, v18, 23, v20
	v_or3_b32 v18, v19, v18, v12
.LBB3_1848:
	s_or_b64 exec, exec, s[6:7]
	s_nop 0
	v_mfma_f32_16x16x4f32 a[0:3], v8, v18, a[0:3]
	s_movk_i32 s4, 0x7f
	v_cmp_gt_i16_sdwa s[6:7], v13, s4 src0_sel:BYTE_3 src1_sel:DWORD
	s_mov_b64 s[4:5], 0
                                        ; implicit-def: $sgpr10
	s_and_saveexec_b64 s[8:9], s[6:7]
	s_xor_b64 s[6:7], exec, s[8:9]
	s_cbranch_execnz .LBB3_3897
; %bb.1849:
	s_or_saveexec_b64 s[6:7], s[6:7]
	v_mov_b32_e32 v8, s10
	s_xor_b64 exec, exec, s[6:7]
	s_cbranch_execnz .LBB3_3900
.LBB3_1850:
	s_or_b64 exec, exec, s[6:7]
	s_and_saveexec_b64 s[6:7], s[4:5]
	s_cbranch_execz .LBB3_1852
.LBB3_1851:
	v_bfe_u32 v8, v13, 24, 3
	v_ffbh_u32_e32 v20, v8
	v_min_u32_e32 v20, 32, v20
	v_lshrrev_b32_e32 v18, 27, v13
	v_subrev_u32_e32 v21, 28, v20
	v_and_b32_e32 v12, 0x80000000, v13
	v_and_b32_e32 v18, 15, v18
	v_bfe_u32 v19, v13, 27, 4
	v_lshlrev_b32_sdwa v13, v21, v13 dst_sel:DWORD dst_unused:UNUSED_PAD src0_sel:DWORD src1_sel:BYTE_3
	v_sub_u32_e32 v20, 29, v20
	v_and_b32_e32 v13, 7, v13
	v_cmp_eq_u16_e32 vcc, 0, v18
	v_cndmask_b32_e32 v8, v8, v13, vcc
	v_cndmask_b32_e32 v13, v19, v20, vcc
	v_mov_b32_e32 v18, 0x3b800000
	v_lshlrev_b32_e32 v8, 20, v8
	v_lshl_add_u32 v13, v13, 23, v18
	v_or3_b32 v8, v12, v13, v8
.LBB3_1852:
	s_or_b64 exec, exec, s[6:7]
	s_movk_i32 s4, 0x7f
	v_cmp_gt_i16_sdwa s[6:7], v9, s4 src0_sel:BYTE_3 src1_sel:DWORD
	s_mov_b64 s[4:5], 0
                                        ; implicit-def: $sgpr10
	s_and_saveexec_b64 s[8:9], s[6:7]
	s_xor_b64 s[6:7], exec, s[8:9]
	s_cbranch_execnz .LBB3_3901
; %bb.1853:
	s_or_saveexec_b64 s[6:7], s[6:7]
	v_mov_b32_e32 v12, s10
	s_xor_b64 exec, exec, s[6:7]
	s_cbranch_execnz .LBB3_3904
.LBB3_1854:
	s_or_b64 exec, exec, s[6:7]
	s_and_saveexec_b64 s[6:7], s[4:5]
	s_cbranch_execz .LBB3_1856
.LBB3_1855:
	v_bfe_u32 v12, v9, 24, 3
	v_ffbh_u32_e32 v20, v12
	v_min_u32_e32 v20, 32, v20
	v_lshrrev_b32_e32 v18, 27, v9
	v_subrev_u32_e32 v21, 28, v20
	v_and_b32_e32 v13, 0x80000000, v9
	v_and_b32_e32 v18, 15, v18
	v_bfe_u32 v19, v9, 27, 4
	v_lshlrev_b32_sdwa v9, v21, v9 dst_sel:DWORD dst_unused:UNUSED_PAD src0_sel:DWORD src1_sel:BYTE_3
	v_sub_u32_e32 v20, 29, v20
	v_and_b32_e32 v9, 7, v9
	v_cmp_eq_u16_e32 vcc, 0, v18
	v_cndmask_b32_e32 v9, v12, v9, vcc
	v_cndmask_b32_e32 v12, v19, v20, vcc
	v_mov_b32_e32 v18, 0x3b800000
	v_lshlrev_b32_e32 v9, 20, v9
	v_lshl_add_u32 v12, v12, 23, v18
	v_or3_b32 v12, v13, v12, v9
.LBB3_1856:
	s_or_b64 exec, exec, s[6:7]
	s_nop 0
	v_mfma_f32_16x16x4f32 a[0:3], v8, v12, a[0:3]
	s_movk_i32 s4, 0x7f
	v_cmp_gt_i16_sdwa s[6:7], v14, s4 src0_sel:BYTE_0 src1_sel:DWORD
	s_mov_b64 s[4:5], 0
                                        ; implicit-def: $sgpr10
	s_and_saveexec_b64 s[8:9], s[6:7]
	s_xor_b64 s[6:7], exec, s[8:9]
	s_cbranch_execnz .LBB3_3905
; %bb.1857:
	s_or_saveexec_b64 s[6:7], s[6:7]
	v_mov_b32_e32 v8, s10
	s_xor_b64 exec, exec, s[6:7]
	s_cbranch_execnz .LBB3_3908
.LBB3_1858:
	s_or_b64 exec, exec, s[6:7]
	s_and_saveexec_b64 s[6:7], s[4:5]
	s_cbranch_execz .LBB3_1860
.LBB3_1859:
	v_and_b32_e32 v8, 7, v14
	v_ffbh_u32_e32 v12, v8
	v_min_u32_e32 v12, 32, v12
	v_lshrrev_b16_e32 v9, 3, v14
	v_subrev_u32_e32 v13, 28, v12
	v_and_b32_e32 v9, 15, v9
	v_lshlrev_b32_e32 v13, v13, v14
	v_sub_u32_e32 v12, 29, v12
	v_and_b32_e32 v13, 7, v13
	v_cmp_eq_u16_e32 vcc, 0, v9
	v_cndmask_b32_e32 v8, v8, v13, vcc
	v_cndmask_b32_e32 v9, v9, v12, vcc
	v_lshlrev_b32_e32 v12, 24, v14
	v_mov_b32_e32 v13, 0x3b800000
	v_lshlrev_b32_e32 v8, 20, v8
	v_and_b32_e32 v12, 0x80000000, v12
	v_lshl_add_u32 v9, v9, 23, v13
	v_or3_b32 v8, v12, v9, v8
.LBB3_1860:
	s_or_b64 exec, exec, s[6:7]
	s_movk_i32 s4, 0x7f
	v_cmp_gt_i16_sdwa s[6:7], v10, s4 src0_sel:BYTE_0 src1_sel:DWORD
	s_mov_b64 s[4:5], 0
                                        ; implicit-def: $sgpr10
	s_and_saveexec_b64 s[8:9], s[6:7]
	s_xor_b64 s[6:7], exec, s[8:9]
	s_cbranch_execnz .LBB3_3909
; %bb.1861:
	s_or_saveexec_b64 s[6:7], s[6:7]
	v_mov_b32_e32 v9, s10
	s_xor_b64 exec, exec, s[6:7]
	s_cbranch_execnz .LBB3_3912
.LBB3_1862:
	s_or_b64 exec, exec, s[6:7]
	s_and_saveexec_b64 s[6:7], s[4:5]
	s_cbranch_execz .LBB3_1864
.LBB3_1863:
	v_and_b32_e32 v9, 7, v10
	v_ffbh_u32_e32 v13, v9
	v_min_u32_e32 v13, 32, v13
	v_lshrrev_b16_e32 v12, 3, v10
	v_subrev_u32_e32 v18, 28, v13
	v_and_b32_e32 v12, 15, v12
	v_lshlrev_b32_e32 v18, v18, v10
	v_sub_u32_e32 v13, 29, v13
	v_and_b32_e32 v18, 7, v18
	v_cmp_eq_u16_e32 vcc, 0, v12
	v_cndmask_b32_e32 v9, v9, v18, vcc
	v_cndmask_b32_e32 v12, v12, v13, vcc
	v_lshlrev_b32_e32 v13, 24, v10
	v_mov_b32_e32 v18, 0x3b800000
	v_lshlrev_b32_e32 v9, 20, v9
	v_and_b32_e32 v13, 0x80000000, v13
	v_lshl_add_u32 v12, v12, 23, v18
	v_or3_b32 v9, v13, v12, v9
.LBB3_1864:
	s_or_b64 exec, exec, s[6:7]
	s_nop 0
	v_mfma_f32_16x16x4f32 a[0:3], v8, v9, a[0:3]
	v_lshrrev_b32_e32 v9, 8, v14
	s_movk_i32 s4, 0x7f
	v_cmp_gt_i16_sdwa s[6:7], v9, s4 src0_sel:BYTE_0 src1_sel:DWORD
	s_mov_b64 s[4:5], 0
                                        ; implicit-def: $sgpr10
	s_and_saveexec_b64 s[8:9], s[6:7]
	s_xor_b64 s[6:7], exec, s[8:9]
	s_cbranch_execnz .LBB3_3913
; %bb.1865:
	s_or_saveexec_b64 s[6:7], s[6:7]
	v_mov_b32_e32 v8, s10
	s_xor_b64 exec, exec, s[6:7]
	s_cbranch_execnz .LBB3_3916
.LBB3_1866:
	s_or_b64 exec, exec, s[6:7]
	s_and_saveexec_b64 s[6:7], s[4:5]
	s_cbranch_execz .LBB3_1868
.LBB3_1867:
	v_bfe_u32 v8, v14, 8, 3
	v_ffbh_u32_e32 v13, v8
	v_min_u32_e32 v13, 32, v13
	v_lshrrev_b16_e32 v12, 3, v9
	v_subrev_u32_e32 v18, 28, v13
	v_and_b32_e32 v12, 15, v12
	v_lshlrev_b32_e32 v9, v18, v9
	v_sub_u32_e32 v13, 29, v13
	v_and_b32_e32 v9, 7, v9
	v_cmp_eq_u16_e32 vcc, 0, v12
	v_cndmask_b32_e32 v8, v8, v9, vcc
	v_cndmask_b32_e32 v9, v12, v13, vcc
	v_lshlrev_b32_e32 v12, 16, v14
	v_mov_b32_e32 v13, 0x3b800000
	v_lshlrev_b32_e32 v8, 20, v8
	v_and_b32_e32 v12, 0x80000000, v12
	v_lshl_add_u32 v9, v9, 23, v13
	v_or3_b32 v8, v12, v9, v8
.LBB3_1868:
	s_or_b64 exec, exec, s[6:7]
	v_lshrrev_b32_e32 v9, 8, v10
	s_movk_i32 s4, 0x7f
	v_cmp_gt_i16_sdwa s[6:7], v9, s4 src0_sel:BYTE_0 src1_sel:DWORD
	s_mov_b64 s[4:5], 0
                                        ; implicit-def: $sgpr10
	s_and_saveexec_b64 s[8:9], s[6:7]
	s_xor_b64 s[6:7], exec, s[8:9]
	s_cbranch_execnz .LBB3_3917
; %bb.1869:
	s_or_saveexec_b64 s[6:7], s[6:7]
	v_mov_b32_e32 v12, s10
	s_xor_b64 exec, exec, s[6:7]
	s_cbranch_execnz .LBB3_3920
.LBB3_1870:
	s_or_b64 exec, exec, s[6:7]
	s_and_saveexec_b64 s[6:7], s[4:5]
	s_cbranch_execz .LBB3_1872
.LBB3_1871:
	v_bfe_u32 v12, v10, 8, 3
	v_ffbh_u32_e32 v18, v12
	v_min_u32_e32 v18, 32, v18
	v_lshrrev_b16_e32 v13, 3, v9
	v_subrev_u32_e32 v19, 28, v18
	v_and_b32_e32 v13, 15, v13
	v_lshlrev_b32_e32 v9, v19, v9
	v_sub_u32_e32 v18, 29, v18
	v_and_b32_e32 v9, 7, v9
	v_cmp_eq_u16_e32 vcc, 0, v13
	v_cndmask_b32_e32 v9, v12, v9, vcc
	v_cndmask_b32_e32 v12, v13, v18, vcc
	v_lshlrev_b32_e32 v13, 16, v10
	v_mov_b32_e32 v18, 0x3b800000
	v_lshlrev_b32_e32 v9, 20, v9
	v_and_b32_e32 v13, 0x80000000, v13
	v_lshl_add_u32 v12, v12, 23, v18
	v_or3_b32 v12, v13, v12, v9
.LBB3_1872:
	s_or_b64 exec, exec, s[6:7]
	s_nop 0
	v_mfma_f32_16x16x4f32 a[0:3], v8, v12, a[0:3]
	s_movk_i32 s4, 0xff
	v_and_b32_sdwa v9, v14, s4 dst_sel:DWORD dst_unused:UNUSED_PAD src0_sel:WORD_1 src1_sel:DWORD
	s_movk_i32 s4, 0x7f
	v_cmp_lt_i16_e32 vcc, s4, v9
	s_mov_b64 s[4:5], 0
                                        ; implicit-def: $sgpr10
	s_and_saveexec_b64 s[6:7], vcc
	s_xor_b64 s[6:7], exec, s[6:7]
	s_cbranch_execnz .LBB3_3921
; %bb.1873:
	s_or_saveexec_b64 s[6:7], s[6:7]
	v_mov_b32_e32 v8, s10
	s_xor_b64 exec, exec, s[6:7]
	s_cbranch_execnz .LBB3_3924
.LBB3_1874:
	s_or_b64 exec, exec, s[6:7]
	s_and_saveexec_b64 s[6:7], s[4:5]
	s_cbranch_execz .LBB3_1876
.LBB3_1875:
	v_bfe_u32 v8, v14, 16, 3
	v_ffbh_u32_e32 v13, v8
	v_min_u32_e32 v13, 32, v13
	v_lshrrev_b32_e32 v9, 19, v14
	v_subrev_u32_e32 v18, 28, v13
	v_and_b32_e32 v9, 15, v9
	v_lshlrev_b32_sdwa v18, v18, v14 dst_sel:DWORD dst_unused:UNUSED_PAD src0_sel:DWORD src1_sel:WORD_1
	v_bfe_u32 v12, v14, 19, 4
	v_sub_u32_e32 v13, 29, v13
	v_and_b32_e32 v18, 7, v18
	v_cmp_eq_u16_e32 vcc, 0, v9
	v_cndmask_b32_e32 v8, v8, v18, vcc
	v_cndmask_b32_e32 v9, v12, v13, vcc
	v_lshlrev_b32_e32 v12, 8, v14
	v_mov_b32_e32 v13, 0x3b800000
	v_lshlrev_b32_e32 v8, 20, v8
	v_and_b32_e32 v12, 0x80000000, v12
	v_lshl_add_u32 v9, v9, 23, v13
	v_or3_b32 v8, v12, v9, v8
.LBB3_1876:
	s_or_b64 exec, exec, s[6:7]
	s_movk_i32 s4, 0xff
	v_and_b32_sdwa v9, v10, s4 dst_sel:DWORD dst_unused:UNUSED_PAD src0_sel:WORD_1 src1_sel:DWORD
	s_movk_i32 s4, 0x7f
	v_cmp_lt_i16_e32 vcc, s4, v9
	s_mov_b64 s[4:5], 0
                                        ; implicit-def: $sgpr10
	s_and_saveexec_b64 s[6:7], vcc
	s_xor_b64 s[6:7], exec, s[6:7]
	s_cbranch_execnz .LBB3_3925
; %bb.1877:
	s_or_saveexec_b64 s[6:7], s[6:7]
	v_mov_b32_e32 v12, s10
	s_xor_b64 exec, exec, s[6:7]
	s_cbranch_execnz .LBB3_3928
.LBB3_1878:
	s_or_b64 exec, exec, s[6:7]
	s_and_saveexec_b64 s[6:7], s[4:5]
	s_cbranch_execz .LBB3_1880
.LBB3_1879:
	v_bfe_u32 v9, v10, 16, 3
	v_ffbh_u32_e32 v18, v9
	v_min_u32_e32 v18, 32, v18
	v_lshrrev_b32_e32 v12, 19, v10
	v_subrev_u32_e32 v19, 28, v18
	v_and_b32_e32 v12, 15, v12
	v_lshlrev_b32_sdwa v19, v19, v10 dst_sel:DWORD dst_unused:UNUSED_PAD src0_sel:DWORD src1_sel:WORD_1
	v_bfe_u32 v13, v10, 19, 4
	v_sub_u32_e32 v18, 29, v18
	v_and_b32_e32 v19, 7, v19
	v_cmp_eq_u16_e32 vcc, 0, v12
	v_cndmask_b32_e32 v9, v9, v19, vcc
	v_cndmask_b32_e32 v12, v13, v18, vcc
	v_lshlrev_b32_e32 v13, 8, v10
	v_mov_b32_e32 v18, 0x3b800000
	v_lshlrev_b32_e32 v9, 20, v9
	v_and_b32_e32 v13, 0x80000000, v13
	v_lshl_add_u32 v12, v12, 23, v18
	v_or3_b32 v12, v13, v12, v9
.LBB3_1880:
	s_or_b64 exec, exec, s[6:7]
	s_nop 0
	v_mfma_f32_16x16x4f32 a[0:3], v8, v12, a[0:3]
	s_movk_i32 s4, 0x7f
	v_cmp_gt_i16_sdwa s[6:7], v14, s4 src0_sel:BYTE_3 src1_sel:DWORD
	s_mov_b64 s[4:5], 0
                                        ; implicit-def: $sgpr10
	s_and_saveexec_b64 s[8:9], s[6:7]
	s_xor_b64 s[6:7], exec, s[8:9]
	s_cbranch_execnz .LBB3_3929
; %bb.1881:
	s_or_saveexec_b64 s[6:7], s[6:7]
	v_mov_b32_e32 v8, s10
	s_xor_b64 exec, exec, s[6:7]
	s_cbranch_execnz .LBB3_3932
.LBB3_1882:
	s_or_b64 exec, exec, s[6:7]
	s_and_saveexec_b64 s[6:7], s[4:5]
	s_cbranch_execz .LBB3_1884
.LBB3_1883:
	v_bfe_u32 v8, v14, 24, 3
	v_ffbh_u32_e32 v18, v8
	v_min_u32_e32 v18, 32, v18
	v_lshrrev_b32_e32 v12, 27, v14
	v_subrev_u32_e32 v19, 28, v18
	v_and_b32_e32 v9, 0x80000000, v14
	v_and_b32_e32 v12, 15, v12
	v_bfe_u32 v13, v14, 27, 4
	v_lshlrev_b32_sdwa v14, v19, v14 dst_sel:DWORD dst_unused:UNUSED_PAD src0_sel:DWORD src1_sel:BYTE_3
	v_sub_u32_e32 v18, 29, v18
	v_and_b32_e32 v14, 7, v14
	v_cmp_eq_u16_e32 vcc, 0, v12
	v_cndmask_b32_e32 v8, v8, v14, vcc
	v_cndmask_b32_e32 v12, v13, v18, vcc
	v_mov_b32_e32 v13, 0x3b800000
	v_lshlrev_b32_e32 v8, 20, v8
	v_lshl_add_u32 v12, v12, 23, v13
	v_or3_b32 v8, v9, v12, v8
.LBB3_1884:
	s_or_b64 exec, exec, s[6:7]
	s_movk_i32 s4, 0x7f
	v_cmp_gt_i16_sdwa s[6:7], v10, s4 src0_sel:BYTE_3 src1_sel:DWORD
	s_mov_b64 s[4:5], 0
                                        ; implicit-def: $sgpr10
	s_and_saveexec_b64 s[8:9], s[6:7]
	s_xor_b64 s[6:7], exec, s[8:9]
	s_cbranch_execnz .LBB3_3933
; %bb.1885:
	s_or_saveexec_b64 s[6:7], s[6:7]
	v_mov_b32_e32 v9, s10
	s_xor_b64 exec, exec, s[6:7]
	s_cbranch_execnz .LBB3_3936
.LBB3_1886:
	s_or_b64 exec, exec, s[6:7]
	s_and_saveexec_b64 s[6:7], s[4:5]
	s_cbranch_execz .LBB3_1888
.LBB3_1887:
	v_bfe_u32 v9, v10, 24, 3
	v_ffbh_u32_e32 v18, v9
	v_min_u32_e32 v18, 32, v18
	v_lshrrev_b32_e32 v13, 27, v10
	v_subrev_u32_e32 v19, 28, v18
	v_and_b32_e32 v12, 0x80000000, v10
	v_and_b32_e32 v13, 15, v13
	v_bfe_u32 v14, v10, 27, 4
	v_lshlrev_b32_sdwa v10, v19, v10 dst_sel:DWORD dst_unused:UNUSED_PAD src0_sel:DWORD src1_sel:BYTE_3
	v_sub_u32_e32 v18, 29, v18
	v_and_b32_e32 v10, 7, v10
	v_cmp_eq_u16_e32 vcc, 0, v13
	v_cndmask_b32_e32 v9, v9, v10, vcc
	v_cndmask_b32_e32 v10, v14, v18, vcc
	v_mov_b32_e32 v13, 0x3b800000
	v_lshlrev_b32_e32 v9, 20, v9
	v_lshl_add_u32 v10, v10, 23, v13
	v_or3_b32 v9, v12, v10, v9
.LBB3_1888:
	s_or_b64 exec, exec, s[6:7]
	s_nop 0
	v_mfma_f32_16x16x4f32 a[0:3], v8, v9, a[0:3]
	s_movk_i32 s4, 0x7f
	v_cmp_gt_i16_sdwa s[6:7], v15, s4 src0_sel:BYTE_0 src1_sel:DWORD
	s_mov_b64 s[4:5], 0
                                        ; implicit-def: $sgpr10
	s_and_saveexec_b64 s[8:9], s[6:7]
	s_xor_b64 s[6:7], exec, s[8:9]
	s_cbranch_execnz .LBB3_3937
; %bb.1889:
	s_or_saveexec_b64 s[6:7], s[6:7]
	v_mov_b32_e32 v8, s10
	s_xor_b64 exec, exec, s[6:7]
	s_cbranch_execnz .LBB3_3940
.LBB3_1890:
	s_or_b64 exec, exec, s[6:7]
	s_and_saveexec_b64 s[6:7], s[4:5]
	s_cbranch_execz .LBB3_1892
.LBB3_1891:
	v_and_b32_e32 v8, 7, v15
	v_ffbh_u32_e32 v10, v8
	v_min_u32_e32 v10, 32, v10
	v_lshrrev_b16_e32 v9, 3, v15
	v_subrev_u32_e32 v12, 28, v10
	v_and_b32_e32 v9, 15, v9
	v_lshlrev_b32_e32 v12, v12, v15
	v_sub_u32_e32 v10, 29, v10
	v_and_b32_e32 v12, 7, v12
	v_cmp_eq_u16_e32 vcc, 0, v9
	v_cndmask_b32_e32 v8, v8, v12, vcc
	v_cndmask_b32_e32 v9, v9, v10, vcc
	v_lshlrev_b32_e32 v10, 24, v15
	v_mov_b32_e32 v12, 0x3b800000
	v_lshlrev_b32_e32 v8, 20, v8
	v_and_b32_e32 v10, 0x80000000, v10
	v_lshl_add_u32 v9, v9, 23, v12
	v_or3_b32 v8, v10, v9, v8
.LBB3_1892:
	s_or_b64 exec, exec, s[6:7]
	s_movk_i32 s4, 0x7f
	v_cmp_gt_i16_sdwa s[6:7], v11, s4 src0_sel:BYTE_0 src1_sel:DWORD
	s_mov_b64 s[4:5], 0
                                        ; implicit-def: $sgpr10
	s_and_saveexec_b64 s[8:9], s[6:7]
	s_xor_b64 s[6:7], exec, s[8:9]
	s_cbranch_execnz .LBB3_3941
; %bb.1893:
	s_or_saveexec_b64 s[6:7], s[6:7]
	v_mov_b32_e32 v9, s10
	s_xor_b64 exec, exec, s[6:7]
	s_cbranch_execnz .LBB3_3944
.LBB3_1894:
	s_or_b64 exec, exec, s[6:7]
	s_and_saveexec_b64 s[6:7], s[4:5]
	s_cbranch_execz .LBB3_1896
.LBB3_1895:
	v_and_b32_e32 v9, 7, v11
	v_ffbh_u32_e32 v12, v9
	v_min_u32_e32 v12, 32, v12
	v_lshrrev_b16_e32 v10, 3, v11
	v_subrev_u32_e32 v13, 28, v12
	v_and_b32_e32 v10, 15, v10
	v_lshlrev_b32_e32 v13, v13, v11
	v_sub_u32_e32 v12, 29, v12
	v_and_b32_e32 v13, 7, v13
	v_cmp_eq_u16_e32 vcc, 0, v10
	v_cndmask_b32_e32 v9, v9, v13, vcc
	v_cndmask_b32_e32 v10, v10, v12, vcc
	v_lshlrev_b32_e32 v12, 24, v11
	v_mov_b32_e32 v13, 0x3b800000
	v_lshlrev_b32_e32 v9, 20, v9
	v_and_b32_e32 v12, 0x80000000, v12
	v_lshl_add_u32 v10, v10, 23, v13
	v_or3_b32 v9, v12, v10, v9
.LBB3_1896:
	s_or_b64 exec, exec, s[6:7]
	s_nop 0
	v_mfma_f32_16x16x4f32 a[0:3], v8, v9, a[0:3]
	v_lshrrev_b32_e32 v9, 8, v15
	s_movk_i32 s4, 0x7f
	v_cmp_gt_i16_sdwa s[6:7], v9, s4 src0_sel:BYTE_0 src1_sel:DWORD
	s_mov_b64 s[4:5], 0
                                        ; implicit-def: $sgpr10
	s_and_saveexec_b64 s[8:9], s[6:7]
	s_xor_b64 s[6:7], exec, s[8:9]
	s_cbranch_execnz .LBB3_3945
; %bb.1897:
	s_or_saveexec_b64 s[6:7], s[6:7]
	v_mov_b32_e32 v8, s10
	s_xor_b64 exec, exec, s[6:7]
	s_cbranch_execnz .LBB3_3948
.LBB3_1898:
	s_or_b64 exec, exec, s[6:7]
	s_and_saveexec_b64 s[6:7], s[4:5]
	s_cbranch_execz .LBB3_1900
.LBB3_1899:
	v_bfe_u32 v8, v15, 8, 3
	v_ffbh_u32_e32 v12, v8
	v_min_u32_e32 v12, 32, v12
	v_lshrrev_b16_e32 v10, 3, v9
	v_subrev_u32_e32 v13, 28, v12
	v_and_b32_e32 v10, 15, v10
	v_lshlrev_b32_e32 v9, v13, v9
	v_sub_u32_e32 v12, 29, v12
	v_and_b32_e32 v9, 7, v9
	v_cmp_eq_u16_e32 vcc, 0, v10
	v_cndmask_b32_e32 v8, v8, v9, vcc
	v_cndmask_b32_e32 v9, v10, v12, vcc
	v_lshlrev_b32_e32 v10, 16, v15
	v_mov_b32_e32 v12, 0x3b800000
	v_lshlrev_b32_e32 v8, 20, v8
	v_and_b32_e32 v10, 0x80000000, v10
	v_lshl_add_u32 v9, v9, 23, v12
	v_or3_b32 v8, v10, v9, v8
.LBB3_1900:
	s_or_b64 exec, exec, s[6:7]
	v_lshrrev_b32_e32 v9, 8, v11
	s_movk_i32 s4, 0x7f
	v_cmp_gt_i16_sdwa s[6:7], v9, s4 src0_sel:BYTE_0 src1_sel:DWORD
	s_mov_b64 s[4:5], 0
                                        ; implicit-def: $sgpr10
	s_and_saveexec_b64 s[8:9], s[6:7]
	s_xor_b64 s[6:7], exec, s[8:9]
	s_cbranch_execnz .LBB3_3949
; %bb.1901:
	s_or_saveexec_b64 s[6:7], s[6:7]
	v_mov_b32_e32 v10, s10
	s_xor_b64 exec, exec, s[6:7]
	s_cbranch_execnz .LBB3_3952
.LBB3_1902:
	s_or_b64 exec, exec, s[6:7]
	s_and_saveexec_b64 s[6:7], s[4:5]
	s_cbranch_execz .LBB3_1904
.LBB3_1903:
	v_bfe_u32 v10, v11, 8, 3
	v_ffbh_u32_e32 v13, v10
	v_min_u32_e32 v13, 32, v13
	v_lshrrev_b16_e32 v12, 3, v9
	v_subrev_u32_e32 v14, 28, v13
	v_and_b32_e32 v12, 15, v12
	v_lshlrev_b32_e32 v9, v14, v9
	v_sub_u32_e32 v13, 29, v13
	v_and_b32_e32 v9, 7, v9
	v_cmp_eq_u16_e32 vcc, 0, v12
	v_cndmask_b32_e32 v9, v10, v9, vcc
	v_cndmask_b32_e32 v10, v12, v13, vcc
	v_lshlrev_b32_e32 v12, 16, v11
	v_mov_b32_e32 v13, 0x3b800000
	v_lshlrev_b32_e32 v9, 20, v9
	v_and_b32_e32 v12, 0x80000000, v12
	v_lshl_add_u32 v10, v10, 23, v13
	v_or3_b32 v10, v12, v10, v9
.LBB3_1904:
	s_or_b64 exec, exec, s[6:7]
	s_nop 0
	v_mfma_f32_16x16x4f32 a[0:3], v8, v10, a[0:3]
	s_movk_i32 s4, 0xff
	v_and_b32_sdwa v9, v15, s4 dst_sel:DWORD dst_unused:UNUSED_PAD src0_sel:WORD_1 src1_sel:DWORD
	s_movk_i32 s4, 0x7f
	v_cmp_lt_i16_e32 vcc, s4, v9
	s_mov_b64 s[4:5], 0
                                        ; implicit-def: $sgpr10
	s_and_saveexec_b64 s[6:7], vcc
	s_xor_b64 s[6:7], exec, s[6:7]
	s_cbranch_execnz .LBB3_3953
; %bb.1905:
	s_or_saveexec_b64 s[6:7], s[6:7]
	v_mov_b32_e32 v8, s10
	s_xor_b64 exec, exec, s[6:7]
	s_cbranch_execnz .LBB3_3956
.LBB3_1906:
	s_or_b64 exec, exec, s[6:7]
	s_and_saveexec_b64 s[6:7], s[4:5]
	s_cbranch_execz .LBB3_1908
.LBB3_1907:
	v_bfe_u32 v8, v15, 16, 3
	v_ffbh_u32_e32 v12, v8
	v_min_u32_e32 v12, 32, v12
	v_lshrrev_b32_e32 v9, 19, v15
	v_subrev_u32_e32 v13, 28, v12
	v_and_b32_e32 v9, 15, v9
	v_lshlrev_b32_sdwa v13, v13, v15 dst_sel:DWORD dst_unused:UNUSED_PAD src0_sel:DWORD src1_sel:WORD_1
	v_bfe_u32 v10, v15, 19, 4
	v_sub_u32_e32 v12, 29, v12
	v_and_b32_e32 v13, 7, v13
	v_cmp_eq_u16_e32 vcc, 0, v9
	v_cndmask_b32_e32 v8, v8, v13, vcc
	v_cndmask_b32_e32 v9, v10, v12, vcc
	v_lshlrev_b32_e32 v10, 8, v15
	v_mov_b32_e32 v12, 0x3b800000
	v_lshlrev_b32_e32 v8, 20, v8
	v_and_b32_e32 v10, 0x80000000, v10
	v_lshl_add_u32 v9, v9, 23, v12
	v_or3_b32 v8, v10, v9, v8
.LBB3_1908:
	s_or_b64 exec, exec, s[6:7]
	s_movk_i32 s4, 0xff
	v_and_b32_sdwa v9, v11, s4 dst_sel:DWORD dst_unused:UNUSED_PAD src0_sel:WORD_1 src1_sel:DWORD
	s_movk_i32 s4, 0x7f
	v_cmp_lt_i16_e32 vcc, s4, v9
	s_mov_b64 s[4:5], 0
                                        ; implicit-def: $sgpr10
	s_and_saveexec_b64 s[6:7], vcc
	s_xor_b64 s[6:7], exec, s[6:7]
	s_cbranch_execnz .LBB3_3957
; %bb.1909:
	s_or_saveexec_b64 s[6:7], s[6:7]
	v_mov_b32_e32 v10, s10
	s_xor_b64 exec, exec, s[6:7]
	s_cbranch_execnz .LBB3_3960
.LBB3_1910:
	s_or_b64 exec, exec, s[6:7]
	s_and_saveexec_b64 s[6:7], s[4:5]
	s_cbranch_execz .LBB3_1912
.LBB3_1911:
	v_bfe_u32 v9, v11, 16, 3
	v_ffbh_u32_e32 v13, v9
	v_min_u32_e32 v13, 32, v13
	v_lshrrev_b32_e32 v10, 19, v11
	v_subrev_u32_e32 v14, 28, v13
	v_and_b32_e32 v10, 15, v10
	v_lshlrev_b32_sdwa v14, v14, v11 dst_sel:DWORD dst_unused:UNUSED_PAD src0_sel:DWORD src1_sel:WORD_1
	v_bfe_u32 v12, v11, 19, 4
	v_sub_u32_e32 v13, 29, v13
	v_and_b32_e32 v14, 7, v14
	v_cmp_eq_u16_e32 vcc, 0, v10
	v_cndmask_b32_e32 v9, v9, v14, vcc
	v_cndmask_b32_e32 v10, v12, v13, vcc
	v_lshlrev_b32_e32 v12, 8, v11
	v_mov_b32_e32 v13, 0x3b800000
	v_lshlrev_b32_e32 v9, 20, v9
	v_and_b32_e32 v12, 0x80000000, v12
	v_lshl_add_u32 v10, v10, 23, v13
	v_or3_b32 v10, v12, v10, v9
.LBB3_1912:
	s_or_b64 exec, exec, s[6:7]
	s_nop 0
	v_mfma_f32_16x16x4f32 a[0:3], v8, v10, a[0:3]
	s_movk_i32 s4, 0x7f
	v_cmp_gt_i16_sdwa s[6:7], v15, s4 src0_sel:BYTE_3 src1_sel:DWORD
	s_mov_b64 s[4:5], 0
                                        ; implicit-def: $sgpr10
	s_and_saveexec_b64 s[8:9], s[6:7]
	s_xor_b64 s[6:7], exec, s[8:9]
	s_cbranch_execnz .LBB3_3961
; %bb.1913:
	s_or_saveexec_b64 s[6:7], s[6:7]
	v_mov_b32_e32 v8, s10
	s_xor_b64 exec, exec, s[6:7]
	s_cbranch_execnz .LBB3_3964
.LBB3_1914:
	s_or_b64 exec, exec, s[6:7]
	s_and_saveexec_b64 s[6:7], s[4:5]
	s_cbranch_execz .LBB3_1916
.LBB3_1915:
	v_bfe_u32 v8, v15, 24, 3
	v_ffbh_u32_e32 v13, v8
	v_min_u32_e32 v13, 32, v13
	v_lshrrev_b32_e32 v10, 27, v15
	v_subrev_u32_e32 v14, 28, v13
	v_and_b32_e32 v10, 15, v10
	v_lshlrev_b32_sdwa v14, v14, v15 dst_sel:DWORD dst_unused:UNUSED_PAD src0_sel:DWORD src1_sel:BYTE_3
	v_bfe_u32 v12, v15, 27, 4
	v_sub_u32_e32 v13, 29, v13
	v_and_b32_e32 v14, 7, v14
	v_cmp_eq_u16_e32 vcc, 0, v10
	v_cndmask_b32_e32 v8, v8, v14, vcc
	v_cndmask_b32_e32 v10, v12, v13, vcc
	v_mov_b32_e32 v12, 0x3b800000
	v_and_b32_e32 v9, 0x80000000, v15
	v_lshlrev_b32_e32 v8, 20, v8
	v_lshl_add_u32 v10, v10, 23, v12
	v_or3_b32 v8, v9, v10, v8
.LBB3_1916:
	s_or_b64 exec, exec, s[6:7]
	s_movk_i32 s4, 0x7f
	v_cmp_gt_i16_sdwa s[6:7], v11, s4 src0_sel:BYTE_3 src1_sel:DWORD
	s_mov_b64 s[4:5], 0
                                        ; implicit-def: $sgpr10
	s_and_saveexec_b64 s[8:9], s[6:7]
	s_xor_b64 s[6:7], exec, s[8:9]
	s_cbranch_execnz .LBB3_3965
; %bb.1917:
	s_or_saveexec_b64 s[6:7], s[6:7]
	v_mov_b32_e32 v9, s10
	s_xor_b64 exec, exec, s[6:7]
	s_cbranch_execnz .LBB3_3968
.LBB3_1918:
	s_or_b64 exec, exec, s[6:7]
	s_and_saveexec_b64 s[6:7], s[4:5]
	s_cbranch_execz .LBB3_1920
.LBB3_1919:
	v_bfe_u32 v9, v11, 24, 3
	v_ffbh_u32_e32 v14, v9
	v_min_u32_e32 v14, 32, v14
	v_lshrrev_b32_e32 v12, 27, v11
	v_subrev_u32_e32 v15, 28, v14
	v_and_b32_e32 v10, 0x80000000, v11
	v_and_b32_e32 v12, 15, v12
	v_bfe_u32 v13, v11, 27, 4
	v_lshlrev_b32_sdwa v11, v15, v11 dst_sel:DWORD dst_unused:UNUSED_PAD src0_sel:DWORD src1_sel:BYTE_3
	v_sub_u32_e32 v14, 29, v14
	v_and_b32_e32 v11, 7, v11
	v_cmp_eq_u16_e32 vcc, 0, v12
	v_cndmask_b32_e32 v9, v9, v11, vcc
	v_cndmask_b32_e32 v11, v13, v14, vcc
	v_mov_b32_e32 v12, 0x3b800000
	v_lshlrev_b32_e32 v9, 20, v9
	v_lshl_add_u32 v11, v11, 23, v12
	v_or3_b32 v9, v10, v11, v9
.LBB3_1920:
	s_or_b64 exec, exec, s[6:7]
	s_nop 0
	v_mfma_f32_16x16x4f32 a[0:3], v8, v9, a[0:3]
	s_movk_i32 s4, 0x7f
	v_cmp_gt_i16_sdwa s[6:7], v4, s4 src0_sel:BYTE_0 src1_sel:DWORD
	s_mov_b64 s[4:5], 0
                                        ; implicit-def: $sgpr10
	s_and_saveexec_b64 s[8:9], s[6:7]
	s_xor_b64 s[6:7], exec, s[8:9]
	s_cbranch_execnz .LBB3_3969
; %bb.1921:
	s_or_saveexec_b64 s[6:7], s[6:7]
	v_mov_b32_e32 v8, s10
	s_xor_b64 exec, exec, s[6:7]
	s_cbranch_execnz .LBB3_3972
.LBB3_1922:
	s_or_b64 exec, exec, s[6:7]
	s_and_saveexec_b64 s[6:7], s[4:5]
	s_cbranch_execz .LBB3_1924
.LBB3_1923:
	v_and_b32_e32 v8, 7, v4
	v_ffbh_u32_e32 v10, v8
	v_min_u32_e32 v10, 32, v10
	v_lshrrev_b16_e32 v9, 3, v4
	v_subrev_u32_e32 v11, 28, v10
	v_and_b32_e32 v9, 15, v9
	v_lshlrev_b32_e32 v11, v11, v4
	v_sub_u32_e32 v10, 29, v10
	v_and_b32_e32 v11, 7, v11
	v_cmp_eq_u16_e32 vcc, 0, v9
	v_cndmask_b32_e32 v8, v8, v11, vcc
	v_cndmask_b32_e32 v9, v9, v10, vcc
	v_lshlrev_b32_e32 v10, 24, v4
	v_mov_b32_e32 v11, 0x3b800000
	v_lshlrev_b32_e32 v8, 20, v8
	v_and_b32_e32 v10, 0x80000000, v10
	v_lshl_add_u32 v9, v9, 23, v11
	v_or3_b32 v8, v10, v9, v8
.LBB3_1924:
	s_or_b64 exec, exec, s[6:7]
	s_movk_i32 s4, 0x7f
	v_cmp_gt_i16_sdwa s[6:7], v0, s4 src0_sel:BYTE_0 src1_sel:DWORD
	s_mov_b64 s[4:5], 0
                                        ; implicit-def: $sgpr10
	s_and_saveexec_b64 s[8:9], s[6:7]
	s_xor_b64 s[6:7], exec, s[8:9]
	s_cbranch_execnz .LBB3_3973
; %bb.1925:
	s_or_saveexec_b64 s[6:7], s[6:7]
	v_mov_b32_e32 v9, s10
	s_xor_b64 exec, exec, s[6:7]
	s_cbranch_execnz .LBB3_3976
.LBB3_1926:
	s_or_b64 exec, exec, s[6:7]
	s_and_saveexec_b64 s[6:7], s[4:5]
	s_cbranch_execz .LBB3_1928
.LBB3_1927:
	v_and_b32_e32 v9, 7, v0
	v_ffbh_u32_e32 v11, v9
	v_min_u32_e32 v11, 32, v11
	v_lshrrev_b16_e32 v10, 3, v0
	v_subrev_u32_e32 v12, 28, v11
	v_and_b32_e32 v10, 15, v10
	v_lshlrev_b32_e32 v12, v12, v0
	v_sub_u32_e32 v11, 29, v11
	v_and_b32_e32 v12, 7, v12
	v_cmp_eq_u16_e32 vcc, 0, v10
	v_cndmask_b32_e32 v9, v9, v12, vcc
	v_cndmask_b32_e32 v10, v10, v11, vcc
	v_lshlrev_b32_e32 v11, 24, v0
	v_mov_b32_e32 v12, 0x3b800000
	v_lshlrev_b32_e32 v9, 20, v9
	v_and_b32_e32 v11, 0x80000000, v11
	v_lshl_add_u32 v10, v10, 23, v12
	v_or3_b32 v9, v11, v10, v9
.LBB3_1928:
	s_or_b64 exec, exec, s[6:7]
	s_nop 0
	v_mfma_f32_16x16x4f32 a[0:3], v8, v9, a[0:3]
	v_lshrrev_b32_e32 v9, 8, v4
	s_movk_i32 s4, 0x7f
	v_cmp_gt_i16_sdwa s[6:7], v9, s4 src0_sel:BYTE_0 src1_sel:DWORD
	s_mov_b64 s[4:5], 0
                                        ; implicit-def: $sgpr10
	s_and_saveexec_b64 s[8:9], s[6:7]
	s_xor_b64 s[6:7], exec, s[8:9]
	s_cbranch_execnz .LBB3_3977
; %bb.1929:
	s_or_saveexec_b64 s[6:7], s[6:7]
	v_mov_b32_e32 v8, s10
	s_xor_b64 exec, exec, s[6:7]
	s_cbranch_execnz .LBB3_3980
.LBB3_1930:
	s_or_b64 exec, exec, s[6:7]
	s_and_saveexec_b64 s[6:7], s[4:5]
	s_cbranch_execz .LBB3_1932
.LBB3_1931:
	v_bfe_u32 v8, v4, 8, 3
	v_ffbh_u32_e32 v11, v8
	v_min_u32_e32 v11, 32, v11
	v_lshrrev_b16_e32 v10, 3, v9
	v_subrev_u32_e32 v12, 28, v11
	v_and_b32_e32 v10, 15, v10
	v_lshlrev_b32_e32 v9, v12, v9
	v_sub_u32_e32 v11, 29, v11
	v_and_b32_e32 v9, 7, v9
	v_cmp_eq_u16_e32 vcc, 0, v10
	v_cndmask_b32_e32 v8, v8, v9, vcc
	v_cndmask_b32_e32 v9, v10, v11, vcc
	v_lshlrev_b32_e32 v10, 16, v4
	v_mov_b32_e32 v11, 0x3b800000
	v_lshlrev_b32_e32 v8, 20, v8
	v_and_b32_e32 v10, 0x80000000, v10
	v_lshl_add_u32 v9, v9, 23, v11
	v_or3_b32 v8, v10, v9, v8
.LBB3_1932:
	s_or_b64 exec, exec, s[6:7]
	v_lshrrev_b32_e32 v9, 8, v0
	s_movk_i32 s4, 0x7f
	v_cmp_gt_i16_sdwa s[6:7], v9, s4 src0_sel:BYTE_0 src1_sel:DWORD
	s_mov_b64 s[4:5], 0
                                        ; implicit-def: $sgpr10
	s_and_saveexec_b64 s[8:9], s[6:7]
	s_xor_b64 s[6:7], exec, s[8:9]
	s_cbranch_execnz .LBB3_3981
; %bb.1933:
	s_or_saveexec_b64 s[6:7], s[6:7]
	v_mov_b32_e32 v10, s10
	s_xor_b64 exec, exec, s[6:7]
	s_cbranch_execnz .LBB3_3984
.LBB3_1934:
	s_or_b64 exec, exec, s[6:7]
	s_and_saveexec_b64 s[6:7], s[4:5]
	s_cbranch_execz .LBB3_1936
.LBB3_1935:
	v_bfe_u32 v10, v0, 8, 3
	v_ffbh_u32_e32 v12, v10
	v_min_u32_e32 v12, 32, v12
	v_lshrrev_b16_e32 v11, 3, v9
	v_subrev_u32_e32 v13, 28, v12
	v_and_b32_e32 v11, 15, v11
	v_lshlrev_b32_e32 v9, v13, v9
	v_sub_u32_e32 v12, 29, v12
	v_and_b32_e32 v9, 7, v9
	v_cmp_eq_u16_e32 vcc, 0, v11
	v_cndmask_b32_e32 v9, v10, v9, vcc
	v_cndmask_b32_e32 v10, v11, v12, vcc
	v_lshlrev_b32_e32 v11, 16, v0
	v_mov_b32_e32 v12, 0x3b800000
	v_lshlrev_b32_e32 v9, 20, v9
	v_and_b32_e32 v11, 0x80000000, v11
	v_lshl_add_u32 v10, v10, 23, v12
	v_or3_b32 v10, v11, v10, v9
.LBB3_1936:
	s_or_b64 exec, exec, s[6:7]
	s_nop 0
	v_mfma_f32_16x16x4f32 a[0:3], v8, v10, a[0:3]
	s_movk_i32 s4, 0xff
	v_and_b32_sdwa v9, v4, s4 dst_sel:DWORD dst_unused:UNUSED_PAD src0_sel:WORD_1 src1_sel:DWORD
	s_movk_i32 s4, 0x7f
	v_cmp_lt_i16_e32 vcc, s4, v9
	s_mov_b64 s[4:5], 0
                                        ; implicit-def: $sgpr10
	s_and_saveexec_b64 s[6:7], vcc
	s_xor_b64 s[6:7], exec, s[6:7]
	s_cbranch_execnz .LBB3_3985
; %bb.1937:
	s_or_saveexec_b64 s[6:7], s[6:7]
	v_mov_b32_e32 v8, s10
	s_xor_b64 exec, exec, s[6:7]
	s_cbranch_execnz .LBB3_3988
.LBB3_1938:
	s_or_b64 exec, exec, s[6:7]
	s_and_saveexec_b64 s[6:7], s[4:5]
	s_cbranch_execz .LBB3_1940
.LBB3_1939:
	v_bfe_u32 v8, v4, 16, 3
	v_ffbh_u32_e32 v11, v8
	v_min_u32_e32 v11, 32, v11
	v_lshrrev_b32_e32 v9, 19, v4
	v_subrev_u32_e32 v12, 28, v11
	v_and_b32_e32 v9, 15, v9
	v_lshlrev_b32_sdwa v12, v12, v4 dst_sel:DWORD dst_unused:UNUSED_PAD src0_sel:DWORD src1_sel:WORD_1
	v_bfe_u32 v10, v4, 19, 4
	v_sub_u32_e32 v11, 29, v11
	v_and_b32_e32 v12, 7, v12
	v_cmp_eq_u16_e32 vcc, 0, v9
	v_cndmask_b32_e32 v8, v8, v12, vcc
	v_cndmask_b32_e32 v9, v10, v11, vcc
	v_lshlrev_b32_e32 v10, 8, v4
	v_mov_b32_e32 v11, 0x3b800000
	v_lshlrev_b32_e32 v8, 20, v8
	v_and_b32_e32 v10, 0x80000000, v10
	v_lshl_add_u32 v9, v9, 23, v11
	v_or3_b32 v8, v10, v9, v8
.LBB3_1940:
	s_or_b64 exec, exec, s[6:7]
	s_movk_i32 s4, 0xff
	v_and_b32_sdwa v9, v0, s4 dst_sel:DWORD dst_unused:UNUSED_PAD src0_sel:WORD_1 src1_sel:DWORD
	s_movk_i32 s4, 0x7f
	v_cmp_lt_i16_e32 vcc, s4, v9
	s_mov_b64 s[4:5], 0
                                        ; implicit-def: $sgpr10
	s_and_saveexec_b64 s[6:7], vcc
	s_xor_b64 s[6:7], exec, s[6:7]
	s_cbranch_execnz .LBB3_3989
; %bb.1941:
	s_or_saveexec_b64 s[6:7], s[6:7]
	v_mov_b32_e32 v10, s10
	s_xor_b64 exec, exec, s[6:7]
	s_cbranch_execnz .LBB3_3992
.LBB3_1942:
	s_or_b64 exec, exec, s[6:7]
	s_and_saveexec_b64 s[6:7], s[4:5]
	s_cbranch_execz .LBB3_1944
.LBB3_1943:
	v_bfe_u32 v9, v0, 16, 3
	v_ffbh_u32_e32 v12, v9
	v_min_u32_e32 v12, 32, v12
	v_lshrrev_b32_e32 v10, 19, v0
	v_subrev_u32_e32 v13, 28, v12
	v_and_b32_e32 v10, 15, v10
	v_lshlrev_b32_sdwa v13, v13, v0 dst_sel:DWORD dst_unused:UNUSED_PAD src0_sel:DWORD src1_sel:WORD_1
	v_bfe_u32 v11, v0, 19, 4
	v_sub_u32_e32 v12, 29, v12
	v_and_b32_e32 v13, 7, v13
	v_cmp_eq_u16_e32 vcc, 0, v10
	v_cndmask_b32_e32 v9, v9, v13, vcc
	v_cndmask_b32_e32 v10, v11, v12, vcc
	v_lshlrev_b32_e32 v11, 8, v0
	v_mov_b32_e32 v12, 0x3b800000
	v_lshlrev_b32_e32 v9, 20, v9
	v_and_b32_e32 v11, 0x80000000, v11
	v_lshl_add_u32 v10, v10, 23, v12
	v_or3_b32 v10, v11, v10, v9
.LBB3_1944:
	s_or_b64 exec, exec, s[6:7]
	s_nop 0
	v_mfma_f32_16x16x4f32 a[0:3], v8, v10, a[0:3]
	s_movk_i32 s4, 0x7f
	v_cmp_gt_i16_sdwa s[6:7], v4, s4 src0_sel:BYTE_3 src1_sel:DWORD
	s_mov_b64 s[4:5], 0
                                        ; implicit-def: $sgpr10
	s_and_saveexec_b64 s[8:9], s[6:7]
	s_xor_b64 s[6:7], exec, s[8:9]
	s_cbranch_execnz .LBB3_3993
; %bb.1945:
	s_or_saveexec_b64 s[6:7], s[6:7]
	v_mov_b32_e32 v8, s10
	s_xor_b64 exec, exec, s[6:7]
	s_cbranch_execnz .LBB3_3996
.LBB3_1946:
	s_or_b64 exec, exec, s[6:7]
	s_and_saveexec_b64 s[6:7], s[4:5]
	s_cbranch_execz .LBB3_1948
.LBB3_1947:
	v_bfe_u32 v8, v4, 24, 3
	v_ffbh_u32_e32 v12, v8
	v_min_u32_e32 v12, 32, v12
	v_lshrrev_b32_e32 v10, 27, v4
	v_subrev_u32_e32 v13, 28, v12
	v_and_b32_e32 v9, 0x80000000, v4
	v_and_b32_e32 v10, 15, v10
	v_bfe_u32 v11, v4, 27, 4
	v_lshlrev_b32_sdwa v4, v13, v4 dst_sel:DWORD dst_unused:UNUSED_PAD src0_sel:DWORD src1_sel:BYTE_3
	v_sub_u32_e32 v12, 29, v12
	v_and_b32_e32 v4, 7, v4
	v_cmp_eq_u16_e32 vcc, 0, v10
	v_cndmask_b32_e32 v4, v8, v4, vcc
	v_cndmask_b32_e32 v8, v11, v12, vcc
	v_mov_b32_e32 v10, 0x3b800000
	v_lshlrev_b32_e32 v4, 20, v4
	v_lshl_add_u32 v8, v8, 23, v10
	v_or3_b32 v8, v9, v8, v4
.LBB3_1948:
	s_or_b64 exec, exec, s[6:7]
	s_movk_i32 s4, 0x7f
	v_cmp_gt_i16_sdwa s[6:7], v0, s4 src0_sel:BYTE_3 src1_sel:DWORD
	s_mov_b64 s[4:5], 0
                                        ; implicit-def: $sgpr10
	s_and_saveexec_b64 s[8:9], s[6:7]
	s_xor_b64 s[6:7], exec, s[8:9]
	s_cbranch_execnz .LBB3_3997
; %bb.1949:
	s_or_saveexec_b64 s[6:7], s[6:7]
	v_mov_b32_e32 v4, s10
	s_xor_b64 exec, exec, s[6:7]
	s_cbranch_execnz .LBB3_4000
.LBB3_1950:
	s_or_b64 exec, exec, s[6:7]
	s_and_saveexec_b64 s[6:7], s[4:5]
	s_cbranch_execz .LBB3_1952
.LBB3_1951:
	v_bfe_u32 v4, v0, 24, 3
	v_ffbh_u32_e32 v12, v4
	v_min_u32_e32 v12, 32, v12
	v_lshrrev_b32_e32 v10, 27, v0
	v_subrev_u32_e32 v13, 28, v12
	v_and_b32_e32 v9, 0x80000000, v0
	v_and_b32_e32 v10, 15, v10
	v_bfe_u32 v11, v0, 27, 4
	v_lshlrev_b32_sdwa v0, v13, v0 dst_sel:DWORD dst_unused:UNUSED_PAD src0_sel:DWORD src1_sel:BYTE_3
	v_sub_u32_e32 v12, 29, v12
	v_and_b32_e32 v0, 7, v0
	v_cmp_eq_u16_e32 vcc, 0, v10
	v_cndmask_b32_e32 v0, v4, v0, vcc
	v_cndmask_b32_e32 v4, v11, v12, vcc
	v_mov_b32_e32 v10, 0x3b800000
	v_lshlrev_b32_e32 v0, 20, v0
	v_lshl_add_u32 v4, v4, 23, v10
	v_or3_b32 v4, v9, v4, v0
.LBB3_1952:
	s_or_b64 exec, exec, s[6:7]
	s_nop 0
	v_mfma_f32_16x16x4f32 a[0:3], v8, v4, a[0:3]
	s_movk_i32 s4, 0x7f
	v_cmp_gt_i16_sdwa s[6:7], v5, s4 src0_sel:BYTE_0 src1_sel:DWORD
	s_mov_b64 s[4:5], 0
                                        ; implicit-def: $sgpr10
	s_and_saveexec_b64 s[8:9], s[6:7]
	s_xor_b64 s[6:7], exec, s[8:9]
	s_cbranch_execnz .LBB3_4001
; %bb.1953:
	s_or_saveexec_b64 s[6:7], s[6:7]
	v_mov_b32_e32 v0, s10
	s_xor_b64 exec, exec, s[6:7]
	s_cbranch_execnz .LBB3_4004
.LBB3_1954:
	s_or_b64 exec, exec, s[6:7]
	s_and_saveexec_b64 s[6:7], s[4:5]
	s_cbranch_execz .LBB3_1956
.LBB3_1955:
	v_and_b32_e32 v0, 7, v5
	v_ffbh_u32_e32 v8, v0
	v_min_u32_e32 v8, 32, v8
	v_lshrrev_b16_e32 v4, 3, v5
	v_subrev_u32_e32 v9, 28, v8
	v_and_b32_e32 v4, 15, v4
	v_lshlrev_b32_e32 v9, v9, v5
	v_sub_u32_e32 v8, 29, v8
	v_and_b32_e32 v9, 7, v9
	v_cmp_eq_u16_e32 vcc, 0, v4
	v_cndmask_b32_e32 v0, v0, v9, vcc
	v_cndmask_b32_e32 v4, v4, v8, vcc
	v_lshlrev_b32_e32 v8, 24, v5
	v_mov_b32_e32 v9, 0x3b800000
	v_lshlrev_b32_e32 v0, 20, v0
	v_and_b32_e32 v8, 0x80000000, v8
	v_lshl_add_u32 v4, v4, 23, v9
	v_or3_b32 v0, v8, v4, v0
.LBB3_1956:
	s_or_b64 exec, exec, s[6:7]
	s_movk_i32 s4, 0x7f
	v_cmp_gt_i16_sdwa s[6:7], v1, s4 src0_sel:BYTE_0 src1_sel:DWORD
	s_mov_b64 s[4:5], 0
                                        ; implicit-def: $sgpr10
	s_and_saveexec_b64 s[8:9], s[6:7]
	s_xor_b64 s[6:7], exec, s[8:9]
	s_cbranch_execnz .LBB3_4005
; %bb.1957:
	s_or_saveexec_b64 s[6:7], s[6:7]
	v_mov_b32_e32 v4, s10
	s_xor_b64 exec, exec, s[6:7]
	s_cbranch_execnz .LBB3_4008
.LBB3_1958:
	s_or_b64 exec, exec, s[6:7]
	s_and_saveexec_b64 s[6:7], s[4:5]
	s_cbranch_execz .LBB3_1960
.LBB3_1959:
	v_and_b32_e32 v4, 7, v1
	v_ffbh_u32_e32 v9, v4
	v_min_u32_e32 v9, 32, v9
	v_lshrrev_b16_e32 v8, 3, v1
	v_subrev_u32_e32 v10, 28, v9
	v_and_b32_e32 v8, 15, v8
	v_lshlrev_b32_e32 v10, v10, v1
	v_sub_u32_e32 v9, 29, v9
	v_and_b32_e32 v10, 7, v10
	v_cmp_eq_u16_e32 vcc, 0, v8
	v_cndmask_b32_e32 v4, v4, v10, vcc
	v_cndmask_b32_e32 v8, v8, v9, vcc
	v_lshlrev_b32_e32 v9, 24, v1
	v_mov_b32_e32 v10, 0x3b800000
	v_lshlrev_b32_e32 v4, 20, v4
	v_and_b32_e32 v9, 0x80000000, v9
	v_lshl_add_u32 v8, v8, 23, v10
	v_or3_b32 v4, v9, v8, v4
.LBB3_1960:
	s_or_b64 exec, exec, s[6:7]
	s_nop 0
	v_mfma_f32_16x16x4f32 a[0:3], v0, v4, a[0:3]
	v_lshrrev_b32_e32 v4, 8, v5
	s_movk_i32 s4, 0x7f
	v_cmp_gt_i16_sdwa s[6:7], v4, s4 src0_sel:BYTE_0 src1_sel:DWORD
	s_mov_b64 s[4:5], 0
                                        ; implicit-def: $sgpr10
	s_and_saveexec_b64 s[8:9], s[6:7]
	s_xor_b64 s[6:7], exec, s[8:9]
	s_cbranch_execnz .LBB3_4009
; %bb.1961:
	s_or_saveexec_b64 s[6:7], s[6:7]
	v_mov_b32_e32 v0, s10
	s_xor_b64 exec, exec, s[6:7]
	s_cbranch_execnz .LBB3_4012
.LBB3_1962:
	s_or_b64 exec, exec, s[6:7]
	s_and_saveexec_b64 s[6:7], s[4:5]
	s_cbranch_execz .LBB3_1964
.LBB3_1963:
	v_bfe_u32 v0, v5, 8, 3
	v_ffbh_u32_e32 v9, v0
	v_min_u32_e32 v9, 32, v9
	v_lshrrev_b16_e32 v8, 3, v4
	v_subrev_u32_e32 v10, 28, v9
	v_and_b32_e32 v8, 15, v8
	v_lshlrev_b32_e32 v4, v10, v4
	v_sub_u32_e32 v9, 29, v9
	v_and_b32_e32 v4, 7, v4
	v_cmp_eq_u16_e32 vcc, 0, v8
	v_cndmask_b32_e32 v0, v0, v4, vcc
	v_cndmask_b32_e32 v4, v8, v9, vcc
	v_lshlrev_b32_e32 v8, 16, v5
	v_mov_b32_e32 v9, 0x3b800000
	v_lshlrev_b32_e32 v0, 20, v0
	v_and_b32_e32 v8, 0x80000000, v8
	v_lshl_add_u32 v4, v4, 23, v9
	v_or3_b32 v0, v8, v4, v0
.LBB3_1964:
	s_or_b64 exec, exec, s[6:7]
	v_lshrrev_b32_e32 v4, 8, v1
	s_movk_i32 s4, 0x7f
	v_cmp_gt_i16_sdwa s[6:7], v4, s4 src0_sel:BYTE_0 src1_sel:DWORD
	s_mov_b64 s[4:5], 0
                                        ; implicit-def: $sgpr10
	s_and_saveexec_b64 s[8:9], s[6:7]
	s_xor_b64 s[6:7], exec, s[8:9]
	s_cbranch_execnz .LBB3_4013
; %bb.1965:
	s_or_saveexec_b64 s[6:7], s[6:7]
	v_mov_b32_e32 v8, s10
	s_xor_b64 exec, exec, s[6:7]
	s_cbranch_execnz .LBB3_4016
.LBB3_1966:
	s_or_b64 exec, exec, s[6:7]
	s_and_saveexec_b64 s[6:7], s[4:5]
	s_cbranch_execz .LBB3_1968
.LBB3_1967:
	v_bfe_u32 v8, v1, 8, 3
	v_ffbh_u32_e32 v10, v8
	v_min_u32_e32 v10, 32, v10
	v_lshrrev_b16_e32 v9, 3, v4
	v_subrev_u32_e32 v11, 28, v10
	v_and_b32_e32 v9, 15, v9
	v_lshlrev_b32_e32 v4, v11, v4
	v_sub_u32_e32 v10, 29, v10
	v_and_b32_e32 v4, 7, v4
	v_cmp_eq_u16_e32 vcc, 0, v9
	v_cndmask_b32_e32 v4, v8, v4, vcc
	v_cndmask_b32_e32 v8, v9, v10, vcc
	v_lshlrev_b32_e32 v9, 16, v1
	v_mov_b32_e32 v10, 0x3b800000
	v_lshlrev_b32_e32 v4, 20, v4
	v_and_b32_e32 v9, 0x80000000, v9
	v_lshl_add_u32 v8, v8, 23, v10
	v_or3_b32 v8, v9, v8, v4
.LBB3_1968:
	s_or_b64 exec, exec, s[6:7]
	s_nop 0
	v_mfma_f32_16x16x4f32 a[0:3], v0, v8, a[0:3]
	s_movk_i32 s4, 0xff
	v_and_b32_sdwa v4, v5, s4 dst_sel:DWORD dst_unused:UNUSED_PAD src0_sel:WORD_1 src1_sel:DWORD
	s_movk_i32 s4, 0x7f
	v_cmp_lt_i16_e32 vcc, s4, v4
	s_mov_b64 s[4:5], 0
                                        ; implicit-def: $sgpr10
	s_and_saveexec_b64 s[6:7], vcc
	s_xor_b64 s[6:7], exec, s[6:7]
	s_cbranch_execnz .LBB3_4017
; %bb.1969:
	s_or_saveexec_b64 s[6:7], s[6:7]
	v_mov_b32_e32 v0, s10
	s_xor_b64 exec, exec, s[6:7]
	s_cbranch_execnz .LBB3_4020
.LBB3_1970:
	s_or_b64 exec, exec, s[6:7]
	s_and_saveexec_b64 s[6:7], s[4:5]
	s_cbranch_execz .LBB3_1972
.LBB3_1971:
	v_bfe_u32 v0, v5, 16, 3
	v_ffbh_u32_e32 v9, v0
	v_min_u32_e32 v9, 32, v9
	v_lshrrev_b32_e32 v4, 19, v5
	v_subrev_u32_e32 v10, 28, v9
	v_and_b32_e32 v4, 15, v4
	v_lshlrev_b32_sdwa v10, v10, v5 dst_sel:DWORD dst_unused:UNUSED_PAD src0_sel:DWORD src1_sel:WORD_1
	v_bfe_u32 v8, v5, 19, 4
	v_sub_u32_e32 v9, 29, v9
	v_and_b32_e32 v10, 7, v10
	v_cmp_eq_u16_e32 vcc, 0, v4
	v_cndmask_b32_e32 v0, v0, v10, vcc
	v_cndmask_b32_e32 v4, v8, v9, vcc
	v_lshlrev_b32_e32 v8, 8, v5
	v_mov_b32_e32 v9, 0x3b800000
	v_lshlrev_b32_e32 v0, 20, v0
	v_and_b32_e32 v8, 0x80000000, v8
	v_lshl_add_u32 v4, v4, 23, v9
	v_or3_b32 v0, v8, v4, v0
.LBB3_1972:
	s_or_b64 exec, exec, s[6:7]
	s_movk_i32 s4, 0xff
	v_and_b32_sdwa v4, v1, s4 dst_sel:DWORD dst_unused:UNUSED_PAD src0_sel:WORD_1 src1_sel:DWORD
	s_movk_i32 s4, 0x7f
	v_cmp_lt_i16_e32 vcc, s4, v4
	s_mov_b64 s[4:5], 0
                                        ; implicit-def: $sgpr10
	s_and_saveexec_b64 s[6:7], vcc
	s_xor_b64 s[6:7], exec, s[6:7]
	s_cbranch_execnz .LBB3_4021
; %bb.1973:
	s_or_saveexec_b64 s[6:7], s[6:7]
	v_mov_b32_e32 v8, s10
	s_xor_b64 exec, exec, s[6:7]
	s_cbranch_execnz .LBB3_4024
.LBB3_1974:
	s_or_b64 exec, exec, s[6:7]
	s_and_saveexec_b64 s[6:7], s[4:5]
	s_cbranch_execz .LBB3_1976
.LBB3_1975:
	v_bfe_u32 v4, v1, 16, 3
	v_ffbh_u32_e32 v10, v4
	v_min_u32_e32 v10, 32, v10
	v_lshrrev_b32_e32 v8, 19, v1
	v_subrev_u32_e32 v11, 28, v10
	v_and_b32_e32 v8, 15, v8
	v_lshlrev_b32_sdwa v11, v11, v1 dst_sel:DWORD dst_unused:UNUSED_PAD src0_sel:DWORD src1_sel:WORD_1
	v_bfe_u32 v9, v1, 19, 4
	v_sub_u32_e32 v10, 29, v10
	v_and_b32_e32 v11, 7, v11
	v_cmp_eq_u16_e32 vcc, 0, v8
	v_cndmask_b32_e32 v4, v4, v11, vcc
	v_cndmask_b32_e32 v8, v9, v10, vcc
	v_lshlrev_b32_e32 v9, 8, v1
	v_mov_b32_e32 v10, 0x3b800000
	v_lshlrev_b32_e32 v4, 20, v4
	v_and_b32_e32 v9, 0x80000000, v9
	v_lshl_add_u32 v8, v8, 23, v10
	v_or3_b32 v8, v9, v8, v4
.LBB3_1976:
	s_or_b64 exec, exec, s[6:7]
	s_nop 0
	v_mfma_f32_16x16x4f32 a[0:3], v0, v8, a[0:3]
	s_movk_i32 s4, 0x7f
	v_cmp_gt_i16_sdwa s[6:7], v5, s4 src0_sel:BYTE_3 src1_sel:DWORD
	s_mov_b64 s[4:5], 0
                                        ; implicit-def: $sgpr10
	s_and_saveexec_b64 s[8:9], s[6:7]
	s_xor_b64 s[6:7], exec, s[8:9]
	s_cbranch_execnz .LBB3_4025
; %bb.1977:
	s_or_saveexec_b64 s[6:7], s[6:7]
	v_mov_b32_e32 v0, s10
	s_xor_b64 exec, exec, s[6:7]
	s_cbranch_execnz .LBB3_4028
.LBB3_1978:
	s_or_b64 exec, exec, s[6:7]
	s_and_saveexec_b64 s[6:7], s[4:5]
	s_cbranch_execz .LBB3_1980
.LBB3_1979:
	v_bfe_u32 v0, v5, 24, 3
	v_ffbh_u32_e32 v10, v0
	v_min_u32_e32 v10, 32, v10
	v_lshrrev_b32_e32 v8, 27, v5
	v_subrev_u32_e32 v11, 28, v10
	v_and_b32_e32 v4, 0x80000000, v5
	v_and_b32_e32 v8, 15, v8
	v_bfe_u32 v9, v5, 27, 4
	v_lshlrev_b32_sdwa v5, v11, v5 dst_sel:DWORD dst_unused:UNUSED_PAD src0_sel:DWORD src1_sel:BYTE_3
	v_sub_u32_e32 v10, 29, v10
	v_and_b32_e32 v5, 7, v5
	v_cmp_eq_u16_e32 vcc, 0, v8
	v_cndmask_b32_e32 v0, v0, v5, vcc
	v_cndmask_b32_e32 v5, v9, v10, vcc
	v_mov_b32_e32 v8, 0x3b800000
	v_lshlrev_b32_e32 v0, 20, v0
	v_lshl_add_u32 v5, v5, 23, v8
	v_or3_b32 v0, v4, v5, v0
.LBB3_1980:
	s_or_b64 exec, exec, s[6:7]
	s_movk_i32 s4, 0x7f
	v_cmp_gt_i16_sdwa s[6:7], v1, s4 src0_sel:BYTE_3 src1_sel:DWORD
	s_mov_b64 s[4:5], 0
                                        ; implicit-def: $sgpr10
	s_and_saveexec_b64 s[8:9], s[6:7]
	s_xor_b64 s[6:7], exec, s[8:9]
	s_cbranch_execnz .LBB3_4029
; %bb.1981:
	s_or_saveexec_b64 s[6:7], s[6:7]
	v_mov_b32_e32 v4, s10
	s_xor_b64 exec, exec, s[6:7]
	s_cbranch_execnz .LBB3_4032
.LBB3_1982:
	s_or_b64 exec, exec, s[6:7]
	s_and_saveexec_b64 s[6:7], s[4:5]
	s_cbranch_execz .LBB3_1984
.LBB3_1983:
	v_bfe_u32 v4, v1, 24, 3
	v_ffbh_u32_e32 v10, v4
	v_min_u32_e32 v10, 32, v10
	v_lshrrev_b32_e32 v8, 27, v1
	v_subrev_u32_e32 v11, 28, v10
	v_and_b32_e32 v5, 0x80000000, v1
	v_and_b32_e32 v8, 15, v8
	v_bfe_u32 v9, v1, 27, 4
	v_lshlrev_b32_sdwa v1, v11, v1 dst_sel:DWORD dst_unused:UNUSED_PAD src0_sel:DWORD src1_sel:BYTE_3
	v_sub_u32_e32 v10, 29, v10
	v_and_b32_e32 v1, 7, v1
	v_cmp_eq_u16_e32 vcc, 0, v8
	v_cndmask_b32_e32 v1, v4, v1, vcc
	v_cndmask_b32_e32 v4, v9, v10, vcc
	v_mov_b32_e32 v8, 0x3b800000
	v_lshlrev_b32_e32 v1, 20, v1
	v_lshl_add_u32 v4, v4, 23, v8
	v_or3_b32 v4, v5, v4, v1
.LBB3_1984:
	s_or_b64 exec, exec, s[6:7]
	s_nop 0
	v_mfma_f32_16x16x4f32 a[0:3], v0, v4, a[0:3]
	s_movk_i32 s4, 0x7f
	v_cmp_gt_i16_sdwa s[6:7], v6, s4 src0_sel:BYTE_0 src1_sel:DWORD
	s_mov_b64 s[4:5], 0
                                        ; implicit-def: $sgpr10
	s_and_saveexec_b64 s[8:9], s[6:7]
	s_xor_b64 s[6:7], exec, s[8:9]
	s_cbranch_execnz .LBB3_4033
; %bb.1985:
	s_or_saveexec_b64 s[6:7], s[6:7]
	v_mov_b32_e32 v0, s10
	s_xor_b64 exec, exec, s[6:7]
	s_cbranch_execnz .LBB3_4036
.LBB3_1986:
	s_or_b64 exec, exec, s[6:7]
	s_and_saveexec_b64 s[6:7], s[4:5]
	s_cbranch_execz .LBB3_1988
.LBB3_1987:
	v_and_b32_e32 v0, 7, v6
	v_ffbh_u32_e32 v4, v0
	v_min_u32_e32 v4, 32, v4
	v_lshrrev_b16_e32 v1, 3, v6
	v_subrev_u32_e32 v5, 28, v4
	v_and_b32_e32 v1, 15, v1
	v_lshlrev_b32_e32 v5, v5, v6
	v_sub_u32_e32 v4, 29, v4
	v_and_b32_e32 v5, 7, v5
	v_cmp_eq_u16_e32 vcc, 0, v1
	v_cndmask_b32_e32 v0, v0, v5, vcc
	v_cndmask_b32_e32 v1, v1, v4, vcc
	v_lshlrev_b32_e32 v4, 24, v6
	v_mov_b32_e32 v5, 0x3b800000
	v_lshlrev_b32_e32 v0, 20, v0
	v_and_b32_e32 v4, 0x80000000, v4
	v_lshl_add_u32 v1, v1, 23, v5
	v_or3_b32 v0, v4, v1, v0
.LBB3_1988:
	s_or_b64 exec, exec, s[6:7]
	s_movk_i32 s4, 0x7f
	v_cmp_gt_i16_sdwa s[6:7], v2, s4 src0_sel:BYTE_0 src1_sel:DWORD
	s_mov_b64 s[4:5], 0
                                        ; implicit-def: $sgpr10
	s_and_saveexec_b64 s[8:9], s[6:7]
	s_xor_b64 s[6:7], exec, s[8:9]
	s_cbranch_execnz .LBB3_4037
; %bb.1989:
	s_or_saveexec_b64 s[6:7], s[6:7]
	v_mov_b32_e32 v1, s10
	s_xor_b64 exec, exec, s[6:7]
	s_cbranch_execnz .LBB3_4040
.LBB3_1990:
	s_or_b64 exec, exec, s[6:7]
	s_and_saveexec_b64 s[6:7], s[4:5]
	s_cbranch_execz .LBB3_1992
.LBB3_1991:
	v_and_b32_e32 v1, 7, v2
	v_ffbh_u32_e32 v5, v1
	v_min_u32_e32 v5, 32, v5
	v_lshrrev_b16_e32 v4, 3, v2
	v_subrev_u32_e32 v8, 28, v5
	v_and_b32_e32 v4, 15, v4
	v_lshlrev_b32_e32 v8, v8, v2
	v_sub_u32_e32 v5, 29, v5
	v_and_b32_e32 v8, 7, v8
	v_cmp_eq_u16_e32 vcc, 0, v4
	v_cndmask_b32_e32 v1, v1, v8, vcc
	v_cndmask_b32_e32 v4, v4, v5, vcc
	v_lshlrev_b32_e32 v5, 24, v2
	v_mov_b32_e32 v8, 0x3b800000
	v_lshlrev_b32_e32 v1, 20, v1
	v_and_b32_e32 v5, 0x80000000, v5
	v_lshl_add_u32 v4, v4, 23, v8
	v_or3_b32 v1, v5, v4, v1
.LBB3_1992:
	s_or_b64 exec, exec, s[6:7]
	s_nop 0
	v_mfma_f32_16x16x4f32 a[0:3], v0, v1, a[0:3]
	v_lshrrev_b32_e32 v1, 8, v6
	s_movk_i32 s4, 0x7f
	v_cmp_gt_i16_sdwa s[6:7], v1, s4 src0_sel:BYTE_0 src1_sel:DWORD
	s_mov_b64 s[4:5], 0
                                        ; implicit-def: $sgpr10
	s_and_saveexec_b64 s[8:9], s[6:7]
	s_xor_b64 s[6:7], exec, s[8:9]
	s_cbranch_execnz .LBB3_4041
; %bb.1993:
	s_or_saveexec_b64 s[6:7], s[6:7]
	v_mov_b32_e32 v0, s10
	s_xor_b64 exec, exec, s[6:7]
	s_cbranch_execnz .LBB3_4044
.LBB3_1994:
	s_or_b64 exec, exec, s[6:7]
	s_and_saveexec_b64 s[6:7], s[4:5]
	s_cbranch_execz .LBB3_1996
.LBB3_1995:
	v_bfe_u32 v0, v6, 8, 3
	v_ffbh_u32_e32 v5, v0
	v_min_u32_e32 v5, 32, v5
	v_lshrrev_b16_e32 v4, 3, v1
	v_subrev_u32_e32 v8, 28, v5
	v_and_b32_e32 v4, 15, v4
	v_lshlrev_b32_e32 v1, v8, v1
	v_sub_u32_e32 v5, 29, v5
	v_and_b32_e32 v1, 7, v1
	v_cmp_eq_u16_e32 vcc, 0, v4
	v_cndmask_b32_e32 v0, v0, v1, vcc
	v_cndmask_b32_e32 v1, v4, v5, vcc
	v_lshlrev_b32_e32 v4, 16, v6
	v_mov_b32_e32 v5, 0x3b800000
	v_lshlrev_b32_e32 v0, 20, v0
	v_and_b32_e32 v4, 0x80000000, v4
	v_lshl_add_u32 v1, v1, 23, v5
	v_or3_b32 v0, v4, v1, v0
.LBB3_1996:
	s_or_b64 exec, exec, s[6:7]
	v_lshrrev_b32_e32 v1, 8, v2
	s_movk_i32 s4, 0x7f
	v_cmp_gt_i16_sdwa s[6:7], v1, s4 src0_sel:BYTE_0 src1_sel:DWORD
	s_mov_b64 s[4:5], 0
                                        ; implicit-def: $sgpr10
	s_and_saveexec_b64 s[8:9], s[6:7]
	s_xor_b64 s[6:7], exec, s[8:9]
	s_cbranch_execnz .LBB3_4045
; %bb.1997:
	s_or_saveexec_b64 s[6:7], s[6:7]
	v_mov_b32_e32 v4, s10
	s_xor_b64 exec, exec, s[6:7]
	s_cbranch_execnz .LBB3_4048
.LBB3_1998:
	s_or_b64 exec, exec, s[6:7]
	s_and_saveexec_b64 s[6:7], s[4:5]
	s_cbranch_execz .LBB3_2000
.LBB3_1999:
	v_bfe_u32 v4, v2, 8, 3
	v_ffbh_u32_e32 v8, v4
	v_min_u32_e32 v8, 32, v8
	v_lshrrev_b16_e32 v5, 3, v1
	v_subrev_u32_e32 v9, 28, v8
	v_and_b32_e32 v5, 15, v5
	v_lshlrev_b32_e32 v1, v9, v1
	v_sub_u32_e32 v8, 29, v8
	v_and_b32_e32 v1, 7, v1
	v_cmp_eq_u16_e32 vcc, 0, v5
	v_cndmask_b32_e32 v1, v4, v1, vcc
	v_cndmask_b32_e32 v4, v5, v8, vcc
	v_lshlrev_b32_e32 v5, 16, v2
	v_mov_b32_e32 v8, 0x3b800000
	v_lshlrev_b32_e32 v1, 20, v1
	v_and_b32_e32 v5, 0x80000000, v5
	v_lshl_add_u32 v4, v4, 23, v8
	v_or3_b32 v4, v5, v4, v1
.LBB3_2000:
	s_or_b64 exec, exec, s[6:7]
	s_nop 0
	v_mfma_f32_16x16x4f32 a[0:3], v0, v4, a[0:3]
	s_movk_i32 s4, 0xff
	v_and_b32_sdwa v1, v6, s4 dst_sel:DWORD dst_unused:UNUSED_PAD src0_sel:WORD_1 src1_sel:DWORD
	s_movk_i32 s4, 0x7f
	v_cmp_lt_i16_e32 vcc, s4, v1
	s_mov_b64 s[4:5], 0
                                        ; implicit-def: $sgpr10
	s_and_saveexec_b64 s[6:7], vcc
	s_xor_b64 s[6:7], exec, s[6:7]
	s_cbranch_execnz .LBB3_4049
; %bb.2001:
	s_or_saveexec_b64 s[6:7], s[6:7]
	v_mov_b32_e32 v0, s10
	s_xor_b64 exec, exec, s[6:7]
	s_cbranch_execnz .LBB3_4052
.LBB3_2002:
	s_or_b64 exec, exec, s[6:7]
	s_and_saveexec_b64 s[6:7], s[4:5]
	s_cbranch_execz .LBB3_2004
.LBB3_2003:
	v_bfe_u32 v0, v6, 16, 3
	v_ffbh_u32_e32 v5, v0
	v_min_u32_e32 v5, 32, v5
	v_lshrrev_b32_e32 v1, 19, v6
	v_subrev_u32_e32 v8, 28, v5
	v_and_b32_e32 v1, 15, v1
	v_lshlrev_b32_sdwa v8, v8, v6 dst_sel:DWORD dst_unused:UNUSED_PAD src0_sel:DWORD src1_sel:WORD_1
	v_bfe_u32 v4, v6, 19, 4
	v_sub_u32_e32 v5, 29, v5
	v_and_b32_e32 v8, 7, v8
	v_cmp_eq_u16_e32 vcc, 0, v1
	v_cndmask_b32_e32 v0, v0, v8, vcc
	v_cndmask_b32_e32 v1, v4, v5, vcc
	v_lshlrev_b32_e32 v4, 8, v6
	v_mov_b32_e32 v5, 0x3b800000
	v_lshlrev_b32_e32 v0, 20, v0
	v_and_b32_e32 v4, 0x80000000, v4
	v_lshl_add_u32 v1, v1, 23, v5
	v_or3_b32 v0, v4, v1, v0
.LBB3_2004:
	s_or_b64 exec, exec, s[6:7]
	s_movk_i32 s4, 0xff
	v_and_b32_sdwa v1, v2, s4 dst_sel:DWORD dst_unused:UNUSED_PAD src0_sel:WORD_1 src1_sel:DWORD
	s_movk_i32 s4, 0x7f
	v_cmp_lt_i16_e32 vcc, s4, v1
	s_mov_b64 s[4:5], 0
                                        ; implicit-def: $sgpr10
	s_and_saveexec_b64 s[6:7], vcc
	s_xor_b64 s[6:7], exec, s[6:7]
	s_cbranch_execnz .LBB3_4053
; %bb.2005:
	s_or_saveexec_b64 s[6:7], s[6:7]
	v_mov_b32_e32 v4, s10
	s_xor_b64 exec, exec, s[6:7]
	s_cbranch_execnz .LBB3_4056
.LBB3_2006:
	s_or_b64 exec, exec, s[6:7]
	s_and_saveexec_b64 s[6:7], s[4:5]
	s_cbranch_execz .LBB3_2008
.LBB3_2007:
	v_bfe_u32 v1, v2, 16, 3
	v_ffbh_u32_e32 v8, v1
	v_min_u32_e32 v8, 32, v8
	v_lshrrev_b32_e32 v4, 19, v2
	v_subrev_u32_e32 v9, 28, v8
	v_and_b32_e32 v4, 15, v4
	v_lshlrev_b32_sdwa v9, v9, v2 dst_sel:DWORD dst_unused:UNUSED_PAD src0_sel:DWORD src1_sel:WORD_1
	v_bfe_u32 v5, v2, 19, 4
	v_sub_u32_e32 v8, 29, v8
	v_and_b32_e32 v9, 7, v9
	v_cmp_eq_u16_e32 vcc, 0, v4
	v_cndmask_b32_e32 v1, v1, v9, vcc
	v_cndmask_b32_e32 v4, v5, v8, vcc
	v_lshlrev_b32_e32 v5, 8, v2
	v_mov_b32_e32 v8, 0x3b800000
	v_lshlrev_b32_e32 v1, 20, v1
	v_and_b32_e32 v5, 0x80000000, v5
	v_lshl_add_u32 v4, v4, 23, v8
	v_or3_b32 v4, v5, v4, v1
.LBB3_2008:
	s_or_b64 exec, exec, s[6:7]
	s_nop 0
	v_mfma_f32_16x16x4f32 a[0:3], v0, v4, a[0:3]
	s_movk_i32 s4, 0x7f
	v_cmp_gt_i16_sdwa s[6:7], v6, s4 src0_sel:BYTE_3 src1_sel:DWORD
	s_mov_b64 s[4:5], 0
                                        ; implicit-def: $sgpr10
	s_and_saveexec_b64 s[8:9], s[6:7]
	s_xor_b64 s[6:7], exec, s[8:9]
	s_cbranch_execnz .LBB3_4057
; %bb.2009:
	s_or_saveexec_b64 s[6:7], s[6:7]
	v_mov_b32_e32 v0, s10
	s_xor_b64 exec, exec, s[6:7]
	s_cbranch_execnz .LBB3_4060
.LBB3_2010:
	s_or_b64 exec, exec, s[6:7]
	s_and_saveexec_b64 s[6:7], s[4:5]
	s_cbranch_execz .LBB3_2012
.LBB3_2011:
	v_bfe_u32 v0, v6, 24, 3
	v_ffbh_u32_e32 v8, v0
	v_min_u32_e32 v8, 32, v8
	v_lshrrev_b32_e32 v4, 27, v6
	v_subrev_u32_e32 v9, 28, v8
	v_and_b32_e32 v1, 0x80000000, v6
	v_and_b32_e32 v4, 15, v4
	v_bfe_u32 v5, v6, 27, 4
	v_lshlrev_b32_sdwa v6, v9, v6 dst_sel:DWORD dst_unused:UNUSED_PAD src0_sel:DWORD src1_sel:BYTE_3
	v_sub_u32_e32 v8, 29, v8
	v_and_b32_e32 v6, 7, v6
	v_cmp_eq_u16_e32 vcc, 0, v4
	v_cndmask_b32_e32 v0, v0, v6, vcc
	v_cndmask_b32_e32 v4, v5, v8, vcc
	v_mov_b32_e32 v5, 0x3b800000
	v_lshlrev_b32_e32 v0, 20, v0
	v_lshl_add_u32 v4, v4, 23, v5
	v_or3_b32 v0, v1, v4, v0
.LBB3_2012:
	s_or_b64 exec, exec, s[6:7]
	s_movk_i32 s4, 0x7f
	v_cmp_gt_i16_sdwa s[6:7], v2, s4 src0_sel:BYTE_3 src1_sel:DWORD
	s_mov_b64 s[4:5], 0
                                        ; implicit-def: $sgpr10
	s_and_saveexec_b64 s[8:9], s[6:7]
	s_xor_b64 s[6:7], exec, s[8:9]
	s_cbranch_execnz .LBB3_4061
; %bb.2013:
	s_or_saveexec_b64 s[6:7], s[6:7]
	v_mov_b32_e32 v1, s10
	s_xor_b64 exec, exec, s[6:7]
	s_cbranch_execnz .LBB3_4064
.LBB3_2014:
	s_or_b64 exec, exec, s[6:7]
	s_and_saveexec_b64 s[6:7], s[4:5]
	s_cbranch_execz .LBB3_2016
.LBB3_2015:
	v_bfe_u32 v1, v2, 24, 3
	v_ffbh_u32_e32 v8, v1
	v_min_u32_e32 v8, 32, v8
	v_lshrrev_b32_e32 v5, 27, v2
	v_subrev_u32_e32 v9, 28, v8
	v_and_b32_e32 v4, 0x80000000, v2
	v_and_b32_e32 v5, 15, v5
	v_bfe_u32 v6, v2, 27, 4
	v_lshlrev_b32_sdwa v2, v9, v2 dst_sel:DWORD dst_unused:UNUSED_PAD src0_sel:DWORD src1_sel:BYTE_3
	v_sub_u32_e32 v8, 29, v8
	v_and_b32_e32 v2, 7, v2
	v_cmp_eq_u16_e32 vcc, 0, v5
	v_cndmask_b32_e32 v1, v1, v2, vcc
	v_cndmask_b32_e32 v2, v6, v8, vcc
	v_mov_b32_e32 v5, 0x3b800000
	v_lshlrev_b32_e32 v1, 20, v1
	v_lshl_add_u32 v2, v2, 23, v5
	v_or3_b32 v1, v4, v2, v1
.LBB3_2016:
	s_or_b64 exec, exec, s[6:7]
	s_nop 0
	v_mfma_f32_16x16x4f32 a[0:3], v0, v1, a[0:3]
	s_movk_i32 s4, 0x7f
	v_cmp_gt_i16_sdwa s[6:7], v7, s4 src0_sel:BYTE_0 src1_sel:DWORD
	s_mov_b64 s[4:5], 0
                                        ; implicit-def: $sgpr10
	s_and_saveexec_b64 s[8:9], s[6:7]
	s_xor_b64 s[6:7], exec, s[8:9]
	s_cbranch_execnz .LBB3_4065
; %bb.2017:
	s_or_saveexec_b64 s[6:7], s[6:7]
	v_mov_b32_e32 v0, s10
	s_xor_b64 exec, exec, s[6:7]
	s_cbranch_execnz .LBB3_4068
.LBB3_2018:
	s_or_b64 exec, exec, s[6:7]
	s_and_saveexec_b64 s[6:7], s[4:5]
	s_cbranch_execz .LBB3_2020
.LBB3_2019:
	v_mov_b32_e32 v0, 8
	v_and_b32_e32 v1, 7, v7
	v_lshrrev_b32_sdwa v0, v0, v7 dst_sel:BYTE_1 dst_unused:UNUSED_PAD src0_sel:DWORD src1_sel:DWORD
	v_ffbh_u32_e32 v2, v1
	v_or_b32_sdwa v0, v7, v0 dst_sel:DWORD dst_unused:UNUSED_PAD src0_sel:BYTE_0 src1_sel:DWORD
	v_min_u32_e32 v2, 32, v2
	v_lshrrev_b16_e32 v0, 3, v0
	v_subrev_u32_e32 v4, 28, v2
	v_and_b32_e32 v0, 15, v0
	v_lshlrev_b32_e32 v4, v4, v7
	v_sub_u32_e32 v2, 29, v2
	v_and_b32_e32 v4, 7, v4
	v_cmp_eq_u16_e32 vcc, 0, v0
	v_cndmask_b32_e32 v1, v1, v4, vcc
	v_cndmask_b32_e32 v0, v0, v2, vcc
	v_lshlrev_b32_e32 v2, 24, v7
	v_mov_b32_e32 v4, 0x3b800000
	v_lshlrev_b32_e32 v1, 20, v1
	v_and_b32_e32 v2, 0x80000000, v2
	v_lshl_add_u32 v0, v0, 23, v4
	v_or3_b32 v0, v2, v0, v1
.LBB3_2020:
	s_or_b64 exec, exec, s[6:7]
	s_movk_i32 s4, 0x7f
	v_cmp_gt_i16_sdwa s[6:7], v3, s4 src0_sel:BYTE_0 src1_sel:DWORD
	s_mov_b64 s[4:5], 0
                                        ; implicit-def: $sgpr10
	s_and_saveexec_b64 s[8:9], s[6:7]
	s_xor_b64 s[6:7], exec, s[8:9]
	s_cbranch_execnz .LBB3_4069
; %bb.2021:
	s_or_saveexec_b64 s[6:7], s[6:7]
	v_mov_b32_e32 v1, s10
	s_xor_b64 exec, exec, s[6:7]
	s_cbranch_execnz .LBB3_4072
.LBB3_2022:
	s_or_b64 exec, exec, s[6:7]
	s_and_saveexec_b64 s[6:7], s[4:5]
	s_cbranch_execz .LBB3_2024
.LBB3_2023:
	v_mov_b32_e32 v1, 8
	v_and_b32_e32 v2, 7, v3
	v_lshrrev_b32_sdwa v1, v1, v3 dst_sel:BYTE_1 dst_unused:UNUSED_PAD src0_sel:DWORD src1_sel:DWORD
	v_ffbh_u32_e32 v4, v2
	v_or_b32_sdwa v1, v3, v1 dst_sel:DWORD dst_unused:UNUSED_PAD src0_sel:BYTE_0 src1_sel:DWORD
	v_min_u32_e32 v4, 32, v4
	v_lshrrev_b16_e32 v1, 3, v1
	v_subrev_u32_e32 v5, 28, v4
	v_and_b32_e32 v1, 15, v1
	v_lshlrev_b32_e32 v5, v5, v3
	v_sub_u32_e32 v4, 29, v4
	v_and_b32_e32 v5, 7, v5
	v_cmp_eq_u16_e32 vcc, 0, v1
	v_cndmask_b32_e32 v2, v2, v5, vcc
	v_cndmask_b32_e32 v1, v1, v4, vcc
	v_lshlrev_b32_e32 v4, 24, v3
	v_mov_b32_e32 v5, 0x3b800000
	v_lshlrev_b32_e32 v2, 20, v2
	v_and_b32_e32 v4, 0x80000000, v4
	v_lshl_add_u32 v1, v1, 23, v5
	v_or3_b32 v1, v4, v1, v2
.LBB3_2024:
	s_or_b64 exec, exec, s[6:7]
	s_nop 0
	v_mfma_f32_16x16x4f32 a[0:3], v0, v1, a[0:3]
	v_lshrrev_b32_e32 v1, 8, v7
	s_movk_i32 s4, 0x7f
	v_cmp_gt_i16_sdwa s[6:7], v1, s4 src0_sel:BYTE_0 src1_sel:DWORD
	s_mov_b64 s[4:5], 0
                                        ; implicit-def: $sgpr10
	s_and_saveexec_b64 s[8:9], s[6:7]
	s_xor_b64 s[6:7], exec, s[8:9]
	s_cbranch_execnz .LBB3_4073
; %bb.2025:
	s_or_saveexec_b64 s[6:7], s[6:7]
	v_mov_b32_e32 v0, s10
	s_xor_b64 exec, exec, s[6:7]
	s_cbranch_execnz .LBB3_4076
.LBB3_2026:
	s_or_b64 exec, exec, s[6:7]
	s_and_saveexec_b64 s[6:7], s[4:5]
	s_cbranch_execz .LBB3_2028
.LBB3_2027:
	v_bfe_u32 v0, v7, 8, 3
	v_ffbh_u32_e32 v4, v0
	v_min_u32_e32 v4, 32, v4
	v_lshrrev_b16_e32 v2, 3, v1
	v_subrev_u32_e32 v5, 28, v4
	v_and_b32_e32 v2, 15, v2
	v_lshlrev_b32_e32 v1, v5, v1
	v_sub_u32_e32 v4, 29, v4
	v_and_b32_e32 v1, 7, v1
	v_cmp_eq_u16_e32 vcc, 0, v2
	v_cndmask_b32_e32 v0, v0, v1, vcc
	v_cndmask_b32_e32 v1, v2, v4, vcc
	v_lshlrev_b32_e32 v2, 16, v7
	v_mov_b32_e32 v4, 0x3b800000
	v_lshlrev_b32_e32 v0, 20, v0
	v_and_b32_e32 v2, 0x80000000, v2
	v_lshl_add_u32 v1, v1, 23, v4
	v_or3_b32 v0, v2, v1, v0
.LBB3_2028:
	s_or_b64 exec, exec, s[6:7]
	v_lshrrev_b32_e32 v1, 8, v3
	s_movk_i32 s4, 0x7f
	v_cmp_gt_i16_sdwa s[6:7], v1, s4 src0_sel:BYTE_0 src1_sel:DWORD
	s_mov_b64 s[4:5], 0
                                        ; implicit-def: $sgpr10
	s_and_saveexec_b64 s[8:9], s[6:7]
	s_xor_b64 s[6:7], exec, s[8:9]
	s_cbranch_execnz .LBB3_4077
; %bb.2029:
	s_or_saveexec_b64 s[6:7], s[6:7]
	v_mov_b32_e32 v2, s10
	s_xor_b64 exec, exec, s[6:7]
	s_cbranch_execnz .LBB3_4080
.LBB3_2030:
	s_or_b64 exec, exec, s[6:7]
	s_and_saveexec_b64 s[6:7], s[4:5]
	s_cbranch_execz .LBB3_2032
.LBB3_2031:
	v_bfe_u32 v2, v3, 8, 3
	v_ffbh_u32_e32 v5, v2
	v_min_u32_e32 v5, 32, v5
	v_lshrrev_b16_e32 v4, 3, v1
	v_subrev_u32_e32 v6, 28, v5
	v_and_b32_e32 v4, 15, v4
	v_lshlrev_b32_e32 v1, v6, v1
	v_sub_u32_e32 v5, 29, v5
	v_and_b32_e32 v1, 7, v1
	v_cmp_eq_u16_e32 vcc, 0, v4
	v_cndmask_b32_e32 v1, v2, v1, vcc
	v_cndmask_b32_e32 v2, v4, v5, vcc
	v_lshlrev_b32_e32 v4, 16, v3
	v_mov_b32_e32 v5, 0x3b800000
	v_lshlrev_b32_e32 v1, 20, v1
	v_and_b32_e32 v4, 0x80000000, v4
	v_lshl_add_u32 v2, v2, 23, v5
	v_or3_b32 v2, v4, v2, v1
.LBB3_2032:
	s_or_b64 exec, exec, s[6:7]
	s_nop 0
	v_mfma_f32_16x16x4f32 a[0:3], v0, v2, a[0:3]
	s_movk_i32 s4, 0xff
	v_and_b32_sdwa v1, v7, s4 dst_sel:DWORD dst_unused:UNUSED_PAD src0_sel:WORD_1 src1_sel:DWORD
	s_movk_i32 s4, 0x7f
	v_cmp_lt_i16_e32 vcc, s4, v1
	s_mov_b64 s[4:5], 0
                                        ; implicit-def: $sgpr10
	s_and_saveexec_b64 s[6:7], vcc
	s_xor_b64 s[6:7], exec, s[6:7]
	s_cbranch_execnz .LBB3_4081
; %bb.2033:
	s_or_saveexec_b64 s[6:7], s[6:7]
	v_mov_b32_e32 v0, s10
	s_xor_b64 exec, exec, s[6:7]
	s_cbranch_execnz .LBB3_4084
.LBB3_2034:
	s_or_b64 exec, exec, s[6:7]
	s_and_saveexec_b64 s[6:7], s[4:5]
	s_cbranch_execz .LBB3_2036
.LBB3_2035:
	v_bfe_u32 v0, v7, 16, 3
	v_ffbh_u32_e32 v4, v0
	v_min_u32_e32 v4, 32, v4
	v_lshrrev_b32_e32 v1, 19, v7
	v_subrev_u32_e32 v5, 28, v4
	v_and_b32_e32 v1, 15, v1
	v_lshlrev_b32_sdwa v5, v5, v7 dst_sel:DWORD dst_unused:UNUSED_PAD src0_sel:DWORD src1_sel:WORD_1
	v_bfe_u32 v2, v7, 19, 4
	v_sub_u32_e32 v4, 29, v4
	v_and_b32_e32 v5, 7, v5
	v_cmp_eq_u16_e32 vcc, 0, v1
	v_cndmask_b32_e32 v0, v0, v5, vcc
	v_cndmask_b32_e32 v1, v2, v4, vcc
	v_lshlrev_b32_e32 v2, 8, v7
	v_mov_b32_e32 v4, 0x3b800000
	v_lshlrev_b32_e32 v0, 20, v0
	v_and_b32_e32 v2, 0x80000000, v2
	v_lshl_add_u32 v1, v1, 23, v4
	v_or3_b32 v0, v2, v1, v0
.LBB3_2036:
	s_or_b64 exec, exec, s[6:7]
	s_movk_i32 s4, 0xff
	v_and_b32_sdwa v1, v3, s4 dst_sel:DWORD dst_unused:UNUSED_PAD src0_sel:WORD_1 src1_sel:DWORD
	s_movk_i32 s4, 0x7f
	v_cmp_lt_i16_e32 vcc, s4, v1
	s_mov_b64 s[4:5], 0
                                        ; implicit-def: $sgpr10
	s_and_saveexec_b64 s[6:7], vcc
	s_xor_b64 s[6:7], exec, s[6:7]
	s_cbranch_execnz .LBB3_4085
; %bb.2037:
	s_or_saveexec_b64 s[6:7], s[6:7]
	v_mov_b32_e32 v2, s10
	s_xor_b64 exec, exec, s[6:7]
	s_cbranch_execnz .LBB3_4088
.LBB3_2038:
	s_or_b64 exec, exec, s[6:7]
	s_and_saveexec_b64 s[6:7], s[4:5]
	s_cbranch_execz .LBB3_2040
.LBB3_2039:
	v_bfe_u32 v1, v3, 16, 3
	v_ffbh_u32_e32 v5, v1
	v_min_u32_e32 v5, 32, v5
	v_lshrrev_b32_e32 v2, 19, v3
	v_subrev_u32_e32 v6, 28, v5
	v_and_b32_e32 v2, 15, v2
	v_lshlrev_b32_sdwa v6, v6, v3 dst_sel:DWORD dst_unused:UNUSED_PAD src0_sel:DWORD src1_sel:WORD_1
	v_bfe_u32 v4, v3, 19, 4
	v_sub_u32_e32 v5, 29, v5
	v_and_b32_e32 v6, 7, v6
	v_cmp_eq_u16_e32 vcc, 0, v2
	v_cndmask_b32_e32 v1, v1, v6, vcc
	v_cndmask_b32_e32 v2, v4, v5, vcc
	v_lshlrev_b32_e32 v4, 8, v3
	v_mov_b32_e32 v5, 0x3b800000
	v_lshlrev_b32_e32 v1, 20, v1
	v_and_b32_e32 v4, 0x80000000, v4
	v_lshl_add_u32 v2, v2, 23, v5
	v_or3_b32 v2, v4, v2, v1
.LBB3_2040:
	s_or_b64 exec, exec, s[6:7]
	s_nop 0
	v_mfma_f32_16x16x4f32 a[0:3], v0, v2, a[0:3]
	s_movk_i32 s4, 0x7f
	v_cmp_gt_i16_sdwa s[6:7], v7, s4 src0_sel:BYTE_3 src1_sel:DWORD
	s_mov_b64 s[4:5], 0
                                        ; implicit-def: $sgpr10
	s_and_saveexec_b64 s[8:9], s[6:7]
	s_xor_b64 s[6:7], exec, s[8:9]
	s_cbranch_execnz .LBB3_4089
; %bb.2041:
	s_or_saveexec_b64 s[6:7], s[6:7]
	v_mov_b32_e32 v0, s10
	s_xor_b64 exec, exec, s[6:7]
	s_cbranch_execnz .LBB3_4092
.LBB3_2042:
	s_or_b64 exec, exec, s[6:7]
	s_and_saveexec_b64 s[6:7], s[4:5]
	s_cbranch_execz .LBB3_2044
.LBB3_2043:
	v_bfe_u32 v0, v7, 24, 3
	v_ffbh_u32_e32 v5, v0
	v_min_u32_e32 v5, 32, v5
	v_lshrrev_b32_e32 v2, 27, v7
	v_subrev_u32_e32 v6, 28, v5
	v_and_b32_e32 v2, 15, v2
	v_lshlrev_b32_sdwa v6, v6, v7 dst_sel:DWORD dst_unused:UNUSED_PAD src0_sel:DWORD src1_sel:BYTE_3
	v_bfe_u32 v4, v7, 27, 4
	v_sub_u32_e32 v5, 29, v5
	v_and_b32_e32 v6, 7, v6
	v_cmp_eq_u16_e32 vcc, 0, v2
	v_cndmask_b32_e32 v0, v0, v6, vcc
	v_cndmask_b32_e32 v2, v4, v5, vcc
	v_mov_b32_e32 v4, 0x3b800000
	v_and_b32_e32 v1, 0x80000000, v7
	v_lshlrev_b32_e32 v0, 20, v0
	v_lshl_add_u32 v2, v2, 23, v4
	v_or3_b32 v0, v1, v2, v0
.LBB3_2044:
	s_or_b64 exec, exec, s[6:7]
	s_movk_i32 s4, 0x7f
	v_cmp_gt_i16_sdwa s[6:7], v3, s4 src0_sel:BYTE_3 src1_sel:DWORD
	s_mov_b64 s[4:5], 0
                                        ; implicit-def: $sgpr10
	s_and_saveexec_b64 s[8:9], s[6:7]
	s_xor_b64 s[6:7], exec, s[8:9]
	s_cbranch_execnz .LBB3_4093
; %bb.2045:
	s_or_saveexec_b64 s[6:7], s[6:7]
	v_mov_b32_e32 v1, s10
	s_xor_b64 exec, exec, s[6:7]
	s_cbranch_execnz .LBB3_4096
.LBB3_2046:
	s_or_b64 exec, exec, s[6:7]
	s_and_saveexec_b64 s[6:7], s[4:5]
	s_cbranch_execz .LBB3_2048
.LBB3_2047:
	v_bfe_u32 v1, v3, 24, 3
	v_ffbh_u32_e32 v6, v1
	v_min_u32_e32 v6, 32, v6
	v_lshrrev_b32_e32 v4, 27, v3
	v_subrev_u32_e32 v7, 28, v6
	v_and_b32_e32 v2, 0x80000000, v3
	v_and_b32_e32 v4, 15, v4
	v_bfe_u32 v5, v3, 27, 4
	v_lshlrev_b32_sdwa v3, v7, v3 dst_sel:DWORD dst_unused:UNUSED_PAD src0_sel:DWORD src1_sel:BYTE_3
	v_sub_u32_e32 v6, 29, v6
	v_and_b32_e32 v3, 7, v3
	v_cmp_eq_u16_e32 vcc, 0, v4
	v_cndmask_b32_e32 v1, v1, v3, vcc
	v_cndmask_b32_e32 v3, v5, v6, vcc
	v_mov_b32_e32 v4, 0x3b800000
	v_lshlrev_b32_e32 v1, 20, v1
	v_lshl_add_u32 v3, v3, 23, v4
	v_or3_b32 v1, v2, v3, v1
.LBB3_2048:
	s_or_b64 exec, exec, s[6:7]
	s_nop 0
	v_mfma_f32_16x16x4f32 a[0:3], v0, v1, a[0:3]
	s_nop 7
	s_nop 2
	flat_store_dwordx4 v[16:17], a[0:3] offset:240
	s_waitcnt vmcnt(0) lgkmcnt(0)
	s_setpc_b64 s[30:31]
.LBB3_2049:
	s_movk_i32 s4, 0x80
	v_cmp_eq_u16_sdwa s[12:13], v14, s4 src0_sel:BYTE_0 src1_sel:DWORD
	s_mov_b64 s[4:5], -1
                                        ; implicit-def: $sgpr10
	s_and_saveexec_b64 s[8:9], s[12:13]
; %bb.2050:
	s_mov_b32 s10, 0x7f800001
	s_xor_b64 s[4:5], exec, -1
; %bb.2051:
	s_or_b64 exec, exec, s[8:9]
	s_and_b64 s[4:5], s[4:5], exec
	s_or_saveexec_b64 s[6:7], s[6:7]
	v_mov_b32_e32 v20, s10
	s_xor_b64 exec, exec, s[6:7]
	s_cbranch_execz .LBB3_2
.LBB3_2052:
	v_mov_b32_e32 v20, 0
	v_cmp_ne_u16_sdwa s[8:9], v14, v20 src0_sel:BYTE_0 src1_sel:DWORD
	s_andn2_b64 s[4:5], s[4:5], exec
	s_and_b64 s[8:9], s[8:9], exec
	s_or_b64 s[4:5], s[4:5], s[8:9]
	s_or_b64 exec, exec, s[6:7]
	s_and_saveexec_b64 s[6:7], s[4:5]
	s_cbranch_execnz .LBB3_3
	s_branch .LBB3_4
.LBB3_2053:
	s_movk_i32 s4, 0x80
	v_cmp_eq_u16_sdwa s[12:13], v10, s4 src0_sel:BYTE_0 src1_sel:DWORD
	s_mov_b64 s[4:5], -1
                                        ; implicit-def: $sgpr10
	s_and_saveexec_b64 s[8:9], s[12:13]
; %bb.2054:
	s_mov_b32 s10, 0x7f800001
	s_xor_b64 s[4:5], exec, -1
; %bb.2055:
	s_or_b64 exec, exec, s[8:9]
	s_and_b64 s[4:5], s[4:5], exec
	s_or_saveexec_b64 s[6:7], s[6:7]
	v_mov_b32_e32 v21, s10
	s_xor_b64 exec, exec, s[6:7]
	s_cbranch_execz .LBB3_6
.LBB3_2056:
	v_mov_b32_e32 v21, 0
	v_cmp_ne_u16_sdwa s[8:9], v10, v21 src0_sel:BYTE_0 src1_sel:DWORD
	s_andn2_b64 s[4:5], s[4:5], exec
	s_and_b64 s[8:9], s[8:9], exec
	s_or_b64 s[4:5], s[4:5], s[8:9]
	s_or_b64 exec, exec, s[6:7]
	s_and_saveexec_b64 s[6:7], s[4:5]
	s_cbranch_execnz .LBB3_7
	s_branch .LBB3_8
.LBB3_2057:
	s_movk_i32 s4, 0x80
	v_cmp_eq_u16_sdwa s[12:13], v21, s4 src0_sel:BYTE_0 src1_sel:DWORD
	s_mov_b64 s[4:5], -1
                                        ; implicit-def: $sgpr10
	s_and_saveexec_b64 s[8:9], s[12:13]
; %bb.2058:
	s_mov_b32 s10, 0x7f800001
	s_xor_b64 s[4:5], exec, -1
; %bb.2059:
	s_or_b64 exec, exec, s[8:9]
	s_and_b64 s[4:5], s[4:5], exec
	s_or_saveexec_b64 s[6:7], s[6:7]
	v_mov_b32_e32 v20, s10
	s_xor_b64 exec, exec, s[6:7]
	s_cbranch_execz .LBB3_10
.LBB3_2060:
	v_mov_b32_e32 v20, 0
	v_cmp_ne_u16_sdwa s[8:9], v21, v20 src0_sel:BYTE_0 src1_sel:DWORD
	s_andn2_b64 s[4:5], s[4:5], exec
	s_and_b64 s[8:9], s[8:9], exec
	s_or_b64 s[4:5], s[4:5], s[8:9]
	s_or_b64 exec, exec, s[6:7]
	s_and_saveexec_b64 s[6:7], s[4:5]
	s_cbranch_execnz .LBB3_11
	s_branch .LBB3_12
.LBB3_2061:
	s_movk_i32 s4, 0x80
	v_cmp_eq_u16_sdwa s[12:13], v21, s4 src0_sel:BYTE_0 src1_sel:DWORD
	s_mov_b64 s[4:5], -1
                                        ; implicit-def: $sgpr10
	s_and_saveexec_b64 s[8:9], s[12:13]
; %bb.2062:
	s_mov_b32 s10, 0x7f800001
	s_xor_b64 s[4:5], exec, -1
; %bb.2063:
	s_or_b64 exec, exec, s[8:9]
	s_and_b64 s[4:5], s[4:5], exec
	s_or_saveexec_b64 s[6:7], s[6:7]
	v_mov_b32_e32 v22, s10
	s_xor_b64 exec, exec, s[6:7]
	s_cbranch_execz .LBB3_14
.LBB3_2064:
	v_mov_b32_e32 v22, 0
	v_cmp_ne_u16_sdwa s[8:9], v21, v22 src0_sel:BYTE_0 src1_sel:DWORD
	s_andn2_b64 s[4:5], s[4:5], exec
	s_and_b64 s[8:9], s[8:9], exec
	s_or_b64 s[4:5], s[4:5], s[8:9]
	s_or_b64 exec, exec, s[6:7]
	s_and_saveexec_b64 s[6:7], s[4:5]
	s_cbranch_execnz .LBB3_15
	s_branch .LBB3_16
.LBB3_2065:
	s_movk_i32 s4, 0x80
	v_cmp_eq_u16_e32 vcc, s4, v21
	s_mov_b64 s[4:5], -1
                                        ; implicit-def: $sgpr10
	s_and_saveexec_b64 s[8:9], vcc
; %bb.2066:
	s_mov_b32 s10, 0x7f800001
	s_xor_b64 s[4:5], exec, -1
; %bb.2067:
	s_or_b64 exec, exec, s[8:9]
	s_and_b64 s[4:5], s[4:5], exec
                                        ; implicit-def: $vgpr21
	s_or_saveexec_b64 s[6:7], s[6:7]
	v_mov_b32_e32 v20, s10
	s_xor_b64 exec, exec, s[6:7]
	s_cbranch_execz .LBB3_18
.LBB3_2068:
	v_cmp_ne_u16_e32 vcc, 0, v21
	s_andn2_b64 s[4:5], s[4:5], exec
	s_and_b64 s[8:9], vcc, exec
	v_mov_b32_e32 v20, 0
	s_or_b64 s[4:5], s[4:5], s[8:9]
	s_or_b64 exec, exec, s[6:7]
	s_and_saveexec_b64 s[6:7], s[4:5]
	s_cbranch_execnz .LBB3_19
	s_branch .LBB3_20
.LBB3_2069:
	s_movk_i32 s4, 0x80
	v_cmp_eq_u16_e32 vcc, s4, v21
	s_mov_b64 s[4:5], -1
                                        ; implicit-def: $sgpr10
	s_and_saveexec_b64 s[8:9], vcc
; %bb.2070:
	s_mov_b32 s10, 0x7f800001
	s_xor_b64 s[4:5], exec, -1
; %bb.2071:
	s_or_b64 exec, exec, s[8:9]
	s_and_b64 s[4:5], s[4:5], exec
                                        ; implicit-def: $vgpr21
	s_or_saveexec_b64 s[6:7], s[6:7]
	v_mov_b32_e32 v22, s10
	s_xor_b64 exec, exec, s[6:7]
	s_cbranch_execz .LBB3_22
.LBB3_2072:
	v_cmp_ne_u16_e32 vcc, 0, v21
	s_andn2_b64 s[4:5], s[4:5], exec
	s_and_b64 s[8:9], vcc, exec
	v_mov_b32_e32 v22, 0
	s_or_b64 s[4:5], s[4:5], s[8:9]
	s_or_b64 exec, exec, s[6:7]
	s_and_saveexec_b64 s[6:7], s[4:5]
	s_cbranch_execnz .LBB3_23
	s_branch .LBB3_24
.LBB3_2073:
	s_movk_i32 s4, 0x80
	v_cmp_eq_u16_sdwa s[12:13], v14, s4 src0_sel:BYTE_3 src1_sel:DWORD
	s_mov_b64 s[4:5], -1
                                        ; implicit-def: $sgpr10
	s_and_saveexec_b64 s[8:9], s[12:13]
; %bb.2074:
	s_mov_b32 s10, 0x7f800001
	s_xor_b64 s[4:5], exec, -1
; %bb.2075:
	s_or_b64 exec, exec, s[8:9]
	s_and_b64 s[4:5], s[4:5], exec
	s_or_saveexec_b64 s[6:7], s[6:7]
	v_mov_b32_e32 v20, s10
	s_xor_b64 exec, exec, s[6:7]
	s_cbranch_execz .LBB3_26
.LBB3_2076:
	v_mov_b32_e32 v20, 0
	v_cmp_ne_u16_sdwa s[8:9], v14, v20 src0_sel:BYTE_3 src1_sel:DWORD
	s_andn2_b64 s[4:5], s[4:5], exec
	s_and_b64 s[8:9], s[8:9], exec
	s_or_b64 s[4:5], s[4:5], s[8:9]
	s_or_b64 exec, exec, s[6:7]
	s_and_saveexec_b64 s[6:7], s[4:5]
	s_cbranch_execnz .LBB3_27
	s_branch .LBB3_28
.LBB3_2077:
	s_movk_i32 s4, 0x80
	v_cmp_eq_u16_sdwa s[12:13], v10, s4 src0_sel:BYTE_3 src1_sel:DWORD
	s_mov_b64 s[4:5], -1
                                        ; implicit-def: $sgpr10
	s_and_saveexec_b64 s[8:9], s[12:13]
; %bb.2078:
	s_mov_b32 s10, 0x7f800001
	s_xor_b64 s[4:5], exec, -1
; %bb.2079:
	s_or_b64 exec, exec, s[8:9]
	s_and_b64 s[4:5], s[4:5], exec
	s_or_saveexec_b64 s[6:7], s[6:7]
	v_mov_b32_e32 v14, s10
	s_xor_b64 exec, exec, s[6:7]
	s_cbranch_execz .LBB3_30
.LBB3_2080:
	v_mov_b32_e32 v14, 0
	v_cmp_ne_u16_sdwa s[8:9], v10, v14 src0_sel:BYTE_3 src1_sel:DWORD
	s_andn2_b64 s[4:5], s[4:5], exec
	s_and_b64 s[8:9], s[8:9], exec
	s_or_b64 s[4:5], s[4:5], s[8:9]
	s_or_b64 exec, exec, s[6:7]
	s_and_saveexec_b64 s[6:7], s[4:5]
	s_cbranch_execnz .LBB3_31
	s_branch .LBB3_32
.LBB3_2081:
	s_movk_i32 s4, 0x80
	v_cmp_eq_u16_sdwa s[12:13], v15, s4 src0_sel:BYTE_0 src1_sel:DWORD
	s_mov_b64 s[4:5], -1
                                        ; implicit-def: $sgpr10
	s_and_saveexec_b64 s[8:9], s[12:13]
; %bb.2082:
	s_mov_b32 s10, 0x7f800001
	s_xor_b64 s[4:5], exec, -1
; %bb.2083:
	s_or_b64 exec, exec, s[8:9]
	s_and_b64 s[4:5], s[4:5], exec
	s_or_saveexec_b64 s[6:7], s[6:7]
	v_mov_b32_e32 v10, s10
	s_xor_b64 exec, exec, s[6:7]
	s_cbranch_execz .LBB3_34
.LBB3_2084:
	v_mov_b32_e32 v10, 0
	v_cmp_ne_u16_sdwa s[8:9], v15, v10 src0_sel:BYTE_0 src1_sel:DWORD
	s_andn2_b64 s[4:5], s[4:5], exec
	s_and_b64 s[8:9], s[8:9], exec
	s_or_b64 s[4:5], s[4:5], s[8:9]
	s_or_b64 exec, exec, s[6:7]
	s_and_saveexec_b64 s[6:7], s[4:5]
	s_cbranch_execnz .LBB3_35
	s_branch .LBB3_36
.LBB3_2085:
	s_movk_i32 s4, 0x80
	v_cmp_eq_u16_sdwa s[12:13], v11, s4 src0_sel:BYTE_0 src1_sel:DWORD
	s_mov_b64 s[4:5], -1
                                        ; implicit-def: $sgpr10
	s_and_saveexec_b64 s[8:9], s[12:13]
; %bb.2086:
	s_mov_b32 s10, 0x7f800001
	s_xor_b64 s[4:5], exec, -1
; %bb.2087:
	s_or_b64 exec, exec, s[8:9]
	s_and_b64 s[4:5], s[4:5], exec
	s_or_saveexec_b64 s[6:7], s[6:7]
	v_mov_b32_e32 v14, s10
	s_xor_b64 exec, exec, s[6:7]
	s_cbranch_execz .LBB3_38
.LBB3_2088:
	v_mov_b32_e32 v14, 0
	v_cmp_ne_u16_sdwa s[8:9], v11, v14 src0_sel:BYTE_0 src1_sel:DWORD
	s_andn2_b64 s[4:5], s[4:5], exec
	s_and_b64 s[8:9], s[8:9], exec
	s_or_b64 s[4:5], s[4:5], s[8:9]
	s_or_b64 exec, exec, s[6:7]
	s_and_saveexec_b64 s[6:7], s[4:5]
	s_cbranch_execnz .LBB3_39
	s_branch .LBB3_40
.LBB3_2089:
	s_movk_i32 s4, 0x80
	v_cmp_eq_u16_sdwa s[12:13], v14, s4 src0_sel:BYTE_0 src1_sel:DWORD
	s_mov_b64 s[4:5], -1
                                        ; implicit-def: $sgpr10
	s_and_saveexec_b64 s[8:9], s[12:13]
; %bb.2090:
	s_mov_b32 s10, 0x7f800001
	s_xor_b64 s[4:5], exec, -1
; %bb.2091:
	s_or_b64 exec, exec, s[8:9]
	s_and_b64 s[4:5], s[4:5], exec
	s_or_saveexec_b64 s[6:7], s[6:7]
	v_mov_b32_e32 v10, s10
	s_xor_b64 exec, exec, s[6:7]
	s_cbranch_execz .LBB3_42
.LBB3_2092:
	v_mov_b32_e32 v10, 0
	v_cmp_ne_u16_sdwa s[8:9], v14, v10 src0_sel:BYTE_0 src1_sel:DWORD
	s_andn2_b64 s[4:5], s[4:5], exec
	s_and_b64 s[8:9], s[8:9], exec
	s_or_b64 s[4:5], s[4:5], s[8:9]
	s_or_b64 exec, exec, s[6:7]
	s_and_saveexec_b64 s[6:7], s[4:5]
	s_cbranch_execnz .LBB3_43
	s_branch .LBB3_44
.LBB3_2093:
	s_movk_i32 s4, 0x80
	v_cmp_eq_u16_sdwa s[12:13], v14, s4 src0_sel:BYTE_0 src1_sel:DWORD
	s_mov_b64 s[4:5], -1
                                        ; implicit-def: $sgpr10
	s_and_saveexec_b64 s[8:9], s[12:13]
; %bb.2094:
	s_mov_b32 s10, 0x7f800001
	s_xor_b64 s[4:5], exec, -1
; %bb.2095:
	s_or_b64 exec, exec, s[8:9]
	s_and_b64 s[4:5], s[4:5], exec
	s_or_saveexec_b64 s[6:7], s[6:7]
	v_mov_b32_e32 v20, s10
	s_xor_b64 exec, exec, s[6:7]
	s_cbranch_execz .LBB3_46
.LBB3_2096:
	v_mov_b32_e32 v20, 0
	v_cmp_ne_u16_sdwa s[8:9], v14, v20 src0_sel:BYTE_0 src1_sel:DWORD
	s_andn2_b64 s[4:5], s[4:5], exec
	s_and_b64 s[8:9], s[8:9], exec
	s_or_b64 s[4:5], s[4:5], s[8:9]
	s_or_b64 exec, exec, s[6:7]
	s_and_saveexec_b64 s[6:7], s[4:5]
	s_cbranch_execnz .LBB3_47
	s_branch .LBB3_48
.LBB3_2097:
	s_movk_i32 s4, 0x80
	v_cmp_eq_u16_e32 vcc, s4, v14
	s_mov_b64 s[4:5], -1
                                        ; implicit-def: $sgpr10
	s_and_saveexec_b64 s[8:9], vcc
; %bb.2098:
	s_mov_b32 s10, 0x7f800001
	s_xor_b64 s[4:5], exec, -1
; %bb.2099:
	s_or_b64 exec, exec, s[8:9]
	s_and_b64 s[4:5], s[4:5], exec
                                        ; implicit-def: $vgpr14
	s_or_saveexec_b64 s[6:7], s[6:7]
	v_mov_b32_e32 v10, s10
	s_xor_b64 exec, exec, s[6:7]
	s_cbranch_execz .LBB3_50
.LBB3_2100:
	v_cmp_ne_u16_e32 vcc, 0, v14
	s_andn2_b64 s[4:5], s[4:5], exec
	s_and_b64 s[8:9], vcc, exec
	v_mov_b32_e32 v10, 0
	s_or_b64 s[4:5], s[4:5], s[8:9]
	s_or_b64 exec, exec, s[6:7]
	s_and_saveexec_b64 s[6:7], s[4:5]
	s_cbranch_execnz .LBB3_51
	s_branch .LBB3_52
.LBB3_2101:
	s_movk_i32 s4, 0x80
	v_cmp_eq_u16_e32 vcc, s4, v14
	s_mov_b64 s[4:5], -1
                                        ; implicit-def: $sgpr10
	s_and_saveexec_b64 s[8:9], vcc
; %bb.2102:
	s_mov_b32 s10, 0x7f800001
	s_xor_b64 s[4:5], exec, -1
; %bb.2103:
	s_or_b64 exec, exec, s[8:9]
	s_and_b64 s[4:5], s[4:5], exec
                                        ; implicit-def: $vgpr14
	s_or_saveexec_b64 s[6:7], s[6:7]
	v_mov_b32_e32 v20, s10
	s_xor_b64 exec, exec, s[6:7]
	s_cbranch_execz .LBB3_54
.LBB3_2104:
	v_cmp_ne_u16_e32 vcc, 0, v14
	s_andn2_b64 s[4:5], s[4:5], exec
	s_and_b64 s[8:9], vcc, exec
	v_mov_b32_e32 v20, 0
	s_or_b64 s[4:5], s[4:5], s[8:9]
	s_or_b64 exec, exec, s[6:7]
	s_and_saveexec_b64 s[6:7], s[4:5]
	s_cbranch_execnz .LBB3_55
	s_branch .LBB3_56
.LBB3_2105:
	s_movk_i32 s4, 0x80
	v_cmp_eq_u16_sdwa s[12:13], v15, s4 src0_sel:BYTE_3 src1_sel:DWORD
	s_mov_b64 s[4:5], -1
                                        ; implicit-def: $sgpr10
	s_and_saveexec_b64 s[8:9], s[12:13]
; %bb.2106:
	s_mov_b32 s10, 0x7f800001
	s_xor_b64 s[4:5], exec, -1
; %bb.2107:
	s_or_b64 exec, exec, s[8:9]
	s_and_b64 s[4:5], s[4:5], exec
	s_or_saveexec_b64 s[6:7], s[6:7]
	v_mov_b32_e32 v10, s10
	s_xor_b64 exec, exec, s[6:7]
	s_cbranch_execz .LBB3_58
.LBB3_2108:
	v_mov_b32_e32 v10, 0
	v_cmp_ne_u16_sdwa s[8:9], v15, v10 src0_sel:BYTE_3 src1_sel:DWORD
	s_andn2_b64 s[4:5], s[4:5], exec
	s_and_b64 s[8:9], s[8:9], exec
	s_or_b64 s[4:5], s[4:5], s[8:9]
	s_or_b64 exec, exec, s[6:7]
	s_and_saveexec_b64 s[6:7], s[4:5]
	s_cbranch_execnz .LBB3_59
	s_branch .LBB3_60
.LBB3_2109:
	s_movk_i32 s4, 0x80
	v_cmp_eq_u16_sdwa s[12:13], v11, s4 src0_sel:BYTE_3 src1_sel:DWORD
	s_mov_b64 s[4:5], -1
                                        ; implicit-def: $sgpr10
	s_and_saveexec_b64 s[8:9], s[12:13]
; %bb.2110:
	s_mov_b32 s10, 0x7f800001
	s_xor_b64 s[4:5], exec, -1
; %bb.2111:
	s_or_b64 exec, exec, s[8:9]
	s_and_b64 s[4:5], s[4:5], exec
	s_or_saveexec_b64 s[6:7], s[6:7]
	v_mov_b32_e32 v14, s10
	s_xor_b64 exec, exec, s[6:7]
	s_cbranch_execz .LBB3_62
.LBB3_2112:
	v_mov_b32_e32 v14, 0
	v_cmp_ne_u16_sdwa s[8:9], v11, v14 src0_sel:BYTE_3 src1_sel:DWORD
	s_andn2_b64 s[4:5], s[4:5], exec
	s_and_b64 s[8:9], s[8:9], exec
	s_or_b64 s[4:5], s[4:5], s[8:9]
	s_or_b64 exec, exec, s[6:7]
	s_and_saveexec_b64 s[6:7], s[4:5]
	s_cbranch_execnz .LBB3_63
	s_branch .LBB3_64
.LBB3_2113:
	s_movk_i32 s4, 0x80
	v_cmp_eq_u16_sdwa s[12:13], v16, s4 src0_sel:BYTE_0 src1_sel:DWORD
	s_mov_b64 s[4:5], -1
                                        ; implicit-def: $sgpr10
	s_and_saveexec_b64 s[8:9], s[12:13]
; %bb.2114:
	s_mov_b32 s10, 0x7f800001
	s_xor_b64 s[4:5], exec, -1
; %bb.2115:
	s_or_b64 exec, exec, s[8:9]
	s_and_b64 s[4:5], s[4:5], exec
	s_or_saveexec_b64 s[6:7], s[6:7]
	v_mov_b32_e32 v10, s10
	s_xor_b64 exec, exec, s[6:7]
	s_cbranch_execz .LBB3_66
.LBB3_2116:
	v_mov_b32_e32 v10, 0
	v_cmp_ne_u16_sdwa s[8:9], v16, v10 src0_sel:BYTE_0 src1_sel:DWORD
	s_andn2_b64 s[4:5], s[4:5], exec
	s_and_b64 s[8:9], s[8:9], exec
	s_or_b64 s[4:5], s[4:5], s[8:9]
	s_or_b64 exec, exec, s[6:7]
	s_and_saveexec_b64 s[6:7], s[4:5]
	s_cbranch_execnz .LBB3_67
	s_branch .LBB3_68
.LBB3_2117:
	s_movk_i32 s4, 0x80
	v_cmp_eq_u16_sdwa s[12:13], v12, s4 src0_sel:BYTE_0 src1_sel:DWORD
	s_mov_b64 s[4:5], -1
                                        ; implicit-def: $sgpr10
	s_and_saveexec_b64 s[8:9], s[12:13]
; %bb.2118:
	s_mov_b32 s10, 0x7f800001
	s_xor_b64 s[4:5], exec, -1
; %bb.2119:
	s_or_b64 exec, exec, s[8:9]
	s_and_b64 s[4:5], s[4:5], exec
	s_or_saveexec_b64 s[6:7], s[6:7]
	v_mov_b32_e32 v11, s10
	s_xor_b64 exec, exec, s[6:7]
	s_cbranch_execz .LBB3_70
.LBB3_2120:
	v_mov_b32_e32 v11, 0
	v_cmp_ne_u16_sdwa s[8:9], v12, v11 src0_sel:BYTE_0 src1_sel:DWORD
	s_andn2_b64 s[4:5], s[4:5], exec
	s_and_b64 s[8:9], s[8:9], exec
	s_or_b64 s[4:5], s[4:5], s[8:9]
	s_or_b64 exec, exec, s[6:7]
	s_and_saveexec_b64 s[6:7], s[4:5]
	s_cbranch_execnz .LBB3_71
	s_branch .LBB3_72
.LBB3_2121:
	s_movk_i32 s4, 0x80
	v_cmp_eq_u16_sdwa s[12:13], v11, s4 src0_sel:BYTE_0 src1_sel:DWORD
	s_mov_b64 s[4:5], -1
                                        ; implicit-def: $sgpr10
	s_and_saveexec_b64 s[8:9], s[12:13]
; %bb.2122:
	s_mov_b32 s10, 0x7f800001
	s_xor_b64 s[4:5], exec, -1
; %bb.2123:
	s_or_b64 exec, exec, s[8:9]
	s_and_b64 s[4:5], s[4:5], exec
	s_or_saveexec_b64 s[6:7], s[6:7]
	v_mov_b32_e32 v10, s10
	s_xor_b64 exec, exec, s[6:7]
	s_cbranch_execz .LBB3_74
.LBB3_2124:
	v_mov_b32_e32 v10, 0
	v_cmp_ne_u16_sdwa s[8:9], v11, v10 src0_sel:BYTE_0 src1_sel:DWORD
	s_andn2_b64 s[4:5], s[4:5], exec
	s_and_b64 s[8:9], s[8:9], exec
	s_or_b64 s[4:5], s[4:5], s[8:9]
	s_or_b64 exec, exec, s[6:7]
	s_and_saveexec_b64 s[6:7], s[4:5]
	s_cbranch_execnz .LBB3_75
	s_branch .LBB3_76
.LBB3_2125:
	s_movk_i32 s4, 0x80
	v_cmp_eq_u16_sdwa s[12:13], v11, s4 src0_sel:BYTE_0 src1_sel:DWORD
	s_mov_b64 s[4:5], -1
                                        ; implicit-def: $sgpr10
	s_and_saveexec_b64 s[8:9], s[12:13]
; %bb.2126:
	s_mov_b32 s10, 0x7f800001
	s_xor_b64 s[4:5], exec, -1
; %bb.2127:
	s_or_b64 exec, exec, s[8:9]
	s_and_b64 s[4:5], s[4:5], exec
	s_or_saveexec_b64 s[6:7], s[6:7]
	v_mov_b32_e32 v14, s10
	s_xor_b64 exec, exec, s[6:7]
	s_cbranch_execz .LBB3_78
.LBB3_2128:
	v_mov_b32_e32 v14, 0
	v_cmp_ne_u16_sdwa s[8:9], v11, v14 src0_sel:BYTE_0 src1_sel:DWORD
	s_andn2_b64 s[4:5], s[4:5], exec
	s_and_b64 s[8:9], s[8:9], exec
	s_or_b64 s[4:5], s[4:5], s[8:9]
	s_or_b64 exec, exec, s[6:7]
	s_and_saveexec_b64 s[6:7], s[4:5]
	s_cbranch_execnz .LBB3_79
	s_branch .LBB3_80
.LBB3_2129:
	s_movk_i32 s4, 0x80
	v_cmp_eq_u16_e32 vcc, s4, v11
	s_mov_b64 s[4:5], -1
                                        ; implicit-def: $sgpr10
	s_and_saveexec_b64 s[8:9], vcc
; %bb.2130:
	s_mov_b32 s10, 0x7f800001
	s_xor_b64 s[4:5], exec, -1
; %bb.2131:
	s_or_b64 exec, exec, s[8:9]
	s_and_b64 s[4:5], s[4:5], exec
                                        ; implicit-def: $vgpr11
	s_or_saveexec_b64 s[6:7], s[6:7]
	v_mov_b32_e32 v10, s10
	s_xor_b64 exec, exec, s[6:7]
	s_cbranch_execz .LBB3_82
.LBB3_2132:
	v_cmp_ne_u16_e32 vcc, 0, v11
	s_andn2_b64 s[4:5], s[4:5], exec
	s_and_b64 s[8:9], vcc, exec
	v_mov_b32_e32 v10, 0
	s_or_b64 s[4:5], s[4:5], s[8:9]
	s_or_b64 exec, exec, s[6:7]
	s_and_saveexec_b64 s[6:7], s[4:5]
	s_cbranch_execnz .LBB3_83
	s_branch .LBB3_84
.LBB3_2133:
	s_movk_i32 s4, 0x80
	v_cmp_eq_u16_e32 vcc, s4, v11
	s_mov_b64 s[4:5], -1
                                        ; implicit-def: $sgpr10
	s_and_saveexec_b64 s[8:9], vcc
; %bb.2134:
	s_mov_b32 s10, 0x7f800001
	s_xor_b64 s[4:5], exec, -1
; %bb.2135:
	s_or_b64 exec, exec, s[8:9]
	s_and_b64 s[4:5], s[4:5], exec
                                        ; implicit-def: $vgpr11
	s_or_saveexec_b64 s[6:7], s[6:7]
	v_mov_b32_e32 v14, s10
	s_xor_b64 exec, exec, s[6:7]
	s_cbranch_execz .LBB3_86
.LBB3_2136:
	v_cmp_ne_u16_e32 vcc, 0, v11
	s_andn2_b64 s[4:5], s[4:5], exec
	s_and_b64 s[8:9], vcc, exec
	v_mov_b32_e32 v14, 0
	s_or_b64 s[4:5], s[4:5], s[8:9]
	s_or_b64 exec, exec, s[6:7]
	s_and_saveexec_b64 s[6:7], s[4:5]
	s_cbranch_execnz .LBB3_87
	s_branch .LBB3_88
.LBB3_2137:
	s_movk_i32 s4, 0x80
	v_cmp_eq_u16_sdwa s[12:13], v16, s4 src0_sel:BYTE_3 src1_sel:DWORD
	s_mov_b64 s[4:5], -1
                                        ; implicit-def: $sgpr10
	s_and_saveexec_b64 s[8:9], s[12:13]
; %bb.2138:
	s_mov_b32 s10, 0x7f800001
	s_xor_b64 s[4:5], exec, -1
; %bb.2139:
	s_or_b64 exec, exec, s[8:9]
	s_and_b64 s[4:5], s[4:5], exec
	s_or_saveexec_b64 s[6:7], s[6:7]
	v_mov_b32_e32 v10, s10
	s_xor_b64 exec, exec, s[6:7]
	s_cbranch_execz .LBB3_90
.LBB3_2140:
	v_mov_b32_e32 v10, 0
	v_cmp_ne_u16_sdwa s[8:9], v16, v10 src0_sel:BYTE_3 src1_sel:DWORD
	s_andn2_b64 s[4:5], s[4:5], exec
	s_and_b64 s[8:9], s[8:9], exec
	s_or_b64 s[4:5], s[4:5], s[8:9]
	s_or_b64 exec, exec, s[6:7]
	s_and_saveexec_b64 s[6:7], s[4:5]
	s_cbranch_execnz .LBB3_91
	s_branch .LBB3_92
.LBB3_2141:
	s_movk_i32 s4, 0x80
	v_cmp_eq_u16_sdwa s[12:13], v12, s4 src0_sel:BYTE_3 src1_sel:DWORD
	s_mov_b64 s[4:5], -1
                                        ; implicit-def: $sgpr10
	s_and_saveexec_b64 s[8:9], s[12:13]
; %bb.2142:
	s_mov_b32 s10, 0x7f800001
	s_xor_b64 s[4:5], exec, -1
; %bb.2143:
	s_or_b64 exec, exec, s[8:9]
	s_and_b64 s[4:5], s[4:5], exec
	s_or_saveexec_b64 s[6:7], s[6:7]
	v_mov_b32_e32 v11, s10
	s_xor_b64 exec, exec, s[6:7]
	s_cbranch_execz .LBB3_94
.LBB3_2144:
	v_mov_b32_e32 v11, 0
	v_cmp_ne_u16_sdwa s[8:9], v12, v11 src0_sel:BYTE_3 src1_sel:DWORD
	s_andn2_b64 s[4:5], s[4:5], exec
	s_and_b64 s[8:9], s[8:9], exec
	s_or_b64 s[4:5], s[4:5], s[8:9]
	s_or_b64 exec, exec, s[6:7]
	s_and_saveexec_b64 s[6:7], s[4:5]
	s_cbranch_execnz .LBB3_95
	s_branch .LBB3_96
.LBB3_2145:
	s_movk_i32 s4, 0x80
	v_cmp_eq_u16_sdwa s[12:13], v17, s4 src0_sel:BYTE_0 src1_sel:DWORD
	s_mov_b64 s[4:5], -1
                                        ; implicit-def: $sgpr10
	s_and_saveexec_b64 s[8:9], s[12:13]
; %bb.2146:
	s_mov_b32 s10, 0x7f800001
	s_xor_b64 s[4:5], exec, -1
; %bb.2147:
	s_or_b64 exec, exec, s[8:9]
	s_and_b64 s[4:5], s[4:5], exec
	s_or_saveexec_b64 s[6:7], s[6:7]
	v_mov_b32_e32 v10, s10
	s_xor_b64 exec, exec, s[6:7]
	s_cbranch_execz .LBB3_98
.LBB3_2148:
	v_mov_b32_e32 v10, 0
	v_cmp_ne_u16_sdwa s[8:9], v17, v10 src0_sel:BYTE_0 src1_sel:DWORD
	s_andn2_b64 s[4:5], s[4:5], exec
	s_and_b64 s[8:9], s[8:9], exec
	s_or_b64 s[4:5], s[4:5], s[8:9]
	s_or_b64 exec, exec, s[6:7]
	s_and_saveexec_b64 s[6:7], s[4:5]
	s_cbranch_execnz .LBB3_99
	s_branch .LBB3_100
.LBB3_2149:
	s_movk_i32 s4, 0x80
	v_cmp_eq_u16_sdwa s[12:13], v13, s4 src0_sel:BYTE_0 src1_sel:DWORD
	s_mov_b64 s[4:5], -1
                                        ; implicit-def: $sgpr10
	s_and_saveexec_b64 s[8:9], s[12:13]
; %bb.2150:
	s_mov_b32 s10, 0x7f800001
	s_xor_b64 s[4:5], exec, -1
; %bb.2151:
	s_or_b64 exec, exec, s[8:9]
	s_and_b64 s[4:5], s[4:5], exec
	s_or_saveexec_b64 s[6:7], s[6:7]
	v_mov_b32_e32 v11, s10
	s_xor_b64 exec, exec, s[6:7]
	s_cbranch_execz .LBB3_102
.LBB3_2152:
	v_mov_b32_e32 v11, 0
	v_cmp_ne_u16_sdwa s[8:9], v13, v11 src0_sel:BYTE_0 src1_sel:DWORD
	s_andn2_b64 s[4:5], s[4:5], exec
	s_and_b64 s[8:9], s[8:9], exec
	s_or_b64 s[4:5], s[4:5], s[8:9]
	s_or_b64 exec, exec, s[6:7]
	s_and_saveexec_b64 s[6:7], s[4:5]
	s_cbranch_execnz .LBB3_103
	s_branch .LBB3_104
.LBB3_2153:
	s_movk_i32 s4, 0x80
	v_cmp_eq_u16_sdwa s[12:13], v11, s4 src0_sel:BYTE_0 src1_sel:DWORD
	s_mov_b64 s[4:5], -1
                                        ; implicit-def: $sgpr10
	s_and_saveexec_b64 s[8:9], s[12:13]
; %bb.2154:
	s_mov_b32 s10, 0x7f800001
	s_xor_b64 s[4:5], exec, -1
; %bb.2155:
	s_or_b64 exec, exec, s[8:9]
	s_and_b64 s[4:5], s[4:5], exec
	s_or_saveexec_b64 s[6:7], s[6:7]
	v_mov_b32_e32 v10, s10
	s_xor_b64 exec, exec, s[6:7]
	s_cbranch_execz .LBB3_106
.LBB3_2156:
	v_mov_b32_e32 v10, 0
	v_cmp_ne_u16_sdwa s[8:9], v11, v10 src0_sel:BYTE_0 src1_sel:DWORD
	s_andn2_b64 s[4:5], s[4:5], exec
	s_and_b64 s[8:9], s[8:9], exec
	s_or_b64 s[4:5], s[4:5], s[8:9]
	s_or_b64 exec, exec, s[6:7]
	s_and_saveexec_b64 s[6:7], s[4:5]
	s_cbranch_execnz .LBB3_107
	s_branch .LBB3_108
.LBB3_2157:
	s_movk_i32 s4, 0x80
	v_cmp_eq_u16_sdwa s[12:13], v11, s4 src0_sel:BYTE_0 src1_sel:DWORD
	s_mov_b64 s[4:5], -1
                                        ; implicit-def: $sgpr10
	s_and_saveexec_b64 s[8:9], s[12:13]
; %bb.2158:
	s_mov_b32 s10, 0x7f800001
	s_xor_b64 s[4:5], exec, -1
; %bb.2159:
	s_or_b64 exec, exec, s[8:9]
	s_and_b64 s[4:5], s[4:5], exec
	s_or_saveexec_b64 s[6:7], s[6:7]
	v_mov_b32_e32 v12, s10
	s_xor_b64 exec, exec, s[6:7]
	s_cbranch_execz .LBB3_110
.LBB3_2160:
	v_mov_b32_e32 v12, 0
	v_cmp_ne_u16_sdwa s[8:9], v11, v12 src0_sel:BYTE_0 src1_sel:DWORD
	s_andn2_b64 s[4:5], s[4:5], exec
	s_and_b64 s[8:9], s[8:9], exec
	s_or_b64 s[4:5], s[4:5], s[8:9]
	s_or_b64 exec, exec, s[6:7]
	s_and_saveexec_b64 s[6:7], s[4:5]
	s_cbranch_execnz .LBB3_111
	s_branch .LBB3_112
.LBB3_2161:
	s_movk_i32 s4, 0x80
	v_cmp_eq_u16_e32 vcc, s4, v11
	s_mov_b64 s[4:5], -1
                                        ; implicit-def: $sgpr10
	s_and_saveexec_b64 s[8:9], vcc
; %bb.2162:
	s_mov_b32 s10, 0x7f800001
	s_xor_b64 s[4:5], exec, -1
; %bb.2163:
	s_or_b64 exec, exec, s[8:9]
	s_and_b64 s[4:5], s[4:5], exec
                                        ; implicit-def: $vgpr11
	s_or_saveexec_b64 s[6:7], s[6:7]
	v_mov_b32_e32 v10, s10
	s_xor_b64 exec, exec, s[6:7]
	s_cbranch_execz .LBB3_114
.LBB3_2164:
	v_cmp_ne_u16_e32 vcc, 0, v11
	s_andn2_b64 s[4:5], s[4:5], exec
	s_and_b64 s[8:9], vcc, exec
	v_mov_b32_e32 v10, 0
	s_or_b64 s[4:5], s[4:5], s[8:9]
	s_or_b64 exec, exec, s[6:7]
	s_and_saveexec_b64 s[6:7], s[4:5]
	s_cbranch_execnz .LBB3_115
	s_branch .LBB3_116
.LBB3_2165:
	s_movk_i32 s4, 0x80
	v_cmp_eq_u16_e32 vcc, s4, v11
	s_mov_b64 s[4:5], -1
                                        ; implicit-def: $sgpr10
	s_and_saveexec_b64 s[8:9], vcc
; %bb.2166:
	s_mov_b32 s10, 0x7f800001
	s_xor_b64 s[4:5], exec, -1
; %bb.2167:
	s_or_b64 exec, exec, s[8:9]
	s_and_b64 s[4:5], s[4:5], exec
                                        ; implicit-def: $vgpr11
	s_or_saveexec_b64 s[6:7], s[6:7]
	v_mov_b32_e32 v12, s10
	s_xor_b64 exec, exec, s[6:7]
	s_cbranch_execz .LBB3_118
.LBB3_2168:
	v_cmp_ne_u16_e32 vcc, 0, v11
	s_andn2_b64 s[4:5], s[4:5], exec
	s_and_b64 s[8:9], vcc, exec
	v_mov_b32_e32 v12, 0
	s_or_b64 s[4:5], s[4:5], s[8:9]
	s_or_b64 exec, exec, s[6:7]
	s_and_saveexec_b64 s[6:7], s[4:5]
	s_cbranch_execnz .LBB3_119
	s_branch .LBB3_120
.LBB3_2169:
	s_movk_i32 s4, 0x80
	v_cmp_eq_u16_sdwa s[12:13], v17, s4 src0_sel:BYTE_3 src1_sel:DWORD
	s_mov_b64 s[4:5], -1
                                        ; implicit-def: $sgpr10
	s_and_saveexec_b64 s[8:9], s[12:13]
; %bb.2170:
	s_mov_b32 s10, 0x7f800001
	s_xor_b64 s[4:5], exec, -1
; %bb.2171:
	s_or_b64 exec, exec, s[8:9]
	s_and_b64 s[4:5], s[4:5], exec
	s_or_saveexec_b64 s[6:7], s[6:7]
	v_mov_b32_e32 v10, s10
	s_xor_b64 exec, exec, s[6:7]
	s_cbranch_execz .LBB3_122
.LBB3_2172:
	v_mov_b32_e32 v10, 0
	v_cmp_ne_u16_sdwa s[8:9], v17, v10 src0_sel:BYTE_3 src1_sel:DWORD
	s_andn2_b64 s[4:5], s[4:5], exec
	s_and_b64 s[8:9], s[8:9], exec
	s_or_b64 s[4:5], s[4:5], s[8:9]
	s_or_b64 exec, exec, s[6:7]
	s_and_saveexec_b64 s[6:7], s[4:5]
	s_cbranch_execnz .LBB3_123
	s_branch .LBB3_124
.LBB3_2173:
	s_movk_i32 s4, 0x80
	v_cmp_eq_u16_sdwa s[12:13], v13, s4 src0_sel:BYTE_3 src1_sel:DWORD
	s_mov_b64 s[4:5], -1
                                        ; implicit-def: $sgpr10
	s_and_saveexec_b64 s[8:9], s[12:13]
; %bb.2174:
	s_mov_b32 s10, 0x7f800001
	s_xor_b64 s[4:5], exec, -1
; %bb.2175:
	s_or_b64 exec, exec, s[8:9]
	s_and_b64 s[4:5], s[4:5], exec
	s_or_saveexec_b64 s[6:7], s[6:7]
	v_mov_b32_e32 v11, s10
	s_xor_b64 exec, exec, s[6:7]
	s_cbranch_execz .LBB3_126
.LBB3_2176:
	v_mov_b32_e32 v11, 0
	v_cmp_ne_u16_sdwa s[8:9], v13, v11 src0_sel:BYTE_3 src1_sel:DWORD
	s_andn2_b64 s[4:5], s[4:5], exec
	s_and_b64 s[8:9], s[8:9], exec
	s_or_b64 s[4:5], s[4:5], s[8:9]
	s_or_b64 exec, exec, s[6:7]
	s_and_saveexec_b64 s[6:7], s[4:5]
	s_cbranch_execnz .LBB3_127
	s_branch .LBB3_128
.LBB3_2177:
	s_movk_i32 s4, 0x80
	v_cmp_eq_u16_sdwa s[12:13], v6, s4 src0_sel:BYTE_0 src1_sel:DWORD
	s_mov_b64 s[4:5], -1
                                        ; implicit-def: $sgpr10
	s_and_saveexec_b64 s[8:9], s[12:13]
; %bb.2178:
	s_mov_b32 s10, 0x7f800001
	s_xor_b64 s[4:5], exec, -1
; %bb.2179:
	s_or_b64 exec, exec, s[8:9]
	s_and_b64 s[4:5], s[4:5], exec
	s_or_saveexec_b64 s[6:7], s[6:7]
	v_mov_b32_e32 v10, s10
	s_xor_b64 exec, exec, s[6:7]
	s_cbranch_execz .LBB3_130
.LBB3_2180:
	v_mov_b32_e32 v10, 0
	v_cmp_ne_u16_sdwa s[8:9], v6, v10 src0_sel:BYTE_0 src1_sel:DWORD
	s_andn2_b64 s[4:5], s[4:5], exec
	s_and_b64 s[8:9], s[8:9], exec
	s_or_b64 s[4:5], s[4:5], s[8:9]
	s_or_b64 exec, exec, s[6:7]
	s_and_saveexec_b64 s[6:7], s[4:5]
	s_cbranch_execnz .LBB3_131
	s_branch .LBB3_132
.LBB3_2181:
	s_movk_i32 s4, 0x80
	v_cmp_eq_u16_sdwa s[12:13], v2, s4 src0_sel:BYTE_0 src1_sel:DWORD
	s_mov_b64 s[4:5], -1
                                        ; implicit-def: $sgpr10
	s_and_saveexec_b64 s[8:9], s[12:13]
; %bb.2182:
	s_mov_b32 s10, 0x7f800001
	s_xor_b64 s[4:5], exec, -1
; %bb.2183:
	s_or_b64 exec, exec, s[8:9]
	s_and_b64 s[4:5], s[4:5], exec
	s_or_saveexec_b64 s[6:7], s[6:7]
	v_mov_b32_e32 v11, s10
	s_xor_b64 exec, exec, s[6:7]
	s_cbranch_execz .LBB3_134
.LBB3_2184:
	v_mov_b32_e32 v11, 0
	v_cmp_ne_u16_sdwa s[8:9], v2, v11 src0_sel:BYTE_0 src1_sel:DWORD
	s_andn2_b64 s[4:5], s[4:5], exec
	s_and_b64 s[8:9], s[8:9], exec
	s_or_b64 s[4:5], s[4:5], s[8:9]
	s_or_b64 exec, exec, s[6:7]
	s_and_saveexec_b64 s[6:7], s[4:5]
	s_cbranch_execnz .LBB3_135
	s_branch .LBB3_136
.LBB3_2185:
	s_movk_i32 s4, 0x80
	v_cmp_eq_u16_sdwa s[12:13], v11, s4 src0_sel:BYTE_0 src1_sel:DWORD
	s_mov_b64 s[4:5], -1
                                        ; implicit-def: $sgpr10
	s_and_saveexec_b64 s[8:9], s[12:13]
; %bb.2186:
	s_mov_b32 s10, 0x7f800001
	s_xor_b64 s[4:5], exec, -1
; %bb.2187:
	s_or_b64 exec, exec, s[8:9]
	s_and_b64 s[4:5], s[4:5], exec
	s_or_saveexec_b64 s[6:7], s[6:7]
	v_mov_b32_e32 v10, s10
	s_xor_b64 exec, exec, s[6:7]
	s_cbranch_execz .LBB3_138
.LBB3_2188:
	v_mov_b32_e32 v10, 0
	v_cmp_ne_u16_sdwa s[8:9], v11, v10 src0_sel:BYTE_0 src1_sel:DWORD
	s_andn2_b64 s[4:5], s[4:5], exec
	s_and_b64 s[8:9], s[8:9], exec
	s_or_b64 s[4:5], s[4:5], s[8:9]
	s_or_b64 exec, exec, s[6:7]
	s_and_saveexec_b64 s[6:7], s[4:5]
	s_cbranch_execnz .LBB3_139
	s_branch .LBB3_140
.LBB3_2189:
	s_movk_i32 s4, 0x80
	v_cmp_eq_u16_sdwa s[12:13], v11, s4 src0_sel:BYTE_0 src1_sel:DWORD
	s_mov_b64 s[4:5], -1
                                        ; implicit-def: $sgpr10
	s_and_saveexec_b64 s[8:9], s[12:13]
; %bb.2190:
	s_mov_b32 s10, 0x7f800001
	s_xor_b64 s[4:5], exec, -1
; %bb.2191:
	s_or_b64 exec, exec, s[8:9]
	s_and_b64 s[4:5], s[4:5], exec
	s_or_saveexec_b64 s[6:7], s[6:7]
	v_mov_b32_e32 v12, s10
	s_xor_b64 exec, exec, s[6:7]
	s_cbranch_execz .LBB3_142
.LBB3_2192:
	v_mov_b32_e32 v12, 0
	v_cmp_ne_u16_sdwa s[8:9], v11, v12 src0_sel:BYTE_0 src1_sel:DWORD
	s_andn2_b64 s[4:5], s[4:5], exec
	s_and_b64 s[8:9], s[8:9], exec
	s_or_b64 s[4:5], s[4:5], s[8:9]
	s_or_b64 exec, exec, s[6:7]
	s_and_saveexec_b64 s[6:7], s[4:5]
	s_cbranch_execnz .LBB3_143
	s_branch .LBB3_144
.LBB3_2193:
	s_movk_i32 s4, 0x80
	v_cmp_eq_u16_e32 vcc, s4, v11
	s_mov_b64 s[4:5], -1
                                        ; implicit-def: $sgpr10
	s_and_saveexec_b64 s[8:9], vcc
; %bb.2194:
	s_mov_b32 s10, 0x7f800001
	s_xor_b64 s[4:5], exec, -1
; %bb.2195:
	s_or_b64 exec, exec, s[8:9]
	s_and_b64 s[4:5], s[4:5], exec
                                        ; implicit-def: $vgpr11
	s_or_saveexec_b64 s[6:7], s[6:7]
	v_mov_b32_e32 v10, s10
	s_xor_b64 exec, exec, s[6:7]
	s_cbranch_execz .LBB3_146
.LBB3_2196:
	v_cmp_ne_u16_e32 vcc, 0, v11
	s_andn2_b64 s[4:5], s[4:5], exec
	s_and_b64 s[8:9], vcc, exec
	v_mov_b32_e32 v10, 0
	s_or_b64 s[4:5], s[4:5], s[8:9]
	s_or_b64 exec, exec, s[6:7]
	s_and_saveexec_b64 s[6:7], s[4:5]
	s_cbranch_execnz .LBB3_147
	s_branch .LBB3_148
.LBB3_2197:
	s_movk_i32 s4, 0x80
	v_cmp_eq_u16_e32 vcc, s4, v11
	s_mov_b64 s[4:5], -1
                                        ; implicit-def: $sgpr10
	s_and_saveexec_b64 s[8:9], vcc
; %bb.2198:
	s_mov_b32 s10, 0x7f800001
	s_xor_b64 s[4:5], exec, -1
; %bb.2199:
	s_or_b64 exec, exec, s[8:9]
	s_and_b64 s[4:5], s[4:5], exec
                                        ; implicit-def: $vgpr11
	s_or_saveexec_b64 s[6:7], s[6:7]
	v_mov_b32_e32 v12, s10
	s_xor_b64 exec, exec, s[6:7]
	s_cbranch_execz .LBB3_150
.LBB3_2200:
	v_cmp_ne_u16_e32 vcc, 0, v11
	s_andn2_b64 s[4:5], s[4:5], exec
	s_and_b64 s[8:9], vcc, exec
	v_mov_b32_e32 v12, 0
	s_or_b64 s[4:5], s[4:5], s[8:9]
	s_or_b64 exec, exec, s[6:7]
	s_and_saveexec_b64 s[6:7], s[4:5]
	s_cbranch_execnz .LBB3_151
	s_branch .LBB3_152
.LBB3_2201:
	s_movk_i32 s4, 0x80
	v_cmp_eq_u16_sdwa s[12:13], v6, s4 src0_sel:BYTE_3 src1_sel:DWORD
	s_mov_b64 s[4:5], -1
                                        ; implicit-def: $sgpr10
	s_and_saveexec_b64 s[8:9], s[12:13]
; %bb.2202:
	s_mov_b32 s10, 0x7f800001
	s_xor_b64 s[4:5], exec, -1
; %bb.2203:
	s_or_b64 exec, exec, s[8:9]
	s_and_b64 s[4:5], s[4:5], exec
	s_or_saveexec_b64 s[6:7], s[6:7]
	v_mov_b32_e32 v10, s10
	s_xor_b64 exec, exec, s[6:7]
	s_cbranch_execz .LBB3_154
.LBB3_2204:
	v_mov_b32_e32 v10, 0
	v_cmp_ne_u16_sdwa s[8:9], v6, v10 src0_sel:BYTE_3 src1_sel:DWORD
	s_andn2_b64 s[4:5], s[4:5], exec
	s_and_b64 s[8:9], s[8:9], exec
	s_or_b64 s[4:5], s[4:5], s[8:9]
	s_or_b64 exec, exec, s[6:7]
	s_and_saveexec_b64 s[6:7], s[4:5]
	s_cbranch_execnz .LBB3_155
	s_branch .LBB3_156
.LBB3_2205:
	s_movk_i32 s4, 0x80
	v_cmp_eq_u16_sdwa s[12:13], v2, s4 src0_sel:BYTE_3 src1_sel:DWORD
	s_mov_b64 s[4:5], -1
                                        ; implicit-def: $sgpr10
	s_and_saveexec_b64 s[8:9], s[12:13]
; %bb.2206:
	s_mov_b32 s10, 0x7f800001
	s_xor_b64 s[4:5], exec, -1
; %bb.2207:
	s_or_b64 exec, exec, s[8:9]
	s_and_b64 s[4:5], s[4:5], exec
	s_or_saveexec_b64 s[6:7], s[6:7]
	v_mov_b32_e32 v6, s10
	s_xor_b64 exec, exec, s[6:7]
	s_cbranch_execz .LBB3_158
.LBB3_2208:
	v_mov_b32_e32 v6, 0
	v_cmp_ne_u16_sdwa s[8:9], v2, v6 src0_sel:BYTE_3 src1_sel:DWORD
	s_andn2_b64 s[4:5], s[4:5], exec
	s_and_b64 s[8:9], s[8:9], exec
	s_or_b64 s[4:5], s[4:5], s[8:9]
	s_or_b64 exec, exec, s[6:7]
	s_and_saveexec_b64 s[6:7], s[4:5]
	s_cbranch_execnz .LBB3_159
	s_branch .LBB3_160
.LBB3_2209:
	s_movk_i32 s4, 0x80
	v_cmp_eq_u16_sdwa s[12:13], v7, s4 src0_sel:BYTE_0 src1_sel:DWORD
	s_mov_b64 s[4:5], -1
                                        ; implicit-def: $sgpr10
	s_and_saveexec_b64 s[8:9], s[12:13]
; %bb.2210:
	s_mov_b32 s10, 0x7f800001
	s_xor_b64 s[4:5], exec, -1
; %bb.2211:
	s_or_b64 exec, exec, s[8:9]
	s_and_b64 s[4:5], s[4:5], exec
	s_or_saveexec_b64 s[6:7], s[6:7]
	v_mov_b32_e32 v2, s10
	s_xor_b64 exec, exec, s[6:7]
	s_cbranch_execz .LBB3_162
.LBB3_2212:
	v_mov_b32_e32 v2, 0
	v_cmp_ne_u16_sdwa s[8:9], v7, v2 src0_sel:BYTE_0 src1_sel:DWORD
	s_andn2_b64 s[4:5], s[4:5], exec
	s_and_b64 s[8:9], s[8:9], exec
	s_or_b64 s[4:5], s[4:5], s[8:9]
	s_or_b64 exec, exec, s[6:7]
	s_and_saveexec_b64 s[6:7], s[4:5]
	s_cbranch_execnz .LBB3_163
	s_branch .LBB3_164
.LBB3_2213:
	s_movk_i32 s4, 0x80
	v_cmp_eq_u16_sdwa s[12:13], v3, s4 src0_sel:BYTE_0 src1_sel:DWORD
	s_mov_b64 s[4:5], -1
                                        ; implicit-def: $sgpr10
	s_and_saveexec_b64 s[8:9], s[12:13]
; %bb.2214:
	s_mov_b32 s10, 0x7f800001
	s_xor_b64 s[4:5], exec, -1
; %bb.2215:
	s_or_b64 exec, exec, s[8:9]
	s_and_b64 s[4:5], s[4:5], exec
	s_or_saveexec_b64 s[6:7], s[6:7]
	v_mov_b32_e32 v6, s10
	s_xor_b64 exec, exec, s[6:7]
	s_cbranch_execz .LBB3_166
.LBB3_2216:
	v_mov_b32_e32 v6, 0
	v_cmp_ne_u16_sdwa s[8:9], v3, v6 src0_sel:BYTE_0 src1_sel:DWORD
	s_andn2_b64 s[4:5], s[4:5], exec
	s_and_b64 s[8:9], s[8:9], exec
	s_or_b64 s[4:5], s[4:5], s[8:9]
	s_or_b64 exec, exec, s[6:7]
	s_and_saveexec_b64 s[6:7], s[4:5]
	s_cbranch_execnz .LBB3_167
	s_branch .LBB3_168
.LBB3_2217:
	s_movk_i32 s4, 0x80
	v_cmp_eq_u16_sdwa s[12:13], v6, s4 src0_sel:BYTE_0 src1_sel:DWORD
	s_mov_b64 s[4:5], -1
                                        ; implicit-def: $sgpr10
	s_and_saveexec_b64 s[8:9], s[12:13]
; %bb.2218:
	s_mov_b32 s10, 0x7f800001
	s_xor_b64 s[4:5], exec, -1
; %bb.2219:
	s_or_b64 exec, exec, s[8:9]
	s_and_b64 s[4:5], s[4:5], exec
	s_or_saveexec_b64 s[6:7], s[6:7]
	v_mov_b32_e32 v2, s10
	s_xor_b64 exec, exec, s[6:7]
	s_cbranch_execz .LBB3_170
.LBB3_2220:
	v_mov_b32_e32 v2, 0
	v_cmp_ne_u16_sdwa s[8:9], v6, v2 src0_sel:BYTE_0 src1_sel:DWORD
	s_andn2_b64 s[4:5], s[4:5], exec
	s_and_b64 s[8:9], s[8:9], exec
	s_or_b64 s[4:5], s[4:5], s[8:9]
	s_or_b64 exec, exec, s[6:7]
	s_and_saveexec_b64 s[6:7], s[4:5]
	s_cbranch_execnz .LBB3_171
	s_branch .LBB3_172
.LBB3_2221:
	s_movk_i32 s4, 0x80
	v_cmp_eq_u16_sdwa s[12:13], v6, s4 src0_sel:BYTE_0 src1_sel:DWORD
	s_mov_b64 s[4:5], -1
                                        ; implicit-def: $sgpr10
	s_and_saveexec_b64 s[8:9], s[12:13]
; %bb.2222:
	s_mov_b32 s10, 0x7f800001
	s_xor_b64 s[4:5], exec, -1
; %bb.2223:
	s_or_b64 exec, exec, s[8:9]
	s_and_b64 s[4:5], s[4:5], exec
	s_or_saveexec_b64 s[6:7], s[6:7]
	v_mov_b32_e32 v10, s10
	s_xor_b64 exec, exec, s[6:7]
	s_cbranch_execz .LBB3_174
.LBB3_2224:
	v_mov_b32_e32 v10, 0
	v_cmp_ne_u16_sdwa s[8:9], v6, v10 src0_sel:BYTE_0 src1_sel:DWORD
	s_andn2_b64 s[4:5], s[4:5], exec
	s_and_b64 s[8:9], s[8:9], exec
	s_or_b64 s[4:5], s[4:5], s[8:9]
	s_or_b64 exec, exec, s[6:7]
	s_and_saveexec_b64 s[6:7], s[4:5]
	s_cbranch_execnz .LBB3_175
	s_branch .LBB3_176
.LBB3_2225:
	s_movk_i32 s4, 0x80
	v_cmp_eq_u16_e32 vcc, s4, v6
	s_mov_b64 s[4:5], -1
                                        ; implicit-def: $sgpr10
	s_and_saveexec_b64 s[8:9], vcc
; %bb.2226:
	s_mov_b32 s10, 0x7f800001
	s_xor_b64 s[4:5], exec, -1
; %bb.2227:
	s_or_b64 exec, exec, s[8:9]
	s_and_b64 s[4:5], s[4:5], exec
                                        ; implicit-def: $vgpr6
	s_or_saveexec_b64 s[6:7], s[6:7]
	v_mov_b32_e32 v2, s10
	s_xor_b64 exec, exec, s[6:7]
	s_cbranch_execz .LBB3_178
.LBB3_2228:
	v_cmp_ne_u16_e32 vcc, 0, v6
	s_andn2_b64 s[4:5], s[4:5], exec
	s_and_b64 s[8:9], vcc, exec
	v_mov_b32_e32 v2, 0
	s_or_b64 s[4:5], s[4:5], s[8:9]
	s_or_b64 exec, exec, s[6:7]
	s_and_saveexec_b64 s[6:7], s[4:5]
	s_cbranch_execnz .LBB3_179
	s_branch .LBB3_180
.LBB3_2229:
	s_movk_i32 s4, 0x80
	v_cmp_eq_u16_e32 vcc, s4, v6
	s_mov_b64 s[4:5], -1
                                        ; implicit-def: $sgpr10
	s_and_saveexec_b64 s[8:9], vcc
; %bb.2230:
	s_mov_b32 s10, 0x7f800001
	s_xor_b64 s[4:5], exec, -1
; %bb.2231:
	s_or_b64 exec, exec, s[8:9]
	s_and_b64 s[4:5], s[4:5], exec
                                        ; implicit-def: $vgpr6
	s_or_saveexec_b64 s[6:7], s[6:7]
	v_mov_b32_e32 v10, s10
	s_xor_b64 exec, exec, s[6:7]
	s_cbranch_execz .LBB3_182
.LBB3_2232:
	v_cmp_ne_u16_e32 vcc, 0, v6
	s_andn2_b64 s[4:5], s[4:5], exec
	s_and_b64 s[8:9], vcc, exec
	v_mov_b32_e32 v10, 0
	s_or_b64 s[4:5], s[4:5], s[8:9]
	s_or_b64 exec, exec, s[6:7]
	s_and_saveexec_b64 s[6:7], s[4:5]
	s_cbranch_execnz .LBB3_183
	s_branch .LBB3_184
.LBB3_2233:
	s_movk_i32 s4, 0x80
	v_cmp_eq_u16_sdwa s[12:13], v7, s4 src0_sel:BYTE_3 src1_sel:DWORD
	s_mov_b64 s[4:5], -1
                                        ; implicit-def: $sgpr10
	s_and_saveexec_b64 s[8:9], s[12:13]
; %bb.2234:
	s_mov_b32 s10, 0x7f800001
	s_xor_b64 s[4:5], exec, -1
; %bb.2235:
	s_or_b64 exec, exec, s[8:9]
	s_and_b64 s[4:5], s[4:5], exec
	s_or_saveexec_b64 s[6:7], s[6:7]
	v_mov_b32_e32 v2, s10
	s_xor_b64 exec, exec, s[6:7]
	s_cbranch_execz .LBB3_186
.LBB3_2236:
	v_mov_b32_e32 v2, 0
	v_cmp_ne_u16_sdwa s[8:9], v7, v2 src0_sel:BYTE_3 src1_sel:DWORD
	s_andn2_b64 s[4:5], s[4:5], exec
	s_and_b64 s[8:9], s[8:9], exec
	s_or_b64 s[4:5], s[4:5], s[8:9]
	s_or_b64 exec, exec, s[6:7]
	s_and_saveexec_b64 s[6:7], s[4:5]
	s_cbranch_execnz .LBB3_187
	s_branch .LBB3_188
.LBB3_2237:
	s_movk_i32 s4, 0x80
	v_cmp_eq_u16_sdwa s[12:13], v3, s4 src0_sel:BYTE_3 src1_sel:DWORD
	s_mov_b64 s[4:5], -1
                                        ; implicit-def: $sgpr10
	s_and_saveexec_b64 s[8:9], s[12:13]
; %bb.2238:
	s_mov_b32 s10, 0x7f800001
	s_xor_b64 s[4:5], exec, -1
; %bb.2239:
	s_or_b64 exec, exec, s[8:9]
	s_and_b64 s[4:5], s[4:5], exec
	s_or_saveexec_b64 s[6:7], s[6:7]
	v_mov_b32_e32 v6, s10
	s_xor_b64 exec, exec, s[6:7]
	s_cbranch_execz .LBB3_190
.LBB3_2240:
	v_mov_b32_e32 v6, 0
	v_cmp_ne_u16_sdwa s[8:9], v3, v6 src0_sel:BYTE_3 src1_sel:DWORD
	s_andn2_b64 s[4:5], s[4:5], exec
	s_and_b64 s[8:9], s[8:9], exec
	s_or_b64 s[4:5], s[4:5], s[8:9]
	s_or_b64 exec, exec, s[6:7]
	s_and_saveexec_b64 s[6:7], s[4:5]
	s_cbranch_execnz .LBB3_191
	s_branch .LBB3_192
.LBB3_2241:
	s_movk_i32 s4, 0x80
	v_cmp_eq_u16_sdwa s[12:13], v8, s4 src0_sel:BYTE_0 src1_sel:DWORD
	s_mov_b64 s[4:5], -1
                                        ; implicit-def: $sgpr10
	s_and_saveexec_b64 s[8:9], s[12:13]
; %bb.2242:
	s_mov_b32 s10, 0x7f800001
	s_xor_b64 s[4:5], exec, -1
; %bb.2243:
	s_or_b64 exec, exec, s[8:9]
	s_and_b64 s[4:5], s[4:5], exec
	s_or_saveexec_b64 s[6:7], s[6:7]
	v_mov_b32_e32 v2, s10
	s_xor_b64 exec, exec, s[6:7]
	s_cbranch_execz .LBB3_194
.LBB3_2244:
	v_mov_b32_e32 v2, 0
	v_cmp_ne_u16_sdwa s[8:9], v8, v2 src0_sel:BYTE_0 src1_sel:DWORD
	s_andn2_b64 s[4:5], s[4:5], exec
	s_and_b64 s[8:9], s[8:9], exec
	s_or_b64 s[4:5], s[4:5], s[8:9]
	s_or_b64 exec, exec, s[6:7]
	s_and_saveexec_b64 s[6:7], s[4:5]
	s_cbranch_execnz .LBB3_195
	s_branch .LBB3_196
.LBB3_2245:
	s_movk_i32 s4, 0x80
	v_cmp_eq_u16_sdwa s[12:13], v4, s4 src0_sel:BYTE_0 src1_sel:DWORD
	s_mov_b64 s[4:5], -1
                                        ; implicit-def: $sgpr10
	s_and_saveexec_b64 s[8:9], s[12:13]
; %bb.2246:
	s_mov_b32 s10, 0x7f800001
	s_xor_b64 s[4:5], exec, -1
; %bb.2247:
	s_or_b64 exec, exec, s[8:9]
	s_and_b64 s[4:5], s[4:5], exec
	s_or_saveexec_b64 s[6:7], s[6:7]
	v_mov_b32_e32 v3, s10
	s_xor_b64 exec, exec, s[6:7]
	s_cbranch_execz .LBB3_198
.LBB3_2248:
	v_mov_b32_e32 v3, 0
	v_cmp_ne_u16_sdwa s[8:9], v4, v3 src0_sel:BYTE_0 src1_sel:DWORD
	s_andn2_b64 s[4:5], s[4:5], exec
	s_and_b64 s[8:9], s[8:9], exec
	s_or_b64 s[4:5], s[4:5], s[8:9]
	s_or_b64 exec, exec, s[6:7]
	s_and_saveexec_b64 s[6:7], s[4:5]
	s_cbranch_execnz .LBB3_199
	s_branch .LBB3_200
.LBB3_2249:
	s_movk_i32 s4, 0x80
	v_cmp_eq_u16_sdwa s[12:13], v3, s4 src0_sel:BYTE_0 src1_sel:DWORD
	s_mov_b64 s[4:5], -1
                                        ; implicit-def: $sgpr10
	s_and_saveexec_b64 s[8:9], s[12:13]
; %bb.2250:
	s_mov_b32 s10, 0x7f800001
	s_xor_b64 s[4:5], exec, -1
; %bb.2251:
	s_or_b64 exec, exec, s[8:9]
	s_and_b64 s[4:5], s[4:5], exec
	s_or_saveexec_b64 s[6:7], s[6:7]
	v_mov_b32_e32 v2, s10
	s_xor_b64 exec, exec, s[6:7]
	s_cbranch_execz .LBB3_202
.LBB3_2252:
	v_mov_b32_e32 v2, 0
	v_cmp_ne_u16_sdwa s[8:9], v3, v2 src0_sel:BYTE_0 src1_sel:DWORD
	s_andn2_b64 s[4:5], s[4:5], exec
	s_and_b64 s[8:9], s[8:9], exec
	s_or_b64 s[4:5], s[4:5], s[8:9]
	s_or_b64 exec, exec, s[6:7]
	s_and_saveexec_b64 s[6:7], s[4:5]
	s_cbranch_execnz .LBB3_203
	s_branch .LBB3_204
.LBB3_2253:
	s_movk_i32 s4, 0x80
	v_cmp_eq_u16_sdwa s[12:13], v3, s4 src0_sel:BYTE_0 src1_sel:DWORD
	s_mov_b64 s[4:5], -1
                                        ; implicit-def: $sgpr10
	s_and_saveexec_b64 s[8:9], s[12:13]
; %bb.2254:
	s_mov_b32 s10, 0x7f800001
	s_xor_b64 s[4:5], exec, -1
; %bb.2255:
	s_or_b64 exec, exec, s[8:9]
	s_and_b64 s[4:5], s[4:5], exec
	s_or_saveexec_b64 s[6:7], s[6:7]
	v_mov_b32_e32 v6, s10
	s_xor_b64 exec, exec, s[6:7]
	s_cbranch_execz .LBB3_206
.LBB3_2256:
	v_mov_b32_e32 v6, 0
	v_cmp_ne_u16_sdwa s[8:9], v3, v6 src0_sel:BYTE_0 src1_sel:DWORD
	s_andn2_b64 s[4:5], s[4:5], exec
	s_and_b64 s[8:9], s[8:9], exec
	s_or_b64 s[4:5], s[4:5], s[8:9]
	s_or_b64 exec, exec, s[6:7]
	s_and_saveexec_b64 s[6:7], s[4:5]
	s_cbranch_execnz .LBB3_207
	s_branch .LBB3_208
.LBB3_2257:
	s_movk_i32 s4, 0x80
	v_cmp_eq_u16_e32 vcc, s4, v3
	s_mov_b64 s[4:5], -1
                                        ; implicit-def: $sgpr10
	s_and_saveexec_b64 s[8:9], vcc
; %bb.2258:
	s_mov_b32 s10, 0x7f800001
	s_xor_b64 s[4:5], exec, -1
; %bb.2259:
	s_or_b64 exec, exec, s[8:9]
	s_and_b64 s[4:5], s[4:5], exec
                                        ; implicit-def: $vgpr3
	s_or_saveexec_b64 s[6:7], s[6:7]
	v_mov_b32_e32 v2, s10
	s_xor_b64 exec, exec, s[6:7]
	s_cbranch_execz .LBB3_210
.LBB3_2260:
	v_cmp_ne_u16_e32 vcc, 0, v3
	s_andn2_b64 s[4:5], s[4:5], exec
	s_and_b64 s[8:9], vcc, exec
	v_mov_b32_e32 v2, 0
	s_or_b64 s[4:5], s[4:5], s[8:9]
	s_or_b64 exec, exec, s[6:7]
	s_and_saveexec_b64 s[6:7], s[4:5]
	s_cbranch_execnz .LBB3_211
	s_branch .LBB3_212
.LBB3_2261:
	s_movk_i32 s4, 0x80
	v_cmp_eq_u16_e32 vcc, s4, v3
	s_mov_b64 s[4:5], -1
                                        ; implicit-def: $sgpr10
	s_and_saveexec_b64 s[8:9], vcc
; %bb.2262:
	s_mov_b32 s10, 0x7f800001
	s_xor_b64 s[4:5], exec, -1
; %bb.2263:
	s_or_b64 exec, exec, s[8:9]
	s_and_b64 s[4:5], s[4:5], exec
                                        ; implicit-def: $vgpr3
	s_or_saveexec_b64 s[6:7], s[6:7]
	v_mov_b32_e32 v6, s10
	s_xor_b64 exec, exec, s[6:7]
	s_cbranch_execz .LBB3_214
.LBB3_2264:
	v_cmp_ne_u16_e32 vcc, 0, v3
	s_andn2_b64 s[4:5], s[4:5], exec
	s_and_b64 s[8:9], vcc, exec
	v_mov_b32_e32 v6, 0
	s_or_b64 s[4:5], s[4:5], s[8:9]
	s_or_b64 exec, exec, s[6:7]
	s_and_saveexec_b64 s[6:7], s[4:5]
	s_cbranch_execnz .LBB3_215
	s_branch .LBB3_216
.LBB3_2265:
	s_movk_i32 s4, 0x80
	v_cmp_eq_u16_sdwa s[12:13], v8, s4 src0_sel:BYTE_3 src1_sel:DWORD
	s_mov_b64 s[4:5], -1
                                        ; implicit-def: $sgpr10
	s_and_saveexec_b64 s[8:9], s[12:13]
; %bb.2266:
	s_mov_b32 s10, 0x7f800001
	s_xor_b64 s[4:5], exec, -1
; %bb.2267:
	s_or_b64 exec, exec, s[8:9]
	s_and_b64 s[4:5], s[4:5], exec
	s_or_saveexec_b64 s[6:7], s[6:7]
	v_mov_b32_e32 v2, s10
	s_xor_b64 exec, exec, s[6:7]
	s_cbranch_execz .LBB3_218
.LBB3_2268:
	v_mov_b32_e32 v2, 0
	v_cmp_ne_u16_sdwa s[8:9], v8, v2 src0_sel:BYTE_3 src1_sel:DWORD
	s_andn2_b64 s[4:5], s[4:5], exec
	s_and_b64 s[8:9], s[8:9], exec
	s_or_b64 s[4:5], s[4:5], s[8:9]
	s_or_b64 exec, exec, s[6:7]
	s_and_saveexec_b64 s[6:7], s[4:5]
	s_cbranch_execnz .LBB3_219
	s_branch .LBB3_220
.LBB3_2269:
	s_movk_i32 s4, 0x80
	v_cmp_eq_u16_sdwa s[12:13], v4, s4 src0_sel:BYTE_3 src1_sel:DWORD
	s_mov_b64 s[4:5], -1
                                        ; implicit-def: $sgpr10
	s_and_saveexec_b64 s[8:9], s[12:13]
; %bb.2270:
	s_mov_b32 s10, 0x7f800001
	s_xor_b64 s[4:5], exec, -1
; %bb.2271:
	s_or_b64 exec, exec, s[8:9]
	s_and_b64 s[4:5], s[4:5], exec
	s_or_saveexec_b64 s[6:7], s[6:7]
	v_mov_b32_e32 v3, s10
	s_xor_b64 exec, exec, s[6:7]
	s_cbranch_execz .LBB3_222
.LBB3_2272:
	v_mov_b32_e32 v3, 0
	v_cmp_ne_u16_sdwa s[8:9], v4, v3 src0_sel:BYTE_3 src1_sel:DWORD
	s_andn2_b64 s[4:5], s[4:5], exec
	s_and_b64 s[8:9], s[8:9], exec
	s_or_b64 s[4:5], s[4:5], s[8:9]
	s_or_b64 exec, exec, s[6:7]
	s_and_saveexec_b64 s[6:7], s[4:5]
	s_cbranch_execnz .LBB3_223
	s_branch .LBB3_224
.LBB3_2273:
	s_movk_i32 s4, 0x80
	v_cmp_eq_u16_sdwa s[12:13], v9, s4 src0_sel:BYTE_0 src1_sel:DWORD
	s_mov_b64 s[4:5], -1
                                        ; implicit-def: $sgpr10
	s_and_saveexec_b64 s[8:9], s[12:13]
; %bb.2274:
	s_mov_b32 s10, 0x7f800001
	s_xor_b64 s[4:5], exec, -1
; %bb.2275:
	s_or_b64 exec, exec, s[8:9]
	s_and_b64 s[4:5], s[4:5], exec
	s_or_saveexec_b64 s[6:7], s[6:7]
	v_mov_b32_e32 v2, s10
	s_xor_b64 exec, exec, s[6:7]
	s_cbranch_execz .LBB3_226
.LBB3_2276:
	v_mov_b32_e32 v2, 0
	v_cmp_ne_u16_sdwa s[8:9], v9, v2 src0_sel:BYTE_0 src1_sel:DWORD
	s_andn2_b64 s[4:5], s[4:5], exec
	s_and_b64 s[8:9], s[8:9], exec
	s_or_b64 s[4:5], s[4:5], s[8:9]
	s_or_b64 exec, exec, s[6:7]
	s_and_saveexec_b64 s[6:7], s[4:5]
	s_cbranch_execnz .LBB3_227
	s_branch .LBB3_228
.LBB3_2277:
	s_movk_i32 s4, 0x80
	v_cmp_eq_u16_sdwa s[12:13], v5, s4 src0_sel:BYTE_0 src1_sel:DWORD
	s_mov_b64 s[4:5], -1
                                        ; implicit-def: $sgpr10
	s_and_saveexec_b64 s[8:9], s[12:13]
; %bb.2278:
	s_mov_b32 s10, 0x7f800001
	s_xor_b64 s[4:5], exec, -1
; %bb.2279:
	s_or_b64 exec, exec, s[8:9]
	s_and_b64 s[4:5], s[4:5], exec
	s_or_saveexec_b64 s[6:7], s[6:7]
	v_mov_b32_e32 v3, s10
	s_xor_b64 exec, exec, s[6:7]
	s_cbranch_execz .LBB3_230
.LBB3_2280:
	v_mov_b32_e32 v3, 0
	v_cmp_ne_u16_sdwa s[8:9], v5, v3 src0_sel:BYTE_0 src1_sel:DWORD
	s_andn2_b64 s[4:5], s[4:5], exec
	s_and_b64 s[8:9], s[8:9], exec
	s_or_b64 s[4:5], s[4:5], s[8:9]
	s_or_b64 exec, exec, s[6:7]
	s_and_saveexec_b64 s[6:7], s[4:5]
	s_cbranch_execnz .LBB3_231
	s_branch .LBB3_232
.LBB3_2281:
	s_movk_i32 s4, 0x80
	v_cmp_eq_u16_sdwa s[12:13], v3, s4 src0_sel:BYTE_0 src1_sel:DWORD
	s_mov_b64 s[4:5], -1
                                        ; implicit-def: $sgpr10
	s_and_saveexec_b64 s[8:9], s[12:13]
; %bb.2282:
	s_mov_b32 s10, 0x7f800001
	s_xor_b64 s[4:5], exec, -1
; %bb.2283:
	s_or_b64 exec, exec, s[8:9]
	s_and_b64 s[4:5], s[4:5], exec
	s_or_saveexec_b64 s[6:7], s[6:7]
	v_mov_b32_e32 v2, s10
	s_xor_b64 exec, exec, s[6:7]
	s_cbranch_execz .LBB3_234
.LBB3_2284:
	v_mov_b32_e32 v2, 0
	v_cmp_ne_u16_sdwa s[8:9], v3, v2 src0_sel:BYTE_0 src1_sel:DWORD
	s_andn2_b64 s[4:5], s[4:5], exec
	s_and_b64 s[8:9], s[8:9], exec
	s_or_b64 s[4:5], s[4:5], s[8:9]
	s_or_b64 exec, exec, s[6:7]
	s_and_saveexec_b64 s[6:7], s[4:5]
	s_cbranch_execnz .LBB3_235
	s_branch .LBB3_236
.LBB3_2285:
	s_movk_i32 s4, 0x80
	v_cmp_eq_u16_sdwa s[12:13], v3, s4 src0_sel:BYTE_0 src1_sel:DWORD
	s_mov_b64 s[4:5], -1
                                        ; implicit-def: $sgpr10
	s_and_saveexec_b64 s[8:9], s[12:13]
; %bb.2286:
	s_mov_b32 s10, 0x7f800001
	s_xor_b64 s[4:5], exec, -1
; %bb.2287:
	s_or_b64 exec, exec, s[8:9]
	s_and_b64 s[4:5], s[4:5], exec
	s_or_saveexec_b64 s[6:7], s[6:7]
	v_mov_b32_e32 v4, s10
	s_xor_b64 exec, exec, s[6:7]
	s_cbranch_execz .LBB3_238
.LBB3_2288:
	v_mov_b32_e32 v4, 0
	v_cmp_ne_u16_sdwa s[8:9], v3, v4 src0_sel:BYTE_0 src1_sel:DWORD
	s_andn2_b64 s[4:5], s[4:5], exec
	s_and_b64 s[8:9], s[8:9], exec
	s_or_b64 s[4:5], s[4:5], s[8:9]
	s_or_b64 exec, exec, s[6:7]
	s_and_saveexec_b64 s[6:7], s[4:5]
	s_cbranch_execnz .LBB3_239
	s_branch .LBB3_240
.LBB3_2289:
	s_movk_i32 s4, 0x80
	v_cmp_eq_u16_e32 vcc, s4, v3
	s_mov_b64 s[4:5], -1
                                        ; implicit-def: $sgpr10
	s_and_saveexec_b64 s[8:9], vcc
; %bb.2290:
	s_mov_b32 s10, 0x7f800001
	s_xor_b64 s[4:5], exec, -1
; %bb.2291:
	s_or_b64 exec, exec, s[8:9]
	s_and_b64 s[4:5], s[4:5], exec
                                        ; implicit-def: $vgpr3
	s_or_saveexec_b64 s[6:7], s[6:7]
	v_mov_b32_e32 v2, s10
	s_xor_b64 exec, exec, s[6:7]
	s_cbranch_execz .LBB3_242
.LBB3_2292:
	v_cmp_ne_u16_e32 vcc, 0, v3
	s_andn2_b64 s[4:5], s[4:5], exec
	s_and_b64 s[8:9], vcc, exec
	v_mov_b32_e32 v2, 0
	s_or_b64 s[4:5], s[4:5], s[8:9]
	s_or_b64 exec, exec, s[6:7]
	s_and_saveexec_b64 s[6:7], s[4:5]
	s_cbranch_execnz .LBB3_243
	s_branch .LBB3_244
.LBB3_2293:
	s_movk_i32 s4, 0x80
	v_cmp_eq_u16_e32 vcc, s4, v3
	s_mov_b64 s[4:5], -1
                                        ; implicit-def: $sgpr10
	s_and_saveexec_b64 s[8:9], vcc
; %bb.2294:
	s_mov_b32 s10, 0x7f800001
	s_xor_b64 s[4:5], exec, -1
; %bb.2295:
	s_or_b64 exec, exec, s[8:9]
	s_and_b64 s[4:5], s[4:5], exec
                                        ; implicit-def: $vgpr3
	s_or_saveexec_b64 s[6:7], s[6:7]
	v_mov_b32_e32 v4, s10
	s_xor_b64 exec, exec, s[6:7]
	s_cbranch_execz .LBB3_246
.LBB3_2296:
	v_cmp_ne_u16_e32 vcc, 0, v3
	s_andn2_b64 s[4:5], s[4:5], exec
	s_and_b64 s[8:9], vcc, exec
	v_mov_b32_e32 v4, 0
	s_or_b64 s[4:5], s[4:5], s[8:9]
	s_or_b64 exec, exec, s[6:7]
	s_and_saveexec_b64 s[6:7], s[4:5]
	s_cbranch_execnz .LBB3_247
	s_branch .LBB3_248
.LBB3_2297:
	s_movk_i32 s4, 0x80
	v_cmp_eq_u16_sdwa s[12:13], v9, s4 src0_sel:BYTE_3 src1_sel:DWORD
	s_mov_b64 s[4:5], -1
                                        ; implicit-def: $sgpr10
	s_and_saveexec_b64 s[8:9], s[12:13]
; %bb.2298:
	s_mov_b32 s10, 0x7f800001
	s_xor_b64 s[4:5], exec, -1
; %bb.2299:
	s_or_b64 exec, exec, s[8:9]
	s_and_b64 s[4:5], s[4:5], exec
	s_or_saveexec_b64 s[6:7], s[6:7]
	v_mov_b32_e32 v2, s10
	s_xor_b64 exec, exec, s[6:7]
	s_cbranch_execz .LBB3_250
.LBB3_2300:
	v_mov_b32_e32 v2, 0
	v_cmp_ne_u16_sdwa s[8:9], v9, v2 src0_sel:BYTE_3 src1_sel:DWORD
	s_andn2_b64 s[4:5], s[4:5], exec
	s_and_b64 s[8:9], s[8:9], exec
	s_or_b64 s[4:5], s[4:5], s[8:9]
	s_or_b64 exec, exec, s[6:7]
	s_and_saveexec_b64 s[6:7], s[4:5]
	s_cbranch_execnz .LBB3_251
	s_branch .LBB3_252
.LBB3_2301:
	s_movk_i32 s4, 0x80
	v_cmp_eq_u16_sdwa s[12:13], v5, s4 src0_sel:BYTE_3 src1_sel:DWORD
	s_mov_b64 s[4:5], -1
                                        ; implicit-def: $sgpr10
	s_and_saveexec_b64 s[8:9], s[12:13]
; %bb.2302:
	s_mov_b32 s10, 0x7f800001
	s_xor_b64 s[4:5], exec, -1
; %bb.2303:
	s_or_b64 exec, exec, s[8:9]
	s_and_b64 s[4:5], s[4:5], exec
	s_or_saveexec_b64 s[6:7], s[6:7]
	v_mov_b32_e32 v3, s10
	s_xor_b64 exec, exec, s[6:7]
	s_cbranch_execz .LBB3_254
.LBB3_2304:
	v_mov_b32_e32 v3, 0
	v_cmp_ne_u16_sdwa s[8:9], v5, v3 src0_sel:BYTE_3 src1_sel:DWORD
	s_andn2_b64 s[4:5], s[4:5], exec
	s_and_b64 s[8:9], s[8:9], exec
	s_or_b64 s[4:5], s[4:5], s[8:9]
	s_or_b64 exec, exec, s[6:7]
	s_and_saveexec_b64 s[6:7], s[4:5]
	s_cbranch_execnz .LBB3_255
	s_branch .LBB3_256
.LBB3_2305:
	s_movk_i32 s4, 0x80
	v_cmp_eq_u16_sdwa s[12:13], v14, s4 src0_sel:BYTE_0 src1_sel:DWORD
	s_mov_b64 s[4:5], -1
                                        ; implicit-def: $sgpr10
	s_and_saveexec_b64 s[8:9], s[12:13]
; %bb.2306:
	s_mov_b32 s10, 0x7f800001
	s_xor_b64 s[4:5], exec, -1
; %bb.2307:
	s_or_b64 exec, exec, s[8:9]
	s_and_b64 s[4:5], s[4:5], exec
	s_or_saveexec_b64 s[6:7], s[6:7]
	v_mov_b32_e32 v20, s10
	s_xor_b64 exec, exec, s[6:7]
	s_cbranch_execz .LBB3_258
.LBB3_2308:
	v_mov_b32_e32 v20, 0
	v_cmp_ne_u16_sdwa s[8:9], v14, v20 src0_sel:BYTE_0 src1_sel:DWORD
	s_andn2_b64 s[4:5], s[4:5], exec
	s_and_b64 s[8:9], s[8:9], exec
	s_or_b64 s[4:5], s[4:5], s[8:9]
	s_or_b64 exec, exec, s[6:7]
	s_and_saveexec_b64 s[6:7], s[4:5]
	s_cbranch_execnz .LBB3_259
	s_branch .LBB3_260
.LBB3_2309:
	s_movk_i32 s4, 0x80
	v_cmp_eq_u16_sdwa s[12:13], v10, s4 src0_sel:BYTE_0 src1_sel:DWORD
	s_mov_b64 s[4:5], -1
                                        ; implicit-def: $sgpr10
	s_and_saveexec_b64 s[8:9], s[12:13]
; %bb.2310:
	s_mov_b32 s10, 0x7f800001
	s_xor_b64 s[4:5], exec, -1
; %bb.2311:
	s_or_b64 exec, exec, s[8:9]
	s_and_b64 s[4:5], s[4:5], exec
	s_or_saveexec_b64 s[6:7], s[6:7]
	v_mov_b32_e32 v21, s10
	s_xor_b64 exec, exec, s[6:7]
	s_cbranch_execz .LBB3_262
.LBB3_2312:
	v_mov_b32_e32 v21, 0
	v_cmp_ne_u16_sdwa s[8:9], v10, v21 src0_sel:BYTE_0 src1_sel:DWORD
	s_andn2_b64 s[4:5], s[4:5], exec
	s_and_b64 s[8:9], s[8:9], exec
	s_or_b64 s[4:5], s[4:5], s[8:9]
	s_or_b64 exec, exec, s[6:7]
	s_and_saveexec_b64 s[6:7], s[4:5]
	s_cbranch_execnz .LBB3_263
	s_branch .LBB3_264
.LBB3_2313:
	s_movk_i32 s4, 0x80
	v_cmp_eq_u16_sdwa s[12:13], v21, s4 src0_sel:BYTE_0 src1_sel:DWORD
	s_mov_b64 s[4:5], -1
                                        ; implicit-def: $sgpr10
	s_and_saveexec_b64 s[8:9], s[12:13]
; %bb.2314:
	s_mov_b32 s10, 0x7f800001
	s_xor_b64 s[4:5], exec, -1
; %bb.2315:
	s_or_b64 exec, exec, s[8:9]
	s_and_b64 s[4:5], s[4:5], exec
	s_or_saveexec_b64 s[6:7], s[6:7]
	v_mov_b32_e32 v20, s10
	s_xor_b64 exec, exec, s[6:7]
	s_cbranch_execz .LBB3_266
.LBB3_2316:
	v_mov_b32_e32 v20, 0
	v_cmp_ne_u16_sdwa s[8:9], v21, v20 src0_sel:BYTE_0 src1_sel:DWORD
	s_andn2_b64 s[4:5], s[4:5], exec
	s_and_b64 s[8:9], s[8:9], exec
	s_or_b64 s[4:5], s[4:5], s[8:9]
	s_or_b64 exec, exec, s[6:7]
	s_and_saveexec_b64 s[6:7], s[4:5]
	s_cbranch_execnz .LBB3_267
	s_branch .LBB3_268
.LBB3_2317:
	s_movk_i32 s4, 0x80
	v_cmp_eq_u16_sdwa s[12:13], v21, s4 src0_sel:BYTE_0 src1_sel:DWORD
	s_mov_b64 s[4:5], -1
                                        ; implicit-def: $sgpr10
	s_and_saveexec_b64 s[8:9], s[12:13]
; %bb.2318:
	s_mov_b32 s10, 0x7f800001
	s_xor_b64 s[4:5], exec, -1
; %bb.2319:
	s_or_b64 exec, exec, s[8:9]
	s_and_b64 s[4:5], s[4:5], exec
	s_or_saveexec_b64 s[6:7], s[6:7]
	v_mov_b32_e32 v22, s10
	s_xor_b64 exec, exec, s[6:7]
	s_cbranch_execz .LBB3_270
.LBB3_2320:
	v_mov_b32_e32 v22, 0
	v_cmp_ne_u16_sdwa s[8:9], v21, v22 src0_sel:BYTE_0 src1_sel:DWORD
	s_andn2_b64 s[4:5], s[4:5], exec
	s_and_b64 s[8:9], s[8:9], exec
	s_or_b64 s[4:5], s[4:5], s[8:9]
	s_or_b64 exec, exec, s[6:7]
	s_and_saveexec_b64 s[6:7], s[4:5]
	s_cbranch_execnz .LBB3_271
	s_branch .LBB3_272
.LBB3_2321:
	s_movk_i32 s4, 0x80
	v_cmp_eq_u16_e32 vcc, s4, v21
	s_mov_b64 s[4:5], -1
                                        ; implicit-def: $sgpr10
	s_and_saveexec_b64 s[8:9], vcc
; %bb.2322:
	s_mov_b32 s10, 0x7f800001
	s_xor_b64 s[4:5], exec, -1
; %bb.2323:
	s_or_b64 exec, exec, s[8:9]
	s_and_b64 s[4:5], s[4:5], exec
                                        ; implicit-def: $vgpr21
	s_or_saveexec_b64 s[6:7], s[6:7]
	v_mov_b32_e32 v20, s10
	s_xor_b64 exec, exec, s[6:7]
	s_cbranch_execz .LBB3_274
.LBB3_2324:
	v_cmp_ne_u16_e32 vcc, 0, v21
	s_andn2_b64 s[4:5], s[4:5], exec
	s_and_b64 s[8:9], vcc, exec
	v_mov_b32_e32 v20, 0
	s_or_b64 s[4:5], s[4:5], s[8:9]
	s_or_b64 exec, exec, s[6:7]
	s_and_saveexec_b64 s[6:7], s[4:5]
	s_cbranch_execnz .LBB3_275
	s_branch .LBB3_276
.LBB3_2325:
	s_movk_i32 s4, 0x80
	v_cmp_eq_u16_e32 vcc, s4, v21
	s_mov_b64 s[4:5], -1
                                        ; implicit-def: $sgpr10
	s_and_saveexec_b64 s[8:9], vcc
; %bb.2326:
	s_mov_b32 s10, 0x7f800001
	s_xor_b64 s[4:5], exec, -1
; %bb.2327:
	s_or_b64 exec, exec, s[8:9]
	s_and_b64 s[4:5], s[4:5], exec
                                        ; implicit-def: $vgpr21
	s_or_saveexec_b64 s[6:7], s[6:7]
	v_mov_b32_e32 v22, s10
	s_xor_b64 exec, exec, s[6:7]
	s_cbranch_execz .LBB3_278
.LBB3_2328:
	v_cmp_ne_u16_e32 vcc, 0, v21
	s_andn2_b64 s[4:5], s[4:5], exec
	s_and_b64 s[8:9], vcc, exec
	v_mov_b32_e32 v22, 0
	s_or_b64 s[4:5], s[4:5], s[8:9]
	s_or_b64 exec, exec, s[6:7]
	s_and_saveexec_b64 s[6:7], s[4:5]
	s_cbranch_execnz .LBB3_279
	s_branch .LBB3_280
.LBB3_2329:
	s_movk_i32 s4, 0x80
	v_cmp_eq_u16_sdwa s[12:13], v14, s4 src0_sel:BYTE_3 src1_sel:DWORD
	s_mov_b64 s[4:5], -1
                                        ; implicit-def: $sgpr10
	s_and_saveexec_b64 s[8:9], s[12:13]
; %bb.2330:
	s_mov_b32 s10, 0x7f800001
	s_xor_b64 s[4:5], exec, -1
; %bb.2331:
	s_or_b64 exec, exec, s[8:9]
	s_and_b64 s[4:5], s[4:5], exec
	s_or_saveexec_b64 s[6:7], s[6:7]
	v_mov_b32_e32 v20, s10
	s_xor_b64 exec, exec, s[6:7]
	s_cbranch_execz .LBB3_282
.LBB3_2332:
	v_mov_b32_e32 v20, 0
	v_cmp_ne_u16_sdwa s[8:9], v14, v20 src0_sel:BYTE_3 src1_sel:DWORD
	s_andn2_b64 s[4:5], s[4:5], exec
	s_and_b64 s[8:9], s[8:9], exec
	s_or_b64 s[4:5], s[4:5], s[8:9]
	s_or_b64 exec, exec, s[6:7]
	s_and_saveexec_b64 s[6:7], s[4:5]
	s_cbranch_execnz .LBB3_283
	s_branch .LBB3_284
.LBB3_2333:
	s_movk_i32 s4, 0x80
	v_cmp_eq_u16_sdwa s[12:13], v10, s4 src0_sel:BYTE_3 src1_sel:DWORD
	s_mov_b64 s[4:5], -1
                                        ; implicit-def: $sgpr10
	s_and_saveexec_b64 s[8:9], s[12:13]
; %bb.2334:
	s_mov_b32 s10, 0x7f800001
	s_xor_b64 s[4:5], exec, -1
; %bb.2335:
	s_or_b64 exec, exec, s[8:9]
	s_and_b64 s[4:5], s[4:5], exec
	s_or_saveexec_b64 s[6:7], s[6:7]
	v_mov_b32_e32 v14, s10
	s_xor_b64 exec, exec, s[6:7]
	s_cbranch_execz .LBB3_286
.LBB3_2336:
	v_mov_b32_e32 v14, 0
	v_cmp_ne_u16_sdwa s[8:9], v10, v14 src0_sel:BYTE_3 src1_sel:DWORD
	s_andn2_b64 s[4:5], s[4:5], exec
	s_and_b64 s[8:9], s[8:9], exec
	s_or_b64 s[4:5], s[4:5], s[8:9]
	s_or_b64 exec, exec, s[6:7]
	s_and_saveexec_b64 s[6:7], s[4:5]
	s_cbranch_execnz .LBB3_287
	s_branch .LBB3_288
.LBB3_2337:
	s_movk_i32 s4, 0x80
	v_cmp_eq_u16_sdwa s[12:13], v15, s4 src0_sel:BYTE_0 src1_sel:DWORD
	s_mov_b64 s[4:5], -1
                                        ; implicit-def: $sgpr10
	s_and_saveexec_b64 s[8:9], s[12:13]
; %bb.2338:
	s_mov_b32 s10, 0x7f800001
	s_xor_b64 s[4:5], exec, -1
; %bb.2339:
	s_or_b64 exec, exec, s[8:9]
	s_and_b64 s[4:5], s[4:5], exec
	s_or_saveexec_b64 s[6:7], s[6:7]
	v_mov_b32_e32 v10, s10
	s_xor_b64 exec, exec, s[6:7]
	s_cbranch_execz .LBB3_290
.LBB3_2340:
	v_mov_b32_e32 v10, 0
	v_cmp_ne_u16_sdwa s[8:9], v15, v10 src0_sel:BYTE_0 src1_sel:DWORD
	s_andn2_b64 s[4:5], s[4:5], exec
	s_and_b64 s[8:9], s[8:9], exec
	s_or_b64 s[4:5], s[4:5], s[8:9]
	s_or_b64 exec, exec, s[6:7]
	s_and_saveexec_b64 s[6:7], s[4:5]
	s_cbranch_execnz .LBB3_291
	s_branch .LBB3_292
.LBB3_2341:
	s_movk_i32 s4, 0x80
	v_cmp_eq_u16_sdwa s[12:13], v11, s4 src0_sel:BYTE_0 src1_sel:DWORD
	s_mov_b64 s[4:5], -1
                                        ; implicit-def: $sgpr10
	s_and_saveexec_b64 s[8:9], s[12:13]
; %bb.2342:
	s_mov_b32 s10, 0x7f800001
	s_xor_b64 s[4:5], exec, -1
; %bb.2343:
	s_or_b64 exec, exec, s[8:9]
	s_and_b64 s[4:5], s[4:5], exec
	s_or_saveexec_b64 s[6:7], s[6:7]
	v_mov_b32_e32 v14, s10
	s_xor_b64 exec, exec, s[6:7]
	s_cbranch_execz .LBB3_294
.LBB3_2344:
	v_mov_b32_e32 v14, 0
	v_cmp_ne_u16_sdwa s[8:9], v11, v14 src0_sel:BYTE_0 src1_sel:DWORD
	s_andn2_b64 s[4:5], s[4:5], exec
	s_and_b64 s[8:9], s[8:9], exec
	s_or_b64 s[4:5], s[4:5], s[8:9]
	s_or_b64 exec, exec, s[6:7]
	s_and_saveexec_b64 s[6:7], s[4:5]
	s_cbranch_execnz .LBB3_295
	s_branch .LBB3_296
.LBB3_2345:
	s_movk_i32 s4, 0x80
	v_cmp_eq_u16_sdwa s[12:13], v14, s4 src0_sel:BYTE_0 src1_sel:DWORD
	s_mov_b64 s[4:5], -1
                                        ; implicit-def: $sgpr10
	s_and_saveexec_b64 s[8:9], s[12:13]
; %bb.2346:
	s_mov_b32 s10, 0x7f800001
	s_xor_b64 s[4:5], exec, -1
; %bb.2347:
	s_or_b64 exec, exec, s[8:9]
	s_and_b64 s[4:5], s[4:5], exec
	s_or_saveexec_b64 s[6:7], s[6:7]
	v_mov_b32_e32 v10, s10
	s_xor_b64 exec, exec, s[6:7]
	s_cbranch_execz .LBB3_298
.LBB3_2348:
	v_mov_b32_e32 v10, 0
	v_cmp_ne_u16_sdwa s[8:9], v14, v10 src0_sel:BYTE_0 src1_sel:DWORD
	s_andn2_b64 s[4:5], s[4:5], exec
	s_and_b64 s[8:9], s[8:9], exec
	s_or_b64 s[4:5], s[4:5], s[8:9]
	s_or_b64 exec, exec, s[6:7]
	s_and_saveexec_b64 s[6:7], s[4:5]
	s_cbranch_execnz .LBB3_299
	s_branch .LBB3_300
.LBB3_2349:
	s_movk_i32 s4, 0x80
	v_cmp_eq_u16_sdwa s[12:13], v14, s4 src0_sel:BYTE_0 src1_sel:DWORD
	s_mov_b64 s[4:5], -1
                                        ; implicit-def: $sgpr10
	s_and_saveexec_b64 s[8:9], s[12:13]
; %bb.2350:
	s_mov_b32 s10, 0x7f800001
	s_xor_b64 s[4:5], exec, -1
; %bb.2351:
	s_or_b64 exec, exec, s[8:9]
	s_and_b64 s[4:5], s[4:5], exec
	s_or_saveexec_b64 s[6:7], s[6:7]
	v_mov_b32_e32 v20, s10
	s_xor_b64 exec, exec, s[6:7]
	s_cbranch_execz .LBB3_302
.LBB3_2352:
	v_mov_b32_e32 v20, 0
	v_cmp_ne_u16_sdwa s[8:9], v14, v20 src0_sel:BYTE_0 src1_sel:DWORD
	s_andn2_b64 s[4:5], s[4:5], exec
	s_and_b64 s[8:9], s[8:9], exec
	s_or_b64 s[4:5], s[4:5], s[8:9]
	s_or_b64 exec, exec, s[6:7]
	s_and_saveexec_b64 s[6:7], s[4:5]
	s_cbranch_execnz .LBB3_303
	s_branch .LBB3_304
.LBB3_2353:
	s_movk_i32 s4, 0x80
	v_cmp_eq_u16_e32 vcc, s4, v14
	s_mov_b64 s[4:5], -1
                                        ; implicit-def: $sgpr10
	s_and_saveexec_b64 s[8:9], vcc
; %bb.2354:
	s_mov_b32 s10, 0x7f800001
	s_xor_b64 s[4:5], exec, -1
; %bb.2355:
	s_or_b64 exec, exec, s[8:9]
	s_and_b64 s[4:5], s[4:5], exec
                                        ; implicit-def: $vgpr14
	s_or_saveexec_b64 s[6:7], s[6:7]
	v_mov_b32_e32 v10, s10
	s_xor_b64 exec, exec, s[6:7]
	s_cbranch_execz .LBB3_306
.LBB3_2356:
	v_cmp_ne_u16_e32 vcc, 0, v14
	s_andn2_b64 s[4:5], s[4:5], exec
	s_and_b64 s[8:9], vcc, exec
	v_mov_b32_e32 v10, 0
	s_or_b64 s[4:5], s[4:5], s[8:9]
	s_or_b64 exec, exec, s[6:7]
	s_and_saveexec_b64 s[6:7], s[4:5]
	s_cbranch_execnz .LBB3_307
	s_branch .LBB3_308
.LBB3_2357:
	s_movk_i32 s4, 0x80
	v_cmp_eq_u16_e32 vcc, s4, v14
	s_mov_b64 s[4:5], -1
                                        ; implicit-def: $sgpr10
	s_and_saveexec_b64 s[8:9], vcc
; %bb.2358:
	s_mov_b32 s10, 0x7f800001
	s_xor_b64 s[4:5], exec, -1
; %bb.2359:
	s_or_b64 exec, exec, s[8:9]
	s_and_b64 s[4:5], s[4:5], exec
                                        ; implicit-def: $vgpr14
	s_or_saveexec_b64 s[6:7], s[6:7]
	v_mov_b32_e32 v20, s10
	s_xor_b64 exec, exec, s[6:7]
	s_cbranch_execz .LBB3_310
.LBB3_2360:
	v_cmp_ne_u16_e32 vcc, 0, v14
	s_andn2_b64 s[4:5], s[4:5], exec
	s_and_b64 s[8:9], vcc, exec
	v_mov_b32_e32 v20, 0
	s_or_b64 s[4:5], s[4:5], s[8:9]
	s_or_b64 exec, exec, s[6:7]
	s_and_saveexec_b64 s[6:7], s[4:5]
	s_cbranch_execnz .LBB3_311
	s_branch .LBB3_312
.LBB3_2361:
	s_movk_i32 s4, 0x80
	v_cmp_eq_u16_sdwa s[12:13], v15, s4 src0_sel:BYTE_3 src1_sel:DWORD
	s_mov_b64 s[4:5], -1
                                        ; implicit-def: $sgpr10
	s_and_saveexec_b64 s[8:9], s[12:13]
; %bb.2362:
	s_mov_b32 s10, 0x7f800001
	s_xor_b64 s[4:5], exec, -1
; %bb.2363:
	s_or_b64 exec, exec, s[8:9]
	s_and_b64 s[4:5], s[4:5], exec
	s_or_saveexec_b64 s[6:7], s[6:7]
	v_mov_b32_e32 v10, s10
	s_xor_b64 exec, exec, s[6:7]
	s_cbranch_execz .LBB3_314
.LBB3_2364:
	v_mov_b32_e32 v10, 0
	v_cmp_ne_u16_sdwa s[8:9], v15, v10 src0_sel:BYTE_3 src1_sel:DWORD
	s_andn2_b64 s[4:5], s[4:5], exec
	s_and_b64 s[8:9], s[8:9], exec
	s_or_b64 s[4:5], s[4:5], s[8:9]
	s_or_b64 exec, exec, s[6:7]
	s_and_saveexec_b64 s[6:7], s[4:5]
	s_cbranch_execnz .LBB3_315
	s_branch .LBB3_316
.LBB3_2365:
	s_movk_i32 s4, 0x80
	v_cmp_eq_u16_sdwa s[12:13], v11, s4 src0_sel:BYTE_3 src1_sel:DWORD
	s_mov_b64 s[4:5], -1
                                        ; implicit-def: $sgpr10
	s_and_saveexec_b64 s[8:9], s[12:13]
; %bb.2366:
	s_mov_b32 s10, 0x7f800001
	s_xor_b64 s[4:5], exec, -1
; %bb.2367:
	s_or_b64 exec, exec, s[8:9]
	s_and_b64 s[4:5], s[4:5], exec
	s_or_saveexec_b64 s[6:7], s[6:7]
	v_mov_b32_e32 v14, s10
	s_xor_b64 exec, exec, s[6:7]
	s_cbranch_execz .LBB3_318
.LBB3_2368:
	v_mov_b32_e32 v14, 0
	v_cmp_ne_u16_sdwa s[8:9], v11, v14 src0_sel:BYTE_3 src1_sel:DWORD
	s_andn2_b64 s[4:5], s[4:5], exec
	s_and_b64 s[8:9], s[8:9], exec
	s_or_b64 s[4:5], s[4:5], s[8:9]
	s_or_b64 exec, exec, s[6:7]
	s_and_saveexec_b64 s[6:7], s[4:5]
	s_cbranch_execnz .LBB3_319
	s_branch .LBB3_320
.LBB3_2369:
	s_movk_i32 s4, 0x80
	v_cmp_eq_u16_sdwa s[12:13], v16, s4 src0_sel:BYTE_0 src1_sel:DWORD
	s_mov_b64 s[4:5], -1
                                        ; implicit-def: $sgpr10
	s_and_saveexec_b64 s[8:9], s[12:13]
; %bb.2370:
	s_mov_b32 s10, 0x7f800001
	s_xor_b64 s[4:5], exec, -1
; %bb.2371:
	s_or_b64 exec, exec, s[8:9]
	s_and_b64 s[4:5], s[4:5], exec
	s_or_saveexec_b64 s[6:7], s[6:7]
	v_mov_b32_e32 v10, s10
	s_xor_b64 exec, exec, s[6:7]
	s_cbranch_execz .LBB3_322
.LBB3_2372:
	v_mov_b32_e32 v10, 0
	v_cmp_ne_u16_sdwa s[8:9], v16, v10 src0_sel:BYTE_0 src1_sel:DWORD
	s_andn2_b64 s[4:5], s[4:5], exec
	s_and_b64 s[8:9], s[8:9], exec
	s_or_b64 s[4:5], s[4:5], s[8:9]
	s_or_b64 exec, exec, s[6:7]
	s_and_saveexec_b64 s[6:7], s[4:5]
	s_cbranch_execnz .LBB3_323
	s_branch .LBB3_324
.LBB3_2373:
	s_movk_i32 s4, 0x80
	v_cmp_eq_u16_sdwa s[12:13], v12, s4 src0_sel:BYTE_0 src1_sel:DWORD
	s_mov_b64 s[4:5], -1
                                        ; implicit-def: $sgpr10
	s_and_saveexec_b64 s[8:9], s[12:13]
; %bb.2374:
	s_mov_b32 s10, 0x7f800001
	s_xor_b64 s[4:5], exec, -1
; %bb.2375:
	s_or_b64 exec, exec, s[8:9]
	s_and_b64 s[4:5], s[4:5], exec
	s_or_saveexec_b64 s[6:7], s[6:7]
	v_mov_b32_e32 v11, s10
	s_xor_b64 exec, exec, s[6:7]
	s_cbranch_execz .LBB3_326
.LBB3_2376:
	v_mov_b32_e32 v11, 0
	v_cmp_ne_u16_sdwa s[8:9], v12, v11 src0_sel:BYTE_0 src1_sel:DWORD
	s_andn2_b64 s[4:5], s[4:5], exec
	s_and_b64 s[8:9], s[8:9], exec
	s_or_b64 s[4:5], s[4:5], s[8:9]
	s_or_b64 exec, exec, s[6:7]
	s_and_saveexec_b64 s[6:7], s[4:5]
	s_cbranch_execnz .LBB3_327
	s_branch .LBB3_328
.LBB3_2377:
	s_movk_i32 s4, 0x80
	v_cmp_eq_u16_sdwa s[12:13], v11, s4 src0_sel:BYTE_0 src1_sel:DWORD
	s_mov_b64 s[4:5], -1
                                        ; implicit-def: $sgpr10
	s_and_saveexec_b64 s[8:9], s[12:13]
; %bb.2378:
	s_mov_b32 s10, 0x7f800001
	s_xor_b64 s[4:5], exec, -1
; %bb.2379:
	s_or_b64 exec, exec, s[8:9]
	s_and_b64 s[4:5], s[4:5], exec
	s_or_saveexec_b64 s[6:7], s[6:7]
	v_mov_b32_e32 v10, s10
	s_xor_b64 exec, exec, s[6:7]
	s_cbranch_execz .LBB3_330
.LBB3_2380:
	v_mov_b32_e32 v10, 0
	v_cmp_ne_u16_sdwa s[8:9], v11, v10 src0_sel:BYTE_0 src1_sel:DWORD
	s_andn2_b64 s[4:5], s[4:5], exec
	s_and_b64 s[8:9], s[8:9], exec
	s_or_b64 s[4:5], s[4:5], s[8:9]
	s_or_b64 exec, exec, s[6:7]
	s_and_saveexec_b64 s[6:7], s[4:5]
	s_cbranch_execnz .LBB3_331
	s_branch .LBB3_332
.LBB3_2381:
	s_movk_i32 s4, 0x80
	v_cmp_eq_u16_sdwa s[12:13], v11, s4 src0_sel:BYTE_0 src1_sel:DWORD
	s_mov_b64 s[4:5], -1
                                        ; implicit-def: $sgpr10
	s_and_saveexec_b64 s[8:9], s[12:13]
; %bb.2382:
	s_mov_b32 s10, 0x7f800001
	s_xor_b64 s[4:5], exec, -1
; %bb.2383:
	s_or_b64 exec, exec, s[8:9]
	s_and_b64 s[4:5], s[4:5], exec
	s_or_saveexec_b64 s[6:7], s[6:7]
	v_mov_b32_e32 v14, s10
	s_xor_b64 exec, exec, s[6:7]
	s_cbranch_execz .LBB3_334
.LBB3_2384:
	v_mov_b32_e32 v14, 0
	v_cmp_ne_u16_sdwa s[8:9], v11, v14 src0_sel:BYTE_0 src1_sel:DWORD
	s_andn2_b64 s[4:5], s[4:5], exec
	s_and_b64 s[8:9], s[8:9], exec
	s_or_b64 s[4:5], s[4:5], s[8:9]
	s_or_b64 exec, exec, s[6:7]
	s_and_saveexec_b64 s[6:7], s[4:5]
	s_cbranch_execnz .LBB3_335
	s_branch .LBB3_336
.LBB3_2385:
	s_movk_i32 s4, 0x80
	v_cmp_eq_u16_e32 vcc, s4, v11
	s_mov_b64 s[4:5], -1
                                        ; implicit-def: $sgpr10
	s_and_saveexec_b64 s[8:9], vcc
; %bb.2386:
	s_mov_b32 s10, 0x7f800001
	s_xor_b64 s[4:5], exec, -1
; %bb.2387:
	s_or_b64 exec, exec, s[8:9]
	s_and_b64 s[4:5], s[4:5], exec
                                        ; implicit-def: $vgpr11
	s_or_saveexec_b64 s[6:7], s[6:7]
	v_mov_b32_e32 v10, s10
	s_xor_b64 exec, exec, s[6:7]
	s_cbranch_execz .LBB3_338
.LBB3_2388:
	v_cmp_ne_u16_e32 vcc, 0, v11
	s_andn2_b64 s[4:5], s[4:5], exec
	s_and_b64 s[8:9], vcc, exec
	v_mov_b32_e32 v10, 0
	s_or_b64 s[4:5], s[4:5], s[8:9]
	s_or_b64 exec, exec, s[6:7]
	s_and_saveexec_b64 s[6:7], s[4:5]
	s_cbranch_execnz .LBB3_339
	s_branch .LBB3_340
.LBB3_2389:
	s_movk_i32 s4, 0x80
	v_cmp_eq_u16_e32 vcc, s4, v11
	s_mov_b64 s[4:5], -1
                                        ; implicit-def: $sgpr10
	s_and_saveexec_b64 s[8:9], vcc
; %bb.2390:
	s_mov_b32 s10, 0x7f800001
	s_xor_b64 s[4:5], exec, -1
; %bb.2391:
	s_or_b64 exec, exec, s[8:9]
	s_and_b64 s[4:5], s[4:5], exec
                                        ; implicit-def: $vgpr11
	s_or_saveexec_b64 s[6:7], s[6:7]
	v_mov_b32_e32 v14, s10
	s_xor_b64 exec, exec, s[6:7]
	s_cbranch_execz .LBB3_342
.LBB3_2392:
	v_cmp_ne_u16_e32 vcc, 0, v11
	s_andn2_b64 s[4:5], s[4:5], exec
	s_and_b64 s[8:9], vcc, exec
	v_mov_b32_e32 v14, 0
	s_or_b64 s[4:5], s[4:5], s[8:9]
	s_or_b64 exec, exec, s[6:7]
	s_and_saveexec_b64 s[6:7], s[4:5]
	s_cbranch_execnz .LBB3_343
	s_branch .LBB3_344
.LBB3_2393:
	s_movk_i32 s4, 0x80
	v_cmp_eq_u16_sdwa s[12:13], v16, s4 src0_sel:BYTE_3 src1_sel:DWORD
	s_mov_b64 s[4:5], -1
                                        ; implicit-def: $sgpr10
	s_and_saveexec_b64 s[8:9], s[12:13]
; %bb.2394:
	s_mov_b32 s10, 0x7f800001
	s_xor_b64 s[4:5], exec, -1
; %bb.2395:
	s_or_b64 exec, exec, s[8:9]
	s_and_b64 s[4:5], s[4:5], exec
	s_or_saveexec_b64 s[6:7], s[6:7]
	v_mov_b32_e32 v10, s10
	s_xor_b64 exec, exec, s[6:7]
	s_cbranch_execz .LBB3_346
.LBB3_2396:
	v_mov_b32_e32 v10, 0
	v_cmp_ne_u16_sdwa s[8:9], v16, v10 src0_sel:BYTE_3 src1_sel:DWORD
	s_andn2_b64 s[4:5], s[4:5], exec
	s_and_b64 s[8:9], s[8:9], exec
	s_or_b64 s[4:5], s[4:5], s[8:9]
	s_or_b64 exec, exec, s[6:7]
	s_and_saveexec_b64 s[6:7], s[4:5]
	s_cbranch_execnz .LBB3_347
	s_branch .LBB3_348
.LBB3_2397:
	s_movk_i32 s4, 0x80
	v_cmp_eq_u16_sdwa s[12:13], v12, s4 src0_sel:BYTE_3 src1_sel:DWORD
	s_mov_b64 s[4:5], -1
                                        ; implicit-def: $sgpr10
	s_and_saveexec_b64 s[8:9], s[12:13]
; %bb.2398:
	s_mov_b32 s10, 0x7f800001
	s_xor_b64 s[4:5], exec, -1
; %bb.2399:
	s_or_b64 exec, exec, s[8:9]
	s_and_b64 s[4:5], s[4:5], exec
	s_or_saveexec_b64 s[6:7], s[6:7]
	v_mov_b32_e32 v11, s10
	s_xor_b64 exec, exec, s[6:7]
	s_cbranch_execz .LBB3_350
.LBB3_2400:
	v_mov_b32_e32 v11, 0
	v_cmp_ne_u16_sdwa s[8:9], v12, v11 src0_sel:BYTE_3 src1_sel:DWORD
	s_andn2_b64 s[4:5], s[4:5], exec
	s_and_b64 s[8:9], s[8:9], exec
	s_or_b64 s[4:5], s[4:5], s[8:9]
	s_or_b64 exec, exec, s[6:7]
	s_and_saveexec_b64 s[6:7], s[4:5]
	s_cbranch_execnz .LBB3_351
	s_branch .LBB3_352
.LBB3_2401:
	s_movk_i32 s4, 0x80
	v_cmp_eq_u16_sdwa s[12:13], v17, s4 src0_sel:BYTE_0 src1_sel:DWORD
	s_mov_b64 s[4:5], -1
                                        ; implicit-def: $sgpr10
	s_and_saveexec_b64 s[8:9], s[12:13]
; %bb.2402:
	s_mov_b32 s10, 0x7f800001
	s_xor_b64 s[4:5], exec, -1
; %bb.2403:
	s_or_b64 exec, exec, s[8:9]
	s_and_b64 s[4:5], s[4:5], exec
	s_or_saveexec_b64 s[6:7], s[6:7]
	v_mov_b32_e32 v10, s10
	s_xor_b64 exec, exec, s[6:7]
	s_cbranch_execz .LBB3_354
.LBB3_2404:
	v_mov_b32_e32 v10, 0
	v_cmp_ne_u16_sdwa s[8:9], v17, v10 src0_sel:BYTE_0 src1_sel:DWORD
	s_andn2_b64 s[4:5], s[4:5], exec
	s_and_b64 s[8:9], s[8:9], exec
	s_or_b64 s[4:5], s[4:5], s[8:9]
	s_or_b64 exec, exec, s[6:7]
	s_and_saveexec_b64 s[6:7], s[4:5]
	s_cbranch_execnz .LBB3_355
	s_branch .LBB3_356
.LBB3_2405:
	s_movk_i32 s4, 0x80
	v_cmp_eq_u16_sdwa s[12:13], v13, s4 src0_sel:BYTE_0 src1_sel:DWORD
	s_mov_b64 s[4:5], -1
                                        ; implicit-def: $sgpr10
	s_and_saveexec_b64 s[8:9], s[12:13]
; %bb.2406:
	s_mov_b32 s10, 0x7f800001
	s_xor_b64 s[4:5], exec, -1
; %bb.2407:
	s_or_b64 exec, exec, s[8:9]
	s_and_b64 s[4:5], s[4:5], exec
	s_or_saveexec_b64 s[6:7], s[6:7]
	v_mov_b32_e32 v11, s10
	s_xor_b64 exec, exec, s[6:7]
	s_cbranch_execz .LBB3_358
.LBB3_2408:
	v_mov_b32_e32 v11, 0
	v_cmp_ne_u16_sdwa s[8:9], v13, v11 src0_sel:BYTE_0 src1_sel:DWORD
	s_andn2_b64 s[4:5], s[4:5], exec
	s_and_b64 s[8:9], s[8:9], exec
	s_or_b64 s[4:5], s[4:5], s[8:9]
	s_or_b64 exec, exec, s[6:7]
	s_and_saveexec_b64 s[6:7], s[4:5]
	s_cbranch_execnz .LBB3_359
	s_branch .LBB3_360
.LBB3_2409:
	s_movk_i32 s4, 0x80
	v_cmp_eq_u16_sdwa s[12:13], v11, s4 src0_sel:BYTE_0 src1_sel:DWORD
	s_mov_b64 s[4:5], -1
                                        ; implicit-def: $sgpr10
	s_and_saveexec_b64 s[8:9], s[12:13]
; %bb.2410:
	s_mov_b32 s10, 0x7f800001
	s_xor_b64 s[4:5], exec, -1
; %bb.2411:
	s_or_b64 exec, exec, s[8:9]
	s_and_b64 s[4:5], s[4:5], exec
	s_or_saveexec_b64 s[6:7], s[6:7]
	v_mov_b32_e32 v10, s10
	s_xor_b64 exec, exec, s[6:7]
	s_cbranch_execz .LBB3_362
.LBB3_2412:
	v_mov_b32_e32 v10, 0
	v_cmp_ne_u16_sdwa s[8:9], v11, v10 src0_sel:BYTE_0 src1_sel:DWORD
	s_andn2_b64 s[4:5], s[4:5], exec
	s_and_b64 s[8:9], s[8:9], exec
	s_or_b64 s[4:5], s[4:5], s[8:9]
	s_or_b64 exec, exec, s[6:7]
	s_and_saveexec_b64 s[6:7], s[4:5]
	s_cbranch_execnz .LBB3_363
	s_branch .LBB3_364
.LBB3_2413:
	s_movk_i32 s4, 0x80
	v_cmp_eq_u16_sdwa s[12:13], v11, s4 src0_sel:BYTE_0 src1_sel:DWORD
	s_mov_b64 s[4:5], -1
                                        ; implicit-def: $sgpr10
	s_and_saveexec_b64 s[8:9], s[12:13]
; %bb.2414:
	s_mov_b32 s10, 0x7f800001
	s_xor_b64 s[4:5], exec, -1
; %bb.2415:
	s_or_b64 exec, exec, s[8:9]
	s_and_b64 s[4:5], s[4:5], exec
	s_or_saveexec_b64 s[6:7], s[6:7]
	v_mov_b32_e32 v12, s10
	s_xor_b64 exec, exec, s[6:7]
	s_cbranch_execz .LBB3_366
.LBB3_2416:
	v_mov_b32_e32 v12, 0
	v_cmp_ne_u16_sdwa s[8:9], v11, v12 src0_sel:BYTE_0 src1_sel:DWORD
	s_andn2_b64 s[4:5], s[4:5], exec
	s_and_b64 s[8:9], s[8:9], exec
	s_or_b64 s[4:5], s[4:5], s[8:9]
	s_or_b64 exec, exec, s[6:7]
	s_and_saveexec_b64 s[6:7], s[4:5]
	s_cbranch_execnz .LBB3_367
	s_branch .LBB3_368
.LBB3_2417:
	s_movk_i32 s4, 0x80
	v_cmp_eq_u16_e32 vcc, s4, v11
	s_mov_b64 s[4:5], -1
                                        ; implicit-def: $sgpr10
	s_and_saveexec_b64 s[8:9], vcc
; %bb.2418:
	s_mov_b32 s10, 0x7f800001
	s_xor_b64 s[4:5], exec, -1
; %bb.2419:
	s_or_b64 exec, exec, s[8:9]
	s_and_b64 s[4:5], s[4:5], exec
                                        ; implicit-def: $vgpr11
	s_or_saveexec_b64 s[6:7], s[6:7]
	v_mov_b32_e32 v10, s10
	s_xor_b64 exec, exec, s[6:7]
	s_cbranch_execz .LBB3_370
.LBB3_2420:
	v_cmp_ne_u16_e32 vcc, 0, v11
	s_andn2_b64 s[4:5], s[4:5], exec
	s_and_b64 s[8:9], vcc, exec
	v_mov_b32_e32 v10, 0
	s_or_b64 s[4:5], s[4:5], s[8:9]
	s_or_b64 exec, exec, s[6:7]
	s_and_saveexec_b64 s[6:7], s[4:5]
	s_cbranch_execnz .LBB3_371
	s_branch .LBB3_372
.LBB3_2421:
	s_movk_i32 s4, 0x80
	v_cmp_eq_u16_e32 vcc, s4, v11
	s_mov_b64 s[4:5], -1
                                        ; implicit-def: $sgpr10
	s_and_saveexec_b64 s[8:9], vcc
; %bb.2422:
	s_mov_b32 s10, 0x7f800001
	s_xor_b64 s[4:5], exec, -1
; %bb.2423:
	s_or_b64 exec, exec, s[8:9]
	s_and_b64 s[4:5], s[4:5], exec
                                        ; implicit-def: $vgpr11
	s_or_saveexec_b64 s[6:7], s[6:7]
	v_mov_b32_e32 v12, s10
	s_xor_b64 exec, exec, s[6:7]
	s_cbranch_execz .LBB3_374
.LBB3_2424:
	v_cmp_ne_u16_e32 vcc, 0, v11
	s_andn2_b64 s[4:5], s[4:5], exec
	s_and_b64 s[8:9], vcc, exec
	v_mov_b32_e32 v12, 0
	s_or_b64 s[4:5], s[4:5], s[8:9]
	s_or_b64 exec, exec, s[6:7]
	s_and_saveexec_b64 s[6:7], s[4:5]
	s_cbranch_execnz .LBB3_375
	s_branch .LBB3_376
.LBB3_2425:
	s_movk_i32 s4, 0x80
	v_cmp_eq_u16_sdwa s[12:13], v17, s4 src0_sel:BYTE_3 src1_sel:DWORD
	s_mov_b64 s[4:5], -1
                                        ; implicit-def: $sgpr10
	s_and_saveexec_b64 s[8:9], s[12:13]
; %bb.2426:
	s_mov_b32 s10, 0x7f800001
	s_xor_b64 s[4:5], exec, -1
; %bb.2427:
	s_or_b64 exec, exec, s[8:9]
	s_and_b64 s[4:5], s[4:5], exec
	s_or_saveexec_b64 s[6:7], s[6:7]
	v_mov_b32_e32 v10, s10
	s_xor_b64 exec, exec, s[6:7]
	s_cbranch_execz .LBB3_378
.LBB3_2428:
	v_mov_b32_e32 v10, 0
	v_cmp_ne_u16_sdwa s[8:9], v17, v10 src0_sel:BYTE_3 src1_sel:DWORD
	s_andn2_b64 s[4:5], s[4:5], exec
	s_and_b64 s[8:9], s[8:9], exec
	s_or_b64 s[4:5], s[4:5], s[8:9]
	s_or_b64 exec, exec, s[6:7]
	s_and_saveexec_b64 s[6:7], s[4:5]
	s_cbranch_execnz .LBB3_379
	s_branch .LBB3_380
.LBB3_2429:
	s_movk_i32 s4, 0x80
	v_cmp_eq_u16_sdwa s[12:13], v13, s4 src0_sel:BYTE_3 src1_sel:DWORD
	s_mov_b64 s[4:5], -1
                                        ; implicit-def: $sgpr10
	s_and_saveexec_b64 s[8:9], s[12:13]
; %bb.2430:
	s_mov_b32 s10, 0x7f800001
	s_xor_b64 s[4:5], exec, -1
; %bb.2431:
	s_or_b64 exec, exec, s[8:9]
	s_and_b64 s[4:5], s[4:5], exec
	s_or_saveexec_b64 s[6:7], s[6:7]
	v_mov_b32_e32 v11, s10
	s_xor_b64 exec, exec, s[6:7]
	s_cbranch_execz .LBB3_382
.LBB3_2432:
	v_mov_b32_e32 v11, 0
	v_cmp_ne_u16_sdwa s[8:9], v13, v11 src0_sel:BYTE_3 src1_sel:DWORD
	s_andn2_b64 s[4:5], s[4:5], exec
	s_and_b64 s[8:9], s[8:9], exec
	s_or_b64 s[4:5], s[4:5], s[8:9]
	s_or_b64 exec, exec, s[6:7]
	s_and_saveexec_b64 s[6:7], s[4:5]
	s_cbranch_execnz .LBB3_383
	s_branch .LBB3_384
.LBB3_2433:
	s_movk_i32 s4, 0x80
	v_cmp_eq_u16_sdwa s[12:13], v6, s4 src0_sel:BYTE_0 src1_sel:DWORD
	s_mov_b64 s[4:5], -1
                                        ; implicit-def: $sgpr10
	s_and_saveexec_b64 s[8:9], s[12:13]
; %bb.2434:
	s_mov_b32 s10, 0x7f800001
	s_xor_b64 s[4:5], exec, -1
; %bb.2435:
	s_or_b64 exec, exec, s[8:9]
	s_and_b64 s[4:5], s[4:5], exec
	s_or_saveexec_b64 s[6:7], s[6:7]
	v_mov_b32_e32 v10, s10
	s_xor_b64 exec, exec, s[6:7]
	s_cbranch_execz .LBB3_386
.LBB3_2436:
	v_mov_b32_e32 v10, 0
	v_cmp_ne_u16_sdwa s[8:9], v6, v10 src0_sel:BYTE_0 src1_sel:DWORD
	s_andn2_b64 s[4:5], s[4:5], exec
	s_and_b64 s[8:9], s[8:9], exec
	s_or_b64 s[4:5], s[4:5], s[8:9]
	s_or_b64 exec, exec, s[6:7]
	s_and_saveexec_b64 s[6:7], s[4:5]
	s_cbranch_execnz .LBB3_387
	s_branch .LBB3_388
.LBB3_2437:
	s_movk_i32 s4, 0x80
	v_cmp_eq_u16_sdwa s[12:13], v2, s4 src0_sel:BYTE_0 src1_sel:DWORD
	s_mov_b64 s[4:5], -1
                                        ; implicit-def: $sgpr10
	s_and_saveexec_b64 s[8:9], s[12:13]
; %bb.2438:
	s_mov_b32 s10, 0x7f800001
	s_xor_b64 s[4:5], exec, -1
; %bb.2439:
	s_or_b64 exec, exec, s[8:9]
	s_and_b64 s[4:5], s[4:5], exec
	s_or_saveexec_b64 s[6:7], s[6:7]
	v_mov_b32_e32 v11, s10
	s_xor_b64 exec, exec, s[6:7]
	s_cbranch_execz .LBB3_390
.LBB3_2440:
	v_mov_b32_e32 v11, 0
	v_cmp_ne_u16_sdwa s[8:9], v2, v11 src0_sel:BYTE_0 src1_sel:DWORD
	s_andn2_b64 s[4:5], s[4:5], exec
	s_and_b64 s[8:9], s[8:9], exec
	s_or_b64 s[4:5], s[4:5], s[8:9]
	s_or_b64 exec, exec, s[6:7]
	s_and_saveexec_b64 s[6:7], s[4:5]
	s_cbranch_execnz .LBB3_391
	s_branch .LBB3_392
.LBB3_2441:
	s_movk_i32 s4, 0x80
	v_cmp_eq_u16_sdwa s[12:13], v11, s4 src0_sel:BYTE_0 src1_sel:DWORD
	s_mov_b64 s[4:5], -1
                                        ; implicit-def: $sgpr10
	s_and_saveexec_b64 s[8:9], s[12:13]
; %bb.2442:
	s_mov_b32 s10, 0x7f800001
	s_xor_b64 s[4:5], exec, -1
; %bb.2443:
	s_or_b64 exec, exec, s[8:9]
	s_and_b64 s[4:5], s[4:5], exec
	s_or_saveexec_b64 s[6:7], s[6:7]
	v_mov_b32_e32 v10, s10
	s_xor_b64 exec, exec, s[6:7]
	s_cbranch_execz .LBB3_394
.LBB3_2444:
	v_mov_b32_e32 v10, 0
	v_cmp_ne_u16_sdwa s[8:9], v11, v10 src0_sel:BYTE_0 src1_sel:DWORD
	s_andn2_b64 s[4:5], s[4:5], exec
	s_and_b64 s[8:9], s[8:9], exec
	s_or_b64 s[4:5], s[4:5], s[8:9]
	s_or_b64 exec, exec, s[6:7]
	s_and_saveexec_b64 s[6:7], s[4:5]
	s_cbranch_execnz .LBB3_395
	s_branch .LBB3_396
.LBB3_2445:
	s_movk_i32 s4, 0x80
	v_cmp_eq_u16_sdwa s[12:13], v11, s4 src0_sel:BYTE_0 src1_sel:DWORD
	s_mov_b64 s[4:5], -1
                                        ; implicit-def: $sgpr10
	s_and_saveexec_b64 s[8:9], s[12:13]
; %bb.2446:
	s_mov_b32 s10, 0x7f800001
	s_xor_b64 s[4:5], exec, -1
; %bb.2447:
	s_or_b64 exec, exec, s[8:9]
	s_and_b64 s[4:5], s[4:5], exec
	s_or_saveexec_b64 s[6:7], s[6:7]
	v_mov_b32_e32 v12, s10
	s_xor_b64 exec, exec, s[6:7]
	s_cbranch_execz .LBB3_398
.LBB3_2448:
	v_mov_b32_e32 v12, 0
	v_cmp_ne_u16_sdwa s[8:9], v11, v12 src0_sel:BYTE_0 src1_sel:DWORD
	s_andn2_b64 s[4:5], s[4:5], exec
	s_and_b64 s[8:9], s[8:9], exec
	s_or_b64 s[4:5], s[4:5], s[8:9]
	s_or_b64 exec, exec, s[6:7]
	s_and_saveexec_b64 s[6:7], s[4:5]
	s_cbranch_execnz .LBB3_399
	s_branch .LBB3_400
.LBB3_2449:
	s_movk_i32 s4, 0x80
	v_cmp_eq_u16_e32 vcc, s4, v11
	s_mov_b64 s[4:5], -1
                                        ; implicit-def: $sgpr10
	s_and_saveexec_b64 s[8:9], vcc
; %bb.2450:
	s_mov_b32 s10, 0x7f800001
	s_xor_b64 s[4:5], exec, -1
; %bb.2451:
	s_or_b64 exec, exec, s[8:9]
	s_and_b64 s[4:5], s[4:5], exec
                                        ; implicit-def: $vgpr11
	s_or_saveexec_b64 s[6:7], s[6:7]
	v_mov_b32_e32 v10, s10
	s_xor_b64 exec, exec, s[6:7]
	s_cbranch_execz .LBB3_402
.LBB3_2452:
	v_cmp_ne_u16_e32 vcc, 0, v11
	s_andn2_b64 s[4:5], s[4:5], exec
	s_and_b64 s[8:9], vcc, exec
	v_mov_b32_e32 v10, 0
	s_or_b64 s[4:5], s[4:5], s[8:9]
	s_or_b64 exec, exec, s[6:7]
	s_and_saveexec_b64 s[6:7], s[4:5]
	s_cbranch_execnz .LBB3_403
	s_branch .LBB3_404
.LBB3_2453:
	s_movk_i32 s4, 0x80
	v_cmp_eq_u16_e32 vcc, s4, v11
	s_mov_b64 s[4:5], -1
                                        ; implicit-def: $sgpr10
	s_and_saveexec_b64 s[8:9], vcc
; %bb.2454:
	s_mov_b32 s10, 0x7f800001
	s_xor_b64 s[4:5], exec, -1
; %bb.2455:
	s_or_b64 exec, exec, s[8:9]
	s_and_b64 s[4:5], s[4:5], exec
                                        ; implicit-def: $vgpr11
	s_or_saveexec_b64 s[6:7], s[6:7]
	v_mov_b32_e32 v12, s10
	s_xor_b64 exec, exec, s[6:7]
	s_cbranch_execz .LBB3_406
.LBB3_2456:
	v_cmp_ne_u16_e32 vcc, 0, v11
	s_andn2_b64 s[4:5], s[4:5], exec
	s_and_b64 s[8:9], vcc, exec
	v_mov_b32_e32 v12, 0
	s_or_b64 s[4:5], s[4:5], s[8:9]
	s_or_b64 exec, exec, s[6:7]
	s_and_saveexec_b64 s[6:7], s[4:5]
	s_cbranch_execnz .LBB3_407
	s_branch .LBB3_408
.LBB3_2457:
	s_movk_i32 s4, 0x80
	v_cmp_eq_u16_sdwa s[12:13], v6, s4 src0_sel:BYTE_3 src1_sel:DWORD
	s_mov_b64 s[4:5], -1
                                        ; implicit-def: $sgpr10
	s_and_saveexec_b64 s[8:9], s[12:13]
; %bb.2458:
	s_mov_b32 s10, 0x7f800001
	s_xor_b64 s[4:5], exec, -1
; %bb.2459:
	s_or_b64 exec, exec, s[8:9]
	s_and_b64 s[4:5], s[4:5], exec
	s_or_saveexec_b64 s[6:7], s[6:7]
	v_mov_b32_e32 v10, s10
	s_xor_b64 exec, exec, s[6:7]
	s_cbranch_execz .LBB3_410
.LBB3_2460:
	v_mov_b32_e32 v10, 0
	v_cmp_ne_u16_sdwa s[8:9], v6, v10 src0_sel:BYTE_3 src1_sel:DWORD
	s_andn2_b64 s[4:5], s[4:5], exec
	s_and_b64 s[8:9], s[8:9], exec
	s_or_b64 s[4:5], s[4:5], s[8:9]
	s_or_b64 exec, exec, s[6:7]
	s_and_saveexec_b64 s[6:7], s[4:5]
	s_cbranch_execnz .LBB3_411
	s_branch .LBB3_412
.LBB3_2461:
	s_movk_i32 s4, 0x80
	v_cmp_eq_u16_sdwa s[12:13], v2, s4 src0_sel:BYTE_3 src1_sel:DWORD
	s_mov_b64 s[4:5], -1
                                        ; implicit-def: $sgpr10
	s_and_saveexec_b64 s[8:9], s[12:13]
; %bb.2462:
	s_mov_b32 s10, 0x7f800001
	s_xor_b64 s[4:5], exec, -1
; %bb.2463:
	s_or_b64 exec, exec, s[8:9]
	s_and_b64 s[4:5], s[4:5], exec
	s_or_saveexec_b64 s[6:7], s[6:7]
	v_mov_b32_e32 v6, s10
	s_xor_b64 exec, exec, s[6:7]
	s_cbranch_execz .LBB3_414
.LBB3_2464:
	v_mov_b32_e32 v6, 0
	v_cmp_ne_u16_sdwa s[8:9], v2, v6 src0_sel:BYTE_3 src1_sel:DWORD
	s_andn2_b64 s[4:5], s[4:5], exec
	s_and_b64 s[8:9], s[8:9], exec
	s_or_b64 s[4:5], s[4:5], s[8:9]
	s_or_b64 exec, exec, s[6:7]
	s_and_saveexec_b64 s[6:7], s[4:5]
	s_cbranch_execnz .LBB3_415
	s_branch .LBB3_416
.LBB3_2465:
	s_movk_i32 s4, 0x80
	v_cmp_eq_u16_sdwa s[12:13], v7, s4 src0_sel:BYTE_0 src1_sel:DWORD
	s_mov_b64 s[4:5], -1
                                        ; implicit-def: $sgpr10
	s_and_saveexec_b64 s[8:9], s[12:13]
; %bb.2466:
	s_mov_b32 s10, 0x7f800001
	s_xor_b64 s[4:5], exec, -1
; %bb.2467:
	s_or_b64 exec, exec, s[8:9]
	s_and_b64 s[4:5], s[4:5], exec
	s_or_saveexec_b64 s[6:7], s[6:7]
	v_mov_b32_e32 v2, s10
	s_xor_b64 exec, exec, s[6:7]
	s_cbranch_execz .LBB3_418
.LBB3_2468:
	v_mov_b32_e32 v2, 0
	v_cmp_ne_u16_sdwa s[8:9], v7, v2 src0_sel:BYTE_0 src1_sel:DWORD
	s_andn2_b64 s[4:5], s[4:5], exec
	s_and_b64 s[8:9], s[8:9], exec
	s_or_b64 s[4:5], s[4:5], s[8:9]
	s_or_b64 exec, exec, s[6:7]
	s_and_saveexec_b64 s[6:7], s[4:5]
	s_cbranch_execnz .LBB3_419
	s_branch .LBB3_420
.LBB3_2469:
	s_movk_i32 s4, 0x80
	v_cmp_eq_u16_sdwa s[12:13], v3, s4 src0_sel:BYTE_0 src1_sel:DWORD
	s_mov_b64 s[4:5], -1
                                        ; implicit-def: $sgpr10
	s_and_saveexec_b64 s[8:9], s[12:13]
; %bb.2470:
	s_mov_b32 s10, 0x7f800001
	s_xor_b64 s[4:5], exec, -1
; %bb.2471:
	s_or_b64 exec, exec, s[8:9]
	s_and_b64 s[4:5], s[4:5], exec
	s_or_saveexec_b64 s[6:7], s[6:7]
	v_mov_b32_e32 v6, s10
	s_xor_b64 exec, exec, s[6:7]
	s_cbranch_execz .LBB3_422
.LBB3_2472:
	v_mov_b32_e32 v6, 0
	v_cmp_ne_u16_sdwa s[8:9], v3, v6 src0_sel:BYTE_0 src1_sel:DWORD
	s_andn2_b64 s[4:5], s[4:5], exec
	s_and_b64 s[8:9], s[8:9], exec
	s_or_b64 s[4:5], s[4:5], s[8:9]
	s_or_b64 exec, exec, s[6:7]
	s_and_saveexec_b64 s[6:7], s[4:5]
	s_cbranch_execnz .LBB3_423
	s_branch .LBB3_424
.LBB3_2473:
	s_movk_i32 s4, 0x80
	v_cmp_eq_u16_sdwa s[12:13], v6, s4 src0_sel:BYTE_0 src1_sel:DWORD
	s_mov_b64 s[4:5], -1
                                        ; implicit-def: $sgpr10
	s_and_saveexec_b64 s[8:9], s[12:13]
; %bb.2474:
	s_mov_b32 s10, 0x7f800001
	s_xor_b64 s[4:5], exec, -1
; %bb.2475:
	s_or_b64 exec, exec, s[8:9]
	s_and_b64 s[4:5], s[4:5], exec
	s_or_saveexec_b64 s[6:7], s[6:7]
	v_mov_b32_e32 v2, s10
	s_xor_b64 exec, exec, s[6:7]
	s_cbranch_execz .LBB3_426
.LBB3_2476:
	v_mov_b32_e32 v2, 0
	v_cmp_ne_u16_sdwa s[8:9], v6, v2 src0_sel:BYTE_0 src1_sel:DWORD
	s_andn2_b64 s[4:5], s[4:5], exec
	s_and_b64 s[8:9], s[8:9], exec
	s_or_b64 s[4:5], s[4:5], s[8:9]
	s_or_b64 exec, exec, s[6:7]
	s_and_saveexec_b64 s[6:7], s[4:5]
	s_cbranch_execnz .LBB3_427
	s_branch .LBB3_428
.LBB3_2477:
	s_movk_i32 s4, 0x80
	v_cmp_eq_u16_sdwa s[12:13], v6, s4 src0_sel:BYTE_0 src1_sel:DWORD
	s_mov_b64 s[4:5], -1
                                        ; implicit-def: $sgpr10
	s_and_saveexec_b64 s[8:9], s[12:13]
; %bb.2478:
	s_mov_b32 s10, 0x7f800001
	s_xor_b64 s[4:5], exec, -1
; %bb.2479:
	s_or_b64 exec, exec, s[8:9]
	s_and_b64 s[4:5], s[4:5], exec
	s_or_saveexec_b64 s[6:7], s[6:7]
	v_mov_b32_e32 v10, s10
	s_xor_b64 exec, exec, s[6:7]
	s_cbranch_execz .LBB3_430
.LBB3_2480:
	v_mov_b32_e32 v10, 0
	v_cmp_ne_u16_sdwa s[8:9], v6, v10 src0_sel:BYTE_0 src1_sel:DWORD
	s_andn2_b64 s[4:5], s[4:5], exec
	s_and_b64 s[8:9], s[8:9], exec
	s_or_b64 s[4:5], s[4:5], s[8:9]
	s_or_b64 exec, exec, s[6:7]
	s_and_saveexec_b64 s[6:7], s[4:5]
	s_cbranch_execnz .LBB3_431
	s_branch .LBB3_432
.LBB3_2481:
	s_movk_i32 s4, 0x80
	v_cmp_eq_u16_e32 vcc, s4, v6
	s_mov_b64 s[4:5], -1
                                        ; implicit-def: $sgpr10
	s_and_saveexec_b64 s[8:9], vcc
; %bb.2482:
	s_mov_b32 s10, 0x7f800001
	s_xor_b64 s[4:5], exec, -1
; %bb.2483:
	s_or_b64 exec, exec, s[8:9]
	s_and_b64 s[4:5], s[4:5], exec
                                        ; implicit-def: $vgpr6
	s_or_saveexec_b64 s[6:7], s[6:7]
	v_mov_b32_e32 v2, s10
	s_xor_b64 exec, exec, s[6:7]
	s_cbranch_execz .LBB3_434
.LBB3_2484:
	v_cmp_ne_u16_e32 vcc, 0, v6
	s_andn2_b64 s[4:5], s[4:5], exec
	s_and_b64 s[8:9], vcc, exec
	v_mov_b32_e32 v2, 0
	s_or_b64 s[4:5], s[4:5], s[8:9]
	s_or_b64 exec, exec, s[6:7]
	s_and_saveexec_b64 s[6:7], s[4:5]
	s_cbranch_execnz .LBB3_435
	s_branch .LBB3_436
.LBB3_2485:
	s_movk_i32 s4, 0x80
	v_cmp_eq_u16_e32 vcc, s4, v6
	s_mov_b64 s[4:5], -1
                                        ; implicit-def: $sgpr10
	s_and_saveexec_b64 s[8:9], vcc
; %bb.2486:
	s_mov_b32 s10, 0x7f800001
	s_xor_b64 s[4:5], exec, -1
; %bb.2487:
	s_or_b64 exec, exec, s[8:9]
	s_and_b64 s[4:5], s[4:5], exec
                                        ; implicit-def: $vgpr6
	s_or_saveexec_b64 s[6:7], s[6:7]
	v_mov_b32_e32 v10, s10
	s_xor_b64 exec, exec, s[6:7]
	s_cbranch_execz .LBB3_438
.LBB3_2488:
	v_cmp_ne_u16_e32 vcc, 0, v6
	s_andn2_b64 s[4:5], s[4:5], exec
	s_and_b64 s[8:9], vcc, exec
	v_mov_b32_e32 v10, 0
	s_or_b64 s[4:5], s[4:5], s[8:9]
	s_or_b64 exec, exec, s[6:7]
	s_and_saveexec_b64 s[6:7], s[4:5]
	s_cbranch_execnz .LBB3_439
	s_branch .LBB3_440
.LBB3_2489:
	s_movk_i32 s4, 0x80
	v_cmp_eq_u16_sdwa s[12:13], v7, s4 src0_sel:BYTE_3 src1_sel:DWORD
	s_mov_b64 s[4:5], -1
                                        ; implicit-def: $sgpr10
	s_and_saveexec_b64 s[8:9], s[12:13]
; %bb.2490:
	s_mov_b32 s10, 0x7f800001
	s_xor_b64 s[4:5], exec, -1
; %bb.2491:
	s_or_b64 exec, exec, s[8:9]
	s_and_b64 s[4:5], s[4:5], exec
	s_or_saveexec_b64 s[6:7], s[6:7]
	v_mov_b32_e32 v2, s10
	s_xor_b64 exec, exec, s[6:7]
	s_cbranch_execz .LBB3_442
.LBB3_2492:
	v_mov_b32_e32 v2, 0
	v_cmp_ne_u16_sdwa s[8:9], v7, v2 src0_sel:BYTE_3 src1_sel:DWORD
	s_andn2_b64 s[4:5], s[4:5], exec
	s_and_b64 s[8:9], s[8:9], exec
	s_or_b64 s[4:5], s[4:5], s[8:9]
	s_or_b64 exec, exec, s[6:7]
	s_and_saveexec_b64 s[6:7], s[4:5]
	s_cbranch_execnz .LBB3_443
	s_branch .LBB3_444
.LBB3_2493:
	s_movk_i32 s4, 0x80
	v_cmp_eq_u16_sdwa s[12:13], v3, s4 src0_sel:BYTE_3 src1_sel:DWORD
	s_mov_b64 s[4:5], -1
                                        ; implicit-def: $sgpr10
	s_and_saveexec_b64 s[8:9], s[12:13]
; %bb.2494:
	s_mov_b32 s10, 0x7f800001
	s_xor_b64 s[4:5], exec, -1
; %bb.2495:
	s_or_b64 exec, exec, s[8:9]
	s_and_b64 s[4:5], s[4:5], exec
	s_or_saveexec_b64 s[6:7], s[6:7]
	v_mov_b32_e32 v6, s10
	s_xor_b64 exec, exec, s[6:7]
	s_cbranch_execz .LBB3_446
.LBB3_2496:
	v_mov_b32_e32 v6, 0
	v_cmp_ne_u16_sdwa s[8:9], v3, v6 src0_sel:BYTE_3 src1_sel:DWORD
	s_andn2_b64 s[4:5], s[4:5], exec
	s_and_b64 s[8:9], s[8:9], exec
	s_or_b64 s[4:5], s[4:5], s[8:9]
	s_or_b64 exec, exec, s[6:7]
	s_and_saveexec_b64 s[6:7], s[4:5]
	s_cbranch_execnz .LBB3_447
	s_branch .LBB3_448
.LBB3_2497:
	s_movk_i32 s4, 0x80
	v_cmp_eq_u16_sdwa s[12:13], v8, s4 src0_sel:BYTE_0 src1_sel:DWORD
	s_mov_b64 s[4:5], -1
                                        ; implicit-def: $sgpr10
	s_and_saveexec_b64 s[8:9], s[12:13]
; %bb.2498:
	s_mov_b32 s10, 0x7f800001
	s_xor_b64 s[4:5], exec, -1
; %bb.2499:
	s_or_b64 exec, exec, s[8:9]
	s_and_b64 s[4:5], s[4:5], exec
	s_or_saveexec_b64 s[6:7], s[6:7]
	v_mov_b32_e32 v2, s10
	s_xor_b64 exec, exec, s[6:7]
	s_cbranch_execz .LBB3_450
.LBB3_2500:
	v_mov_b32_e32 v2, 0
	v_cmp_ne_u16_sdwa s[8:9], v8, v2 src0_sel:BYTE_0 src1_sel:DWORD
	s_andn2_b64 s[4:5], s[4:5], exec
	s_and_b64 s[8:9], s[8:9], exec
	s_or_b64 s[4:5], s[4:5], s[8:9]
	s_or_b64 exec, exec, s[6:7]
	s_and_saveexec_b64 s[6:7], s[4:5]
	s_cbranch_execnz .LBB3_451
	s_branch .LBB3_452
.LBB3_2501:
	s_movk_i32 s4, 0x80
	v_cmp_eq_u16_sdwa s[12:13], v4, s4 src0_sel:BYTE_0 src1_sel:DWORD
	s_mov_b64 s[4:5], -1
                                        ; implicit-def: $sgpr10
	s_and_saveexec_b64 s[8:9], s[12:13]
; %bb.2502:
	s_mov_b32 s10, 0x7f800001
	s_xor_b64 s[4:5], exec, -1
; %bb.2503:
	s_or_b64 exec, exec, s[8:9]
	s_and_b64 s[4:5], s[4:5], exec
	s_or_saveexec_b64 s[6:7], s[6:7]
	v_mov_b32_e32 v3, s10
	s_xor_b64 exec, exec, s[6:7]
	s_cbranch_execz .LBB3_454
.LBB3_2504:
	v_mov_b32_e32 v3, 0
	v_cmp_ne_u16_sdwa s[8:9], v4, v3 src0_sel:BYTE_0 src1_sel:DWORD
	s_andn2_b64 s[4:5], s[4:5], exec
	s_and_b64 s[8:9], s[8:9], exec
	s_or_b64 s[4:5], s[4:5], s[8:9]
	s_or_b64 exec, exec, s[6:7]
	s_and_saveexec_b64 s[6:7], s[4:5]
	s_cbranch_execnz .LBB3_455
	s_branch .LBB3_456
.LBB3_2505:
	s_movk_i32 s4, 0x80
	v_cmp_eq_u16_sdwa s[12:13], v3, s4 src0_sel:BYTE_0 src1_sel:DWORD
	s_mov_b64 s[4:5], -1
                                        ; implicit-def: $sgpr10
	s_and_saveexec_b64 s[8:9], s[12:13]
; %bb.2506:
	s_mov_b32 s10, 0x7f800001
	s_xor_b64 s[4:5], exec, -1
; %bb.2507:
	s_or_b64 exec, exec, s[8:9]
	s_and_b64 s[4:5], s[4:5], exec
	s_or_saveexec_b64 s[6:7], s[6:7]
	v_mov_b32_e32 v2, s10
	s_xor_b64 exec, exec, s[6:7]
	s_cbranch_execz .LBB3_458
.LBB3_2508:
	v_mov_b32_e32 v2, 0
	v_cmp_ne_u16_sdwa s[8:9], v3, v2 src0_sel:BYTE_0 src1_sel:DWORD
	s_andn2_b64 s[4:5], s[4:5], exec
	s_and_b64 s[8:9], s[8:9], exec
	s_or_b64 s[4:5], s[4:5], s[8:9]
	s_or_b64 exec, exec, s[6:7]
	s_and_saveexec_b64 s[6:7], s[4:5]
	s_cbranch_execnz .LBB3_459
	s_branch .LBB3_460
.LBB3_2509:
	s_movk_i32 s4, 0x80
	v_cmp_eq_u16_sdwa s[12:13], v3, s4 src0_sel:BYTE_0 src1_sel:DWORD
	s_mov_b64 s[4:5], -1
                                        ; implicit-def: $sgpr10
	s_and_saveexec_b64 s[8:9], s[12:13]
; %bb.2510:
	s_mov_b32 s10, 0x7f800001
	s_xor_b64 s[4:5], exec, -1
; %bb.2511:
	s_or_b64 exec, exec, s[8:9]
	s_and_b64 s[4:5], s[4:5], exec
	s_or_saveexec_b64 s[6:7], s[6:7]
	v_mov_b32_e32 v6, s10
	s_xor_b64 exec, exec, s[6:7]
	s_cbranch_execz .LBB3_462
.LBB3_2512:
	v_mov_b32_e32 v6, 0
	v_cmp_ne_u16_sdwa s[8:9], v3, v6 src0_sel:BYTE_0 src1_sel:DWORD
	s_andn2_b64 s[4:5], s[4:5], exec
	s_and_b64 s[8:9], s[8:9], exec
	s_or_b64 s[4:5], s[4:5], s[8:9]
	s_or_b64 exec, exec, s[6:7]
	s_and_saveexec_b64 s[6:7], s[4:5]
	s_cbranch_execnz .LBB3_463
	s_branch .LBB3_464
.LBB3_2513:
	s_movk_i32 s4, 0x80
	v_cmp_eq_u16_e32 vcc, s4, v3
	s_mov_b64 s[4:5], -1
                                        ; implicit-def: $sgpr10
	s_and_saveexec_b64 s[8:9], vcc
; %bb.2514:
	s_mov_b32 s10, 0x7f800001
	s_xor_b64 s[4:5], exec, -1
; %bb.2515:
	s_or_b64 exec, exec, s[8:9]
	s_and_b64 s[4:5], s[4:5], exec
                                        ; implicit-def: $vgpr3
	s_or_saveexec_b64 s[6:7], s[6:7]
	v_mov_b32_e32 v2, s10
	s_xor_b64 exec, exec, s[6:7]
	s_cbranch_execz .LBB3_466
.LBB3_2516:
	v_cmp_ne_u16_e32 vcc, 0, v3
	s_andn2_b64 s[4:5], s[4:5], exec
	s_and_b64 s[8:9], vcc, exec
	v_mov_b32_e32 v2, 0
	s_or_b64 s[4:5], s[4:5], s[8:9]
	s_or_b64 exec, exec, s[6:7]
	s_and_saveexec_b64 s[6:7], s[4:5]
	s_cbranch_execnz .LBB3_467
	s_branch .LBB3_468
.LBB3_2517:
	s_movk_i32 s4, 0x80
	v_cmp_eq_u16_e32 vcc, s4, v3
	s_mov_b64 s[4:5], -1
                                        ; implicit-def: $sgpr10
	s_and_saveexec_b64 s[8:9], vcc
; %bb.2518:
	s_mov_b32 s10, 0x7f800001
	s_xor_b64 s[4:5], exec, -1
; %bb.2519:
	s_or_b64 exec, exec, s[8:9]
	s_and_b64 s[4:5], s[4:5], exec
                                        ; implicit-def: $vgpr3
	s_or_saveexec_b64 s[6:7], s[6:7]
	v_mov_b32_e32 v6, s10
	s_xor_b64 exec, exec, s[6:7]
	s_cbranch_execz .LBB3_470
.LBB3_2520:
	v_cmp_ne_u16_e32 vcc, 0, v3
	s_andn2_b64 s[4:5], s[4:5], exec
	s_and_b64 s[8:9], vcc, exec
	v_mov_b32_e32 v6, 0
	s_or_b64 s[4:5], s[4:5], s[8:9]
	s_or_b64 exec, exec, s[6:7]
	s_and_saveexec_b64 s[6:7], s[4:5]
	s_cbranch_execnz .LBB3_471
	s_branch .LBB3_472
.LBB3_2521:
	s_movk_i32 s4, 0x80
	v_cmp_eq_u16_sdwa s[12:13], v8, s4 src0_sel:BYTE_3 src1_sel:DWORD
	s_mov_b64 s[4:5], -1
                                        ; implicit-def: $sgpr10
	s_and_saveexec_b64 s[8:9], s[12:13]
; %bb.2522:
	s_mov_b32 s10, 0x7f800001
	s_xor_b64 s[4:5], exec, -1
; %bb.2523:
	s_or_b64 exec, exec, s[8:9]
	s_and_b64 s[4:5], s[4:5], exec
	s_or_saveexec_b64 s[6:7], s[6:7]
	v_mov_b32_e32 v2, s10
	s_xor_b64 exec, exec, s[6:7]
	s_cbranch_execz .LBB3_474
.LBB3_2524:
	v_mov_b32_e32 v2, 0
	v_cmp_ne_u16_sdwa s[8:9], v8, v2 src0_sel:BYTE_3 src1_sel:DWORD
	s_andn2_b64 s[4:5], s[4:5], exec
	s_and_b64 s[8:9], s[8:9], exec
	s_or_b64 s[4:5], s[4:5], s[8:9]
	s_or_b64 exec, exec, s[6:7]
	s_and_saveexec_b64 s[6:7], s[4:5]
	s_cbranch_execnz .LBB3_475
	s_branch .LBB3_476
.LBB3_2525:
	s_movk_i32 s4, 0x80
	v_cmp_eq_u16_sdwa s[12:13], v4, s4 src0_sel:BYTE_3 src1_sel:DWORD
	s_mov_b64 s[4:5], -1
                                        ; implicit-def: $sgpr10
	s_and_saveexec_b64 s[8:9], s[12:13]
; %bb.2526:
	s_mov_b32 s10, 0x7f800001
	s_xor_b64 s[4:5], exec, -1
; %bb.2527:
	s_or_b64 exec, exec, s[8:9]
	s_and_b64 s[4:5], s[4:5], exec
	s_or_saveexec_b64 s[6:7], s[6:7]
	v_mov_b32_e32 v3, s10
	s_xor_b64 exec, exec, s[6:7]
	s_cbranch_execz .LBB3_478
.LBB3_2528:
	v_mov_b32_e32 v3, 0
	v_cmp_ne_u16_sdwa s[8:9], v4, v3 src0_sel:BYTE_3 src1_sel:DWORD
	s_andn2_b64 s[4:5], s[4:5], exec
	s_and_b64 s[8:9], s[8:9], exec
	s_or_b64 s[4:5], s[4:5], s[8:9]
	s_or_b64 exec, exec, s[6:7]
	s_and_saveexec_b64 s[6:7], s[4:5]
	s_cbranch_execnz .LBB3_479
	s_branch .LBB3_480
.LBB3_2529:
	s_movk_i32 s4, 0x80
	v_cmp_eq_u16_sdwa s[12:13], v9, s4 src0_sel:BYTE_0 src1_sel:DWORD
	s_mov_b64 s[4:5], -1
                                        ; implicit-def: $sgpr10
	s_and_saveexec_b64 s[8:9], s[12:13]
; %bb.2530:
	s_mov_b32 s10, 0x7f800001
	s_xor_b64 s[4:5], exec, -1
; %bb.2531:
	s_or_b64 exec, exec, s[8:9]
	s_and_b64 s[4:5], s[4:5], exec
	s_or_saveexec_b64 s[6:7], s[6:7]
	v_mov_b32_e32 v2, s10
	s_xor_b64 exec, exec, s[6:7]
	s_cbranch_execz .LBB3_482
.LBB3_2532:
	v_mov_b32_e32 v2, 0
	v_cmp_ne_u16_sdwa s[8:9], v9, v2 src0_sel:BYTE_0 src1_sel:DWORD
	s_andn2_b64 s[4:5], s[4:5], exec
	s_and_b64 s[8:9], s[8:9], exec
	s_or_b64 s[4:5], s[4:5], s[8:9]
	s_or_b64 exec, exec, s[6:7]
	s_and_saveexec_b64 s[6:7], s[4:5]
	s_cbranch_execnz .LBB3_483
	s_branch .LBB3_484
.LBB3_2533:
	s_movk_i32 s4, 0x80
	v_cmp_eq_u16_sdwa s[12:13], v5, s4 src0_sel:BYTE_0 src1_sel:DWORD
	s_mov_b64 s[4:5], -1
                                        ; implicit-def: $sgpr10
	s_and_saveexec_b64 s[8:9], s[12:13]
; %bb.2534:
	s_mov_b32 s10, 0x7f800001
	s_xor_b64 s[4:5], exec, -1
; %bb.2535:
	s_or_b64 exec, exec, s[8:9]
	s_and_b64 s[4:5], s[4:5], exec
	s_or_saveexec_b64 s[6:7], s[6:7]
	v_mov_b32_e32 v3, s10
	s_xor_b64 exec, exec, s[6:7]
	s_cbranch_execz .LBB3_486
.LBB3_2536:
	v_mov_b32_e32 v3, 0
	v_cmp_ne_u16_sdwa s[8:9], v5, v3 src0_sel:BYTE_0 src1_sel:DWORD
	s_andn2_b64 s[4:5], s[4:5], exec
	s_and_b64 s[8:9], s[8:9], exec
	s_or_b64 s[4:5], s[4:5], s[8:9]
	s_or_b64 exec, exec, s[6:7]
	s_and_saveexec_b64 s[6:7], s[4:5]
	s_cbranch_execnz .LBB3_487
	s_branch .LBB3_488
.LBB3_2537:
	s_movk_i32 s4, 0x80
	v_cmp_eq_u16_sdwa s[12:13], v3, s4 src0_sel:BYTE_0 src1_sel:DWORD
	s_mov_b64 s[4:5], -1
                                        ; implicit-def: $sgpr10
	s_and_saveexec_b64 s[8:9], s[12:13]
; %bb.2538:
	s_mov_b32 s10, 0x7f800001
	s_xor_b64 s[4:5], exec, -1
; %bb.2539:
	s_or_b64 exec, exec, s[8:9]
	s_and_b64 s[4:5], s[4:5], exec
	s_or_saveexec_b64 s[6:7], s[6:7]
	v_mov_b32_e32 v2, s10
	s_xor_b64 exec, exec, s[6:7]
	s_cbranch_execz .LBB3_490
.LBB3_2540:
	v_mov_b32_e32 v2, 0
	v_cmp_ne_u16_sdwa s[8:9], v3, v2 src0_sel:BYTE_0 src1_sel:DWORD
	s_andn2_b64 s[4:5], s[4:5], exec
	s_and_b64 s[8:9], s[8:9], exec
	s_or_b64 s[4:5], s[4:5], s[8:9]
	s_or_b64 exec, exec, s[6:7]
	s_and_saveexec_b64 s[6:7], s[4:5]
	s_cbranch_execnz .LBB3_491
	s_branch .LBB3_492
.LBB3_2541:
	s_movk_i32 s4, 0x80
	v_cmp_eq_u16_sdwa s[12:13], v3, s4 src0_sel:BYTE_0 src1_sel:DWORD
	s_mov_b64 s[4:5], -1
                                        ; implicit-def: $sgpr10
	s_and_saveexec_b64 s[8:9], s[12:13]
; %bb.2542:
	s_mov_b32 s10, 0x7f800001
	s_xor_b64 s[4:5], exec, -1
; %bb.2543:
	s_or_b64 exec, exec, s[8:9]
	s_and_b64 s[4:5], s[4:5], exec
	s_or_saveexec_b64 s[6:7], s[6:7]
	v_mov_b32_e32 v4, s10
	s_xor_b64 exec, exec, s[6:7]
	s_cbranch_execz .LBB3_494
.LBB3_2544:
	v_mov_b32_e32 v4, 0
	v_cmp_ne_u16_sdwa s[8:9], v3, v4 src0_sel:BYTE_0 src1_sel:DWORD
	s_andn2_b64 s[4:5], s[4:5], exec
	s_and_b64 s[8:9], s[8:9], exec
	s_or_b64 s[4:5], s[4:5], s[8:9]
	s_or_b64 exec, exec, s[6:7]
	s_and_saveexec_b64 s[6:7], s[4:5]
	s_cbranch_execnz .LBB3_495
	s_branch .LBB3_496
.LBB3_2545:
	s_movk_i32 s4, 0x80
	v_cmp_eq_u16_e32 vcc, s4, v3
	s_mov_b64 s[4:5], -1
                                        ; implicit-def: $sgpr10
	s_and_saveexec_b64 s[8:9], vcc
; %bb.2546:
	s_mov_b32 s10, 0x7f800001
	s_xor_b64 s[4:5], exec, -1
; %bb.2547:
	s_or_b64 exec, exec, s[8:9]
	s_and_b64 s[4:5], s[4:5], exec
                                        ; implicit-def: $vgpr3
	s_or_saveexec_b64 s[6:7], s[6:7]
	v_mov_b32_e32 v2, s10
	s_xor_b64 exec, exec, s[6:7]
	s_cbranch_execz .LBB3_498
.LBB3_2548:
	v_cmp_ne_u16_e32 vcc, 0, v3
	s_andn2_b64 s[4:5], s[4:5], exec
	s_and_b64 s[8:9], vcc, exec
	v_mov_b32_e32 v2, 0
	s_or_b64 s[4:5], s[4:5], s[8:9]
	s_or_b64 exec, exec, s[6:7]
	s_and_saveexec_b64 s[6:7], s[4:5]
	s_cbranch_execnz .LBB3_499
	s_branch .LBB3_500
.LBB3_2549:
	s_movk_i32 s4, 0x80
	v_cmp_eq_u16_e32 vcc, s4, v3
	s_mov_b64 s[4:5], -1
                                        ; implicit-def: $sgpr10
	s_and_saveexec_b64 s[8:9], vcc
; %bb.2550:
	s_mov_b32 s10, 0x7f800001
	s_xor_b64 s[4:5], exec, -1
; %bb.2551:
	s_or_b64 exec, exec, s[8:9]
	s_and_b64 s[4:5], s[4:5], exec
                                        ; implicit-def: $vgpr3
	s_or_saveexec_b64 s[6:7], s[6:7]
	v_mov_b32_e32 v4, s10
	s_xor_b64 exec, exec, s[6:7]
	s_cbranch_execz .LBB3_502
.LBB3_2552:
	v_cmp_ne_u16_e32 vcc, 0, v3
	s_andn2_b64 s[4:5], s[4:5], exec
	s_and_b64 s[8:9], vcc, exec
	v_mov_b32_e32 v4, 0
	s_or_b64 s[4:5], s[4:5], s[8:9]
	s_or_b64 exec, exec, s[6:7]
	s_and_saveexec_b64 s[6:7], s[4:5]
	s_cbranch_execnz .LBB3_503
	s_branch .LBB3_504
.LBB3_2553:
	s_movk_i32 s4, 0x80
	v_cmp_eq_u16_sdwa s[12:13], v9, s4 src0_sel:BYTE_3 src1_sel:DWORD
	s_mov_b64 s[4:5], -1
                                        ; implicit-def: $sgpr10
	s_and_saveexec_b64 s[8:9], s[12:13]
; %bb.2554:
	s_mov_b32 s10, 0x7f800001
	s_xor_b64 s[4:5], exec, -1
; %bb.2555:
	s_or_b64 exec, exec, s[8:9]
	s_and_b64 s[4:5], s[4:5], exec
	s_or_saveexec_b64 s[6:7], s[6:7]
	v_mov_b32_e32 v2, s10
	s_xor_b64 exec, exec, s[6:7]
	s_cbranch_execz .LBB3_506
.LBB3_2556:
	v_mov_b32_e32 v2, 0
	v_cmp_ne_u16_sdwa s[8:9], v9, v2 src0_sel:BYTE_3 src1_sel:DWORD
	s_andn2_b64 s[4:5], s[4:5], exec
	s_and_b64 s[8:9], s[8:9], exec
	s_or_b64 s[4:5], s[4:5], s[8:9]
	s_or_b64 exec, exec, s[6:7]
	s_and_saveexec_b64 s[6:7], s[4:5]
	s_cbranch_execnz .LBB3_507
	s_branch .LBB3_508
.LBB3_2557:
	s_movk_i32 s4, 0x80
	v_cmp_eq_u16_sdwa s[12:13], v5, s4 src0_sel:BYTE_3 src1_sel:DWORD
	s_mov_b64 s[4:5], -1
                                        ; implicit-def: $sgpr10
	s_and_saveexec_b64 s[8:9], s[12:13]
; %bb.2558:
	s_mov_b32 s10, 0x7f800001
	s_xor_b64 s[4:5], exec, -1
; %bb.2559:
	s_or_b64 exec, exec, s[8:9]
	s_and_b64 s[4:5], s[4:5], exec
	s_or_saveexec_b64 s[6:7], s[6:7]
	v_mov_b32_e32 v3, s10
	s_xor_b64 exec, exec, s[6:7]
	s_cbranch_execz .LBB3_510
.LBB3_2560:
	v_mov_b32_e32 v3, 0
	v_cmp_ne_u16_sdwa s[8:9], v5, v3 src0_sel:BYTE_3 src1_sel:DWORD
	s_andn2_b64 s[4:5], s[4:5], exec
	s_and_b64 s[8:9], s[8:9], exec
	s_or_b64 s[4:5], s[4:5], s[8:9]
	s_or_b64 exec, exec, s[6:7]
	s_and_saveexec_b64 s[6:7], s[4:5]
	s_cbranch_execnz .LBB3_511
	s_branch .LBB3_512
.LBB3_2561:
	s_movk_i32 s4, 0x80
	v_cmp_eq_u16_sdwa s[12:13], v14, s4 src0_sel:BYTE_0 src1_sel:DWORD
	s_mov_b64 s[4:5], -1
                                        ; implicit-def: $sgpr10
	s_and_saveexec_b64 s[8:9], s[12:13]
; %bb.2562:
	s_mov_b32 s10, 0x7f800001
	s_xor_b64 s[4:5], exec, -1
; %bb.2563:
	s_or_b64 exec, exec, s[8:9]
	s_and_b64 s[4:5], s[4:5], exec
	s_or_saveexec_b64 s[6:7], s[6:7]
	v_mov_b32_e32 v20, s10
	s_xor_b64 exec, exec, s[6:7]
	s_cbranch_execz .LBB3_514
.LBB3_2564:
	v_mov_b32_e32 v20, 0
	v_cmp_ne_u16_sdwa s[8:9], v14, v20 src0_sel:BYTE_0 src1_sel:DWORD
	s_andn2_b64 s[4:5], s[4:5], exec
	s_and_b64 s[8:9], s[8:9], exec
	s_or_b64 s[4:5], s[4:5], s[8:9]
	s_or_b64 exec, exec, s[6:7]
	s_and_saveexec_b64 s[6:7], s[4:5]
	s_cbranch_execnz .LBB3_515
	s_branch .LBB3_516
.LBB3_2565:
	s_movk_i32 s4, 0x80
	v_cmp_eq_u16_sdwa s[12:13], v10, s4 src0_sel:BYTE_0 src1_sel:DWORD
	s_mov_b64 s[4:5], -1
                                        ; implicit-def: $sgpr10
	s_and_saveexec_b64 s[8:9], s[12:13]
; %bb.2566:
	s_mov_b32 s10, 0x7f800001
	s_xor_b64 s[4:5], exec, -1
; %bb.2567:
	s_or_b64 exec, exec, s[8:9]
	s_and_b64 s[4:5], s[4:5], exec
	s_or_saveexec_b64 s[6:7], s[6:7]
	v_mov_b32_e32 v21, s10
	s_xor_b64 exec, exec, s[6:7]
	s_cbranch_execz .LBB3_518
.LBB3_2568:
	v_mov_b32_e32 v21, 0
	v_cmp_ne_u16_sdwa s[8:9], v10, v21 src0_sel:BYTE_0 src1_sel:DWORD
	s_andn2_b64 s[4:5], s[4:5], exec
	s_and_b64 s[8:9], s[8:9], exec
	s_or_b64 s[4:5], s[4:5], s[8:9]
	s_or_b64 exec, exec, s[6:7]
	s_and_saveexec_b64 s[6:7], s[4:5]
	s_cbranch_execnz .LBB3_519
	s_branch .LBB3_520
.LBB3_2569:
	s_movk_i32 s4, 0x80
	v_cmp_eq_u16_sdwa s[12:13], v21, s4 src0_sel:BYTE_0 src1_sel:DWORD
	s_mov_b64 s[4:5], -1
                                        ; implicit-def: $sgpr10
	s_and_saveexec_b64 s[8:9], s[12:13]
; %bb.2570:
	s_mov_b32 s10, 0x7f800001
	s_xor_b64 s[4:5], exec, -1
; %bb.2571:
	s_or_b64 exec, exec, s[8:9]
	s_and_b64 s[4:5], s[4:5], exec
	s_or_saveexec_b64 s[6:7], s[6:7]
	v_mov_b32_e32 v20, s10
	s_xor_b64 exec, exec, s[6:7]
	s_cbranch_execz .LBB3_522
.LBB3_2572:
	v_mov_b32_e32 v20, 0
	v_cmp_ne_u16_sdwa s[8:9], v21, v20 src0_sel:BYTE_0 src1_sel:DWORD
	s_andn2_b64 s[4:5], s[4:5], exec
	s_and_b64 s[8:9], s[8:9], exec
	s_or_b64 s[4:5], s[4:5], s[8:9]
	s_or_b64 exec, exec, s[6:7]
	s_and_saveexec_b64 s[6:7], s[4:5]
	s_cbranch_execnz .LBB3_523
	s_branch .LBB3_524
.LBB3_2573:
	s_movk_i32 s4, 0x80
	v_cmp_eq_u16_sdwa s[12:13], v21, s4 src0_sel:BYTE_0 src1_sel:DWORD
	s_mov_b64 s[4:5], -1
                                        ; implicit-def: $sgpr10
	s_and_saveexec_b64 s[8:9], s[12:13]
; %bb.2574:
	s_mov_b32 s10, 0x7f800001
	s_xor_b64 s[4:5], exec, -1
; %bb.2575:
	s_or_b64 exec, exec, s[8:9]
	s_and_b64 s[4:5], s[4:5], exec
	s_or_saveexec_b64 s[6:7], s[6:7]
	v_mov_b32_e32 v22, s10
	s_xor_b64 exec, exec, s[6:7]
	s_cbranch_execz .LBB3_526
.LBB3_2576:
	v_mov_b32_e32 v22, 0
	v_cmp_ne_u16_sdwa s[8:9], v21, v22 src0_sel:BYTE_0 src1_sel:DWORD
	s_andn2_b64 s[4:5], s[4:5], exec
	s_and_b64 s[8:9], s[8:9], exec
	s_or_b64 s[4:5], s[4:5], s[8:9]
	s_or_b64 exec, exec, s[6:7]
	s_and_saveexec_b64 s[6:7], s[4:5]
	s_cbranch_execnz .LBB3_527
	s_branch .LBB3_528
.LBB3_2577:
	s_movk_i32 s4, 0x80
	v_cmp_eq_u16_e32 vcc, s4, v21
	s_mov_b64 s[4:5], -1
                                        ; implicit-def: $sgpr10
	s_and_saveexec_b64 s[8:9], vcc
; %bb.2578:
	s_mov_b32 s10, 0x7f800001
	s_xor_b64 s[4:5], exec, -1
; %bb.2579:
	s_or_b64 exec, exec, s[8:9]
	s_and_b64 s[4:5], s[4:5], exec
                                        ; implicit-def: $vgpr21
	s_or_saveexec_b64 s[6:7], s[6:7]
	v_mov_b32_e32 v20, s10
	s_xor_b64 exec, exec, s[6:7]
	s_cbranch_execz .LBB3_530
.LBB3_2580:
	v_cmp_ne_u16_e32 vcc, 0, v21
	s_andn2_b64 s[4:5], s[4:5], exec
	s_and_b64 s[8:9], vcc, exec
	v_mov_b32_e32 v20, 0
	s_or_b64 s[4:5], s[4:5], s[8:9]
	s_or_b64 exec, exec, s[6:7]
	s_and_saveexec_b64 s[6:7], s[4:5]
	s_cbranch_execnz .LBB3_531
	s_branch .LBB3_532
.LBB3_2581:
	s_movk_i32 s4, 0x80
	v_cmp_eq_u16_e32 vcc, s4, v21
	s_mov_b64 s[4:5], -1
                                        ; implicit-def: $sgpr10
	s_and_saveexec_b64 s[8:9], vcc
; %bb.2582:
	s_mov_b32 s10, 0x7f800001
	s_xor_b64 s[4:5], exec, -1
; %bb.2583:
	s_or_b64 exec, exec, s[8:9]
	s_and_b64 s[4:5], s[4:5], exec
                                        ; implicit-def: $vgpr21
	s_or_saveexec_b64 s[6:7], s[6:7]
	v_mov_b32_e32 v22, s10
	s_xor_b64 exec, exec, s[6:7]
	s_cbranch_execz .LBB3_534
.LBB3_2584:
	v_cmp_ne_u16_e32 vcc, 0, v21
	s_andn2_b64 s[4:5], s[4:5], exec
	s_and_b64 s[8:9], vcc, exec
	v_mov_b32_e32 v22, 0
	s_or_b64 s[4:5], s[4:5], s[8:9]
	s_or_b64 exec, exec, s[6:7]
	s_and_saveexec_b64 s[6:7], s[4:5]
	s_cbranch_execnz .LBB3_535
	s_branch .LBB3_536
.LBB3_2585:
	s_movk_i32 s4, 0x80
	v_cmp_eq_u16_sdwa s[12:13], v14, s4 src0_sel:BYTE_3 src1_sel:DWORD
	s_mov_b64 s[4:5], -1
                                        ; implicit-def: $sgpr10
	s_and_saveexec_b64 s[8:9], s[12:13]
; %bb.2586:
	s_mov_b32 s10, 0x7f800001
	s_xor_b64 s[4:5], exec, -1
; %bb.2587:
	s_or_b64 exec, exec, s[8:9]
	s_and_b64 s[4:5], s[4:5], exec
	s_or_saveexec_b64 s[6:7], s[6:7]
	v_mov_b32_e32 v20, s10
	s_xor_b64 exec, exec, s[6:7]
	s_cbranch_execz .LBB3_538
.LBB3_2588:
	v_mov_b32_e32 v20, 0
	v_cmp_ne_u16_sdwa s[8:9], v14, v20 src0_sel:BYTE_3 src1_sel:DWORD
	s_andn2_b64 s[4:5], s[4:5], exec
	s_and_b64 s[8:9], s[8:9], exec
	s_or_b64 s[4:5], s[4:5], s[8:9]
	s_or_b64 exec, exec, s[6:7]
	s_and_saveexec_b64 s[6:7], s[4:5]
	s_cbranch_execnz .LBB3_539
	s_branch .LBB3_540
.LBB3_2589:
	s_movk_i32 s4, 0x80
	v_cmp_eq_u16_sdwa s[12:13], v10, s4 src0_sel:BYTE_3 src1_sel:DWORD
	s_mov_b64 s[4:5], -1
                                        ; implicit-def: $sgpr10
	s_and_saveexec_b64 s[8:9], s[12:13]
; %bb.2590:
	s_mov_b32 s10, 0x7f800001
	s_xor_b64 s[4:5], exec, -1
; %bb.2591:
	s_or_b64 exec, exec, s[8:9]
	s_and_b64 s[4:5], s[4:5], exec
	s_or_saveexec_b64 s[6:7], s[6:7]
	v_mov_b32_e32 v14, s10
	s_xor_b64 exec, exec, s[6:7]
	s_cbranch_execz .LBB3_542
.LBB3_2592:
	v_mov_b32_e32 v14, 0
	v_cmp_ne_u16_sdwa s[8:9], v10, v14 src0_sel:BYTE_3 src1_sel:DWORD
	s_andn2_b64 s[4:5], s[4:5], exec
	s_and_b64 s[8:9], s[8:9], exec
	s_or_b64 s[4:5], s[4:5], s[8:9]
	s_or_b64 exec, exec, s[6:7]
	s_and_saveexec_b64 s[6:7], s[4:5]
	s_cbranch_execnz .LBB3_543
	s_branch .LBB3_544
.LBB3_2593:
	s_movk_i32 s4, 0x80
	v_cmp_eq_u16_sdwa s[12:13], v15, s4 src0_sel:BYTE_0 src1_sel:DWORD
	s_mov_b64 s[4:5], -1
                                        ; implicit-def: $sgpr10
	s_and_saveexec_b64 s[8:9], s[12:13]
; %bb.2594:
	s_mov_b32 s10, 0x7f800001
	s_xor_b64 s[4:5], exec, -1
; %bb.2595:
	s_or_b64 exec, exec, s[8:9]
	s_and_b64 s[4:5], s[4:5], exec
	s_or_saveexec_b64 s[6:7], s[6:7]
	v_mov_b32_e32 v10, s10
	s_xor_b64 exec, exec, s[6:7]
	s_cbranch_execz .LBB3_546
.LBB3_2596:
	v_mov_b32_e32 v10, 0
	v_cmp_ne_u16_sdwa s[8:9], v15, v10 src0_sel:BYTE_0 src1_sel:DWORD
	s_andn2_b64 s[4:5], s[4:5], exec
	s_and_b64 s[8:9], s[8:9], exec
	s_or_b64 s[4:5], s[4:5], s[8:9]
	s_or_b64 exec, exec, s[6:7]
	s_and_saveexec_b64 s[6:7], s[4:5]
	s_cbranch_execnz .LBB3_547
	s_branch .LBB3_548
.LBB3_2597:
	s_movk_i32 s4, 0x80
	v_cmp_eq_u16_sdwa s[12:13], v11, s4 src0_sel:BYTE_0 src1_sel:DWORD
	s_mov_b64 s[4:5], -1
                                        ; implicit-def: $sgpr10
	s_and_saveexec_b64 s[8:9], s[12:13]
; %bb.2598:
	s_mov_b32 s10, 0x7f800001
	s_xor_b64 s[4:5], exec, -1
; %bb.2599:
	s_or_b64 exec, exec, s[8:9]
	s_and_b64 s[4:5], s[4:5], exec
	s_or_saveexec_b64 s[6:7], s[6:7]
	v_mov_b32_e32 v14, s10
	s_xor_b64 exec, exec, s[6:7]
	s_cbranch_execz .LBB3_550
.LBB3_2600:
	v_mov_b32_e32 v14, 0
	v_cmp_ne_u16_sdwa s[8:9], v11, v14 src0_sel:BYTE_0 src1_sel:DWORD
	s_andn2_b64 s[4:5], s[4:5], exec
	s_and_b64 s[8:9], s[8:9], exec
	s_or_b64 s[4:5], s[4:5], s[8:9]
	s_or_b64 exec, exec, s[6:7]
	s_and_saveexec_b64 s[6:7], s[4:5]
	s_cbranch_execnz .LBB3_551
	s_branch .LBB3_552
.LBB3_2601:
	s_movk_i32 s4, 0x80
	v_cmp_eq_u16_sdwa s[12:13], v14, s4 src0_sel:BYTE_0 src1_sel:DWORD
	s_mov_b64 s[4:5], -1
                                        ; implicit-def: $sgpr10
	s_and_saveexec_b64 s[8:9], s[12:13]
; %bb.2602:
	s_mov_b32 s10, 0x7f800001
	s_xor_b64 s[4:5], exec, -1
; %bb.2603:
	s_or_b64 exec, exec, s[8:9]
	s_and_b64 s[4:5], s[4:5], exec
	s_or_saveexec_b64 s[6:7], s[6:7]
	v_mov_b32_e32 v10, s10
	s_xor_b64 exec, exec, s[6:7]
	s_cbranch_execz .LBB3_554
.LBB3_2604:
	v_mov_b32_e32 v10, 0
	v_cmp_ne_u16_sdwa s[8:9], v14, v10 src0_sel:BYTE_0 src1_sel:DWORD
	s_andn2_b64 s[4:5], s[4:5], exec
	s_and_b64 s[8:9], s[8:9], exec
	s_or_b64 s[4:5], s[4:5], s[8:9]
	s_or_b64 exec, exec, s[6:7]
	s_and_saveexec_b64 s[6:7], s[4:5]
	s_cbranch_execnz .LBB3_555
	s_branch .LBB3_556
.LBB3_2605:
	s_movk_i32 s4, 0x80
	v_cmp_eq_u16_sdwa s[12:13], v14, s4 src0_sel:BYTE_0 src1_sel:DWORD
	s_mov_b64 s[4:5], -1
                                        ; implicit-def: $sgpr10
	s_and_saveexec_b64 s[8:9], s[12:13]
; %bb.2606:
	s_mov_b32 s10, 0x7f800001
	s_xor_b64 s[4:5], exec, -1
; %bb.2607:
	s_or_b64 exec, exec, s[8:9]
	s_and_b64 s[4:5], s[4:5], exec
	s_or_saveexec_b64 s[6:7], s[6:7]
	v_mov_b32_e32 v20, s10
	s_xor_b64 exec, exec, s[6:7]
	s_cbranch_execz .LBB3_558
.LBB3_2608:
	v_mov_b32_e32 v20, 0
	v_cmp_ne_u16_sdwa s[8:9], v14, v20 src0_sel:BYTE_0 src1_sel:DWORD
	s_andn2_b64 s[4:5], s[4:5], exec
	s_and_b64 s[8:9], s[8:9], exec
	s_or_b64 s[4:5], s[4:5], s[8:9]
	s_or_b64 exec, exec, s[6:7]
	s_and_saveexec_b64 s[6:7], s[4:5]
	s_cbranch_execnz .LBB3_559
	s_branch .LBB3_560
.LBB3_2609:
	s_movk_i32 s4, 0x80
	v_cmp_eq_u16_e32 vcc, s4, v14
	s_mov_b64 s[4:5], -1
                                        ; implicit-def: $sgpr10
	s_and_saveexec_b64 s[8:9], vcc
; %bb.2610:
	s_mov_b32 s10, 0x7f800001
	s_xor_b64 s[4:5], exec, -1
; %bb.2611:
	s_or_b64 exec, exec, s[8:9]
	s_and_b64 s[4:5], s[4:5], exec
                                        ; implicit-def: $vgpr14
	s_or_saveexec_b64 s[6:7], s[6:7]
	v_mov_b32_e32 v10, s10
	s_xor_b64 exec, exec, s[6:7]
	s_cbranch_execz .LBB3_562
.LBB3_2612:
	v_cmp_ne_u16_e32 vcc, 0, v14
	s_andn2_b64 s[4:5], s[4:5], exec
	s_and_b64 s[8:9], vcc, exec
	v_mov_b32_e32 v10, 0
	s_or_b64 s[4:5], s[4:5], s[8:9]
	s_or_b64 exec, exec, s[6:7]
	s_and_saveexec_b64 s[6:7], s[4:5]
	s_cbranch_execnz .LBB3_563
	s_branch .LBB3_564
.LBB3_2613:
	s_movk_i32 s4, 0x80
	v_cmp_eq_u16_e32 vcc, s4, v14
	s_mov_b64 s[4:5], -1
                                        ; implicit-def: $sgpr10
	s_and_saveexec_b64 s[8:9], vcc
; %bb.2614:
	s_mov_b32 s10, 0x7f800001
	s_xor_b64 s[4:5], exec, -1
; %bb.2615:
	s_or_b64 exec, exec, s[8:9]
	s_and_b64 s[4:5], s[4:5], exec
                                        ; implicit-def: $vgpr14
	s_or_saveexec_b64 s[6:7], s[6:7]
	v_mov_b32_e32 v20, s10
	s_xor_b64 exec, exec, s[6:7]
	s_cbranch_execz .LBB3_566
.LBB3_2616:
	v_cmp_ne_u16_e32 vcc, 0, v14
	s_andn2_b64 s[4:5], s[4:5], exec
	s_and_b64 s[8:9], vcc, exec
	v_mov_b32_e32 v20, 0
	s_or_b64 s[4:5], s[4:5], s[8:9]
	s_or_b64 exec, exec, s[6:7]
	s_and_saveexec_b64 s[6:7], s[4:5]
	s_cbranch_execnz .LBB3_567
	s_branch .LBB3_568
.LBB3_2617:
	s_movk_i32 s4, 0x80
	v_cmp_eq_u16_sdwa s[12:13], v15, s4 src0_sel:BYTE_3 src1_sel:DWORD
	s_mov_b64 s[4:5], -1
                                        ; implicit-def: $sgpr10
	s_and_saveexec_b64 s[8:9], s[12:13]
; %bb.2618:
	s_mov_b32 s10, 0x7f800001
	s_xor_b64 s[4:5], exec, -1
; %bb.2619:
	s_or_b64 exec, exec, s[8:9]
	s_and_b64 s[4:5], s[4:5], exec
	s_or_saveexec_b64 s[6:7], s[6:7]
	v_mov_b32_e32 v10, s10
	s_xor_b64 exec, exec, s[6:7]
	s_cbranch_execz .LBB3_570
.LBB3_2620:
	v_mov_b32_e32 v10, 0
	v_cmp_ne_u16_sdwa s[8:9], v15, v10 src0_sel:BYTE_3 src1_sel:DWORD
	s_andn2_b64 s[4:5], s[4:5], exec
	s_and_b64 s[8:9], s[8:9], exec
	s_or_b64 s[4:5], s[4:5], s[8:9]
	s_or_b64 exec, exec, s[6:7]
	s_and_saveexec_b64 s[6:7], s[4:5]
	s_cbranch_execnz .LBB3_571
	s_branch .LBB3_572
.LBB3_2621:
	s_movk_i32 s4, 0x80
	v_cmp_eq_u16_sdwa s[12:13], v11, s4 src0_sel:BYTE_3 src1_sel:DWORD
	s_mov_b64 s[4:5], -1
                                        ; implicit-def: $sgpr10
	s_and_saveexec_b64 s[8:9], s[12:13]
; %bb.2622:
	s_mov_b32 s10, 0x7f800001
	s_xor_b64 s[4:5], exec, -1
; %bb.2623:
	s_or_b64 exec, exec, s[8:9]
	s_and_b64 s[4:5], s[4:5], exec
	s_or_saveexec_b64 s[6:7], s[6:7]
	v_mov_b32_e32 v14, s10
	s_xor_b64 exec, exec, s[6:7]
	s_cbranch_execz .LBB3_574
.LBB3_2624:
	v_mov_b32_e32 v14, 0
	v_cmp_ne_u16_sdwa s[8:9], v11, v14 src0_sel:BYTE_3 src1_sel:DWORD
	s_andn2_b64 s[4:5], s[4:5], exec
	s_and_b64 s[8:9], s[8:9], exec
	s_or_b64 s[4:5], s[4:5], s[8:9]
	s_or_b64 exec, exec, s[6:7]
	s_and_saveexec_b64 s[6:7], s[4:5]
	s_cbranch_execnz .LBB3_575
	s_branch .LBB3_576
.LBB3_2625:
	s_movk_i32 s4, 0x80
	v_cmp_eq_u16_sdwa s[12:13], v16, s4 src0_sel:BYTE_0 src1_sel:DWORD
	s_mov_b64 s[4:5], -1
                                        ; implicit-def: $sgpr10
	s_and_saveexec_b64 s[8:9], s[12:13]
; %bb.2626:
	s_mov_b32 s10, 0x7f800001
	s_xor_b64 s[4:5], exec, -1
; %bb.2627:
	s_or_b64 exec, exec, s[8:9]
	s_and_b64 s[4:5], s[4:5], exec
	s_or_saveexec_b64 s[6:7], s[6:7]
	v_mov_b32_e32 v10, s10
	s_xor_b64 exec, exec, s[6:7]
	s_cbranch_execz .LBB3_578
.LBB3_2628:
	v_mov_b32_e32 v10, 0
	v_cmp_ne_u16_sdwa s[8:9], v16, v10 src0_sel:BYTE_0 src1_sel:DWORD
	s_andn2_b64 s[4:5], s[4:5], exec
	s_and_b64 s[8:9], s[8:9], exec
	s_or_b64 s[4:5], s[4:5], s[8:9]
	s_or_b64 exec, exec, s[6:7]
	s_and_saveexec_b64 s[6:7], s[4:5]
	s_cbranch_execnz .LBB3_579
	s_branch .LBB3_580
.LBB3_2629:
	s_movk_i32 s4, 0x80
	v_cmp_eq_u16_sdwa s[12:13], v12, s4 src0_sel:BYTE_0 src1_sel:DWORD
	s_mov_b64 s[4:5], -1
                                        ; implicit-def: $sgpr10
	s_and_saveexec_b64 s[8:9], s[12:13]
; %bb.2630:
	s_mov_b32 s10, 0x7f800001
	s_xor_b64 s[4:5], exec, -1
; %bb.2631:
	s_or_b64 exec, exec, s[8:9]
	s_and_b64 s[4:5], s[4:5], exec
	s_or_saveexec_b64 s[6:7], s[6:7]
	v_mov_b32_e32 v11, s10
	s_xor_b64 exec, exec, s[6:7]
	s_cbranch_execz .LBB3_582
.LBB3_2632:
	v_mov_b32_e32 v11, 0
	v_cmp_ne_u16_sdwa s[8:9], v12, v11 src0_sel:BYTE_0 src1_sel:DWORD
	s_andn2_b64 s[4:5], s[4:5], exec
	s_and_b64 s[8:9], s[8:9], exec
	s_or_b64 s[4:5], s[4:5], s[8:9]
	s_or_b64 exec, exec, s[6:7]
	s_and_saveexec_b64 s[6:7], s[4:5]
	s_cbranch_execnz .LBB3_583
	s_branch .LBB3_584
.LBB3_2633:
	s_movk_i32 s4, 0x80
	v_cmp_eq_u16_sdwa s[12:13], v11, s4 src0_sel:BYTE_0 src1_sel:DWORD
	s_mov_b64 s[4:5], -1
                                        ; implicit-def: $sgpr10
	s_and_saveexec_b64 s[8:9], s[12:13]
; %bb.2634:
	s_mov_b32 s10, 0x7f800001
	s_xor_b64 s[4:5], exec, -1
; %bb.2635:
	s_or_b64 exec, exec, s[8:9]
	s_and_b64 s[4:5], s[4:5], exec
	s_or_saveexec_b64 s[6:7], s[6:7]
	v_mov_b32_e32 v10, s10
	s_xor_b64 exec, exec, s[6:7]
	s_cbranch_execz .LBB3_586
.LBB3_2636:
	v_mov_b32_e32 v10, 0
	v_cmp_ne_u16_sdwa s[8:9], v11, v10 src0_sel:BYTE_0 src1_sel:DWORD
	s_andn2_b64 s[4:5], s[4:5], exec
	s_and_b64 s[8:9], s[8:9], exec
	s_or_b64 s[4:5], s[4:5], s[8:9]
	s_or_b64 exec, exec, s[6:7]
	s_and_saveexec_b64 s[6:7], s[4:5]
	s_cbranch_execnz .LBB3_587
	s_branch .LBB3_588
.LBB3_2637:
	s_movk_i32 s4, 0x80
	v_cmp_eq_u16_sdwa s[12:13], v11, s4 src0_sel:BYTE_0 src1_sel:DWORD
	s_mov_b64 s[4:5], -1
                                        ; implicit-def: $sgpr10
	s_and_saveexec_b64 s[8:9], s[12:13]
; %bb.2638:
	s_mov_b32 s10, 0x7f800001
	s_xor_b64 s[4:5], exec, -1
; %bb.2639:
	s_or_b64 exec, exec, s[8:9]
	s_and_b64 s[4:5], s[4:5], exec
	s_or_saveexec_b64 s[6:7], s[6:7]
	v_mov_b32_e32 v14, s10
	s_xor_b64 exec, exec, s[6:7]
	s_cbranch_execz .LBB3_590
.LBB3_2640:
	v_mov_b32_e32 v14, 0
	v_cmp_ne_u16_sdwa s[8:9], v11, v14 src0_sel:BYTE_0 src1_sel:DWORD
	s_andn2_b64 s[4:5], s[4:5], exec
	s_and_b64 s[8:9], s[8:9], exec
	s_or_b64 s[4:5], s[4:5], s[8:9]
	s_or_b64 exec, exec, s[6:7]
	s_and_saveexec_b64 s[6:7], s[4:5]
	s_cbranch_execnz .LBB3_591
	s_branch .LBB3_592
.LBB3_2641:
	s_movk_i32 s4, 0x80
	v_cmp_eq_u16_e32 vcc, s4, v11
	s_mov_b64 s[4:5], -1
                                        ; implicit-def: $sgpr10
	s_and_saveexec_b64 s[8:9], vcc
; %bb.2642:
	s_mov_b32 s10, 0x7f800001
	s_xor_b64 s[4:5], exec, -1
; %bb.2643:
	s_or_b64 exec, exec, s[8:9]
	s_and_b64 s[4:5], s[4:5], exec
                                        ; implicit-def: $vgpr11
	s_or_saveexec_b64 s[6:7], s[6:7]
	v_mov_b32_e32 v10, s10
	s_xor_b64 exec, exec, s[6:7]
	s_cbranch_execz .LBB3_594
.LBB3_2644:
	v_cmp_ne_u16_e32 vcc, 0, v11
	s_andn2_b64 s[4:5], s[4:5], exec
	s_and_b64 s[8:9], vcc, exec
	v_mov_b32_e32 v10, 0
	s_or_b64 s[4:5], s[4:5], s[8:9]
	s_or_b64 exec, exec, s[6:7]
	s_and_saveexec_b64 s[6:7], s[4:5]
	s_cbranch_execnz .LBB3_595
	s_branch .LBB3_596
.LBB3_2645:
	s_movk_i32 s4, 0x80
	v_cmp_eq_u16_e32 vcc, s4, v11
	s_mov_b64 s[4:5], -1
                                        ; implicit-def: $sgpr10
	s_and_saveexec_b64 s[8:9], vcc
; %bb.2646:
	s_mov_b32 s10, 0x7f800001
	s_xor_b64 s[4:5], exec, -1
; %bb.2647:
	s_or_b64 exec, exec, s[8:9]
	s_and_b64 s[4:5], s[4:5], exec
                                        ; implicit-def: $vgpr11
	s_or_saveexec_b64 s[6:7], s[6:7]
	v_mov_b32_e32 v14, s10
	s_xor_b64 exec, exec, s[6:7]
	s_cbranch_execz .LBB3_598
.LBB3_2648:
	v_cmp_ne_u16_e32 vcc, 0, v11
	s_andn2_b64 s[4:5], s[4:5], exec
	s_and_b64 s[8:9], vcc, exec
	v_mov_b32_e32 v14, 0
	s_or_b64 s[4:5], s[4:5], s[8:9]
	s_or_b64 exec, exec, s[6:7]
	s_and_saveexec_b64 s[6:7], s[4:5]
	s_cbranch_execnz .LBB3_599
	s_branch .LBB3_600
.LBB3_2649:
	s_movk_i32 s4, 0x80
	v_cmp_eq_u16_sdwa s[12:13], v16, s4 src0_sel:BYTE_3 src1_sel:DWORD
	s_mov_b64 s[4:5], -1
                                        ; implicit-def: $sgpr10
	s_and_saveexec_b64 s[8:9], s[12:13]
; %bb.2650:
	s_mov_b32 s10, 0x7f800001
	s_xor_b64 s[4:5], exec, -1
; %bb.2651:
	s_or_b64 exec, exec, s[8:9]
	s_and_b64 s[4:5], s[4:5], exec
	s_or_saveexec_b64 s[6:7], s[6:7]
	v_mov_b32_e32 v10, s10
	s_xor_b64 exec, exec, s[6:7]
	s_cbranch_execz .LBB3_602
.LBB3_2652:
	v_mov_b32_e32 v10, 0
	v_cmp_ne_u16_sdwa s[8:9], v16, v10 src0_sel:BYTE_3 src1_sel:DWORD
	s_andn2_b64 s[4:5], s[4:5], exec
	s_and_b64 s[8:9], s[8:9], exec
	s_or_b64 s[4:5], s[4:5], s[8:9]
	s_or_b64 exec, exec, s[6:7]
	s_and_saveexec_b64 s[6:7], s[4:5]
	s_cbranch_execnz .LBB3_603
	s_branch .LBB3_604
.LBB3_2653:
	s_movk_i32 s4, 0x80
	v_cmp_eq_u16_sdwa s[12:13], v12, s4 src0_sel:BYTE_3 src1_sel:DWORD
	s_mov_b64 s[4:5], -1
                                        ; implicit-def: $sgpr10
	s_and_saveexec_b64 s[8:9], s[12:13]
; %bb.2654:
	s_mov_b32 s10, 0x7f800001
	s_xor_b64 s[4:5], exec, -1
; %bb.2655:
	s_or_b64 exec, exec, s[8:9]
	s_and_b64 s[4:5], s[4:5], exec
	s_or_saveexec_b64 s[6:7], s[6:7]
	v_mov_b32_e32 v11, s10
	s_xor_b64 exec, exec, s[6:7]
	s_cbranch_execz .LBB3_606
.LBB3_2656:
	v_mov_b32_e32 v11, 0
	v_cmp_ne_u16_sdwa s[8:9], v12, v11 src0_sel:BYTE_3 src1_sel:DWORD
	s_andn2_b64 s[4:5], s[4:5], exec
	s_and_b64 s[8:9], s[8:9], exec
	s_or_b64 s[4:5], s[4:5], s[8:9]
	s_or_b64 exec, exec, s[6:7]
	s_and_saveexec_b64 s[6:7], s[4:5]
	s_cbranch_execnz .LBB3_607
	s_branch .LBB3_608
.LBB3_2657:
	s_movk_i32 s4, 0x80
	v_cmp_eq_u16_sdwa s[12:13], v17, s4 src0_sel:BYTE_0 src1_sel:DWORD
	s_mov_b64 s[4:5], -1
                                        ; implicit-def: $sgpr10
	s_and_saveexec_b64 s[8:9], s[12:13]
; %bb.2658:
	s_mov_b32 s10, 0x7f800001
	s_xor_b64 s[4:5], exec, -1
; %bb.2659:
	s_or_b64 exec, exec, s[8:9]
	s_and_b64 s[4:5], s[4:5], exec
	s_or_saveexec_b64 s[6:7], s[6:7]
	v_mov_b32_e32 v10, s10
	s_xor_b64 exec, exec, s[6:7]
	s_cbranch_execz .LBB3_610
.LBB3_2660:
	v_mov_b32_e32 v10, 0
	v_cmp_ne_u16_sdwa s[8:9], v17, v10 src0_sel:BYTE_0 src1_sel:DWORD
	s_andn2_b64 s[4:5], s[4:5], exec
	s_and_b64 s[8:9], s[8:9], exec
	s_or_b64 s[4:5], s[4:5], s[8:9]
	s_or_b64 exec, exec, s[6:7]
	s_and_saveexec_b64 s[6:7], s[4:5]
	s_cbranch_execnz .LBB3_611
	s_branch .LBB3_612
.LBB3_2661:
	s_movk_i32 s4, 0x80
	v_cmp_eq_u16_sdwa s[12:13], v13, s4 src0_sel:BYTE_0 src1_sel:DWORD
	s_mov_b64 s[4:5], -1
                                        ; implicit-def: $sgpr10
	s_and_saveexec_b64 s[8:9], s[12:13]
; %bb.2662:
	s_mov_b32 s10, 0x7f800001
	s_xor_b64 s[4:5], exec, -1
; %bb.2663:
	s_or_b64 exec, exec, s[8:9]
	s_and_b64 s[4:5], s[4:5], exec
	s_or_saveexec_b64 s[6:7], s[6:7]
	v_mov_b32_e32 v11, s10
	s_xor_b64 exec, exec, s[6:7]
	s_cbranch_execz .LBB3_614
.LBB3_2664:
	v_mov_b32_e32 v11, 0
	v_cmp_ne_u16_sdwa s[8:9], v13, v11 src0_sel:BYTE_0 src1_sel:DWORD
	s_andn2_b64 s[4:5], s[4:5], exec
	s_and_b64 s[8:9], s[8:9], exec
	s_or_b64 s[4:5], s[4:5], s[8:9]
	s_or_b64 exec, exec, s[6:7]
	s_and_saveexec_b64 s[6:7], s[4:5]
	s_cbranch_execnz .LBB3_615
	s_branch .LBB3_616
.LBB3_2665:
	s_movk_i32 s4, 0x80
	v_cmp_eq_u16_sdwa s[12:13], v11, s4 src0_sel:BYTE_0 src1_sel:DWORD
	s_mov_b64 s[4:5], -1
                                        ; implicit-def: $sgpr10
	s_and_saveexec_b64 s[8:9], s[12:13]
; %bb.2666:
	s_mov_b32 s10, 0x7f800001
	s_xor_b64 s[4:5], exec, -1
; %bb.2667:
	s_or_b64 exec, exec, s[8:9]
	s_and_b64 s[4:5], s[4:5], exec
	s_or_saveexec_b64 s[6:7], s[6:7]
	v_mov_b32_e32 v10, s10
	s_xor_b64 exec, exec, s[6:7]
	s_cbranch_execz .LBB3_618
.LBB3_2668:
	v_mov_b32_e32 v10, 0
	v_cmp_ne_u16_sdwa s[8:9], v11, v10 src0_sel:BYTE_0 src1_sel:DWORD
	s_andn2_b64 s[4:5], s[4:5], exec
	s_and_b64 s[8:9], s[8:9], exec
	s_or_b64 s[4:5], s[4:5], s[8:9]
	s_or_b64 exec, exec, s[6:7]
	s_and_saveexec_b64 s[6:7], s[4:5]
	s_cbranch_execnz .LBB3_619
	s_branch .LBB3_620
.LBB3_2669:
	s_movk_i32 s4, 0x80
	v_cmp_eq_u16_sdwa s[12:13], v11, s4 src0_sel:BYTE_0 src1_sel:DWORD
	s_mov_b64 s[4:5], -1
                                        ; implicit-def: $sgpr10
	s_and_saveexec_b64 s[8:9], s[12:13]
; %bb.2670:
	s_mov_b32 s10, 0x7f800001
	s_xor_b64 s[4:5], exec, -1
; %bb.2671:
	s_or_b64 exec, exec, s[8:9]
	s_and_b64 s[4:5], s[4:5], exec
	s_or_saveexec_b64 s[6:7], s[6:7]
	v_mov_b32_e32 v12, s10
	s_xor_b64 exec, exec, s[6:7]
	s_cbranch_execz .LBB3_622
.LBB3_2672:
	v_mov_b32_e32 v12, 0
	v_cmp_ne_u16_sdwa s[8:9], v11, v12 src0_sel:BYTE_0 src1_sel:DWORD
	s_andn2_b64 s[4:5], s[4:5], exec
	s_and_b64 s[8:9], s[8:9], exec
	s_or_b64 s[4:5], s[4:5], s[8:9]
	s_or_b64 exec, exec, s[6:7]
	s_and_saveexec_b64 s[6:7], s[4:5]
	s_cbranch_execnz .LBB3_623
	s_branch .LBB3_624
.LBB3_2673:
	s_movk_i32 s4, 0x80
	v_cmp_eq_u16_e32 vcc, s4, v11
	s_mov_b64 s[4:5], -1
                                        ; implicit-def: $sgpr10
	s_and_saveexec_b64 s[8:9], vcc
; %bb.2674:
	s_mov_b32 s10, 0x7f800001
	s_xor_b64 s[4:5], exec, -1
; %bb.2675:
	s_or_b64 exec, exec, s[8:9]
	s_and_b64 s[4:5], s[4:5], exec
                                        ; implicit-def: $vgpr11
	s_or_saveexec_b64 s[6:7], s[6:7]
	v_mov_b32_e32 v10, s10
	s_xor_b64 exec, exec, s[6:7]
	s_cbranch_execz .LBB3_626
.LBB3_2676:
	v_cmp_ne_u16_e32 vcc, 0, v11
	s_andn2_b64 s[4:5], s[4:5], exec
	s_and_b64 s[8:9], vcc, exec
	v_mov_b32_e32 v10, 0
	s_or_b64 s[4:5], s[4:5], s[8:9]
	s_or_b64 exec, exec, s[6:7]
	s_and_saveexec_b64 s[6:7], s[4:5]
	s_cbranch_execnz .LBB3_627
	s_branch .LBB3_628
.LBB3_2677:
	s_movk_i32 s4, 0x80
	v_cmp_eq_u16_e32 vcc, s4, v11
	s_mov_b64 s[4:5], -1
                                        ; implicit-def: $sgpr10
	s_and_saveexec_b64 s[8:9], vcc
; %bb.2678:
	s_mov_b32 s10, 0x7f800001
	s_xor_b64 s[4:5], exec, -1
; %bb.2679:
	s_or_b64 exec, exec, s[8:9]
	s_and_b64 s[4:5], s[4:5], exec
                                        ; implicit-def: $vgpr11
	s_or_saveexec_b64 s[6:7], s[6:7]
	v_mov_b32_e32 v12, s10
	s_xor_b64 exec, exec, s[6:7]
	s_cbranch_execz .LBB3_630
.LBB3_2680:
	v_cmp_ne_u16_e32 vcc, 0, v11
	s_andn2_b64 s[4:5], s[4:5], exec
	s_and_b64 s[8:9], vcc, exec
	v_mov_b32_e32 v12, 0
	s_or_b64 s[4:5], s[4:5], s[8:9]
	s_or_b64 exec, exec, s[6:7]
	s_and_saveexec_b64 s[6:7], s[4:5]
	s_cbranch_execnz .LBB3_631
	s_branch .LBB3_632
.LBB3_2681:
	s_movk_i32 s4, 0x80
	v_cmp_eq_u16_sdwa s[12:13], v17, s4 src0_sel:BYTE_3 src1_sel:DWORD
	s_mov_b64 s[4:5], -1
                                        ; implicit-def: $sgpr10
	s_and_saveexec_b64 s[8:9], s[12:13]
; %bb.2682:
	s_mov_b32 s10, 0x7f800001
	s_xor_b64 s[4:5], exec, -1
; %bb.2683:
	s_or_b64 exec, exec, s[8:9]
	s_and_b64 s[4:5], s[4:5], exec
	s_or_saveexec_b64 s[6:7], s[6:7]
	v_mov_b32_e32 v10, s10
	s_xor_b64 exec, exec, s[6:7]
	s_cbranch_execz .LBB3_634
.LBB3_2684:
	v_mov_b32_e32 v10, 0
	v_cmp_ne_u16_sdwa s[8:9], v17, v10 src0_sel:BYTE_3 src1_sel:DWORD
	s_andn2_b64 s[4:5], s[4:5], exec
	s_and_b64 s[8:9], s[8:9], exec
	s_or_b64 s[4:5], s[4:5], s[8:9]
	s_or_b64 exec, exec, s[6:7]
	s_and_saveexec_b64 s[6:7], s[4:5]
	s_cbranch_execnz .LBB3_635
	s_branch .LBB3_636
.LBB3_2685:
	s_movk_i32 s4, 0x80
	v_cmp_eq_u16_sdwa s[12:13], v13, s4 src0_sel:BYTE_3 src1_sel:DWORD
	s_mov_b64 s[4:5], -1
                                        ; implicit-def: $sgpr10
	s_and_saveexec_b64 s[8:9], s[12:13]
; %bb.2686:
	s_mov_b32 s10, 0x7f800001
	s_xor_b64 s[4:5], exec, -1
; %bb.2687:
	s_or_b64 exec, exec, s[8:9]
	s_and_b64 s[4:5], s[4:5], exec
	s_or_saveexec_b64 s[6:7], s[6:7]
	v_mov_b32_e32 v11, s10
	s_xor_b64 exec, exec, s[6:7]
	s_cbranch_execz .LBB3_638
.LBB3_2688:
	v_mov_b32_e32 v11, 0
	v_cmp_ne_u16_sdwa s[8:9], v13, v11 src0_sel:BYTE_3 src1_sel:DWORD
	s_andn2_b64 s[4:5], s[4:5], exec
	s_and_b64 s[8:9], s[8:9], exec
	s_or_b64 s[4:5], s[4:5], s[8:9]
	s_or_b64 exec, exec, s[6:7]
	s_and_saveexec_b64 s[6:7], s[4:5]
	s_cbranch_execnz .LBB3_639
	s_branch .LBB3_640
.LBB3_2689:
	s_movk_i32 s4, 0x80
	v_cmp_eq_u16_sdwa s[12:13], v6, s4 src0_sel:BYTE_0 src1_sel:DWORD
	s_mov_b64 s[4:5], -1
                                        ; implicit-def: $sgpr10
	s_and_saveexec_b64 s[8:9], s[12:13]
; %bb.2690:
	s_mov_b32 s10, 0x7f800001
	s_xor_b64 s[4:5], exec, -1
; %bb.2691:
	s_or_b64 exec, exec, s[8:9]
	s_and_b64 s[4:5], s[4:5], exec
	s_or_saveexec_b64 s[6:7], s[6:7]
	v_mov_b32_e32 v10, s10
	s_xor_b64 exec, exec, s[6:7]
	s_cbranch_execz .LBB3_642
.LBB3_2692:
	v_mov_b32_e32 v10, 0
	v_cmp_ne_u16_sdwa s[8:9], v6, v10 src0_sel:BYTE_0 src1_sel:DWORD
	s_andn2_b64 s[4:5], s[4:5], exec
	s_and_b64 s[8:9], s[8:9], exec
	s_or_b64 s[4:5], s[4:5], s[8:9]
	s_or_b64 exec, exec, s[6:7]
	s_and_saveexec_b64 s[6:7], s[4:5]
	s_cbranch_execnz .LBB3_643
	s_branch .LBB3_644
.LBB3_2693:
	s_movk_i32 s4, 0x80
	v_cmp_eq_u16_sdwa s[12:13], v2, s4 src0_sel:BYTE_0 src1_sel:DWORD
	s_mov_b64 s[4:5], -1
                                        ; implicit-def: $sgpr10
	s_and_saveexec_b64 s[8:9], s[12:13]
; %bb.2694:
	s_mov_b32 s10, 0x7f800001
	s_xor_b64 s[4:5], exec, -1
; %bb.2695:
	s_or_b64 exec, exec, s[8:9]
	s_and_b64 s[4:5], s[4:5], exec
	s_or_saveexec_b64 s[6:7], s[6:7]
	v_mov_b32_e32 v11, s10
	s_xor_b64 exec, exec, s[6:7]
	s_cbranch_execz .LBB3_646
.LBB3_2696:
	v_mov_b32_e32 v11, 0
	v_cmp_ne_u16_sdwa s[8:9], v2, v11 src0_sel:BYTE_0 src1_sel:DWORD
	s_andn2_b64 s[4:5], s[4:5], exec
	s_and_b64 s[8:9], s[8:9], exec
	s_or_b64 s[4:5], s[4:5], s[8:9]
	s_or_b64 exec, exec, s[6:7]
	s_and_saveexec_b64 s[6:7], s[4:5]
	s_cbranch_execnz .LBB3_647
	s_branch .LBB3_648
.LBB3_2697:
	s_movk_i32 s4, 0x80
	v_cmp_eq_u16_sdwa s[12:13], v11, s4 src0_sel:BYTE_0 src1_sel:DWORD
	s_mov_b64 s[4:5], -1
                                        ; implicit-def: $sgpr10
	s_and_saveexec_b64 s[8:9], s[12:13]
; %bb.2698:
	s_mov_b32 s10, 0x7f800001
	s_xor_b64 s[4:5], exec, -1
; %bb.2699:
	s_or_b64 exec, exec, s[8:9]
	s_and_b64 s[4:5], s[4:5], exec
	s_or_saveexec_b64 s[6:7], s[6:7]
	v_mov_b32_e32 v10, s10
	s_xor_b64 exec, exec, s[6:7]
	s_cbranch_execz .LBB3_650
.LBB3_2700:
	v_mov_b32_e32 v10, 0
	v_cmp_ne_u16_sdwa s[8:9], v11, v10 src0_sel:BYTE_0 src1_sel:DWORD
	s_andn2_b64 s[4:5], s[4:5], exec
	s_and_b64 s[8:9], s[8:9], exec
	s_or_b64 s[4:5], s[4:5], s[8:9]
	s_or_b64 exec, exec, s[6:7]
	s_and_saveexec_b64 s[6:7], s[4:5]
	s_cbranch_execnz .LBB3_651
	s_branch .LBB3_652
.LBB3_2701:
	s_movk_i32 s4, 0x80
	v_cmp_eq_u16_sdwa s[12:13], v11, s4 src0_sel:BYTE_0 src1_sel:DWORD
	s_mov_b64 s[4:5], -1
                                        ; implicit-def: $sgpr10
	s_and_saveexec_b64 s[8:9], s[12:13]
; %bb.2702:
	s_mov_b32 s10, 0x7f800001
	s_xor_b64 s[4:5], exec, -1
; %bb.2703:
	s_or_b64 exec, exec, s[8:9]
	s_and_b64 s[4:5], s[4:5], exec
	s_or_saveexec_b64 s[6:7], s[6:7]
	v_mov_b32_e32 v12, s10
	s_xor_b64 exec, exec, s[6:7]
	s_cbranch_execz .LBB3_654
.LBB3_2704:
	v_mov_b32_e32 v12, 0
	v_cmp_ne_u16_sdwa s[8:9], v11, v12 src0_sel:BYTE_0 src1_sel:DWORD
	s_andn2_b64 s[4:5], s[4:5], exec
	s_and_b64 s[8:9], s[8:9], exec
	s_or_b64 s[4:5], s[4:5], s[8:9]
	s_or_b64 exec, exec, s[6:7]
	s_and_saveexec_b64 s[6:7], s[4:5]
	s_cbranch_execnz .LBB3_655
	s_branch .LBB3_656
.LBB3_2705:
	s_movk_i32 s4, 0x80
	v_cmp_eq_u16_e32 vcc, s4, v11
	s_mov_b64 s[4:5], -1
                                        ; implicit-def: $sgpr10
	s_and_saveexec_b64 s[8:9], vcc
; %bb.2706:
	s_mov_b32 s10, 0x7f800001
	s_xor_b64 s[4:5], exec, -1
; %bb.2707:
	s_or_b64 exec, exec, s[8:9]
	s_and_b64 s[4:5], s[4:5], exec
                                        ; implicit-def: $vgpr11
	s_or_saveexec_b64 s[6:7], s[6:7]
	v_mov_b32_e32 v10, s10
	s_xor_b64 exec, exec, s[6:7]
	s_cbranch_execz .LBB3_658
.LBB3_2708:
	v_cmp_ne_u16_e32 vcc, 0, v11
	s_andn2_b64 s[4:5], s[4:5], exec
	s_and_b64 s[8:9], vcc, exec
	v_mov_b32_e32 v10, 0
	s_or_b64 s[4:5], s[4:5], s[8:9]
	s_or_b64 exec, exec, s[6:7]
	s_and_saveexec_b64 s[6:7], s[4:5]
	s_cbranch_execnz .LBB3_659
	s_branch .LBB3_660
.LBB3_2709:
	s_movk_i32 s4, 0x80
	v_cmp_eq_u16_e32 vcc, s4, v11
	s_mov_b64 s[4:5], -1
                                        ; implicit-def: $sgpr10
	s_and_saveexec_b64 s[8:9], vcc
; %bb.2710:
	s_mov_b32 s10, 0x7f800001
	s_xor_b64 s[4:5], exec, -1
; %bb.2711:
	s_or_b64 exec, exec, s[8:9]
	s_and_b64 s[4:5], s[4:5], exec
                                        ; implicit-def: $vgpr11
	s_or_saveexec_b64 s[6:7], s[6:7]
	v_mov_b32_e32 v12, s10
	s_xor_b64 exec, exec, s[6:7]
	s_cbranch_execz .LBB3_662
.LBB3_2712:
	v_cmp_ne_u16_e32 vcc, 0, v11
	s_andn2_b64 s[4:5], s[4:5], exec
	s_and_b64 s[8:9], vcc, exec
	v_mov_b32_e32 v12, 0
	s_or_b64 s[4:5], s[4:5], s[8:9]
	s_or_b64 exec, exec, s[6:7]
	s_and_saveexec_b64 s[6:7], s[4:5]
	s_cbranch_execnz .LBB3_663
	s_branch .LBB3_664
.LBB3_2713:
	s_movk_i32 s4, 0x80
	v_cmp_eq_u16_sdwa s[12:13], v6, s4 src0_sel:BYTE_3 src1_sel:DWORD
	s_mov_b64 s[4:5], -1
                                        ; implicit-def: $sgpr10
	s_and_saveexec_b64 s[8:9], s[12:13]
; %bb.2714:
	s_mov_b32 s10, 0x7f800001
	s_xor_b64 s[4:5], exec, -1
; %bb.2715:
	s_or_b64 exec, exec, s[8:9]
	s_and_b64 s[4:5], s[4:5], exec
	s_or_saveexec_b64 s[6:7], s[6:7]
	v_mov_b32_e32 v10, s10
	s_xor_b64 exec, exec, s[6:7]
	s_cbranch_execz .LBB3_666
.LBB3_2716:
	v_mov_b32_e32 v10, 0
	v_cmp_ne_u16_sdwa s[8:9], v6, v10 src0_sel:BYTE_3 src1_sel:DWORD
	s_andn2_b64 s[4:5], s[4:5], exec
	s_and_b64 s[8:9], s[8:9], exec
	s_or_b64 s[4:5], s[4:5], s[8:9]
	s_or_b64 exec, exec, s[6:7]
	s_and_saveexec_b64 s[6:7], s[4:5]
	s_cbranch_execnz .LBB3_667
	s_branch .LBB3_668
.LBB3_2717:
	s_movk_i32 s4, 0x80
	v_cmp_eq_u16_sdwa s[12:13], v2, s4 src0_sel:BYTE_3 src1_sel:DWORD
	s_mov_b64 s[4:5], -1
                                        ; implicit-def: $sgpr10
	s_and_saveexec_b64 s[8:9], s[12:13]
; %bb.2718:
	s_mov_b32 s10, 0x7f800001
	s_xor_b64 s[4:5], exec, -1
; %bb.2719:
	s_or_b64 exec, exec, s[8:9]
	s_and_b64 s[4:5], s[4:5], exec
	s_or_saveexec_b64 s[6:7], s[6:7]
	v_mov_b32_e32 v6, s10
	s_xor_b64 exec, exec, s[6:7]
	s_cbranch_execz .LBB3_670
.LBB3_2720:
	v_mov_b32_e32 v6, 0
	v_cmp_ne_u16_sdwa s[8:9], v2, v6 src0_sel:BYTE_3 src1_sel:DWORD
	s_andn2_b64 s[4:5], s[4:5], exec
	s_and_b64 s[8:9], s[8:9], exec
	s_or_b64 s[4:5], s[4:5], s[8:9]
	s_or_b64 exec, exec, s[6:7]
	s_and_saveexec_b64 s[6:7], s[4:5]
	s_cbranch_execnz .LBB3_671
	s_branch .LBB3_672
.LBB3_2721:
	s_movk_i32 s4, 0x80
	v_cmp_eq_u16_sdwa s[12:13], v7, s4 src0_sel:BYTE_0 src1_sel:DWORD
	s_mov_b64 s[4:5], -1
                                        ; implicit-def: $sgpr10
	s_and_saveexec_b64 s[8:9], s[12:13]
; %bb.2722:
	s_mov_b32 s10, 0x7f800001
	s_xor_b64 s[4:5], exec, -1
; %bb.2723:
	s_or_b64 exec, exec, s[8:9]
	s_and_b64 s[4:5], s[4:5], exec
	s_or_saveexec_b64 s[6:7], s[6:7]
	v_mov_b32_e32 v2, s10
	s_xor_b64 exec, exec, s[6:7]
	s_cbranch_execz .LBB3_674
.LBB3_2724:
	v_mov_b32_e32 v2, 0
	v_cmp_ne_u16_sdwa s[8:9], v7, v2 src0_sel:BYTE_0 src1_sel:DWORD
	s_andn2_b64 s[4:5], s[4:5], exec
	s_and_b64 s[8:9], s[8:9], exec
	s_or_b64 s[4:5], s[4:5], s[8:9]
	s_or_b64 exec, exec, s[6:7]
	s_and_saveexec_b64 s[6:7], s[4:5]
	s_cbranch_execnz .LBB3_675
	s_branch .LBB3_676
.LBB3_2725:
	s_movk_i32 s4, 0x80
	v_cmp_eq_u16_sdwa s[12:13], v3, s4 src0_sel:BYTE_0 src1_sel:DWORD
	s_mov_b64 s[4:5], -1
                                        ; implicit-def: $sgpr10
	s_and_saveexec_b64 s[8:9], s[12:13]
; %bb.2726:
	s_mov_b32 s10, 0x7f800001
	s_xor_b64 s[4:5], exec, -1
; %bb.2727:
	s_or_b64 exec, exec, s[8:9]
	s_and_b64 s[4:5], s[4:5], exec
	s_or_saveexec_b64 s[6:7], s[6:7]
	v_mov_b32_e32 v6, s10
	s_xor_b64 exec, exec, s[6:7]
	s_cbranch_execz .LBB3_678
.LBB3_2728:
	v_mov_b32_e32 v6, 0
	v_cmp_ne_u16_sdwa s[8:9], v3, v6 src0_sel:BYTE_0 src1_sel:DWORD
	s_andn2_b64 s[4:5], s[4:5], exec
	s_and_b64 s[8:9], s[8:9], exec
	s_or_b64 s[4:5], s[4:5], s[8:9]
	s_or_b64 exec, exec, s[6:7]
	s_and_saveexec_b64 s[6:7], s[4:5]
	s_cbranch_execnz .LBB3_679
	s_branch .LBB3_680
.LBB3_2729:
	s_movk_i32 s4, 0x80
	v_cmp_eq_u16_sdwa s[12:13], v6, s4 src0_sel:BYTE_0 src1_sel:DWORD
	s_mov_b64 s[4:5], -1
                                        ; implicit-def: $sgpr10
	s_and_saveexec_b64 s[8:9], s[12:13]
; %bb.2730:
	s_mov_b32 s10, 0x7f800001
	s_xor_b64 s[4:5], exec, -1
; %bb.2731:
	s_or_b64 exec, exec, s[8:9]
	s_and_b64 s[4:5], s[4:5], exec
	s_or_saveexec_b64 s[6:7], s[6:7]
	v_mov_b32_e32 v2, s10
	s_xor_b64 exec, exec, s[6:7]
	s_cbranch_execz .LBB3_682
.LBB3_2732:
	v_mov_b32_e32 v2, 0
	v_cmp_ne_u16_sdwa s[8:9], v6, v2 src0_sel:BYTE_0 src1_sel:DWORD
	s_andn2_b64 s[4:5], s[4:5], exec
	s_and_b64 s[8:9], s[8:9], exec
	s_or_b64 s[4:5], s[4:5], s[8:9]
	s_or_b64 exec, exec, s[6:7]
	s_and_saveexec_b64 s[6:7], s[4:5]
	s_cbranch_execnz .LBB3_683
	s_branch .LBB3_684
.LBB3_2733:
	s_movk_i32 s4, 0x80
	v_cmp_eq_u16_sdwa s[12:13], v6, s4 src0_sel:BYTE_0 src1_sel:DWORD
	s_mov_b64 s[4:5], -1
                                        ; implicit-def: $sgpr10
	s_and_saveexec_b64 s[8:9], s[12:13]
; %bb.2734:
	s_mov_b32 s10, 0x7f800001
	s_xor_b64 s[4:5], exec, -1
; %bb.2735:
	s_or_b64 exec, exec, s[8:9]
	s_and_b64 s[4:5], s[4:5], exec
	s_or_saveexec_b64 s[6:7], s[6:7]
	v_mov_b32_e32 v10, s10
	s_xor_b64 exec, exec, s[6:7]
	s_cbranch_execz .LBB3_686
.LBB3_2736:
	v_mov_b32_e32 v10, 0
	v_cmp_ne_u16_sdwa s[8:9], v6, v10 src0_sel:BYTE_0 src1_sel:DWORD
	s_andn2_b64 s[4:5], s[4:5], exec
	s_and_b64 s[8:9], s[8:9], exec
	s_or_b64 s[4:5], s[4:5], s[8:9]
	s_or_b64 exec, exec, s[6:7]
	s_and_saveexec_b64 s[6:7], s[4:5]
	s_cbranch_execnz .LBB3_687
	s_branch .LBB3_688
.LBB3_2737:
	s_movk_i32 s4, 0x80
	v_cmp_eq_u16_e32 vcc, s4, v6
	s_mov_b64 s[4:5], -1
                                        ; implicit-def: $sgpr10
	s_and_saveexec_b64 s[8:9], vcc
; %bb.2738:
	s_mov_b32 s10, 0x7f800001
	s_xor_b64 s[4:5], exec, -1
; %bb.2739:
	s_or_b64 exec, exec, s[8:9]
	s_and_b64 s[4:5], s[4:5], exec
                                        ; implicit-def: $vgpr6
	s_or_saveexec_b64 s[6:7], s[6:7]
	v_mov_b32_e32 v2, s10
	s_xor_b64 exec, exec, s[6:7]
	s_cbranch_execz .LBB3_690
.LBB3_2740:
	v_cmp_ne_u16_e32 vcc, 0, v6
	s_andn2_b64 s[4:5], s[4:5], exec
	s_and_b64 s[8:9], vcc, exec
	v_mov_b32_e32 v2, 0
	s_or_b64 s[4:5], s[4:5], s[8:9]
	s_or_b64 exec, exec, s[6:7]
	s_and_saveexec_b64 s[6:7], s[4:5]
	s_cbranch_execnz .LBB3_691
	s_branch .LBB3_692
.LBB3_2741:
	s_movk_i32 s4, 0x80
	v_cmp_eq_u16_e32 vcc, s4, v6
	s_mov_b64 s[4:5], -1
                                        ; implicit-def: $sgpr10
	s_and_saveexec_b64 s[8:9], vcc
; %bb.2742:
	s_mov_b32 s10, 0x7f800001
	s_xor_b64 s[4:5], exec, -1
; %bb.2743:
	s_or_b64 exec, exec, s[8:9]
	s_and_b64 s[4:5], s[4:5], exec
                                        ; implicit-def: $vgpr6
	s_or_saveexec_b64 s[6:7], s[6:7]
	v_mov_b32_e32 v10, s10
	s_xor_b64 exec, exec, s[6:7]
	s_cbranch_execz .LBB3_694
.LBB3_2744:
	v_cmp_ne_u16_e32 vcc, 0, v6
	s_andn2_b64 s[4:5], s[4:5], exec
	s_and_b64 s[8:9], vcc, exec
	v_mov_b32_e32 v10, 0
	s_or_b64 s[4:5], s[4:5], s[8:9]
	s_or_b64 exec, exec, s[6:7]
	s_and_saveexec_b64 s[6:7], s[4:5]
	s_cbranch_execnz .LBB3_695
	s_branch .LBB3_696
.LBB3_2745:
	s_movk_i32 s4, 0x80
	v_cmp_eq_u16_sdwa s[12:13], v7, s4 src0_sel:BYTE_3 src1_sel:DWORD
	s_mov_b64 s[4:5], -1
                                        ; implicit-def: $sgpr10
	s_and_saveexec_b64 s[8:9], s[12:13]
; %bb.2746:
	s_mov_b32 s10, 0x7f800001
	s_xor_b64 s[4:5], exec, -1
; %bb.2747:
	s_or_b64 exec, exec, s[8:9]
	s_and_b64 s[4:5], s[4:5], exec
	s_or_saveexec_b64 s[6:7], s[6:7]
	v_mov_b32_e32 v2, s10
	s_xor_b64 exec, exec, s[6:7]
	s_cbranch_execz .LBB3_698
.LBB3_2748:
	v_mov_b32_e32 v2, 0
	v_cmp_ne_u16_sdwa s[8:9], v7, v2 src0_sel:BYTE_3 src1_sel:DWORD
	s_andn2_b64 s[4:5], s[4:5], exec
	s_and_b64 s[8:9], s[8:9], exec
	s_or_b64 s[4:5], s[4:5], s[8:9]
	s_or_b64 exec, exec, s[6:7]
	s_and_saveexec_b64 s[6:7], s[4:5]
	s_cbranch_execnz .LBB3_699
	s_branch .LBB3_700
.LBB3_2749:
	s_movk_i32 s4, 0x80
	v_cmp_eq_u16_sdwa s[12:13], v3, s4 src0_sel:BYTE_3 src1_sel:DWORD
	s_mov_b64 s[4:5], -1
                                        ; implicit-def: $sgpr10
	s_and_saveexec_b64 s[8:9], s[12:13]
; %bb.2750:
	s_mov_b32 s10, 0x7f800001
	s_xor_b64 s[4:5], exec, -1
; %bb.2751:
	s_or_b64 exec, exec, s[8:9]
	s_and_b64 s[4:5], s[4:5], exec
	s_or_saveexec_b64 s[6:7], s[6:7]
	v_mov_b32_e32 v6, s10
	s_xor_b64 exec, exec, s[6:7]
	s_cbranch_execz .LBB3_702
.LBB3_2752:
	v_mov_b32_e32 v6, 0
	v_cmp_ne_u16_sdwa s[8:9], v3, v6 src0_sel:BYTE_3 src1_sel:DWORD
	s_andn2_b64 s[4:5], s[4:5], exec
	s_and_b64 s[8:9], s[8:9], exec
	s_or_b64 s[4:5], s[4:5], s[8:9]
	s_or_b64 exec, exec, s[6:7]
	s_and_saveexec_b64 s[6:7], s[4:5]
	s_cbranch_execnz .LBB3_703
	s_branch .LBB3_704
.LBB3_2753:
	s_movk_i32 s4, 0x80
	v_cmp_eq_u16_sdwa s[12:13], v8, s4 src0_sel:BYTE_0 src1_sel:DWORD
	s_mov_b64 s[4:5], -1
                                        ; implicit-def: $sgpr10
	s_and_saveexec_b64 s[8:9], s[12:13]
; %bb.2754:
	s_mov_b32 s10, 0x7f800001
	s_xor_b64 s[4:5], exec, -1
; %bb.2755:
	s_or_b64 exec, exec, s[8:9]
	s_and_b64 s[4:5], s[4:5], exec
	s_or_saveexec_b64 s[6:7], s[6:7]
	v_mov_b32_e32 v2, s10
	s_xor_b64 exec, exec, s[6:7]
	s_cbranch_execz .LBB3_706
.LBB3_2756:
	v_mov_b32_e32 v2, 0
	v_cmp_ne_u16_sdwa s[8:9], v8, v2 src0_sel:BYTE_0 src1_sel:DWORD
	s_andn2_b64 s[4:5], s[4:5], exec
	s_and_b64 s[8:9], s[8:9], exec
	s_or_b64 s[4:5], s[4:5], s[8:9]
	s_or_b64 exec, exec, s[6:7]
	s_and_saveexec_b64 s[6:7], s[4:5]
	s_cbranch_execnz .LBB3_707
	s_branch .LBB3_708
.LBB3_2757:
	s_movk_i32 s4, 0x80
	v_cmp_eq_u16_sdwa s[12:13], v4, s4 src0_sel:BYTE_0 src1_sel:DWORD
	s_mov_b64 s[4:5], -1
                                        ; implicit-def: $sgpr10
	s_and_saveexec_b64 s[8:9], s[12:13]
; %bb.2758:
	s_mov_b32 s10, 0x7f800001
	s_xor_b64 s[4:5], exec, -1
; %bb.2759:
	s_or_b64 exec, exec, s[8:9]
	s_and_b64 s[4:5], s[4:5], exec
	s_or_saveexec_b64 s[6:7], s[6:7]
	v_mov_b32_e32 v3, s10
	s_xor_b64 exec, exec, s[6:7]
	s_cbranch_execz .LBB3_710
.LBB3_2760:
	v_mov_b32_e32 v3, 0
	v_cmp_ne_u16_sdwa s[8:9], v4, v3 src0_sel:BYTE_0 src1_sel:DWORD
	s_andn2_b64 s[4:5], s[4:5], exec
	s_and_b64 s[8:9], s[8:9], exec
	s_or_b64 s[4:5], s[4:5], s[8:9]
	s_or_b64 exec, exec, s[6:7]
	s_and_saveexec_b64 s[6:7], s[4:5]
	s_cbranch_execnz .LBB3_711
	s_branch .LBB3_712
.LBB3_2761:
	s_movk_i32 s4, 0x80
	v_cmp_eq_u16_sdwa s[12:13], v3, s4 src0_sel:BYTE_0 src1_sel:DWORD
	s_mov_b64 s[4:5], -1
                                        ; implicit-def: $sgpr10
	s_and_saveexec_b64 s[8:9], s[12:13]
; %bb.2762:
	s_mov_b32 s10, 0x7f800001
	s_xor_b64 s[4:5], exec, -1
; %bb.2763:
	s_or_b64 exec, exec, s[8:9]
	s_and_b64 s[4:5], s[4:5], exec
	s_or_saveexec_b64 s[6:7], s[6:7]
	v_mov_b32_e32 v2, s10
	s_xor_b64 exec, exec, s[6:7]
	s_cbranch_execz .LBB3_714
.LBB3_2764:
	v_mov_b32_e32 v2, 0
	v_cmp_ne_u16_sdwa s[8:9], v3, v2 src0_sel:BYTE_0 src1_sel:DWORD
	s_andn2_b64 s[4:5], s[4:5], exec
	s_and_b64 s[8:9], s[8:9], exec
	s_or_b64 s[4:5], s[4:5], s[8:9]
	s_or_b64 exec, exec, s[6:7]
	s_and_saveexec_b64 s[6:7], s[4:5]
	s_cbranch_execnz .LBB3_715
	s_branch .LBB3_716
.LBB3_2765:
	s_movk_i32 s4, 0x80
	v_cmp_eq_u16_sdwa s[12:13], v3, s4 src0_sel:BYTE_0 src1_sel:DWORD
	s_mov_b64 s[4:5], -1
                                        ; implicit-def: $sgpr10
	s_and_saveexec_b64 s[8:9], s[12:13]
; %bb.2766:
	s_mov_b32 s10, 0x7f800001
	s_xor_b64 s[4:5], exec, -1
; %bb.2767:
	s_or_b64 exec, exec, s[8:9]
	s_and_b64 s[4:5], s[4:5], exec
	s_or_saveexec_b64 s[6:7], s[6:7]
	v_mov_b32_e32 v6, s10
	s_xor_b64 exec, exec, s[6:7]
	s_cbranch_execz .LBB3_718
.LBB3_2768:
	v_mov_b32_e32 v6, 0
	v_cmp_ne_u16_sdwa s[8:9], v3, v6 src0_sel:BYTE_0 src1_sel:DWORD
	s_andn2_b64 s[4:5], s[4:5], exec
	s_and_b64 s[8:9], s[8:9], exec
	s_or_b64 s[4:5], s[4:5], s[8:9]
	s_or_b64 exec, exec, s[6:7]
	s_and_saveexec_b64 s[6:7], s[4:5]
	s_cbranch_execnz .LBB3_719
	s_branch .LBB3_720
.LBB3_2769:
	s_movk_i32 s4, 0x80
	v_cmp_eq_u16_e32 vcc, s4, v3
	s_mov_b64 s[4:5], -1
                                        ; implicit-def: $sgpr10
	s_and_saveexec_b64 s[8:9], vcc
; %bb.2770:
	s_mov_b32 s10, 0x7f800001
	s_xor_b64 s[4:5], exec, -1
; %bb.2771:
	s_or_b64 exec, exec, s[8:9]
	s_and_b64 s[4:5], s[4:5], exec
                                        ; implicit-def: $vgpr3
	s_or_saveexec_b64 s[6:7], s[6:7]
	v_mov_b32_e32 v2, s10
	s_xor_b64 exec, exec, s[6:7]
	s_cbranch_execz .LBB3_722
.LBB3_2772:
	v_cmp_ne_u16_e32 vcc, 0, v3
	s_andn2_b64 s[4:5], s[4:5], exec
	s_and_b64 s[8:9], vcc, exec
	v_mov_b32_e32 v2, 0
	s_or_b64 s[4:5], s[4:5], s[8:9]
	s_or_b64 exec, exec, s[6:7]
	s_and_saveexec_b64 s[6:7], s[4:5]
	s_cbranch_execnz .LBB3_723
	s_branch .LBB3_724
.LBB3_2773:
	s_movk_i32 s4, 0x80
	v_cmp_eq_u16_e32 vcc, s4, v3
	s_mov_b64 s[4:5], -1
                                        ; implicit-def: $sgpr10
	s_and_saveexec_b64 s[8:9], vcc
; %bb.2774:
	s_mov_b32 s10, 0x7f800001
	s_xor_b64 s[4:5], exec, -1
; %bb.2775:
	s_or_b64 exec, exec, s[8:9]
	s_and_b64 s[4:5], s[4:5], exec
                                        ; implicit-def: $vgpr3
	s_or_saveexec_b64 s[6:7], s[6:7]
	v_mov_b32_e32 v6, s10
	s_xor_b64 exec, exec, s[6:7]
	s_cbranch_execz .LBB3_726
.LBB3_2776:
	v_cmp_ne_u16_e32 vcc, 0, v3
	s_andn2_b64 s[4:5], s[4:5], exec
	s_and_b64 s[8:9], vcc, exec
	v_mov_b32_e32 v6, 0
	s_or_b64 s[4:5], s[4:5], s[8:9]
	s_or_b64 exec, exec, s[6:7]
	s_and_saveexec_b64 s[6:7], s[4:5]
	s_cbranch_execnz .LBB3_727
	s_branch .LBB3_728
.LBB3_2777:
	s_movk_i32 s4, 0x80
	v_cmp_eq_u16_sdwa s[12:13], v8, s4 src0_sel:BYTE_3 src1_sel:DWORD
	s_mov_b64 s[4:5], -1
                                        ; implicit-def: $sgpr10
	s_and_saveexec_b64 s[8:9], s[12:13]
; %bb.2778:
	s_mov_b32 s10, 0x7f800001
	s_xor_b64 s[4:5], exec, -1
; %bb.2779:
	s_or_b64 exec, exec, s[8:9]
	s_and_b64 s[4:5], s[4:5], exec
	s_or_saveexec_b64 s[6:7], s[6:7]
	v_mov_b32_e32 v2, s10
	s_xor_b64 exec, exec, s[6:7]
	s_cbranch_execz .LBB3_730
.LBB3_2780:
	v_mov_b32_e32 v2, 0
	v_cmp_ne_u16_sdwa s[8:9], v8, v2 src0_sel:BYTE_3 src1_sel:DWORD
	s_andn2_b64 s[4:5], s[4:5], exec
	s_and_b64 s[8:9], s[8:9], exec
	s_or_b64 s[4:5], s[4:5], s[8:9]
	s_or_b64 exec, exec, s[6:7]
	s_and_saveexec_b64 s[6:7], s[4:5]
	s_cbranch_execnz .LBB3_731
	s_branch .LBB3_732
.LBB3_2781:
	s_movk_i32 s4, 0x80
	v_cmp_eq_u16_sdwa s[12:13], v4, s4 src0_sel:BYTE_3 src1_sel:DWORD
	s_mov_b64 s[4:5], -1
                                        ; implicit-def: $sgpr10
	s_and_saveexec_b64 s[8:9], s[12:13]
; %bb.2782:
	s_mov_b32 s10, 0x7f800001
	s_xor_b64 s[4:5], exec, -1
; %bb.2783:
	s_or_b64 exec, exec, s[8:9]
	s_and_b64 s[4:5], s[4:5], exec
	s_or_saveexec_b64 s[6:7], s[6:7]
	v_mov_b32_e32 v3, s10
	s_xor_b64 exec, exec, s[6:7]
	s_cbranch_execz .LBB3_734
.LBB3_2784:
	v_mov_b32_e32 v3, 0
	v_cmp_ne_u16_sdwa s[8:9], v4, v3 src0_sel:BYTE_3 src1_sel:DWORD
	s_andn2_b64 s[4:5], s[4:5], exec
	s_and_b64 s[8:9], s[8:9], exec
	s_or_b64 s[4:5], s[4:5], s[8:9]
	s_or_b64 exec, exec, s[6:7]
	s_and_saveexec_b64 s[6:7], s[4:5]
	s_cbranch_execnz .LBB3_735
	s_branch .LBB3_736
.LBB3_2785:
	s_movk_i32 s4, 0x80
	v_cmp_eq_u16_sdwa s[12:13], v9, s4 src0_sel:BYTE_0 src1_sel:DWORD
	s_mov_b64 s[4:5], -1
                                        ; implicit-def: $sgpr10
	s_and_saveexec_b64 s[8:9], s[12:13]
; %bb.2786:
	s_mov_b32 s10, 0x7f800001
	s_xor_b64 s[4:5], exec, -1
; %bb.2787:
	s_or_b64 exec, exec, s[8:9]
	s_and_b64 s[4:5], s[4:5], exec
	s_or_saveexec_b64 s[6:7], s[6:7]
	v_mov_b32_e32 v2, s10
	s_xor_b64 exec, exec, s[6:7]
	s_cbranch_execz .LBB3_738
.LBB3_2788:
	v_mov_b32_e32 v2, 0
	v_cmp_ne_u16_sdwa s[8:9], v9, v2 src0_sel:BYTE_0 src1_sel:DWORD
	s_andn2_b64 s[4:5], s[4:5], exec
	s_and_b64 s[8:9], s[8:9], exec
	s_or_b64 s[4:5], s[4:5], s[8:9]
	s_or_b64 exec, exec, s[6:7]
	s_and_saveexec_b64 s[6:7], s[4:5]
	s_cbranch_execnz .LBB3_739
	s_branch .LBB3_740
.LBB3_2789:
	s_movk_i32 s4, 0x80
	v_cmp_eq_u16_sdwa s[12:13], v5, s4 src0_sel:BYTE_0 src1_sel:DWORD
	s_mov_b64 s[4:5], -1
                                        ; implicit-def: $sgpr10
	s_and_saveexec_b64 s[8:9], s[12:13]
; %bb.2790:
	s_mov_b32 s10, 0x7f800001
	s_xor_b64 s[4:5], exec, -1
; %bb.2791:
	s_or_b64 exec, exec, s[8:9]
	s_and_b64 s[4:5], s[4:5], exec
	s_or_saveexec_b64 s[6:7], s[6:7]
	v_mov_b32_e32 v3, s10
	s_xor_b64 exec, exec, s[6:7]
	s_cbranch_execz .LBB3_742
.LBB3_2792:
	v_mov_b32_e32 v3, 0
	v_cmp_ne_u16_sdwa s[8:9], v5, v3 src0_sel:BYTE_0 src1_sel:DWORD
	s_andn2_b64 s[4:5], s[4:5], exec
	s_and_b64 s[8:9], s[8:9], exec
	s_or_b64 s[4:5], s[4:5], s[8:9]
	s_or_b64 exec, exec, s[6:7]
	s_and_saveexec_b64 s[6:7], s[4:5]
	s_cbranch_execnz .LBB3_743
	s_branch .LBB3_744
.LBB3_2793:
	s_movk_i32 s4, 0x80
	v_cmp_eq_u16_sdwa s[12:13], v3, s4 src0_sel:BYTE_0 src1_sel:DWORD
	s_mov_b64 s[4:5], -1
                                        ; implicit-def: $sgpr10
	s_and_saveexec_b64 s[8:9], s[12:13]
; %bb.2794:
	s_mov_b32 s10, 0x7f800001
	s_xor_b64 s[4:5], exec, -1
; %bb.2795:
	s_or_b64 exec, exec, s[8:9]
	s_and_b64 s[4:5], s[4:5], exec
	s_or_saveexec_b64 s[6:7], s[6:7]
	v_mov_b32_e32 v2, s10
	s_xor_b64 exec, exec, s[6:7]
	s_cbranch_execz .LBB3_746
.LBB3_2796:
	v_mov_b32_e32 v2, 0
	v_cmp_ne_u16_sdwa s[8:9], v3, v2 src0_sel:BYTE_0 src1_sel:DWORD
	s_andn2_b64 s[4:5], s[4:5], exec
	s_and_b64 s[8:9], s[8:9], exec
	s_or_b64 s[4:5], s[4:5], s[8:9]
	s_or_b64 exec, exec, s[6:7]
	s_and_saveexec_b64 s[6:7], s[4:5]
	s_cbranch_execnz .LBB3_747
	s_branch .LBB3_748
.LBB3_2797:
	s_movk_i32 s4, 0x80
	v_cmp_eq_u16_sdwa s[12:13], v3, s4 src0_sel:BYTE_0 src1_sel:DWORD
	s_mov_b64 s[4:5], -1
                                        ; implicit-def: $sgpr10
	s_and_saveexec_b64 s[8:9], s[12:13]
; %bb.2798:
	s_mov_b32 s10, 0x7f800001
	s_xor_b64 s[4:5], exec, -1
; %bb.2799:
	s_or_b64 exec, exec, s[8:9]
	s_and_b64 s[4:5], s[4:5], exec
	s_or_saveexec_b64 s[6:7], s[6:7]
	v_mov_b32_e32 v4, s10
	s_xor_b64 exec, exec, s[6:7]
	s_cbranch_execz .LBB3_750
.LBB3_2800:
	v_mov_b32_e32 v4, 0
	v_cmp_ne_u16_sdwa s[8:9], v3, v4 src0_sel:BYTE_0 src1_sel:DWORD
	s_andn2_b64 s[4:5], s[4:5], exec
	s_and_b64 s[8:9], s[8:9], exec
	s_or_b64 s[4:5], s[4:5], s[8:9]
	s_or_b64 exec, exec, s[6:7]
	s_and_saveexec_b64 s[6:7], s[4:5]
	s_cbranch_execnz .LBB3_751
	s_branch .LBB3_752
.LBB3_2801:
	s_movk_i32 s4, 0x80
	v_cmp_eq_u16_e32 vcc, s4, v3
	s_mov_b64 s[4:5], -1
                                        ; implicit-def: $sgpr10
	s_and_saveexec_b64 s[8:9], vcc
; %bb.2802:
	s_mov_b32 s10, 0x7f800001
	s_xor_b64 s[4:5], exec, -1
; %bb.2803:
	s_or_b64 exec, exec, s[8:9]
	s_and_b64 s[4:5], s[4:5], exec
                                        ; implicit-def: $vgpr3
	s_or_saveexec_b64 s[6:7], s[6:7]
	v_mov_b32_e32 v2, s10
	s_xor_b64 exec, exec, s[6:7]
	s_cbranch_execz .LBB3_754
.LBB3_2804:
	v_cmp_ne_u16_e32 vcc, 0, v3
	s_andn2_b64 s[4:5], s[4:5], exec
	s_and_b64 s[8:9], vcc, exec
	v_mov_b32_e32 v2, 0
	s_or_b64 s[4:5], s[4:5], s[8:9]
	s_or_b64 exec, exec, s[6:7]
	s_and_saveexec_b64 s[6:7], s[4:5]
	s_cbranch_execnz .LBB3_755
	s_branch .LBB3_756
.LBB3_2805:
	s_movk_i32 s4, 0x80
	v_cmp_eq_u16_e32 vcc, s4, v3
	s_mov_b64 s[4:5], -1
                                        ; implicit-def: $sgpr10
	s_and_saveexec_b64 s[8:9], vcc
; %bb.2806:
	s_mov_b32 s10, 0x7f800001
	s_xor_b64 s[4:5], exec, -1
; %bb.2807:
	s_or_b64 exec, exec, s[8:9]
	s_and_b64 s[4:5], s[4:5], exec
                                        ; implicit-def: $vgpr3
	s_or_saveexec_b64 s[6:7], s[6:7]
	v_mov_b32_e32 v4, s10
	s_xor_b64 exec, exec, s[6:7]
	s_cbranch_execz .LBB3_758
.LBB3_2808:
	v_cmp_ne_u16_e32 vcc, 0, v3
	s_andn2_b64 s[4:5], s[4:5], exec
	s_and_b64 s[8:9], vcc, exec
	v_mov_b32_e32 v4, 0
	s_or_b64 s[4:5], s[4:5], s[8:9]
	s_or_b64 exec, exec, s[6:7]
	s_and_saveexec_b64 s[6:7], s[4:5]
	s_cbranch_execnz .LBB3_759
	s_branch .LBB3_760
.LBB3_2809:
	s_movk_i32 s4, 0x80
	v_cmp_eq_u16_sdwa s[12:13], v9, s4 src0_sel:BYTE_3 src1_sel:DWORD
	s_mov_b64 s[4:5], -1
                                        ; implicit-def: $sgpr10
	s_and_saveexec_b64 s[8:9], s[12:13]
; %bb.2810:
	s_mov_b32 s10, 0x7f800001
	s_xor_b64 s[4:5], exec, -1
; %bb.2811:
	s_or_b64 exec, exec, s[8:9]
	s_and_b64 s[4:5], s[4:5], exec
	s_or_saveexec_b64 s[6:7], s[6:7]
	v_mov_b32_e32 v2, s10
	s_xor_b64 exec, exec, s[6:7]
	s_cbranch_execz .LBB3_762
.LBB3_2812:
	v_mov_b32_e32 v2, 0
	v_cmp_ne_u16_sdwa s[8:9], v9, v2 src0_sel:BYTE_3 src1_sel:DWORD
	s_andn2_b64 s[4:5], s[4:5], exec
	s_and_b64 s[8:9], s[8:9], exec
	s_or_b64 s[4:5], s[4:5], s[8:9]
	s_or_b64 exec, exec, s[6:7]
	s_and_saveexec_b64 s[6:7], s[4:5]
	s_cbranch_execnz .LBB3_763
	s_branch .LBB3_764
.LBB3_2813:
	s_movk_i32 s4, 0x80
	v_cmp_eq_u16_sdwa s[12:13], v5, s4 src0_sel:BYTE_3 src1_sel:DWORD
	s_mov_b64 s[4:5], -1
                                        ; implicit-def: $sgpr10
	s_and_saveexec_b64 s[8:9], s[12:13]
; %bb.2814:
	s_mov_b32 s10, 0x7f800001
	s_xor_b64 s[4:5], exec, -1
; %bb.2815:
	s_or_b64 exec, exec, s[8:9]
	s_and_b64 s[4:5], s[4:5], exec
	s_or_saveexec_b64 s[6:7], s[6:7]
	v_mov_b32_e32 v3, s10
	s_xor_b64 exec, exec, s[6:7]
	s_cbranch_execz .LBB3_766
.LBB3_2816:
	v_mov_b32_e32 v3, 0
	v_cmp_ne_u16_sdwa s[8:9], v5, v3 src0_sel:BYTE_3 src1_sel:DWORD
	s_andn2_b64 s[4:5], s[4:5], exec
	s_and_b64 s[8:9], s[8:9], exec
	s_or_b64 s[4:5], s[4:5], s[8:9]
	s_or_b64 exec, exec, s[6:7]
	s_and_saveexec_b64 s[6:7], s[4:5]
	s_cbranch_execnz .LBB3_767
	s_branch .LBB3_768
.LBB3_2817:
	s_movk_i32 s4, 0x80
	v_cmp_eq_u16_sdwa s[12:13], v14, s4 src0_sel:BYTE_0 src1_sel:DWORD
	s_mov_b64 s[4:5], -1
                                        ; implicit-def: $sgpr10
	s_and_saveexec_b64 s[8:9], s[12:13]
; %bb.2818:
	s_mov_b32 s10, 0x7f800001
	s_xor_b64 s[4:5], exec, -1
; %bb.2819:
	s_or_b64 exec, exec, s[8:9]
	s_and_b64 s[4:5], s[4:5], exec
	s_or_saveexec_b64 s[6:7], s[6:7]
	v_mov_b32_e32 v20, s10
	s_xor_b64 exec, exec, s[6:7]
	s_cbranch_execz .LBB3_770
.LBB3_2820:
	v_mov_b32_e32 v20, 0
	v_cmp_ne_u16_sdwa s[8:9], v14, v20 src0_sel:BYTE_0 src1_sel:DWORD
	s_andn2_b64 s[4:5], s[4:5], exec
	s_and_b64 s[8:9], s[8:9], exec
	s_or_b64 s[4:5], s[4:5], s[8:9]
	s_or_b64 exec, exec, s[6:7]
	s_and_saveexec_b64 s[6:7], s[4:5]
	s_cbranch_execnz .LBB3_771
	s_branch .LBB3_772
.LBB3_2821:
	s_movk_i32 s4, 0x80
	v_cmp_eq_u16_sdwa s[12:13], v10, s4 src0_sel:BYTE_0 src1_sel:DWORD
	s_mov_b64 s[4:5], -1
                                        ; implicit-def: $sgpr10
	s_and_saveexec_b64 s[8:9], s[12:13]
; %bb.2822:
	s_mov_b32 s10, 0x7f800001
	s_xor_b64 s[4:5], exec, -1
; %bb.2823:
	s_or_b64 exec, exec, s[8:9]
	s_and_b64 s[4:5], s[4:5], exec
	s_or_saveexec_b64 s[6:7], s[6:7]
	v_mov_b32_e32 v21, s10
	s_xor_b64 exec, exec, s[6:7]
	s_cbranch_execz .LBB3_774
.LBB3_2824:
	v_mov_b32_e32 v21, 0
	v_cmp_ne_u16_sdwa s[8:9], v10, v21 src0_sel:BYTE_0 src1_sel:DWORD
	s_andn2_b64 s[4:5], s[4:5], exec
	s_and_b64 s[8:9], s[8:9], exec
	s_or_b64 s[4:5], s[4:5], s[8:9]
	s_or_b64 exec, exec, s[6:7]
	s_and_saveexec_b64 s[6:7], s[4:5]
	s_cbranch_execnz .LBB3_775
	s_branch .LBB3_776
.LBB3_2825:
	s_movk_i32 s4, 0x80
	v_cmp_eq_u16_sdwa s[12:13], v21, s4 src0_sel:BYTE_0 src1_sel:DWORD
	s_mov_b64 s[4:5], -1
                                        ; implicit-def: $sgpr10
	s_and_saveexec_b64 s[8:9], s[12:13]
; %bb.2826:
	s_mov_b32 s10, 0x7f800001
	s_xor_b64 s[4:5], exec, -1
; %bb.2827:
	s_or_b64 exec, exec, s[8:9]
	s_and_b64 s[4:5], s[4:5], exec
	s_or_saveexec_b64 s[6:7], s[6:7]
	v_mov_b32_e32 v20, s10
	s_xor_b64 exec, exec, s[6:7]
	s_cbranch_execz .LBB3_778
.LBB3_2828:
	v_mov_b32_e32 v20, 0
	v_cmp_ne_u16_sdwa s[8:9], v21, v20 src0_sel:BYTE_0 src1_sel:DWORD
	s_andn2_b64 s[4:5], s[4:5], exec
	s_and_b64 s[8:9], s[8:9], exec
	s_or_b64 s[4:5], s[4:5], s[8:9]
	s_or_b64 exec, exec, s[6:7]
	s_and_saveexec_b64 s[6:7], s[4:5]
	s_cbranch_execnz .LBB3_779
	s_branch .LBB3_780
.LBB3_2829:
	s_movk_i32 s4, 0x80
	v_cmp_eq_u16_sdwa s[12:13], v21, s4 src0_sel:BYTE_0 src1_sel:DWORD
	s_mov_b64 s[4:5], -1
                                        ; implicit-def: $sgpr10
	s_and_saveexec_b64 s[8:9], s[12:13]
; %bb.2830:
	s_mov_b32 s10, 0x7f800001
	s_xor_b64 s[4:5], exec, -1
; %bb.2831:
	s_or_b64 exec, exec, s[8:9]
	s_and_b64 s[4:5], s[4:5], exec
	s_or_saveexec_b64 s[6:7], s[6:7]
	v_mov_b32_e32 v22, s10
	s_xor_b64 exec, exec, s[6:7]
	s_cbranch_execz .LBB3_782
.LBB3_2832:
	v_mov_b32_e32 v22, 0
	v_cmp_ne_u16_sdwa s[8:9], v21, v22 src0_sel:BYTE_0 src1_sel:DWORD
	s_andn2_b64 s[4:5], s[4:5], exec
	s_and_b64 s[8:9], s[8:9], exec
	s_or_b64 s[4:5], s[4:5], s[8:9]
	s_or_b64 exec, exec, s[6:7]
	s_and_saveexec_b64 s[6:7], s[4:5]
	s_cbranch_execnz .LBB3_783
	s_branch .LBB3_784
.LBB3_2833:
	s_movk_i32 s4, 0x80
	v_cmp_eq_u16_e32 vcc, s4, v21
	s_mov_b64 s[4:5], -1
                                        ; implicit-def: $sgpr10
	s_and_saveexec_b64 s[8:9], vcc
; %bb.2834:
	s_mov_b32 s10, 0x7f800001
	s_xor_b64 s[4:5], exec, -1
; %bb.2835:
	s_or_b64 exec, exec, s[8:9]
	s_and_b64 s[4:5], s[4:5], exec
                                        ; implicit-def: $vgpr21
	s_or_saveexec_b64 s[6:7], s[6:7]
	v_mov_b32_e32 v20, s10
	s_xor_b64 exec, exec, s[6:7]
	s_cbranch_execz .LBB3_786
.LBB3_2836:
	v_cmp_ne_u16_e32 vcc, 0, v21
	s_andn2_b64 s[4:5], s[4:5], exec
	s_and_b64 s[8:9], vcc, exec
	v_mov_b32_e32 v20, 0
	s_or_b64 s[4:5], s[4:5], s[8:9]
	s_or_b64 exec, exec, s[6:7]
	s_and_saveexec_b64 s[6:7], s[4:5]
	s_cbranch_execnz .LBB3_787
	s_branch .LBB3_788
.LBB3_2837:
	s_movk_i32 s4, 0x80
	v_cmp_eq_u16_e32 vcc, s4, v21
	s_mov_b64 s[4:5], -1
                                        ; implicit-def: $sgpr10
	s_and_saveexec_b64 s[8:9], vcc
; %bb.2838:
	s_mov_b32 s10, 0x7f800001
	s_xor_b64 s[4:5], exec, -1
; %bb.2839:
	s_or_b64 exec, exec, s[8:9]
	s_and_b64 s[4:5], s[4:5], exec
                                        ; implicit-def: $vgpr21
	s_or_saveexec_b64 s[6:7], s[6:7]
	v_mov_b32_e32 v22, s10
	s_xor_b64 exec, exec, s[6:7]
	s_cbranch_execz .LBB3_790
.LBB3_2840:
	v_cmp_ne_u16_e32 vcc, 0, v21
	s_andn2_b64 s[4:5], s[4:5], exec
	s_and_b64 s[8:9], vcc, exec
	v_mov_b32_e32 v22, 0
	s_or_b64 s[4:5], s[4:5], s[8:9]
	s_or_b64 exec, exec, s[6:7]
	s_and_saveexec_b64 s[6:7], s[4:5]
	s_cbranch_execnz .LBB3_791
	s_branch .LBB3_792
.LBB3_2841:
	s_movk_i32 s4, 0x80
	v_cmp_eq_u16_sdwa s[12:13], v14, s4 src0_sel:BYTE_3 src1_sel:DWORD
	s_mov_b64 s[4:5], -1
                                        ; implicit-def: $sgpr10
	s_and_saveexec_b64 s[8:9], s[12:13]
; %bb.2842:
	s_mov_b32 s10, 0x7f800001
	s_xor_b64 s[4:5], exec, -1
; %bb.2843:
	s_or_b64 exec, exec, s[8:9]
	s_and_b64 s[4:5], s[4:5], exec
	s_or_saveexec_b64 s[6:7], s[6:7]
	v_mov_b32_e32 v20, s10
	s_xor_b64 exec, exec, s[6:7]
	s_cbranch_execz .LBB3_794
.LBB3_2844:
	v_mov_b32_e32 v20, 0
	v_cmp_ne_u16_sdwa s[8:9], v14, v20 src0_sel:BYTE_3 src1_sel:DWORD
	s_andn2_b64 s[4:5], s[4:5], exec
	s_and_b64 s[8:9], s[8:9], exec
	s_or_b64 s[4:5], s[4:5], s[8:9]
	s_or_b64 exec, exec, s[6:7]
	s_and_saveexec_b64 s[6:7], s[4:5]
	s_cbranch_execnz .LBB3_795
	s_branch .LBB3_796
.LBB3_2845:
	s_movk_i32 s4, 0x80
	v_cmp_eq_u16_sdwa s[12:13], v10, s4 src0_sel:BYTE_3 src1_sel:DWORD
	s_mov_b64 s[4:5], -1
                                        ; implicit-def: $sgpr10
	s_and_saveexec_b64 s[8:9], s[12:13]
; %bb.2846:
	s_mov_b32 s10, 0x7f800001
	s_xor_b64 s[4:5], exec, -1
; %bb.2847:
	s_or_b64 exec, exec, s[8:9]
	s_and_b64 s[4:5], s[4:5], exec
	s_or_saveexec_b64 s[6:7], s[6:7]
	v_mov_b32_e32 v14, s10
	s_xor_b64 exec, exec, s[6:7]
	s_cbranch_execz .LBB3_798
.LBB3_2848:
	v_mov_b32_e32 v14, 0
	v_cmp_ne_u16_sdwa s[8:9], v10, v14 src0_sel:BYTE_3 src1_sel:DWORD
	s_andn2_b64 s[4:5], s[4:5], exec
	s_and_b64 s[8:9], s[8:9], exec
	s_or_b64 s[4:5], s[4:5], s[8:9]
	s_or_b64 exec, exec, s[6:7]
	s_and_saveexec_b64 s[6:7], s[4:5]
	s_cbranch_execnz .LBB3_799
	s_branch .LBB3_800
.LBB3_2849:
	s_movk_i32 s4, 0x80
	v_cmp_eq_u16_sdwa s[12:13], v15, s4 src0_sel:BYTE_0 src1_sel:DWORD
	s_mov_b64 s[4:5], -1
                                        ; implicit-def: $sgpr10
	s_and_saveexec_b64 s[8:9], s[12:13]
; %bb.2850:
	s_mov_b32 s10, 0x7f800001
	s_xor_b64 s[4:5], exec, -1
; %bb.2851:
	s_or_b64 exec, exec, s[8:9]
	s_and_b64 s[4:5], s[4:5], exec
	s_or_saveexec_b64 s[6:7], s[6:7]
	v_mov_b32_e32 v10, s10
	s_xor_b64 exec, exec, s[6:7]
	s_cbranch_execz .LBB3_802
.LBB3_2852:
	v_mov_b32_e32 v10, 0
	v_cmp_ne_u16_sdwa s[8:9], v15, v10 src0_sel:BYTE_0 src1_sel:DWORD
	s_andn2_b64 s[4:5], s[4:5], exec
	s_and_b64 s[8:9], s[8:9], exec
	s_or_b64 s[4:5], s[4:5], s[8:9]
	s_or_b64 exec, exec, s[6:7]
	s_and_saveexec_b64 s[6:7], s[4:5]
	s_cbranch_execnz .LBB3_803
	s_branch .LBB3_804
.LBB3_2853:
	s_movk_i32 s4, 0x80
	v_cmp_eq_u16_sdwa s[12:13], v11, s4 src0_sel:BYTE_0 src1_sel:DWORD
	s_mov_b64 s[4:5], -1
                                        ; implicit-def: $sgpr10
	s_and_saveexec_b64 s[8:9], s[12:13]
; %bb.2854:
	s_mov_b32 s10, 0x7f800001
	s_xor_b64 s[4:5], exec, -1
; %bb.2855:
	s_or_b64 exec, exec, s[8:9]
	s_and_b64 s[4:5], s[4:5], exec
	s_or_saveexec_b64 s[6:7], s[6:7]
	v_mov_b32_e32 v14, s10
	s_xor_b64 exec, exec, s[6:7]
	s_cbranch_execz .LBB3_806
.LBB3_2856:
	v_mov_b32_e32 v14, 0
	v_cmp_ne_u16_sdwa s[8:9], v11, v14 src0_sel:BYTE_0 src1_sel:DWORD
	s_andn2_b64 s[4:5], s[4:5], exec
	s_and_b64 s[8:9], s[8:9], exec
	s_or_b64 s[4:5], s[4:5], s[8:9]
	s_or_b64 exec, exec, s[6:7]
	s_and_saveexec_b64 s[6:7], s[4:5]
	s_cbranch_execnz .LBB3_807
	s_branch .LBB3_808
.LBB3_2857:
	s_movk_i32 s4, 0x80
	v_cmp_eq_u16_sdwa s[12:13], v14, s4 src0_sel:BYTE_0 src1_sel:DWORD
	s_mov_b64 s[4:5], -1
                                        ; implicit-def: $sgpr10
	s_and_saveexec_b64 s[8:9], s[12:13]
; %bb.2858:
	s_mov_b32 s10, 0x7f800001
	s_xor_b64 s[4:5], exec, -1
; %bb.2859:
	s_or_b64 exec, exec, s[8:9]
	s_and_b64 s[4:5], s[4:5], exec
	s_or_saveexec_b64 s[6:7], s[6:7]
	v_mov_b32_e32 v10, s10
	s_xor_b64 exec, exec, s[6:7]
	s_cbranch_execz .LBB3_810
.LBB3_2860:
	v_mov_b32_e32 v10, 0
	v_cmp_ne_u16_sdwa s[8:9], v14, v10 src0_sel:BYTE_0 src1_sel:DWORD
	s_andn2_b64 s[4:5], s[4:5], exec
	s_and_b64 s[8:9], s[8:9], exec
	s_or_b64 s[4:5], s[4:5], s[8:9]
	s_or_b64 exec, exec, s[6:7]
	s_and_saveexec_b64 s[6:7], s[4:5]
	s_cbranch_execnz .LBB3_811
	s_branch .LBB3_812
.LBB3_2861:
	s_movk_i32 s4, 0x80
	v_cmp_eq_u16_sdwa s[12:13], v14, s4 src0_sel:BYTE_0 src1_sel:DWORD
	s_mov_b64 s[4:5], -1
                                        ; implicit-def: $sgpr10
	s_and_saveexec_b64 s[8:9], s[12:13]
; %bb.2862:
	s_mov_b32 s10, 0x7f800001
	s_xor_b64 s[4:5], exec, -1
; %bb.2863:
	s_or_b64 exec, exec, s[8:9]
	s_and_b64 s[4:5], s[4:5], exec
	s_or_saveexec_b64 s[6:7], s[6:7]
	v_mov_b32_e32 v20, s10
	s_xor_b64 exec, exec, s[6:7]
	s_cbranch_execz .LBB3_814
.LBB3_2864:
	v_mov_b32_e32 v20, 0
	v_cmp_ne_u16_sdwa s[8:9], v14, v20 src0_sel:BYTE_0 src1_sel:DWORD
	s_andn2_b64 s[4:5], s[4:5], exec
	s_and_b64 s[8:9], s[8:9], exec
	s_or_b64 s[4:5], s[4:5], s[8:9]
	s_or_b64 exec, exec, s[6:7]
	s_and_saveexec_b64 s[6:7], s[4:5]
	s_cbranch_execnz .LBB3_815
	s_branch .LBB3_816
.LBB3_2865:
	s_movk_i32 s4, 0x80
	v_cmp_eq_u16_e32 vcc, s4, v14
	s_mov_b64 s[4:5], -1
                                        ; implicit-def: $sgpr10
	s_and_saveexec_b64 s[8:9], vcc
; %bb.2866:
	s_mov_b32 s10, 0x7f800001
	s_xor_b64 s[4:5], exec, -1
; %bb.2867:
	s_or_b64 exec, exec, s[8:9]
	s_and_b64 s[4:5], s[4:5], exec
                                        ; implicit-def: $vgpr14
	s_or_saveexec_b64 s[6:7], s[6:7]
	v_mov_b32_e32 v10, s10
	s_xor_b64 exec, exec, s[6:7]
	s_cbranch_execz .LBB3_818
.LBB3_2868:
	v_cmp_ne_u16_e32 vcc, 0, v14
	s_andn2_b64 s[4:5], s[4:5], exec
	s_and_b64 s[8:9], vcc, exec
	v_mov_b32_e32 v10, 0
	s_or_b64 s[4:5], s[4:5], s[8:9]
	s_or_b64 exec, exec, s[6:7]
	s_and_saveexec_b64 s[6:7], s[4:5]
	s_cbranch_execnz .LBB3_819
	s_branch .LBB3_820
.LBB3_2869:
	s_movk_i32 s4, 0x80
	v_cmp_eq_u16_e32 vcc, s4, v14
	s_mov_b64 s[4:5], -1
                                        ; implicit-def: $sgpr10
	s_and_saveexec_b64 s[8:9], vcc
; %bb.2870:
	s_mov_b32 s10, 0x7f800001
	s_xor_b64 s[4:5], exec, -1
; %bb.2871:
	s_or_b64 exec, exec, s[8:9]
	s_and_b64 s[4:5], s[4:5], exec
                                        ; implicit-def: $vgpr14
	s_or_saveexec_b64 s[6:7], s[6:7]
	v_mov_b32_e32 v20, s10
	s_xor_b64 exec, exec, s[6:7]
	s_cbranch_execz .LBB3_822
.LBB3_2872:
	v_cmp_ne_u16_e32 vcc, 0, v14
	s_andn2_b64 s[4:5], s[4:5], exec
	s_and_b64 s[8:9], vcc, exec
	v_mov_b32_e32 v20, 0
	s_or_b64 s[4:5], s[4:5], s[8:9]
	s_or_b64 exec, exec, s[6:7]
	s_and_saveexec_b64 s[6:7], s[4:5]
	s_cbranch_execnz .LBB3_823
	s_branch .LBB3_824
.LBB3_2873:
	s_movk_i32 s4, 0x80
	v_cmp_eq_u16_sdwa s[12:13], v15, s4 src0_sel:BYTE_3 src1_sel:DWORD
	s_mov_b64 s[4:5], -1
                                        ; implicit-def: $sgpr10
	s_and_saveexec_b64 s[8:9], s[12:13]
; %bb.2874:
	s_mov_b32 s10, 0x7f800001
	s_xor_b64 s[4:5], exec, -1
; %bb.2875:
	s_or_b64 exec, exec, s[8:9]
	s_and_b64 s[4:5], s[4:5], exec
	s_or_saveexec_b64 s[6:7], s[6:7]
	v_mov_b32_e32 v10, s10
	s_xor_b64 exec, exec, s[6:7]
	s_cbranch_execz .LBB3_826
.LBB3_2876:
	v_mov_b32_e32 v10, 0
	v_cmp_ne_u16_sdwa s[8:9], v15, v10 src0_sel:BYTE_3 src1_sel:DWORD
	s_andn2_b64 s[4:5], s[4:5], exec
	s_and_b64 s[8:9], s[8:9], exec
	s_or_b64 s[4:5], s[4:5], s[8:9]
	s_or_b64 exec, exec, s[6:7]
	s_and_saveexec_b64 s[6:7], s[4:5]
	s_cbranch_execnz .LBB3_827
	s_branch .LBB3_828
.LBB3_2877:
	s_movk_i32 s4, 0x80
	v_cmp_eq_u16_sdwa s[12:13], v11, s4 src0_sel:BYTE_3 src1_sel:DWORD
	s_mov_b64 s[4:5], -1
                                        ; implicit-def: $sgpr10
	s_and_saveexec_b64 s[8:9], s[12:13]
; %bb.2878:
	s_mov_b32 s10, 0x7f800001
	s_xor_b64 s[4:5], exec, -1
; %bb.2879:
	s_or_b64 exec, exec, s[8:9]
	s_and_b64 s[4:5], s[4:5], exec
	s_or_saveexec_b64 s[6:7], s[6:7]
	v_mov_b32_e32 v14, s10
	s_xor_b64 exec, exec, s[6:7]
	s_cbranch_execz .LBB3_830
.LBB3_2880:
	v_mov_b32_e32 v14, 0
	v_cmp_ne_u16_sdwa s[8:9], v11, v14 src0_sel:BYTE_3 src1_sel:DWORD
	s_andn2_b64 s[4:5], s[4:5], exec
	s_and_b64 s[8:9], s[8:9], exec
	s_or_b64 s[4:5], s[4:5], s[8:9]
	s_or_b64 exec, exec, s[6:7]
	s_and_saveexec_b64 s[6:7], s[4:5]
	s_cbranch_execnz .LBB3_831
	s_branch .LBB3_832
.LBB3_2881:
	s_movk_i32 s4, 0x80
	v_cmp_eq_u16_sdwa s[12:13], v16, s4 src0_sel:BYTE_0 src1_sel:DWORD
	s_mov_b64 s[4:5], -1
                                        ; implicit-def: $sgpr10
	s_and_saveexec_b64 s[8:9], s[12:13]
; %bb.2882:
	s_mov_b32 s10, 0x7f800001
	s_xor_b64 s[4:5], exec, -1
; %bb.2883:
	s_or_b64 exec, exec, s[8:9]
	s_and_b64 s[4:5], s[4:5], exec
	s_or_saveexec_b64 s[6:7], s[6:7]
	v_mov_b32_e32 v10, s10
	s_xor_b64 exec, exec, s[6:7]
	s_cbranch_execz .LBB3_834
.LBB3_2884:
	v_mov_b32_e32 v10, 0
	v_cmp_ne_u16_sdwa s[8:9], v16, v10 src0_sel:BYTE_0 src1_sel:DWORD
	s_andn2_b64 s[4:5], s[4:5], exec
	s_and_b64 s[8:9], s[8:9], exec
	s_or_b64 s[4:5], s[4:5], s[8:9]
	s_or_b64 exec, exec, s[6:7]
	s_and_saveexec_b64 s[6:7], s[4:5]
	s_cbranch_execnz .LBB3_835
	s_branch .LBB3_836
.LBB3_2885:
	s_movk_i32 s4, 0x80
	v_cmp_eq_u16_sdwa s[12:13], v12, s4 src0_sel:BYTE_0 src1_sel:DWORD
	s_mov_b64 s[4:5], -1
                                        ; implicit-def: $sgpr10
	s_and_saveexec_b64 s[8:9], s[12:13]
; %bb.2886:
	s_mov_b32 s10, 0x7f800001
	s_xor_b64 s[4:5], exec, -1
; %bb.2887:
	s_or_b64 exec, exec, s[8:9]
	s_and_b64 s[4:5], s[4:5], exec
	s_or_saveexec_b64 s[6:7], s[6:7]
	v_mov_b32_e32 v11, s10
	s_xor_b64 exec, exec, s[6:7]
	s_cbranch_execz .LBB3_838
.LBB3_2888:
	v_mov_b32_e32 v11, 0
	v_cmp_ne_u16_sdwa s[8:9], v12, v11 src0_sel:BYTE_0 src1_sel:DWORD
	s_andn2_b64 s[4:5], s[4:5], exec
	s_and_b64 s[8:9], s[8:9], exec
	s_or_b64 s[4:5], s[4:5], s[8:9]
	s_or_b64 exec, exec, s[6:7]
	s_and_saveexec_b64 s[6:7], s[4:5]
	s_cbranch_execnz .LBB3_839
	s_branch .LBB3_840
.LBB3_2889:
	s_movk_i32 s4, 0x80
	v_cmp_eq_u16_sdwa s[12:13], v11, s4 src0_sel:BYTE_0 src1_sel:DWORD
	s_mov_b64 s[4:5], -1
                                        ; implicit-def: $sgpr10
	s_and_saveexec_b64 s[8:9], s[12:13]
; %bb.2890:
	s_mov_b32 s10, 0x7f800001
	s_xor_b64 s[4:5], exec, -1
; %bb.2891:
	s_or_b64 exec, exec, s[8:9]
	s_and_b64 s[4:5], s[4:5], exec
	s_or_saveexec_b64 s[6:7], s[6:7]
	v_mov_b32_e32 v10, s10
	s_xor_b64 exec, exec, s[6:7]
	s_cbranch_execz .LBB3_842
.LBB3_2892:
	v_mov_b32_e32 v10, 0
	v_cmp_ne_u16_sdwa s[8:9], v11, v10 src0_sel:BYTE_0 src1_sel:DWORD
	s_andn2_b64 s[4:5], s[4:5], exec
	s_and_b64 s[8:9], s[8:9], exec
	s_or_b64 s[4:5], s[4:5], s[8:9]
	s_or_b64 exec, exec, s[6:7]
	s_and_saveexec_b64 s[6:7], s[4:5]
	s_cbranch_execnz .LBB3_843
	s_branch .LBB3_844
.LBB3_2893:
	s_movk_i32 s4, 0x80
	v_cmp_eq_u16_sdwa s[12:13], v11, s4 src0_sel:BYTE_0 src1_sel:DWORD
	s_mov_b64 s[4:5], -1
                                        ; implicit-def: $sgpr10
	s_and_saveexec_b64 s[8:9], s[12:13]
; %bb.2894:
	s_mov_b32 s10, 0x7f800001
	s_xor_b64 s[4:5], exec, -1
; %bb.2895:
	s_or_b64 exec, exec, s[8:9]
	s_and_b64 s[4:5], s[4:5], exec
	s_or_saveexec_b64 s[6:7], s[6:7]
	v_mov_b32_e32 v14, s10
	s_xor_b64 exec, exec, s[6:7]
	s_cbranch_execz .LBB3_846
.LBB3_2896:
	v_mov_b32_e32 v14, 0
	v_cmp_ne_u16_sdwa s[8:9], v11, v14 src0_sel:BYTE_0 src1_sel:DWORD
	s_andn2_b64 s[4:5], s[4:5], exec
	s_and_b64 s[8:9], s[8:9], exec
	s_or_b64 s[4:5], s[4:5], s[8:9]
	s_or_b64 exec, exec, s[6:7]
	s_and_saveexec_b64 s[6:7], s[4:5]
	s_cbranch_execnz .LBB3_847
	s_branch .LBB3_848
.LBB3_2897:
	s_movk_i32 s4, 0x80
	v_cmp_eq_u16_e32 vcc, s4, v11
	s_mov_b64 s[4:5], -1
                                        ; implicit-def: $sgpr10
	s_and_saveexec_b64 s[8:9], vcc
; %bb.2898:
	s_mov_b32 s10, 0x7f800001
	s_xor_b64 s[4:5], exec, -1
; %bb.2899:
	s_or_b64 exec, exec, s[8:9]
	s_and_b64 s[4:5], s[4:5], exec
                                        ; implicit-def: $vgpr11
	s_or_saveexec_b64 s[6:7], s[6:7]
	v_mov_b32_e32 v10, s10
	s_xor_b64 exec, exec, s[6:7]
	s_cbranch_execz .LBB3_850
.LBB3_2900:
	v_cmp_ne_u16_e32 vcc, 0, v11
	s_andn2_b64 s[4:5], s[4:5], exec
	s_and_b64 s[8:9], vcc, exec
	v_mov_b32_e32 v10, 0
	s_or_b64 s[4:5], s[4:5], s[8:9]
	s_or_b64 exec, exec, s[6:7]
	s_and_saveexec_b64 s[6:7], s[4:5]
	s_cbranch_execnz .LBB3_851
	s_branch .LBB3_852
.LBB3_2901:
	s_movk_i32 s4, 0x80
	v_cmp_eq_u16_e32 vcc, s4, v11
	s_mov_b64 s[4:5], -1
                                        ; implicit-def: $sgpr10
	s_and_saveexec_b64 s[8:9], vcc
; %bb.2902:
	s_mov_b32 s10, 0x7f800001
	s_xor_b64 s[4:5], exec, -1
; %bb.2903:
	s_or_b64 exec, exec, s[8:9]
	s_and_b64 s[4:5], s[4:5], exec
                                        ; implicit-def: $vgpr11
	s_or_saveexec_b64 s[6:7], s[6:7]
	v_mov_b32_e32 v14, s10
	s_xor_b64 exec, exec, s[6:7]
	s_cbranch_execz .LBB3_854
.LBB3_2904:
	v_cmp_ne_u16_e32 vcc, 0, v11
	s_andn2_b64 s[4:5], s[4:5], exec
	s_and_b64 s[8:9], vcc, exec
	v_mov_b32_e32 v14, 0
	s_or_b64 s[4:5], s[4:5], s[8:9]
	s_or_b64 exec, exec, s[6:7]
	s_and_saveexec_b64 s[6:7], s[4:5]
	s_cbranch_execnz .LBB3_855
	s_branch .LBB3_856
.LBB3_2905:
	s_movk_i32 s4, 0x80
	v_cmp_eq_u16_sdwa s[12:13], v16, s4 src0_sel:BYTE_3 src1_sel:DWORD
	s_mov_b64 s[4:5], -1
                                        ; implicit-def: $sgpr10
	s_and_saveexec_b64 s[8:9], s[12:13]
; %bb.2906:
	s_mov_b32 s10, 0x7f800001
	s_xor_b64 s[4:5], exec, -1
; %bb.2907:
	s_or_b64 exec, exec, s[8:9]
	s_and_b64 s[4:5], s[4:5], exec
	s_or_saveexec_b64 s[6:7], s[6:7]
	v_mov_b32_e32 v10, s10
	s_xor_b64 exec, exec, s[6:7]
	s_cbranch_execz .LBB3_858
.LBB3_2908:
	v_mov_b32_e32 v10, 0
	v_cmp_ne_u16_sdwa s[8:9], v16, v10 src0_sel:BYTE_3 src1_sel:DWORD
	s_andn2_b64 s[4:5], s[4:5], exec
	s_and_b64 s[8:9], s[8:9], exec
	s_or_b64 s[4:5], s[4:5], s[8:9]
	s_or_b64 exec, exec, s[6:7]
	s_and_saveexec_b64 s[6:7], s[4:5]
	s_cbranch_execnz .LBB3_859
	s_branch .LBB3_860
.LBB3_2909:
	s_movk_i32 s4, 0x80
	v_cmp_eq_u16_sdwa s[12:13], v12, s4 src0_sel:BYTE_3 src1_sel:DWORD
	s_mov_b64 s[4:5], -1
                                        ; implicit-def: $sgpr10
	s_and_saveexec_b64 s[8:9], s[12:13]
; %bb.2910:
	s_mov_b32 s10, 0x7f800001
	s_xor_b64 s[4:5], exec, -1
; %bb.2911:
	s_or_b64 exec, exec, s[8:9]
	s_and_b64 s[4:5], s[4:5], exec
	s_or_saveexec_b64 s[6:7], s[6:7]
	v_mov_b32_e32 v11, s10
	s_xor_b64 exec, exec, s[6:7]
	s_cbranch_execz .LBB3_862
.LBB3_2912:
	v_mov_b32_e32 v11, 0
	v_cmp_ne_u16_sdwa s[8:9], v12, v11 src0_sel:BYTE_3 src1_sel:DWORD
	s_andn2_b64 s[4:5], s[4:5], exec
	s_and_b64 s[8:9], s[8:9], exec
	s_or_b64 s[4:5], s[4:5], s[8:9]
	s_or_b64 exec, exec, s[6:7]
	s_and_saveexec_b64 s[6:7], s[4:5]
	s_cbranch_execnz .LBB3_863
	s_branch .LBB3_864
.LBB3_2913:
	s_movk_i32 s4, 0x80
	v_cmp_eq_u16_sdwa s[12:13], v17, s4 src0_sel:BYTE_0 src1_sel:DWORD
	s_mov_b64 s[4:5], -1
                                        ; implicit-def: $sgpr10
	s_and_saveexec_b64 s[8:9], s[12:13]
; %bb.2914:
	s_mov_b32 s10, 0x7f800001
	s_xor_b64 s[4:5], exec, -1
; %bb.2915:
	s_or_b64 exec, exec, s[8:9]
	s_and_b64 s[4:5], s[4:5], exec
	s_or_saveexec_b64 s[6:7], s[6:7]
	v_mov_b32_e32 v10, s10
	s_xor_b64 exec, exec, s[6:7]
	s_cbranch_execz .LBB3_866
.LBB3_2916:
	v_mov_b32_e32 v10, 0
	v_cmp_ne_u16_sdwa s[8:9], v17, v10 src0_sel:BYTE_0 src1_sel:DWORD
	s_andn2_b64 s[4:5], s[4:5], exec
	s_and_b64 s[8:9], s[8:9], exec
	s_or_b64 s[4:5], s[4:5], s[8:9]
	s_or_b64 exec, exec, s[6:7]
	s_and_saveexec_b64 s[6:7], s[4:5]
	s_cbranch_execnz .LBB3_867
	s_branch .LBB3_868
.LBB3_2917:
	s_movk_i32 s4, 0x80
	v_cmp_eq_u16_sdwa s[12:13], v13, s4 src0_sel:BYTE_0 src1_sel:DWORD
	s_mov_b64 s[4:5], -1
                                        ; implicit-def: $sgpr10
	s_and_saveexec_b64 s[8:9], s[12:13]
; %bb.2918:
	s_mov_b32 s10, 0x7f800001
	s_xor_b64 s[4:5], exec, -1
; %bb.2919:
	s_or_b64 exec, exec, s[8:9]
	s_and_b64 s[4:5], s[4:5], exec
	s_or_saveexec_b64 s[6:7], s[6:7]
	v_mov_b32_e32 v11, s10
	s_xor_b64 exec, exec, s[6:7]
	s_cbranch_execz .LBB3_870
.LBB3_2920:
	v_mov_b32_e32 v11, 0
	v_cmp_ne_u16_sdwa s[8:9], v13, v11 src0_sel:BYTE_0 src1_sel:DWORD
	s_andn2_b64 s[4:5], s[4:5], exec
	s_and_b64 s[8:9], s[8:9], exec
	s_or_b64 s[4:5], s[4:5], s[8:9]
	s_or_b64 exec, exec, s[6:7]
	s_and_saveexec_b64 s[6:7], s[4:5]
	s_cbranch_execnz .LBB3_871
	s_branch .LBB3_872
.LBB3_2921:
	s_movk_i32 s4, 0x80
	v_cmp_eq_u16_sdwa s[12:13], v11, s4 src0_sel:BYTE_0 src1_sel:DWORD
	s_mov_b64 s[4:5], -1
                                        ; implicit-def: $sgpr10
	s_and_saveexec_b64 s[8:9], s[12:13]
; %bb.2922:
	s_mov_b32 s10, 0x7f800001
	s_xor_b64 s[4:5], exec, -1
; %bb.2923:
	s_or_b64 exec, exec, s[8:9]
	s_and_b64 s[4:5], s[4:5], exec
	s_or_saveexec_b64 s[6:7], s[6:7]
	v_mov_b32_e32 v10, s10
	s_xor_b64 exec, exec, s[6:7]
	s_cbranch_execz .LBB3_874
.LBB3_2924:
	v_mov_b32_e32 v10, 0
	v_cmp_ne_u16_sdwa s[8:9], v11, v10 src0_sel:BYTE_0 src1_sel:DWORD
	s_andn2_b64 s[4:5], s[4:5], exec
	s_and_b64 s[8:9], s[8:9], exec
	s_or_b64 s[4:5], s[4:5], s[8:9]
	s_or_b64 exec, exec, s[6:7]
	s_and_saveexec_b64 s[6:7], s[4:5]
	s_cbranch_execnz .LBB3_875
	s_branch .LBB3_876
.LBB3_2925:
	s_movk_i32 s4, 0x80
	v_cmp_eq_u16_sdwa s[12:13], v11, s4 src0_sel:BYTE_0 src1_sel:DWORD
	s_mov_b64 s[4:5], -1
                                        ; implicit-def: $sgpr10
	s_and_saveexec_b64 s[8:9], s[12:13]
; %bb.2926:
	s_mov_b32 s10, 0x7f800001
	s_xor_b64 s[4:5], exec, -1
; %bb.2927:
	s_or_b64 exec, exec, s[8:9]
	s_and_b64 s[4:5], s[4:5], exec
	s_or_saveexec_b64 s[6:7], s[6:7]
	v_mov_b32_e32 v12, s10
	s_xor_b64 exec, exec, s[6:7]
	s_cbranch_execz .LBB3_878
.LBB3_2928:
	v_mov_b32_e32 v12, 0
	v_cmp_ne_u16_sdwa s[8:9], v11, v12 src0_sel:BYTE_0 src1_sel:DWORD
	s_andn2_b64 s[4:5], s[4:5], exec
	s_and_b64 s[8:9], s[8:9], exec
	s_or_b64 s[4:5], s[4:5], s[8:9]
	s_or_b64 exec, exec, s[6:7]
	s_and_saveexec_b64 s[6:7], s[4:5]
	s_cbranch_execnz .LBB3_879
	s_branch .LBB3_880
.LBB3_2929:
	s_movk_i32 s4, 0x80
	v_cmp_eq_u16_e32 vcc, s4, v11
	s_mov_b64 s[4:5], -1
                                        ; implicit-def: $sgpr10
	s_and_saveexec_b64 s[8:9], vcc
; %bb.2930:
	s_mov_b32 s10, 0x7f800001
	s_xor_b64 s[4:5], exec, -1
; %bb.2931:
	s_or_b64 exec, exec, s[8:9]
	s_and_b64 s[4:5], s[4:5], exec
                                        ; implicit-def: $vgpr11
	s_or_saveexec_b64 s[6:7], s[6:7]
	v_mov_b32_e32 v10, s10
	s_xor_b64 exec, exec, s[6:7]
	s_cbranch_execz .LBB3_882
.LBB3_2932:
	v_cmp_ne_u16_e32 vcc, 0, v11
	s_andn2_b64 s[4:5], s[4:5], exec
	s_and_b64 s[8:9], vcc, exec
	v_mov_b32_e32 v10, 0
	s_or_b64 s[4:5], s[4:5], s[8:9]
	s_or_b64 exec, exec, s[6:7]
	s_and_saveexec_b64 s[6:7], s[4:5]
	s_cbranch_execnz .LBB3_883
	s_branch .LBB3_884
.LBB3_2933:
	s_movk_i32 s4, 0x80
	v_cmp_eq_u16_e32 vcc, s4, v11
	s_mov_b64 s[4:5], -1
                                        ; implicit-def: $sgpr10
	s_and_saveexec_b64 s[8:9], vcc
; %bb.2934:
	s_mov_b32 s10, 0x7f800001
	s_xor_b64 s[4:5], exec, -1
; %bb.2935:
	s_or_b64 exec, exec, s[8:9]
	s_and_b64 s[4:5], s[4:5], exec
                                        ; implicit-def: $vgpr11
	s_or_saveexec_b64 s[6:7], s[6:7]
	v_mov_b32_e32 v12, s10
	s_xor_b64 exec, exec, s[6:7]
	s_cbranch_execz .LBB3_886
.LBB3_2936:
	v_cmp_ne_u16_e32 vcc, 0, v11
	s_andn2_b64 s[4:5], s[4:5], exec
	s_and_b64 s[8:9], vcc, exec
	v_mov_b32_e32 v12, 0
	s_or_b64 s[4:5], s[4:5], s[8:9]
	s_or_b64 exec, exec, s[6:7]
	s_and_saveexec_b64 s[6:7], s[4:5]
	s_cbranch_execnz .LBB3_887
	s_branch .LBB3_888
.LBB3_2937:
	s_movk_i32 s4, 0x80
	v_cmp_eq_u16_sdwa s[12:13], v17, s4 src0_sel:BYTE_3 src1_sel:DWORD
	s_mov_b64 s[4:5], -1
                                        ; implicit-def: $sgpr10
	s_and_saveexec_b64 s[8:9], s[12:13]
; %bb.2938:
	s_mov_b32 s10, 0x7f800001
	s_xor_b64 s[4:5], exec, -1
; %bb.2939:
	s_or_b64 exec, exec, s[8:9]
	s_and_b64 s[4:5], s[4:5], exec
	s_or_saveexec_b64 s[6:7], s[6:7]
	v_mov_b32_e32 v10, s10
	s_xor_b64 exec, exec, s[6:7]
	s_cbranch_execz .LBB3_890
.LBB3_2940:
	v_mov_b32_e32 v10, 0
	v_cmp_ne_u16_sdwa s[8:9], v17, v10 src0_sel:BYTE_3 src1_sel:DWORD
	s_andn2_b64 s[4:5], s[4:5], exec
	s_and_b64 s[8:9], s[8:9], exec
	s_or_b64 s[4:5], s[4:5], s[8:9]
	s_or_b64 exec, exec, s[6:7]
	s_and_saveexec_b64 s[6:7], s[4:5]
	s_cbranch_execnz .LBB3_891
	s_branch .LBB3_892
.LBB3_2941:
	s_movk_i32 s4, 0x80
	v_cmp_eq_u16_sdwa s[12:13], v13, s4 src0_sel:BYTE_3 src1_sel:DWORD
	s_mov_b64 s[4:5], -1
                                        ; implicit-def: $sgpr10
	s_and_saveexec_b64 s[8:9], s[12:13]
; %bb.2942:
	s_mov_b32 s10, 0x7f800001
	s_xor_b64 s[4:5], exec, -1
; %bb.2943:
	s_or_b64 exec, exec, s[8:9]
	s_and_b64 s[4:5], s[4:5], exec
	s_or_saveexec_b64 s[6:7], s[6:7]
	v_mov_b32_e32 v11, s10
	s_xor_b64 exec, exec, s[6:7]
	s_cbranch_execz .LBB3_894
.LBB3_2944:
	v_mov_b32_e32 v11, 0
	v_cmp_ne_u16_sdwa s[8:9], v13, v11 src0_sel:BYTE_3 src1_sel:DWORD
	s_andn2_b64 s[4:5], s[4:5], exec
	s_and_b64 s[8:9], s[8:9], exec
	s_or_b64 s[4:5], s[4:5], s[8:9]
	s_or_b64 exec, exec, s[6:7]
	s_and_saveexec_b64 s[6:7], s[4:5]
	s_cbranch_execnz .LBB3_895
	s_branch .LBB3_896
.LBB3_2945:
	s_movk_i32 s4, 0x80
	v_cmp_eq_u16_sdwa s[12:13], v6, s4 src0_sel:BYTE_0 src1_sel:DWORD
	s_mov_b64 s[4:5], -1
                                        ; implicit-def: $sgpr10
	s_and_saveexec_b64 s[8:9], s[12:13]
; %bb.2946:
	s_mov_b32 s10, 0x7f800001
	s_xor_b64 s[4:5], exec, -1
; %bb.2947:
	s_or_b64 exec, exec, s[8:9]
	s_and_b64 s[4:5], s[4:5], exec
	s_or_saveexec_b64 s[6:7], s[6:7]
	v_mov_b32_e32 v10, s10
	s_xor_b64 exec, exec, s[6:7]
	s_cbranch_execz .LBB3_898
.LBB3_2948:
	v_mov_b32_e32 v10, 0
	v_cmp_ne_u16_sdwa s[8:9], v6, v10 src0_sel:BYTE_0 src1_sel:DWORD
	s_andn2_b64 s[4:5], s[4:5], exec
	s_and_b64 s[8:9], s[8:9], exec
	s_or_b64 s[4:5], s[4:5], s[8:9]
	s_or_b64 exec, exec, s[6:7]
	s_and_saveexec_b64 s[6:7], s[4:5]
	s_cbranch_execnz .LBB3_899
	s_branch .LBB3_900
.LBB3_2949:
	s_movk_i32 s4, 0x80
	v_cmp_eq_u16_sdwa s[12:13], v2, s4 src0_sel:BYTE_0 src1_sel:DWORD
	s_mov_b64 s[4:5], -1
                                        ; implicit-def: $sgpr10
	s_and_saveexec_b64 s[8:9], s[12:13]
; %bb.2950:
	s_mov_b32 s10, 0x7f800001
	s_xor_b64 s[4:5], exec, -1
; %bb.2951:
	s_or_b64 exec, exec, s[8:9]
	s_and_b64 s[4:5], s[4:5], exec
	s_or_saveexec_b64 s[6:7], s[6:7]
	v_mov_b32_e32 v11, s10
	s_xor_b64 exec, exec, s[6:7]
	s_cbranch_execz .LBB3_902
.LBB3_2952:
	v_mov_b32_e32 v11, 0
	v_cmp_ne_u16_sdwa s[8:9], v2, v11 src0_sel:BYTE_0 src1_sel:DWORD
	s_andn2_b64 s[4:5], s[4:5], exec
	s_and_b64 s[8:9], s[8:9], exec
	s_or_b64 s[4:5], s[4:5], s[8:9]
	s_or_b64 exec, exec, s[6:7]
	s_and_saveexec_b64 s[6:7], s[4:5]
	s_cbranch_execnz .LBB3_903
	s_branch .LBB3_904
.LBB3_2953:
	s_movk_i32 s4, 0x80
	v_cmp_eq_u16_sdwa s[12:13], v11, s4 src0_sel:BYTE_0 src1_sel:DWORD
	s_mov_b64 s[4:5], -1
                                        ; implicit-def: $sgpr10
	s_and_saveexec_b64 s[8:9], s[12:13]
; %bb.2954:
	s_mov_b32 s10, 0x7f800001
	s_xor_b64 s[4:5], exec, -1
; %bb.2955:
	s_or_b64 exec, exec, s[8:9]
	s_and_b64 s[4:5], s[4:5], exec
	s_or_saveexec_b64 s[6:7], s[6:7]
	v_mov_b32_e32 v10, s10
	s_xor_b64 exec, exec, s[6:7]
	s_cbranch_execz .LBB3_906
.LBB3_2956:
	v_mov_b32_e32 v10, 0
	v_cmp_ne_u16_sdwa s[8:9], v11, v10 src0_sel:BYTE_0 src1_sel:DWORD
	s_andn2_b64 s[4:5], s[4:5], exec
	s_and_b64 s[8:9], s[8:9], exec
	s_or_b64 s[4:5], s[4:5], s[8:9]
	s_or_b64 exec, exec, s[6:7]
	s_and_saveexec_b64 s[6:7], s[4:5]
	s_cbranch_execnz .LBB3_907
	s_branch .LBB3_908
.LBB3_2957:
	s_movk_i32 s4, 0x80
	v_cmp_eq_u16_sdwa s[12:13], v11, s4 src0_sel:BYTE_0 src1_sel:DWORD
	s_mov_b64 s[4:5], -1
                                        ; implicit-def: $sgpr10
	s_and_saveexec_b64 s[8:9], s[12:13]
; %bb.2958:
	s_mov_b32 s10, 0x7f800001
	s_xor_b64 s[4:5], exec, -1
; %bb.2959:
	s_or_b64 exec, exec, s[8:9]
	s_and_b64 s[4:5], s[4:5], exec
	s_or_saveexec_b64 s[6:7], s[6:7]
	v_mov_b32_e32 v12, s10
	s_xor_b64 exec, exec, s[6:7]
	s_cbranch_execz .LBB3_910
.LBB3_2960:
	v_mov_b32_e32 v12, 0
	v_cmp_ne_u16_sdwa s[8:9], v11, v12 src0_sel:BYTE_0 src1_sel:DWORD
	s_andn2_b64 s[4:5], s[4:5], exec
	s_and_b64 s[8:9], s[8:9], exec
	s_or_b64 s[4:5], s[4:5], s[8:9]
	s_or_b64 exec, exec, s[6:7]
	s_and_saveexec_b64 s[6:7], s[4:5]
	s_cbranch_execnz .LBB3_911
	s_branch .LBB3_912
.LBB3_2961:
	s_movk_i32 s4, 0x80
	v_cmp_eq_u16_e32 vcc, s4, v11
	s_mov_b64 s[4:5], -1
                                        ; implicit-def: $sgpr10
	s_and_saveexec_b64 s[8:9], vcc
; %bb.2962:
	s_mov_b32 s10, 0x7f800001
	s_xor_b64 s[4:5], exec, -1
; %bb.2963:
	s_or_b64 exec, exec, s[8:9]
	s_and_b64 s[4:5], s[4:5], exec
                                        ; implicit-def: $vgpr11
	s_or_saveexec_b64 s[6:7], s[6:7]
	v_mov_b32_e32 v10, s10
	s_xor_b64 exec, exec, s[6:7]
	s_cbranch_execz .LBB3_914
.LBB3_2964:
	v_cmp_ne_u16_e32 vcc, 0, v11
	s_andn2_b64 s[4:5], s[4:5], exec
	s_and_b64 s[8:9], vcc, exec
	v_mov_b32_e32 v10, 0
	s_or_b64 s[4:5], s[4:5], s[8:9]
	s_or_b64 exec, exec, s[6:7]
	s_and_saveexec_b64 s[6:7], s[4:5]
	s_cbranch_execnz .LBB3_915
	s_branch .LBB3_916
.LBB3_2965:
	s_movk_i32 s4, 0x80
	v_cmp_eq_u16_e32 vcc, s4, v11
	s_mov_b64 s[4:5], -1
                                        ; implicit-def: $sgpr10
	s_and_saveexec_b64 s[8:9], vcc
; %bb.2966:
	s_mov_b32 s10, 0x7f800001
	s_xor_b64 s[4:5], exec, -1
; %bb.2967:
	s_or_b64 exec, exec, s[8:9]
	s_and_b64 s[4:5], s[4:5], exec
                                        ; implicit-def: $vgpr11
	s_or_saveexec_b64 s[6:7], s[6:7]
	v_mov_b32_e32 v12, s10
	s_xor_b64 exec, exec, s[6:7]
	s_cbranch_execz .LBB3_918
.LBB3_2968:
	v_cmp_ne_u16_e32 vcc, 0, v11
	s_andn2_b64 s[4:5], s[4:5], exec
	s_and_b64 s[8:9], vcc, exec
	v_mov_b32_e32 v12, 0
	s_or_b64 s[4:5], s[4:5], s[8:9]
	s_or_b64 exec, exec, s[6:7]
	s_and_saveexec_b64 s[6:7], s[4:5]
	s_cbranch_execnz .LBB3_919
	s_branch .LBB3_920
.LBB3_2969:
	s_movk_i32 s4, 0x80
	v_cmp_eq_u16_sdwa s[12:13], v6, s4 src0_sel:BYTE_3 src1_sel:DWORD
	s_mov_b64 s[4:5], -1
                                        ; implicit-def: $sgpr10
	s_and_saveexec_b64 s[8:9], s[12:13]
; %bb.2970:
	s_mov_b32 s10, 0x7f800001
	s_xor_b64 s[4:5], exec, -1
; %bb.2971:
	s_or_b64 exec, exec, s[8:9]
	s_and_b64 s[4:5], s[4:5], exec
	s_or_saveexec_b64 s[6:7], s[6:7]
	v_mov_b32_e32 v10, s10
	s_xor_b64 exec, exec, s[6:7]
	s_cbranch_execz .LBB3_922
.LBB3_2972:
	v_mov_b32_e32 v10, 0
	v_cmp_ne_u16_sdwa s[8:9], v6, v10 src0_sel:BYTE_3 src1_sel:DWORD
	s_andn2_b64 s[4:5], s[4:5], exec
	s_and_b64 s[8:9], s[8:9], exec
	s_or_b64 s[4:5], s[4:5], s[8:9]
	s_or_b64 exec, exec, s[6:7]
	s_and_saveexec_b64 s[6:7], s[4:5]
	s_cbranch_execnz .LBB3_923
	s_branch .LBB3_924
.LBB3_2973:
	s_movk_i32 s4, 0x80
	v_cmp_eq_u16_sdwa s[12:13], v2, s4 src0_sel:BYTE_3 src1_sel:DWORD
	s_mov_b64 s[4:5], -1
                                        ; implicit-def: $sgpr10
	s_and_saveexec_b64 s[8:9], s[12:13]
; %bb.2974:
	s_mov_b32 s10, 0x7f800001
	s_xor_b64 s[4:5], exec, -1
; %bb.2975:
	s_or_b64 exec, exec, s[8:9]
	s_and_b64 s[4:5], s[4:5], exec
	s_or_saveexec_b64 s[6:7], s[6:7]
	v_mov_b32_e32 v6, s10
	s_xor_b64 exec, exec, s[6:7]
	s_cbranch_execz .LBB3_926
.LBB3_2976:
	v_mov_b32_e32 v6, 0
	v_cmp_ne_u16_sdwa s[8:9], v2, v6 src0_sel:BYTE_3 src1_sel:DWORD
	s_andn2_b64 s[4:5], s[4:5], exec
	s_and_b64 s[8:9], s[8:9], exec
	s_or_b64 s[4:5], s[4:5], s[8:9]
	s_or_b64 exec, exec, s[6:7]
	s_and_saveexec_b64 s[6:7], s[4:5]
	s_cbranch_execnz .LBB3_927
	s_branch .LBB3_928
.LBB3_2977:
	s_movk_i32 s4, 0x80
	v_cmp_eq_u16_sdwa s[12:13], v7, s4 src0_sel:BYTE_0 src1_sel:DWORD
	s_mov_b64 s[4:5], -1
                                        ; implicit-def: $sgpr10
	s_and_saveexec_b64 s[8:9], s[12:13]
; %bb.2978:
	s_mov_b32 s10, 0x7f800001
	s_xor_b64 s[4:5], exec, -1
; %bb.2979:
	s_or_b64 exec, exec, s[8:9]
	s_and_b64 s[4:5], s[4:5], exec
	s_or_saveexec_b64 s[6:7], s[6:7]
	v_mov_b32_e32 v2, s10
	s_xor_b64 exec, exec, s[6:7]
	s_cbranch_execz .LBB3_930
.LBB3_2980:
	v_mov_b32_e32 v2, 0
	v_cmp_ne_u16_sdwa s[8:9], v7, v2 src0_sel:BYTE_0 src1_sel:DWORD
	s_andn2_b64 s[4:5], s[4:5], exec
	s_and_b64 s[8:9], s[8:9], exec
	s_or_b64 s[4:5], s[4:5], s[8:9]
	s_or_b64 exec, exec, s[6:7]
	s_and_saveexec_b64 s[6:7], s[4:5]
	s_cbranch_execnz .LBB3_931
	s_branch .LBB3_932
.LBB3_2981:
	s_movk_i32 s4, 0x80
	v_cmp_eq_u16_sdwa s[12:13], v3, s4 src0_sel:BYTE_0 src1_sel:DWORD
	s_mov_b64 s[4:5], -1
                                        ; implicit-def: $sgpr10
	s_and_saveexec_b64 s[8:9], s[12:13]
; %bb.2982:
	s_mov_b32 s10, 0x7f800001
	s_xor_b64 s[4:5], exec, -1
; %bb.2983:
	s_or_b64 exec, exec, s[8:9]
	s_and_b64 s[4:5], s[4:5], exec
	s_or_saveexec_b64 s[6:7], s[6:7]
	v_mov_b32_e32 v6, s10
	s_xor_b64 exec, exec, s[6:7]
	s_cbranch_execz .LBB3_934
.LBB3_2984:
	v_mov_b32_e32 v6, 0
	v_cmp_ne_u16_sdwa s[8:9], v3, v6 src0_sel:BYTE_0 src1_sel:DWORD
	s_andn2_b64 s[4:5], s[4:5], exec
	s_and_b64 s[8:9], s[8:9], exec
	s_or_b64 s[4:5], s[4:5], s[8:9]
	s_or_b64 exec, exec, s[6:7]
	s_and_saveexec_b64 s[6:7], s[4:5]
	s_cbranch_execnz .LBB3_935
	s_branch .LBB3_936
.LBB3_2985:
	s_movk_i32 s4, 0x80
	v_cmp_eq_u16_sdwa s[12:13], v6, s4 src0_sel:BYTE_0 src1_sel:DWORD
	s_mov_b64 s[4:5], -1
                                        ; implicit-def: $sgpr10
	s_and_saveexec_b64 s[8:9], s[12:13]
; %bb.2986:
	s_mov_b32 s10, 0x7f800001
	s_xor_b64 s[4:5], exec, -1
; %bb.2987:
	s_or_b64 exec, exec, s[8:9]
	s_and_b64 s[4:5], s[4:5], exec
	s_or_saveexec_b64 s[6:7], s[6:7]
	v_mov_b32_e32 v2, s10
	s_xor_b64 exec, exec, s[6:7]
	s_cbranch_execz .LBB3_938
.LBB3_2988:
	v_mov_b32_e32 v2, 0
	v_cmp_ne_u16_sdwa s[8:9], v6, v2 src0_sel:BYTE_0 src1_sel:DWORD
	s_andn2_b64 s[4:5], s[4:5], exec
	s_and_b64 s[8:9], s[8:9], exec
	s_or_b64 s[4:5], s[4:5], s[8:9]
	s_or_b64 exec, exec, s[6:7]
	s_and_saveexec_b64 s[6:7], s[4:5]
	s_cbranch_execnz .LBB3_939
	s_branch .LBB3_940
.LBB3_2989:
	s_movk_i32 s4, 0x80
	v_cmp_eq_u16_sdwa s[12:13], v6, s4 src0_sel:BYTE_0 src1_sel:DWORD
	s_mov_b64 s[4:5], -1
                                        ; implicit-def: $sgpr10
	s_and_saveexec_b64 s[8:9], s[12:13]
; %bb.2990:
	s_mov_b32 s10, 0x7f800001
	s_xor_b64 s[4:5], exec, -1
; %bb.2991:
	s_or_b64 exec, exec, s[8:9]
	s_and_b64 s[4:5], s[4:5], exec
	s_or_saveexec_b64 s[6:7], s[6:7]
	v_mov_b32_e32 v10, s10
	s_xor_b64 exec, exec, s[6:7]
	s_cbranch_execz .LBB3_942
.LBB3_2992:
	v_mov_b32_e32 v10, 0
	v_cmp_ne_u16_sdwa s[8:9], v6, v10 src0_sel:BYTE_0 src1_sel:DWORD
	s_andn2_b64 s[4:5], s[4:5], exec
	s_and_b64 s[8:9], s[8:9], exec
	s_or_b64 s[4:5], s[4:5], s[8:9]
	s_or_b64 exec, exec, s[6:7]
	s_and_saveexec_b64 s[6:7], s[4:5]
	s_cbranch_execnz .LBB3_943
	s_branch .LBB3_944
.LBB3_2993:
	s_movk_i32 s4, 0x80
	v_cmp_eq_u16_e32 vcc, s4, v6
	s_mov_b64 s[4:5], -1
                                        ; implicit-def: $sgpr10
	s_and_saveexec_b64 s[8:9], vcc
; %bb.2994:
	s_mov_b32 s10, 0x7f800001
	s_xor_b64 s[4:5], exec, -1
; %bb.2995:
	s_or_b64 exec, exec, s[8:9]
	s_and_b64 s[4:5], s[4:5], exec
                                        ; implicit-def: $vgpr6
	s_or_saveexec_b64 s[6:7], s[6:7]
	v_mov_b32_e32 v2, s10
	s_xor_b64 exec, exec, s[6:7]
	s_cbranch_execz .LBB3_946
.LBB3_2996:
	v_cmp_ne_u16_e32 vcc, 0, v6
	s_andn2_b64 s[4:5], s[4:5], exec
	s_and_b64 s[8:9], vcc, exec
	v_mov_b32_e32 v2, 0
	s_or_b64 s[4:5], s[4:5], s[8:9]
	s_or_b64 exec, exec, s[6:7]
	s_and_saveexec_b64 s[6:7], s[4:5]
	s_cbranch_execnz .LBB3_947
	s_branch .LBB3_948
.LBB3_2997:
	s_movk_i32 s4, 0x80
	v_cmp_eq_u16_e32 vcc, s4, v6
	s_mov_b64 s[4:5], -1
                                        ; implicit-def: $sgpr10
	s_and_saveexec_b64 s[8:9], vcc
; %bb.2998:
	s_mov_b32 s10, 0x7f800001
	s_xor_b64 s[4:5], exec, -1
; %bb.2999:
	s_or_b64 exec, exec, s[8:9]
	s_and_b64 s[4:5], s[4:5], exec
                                        ; implicit-def: $vgpr6
	s_or_saveexec_b64 s[6:7], s[6:7]
	v_mov_b32_e32 v10, s10
	s_xor_b64 exec, exec, s[6:7]
	s_cbranch_execz .LBB3_950
.LBB3_3000:
	v_cmp_ne_u16_e32 vcc, 0, v6
	s_andn2_b64 s[4:5], s[4:5], exec
	s_and_b64 s[8:9], vcc, exec
	v_mov_b32_e32 v10, 0
	s_or_b64 s[4:5], s[4:5], s[8:9]
	s_or_b64 exec, exec, s[6:7]
	s_and_saveexec_b64 s[6:7], s[4:5]
	s_cbranch_execnz .LBB3_951
	s_branch .LBB3_952
.LBB3_3001:
	s_movk_i32 s4, 0x80
	v_cmp_eq_u16_sdwa s[12:13], v7, s4 src0_sel:BYTE_3 src1_sel:DWORD
	s_mov_b64 s[4:5], -1
                                        ; implicit-def: $sgpr10
	s_and_saveexec_b64 s[8:9], s[12:13]
; %bb.3002:
	s_mov_b32 s10, 0x7f800001
	s_xor_b64 s[4:5], exec, -1
; %bb.3003:
	s_or_b64 exec, exec, s[8:9]
	s_and_b64 s[4:5], s[4:5], exec
	s_or_saveexec_b64 s[6:7], s[6:7]
	v_mov_b32_e32 v2, s10
	s_xor_b64 exec, exec, s[6:7]
	s_cbranch_execz .LBB3_954
.LBB3_3004:
	v_mov_b32_e32 v2, 0
	v_cmp_ne_u16_sdwa s[8:9], v7, v2 src0_sel:BYTE_3 src1_sel:DWORD
	s_andn2_b64 s[4:5], s[4:5], exec
	s_and_b64 s[8:9], s[8:9], exec
	s_or_b64 s[4:5], s[4:5], s[8:9]
	s_or_b64 exec, exec, s[6:7]
	s_and_saveexec_b64 s[6:7], s[4:5]
	s_cbranch_execnz .LBB3_955
	s_branch .LBB3_956
.LBB3_3005:
	s_movk_i32 s4, 0x80
	v_cmp_eq_u16_sdwa s[12:13], v3, s4 src0_sel:BYTE_3 src1_sel:DWORD
	s_mov_b64 s[4:5], -1
                                        ; implicit-def: $sgpr10
	s_and_saveexec_b64 s[8:9], s[12:13]
; %bb.3006:
	s_mov_b32 s10, 0x7f800001
	s_xor_b64 s[4:5], exec, -1
; %bb.3007:
	s_or_b64 exec, exec, s[8:9]
	s_and_b64 s[4:5], s[4:5], exec
	s_or_saveexec_b64 s[6:7], s[6:7]
	v_mov_b32_e32 v6, s10
	s_xor_b64 exec, exec, s[6:7]
	s_cbranch_execz .LBB3_958
.LBB3_3008:
	v_mov_b32_e32 v6, 0
	v_cmp_ne_u16_sdwa s[8:9], v3, v6 src0_sel:BYTE_3 src1_sel:DWORD
	s_andn2_b64 s[4:5], s[4:5], exec
	s_and_b64 s[8:9], s[8:9], exec
	s_or_b64 s[4:5], s[4:5], s[8:9]
	s_or_b64 exec, exec, s[6:7]
	s_and_saveexec_b64 s[6:7], s[4:5]
	s_cbranch_execnz .LBB3_959
	s_branch .LBB3_960
.LBB3_3009:
	s_movk_i32 s4, 0x80
	v_cmp_eq_u16_sdwa s[12:13], v8, s4 src0_sel:BYTE_0 src1_sel:DWORD
	s_mov_b64 s[4:5], -1
                                        ; implicit-def: $sgpr10
	s_and_saveexec_b64 s[8:9], s[12:13]
; %bb.3010:
	s_mov_b32 s10, 0x7f800001
	s_xor_b64 s[4:5], exec, -1
; %bb.3011:
	s_or_b64 exec, exec, s[8:9]
	s_and_b64 s[4:5], s[4:5], exec
	s_or_saveexec_b64 s[6:7], s[6:7]
	v_mov_b32_e32 v2, s10
	s_xor_b64 exec, exec, s[6:7]
	s_cbranch_execz .LBB3_962
.LBB3_3012:
	v_mov_b32_e32 v2, 0
	v_cmp_ne_u16_sdwa s[8:9], v8, v2 src0_sel:BYTE_0 src1_sel:DWORD
	s_andn2_b64 s[4:5], s[4:5], exec
	s_and_b64 s[8:9], s[8:9], exec
	s_or_b64 s[4:5], s[4:5], s[8:9]
	s_or_b64 exec, exec, s[6:7]
	s_and_saveexec_b64 s[6:7], s[4:5]
	s_cbranch_execnz .LBB3_963
	s_branch .LBB3_964
.LBB3_3013:
	s_movk_i32 s4, 0x80
	v_cmp_eq_u16_sdwa s[12:13], v4, s4 src0_sel:BYTE_0 src1_sel:DWORD
	s_mov_b64 s[4:5], -1
                                        ; implicit-def: $sgpr10
	s_and_saveexec_b64 s[8:9], s[12:13]
; %bb.3014:
	s_mov_b32 s10, 0x7f800001
	s_xor_b64 s[4:5], exec, -1
; %bb.3015:
	s_or_b64 exec, exec, s[8:9]
	s_and_b64 s[4:5], s[4:5], exec
	s_or_saveexec_b64 s[6:7], s[6:7]
	v_mov_b32_e32 v3, s10
	s_xor_b64 exec, exec, s[6:7]
	s_cbranch_execz .LBB3_966
.LBB3_3016:
	v_mov_b32_e32 v3, 0
	v_cmp_ne_u16_sdwa s[8:9], v4, v3 src0_sel:BYTE_0 src1_sel:DWORD
	s_andn2_b64 s[4:5], s[4:5], exec
	s_and_b64 s[8:9], s[8:9], exec
	s_or_b64 s[4:5], s[4:5], s[8:9]
	s_or_b64 exec, exec, s[6:7]
	s_and_saveexec_b64 s[6:7], s[4:5]
	s_cbranch_execnz .LBB3_967
	s_branch .LBB3_968
.LBB3_3017:
	s_movk_i32 s4, 0x80
	v_cmp_eq_u16_sdwa s[12:13], v3, s4 src0_sel:BYTE_0 src1_sel:DWORD
	s_mov_b64 s[4:5], -1
                                        ; implicit-def: $sgpr10
	s_and_saveexec_b64 s[8:9], s[12:13]
; %bb.3018:
	s_mov_b32 s10, 0x7f800001
	s_xor_b64 s[4:5], exec, -1
; %bb.3019:
	s_or_b64 exec, exec, s[8:9]
	s_and_b64 s[4:5], s[4:5], exec
	s_or_saveexec_b64 s[6:7], s[6:7]
	v_mov_b32_e32 v2, s10
	s_xor_b64 exec, exec, s[6:7]
	s_cbranch_execz .LBB3_970
.LBB3_3020:
	v_mov_b32_e32 v2, 0
	v_cmp_ne_u16_sdwa s[8:9], v3, v2 src0_sel:BYTE_0 src1_sel:DWORD
	s_andn2_b64 s[4:5], s[4:5], exec
	s_and_b64 s[8:9], s[8:9], exec
	s_or_b64 s[4:5], s[4:5], s[8:9]
	s_or_b64 exec, exec, s[6:7]
	s_and_saveexec_b64 s[6:7], s[4:5]
	s_cbranch_execnz .LBB3_971
	s_branch .LBB3_972
.LBB3_3021:
	s_movk_i32 s4, 0x80
	v_cmp_eq_u16_sdwa s[12:13], v3, s4 src0_sel:BYTE_0 src1_sel:DWORD
	s_mov_b64 s[4:5], -1
                                        ; implicit-def: $sgpr10
	s_and_saveexec_b64 s[8:9], s[12:13]
; %bb.3022:
	s_mov_b32 s10, 0x7f800001
	s_xor_b64 s[4:5], exec, -1
; %bb.3023:
	s_or_b64 exec, exec, s[8:9]
	s_and_b64 s[4:5], s[4:5], exec
	s_or_saveexec_b64 s[6:7], s[6:7]
	v_mov_b32_e32 v6, s10
	s_xor_b64 exec, exec, s[6:7]
	s_cbranch_execz .LBB3_974
.LBB3_3024:
	v_mov_b32_e32 v6, 0
	v_cmp_ne_u16_sdwa s[8:9], v3, v6 src0_sel:BYTE_0 src1_sel:DWORD
	s_andn2_b64 s[4:5], s[4:5], exec
	s_and_b64 s[8:9], s[8:9], exec
	s_or_b64 s[4:5], s[4:5], s[8:9]
	s_or_b64 exec, exec, s[6:7]
	s_and_saveexec_b64 s[6:7], s[4:5]
	s_cbranch_execnz .LBB3_975
	s_branch .LBB3_976
.LBB3_3025:
	s_movk_i32 s4, 0x80
	v_cmp_eq_u16_e32 vcc, s4, v3
	s_mov_b64 s[4:5], -1
                                        ; implicit-def: $sgpr10
	s_and_saveexec_b64 s[8:9], vcc
; %bb.3026:
	s_mov_b32 s10, 0x7f800001
	s_xor_b64 s[4:5], exec, -1
; %bb.3027:
	s_or_b64 exec, exec, s[8:9]
	s_and_b64 s[4:5], s[4:5], exec
                                        ; implicit-def: $vgpr3
	s_or_saveexec_b64 s[6:7], s[6:7]
	v_mov_b32_e32 v2, s10
	s_xor_b64 exec, exec, s[6:7]
	s_cbranch_execz .LBB3_978
.LBB3_3028:
	v_cmp_ne_u16_e32 vcc, 0, v3
	s_andn2_b64 s[4:5], s[4:5], exec
	s_and_b64 s[8:9], vcc, exec
	v_mov_b32_e32 v2, 0
	s_or_b64 s[4:5], s[4:5], s[8:9]
	s_or_b64 exec, exec, s[6:7]
	s_and_saveexec_b64 s[6:7], s[4:5]
	s_cbranch_execnz .LBB3_979
	s_branch .LBB3_980
.LBB3_3029:
	s_movk_i32 s4, 0x80
	v_cmp_eq_u16_e32 vcc, s4, v3
	s_mov_b64 s[4:5], -1
                                        ; implicit-def: $sgpr10
	s_and_saveexec_b64 s[8:9], vcc
; %bb.3030:
	s_mov_b32 s10, 0x7f800001
	s_xor_b64 s[4:5], exec, -1
; %bb.3031:
	s_or_b64 exec, exec, s[8:9]
	s_and_b64 s[4:5], s[4:5], exec
                                        ; implicit-def: $vgpr3
	s_or_saveexec_b64 s[6:7], s[6:7]
	v_mov_b32_e32 v6, s10
	s_xor_b64 exec, exec, s[6:7]
	s_cbranch_execz .LBB3_982
.LBB3_3032:
	v_cmp_ne_u16_e32 vcc, 0, v3
	s_andn2_b64 s[4:5], s[4:5], exec
	s_and_b64 s[8:9], vcc, exec
	v_mov_b32_e32 v6, 0
	s_or_b64 s[4:5], s[4:5], s[8:9]
	s_or_b64 exec, exec, s[6:7]
	s_and_saveexec_b64 s[6:7], s[4:5]
	s_cbranch_execnz .LBB3_983
	s_branch .LBB3_984
.LBB3_3033:
	s_movk_i32 s4, 0x80
	v_cmp_eq_u16_sdwa s[12:13], v8, s4 src0_sel:BYTE_3 src1_sel:DWORD
	s_mov_b64 s[4:5], -1
                                        ; implicit-def: $sgpr10
	s_and_saveexec_b64 s[8:9], s[12:13]
; %bb.3034:
	s_mov_b32 s10, 0x7f800001
	s_xor_b64 s[4:5], exec, -1
; %bb.3035:
	s_or_b64 exec, exec, s[8:9]
	s_and_b64 s[4:5], s[4:5], exec
	s_or_saveexec_b64 s[6:7], s[6:7]
	v_mov_b32_e32 v2, s10
	s_xor_b64 exec, exec, s[6:7]
	s_cbranch_execz .LBB3_986
.LBB3_3036:
	v_mov_b32_e32 v2, 0
	v_cmp_ne_u16_sdwa s[8:9], v8, v2 src0_sel:BYTE_3 src1_sel:DWORD
	s_andn2_b64 s[4:5], s[4:5], exec
	s_and_b64 s[8:9], s[8:9], exec
	s_or_b64 s[4:5], s[4:5], s[8:9]
	s_or_b64 exec, exec, s[6:7]
	s_and_saveexec_b64 s[6:7], s[4:5]
	s_cbranch_execnz .LBB3_987
	s_branch .LBB3_988
.LBB3_3037:
	s_movk_i32 s4, 0x80
	v_cmp_eq_u16_sdwa s[12:13], v4, s4 src0_sel:BYTE_3 src1_sel:DWORD
	s_mov_b64 s[4:5], -1
                                        ; implicit-def: $sgpr10
	s_and_saveexec_b64 s[8:9], s[12:13]
; %bb.3038:
	s_mov_b32 s10, 0x7f800001
	s_xor_b64 s[4:5], exec, -1
; %bb.3039:
	s_or_b64 exec, exec, s[8:9]
	s_and_b64 s[4:5], s[4:5], exec
	s_or_saveexec_b64 s[6:7], s[6:7]
	v_mov_b32_e32 v3, s10
	s_xor_b64 exec, exec, s[6:7]
	s_cbranch_execz .LBB3_990
.LBB3_3040:
	v_mov_b32_e32 v3, 0
	v_cmp_ne_u16_sdwa s[8:9], v4, v3 src0_sel:BYTE_3 src1_sel:DWORD
	s_andn2_b64 s[4:5], s[4:5], exec
	s_and_b64 s[8:9], s[8:9], exec
	s_or_b64 s[4:5], s[4:5], s[8:9]
	s_or_b64 exec, exec, s[6:7]
	s_and_saveexec_b64 s[6:7], s[4:5]
	s_cbranch_execnz .LBB3_991
	s_branch .LBB3_992
.LBB3_3041:
	s_movk_i32 s4, 0x80
	v_cmp_eq_u16_sdwa s[12:13], v9, s4 src0_sel:BYTE_0 src1_sel:DWORD
	s_mov_b64 s[4:5], -1
                                        ; implicit-def: $sgpr10
	s_and_saveexec_b64 s[8:9], s[12:13]
; %bb.3042:
	s_mov_b32 s10, 0x7f800001
	s_xor_b64 s[4:5], exec, -1
; %bb.3043:
	s_or_b64 exec, exec, s[8:9]
	s_and_b64 s[4:5], s[4:5], exec
	s_or_saveexec_b64 s[6:7], s[6:7]
	v_mov_b32_e32 v2, s10
	s_xor_b64 exec, exec, s[6:7]
	s_cbranch_execz .LBB3_994
.LBB3_3044:
	v_mov_b32_e32 v2, 0
	v_cmp_ne_u16_sdwa s[8:9], v9, v2 src0_sel:BYTE_0 src1_sel:DWORD
	s_andn2_b64 s[4:5], s[4:5], exec
	s_and_b64 s[8:9], s[8:9], exec
	s_or_b64 s[4:5], s[4:5], s[8:9]
	s_or_b64 exec, exec, s[6:7]
	s_and_saveexec_b64 s[6:7], s[4:5]
	s_cbranch_execnz .LBB3_995
	s_branch .LBB3_996
.LBB3_3045:
	s_movk_i32 s4, 0x80
	v_cmp_eq_u16_sdwa s[12:13], v5, s4 src0_sel:BYTE_0 src1_sel:DWORD
	s_mov_b64 s[4:5], -1
                                        ; implicit-def: $sgpr10
	s_and_saveexec_b64 s[8:9], s[12:13]
; %bb.3046:
	s_mov_b32 s10, 0x7f800001
	s_xor_b64 s[4:5], exec, -1
; %bb.3047:
	s_or_b64 exec, exec, s[8:9]
	s_and_b64 s[4:5], s[4:5], exec
	s_or_saveexec_b64 s[6:7], s[6:7]
	v_mov_b32_e32 v3, s10
	s_xor_b64 exec, exec, s[6:7]
	s_cbranch_execz .LBB3_998
.LBB3_3048:
	v_mov_b32_e32 v3, 0
	v_cmp_ne_u16_sdwa s[8:9], v5, v3 src0_sel:BYTE_0 src1_sel:DWORD
	s_andn2_b64 s[4:5], s[4:5], exec
	s_and_b64 s[8:9], s[8:9], exec
	s_or_b64 s[4:5], s[4:5], s[8:9]
	s_or_b64 exec, exec, s[6:7]
	s_and_saveexec_b64 s[6:7], s[4:5]
	s_cbranch_execnz .LBB3_999
	s_branch .LBB3_1000
.LBB3_3049:
	s_movk_i32 s4, 0x80
	v_cmp_eq_u16_sdwa s[12:13], v3, s4 src0_sel:BYTE_0 src1_sel:DWORD
	s_mov_b64 s[4:5], -1
                                        ; implicit-def: $sgpr10
	s_and_saveexec_b64 s[8:9], s[12:13]
; %bb.3050:
	s_mov_b32 s10, 0x7f800001
	s_xor_b64 s[4:5], exec, -1
; %bb.3051:
	s_or_b64 exec, exec, s[8:9]
	s_and_b64 s[4:5], s[4:5], exec
	s_or_saveexec_b64 s[6:7], s[6:7]
	v_mov_b32_e32 v2, s10
	s_xor_b64 exec, exec, s[6:7]
	s_cbranch_execz .LBB3_1002
.LBB3_3052:
	v_mov_b32_e32 v2, 0
	v_cmp_ne_u16_sdwa s[8:9], v3, v2 src0_sel:BYTE_0 src1_sel:DWORD
	s_andn2_b64 s[4:5], s[4:5], exec
	s_and_b64 s[8:9], s[8:9], exec
	s_or_b64 s[4:5], s[4:5], s[8:9]
	s_or_b64 exec, exec, s[6:7]
	s_and_saveexec_b64 s[6:7], s[4:5]
	s_cbranch_execnz .LBB3_1003
	s_branch .LBB3_1004
.LBB3_3053:
	s_movk_i32 s4, 0x80
	v_cmp_eq_u16_sdwa s[12:13], v3, s4 src0_sel:BYTE_0 src1_sel:DWORD
	s_mov_b64 s[4:5], -1
                                        ; implicit-def: $sgpr10
	s_and_saveexec_b64 s[8:9], s[12:13]
; %bb.3054:
	s_mov_b32 s10, 0x7f800001
	s_xor_b64 s[4:5], exec, -1
; %bb.3055:
	s_or_b64 exec, exec, s[8:9]
	s_and_b64 s[4:5], s[4:5], exec
	s_or_saveexec_b64 s[6:7], s[6:7]
	v_mov_b32_e32 v4, s10
	s_xor_b64 exec, exec, s[6:7]
	s_cbranch_execz .LBB3_1006
.LBB3_3056:
	v_mov_b32_e32 v4, 0
	v_cmp_ne_u16_sdwa s[8:9], v3, v4 src0_sel:BYTE_0 src1_sel:DWORD
	s_andn2_b64 s[4:5], s[4:5], exec
	s_and_b64 s[8:9], s[8:9], exec
	s_or_b64 s[4:5], s[4:5], s[8:9]
	s_or_b64 exec, exec, s[6:7]
	s_and_saveexec_b64 s[6:7], s[4:5]
	s_cbranch_execnz .LBB3_1007
	s_branch .LBB3_1008
.LBB3_3057:
	s_movk_i32 s4, 0x80
	v_cmp_eq_u16_e32 vcc, s4, v3
	s_mov_b64 s[4:5], -1
                                        ; implicit-def: $sgpr10
	s_and_saveexec_b64 s[8:9], vcc
; %bb.3058:
	s_mov_b32 s10, 0x7f800001
	s_xor_b64 s[4:5], exec, -1
; %bb.3059:
	s_or_b64 exec, exec, s[8:9]
	s_and_b64 s[4:5], s[4:5], exec
                                        ; implicit-def: $vgpr3
	s_or_saveexec_b64 s[6:7], s[6:7]
	v_mov_b32_e32 v2, s10
	s_xor_b64 exec, exec, s[6:7]
	s_cbranch_execz .LBB3_1010
.LBB3_3060:
	v_cmp_ne_u16_e32 vcc, 0, v3
	s_andn2_b64 s[4:5], s[4:5], exec
	s_and_b64 s[8:9], vcc, exec
	v_mov_b32_e32 v2, 0
	s_or_b64 s[4:5], s[4:5], s[8:9]
	s_or_b64 exec, exec, s[6:7]
	s_and_saveexec_b64 s[6:7], s[4:5]
	s_cbranch_execnz .LBB3_1011
	s_branch .LBB3_1012
.LBB3_3061:
	s_movk_i32 s4, 0x80
	v_cmp_eq_u16_e32 vcc, s4, v3
	s_mov_b64 s[4:5], -1
                                        ; implicit-def: $sgpr10
	s_and_saveexec_b64 s[8:9], vcc
; %bb.3062:
	s_mov_b32 s10, 0x7f800001
	s_xor_b64 s[4:5], exec, -1
; %bb.3063:
	s_or_b64 exec, exec, s[8:9]
	s_and_b64 s[4:5], s[4:5], exec
                                        ; implicit-def: $vgpr3
	s_or_saveexec_b64 s[6:7], s[6:7]
	v_mov_b32_e32 v4, s10
	s_xor_b64 exec, exec, s[6:7]
	s_cbranch_execz .LBB3_1014
.LBB3_3064:
	v_cmp_ne_u16_e32 vcc, 0, v3
	s_andn2_b64 s[4:5], s[4:5], exec
	s_and_b64 s[8:9], vcc, exec
	v_mov_b32_e32 v4, 0
	s_or_b64 s[4:5], s[4:5], s[8:9]
	s_or_b64 exec, exec, s[6:7]
	s_and_saveexec_b64 s[6:7], s[4:5]
	s_cbranch_execnz .LBB3_1015
	s_branch .LBB3_1016
.LBB3_3065:
	s_movk_i32 s4, 0x80
	v_cmp_eq_u16_sdwa s[12:13], v9, s4 src0_sel:BYTE_3 src1_sel:DWORD
	s_mov_b64 s[4:5], -1
                                        ; implicit-def: $sgpr10
	s_and_saveexec_b64 s[8:9], s[12:13]
; %bb.3066:
	s_mov_b32 s10, 0x7f800001
	s_xor_b64 s[4:5], exec, -1
; %bb.3067:
	s_or_b64 exec, exec, s[8:9]
	s_and_b64 s[4:5], s[4:5], exec
	s_or_saveexec_b64 s[6:7], s[6:7]
	v_mov_b32_e32 v2, s10
	s_xor_b64 exec, exec, s[6:7]
	s_cbranch_execz .LBB3_1018
.LBB3_3068:
	v_mov_b32_e32 v2, 0
	v_cmp_ne_u16_sdwa s[8:9], v9, v2 src0_sel:BYTE_3 src1_sel:DWORD
	s_andn2_b64 s[4:5], s[4:5], exec
	s_and_b64 s[8:9], s[8:9], exec
	s_or_b64 s[4:5], s[4:5], s[8:9]
	s_or_b64 exec, exec, s[6:7]
	s_and_saveexec_b64 s[6:7], s[4:5]
	s_cbranch_execnz .LBB3_1019
	s_branch .LBB3_1020
.LBB3_3069:
	s_movk_i32 s4, 0x80
	v_cmp_eq_u16_sdwa s[12:13], v5, s4 src0_sel:BYTE_3 src1_sel:DWORD
	s_mov_b64 s[4:5], -1
                                        ; implicit-def: $sgpr10
	s_and_saveexec_b64 s[8:9], s[12:13]
; %bb.3070:
	s_mov_b32 s10, 0x7f800001
	s_xor_b64 s[4:5], exec, -1
; %bb.3071:
	s_or_b64 exec, exec, s[8:9]
	s_and_b64 s[4:5], s[4:5], exec
	s_or_saveexec_b64 s[6:7], s[6:7]
	v_mov_b32_e32 v3, s10
	s_xor_b64 exec, exec, s[6:7]
	s_cbranch_execz .LBB3_1022
.LBB3_3072:
	v_mov_b32_e32 v3, 0
	v_cmp_ne_u16_sdwa s[8:9], v5, v3 src0_sel:BYTE_3 src1_sel:DWORD
	s_andn2_b64 s[4:5], s[4:5], exec
	s_and_b64 s[8:9], s[8:9], exec
	s_or_b64 s[4:5], s[4:5], s[8:9]
	s_or_b64 exec, exec, s[6:7]
	s_and_saveexec_b64 s[6:7], s[4:5]
	s_cbranch_execnz .LBB3_1023
	s_branch .LBB3_1024
.LBB3_3073:
	s_movk_i32 s4, 0x80
	v_cmp_eq_u16_sdwa s[12:13], v14, s4 src0_sel:BYTE_0 src1_sel:DWORD
	s_mov_b64 s[4:5], -1
                                        ; implicit-def: $sgpr10
	s_and_saveexec_b64 s[8:9], s[12:13]
; %bb.3074:
	s_mov_b32 s10, 0x7f800001
	s_xor_b64 s[4:5], exec, -1
; %bb.3075:
	s_or_b64 exec, exec, s[8:9]
	s_and_b64 s[4:5], s[4:5], exec
	s_or_saveexec_b64 s[6:7], s[6:7]
	v_mov_b32_e32 v20, s10
	s_xor_b64 exec, exec, s[6:7]
	s_cbranch_execz .LBB3_1026
.LBB3_3076:
	v_mov_b32_e32 v20, 0
	v_cmp_ne_u16_sdwa s[8:9], v14, v20 src0_sel:BYTE_0 src1_sel:DWORD
	s_andn2_b64 s[4:5], s[4:5], exec
	s_and_b64 s[8:9], s[8:9], exec
	s_or_b64 s[4:5], s[4:5], s[8:9]
	s_or_b64 exec, exec, s[6:7]
	s_and_saveexec_b64 s[6:7], s[4:5]
	s_cbranch_execnz .LBB3_1027
	s_branch .LBB3_1028
.LBB3_3077:
	s_movk_i32 s4, 0x80
	v_cmp_eq_u16_sdwa s[12:13], v10, s4 src0_sel:BYTE_0 src1_sel:DWORD
	s_mov_b64 s[4:5], -1
                                        ; implicit-def: $sgpr10
	s_and_saveexec_b64 s[8:9], s[12:13]
; %bb.3078:
	s_mov_b32 s10, 0x7f800001
	s_xor_b64 s[4:5], exec, -1
; %bb.3079:
	s_or_b64 exec, exec, s[8:9]
	s_and_b64 s[4:5], s[4:5], exec
	s_or_saveexec_b64 s[6:7], s[6:7]
	v_mov_b32_e32 v21, s10
	s_xor_b64 exec, exec, s[6:7]
	s_cbranch_execz .LBB3_1030
.LBB3_3080:
	v_mov_b32_e32 v21, 0
	v_cmp_ne_u16_sdwa s[8:9], v10, v21 src0_sel:BYTE_0 src1_sel:DWORD
	s_andn2_b64 s[4:5], s[4:5], exec
	s_and_b64 s[8:9], s[8:9], exec
	s_or_b64 s[4:5], s[4:5], s[8:9]
	s_or_b64 exec, exec, s[6:7]
	s_and_saveexec_b64 s[6:7], s[4:5]
	s_cbranch_execnz .LBB3_1031
	s_branch .LBB3_1032
.LBB3_3081:
	s_movk_i32 s4, 0x80
	v_cmp_eq_u16_sdwa s[12:13], v21, s4 src0_sel:BYTE_0 src1_sel:DWORD
	s_mov_b64 s[4:5], -1
                                        ; implicit-def: $sgpr10
	s_and_saveexec_b64 s[8:9], s[12:13]
; %bb.3082:
	s_mov_b32 s10, 0x7f800001
	s_xor_b64 s[4:5], exec, -1
; %bb.3083:
	s_or_b64 exec, exec, s[8:9]
	s_and_b64 s[4:5], s[4:5], exec
	s_or_saveexec_b64 s[6:7], s[6:7]
	v_mov_b32_e32 v20, s10
	s_xor_b64 exec, exec, s[6:7]
	s_cbranch_execz .LBB3_1034
.LBB3_3084:
	v_mov_b32_e32 v20, 0
	v_cmp_ne_u16_sdwa s[8:9], v21, v20 src0_sel:BYTE_0 src1_sel:DWORD
	s_andn2_b64 s[4:5], s[4:5], exec
	s_and_b64 s[8:9], s[8:9], exec
	s_or_b64 s[4:5], s[4:5], s[8:9]
	s_or_b64 exec, exec, s[6:7]
	s_and_saveexec_b64 s[6:7], s[4:5]
	s_cbranch_execnz .LBB3_1035
	s_branch .LBB3_1036
.LBB3_3085:
	s_movk_i32 s4, 0x80
	v_cmp_eq_u16_sdwa s[12:13], v21, s4 src0_sel:BYTE_0 src1_sel:DWORD
	s_mov_b64 s[4:5], -1
                                        ; implicit-def: $sgpr10
	s_and_saveexec_b64 s[8:9], s[12:13]
; %bb.3086:
	s_mov_b32 s10, 0x7f800001
	s_xor_b64 s[4:5], exec, -1
; %bb.3087:
	s_or_b64 exec, exec, s[8:9]
	s_and_b64 s[4:5], s[4:5], exec
	s_or_saveexec_b64 s[6:7], s[6:7]
	v_mov_b32_e32 v22, s10
	s_xor_b64 exec, exec, s[6:7]
	s_cbranch_execz .LBB3_1038
.LBB3_3088:
	v_mov_b32_e32 v22, 0
	v_cmp_ne_u16_sdwa s[8:9], v21, v22 src0_sel:BYTE_0 src1_sel:DWORD
	s_andn2_b64 s[4:5], s[4:5], exec
	s_and_b64 s[8:9], s[8:9], exec
	s_or_b64 s[4:5], s[4:5], s[8:9]
	s_or_b64 exec, exec, s[6:7]
	s_and_saveexec_b64 s[6:7], s[4:5]
	s_cbranch_execnz .LBB3_1039
	s_branch .LBB3_1040
.LBB3_3089:
	s_movk_i32 s4, 0x80
	v_cmp_eq_u16_e32 vcc, s4, v21
	s_mov_b64 s[4:5], -1
                                        ; implicit-def: $sgpr10
	s_and_saveexec_b64 s[8:9], vcc
; %bb.3090:
	s_mov_b32 s10, 0x7f800001
	s_xor_b64 s[4:5], exec, -1
; %bb.3091:
	s_or_b64 exec, exec, s[8:9]
	s_and_b64 s[4:5], s[4:5], exec
                                        ; implicit-def: $vgpr21
	s_or_saveexec_b64 s[6:7], s[6:7]
	v_mov_b32_e32 v20, s10
	s_xor_b64 exec, exec, s[6:7]
	s_cbranch_execz .LBB3_1042
.LBB3_3092:
	v_cmp_ne_u16_e32 vcc, 0, v21
	s_andn2_b64 s[4:5], s[4:5], exec
	s_and_b64 s[8:9], vcc, exec
	v_mov_b32_e32 v20, 0
	s_or_b64 s[4:5], s[4:5], s[8:9]
	s_or_b64 exec, exec, s[6:7]
	s_and_saveexec_b64 s[6:7], s[4:5]
	s_cbranch_execnz .LBB3_1043
	s_branch .LBB3_1044
.LBB3_3093:
	s_movk_i32 s4, 0x80
	v_cmp_eq_u16_e32 vcc, s4, v21
	s_mov_b64 s[4:5], -1
                                        ; implicit-def: $sgpr10
	s_and_saveexec_b64 s[8:9], vcc
; %bb.3094:
	s_mov_b32 s10, 0x7f800001
	s_xor_b64 s[4:5], exec, -1
; %bb.3095:
	s_or_b64 exec, exec, s[8:9]
	s_and_b64 s[4:5], s[4:5], exec
                                        ; implicit-def: $vgpr21
	s_or_saveexec_b64 s[6:7], s[6:7]
	v_mov_b32_e32 v22, s10
	s_xor_b64 exec, exec, s[6:7]
	s_cbranch_execz .LBB3_1046
.LBB3_3096:
	v_cmp_ne_u16_e32 vcc, 0, v21
	s_andn2_b64 s[4:5], s[4:5], exec
	s_and_b64 s[8:9], vcc, exec
	v_mov_b32_e32 v22, 0
	s_or_b64 s[4:5], s[4:5], s[8:9]
	s_or_b64 exec, exec, s[6:7]
	s_and_saveexec_b64 s[6:7], s[4:5]
	s_cbranch_execnz .LBB3_1047
	s_branch .LBB3_1048
.LBB3_3097:
	s_movk_i32 s4, 0x80
	v_cmp_eq_u16_sdwa s[12:13], v14, s4 src0_sel:BYTE_3 src1_sel:DWORD
	s_mov_b64 s[4:5], -1
                                        ; implicit-def: $sgpr10
	s_and_saveexec_b64 s[8:9], s[12:13]
; %bb.3098:
	s_mov_b32 s10, 0x7f800001
	s_xor_b64 s[4:5], exec, -1
; %bb.3099:
	s_or_b64 exec, exec, s[8:9]
	s_and_b64 s[4:5], s[4:5], exec
	s_or_saveexec_b64 s[6:7], s[6:7]
	v_mov_b32_e32 v20, s10
	s_xor_b64 exec, exec, s[6:7]
	s_cbranch_execz .LBB3_1050
.LBB3_3100:
	v_mov_b32_e32 v20, 0
	v_cmp_ne_u16_sdwa s[8:9], v14, v20 src0_sel:BYTE_3 src1_sel:DWORD
	s_andn2_b64 s[4:5], s[4:5], exec
	s_and_b64 s[8:9], s[8:9], exec
	s_or_b64 s[4:5], s[4:5], s[8:9]
	s_or_b64 exec, exec, s[6:7]
	s_and_saveexec_b64 s[6:7], s[4:5]
	s_cbranch_execnz .LBB3_1051
	s_branch .LBB3_1052
.LBB3_3101:
	s_movk_i32 s4, 0x80
	v_cmp_eq_u16_sdwa s[12:13], v10, s4 src0_sel:BYTE_3 src1_sel:DWORD
	s_mov_b64 s[4:5], -1
                                        ; implicit-def: $sgpr10
	s_and_saveexec_b64 s[8:9], s[12:13]
; %bb.3102:
	s_mov_b32 s10, 0x7f800001
	s_xor_b64 s[4:5], exec, -1
; %bb.3103:
	s_or_b64 exec, exec, s[8:9]
	s_and_b64 s[4:5], s[4:5], exec
	s_or_saveexec_b64 s[6:7], s[6:7]
	v_mov_b32_e32 v14, s10
	s_xor_b64 exec, exec, s[6:7]
	s_cbranch_execz .LBB3_1054
.LBB3_3104:
	v_mov_b32_e32 v14, 0
	v_cmp_ne_u16_sdwa s[8:9], v10, v14 src0_sel:BYTE_3 src1_sel:DWORD
	s_andn2_b64 s[4:5], s[4:5], exec
	s_and_b64 s[8:9], s[8:9], exec
	s_or_b64 s[4:5], s[4:5], s[8:9]
	s_or_b64 exec, exec, s[6:7]
	s_and_saveexec_b64 s[6:7], s[4:5]
	s_cbranch_execnz .LBB3_1055
	s_branch .LBB3_1056
.LBB3_3105:
	s_movk_i32 s4, 0x80
	v_cmp_eq_u16_sdwa s[12:13], v15, s4 src0_sel:BYTE_0 src1_sel:DWORD
	s_mov_b64 s[4:5], -1
                                        ; implicit-def: $sgpr10
	s_and_saveexec_b64 s[8:9], s[12:13]
; %bb.3106:
	s_mov_b32 s10, 0x7f800001
	s_xor_b64 s[4:5], exec, -1
; %bb.3107:
	s_or_b64 exec, exec, s[8:9]
	s_and_b64 s[4:5], s[4:5], exec
	s_or_saveexec_b64 s[6:7], s[6:7]
	v_mov_b32_e32 v10, s10
	s_xor_b64 exec, exec, s[6:7]
	s_cbranch_execz .LBB3_1058
.LBB3_3108:
	v_mov_b32_e32 v10, 0
	v_cmp_ne_u16_sdwa s[8:9], v15, v10 src0_sel:BYTE_0 src1_sel:DWORD
	s_andn2_b64 s[4:5], s[4:5], exec
	s_and_b64 s[8:9], s[8:9], exec
	s_or_b64 s[4:5], s[4:5], s[8:9]
	s_or_b64 exec, exec, s[6:7]
	s_and_saveexec_b64 s[6:7], s[4:5]
	s_cbranch_execnz .LBB3_1059
	s_branch .LBB3_1060
.LBB3_3109:
	s_movk_i32 s4, 0x80
	v_cmp_eq_u16_sdwa s[12:13], v11, s4 src0_sel:BYTE_0 src1_sel:DWORD
	s_mov_b64 s[4:5], -1
                                        ; implicit-def: $sgpr10
	s_and_saveexec_b64 s[8:9], s[12:13]
; %bb.3110:
	s_mov_b32 s10, 0x7f800001
	s_xor_b64 s[4:5], exec, -1
; %bb.3111:
	s_or_b64 exec, exec, s[8:9]
	s_and_b64 s[4:5], s[4:5], exec
	s_or_saveexec_b64 s[6:7], s[6:7]
	v_mov_b32_e32 v14, s10
	s_xor_b64 exec, exec, s[6:7]
	s_cbranch_execz .LBB3_1062
.LBB3_3112:
	v_mov_b32_e32 v14, 0
	v_cmp_ne_u16_sdwa s[8:9], v11, v14 src0_sel:BYTE_0 src1_sel:DWORD
	s_andn2_b64 s[4:5], s[4:5], exec
	s_and_b64 s[8:9], s[8:9], exec
	s_or_b64 s[4:5], s[4:5], s[8:9]
	s_or_b64 exec, exec, s[6:7]
	s_and_saveexec_b64 s[6:7], s[4:5]
	s_cbranch_execnz .LBB3_1063
	s_branch .LBB3_1064
.LBB3_3113:
	s_movk_i32 s4, 0x80
	v_cmp_eq_u16_sdwa s[12:13], v14, s4 src0_sel:BYTE_0 src1_sel:DWORD
	s_mov_b64 s[4:5], -1
                                        ; implicit-def: $sgpr10
	s_and_saveexec_b64 s[8:9], s[12:13]
; %bb.3114:
	s_mov_b32 s10, 0x7f800001
	s_xor_b64 s[4:5], exec, -1
; %bb.3115:
	s_or_b64 exec, exec, s[8:9]
	s_and_b64 s[4:5], s[4:5], exec
	s_or_saveexec_b64 s[6:7], s[6:7]
	v_mov_b32_e32 v10, s10
	s_xor_b64 exec, exec, s[6:7]
	s_cbranch_execz .LBB3_1066
.LBB3_3116:
	v_mov_b32_e32 v10, 0
	v_cmp_ne_u16_sdwa s[8:9], v14, v10 src0_sel:BYTE_0 src1_sel:DWORD
	s_andn2_b64 s[4:5], s[4:5], exec
	s_and_b64 s[8:9], s[8:9], exec
	s_or_b64 s[4:5], s[4:5], s[8:9]
	s_or_b64 exec, exec, s[6:7]
	s_and_saveexec_b64 s[6:7], s[4:5]
	s_cbranch_execnz .LBB3_1067
	s_branch .LBB3_1068
.LBB3_3117:
	s_movk_i32 s4, 0x80
	v_cmp_eq_u16_sdwa s[12:13], v14, s4 src0_sel:BYTE_0 src1_sel:DWORD
	s_mov_b64 s[4:5], -1
                                        ; implicit-def: $sgpr10
	s_and_saveexec_b64 s[8:9], s[12:13]
; %bb.3118:
	s_mov_b32 s10, 0x7f800001
	s_xor_b64 s[4:5], exec, -1
; %bb.3119:
	s_or_b64 exec, exec, s[8:9]
	s_and_b64 s[4:5], s[4:5], exec
	s_or_saveexec_b64 s[6:7], s[6:7]
	v_mov_b32_e32 v20, s10
	s_xor_b64 exec, exec, s[6:7]
	s_cbranch_execz .LBB3_1070
.LBB3_3120:
	v_mov_b32_e32 v20, 0
	v_cmp_ne_u16_sdwa s[8:9], v14, v20 src0_sel:BYTE_0 src1_sel:DWORD
	s_andn2_b64 s[4:5], s[4:5], exec
	s_and_b64 s[8:9], s[8:9], exec
	s_or_b64 s[4:5], s[4:5], s[8:9]
	s_or_b64 exec, exec, s[6:7]
	s_and_saveexec_b64 s[6:7], s[4:5]
	s_cbranch_execnz .LBB3_1071
	s_branch .LBB3_1072
.LBB3_3121:
	s_movk_i32 s4, 0x80
	v_cmp_eq_u16_e32 vcc, s4, v14
	s_mov_b64 s[4:5], -1
                                        ; implicit-def: $sgpr10
	s_and_saveexec_b64 s[8:9], vcc
; %bb.3122:
	s_mov_b32 s10, 0x7f800001
	s_xor_b64 s[4:5], exec, -1
; %bb.3123:
	s_or_b64 exec, exec, s[8:9]
	s_and_b64 s[4:5], s[4:5], exec
                                        ; implicit-def: $vgpr14
	s_or_saveexec_b64 s[6:7], s[6:7]
	v_mov_b32_e32 v10, s10
	s_xor_b64 exec, exec, s[6:7]
	s_cbranch_execz .LBB3_1074
.LBB3_3124:
	v_cmp_ne_u16_e32 vcc, 0, v14
	s_andn2_b64 s[4:5], s[4:5], exec
	s_and_b64 s[8:9], vcc, exec
	v_mov_b32_e32 v10, 0
	s_or_b64 s[4:5], s[4:5], s[8:9]
	s_or_b64 exec, exec, s[6:7]
	s_and_saveexec_b64 s[6:7], s[4:5]
	s_cbranch_execnz .LBB3_1075
	s_branch .LBB3_1076
.LBB3_3125:
	s_movk_i32 s4, 0x80
	v_cmp_eq_u16_e32 vcc, s4, v14
	s_mov_b64 s[4:5], -1
                                        ; implicit-def: $sgpr10
	s_and_saveexec_b64 s[8:9], vcc
; %bb.3126:
	s_mov_b32 s10, 0x7f800001
	s_xor_b64 s[4:5], exec, -1
; %bb.3127:
	s_or_b64 exec, exec, s[8:9]
	s_and_b64 s[4:5], s[4:5], exec
                                        ; implicit-def: $vgpr14
	s_or_saveexec_b64 s[6:7], s[6:7]
	v_mov_b32_e32 v20, s10
	s_xor_b64 exec, exec, s[6:7]
	s_cbranch_execz .LBB3_1078
.LBB3_3128:
	v_cmp_ne_u16_e32 vcc, 0, v14
	s_andn2_b64 s[4:5], s[4:5], exec
	s_and_b64 s[8:9], vcc, exec
	v_mov_b32_e32 v20, 0
	s_or_b64 s[4:5], s[4:5], s[8:9]
	s_or_b64 exec, exec, s[6:7]
	s_and_saveexec_b64 s[6:7], s[4:5]
	s_cbranch_execnz .LBB3_1079
	s_branch .LBB3_1080
.LBB3_3129:
	s_movk_i32 s4, 0x80
	v_cmp_eq_u16_sdwa s[12:13], v15, s4 src0_sel:BYTE_3 src1_sel:DWORD
	s_mov_b64 s[4:5], -1
                                        ; implicit-def: $sgpr10
	s_and_saveexec_b64 s[8:9], s[12:13]
; %bb.3130:
	s_mov_b32 s10, 0x7f800001
	s_xor_b64 s[4:5], exec, -1
; %bb.3131:
	s_or_b64 exec, exec, s[8:9]
	s_and_b64 s[4:5], s[4:5], exec
	s_or_saveexec_b64 s[6:7], s[6:7]
	v_mov_b32_e32 v10, s10
	s_xor_b64 exec, exec, s[6:7]
	s_cbranch_execz .LBB3_1082
.LBB3_3132:
	v_mov_b32_e32 v10, 0
	v_cmp_ne_u16_sdwa s[8:9], v15, v10 src0_sel:BYTE_3 src1_sel:DWORD
	s_andn2_b64 s[4:5], s[4:5], exec
	s_and_b64 s[8:9], s[8:9], exec
	s_or_b64 s[4:5], s[4:5], s[8:9]
	s_or_b64 exec, exec, s[6:7]
	s_and_saveexec_b64 s[6:7], s[4:5]
	s_cbranch_execnz .LBB3_1083
	s_branch .LBB3_1084
.LBB3_3133:
	s_movk_i32 s4, 0x80
	v_cmp_eq_u16_sdwa s[12:13], v11, s4 src0_sel:BYTE_3 src1_sel:DWORD
	s_mov_b64 s[4:5], -1
                                        ; implicit-def: $sgpr10
	s_and_saveexec_b64 s[8:9], s[12:13]
; %bb.3134:
	s_mov_b32 s10, 0x7f800001
	s_xor_b64 s[4:5], exec, -1
; %bb.3135:
	s_or_b64 exec, exec, s[8:9]
	s_and_b64 s[4:5], s[4:5], exec
	s_or_saveexec_b64 s[6:7], s[6:7]
	v_mov_b32_e32 v14, s10
	s_xor_b64 exec, exec, s[6:7]
	s_cbranch_execz .LBB3_1086
.LBB3_3136:
	v_mov_b32_e32 v14, 0
	v_cmp_ne_u16_sdwa s[8:9], v11, v14 src0_sel:BYTE_3 src1_sel:DWORD
	s_andn2_b64 s[4:5], s[4:5], exec
	s_and_b64 s[8:9], s[8:9], exec
	s_or_b64 s[4:5], s[4:5], s[8:9]
	s_or_b64 exec, exec, s[6:7]
	s_and_saveexec_b64 s[6:7], s[4:5]
	s_cbranch_execnz .LBB3_1087
	s_branch .LBB3_1088
.LBB3_3137:
	s_movk_i32 s4, 0x80
	v_cmp_eq_u16_sdwa s[12:13], v16, s4 src0_sel:BYTE_0 src1_sel:DWORD
	s_mov_b64 s[4:5], -1
                                        ; implicit-def: $sgpr10
	s_and_saveexec_b64 s[8:9], s[12:13]
; %bb.3138:
	s_mov_b32 s10, 0x7f800001
	s_xor_b64 s[4:5], exec, -1
; %bb.3139:
	s_or_b64 exec, exec, s[8:9]
	s_and_b64 s[4:5], s[4:5], exec
	s_or_saveexec_b64 s[6:7], s[6:7]
	v_mov_b32_e32 v10, s10
	s_xor_b64 exec, exec, s[6:7]
	s_cbranch_execz .LBB3_1090
.LBB3_3140:
	v_mov_b32_e32 v10, 0
	v_cmp_ne_u16_sdwa s[8:9], v16, v10 src0_sel:BYTE_0 src1_sel:DWORD
	s_andn2_b64 s[4:5], s[4:5], exec
	s_and_b64 s[8:9], s[8:9], exec
	s_or_b64 s[4:5], s[4:5], s[8:9]
	s_or_b64 exec, exec, s[6:7]
	s_and_saveexec_b64 s[6:7], s[4:5]
	s_cbranch_execnz .LBB3_1091
	s_branch .LBB3_1092
.LBB3_3141:
	s_movk_i32 s4, 0x80
	v_cmp_eq_u16_sdwa s[12:13], v12, s4 src0_sel:BYTE_0 src1_sel:DWORD
	s_mov_b64 s[4:5], -1
                                        ; implicit-def: $sgpr10
	s_and_saveexec_b64 s[8:9], s[12:13]
; %bb.3142:
	s_mov_b32 s10, 0x7f800001
	s_xor_b64 s[4:5], exec, -1
; %bb.3143:
	s_or_b64 exec, exec, s[8:9]
	s_and_b64 s[4:5], s[4:5], exec
	s_or_saveexec_b64 s[6:7], s[6:7]
	v_mov_b32_e32 v11, s10
	s_xor_b64 exec, exec, s[6:7]
	s_cbranch_execz .LBB3_1094
.LBB3_3144:
	v_mov_b32_e32 v11, 0
	v_cmp_ne_u16_sdwa s[8:9], v12, v11 src0_sel:BYTE_0 src1_sel:DWORD
	s_andn2_b64 s[4:5], s[4:5], exec
	s_and_b64 s[8:9], s[8:9], exec
	s_or_b64 s[4:5], s[4:5], s[8:9]
	s_or_b64 exec, exec, s[6:7]
	s_and_saveexec_b64 s[6:7], s[4:5]
	s_cbranch_execnz .LBB3_1095
	s_branch .LBB3_1096
.LBB3_3145:
	s_movk_i32 s4, 0x80
	v_cmp_eq_u16_sdwa s[12:13], v11, s4 src0_sel:BYTE_0 src1_sel:DWORD
	s_mov_b64 s[4:5], -1
                                        ; implicit-def: $sgpr10
	s_and_saveexec_b64 s[8:9], s[12:13]
; %bb.3146:
	s_mov_b32 s10, 0x7f800001
	s_xor_b64 s[4:5], exec, -1
; %bb.3147:
	s_or_b64 exec, exec, s[8:9]
	s_and_b64 s[4:5], s[4:5], exec
	s_or_saveexec_b64 s[6:7], s[6:7]
	v_mov_b32_e32 v10, s10
	s_xor_b64 exec, exec, s[6:7]
	s_cbranch_execz .LBB3_1098
.LBB3_3148:
	v_mov_b32_e32 v10, 0
	v_cmp_ne_u16_sdwa s[8:9], v11, v10 src0_sel:BYTE_0 src1_sel:DWORD
	s_andn2_b64 s[4:5], s[4:5], exec
	s_and_b64 s[8:9], s[8:9], exec
	s_or_b64 s[4:5], s[4:5], s[8:9]
	s_or_b64 exec, exec, s[6:7]
	s_and_saveexec_b64 s[6:7], s[4:5]
	s_cbranch_execnz .LBB3_1099
	s_branch .LBB3_1100
.LBB3_3149:
	s_movk_i32 s4, 0x80
	v_cmp_eq_u16_sdwa s[12:13], v11, s4 src0_sel:BYTE_0 src1_sel:DWORD
	s_mov_b64 s[4:5], -1
                                        ; implicit-def: $sgpr10
	s_and_saveexec_b64 s[8:9], s[12:13]
; %bb.3150:
	s_mov_b32 s10, 0x7f800001
	s_xor_b64 s[4:5], exec, -1
; %bb.3151:
	s_or_b64 exec, exec, s[8:9]
	s_and_b64 s[4:5], s[4:5], exec
	s_or_saveexec_b64 s[6:7], s[6:7]
	v_mov_b32_e32 v14, s10
	s_xor_b64 exec, exec, s[6:7]
	s_cbranch_execz .LBB3_1102
.LBB3_3152:
	v_mov_b32_e32 v14, 0
	v_cmp_ne_u16_sdwa s[8:9], v11, v14 src0_sel:BYTE_0 src1_sel:DWORD
	s_andn2_b64 s[4:5], s[4:5], exec
	s_and_b64 s[8:9], s[8:9], exec
	s_or_b64 s[4:5], s[4:5], s[8:9]
	s_or_b64 exec, exec, s[6:7]
	s_and_saveexec_b64 s[6:7], s[4:5]
	s_cbranch_execnz .LBB3_1103
	s_branch .LBB3_1104
.LBB3_3153:
	s_movk_i32 s4, 0x80
	v_cmp_eq_u16_e32 vcc, s4, v11
	s_mov_b64 s[4:5], -1
                                        ; implicit-def: $sgpr10
	s_and_saveexec_b64 s[8:9], vcc
; %bb.3154:
	s_mov_b32 s10, 0x7f800001
	s_xor_b64 s[4:5], exec, -1
; %bb.3155:
	s_or_b64 exec, exec, s[8:9]
	s_and_b64 s[4:5], s[4:5], exec
                                        ; implicit-def: $vgpr11
	s_or_saveexec_b64 s[6:7], s[6:7]
	v_mov_b32_e32 v10, s10
	s_xor_b64 exec, exec, s[6:7]
	s_cbranch_execz .LBB3_1106
.LBB3_3156:
	v_cmp_ne_u16_e32 vcc, 0, v11
	s_andn2_b64 s[4:5], s[4:5], exec
	s_and_b64 s[8:9], vcc, exec
	v_mov_b32_e32 v10, 0
	s_or_b64 s[4:5], s[4:5], s[8:9]
	s_or_b64 exec, exec, s[6:7]
	s_and_saveexec_b64 s[6:7], s[4:5]
	s_cbranch_execnz .LBB3_1107
	s_branch .LBB3_1108
.LBB3_3157:
	s_movk_i32 s4, 0x80
	v_cmp_eq_u16_e32 vcc, s4, v11
	s_mov_b64 s[4:5], -1
                                        ; implicit-def: $sgpr10
	s_and_saveexec_b64 s[8:9], vcc
; %bb.3158:
	s_mov_b32 s10, 0x7f800001
	s_xor_b64 s[4:5], exec, -1
; %bb.3159:
	s_or_b64 exec, exec, s[8:9]
	s_and_b64 s[4:5], s[4:5], exec
                                        ; implicit-def: $vgpr11
	s_or_saveexec_b64 s[6:7], s[6:7]
	v_mov_b32_e32 v14, s10
	s_xor_b64 exec, exec, s[6:7]
	s_cbranch_execz .LBB3_1110
.LBB3_3160:
	v_cmp_ne_u16_e32 vcc, 0, v11
	s_andn2_b64 s[4:5], s[4:5], exec
	s_and_b64 s[8:9], vcc, exec
	v_mov_b32_e32 v14, 0
	s_or_b64 s[4:5], s[4:5], s[8:9]
	s_or_b64 exec, exec, s[6:7]
	s_and_saveexec_b64 s[6:7], s[4:5]
	s_cbranch_execnz .LBB3_1111
	s_branch .LBB3_1112
.LBB3_3161:
	s_movk_i32 s4, 0x80
	v_cmp_eq_u16_sdwa s[12:13], v16, s4 src0_sel:BYTE_3 src1_sel:DWORD
	s_mov_b64 s[4:5], -1
                                        ; implicit-def: $sgpr10
	s_and_saveexec_b64 s[8:9], s[12:13]
; %bb.3162:
	s_mov_b32 s10, 0x7f800001
	s_xor_b64 s[4:5], exec, -1
; %bb.3163:
	s_or_b64 exec, exec, s[8:9]
	s_and_b64 s[4:5], s[4:5], exec
	s_or_saveexec_b64 s[6:7], s[6:7]
	v_mov_b32_e32 v10, s10
	s_xor_b64 exec, exec, s[6:7]
	s_cbranch_execz .LBB3_1114
.LBB3_3164:
	v_mov_b32_e32 v10, 0
	v_cmp_ne_u16_sdwa s[8:9], v16, v10 src0_sel:BYTE_3 src1_sel:DWORD
	s_andn2_b64 s[4:5], s[4:5], exec
	s_and_b64 s[8:9], s[8:9], exec
	s_or_b64 s[4:5], s[4:5], s[8:9]
	s_or_b64 exec, exec, s[6:7]
	s_and_saveexec_b64 s[6:7], s[4:5]
	s_cbranch_execnz .LBB3_1115
	s_branch .LBB3_1116
.LBB3_3165:
	s_movk_i32 s4, 0x80
	v_cmp_eq_u16_sdwa s[12:13], v12, s4 src0_sel:BYTE_3 src1_sel:DWORD
	s_mov_b64 s[4:5], -1
                                        ; implicit-def: $sgpr10
	s_and_saveexec_b64 s[8:9], s[12:13]
; %bb.3166:
	s_mov_b32 s10, 0x7f800001
	s_xor_b64 s[4:5], exec, -1
; %bb.3167:
	s_or_b64 exec, exec, s[8:9]
	s_and_b64 s[4:5], s[4:5], exec
	s_or_saveexec_b64 s[6:7], s[6:7]
	v_mov_b32_e32 v11, s10
	s_xor_b64 exec, exec, s[6:7]
	s_cbranch_execz .LBB3_1118
.LBB3_3168:
	v_mov_b32_e32 v11, 0
	v_cmp_ne_u16_sdwa s[8:9], v12, v11 src0_sel:BYTE_3 src1_sel:DWORD
	s_andn2_b64 s[4:5], s[4:5], exec
	s_and_b64 s[8:9], s[8:9], exec
	s_or_b64 s[4:5], s[4:5], s[8:9]
	s_or_b64 exec, exec, s[6:7]
	s_and_saveexec_b64 s[6:7], s[4:5]
	s_cbranch_execnz .LBB3_1119
	s_branch .LBB3_1120
.LBB3_3169:
	s_movk_i32 s4, 0x80
	v_cmp_eq_u16_sdwa s[12:13], v17, s4 src0_sel:BYTE_0 src1_sel:DWORD
	s_mov_b64 s[4:5], -1
                                        ; implicit-def: $sgpr10
	s_and_saveexec_b64 s[8:9], s[12:13]
; %bb.3170:
	s_mov_b32 s10, 0x7f800001
	s_xor_b64 s[4:5], exec, -1
; %bb.3171:
	s_or_b64 exec, exec, s[8:9]
	s_and_b64 s[4:5], s[4:5], exec
	s_or_saveexec_b64 s[6:7], s[6:7]
	v_mov_b32_e32 v10, s10
	s_xor_b64 exec, exec, s[6:7]
	s_cbranch_execz .LBB3_1122
.LBB3_3172:
	v_mov_b32_e32 v10, 0
	v_cmp_ne_u16_sdwa s[8:9], v17, v10 src0_sel:BYTE_0 src1_sel:DWORD
	s_andn2_b64 s[4:5], s[4:5], exec
	s_and_b64 s[8:9], s[8:9], exec
	s_or_b64 s[4:5], s[4:5], s[8:9]
	s_or_b64 exec, exec, s[6:7]
	s_and_saveexec_b64 s[6:7], s[4:5]
	s_cbranch_execnz .LBB3_1123
	s_branch .LBB3_1124
.LBB3_3173:
	s_movk_i32 s4, 0x80
	v_cmp_eq_u16_sdwa s[12:13], v13, s4 src0_sel:BYTE_0 src1_sel:DWORD
	s_mov_b64 s[4:5], -1
                                        ; implicit-def: $sgpr10
	s_and_saveexec_b64 s[8:9], s[12:13]
; %bb.3174:
	s_mov_b32 s10, 0x7f800001
	s_xor_b64 s[4:5], exec, -1
; %bb.3175:
	s_or_b64 exec, exec, s[8:9]
	s_and_b64 s[4:5], s[4:5], exec
	s_or_saveexec_b64 s[6:7], s[6:7]
	v_mov_b32_e32 v11, s10
	s_xor_b64 exec, exec, s[6:7]
	s_cbranch_execz .LBB3_1126
.LBB3_3176:
	v_mov_b32_e32 v11, 0
	v_cmp_ne_u16_sdwa s[8:9], v13, v11 src0_sel:BYTE_0 src1_sel:DWORD
	s_andn2_b64 s[4:5], s[4:5], exec
	s_and_b64 s[8:9], s[8:9], exec
	s_or_b64 s[4:5], s[4:5], s[8:9]
	s_or_b64 exec, exec, s[6:7]
	s_and_saveexec_b64 s[6:7], s[4:5]
	s_cbranch_execnz .LBB3_1127
	s_branch .LBB3_1128
.LBB3_3177:
	s_movk_i32 s4, 0x80
	v_cmp_eq_u16_sdwa s[12:13], v11, s4 src0_sel:BYTE_0 src1_sel:DWORD
	s_mov_b64 s[4:5], -1
                                        ; implicit-def: $sgpr10
	s_and_saveexec_b64 s[8:9], s[12:13]
; %bb.3178:
	s_mov_b32 s10, 0x7f800001
	s_xor_b64 s[4:5], exec, -1
; %bb.3179:
	s_or_b64 exec, exec, s[8:9]
	s_and_b64 s[4:5], s[4:5], exec
	s_or_saveexec_b64 s[6:7], s[6:7]
	v_mov_b32_e32 v10, s10
	s_xor_b64 exec, exec, s[6:7]
	s_cbranch_execz .LBB3_1130
.LBB3_3180:
	v_mov_b32_e32 v10, 0
	v_cmp_ne_u16_sdwa s[8:9], v11, v10 src0_sel:BYTE_0 src1_sel:DWORD
	s_andn2_b64 s[4:5], s[4:5], exec
	s_and_b64 s[8:9], s[8:9], exec
	s_or_b64 s[4:5], s[4:5], s[8:9]
	s_or_b64 exec, exec, s[6:7]
	s_and_saveexec_b64 s[6:7], s[4:5]
	s_cbranch_execnz .LBB3_1131
	s_branch .LBB3_1132
.LBB3_3181:
	s_movk_i32 s4, 0x80
	v_cmp_eq_u16_sdwa s[12:13], v11, s4 src0_sel:BYTE_0 src1_sel:DWORD
	s_mov_b64 s[4:5], -1
                                        ; implicit-def: $sgpr10
	s_and_saveexec_b64 s[8:9], s[12:13]
; %bb.3182:
	s_mov_b32 s10, 0x7f800001
	s_xor_b64 s[4:5], exec, -1
; %bb.3183:
	s_or_b64 exec, exec, s[8:9]
	s_and_b64 s[4:5], s[4:5], exec
	s_or_saveexec_b64 s[6:7], s[6:7]
	v_mov_b32_e32 v12, s10
	s_xor_b64 exec, exec, s[6:7]
	s_cbranch_execz .LBB3_1134
.LBB3_3184:
	v_mov_b32_e32 v12, 0
	v_cmp_ne_u16_sdwa s[8:9], v11, v12 src0_sel:BYTE_0 src1_sel:DWORD
	s_andn2_b64 s[4:5], s[4:5], exec
	s_and_b64 s[8:9], s[8:9], exec
	s_or_b64 s[4:5], s[4:5], s[8:9]
	s_or_b64 exec, exec, s[6:7]
	s_and_saveexec_b64 s[6:7], s[4:5]
	s_cbranch_execnz .LBB3_1135
	s_branch .LBB3_1136
.LBB3_3185:
	s_movk_i32 s4, 0x80
	v_cmp_eq_u16_e32 vcc, s4, v11
	s_mov_b64 s[4:5], -1
                                        ; implicit-def: $sgpr10
	s_and_saveexec_b64 s[8:9], vcc
; %bb.3186:
	s_mov_b32 s10, 0x7f800001
	s_xor_b64 s[4:5], exec, -1
; %bb.3187:
	s_or_b64 exec, exec, s[8:9]
	s_and_b64 s[4:5], s[4:5], exec
                                        ; implicit-def: $vgpr11
	s_or_saveexec_b64 s[6:7], s[6:7]
	v_mov_b32_e32 v10, s10
	s_xor_b64 exec, exec, s[6:7]
	s_cbranch_execz .LBB3_1138
.LBB3_3188:
	v_cmp_ne_u16_e32 vcc, 0, v11
	s_andn2_b64 s[4:5], s[4:5], exec
	s_and_b64 s[8:9], vcc, exec
	v_mov_b32_e32 v10, 0
	s_or_b64 s[4:5], s[4:5], s[8:9]
	s_or_b64 exec, exec, s[6:7]
	s_and_saveexec_b64 s[6:7], s[4:5]
	s_cbranch_execnz .LBB3_1139
	s_branch .LBB3_1140
.LBB3_3189:
	s_movk_i32 s4, 0x80
	v_cmp_eq_u16_e32 vcc, s4, v11
	s_mov_b64 s[4:5], -1
                                        ; implicit-def: $sgpr10
	s_and_saveexec_b64 s[8:9], vcc
; %bb.3190:
	s_mov_b32 s10, 0x7f800001
	s_xor_b64 s[4:5], exec, -1
; %bb.3191:
	s_or_b64 exec, exec, s[8:9]
	s_and_b64 s[4:5], s[4:5], exec
                                        ; implicit-def: $vgpr11
	s_or_saveexec_b64 s[6:7], s[6:7]
	v_mov_b32_e32 v12, s10
	s_xor_b64 exec, exec, s[6:7]
	s_cbranch_execz .LBB3_1142
.LBB3_3192:
	v_cmp_ne_u16_e32 vcc, 0, v11
	s_andn2_b64 s[4:5], s[4:5], exec
	s_and_b64 s[8:9], vcc, exec
	v_mov_b32_e32 v12, 0
	s_or_b64 s[4:5], s[4:5], s[8:9]
	s_or_b64 exec, exec, s[6:7]
	s_and_saveexec_b64 s[6:7], s[4:5]
	s_cbranch_execnz .LBB3_1143
	s_branch .LBB3_1144
.LBB3_3193:
	s_movk_i32 s4, 0x80
	v_cmp_eq_u16_sdwa s[12:13], v17, s4 src0_sel:BYTE_3 src1_sel:DWORD
	s_mov_b64 s[4:5], -1
                                        ; implicit-def: $sgpr10
	s_and_saveexec_b64 s[8:9], s[12:13]
; %bb.3194:
	s_mov_b32 s10, 0x7f800001
	s_xor_b64 s[4:5], exec, -1
; %bb.3195:
	s_or_b64 exec, exec, s[8:9]
	s_and_b64 s[4:5], s[4:5], exec
	s_or_saveexec_b64 s[6:7], s[6:7]
	v_mov_b32_e32 v10, s10
	s_xor_b64 exec, exec, s[6:7]
	s_cbranch_execz .LBB3_1146
.LBB3_3196:
	v_mov_b32_e32 v10, 0
	v_cmp_ne_u16_sdwa s[8:9], v17, v10 src0_sel:BYTE_3 src1_sel:DWORD
	s_andn2_b64 s[4:5], s[4:5], exec
	s_and_b64 s[8:9], s[8:9], exec
	s_or_b64 s[4:5], s[4:5], s[8:9]
	s_or_b64 exec, exec, s[6:7]
	s_and_saveexec_b64 s[6:7], s[4:5]
	s_cbranch_execnz .LBB3_1147
	s_branch .LBB3_1148
.LBB3_3197:
	s_movk_i32 s4, 0x80
	v_cmp_eq_u16_sdwa s[12:13], v13, s4 src0_sel:BYTE_3 src1_sel:DWORD
	s_mov_b64 s[4:5], -1
                                        ; implicit-def: $sgpr10
	s_and_saveexec_b64 s[8:9], s[12:13]
; %bb.3198:
	s_mov_b32 s10, 0x7f800001
	s_xor_b64 s[4:5], exec, -1
; %bb.3199:
	s_or_b64 exec, exec, s[8:9]
	s_and_b64 s[4:5], s[4:5], exec
	s_or_saveexec_b64 s[6:7], s[6:7]
	v_mov_b32_e32 v11, s10
	s_xor_b64 exec, exec, s[6:7]
	s_cbranch_execz .LBB3_1150
.LBB3_3200:
	v_mov_b32_e32 v11, 0
	v_cmp_ne_u16_sdwa s[8:9], v13, v11 src0_sel:BYTE_3 src1_sel:DWORD
	s_andn2_b64 s[4:5], s[4:5], exec
	s_and_b64 s[8:9], s[8:9], exec
	s_or_b64 s[4:5], s[4:5], s[8:9]
	s_or_b64 exec, exec, s[6:7]
	s_and_saveexec_b64 s[6:7], s[4:5]
	s_cbranch_execnz .LBB3_1151
	s_branch .LBB3_1152
.LBB3_3201:
	s_movk_i32 s4, 0x80
	v_cmp_eq_u16_sdwa s[12:13], v6, s4 src0_sel:BYTE_0 src1_sel:DWORD
	s_mov_b64 s[4:5], -1
                                        ; implicit-def: $sgpr10
	s_and_saveexec_b64 s[8:9], s[12:13]
; %bb.3202:
	s_mov_b32 s10, 0x7f800001
	s_xor_b64 s[4:5], exec, -1
; %bb.3203:
	s_or_b64 exec, exec, s[8:9]
	s_and_b64 s[4:5], s[4:5], exec
	s_or_saveexec_b64 s[6:7], s[6:7]
	v_mov_b32_e32 v10, s10
	s_xor_b64 exec, exec, s[6:7]
	s_cbranch_execz .LBB3_1154
.LBB3_3204:
	v_mov_b32_e32 v10, 0
	v_cmp_ne_u16_sdwa s[8:9], v6, v10 src0_sel:BYTE_0 src1_sel:DWORD
	s_andn2_b64 s[4:5], s[4:5], exec
	s_and_b64 s[8:9], s[8:9], exec
	s_or_b64 s[4:5], s[4:5], s[8:9]
	s_or_b64 exec, exec, s[6:7]
	s_and_saveexec_b64 s[6:7], s[4:5]
	s_cbranch_execnz .LBB3_1155
	s_branch .LBB3_1156
.LBB3_3205:
	s_movk_i32 s4, 0x80
	v_cmp_eq_u16_sdwa s[12:13], v2, s4 src0_sel:BYTE_0 src1_sel:DWORD
	s_mov_b64 s[4:5], -1
                                        ; implicit-def: $sgpr10
	s_and_saveexec_b64 s[8:9], s[12:13]
; %bb.3206:
	s_mov_b32 s10, 0x7f800001
	s_xor_b64 s[4:5], exec, -1
; %bb.3207:
	s_or_b64 exec, exec, s[8:9]
	s_and_b64 s[4:5], s[4:5], exec
	s_or_saveexec_b64 s[6:7], s[6:7]
	v_mov_b32_e32 v11, s10
	s_xor_b64 exec, exec, s[6:7]
	s_cbranch_execz .LBB3_1158
.LBB3_3208:
	v_mov_b32_e32 v11, 0
	v_cmp_ne_u16_sdwa s[8:9], v2, v11 src0_sel:BYTE_0 src1_sel:DWORD
	s_andn2_b64 s[4:5], s[4:5], exec
	s_and_b64 s[8:9], s[8:9], exec
	s_or_b64 s[4:5], s[4:5], s[8:9]
	s_or_b64 exec, exec, s[6:7]
	s_and_saveexec_b64 s[6:7], s[4:5]
	s_cbranch_execnz .LBB3_1159
	s_branch .LBB3_1160
.LBB3_3209:
	s_movk_i32 s4, 0x80
	v_cmp_eq_u16_sdwa s[12:13], v11, s4 src0_sel:BYTE_0 src1_sel:DWORD
	s_mov_b64 s[4:5], -1
                                        ; implicit-def: $sgpr10
	s_and_saveexec_b64 s[8:9], s[12:13]
; %bb.3210:
	s_mov_b32 s10, 0x7f800001
	s_xor_b64 s[4:5], exec, -1
; %bb.3211:
	s_or_b64 exec, exec, s[8:9]
	s_and_b64 s[4:5], s[4:5], exec
	s_or_saveexec_b64 s[6:7], s[6:7]
	v_mov_b32_e32 v10, s10
	s_xor_b64 exec, exec, s[6:7]
	s_cbranch_execz .LBB3_1162
.LBB3_3212:
	v_mov_b32_e32 v10, 0
	v_cmp_ne_u16_sdwa s[8:9], v11, v10 src0_sel:BYTE_0 src1_sel:DWORD
	s_andn2_b64 s[4:5], s[4:5], exec
	s_and_b64 s[8:9], s[8:9], exec
	s_or_b64 s[4:5], s[4:5], s[8:9]
	s_or_b64 exec, exec, s[6:7]
	s_and_saveexec_b64 s[6:7], s[4:5]
	s_cbranch_execnz .LBB3_1163
	s_branch .LBB3_1164
.LBB3_3213:
	s_movk_i32 s4, 0x80
	v_cmp_eq_u16_sdwa s[12:13], v11, s4 src0_sel:BYTE_0 src1_sel:DWORD
	s_mov_b64 s[4:5], -1
                                        ; implicit-def: $sgpr10
	s_and_saveexec_b64 s[8:9], s[12:13]
; %bb.3214:
	s_mov_b32 s10, 0x7f800001
	s_xor_b64 s[4:5], exec, -1
; %bb.3215:
	s_or_b64 exec, exec, s[8:9]
	s_and_b64 s[4:5], s[4:5], exec
	s_or_saveexec_b64 s[6:7], s[6:7]
	v_mov_b32_e32 v12, s10
	s_xor_b64 exec, exec, s[6:7]
	s_cbranch_execz .LBB3_1166
.LBB3_3216:
	v_mov_b32_e32 v12, 0
	v_cmp_ne_u16_sdwa s[8:9], v11, v12 src0_sel:BYTE_0 src1_sel:DWORD
	s_andn2_b64 s[4:5], s[4:5], exec
	s_and_b64 s[8:9], s[8:9], exec
	s_or_b64 s[4:5], s[4:5], s[8:9]
	s_or_b64 exec, exec, s[6:7]
	s_and_saveexec_b64 s[6:7], s[4:5]
	s_cbranch_execnz .LBB3_1167
	s_branch .LBB3_1168
.LBB3_3217:
	s_movk_i32 s4, 0x80
	v_cmp_eq_u16_e32 vcc, s4, v11
	s_mov_b64 s[4:5], -1
                                        ; implicit-def: $sgpr10
	s_and_saveexec_b64 s[8:9], vcc
; %bb.3218:
	s_mov_b32 s10, 0x7f800001
	s_xor_b64 s[4:5], exec, -1
; %bb.3219:
	s_or_b64 exec, exec, s[8:9]
	s_and_b64 s[4:5], s[4:5], exec
                                        ; implicit-def: $vgpr11
	s_or_saveexec_b64 s[6:7], s[6:7]
	v_mov_b32_e32 v10, s10
	s_xor_b64 exec, exec, s[6:7]
	s_cbranch_execz .LBB3_1170
.LBB3_3220:
	v_cmp_ne_u16_e32 vcc, 0, v11
	s_andn2_b64 s[4:5], s[4:5], exec
	s_and_b64 s[8:9], vcc, exec
	v_mov_b32_e32 v10, 0
	s_or_b64 s[4:5], s[4:5], s[8:9]
	s_or_b64 exec, exec, s[6:7]
	s_and_saveexec_b64 s[6:7], s[4:5]
	s_cbranch_execnz .LBB3_1171
	s_branch .LBB3_1172
.LBB3_3221:
	s_movk_i32 s4, 0x80
	v_cmp_eq_u16_e32 vcc, s4, v11
	s_mov_b64 s[4:5], -1
                                        ; implicit-def: $sgpr10
	s_and_saveexec_b64 s[8:9], vcc
; %bb.3222:
	s_mov_b32 s10, 0x7f800001
	s_xor_b64 s[4:5], exec, -1
; %bb.3223:
	s_or_b64 exec, exec, s[8:9]
	s_and_b64 s[4:5], s[4:5], exec
                                        ; implicit-def: $vgpr11
	s_or_saveexec_b64 s[6:7], s[6:7]
	v_mov_b32_e32 v12, s10
	s_xor_b64 exec, exec, s[6:7]
	s_cbranch_execz .LBB3_1174
.LBB3_3224:
	v_cmp_ne_u16_e32 vcc, 0, v11
	s_andn2_b64 s[4:5], s[4:5], exec
	s_and_b64 s[8:9], vcc, exec
	v_mov_b32_e32 v12, 0
	s_or_b64 s[4:5], s[4:5], s[8:9]
	s_or_b64 exec, exec, s[6:7]
	s_and_saveexec_b64 s[6:7], s[4:5]
	s_cbranch_execnz .LBB3_1175
	s_branch .LBB3_1176
.LBB3_3225:
	s_movk_i32 s4, 0x80
	v_cmp_eq_u16_sdwa s[12:13], v6, s4 src0_sel:BYTE_3 src1_sel:DWORD
	s_mov_b64 s[4:5], -1
                                        ; implicit-def: $sgpr10
	s_and_saveexec_b64 s[8:9], s[12:13]
; %bb.3226:
	s_mov_b32 s10, 0x7f800001
	s_xor_b64 s[4:5], exec, -1
; %bb.3227:
	s_or_b64 exec, exec, s[8:9]
	s_and_b64 s[4:5], s[4:5], exec
	s_or_saveexec_b64 s[6:7], s[6:7]
	v_mov_b32_e32 v10, s10
	s_xor_b64 exec, exec, s[6:7]
	s_cbranch_execz .LBB3_1178
.LBB3_3228:
	v_mov_b32_e32 v10, 0
	v_cmp_ne_u16_sdwa s[8:9], v6, v10 src0_sel:BYTE_3 src1_sel:DWORD
	s_andn2_b64 s[4:5], s[4:5], exec
	s_and_b64 s[8:9], s[8:9], exec
	s_or_b64 s[4:5], s[4:5], s[8:9]
	s_or_b64 exec, exec, s[6:7]
	s_and_saveexec_b64 s[6:7], s[4:5]
	s_cbranch_execnz .LBB3_1179
	s_branch .LBB3_1180
.LBB3_3229:
	s_movk_i32 s4, 0x80
	v_cmp_eq_u16_sdwa s[12:13], v2, s4 src0_sel:BYTE_3 src1_sel:DWORD
	s_mov_b64 s[4:5], -1
                                        ; implicit-def: $sgpr10
	s_and_saveexec_b64 s[8:9], s[12:13]
; %bb.3230:
	s_mov_b32 s10, 0x7f800001
	s_xor_b64 s[4:5], exec, -1
; %bb.3231:
	s_or_b64 exec, exec, s[8:9]
	s_and_b64 s[4:5], s[4:5], exec
	s_or_saveexec_b64 s[6:7], s[6:7]
	v_mov_b32_e32 v6, s10
	s_xor_b64 exec, exec, s[6:7]
	s_cbranch_execz .LBB3_1182
.LBB3_3232:
	v_mov_b32_e32 v6, 0
	v_cmp_ne_u16_sdwa s[8:9], v2, v6 src0_sel:BYTE_3 src1_sel:DWORD
	s_andn2_b64 s[4:5], s[4:5], exec
	s_and_b64 s[8:9], s[8:9], exec
	s_or_b64 s[4:5], s[4:5], s[8:9]
	s_or_b64 exec, exec, s[6:7]
	s_and_saveexec_b64 s[6:7], s[4:5]
	s_cbranch_execnz .LBB3_1183
	s_branch .LBB3_1184
.LBB3_3233:
	s_movk_i32 s4, 0x80
	v_cmp_eq_u16_sdwa s[12:13], v7, s4 src0_sel:BYTE_0 src1_sel:DWORD
	s_mov_b64 s[4:5], -1
                                        ; implicit-def: $sgpr10
	s_and_saveexec_b64 s[8:9], s[12:13]
; %bb.3234:
	s_mov_b32 s10, 0x7f800001
	s_xor_b64 s[4:5], exec, -1
; %bb.3235:
	s_or_b64 exec, exec, s[8:9]
	s_and_b64 s[4:5], s[4:5], exec
	s_or_saveexec_b64 s[6:7], s[6:7]
	v_mov_b32_e32 v2, s10
	s_xor_b64 exec, exec, s[6:7]
	s_cbranch_execz .LBB3_1186
.LBB3_3236:
	v_mov_b32_e32 v2, 0
	v_cmp_ne_u16_sdwa s[8:9], v7, v2 src0_sel:BYTE_0 src1_sel:DWORD
	s_andn2_b64 s[4:5], s[4:5], exec
	s_and_b64 s[8:9], s[8:9], exec
	s_or_b64 s[4:5], s[4:5], s[8:9]
	s_or_b64 exec, exec, s[6:7]
	s_and_saveexec_b64 s[6:7], s[4:5]
	s_cbranch_execnz .LBB3_1187
	s_branch .LBB3_1188
.LBB3_3237:
	s_movk_i32 s4, 0x80
	v_cmp_eq_u16_sdwa s[12:13], v3, s4 src0_sel:BYTE_0 src1_sel:DWORD
	s_mov_b64 s[4:5], -1
                                        ; implicit-def: $sgpr10
	s_and_saveexec_b64 s[8:9], s[12:13]
; %bb.3238:
	s_mov_b32 s10, 0x7f800001
	s_xor_b64 s[4:5], exec, -1
; %bb.3239:
	s_or_b64 exec, exec, s[8:9]
	s_and_b64 s[4:5], s[4:5], exec
	s_or_saveexec_b64 s[6:7], s[6:7]
	v_mov_b32_e32 v6, s10
	s_xor_b64 exec, exec, s[6:7]
	s_cbranch_execz .LBB3_1190
.LBB3_3240:
	v_mov_b32_e32 v6, 0
	v_cmp_ne_u16_sdwa s[8:9], v3, v6 src0_sel:BYTE_0 src1_sel:DWORD
	s_andn2_b64 s[4:5], s[4:5], exec
	s_and_b64 s[8:9], s[8:9], exec
	s_or_b64 s[4:5], s[4:5], s[8:9]
	s_or_b64 exec, exec, s[6:7]
	s_and_saveexec_b64 s[6:7], s[4:5]
	s_cbranch_execnz .LBB3_1191
	s_branch .LBB3_1192
.LBB3_3241:
	s_movk_i32 s4, 0x80
	v_cmp_eq_u16_sdwa s[12:13], v6, s4 src0_sel:BYTE_0 src1_sel:DWORD
	s_mov_b64 s[4:5], -1
                                        ; implicit-def: $sgpr10
	s_and_saveexec_b64 s[8:9], s[12:13]
; %bb.3242:
	s_mov_b32 s10, 0x7f800001
	s_xor_b64 s[4:5], exec, -1
; %bb.3243:
	s_or_b64 exec, exec, s[8:9]
	s_and_b64 s[4:5], s[4:5], exec
	s_or_saveexec_b64 s[6:7], s[6:7]
	v_mov_b32_e32 v2, s10
	s_xor_b64 exec, exec, s[6:7]
	s_cbranch_execz .LBB3_1194
.LBB3_3244:
	v_mov_b32_e32 v2, 0
	v_cmp_ne_u16_sdwa s[8:9], v6, v2 src0_sel:BYTE_0 src1_sel:DWORD
	s_andn2_b64 s[4:5], s[4:5], exec
	s_and_b64 s[8:9], s[8:9], exec
	s_or_b64 s[4:5], s[4:5], s[8:9]
	s_or_b64 exec, exec, s[6:7]
	s_and_saveexec_b64 s[6:7], s[4:5]
	s_cbranch_execnz .LBB3_1195
	s_branch .LBB3_1196
.LBB3_3245:
	s_movk_i32 s4, 0x80
	v_cmp_eq_u16_sdwa s[12:13], v6, s4 src0_sel:BYTE_0 src1_sel:DWORD
	s_mov_b64 s[4:5], -1
                                        ; implicit-def: $sgpr10
	s_and_saveexec_b64 s[8:9], s[12:13]
; %bb.3246:
	s_mov_b32 s10, 0x7f800001
	s_xor_b64 s[4:5], exec, -1
; %bb.3247:
	s_or_b64 exec, exec, s[8:9]
	s_and_b64 s[4:5], s[4:5], exec
	s_or_saveexec_b64 s[6:7], s[6:7]
	v_mov_b32_e32 v10, s10
	s_xor_b64 exec, exec, s[6:7]
	s_cbranch_execz .LBB3_1198
.LBB3_3248:
	v_mov_b32_e32 v10, 0
	v_cmp_ne_u16_sdwa s[8:9], v6, v10 src0_sel:BYTE_0 src1_sel:DWORD
	s_andn2_b64 s[4:5], s[4:5], exec
	s_and_b64 s[8:9], s[8:9], exec
	s_or_b64 s[4:5], s[4:5], s[8:9]
	s_or_b64 exec, exec, s[6:7]
	s_and_saveexec_b64 s[6:7], s[4:5]
	s_cbranch_execnz .LBB3_1199
	s_branch .LBB3_1200
.LBB3_3249:
	s_movk_i32 s4, 0x80
	v_cmp_eq_u16_e32 vcc, s4, v6
	s_mov_b64 s[4:5], -1
                                        ; implicit-def: $sgpr10
	s_and_saveexec_b64 s[8:9], vcc
; %bb.3250:
	s_mov_b32 s10, 0x7f800001
	s_xor_b64 s[4:5], exec, -1
; %bb.3251:
	s_or_b64 exec, exec, s[8:9]
	s_and_b64 s[4:5], s[4:5], exec
                                        ; implicit-def: $vgpr6
	s_or_saveexec_b64 s[6:7], s[6:7]
	v_mov_b32_e32 v2, s10
	s_xor_b64 exec, exec, s[6:7]
	s_cbranch_execz .LBB3_1202
.LBB3_3252:
	v_cmp_ne_u16_e32 vcc, 0, v6
	s_andn2_b64 s[4:5], s[4:5], exec
	s_and_b64 s[8:9], vcc, exec
	v_mov_b32_e32 v2, 0
	s_or_b64 s[4:5], s[4:5], s[8:9]
	s_or_b64 exec, exec, s[6:7]
	s_and_saveexec_b64 s[6:7], s[4:5]
	s_cbranch_execnz .LBB3_1203
	s_branch .LBB3_1204
.LBB3_3253:
	s_movk_i32 s4, 0x80
	v_cmp_eq_u16_e32 vcc, s4, v6
	s_mov_b64 s[4:5], -1
                                        ; implicit-def: $sgpr10
	s_and_saveexec_b64 s[8:9], vcc
; %bb.3254:
	s_mov_b32 s10, 0x7f800001
	s_xor_b64 s[4:5], exec, -1
; %bb.3255:
	s_or_b64 exec, exec, s[8:9]
	s_and_b64 s[4:5], s[4:5], exec
                                        ; implicit-def: $vgpr6
	s_or_saveexec_b64 s[6:7], s[6:7]
	v_mov_b32_e32 v10, s10
	s_xor_b64 exec, exec, s[6:7]
	s_cbranch_execz .LBB3_1206
.LBB3_3256:
	v_cmp_ne_u16_e32 vcc, 0, v6
	s_andn2_b64 s[4:5], s[4:5], exec
	s_and_b64 s[8:9], vcc, exec
	v_mov_b32_e32 v10, 0
	s_or_b64 s[4:5], s[4:5], s[8:9]
	s_or_b64 exec, exec, s[6:7]
	s_and_saveexec_b64 s[6:7], s[4:5]
	s_cbranch_execnz .LBB3_1207
	s_branch .LBB3_1208
.LBB3_3257:
	s_movk_i32 s4, 0x80
	v_cmp_eq_u16_sdwa s[12:13], v7, s4 src0_sel:BYTE_3 src1_sel:DWORD
	s_mov_b64 s[4:5], -1
                                        ; implicit-def: $sgpr10
	s_and_saveexec_b64 s[8:9], s[12:13]
; %bb.3258:
	s_mov_b32 s10, 0x7f800001
	s_xor_b64 s[4:5], exec, -1
; %bb.3259:
	s_or_b64 exec, exec, s[8:9]
	s_and_b64 s[4:5], s[4:5], exec
	s_or_saveexec_b64 s[6:7], s[6:7]
	v_mov_b32_e32 v2, s10
	s_xor_b64 exec, exec, s[6:7]
	s_cbranch_execz .LBB3_1210
.LBB3_3260:
	v_mov_b32_e32 v2, 0
	v_cmp_ne_u16_sdwa s[8:9], v7, v2 src0_sel:BYTE_3 src1_sel:DWORD
	s_andn2_b64 s[4:5], s[4:5], exec
	s_and_b64 s[8:9], s[8:9], exec
	s_or_b64 s[4:5], s[4:5], s[8:9]
	s_or_b64 exec, exec, s[6:7]
	s_and_saveexec_b64 s[6:7], s[4:5]
	s_cbranch_execnz .LBB3_1211
	s_branch .LBB3_1212
.LBB3_3261:
	s_movk_i32 s4, 0x80
	v_cmp_eq_u16_sdwa s[12:13], v3, s4 src0_sel:BYTE_3 src1_sel:DWORD
	s_mov_b64 s[4:5], -1
                                        ; implicit-def: $sgpr10
	s_and_saveexec_b64 s[8:9], s[12:13]
; %bb.3262:
	s_mov_b32 s10, 0x7f800001
	s_xor_b64 s[4:5], exec, -1
; %bb.3263:
	s_or_b64 exec, exec, s[8:9]
	s_and_b64 s[4:5], s[4:5], exec
	s_or_saveexec_b64 s[6:7], s[6:7]
	v_mov_b32_e32 v6, s10
	s_xor_b64 exec, exec, s[6:7]
	s_cbranch_execz .LBB3_1214
.LBB3_3264:
	v_mov_b32_e32 v6, 0
	v_cmp_ne_u16_sdwa s[8:9], v3, v6 src0_sel:BYTE_3 src1_sel:DWORD
	s_andn2_b64 s[4:5], s[4:5], exec
	s_and_b64 s[8:9], s[8:9], exec
	s_or_b64 s[4:5], s[4:5], s[8:9]
	s_or_b64 exec, exec, s[6:7]
	s_and_saveexec_b64 s[6:7], s[4:5]
	s_cbranch_execnz .LBB3_1215
	s_branch .LBB3_1216
.LBB3_3265:
	s_movk_i32 s4, 0x80
	v_cmp_eq_u16_sdwa s[12:13], v8, s4 src0_sel:BYTE_0 src1_sel:DWORD
	s_mov_b64 s[4:5], -1
                                        ; implicit-def: $sgpr10
	s_and_saveexec_b64 s[8:9], s[12:13]
; %bb.3266:
	s_mov_b32 s10, 0x7f800001
	s_xor_b64 s[4:5], exec, -1
; %bb.3267:
	s_or_b64 exec, exec, s[8:9]
	s_and_b64 s[4:5], s[4:5], exec
	s_or_saveexec_b64 s[6:7], s[6:7]
	v_mov_b32_e32 v2, s10
	s_xor_b64 exec, exec, s[6:7]
	s_cbranch_execz .LBB3_1218
.LBB3_3268:
	v_mov_b32_e32 v2, 0
	v_cmp_ne_u16_sdwa s[8:9], v8, v2 src0_sel:BYTE_0 src1_sel:DWORD
	s_andn2_b64 s[4:5], s[4:5], exec
	s_and_b64 s[8:9], s[8:9], exec
	s_or_b64 s[4:5], s[4:5], s[8:9]
	s_or_b64 exec, exec, s[6:7]
	s_and_saveexec_b64 s[6:7], s[4:5]
	s_cbranch_execnz .LBB3_1219
	s_branch .LBB3_1220
.LBB3_3269:
	s_movk_i32 s4, 0x80
	v_cmp_eq_u16_sdwa s[12:13], v4, s4 src0_sel:BYTE_0 src1_sel:DWORD
	s_mov_b64 s[4:5], -1
                                        ; implicit-def: $sgpr10
	s_and_saveexec_b64 s[8:9], s[12:13]
; %bb.3270:
	s_mov_b32 s10, 0x7f800001
	s_xor_b64 s[4:5], exec, -1
; %bb.3271:
	s_or_b64 exec, exec, s[8:9]
	s_and_b64 s[4:5], s[4:5], exec
	s_or_saveexec_b64 s[6:7], s[6:7]
	v_mov_b32_e32 v3, s10
	s_xor_b64 exec, exec, s[6:7]
	s_cbranch_execz .LBB3_1222
.LBB3_3272:
	v_mov_b32_e32 v3, 0
	v_cmp_ne_u16_sdwa s[8:9], v4, v3 src0_sel:BYTE_0 src1_sel:DWORD
	s_andn2_b64 s[4:5], s[4:5], exec
	s_and_b64 s[8:9], s[8:9], exec
	s_or_b64 s[4:5], s[4:5], s[8:9]
	s_or_b64 exec, exec, s[6:7]
	s_and_saveexec_b64 s[6:7], s[4:5]
	s_cbranch_execnz .LBB3_1223
	s_branch .LBB3_1224
.LBB3_3273:
	s_movk_i32 s4, 0x80
	v_cmp_eq_u16_sdwa s[12:13], v3, s4 src0_sel:BYTE_0 src1_sel:DWORD
	s_mov_b64 s[4:5], -1
                                        ; implicit-def: $sgpr10
	s_and_saveexec_b64 s[8:9], s[12:13]
; %bb.3274:
	s_mov_b32 s10, 0x7f800001
	s_xor_b64 s[4:5], exec, -1
; %bb.3275:
	s_or_b64 exec, exec, s[8:9]
	s_and_b64 s[4:5], s[4:5], exec
	s_or_saveexec_b64 s[6:7], s[6:7]
	v_mov_b32_e32 v2, s10
	s_xor_b64 exec, exec, s[6:7]
	s_cbranch_execz .LBB3_1226
.LBB3_3276:
	v_mov_b32_e32 v2, 0
	v_cmp_ne_u16_sdwa s[8:9], v3, v2 src0_sel:BYTE_0 src1_sel:DWORD
	s_andn2_b64 s[4:5], s[4:5], exec
	s_and_b64 s[8:9], s[8:9], exec
	s_or_b64 s[4:5], s[4:5], s[8:9]
	s_or_b64 exec, exec, s[6:7]
	s_and_saveexec_b64 s[6:7], s[4:5]
	s_cbranch_execnz .LBB3_1227
	s_branch .LBB3_1228
.LBB3_3277:
	s_movk_i32 s4, 0x80
	v_cmp_eq_u16_sdwa s[12:13], v3, s4 src0_sel:BYTE_0 src1_sel:DWORD
	s_mov_b64 s[4:5], -1
                                        ; implicit-def: $sgpr10
	s_and_saveexec_b64 s[8:9], s[12:13]
; %bb.3278:
	s_mov_b32 s10, 0x7f800001
	s_xor_b64 s[4:5], exec, -1
; %bb.3279:
	s_or_b64 exec, exec, s[8:9]
	s_and_b64 s[4:5], s[4:5], exec
	s_or_saveexec_b64 s[6:7], s[6:7]
	v_mov_b32_e32 v6, s10
	s_xor_b64 exec, exec, s[6:7]
	s_cbranch_execz .LBB3_1230
.LBB3_3280:
	v_mov_b32_e32 v6, 0
	v_cmp_ne_u16_sdwa s[8:9], v3, v6 src0_sel:BYTE_0 src1_sel:DWORD
	s_andn2_b64 s[4:5], s[4:5], exec
	s_and_b64 s[8:9], s[8:9], exec
	s_or_b64 s[4:5], s[4:5], s[8:9]
	s_or_b64 exec, exec, s[6:7]
	s_and_saveexec_b64 s[6:7], s[4:5]
	s_cbranch_execnz .LBB3_1231
	s_branch .LBB3_1232
.LBB3_3281:
	s_movk_i32 s4, 0x80
	v_cmp_eq_u16_e32 vcc, s4, v3
	s_mov_b64 s[4:5], -1
                                        ; implicit-def: $sgpr10
	s_and_saveexec_b64 s[8:9], vcc
; %bb.3282:
	s_mov_b32 s10, 0x7f800001
	s_xor_b64 s[4:5], exec, -1
; %bb.3283:
	s_or_b64 exec, exec, s[8:9]
	s_and_b64 s[4:5], s[4:5], exec
                                        ; implicit-def: $vgpr3
	s_or_saveexec_b64 s[6:7], s[6:7]
	v_mov_b32_e32 v2, s10
	s_xor_b64 exec, exec, s[6:7]
	s_cbranch_execz .LBB3_1234
.LBB3_3284:
	v_cmp_ne_u16_e32 vcc, 0, v3
	s_andn2_b64 s[4:5], s[4:5], exec
	s_and_b64 s[8:9], vcc, exec
	v_mov_b32_e32 v2, 0
	s_or_b64 s[4:5], s[4:5], s[8:9]
	s_or_b64 exec, exec, s[6:7]
	s_and_saveexec_b64 s[6:7], s[4:5]
	s_cbranch_execnz .LBB3_1235
	s_branch .LBB3_1236
.LBB3_3285:
	s_movk_i32 s4, 0x80
	v_cmp_eq_u16_e32 vcc, s4, v3
	s_mov_b64 s[4:5], -1
                                        ; implicit-def: $sgpr10
	s_and_saveexec_b64 s[8:9], vcc
; %bb.3286:
	s_mov_b32 s10, 0x7f800001
	s_xor_b64 s[4:5], exec, -1
; %bb.3287:
	s_or_b64 exec, exec, s[8:9]
	s_and_b64 s[4:5], s[4:5], exec
                                        ; implicit-def: $vgpr3
	s_or_saveexec_b64 s[6:7], s[6:7]
	v_mov_b32_e32 v6, s10
	s_xor_b64 exec, exec, s[6:7]
	s_cbranch_execz .LBB3_1238
.LBB3_3288:
	v_cmp_ne_u16_e32 vcc, 0, v3
	s_andn2_b64 s[4:5], s[4:5], exec
	s_and_b64 s[8:9], vcc, exec
	v_mov_b32_e32 v6, 0
	s_or_b64 s[4:5], s[4:5], s[8:9]
	s_or_b64 exec, exec, s[6:7]
	s_and_saveexec_b64 s[6:7], s[4:5]
	s_cbranch_execnz .LBB3_1239
	s_branch .LBB3_1240
.LBB3_3289:
	s_movk_i32 s4, 0x80
	v_cmp_eq_u16_sdwa s[12:13], v8, s4 src0_sel:BYTE_3 src1_sel:DWORD
	s_mov_b64 s[4:5], -1
                                        ; implicit-def: $sgpr10
	s_and_saveexec_b64 s[8:9], s[12:13]
; %bb.3290:
	s_mov_b32 s10, 0x7f800001
	s_xor_b64 s[4:5], exec, -1
; %bb.3291:
	s_or_b64 exec, exec, s[8:9]
	s_and_b64 s[4:5], s[4:5], exec
	s_or_saveexec_b64 s[6:7], s[6:7]
	v_mov_b32_e32 v2, s10
	s_xor_b64 exec, exec, s[6:7]
	s_cbranch_execz .LBB3_1242
.LBB3_3292:
	v_mov_b32_e32 v2, 0
	v_cmp_ne_u16_sdwa s[8:9], v8, v2 src0_sel:BYTE_3 src1_sel:DWORD
	s_andn2_b64 s[4:5], s[4:5], exec
	s_and_b64 s[8:9], s[8:9], exec
	s_or_b64 s[4:5], s[4:5], s[8:9]
	s_or_b64 exec, exec, s[6:7]
	s_and_saveexec_b64 s[6:7], s[4:5]
	s_cbranch_execnz .LBB3_1243
	s_branch .LBB3_1244
.LBB3_3293:
	s_movk_i32 s4, 0x80
	v_cmp_eq_u16_sdwa s[12:13], v4, s4 src0_sel:BYTE_3 src1_sel:DWORD
	s_mov_b64 s[4:5], -1
                                        ; implicit-def: $sgpr10
	s_and_saveexec_b64 s[8:9], s[12:13]
; %bb.3294:
	s_mov_b32 s10, 0x7f800001
	s_xor_b64 s[4:5], exec, -1
; %bb.3295:
	s_or_b64 exec, exec, s[8:9]
	s_and_b64 s[4:5], s[4:5], exec
	s_or_saveexec_b64 s[6:7], s[6:7]
	v_mov_b32_e32 v3, s10
	s_xor_b64 exec, exec, s[6:7]
	s_cbranch_execz .LBB3_1246
.LBB3_3296:
	v_mov_b32_e32 v3, 0
	v_cmp_ne_u16_sdwa s[8:9], v4, v3 src0_sel:BYTE_3 src1_sel:DWORD
	s_andn2_b64 s[4:5], s[4:5], exec
	s_and_b64 s[8:9], s[8:9], exec
	s_or_b64 s[4:5], s[4:5], s[8:9]
	s_or_b64 exec, exec, s[6:7]
	s_and_saveexec_b64 s[6:7], s[4:5]
	s_cbranch_execnz .LBB3_1247
	s_branch .LBB3_1248
.LBB3_3297:
	s_movk_i32 s4, 0x80
	v_cmp_eq_u16_sdwa s[12:13], v9, s4 src0_sel:BYTE_0 src1_sel:DWORD
	s_mov_b64 s[4:5], -1
                                        ; implicit-def: $sgpr10
	s_and_saveexec_b64 s[8:9], s[12:13]
; %bb.3298:
	s_mov_b32 s10, 0x7f800001
	s_xor_b64 s[4:5], exec, -1
; %bb.3299:
	s_or_b64 exec, exec, s[8:9]
	s_and_b64 s[4:5], s[4:5], exec
	s_or_saveexec_b64 s[6:7], s[6:7]
	v_mov_b32_e32 v2, s10
	s_xor_b64 exec, exec, s[6:7]
	s_cbranch_execz .LBB3_1250
.LBB3_3300:
	v_mov_b32_e32 v2, 0
	v_cmp_ne_u16_sdwa s[8:9], v9, v2 src0_sel:BYTE_0 src1_sel:DWORD
	s_andn2_b64 s[4:5], s[4:5], exec
	s_and_b64 s[8:9], s[8:9], exec
	s_or_b64 s[4:5], s[4:5], s[8:9]
	s_or_b64 exec, exec, s[6:7]
	s_and_saveexec_b64 s[6:7], s[4:5]
	s_cbranch_execnz .LBB3_1251
	s_branch .LBB3_1252
.LBB3_3301:
	s_movk_i32 s4, 0x80
	v_cmp_eq_u16_sdwa s[12:13], v5, s4 src0_sel:BYTE_0 src1_sel:DWORD
	s_mov_b64 s[4:5], -1
                                        ; implicit-def: $sgpr10
	s_and_saveexec_b64 s[8:9], s[12:13]
; %bb.3302:
	s_mov_b32 s10, 0x7f800001
	s_xor_b64 s[4:5], exec, -1
; %bb.3303:
	s_or_b64 exec, exec, s[8:9]
	s_and_b64 s[4:5], s[4:5], exec
	s_or_saveexec_b64 s[6:7], s[6:7]
	v_mov_b32_e32 v3, s10
	s_xor_b64 exec, exec, s[6:7]
	s_cbranch_execz .LBB3_1254
.LBB3_3304:
	v_mov_b32_e32 v3, 0
	v_cmp_ne_u16_sdwa s[8:9], v5, v3 src0_sel:BYTE_0 src1_sel:DWORD
	s_andn2_b64 s[4:5], s[4:5], exec
	s_and_b64 s[8:9], s[8:9], exec
	s_or_b64 s[4:5], s[4:5], s[8:9]
	s_or_b64 exec, exec, s[6:7]
	s_and_saveexec_b64 s[6:7], s[4:5]
	s_cbranch_execnz .LBB3_1255
	s_branch .LBB3_1256
.LBB3_3305:
	s_movk_i32 s4, 0x80
	v_cmp_eq_u16_sdwa s[12:13], v3, s4 src0_sel:BYTE_0 src1_sel:DWORD
	s_mov_b64 s[4:5], -1
                                        ; implicit-def: $sgpr10
	s_and_saveexec_b64 s[8:9], s[12:13]
; %bb.3306:
	s_mov_b32 s10, 0x7f800001
	s_xor_b64 s[4:5], exec, -1
; %bb.3307:
	s_or_b64 exec, exec, s[8:9]
	s_and_b64 s[4:5], s[4:5], exec
	s_or_saveexec_b64 s[6:7], s[6:7]
	v_mov_b32_e32 v2, s10
	s_xor_b64 exec, exec, s[6:7]
	s_cbranch_execz .LBB3_1258
.LBB3_3308:
	v_mov_b32_e32 v2, 0
	v_cmp_ne_u16_sdwa s[8:9], v3, v2 src0_sel:BYTE_0 src1_sel:DWORD
	s_andn2_b64 s[4:5], s[4:5], exec
	s_and_b64 s[8:9], s[8:9], exec
	s_or_b64 s[4:5], s[4:5], s[8:9]
	s_or_b64 exec, exec, s[6:7]
	s_and_saveexec_b64 s[6:7], s[4:5]
	s_cbranch_execnz .LBB3_1259
	s_branch .LBB3_1260
.LBB3_3309:
	s_movk_i32 s4, 0x80
	v_cmp_eq_u16_sdwa s[12:13], v3, s4 src0_sel:BYTE_0 src1_sel:DWORD
	s_mov_b64 s[4:5], -1
                                        ; implicit-def: $sgpr10
	s_and_saveexec_b64 s[8:9], s[12:13]
; %bb.3310:
	s_mov_b32 s10, 0x7f800001
	s_xor_b64 s[4:5], exec, -1
; %bb.3311:
	s_or_b64 exec, exec, s[8:9]
	s_and_b64 s[4:5], s[4:5], exec
	s_or_saveexec_b64 s[6:7], s[6:7]
	v_mov_b32_e32 v4, s10
	s_xor_b64 exec, exec, s[6:7]
	s_cbranch_execz .LBB3_1262
.LBB3_3312:
	v_mov_b32_e32 v4, 0
	v_cmp_ne_u16_sdwa s[8:9], v3, v4 src0_sel:BYTE_0 src1_sel:DWORD
	s_andn2_b64 s[4:5], s[4:5], exec
	s_and_b64 s[8:9], s[8:9], exec
	s_or_b64 s[4:5], s[4:5], s[8:9]
	s_or_b64 exec, exec, s[6:7]
	s_and_saveexec_b64 s[6:7], s[4:5]
	s_cbranch_execnz .LBB3_1263
	s_branch .LBB3_1264
.LBB3_3313:
	s_movk_i32 s4, 0x80
	v_cmp_eq_u16_e32 vcc, s4, v3
	s_mov_b64 s[4:5], -1
                                        ; implicit-def: $sgpr10
	s_and_saveexec_b64 s[8:9], vcc
; %bb.3314:
	s_mov_b32 s10, 0x7f800001
	s_xor_b64 s[4:5], exec, -1
; %bb.3315:
	s_or_b64 exec, exec, s[8:9]
	s_and_b64 s[4:5], s[4:5], exec
                                        ; implicit-def: $vgpr3
	s_or_saveexec_b64 s[6:7], s[6:7]
	v_mov_b32_e32 v2, s10
	s_xor_b64 exec, exec, s[6:7]
	s_cbranch_execz .LBB3_1266
.LBB3_3316:
	v_cmp_ne_u16_e32 vcc, 0, v3
	s_andn2_b64 s[4:5], s[4:5], exec
	s_and_b64 s[8:9], vcc, exec
	v_mov_b32_e32 v2, 0
	s_or_b64 s[4:5], s[4:5], s[8:9]
	s_or_b64 exec, exec, s[6:7]
	s_and_saveexec_b64 s[6:7], s[4:5]
	s_cbranch_execnz .LBB3_1267
	s_branch .LBB3_1268
.LBB3_3317:
	s_movk_i32 s4, 0x80
	v_cmp_eq_u16_e32 vcc, s4, v3
	s_mov_b64 s[4:5], -1
                                        ; implicit-def: $sgpr10
	s_and_saveexec_b64 s[8:9], vcc
; %bb.3318:
	s_mov_b32 s10, 0x7f800001
	s_xor_b64 s[4:5], exec, -1
; %bb.3319:
	s_or_b64 exec, exec, s[8:9]
	s_and_b64 s[4:5], s[4:5], exec
                                        ; implicit-def: $vgpr3
	s_or_saveexec_b64 s[6:7], s[6:7]
	v_mov_b32_e32 v4, s10
	s_xor_b64 exec, exec, s[6:7]
	s_cbranch_execz .LBB3_1270
.LBB3_3320:
	v_cmp_ne_u16_e32 vcc, 0, v3
	s_andn2_b64 s[4:5], s[4:5], exec
	s_and_b64 s[8:9], vcc, exec
	v_mov_b32_e32 v4, 0
	s_or_b64 s[4:5], s[4:5], s[8:9]
	s_or_b64 exec, exec, s[6:7]
	s_and_saveexec_b64 s[6:7], s[4:5]
	s_cbranch_execnz .LBB3_1271
	s_branch .LBB3_1272
.LBB3_3321:
	s_movk_i32 s4, 0x80
	v_cmp_eq_u16_sdwa s[12:13], v9, s4 src0_sel:BYTE_3 src1_sel:DWORD
	s_mov_b64 s[4:5], -1
                                        ; implicit-def: $sgpr10
	s_and_saveexec_b64 s[8:9], s[12:13]
; %bb.3322:
	s_mov_b32 s10, 0x7f800001
	s_xor_b64 s[4:5], exec, -1
; %bb.3323:
	s_or_b64 exec, exec, s[8:9]
	s_and_b64 s[4:5], s[4:5], exec
	s_or_saveexec_b64 s[6:7], s[6:7]
	v_mov_b32_e32 v2, s10
	s_xor_b64 exec, exec, s[6:7]
	s_cbranch_execz .LBB3_1274
.LBB3_3324:
	v_mov_b32_e32 v2, 0
	v_cmp_ne_u16_sdwa s[8:9], v9, v2 src0_sel:BYTE_3 src1_sel:DWORD
	s_andn2_b64 s[4:5], s[4:5], exec
	s_and_b64 s[8:9], s[8:9], exec
	s_or_b64 s[4:5], s[4:5], s[8:9]
	s_or_b64 exec, exec, s[6:7]
	s_and_saveexec_b64 s[6:7], s[4:5]
	s_cbranch_execnz .LBB3_1275
	s_branch .LBB3_1276
.LBB3_3325:
	s_movk_i32 s4, 0x80
	v_cmp_eq_u16_sdwa s[12:13], v5, s4 src0_sel:BYTE_3 src1_sel:DWORD
	s_mov_b64 s[4:5], -1
                                        ; implicit-def: $sgpr10
	s_and_saveexec_b64 s[8:9], s[12:13]
; %bb.3326:
	s_mov_b32 s10, 0x7f800001
	s_xor_b64 s[4:5], exec, -1
; %bb.3327:
	s_or_b64 exec, exec, s[8:9]
	s_and_b64 s[4:5], s[4:5], exec
	s_or_saveexec_b64 s[6:7], s[6:7]
	v_mov_b32_e32 v3, s10
	s_xor_b64 exec, exec, s[6:7]
	s_cbranch_execz .LBB3_1278
.LBB3_3328:
	v_mov_b32_e32 v3, 0
	v_cmp_ne_u16_sdwa s[8:9], v5, v3 src0_sel:BYTE_3 src1_sel:DWORD
	s_andn2_b64 s[4:5], s[4:5], exec
	s_and_b64 s[8:9], s[8:9], exec
	s_or_b64 s[4:5], s[4:5], s[8:9]
	s_or_b64 exec, exec, s[6:7]
	s_and_saveexec_b64 s[6:7], s[4:5]
	s_cbranch_execnz .LBB3_1279
	s_branch .LBB3_1280
.LBB3_3329:
	s_movk_i32 s4, 0x80
	v_cmp_eq_u16_sdwa s[12:13], v14, s4 src0_sel:BYTE_0 src1_sel:DWORD
	s_mov_b64 s[4:5], -1
                                        ; implicit-def: $sgpr10
	s_and_saveexec_b64 s[8:9], s[12:13]
; %bb.3330:
	s_mov_b32 s10, 0x7f800001
	s_xor_b64 s[4:5], exec, -1
; %bb.3331:
	s_or_b64 exec, exec, s[8:9]
	s_and_b64 s[4:5], s[4:5], exec
	s_or_saveexec_b64 s[6:7], s[6:7]
	v_mov_b32_e32 v20, s10
	s_xor_b64 exec, exec, s[6:7]
	s_cbranch_execz .LBB3_1282
.LBB3_3332:
	v_mov_b32_e32 v20, 0
	v_cmp_ne_u16_sdwa s[8:9], v14, v20 src0_sel:BYTE_0 src1_sel:DWORD
	s_andn2_b64 s[4:5], s[4:5], exec
	s_and_b64 s[8:9], s[8:9], exec
	s_or_b64 s[4:5], s[4:5], s[8:9]
	s_or_b64 exec, exec, s[6:7]
	s_and_saveexec_b64 s[6:7], s[4:5]
	s_cbranch_execnz .LBB3_1283
	s_branch .LBB3_1284
.LBB3_3333:
	s_movk_i32 s4, 0x80
	v_cmp_eq_u16_sdwa s[12:13], v10, s4 src0_sel:BYTE_0 src1_sel:DWORD
	s_mov_b64 s[4:5], -1
                                        ; implicit-def: $sgpr10
	s_and_saveexec_b64 s[8:9], s[12:13]
; %bb.3334:
	s_mov_b32 s10, 0x7f800001
	s_xor_b64 s[4:5], exec, -1
; %bb.3335:
	s_or_b64 exec, exec, s[8:9]
	s_and_b64 s[4:5], s[4:5], exec
	s_or_saveexec_b64 s[6:7], s[6:7]
	v_mov_b32_e32 v21, s10
	s_xor_b64 exec, exec, s[6:7]
	s_cbranch_execz .LBB3_1286
.LBB3_3336:
	v_mov_b32_e32 v21, 0
	v_cmp_ne_u16_sdwa s[8:9], v10, v21 src0_sel:BYTE_0 src1_sel:DWORD
	s_andn2_b64 s[4:5], s[4:5], exec
	s_and_b64 s[8:9], s[8:9], exec
	s_or_b64 s[4:5], s[4:5], s[8:9]
	s_or_b64 exec, exec, s[6:7]
	s_and_saveexec_b64 s[6:7], s[4:5]
	s_cbranch_execnz .LBB3_1287
	s_branch .LBB3_1288
.LBB3_3337:
	s_movk_i32 s4, 0x80
	v_cmp_eq_u16_sdwa s[12:13], v21, s4 src0_sel:BYTE_0 src1_sel:DWORD
	s_mov_b64 s[4:5], -1
                                        ; implicit-def: $sgpr10
	s_and_saveexec_b64 s[8:9], s[12:13]
; %bb.3338:
	s_mov_b32 s10, 0x7f800001
	s_xor_b64 s[4:5], exec, -1
; %bb.3339:
	s_or_b64 exec, exec, s[8:9]
	s_and_b64 s[4:5], s[4:5], exec
	s_or_saveexec_b64 s[6:7], s[6:7]
	v_mov_b32_e32 v20, s10
	s_xor_b64 exec, exec, s[6:7]
	s_cbranch_execz .LBB3_1290
.LBB3_3340:
	v_mov_b32_e32 v20, 0
	v_cmp_ne_u16_sdwa s[8:9], v21, v20 src0_sel:BYTE_0 src1_sel:DWORD
	s_andn2_b64 s[4:5], s[4:5], exec
	s_and_b64 s[8:9], s[8:9], exec
	s_or_b64 s[4:5], s[4:5], s[8:9]
	s_or_b64 exec, exec, s[6:7]
	s_and_saveexec_b64 s[6:7], s[4:5]
	s_cbranch_execnz .LBB3_1291
	s_branch .LBB3_1292
.LBB3_3341:
	s_movk_i32 s4, 0x80
	v_cmp_eq_u16_sdwa s[12:13], v21, s4 src0_sel:BYTE_0 src1_sel:DWORD
	s_mov_b64 s[4:5], -1
                                        ; implicit-def: $sgpr10
	s_and_saveexec_b64 s[8:9], s[12:13]
; %bb.3342:
	s_mov_b32 s10, 0x7f800001
	s_xor_b64 s[4:5], exec, -1
; %bb.3343:
	s_or_b64 exec, exec, s[8:9]
	s_and_b64 s[4:5], s[4:5], exec
	s_or_saveexec_b64 s[6:7], s[6:7]
	v_mov_b32_e32 v22, s10
	s_xor_b64 exec, exec, s[6:7]
	s_cbranch_execz .LBB3_1294
.LBB3_3344:
	v_mov_b32_e32 v22, 0
	v_cmp_ne_u16_sdwa s[8:9], v21, v22 src0_sel:BYTE_0 src1_sel:DWORD
	s_andn2_b64 s[4:5], s[4:5], exec
	s_and_b64 s[8:9], s[8:9], exec
	s_or_b64 s[4:5], s[4:5], s[8:9]
	s_or_b64 exec, exec, s[6:7]
	s_and_saveexec_b64 s[6:7], s[4:5]
	s_cbranch_execnz .LBB3_1295
	s_branch .LBB3_1296
.LBB3_3345:
	s_movk_i32 s4, 0x80
	v_cmp_eq_u16_e32 vcc, s4, v21
	s_mov_b64 s[4:5], -1
                                        ; implicit-def: $sgpr10
	s_and_saveexec_b64 s[8:9], vcc
; %bb.3346:
	s_mov_b32 s10, 0x7f800001
	s_xor_b64 s[4:5], exec, -1
; %bb.3347:
	s_or_b64 exec, exec, s[8:9]
	s_and_b64 s[4:5], s[4:5], exec
                                        ; implicit-def: $vgpr21
	s_or_saveexec_b64 s[6:7], s[6:7]
	v_mov_b32_e32 v20, s10
	s_xor_b64 exec, exec, s[6:7]
	s_cbranch_execz .LBB3_1298
.LBB3_3348:
	v_cmp_ne_u16_e32 vcc, 0, v21
	s_andn2_b64 s[4:5], s[4:5], exec
	s_and_b64 s[8:9], vcc, exec
	v_mov_b32_e32 v20, 0
	s_or_b64 s[4:5], s[4:5], s[8:9]
	s_or_b64 exec, exec, s[6:7]
	s_and_saveexec_b64 s[6:7], s[4:5]
	s_cbranch_execnz .LBB3_1299
	s_branch .LBB3_1300
.LBB3_3349:
	s_movk_i32 s4, 0x80
	v_cmp_eq_u16_e32 vcc, s4, v21
	s_mov_b64 s[4:5], -1
                                        ; implicit-def: $sgpr10
	s_and_saveexec_b64 s[8:9], vcc
; %bb.3350:
	s_mov_b32 s10, 0x7f800001
	s_xor_b64 s[4:5], exec, -1
; %bb.3351:
	s_or_b64 exec, exec, s[8:9]
	s_and_b64 s[4:5], s[4:5], exec
                                        ; implicit-def: $vgpr21
	s_or_saveexec_b64 s[6:7], s[6:7]
	v_mov_b32_e32 v22, s10
	s_xor_b64 exec, exec, s[6:7]
	s_cbranch_execz .LBB3_1302
.LBB3_3352:
	v_cmp_ne_u16_e32 vcc, 0, v21
	s_andn2_b64 s[4:5], s[4:5], exec
	s_and_b64 s[8:9], vcc, exec
	v_mov_b32_e32 v22, 0
	s_or_b64 s[4:5], s[4:5], s[8:9]
	s_or_b64 exec, exec, s[6:7]
	s_and_saveexec_b64 s[6:7], s[4:5]
	s_cbranch_execnz .LBB3_1303
	s_branch .LBB3_1304
.LBB3_3353:
	s_movk_i32 s4, 0x80
	v_cmp_eq_u16_sdwa s[12:13], v14, s4 src0_sel:BYTE_3 src1_sel:DWORD
	s_mov_b64 s[4:5], -1
                                        ; implicit-def: $sgpr10
	s_and_saveexec_b64 s[8:9], s[12:13]
; %bb.3354:
	s_mov_b32 s10, 0x7f800001
	s_xor_b64 s[4:5], exec, -1
; %bb.3355:
	s_or_b64 exec, exec, s[8:9]
	s_and_b64 s[4:5], s[4:5], exec
	s_or_saveexec_b64 s[6:7], s[6:7]
	v_mov_b32_e32 v20, s10
	s_xor_b64 exec, exec, s[6:7]
	s_cbranch_execz .LBB3_1306
.LBB3_3356:
	v_mov_b32_e32 v20, 0
	v_cmp_ne_u16_sdwa s[8:9], v14, v20 src0_sel:BYTE_3 src1_sel:DWORD
	s_andn2_b64 s[4:5], s[4:5], exec
	s_and_b64 s[8:9], s[8:9], exec
	s_or_b64 s[4:5], s[4:5], s[8:9]
	s_or_b64 exec, exec, s[6:7]
	s_and_saveexec_b64 s[6:7], s[4:5]
	s_cbranch_execnz .LBB3_1307
	s_branch .LBB3_1308
.LBB3_3357:
	s_movk_i32 s4, 0x80
	v_cmp_eq_u16_sdwa s[12:13], v10, s4 src0_sel:BYTE_3 src1_sel:DWORD
	s_mov_b64 s[4:5], -1
                                        ; implicit-def: $sgpr10
	s_and_saveexec_b64 s[8:9], s[12:13]
; %bb.3358:
	s_mov_b32 s10, 0x7f800001
	s_xor_b64 s[4:5], exec, -1
; %bb.3359:
	s_or_b64 exec, exec, s[8:9]
	s_and_b64 s[4:5], s[4:5], exec
	s_or_saveexec_b64 s[6:7], s[6:7]
	v_mov_b32_e32 v14, s10
	s_xor_b64 exec, exec, s[6:7]
	s_cbranch_execz .LBB3_1310
.LBB3_3360:
	v_mov_b32_e32 v14, 0
	v_cmp_ne_u16_sdwa s[8:9], v10, v14 src0_sel:BYTE_3 src1_sel:DWORD
	s_andn2_b64 s[4:5], s[4:5], exec
	s_and_b64 s[8:9], s[8:9], exec
	s_or_b64 s[4:5], s[4:5], s[8:9]
	s_or_b64 exec, exec, s[6:7]
	s_and_saveexec_b64 s[6:7], s[4:5]
	s_cbranch_execnz .LBB3_1311
	s_branch .LBB3_1312
.LBB3_3361:
	s_movk_i32 s4, 0x80
	v_cmp_eq_u16_sdwa s[12:13], v15, s4 src0_sel:BYTE_0 src1_sel:DWORD
	s_mov_b64 s[4:5], -1
                                        ; implicit-def: $sgpr10
	s_and_saveexec_b64 s[8:9], s[12:13]
; %bb.3362:
	s_mov_b32 s10, 0x7f800001
	s_xor_b64 s[4:5], exec, -1
; %bb.3363:
	s_or_b64 exec, exec, s[8:9]
	s_and_b64 s[4:5], s[4:5], exec
	s_or_saveexec_b64 s[6:7], s[6:7]
	v_mov_b32_e32 v10, s10
	s_xor_b64 exec, exec, s[6:7]
	s_cbranch_execz .LBB3_1314
.LBB3_3364:
	v_mov_b32_e32 v10, 0
	v_cmp_ne_u16_sdwa s[8:9], v15, v10 src0_sel:BYTE_0 src1_sel:DWORD
	s_andn2_b64 s[4:5], s[4:5], exec
	s_and_b64 s[8:9], s[8:9], exec
	s_or_b64 s[4:5], s[4:5], s[8:9]
	s_or_b64 exec, exec, s[6:7]
	s_and_saveexec_b64 s[6:7], s[4:5]
	s_cbranch_execnz .LBB3_1315
	s_branch .LBB3_1316
.LBB3_3365:
	s_movk_i32 s4, 0x80
	v_cmp_eq_u16_sdwa s[12:13], v11, s4 src0_sel:BYTE_0 src1_sel:DWORD
	s_mov_b64 s[4:5], -1
                                        ; implicit-def: $sgpr10
	s_and_saveexec_b64 s[8:9], s[12:13]
; %bb.3366:
	s_mov_b32 s10, 0x7f800001
	s_xor_b64 s[4:5], exec, -1
; %bb.3367:
	s_or_b64 exec, exec, s[8:9]
	s_and_b64 s[4:5], s[4:5], exec
	s_or_saveexec_b64 s[6:7], s[6:7]
	v_mov_b32_e32 v14, s10
	s_xor_b64 exec, exec, s[6:7]
	s_cbranch_execz .LBB3_1318
.LBB3_3368:
	v_mov_b32_e32 v14, 0
	v_cmp_ne_u16_sdwa s[8:9], v11, v14 src0_sel:BYTE_0 src1_sel:DWORD
	s_andn2_b64 s[4:5], s[4:5], exec
	s_and_b64 s[8:9], s[8:9], exec
	s_or_b64 s[4:5], s[4:5], s[8:9]
	s_or_b64 exec, exec, s[6:7]
	s_and_saveexec_b64 s[6:7], s[4:5]
	s_cbranch_execnz .LBB3_1319
	s_branch .LBB3_1320
.LBB3_3369:
	s_movk_i32 s4, 0x80
	v_cmp_eq_u16_sdwa s[12:13], v14, s4 src0_sel:BYTE_0 src1_sel:DWORD
	s_mov_b64 s[4:5], -1
                                        ; implicit-def: $sgpr10
	s_and_saveexec_b64 s[8:9], s[12:13]
; %bb.3370:
	s_mov_b32 s10, 0x7f800001
	s_xor_b64 s[4:5], exec, -1
; %bb.3371:
	s_or_b64 exec, exec, s[8:9]
	s_and_b64 s[4:5], s[4:5], exec
	s_or_saveexec_b64 s[6:7], s[6:7]
	v_mov_b32_e32 v10, s10
	s_xor_b64 exec, exec, s[6:7]
	s_cbranch_execz .LBB3_1322
.LBB3_3372:
	v_mov_b32_e32 v10, 0
	v_cmp_ne_u16_sdwa s[8:9], v14, v10 src0_sel:BYTE_0 src1_sel:DWORD
	s_andn2_b64 s[4:5], s[4:5], exec
	s_and_b64 s[8:9], s[8:9], exec
	s_or_b64 s[4:5], s[4:5], s[8:9]
	s_or_b64 exec, exec, s[6:7]
	s_and_saveexec_b64 s[6:7], s[4:5]
	s_cbranch_execnz .LBB3_1323
	s_branch .LBB3_1324
.LBB3_3373:
	s_movk_i32 s4, 0x80
	v_cmp_eq_u16_sdwa s[12:13], v14, s4 src0_sel:BYTE_0 src1_sel:DWORD
	s_mov_b64 s[4:5], -1
                                        ; implicit-def: $sgpr10
	s_and_saveexec_b64 s[8:9], s[12:13]
; %bb.3374:
	s_mov_b32 s10, 0x7f800001
	s_xor_b64 s[4:5], exec, -1
; %bb.3375:
	s_or_b64 exec, exec, s[8:9]
	s_and_b64 s[4:5], s[4:5], exec
	s_or_saveexec_b64 s[6:7], s[6:7]
	v_mov_b32_e32 v20, s10
	s_xor_b64 exec, exec, s[6:7]
	s_cbranch_execz .LBB3_1326
.LBB3_3376:
	v_mov_b32_e32 v20, 0
	v_cmp_ne_u16_sdwa s[8:9], v14, v20 src0_sel:BYTE_0 src1_sel:DWORD
	s_andn2_b64 s[4:5], s[4:5], exec
	s_and_b64 s[8:9], s[8:9], exec
	s_or_b64 s[4:5], s[4:5], s[8:9]
	s_or_b64 exec, exec, s[6:7]
	s_and_saveexec_b64 s[6:7], s[4:5]
	s_cbranch_execnz .LBB3_1327
	s_branch .LBB3_1328
.LBB3_3377:
	s_movk_i32 s4, 0x80
	v_cmp_eq_u16_e32 vcc, s4, v14
	s_mov_b64 s[4:5], -1
                                        ; implicit-def: $sgpr10
	s_and_saveexec_b64 s[8:9], vcc
; %bb.3378:
	s_mov_b32 s10, 0x7f800001
	s_xor_b64 s[4:5], exec, -1
; %bb.3379:
	s_or_b64 exec, exec, s[8:9]
	s_and_b64 s[4:5], s[4:5], exec
                                        ; implicit-def: $vgpr14
	s_or_saveexec_b64 s[6:7], s[6:7]
	v_mov_b32_e32 v10, s10
	s_xor_b64 exec, exec, s[6:7]
	s_cbranch_execz .LBB3_1330
.LBB3_3380:
	v_cmp_ne_u16_e32 vcc, 0, v14
	s_andn2_b64 s[4:5], s[4:5], exec
	s_and_b64 s[8:9], vcc, exec
	v_mov_b32_e32 v10, 0
	s_or_b64 s[4:5], s[4:5], s[8:9]
	s_or_b64 exec, exec, s[6:7]
	s_and_saveexec_b64 s[6:7], s[4:5]
	s_cbranch_execnz .LBB3_1331
	s_branch .LBB3_1332
.LBB3_3381:
	s_movk_i32 s4, 0x80
	v_cmp_eq_u16_e32 vcc, s4, v14
	s_mov_b64 s[4:5], -1
                                        ; implicit-def: $sgpr10
	s_and_saveexec_b64 s[8:9], vcc
; %bb.3382:
	s_mov_b32 s10, 0x7f800001
	s_xor_b64 s[4:5], exec, -1
; %bb.3383:
	s_or_b64 exec, exec, s[8:9]
	s_and_b64 s[4:5], s[4:5], exec
                                        ; implicit-def: $vgpr14
	s_or_saveexec_b64 s[6:7], s[6:7]
	v_mov_b32_e32 v20, s10
	s_xor_b64 exec, exec, s[6:7]
	s_cbranch_execz .LBB3_1334
.LBB3_3384:
	v_cmp_ne_u16_e32 vcc, 0, v14
	s_andn2_b64 s[4:5], s[4:5], exec
	s_and_b64 s[8:9], vcc, exec
	v_mov_b32_e32 v20, 0
	s_or_b64 s[4:5], s[4:5], s[8:9]
	s_or_b64 exec, exec, s[6:7]
	s_and_saveexec_b64 s[6:7], s[4:5]
	s_cbranch_execnz .LBB3_1335
	s_branch .LBB3_1336
.LBB3_3385:
	s_movk_i32 s4, 0x80
	v_cmp_eq_u16_sdwa s[12:13], v15, s4 src0_sel:BYTE_3 src1_sel:DWORD
	s_mov_b64 s[4:5], -1
                                        ; implicit-def: $sgpr10
	s_and_saveexec_b64 s[8:9], s[12:13]
; %bb.3386:
	s_mov_b32 s10, 0x7f800001
	s_xor_b64 s[4:5], exec, -1
; %bb.3387:
	s_or_b64 exec, exec, s[8:9]
	s_and_b64 s[4:5], s[4:5], exec
	s_or_saveexec_b64 s[6:7], s[6:7]
	v_mov_b32_e32 v10, s10
	s_xor_b64 exec, exec, s[6:7]
	s_cbranch_execz .LBB3_1338
.LBB3_3388:
	v_mov_b32_e32 v10, 0
	v_cmp_ne_u16_sdwa s[8:9], v15, v10 src0_sel:BYTE_3 src1_sel:DWORD
	s_andn2_b64 s[4:5], s[4:5], exec
	s_and_b64 s[8:9], s[8:9], exec
	s_or_b64 s[4:5], s[4:5], s[8:9]
	s_or_b64 exec, exec, s[6:7]
	s_and_saveexec_b64 s[6:7], s[4:5]
	s_cbranch_execnz .LBB3_1339
	s_branch .LBB3_1340
.LBB3_3389:
	s_movk_i32 s4, 0x80
	v_cmp_eq_u16_sdwa s[12:13], v11, s4 src0_sel:BYTE_3 src1_sel:DWORD
	s_mov_b64 s[4:5], -1
                                        ; implicit-def: $sgpr10
	s_and_saveexec_b64 s[8:9], s[12:13]
; %bb.3390:
	s_mov_b32 s10, 0x7f800001
	s_xor_b64 s[4:5], exec, -1
; %bb.3391:
	s_or_b64 exec, exec, s[8:9]
	s_and_b64 s[4:5], s[4:5], exec
	s_or_saveexec_b64 s[6:7], s[6:7]
	v_mov_b32_e32 v14, s10
	s_xor_b64 exec, exec, s[6:7]
	s_cbranch_execz .LBB3_1342
.LBB3_3392:
	v_mov_b32_e32 v14, 0
	v_cmp_ne_u16_sdwa s[8:9], v11, v14 src0_sel:BYTE_3 src1_sel:DWORD
	s_andn2_b64 s[4:5], s[4:5], exec
	s_and_b64 s[8:9], s[8:9], exec
	s_or_b64 s[4:5], s[4:5], s[8:9]
	s_or_b64 exec, exec, s[6:7]
	s_and_saveexec_b64 s[6:7], s[4:5]
	s_cbranch_execnz .LBB3_1343
	s_branch .LBB3_1344
.LBB3_3393:
	s_movk_i32 s4, 0x80
	v_cmp_eq_u16_sdwa s[12:13], v16, s4 src0_sel:BYTE_0 src1_sel:DWORD
	s_mov_b64 s[4:5], -1
                                        ; implicit-def: $sgpr10
	s_and_saveexec_b64 s[8:9], s[12:13]
; %bb.3394:
	s_mov_b32 s10, 0x7f800001
	s_xor_b64 s[4:5], exec, -1
; %bb.3395:
	s_or_b64 exec, exec, s[8:9]
	s_and_b64 s[4:5], s[4:5], exec
	s_or_saveexec_b64 s[6:7], s[6:7]
	v_mov_b32_e32 v10, s10
	s_xor_b64 exec, exec, s[6:7]
	s_cbranch_execz .LBB3_1346
.LBB3_3396:
	v_mov_b32_e32 v10, 0
	v_cmp_ne_u16_sdwa s[8:9], v16, v10 src0_sel:BYTE_0 src1_sel:DWORD
	s_andn2_b64 s[4:5], s[4:5], exec
	s_and_b64 s[8:9], s[8:9], exec
	s_or_b64 s[4:5], s[4:5], s[8:9]
	s_or_b64 exec, exec, s[6:7]
	s_and_saveexec_b64 s[6:7], s[4:5]
	s_cbranch_execnz .LBB3_1347
	s_branch .LBB3_1348
.LBB3_3397:
	s_movk_i32 s4, 0x80
	v_cmp_eq_u16_sdwa s[12:13], v12, s4 src0_sel:BYTE_0 src1_sel:DWORD
	s_mov_b64 s[4:5], -1
                                        ; implicit-def: $sgpr10
	s_and_saveexec_b64 s[8:9], s[12:13]
; %bb.3398:
	s_mov_b32 s10, 0x7f800001
	s_xor_b64 s[4:5], exec, -1
; %bb.3399:
	s_or_b64 exec, exec, s[8:9]
	s_and_b64 s[4:5], s[4:5], exec
	s_or_saveexec_b64 s[6:7], s[6:7]
	v_mov_b32_e32 v11, s10
	s_xor_b64 exec, exec, s[6:7]
	s_cbranch_execz .LBB3_1350
.LBB3_3400:
	v_mov_b32_e32 v11, 0
	v_cmp_ne_u16_sdwa s[8:9], v12, v11 src0_sel:BYTE_0 src1_sel:DWORD
	s_andn2_b64 s[4:5], s[4:5], exec
	s_and_b64 s[8:9], s[8:9], exec
	s_or_b64 s[4:5], s[4:5], s[8:9]
	s_or_b64 exec, exec, s[6:7]
	s_and_saveexec_b64 s[6:7], s[4:5]
	s_cbranch_execnz .LBB3_1351
	s_branch .LBB3_1352
.LBB3_3401:
	s_movk_i32 s4, 0x80
	v_cmp_eq_u16_sdwa s[12:13], v11, s4 src0_sel:BYTE_0 src1_sel:DWORD
	s_mov_b64 s[4:5], -1
                                        ; implicit-def: $sgpr10
	s_and_saveexec_b64 s[8:9], s[12:13]
; %bb.3402:
	s_mov_b32 s10, 0x7f800001
	s_xor_b64 s[4:5], exec, -1
; %bb.3403:
	s_or_b64 exec, exec, s[8:9]
	s_and_b64 s[4:5], s[4:5], exec
	s_or_saveexec_b64 s[6:7], s[6:7]
	v_mov_b32_e32 v10, s10
	s_xor_b64 exec, exec, s[6:7]
	s_cbranch_execz .LBB3_1354
.LBB3_3404:
	v_mov_b32_e32 v10, 0
	v_cmp_ne_u16_sdwa s[8:9], v11, v10 src0_sel:BYTE_0 src1_sel:DWORD
	s_andn2_b64 s[4:5], s[4:5], exec
	s_and_b64 s[8:9], s[8:9], exec
	s_or_b64 s[4:5], s[4:5], s[8:9]
	s_or_b64 exec, exec, s[6:7]
	s_and_saveexec_b64 s[6:7], s[4:5]
	s_cbranch_execnz .LBB3_1355
	s_branch .LBB3_1356
.LBB3_3405:
	s_movk_i32 s4, 0x80
	v_cmp_eq_u16_sdwa s[12:13], v11, s4 src0_sel:BYTE_0 src1_sel:DWORD
	s_mov_b64 s[4:5], -1
                                        ; implicit-def: $sgpr10
	s_and_saveexec_b64 s[8:9], s[12:13]
; %bb.3406:
	s_mov_b32 s10, 0x7f800001
	s_xor_b64 s[4:5], exec, -1
; %bb.3407:
	s_or_b64 exec, exec, s[8:9]
	s_and_b64 s[4:5], s[4:5], exec
	s_or_saveexec_b64 s[6:7], s[6:7]
	v_mov_b32_e32 v14, s10
	s_xor_b64 exec, exec, s[6:7]
	s_cbranch_execz .LBB3_1358
.LBB3_3408:
	v_mov_b32_e32 v14, 0
	v_cmp_ne_u16_sdwa s[8:9], v11, v14 src0_sel:BYTE_0 src1_sel:DWORD
	s_andn2_b64 s[4:5], s[4:5], exec
	s_and_b64 s[8:9], s[8:9], exec
	s_or_b64 s[4:5], s[4:5], s[8:9]
	s_or_b64 exec, exec, s[6:7]
	s_and_saveexec_b64 s[6:7], s[4:5]
	s_cbranch_execnz .LBB3_1359
	s_branch .LBB3_1360
.LBB3_3409:
	s_movk_i32 s4, 0x80
	v_cmp_eq_u16_e32 vcc, s4, v11
	s_mov_b64 s[4:5], -1
                                        ; implicit-def: $sgpr10
	s_and_saveexec_b64 s[8:9], vcc
; %bb.3410:
	s_mov_b32 s10, 0x7f800001
	s_xor_b64 s[4:5], exec, -1
; %bb.3411:
	s_or_b64 exec, exec, s[8:9]
	s_and_b64 s[4:5], s[4:5], exec
                                        ; implicit-def: $vgpr11
	s_or_saveexec_b64 s[6:7], s[6:7]
	v_mov_b32_e32 v10, s10
	s_xor_b64 exec, exec, s[6:7]
	s_cbranch_execz .LBB3_1362
.LBB3_3412:
	v_cmp_ne_u16_e32 vcc, 0, v11
	s_andn2_b64 s[4:5], s[4:5], exec
	s_and_b64 s[8:9], vcc, exec
	v_mov_b32_e32 v10, 0
	s_or_b64 s[4:5], s[4:5], s[8:9]
	s_or_b64 exec, exec, s[6:7]
	s_and_saveexec_b64 s[6:7], s[4:5]
	s_cbranch_execnz .LBB3_1363
	s_branch .LBB3_1364
.LBB3_3413:
	s_movk_i32 s4, 0x80
	v_cmp_eq_u16_e32 vcc, s4, v11
	s_mov_b64 s[4:5], -1
                                        ; implicit-def: $sgpr10
	s_and_saveexec_b64 s[8:9], vcc
; %bb.3414:
	s_mov_b32 s10, 0x7f800001
	s_xor_b64 s[4:5], exec, -1
; %bb.3415:
	s_or_b64 exec, exec, s[8:9]
	s_and_b64 s[4:5], s[4:5], exec
                                        ; implicit-def: $vgpr11
	s_or_saveexec_b64 s[6:7], s[6:7]
	v_mov_b32_e32 v14, s10
	s_xor_b64 exec, exec, s[6:7]
	s_cbranch_execz .LBB3_1366
.LBB3_3416:
	v_cmp_ne_u16_e32 vcc, 0, v11
	s_andn2_b64 s[4:5], s[4:5], exec
	s_and_b64 s[8:9], vcc, exec
	v_mov_b32_e32 v14, 0
	s_or_b64 s[4:5], s[4:5], s[8:9]
	s_or_b64 exec, exec, s[6:7]
	s_and_saveexec_b64 s[6:7], s[4:5]
	s_cbranch_execnz .LBB3_1367
	s_branch .LBB3_1368
.LBB3_3417:
	s_movk_i32 s4, 0x80
	v_cmp_eq_u16_sdwa s[12:13], v16, s4 src0_sel:BYTE_3 src1_sel:DWORD
	s_mov_b64 s[4:5], -1
                                        ; implicit-def: $sgpr10
	s_and_saveexec_b64 s[8:9], s[12:13]
; %bb.3418:
	s_mov_b32 s10, 0x7f800001
	s_xor_b64 s[4:5], exec, -1
; %bb.3419:
	s_or_b64 exec, exec, s[8:9]
	s_and_b64 s[4:5], s[4:5], exec
	s_or_saveexec_b64 s[6:7], s[6:7]
	v_mov_b32_e32 v10, s10
	s_xor_b64 exec, exec, s[6:7]
	s_cbranch_execz .LBB3_1370
.LBB3_3420:
	v_mov_b32_e32 v10, 0
	v_cmp_ne_u16_sdwa s[8:9], v16, v10 src0_sel:BYTE_3 src1_sel:DWORD
	s_andn2_b64 s[4:5], s[4:5], exec
	s_and_b64 s[8:9], s[8:9], exec
	s_or_b64 s[4:5], s[4:5], s[8:9]
	s_or_b64 exec, exec, s[6:7]
	s_and_saveexec_b64 s[6:7], s[4:5]
	s_cbranch_execnz .LBB3_1371
	s_branch .LBB3_1372
.LBB3_3421:
	s_movk_i32 s4, 0x80
	v_cmp_eq_u16_sdwa s[12:13], v12, s4 src0_sel:BYTE_3 src1_sel:DWORD
	s_mov_b64 s[4:5], -1
                                        ; implicit-def: $sgpr10
	s_and_saveexec_b64 s[8:9], s[12:13]
; %bb.3422:
	s_mov_b32 s10, 0x7f800001
	s_xor_b64 s[4:5], exec, -1
; %bb.3423:
	s_or_b64 exec, exec, s[8:9]
	s_and_b64 s[4:5], s[4:5], exec
	s_or_saveexec_b64 s[6:7], s[6:7]
	v_mov_b32_e32 v11, s10
	s_xor_b64 exec, exec, s[6:7]
	s_cbranch_execz .LBB3_1374
.LBB3_3424:
	v_mov_b32_e32 v11, 0
	v_cmp_ne_u16_sdwa s[8:9], v12, v11 src0_sel:BYTE_3 src1_sel:DWORD
	s_andn2_b64 s[4:5], s[4:5], exec
	s_and_b64 s[8:9], s[8:9], exec
	s_or_b64 s[4:5], s[4:5], s[8:9]
	s_or_b64 exec, exec, s[6:7]
	s_and_saveexec_b64 s[6:7], s[4:5]
	s_cbranch_execnz .LBB3_1375
	s_branch .LBB3_1376
.LBB3_3425:
	s_movk_i32 s4, 0x80
	v_cmp_eq_u16_sdwa s[12:13], v17, s4 src0_sel:BYTE_0 src1_sel:DWORD
	s_mov_b64 s[4:5], -1
                                        ; implicit-def: $sgpr10
	s_and_saveexec_b64 s[8:9], s[12:13]
; %bb.3426:
	s_mov_b32 s10, 0x7f800001
	s_xor_b64 s[4:5], exec, -1
; %bb.3427:
	s_or_b64 exec, exec, s[8:9]
	s_and_b64 s[4:5], s[4:5], exec
	s_or_saveexec_b64 s[6:7], s[6:7]
	v_mov_b32_e32 v10, s10
	s_xor_b64 exec, exec, s[6:7]
	s_cbranch_execz .LBB3_1378
.LBB3_3428:
	v_mov_b32_e32 v10, 0
	v_cmp_ne_u16_sdwa s[8:9], v17, v10 src0_sel:BYTE_0 src1_sel:DWORD
	s_andn2_b64 s[4:5], s[4:5], exec
	s_and_b64 s[8:9], s[8:9], exec
	s_or_b64 s[4:5], s[4:5], s[8:9]
	s_or_b64 exec, exec, s[6:7]
	s_and_saveexec_b64 s[6:7], s[4:5]
	s_cbranch_execnz .LBB3_1379
	s_branch .LBB3_1380
.LBB3_3429:
	s_movk_i32 s4, 0x80
	v_cmp_eq_u16_sdwa s[12:13], v13, s4 src0_sel:BYTE_0 src1_sel:DWORD
	s_mov_b64 s[4:5], -1
                                        ; implicit-def: $sgpr10
	s_and_saveexec_b64 s[8:9], s[12:13]
; %bb.3430:
	s_mov_b32 s10, 0x7f800001
	s_xor_b64 s[4:5], exec, -1
; %bb.3431:
	s_or_b64 exec, exec, s[8:9]
	s_and_b64 s[4:5], s[4:5], exec
	s_or_saveexec_b64 s[6:7], s[6:7]
	v_mov_b32_e32 v11, s10
	s_xor_b64 exec, exec, s[6:7]
	s_cbranch_execz .LBB3_1382
.LBB3_3432:
	v_mov_b32_e32 v11, 0
	v_cmp_ne_u16_sdwa s[8:9], v13, v11 src0_sel:BYTE_0 src1_sel:DWORD
	s_andn2_b64 s[4:5], s[4:5], exec
	s_and_b64 s[8:9], s[8:9], exec
	s_or_b64 s[4:5], s[4:5], s[8:9]
	s_or_b64 exec, exec, s[6:7]
	s_and_saveexec_b64 s[6:7], s[4:5]
	s_cbranch_execnz .LBB3_1383
	s_branch .LBB3_1384
.LBB3_3433:
	s_movk_i32 s4, 0x80
	v_cmp_eq_u16_sdwa s[12:13], v11, s4 src0_sel:BYTE_0 src1_sel:DWORD
	s_mov_b64 s[4:5], -1
                                        ; implicit-def: $sgpr10
	s_and_saveexec_b64 s[8:9], s[12:13]
; %bb.3434:
	s_mov_b32 s10, 0x7f800001
	s_xor_b64 s[4:5], exec, -1
; %bb.3435:
	s_or_b64 exec, exec, s[8:9]
	s_and_b64 s[4:5], s[4:5], exec
	s_or_saveexec_b64 s[6:7], s[6:7]
	v_mov_b32_e32 v10, s10
	s_xor_b64 exec, exec, s[6:7]
	s_cbranch_execz .LBB3_1386
.LBB3_3436:
	v_mov_b32_e32 v10, 0
	v_cmp_ne_u16_sdwa s[8:9], v11, v10 src0_sel:BYTE_0 src1_sel:DWORD
	s_andn2_b64 s[4:5], s[4:5], exec
	s_and_b64 s[8:9], s[8:9], exec
	s_or_b64 s[4:5], s[4:5], s[8:9]
	s_or_b64 exec, exec, s[6:7]
	s_and_saveexec_b64 s[6:7], s[4:5]
	s_cbranch_execnz .LBB3_1387
	s_branch .LBB3_1388
.LBB3_3437:
	s_movk_i32 s4, 0x80
	v_cmp_eq_u16_sdwa s[12:13], v11, s4 src0_sel:BYTE_0 src1_sel:DWORD
	s_mov_b64 s[4:5], -1
                                        ; implicit-def: $sgpr10
	s_and_saveexec_b64 s[8:9], s[12:13]
; %bb.3438:
	s_mov_b32 s10, 0x7f800001
	s_xor_b64 s[4:5], exec, -1
; %bb.3439:
	s_or_b64 exec, exec, s[8:9]
	s_and_b64 s[4:5], s[4:5], exec
	s_or_saveexec_b64 s[6:7], s[6:7]
	v_mov_b32_e32 v12, s10
	s_xor_b64 exec, exec, s[6:7]
	s_cbranch_execz .LBB3_1390
.LBB3_3440:
	v_mov_b32_e32 v12, 0
	v_cmp_ne_u16_sdwa s[8:9], v11, v12 src0_sel:BYTE_0 src1_sel:DWORD
	s_andn2_b64 s[4:5], s[4:5], exec
	s_and_b64 s[8:9], s[8:9], exec
	s_or_b64 s[4:5], s[4:5], s[8:9]
	s_or_b64 exec, exec, s[6:7]
	s_and_saveexec_b64 s[6:7], s[4:5]
	s_cbranch_execnz .LBB3_1391
	s_branch .LBB3_1392
.LBB3_3441:
	s_movk_i32 s4, 0x80
	v_cmp_eq_u16_e32 vcc, s4, v11
	s_mov_b64 s[4:5], -1
                                        ; implicit-def: $sgpr10
	s_and_saveexec_b64 s[8:9], vcc
; %bb.3442:
	s_mov_b32 s10, 0x7f800001
	s_xor_b64 s[4:5], exec, -1
; %bb.3443:
	s_or_b64 exec, exec, s[8:9]
	s_and_b64 s[4:5], s[4:5], exec
                                        ; implicit-def: $vgpr11
	s_or_saveexec_b64 s[6:7], s[6:7]
	v_mov_b32_e32 v10, s10
	s_xor_b64 exec, exec, s[6:7]
	s_cbranch_execz .LBB3_1394
.LBB3_3444:
	v_cmp_ne_u16_e32 vcc, 0, v11
	s_andn2_b64 s[4:5], s[4:5], exec
	s_and_b64 s[8:9], vcc, exec
	v_mov_b32_e32 v10, 0
	s_or_b64 s[4:5], s[4:5], s[8:9]
	s_or_b64 exec, exec, s[6:7]
	s_and_saveexec_b64 s[6:7], s[4:5]
	s_cbranch_execnz .LBB3_1395
	s_branch .LBB3_1396
.LBB3_3445:
	s_movk_i32 s4, 0x80
	v_cmp_eq_u16_e32 vcc, s4, v11
	s_mov_b64 s[4:5], -1
                                        ; implicit-def: $sgpr10
	s_and_saveexec_b64 s[8:9], vcc
; %bb.3446:
	s_mov_b32 s10, 0x7f800001
	s_xor_b64 s[4:5], exec, -1
; %bb.3447:
	s_or_b64 exec, exec, s[8:9]
	s_and_b64 s[4:5], s[4:5], exec
                                        ; implicit-def: $vgpr11
	s_or_saveexec_b64 s[6:7], s[6:7]
	v_mov_b32_e32 v12, s10
	s_xor_b64 exec, exec, s[6:7]
	s_cbranch_execz .LBB3_1398
.LBB3_3448:
	v_cmp_ne_u16_e32 vcc, 0, v11
	s_andn2_b64 s[4:5], s[4:5], exec
	s_and_b64 s[8:9], vcc, exec
	v_mov_b32_e32 v12, 0
	s_or_b64 s[4:5], s[4:5], s[8:9]
	s_or_b64 exec, exec, s[6:7]
	s_and_saveexec_b64 s[6:7], s[4:5]
	s_cbranch_execnz .LBB3_1399
	s_branch .LBB3_1400
.LBB3_3449:
	s_movk_i32 s4, 0x80
	v_cmp_eq_u16_sdwa s[12:13], v17, s4 src0_sel:BYTE_3 src1_sel:DWORD
	s_mov_b64 s[4:5], -1
                                        ; implicit-def: $sgpr10
	s_and_saveexec_b64 s[8:9], s[12:13]
; %bb.3450:
	s_mov_b32 s10, 0x7f800001
	s_xor_b64 s[4:5], exec, -1
; %bb.3451:
	s_or_b64 exec, exec, s[8:9]
	s_and_b64 s[4:5], s[4:5], exec
	s_or_saveexec_b64 s[6:7], s[6:7]
	v_mov_b32_e32 v10, s10
	s_xor_b64 exec, exec, s[6:7]
	s_cbranch_execz .LBB3_1402
.LBB3_3452:
	v_mov_b32_e32 v10, 0
	v_cmp_ne_u16_sdwa s[8:9], v17, v10 src0_sel:BYTE_3 src1_sel:DWORD
	s_andn2_b64 s[4:5], s[4:5], exec
	s_and_b64 s[8:9], s[8:9], exec
	s_or_b64 s[4:5], s[4:5], s[8:9]
	s_or_b64 exec, exec, s[6:7]
	s_and_saveexec_b64 s[6:7], s[4:5]
	s_cbranch_execnz .LBB3_1403
	s_branch .LBB3_1404
.LBB3_3453:
	s_movk_i32 s4, 0x80
	v_cmp_eq_u16_sdwa s[12:13], v13, s4 src0_sel:BYTE_3 src1_sel:DWORD
	s_mov_b64 s[4:5], -1
                                        ; implicit-def: $sgpr10
	s_and_saveexec_b64 s[8:9], s[12:13]
; %bb.3454:
	s_mov_b32 s10, 0x7f800001
	s_xor_b64 s[4:5], exec, -1
; %bb.3455:
	s_or_b64 exec, exec, s[8:9]
	s_and_b64 s[4:5], s[4:5], exec
	s_or_saveexec_b64 s[6:7], s[6:7]
	v_mov_b32_e32 v11, s10
	s_xor_b64 exec, exec, s[6:7]
	s_cbranch_execz .LBB3_1406
.LBB3_3456:
	v_mov_b32_e32 v11, 0
	v_cmp_ne_u16_sdwa s[8:9], v13, v11 src0_sel:BYTE_3 src1_sel:DWORD
	s_andn2_b64 s[4:5], s[4:5], exec
	s_and_b64 s[8:9], s[8:9], exec
	s_or_b64 s[4:5], s[4:5], s[8:9]
	s_or_b64 exec, exec, s[6:7]
	s_and_saveexec_b64 s[6:7], s[4:5]
	s_cbranch_execnz .LBB3_1407
	s_branch .LBB3_1408
.LBB3_3457:
	s_movk_i32 s4, 0x80
	v_cmp_eq_u16_sdwa s[12:13], v6, s4 src0_sel:BYTE_0 src1_sel:DWORD
	s_mov_b64 s[4:5], -1
                                        ; implicit-def: $sgpr10
	s_and_saveexec_b64 s[8:9], s[12:13]
; %bb.3458:
	s_mov_b32 s10, 0x7f800001
	s_xor_b64 s[4:5], exec, -1
; %bb.3459:
	s_or_b64 exec, exec, s[8:9]
	s_and_b64 s[4:5], s[4:5], exec
	s_or_saveexec_b64 s[6:7], s[6:7]
	v_mov_b32_e32 v10, s10
	s_xor_b64 exec, exec, s[6:7]
	s_cbranch_execz .LBB3_1410
.LBB3_3460:
	v_mov_b32_e32 v10, 0
	v_cmp_ne_u16_sdwa s[8:9], v6, v10 src0_sel:BYTE_0 src1_sel:DWORD
	s_andn2_b64 s[4:5], s[4:5], exec
	s_and_b64 s[8:9], s[8:9], exec
	s_or_b64 s[4:5], s[4:5], s[8:9]
	s_or_b64 exec, exec, s[6:7]
	s_and_saveexec_b64 s[6:7], s[4:5]
	s_cbranch_execnz .LBB3_1411
	s_branch .LBB3_1412
.LBB3_3461:
	s_movk_i32 s4, 0x80
	v_cmp_eq_u16_sdwa s[12:13], v2, s4 src0_sel:BYTE_0 src1_sel:DWORD
	s_mov_b64 s[4:5], -1
                                        ; implicit-def: $sgpr10
	s_and_saveexec_b64 s[8:9], s[12:13]
; %bb.3462:
	s_mov_b32 s10, 0x7f800001
	s_xor_b64 s[4:5], exec, -1
; %bb.3463:
	s_or_b64 exec, exec, s[8:9]
	s_and_b64 s[4:5], s[4:5], exec
	s_or_saveexec_b64 s[6:7], s[6:7]
	v_mov_b32_e32 v11, s10
	s_xor_b64 exec, exec, s[6:7]
	s_cbranch_execz .LBB3_1414
.LBB3_3464:
	v_mov_b32_e32 v11, 0
	v_cmp_ne_u16_sdwa s[8:9], v2, v11 src0_sel:BYTE_0 src1_sel:DWORD
	s_andn2_b64 s[4:5], s[4:5], exec
	s_and_b64 s[8:9], s[8:9], exec
	s_or_b64 s[4:5], s[4:5], s[8:9]
	s_or_b64 exec, exec, s[6:7]
	s_and_saveexec_b64 s[6:7], s[4:5]
	s_cbranch_execnz .LBB3_1415
	s_branch .LBB3_1416
.LBB3_3465:
	s_movk_i32 s4, 0x80
	v_cmp_eq_u16_sdwa s[12:13], v11, s4 src0_sel:BYTE_0 src1_sel:DWORD
	s_mov_b64 s[4:5], -1
                                        ; implicit-def: $sgpr10
	s_and_saveexec_b64 s[8:9], s[12:13]
; %bb.3466:
	s_mov_b32 s10, 0x7f800001
	s_xor_b64 s[4:5], exec, -1
; %bb.3467:
	s_or_b64 exec, exec, s[8:9]
	s_and_b64 s[4:5], s[4:5], exec
	s_or_saveexec_b64 s[6:7], s[6:7]
	v_mov_b32_e32 v10, s10
	s_xor_b64 exec, exec, s[6:7]
	s_cbranch_execz .LBB3_1418
.LBB3_3468:
	v_mov_b32_e32 v10, 0
	v_cmp_ne_u16_sdwa s[8:9], v11, v10 src0_sel:BYTE_0 src1_sel:DWORD
	s_andn2_b64 s[4:5], s[4:5], exec
	s_and_b64 s[8:9], s[8:9], exec
	s_or_b64 s[4:5], s[4:5], s[8:9]
	s_or_b64 exec, exec, s[6:7]
	s_and_saveexec_b64 s[6:7], s[4:5]
	s_cbranch_execnz .LBB3_1419
	s_branch .LBB3_1420
.LBB3_3469:
	s_movk_i32 s4, 0x80
	v_cmp_eq_u16_sdwa s[12:13], v11, s4 src0_sel:BYTE_0 src1_sel:DWORD
	s_mov_b64 s[4:5], -1
                                        ; implicit-def: $sgpr10
	s_and_saveexec_b64 s[8:9], s[12:13]
; %bb.3470:
	s_mov_b32 s10, 0x7f800001
	s_xor_b64 s[4:5], exec, -1
; %bb.3471:
	s_or_b64 exec, exec, s[8:9]
	s_and_b64 s[4:5], s[4:5], exec
	s_or_saveexec_b64 s[6:7], s[6:7]
	v_mov_b32_e32 v12, s10
	s_xor_b64 exec, exec, s[6:7]
	s_cbranch_execz .LBB3_1422
.LBB3_3472:
	v_mov_b32_e32 v12, 0
	v_cmp_ne_u16_sdwa s[8:9], v11, v12 src0_sel:BYTE_0 src1_sel:DWORD
	s_andn2_b64 s[4:5], s[4:5], exec
	s_and_b64 s[8:9], s[8:9], exec
	s_or_b64 s[4:5], s[4:5], s[8:9]
	s_or_b64 exec, exec, s[6:7]
	s_and_saveexec_b64 s[6:7], s[4:5]
	s_cbranch_execnz .LBB3_1423
	s_branch .LBB3_1424
.LBB3_3473:
	s_movk_i32 s4, 0x80
	v_cmp_eq_u16_e32 vcc, s4, v11
	s_mov_b64 s[4:5], -1
                                        ; implicit-def: $sgpr10
	s_and_saveexec_b64 s[8:9], vcc
; %bb.3474:
	s_mov_b32 s10, 0x7f800001
	s_xor_b64 s[4:5], exec, -1
; %bb.3475:
	s_or_b64 exec, exec, s[8:9]
	s_and_b64 s[4:5], s[4:5], exec
                                        ; implicit-def: $vgpr11
	s_or_saveexec_b64 s[6:7], s[6:7]
	v_mov_b32_e32 v10, s10
	s_xor_b64 exec, exec, s[6:7]
	s_cbranch_execz .LBB3_1426
.LBB3_3476:
	v_cmp_ne_u16_e32 vcc, 0, v11
	s_andn2_b64 s[4:5], s[4:5], exec
	s_and_b64 s[8:9], vcc, exec
	v_mov_b32_e32 v10, 0
	s_or_b64 s[4:5], s[4:5], s[8:9]
	s_or_b64 exec, exec, s[6:7]
	s_and_saveexec_b64 s[6:7], s[4:5]
	s_cbranch_execnz .LBB3_1427
	s_branch .LBB3_1428
.LBB3_3477:
	s_movk_i32 s4, 0x80
	v_cmp_eq_u16_e32 vcc, s4, v11
	s_mov_b64 s[4:5], -1
                                        ; implicit-def: $sgpr10
	s_and_saveexec_b64 s[8:9], vcc
; %bb.3478:
	s_mov_b32 s10, 0x7f800001
	s_xor_b64 s[4:5], exec, -1
; %bb.3479:
	s_or_b64 exec, exec, s[8:9]
	s_and_b64 s[4:5], s[4:5], exec
                                        ; implicit-def: $vgpr11
	s_or_saveexec_b64 s[6:7], s[6:7]
	v_mov_b32_e32 v12, s10
	s_xor_b64 exec, exec, s[6:7]
	s_cbranch_execz .LBB3_1430
.LBB3_3480:
	v_cmp_ne_u16_e32 vcc, 0, v11
	s_andn2_b64 s[4:5], s[4:5], exec
	s_and_b64 s[8:9], vcc, exec
	v_mov_b32_e32 v12, 0
	s_or_b64 s[4:5], s[4:5], s[8:9]
	s_or_b64 exec, exec, s[6:7]
	s_and_saveexec_b64 s[6:7], s[4:5]
	s_cbranch_execnz .LBB3_1431
	s_branch .LBB3_1432
.LBB3_3481:
	s_movk_i32 s4, 0x80
	v_cmp_eq_u16_sdwa s[12:13], v6, s4 src0_sel:BYTE_3 src1_sel:DWORD
	s_mov_b64 s[4:5], -1
                                        ; implicit-def: $sgpr10
	s_and_saveexec_b64 s[8:9], s[12:13]
; %bb.3482:
	s_mov_b32 s10, 0x7f800001
	s_xor_b64 s[4:5], exec, -1
; %bb.3483:
	s_or_b64 exec, exec, s[8:9]
	s_and_b64 s[4:5], s[4:5], exec
	s_or_saveexec_b64 s[6:7], s[6:7]
	v_mov_b32_e32 v10, s10
	s_xor_b64 exec, exec, s[6:7]
	s_cbranch_execz .LBB3_1434
.LBB3_3484:
	v_mov_b32_e32 v10, 0
	v_cmp_ne_u16_sdwa s[8:9], v6, v10 src0_sel:BYTE_3 src1_sel:DWORD
	s_andn2_b64 s[4:5], s[4:5], exec
	s_and_b64 s[8:9], s[8:9], exec
	s_or_b64 s[4:5], s[4:5], s[8:9]
	s_or_b64 exec, exec, s[6:7]
	s_and_saveexec_b64 s[6:7], s[4:5]
	s_cbranch_execnz .LBB3_1435
	s_branch .LBB3_1436
.LBB3_3485:
	s_movk_i32 s4, 0x80
	v_cmp_eq_u16_sdwa s[12:13], v2, s4 src0_sel:BYTE_3 src1_sel:DWORD
	s_mov_b64 s[4:5], -1
                                        ; implicit-def: $sgpr10
	s_and_saveexec_b64 s[8:9], s[12:13]
; %bb.3486:
	s_mov_b32 s10, 0x7f800001
	s_xor_b64 s[4:5], exec, -1
; %bb.3487:
	s_or_b64 exec, exec, s[8:9]
	s_and_b64 s[4:5], s[4:5], exec
	s_or_saveexec_b64 s[6:7], s[6:7]
	v_mov_b32_e32 v6, s10
	s_xor_b64 exec, exec, s[6:7]
	s_cbranch_execz .LBB3_1438
.LBB3_3488:
	v_mov_b32_e32 v6, 0
	v_cmp_ne_u16_sdwa s[8:9], v2, v6 src0_sel:BYTE_3 src1_sel:DWORD
	s_andn2_b64 s[4:5], s[4:5], exec
	s_and_b64 s[8:9], s[8:9], exec
	s_or_b64 s[4:5], s[4:5], s[8:9]
	s_or_b64 exec, exec, s[6:7]
	s_and_saveexec_b64 s[6:7], s[4:5]
	s_cbranch_execnz .LBB3_1439
	s_branch .LBB3_1440
.LBB3_3489:
	s_movk_i32 s4, 0x80
	v_cmp_eq_u16_sdwa s[12:13], v7, s4 src0_sel:BYTE_0 src1_sel:DWORD
	s_mov_b64 s[4:5], -1
                                        ; implicit-def: $sgpr10
	s_and_saveexec_b64 s[8:9], s[12:13]
; %bb.3490:
	s_mov_b32 s10, 0x7f800001
	s_xor_b64 s[4:5], exec, -1
; %bb.3491:
	s_or_b64 exec, exec, s[8:9]
	s_and_b64 s[4:5], s[4:5], exec
	s_or_saveexec_b64 s[6:7], s[6:7]
	v_mov_b32_e32 v2, s10
	s_xor_b64 exec, exec, s[6:7]
	s_cbranch_execz .LBB3_1442
.LBB3_3492:
	v_mov_b32_e32 v2, 0
	v_cmp_ne_u16_sdwa s[8:9], v7, v2 src0_sel:BYTE_0 src1_sel:DWORD
	s_andn2_b64 s[4:5], s[4:5], exec
	s_and_b64 s[8:9], s[8:9], exec
	s_or_b64 s[4:5], s[4:5], s[8:9]
	s_or_b64 exec, exec, s[6:7]
	s_and_saveexec_b64 s[6:7], s[4:5]
	s_cbranch_execnz .LBB3_1443
	s_branch .LBB3_1444
.LBB3_3493:
	s_movk_i32 s4, 0x80
	v_cmp_eq_u16_sdwa s[12:13], v3, s4 src0_sel:BYTE_0 src1_sel:DWORD
	s_mov_b64 s[4:5], -1
                                        ; implicit-def: $sgpr10
	s_and_saveexec_b64 s[8:9], s[12:13]
; %bb.3494:
	s_mov_b32 s10, 0x7f800001
	s_xor_b64 s[4:5], exec, -1
; %bb.3495:
	s_or_b64 exec, exec, s[8:9]
	s_and_b64 s[4:5], s[4:5], exec
	s_or_saveexec_b64 s[6:7], s[6:7]
	v_mov_b32_e32 v6, s10
	s_xor_b64 exec, exec, s[6:7]
	s_cbranch_execz .LBB3_1446
.LBB3_3496:
	v_mov_b32_e32 v6, 0
	v_cmp_ne_u16_sdwa s[8:9], v3, v6 src0_sel:BYTE_0 src1_sel:DWORD
	s_andn2_b64 s[4:5], s[4:5], exec
	s_and_b64 s[8:9], s[8:9], exec
	s_or_b64 s[4:5], s[4:5], s[8:9]
	s_or_b64 exec, exec, s[6:7]
	s_and_saveexec_b64 s[6:7], s[4:5]
	s_cbranch_execnz .LBB3_1447
	s_branch .LBB3_1448
.LBB3_3497:
	s_movk_i32 s4, 0x80
	v_cmp_eq_u16_sdwa s[12:13], v6, s4 src0_sel:BYTE_0 src1_sel:DWORD
	s_mov_b64 s[4:5], -1
                                        ; implicit-def: $sgpr10
	s_and_saveexec_b64 s[8:9], s[12:13]
; %bb.3498:
	s_mov_b32 s10, 0x7f800001
	s_xor_b64 s[4:5], exec, -1
; %bb.3499:
	s_or_b64 exec, exec, s[8:9]
	s_and_b64 s[4:5], s[4:5], exec
	s_or_saveexec_b64 s[6:7], s[6:7]
	v_mov_b32_e32 v2, s10
	s_xor_b64 exec, exec, s[6:7]
	s_cbranch_execz .LBB3_1450
.LBB3_3500:
	v_mov_b32_e32 v2, 0
	v_cmp_ne_u16_sdwa s[8:9], v6, v2 src0_sel:BYTE_0 src1_sel:DWORD
	s_andn2_b64 s[4:5], s[4:5], exec
	s_and_b64 s[8:9], s[8:9], exec
	s_or_b64 s[4:5], s[4:5], s[8:9]
	s_or_b64 exec, exec, s[6:7]
	s_and_saveexec_b64 s[6:7], s[4:5]
	s_cbranch_execnz .LBB3_1451
	s_branch .LBB3_1452
.LBB3_3501:
	s_movk_i32 s4, 0x80
	v_cmp_eq_u16_sdwa s[12:13], v6, s4 src0_sel:BYTE_0 src1_sel:DWORD
	s_mov_b64 s[4:5], -1
                                        ; implicit-def: $sgpr10
	s_and_saveexec_b64 s[8:9], s[12:13]
; %bb.3502:
	s_mov_b32 s10, 0x7f800001
	s_xor_b64 s[4:5], exec, -1
; %bb.3503:
	s_or_b64 exec, exec, s[8:9]
	s_and_b64 s[4:5], s[4:5], exec
	s_or_saveexec_b64 s[6:7], s[6:7]
	v_mov_b32_e32 v10, s10
	s_xor_b64 exec, exec, s[6:7]
	s_cbranch_execz .LBB3_1454
.LBB3_3504:
	v_mov_b32_e32 v10, 0
	v_cmp_ne_u16_sdwa s[8:9], v6, v10 src0_sel:BYTE_0 src1_sel:DWORD
	s_andn2_b64 s[4:5], s[4:5], exec
	s_and_b64 s[8:9], s[8:9], exec
	s_or_b64 s[4:5], s[4:5], s[8:9]
	s_or_b64 exec, exec, s[6:7]
	s_and_saveexec_b64 s[6:7], s[4:5]
	s_cbranch_execnz .LBB3_1455
	s_branch .LBB3_1456
.LBB3_3505:
	s_movk_i32 s4, 0x80
	v_cmp_eq_u16_e32 vcc, s4, v6
	s_mov_b64 s[4:5], -1
                                        ; implicit-def: $sgpr10
	s_and_saveexec_b64 s[8:9], vcc
; %bb.3506:
	s_mov_b32 s10, 0x7f800001
	s_xor_b64 s[4:5], exec, -1
; %bb.3507:
	s_or_b64 exec, exec, s[8:9]
	s_and_b64 s[4:5], s[4:5], exec
                                        ; implicit-def: $vgpr6
	s_or_saveexec_b64 s[6:7], s[6:7]
	v_mov_b32_e32 v2, s10
	s_xor_b64 exec, exec, s[6:7]
	s_cbranch_execz .LBB3_1458
.LBB3_3508:
	v_cmp_ne_u16_e32 vcc, 0, v6
	s_andn2_b64 s[4:5], s[4:5], exec
	s_and_b64 s[8:9], vcc, exec
	v_mov_b32_e32 v2, 0
	s_or_b64 s[4:5], s[4:5], s[8:9]
	s_or_b64 exec, exec, s[6:7]
	s_and_saveexec_b64 s[6:7], s[4:5]
	s_cbranch_execnz .LBB3_1459
	s_branch .LBB3_1460
.LBB3_3509:
	s_movk_i32 s4, 0x80
	v_cmp_eq_u16_e32 vcc, s4, v6
	s_mov_b64 s[4:5], -1
                                        ; implicit-def: $sgpr10
	s_and_saveexec_b64 s[8:9], vcc
; %bb.3510:
	s_mov_b32 s10, 0x7f800001
	s_xor_b64 s[4:5], exec, -1
; %bb.3511:
	s_or_b64 exec, exec, s[8:9]
	s_and_b64 s[4:5], s[4:5], exec
                                        ; implicit-def: $vgpr6
	s_or_saveexec_b64 s[6:7], s[6:7]
	v_mov_b32_e32 v10, s10
	s_xor_b64 exec, exec, s[6:7]
	s_cbranch_execz .LBB3_1462
.LBB3_3512:
	v_cmp_ne_u16_e32 vcc, 0, v6
	s_andn2_b64 s[4:5], s[4:5], exec
	s_and_b64 s[8:9], vcc, exec
	v_mov_b32_e32 v10, 0
	s_or_b64 s[4:5], s[4:5], s[8:9]
	s_or_b64 exec, exec, s[6:7]
	s_and_saveexec_b64 s[6:7], s[4:5]
	s_cbranch_execnz .LBB3_1463
	s_branch .LBB3_1464
.LBB3_3513:
	s_movk_i32 s4, 0x80
	v_cmp_eq_u16_sdwa s[12:13], v7, s4 src0_sel:BYTE_3 src1_sel:DWORD
	s_mov_b64 s[4:5], -1
                                        ; implicit-def: $sgpr10
	s_and_saveexec_b64 s[8:9], s[12:13]
; %bb.3514:
	s_mov_b32 s10, 0x7f800001
	s_xor_b64 s[4:5], exec, -1
; %bb.3515:
	s_or_b64 exec, exec, s[8:9]
	s_and_b64 s[4:5], s[4:5], exec
	s_or_saveexec_b64 s[6:7], s[6:7]
	v_mov_b32_e32 v2, s10
	s_xor_b64 exec, exec, s[6:7]
	s_cbranch_execz .LBB3_1466
.LBB3_3516:
	v_mov_b32_e32 v2, 0
	v_cmp_ne_u16_sdwa s[8:9], v7, v2 src0_sel:BYTE_3 src1_sel:DWORD
	s_andn2_b64 s[4:5], s[4:5], exec
	s_and_b64 s[8:9], s[8:9], exec
	s_or_b64 s[4:5], s[4:5], s[8:9]
	s_or_b64 exec, exec, s[6:7]
	s_and_saveexec_b64 s[6:7], s[4:5]
	s_cbranch_execnz .LBB3_1467
	s_branch .LBB3_1468
.LBB3_3517:
	s_movk_i32 s4, 0x80
	v_cmp_eq_u16_sdwa s[12:13], v3, s4 src0_sel:BYTE_3 src1_sel:DWORD
	s_mov_b64 s[4:5], -1
                                        ; implicit-def: $sgpr10
	s_and_saveexec_b64 s[8:9], s[12:13]
; %bb.3518:
	s_mov_b32 s10, 0x7f800001
	s_xor_b64 s[4:5], exec, -1
; %bb.3519:
	s_or_b64 exec, exec, s[8:9]
	s_and_b64 s[4:5], s[4:5], exec
	s_or_saveexec_b64 s[6:7], s[6:7]
	v_mov_b32_e32 v6, s10
	s_xor_b64 exec, exec, s[6:7]
	s_cbranch_execz .LBB3_1470
.LBB3_3520:
	v_mov_b32_e32 v6, 0
	v_cmp_ne_u16_sdwa s[8:9], v3, v6 src0_sel:BYTE_3 src1_sel:DWORD
	s_andn2_b64 s[4:5], s[4:5], exec
	s_and_b64 s[8:9], s[8:9], exec
	s_or_b64 s[4:5], s[4:5], s[8:9]
	s_or_b64 exec, exec, s[6:7]
	s_and_saveexec_b64 s[6:7], s[4:5]
	s_cbranch_execnz .LBB3_1471
	s_branch .LBB3_1472
.LBB3_3521:
	s_movk_i32 s4, 0x80
	v_cmp_eq_u16_sdwa s[12:13], v8, s4 src0_sel:BYTE_0 src1_sel:DWORD
	s_mov_b64 s[4:5], -1
                                        ; implicit-def: $sgpr10
	s_and_saveexec_b64 s[8:9], s[12:13]
; %bb.3522:
	s_mov_b32 s10, 0x7f800001
	s_xor_b64 s[4:5], exec, -1
; %bb.3523:
	s_or_b64 exec, exec, s[8:9]
	s_and_b64 s[4:5], s[4:5], exec
	s_or_saveexec_b64 s[6:7], s[6:7]
	v_mov_b32_e32 v2, s10
	s_xor_b64 exec, exec, s[6:7]
	s_cbranch_execz .LBB3_1474
.LBB3_3524:
	v_mov_b32_e32 v2, 0
	v_cmp_ne_u16_sdwa s[8:9], v8, v2 src0_sel:BYTE_0 src1_sel:DWORD
	s_andn2_b64 s[4:5], s[4:5], exec
	s_and_b64 s[8:9], s[8:9], exec
	s_or_b64 s[4:5], s[4:5], s[8:9]
	s_or_b64 exec, exec, s[6:7]
	s_and_saveexec_b64 s[6:7], s[4:5]
	s_cbranch_execnz .LBB3_1475
	s_branch .LBB3_1476
.LBB3_3525:
	s_movk_i32 s4, 0x80
	v_cmp_eq_u16_sdwa s[12:13], v4, s4 src0_sel:BYTE_0 src1_sel:DWORD
	s_mov_b64 s[4:5], -1
                                        ; implicit-def: $sgpr10
	s_and_saveexec_b64 s[8:9], s[12:13]
; %bb.3526:
	s_mov_b32 s10, 0x7f800001
	s_xor_b64 s[4:5], exec, -1
; %bb.3527:
	s_or_b64 exec, exec, s[8:9]
	s_and_b64 s[4:5], s[4:5], exec
	s_or_saveexec_b64 s[6:7], s[6:7]
	v_mov_b32_e32 v3, s10
	s_xor_b64 exec, exec, s[6:7]
	s_cbranch_execz .LBB3_1478
.LBB3_3528:
	v_mov_b32_e32 v3, 0
	v_cmp_ne_u16_sdwa s[8:9], v4, v3 src0_sel:BYTE_0 src1_sel:DWORD
	s_andn2_b64 s[4:5], s[4:5], exec
	s_and_b64 s[8:9], s[8:9], exec
	s_or_b64 s[4:5], s[4:5], s[8:9]
	s_or_b64 exec, exec, s[6:7]
	s_and_saveexec_b64 s[6:7], s[4:5]
	s_cbranch_execnz .LBB3_1479
	s_branch .LBB3_1480
.LBB3_3529:
	s_movk_i32 s4, 0x80
	v_cmp_eq_u16_sdwa s[12:13], v3, s4 src0_sel:BYTE_0 src1_sel:DWORD
	s_mov_b64 s[4:5], -1
                                        ; implicit-def: $sgpr10
	s_and_saveexec_b64 s[8:9], s[12:13]
; %bb.3530:
	s_mov_b32 s10, 0x7f800001
	s_xor_b64 s[4:5], exec, -1
; %bb.3531:
	s_or_b64 exec, exec, s[8:9]
	s_and_b64 s[4:5], s[4:5], exec
	s_or_saveexec_b64 s[6:7], s[6:7]
	v_mov_b32_e32 v2, s10
	s_xor_b64 exec, exec, s[6:7]
	s_cbranch_execz .LBB3_1482
.LBB3_3532:
	v_mov_b32_e32 v2, 0
	v_cmp_ne_u16_sdwa s[8:9], v3, v2 src0_sel:BYTE_0 src1_sel:DWORD
	s_andn2_b64 s[4:5], s[4:5], exec
	s_and_b64 s[8:9], s[8:9], exec
	s_or_b64 s[4:5], s[4:5], s[8:9]
	s_or_b64 exec, exec, s[6:7]
	s_and_saveexec_b64 s[6:7], s[4:5]
	s_cbranch_execnz .LBB3_1483
	s_branch .LBB3_1484
.LBB3_3533:
	s_movk_i32 s4, 0x80
	v_cmp_eq_u16_sdwa s[12:13], v3, s4 src0_sel:BYTE_0 src1_sel:DWORD
	s_mov_b64 s[4:5], -1
                                        ; implicit-def: $sgpr10
	s_and_saveexec_b64 s[8:9], s[12:13]
; %bb.3534:
	s_mov_b32 s10, 0x7f800001
	s_xor_b64 s[4:5], exec, -1
; %bb.3535:
	s_or_b64 exec, exec, s[8:9]
	s_and_b64 s[4:5], s[4:5], exec
	s_or_saveexec_b64 s[6:7], s[6:7]
	v_mov_b32_e32 v6, s10
	s_xor_b64 exec, exec, s[6:7]
	s_cbranch_execz .LBB3_1486
.LBB3_3536:
	v_mov_b32_e32 v6, 0
	v_cmp_ne_u16_sdwa s[8:9], v3, v6 src0_sel:BYTE_0 src1_sel:DWORD
	s_andn2_b64 s[4:5], s[4:5], exec
	s_and_b64 s[8:9], s[8:9], exec
	s_or_b64 s[4:5], s[4:5], s[8:9]
	s_or_b64 exec, exec, s[6:7]
	s_and_saveexec_b64 s[6:7], s[4:5]
	s_cbranch_execnz .LBB3_1487
	s_branch .LBB3_1488
.LBB3_3537:
	s_movk_i32 s4, 0x80
	v_cmp_eq_u16_e32 vcc, s4, v3
	s_mov_b64 s[4:5], -1
                                        ; implicit-def: $sgpr10
	s_and_saveexec_b64 s[8:9], vcc
; %bb.3538:
	s_mov_b32 s10, 0x7f800001
	s_xor_b64 s[4:5], exec, -1
; %bb.3539:
	s_or_b64 exec, exec, s[8:9]
	s_and_b64 s[4:5], s[4:5], exec
                                        ; implicit-def: $vgpr3
	s_or_saveexec_b64 s[6:7], s[6:7]
	v_mov_b32_e32 v2, s10
	s_xor_b64 exec, exec, s[6:7]
	s_cbranch_execz .LBB3_1490
.LBB3_3540:
	v_cmp_ne_u16_e32 vcc, 0, v3
	s_andn2_b64 s[4:5], s[4:5], exec
	s_and_b64 s[8:9], vcc, exec
	v_mov_b32_e32 v2, 0
	s_or_b64 s[4:5], s[4:5], s[8:9]
	s_or_b64 exec, exec, s[6:7]
	s_and_saveexec_b64 s[6:7], s[4:5]
	s_cbranch_execnz .LBB3_1491
	s_branch .LBB3_1492
.LBB3_3541:
	s_movk_i32 s4, 0x80
	v_cmp_eq_u16_e32 vcc, s4, v3
	s_mov_b64 s[4:5], -1
                                        ; implicit-def: $sgpr10
	s_and_saveexec_b64 s[8:9], vcc
; %bb.3542:
	s_mov_b32 s10, 0x7f800001
	s_xor_b64 s[4:5], exec, -1
; %bb.3543:
	s_or_b64 exec, exec, s[8:9]
	s_and_b64 s[4:5], s[4:5], exec
                                        ; implicit-def: $vgpr3
	s_or_saveexec_b64 s[6:7], s[6:7]
	v_mov_b32_e32 v6, s10
	s_xor_b64 exec, exec, s[6:7]
	s_cbranch_execz .LBB3_1494
.LBB3_3544:
	v_cmp_ne_u16_e32 vcc, 0, v3
	s_andn2_b64 s[4:5], s[4:5], exec
	s_and_b64 s[8:9], vcc, exec
	v_mov_b32_e32 v6, 0
	s_or_b64 s[4:5], s[4:5], s[8:9]
	s_or_b64 exec, exec, s[6:7]
	s_and_saveexec_b64 s[6:7], s[4:5]
	s_cbranch_execnz .LBB3_1495
	s_branch .LBB3_1496
.LBB3_3545:
	s_movk_i32 s4, 0x80
	v_cmp_eq_u16_sdwa s[12:13], v8, s4 src0_sel:BYTE_3 src1_sel:DWORD
	s_mov_b64 s[4:5], -1
                                        ; implicit-def: $sgpr10
	s_and_saveexec_b64 s[8:9], s[12:13]
; %bb.3546:
	s_mov_b32 s10, 0x7f800001
	s_xor_b64 s[4:5], exec, -1
; %bb.3547:
	s_or_b64 exec, exec, s[8:9]
	s_and_b64 s[4:5], s[4:5], exec
	s_or_saveexec_b64 s[6:7], s[6:7]
	v_mov_b32_e32 v2, s10
	s_xor_b64 exec, exec, s[6:7]
	s_cbranch_execz .LBB3_1498
.LBB3_3548:
	v_mov_b32_e32 v2, 0
	v_cmp_ne_u16_sdwa s[8:9], v8, v2 src0_sel:BYTE_3 src1_sel:DWORD
	s_andn2_b64 s[4:5], s[4:5], exec
	s_and_b64 s[8:9], s[8:9], exec
	s_or_b64 s[4:5], s[4:5], s[8:9]
	s_or_b64 exec, exec, s[6:7]
	s_and_saveexec_b64 s[6:7], s[4:5]
	s_cbranch_execnz .LBB3_1499
	s_branch .LBB3_1500
.LBB3_3549:
	s_movk_i32 s4, 0x80
	v_cmp_eq_u16_sdwa s[12:13], v4, s4 src0_sel:BYTE_3 src1_sel:DWORD
	s_mov_b64 s[4:5], -1
                                        ; implicit-def: $sgpr10
	s_and_saveexec_b64 s[8:9], s[12:13]
; %bb.3550:
	s_mov_b32 s10, 0x7f800001
	s_xor_b64 s[4:5], exec, -1
; %bb.3551:
	s_or_b64 exec, exec, s[8:9]
	s_and_b64 s[4:5], s[4:5], exec
	s_or_saveexec_b64 s[6:7], s[6:7]
	v_mov_b32_e32 v3, s10
	s_xor_b64 exec, exec, s[6:7]
	s_cbranch_execz .LBB3_1502
.LBB3_3552:
	v_mov_b32_e32 v3, 0
	v_cmp_ne_u16_sdwa s[8:9], v4, v3 src0_sel:BYTE_3 src1_sel:DWORD
	s_andn2_b64 s[4:5], s[4:5], exec
	s_and_b64 s[8:9], s[8:9], exec
	s_or_b64 s[4:5], s[4:5], s[8:9]
	s_or_b64 exec, exec, s[6:7]
	s_and_saveexec_b64 s[6:7], s[4:5]
	s_cbranch_execnz .LBB3_1503
	s_branch .LBB3_1504
.LBB3_3553:
	s_movk_i32 s4, 0x80
	v_cmp_eq_u16_sdwa s[12:13], v9, s4 src0_sel:BYTE_0 src1_sel:DWORD
	s_mov_b64 s[4:5], -1
                                        ; implicit-def: $sgpr10
	s_and_saveexec_b64 s[8:9], s[12:13]
; %bb.3554:
	s_mov_b32 s10, 0x7f800001
	s_xor_b64 s[4:5], exec, -1
; %bb.3555:
	s_or_b64 exec, exec, s[8:9]
	s_and_b64 s[4:5], s[4:5], exec
	s_or_saveexec_b64 s[6:7], s[6:7]
	v_mov_b32_e32 v2, s10
	s_xor_b64 exec, exec, s[6:7]
	s_cbranch_execz .LBB3_1506
.LBB3_3556:
	v_mov_b32_e32 v2, 0
	v_cmp_ne_u16_sdwa s[8:9], v9, v2 src0_sel:BYTE_0 src1_sel:DWORD
	s_andn2_b64 s[4:5], s[4:5], exec
	s_and_b64 s[8:9], s[8:9], exec
	s_or_b64 s[4:5], s[4:5], s[8:9]
	s_or_b64 exec, exec, s[6:7]
	s_and_saveexec_b64 s[6:7], s[4:5]
	s_cbranch_execnz .LBB3_1507
	s_branch .LBB3_1508
.LBB3_3557:
	s_movk_i32 s4, 0x80
	v_cmp_eq_u16_sdwa s[12:13], v5, s4 src0_sel:BYTE_0 src1_sel:DWORD
	s_mov_b64 s[4:5], -1
                                        ; implicit-def: $sgpr10
	s_and_saveexec_b64 s[8:9], s[12:13]
; %bb.3558:
	s_mov_b32 s10, 0x7f800001
	s_xor_b64 s[4:5], exec, -1
; %bb.3559:
	s_or_b64 exec, exec, s[8:9]
	s_and_b64 s[4:5], s[4:5], exec
	s_or_saveexec_b64 s[6:7], s[6:7]
	v_mov_b32_e32 v3, s10
	s_xor_b64 exec, exec, s[6:7]
	s_cbranch_execz .LBB3_1510
.LBB3_3560:
	v_mov_b32_e32 v3, 0
	v_cmp_ne_u16_sdwa s[8:9], v5, v3 src0_sel:BYTE_0 src1_sel:DWORD
	s_andn2_b64 s[4:5], s[4:5], exec
	s_and_b64 s[8:9], s[8:9], exec
	s_or_b64 s[4:5], s[4:5], s[8:9]
	s_or_b64 exec, exec, s[6:7]
	s_and_saveexec_b64 s[6:7], s[4:5]
	s_cbranch_execnz .LBB3_1511
	s_branch .LBB3_1512
.LBB3_3561:
	s_movk_i32 s4, 0x80
	v_cmp_eq_u16_sdwa s[12:13], v3, s4 src0_sel:BYTE_0 src1_sel:DWORD
	s_mov_b64 s[4:5], -1
                                        ; implicit-def: $sgpr10
	s_and_saveexec_b64 s[8:9], s[12:13]
; %bb.3562:
	s_mov_b32 s10, 0x7f800001
	s_xor_b64 s[4:5], exec, -1
; %bb.3563:
	s_or_b64 exec, exec, s[8:9]
	s_and_b64 s[4:5], s[4:5], exec
	s_or_saveexec_b64 s[6:7], s[6:7]
	v_mov_b32_e32 v2, s10
	s_xor_b64 exec, exec, s[6:7]
	s_cbranch_execz .LBB3_1514
.LBB3_3564:
	v_mov_b32_e32 v2, 0
	v_cmp_ne_u16_sdwa s[8:9], v3, v2 src0_sel:BYTE_0 src1_sel:DWORD
	s_andn2_b64 s[4:5], s[4:5], exec
	s_and_b64 s[8:9], s[8:9], exec
	s_or_b64 s[4:5], s[4:5], s[8:9]
	s_or_b64 exec, exec, s[6:7]
	s_and_saveexec_b64 s[6:7], s[4:5]
	s_cbranch_execnz .LBB3_1515
	s_branch .LBB3_1516
.LBB3_3565:
	s_movk_i32 s4, 0x80
	v_cmp_eq_u16_sdwa s[12:13], v3, s4 src0_sel:BYTE_0 src1_sel:DWORD
	s_mov_b64 s[4:5], -1
                                        ; implicit-def: $sgpr10
	s_and_saveexec_b64 s[8:9], s[12:13]
; %bb.3566:
	s_mov_b32 s10, 0x7f800001
	s_xor_b64 s[4:5], exec, -1
; %bb.3567:
	s_or_b64 exec, exec, s[8:9]
	s_and_b64 s[4:5], s[4:5], exec
	s_or_saveexec_b64 s[6:7], s[6:7]
	v_mov_b32_e32 v4, s10
	s_xor_b64 exec, exec, s[6:7]
	s_cbranch_execz .LBB3_1518
.LBB3_3568:
	v_mov_b32_e32 v4, 0
	v_cmp_ne_u16_sdwa s[8:9], v3, v4 src0_sel:BYTE_0 src1_sel:DWORD
	s_andn2_b64 s[4:5], s[4:5], exec
	s_and_b64 s[8:9], s[8:9], exec
	s_or_b64 s[4:5], s[4:5], s[8:9]
	s_or_b64 exec, exec, s[6:7]
	s_and_saveexec_b64 s[6:7], s[4:5]
	s_cbranch_execnz .LBB3_1519
	s_branch .LBB3_1520
.LBB3_3569:
	s_movk_i32 s4, 0x80
	v_cmp_eq_u16_e32 vcc, s4, v3
	s_mov_b64 s[4:5], -1
                                        ; implicit-def: $sgpr10
	s_and_saveexec_b64 s[8:9], vcc
; %bb.3570:
	s_mov_b32 s10, 0x7f800001
	s_xor_b64 s[4:5], exec, -1
; %bb.3571:
	s_or_b64 exec, exec, s[8:9]
	s_and_b64 s[4:5], s[4:5], exec
                                        ; implicit-def: $vgpr3
	s_or_saveexec_b64 s[6:7], s[6:7]
	v_mov_b32_e32 v2, s10
	s_xor_b64 exec, exec, s[6:7]
	s_cbranch_execz .LBB3_1522
.LBB3_3572:
	v_cmp_ne_u16_e32 vcc, 0, v3
	s_andn2_b64 s[4:5], s[4:5], exec
	s_and_b64 s[8:9], vcc, exec
	v_mov_b32_e32 v2, 0
	s_or_b64 s[4:5], s[4:5], s[8:9]
	s_or_b64 exec, exec, s[6:7]
	s_and_saveexec_b64 s[6:7], s[4:5]
	s_cbranch_execnz .LBB3_1523
	s_branch .LBB3_1524
.LBB3_3573:
	s_movk_i32 s4, 0x80
	v_cmp_eq_u16_e32 vcc, s4, v3
	s_mov_b64 s[4:5], -1
                                        ; implicit-def: $sgpr10
	s_and_saveexec_b64 s[8:9], vcc
; %bb.3574:
	s_mov_b32 s10, 0x7f800001
	s_xor_b64 s[4:5], exec, -1
; %bb.3575:
	s_or_b64 exec, exec, s[8:9]
	s_and_b64 s[4:5], s[4:5], exec
                                        ; implicit-def: $vgpr3
	s_or_saveexec_b64 s[6:7], s[6:7]
	v_mov_b32_e32 v4, s10
	s_xor_b64 exec, exec, s[6:7]
	s_cbranch_execz .LBB3_1526
.LBB3_3576:
	v_cmp_ne_u16_e32 vcc, 0, v3
	s_andn2_b64 s[4:5], s[4:5], exec
	s_and_b64 s[8:9], vcc, exec
	v_mov_b32_e32 v4, 0
	s_or_b64 s[4:5], s[4:5], s[8:9]
	s_or_b64 exec, exec, s[6:7]
	s_and_saveexec_b64 s[6:7], s[4:5]
	s_cbranch_execnz .LBB3_1527
	s_branch .LBB3_1528
.LBB3_3577:
	s_movk_i32 s4, 0x80
	v_cmp_eq_u16_sdwa s[12:13], v9, s4 src0_sel:BYTE_3 src1_sel:DWORD
	s_mov_b64 s[4:5], -1
                                        ; implicit-def: $sgpr10
	s_and_saveexec_b64 s[8:9], s[12:13]
; %bb.3578:
	s_mov_b32 s10, 0x7f800001
	s_xor_b64 s[4:5], exec, -1
; %bb.3579:
	s_or_b64 exec, exec, s[8:9]
	s_and_b64 s[4:5], s[4:5], exec
	s_or_saveexec_b64 s[6:7], s[6:7]
	v_mov_b32_e32 v2, s10
	s_xor_b64 exec, exec, s[6:7]
	s_cbranch_execz .LBB3_1530
.LBB3_3580:
	v_mov_b32_e32 v2, 0
	v_cmp_ne_u16_sdwa s[8:9], v9, v2 src0_sel:BYTE_3 src1_sel:DWORD
	s_andn2_b64 s[4:5], s[4:5], exec
	s_and_b64 s[8:9], s[8:9], exec
	s_or_b64 s[4:5], s[4:5], s[8:9]
	s_or_b64 exec, exec, s[6:7]
	s_and_saveexec_b64 s[6:7], s[4:5]
	s_cbranch_execnz .LBB3_1531
	s_branch .LBB3_1532
.LBB3_3581:
	s_movk_i32 s4, 0x80
	v_cmp_eq_u16_sdwa s[12:13], v5, s4 src0_sel:BYTE_3 src1_sel:DWORD
	s_mov_b64 s[4:5], -1
                                        ; implicit-def: $sgpr10
	s_and_saveexec_b64 s[8:9], s[12:13]
; %bb.3582:
	s_mov_b32 s10, 0x7f800001
	s_xor_b64 s[4:5], exec, -1
; %bb.3583:
	s_or_b64 exec, exec, s[8:9]
	s_and_b64 s[4:5], s[4:5], exec
	s_or_saveexec_b64 s[6:7], s[6:7]
	v_mov_b32_e32 v3, s10
	s_xor_b64 exec, exec, s[6:7]
	s_cbranch_execz .LBB3_1534
.LBB3_3584:
	v_mov_b32_e32 v3, 0
	v_cmp_ne_u16_sdwa s[8:9], v5, v3 src0_sel:BYTE_3 src1_sel:DWORD
	s_andn2_b64 s[4:5], s[4:5], exec
	s_and_b64 s[8:9], s[8:9], exec
	s_or_b64 s[4:5], s[4:5], s[8:9]
	s_or_b64 exec, exec, s[6:7]
	s_and_saveexec_b64 s[6:7], s[4:5]
	s_cbranch_execnz .LBB3_1535
	s_branch .LBB3_1536
.LBB3_3585:
	s_movk_i32 s4, 0x80
	v_cmp_eq_u16_sdwa s[12:13], v14, s4 src0_sel:BYTE_0 src1_sel:DWORD
	s_mov_b64 s[4:5], -1
                                        ; implicit-def: $sgpr10
	s_and_saveexec_b64 s[8:9], s[12:13]
; %bb.3586:
	s_mov_b32 s10, 0x7f800001
	s_xor_b64 s[4:5], exec, -1
; %bb.3587:
	s_or_b64 exec, exec, s[8:9]
	s_and_b64 s[4:5], s[4:5], exec
	s_or_saveexec_b64 s[6:7], s[6:7]
	v_mov_b32_e32 v20, s10
	s_xor_b64 exec, exec, s[6:7]
	s_cbranch_execz .LBB3_1538
.LBB3_3588:
	v_mov_b32_e32 v20, 0
	v_cmp_ne_u16_sdwa s[8:9], v14, v20 src0_sel:BYTE_0 src1_sel:DWORD
	s_andn2_b64 s[4:5], s[4:5], exec
	s_and_b64 s[8:9], s[8:9], exec
	s_or_b64 s[4:5], s[4:5], s[8:9]
	s_or_b64 exec, exec, s[6:7]
	s_and_saveexec_b64 s[6:7], s[4:5]
	s_cbranch_execnz .LBB3_1539
	s_branch .LBB3_1540
.LBB3_3589:
	s_movk_i32 s4, 0x80
	v_cmp_eq_u16_sdwa s[12:13], v10, s4 src0_sel:BYTE_0 src1_sel:DWORD
	s_mov_b64 s[4:5], -1
                                        ; implicit-def: $sgpr10
	s_and_saveexec_b64 s[8:9], s[12:13]
; %bb.3590:
	s_mov_b32 s10, 0x7f800001
	s_xor_b64 s[4:5], exec, -1
; %bb.3591:
	s_or_b64 exec, exec, s[8:9]
	s_and_b64 s[4:5], s[4:5], exec
	s_or_saveexec_b64 s[6:7], s[6:7]
	v_mov_b32_e32 v21, s10
	s_xor_b64 exec, exec, s[6:7]
	s_cbranch_execz .LBB3_1542
.LBB3_3592:
	v_mov_b32_e32 v21, 0
	v_cmp_ne_u16_sdwa s[8:9], v10, v21 src0_sel:BYTE_0 src1_sel:DWORD
	s_andn2_b64 s[4:5], s[4:5], exec
	s_and_b64 s[8:9], s[8:9], exec
	s_or_b64 s[4:5], s[4:5], s[8:9]
	s_or_b64 exec, exec, s[6:7]
	s_and_saveexec_b64 s[6:7], s[4:5]
	s_cbranch_execnz .LBB3_1543
	s_branch .LBB3_1544
.LBB3_3593:
	s_movk_i32 s4, 0x80
	v_cmp_eq_u16_sdwa s[12:13], v21, s4 src0_sel:BYTE_0 src1_sel:DWORD
	s_mov_b64 s[4:5], -1
                                        ; implicit-def: $sgpr10
	s_and_saveexec_b64 s[8:9], s[12:13]
; %bb.3594:
	s_mov_b32 s10, 0x7f800001
	s_xor_b64 s[4:5], exec, -1
; %bb.3595:
	s_or_b64 exec, exec, s[8:9]
	s_and_b64 s[4:5], s[4:5], exec
	s_or_saveexec_b64 s[6:7], s[6:7]
	v_mov_b32_e32 v20, s10
	s_xor_b64 exec, exec, s[6:7]
	s_cbranch_execz .LBB3_1546
.LBB3_3596:
	v_mov_b32_e32 v20, 0
	v_cmp_ne_u16_sdwa s[8:9], v21, v20 src0_sel:BYTE_0 src1_sel:DWORD
	s_andn2_b64 s[4:5], s[4:5], exec
	s_and_b64 s[8:9], s[8:9], exec
	s_or_b64 s[4:5], s[4:5], s[8:9]
	s_or_b64 exec, exec, s[6:7]
	s_and_saveexec_b64 s[6:7], s[4:5]
	s_cbranch_execnz .LBB3_1547
	s_branch .LBB3_1548
.LBB3_3597:
	s_movk_i32 s4, 0x80
	v_cmp_eq_u16_sdwa s[12:13], v21, s4 src0_sel:BYTE_0 src1_sel:DWORD
	s_mov_b64 s[4:5], -1
                                        ; implicit-def: $sgpr10
	s_and_saveexec_b64 s[8:9], s[12:13]
; %bb.3598:
	s_mov_b32 s10, 0x7f800001
	s_xor_b64 s[4:5], exec, -1
; %bb.3599:
	s_or_b64 exec, exec, s[8:9]
	s_and_b64 s[4:5], s[4:5], exec
	s_or_saveexec_b64 s[6:7], s[6:7]
	v_mov_b32_e32 v22, s10
	s_xor_b64 exec, exec, s[6:7]
	s_cbranch_execz .LBB3_1550
.LBB3_3600:
	v_mov_b32_e32 v22, 0
	v_cmp_ne_u16_sdwa s[8:9], v21, v22 src0_sel:BYTE_0 src1_sel:DWORD
	s_andn2_b64 s[4:5], s[4:5], exec
	s_and_b64 s[8:9], s[8:9], exec
	s_or_b64 s[4:5], s[4:5], s[8:9]
	s_or_b64 exec, exec, s[6:7]
	s_and_saveexec_b64 s[6:7], s[4:5]
	s_cbranch_execnz .LBB3_1551
	s_branch .LBB3_1552
.LBB3_3601:
	s_movk_i32 s4, 0x80
	v_cmp_eq_u16_e32 vcc, s4, v21
	s_mov_b64 s[4:5], -1
                                        ; implicit-def: $sgpr10
	s_and_saveexec_b64 s[8:9], vcc
; %bb.3602:
	s_mov_b32 s10, 0x7f800001
	s_xor_b64 s[4:5], exec, -1
; %bb.3603:
	s_or_b64 exec, exec, s[8:9]
	s_and_b64 s[4:5], s[4:5], exec
                                        ; implicit-def: $vgpr21
	s_or_saveexec_b64 s[6:7], s[6:7]
	v_mov_b32_e32 v20, s10
	s_xor_b64 exec, exec, s[6:7]
	s_cbranch_execz .LBB3_1554
.LBB3_3604:
	v_cmp_ne_u16_e32 vcc, 0, v21
	s_andn2_b64 s[4:5], s[4:5], exec
	s_and_b64 s[8:9], vcc, exec
	v_mov_b32_e32 v20, 0
	s_or_b64 s[4:5], s[4:5], s[8:9]
	s_or_b64 exec, exec, s[6:7]
	s_and_saveexec_b64 s[6:7], s[4:5]
	s_cbranch_execnz .LBB3_1555
	s_branch .LBB3_1556
.LBB3_3605:
	s_movk_i32 s4, 0x80
	v_cmp_eq_u16_e32 vcc, s4, v21
	s_mov_b64 s[4:5], -1
                                        ; implicit-def: $sgpr10
	s_and_saveexec_b64 s[8:9], vcc
; %bb.3606:
	s_mov_b32 s10, 0x7f800001
	s_xor_b64 s[4:5], exec, -1
; %bb.3607:
	s_or_b64 exec, exec, s[8:9]
	s_and_b64 s[4:5], s[4:5], exec
                                        ; implicit-def: $vgpr21
	s_or_saveexec_b64 s[6:7], s[6:7]
	v_mov_b32_e32 v22, s10
	s_xor_b64 exec, exec, s[6:7]
	s_cbranch_execz .LBB3_1558
.LBB3_3608:
	v_cmp_ne_u16_e32 vcc, 0, v21
	s_andn2_b64 s[4:5], s[4:5], exec
	s_and_b64 s[8:9], vcc, exec
	v_mov_b32_e32 v22, 0
	s_or_b64 s[4:5], s[4:5], s[8:9]
	s_or_b64 exec, exec, s[6:7]
	s_and_saveexec_b64 s[6:7], s[4:5]
	s_cbranch_execnz .LBB3_1559
	s_branch .LBB3_1560
.LBB3_3609:
	s_movk_i32 s4, 0x80
	v_cmp_eq_u16_sdwa s[12:13], v14, s4 src0_sel:BYTE_3 src1_sel:DWORD
	s_mov_b64 s[4:5], -1
                                        ; implicit-def: $sgpr10
	s_and_saveexec_b64 s[8:9], s[12:13]
; %bb.3610:
	s_mov_b32 s10, 0x7f800001
	s_xor_b64 s[4:5], exec, -1
; %bb.3611:
	s_or_b64 exec, exec, s[8:9]
	s_and_b64 s[4:5], s[4:5], exec
	s_or_saveexec_b64 s[6:7], s[6:7]
	v_mov_b32_e32 v20, s10
	s_xor_b64 exec, exec, s[6:7]
	s_cbranch_execz .LBB3_1562
.LBB3_3612:
	v_mov_b32_e32 v20, 0
	v_cmp_ne_u16_sdwa s[8:9], v14, v20 src0_sel:BYTE_3 src1_sel:DWORD
	s_andn2_b64 s[4:5], s[4:5], exec
	s_and_b64 s[8:9], s[8:9], exec
	s_or_b64 s[4:5], s[4:5], s[8:9]
	s_or_b64 exec, exec, s[6:7]
	s_and_saveexec_b64 s[6:7], s[4:5]
	s_cbranch_execnz .LBB3_1563
	s_branch .LBB3_1564
.LBB3_3613:
	s_movk_i32 s4, 0x80
	v_cmp_eq_u16_sdwa s[12:13], v10, s4 src0_sel:BYTE_3 src1_sel:DWORD
	s_mov_b64 s[4:5], -1
                                        ; implicit-def: $sgpr10
	s_and_saveexec_b64 s[8:9], s[12:13]
; %bb.3614:
	s_mov_b32 s10, 0x7f800001
	s_xor_b64 s[4:5], exec, -1
; %bb.3615:
	s_or_b64 exec, exec, s[8:9]
	s_and_b64 s[4:5], s[4:5], exec
	s_or_saveexec_b64 s[6:7], s[6:7]
	v_mov_b32_e32 v14, s10
	s_xor_b64 exec, exec, s[6:7]
	s_cbranch_execz .LBB3_1566
.LBB3_3616:
	v_mov_b32_e32 v14, 0
	v_cmp_ne_u16_sdwa s[8:9], v10, v14 src0_sel:BYTE_3 src1_sel:DWORD
	s_andn2_b64 s[4:5], s[4:5], exec
	s_and_b64 s[8:9], s[8:9], exec
	s_or_b64 s[4:5], s[4:5], s[8:9]
	s_or_b64 exec, exec, s[6:7]
	s_and_saveexec_b64 s[6:7], s[4:5]
	s_cbranch_execnz .LBB3_1567
	s_branch .LBB3_1568
.LBB3_3617:
	s_movk_i32 s4, 0x80
	v_cmp_eq_u16_sdwa s[12:13], v15, s4 src0_sel:BYTE_0 src1_sel:DWORD
	s_mov_b64 s[4:5], -1
                                        ; implicit-def: $sgpr10
	s_and_saveexec_b64 s[8:9], s[12:13]
; %bb.3618:
	s_mov_b32 s10, 0x7f800001
	s_xor_b64 s[4:5], exec, -1
; %bb.3619:
	s_or_b64 exec, exec, s[8:9]
	s_and_b64 s[4:5], s[4:5], exec
	s_or_saveexec_b64 s[6:7], s[6:7]
	v_mov_b32_e32 v10, s10
	s_xor_b64 exec, exec, s[6:7]
	s_cbranch_execz .LBB3_1570
.LBB3_3620:
	v_mov_b32_e32 v10, 0
	v_cmp_ne_u16_sdwa s[8:9], v15, v10 src0_sel:BYTE_0 src1_sel:DWORD
	s_andn2_b64 s[4:5], s[4:5], exec
	s_and_b64 s[8:9], s[8:9], exec
	s_or_b64 s[4:5], s[4:5], s[8:9]
	s_or_b64 exec, exec, s[6:7]
	s_and_saveexec_b64 s[6:7], s[4:5]
	s_cbranch_execnz .LBB3_1571
	s_branch .LBB3_1572
.LBB3_3621:
	s_movk_i32 s4, 0x80
	v_cmp_eq_u16_sdwa s[12:13], v11, s4 src0_sel:BYTE_0 src1_sel:DWORD
	s_mov_b64 s[4:5], -1
                                        ; implicit-def: $sgpr10
	s_and_saveexec_b64 s[8:9], s[12:13]
; %bb.3622:
	s_mov_b32 s10, 0x7f800001
	s_xor_b64 s[4:5], exec, -1
; %bb.3623:
	s_or_b64 exec, exec, s[8:9]
	s_and_b64 s[4:5], s[4:5], exec
	s_or_saveexec_b64 s[6:7], s[6:7]
	v_mov_b32_e32 v14, s10
	s_xor_b64 exec, exec, s[6:7]
	s_cbranch_execz .LBB3_1574
.LBB3_3624:
	v_mov_b32_e32 v14, 0
	v_cmp_ne_u16_sdwa s[8:9], v11, v14 src0_sel:BYTE_0 src1_sel:DWORD
	s_andn2_b64 s[4:5], s[4:5], exec
	s_and_b64 s[8:9], s[8:9], exec
	s_or_b64 s[4:5], s[4:5], s[8:9]
	s_or_b64 exec, exec, s[6:7]
	s_and_saveexec_b64 s[6:7], s[4:5]
	s_cbranch_execnz .LBB3_1575
	s_branch .LBB3_1576
.LBB3_3625:
	s_movk_i32 s4, 0x80
	v_cmp_eq_u16_sdwa s[12:13], v14, s4 src0_sel:BYTE_0 src1_sel:DWORD
	s_mov_b64 s[4:5], -1
                                        ; implicit-def: $sgpr10
	s_and_saveexec_b64 s[8:9], s[12:13]
; %bb.3626:
	s_mov_b32 s10, 0x7f800001
	s_xor_b64 s[4:5], exec, -1
; %bb.3627:
	s_or_b64 exec, exec, s[8:9]
	s_and_b64 s[4:5], s[4:5], exec
	s_or_saveexec_b64 s[6:7], s[6:7]
	v_mov_b32_e32 v10, s10
	s_xor_b64 exec, exec, s[6:7]
	s_cbranch_execz .LBB3_1578
.LBB3_3628:
	v_mov_b32_e32 v10, 0
	v_cmp_ne_u16_sdwa s[8:9], v14, v10 src0_sel:BYTE_0 src1_sel:DWORD
	s_andn2_b64 s[4:5], s[4:5], exec
	s_and_b64 s[8:9], s[8:9], exec
	s_or_b64 s[4:5], s[4:5], s[8:9]
	s_or_b64 exec, exec, s[6:7]
	s_and_saveexec_b64 s[6:7], s[4:5]
	s_cbranch_execnz .LBB3_1579
	s_branch .LBB3_1580
.LBB3_3629:
	s_movk_i32 s4, 0x80
	v_cmp_eq_u16_sdwa s[12:13], v14, s4 src0_sel:BYTE_0 src1_sel:DWORD
	s_mov_b64 s[4:5], -1
                                        ; implicit-def: $sgpr10
	s_and_saveexec_b64 s[8:9], s[12:13]
; %bb.3630:
	s_mov_b32 s10, 0x7f800001
	s_xor_b64 s[4:5], exec, -1
; %bb.3631:
	s_or_b64 exec, exec, s[8:9]
	s_and_b64 s[4:5], s[4:5], exec
	s_or_saveexec_b64 s[6:7], s[6:7]
	v_mov_b32_e32 v20, s10
	s_xor_b64 exec, exec, s[6:7]
	s_cbranch_execz .LBB3_1582
.LBB3_3632:
	v_mov_b32_e32 v20, 0
	v_cmp_ne_u16_sdwa s[8:9], v14, v20 src0_sel:BYTE_0 src1_sel:DWORD
	s_andn2_b64 s[4:5], s[4:5], exec
	s_and_b64 s[8:9], s[8:9], exec
	s_or_b64 s[4:5], s[4:5], s[8:9]
	s_or_b64 exec, exec, s[6:7]
	s_and_saveexec_b64 s[6:7], s[4:5]
	s_cbranch_execnz .LBB3_1583
	s_branch .LBB3_1584
.LBB3_3633:
	s_movk_i32 s4, 0x80
	v_cmp_eq_u16_e32 vcc, s4, v14
	s_mov_b64 s[4:5], -1
                                        ; implicit-def: $sgpr10
	s_and_saveexec_b64 s[8:9], vcc
; %bb.3634:
	s_mov_b32 s10, 0x7f800001
	s_xor_b64 s[4:5], exec, -1
; %bb.3635:
	s_or_b64 exec, exec, s[8:9]
	s_and_b64 s[4:5], s[4:5], exec
                                        ; implicit-def: $vgpr14
	s_or_saveexec_b64 s[6:7], s[6:7]
	v_mov_b32_e32 v10, s10
	s_xor_b64 exec, exec, s[6:7]
	s_cbranch_execz .LBB3_1586
.LBB3_3636:
	v_cmp_ne_u16_e32 vcc, 0, v14
	s_andn2_b64 s[4:5], s[4:5], exec
	s_and_b64 s[8:9], vcc, exec
	v_mov_b32_e32 v10, 0
	s_or_b64 s[4:5], s[4:5], s[8:9]
	s_or_b64 exec, exec, s[6:7]
	s_and_saveexec_b64 s[6:7], s[4:5]
	s_cbranch_execnz .LBB3_1587
	s_branch .LBB3_1588
.LBB3_3637:
	s_movk_i32 s4, 0x80
	v_cmp_eq_u16_e32 vcc, s4, v14
	s_mov_b64 s[4:5], -1
                                        ; implicit-def: $sgpr10
	s_and_saveexec_b64 s[8:9], vcc
; %bb.3638:
	s_mov_b32 s10, 0x7f800001
	s_xor_b64 s[4:5], exec, -1
; %bb.3639:
	s_or_b64 exec, exec, s[8:9]
	s_and_b64 s[4:5], s[4:5], exec
                                        ; implicit-def: $vgpr14
	s_or_saveexec_b64 s[6:7], s[6:7]
	v_mov_b32_e32 v20, s10
	s_xor_b64 exec, exec, s[6:7]
	s_cbranch_execz .LBB3_1590
.LBB3_3640:
	v_cmp_ne_u16_e32 vcc, 0, v14
	s_andn2_b64 s[4:5], s[4:5], exec
	s_and_b64 s[8:9], vcc, exec
	v_mov_b32_e32 v20, 0
	s_or_b64 s[4:5], s[4:5], s[8:9]
	s_or_b64 exec, exec, s[6:7]
	s_and_saveexec_b64 s[6:7], s[4:5]
	s_cbranch_execnz .LBB3_1591
	s_branch .LBB3_1592
.LBB3_3641:
	s_movk_i32 s4, 0x80
	v_cmp_eq_u16_sdwa s[12:13], v15, s4 src0_sel:BYTE_3 src1_sel:DWORD
	s_mov_b64 s[4:5], -1
                                        ; implicit-def: $sgpr10
	s_and_saveexec_b64 s[8:9], s[12:13]
; %bb.3642:
	s_mov_b32 s10, 0x7f800001
	s_xor_b64 s[4:5], exec, -1
; %bb.3643:
	s_or_b64 exec, exec, s[8:9]
	s_and_b64 s[4:5], s[4:5], exec
	s_or_saveexec_b64 s[6:7], s[6:7]
	v_mov_b32_e32 v10, s10
	s_xor_b64 exec, exec, s[6:7]
	s_cbranch_execz .LBB3_1594
.LBB3_3644:
	v_mov_b32_e32 v10, 0
	v_cmp_ne_u16_sdwa s[8:9], v15, v10 src0_sel:BYTE_3 src1_sel:DWORD
	s_andn2_b64 s[4:5], s[4:5], exec
	s_and_b64 s[8:9], s[8:9], exec
	s_or_b64 s[4:5], s[4:5], s[8:9]
	s_or_b64 exec, exec, s[6:7]
	s_and_saveexec_b64 s[6:7], s[4:5]
	s_cbranch_execnz .LBB3_1595
	s_branch .LBB3_1596
.LBB3_3645:
	s_movk_i32 s4, 0x80
	v_cmp_eq_u16_sdwa s[12:13], v11, s4 src0_sel:BYTE_3 src1_sel:DWORD
	s_mov_b64 s[4:5], -1
                                        ; implicit-def: $sgpr10
	s_and_saveexec_b64 s[8:9], s[12:13]
; %bb.3646:
	s_mov_b32 s10, 0x7f800001
	s_xor_b64 s[4:5], exec, -1
; %bb.3647:
	s_or_b64 exec, exec, s[8:9]
	s_and_b64 s[4:5], s[4:5], exec
	s_or_saveexec_b64 s[6:7], s[6:7]
	v_mov_b32_e32 v14, s10
	s_xor_b64 exec, exec, s[6:7]
	s_cbranch_execz .LBB3_1598
.LBB3_3648:
	v_mov_b32_e32 v14, 0
	v_cmp_ne_u16_sdwa s[8:9], v11, v14 src0_sel:BYTE_3 src1_sel:DWORD
	s_andn2_b64 s[4:5], s[4:5], exec
	s_and_b64 s[8:9], s[8:9], exec
	s_or_b64 s[4:5], s[4:5], s[8:9]
	s_or_b64 exec, exec, s[6:7]
	s_and_saveexec_b64 s[6:7], s[4:5]
	s_cbranch_execnz .LBB3_1599
	s_branch .LBB3_1600
.LBB3_3649:
	s_movk_i32 s4, 0x80
	v_cmp_eq_u16_sdwa s[12:13], v16, s4 src0_sel:BYTE_0 src1_sel:DWORD
	s_mov_b64 s[4:5], -1
                                        ; implicit-def: $sgpr10
	s_and_saveexec_b64 s[8:9], s[12:13]
; %bb.3650:
	s_mov_b32 s10, 0x7f800001
	s_xor_b64 s[4:5], exec, -1
; %bb.3651:
	s_or_b64 exec, exec, s[8:9]
	s_and_b64 s[4:5], s[4:5], exec
	s_or_saveexec_b64 s[6:7], s[6:7]
	v_mov_b32_e32 v10, s10
	s_xor_b64 exec, exec, s[6:7]
	s_cbranch_execz .LBB3_1602
.LBB3_3652:
	v_mov_b32_e32 v10, 0
	v_cmp_ne_u16_sdwa s[8:9], v16, v10 src0_sel:BYTE_0 src1_sel:DWORD
	s_andn2_b64 s[4:5], s[4:5], exec
	s_and_b64 s[8:9], s[8:9], exec
	s_or_b64 s[4:5], s[4:5], s[8:9]
	s_or_b64 exec, exec, s[6:7]
	s_and_saveexec_b64 s[6:7], s[4:5]
	s_cbranch_execnz .LBB3_1603
	s_branch .LBB3_1604
.LBB3_3653:
	s_movk_i32 s4, 0x80
	v_cmp_eq_u16_sdwa s[12:13], v12, s4 src0_sel:BYTE_0 src1_sel:DWORD
	s_mov_b64 s[4:5], -1
                                        ; implicit-def: $sgpr10
	s_and_saveexec_b64 s[8:9], s[12:13]
; %bb.3654:
	s_mov_b32 s10, 0x7f800001
	s_xor_b64 s[4:5], exec, -1
; %bb.3655:
	s_or_b64 exec, exec, s[8:9]
	s_and_b64 s[4:5], s[4:5], exec
	s_or_saveexec_b64 s[6:7], s[6:7]
	v_mov_b32_e32 v11, s10
	s_xor_b64 exec, exec, s[6:7]
	s_cbranch_execz .LBB3_1606
.LBB3_3656:
	v_mov_b32_e32 v11, 0
	v_cmp_ne_u16_sdwa s[8:9], v12, v11 src0_sel:BYTE_0 src1_sel:DWORD
	s_andn2_b64 s[4:5], s[4:5], exec
	s_and_b64 s[8:9], s[8:9], exec
	s_or_b64 s[4:5], s[4:5], s[8:9]
	s_or_b64 exec, exec, s[6:7]
	s_and_saveexec_b64 s[6:7], s[4:5]
	s_cbranch_execnz .LBB3_1607
	s_branch .LBB3_1608
.LBB3_3657:
	s_movk_i32 s4, 0x80
	v_cmp_eq_u16_sdwa s[12:13], v11, s4 src0_sel:BYTE_0 src1_sel:DWORD
	s_mov_b64 s[4:5], -1
                                        ; implicit-def: $sgpr10
	s_and_saveexec_b64 s[8:9], s[12:13]
; %bb.3658:
	s_mov_b32 s10, 0x7f800001
	s_xor_b64 s[4:5], exec, -1
; %bb.3659:
	s_or_b64 exec, exec, s[8:9]
	s_and_b64 s[4:5], s[4:5], exec
	s_or_saveexec_b64 s[6:7], s[6:7]
	v_mov_b32_e32 v10, s10
	s_xor_b64 exec, exec, s[6:7]
	s_cbranch_execz .LBB3_1610
.LBB3_3660:
	v_mov_b32_e32 v10, 0
	v_cmp_ne_u16_sdwa s[8:9], v11, v10 src0_sel:BYTE_0 src1_sel:DWORD
	s_andn2_b64 s[4:5], s[4:5], exec
	s_and_b64 s[8:9], s[8:9], exec
	s_or_b64 s[4:5], s[4:5], s[8:9]
	s_or_b64 exec, exec, s[6:7]
	s_and_saveexec_b64 s[6:7], s[4:5]
	s_cbranch_execnz .LBB3_1611
	s_branch .LBB3_1612
.LBB3_3661:
	s_movk_i32 s4, 0x80
	v_cmp_eq_u16_sdwa s[12:13], v11, s4 src0_sel:BYTE_0 src1_sel:DWORD
	s_mov_b64 s[4:5], -1
                                        ; implicit-def: $sgpr10
	s_and_saveexec_b64 s[8:9], s[12:13]
; %bb.3662:
	s_mov_b32 s10, 0x7f800001
	s_xor_b64 s[4:5], exec, -1
; %bb.3663:
	s_or_b64 exec, exec, s[8:9]
	s_and_b64 s[4:5], s[4:5], exec
	s_or_saveexec_b64 s[6:7], s[6:7]
	v_mov_b32_e32 v14, s10
	s_xor_b64 exec, exec, s[6:7]
	s_cbranch_execz .LBB3_1614
.LBB3_3664:
	v_mov_b32_e32 v14, 0
	v_cmp_ne_u16_sdwa s[8:9], v11, v14 src0_sel:BYTE_0 src1_sel:DWORD
	s_andn2_b64 s[4:5], s[4:5], exec
	s_and_b64 s[8:9], s[8:9], exec
	s_or_b64 s[4:5], s[4:5], s[8:9]
	s_or_b64 exec, exec, s[6:7]
	s_and_saveexec_b64 s[6:7], s[4:5]
	s_cbranch_execnz .LBB3_1615
	s_branch .LBB3_1616
.LBB3_3665:
	s_movk_i32 s4, 0x80
	v_cmp_eq_u16_e32 vcc, s4, v11
	s_mov_b64 s[4:5], -1
                                        ; implicit-def: $sgpr10
	s_and_saveexec_b64 s[8:9], vcc
; %bb.3666:
	s_mov_b32 s10, 0x7f800001
	s_xor_b64 s[4:5], exec, -1
; %bb.3667:
	s_or_b64 exec, exec, s[8:9]
	s_and_b64 s[4:5], s[4:5], exec
                                        ; implicit-def: $vgpr11
	s_or_saveexec_b64 s[6:7], s[6:7]
	v_mov_b32_e32 v10, s10
	s_xor_b64 exec, exec, s[6:7]
	s_cbranch_execz .LBB3_1618
.LBB3_3668:
	v_cmp_ne_u16_e32 vcc, 0, v11
	s_andn2_b64 s[4:5], s[4:5], exec
	s_and_b64 s[8:9], vcc, exec
	v_mov_b32_e32 v10, 0
	s_or_b64 s[4:5], s[4:5], s[8:9]
	s_or_b64 exec, exec, s[6:7]
	s_and_saveexec_b64 s[6:7], s[4:5]
	s_cbranch_execnz .LBB3_1619
	s_branch .LBB3_1620
.LBB3_3669:
	s_movk_i32 s4, 0x80
	v_cmp_eq_u16_e32 vcc, s4, v11
	s_mov_b64 s[4:5], -1
                                        ; implicit-def: $sgpr10
	s_and_saveexec_b64 s[8:9], vcc
; %bb.3670:
	s_mov_b32 s10, 0x7f800001
	s_xor_b64 s[4:5], exec, -1
; %bb.3671:
	s_or_b64 exec, exec, s[8:9]
	s_and_b64 s[4:5], s[4:5], exec
                                        ; implicit-def: $vgpr11
	s_or_saveexec_b64 s[6:7], s[6:7]
	v_mov_b32_e32 v14, s10
	s_xor_b64 exec, exec, s[6:7]
	s_cbranch_execz .LBB3_1622
.LBB3_3672:
	v_cmp_ne_u16_e32 vcc, 0, v11
	s_andn2_b64 s[4:5], s[4:5], exec
	s_and_b64 s[8:9], vcc, exec
	v_mov_b32_e32 v14, 0
	s_or_b64 s[4:5], s[4:5], s[8:9]
	s_or_b64 exec, exec, s[6:7]
	s_and_saveexec_b64 s[6:7], s[4:5]
	s_cbranch_execnz .LBB3_1623
	s_branch .LBB3_1624
.LBB3_3673:
	s_movk_i32 s4, 0x80
	v_cmp_eq_u16_sdwa s[12:13], v16, s4 src0_sel:BYTE_3 src1_sel:DWORD
	s_mov_b64 s[4:5], -1
                                        ; implicit-def: $sgpr10
	s_and_saveexec_b64 s[8:9], s[12:13]
; %bb.3674:
	s_mov_b32 s10, 0x7f800001
	s_xor_b64 s[4:5], exec, -1
; %bb.3675:
	s_or_b64 exec, exec, s[8:9]
	s_and_b64 s[4:5], s[4:5], exec
	s_or_saveexec_b64 s[6:7], s[6:7]
	v_mov_b32_e32 v10, s10
	s_xor_b64 exec, exec, s[6:7]
	s_cbranch_execz .LBB3_1626
.LBB3_3676:
	v_mov_b32_e32 v10, 0
	v_cmp_ne_u16_sdwa s[8:9], v16, v10 src0_sel:BYTE_3 src1_sel:DWORD
	s_andn2_b64 s[4:5], s[4:5], exec
	s_and_b64 s[8:9], s[8:9], exec
	s_or_b64 s[4:5], s[4:5], s[8:9]
	s_or_b64 exec, exec, s[6:7]
	s_and_saveexec_b64 s[6:7], s[4:5]
	s_cbranch_execnz .LBB3_1627
	s_branch .LBB3_1628
.LBB3_3677:
	s_movk_i32 s4, 0x80
	v_cmp_eq_u16_sdwa s[12:13], v12, s4 src0_sel:BYTE_3 src1_sel:DWORD
	s_mov_b64 s[4:5], -1
                                        ; implicit-def: $sgpr10
	s_and_saveexec_b64 s[8:9], s[12:13]
; %bb.3678:
	s_mov_b32 s10, 0x7f800001
	s_xor_b64 s[4:5], exec, -1
; %bb.3679:
	s_or_b64 exec, exec, s[8:9]
	s_and_b64 s[4:5], s[4:5], exec
	s_or_saveexec_b64 s[6:7], s[6:7]
	v_mov_b32_e32 v11, s10
	s_xor_b64 exec, exec, s[6:7]
	s_cbranch_execz .LBB3_1630
.LBB3_3680:
	v_mov_b32_e32 v11, 0
	v_cmp_ne_u16_sdwa s[8:9], v12, v11 src0_sel:BYTE_3 src1_sel:DWORD
	s_andn2_b64 s[4:5], s[4:5], exec
	s_and_b64 s[8:9], s[8:9], exec
	s_or_b64 s[4:5], s[4:5], s[8:9]
	s_or_b64 exec, exec, s[6:7]
	s_and_saveexec_b64 s[6:7], s[4:5]
	s_cbranch_execnz .LBB3_1631
	s_branch .LBB3_1632
.LBB3_3681:
	s_movk_i32 s4, 0x80
	v_cmp_eq_u16_sdwa s[12:13], v17, s4 src0_sel:BYTE_0 src1_sel:DWORD
	s_mov_b64 s[4:5], -1
                                        ; implicit-def: $sgpr10
	s_and_saveexec_b64 s[8:9], s[12:13]
; %bb.3682:
	s_mov_b32 s10, 0x7f800001
	s_xor_b64 s[4:5], exec, -1
; %bb.3683:
	s_or_b64 exec, exec, s[8:9]
	s_and_b64 s[4:5], s[4:5], exec
	s_or_saveexec_b64 s[6:7], s[6:7]
	v_mov_b32_e32 v10, s10
	s_xor_b64 exec, exec, s[6:7]
	s_cbranch_execz .LBB3_1634
.LBB3_3684:
	v_mov_b32_e32 v10, 0
	v_cmp_ne_u16_sdwa s[8:9], v17, v10 src0_sel:BYTE_0 src1_sel:DWORD
	s_andn2_b64 s[4:5], s[4:5], exec
	s_and_b64 s[8:9], s[8:9], exec
	s_or_b64 s[4:5], s[4:5], s[8:9]
	s_or_b64 exec, exec, s[6:7]
	s_and_saveexec_b64 s[6:7], s[4:5]
	s_cbranch_execnz .LBB3_1635
	s_branch .LBB3_1636
.LBB3_3685:
	s_movk_i32 s4, 0x80
	v_cmp_eq_u16_sdwa s[12:13], v13, s4 src0_sel:BYTE_0 src1_sel:DWORD
	s_mov_b64 s[4:5], -1
                                        ; implicit-def: $sgpr10
	s_and_saveexec_b64 s[8:9], s[12:13]
; %bb.3686:
	s_mov_b32 s10, 0x7f800001
	s_xor_b64 s[4:5], exec, -1
; %bb.3687:
	s_or_b64 exec, exec, s[8:9]
	s_and_b64 s[4:5], s[4:5], exec
	s_or_saveexec_b64 s[6:7], s[6:7]
	v_mov_b32_e32 v11, s10
	s_xor_b64 exec, exec, s[6:7]
	s_cbranch_execz .LBB3_1638
.LBB3_3688:
	v_mov_b32_e32 v11, 0
	v_cmp_ne_u16_sdwa s[8:9], v13, v11 src0_sel:BYTE_0 src1_sel:DWORD
	s_andn2_b64 s[4:5], s[4:5], exec
	s_and_b64 s[8:9], s[8:9], exec
	s_or_b64 s[4:5], s[4:5], s[8:9]
	s_or_b64 exec, exec, s[6:7]
	s_and_saveexec_b64 s[6:7], s[4:5]
	s_cbranch_execnz .LBB3_1639
	s_branch .LBB3_1640
.LBB3_3689:
	s_movk_i32 s4, 0x80
	v_cmp_eq_u16_sdwa s[12:13], v11, s4 src0_sel:BYTE_0 src1_sel:DWORD
	s_mov_b64 s[4:5], -1
                                        ; implicit-def: $sgpr10
	s_and_saveexec_b64 s[8:9], s[12:13]
; %bb.3690:
	s_mov_b32 s10, 0x7f800001
	s_xor_b64 s[4:5], exec, -1
; %bb.3691:
	s_or_b64 exec, exec, s[8:9]
	s_and_b64 s[4:5], s[4:5], exec
	s_or_saveexec_b64 s[6:7], s[6:7]
	v_mov_b32_e32 v10, s10
	s_xor_b64 exec, exec, s[6:7]
	s_cbranch_execz .LBB3_1642
.LBB3_3692:
	v_mov_b32_e32 v10, 0
	v_cmp_ne_u16_sdwa s[8:9], v11, v10 src0_sel:BYTE_0 src1_sel:DWORD
	s_andn2_b64 s[4:5], s[4:5], exec
	s_and_b64 s[8:9], s[8:9], exec
	s_or_b64 s[4:5], s[4:5], s[8:9]
	s_or_b64 exec, exec, s[6:7]
	s_and_saveexec_b64 s[6:7], s[4:5]
	s_cbranch_execnz .LBB3_1643
	s_branch .LBB3_1644
.LBB3_3693:
	s_movk_i32 s4, 0x80
	v_cmp_eq_u16_sdwa s[12:13], v11, s4 src0_sel:BYTE_0 src1_sel:DWORD
	s_mov_b64 s[4:5], -1
                                        ; implicit-def: $sgpr10
	s_and_saveexec_b64 s[8:9], s[12:13]
; %bb.3694:
	s_mov_b32 s10, 0x7f800001
	s_xor_b64 s[4:5], exec, -1
; %bb.3695:
	s_or_b64 exec, exec, s[8:9]
	s_and_b64 s[4:5], s[4:5], exec
	s_or_saveexec_b64 s[6:7], s[6:7]
	v_mov_b32_e32 v12, s10
	s_xor_b64 exec, exec, s[6:7]
	s_cbranch_execz .LBB3_1646
.LBB3_3696:
	v_mov_b32_e32 v12, 0
	v_cmp_ne_u16_sdwa s[8:9], v11, v12 src0_sel:BYTE_0 src1_sel:DWORD
	s_andn2_b64 s[4:5], s[4:5], exec
	s_and_b64 s[8:9], s[8:9], exec
	s_or_b64 s[4:5], s[4:5], s[8:9]
	s_or_b64 exec, exec, s[6:7]
	s_and_saveexec_b64 s[6:7], s[4:5]
	s_cbranch_execnz .LBB3_1647
	s_branch .LBB3_1648
.LBB3_3697:
	s_movk_i32 s4, 0x80
	v_cmp_eq_u16_e32 vcc, s4, v11
	s_mov_b64 s[4:5], -1
                                        ; implicit-def: $sgpr10
	s_and_saveexec_b64 s[8:9], vcc
; %bb.3698:
	s_mov_b32 s10, 0x7f800001
	s_xor_b64 s[4:5], exec, -1
; %bb.3699:
	s_or_b64 exec, exec, s[8:9]
	s_and_b64 s[4:5], s[4:5], exec
                                        ; implicit-def: $vgpr11
	s_or_saveexec_b64 s[6:7], s[6:7]
	v_mov_b32_e32 v10, s10
	s_xor_b64 exec, exec, s[6:7]
	s_cbranch_execz .LBB3_1650
.LBB3_3700:
	v_cmp_ne_u16_e32 vcc, 0, v11
	s_andn2_b64 s[4:5], s[4:5], exec
	s_and_b64 s[8:9], vcc, exec
	v_mov_b32_e32 v10, 0
	s_or_b64 s[4:5], s[4:5], s[8:9]
	s_or_b64 exec, exec, s[6:7]
	s_and_saveexec_b64 s[6:7], s[4:5]
	s_cbranch_execnz .LBB3_1651
	s_branch .LBB3_1652
.LBB3_3701:
	s_movk_i32 s4, 0x80
	v_cmp_eq_u16_e32 vcc, s4, v11
	s_mov_b64 s[4:5], -1
                                        ; implicit-def: $sgpr10
	s_and_saveexec_b64 s[8:9], vcc
; %bb.3702:
	s_mov_b32 s10, 0x7f800001
	s_xor_b64 s[4:5], exec, -1
; %bb.3703:
	s_or_b64 exec, exec, s[8:9]
	s_and_b64 s[4:5], s[4:5], exec
                                        ; implicit-def: $vgpr11
	s_or_saveexec_b64 s[6:7], s[6:7]
	v_mov_b32_e32 v12, s10
	s_xor_b64 exec, exec, s[6:7]
	s_cbranch_execz .LBB3_1654
.LBB3_3704:
	v_cmp_ne_u16_e32 vcc, 0, v11
	s_andn2_b64 s[4:5], s[4:5], exec
	s_and_b64 s[8:9], vcc, exec
	v_mov_b32_e32 v12, 0
	s_or_b64 s[4:5], s[4:5], s[8:9]
	s_or_b64 exec, exec, s[6:7]
	s_and_saveexec_b64 s[6:7], s[4:5]
	s_cbranch_execnz .LBB3_1655
	s_branch .LBB3_1656
.LBB3_3705:
	s_movk_i32 s4, 0x80
	v_cmp_eq_u16_sdwa s[12:13], v17, s4 src0_sel:BYTE_3 src1_sel:DWORD
	s_mov_b64 s[4:5], -1
                                        ; implicit-def: $sgpr10
	s_and_saveexec_b64 s[8:9], s[12:13]
; %bb.3706:
	s_mov_b32 s10, 0x7f800001
	s_xor_b64 s[4:5], exec, -1
; %bb.3707:
	s_or_b64 exec, exec, s[8:9]
	s_and_b64 s[4:5], s[4:5], exec
	s_or_saveexec_b64 s[6:7], s[6:7]
	v_mov_b32_e32 v10, s10
	s_xor_b64 exec, exec, s[6:7]
	s_cbranch_execz .LBB3_1658
.LBB3_3708:
	v_mov_b32_e32 v10, 0
	v_cmp_ne_u16_sdwa s[8:9], v17, v10 src0_sel:BYTE_3 src1_sel:DWORD
	s_andn2_b64 s[4:5], s[4:5], exec
	s_and_b64 s[8:9], s[8:9], exec
	s_or_b64 s[4:5], s[4:5], s[8:9]
	s_or_b64 exec, exec, s[6:7]
	s_and_saveexec_b64 s[6:7], s[4:5]
	s_cbranch_execnz .LBB3_1659
	s_branch .LBB3_1660
.LBB3_3709:
	s_movk_i32 s4, 0x80
	v_cmp_eq_u16_sdwa s[12:13], v13, s4 src0_sel:BYTE_3 src1_sel:DWORD
	s_mov_b64 s[4:5], -1
                                        ; implicit-def: $sgpr10
	s_and_saveexec_b64 s[8:9], s[12:13]
; %bb.3710:
	s_mov_b32 s10, 0x7f800001
	s_xor_b64 s[4:5], exec, -1
; %bb.3711:
	s_or_b64 exec, exec, s[8:9]
	s_and_b64 s[4:5], s[4:5], exec
	s_or_saveexec_b64 s[6:7], s[6:7]
	v_mov_b32_e32 v11, s10
	s_xor_b64 exec, exec, s[6:7]
	s_cbranch_execz .LBB3_1662
.LBB3_3712:
	v_mov_b32_e32 v11, 0
	v_cmp_ne_u16_sdwa s[8:9], v13, v11 src0_sel:BYTE_3 src1_sel:DWORD
	s_andn2_b64 s[4:5], s[4:5], exec
	s_and_b64 s[8:9], s[8:9], exec
	s_or_b64 s[4:5], s[4:5], s[8:9]
	s_or_b64 exec, exec, s[6:7]
	s_and_saveexec_b64 s[6:7], s[4:5]
	s_cbranch_execnz .LBB3_1663
	s_branch .LBB3_1664
.LBB3_3713:
	s_movk_i32 s4, 0x80
	v_cmp_eq_u16_sdwa s[12:13], v6, s4 src0_sel:BYTE_0 src1_sel:DWORD
	s_mov_b64 s[4:5], -1
                                        ; implicit-def: $sgpr10
	s_and_saveexec_b64 s[8:9], s[12:13]
; %bb.3714:
	s_mov_b32 s10, 0x7f800001
	s_xor_b64 s[4:5], exec, -1
; %bb.3715:
	s_or_b64 exec, exec, s[8:9]
	s_and_b64 s[4:5], s[4:5], exec
	s_or_saveexec_b64 s[6:7], s[6:7]
	v_mov_b32_e32 v10, s10
	s_xor_b64 exec, exec, s[6:7]
	s_cbranch_execz .LBB3_1666
.LBB3_3716:
	v_mov_b32_e32 v10, 0
	v_cmp_ne_u16_sdwa s[8:9], v6, v10 src0_sel:BYTE_0 src1_sel:DWORD
	s_andn2_b64 s[4:5], s[4:5], exec
	s_and_b64 s[8:9], s[8:9], exec
	s_or_b64 s[4:5], s[4:5], s[8:9]
	s_or_b64 exec, exec, s[6:7]
	s_and_saveexec_b64 s[6:7], s[4:5]
	s_cbranch_execnz .LBB3_1667
	s_branch .LBB3_1668
.LBB3_3717:
	s_movk_i32 s4, 0x80
	v_cmp_eq_u16_sdwa s[12:13], v2, s4 src0_sel:BYTE_0 src1_sel:DWORD
	s_mov_b64 s[4:5], -1
                                        ; implicit-def: $sgpr10
	s_and_saveexec_b64 s[8:9], s[12:13]
; %bb.3718:
	s_mov_b32 s10, 0x7f800001
	s_xor_b64 s[4:5], exec, -1
; %bb.3719:
	s_or_b64 exec, exec, s[8:9]
	s_and_b64 s[4:5], s[4:5], exec
	s_or_saveexec_b64 s[6:7], s[6:7]
	v_mov_b32_e32 v11, s10
	s_xor_b64 exec, exec, s[6:7]
	s_cbranch_execz .LBB3_1670
.LBB3_3720:
	v_mov_b32_e32 v11, 0
	v_cmp_ne_u16_sdwa s[8:9], v2, v11 src0_sel:BYTE_0 src1_sel:DWORD
	s_andn2_b64 s[4:5], s[4:5], exec
	s_and_b64 s[8:9], s[8:9], exec
	s_or_b64 s[4:5], s[4:5], s[8:9]
	s_or_b64 exec, exec, s[6:7]
	s_and_saveexec_b64 s[6:7], s[4:5]
	s_cbranch_execnz .LBB3_1671
	s_branch .LBB3_1672
.LBB3_3721:
	s_movk_i32 s4, 0x80
	v_cmp_eq_u16_sdwa s[12:13], v11, s4 src0_sel:BYTE_0 src1_sel:DWORD
	s_mov_b64 s[4:5], -1
                                        ; implicit-def: $sgpr10
	s_and_saveexec_b64 s[8:9], s[12:13]
; %bb.3722:
	s_mov_b32 s10, 0x7f800001
	s_xor_b64 s[4:5], exec, -1
; %bb.3723:
	s_or_b64 exec, exec, s[8:9]
	s_and_b64 s[4:5], s[4:5], exec
	s_or_saveexec_b64 s[6:7], s[6:7]
	v_mov_b32_e32 v10, s10
	s_xor_b64 exec, exec, s[6:7]
	s_cbranch_execz .LBB3_1674
.LBB3_3724:
	v_mov_b32_e32 v10, 0
	v_cmp_ne_u16_sdwa s[8:9], v11, v10 src0_sel:BYTE_0 src1_sel:DWORD
	s_andn2_b64 s[4:5], s[4:5], exec
	s_and_b64 s[8:9], s[8:9], exec
	s_or_b64 s[4:5], s[4:5], s[8:9]
	s_or_b64 exec, exec, s[6:7]
	s_and_saveexec_b64 s[6:7], s[4:5]
	s_cbranch_execnz .LBB3_1675
	s_branch .LBB3_1676
.LBB3_3725:
	s_movk_i32 s4, 0x80
	v_cmp_eq_u16_sdwa s[12:13], v11, s4 src0_sel:BYTE_0 src1_sel:DWORD
	s_mov_b64 s[4:5], -1
                                        ; implicit-def: $sgpr10
	s_and_saveexec_b64 s[8:9], s[12:13]
; %bb.3726:
	s_mov_b32 s10, 0x7f800001
	s_xor_b64 s[4:5], exec, -1
; %bb.3727:
	s_or_b64 exec, exec, s[8:9]
	s_and_b64 s[4:5], s[4:5], exec
	s_or_saveexec_b64 s[6:7], s[6:7]
	v_mov_b32_e32 v12, s10
	s_xor_b64 exec, exec, s[6:7]
	s_cbranch_execz .LBB3_1678
.LBB3_3728:
	v_mov_b32_e32 v12, 0
	v_cmp_ne_u16_sdwa s[8:9], v11, v12 src0_sel:BYTE_0 src1_sel:DWORD
	s_andn2_b64 s[4:5], s[4:5], exec
	s_and_b64 s[8:9], s[8:9], exec
	s_or_b64 s[4:5], s[4:5], s[8:9]
	s_or_b64 exec, exec, s[6:7]
	s_and_saveexec_b64 s[6:7], s[4:5]
	s_cbranch_execnz .LBB3_1679
	s_branch .LBB3_1680
.LBB3_3729:
	s_movk_i32 s4, 0x80
	v_cmp_eq_u16_e32 vcc, s4, v11
	s_mov_b64 s[4:5], -1
                                        ; implicit-def: $sgpr10
	s_and_saveexec_b64 s[8:9], vcc
; %bb.3730:
	s_mov_b32 s10, 0x7f800001
	s_xor_b64 s[4:5], exec, -1
; %bb.3731:
	s_or_b64 exec, exec, s[8:9]
	s_and_b64 s[4:5], s[4:5], exec
                                        ; implicit-def: $vgpr11
	s_or_saveexec_b64 s[6:7], s[6:7]
	v_mov_b32_e32 v10, s10
	s_xor_b64 exec, exec, s[6:7]
	s_cbranch_execz .LBB3_1682
.LBB3_3732:
	v_cmp_ne_u16_e32 vcc, 0, v11
	s_andn2_b64 s[4:5], s[4:5], exec
	s_and_b64 s[8:9], vcc, exec
	v_mov_b32_e32 v10, 0
	s_or_b64 s[4:5], s[4:5], s[8:9]
	s_or_b64 exec, exec, s[6:7]
	s_and_saveexec_b64 s[6:7], s[4:5]
	s_cbranch_execnz .LBB3_1683
	s_branch .LBB3_1684
.LBB3_3733:
	s_movk_i32 s4, 0x80
	v_cmp_eq_u16_e32 vcc, s4, v11
	s_mov_b64 s[4:5], -1
                                        ; implicit-def: $sgpr10
	s_and_saveexec_b64 s[8:9], vcc
; %bb.3734:
	s_mov_b32 s10, 0x7f800001
	s_xor_b64 s[4:5], exec, -1
; %bb.3735:
	s_or_b64 exec, exec, s[8:9]
	s_and_b64 s[4:5], s[4:5], exec
                                        ; implicit-def: $vgpr11
	s_or_saveexec_b64 s[6:7], s[6:7]
	v_mov_b32_e32 v12, s10
	s_xor_b64 exec, exec, s[6:7]
	s_cbranch_execz .LBB3_1686
.LBB3_3736:
	v_cmp_ne_u16_e32 vcc, 0, v11
	s_andn2_b64 s[4:5], s[4:5], exec
	s_and_b64 s[8:9], vcc, exec
	v_mov_b32_e32 v12, 0
	s_or_b64 s[4:5], s[4:5], s[8:9]
	s_or_b64 exec, exec, s[6:7]
	s_and_saveexec_b64 s[6:7], s[4:5]
	s_cbranch_execnz .LBB3_1687
	s_branch .LBB3_1688
.LBB3_3737:
	s_movk_i32 s4, 0x80
	v_cmp_eq_u16_sdwa s[12:13], v6, s4 src0_sel:BYTE_3 src1_sel:DWORD
	s_mov_b64 s[4:5], -1
                                        ; implicit-def: $sgpr10
	s_and_saveexec_b64 s[8:9], s[12:13]
; %bb.3738:
	s_mov_b32 s10, 0x7f800001
	s_xor_b64 s[4:5], exec, -1
; %bb.3739:
	s_or_b64 exec, exec, s[8:9]
	s_and_b64 s[4:5], s[4:5], exec
	s_or_saveexec_b64 s[6:7], s[6:7]
	v_mov_b32_e32 v10, s10
	s_xor_b64 exec, exec, s[6:7]
	s_cbranch_execz .LBB3_1690
.LBB3_3740:
	v_mov_b32_e32 v10, 0
	v_cmp_ne_u16_sdwa s[8:9], v6, v10 src0_sel:BYTE_3 src1_sel:DWORD
	s_andn2_b64 s[4:5], s[4:5], exec
	s_and_b64 s[8:9], s[8:9], exec
	s_or_b64 s[4:5], s[4:5], s[8:9]
	s_or_b64 exec, exec, s[6:7]
	s_and_saveexec_b64 s[6:7], s[4:5]
	s_cbranch_execnz .LBB3_1691
	s_branch .LBB3_1692
.LBB3_3741:
	s_movk_i32 s4, 0x80
	v_cmp_eq_u16_sdwa s[12:13], v2, s4 src0_sel:BYTE_3 src1_sel:DWORD
	s_mov_b64 s[4:5], -1
                                        ; implicit-def: $sgpr10
	s_and_saveexec_b64 s[8:9], s[12:13]
; %bb.3742:
	s_mov_b32 s10, 0x7f800001
	s_xor_b64 s[4:5], exec, -1
; %bb.3743:
	s_or_b64 exec, exec, s[8:9]
	s_and_b64 s[4:5], s[4:5], exec
	s_or_saveexec_b64 s[6:7], s[6:7]
	v_mov_b32_e32 v6, s10
	s_xor_b64 exec, exec, s[6:7]
	s_cbranch_execz .LBB3_1694
.LBB3_3744:
	v_mov_b32_e32 v6, 0
	v_cmp_ne_u16_sdwa s[8:9], v2, v6 src0_sel:BYTE_3 src1_sel:DWORD
	s_andn2_b64 s[4:5], s[4:5], exec
	s_and_b64 s[8:9], s[8:9], exec
	s_or_b64 s[4:5], s[4:5], s[8:9]
	s_or_b64 exec, exec, s[6:7]
	s_and_saveexec_b64 s[6:7], s[4:5]
	s_cbranch_execnz .LBB3_1695
	s_branch .LBB3_1696
.LBB3_3745:
	s_movk_i32 s4, 0x80
	v_cmp_eq_u16_sdwa s[12:13], v7, s4 src0_sel:BYTE_0 src1_sel:DWORD
	s_mov_b64 s[4:5], -1
                                        ; implicit-def: $sgpr10
	s_and_saveexec_b64 s[8:9], s[12:13]
; %bb.3746:
	s_mov_b32 s10, 0x7f800001
	s_xor_b64 s[4:5], exec, -1
; %bb.3747:
	s_or_b64 exec, exec, s[8:9]
	s_and_b64 s[4:5], s[4:5], exec
	s_or_saveexec_b64 s[6:7], s[6:7]
	v_mov_b32_e32 v2, s10
	s_xor_b64 exec, exec, s[6:7]
	s_cbranch_execz .LBB3_1698
.LBB3_3748:
	v_mov_b32_e32 v2, 0
	v_cmp_ne_u16_sdwa s[8:9], v7, v2 src0_sel:BYTE_0 src1_sel:DWORD
	s_andn2_b64 s[4:5], s[4:5], exec
	s_and_b64 s[8:9], s[8:9], exec
	s_or_b64 s[4:5], s[4:5], s[8:9]
	s_or_b64 exec, exec, s[6:7]
	s_and_saveexec_b64 s[6:7], s[4:5]
	s_cbranch_execnz .LBB3_1699
	s_branch .LBB3_1700
.LBB3_3749:
	s_movk_i32 s4, 0x80
	v_cmp_eq_u16_sdwa s[12:13], v3, s4 src0_sel:BYTE_0 src1_sel:DWORD
	s_mov_b64 s[4:5], -1
                                        ; implicit-def: $sgpr10
	s_and_saveexec_b64 s[8:9], s[12:13]
; %bb.3750:
	s_mov_b32 s10, 0x7f800001
	s_xor_b64 s[4:5], exec, -1
; %bb.3751:
	s_or_b64 exec, exec, s[8:9]
	s_and_b64 s[4:5], s[4:5], exec
	s_or_saveexec_b64 s[6:7], s[6:7]
	v_mov_b32_e32 v6, s10
	s_xor_b64 exec, exec, s[6:7]
	s_cbranch_execz .LBB3_1702
.LBB3_3752:
	v_mov_b32_e32 v6, 0
	v_cmp_ne_u16_sdwa s[8:9], v3, v6 src0_sel:BYTE_0 src1_sel:DWORD
	s_andn2_b64 s[4:5], s[4:5], exec
	s_and_b64 s[8:9], s[8:9], exec
	s_or_b64 s[4:5], s[4:5], s[8:9]
	s_or_b64 exec, exec, s[6:7]
	s_and_saveexec_b64 s[6:7], s[4:5]
	s_cbranch_execnz .LBB3_1703
	s_branch .LBB3_1704
.LBB3_3753:
	s_movk_i32 s4, 0x80
	v_cmp_eq_u16_sdwa s[12:13], v6, s4 src0_sel:BYTE_0 src1_sel:DWORD
	s_mov_b64 s[4:5], -1
                                        ; implicit-def: $sgpr10
	s_and_saveexec_b64 s[8:9], s[12:13]
; %bb.3754:
	s_mov_b32 s10, 0x7f800001
	s_xor_b64 s[4:5], exec, -1
; %bb.3755:
	s_or_b64 exec, exec, s[8:9]
	s_and_b64 s[4:5], s[4:5], exec
	s_or_saveexec_b64 s[6:7], s[6:7]
	v_mov_b32_e32 v2, s10
	s_xor_b64 exec, exec, s[6:7]
	s_cbranch_execz .LBB3_1706
.LBB3_3756:
	v_mov_b32_e32 v2, 0
	v_cmp_ne_u16_sdwa s[8:9], v6, v2 src0_sel:BYTE_0 src1_sel:DWORD
	s_andn2_b64 s[4:5], s[4:5], exec
	s_and_b64 s[8:9], s[8:9], exec
	s_or_b64 s[4:5], s[4:5], s[8:9]
	s_or_b64 exec, exec, s[6:7]
	s_and_saveexec_b64 s[6:7], s[4:5]
	s_cbranch_execnz .LBB3_1707
	s_branch .LBB3_1708
.LBB3_3757:
	s_movk_i32 s4, 0x80
	v_cmp_eq_u16_sdwa s[12:13], v6, s4 src0_sel:BYTE_0 src1_sel:DWORD
	s_mov_b64 s[4:5], -1
                                        ; implicit-def: $sgpr10
	s_and_saveexec_b64 s[8:9], s[12:13]
; %bb.3758:
	s_mov_b32 s10, 0x7f800001
	s_xor_b64 s[4:5], exec, -1
; %bb.3759:
	s_or_b64 exec, exec, s[8:9]
	s_and_b64 s[4:5], s[4:5], exec
	s_or_saveexec_b64 s[6:7], s[6:7]
	v_mov_b32_e32 v10, s10
	s_xor_b64 exec, exec, s[6:7]
	s_cbranch_execz .LBB3_1710
.LBB3_3760:
	v_mov_b32_e32 v10, 0
	v_cmp_ne_u16_sdwa s[8:9], v6, v10 src0_sel:BYTE_0 src1_sel:DWORD
	s_andn2_b64 s[4:5], s[4:5], exec
	s_and_b64 s[8:9], s[8:9], exec
	s_or_b64 s[4:5], s[4:5], s[8:9]
	s_or_b64 exec, exec, s[6:7]
	s_and_saveexec_b64 s[6:7], s[4:5]
	s_cbranch_execnz .LBB3_1711
	s_branch .LBB3_1712
.LBB3_3761:
	s_movk_i32 s4, 0x80
	v_cmp_eq_u16_e32 vcc, s4, v6
	s_mov_b64 s[4:5], -1
                                        ; implicit-def: $sgpr10
	s_and_saveexec_b64 s[8:9], vcc
; %bb.3762:
	s_mov_b32 s10, 0x7f800001
	s_xor_b64 s[4:5], exec, -1
; %bb.3763:
	s_or_b64 exec, exec, s[8:9]
	s_and_b64 s[4:5], s[4:5], exec
                                        ; implicit-def: $vgpr6
	s_or_saveexec_b64 s[6:7], s[6:7]
	v_mov_b32_e32 v2, s10
	s_xor_b64 exec, exec, s[6:7]
	s_cbranch_execz .LBB3_1714
.LBB3_3764:
	v_cmp_ne_u16_e32 vcc, 0, v6
	s_andn2_b64 s[4:5], s[4:5], exec
	s_and_b64 s[8:9], vcc, exec
	v_mov_b32_e32 v2, 0
	s_or_b64 s[4:5], s[4:5], s[8:9]
	s_or_b64 exec, exec, s[6:7]
	s_and_saveexec_b64 s[6:7], s[4:5]
	s_cbranch_execnz .LBB3_1715
	s_branch .LBB3_1716
.LBB3_3765:
	s_movk_i32 s4, 0x80
	v_cmp_eq_u16_e32 vcc, s4, v6
	s_mov_b64 s[4:5], -1
                                        ; implicit-def: $sgpr10
	s_and_saveexec_b64 s[8:9], vcc
; %bb.3766:
	s_mov_b32 s10, 0x7f800001
	s_xor_b64 s[4:5], exec, -1
; %bb.3767:
	s_or_b64 exec, exec, s[8:9]
	s_and_b64 s[4:5], s[4:5], exec
                                        ; implicit-def: $vgpr6
	s_or_saveexec_b64 s[6:7], s[6:7]
	v_mov_b32_e32 v10, s10
	s_xor_b64 exec, exec, s[6:7]
	s_cbranch_execz .LBB3_1718
.LBB3_3768:
	v_cmp_ne_u16_e32 vcc, 0, v6
	s_andn2_b64 s[4:5], s[4:5], exec
	s_and_b64 s[8:9], vcc, exec
	v_mov_b32_e32 v10, 0
	s_or_b64 s[4:5], s[4:5], s[8:9]
	s_or_b64 exec, exec, s[6:7]
	s_and_saveexec_b64 s[6:7], s[4:5]
	s_cbranch_execnz .LBB3_1719
	s_branch .LBB3_1720
.LBB3_3769:
	s_movk_i32 s4, 0x80
	v_cmp_eq_u16_sdwa s[12:13], v7, s4 src0_sel:BYTE_3 src1_sel:DWORD
	s_mov_b64 s[4:5], -1
                                        ; implicit-def: $sgpr10
	s_and_saveexec_b64 s[8:9], s[12:13]
; %bb.3770:
	s_mov_b32 s10, 0x7f800001
	s_xor_b64 s[4:5], exec, -1
; %bb.3771:
	s_or_b64 exec, exec, s[8:9]
	s_and_b64 s[4:5], s[4:5], exec
	s_or_saveexec_b64 s[6:7], s[6:7]
	v_mov_b32_e32 v2, s10
	s_xor_b64 exec, exec, s[6:7]
	s_cbranch_execz .LBB3_1722
.LBB3_3772:
	v_mov_b32_e32 v2, 0
	v_cmp_ne_u16_sdwa s[8:9], v7, v2 src0_sel:BYTE_3 src1_sel:DWORD
	s_andn2_b64 s[4:5], s[4:5], exec
	s_and_b64 s[8:9], s[8:9], exec
	s_or_b64 s[4:5], s[4:5], s[8:9]
	s_or_b64 exec, exec, s[6:7]
	s_and_saveexec_b64 s[6:7], s[4:5]
	s_cbranch_execnz .LBB3_1723
	s_branch .LBB3_1724
.LBB3_3773:
	s_movk_i32 s4, 0x80
	v_cmp_eq_u16_sdwa s[12:13], v3, s4 src0_sel:BYTE_3 src1_sel:DWORD
	s_mov_b64 s[4:5], -1
                                        ; implicit-def: $sgpr10
	s_and_saveexec_b64 s[8:9], s[12:13]
; %bb.3774:
	s_mov_b32 s10, 0x7f800001
	s_xor_b64 s[4:5], exec, -1
; %bb.3775:
	s_or_b64 exec, exec, s[8:9]
	s_and_b64 s[4:5], s[4:5], exec
	s_or_saveexec_b64 s[6:7], s[6:7]
	v_mov_b32_e32 v6, s10
	s_xor_b64 exec, exec, s[6:7]
	s_cbranch_execz .LBB3_1726
.LBB3_3776:
	v_mov_b32_e32 v6, 0
	v_cmp_ne_u16_sdwa s[8:9], v3, v6 src0_sel:BYTE_3 src1_sel:DWORD
	s_andn2_b64 s[4:5], s[4:5], exec
	s_and_b64 s[8:9], s[8:9], exec
	s_or_b64 s[4:5], s[4:5], s[8:9]
	s_or_b64 exec, exec, s[6:7]
	s_and_saveexec_b64 s[6:7], s[4:5]
	s_cbranch_execnz .LBB3_1727
	s_branch .LBB3_1728
.LBB3_3777:
	s_movk_i32 s4, 0x80
	v_cmp_eq_u16_sdwa s[12:13], v8, s4 src0_sel:BYTE_0 src1_sel:DWORD
	s_mov_b64 s[4:5], -1
                                        ; implicit-def: $sgpr10
	s_and_saveexec_b64 s[8:9], s[12:13]
; %bb.3778:
	s_mov_b32 s10, 0x7f800001
	s_xor_b64 s[4:5], exec, -1
; %bb.3779:
	s_or_b64 exec, exec, s[8:9]
	s_and_b64 s[4:5], s[4:5], exec
	s_or_saveexec_b64 s[6:7], s[6:7]
	v_mov_b32_e32 v2, s10
	s_xor_b64 exec, exec, s[6:7]
	s_cbranch_execz .LBB3_1730
.LBB3_3780:
	v_mov_b32_e32 v2, 0
	v_cmp_ne_u16_sdwa s[8:9], v8, v2 src0_sel:BYTE_0 src1_sel:DWORD
	s_andn2_b64 s[4:5], s[4:5], exec
	s_and_b64 s[8:9], s[8:9], exec
	s_or_b64 s[4:5], s[4:5], s[8:9]
	s_or_b64 exec, exec, s[6:7]
	s_and_saveexec_b64 s[6:7], s[4:5]
	s_cbranch_execnz .LBB3_1731
	s_branch .LBB3_1732
.LBB3_3781:
	s_movk_i32 s4, 0x80
	v_cmp_eq_u16_sdwa s[12:13], v4, s4 src0_sel:BYTE_0 src1_sel:DWORD
	s_mov_b64 s[4:5], -1
                                        ; implicit-def: $sgpr10
	s_and_saveexec_b64 s[8:9], s[12:13]
; %bb.3782:
	s_mov_b32 s10, 0x7f800001
	s_xor_b64 s[4:5], exec, -1
; %bb.3783:
	s_or_b64 exec, exec, s[8:9]
	s_and_b64 s[4:5], s[4:5], exec
	s_or_saveexec_b64 s[6:7], s[6:7]
	v_mov_b32_e32 v3, s10
	s_xor_b64 exec, exec, s[6:7]
	s_cbranch_execz .LBB3_1734
.LBB3_3784:
	v_mov_b32_e32 v3, 0
	v_cmp_ne_u16_sdwa s[8:9], v4, v3 src0_sel:BYTE_0 src1_sel:DWORD
	s_andn2_b64 s[4:5], s[4:5], exec
	s_and_b64 s[8:9], s[8:9], exec
	s_or_b64 s[4:5], s[4:5], s[8:9]
	s_or_b64 exec, exec, s[6:7]
	s_and_saveexec_b64 s[6:7], s[4:5]
	s_cbranch_execnz .LBB3_1735
	s_branch .LBB3_1736
.LBB3_3785:
	s_movk_i32 s4, 0x80
	v_cmp_eq_u16_sdwa s[12:13], v3, s4 src0_sel:BYTE_0 src1_sel:DWORD
	s_mov_b64 s[4:5], -1
                                        ; implicit-def: $sgpr10
	s_and_saveexec_b64 s[8:9], s[12:13]
; %bb.3786:
	s_mov_b32 s10, 0x7f800001
	s_xor_b64 s[4:5], exec, -1
; %bb.3787:
	s_or_b64 exec, exec, s[8:9]
	s_and_b64 s[4:5], s[4:5], exec
	s_or_saveexec_b64 s[6:7], s[6:7]
	v_mov_b32_e32 v2, s10
	s_xor_b64 exec, exec, s[6:7]
	s_cbranch_execz .LBB3_1738
.LBB3_3788:
	v_mov_b32_e32 v2, 0
	v_cmp_ne_u16_sdwa s[8:9], v3, v2 src0_sel:BYTE_0 src1_sel:DWORD
	s_andn2_b64 s[4:5], s[4:5], exec
	s_and_b64 s[8:9], s[8:9], exec
	s_or_b64 s[4:5], s[4:5], s[8:9]
	s_or_b64 exec, exec, s[6:7]
	s_and_saveexec_b64 s[6:7], s[4:5]
	s_cbranch_execnz .LBB3_1739
	s_branch .LBB3_1740
.LBB3_3789:
	s_movk_i32 s4, 0x80
	v_cmp_eq_u16_sdwa s[12:13], v3, s4 src0_sel:BYTE_0 src1_sel:DWORD
	s_mov_b64 s[4:5], -1
                                        ; implicit-def: $sgpr10
	s_and_saveexec_b64 s[8:9], s[12:13]
; %bb.3790:
	s_mov_b32 s10, 0x7f800001
	s_xor_b64 s[4:5], exec, -1
; %bb.3791:
	s_or_b64 exec, exec, s[8:9]
	s_and_b64 s[4:5], s[4:5], exec
	s_or_saveexec_b64 s[6:7], s[6:7]
	v_mov_b32_e32 v6, s10
	s_xor_b64 exec, exec, s[6:7]
	s_cbranch_execz .LBB3_1742
.LBB3_3792:
	v_mov_b32_e32 v6, 0
	v_cmp_ne_u16_sdwa s[8:9], v3, v6 src0_sel:BYTE_0 src1_sel:DWORD
	s_andn2_b64 s[4:5], s[4:5], exec
	s_and_b64 s[8:9], s[8:9], exec
	s_or_b64 s[4:5], s[4:5], s[8:9]
	s_or_b64 exec, exec, s[6:7]
	s_and_saveexec_b64 s[6:7], s[4:5]
	s_cbranch_execnz .LBB3_1743
	s_branch .LBB3_1744
.LBB3_3793:
	s_movk_i32 s4, 0x80
	v_cmp_eq_u16_e32 vcc, s4, v3
	s_mov_b64 s[4:5], -1
                                        ; implicit-def: $sgpr10
	s_and_saveexec_b64 s[8:9], vcc
; %bb.3794:
	s_mov_b32 s10, 0x7f800001
	s_xor_b64 s[4:5], exec, -1
; %bb.3795:
	s_or_b64 exec, exec, s[8:9]
	s_and_b64 s[4:5], s[4:5], exec
                                        ; implicit-def: $vgpr3
	s_or_saveexec_b64 s[6:7], s[6:7]
	v_mov_b32_e32 v2, s10
	s_xor_b64 exec, exec, s[6:7]
	s_cbranch_execz .LBB3_1746
.LBB3_3796:
	v_cmp_ne_u16_e32 vcc, 0, v3
	s_andn2_b64 s[4:5], s[4:5], exec
	s_and_b64 s[8:9], vcc, exec
	v_mov_b32_e32 v2, 0
	s_or_b64 s[4:5], s[4:5], s[8:9]
	s_or_b64 exec, exec, s[6:7]
	s_and_saveexec_b64 s[6:7], s[4:5]
	s_cbranch_execnz .LBB3_1747
	s_branch .LBB3_1748
.LBB3_3797:
	s_movk_i32 s4, 0x80
	v_cmp_eq_u16_e32 vcc, s4, v3
	s_mov_b64 s[4:5], -1
                                        ; implicit-def: $sgpr10
	s_and_saveexec_b64 s[8:9], vcc
; %bb.3798:
	s_mov_b32 s10, 0x7f800001
	s_xor_b64 s[4:5], exec, -1
; %bb.3799:
	s_or_b64 exec, exec, s[8:9]
	s_and_b64 s[4:5], s[4:5], exec
                                        ; implicit-def: $vgpr3
	s_or_saveexec_b64 s[6:7], s[6:7]
	v_mov_b32_e32 v6, s10
	s_xor_b64 exec, exec, s[6:7]
	s_cbranch_execz .LBB3_1750
.LBB3_3800:
	v_cmp_ne_u16_e32 vcc, 0, v3
	s_andn2_b64 s[4:5], s[4:5], exec
	s_and_b64 s[8:9], vcc, exec
	v_mov_b32_e32 v6, 0
	s_or_b64 s[4:5], s[4:5], s[8:9]
	s_or_b64 exec, exec, s[6:7]
	s_and_saveexec_b64 s[6:7], s[4:5]
	s_cbranch_execnz .LBB3_1751
	s_branch .LBB3_1752
.LBB3_3801:
	s_movk_i32 s4, 0x80
	v_cmp_eq_u16_sdwa s[12:13], v8, s4 src0_sel:BYTE_3 src1_sel:DWORD
	s_mov_b64 s[4:5], -1
                                        ; implicit-def: $sgpr10
	s_and_saveexec_b64 s[8:9], s[12:13]
; %bb.3802:
	s_mov_b32 s10, 0x7f800001
	s_xor_b64 s[4:5], exec, -1
; %bb.3803:
	s_or_b64 exec, exec, s[8:9]
	s_and_b64 s[4:5], s[4:5], exec
	s_or_saveexec_b64 s[6:7], s[6:7]
	v_mov_b32_e32 v2, s10
	s_xor_b64 exec, exec, s[6:7]
	s_cbranch_execz .LBB3_1754
.LBB3_3804:
	v_mov_b32_e32 v2, 0
	v_cmp_ne_u16_sdwa s[8:9], v8, v2 src0_sel:BYTE_3 src1_sel:DWORD
	s_andn2_b64 s[4:5], s[4:5], exec
	s_and_b64 s[8:9], s[8:9], exec
	s_or_b64 s[4:5], s[4:5], s[8:9]
	s_or_b64 exec, exec, s[6:7]
	s_and_saveexec_b64 s[6:7], s[4:5]
	s_cbranch_execnz .LBB3_1755
	s_branch .LBB3_1756
.LBB3_3805:
	s_movk_i32 s4, 0x80
	v_cmp_eq_u16_sdwa s[12:13], v4, s4 src0_sel:BYTE_3 src1_sel:DWORD
	s_mov_b64 s[4:5], -1
                                        ; implicit-def: $sgpr10
	s_and_saveexec_b64 s[8:9], s[12:13]
; %bb.3806:
	s_mov_b32 s10, 0x7f800001
	s_xor_b64 s[4:5], exec, -1
; %bb.3807:
	s_or_b64 exec, exec, s[8:9]
	s_and_b64 s[4:5], s[4:5], exec
	s_or_saveexec_b64 s[6:7], s[6:7]
	v_mov_b32_e32 v3, s10
	s_xor_b64 exec, exec, s[6:7]
	s_cbranch_execz .LBB3_1758
.LBB3_3808:
	v_mov_b32_e32 v3, 0
	v_cmp_ne_u16_sdwa s[8:9], v4, v3 src0_sel:BYTE_3 src1_sel:DWORD
	s_andn2_b64 s[4:5], s[4:5], exec
	s_and_b64 s[8:9], s[8:9], exec
	s_or_b64 s[4:5], s[4:5], s[8:9]
	s_or_b64 exec, exec, s[6:7]
	s_and_saveexec_b64 s[6:7], s[4:5]
	s_cbranch_execnz .LBB3_1759
	s_branch .LBB3_1760
.LBB3_3809:
	s_movk_i32 s4, 0x80
	v_cmp_eq_u16_sdwa s[12:13], v9, s4 src0_sel:BYTE_0 src1_sel:DWORD
	s_mov_b64 s[4:5], -1
                                        ; implicit-def: $sgpr10
	s_and_saveexec_b64 s[8:9], s[12:13]
; %bb.3810:
	s_mov_b32 s10, 0x7f800001
	s_xor_b64 s[4:5], exec, -1
; %bb.3811:
	s_or_b64 exec, exec, s[8:9]
	s_and_b64 s[4:5], s[4:5], exec
	s_or_saveexec_b64 s[6:7], s[6:7]
	v_mov_b32_e32 v2, s10
	s_xor_b64 exec, exec, s[6:7]
	s_cbranch_execz .LBB3_1762
.LBB3_3812:
	v_mov_b32_e32 v2, 0
	v_cmp_ne_u16_sdwa s[8:9], v9, v2 src0_sel:BYTE_0 src1_sel:DWORD
	s_andn2_b64 s[4:5], s[4:5], exec
	s_and_b64 s[8:9], s[8:9], exec
	s_or_b64 s[4:5], s[4:5], s[8:9]
	s_or_b64 exec, exec, s[6:7]
	s_and_saveexec_b64 s[6:7], s[4:5]
	s_cbranch_execnz .LBB3_1763
	s_branch .LBB3_1764
.LBB3_3813:
	s_movk_i32 s4, 0x80
	v_cmp_eq_u16_sdwa s[12:13], v5, s4 src0_sel:BYTE_0 src1_sel:DWORD
	s_mov_b64 s[4:5], -1
                                        ; implicit-def: $sgpr10
	s_and_saveexec_b64 s[8:9], s[12:13]
; %bb.3814:
	s_mov_b32 s10, 0x7f800001
	s_xor_b64 s[4:5], exec, -1
; %bb.3815:
	s_or_b64 exec, exec, s[8:9]
	s_and_b64 s[4:5], s[4:5], exec
	s_or_saveexec_b64 s[6:7], s[6:7]
	v_mov_b32_e32 v3, s10
	s_xor_b64 exec, exec, s[6:7]
	s_cbranch_execz .LBB3_1766
.LBB3_3816:
	v_mov_b32_e32 v3, 0
	v_cmp_ne_u16_sdwa s[8:9], v5, v3 src0_sel:BYTE_0 src1_sel:DWORD
	s_andn2_b64 s[4:5], s[4:5], exec
	s_and_b64 s[8:9], s[8:9], exec
	s_or_b64 s[4:5], s[4:5], s[8:9]
	s_or_b64 exec, exec, s[6:7]
	s_and_saveexec_b64 s[6:7], s[4:5]
	s_cbranch_execnz .LBB3_1767
	s_branch .LBB3_1768
.LBB3_3817:
	s_movk_i32 s4, 0x80
	v_cmp_eq_u16_sdwa s[12:13], v3, s4 src0_sel:BYTE_0 src1_sel:DWORD
	s_mov_b64 s[4:5], -1
                                        ; implicit-def: $sgpr10
	s_and_saveexec_b64 s[8:9], s[12:13]
; %bb.3818:
	s_mov_b32 s10, 0x7f800001
	s_xor_b64 s[4:5], exec, -1
; %bb.3819:
	s_or_b64 exec, exec, s[8:9]
	s_and_b64 s[4:5], s[4:5], exec
	s_or_saveexec_b64 s[6:7], s[6:7]
	v_mov_b32_e32 v2, s10
	s_xor_b64 exec, exec, s[6:7]
	s_cbranch_execz .LBB3_1770
.LBB3_3820:
	v_mov_b32_e32 v2, 0
	v_cmp_ne_u16_sdwa s[8:9], v3, v2 src0_sel:BYTE_0 src1_sel:DWORD
	s_andn2_b64 s[4:5], s[4:5], exec
	s_and_b64 s[8:9], s[8:9], exec
	s_or_b64 s[4:5], s[4:5], s[8:9]
	s_or_b64 exec, exec, s[6:7]
	s_and_saveexec_b64 s[6:7], s[4:5]
	s_cbranch_execnz .LBB3_1771
	s_branch .LBB3_1772
.LBB3_3821:
	s_movk_i32 s4, 0x80
	v_cmp_eq_u16_sdwa s[12:13], v3, s4 src0_sel:BYTE_0 src1_sel:DWORD
	s_mov_b64 s[4:5], -1
                                        ; implicit-def: $sgpr10
	s_and_saveexec_b64 s[8:9], s[12:13]
; %bb.3822:
	s_mov_b32 s10, 0x7f800001
	s_xor_b64 s[4:5], exec, -1
; %bb.3823:
	s_or_b64 exec, exec, s[8:9]
	s_and_b64 s[4:5], s[4:5], exec
	s_or_saveexec_b64 s[6:7], s[6:7]
	v_mov_b32_e32 v4, s10
	s_xor_b64 exec, exec, s[6:7]
	s_cbranch_execz .LBB3_1774
.LBB3_3824:
	v_mov_b32_e32 v4, 0
	v_cmp_ne_u16_sdwa s[8:9], v3, v4 src0_sel:BYTE_0 src1_sel:DWORD
	s_andn2_b64 s[4:5], s[4:5], exec
	s_and_b64 s[8:9], s[8:9], exec
	s_or_b64 s[4:5], s[4:5], s[8:9]
	s_or_b64 exec, exec, s[6:7]
	s_and_saveexec_b64 s[6:7], s[4:5]
	s_cbranch_execnz .LBB3_1775
	s_branch .LBB3_1776
.LBB3_3825:
	s_movk_i32 s4, 0x80
	v_cmp_eq_u16_e32 vcc, s4, v3
	s_mov_b64 s[4:5], -1
                                        ; implicit-def: $sgpr10
	s_and_saveexec_b64 s[8:9], vcc
; %bb.3826:
	s_mov_b32 s10, 0x7f800001
	s_xor_b64 s[4:5], exec, -1
; %bb.3827:
	s_or_b64 exec, exec, s[8:9]
	s_and_b64 s[4:5], s[4:5], exec
                                        ; implicit-def: $vgpr3
	s_or_saveexec_b64 s[6:7], s[6:7]
	v_mov_b32_e32 v2, s10
	s_xor_b64 exec, exec, s[6:7]
	s_cbranch_execz .LBB3_1778
.LBB3_3828:
	v_cmp_ne_u16_e32 vcc, 0, v3
	s_andn2_b64 s[4:5], s[4:5], exec
	s_and_b64 s[8:9], vcc, exec
	v_mov_b32_e32 v2, 0
	s_or_b64 s[4:5], s[4:5], s[8:9]
	s_or_b64 exec, exec, s[6:7]
	s_and_saveexec_b64 s[6:7], s[4:5]
	s_cbranch_execnz .LBB3_1779
	s_branch .LBB3_1780
.LBB3_3829:
	s_movk_i32 s4, 0x80
	v_cmp_eq_u16_e32 vcc, s4, v3
	s_mov_b64 s[4:5], -1
                                        ; implicit-def: $sgpr10
	s_and_saveexec_b64 s[8:9], vcc
; %bb.3830:
	s_mov_b32 s10, 0x7f800001
	s_xor_b64 s[4:5], exec, -1
; %bb.3831:
	s_or_b64 exec, exec, s[8:9]
	s_and_b64 s[4:5], s[4:5], exec
                                        ; implicit-def: $vgpr3
	s_or_saveexec_b64 s[6:7], s[6:7]
	v_mov_b32_e32 v4, s10
	s_xor_b64 exec, exec, s[6:7]
	s_cbranch_execz .LBB3_1782
.LBB3_3832:
	v_cmp_ne_u16_e32 vcc, 0, v3
	s_andn2_b64 s[4:5], s[4:5], exec
	s_and_b64 s[8:9], vcc, exec
	v_mov_b32_e32 v4, 0
	s_or_b64 s[4:5], s[4:5], s[8:9]
	s_or_b64 exec, exec, s[6:7]
	s_and_saveexec_b64 s[6:7], s[4:5]
	s_cbranch_execnz .LBB3_1783
	s_branch .LBB3_1784
.LBB3_3833:
	s_movk_i32 s4, 0x80
	v_cmp_eq_u16_sdwa s[12:13], v9, s4 src0_sel:BYTE_3 src1_sel:DWORD
	s_mov_b64 s[4:5], -1
                                        ; implicit-def: $sgpr10
	s_and_saveexec_b64 s[8:9], s[12:13]
; %bb.3834:
	s_mov_b32 s10, 0x7f800001
	s_xor_b64 s[4:5], exec, -1
; %bb.3835:
	s_or_b64 exec, exec, s[8:9]
	s_and_b64 s[4:5], s[4:5], exec
	s_or_saveexec_b64 s[6:7], s[6:7]
	v_mov_b32_e32 v2, s10
	s_xor_b64 exec, exec, s[6:7]
	s_cbranch_execz .LBB3_1786
.LBB3_3836:
	v_mov_b32_e32 v2, 0
	v_cmp_ne_u16_sdwa s[8:9], v9, v2 src0_sel:BYTE_3 src1_sel:DWORD
	s_andn2_b64 s[4:5], s[4:5], exec
	s_and_b64 s[8:9], s[8:9], exec
	s_or_b64 s[4:5], s[4:5], s[8:9]
	s_or_b64 exec, exec, s[6:7]
	s_and_saveexec_b64 s[6:7], s[4:5]
	s_cbranch_execnz .LBB3_1787
	s_branch .LBB3_1788
.LBB3_3837:
	s_movk_i32 s4, 0x80
	v_cmp_eq_u16_sdwa s[12:13], v5, s4 src0_sel:BYTE_3 src1_sel:DWORD
	s_mov_b64 s[4:5], -1
                                        ; implicit-def: $sgpr10
	s_and_saveexec_b64 s[8:9], s[12:13]
; %bb.3838:
	s_mov_b32 s10, 0x7f800001
	s_xor_b64 s[4:5], exec, -1
; %bb.3839:
	s_or_b64 exec, exec, s[8:9]
	s_and_b64 s[4:5], s[4:5], exec
	s_or_saveexec_b64 s[6:7], s[6:7]
	v_mov_b32_e32 v3, s10
	s_xor_b64 exec, exec, s[6:7]
	s_cbranch_execz .LBB3_1790
.LBB3_3840:
	v_mov_b32_e32 v3, 0
	v_cmp_ne_u16_sdwa s[8:9], v5, v3 src0_sel:BYTE_3 src1_sel:DWORD
	s_andn2_b64 s[4:5], s[4:5], exec
	s_and_b64 s[8:9], s[8:9], exec
	s_or_b64 s[4:5], s[4:5], s[8:9]
	s_or_b64 exec, exec, s[6:7]
	s_and_saveexec_b64 s[6:7], s[4:5]
	s_cbranch_execnz .LBB3_1791
	s_branch .LBB3_1792
.LBB3_3841:
	s_movk_i32 s4, 0x80
	v_cmp_eq_u16_sdwa s[12:13], v12, s4 src0_sel:BYTE_0 src1_sel:DWORD
	s_mov_b64 s[4:5], -1
                                        ; implicit-def: $sgpr10
	s_and_saveexec_b64 s[8:9], s[12:13]
; %bb.3842:
	s_mov_b32 s10, 0x7f800001
	s_xor_b64 s[4:5], exec, -1
; %bb.3843:
	s_or_b64 exec, exec, s[8:9]
	s_and_b64 s[4:5], s[4:5], exec
	s_or_saveexec_b64 s[6:7], s[6:7]
	v_mov_b32_e32 v18, s10
	s_xor_b64 exec, exec, s[6:7]
	s_cbranch_execz .LBB3_1794
.LBB3_3844:
	v_mov_b32_e32 v18, 0
	v_cmp_ne_u16_sdwa s[8:9], v12, v18 src0_sel:BYTE_0 src1_sel:DWORD
	s_andn2_b64 s[4:5], s[4:5], exec
	s_and_b64 s[8:9], s[8:9], exec
	s_or_b64 s[4:5], s[4:5], s[8:9]
	s_or_b64 exec, exec, s[6:7]
	s_and_saveexec_b64 s[6:7], s[4:5]
	s_cbranch_execnz .LBB3_1795
	s_branch .LBB3_1796
.LBB3_3845:
	s_movk_i32 s4, 0x80
	v_cmp_eq_u16_sdwa s[12:13], v8, s4 src0_sel:BYTE_0 src1_sel:DWORD
	s_mov_b64 s[4:5], -1
                                        ; implicit-def: $sgpr10
	s_and_saveexec_b64 s[8:9], s[12:13]
; %bb.3846:
	s_mov_b32 s10, 0x7f800001
	s_xor_b64 s[4:5], exec, -1
; %bb.3847:
	s_or_b64 exec, exec, s[8:9]
	s_and_b64 s[4:5], s[4:5], exec
	s_or_saveexec_b64 s[6:7], s[6:7]
	v_mov_b32_e32 v19, s10
	s_xor_b64 exec, exec, s[6:7]
	s_cbranch_execz .LBB3_1798
.LBB3_3848:
	v_mov_b32_e32 v19, 0
	v_cmp_ne_u16_sdwa s[8:9], v8, v19 src0_sel:BYTE_0 src1_sel:DWORD
	s_andn2_b64 s[4:5], s[4:5], exec
	s_and_b64 s[8:9], s[8:9], exec
	s_or_b64 s[4:5], s[4:5], s[8:9]
	s_or_b64 exec, exec, s[6:7]
	s_and_saveexec_b64 s[6:7], s[4:5]
	s_cbranch_execnz .LBB3_1799
	s_branch .LBB3_1800
.LBB3_3849:
	s_movk_i32 s4, 0x80
	v_cmp_eq_u16_sdwa s[12:13], v19, s4 src0_sel:BYTE_0 src1_sel:DWORD
	s_mov_b64 s[4:5], -1
                                        ; implicit-def: $sgpr10
	s_and_saveexec_b64 s[8:9], s[12:13]
; %bb.3850:
	s_mov_b32 s10, 0x7f800001
	s_xor_b64 s[4:5], exec, -1
; %bb.3851:
	s_or_b64 exec, exec, s[8:9]
	s_and_b64 s[4:5], s[4:5], exec
	s_or_saveexec_b64 s[6:7], s[6:7]
	v_mov_b32_e32 v18, s10
	s_xor_b64 exec, exec, s[6:7]
	s_cbranch_execz .LBB3_1802
.LBB3_3852:
	v_mov_b32_e32 v18, 0
	v_cmp_ne_u16_sdwa s[8:9], v19, v18 src0_sel:BYTE_0 src1_sel:DWORD
	s_andn2_b64 s[4:5], s[4:5], exec
	s_and_b64 s[8:9], s[8:9], exec
	s_or_b64 s[4:5], s[4:5], s[8:9]
	s_or_b64 exec, exec, s[6:7]
	s_and_saveexec_b64 s[6:7], s[4:5]
	s_cbranch_execnz .LBB3_1803
	s_branch .LBB3_1804
.LBB3_3853:
	s_movk_i32 s4, 0x80
	v_cmp_eq_u16_sdwa s[12:13], v19, s4 src0_sel:BYTE_0 src1_sel:DWORD
	s_mov_b64 s[4:5], -1
                                        ; implicit-def: $sgpr10
	s_and_saveexec_b64 s[8:9], s[12:13]
; %bb.3854:
	s_mov_b32 s10, 0x7f800001
	s_xor_b64 s[4:5], exec, -1
; %bb.3855:
	s_or_b64 exec, exec, s[8:9]
	s_and_b64 s[4:5], s[4:5], exec
	s_or_saveexec_b64 s[6:7], s[6:7]
	v_mov_b32_e32 v20, s10
	s_xor_b64 exec, exec, s[6:7]
	s_cbranch_execz .LBB3_1806
.LBB3_3856:
	v_mov_b32_e32 v20, 0
	v_cmp_ne_u16_sdwa s[8:9], v19, v20 src0_sel:BYTE_0 src1_sel:DWORD
	s_andn2_b64 s[4:5], s[4:5], exec
	s_and_b64 s[8:9], s[8:9], exec
	s_or_b64 s[4:5], s[4:5], s[8:9]
	s_or_b64 exec, exec, s[6:7]
	s_and_saveexec_b64 s[6:7], s[4:5]
	s_cbranch_execnz .LBB3_1807
	s_branch .LBB3_1808
.LBB3_3857:
	s_movk_i32 s4, 0x80
	v_cmp_eq_u16_e32 vcc, s4, v19
	s_mov_b64 s[4:5], -1
                                        ; implicit-def: $sgpr10
	s_and_saveexec_b64 s[8:9], vcc
; %bb.3858:
	s_mov_b32 s10, 0x7f800001
	s_xor_b64 s[4:5], exec, -1
; %bb.3859:
	s_or_b64 exec, exec, s[8:9]
	s_and_b64 s[4:5], s[4:5], exec
                                        ; implicit-def: $vgpr19
	s_or_saveexec_b64 s[6:7], s[6:7]
	v_mov_b32_e32 v18, s10
	s_xor_b64 exec, exec, s[6:7]
	s_cbranch_execz .LBB3_1810
.LBB3_3860:
	v_cmp_ne_u16_e32 vcc, 0, v19
	s_andn2_b64 s[4:5], s[4:5], exec
	s_and_b64 s[8:9], vcc, exec
	v_mov_b32_e32 v18, 0
	s_or_b64 s[4:5], s[4:5], s[8:9]
	s_or_b64 exec, exec, s[6:7]
	s_and_saveexec_b64 s[6:7], s[4:5]
	s_cbranch_execnz .LBB3_1811
	s_branch .LBB3_1812
.LBB3_3861:
	s_movk_i32 s4, 0x80
	v_cmp_eq_u16_e32 vcc, s4, v19
	s_mov_b64 s[4:5], -1
                                        ; implicit-def: $sgpr10
	s_and_saveexec_b64 s[8:9], vcc
; %bb.3862:
	s_mov_b32 s10, 0x7f800001
	s_xor_b64 s[4:5], exec, -1
; %bb.3863:
	s_or_b64 exec, exec, s[8:9]
	s_and_b64 s[4:5], s[4:5], exec
                                        ; implicit-def: $vgpr19
	s_or_saveexec_b64 s[6:7], s[6:7]
	v_mov_b32_e32 v20, s10
	s_xor_b64 exec, exec, s[6:7]
	s_cbranch_execz .LBB3_1814
.LBB3_3864:
	v_cmp_ne_u16_e32 vcc, 0, v19
	s_andn2_b64 s[4:5], s[4:5], exec
	s_and_b64 s[8:9], vcc, exec
	v_mov_b32_e32 v20, 0
	s_or_b64 s[4:5], s[4:5], s[8:9]
	s_or_b64 exec, exec, s[6:7]
	s_and_saveexec_b64 s[6:7], s[4:5]
	s_cbranch_execnz .LBB3_1815
	s_branch .LBB3_1816
.LBB3_3865:
	s_movk_i32 s4, 0x80
	v_cmp_eq_u16_sdwa s[12:13], v12, s4 src0_sel:BYTE_3 src1_sel:DWORD
	s_mov_b64 s[4:5], -1
                                        ; implicit-def: $sgpr10
	s_and_saveexec_b64 s[8:9], s[12:13]
; %bb.3866:
	s_mov_b32 s10, 0x7f800001
	s_xor_b64 s[4:5], exec, -1
; %bb.3867:
	s_or_b64 exec, exec, s[8:9]
	s_and_b64 s[4:5], s[4:5], exec
	s_or_saveexec_b64 s[6:7], s[6:7]
	v_mov_b32_e32 v18, s10
	s_xor_b64 exec, exec, s[6:7]
	s_cbranch_execz .LBB3_1818
.LBB3_3868:
	v_mov_b32_e32 v18, 0
	v_cmp_ne_u16_sdwa s[8:9], v12, v18 src0_sel:BYTE_3 src1_sel:DWORD
	s_andn2_b64 s[4:5], s[4:5], exec
	s_and_b64 s[8:9], s[8:9], exec
	s_or_b64 s[4:5], s[4:5], s[8:9]
	s_or_b64 exec, exec, s[6:7]
	s_and_saveexec_b64 s[6:7], s[4:5]
	s_cbranch_execnz .LBB3_1819
	s_branch .LBB3_1820
.LBB3_3869:
	s_movk_i32 s4, 0x80
	v_cmp_eq_u16_sdwa s[12:13], v8, s4 src0_sel:BYTE_3 src1_sel:DWORD
	s_mov_b64 s[4:5], -1
                                        ; implicit-def: $sgpr10
	s_and_saveexec_b64 s[8:9], s[12:13]
; %bb.3870:
	s_mov_b32 s10, 0x7f800001
	s_xor_b64 s[4:5], exec, -1
; %bb.3871:
	s_or_b64 exec, exec, s[8:9]
	s_and_b64 s[4:5], s[4:5], exec
	s_or_saveexec_b64 s[6:7], s[6:7]
	v_mov_b32_e32 v12, s10
	s_xor_b64 exec, exec, s[6:7]
	s_cbranch_execz .LBB3_1822
.LBB3_3872:
	v_mov_b32_e32 v12, 0
	v_cmp_ne_u16_sdwa s[8:9], v8, v12 src0_sel:BYTE_3 src1_sel:DWORD
	s_andn2_b64 s[4:5], s[4:5], exec
	s_and_b64 s[8:9], s[8:9], exec
	s_or_b64 s[4:5], s[4:5], s[8:9]
	s_or_b64 exec, exec, s[6:7]
	s_and_saveexec_b64 s[6:7], s[4:5]
	s_cbranch_execnz .LBB3_1823
	s_branch .LBB3_1824
.LBB3_3873:
	s_movk_i32 s4, 0x80
	v_cmp_eq_u16_sdwa s[12:13], v13, s4 src0_sel:BYTE_0 src1_sel:DWORD
	s_mov_b64 s[4:5], -1
                                        ; implicit-def: $sgpr10
	s_and_saveexec_b64 s[8:9], s[12:13]
; %bb.3874:
	s_mov_b32 s10, 0x7f800001
	s_xor_b64 s[4:5], exec, -1
; %bb.3875:
	s_or_b64 exec, exec, s[8:9]
	s_and_b64 s[4:5], s[4:5], exec
	s_or_saveexec_b64 s[6:7], s[6:7]
	v_mov_b32_e32 v8, s10
	s_xor_b64 exec, exec, s[6:7]
	s_cbranch_execz .LBB3_1826
.LBB3_3876:
	v_mov_b32_e32 v8, 0
	v_cmp_ne_u16_sdwa s[8:9], v13, v8 src0_sel:BYTE_0 src1_sel:DWORD
	s_andn2_b64 s[4:5], s[4:5], exec
	s_and_b64 s[8:9], s[8:9], exec
	s_or_b64 s[4:5], s[4:5], s[8:9]
	s_or_b64 exec, exec, s[6:7]
	s_and_saveexec_b64 s[6:7], s[4:5]
	s_cbranch_execnz .LBB3_1827
	s_branch .LBB3_1828
.LBB3_3877:
	s_movk_i32 s4, 0x80
	v_cmp_eq_u16_sdwa s[12:13], v9, s4 src0_sel:BYTE_0 src1_sel:DWORD
	s_mov_b64 s[4:5], -1
                                        ; implicit-def: $sgpr10
	s_and_saveexec_b64 s[8:9], s[12:13]
; %bb.3878:
	s_mov_b32 s10, 0x7f800001
	s_xor_b64 s[4:5], exec, -1
; %bb.3879:
	s_or_b64 exec, exec, s[8:9]
	s_and_b64 s[4:5], s[4:5], exec
	s_or_saveexec_b64 s[6:7], s[6:7]
	v_mov_b32_e32 v12, s10
	s_xor_b64 exec, exec, s[6:7]
	s_cbranch_execz .LBB3_1830
.LBB3_3880:
	v_mov_b32_e32 v12, 0
	v_cmp_ne_u16_sdwa s[8:9], v9, v12 src0_sel:BYTE_0 src1_sel:DWORD
	s_andn2_b64 s[4:5], s[4:5], exec
	s_and_b64 s[8:9], s[8:9], exec
	s_or_b64 s[4:5], s[4:5], s[8:9]
	s_or_b64 exec, exec, s[6:7]
	s_and_saveexec_b64 s[6:7], s[4:5]
	s_cbranch_execnz .LBB3_1831
	s_branch .LBB3_1832
.LBB3_3881:
	s_movk_i32 s4, 0x80
	v_cmp_eq_u16_sdwa s[12:13], v12, s4 src0_sel:BYTE_0 src1_sel:DWORD
	s_mov_b64 s[4:5], -1
                                        ; implicit-def: $sgpr10
	s_and_saveexec_b64 s[8:9], s[12:13]
; %bb.3882:
	s_mov_b32 s10, 0x7f800001
	s_xor_b64 s[4:5], exec, -1
; %bb.3883:
	s_or_b64 exec, exec, s[8:9]
	s_and_b64 s[4:5], s[4:5], exec
	s_or_saveexec_b64 s[6:7], s[6:7]
	v_mov_b32_e32 v8, s10
	s_xor_b64 exec, exec, s[6:7]
	s_cbranch_execz .LBB3_1834
.LBB3_3884:
	v_mov_b32_e32 v8, 0
	v_cmp_ne_u16_sdwa s[8:9], v12, v8 src0_sel:BYTE_0 src1_sel:DWORD
	s_andn2_b64 s[4:5], s[4:5], exec
	s_and_b64 s[8:9], s[8:9], exec
	s_or_b64 s[4:5], s[4:5], s[8:9]
	s_or_b64 exec, exec, s[6:7]
	s_and_saveexec_b64 s[6:7], s[4:5]
	s_cbranch_execnz .LBB3_1835
	s_branch .LBB3_1836
.LBB3_3885:
	s_movk_i32 s4, 0x80
	v_cmp_eq_u16_sdwa s[12:13], v12, s4 src0_sel:BYTE_0 src1_sel:DWORD
	s_mov_b64 s[4:5], -1
                                        ; implicit-def: $sgpr10
	s_and_saveexec_b64 s[8:9], s[12:13]
; %bb.3886:
	s_mov_b32 s10, 0x7f800001
	s_xor_b64 s[4:5], exec, -1
; %bb.3887:
	s_or_b64 exec, exec, s[8:9]
	s_and_b64 s[4:5], s[4:5], exec
	s_or_saveexec_b64 s[6:7], s[6:7]
	v_mov_b32_e32 v18, s10
	s_xor_b64 exec, exec, s[6:7]
	s_cbranch_execz .LBB3_1838
.LBB3_3888:
	v_mov_b32_e32 v18, 0
	v_cmp_ne_u16_sdwa s[8:9], v12, v18 src0_sel:BYTE_0 src1_sel:DWORD
	s_andn2_b64 s[4:5], s[4:5], exec
	s_and_b64 s[8:9], s[8:9], exec
	s_or_b64 s[4:5], s[4:5], s[8:9]
	s_or_b64 exec, exec, s[6:7]
	s_and_saveexec_b64 s[6:7], s[4:5]
	s_cbranch_execnz .LBB3_1839
	s_branch .LBB3_1840
.LBB3_3889:
	s_movk_i32 s4, 0x80
	v_cmp_eq_u16_e32 vcc, s4, v12
	s_mov_b64 s[4:5], -1
                                        ; implicit-def: $sgpr10
	s_and_saveexec_b64 s[8:9], vcc
; %bb.3890:
	s_mov_b32 s10, 0x7f800001
	s_xor_b64 s[4:5], exec, -1
; %bb.3891:
	s_or_b64 exec, exec, s[8:9]
	s_and_b64 s[4:5], s[4:5], exec
                                        ; implicit-def: $vgpr12
	s_or_saveexec_b64 s[6:7], s[6:7]
	v_mov_b32_e32 v8, s10
	s_xor_b64 exec, exec, s[6:7]
	s_cbranch_execz .LBB3_1842
.LBB3_3892:
	v_cmp_ne_u16_e32 vcc, 0, v12
	s_andn2_b64 s[4:5], s[4:5], exec
	s_and_b64 s[8:9], vcc, exec
	v_mov_b32_e32 v8, 0
	s_or_b64 s[4:5], s[4:5], s[8:9]
	s_or_b64 exec, exec, s[6:7]
	s_and_saveexec_b64 s[6:7], s[4:5]
	s_cbranch_execnz .LBB3_1843
	s_branch .LBB3_1844
.LBB3_3893:
	s_movk_i32 s4, 0x80
	v_cmp_eq_u16_e32 vcc, s4, v12
	s_mov_b64 s[4:5], -1
                                        ; implicit-def: $sgpr10
	s_and_saveexec_b64 s[8:9], vcc
; %bb.3894:
	s_mov_b32 s10, 0x7f800001
	s_xor_b64 s[4:5], exec, -1
; %bb.3895:
	s_or_b64 exec, exec, s[8:9]
	s_and_b64 s[4:5], s[4:5], exec
                                        ; implicit-def: $vgpr12
	s_or_saveexec_b64 s[6:7], s[6:7]
	v_mov_b32_e32 v18, s10
	s_xor_b64 exec, exec, s[6:7]
	s_cbranch_execz .LBB3_1846
.LBB3_3896:
	v_cmp_ne_u16_e32 vcc, 0, v12
	s_andn2_b64 s[4:5], s[4:5], exec
	s_and_b64 s[8:9], vcc, exec
	v_mov_b32_e32 v18, 0
	s_or_b64 s[4:5], s[4:5], s[8:9]
	s_or_b64 exec, exec, s[6:7]
	s_and_saveexec_b64 s[6:7], s[4:5]
	s_cbranch_execnz .LBB3_1847
	s_branch .LBB3_1848
.LBB3_3897:
	s_movk_i32 s4, 0x80
	v_cmp_eq_u16_sdwa s[12:13], v13, s4 src0_sel:BYTE_3 src1_sel:DWORD
	s_mov_b64 s[4:5], -1
                                        ; implicit-def: $sgpr10
	s_and_saveexec_b64 s[8:9], s[12:13]
; %bb.3898:
	s_mov_b32 s10, 0x7f800001
	s_xor_b64 s[4:5], exec, -1
; %bb.3899:
	s_or_b64 exec, exec, s[8:9]
	s_and_b64 s[4:5], s[4:5], exec
	s_or_saveexec_b64 s[6:7], s[6:7]
	v_mov_b32_e32 v8, s10
	s_xor_b64 exec, exec, s[6:7]
	s_cbranch_execz .LBB3_1850
.LBB3_3900:
	v_mov_b32_e32 v8, 0
	v_cmp_ne_u16_sdwa s[8:9], v13, v8 src0_sel:BYTE_3 src1_sel:DWORD
	s_andn2_b64 s[4:5], s[4:5], exec
	s_and_b64 s[8:9], s[8:9], exec
	s_or_b64 s[4:5], s[4:5], s[8:9]
	s_or_b64 exec, exec, s[6:7]
	s_and_saveexec_b64 s[6:7], s[4:5]
	s_cbranch_execnz .LBB3_1851
	s_branch .LBB3_1852
.LBB3_3901:
	s_movk_i32 s4, 0x80
	v_cmp_eq_u16_sdwa s[12:13], v9, s4 src0_sel:BYTE_3 src1_sel:DWORD
	s_mov_b64 s[4:5], -1
                                        ; implicit-def: $sgpr10
	s_and_saveexec_b64 s[8:9], s[12:13]
; %bb.3902:
	s_mov_b32 s10, 0x7f800001
	s_xor_b64 s[4:5], exec, -1
; %bb.3903:
	s_or_b64 exec, exec, s[8:9]
	s_and_b64 s[4:5], s[4:5], exec
	s_or_saveexec_b64 s[6:7], s[6:7]
	v_mov_b32_e32 v12, s10
	s_xor_b64 exec, exec, s[6:7]
	s_cbranch_execz .LBB3_1854
.LBB3_3904:
	v_mov_b32_e32 v12, 0
	v_cmp_ne_u16_sdwa s[8:9], v9, v12 src0_sel:BYTE_3 src1_sel:DWORD
	s_andn2_b64 s[4:5], s[4:5], exec
	s_and_b64 s[8:9], s[8:9], exec
	s_or_b64 s[4:5], s[4:5], s[8:9]
	s_or_b64 exec, exec, s[6:7]
	s_and_saveexec_b64 s[6:7], s[4:5]
	s_cbranch_execnz .LBB3_1855
	s_branch .LBB3_1856
.LBB3_3905:
	s_movk_i32 s4, 0x80
	v_cmp_eq_u16_sdwa s[12:13], v14, s4 src0_sel:BYTE_0 src1_sel:DWORD
	s_mov_b64 s[4:5], -1
                                        ; implicit-def: $sgpr10
	s_and_saveexec_b64 s[8:9], s[12:13]
; %bb.3906:
	s_mov_b32 s10, 0x7f800001
	s_xor_b64 s[4:5], exec, -1
; %bb.3907:
	s_or_b64 exec, exec, s[8:9]
	s_and_b64 s[4:5], s[4:5], exec
	s_or_saveexec_b64 s[6:7], s[6:7]
	v_mov_b32_e32 v8, s10
	s_xor_b64 exec, exec, s[6:7]
	s_cbranch_execz .LBB3_1858
.LBB3_3908:
	v_mov_b32_e32 v8, 0
	v_cmp_ne_u16_sdwa s[8:9], v14, v8 src0_sel:BYTE_0 src1_sel:DWORD
	s_andn2_b64 s[4:5], s[4:5], exec
	s_and_b64 s[8:9], s[8:9], exec
	s_or_b64 s[4:5], s[4:5], s[8:9]
	s_or_b64 exec, exec, s[6:7]
	s_and_saveexec_b64 s[6:7], s[4:5]
	s_cbranch_execnz .LBB3_1859
	s_branch .LBB3_1860
.LBB3_3909:
	s_movk_i32 s4, 0x80
	v_cmp_eq_u16_sdwa s[12:13], v10, s4 src0_sel:BYTE_0 src1_sel:DWORD
	s_mov_b64 s[4:5], -1
                                        ; implicit-def: $sgpr10
	s_and_saveexec_b64 s[8:9], s[12:13]
; %bb.3910:
	s_mov_b32 s10, 0x7f800001
	s_xor_b64 s[4:5], exec, -1
; %bb.3911:
	s_or_b64 exec, exec, s[8:9]
	s_and_b64 s[4:5], s[4:5], exec
	s_or_saveexec_b64 s[6:7], s[6:7]
	v_mov_b32_e32 v9, s10
	s_xor_b64 exec, exec, s[6:7]
	s_cbranch_execz .LBB3_1862
.LBB3_3912:
	v_mov_b32_e32 v9, 0
	v_cmp_ne_u16_sdwa s[8:9], v10, v9 src0_sel:BYTE_0 src1_sel:DWORD
	s_andn2_b64 s[4:5], s[4:5], exec
	s_and_b64 s[8:9], s[8:9], exec
	s_or_b64 s[4:5], s[4:5], s[8:9]
	s_or_b64 exec, exec, s[6:7]
	s_and_saveexec_b64 s[6:7], s[4:5]
	s_cbranch_execnz .LBB3_1863
	s_branch .LBB3_1864
.LBB3_3913:
	s_movk_i32 s4, 0x80
	v_cmp_eq_u16_sdwa s[12:13], v9, s4 src0_sel:BYTE_0 src1_sel:DWORD
	s_mov_b64 s[4:5], -1
                                        ; implicit-def: $sgpr10
	s_and_saveexec_b64 s[8:9], s[12:13]
; %bb.3914:
	s_mov_b32 s10, 0x7f800001
	s_xor_b64 s[4:5], exec, -1
; %bb.3915:
	s_or_b64 exec, exec, s[8:9]
	s_and_b64 s[4:5], s[4:5], exec
	s_or_saveexec_b64 s[6:7], s[6:7]
	v_mov_b32_e32 v8, s10
	s_xor_b64 exec, exec, s[6:7]
	s_cbranch_execz .LBB3_1866
.LBB3_3916:
	v_mov_b32_e32 v8, 0
	v_cmp_ne_u16_sdwa s[8:9], v9, v8 src0_sel:BYTE_0 src1_sel:DWORD
	s_andn2_b64 s[4:5], s[4:5], exec
	s_and_b64 s[8:9], s[8:9], exec
	s_or_b64 s[4:5], s[4:5], s[8:9]
	s_or_b64 exec, exec, s[6:7]
	s_and_saveexec_b64 s[6:7], s[4:5]
	s_cbranch_execnz .LBB3_1867
	s_branch .LBB3_1868
.LBB3_3917:
	s_movk_i32 s4, 0x80
	v_cmp_eq_u16_sdwa s[12:13], v9, s4 src0_sel:BYTE_0 src1_sel:DWORD
	s_mov_b64 s[4:5], -1
                                        ; implicit-def: $sgpr10
	s_and_saveexec_b64 s[8:9], s[12:13]
; %bb.3918:
	s_mov_b32 s10, 0x7f800001
	s_xor_b64 s[4:5], exec, -1
; %bb.3919:
	s_or_b64 exec, exec, s[8:9]
	s_and_b64 s[4:5], s[4:5], exec
	s_or_saveexec_b64 s[6:7], s[6:7]
	v_mov_b32_e32 v12, s10
	s_xor_b64 exec, exec, s[6:7]
	s_cbranch_execz .LBB3_1870
.LBB3_3920:
	v_mov_b32_e32 v12, 0
	v_cmp_ne_u16_sdwa s[8:9], v9, v12 src0_sel:BYTE_0 src1_sel:DWORD
	s_andn2_b64 s[4:5], s[4:5], exec
	s_and_b64 s[8:9], s[8:9], exec
	s_or_b64 s[4:5], s[4:5], s[8:9]
	s_or_b64 exec, exec, s[6:7]
	s_and_saveexec_b64 s[6:7], s[4:5]
	s_cbranch_execnz .LBB3_1871
	s_branch .LBB3_1872
.LBB3_3921:
	s_movk_i32 s4, 0x80
	v_cmp_eq_u16_e32 vcc, s4, v9
	s_mov_b64 s[4:5], -1
                                        ; implicit-def: $sgpr10
	s_and_saveexec_b64 s[8:9], vcc
; %bb.3922:
	s_mov_b32 s10, 0x7f800001
	s_xor_b64 s[4:5], exec, -1
; %bb.3923:
	s_or_b64 exec, exec, s[8:9]
	s_and_b64 s[4:5], s[4:5], exec
                                        ; implicit-def: $vgpr9
	s_or_saveexec_b64 s[6:7], s[6:7]
	v_mov_b32_e32 v8, s10
	s_xor_b64 exec, exec, s[6:7]
	s_cbranch_execz .LBB3_1874
.LBB3_3924:
	v_cmp_ne_u16_e32 vcc, 0, v9
	s_andn2_b64 s[4:5], s[4:5], exec
	s_and_b64 s[8:9], vcc, exec
	v_mov_b32_e32 v8, 0
	s_or_b64 s[4:5], s[4:5], s[8:9]
	s_or_b64 exec, exec, s[6:7]
	s_and_saveexec_b64 s[6:7], s[4:5]
	s_cbranch_execnz .LBB3_1875
	s_branch .LBB3_1876
.LBB3_3925:
	s_movk_i32 s4, 0x80
	v_cmp_eq_u16_e32 vcc, s4, v9
	s_mov_b64 s[4:5], -1
                                        ; implicit-def: $sgpr10
	s_and_saveexec_b64 s[8:9], vcc
; %bb.3926:
	s_mov_b32 s10, 0x7f800001
	s_xor_b64 s[4:5], exec, -1
; %bb.3927:
	s_or_b64 exec, exec, s[8:9]
	s_and_b64 s[4:5], s[4:5], exec
                                        ; implicit-def: $vgpr9
	s_or_saveexec_b64 s[6:7], s[6:7]
	v_mov_b32_e32 v12, s10
	s_xor_b64 exec, exec, s[6:7]
	s_cbranch_execz .LBB3_1878
.LBB3_3928:
	v_cmp_ne_u16_e32 vcc, 0, v9
	s_andn2_b64 s[4:5], s[4:5], exec
	s_and_b64 s[8:9], vcc, exec
	v_mov_b32_e32 v12, 0
	s_or_b64 s[4:5], s[4:5], s[8:9]
	s_or_b64 exec, exec, s[6:7]
	s_and_saveexec_b64 s[6:7], s[4:5]
	s_cbranch_execnz .LBB3_1879
	s_branch .LBB3_1880
.LBB3_3929:
	s_movk_i32 s4, 0x80
	v_cmp_eq_u16_sdwa s[12:13], v14, s4 src0_sel:BYTE_3 src1_sel:DWORD
	s_mov_b64 s[4:5], -1
                                        ; implicit-def: $sgpr10
	s_and_saveexec_b64 s[8:9], s[12:13]
; %bb.3930:
	s_mov_b32 s10, 0x7f800001
	s_xor_b64 s[4:5], exec, -1
; %bb.3931:
	s_or_b64 exec, exec, s[8:9]
	s_and_b64 s[4:5], s[4:5], exec
	s_or_saveexec_b64 s[6:7], s[6:7]
	v_mov_b32_e32 v8, s10
	s_xor_b64 exec, exec, s[6:7]
	s_cbranch_execz .LBB3_1882
.LBB3_3932:
	v_mov_b32_e32 v8, 0
	v_cmp_ne_u16_sdwa s[8:9], v14, v8 src0_sel:BYTE_3 src1_sel:DWORD
	s_andn2_b64 s[4:5], s[4:5], exec
	s_and_b64 s[8:9], s[8:9], exec
	s_or_b64 s[4:5], s[4:5], s[8:9]
	s_or_b64 exec, exec, s[6:7]
	s_and_saveexec_b64 s[6:7], s[4:5]
	s_cbranch_execnz .LBB3_1883
	s_branch .LBB3_1884
.LBB3_3933:
	s_movk_i32 s4, 0x80
	v_cmp_eq_u16_sdwa s[12:13], v10, s4 src0_sel:BYTE_3 src1_sel:DWORD
	s_mov_b64 s[4:5], -1
                                        ; implicit-def: $sgpr10
	s_and_saveexec_b64 s[8:9], s[12:13]
; %bb.3934:
	s_mov_b32 s10, 0x7f800001
	s_xor_b64 s[4:5], exec, -1
; %bb.3935:
	s_or_b64 exec, exec, s[8:9]
	s_and_b64 s[4:5], s[4:5], exec
	s_or_saveexec_b64 s[6:7], s[6:7]
	v_mov_b32_e32 v9, s10
	s_xor_b64 exec, exec, s[6:7]
	s_cbranch_execz .LBB3_1886
.LBB3_3936:
	v_mov_b32_e32 v9, 0
	v_cmp_ne_u16_sdwa s[8:9], v10, v9 src0_sel:BYTE_3 src1_sel:DWORD
	s_andn2_b64 s[4:5], s[4:5], exec
	s_and_b64 s[8:9], s[8:9], exec
	s_or_b64 s[4:5], s[4:5], s[8:9]
	s_or_b64 exec, exec, s[6:7]
	s_and_saveexec_b64 s[6:7], s[4:5]
	s_cbranch_execnz .LBB3_1887
	s_branch .LBB3_1888
.LBB3_3937:
	s_movk_i32 s4, 0x80
	v_cmp_eq_u16_sdwa s[12:13], v15, s4 src0_sel:BYTE_0 src1_sel:DWORD
	s_mov_b64 s[4:5], -1
                                        ; implicit-def: $sgpr10
	s_and_saveexec_b64 s[8:9], s[12:13]
; %bb.3938:
	s_mov_b32 s10, 0x7f800001
	s_xor_b64 s[4:5], exec, -1
; %bb.3939:
	s_or_b64 exec, exec, s[8:9]
	s_and_b64 s[4:5], s[4:5], exec
	s_or_saveexec_b64 s[6:7], s[6:7]
	v_mov_b32_e32 v8, s10
	s_xor_b64 exec, exec, s[6:7]
	s_cbranch_execz .LBB3_1890
.LBB3_3940:
	v_mov_b32_e32 v8, 0
	v_cmp_ne_u16_sdwa s[8:9], v15, v8 src0_sel:BYTE_0 src1_sel:DWORD
	s_andn2_b64 s[4:5], s[4:5], exec
	s_and_b64 s[8:9], s[8:9], exec
	s_or_b64 s[4:5], s[4:5], s[8:9]
	s_or_b64 exec, exec, s[6:7]
	s_and_saveexec_b64 s[6:7], s[4:5]
	s_cbranch_execnz .LBB3_1891
	s_branch .LBB3_1892
.LBB3_3941:
	s_movk_i32 s4, 0x80
	v_cmp_eq_u16_sdwa s[12:13], v11, s4 src0_sel:BYTE_0 src1_sel:DWORD
	s_mov_b64 s[4:5], -1
                                        ; implicit-def: $sgpr10
	s_and_saveexec_b64 s[8:9], s[12:13]
; %bb.3942:
	s_mov_b32 s10, 0x7f800001
	s_xor_b64 s[4:5], exec, -1
; %bb.3943:
	s_or_b64 exec, exec, s[8:9]
	s_and_b64 s[4:5], s[4:5], exec
	s_or_saveexec_b64 s[6:7], s[6:7]
	v_mov_b32_e32 v9, s10
	s_xor_b64 exec, exec, s[6:7]
	s_cbranch_execz .LBB3_1894
.LBB3_3944:
	v_mov_b32_e32 v9, 0
	v_cmp_ne_u16_sdwa s[8:9], v11, v9 src0_sel:BYTE_0 src1_sel:DWORD
	s_andn2_b64 s[4:5], s[4:5], exec
	s_and_b64 s[8:9], s[8:9], exec
	s_or_b64 s[4:5], s[4:5], s[8:9]
	s_or_b64 exec, exec, s[6:7]
	s_and_saveexec_b64 s[6:7], s[4:5]
	s_cbranch_execnz .LBB3_1895
	s_branch .LBB3_1896
.LBB3_3945:
	s_movk_i32 s4, 0x80
	v_cmp_eq_u16_sdwa s[12:13], v9, s4 src0_sel:BYTE_0 src1_sel:DWORD
	s_mov_b64 s[4:5], -1
                                        ; implicit-def: $sgpr10
	s_and_saveexec_b64 s[8:9], s[12:13]
; %bb.3946:
	s_mov_b32 s10, 0x7f800001
	s_xor_b64 s[4:5], exec, -1
; %bb.3947:
	s_or_b64 exec, exec, s[8:9]
	s_and_b64 s[4:5], s[4:5], exec
	s_or_saveexec_b64 s[6:7], s[6:7]
	v_mov_b32_e32 v8, s10
	s_xor_b64 exec, exec, s[6:7]
	s_cbranch_execz .LBB3_1898
.LBB3_3948:
	v_mov_b32_e32 v8, 0
	v_cmp_ne_u16_sdwa s[8:9], v9, v8 src0_sel:BYTE_0 src1_sel:DWORD
	s_andn2_b64 s[4:5], s[4:5], exec
	s_and_b64 s[8:9], s[8:9], exec
	s_or_b64 s[4:5], s[4:5], s[8:9]
	s_or_b64 exec, exec, s[6:7]
	s_and_saveexec_b64 s[6:7], s[4:5]
	s_cbranch_execnz .LBB3_1899
	s_branch .LBB3_1900
.LBB3_3949:
	s_movk_i32 s4, 0x80
	v_cmp_eq_u16_sdwa s[12:13], v9, s4 src0_sel:BYTE_0 src1_sel:DWORD
	s_mov_b64 s[4:5], -1
                                        ; implicit-def: $sgpr10
	s_and_saveexec_b64 s[8:9], s[12:13]
; %bb.3950:
	s_mov_b32 s10, 0x7f800001
	s_xor_b64 s[4:5], exec, -1
; %bb.3951:
	s_or_b64 exec, exec, s[8:9]
	s_and_b64 s[4:5], s[4:5], exec
	s_or_saveexec_b64 s[6:7], s[6:7]
	v_mov_b32_e32 v10, s10
	s_xor_b64 exec, exec, s[6:7]
	s_cbranch_execz .LBB3_1902
.LBB3_3952:
	v_mov_b32_e32 v10, 0
	v_cmp_ne_u16_sdwa s[8:9], v9, v10 src0_sel:BYTE_0 src1_sel:DWORD
	s_andn2_b64 s[4:5], s[4:5], exec
	s_and_b64 s[8:9], s[8:9], exec
	s_or_b64 s[4:5], s[4:5], s[8:9]
	s_or_b64 exec, exec, s[6:7]
	s_and_saveexec_b64 s[6:7], s[4:5]
	s_cbranch_execnz .LBB3_1903
	s_branch .LBB3_1904
.LBB3_3953:
	s_movk_i32 s4, 0x80
	v_cmp_eq_u16_e32 vcc, s4, v9
	s_mov_b64 s[4:5], -1
                                        ; implicit-def: $sgpr10
	s_and_saveexec_b64 s[8:9], vcc
; %bb.3954:
	s_mov_b32 s10, 0x7f800001
	s_xor_b64 s[4:5], exec, -1
; %bb.3955:
	s_or_b64 exec, exec, s[8:9]
	s_and_b64 s[4:5], s[4:5], exec
                                        ; implicit-def: $vgpr9
	s_or_saveexec_b64 s[6:7], s[6:7]
	v_mov_b32_e32 v8, s10
	s_xor_b64 exec, exec, s[6:7]
	s_cbranch_execz .LBB3_1906
.LBB3_3956:
	v_cmp_ne_u16_e32 vcc, 0, v9
	s_andn2_b64 s[4:5], s[4:5], exec
	s_and_b64 s[8:9], vcc, exec
	v_mov_b32_e32 v8, 0
	s_or_b64 s[4:5], s[4:5], s[8:9]
	s_or_b64 exec, exec, s[6:7]
	s_and_saveexec_b64 s[6:7], s[4:5]
	s_cbranch_execnz .LBB3_1907
	s_branch .LBB3_1908
.LBB3_3957:
	s_movk_i32 s4, 0x80
	v_cmp_eq_u16_e32 vcc, s4, v9
	s_mov_b64 s[4:5], -1
                                        ; implicit-def: $sgpr10
	s_and_saveexec_b64 s[8:9], vcc
; %bb.3958:
	s_mov_b32 s10, 0x7f800001
	s_xor_b64 s[4:5], exec, -1
; %bb.3959:
	s_or_b64 exec, exec, s[8:9]
	s_and_b64 s[4:5], s[4:5], exec
                                        ; implicit-def: $vgpr9
	s_or_saveexec_b64 s[6:7], s[6:7]
	v_mov_b32_e32 v10, s10
	s_xor_b64 exec, exec, s[6:7]
	s_cbranch_execz .LBB3_1910
.LBB3_3960:
	v_cmp_ne_u16_e32 vcc, 0, v9
	s_andn2_b64 s[4:5], s[4:5], exec
	s_and_b64 s[8:9], vcc, exec
	v_mov_b32_e32 v10, 0
	s_or_b64 s[4:5], s[4:5], s[8:9]
	s_or_b64 exec, exec, s[6:7]
	s_and_saveexec_b64 s[6:7], s[4:5]
	s_cbranch_execnz .LBB3_1911
	s_branch .LBB3_1912
.LBB3_3961:
	s_movk_i32 s4, 0x80
	v_cmp_eq_u16_sdwa s[12:13], v15, s4 src0_sel:BYTE_3 src1_sel:DWORD
	s_mov_b64 s[4:5], -1
                                        ; implicit-def: $sgpr10
	s_and_saveexec_b64 s[8:9], s[12:13]
; %bb.3962:
	s_mov_b32 s10, 0x7f800001
	s_xor_b64 s[4:5], exec, -1
; %bb.3963:
	s_or_b64 exec, exec, s[8:9]
	s_and_b64 s[4:5], s[4:5], exec
	s_or_saveexec_b64 s[6:7], s[6:7]
	v_mov_b32_e32 v8, s10
	s_xor_b64 exec, exec, s[6:7]
	s_cbranch_execz .LBB3_1914
.LBB3_3964:
	v_mov_b32_e32 v8, 0
	v_cmp_ne_u16_sdwa s[8:9], v15, v8 src0_sel:BYTE_3 src1_sel:DWORD
	s_andn2_b64 s[4:5], s[4:5], exec
	s_and_b64 s[8:9], s[8:9], exec
	s_or_b64 s[4:5], s[4:5], s[8:9]
	s_or_b64 exec, exec, s[6:7]
	s_and_saveexec_b64 s[6:7], s[4:5]
	s_cbranch_execnz .LBB3_1915
	s_branch .LBB3_1916
.LBB3_3965:
	s_movk_i32 s4, 0x80
	v_cmp_eq_u16_sdwa s[12:13], v11, s4 src0_sel:BYTE_3 src1_sel:DWORD
	s_mov_b64 s[4:5], -1
                                        ; implicit-def: $sgpr10
	s_and_saveexec_b64 s[8:9], s[12:13]
; %bb.3966:
	s_mov_b32 s10, 0x7f800001
	s_xor_b64 s[4:5], exec, -1
; %bb.3967:
	s_or_b64 exec, exec, s[8:9]
	s_and_b64 s[4:5], s[4:5], exec
	s_or_saveexec_b64 s[6:7], s[6:7]
	v_mov_b32_e32 v9, s10
	s_xor_b64 exec, exec, s[6:7]
	s_cbranch_execz .LBB3_1918
.LBB3_3968:
	v_mov_b32_e32 v9, 0
	v_cmp_ne_u16_sdwa s[8:9], v11, v9 src0_sel:BYTE_3 src1_sel:DWORD
	s_andn2_b64 s[4:5], s[4:5], exec
	s_and_b64 s[8:9], s[8:9], exec
	s_or_b64 s[4:5], s[4:5], s[8:9]
	s_or_b64 exec, exec, s[6:7]
	s_and_saveexec_b64 s[6:7], s[4:5]
	s_cbranch_execnz .LBB3_1919
	s_branch .LBB3_1920
.LBB3_3969:
	s_movk_i32 s4, 0x80
	v_cmp_eq_u16_sdwa s[12:13], v4, s4 src0_sel:BYTE_0 src1_sel:DWORD
	s_mov_b64 s[4:5], -1
                                        ; implicit-def: $sgpr10
	s_and_saveexec_b64 s[8:9], s[12:13]
; %bb.3970:
	s_mov_b32 s10, 0x7f800001
	s_xor_b64 s[4:5], exec, -1
; %bb.3971:
	s_or_b64 exec, exec, s[8:9]
	s_and_b64 s[4:5], s[4:5], exec
	s_or_saveexec_b64 s[6:7], s[6:7]
	v_mov_b32_e32 v8, s10
	s_xor_b64 exec, exec, s[6:7]
	s_cbranch_execz .LBB3_1922
.LBB3_3972:
	v_mov_b32_e32 v8, 0
	v_cmp_ne_u16_sdwa s[8:9], v4, v8 src0_sel:BYTE_0 src1_sel:DWORD
	s_andn2_b64 s[4:5], s[4:5], exec
	s_and_b64 s[8:9], s[8:9], exec
	s_or_b64 s[4:5], s[4:5], s[8:9]
	s_or_b64 exec, exec, s[6:7]
	s_and_saveexec_b64 s[6:7], s[4:5]
	s_cbranch_execnz .LBB3_1923
	s_branch .LBB3_1924
.LBB3_3973:
	s_movk_i32 s4, 0x80
	v_cmp_eq_u16_sdwa s[12:13], v0, s4 src0_sel:BYTE_0 src1_sel:DWORD
	s_mov_b64 s[4:5], -1
                                        ; implicit-def: $sgpr10
	s_and_saveexec_b64 s[8:9], s[12:13]
; %bb.3974:
	s_mov_b32 s10, 0x7f800001
	s_xor_b64 s[4:5], exec, -1
; %bb.3975:
	s_or_b64 exec, exec, s[8:9]
	s_and_b64 s[4:5], s[4:5], exec
	s_or_saveexec_b64 s[6:7], s[6:7]
	v_mov_b32_e32 v9, s10
	s_xor_b64 exec, exec, s[6:7]
	s_cbranch_execz .LBB3_1926
.LBB3_3976:
	v_mov_b32_e32 v9, 0
	v_cmp_ne_u16_sdwa s[8:9], v0, v9 src0_sel:BYTE_0 src1_sel:DWORD
	s_andn2_b64 s[4:5], s[4:5], exec
	s_and_b64 s[8:9], s[8:9], exec
	s_or_b64 s[4:5], s[4:5], s[8:9]
	s_or_b64 exec, exec, s[6:7]
	s_and_saveexec_b64 s[6:7], s[4:5]
	s_cbranch_execnz .LBB3_1927
	s_branch .LBB3_1928
.LBB3_3977:
	s_movk_i32 s4, 0x80
	v_cmp_eq_u16_sdwa s[12:13], v9, s4 src0_sel:BYTE_0 src1_sel:DWORD
	s_mov_b64 s[4:5], -1
                                        ; implicit-def: $sgpr10
	s_and_saveexec_b64 s[8:9], s[12:13]
; %bb.3978:
	s_mov_b32 s10, 0x7f800001
	s_xor_b64 s[4:5], exec, -1
; %bb.3979:
	s_or_b64 exec, exec, s[8:9]
	s_and_b64 s[4:5], s[4:5], exec
	s_or_saveexec_b64 s[6:7], s[6:7]
	v_mov_b32_e32 v8, s10
	s_xor_b64 exec, exec, s[6:7]
	s_cbranch_execz .LBB3_1930
.LBB3_3980:
	v_mov_b32_e32 v8, 0
	v_cmp_ne_u16_sdwa s[8:9], v9, v8 src0_sel:BYTE_0 src1_sel:DWORD
	s_andn2_b64 s[4:5], s[4:5], exec
	s_and_b64 s[8:9], s[8:9], exec
	s_or_b64 s[4:5], s[4:5], s[8:9]
	s_or_b64 exec, exec, s[6:7]
	s_and_saveexec_b64 s[6:7], s[4:5]
	s_cbranch_execnz .LBB3_1931
	s_branch .LBB3_1932
.LBB3_3981:
	s_movk_i32 s4, 0x80
	v_cmp_eq_u16_sdwa s[12:13], v9, s4 src0_sel:BYTE_0 src1_sel:DWORD
	s_mov_b64 s[4:5], -1
                                        ; implicit-def: $sgpr10
	s_and_saveexec_b64 s[8:9], s[12:13]
; %bb.3982:
	s_mov_b32 s10, 0x7f800001
	s_xor_b64 s[4:5], exec, -1
; %bb.3983:
	s_or_b64 exec, exec, s[8:9]
	s_and_b64 s[4:5], s[4:5], exec
	s_or_saveexec_b64 s[6:7], s[6:7]
	v_mov_b32_e32 v10, s10
	s_xor_b64 exec, exec, s[6:7]
	s_cbranch_execz .LBB3_1934
.LBB3_3984:
	v_mov_b32_e32 v10, 0
	v_cmp_ne_u16_sdwa s[8:9], v9, v10 src0_sel:BYTE_0 src1_sel:DWORD
	s_andn2_b64 s[4:5], s[4:5], exec
	s_and_b64 s[8:9], s[8:9], exec
	s_or_b64 s[4:5], s[4:5], s[8:9]
	s_or_b64 exec, exec, s[6:7]
	s_and_saveexec_b64 s[6:7], s[4:5]
	s_cbranch_execnz .LBB3_1935
	s_branch .LBB3_1936
.LBB3_3985:
	s_movk_i32 s4, 0x80
	v_cmp_eq_u16_e32 vcc, s4, v9
	s_mov_b64 s[4:5], -1
                                        ; implicit-def: $sgpr10
	s_and_saveexec_b64 s[8:9], vcc
; %bb.3986:
	s_mov_b32 s10, 0x7f800001
	s_xor_b64 s[4:5], exec, -1
; %bb.3987:
	s_or_b64 exec, exec, s[8:9]
	s_and_b64 s[4:5], s[4:5], exec
                                        ; implicit-def: $vgpr9
	s_or_saveexec_b64 s[6:7], s[6:7]
	v_mov_b32_e32 v8, s10
	s_xor_b64 exec, exec, s[6:7]
	s_cbranch_execz .LBB3_1938
.LBB3_3988:
	v_cmp_ne_u16_e32 vcc, 0, v9
	s_andn2_b64 s[4:5], s[4:5], exec
	s_and_b64 s[8:9], vcc, exec
	v_mov_b32_e32 v8, 0
	s_or_b64 s[4:5], s[4:5], s[8:9]
	s_or_b64 exec, exec, s[6:7]
	s_and_saveexec_b64 s[6:7], s[4:5]
	s_cbranch_execnz .LBB3_1939
	s_branch .LBB3_1940
.LBB3_3989:
	s_movk_i32 s4, 0x80
	v_cmp_eq_u16_e32 vcc, s4, v9
	s_mov_b64 s[4:5], -1
                                        ; implicit-def: $sgpr10
	s_and_saveexec_b64 s[8:9], vcc
; %bb.3990:
	s_mov_b32 s10, 0x7f800001
	s_xor_b64 s[4:5], exec, -1
; %bb.3991:
	s_or_b64 exec, exec, s[8:9]
	s_and_b64 s[4:5], s[4:5], exec
                                        ; implicit-def: $vgpr9
	s_or_saveexec_b64 s[6:7], s[6:7]
	v_mov_b32_e32 v10, s10
	s_xor_b64 exec, exec, s[6:7]
	s_cbranch_execz .LBB3_1942
.LBB3_3992:
	v_cmp_ne_u16_e32 vcc, 0, v9
	s_andn2_b64 s[4:5], s[4:5], exec
	s_and_b64 s[8:9], vcc, exec
	v_mov_b32_e32 v10, 0
	s_or_b64 s[4:5], s[4:5], s[8:9]
	s_or_b64 exec, exec, s[6:7]
	s_and_saveexec_b64 s[6:7], s[4:5]
	s_cbranch_execnz .LBB3_1943
	s_branch .LBB3_1944
.LBB3_3993:
	s_movk_i32 s4, 0x80
	v_cmp_eq_u16_sdwa s[12:13], v4, s4 src0_sel:BYTE_3 src1_sel:DWORD
	s_mov_b64 s[4:5], -1
                                        ; implicit-def: $sgpr10
	s_and_saveexec_b64 s[8:9], s[12:13]
; %bb.3994:
	s_mov_b32 s10, 0x7f800001
	s_xor_b64 s[4:5], exec, -1
; %bb.3995:
	s_or_b64 exec, exec, s[8:9]
	s_and_b64 s[4:5], s[4:5], exec
	s_or_saveexec_b64 s[6:7], s[6:7]
	v_mov_b32_e32 v8, s10
	s_xor_b64 exec, exec, s[6:7]
	s_cbranch_execz .LBB3_1946
.LBB3_3996:
	v_mov_b32_e32 v8, 0
	v_cmp_ne_u16_sdwa s[8:9], v4, v8 src0_sel:BYTE_3 src1_sel:DWORD
	s_andn2_b64 s[4:5], s[4:5], exec
	s_and_b64 s[8:9], s[8:9], exec
	s_or_b64 s[4:5], s[4:5], s[8:9]
	s_or_b64 exec, exec, s[6:7]
	s_and_saveexec_b64 s[6:7], s[4:5]
	s_cbranch_execnz .LBB3_1947
	s_branch .LBB3_1948
.LBB3_3997:
	s_movk_i32 s4, 0x80
	v_cmp_eq_u16_sdwa s[12:13], v0, s4 src0_sel:BYTE_3 src1_sel:DWORD
	s_mov_b64 s[4:5], -1
                                        ; implicit-def: $sgpr10
	s_and_saveexec_b64 s[8:9], s[12:13]
; %bb.3998:
	s_mov_b32 s10, 0x7f800001
	s_xor_b64 s[4:5], exec, -1
; %bb.3999:
	s_or_b64 exec, exec, s[8:9]
	s_and_b64 s[4:5], s[4:5], exec
	s_or_saveexec_b64 s[6:7], s[6:7]
	v_mov_b32_e32 v4, s10
	s_xor_b64 exec, exec, s[6:7]
	s_cbranch_execz .LBB3_1950
.LBB3_4000:
	v_mov_b32_e32 v4, 0
	v_cmp_ne_u16_sdwa s[8:9], v0, v4 src0_sel:BYTE_3 src1_sel:DWORD
	s_andn2_b64 s[4:5], s[4:5], exec
	s_and_b64 s[8:9], s[8:9], exec
	s_or_b64 s[4:5], s[4:5], s[8:9]
	s_or_b64 exec, exec, s[6:7]
	s_and_saveexec_b64 s[6:7], s[4:5]
	s_cbranch_execnz .LBB3_1951
	s_branch .LBB3_1952
.LBB3_4001:
	s_movk_i32 s4, 0x80
	v_cmp_eq_u16_sdwa s[12:13], v5, s4 src0_sel:BYTE_0 src1_sel:DWORD
	s_mov_b64 s[4:5], -1
                                        ; implicit-def: $sgpr10
	s_and_saveexec_b64 s[8:9], s[12:13]
; %bb.4002:
	s_mov_b32 s10, 0x7f800001
	s_xor_b64 s[4:5], exec, -1
; %bb.4003:
	s_or_b64 exec, exec, s[8:9]
	s_and_b64 s[4:5], s[4:5], exec
	s_or_saveexec_b64 s[6:7], s[6:7]
	v_mov_b32_e32 v0, s10
	s_xor_b64 exec, exec, s[6:7]
	s_cbranch_execz .LBB3_1954
.LBB3_4004:
	v_mov_b32_e32 v0, 0
	v_cmp_ne_u16_sdwa s[8:9], v5, v0 src0_sel:BYTE_0 src1_sel:DWORD
	s_andn2_b64 s[4:5], s[4:5], exec
	s_and_b64 s[8:9], s[8:9], exec
	s_or_b64 s[4:5], s[4:5], s[8:9]
	s_or_b64 exec, exec, s[6:7]
	s_and_saveexec_b64 s[6:7], s[4:5]
	s_cbranch_execnz .LBB3_1955
	s_branch .LBB3_1956
.LBB3_4005:
	s_movk_i32 s4, 0x80
	v_cmp_eq_u16_sdwa s[12:13], v1, s4 src0_sel:BYTE_0 src1_sel:DWORD
	s_mov_b64 s[4:5], -1
                                        ; implicit-def: $sgpr10
	s_and_saveexec_b64 s[8:9], s[12:13]
; %bb.4006:
	s_mov_b32 s10, 0x7f800001
	s_xor_b64 s[4:5], exec, -1
; %bb.4007:
	s_or_b64 exec, exec, s[8:9]
	s_and_b64 s[4:5], s[4:5], exec
	s_or_saveexec_b64 s[6:7], s[6:7]
	v_mov_b32_e32 v4, s10
	s_xor_b64 exec, exec, s[6:7]
	s_cbranch_execz .LBB3_1958
.LBB3_4008:
	v_mov_b32_e32 v4, 0
	v_cmp_ne_u16_sdwa s[8:9], v1, v4 src0_sel:BYTE_0 src1_sel:DWORD
	s_andn2_b64 s[4:5], s[4:5], exec
	s_and_b64 s[8:9], s[8:9], exec
	s_or_b64 s[4:5], s[4:5], s[8:9]
	s_or_b64 exec, exec, s[6:7]
	s_and_saveexec_b64 s[6:7], s[4:5]
	s_cbranch_execnz .LBB3_1959
	s_branch .LBB3_1960
.LBB3_4009:
	s_movk_i32 s4, 0x80
	v_cmp_eq_u16_sdwa s[12:13], v4, s4 src0_sel:BYTE_0 src1_sel:DWORD
	s_mov_b64 s[4:5], -1
                                        ; implicit-def: $sgpr10
	s_and_saveexec_b64 s[8:9], s[12:13]
; %bb.4010:
	s_mov_b32 s10, 0x7f800001
	s_xor_b64 s[4:5], exec, -1
; %bb.4011:
	s_or_b64 exec, exec, s[8:9]
	s_and_b64 s[4:5], s[4:5], exec
	s_or_saveexec_b64 s[6:7], s[6:7]
	v_mov_b32_e32 v0, s10
	s_xor_b64 exec, exec, s[6:7]
	s_cbranch_execz .LBB3_1962
.LBB3_4012:
	v_mov_b32_e32 v0, 0
	v_cmp_ne_u16_sdwa s[8:9], v4, v0 src0_sel:BYTE_0 src1_sel:DWORD
	s_andn2_b64 s[4:5], s[4:5], exec
	s_and_b64 s[8:9], s[8:9], exec
	s_or_b64 s[4:5], s[4:5], s[8:9]
	s_or_b64 exec, exec, s[6:7]
	s_and_saveexec_b64 s[6:7], s[4:5]
	s_cbranch_execnz .LBB3_1963
	s_branch .LBB3_1964
.LBB3_4013:
	s_movk_i32 s4, 0x80
	v_cmp_eq_u16_sdwa s[12:13], v4, s4 src0_sel:BYTE_0 src1_sel:DWORD
	s_mov_b64 s[4:5], -1
                                        ; implicit-def: $sgpr10
	s_and_saveexec_b64 s[8:9], s[12:13]
; %bb.4014:
	s_mov_b32 s10, 0x7f800001
	s_xor_b64 s[4:5], exec, -1
; %bb.4015:
	s_or_b64 exec, exec, s[8:9]
	s_and_b64 s[4:5], s[4:5], exec
	s_or_saveexec_b64 s[6:7], s[6:7]
	v_mov_b32_e32 v8, s10
	s_xor_b64 exec, exec, s[6:7]
	s_cbranch_execz .LBB3_1966
.LBB3_4016:
	v_mov_b32_e32 v8, 0
	v_cmp_ne_u16_sdwa s[8:9], v4, v8 src0_sel:BYTE_0 src1_sel:DWORD
	s_andn2_b64 s[4:5], s[4:5], exec
	s_and_b64 s[8:9], s[8:9], exec
	s_or_b64 s[4:5], s[4:5], s[8:9]
	s_or_b64 exec, exec, s[6:7]
	s_and_saveexec_b64 s[6:7], s[4:5]
	s_cbranch_execnz .LBB3_1967
	s_branch .LBB3_1968
.LBB3_4017:
	s_movk_i32 s4, 0x80
	v_cmp_eq_u16_e32 vcc, s4, v4
	s_mov_b64 s[4:5], -1
                                        ; implicit-def: $sgpr10
	s_and_saveexec_b64 s[8:9], vcc
; %bb.4018:
	s_mov_b32 s10, 0x7f800001
	s_xor_b64 s[4:5], exec, -1
; %bb.4019:
	s_or_b64 exec, exec, s[8:9]
	s_and_b64 s[4:5], s[4:5], exec
                                        ; implicit-def: $vgpr4
	s_or_saveexec_b64 s[6:7], s[6:7]
	v_mov_b32_e32 v0, s10
	s_xor_b64 exec, exec, s[6:7]
	s_cbranch_execz .LBB3_1970
.LBB3_4020:
	v_cmp_ne_u16_e32 vcc, 0, v4
	s_andn2_b64 s[4:5], s[4:5], exec
	s_and_b64 s[8:9], vcc, exec
	v_mov_b32_e32 v0, 0
	s_or_b64 s[4:5], s[4:5], s[8:9]
	s_or_b64 exec, exec, s[6:7]
	s_and_saveexec_b64 s[6:7], s[4:5]
	s_cbranch_execnz .LBB3_1971
	s_branch .LBB3_1972
.LBB3_4021:
	s_movk_i32 s4, 0x80
	v_cmp_eq_u16_e32 vcc, s4, v4
	s_mov_b64 s[4:5], -1
                                        ; implicit-def: $sgpr10
	s_and_saveexec_b64 s[8:9], vcc
; %bb.4022:
	s_mov_b32 s10, 0x7f800001
	s_xor_b64 s[4:5], exec, -1
; %bb.4023:
	s_or_b64 exec, exec, s[8:9]
	s_and_b64 s[4:5], s[4:5], exec
                                        ; implicit-def: $vgpr4
	s_or_saveexec_b64 s[6:7], s[6:7]
	v_mov_b32_e32 v8, s10
	s_xor_b64 exec, exec, s[6:7]
	s_cbranch_execz .LBB3_1974
.LBB3_4024:
	v_cmp_ne_u16_e32 vcc, 0, v4
	s_andn2_b64 s[4:5], s[4:5], exec
	s_and_b64 s[8:9], vcc, exec
	v_mov_b32_e32 v8, 0
	s_or_b64 s[4:5], s[4:5], s[8:9]
	s_or_b64 exec, exec, s[6:7]
	s_and_saveexec_b64 s[6:7], s[4:5]
	s_cbranch_execnz .LBB3_1975
	s_branch .LBB3_1976
.LBB3_4025:
	s_movk_i32 s4, 0x80
	v_cmp_eq_u16_sdwa s[12:13], v5, s4 src0_sel:BYTE_3 src1_sel:DWORD
	s_mov_b64 s[4:5], -1
                                        ; implicit-def: $sgpr10
	s_and_saveexec_b64 s[8:9], s[12:13]
; %bb.4026:
	s_mov_b32 s10, 0x7f800001
	s_xor_b64 s[4:5], exec, -1
; %bb.4027:
	s_or_b64 exec, exec, s[8:9]
	s_and_b64 s[4:5], s[4:5], exec
	s_or_saveexec_b64 s[6:7], s[6:7]
	v_mov_b32_e32 v0, s10
	s_xor_b64 exec, exec, s[6:7]
	s_cbranch_execz .LBB3_1978
.LBB3_4028:
	v_mov_b32_e32 v0, 0
	v_cmp_ne_u16_sdwa s[8:9], v5, v0 src0_sel:BYTE_3 src1_sel:DWORD
	s_andn2_b64 s[4:5], s[4:5], exec
	s_and_b64 s[8:9], s[8:9], exec
	s_or_b64 s[4:5], s[4:5], s[8:9]
	s_or_b64 exec, exec, s[6:7]
	s_and_saveexec_b64 s[6:7], s[4:5]
	s_cbranch_execnz .LBB3_1979
	s_branch .LBB3_1980
.LBB3_4029:
	s_movk_i32 s4, 0x80
	v_cmp_eq_u16_sdwa s[12:13], v1, s4 src0_sel:BYTE_3 src1_sel:DWORD
	s_mov_b64 s[4:5], -1
                                        ; implicit-def: $sgpr10
	s_and_saveexec_b64 s[8:9], s[12:13]
; %bb.4030:
	s_mov_b32 s10, 0x7f800001
	s_xor_b64 s[4:5], exec, -1
; %bb.4031:
	s_or_b64 exec, exec, s[8:9]
	s_and_b64 s[4:5], s[4:5], exec
	s_or_saveexec_b64 s[6:7], s[6:7]
	v_mov_b32_e32 v4, s10
	s_xor_b64 exec, exec, s[6:7]
	s_cbranch_execz .LBB3_1982
.LBB3_4032:
	v_mov_b32_e32 v4, 0
	v_cmp_ne_u16_sdwa s[8:9], v1, v4 src0_sel:BYTE_3 src1_sel:DWORD
	s_andn2_b64 s[4:5], s[4:5], exec
	s_and_b64 s[8:9], s[8:9], exec
	s_or_b64 s[4:5], s[4:5], s[8:9]
	s_or_b64 exec, exec, s[6:7]
	s_and_saveexec_b64 s[6:7], s[4:5]
	s_cbranch_execnz .LBB3_1983
	s_branch .LBB3_1984
.LBB3_4033:
	s_movk_i32 s4, 0x80
	v_cmp_eq_u16_sdwa s[12:13], v6, s4 src0_sel:BYTE_0 src1_sel:DWORD
	s_mov_b64 s[4:5], -1
                                        ; implicit-def: $sgpr10
	s_and_saveexec_b64 s[8:9], s[12:13]
; %bb.4034:
	s_mov_b32 s10, 0x7f800001
	s_xor_b64 s[4:5], exec, -1
; %bb.4035:
	s_or_b64 exec, exec, s[8:9]
	s_and_b64 s[4:5], s[4:5], exec
	s_or_saveexec_b64 s[6:7], s[6:7]
	v_mov_b32_e32 v0, s10
	s_xor_b64 exec, exec, s[6:7]
	s_cbranch_execz .LBB3_1986
.LBB3_4036:
	v_mov_b32_e32 v0, 0
	v_cmp_ne_u16_sdwa s[8:9], v6, v0 src0_sel:BYTE_0 src1_sel:DWORD
	s_andn2_b64 s[4:5], s[4:5], exec
	s_and_b64 s[8:9], s[8:9], exec
	s_or_b64 s[4:5], s[4:5], s[8:9]
	s_or_b64 exec, exec, s[6:7]
	s_and_saveexec_b64 s[6:7], s[4:5]
	s_cbranch_execnz .LBB3_1987
	s_branch .LBB3_1988
.LBB3_4037:
	s_movk_i32 s4, 0x80
	v_cmp_eq_u16_sdwa s[12:13], v2, s4 src0_sel:BYTE_0 src1_sel:DWORD
	s_mov_b64 s[4:5], -1
                                        ; implicit-def: $sgpr10
	s_and_saveexec_b64 s[8:9], s[12:13]
; %bb.4038:
	s_mov_b32 s10, 0x7f800001
	s_xor_b64 s[4:5], exec, -1
; %bb.4039:
	s_or_b64 exec, exec, s[8:9]
	s_and_b64 s[4:5], s[4:5], exec
	s_or_saveexec_b64 s[6:7], s[6:7]
	v_mov_b32_e32 v1, s10
	s_xor_b64 exec, exec, s[6:7]
	s_cbranch_execz .LBB3_1990
.LBB3_4040:
	v_mov_b32_e32 v1, 0
	v_cmp_ne_u16_sdwa s[8:9], v2, v1 src0_sel:BYTE_0 src1_sel:DWORD
	s_andn2_b64 s[4:5], s[4:5], exec
	s_and_b64 s[8:9], s[8:9], exec
	s_or_b64 s[4:5], s[4:5], s[8:9]
	s_or_b64 exec, exec, s[6:7]
	s_and_saveexec_b64 s[6:7], s[4:5]
	s_cbranch_execnz .LBB3_1991
	s_branch .LBB3_1992
.LBB3_4041:
	s_movk_i32 s4, 0x80
	v_cmp_eq_u16_sdwa s[12:13], v1, s4 src0_sel:BYTE_0 src1_sel:DWORD
	s_mov_b64 s[4:5], -1
                                        ; implicit-def: $sgpr10
	s_and_saveexec_b64 s[8:9], s[12:13]
; %bb.4042:
	s_mov_b32 s10, 0x7f800001
	s_xor_b64 s[4:5], exec, -1
; %bb.4043:
	s_or_b64 exec, exec, s[8:9]
	s_and_b64 s[4:5], s[4:5], exec
	s_or_saveexec_b64 s[6:7], s[6:7]
	v_mov_b32_e32 v0, s10
	s_xor_b64 exec, exec, s[6:7]
	s_cbranch_execz .LBB3_1994
.LBB3_4044:
	v_mov_b32_e32 v0, 0
	v_cmp_ne_u16_sdwa s[8:9], v1, v0 src0_sel:BYTE_0 src1_sel:DWORD
	s_andn2_b64 s[4:5], s[4:5], exec
	s_and_b64 s[8:9], s[8:9], exec
	s_or_b64 s[4:5], s[4:5], s[8:9]
	s_or_b64 exec, exec, s[6:7]
	s_and_saveexec_b64 s[6:7], s[4:5]
	s_cbranch_execnz .LBB3_1995
	s_branch .LBB3_1996
.LBB3_4045:
	s_movk_i32 s4, 0x80
	v_cmp_eq_u16_sdwa s[12:13], v1, s4 src0_sel:BYTE_0 src1_sel:DWORD
	s_mov_b64 s[4:5], -1
                                        ; implicit-def: $sgpr10
	s_and_saveexec_b64 s[8:9], s[12:13]
; %bb.4046:
	s_mov_b32 s10, 0x7f800001
	s_xor_b64 s[4:5], exec, -1
; %bb.4047:
	s_or_b64 exec, exec, s[8:9]
	s_and_b64 s[4:5], s[4:5], exec
	s_or_saveexec_b64 s[6:7], s[6:7]
	v_mov_b32_e32 v4, s10
	s_xor_b64 exec, exec, s[6:7]
	s_cbranch_execz .LBB3_1998
.LBB3_4048:
	v_mov_b32_e32 v4, 0
	v_cmp_ne_u16_sdwa s[8:9], v1, v4 src0_sel:BYTE_0 src1_sel:DWORD
	s_andn2_b64 s[4:5], s[4:5], exec
	s_and_b64 s[8:9], s[8:9], exec
	s_or_b64 s[4:5], s[4:5], s[8:9]
	s_or_b64 exec, exec, s[6:7]
	s_and_saveexec_b64 s[6:7], s[4:5]
	s_cbranch_execnz .LBB3_1999
	s_branch .LBB3_2000
.LBB3_4049:
	s_movk_i32 s4, 0x80
	v_cmp_eq_u16_e32 vcc, s4, v1
	s_mov_b64 s[4:5], -1
                                        ; implicit-def: $sgpr10
	s_and_saveexec_b64 s[8:9], vcc
; %bb.4050:
	s_mov_b32 s10, 0x7f800001
	s_xor_b64 s[4:5], exec, -1
; %bb.4051:
	s_or_b64 exec, exec, s[8:9]
	s_and_b64 s[4:5], s[4:5], exec
                                        ; implicit-def: $vgpr1
	s_or_saveexec_b64 s[6:7], s[6:7]
	v_mov_b32_e32 v0, s10
	s_xor_b64 exec, exec, s[6:7]
	s_cbranch_execz .LBB3_2002
.LBB3_4052:
	v_cmp_ne_u16_e32 vcc, 0, v1
	s_andn2_b64 s[4:5], s[4:5], exec
	s_and_b64 s[8:9], vcc, exec
	v_mov_b32_e32 v0, 0
	s_or_b64 s[4:5], s[4:5], s[8:9]
	s_or_b64 exec, exec, s[6:7]
	s_and_saveexec_b64 s[6:7], s[4:5]
	s_cbranch_execnz .LBB3_2003
	s_branch .LBB3_2004
.LBB3_4053:
	s_movk_i32 s4, 0x80
	v_cmp_eq_u16_e32 vcc, s4, v1
	s_mov_b64 s[4:5], -1
                                        ; implicit-def: $sgpr10
	s_and_saveexec_b64 s[8:9], vcc
; %bb.4054:
	s_mov_b32 s10, 0x7f800001
	s_xor_b64 s[4:5], exec, -1
; %bb.4055:
	s_or_b64 exec, exec, s[8:9]
	s_and_b64 s[4:5], s[4:5], exec
                                        ; implicit-def: $vgpr1
	s_or_saveexec_b64 s[6:7], s[6:7]
	v_mov_b32_e32 v4, s10
	s_xor_b64 exec, exec, s[6:7]
	s_cbranch_execz .LBB3_2006
.LBB3_4056:
	v_cmp_ne_u16_e32 vcc, 0, v1
	s_andn2_b64 s[4:5], s[4:5], exec
	s_and_b64 s[8:9], vcc, exec
	v_mov_b32_e32 v4, 0
	s_or_b64 s[4:5], s[4:5], s[8:9]
	s_or_b64 exec, exec, s[6:7]
	s_and_saveexec_b64 s[6:7], s[4:5]
	s_cbranch_execnz .LBB3_2007
	s_branch .LBB3_2008
.LBB3_4057:
	s_movk_i32 s4, 0x80
	v_cmp_eq_u16_sdwa s[12:13], v6, s4 src0_sel:BYTE_3 src1_sel:DWORD
	s_mov_b64 s[4:5], -1
                                        ; implicit-def: $sgpr10
	s_and_saveexec_b64 s[8:9], s[12:13]
; %bb.4058:
	s_mov_b32 s10, 0x7f800001
	s_xor_b64 s[4:5], exec, -1
; %bb.4059:
	s_or_b64 exec, exec, s[8:9]
	s_and_b64 s[4:5], s[4:5], exec
	s_or_saveexec_b64 s[6:7], s[6:7]
	v_mov_b32_e32 v0, s10
	s_xor_b64 exec, exec, s[6:7]
	s_cbranch_execz .LBB3_2010
.LBB3_4060:
	v_mov_b32_e32 v0, 0
	v_cmp_ne_u16_sdwa s[8:9], v6, v0 src0_sel:BYTE_3 src1_sel:DWORD
	s_andn2_b64 s[4:5], s[4:5], exec
	s_and_b64 s[8:9], s[8:9], exec
	s_or_b64 s[4:5], s[4:5], s[8:9]
	s_or_b64 exec, exec, s[6:7]
	s_and_saveexec_b64 s[6:7], s[4:5]
	s_cbranch_execnz .LBB3_2011
	s_branch .LBB3_2012
.LBB3_4061:
	s_movk_i32 s4, 0x80
	v_cmp_eq_u16_sdwa s[12:13], v2, s4 src0_sel:BYTE_3 src1_sel:DWORD
	s_mov_b64 s[4:5], -1
                                        ; implicit-def: $sgpr10
	s_and_saveexec_b64 s[8:9], s[12:13]
; %bb.4062:
	s_mov_b32 s10, 0x7f800001
	s_xor_b64 s[4:5], exec, -1
; %bb.4063:
	s_or_b64 exec, exec, s[8:9]
	s_and_b64 s[4:5], s[4:5], exec
	s_or_saveexec_b64 s[6:7], s[6:7]
	v_mov_b32_e32 v1, s10
	s_xor_b64 exec, exec, s[6:7]
	s_cbranch_execz .LBB3_2014
.LBB3_4064:
	v_mov_b32_e32 v1, 0
	v_cmp_ne_u16_sdwa s[8:9], v2, v1 src0_sel:BYTE_3 src1_sel:DWORD
	s_andn2_b64 s[4:5], s[4:5], exec
	s_and_b64 s[8:9], s[8:9], exec
	s_or_b64 s[4:5], s[4:5], s[8:9]
	s_or_b64 exec, exec, s[6:7]
	s_and_saveexec_b64 s[6:7], s[4:5]
	s_cbranch_execnz .LBB3_2015
	s_branch .LBB3_2016
.LBB3_4065:
	s_movk_i32 s4, 0x80
	v_cmp_eq_u16_sdwa s[12:13], v7, s4 src0_sel:BYTE_0 src1_sel:DWORD
	s_mov_b64 s[4:5], -1
                                        ; implicit-def: $sgpr10
	s_and_saveexec_b64 s[8:9], s[12:13]
; %bb.4066:
	s_mov_b32 s10, 0x7f800001
	s_xor_b64 s[4:5], exec, -1
; %bb.4067:
	s_or_b64 exec, exec, s[8:9]
	s_and_b64 s[4:5], s[4:5], exec
	s_or_saveexec_b64 s[6:7], s[6:7]
	v_mov_b32_e32 v0, s10
	s_xor_b64 exec, exec, s[6:7]
	s_cbranch_execz .LBB3_2018
.LBB3_4068:
	v_mov_b32_e32 v0, 0
	v_cmp_ne_u16_sdwa s[8:9], v7, v0 src0_sel:BYTE_0 src1_sel:DWORD
	s_andn2_b64 s[4:5], s[4:5], exec
	s_and_b64 s[8:9], s[8:9], exec
	s_or_b64 s[4:5], s[4:5], s[8:9]
	s_or_b64 exec, exec, s[6:7]
	s_and_saveexec_b64 s[6:7], s[4:5]
	s_cbranch_execnz .LBB3_2019
	s_branch .LBB3_2020
.LBB3_4069:
	s_movk_i32 s4, 0x80
	v_cmp_eq_u16_sdwa s[12:13], v3, s4 src0_sel:BYTE_0 src1_sel:DWORD
	s_mov_b64 s[4:5], -1
                                        ; implicit-def: $sgpr10
	s_and_saveexec_b64 s[8:9], s[12:13]
; %bb.4070:
	s_mov_b32 s10, 0x7f800001
	s_xor_b64 s[4:5], exec, -1
; %bb.4071:
	s_or_b64 exec, exec, s[8:9]
	s_and_b64 s[4:5], s[4:5], exec
	s_or_saveexec_b64 s[6:7], s[6:7]
	v_mov_b32_e32 v1, s10
	s_xor_b64 exec, exec, s[6:7]
	s_cbranch_execz .LBB3_2022
.LBB3_4072:
	v_mov_b32_e32 v1, 0
	v_cmp_ne_u16_sdwa s[8:9], v3, v1 src0_sel:BYTE_0 src1_sel:DWORD
	s_andn2_b64 s[4:5], s[4:5], exec
	s_and_b64 s[8:9], s[8:9], exec
	s_or_b64 s[4:5], s[4:5], s[8:9]
	s_or_b64 exec, exec, s[6:7]
	s_and_saveexec_b64 s[6:7], s[4:5]
	s_cbranch_execnz .LBB3_2023
	s_branch .LBB3_2024
.LBB3_4073:
	s_movk_i32 s4, 0x80
	v_cmp_eq_u16_sdwa s[12:13], v1, s4 src0_sel:BYTE_0 src1_sel:DWORD
	s_mov_b64 s[4:5], -1
                                        ; implicit-def: $sgpr10
	s_and_saveexec_b64 s[8:9], s[12:13]
; %bb.4074:
	s_mov_b32 s10, 0x7f800001
	s_xor_b64 s[4:5], exec, -1
; %bb.4075:
	s_or_b64 exec, exec, s[8:9]
	s_and_b64 s[4:5], s[4:5], exec
	s_or_saveexec_b64 s[6:7], s[6:7]
	v_mov_b32_e32 v0, s10
	s_xor_b64 exec, exec, s[6:7]
	s_cbranch_execz .LBB3_2026
.LBB3_4076:
	v_mov_b32_e32 v0, 0
	v_cmp_ne_u16_sdwa s[8:9], v1, v0 src0_sel:BYTE_0 src1_sel:DWORD
	s_andn2_b64 s[4:5], s[4:5], exec
	s_and_b64 s[8:9], s[8:9], exec
	s_or_b64 s[4:5], s[4:5], s[8:9]
	s_or_b64 exec, exec, s[6:7]
	s_and_saveexec_b64 s[6:7], s[4:5]
	s_cbranch_execnz .LBB3_2027
	s_branch .LBB3_2028
.LBB3_4077:
	s_movk_i32 s4, 0x80
	v_cmp_eq_u16_sdwa s[12:13], v1, s4 src0_sel:BYTE_0 src1_sel:DWORD
	s_mov_b64 s[4:5], -1
                                        ; implicit-def: $sgpr10
	s_and_saveexec_b64 s[8:9], s[12:13]
; %bb.4078:
	s_mov_b32 s10, 0x7f800001
	s_xor_b64 s[4:5], exec, -1
; %bb.4079:
	s_or_b64 exec, exec, s[8:9]
	s_and_b64 s[4:5], s[4:5], exec
	s_or_saveexec_b64 s[6:7], s[6:7]
	v_mov_b32_e32 v2, s10
	s_xor_b64 exec, exec, s[6:7]
	s_cbranch_execz .LBB3_2030
.LBB3_4080:
	v_mov_b32_e32 v2, 0
	v_cmp_ne_u16_sdwa s[8:9], v1, v2 src0_sel:BYTE_0 src1_sel:DWORD
	s_andn2_b64 s[4:5], s[4:5], exec
	s_and_b64 s[8:9], s[8:9], exec
	s_or_b64 s[4:5], s[4:5], s[8:9]
	s_or_b64 exec, exec, s[6:7]
	s_and_saveexec_b64 s[6:7], s[4:5]
	s_cbranch_execnz .LBB3_2031
	s_branch .LBB3_2032
.LBB3_4081:
	s_movk_i32 s4, 0x80
	v_cmp_eq_u16_e32 vcc, s4, v1
	s_mov_b64 s[4:5], -1
                                        ; implicit-def: $sgpr10
	s_and_saveexec_b64 s[8:9], vcc
; %bb.4082:
	s_mov_b32 s10, 0x7f800001
	s_xor_b64 s[4:5], exec, -1
; %bb.4083:
	s_or_b64 exec, exec, s[8:9]
	s_and_b64 s[4:5], s[4:5], exec
                                        ; implicit-def: $vgpr1
	s_or_saveexec_b64 s[6:7], s[6:7]
	v_mov_b32_e32 v0, s10
	s_xor_b64 exec, exec, s[6:7]
	s_cbranch_execz .LBB3_2034
.LBB3_4084:
	v_cmp_ne_u16_e32 vcc, 0, v1
	s_andn2_b64 s[4:5], s[4:5], exec
	s_and_b64 s[8:9], vcc, exec
	v_mov_b32_e32 v0, 0
	s_or_b64 s[4:5], s[4:5], s[8:9]
	s_or_b64 exec, exec, s[6:7]
	s_and_saveexec_b64 s[6:7], s[4:5]
	s_cbranch_execnz .LBB3_2035
	s_branch .LBB3_2036
.LBB3_4085:
	s_movk_i32 s4, 0x80
	v_cmp_eq_u16_e32 vcc, s4, v1
	s_mov_b64 s[4:5], -1
                                        ; implicit-def: $sgpr10
	s_and_saveexec_b64 s[8:9], vcc
; %bb.4086:
	s_mov_b32 s10, 0x7f800001
	s_xor_b64 s[4:5], exec, -1
; %bb.4087:
	s_or_b64 exec, exec, s[8:9]
	s_and_b64 s[4:5], s[4:5], exec
                                        ; implicit-def: $vgpr1
	s_or_saveexec_b64 s[6:7], s[6:7]
	v_mov_b32_e32 v2, s10
	s_xor_b64 exec, exec, s[6:7]
	s_cbranch_execz .LBB3_2038
.LBB3_4088:
	v_cmp_ne_u16_e32 vcc, 0, v1
	s_andn2_b64 s[4:5], s[4:5], exec
	s_and_b64 s[8:9], vcc, exec
	v_mov_b32_e32 v2, 0
	s_or_b64 s[4:5], s[4:5], s[8:9]
	s_or_b64 exec, exec, s[6:7]
	s_and_saveexec_b64 s[6:7], s[4:5]
	s_cbranch_execnz .LBB3_2039
	s_branch .LBB3_2040
.LBB3_4089:
	s_movk_i32 s4, 0x80
	v_cmp_eq_u16_sdwa s[12:13], v7, s4 src0_sel:BYTE_3 src1_sel:DWORD
	s_mov_b64 s[4:5], -1
                                        ; implicit-def: $sgpr10
	s_and_saveexec_b64 s[8:9], s[12:13]
; %bb.4090:
	s_mov_b32 s10, 0x7f800001
	s_xor_b64 s[4:5], exec, -1
; %bb.4091:
	s_or_b64 exec, exec, s[8:9]
	s_and_b64 s[4:5], s[4:5], exec
	s_or_saveexec_b64 s[6:7], s[6:7]
	v_mov_b32_e32 v0, s10
	s_xor_b64 exec, exec, s[6:7]
	s_cbranch_execz .LBB3_2042
.LBB3_4092:
	v_mov_b32_e32 v0, 0
	v_cmp_ne_u16_sdwa s[8:9], v7, v0 src0_sel:BYTE_3 src1_sel:DWORD
	s_andn2_b64 s[4:5], s[4:5], exec
	s_and_b64 s[8:9], s[8:9], exec
	s_or_b64 s[4:5], s[4:5], s[8:9]
	s_or_b64 exec, exec, s[6:7]
	s_and_saveexec_b64 s[6:7], s[4:5]
	s_cbranch_execnz .LBB3_2043
	s_branch .LBB3_2044
.LBB3_4093:
	s_movk_i32 s4, 0x80
	v_cmp_eq_u16_sdwa s[12:13], v3, s4 src0_sel:BYTE_3 src1_sel:DWORD
	s_mov_b64 s[4:5], -1
                                        ; implicit-def: $sgpr10
	s_and_saveexec_b64 s[8:9], s[12:13]
; %bb.4094:
	s_mov_b32 s10, 0x7f800001
	s_xor_b64 s[4:5], exec, -1
; %bb.4095:
	s_or_b64 exec, exec, s[8:9]
	s_and_b64 s[4:5], s[4:5], exec
	s_or_saveexec_b64 s[6:7], s[6:7]
	v_mov_b32_e32 v1, s10
	s_xor_b64 exec, exec, s[6:7]
	s_cbranch_execz .LBB3_2046
.LBB3_4096:
	v_mov_b32_e32 v1, 0
	v_cmp_ne_u16_sdwa s[8:9], v3, v1 src0_sel:BYTE_3 src1_sel:DWORD
	s_andn2_b64 s[4:5], s[4:5], exec
	s_and_b64 s[8:9], s[8:9], exec
	s_or_b64 s[4:5], s[4:5], s[8:9]
	s_or_b64 exec, exec, s[6:7]
	s_and_saveexec_b64 s[6:7], s[4:5]
	s_cbranch_execnz .LBB3_2047
	s_branch .LBB3_2048
.Lfunc_end3:
	.size	_ZNK2ck6detail7applierIiJLi0ELi1ELi2ELi3ELi4ELi5ELi6ELi7EEEclIZNKS_11static_fordINS_8SequenceIJLi1ELi8EEEENS5_IJLi0ELi1EEEEEclIZZZNKS_52BlockwiseGemmXdlops_pipeline_bpreshuffle_bdequant_v3ILNS_26BlockGemmPipelineSchedulerE0ELi256ENS_9f8_fnuz_tENS_7pk_i4_tESC_fNS_16TensorDescriptorINS_5TupleIJNS_5EmbedINSF_IJNS_17integral_constantIiLi8EEENSH_IiLi256EEENSH_IiLi16EEEEEENSF_IJSK_NSH_IiLi128EEENSH_IiLi1EEEEEELb0EEENS_3XorINSF_IJSJ_SI_EEELb1EEENS_11PassThroughISK_EENS_7UnMergeINSF_IJSI_SN_EEELb0EEENST_ISJ_EESU_NST_ISI_EENS_21Merge_v3_division_modINSF_IJSJ_SN_EEEEESU_EEENSF_IJNS5_IJLi0EEEENS5_IJLi2ELi1EEEENS5_IJLi3EEEENS5_IJLi5EEEENS5_IJLi4EEEENS5_IJLi6EEEENS5_IJLi7EEEENS5_IJLi9ELi8EEEENS5_IJLi10EEEEEEENSF_IJNS5_IJLi1ELi2ELi3EEEENS5_IJLi4ELi5EEEES19_NS5_IJLi7ELi8EEEENS5_IJLi9EEEES1C_NS5_IJLi11EEEENS5_IJLi12EEEENS5_IJLi13EEEEEEENS5_IJLi11ELi12ELi13EEEENSH_IlLl32768EEEEENSE_INSF_IJNSV_INSF_IJSI_SN_SN_NSH_IiLi32EEEEEELb0EEEEEENSF_IJS14_EEENSF_IJNS5_IJLi1ELi2ELi3ELi4EEEEEEES1U_NSH_IlLl256EEEEENSE_INSF_IJSP_SS_SU_SX_SY_SU_SZ_S12_SU_NS10_INSF_IJSI_SK_EEEEENSV_INSF_IJSI_NSH_IiLi2EEESK_EEELb0EEEEEENSF_IJS14_S15_S16_S17_S18_S19_S1A_S1B_S1C_NS5_IJLi11ELi13EEEES1J_EEENSF_IJS1E_S1F_S19_S1G_S1H_S1C_S1I_S1J_S1K_NS5_IJLi14EEEENS5_IJLi15ELi16ELi17EEEEEEENS5_IJLi15ELi16ELi17ELi14EEEES1N_EENSE_INSF_IJS1R_NS10_ISW_EES22_EEENSF_IJS14_NS5_IJLi1ELi3EEEENS5_IJLi2EEEEEEENSF_IJS1U_S17_NS5_IJLi6ELi7ELi8EEEEEEENS5_IJLi6ELi7ELi8ELi5EEEES1W_EELi16ELi32ELi256ELi256ELi128ELi16ELi16ELi8ELi8ELi32ELb0EE3RunILb1ELNS_10TailNumberE0ENSE_INSF_IJNSG_INSF_IJiiEEENSF_IJiSN_EEELb0EEENSV_IS2N_Lb0EEENST_IiEEEEENSF_IJS14_S2E_NS5_IJLi1EEEEEEENSF_IJNS5_IJLi1ELi2EEEENS5_IJLi3ELi4EEEES17_EEENS5_IJLi3ELi5ELi4EEEElEES1O_NS_35ThreadGroupTensorSliceTransfer_v4r1INS_15ThisThreadBlockILi256EEENS_16tensor_operation12element_wise11PassThroughES35_LNS_25InMemoryDataOperationEnumE0ENS5_IJLi8ELi256ELi16EEEENS5_IJLi8ELi32ELi1EEEENS5_IJLi1ELi0ELi2EEEESC_SC_RKS2Z_KS1O_S39_NS5_IJLi0ELi1ELi2EEEELi2ELi2ELi16ELi16ELi1ELi1ELb0ELb1ELi2EiEENS_13DynamicBufferILNS_16AddressSpaceEnumE1EKSC_lLb1ELNS_22AmdBufferCoherenceEnumE0EiEENSF_IJNS3F_ILS3G_2ESC_S1N_Lb1ELS3I_0EiEES3K_EEENSF_IJiiiEEENSE_INSF_IJNSG_INSF_IJiiiiEEENSF_IJiiiSN_EEELb0EEEEEES1T_S1V_S1U_lEENS_32ThreadwiseTensorSliceTransfer_v2ISD_SD_RKS3R_KS1X_NS5_IJLi8ELi1ELi1ELi32EEEENS5_IJLi1ELi2ELi0ELi3EEEELi3ELi32ELi0ELb1ELb0ELb0EEENS3F_ILS3G_1EKSD_lLb1ELS3I_0EiEENSF_IJNS_12StaticBufferILS3G_4ESD_Li256ELb1EEES42_EEES3N_NS_25StaticBufferTupleOfVectorILS3G_4EfLi64ELi4ELb1ELb0EEEEEvRKT1_RKT2_RT3_RKT4_RT5_RKT6_RKT7_RT8_RKT9_RT10_RKT11_RT12_iENKUlT_T0_E_clINSH_IiLi0EEESN_EEDaS51_S52_ENKUlS51_E_clISN_EEDaS51_EUlS51_E_EEvS51_EUlS51_E_EEvS51_, .Lfunc_end3-_ZNK2ck6detail7applierIiJLi0ELi1ELi2ELi3ELi4ELi5ELi6ELi7EEEclIZNKS_11static_fordINS_8SequenceIJLi1ELi8EEEENS5_IJLi0ELi1EEEEEclIZZZNKS_52BlockwiseGemmXdlops_pipeline_bpreshuffle_bdequant_v3ILNS_26BlockGemmPipelineSchedulerE0ELi256ENS_9f8_fnuz_tENS_7pk_i4_tESC_fNS_16TensorDescriptorINS_5TupleIJNS_5EmbedINSF_IJNS_17integral_constantIiLi8EEENSH_IiLi256EEENSH_IiLi16EEEEEENSF_IJSK_NSH_IiLi128EEENSH_IiLi1EEEEEELb0EEENS_3XorINSF_IJSJ_SI_EEELb1EEENS_11PassThroughISK_EENS_7UnMergeINSF_IJSI_SN_EEELb0EEENST_ISJ_EESU_NST_ISI_EENS_21Merge_v3_division_modINSF_IJSJ_SN_EEEEESU_EEENSF_IJNS5_IJLi0EEEENS5_IJLi2ELi1EEEENS5_IJLi3EEEENS5_IJLi5EEEENS5_IJLi4EEEENS5_IJLi6EEEENS5_IJLi7EEEENS5_IJLi9ELi8EEEENS5_IJLi10EEEEEEENSF_IJNS5_IJLi1ELi2ELi3EEEENS5_IJLi4ELi5EEEES19_NS5_IJLi7ELi8EEEENS5_IJLi9EEEES1C_NS5_IJLi11EEEENS5_IJLi12EEEENS5_IJLi13EEEEEEENS5_IJLi11ELi12ELi13EEEENSH_IlLl32768EEEEENSE_INSF_IJNSV_INSF_IJSI_SN_SN_NSH_IiLi32EEEEEELb0EEEEEENSF_IJS14_EEENSF_IJNS5_IJLi1ELi2ELi3ELi4EEEEEEES1U_NSH_IlLl256EEEEENSE_INSF_IJSP_SS_SU_SX_SY_SU_SZ_S12_SU_NS10_INSF_IJSI_SK_EEEEENSV_INSF_IJSI_NSH_IiLi2EEESK_EEELb0EEEEEENSF_IJS14_S15_S16_S17_S18_S19_S1A_S1B_S1C_NS5_IJLi11ELi13EEEES1J_EEENSF_IJS1E_S1F_S19_S1G_S1H_S1C_S1I_S1J_S1K_NS5_IJLi14EEEENS5_IJLi15ELi16ELi17EEEEEEENS5_IJLi15ELi16ELi17ELi14EEEES1N_EENSE_INSF_IJS1R_NS10_ISW_EES22_EEENSF_IJS14_NS5_IJLi1ELi3EEEENS5_IJLi2EEEEEEENSF_IJS1U_S17_NS5_IJLi6ELi7ELi8EEEEEEENS5_IJLi6ELi7ELi8ELi5EEEES1W_EELi16ELi32ELi256ELi256ELi128ELi16ELi16ELi8ELi8ELi32ELb0EE3RunILb1ELNS_10TailNumberE0ENSE_INSF_IJNSG_INSF_IJiiEEENSF_IJiSN_EEELb0EEENSV_IS2N_Lb0EEENST_IiEEEEENSF_IJS14_S2E_NS5_IJLi1EEEEEEENSF_IJNS5_IJLi1ELi2EEEENS5_IJLi3ELi4EEEES17_EEENS5_IJLi3ELi5ELi4EEEElEES1O_NS_35ThreadGroupTensorSliceTransfer_v4r1INS_15ThisThreadBlockILi256EEENS_16tensor_operation12element_wise11PassThroughES35_LNS_25InMemoryDataOperationEnumE0ENS5_IJLi8ELi256ELi16EEEENS5_IJLi8ELi32ELi1EEEENS5_IJLi1ELi0ELi2EEEESC_SC_RKS2Z_KS1O_S39_NS5_IJLi0ELi1ELi2EEEELi2ELi2ELi16ELi16ELi1ELi1ELb0ELb1ELi2EiEENS_13DynamicBufferILNS_16AddressSpaceEnumE1EKSC_lLb1ELNS_22AmdBufferCoherenceEnumE0EiEENSF_IJNS3F_ILS3G_2ESC_S1N_Lb1ELS3I_0EiEES3K_EEENSF_IJiiiEEENSE_INSF_IJNSG_INSF_IJiiiiEEENSF_IJiiiSN_EEELb0EEEEEES1T_S1V_S1U_lEENS_32ThreadwiseTensorSliceTransfer_v2ISD_SD_RKS3R_KS1X_NS5_IJLi8ELi1ELi1ELi32EEEENS5_IJLi1ELi2ELi0ELi3EEEELi3ELi32ELi0ELb1ELb0ELb0EEENS3F_ILS3G_1EKSD_lLb1ELS3I_0EiEENSF_IJNS_12StaticBufferILS3G_4ESD_Li256ELb1EEES42_EEES3N_NS_25StaticBufferTupleOfVectorILS3G_4EfLi64ELi4ELb1ELb0EEEEEvRKT1_RKT2_RT3_RKT4_RT5_RKT6_RKT7_RT8_RKT9_RT10_RKT11_RT12_iENKUlT_T0_E_clINSH_IiLi0EEESN_EEDaS51_S52_ENKUlS51_E_clISN_EEDaS51_EUlS51_E_EEvS51_EUlS51_E_EEvS51_
                                        ; -- End function
	.section	.AMDGPU.csdata,"",@progbits
; Function info:
; codeLenInByte = 133608
; NumSgprs: 36
; NumVgprs: 26
; NumAgprs: 4
; TotalNumVgprs: 32
; ScratchSize: 0
; MemoryBound: 1
	.text
	.p2align	2                               ; -- Begin function _ZNK2ck6detail7applierIiJLi0ELi1ELi2ELi3ELi4ELi5ELi6ELi7EEEclIZNKS_11static_fordINS_8SequenceIJLi1ELi8EEEENS5_IJLi0ELi1EEEEEclIZZZNKS_52BlockwiseGemmXdlops_pipeline_bpreshuffle_bdequant_v3ILNS_26BlockGemmPipelineSchedulerE0ELi256ENS_9f8_fnuz_tENS_7pk_i4_tESC_fNS_16TensorDescriptorINS_5TupleIJNS_5EmbedINSF_IJNS_17integral_constantIiLi8EEENSH_IiLi256EEENSH_IiLi16EEEEEENSF_IJSK_NSH_IiLi128EEENSH_IiLi1EEEEEELb0EEENS_3XorINSF_IJSJ_SI_EEELb1EEENS_11PassThroughISK_EENS_7UnMergeINSF_IJSI_SN_EEELb0EEENST_ISJ_EESU_NST_ISI_EENS_21Merge_v3_division_modINSF_IJSJ_SN_EEEEESU_EEENSF_IJNS5_IJLi0EEEENS5_IJLi2ELi1EEEENS5_IJLi3EEEENS5_IJLi5EEEENS5_IJLi4EEEENS5_IJLi6EEEENS5_IJLi7EEEENS5_IJLi9ELi8EEEENS5_IJLi10EEEEEEENSF_IJNS5_IJLi1ELi2ELi3EEEENS5_IJLi4ELi5EEEES19_NS5_IJLi7ELi8EEEENS5_IJLi9EEEES1C_NS5_IJLi11EEEENS5_IJLi12EEEENS5_IJLi13EEEEEEENS5_IJLi11ELi12ELi13EEEENSH_IlLl32768EEEEENSE_INSF_IJNSV_INSF_IJSI_SN_SN_NSH_IiLi32EEEEEELb0EEEEEENSF_IJS14_EEENSF_IJNS5_IJLi1ELi2ELi3ELi4EEEEEEES1U_NSH_IlLl256EEEEENSE_INSF_IJSP_SS_SU_SX_SY_SU_SZ_S12_SU_NS10_INSF_IJSI_SK_EEEEENSV_INSF_IJSI_NSH_IiLi2EEESK_EEELb0EEEEEENSF_IJS14_S15_S16_S17_S18_S19_S1A_S1B_S1C_NS5_IJLi11ELi13EEEES1J_EEENSF_IJS1E_S1F_S19_S1G_S1H_S1C_S1I_S1J_S1K_NS5_IJLi14EEEENS5_IJLi15ELi16ELi17EEEEEEENS5_IJLi15ELi16ELi17ELi14EEEES1N_EENSE_INSF_IJS1R_NS10_ISW_EES22_EEENSF_IJS14_NS5_IJLi1ELi3EEEENS5_IJLi2EEEEEEENSF_IJS1U_S17_NS5_IJLi6ELi7ELi8EEEEEEENS5_IJLi6ELi7ELi8ELi5EEEES1W_EELi16ELi32ELi256ELi256ELi128ELi16ELi16ELi8ELi8ELi32ELb0EE3RunILb1ELNS_10TailNumberE0ENSE_INSF_IJNSG_INSF_IJiiEEENSF_IJiSN_EEELb0EEENSV_IS2N_Lb0EEENST_IiEEEEENSF_IJS14_S2E_NS5_IJLi1EEEEEEENSF_IJNS5_IJLi1ELi2EEEENS5_IJLi3ELi4EEEES17_EEENS5_IJLi3ELi5ELi4EEEElEES1O_NS_35ThreadGroupTensorSliceTransfer_v4r1INS_15ThisThreadBlockILi256EEENS_16tensor_operation12element_wise11PassThroughES35_LNS_25InMemoryDataOperationEnumE0ENS5_IJLi8ELi256ELi16EEEENS5_IJLi8ELi32ELi1EEEENS5_IJLi1ELi0ELi2EEEESC_SC_RKS2Z_KS1O_S39_NS5_IJLi0ELi1ELi2EEEELi2ELi2ELi16ELi16ELi1ELi1ELb0ELb1ELi2EiEENS_13DynamicBufferILNS_16AddressSpaceEnumE1EKSC_lLb1ELNS_22AmdBufferCoherenceEnumE0EiEENSF_IJNS3F_ILS3G_2ESC_S1N_Lb1ELS3I_0EiEES3K_EEENSF_IJiiiEEENSE_INSF_IJNSG_INSF_IJiiiiEEENSF_IJiiiSN_EEELb0EEEEEES1T_S1V_S1U_lEENS_32ThreadwiseTensorSliceTransfer_v2ISD_SD_RKS3R_KS1X_NS5_IJLi8ELi1ELi1ELi32EEEENS5_IJLi1ELi2ELi0ELi3EEEELi3ELi32ELi0ELb1ELb0ELb0EEENS3F_ILS3G_1EKSD_lLb1ELS3I_0EiEENSF_IJNS_12StaticBufferILS3G_4ESD_Li256ELb1EEES42_EEES3N_NS_25StaticBufferTupleOfVectorILS3G_4EfLi64ELi4ELb1ELb0EEEEEvRKT1_RKT2_RT3_RKT4_RT5_RKT6_RKT7_RT8_RKT9_RT10_RKT11_RT12_iENKUlT_T0_E_clINSH_IiLi0EEESN_EEDaS51_S52_ENKUlS51_E_clIS20_EEDaS51_EUlS51_E_EEvS51_EUlS51_E_EEvS51_
	.type	_ZNK2ck6detail7applierIiJLi0ELi1ELi2ELi3ELi4ELi5ELi6ELi7EEEclIZNKS_11static_fordINS_8SequenceIJLi1ELi8EEEENS5_IJLi0ELi1EEEEEclIZZZNKS_52BlockwiseGemmXdlops_pipeline_bpreshuffle_bdequant_v3ILNS_26BlockGemmPipelineSchedulerE0ELi256ENS_9f8_fnuz_tENS_7pk_i4_tESC_fNS_16TensorDescriptorINS_5TupleIJNS_5EmbedINSF_IJNS_17integral_constantIiLi8EEENSH_IiLi256EEENSH_IiLi16EEEEEENSF_IJSK_NSH_IiLi128EEENSH_IiLi1EEEEEELb0EEENS_3XorINSF_IJSJ_SI_EEELb1EEENS_11PassThroughISK_EENS_7UnMergeINSF_IJSI_SN_EEELb0EEENST_ISJ_EESU_NST_ISI_EENS_21Merge_v3_division_modINSF_IJSJ_SN_EEEEESU_EEENSF_IJNS5_IJLi0EEEENS5_IJLi2ELi1EEEENS5_IJLi3EEEENS5_IJLi5EEEENS5_IJLi4EEEENS5_IJLi6EEEENS5_IJLi7EEEENS5_IJLi9ELi8EEEENS5_IJLi10EEEEEEENSF_IJNS5_IJLi1ELi2ELi3EEEENS5_IJLi4ELi5EEEES19_NS5_IJLi7ELi8EEEENS5_IJLi9EEEES1C_NS5_IJLi11EEEENS5_IJLi12EEEENS5_IJLi13EEEEEEENS5_IJLi11ELi12ELi13EEEENSH_IlLl32768EEEEENSE_INSF_IJNSV_INSF_IJSI_SN_SN_NSH_IiLi32EEEEEELb0EEEEEENSF_IJS14_EEENSF_IJNS5_IJLi1ELi2ELi3ELi4EEEEEEES1U_NSH_IlLl256EEEEENSE_INSF_IJSP_SS_SU_SX_SY_SU_SZ_S12_SU_NS10_INSF_IJSI_SK_EEEEENSV_INSF_IJSI_NSH_IiLi2EEESK_EEELb0EEEEEENSF_IJS14_S15_S16_S17_S18_S19_S1A_S1B_S1C_NS5_IJLi11ELi13EEEES1J_EEENSF_IJS1E_S1F_S19_S1G_S1H_S1C_S1I_S1J_S1K_NS5_IJLi14EEEENS5_IJLi15ELi16ELi17EEEEEEENS5_IJLi15ELi16ELi17ELi14EEEES1N_EENSE_INSF_IJS1R_NS10_ISW_EES22_EEENSF_IJS14_NS5_IJLi1ELi3EEEENS5_IJLi2EEEEEEENSF_IJS1U_S17_NS5_IJLi6ELi7ELi8EEEEEEENS5_IJLi6ELi7ELi8ELi5EEEES1W_EELi16ELi32ELi256ELi256ELi128ELi16ELi16ELi8ELi8ELi32ELb0EE3RunILb1ELNS_10TailNumberE0ENSE_INSF_IJNSG_INSF_IJiiEEENSF_IJiSN_EEELb0EEENSV_IS2N_Lb0EEENST_IiEEEEENSF_IJS14_S2E_NS5_IJLi1EEEEEEENSF_IJNS5_IJLi1ELi2EEEENS5_IJLi3ELi4EEEES17_EEENS5_IJLi3ELi5ELi4EEEElEES1O_NS_35ThreadGroupTensorSliceTransfer_v4r1INS_15ThisThreadBlockILi256EEENS_16tensor_operation12element_wise11PassThroughES35_LNS_25InMemoryDataOperationEnumE0ENS5_IJLi8ELi256ELi16EEEENS5_IJLi8ELi32ELi1EEEENS5_IJLi1ELi0ELi2EEEESC_SC_RKS2Z_KS1O_S39_NS5_IJLi0ELi1ELi2EEEELi2ELi2ELi16ELi16ELi1ELi1ELb0ELb1ELi2EiEENS_13DynamicBufferILNS_16AddressSpaceEnumE1EKSC_lLb1ELNS_22AmdBufferCoherenceEnumE0EiEENSF_IJNS3F_ILS3G_2ESC_S1N_Lb1ELS3I_0EiEES3K_EEENSF_IJiiiEEENSE_INSF_IJNSG_INSF_IJiiiiEEENSF_IJiiiSN_EEELb0EEEEEES1T_S1V_S1U_lEENS_32ThreadwiseTensorSliceTransfer_v2ISD_SD_RKS3R_KS1X_NS5_IJLi8ELi1ELi1ELi32EEEENS5_IJLi1ELi2ELi0ELi3EEEELi3ELi32ELi0ELb1ELb0ELb0EEENS3F_ILS3G_1EKSD_lLb1ELS3I_0EiEENSF_IJNS_12StaticBufferILS3G_4ESD_Li256ELb1EEES42_EEES3N_NS_25StaticBufferTupleOfVectorILS3G_4EfLi64ELi4ELb1ELb0EEEEEvRKT1_RKT2_RT3_RKT4_RT5_RKT6_RKT7_RT8_RKT9_RT10_RKT11_RT12_iENKUlT_T0_E_clINSH_IiLi0EEESN_EEDaS51_S52_ENKUlS51_E_clIS20_EEDaS51_EUlS51_E_EEvS51_EUlS51_E_EEvS51_,@function
_ZNK2ck6detail7applierIiJLi0ELi1ELi2ELi3ELi4ELi5ELi6ELi7EEEclIZNKS_11static_fordINS_8SequenceIJLi1ELi8EEEENS5_IJLi0ELi1EEEEEclIZZZNKS_52BlockwiseGemmXdlops_pipeline_bpreshuffle_bdequant_v3ILNS_26BlockGemmPipelineSchedulerE0ELi256ENS_9f8_fnuz_tENS_7pk_i4_tESC_fNS_16TensorDescriptorINS_5TupleIJNS_5EmbedINSF_IJNS_17integral_constantIiLi8EEENSH_IiLi256EEENSH_IiLi16EEEEEENSF_IJSK_NSH_IiLi128EEENSH_IiLi1EEEEEELb0EEENS_3XorINSF_IJSJ_SI_EEELb1EEENS_11PassThroughISK_EENS_7UnMergeINSF_IJSI_SN_EEELb0EEENST_ISJ_EESU_NST_ISI_EENS_21Merge_v3_division_modINSF_IJSJ_SN_EEEEESU_EEENSF_IJNS5_IJLi0EEEENS5_IJLi2ELi1EEEENS5_IJLi3EEEENS5_IJLi5EEEENS5_IJLi4EEEENS5_IJLi6EEEENS5_IJLi7EEEENS5_IJLi9ELi8EEEENS5_IJLi10EEEEEEENSF_IJNS5_IJLi1ELi2ELi3EEEENS5_IJLi4ELi5EEEES19_NS5_IJLi7ELi8EEEENS5_IJLi9EEEES1C_NS5_IJLi11EEEENS5_IJLi12EEEENS5_IJLi13EEEEEEENS5_IJLi11ELi12ELi13EEEENSH_IlLl32768EEEEENSE_INSF_IJNSV_INSF_IJSI_SN_SN_NSH_IiLi32EEEEEELb0EEEEEENSF_IJS14_EEENSF_IJNS5_IJLi1ELi2ELi3ELi4EEEEEEES1U_NSH_IlLl256EEEEENSE_INSF_IJSP_SS_SU_SX_SY_SU_SZ_S12_SU_NS10_INSF_IJSI_SK_EEEEENSV_INSF_IJSI_NSH_IiLi2EEESK_EEELb0EEEEEENSF_IJS14_S15_S16_S17_S18_S19_S1A_S1B_S1C_NS5_IJLi11ELi13EEEES1J_EEENSF_IJS1E_S1F_S19_S1G_S1H_S1C_S1I_S1J_S1K_NS5_IJLi14EEEENS5_IJLi15ELi16ELi17EEEEEEENS5_IJLi15ELi16ELi17ELi14EEEES1N_EENSE_INSF_IJS1R_NS10_ISW_EES22_EEENSF_IJS14_NS5_IJLi1ELi3EEEENS5_IJLi2EEEEEEENSF_IJS1U_S17_NS5_IJLi6ELi7ELi8EEEEEEENS5_IJLi6ELi7ELi8ELi5EEEES1W_EELi16ELi32ELi256ELi256ELi128ELi16ELi16ELi8ELi8ELi32ELb0EE3RunILb1ELNS_10TailNumberE0ENSE_INSF_IJNSG_INSF_IJiiEEENSF_IJiSN_EEELb0EEENSV_IS2N_Lb0EEENST_IiEEEEENSF_IJS14_S2E_NS5_IJLi1EEEEEEENSF_IJNS5_IJLi1ELi2EEEENS5_IJLi3ELi4EEEES17_EEENS5_IJLi3ELi5ELi4EEEElEES1O_NS_35ThreadGroupTensorSliceTransfer_v4r1INS_15ThisThreadBlockILi256EEENS_16tensor_operation12element_wise11PassThroughES35_LNS_25InMemoryDataOperationEnumE0ENS5_IJLi8ELi256ELi16EEEENS5_IJLi8ELi32ELi1EEEENS5_IJLi1ELi0ELi2EEEESC_SC_RKS2Z_KS1O_S39_NS5_IJLi0ELi1ELi2EEEELi2ELi2ELi16ELi16ELi1ELi1ELb0ELb1ELi2EiEENS_13DynamicBufferILNS_16AddressSpaceEnumE1EKSC_lLb1ELNS_22AmdBufferCoherenceEnumE0EiEENSF_IJNS3F_ILS3G_2ESC_S1N_Lb1ELS3I_0EiEES3K_EEENSF_IJiiiEEENSE_INSF_IJNSG_INSF_IJiiiiEEENSF_IJiiiSN_EEELb0EEEEEES1T_S1V_S1U_lEENS_32ThreadwiseTensorSliceTransfer_v2ISD_SD_RKS3R_KS1X_NS5_IJLi8ELi1ELi1ELi32EEEENS5_IJLi1ELi2ELi0ELi3EEEELi3ELi32ELi0ELb1ELb0ELb0EEENS3F_ILS3G_1EKSD_lLb1ELS3I_0EiEENSF_IJNS_12StaticBufferILS3G_4ESD_Li256ELb1EEES42_EEES3N_NS_25StaticBufferTupleOfVectorILS3G_4EfLi64ELi4ELb1ELb0EEEEEvRKT1_RKT2_RT3_RKT4_RT5_RKT6_RKT7_RT8_RKT9_RT10_RKT11_RT12_iENKUlT_T0_E_clINSH_IiLi0EEESN_EEDaS51_S52_ENKUlS51_E_clIS20_EEDaS51_EUlS51_E_EEvS51_EUlS51_E_EEvS51_: ; @_ZNK2ck6detail7applierIiJLi0ELi1ELi2ELi3ELi4ELi5ELi6ELi7EEEclIZNKS_11static_fordINS_8SequenceIJLi1ELi8EEEENS5_IJLi0ELi1EEEEEclIZZZNKS_52BlockwiseGemmXdlops_pipeline_bpreshuffle_bdequant_v3ILNS_26BlockGemmPipelineSchedulerE0ELi256ENS_9f8_fnuz_tENS_7pk_i4_tESC_fNS_16TensorDescriptorINS_5TupleIJNS_5EmbedINSF_IJNS_17integral_constantIiLi8EEENSH_IiLi256EEENSH_IiLi16EEEEEENSF_IJSK_NSH_IiLi128EEENSH_IiLi1EEEEEELb0EEENS_3XorINSF_IJSJ_SI_EEELb1EEENS_11PassThroughISK_EENS_7UnMergeINSF_IJSI_SN_EEELb0EEENST_ISJ_EESU_NST_ISI_EENS_21Merge_v3_division_modINSF_IJSJ_SN_EEEEESU_EEENSF_IJNS5_IJLi0EEEENS5_IJLi2ELi1EEEENS5_IJLi3EEEENS5_IJLi5EEEENS5_IJLi4EEEENS5_IJLi6EEEENS5_IJLi7EEEENS5_IJLi9ELi8EEEENS5_IJLi10EEEEEEENSF_IJNS5_IJLi1ELi2ELi3EEEENS5_IJLi4ELi5EEEES19_NS5_IJLi7ELi8EEEENS5_IJLi9EEEES1C_NS5_IJLi11EEEENS5_IJLi12EEEENS5_IJLi13EEEEEEENS5_IJLi11ELi12ELi13EEEENSH_IlLl32768EEEEENSE_INSF_IJNSV_INSF_IJSI_SN_SN_NSH_IiLi32EEEEEELb0EEEEEENSF_IJS14_EEENSF_IJNS5_IJLi1ELi2ELi3ELi4EEEEEEES1U_NSH_IlLl256EEEEENSE_INSF_IJSP_SS_SU_SX_SY_SU_SZ_S12_SU_NS10_INSF_IJSI_SK_EEEEENSV_INSF_IJSI_NSH_IiLi2EEESK_EEELb0EEEEEENSF_IJS14_S15_S16_S17_S18_S19_S1A_S1B_S1C_NS5_IJLi11ELi13EEEES1J_EEENSF_IJS1E_S1F_S19_S1G_S1H_S1C_S1I_S1J_S1K_NS5_IJLi14EEEENS5_IJLi15ELi16ELi17EEEEEEENS5_IJLi15ELi16ELi17ELi14EEEES1N_EENSE_INSF_IJS1R_NS10_ISW_EES22_EEENSF_IJS14_NS5_IJLi1ELi3EEEENS5_IJLi2EEEEEEENSF_IJS1U_S17_NS5_IJLi6ELi7ELi8EEEEEEENS5_IJLi6ELi7ELi8ELi5EEEES1W_EELi16ELi32ELi256ELi256ELi128ELi16ELi16ELi8ELi8ELi32ELb0EE3RunILb1ELNS_10TailNumberE0ENSE_INSF_IJNSG_INSF_IJiiEEENSF_IJiSN_EEELb0EEENSV_IS2N_Lb0EEENST_IiEEEEENSF_IJS14_S2E_NS5_IJLi1EEEEEEENSF_IJNS5_IJLi1ELi2EEEENS5_IJLi3ELi4EEEES17_EEENS5_IJLi3ELi5ELi4EEEElEES1O_NS_35ThreadGroupTensorSliceTransfer_v4r1INS_15ThisThreadBlockILi256EEENS_16tensor_operation12element_wise11PassThroughES35_LNS_25InMemoryDataOperationEnumE0ENS5_IJLi8ELi256ELi16EEEENS5_IJLi8ELi32ELi1EEEENS5_IJLi1ELi0ELi2EEEESC_SC_RKS2Z_KS1O_S39_NS5_IJLi0ELi1ELi2EEEELi2ELi2ELi16ELi16ELi1ELi1ELb0ELb1ELi2EiEENS_13DynamicBufferILNS_16AddressSpaceEnumE1EKSC_lLb1ELNS_22AmdBufferCoherenceEnumE0EiEENSF_IJNS3F_ILS3G_2ESC_S1N_Lb1ELS3I_0EiEES3K_EEENSF_IJiiiEEENSE_INSF_IJNSG_INSF_IJiiiiEEENSF_IJiiiSN_EEELb0EEEEEES1T_S1V_S1U_lEENS_32ThreadwiseTensorSliceTransfer_v2ISD_SD_RKS3R_KS1X_NS5_IJLi8ELi1ELi1ELi32EEEENS5_IJLi1ELi2ELi0ELi3EEEELi3ELi32ELi0ELb1ELb0ELb0EEENS3F_ILS3G_1EKSD_lLb1ELS3I_0EiEENSF_IJNS_12StaticBufferILS3G_4ESD_Li256ELb1EEES42_EEES3N_NS_25StaticBufferTupleOfVectorILS3G_4EfLi64ELi4ELb1ELb0EEEEEvRKT1_RKT2_RT3_RKT4_RT5_RKT6_RKT7_RT8_RKT9_RT10_RKT11_RT12_iENKUlT_T0_E_clINSH_IiLi0EEESN_EEDaS51_S52_ENKUlS51_E_clIS20_EEDaS51_EUlS51_E_EEvS51_EUlS51_E_EEvS51_
; %bb.0:
	s_waitcnt vmcnt(0) expcnt(0) lgkmcnt(0)
	flat_load_dwordx4 v[20:23], v[0:1] offset:16
	flat_load_dwordx2 v[18:19], v[0:1] offset:32
	s_movk_i32 s4, 0x7f
                                        ; implicit-def: $sgpr10
	s_waitcnt vmcnt(0) lgkmcnt(0)
	flat_load_dwordx4 v[14:17], v[20:21]
	flat_load_dwordx4 v[10:13], v[22:23]
	flat_load_dwordx4 v[6:9], v[20:21] offset:16
	flat_load_dwordx4 v[2:5], v[22:23] offset:16
	s_waitcnt vmcnt(0) lgkmcnt(0)
	v_cmp_gt_i16_sdwa s[6:7], v14, s4 src0_sel:BYTE_0 src1_sel:DWORD
	s_mov_b64 s[4:5], 0
	s_and_saveexec_b64 s[8:9], s[6:7]
	s_xor_b64 s[6:7], exec, s[8:9]
	s_cbranch_execnz .LBB4_2049
; %bb.1:
	s_or_saveexec_b64 s[6:7], s[6:7]
	v_mov_b32_e32 v20, s10
	s_xor_b64 exec, exec, s[6:7]
	s_cbranch_execnz .LBB4_2052
.LBB4_2:
	s_or_b64 exec, exec, s[6:7]
	s_and_saveexec_b64 s[6:7], s[4:5]
	s_cbranch_execz .LBB4_4
.LBB4_3:
	v_and_b32_e32 v20, 7, v14
	v_ffbh_u32_e32 v22, v20
	v_min_u32_e32 v22, 32, v22
	v_lshrrev_b16_e32 v21, 3, v14
	v_subrev_u32_e32 v23, 28, v22
	v_and_b32_e32 v21, 15, v21
	v_lshlrev_b32_e32 v23, v23, v14
	v_sub_u32_e32 v22, 29, v22
	v_and_b32_e32 v23, 7, v23
	v_cmp_eq_u16_e32 vcc, 0, v21
	v_cndmask_b32_e32 v20, v20, v23, vcc
	v_cndmask_b32_e32 v21, v21, v22, vcc
	v_lshlrev_b32_e32 v22, 24, v14
	v_mov_b32_e32 v23, 0x3b800000
	v_lshlrev_b32_e32 v20, 20, v20
	v_and_b32_e32 v22, 0x80000000, v22
	v_lshl_add_u32 v21, v21, 23, v23
	v_or3_b32 v20, v22, v21, v20
.LBB4_4:
	s_or_b64 exec, exec, s[6:7]
	s_movk_i32 s4, 0x7f
	v_cmp_gt_i16_sdwa s[6:7], v10, s4 src0_sel:BYTE_0 src1_sel:DWORD
	s_mov_b64 s[4:5], 0
                                        ; implicit-def: $sgpr10
	s_and_saveexec_b64 s[8:9], s[6:7]
	s_xor_b64 s[6:7], exec, s[8:9]
	s_cbranch_execnz .LBB4_2053
; %bb.5:
	s_or_saveexec_b64 s[6:7], s[6:7]
	v_mov_b32_e32 v21, s10
	s_xor_b64 exec, exec, s[6:7]
	s_cbranch_execnz .LBB4_2056
.LBB4_6:
	s_or_b64 exec, exec, s[6:7]
	s_and_saveexec_b64 s[6:7], s[4:5]
	s_cbranch_execz .LBB4_8
.LBB4_7:
	v_and_b32_e32 v21, 7, v10
	v_ffbh_u32_e32 v23, v21
	v_min_u32_e32 v23, 32, v23
	v_lshrrev_b16_e32 v22, 3, v10
	v_subrev_u32_e32 v24, 28, v23
	v_and_b32_e32 v22, 15, v22
	v_lshlrev_b32_e32 v24, v24, v10
	v_sub_u32_e32 v23, 29, v23
	v_and_b32_e32 v24, 7, v24
	v_cmp_eq_u16_e32 vcc, 0, v22
	v_cndmask_b32_e32 v21, v21, v24, vcc
	v_cndmask_b32_e32 v22, v22, v23, vcc
	v_lshlrev_b32_e32 v23, 24, v10
	v_mov_b32_e32 v24, 0x3b800000
	v_lshlrev_b32_e32 v21, 20, v21
	v_and_b32_e32 v23, 0x80000000, v23
	v_lshl_add_u32 v22, v22, 23, v24
	v_or3_b32 v21, v23, v22, v21
.LBB4_8:
	s_or_b64 exec, exec, s[6:7]
	flat_load_dwordx4 a[0:3], v[18:19] offset:256
	s_movk_i32 s4, 0x7f
                                        ; implicit-def: $sgpr10
	s_waitcnt vmcnt(0) lgkmcnt(0)
	v_mfma_f32_16x16x4f32 a[0:3], v20, v21, a[0:3]
	v_lshrrev_b32_e32 v21, 8, v14
	v_cmp_gt_i16_sdwa s[6:7], v21, s4 src0_sel:BYTE_0 src1_sel:DWORD
	s_mov_b64 s[4:5], 0
	s_and_saveexec_b64 s[8:9], s[6:7]
	s_xor_b64 s[6:7], exec, s[8:9]
	s_cbranch_execnz .LBB4_2057
; %bb.9:
	s_or_saveexec_b64 s[6:7], s[6:7]
	v_mov_b32_e32 v20, s10
	s_xor_b64 exec, exec, s[6:7]
	s_cbranch_execnz .LBB4_2060
.LBB4_10:
	s_or_b64 exec, exec, s[6:7]
	s_and_saveexec_b64 s[6:7], s[4:5]
	s_cbranch_execz .LBB4_12
.LBB4_11:
	v_bfe_u32 v20, v14, 8, 3
	v_ffbh_u32_e32 v23, v20
	v_min_u32_e32 v23, 32, v23
	v_lshrrev_b16_e32 v22, 3, v21
	v_subrev_u32_e32 v24, 28, v23
	v_and_b32_e32 v22, 15, v22
	v_lshlrev_b32_e32 v21, v24, v21
	v_sub_u32_e32 v23, 29, v23
	v_and_b32_e32 v21, 7, v21
	v_cmp_eq_u16_e32 vcc, 0, v22
	v_cndmask_b32_e32 v20, v20, v21, vcc
	v_cndmask_b32_e32 v21, v22, v23, vcc
	v_lshlrev_b32_e32 v22, 16, v14
	v_mov_b32_e32 v23, 0x3b800000
	v_lshlrev_b32_e32 v20, 20, v20
	v_and_b32_e32 v22, 0x80000000, v22
	v_lshl_add_u32 v21, v21, 23, v23
	v_or3_b32 v20, v22, v21, v20
.LBB4_12:
	s_or_b64 exec, exec, s[6:7]
	v_lshrrev_b32_e32 v21, 8, v10
	s_movk_i32 s4, 0x7f
	v_cmp_gt_i16_sdwa s[6:7], v21, s4 src0_sel:BYTE_0 src1_sel:DWORD
	s_mov_b64 s[4:5], 0
                                        ; implicit-def: $sgpr10
	s_and_saveexec_b64 s[8:9], s[6:7]
	s_xor_b64 s[6:7], exec, s[8:9]
	s_cbranch_execnz .LBB4_2061
; %bb.13:
	s_or_saveexec_b64 s[6:7], s[6:7]
	v_mov_b32_e32 v22, s10
	s_xor_b64 exec, exec, s[6:7]
	s_cbranch_execnz .LBB4_2064
.LBB4_14:
	s_or_b64 exec, exec, s[6:7]
	s_and_saveexec_b64 s[6:7], s[4:5]
	s_cbranch_execz .LBB4_16
.LBB4_15:
	v_bfe_u32 v22, v10, 8, 3
	v_ffbh_u32_e32 v24, v22
	v_min_u32_e32 v24, 32, v24
	v_lshrrev_b16_e32 v23, 3, v21
	v_subrev_u32_e32 v25, 28, v24
	v_and_b32_e32 v23, 15, v23
	v_lshlrev_b32_e32 v21, v25, v21
	v_sub_u32_e32 v24, 29, v24
	v_and_b32_e32 v21, 7, v21
	v_cmp_eq_u16_e32 vcc, 0, v23
	v_cndmask_b32_e32 v21, v22, v21, vcc
	v_cndmask_b32_e32 v22, v23, v24, vcc
	v_lshlrev_b32_e32 v23, 16, v10
	v_mov_b32_e32 v24, 0x3b800000
	v_lshlrev_b32_e32 v21, 20, v21
	v_and_b32_e32 v23, 0x80000000, v23
	v_lshl_add_u32 v22, v22, 23, v24
	v_or3_b32 v22, v23, v22, v21
.LBB4_16:
	s_or_b64 exec, exec, s[6:7]
	s_nop 0
	v_mfma_f32_16x16x4f32 a[0:3], v20, v22, a[0:3]
	s_movk_i32 s4, 0xff
	v_and_b32_sdwa v21, v14, s4 dst_sel:DWORD dst_unused:UNUSED_PAD src0_sel:WORD_1 src1_sel:DWORD
	s_movk_i32 s4, 0x7f
	v_cmp_lt_i16_e32 vcc, s4, v21
	s_mov_b64 s[4:5], 0
                                        ; implicit-def: $sgpr10
	s_and_saveexec_b64 s[6:7], vcc
	s_xor_b64 s[6:7], exec, s[6:7]
	s_cbranch_execnz .LBB4_2065
; %bb.17:
	s_or_saveexec_b64 s[6:7], s[6:7]
	v_mov_b32_e32 v20, s10
	s_xor_b64 exec, exec, s[6:7]
	s_cbranch_execnz .LBB4_2068
.LBB4_18:
	s_or_b64 exec, exec, s[6:7]
	s_and_saveexec_b64 s[6:7], s[4:5]
	s_cbranch_execz .LBB4_20
.LBB4_19:
	v_bfe_u32 v20, v14, 16, 3
	v_ffbh_u32_e32 v23, v20
	v_min_u32_e32 v23, 32, v23
	v_lshrrev_b32_e32 v21, 19, v14
	v_subrev_u32_e32 v24, 28, v23
	v_and_b32_e32 v21, 15, v21
	v_lshlrev_b32_sdwa v24, v24, v14 dst_sel:DWORD dst_unused:UNUSED_PAD src0_sel:DWORD src1_sel:WORD_1
	v_bfe_u32 v22, v14, 19, 4
	v_sub_u32_e32 v23, 29, v23
	v_and_b32_e32 v24, 7, v24
	v_cmp_eq_u16_e32 vcc, 0, v21
	v_cndmask_b32_e32 v20, v20, v24, vcc
	v_cndmask_b32_e32 v21, v22, v23, vcc
	v_lshlrev_b32_e32 v22, 8, v14
	v_mov_b32_e32 v23, 0x3b800000
	v_lshlrev_b32_e32 v20, 20, v20
	v_and_b32_e32 v22, 0x80000000, v22
	v_lshl_add_u32 v21, v21, 23, v23
	v_or3_b32 v20, v22, v21, v20
.LBB4_20:
	s_or_b64 exec, exec, s[6:7]
	s_movk_i32 s4, 0xff
	v_and_b32_sdwa v21, v10, s4 dst_sel:DWORD dst_unused:UNUSED_PAD src0_sel:WORD_1 src1_sel:DWORD
	s_movk_i32 s4, 0x7f
	v_cmp_lt_i16_e32 vcc, s4, v21
	s_mov_b64 s[4:5], 0
                                        ; implicit-def: $sgpr10
	s_and_saveexec_b64 s[6:7], vcc
	s_xor_b64 s[6:7], exec, s[6:7]
	s_cbranch_execnz .LBB4_2069
; %bb.21:
	s_or_saveexec_b64 s[6:7], s[6:7]
	v_mov_b32_e32 v22, s10
	s_xor_b64 exec, exec, s[6:7]
	s_cbranch_execnz .LBB4_2072
.LBB4_22:
	s_or_b64 exec, exec, s[6:7]
	s_and_saveexec_b64 s[6:7], s[4:5]
	s_cbranch_execz .LBB4_24
.LBB4_23:
	v_bfe_u32 v21, v10, 16, 3
	v_ffbh_u32_e32 v24, v21
	v_min_u32_e32 v24, 32, v24
	v_lshrrev_b32_e32 v22, 19, v10
	v_subrev_u32_e32 v25, 28, v24
	v_and_b32_e32 v22, 15, v22
	v_lshlrev_b32_sdwa v25, v25, v10 dst_sel:DWORD dst_unused:UNUSED_PAD src0_sel:DWORD src1_sel:WORD_1
	v_bfe_u32 v23, v10, 19, 4
	v_sub_u32_e32 v24, 29, v24
	v_and_b32_e32 v25, 7, v25
	v_cmp_eq_u16_e32 vcc, 0, v22
	v_cndmask_b32_e32 v21, v21, v25, vcc
	v_cndmask_b32_e32 v22, v23, v24, vcc
	v_lshlrev_b32_e32 v23, 8, v10
	v_mov_b32_e32 v24, 0x3b800000
	v_lshlrev_b32_e32 v21, 20, v21
	v_and_b32_e32 v23, 0x80000000, v23
	v_lshl_add_u32 v22, v22, 23, v24
	v_or3_b32 v22, v23, v22, v21
.LBB4_24:
	s_or_b64 exec, exec, s[6:7]
	s_nop 0
	v_mfma_f32_16x16x4f32 a[0:3], v20, v22, a[0:3]
	s_movk_i32 s4, 0x7f
	v_cmp_gt_i16_sdwa s[6:7], v14, s4 src0_sel:BYTE_3 src1_sel:DWORD
	s_mov_b64 s[4:5], 0
                                        ; implicit-def: $sgpr10
	s_and_saveexec_b64 s[8:9], s[6:7]
	s_xor_b64 s[6:7], exec, s[8:9]
	s_cbranch_execnz .LBB4_2073
; %bb.25:
	s_or_saveexec_b64 s[6:7], s[6:7]
	v_mov_b32_e32 v20, s10
	s_xor_b64 exec, exec, s[6:7]
	s_cbranch_execnz .LBB4_2076
.LBB4_26:
	s_or_b64 exec, exec, s[6:7]
	s_and_saveexec_b64 s[6:7], s[4:5]
	s_cbranch_execz .LBB4_28
.LBB4_27:
	v_bfe_u32 v20, v14, 24, 3
	v_ffbh_u32_e32 v24, v20
	v_min_u32_e32 v24, 32, v24
	v_lshrrev_b32_e32 v22, 27, v14
	v_subrev_u32_e32 v25, 28, v24
	v_and_b32_e32 v21, 0x80000000, v14
	v_and_b32_e32 v22, 15, v22
	v_bfe_u32 v23, v14, 27, 4
	v_lshlrev_b32_sdwa v14, v25, v14 dst_sel:DWORD dst_unused:UNUSED_PAD src0_sel:DWORD src1_sel:BYTE_3
	v_sub_u32_e32 v24, 29, v24
	v_and_b32_e32 v14, 7, v14
	v_cmp_eq_u16_e32 vcc, 0, v22
	v_cndmask_b32_e32 v14, v20, v14, vcc
	v_cndmask_b32_e32 v20, v23, v24, vcc
	v_mov_b32_e32 v22, 0x3b800000
	v_lshlrev_b32_e32 v14, 20, v14
	v_lshl_add_u32 v20, v20, 23, v22
	v_or3_b32 v20, v21, v20, v14
.LBB4_28:
	s_or_b64 exec, exec, s[6:7]
	s_movk_i32 s4, 0x7f
	v_cmp_gt_i16_sdwa s[6:7], v10, s4 src0_sel:BYTE_3 src1_sel:DWORD
	s_mov_b64 s[4:5], 0
                                        ; implicit-def: $sgpr10
	s_and_saveexec_b64 s[8:9], s[6:7]
	s_xor_b64 s[6:7], exec, s[8:9]
	s_cbranch_execnz .LBB4_2077
; %bb.29:
	s_or_saveexec_b64 s[6:7], s[6:7]
	v_mov_b32_e32 v14, s10
	s_xor_b64 exec, exec, s[6:7]
	s_cbranch_execnz .LBB4_2080
.LBB4_30:
	s_or_b64 exec, exec, s[6:7]
	s_and_saveexec_b64 s[6:7], s[4:5]
	s_cbranch_execz .LBB4_32
.LBB4_31:
	v_bfe_u32 v14, v10, 24, 3
	v_ffbh_u32_e32 v24, v14
	v_min_u32_e32 v24, 32, v24
	v_lshrrev_b32_e32 v22, 27, v10
	v_subrev_u32_e32 v25, 28, v24
	v_and_b32_e32 v21, 0x80000000, v10
	v_and_b32_e32 v22, 15, v22
	v_bfe_u32 v23, v10, 27, 4
	v_lshlrev_b32_sdwa v10, v25, v10 dst_sel:DWORD dst_unused:UNUSED_PAD src0_sel:DWORD src1_sel:BYTE_3
	v_sub_u32_e32 v24, 29, v24
	v_and_b32_e32 v10, 7, v10
	v_cmp_eq_u16_e32 vcc, 0, v22
	v_cndmask_b32_e32 v10, v14, v10, vcc
	v_cndmask_b32_e32 v14, v23, v24, vcc
	v_mov_b32_e32 v22, 0x3b800000
	v_lshlrev_b32_e32 v10, 20, v10
	v_lshl_add_u32 v14, v14, 23, v22
	v_or3_b32 v14, v21, v14, v10
.LBB4_32:
	s_or_b64 exec, exec, s[6:7]
	s_nop 0
	v_mfma_f32_16x16x4f32 a[0:3], v20, v14, a[0:3]
	s_movk_i32 s4, 0x7f
	v_cmp_gt_i16_sdwa s[6:7], v15, s4 src0_sel:BYTE_0 src1_sel:DWORD
	s_mov_b64 s[4:5], 0
                                        ; implicit-def: $sgpr10
	s_and_saveexec_b64 s[8:9], s[6:7]
	s_xor_b64 s[6:7], exec, s[8:9]
	s_cbranch_execnz .LBB4_2081
; %bb.33:
	s_or_saveexec_b64 s[6:7], s[6:7]
	v_mov_b32_e32 v10, s10
	s_xor_b64 exec, exec, s[6:7]
	s_cbranch_execnz .LBB4_2084
.LBB4_34:
	s_or_b64 exec, exec, s[6:7]
	s_and_saveexec_b64 s[6:7], s[4:5]
	s_cbranch_execz .LBB4_36
.LBB4_35:
	v_and_b32_e32 v10, 7, v15
	v_ffbh_u32_e32 v20, v10
	v_min_u32_e32 v20, 32, v20
	v_lshrrev_b16_e32 v14, 3, v15
	v_subrev_u32_e32 v21, 28, v20
	v_and_b32_e32 v14, 15, v14
	v_lshlrev_b32_e32 v21, v21, v15
	v_sub_u32_e32 v20, 29, v20
	v_and_b32_e32 v21, 7, v21
	v_cmp_eq_u16_e32 vcc, 0, v14
	v_cndmask_b32_e32 v10, v10, v21, vcc
	v_cndmask_b32_e32 v14, v14, v20, vcc
	v_lshlrev_b32_e32 v20, 24, v15
	v_mov_b32_e32 v21, 0x3b800000
	v_lshlrev_b32_e32 v10, 20, v10
	v_and_b32_e32 v20, 0x80000000, v20
	v_lshl_add_u32 v14, v14, 23, v21
	v_or3_b32 v10, v20, v14, v10
.LBB4_36:
	s_or_b64 exec, exec, s[6:7]
	s_movk_i32 s4, 0x7f
	v_cmp_gt_i16_sdwa s[6:7], v11, s4 src0_sel:BYTE_0 src1_sel:DWORD
	s_mov_b64 s[4:5], 0
                                        ; implicit-def: $sgpr10
	s_and_saveexec_b64 s[8:9], s[6:7]
	s_xor_b64 s[6:7], exec, s[8:9]
	s_cbranch_execnz .LBB4_2085
; %bb.37:
	s_or_saveexec_b64 s[6:7], s[6:7]
	v_mov_b32_e32 v14, s10
	s_xor_b64 exec, exec, s[6:7]
	s_cbranch_execnz .LBB4_2088
.LBB4_38:
	s_or_b64 exec, exec, s[6:7]
	s_and_saveexec_b64 s[6:7], s[4:5]
	s_cbranch_execz .LBB4_40
.LBB4_39:
	v_and_b32_e32 v14, 7, v11
	v_ffbh_u32_e32 v21, v14
	v_min_u32_e32 v21, 32, v21
	v_lshrrev_b16_e32 v20, 3, v11
	v_subrev_u32_e32 v22, 28, v21
	v_and_b32_e32 v20, 15, v20
	v_lshlrev_b32_e32 v22, v22, v11
	v_sub_u32_e32 v21, 29, v21
	v_and_b32_e32 v22, 7, v22
	v_cmp_eq_u16_e32 vcc, 0, v20
	v_cndmask_b32_e32 v14, v14, v22, vcc
	v_cndmask_b32_e32 v20, v20, v21, vcc
	v_lshlrev_b32_e32 v21, 24, v11
	v_mov_b32_e32 v22, 0x3b800000
	v_lshlrev_b32_e32 v14, 20, v14
	v_and_b32_e32 v21, 0x80000000, v21
	v_lshl_add_u32 v20, v20, 23, v22
	v_or3_b32 v14, v21, v20, v14
.LBB4_40:
	s_or_b64 exec, exec, s[6:7]
	s_nop 0
	v_mfma_f32_16x16x4f32 a[0:3], v10, v14, a[0:3]
	v_lshrrev_b32_e32 v14, 8, v15
	s_movk_i32 s4, 0x7f
	v_cmp_gt_i16_sdwa s[6:7], v14, s4 src0_sel:BYTE_0 src1_sel:DWORD
	s_mov_b64 s[4:5], 0
                                        ; implicit-def: $sgpr10
	s_and_saveexec_b64 s[8:9], s[6:7]
	s_xor_b64 s[6:7], exec, s[8:9]
	s_cbranch_execnz .LBB4_2089
; %bb.41:
	s_or_saveexec_b64 s[6:7], s[6:7]
	v_mov_b32_e32 v10, s10
	s_xor_b64 exec, exec, s[6:7]
	s_cbranch_execnz .LBB4_2092
.LBB4_42:
	s_or_b64 exec, exec, s[6:7]
	s_and_saveexec_b64 s[6:7], s[4:5]
	s_cbranch_execz .LBB4_44
.LBB4_43:
	v_bfe_u32 v10, v15, 8, 3
	v_ffbh_u32_e32 v21, v10
	v_min_u32_e32 v21, 32, v21
	v_lshrrev_b16_e32 v20, 3, v14
	v_subrev_u32_e32 v22, 28, v21
	v_and_b32_e32 v20, 15, v20
	v_lshlrev_b32_e32 v14, v22, v14
	v_sub_u32_e32 v21, 29, v21
	v_and_b32_e32 v14, 7, v14
	v_cmp_eq_u16_e32 vcc, 0, v20
	v_cndmask_b32_e32 v10, v10, v14, vcc
	v_cndmask_b32_e32 v14, v20, v21, vcc
	v_lshlrev_b32_e32 v20, 16, v15
	v_mov_b32_e32 v21, 0x3b800000
	v_lshlrev_b32_e32 v10, 20, v10
	v_and_b32_e32 v20, 0x80000000, v20
	v_lshl_add_u32 v14, v14, 23, v21
	v_or3_b32 v10, v20, v14, v10
.LBB4_44:
	s_or_b64 exec, exec, s[6:7]
	v_lshrrev_b32_e32 v14, 8, v11
	s_movk_i32 s4, 0x7f
	v_cmp_gt_i16_sdwa s[6:7], v14, s4 src0_sel:BYTE_0 src1_sel:DWORD
	s_mov_b64 s[4:5], 0
                                        ; implicit-def: $sgpr10
	s_and_saveexec_b64 s[8:9], s[6:7]
	s_xor_b64 s[6:7], exec, s[8:9]
	s_cbranch_execnz .LBB4_2093
; %bb.45:
	s_or_saveexec_b64 s[6:7], s[6:7]
	v_mov_b32_e32 v20, s10
	s_xor_b64 exec, exec, s[6:7]
	s_cbranch_execnz .LBB4_2096
.LBB4_46:
	s_or_b64 exec, exec, s[6:7]
	s_and_saveexec_b64 s[6:7], s[4:5]
	s_cbranch_execz .LBB4_48
.LBB4_47:
	v_bfe_u32 v20, v11, 8, 3
	v_ffbh_u32_e32 v22, v20
	v_min_u32_e32 v22, 32, v22
	v_lshrrev_b16_e32 v21, 3, v14
	v_subrev_u32_e32 v23, 28, v22
	v_and_b32_e32 v21, 15, v21
	v_lshlrev_b32_e32 v14, v23, v14
	v_sub_u32_e32 v22, 29, v22
	v_and_b32_e32 v14, 7, v14
	v_cmp_eq_u16_e32 vcc, 0, v21
	v_cndmask_b32_e32 v14, v20, v14, vcc
	v_cndmask_b32_e32 v20, v21, v22, vcc
	v_lshlrev_b32_e32 v21, 16, v11
	v_mov_b32_e32 v22, 0x3b800000
	v_lshlrev_b32_e32 v14, 20, v14
	v_and_b32_e32 v21, 0x80000000, v21
	v_lshl_add_u32 v20, v20, 23, v22
	v_or3_b32 v20, v21, v20, v14
.LBB4_48:
	s_or_b64 exec, exec, s[6:7]
	s_nop 0
	v_mfma_f32_16x16x4f32 a[0:3], v10, v20, a[0:3]
	s_movk_i32 s4, 0xff
	v_and_b32_sdwa v14, v15, s4 dst_sel:DWORD dst_unused:UNUSED_PAD src0_sel:WORD_1 src1_sel:DWORD
	s_movk_i32 s4, 0x7f
	v_cmp_lt_i16_e32 vcc, s4, v14
	s_mov_b64 s[4:5], 0
                                        ; implicit-def: $sgpr10
	s_and_saveexec_b64 s[6:7], vcc
	s_xor_b64 s[6:7], exec, s[6:7]
	s_cbranch_execnz .LBB4_2097
; %bb.49:
	s_or_saveexec_b64 s[6:7], s[6:7]
	v_mov_b32_e32 v10, s10
	s_xor_b64 exec, exec, s[6:7]
	s_cbranch_execnz .LBB4_2100
.LBB4_50:
	s_or_b64 exec, exec, s[6:7]
	s_and_saveexec_b64 s[6:7], s[4:5]
	s_cbranch_execz .LBB4_52
.LBB4_51:
	v_bfe_u32 v10, v15, 16, 3
	v_ffbh_u32_e32 v21, v10
	v_min_u32_e32 v21, 32, v21
	v_lshrrev_b32_e32 v14, 19, v15
	v_subrev_u32_e32 v22, 28, v21
	v_and_b32_e32 v14, 15, v14
	v_lshlrev_b32_sdwa v22, v22, v15 dst_sel:DWORD dst_unused:UNUSED_PAD src0_sel:DWORD src1_sel:WORD_1
	v_bfe_u32 v20, v15, 19, 4
	v_sub_u32_e32 v21, 29, v21
	v_and_b32_e32 v22, 7, v22
	v_cmp_eq_u16_e32 vcc, 0, v14
	v_cndmask_b32_e32 v10, v10, v22, vcc
	v_cndmask_b32_e32 v14, v20, v21, vcc
	v_lshlrev_b32_e32 v20, 8, v15
	v_mov_b32_e32 v21, 0x3b800000
	v_lshlrev_b32_e32 v10, 20, v10
	v_and_b32_e32 v20, 0x80000000, v20
	v_lshl_add_u32 v14, v14, 23, v21
	v_or3_b32 v10, v20, v14, v10
.LBB4_52:
	s_or_b64 exec, exec, s[6:7]
	s_movk_i32 s4, 0xff
	v_and_b32_sdwa v14, v11, s4 dst_sel:DWORD dst_unused:UNUSED_PAD src0_sel:WORD_1 src1_sel:DWORD
	s_movk_i32 s4, 0x7f
	v_cmp_lt_i16_e32 vcc, s4, v14
	s_mov_b64 s[4:5], 0
                                        ; implicit-def: $sgpr10
	s_and_saveexec_b64 s[6:7], vcc
	s_xor_b64 s[6:7], exec, s[6:7]
	s_cbranch_execnz .LBB4_2101
; %bb.53:
	s_or_saveexec_b64 s[6:7], s[6:7]
	v_mov_b32_e32 v20, s10
	s_xor_b64 exec, exec, s[6:7]
	s_cbranch_execnz .LBB4_2104
.LBB4_54:
	s_or_b64 exec, exec, s[6:7]
	s_and_saveexec_b64 s[6:7], s[4:5]
	s_cbranch_execz .LBB4_56
.LBB4_55:
	v_bfe_u32 v14, v11, 16, 3
	v_ffbh_u32_e32 v22, v14
	v_min_u32_e32 v22, 32, v22
	v_lshrrev_b32_e32 v20, 19, v11
	v_subrev_u32_e32 v23, 28, v22
	v_and_b32_e32 v20, 15, v20
	v_lshlrev_b32_sdwa v23, v23, v11 dst_sel:DWORD dst_unused:UNUSED_PAD src0_sel:DWORD src1_sel:WORD_1
	v_bfe_u32 v21, v11, 19, 4
	v_sub_u32_e32 v22, 29, v22
	v_and_b32_e32 v23, 7, v23
	v_cmp_eq_u16_e32 vcc, 0, v20
	v_cndmask_b32_e32 v14, v14, v23, vcc
	v_cndmask_b32_e32 v20, v21, v22, vcc
	v_lshlrev_b32_e32 v21, 8, v11
	v_mov_b32_e32 v22, 0x3b800000
	v_lshlrev_b32_e32 v14, 20, v14
	v_and_b32_e32 v21, 0x80000000, v21
	v_lshl_add_u32 v20, v20, 23, v22
	v_or3_b32 v20, v21, v20, v14
.LBB4_56:
	s_or_b64 exec, exec, s[6:7]
	s_nop 0
	v_mfma_f32_16x16x4f32 a[0:3], v10, v20, a[0:3]
	s_movk_i32 s4, 0x7f
	v_cmp_gt_i16_sdwa s[6:7], v15, s4 src0_sel:BYTE_3 src1_sel:DWORD
	s_mov_b64 s[4:5], 0
                                        ; implicit-def: $sgpr10
	s_and_saveexec_b64 s[8:9], s[6:7]
	s_xor_b64 s[6:7], exec, s[8:9]
	s_cbranch_execnz .LBB4_2105
; %bb.57:
	s_or_saveexec_b64 s[6:7], s[6:7]
	v_mov_b32_e32 v10, s10
	s_xor_b64 exec, exec, s[6:7]
	s_cbranch_execnz .LBB4_2108
.LBB4_58:
	s_or_b64 exec, exec, s[6:7]
	s_and_saveexec_b64 s[6:7], s[4:5]
	s_cbranch_execz .LBB4_60
.LBB4_59:
	v_bfe_u32 v10, v15, 24, 3
	v_ffbh_u32_e32 v22, v10
	v_min_u32_e32 v22, 32, v22
	v_lshrrev_b32_e32 v20, 27, v15
	v_subrev_u32_e32 v23, 28, v22
	v_and_b32_e32 v14, 0x80000000, v15
	v_and_b32_e32 v20, 15, v20
	v_bfe_u32 v21, v15, 27, 4
	v_lshlrev_b32_sdwa v15, v23, v15 dst_sel:DWORD dst_unused:UNUSED_PAD src0_sel:DWORD src1_sel:BYTE_3
	v_sub_u32_e32 v22, 29, v22
	v_and_b32_e32 v15, 7, v15
	v_cmp_eq_u16_e32 vcc, 0, v20
	v_cndmask_b32_e32 v10, v10, v15, vcc
	v_cndmask_b32_e32 v15, v21, v22, vcc
	v_mov_b32_e32 v20, 0x3b800000
	v_lshlrev_b32_e32 v10, 20, v10
	v_lshl_add_u32 v15, v15, 23, v20
	v_or3_b32 v10, v14, v15, v10
.LBB4_60:
	s_or_b64 exec, exec, s[6:7]
	s_movk_i32 s4, 0x7f
	v_cmp_gt_i16_sdwa s[6:7], v11, s4 src0_sel:BYTE_3 src1_sel:DWORD
	s_mov_b64 s[4:5], 0
                                        ; implicit-def: $sgpr10
	s_and_saveexec_b64 s[8:9], s[6:7]
	s_xor_b64 s[6:7], exec, s[8:9]
	s_cbranch_execnz .LBB4_2109
; %bb.61:
	s_or_saveexec_b64 s[6:7], s[6:7]
	v_mov_b32_e32 v14, s10
	s_xor_b64 exec, exec, s[6:7]
	s_cbranch_execnz .LBB4_2112
.LBB4_62:
	s_or_b64 exec, exec, s[6:7]
	s_and_saveexec_b64 s[6:7], s[4:5]
	s_cbranch_execz .LBB4_64
.LBB4_63:
	v_bfe_u32 v14, v11, 24, 3
	v_ffbh_u32_e32 v22, v14
	v_min_u32_e32 v22, 32, v22
	v_lshrrev_b32_e32 v20, 27, v11
	v_subrev_u32_e32 v23, 28, v22
	v_and_b32_e32 v15, 0x80000000, v11
	v_and_b32_e32 v20, 15, v20
	v_bfe_u32 v21, v11, 27, 4
	v_lshlrev_b32_sdwa v11, v23, v11 dst_sel:DWORD dst_unused:UNUSED_PAD src0_sel:DWORD src1_sel:BYTE_3
	v_sub_u32_e32 v22, 29, v22
	v_and_b32_e32 v11, 7, v11
	v_cmp_eq_u16_e32 vcc, 0, v20
	v_cndmask_b32_e32 v11, v14, v11, vcc
	v_cndmask_b32_e32 v14, v21, v22, vcc
	v_mov_b32_e32 v20, 0x3b800000
	v_lshlrev_b32_e32 v11, 20, v11
	v_lshl_add_u32 v14, v14, 23, v20
	v_or3_b32 v14, v15, v14, v11
.LBB4_64:
	s_or_b64 exec, exec, s[6:7]
	s_nop 0
	v_mfma_f32_16x16x4f32 a[0:3], v10, v14, a[0:3]
	s_movk_i32 s4, 0x7f
	v_cmp_gt_i16_sdwa s[6:7], v16, s4 src0_sel:BYTE_0 src1_sel:DWORD
	s_mov_b64 s[4:5], 0
                                        ; implicit-def: $sgpr10
	s_and_saveexec_b64 s[8:9], s[6:7]
	s_xor_b64 s[6:7], exec, s[8:9]
	s_cbranch_execnz .LBB4_2113
; %bb.65:
	s_or_saveexec_b64 s[6:7], s[6:7]
	v_mov_b32_e32 v10, s10
	s_xor_b64 exec, exec, s[6:7]
	s_cbranch_execnz .LBB4_2116
.LBB4_66:
	s_or_b64 exec, exec, s[6:7]
	s_and_saveexec_b64 s[6:7], s[4:5]
	s_cbranch_execz .LBB4_68
.LBB4_67:
	v_and_b32_e32 v10, 7, v16
	v_ffbh_u32_e32 v14, v10
	v_min_u32_e32 v14, 32, v14
	v_lshrrev_b16_e32 v11, 3, v16
	v_subrev_u32_e32 v15, 28, v14
	v_and_b32_e32 v11, 15, v11
	v_lshlrev_b32_e32 v15, v15, v16
	v_sub_u32_e32 v14, 29, v14
	v_and_b32_e32 v15, 7, v15
	v_cmp_eq_u16_e32 vcc, 0, v11
	v_cndmask_b32_e32 v10, v10, v15, vcc
	v_cndmask_b32_e32 v11, v11, v14, vcc
	v_lshlrev_b32_e32 v14, 24, v16
	v_mov_b32_e32 v15, 0x3b800000
	v_lshlrev_b32_e32 v10, 20, v10
	v_and_b32_e32 v14, 0x80000000, v14
	v_lshl_add_u32 v11, v11, 23, v15
	v_or3_b32 v10, v14, v11, v10
.LBB4_68:
	s_or_b64 exec, exec, s[6:7]
	s_movk_i32 s4, 0x7f
	v_cmp_gt_i16_sdwa s[6:7], v12, s4 src0_sel:BYTE_0 src1_sel:DWORD
	s_mov_b64 s[4:5], 0
                                        ; implicit-def: $sgpr10
	s_and_saveexec_b64 s[8:9], s[6:7]
	s_xor_b64 s[6:7], exec, s[8:9]
	s_cbranch_execnz .LBB4_2117
; %bb.69:
	s_or_saveexec_b64 s[6:7], s[6:7]
	v_mov_b32_e32 v11, s10
	s_xor_b64 exec, exec, s[6:7]
	s_cbranch_execnz .LBB4_2120
.LBB4_70:
	s_or_b64 exec, exec, s[6:7]
	s_and_saveexec_b64 s[6:7], s[4:5]
	s_cbranch_execz .LBB4_72
.LBB4_71:
	v_and_b32_e32 v11, 7, v12
	v_ffbh_u32_e32 v15, v11
	v_min_u32_e32 v15, 32, v15
	v_lshrrev_b16_e32 v14, 3, v12
	v_subrev_u32_e32 v20, 28, v15
	v_and_b32_e32 v14, 15, v14
	v_lshlrev_b32_e32 v20, v20, v12
	v_sub_u32_e32 v15, 29, v15
	v_and_b32_e32 v20, 7, v20
	v_cmp_eq_u16_e32 vcc, 0, v14
	v_cndmask_b32_e32 v11, v11, v20, vcc
	v_cndmask_b32_e32 v14, v14, v15, vcc
	v_lshlrev_b32_e32 v15, 24, v12
	v_mov_b32_e32 v20, 0x3b800000
	v_lshlrev_b32_e32 v11, 20, v11
	v_and_b32_e32 v15, 0x80000000, v15
	v_lshl_add_u32 v14, v14, 23, v20
	v_or3_b32 v11, v15, v14, v11
.LBB4_72:
	s_or_b64 exec, exec, s[6:7]
	s_nop 0
	v_mfma_f32_16x16x4f32 a[0:3], v10, v11, a[0:3]
	v_lshrrev_b32_e32 v11, 8, v16
	s_movk_i32 s4, 0x7f
	v_cmp_gt_i16_sdwa s[6:7], v11, s4 src0_sel:BYTE_0 src1_sel:DWORD
	s_mov_b64 s[4:5], 0
                                        ; implicit-def: $sgpr10
	s_and_saveexec_b64 s[8:9], s[6:7]
	s_xor_b64 s[6:7], exec, s[8:9]
	s_cbranch_execnz .LBB4_2121
; %bb.73:
	s_or_saveexec_b64 s[6:7], s[6:7]
	v_mov_b32_e32 v10, s10
	s_xor_b64 exec, exec, s[6:7]
	s_cbranch_execnz .LBB4_2124
.LBB4_74:
	s_or_b64 exec, exec, s[6:7]
	s_and_saveexec_b64 s[6:7], s[4:5]
	s_cbranch_execz .LBB4_76
.LBB4_75:
	v_bfe_u32 v10, v16, 8, 3
	v_ffbh_u32_e32 v15, v10
	v_min_u32_e32 v15, 32, v15
	v_lshrrev_b16_e32 v14, 3, v11
	v_subrev_u32_e32 v20, 28, v15
	v_and_b32_e32 v14, 15, v14
	v_lshlrev_b32_e32 v11, v20, v11
	v_sub_u32_e32 v15, 29, v15
	v_and_b32_e32 v11, 7, v11
	v_cmp_eq_u16_e32 vcc, 0, v14
	v_cndmask_b32_e32 v10, v10, v11, vcc
	v_cndmask_b32_e32 v11, v14, v15, vcc
	v_lshlrev_b32_e32 v14, 16, v16
	v_mov_b32_e32 v15, 0x3b800000
	v_lshlrev_b32_e32 v10, 20, v10
	v_and_b32_e32 v14, 0x80000000, v14
	v_lshl_add_u32 v11, v11, 23, v15
	v_or3_b32 v10, v14, v11, v10
.LBB4_76:
	s_or_b64 exec, exec, s[6:7]
	v_lshrrev_b32_e32 v11, 8, v12
	s_movk_i32 s4, 0x7f
	v_cmp_gt_i16_sdwa s[6:7], v11, s4 src0_sel:BYTE_0 src1_sel:DWORD
	s_mov_b64 s[4:5], 0
                                        ; implicit-def: $sgpr10
	s_and_saveexec_b64 s[8:9], s[6:7]
	s_xor_b64 s[6:7], exec, s[8:9]
	s_cbranch_execnz .LBB4_2125
; %bb.77:
	s_or_saveexec_b64 s[6:7], s[6:7]
	v_mov_b32_e32 v14, s10
	s_xor_b64 exec, exec, s[6:7]
	s_cbranch_execnz .LBB4_2128
.LBB4_78:
	s_or_b64 exec, exec, s[6:7]
	s_and_saveexec_b64 s[6:7], s[4:5]
	s_cbranch_execz .LBB4_80
.LBB4_79:
	v_bfe_u32 v14, v12, 8, 3
	v_ffbh_u32_e32 v20, v14
	v_min_u32_e32 v20, 32, v20
	v_lshrrev_b16_e32 v15, 3, v11
	v_subrev_u32_e32 v21, 28, v20
	v_and_b32_e32 v15, 15, v15
	v_lshlrev_b32_e32 v11, v21, v11
	v_sub_u32_e32 v20, 29, v20
	v_and_b32_e32 v11, 7, v11
	v_cmp_eq_u16_e32 vcc, 0, v15
	v_cndmask_b32_e32 v11, v14, v11, vcc
	v_cndmask_b32_e32 v14, v15, v20, vcc
	v_lshlrev_b32_e32 v15, 16, v12
	v_mov_b32_e32 v20, 0x3b800000
	v_lshlrev_b32_e32 v11, 20, v11
	v_and_b32_e32 v15, 0x80000000, v15
	v_lshl_add_u32 v14, v14, 23, v20
	v_or3_b32 v14, v15, v14, v11
.LBB4_80:
	s_or_b64 exec, exec, s[6:7]
	s_nop 0
	v_mfma_f32_16x16x4f32 a[0:3], v10, v14, a[0:3]
	s_movk_i32 s4, 0xff
	v_and_b32_sdwa v11, v16, s4 dst_sel:DWORD dst_unused:UNUSED_PAD src0_sel:WORD_1 src1_sel:DWORD
	s_movk_i32 s4, 0x7f
	v_cmp_lt_i16_e32 vcc, s4, v11
	s_mov_b64 s[4:5], 0
                                        ; implicit-def: $sgpr10
	s_and_saveexec_b64 s[6:7], vcc
	s_xor_b64 s[6:7], exec, s[6:7]
	s_cbranch_execnz .LBB4_2129
; %bb.81:
	s_or_saveexec_b64 s[6:7], s[6:7]
	v_mov_b32_e32 v10, s10
	s_xor_b64 exec, exec, s[6:7]
	s_cbranch_execnz .LBB4_2132
.LBB4_82:
	s_or_b64 exec, exec, s[6:7]
	s_and_saveexec_b64 s[6:7], s[4:5]
	s_cbranch_execz .LBB4_84
.LBB4_83:
	v_bfe_u32 v10, v16, 16, 3
	v_ffbh_u32_e32 v15, v10
	v_min_u32_e32 v15, 32, v15
	v_lshrrev_b32_e32 v11, 19, v16
	v_subrev_u32_e32 v20, 28, v15
	v_and_b32_e32 v11, 15, v11
	v_lshlrev_b32_sdwa v20, v20, v16 dst_sel:DWORD dst_unused:UNUSED_PAD src0_sel:DWORD src1_sel:WORD_1
	v_bfe_u32 v14, v16, 19, 4
	v_sub_u32_e32 v15, 29, v15
	v_and_b32_e32 v20, 7, v20
	v_cmp_eq_u16_e32 vcc, 0, v11
	v_cndmask_b32_e32 v10, v10, v20, vcc
	v_cndmask_b32_e32 v11, v14, v15, vcc
	v_lshlrev_b32_e32 v14, 8, v16
	v_mov_b32_e32 v15, 0x3b800000
	v_lshlrev_b32_e32 v10, 20, v10
	v_and_b32_e32 v14, 0x80000000, v14
	v_lshl_add_u32 v11, v11, 23, v15
	v_or3_b32 v10, v14, v11, v10
.LBB4_84:
	s_or_b64 exec, exec, s[6:7]
	s_movk_i32 s4, 0xff
	v_and_b32_sdwa v11, v12, s4 dst_sel:DWORD dst_unused:UNUSED_PAD src0_sel:WORD_1 src1_sel:DWORD
	s_movk_i32 s4, 0x7f
	v_cmp_lt_i16_e32 vcc, s4, v11
	s_mov_b64 s[4:5], 0
                                        ; implicit-def: $sgpr10
	s_and_saveexec_b64 s[6:7], vcc
	s_xor_b64 s[6:7], exec, s[6:7]
	s_cbranch_execnz .LBB4_2133
; %bb.85:
	s_or_saveexec_b64 s[6:7], s[6:7]
	v_mov_b32_e32 v14, s10
	s_xor_b64 exec, exec, s[6:7]
	s_cbranch_execnz .LBB4_2136
.LBB4_86:
	s_or_b64 exec, exec, s[6:7]
	s_and_saveexec_b64 s[6:7], s[4:5]
	s_cbranch_execz .LBB4_88
.LBB4_87:
	v_bfe_u32 v11, v12, 16, 3
	v_ffbh_u32_e32 v20, v11
	v_min_u32_e32 v20, 32, v20
	v_lshrrev_b32_e32 v14, 19, v12
	v_subrev_u32_e32 v21, 28, v20
	v_and_b32_e32 v14, 15, v14
	v_lshlrev_b32_sdwa v21, v21, v12 dst_sel:DWORD dst_unused:UNUSED_PAD src0_sel:DWORD src1_sel:WORD_1
	v_bfe_u32 v15, v12, 19, 4
	v_sub_u32_e32 v20, 29, v20
	v_and_b32_e32 v21, 7, v21
	v_cmp_eq_u16_e32 vcc, 0, v14
	v_cndmask_b32_e32 v11, v11, v21, vcc
	v_cndmask_b32_e32 v14, v15, v20, vcc
	v_lshlrev_b32_e32 v15, 8, v12
	v_mov_b32_e32 v20, 0x3b800000
	v_lshlrev_b32_e32 v11, 20, v11
	v_and_b32_e32 v15, 0x80000000, v15
	v_lshl_add_u32 v14, v14, 23, v20
	v_or3_b32 v14, v15, v14, v11
.LBB4_88:
	s_or_b64 exec, exec, s[6:7]
	s_nop 0
	v_mfma_f32_16x16x4f32 a[0:3], v10, v14, a[0:3]
	s_movk_i32 s4, 0x7f
	v_cmp_gt_i16_sdwa s[6:7], v16, s4 src0_sel:BYTE_3 src1_sel:DWORD
	s_mov_b64 s[4:5], 0
                                        ; implicit-def: $sgpr10
	s_and_saveexec_b64 s[8:9], s[6:7]
	s_xor_b64 s[6:7], exec, s[8:9]
	s_cbranch_execnz .LBB4_2137
; %bb.89:
	s_or_saveexec_b64 s[6:7], s[6:7]
	v_mov_b32_e32 v10, s10
	s_xor_b64 exec, exec, s[6:7]
	s_cbranch_execnz .LBB4_2140
.LBB4_90:
	s_or_b64 exec, exec, s[6:7]
	s_and_saveexec_b64 s[6:7], s[4:5]
	s_cbranch_execz .LBB4_92
.LBB4_91:
	v_bfe_u32 v10, v16, 24, 3
	v_ffbh_u32_e32 v20, v10
	v_min_u32_e32 v20, 32, v20
	v_lshrrev_b32_e32 v14, 27, v16
	v_subrev_u32_e32 v21, 28, v20
	v_and_b32_e32 v11, 0x80000000, v16
	v_and_b32_e32 v14, 15, v14
	v_bfe_u32 v15, v16, 27, 4
	v_lshlrev_b32_sdwa v16, v21, v16 dst_sel:DWORD dst_unused:UNUSED_PAD src0_sel:DWORD src1_sel:BYTE_3
	v_sub_u32_e32 v20, 29, v20
	v_and_b32_e32 v16, 7, v16
	v_cmp_eq_u16_e32 vcc, 0, v14
	v_cndmask_b32_e32 v10, v10, v16, vcc
	v_cndmask_b32_e32 v14, v15, v20, vcc
	v_mov_b32_e32 v15, 0x3b800000
	v_lshlrev_b32_e32 v10, 20, v10
	v_lshl_add_u32 v14, v14, 23, v15
	v_or3_b32 v10, v11, v14, v10
.LBB4_92:
	s_or_b64 exec, exec, s[6:7]
	s_movk_i32 s4, 0x7f
	v_cmp_gt_i16_sdwa s[6:7], v12, s4 src0_sel:BYTE_3 src1_sel:DWORD
	s_mov_b64 s[4:5], 0
                                        ; implicit-def: $sgpr10
	s_and_saveexec_b64 s[8:9], s[6:7]
	s_xor_b64 s[6:7], exec, s[8:9]
	s_cbranch_execnz .LBB4_2141
; %bb.93:
	s_or_saveexec_b64 s[6:7], s[6:7]
	v_mov_b32_e32 v11, s10
	s_xor_b64 exec, exec, s[6:7]
	s_cbranch_execnz .LBB4_2144
.LBB4_94:
	s_or_b64 exec, exec, s[6:7]
	s_and_saveexec_b64 s[6:7], s[4:5]
	s_cbranch_execz .LBB4_96
.LBB4_95:
	v_bfe_u32 v11, v12, 24, 3
	v_ffbh_u32_e32 v20, v11
	v_min_u32_e32 v20, 32, v20
	v_lshrrev_b32_e32 v15, 27, v12
	v_subrev_u32_e32 v21, 28, v20
	v_and_b32_e32 v14, 0x80000000, v12
	v_and_b32_e32 v15, 15, v15
	v_bfe_u32 v16, v12, 27, 4
	v_lshlrev_b32_sdwa v12, v21, v12 dst_sel:DWORD dst_unused:UNUSED_PAD src0_sel:DWORD src1_sel:BYTE_3
	v_sub_u32_e32 v20, 29, v20
	v_and_b32_e32 v12, 7, v12
	v_cmp_eq_u16_e32 vcc, 0, v15
	v_cndmask_b32_e32 v11, v11, v12, vcc
	v_cndmask_b32_e32 v12, v16, v20, vcc
	v_mov_b32_e32 v15, 0x3b800000
	v_lshlrev_b32_e32 v11, 20, v11
	v_lshl_add_u32 v12, v12, 23, v15
	v_or3_b32 v11, v14, v12, v11
.LBB4_96:
	s_or_b64 exec, exec, s[6:7]
	s_nop 0
	v_mfma_f32_16x16x4f32 a[0:3], v10, v11, a[0:3]
	s_movk_i32 s4, 0x7f
	v_cmp_gt_i16_sdwa s[6:7], v17, s4 src0_sel:BYTE_0 src1_sel:DWORD
	s_mov_b64 s[4:5], 0
                                        ; implicit-def: $sgpr10
	s_and_saveexec_b64 s[8:9], s[6:7]
	s_xor_b64 s[6:7], exec, s[8:9]
	s_cbranch_execnz .LBB4_2145
; %bb.97:
	s_or_saveexec_b64 s[6:7], s[6:7]
	v_mov_b32_e32 v10, s10
	s_xor_b64 exec, exec, s[6:7]
	s_cbranch_execnz .LBB4_2148
.LBB4_98:
	s_or_b64 exec, exec, s[6:7]
	s_and_saveexec_b64 s[6:7], s[4:5]
	s_cbranch_execz .LBB4_100
.LBB4_99:
	v_and_b32_e32 v10, 7, v17
	v_ffbh_u32_e32 v12, v10
	v_min_u32_e32 v12, 32, v12
	v_lshrrev_b16_e32 v11, 3, v17
	v_subrev_u32_e32 v14, 28, v12
	v_and_b32_e32 v11, 15, v11
	v_lshlrev_b32_e32 v14, v14, v17
	v_sub_u32_e32 v12, 29, v12
	v_and_b32_e32 v14, 7, v14
	v_cmp_eq_u16_e32 vcc, 0, v11
	v_cndmask_b32_e32 v10, v10, v14, vcc
	v_cndmask_b32_e32 v11, v11, v12, vcc
	v_lshlrev_b32_e32 v12, 24, v17
	v_mov_b32_e32 v14, 0x3b800000
	v_lshlrev_b32_e32 v10, 20, v10
	v_and_b32_e32 v12, 0x80000000, v12
	v_lshl_add_u32 v11, v11, 23, v14
	v_or3_b32 v10, v12, v11, v10
.LBB4_100:
	s_or_b64 exec, exec, s[6:7]
	s_movk_i32 s4, 0x7f
	v_cmp_gt_i16_sdwa s[6:7], v13, s4 src0_sel:BYTE_0 src1_sel:DWORD
	s_mov_b64 s[4:5], 0
                                        ; implicit-def: $sgpr10
	s_and_saveexec_b64 s[8:9], s[6:7]
	s_xor_b64 s[6:7], exec, s[8:9]
	s_cbranch_execnz .LBB4_2149
; %bb.101:
	s_or_saveexec_b64 s[6:7], s[6:7]
	v_mov_b32_e32 v11, s10
	s_xor_b64 exec, exec, s[6:7]
	s_cbranch_execnz .LBB4_2152
.LBB4_102:
	s_or_b64 exec, exec, s[6:7]
	s_and_saveexec_b64 s[6:7], s[4:5]
	s_cbranch_execz .LBB4_104
.LBB4_103:
	v_and_b32_e32 v11, 7, v13
	v_ffbh_u32_e32 v14, v11
	v_min_u32_e32 v14, 32, v14
	v_lshrrev_b16_e32 v12, 3, v13
	v_subrev_u32_e32 v15, 28, v14
	v_and_b32_e32 v12, 15, v12
	v_lshlrev_b32_e32 v15, v15, v13
	v_sub_u32_e32 v14, 29, v14
	v_and_b32_e32 v15, 7, v15
	v_cmp_eq_u16_e32 vcc, 0, v12
	v_cndmask_b32_e32 v11, v11, v15, vcc
	v_cndmask_b32_e32 v12, v12, v14, vcc
	v_lshlrev_b32_e32 v14, 24, v13
	v_mov_b32_e32 v15, 0x3b800000
	v_lshlrev_b32_e32 v11, 20, v11
	v_and_b32_e32 v14, 0x80000000, v14
	v_lshl_add_u32 v12, v12, 23, v15
	v_or3_b32 v11, v14, v12, v11
.LBB4_104:
	s_or_b64 exec, exec, s[6:7]
	s_nop 0
	v_mfma_f32_16x16x4f32 a[0:3], v10, v11, a[0:3]
	v_lshrrev_b32_e32 v11, 8, v17
	s_movk_i32 s4, 0x7f
	v_cmp_gt_i16_sdwa s[6:7], v11, s4 src0_sel:BYTE_0 src1_sel:DWORD
	s_mov_b64 s[4:5], 0
                                        ; implicit-def: $sgpr10
	s_and_saveexec_b64 s[8:9], s[6:7]
	s_xor_b64 s[6:7], exec, s[8:9]
	s_cbranch_execnz .LBB4_2153
; %bb.105:
	s_or_saveexec_b64 s[6:7], s[6:7]
	v_mov_b32_e32 v10, s10
	s_xor_b64 exec, exec, s[6:7]
	s_cbranch_execnz .LBB4_2156
.LBB4_106:
	s_or_b64 exec, exec, s[6:7]
	s_and_saveexec_b64 s[6:7], s[4:5]
	s_cbranch_execz .LBB4_108
.LBB4_107:
	v_bfe_u32 v10, v17, 8, 3
	v_ffbh_u32_e32 v14, v10
	v_min_u32_e32 v14, 32, v14
	v_lshrrev_b16_e32 v12, 3, v11
	v_subrev_u32_e32 v15, 28, v14
	v_and_b32_e32 v12, 15, v12
	v_lshlrev_b32_e32 v11, v15, v11
	v_sub_u32_e32 v14, 29, v14
	v_and_b32_e32 v11, 7, v11
	v_cmp_eq_u16_e32 vcc, 0, v12
	v_cndmask_b32_e32 v10, v10, v11, vcc
	v_cndmask_b32_e32 v11, v12, v14, vcc
	v_lshlrev_b32_e32 v12, 16, v17
	v_mov_b32_e32 v14, 0x3b800000
	v_lshlrev_b32_e32 v10, 20, v10
	v_and_b32_e32 v12, 0x80000000, v12
	v_lshl_add_u32 v11, v11, 23, v14
	v_or3_b32 v10, v12, v11, v10
.LBB4_108:
	s_or_b64 exec, exec, s[6:7]
	v_lshrrev_b32_e32 v11, 8, v13
	s_movk_i32 s4, 0x7f
	v_cmp_gt_i16_sdwa s[6:7], v11, s4 src0_sel:BYTE_0 src1_sel:DWORD
	s_mov_b64 s[4:5], 0
                                        ; implicit-def: $sgpr10
	s_and_saveexec_b64 s[8:9], s[6:7]
	s_xor_b64 s[6:7], exec, s[8:9]
	s_cbranch_execnz .LBB4_2157
; %bb.109:
	s_or_saveexec_b64 s[6:7], s[6:7]
	v_mov_b32_e32 v12, s10
	s_xor_b64 exec, exec, s[6:7]
	s_cbranch_execnz .LBB4_2160
.LBB4_110:
	s_or_b64 exec, exec, s[6:7]
	s_and_saveexec_b64 s[6:7], s[4:5]
	s_cbranch_execz .LBB4_112
.LBB4_111:
	v_bfe_u32 v12, v13, 8, 3
	v_ffbh_u32_e32 v15, v12
	v_min_u32_e32 v15, 32, v15
	v_lshrrev_b16_e32 v14, 3, v11
	v_subrev_u32_e32 v16, 28, v15
	v_and_b32_e32 v14, 15, v14
	v_lshlrev_b32_e32 v11, v16, v11
	v_sub_u32_e32 v15, 29, v15
	v_and_b32_e32 v11, 7, v11
	v_cmp_eq_u16_e32 vcc, 0, v14
	v_cndmask_b32_e32 v11, v12, v11, vcc
	v_cndmask_b32_e32 v12, v14, v15, vcc
	v_lshlrev_b32_e32 v14, 16, v13
	v_mov_b32_e32 v15, 0x3b800000
	v_lshlrev_b32_e32 v11, 20, v11
	v_and_b32_e32 v14, 0x80000000, v14
	v_lshl_add_u32 v12, v12, 23, v15
	v_or3_b32 v12, v14, v12, v11
.LBB4_112:
	s_or_b64 exec, exec, s[6:7]
	s_nop 0
	v_mfma_f32_16x16x4f32 a[0:3], v10, v12, a[0:3]
	s_movk_i32 s4, 0xff
	v_and_b32_sdwa v11, v17, s4 dst_sel:DWORD dst_unused:UNUSED_PAD src0_sel:WORD_1 src1_sel:DWORD
	s_movk_i32 s4, 0x7f
	v_cmp_lt_i16_e32 vcc, s4, v11
	s_mov_b64 s[4:5], 0
                                        ; implicit-def: $sgpr10
	s_and_saveexec_b64 s[6:7], vcc
	s_xor_b64 s[6:7], exec, s[6:7]
	s_cbranch_execnz .LBB4_2161
; %bb.113:
	s_or_saveexec_b64 s[6:7], s[6:7]
	v_mov_b32_e32 v10, s10
	s_xor_b64 exec, exec, s[6:7]
	s_cbranch_execnz .LBB4_2164
.LBB4_114:
	s_or_b64 exec, exec, s[6:7]
	s_and_saveexec_b64 s[6:7], s[4:5]
	s_cbranch_execz .LBB4_116
.LBB4_115:
	v_bfe_u32 v10, v17, 16, 3
	v_ffbh_u32_e32 v14, v10
	v_min_u32_e32 v14, 32, v14
	v_lshrrev_b32_e32 v11, 19, v17
	v_subrev_u32_e32 v15, 28, v14
	v_and_b32_e32 v11, 15, v11
	v_lshlrev_b32_sdwa v15, v15, v17 dst_sel:DWORD dst_unused:UNUSED_PAD src0_sel:DWORD src1_sel:WORD_1
	v_bfe_u32 v12, v17, 19, 4
	v_sub_u32_e32 v14, 29, v14
	v_and_b32_e32 v15, 7, v15
	v_cmp_eq_u16_e32 vcc, 0, v11
	v_cndmask_b32_e32 v10, v10, v15, vcc
	v_cndmask_b32_e32 v11, v12, v14, vcc
	v_lshlrev_b32_e32 v12, 8, v17
	v_mov_b32_e32 v14, 0x3b800000
	v_lshlrev_b32_e32 v10, 20, v10
	v_and_b32_e32 v12, 0x80000000, v12
	v_lshl_add_u32 v11, v11, 23, v14
	v_or3_b32 v10, v12, v11, v10
.LBB4_116:
	s_or_b64 exec, exec, s[6:7]
	s_movk_i32 s4, 0xff
	v_and_b32_sdwa v11, v13, s4 dst_sel:DWORD dst_unused:UNUSED_PAD src0_sel:WORD_1 src1_sel:DWORD
	s_movk_i32 s4, 0x7f
	v_cmp_lt_i16_e32 vcc, s4, v11
	s_mov_b64 s[4:5], 0
                                        ; implicit-def: $sgpr10
	s_and_saveexec_b64 s[6:7], vcc
	s_xor_b64 s[6:7], exec, s[6:7]
	s_cbranch_execnz .LBB4_2165
; %bb.117:
	s_or_saveexec_b64 s[6:7], s[6:7]
	v_mov_b32_e32 v12, s10
	s_xor_b64 exec, exec, s[6:7]
	s_cbranch_execnz .LBB4_2168
.LBB4_118:
	s_or_b64 exec, exec, s[6:7]
	s_and_saveexec_b64 s[6:7], s[4:5]
	s_cbranch_execz .LBB4_120
.LBB4_119:
	v_bfe_u32 v11, v13, 16, 3
	v_ffbh_u32_e32 v15, v11
	v_min_u32_e32 v15, 32, v15
	v_lshrrev_b32_e32 v12, 19, v13
	v_subrev_u32_e32 v16, 28, v15
	v_and_b32_e32 v12, 15, v12
	v_lshlrev_b32_sdwa v16, v16, v13 dst_sel:DWORD dst_unused:UNUSED_PAD src0_sel:DWORD src1_sel:WORD_1
	v_bfe_u32 v14, v13, 19, 4
	v_sub_u32_e32 v15, 29, v15
	v_and_b32_e32 v16, 7, v16
	v_cmp_eq_u16_e32 vcc, 0, v12
	v_cndmask_b32_e32 v11, v11, v16, vcc
	v_cndmask_b32_e32 v12, v14, v15, vcc
	v_lshlrev_b32_e32 v14, 8, v13
	v_mov_b32_e32 v15, 0x3b800000
	v_lshlrev_b32_e32 v11, 20, v11
	v_and_b32_e32 v14, 0x80000000, v14
	v_lshl_add_u32 v12, v12, 23, v15
	v_or3_b32 v12, v14, v12, v11
.LBB4_120:
	s_or_b64 exec, exec, s[6:7]
	s_nop 0
	v_mfma_f32_16x16x4f32 a[0:3], v10, v12, a[0:3]
	s_movk_i32 s4, 0x7f
	v_cmp_gt_i16_sdwa s[6:7], v17, s4 src0_sel:BYTE_3 src1_sel:DWORD
	s_mov_b64 s[4:5], 0
                                        ; implicit-def: $sgpr10
	s_and_saveexec_b64 s[8:9], s[6:7]
	s_xor_b64 s[6:7], exec, s[8:9]
	s_cbranch_execnz .LBB4_2169
; %bb.121:
	s_or_saveexec_b64 s[6:7], s[6:7]
	v_mov_b32_e32 v10, s10
	s_xor_b64 exec, exec, s[6:7]
	s_cbranch_execnz .LBB4_2172
.LBB4_122:
	s_or_b64 exec, exec, s[6:7]
	s_and_saveexec_b64 s[6:7], s[4:5]
	s_cbranch_execz .LBB4_124
.LBB4_123:
	v_bfe_u32 v10, v17, 24, 3
	v_ffbh_u32_e32 v15, v10
	v_min_u32_e32 v15, 32, v15
	v_lshrrev_b32_e32 v12, 27, v17
	v_subrev_u32_e32 v16, 28, v15
	v_and_b32_e32 v12, 15, v12
	v_lshlrev_b32_sdwa v16, v16, v17 dst_sel:DWORD dst_unused:UNUSED_PAD src0_sel:DWORD src1_sel:BYTE_3
	v_bfe_u32 v14, v17, 27, 4
	v_sub_u32_e32 v15, 29, v15
	v_and_b32_e32 v16, 7, v16
	v_cmp_eq_u16_e32 vcc, 0, v12
	v_cndmask_b32_e32 v10, v10, v16, vcc
	v_cndmask_b32_e32 v12, v14, v15, vcc
	v_mov_b32_e32 v14, 0x3b800000
	v_and_b32_e32 v11, 0x80000000, v17
	v_lshlrev_b32_e32 v10, 20, v10
	v_lshl_add_u32 v12, v12, 23, v14
	v_or3_b32 v10, v11, v12, v10
.LBB4_124:
	s_or_b64 exec, exec, s[6:7]
	s_movk_i32 s4, 0x7f
	v_cmp_gt_i16_sdwa s[6:7], v13, s4 src0_sel:BYTE_3 src1_sel:DWORD
	s_mov_b64 s[4:5], 0
                                        ; implicit-def: $sgpr10
	s_and_saveexec_b64 s[8:9], s[6:7]
	s_xor_b64 s[6:7], exec, s[8:9]
	s_cbranch_execnz .LBB4_2173
; %bb.125:
	s_or_saveexec_b64 s[6:7], s[6:7]
	v_mov_b32_e32 v11, s10
	s_xor_b64 exec, exec, s[6:7]
	s_cbranch_execnz .LBB4_2176
.LBB4_126:
	s_or_b64 exec, exec, s[6:7]
	s_and_saveexec_b64 s[6:7], s[4:5]
	s_cbranch_execz .LBB4_128
.LBB4_127:
	v_bfe_u32 v11, v13, 24, 3
	v_ffbh_u32_e32 v16, v11
	v_min_u32_e32 v16, 32, v16
	v_lshrrev_b32_e32 v14, 27, v13
	v_subrev_u32_e32 v17, 28, v16
	v_and_b32_e32 v12, 0x80000000, v13
	v_and_b32_e32 v14, 15, v14
	v_bfe_u32 v15, v13, 27, 4
	v_lshlrev_b32_sdwa v13, v17, v13 dst_sel:DWORD dst_unused:UNUSED_PAD src0_sel:DWORD src1_sel:BYTE_3
	v_sub_u32_e32 v16, 29, v16
	v_and_b32_e32 v13, 7, v13
	v_cmp_eq_u16_e32 vcc, 0, v14
	v_cndmask_b32_e32 v11, v11, v13, vcc
	v_cndmask_b32_e32 v13, v15, v16, vcc
	v_mov_b32_e32 v14, 0x3b800000
	v_lshlrev_b32_e32 v11, 20, v11
	v_lshl_add_u32 v13, v13, 23, v14
	v_or3_b32 v11, v12, v13, v11
.LBB4_128:
	s_or_b64 exec, exec, s[6:7]
	s_nop 0
	v_mfma_f32_16x16x4f32 a[0:3], v10, v11, a[0:3]
	s_movk_i32 s4, 0x7f
	v_cmp_gt_i16_sdwa s[6:7], v6, s4 src0_sel:BYTE_0 src1_sel:DWORD
	s_mov_b64 s[4:5], 0
                                        ; implicit-def: $sgpr10
	s_and_saveexec_b64 s[8:9], s[6:7]
	s_xor_b64 s[6:7], exec, s[8:9]
	s_cbranch_execnz .LBB4_2177
; %bb.129:
	s_or_saveexec_b64 s[6:7], s[6:7]
	v_mov_b32_e32 v10, s10
	s_xor_b64 exec, exec, s[6:7]
	s_cbranch_execnz .LBB4_2180
.LBB4_130:
	s_or_b64 exec, exec, s[6:7]
	s_and_saveexec_b64 s[6:7], s[4:5]
	s_cbranch_execz .LBB4_132
.LBB4_131:
	v_and_b32_e32 v10, 7, v6
	v_ffbh_u32_e32 v12, v10
	v_min_u32_e32 v12, 32, v12
	v_lshrrev_b16_e32 v11, 3, v6
	v_subrev_u32_e32 v13, 28, v12
	v_and_b32_e32 v11, 15, v11
	v_lshlrev_b32_e32 v13, v13, v6
	v_sub_u32_e32 v12, 29, v12
	v_and_b32_e32 v13, 7, v13
	v_cmp_eq_u16_e32 vcc, 0, v11
	v_cndmask_b32_e32 v10, v10, v13, vcc
	v_cndmask_b32_e32 v11, v11, v12, vcc
	v_lshlrev_b32_e32 v12, 24, v6
	v_mov_b32_e32 v13, 0x3b800000
	v_lshlrev_b32_e32 v10, 20, v10
	v_and_b32_e32 v12, 0x80000000, v12
	v_lshl_add_u32 v11, v11, 23, v13
	v_or3_b32 v10, v12, v11, v10
.LBB4_132:
	s_or_b64 exec, exec, s[6:7]
	s_movk_i32 s4, 0x7f
	v_cmp_gt_i16_sdwa s[6:7], v2, s4 src0_sel:BYTE_0 src1_sel:DWORD
	s_mov_b64 s[4:5], 0
                                        ; implicit-def: $sgpr10
	s_and_saveexec_b64 s[8:9], s[6:7]
	s_xor_b64 s[6:7], exec, s[8:9]
	s_cbranch_execnz .LBB4_2181
; %bb.133:
	s_or_saveexec_b64 s[6:7], s[6:7]
	v_mov_b32_e32 v11, s10
	s_xor_b64 exec, exec, s[6:7]
	s_cbranch_execnz .LBB4_2184
.LBB4_134:
	s_or_b64 exec, exec, s[6:7]
	s_and_saveexec_b64 s[6:7], s[4:5]
	s_cbranch_execz .LBB4_136
.LBB4_135:
	v_and_b32_e32 v11, 7, v2
	v_ffbh_u32_e32 v13, v11
	v_min_u32_e32 v13, 32, v13
	v_lshrrev_b16_e32 v12, 3, v2
	v_subrev_u32_e32 v14, 28, v13
	v_and_b32_e32 v12, 15, v12
	v_lshlrev_b32_e32 v14, v14, v2
	v_sub_u32_e32 v13, 29, v13
	v_and_b32_e32 v14, 7, v14
	v_cmp_eq_u16_e32 vcc, 0, v12
	v_cndmask_b32_e32 v11, v11, v14, vcc
	v_cndmask_b32_e32 v12, v12, v13, vcc
	v_lshlrev_b32_e32 v13, 24, v2
	v_mov_b32_e32 v14, 0x3b800000
	v_lshlrev_b32_e32 v11, 20, v11
	v_and_b32_e32 v13, 0x80000000, v13
	v_lshl_add_u32 v12, v12, 23, v14
	v_or3_b32 v11, v13, v12, v11
.LBB4_136:
	s_or_b64 exec, exec, s[6:7]
	s_nop 0
	v_mfma_f32_16x16x4f32 a[0:3], v10, v11, a[0:3]
	v_lshrrev_b32_e32 v11, 8, v6
	s_movk_i32 s4, 0x7f
	v_cmp_gt_i16_sdwa s[6:7], v11, s4 src0_sel:BYTE_0 src1_sel:DWORD
	s_mov_b64 s[4:5], 0
                                        ; implicit-def: $sgpr10
	s_and_saveexec_b64 s[8:9], s[6:7]
	s_xor_b64 s[6:7], exec, s[8:9]
	s_cbranch_execnz .LBB4_2185
; %bb.137:
	s_or_saveexec_b64 s[6:7], s[6:7]
	v_mov_b32_e32 v10, s10
	s_xor_b64 exec, exec, s[6:7]
	s_cbranch_execnz .LBB4_2188
.LBB4_138:
	s_or_b64 exec, exec, s[6:7]
	s_and_saveexec_b64 s[6:7], s[4:5]
	s_cbranch_execz .LBB4_140
.LBB4_139:
	v_bfe_u32 v10, v6, 8, 3
	v_ffbh_u32_e32 v13, v10
	v_min_u32_e32 v13, 32, v13
	v_lshrrev_b16_e32 v12, 3, v11
	v_subrev_u32_e32 v14, 28, v13
	v_and_b32_e32 v12, 15, v12
	v_lshlrev_b32_e32 v11, v14, v11
	v_sub_u32_e32 v13, 29, v13
	v_and_b32_e32 v11, 7, v11
	v_cmp_eq_u16_e32 vcc, 0, v12
	v_cndmask_b32_e32 v10, v10, v11, vcc
	v_cndmask_b32_e32 v11, v12, v13, vcc
	v_lshlrev_b32_e32 v12, 16, v6
	v_mov_b32_e32 v13, 0x3b800000
	v_lshlrev_b32_e32 v10, 20, v10
	v_and_b32_e32 v12, 0x80000000, v12
	v_lshl_add_u32 v11, v11, 23, v13
	v_or3_b32 v10, v12, v11, v10
.LBB4_140:
	s_or_b64 exec, exec, s[6:7]
	v_lshrrev_b32_e32 v11, 8, v2
	s_movk_i32 s4, 0x7f
	v_cmp_gt_i16_sdwa s[6:7], v11, s4 src0_sel:BYTE_0 src1_sel:DWORD
	s_mov_b64 s[4:5], 0
                                        ; implicit-def: $sgpr10
	s_and_saveexec_b64 s[8:9], s[6:7]
	s_xor_b64 s[6:7], exec, s[8:9]
	s_cbranch_execnz .LBB4_2189
; %bb.141:
	s_or_saveexec_b64 s[6:7], s[6:7]
	v_mov_b32_e32 v12, s10
	s_xor_b64 exec, exec, s[6:7]
	s_cbranch_execnz .LBB4_2192
.LBB4_142:
	s_or_b64 exec, exec, s[6:7]
	s_and_saveexec_b64 s[6:7], s[4:5]
	s_cbranch_execz .LBB4_144
.LBB4_143:
	v_bfe_u32 v12, v2, 8, 3
	v_ffbh_u32_e32 v14, v12
	v_min_u32_e32 v14, 32, v14
	v_lshrrev_b16_e32 v13, 3, v11
	v_subrev_u32_e32 v15, 28, v14
	v_and_b32_e32 v13, 15, v13
	v_lshlrev_b32_e32 v11, v15, v11
	v_sub_u32_e32 v14, 29, v14
	v_and_b32_e32 v11, 7, v11
	v_cmp_eq_u16_e32 vcc, 0, v13
	v_cndmask_b32_e32 v11, v12, v11, vcc
	v_cndmask_b32_e32 v12, v13, v14, vcc
	v_lshlrev_b32_e32 v13, 16, v2
	v_mov_b32_e32 v14, 0x3b800000
	v_lshlrev_b32_e32 v11, 20, v11
	v_and_b32_e32 v13, 0x80000000, v13
	v_lshl_add_u32 v12, v12, 23, v14
	v_or3_b32 v12, v13, v12, v11
.LBB4_144:
	s_or_b64 exec, exec, s[6:7]
	s_nop 0
	v_mfma_f32_16x16x4f32 a[0:3], v10, v12, a[0:3]
	s_movk_i32 s4, 0xff
	v_and_b32_sdwa v11, v6, s4 dst_sel:DWORD dst_unused:UNUSED_PAD src0_sel:WORD_1 src1_sel:DWORD
	s_movk_i32 s4, 0x7f
	v_cmp_lt_i16_e32 vcc, s4, v11
	s_mov_b64 s[4:5], 0
                                        ; implicit-def: $sgpr10
	s_and_saveexec_b64 s[6:7], vcc
	s_xor_b64 s[6:7], exec, s[6:7]
	s_cbranch_execnz .LBB4_2193
; %bb.145:
	s_or_saveexec_b64 s[6:7], s[6:7]
	v_mov_b32_e32 v10, s10
	s_xor_b64 exec, exec, s[6:7]
	s_cbranch_execnz .LBB4_2196
.LBB4_146:
	s_or_b64 exec, exec, s[6:7]
	s_and_saveexec_b64 s[6:7], s[4:5]
	s_cbranch_execz .LBB4_148
.LBB4_147:
	v_bfe_u32 v10, v6, 16, 3
	v_ffbh_u32_e32 v13, v10
	v_min_u32_e32 v13, 32, v13
	v_lshrrev_b32_e32 v11, 19, v6
	v_subrev_u32_e32 v14, 28, v13
	v_and_b32_e32 v11, 15, v11
	v_lshlrev_b32_sdwa v14, v14, v6 dst_sel:DWORD dst_unused:UNUSED_PAD src0_sel:DWORD src1_sel:WORD_1
	v_bfe_u32 v12, v6, 19, 4
	v_sub_u32_e32 v13, 29, v13
	v_and_b32_e32 v14, 7, v14
	v_cmp_eq_u16_e32 vcc, 0, v11
	v_cndmask_b32_e32 v10, v10, v14, vcc
	v_cndmask_b32_e32 v11, v12, v13, vcc
	v_lshlrev_b32_e32 v12, 8, v6
	v_mov_b32_e32 v13, 0x3b800000
	v_lshlrev_b32_e32 v10, 20, v10
	v_and_b32_e32 v12, 0x80000000, v12
	v_lshl_add_u32 v11, v11, 23, v13
	v_or3_b32 v10, v12, v11, v10
.LBB4_148:
	s_or_b64 exec, exec, s[6:7]
	s_movk_i32 s4, 0xff
	v_and_b32_sdwa v11, v2, s4 dst_sel:DWORD dst_unused:UNUSED_PAD src0_sel:WORD_1 src1_sel:DWORD
	s_movk_i32 s4, 0x7f
	v_cmp_lt_i16_e32 vcc, s4, v11
	s_mov_b64 s[4:5], 0
                                        ; implicit-def: $sgpr10
	s_and_saveexec_b64 s[6:7], vcc
	s_xor_b64 s[6:7], exec, s[6:7]
	s_cbranch_execnz .LBB4_2197
; %bb.149:
	s_or_saveexec_b64 s[6:7], s[6:7]
	v_mov_b32_e32 v12, s10
	s_xor_b64 exec, exec, s[6:7]
	s_cbranch_execnz .LBB4_2200
.LBB4_150:
	s_or_b64 exec, exec, s[6:7]
	s_and_saveexec_b64 s[6:7], s[4:5]
	s_cbranch_execz .LBB4_152
.LBB4_151:
	v_bfe_u32 v11, v2, 16, 3
	v_ffbh_u32_e32 v14, v11
	v_min_u32_e32 v14, 32, v14
	v_lshrrev_b32_e32 v12, 19, v2
	v_subrev_u32_e32 v15, 28, v14
	v_and_b32_e32 v12, 15, v12
	v_lshlrev_b32_sdwa v15, v15, v2 dst_sel:DWORD dst_unused:UNUSED_PAD src0_sel:DWORD src1_sel:WORD_1
	v_bfe_u32 v13, v2, 19, 4
	v_sub_u32_e32 v14, 29, v14
	v_and_b32_e32 v15, 7, v15
	v_cmp_eq_u16_e32 vcc, 0, v12
	v_cndmask_b32_e32 v11, v11, v15, vcc
	v_cndmask_b32_e32 v12, v13, v14, vcc
	v_lshlrev_b32_e32 v13, 8, v2
	v_mov_b32_e32 v14, 0x3b800000
	v_lshlrev_b32_e32 v11, 20, v11
	v_and_b32_e32 v13, 0x80000000, v13
	v_lshl_add_u32 v12, v12, 23, v14
	v_or3_b32 v12, v13, v12, v11
.LBB4_152:
	s_or_b64 exec, exec, s[6:7]
	s_nop 0
	v_mfma_f32_16x16x4f32 a[0:3], v10, v12, a[0:3]
	s_movk_i32 s4, 0x7f
	v_cmp_gt_i16_sdwa s[6:7], v6, s4 src0_sel:BYTE_3 src1_sel:DWORD
	s_mov_b64 s[4:5], 0
                                        ; implicit-def: $sgpr10
	s_and_saveexec_b64 s[8:9], s[6:7]
	s_xor_b64 s[6:7], exec, s[8:9]
	s_cbranch_execnz .LBB4_2201
; %bb.153:
	s_or_saveexec_b64 s[6:7], s[6:7]
	v_mov_b32_e32 v10, s10
	s_xor_b64 exec, exec, s[6:7]
	s_cbranch_execnz .LBB4_2204
.LBB4_154:
	s_or_b64 exec, exec, s[6:7]
	s_and_saveexec_b64 s[6:7], s[4:5]
	s_cbranch_execz .LBB4_156
.LBB4_155:
	v_bfe_u32 v10, v6, 24, 3
	v_ffbh_u32_e32 v14, v10
	v_min_u32_e32 v14, 32, v14
	v_lshrrev_b32_e32 v12, 27, v6
	v_subrev_u32_e32 v15, 28, v14
	v_and_b32_e32 v11, 0x80000000, v6
	v_and_b32_e32 v12, 15, v12
	v_bfe_u32 v13, v6, 27, 4
	v_lshlrev_b32_sdwa v6, v15, v6 dst_sel:DWORD dst_unused:UNUSED_PAD src0_sel:DWORD src1_sel:BYTE_3
	v_sub_u32_e32 v14, 29, v14
	v_and_b32_e32 v6, 7, v6
	v_cmp_eq_u16_e32 vcc, 0, v12
	v_cndmask_b32_e32 v6, v10, v6, vcc
	v_cndmask_b32_e32 v10, v13, v14, vcc
	v_mov_b32_e32 v12, 0x3b800000
	v_lshlrev_b32_e32 v6, 20, v6
	v_lshl_add_u32 v10, v10, 23, v12
	v_or3_b32 v10, v11, v10, v6
.LBB4_156:
	s_or_b64 exec, exec, s[6:7]
	s_movk_i32 s4, 0x7f
	v_cmp_gt_i16_sdwa s[6:7], v2, s4 src0_sel:BYTE_3 src1_sel:DWORD
	s_mov_b64 s[4:5], 0
                                        ; implicit-def: $sgpr10
	s_and_saveexec_b64 s[8:9], s[6:7]
	s_xor_b64 s[6:7], exec, s[8:9]
	s_cbranch_execnz .LBB4_2205
; %bb.157:
	s_or_saveexec_b64 s[6:7], s[6:7]
	v_mov_b32_e32 v6, s10
	s_xor_b64 exec, exec, s[6:7]
	s_cbranch_execnz .LBB4_2208
.LBB4_158:
	s_or_b64 exec, exec, s[6:7]
	s_and_saveexec_b64 s[6:7], s[4:5]
	s_cbranch_execz .LBB4_160
.LBB4_159:
	v_bfe_u32 v6, v2, 24, 3
	v_ffbh_u32_e32 v14, v6
	v_min_u32_e32 v14, 32, v14
	v_lshrrev_b32_e32 v12, 27, v2
	v_subrev_u32_e32 v15, 28, v14
	v_and_b32_e32 v11, 0x80000000, v2
	v_and_b32_e32 v12, 15, v12
	v_bfe_u32 v13, v2, 27, 4
	v_lshlrev_b32_sdwa v2, v15, v2 dst_sel:DWORD dst_unused:UNUSED_PAD src0_sel:DWORD src1_sel:BYTE_3
	v_sub_u32_e32 v14, 29, v14
	v_and_b32_e32 v2, 7, v2
	v_cmp_eq_u16_e32 vcc, 0, v12
	v_cndmask_b32_e32 v2, v6, v2, vcc
	v_cndmask_b32_e32 v6, v13, v14, vcc
	v_mov_b32_e32 v12, 0x3b800000
	v_lshlrev_b32_e32 v2, 20, v2
	v_lshl_add_u32 v6, v6, 23, v12
	v_or3_b32 v6, v11, v6, v2
.LBB4_160:
	s_or_b64 exec, exec, s[6:7]
	s_nop 0
	v_mfma_f32_16x16x4f32 a[0:3], v10, v6, a[0:3]
	s_movk_i32 s4, 0x7f
	v_cmp_gt_i16_sdwa s[6:7], v7, s4 src0_sel:BYTE_0 src1_sel:DWORD
	s_mov_b64 s[4:5], 0
                                        ; implicit-def: $sgpr10
	s_and_saveexec_b64 s[8:9], s[6:7]
	s_xor_b64 s[6:7], exec, s[8:9]
	s_cbranch_execnz .LBB4_2209
; %bb.161:
	s_or_saveexec_b64 s[6:7], s[6:7]
	v_mov_b32_e32 v2, s10
	s_xor_b64 exec, exec, s[6:7]
	s_cbranch_execnz .LBB4_2212
.LBB4_162:
	s_or_b64 exec, exec, s[6:7]
	s_and_saveexec_b64 s[6:7], s[4:5]
	s_cbranch_execz .LBB4_164
.LBB4_163:
	v_and_b32_e32 v2, 7, v7
	v_ffbh_u32_e32 v10, v2
	v_min_u32_e32 v10, 32, v10
	v_lshrrev_b16_e32 v6, 3, v7
	v_subrev_u32_e32 v11, 28, v10
	v_and_b32_e32 v6, 15, v6
	v_lshlrev_b32_e32 v11, v11, v7
	v_sub_u32_e32 v10, 29, v10
	v_and_b32_e32 v11, 7, v11
	v_cmp_eq_u16_e32 vcc, 0, v6
	v_cndmask_b32_e32 v2, v2, v11, vcc
	v_cndmask_b32_e32 v6, v6, v10, vcc
	v_lshlrev_b32_e32 v10, 24, v7
	v_mov_b32_e32 v11, 0x3b800000
	v_lshlrev_b32_e32 v2, 20, v2
	v_and_b32_e32 v10, 0x80000000, v10
	v_lshl_add_u32 v6, v6, 23, v11
	v_or3_b32 v2, v10, v6, v2
.LBB4_164:
	s_or_b64 exec, exec, s[6:7]
	s_movk_i32 s4, 0x7f
	v_cmp_gt_i16_sdwa s[6:7], v3, s4 src0_sel:BYTE_0 src1_sel:DWORD
	s_mov_b64 s[4:5], 0
                                        ; implicit-def: $sgpr10
	s_and_saveexec_b64 s[8:9], s[6:7]
	s_xor_b64 s[6:7], exec, s[8:9]
	s_cbranch_execnz .LBB4_2213
; %bb.165:
	s_or_saveexec_b64 s[6:7], s[6:7]
	v_mov_b32_e32 v6, s10
	s_xor_b64 exec, exec, s[6:7]
	s_cbranch_execnz .LBB4_2216
.LBB4_166:
	s_or_b64 exec, exec, s[6:7]
	s_and_saveexec_b64 s[6:7], s[4:5]
	s_cbranch_execz .LBB4_168
.LBB4_167:
	v_and_b32_e32 v6, 7, v3
	v_ffbh_u32_e32 v11, v6
	v_min_u32_e32 v11, 32, v11
	v_lshrrev_b16_e32 v10, 3, v3
	v_subrev_u32_e32 v12, 28, v11
	v_and_b32_e32 v10, 15, v10
	v_lshlrev_b32_e32 v12, v12, v3
	v_sub_u32_e32 v11, 29, v11
	v_and_b32_e32 v12, 7, v12
	v_cmp_eq_u16_e32 vcc, 0, v10
	v_cndmask_b32_e32 v6, v6, v12, vcc
	v_cndmask_b32_e32 v10, v10, v11, vcc
	v_lshlrev_b32_e32 v11, 24, v3
	v_mov_b32_e32 v12, 0x3b800000
	v_lshlrev_b32_e32 v6, 20, v6
	v_and_b32_e32 v11, 0x80000000, v11
	v_lshl_add_u32 v10, v10, 23, v12
	v_or3_b32 v6, v11, v10, v6
.LBB4_168:
	s_or_b64 exec, exec, s[6:7]
	s_nop 0
	v_mfma_f32_16x16x4f32 a[0:3], v2, v6, a[0:3]
	v_lshrrev_b32_e32 v6, 8, v7
	s_movk_i32 s4, 0x7f
	v_cmp_gt_i16_sdwa s[6:7], v6, s4 src0_sel:BYTE_0 src1_sel:DWORD
	s_mov_b64 s[4:5], 0
                                        ; implicit-def: $sgpr10
	s_and_saveexec_b64 s[8:9], s[6:7]
	s_xor_b64 s[6:7], exec, s[8:9]
	s_cbranch_execnz .LBB4_2217
; %bb.169:
	s_or_saveexec_b64 s[6:7], s[6:7]
	v_mov_b32_e32 v2, s10
	s_xor_b64 exec, exec, s[6:7]
	s_cbranch_execnz .LBB4_2220
.LBB4_170:
	s_or_b64 exec, exec, s[6:7]
	s_and_saveexec_b64 s[6:7], s[4:5]
	s_cbranch_execz .LBB4_172
.LBB4_171:
	v_bfe_u32 v2, v7, 8, 3
	v_ffbh_u32_e32 v11, v2
	v_min_u32_e32 v11, 32, v11
	v_lshrrev_b16_e32 v10, 3, v6
	v_subrev_u32_e32 v12, 28, v11
	v_and_b32_e32 v10, 15, v10
	v_lshlrev_b32_e32 v6, v12, v6
	v_sub_u32_e32 v11, 29, v11
	v_and_b32_e32 v6, 7, v6
	v_cmp_eq_u16_e32 vcc, 0, v10
	v_cndmask_b32_e32 v2, v2, v6, vcc
	v_cndmask_b32_e32 v6, v10, v11, vcc
	v_lshlrev_b32_e32 v10, 16, v7
	v_mov_b32_e32 v11, 0x3b800000
	v_lshlrev_b32_e32 v2, 20, v2
	v_and_b32_e32 v10, 0x80000000, v10
	v_lshl_add_u32 v6, v6, 23, v11
	v_or3_b32 v2, v10, v6, v2
.LBB4_172:
	s_or_b64 exec, exec, s[6:7]
	v_lshrrev_b32_e32 v6, 8, v3
	s_movk_i32 s4, 0x7f
	v_cmp_gt_i16_sdwa s[6:7], v6, s4 src0_sel:BYTE_0 src1_sel:DWORD
	s_mov_b64 s[4:5], 0
                                        ; implicit-def: $sgpr10
	s_and_saveexec_b64 s[8:9], s[6:7]
	s_xor_b64 s[6:7], exec, s[8:9]
	s_cbranch_execnz .LBB4_2221
; %bb.173:
	s_or_saveexec_b64 s[6:7], s[6:7]
	v_mov_b32_e32 v10, s10
	s_xor_b64 exec, exec, s[6:7]
	s_cbranch_execnz .LBB4_2224
.LBB4_174:
	s_or_b64 exec, exec, s[6:7]
	s_and_saveexec_b64 s[6:7], s[4:5]
	s_cbranch_execz .LBB4_176
.LBB4_175:
	v_bfe_u32 v10, v3, 8, 3
	v_ffbh_u32_e32 v12, v10
	v_min_u32_e32 v12, 32, v12
	v_lshrrev_b16_e32 v11, 3, v6
	v_subrev_u32_e32 v13, 28, v12
	v_and_b32_e32 v11, 15, v11
	v_lshlrev_b32_e32 v6, v13, v6
	v_sub_u32_e32 v12, 29, v12
	v_and_b32_e32 v6, 7, v6
	v_cmp_eq_u16_e32 vcc, 0, v11
	v_cndmask_b32_e32 v6, v10, v6, vcc
	v_cndmask_b32_e32 v10, v11, v12, vcc
	v_lshlrev_b32_e32 v11, 16, v3
	v_mov_b32_e32 v12, 0x3b800000
	v_lshlrev_b32_e32 v6, 20, v6
	v_and_b32_e32 v11, 0x80000000, v11
	v_lshl_add_u32 v10, v10, 23, v12
	v_or3_b32 v10, v11, v10, v6
.LBB4_176:
	s_or_b64 exec, exec, s[6:7]
	s_nop 0
	v_mfma_f32_16x16x4f32 a[0:3], v2, v10, a[0:3]
	s_movk_i32 s4, 0xff
	v_and_b32_sdwa v6, v7, s4 dst_sel:DWORD dst_unused:UNUSED_PAD src0_sel:WORD_1 src1_sel:DWORD
	s_movk_i32 s4, 0x7f
	v_cmp_lt_i16_e32 vcc, s4, v6
	s_mov_b64 s[4:5], 0
                                        ; implicit-def: $sgpr10
	s_and_saveexec_b64 s[6:7], vcc
	s_xor_b64 s[6:7], exec, s[6:7]
	s_cbranch_execnz .LBB4_2225
; %bb.177:
	s_or_saveexec_b64 s[6:7], s[6:7]
	v_mov_b32_e32 v2, s10
	s_xor_b64 exec, exec, s[6:7]
	s_cbranch_execnz .LBB4_2228
.LBB4_178:
	s_or_b64 exec, exec, s[6:7]
	s_and_saveexec_b64 s[6:7], s[4:5]
	s_cbranch_execz .LBB4_180
.LBB4_179:
	v_bfe_u32 v2, v7, 16, 3
	v_ffbh_u32_e32 v11, v2
	v_min_u32_e32 v11, 32, v11
	v_lshrrev_b32_e32 v6, 19, v7
	v_subrev_u32_e32 v12, 28, v11
	v_and_b32_e32 v6, 15, v6
	v_lshlrev_b32_sdwa v12, v12, v7 dst_sel:DWORD dst_unused:UNUSED_PAD src0_sel:DWORD src1_sel:WORD_1
	v_bfe_u32 v10, v7, 19, 4
	v_sub_u32_e32 v11, 29, v11
	v_and_b32_e32 v12, 7, v12
	v_cmp_eq_u16_e32 vcc, 0, v6
	v_cndmask_b32_e32 v2, v2, v12, vcc
	v_cndmask_b32_e32 v6, v10, v11, vcc
	v_lshlrev_b32_e32 v10, 8, v7
	v_mov_b32_e32 v11, 0x3b800000
	v_lshlrev_b32_e32 v2, 20, v2
	v_and_b32_e32 v10, 0x80000000, v10
	v_lshl_add_u32 v6, v6, 23, v11
	v_or3_b32 v2, v10, v6, v2
.LBB4_180:
	s_or_b64 exec, exec, s[6:7]
	s_movk_i32 s4, 0xff
	v_and_b32_sdwa v6, v3, s4 dst_sel:DWORD dst_unused:UNUSED_PAD src0_sel:WORD_1 src1_sel:DWORD
	s_movk_i32 s4, 0x7f
	v_cmp_lt_i16_e32 vcc, s4, v6
	s_mov_b64 s[4:5], 0
                                        ; implicit-def: $sgpr10
	s_and_saveexec_b64 s[6:7], vcc
	s_xor_b64 s[6:7], exec, s[6:7]
	s_cbranch_execnz .LBB4_2229
; %bb.181:
	s_or_saveexec_b64 s[6:7], s[6:7]
	v_mov_b32_e32 v10, s10
	s_xor_b64 exec, exec, s[6:7]
	s_cbranch_execnz .LBB4_2232
.LBB4_182:
	s_or_b64 exec, exec, s[6:7]
	s_and_saveexec_b64 s[6:7], s[4:5]
	s_cbranch_execz .LBB4_184
.LBB4_183:
	v_bfe_u32 v6, v3, 16, 3
	v_ffbh_u32_e32 v12, v6
	v_min_u32_e32 v12, 32, v12
	v_lshrrev_b32_e32 v10, 19, v3
	v_subrev_u32_e32 v13, 28, v12
	v_and_b32_e32 v10, 15, v10
	v_lshlrev_b32_sdwa v13, v13, v3 dst_sel:DWORD dst_unused:UNUSED_PAD src0_sel:DWORD src1_sel:WORD_1
	v_bfe_u32 v11, v3, 19, 4
	v_sub_u32_e32 v12, 29, v12
	v_and_b32_e32 v13, 7, v13
	v_cmp_eq_u16_e32 vcc, 0, v10
	v_cndmask_b32_e32 v6, v6, v13, vcc
	v_cndmask_b32_e32 v10, v11, v12, vcc
	v_lshlrev_b32_e32 v11, 8, v3
	v_mov_b32_e32 v12, 0x3b800000
	v_lshlrev_b32_e32 v6, 20, v6
	v_and_b32_e32 v11, 0x80000000, v11
	v_lshl_add_u32 v10, v10, 23, v12
	v_or3_b32 v10, v11, v10, v6
.LBB4_184:
	s_or_b64 exec, exec, s[6:7]
	s_nop 0
	v_mfma_f32_16x16x4f32 a[0:3], v2, v10, a[0:3]
	s_movk_i32 s4, 0x7f
	v_cmp_gt_i16_sdwa s[6:7], v7, s4 src0_sel:BYTE_3 src1_sel:DWORD
	s_mov_b64 s[4:5], 0
                                        ; implicit-def: $sgpr10
	s_and_saveexec_b64 s[8:9], s[6:7]
	s_xor_b64 s[6:7], exec, s[8:9]
	s_cbranch_execnz .LBB4_2233
; %bb.185:
	s_or_saveexec_b64 s[6:7], s[6:7]
	v_mov_b32_e32 v2, s10
	s_xor_b64 exec, exec, s[6:7]
	s_cbranch_execnz .LBB4_2236
.LBB4_186:
	s_or_b64 exec, exec, s[6:7]
	s_and_saveexec_b64 s[6:7], s[4:5]
	s_cbranch_execz .LBB4_188
.LBB4_187:
	v_bfe_u32 v2, v7, 24, 3
	v_ffbh_u32_e32 v12, v2
	v_min_u32_e32 v12, 32, v12
	v_lshrrev_b32_e32 v10, 27, v7
	v_subrev_u32_e32 v13, 28, v12
	v_and_b32_e32 v6, 0x80000000, v7
	v_and_b32_e32 v10, 15, v10
	v_bfe_u32 v11, v7, 27, 4
	v_lshlrev_b32_sdwa v7, v13, v7 dst_sel:DWORD dst_unused:UNUSED_PAD src0_sel:DWORD src1_sel:BYTE_3
	v_sub_u32_e32 v12, 29, v12
	v_and_b32_e32 v7, 7, v7
	v_cmp_eq_u16_e32 vcc, 0, v10
	v_cndmask_b32_e32 v2, v2, v7, vcc
	v_cndmask_b32_e32 v7, v11, v12, vcc
	v_mov_b32_e32 v10, 0x3b800000
	v_lshlrev_b32_e32 v2, 20, v2
	v_lshl_add_u32 v7, v7, 23, v10
	v_or3_b32 v2, v6, v7, v2
.LBB4_188:
	s_or_b64 exec, exec, s[6:7]
	s_movk_i32 s4, 0x7f
	v_cmp_gt_i16_sdwa s[6:7], v3, s4 src0_sel:BYTE_3 src1_sel:DWORD
	s_mov_b64 s[4:5], 0
                                        ; implicit-def: $sgpr10
	s_and_saveexec_b64 s[8:9], s[6:7]
	s_xor_b64 s[6:7], exec, s[8:9]
	s_cbranch_execnz .LBB4_2237
; %bb.189:
	s_or_saveexec_b64 s[6:7], s[6:7]
	v_mov_b32_e32 v6, s10
	s_xor_b64 exec, exec, s[6:7]
	s_cbranch_execnz .LBB4_2240
.LBB4_190:
	s_or_b64 exec, exec, s[6:7]
	s_and_saveexec_b64 s[6:7], s[4:5]
	s_cbranch_execz .LBB4_192
.LBB4_191:
	v_bfe_u32 v6, v3, 24, 3
	v_ffbh_u32_e32 v12, v6
	v_min_u32_e32 v12, 32, v12
	v_lshrrev_b32_e32 v10, 27, v3
	v_subrev_u32_e32 v13, 28, v12
	v_and_b32_e32 v7, 0x80000000, v3
	v_and_b32_e32 v10, 15, v10
	v_bfe_u32 v11, v3, 27, 4
	v_lshlrev_b32_sdwa v3, v13, v3 dst_sel:DWORD dst_unused:UNUSED_PAD src0_sel:DWORD src1_sel:BYTE_3
	v_sub_u32_e32 v12, 29, v12
	v_and_b32_e32 v3, 7, v3
	v_cmp_eq_u16_e32 vcc, 0, v10
	v_cndmask_b32_e32 v3, v6, v3, vcc
	v_cndmask_b32_e32 v6, v11, v12, vcc
	v_mov_b32_e32 v10, 0x3b800000
	v_lshlrev_b32_e32 v3, 20, v3
	v_lshl_add_u32 v6, v6, 23, v10
	v_or3_b32 v6, v7, v6, v3
.LBB4_192:
	s_or_b64 exec, exec, s[6:7]
	s_nop 0
	v_mfma_f32_16x16x4f32 a[0:3], v2, v6, a[0:3]
	s_movk_i32 s4, 0x7f
	v_cmp_gt_i16_sdwa s[6:7], v8, s4 src0_sel:BYTE_0 src1_sel:DWORD
	s_mov_b64 s[4:5], 0
                                        ; implicit-def: $sgpr10
	s_and_saveexec_b64 s[8:9], s[6:7]
	s_xor_b64 s[6:7], exec, s[8:9]
	s_cbranch_execnz .LBB4_2241
; %bb.193:
	s_or_saveexec_b64 s[6:7], s[6:7]
	v_mov_b32_e32 v2, s10
	s_xor_b64 exec, exec, s[6:7]
	s_cbranch_execnz .LBB4_2244
.LBB4_194:
	s_or_b64 exec, exec, s[6:7]
	s_and_saveexec_b64 s[6:7], s[4:5]
	s_cbranch_execz .LBB4_196
.LBB4_195:
	v_and_b32_e32 v2, 7, v8
	v_ffbh_u32_e32 v6, v2
	v_min_u32_e32 v6, 32, v6
	v_lshrrev_b16_e32 v3, 3, v8
	v_subrev_u32_e32 v7, 28, v6
	v_and_b32_e32 v3, 15, v3
	v_lshlrev_b32_e32 v7, v7, v8
	v_sub_u32_e32 v6, 29, v6
	v_and_b32_e32 v7, 7, v7
	v_cmp_eq_u16_e32 vcc, 0, v3
	v_cndmask_b32_e32 v2, v2, v7, vcc
	v_cndmask_b32_e32 v3, v3, v6, vcc
	v_lshlrev_b32_e32 v6, 24, v8
	v_mov_b32_e32 v7, 0x3b800000
	v_lshlrev_b32_e32 v2, 20, v2
	v_and_b32_e32 v6, 0x80000000, v6
	v_lshl_add_u32 v3, v3, 23, v7
	v_or3_b32 v2, v6, v3, v2
.LBB4_196:
	s_or_b64 exec, exec, s[6:7]
	s_movk_i32 s4, 0x7f
	v_cmp_gt_i16_sdwa s[6:7], v4, s4 src0_sel:BYTE_0 src1_sel:DWORD
	s_mov_b64 s[4:5], 0
                                        ; implicit-def: $sgpr10
	s_and_saveexec_b64 s[8:9], s[6:7]
	s_xor_b64 s[6:7], exec, s[8:9]
	s_cbranch_execnz .LBB4_2245
; %bb.197:
	s_or_saveexec_b64 s[6:7], s[6:7]
	v_mov_b32_e32 v3, s10
	s_xor_b64 exec, exec, s[6:7]
	s_cbranch_execnz .LBB4_2248
.LBB4_198:
	s_or_b64 exec, exec, s[6:7]
	s_and_saveexec_b64 s[6:7], s[4:5]
	s_cbranch_execz .LBB4_200
.LBB4_199:
	v_and_b32_e32 v3, 7, v4
	v_ffbh_u32_e32 v7, v3
	v_min_u32_e32 v7, 32, v7
	v_lshrrev_b16_e32 v6, 3, v4
	v_subrev_u32_e32 v10, 28, v7
	v_and_b32_e32 v6, 15, v6
	v_lshlrev_b32_e32 v10, v10, v4
	v_sub_u32_e32 v7, 29, v7
	v_and_b32_e32 v10, 7, v10
	v_cmp_eq_u16_e32 vcc, 0, v6
	v_cndmask_b32_e32 v3, v3, v10, vcc
	v_cndmask_b32_e32 v6, v6, v7, vcc
	v_lshlrev_b32_e32 v7, 24, v4
	v_mov_b32_e32 v10, 0x3b800000
	v_lshlrev_b32_e32 v3, 20, v3
	v_and_b32_e32 v7, 0x80000000, v7
	v_lshl_add_u32 v6, v6, 23, v10
	v_or3_b32 v3, v7, v6, v3
.LBB4_200:
	s_or_b64 exec, exec, s[6:7]
	s_nop 0
	v_mfma_f32_16x16x4f32 a[0:3], v2, v3, a[0:3]
	v_lshrrev_b32_e32 v3, 8, v8
	s_movk_i32 s4, 0x7f
	v_cmp_gt_i16_sdwa s[6:7], v3, s4 src0_sel:BYTE_0 src1_sel:DWORD
	s_mov_b64 s[4:5], 0
                                        ; implicit-def: $sgpr10
	s_and_saveexec_b64 s[8:9], s[6:7]
	s_xor_b64 s[6:7], exec, s[8:9]
	s_cbranch_execnz .LBB4_2249
; %bb.201:
	s_or_saveexec_b64 s[6:7], s[6:7]
	v_mov_b32_e32 v2, s10
	s_xor_b64 exec, exec, s[6:7]
	s_cbranch_execnz .LBB4_2252
.LBB4_202:
	s_or_b64 exec, exec, s[6:7]
	s_and_saveexec_b64 s[6:7], s[4:5]
	s_cbranch_execz .LBB4_204
.LBB4_203:
	v_bfe_u32 v2, v8, 8, 3
	v_ffbh_u32_e32 v7, v2
	v_min_u32_e32 v7, 32, v7
	v_lshrrev_b16_e32 v6, 3, v3
	v_subrev_u32_e32 v10, 28, v7
	v_and_b32_e32 v6, 15, v6
	v_lshlrev_b32_e32 v3, v10, v3
	v_sub_u32_e32 v7, 29, v7
	v_and_b32_e32 v3, 7, v3
	v_cmp_eq_u16_e32 vcc, 0, v6
	v_cndmask_b32_e32 v2, v2, v3, vcc
	v_cndmask_b32_e32 v3, v6, v7, vcc
	v_lshlrev_b32_e32 v6, 16, v8
	v_mov_b32_e32 v7, 0x3b800000
	v_lshlrev_b32_e32 v2, 20, v2
	v_and_b32_e32 v6, 0x80000000, v6
	v_lshl_add_u32 v3, v3, 23, v7
	v_or3_b32 v2, v6, v3, v2
.LBB4_204:
	s_or_b64 exec, exec, s[6:7]
	v_lshrrev_b32_e32 v3, 8, v4
	s_movk_i32 s4, 0x7f
	v_cmp_gt_i16_sdwa s[6:7], v3, s4 src0_sel:BYTE_0 src1_sel:DWORD
	s_mov_b64 s[4:5], 0
                                        ; implicit-def: $sgpr10
	s_and_saveexec_b64 s[8:9], s[6:7]
	s_xor_b64 s[6:7], exec, s[8:9]
	s_cbranch_execnz .LBB4_2253
; %bb.205:
	s_or_saveexec_b64 s[6:7], s[6:7]
	v_mov_b32_e32 v6, s10
	s_xor_b64 exec, exec, s[6:7]
	s_cbranch_execnz .LBB4_2256
.LBB4_206:
	s_or_b64 exec, exec, s[6:7]
	s_and_saveexec_b64 s[6:7], s[4:5]
	s_cbranch_execz .LBB4_208
.LBB4_207:
	v_bfe_u32 v6, v4, 8, 3
	v_ffbh_u32_e32 v10, v6
	v_min_u32_e32 v10, 32, v10
	v_lshrrev_b16_e32 v7, 3, v3
	v_subrev_u32_e32 v11, 28, v10
	v_and_b32_e32 v7, 15, v7
	v_lshlrev_b32_e32 v3, v11, v3
	v_sub_u32_e32 v10, 29, v10
	v_and_b32_e32 v3, 7, v3
	v_cmp_eq_u16_e32 vcc, 0, v7
	v_cndmask_b32_e32 v3, v6, v3, vcc
	v_cndmask_b32_e32 v6, v7, v10, vcc
	v_lshlrev_b32_e32 v7, 16, v4
	v_mov_b32_e32 v10, 0x3b800000
	v_lshlrev_b32_e32 v3, 20, v3
	v_and_b32_e32 v7, 0x80000000, v7
	v_lshl_add_u32 v6, v6, 23, v10
	v_or3_b32 v6, v7, v6, v3
.LBB4_208:
	s_or_b64 exec, exec, s[6:7]
	s_nop 0
	v_mfma_f32_16x16x4f32 a[0:3], v2, v6, a[0:3]
	s_movk_i32 s4, 0xff
	v_and_b32_sdwa v3, v8, s4 dst_sel:DWORD dst_unused:UNUSED_PAD src0_sel:WORD_1 src1_sel:DWORD
	s_movk_i32 s4, 0x7f
	v_cmp_lt_i16_e32 vcc, s4, v3
	s_mov_b64 s[4:5], 0
                                        ; implicit-def: $sgpr10
	s_and_saveexec_b64 s[6:7], vcc
	s_xor_b64 s[6:7], exec, s[6:7]
	s_cbranch_execnz .LBB4_2257
; %bb.209:
	s_or_saveexec_b64 s[6:7], s[6:7]
	v_mov_b32_e32 v2, s10
	s_xor_b64 exec, exec, s[6:7]
	s_cbranch_execnz .LBB4_2260
.LBB4_210:
	s_or_b64 exec, exec, s[6:7]
	s_and_saveexec_b64 s[6:7], s[4:5]
	s_cbranch_execz .LBB4_212
.LBB4_211:
	v_bfe_u32 v2, v8, 16, 3
	v_ffbh_u32_e32 v7, v2
	v_min_u32_e32 v7, 32, v7
	v_lshrrev_b32_e32 v3, 19, v8
	v_subrev_u32_e32 v10, 28, v7
	v_and_b32_e32 v3, 15, v3
	v_lshlrev_b32_sdwa v10, v10, v8 dst_sel:DWORD dst_unused:UNUSED_PAD src0_sel:DWORD src1_sel:WORD_1
	v_bfe_u32 v6, v8, 19, 4
	v_sub_u32_e32 v7, 29, v7
	v_and_b32_e32 v10, 7, v10
	v_cmp_eq_u16_e32 vcc, 0, v3
	v_cndmask_b32_e32 v2, v2, v10, vcc
	v_cndmask_b32_e32 v3, v6, v7, vcc
	v_lshlrev_b32_e32 v6, 8, v8
	v_mov_b32_e32 v7, 0x3b800000
	v_lshlrev_b32_e32 v2, 20, v2
	v_and_b32_e32 v6, 0x80000000, v6
	v_lshl_add_u32 v3, v3, 23, v7
	v_or3_b32 v2, v6, v3, v2
.LBB4_212:
	s_or_b64 exec, exec, s[6:7]
	s_movk_i32 s4, 0xff
	v_and_b32_sdwa v3, v4, s4 dst_sel:DWORD dst_unused:UNUSED_PAD src0_sel:WORD_1 src1_sel:DWORD
	s_movk_i32 s4, 0x7f
	v_cmp_lt_i16_e32 vcc, s4, v3
	s_mov_b64 s[4:5], 0
                                        ; implicit-def: $sgpr10
	s_and_saveexec_b64 s[6:7], vcc
	s_xor_b64 s[6:7], exec, s[6:7]
	s_cbranch_execnz .LBB4_2261
; %bb.213:
	s_or_saveexec_b64 s[6:7], s[6:7]
	v_mov_b32_e32 v6, s10
	s_xor_b64 exec, exec, s[6:7]
	s_cbranch_execnz .LBB4_2264
.LBB4_214:
	s_or_b64 exec, exec, s[6:7]
	s_and_saveexec_b64 s[6:7], s[4:5]
	s_cbranch_execz .LBB4_216
.LBB4_215:
	v_bfe_u32 v3, v4, 16, 3
	v_ffbh_u32_e32 v10, v3
	v_min_u32_e32 v10, 32, v10
	v_lshrrev_b32_e32 v6, 19, v4
	v_subrev_u32_e32 v11, 28, v10
	v_and_b32_e32 v6, 15, v6
	v_lshlrev_b32_sdwa v11, v11, v4 dst_sel:DWORD dst_unused:UNUSED_PAD src0_sel:DWORD src1_sel:WORD_1
	v_bfe_u32 v7, v4, 19, 4
	v_sub_u32_e32 v10, 29, v10
	v_and_b32_e32 v11, 7, v11
	v_cmp_eq_u16_e32 vcc, 0, v6
	v_cndmask_b32_e32 v3, v3, v11, vcc
	v_cndmask_b32_e32 v6, v7, v10, vcc
	v_lshlrev_b32_e32 v7, 8, v4
	v_mov_b32_e32 v10, 0x3b800000
	v_lshlrev_b32_e32 v3, 20, v3
	v_and_b32_e32 v7, 0x80000000, v7
	v_lshl_add_u32 v6, v6, 23, v10
	v_or3_b32 v6, v7, v6, v3
.LBB4_216:
	s_or_b64 exec, exec, s[6:7]
	s_nop 0
	v_mfma_f32_16x16x4f32 a[0:3], v2, v6, a[0:3]
	s_movk_i32 s4, 0x7f
	v_cmp_gt_i16_sdwa s[6:7], v8, s4 src0_sel:BYTE_3 src1_sel:DWORD
	s_mov_b64 s[4:5], 0
                                        ; implicit-def: $sgpr10
	s_and_saveexec_b64 s[8:9], s[6:7]
	s_xor_b64 s[6:7], exec, s[8:9]
	s_cbranch_execnz .LBB4_2265
; %bb.217:
	s_or_saveexec_b64 s[6:7], s[6:7]
	v_mov_b32_e32 v2, s10
	s_xor_b64 exec, exec, s[6:7]
	s_cbranch_execnz .LBB4_2268
.LBB4_218:
	s_or_b64 exec, exec, s[6:7]
	s_and_saveexec_b64 s[6:7], s[4:5]
	s_cbranch_execz .LBB4_220
.LBB4_219:
	v_bfe_u32 v2, v8, 24, 3
	v_ffbh_u32_e32 v10, v2
	v_min_u32_e32 v10, 32, v10
	v_lshrrev_b32_e32 v6, 27, v8
	v_subrev_u32_e32 v11, 28, v10
	v_and_b32_e32 v3, 0x80000000, v8
	v_and_b32_e32 v6, 15, v6
	v_bfe_u32 v7, v8, 27, 4
	v_lshlrev_b32_sdwa v8, v11, v8 dst_sel:DWORD dst_unused:UNUSED_PAD src0_sel:DWORD src1_sel:BYTE_3
	v_sub_u32_e32 v10, 29, v10
	v_and_b32_e32 v8, 7, v8
	v_cmp_eq_u16_e32 vcc, 0, v6
	v_cndmask_b32_e32 v2, v2, v8, vcc
	v_cndmask_b32_e32 v6, v7, v10, vcc
	v_mov_b32_e32 v7, 0x3b800000
	v_lshlrev_b32_e32 v2, 20, v2
	v_lshl_add_u32 v6, v6, 23, v7
	v_or3_b32 v2, v3, v6, v2
.LBB4_220:
	s_or_b64 exec, exec, s[6:7]
	s_movk_i32 s4, 0x7f
	v_cmp_gt_i16_sdwa s[6:7], v4, s4 src0_sel:BYTE_3 src1_sel:DWORD
	s_mov_b64 s[4:5], 0
                                        ; implicit-def: $sgpr10
	s_and_saveexec_b64 s[8:9], s[6:7]
	s_xor_b64 s[6:7], exec, s[8:9]
	s_cbranch_execnz .LBB4_2269
; %bb.221:
	s_or_saveexec_b64 s[6:7], s[6:7]
	v_mov_b32_e32 v3, s10
	s_xor_b64 exec, exec, s[6:7]
	s_cbranch_execnz .LBB4_2272
.LBB4_222:
	s_or_b64 exec, exec, s[6:7]
	s_and_saveexec_b64 s[6:7], s[4:5]
	s_cbranch_execz .LBB4_224
.LBB4_223:
	v_bfe_u32 v3, v4, 24, 3
	v_ffbh_u32_e32 v10, v3
	v_min_u32_e32 v10, 32, v10
	v_lshrrev_b32_e32 v7, 27, v4
	v_subrev_u32_e32 v11, 28, v10
	v_and_b32_e32 v6, 0x80000000, v4
	v_and_b32_e32 v7, 15, v7
	v_bfe_u32 v8, v4, 27, 4
	v_lshlrev_b32_sdwa v4, v11, v4 dst_sel:DWORD dst_unused:UNUSED_PAD src0_sel:DWORD src1_sel:BYTE_3
	v_sub_u32_e32 v10, 29, v10
	v_and_b32_e32 v4, 7, v4
	v_cmp_eq_u16_e32 vcc, 0, v7
	v_cndmask_b32_e32 v3, v3, v4, vcc
	v_cndmask_b32_e32 v4, v8, v10, vcc
	v_mov_b32_e32 v7, 0x3b800000
	v_lshlrev_b32_e32 v3, 20, v3
	v_lshl_add_u32 v4, v4, 23, v7
	v_or3_b32 v3, v6, v4, v3
.LBB4_224:
	s_or_b64 exec, exec, s[6:7]
	s_nop 0
	v_mfma_f32_16x16x4f32 a[0:3], v2, v3, a[0:3]
	s_movk_i32 s4, 0x7f
	v_cmp_gt_i16_sdwa s[6:7], v9, s4 src0_sel:BYTE_0 src1_sel:DWORD
	s_mov_b64 s[4:5], 0
                                        ; implicit-def: $sgpr10
	s_and_saveexec_b64 s[8:9], s[6:7]
	s_xor_b64 s[6:7], exec, s[8:9]
	s_cbranch_execnz .LBB4_2273
; %bb.225:
	s_or_saveexec_b64 s[6:7], s[6:7]
	v_mov_b32_e32 v2, s10
	s_xor_b64 exec, exec, s[6:7]
	s_cbranch_execnz .LBB4_2276
.LBB4_226:
	s_or_b64 exec, exec, s[6:7]
	s_and_saveexec_b64 s[6:7], s[4:5]
	s_cbranch_execz .LBB4_228
.LBB4_227:
	v_mov_b32_e32 v2, 8
	v_and_b32_e32 v3, 7, v9
	v_lshrrev_b32_sdwa v2, v2, v9 dst_sel:BYTE_1 dst_unused:UNUSED_PAD src0_sel:DWORD src1_sel:DWORD
	v_ffbh_u32_e32 v4, v3
	v_or_b32_sdwa v2, v9, v2 dst_sel:DWORD dst_unused:UNUSED_PAD src0_sel:BYTE_0 src1_sel:DWORD
	v_min_u32_e32 v4, 32, v4
	v_lshrrev_b16_e32 v2, 3, v2
	v_subrev_u32_e32 v6, 28, v4
	v_and_b32_e32 v2, 15, v2
	v_lshlrev_b32_e32 v6, v6, v9
	v_sub_u32_e32 v4, 29, v4
	v_and_b32_e32 v6, 7, v6
	v_cmp_eq_u16_e32 vcc, 0, v2
	v_cndmask_b32_e32 v3, v3, v6, vcc
	v_cndmask_b32_e32 v2, v2, v4, vcc
	v_lshlrev_b32_e32 v4, 24, v9
	v_mov_b32_e32 v6, 0x3b800000
	v_lshlrev_b32_e32 v3, 20, v3
	v_and_b32_e32 v4, 0x80000000, v4
	v_lshl_add_u32 v2, v2, 23, v6
	v_or3_b32 v2, v4, v2, v3
.LBB4_228:
	s_or_b64 exec, exec, s[6:7]
	s_movk_i32 s4, 0x7f
	v_cmp_gt_i16_sdwa s[6:7], v5, s4 src0_sel:BYTE_0 src1_sel:DWORD
	s_mov_b64 s[4:5], 0
                                        ; implicit-def: $sgpr10
	s_and_saveexec_b64 s[8:9], s[6:7]
	s_xor_b64 s[6:7], exec, s[8:9]
	s_cbranch_execnz .LBB4_2277
; %bb.229:
	s_or_saveexec_b64 s[6:7], s[6:7]
	v_mov_b32_e32 v3, s10
	s_xor_b64 exec, exec, s[6:7]
	s_cbranch_execnz .LBB4_2280
.LBB4_230:
	s_or_b64 exec, exec, s[6:7]
	s_and_saveexec_b64 s[6:7], s[4:5]
	s_cbranch_execz .LBB4_232
.LBB4_231:
	v_mov_b32_e32 v3, 8
	v_and_b32_e32 v4, 7, v5
	v_lshrrev_b32_sdwa v3, v3, v5 dst_sel:BYTE_1 dst_unused:UNUSED_PAD src0_sel:DWORD src1_sel:DWORD
	v_ffbh_u32_e32 v6, v4
	v_or_b32_sdwa v3, v5, v3 dst_sel:DWORD dst_unused:UNUSED_PAD src0_sel:BYTE_0 src1_sel:DWORD
	v_min_u32_e32 v6, 32, v6
	v_lshrrev_b16_e32 v3, 3, v3
	v_subrev_u32_e32 v7, 28, v6
	v_and_b32_e32 v3, 15, v3
	v_lshlrev_b32_e32 v7, v7, v5
	v_sub_u32_e32 v6, 29, v6
	v_and_b32_e32 v7, 7, v7
	v_cmp_eq_u16_e32 vcc, 0, v3
	v_cndmask_b32_e32 v4, v4, v7, vcc
	v_cndmask_b32_e32 v3, v3, v6, vcc
	v_lshlrev_b32_e32 v6, 24, v5
	v_mov_b32_e32 v7, 0x3b800000
	v_lshlrev_b32_e32 v4, 20, v4
	v_and_b32_e32 v6, 0x80000000, v6
	v_lshl_add_u32 v3, v3, 23, v7
	v_or3_b32 v3, v6, v3, v4
.LBB4_232:
	s_or_b64 exec, exec, s[6:7]
	s_nop 0
	v_mfma_f32_16x16x4f32 a[0:3], v2, v3, a[0:3]
	v_lshrrev_b32_e32 v3, 8, v9
	s_movk_i32 s4, 0x7f
	v_cmp_gt_i16_sdwa s[6:7], v3, s4 src0_sel:BYTE_0 src1_sel:DWORD
	s_mov_b64 s[4:5], 0
                                        ; implicit-def: $sgpr10
	s_and_saveexec_b64 s[8:9], s[6:7]
	s_xor_b64 s[6:7], exec, s[8:9]
	s_cbranch_execnz .LBB4_2281
; %bb.233:
	s_or_saveexec_b64 s[6:7], s[6:7]
	v_mov_b32_e32 v2, s10
	s_xor_b64 exec, exec, s[6:7]
	s_cbranch_execnz .LBB4_2284
.LBB4_234:
	s_or_b64 exec, exec, s[6:7]
	s_and_saveexec_b64 s[6:7], s[4:5]
	s_cbranch_execz .LBB4_236
.LBB4_235:
	v_bfe_u32 v2, v9, 8, 3
	v_ffbh_u32_e32 v6, v2
	v_min_u32_e32 v6, 32, v6
	v_lshrrev_b16_e32 v4, 3, v3
	v_subrev_u32_e32 v7, 28, v6
	v_and_b32_e32 v4, 15, v4
	v_lshlrev_b32_e32 v3, v7, v3
	v_sub_u32_e32 v6, 29, v6
	v_and_b32_e32 v3, 7, v3
	v_cmp_eq_u16_e32 vcc, 0, v4
	v_cndmask_b32_e32 v2, v2, v3, vcc
	v_cndmask_b32_e32 v3, v4, v6, vcc
	v_lshlrev_b32_e32 v4, 16, v9
	v_mov_b32_e32 v6, 0x3b800000
	v_lshlrev_b32_e32 v2, 20, v2
	v_and_b32_e32 v4, 0x80000000, v4
	v_lshl_add_u32 v3, v3, 23, v6
	v_or3_b32 v2, v4, v3, v2
.LBB4_236:
	s_or_b64 exec, exec, s[6:7]
	v_lshrrev_b32_e32 v3, 8, v5
	s_movk_i32 s4, 0x7f
	v_cmp_gt_i16_sdwa s[6:7], v3, s4 src0_sel:BYTE_0 src1_sel:DWORD
	s_mov_b64 s[4:5], 0
                                        ; implicit-def: $sgpr10
	s_and_saveexec_b64 s[8:9], s[6:7]
	s_xor_b64 s[6:7], exec, s[8:9]
	s_cbranch_execnz .LBB4_2285
; %bb.237:
	s_or_saveexec_b64 s[6:7], s[6:7]
	v_mov_b32_e32 v4, s10
	s_xor_b64 exec, exec, s[6:7]
	s_cbranch_execnz .LBB4_2288
.LBB4_238:
	s_or_b64 exec, exec, s[6:7]
	s_and_saveexec_b64 s[6:7], s[4:5]
	s_cbranch_execz .LBB4_240
.LBB4_239:
	v_bfe_u32 v4, v5, 8, 3
	v_ffbh_u32_e32 v7, v4
	v_min_u32_e32 v7, 32, v7
	v_lshrrev_b16_e32 v6, 3, v3
	v_subrev_u32_e32 v8, 28, v7
	v_and_b32_e32 v6, 15, v6
	v_lshlrev_b32_e32 v3, v8, v3
	v_sub_u32_e32 v7, 29, v7
	v_and_b32_e32 v3, 7, v3
	v_cmp_eq_u16_e32 vcc, 0, v6
	v_cndmask_b32_e32 v3, v4, v3, vcc
	v_cndmask_b32_e32 v4, v6, v7, vcc
	v_lshlrev_b32_e32 v6, 16, v5
	v_mov_b32_e32 v7, 0x3b800000
	v_lshlrev_b32_e32 v3, 20, v3
	v_and_b32_e32 v6, 0x80000000, v6
	v_lshl_add_u32 v4, v4, 23, v7
	v_or3_b32 v4, v6, v4, v3
.LBB4_240:
	s_or_b64 exec, exec, s[6:7]
	s_nop 0
	v_mfma_f32_16x16x4f32 a[0:3], v2, v4, a[0:3]
	s_movk_i32 s4, 0xff
	v_and_b32_sdwa v3, v9, s4 dst_sel:DWORD dst_unused:UNUSED_PAD src0_sel:WORD_1 src1_sel:DWORD
	s_movk_i32 s4, 0x7f
	v_cmp_lt_i16_e32 vcc, s4, v3
	s_mov_b64 s[4:5], 0
                                        ; implicit-def: $sgpr10
	s_and_saveexec_b64 s[6:7], vcc
	s_xor_b64 s[6:7], exec, s[6:7]
	s_cbranch_execnz .LBB4_2289
; %bb.241:
	s_or_saveexec_b64 s[6:7], s[6:7]
	v_mov_b32_e32 v2, s10
	s_xor_b64 exec, exec, s[6:7]
	s_cbranch_execnz .LBB4_2292
.LBB4_242:
	s_or_b64 exec, exec, s[6:7]
	s_and_saveexec_b64 s[6:7], s[4:5]
	s_cbranch_execz .LBB4_244
.LBB4_243:
	v_bfe_u32 v2, v9, 16, 3
	v_ffbh_u32_e32 v6, v2
	v_min_u32_e32 v6, 32, v6
	v_lshrrev_b32_e32 v3, 19, v9
	v_subrev_u32_e32 v7, 28, v6
	v_and_b32_e32 v3, 15, v3
	v_lshlrev_b32_sdwa v7, v7, v9 dst_sel:DWORD dst_unused:UNUSED_PAD src0_sel:DWORD src1_sel:WORD_1
	v_bfe_u32 v4, v9, 19, 4
	v_sub_u32_e32 v6, 29, v6
	v_and_b32_e32 v7, 7, v7
	v_cmp_eq_u16_e32 vcc, 0, v3
	v_cndmask_b32_e32 v2, v2, v7, vcc
	v_cndmask_b32_e32 v3, v4, v6, vcc
	v_lshlrev_b32_e32 v4, 8, v9
	v_mov_b32_e32 v6, 0x3b800000
	v_lshlrev_b32_e32 v2, 20, v2
	v_and_b32_e32 v4, 0x80000000, v4
	v_lshl_add_u32 v3, v3, 23, v6
	v_or3_b32 v2, v4, v3, v2
.LBB4_244:
	s_or_b64 exec, exec, s[6:7]
	s_movk_i32 s4, 0xff
	v_and_b32_sdwa v3, v5, s4 dst_sel:DWORD dst_unused:UNUSED_PAD src0_sel:WORD_1 src1_sel:DWORD
	s_movk_i32 s4, 0x7f
	v_cmp_lt_i16_e32 vcc, s4, v3
	s_mov_b64 s[4:5], 0
                                        ; implicit-def: $sgpr10
	s_and_saveexec_b64 s[6:7], vcc
	s_xor_b64 s[6:7], exec, s[6:7]
	s_cbranch_execnz .LBB4_2293
; %bb.245:
	s_or_saveexec_b64 s[6:7], s[6:7]
	v_mov_b32_e32 v4, s10
	s_xor_b64 exec, exec, s[6:7]
	s_cbranch_execnz .LBB4_2296
.LBB4_246:
	s_or_b64 exec, exec, s[6:7]
	s_and_saveexec_b64 s[6:7], s[4:5]
	s_cbranch_execz .LBB4_248
.LBB4_247:
	v_bfe_u32 v3, v5, 16, 3
	v_ffbh_u32_e32 v7, v3
	v_min_u32_e32 v7, 32, v7
	v_lshrrev_b32_e32 v4, 19, v5
	v_subrev_u32_e32 v8, 28, v7
	v_and_b32_e32 v4, 15, v4
	v_lshlrev_b32_sdwa v8, v8, v5 dst_sel:DWORD dst_unused:UNUSED_PAD src0_sel:DWORD src1_sel:WORD_1
	v_bfe_u32 v6, v5, 19, 4
	v_sub_u32_e32 v7, 29, v7
	v_and_b32_e32 v8, 7, v8
	v_cmp_eq_u16_e32 vcc, 0, v4
	v_cndmask_b32_e32 v3, v3, v8, vcc
	v_cndmask_b32_e32 v4, v6, v7, vcc
	v_lshlrev_b32_e32 v6, 8, v5
	v_mov_b32_e32 v7, 0x3b800000
	v_lshlrev_b32_e32 v3, 20, v3
	v_and_b32_e32 v6, 0x80000000, v6
	v_lshl_add_u32 v4, v4, 23, v7
	v_or3_b32 v4, v6, v4, v3
.LBB4_248:
	s_or_b64 exec, exec, s[6:7]
	s_nop 0
	v_mfma_f32_16x16x4f32 a[0:3], v2, v4, a[0:3]
	s_movk_i32 s4, 0x7f
	v_cmp_gt_i16_sdwa s[6:7], v9, s4 src0_sel:BYTE_3 src1_sel:DWORD
	s_mov_b64 s[4:5], 0
                                        ; implicit-def: $sgpr10
	s_and_saveexec_b64 s[8:9], s[6:7]
	s_xor_b64 s[6:7], exec, s[8:9]
	s_cbranch_execnz .LBB4_2297
; %bb.249:
	s_or_saveexec_b64 s[6:7], s[6:7]
	v_mov_b32_e32 v2, s10
	s_xor_b64 exec, exec, s[6:7]
	s_cbranch_execnz .LBB4_2300
.LBB4_250:
	s_or_b64 exec, exec, s[6:7]
	s_and_saveexec_b64 s[6:7], s[4:5]
	s_cbranch_execz .LBB4_252
.LBB4_251:
	v_bfe_u32 v2, v9, 24, 3
	v_ffbh_u32_e32 v7, v2
	v_min_u32_e32 v7, 32, v7
	v_lshrrev_b32_e32 v4, 27, v9
	v_subrev_u32_e32 v8, 28, v7
	v_and_b32_e32 v4, 15, v4
	v_lshlrev_b32_sdwa v8, v8, v9 dst_sel:DWORD dst_unused:UNUSED_PAD src0_sel:DWORD src1_sel:BYTE_3
	v_bfe_u32 v6, v9, 27, 4
	v_sub_u32_e32 v7, 29, v7
	v_and_b32_e32 v8, 7, v8
	v_cmp_eq_u16_e32 vcc, 0, v4
	v_cndmask_b32_e32 v2, v2, v8, vcc
	v_cndmask_b32_e32 v4, v6, v7, vcc
	v_mov_b32_e32 v6, 0x3b800000
	v_and_b32_e32 v3, 0x80000000, v9
	v_lshlrev_b32_e32 v2, 20, v2
	v_lshl_add_u32 v4, v4, 23, v6
	v_or3_b32 v2, v3, v4, v2
.LBB4_252:
	s_or_b64 exec, exec, s[6:7]
	s_movk_i32 s4, 0x7f
	v_cmp_gt_i16_sdwa s[6:7], v5, s4 src0_sel:BYTE_3 src1_sel:DWORD
	s_mov_b64 s[4:5], 0
                                        ; implicit-def: $sgpr10
	s_and_saveexec_b64 s[8:9], s[6:7]
	s_xor_b64 s[6:7], exec, s[8:9]
	s_cbranch_execnz .LBB4_2301
; %bb.253:
	s_or_saveexec_b64 s[6:7], s[6:7]
	v_mov_b32_e32 v3, s10
	s_xor_b64 exec, exec, s[6:7]
	s_cbranch_execnz .LBB4_2304
.LBB4_254:
	s_or_b64 exec, exec, s[6:7]
	s_and_saveexec_b64 s[6:7], s[4:5]
	s_cbranch_execz .LBB4_256
.LBB4_255:
	v_bfe_u32 v3, v5, 24, 3
	v_ffbh_u32_e32 v8, v3
	v_min_u32_e32 v8, 32, v8
	v_lshrrev_b32_e32 v6, 27, v5
	v_subrev_u32_e32 v9, 28, v8
	v_and_b32_e32 v4, 0x80000000, v5
	v_and_b32_e32 v6, 15, v6
	v_bfe_u32 v7, v5, 27, 4
	v_lshlrev_b32_sdwa v5, v9, v5 dst_sel:DWORD dst_unused:UNUSED_PAD src0_sel:DWORD src1_sel:BYTE_3
	v_sub_u32_e32 v8, 29, v8
	v_and_b32_e32 v5, 7, v5
	v_cmp_eq_u16_e32 vcc, 0, v6
	v_cndmask_b32_e32 v3, v3, v5, vcc
	v_cndmask_b32_e32 v5, v7, v8, vcc
	v_mov_b32_e32 v6, 0x3b800000
	v_lshlrev_b32_e32 v3, 20, v3
	v_lshl_add_u32 v5, v5, 23, v6
	v_or3_b32 v3, v4, v5, v3
.LBB4_256:
	s_or_b64 exec, exec, s[6:7]
	s_nop 0
	v_mfma_f32_16x16x4f32 a[0:3], v2, v3, a[0:3]
	s_movk_i32 s4, 0x7f
                                        ; implicit-def: $sgpr10
	s_nop 7
	s_nop 1
	flat_store_dwordx4 v[18:19], a[0:3] offset:256
	flat_load_dwordx4 v[20:23], v[0:1] offset:16
	s_nop 0
	flat_load_dwordx2 v[18:19], v[0:1] offset:32
	s_waitcnt vmcnt(0) lgkmcnt(0)
	flat_load_dwordx4 v[14:17], v[20:21]
	flat_load_dwordx4 v[6:9], v[20:21] offset:16
	flat_load_dwordx4 v[10:13], v[22:23] offset:32
	flat_load_dwordx4 v[2:5], v[22:23] offset:48
	s_waitcnt vmcnt(0) lgkmcnt(0)
	v_cmp_gt_i16_sdwa s[6:7], v14, s4 src0_sel:BYTE_0 src1_sel:DWORD
	s_mov_b64 s[4:5], 0
	s_and_saveexec_b64 s[8:9], s[6:7]
	s_xor_b64 s[6:7], exec, s[8:9]
	s_cbranch_execnz .LBB4_2305
; %bb.257:
	s_or_saveexec_b64 s[6:7], s[6:7]
	v_mov_b32_e32 v20, s10
	s_xor_b64 exec, exec, s[6:7]
	s_cbranch_execnz .LBB4_2308
.LBB4_258:
	s_or_b64 exec, exec, s[6:7]
	s_and_saveexec_b64 s[6:7], s[4:5]
	s_cbranch_execz .LBB4_260
.LBB4_259:
	v_and_b32_e32 v20, 7, v14
	v_ffbh_u32_e32 v22, v20
	v_min_u32_e32 v22, 32, v22
	v_lshrrev_b16_e32 v21, 3, v14
	v_subrev_u32_e32 v23, 28, v22
	v_and_b32_e32 v21, 15, v21
	v_lshlrev_b32_e32 v23, v23, v14
	v_sub_u32_e32 v22, 29, v22
	v_and_b32_e32 v23, 7, v23
	v_cmp_eq_u16_e32 vcc, 0, v21
	v_cndmask_b32_e32 v20, v20, v23, vcc
	v_cndmask_b32_e32 v21, v21, v22, vcc
	v_lshlrev_b32_e32 v22, 24, v14
	v_mov_b32_e32 v23, 0x3b800000
	v_lshlrev_b32_e32 v20, 20, v20
	v_and_b32_e32 v22, 0x80000000, v22
	v_lshl_add_u32 v21, v21, 23, v23
	v_or3_b32 v20, v22, v21, v20
.LBB4_260:
	s_or_b64 exec, exec, s[6:7]
	s_movk_i32 s4, 0x7f
	v_cmp_gt_i16_sdwa s[6:7], v10, s4 src0_sel:BYTE_0 src1_sel:DWORD
	s_mov_b64 s[4:5], 0
                                        ; implicit-def: $sgpr10
	s_and_saveexec_b64 s[8:9], s[6:7]
	s_xor_b64 s[6:7], exec, s[8:9]
	s_cbranch_execnz .LBB4_2309
; %bb.261:
	s_or_saveexec_b64 s[6:7], s[6:7]
	v_mov_b32_e32 v21, s10
	s_xor_b64 exec, exec, s[6:7]
	s_cbranch_execnz .LBB4_2312
.LBB4_262:
	s_or_b64 exec, exec, s[6:7]
	s_and_saveexec_b64 s[6:7], s[4:5]
	s_cbranch_execz .LBB4_264
.LBB4_263:
	v_and_b32_e32 v21, 7, v10
	v_ffbh_u32_e32 v23, v21
	v_min_u32_e32 v23, 32, v23
	v_lshrrev_b16_e32 v22, 3, v10
	v_subrev_u32_e32 v24, 28, v23
	v_and_b32_e32 v22, 15, v22
	v_lshlrev_b32_e32 v24, v24, v10
	v_sub_u32_e32 v23, 29, v23
	v_and_b32_e32 v24, 7, v24
	v_cmp_eq_u16_e32 vcc, 0, v22
	v_cndmask_b32_e32 v21, v21, v24, vcc
	v_cndmask_b32_e32 v22, v22, v23, vcc
	v_lshlrev_b32_e32 v23, 24, v10
	v_mov_b32_e32 v24, 0x3b800000
	v_lshlrev_b32_e32 v21, 20, v21
	v_and_b32_e32 v23, 0x80000000, v23
	v_lshl_add_u32 v22, v22, 23, v24
	v_or3_b32 v21, v23, v22, v21
.LBB4_264:
	s_or_b64 exec, exec, s[6:7]
	flat_load_dwordx4 a[0:3], v[18:19] offset:272
	s_movk_i32 s4, 0x7f
                                        ; implicit-def: $sgpr10
	s_waitcnt vmcnt(0) lgkmcnt(0)
	v_mfma_f32_16x16x4f32 a[0:3], v20, v21, a[0:3]
	v_lshrrev_b32_e32 v21, 8, v14
	v_cmp_gt_i16_sdwa s[6:7], v21, s4 src0_sel:BYTE_0 src1_sel:DWORD
	s_mov_b64 s[4:5], 0
	s_and_saveexec_b64 s[8:9], s[6:7]
	s_xor_b64 s[6:7], exec, s[8:9]
	s_cbranch_execnz .LBB4_2313
; %bb.265:
	s_or_saveexec_b64 s[6:7], s[6:7]
	v_mov_b32_e32 v20, s10
	s_xor_b64 exec, exec, s[6:7]
	s_cbranch_execnz .LBB4_2316
.LBB4_266:
	s_or_b64 exec, exec, s[6:7]
	s_and_saveexec_b64 s[6:7], s[4:5]
	s_cbranch_execz .LBB4_268
.LBB4_267:
	v_bfe_u32 v20, v14, 8, 3
	v_ffbh_u32_e32 v23, v20
	v_min_u32_e32 v23, 32, v23
	v_lshrrev_b16_e32 v22, 3, v21
	v_subrev_u32_e32 v24, 28, v23
	v_and_b32_e32 v22, 15, v22
	v_lshlrev_b32_e32 v21, v24, v21
	v_sub_u32_e32 v23, 29, v23
	v_and_b32_e32 v21, 7, v21
	v_cmp_eq_u16_e32 vcc, 0, v22
	v_cndmask_b32_e32 v20, v20, v21, vcc
	v_cndmask_b32_e32 v21, v22, v23, vcc
	v_lshlrev_b32_e32 v22, 16, v14
	v_mov_b32_e32 v23, 0x3b800000
	v_lshlrev_b32_e32 v20, 20, v20
	v_and_b32_e32 v22, 0x80000000, v22
	v_lshl_add_u32 v21, v21, 23, v23
	v_or3_b32 v20, v22, v21, v20
.LBB4_268:
	s_or_b64 exec, exec, s[6:7]
	v_lshrrev_b32_e32 v21, 8, v10
	s_movk_i32 s4, 0x7f
	v_cmp_gt_i16_sdwa s[6:7], v21, s4 src0_sel:BYTE_0 src1_sel:DWORD
	s_mov_b64 s[4:5], 0
                                        ; implicit-def: $sgpr10
	s_and_saveexec_b64 s[8:9], s[6:7]
	s_xor_b64 s[6:7], exec, s[8:9]
	s_cbranch_execnz .LBB4_2317
; %bb.269:
	s_or_saveexec_b64 s[6:7], s[6:7]
	v_mov_b32_e32 v22, s10
	s_xor_b64 exec, exec, s[6:7]
	s_cbranch_execnz .LBB4_2320
.LBB4_270:
	s_or_b64 exec, exec, s[6:7]
	s_and_saveexec_b64 s[6:7], s[4:5]
	s_cbranch_execz .LBB4_272
.LBB4_271:
	v_bfe_u32 v22, v10, 8, 3
	v_ffbh_u32_e32 v24, v22
	v_min_u32_e32 v24, 32, v24
	v_lshrrev_b16_e32 v23, 3, v21
	v_subrev_u32_e32 v25, 28, v24
	v_and_b32_e32 v23, 15, v23
	v_lshlrev_b32_e32 v21, v25, v21
	v_sub_u32_e32 v24, 29, v24
	v_and_b32_e32 v21, 7, v21
	v_cmp_eq_u16_e32 vcc, 0, v23
	v_cndmask_b32_e32 v21, v22, v21, vcc
	v_cndmask_b32_e32 v22, v23, v24, vcc
	v_lshlrev_b32_e32 v23, 16, v10
	v_mov_b32_e32 v24, 0x3b800000
	v_lshlrev_b32_e32 v21, 20, v21
	v_and_b32_e32 v23, 0x80000000, v23
	v_lshl_add_u32 v22, v22, 23, v24
	v_or3_b32 v22, v23, v22, v21
.LBB4_272:
	s_or_b64 exec, exec, s[6:7]
	s_nop 0
	v_mfma_f32_16x16x4f32 a[0:3], v20, v22, a[0:3]
	s_movk_i32 s4, 0xff
	v_and_b32_sdwa v21, v14, s4 dst_sel:DWORD dst_unused:UNUSED_PAD src0_sel:WORD_1 src1_sel:DWORD
	s_movk_i32 s4, 0x7f
	v_cmp_lt_i16_e32 vcc, s4, v21
	s_mov_b64 s[4:5], 0
                                        ; implicit-def: $sgpr10
	s_and_saveexec_b64 s[6:7], vcc
	s_xor_b64 s[6:7], exec, s[6:7]
	s_cbranch_execnz .LBB4_2321
; %bb.273:
	s_or_saveexec_b64 s[6:7], s[6:7]
	v_mov_b32_e32 v20, s10
	s_xor_b64 exec, exec, s[6:7]
	s_cbranch_execnz .LBB4_2324
.LBB4_274:
	s_or_b64 exec, exec, s[6:7]
	s_and_saveexec_b64 s[6:7], s[4:5]
	s_cbranch_execz .LBB4_276
.LBB4_275:
	v_bfe_u32 v20, v14, 16, 3
	v_ffbh_u32_e32 v23, v20
	v_min_u32_e32 v23, 32, v23
	v_lshrrev_b32_e32 v21, 19, v14
	v_subrev_u32_e32 v24, 28, v23
	v_and_b32_e32 v21, 15, v21
	v_lshlrev_b32_sdwa v24, v24, v14 dst_sel:DWORD dst_unused:UNUSED_PAD src0_sel:DWORD src1_sel:WORD_1
	v_bfe_u32 v22, v14, 19, 4
	v_sub_u32_e32 v23, 29, v23
	v_and_b32_e32 v24, 7, v24
	v_cmp_eq_u16_e32 vcc, 0, v21
	v_cndmask_b32_e32 v20, v20, v24, vcc
	v_cndmask_b32_e32 v21, v22, v23, vcc
	v_lshlrev_b32_e32 v22, 8, v14
	v_mov_b32_e32 v23, 0x3b800000
	v_lshlrev_b32_e32 v20, 20, v20
	v_and_b32_e32 v22, 0x80000000, v22
	v_lshl_add_u32 v21, v21, 23, v23
	v_or3_b32 v20, v22, v21, v20
.LBB4_276:
	s_or_b64 exec, exec, s[6:7]
	s_movk_i32 s4, 0xff
	v_and_b32_sdwa v21, v10, s4 dst_sel:DWORD dst_unused:UNUSED_PAD src0_sel:WORD_1 src1_sel:DWORD
	s_movk_i32 s4, 0x7f
	v_cmp_lt_i16_e32 vcc, s4, v21
	s_mov_b64 s[4:5], 0
                                        ; implicit-def: $sgpr10
	s_and_saveexec_b64 s[6:7], vcc
	s_xor_b64 s[6:7], exec, s[6:7]
	s_cbranch_execnz .LBB4_2325
; %bb.277:
	s_or_saveexec_b64 s[6:7], s[6:7]
	v_mov_b32_e32 v22, s10
	s_xor_b64 exec, exec, s[6:7]
	s_cbranch_execnz .LBB4_2328
.LBB4_278:
	s_or_b64 exec, exec, s[6:7]
	s_and_saveexec_b64 s[6:7], s[4:5]
	s_cbranch_execz .LBB4_280
.LBB4_279:
	v_bfe_u32 v21, v10, 16, 3
	v_ffbh_u32_e32 v24, v21
	v_min_u32_e32 v24, 32, v24
	v_lshrrev_b32_e32 v22, 19, v10
	v_subrev_u32_e32 v25, 28, v24
	v_and_b32_e32 v22, 15, v22
	v_lshlrev_b32_sdwa v25, v25, v10 dst_sel:DWORD dst_unused:UNUSED_PAD src0_sel:DWORD src1_sel:WORD_1
	v_bfe_u32 v23, v10, 19, 4
	v_sub_u32_e32 v24, 29, v24
	v_and_b32_e32 v25, 7, v25
	v_cmp_eq_u16_e32 vcc, 0, v22
	v_cndmask_b32_e32 v21, v21, v25, vcc
	v_cndmask_b32_e32 v22, v23, v24, vcc
	v_lshlrev_b32_e32 v23, 8, v10
	v_mov_b32_e32 v24, 0x3b800000
	v_lshlrev_b32_e32 v21, 20, v21
	v_and_b32_e32 v23, 0x80000000, v23
	v_lshl_add_u32 v22, v22, 23, v24
	v_or3_b32 v22, v23, v22, v21
.LBB4_280:
	s_or_b64 exec, exec, s[6:7]
	s_nop 0
	v_mfma_f32_16x16x4f32 a[0:3], v20, v22, a[0:3]
	s_movk_i32 s4, 0x7f
	v_cmp_gt_i16_sdwa s[6:7], v14, s4 src0_sel:BYTE_3 src1_sel:DWORD
	s_mov_b64 s[4:5], 0
                                        ; implicit-def: $sgpr10
	s_and_saveexec_b64 s[8:9], s[6:7]
	s_xor_b64 s[6:7], exec, s[8:9]
	s_cbranch_execnz .LBB4_2329
; %bb.281:
	s_or_saveexec_b64 s[6:7], s[6:7]
	v_mov_b32_e32 v20, s10
	s_xor_b64 exec, exec, s[6:7]
	s_cbranch_execnz .LBB4_2332
.LBB4_282:
	s_or_b64 exec, exec, s[6:7]
	s_and_saveexec_b64 s[6:7], s[4:5]
	s_cbranch_execz .LBB4_284
.LBB4_283:
	v_bfe_u32 v20, v14, 24, 3
	v_ffbh_u32_e32 v24, v20
	v_min_u32_e32 v24, 32, v24
	v_lshrrev_b32_e32 v22, 27, v14
	v_subrev_u32_e32 v25, 28, v24
	v_and_b32_e32 v21, 0x80000000, v14
	v_and_b32_e32 v22, 15, v22
	v_bfe_u32 v23, v14, 27, 4
	v_lshlrev_b32_sdwa v14, v25, v14 dst_sel:DWORD dst_unused:UNUSED_PAD src0_sel:DWORD src1_sel:BYTE_3
	v_sub_u32_e32 v24, 29, v24
	v_and_b32_e32 v14, 7, v14
	v_cmp_eq_u16_e32 vcc, 0, v22
	v_cndmask_b32_e32 v14, v20, v14, vcc
	v_cndmask_b32_e32 v20, v23, v24, vcc
	v_mov_b32_e32 v22, 0x3b800000
	v_lshlrev_b32_e32 v14, 20, v14
	v_lshl_add_u32 v20, v20, 23, v22
	v_or3_b32 v20, v21, v20, v14
.LBB4_284:
	s_or_b64 exec, exec, s[6:7]
	s_movk_i32 s4, 0x7f
	v_cmp_gt_i16_sdwa s[6:7], v10, s4 src0_sel:BYTE_3 src1_sel:DWORD
	s_mov_b64 s[4:5], 0
                                        ; implicit-def: $sgpr10
	s_and_saveexec_b64 s[8:9], s[6:7]
	s_xor_b64 s[6:7], exec, s[8:9]
	s_cbranch_execnz .LBB4_2333
; %bb.285:
	s_or_saveexec_b64 s[6:7], s[6:7]
	v_mov_b32_e32 v14, s10
	s_xor_b64 exec, exec, s[6:7]
	s_cbranch_execnz .LBB4_2336
.LBB4_286:
	s_or_b64 exec, exec, s[6:7]
	s_and_saveexec_b64 s[6:7], s[4:5]
	s_cbranch_execz .LBB4_288
.LBB4_287:
	v_bfe_u32 v14, v10, 24, 3
	v_ffbh_u32_e32 v24, v14
	v_min_u32_e32 v24, 32, v24
	v_lshrrev_b32_e32 v22, 27, v10
	v_subrev_u32_e32 v25, 28, v24
	v_and_b32_e32 v21, 0x80000000, v10
	v_and_b32_e32 v22, 15, v22
	v_bfe_u32 v23, v10, 27, 4
	v_lshlrev_b32_sdwa v10, v25, v10 dst_sel:DWORD dst_unused:UNUSED_PAD src0_sel:DWORD src1_sel:BYTE_3
	v_sub_u32_e32 v24, 29, v24
	v_and_b32_e32 v10, 7, v10
	v_cmp_eq_u16_e32 vcc, 0, v22
	v_cndmask_b32_e32 v10, v14, v10, vcc
	v_cndmask_b32_e32 v14, v23, v24, vcc
	v_mov_b32_e32 v22, 0x3b800000
	v_lshlrev_b32_e32 v10, 20, v10
	v_lshl_add_u32 v14, v14, 23, v22
	v_or3_b32 v14, v21, v14, v10
.LBB4_288:
	s_or_b64 exec, exec, s[6:7]
	s_nop 0
	v_mfma_f32_16x16x4f32 a[0:3], v20, v14, a[0:3]
	s_movk_i32 s4, 0x7f
	v_cmp_gt_i16_sdwa s[6:7], v15, s4 src0_sel:BYTE_0 src1_sel:DWORD
	s_mov_b64 s[4:5], 0
                                        ; implicit-def: $sgpr10
	s_and_saveexec_b64 s[8:9], s[6:7]
	s_xor_b64 s[6:7], exec, s[8:9]
	s_cbranch_execnz .LBB4_2337
; %bb.289:
	s_or_saveexec_b64 s[6:7], s[6:7]
	v_mov_b32_e32 v10, s10
	s_xor_b64 exec, exec, s[6:7]
	s_cbranch_execnz .LBB4_2340
.LBB4_290:
	s_or_b64 exec, exec, s[6:7]
	s_and_saveexec_b64 s[6:7], s[4:5]
	s_cbranch_execz .LBB4_292
.LBB4_291:
	v_and_b32_e32 v10, 7, v15
	v_ffbh_u32_e32 v20, v10
	v_min_u32_e32 v20, 32, v20
	v_lshrrev_b16_e32 v14, 3, v15
	v_subrev_u32_e32 v21, 28, v20
	v_and_b32_e32 v14, 15, v14
	v_lshlrev_b32_e32 v21, v21, v15
	v_sub_u32_e32 v20, 29, v20
	v_and_b32_e32 v21, 7, v21
	v_cmp_eq_u16_e32 vcc, 0, v14
	v_cndmask_b32_e32 v10, v10, v21, vcc
	v_cndmask_b32_e32 v14, v14, v20, vcc
	v_lshlrev_b32_e32 v20, 24, v15
	v_mov_b32_e32 v21, 0x3b800000
	v_lshlrev_b32_e32 v10, 20, v10
	v_and_b32_e32 v20, 0x80000000, v20
	v_lshl_add_u32 v14, v14, 23, v21
	v_or3_b32 v10, v20, v14, v10
.LBB4_292:
	s_or_b64 exec, exec, s[6:7]
	s_movk_i32 s4, 0x7f
	v_cmp_gt_i16_sdwa s[6:7], v11, s4 src0_sel:BYTE_0 src1_sel:DWORD
	s_mov_b64 s[4:5], 0
                                        ; implicit-def: $sgpr10
	s_and_saveexec_b64 s[8:9], s[6:7]
	s_xor_b64 s[6:7], exec, s[8:9]
	s_cbranch_execnz .LBB4_2341
; %bb.293:
	s_or_saveexec_b64 s[6:7], s[6:7]
	v_mov_b32_e32 v14, s10
	s_xor_b64 exec, exec, s[6:7]
	s_cbranch_execnz .LBB4_2344
.LBB4_294:
	s_or_b64 exec, exec, s[6:7]
	s_and_saveexec_b64 s[6:7], s[4:5]
	s_cbranch_execz .LBB4_296
.LBB4_295:
	v_and_b32_e32 v14, 7, v11
	v_ffbh_u32_e32 v21, v14
	v_min_u32_e32 v21, 32, v21
	v_lshrrev_b16_e32 v20, 3, v11
	v_subrev_u32_e32 v22, 28, v21
	v_and_b32_e32 v20, 15, v20
	v_lshlrev_b32_e32 v22, v22, v11
	v_sub_u32_e32 v21, 29, v21
	v_and_b32_e32 v22, 7, v22
	v_cmp_eq_u16_e32 vcc, 0, v20
	v_cndmask_b32_e32 v14, v14, v22, vcc
	v_cndmask_b32_e32 v20, v20, v21, vcc
	v_lshlrev_b32_e32 v21, 24, v11
	v_mov_b32_e32 v22, 0x3b800000
	v_lshlrev_b32_e32 v14, 20, v14
	v_and_b32_e32 v21, 0x80000000, v21
	v_lshl_add_u32 v20, v20, 23, v22
	v_or3_b32 v14, v21, v20, v14
.LBB4_296:
	s_or_b64 exec, exec, s[6:7]
	s_nop 0
	v_mfma_f32_16x16x4f32 a[0:3], v10, v14, a[0:3]
	v_lshrrev_b32_e32 v14, 8, v15
	s_movk_i32 s4, 0x7f
	v_cmp_gt_i16_sdwa s[6:7], v14, s4 src0_sel:BYTE_0 src1_sel:DWORD
	s_mov_b64 s[4:5], 0
                                        ; implicit-def: $sgpr10
	s_and_saveexec_b64 s[8:9], s[6:7]
	s_xor_b64 s[6:7], exec, s[8:9]
	s_cbranch_execnz .LBB4_2345
; %bb.297:
	s_or_saveexec_b64 s[6:7], s[6:7]
	v_mov_b32_e32 v10, s10
	s_xor_b64 exec, exec, s[6:7]
	s_cbranch_execnz .LBB4_2348
.LBB4_298:
	s_or_b64 exec, exec, s[6:7]
	s_and_saveexec_b64 s[6:7], s[4:5]
	s_cbranch_execz .LBB4_300
.LBB4_299:
	v_bfe_u32 v10, v15, 8, 3
	v_ffbh_u32_e32 v21, v10
	v_min_u32_e32 v21, 32, v21
	v_lshrrev_b16_e32 v20, 3, v14
	v_subrev_u32_e32 v22, 28, v21
	v_and_b32_e32 v20, 15, v20
	v_lshlrev_b32_e32 v14, v22, v14
	v_sub_u32_e32 v21, 29, v21
	v_and_b32_e32 v14, 7, v14
	v_cmp_eq_u16_e32 vcc, 0, v20
	v_cndmask_b32_e32 v10, v10, v14, vcc
	v_cndmask_b32_e32 v14, v20, v21, vcc
	v_lshlrev_b32_e32 v20, 16, v15
	v_mov_b32_e32 v21, 0x3b800000
	v_lshlrev_b32_e32 v10, 20, v10
	v_and_b32_e32 v20, 0x80000000, v20
	v_lshl_add_u32 v14, v14, 23, v21
	v_or3_b32 v10, v20, v14, v10
.LBB4_300:
	s_or_b64 exec, exec, s[6:7]
	v_lshrrev_b32_e32 v14, 8, v11
	s_movk_i32 s4, 0x7f
	v_cmp_gt_i16_sdwa s[6:7], v14, s4 src0_sel:BYTE_0 src1_sel:DWORD
	s_mov_b64 s[4:5], 0
                                        ; implicit-def: $sgpr10
	s_and_saveexec_b64 s[8:9], s[6:7]
	s_xor_b64 s[6:7], exec, s[8:9]
	s_cbranch_execnz .LBB4_2349
; %bb.301:
	s_or_saveexec_b64 s[6:7], s[6:7]
	v_mov_b32_e32 v20, s10
	s_xor_b64 exec, exec, s[6:7]
	s_cbranch_execnz .LBB4_2352
.LBB4_302:
	s_or_b64 exec, exec, s[6:7]
	s_and_saveexec_b64 s[6:7], s[4:5]
	s_cbranch_execz .LBB4_304
.LBB4_303:
	v_bfe_u32 v20, v11, 8, 3
	v_ffbh_u32_e32 v22, v20
	v_min_u32_e32 v22, 32, v22
	v_lshrrev_b16_e32 v21, 3, v14
	v_subrev_u32_e32 v23, 28, v22
	v_and_b32_e32 v21, 15, v21
	v_lshlrev_b32_e32 v14, v23, v14
	v_sub_u32_e32 v22, 29, v22
	v_and_b32_e32 v14, 7, v14
	v_cmp_eq_u16_e32 vcc, 0, v21
	v_cndmask_b32_e32 v14, v20, v14, vcc
	v_cndmask_b32_e32 v20, v21, v22, vcc
	v_lshlrev_b32_e32 v21, 16, v11
	v_mov_b32_e32 v22, 0x3b800000
	v_lshlrev_b32_e32 v14, 20, v14
	v_and_b32_e32 v21, 0x80000000, v21
	v_lshl_add_u32 v20, v20, 23, v22
	v_or3_b32 v20, v21, v20, v14
.LBB4_304:
	s_or_b64 exec, exec, s[6:7]
	s_nop 0
	v_mfma_f32_16x16x4f32 a[0:3], v10, v20, a[0:3]
	s_movk_i32 s4, 0xff
	v_and_b32_sdwa v14, v15, s4 dst_sel:DWORD dst_unused:UNUSED_PAD src0_sel:WORD_1 src1_sel:DWORD
	s_movk_i32 s4, 0x7f
	v_cmp_lt_i16_e32 vcc, s4, v14
	s_mov_b64 s[4:5], 0
                                        ; implicit-def: $sgpr10
	s_and_saveexec_b64 s[6:7], vcc
	s_xor_b64 s[6:7], exec, s[6:7]
	s_cbranch_execnz .LBB4_2353
; %bb.305:
	s_or_saveexec_b64 s[6:7], s[6:7]
	v_mov_b32_e32 v10, s10
	s_xor_b64 exec, exec, s[6:7]
	s_cbranch_execnz .LBB4_2356
.LBB4_306:
	s_or_b64 exec, exec, s[6:7]
	s_and_saveexec_b64 s[6:7], s[4:5]
	s_cbranch_execz .LBB4_308
.LBB4_307:
	v_bfe_u32 v10, v15, 16, 3
	v_ffbh_u32_e32 v21, v10
	v_min_u32_e32 v21, 32, v21
	v_lshrrev_b32_e32 v14, 19, v15
	v_subrev_u32_e32 v22, 28, v21
	v_and_b32_e32 v14, 15, v14
	v_lshlrev_b32_sdwa v22, v22, v15 dst_sel:DWORD dst_unused:UNUSED_PAD src0_sel:DWORD src1_sel:WORD_1
	v_bfe_u32 v20, v15, 19, 4
	v_sub_u32_e32 v21, 29, v21
	v_and_b32_e32 v22, 7, v22
	v_cmp_eq_u16_e32 vcc, 0, v14
	v_cndmask_b32_e32 v10, v10, v22, vcc
	v_cndmask_b32_e32 v14, v20, v21, vcc
	v_lshlrev_b32_e32 v20, 8, v15
	v_mov_b32_e32 v21, 0x3b800000
	v_lshlrev_b32_e32 v10, 20, v10
	v_and_b32_e32 v20, 0x80000000, v20
	v_lshl_add_u32 v14, v14, 23, v21
	v_or3_b32 v10, v20, v14, v10
.LBB4_308:
	s_or_b64 exec, exec, s[6:7]
	s_movk_i32 s4, 0xff
	v_and_b32_sdwa v14, v11, s4 dst_sel:DWORD dst_unused:UNUSED_PAD src0_sel:WORD_1 src1_sel:DWORD
	s_movk_i32 s4, 0x7f
	v_cmp_lt_i16_e32 vcc, s4, v14
	s_mov_b64 s[4:5], 0
                                        ; implicit-def: $sgpr10
	s_and_saveexec_b64 s[6:7], vcc
	s_xor_b64 s[6:7], exec, s[6:7]
	s_cbranch_execnz .LBB4_2357
; %bb.309:
	s_or_saveexec_b64 s[6:7], s[6:7]
	v_mov_b32_e32 v20, s10
	s_xor_b64 exec, exec, s[6:7]
	s_cbranch_execnz .LBB4_2360
.LBB4_310:
	s_or_b64 exec, exec, s[6:7]
	s_and_saveexec_b64 s[6:7], s[4:5]
	s_cbranch_execz .LBB4_312
.LBB4_311:
	v_bfe_u32 v14, v11, 16, 3
	v_ffbh_u32_e32 v22, v14
	v_min_u32_e32 v22, 32, v22
	v_lshrrev_b32_e32 v20, 19, v11
	v_subrev_u32_e32 v23, 28, v22
	v_and_b32_e32 v20, 15, v20
	v_lshlrev_b32_sdwa v23, v23, v11 dst_sel:DWORD dst_unused:UNUSED_PAD src0_sel:DWORD src1_sel:WORD_1
	v_bfe_u32 v21, v11, 19, 4
	v_sub_u32_e32 v22, 29, v22
	v_and_b32_e32 v23, 7, v23
	v_cmp_eq_u16_e32 vcc, 0, v20
	v_cndmask_b32_e32 v14, v14, v23, vcc
	v_cndmask_b32_e32 v20, v21, v22, vcc
	v_lshlrev_b32_e32 v21, 8, v11
	v_mov_b32_e32 v22, 0x3b800000
	v_lshlrev_b32_e32 v14, 20, v14
	v_and_b32_e32 v21, 0x80000000, v21
	v_lshl_add_u32 v20, v20, 23, v22
	v_or3_b32 v20, v21, v20, v14
.LBB4_312:
	s_or_b64 exec, exec, s[6:7]
	s_nop 0
	v_mfma_f32_16x16x4f32 a[0:3], v10, v20, a[0:3]
	s_movk_i32 s4, 0x7f
	v_cmp_gt_i16_sdwa s[6:7], v15, s4 src0_sel:BYTE_3 src1_sel:DWORD
	s_mov_b64 s[4:5], 0
                                        ; implicit-def: $sgpr10
	s_and_saveexec_b64 s[8:9], s[6:7]
	s_xor_b64 s[6:7], exec, s[8:9]
	s_cbranch_execnz .LBB4_2361
; %bb.313:
	s_or_saveexec_b64 s[6:7], s[6:7]
	v_mov_b32_e32 v10, s10
	s_xor_b64 exec, exec, s[6:7]
	s_cbranch_execnz .LBB4_2364
.LBB4_314:
	s_or_b64 exec, exec, s[6:7]
	s_and_saveexec_b64 s[6:7], s[4:5]
	s_cbranch_execz .LBB4_316
.LBB4_315:
	v_bfe_u32 v10, v15, 24, 3
	v_ffbh_u32_e32 v22, v10
	v_min_u32_e32 v22, 32, v22
	v_lshrrev_b32_e32 v20, 27, v15
	v_subrev_u32_e32 v23, 28, v22
	v_and_b32_e32 v14, 0x80000000, v15
	v_and_b32_e32 v20, 15, v20
	v_bfe_u32 v21, v15, 27, 4
	v_lshlrev_b32_sdwa v15, v23, v15 dst_sel:DWORD dst_unused:UNUSED_PAD src0_sel:DWORD src1_sel:BYTE_3
	v_sub_u32_e32 v22, 29, v22
	v_and_b32_e32 v15, 7, v15
	v_cmp_eq_u16_e32 vcc, 0, v20
	v_cndmask_b32_e32 v10, v10, v15, vcc
	v_cndmask_b32_e32 v15, v21, v22, vcc
	v_mov_b32_e32 v20, 0x3b800000
	v_lshlrev_b32_e32 v10, 20, v10
	v_lshl_add_u32 v15, v15, 23, v20
	v_or3_b32 v10, v14, v15, v10
.LBB4_316:
	s_or_b64 exec, exec, s[6:7]
	s_movk_i32 s4, 0x7f
	v_cmp_gt_i16_sdwa s[6:7], v11, s4 src0_sel:BYTE_3 src1_sel:DWORD
	s_mov_b64 s[4:5], 0
                                        ; implicit-def: $sgpr10
	s_and_saveexec_b64 s[8:9], s[6:7]
	s_xor_b64 s[6:7], exec, s[8:9]
	s_cbranch_execnz .LBB4_2365
; %bb.317:
	s_or_saveexec_b64 s[6:7], s[6:7]
	v_mov_b32_e32 v14, s10
	s_xor_b64 exec, exec, s[6:7]
	s_cbranch_execnz .LBB4_2368
.LBB4_318:
	s_or_b64 exec, exec, s[6:7]
	s_and_saveexec_b64 s[6:7], s[4:5]
	s_cbranch_execz .LBB4_320
.LBB4_319:
	v_bfe_u32 v14, v11, 24, 3
	v_ffbh_u32_e32 v22, v14
	v_min_u32_e32 v22, 32, v22
	v_lshrrev_b32_e32 v20, 27, v11
	v_subrev_u32_e32 v23, 28, v22
	v_and_b32_e32 v15, 0x80000000, v11
	v_and_b32_e32 v20, 15, v20
	v_bfe_u32 v21, v11, 27, 4
	v_lshlrev_b32_sdwa v11, v23, v11 dst_sel:DWORD dst_unused:UNUSED_PAD src0_sel:DWORD src1_sel:BYTE_3
	v_sub_u32_e32 v22, 29, v22
	v_and_b32_e32 v11, 7, v11
	v_cmp_eq_u16_e32 vcc, 0, v20
	v_cndmask_b32_e32 v11, v14, v11, vcc
	v_cndmask_b32_e32 v14, v21, v22, vcc
	v_mov_b32_e32 v20, 0x3b800000
	v_lshlrev_b32_e32 v11, 20, v11
	v_lshl_add_u32 v14, v14, 23, v20
	v_or3_b32 v14, v15, v14, v11
.LBB4_320:
	s_or_b64 exec, exec, s[6:7]
	s_nop 0
	v_mfma_f32_16x16x4f32 a[0:3], v10, v14, a[0:3]
	s_movk_i32 s4, 0x7f
	v_cmp_gt_i16_sdwa s[6:7], v16, s4 src0_sel:BYTE_0 src1_sel:DWORD
	s_mov_b64 s[4:5], 0
                                        ; implicit-def: $sgpr10
	s_and_saveexec_b64 s[8:9], s[6:7]
	s_xor_b64 s[6:7], exec, s[8:9]
	s_cbranch_execnz .LBB4_2369
; %bb.321:
	s_or_saveexec_b64 s[6:7], s[6:7]
	v_mov_b32_e32 v10, s10
	s_xor_b64 exec, exec, s[6:7]
	s_cbranch_execnz .LBB4_2372
.LBB4_322:
	s_or_b64 exec, exec, s[6:7]
	s_and_saveexec_b64 s[6:7], s[4:5]
	s_cbranch_execz .LBB4_324
.LBB4_323:
	v_and_b32_e32 v10, 7, v16
	v_ffbh_u32_e32 v14, v10
	v_min_u32_e32 v14, 32, v14
	v_lshrrev_b16_e32 v11, 3, v16
	v_subrev_u32_e32 v15, 28, v14
	v_and_b32_e32 v11, 15, v11
	v_lshlrev_b32_e32 v15, v15, v16
	v_sub_u32_e32 v14, 29, v14
	v_and_b32_e32 v15, 7, v15
	v_cmp_eq_u16_e32 vcc, 0, v11
	v_cndmask_b32_e32 v10, v10, v15, vcc
	v_cndmask_b32_e32 v11, v11, v14, vcc
	v_lshlrev_b32_e32 v14, 24, v16
	v_mov_b32_e32 v15, 0x3b800000
	v_lshlrev_b32_e32 v10, 20, v10
	v_and_b32_e32 v14, 0x80000000, v14
	v_lshl_add_u32 v11, v11, 23, v15
	v_or3_b32 v10, v14, v11, v10
.LBB4_324:
	s_or_b64 exec, exec, s[6:7]
	s_movk_i32 s4, 0x7f
	v_cmp_gt_i16_sdwa s[6:7], v12, s4 src0_sel:BYTE_0 src1_sel:DWORD
	s_mov_b64 s[4:5], 0
                                        ; implicit-def: $sgpr10
	s_and_saveexec_b64 s[8:9], s[6:7]
	s_xor_b64 s[6:7], exec, s[8:9]
	s_cbranch_execnz .LBB4_2373
; %bb.325:
	s_or_saveexec_b64 s[6:7], s[6:7]
	v_mov_b32_e32 v11, s10
	s_xor_b64 exec, exec, s[6:7]
	s_cbranch_execnz .LBB4_2376
.LBB4_326:
	s_or_b64 exec, exec, s[6:7]
	s_and_saveexec_b64 s[6:7], s[4:5]
	s_cbranch_execz .LBB4_328
.LBB4_327:
	v_and_b32_e32 v11, 7, v12
	v_ffbh_u32_e32 v15, v11
	v_min_u32_e32 v15, 32, v15
	v_lshrrev_b16_e32 v14, 3, v12
	v_subrev_u32_e32 v20, 28, v15
	v_and_b32_e32 v14, 15, v14
	v_lshlrev_b32_e32 v20, v20, v12
	v_sub_u32_e32 v15, 29, v15
	v_and_b32_e32 v20, 7, v20
	v_cmp_eq_u16_e32 vcc, 0, v14
	v_cndmask_b32_e32 v11, v11, v20, vcc
	v_cndmask_b32_e32 v14, v14, v15, vcc
	v_lshlrev_b32_e32 v15, 24, v12
	v_mov_b32_e32 v20, 0x3b800000
	v_lshlrev_b32_e32 v11, 20, v11
	v_and_b32_e32 v15, 0x80000000, v15
	v_lshl_add_u32 v14, v14, 23, v20
	v_or3_b32 v11, v15, v14, v11
.LBB4_328:
	s_or_b64 exec, exec, s[6:7]
	s_nop 0
	v_mfma_f32_16x16x4f32 a[0:3], v10, v11, a[0:3]
	v_lshrrev_b32_e32 v11, 8, v16
	s_movk_i32 s4, 0x7f
	v_cmp_gt_i16_sdwa s[6:7], v11, s4 src0_sel:BYTE_0 src1_sel:DWORD
	s_mov_b64 s[4:5], 0
                                        ; implicit-def: $sgpr10
	s_and_saveexec_b64 s[8:9], s[6:7]
	s_xor_b64 s[6:7], exec, s[8:9]
	s_cbranch_execnz .LBB4_2377
; %bb.329:
	s_or_saveexec_b64 s[6:7], s[6:7]
	v_mov_b32_e32 v10, s10
	s_xor_b64 exec, exec, s[6:7]
	s_cbranch_execnz .LBB4_2380
.LBB4_330:
	s_or_b64 exec, exec, s[6:7]
	s_and_saveexec_b64 s[6:7], s[4:5]
	s_cbranch_execz .LBB4_332
.LBB4_331:
	v_bfe_u32 v10, v16, 8, 3
	v_ffbh_u32_e32 v15, v10
	v_min_u32_e32 v15, 32, v15
	v_lshrrev_b16_e32 v14, 3, v11
	v_subrev_u32_e32 v20, 28, v15
	v_and_b32_e32 v14, 15, v14
	v_lshlrev_b32_e32 v11, v20, v11
	v_sub_u32_e32 v15, 29, v15
	v_and_b32_e32 v11, 7, v11
	v_cmp_eq_u16_e32 vcc, 0, v14
	v_cndmask_b32_e32 v10, v10, v11, vcc
	v_cndmask_b32_e32 v11, v14, v15, vcc
	v_lshlrev_b32_e32 v14, 16, v16
	v_mov_b32_e32 v15, 0x3b800000
	v_lshlrev_b32_e32 v10, 20, v10
	v_and_b32_e32 v14, 0x80000000, v14
	v_lshl_add_u32 v11, v11, 23, v15
	v_or3_b32 v10, v14, v11, v10
.LBB4_332:
	s_or_b64 exec, exec, s[6:7]
	v_lshrrev_b32_e32 v11, 8, v12
	s_movk_i32 s4, 0x7f
	v_cmp_gt_i16_sdwa s[6:7], v11, s4 src0_sel:BYTE_0 src1_sel:DWORD
	s_mov_b64 s[4:5], 0
                                        ; implicit-def: $sgpr10
	s_and_saveexec_b64 s[8:9], s[6:7]
	s_xor_b64 s[6:7], exec, s[8:9]
	s_cbranch_execnz .LBB4_2381
; %bb.333:
	s_or_saveexec_b64 s[6:7], s[6:7]
	v_mov_b32_e32 v14, s10
	s_xor_b64 exec, exec, s[6:7]
	s_cbranch_execnz .LBB4_2384
.LBB4_334:
	s_or_b64 exec, exec, s[6:7]
	s_and_saveexec_b64 s[6:7], s[4:5]
	s_cbranch_execz .LBB4_336
.LBB4_335:
	v_bfe_u32 v14, v12, 8, 3
	v_ffbh_u32_e32 v20, v14
	v_min_u32_e32 v20, 32, v20
	v_lshrrev_b16_e32 v15, 3, v11
	v_subrev_u32_e32 v21, 28, v20
	v_and_b32_e32 v15, 15, v15
	v_lshlrev_b32_e32 v11, v21, v11
	v_sub_u32_e32 v20, 29, v20
	v_and_b32_e32 v11, 7, v11
	v_cmp_eq_u16_e32 vcc, 0, v15
	v_cndmask_b32_e32 v11, v14, v11, vcc
	v_cndmask_b32_e32 v14, v15, v20, vcc
	v_lshlrev_b32_e32 v15, 16, v12
	v_mov_b32_e32 v20, 0x3b800000
	v_lshlrev_b32_e32 v11, 20, v11
	v_and_b32_e32 v15, 0x80000000, v15
	v_lshl_add_u32 v14, v14, 23, v20
	v_or3_b32 v14, v15, v14, v11
.LBB4_336:
	s_or_b64 exec, exec, s[6:7]
	s_nop 0
	v_mfma_f32_16x16x4f32 a[0:3], v10, v14, a[0:3]
	s_movk_i32 s4, 0xff
	v_and_b32_sdwa v11, v16, s4 dst_sel:DWORD dst_unused:UNUSED_PAD src0_sel:WORD_1 src1_sel:DWORD
	s_movk_i32 s4, 0x7f
	v_cmp_lt_i16_e32 vcc, s4, v11
	s_mov_b64 s[4:5], 0
                                        ; implicit-def: $sgpr10
	s_and_saveexec_b64 s[6:7], vcc
	s_xor_b64 s[6:7], exec, s[6:7]
	s_cbranch_execnz .LBB4_2385
; %bb.337:
	s_or_saveexec_b64 s[6:7], s[6:7]
	v_mov_b32_e32 v10, s10
	s_xor_b64 exec, exec, s[6:7]
	s_cbranch_execnz .LBB4_2388
.LBB4_338:
	s_or_b64 exec, exec, s[6:7]
	s_and_saveexec_b64 s[6:7], s[4:5]
	s_cbranch_execz .LBB4_340
.LBB4_339:
	v_bfe_u32 v10, v16, 16, 3
	v_ffbh_u32_e32 v15, v10
	v_min_u32_e32 v15, 32, v15
	v_lshrrev_b32_e32 v11, 19, v16
	v_subrev_u32_e32 v20, 28, v15
	v_and_b32_e32 v11, 15, v11
	v_lshlrev_b32_sdwa v20, v20, v16 dst_sel:DWORD dst_unused:UNUSED_PAD src0_sel:DWORD src1_sel:WORD_1
	v_bfe_u32 v14, v16, 19, 4
	v_sub_u32_e32 v15, 29, v15
	v_and_b32_e32 v20, 7, v20
	v_cmp_eq_u16_e32 vcc, 0, v11
	v_cndmask_b32_e32 v10, v10, v20, vcc
	v_cndmask_b32_e32 v11, v14, v15, vcc
	v_lshlrev_b32_e32 v14, 8, v16
	v_mov_b32_e32 v15, 0x3b800000
	v_lshlrev_b32_e32 v10, 20, v10
	v_and_b32_e32 v14, 0x80000000, v14
	v_lshl_add_u32 v11, v11, 23, v15
	v_or3_b32 v10, v14, v11, v10
.LBB4_340:
	s_or_b64 exec, exec, s[6:7]
	s_movk_i32 s4, 0xff
	v_and_b32_sdwa v11, v12, s4 dst_sel:DWORD dst_unused:UNUSED_PAD src0_sel:WORD_1 src1_sel:DWORD
	s_movk_i32 s4, 0x7f
	v_cmp_lt_i16_e32 vcc, s4, v11
	s_mov_b64 s[4:5], 0
                                        ; implicit-def: $sgpr10
	s_and_saveexec_b64 s[6:7], vcc
	s_xor_b64 s[6:7], exec, s[6:7]
	s_cbranch_execnz .LBB4_2389
; %bb.341:
	s_or_saveexec_b64 s[6:7], s[6:7]
	v_mov_b32_e32 v14, s10
	s_xor_b64 exec, exec, s[6:7]
	s_cbranch_execnz .LBB4_2392
.LBB4_342:
	s_or_b64 exec, exec, s[6:7]
	s_and_saveexec_b64 s[6:7], s[4:5]
	s_cbranch_execz .LBB4_344
.LBB4_343:
	v_bfe_u32 v11, v12, 16, 3
	v_ffbh_u32_e32 v20, v11
	v_min_u32_e32 v20, 32, v20
	v_lshrrev_b32_e32 v14, 19, v12
	v_subrev_u32_e32 v21, 28, v20
	v_and_b32_e32 v14, 15, v14
	v_lshlrev_b32_sdwa v21, v21, v12 dst_sel:DWORD dst_unused:UNUSED_PAD src0_sel:DWORD src1_sel:WORD_1
	v_bfe_u32 v15, v12, 19, 4
	v_sub_u32_e32 v20, 29, v20
	v_and_b32_e32 v21, 7, v21
	v_cmp_eq_u16_e32 vcc, 0, v14
	v_cndmask_b32_e32 v11, v11, v21, vcc
	v_cndmask_b32_e32 v14, v15, v20, vcc
	v_lshlrev_b32_e32 v15, 8, v12
	v_mov_b32_e32 v20, 0x3b800000
	v_lshlrev_b32_e32 v11, 20, v11
	v_and_b32_e32 v15, 0x80000000, v15
	v_lshl_add_u32 v14, v14, 23, v20
	v_or3_b32 v14, v15, v14, v11
.LBB4_344:
	s_or_b64 exec, exec, s[6:7]
	s_nop 0
	v_mfma_f32_16x16x4f32 a[0:3], v10, v14, a[0:3]
	s_movk_i32 s4, 0x7f
	v_cmp_gt_i16_sdwa s[6:7], v16, s4 src0_sel:BYTE_3 src1_sel:DWORD
	s_mov_b64 s[4:5], 0
                                        ; implicit-def: $sgpr10
	s_and_saveexec_b64 s[8:9], s[6:7]
	s_xor_b64 s[6:7], exec, s[8:9]
	s_cbranch_execnz .LBB4_2393
; %bb.345:
	s_or_saveexec_b64 s[6:7], s[6:7]
	v_mov_b32_e32 v10, s10
	s_xor_b64 exec, exec, s[6:7]
	s_cbranch_execnz .LBB4_2396
.LBB4_346:
	s_or_b64 exec, exec, s[6:7]
	s_and_saveexec_b64 s[6:7], s[4:5]
	s_cbranch_execz .LBB4_348
.LBB4_347:
	v_bfe_u32 v10, v16, 24, 3
	v_ffbh_u32_e32 v20, v10
	v_min_u32_e32 v20, 32, v20
	v_lshrrev_b32_e32 v14, 27, v16
	v_subrev_u32_e32 v21, 28, v20
	v_and_b32_e32 v11, 0x80000000, v16
	v_and_b32_e32 v14, 15, v14
	v_bfe_u32 v15, v16, 27, 4
	v_lshlrev_b32_sdwa v16, v21, v16 dst_sel:DWORD dst_unused:UNUSED_PAD src0_sel:DWORD src1_sel:BYTE_3
	v_sub_u32_e32 v20, 29, v20
	v_and_b32_e32 v16, 7, v16
	v_cmp_eq_u16_e32 vcc, 0, v14
	v_cndmask_b32_e32 v10, v10, v16, vcc
	v_cndmask_b32_e32 v14, v15, v20, vcc
	v_mov_b32_e32 v15, 0x3b800000
	v_lshlrev_b32_e32 v10, 20, v10
	v_lshl_add_u32 v14, v14, 23, v15
	v_or3_b32 v10, v11, v14, v10
.LBB4_348:
	s_or_b64 exec, exec, s[6:7]
	s_movk_i32 s4, 0x7f
	v_cmp_gt_i16_sdwa s[6:7], v12, s4 src0_sel:BYTE_3 src1_sel:DWORD
	s_mov_b64 s[4:5], 0
                                        ; implicit-def: $sgpr10
	s_and_saveexec_b64 s[8:9], s[6:7]
	s_xor_b64 s[6:7], exec, s[8:9]
	s_cbranch_execnz .LBB4_2397
; %bb.349:
	s_or_saveexec_b64 s[6:7], s[6:7]
	v_mov_b32_e32 v11, s10
	s_xor_b64 exec, exec, s[6:7]
	s_cbranch_execnz .LBB4_2400
.LBB4_350:
	s_or_b64 exec, exec, s[6:7]
	s_and_saveexec_b64 s[6:7], s[4:5]
	s_cbranch_execz .LBB4_352
.LBB4_351:
	v_bfe_u32 v11, v12, 24, 3
	v_ffbh_u32_e32 v20, v11
	v_min_u32_e32 v20, 32, v20
	v_lshrrev_b32_e32 v15, 27, v12
	v_subrev_u32_e32 v21, 28, v20
	v_and_b32_e32 v14, 0x80000000, v12
	v_and_b32_e32 v15, 15, v15
	v_bfe_u32 v16, v12, 27, 4
	v_lshlrev_b32_sdwa v12, v21, v12 dst_sel:DWORD dst_unused:UNUSED_PAD src0_sel:DWORD src1_sel:BYTE_3
	v_sub_u32_e32 v20, 29, v20
	v_and_b32_e32 v12, 7, v12
	v_cmp_eq_u16_e32 vcc, 0, v15
	v_cndmask_b32_e32 v11, v11, v12, vcc
	v_cndmask_b32_e32 v12, v16, v20, vcc
	v_mov_b32_e32 v15, 0x3b800000
	v_lshlrev_b32_e32 v11, 20, v11
	v_lshl_add_u32 v12, v12, 23, v15
	v_or3_b32 v11, v14, v12, v11
.LBB4_352:
	s_or_b64 exec, exec, s[6:7]
	s_nop 0
	v_mfma_f32_16x16x4f32 a[0:3], v10, v11, a[0:3]
	s_movk_i32 s4, 0x7f
	v_cmp_gt_i16_sdwa s[6:7], v17, s4 src0_sel:BYTE_0 src1_sel:DWORD
	s_mov_b64 s[4:5], 0
                                        ; implicit-def: $sgpr10
	s_and_saveexec_b64 s[8:9], s[6:7]
	s_xor_b64 s[6:7], exec, s[8:9]
	s_cbranch_execnz .LBB4_2401
; %bb.353:
	s_or_saveexec_b64 s[6:7], s[6:7]
	v_mov_b32_e32 v10, s10
	s_xor_b64 exec, exec, s[6:7]
	s_cbranch_execnz .LBB4_2404
.LBB4_354:
	s_or_b64 exec, exec, s[6:7]
	s_and_saveexec_b64 s[6:7], s[4:5]
	s_cbranch_execz .LBB4_356
.LBB4_355:
	v_and_b32_e32 v10, 7, v17
	v_ffbh_u32_e32 v12, v10
	v_min_u32_e32 v12, 32, v12
	v_lshrrev_b16_e32 v11, 3, v17
	v_subrev_u32_e32 v14, 28, v12
	v_and_b32_e32 v11, 15, v11
	v_lshlrev_b32_e32 v14, v14, v17
	v_sub_u32_e32 v12, 29, v12
	v_and_b32_e32 v14, 7, v14
	v_cmp_eq_u16_e32 vcc, 0, v11
	v_cndmask_b32_e32 v10, v10, v14, vcc
	v_cndmask_b32_e32 v11, v11, v12, vcc
	v_lshlrev_b32_e32 v12, 24, v17
	v_mov_b32_e32 v14, 0x3b800000
	v_lshlrev_b32_e32 v10, 20, v10
	v_and_b32_e32 v12, 0x80000000, v12
	v_lshl_add_u32 v11, v11, 23, v14
	v_or3_b32 v10, v12, v11, v10
.LBB4_356:
	s_or_b64 exec, exec, s[6:7]
	s_movk_i32 s4, 0x7f
	v_cmp_gt_i16_sdwa s[6:7], v13, s4 src0_sel:BYTE_0 src1_sel:DWORD
	s_mov_b64 s[4:5], 0
                                        ; implicit-def: $sgpr10
	s_and_saveexec_b64 s[8:9], s[6:7]
	s_xor_b64 s[6:7], exec, s[8:9]
	s_cbranch_execnz .LBB4_2405
; %bb.357:
	s_or_saveexec_b64 s[6:7], s[6:7]
	v_mov_b32_e32 v11, s10
	s_xor_b64 exec, exec, s[6:7]
	s_cbranch_execnz .LBB4_2408
.LBB4_358:
	s_or_b64 exec, exec, s[6:7]
	s_and_saveexec_b64 s[6:7], s[4:5]
	s_cbranch_execz .LBB4_360
.LBB4_359:
	v_and_b32_e32 v11, 7, v13
	v_ffbh_u32_e32 v14, v11
	v_min_u32_e32 v14, 32, v14
	v_lshrrev_b16_e32 v12, 3, v13
	v_subrev_u32_e32 v15, 28, v14
	v_and_b32_e32 v12, 15, v12
	v_lshlrev_b32_e32 v15, v15, v13
	v_sub_u32_e32 v14, 29, v14
	v_and_b32_e32 v15, 7, v15
	v_cmp_eq_u16_e32 vcc, 0, v12
	v_cndmask_b32_e32 v11, v11, v15, vcc
	v_cndmask_b32_e32 v12, v12, v14, vcc
	v_lshlrev_b32_e32 v14, 24, v13
	v_mov_b32_e32 v15, 0x3b800000
	v_lshlrev_b32_e32 v11, 20, v11
	v_and_b32_e32 v14, 0x80000000, v14
	v_lshl_add_u32 v12, v12, 23, v15
	v_or3_b32 v11, v14, v12, v11
.LBB4_360:
	s_or_b64 exec, exec, s[6:7]
	s_nop 0
	v_mfma_f32_16x16x4f32 a[0:3], v10, v11, a[0:3]
	v_lshrrev_b32_e32 v11, 8, v17
	s_movk_i32 s4, 0x7f
	v_cmp_gt_i16_sdwa s[6:7], v11, s4 src0_sel:BYTE_0 src1_sel:DWORD
	s_mov_b64 s[4:5], 0
                                        ; implicit-def: $sgpr10
	s_and_saveexec_b64 s[8:9], s[6:7]
	s_xor_b64 s[6:7], exec, s[8:9]
	s_cbranch_execnz .LBB4_2409
; %bb.361:
	s_or_saveexec_b64 s[6:7], s[6:7]
	v_mov_b32_e32 v10, s10
	s_xor_b64 exec, exec, s[6:7]
	s_cbranch_execnz .LBB4_2412
.LBB4_362:
	s_or_b64 exec, exec, s[6:7]
	s_and_saveexec_b64 s[6:7], s[4:5]
	s_cbranch_execz .LBB4_364
.LBB4_363:
	v_bfe_u32 v10, v17, 8, 3
	v_ffbh_u32_e32 v14, v10
	v_min_u32_e32 v14, 32, v14
	v_lshrrev_b16_e32 v12, 3, v11
	v_subrev_u32_e32 v15, 28, v14
	v_and_b32_e32 v12, 15, v12
	v_lshlrev_b32_e32 v11, v15, v11
	v_sub_u32_e32 v14, 29, v14
	v_and_b32_e32 v11, 7, v11
	v_cmp_eq_u16_e32 vcc, 0, v12
	v_cndmask_b32_e32 v10, v10, v11, vcc
	v_cndmask_b32_e32 v11, v12, v14, vcc
	v_lshlrev_b32_e32 v12, 16, v17
	v_mov_b32_e32 v14, 0x3b800000
	v_lshlrev_b32_e32 v10, 20, v10
	v_and_b32_e32 v12, 0x80000000, v12
	v_lshl_add_u32 v11, v11, 23, v14
	v_or3_b32 v10, v12, v11, v10
.LBB4_364:
	s_or_b64 exec, exec, s[6:7]
	v_lshrrev_b32_e32 v11, 8, v13
	s_movk_i32 s4, 0x7f
	v_cmp_gt_i16_sdwa s[6:7], v11, s4 src0_sel:BYTE_0 src1_sel:DWORD
	s_mov_b64 s[4:5], 0
                                        ; implicit-def: $sgpr10
	s_and_saveexec_b64 s[8:9], s[6:7]
	s_xor_b64 s[6:7], exec, s[8:9]
	s_cbranch_execnz .LBB4_2413
; %bb.365:
	s_or_saveexec_b64 s[6:7], s[6:7]
	v_mov_b32_e32 v12, s10
	s_xor_b64 exec, exec, s[6:7]
	s_cbranch_execnz .LBB4_2416
.LBB4_366:
	s_or_b64 exec, exec, s[6:7]
	s_and_saveexec_b64 s[6:7], s[4:5]
	s_cbranch_execz .LBB4_368
.LBB4_367:
	v_bfe_u32 v12, v13, 8, 3
	v_ffbh_u32_e32 v15, v12
	v_min_u32_e32 v15, 32, v15
	v_lshrrev_b16_e32 v14, 3, v11
	v_subrev_u32_e32 v16, 28, v15
	v_and_b32_e32 v14, 15, v14
	v_lshlrev_b32_e32 v11, v16, v11
	v_sub_u32_e32 v15, 29, v15
	v_and_b32_e32 v11, 7, v11
	v_cmp_eq_u16_e32 vcc, 0, v14
	v_cndmask_b32_e32 v11, v12, v11, vcc
	v_cndmask_b32_e32 v12, v14, v15, vcc
	v_lshlrev_b32_e32 v14, 16, v13
	v_mov_b32_e32 v15, 0x3b800000
	v_lshlrev_b32_e32 v11, 20, v11
	v_and_b32_e32 v14, 0x80000000, v14
	v_lshl_add_u32 v12, v12, 23, v15
	v_or3_b32 v12, v14, v12, v11
.LBB4_368:
	s_or_b64 exec, exec, s[6:7]
	s_nop 0
	v_mfma_f32_16x16x4f32 a[0:3], v10, v12, a[0:3]
	s_movk_i32 s4, 0xff
	v_and_b32_sdwa v11, v17, s4 dst_sel:DWORD dst_unused:UNUSED_PAD src0_sel:WORD_1 src1_sel:DWORD
	s_movk_i32 s4, 0x7f
	v_cmp_lt_i16_e32 vcc, s4, v11
	s_mov_b64 s[4:5], 0
                                        ; implicit-def: $sgpr10
	s_and_saveexec_b64 s[6:7], vcc
	s_xor_b64 s[6:7], exec, s[6:7]
	s_cbranch_execnz .LBB4_2417
; %bb.369:
	s_or_saveexec_b64 s[6:7], s[6:7]
	v_mov_b32_e32 v10, s10
	s_xor_b64 exec, exec, s[6:7]
	s_cbranch_execnz .LBB4_2420
.LBB4_370:
	s_or_b64 exec, exec, s[6:7]
	s_and_saveexec_b64 s[6:7], s[4:5]
	s_cbranch_execz .LBB4_372
.LBB4_371:
	v_bfe_u32 v10, v17, 16, 3
	v_ffbh_u32_e32 v14, v10
	v_min_u32_e32 v14, 32, v14
	v_lshrrev_b32_e32 v11, 19, v17
	v_subrev_u32_e32 v15, 28, v14
	v_and_b32_e32 v11, 15, v11
	v_lshlrev_b32_sdwa v15, v15, v17 dst_sel:DWORD dst_unused:UNUSED_PAD src0_sel:DWORD src1_sel:WORD_1
	v_bfe_u32 v12, v17, 19, 4
	v_sub_u32_e32 v14, 29, v14
	v_and_b32_e32 v15, 7, v15
	v_cmp_eq_u16_e32 vcc, 0, v11
	v_cndmask_b32_e32 v10, v10, v15, vcc
	v_cndmask_b32_e32 v11, v12, v14, vcc
	v_lshlrev_b32_e32 v12, 8, v17
	v_mov_b32_e32 v14, 0x3b800000
	v_lshlrev_b32_e32 v10, 20, v10
	v_and_b32_e32 v12, 0x80000000, v12
	v_lshl_add_u32 v11, v11, 23, v14
	v_or3_b32 v10, v12, v11, v10
.LBB4_372:
	s_or_b64 exec, exec, s[6:7]
	s_movk_i32 s4, 0xff
	v_and_b32_sdwa v11, v13, s4 dst_sel:DWORD dst_unused:UNUSED_PAD src0_sel:WORD_1 src1_sel:DWORD
	s_movk_i32 s4, 0x7f
	v_cmp_lt_i16_e32 vcc, s4, v11
	s_mov_b64 s[4:5], 0
                                        ; implicit-def: $sgpr10
	s_and_saveexec_b64 s[6:7], vcc
	s_xor_b64 s[6:7], exec, s[6:7]
	s_cbranch_execnz .LBB4_2421
; %bb.373:
	s_or_saveexec_b64 s[6:7], s[6:7]
	v_mov_b32_e32 v12, s10
	s_xor_b64 exec, exec, s[6:7]
	s_cbranch_execnz .LBB4_2424
.LBB4_374:
	s_or_b64 exec, exec, s[6:7]
	s_and_saveexec_b64 s[6:7], s[4:5]
	s_cbranch_execz .LBB4_376
.LBB4_375:
	v_bfe_u32 v11, v13, 16, 3
	v_ffbh_u32_e32 v15, v11
	v_min_u32_e32 v15, 32, v15
	v_lshrrev_b32_e32 v12, 19, v13
	v_subrev_u32_e32 v16, 28, v15
	v_and_b32_e32 v12, 15, v12
	v_lshlrev_b32_sdwa v16, v16, v13 dst_sel:DWORD dst_unused:UNUSED_PAD src0_sel:DWORD src1_sel:WORD_1
	v_bfe_u32 v14, v13, 19, 4
	v_sub_u32_e32 v15, 29, v15
	v_and_b32_e32 v16, 7, v16
	v_cmp_eq_u16_e32 vcc, 0, v12
	v_cndmask_b32_e32 v11, v11, v16, vcc
	v_cndmask_b32_e32 v12, v14, v15, vcc
	v_lshlrev_b32_e32 v14, 8, v13
	v_mov_b32_e32 v15, 0x3b800000
	v_lshlrev_b32_e32 v11, 20, v11
	v_and_b32_e32 v14, 0x80000000, v14
	v_lshl_add_u32 v12, v12, 23, v15
	v_or3_b32 v12, v14, v12, v11
.LBB4_376:
	s_or_b64 exec, exec, s[6:7]
	s_nop 0
	v_mfma_f32_16x16x4f32 a[0:3], v10, v12, a[0:3]
	s_movk_i32 s4, 0x7f
	v_cmp_gt_i16_sdwa s[6:7], v17, s4 src0_sel:BYTE_3 src1_sel:DWORD
	s_mov_b64 s[4:5], 0
                                        ; implicit-def: $sgpr10
	s_and_saveexec_b64 s[8:9], s[6:7]
	s_xor_b64 s[6:7], exec, s[8:9]
	s_cbranch_execnz .LBB4_2425
; %bb.377:
	s_or_saveexec_b64 s[6:7], s[6:7]
	v_mov_b32_e32 v10, s10
	s_xor_b64 exec, exec, s[6:7]
	s_cbranch_execnz .LBB4_2428
.LBB4_378:
	s_or_b64 exec, exec, s[6:7]
	s_and_saveexec_b64 s[6:7], s[4:5]
	s_cbranch_execz .LBB4_380
.LBB4_379:
	v_bfe_u32 v10, v17, 24, 3
	v_ffbh_u32_e32 v15, v10
	v_min_u32_e32 v15, 32, v15
	v_lshrrev_b32_e32 v12, 27, v17
	v_subrev_u32_e32 v16, 28, v15
	v_and_b32_e32 v12, 15, v12
	v_lshlrev_b32_sdwa v16, v16, v17 dst_sel:DWORD dst_unused:UNUSED_PAD src0_sel:DWORD src1_sel:BYTE_3
	v_bfe_u32 v14, v17, 27, 4
	v_sub_u32_e32 v15, 29, v15
	v_and_b32_e32 v16, 7, v16
	v_cmp_eq_u16_e32 vcc, 0, v12
	v_cndmask_b32_e32 v10, v10, v16, vcc
	v_cndmask_b32_e32 v12, v14, v15, vcc
	v_mov_b32_e32 v14, 0x3b800000
	v_and_b32_e32 v11, 0x80000000, v17
	v_lshlrev_b32_e32 v10, 20, v10
	v_lshl_add_u32 v12, v12, 23, v14
	v_or3_b32 v10, v11, v12, v10
.LBB4_380:
	s_or_b64 exec, exec, s[6:7]
	s_movk_i32 s4, 0x7f
	v_cmp_gt_i16_sdwa s[6:7], v13, s4 src0_sel:BYTE_3 src1_sel:DWORD
	s_mov_b64 s[4:5], 0
                                        ; implicit-def: $sgpr10
	s_and_saveexec_b64 s[8:9], s[6:7]
	s_xor_b64 s[6:7], exec, s[8:9]
	s_cbranch_execnz .LBB4_2429
; %bb.381:
	s_or_saveexec_b64 s[6:7], s[6:7]
	v_mov_b32_e32 v11, s10
	s_xor_b64 exec, exec, s[6:7]
	s_cbranch_execnz .LBB4_2432
.LBB4_382:
	s_or_b64 exec, exec, s[6:7]
	s_and_saveexec_b64 s[6:7], s[4:5]
	s_cbranch_execz .LBB4_384
.LBB4_383:
	v_bfe_u32 v11, v13, 24, 3
	v_ffbh_u32_e32 v16, v11
	v_min_u32_e32 v16, 32, v16
	v_lshrrev_b32_e32 v14, 27, v13
	v_subrev_u32_e32 v17, 28, v16
	v_and_b32_e32 v12, 0x80000000, v13
	v_and_b32_e32 v14, 15, v14
	v_bfe_u32 v15, v13, 27, 4
	v_lshlrev_b32_sdwa v13, v17, v13 dst_sel:DWORD dst_unused:UNUSED_PAD src0_sel:DWORD src1_sel:BYTE_3
	v_sub_u32_e32 v16, 29, v16
	v_and_b32_e32 v13, 7, v13
	v_cmp_eq_u16_e32 vcc, 0, v14
	v_cndmask_b32_e32 v11, v11, v13, vcc
	v_cndmask_b32_e32 v13, v15, v16, vcc
	v_mov_b32_e32 v14, 0x3b800000
	v_lshlrev_b32_e32 v11, 20, v11
	v_lshl_add_u32 v13, v13, 23, v14
	v_or3_b32 v11, v12, v13, v11
.LBB4_384:
	s_or_b64 exec, exec, s[6:7]
	s_nop 0
	v_mfma_f32_16x16x4f32 a[0:3], v10, v11, a[0:3]
	s_movk_i32 s4, 0x7f
	v_cmp_gt_i16_sdwa s[6:7], v6, s4 src0_sel:BYTE_0 src1_sel:DWORD
	s_mov_b64 s[4:5], 0
                                        ; implicit-def: $sgpr10
	s_and_saveexec_b64 s[8:9], s[6:7]
	s_xor_b64 s[6:7], exec, s[8:9]
	s_cbranch_execnz .LBB4_2433
; %bb.385:
	s_or_saveexec_b64 s[6:7], s[6:7]
	v_mov_b32_e32 v10, s10
	s_xor_b64 exec, exec, s[6:7]
	s_cbranch_execnz .LBB4_2436
.LBB4_386:
	s_or_b64 exec, exec, s[6:7]
	s_and_saveexec_b64 s[6:7], s[4:5]
	s_cbranch_execz .LBB4_388
.LBB4_387:
	v_and_b32_e32 v10, 7, v6
	v_ffbh_u32_e32 v12, v10
	v_min_u32_e32 v12, 32, v12
	v_lshrrev_b16_e32 v11, 3, v6
	v_subrev_u32_e32 v13, 28, v12
	v_and_b32_e32 v11, 15, v11
	v_lshlrev_b32_e32 v13, v13, v6
	v_sub_u32_e32 v12, 29, v12
	v_and_b32_e32 v13, 7, v13
	v_cmp_eq_u16_e32 vcc, 0, v11
	v_cndmask_b32_e32 v10, v10, v13, vcc
	v_cndmask_b32_e32 v11, v11, v12, vcc
	v_lshlrev_b32_e32 v12, 24, v6
	v_mov_b32_e32 v13, 0x3b800000
	v_lshlrev_b32_e32 v10, 20, v10
	v_and_b32_e32 v12, 0x80000000, v12
	v_lshl_add_u32 v11, v11, 23, v13
	v_or3_b32 v10, v12, v11, v10
.LBB4_388:
	s_or_b64 exec, exec, s[6:7]
	s_movk_i32 s4, 0x7f
	v_cmp_gt_i16_sdwa s[6:7], v2, s4 src0_sel:BYTE_0 src1_sel:DWORD
	s_mov_b64 s[4:5], 0
                                        ; implicit-def: $sgpr10
	s_and_saveexec_b64 s[8:9], s[6:7]
	s_xor_b64 s[6:7], exec, s[8:9]
	s_cbranch_execnz .LBB4_2437
; %bb.389:
	s_or_saveexec_b64 s[6:7], s[6:7]
	v_mov_b32_e32 v11, s10
	s_xor_b64 exec, exec, s[6:7]
	s_cbranch_execnz .LBB4_2440
.LBB4_390:
	s_or_b64 exec, exec, s[6:7]
	s_and_saveexec_b64 s[6:7], s[4:5]
	s_cbranch_execz .LBB4_392
.LBB4_391:
	v_and_b32_e32 v11, 7, v2
	v_ffbh_u32_e32 v13, v11
	v_min_u32_e32 v13, 32, v13
	v_lshrrev_b16_e32 v12, 3, v2
	v_subrev_u32_e32 v14, 28, v13
	v_and_b32_e32 v12, 15, v12
	v_lshlrev_b32_e32 v14, v14, v2
	v_sub_u32_e32 v13, 29, v13
	v_and_b32_e32 v14, 7, v14
	v_cmp_eq_u16_e32 vcc, 0, v12
	v_cndmask_b32_e32 v11, v11, v14, vcc
	v_cndmask_b32_e32 v12, v12, v13, vcc
	v_lshlrev_b32_e32 v13, 24, v2
	v_mov_b32_e32 v14, 0x3b800000
	v_lshlrev_b32_e32 v11, 20, v11
	v_and_b32_e32 v13, 0x80000000, v13
	v_lshl_add_u32 v12, v12, 23, v14
	v_or3_b32 v11, v13, v12, v11
.LBB4_392:
	s_or_b64 exec, exec, s[6:7]
	s_nop 0
	v_mfma_f32_16x16x4f32 a[0:3], v10, v11, a[0:3]
	v_lshrrev_b32_e32 v11, 8, v6
	s_movk_i32 s4, 0x7f
	v_cmp_gt_i16_sdwa s[6:7], v11, s4 src0_sel:BYTE_0 src1_sel:DWORD
	s_mov_b64 s[4:5], 0
                                        ; implicit-def: $sgpr10
	s_and_saveexec_b64 s[8:9], s[6:7]
	s_xor_b64 s[6:7], exec, s[8:9]
	s_cbranch_execnz .LBB4_2441
; %bb.393:
	s_or_saveexec_b64 s[6:7], s[6:7]
	v_mov_b32_e32 v10, s10
	s_xor_b64 exec, exec, s[6:7]
	s_cbranch_execnz .LBB4_2444
.LBB4_394:
	s_or_b64 exec, exec, s[6:7]
	s_and_saveexec_b64 s[6:7], s[4:5]
	s_cbranch_execz .LBB4_396
.LBB4_395:
	v_bfe_u32 v10, v6, 8, 3
	v_ffbh_u32_e32 v13, v10
	v_min_u32_e32 v13, 32, v13
	v_lshrrev_b16_e32 v12, 3, v11
	v_subrev_u32_e32 v14, 28, v13
	v_and_b32_e32 v12, 15, v12
	v_lshlrev_b32_e32 v11, v14, v11
	v_sub_u32_e32 v13, 29, v13
	v_and_b32_e32 v11, 7, v11
	v_cmp_eq_u16_e32 vcc, 0, v12
	v_cndmask_b32_e32 v10, v10, v11, vcc
	v_cndmask_b32_e32 v11, v12, v13, vcc
	v_lshlrev_b32_e32 v12, 16, v6
	v_mov_b32_e32 v13, 0x3b800000
	v_lshlrev_b32_e32 v10, 20, v10
	v_and_b32_e32 v12, 0x80000000, v12
	v_lshl_add_u32 v11, v11, 23, v13
	v_or3_b32 v10, v12, v11, v10
.LBB4_396:
	s_or_b64 exec, exec, s[6:7]
	v_lshrrev_b32_e32 v11, 8, v2
	s_movk_i32 s4, 0x7f
	v_cmp_gt_i16_sdwa s[6:7], v11, s4 src0_sel:BYTE_0 src1_sel:DWORD
	s_mov_b64 s[4:5], 0
                                        ; implicit-def: $sgpr10
	s_and_saveexec_b64 s[8:9], s[6:7]
	s_xor_b64 s[6:7], exec, s[8:9]
	s_cbranch_execnz .LBB4_2445
; %bb.397:
	s_or_saveexec_b64 s[6:7], s[6:7]
	v_mov_b32_e32 v12, s10
	s_xor_b64 exec, exec, s[6:7]
	s_cbranch_execnz .LBB4_2448
.LBB4_398:
	s_or_b64 exec, exec, s[6:7]
	s_and_saveexec_b64 s[6:7], s[4:5]
	s_cbranch_execz .LBB4_400
.LBB4_399:
	v_bfe_u32 v12, v2, 8, 3
	v_ffbh_u32_e32 v14, v12
	v_min_u32_e32 v14, 32, v14
	v_lshrrev_b16_e32 v13, 3, v11
	v_subrev_u32_e32 v15, 28, v14
	v_and_b32_e32 v13, 15, v13
	v_lshlrev_b32_e32 v11, v15, v11
	v_sub_u32_e32 v14, 29, v14
	v_and_b32_e32 v11, 7, v11
	v_cmp_eq_u16_e32 vcc, 0, v13
	v_cndmask_b32_e32 v11, v12, v11, vcc
	v_cndmask_b32_e32 v12, v13, v14, vcc
	v_lshlrev_b32_e32 v13, 16, v2
	v_mov_b32_e32 v14, 0x3b800000
	v_lshlrev_b32_e32 v11, 20, v11
	v_and_b32_e32 v13, 0x80000000, v13
	v_lshl_add_u32 v12, v12, 23, v14
	v_or3_b32 v12, v13, v12, v11
.LBB4_400:
	s_or_b64 exec, exec, s[6:7]
	s_nop 0
	v_mfma_f32_16x16x4f32 a[0:3], v10, v12, a[0:3]
	s_movk_i32 s4, 0xff
	v_and_b32_sdwa v11, v6, s4 dst_sel:DWORD dst_unused:UNUSED_PAD src0_sel:WORD_1 src1_sel:DWORD
	s_movk_i32 s4, 0x7f
	v_cmp_lt_i16_e32 vcc, s4, v11
	s_mov_b64 s[4:5], 0
                                        ; implicit-def: $sgpr10
	s_and_saveexec_b64 s[6:7], vcc
	s_xor_b64 s[6:7], exec, s[6:7]
	s_cbranch_execnz .LBB4_2449
; %bb.401:
	s_or_saveexec_b64 s[6:7], s[6:7]
	v_mov_b32_e32 v10, s10
	s_xor_b64 exec, exec, s[6:7]
	s_cbranch_execnz .LBB4_2452
.LBB4_402:
	s_or_b64 exec, exec, s[6:7]
	s_and_saveexec_b64 s[6:7], s[4:5]
	s_cbranch_execz .LBB4_404
.LBB4_403:
	v_bfe_u32 v10, v6, 16, 3
	v_ffbh_u32_e32 v13, v10
	v_min_u32_e32 v13, 32, v13
	v_lshrrev_b32_e32 v11, 19, v6
	v_subrev_u32_e32 v14, 28, v13
	v_and_b32_e32 v11, 15, v11
	v_lshlrev_b32_sdwa v14, v14, v6 dst_sel:DWORD dst_unused:UNUSED_PAD src0_sel:DWORD src1_sel:WORD_1
	v_bfe_u32 v12, v6, 19, 4
	v_sub_u32_e32 v13, 29, v13
	v_and_b32_e32 v14, 7, v14
	v_cmp_eq_u16_e32 vcc, 0, v11
	v_cndmask_b32_e32 v10, v10, v14, vcc
	v_cndmask_b32_e32 v11, v12, v13, vcc
	v_lshlrev_b32_e32 v12, 8, v6
	v_mov_b32_e32 v13, 0x3b800000
	v_lshlrev_b32_e32 v10, 20, v10
	v_and_b32_e32 v12, 0x80000000, v12
	v_lshl_add_u32 v11, v11, 23, v13
	v_or3_b32 v10, v12, v11, v10
.LBB4_404:
	s_or_b64 exec, exec, s[6:7]
	s_movk_i32 s4, 0xff
	v_and_b32_sdwa v11, v2, s4 dst_sel:DWORD dst_unused:UNUSED_PAD src0_sel:WORD_1 src1_sel:DWORD
	s_movk_i32 s4, 0x7f
	v_cmp_lt_i16_e32 vcc, s4, v11
	s_mov_b64 s[4:5], 0
                                        ; implicit-def: $sgpr10
	s_and_saveexec_b64 s[6:7], vcc
	s_xor_b64 s[6:7], exec, s[6:7]
	s_cbranch_execnz .LBB4_2453
; %bb.405:
	s_or_saveexec_b64 s[6:7], s[6:7]
	v_mov_b32_e32 v12, s10
	s_xor_b64 exec, exec, s[6:7]
	s_cbranch_execnz .LBB4_2456
.LBB4_406:
	s_or_b64 exec, exec, s[6:7]
	s_and_saveexec_b64 s[6:7], s[4:5]
	s_cbranch_execz .LBB4_408
.LBB4_407:
	v_bfe_u32 v11, v2, 16, 3
	v_ffbh_u32_e32 v14, v11
	v_min_u32_e32 v14, 32, v14
	v_lshrrev_b32_e32 v12, 19, v2
	v_subrev_u32_e32 v15, 28, v14
	v_and_b32_e32 v12, 15, v12
	v_lshlrev_b32_sdwa v15, v15, v2 dst_sel:DWORD dst_unused:UNUSED_PAD src0_sel:DWORD src1_sel:WORD_1
	v_bfe_u32 v13, v2, 19, 4
	v_sub_u32_e32 v14, 29, v14
	v_and_b32_e32 v15, 7, v15
	v_cmp_eq_u16_e32 vcc, 0, v12
	v_cndmask_b32_e32 v11, v11, v15, vcc
	v_cndmask_b32_e32 v12, v13, v14, vcc
	v_lshlrev_b32_e32 v13, 8, v2
	v_mov_b32_e32 v14, 0x3b800000
	v_lshlrev_b32_e32 v11, 20, v11
	v_and_b32_e32 v13, 0x80000000, v13
	v_lshl_add_u32 v12, v12, 23, v14
	v_or3_b32 v12, v13, v12, v11
.LBB4_408:
	s_or_b64 exec, exec, s[6:7]
	s_nop 0
	v_mfma_f32_16x16x4f32 a[0:3], v10, v12, a[0:3]
	s_movk_i32 s4, 0x7f
	v_cmp_gt_i16_sdwa s[6:7], v6, s4 src0_sel:BYTE_3 src1_sel:DWORD
	s_mov_b64 s[4:5], 0
                                        ; implicit-def: $sgpr10
	s_and_saveexec_b64 s[8:9], s[6:7]
	s_xor_b64 s[6:7], exec, s[8:9]
	s_cbranch_execnz .LBB4_2457
; %bb.409:
	s_or_saveexec_b64 s[6:7], s[6:7]
	v_mov_b32_e32 v10, s10
	s_xor_b64 exec, exec, s[6:7]
	s_cbranch_execnz .LBB4_2460
.LBB4_410:
	s_or_b64 exec, exec, s[6:7]
	s_and_saveexec_b64 s[6:7], s[4:5]
	s_cbranch_execz .LBB4_412
.LBB4_411:
	v_bfe_u32 v10, v6, 24, 3
	v_ffbh_u32_e32 v14, v10
	v_min_u32_e32 v14, 32, v14
	v_lshrrev_b32_e32 v12, 27, v6
	v_subrev_u32_e32 v15, 28, v14
	v_and_b32_e32 v11, 0x80000000, v6
	v_and_b32_e32 v12, 15, v12
	v_bfe_u32 v13, v6, 27, 4
	v_lshlrev_b32_sdwa v6, v15, v6 dst_sel:DWORD dst_unused:UNUSED_PAD src0_sel:DWORD src1_sel:BYTE_3
	v_sub_u32_e32 v14, 29, v14
	v_and_b32_e32 v6, 7, v6
	v_cmp_eq_u16_e32 vcc, 0, v12
	v_cndmask_b32_e32 v6, v10, v6, vcc
	v_cndmask_b32_e32 v10, v13, v14, vcc
	v_mov_b32_e32 v12, 0x3b800000
	v_lshlrev_b32_e32 v6, 20, v6
	v_lshl_add_u32 v10, v10, 23, v12
	v_or3_b32 v10, v11, v10, v6
.LBB4_412:
	s_or_b64 exec, exec, s[6:7]
	s_movk_i32 s4, 0x7f
	v_cmp_gt_i16_sdwa s[6:7], v2, s4 src0_sel:BYTE_3 src1_sel:DWORD
	s_mov_b64 s[4:5], 0
                                        ; implicit-def: $sgpr10
	s_and_saveexec_b64 s[8:9], s[6:7]
	s_xor_b64 s[6:7], exec, s[8:9]
	s_cbranch_execnz .LBB4_2461
; %bb.413:
	s_or_saveexec_b64 s[6:7], s[6:7]
	v_mov_b32_e32 v6, s10
	s_xor_b64 exec, exec, s[6:7]
	s_cbranch_execnz .LBB4_2464
.LBB4_414:
	s_or_b64 exec, exec, s[6:7]
	s_and_saveexec_b64 s[6:7], s[4:5]
	s_cbranch_execz .LBB4_416
.LBB4_415:
	v_bfe_u32 v6, v2, 24, 3
	v_ffbh_u32_e32 v14, v6
	v_min_u32_e32 v14, 32, v14
	v_lshrrev_b32_e32 v12, 27, v2
	v_subrev_u32_e32 v15, 28, v14
	v_and_b32_e32 v11, 0x80000000, v2
	v_and_b32_e32 v12, 15, v12
	v_bfe_u32 v13, v2, 27, 4
	v_lshlrev_b32_sdwa v2, v15, v2 dst_sel:DWORD dst_unused:UNUSED_PAD src0_sel:DWORD src1_sel:BYTE_3
	v_sub_u32_e32 v14, 29, v14
	v_and_b32_e32 v2, 7, v2
	v_cmp_eq_u16_e32 vcc, 0, v12
	v_cndmask_b32_e32 v2, v6, v2, vcc
	v_cndmask_b32_e32 v6, v13, v14, vcc
	v_mov_b32_e32 v12, 0x3b800000
	v_lshlrev_b32_e32 v2, 20, v2
	v_lshl_add_u32 v6, v6, 23, v12
	v_or3_b32 v6, v11, v6, v2
.LBB4_416:
	s_or_b64 exec, exec, s[6:7]
	s_nop 0
	v_mfma_f32_16x16x4f32 a[0:3], v10, v6, a[0:3]
	s_movk_i32 s4, 0x7f
	v_cmp_gt_i16_sdwa s[6:7], v7, s4 src0_sel:BYTE_0 src1_sel:DWORD
	s_mov_b64 s[4:5], 0
                                        ; implicit-def: $sgpr10
	s_and_saveexec_b64 s[8:9], s[6:7]
	s_xor_b64 s[6:7], exec, s[8:9]
	s_cbranch_execnz .LBB4_2465
; %bb.417:
	s_or_saveexec_b64 s[6:7], s[6:7]
	v_mov_b32_e32 v2, s10
	s_xor_b64 exec, exec, s[6:7]
	s_cbranch_execnz .LBB4_2468
.LBB4_418:
	s_or_b64 exec, exec, s[6:7]
	s_and_saveexec_b64 s[6:7], s[4:5]
	s_cbranch_execz .LBB4_420
.LBB4_419:
	v_and_b32_e32 v2, 7, v7
	v_ffbh_u32_e32 v10, v2
	v_min_u32_e32 v10, 32, v10
	v_lshrrev_b16_e32 v6, 3, v7
	v_subrev_u32_e32 v11, 28, v10
	v_and_b32_e32 v6, 15, v6
	v_lshlrev_b32_e32 v11, v11, v7
	v_sub_u32_e32 v10, 29, v10
	v_and_b32_e32 v11, 7, v11
	v_cmp_eq_u16_e32 vcc, 0, v6
	v_cndmask_b32_e32 v2, v2, v11, vcc
	v_cndmask_b32_e32 v6, v6, v10, vcc
	v_lshlrev_b32_e32 v10, 24, v7
	v_mov_b32_e32 v11, 0x3b800000
	v_lshlrev_b32_e32 v2, 20, v2
	v_and_b32_e32 v10, 0x80000000, v10
	v_lshl_add_u32 v6, v6, 23, v11
	v_or3_b32 v2, v10, v6, v2
.LBB4_420:
	s_or_b64 exec, exec, s[6:7]
	s_movk_i32 s4, 0x7f
	v_cmp_gt_i16_sdwa s[6:7], v3, s4 src0_sel:BYTE_0 src1_sel:DWORD
	s_mov_b64 s[4:5], 0
                                        ; implicit-def: $sgpr10
	s_and_saveexec_b64 s[8:9], s[6:7]
	s_xor_b64 s[6:7], exec, s[8:9]
	s_cbranch_execnz .LBB4_2469
; %bb.421:
	s_or_saveexec_b64 s[6:7], s[6:7]
	v_mov_b32_e32 v6, s10
	s_xor_b64 exec, exec, s[6:7]
	s_cbranch_execnz .LBB4_2472
.LBB4_422:
	s_or_b64 exec, exec, s[6:7]
	s_and_saveexec_b64 s[6:7], s[4:5]
	s_cbranch_execz .LBB4_424
.LBB4_423:
	v_and_b32_e32 v6, 7, v3
	v_ffbh_u32_e32 v11, v6
	v_min_u32_e32 v11, 32, v11
	v_lshrrev_b16_e32 v10, 3, v3
	v_subrev_u32_e32 v12, 28, v11
	v_and_b32_e32 v10, 15, v10
	v_lshlrev_b32_e32 v12, v12, v3
	v_sub_u32_e32 v11, 29, v11
	v_and_b32_e32 v12, 7, v12
	v_cmp_eq_u16_e32 vcc, 0, v10
	v_cndmask_b32_e32 v6, v6, v12, vcc
	v_cndmask_b32_e32 v10, v10, v11, vcc
	v_lshlrev_b32_e32 v11, 24, v3
	v_mov_b32_e32 v12, 0x3b800000
	v_lshlrev_b32_e32 v6, 20, v6
	v_and_b32_e32 v11, 0x80000000, v11
	v_lshl_add_u32 v10, v10, 23, v12
	v_or3_b32 v6, v11, v10, v6
.LBB4_424:
	s_or_b64 exec, exec, s[6:7]
	s_nop 0
	v_mfma_f32_16x16x4f32 a[0:3], v2, v6, a[0:3]
	v_lshrrev_b32_e32 v6, 8, v7
	s_movk_i32 s4, 0x7f
	v_cmp_gt_i16_sdwa s[6:7], v6, s4 src0_sel:BYTE_0 src1_sel:DWORD
	s_mov_b64 s[4:5], 0
                                        ; implicit-def: $sgpr10
	s_and_saveexec_b64 s[8:9], s[6:7]
	s_xor_b64 s[6:7], exec, s[8:9]
	s_cbranch_execnz .LBB4_2473
; %bb.425:
	s_or_saveexec_b64 s[6:7], s[6:7]
	v_mov_b32_e32 v2, s10
	s_xor_b64 exec, exec, s[6:7]
	s_cbranch_execnz .LBB4_2476
.LBB4_426:
	s_or_b64 exec, exec, s[6:7]
	s_and_saveexec_b64 s[6:7], s[4:5]
	s_cbranch_execz .LBB4_428
.LBB4_427:
	v_bfe_u32 v2, v7, 8, 3
	v_ffbh_u32_e32 v11, v2
	v_min_u32_e32 v11, 32, v11
	v_lshrrev_b16_e32 v10, 3, v6
	v_subrev_u32_e32 v12, 28, v11
	v_and_b32_e32 v10, 15, v10
	v_lshlrev_b32_e32 v6, v12, v6
	v_sub_u32_e32 v11, 29, v11
	v_and_b32_e32 v6, 7, v6
	v_cmp_eq_u16_e32 vcc, 0, v10
	v_cndmask_b32_e32 v2, v2, v6, vcc
	v_cndmask_b32_e32 v6, v10, v11, vcc
	v_lshlrev_b32_e32 v10, 16, v7
	v_mov_b32_e32 v11, 0x3b800000
	v_lshlrev_b32_e32 v2, 20, v2
	v_and_b32_e32 v10, 0x80000000, v10
	v_lshl_add_u32 v6, v6, 23, v11
	v_or3_b32 v2, v10, v6, v2
.LBB4_428:
	s_or_b64 exec, exec, s[6:7]
	v_lshrrev_b32_e32 v6, 8, v3
	s_movk_i32 s4, 0x7f
	v_cmp_gt_i16_sdwa s[6:7], v6, s4 src0_sel:BYTE_0 src1_sel:DWORD
	s_mov_b64 s[4:5], 0
                                        ; implicit-def: $sgpr10
	s_and_saveexec_b64 s[8:9], s[6:7]
	s_xor_b64 s[6:7], exec, s[8:9]
	s_cbranch_execnz .LBB4_2477
; %bb.429:
	s_or_saveexec_b64 s[6:7], s[6:7]
	v_mov_b32_e32 v10, s10
	s_xor_b64 exec, exec, s[6:7]
	s_cbranch_execnz .LBB4_2480
.LBB4_430:
	s_or_b64 exec, exec, s[6:7]
	s_and_saveexec_b64 s[6:7], s[4:5]
	s_cbranch_execz .LBB4_432
.LBB4_431:
	v_bfe_u32 v10, v3, 8, 3
	v_ffbh_u32_e32 v12, v10
	v_min_u32_e32 v12, 32, v12
	v_lshrrev_b16_e32 v11, 3, v6
	v_subrev_u32_e32 v13, 28, v12
	v_and_b32_e32 v11, 15, v11
	v_lshlrev_b32_e32 v6, v13, v6
	v_sub_u32_e32 v12, 29, v12
	v_and_b32_e32 v6, 7, v6
	v_cmp_eq_u16_e32 vcc, 0, v11
	v_cndmask_b32_e32 v6, v10, v6, vcc
	v_cndmask_b32_e32 v10, v11, v12, vcc
	v_lshlrev_b32_e32 v11, 16, v3
	v_mov_b32_e32 v12, 0x3b800000
	v_lshlrev_b32_e32 v6, 20, v6
	v_and_b32_e32 v11, 0x80000000, v11
	v_lshl_add_u32 v10, v10, 23, v12
	v_or3_b32 v10, v11, v10, v6
.LBB4_432:
	s_or_b64 exec, exec, s[6:7]
	s_nop 0
	v_mfma_f32_16x16x4f32 a[0:3], v2, v10, a[0:3]
	s_movk_i32 s4, 0xff
	v_and_b32_sdwa v6, v7, s4 dst_sel:DWORD dst_unused:UNUSED_PAD src0_sel:WORD_1 src1_sel:DWORD
	s_movk_i32 s4, 0x7f
	v_cmp_lt_i16_e32 vcc, s4, v6
	s_mov_b64 s[4:5], 0
                                        ; implicit-def: $sgpr10
	s_and_saveexec_b64 s[6:7], vcc
	s_xor_b64 s[6:7], exec, s[6:7]
	s_cbranch_execnz .LBB4_2481
; %bb.433:
	s_or_saveexec_b64 s[6:7], s[6:7]
	v_mov_b32_e32 v2, s10
	s_xor_b64 exec, exec, s[6:7]
	s_cbranch_execnz .LBB4_2484
.LBB4_434:
	s_or_b64 exec, exec, s[6:7]
	s_and_saveexec_b64 s[6:7], s[4:5]
	s_cbranch_execz .LBB4_436
.LBB4_435:
	v_bfe_u32 v2, v7, 16, 3
	v_ffbh_u32_e32 v11, v2
	v_min_u32_e32 v11, 32, v11
	v_lshrrev_b32_e32 v6, 19, v7
	v_subrev_u32_e32 v12, 28, v11
	v_and_b32_e32 v6, 15, v6
	v_lshlrev_b32_sdwa v12, v12, v7 dst_sel:DWORD dst_unused:UNUSED_PAD src0_sel:DWORD src1_sel:WORD_1
	v_bfe_u32 v10, v7, 19, 4
	v_sub_u32_e32 v11, 29, v11
	v_and_b32_e32 v12, 7, v12
	v_cmp_eq_u16_e32 vcc, 0, v6
	v_cndmask_b32_e32 v2, v2, v12, vcc
	v_cndmask_b32_e32 v6, v10, v11, vcc
	v_lshlrev_b32_e32 v10, 8, v7
	v_mov_b32_e32 v11, 0x3b800000
	v_lshlrev_b32_e32 v2, 20, v2
	v_and_b32_e32 v10, 0x80000000, v10
	v_lshl_add_u32 v6, v6, 23, v11
	v_or3_b32 v2, v10, v6, v2
.LBB4_436:
	s_or_b64 exec, exec, s[6:7]
	s_movk_i32 s4, 0xff
	v_and_b32_sdwa v6, v3, s4 dst_sel:DWORD dst_unused:UNUSED_PAD src0_sel:WORD_1 src1_sel:DWORD
	s_movk_i32 s4, 0x7f
	v_cmp_lt_i16_e32 vcc, s4, v6
	s_mov_b64 s[4:5], 0
                                        ; implicit-def: $sgpr10
	s_and_saveexec_b64 s[6:7], vcc
	s_xor_b64 s[6:7], exec, s[6:7]
	s_cbranch_execnz .LBB4_2485
; %bb.437:
	s_or_saveexec_b64 s[6:7], s[6:7]
	v_mov_b32_e32 v10, s10
	s_xor_b64 exec, exec, s[6:7]
	s_cbranch_execnz .LBB4_2488
.LBB4_438:
	s_or_b64 exec, exec, s[6:7]
	s_and_saveexec_b64 s[6:7], s[4:5]
	s_cbranch_execz .LBB4_440
.LBB4_439:
	v_bfe_u32 v6, v3, 16, 3
	v_ffbh_u32_e32 v12, v6
	v_min_u32_e32 v12, 32, v12
	v_lshrrev_b32_e32 v10, 19, v3
	v_subrev_u32_e32 v13, 28, v12
	v_and_b32_e32 v10, 15, v10
	v_lshlrev_b32_sdwa v13, v13, v3 dst_sel:DWORD dst_unused:UNUSED_PAD src0_sel:DWORD src1_sel:WORD_1
	v_bfe_u32 v11, v3, 19, 4
	v_sub_u32_e32 v12, 29, v12
	v_and_b32_e32 v13, 7, v13
	v_cmp_eq_u16_e32 vcc, 0, v10
	v_cndmask_b32_e32 v6, v6, v13, vcc
	v_cndmask_b32_e32 v10, v11, v12, vcc
	v_lshlrev_b32_e32 v11, 8, v3
	v_mov_b32_e32 v12, 0x3b800000
	v_lshlrev_b32_e32 v6, 20, v6
	v_and_b32_e32 v11, 0x80000000, v11
	v_lshl_add_u32 v10, v10, 23, v12
	v_or3_b32 v10, v11, v10, v6
.LBB4_440:
	s_or_b64 exec, exec, s[6:7]
	s_nop 0
	v_mfma_f32_16x16x4f32 a[0:3], v2, v10, a[0:3]
	s_movk_i32 s4, 0x7f
	v_cmp_gt_i16_sdwa s[6:7], v7, s4 src0_sel:BYTE_3 src1_sel:DWORD
	s_mov_b64 s[4:5], 0
                                        ; implicit-def: $sgpr10
	s_and_saveexec_b64 s[8:9], s[6:7]
	s_xor_b64 s[6:7], exec, s[8:9]
	s_cbranch_execnz .LBB4_2489
; %bb.441:
	s_or_saveexec_b64 s[6:7], s[6:7]
	v_mov_b32_e32 v2, s10
	s_xor_b64 exec, exec, s[6:7]
	s_cbranch_execnz .LBB4_2492
.LBB4_442:
	s_or_b64 exec, exec, s[6:7]
	s_and_saveexec_b64 s[6:7], s[4:5]
	s_cbranch_execz .LBB4_444
.LBB4_443:
	v_bfe_u32 v2, v7, 24, 3
	v_ffbh_u32_e32 v12, v2
	v_min_u32_e32 v12, 32, v12
	v_lshrrev_b32_e32 v10, 27, v7
	v_subrev_u32_e32 v13, 28, v12
	v_and_b32_e32 v6, 0x80000000, v7
	v_and_b32_e32 v10, 15, v10
	v_bfe_u32 v11, v7, 27, 4
	v_lshlrev_b32_sdwa v7, v13, v7 dst_sel:DWORD dst_unused:UNUSED_PAD src0_sel:DWORD src1_sel:BYTE_3
	v_sub_u32_e32 v12, 29, v12
	v_and_b32_e32 v7, 7, v7
	v_cmp_eq_u16_e32 vcc, 0, v10
	v_cndmask_b32_e32 v2, v2, v7, vcc
	v_cndmask_b32_e32 v7, v11, v12, vcc
	v_mov_b32_e32 v10, 0x3b800000
	v_lshlrev_b32_e32 v2, 20, v2
	v_lshl_add_u32 v7, v7, 23, v10
	v_or3_b32 v2, v6, v7, v2
.LBB4_444:
	s_or_b64 exec, exec, s[6:7]
	s_movk_i32 s4, 0x7f
	v_cmp_gt_i16_sdwa s[6:7], v3, s4 src0_sel:BYTE_3 src1_sel:DWORD
	s_mov_b64 s[4:5], 0
                                        ; implicit-def: $sgpr10
	s_and_saveexec_b64 s[8:9], s[6:7]
	s_xor_b64 s[6:7], exec, s[8:9]
	s_cbranch_execnz .LBB4_2493
; %bb.445:
	s_or_saveexec_b64 s[6:7], s[6:7]
	v_mov_b32_e32 v6, s10
	s_xor_b64 exec, exec, s[6:7]
	s_cbranch_execnz .LBB4_2496
.LBB4_446:
	s_or_b64 exec, exec, s[6:7]
	s_and_saveexec_b64 s[6:7], s[4:5]
	s_cbranch_execz .LBB4_448
.LBB4_447:
	v_bfe_u32 v6, v3, 24, 3
	v_ffbh_u32_e32 v12, v6
	v_min_u32_e32 v12, 32, v12
	v_lshrrev_b32_e32 v10, 27, v3
	v_subrev_u32_e32 v13, 28, v12
	v_and_b32_e32 v7, 0x80000000, v3
	v_and_b32_e32 v10, 15, v10
	v_bfe_u32 v11, v3, 27, 4
	v_lshlrev_b32_sdwa v3, v13, v3 dst_sel:DWORD dst_unused:UNUSED_PAD src0_sel:DWORD src1_sel:BYTE_3
	v_sub_u32_e32 v12, 29, v12
	v_and_b32_e32 v3, 7, v3
	v_cmp_eq_u16_e32 vcc, 0, v10
	v_cndmask_b32_e32 v3, v6, v3, vcc
	v_cndmask_b32_e32 v6, v11, v12, vcc
	v_mov_b32_e32 v10, 0x3b800000
	v_lshlrev_b32_e32 v3, 20, v3
	v_lshl_add_u32 v6, v6, 23, v10
	v_or3_b32 v6, v7, v6, v3
.LBB4_448:
	s_or_b64 exec, exec, s[6:7]
	s_nop 0
	v_mfma_f32_16x16x4f32 a[0:3], v2, v6, a[0:3]
	s_movk_i32 s4, 0x7f
	v_cmp_gt_i16_sdwa s[6:7], v8, s4 src0_sel:BYTE_0 src1_sel:DWORD
	s_mov_b64 s[4:5], 0
                                        ; implicit-def: $sgpr10
	s_and_saveexec_b64 s[8:9], s[6:7]
	s_xor_b64 s[6:7], exec, s[8:9]
	s_cbranch_execnz .LBB4_2497
; %bb.449:
	s_or_saveexec_b64 s[6:7], s[6:7]
	v_mov_b32_e32 v2, s10
	s_xor_b64 exec, exec, s[6:7]
	s_cbranch_execnz .LBB4_2500
.LBB4_450:
	s_or_b64 exec, exec, s[6:7]
	s_and_saveexec_b64 s[6:7], s[4:5]
	s_cbranch_execz .LBB4_452
.LBB4_451:
	v_and_b32_e32 v2, 7, v8
	v_ffbh_u32_e32 v6, v2
	v_min_u32_e32 v6, 32, v6
	v_lshrrev_b16_e32 v3, 3, v8
	v_subrev_u32_e32 v7, 28, v6
	v_and_b32_e32 v3, 15, v3
	v_lshlrev_b32_e32 v7, v7, v8
	v_sub_u32_e32 v6, 29, v6
	v_and_b32_e32 v7, 7, v7
	v_cmp_eq_u16_e32 vcc, 0, v3
	v_cndmask_b32_e32 v2, v2, v7, vcc
	v_cndmask_b32_e32 v3, v3, v6, vcc
	v_lshlrev_b32_e32 v6, 24, v8
	v_mov_b32_e32 v7, 0x3b800000
	v_lshlrev_b32_e32 v2, 20, v2
	v_and_b32_e32 v6, 0x80000000, v6
	v_lshl_add_u32 v3, v3, 23, v7
	v_or3_b32 v2, v6, v3, v2
.LBB4_452:
	s_or_b64 exec, exec, s[6:7]
	s_movk_i32 s4, 0x7f
	v_cmp_gt_i16_sdwa s[6:7], v4, s4 src0_sel:BYTE_0 src1_sel:DWORD
	s_mov_b64 s[4:5], 0
                                        ; implicit-def: $sgpr10
	s_and_saveexec_b64 s[8:9], s[6:7]
	s_xor_b64 s[6:7], exec, s[8:9]
	s_cbranch_execnz .LBB4_2501
; %bb.453:
	s_or_saveexec_b64 s[6:7], s[6:7]
	v_mov_b32_e32 v3, s10
	s_xor_b64 exec, exec, s[6:7]
	s_cbranch_execnz .LBB4_2504
.LBB4_454:
	s_or_b64 exec, exec, s[6:7]
	s_and_saveexec_b64 s[6:7], s[4:5]
	s_cbranch_execz .LBB4_456
.LBB4_455:
	v_and_b32_e32 v3, 7, v4
	v_ffbh_u32_e32 v7, v3
	v_min_u32_e32 v7, 32, v7
	v_lshrrev_b16_e32 v6, 3, v4
	v_subrev_u32_e32 v10, 28, v7
	v_and_b32_e32 v6, 15, v6
	v_lshlrev_b32_e32 v10, v10, v4
	v_sub_u32_e32 v7, 29, v7
	v_and_b32_e32 v10, 7, v10
	v_cmp_eq_u16_e32 vcc, 0, v6
	v_cndmask_b32_e32 v3, v3, v10, vcc
	v_cndmask_b32_e32 v6, v6, v7, vcc
	v_lshlrev_b32_e32 v7, 24, v4
	v_mov_b32_e32 v10, 0x3b800000
	v_lshlrev_b32_e32 v3, 20, v3
	v_and_b32_e32 v7, 0x80000000, v7
	v_lshl_add_u32 v6, v6, 23, v10
	v_or3_b32 v3, v7, v6, v3
.LBB4_456:
	s_or_b64 exec, exec, s[6:7]
	s_nop 0
	v_mfma_f32_16x16x4f32 a[0:3], v2, v3, a[0:3]
	v_lshrrev_b32_e32 v3, 8, v8
	s_movk_i32 s4, 0x7f
	v_cmp_gt_i16_sdwa s[6:7], v3, s4 src0_sel:BYTE_0 src1_sel:DWORD
	s_mov_b64 s[4:5], 0
                                        ; implicit-def: $sgpr10
	s_and_saveexec_b64 s[8:9], s[6:7]
	s_xor_b64 s[6:7], exec, s[8:9]
	s_cbranch_execnz .LBB4_2505
; %bb.457:
	s_or_saveexec_b64 s[6:7], s[6:7]
	v_mov_b32_e32 v2, s10
	s_xor_b64 exec, exec, s[6:7]
	s_cbranch_execnz .LBB4_2508
.LBB4_458:
	s_or_b64 exec, exec, s[6:7]
	s_and_saveexec_b64 s[6:7], s[4:5]
	s_cbranch_execz .LBB4_460
.LBB4_459:
	v_bfe_u32 v2, v8, 8, 3
	v_ffbh_u32_e32 v7, v2
	v_min_u32_e32 v7, 32, v7
	v_lshrrev_b16_e32 v6, 3, v3
	v_subrev_u32_e32 v10, 28, v7
	v_and_b32_e32 v6, 15, v6
	v_lshlrev_b32_e32 v3, v10, v3
	v_sub_u32_e32 v7, 29, v7
	v_and_b32_e32 v3, 7, v3
	v_cmp_eq_u16_e32 vcc, 0, v6
	v_cndmask_b32_e32 v2, v2, v3, vcc
	v_cndmask_b32_e32 v3, v6, v7, vcc
	v_lshlrev_b32_e32 v6, 16, v8
	v_mov_b32_e32 v7, 0x3b800000
	v_lshlrev_b32_e32 v2, 20, v2
	v_and_b32_e32 v6, 0x80000000, v6
	v_lshl_add_u32 v3, v3, 23, v7
	v_or3_b32 v2, v6, v3, v2
.LBB4_460:
	s_or_b64 exec, exec, s[6:7]
	v_lshrrev_b32_e32 v3, 8, v4
	s_movk_i32 s4, 0x7f
	v_cmp_gt_i16_sdwa s[6:7], v3, s4 src0_sel:BYTE_0 src1_sel:DWORD
	s_mov_b64 s[4:5], 0
                                        ; implicit-def: $sgpr10
	s_and_saveexec_b64 s[8:9], s[6:7]
	s_xor_b64 s[6:7], exec, s[8:9]
	s_cbranch_execnz .LBB4_2509
; %bb.461:
	s_or_saveexec_b64 s[6:7], s[6:7]
	v_mov_b32_e32 v6, s10
	s_xor_b64 exec, exec, s[6:7]
	s_cbranch_execnz .LBB4_2512
.LBB4_462:
	s_or_b64 exec, exec, s[6:7]
	s_and_saveexec_b64 s[6:7], s[4:5]
	s_cbranch_execz .LBB4_464
.LBB4_463:
	v_bfe_u32 v6, v4, 8, 3
	v_ffbh_u32_e32 v10, v6
	v_min_u32_e32 v10, 32, v10
	v_lshrrev_b16_e32 v7, 3, v3
	v_subrev_u32_e32 v11, 28, v10
	v_and_b32_e32 v7, 15, v7
	v_lshlrev_b32_e32 v3, v11, v3
	v_sub_u32_e32 v10, 29, v10
	v_and_b32_e32 v3, 7, v3
	v_cmp_eq_u16_e32 vcc, 0, v7
	v_cndmask_b32_e32 v3, v6, v3, vcc
	v_cndmask_b32_e32 v6, v7, v10, vcc
	v_lshlrev_b32_e32 v7, 16, v4
	v_mov_b32_e32 v10, 0x3b800000
	v_lshlrev_b32_e32 v3, 20, v3
	v_and_b32_e32 v7, 0x80000000, v7
	v_lshl_add_u32 v6, v6, 23, v10
	v_or3_b32 v6, v7, v6, v3
.LBB4_464:
	s_or_b64 exec, exec, s[6:7]
	s_nop 0
	v_mfma_f32_16x16x4f32 a[0:3], v2, v6, a[0:3]
	s_movk_i32 s4, 0xff
	v_and_b32_sdwa v3, v8, s4 dst_sel:DWORD dst_unused:UNUSED_PAD src0_sel:WORD_1 src1_sel:DWORD
	s_movk_i32 s4, 0x7f
	v_cmp_lt_i16_e32 vcc, s4, v3
	s_mov_b64 s[4:5], 0
                                        ; implicit-def: $sgpr10
	s_and_saveexec_b64 s[6:7], vcc
	s_xor_b64 s[6:7], exec, s[6:7]
	s_cbranch_execnz .LBB4_2513
; %bb.465:
	s_or_saveexec_b64 s[6:7], s[6:7]
	v_mov_b32_e32 v2, s10
	s_xor_b64 exec, exec, s[6:7]
	s_cbranch_execnz .LBB4_2516
.LBB4_466:
	s_or_b64 exec, exec, s[6:7]
	s_and_saveexec_b64 s[6:7], s[4:5]
	s_cbranch_execz .LBB4_468
.LBB4_467:
	v_bfe_u32 v2, v8, 16, 3
	v_ffbh_u32_e32 v7, v2
	v_min_u32_e32 v7, 32, v7
	v_lshrrev_b32_e32 v3, 19, v8
	v_subrev_u32_e32 v10, 28, v7
	v_and_b32_e32 v3, 15, v3
	v_lshlrev_b32_sdwa v10, v10, v8 dst_sel:DWORD dst_unused:UNUSED_PAD src0_sel:DWORD src1_sel:WORD_1
	v_bfe_u32 v6, v8, 19, 4
	v_sub_u32_e32 v7, 29, v7
	v_and_b32_e32 v10, 7, v10
	v_cmp_eq_u16_e32 vcc, 0, v3
	v_cndmask_b32_e32 v2, v2, v10, vcc
	v_cndmask_b32_e32 v3, v6, v7, vcc
	v_lshlrev_b32_e32 v6, 8, v8
	v_mov_b32_e32 v7, 0x3b800000
	v_lshlrev_b32_e32 v2, 20, v2
	v_and_b32_e32 v6, 0x80000000, v6
	v_lshl_add_u32 v3, v3, 23, v7
	v_or3_b32 v2, v6, v3, v2
.LBB4_468:
	s_or_b64 exec, exec, s[6:7]
	s_movk_i32 s4, 0xff
	v_and_b32_sdwa v3, v4, s4 dst_sel:DWORD dst_unused:UNUSED_PAD src0_sel:WORD_1 src1_sel:DWORD
	s_movk_i32 s4, 0x7f
	v_cmp_lt_i16_e32 vcc, s4, v3
	s_mov_b64 s[4:5], 0
                                        ; implicit-def: $sgpr10
	s_and_saveexec_b64 s[6:7], vcc
	s_xor_b64 s[6:7], exec, s[6:7]
	s_cbranch_execnz .LBB4_2517
; %bb.469:
	s_or_saveexec_b64 s[6:7], s[6:7]
	v_mov_b32_e32 v6, s10
	s_xor_b64 exec, exec, s[6:7]
	s_cbranch_execnz .LBB4_2520
.LBB4_470:
	s_or_b64 exec, exec, s[6:7]
	s_and_saveexec_b64 s[6:7], s[4:5]
	s_cbranch_execz .LBB4_472
.LBB4_471:
	v_bfe_u32 v3, v4, 16, 3
	v_ffbh_u32_e32 v10, v3
	v_min_u32_e32 v10, 32, v10
	v_lshrrev_b32_e32 v6, 19, v4
	v_subrev_u32_e32 v11, 28, v10
	v_and_b32_e32 v6, 15, v6
	v_lshlrev_b32_sdwa v11, v11, v4 dst_sel:DWORD dst_unused:UNUSED_PAD src0_sel:DWORD src1_sel:WORD_1
	v_bfe_u32 v7, v4, 19, 4
	v_sub_u32_e32 v10, 29, v10
	v_and_b32_e32 v11, 7, v11
	v_cmp_eq_u16_e32 vcc, 0, v6
	v_cndmask_b32_e32 v3, v3, v11, vcc
	v_cndmask_b32_e32 v6, v7, v10, vcc
	v_lshlrev_b32_e32 v7, 8, v4
	v_mov_b32_e32 v10, 0x3b800000
	v_lshlrev_b32_e32 v3, 20, v3
	v_and_b32_e32 v7, 0x80000000, v7
	v_lshl_add_u32 v6, v6, 23, v10
	v_or3_b32 v6, v7, v6, v3
.LBB4_472:
	s_or_b64 exec, exec, s[6:7]
	s_nop 0
	v_mfma_f32_16x16x4f32 a[0:3], v2, v6, a[0:3]
	s_movk_i32 s4, 0x7f
	v_cmp_gt_i16_sdwa s[6:7], v8, s4 src0_sel:BYTE_3 src1_sel:DWORD
	s_mov_b64 s[4:5], 0
                                        ; implicit-def: $sgpr10
	s_and_saveexec_b64 s[8:9], s[6:7]
	s_xor_b64 s[6:7], exec, s[8:9]
	s_cbranch_execnz .LBB4_2521
; %bb.473:
	s_or_saveexec_b64 s[6:7], s[6:7]
	v_mov_b32_e32 v2, s10
	s_xor_b64 exec, exec, s[6:7]
	s_cbranch_execnz .LBB4_2524
.LBB4_474:
	s_or_b64 exec, exec, s[6:7]
	s_and_saveexec_b64 s[6:7], s[4:5]
	s_cbranch_execz .LBB4_476
.LBB4_475:
	v_bfe_u32 v2, v8, 24, 3
	v_ffbh_u32_e32 v10, v2
	v_min_u32_e32 v10, 32, v10
	v_lshrrev_b32_e32 v6, 27, v8
	v_subrev_u32_e32 v11, 28, v10
	v_and_b32_e32 v3, 0x80000000, v8
	v_and_b32_e32 v6, 15, v6
	v_bfe_u32 v7, v8, 27, 4
	v_lshlrev_b32_sdwa v8, v11, v8 dst_sel:DWORD dst_unused:UNUSED_PAD src0_sel:DWORD src1_sel:BYTE_3
	v_sub_u32_e32 v10, 29, v10
	v_and_b32_e32 v8, 7, v8
	v_cmp_eq_u16_e32 vcc, 0, v6
	v_cndmask_b32_e32 v2, v2, v8, vcc
	v_cndmask_b32_e32 v6, v7, v10, vcc
	v_mov_b32_e32 v7, 0x3b800000
	v_lshlrev_b32_e32 v2, 20, v2
	v_lshl_add_u32 v6, v6, 23, v7
	v_or3_b32 v2, v3, v6, v2
.LBB4_476:
	s_or_b64 exec, exec, s[6:7]
	s_movk_i32 s4, 0x7f
	v_cmp_gt_i16_sdwa s[6:7], v4, s4 src0_sel:BYTE_3 src1_sel:DWORD
	s_mov_b64 s[4:5], 0
                                        ; implicit-def: $sgpr10
	s_and_saveexec_b64 s[8:9], s[6:7]
	s_xor_b64 s[6:7], exec, s[8:9]
	s_cbranch_execnz .LBB4_2525
; %bb.477:
	s_or_saveexec_b64 s[6:7], s[6:7]
	v_mov_b32_e32 v3, s10
	s_xor_b64 exec, exec, s[6:7]
	s_cbranch_execnz .LBB4_2528
.LBB4_478:
	s_or_b64 exec, exec, s[6:7]
	s_and_saveexec_b64 s[6:7], s[4:5]
	s_cbranch_execz .LBB4_480
.LBB4_479:
	v_bfe_u32 v3, v4, 24, 3
	v_ffbh_u32_e32 v10, v3
	v_min_u32_e32 v10, 32, v10
	v_lshrrev_b32_e32 v7, 27, v4
	v_subrev_u32_e32 v11, 28, v10
	v_and_b32_e32 v6, 0x80000000, v4
	v_and_b32_e32 v7, 15, v7
	v_bfe_u32 v8, v4, 27, 4
	v_lshlrev_b32_sdwa v4, v11, v4 dst_sel:DWORD dst_unused:UNUSED_PAD src0_sel:DWORD src1_sel:BYTE_3
	v_sub_u32_e32 v10, 29, v10
	v_and_b32_e32 v4, 7, v4
	v_cmp_eq_u16_e32 vcc, 0, v7
	v_cndmask_b32_e32 v3, v3, v4, vcc
	v_cndmask_b32_e32 v4, v8, v10, vcc
	v_mov_b32_e32 v7, 0x3b800000
	v_lshlrev_b32_e32 v3, 20, v3
	v_lshl_add_u32 v4, v4, 23, v7
	v_or3_b32 v3, v6, v4, v3
.LBB4_480:
	s_or_b64 exec, exec, s[6:7]
	s_nop 0
	v_mfma_f32_16x16x4f32 a[0:3], v2, v3, a[0:3]
	s_movk_i32 s4, 0x7f
	v_cmp_gt_i16_sdwa s[6:7], v9, s4 src0_sel:BYTE_0 src1_sel:DWORD
	s_mov_b64 s[4:5], 0
                                        ; implicit-def: $sgpr10
	s_and_saveexec_b64 s[8:9], s[6:7]
	s_xor_b64 s[6:7], exec, s[8:9]
	s_cbranch_execnz .LBB4_2529
; %bb.481:
	s_or_saveexec_b64 s[6:7], s[6:7]
	v_mov_b32_e32 v2, s10
	s_xor_b64 exec, exec, s[6:7]
	s_cbranch_execnz .LBB4_2532
.LBB4_482:
	s_or_b64 exec, exec, s[6:7]
	s_and_saveexec_b64 s[6:7], s[4:5]
	s_cbranch_execz .LBB4_484
.LBB4_483:
	v_mov_b32_e32 v2, 8
	v_and_b32_e32 v3, 7, v9
	v_lshrrev_b32_sdwa v2, v2, v9 dst_sel:BYTE_1 dst_unused:UNUSED_PAD src0_sel:DWORD src1_sel:DWORD
	v_ffbh_u32_e32 v4, v3
	v_or_b32_sdwa v2, v9, v2 dst_sel:DWORD dst_unused:UNUSED_PAD src0_sel:BYTE_0 src1_sel:DWORD
	v_min_u32_e32 v4, 32, v4
	v_lshrrev_b16_e32 v2, 3, v2
	v_subrev_u32_e32 v6, 28, v4
	v_and_b32_e32 v2, 15, v2
	v_lshlrev_b32_e32 v6, v6, v9
	v_sub_u32_e32 v4, 29, v4
	v_and_b32_e32 v6, 7, v6
	v_cmp_eq_u16_e32 vcc, 0, v2
	v_cndmask_b32_e32 v3, v3, v6, vcc
	v_cndmask_b32_e32 v2, v2, v4, vcc
	v_lshlrev_b32_e32 v4, 24, v9
	v_mov_b32_e32 v6, 0x3b800000
	v_lshlrev_b32_e32 v3, 20, v3
	v_and_b32_e32 v4, 0x80000000, v4
	v_lshl_add_u32 v2, v2, 23, v6
	v_or3_b32 v2, v4, v2, v3
.LBB4_484:
	s_or_b64 exec, exec, s[6:7]
	s_movk_i32 s4, 0x7f
	v_cmp_gt_i16_sdwa s[6:7], v5, s4 src0_sel:BYTE_0 src1_sel:DWORD
	s_mov_b64 s[4:5], 0
                                        ; implicit-def: $sgpr10
	s_and_saveexec_b64 s[8:9], s[6:7]
	s_xor_b64 s[6:7], exec, s[8:9]
	s_cbranch_execnz .LBB4_2533
; %bb.485:
	s_or_saveexec_b64 s[6:7], s[6:7]
	v_mov_b32_e32 v3, s10
	s_xor_b64 exec, exec, s[6:7]
	s_cbranch_execnz .LBB4_2536
.LBB4_486:
	s_or_b64 exec, exec, s[6:7]
	s_and_saveexec_b64 s[6:7], s[4:5]
	s_cbranch_execz .LBB4_488
.LBB4_487:
	v_mov_b32_e32 v3, 8
	v_and_b32_e32 v4, 7, v5
	v_lshrrev_b32_sdwa v3, v3, v5 dst_sel:BYTE_1 dst_unused:UNUSED_PAD src0_sel:DWORD src1_sel:DWORD
	v_ffbh_u32_e32 v6, v4
	v_or_b32_sdwa v3, v5, v3 dst_sel:DWORD dst_unused:UNUSED_PAD src0_sel:BYTE_0 src1_sel:DWORD
	v_min_u32_e32 v6, 32, v6
	v_lshrrev_b16_e32 v3, 3, v3
	v_subrev_u32_e32 v7, 28, v6
	v_and_b32_e32 v3, 15, v3
	v_lshlrev_b32_e32 v7, v7, v5
	v_sub_u32_e32 v6, 29, v6
	v_and_b32_e32 v7, 7, v7
	v_cmp_eq_u16_e32 vcc, 0, v3
	v_cndmask_b32_e32 v4, v4, v7, vcc
	v_cndmask_b32_e32 v3, v3, v6, vcc
	v_lshlrev_b32_e32 v6, 24, v5
	v_mov_b32_e32 v7, 0x3b800000
	v_lshlrev_b32_e32 v4, 20, v4
	v_and_b32_e32 v6, 0x80000000, v6
	v_lshl_add_u32 v3, v3, 23, v7
	v_or3_b32 v3, v6, v3, v4
.LBB4_488:
	s_or_b64 exec, exec, s[6:7]
	s_nop 0
	v_mfma_f32_16x16x4f32 a[0:3], v2, v3, a[0:3]
	v_lshrrev_b32_e32 v3, 8, v9
	s_movk_i32 s4, 0x7f
	v_cmp_gt_i16_sdwa s[6:7], v3, s4 src0_sel:BYTE_0 src1_sel:DWORD
	s_mov_b64 s[4:5], 0
                                        ; implicit-def: $sgpr10
	s_and_saveexec_b64 s[8:9], s[6:7]
	s_xor_b64 s[6:7], exec, s[8:9]
	s_cbranch_execnz .LBB4_2537
; %bb.489:
	s_or_saveexec_b64 s[6:7], s[6:7]
	v_mov_b32_e32 v2, s10
	s_xor_b64 exec, exec, s[6:7]
	s_cbranch_execnz .LBB4_2540
.LBB4_490:
	s_or_b64 exec, exec, s[6:7]
	s_and_saveexec_b64 s[6:7], s[4:5]
	s_cbranch_execz .LBB4_492
.LBB4_491:
	v_bfe_u32 v2, v9, 8, 3
	v_ffbh_u32_e32 v6, v2
	v_min_u32_e32 v6, 32, v6
	v_lshrrev_b16_e32 v4, 3, v3
	v_subrev_u32_e32 v7, 28, v6
	v_and_b32_e32 v4, 15, v4
	v_lshlrev_b32_e32 v3, v7, v3
	v_sub_u32_e32 v6, 29, v6
	v_and_b32_e32 v3, 7, v3
	v_cmp_eq_u16_e32 vcc, 0, v4
	v_cndmask_b32_e32 v2, v2, v3, vcc
	v_cndmask_b32_e32 v3, v4, v6, vcc
	v_lshlrev_b32_e32 v4, 16, v9
	v_mov_b32_e32 v6, 0x3b800000
	v_lshlrev_b32_e32 v2, 20, v2
	v_and_b32_e32 v4, 0x80000000, v4
	v_lshl_add_u32 v3, v3, 23, v6
	v_or3_b32 v2, v4, v3, v2
.LBB4_492:
	s_or_b64 exec, exec, s[6:7]
	v_lshrrev_b32_e32 v3, 8, v5
	s_movk_i32 s4, 0x7f
	v_cmp_gt_i16_sdwa s[6:7], v3, s4 src0_sel:BYTE_0 src1_sel:DWORD
	s_mov_b64 s[4:5], 0
                                        ; implicit-def: $sgpr10
	s_and_saveexec_b64 s[8:9], s[6:7]
	s_xor_b64 s[6:7], exec, s[8:9]
	s_cbranch_execnz .LBB4_2541
; %bb.493:
	s_or_saveexec_b64 s[6:7], s[6:7]
	v_mov_b32_e32 v4, s10
	s_xor_b64 exec, exec, s[6:7]
	s_cbranch_execnz .LBB4_2544
.LBB4_494:
	s_or_b64 exec, exec, s[6:7]
	s_and_saveexec_b64 s[6:7], s[4:5]
	s_cbranch_execz .LBB4_496
.LBB4_495:
	v_bfe_u32 v4, v5, 8, 3
	v_ffbh_u32_e32 v7, v4
	v_min_u32_e32 v7, 32, v7
	v_lshrrev_b16_e32 v6, 3, v3
	v_subrev_u32_e32 v8, 28, v7
	v_and_b32_e32 v6, 15, v6
	v_lshlrev_b32_e32 v3, v8, v3
	v_sub_u32_e32 v7, 29, v7
	v_and_b32_e32 v3, 7, v3
	v_cmp_eq_u16_e32 vcc, 0, v6
	v_cndmask_b32_e32 v3, v4, v3, vcc
	v_cndmask_b32_e32 v4, v6, v7, vcc
	v_lshlrev_b32_e32 v6, 16, v5
	v_mov_b32_e32 v7, 0x3b800000
	v_lshlrev_b32_e32 v3, 20, v3
	v_and_b32_e32 v6, 0x80000000, v6
	v_lshl_add_u32 v4, v4, 23, v7
	v_or3_b32 v4, v6, v4, v3
.LBB4_496:
	s_or_b64 exec, exec, s[6:7]
	s_nop 0
	v_mfma_f32_16x16x4f32 a[0:3], v2, v4, a[0:3]
	s_movk_i32 s4, 0xff
	v_and_b32_sdwa v3, v9, s4 dst_sel:DWORD dst_unused:UNUSED_PAD src0_sel:WORD_1 src1_sel:DWORD
	s_movk_i32 s4, 0x7f
	v_cmp_lt_i16_e32 vcc, s4, v3
	s_mov_b64 s[4:5], 0
                                        ; implicit-def: $sgpr10
	s_and_saveexec_b64 s[6:7], vcc
	s_xor_b64 s[6:7], exec, s[6:7]
	s_cbranch_execnz .LBB4_2545
; %bb.497:
	s_or_saveexec_b64 s[6:7], s[6:7]
	v_mov_b32_e32 v2, s10
	s_xor_b64 exec, exec, s[6:7]
	s_cbranch_execnz .LBB4_2548
.LBB4_498:
	s_or_b64 exec, exec, s[6:7]
	s_and_saveexec_b64 s[6:7], s[4:5]
	s_cbranch_execz .LBB4_500
.LBB4_499:
	v_bfe_u32 v2, v9, 16, 3
	v_ffbh_u32_e32 v6, v2
	v_min_u32_e32 v6, 32, v6
	v_lshrrev_b32_e32 v3, 19, v9
	v_subrev_u32_e32 v7, 28, v6
	v_and_b32_e32 v3, 15, v3
	v_lshlrev_b32_sdwa v7, v7, v9 dst_sel:DWORD dst_unused:UNUSED_PAD src0_sel:DWORD src1_sel:WORD_1
	v_bfe_u32 v4, v9, 19, 4
	v_sub_u32_e32 v6, 29, v6
	v_and_b32_e32 v7, 7, v7
	v_cmp_eq_u16_e32 vcc, 0, v3
	v_cndmask_b32_e32 v2, v2, v7, vcc
	v_cndmask_b32_e32 v3, v4, v6, vcc
	v_lshlrev_b32_e32 v4, 8, v9
	v_mov_b32_e32 v6, 0x3b800000
	v_lshlrev_b32_e32 v2, 20, v2
	v_and_b32_e32 v4, 0x80000000, v4
	v_lshl_add_u32 v3, v3, 23, v6
	v_or3_b32 v2, v4, v3, v2
.LBB4_500:
	s_or_b64 exec, exec, s[6:7]
	s_movk_i32 s4, 0xff
	v_and_b32_sdwa v3, v5, s4 dst_sel:DWORD dst_unused:UNUSED_PAD src0_sel:WORD_1 src1_sel:DWORD
	s_movk_i32 s4, 0x7f
	v_cmp_lt_i16_e32 vcc, s4, v3
	s_mov_b64 s[4:5], 0
                                        ; implicit-def: $sgpr10
	s_and_saveexec_b64 s[6:7], vcc
	s_xor_b64 s[6:7], exec, s[6:7]
	s_cbranch_execnz .LBB4_2549
; %bb.501:
	s_or_saveexec_b64 s[6:7], s[6:7]
	v_mov_b32_e32 v4, s10
	s_xor_b64 exec, exec, s[6:7]
	s_cbranch_execnz .LBB4_2552
.LBB4_502:
	s_or_b64 exec, exec, s[6:7]
	s_and_saveexec_b64 s[6:7], s[4:5]
	s_cbranch_execz .LBB4_504
.LBB4_503:
	v_bfe_u32 v3, v5, 16, 3
	v_ffbh_u32_e32 v7, v3
	v_min_u32_e32 v7, 32, v7
	v_lshrrev_b32_e32 v4, 19, v5
	v_subrev_u32_e32 v8, 28, v7
	v_and_b32_e32 v4, 15, v4
	v_lshlrev_b32_sdwa v8, v8, v5 dst_sel:DWORD dst_unused:UNUSED_PAD src0_sel:DWORD src1_sel:WORD_1
	v_bfe_u32 v6, v5, 19, 4
	v_sub_u32_e32 v7, 29, v7
	v_and_b32_e32 v8, 7, v8
	v_cmp_eq_u16_e32 vcc, 0, v4
	v_cndmask_b32_e32 v3, v3, v8, vcc
	v_cndmask_b32_e32 v4, v6, v7, vcc
	v_lshlrev_b32_e32 v6, 8, v5
	v_mov_b32_e32 v7, 0x3b800000
	v_lshlrev_b32_e32 v3, 20, v3
	v_and_b32_e32 v6, 0x80000000, v6
	v_lshl_add_u32 v4, v4, 23, v7
	v_or3_b32 v4, v6, v4, v3
.LBB4_504:
	s_or_b64 exec, exec, s[6:7]
	s_nop 0
	v_mfma_f32_16x16x4f32 a[0:3], v2, v4, a[0:3]
	s_movk_i32 s4, 0x7f
	v_cmp_gt_i16_sdwa s[6:7], v9, s4 src0_sel:BYTE_3 src1_sel:DWORD
	s_mov_b64 s[4:5], 0
                                        ; implicit-def: $sgpr10
	s_and_saveexec_b64 s[8:9], s[6:7]
	s_xor_b64 s[6:7], exec, s[8:9]
	s_cbranch_execnz .LBB4_2553
; %bb.505:
	s_or_saveexec_b64 s[6:7], s[6:7]
	v_mov_b32_e32 v2, s10
	s_xor_b64 exec, exec, s[6:7]
	s_cbranch_execnz .LBB4_2556
.LBB4_506:
	s_or_b64 exec, exec, s[6:7]
	s_and_saveexec_b64 s[6:7], s[4:5]
	s_cbranch_execz .LBB4_508
.LBB4_507:
	v_bfe_u32 v2, v9, 24, 3
	v_ffbh_u32_e32 v7, v2
	v_min_u32_e32 v7, 32, v7
	v_lshrrev_b32_e32 v4, 27, v9
	v_subrev_u32_e32 v8, 28, v7
	v_and_b32_e32 v4, 15, v4
	v_lshlrev_b32_sdwa v8, v8, v9 dst_sel:DWORD dst_unused:UNUSED_PAD src0_sel:DWORD src1_sel:BYTE_3
	v_bfe_u32 v6, v9, 27, 4
	v_sub_u32_e32 v7, 29, v7
	v_and_b32_e32 v8, 7, v8
	v_cmp_eq_u16_e32 vcc, 0, v4
	v_cndmask_b32_e32 v2, v2, v8, vcc
	v_cndmask_b32_e32 v4, v6, v7, vcc
	v_mov_b32_e32 v6, 0x3b800000
	v_and_b32_e32 v3, 0x80000000, v9
	v_lshlrev_b32_e32 v2, 20, v2
	v_lshl_add_u32 v4, v4, 23, v6
	v_or3_b32 v2, v3, v4, v2
.LBB4_508:
	s_or_b64 exec, exec, s[6:7]
	s_movk_i32 s4, 0x7f
	v_cmp_gt_i16_sdwa s[6:7], v5, s4 src0_sel:BYTE_3 src1_sel:DWORD
	s_mov_b64 s[4:5], 0
                                        ; implicit-def: $sgpr10
	s_and_saveexec_b64 s[8:9], s[6:7]
	s_xor_b64 s[6:7], exec, s[8:9]
	s_cbranch_execnz .LBB4_2557
; %bb.509:
	s_or_saveexec_b64 s[6:7], s[6:7]
	v_mov_b32_e32 v3, s10
	s_xor_b64 exec, exec, s[6:7]
	s_cbranch_execnz .LBB4_2560
.LBB4_510:
	s_or_b64 exec, exec, s[6:7]
	s_and_saveexec_b64 s[6:7], s[4:5]
	s_cbranch_execz .LBB4_512
.LBB4_511:
	v_bfe_u32 v3, v5, 24, 3
	v_ffbh_u32_e32 v8, v3
	v_min_u32_e32 v8, 32, v8
	v_lshrrev_b32_e32 v6, 27, v5
	v_subrev_u32_e32 v9, 28, v8
	v_and_b32_e32 v4, 0x80000000, v5
	v_and_b32_e32 v6, 15, v6
	v_bfe_u32 v7, v5, 27, 4
	v_lshlrev_b32_sdwa v5, v9, v5 dst_sel:DWORD dst_unused:UNUSED_PAD src0_sel:DWORD src1_sel:BYTE_3
	v_sub_u32_e32 v8, 29, v8
	v_and_b32_e32 v5, 7, v5
	v_cmp_eq_u16_e32 vcc, 0, v6
	v_cndmask_b32_e32 v3, v3, v5, vcc
	v_cndmask_b32_e32 v5, v7, v8, vcc
	v_mov_b32_e32 v6, 0x3b800000
	v_lshlrev_b32_e32 v3, 20, v3
	v_lshl_add_u32 v5, v5, 23, v6
	v_or3_b32 v3, v4, v5, v3
.LBB4_512:
	s_or_b64 exec, exec, s[6:7]
	s_nop 0
	v_mfma_f32_16x16x4f32 a[0:3], v2, v3, a[0:3]
	s_movk_i32 s4, 0x7f
                                        ; implicit-def: $sgpr10
	s_nop 7
	s_nop 1
	flat_store_dwordx4 v[18:19], a[0:3] offset:272
	flat_load_dwordx4 v[20:23], v[0:1] offset:16
	s_nop 0
	flat_load_dwordx2 v[18:19], v[0:1] offset:32
	s_waitcnt vmcnt(0) lgkmcnt(0)
	flat_load_dwordx4 v[14:17], v[20:21]
	flat_load_dwordx4 v[6:9], v[20:21] offset:16
	flat_load_dwordx4 v[10:13], v[22:23] offset:64
	;; [unrolled: 1-line block ×3, first 2 shown]
	s_waitcnt vmcnt(0) lgkmcnt(0)
	v_cmp_gt_i16_sdwa s[6:7], v14, s4 src0_sel:BYTE_0 src1_sel:DWORD
	s_mov_b64 s[4:5], 0
	s_and_saveexec_b64 s[8:9], s[6:7]
	s_xor_b64 s[6:7], exec, s[8:9]
	s_cbranch_execnz .LBB4_2561
; %bb.513:
	s_or_saveexec_b64 s[6:7], s[6:7]
	v_mov_b32_e32 v20, s10
	s_xor_b64 exec, exec, s[6:7]
	s_cbranch_execnz .LBB4_2564
.LBB4_514:
	s_or_b64 exec, exec, s[6:7]
	s_and_saveexec_b64 s[6:7], s[4:5]
	s_cbranch_execz .LBB4_516
.LBB4_515:
	v_and_b32_e32 v20, 7, v14
	v_ffbh_u32_e32 v22, v20
	v_min_u32_e32 v22, 32, v22
	v_lshrrev_b16_e32 v21, 3, v14
	v_subrev_u32_e32 v23, 28, v22
	v_and_b32_e32 v21, 15, v21
	v_lshlrev_b32_e32 v23, v23, v14
	v_sub_u32_e32 v22, 29, v22
	v_and_b32_e32 v23, 7, v23
	v_cmp_eq_u16_e32 vcc, 0, v21
	v_cndmask_b32_e32 v20, v20, v23, vcc
	v_cndmask_b32_e32 v21, v21, v22, vcc
	v_lshlrev_b32_e32 v22, 24, v14
	v_mov_b32_e32 v23, 0x3b800000
	v_lshlrev_b32_e32 v20, 20, v20
	v_and_b32_e32 v22, 0x80000000, v22
	v_lshl_add_u32 v21, v21, 23, v23
	v_or3_b32 v20, v22, v21, v20
.LBB4_516:
	s_or_b64 exec, exec, s[6:7]
	s_movk_i32 s4, 0x7f
	v_cmp_gt_i16_sdwa s[6:7], v10, s4 src0_sel:BYTE_0 src1_sel:DWORD
	s_mov_b64 s[4:5], 0
                                        ; implicit-def: $sgpr10
	s_and_saveexec_b64 s[8:9], s[6:7]
	s_xor_b64 s[6:7], exec, s[8:9]
	s_cbranch_execnz .LBB4_2565
; %bb.517:
	s_or_saveexec_b64 s[6:7], s[6:7]
	v_mov_b32_e32 v21, s10
	s_xor_b64 exec, exec, s[6:7]
	s_cbranch_execnz .LBB4_2568
.LBB4_518:
	s_or_b64 exec, exec, s[6:7]
	s_and_saveexec_b64 s[6:7], s[4:5]
	s_cbranch_execz .LBB4_520
.LBB4_519:
	v_and_b32_e32 v21, 7, v10
	v_ffbh_u32_e32 v23, v21
	v_min_u32_e32 v23, 32, v23
	v_lshrrev_b16_e32 v22, 3, v10
	v_subrev_u32_e32 v24, 28, v23
	v_and_b32_e32 v22, 15, v22
	v_lshlrev_b32_e32 v24, v24, v10
	v_sub_u32_e32 v23, 29, v23
	v_and_b32_e32 v24, 7, v24
	v_cmp_eq_u16_e32 vcc, 0, v22
	v_cndmask_b32_e32 v21, v21, v24, vcc
	v_cndmask_b32_e32 v22, v22, v23, vcc
	v_lshlrev_b32_e32 v23, 24, v10
	v_mov_b32_e32 v24, 0x3b800000
	v_lshlrev_b32_e32 v21, 20, v21
	v_and_b32_e32 v23, 0x80000000, v23
	v_lshl_add_u32 v22, v22, 23, v24
	v_or3_b32 v21, v23, v22, v21
.LBB4_520:
	s_or_b64 exec, exec, s[6:7]
	flat_load_dwordx4 a[0:3], v[18:19] offset:288
	s_movk_i32 s4, 0x7f
                                        ; implicit-def: $sgpr10
	s_waitcnt vmcnt(0) lgkmcnt(0)
	v_mfma_f32_16x16x4f32 a[0:3], v20, v21, a[0:3]
	v_lshrrev_b32_e32 v21, 8, v14
	v_cmp_gt_i16_sdwa s[6:7], v21, s4 src0_sel:BYTE_0 src1_sel:DWORD
	s_mov_b64 s[4:5], 0
	s_and_saveexec_b64 s[8:9], s[6:7]
	s_xor_b64 s[6:7], exec, s[8:9]
	s_cbranch_execnz .LBB4_2569
; %bb.521:
	s_or_saveexec_b64 s[6:7], s[6:7]
	v_mov_b32_e32 v20, s10
	s_xor_b64 exec, exec, s[6:7]
	s_cbranch_execnz .LBB4_2572
.LBB4_522:
	s_or_b64 exec, exec, s[6:7]
	s_and_saveexec_b64 s[6:7], s[4:5]
	s_cbranch_execz .LBB4_524
.LBB4_523:
	v_bfe_u32 v20, v14, 8, 3
	v_ffbh_u32_e32 v23, v20
	v_min_u32_e32 v23, 32, v23
	v_lshrrev_b16_e32 v22, 3, v21
	v_subrev_u32_e32 v24, 28, v23
	v_and_b32_e32 v22, 15, v22
	v_lshlrev_b32_e32 v21, v24, v21
	v_sub_u32_e32 v23, 29, v23
	v_and_b32_e32 v21, 7, v21
	v_cmp_eq_u16_e32 vcc, 0, v22
	v_cndmask_b32_e32 v20, v20, v21, vcc
	v_cndmask_b32_e32 v21, v22, v23, vcc
	v_lshlrev_b32_e32 v22, 16, v14
	v_mov_b32_e32 v23, 0x3b800000
	v_lshlrev_b32_e32 v20, 20, v20
	v_and_b32_e32 v22, 0x80000000, v22
	v_lshl_add_u32 v21, v21, 23, v23
	v_or3_b32 v20, v22, v21, v20
.LBB4_524:
	s_or_b64 exec, exec, s[6:7]
	v_lshrrev_b32_e32 v21, 8, v10
	s_movk_i32 s4, 0x7f
	v_cmp_gt_i16_sdwa s[6:7], v21, s4 src0_sel:BYTE_0 src1_sel:DWORD
	s_mov_b64 s[4:5], 0
                                        ; implicit-def: $sgpr10
	s_and_saveexec_b64 s[8:9], s[6:7]
	s_xor_b64 s[6:7], exec, s[8:9]
	s_cbranch_execnz .LBB4_2573
; %bb.525:
	s_or_saveexec_b64 s[6:7], s[6:7]
	v_mov_b32_e32 v22, s10
	s_xor_b64 exec, exec, s[6:7]
	s_cbranch_execnz .LBB4_2576
.LBB4_526:
	s_or_b64 exec, exec, s[6:7]
	s_and_saveexec_b64 s[6:7], s[4:5]
	s_cbranch_execz .LBB4_528
.LBB4_527:
	v_bfe_u32 v22, v10, 8, 3
	v_ffbh_u32_e32 v24, v22
	v_min_u32_e32 v24, 32, v24
	v_lshrrev_b16_e32 v23, 3, v21
	v_subrev_u32_e32 v25, 28, v24
	v_and_b32_e32 v23, 15, v23
	v_lshlrev_b32_e32 v21, v25, v21
	v_sub_u32_e32 v24, 29, v24
	v_and_b32_e32 v21, 7, v21
	v_cmp_eq_u16_e32 vcc, 0, v23
	v_cndmask_b32_e32 v21, v22, v21, vcc
	v_cndmask_b32_e32 v22, v23, v24, vcc
	v_lshlrev_b32_e32 v23, 16, v10
	v_mov_b32_e32 v24, 0x3b800000
	v_lshlrev_b32_e32 v21, 20, v21
	v_and_b32_e32 v23, 0x80000000, v23
	v_lshl_add_u32 v22, v22, 23, v24
	v_or3_b32 v22, v23, v22, v21
.LBB4_528:
	s_or_b64 exec, exec, s[6:7]
	s_nop 0
	v_mfma_f32_16x16x4f32 a[0:3], v20, v22, a[0:3]
	s_movk_i32 s4, 0xff
	v_and_b32_sdwa v21, v14, s4 dst_sel:DWORD dst_unused:UNUSED_PAD src0_sel:WORD_1 src1_sel:DWORD
	s_movk_i32 s4, 0x7f
	v_cmp_lt_i16_e32 vcc, s4, v21
	s_mov_b64 s[4:5], 0
                                        ; implicit-def: $sgpr10
	s_and_saveexec_b64 s[6:7], vcc
	s_xor_b64 s[6:7], exec, s[6:7]
	s_cbranch_execnz .LBB4_2577
; %bb.529:
	s_or_saveexec_b64 s[6:7], s[6:7]
	v_mov_b32_e32 v20, s10
	s_xor_b64 exec, exec, s[6:7]
	s_cbranch_execnz .LBB4_2580
.LBB4_530:
	s_or_b64 exec, exec, s[6:7]
	s_and_saveexec_b64 s[6:7], s[4:5]
	s_cbranch_execz .LBB4_532
.LBB4_531:
	v_bfe_u32 v20, v14, 16, 3
	v_ffbh_u32_e32 v23, v20
	v_min_u32_e32 v23, 32, v23
	v_lshrrev_b32_e32 v21, 19, v14
	v_subrev_u32_e32 v24, 28, v23
	v_and_b32_e32 v21, 15, v21
	v_lshlrev_b32_sdwa v24, v24, v14 dst_sel:DWORD dst_unused:UNUSED_PAD src0_sel:DWORD src1_sel:WORD_1
	v_bfe_u32 v22, v14, 19, 4
	v_sub_u32_e32 v23, 29, v23
	v_and_b32_e32 v24, 7, v24
	v_cmp_eq_u16_e32 vcc, 0, v21
	v_cndmask_b32_e32 v20, v20, v24, vcc
	v_cndmask_b32_e32 v21, v22, v23, vcc
	v_lshlrev_b32_e32 v22, 8, v14
	v_mov_b32_e32 v23, 0x3b800000
	v_lshlrev_b32_e32 v20, 20, v20
	v_and_b32_e32 v22, 0x80000000, v22
	v_lshl_add_u32 v21, v21, 23, v23
	v_or3_b32 v20, v22, v21, v20
.LBB4_532:
	s_or_b64 exec, exec, s[6:7]
	s_movk_i32 s4, 0xff
	v_and_b32_sdwa v21, v10, s4 dst_sel:DWORD dst_unused:UNUSED_PAD src0_sel:WORD_1 src1_sel:DWORD
	s_movk_i32 s4, 0x7f
	v_cmp_lt_i16_e32 vcc, s4, v21
	s_mov_b64 s[4:5], 0
                                        ; implicit-def: $sgpr10
	s_and_saveexec_b64 s[6:7], vcc
	s_xor_b64 s[6:7], exec, s[6:7]
	s_cbranch_execnz .LBB4_2581
; %bb.533:
	s_or_saveexec_b64 s[6:7], s[6:7]
	v_mov_b32_e32 v22, s10
	s_xor_b64 exec, exec, s[6:7]
	s_cbranch_execnz .LBB4_2584
.LBB4_534:
	s_or_b64 exec, exec, s[6:7]
	s_and_saveexec_b64 s[6:7], s[4:5]
	s_cbranch_execz .LBB4_536
.LBB4_535:
	v_bfe_u32 v21, v10, 16, 3
	v_ffbh_u32_e32 v24, v21
	v_min_u32_e32 v24, 32, v24
	v_lshrrev_b32_e32 v22, 19, v10
	v_subrev_u32_e32 v25, 28, v24
	v_and_b32_e32 v22, 15, v22
	v_lshlrev_b32_sdwa v25, v25, v10 dst_sel:DWORD dst_unused:UNUSED_PAD src0_sel:DWORD src1_sel:WORD_1
	v_bfe_u32 v23, v10, 19, 4
	v_sub_u32_e32 v24, 29, v24
	v_and_b32_e32 v25, 7, v25
	v_cmp_eq_u16_e32 vcc, 0, v22
	v_cndmask_b32_e32 v21, v21, v25, vcc
	v_cndmask_b32_e32 v22, v23, v24, vcc
	v_lshlrev_b32_e32 v23, 8, v10
	v_mov_b32_e32 v24, 0x3b800000
	v_lshlrev_b32_e32 v21, 20, v21
	v_and_b32_e32 v23, 0x80000000, v23
	v_lshl_add_u32 v22, v22, 23, v24
	v_or3_b32 v22, v23, v22, v21
.LBB4_536:
	s_or_b64 exec, exec, s[6:7]
	s_nop 0
	v_mfma_f32_16x16x4f32 a[0:3], v20, v22, a[0:3]
	s_movk_i32 s4, 0x7f
	v_cmp_gt_i16_sdwa s[6:7], v14, s4 src0_sel:BYTE_3 src1_sel:DWORD
	s_mov_b64 s[4:5], 0
                                        ; implicit-def: $sgpr10
	s_and_saveexec_b64 s[8:9], s[6:7]
	s_xor_b64 s[6:7], exec, s[8:9]
	s_cbranch_execnz .LBB4_2585
; %bb.537:
	s_or_saveexec_b64 s[6:7], s[6:7]
	v_mov_b32_e32 v20, s10
	s_xor_b64 exec, exec, s[6:7]
	s_cbranch_execnz .LBB4_2588
.LBB4_538:
	s_or_b64 exec, exec, s[6:7]
	s_and_saveexec_b64 s[6:7], s[4:5]
	s_cbranch_execz .LBB4_540
.LBB4_539:
	v_bfe_u32 v20, v14, 24, 3
	v_ffbh_u32_e32 v24, v20
	v_min_u32_e32 v24, 32, v24
	v_lshrrev_b32_e32 v22, 27, v14
	v_subrev_u32_e32 v25, 28, v24
	v_and_b32_e32 v21, 0x80000000, v14
	v_and_b32_e32 v22, 15, v22
	v_bfe_u32 v23, v14, 27, 4
	v_lshlrev_b32_sdwa v14, v25, v14 dst_sel:DWORD dst_unused:UNUSED_PAD src0_sel:DWORD src1_sel:BYTE_3
	v_sub_u32_e32 v24, 29, v24
	v_and_b32_e32 v14, 7, v14
	v_cmp_eq_u16_e32 vcc, 0, v22
	v_cndmask_b32_e32 v14, v20, v14, vcc
	v_cndmask_b32_e32 v20, v23, v24, vcc
	v_mov_b32_e32 v22, 0x3b800000
	v_lshlrev_b32_e32 v14, 20, v14
	v_lshl_add_u32 v20, v20, 23, v22
	v_or3_b32 v20, v21, v20, v14
.LBB4_540:
	s_or_b64 exec, exec, s[6:7]
	s_movk_i32 s4, 0x7f
	v_cmp_gt_i16_sdwa s[6:7], v10, s4 src0_sel:BYTE_3 src1_sel:DWORD
	s_mov_b64 s[4:5], 0
                                        ; implicit-def: $sgpr10
	s_and_saveexec_b64 s[8:9], s[6:7]
	s_xor_b64 s[6:7], exec, s[8:9]
	s_cbranch_execnz .LBB4_2589
; %bb.541:
	s_or_saveexec_b64 s[6:7], s[6:7]
	v_mov_b32_e32 v14, s10
	s_xor_b64 exec, exec, s[6:7]
	s_cbranch_execnz .LBB4_2592
.LBB4_542:
	s_or_b64 exec, exec, s[6:7]
	s_and_saveexec_b64 s[6:7], s[4:5]
	s_cbranch_execz .LBB4_544
.LBB4_543:
	v_bfe_u32 v14, v10, 24, 3
	v_ffbh_u32_e32 v24, v14
	v_min_u32_e32 v24, 32, v24
	v_lshrrev_b32_e32 v22, 27, v10
	v_subrev_u32_e32 v25, 28, v24
	v_and_b32_e32 v21, 0x80000000, v10
	v_and_b32_e32 v22, 15, v22
	v_bfe_u32 v23, v10, 27, 4
	v_lshlrev_b32_sdwa v10, v25, v10 dst_sel:DWORD dst_unused:UNUSED_PAD src0_sel:DWORD src1_sel:BYTE_3
	v_sub_u32_e32 v24, 29, v24
	v_and_b32_e32 v10, 7, v10
	v_cmp_eq_u16_e32 vcc, 0, v22
	v_cndmask_b32_e32 v10, v14, v10, vcc
	v_cndmask_b32_e32 v14, v23, v24, vcc
	v_mov_b32_e32 v22, 0x3b800000
	v_lshlrev_b32_e32 v10, 20, v10
	v_lshl_add_u32 v14, v14, 23, v22
	v_or3_b32 v14, v21, v14, v10
.LBB4_544:
	s_or_b64 exec, exec, s[6:7]
	s_nop 0
	v_mfma_f32_16x16x4f32 a[0:3], v20, v14, a[0:3]
	s_movk_i32 s4, 0x7f
	v_cmp_gt_i16_sdwa s[6:7], v15, s4 src0_sel:BYTE_0 src1_sel:DWORD
	s_mov_b64 s[4:5], 0
                                        ; implicit-def: $sgpr10
	s_and_saveexec_b64 s[8:9], s[6:7]
	s_xor_b64 s[6:7], exec, s[8:9]
	s_cbranch_execnz .LBB4_2593
; %bb.545:
	s_or_saveexec_b64 s[6:7], s[6:7]
	v_mov_b32_e32 v10, s10
	s_xor_b64 exec, exec, s[6:7]
	s_cbranch_execnz .LBB4_2596
.LBB4_546:
	s_or_b64 exec, exec, s[6:7]
	s_and_saveexec_b64 s[6:7], s[4:5]
	s_cbranch_execz .LBB4_548
.LBB4_547:
	v_and_b32_e32 v10, 7, v15
	v_ffbh_u32_e32 v20, v10
	v_min_u32_e32 v20, 32, v20
	v_lshrrev_b16_e32 v14, 3, v15
	v_subrev_u32_e32 v21, 28, v20
	v_and_b32_e32 v14, 15, v14
	v_lshlrev_b32_e32 v21, v21, v15
	v_sub_u32_e32 v20, 29, v20
	v_and_b32_e32 v21, 7, v21
	v_cmp_eq_u16_e32 vcc, 0, v14
	v_cndmask_b32_e32 v10, v10, v21, vcc
	v_cndmask_b32_e32 v14, v14, v20, vcc
	v_lshlrev_b32_e32 v20, 24, v15
	v_mov_b32_e32 v21, 0x3b800000
	v_lshlrev_b32_e32 v10, 20, v10
	v_and_b32_e32 v20, 0x80000000, v20
	v_lshl_add_u32 v14, v14, 23, v21
	v_or3_b32 v10, v20, v14, v10
.LBB4_548:
	s_or_b64 exec, exec, s[6:7]
	s_movk_i32 s4, 0x7f
	v_cmp_gt_i16_sdwa s[6:7], v11, s4 src0_sel:BYTE_0 src1_sel:DWORD
	s_mov_b64 s[4:5], 0
                                        ; implicit-def: $sgpr10
	s_and_saveexec_b64 s[8:9], s[6:7]
	s_xor_b64 s[6:7], exec, s[8:9]
	s_cbranch_execnz .LBB4_2597
; %bb.549:
	s_or_saveexec_b64 s[6:7], s[6:7]
	v_mov_b32_e32 v14, s10
	s_xor_b64 exec, exec, s[6:7]
	s_cbranch_execnz .LBB4_2600
.LBB4_550:
	s_or_b64 exec, exec, s[6:7]
	s_and_saveexec_b64 s[6:7], s[4:5]
	s_cbranch_execz .LBB4_552
.LBB4_551:
	v_and_b32_e32 v14, 7, v11
	v_ffbh_u32_e32 v21, v14
	v_min_u32_e32 v21, 32, v21
	v_lshrrev_b16_e32 v20, 3, v11
	v_subrev_u32_e32 v22, 28, v21
	v_and_b32_e32 v20, 15, v20
	v_lshlrev_b32_e32 v22, v22, v11
	v_sub_u32_e32 v21, 29, v21
	v_and_b32_e32 v22, 7, v22
	v_cmp_eq_u16_e32 vcc, 0, v20
	v_cndmask_b32_e32 v14, v14, v22, vcc
	v_cndmask_b32_e32 v20, v20, v21, vcc
	v_lshlrev_b32_e32 v21, 24, v11
	v_mov_b32_e32 v22, 0x3b800000
	v_lshlrev_b32_e32 v14, 20, v14
	v_and_b32_e32 v21, 0x80000000, v21
	v_lshl_add_u32 v20, v20, 23, v22
	v_or3_b32 v14, v21, v20, v14
.LBB4_552:
	s_or_b64 exec, exec, s[6:7]
	s_nop 0
	v_mfma_f32_16x16x4f32 a[0:3], v10, v14, a[0:3]
	v_lshrrev_b32_e32 v14, 8, v15
	s_movk_i32 s4, 0x7f
	v_cmp_gt_i16_sdwa s[6:7], v14, s4 src0_sel:BYTE_0 src1_sel:DWORD
	s_mov_b64 s[4:5], 0
                                        ; implicit-def: $sgpr10
	s_and_saveexec_b64 s[8:9], s[6:7]
	s_xor_b64 s[6:7], exec, s[8:9]
	s_cbranch_execnz .LBB4_2601
; %bb.553:
	s_or_saveexec_b64 s[6:7], s[6:7]
	v_mov_b32_e32 v10, s10
	s_xor_b64 exec, exec, s[6:7]
	s_cbranch_execnz .LBB4_2604
.LBB4_554:
	s_or_b64 exec, exec, s[6:7]
	s_and_saveexec_b64 s[6:7], s[4:5]
	s_cbranch_execz .LBB4_556
.LBB4_555:
	v_bfe_u32 v10, v15, 8, 3
	v_ffbh_u32_e32 v21, v10
	v_min_u32_e32 v21, 32, v21
	v_lshrrev_b16_e32 v20, 3, v14
	v_subrev_u32_e32 v22, 28, v21
	v_and_b32_e32 v20, 15, v20
	v_lshlrev_b32_e32 v14, v22, v14
	v_sub_u32_e32 v21, 29, v21
	v_and_b32_e32 v14, 7, v14
	v_cmp_eq_u16_e32 vcc, 0, v20
	v_cndmask_b32_e32 v10, v10, v14, vcc
	v_cndmask_b32_e32 v14, v20, v21, vcc
	v_lshlrev_b32_e32 v20, 16, v15
	v_mov_b32_e32 v21, 0x3b800000
	v_lshlrev_b32_e32 v10, 20, v10
	v_and_b32_e32 v20, 0x80000000, v20
	v_lshl_add_u32 v14, v14, 23, v21
	v_or3_b32 v10, v20, v14, v10
.LBB4_556:
	s_or_b64 exec, exec, s[6:7]
	v_lshrrev_b32_e32 v14, 8, v11
	s_movk_i32 s4, 0x7f
	v_cmp_gt_i16_sdwa s[6:7], v14, s4 src0_sel:BYTE_0 src1_sel:DWORD
	s_mov_b64 s[4:5], 0
                                        ; implicit-def: $sgpr10
	s_and_saveexec_b64 s[8:9], s[6:7]
	s_xor_b64 s[6:7], exec, s[8:9]
	s_cbranch_execnz .LBB4_2605
; %bb.557:
	s_or_saveexec_b64 s[6:7], s[6:7]
	v_mov_b32_e32 v20, s10
	s_xor_b64 exec, exec, s[6:7]
	s_cbranch_execnz .LBB4_2608
.LBB4_558:
	s_or_b64 exec, exec, s[6:7]
	s_and_saveexec_b64 s[6:7], s[4:5]
	s_cbranch_execz .LBB4_560
.LBB4_559:
	v_bfe_u32 v20, v11, 8, 3
	v_ffbh_u32_e32 v22, v20
	v_min_u32_e32 v22, 32, v22
	v_lshrrev_b16_e32 v21, 3, v14
	v_subrev_u32_e32 v23, 28, v22
	v_and_b32_e32 v21, 15, v21
	v_lshlrev_b32_e32 v14, v23, v14
	v_sub_u32_e32 v22, 29, v22
	v_and_b32_e32 v14, 7, v14
	v_cmp_eq_u16_e32 vcc, 0, v21
	v_cndmask_b32_e32 v14, v20, v14, vcc
	v_cndmask_b32_e32 v20, v21, v22, vcc
	v_lshlrev_b32_e32 v21, 16, v11
	v_mov_b32_e32 v22, 0x3b800000
	v_lshlrev_b32_e32 v14, 20, v14
	v_and_b32_e32 v21, 0x80000000, v21
	v_lshl_add_u32 v20, v20, 23, v22
	v_or3_b32 v20, v21, v20, v14
.LBB4_560:
	s_or_b64 exec, exec, s[6:7]
	s_nop 0
	v_mfma_f32_16x16x4f32 a[0:3], v10, v20, a[0:3]
	s_movk_i32 s4, 0xff
	v_and_b32_sdwa v14, v15, s4 dst_sel:DWORD dst_unused:UNUSED_PAD src0_sel:WORD_1 src1_sel:DWORD
	s_movk_i32 s4, 0x7f
	v_cmp_lt_i16_e32 vcc, s4, v14
	s_mov_b64 s[4:5], 0
                                        ; implicit-def: $sgpr10
	s_and_saveexec_b64 s[6:7], vcc
	s_xor_b64 s[6:7], exec, s[6:7]
	s_cbranch_execnz .LBB4_2609
; %bb.561:
	s_or_saveexec_b64 s[6:7], s[6:7]
	v_mov_b32_e32 v10, s10
	s_xor_b64 exec, exec, s[6:7]
	s_cbranch_execnz .LBB4_2612
.LBB4_562:
	s_or_b64 exec, exec, s[6:7]
	s_and_saveexec_b64 s[6:7], s[4:5]
	s_cbranch_execz .LBB4_564
.LBB4_563:
	v_bfe_u32 v10, v15, 16, 3
	v_ffbh_u32_e32 v21, v10
	v_min_u32_e32 v21, 32, v21
	v_lshrrev_b32_e32 v14, 19, v15
	v_subrev_u32_e32 v22, 28, v21
	v_and_b32_e32 v14, 15, v14
	v_lshlrev_b32_sdwa v22, v22, v15 dst_sel:DWORD dst_unused:UNUSED_PAD src0_sel:DWORD src1_sel:WORD_1
	v_bfe_u32 v20, v15, 19, 4
	v_sub_u32_e32 v21, 29, v21
	v_and_b32_e32 v22, 7, v22
	v_cmp_eq_u16_e32 vcc, 0, v14
	v_cndmask_b32_e32 v10, v10, v22, vcc
	v_cndmask_b32_e32 v14, v20, v21, vcc
	v_lshlrev_b32_e32 v20, 8, v15
	v_mov_b32_e32 v21, 0x3b800000
	v_lshlrev_b32_e32 v10, 20, v10
	v_and_b32_e32 v20, 0x80000000, v20
	v_lshl_add_u32 v14, v14, 23, v21
	v_or3_b32 v10, v20, v14, v10
.LBB4_564:
	s_or_b64 exec, exec, s[6:7]
	s_movk_i32 s4, 0xff
	v_and_b32_sdwa v14, v11, s4 dst_sel:DWORD dst_unused:UNUSED_PAD src0_sel:WORD_1 src1_sel:DWORD
	s_movk_i32 s4, 0x7f
	v_cmp_lt_i16_e32 vcc, s4, v14
	s_mov_b64 s[4:5], 0
                                        ; implicit-def: $sgpr10
	s_and_saveexec_b64 s[6:7], vcc
	s_xor_b64 s[6:7], exec, s[6:7]
	s_cbranch_execnz .LBB4_2613
; %bb.565:
	s_or_saveexec_b64 s[6:7], s[6:7]
	v_mov_b32_e32 v20, s10
	s_xor_b64 exec, exec, s[6:7]
	s_cbranch_execnz .LBB4_2616
.LBB4_566:
	s_or_b64 exec, exec, s[6:7]
	s_and_saveexec_b64 s[6:7], s[4:5]
	s_cbranch_execz .LBB4_568
.LBB4_567:
	v_bfe_u32 v14, v11, 16, 3
	v_ffbh_u32_e32 v22, v14
	v_min_u32_e32 v22, 32, v22
	v_lshrrev_b32_e32 v20, 19, v11
	v_subrev_u32_e32 v23, 28, v22
	v_and_b32_e32 v20, 15, v20
	v_lshlrev_b32_sdwa v23, v23, v11 dst_sel:DWORD dst_unused:UNUSED_PAD src0_sel:DWORD src1_sel:WORD_1
	v_bfe_u32 v21, v11, 19, 4
	v_sub_u32_e32 v22, 29, v22
	v_and_b32_e32 v23, 7, v23
	v_cmp_eq_u16_e32 vcc, 0, v20
	v_cndmask_b32_e32 v14, v14, v23, vcc
	v_cndmask_b32_e32 v20, v21, v22, vcc
	v_lshlrev_b32_e32 v21, 8, v11
	v_mov_b32_e32 v22, 0x3b800000
	v_lshlrev_b32_e32 v14, 20, v14
	v_and_b32_e32 v21, 0x80000000, v21
	v_lshl_add_u32 v20, v20, 23, v22
	v_or3_b32 v20, v21, v20, v14
.LBB4_568:
	s_or_b64 exec, exec, s[6:7]
	s_nop 0
	v_mfma_f32_16x16x4f32 a[0:3], v10, v20, a[0:3]
	s_movk_i32 s4, 0x7f
	v_cmp_gt_i16_sdwa s[6:7], v15, s4 src0_sel:BYTE_3 src1_sel:DWORD
	s_mov_b64 s[4:5], 0
                                        ; implicit-def: $sgpr10
	s_and_saveexec_b64 s[8:9], s[6:7]
	s_xor_b64 s[6:7], exec, s[8:9]
	s_cbranch_execnz .LBB4_2617
; %bb.569:
	s_or_saveexec_b64 s[6:7], s[6:7]
	v_mov_b32_e32 v10, s10
	s_xor_b64 exec, exec, s[6:7]
	s_cbranch_execnz .LBB4_2620
.LBB4_570:
	s_or_b64 exec, exec, s[6:7]
	s_and_saveexec_b64 s[6:7], s[4:5]
	s_cbranch_execz .LBB4_572
.LBB4_571:
	v_bfe_u32 v10, v15, 24, 3
	v_ffbh_u32_e32 v22, v10
	v_min_u32_e32 v22, 32, v22
	v_lshrrev_b32_e32 v20, 27, v15
	v_subrev_u32_e32 v23, 28, v22
	v_and_b32_e32 v14, 0x80000000, v15
	v_and_b32_e32 v20, 15, v20
	v_bfe_u32 v21, v15, 27, 4
	v_lshlrev_b32_sdwa v15, v23, v15 dst_sel:DWORD dst_unused:UNUSED_PAD src0_sel:DWORD src1_sel:BYTE_3
	v_sub_u32_e32 v22, 29, v22
	v_and_b32_e32 v15, 7, v15
	v_cmp_eq_u16_e32 vcc, 0, v20
	v_cndmask_b32_e32 v10, v10, v15, vcc
	v_cndmask_b32_e32 v15, v21, v22, vcc
	v_mov_b32_e32 v20, 0x3b800000
	v_lshlrev_b32_e32 v10, 20, v10
	v_lshl_add_u32 v15, v15, 23, v20
	v_or3_b32 v10, v14, v15, v10
.LBB4_572:
	s_or_b64 exec, exec, s[6:7]
	s_movk_i32 s4, 0x7f
	v_cmp_gt_i16_sdwa s[6:7], v11, s4 src0_sel:BYTE_3 src1_sel:DWORD
	s_mov_b64 s[4:5], 0
                                        ; implicit-def: $sgpr10
	s_and_saveexec_b64 s[8:9], s[6:7]
	s_xor_b64 s[6:7], exec, s[8:9]
	s_cbranch_execnz .LBB4_2621
; %bb.573:
	s_or_saveexec_b64 s[6:7], s[6:7]
	v_mov_b32_e32 v14, s10
	s_xor_b64 exec, exec, s[6:7]
	s_cbranch_execnz .LBB4_2624
.LBB4_574:
	s_or_b64 exec, exec, s[6:7]
	s_and_saveexec_b64 s[6:7], s[4:5]
	s_cbranch_execz .LBB4_576
.LBB4_575:
	v_bfe_u32 v14, v11, 24, 3
	v_ffbh_u32_e32 v22, v14
	v_min_u32_e32 v22, 32, v22
	v_lshrrev_b32_e32 v20, 27, v11
	v_subrev_u32_e32 v23, 28, v22
	v_and_b32_e32 v15, 0x80000000, v11
	v_and_b32_e32 v20, 15, v20
	v_bfe_u32 v21, v11, 27, 4
	v_lshlrev_b32_sdwa v11, v23, v11 dst_sel:DWORD dst_unused:UNUSED_PAD src0_sel:DWORD src1_sel:BYTE_3
	v_sub_u32_e32 v22, 29, v22
	v_and_b32_e32 v11, 7, v11
	v_cmp_eq_u16_e32 vcc, 0, v20
	v_cndmask_b32_e32 v11, v14, v11, vcc
	v_cndmask_b32_e32 v14, v21, v22, vcc
	v_mov_b32_e32 v20, 0x3b800000
	v_lshlrev_b32_e32 v11, 20, v11
	v_lshl_add_u32 v14, v14, 23, v20
	v_or3_b32 v14, v15, v14, v11
.LBB4_576:
	s_or_b64 exec, exec, s[6:7]
	s_nop 0
	v_mfma_f32_16x16x4f32 a[0:3], v10, v14, a[0:3]
	s_movk_i32 s4, 0x7f
	v_cmp_gt_i16_sdwa s[6:7], v16, s4 src0_sel:BYTE_0 src1_sel:DWORD
	s_mov_b64 s[4:5], 0
                                        ; implicit-def: $sgpr10
	s_and_saveexec_b64 s[8:9], s[6:7]
	s_xor_b64 s[6:7], exec, s[8:9]
	s_cbranch_execnz .LBB4_2625
; %bb.577:
	s_or_saveexec_b64 s[6:7], s[6:7]
	v_mov_b32_e32 v10, s10
	s_xor_b64 exec, exec, s[6:7]
	s_cbranch_execnz .LBB4_2628
.LBB4_578:
	s_or_b64 exec, exec, s[6:7]
	s_and_saveexec_b64 s[6:7], s[4:5]
	s_cbranch_execz .LBB4_580
.LBB4_579:
	v_and_b32_e32 v10, 7, v16
	v_ffbh_u32_e32 v14, v10
	v_min_u32_e32 v14, 32, v14
	v_lshrrev_b16_e32 v11, 3, v16
	v_subrev_u32_e32 v15, 28, v14
	v_and_b32_e32 v11, 15, v11
	v_lshlrev_b32_e32 v15, v15, v16
	v_sub_u32_e32 v14, 29, v14
	v_and_b32_e32 v15, 7, v15
	v_cmp_eq_u16_e32 vcc, 0, v11
	v_cndmask_b32_e32 v10, v10, v15, vcc
	v_cndmask_b32_e32 v11, v11, v14, vcc
	v_lshlrev_b32_e32 v14, 24, v16
	v_mov_b32_e32 v15, 0x3b800000
	v_lshlrev_b32_e32 v10, 20, v10
	v_and_b32_e32 v14, 0x80000000, v14
	v_lshl_add_u32 v11, v11, 23, v15
	v_or3_b32 v10, v14, v11, v10
.LBB4_580:
	s_or_b64 exec, exec, s[6:7]
	s_movk_i32 s4, 0x7f
	v_cmp_gt_i16_sdwa s[6:7], v12, s4 src0_sel:BYTE_0 src1_sel:DWORD
	s_mov_b64 s[4:5], 0
                                        ; implicit-def: $sgpr10
	s_and_saveexec_b64 s[8:9], s[6:7]
	s_xor_b64 s[6:7], exec, s[8:9]
	s_cbranch_execnz .LBB4_2629
; %bb.581:
	s_or_saveexec_b64 s[6:7], s[6:7]
	v_mov_b32_e32 v11, s10
	s_xor_b64 exec, exec, s[6:7]
	s_cbranch_execnz .LBB4_2632
.LBB4_582:
	s_or_b64 exec, exec, s[6:7]
	s_and_saveexec_b64 s[6:7], s[4:5]
	s_cbranch_execz .LBB4_584
.LBB4_583:
	v_and_b32_e32 v11, 7, v12
	v_ffbh_u32_e32 v15, v11
	v_min_u32_e32 v15, 32, v15
	v_lshrrev_b16_e32 v14, 3, v12
	v_subrev_u32_e32 v20, 28, v15
	v_and_b32_e32 v14, 15, v14
	v_lshlrev_b32_e32 v20, v20, v12
	v_sub_u32_e32 v15, 29, v15
	v_and_b32_e32 v20, 7, v20
	v_cmp_eq_u16_e32 vcc, 0, v14
	v_cndmask_b32_e32 v11, v11, v20, vcc
	v_cndmask_b32_e32 v14, v14, v15, vcc
	v_lshlrev_b32_e32 v15, 24, v12
	v_mov_b32_e32 v20, 0x3b800000
	v_lshlrev_b32_e32 v11, 20, v11
	v_and_b32_e32 v15, 0x80000000, v15
	v_lshl_add_u32 v14, v14, 23, v20
	v_or3_b32 v11, v15, v14, v11
.LBB4_584:
	s_or_b64 exec, exec, s[6:7]
	s_nop 0
	v_mfma_f32_16x16x4f32 a[0:3], v10, v11, a[0:3]
	v_lshrrev_b32_e32 v11, 8, v16
	s_movk_i32 s4, 0x7f
	v_cmp_gt_i16_sdwa s[6:7], v11, s4 src0_sel:BYTE_0 src1_sel:DWORD
	s_mov_b64 s[4:5], 0
                                        ; implicit-def: $sgpr10
	s_and_saveexec_b64 s[8:9], s[6:7]
	s_xor_b64 s[6:7], exec, s[8:9]
	s_cbranch_execnz .LBB4_2633
; %bb.585:
	s_or_saveexec_b64 s[6:7], s[6:7]
	v_mov_b32_e32 v10, s10
	s_xor_b64 exec, exec, s[6:7]
	s_cbranch_execnz .LBB4_2636
.LBB4_586:
	s_or_b64 exec, exec, s[6:7]
	s_and_saveexec_b64 s[6:7], s[4:5]
	s_cbranch_execz .LBB4_588
.LBB4_587:
	v_bfe_u32 v10, v16, 8, 3
	v_ffbh_u32_e32 v15, v10
	v_min_u32_e32 v15, 32, v15
	v_lshrrev_b16_e32 v14, 3, v11
	v_subrev_u32_e32 v20, 28, v15
	v_and_b32_e32 v14, 15, v14
	v_lshlrev_b32_e32 v11, v20, v11
	v_sub_u32_e32 v15, 29, v15
	v_and_b32_e32 v11, 7, v11
	v_cmp_eq_u16_e32 vcc, 0, v14
	v_cndmask_b32_e32 v10, v10, v11, vcc
	v_cndmask_b32_e32 v11, v14, v15, vcc
	v_lshlrev_b32_e32 v14, 16, v16
	v_mov_b32_e32 v15, 0x3b800000
	v_lshlrev_b32_e32 v10, 20, v10
	v_and_b32_e32 v14, 0x80000000, v14
	v_lshl_add_u32 v11, v11, 23, v15
	v_or3_b32 v10, v14, v11, v10
.LBB4_588:
	s_or_b64 exec, exec, s[6:7]
	v_lshrrev_b32_e32 v11, 8, v12
	s_movk_i32 s4, 0x7f
	v_cmp_gt_i16_sdwa s[6:7], v11, s4 src0_sel:BYTE_0 src1_sel:DWORD
	s_mov_b64 s[4:5], 0
                                        ; implicit-def: $sgpr10
	s_and_saveexec_b64 s[8:9], s[6:7]
	s_xor_b64 s[6:7], exec, s[8:9]
	s_cbranch_execnz .LBB4_2637
; %bb.589:
	s_or_saveexec_b64 s[6:7], s[6:7]
	v_mov_b32_e32 v14, s10
	s_xor_b64 exec, exec, s[6:7]
	s_cbranch_execnz .LBB4_2640
.LBB4_590:
	s_or_b64 exec, exec, s[6:7]
	s_and_saveexec_b64 s[6:7], s[4:5]
	s_cbranch_execz .LBB4_592
.LBB4_591:
	v_bfe_u32 v14, v12, 8, 3
	v_ffbh_u32_e32 v20, v14
	v_min_u32_e32 v20, 32, v20
	v_lshrrev_b16_e32 v15, 3, v11
	v_subrev_u32_e32 v21, 28, v20
	v_and_b32_e32 v15, 15, v15
	v_lshlrev_b32_e32 v11, v21, v11
	v_sub_u32_e32 v20, 29, v20
	v_and_b32_e32 v11, 7, v11
	v_cmp_eq_u16_e32 vcc, 0, v15
	v_cndmask_b32_e32 v11, v14, v11, vcc
	v_cndmask_b32_e32 v14, v15, v20, vcc
	v_lshlrev_b32_e32 v15, 16, v12
	v_mov_b32_e32 v20, 0x3b800000
	v_lshlrev_b32_e32 v11, 20, v11
	v_and_b32_e32 v15, 0x80000000, v15
	v_lshl_add_u32 v14, v14, 23, v20
	v_or3_b32 v14, v15, v14, v11
.LBB4_592:
	s_or_b64 exec, exec, s[6:7]
	s_nop 0
	v_mfma_f32_16x16x4f32 a[0:3], v10, v14, a[0:3]
	s_movk_i32 s4, 0xff
	v_and_b32_sdwa v11, v16, s4 dst_sel:DWORD dst_unused:UNUSED_PAD src0_sel:WORD_1 src1_sel:DWORD
	s_movk_i32 s4, 0x7f
	v_cmp_lt_i16_e32 vcc, s4, v11
	s_mov_b64 s[4:5], 0
                                        ; implicit-def: $sgpr10
	s_and_saveexec_b64 s[6:7], vcc
	s_xor_b64 s[6:7], exec, s[6:7]
	s_cbranch_execnz .LBB4_2641
; %bb.593:
	s_or_saveexec_b64 s[6:7], s[6:7]
	v_mov_b32_e32 v10, s10
	s_xor_b64 exec, exec, s[6:7]
	s_cbranch_execnz .LBB4_2644
.LBB4_594:
	s_or_b64 exec, exec, s[6:7]
	s_and_saveexec_b64 s[6:7], s[4:5]
	s_cbranch_execz .LBB4_596
.LBB4_595:
	v_bfe_u32 v10, v16, 16, 3
	v_ffbh_u32_e32 v15, v10
	v_min_u32_e32 v15, 32, v15
	v_lshrrev_b32_e32 v11, 19, v16
	v_subrev_u32_e32 v20, 28, v15
	v_and_b32_e32 v11, 15, v11
	v_lshlrev_b32_sdwa v20, v20, v16 dst_sel:DWORD dst_unused:UNUSED_PAD src0_sel:DWORD src1_sel:WORD_1
	v_bfe_u32 v14, v16, 19, 4
	v_sub_u32_e32 v15, 29, v15
	v_and_b32_e32 v20, 7, v20
	v_cmp_eq_u16_e32 vcc, 0, v11
	v_cndmask_b32_e32 v10, v10, v20, vcc
	v_cndmask_b32_e32 v11, v14, v15, vcc
	v_lshlrev_b32_e32 v14, 8, v16
	v_mov_b32_e32 v15, 0x3b800000
	v_lshlrev_b32_e32 v10, 20, v10
	v_and_b32_e32 v14, 0x80000000, v14
	v_lshl_add_u32 v11, v11, 23, v15
	v_or3_b32 v10, v14, v11, v10
.LBB4_596:
	s_or_b64 exec, exec, s[6:7]
	s_movk_i32 s4, 0xff
	v_and_b32_sdwa v11, v12, s4 dst_sel:DWORD dst_unused:UNUSED_PAD src0_sel:WORD_1 src1_sel:DWORD
	s_movk_i32 s4, 0x7f
	v_cmp_lt_i16_e32 vcc, s4, v11
	s_mov_b64 s[4:5], 0
                                        ; implicit-def: $sgpr10
	s_and_saveexec_b64 s[6:7], vcc
	s_xor_b64 s[6:7], exec, s[6:7]
	s_cbranch_execnz .LBB4_2645
; %bb.597:
	s_or_saveexec_b64 s[6:7], s[6:7]
	v_mov_b32_e32 v14, s10
	s_xor_b64 exec, exec, s[6:7]
	s_cbranch_execnz .LBB4_2648
.LBB4_598:
	s_or_b64 exec, exec, s[6:7]
	s_and_saveexec_b64 s[6:7], s[4:5]
	s_cbranch_execz .LBB4_600
.LBB4_599:
	v_bfe_u32 v11, v12, 16, 3
	v_ffbh_u32_e32 v20, v11
	v_min_u32_e32 v20, 32, v20
	v_lshrrev_b32_e32 v14, 19, v12
	v_subrev_u32_e32 v21, 28, v20
	v_and_b32_e32 v14, 15, v14
	v_lshlrev_b32_sdwa v21, v21, v12 dst_sel:DWORD dst_unused:UNUSED_PAD src0_sel:DWORD src1_sel:WORD_1
	v_bfe_u32 v15, v12, 19, 4
	v_sub_u32_e32 v20, 29, v20
	v_and_b32_e32 v21, 7, v21
	v_cmp_eq_u16_e32 vcc, 0, v14
	v_cndmask_b32_e32 v11, v11, v21, vcc
	v_cndmask_b32_e32 v14, v15, v20, vcc
	v_lshlrev_b32_e32 v15, 8, v12
	v_mov_b32_e32 v20, 0x3b800000
	v_lshlrev_b32_e32 v11, 20, v11
	v_and_b32_e32 v15, 0x80000000, v15
	v_lshl_add_u32 v14, v14, 23, v20
	v_or3_b32 v14, v15, v14, v11
.LBB4_600:
	s_or_b64 exec, exec, s[6:7]
	s_nop 0
	v_mfma_f32_16x16x4f32 a[0:3], v10, v14, a[0:3]
	s_movk_i32 s4, 0x7f
	v_cmp_gt_i16_sdwa s[6:7], v16, s4 src0_sel:BYTE_3 src1_sel:DWORD
	s_mov_b64 s[4:5], 0
                                        ; implicit-def: $sgpr10
	s_and_saveexec_b64 s[8:9], s[6:7]
	s_xor_b64 s[6:7], exec, s[8:9]
	s_cbranch_execnz .LBB4_2649
; %bb.601:
	s_or_saveexec_b64 s[6:7], s[6:7]
	v_mov_b32_e32 v10, s10
	s_xor_b64 exec, exec, s[6:7]
	s_cbranch_execnz .LBB4_2652
.LBB4_602:
	s_or_b64 exec, exec, s[6:7]
	s_and_saveexec_b64 s[6:7], s[4:5]
	s_cbranch_execz .LBB4_604
.LBB4_603:
	v_bfe_u32 v10, v16, 24, 3
	v_ffbh_u32_e32 v20, v10
	v_min_u32_e32 v20, 32, v20
	v_lshrrev_b32_e32 v14, 27, v16
	v_subrev_u32_e32 v21, 28, v20
	v_and_b32_e32 v11, 0x80000000, v16
	v_and_b32_e32 v14, 15, v14
	v_bfe_u32 v15, v16, 27, 4
	v_lshlrev_b32_sdwa v16, v21, v16 dst_sel:DWORD dst_unused:UNUSED_PAD src0_sel:DWORD src1_sel:BYTE_3
	v_sub_u32_e32 v20, 29, v20
	v_and_b32_e32 v16, 7, v16
	v_cmp_eq_u16_e32 vcc, 0, v14
	v_cndmask_b32_e32 v10, v10, v16, vcc
	v_cndmask_b32_e32 v14, v15, v20, vcc
	v_mov_b32_e32 v15, 0x3b800000
	v_lshlrev_b32_e32 v10, 20, v10
	v_lshl_add_u32 v14, v14, 23, v15
	v_or3_b32 v10, v11, v14, v10
.LBB4_604:
	s_or_b64 exec, exec, s[6:7]
	s_movk_i32 s4, 0x7f
	v_cmp_gt_i16_sdwa s[6:7], v12, s4 src0_sel:BYTE_3 src1_sel:DWORD
	s_mov_b64 s[4:5], 0
                                        ; implicit-def: $sgpr10
	s_and_saveexec_b64 s[8:9], s[6:7]
	s_xor_b64 s[6:7], exec, s[8:9]
	s_cbranch_execnz .LBB4_2653
; %bb.605:
	s_or_saveexec_b64 s[6:7], s[6:7]
	v_mov_b32_e32 v11, s10
	s_xor_b64 exec, exec, s[6:7]
	s_cbranch_execnz .LBB4_2656
.LBB4_606:
	s_or_b64 exec, exec, s[6:7]
	s_and_saveexec_b64 s[6:7], s[4:5]
	s_cbranch_execz .LBB4_608
.LBB4_607:
	v_bfe_u32 v11, v12, 24, 3
	v_ffbh_u32_e32 v20, v11
	v_min_u32_e32 v20, 32, v20
	v_lshrrev_b32_e32 v15, 27, v12
	v_subrev_u32_e32 v21, 28, v20
	v_and_b32_e32 v14, 0x80000000, v12
	v_and_b32_e32 v15, 15, v15
	v_bfe_u32 v16, v12, 27, 4
	v_lshlrev_b32_sdwa v12, v21, v12 dst_sel:DWORD dst_unused:UNUSED_PAD src0_sel:DWORD src1_sel:BYTE_3
	v_sub_u32_e32 v20, 29, v20
	v_and_b32_e32 v12, 7, v12
	v_cmp_eq_u16_e32 vcc, 0, v15
	v_cndmask_b32_e32 v11, v11, v12, vcc
	v_cndmask_b32_e32 v12, v16, v20, vcc
	v_mov_b32_e32 v15, 0x3b800000
	v_lshlrev_b32_e32 v11, 20, v11
	v_lshl_add_u32 v12, v12, 23, v15
	v_or3_b32 v11, v14, v12, v11
.LBB4_608:
	s_or_b64 exec, exec, s[6:7]
	s_nop 0
	v_mfma_f32_16x16x4f32 a[0:3], v10, v11, a[0:3]
	s_movk_i32 s4, 0x7f
	v_cmp_gt_i16_sdwa s[6:7], v17, s4 src0_sel:BYTE_0 src1_sel:DWORD
	s_mov_b64 s[4:5], 0
                                        ; implicit-def: $sgpr10
	s_and_saveexec_b64 s[8:9], s[6:7]
	s_xor_b64 s[6:7], exec, s[8:9]
	s_cbranch_execnz .LBB4_2657
; %bb.609:
	s_or_saveexec_b64 s[6:7], s[6:7]
	v_mov_b32_e32 v10, s10
	s_xor_b64 exec, exec, s[6:7]
	s_cbranch_execnz .LBB4_2660
.LBB4_610:
	s_or_b64 exec, exec, s[6:7]
	s_and_saveexec_b64 s[6:7], s[4:5]
	s_cbranch_execz .LBB4_612
.LBB4_611:
	v_and_b32_e32 v10, 7, v17
	v_ffbh_u32_e32 v12, v10
	v_min_u32_e32 v12, 32, v12
	v_lshrrev_b16_e32 v11, 3, v17
	v_subrev_u32_e32 v14, 28, v12
	v_and_b32_e32 v11, 15, v11
	v_lshlrev_b32_e32 v14, v14, v17
	v_sub_u32_e32 v12, 29, v12
	v_and_b32_e32 v14, 7, v14
	v_cmp_eq_u16_e32 vcc, 0, v11
	v_cndmask_b32_e32 v10, v10, v14, vcc
	v_cndmask_b32_e32 v11, v11, v12, vcc
	v_lshlrev_b32_e32 v12, 24, v17
	v_mov_b32_e32 v14, 0x3b800000
	v_lshlrev_b32_e32 v10, 20, v10
	v_and_b32_e32 v12, 0x80000000, v12
	v_lshl_add_u32 v11, v11, 23, v14
	v_or3_b32 v10, v12, v11, v10
.LBB4_612:
	s_or_b64 exec, exec, s[6:7]
	s_movk_i32 s4, 0x7f
	v_cmp_gt_i16_sdwa s[6:7], v13, s4 src0_sel:BYTE_0 src1_sel:DWORD
	s_mov_b64 s[4:5], 0
                                        ; implicit-def: $sgpr10
	s_and_saveexec_b64 s[8:9], s[6:7]
	s_xor_b64 s[6:7], exec, s[8:9]
	s_cbranch_execnz .LBB4_2661
; %bb.613:
	s_or_saveexec_b64 s[6:7], s[6:7]
	v_mov_b32_e32 v11, s10
	s_xor_b64 exec, exec, s[6:7]
	s_cbranch_execnz .LBB4_2664
.LBB4_614:
	s_or_b64 exec, exec, s[6:7]
	s_and_saveexec_b64 s[6:7], s[4:5]
	s_cbranch_execz .LBB4_616
.LBB4_615:
	v_and_b32_e32 v11, 7, v13
	v_ffbh_u32_e32 v14, v11
	v_min_u32_e32 v14, 32, v14
	v_lshrrev_b16_e32 v12, 3, v13
	v_subrev_u32_e32 v15, 28, v14
	v_and_b32_e32 v12, 15, v12
	v_lshlrev_b32_e32 v15, v15, v13
	v_sub_u32_e32 v14, 29, v14
	v_and_b32_e32 v15, 7, v15
	v_cmp_eq_u16_e32 vcc, 0, v12
	v_cndmask_b32_e32 v11, v11, v15, vcc
	v_cndmask_b32_e32 v12, v12, v14, vcc
	v_lshlrev_b32_e32 v14, 24, v13
	v_mov_b32_e32 v15, 0x3b800000
	v_lshlrev_b32_e32 v11, 20, v11
	v_and_b32_e32 v14, 0x80000000, v14
	v_lshl_add_u32 v12, v12, 23, v15
	v_or3_b32 v11, v14, v12, v11
.LBB4_616:
	s_or_b64 exec, exec, s[6:7]
	s_nop 0
	v_mfma_f32_16x16x4f32 a[0:3], v10, v11, a[0:3]
	v_lshrrev_b32_e32 v11, 8, v17
	s_movk_i32 s4, 0x7f
	v_cmp_gt_i16_sdwa s[6:7], v11, s4 src0_sel:BYTE_0 src1_sel:DWORD
	s_mov_b64 s[4:5], 0
                                        ; implicit-def: $sgpr10
	s_and_saveexec_b64 s[8:9], s[6:7]
	s_xor_b64 s[6:7], exec, s[8:9]
	s_cbranch_execnz .LBB4_2665
; %bb.617:
	s_or_saveexec_b64 s[6:7], s[6:7]
	v_mov_b32_e32 v10, s10
	s_xor_b64 exec, exec, s[6:7]
	s_cbranch_execnz .LBB4_2668
.LBB4_618:
	s_or_b64 exec, exec, s[6:7]
	s_and_saveexec_b64 s[6:7], s[4:5]
	s_cbranch_execz .LBB4_620
.LBB4_619:
	v_bfe_u32 v10, v17, 8, 3
	v_ffbh_u32_e32 v14, v10
	v_min_u32_e32 v14, 32, v14
	v_lshrrev_b16_e32 v12, 3, v11
	v_subrev_u32_e32 v15, 28, v14
	v_and_b32_e32 v12, 15, v12
	v_lshlrev_b32_e32 v11, v15, v11
	v_sub_u32_e32 v14, 29, v14
	v_and_b32_e32 v11, 7, v11
	v_cmp_eq_u16_e32 vcc, 0, v12
	v_cndmask_b32_e32 v10, v10, v11, vcc
	v_cndmask_b32_e32 v11, v12, v14, vcc
	v_lshlrev_b32_e32 v12, 16, v17
	v_mov_b32_e32 v14, 0x3b800000
	v_lshlrev_b32_e32 v10, 20, v10
	v_and_b32_e32 v12, 0x80000000, v12
	v_lshl_add_u32 v11, v11, 23, v14
	v_or3_b32 v10, v12, v11, v10
.LBB4_620:
	s_or_b64 exec, exec, s[6:7]
	v_lshrrev_b32_e32 v11, 8, v13
	s_movk_i32 s4, 0x7f
	v_cmp_gt_i16_sdwa s[6:7], v11, s4 src0_sel:BYTE_0 src1_sel:DWORD
	s_mov_b64 s[4:5], 0
                                        ; implicit-def: $sgpr10
	s_and_saveexec_b64 s[8:9], s[6:7]
	s_xor_b64 s[6:7], exec, s[8:9]
	s_cbranch_execnz .LBB4_2669
; %bb.621:
	s_or_saveexec_b64 s[6:7], s[6:7]
	v_mov_b32_e32 v12, s10
	s_xor_b64 exec, exec, s[6:7]
	s_cbranch_execnz .LBB4_2672
.LBB4_622:
	s_or_b64 exec, exec, s[6:7]
	s_and_saveexec_b64 s[6:7], s[4:5]
	s_cbranch_execz .LBB4_624
.LBB4_623:
	v_bfe_u32 v12, v13, 8, 3
	v_ffbh_u32_e32 v15, v12
	v_min_u32_e32 v15, 32, v15
	v_lshrrev_b16_e32 v14, 3, v11
	v_subrev_u32_e32 v16, 28, v15
	v_and_b32_e32 v14, 15, v14
	v_lshlrev_b32_e32 v11, v16, v11
	v_sub_u32_e32 v15, 29, v15
	v_and_b32_e32 v11, 7, v11
	v_cmp_eq_u16_e32 vcc, 0, v14
	v_cndmask_b32_e32 v11, v12, v11, vcc
	v_cndmask_b32_e32 v12, v14, v15, vcc
	v_lshlrev_b32_e32 v14, 16, v13
	v_mov_b32_e32 v15, 0x3b800000
	v_lshlrev_b32_e32 v11, 20, v11
	v_and_b32_e32 v14, 0x80000000, v14
	v_lshl_add_u32 v12, v12, 23, v15
	v_or3_b32 v12, v14, v12, v11
.LBB4_624:
	s_or_b64 exec, exec, s[6:7]
	s_nop 0
	v_mfma_f32_16x16x4f32 a[0:3], v10, v12, a[0:3]
	s_movk_i32 s4, 0xff
	v_and_b32_sdwa v11, v17, s4 dst_sel:DWORD dst_unused:UNUSED_PAD src0_sel:WORD_1 src1_sel:DWORD
	s_movk_i32 s4, 0x7f
	v_cmp_lt_i16_e32 vcc, s4, v11
	s_mov_b64 s[4:5], 0
                                        ; implicit-def: $sgpr10
	s_and_saveexec_b64 s[6:7], vcc
	s_xor_b64 s[6:7], exec, s[6:7]
	s_cbranch_execnz .LBB4_2673
; %bb.625:
	s_or_saveexec_b64 s[6:7], s[6:7]
	v_mov_b32_e32 v10, s10
	s_xor_b64 exec, exec, s[6:7]
	s_cbranch_execnz .LBB4_2676
.LBB4_626:
	s_or_b64 exec, exec, s[6:7]
	s_and_saveexec_b64 s[6:7], s[4:5]
	s_cbranch_execz .LBB4_628
.LBB4_627:
	v_bfe_u32 v10, v17, 16, 3
	v_ffbh_u32_e32 v14, v10
	v_min_u32_e32 v14, 32, v14
	v_lshrrev_b32_e32 v11, 19, v17
	v_subrev_u32_e32 v15, 28, v14
	v_and_b32_e32 v11, 15, v11
	v_lshlrev_b32_sdwa v15, v15, v17 dst_sel:DWORD dst_unused:UNUSED_PAD src0_sel:DWORD src1_sel:WORD_1
	v_bfe_u32 v12, v17, 19, 4
	v_sub_u32_e32 v14, 29, v14
	v_and_b32_e32 v15, 7, v15
	v_cmp_eq_u16_e32 vcc, 0, v11
	v_cndmask_b32_e32 v10, v10, v15, vcc
	v_cndmask_b32_e32 v11, v12, v14, vcc
	v_lshlrev_b32_e32 v12, 8, v17
	v_mov_b32_e32 v14, 0x3b800000
	v_lshlrev_b32_e32 v10, 20, v10
	v_and_b32_e32 v12, 0x80000000, v12
	v_lshl_add_u32 v11, v11, 23, v14
	v_or3_b32 v10, v12, v11, v10
.LBB4_628:
	s_or_b64 exec, exec, s[6:7]
	s_movk_i32 s4, 0xff
	v_and_b32_sdwa v11, v13, s4 dst_sel:DWORD dst_unused:UNUSED_PAD src0_sel:WORD_1 src1_sel:DWORD
	s_movk_i32 s4, 0x7f
	v_cmp_lt_i16_e32 vcc, s4, v11
	s_mov_b64 s[4:5], 0
                                        ; implicit-def: $sgpr10
	s_and_saveexec_b64 s[6:7], vcc
	s_xor_b64 s[6:7], exec, s[6:7]
	s_cbranch_execnz .LBB4_2677
; %bb.629:
	s_or_saveexec_b64 s[6:7], s[6:7]
	v_mov_b32_e32 v12, s10
	s_xor_b64 exec, exec, s[6:7]
	s_cbranch_execnz .LBB4_2680
.LBB4_630:
	s_or_b64 exec, exec, s[6:7]
	s_and_saveexec_b64 s[6:7], s[4:5]
	s_cbranch_execz .LBB4_632
.LBB4_631:
	v_bfe_u32 v11, v13, 16, 3
	v_ffbh_u32_e32 v15, v11
	v_min_u32_e32 v15, 32, v15
	v_lshrrev_b32_e32 v12, 19, v13
	v_subrev_u32_e32 v16, 28, v15
	v_and_b32_e32 v12, 15, v12
	v_lshlrev_b32_sdwa v16, v16, v13 dst_sel:DWORD dst_unused:UNUSED_PAD src0_sel:DWORD src1_sel:WORD_1
	v_bfe_u32 v14, v13, 19, 4
	v_sub_u32_e32 v15, 29, v15
	v_and_b32_e32 v16, 7, v16
	v_cmp_eq_u16_e32 vcc, 0, v12
	v_cndmask_b32_e32 v11, v11, v16, vcc
	v_cndmask_b32_e32 v12, v14, v15, vcc
	v_lshlrev_b32_e32 v14, 8, v13
	v_mov_b32_e32 v15, 0x3b800000
	v_lshlrev_b32_e32 v11, 20, v11
	v_and_b32_e32 v14, 0x80000000, v14
	v_lshl_add_u32 v12, v12, 23, v15
	v_or3_b32 v12, v14, v12, v11
.LBB4_632:
	s_or_b64 exec, exec, s[6:7]
	s_nop 0
	v_mfma_f32_16x16x4f32 a[0:3], v10, v12, a[0:3]
	s_movk_i32 s4, 0x7f
	v_cmp_gt_i16_sdwa s[6:7], v17, s4 src0_sel:BYTE_3 src1_sel:DWORD
	s_mov_b64 s[4:5], 0
                                        ; implicit-def: $sgpr10
	s_and_saveexec_b64 s[8:9], s[6:7]
	s_xor_b64 s[6:7], exec, s[8:9]
	s_cbranch_execnz .LBB4_2681
; %bb.633:
	s_or_saveexec_b64 s[6:7], s[6:7]
	v_mov_b32_e32 v10, s10
	s_xor_b64 exec, exec, s[6:7]
	s_cbranch_execnz .LBB4_2684
.LBB4_634:
	s_or_b64 exec, exec, s[6:7]
	s_and_saveexec_b64 s[6:7], s[4:5]
	s_cbranch_execz .LBB4_636
.LBB4_635:
	v_bfe_u32 v10, v17, 24, 3
	v_ffbh_u32_e32 v15, v10
	v_min_u32_e32 v15, 32, v15
	v_lshrrev_b32_e32 v12, 27, v17
	v_subrev_u32_e32 v16, 28, v15
	v_and_b32_e32 v12, 15, v12
	v_lshlrev_b32_sdwa v16, v16, v17 dst_sel:DWORD dst_unused:UNUSED_PAD src0_sel:DWORD src1_sel:BYTE_3
	v_bfe_u32 v14, v17, 27, 4
	v_sub_u32_e32 v15, 29, v15
	v_and_b32_e32 v16, 7, v16
	v_cmp_eq_u16_e32 vcc, 0, v12
	v_cndmask_b32_e32 v10, v10, v16, vcc
	v_cndmask_b32_e32 v12, v14, v15, vcc
	v_mov_b32_e32 v14, 0x3b800000
	v_and_b32_e32 v11, 0x80000000, v17
	v_lshlrev_b32_e32 v10, 20, v10
	v_lshl_add_u32 v12, v12, 23, v14
	v_or3_b32 v10, v11, v12, v10
.LBB4_636:
	s_or_b64 exec, exec, s[6:7]
	s_movk_i32 s4, 0x7f
	v_cmp_gt_i16_sdwa s[6:7], v13, s4 src0_sel:BYTE_3 src1_sel:DWORD
	s_mov_b64 s[4:5], 0
                                        ; implicit-def: $sgpr10
	s_and_saveexec_b64 s[8:9], s[6:7]
	s_xor_b64 s[6:7], exec, s[8:9]
	s_cbranch_execnz .LBB4_2685
; %bb.637:
	s_or_saveexec_b64 s[6:7], s[6:7]
	v_mov_b32_e32 v11, s10
	s_xor_b64 exec, exec, s[6:7]
	s_cbranch_execnz .LBB4_2688
.LBB4_638:
	s_or_b64 exec, exec, s[6:7]
	s_and_saveexec_b64 s[6:7], s[4:5]
	s_cbranch_execz .LBB4_640
.LBB4_639:
	v_bfe_u32 v11, v13, 24, 3
	v_ffbh_u32_e32 v16, v11
	v_min_u32_e32 v16, 32, v16
	v_lshrrev_b32_e32 v14, 27, v13
	v_subrev_u32_e32 v17, 28, v16
	v_and_b32_e32 v12, 0x80000000, v13
	v_and_b32_e32 v14, 15, v14
	v_bfe_u32 v15, v13, 27, 4
	v_lshlrev_b32_sdwa v13, v17, v13 dst_sel:DWORD dst_unused:UNUSED_PAD src0_sel:DWORD src1_sel:BYTE_3
	v_sub_u32_e32 v16, 29, v16
	v_and_b32_e32 v13, 7, v13
	v_cmp_eq_u16_e32 vcc, 0, v14
	v_cndmask_b32_e32 v11, v11, v13, vcc
	v_cndmask_b32_e32 v13, v15, v16, vcc
	v_mov_b32_e32 v14, 0x3b800000
	v_lshlrev_b32_e32 v11, 20, v11
	v_lshl_add_u32 v13, v13, 23, v14
	v_or3_b32 v11, v12, v13, v11
.LBB4_640:
	s_or_b64 exec, exec, s[6:7]
	s_nop 0
	v_mfma_f32_16x16x4f32 a[0:3], v10, v11, a[0:3]
	s_movk_i32 s4, 0x7f
	v_cmp_gt_i16_sdwa s[6:7], v6, s4 src0_sel:BYTE_0 src1_sel:DWORD
	s_mov_b64 s[4:5], 0
                                        ; implicit-def: $sgpr10
	s_and_saveexec_b64 s[8:9], s[6:7]
	s_xor_b64 s[6:7], exec, s[8:9]
	s_cbranch_execnz .LBB4_2689
; %bb.641:
	s_or_saveexec_b64 s[6:7], s[6:7]
	v_mov_b32_e32 v10, s10
	s_xor_b64 exec, exec, s[6:7]
	s_cbranch_execnz .LBB4_2692
.LBB4_642:
	s_or_b64 exec, exec, s[6:7]
	s_and_saveexec_b64 s[6:7], s[4:5]
	s_cbranch_execz .LBB4_644
.LBB4_643:
	v_and_b32_e32 v10, 7, v6
	v_ffbh_u32_e32 v12, v10
	v_min_u32_e32 v12, 32, v12
	v_lshrrev_b16_e32 v11, 3, v6
	v_subrev_u32_e32 v13, 28, v12
	v_and_b32_e32 v11, 15, v11
	v_lshlrev_b32_e32 v13, v13, v6
	v_sub_u32_e32 v12, 29, v12
	v_and_b32_e32 v13, 7, v13
	v_cmp_eq_u16_e32 vcc, 0, v11
	v_cndmask_b32_e32 v10, v10, v13, vcc
	v_cndmask_b32_e32 v11, v11, v12, vcc
	v_lshlrev_b32_e32 v12, 24, v6
	v_mov_b32_e32 v13, 0x3b800000
	v_lshlrev_b32_e32 v10, 20, v10
	v_and_b32_e32 v12, 0x80000000, v12
	v_lshl_add_u32 v11, v11, 23, v13
	v_or3_b32 v10, v12, v11, v10
.LBB4_644:
	s_or_b64 exec, exec, s[6:7]
	s_movk_i32 s4, 0x7f
	v_cmp_gt_i16_sdwa s[6:7], v2, s4 src0_sel:BYTE_0 src1_sel:DWORD
	s_mov_b64 s[4:5], 0
                                        ; implicit-def: $sgpr10
	s_and_saveexec_b64 s[8:9], s[6:7]
	s_xor_b64 s[6:7], exec, s[8:9]
	s_cbranch_execnz .LBB4_2693
; %bb.645:
	s_or_saveexec_b64 s[6:7], s[6:7]
	v_mov_b32_e32 v11, s10
	s_xor_b64 exec, exec, s[6:7]
	s_cbranch_execnz .LBB4_2696
.LBB4_646:
	s_or_b64 exec, exec, s[6:7]
	s_and_saveexec_b64 s[6:7], s[4:5]
	s_cbranch_execz .LBB4_648
.LBB4_647:
	v_and_b32_e32 v11, 7, v2
	v_ffbh_u32_e32 v13, v11
	v_min_u32_e32 v13, 32, v13
	v_lshrrev_b16_e32 v12, 3, v2
	v_subrev_u32_e32 v14, 28, v13
	v_and_b32_e32 v12, 15, v12
	v_lshlrev_b32_e32 v14, v14, v2
	v_sub_u32_e32 v13, 29, v13
	v_and_b32_e32 v14, 7, v14
	v_cmp_eq_u16_e32 vcc, 0, v12
	v_cndmask_b32_e32 v11, v11, v14, vcc
	v_cndmask_b32_e32 v12, v12, v13, vcc
	v_lshlrev_b32_e32 v13, 24, v2
	v_mov_b32_e32 v14, 0x3b800000
	v_lshlrev_b32_e32 v11, 20, v11
	v_and_b32_e32 v13, 0x80000000, v13
	v_lshl_add_u32 v12, v12, 23, v14
	v_or3_b32 v11, v13, v12, v11
.LBB4_648:
	s_or_b64 exec, exec, s[6:7]
	s_nop 0
	v_mfma_f32_16x16x4f32 a[0:3], v10, v11, a[0:3]
	v_lshrrev_b32_e32 v11, 8, v6
	s_movk_i32 s4, 0x7f
	v_cmp_gt_i16_sdwa s[6:7], v11, s4 src0_sel:BYTE_0 src1_sel:DWORD
	s_mov_b64 s[4:5], 0
                                        ; implicit-def: $sgpr10
	s_and_saveexec_b64 s[8:9], s[6:7]
	s_xor_b64 s[6:7], exec, s[8:9]
	s_cbranch_execnz .LBB4_2697
; %bb.649:
	s_or_saveexec_b64 s[6:7], s[6:7]
	v_mov_b32_e32 v10, s10
	s_xor_b64 exec, exec, s[6:7]
	s_cbranch_execnz .LBB4_2700
.LBB4_650:
	s_or_b64 exec, exec, s[6:7]
	s_and_saveexec_b64 s[6:7], s[4:5]
	s_cbranch_execz .LBB4_652
.LBB4_651:
	v_bfe_u32 v10, v6, 8, 3
	v_ffbh_u32_e32 v13, v10
	v_min_u32_e32 v13, 32, v13
	v_lshrrev_b16_e32 v12, 3, v11
	v_subrev_u32_e32 v14, 28, v13
	v_and_b32_e32 v12, 15, v12
	v_lshlrev_b32_e32 v11, v14, v11
	v_sub_u32_e32 v13, 29, v13
	v_and_b32_e32 v11, 7, v11
	v_cmp_eq_u16_e32 vcc, 0, v12
	v_cndmask_b32_e32 v10, v10, v11, vcc
	v_cndmask_b32_e32 v11, v12, v13, vcc
	v_lshlrev_b32_e32 v12, 16, v6
	v_mov_b32_e32 v13, 0x3b800000
	v_lshlrev_b32_e32 v10, 20, v10
	v_and_b32_e32 v12, 0x80000000, v12
	v_lshl_add_u32 v11, v11, 23, v13
	v_or3_b32 v10, v12, v11, v10
.LBB4_652:
	s_or_b64 exec, exec, s[6:7]
	v_lshrrev_b32_e32 v11, 8, v2
	s_movk_i32 s4, 0x7f
	v_cmp_gt_i16_sdwa s[6:7], v11, s4 src0_sel:BYTE_0 src1_sel:DWORD
	s_mov_b64 s[4:5], 0
                                        ; implicit-def: $sgpr10
	s_and_saveexec_b64 s[8:9], s[6:7]
	s_xor_b64 s[6:7], exec, s[8:9]
	s_cbranch_execnz .LBB4_2701
; %bb.653:
	s_or_saveexec_b64 s[6:7], s[6:7]
	v_mov_b32_e32 v12, s10
	s_xor_b64 exec, exec, s[6:7]
	s_cbranch_execnz .LBB4_2704
.LBB4_654:
	s_or_b64 exec, exec, s[6:7]
	s_and_saveexec_b64 s[6:7], s[4:5]
	s_cbranch_execz .LBB4_656
.LBB4_655:
	v_bfe_u32 v12, v2, 8, 3
	v_ffbh_u32_e32 v14, v12
	v_min_u32_e32 v14, 32, v14
	v_lshrrev_b16_e32 v13, 3, v11
	v_subrev_u32_e32 v15, 28, v14
	v_and_b32_e32 v13, 15, v13
	v_lshlrev_b32_e32 v11, v15, v11
	v_sub_u32_e32 v14, 29, v14
	v_and_b32_e32 v11, 7, v11
	v_cmp_eq_u16_e32 vcc, 0, v13
	v_cndmask_b32_e32 v11, v12, v11, vcc
	v_cndmask_b32_e32 v12, v13, v14, vcc
	v_lshlrev_b32_e32 v13, 16, v2
	v_mov_b32_e32 v14, 0x3b800000
	v_lshlrev_b32_e32 v11, 20, v11
	v_and_b32_e32 v13, 0x80000000, v13
	v_lshl_add_u32 v12, v12, 23, v14
	v_or3_b32 v12, v13, v12, v11
.LBB4_656:
	s_or_b64 exec, exec, s[6:7]
	s_nop 0
	v_mfma_f32_16x16x4f32 a[0:3], v10, v12, a[0:3]
	s_movk_i32 s4, 0xff
	v_and_b32_sdwa v11, v6, s4 dst_sel:DWORD dst_unused:UNUSED_PAD src0_sel:WORD_1 src1_sel:DWORD
	s_movk_i32 s4, 0x7f
	v_cmp_lt_i16_e32 vcc, s4, v11
	s_mov_b64 s[4:5], 0
                                        ; implicit-def: $sgpr10
	s_and_saveexec_b64 s[6:7], vcc
	s_xor_b64 s[6:7], exec, s[6:7]
	s_cbranch_execnz .LBB4_2705
; %bb.657:
	s_or_saveexec_b64 s[6:7], s[6:7]
	v_mov_b32_e32 v10, s10
	s_xor_b64 exec, exec, s[6:7]
	s_cbranch_execnz .LBB4_2708
.LBB4_658:
	s_or_b64 exec, exec, s[6:7]
	s_and_saveexec_b64 s[6:7], s[4:5]
	s_cbranch_execz .LBB4_660
.LBB4_659:
	v_bfe_u32 v10, v6, 16, 3
	v_ffbh_u32_e32 v13, v10
	v_min_u32_e32 v13, 32, v13
	v_lshrrev_b32_e32 v11, 19, v6
	v_subrev_u32_e32 v14, 28, v13
	v_and_b32_e32 v11, 15, v11
	v_lshlrev_b32_sdwa v14, v14, v6 dst_sel:DWORD dst_unused:UNUSED_PAD src0_sel:DWORD src1_sel:WORD_1
	v_bfe_u32 v12, v6, 19, 4
	v_sub_u32_e32 v13, 29, v13
	v_and_b32_e32 v14, 7, v14
	v_cmp_eq_u16_e32 vcc, 0, v11
	v_cndmask_b32_e32 v10, v10, v14, vcc
	v_cndmask_b32_e32 v11, v12, v13, vcc
	v_lshlrev_b32_e32 v12, 8, v6
	v_mov_b32_e32 v13, 0x3b800000
	v_lshlrev_b32_e32 v10, 20, v10
	v_and_b32_e32 v12, 0x80000000, v12
	v_lshl_add_u32 v11, v11, 23, v13
	v_or3_b32 v10, v12, v11, v10
.LBB4_660:
	s_or_b64 exec, exec, s[6:7]
	s_movk_i32 s4, 0xff
	v_and_b32_sdwa v11, v2, s4 dst_sel:DWORD dst_unused:UNUSED_PAD src0_sel:WORD_1 src1_sel:DWORD
	s_movk_i32 s4, 0x7f
	v_cmp_lt_i16_e32 vcc, s4, v11
	s_mov_b64 s[4:5], 0
                                        ; implicit-def: $sgpr10
	s_and_saveexec_b64 s[6:7], vcc
	s_xor_b64 s[6:7], exec, s[6:7]
	s_cbranch_execnz .LBB4_2709
; %bb.661:
	s_or_saveexec_b64 s[6:7], s[6:7]
	v_mov_b32_e32 v12, s10
	s_xor_b64 exec, exec, s[6:7]
	s_cbranch_execnz .LBB4_2712
.LBB4_662:
	s_or_b64 exec, exec, s[6:7]
	s_and_saveexec_b64 s[6:7], s[4:5]
	s_cbranch_execz .LBB4_664
.LBB4_663:
	v_bfe_u32 v11, v2, 16, 3
	v_ffbh_u32_e32 v14, v11
	v_min_u32_e32 v14, 32, v14
	v_lshrrev_b32_e32 v12, 19, v2
	v_subrev_u32_e32 v15, 28, v14
	v_and_b32_e32 v12, 15, v12
	v_lshlrev_b32_sdwa v15, v15, v2 dst_sel:DWORD dst_unused:UNUSED_PAD src0_sel:DWORD src1_sel:WORD_1
	v_bfe_u32 v13, v2, 19, 4
	v_sub_u32_e32 v14, 29, v14
	v_and_b32_e32 v15, 7, v15
	v_cmp_eq_u16_e32 vcc, 0, v12
	v_cndmask_b32_e32 v11, v11, v15, vcc
	v_cndmask_b32_e32 v12, v13, v14, vcc
	v_lshlrev_b32_e32 v13, 8, v2
	v_mov_b32_e32 v14, 0x3b800000
	v_lshlrev_b32_e32 v11, 20, v11
	v_and_b32_e32 v13, 0x80000000, v13
	v_lshl_add_u32 v12, v12, 23, v14
	v_or3_b32 v12, v13, v12, v11
.LBB4_664:
	s_or_b64 exec, exec, s[6:7]
	s_nop 0
	v_mfma_f32_16x16x4f32 a[0:3], v10, v12, a[0:3]
	s_movk_i32 s4, 0x7f
	v_cmp_gt_i16_sdwa s[6:7], v6, s4 src0_sel:BYTE_3 src1_sel:DWORD
	s_mov_b64 s[4:5], 0
                                        ; implicit-def: $sgpr10
	s_and_saveexec_b64 s[8:9], s[6:7]
	s_xor_b64 s[6:7], exec, s[8:9]
	s_cbranch_execnz .LBB4_2713
; %bb.665:
	s_or_saveexec_b64 s[6:7], s[6:7]
	v_mov_b32_e32 v10, s10
	s_xor_b64 exec, exec, s[6:7]
	s_cbranch_execnz .LBB4_2716
.LBB4_666:
	s_or_b64 exec, exec, s[6:7]
	s_and_saveexec_b64 s[6:7], s[4:5]
	s_cbranch_execz .LBB4_668
.LBB4_667:
	v_bfe_u32 v10, v6, 24, 3
	v_ffbh_u32_e32 v14, v10
	v_min_u32_e32 v14, 32, v14
	v_lshrrev_b32_e32 v12, 27, v6
	v_subrev_u32_e32 v15, 28, v14
	v_and_b32_e32 v11, 0x80000000, v6
	v_and_b32_e32 v12, 15, v12
	v_bfe_u32 v13, v6, 27, 4
	v_lshlrev_b32_sdwa v6, v15, v6 dst_sel:DWORD dst_unused:UNUSED_PAD src0_sel:DWORD src1_sel:BYTE_3
	v_sub_u32_e32 v14, 29, v14
	v_and_b32_e32 v6, 7, v6
	v_cmp_eq_u16_e32 vcc, 0, v12
	v_cndmask_b32_e32 v6, v10, v6, vcc
	v_cndmask_b32_e32 v10, v13, v14, vcc
	v_mov_b32_e32 v12, 0x3b800000
	v_lshlrev_b32_e32 v6, 20, v6
	v_lshl_add_u32 v10, v10, 23, v12
	v_or3_b32 v10, v11, v10, v6
.LBB4_668:
	s_or_b64 exec, exec, s[6:7]
	s_movk_i32 s4, 0x7f
	v_cmp_gt_i16_sdwa s[6:7], v2, s4 src0_sel:BYTE_3 src1_sel:DWORD
	s_mov_b64 s[4:5], 0
                                        ; implicit-def: $sgpr10
	s_and_saveexec_b64 s[8:9], s[6:7]
	s_xor_b64 s[6:7], exec, s[8:9]
	s_cbranch_execnz .LBB4_2717
; %bb.669:
	s_or_saveexec_b64 s[6:7], s[6:7]
	v_mov_b32_e32 v6, s10
	s_xor_b64 exec, exec, s[6:7]
	s_cbranch_execnz .LBB4_2720
.LBB4_670:
	s_or_b64 exec, exec, s[6:7]
	s_and_saveexec_b64 s[6:7], s[4:5]
	s_cbranch_execz .LBB4_672
.LBB4_671:
	v_bfe_u32 v6, v2, 24, 3
	v_ffbh_u32_e32 v14, v6
	v_min_u32_e32 v14, 32, v14
	v_lshrrev_b32_e32 v12, 27, v2
	v_subrev_u32_e32 v15, 28, v14
	v_and_b32_e32 v11, 0x80000000, v2
	v_and_b32_e32 v12, 15, v12
	v_bfe_u32 v13, v2, 27, 4
	v_lshlrev_b32_sdwa v2, v15, v2 dst_sel:DWORD dst_unused:UNUSED_PAD src0_sel:DWORD src1_sel:BYTE_3
	v_sub_u32_e32 v14, 29, v14
	v_and_b32_e32 v2, 7, v2
	v_cmp_eq_u16_e32 vcc, 0, v12
	v_cndmask_b32_e32 v2, v6, v2, vcc
	v_cndmask_b32_e32 v6, v13, v14, vcc
	v_mov_b32_e32 v12, 0x3b800000
	v_lshlrev_b32_e32 v2, 20, v2
	v_lshl_add_u32 v6, v6, 23, v12
	v_or3_b32 v6, v11, v6, v2
.LBB4_672:
	s_or_b64 exec, exec, s[6:7]
	s_nop 0
	v_mfma_f32_16x16x4f32 a[0:3], v10, v6, a[0:3]
	s_movk_i32 s4, 0x7f
	v_cmp_gt_i16_sdwa s[6:7], v7, s4 src0_sel:BYTE_0 src1_sel:DWORD
	s_mov_b64 s[4:5], 0
                                        ; implicit-def: $sgpr10
	s_and_saveexec_b64 s[8:9], s[6:7]
	s_xor_b64 s[6:7], exec, s[8:9]
	s_cbranch_execnz .LBB4_2721
; %bb.673:
	s_or_saveexec_b64 s[6:7], s[6:7]
	v_mov_b32_e32 v2, s10
	s_xor_b64 exec, exec, s[6:7]
	s_cbranch_execnz .LBB4_2724
.LBB4_674:
	s_or_b64 exec, exec, s[6:7]
	s_and_saveexec_b64 s[6:7], s[4:5]
	s_cbranch_execz .LBB4_676
.LBB4_675:
	v_and_b32_e32 v2, 7, v7
	v_ffbh_u32_e32 v10, v2
	v_min_u32_e32 v10, 32, v10
	v_lshrrev_b16_e32 v6, 3, v7
	v_subrev_u32_e32 v11, 28, v10
	v_and_b32_e32 v6, 15, v6
	v_lshlrev_b32_e32 v11, v11, v7
	v_sub_u32_e32 v10, 29, v10
	v_and_b32_e32 v11, 7, v11
	v_cmp_eq_u16_e32 vcc, 0, v6
	v_cndmask_b32_e32 v2, v2, v11, vcc
	v_cndmask_b32_e32 v6, v6, v10, vcc
	v_lshlrev_b32_e32 v10, 24, v7
	v_mov_b32_e32 v11, 0x3b800000
	v_lshlrev_b32_e32 v2, 20, v2
	v_and_b32_e32 v10, 0x80000000, v10
	v_lshl_add_u32 v6, v6, 23, v11
	v_or3_b32 v2, v10, v6, v2
.LBB4_676:
	s_or_b64 exec, exec, s[6:7]
	s_movk_i32 s4, 0x7f
	v_cmp_gt_i16_sdwa s[6:7], v3, s4 src0_sel:BYTE_0 src1_sel:DWORD
	s_mov_b64 s[4:5], 0
                                        ; implicit-def: $sgpr10
	s_and_saveexec_b64 s[8:9], s[6:7]
	s_xor_b64 s[6:7], exec, s[8:9]
	s_cbranch_execnz .LBB4_2725
; %bb.677:
	s_or_saveexec_b64 s[6:7], s[6:7]
	v_mov_b32_e32 v6, s10
	s_xor_b64 exec, exec, s[6:7]
	s_cbranch_execnz .LBB4_2728
.LBB4_678:
	s_or_b64 exec, exec, s[6:7]
	s_and_saveexec_b64 s[6:7], s[4:5]
	s_cbranch_execz .LBB4_680
.LBB4_679:
	v_and_b32_e32 v6, 7, v3
	v_ffbh_u32_e32 v11, v6
	v_min_u32_e32 v11, 32, v11
	v_lshrrev_b16_e32 v10, 3, v3
	v_subrev_u32_e32 v12, 28, v11
	v_and_b32_e32 v10, 15, v10
	v_lshlrev_b32_e32 v12, v12, v3
	v_sub_u32_e32 v11, 29, v11
	v_and_b32_e32 v12, 7, v12
	v_cmp_eq_u16_e32 vcc, 0, v10
	v_cndmask_b32_e32 v6, v6, v12, vcc
	v_cndmask_b32_e32 v10, v10, v11, vcc
	v_lshlrev_b32_e32 v11, 24, v3
	v_mov_b32_e32 v12, 0x3b800000
	v_lshlrev_b32_e32 v6, 20, v6
	v_and_b32_e32 v11, 0x80000000, v11
	v_lshl_add_u32 v10, v10, 23, v12
	v_or3_b32 v6, v11, v10, v6
.LBB4_680:
	s_or_b64 exec, exec, s[6:7]
	s_nop 0
	v_mfma_f32_16x16x4f32 a[0:3], v2, v6, a[0:3]
	v_lshrrev_b32_e32 v6, 8, v7
	s_movk_i32 s4, 0x7f
	v_cmp_gt_i16_sdwa s[6:7], v6, s4 src0_sel:BYTE_0 src1_sel:DWORD
	s_mov_b64 s[4:5], 0
                                        ; implicit-def: $sgpr10
	s_and_saveexec_b64 s[8:9], s[6:7]
	s_xor_b64 s[6:7], exec, s[8:9]
	s_cbranch_execnz .LBB4_2729
; %bb.681:
	s_or_saveexec_b64 s[6:7], s[6:7]
	v_mov_b32_e32 v2, s10
	s_xor_b64 exec, exec, s[6:7]
	s_cbranch_execnz .LBB4_2732
.LBB4_682:
	s_or_b64 exec, exec, s[6:7]
	s_and_saveexec_b64 s[6:7], s[4:5]
	s_cbranch_execz .LBB4_684
.LBB4_683:
	v_bfe_u32 v2, v7, 8, 3
	v_ffbh_u32_e32 v11, v2
	v_min_u32_e32 v11, 32, v11
	v_lshrrev_b16_e32 v10, 3, v6
	v_subrev_u32_e32 v12, 28, v11
	v_and_b32_e32 v10, 15, v10
	v_lshlrev_b32_e32 v6, v12, v6
	v_sub_u32_e32 v11, 29, v11
	v_and_b32_e32 v6, 7, v6
	v_cmp_eq_u16_e32 vcc, 0, v10
	v_cndmask_b32_e32 v2, v2, v6, vcc
	v_cndmask_b32_e32 v6, v10, v11, vcc
	v_lshlrev_b32_e32 v10, 16, v7
	v_mov_b32_e32 v11, 0x3b800000
	v_lshlrev_b32_e32 v2, 20, v2
	v_and_b32_e32 v10, 0x80000000, v10
	v_lshl_add_u32 v6, v6, 23, v11
	v_or3_b32 v2, v10, v6, v2
.LBB4_684:
	s_or_b64 exec, exec, s[6:7]
	v_lshrrev_b32_e32 v6, 8, v3
	s_movk_i32 s4, 0x7f
	v_cmp_gt_i16_sdwa s[6:7], v6, s4 src0_sel:BYTE_0 src1_sel:DWORD
	s_mov_b64 s[4:5], 0
                                        ; implicit-def: $sgpr10
	s_and_saveexec_b64 s[8:9], s[6:7]
	s_xor_b64 s[6:7], exec, s[8:9]
	s_cbranch_execnz .LBB4_2733
; %bb.685:
	s_or_saveexec_b64 s[6:7], s[6:7]
	v_mov_b32_e32 v10, s10
	s_xor_b64 exec, exec, s[6:7]
	s_cbranch_execnz .LBB4_2736
.LBB4_686:
	s_or_b64 exec, exec, s[6:7]
	s_and_saveexec_b64 s[6:7], s[4:5]
	s_cbranch_execz .LBB4_688
.LBB4_687:
	v_bfe_u32 v10, v3, 8, 3
	v_ffbh_u32_e32 v12, v10
	v_min_u32_e32 v12, 32, v12
	v_lshrrev_b16_e32 v11, 3, v6
	v_subrev_u32_e32 v13, 28, v12
	v_and_b32_e32 v11, 15, v11
	v_lshlrev_b32_e32 v6, v13, v6
	v_sub_u32_e32 v12, 29, v12
	v_and_b32_e32 v6, 7, v6
	v_cmp_eq_u16_e32 vcc, 0, v11
	v_cndmask_b32_e32 v6, v10, v6, vcc
	v_cndmask_b32_e32 v10, v11, v12, vcc
	v_lshlrev_b32_e32 v11, 16, v3
	v_mov_b32_e32 v12, 0x3b800000
	v_lshlrev_b32_e32 v6, 20, v6
	v_and_b32_e32 v11, 0x80000000, v11
	v_lshl_add_u32 v10, v10, 23, v12
	v_or3_b32 v10, v11, v10, v6
.LBB4_688:
	s_or_b64 exec, exec, s[6:7]
	s_nop 0
	v_mfma_f32_16x16x4f32 a[0:3], v2, v10, a[0:3]
	s_movk_i32 s4, 0xff
	v_and_b32_sdwa v6, v7, s4 dst_sel:DWORD dst_unused:UNUSED_PAD src0_sel:WORD_1 src1_sel:DWORD
	s_movk_i32 s4, 0x7f
	v_cmp_lt_i16_e32 vcc, s4, v6
	s_mov_b64 s[4:5], 0
                                        ; implicit-def: $sgpr10
	s_and_saveexec_b64 s[6:7], vcc
	s_xor_b64 s[6:7], exec, s[6:7]
	s_cbranch_execnz .LBB4_2737
; %bb.689:
	s_or_saveexec_b64 s[6:7], s[6:7]
	v_mov_b32_e32 v2, s10
	s_xor_b64 exec, exec, s[6:7]
	s_cbranch_execnz .LBB4_2740
.LBB4_690:
	s_or_b64 exec, exec, s[6:7]
	s_and_saveexec_b64 s[6:7], s[4:5]
	s_cbranch_execz .LBB4_692
.LBB4_691:
	v_bfe_u32 v2, v7, 16, 3
	v_ffbh_u32_e32 v11, v2
	v_min_u32_e32 v11, 32, v11
	v_lshrrev_b32_e32 v6, 19, v7
	v_subrev_u32_e32 v12, 28, v11
	v_and_b32_e32 v6, 15, v6
	v_lshlrev_b32_sdwa v12, v12, v7 dst_sel:DWORD dst_unused:UNUSED_PAD src0_sel:DWORD src1_sel:WORD_1
	v_bfe_u32 v10, v7, 19, 4
	v_sub_u32_e32 v11, 29, v11
	v_and_b32_e32 v12, 7, v12
	v_cmp_eq_u16_e32 vcc, 0, v6
	v_cndmask_b32_e32 v2, v2, v12, vcc
	v_cndmask_b32_e32 v6, v10, v11, vcc
	v_lshlrev_b32_e32 v10, 8, v7
	v_mov_b32_e32 v11, 0x3b800000
	v_lshlrev_b32_e32 v2, 20, v2
	v_and_b32_e32 v10, 0x80000000, v10
	v_lshl_add_u32 v6, v6, 23, v11
	v_or3_b32 v2, v10, v6, v2
.LBB4_692:
	s_or_b64 exec, exec, s[6:7]
	s_movk_i32 s4, 0xff
	v_and_b32_sdwa v6, v3, s4 dst_sel:DWORD dst_unused:UNUSED_PAD src0_sel:WORD_1 src1_sel:DWORD
	s_movk_i32 s4, 0x7f
	v_cmp_lt_i16_e32 vcc, s4, v6
	s_mov_b64 s[4:5], 0
                                        ; implicit-def: $sgpr10
	s_and_saveexec_b64 s[6:7], vcc
	s_xor_b64 s[6:7], exec, s[6:7]
	s_cbranch_execnz .LBB4_2741
; %bb.693:
	s_or_saveexec_b64 s[6:7], s[6:7]
	v_mov_b32_e32 v10, s10
	s_xor_b64 exec, exec, s[6:7]
	s_cbranch_execnz .LBB4_2744
.LBB4_694:
	s_or_b64 exec, exec, s[6:7]
	s_and_saveexec_b64 s[6:7], s[4:5]
	s_cbranch_execz .LBB4_696
.LBB4_695:
	v_bfe_u32 v6, v3, 16, 3
	v_ffbh_u32_e32 v12, v6
	v_min_u32_e32 v12, 32, v12
	v_lshrrev_b32_e32 v10, 19, v3
	v_subrev_u32_e32 v13, 28, v12
	v_and_b32_e32 v10, 15, v10
	v_lshlrev_b32_sdwa v13, v13, v3 dst_sel:DWORD dst_unused:UNUSED_PAD src0_sel:DWORD src1_sel:WORD_1
	v_bfe_u32 v11, v3, 19, 4
	v_sub_u32_e32 v12, 29, v12
	v_and_b32_e32 v13, 7, v13
	v_cmp_eq_u16_e32 vcc, 0, v10
	v_cndmask_b32_e32 v6, v6, v13, vcc
	v_cndmask_b32_e32 v10, v11, v12, vcc
	v_lshlrev_b32_e32 v11, 8, v3
	v_mov_b32_e32 v12, 0x3b800000
	v_lshlrev_b32_e32 v6, 20, v6
	v_and_b32_e32 v11, 0x80000000, v11
	v_lshl_add_u32 v10, v10, 23, v12
	v_or3_b32 v10, v11, v10, v6
.LBB4_696:
	s_or_b64 exec, exec, s[6:7]
	s_nop 0
	v_mfma_f32_16x16x4f32 a[0:3], v2, v10, a[0:3]
	s_movk_i32 s4, 0x7f
	v_cmp_gt_i16_sdwa s[6:7], v7, s4 src0_sel:BYTE_3 src1_sel:DWORD
	s_mov_b64 s[4:5], 0
                                        ; implicit-def: $sgpr10
	s_and_saveexec_b64 s[8:9], s[6:7]
	s_xor_b64 s[6:7], exec, s[8:9]
	s_cbranch_execnz .LBB4_2745
; %bb.697:
	s_or_saveexec_b64 s[6:7], s[6:7]
	v_mov_b32_e32 v2, s10
	s_xor_b64 exec, exec, s[6:7]
	s_cbranch_execnz .LBB4_2748
.LBB4_698:
	s_or_b64 exec, exec, s[6:7]
	s_and_saveexec_b64 s[6:7], s[4:5]
	s_cbranch_execz .LBB4_700
.LBB4_699:
	v_bfe_u32 v2, v7, 24, 3
	v_ffbh_u32_e32 v12, v2
	v_min_u32_e32 v12, 32, v12
	v_lshrrev_b32_e32 v10, 27, v7
	v_subrev_u32_e32 v13, 28, v12
	v_and_b32_e32 v6, 0x80000000, v7
	v_and_b32_e32 v10, 15, v10
	v_bfe_u32 v11, v7, 27, 4
	v_lshlrev_b32_sdwa v7, v13, v7 dst_sel:DWORD dst_unused:UNUSED_PAD src0_sel:DWORD src1_sel:BYTE_3
	v_sub_u32_e32 v12, 29, v12
	v_and_b32_e32 v7, 7, v7
	v_cmp_eq_u16_e32 vcc, 0, v10
	v_cndmask_b32_e32 v2, v2, v7, vcc
	v_cndmask_b32_e32 v7, v11, v12, vcc
	v_mov_b32_e32 v10, 0x3b800000
	v_lshlrev_b32_e32 v2, 20, v2
	v_lshl_add_u32 v7, v7, 23, v10
	v_or3_b32 v2, v6, v7, v2
.LBB4_700:
	s_or_b64 exec, exec, s[6:7]
	s_movk_i32 s4, 0x7f
	v_cmp_gt_i16_sdwa s[6:7], v3, s4 src0_sel:BYTE_3 src1_sel:DWORD
	s_mov_b64 s[4:5], 0
                                        ; implicit-def: $sgpr10
	s_and_saveexec_b64 s[8:9], s[6:7]
	s_xor_b64 s[6:7], exec, s[8:9]
	s_cbranch_execnz .LBB4_2749
; %bb.701:
	s_or_saveexec_b64 s[6:7], s[6:7]
	v_mov_b32_e32 v6, s10
	s_xor_b64 exec, exec, s[6:7]
	s_cbranch_execnz .LBB4_2752
.LBB4_702:
	s_or_b64 exec, exec, s[6:7]
	s_and_saveexec_b64 s[6:7], s[4:5]
	s_cbranch_execz .LBB4_704
.LBB4_703:
	v_bfe_u32 v6, v3, 24, 3
	v_ffbh_u32_e32 v12, v6
	v_min_u32_e32 v12, 32, v12
	v_lshrrev_b32_e32 v10, 27, v3
	v_subrev_u32_e32 v13, 28, v12
	v_and_b32_e32 v7, 0x80000000, v3
	v_and_b32_e32 v10, 15, v10
	v_bfe_u32 v11, v3, 27, 4
	v_lshlrev_b32_sdwa v3, v13, v3 dst_sel:DWORD dst_unused:UNUSED_PAD src0_sel:DWORD src1_sel:BYTE_3
	v_sub_u32_e32 v12, 29, v12
	v_and_b32_e32 v3, 7, v3
	v_cmp_eq_u16_e32 vcc, 0, v10
	v_cndmask_b32_e32 v3, v6, v3, vcc
	v_cndmask_b32_e32 v6, v11, v12, vcc
	v_mov_b32_e32 v10, 0x3b800000
	v_lshlrev_b32_e32 v3, 20, v3
	v_lshl_add_u32 v6, v6, 23, v10
	v_or3_b32 v6, v7, v6, v3
.LBB4_704:
	s_or_b64 exec, exec, s[6:7]
	s_nop 0
	v_mfma_f32_16x16x4f32 a[0:3], v2, v6, a[0:3]
	s_movk_i32 s4, 0x7f
	v_cmp_gt_i16_sdwa s[6:7], v8, s4 src0_sel:BYTE_0 src1_sel:DWORD
	s_mov_b64 s[4:5], 0
                                        ; implicit-def: $sgpr10
	s_and_saveexec_b64 s[8:9], s[6:7]
	s_xor_b64 s[6:7], exec, s[8:9]
	s_cbranch_execnz .LBB4_2753
; %bb.705:
	s_or_saveexec_b64 s[6:7], s[6:7]
	v_mov_b32_e32 v2, s10
	s_xor_b64 exec, exec, s[6:7]
	s_cbranch_execnz .LBB4_2756
.LBB4_706:
	s_or_b64 exec, exec, s[6:7]
	s_and_saveexec_b64 s[6:7], s[4:5]
	s_cbranch_execz .LBB4_708
.LBB4_707:
	v_and_b32_e32 v2, 7, v8
	v_ffbh_u32_e32 v6, v2
	v_min_u32_e32 v6, 32, v6
	v_lshrrev_b16_e32 v3, 3, v8
	v_subrev_u32_e32 v7, 28, v6
	v_and_b32_e32 v3, 15, v3
	v_lshlrev_b32_e32 v7, v7, v8
	v_sub_u32_e32 v6, 29, v6
	v_and_b32_e32 v7, 7, v7
	v_cmp_eq_u16_e32 vcc, 0, v3
	v_cndmask_b32_e32 v2, v2, v7, vcc
	v_cndmask_b32_e32 v3, v3, v6, vcc
	v_lshlrev_b32_e32 v6, 24, v8
	v_mov_b32_e32 v7, 0x3b800000
	v_lshlrev_b32_e32 v2, 20, v2
	v_and_b32_e32 v6, 0x80000000, v6
	v_lshl_add_u32 v3, v3, 23, v7
	v_or3_b32 v2, v6, v3, v2
.LBB4_708:
	s_or_b64 exec, exec, s[6:7]
	s_movk_i32 s4, 0x7f
	v_cmp_gt_i16_sdwa s[6:7], v4, s4 src0_sel:BYTE_0 src1_sel:DWORD
	s_mov_b64 s[4:5], 0
                                        ; implicit-def: $sgpr10
	s_and_saveexec_b64 s[8:9], s[6:7]
	s_xor_b64 s[6:7], exec, s[8:9]
	s_cbranch_execnz .LBB4_2757
; %bb.709:
	s_or_saveexec_b64 s[6:7], s[6:7]
	v_mov_b32_e32 v3, s10
	s_xor_b64 exec, exec, s[6:7]
	s_cbranch_execnz .LBB4_2760
.LBB4_710:
	s_or_b64 exec, exec, s[6:7]
	s_and_saveexec_b64 s[6:7], s[4:5]
	s_cbranch_execz .LBB4_712
.LBB4_711:
	v_and_b32_e32 v3, 7, v4
	v_ffbh_u32_e32 v7, v3
	v_min_u32_e32 v7, 32, v7
	v_lshrrev_b16_e32 v6, 3, v4
	v_subrev_u32_e32 v10, 28, v7
	v_and_b32_e32 v6, 15, v6
	v_lshlrev_b32_e32 v10, v10, v4
	v_sub_u32_e32 v7, 29, v7
	v_and_b32_e32 v10, 7, v10
	v_cmp_eq_u16_e32 vcc, 0, v6
	v_cndmask_b32_e32 v3, v3, v10, vcc
	v_cndmask_b32_e32 v6, v6, v7, vcc
	v_lshlrev_b32_e32 v7, 24, v4
	v_mov_b32_e32 v10, 0x3b800000
	v_lshlrev_b32_e32 v3, 20, v3
	v_and_b32_e32 v7, 0x80000000, v7
	v_lshl_add_u32 v6, v6, 23, v10
	v_or3_b32 v3, v7, v6, v3
.LBB4_712:
	s_or_b64 exec, exec, s[6:7]
	s_nop 0
	v_mfma_f32_16x16x4f32 a[0:3], v2, v3, a[0:3]
	v_lshrrev_b32_e32 v3, 8, v8
	s_movk_i32 s4, 0x7f
	v_cmp_gt_i16_sdwa s[6:7], v3, s4 src0_sel:BYTE_0 src1_sel:DWORD
	s_mov_b64 s[4:5], 0
                                        ; implicit-def: $sgpr10
	s_and_saveexec_b64 s[8:9], s[6:7]
	s_xor_b64 s[6:7], exec, s[8:9]
	s_cbranch_execnz .LBB4_2761
; %bb.713:
	s_or_saveexec_b64 s[6:7], s[6:7]
	v_mov_b32_e32 v2, s10
	s_xor_b64 exec, exec, s[6:7]
	s_cbranch_execnz .LBB4_2764
.LBB4_714:
	s_or_b64 exec, exec, s[6:7]
	s_and_saveexec_b64 s[6:7], s[4:5]
	s_cbranch_execz .LBB4_716
.LBB4_715:
	v_bfe_u32 v2, v8, 8, 3
	v_ffbh_u32_e32 v7, v2
	v_min_u32_e32 v7, 32, v7
	v_lshrrev_b16_e32 v6, 3, v3
	v_subrev_u32_e32 v10, 28, v7
	v_and_b32_e32 v6, 15, v6
	v_lshlrev_b32_e32 v3, v10, v3
	v_sub_u32_e32 v7, 29, v7
	v_and_b32_e32 v3, 7, v3
	v_cmp_eq_u16_e32 vcc, 0, v6
	v_cndmask_b32_e32 v2, v2, v3, vcc
	v_cndmask_b32_e32 v3, v6, v7, vcc
	v_lshlrev_b32_e32 v6, 16, v8
	v_mov_b32_e32 v7, 0x3b800000
	v_lshlrev_b32_e32 v2, 20, v2
	v_and_b32_e32 v6, 0x80000000, v6
	v_lshl_add_u32 v3, v3, 23, v7
	v_or3_b32 v2, v6, v3, v2
.LBB4_716:
	s_or_b64 exec, exec, s[6:7]
	v_lshrrev_b32_e32 v3, 8, v4
	s_movk_i32 s4, 0x7f
	v_cmp_gt_i16_sdwa s[6:7], v3, s4 src0_sel:BYTE_0 src1_sel:DWORD
	s_mov_b64 s[4:5], 0
                                        ; implicit-def: $sgpr10
	s_and_saveexec_b64 s[8:9], s[6:7]
	s_xor_b64 s[6:7], exec, s[8:9]
	s_cbranch_execnz .LBB4_2765
; %bb.717:
	s_or_saveexec_b64 s[6:7], s[6:7]
	v_mov_b32_e32 v6, s10
	s_xor_b64 exec, exec, s[6:7]
	s_cbranch_execnz .LBB4_2768
.LBB4_718:
	s_or_b64 exec, exec, s[6:7]
	s_and_saveexec_b64 s[6:7], s[4:5]
	s_cbranch_execz .LBB4_720
.LBB4_719:
	v_bfe_u32 v6, v4, 8, 3
	v_ffbh_u32_e32 v10, v6
	v_min_u32_e32 v10, 32, v10
	v_lshrrev_b16_e32 v7, 3, v3
	v_subrev_u32_e32 v11, 28, v10
	v_and_b32_e32 v7, 15, v7
	v_lshlrev_b32_e32 v3, v11, v3
	v_sub_u32_e32 v10, 29, v10
	v_and_b32_e32 v3, 7, v3
	v_cmp_eq_u16_e32 vcc, 0, v7
	v_cndmask_b32_e32 v3, v6, v3, vcc
	v_cndmask_b32_e32 v6, v7, v10, vcc
	v_lshlrev_b32_e32 v7, 16, v4
	v_mov_b32_e32 v10, 0x3b800000
	v_lshlrev_b32_e32 v3, 20, v3
	v_and_b32_e32 v7, 0x80000000, v7
	v_lshl_add_u32 v6, v6, 23, v10
	v_or3_b32 v6, v7, v6, v3
.LBB4_720:
	s_or_b64 exec, exec, s[6:7]
	s_nop 0
	v_mfma_f32_16x16x4f32 a[0:3], v2, v6, a[0:3]
	s_movk_i32 s4, 0xff
	v_and_b32_sdwa v3, v8, s4 dst_sel:DWORD dst_unused:UNUSED_PAD src0_sel:WORD_1 src1_sel:DWORD
	s_movk_i32 s4, 0x7f
	v_cmp_lt_i16_e32 vcc, s4, v3
	s_mov_b64 s[4:5], 0
                                        ; implicit-def: $sgpr10
	s_and_saveexec_b64 s[6:7], vcc
	s_xor_b64 s[6:7], exec, s[6:7]
	s_cbranch_execnz .LBB4_2769
; %bb.721:
	s_or_saveexec_b64 s[6:7], s[6:7]
	v_mov_b32_e32 v2, s10
	s_xor_b64 exec, exec, s[6:7]
	s_cbranch_execnz .LBB4_2772
.LBB4_722:
	s_or_b64 exec, exec, s[6:7]
	s_and_saveexec_b64 s[6:7], s[4:5]
	s_cbranch_execz .LBB4_724
.LBB4_723:
	v_bfe_u32 v2, v8, 16, 3
	v_ffbh_u32_e32 v7, v2
	v_min_u32_e32 v7, 32, v7
	v_lshrrev_b32_e32 v3, 19, v8
	v_subrev_u32_e32 v10, 28, v7
	v_and_b32_e32 v3, 15, v3
	v_lshlrev_b32_sdwa v10, v10, v8 dst_sel:DWORD dst_unused:UNUSED_PAD src0_sel:DWORD src1_sel:WORD_1
	v_bfe_u32 v6, v8, 19, 4
	v_sub_u32_e32 v7, 29, v7
	v_and_b32_e32 v10, 7, v10
	v_cmp_eq_u16_e32 vcc, 0, v3
	v_cndmask_b32_e32 v2, v2, v10, vcc
	v_cndmask_b32_e32 v3, v6, v7, vcc
	v_lshlrev_b32_e32 v6, 8, v8
	v_mov_b32_e32 v7, 0x3b800000
	v_lshlrev_b32_e32 v2, 20, v2
	v_and_b32_e32 v6, 0x80000000, v6
	v_lshl_add_u32 v3, v3, 23, v7
	v_or3_b32 v2, v6, v3, v2
.LBB4_724:
	s_or_b64 exec, exec, s[6:7]
	s_movk_i32 s4, 0xff
	v_and_b32_sdwa v3, v4, s4 dst_sel:DWORD dst_unused:UNUSED_PAD src0_sel:WORD_1 src1_sel:DWORD
	s_movk_i32 s4, 0x7f
	v_cmp_lt_i16_e32 vcc, s4, v3
	s_mov_b64 s[4:5], 0
                                        ; implicit-def: $sgpr10
	s_and_saveexec_b64 s[6:7], vcc
	s_xor_b64 s[6:7], exec, s[6:7]
	s_cbranch_execnz .LBB4_2773
; %bb.725:
	s_or_saveexec_b64 s[6:7], s[6:7]
	v_mov_b32_e32 v6, s10
	s_xor_b64 exec, exec, s[6:7]
	s_cbranch_execnz .LBB4_2776
.LBB4_726:
	s_or_b64 exec, exec, s[6:7]
	s_and_saveexec_b64 s[6:7], s[4:5]
	s_cbranch_execz .LBB4_728
.LBB4_727:
	v_bfe_u32 v3, v4, 16, 3
	v_ffbh_u32_e32 v10, v3
	v_min_u32_e32 v10, 32, v10
	v_lshrrev_b32_e32 v6, 19, v4
	v_subrev_u32_e32 v11, 28, v10
	v_and_b32_e32 v6, 15, v6
	v_lshlrev_b32_sdwa v11, v11, v4 dst_sel:DWORD dst_unused:UNUSED_PAD src0_sel:DWORD src1_sel:WORD_1
	v_bfe_u32 v7, v4, 19, 4
	v_sub_u32_e32 v10, 29, v10
	v_and_b32_e32 v11, 7, v11
	v_cmp_eq_u16_e32 vcc, 0, v6
	v_cndmask_b32_e32 v3, v3, v11, vcc
	v_cndmask_b32_e32 v6, v7, v10, vcc
	v_lshlrev_b32_e32 v7, 8, v4
	v_mov_b32_e32 v10, 0x3b800000
	v_lshlrev_b32_e32 v3, 20, v3
	v_and_b32_e32 v7, 0x80000000, v7
	v_lshl_add_u32 v6, v6, 23, v10
	v_or3_b32 v6, v7, v6, v3
.LBB4_728:
	s_or_b64 exec, exec, s[6:7]
	s_nop 0
	v_mfma_f32_16x16x4f32 a[0:3], v2, v6, a[0:3]
	s_movk_i32 s4, 0x7f
	v_cmp_gt_i16_sdwa s[6:7], v8, s4 src0_sel:BYTE_3 src1_sel:DWORD
	s_mov_b64 s[4:5], 0
                                        ; implicit-def: $sgpr10
	s_and_saveexec_b64 s[8:9], s[6:7]
	s_xor_b64 s[6:7], exec, s[8:9]
	s_cbranch_execnz .LBB4_2777
; %bb.729:
	s_or_saveexec_b64 s[6:7], s[6:7]
	v_mov_b32_e32 v2, s10
	s_xor_b64 exec, exec, s[6:7]
	s_cbranch_execnz .LBB4_2780
.LBB4_730:
	s_or_b64 exec, exec, s[6:7]
	s_and_saveexec_b64 s[6:7], s[4:5]
	s_cbranch_execz .LBB4_732
.LBB4_731:
	v_bfe_u32 v2, v8, 24, 3
	v_ffbh_u32_e32 v10, v2
	v_min_u32_e32 v10, 32, v10
	v_lshrrev_b32_e32 v6, 27, v8
	v_subrev_u32_e32 v11, 28, v10
	v_and_b32_e32 v3, 0x80000000, v8
	v_and_b32_e32 v6, 15, v6
	v_bfe_u32 v7, v8, 27, 4
	v_lshlrev_b32_sdwa v8, v11, v8 dst_sel:DWORD dst_unused:UNUSED_PAD src0_sel:DWORD src1_sel:BYTE_3
	v_sub_u32_e32 v10, 29, v10
	v_and_b32_e32 v8, 7, v8
	v_cmp_eq_u16_e32 vcc, 0, v6
	v_cndmask_b32_e32 v2, v2, v8, vcc
	v_cndmask_b32_e32 v6, v7, v10, vcc
	v_mov_b32_e32 v7, 0x3b800000
	v_lshlrev_b32_e32 v2, 20, v2
	v_lshl_add_u32 v6, v6, 23, v7
	v_or3_b32 v2, v3, v6, v2
.LBB4_732:
	s_or_b64 exec, exec, s[6:7]
	s_movk_i32 s4, 0x7f
	v_cmp_gt_i16_sdwa s[6:7], v4, s4 src0_sel:BYTE_3 src1_sel:DWORD
	s_mov_b64 s[4:5], 0
                                        ; implicit-def: $sgpr10
	s_and_saveexec_b64 s[8:9], s[6:7]
	s_xor_b64 s[6:7], exec, s[8:9]
	s_cbranch_execnz .LBB4_2781
; %bb.733:
	s_or_saveexec_b64 s[6:7], s[6:7]
	v_mov_b32_e32 v3, s10
	s_xor_b64 exec, exec, s[6:7]
	s_cbranch_execnz .LBB4_2784
.LBB4_734:
	s_or_b64 exec, exec, s[6:7]
	s_and_saveexec_b64 s[6:7], s[4:5]
	s_cbranch_execz .LBB4_736
.LBB4_735:
	v_bfe_u32 v3, v4, 24, 3
	v_ffbh_u32_e32 v10, v3
	v_min_u32_e32 v10, 32, v10
	v_lshrrev_b32_e32 v7, 27, v4
	v_subrev_u32_e32 v11, 28, v10
	v_and_b32_e32 v6, 0x80000000, v4
	v_and_b32_e32 v7, 15, v7
	v_bfe_u32 v8, v4, 27, 4
	v_lshlrev_b32_sdwa v4, v11, v4 dst_sel:DWORD dst_unused:UNUSED_PAD src0_sel:DWORD src1_sel:BYTE_3
	v_sub_u32_e32 v10, 29, v10
	v_and_b32_e32 v4, 7, v4
	v_cmp_eq_u16_e32 vcc, 0, v7
	v_cndmask_b32_e32 v3, v3, v4, vcc
	v_cndmask_b32_e32 v4, v8, v10, vcc
	v_mov_b32_e32 v7, 0x3b800000
	v_lshlrev_b32_e32 v3, 20, v3
	v_lshl_add_u32 v4, v4, 23, v7
	v_or3_b32 v3, v6, v4, v3
.LBB4_736:
	s_or_b64 exec, exec, s[6:7]
	s_nop 0
	v_mfma_f32_16x16x4f32 a[0:3], v2, v3, a[0:3]
	s_movk_i32 s4, 0x7f
	v_cmp_gt_i16_sdwa s[6:7], v9, s4 src0_sel:BYTE_0 src1_sel:DWORD
	s_mov_b64 s[4:5], 0
                                        ; implicit-def: $sgpr10
	s_and_saveexec_b64 s[8:9], s[6:7]
	s_xor_b64 s[6:7], exec, s[8:9]
	s_cbranch_execnz .LBB4_2785
; %bb.737:
	s_or_saveexec_b64 s[6:7], s[6:7]
	v_mov_b32_e32 v2, s10
	s_xor_b64 exec, exec, s[6:7]
	s_cbranch_execnz .LBB4_2788
.LBB4_738:
	s_or_b64 exec, exec, s[6:7]
	s_and_saveexec_b64 s[6:7], s[4:5]
	s_cbranch_execz .LBB4_740
.LBB4_739:
	v_mov_b32_e32 v2, 8
	v_and_b32_e32 v3, 7, v9
	v_lshrrev_b32_sdwa v2, v2, v9 dst_sel:BYTE_1 dst_unused:UNUSED_PAD src0_sel:DWORD src1_sel:DWORD
	v_ffbh_u32_e32 v4, v3
	v_or_b32_sdwa v2, v9, v2 dst_sel:DWORD dst_unused:UNUSED_PAD src0_sel:BYTE_0 src1_sel:DWORD
	v_min_u32_e32 v4, 32, v4
	v_lshrrev_b16_e32 v2, 3, v2
	v_subrev_u32_e32 v6, 28, v4
	v_and_b32_e32 v2, 15, v2
	v_lshlrev_b32_e32 v6, v6, v9
	v_sub_u32_e32 v4, 29, v4
	v_and_b32_e32 v6, 7, v6
	v_cmp_eq_u16_e32 vcc, 0, v2
	v_cndmask_b32_e32 v3, v3, v6, vcc
	v_cndmask_b32_e32 v2, v2, v4, vcc
	v_lshlrev_b32_e32 v4, 24, v9
	v_mov_b32_e32 v6, 0x3b800000
	v_lshlrev_b32_e32 v3, 20, v3
	v_and_b32_e32 v4, 0x80000000, v4
	v_lshl_add_u32 v2, v2, 23, v6
	v_or3_b32 v2, v4, v2, v3
.LBB4_740:
	s_or_b64 exec, exec, s[6:7]
	s_movk_i32 s4, 0x7f
	v_cmp_gt_i16_sdwa s[6:7], v5, s4 src0_sel:BYTE_0 src1_sel:DWORD
	s_mov_b64 s[4:5], 0
                                        ; implicit-def: $sgpr10
	s_and_saveexec_b64 s[8:9], s[6:7]
	s_xor_b64 s[6:7], exec, s[8:9]
	s_cbranch_execnz .LBB4_2789
; %bb.741:
	s_or_saveexec_b64 s[6:7], s[6:7]
	v_mov_b32_e32 v3, s10
	s_xor_b64 exec, exec, s[6:7]
	s_cbranch_execnz .LBB4_2792
.LBB4_742:
	s_or_b64 exec, exec, s[6:7]
	s_and_saveexec_b64 s[6:7], s[4:5]
	s_cbranch_execz .LBB4_744
.LBB4_743:
	v_mov_b32_e32 v3, 8
	v_and_b32_e32 v4, 7, v5
	v_lshrrev_b32_sdwa v3, v3, v5 dst_sel:BYTE_1 dst_unused:UNUSED_PAD src0_sel:DWORD src1_sel:DWORD
	v_ffbh_u32_e32 v6, v4
	v_or_b32_sdwa v3, v5, v3 dst_sel:DWORD dst_unused:UNUSED_PAD src0_sel:BYTE_0 src1_sel:DWORD
	v_min_u32_e32 v6, 32, v6
	v_lshrrev_b16_e32 v3, 3, v3
	v_subrev_u32_e32 v7, 28, v6
	v_and_b32_e32 v3, 15, v3
	v_lshlrev_b32_e32 v7, v7, v5
	v_sub_u32_e32 v6, 29, v6
	v_and_b32_e32 v7, 7, v7
	v_cmp_eq_u16_e32 vcc, 0, v3
	v_cndmask_b32_e32 v4, v4, v7, vcc
	v_cndmask_b32_e32 v3, v3, v6, vcc
	v_lshlrev_b32_e32 v6, 24, v5
	v_mov_b32_e32 v7, 0x3b800000
	v_lshlrev_b32_e32 v4, 20, v4
	v_and_b32_e32 v6, 0x80000000, v6
	v_lshl_add_u32 v3, v3, 23, v7
	v_or3_b32 v3, v6, v3, v4
.LBB4_744:
	s_or_b64 exec, exec, s[6:7]
	s_nop 0
	v_mfma_f32_16x16x4f32 a[0:3], v2, v3, a[0:3]
	v_lshrrev_b32_e32 v3, 8, v9
	s_movk_i32 s4, 0x7f
	v_cmp_gt_i16_sdwa s[6:7], v3, s4 src0_sel:BYTE_0 src1_sel:DWORD
	s_mov_b64 s[4:5], 0
                                        ; implicit-def: $sgpr10
	s_and_saveexec_b64 s[8:9], s[6:7]
	s_xor_b64 s[6:7], exec, s[8:9]
	s_cbranch_execnz .LBB4_2793
; %bb.745:
	s_or_saveexec_b64 s[6:7], s[6:7]
	v_mov_b32_e32 v2, s10
	s_xor_b64 exec, exec, s[6:7]
	s_cbranch_execnz .LBB4_2796
.LBB4_746:
	s_or_b64 exec, exec, s[6:7]
	s_and_saveexec_b64 s[6:7], s[4:5]
	s_cbranch_execz .LBB4_748
.LBB4_747:
	v_bfe_u32 v2, v9, 8, 3
	v_ffbh_u32_e32 v6, v2
	v_min_u32_e32 v6, 32, v6
	v_lshrrev_b16_e32 v4, 3, v3
	v_subrev_u32_e32 v7, 28, v6
	v_and_b32_e32 v4, 15, v4
	v_lshlrev_b32_e32 v3, v7, v3
	v_sub_u32_e32 v6, 29, v6
	v_and_b32_e32 v3, 7, v3
	v_cmp_eq_u16_e32 vcc, 0, v4
	v_cndmask_b32_e32 v2, v2, v3, vcc
	v_cndmask_b32_e32 v3, v4, v6, vcc
	v_lshlrev_b32_e32 v4, 16, v9
	v_mov_b32_e32 v6, 0x3b800000
	v_lshlrev_b32_e32 v2, 20, v2
	v_and_b32_e32 v4, 0x80000000, v4
	v_lshl_add_u32 v3, v3, 23, v6
	v_or3_b32 v2, v4, v3, v2
.LBB4_748:
	s_or_b64 exec, exec, s[6:7]
	v_lshrrev_b32_e32 v3, 8, v5
	s_movk_i32 s4, 0x7f
	v_cmp_gt_i16_sdwa s[6:7], v3, s4 src0_sel:BYTE_0 src1_sel:DWORD
	s_mov_b64 s[4:5], 0
                                        ; implicit-def: $sgpr10
	s_and_saveexec_b64 s[8:9], s[6:7]
	s_xor_b64 s[6:7], exec, s[8:9]
	s_cbranch_execnz .LBB4_2797
; %bb.749:
	s_or_saveexec_b64 s[6:7], s[6:7]
	v_mov_b32_e32 v4, s10
	s_xor_b64 exec, exec, s[6:7]
	s_cbranch_execnz .LBB4_2800
.LBB4_750:
	s_or_b64 exec, exec, s[6:7]
	s_and_saveexec_b64 s[6:7], s[4:5]
	s_cbranch_execz .LBB4_752
.LBB4_751:
	v_bfe_u32 v4, v5, 8, 3
	v_ffbh_u32_e32 v7, v4
	v_min_u32_e32 v7, 32, v7
	v_lshrrev_b16_e32 v6, 3, v3
	v_subrev_u32_e32 v8, 28, v7
	v_and_b32_e32 v6, 15, v6
	v_lshlrev_b32_e32 v3, v8, v3
	v_sub_u32_e32 v7, 29, v7
	v_and_b32_e32 v3, 7, v3
	v_cmp_eq_u16_e32 vcc, 0, v6
	v_cndmask_b32_e32 v3, v4, v3, vcc
	v_cndmask_b32_e32 v4, v6, v7, vcc
	v_lshlrev_b32_e32 v6, 16, v5
	v_mov_b32_e32 v7, 0x3b800000
	v_lshlrev_b32_e32 v3, 20, v3
	v_and_b32_e32 v6, 0x80000000, v6
	v_lshl_add_u32 v4, v4, 23, v7
	v_or3_b32 v4, v6, v4, v3
.LBB4_752:
	s_or_b64 exec, exec, s[6:7]
	s_nop 0
	v_mfma_f32_16x16x4f32 a[0:3], v2, v4, a[0:3]
	s_movk_i32 s4, 0xff
	v_and_b32_sdwa v3, v9, s4 dst_sel:DWORD dst_unused:UNUSED_PAD src0_sel:WORD_1 src1_sel:DWORD
	s_movk_i32 s4, 0x7f
	v_cmp_lt_i16_e32 vcc, s4, v3
	s_mov_b64 s[4:5], 0
                                        ; implicit-def: $sgpr10
	s_and_saveexec_b64 s[6:7], vcc
	s_xor_b64 s[6:7], exec, s[6:7]
	s_cbranch_execnz .LBB4_2801
; %bb.753:
	s_or_saveexec_b64 s[6:7], s[6:7]
	v_mov_b32_e32 v2, s10
	s_xor_b64 exec, exec, s[6:7]
	s_cbranch_execnz .LBB4_2804
.LBB4_754:
	s_or_b64 exec, exec, s[6:7]
	s_and_saveexec_b64 s[6:7], s[4:5]
	s_cbranch_execz .LBB4_756
.LBB4_755:
	v_bfe_u32 v2, v9, 16, 3
	v_ffbh_u32_e32 v6, v2
	v_min_u32_e32 v6, 32, v6
	v_lshrrev_b32_e32 v3, 19, v9
	v_subrev_u32_e32 v7, 28, v6
	v_and_b32_e32 v3, 15, v3
	v_lshlrev_b32_sdwa v7, v7, v9 dst_sel:DWORD dst_unused:UNUSED_PAD src0_sel:DWORD src1_sel:WORD_1
	v_bfe_u32 v4, v9, 19, 4
	v_sub_u32_e32 v6, 29, v6
	v_and_b32_e32 v7, 7, v7
	v_cmp_eq_u16_e32 vcc, 0, v3
	v_cndmask_b32_e32 v2, v2, v7, vcc
	v_cndmask_b32_e32 v3, v4, v6, vcc
	v_lshlrev_b32_e32 v4, 8, v9
	v_mov_b32_e32 v6, 0x3b800000
	v_lshlrev_b32_e32 v2, 20, v2
	v_and_b32_e32 v4, 0x80000000, v4
	v_lshl_add_u32 v3, v3, 23, v6
	v_or3_b32 v2, v4, v3, v2
.LBB4_756:
	s_or_b64 exec, exec, s[6:7]
	s_movk_i32 s4, 0xff
	v_and_b32_sdwa v3, v5, s4 dst_sel:DWORD dst_unused:UNUSED_PAD src0_sel:WORD_1 src1_sel:DWORD
	s_movk_i32 s4, 0x7f
	v_cmp_lt_i16_e32 vcc, s4, v3
	s_mov_b64 s[4:5], 0
                                        ; implicit-def: $sgpr10
	s_and_saveexec_b64 s[6:7], vcc
	s_xor_b64 s[6:7], exec, s[6:7]
	s_cbranch_execnz .LBB4_2805
; %bb.757:
	s_or_saveexec_b64 s[6:7], s[6:7]
	v_mov_b32_e32 v4, s10
	s_xor_b64 exec, exec, s[6:7]
	s_cbranch_execnz .LBB4_2808
.LBB4_758:
	s_or_b64 exec, exec, s[6:7]
	s_and_saveexec_b64 s[6:7], s[4:5]
	s_cbranch_execz .LBB4_760
.LBB4_759:
	v_bfe_u32 v3, v5, 16, 3
	v_ffbh_u32_e32 v7, v3
	v_min_u32_e32 v7, 32, v7
	v_lshrrev_b32_e32 v4, 19, v5
	v_subrev_u32_e32 v8, 28, v7
	v_and_b32_e32 v4, 15, v4
	v_lshlrev_b32_sdwa v8, v8, v5 dst_sel:DWORD dst_unused:UNUSED_PAD src0_sel:DWORD src1_sel:WORD_1
	v_bfe_u32 v6, v5, 19, 4
	v_sub_u32_e32 v7, 29, v7
	v_and_b32_e32 v8, 7, v8
	v_cmp_eq_u16_e32 vcc, 0, v4
	v_cndmask_b32_e32 v3, v3, v8, vcc
	v_cndmask_b32_e32 v4, v6, v7, vcc
	v_lshlrev_b32_e32 v6, 8, v5
	v_mov_b32_e32 v7, 0x3b800000
	v_lshlrev_b32_e32 v3, 20, v3
	v_and_b32_e32 v6, 0x80000000, v6
	v_lshl_add_u32 v4, v4, 23, v7
	v_or3_b32 v4, v6, v4, v3
.LBB4_760:
	s_or_b64 exec, exec, s[6:7]
	s_nop 0
	v_mfma_f32_16x16x4f32 a[0:3], v2, v4, a[0:3]
	s_movk_i32 s4, 0x7f
	v_cmp_gt_i16_sdwa s[6:7], v9, s4 src0_sel:BYTE_3 src1_sel:DWORD
	s_mov_b64 s[4:5], 0
                                        ; implicit-def: $sgpr10
	s_and_saveexec_b64 s[8:9], s[6:7]
	s_xor_b64 s[6:7], exec, s[8:9]
	s_cbranch_execnz .LBB4_2809
; %bb.761:
	s_or_saveexec_b64 s[6:7], s[6:7]
	v_mov_b32_e32 v2, s10
	s_xor_b64 exec, exec, s[6:7]
	s_cbranch_execnz .LBB4_2812
.LBB4_762:
	s_or_b64 exec, exec, s[6:7]
	s_and_saveexec_b64 s[6:7], s[4:5]
	s_cbranch_execz .LBB4_764
.LBB4_763:
	v_bfe_u32 v2, v9, 24, 3
	v_ffbh_u32_e32 v7, v2
	v_min_u32_e32 v7, 32, v7
	v_lshrrev_b32_e32 v4, 27, v9
	v_subrev_u32_e32 v8, 28, v7
	v_and_b32_e32 v4, 15, v4
	v_lshlrev_b32_sdwa v8, v8, v9 dst_sel:DWORD dst_unused:UNUSED_PAD src0_sel:DWORD src1_sel:BYTE_3
	v_bfe_u32 v6, v9, 27, 4
	v_sub_u32_e32 v7, 29, v7
	v_and_b32_e32 v8, 7, v8
	v_cmp_eq_u16_e32 vcc, 0, v4
	v_cndmask_b32_e32 v2, v2, v8, vcc
	v_cndmask_b32_e32 v4, v6, v7, vcc
	v_mov_b32_e32 v6, 0x3b800000
	v_and_b32_e32 v3, 0x80000000, v9
	v_lshlrev_b32_e32 v2, 20, v2
	v_lshl_add_u32 v4, v4, 23, v6
	v_or3_b32 v2, v3, v4, v2
.LBB4_764:
	s_or_b64 exec, exec, s[6:7]
	s_movk_i32 s4, 0x7f
	v_cmp_gt_i16_sdwa s[6:7], v5, s4 src0_sel:BYTE_3 src1_sel:DWORD
	s_mov_b64 s[4:5], 0
                                        ; implicit-def: $sgpr10
	s_and_saveexec_b64 s[8:9], s[6:7]
	s_xor_b64 s[6:7], exec, s[8:9]
	s_cbranch_execnz .LBB4_2813
; %bb.765:
	s_or_saveexec_b64 s[6:7], s[6:7]
	v_mov_b32_e32 v3, s10
	s_xor_b64 exec, exec, s[6:7]
	s_cbranch_execnz .LBB4_2816
.LBB4_766:
	s_or_b64 exec, exec, s[6:7]
	s_and_saveexec_b64 s[6:7], s[4:5]
	s_cbranch_execz .LBB4_768
.LBB4_767:
	v_bfe_u32 v3, v5, 24, 3
	v_ffbh_u32_e32 v8, v3
	v_min_u32_e32 v8, 32, v8
	v_lshrrev_b32_e32 v6, 27, v5
	v_subrev_u32_e32 v9, 28, v8
	v_and_b32_e32 v4, 0x80000000, v5
	v_and_b32_e32 v6, 15, v6
	v_bfe_u32 v7, v5, 27, 4
	v_lshlrev_b32_sdwa v5, v9, v5 dst_sel:DWORD dst_unused:UNUSED_PAD src0_sel:DWORD src1_sel:BYTE_3
	v_sub_u32_e32 v8, 29, v8
	v_and_b32_e32 v5, 7, v5
	v_cmp_eq_u16_e32 vcc, 0, v6
	v_cndmask_b32_e32 v3, v3, v5, vcc
	v_cndmask_b32_e32 v5, v7, v8, vcc
	v_mov_b32_e32 v6, 0x3b800000
	v_lshlrev_b32_e32 v3, 20, v3
	v_lshl_add_u32 v5, v5, 23, v6
	v_or3_b32 v3, v4, v5, v3
.LBB4_768:
	s_or_b64 exec, exec, s[6:7]
	s_nop 0
	v_mfma_f32_16x16x4f32 a[0:3], v2, v3, a[0:3]
	s_movk_i32 s4, 0x7f
                                        ; implicit-def: $sgpr10
	s_nop 7
	s_nop 1
	flat_store_dwordx4 v[18:19], a[0:3] offset:288
	flat_load_dwordx4 v[20:23], v[0:1] offset:16
	s_nop 0
	flat_load_dwordx2 v[18:19], v[0:1] offset:32
	s_waitcnt vmcnt(0) lgkmcnt(0)
	flat_load_dwordx4 v[14:17], v[20:21]
	flat_load_dwordx4 v[6:9], v[20:21] offset:16
	flat_load_dwordx4 v[10:13], v[22:23] offset:96
	;; [unrolled: 1-line block ×3, first 2 shown]
	s_waitcnt vmcnt(0) lgkmcnt(0)
	v_cmp_gt_i16_sdwa s[6:7], v14, s4 src0_sel:BYTE_0 src1_sel:DWORD
	s_mov_b64 s[4:5], 0
	s_and_saveexec_b64 s[8:9], s[6:7]
	s_xor_b64 s[6:7], exec, s[8:9]
	s_cbranch_execnz .LBB4_2817
; %bb.769:
	s_or_saveexec_b64 s[6:7], s[6:7]
	v_mov_b32_e32 v20, s10
	s_xor_b64 exec, exec, s[6:7]
	s_cbranch_execnz .LBB4_2820
.LBB4_770:
	s_or_b64 exec, exec, s[6:7]
	s_and_saveexec_b64 s[6:7], s[4:5]
	s_cbranch_execz .LBB4_772
.LBB4_771:
	v_and_b32_e32 v20, 7, v14
	v_ffbh_u32_e32 v22, v20
	v_min_u32_e32 v22, 32, v22
	v_lshrrev_b16_e32 v21, 3, v14
	v_subrev_u32_e32 v23, 28, v22
	v_and_b32_e32 v21, 15, v21
	v_lshlrev_b32_e32 v23, v23, v14
	v_sub_u32_e32 v22, 29, v22
	v_and_b32_e32 v23, 7, v23
	v_cmp_eq_u16_e32 vcc, 0, v21
	v_cndmask_b32_e32 v20, v20, v23, vcc
	v_cndmask_b32_e32 v21, v21, v22, vcc
	v_lshlrev_b32_e32 v22, 24, v14
	v_mov_b32_e32 v23, 0x3b800000
	v_lshlrev_b32_e32 v20, 20, v20
	v_and_b32_e32 v22, 0x80000000, v22
	v_lshl_add_u32 v21, v21, 23, v23
	v_or3_b32 v20, v22, v21, v20
.LBB4_772:
	s_or_b64 exec, exec, s[6:7]
	s_movk_i32 s4, 0x7f
	v_cmp_gt_i16_sdwa s[6:7], v10, s4 src0_sel:BYTE_0 src1_sel:DWORD
	s_mov_b64 s[4:5], 0
                                        ; implicit-def: $sgpr10
	s_and_saveexec_b64 s[8:9], s[6:7]
	s_xor_b64 s[6:7], exec, s[8:9]
	s_cbranch_execnz .LBB4_2821
; %bb.773:
	s_or_saveexec_b64 s[6:7], s[6:7]
	v_mov_b32_e32 v21, s10
	s_xor_b64 exec, exec, s[6:7]
	s_cbranch_execnz .LBB4_2824
.LBB4_774:
	s_or_b64 exec, exec, s[6:7]
	s_and_saveexec_b64 s[6:7], s[4:5]
	s_cbranch_execz .LBB4_776
.LBB4_775:
	v_and_b32_e32 v21, 7, v10
	v_ffbh_u32_e32 v23, v21
	v_min_u32_e32 v23, 32, v23
	v_lshrrev_b16_e32 v22, 3, v10
	v_subrev_u32_e32 v24, 28, v23
	v_and_b32_e32 v22, 15, v22
	v_lshlrev_b32_e32 v24, v24, v10
	v_sub_u32_e32 v23, 29, v23
	v_and_b32_e32 v24, 7, v24
	v_cmp_eq_u16_e32 vcc, 0, v22
	v_cndmask_b32_e32 v21, v21, v24, vcc
	v_cndmask_b32_e32 v22, v22, v23, vcc
	v_lshlrev_b32_e32 v23, 24, v10
	v_mov_b32_e32 v24, 0x3b800000
	v_lshlrev_b32_e32 v21, 20, v21
	v_and_b32_e32 v23, 0x80000000, v23
	v_lshl_add_u32 v22, v22, 23, v24
	v_or3_b32 v21, v23, v22, v21
.LBB4_776:
	s_or_b64 exec, exec, s[6:7]
	flat_load_dwordx4 a[0:3], v[18:19] offset:304
	s_movk_i32 s4, 0x7f
                                        ; implicit-def: $sgpr10
	s_waitcnt vmcnt(0) lgkmcnt(0)
	v_mfma_f32_16x16x4f32 a[0:3], v20, v21, a[0:3]
	v_lshrrev_b32_e32 v21, 8, v14
	v_cmp_gt_i16_sdwa s[6:7], v21, s4 src0_sel:BYTE_0 src1_sel:DWORD
	s_mov_b64 s[4:5], 0
	s_and_saveexec_b64 s[8:9], s[6:7]
	s_xor_b64 s[6:7], exec, s[8:9]
	s_cbranch_execnz .LBB4_2825
; %bb.777:
	s_or_saveexec_b64 s[6:7], s[6:7]
	v_mov_b32_e32 v20, s10
	s_xor_b64 exec, exec, s[6:7]
	s_cbranch_execnz .LBB4_2828
.LBB4_778:
	s_or_b64 exec, exec, s[6:7]
	s_and_saveexec_b64 s[6:7], s[4:5]
	s_cbranch_execz .LBB4_780
.LBB4_779:
	v_bfe_u32 v20, v14, 8, 3
	v_ffbh_u32_e32 v23, v20
	v_min_u32_e32 v23, 32, v23
	v_lshrrev_b16_e32 v22, 3, v21
	v_subrev_u32_e32 v24, 28, v23
	v_and_b32_e32 v22, 15, v22
	v_lshlrev_b32_e32 v21, v24, v21
	v_sub_u32_e32 v23, 29, v23
	v_and_b32_e32 v21, 7, v21
	v_cmp_eq_u16_e32 vcc, 0, v22
	v_cndmask_b32_e32 v20, v20, v21, vcc
	v_cndmask_b32_e32 v21, v22, v23, vcc
	v_lshlrev_b32_e32 v22, 16, v14
	v_mov_b32_e32 v23, 0x3b800000
	v_lshlrev_b32_e32 v20, 20, v20
	v_and_b32_e32 v22, 0x80000000, v22
	v_lshl_add_u32 v21, v21, 23, v23
	v_or3_b32 v20, v22, v21, v20
.LBB4_780:
	s_or_b64 exec, exec, s[6:7]
	v_lshrrev_b32_e32 v21, 8, v10
	s_movk_i32 s4, 0x7f
	v_cmp_gt_i16_sdwa s[6:7], v21, s4 src0_sel:BYTE_0 src1_sel:DWORD
	s_mov_b64 s[4:5], 0
                                        ; implicit-def: $sgpr10
	s_and_saveexec_b64 s[8:9], s[6:7]
	s_xor_b64 s[6:7], exec, s[8:9]
	s_cbranch_execnz .LBB4_2829
; %bb.781:
	s_or_saveexec_b64 s[6:7], s[6:7]
	v_mov_b32_e32 v22, s10
	s_xor_b64 exec, exec, s[6:7]
	s_cbranch_execnz .LBB4_2832
.LBB4_782:
	s_or_b64 exec, exec, s[6:7]
	s_and_saveexec_b64 s[6:7], s[4:5]
	s_cbranch_execz .LBB4_784
.LBB4_783:
	v_bfe_u32 v22, v10, 8, 3
	v_ffbh_u32_e32 v24, v22
	v_min_u32_e32 v24, 32, v24
	v_lshrrev_b16_e32 v23, 3, v21
	v_subrev_u32_e32 v25, 28, v24
	v_and_b32_e32 v23, 15, v23
	v_lshlrev_b32_e32 v21, v25, v21
	v_sub_u32_e32 v24, 29, v24
	v_and_b32_e32 v21, 7, v21
	v_cmp_eq_u16_e32 vcc, 0, v23
	v_cndmask_b32_e32 v21, v22, v21, vcc
	v_cndmask_b32_e32 v22, v23, v24, vcc
	v_lshlrev_b32_e32 v23, 16, v10
	v_mov_b32_e32 v24, 0x3b800000
	v_lshlrev_b32_e32 v21, 20, v21
	v_and_b32_e32 v23, 0x80000000, v23
	v_lshl_add_u32 v22, v22, 23, v24
	v_or3_b32 v22, v23, v22, v21
.LBB4_784:
	s_or_b64 exec, exec, s[6:7]
	s_nop 0
	v_mfma_f32_16x16x4f32 a[0:3], v20, v22, a[0:3]
	s_movk_i32 s4, 0xff
	v_and_b32_sdwa v21, v14, s4 dst_sel:DWORD dst_unused:UNUSED_PAD src0_sel:WORD_1 src1_sel:DWORD
	s_movk_i32 s4, 0x7f
	v_cmp_lt_i16_e32 vcc, s4, v21
	s_mov_b64 s[4:5], 0
                                        ; implicit-def: $sgpr10
	s_and_saveexec_b64 s[6:7], vcc
	s_xor_b64 s[6:7], exec, s[6:7]
	s_cbranch_execnz .LBB4_2833
; %bb.785:
	s_or_saveexec_b64 s[6:7], s[6:7]
	v_mov_b32_e32 v20, s10
	s_xor_b64 exec, exec, s[6:7]
	s_cbranch_execnz .LBB4_2836
.LBB4_786:
	s_or_b64 exec, exec, s[6:7]
	s_and_saveexec_b64 s[6:7], s[4:5]
	s_cbranch_execz .LBB4_788
.LBB4_787:
	v_bfe_u32 v20, v14, 16, 3
	v_ffbh_u32_e32 v23, v20
	v_min_u32_e32 v23, 32, v23
	v_lshrrev_b32_e32 v21, 19, v14
	v_subrev_u32_e32 v24, 28, v23
	v_and_b32_e32 v21, 15, v21
	v_lshlrev_b32_sdwa v24, v24, v14 dst_sel:DWORD dst_unused:UNUSED_PAD src0_sel:DWORD src1_sel:WORD_1
	v_bfe_u32 v22, v14, 19, 4
	v_sub_u32_e32 v23, 29, v23
	v_and_b32_e32 v24, 7, v24
	v_cmp_eq_u16_e32 vcc, 0, v21
	v_cndmask_b32_e32 v20, v20, v24, vcc
	v_cndmask_b32_e32 v21, v22, v23, vcc
	v_lshlrev_b32_e32 v22, 8, v14
	v_mov_b32_e32 v23, 0x3b800000
	v_lshlrev_b32_e32 v20, 20, v20
	v_and_b32_e32 v22, 0x80000000, v22
	v_lshl_add_u32 v21, v21, 23, v23
	v_or3_b32 v20, v22, v21, v20
.LBB4_788:
	s_or_b64 exec, exec, s[6:7]
	s_movk_i32 s4, 0xff
	v_and_b32_sdwa v21, v10, s4 dst_sel:DWORD dst_unused:UNUSED_PAD src0_sel:WORD_1 src1_sel:DWORD
	s_movk_i32 s4, 0x7f
	v_cmp_lt_i16_e32 vcc, s4, v21
	s_mov_b64 s[4:5], 0
                                        ; implicit-def: $sgpr10
	s_and_saveexec_b64 s[6:7], vcc
	s_xor_b64 s[6:7], exec, s[6:7]
	s_cbranch_execnz .LBB4_2837
; %bb.789:
	s_or_saveexec_b64 s[6:7], s[6:7]
	v_mov_b32_e32 v22, s10
	s_xor_b64 exec, exec, s[6:7]
	s_cbranch_execnz .LBB4_2840
.LBB4_790:
	s_or_b64 exec, exec, s[6:7]
	s_and_saveexec_b64 s[6:7], s[4:5]
	s_cbranch_execz .LBB4_792
.LBB4_791:
	v_bfe_u32 v21, v10, 16, 3
	v_ffbh_u32_e32 v24, v21
	v_min_u32_e32 v24, 32, v24
	v_lshrrev_b32_e32 v22, 19, v10
	v_subrev_u32_e32 v25, 28, v24
	v_and_b32_e32 v22, 15, v22
	v_lshlrev_b32_sdwa v25, v25, v10 dst_sel:DWORD dst_unused:UNUSED_PAD src0_sel:DWORD src1_sel:WORD_1
	v_bfe_u32 v23, v10, 19, 4
	v_sub_u32_e32 v24, 29, v24
	v_and_b32_e32 v25, 7, v25
	v_cmp_eq_u16_e32 vcc, 0, v22
	v_cndmask_b32_e32 v21, v21, v25, vcc
	v_cndmask_b32_e32 v22, v23, v24, vcc
	v_lshlrev_b32_e32 v23, 8, v10
	v_mov_b32_e32 v24, 0x3b800000
	v_lshlrev_b32_e32 v21, 20, v21
	v_and_b32_e32 v23, 0x80000000, v23
	v_lshl_add_u32 v22, v22, 23, v24
	v_or3_b32 v22, v23, v22, v21
.LBB4_792:
	s_or_b64 exec, exec, s[6:7]
	s_nop 0
	v_mfma_f32_16x16x4f32 a[0:3], v20, v22, a[0:3]
	s_movk_i32 s4, 0x7f
	v_cmp_gt_i16_sdwa s[6:7], v14, s4 src0_sel:BYTE_3 src1_sel:DWORD
	s_mov_b64 s[4:5], 0
                                        ; implicit-def: $sgpr10
	s_and_saveexec_b64 s[8:9], s[6:7]
	s_xor_b64 s[6:7], exec, s[8:9]
	s_cbranch_execnz .LBB4_2841
; %bb.793:
	s_or_saveexec_b64 s[6:7], s[6:7]
	v_mov_b32_e32 v20, s10
	s_xor_b64 exec, exec, s[6:7]
	s_cbranch_execnz .LBB4_2844
.LBB4_794:
	s_or_b64 exec, exec, s[6:7]
	s_and_saveexec_b64 s[6:7], s[4:5]
	s_cbranch_execz .LBB4_796
.LBB4_795:
	v_bfe_u32 v20, v14, 24, 3
	v_ffbh_u32_e32 v24, v20
	v_min_u32_e32 v24, 32, v24
	v_lshrrev_b32_e32 v22, 27, v14
	v_subrev_u32_e32 v25, 28, v24
	v_and_b32_e32 v21, 0x80000000, v14
	v_and_b32_e32 v22, 15, v22
	v_bfe_u32 v23, v14, 27, 4
	v_lshlrev_b32_sdwa v14, v25, v14 dst_sel:DWORD dst_unused:UNUSED_PAD src0_sel:DWORD src1_sel:BYTE_3
	v_sub_u32_e32 v24, 29, v24
	v_and_b32_e32 v14, 7, v14
	v_cmp_eq_u16_e32 vcc, 0, v22
	v_cndmask_b32_e32 v14, v20, v14, vcc
	v_cndmask_b32_e32 v20, v23, v24, vcc
	v_mov_b32_e32 v22, 0x3b800000
	v_lshlrev_b32_e32 v14, 20, v14
	v_lshl_add_u32 v20, v20, 23, v22
	v_or3_b32 v20, v21, v20, v14
.LBB4_796:
	s_or_b64 exec, exec, s[6:7]
	s_movk_i32 s4, 0x7f
	v_cmp_gt_i16_sdwa s[6:7], v10, s4 src0_sel:BYTE_3 src1_sel:DWORD
	s_mov_b64 s[4:5], 0
                                        ; implicit-def: $sgpr10
	s_and_saveexec_b64 s[8:9], s[6:7]
	s_xor_b64 s[6:7], exec, s[8:9]
	s_cbranch_execnz .LBB4_2845
; %bb.797:
	s_or_saveexec_b64 s[6:7], s[6:7]
	v_mov_b32_e32 v14, s10
	s_xor_b64 exec, exec, s[6:7]
	s_cbranch_execnz .LBB4_2848
.LBB4_798:
	s_or_b64 exec, exec, s[6:7]
	s_and_saveexec_b64 s[6:7], s[4:5]
	s_cbranch_execz .LBB4_800
.LBB4_799:
	v_bfe_u32 v14, v10, 24, 3
	v_ffbh_u32_e32 v24, v14
	v_min_u32_e32 v24, 32, v24
	v_lshrrev_b32_e32 v22, 27, v10
	v_subrev_u32_e32 v25, 28, v24
	v_and_b32_e32 v21, 0x80000000, v10
	v_and_b32_e32 v22, 15, v22
	v_bfe_u32 v23, v10, 27, 4
	v_lshlrev_b32_sdwa v10, v25, v10 dst_sel:DWORD dst_unused:UNUSED_PAD src0_sel:DWORD src1_sel:BYTE_3
	v_sub_u32_e32 v24, 29, v24
	v_and_b32_e32 v10, 7, v10
	v_cmp_eq_u16_e32 vcc, 0, v22
	v_cndmask_b32_e32 v10, v14, v10, vcc
	v_cndmask_b32_e32 v14, v23, v24, vcc
	v_mov_b32_e32 v22, 0x3b800000
	v_lshlrev_b32_e32 v10, 20, v10
	v_lshl_add_u32 v14, v14, 23, v22
	v_or3_b32 v14, v21, v14, v10
.LBB4_800:
	s_or_b64 exec, exec, s[6:7]
	s_nop 0
	v_mfma_f32_16x16x4f32 a[0:3], v20, v14, a[0:3]
	s_movk_i32 s4, 0x7f
	v_cmp_gt_i16_sdwa s[6:7], v15, s4 src0_sel:BYTE_0 src1_sel:DWORD
	s_mov_b64 s[4:5], 0
                                        ; implicit-def: $sgpr10
	s_and_saveexec_b64 s[8:9], s[6:7]
	s_xor_b64 s[6:7], exec, s[8:9]
	s_cbranch_execnz .LBB4_2849
; %bb.801:
	s_or_saveexec_b64 s[6:7], s[6:7]
	v_mov_b32_e32 v10, s10
	s_xor_b64 exec, exec, s[6:7]
	s_cbranch_execnz .LBB4_2852
.LBB4_802:
	s_or_b64 exec, exec, s[6:7]
	s_and_saveexec_b64 s[6:7], s[4:5]
	s_cbranch_execz .LBB4_804
.LBB4_803:
	v_and_b32_e32 v10, 7, v15
	v_ffbh_u32_e32 v20, v10
	v_min_u32_e32 v20, 32, v20
	v_lshrrev_b16_e32 v14, 3, v15
	v_subrev_u32_e32 v21, 28, v20
	v_and_b32_e32 v14, 15, v14
	v_lshlrev_b32_e32 v21, v21, v15
	v_sub_u32_e32 v20, 29, v20
	v_and_b32_e32 v21, 7, v21
	v_cmp_eq_u16_e32 vcc, 0, v14
	v_cndmask_b32_e32 v10, v10, v21, vcc
	v_cndmask_b32_e32 v14, v14, v20, vcc
	v_lshlrev_b32_e32 v20, 24, v15
	v_mov_b32_e32 v21, 0x3b800000
	v_lshlrev_b32_e32 v10, 20, v10
	v_and_b32_e32 v20, 0x80000000, v20
	v_lshl_add_u32 v14, v14, 23, v21
	v_or3_b32 v10, v20, v14, v10
.LBB4_804:
	s_or_b64 exec, exec, s[6:7]
	s_movk_i32 s4, 0x7f
	v_cmp_gt_i16_sdwa s[6:7], v11, s4 src0_sel:BYTE_0 src1_sel:DWORD
	s_mov_b64 s[4:5], 0
                                        ; implicit-def: $sgpr10
	s_and_saveexec_b64 s[8:9], s[6:7]
	s_xor_b64 s[6:7], exec, s[8:9]
	s_cbranch_execnz .LBB4_2853
; %bb.805:
	s_or_saveexec_b64 s[6:7], s[6:7]
	v_mov_b32_e32 v14, s10
	s_xor_b64 exec, exec, s[6:7]
	s_cbranch_execnz .LBB4_2856
.LBB4_806:
	s_or_b64 exec, exec, s[6:7]
	s_and_saveexec_b64 s[6:7], s[4:5]
	s_cbranch_execz .LBB4_808
.LBB4_807:
	v_and_b32_e32 v14, 7, v11
	v_ffbh_u32_e32 v21, v14
	v_min_u32_e32 v21, 32, v21
	v_lshrrev_b16_e32 v20, 3, v11
	v_subrev_u32_e32 v22, 28, v21
	v_and_b32_e32 v20, 15, v20
	v_lshlrev_b32_e32 v22, v22, v11
	v_sub_u32_e32 v21, 29, v21
	v_and_b32_e32 v22, 7, v22
	v_cmp_eq_u16_e32 vcc, 0, v20
	v_cndmask_b32_e32 v14, v14, v22, vcc
	v_cndmask_b32_e32 v20, v20, v21, vcc
	v_lshlrev_b32_e32 v21, 24, v11
	v_mov_b32_e32 v22, 0x3b800000
	v_lshlrev_b32_e32 v14, 20, v14
	v_and_b32_e32 v21, 0x80000000, v21
	v_lshl_add_u32 v20, v20, 23, v22
	v_or3_b32 v14, v21, v20, v14
.LBB4_808:
	s_or_b64 exec, exec, s[6:7]
	s_nop 0
	v_mfma_f32_16x16x4f32 a[0:3], v10, v14, a[0:3]
	v_lshrrev_b32_e32 v14, 8, v15
	s_movk_i32 s4, 0x7f
	v_cmp_gt_i16_sdwa s[6:7], v14, s4 src0_sel:BYTE_0 src1_sel:DWORD
	s_mov_b64 s[4:5], 0
                                        ; implicit-def: $sgpr10
	s_and_saveexec_b64 s[8:9], s[6:7]
	s_xor_b64 s[6:7], exec, s[8:9]
	s_cbranch_execnz .LBB4_2857
; %bb.809:
	s_or_saveexec_b64 s[6:7], s[6:7]
	v_mov_b32_e32 v10, s10
	s_xor_b64 exec, exec, s[6:7]
	s_cbranch_execnz .LBB4_2860
.LBB4_810:
	s_or_b64 exec, exec, s[6:7]
	s_and_saveexec_b64 s[6:7], s[4:5]
	s_cbranch_execz .LBB4_812
.LBB4_811:
	v_bfe_u32 v10, v15, 8, 3
	v_ffbh_u32_e32 v21, v10
	v_min_u32_e32 v21, 32, v21
	v_lshrrev_b16_e32 v20, 3, v14
	v_subrev_u32_e32 v22, 28, v21
	v_and_b32_e32 v20, 15, v20
	v_lshlrev_b32_e32 v14, v22, v14
	v_sub_u32_e32 v21, 29, v21
	v_and_b32_e32 v14, 7, v14
	v_cmp_eq_u16_e32 vcc, 0, v20
	v_cndmask_b32_e32 v10, v10, v14, vcc
	v_cndmask_b32_e32 v14, v20, v21, vcc
	v_lshlrev_b32_e32 v20, 16, v15
	v_mov_b32_e32 v21, 0x3b800000
	v_lshlrev_b32_e32 v10, 20, v10
	v_and_b32_e32 v20, 0x80000000, v20
	v_lshl_add_u32 v14, v14, 23, v21
	v_or3_b32 v10, v20, v14, v10
.LBB4_812:
	s_or_b64 exec, exec, s[6:7]
	v_lshrrev_b32_e32 v14, 8, v11
	s_movk_i32 s4, 0x7f
	v_cmp_gt_i16_sdwa s[6:7], v14, s4 src0_sel:BYTE_0 src1_sel:DWORD
	s_mov_b64 s[4:5], 0
                                        ; implicit-def: $sgpr10
	s_and_saveexec_b64 s[8:9], s[6:7]
	s_xor_b64 s[6:7], exec, s[8:9]
	s_cbranch_execnz .LBB4_2861
; %bb.813:
	s_or_saveexec_b64 s[6:7], s[6:7]
	v_mov_b32_e32 v20, s10
	s_xor_b64 exec, exec, s[6:7]
	s_cbranch_execnz .LBB4_2864
.LBB4_814:
	s_or_b64 exec, exec, s[6:7]
	s_and_saveexec_b64 s[6:7], s[4:5]
	s_cbranch_execz .LBB4_816
.LBB4_815:
	v_bfe_u32 v20, v11, 8, 3
	v_ffbh_u32_e32 v22, v20
	v_min_u32_e32 v22, 32, v22
	v_lshrrev_b16_e32 v21, 3, v14
	v_subrev_u32_e32 v23, 28, v22
	v_and_b32_e32 v21, 15, v21
	v_lshlrev_b32_e32 v14, v23, v14
	v_sub_u32_e32 v22, 29, v22
	v_and_b32_e32 v14, 7, v14
	v_cmp_eq_u16_e32 vcc, 0, v21
	v_cndmask_b32_e32 v14, v20, v14, vcc
	v_cndmask_b32_e32 v20, v21, v22, vcc
	v_lshlrev_b32_e32 v21, 16, v11
	v_mov_b32_e32 v22, 0x3b800000
	v_lshlrev_b32_e32 v14, 20, v14
	v_and_b32_e32 v21, 0x80000000, v21
	v_lshl_add_u32 v20, v20, 23, v22
	v_or3_b32 v20, v21, v20, v14
.LBB4_816:
	s_or_b64 exec, exec, s[6:7]
	s_nop 0
	v_mfma_f32_16x16x4f32 a[0:3], v10, v20, a[0:3]
	s_movk_i32 s4, 0xff
	v_and_b32_sdwa v14, v15, s4 dst_sel:DWORD dst_unused:UNUSED_PAD src0_sel:WORD_1 src1_sel:DWORD
	s_movk_i32 s4, 0x7f
	v_cmp_lt_i16_e32 vcc, s4, v14
	s_mov_b64 s[4:5], 0
                                        ; implicit-def: $sgpr10
	s_and_saveexec_b64 s[6:7], vcc
	s_xor_b64 s[6:7], exec, s[6:7]
	s_cbranch_execnz .LBB4_2865
; %bb.817:
	s_or_saveexec_b64 s[6:7], s[6:7]
	v_mov_b32_e32 v10, s10
	s_xor_b64 exec, exec, s[6:7]
	s_cbranch_execnz .LBB4_2868
.LBB4_818:
	s_or_b64 exec, exec, s[6:7]
	s_and_saveexec_b64 s[6:7], s[4:5]
	s_cbranch_execz .LBB4_820
.LBB4_819:
	v_bfe_u32 v10, v15, 16, 3
	v_ffbh_u32_e32 v21, v10
	v_min_u32_e32 v21, 32, v21
	v_lshrrev_b32_e32 v14, 19, v15
	v_subrev_u32_e32 v22, 28, v21
	v_and_b32_e32 v14, 15, v14
	v_lshlrev_b32_sdwa v22, v22, v15 dst_sel:DWORD dst_unused:UNUSED_PAD src0_sel:DWORD src1_sel:WORD_1
	v_bfe_u32 v20, v15, 19, 4
	v_sub_u32_e32 v21, 29, v21
	v_and_b32_e32 v22, 7, v22
	v_cmp_eq_u16_e32 vcc, 0, v14
	v_cndmask_b32_e32 v10, v10, v22, vcc
	v_cndmask_b32_e32 v14, v20, v21, vcc
	v_lshlrev_b32_e32 v20, 8, v15
	v_mov_b32_e32 v21, 0x3b800000
	v_lshlrev_b32_e32 v10, 20, v10
	v_and_b32_e32 v20, 0x80000000, v20
	v_lshl_add_u32 v14, v14, 23, v21
	v_or3_b32 v10, v20, v14, v10
.LBB4_820:
	s_or_b64 exec, exec, s[6:7]
	s_movk_i32 s4, 0xff
	v_and_b32_sdwa v14, v11, s4 dst_sel:DWORD dst_unused:UNUSED_PAD src0_sel:WORD_1 src1_sel:DWORD
	s_movk_i32 s4, 0x7f
	v_cmp_lt_i16_e32 vcc, s4, v14
	s_mov_b64 s[4:5], 0
                                        ; implicit-def: $sgpr10
	s_and_saveexec_b64 s[6:7], vcc
	s_xor_b64 s[6:7], exec, s[6:7]
	s_cbranch_execnz .LBB4_2869
; %bb.821:
	s_or_saveexec_b64 s[6:7], s[6:7]
	v_mov_b32_e32 v20, s10
	s_xor_b64 exec, exec, s[6:7]
	s_cbranch_execnz .LBB4_2872
.LBB4_822:
	s_or_b64 exec, exec, s[6:7]
	s_and_saveexec_b64 s[6:7], s[4:5]
	s_cbranch_execz .LBB4_824
.LBB4_823:
	v_bfe_u32 v14, v11, 16, 3
	v_ffbh_u32_e32 v22, v14
	v_min_u32_e32 v22, 32, v22
	v_lshrrev_b32_e32 v20, 19, v11
	v_subrev_u32_e32 v23, 28, v22
	v_and_b32_e32 v20, 15, v20
	v_lshlrev_b32_sdwa v23, v23, v11 dst_sel:DWORD dst_unused:UNUSED_PAD src0_sel:DWORD src1_sel:WORD_1
	v_bfe_u32 v21, v11, 19, 4
	v_sub_u32_e32 v22, 29, v22
	v_and_b32_e32 v23, 7, v23
	v_cmp_eq_u16_e32 vcc, 0, v20
	v_cndmask_b32_e32 v14, v14, v23, vcc
	v_cndmask_b32_e32 v20, v21, v22, vcc
	v_lshlrev_b32_e32 v21, 8, v11
	v_mov_b32_e32 v22, 0x3b800000
	v_lshlrev_b32_e32 v14, 20, v14
	v_and_b32_e32 v21, 0x80000000, v21
	v_lshl_add_u32 v20, v20, 23, v22
	v_or3_b32 v20, v21, v20, v14
.LBB4_824:
	s_or_b64 exec, exec, s[6:7]
	s_nop 0
	v_mfma_f32_16x16x4f32 a[0:3], v10, v20, a[0:3]
	s_movk_i32 s4, 0x7f
	v_cmp_gt_i16_sdwa s[6:7], v15, s4 src0_sel:BYTE_3 src1_sel:DWORD
	s_mov_b64 s[4:5], 0
                                        ; implicit-def: $sgpr10
	s_and_saveexec_b64 s[8:9], s[6:7]
	s_xor_b64 s[6:7], exec, s[8:9]
	s_cbranch_execnz .LBB4_2873
; %bb.825:
	s_or_saveexec_b64 s[6:7], s[6:7]
	v_mov_b32_e32 v10, s10
	s_xor_b64 exec, exec, s[6:7]
	s_cbranch_execnz .LBB4_2876
.LBB4_826:
	s_or_b64 exec, exec, s[6:7]
	s_and_saveexec_b64 s[6:7], s[4:5]
	s_cbranch_execz .LBB4_828
.LBB4_827:
	v_bfe_u32 v10, v15, 24, 3
	v_ffbh_u32_e32 v22, v10
	v_min_u32_e32 v22, 32, v22
	v_lshrrev_b32_e32 v20, 27, v15
	v_subrev_u32_e32 v23, 28, v22
	v_and_b32_e32 v14, 0x80000000, v15
	v_and_b32_e32 v20, 15, v20
	v_bfe_u32 v21, v15, 27, 4
	v_lshlrev_b32_sdwa v15, v23, v15 dst_sel:DWORD dst_unused:UNUSED_PAD src0_sel:DWORD src1_sel:BYTE_3
	v_sub_u32_e32 v22, 29, v22
	v_and_b32_e32 v15, 7, v15
	v_cmp_eq_u16_e32 vcc, 0, v20
	v_cndmask_b32_e32 v10, v10, v15, vcc
	v_cndmask_b32_e32 v15, v21, v22, vcc
	v_mov_b32_e32 v20, 0x3b800000
	v_lshlrev_b32_e32 v10, 20, v10
	v_lshl_add_u32 v15, v15, 23, v20
	v_or3_b32 v10, v14, v15, v10
.LBB4_828:
	s_or_b64 exec, exec, s[6:7]
	s_movk_i32 s4, 0x7f
	v_cmp_gt_i16_sdwa s[6:7], v11, s4 src0_sel:BYTE_3 src1_sel:DWORD
	s_mov_b64 s[4:5], 0
                                        ; implicit-def: $sgpr10
	s_and_saveexec_b64 s[8:9], s[6:7]
	s_xor_b64 s[6:7], exec, s[8:9]
	s_cbranch_execnz .LBB4_2877
; %bb.829:
	s_or_saveexec_b64 s[6:7], s[6:7]
	v_mov_b32_e32 v14, s10
	s_xor_b64 exec, exec, s[6:7]
	s_cbranch_execnz .LBB4_2880
.LBB4_830:
	s_or_b64 exec, exec, s[6:7]
	s_and_saveexec_b64 s[6:7], s[4:5]
	s_cbranch_execz .LBB4_832
.LBB4_831:
	v_bfe_u32 v14, v11, 24, 3
	v_ffbh_u32_e32 v22, v14
	v_min_u32_e32 v22, 32, v22
	v_lshrrev_b32_e32 v20, 27, v11
	v_subrev_u32_e32 v23, 28, v22
	v_and_b32_e32 v15, 0x80000000, v11
	v_and_b32_e32 v20, 15, v20
	v_bfe_u32 v21, v11, 27, 4
	v_lshlrev_b32_sdwa v11, v23, v11 dst_sel:DWORD dst_unused:UNUSED_PAD src0_sel:DWORD src1_sel:BYTE_3
	v_sub_u32_e32 v22, 29, v22
	v_and_b32_e32 v11, 7, v11
	v_cmp_eq_u16_e32 vcc, 0, v20
	v_cndmask_b32_e32 v11, v14, v11, vcc
	v_cndmask_b32_e32 v14, v21, v22, vcc
	v_mov_b32_e32 v20, 0x3b800000
	v_lshlrev_b32_e32 v11, 20, v11
	v_lshl_add_u32 v14, v14, 23, v20
	v_or3_b32 v14, v15, v14, v11
.LBB4_832:
	s_or_b64 exec, exec, s[6:7]
	s_nop 0
	v_mfma_f32_16x16x4f32 a[0:3], v10, v14, a[0:3]
	s_movk_i32 s4, 0x7f
	v_cmp_gt_i16_sdwa s[6:7], v16, s4 src0_sel:BYTE_0 src1_sel:DWORD
	s_mov_b64 s[4:5], 0
                                        ; implicit-def: $sgpr10
	s_and_saveexec_b64 s[8:9], s[6:7]
	s_xor_b64 s[6:7], exec, s[8:9]
	s_cbranch_execnz .LBB4_2881
; %bb.833:
	s_or_saveexec_b64 s[6:7], s[6:7]
	v_mov_b32_e32 v10, s10
	s_xor_b64 exec, exec, s[6:7]
	s_cbranch_execnz .LBB4_2884
.LBB4_834:
	s_or_b64 exec, exec, s[6:7]
	s_and_saveexec_b64 s[6:7], s[4:5]
	s_cbranch_execz .LBB4_836
.LBB4_835:
	v_and_b32_e32 v10, 7, v16
	v_ffbh_u32_e32 v14, v10
	v_min_u32_e32 v14, 32, v14
	v_lshrrev_b16_e32 v11, 3, v16
	v_subrev_u32_e32 v15, 28, v14
	v_and_b32_e32 v11, 15, v11
	v_lshlrev_b32_e32 v15, v15, v16
	v_sub_u32_e32 v14, 29, v14
	v_and_b32_e32 v15, 7, v15
	v_cmp_eq_u16_e32 vcc, 0, v11
	v_cndmask_b32_e32 v10, v10, v15, vcc
	v_cndmask_b32_e32 v11, v11, v14, vcc
	v_lshlrev_b32_e32 v14, 24, v16
	v_mov_b32_e32 v15, 0x3b800000
	v_lshlrev_b32_e32 v10, 20, v10
	v_and_b32_e32 v14, 0x80000000, v14
	v_lshl_add_u32 v11, v11, 23, v15
	v_or3_b32 v10, v14, v11, v10
.LBB4_836:
	s_or_b64 exec, exec, s[6:7]
	s_movk_i32 s4, 0x7f
	v_cmp_gt_i16_sdwa s[6:7], v12, s4 src0_sel:BYTE_0 src1_sel:DWORD
	s_mov_b64 s[4:5], 0
                                        ; implicit-def: $sgpr10
	s_and_saveexec_b64 s[8:9], s[6:7]
	s_xor_b64 s[6:7], exec, s[8:9]
	s_cbranch_execnz .LBB4_2885
; %bb.837:
	s_or_saveexec_b64 s[6:7], s[6:7]
	v_mov_b32_e32 v11, s10
	s_xor_b64 exec, exec, s[6:7]
	s_cbranch_execnz .LBB4_2888
.LBB4_838:
	s_or_b64 exec, exec, s[6:7]
	s_and_saveexec_b64 s[6:7], s[4:5]
	s_cbranch_execz .LBB4_840
.LBB4_839:
	v_and_b32_e32 v11, 7, v12
	v_ffbh_u32_e32 v15, v11
	v_min_u32_e32 v15, 32, v15
	v_lshrrev_b16_e32 v14, 3, v12
	v_subrev_u32_e32 v20, 28, v15
	v_and_b32_e32 v14, 15, v14
	v_lshlrev_b32_e32 v20, v20, v12
	v_sub_u32_e32 v15, 29, v15
	v_and_b32_e32 v20, 7, v20
	v_cmp_eq_u16_e32 vcc, 0, v14
	v_cndmask_b32_e32 v11, v11, v20, vcc
	v_cndmask_b32_e32 v14, v14, v15, vcc
	v_lshlrev_b32_e32 v15, 24, v12
	v_mov_b32_e32 v20, 0x3b800000
	v_lshlrev_b32_e32 v11, 20, v11
	v_and_b32_e32 v15, 0x80000000, v15
	v_lshl_add_u32 v14, v14, 23, v20
	v_or3_b32 v11, v15, v14, v11
.LBB4_840:
	s_or_b64 exec, exec, s[6:7]
	s_nop 0
	v_mfma_f32_16x16x4f32 a[0:3], v10, v11, a[0:3]
	v_lshrrev_b32_e32 v11, 8, v16
	s_movk_i32 s4, 0x7f
	v_cmp_gt_i16_sdwa s[6:7], v11, s4 src0_sel:BYTE_0 src1_sel:DWORD
	s_mov_b64 s[4:5], 0
                                        ; implicit-def: $sgpr10
	s_and_saveexec_b64 s[8:9], s[6:7]
	s_xor_b64 s[6:7], exec, s[8:9]
	s_cbranch_execnz .LBB4_2889
; %bb.841:
	s_or_saveexec_b64 s[6:7], s[6:7]
	v_mov_b32_e32 v10, s10
	s_xor_b64 exec, exec, s[6:7]
	s_cbranch_execnz .LBB4_2892
.LBB4_842:
	s_or_b64 exec, exec, s[6:7]
	s_and_saveexec_b64 s[6:7], s[4:5]
	s_cbranch_execz .LBB4_844
.LBB4_843:
	v_bfe_u32 v10, v16, 8, 3
	v_ffbh_u32_e32 v15, v10
	v_min_u32_e32 v15, 32, v15
	v_lshrrev_b16_e32 v14, 3, v11
	v_subrev_u32_e32 v20, 28, v15
	v_and_b32_e32 v14, 15, v14
	v_lshlrev_b32_e32 v11, v20, v11
	v_sub_u32_e32 v15, 29, v15
	v_and_b32_e32 v11, 7, v11
	v_cmp_eq_u16_e32 vcc, 0, v14
	v_cndmask_b32_e32 v10, v10, v11, vcc
	v_cndmask_b32_e32 v11, v14, v15, vcc
	v_lshlrev_b32_e32 v14, 16, v16
	v_mov_b32_e32 v15, 0x3b800000
	v_lshlrev_b32_e32 v10, 20, v10
	v_and_b32_e32 v14, 0x80000000, v14
	v_lshl_add_u32 v11, v11, 23, v15
	v_or3_b32 v10, v14, v11, v10
.LBB4_844:
	s_or_b64 exec, exec, s[6:7]
	v_lshrrev_b32_e32 v11, 8, v12
	s_movk_i32 s4, 0x7f
	v_cmp_gt_i16_sdwa s[6:7], v11, s4 src0_sel:BYTE_0 src1_sel:DWORD
	s_mov_b64 s[4:5], 0
                                        ; implicit-def: $sgpr10
	s_and_saveexec_b64 s[8:9], s[6:7]
	s_xor_b64 s[6:7], exec, s[8:9]
	s_cbranch_execnz .LBB4_2893
; %bb.845:
	s_or_saveexec_b64 s[6:7], s[6:7]
	v_mov_b32_e32 v14, s10
	s_xor_b64 exec, exec, s[6:7]
	s_cbranch_execnz .LBB4_2896
.LBB4_846:
	s_or_b64 exec, exec, s[6:7]
	s_and_saveexec_b64 s[6:7], s[4:5]
	s_cbranch_execz .LBB4_848
.LBB4_847:
	v_bfe_u32 v14, v12, 8, 3
	v_ffbh_u32_e32 v20, v14
	v_min_u32_e32 v20, 32, v20
	v_lshrrev_b16_e32 v15, 3, v11
	v_subrev_u32_e32 v21, 28, v20
	v_and_b32_e32 v15, 15, v15
	v_lshlrev_b32_e32 v11, v21, v11
	v_sub_u32_e32 v20, 29, v20
	v_and_b32_e32 v11, 7, v11
	v_cmp_eq_u16_e32 vcc, 0, v15
	v_cndmask_b32_e32 v11, v14, v11, vcc
	v_cndmask_b32_e32 v14, v15, v20, vcc
	v_lshlrev_b32_e32 v15, 16, v12
	v_mov_b32_e32 v20, 0x3b800000
	v_lshlrev_b32_e32 v11, 20, v11
	v_and_b32_e32 v15, 0x80000000, v15
	v_lshl_add_u32 v14, v14, 23, v20
	v_or3_b32 v14, v15, v14, v11
.LBB4_848:
	s_or_b64 exec, exec, s[6:7]
	s_nop 0
	v_mfma_f32_16x16x4f32 a[0:3], v10, v14, a[0:3]
	s_movk_i32 s4, 0xff
	v_and_b32_sdwa v11, v16, s4 dst_sel:DWORD dst_unused:UNUSED_PAD src0_sel:WORD_1 src1_sel:DWORD
	s_movk_i32 s4, 0x7f
	v_cmp_lt_i16_e32 vcc, s4, v11
	s_mov_b64 s[4:5], 0
                                        ; implicit-def: $sgpr10
	s_and_saveexec_b64 s[6:7], vcc
	s_xor_b64 s[6:7], exec, s[6:7]
	s_cbranch_execnz .LBB4_2897
; %bb.849:
	s_or_saveexec_b64 s[6:7], s[6:7]
	v_mov_b32_e32 v10, s10
	s_xor_b64 exec, exec, s[6:7]
	s_cbranch_execnz .LBB4_2900
.LBB4_850:
	s_or_b64 exec, exec, s[6:7]
	s_and_saveexec_b64 s[6:7], s[4:5]
	s_cbranch_execz .LBB4_852
.LBB4_851:
	v_bfe_u32 v10, v16, 16, 3
	v_ffbh_u32_e32 v15, v10
	v_min_u32_e32 v15, 32, v15
	v_lshrrev_b32_e32 v11, 19, v16
	v_subrev_u32_e32 v20, 28, v15
	v_and_b32_e32 v11, 15, v11
	v_lshlrev_b32_sdwa v20, v20, v16 dst_sel:DWORD dst_unused:UNUSED_PAD src0_sel:DWORD src1_sel:WORD_1
	v_bfe_u32 v14, v16, 19, 4
	v_sub_u32_e32 v15, 29, v15
	v_and_b32_e32 v20, 7, v20
	v_cmp_eq_u16_e32 vcc, 0, v11
	v_cndmask_b32_e32 v10, v10, v20, vcc
	v_cndmask_b32_e32 v11, v14, v15, vcc
	v_lshlrev_b32_e32 v14, 8, v16
	v_mov_b32_e32 v15, 0x3b800000
	v_lshlrev_b32_e32 v10, 20, v10
	v_and_b32_e32 v14, 0x80000000, v14
	v_lshl_add_u32 v11, v11, 23, v15
	v_or3_b32 v10, v14, v11, v10
.LBB4_852:
	s_or_b64 exec, exec, s[6:7]
	s_movk_i32 s4, 0xff
	v_and_b32_sdwa v11, v12, s4 dst_sel:DWORD dst_unused:UNUSED_PAD src0_sel:WORD_1 src1_sel:DWORD
	s_movk_i32 s4, 0x7f
	v_cmp_lt_i16_e32 vcc, s4, v11
	s_mov_b64 s[4:5], 0
                                        ; implicit-def: $sgpr10
	s_and_saveexec_b64 s[6:7], vcc
	s_xor_b64 s[6:7], exec, s[6:7]
	s_cbranch_execnz .LBB4_2901
; %bb.853:
	s_or_saveexec_b64 s[6:7], s[6:7]
	v_mov_b32_e32 v14, s10
	s_xor_b64 exec, exec, s[6:7]
	s_cbranch_execnz .LBB4_2904
.LBB4_854:
	s_or_b64 exec, exec, s[6:7]
	s_and_saveexec_b64 s[6:7], s[4:5]
	s_cbranch_execz .LBB4_856
.LBB4_855:
	v_bfe_u32 v11, v12, 16, 3
	v_ffbh_u32_e32 v20, v11
	v_min_u32_e32 v20, 32, v20
	v_lshrrev_b32_e32 v14, 19, v12
	v_subrev_u32_e32 v21, 28, v20
	v_and_b32_e32 v14, 15, v14
	v_lshlrev_b32_sdwa v21, v21, v12 dst_sel:DWORD dst_unused:UNUSED_PAD src0_sel:DWORD src1_sel:WORD_1
	v_bfe_u32 v15, v12, 19, 4
	v_sub_u32_e32 v20, 29, v20
	v_and_b32_e32 v21, 7, v21
	v_cmp_eq_u16_e32 vcc, 0, v14
	v_cndmask_b32_e32 v11, v11, v21, vcc
	v_cndmask_b32_e32 v14, v15, v20, vcc
	v_lshlrev_b32_e32 v15, 8, v12
	v_mov_b32_e32 v20, 0x3b800000
	v_lshlrev_b32_e32 v11, 20, v11
	v_and_b32_e32 v15, 0x80000000, v15
	v_lshl_add_u32 v14, v14, 23, v20
	v_or3_b32 v14, v15, v14, v11
.LBB4_856:
	s_or_b64 exec, exec, s[6:7]
	s_nop 0
	v_mfma_f32_16x16x4f32 a[0:3], v10, v14, a[0:3]
	s_movk_i32 s4, 0x7f
	v_cmp_gt_i16_sdwa s[6:7], v16, s4 src0_sel:BYTE_3 src1_sel:DWORD
	s_mov_b64 s[4:5], 0
                                        ; implicit-def: $sgpr10
	s_and_saveexec_b64 s[8:9], s[6:7]
	s_xor_b64 s[6:7], exec, s[8:9]
	s_cbranch_execnz .LBB4_2905
; %bb.857:
	s_or_saveexec_b64 s[6:7], s[6:7]
	v_mov_b32_e32 v10, s10
	s_xor_b64 exec, exec, s[6:7]
	s_cbranch_execnz .LBB4_2908
.LBB4_858:
	s_or_b64 exec, exec, s[6:7]
	s_and_saveexec_b64 s[6:7], s[4:5]
	s_cbranch_execz .LBB4_860
.LBB4_859:
	v_bfe_u32 v10, v16, 24, 3
	v_ffbh_u32_e32 v20, v10
	v_min_u32_e32 v20, 32, v20
	v_lshrrev_b32_e32 v14, 27, v16
	v_subrev_u32_e32 v21, 28, v20
	v_and_b32_e32 v11, 0x80000000, v16
	v_and_b32_e32 v14, 15, v14
	v_bfe_u32 v15, v16, 27, 4
	v_lshlrev_b32_sdwa v16, v21, v16 dst_sel:DWORD dst_unused:UNUSED_PAD src0_sel:DWORD src1_sel:BYTE_3
	v_sub_u32_e32 v20, 29, v20
	v_and_b32_e32 v16, 7, v16
	v_cmp_eq_u16_e32 vcc, 0, v14
	v_cndmask_b32_e32 v10, v10, v16, vcc
	v_cndmask_b32_e32 v14, v15, v20, vcc
	v_mov_b32_e32 v15, 0x3b800000
	v_lshlrev_b32_e32 v10, 20, v10
	v_lshl_add_u32 v14, v14, 23, v15
	v_or3_b32 v10, v11, v14, v10
.LBB4_860:
	s_or_b64 exec, exec, s[6:7]
	s_movk_i32 s4, 0x7f
	v_cmp_gt_i16_sdwa s[6:7], v12, s4 src0_sel:BYTE_3 src1_sel:DWORD
	s_mov_b64 s[4:5], 0
                                        ; implicit-def: $sgpr10
	s_and_saveexec_b64 s[8:9], s[6:7]
	s_xor_b64 s[6:7], exec, s[8:9]
	s_cbranch_execnz .LBB4_2909
; %bb.861:
	s_or_saveexec_b64 s[6:7], s[6:7]
	v_mov_b32_e32 v11, s10
	s_xor_b64 exec, exec, s[6:7]
	s_cbranch_execnz .LBB4_2912
.LBB4_862:
	s_or_b64 exec, exec, s[6:7]
	s_and_saveexec_b64 s[6:7], s[4:5]
	s_cbranch_execz .LBB4_864
.LBB4_863:
	v_bfe_u32 v11, v12, 24, 3
	v_ffbh_u32_e32 v20, v11
	v_min_u32_e32 v20, 32, v20
	v_lshrrev_b32_e32 v15, 27, v12
	v_subrev_u32_e32 v21, 28, v20
	v_and_b32_e32 v14, 0x80000000, v12
	v_and_b32_e32 v15, 15, v15
	v_bfe_u32 v16, v12, 27, 4
	v_lshlrev_b32_sdwa v12, v21, v12 dst_sel:DWORD dst_unused:UNUSED_PAD src0_sel:DWORD src1_sel:BYTE_3
	v_sub_u32_e32 v20, 29, v20
	v_and_b32_e32 v12, 7, v12
	v_cmp_eq_u16_e32 vcc, 0, v15
	v_cndmask_b32_e32 v11, v11, v12, vcc
	v_cndmask_b32_e32 v12, v16, v20, vcc
	v_mov_b32_e32 v15, 0x3b800000
	v_lshlrev_b32_e32 v11, 20, v11
	v_lshl_add_u32 v12, v12, 23, v15
	v_or3_b32 v11, v14, v12, v11
.LBB4_864:
	s_or_b64 exec, exec, s[6:7]
	s_nop 0
	v_mfma_f32_16x16x4f32 a[0:3], v10, v11, a[0:3]
	s_movk_i32 s4, 0x7f
	v_cmp_gt_i16_sdwa s[6:7], v17, s4 src0_sel:BYTE_0 src1_sel:DWORD
	s_mov_b64 s[4:5], 0
                                        ; implicit-def: $sgpr10
	s_and_saveexec_b64 s[8:9], s[6:7]
	s_xor_b64 s[6:7], exec, s[8:9]
	s_cbranch_execnz .LBB4_2913
; %bb.865:
	s_or_saveexec_b64 s[6:7], s[6:7]
	v_mov_b32_e32 v10, s10
	s_xor_b64 exec, exec, s[6:7]
	s_cbranch_execnz .LBB4_2916
.LBB4_866:
	s_or_b64 exec, exec, s[6:7]
	s_and_saveexec_b64 s[6:7], s[4:5]
	s_cbranch_execz .LBB4_868
.LBB4_867:
	v_and_b32_e32 v10, 7, v17
	v_ffbh_u32_e32 v12, v10
	v_min_u32_e32 v12, 32, v12
	v_lshrrev_b16_e32 v11, 3, v17
	v_subrev_u32_e32 v14, 28, v12
	v_and_b32_e32 v11, 15, v11
	v_lshlrev_b32_e32 v14, v14, v17
	v_sub_u32_e32 v12, 29, v12
	v_and_b32_e32 v14, 7, v14
	v_cmp_eq_u16_e32 vcc, 0, v11
	v_cndmask_b32_e32 v10, v10, v14, vcc
	v_cndmask_b32_e32 v11, v11, v12, vcc
	v_lshlrev_b32_e32 v12, 24, v17
	v_mov_b32_e32 v14, 0x3b800000
	v_lshlrev_b32_e32 v10, 20, v10
	v_and_b32_e32 v12, 0x80000000, v12
	v_lshl_add_u32 v11, v11, 23, v14
	v_or3_b32 v10, v12, v11, v10
.LBB4_868:
	s_or_b64 exec, exec, s[6:7]
	s_movk_i32 s4, 0x7f
	v_cmp_gt_i16_sdwa s[6:7], v13, s4 src0_sel:BYTE_0 src1_sel:DWORD
	s_mov_b64 s[4:5], 0
                                        ; implicit-def: $sgpr10
	s_and_saveexec_b64 s[8:9], s[6:7]
	s_xor_b64 s[6:7], exec, s[8:9]
	s_cbranch_execnz .LBB4_2917
; %bb.869:
	s_or_saveexec_b64 s[6:7], s[6:7]
	v_mov_b32_e32 v11, s10
	s_xor_b64 exec, exec, s[6:7]
	s_cbranch_execnz .LBB4_2920
.LBB4_870:
	s_or_b64 exec, exec, s[6:7]
	s_and_saveexec_b64 s[6:7], s[4:5]
	s_cbranch_execz .LBB4_872
.LBB4_871:
	v_and_b32_e32 v11, 7, v13
	v_ffbh_u32_e32 v14, v11
	v_min_u32_e32 v14, 32, v14
	v_lshrrev_b16_e32 v12, 3, v13
	v_subrev_u32_e32 v15, 28, v14
	v_and_b32_e32 v12, 15, v12
	v_lshlrev_b32_e32 v15, v15, v13
	v_sub_u32_e32 v14, 29, v14
	v_and_b32_e32 v15, 7, v15
	v_cmp_eq_u16_e32 vcc, 0, v12
	v_cndmask_b32_e32 v11, v11, v15, vcc
	v_cndmask_b32_e32 v12, v12, v14, vcc
	v_lshlrev_b32_e32 v14, 24, v13
	v_mov_b32_e32 v15, 0x3b800000
	v_lshlrev_b32_e32 v11, 20, v11
	v_and_b32_e32 v14, 0x80000000, v14
	v_lshl_add_u32 v12, v12, 23, v15
	v_or3_b32 v11, v14, v12, v11
.LBB4_872:
	s_or_b64 exec, exec, s[6:7]
	s_nop 0
	v_mfma_f32_16x16x4f32 a[0:3], v10, v11, a[0:3]
	v_lshrrev_b32_e32 v11, 8, v17
	s_movk_i32 s4, 0x7f
	v_cmp_gt_i16_sdwa s[6:7], v11, s4 src0_sel:BYTE_0 src1_sel:DWORD
	s_mov_b64 s[4:5], 0
                                        ; implicit-def: $sgpr10
	s_and_saveexec_b64 s[8:9], s[6:7]
	s_xor_b64 s[6:7], exec, s[8:9]
	s_cbranch_execnz .LBB4_2921
; %bb.873:
	s_or_saveexec_b64 s[6:7], s[6:7]
	v_mov_b32_e32 v10, s10
	s_xor_b64 exec, exec, s[6:7]
	s_cbranch_execnz .LBB4_2924
.LBB4_874:
	s_or_b64 exec, exec, s[6:7]
	s_and_saveexec_b64 s[6:7], s[4:5]
	s_cbranch_execz .LBB4_876
.LBB4_875:
	v_bfe_u32 v10, v17, 8, 3
	v_ffbh_u32_e32 v14, v10
	v_min_u32_e32 v14, 32, v14
	v_lshrrev_b16_e32 v12, 3, v11
	v_subrev_u32_e32 v15, 28, v14
	v_and_b32_e32 v12, 15, v12
	v_lshlrev_b32_e32 v11, v15, v11
	v_sub_u32_e32 v14, 29, v14
	v_and_b32_e32 v11, 7, v11
	v_cmp_eq_u16_e32 vcc, 0, v12
	v_cndmask_b32_e32 v10, v10, v11, vcc
	v_cndmask_b32_e32 v11, v12, v14, vcc
	v_lshlrev_b32_e32 v12, 16, v17
	v_mov_b32_e32 v14, 0x3b800000
	v_lshlrev_b32_e32 v10, 20, v10
	v_and_b32_e32 v12, 0x80000000, v12
	v_lshl_add_u32 v11, v11, 23, v14
	v_or3_b32 v10, v12, v11, v10
.LBB4_876:
	s_or_b64 exec, exec, s[6:7]
	v_lshrrev_b32_e32 v11, 8, v13
	s_movk_i32 s4, 0x7f
	v_cmp_gt_i16_sdwa s[6:7], v11, s4 src0_sel:BYTE_0 src1_sel:DWORD
	s_mov_b64 s[4:5], 0
                                        ; implicit-def: $sgpr10
	s_and_saveexec_b64 s[8:9], s[6:7]
	s_xor_b64 s[6:7], exec, s[8:9]
	s_cbranch_execnz .LBB4_2925
; %bb.877:
	s_or_saveexec_b64 s[6:7], s[6:7]
	v_mov_b32_e32 v12, s10
	s_xor_b64 exec, exec, s[6:7]
	s_cbranch_execnz .LBB4_2928
.LBB4_878:
	s_or_b64 exec, exec, s[6:7]
	s_and_saveexec_b64 s[6:7], s[4:5]
	s_cbranch_execz .LBB4_880
.LBB4_879:
	v_bfe_u32 v12, v13, 8, 3
	v_ffbh_u32_e32 v15, v12
	v_min_u32_e32 v15, 32, v15
	v_lshrrev_b16_e32 v14, 3, v11
	v_subrev_u32_e32 v16, 28, v15
	v_and_b32_e32 v14, 15, v14
	v_lshlrev_b32_e32 v11, v16, v11
	v_sub_u32_e32 v15, 29, v15
	v_and_b32_e32 v11, 7, v11
	v_cmp_eq_u16_e32 vcc, 0, v14
	v_cndmask_b32_e32 v11, v12, v11, vcc
	v_cndmask_b32_e32 v12, v14, v15, vcc
	v_lshlrev_b32_e32 v14, 16, v13
	v_mov_b32_e32 v15, 0x3b800000
	v_lshlrev_b32_e32 v11, 20, v11
	v_and_b32_e32 v14, 0x80000000, v14
	v_lshl_add_u32 v12, v12, 23, v15
	v_or3_b32 v12, v14, v12, v11
.LBB4_880:
	s_or_b64 exec, exec, s[6:7]
	s_nop 0
	v_mfma_f32_16x16x4f32 a[0:3], v10, v12, a[0:3]
	s_movk_i32 s4, 0xff
	v_and_b32_sdwa v11, v17, s4 dst_sel:DWORD dst_unused:UNUSED_PAD src0_sel:WORD_1 src1_sel:DWORD
	s_movk_i32 s4, 0x7f
	v_cmp_lt_i16_e32 vcc, s4, v11
	s_mov_b64 s[4:5], 0
                                        ; implicit-def: $sgpr10
	s_and_saveexec_b64 s[6:7], vcc
	s_xor_b64 s[6:7], exec, s[6:7]
	s_cbranch_execnz .LBB4_2929
; %bb.881:
	s_or_saveexec_b64 s[6:7], s[6:7]
	v_mov_b32_e32 v10, s10
	s_xor_b64 exec, exec, s[6:7]
	s_cbranch_execnz .LBB4_2932
.LBB4_882:
	s_or_b64 exec, exec, s[6:7]
	s_and_saveexec_b64 s[6:7], s[4:5]
	s_cbranch_execz .LBB4_884
.LBB4_883:
	v_bfe_u32 v10, v17, 16, 3
	v_ffbh_u32_e32 v14, v10
	v_min_u32_e32 v14, 32, v14
	v_lshrrev_b32_e32 v11, 19, v17
	v_subrev_u32_e32 v15, 28, v14
	v_and_b32_e32 v11, 15, v11
	v_lshlrev_b32_sdwa v15, v15, v17 dst_sel:DWORD dst_unused:UNUSED_PAD src0_sel:DWORD src1_sel:WORD_1
	v_bfe_u32 v12, v17, 19, 4
	v_sub_u32_e32 v14, 29, v14
	v_and_b32_e32 v15, 7, v15
	v_cmp_eq_u16_e32 vcc, 0, v11
	v_cndmask_b32_e32 v10, v10, v15, vcc
	v_cndmask_b32_e32 v11, v12, v14, vcc
	v_lshlrev_b32_e32 v12, 8, v17
	v_mov_b32_e32 v14, 0x3b800000
	v_lshlrev_b32_e32 v10, 20, v10
	v_and_b32_e32 v12, 0x80000000, v12
	v_lshl_add_u32 v11, v11, 23, v14
	v_or3_b32 v10, v12, v11, v10
.LBB4_884:
	s_or_b64 exec, exec, s[6:7]
	s_movk_i32 s4, 0xff
	v_and_b32_sdwa v11, v13, s4 dst_sel:DWORD dst_unused:UNUSED_PAD src0_sel:WORD_1 src1_sel:DWORD
	s_movk_i32 s4, 0x7f
	v_cmp_lt_i16_e32 vcc, s4, v11
	s_mov_b64 s[4:5], 0
                                        ; implicit-def: $sgpr10
	s_and_saveexec_b64 s[6:7], vcc
	s_xor_b64 s[6:7], exec, s[6:7]
	s_cbranch_execnz .LBB4_2933
; %bb.885:
	s_or_saveexec_b64 s[6:7], s[6:7]
	v_mov_b32_e32 v12, s10
	s_xor_b64 exec, exec, s[6:7]
	s_cbranch_execnz .LBB4_2936
.LBB4_886:
	s_or_b64 exec, exec, s[6:7]
	s_and_saveexec_b64 s[6:7], s[4:5]
	s_cbranch_execz .LBB4_888
.LBB4_887:
	v_bfe_u32 v11, v13, 16, 3
	v_ffbh_u32_e32 v15, v11
	v_min_u32_e32 v15, 32, v15
	v_lshrrev_b32_e32 v12, 19, v13
	v_subrev_u32_e32 v16, 28, v15
	v_and_b32_e32 v12, 15, v12
	v_lshlrev_b32_sdwa v16, v16, v13 dst_sel:DWORD dst_unused:UNUSED_PAD src0_sel:DWORD src1_sel:WORD_1
	v_bfe_u32 v14, v13, 19, 4
	v_sub_u32_e32 v15, 29, v15
	v_and_b32_e32 v16, 7, v16
	v_cmp_eq_u16_e32 vcc, 0, v12
	v_cndmask_b32_e32 v11, v11, v16, vcc
	v_cndmask_b32_e32 v12, v14, v15, vcc
	v_lshlrev_b32_e32 v14, 8, v13
	v_mov_b32_e32 v15, 0x3b800000
	v_lshlrev_b32_e32 v11, 20, v11
	v_and_b32_e32 v14, 0x80000000, v14
	v_lshl_add_u32 v12, v12, 23, v15
	v_or3_b32 v12, v14, v12, v11
.LBB4_888:
	s_or_b64 exec, exec, s[6:7]
	s_nop 0
	v_mfma_f32_16x16x4f32 a[0:3], v10, v12, a[0:3]
	s_movk_i32 s4, 0x7f
	v_cmp_gt_i16_sdwa s[6:7], v17, s4 src0_sel:BYTE_3 src1_sel:DWORD
	s_mov_b64 s[4:5], 0
                                        ; implicit-def: $sgpr10
	s_and_saveexec_b64 s[8:9], s[6:7]
	s_xor_b64 s[6:7], exec, s[8:9]
	s_cbranch_execnz .LBB4_2937
; %bb.889:
	s_or_saveexec_b64 s[6:7], s[6:7]
	v_mov_b32_e32 v10, s10
	s_xor_b64 exec, exec, s[6:7]
	s_cbranch_execnz .LBB4_2940
.LBB4_890:
	s_or_b64 exec, exec, s[6:7]
	s_and_saveexec_b64 s[6:7], s[4:5]
	s_cbranch_execz .LBB4_892
.LBB4_891:
	v_bfe_u32 v10, v17, 24, 3
	v_ffbh_u32_e32 v15, v10
	v_min_u32_e32 v15, 32, v15
	v_lshrrev_b32_e32 v12, 27, v17
	v_subrev_u32_e32 v16, 28, v15
	v_and_b32_e32 v12, 15, v12
	v_lshlrev_b32_sdwa v16, v16, v17 dst_sel:DWORD dst_unused:UNUSED_PAD src0_sel:DWORD src1_sel:BYTE_3
	v_bfe_u32 v14, v17, 27, 4
	v_sub_u32_e32 v15, 29, v15
	v_and_b32_e32 v16, 7, v16
	v_cmp_eq_u16_e32 vcc, 0, v12
	v_cndmask_b32_e32 v10, v10, v16, vcc
	v_cndmask_b32_e32 v12, v14, v15, vcc
	v_mov_b32_e32 v14, 0x3b800000
	v_and_b32_e32 v11, 0x80000000, v17
	v_lshlrev_b32_e32 v10, 20, v10
	v_lshl_add_u32 v12, v12, 23, v14
	v_or3_b32 v10, v11, v12, v10
.LBB4_892:
	s_or_b64 exec, exec, s[6:7]
	s_movk_i32 s4, 0x7f
	v_cmp_gt_i16_sdwa s[6:7], v13, s4 src0_sel:BYTE_3 src1_sel:DWORD
	s_mov_b64 s[4:5], 0
                                        ; implicit-def: $sgpr10
	s_and_saveexec_b64 s[8:9], s[6:7]
	s_xor_b64 s[6:7], exec, s[8:9]
	s_cbranch_execnz .LBB4_2941
; %bb.893:
	s_or_saveexec_b64 s[6:7], s[6:7]
	v_mov_b32_e32 v11, s10
	s_xor_b64 exec, exec, s[6:7]
	s_cbranch_execnz .LBB4_2944
.LBB4_894:
	s_or_b64 exec, exec, s[6:7]
	s_and_saveexec_b64 s[6:7], s[4:5]
	s_cbranch_execz .LBB4_896
.LBB4_895:
	v_bfe_u32 v11, v13, 24, 3
	v_ffbh_u32_e32 v16, v11
	v_min_u32_e32 v16, 32, v16
	v_lshrrev_b32_e32 v14, 27, v13
	v_subrev_u32_e32 v17, 28, v16
	v_and_b32_e32 v12, 0x80000000, v13
	v_and_b32_e32 v14, 15, v14
	v_bfe_u32 v15, v13, 27, 4
	v_lshlrev_b32_sdwa v13, v17, v13 dst_sel:DWORD dst_unused:UNUSED_PAD src0_sel:DWORD src1_sel:BYTE_3
	v_sub_u32_e32 v16, 29, v16
	v_and_b32_e32 v13, 7, v13
	v_cmp_eq_u16_e32 vcc, 0, v14
	v_cndmask_b32_e32 v11, v11, v13, vcc
	v_cndmask_b32_e32 v13, v15, v16, vcc
	v_mov_b32_e32 v14, 0x3b800000
	v_lshlrev_b32_e32 v11, 20, v11
	v_lshl_add_u32 v13, v13, 23, v14
	v_or3_b32 v11, v12, v13, v11
.LBB4_896:
	s_or_b64 exec, exec, s[6:7]
	s_nop 0
	v_mfma_f32_16x16x4f32 a[0:3], v10, v11, a[0:3]
	s_movk_i32 s4, 0x7f
	v_cmp_gt_i16_sdwa s[6:7], v6, s4 src0_sel:BYTE_0 src1_sel:DWORD
	s_mov_b64 s[4:5], 0
                                        ; implicit-def: $sgpr10
	s_and_saveexec_b64 s[8:9], s[6:7]
	s_xor_b64 s[6:7], exec, s[8:9]
	s_cbranch_execnz .LBB4_2945
; %bb.897:
	s_or_saveexec_b64 s[6:7], s[6:7]
	v_mov_b32_e32 v10, s10
	s_xor_b64 exec, exec, s[6:7]
	s_cbranch_execnz .LBB4_2948
.LBB4_898:
	s_or_b64 exec, exec, s[6:7]
	s_and_saveexec_b64 s[6:7], s[4:5]
	s_cbranch_execz .LBB4_900
.LBB4_899:
	v_and_b32_e32 v10, 7, v6
	v_ffbh_u32_e32 v12, v10
	v_min_u32_e32 v12, 32, v12
	v_lshrrev_b16_e32 v11, 3, v6
	v_subrev_u32_e32 v13, 28, v12
	v_and_b32_e32 v11, 15, v11
	v_lshlrev_b32_e32 v13, v13, v6
	v_sub_u32_e32 v12, 29, v12
	v_and_b32_e32 v13, 7, v13
	v_cmp_eq_u16_e32 vcc, 0, v11
	v_cndmask_b32_e32 v10, v10, v13, vcc
	v_cndmask_b32_e32 v11, v11, v12, vcc
	v_lshlrev_b32_e32 v12, 24, v6
	v_mov_b32_e32 v13, 0x3b800000
	v_lshlrev_b32_e32 v10, 20, v10
	v_and_b32_e32 v12, 0x80000000, v12
	v_lshl_add_u32 v11, v11, 23, v13
	v_or3_b32 v10, v12, v11, v10
.LBB4_900:
	s_or_b64 exec, exec, s[6:7]
	s_movk_i32 s4, 0x7f
	v_cmp_gt_i16_sdwa s[6:7], v2, s4 src0_sel:BYTE_0 src1_sel:DWORD
	s_mov_b64 s[4:5], 0
                                        ; implicit-def: $sgpr10
	s_and_saveexec_b64 s[8:9], s[6:7]
	s_xor_b64 s[6:7], exec, s[8:9]
	s_cbranch_execnz .LBB4_2949
; %bb.901:
	s_or_saveexec_b64 s[6:7], s[6:7]
	v_mov_b32_e32 v11, s10
	s_xor_b64 exec, exec, s[6:7]
	s_cbranch_execnz .LBB4_2952
.LBB4_902:
	s_or_b64 exec, exec, s[6:7]
	s_and_saveexec_b64 s[6:7], s[4:5]
	s_cbranch_execz .LBB4_904
.LBB4_903:
	v_and_b32_e32 v11, 7, v2
	v_ffbh_u32_e32 v13, v11
	v_min_u32_e32 v13, 32, v13
	v_lshrrev_b16_e32 v12, 3, v2
	v_subrev_u32_e32 v14, 28, v13
	v_and_b32_e32 v12, 15, v12
	v_lshlrev_b32_e32 v14, v14, v2
	v_sub_u32_e32 v13, 29, v13
	v_and_b32_e32 v14, 7, v14
	v_cmp_eq_u16_e32 vcc, 0, v12
	v_cndmask_b32_e32 v11, v11, v14, vcc
	v_cndmask_b32_e32 v12, v12, v13, vcc
	v_lshlrev_b32_e32 v13, 24, v2
	v_mov_b32_e32 v14, 0x3b800000
	v_lshlrev_b32_e32 v11, 20, v11
	v_and_b32_e32 v13, 0x80000000, v13
	v_lshl_add_u32 v12, v12, 23, v14
	v_or3_b32 v11, v13, v12, v11
.LBB4_904:
	s_or_b64 exec, exec, s[6:7]
	s_nop 0
	v_mfma_f32_16x16x4f32 a[0:3], v10, v11, a[0:3]
	v_lshrrev_b32_e32 v11, 8, v6
	s_movk_i32 s4, 0x7f
	v_cmp_gt_i16_sdwa s[6:7], v11, s4 src0_sel:BYTE_0 src1_sel:DWORD
	s_mov_b64 s[4:5], 0
                                        ; implicit-def: $sgpr10
	s_and_saveexec_b64 s[8:9], s[6:7]
	s_xor_b64 s[6:7], exec, s[8:9]
	s_cbranch_execnz .LBB4_2953
; %bb.905:
	s_or_saveexec_b64 s[6:7], s[6:7]
	v_mov_b32_e32 v10, s10
	s_xor_b64 exec, exec, s[6:7]
	s_cbranch_execnz .LBB4_2956
.LBB4_906:
	s_or_b64 exec, exec, s[6:7]
	s_and_saveexec_b64 s[6:7], s[4:5]
	s_cbranch_execz .LBB4_908
.LBB4_907:
	v_bfe_u32 v10, v6, 8, 3
	v_ffbh_u32_e32 v13, v10
	v_min_u32_e32 v13, 32, v13
	v_lshrrev_b16_e32 v12, 3, v11
	v_subrev_u32_e32 v14, 28, v13
	v_and_b32_e32 v12, 15, v12
	v_lshlrev_b32_e32 v11, v14, v11
	v_sub_u32_e32 v13, 29, v13
	v_and_b32_e32 v11, 7, v11
	v_cmp_eq_u16_e32 vcc, 0, v12
	v_cndmask_b32_e32 v10, v10, v11, vcc
	v_cndmask_b32_e32 v11, v12, v13, vcc
	v_lshlrev_b32_e32 v12, 16, v6
	v_mov_b32_e32 v13, 0x3b800000
	v_lshlrev_b32_e32 v10, 20, v10
	v_and_b32_e32 v12, 0x80000000, v12
	v_lshl_add_u32 v11, v11, 23, v13
	v_or3_b32 v10, v12, v11, v10
.LBB4_908:
	s_or_b64 exec, exec, s[6:7]
	v_lshrrev_b32_e32 v11, 8, v2
	s_movk_i32 s4, 0x7f
	v_cmp_gt_i16_sdwa s[6:7], v11, s4 src0_sel:BYTE_0 src1_sel:DWORD
	s_mov_b64 s[4:5], 0
                                        ; implicit-def: $sgpr10
	s_and_saveexec_b64 s[8:9], s[6:7]
	s_xor_b64 s[6:7], exec, s[8:9]
	s_cbranch_execnz .LBB4_2957
; %bb.909:
	s_or_saveexec_b64 s[6:7], s[6:7]
	v_mov_b32_e32 v12, s10
	s_xor_b64 exec, exec, s[6:7]
	s_cbranch_execnz .LBB4_2960
.LBB4_910:
	s_or_b64 exec, exec, s[6:7]
	s_and_saveexec_b64 s[6:7], s[4:5]
	s_cbranch_execz .LBB4_912
.LBB4_911:
	v_bfe_u32 v12, v2, 8, 3
	v_ffbh_u32_e32 v14, v12
	v_min_u32_e32 v14, 32, v14
	v_lshrrev_b16_e32 v13, 3, v11
	v_subrev_u32_e32 v15, 28, v14
	v_and_b32_e32 v13, 15, v13
	v_lshlrev_b32_e32 v11, v15, v11
	v_sub_u32_e32 v14, 29, v14
	v_and_b32_e32 v11, 7, v11
	v_cmp_eq_u16_e32 vcc, 0, v13
	v_cndmask_b32_e32 v11, v12, v11, vcc
	v_cndmask_b32_e32 v12, v13, v14, vcc
	v_lshlrev_b32_e32 v13, 16, v2
	v_mov_b32_e32 v14, 0x3b800000
	v_lshlrev_b32_e32 v11, 20, v11
	v_and_b32_e32 v13, 0x80000000, v13
	v_lshl_add_u32 v12, v12, 23, v14
	v_or3_b32 v12, v13, v12, v11
.LBB4_912:
	s_or_b64 exec, exec, s[6:7]
	s_nop 0
	v_mfma_f32_16x16x4f32 a[0:3], v10, v12, a[0:3]
	s_movk_i32 s4, 0xff
	v_and_b32_sdwa v11, v6, s4 dst_sel:DWORD dst_unused:UNUSED_PAD src0_sel:WORD_1 src1_sel:DWORD
	s_movk_i32 s4, 0x7f
	v_cmp_lt_i16_e32 vcc, s4, v11
	s_mov_b64 s[4:5], 0
                                        ; implicit-def: $sgpr10
	s_and_saveexec_b64 s[6:7], vcc
	s_xor_b64 s[6:7], exec, s[6:7]
	s_cbranch_execnz .LBB4_2961
; %bb.913:
	s_or_saveexec_b64 s[6:7], s[6:7]
	v_mov_b32_e32 v10, s10
	s_xor_b64 exec, exec, s[6:7]
	s_cbranch_execnz .LBB4_2964
.LBB4_914:
	s_or_b64 exec, exec, s[6:7]
	s_and_saveexec_b64 s[6:7], s[4:5]
	s_cbranch_execz .LBB4_916
.LBB4_915:
	v_bfe_u32 v10, v6, 16, 3
	v_ffbh_u32_e32 v13, v10
	v_min_u32_e32 v13, 32, v13
	v_lshrrev_b32_e32 v11, 19, v6
	v_subrev_u32_e32 v14, 28, v13
	v_and_b32_e32 v11, 15, v11
	v_lshlrev_b32_sdwa v14, v14, v6 dst_sel:DWORD dst_unused:UNUSED_PAD src0_sel:DWORD src1_sel:WORD_1
	v_bfe_u32 v12, v6, 19, 4
	v_sub_u32_e32 v13, 29, v13
	v_and_b32_e32 v14, 7, v14
	v_cmp_eq_u16_e32 vcc, 0, v11
	v_cndmask_b32_e32 v10, v10, v14, vcc
	v_cndmask_b32_e32 v11, v12, v13, vcc
	v_lshlrev_b32_e32 v12, 8, v6
	v_mov_b32_e32 v13, 0x3b800000
	v_lshlrev_b32_e32 v10, 20, v10
	v_and_b32_e32 v12, 0x80000000, v12
	v_lshl_add_u32 v11, v11, 23, v13
	v_or3_b32 v10, v12, v11, v10
.LBB4_916:
	s_or_b64 exec, exec, s[6:7]
	s_movk_i32 s4, 0xff
	v_and_b32_sdwa v11, v2, s4 dst_sel:DWORD dst_unused:UNUSED_PAD src0_sel:WORD_1 src1_sel:DWORD
	s_movk_i32 s4, 0x7f
	v_cmp_lt_i16_e32 vcc, s4, v11
	s_mov_b64 s[4:5], 0
                                        ; implicit-def: $sgpr10
	s_and_saveexec_b64 s[6:7], vcc
	s_xor_b64 s[6:7], exec, s[6:7]
	s_cbranch_execnz .LBB4_2965
; %bb.917:
	s_or_saveexec_b64 s[6:7], s[6:7]
	v_mov_b32_e32 v12, s10
	s_xor_b64 exec, exec, s[6:7]
	s_cbranch_execnz .LBB4_2968
.LBB4_918:
	s_or_b64 exec, exec, s[6:7]
	s_and_saveexec_b64 s[6:7], s[4:5]
	s_cbranch_execz .LBB4_920
.LBB4_919:
	v_bfe_u32 v11, v2, 16, 3
	v_ffbh_u32_e32 v14, v11
	v_min_u32_e32 v14, 32, v14
	v_lshrrev_b32_e32 v12, 19, v2
	v_subrev_u32_e32 v15, 28, v14
	v_and_b32_e32 v12, 15, v12
	v_lshlrev_b32_sdwa v15, v15, v2 dst_sel:DWORD dst_unused:UNUSED_PAD src0_sel:DWORD src1_sel:WORD_1
	v_bfe_u32 v13, v2, 19, 4
	v_sub_u32_e32 v14, 29, v14
	v_and_b32_e32 v15, 7, v15
	v_cmp_eq_u16_e32 vcc, 0, v12
	v_cndmask_b32_e32 v11, v11, v15, vcc
	v_cndmask_b32_e32 v12, v13, v14, vcc
	v_lshlrev_b32_e32 v13, 8, v2
	v_mov_b32_e32 v14, 0x3b800000
	v_lshlrev_b32_e32 v11, 20, v11
	v_and_b32_e32 v13, 0x80000000, v13
	v_lshl_add_u32 v12, v12, 23, v14
	v_or3_b32 v12, v13, v12, v11
.LBB4_920:
	s_or_b64 exec, exec, s[6:7]
	s_nop 0
	v_mfma_f32_16x16x4f32 a[0:3], v10, v12, a[0:3]
	s_movk_i32 s4, 0x7f
	v_cmp_gt_i16_sdwa s[6:7], v6, s4 src0_sel:BYTE_3 src1_sel:DWORD
	s_mov_b64 s[4:5], 0
                                        ; implicit-def: $sgpr10
	s_and_saveexec_b64 s[8:9], s[6:7]
	s_xor_b64 s[6:7], exec, s[8:9]
	s_cbranch_execnz .LBB4_2969
; %bb.921:
	s_or_saveexec_b64 s[6:7], s[6:7]
	v_mov_b32_e32 v10, s10
	s_xor_b64 exec, exec, s[6:7]
	s_cbranch_execnz .LBB4_2972
.LBB4_922:
	s_or_b64 exec, exec, s[6:7]
	s_and_saveexec_b64 s[6:7], s[4:5]
	s_cbranch_execz .LBB4_924
.LBB4_923:
	v_bfe_u32 v10, v6, 24, 3
	v_ffbh_u32_e32 v14, v10
	v_min_u32_e32 v14, 32, v14
	v_lshrrev_b32_e32 v12, 27, v6
	v_subrev_u32_e32 v15, 28, v14
	v_and_b32_e32 v11, 0x80000000, v6
	v_and_b32_e32 v12, 15, v12
	v_bfe_u32 v13, v6, 27, 4
	v_lshlrev_b32_sdwa v6, v15, v6 dst_sel:DWORD dst_unused:UNUSED_PAD src0_sel:DWORD src1_sel:BYTE_3
	v_sub_u32_e32 v14, 29, v14
	v_and_b32_e32 v6, 7, v6
	v_cmp_eq_u16_e32 vcc, 0, v12
	v_cndmask_b32_e32 v6, v10, v6, vcc
	v_cndmask_b32_e32 v10, v13, v14, vcc
	v_mov_b32_e32 v12, 0x3b800000
	v_lshlrev_b32_e32 v6, 20, v6
	v_lshl_add_u32 v10, v10, 23, v12
	v_or3_b32 v10, v11, v10, v6
.LBB4_924:
	s_or_b64 exec, exec, s[6:7]
	s_movk_i32 s4, 0x7f
	v_cmp_gt_i16_sdwa s[6:7], v2, s4 src0_sel:BYTE_3 src1_sel:DWORD
	s_mov_b64 s[4:5], 0
                                        ; implicit-def: $sgpr10
	s_and_saveexec_b64 s[8:9], s[6:7]
	s_xor_b64 s[6:7], exec, s[8:9]
	s_cbranch_execnz .LBB4_2973
; %bb.925:
	s_or_saveexec_b64 s[6:7], s[6:7]
	v_mov_b32_e32 v6, s10
	s_xor_b64 exec, exec, s[6:7]
	s_cbranch_execnz .LBB4_2976
.LBB4_926:
	s_or_b64 exec, exec, s[6:7]
	s_and_saveexec_b64 s[6:7], s[4:5]
	s_cbranch_execz .LBB4_928
.LBB4_927:
	v_bfe_u32 v6, v2, 24, 3
	v_ffbh_u32_e32 v14, v6
	v_min_u32_e32 v14, 32, v14
	v_lshrrev_b32_e32 v12, 27, v2
	v_subrev_u32_e32 v15, 28, v14
	v_and_b32_e32 v11, 0x80000000, v2
	v_and_b32_e32 v12, 15, v12
	v_bfe_u32 v13, v2, 27, 4
	v_lshlrev_b32_sdwa v2, v15, v2 dst_sel:DWORD dst_unused:UNUSED_PAD src0_sel:DWORD src1_sel:BYTE_3
	v_sub_u32_e32 v14, 29, v14
	v_and_b32_e32 v2, 7, v2
	v_cmp_eq_u16_e32 vcc, 0, v12
	v_cndmask_b32_e32 v2, v6, v2, vcc
	v_cndmask_b32_e32 v6, v13, v14, vcc
	v_mov_b32_e32 v12, 0x3b800000
	v_lshlrev_b32_e32 v2, 20, v2
	v_lshl_add_u32 v6, v6, 23, v12
	v_or3_b32 v6, v11, v6, v2
.LBB4_928:
	s_or_b64 exec, exec, s[6:7]
	s_nop 0
	v_mfma_f32_16x16x4f32 a[0:3], v10, v6, a[0:3]
	s_movk_i32 s4, 0x7f
	v_cmp_gt_i16_sdwa s[6:7], v7, s4 src0_sel:BYTE_0 src1_sel:DWORD
	s_mov_b64 s[4:5], 0
                                        ; implicit-def: $sgpr10
	s_and_saveexec_b64 s[8:9], s[6:7]
	s_xor_b64 s[6:7], exec, s[8:9]
	s_cbranch_execnz .LBB4_2977
; %bb.929:
	s_or_saveexec_b64 s[6:7], s[6:7]
	v_mov_b32_e32 v2, s10
	s_xor_b64 exec, exec, s[6:7]
	s_cbranch_execnz .LBB4_2980
.LBB4_930:
	s_or_b64 exec, exec, s[6:7]
	s_and_saveexec_b64 s[6:7], s[4:5]
	s_cbranch_execz .LBB4_932
.LBB4_931:
	v_and_b32_e32 v2, 7, v7
	v_ffbh_u32_e32 v10, v2
	v_min_u32_e32 v10, 32, v10
	v_lshrrev_b16_e32 v6, 3, v7
	v_subrev_u32_e32 v11, 28, v10
	v_and_b32_e32 v6, 15, v6
	v_lshlrev_b32_e32 v11, v11, v7
	v_sub_u32_e32 v10, 29, v10
	v_and_b32_e32 v11, 7, v11
	v_cmp_eq_u16_e32 vcc, 0, v6
	v_cndmask_b32_e32 v2, v2, v11, vcc
	v_cndmask_b32_e32 v6, v6, v10, vcc
	v_lshlrev_b32_e32 v10, 24, v7
	v_mov_b32_e32 v11, 0x3b800000
	v_lshlrev_b32_e32 v2, 20, v2
	v_and_b32_e32 v10, 0x80000000, v10
	v_lshl_add_u32 v6, v6, 23, v11
	v_or3_b32 v2, v10, v6, v2
.LBB4_932:
	s_or_b64 exec, exec, s[6:7]
	s_movk_i32 s4, 0x7f
	v_cmp_gt_i16_sdwa s[6:7], v3, s4 src0_sel:BYTE_0 src1_sel:DWORD
	s_mov_b64 s[4:5], 0
                                        ; implicit-def: $sgpr10
	s_and_saveexec_b64 s[8:9], s[6:7]
	s_xor_b64 s[6:7], exec, s[8:9]
	s_cbranch_execnz .LBB4_2981
; %bb.933:
	s_or_saveexec_b64 s[6:7], s[6:7]
	v_mov_b32_e32 v6, s10
	s_xor_b64 exec, exec, s[6:7]
	s_cbranch_execnz .LBB4_2984
.LBB4_934:
	s_or_b64 exec, exec, s[6:7]
	s_and_saveexec_b64 s[6:7], s[4:5]
	s_cbranch_execz .LBB4_936
.LBB4_935:
	v_and_b32_e32 v6, 7, v3
	v_ffbh_u32_e32 v11, v6
	v_min_u32_e32 v11, 32, v11
	v_lshrrev_b16_e32 v10, 3, v3
	v_subrev_u32_e32 v12, 28, v11
	v_and_b32_e32 v10, 15, v10
	v_lshlrev_b32_e32 v12, v12, v3
	v_sub_u32_e32 v11, 29, v11
	v_and_b32_e32 v12, 7, v12
	v_cmp_eq_u16_e32 vcc, 0, v10
	v_cndmask_b32_e32 v6, v6, v12, vcc
	v_cndmask_b32_e32 v10, v10, v11, vcc
	v_lshlrev_b32_e32 v11, 24, v3
	v_mov_b32_e32 v12, 0x3b800000
	v_lshlrev_b32_e32 v6, 20, v6
	v_and_b32_e32 v11, 0x80000000, v11
	v_lshl_add_u32 v10, v10, 23, v12
	v_or3_b32 v6, v11, v10, v6
.LBB4_936:
	s_or_b64 exec, exec, s[6:7]
	s_nop 0
	v_mfma_f32_16x16x4f32 a[0:3], v2, v6, a[0:3]
	v_lshrrev_b32_e32 v6, 8, v7
	s_movk_i32 s4, 0x7f
	v_cmp_gt_i16_sdwa s[6:7], v6, s4 src0_sel:BYTE_0 src1_sel:DWORD
	s_mov_b64 s[4:5], 0
                                        ; implicit-def: $sgpr10
	s_and_saveexec_b64 s[8:9], s[6:7]
	s_xor_b64 s[6:7], exec, s[8:9]
	s_cbranch_execnz .LBB4_2985
; %bb.937:
	s_or_saveexec_b64 s[6:7], s[6:7]
	v_mov_b32_e32 v2, s10
	s_xor_b64 exec, exec, s[6:7]
	s_cbranch_execnz .LBB4_2988
.LBB4_938:
	s_or_b64 exec, exec, s[6:7]
	s_and_saveexec_b64 s[6:7], s[4:5]
	s_cbranch_execz .LBB4_940
.LBB4_939:
	v_bfe_u32 v2, v7, 8, 3
	v_ffbh_u32_e32 v11, v2
	v_min_u32_e32 v11, 32, v11
	v_lshrrev_b16_e32 v10, 3, v6
	v_subrev_u32_e32 v12, 28, v11
	v_and_b32_e32 v10, 15, v10
	v_lshlrev_b32_e32 v6, v12, v6
	v_sub_u32_e32 v11, 29, v11
	v_and_b32_e32 v6, 7, v6
	v_cmp_eq_u16_e32 vcc, 0, v10
	v_cndmask_b32_e32 v2, v2, v6, vcc
	v_cndmask_b32_e32 v6, v10, v11, vcc
	v_lshlrev_b32_e32 v10, 16, v7
	v_mov_b32_e32 v11, 0x3b800000
	v_lshlrev_b32_e32 v2, 20, v2
	v_and_b32_e32 v10, 0x80000000, v10
	v_lshl_add_u32 v6, v6, 23, v11
	v_or3_b32 v2, v10, v6, v2
.LBB4_940:
	s_or_b64 exec, exec, s[6:7]
	v_lshrrev_b32_e32 v6, 8, v3
	s_movk_i32 s4, 0x7f
	v_cmp_gt_i16_sdwa s[6:7], v6, s4 src0_sel:BYTE_0 src1_sel:DWORD
	s_mov_b64 s[4:5], 0
                                        ; implicit-def: $sgpr10
	s_and_saveexec_b64 s[8:9], s[6:7]
	s_xor_b64 s[6:7], exec, s[8:9]
	s_cbranch_execnz .LBB4_2989
; %bb.941:
	s_or_saveexec_b64 s[6:7], s[6:7]
	v_mov_b32_e32 v10, s10
	s_xor_b64 exec, exec, s[6:7]
	s_cbranch_execnz .LBB4_2992
.LBB4_942:
	s_or_b64 exec, exec, s[6:7]
	s_and_saveexec_b64 s[6:7], s[4:5]
	s_cbranch_execz .LBB4_944
.LBB4_943:
	v_bfe_u32 v10, v3, 8, 3
	v_ffbh_u32_e32 v12, v10
	v_min_u32_e32 v12, 32, v12
	v_lshrrev_b16_e32 v11, 3, v6
	v_subrev_u32_e32 v13, 28, v12
	v_and_b32_e32 v11, 15, v11
	v_lshlrev_b32_e32 v6, v13, v6
	v_sub_u32_e32 v12, 29, v12
	v_and_b32_e32 v6, 7, v6
	v_cmp_eq_u16_e32 vcc, 0, v11
	v_cndmask_b32_e32 v6, v10, v6, vcc
	v_cndmask_b32_e32 v10, v11, v12, vcc
	v_lshlrev_b32_e32 v11, 16, v3
	v_mov_b32_e32 v12, 0x3b800000
	v_lshlrev_b32_e32 v6, 20, v6
	v_and_b32_e32 v11, 0x80000000, v11
	v_lshl_add_u32 v10, v10, 23, v12
	v_or3_b32 v10, v11, v10, v6
.LBB4_944:
	s_or_b64 exec, exec, s[6:7]
	s_nop 0
	v_mfma_f32_16x16x4f32 a[0:3], v2, v10, a[0:3]
	s_movk_i32 s4, 0xff
	v_and_b32_sdwa v6, v7, s4 dst_sel:DWORD dst_unused:UNUSED_PAD src0_sel:WORD_1 src1_sel:DWORD
	s_movk_i32 s4, 0x7f
	v_cmp_lt_i16_e32 vcc, s4, v6
	s_mov_b64 s[4:5], 0
                                        ; implicit-def: $sgpr10
	s_and_saveexec_b64 s[6:7], vcc
	s_xor_b64 s[6:7], exec, s[6:7]
	s_cbranch_execnz .LBB4_2993
; %bb.945:
	s_or_saveexec_b64 s[6:7], s[6:7]
	v_mov_b32_e32 v2, s10
	s_xor_b64 exec, exec, s[6:7]
	s_cbranch_execnz .LBB4_2996
.LBB4_946:
	s_or_b64 exec, exec, s[6:7]
	s_and_saveexec_b64 s[6:7], s[4:5]
	s_cbranch_execz .LBB4_948
.LBB4_947:
	v_bfe_u32 v2, v7, 16, 3
	v_ffbh_u32_e32 v11, v2
	v_min_u32_e32 v11, 32, v11
	v_lshrrev_b32_e32 v6, 19, v7
	v_subrev_u32_e32 v12, 28, v11
	v_and_b32_e32 v6, 15, v6
	v_lshlrev_b32_sdwa v12, v12, v7 dst_sel:DWORD dst_unused:UNUSED_PAD src0_sel:DWORD src1_sel:WORD_1
	v_bfe_u32 v10, v7, 19, 4
	v_sub_u32_e32 v11, 29, v11
	v_and_b32_e32 v12, 7, v12
	v_cmp_eq_u16_e32 vcc, 0, v6
	v_cndmask_b32_e32 v2, v2, v12, vcc
	v_cndmask_b32_e32 v6, v10, v11, vcc
	v_lshlrev_b32_e32 v10, 8, v7
	v_mov_b32_e32 v11, 0x3b800000
	v_lshlrev_b32_e32 v2, 20, v2
	v_and_b32_e32 v10, 0x80000000, v10
	v_lshl_add_u32 v6, v6, 23, v11
	v_or3_b32 v2, v10, v6, v2
.LBB4_948:
	s_or_b64 exec, exec, s[6:7]
	s_movk_i32 s4, 0xff
	v_and_b32_sdwa v6, v3, s4 dst_sel:DWORD dst_unused:UNUSED_PAD src0_sel:WORD_1 src1_sel:DWORD
	s_movk_i32 s4, 0x7f
	v_cmp_lt_i16_e32 vcc, s4, v6
	s_mov_b64 s[4:5], 0
                                        ; implicit-def: $sgpr10
	s_and_saveexec_b64 s[6:7], vcc
	s_xor_b64 s[6:7], exec, s[6:7]
	s_cbranch_execnz .LBB4_2997
; %bb.949:
	s_or_saveexec_b64 s[6:7], s[6:7]
	v_mov_b32_e32 v10, s10
	s_xor_b64 exec, exec, s[6:7]
	s_cbranch_execnz .LBB4_3000
.LBB4_950:
	s_or_b64 exec, exec, s[6:7]
	s_and_saveexec_b64 s[6:7], s[4:5]
	s_cbranch_execz .LBB4_952
.LBB4_951:
	v_bfe_u32 v6, v3, 16, 3
	v_ffbh_u32_e32 v12, v6
	v_min_u32_e32 v12, 32, v12
	v_lshrrev_b32_e32 v10, 19, v3
	v_subrev_u32_e32 v13, 28, v12
	v_and_b32_e32 v10, 15, v10
	v_lshlrev_b32_sdwa v13, v13, v3 dst_sel:DWORD dst_unused:UNUSED_PAD src0_sel:DWORD src1_sel:WORD_1
	v_bfe_u32 v11, v3, 19, 4
	v_sub_u32_e32 v12, 29, v12
	v_and_b32_e32 v13, 7, v13
	v_cmp_eq_u16_e32 vcc, 0, v10
	v_cndmask_b32_e32 v6, v6, v13, vcc
	v_cndmask_b32_e32 v10, v11, v12, vcc
	v_lshlrev_b32_e32 v11, 8, v3
	v_mov_b32_e32 v12, 0x3b800000
	v_lshlrev_b32_e32 v6, 20, v6
	v_and_b32_e32 v11, 0x80000000, v11
	v_lshl_add_u32 v10, v10, 23, v12
	v_or3_b32 v10, v11, v10, v6
.LBB4_952:
	s_or_b64 exec, exec, s[6:7]
	s_nop 0
	v_mfma_f32_16x16x4f32 a[0:3], v2, v10, a[0:3]
	s_movk_i32 s4, 0x7f
	v_cmp_gt_i16_sdwa s[6:7], v7, s4 src0_sel:BYTE_3 src1_sel:DWORD
	s_mov_b64 s[4:5], 0
                                        ; implicit-def: $sgpr10
	s_and_saveexec_b64 s[8:9], s[6:7]
	s_xor_b64 s[6:7], exec, s[8:9]
	s_cbranch_execnz .LBB4_3001
; %bb.953:
	s_or_saveexec_b64 s[6:7], s[6:7]
	v_mov_b32_e32 v2, s10
	s_xor_b64 exec, exec, s[6:7]
	s_cbranch_execnz .LBB4_3004
.LBB4_954:
	s_or_b64 exec, exec, s[6:7]
	s_and_saveexec_b64 s[6:7], s[4:5]
	s_cbranch_execz .LBB4_956
.LBB4_955:
	v_bfe_u32 v2, v7, 24, 3
	v_ffbh_u32_e32 v12, v2
	v_min_u32_e32 v12, 32, v12
	v_lshrrev_b32_e32 v10, 27, v7
	v_subrev_u32_e32 v13, 28, v12
	v_and_b32_e32 v6, 0x80000000, v7
	v_and_b32_e32 v10, 15, v10
	v_bfe_u32 v11, v7, 27, 4
	v_lshlrev_b32_sdwa v7, v13, v7 dst_sel:DWORD dst_unused:UNUSED_PAD src0_sel:DWORD src1_sel:BYTE_3
	v_sub_u32_e32 v12, 29, v12
	v_and_b32_e32 v7, 7, v7
	v_cmp_eq_u16_e32 vcc, 0, v10
	v_cndmask_b32_e32 v2, v2, v7, vcc
	v_cndmask_b32_e32 v7, v11, v12, vcc
	v_mov_b32_e32 v10, 0x3b800000
	v_lshlrev_b32_e32 v2, 20, v2
	v_lshl_add_u32 v7, v7, 23, v10
	v_or3_b32 v2, v6, v7, v2
.LBB4_956:
	s_or_b64 exec, exec, s[6:7]
	s_movk_i32 s4, 0x7f
	v_cmp_gt_i16_sdwa s[6:7], v3, s4 src0_sel:BYTE_3 src1_sel:DWORD
	s_mov_b64 s[4:5], 0
                                        ; implicit-def: $sgpr10
	s_and_saveexec_b64 s[8:9], s[6:7]
	s_xor_b64 s[6:7], exec, s[8:9]
	s_cbranch_execnz .LBB4_3005
; %bb.957:
	s_or_saveexec_b64 s[6:7], s[6:7]
	v_mov_b32_e32 v6, s10
	s_xor_b64 exec, exec, s[6:7]
	s_cbranch_execnz .LBB4_3008
.LBB4_958:
	s_or_b64 exec, exec, s[6:7]
	s_and_saveexec_b64 s[6:7], s[4:5]
	s_cbranch_execz .LBB4_960
.LBB4_959:
	v_bfe_u32 v6, v3, 24, 3
	v_ffbh_u32_e32 v12, v6
	v_min_u32_e32 v12, 32, v12
	v_lshrrev_b32_e32 v10, 27, v3
	v_subrev_u32_e32 v13, 28, v12
	v_and_b32_e32 v7, 0x80000000, v3
	v_and_b32_e32 v10, 15, v10
	v_bfe_u32 v11, v3, 27, 4
	v_lshlrev_b32_sdwa v3, v13, v3 dst_sel:DWORD dst_unused:UNUSED_PAD src0_sel:DWORD src1_sel:BYTE_3
	v_sub_u32_e32 v12, 29, v12
	v_and_b32_e32 v3, 7, v3
	v_cmp_eq_u16_e32 vcc, 0, v10
	v_cndmask_b32_e32 v3, v6, v3, vcc
	v_cndmask_b32_e32 v6, v11, v12, vcc
	v_mov_b32_e32 v10, 0x3b800000
	v_lshlrev_b32_e32 v3, 20, v3
	v_lshl_add_u32 v6, v6, 23, v10
	v_or3_b32 v6, v7, v6, v3
.LBB4_960:
	s_or_b64 exec, exec, s[6:7]
	s_nop 0
	v_mfma_f32_16x16x4f32 a[0:3], v2, v6, a[0:3]
	s_movk_i32 s4, 0x7f
	v_cmp_gt_i16_sdwa s[6:7], v8, s4 src0_sel:BYTE_0 src1_sel:DWORD
	s_mov_b64 s[4:5], 0
                                        ; implicit-def: $sgpr10
	s_and_saveexec_b64 s[8:9], s[6:7]
	s_xor_b64 s[6:7], exec, s[8:9]
	s_cbranch_execnz .LBB4_3009
; %bb.961:
	s_or_saveexec_b64 s[6:7], s[6:7]
	v_mov_b32_e32 v2, s10
	s_xor_b64 exec, exec, s[6:7]
	s_cbranch_execnz .LBB4_3012
.LBB4_962:
	s_or_b64 exec, exec, s[6:7]
	s_and_saveexec_b64 s[6:7], s[4:5]
	s_cbranch_execz .LBB4_964
.LBB4_963:
	v_and_b32_e32 v2, 7, v8
	v_ffbh_u32_e32 v6, v2
	v_min_u32_e32 v6, 32, v6
	v_lshrrev_b16_e32 v3, 3, v8
	v_subrev_u32_e32 v7, 28, v6
	v_and_b32_e32 v3, 15, v3
	v_lshlrev_b32_e32 v7, v7, v8
	v_sub_u32_e32 v6, 29, v6
	v_and_b32_e32 v7, 7, v7
	v_cmp_eq_u16_e32 vcc, 0, v3
	v_cndmask_b32_e32 v2, v2, v7, vcc
	v_cndmask_b32_e32 v3, v3, v6, vcc
	v_lshlrev_b32_e32 v6, 24, v8
	v_mov_b32_e32 v7, 0x3b800000
	v_lshlrev_b32_e32 v2, 20, v2
	v_and_b32_e32 v6, 0x80000000, v6
	v_lshl_add_u32 v3, v3, 23, v7
	v_or3_b32 v2, v6, v3, v2
.LBB4_964:
	s_or_b64 exec, exec, s[6:7]
	s_movk_i32 s4, 0x7f
	v_cmp_gt_i16_sdwa s[6:7], v4, s4 src0_sel:BYTE_0 src1_sel:DWORD
	s_mov_b64 s[4:5], 0
                                        ; implicit-def: $sgpr10
	s_and_saveexec_b64 s[8:9], s[6:7]
	s_xor_b64 s[6:7], exec, s[8:9]
	s_cbranch_execnz .LBB4_3013
; %bb.965:
	s_or_saveexec_b64 s[6:7], s[6:7]
	v_mov_b32_e32 v3, s10
	s_xor_b64 exec, exec, s[6:7]
	s_cbranch_execnz .LBB4_3016
.LBB4_966:
	s_or_b64 exec, exec, s[6:7]
	s_and_saveexec_b64 s[6:7], s[4:5]
	s_cbranch_execz .LBB4_968
.LBB4_967:
	v_and_b32_e32 v3, 7, v4
	v_ffbh_u32_e32 v7, v3
	v_min_u32_e32 v7, 32, v7
	v_lshrrev_b16_e32 v6, 3, v4
	v_subrev_u32_e32 v10, 28, v7
	v_and_b32_e32 v6, 15, v6
	v_lshlrev_b32_e32 v10, v10, v4
	v_sub_u32_e32 v7, 29, v7
	v_and_b32_e32 v10, 7, v10
	v_cmp_eq_u16_e32 vcc, 0, v6
	v_cndmask_b32_e32 v3, v3, v10, vcc
	v_cndmask_b32_e32 v6, v6, v7, vcc
	v_lshlrev_b32_e32 v7, 24, v4
	v_mov_b32_e32 v10, 0x3b800000
	v_lshlrev_b32_e32 v3, 20, v3
	v_and_b32_e32 v7, 0x80000000, v7
	v_lshl_add_u32 v6, v6, 23, v10
	v_or3_b32 v3, v7, v6, v3
.LBB4_968:
	s_or_b64 exec, exec, s[6:7]
	s_nop 0
	v_mfma_f32_16x16x4f32 a[0:3], v2, v3, a[0:3]
	v_lshrrev_b32_e32 v3, 8, v8
	s_movk_i32 s4, 0x7f
	v_cmp_gt_i16_sdwa s[6:7], v3, s4 src0_sel:BYTE_0 src1_sel:DWORD
	s_mov_b64 s[4:5], 0
                                        ; implicit-def: $sgpr10
	s_and_saveexec_b64 s[8:9], s[6:7]
	s_xor_b64 s[6:7], exec, s[8:9]
	s_cbranch_execnz .LBB4_3017
; %bb.969:
	s_or_saveexec_b64 s[6:7], s[6:7]
	v_mov_b32_e32 v2, s10
	s_xor_b64 exec, exec, s[6:7]
	s_cbranch_execnz .LBB4_3020
.LBB4_970:
	s_or_b64 exec, exec, s[6:7]
	s_and_saveexec_b64 s[6:7], s[4:5]
	s_cbranch_execz .LBB4_972
.LBB4_971:
	v_bfe_u32 v2, v8, 8, 3
	v_ffbh_u32_e32 v7, v2
	v_min_u32_e32 v7, 32, v7
	v_lshrrev_b16_e32 v6, 3, v3
	v_subrev_u32_e32 v10, 28, v7
	v_and_b32_e32 v6, 15, v6
	v_lshlrev_b32_e32 v3, v10, v3
	v_sub_u32_e32 v7, 29, v7
	v_and_b32_e32 v3, 7, v3
	v_cmp_eq_u16_e32 vcc, 0, v6
	v_cndmask_b32_e32 v2, v2, v3, vcc
	v_cndmask_b32_e32 v3, v6, v7, vcc
	v_lshlrev_b32_e32 v6, 16, v8
	v_mov_b32_e32 v7, 0x3b800000
	v_lshlrev_b32_e32 v2, 20, v2
	v_and_b32_e32 v6, 0x80000000, v6
	v_lshl_add_u32 v3, v3, 23, v7
	v_or3_b32 v2, v6, v3, v2
.LBB4_972:
	s_or_b64 exec, exec, s[6:7]
	v_lshrrev_b32_e32 v3, 8, v4
	s_movk_i32 s4, 0x7f
	v_cmp_gt_i16_sdwa s[6:7], v3, s4 src0_sel:BYTE_0 src1_sel:DWORD
	s_mov_b64 s[4:5], 0
                                        ; implicit-def: $sgpr10
	s_and_saveexec_b64 s[8:9], s[6:7]
	s_xor_b64 s[6:7], exec, s[8:9]
	s_cbranch_execnz .LBB4_3021
; %bb.973:
	s_or_saveexec_b64 s[6:7], s[6:7]
	v_mov_b32_e32 v6, s10
	s_xor_b64 exec, exec, s[6:7]
	s_cbranch_execnz .LBB4_3024
.LBB4_974:
	s_or_b64 exec, exec, s[6:7]
	s_and_saveexec_b64 s[6:7], s[4:5]
	s_cbranch_execz .LBB4_976
.LBB4_975:
	v_bfe_u32 v6, v4, 8, 3
	v_ffbh_u32_e32 v10, v6
	v_min_u32_e32 v10, 32, v10
	v_lshrrev_b16_e32 v7, 3, v3
	v_subrev_u32_e32 v11, 28, v10
	v_and_b32_e32 v7, 15, v7
	v_lshlrev_b32_e32 v3, v11, v3
	v_sub_u32_e32 v10, 29, v10
	v_and_b32_e32 v3, 7, v3
	v_cmp_eq_u16_e32 vcc, 0, v7
	v_cndmask_b32_e32 v3, v6, v3, vcc
	v_cndmask_b32_e32 v6, v7, v10, vcc
	v_lshlrev_b32_e32 v7, 16, v4
	v_mov_b32_e32 v10, 0x3b800000
	v_lshlrev_b32_e32 v3, 20, v3
	v_and_b32_e32 v7, 0x80000000, v7
	v_lshl_add_u32 v6, v6, 23, v10
	v_or3_b32 v6, v7, v6, v3
.LBB4_976:
	s_or_b64 exec, exec, s[6:7]
	s_nop 0
	v_mfma_f32_16x16x4f32 a[0:3], v2, v6, a[0:3]
	s_movk_i32 s4, 0xff
	v_and_b32_sdwa v3, v8, s4 dst_sel:DWORD dst_unused:UNUSED_PAD src0_sel:WORD_1 src1_sel:DWORD
	s_movk_i32 s4, 0x7f
	v_cmp_lt_i16_e32 vcc, s4, v3
	s_mov_b64 s[4:5], 0
                                        ; implicit-def: $sgpr10
	s_and_saveexec_b64 s[6:7], vcc
	s_xor_b64 s[6:7], exec, s[6:7]
	s_cbranch_execnz .LBB4_3025
; %bb.977:
	s_or_saveexec_b64 s[6:7], s[6:7]
	v_mov_b32_e32 v2, s10
	s_xor_b64 exec, exec, s[6:7]
	s_cbranch_execnz .LBB4_3028
.LBB4_978:
	s_or_b64 exec, exec, s[6:7]
	s_and_saveexec_b64 s[6:7], s[4:5]
	s_cbranch_execz .LBB4_980
.LBB4_979:
	v_bfe_u32 v2, v8, 16, 3
	v_ffbh_u32_e32 v7, v2
	v_min_u32_e32 v7, 32, v7
	v_lshrrev_b32_e32 v3, 19, v8
	v_subrev_u32_e32 v10, 28, v7
	v_and_b32_e32 v3, 15, v3
	v_lshlrev_b32_sdwa v10, v10, v8 dst_sel:DWORD dst_unused:UNUSED_PAD src0_sel:DWORD src1_sel:WORD_1
	v_bfe_u32 v6, v8, 19, 4
	v_sub_u32_e32 v7, 29, v7
	v_and_b32_e32 v10, 7, v10
	v_cmp_eq_u16_e32 vcc, 0, v3
	v_cndmask_b32_e32 v2, v2, v10, vcc
	v_cndmask_b32_e32 v3, v6, v7, vcc
	v_lshlrev_b32_e32 v6, 8, v8
	v_mov_b32_e32 v7, 0x3b800000
	v_lshlrev_b32_e32 v2, 20, v2
	v_and_b32_e32 v6, 0x80000000, v6
	v_lshl_add_u32 v3, v3, 23, v7
	v_or3_b32 v2, v6, v3, v2
.LBB4_980:
	s_or_b64 exec, exec, s[6:7]
	s_movk_i32 s4, 0xff
	v_and_b32_sdwa v3, v4, s4 dst_sel:DWORD dst_unused:UNUSED_PAD src0_sel:WORD_1 src1_sel:DWORD
	s_movk_i32 s4, 0x7f
	v_cmp_lt_i16_e32 vcc, s4, v3
	s_mov_b64 s[4:5], 0
                                        ; implicit-def: $sgpr10
	s_and_saveexec_b64 s[6:7], vcc
	s_xor_b64 s[6:7], exec, s[6:7]
	s_cbranch_execnz .LBB4_3029
; %bb.981:
	s_or_saveexec_b64 s[6:7], s[6:7]
	v_mov_b32_e32 v6, s10
	s_xor_b64 exec, exec, s[6:7]
	s_cbranch_execnz .LBB4_3032
.LBB4_982:
	s_or_b64 exec, exec, s[6:7]
	s_and_saveexec_b64 s[6:7], s[4:5]
	s_cbranch_execz .LBB4_984
.LBB4_983:
	v_bfe_u32 v3, v4, 16, 3
	v_ffbh_u32_e32 v10, v3
	v_min_u32_e32 v10, 32, v10
	v_lshrrev_b32_e32 v6, 19, v4
	v_subrev_u32_e32 v11, 28, v10
	v_and_b32_e32 v6, 15, v6
	v_lshlrev_b32_sdwa v11, v11, v4 dst_sel:DWORD dst_unused:UNUSED_PAD src0_sel:DWORD src1_sel:WORD_1
	v_bfe_u32 v7, v4, 19, 4
	v_sub_u32_e32 v10, 29, v10
	v_and_b32_e32 v11, 7, v11
	v_cmp_eq_u16_e32 vcc, 0, v6
	v_cndmask_b32_e32 v3, v3, v11, vcc
	v_cndmask_b32_e32 v6, v7, v10, vcc
	v_lshlrev_b32_e32 v7, 8, v4
	v_mov_b32_e32 v10, 0x3b800000
	v_lshlrev_b32_e32 v3, 20, v3
	v_and_b32_e32 v7, 0x80000000, v7
	v_lshl_add_u32 v6, v6, 23, v10
	v_or3_b32 v6, v7, v6, v3
.LBB4_984:
	s_or_b64 exec, exec, s[6:7]
	s_nop 0
	v_mfma_f32_16x16x4f32 a[0:3], v2, v6, a[0:3]
	s_movk_i32 s4, 0x7f
	v_cmp_gt_i16_sdwa s[6:7], v8, s4 src0_sel:BYTE_3 src1_sel:DWORD
	s_mov_b64 s[4:5], 0
                                        ; implicit-def: $sgpr10
	s_and_saveexec_b64 s[8:9], s[6:7]
	s_xor_b64 s[6:7], exec, s[8:9]
	s_cbranch_execnz .LBB4_3033
; %bb.985:
	s_or_saveexec_b64 s[6:7], s[6:7]
	v_mov_b32_e32 v2, s10
	s_xor_b64 exec, exec, s[6:7]
	s_cbranch_execnz .LBB4_3036
.LBB4_986:
	s_or_b64 exec, exec, s[6:7]
	s_and_saveexec_b64 s[6:7], s[4:5]
	s_cbranch_execz .LBB4_988
.LBB4_987:
	v_bfe_u32 v2, v8, 24, 3
	v_ffbh_u32_e32 v10, v2
	v_min_u32_e32 v10, 32, v10
	v_lshrrev_b32_e32 v6, 27, v8
	v_subrev_u32_e32 v11, 28, v10
	v_and_b32_e32 v3, 0x80000000, v8
	v_and_b32_e32 v6, 15, v6
	v_bfe_u32 v7, v8, 27, 4
	v_lshlrev_b32_sdwa v8, v11, v8 dst_sel:DWORD dst_unused:UNUSED_PAD src0_sel:DWORD src1_sel:BYTE_3
	v_sub_u32_e32 v10, 29, v10
	v_and_b32_e32 v8, 7, v8
	v_cmp_eq_u16_e32 vcc, 0, v6
	v_cndmask_b32_e32 v2, v2, v8, vcc
	v_cndmask_b32_e32 v6, v7, v10, vcc
	v_mov_b32_e32 v7, 0x3b800000
	v_lshlrev_b32_e32 v2, 20, v2
	v_lshl_add_u32 v6, v6, 23, v7
	v_or3_b32 v2, v3, v6, v2
.LBB4_988:
	s_or_b64 exec, exec, s[6:7]
	s_movk_i32 s4, 0x7f
	v_cmp_gt_i16_sdwa s[6:7], v4, s4 src0_sel:BYTE_3 src1_sel:DWORD
	s_mov_b64 s[4:5], 0
                                        ; implicit-def: $sgpr10
	s_and_saveexec_b64 s[8:9], s[6:7]
	s_xor_b64 s[6:7], exec, s[8:9]
	s_cbranch_execnz .LBB4_3037
; %bb.989:
	s_or_saveexec_b64 s[6:7], s[6:7]
	v_mov_b32_e32 v3, s10
	s_xor_b64 exec, exec, s[6:7]
	s_cbranch_execnz .LBB4_3040
.LBB4_990:
	s_or_b64 exec, exec, s[6:7]
	s_and_saveexec_b64 s[6:7], s[4:5]
	s_cbranch_execz .LBB4_992
.LBB4_991:
	v_bfe_u32 v3, v4, 24, 3
	v_ffbh_u32_e32 v10, v3
	v_min_u32_e32 v10, 32, v10
	v_lshrrev_b32_e32 v7, 27, v4
	v_subrev_u32_e32 v11, 28, v10
	v_and_b32_e32 v6, 0x80000000, v4
	v_and_b32_e32 v7, 15, v7
	v_bfe_u32 v8, v4, 27, 4
	v_lshlrev_b32_sdwa v4, v11, v4 dst_sel:DWORD dst_unused:UNUSED_PAD src0_sel:DWORD src1_sel:BYTE_3
	v_sub_u32_e32 v10, 29, v10
	v_and_b32_e32 v4, 7, v4
	v_cmp_eq_u16_e32 vcc, 0, v7
	v_cndmask_b32_e32 v3, v3, v4, vcc
	v_cndmask_b32_e32 v4, v8, v10, vcc
	v_mov_b32_e32 v7, 0x3b800000
	v_lshlrev_b32_e32 v3, 20, v3
	v_lshl_add_u32 v4, v4, 23, v7
	v_or3_b32 v3, v6, v4, v3
.LBB4_992:
	s_or_b64 exec, exec, s[6:7]
	s_nop 0
	v_mfma_f32_16x16x4f32 a[0:3], v2, v3, a[0:3]
	s_movk_i32 s4, 0x7f
	v_cmp_gt_i16_sdwa s[6:7], v9, s4 src0_sel:BYTE_0 src1_sel:DWORD
	s_mov_b64 s[4:5], 0
                                        ; implicit-def: $sgpr10
	s_and_saveexec_b64 s[8:9], s[6:7]
	s_xor_b64 s[6:7], exec, s[8:9]
	s_cbranch_execnz .LBB4_3041
; %bb.993:
	s_or_saveexec_b64 s[6:7], s[6:7]
	v_mov_b32_e32 v2, s10
	s_xor_b64 exec, exec, s[6:7]
	s_cbranch_execnz .LBB4_3044
.LBB4_994:
	s_or_b64 exec, exec, s[6:7]
	s_and_saveexec_b64 s[6:7], s[4:5]
	s_cbranch_execz .LBB4_996
.LBB4_995:
	v_mov_b32_e32 v2, 8
	v_and_b32_e32 v3, 7, v9
	v_lshrrev_b32_sdwa v2, v2, v9 dst_sel:BYTE_1 dst_unused:UNUSED_PAD src0_sel:DWORD src1_sel:DWORD
	v_ffbh_u32_e32 v4, v3
	v_or_b32_sdwa v2, v9, v2 dst_sel:DWORD dst_unused:UNUSED_PAD src0_sel:BYTE_0 src1_sel:DWORD
	v_min_u32_e32 v4, 32, v4
	v_lshrrev_b16_e32 v2, 3, v2
	v_subrev_u32_e32 v6, 28, v4
	v_and_b32_e32 v2, 15, v2
	v_lshlrev_b32_e32 v6, v6, v9
	v_sub_u32_e32 v4, 29, v4
	v_and_b32_e32 v6, 7, v6
	v_cmp_eq_u16_e32 vcc, 0, v2
	v_cndmask_b32_e32 v3, v3, v6, vcc
	v_cndmask_b32_e32 v2, v2, v4, vcc
	v_lshlrev_b32_e32 v4, 24, v9
	v_mov_b32_e32 v6, 0x3b800000
	v_lshlrev_b32_e32 v3, 20, v3
	v_and_b32_e32 v4, 0x80000000, v4
	v_lshl_add_u32 v2, v2, 23, v6
	v_or3_b32 v2, v4, v2, v3
.LBB4_996:
	s_or_b64 exec, exec, s[6:7]
	s_movk_i32 s4, 0x7f
	v_cmp_gt_i16_sdwa s[6:7], v5, s4 src0_sel:BYTE_0 src1_sel:DWORD
	s_mov_b64 s[4:5], 0
                                        ; implicit-def: $sgpr10
	s_and_saveexec_b64 s[8:9], s[6:7]
	s_xor_b64 s[6:7], exec, s[8:9]
	s_cbranch_execnz .LBB4_3045
; %bb.997:
	s_or_saveexec_b64 s[6:7], s[6:7]
	v_mov_b32_e32 v3, s10
	s_xor_b64 exec, exec, s[6:7]
	s_cbranch_execnz .LBB4_3048
.LBB4_998:
	s_or_b64 exec, exec, s[6:7]
	s_and_saveexec_b64 s[6:7], s[4:5]
	s_cbranch_execz .LBB4_1000
.LBB4_999:
	v_mov_b32_e32 v3, 8
	v_and_b32_e32 v4, 7, v5
	v_lshrrev_b32_sdwa v3, v3, v5 dst_sel:BYTE_1 dst_unused:UNUSED_PAD src0_sel:DWORD src1_sel:DWORD
	v_ffbh_u32_e32 v6, v4
	v_or_b32_sdwa v3, v5, v3 dst_sel:DWORD dst_unused:UNUSED_PAD src0_sel:BYTE_0 src1_sel:DWORD
	v_min_u32_e32 v6, 32, v6
	v_lshrrev_b16_e32 v3, 3, v3
	v_subrev_u32_e32 v7, 28, v6
	v_and_b32_e32 v3, 15, v3
	v_lshlrev_b32_e32 v7, v7, v5
	v_sub_u32_e32 v6, 29, v6
	v_and_b32_e32 v7, 7, v7
	v_cmp_eq_u16_e32 vcc, 0, v3
	v_cndmask_b32_e32 v4, v4, v7, vcc
	v_cndmask_b32_e32 v3, v3, v6, vcc
	v_lshlrev_b32_e32 v6, 24, v5
	v_mov_b32_e32 v7, 0x3b800000
	v_lshlrev_b32_e32 v4, 20, v4
	v_and_b32_e32 v6, 0x80000000, v6
	v_lshl_add_u32 v3, v3, 23, v7
	v_or3_b32 v3, v6, v3, v4
.LBB4_1000:
	s_or_b64 exec, exec, s[6:7]
	s_nop 0
	v_mfma_f32_16x16x4f32 a[0:3], v2, v3, a[0:3]
	v_lshrrev_b32_e32 v3, 8, v9
	s_movk_i32 s4, 0x7f
	v_cmp_gt_i16_sdwa s[6:7], v3, s4 src0_sel:BYTE_0 src1_sel:DWORD
	s_mov_b64 s[4:5], 0
                                        ; implicit-def: $sgpr10
	s_and_saveexec_b64 s[8:9], s[6:7]
	s_xor_b64 s[6:7], exec, s[8:9]
	s_cbranch_execnz .LBB4_3049
; %bb.1001:
	s_or_saveexec_b64 s[6:7], s[6:7]
	v_mov_b32_e32 v2, s10
	s_xor_b64 exec, exec, s[6:7]
	s_cbranch_execnz .LBB4_3052
.LBB4_1002:
	s_or_b64 exec, exec, s[6:7]
	s_and_saveexec_b64 s[6:7], s[4:5]
	s_cbranch_execz .LBB4_1004
.LBB4_1003:
	v_bfe_u32 v2, v9, 8, 3
	v_ffbh_u32_e32 v6, v2
	v_min_u32_e32 v6, 32, v6
	v_lshrrev_b16_e32 v4, 3, v3
	v_subrev_u32_e32 v7, 28, v6
	v_and_b32_e32 v4, 15, v4
	v_lshlrev_b32_e32 v3, v7, v3
	v_sub_u32_e32 v6, 29, v6
	v_and_b32_e32 v3, 7, v3
	v_cmp_eq_u16_e32 vcc, 0, v4
	v_cndmask_b32_e32 v2, v2, v3, vcc
	v_cndmask_b32_e32 v3, v4, v6, vcc
	v_lshlrev_b32_e32 v4, 16, v9
	v_mov_b32_e32 v6, 0x3b800000
	v_lshlrev_b32_e32 v2, 20, v2
	v_and_b32_e32 v4, 0x80000000, v4
	v_lshl_add_u32 v3, v3, 23, v6
	v_or3_b32 v2, v4, v3, v2
.LBB4_1004:
	s_or_b64 exec, exec, s[6:7]
	v_lshrrev_b32_e32 v3, 8, v5
	s_movk_i32 s4, 0x7f
	v_cmp_gt_i16_sdwa s[6:7], v3, s4 src0_sel:BYTE_0 src1_sel:DWORD
	s_mov_b64 s[4:5], 0
                                        ; implicit-def: $sgpr10
	s_and_saveexec_b64 s[8:9], s[6:7]
	s_xor_b64 s[6:7], exec, s[8:9]
	s_cbranch_execnz .LBB4_3053
; %bb.1005:
	s_or_saveexec_b64 s[6:7], s[6:7]
	v_mov_b32_e32 v4, s10
	s_xor_b64 exec, exec, s[6:7]
	s_cbranch_execnz .LBB4_3056
.LBB4_1006:
	s_or_b64 exec, exec, s[6:7]
	s_and_saveexec_b64 s[6:7], s[4:5]
	s_cbranch_execz .LBB4_1008
.LBB4_1007:
	v_bfe_u32 v4, v5, 8, 3
	v_ffbh_u32_e32 v7, v4
	v_min_u32_e32 v7, 32, v7
	v_lshrrev_b16_e32 v6, 3, v3
	v_subrev_u32_e32 v8, 28, v7
	v_and_b32_e32 v6, 15, v6
	v_lshlrev_b32_e32 v3, v8, v3
	v_sub_u32_e32 v7, 29, v7
	v_and_b32_e32 v3, 7, v3
	v_cmp_eq_u16_e32 vcc, 0, v6
	v_cndmask_b32_e32 v3, v4, v3, vcc
	v_cndmask_b32_e32 v4, v6, v7, vcc
	v_lshlrev_b32_e32 v6, 16, v5
	v_mov_b32_e32 v7, 0x3b800000
	v_lshlrev_b32_e32 v3, 20, v3
	v_and_b32_e32 v6, 0x80000000, v6
	v_lshl_add_u32 v4, v4, 23, v7
	v_or3_b32 v4, v6, v4, v3
.LBB4_1008:
	s_or_b64 exec, exec, s[6:7]
	s_nop 0
	v_mfma_f32_16x16x4f32 a[0:3], v2, v4, a[0:3]
	s_movk_i32 s4, 0xff
	v_and_b32_sdwa v3, v9, s4 dst_sel:DWORD dst_unused:UNUSED_PAD src0_sel:WORD_1 src1_sel:DWORD
	s_movk_i32 s4, 0x7f
	v_cmp_lt_i16_e32 vcc, s4, v3
	s_mov_b64 s[4:5], 0
                                        ; implicit-def: $sgpr10
	s_and_saveexec_b64 s[6:7], vcc
	s_xor_b64 s[6:7], exec, s[6:7]
	s_cbranch_execnz .LBB4_3057
; %bb.1009:
	s_or_saveexec_b64 s[6:7], s[6:7]
	v_mov_b32_e32 v2, s10
	s_xor_b64 exec, exec, s[6:7]
	s_cbranch_execnz .LBB4_3060
.LBB4_1010:
	s_or_b64 exec, exec, s[6:7]
	s_and_saveexec_b64 s[6:7], s[4:5]
	s_cbranch_execz .LBB4_1012
.LBB4_1011:
	v_bfe_u32 v2, v9, 16, 3
	v_ffbh_u32_e32 v6, v2
	v_min_u32_e32 v6, 32, v6
	v_lshrrev_b32_e32 v3, 19, v9
	v_subrev_u32_e32 v7, 28, v6
	v_and_b32_e32 v3, 15, v3
	v_lshlrev_b32_sdwa v7, v7, v9 dst_sel:DWORD dst_unused:UNUSED_PAD src0_sel:DWORD src1_sel:WORD_1
	v_bfe_u32 v4, v9, 19, 4
	v_sub_u32_e32 v6, 29, v6
	v_and_b32_e32 v7, 7, v7
	v_cmp_eq_u16_e32 vcc, 0, v3
	v_cndmask_b32_e32 v2, v2, v7, vcc
	v_cndmask_b32_e32 v3, v4, v6, vcc
	v_lshlrev_b32_e32 v4, 8, v9
	v_mov_b32_e32 v6, 0x3b800000
	v_lshlrev_b32_e32 v2, 20, v2
	v_and_b32_e32 v4, 0x80000000, v4
	v_lshl_add_u32 v3, v3, 23, v6
	v_or3_b32 v2, v4, v3, v2
.LBB4_1012:
	s_or_b64 exec, exec, s[6:7]
	s_movk_i32 s4, 0xff
	v_and_b32_sdwa v3, v5, s4 dst_sel:DWORD dst_unused:UNUSED_PAD src0_sel:WORD_1 src1_sel:DWORD
	s_movk_i32 s4, 0x7f
	v_cmp_lt_i16_e32 vcc, s4, v3
	s_mov_b64 s[4:5], 0
                                        ; implicit-def: $sgpr10
	s_and_saveexec_b64 s[6:7], vcc
	s_xor_b64 s[6:7], exec, s[6:7]
	s_cbranch_execnz .LBB4_3061
; %bb.1013:
	s_or_saveexec_b64 s[6:7], s[6:7]
	v_mov_b32_e32 v4, s10
	s_xor_b64 exec, exec, s[6:7]
	s_cbranch_execnz .LBB4_3064
.LBB4_1014:
	s_or_b64 exec, exec, s[6:7]
	s_and_saveexec_b64 s[6:7], s[4:5]
	s_cbranch_execz .LBB4_1016
.LBB4_1015:
	v_bfe_u32 v3, v5, 16, 3
	v_ffbh_u32_e32 v7, v3
	v_min_u32_e32 v7, 32, v7
	v_lshrrev_b32_e32 v4, 19, v5
	v_subrev_u32_e32 v8, 28, v7
	v_and_b32_e32 v4, 15, v4
	v_lshlrev_b32_sdwa v8, v8, v5 dst_sel:DWORD dst_unused:UNUSED_PAD src0_sel:DWORD src1_sel:WORD_1
	v_bfe_u32 v6, v5, 19, 4
	v_sub_u32_e32 v7, 29, v7
	v_and_b32_e32 v8, 7, v8
	v_cmp_eq_u16_e32 vcc, 0, v4
	v_cndmask_b32_e32 v3, v3, v8, vcc
	v_cndmask_b32_e32 v4, v6, v7, vcc
	v_lshlrev_b32_e32 v6, 8, v5
	v_mov_b32_e32 v7, 0x3b800000
	v_lshlrev_b32_e32 v3, 20, v3
	v_and_b32_e32 v6, 0x80000000, v6
	v_lshl_add_u32 v4, v4, 23, v7
	v_or3_b32 v4, v6, v4, v3
.LBB4_1016:
	s_or_b64 exec, exec, s[6:7]
	s_nop 0
	v_mfma_f32_16x16x4f32 a[0:3], v2, v4, a[0:3]
	s_movk_i32 s4, 0x7f
	v_cmp_gt_i16_sdwa s[6:7], v9, s4 src0_sel:BYTE_3 src1_sel:DWORD
	s_mov_b64 s[4:5], 0
                                        ; implicit-def: $sgpr10
	s_and_saveexec_b64 s[8:9], s[6:7]
	s_xor_b64 s[6:7], exec, s[8:9]
	s_cbranch_execnz .LBB4_3065
; %bb.1017:
	s_or_saveexec_b64 s[6:7], s[6:7]
	v_mov_b32_e32 v2, s10
	s_xor_b64 exec, exec, s[6:7]
	s_cbranch_execnz .LBB4_3068
.LBB4_1018:
	s_or_b64 exec, exec, s[6:7]
	s_and_saveexec_b64 s[6:7], s[4:5]
	s_cbranch_execz .LBB4_1020
.LBB4_1019:
	v_bfe_u32 v2, v9, 24, 3
	v_ffbh_u32_e32 v7, v2
	v_min_u32_e32 v7, 32, v7
	v_lshrrev_b32_e32 v4, 27, v9
	v_subrev_u32_e32 v8, 28, v7
	v_and_b32_e32 v4, 15, v4
	v_lshlrev_b32_sdwa v8, v8, v9 dst_sel:DWORD dst_unused:UNUSED_PAD src0_sel:DWORD src1_sel:BYTE_3
	v_bfe_u32 v6, v9, 27, 4
	v_sub_u32_e32 v7, 29, v7
	v_and_b32_e32 v8, 7, v8
	v_cmp_eq_u16_e32 vcc, 0, v4
	v_cndmask_b32_e32 v2, v2, v8, vcc
	v_cndmask_b32_e32 v4, v6, v7, vcc
	v_mov_b32_e32 v6, 0x3b800000
	v_and_b32_e32 v3, 0x80000000, v9
	v_lshlrev_b32_e32 v2, 20, v2
	v_lshl_add_u32 v4, v4, 23, v6
	v_or3_b32 v2, v3, v4, v2
.LBB4_1020:
	s_or_b64 exec, exec, s[6:7]
	s_movk_i32 s4, 0x7f
	v_cmp_gt_i16_sdwa s[6:7], v5, s4 src0_sel:BYTE_3 src1_sel:DWORD
	s_mov_b64 s[4:5], 0
                                        ; implicit-def: $sgpr10
	s_and_saveexec_b64 s[8:9], s[6:7]
	s_xor_b64 s[6:7], exec, s[8:9]
	s_cbranch_execnz .LBB4_3069
; %bb.1021:
	s_or_saveexec_b64 s[6:7], s[6:7]
	v_mov_b32_e32 v3, s10
	s_xor_b64 exec, exec, s[6:7]
	s_cbranch_execnz .LBB4_3072
.LBB4_1022:
	s_or_b64 exec, exec, s[6:7]
	s_and_saveexec_b64 s[6:7], s[4:5]
	s_cbranch_execz .LBB4_1024
.LBB4_1023:
	v_bfe_u32 v3, v5, 24, 3
	v_ffbh_u32_e32 v8, v3
	v_min_u32_e32 v8, 32, v8
	v_lshrrev_b32_e32 v6, 27, v5
	v_subrev_u32_e32 v9, 28, v8
	v_and_b32_e32 v4, 0x80000000, v5
	v_and_b32_e32 v6, 15, v6
	v_bfe_u32 v7, v5, 27, 4
	v_lshlrev_b32_sdwa v5, v9, v5 dst_sel:DWORD dst_unused:UNUSED_PAD src0_sel:DWORD src1_sel:BYTE_3
	v_sub_u32_e32 v8, 29, v8
	v_and_b32_e32 v5, 7, v5
	v_cmp_eq_u16_e32 vcc, 0, v6
	v_cndmask_b32_e32 v3, v3, v5, vcc
	v_cndmask_b32_e32 v5, v7, v8, vcc
	v_mov_b32_e32 v6, 0x3b800000
	v_lshlrev_b32_e32 v3, 20, v3
	v_lshl_add_u32 v5, v5, 23, v6
	v_or3_b32 v3, v4, v5, v3
.LBB4_1024:
	s_or_b64 exec, exec, s[6:7]
	s_nop 0
	v_mfma_f32_16x16x4f32 a[0:3], v2, v3, a[0:3]
	s_movk_i32 s4, 0x7f
                                        ; implicit-def: $sgpr10
	s_nop 7
	s_nop 1
	flat_store_dwordx4 v[18:19], a[0:3] offset:304
	flat_load_dwordx4 v[20:23], v[0:1] offset:16
	s_nop 0
	flat_load_dwordx2 v[18:19], v[0:1] offset:32
	s_waitcnt vmcnt(0) lgkmcnt(0)
	flat_load_dwordx4 v[14:17], v[20:21]
	flat_load_dwordx4 v[6:9], v[20:21] offset:16
	flat_load_dwordx4 v[10:13], v[22:23] offset:128
	;; [unrolled: 1-line block ×3, first 2 shown]
	s_waitcnt vmcnt(0) lgkmcnt(0)
	v_cmp_gt_i16_sdwa s[6:7], v14, s4 src0_sel:BYTE_0 src1_sel:DWORD
	s_mov_b64 s[4:5], 0
	s_and_saveexec_b64 s[8:9], s[6:7]
	s_xor_b64 s[6:7], exec, s[8:9]
	s_cbranch_execnz .LBB4_3073
; %bb.1025:
	s_or_saveexec_b64 s[6:7], s[6:7]
	v_mov_b32_e32 v20, s10
	s_xor_b64 exec, exec, s[6:7]
	s_cbranch_execnz .LBB4_3076
.LBB4_1026:
	s_or_b64 exec, exec, s[6:7]
	s_and_saveexec_b64 s[6:7], s[4:5]
	s_cbranch_execz .LBB4_1028
.LBB4_1027:
	v_and_b32_e32 v20, 7, v14
	v_ffbh_u32_e32 v22, v20
	v_min_u32_e32 v22, 32, v22
	v_lshrrev_b16_e32 v21, 3, v14
	v_subrev_u32_e32 v23, 28, v22
	v_and_b32_e32 v21, 15, v21
	v_lshlrev_b32_e32 v23, v23, v14
	v_sub_u32_e32 v22, 29, v22
	v_and_b32_e32 v23, 7, v23
	v_cmp_eq_u16_e32 vcc, 0, v21
	v_cndmask_b32_e32 v20, v20, v23, vcc
	v_cndmask_b32_e32 v21, v21, v22, vcc
	v_lshlrev_b32_e32 v22, 24, v14
	v_mov_b32_e32 v23, 0x3b800000
	v_lshlrev_b32_e32 v20, 20, v20
	v_and_b32_e32 v22, 0x80000000, v22
	v_lshl_add_u32 v21, v21, 23, v23
	v_or3_b32 v20, v22, v21, v20
.LBB4_1028:
	s_or_b64 exec, exec, s[6:7]
	s_movk_i32 s4, 0x7f
	v_cmp_gt_i16_sdwa s[6:7], v10, s4 src0_sel:BYTE_0 src1_sel:DWORD
	s_mov_b64 s[4:5], 0
                                        ; implicit-def: $sgpr10
	s_and_saveexec_b64 s[8:9], s[6:7]
	s_xor_b64 s[6:7], exec, s[8:9]
	s_cbranch_execnz .LBB4_3077
; %bb.1029:
	s_or_saveexec_b64 s[6:7], s[6:7]
	v_mov_b32_e32 v21, s10
	s_xor_b64 exec, exec, s[6:7]
	s_cbranch_execnz .LBB4_3080
.LBB4_1030:
	s_or_b64 exec, exec, s[6:7]
	s_and_saveexec_b64 s[6:7], s[4:5]
	s_cbranch_execz .LBB4_1032
.LBB4_1031:
	v_and_b32_e32 v21, 7, v10
	v_ffbh_u32_e32 v23, v21
	v_min_u32_e32 v23, 32, v23
	v_lshrrev_b16_e32 v22, 3, v10
	v_subrev_u32_e32 v24, 28, v23
	v_and_b32_e32 v22, 15, v22
	v_lshlrev_b32_e32 v24, v24, v10
	v_sub_u32_e32 v23, 29, v23
	v_and_b32_e32 v24, 7, v24
	v_cmp_eq_u16_e32 vcc, 0, v22
	v_cndmask_b32_e32 v21, v21, v24, vcc
	v_cndmask_b32_e32 v22, v22, v23, vcc
	v_lshlrev_b32_e32 v23, 24, v10
	v_mov_b32_e32 v24, 0x3b800000
	v_lshlrev_b32_e32 v21, 20, v21
	v_and_b32_e32 v23, 0x80000000, v23
	v_lshl_add_u32 v22, v22, 23, v24
	v_or3_b32 v21, v23, v22, v21
.LBB4_1032:
	s_or_b64 exec, exec, s[6:7]
	flat_load_dwordx4 a[0:3], v[18:19] offset:320
	s_movk_i32 s4, 0x7f
                                        ; implicit-def: $sgpr10
	s_waitcnt vmcnt(0) lgkmcnt(0)
	v_mfma_f32_16x16x4f32 a[0:3], v20, v21, a[0:3]
	v_lshrrev_b32_e32 v21, 8, v14
	v_cmp_gt_i16_sdwa s[6:7], v21, s4 src0_sel:BYTE_0 src1_sel:DWORD
	s_mov_b64 s[4:5], 0
	s_and_saveexec_b64 s[8:9], s[6:7]
	s_xor_b64 s[6:7], exec, s[8:9]
	s_cbranch_execnz .LBB4_3081
; %bb.1033:
	s_or_saveexec_b64 s[6:7], s[6:7]
	v_mov_b32_e32 v20, s10
	s_xor_b64 exec, exec, s[6:7]
	s_cbranch_execnz .LBB4_3084
.LBB4_1034:
	s_or_b64 exec, exec, s[6:7]
	s_and_saveexec_b64 s[6:7], s[4:5]
	s_cbranch_execz .LBB4_1036
.LBB4_1035:
	v_bfe_u32 v20, v14, 8, 3
	v_ffbh_u32_e32 v23, v20
	v_min_u32_e32 v23, 32, v23
	v_lshrrev_b16_e32 v22, 3, v21
	v_subrev_u32_e32 v24, 28, v23
	v_and_b32_e32 v22, 15, v22
	v_lshlrev_b32_e32 v21, v24, v21
	v_sub_u32_e32 v23, 29, v23
	v_and_b32_e32 v21, 7, v21
	v_cmp_eq_u16_e32 vcc, 0, v22
	v_cndmask_b32_e32 v20, v20, v21, vcc
	v_cndmask_b32_e32 v21, v22, v23, vcc
	v_lshlrev_b32_e32 v22, 16, v14
	v_mov_b32_e32 v23, 0x3b800000
	v_lshlrev_b32_e32 v20, 20, v20
	v_and_b32_e32 v22, 0x80000000, v22
	v_lshl_add_u32 v21, v21, 23, v23
	v_or3_b32 v20, v22, v21, v20
.LBB4_1036:
	s_or_b64 exec, exec, s[6:7]
	v_lshrrev_b32_e32 v21, 8, v10
	s_movk_i32 s4, 0x7f
	v_cmp_gt_i16_sdwa s[6:7], v21, s4 src0_sel:BYTE_0 src1_sel:DWORD
	s_mov_b64 s[4:5], 0
                                        ; implicit-def: $sgpr10
	s_and_saveexec_b64 s[8:9], s[6:7]
	s_xor_b64 s[6:7], exec, s[8:9]
	s_cbranch_execnz .LBB4_3085
; %bb.1037:
	s_or_saveexec_b64 s[6:7], s[6:7]
	v_mov_b32_e32 v22, s10
	s_xor_b64 exec, exec, s[6:7]
	s_cbranch_execnz .LBB4_3088
.LBB4_1038:
	s_or_b64 exec, exec, s[6:7]
	s_and_saveexec_b64 s[6:7], s[4:5]
	s_cbranch_execz .LBB4_1040
.LBB4_1039:
	v_bfe_u32 v22, v10, 8, 3
	v_ffbh_u32_e32 v24, v22
	v_min_u32_e32 v24, 32, v24
	v_lshrrev_b16_e32 v23, 3, v21
	v_subrev_u32_e32 v25, 28, v24
	v_and_b32_e32 v23, 15, v23
	v_lshlrev_b32_e32 v21, v25, v21
	v_sub_u32_e32 v24, 29, v24
	v_and_b32_e32 v21, 7, v21
	v_cmp_eq_u16_e32 vcc, 0, v23
	v_cndmask_b32_e32 v21, v22, v21, vcc
	v_cndmask_b32_e32 v22, v23, v24, vcc
	v_lshlrev_b32_e32 v23, 16, v10
	v_mov_b32_e32 v24, 0x3b800000
	v_lshlrev_b32_e32 v21, 20, v21
	v_and_b32_e32 v23, 0x80000000, v23
	v_lshl_add_u32 v22, v22, 23, v24
	v_or3_b32 v22, v23, v22, v21
.LBB4_1040:
	s_or_b64 exec, exec, s[6:7]
	s_nop 0
	v_mfma_f32_16x16x4f32 a[0:3], v20, v22, a[0:3]
	s_movk_i32 s4, 0xff
	v_and_b32_sdwa v21, v14, s4 dst_sel:DWORD dst_unused:UNUSED_PAD src0_sel:WORD_1 src1_sel:DWORD
	s_movk_i32 s4, 0x7f
	v_cmp_lt_i16_e32 vcc, s4, v21
	s_mov_b64 s[4:5], 0
                                        ; implicit-def: $sgpr10
	s_and_saveexec_b64 s[6:7], vcc
	s_xor_b64 s[6:7], exec, s[6:7]
	s_cbranch_execnz .LBB4_3089
; %bb.1041:
	s_or_saveexec_b64 s[6:7], s[6:7]
	v_mov_b32_e32 v20, s10
	s_xor_b64 exec, exec, s[6:7]
	s_cbranch_execnz .LBB4_3092
.LBB4_1042:
	s_or_b64 exec, exec, s[6:7]
	s_and_saveexec_b64 s[6:7], s[4:5]
	s_cbranch_execz .LBB4_1044
.LBB4_1043:
	v_bfe_u32 v20, v14, 16, 3
	v_ffbh_u32_e32 v23, v20
	v_min_u32_e32 v23, 32, v23
	v_lshrrev_b32_e32 v21, 19, v14
	v_subrev_u32_e32 v24, 28, v23
	v_and_b32_e32 v21, 15, v21
	v_lshlrev_b32_sdwa v24, v24, v14 dst_sel:DWORD dst_unused:UNUSED_PAD src0_sel:DWORD src1_sel:WORD_1
	v_bfe_u32 v22, v14, 19, 4
	v_sub_u32_e32 v23, 29, v23
	v_and_b32_e32 v24, 7, v24
	v_cmp_eq_u16_e32 vcc, 0, v21
	v_cndmask_b32_e32 v20, v20, v24, vcc
	v_cndmask_b32_e32 v21, v22, v23, vcc
	v_lshlrev_b32_e32 v22, 8, v14
	v_mov_b32_e32 v23, 0x3b800000
	v_lshlrev_b32_e32 v20, 20, v20
	v_and_b32_e32 v22, 0x80000000, v22
	v_lshl_add_u32 v21, v21, 23, v23
	v_or3_b32 v20, v22, v21, v20
.LBB4_1044:
	s_or_b64 exec, exec, s[6:7]
	s_movk_i32 s4, 0xff
	v_and_b32_sdwa v21, v10, s4 dst_sel:DWORD dst_unused:UNUSED_PAD src0_sel:WORD_1 src1_sel:DWORD
	s_movk_i32 s4, 0x7f
	v_cmp_lt_i16_e32 vcc, s4, v21
	s_mov_b64 s[4:5], 0
                                        ; implicit-def: $sgpr10
	s_and_saveexec_b64 s[6:7], vcc
	s_xor_b64 s[6:7], exec, s[6:7]
	s_cbranch_execnz .LBB4_3093
; %bb.1045:
	s_or_saveexec_b64 s[6:7], s[6:7]
	v_mov_b32_e32 v22, s10
	s_xor_b64 exec, exec, s[6:7]
	s_cbranch_execnz .LBB4_3096
.LBB4_1046:
	s_or_b64 exec, exec, s[6:7]
	s_and_saveexec_b64 s[6:7], s[4:5]
	s_cbranch_execz .LBB4_1048
.LBB4_1047:
	v_bfe_u32 v21, v10, 16, 3
	v_ffbh_u32_e32 v24, v21
	v_min_u32_e32 v24, 32, v24
	v_lshrrev_b32_e32 v22, 19, v10
	v_subrev_u32_e32 v25, 28, v24
	v_and_b32_e32 v22, 15, v22
	v_lshlrev_b32_sdwa v25, v25, v10 dst_sel:DWORD dst_unused:UNUSED_PAD src0_sel:DWORD src1_sel:WORD_1
	v_bfe_u32 v23, v10, 19, 4
	v_sub_u32_e32 v24, 29, v24
	v_and_b32_e32 v25, 7, v25
	v_cmp_eq_u16_e32 vcc, 0, v22
	v_cndmask_b32_e32 v21, v21, v25, vcc
	v_cndmask_b32_e32 v22, v23, v24, vcc
	v_lshlrev_b32_e32 v23, 8, v10
	v_mov_b32_e32 v24, 0x3b800000
	v_lshlrev_b32_e32 v21, 20, v21
	v_and_b32_e32 v23, 0x80000000, v23
	v_lshl_add_u32 v22, v22, 23, v24
	v_or3_b32 v22, v23, v22, v21
.LBB4_1048:
	s_or_b64 exec, exec, s[6:7]
	s_nop 0
	v_mfma_f32_16x16x4f32 a[0:3], v20, v22, a[0:3]
	s_movk_i32 s4, 0x7f
	v_cmp_gt_i16_sdwa s[6:7], v14, s4 src0_sel:BYTE_3 src1_sel:DWORD
	s_mov_b64 s[4:5], 0
                                        ; implicit-def: $sgpr10
	s_and_saveexec_b64 s[8:9], s[6:7]
	s_xor_b64 s[6:7], exec, s[8:9]
	s_cbranch_execnz .LBB4_3097
; %bb.1049:
	s_or_saveexec_b64 s[6:7], s[6:7]
	v_mov_b32_e32 v20, s10
	s_xor_b64 exec, exec, s[6:7]
	s_cbranch_execnz .LBB4_3100
.LBB4_1050:
	s_or_b64 exec, exec, s[6:7]
	s_and_saveexec_b64 s[6:7], s[4:5]
	s_cbranch_execz .LBB4_1052
.LBB4_1051:
	v_bfe_u32 v20, v14, 24, 3
	v_ffbh_u32_e32 v24, v20
	v_min_u32_e32 v24, 32, v24
	v_lshrrev_b32_e32 v22, 27, v14
	v_subrev_u32_e32 v25, 28, v24
	v_and_b32_e32 v21, 0x80000000, v14
	v_and_b32_e32 v22, 15, v22
	v_bfe_u32 v23, v14, 27, 4
	v_lshlrev_b32_sdwa v14, v25, v14 dst_sel:DWORD dst_unused:UNUSED_PAD src0_sel:DWORD src1_sel:BYTE_3
	v_sub_u32_e32 v24, 29, v24
	v_and_b32_e32 v14, 7, v14
	v_cmp_eq_u16_e32 vcc, 0, v22
	v_cndmask_b32_e32 v14, v20, v14, vcc
	v_cndmask_b32_e32 v20, v23, v24, vcc
	v_mov_b32_e32 v22, 0x3b800000
	v_lshlrev_b32_e32 v14, 20, v14
	v_lshl_add_u32 v20, v20, 23, v22
	v_or3_b32 v20, v21, v20, v14
.LBB4_1052:
	s_or_b64 exec, exec, s[6:7]
	s_movk_i32 s4, 0x7f
	v_cmp_gt_i16_sdwa s[6:7], v10, s4 src0_sel:BYTE_3 src1_sel:DWORD
	s_mov_b64 s[4:5], 0
                                        ; implicit-def: $sgpr10
	s_and_saveexec_b64 s[8:9], s[6:7]
	s_xor_b64 s[6:7], exec, s[8:9]
	s_cbranch_execnz .LBB4_3101
; %bb.1053:
	s_or_saveexec_b64 s[6:7], s[6:7]
	v_mov_b32_e32 v14, s10
	s_xor_b64 exec, exec, s[6:7]
	s_cbranch_execnz .LBB4_3104
.LBB4_1054:
	s_or_b64 exec, exec, s[6:7]
	s_and_saveexec_b64 s[6:7], s[4:5]
	s_cbranch_execz .LBB4_1056
.LBB4_1055:
	v_bfe_u32 v14, v10, 24, 3
	v_ffbh_u32_e32 v24, v14
	v_min_u32_e32 v24, 32, v24
	v_lshrrev_b32_e32 v22, 27, v10
	v_subrev_u32_e32 v25, 28, v24
	v_and_b32_e32 v21, 0x80000000, v10
	v_and_b32_e32 v22, 15, v22
	v_bfe_u32 v23, v10, 27, 4
	v_lshlrev_b32_sdwa v10, v25, v10 dst_sel:DWORD dst_unused:UNUSED_PAD src0_sel:DWORD src1_sel:BYTE_3
	v_sub_u32_e32 v24, 29, v24
	v_and_b32_e32 v10, 7, v10
	v_cmp_eq_u16_e32 vcc, 0, v22
	v_cndmask_b32_e32 v10, v14, v10, vcc
	v_cndmask_b32_e32 v14, v23, v24, vcc
	v_mov_b32_e32 v22, 0x3b800000
	v_lshlrev_b32_e32 v10, 20, v10
	v_lshl_add_u32 v14, v14, 23, v22
	v_or3_b32 v14, v21, v14, v10
.LBB4_1056:
	s_or_b64 exec, exec, s[6:7]
	s_nop 0
	v_mfma_f32_16x16x4f32 a[0:3], v20, v14, a[0:3]
	s_movk_i32 s4, 0x7f
	v_cmp_gt_i16_sdwa s[6:7], v15, s4 src0_sel:BYTE_0 src1_sel:DWORD
	s_mov_b64 s[4:5], 0
                                        ; implicit-def: $sgpr10
	s_and_saveexec_b64 s[8:9], s[6:7]
	s_xor_b64 s[6:7], exec, s[8:9]
	s_cbranch_execnz .LBB4_3105
; %bb.1057:
	s_or_saveexec_b64 s[6:7], s[6:7]
	v_mov_b32_e32 v10, s10
	s_xor_b64 exec, exec, s[6:7]
	s_cbranch_execnz .LBB4_3108
.LBB4_1058:
	s_or_b64 exec, exec, s[6:7]
	s_and_saveexec_b64 s[6:7], s[4:5]
	s_cbranch_execz .LBB4_1060
.LBB4_1059:
	v_and_b32_e32 v10, 7, v15
	v_ffbh_u32_e32 v20, v10
	v_min_u32_e32 v20, 32, v20
	v_lshrrev_b16_e32 v14, 3, v15
	v_subrev_u32_e32 v21, 28, v20
	v_and_b32_e32 v14, 15, v14
	v_lshlrev_b32_e32 v21, v21, v15
	v_sub_u32_e32 v20, 29, v20
	v_and_b32_e32 v21, 7, v21
	v_cmp_eq_u16_e32 vcc, 0, v14
	v_cndmask_b32_e32 v10, v10, v21, vcc
	v_cndmask_b32_e32 v14, v14, v20, vcc
	v_lshlrev_b32_e32 v20, 24, v15
	v_mov_b32_e32 v21, 0x3b800000
	v_lshlrev_b32_e32 v10, 20, v10
	v_and_b32_e32 v20, 0x80000000, v20
	v_lshl_add_u32 v14, v14, 23, v21
	v_or3_b32 v10, v20, v14, v10
.LBB4_1060:
	s_or_b64 exec, exec, s[6:7]
	s_movk_i32 s4, 0x7f
	v_cmp_gt_i16_sdwa s[6:7], v11, s4 src0_sel:BYTE_0 src1_sel:DWORD
	s_mov_b64 s[4:5], 0
                                        ; implicit-def: $sgpr10
	s_and_saveexec_b64 s[8:9], s[6:7]
	s_xor_b64 s[6:7], exec, s[8:9]
	s_cbranch_execnz .LBB4_3109
; %bb.1061:
	s_or_saveexec_b64 s[6:7], s[6:7]
	v_mov_b32_e32 v14, s10
	s_xor_b64 exec, exec, s[6:7]
	s_cbranch_execnz .LBB4_3112
.LBB4_1062:
	s_or_b64 exec, exec, s[6:7]
	s_and_saveexec_b64 s[6:7], s[4:5]
	s_cbranch_execz .LBB4_1064
.LBB4_1063:
	v_and_b32_e32 v14, 7, v11
	v_ffbh_u32_e32 v21, v14
	v_min_u32_e32 v21, 32, v21
	v_lshrrev_b16_e32 v20, 3, v11
	v_subrev_u32_e32 v22, 28, v21
	v_and_b32_e32 v20, 15, v20
	v_lshlrev_b32_e32 v22, v22, v11
	v_sub_u32_e32 v21, 29, v21
	v_and_b32_e32 v22, 7, v22
	v_cmp_eq_u16_e32 vcc, 0, v20
	v_cndmask_b32_e32 v14, v14, v22, vcc
	v_cndmask_b32_e32 v20, v20, v21, vcc
	v_lshlrev_b32_e32 v21, 24, v11
	v_mov_b32_e32 v22, 0x3b800000
	v_lshlrev_b32_e32 v14, 20, v14
	v_and_b32_e32 v21, 0x80000000, v21
	v_lshl_add_u32 v20, v20, 23, v22
	v_or3_b32 v14, v21, v20, v14
.LBB4_1064:
	s_or_b64 exec, exec, s[6:7]
	s_nop 0
	v_mfma_f32_16x16x4f32 a[0:3], v10, v14, a[0:3]
	v_lshrrev_b32_e32 v14, 8, v15
	s_movk_i32 s4, 0x7f
	v_cmp_gt_i16_sdwa s[6:7], v14, s4 src0_sel:BYTE_0 src1_sel:DWORD
	s_mov_b64 s[4:5], 0
                                        ; implicit-def: $sgpr10
	s_and_saveexec_b64 s[8:9], s[6:7]
	s_xor_b64 s[6:7], exec, s[8:9]
	s_cbranch_execnz .LBB4_3113
; %bb.1065:
	s_or_saveexec_b64 s[6:7], s[6:7]
	v_mov_b32_e32 v10, s10
	s_xor_b64 exec, exec, s[6:7]
	s_cbranch_execnz .LBB4_3116
.LBB4_1066:
	s_or_b64 exec, exec, s[6:7]
	s_and_saveexec_b64 s[6:7], s[4:5]
	s_cbranch_execz .LBB4_1068
.LBB4_1067:
	v_bfe_u32 v10, v15, 8, 3
	v_ffbh_u32_e32 v21, v10
	v_min_u32_e32 v21, 32, v21
	v_lshrrev_b16_e32 v20, 3, v14
	v_subrev_u32_e32 v22, 28, v21
	v_and_b32_e32 v20, 15, v20
	v_lshlrev_b32_e32 v14, v22, v14
	v_sub_u32_e32 v21, 29, v21
	v_and_b32_e32 v14, 7, v14
	v_cmp_eq_u16_e32 vcc, 0, v20
	v_cndmask_b32_e32 v10, v10, v14, vcc
	v_cndmask_b32_e32 v14, v20, v21, vcc
	v_lshlrev_b32_e32 v20, 16, v15
	v_mov_b32_e32 v21, 0x3b800000
	v_lshlrev_b32_e32 v10, 20, v10
	v_and_b32_e32 v20, 0x80000000, v20
	v_lshl_add_u32 v14, v14, 23, v21
	v_or3_b32 v10, v20, v14, v10
.LBB4_1068:
	s_or_b64 exec, exec, s[6:7]
	v_lshrrev_b32_e32 v14, 8, v11
	s_movk_i32 s4, 0x7f
	v_cmp_gt_i16_sdwa s[6:7], v14, s4 src0_sel:BYTE_0 src1_sel:DWORD
	s_mov_b64 s[4:5], 0
                                        ; implicit-def: $sgpr10
	s_and_saveexec_b64 s[8:9], s[6:7]
	s_xor_b64 s[6:7], exec, s[8:9]
	s_cbranch_execnz .LBB4_3117
; %bb.1069:
	s_or_saveexec_b64 s[6:7], s[6:7]
	v_mov_b32_e32 v20, s10
	s_xor_b64 exec, exec, s[6:7]
	s_cbranch_execnz .LBB4_3120
.LBB4_1070:
	s_or_b64 exec, exec, s[6:7]
	s_and_saveexec_b64 s[6:7], s[4:5]
	s_cbranch_execz .LBB4_1072
.LBB4_1071:
	v_bfe_u32 v20, v11, 8, 3
	v_ffbh_u32_e32 v22, v20
	v_min_u32_e32 v22, 32, v22
	v_lshrrev_b16_e32 v21, 3, v14
	v_subrev_u32_e32 v23, 28, v22
	v_and_b32_e32 v21, 15, v21
	v_lshlrev_b32_e32 v14, v23, v14
	v_sub_u32_e32 v22, 29, v22
	v_and_b32_e32 v14, 7, v14
	v_cmp_eq_u16_e32 vcc, 0, v21
	v_cndmask_b32_e32 v14, v20, v14, vcc
	v_cndmask_b32_e32 v20, v21, v22, vcc
	v_lshlrev_b32_e32 v21, 16, v11
	v_mov_b32_e32 v22, 0x3b800000
	v_lshlrev_b32_e32 v14, 20, v14
	v_and_b32_e32 v21, 0x80000000, v21
	v_lshl_add_u32 v20, v20, 23, v22
	v_or3_b32 v20, v21, v20, v14
.LBB4_1072:
	s_or_b64 exec, exec, s[6:7]
	s_nop 0
	v_mfma_f32_16x16x4f32 a[0:3], v10, v20, a[0:3]
	s_movk_i32 s4, 0xff
	v_and_b32_sdwa v14, v15, s4 dst_sel:DWORD dst_unused:UNUSED_PAD src0_sel:WORD_1 src1_sel:DWORD
	s_movk_i32 s4, 0x7f
	v_cmp_lt_i16_e32 vcc, s4, v14
	s_mov_b64 s[4:5], 0
                                        ; implicit-def: $sgpr10
	s_and_saveexec_b64 s[6:7], vcc
	s_xor_b64 s[6:7], exec, s[6:7]
	s_cbranch_execnz .LBB4_3121
; %bb.1073:
	s_or_saveexec_b64 s[6:7], s[6:7]
	v_mov_b32_e32 v10, s10
	s_xor_b64 exec, exec, s[6:7]
	s_cbranch_execnz .LBB4_3124
.LBB4_1074:
	s_or_b64 exec, exec, s[6:7]
	s_and_saveexec_b64 s[6:7], s[4:5]
	s_cbranch_execz .LBB4_1076
.LBB4_1075:
	v_bfe_u32 v10, v15, 16, 3
	v_ffbh_u32_e32 v21, v10
	v_min_u32_e32 v21, 32, v21
	v_lshrrev_b32_e32 v14, 19, v15
	v_subrev_u32_e32 v22, 28, v21
	v_and_b32_e32 v14, 15, v14
	v_lshlrev_b32_sdwa v22, v22, v15 dst_sel:DWORD dst_unused:UNUSED_PAD src0_sel:DWORD src1_sel:WORD_1
	v_bfe_u32 v20, v15, 19, 4
	v_sub_u32_e32 v21, 29, v21
	v_and_b32_e32 v22, 7, v22
	v_cmp_eq_u16_e32 vcc, 0, v14
	v_cndmask_b32_e32 v10, v10, v22, vcc
	v_cndmask_b32_e32 v14, v20, v21, vcc
	v_lshlrev_b32_e32 v20, 8, v15
	v_mov_b32_e32 v21, 0x3b800000
	v_lshlrev_b32_e32 v10, 20, v10
	v_and_b32_e32 v20, 0x80000000, v20
	v_lshl_add_u32 v14, v14, 23, v21
	v_or3_b32 v10, v20, v14, v10
.LBB4_1076:
	s_or_b64 exec, exec, s[6:7]
	s_movk_i32 s4, 0xff
	v_and_b32_sdwa v14, v11, s4 dst_sel:DWORD dst_unused:UNUSED_PAD src0_sel:WORD_1 src1_sel:DWORD
	s_movk_i32 s4, 0x7f
	v_cmp_lt_i16_e32 vcc, s4, v14
	s_mov_b64 s[4:5], 0
                                        ; implicit-def: $sgpr10
	s_and_saveexec_b64 s[6:7], vcc
	s_xor_b64 s[6:7], exec, s[6:7]
	s_cbranch_execnz .LBB4_3125
; %bb.1077:
	s_or_saveexec_b64 s[6:7], s[6:7]
	v_mov_b32_e32 v20, s10
	s_xor_b64 exec, exec, s[6:7]
	s_cbranch_execnz .LBB4_3128
.LBB4_1078:
	s_or_b64 exec, exec, s[6:7]
	s_and_saveexec_b64 s[6:7], s[4:5]
	s_cbranch_execz .LBB4_1080
.LBB4_1079:
	v_bfe_u32 v14, v11, 16, 3
	v_ffbh_u32_e32 v22, v14
	v_min_u32_e32 v22, 32, v22
	v_lshrrev_b32_e32 v20, 19, v11
	v_subrev_u32_e32 v23, 28, v22
	v_and_b32_e32 v20, 15, v20
	v_lshlrev_b32_sdwa v23, v23, v11 dst_sel:DWORD dst_unused:UNUSED_PAD src0_sel:DWORD src1_sel:WORD_1
	v_bfe_u32 v21, v11, 19, 4
	v_sub_u32_e32 v22, 29, v22
	v_and_b32_e32 v23, 7, v23
	v_cmp_eq_u16_e32 vcc, 0, v20
	v_cndmask_b32_e32 v14, v14, v23, vcc
	v_cndmask_b32_e32 v20, v21, v22, vcc
	v_lshlrev_b32_e32 v21, 8, v11
	v_mov_b32_e32 v22, 0x3b800000
	v_lshlrev_b32_e32 v14, 20, v14
	v_and_b32_e32 v21, 0x80000000, v21
	v_lshl_add_u32 v20, v20, 23, v22
	v_or3_b32 v20, v21, v20, v14
.LBB4_1080:
	s_or_b64 exec, exec, s[6:7]
	s_nop 0
	v_mfma_f32_16x16x4f32 a[0:3], v10, v20, a[0:3]
	s_movk_i32 s4, 0x7f
	v_cmp_gt_i16_sdwa s[6:7], v15, s4 src0_sel:BYTE_3 src1_sel:DWORD
	s_mov_b64 s[4:5], 0
                                        ; implicit-def: $sgpr10
	s_and_saveexec_b64 s[8:9], s[6:7]
	s_xor_b64 s[6:7], exec, s[8:9]
	s_cbranch_execnz .LBB4_3129
; %bb.1081:
	s_or_saveexec_b64 s[6:7], s[6:7]
	v_mov_b32_e32 v10, s10
	s_xor_b64 exec, exec, s[6:7]
	s_cbranch_execnz .LBB4_3132
.LBB4_1082:
	s_or_b64 exec, exec, s[6:7]
	s_and_saveexec_b64 s[6:7], s[4:5]
	s_cbranch_execz .LBB4_1084
.LBB4_1083:
	v_bfe_u32 v10, v15, 24, 3
	v_ffbh_u32_e32 v22, v10
	v_min_u32_e32 v22, 32, v22
	v_lshrrev_b32_e32 v20, 27, v15
	v_subrev_u32_e32 v23, 28, v22
	v_and_b32_e32 v14, 0x80000000, v15
	v_and_b32_e32 v20, 15, v20
	v_bfe_u32 v21, v15, 27, 4
	v_lshlrev_b32_sdwa v15, v23, v15 dst_sel:DWORD dst_unused:UNUSED_PAD src0_sel:DWORD src1_sel:BYTE_3
	v_sub_u32_e32 v22, 29, v22
	v_and_b32_e32 v15, 7, v15
	v_cmp_eq_u16_e32 vcc, 0, v20
	v_cndmask_b32_e32 v10, v10, v15, vcc
	v_cndmask_b32_e32 v15, v21, v22, vcc
	v_mov_b32_e32 v20, 0x3b800000
	v_lshlrev_b32_e32 v10, 20, v10
	v_lshl_add_u32 v15, v15, 23, v20
	v_or3_b32 v10, v14, v15, v10
.LBB4_1084:
	s_or_b64 exec, exec, s[6:7]
	s_movk_i32 s4, 0x7f
	v_cmp_gt_i16_sdwa s[6:7], v11, s4 src0_sel:BYTE_3 src1_sel:DWORD
	s_mov_b64 s[4:5], 0
                                        ; implicit-def: $sgpr10
	s_and_saveexec_b64 s[8:9], s[6:7]
	s_xor_b64 s[6:7], exec, s[8:9]
	s_cbranch_execnz .LBB4_3133
; %bb.1085:
	s_or_saveexec_b64 s[6:7], s[6:7]
	v_mov_b32_e32 v14, s10
	s_xor_b64 exec, exec, s[6:7]
	s_cbranch_execnz .LBB4_3136
.LBB4_1086:
	s_or_b64 exec, exec, s[6:7]
	s_and_saveexec_b64 s[6:7], s[4:5]
	s_cbranch_execz .LBB4_1088
.LBB4_1087:
	v_bfe_u32 v14, v11, 24, 3
	v_ffbh_u32_e32 v22, v14
	v_min_u32_e32 v22, 32, v22
	v_lshrrev_b32_e32 v20, 27, v11
	v_subrev_u32_e32 v23, 28, v22
	v_and_b32_e32 v15, 0x80000000, v11
	v_and_b32_e32 v20, 15, v20
	v_bfe_u32 v21, v11, 27, 4
	v_lshlrev_b32_sdwa v11, v23, v11 dst_sel:DWORD dst_unused:UNUSED_PAD src0_sel:DWORD src1_sel:BYTE_3
	v_sub_u32_e32 v22, 29, v22
	v_and_b32_e32 v11, 7, v11
	v_cmp_eq_u16_e32 vcc, 0, v20
	v_cndmask_b32_e32 v11, v14, v11, vcc
	v_cndmask_b32_e32 v14, v21, v22, vcc
	v_mov_b32_e32 v20, 0x3b800000
	v_lshlrev_b32_e32 v11, 20, v11
	v_lshl_add_u32 v14, v14, 23, v20
	v_or3_b32 v14, v15, v14, v11
.LBB4_1088:
	s_or_b64 exec, exec, s[6:7]
	s_nop 0
	v_mfma_f32_16x16x4f32 a[0:3], v10, v14, a[0:3]
	s_movk_i32 s4, 0x7f
	v_cmp_gt_i16_sdwa s[6:7], v16, s4 src0_sel:BYTE_0 src1_sel:DWORD
	s_mov_b64 s[4:5], 0
                                        ; implicit-def: $sgpr10
	s_and_saveexec_b64 s[8:9], s[6:7]
	s_xor_b64 s[6:7], exec, s[8:9]
	s_cbranch_execnz .LBB4_3137
; %bb.1089:
	s_or_saveexec_b64 s[6:7], s[6:7]
	v_mov_b32_e32 v10, s10
	s_xor_b64 exec, exec, s[6:7]
	s_cbranch_execnz .LBB4_3140
.LBB4_1090:
	s_or_b64 exec, exec, s[6:7]
	s_and_saveexec_b64 s[6:7], s[4:5]
	s_cbranch_execz .LBB4_1092
.LBB4_1091:
	v_and_b32_e32 v10, 7, v16
	v_ffbh_u32_e32 v14, v10
	v_min_u32_e32 v14, 32, v14
	v_lshrrev_b16_e32 v11, 3, v16
	v_subrev_u32_e32 v15, 28, v14
	v_and_b32_e32 v11, 15, v11
	v_lshlrev_b32_e32 v15, v15, v16
	v_sub_u32_e32 v14, 29, v14
	v_and_b32_e32 v15, 7, v15
	v_cmp_eq_u16_e32 vcc, 0, v11
	v_cndmask_b32_e32 v10, v10, v15, vcc
	v_cndmask_b32_e32 v11, v11, v14, vcc
	v_lshlrev_b32_e32 v14, 24, v16
	v_mov_b32_e32 v15, 0x3b800000
	v_lshlrev_b32_e32 v10, 20, v10
	v_and_b32_e32 v14, 0x80000000, v14
	v_lshl_add_u32 v11, v11, 23, v15
	v_or3_b32 v10, v14, v11, v10
.LBB4_1092:
	s_or_b64 exec, exec, s[6:7]
	s_movk_i32 s4, 0x7f
	v_cmp_gt_i16_sdwa s[6:7], v12, s4 src0_sel:BYTE_0 src1_sel:DWORD
	s_mov_b64 s[4:5], 0
                                        ; implicit-def: $sgpr10
	s_and_saveexec_b64 s[8:9], s[6:7]
	s_xor_b64 s[6:7], exec, s[8:9]
	s_cbranch_execnz .LBB4_3141
; %bb.1093:
	s_or_saveexec_b64 s[6:7], s[6:7]
	v_mov_b32_e32 v11, s10
	s_xor_b64 exec, exec, s[6:7]
	s_cbranch_execnz .LBB4_3144
.LBB4_1094:
	s_or_b64 exec, exec, s[6:7]
	s_and_saveexec_b64 s[6:7], s[4:5]
	s_cbranch_execz .LBB4_1096
.LBB4_1095:
	v_and_b32_e32 v11, 7, v12
	v_ffbh_u32_e32 v15, v11
	v_min_u32_e32 v15, 32, v15
	v_lshrrev_b16_e32 v14, 3, v12
	v_subrev_u32_e32 v20, 28, v15
	v_and_b32_e32 v14, 15, v14
	v_lshlrev_b32_e32 v20, v20, v12
	v_sub_u32_e32 v15, 29, v15
	v_and_b32_e32 v20, 7, v20
	v_cmp_eq_u16_e32 vcc, 0, v14
	v_cndmask_b32_e32 v11, v11, v20, vcc
	v_cndmask_b32_e32 v14, v14, v15, vcc
	v_lshlrev_b32_e32 v15, 24, v12
	v_mov_b32_e32 v20, 0x3b800000
	v_lshlrev_b32_e32 v11, 20, v11
	v_and_b32_e32 v15, 0x80000000, v15
	v_lshl_add_u32 v14, v14, 23, v20
	v_or3_b32 v11, v15, v14, v11
.LBB4_1096:
	s_or_b64 exec, exec, s[6:7]
	s_nop 0
	v_mfma_f32_16x16x4f32 a[0:3], v10, v11, a[0:3]
	v_lshrrev_b32_e32 v11, 8, v16
	s_movk_i32 s4, 0x7f
	v_cmp_gt_i16_sdwa s[6:7], v11, s4 src0_sel:BYTE_0 src1_sel:DWORD
	s_mov_b64 s[4:5], 0
                                        ; implicit-def: $sgpr10
	s_and_saveexec_b64 s[8:9], s[6:7]
	s_xor_b64 s[6:7], exec, s[8:9]
	s_cbranch_execnz .LBB4_3145
; %bb.1097:
	s_or_saveexec_b64 s[6:7], s[6:7]
	v_mov_b32_e32 v10, s10
	s_xor_b64 exec, exec, s[6:7]
	s_cbranch_execnz .LBB4_3148
.LBB4_1098:
	s_or_b64 exec, exec, s[6:7]
	s_and_saveexec_b64 s[6:7], s[4:5]
	s_cbranch_execz .LBB4_1100
.LBB4_1099:
	v_bfe_u32 v10, v16, 8, 3
	v_ffbh_u32_e32 v15, v10
	v_min_u32_e32 v15, 32, v15
	v_lshrrev_b16_e32 v14, 3, v11
	v_subrev_u32_e32 v20, 28, v15
	v_and_b32_e32 v14, 15, v14
	v_lshlrev_b32_e32 v11, v20, v11
	v_sub_u32_e32 v15, 29, v15
	v_and_b32_e32 v11, 7, v11
	v_cmp_eq_u16_e32 vcc, 0, v14
	v_cndmask_b32_e32 v10, v10, v11, vcc
	v_cndmask_b32_e32 v11, v14, v15, vcc
	v_lshlrev_b32_e32 v14, 16, v16
	v_mov_b32_e32 v15, 0x3b800000
	v_lshlrev_b32_e32 v10, 20, v10
	v_and_b32_e32 v14, 0x80000000, v14
	v_lshl_add_u32 v11, v11, 23, v15
	v_or3_b32 v10, v14, v11, v10
.LBB4_1100:
	s_or_b64 exec, exec, s[6:7]
	v_lshrrev_b32_e32 v11, 8, v12
	s_movk_i32 s4, 0x7f
	v_cmp_gt_i16_sdwa s[6:7], v11, s4 src0_sel:BYTE_0 src1_sel:DWORD
	s_mov_b64 s[4:5], 0
                                        ; implicit-def: $sgpr10
	s_and_saveexec_b64 s[8:9], s[6:7]
	s_xor_b64 s[6:7], exec, s[8:9]
	s_cbranch_execnz .LBB4_3149
; %bb.1101:
	s_or_saveexec_b64 s[6:7], s[6:7]
	v_mov_b32_e32 v14, s10
	s_xor_b64 exec, exec, s[6:7]
	s_cbranch_execnz .LBB4_3152
.LBB4_1102:
	s_or_b64 exec, exec, s[6:7]
	s_and_saveexec_b64 s[6:7], s[4:5]
	s_cbranch_execz .LBB4_1104
.LBB4_1103:
	v_bfe_u32 v14, v12, 8, 3
	v_ffbh_u32_e32 v20, v14
	v_min_u32_e32 v20, 32, v20
	v_lshrrev_b16_e32 v15, 3, v11
	v_subrev_u32_e32 v21, 28, v20
	v_and_b32_e32 v15, 15, v15
	v_lshlrev_b32_e32 v11, v21, v11
	v_sub_u32_e32 v20, 29, v20
	v_and_b32_e32 v11, 7, v11
	v_cmp_eq_u16_e32 vcc, 0, v15
	v_cndmask_b32_e32 v11, v14, v11, vcc
	v_cndmask_b32_e32 v14, v15, v20, vcc
	v_lshlrev_b32_e32 v15, 16, v12
	v_mov_b32_e32 v20, 0x3b800000
	v_lshlrev_b32_e32 v11, 20, v11
	v_and_b32_e32 v15, 0x80000000, v15
	v_lshl_add_u32 v14, v14, 23, v20
	v_or3_b32 v14, v15, v14, v11
.LBB4_1104:
	s_or_b64 exec, exec, s[6:7]
	s_nop 0
	v_mfma_f32_16x16x4f32 a[0:3], v10, v14, a[0:3]
	s_movk_i32 s4, 0xff
	v_and_b32_sdwa v11, v16, s4 dst_sel:DWORD dst_unused:UNUSED_PAD src0_sel:WORD_1 src1_sel:DWORD
	s_movk_i32 s4, 0x7f
	v_cmp_lt_i16_e32 vcc, s4, v11
	s_mov_b64 s[4:5], 0
                                        ; implicit-def: $sgpr10
	s_and_saveexec_b64 s[6:7], vcc
	s_xor_b64 s[6:7], exec, s[6:7]
	s_cbranch_execnz .LBB4_3153
; %bb.1105:
	s_or_saveexec_b64 s[6:7], s[6:7]
	v_mov_b32_e32 v10, s10
	s_xor_b64 exec, exec, s[6:7]
	s_cbranch_execnz .LBB4_3156
.LBB4_1106:
	s_or_b64 exec, exec, s[6:7]
	s_and_saveexec_b64 s[6:7], s[4:5]
	s_cbranch_execz .LBB4_1108
.LBB4_1107:
	v_bfe_u32 v10, v16, 16, 3
	v_ffbh_u32_e32 v15, v10
	v_min_u32_e32 v15, 32, v15
	v_lshrrev_b32_e32 v11, 19, v16
	v_subrev_u32_e32 v20, 28, v15
	v_and_b32_e32 v11, 15, v11
	v_lshlrev_b32_sdwa v20, v20, v16 dst_sel:DWORD dst_unused:UNUSED_PAD src0_sel:DWORD src1_sel:WORD_1
	v_bfe_u32 v14, v16, 19, 4
	v_sub_u32_e32 v15, 29, v15
	v_and_b32_e32 v20, 7, v20
	v_cmp_eq_u16_e32 vcc, 0, v11
	v_cndmask_b32_e32 v10, v10, v20, vcc
	v_cndmask_b32_e32 v11, v14, v15, vcc
	v_lshlrev_b32_e32 v14, 8, v16
	v_mov_b32_e32 v15, 0x3b800000
	v_lshlrev_b32_e32 v10, 20, v10
	v_and_b32_e32 v14, 0x80000000, v14
	v_lshl_add_u32 v11, v11, 23, v15
	v_or3_b32 v10, v14, v11, v10
.LBB4_1108:
	s_or_b64 exec, exec, s[6:7]
	s_movk_i32 s4, 0xff
	v_and_b32_sdwa v11, v12, s4 dst_sel:DWORD dst_unused:UNUSED_PAD src0_sel:WORD_1 src1_sel:DWORD
	s_movk_i32 s4, 0x7f
	v_cmp_lt_i16_e32 vcc, s4, v11
	s_mov_b64 s[4:5], 0
                                        ; implicit-def: $sgpr10
	s_and_saveexec_b64 s[6:7], vcc
	s_xor_b64 s[6:7], exec, s[6:7]
	s_cbranch_execnz .LBB4_3157
; %bb.1109:
	s_or_saveexec_b64 s[6:7], s[6:7]
	v_mov_b32_e32 v14, s10
	s_xor_b64 exec, exec, s[6:7]
	s_cbranch_execnz .LBB4_3160
.LBB4_1110:
	s_or_b64 exec, exec, s[6:7]
	s_and_saveexec_b64 s[6:7], s[4:5]
	s_cbranch_execz .LBB4_1112
.LBB4_1111:
	v_bfe_u32 v11, v12, 16, 3
	v_ffbh_u32_e32 v20, v11
	v_min_u32_e32 v20, 32, v20
	v_lshrrev_b32_e32 v14, 19, v12
	v_subrev_u32_e32 v21, 28, v20
	v_and_b32_e32 v14, 15, v14
	v_lshlrev_b32_sdwa v21, v21, v12 dst_sel:DWORD dst_unused:UNUSED_PAD src0_sel:DWORD src1_sel:WORD_1
	v_bfe_u32 v15, v12, 19, 4
	v_sub_u32_e32 v20, 29, v20
	v_and_b32_e32 v21, 7, v21
	v_cmp_eq_u16_e32 vcc, 0, v14
	v_cndmask_b32_e32 v11, v11, v21, vcc
	v_cndmask_b32_e32 v14, v15, v20, vcc
	v_lshlrev_b32_e32 v15, 8, v12
	v_mov_b32_e32 v20, 0x3b800000
	v_lshlrev_b32_e32 v11, 20, v11
	v_and_b32_e32 v15, 0x80000000, v15
	v_lshl_add_u32 v14, v14, 23, v20
	v_or3_b32 v14, v15, v14, v11
.LBB4_1112:
	s_or_b64 exec, exec, s[6:7]
	s_nop 0
	v_mfma_f32_16x16x4f32 a[0:3], v10, v14, a[0:3]
	s_movk_i32 s4, 0x7f
	v_cmp_gt_i16_sdwa s[6:7], v16, s4 src0_sel:BYTE_3 src1_sel:DWORD
	s_mov_b64 s[4:5], 0
                                        ; implicit-def: $sgpr10
	s_and_saveexec_b64 s[8:9], s[6:7]
	s_xor_b64 s[6:7], exec, s[8:9]
	s_cbranch_execnz .LBB4_3161
; %bb.1113:
	s_or_saveexec_b64 s[6:7], s[6:7]
	v_mov_b32_e32 v10, s10
	s_xor_b64 exec, exec, s[6:7]
	s_cbranch_execnz .LBB4_3164
.LBB4_1114:
	s_or_b64 exec, exec, s[6:7]
	s_and_saveexec_b64 s[6:7], s[4:5]
	s_cbranch_execz .LBB4_1116
.LBB4_1115:
	v_bfe_u32 v10, v16, 24, 3
	v_ffbh_u32_e32 v20, v10
	v_min_u32_e32 v20, 32, v20
	v_lshrrev_b32_e32 v14, 27, v16
	v_subrev_u32_e32 v21, 28, v20
	v_and_b32_e32 v11, 0x80000000, v16
	v_and_b32_e32 v14, 15, v14
	v_bfe_u32 v15, v16, 27, 4
	v_lshlrev_b32_sdwa v16, v21, v16 dst_sel:DWORD dst_unused:UNUSED_PAD src0_sel:DWORD src1_sel:BYTE_3
	v_sub_u32_e32 v20, 29, v20
	v_and_b32_e32 v16, 7, v16
	v_cmp_eq_u16_e32 vcc, 0, v14
	v_cndmask_b32_e32 v10, v10, v16, vcc
	v_cndmask_b32_e32 v14, v15, v20, vcc
	v_mov_b32_e32 v15, 0x3b800000
	v_lshlrev_b32_e32 v10, 20, v10
	v_lshl_add_u32 v14, v14, 23, v15
	v_or3_b32 v10, v11, v14, v10
.LBB4_1116:
	s_or_b64 exec, exec, s[6:7]
	s_movk_i32 s4, 0x7f
	v_cmp_gt_i16_sdwa s[6:7], v12, s4 src0_sel:BYTE_3 src1_sel:DWORD
	s_mov_b64 s[4:5], 0
                                        ; implicit-def: $sgpr10
	s_and_saveexec_b64 s[8:9], s[6:7]
	s_xor_b64 s[6:7], exec, s[8:9]
	s_cbranch_execnz .LBB4_3165
; %bb.1117:
	s_or_saveexec_b64 s[6:7], s[6:7]
	v_mov_b32_e32 v11, s10
	s_xor_b64 exec, exec, s[6:7]
	s_cbranch_execnz .LBB4_3168
.LBB4_1118:
	s_or_b64 exec, exec, s[6:7]
	s_and_saveexec_b64 s[6:7], s[4:5]
	s_cbranch_execz .LBB4_1120
.LBB4_1119:
	v_bfe_u32 v11, v12, 24, 3
	v_ffbh_u32_e32 v20, v11
	v_min_u32_e32 v20, 32, v20
	v_lshrrev_b32_e32 v15, 27, v12
	v_subrev_u32_e32 v21, 28, v20
	v_and_b32_e32 v14, 0x80000000, v12
	v_and_b32_e32 v15, 15, v15
	v_bfe_u32 v16, v12, 27, 4
	v_lshlrev_b32_sdwa v12, v21, v12 dst_sel:DWORD dst_unused:UNUSED_PAD src0_sel:DWORD src1_sel:BYTE_3
	v_sub_u32_e32 v20, 29, v20
	v_and_b32_e32 v12, 7, v12
	v_cmp_eq_u16_e32 vcc, 0, v15
	v_cndmask_b32_e32 v11, v11, v12, vcc
	v_cndmask_b32_e32 v12, v16, v20, vcc
	v_mov_b32_e32 v15, 0x3b800000
	v_lshlrev_b32_e32 v11, 20, v11
	v_lshl_add_u32 v12, v12, 23, v15
	v_or3_b32 v11, v14, v12, v11
.LBB4_1120:
	s_or_b64 exec, exec, s[6:7]
	s_nop 0
	v_mfma_f32_16x16x4f32 a[0:3], v10, v11, a[0:3]
	s_movk_i32 s4, 0x7f
	v_cmp_gt_i16_sdwa s[6:7], v17, s4 src0_sel:BYTE_0 src1_sel:DWORD
	s_mov_b64 s[4:5], 0
                                        ; implicit-def: $sgpr10
	s_and_saveexec_b64 s[8:9], s[6:7]
	s_xor_b64 s[6:7], exec, s[8:9]
	s_cbranch_execnz .LBB4_3169
; %bb.1121:
	s_or_saveexec_b64 s[6:7], s[6:7]
	v_mov_b32_e32 v10, s10
	s_xor_b64 exec, exec, s[6:7]
	s_cbranch_execnz .LBB4_3172
.LBB4_1122:
	s_or_b64 exec, exec, s[6:7]
	s_and_saveexec_b64 s[6:7], s[4:5]
	s_cbranch_execz .LBB4_1124
.LBB4_1123:
	v_and_b32_e32 v10, 7, v17
	v_ffbh_u32_e32 v12, v10
	v_min_u32_e32 v12, 32, v12
	v_lshrrev_b16_e32 v11, 3, v17
	v_subrev_u32_e32 v14, 28, v12
	v_and_b32_e32 v11, 15, v11
	v_lshlrev_b32_e32 v14, v14, v17
	v_sub_u32_e32 v12, 29, v12
	v_and_b32_e32 v14, 7, v14
	v_cmp_eq_u16_e32 vcc, 0, v11
	v_cndmask_b32_e32 v10, v10, v14, vcc
	v_cndmask_b32_e32 v11, v11, v12, vcc
	v_lshlrev_b32_e32 v12, 24, v17
	v_mov_b32_e32 v14, 0x3b800000
	v_lshlrev_b32_e32 v10, 20, v10
	v_and_b32_e32 v12, 0x80000000, v12
	v_lshl_add_u32 v11, v11, 23, v14
	v_or3_b32 v10, v12, v11, v10
.LBB4_1124:
	s_or_b64 exec, exec, s[6:7]
	s_movk_i32 s4, 0x7f
	v_cmp_gt_i16_sdwa s[6:7], v13, s4 src0_sel:BYTE_0 src1_sel:DWORD
	s_mov_b64 s[4:5], 0
                                        ; implicit-def: $sgpr10
	s_and_saveexec_b64 s[8:9], s[6:7]
	s_xor_b64 s[6:7], exec, s[8:9]
	s_cbranch_execnz .LBB4_3173
; %bb.1125:
	s_or_saveexec_b64 s[6:7], s[6:7]
	v_mov_b32_e32 v11, s10
	s_xor_b64 exec, exec, s[6:7]
	s_cbranch_execnz .LBB4_3176
.LBB4_1126:
	s_or_b64 exec, exec, s[6:7]
	s_and_saveexec_b64 s[6:7], s[4:5]
	s_cbranch_execz .LBB4_1128
.LBB4_1127:
	v_and_b32_e32 v11, 7, v13
	v_ffbh_u32_e32 v14, v11
	v_min_u32_e32 v14, 32, v14
	v_lshrrev_b16_e32 v12, 3, v13
	v_subrev_u32_e32 v15, 28, v14
	v_and_b32_e32 v12, 15, v12
	v_lshlrev_b32_e32 v15, v15, v13
	v_sub_u32_e32 v14, 29, v14
	v_and_b32_e32 v15, 7, v15
	v_cmp_eq_u16_e32 vcc, 0, v12
	v_cndmask_b32_e32 v11, v11, v15, vcc
	v_cndmask_b32_e32 v12, v12, v14, vcc
	v_lshlrev_b32_e32 v14, 24, v13
	v_mov_b32_e32 v15, 0x3b800000
	v_lshlrev_b32_e32 v11, 20, v11
	v_and_b32_e32 v14, 0x80000000, v14
	v_lshl_add_u32 v12, v12, 23, v15
	v_or3_b32 v11, v14, v12, v11
.LBB4_1128:
	s_or_b64 exec, exec, s[6:7]
	s_nop 0
	v_mfma_f32_16x16x4f32 a[0:3], v10, v11, a[0:3]
	v_lshrrev_b32_e32 v11, 8, v17
	s_movk_i32 s4, 0x7f
	v_cmp_gt_i16_sdwa s[6:7], v11, s4 src0_sel:BYTE_0 src1_sel:DWORD
	s_mov_b64 s[4:5], 0
                                        ; implicit-def: $sgpr10
	s_and_saveexec_b64 s[8:9], s[6:7]
	s_xor_b64 s[6:7], exec, s[8:9]
	s_cbranch_execnz .LBB4_3177
; %bb.1129:
	s_or_saveexec_b64 s[6:7], s[6:7]
	v_mov_b32_e32 v10, s10
	s_xor_b64 exec, exec, s[6:7]
	s_cbranch_execnz .LBB4_3180
.LBB4_1130:
	s_or_b64 exec, exec, s[6:7]
	s_and_saveexec_b64 s[6:7], s[4:5]
	s_cbranch_execz .LBB4_1132
.LBB4_1131:
	v_bfe_u32 v10, v17, 8, 3
	v_ffbh_u32_e32 v14, v10
	v_min_u32_e32 v14, 32, v14
	v_lshrrev_b16_e32 v12, 3, v11
	v_subrev_u32_e32 v15, 28, v14
	v_and_b32_e32 v12, 15, v12
	v_lshlrev_b32_e32 v11, v15, v11
	v_sub_u32_e32 v14, 29, v14
	v_and_b32_e32 v11, 7, v11
	v_cmp_eq_u16_e32 vcc, 0, v12
	v_cndmask_b32_e32 v10, v10, v11, vcc
	v_cndmask_b32_e32 v11, v12, v14, vcc
	v_lshlrev_b32_e32 v12, 16, v17
	v_mov_b32_e32 v14, 0x3b800000
	v_lshlrev_b32_e32 v10, 20, v10
	v_and_b32_e32 v12, 0x80000000, v12
	v_lshl_add_u32 v11, v11, 23, v14
	v_or3_b32 v10, v12, v11, v10
.LBB4_1132:
	s_or_b64 exec, exec, s[6:7]
	v_lshrrev_b32_e32 v11, 8, v13
	s_movk_i32 s4, 0x7f
	v_cmp_gt_i16_sdwa s[6:7], v11, s4 src0_sel:BYTE_0 src1_sel:DWORD
	s_mov_b64 s[4:5], 0
                                        ; implicit-def: $sgpr10
	s_and_saveexec_b64 s[8:9], s[6:7]
	s_xor_b64 s[6:7], exec, s[8:9]
	s_cbranch_execnz .LBB4_3181
; %bb.1133:
	s_or_saveexec_b64 s[6:7], s[6:7]
	v_mov_b32_e32 v12, s10
	s_xor_b64 exec, exec, s[6:7]
	s_cbranch_execnz .LBB4_3184
.LBB4_1134:
	s_or_b64 exec, exec, s[6:7]
	s_and_saveexec_b64 s[6:7], s[4:5]
	s_cbranch_execz .LBB4_1136
.LBB4_1135:
	v_bfe_u32 v12, v13, 8, 3
	v_ffbh_u32_e32 v15, v12
	v_min_u32_e32 v15, 32, v15
	v_lshrrev_b16_e32 v14, 3, v11
	v_subrev_u32_e32 v16, 28, v15
	v_and_b32_e32 v14, 15, v14
	v_lshlrev_b32_e32 v11, v16, v11
	v_sub_u32_e32 v15, 29, v15
	v_and_b32_e32 v11, 7, v11
	v_cmp_eq_u16_e32 vcc, 0, v14
	v_cndmask_b32_e32 v11, v12, v11, vcc
	v_cndmask_b32_e32 v12, v14, v15, vcc
	v_lshlrev_b32_e32 v14, 16, v13
	v_mov_b32_e32 v15, 0x3b800000
	v_lshlrev_b32_e32 v11, 20, v11
	v_and_b32_e32 v14, 0x80000000, v14
	v_lshl_add_u32 v12, v12, 23, v15
	v_or3_b32 v12, v14, v12, v11
.LBB4_1136:
	s_or_b64 exec, exec, s[6:7]
	s_nop 0
	v_mfma_f32_16x16x4f32 a[0:3], v10, v12, a[0:3]
	s_movk_i32 s4, 0xff
	v_and_b32_sdwa v11, v17, s4 dst_sel:DWORD dst_unused:UNUSED_PAD src0_sel:WORD_1 src1_sel:DWORD
	s_movk_i32 s4, 0x7f
	v_cmp_lt_i16_e32 vcc, s4, v11
	s_mov_b64 s[4:5], 0
                                        ; implicit-def: $sgpr10
	s_and_saveexec_b64 s[6:7], vcc
	s_xor_b64 s[6:7], exec, s[6:7]
	s_cbranch_execnz .LBB4_3185
; %bb.1137:
	s_or_saveexec_b64 s[6:7], s[6:7]
	v_mov_b32_e32 v10, s10
	s_xor_b64 exec, exec, s[6:7]
	s_cbranch_execnz .LBB4_3188
.LBB4_1138:
	s_or_b64 exec, exec, s[6:7]
	s_and_saveexec_b64 s[6:7], s[4:5]
	s_cbranch_execz .LBB4_1140
.LBB4_1139:
	v_bfe_u32 v10, v17, 16, 3
	v_ffbh_u32_e32 v14, v10
	v_min_u32_e32 v14, 32, v14
	v_lshrrev_b32_e32 v11, 19, v17
	v_subrev_u32_e32 v15, 28, v14
	v_and_b32_e32 v11, 15, v11
	v_lshlrev_b32_sdwa v15, v15, v17 dst_sel:DWORD dst_unused:UNUSED_PAD src0_sel:DWORD src1_sel:WORD_1
	v_bfe_u32 v12, v17, 19, 4
	v_sub_u32_e32 v14, 29, v14
	v_and_b32_e32 v15, 7, v15
	v_cmp_eq_u16_e32 vcc, 0, v11
	v_cndmask_b32_e32 v10, v10, v15, vcc
	v_cndmask_b32_e32 v11, v12, v14, vcc
	v_lshlrev_b32_e32 v12, 8, v17
	v_mov_b32_e32 v14, 0x3b800000
	v_lshlrev_b32_e32 v10, 20, v10
	v_and_b32_e32 v12, 0x80000000, v12
	v_lshl_add_u32 v11, v11, 23, v14
	v_or3_b32 v10, v12, v11, v10
.LBB4_1140:
	s_or_b64 exec, exec, s[6:7]
	s_movk_i32 s4, 0xff
	v_and_b32_sdwa v11, v13, s4 dst_sel:DWORD dst_unused:UNUSED_PAD src0_sel:WORD_1 src1_sel:DWORD
	s_movk_i32 s4, 0x7f
	v_cmp_lt_i16_e32 vcc, s4, v11
	s_mov_b64 s[4:5], 0
                                        ; implicit-def: $sgpr10
	s_and_saveexec_b64 s[6:7], vcc
	s_xor_b64 s[6:7], exec, s[6:7]
	s_cbranch_execnz .LBB4_3189
; %bb.1141:
	s_or_saveexec_b64 s[6:7], s[6:7]
	v_mov_b32_e32 v12, s10
	s_xor_b64 exec, exec, s[6:7]
	s_cbranch_execnz .LBB4_3192
.LBB4_1142:
	s_or_b64 exec, exec, s[6:7]
	s_and_saveexec_b64 s[6:7], s[4:5]
	s_cbranch_execz .LBB4_1144
.LBB4_1143:
	v_bfe_u32 v11, v13, 16, 3
	v_ffbh_u32_e32 v15, v11
	v_min_u32_e32 v15, 32, v15
	v_lshrrev_b32_e32 v12, 19, v13
	v_subrev_u32_e32 v16, 28, v15
	v_and_b32_e32 v12, 15, v12
	v_lshlrev_b32_sdwa v16, v16, v13 dst_sel:DWORD dst_unused:UNUSED_PAD src0_sel:DWORD src1_sel:WORD_1
	v_bfe_u32 v14, v13, 19, 4
	v_sub_u32_e32 v15, 29, v15
	v_and_b32_e32 v16, 7, v16
	v_cmp_eq_u16_e32 vcc, 0, v12
	v_cndmask_b32_e32 v11, v11, v16, vcc
	v_cndmask_b32_e32 v12, v14, v15, vcc
	v_lshlrev_b32_e32 v14, 8, v13
	v_mov_b32_e32 v15, 0x3b800000
	v_lshlrev_b32_e32 v11, 20, v11
	v_and_b32_e32 v14, 0x80000000, v14
	v_lshl_add_u32 v12, v12, 23, v15
	v_or3_b32 v12, v14, v12, v11
.LBB4_1144:
	s_or_b64 exec, exec, s[6:7]
	s_nop 0
	v_mfma_f32_16x16x4f32 a[0:3], v10, v12, a[0:3]
	s_movk_i32 s4, 0x7f
	v_cmp_gt_i16_sdwa s[6:7], v17, s4 src0_sel:BYTE_3 src1_sel:DWORD
	s_mov_b64 s[4:5], 0
                                        ; implicit-def: $sgpr10
	s_and_saveexec_b64 s[8:9], s[6:7]
	s_xor_b64 s[6:7], exec, s[8:9]
	s_cbranch_execnz .LBB4_3193
; %bb.1145:
	s_or_saveexec_b64 s[6:7], s[6:7]
	v_mov_b32_e32 v10, s10
	s_xor_b64 exec, exec, s[6:7]
	s_cbranch_execnz .LBB4_3196
.LBB4_1146:
	s_or_b64 exec, exec, s[6:7]
	s_and_saveexec_b64 s[6:7], s[4:5]
	s_cbranch_execz .LBB4_1148
.LBB4_1147:
	v_bfe_u32 v10, v17, 24, 3
	v_ffbh_u32_e32 v15, v10
	v_min_u32_e32 v15, 32, v15
	v_lshrrev_b32_e32 v12, 27, v17
	v_subrev_u32_e32 v16, 28, v15
	v_and_b32_e32 v12, 15, v12
	v_lshlrev_b32_sdwa v16, v16, v17 dst_sel:DWORD dst_unused:UNUSED_PAD src0_sel:DWORD src1_sel:BYTE_3
	v_bfe_u32 v14, v17, 27, 4
	v_sub_u32_e32 v15, 29, v15
	v_and_b32_e32 v16, 7, v16
	v_cmp_eq_u16_e32 vcc, 0, v12
	v_cndmask_b32_e32 v10, v10, v16, vcc
	v_cndmask_b32_e32 v12, v14, v15, vcc
	v_mov_b32_e32 v14, 0x3b800000
	v_and_b32_e32 v11, 0x80000000, v17
	v_lshlrev_b32_e32 v10, 20, v10
	v_lshl_add_u32 v12, v12, 23, v14
	v_or3_b32 v10, v11, v12, v10
.LBB4_1148:
	s_or_b64 exec, exec, s[6:7]
	s_movk_i32 s4, 0x7f
	v_cmp_gt_i16_sdwa s[6:7], v13, s4 src0_sel:BYTE_3 src1_sel:DWORD
	s_mov_b64 s[4:5], 0
                                        ; implicit-def: $sgpr10
	s_and_saveexec_b64 s[8:9], s[6:7]
	s_xor_b64 s[6:7], exec, s[8:9]
	s_cbranch_execnz .LBB4_3197
; %bb.1149:
	s_or_saveexec_b64 s[6:7], s[6:7]
	v_mov_b32_e32 v11, s10
	s_xor_b64 exec, exec, s[6:7]
	s_cbranch_execnz .LBB4_3200
.LBB4_1150:
	s_or_b64 exec, exec, s[6:7]
	s_and_saveexec_b64 s[6:7], s[4:5]
	s_cbranch_execz .LBB4_1152
.LBB4_1151:
	v_bfe_u32 v11, v13, 24, 3
	v_ffbh_u32_e32 v16, v11
	v_min_u32_e32 v16, 32, v16
	v_lshrrev_b32_e32 v14, 27, v13
	v_subrev_u32_e32 v17, 28, v16
	v_and_b32_e32 v12, 0x80000000, v13
	v_and_b32_e32 v14, 15, v14
	v_bfe_u32 v15, v13, 27, 4
	v_lshlrev_b32_sdwa v13, v17, v13 dst_sel:DWORD dst_unused:UNUSED_PAD src0_sel:DWORD src1_sel:BYTE_3
	v_sub_u32_e32 v16, 29, v16
	v_and_b32_e32 v13, 7, v13
	v_cmp_eq_u16_e32 vcc, 0, v14
	v_cndmask_b32_e32 v11, v11, v13, vcc
	v_cndmask_b32_e32 v13, v15, v16, vcc
	v_mov_b32_e32 v14, 0x3b800000
	v_lshlrev_b32_e32 v11, 20, v11
	v_lshl_add_u32 v13, v13, 23, v14
	v_or3_b32 v11, v12, v13, v11
.LBB4_1152:
	s_or_b64 exec, exec, s[6:7]
	s_nop 0
	v_mfma_f32_16x16x4f32 a[0:3], v10, v11, a[0:3]
	s_movk_i32 s4, 0x7f
	v_cmp_gt_i16_sdwa s[6:7], v6, s4 src0_sel:BYTE_0 src1_sel:DWORD
	s_mov_b64 s[4:5], 0
                                        ; implicit-def: $sgpr10
	s_and_saveexec_b64 s[8:9], s[6:7]
	s_xor_b64 s[6:7], exec, s[8:9]
	s_cbranch_execnz .LBB4_3201
; %bb.1153:
	s_or_saveexec_b64 s[6:7], s[6:7]
	v_mov_b32_e32 v10, s10
	s_xor_b64 exec, exec, s[6:7]
	s_cbranch_execnz .LBB4_3204
.LBB4_1154:
	s_or_b64 exec, exec, s[6:7]
	s_and_saveexec_b64 s[6:7], s[4:5]
	s_cbranch_execz .LBB4_1156
.LBB4_1155:
	v_and_b32_e32 v10, 7, v6
	v_ffbh_u32_e32 v12, v10
	v_min_u32_e32 v12, 32, v12
	v_lshrrev_b16_e32 v11, 3, v6
	v_subrev_u32_e32 v13, 28, v12
	v_and_b32_e32 v11, 15, v11
	v_lshlrev_b32_e32 v13, v13, v6
	v_sub_u32_e32 v12, 29, v12
	v_and_b32_e32 v13, 7, v13
	v_cmp_eq_u16_e32 vcc, 0, v11
	v_cndmask_b32_e32 v10, v10, v13, vcc
	v_cndmask_b32_e32 v11, v11, v12, vcc
	v_lshlrev_b32_e32 v12, 24, v6
	v_mov_b32_e32 v13, 0x3b800000
	v_lshlrev_b32_e32 v10, 20, v10
	v_and_b32_e32 v12, 0x80000000, v12
	v_lshl_add_u32 v11, v11, 23, v13
	v_or3_b32 v10, v12, v11, v10
.LBB4_1156:
	s_or_b64 exec, exec, s[6:7]
	s_movk_i32 s4, 0x7f
	v_cmp_gt_i16_sdwa s[6:7], v2, s4 src0_sel:BYTE_0 src1_sel:DWORD
	s_mov_b64 s[4:5], 0
                                        ; implicit-def: $sgpr10
	s_and_saveexec_b64 s[8:9], s[6:7]
	s_xor_b64 s[6:7], exec, s[8:9]
	s_cbranch_execnz .LBB4_3205
; %bb.1157:
	s_or_saveexec_b64 s[6:7], s[6:7]
	v_mov_b32_e32 v11, s10
	s_xor_b64 exec, exec, s[6:7]
	s_cbranch_execnz .LBB4_3208
.LBB4_1158:
	s_or_b64 exec, exec, s[6:7]
	s_and_saveexec_b64 s[6:7], s[4:5]
	s_cbranch_execz .LBB4_1160
.LBB4_1159:
	v_and_b32_e32 v11, 7, v2
	v_ffbh_u32_e32 v13, v11
	v_min_u32_e32 v13, 32, v13
	v_lshrrev_b16_e32 v12, 3, v2
	v_subrev_u32_e32 v14, 28, v13
	v_and_b32_e32 v12, 15, v12
	v_lshlrev_b32_e32 v14, v14, v2
	v_sub_u32_e32 v13, 29, v13
	v_and_b32_e32 v14, 7, v14
	v_cmp_eq_u16_e32 vcc, 0, v12
	v_cndmask_b32_e32 v11, v11, v14, vcc
	v_cndmask_b32_e32 v12, v12, v13, vcc
	v_lshlrev_b32_e32 v13, 24, v2
	v_mov_b32_e32 v14, 0x3b800000
	v_lshlrev_b32_e32 v11, 20, v11
	v_and_b32_e32 v13, 0x80000000, v13
	v_lshl_add_u32 v12, v12, 23, v14
	v_or3_b32 v11, v13, v12, v11
.LBB4_1160:
	s_or_b64 exec, exec, s[6:7]
	s_nop 0
	v_mfma_f32_16x16x4f32 a[0:3], v10, v11, a[0:3]
	v_lshrrev_b32_e32 v11, 8, v6
	s_movk_i32 s4, 0x7f
	v_cmp_gt_i16_sdwa s[6:7], v11, s4 src0_sel:BYTE_0 src1_sel:DWORD
	s_mov_b64 s[4:5], 0
                                        ; implicit-def: $sgpr10
	s_and_saveexec_b64 s[8:9], s[6:7]
	s_xor_b64 s[6:7], exec, s[8:9]
	s_cbranch_execnz .LBB4_3209
; %bb.1161:
	s_or_saveexec_b64 s[6:7], s[6:7]
	v_mov_b32_e32 v10, s10
	s_xor_b64 exec, exec, s[6:7]
	s_cbranch_execnz .LBB4_3212
.LBB4_1162:
	s_or_b64 exec, exec, s[6:7]
	s_and_saveexec_b64 s[6:7], s[4:5]
	s_cbranch_execz .LBB4_1164
.LBB4_1163:
	v_bfe_u32 v10, v6, 8, 3
	v_ffbh_u32_e32 v13, v10
	v_min_u32_e32 v13, 32, v13
	v_lshrrev_b16_e32 v12, 3, v11
	v_subrev_u32_e32 v14, 28, v13
	v_and_b32_e32 v12, 15, v12
	v_lshlrev_b32_e32 v11, v14, v11
	v_sub_u32_e32 v13, 29, v13
	v_and_b32_e32 v11, 7, v11
	v_cmp_eq_u16_e32 vcc, 0, v12
	v_cndmask_b32_e32 v10, v10, v11, vcc
	v_cndmask_b32_e32 v11, v12, v13, vcc
	v_lshlrev_b32_e32 v12, 16, v6
	v_mov_b32_e32 v13, 0x3b800000
	v_lshlrev_b32_e32 v10, 20, v10
	v_and_b32_e32 v12, 0x80000000, v12
	v_lshl_add_u32 v11, v11, 23, v13
	v_or3_b32 v10, v12, v11, v10
.LBB4_1164:
	s_or_b64 exec, exec, s[6:7]
	v_lshrrev_b32_e32 v11, 8, v2
	s_movk_i32 s4, 0x7f
	v_cmp_gt_i16_sdwa s[6:7], v11, s4 src0_sel:BYTE_0 src1_sel:DWORD
	s_mov_b64 s[4:5], 0
                                        ; implicit-def: $sgpr10
	s_and_saveexec_b64 s[8:9], s[6:7]
	s_xor_b64 s[6:7], exec, s[8:9]
	s_cbranch_execnz .LBB4_3213
; %bb.1165:
	s_or_saveexec_b64 s[6:7], s[6:7]
	v_mov_b32_e32 v12, s10
	s_xor_b64 exec, exec, s[6:7]
	s_cbranch_execnz .LBB4_3216
.LBB4_1166:
	s_or_b64 exec, exec, s[6:7]
	s_and_saveexec_b64 s[6:7], s[4:5]
	s_cbranch_execz .LBB4_1168
.LBB4_1167:
	v_bfe_u32 v12, v2, 8, 3
	v_ffbh_u32_e32 v14, v12
	v_min_u32_e32 v14, 32, v14
	v_lshrrev_b16_e32 v13, 3, v11
	v_subrev_u32_e32 v15, 28, v14
	v_and_b32_e32 v13, 15, v13
	v_lshlrev_b32_e32 v11, v15, v11
	v_sub_u32_e32 v14, 29, v14
	v_and_b32_e32 v11, 7, v11
	v_cmp_eq_u16_e32 vcc, 0, v13
	v_cndmask_b32_e32 v11, v12, v11, vcc
	v_cndmask_b32_e32 v12, v13, v14, vcc
	v_lshlrev_b32_e32 v13, 16, v2
	v_mov_b32_e32 v14, 0x3b800000
	v_lshlrev_b32_e32 v11, 20, v11
	v_and_b32_e32 v13, 0x80000000, v13
	v_lshl_add_u32 v12, v12, 23, v14
	v_or3_b32 v12, v13, v12, v11
.LBB4_1168:
	s_or_b64 exec, exec, s[6:7]
	s_nop 0
	v_mfma_f32_16x16x4f32 a[0:3], v10, v12, a[0:3]
	s_movk_i32 s4, 0xff
	v_and_b32_sdwa v11, v6, s4 dst_sel:DWORD dst_unused:UNUSED_PAD src0_sel:WORD_1 src1_sel:DWORD
	s_movk_i32 s4, 0x7f
	v_cmp_lt_i16_e32 vcc, s4, v11
	s_mov_b64 s[4:5], 0
                                        ; implicit-def: $sgpr10
	s_and_saveexec_b64 s[6:7], vcc
	s_xor_b64 s[6:7], exec, s[6:7]
	s_cbranch_execnz .LBB4_3217
; %bb.1169:
	s_or_saveexec_b64 s[6:7], s[6:7]
	v_mov_b32_e32 v10, s10
	s_xor_b64 exec, exec, s[6:7]
	s_cbranch_execnz .LBB4_3220
.LBB4_1170:
	s_or_b64 exec, exec, s[6:7]
	s_and_saveexec_b64 s[6:7], s[4:5]
	s_cbranch_execz .LBB4_1172
.LBB4_1171:
	v_bfe_u32 v10, v6, 16, 3
	v_ffbh_u32_e32 v13, v10
	v_min_u32_e32 v13, 32, v13
	v_lshrrev_b32_e32 v11, 19, v6
	v_subrev_u32_e32 v14, 28, v13
	v_and_b32_e32 v11, 15, v11
	v_lshlrev_b32_sdwa v14, v14, v6 dst_sel:DWORD dst_unused:UNUSED_PAD src0_sel:DWORD src1_sel:WORD_1
	v_bfe_u32 v12, v6, 19, 4
	v_sub_u32_e32 v13, 29, v13
	v_and_b32_e32 v14, 7, v14
	v_cmp_eq_u16_e32 vcc, 0, v11
	v_cndmask_b32_e32 v10, v10, v14, vcc
	v_cndmask_b32_e32 v11, v12, v13, vcc
	v_lshlrev_b32_e32 v12, 8, v6
	v_mov_b32_e32 v13, 0x3b800000
	v_lshlrev_b32_e32 v10, 20, v10
	v_and_b32_e32 v12, 0x80000000, v12
	v_lshl_add_u32 v11, v11, 23, v13
	v_or3_b32 v10, v12, v11, v10
.LBB4_1172:
	s_or_b64 exec, exec, s[6:7]
	s_movk_i32 s4, 0xff
	v_and_b32_sdwa v11, v2, s4 dst_sel:DWORD dst_unused:UNUSED_PAD src0_sel:WORD_1 src1_sel:DWORD
	s_movk_i32 s4, 0x7f
	v_cmp_lt_i16_e32 vcc, s4, v11
	s_mov_b64 s[4:5], 0
                                        ; implicit-def: $sgpr10
	s_and_saveexec_b64 s[6:7], vcc
	s_xor_b64 s[6:7], exec, s[6:7]
	s_cbranch_execnz .LBB4_3221
; %bb.1173:
	s_or_saveexec_b64 s[6:7], s[6:7]
	v_mov_b32_e32 v12, s10
	s_xor_b64 exec, exec, s[6:7]
	s_cbranch_execnz .LBB4_3224
.LBB4_1174:
	s_or_b64 exec, exec, s[6:7]
	s_and_saveexec_b64 s[6:7], s[4:5]
	s_cbranch_execz .LBB4_1176
.LBB4_1175:
	v_bfe_u32 v11, v2, 16, 3
	v_ffbh_u32_e32 v14, v11
	v_min_u32_e32 v14, 32, v14
	v_lshrrev_b32_e32 v12, 19, v2
	v_subrev_u32_e32 v15, 28, v14
	v_and_b32_e32 v12, 15, v12
	v_lshlrev_b32_sdwa v15, v15, v2 dst_sel:DWORD dst_unused:UNUSED_PAD src0_sel:DWORD src1_sel:WORD_1
	v_bfe_u32 v13, v2, 19, 4
	v_sub_u32_e32 v14, 29, v14
	v_and_b32_e32 v15, 7, v15
	v_cmp_eq_u16_e32 vcc, 0, v12
	v_cndmask_b32_e32 v11, v11, v15, vcc
	v_cndmask_b32_e32 v12, v13, v14, vcc
	v_lshlrev_b32_e32 v13, 8, v2
	v_mov_b32_e32 v14, 0x3b800000
	v_lshlrev_b32_e32 v11, 20, v11
	v_and_b32_e32 v13, 0x80000000, v13
	v_lshl_add_u32 v12, v12, 23, v14
	v_or3_b32 v12, v13, v12, v11
.LBB4_1176:
	s_or_b64 exec, exec, s[6:7]
	s_nop 0
	v_mfma_f32_16x16x4f32 a[0:3], v10, v12, a[0:3]
	s_movk_i32 s4, 0x7f
	v_cmp_gt_i16_sdwa s[6:7], v6, s4 src0_sel:BYTE_3 src1_sel:DWORD
	s_mov_b64 s[4:5], 0
                                        ; implicit-def: $sgpr10
	s_and_saveexec_b64 s[8:9], s[6:7]
	s_xor_b64 s[6:7], exec, s[8:9]
	s_cbranch_execnz .LBB4_3225
; %bb.1177:
	s_or_saveexec_b64 s[6:7], s[6:7]
	v_mov_b32_e32 v10, s10
	s_xor_b64 exec, exec, s[6:7]
	s_cbranch_execnz .LBB4_3228
.LBB4_1178:
	s_or_b64 exec, exec, s[6:7]
	s_and_saveexec_b64 s[6:7], s[4:5]
	s_cbranch_execz .LBB4_1180
.LBB4_1179:
	v_bfe_u32 v10, v6, 24, 3
	v_ffbh_u32_e32 v14, v10
	v_min_u32_e32 v14, 32, v14
	v_lshrrev_b32_e32 v12, 27, v6
	v_subrev_u32_e32 v15, 28, v14
	v_and_b32_e32 v11, 0x80000000, v6
	v_and_b32_e32 v12, 15, v12
	v_bfe_u32 v13, v6, 27, 4
	v_lshlrev_b32_sdwa v6, v15, v6 dst_sel:DWORD dst_unused:UNUSED_PAD src0_sel:DWORD src1_sel:BYTE_3
	v_sub_u32_e32 v14, 29, v14
	v_and_b32_e32 v6, 7, v6
	v_cmp_eq_u16_e32 vcc, 0, v12
	v_cndmask_b32_e32 v6, v10, v6, vcc
	v_cndmask_b32_e32 v10, v13, v14, vcc
	v_mov_b32_e32 v12, 0x3b800000
	v_lshlrev_b32_e32 v6, 20, v6
	v_lshl_add_u32 v10, v10, 23, v12
	v_or3_b32 v10, v11, v10, v6
.LBB4_1180:
	s_or_b64 exec, exec, s[6:7]
	s_movk_i32 s4, 0x7f
	v_cmp_gt_i16_sdwa s[6:7], v2, s4 src0_sel:BYTE_3 src1_sel:DWORD
	s_mov_b64 s[4:5], 0
                                        ; implicit-def: $sgpr10
	s_and_saveexec_b64 s[8:9], s[6:7]
	s_xor_b64 s[6:7], exec, s[8:9]
	s_cbranch_execnz .LBB4_3229
; %bb.1181:
	s_or_saveexec_b64 s[6:7], s[6:7]
	v_mov_b32_e32 v6, s10
	s_xor_b64 exec, exec, s[6:7]
	s_cbranch_execnz .LBB4_3232
.LBB4_1182:
	s_or_b64 exec, exec, s[6:7]
	s_and_saveexec_b64 s[6:7], s[4:5]
	s_cbranch_execz .LBB4_1184
.LBB4_1183:
	v_bfe_u32 v6, v2, 24, 3
	v_ffbh_u32_e32 v14, v6
	v_min_u32_e32 v14, 32, v14
	v_lshrrev_b32_e32 v12, 27, v2
	v_subrev_u32_e32 v15, 28, v14
	v_and_b32_e32 v11, 0x80000000, v2
	v_and_b32_e32 v12, 15, v12
	v_bfe_u32 v13, v2, 27, 4
	v_lshlrev_b32_sdwa v2, v15, v2 dst_sel:DWORD dst_unused:UNUSED_PAD src0_sel:DWORD src1_sel:BYTE_3
	v_sub_u32_e32 v14, 29, v14
	v_and_b32_e32 v2, 7, v2
	v_cmp_eq_u16_e32 vcc, 0, v12
	v_cndmask_b32_e32 v2, v6, v2, vcc
	v_cndmask_b32_e32 v6, v13, v14, vcc
	v_mov_b32_e32 v12, 0x3b800000
	v_lshlrev_b32_e32 v2, 20, v2
	v_lshl_add_u32 v6, v6, 23, v12
	v_or3_b32 v6, v11, v6, v2
.LBB4_1184:
	s_or_b64 exec, exec, s[6:7]
	s_nop 0
	v_mfma_f32_16x16x4f32 a[0:3], v10, v6, a[0:3]
	s_movk_i32 s4, 0x7f
	v_cmp_gt_i16_sdwa s[6:7], v7, s4 src0_sel:BYTE_0 src1_sel:DWORD
	s_mov_b64 s[4:5], 0
                                        ; implicit-def: $sgpr10
	s_and_saveexec_b64 s[8:9], s[6:7]
	s_xor_b64 s[6:7], exec, s[8:9]
	s_cbranch_execnz .LBB4_3233
; %bb.1185:
	s_or_saveexec_b64 s[6:7], s[6:7]
	v_mov_b32_e32 v2, s10
	s_xor_b64 exec, exec, s[6:7]
	s_cbranch_execnz .LBB4_3236
.LBB4_1186:
	s_or_b64 exec, exec, s[6:7]
	s_and_saveexec_b64 s[6:7], s[4:5]
	s_cbranch_execz .LBB4_1188
.LBB4_1187:
	v_and_b32_e32 v2, 7, v7
	v_ffbh_u32_e32 v10, v2
	v_min_u32_e32 v10, 32, v10
	v_lshrrev_b16_e32 v6, 3, v7
	v_subrev_u32_e32 v11, 28, v10
	v_and_b32_e32 v6, 15, v6
	v_lshlrev_b32_e32 v11, v11, v7
	v_sub_u32_e32 v10, 29, v10
	v_and_b32_e32 v11, 7, v11
	v_cmp_eq_u16_e32 vcc, 0, v6
	v_cndmask_b32_e32 v2, v2, v11, vcc
	v_cndmask_b32_e32 v6, v6, v10, vcc
	v_lshlrev_b32_e32 v10, 24, v7
	v_mov_b32_e32 v11, 0x3b800000
	v_lshlrev_b32_e32 v2, 20, v2
	v_and_b32_e32 v10, 0x80000000, v10
	v_lshl_add_u32 v6, v6, 23, v11
	v_or3_b32 v2, v10, v6, v2
.LBB4_1188:
	s_or_b64 exec, exec, s[6:7]
	s_movk_i32 s4, 0x7f
	v_cmp_gt_i16_sdwa s[6:7], v3, s4 src0_sel:BYTE_0 src1_sel:DWORD
	s_mov_b64 s[4:5], 0
                                        ; implicit-def: $sgpr10
	s_and_saveexec_b64 s[8:9], s[6:7]
	s_xor_b64 s[6:7], exec, s[8:9]
	s_cbranch_execnz .LBB4_3237
; %bb.1189:
	s_or_saveexec_b64 s[6:7], s[6:7]
	v_mov_b32_e32 v6, s10
	s_xor_b64 exec, exec, s[6:7]
	s_cbranch_execnz .LBB4_3240
.LBB4_1190:
	s_or_b64 exec, exec, s[6:7]
	s_and_saveexec_b64 s[6:7], s[4:5]
	s_cbranch_execz .LBB4_1192
.LBB4_1191:
	v_and_b32_e32 v6, 7, v3
	v_ffbh_u32_e32 v11, v6
	v_min_u32_e32 v11, 32, v11
	v_lshrrev_b16_e32 v10, 3, v3
	v_subrev_u32_e32 v12, 28, v11
	v_and_b32_e32 v10, 15, v10
	v_lshlrev_b32_e32 v12, v12, v3
	v_sub_u32_e32 v11, 29, v11
	v_and_b32_e32 v12, 7, v12
	v_cmp_eq_u16_e32 vcc, 0, v10
	v_cndmask_b32_e32 v6, v6, v12, vcc
	v_cndmask_b32_e32 v10, v10, v11, vcc
	v_lshlrev_b32_e32 v11, 24, v3
	v_mov_b32_e32 v12, 0x3b800000
	v_lshlrev_b32_e32 v6, 20, v6
	v_and_b32_e32 v11, 0x80000000, v11
	v_lshl_add_u32 v10, v10, 23, v12
	v_or3_b32 v6, v11, v10, v6
.LBB4_1192:
	s_or_b64 exec, exec, s[6:7]
	s_nop 0
	v_mfma_f32_16x16x4f32 a[0:3], v2, v6, a[0:3]
	v_lshrrev_b32_e32 v6, 8, v7
	s_movk_i32 s4, 0x7f
	v_cmp_gt_i16_sdwa s[6:7], v6, s4 src0_sel:BYTE_0 src1_sel:DWORD
	s_mov_b64 s[4:5], 0
                                        ; implicit-def: $sgpr10
	s_and_saveexec_b64 s[8:9], s[6:7]
	s_xor_b64 s[6:7], exec, s[8:9]
	s_cbranch_execnz .LBB4_3241
; %bb.1193:
	s_or_saveexec_b64 s[6:7], s[6:7]
	v_mov_b32_e32 v2, s10
	s_xor_b64 exec, exec, s[6:7]
	s_cbranch_execnz .LBB4_3244
.LBB4_1194:
	s_or_b64 exec, exec, s[6:7]
	s_and_saveexec_b64 s[6:7], s[4:5]
	s_cbranch_execz .LBB4_1196
.LBB4_1195:
	v_bfe_u32 v2, v7, 8, 3
	v_ffbh_u32_e32 v11, v2
	v_min_u32_e32 v11, 32, v11
	v_lshrrev_b16_e32 v10, 3, v6
	v_subrev_u32_e32 v12, 28, v11
	v_and_b32_e32 v10, 15, v10
	v_lshlrev_b32_e32 v6, v12, v6
	v_sub_u32_e32 v11, 29, v11
	v_and_b32_e32 v6, 7, v6
	v_cmp_eq_u16_e32 vcc, 0, v10
	v_cndmask_b32_e32 v2, v2, v6, vcc
	v_cndmask_b32_e32 v6, v10, v11, vcc
	v_lshlrev_b32_e32 v10, 16, v7
	v_mov_b32_e32 v11, 0x3b800000
	v_lshlrev_b32_e32 v2, 20, v2
	v_and_b32_e32 v10, 0x80000000, v10
	v_lshl_add_u32 v6, v6, 23, v11
	v_or3_b32 v2, v10, v6, v2
.LBB4_1196:
	s_or_b64 exec, exec, s[6:7]
	v_lshrrev_b32_e32 v6, 8, v3
	s_movk_i32 s4, 0x7f
	v_cmp_gt_i16_sdwa s[6:7], v6, s4 src0_sel:BYTE_0 src1_sel:DWORD
	s_mov_b64 s[4:5], 0
                                        ; implicit-def: $sgpr10
	s_and_saveexec_b64 s[8:9], s[6:7]
	s_xor_b64 s[6:7], exec, s[8:9]
	s_cbranch_execnz .LBB4_3245
; %bb.1197:
	s_or_saveexec_b64 s[6:7], s[6:7]
	v_mov_b32_e32 v10, s10
	s_xor_b64 exec, exec, s[6:7]
	s_cbranch_execnz .LBB4_3248
.LBB4_1198:
	s_or_b64 exec, exec, s[6:7]
	s_and_saveexec_b64 s[6:7], s[4:5]
	s_cbranch_execz .LBB4_1200
.LBB4_1199:
	v_bfe_u32 v10, v3, 8, 3
	v_ffbh_u32_e32 v12, v10
	v_min_u32_e32 v12, 32, v12
	v_lshrrev_b16_e32 v11, 3, v6
	v_subrev_u32_e32 v13, 28, v12
	v_and_b32_e32 v11, 15, v11
	v_lshlrev_b32_e32 v6, v13, v6
	v_sub_u32_e32 v12, 29, v12
	v_and_b32_e32 v6, 7, v6
	v_cmp_eq_u16_e32 vcc, 0, v11
	v_cndmask_b32_e32 v6, v10, v6, vcc
	v_cndmask_b32_e32 v10, v11, v12, vcc
	v_lshlrev_b32_e32 v11, 16, v3
	v_mov_b32_e32 v12, 0x3b800000
	v_lshlrev_b32_e32 v6, 20, v6
	v_and_b32_e32 v11, 0x80000000, v11
	v_lshl_add_u32 v10, v10, 23, v12
	v_or3_b32 v10, v11, v10, v6
.LBB4_1200:
	s_or_b64 exec, exec, s[6:7]
	s_nop 0
	v_mfma_f32_16x16x4f32 a[0:3], v2, v10, a[0:3]
	s_movk_i32 s4, 0xff
	v_and_b32_sdwa v6, v7, s4 dst_sel:DWORD dst_unused:UNUSED_PAD src0_sel:WORD_1 src1_sel:DWORD
	s_movk_i32 s4, 0x7f
	v_cmp_lt_i16_e32 vcc, s4, v6
	s_mov_b64 s[4:5], 0
                                        ; implicit-def: $sgpr10
	s_and_saveexec_b64 s[6:7], vcc
	s_xor_b64 s[6:7], exec, s[6:7]
	s_cbranch_execnz .LBB4_3249
; %bb.1201:
	s_or_saveexec_b64 s[6:7], s[6:7]
	v_mov_b32_e32 v2, s10
	s_xor_b64 exec, exec, s[6:7]
	s_cbranch_execnz .LBB4_3252
.LBB4_1202:
	s_or_b64 exec, exec, s[6:7]
	s_and_saveexec_b64 s[6:7], s[4:5]
	s_cbranch_execz .LBB4_1204
.LBB4_1203:
	v_bfe_u32 v2, v7, 16, 3
	v_ffbh_u32_e32 v11, v2
	v_min_u32_e32 v11, 32, v11
	v_lshrrev_b32_e32 v6, 19, v7
	v_subrev_u32_e32 v12, 28, v11
	v_and_b32_e32 v6, 15, v6
	v_lshlrev_b32_sdwa v12, v12, v7 dst_sel:DWORD dst_unused:UNUSED_PAD src0_sel:DWORD src1_sel:WORD_1
	v_bfe_u32 v10, v7, 19, 4
	v_sub_u32_e32 v11, 29, v11
	v_and_b32_e32 v12, 7, v12
	v_cmp_eq_u16_e32 vcc, 0, v6
	v_cndmask_b32_e32 v2, v2, v12, vcc
	v_cndmask_b32_e32 v6, v10, v11, vcc
	v_lshlrev_b32_e32 v10, 8, v7
	v_mov_b32_e32 v11, 0x3b800000
	v_lshlrev_b32_e32 v2, 20, v2
	v_and_b32_e32 v10, 0x80000000, v10
	v_lshl_add_u32 v6, v6, 23, v11
	v_or3_b32 v2, v10, v6, v2
.LBB4_1204:
	s_or_b64 exec, exec, s[6:7]
	s_movk_i32 s4, 0xff
	v_and_b32_sdwa v6, v3, s4 dst_sel:DWORD dst_unused:UNUSED_PAD src0_sel:WORD_1 src1_sel:DWORD
	s_movk_i32 s4, 0x7f
	v_cmp_lt_i16_e32 vcc, s4, v6
	s_mov_b64 s[4:5], 0
                                        ; implicit-def: $sgpr10
	s_and_saveexec_b64 s[6:7], vcc
	s_xor_b64 s[6:7], exec, s[6:7]
	s_cbranch_execnz .LBB4_3253
; %bb.1205:
	s_or_saveexec_b64 s[6:7], s[6:7]
	v_mov_b32_e32 v10, s10
	s_xor_b64 exec, exec, s[6:7]
	s_cbranch_execnz .LBB4_3256
.LBB4_1206:
	s_or_b64 exec, exec, s[6:7]
	s_and_saveexec_b64 s[6:7], s[4:5]
	s_cbranch_execz .LBB4_1208
.LBB4_1207:
	v_bfe_u32 v6, v3, 16, 3
	v_ffbh_u32_e32 v12, v6
	v_min_u32_e32 v12, 32, v12
	v_lshrrev_b32_e32 v10, 19, v3
	v_subrev_u32_e32 v13, 28, v12
	v_and_b32_e32 v10, 15, v10
	v_lshlrev_b32_sdwa v13, v13, v3 dst_sel:DWORD dst_unused:UNUSED_PAD src0_sel:DWORD src1_sel:WORD_1
	v_bfe_u32 v11, v3, 19, 4
	v_sub_u32_e32 v12, 29, v12
	v_and_b32_e32 v13, 7, v13
	v_cmp_eq_u16_e32 vcc, 0, v10
	v_cndmask_b32_e32 v6, v6, v13, vcc
	v_cndmask_b32_e32 v10, v11, v12, vcc
	v_lshlrev_b32_e32 v11, 8, v3
	v_mov_b32_e32 v12, 0x3b800000
	v_lshlrev_b32_e32 v6, 20, v6
	v_and_b32_e32 v11, 0x80000000, v11
	v_lshl_add_u32 v10, v10, 23, v12
	v_or3_b32 v10, v11, v10, v6
.LBB4_1208:
	s_or_b64 exec, exec, s[6:7]
	s_nop 0
	v_mfma_f32_16x16x4f32 a[0:3], v2, v10, a[0:3]
	s_movk_i32 s4, 0x7f
	v_cmp_gt_i16_sdwa s[6:7], v7, s4 src0_sel:BYTE_3 src1_sel:DWORD
	s_mov_b64 s[4:5], 0
                                        ; implicit-def: $sgpr10
	s_and_saveexec_b64 s[8:9], s[6:7]
	s_xor_b64 s[6:7], exec, s[8:9]
	s_cbranch_execnz .LBB4_3257
; %bb.1209:
	s_or_saveexec_b64 s[6:7], s[6:7]
	v_mov_b32_e32 v2, s10
	s_xor_b64 exec, exec, s[6:7]
	s_cbranch_execnz .LBB4_3260
.LBB4_1210:
	s_or_b64 exec, exec, s[6:7]
	s_and_saveexec_b64 s[6:7], s[4:5]
	s_cbranch_execz .LBB4_1212
.LBB4_1211:
	v_bfe_u32 v2, v7, 24, 3
	v_ffbh_u32_e32 v12, v2
	v_min_u32_e32 v12, 32, v12
	v_lshrrev_b32_e32 v10, 27, v7
	v_subrev_u32_e32 v13, 28, v12
	v_and_b32_e32 v6, 0x80000000, v7
	v_and_b32_e32 v10, 15, v10
	v_bfe_u32 v11, v7, 27, 4
	v_lshlrev_b32_sdwa v7, v13, v7 dst_sel:DWORD dst_unused:UNUSED_PAD src0_sel:DWORD src1_sel:BYTE_3
	v_sub_u32_e32 v12, 29, v12
	v_and_b32_e32 v7, 7, v7
	v_cmp_eq_u16_e32 vcc, 0, v10
	v_cndmask_b32_e32 v2, v2, v7, vcc
	v_cndmask_b32_e32 v7, v11, v12, vcc
	v_mov_b32_e32 v10, 0x3b800000
	v_lshlrev_b32_e32 v2, 20, v2
	v_lshl_add_u32 v7, v7, 23, v10
	v_or3_b32 v2, v6, v7, v2
.LBB4_1212:
	s_or_b64 exec, exec, s[6:7]
	s_movk_i32 s4, 0x7f
	v_cmp_gt_i16_sdwa s[6:7], v3, s4 src0_sel:BYTE_3 src1_sel:DWORD
	s_mov_b64 s[4:5], 0
                                        ; implicit-def: $sgpr10
	s_and_saveexec_b64 s[8:9], s[6:7]
	s_xor_b64 s[6:7], exec, s[8:9]
	s_cbranch_execnz .LBB4_3261
; %bb.1213:
	s_or_saveexec_b64 s[6:7], s[6:7]
	v_mov_b32_e32 v6, s10
	s_xor_b64 exec, exec, s[6:7]
	s_cbranch_execnz .LBB4_3264
.LBB4_1214:
	s_or_b64 exec, exec, s[6:7]
	s_and_saveexec_b64 s[6:7], s[4:5]
	s_cbranch_execz .LBB4_1216
.LBB4_1215:
	v_bfe_u32 v6, v3, 24, 3
	v_ffbh_u32_e32 v12, v6
	v_min_u32_e32 v12, 32, v12
	v_lshrrev_b32_e32 v10, 27, v3
	v_subrev_u32_e32 v13, 28, v12
	v_and_b32_e32 v7, 0x80000000, v3
	v_and_b32_e32 v10, 15, v10
	v_bfe_u32 v11, v3, 27, 4
	v_lshlrev_b32_sdwa v3, v13, v3 dst_sel:DWORD dst_unused:UNUSED_PAD src0_sel:DWORD src1_sel:BYTE_3
	v_sub_u32_e32 v12, 29, v12
	v_and_b32_e32 v3, 7, v3
	v_cmp_eq_u16_e32 vcc, 0, v10
	v_cndmask_b32_e32 v3, v6, v3, vcc
	v_cndmask_b32_e32 v6, v11, v12, vcc
	v_mov_b32_e32 v10, 0x3b800000
	v_lshlrev_b32_e32 v3, 20, v3
	v_lshl_add_u32 v6, v6, 23, v10
	v_or3_b32 v6, v7, v6, v3
.LBB4_1216:
	s_or_b64 exec, exec, s[6:7]
	s_nop 0
	v_mfma_f32_16x16x4f32 a[0:3], v2, v6, a[0:3]
	s_movk_i32 s4, 0x7f
	v_cmp_gt_i16_sdwa s[6:7], v8, s4 src0_sel:BYTE_0 src1_sel:DWORD
	s_mov_b64 s[4:5], 0
                                        ; implicit-def: $sgpr10
	s_and_saveexec_b64 s[8:9], s[6:7]
	s_xor_b64 s[6:7], exec, s[8:9]
	s_cbranch_execnz .LBB4_3265
; %bb.1217:
	s_or_saveexec_b64 s[6:7], s[6:7]
	v_mov_b32_e32 v2, s10
	s_xor_b64 exec, exec, s[6:7]
	s_cbranch_execnz .LBB4_3268
.LBB4_1218:
	s_or_b64 exec, exec, s[6:7]
	s_and_saveexec_b64 s[6:7], s[4:5]
	s_cbranch_execz .LBB4_1220
.LBB4_1219:
	v_and_b32_e32 v2, 7, v8
	v_ffbh_u32_e32 v6, v2
	v_min_u32_e32 v6, 32, v6
	v_lshrrev_b16_e32 v3, 3, v8
	v_subrev_u32_e32 v7, 28, v6
	v_and_b32_e32 v3, 15, v3
	v_lshlrev_b32_e32 v7, v7, v8
	v_sub_u32_e32 v6, 29, v6
	v_and_b32_e32 v7, 7, v7
	v_cmp_eq_u16_e32 vcc, 0, v3
	v_cndmask_b32_e32 v2, v2, v7, vcc
	v_cndmask_b32_e32 v3, v3, v6, vcc
	v_lshlrev_b32_e32 v6, 24, v8
	v_mov_b32_e32 v7, 0x3b800000
	v_lshlrev_b32_e32 v2, 20, v2
	v_and_b32_e32 v6, 0x80000000, v6
	v_lshl_add_u32 v3, v3, 23, v7
	v_or3_b32 v2, v6, v3, v2
.LBB4_1220:
	s_or_b64 exec, exec, s[6:7]
	s_movk_i32 s4, 0x7f
	v_cmp_gt_i16_sdwa s[6:7], v4, s4 src0_sel:BYTE_0 src1_sel:DWORD
	s_mov_b64 s[4:5], 0
                                        ; implicit-def: $sgpr10
	s_and_saveexec_b64 s[8:9], s[6:7]
	s_xor_b64 s[6:7], exec, s[8:9]
	s_cbranch_execnz .LBB4_3269
; %bb.1221:
	s_or_saveexec_b64 s[6:7], s[6:7]
	v_mov_b32_e32 v3, s10
	s_xor_b64 exec, exec, s[6:7]
	s_cbranch_execnz .LBB4_3272
.LBB4_1222:
	s_or_b64 exec, exec, s[6:7]
	s_and_saveexec_b64 s[6:7], s[4:5]
	s_cbranch_execz .LBB4_1224
.LBB4_1223:
	v_and_b32_e32 v3, 7, v4
	v_ffbh_u32_e32 v7, v3
	v_min_u32_e32 v7, 32, v7
	v_lshrrev_b16_e32 v6, 3, v4
	v_subrev_u32_e32 v10, 28, v7
	v_and_b32_e32 v6, 15, v6
	v_lshlrev_b32_e32 v10, v10, v4
	v_sub_u32_e32 v7, 29, v7
	v_and_b32_e32 v10, 7, v10
	v_cmp_eq_u16_e32 vcc, 0, v6
	v_cndmask_b32_e32 v3, v3, v10, vcc
	v_cndmask_b32_e32 v6, v6, v7, vcc
	v_lshlrev_b32_e32 v7, 24, v4
	v_mov_b32_e32 v10, 0x3b800000
	v_lshlrev_b32_e32 v3, 20, v3
	v_and_b32_e32 v7, 0x80000000, v7
	v_lshl_add_u32 v6, v6, 23, v10
	v_or3_b32 v3, v7, v6, v3
.LBB4_1224:
	s_or_b64 exec, exec, s[6:7]
	s_nop 0
	v_mfma_f32_16x16x4f32 a[0:3], v2, v3, a[0:3]
	v_lshrrev_b32_e32 v3, 8, v8
	s_movk_i32 s4, 0x7f
	v_cmp_gt_i16_sdwa s[6:7], v3, s4 src0_sel:BYTE_0 src1_sel:DWORD
	s_mov_b64 s[4:5], 0
                                        ; implicit-def: $sgpr10
	s_and_saveexec_b64 s[8:9], s[6:7]
	s_xor_b64 s[6:7], exec, s[8:9]
	s_cbranch_execnz .LBB4_3273
; %bb.1225:
	s_or_saveexec_b64 s[6:7], s[6:7]
	v_mov_b32_e32 v2, s10
	s_xor_b64 exec, exec, s[6:7]
	s_cbranch_execnz .LBB4_3276
.LBB4_1226:
	s_or_b64 exec, exec, s[6:7]
	s_and_saveexec_b64 s[6:7], s[4:5]
	s_cbranch_execz .LBB4_1228
.LBB4_1227:
	v_bfe_u32 v2, v8, 8, 3
	v_ffbh_u32_e32 v7, v2
	v_min_u32_e32 v7, 32, v7
	v_lshrrev_b16_e32 v6, 3, v3
	v_subrev_u32_e32 v10, 28, v7
	v_and_b32_e32 v6, 15, v6
	v_lshlrev_b32_e32 v3, v10, v3
	v_sub_u32_e32 v7, 29, v7
	v_and_b32_e32 v3, 7, v3
	v_cmp_eq_u16_e32 vcc, 0, v6
	v_cndmask_b32_e32 v2, v2, v3, vcc
	v_cndmask_b32_e32 v3, v6, v7, vcc
	v_lshlrev_b32_e32 v6, 16, v8
	v_mov_b32_e32 v7, 0x3b800000
	v_lshlrev_b32_e32 v2, 20, v2
	v_and_b32_e32 v6, 0x80000000, v6
	v_lshl_add_u32 v3, v3, 23, v7
	v_or3_b32 v2, v6, v3, v2
.LBB4_1228:
	s_or_b64 exec, exec, s[6:7]
	v_lshrrev_b32_e32 v3, 8, v4
	s_movk_i32 s4, 0x7f
	v_cmp_gt_i16_sdwa s[6:7], v3, s4 src0_sel:BYTE_0 src1_sel:DWORD
	s_mov_b64 s[4:5], 0
                                        ; implicit-def: $sgpr10
	s_and_saveexec_b64 s[8:9], s[6:7]
	s_xor_b64 s[6:7], exec, s[8:9]
	s_cbranch_execnz .LBB4_3277
; %bb.1229:
	s_or_saveexec_b64 s[6:7], s[6:7]
	v_mov_b32_e32 v6, s10
	s_xor_b64 exec, exec, s[6:7]
	s_cbranch_execnz .LBB4_3280
.LBB4_1230:
	s_or_b64 exec, exec, s[6:7]
	s_and_saveexec_b64 s[6:7], s[4:5]
	s_cbranch_execz .LBB4_1232
.LBB4_1231:
	v_bfe_u32 v6, v4, 8, 3
	v_ffbh_u32_e32 v10, v6
	v_min_u32_e32 v10, 32, v10
	v_lshrrev_b16_e32 v7, 3, v3
	v_subrev_u32_e32 v11, 28, v10
	v_and_b32_e32 v7, 15, v7
	v_lshlrev_b32_e32 v3, v11, v3
	v_sub_u32_e32 v10, 29, v10
	v_and_b32_e32 v3, 7, v3
	v_cmp_eq_u16_e32 vcc, 0, v7
	v_cndmask_b32_e32 v3, v6, v3, vcc
	v_cndmask_b32_e32 v6, v7, v10, vcc
	v_lshlrev_b32_e32 v7, 16, v4
	v_mov_b32_e32 v10, 0x3b800000
	v_lshlrev_b32_e32 v3, 20, v3
	v_and_b32_e32 v7, 0x80000000, v7
	v_lshl_add_u32 v6, v6, 23, v10
	v_or3_b32 v6, v7, v6, v3
.LBB4_1232:
	s_or_b64 exec, exec, s[6:7]
	s_nop 0
	v_mfma_f32_16x16x4f32 a[0:3], v2, v6, a[0:3]
	s_movk_i32 s4, 0xff
	v_and_b32_sdwa v3, v8, s4 dst_sel:DWORD dst_unused:UNUSED_PAD src0_sel:WORD_1 src1_sel:DWORD
	s_movk_i32 s4, 0x7f
	v_cmp_lt_i16_e32 vcc, s4, v3
	s_mov_b64 s[4:5], 0
                                        ; implicit-def: $sgpr10
	s_and_saveexec_b64 s[6:7], vcc
	s_xor_b64 s[6:7], exec, s[6:7]
	s_cbranch_execnz .LBB4_3281
; %bb.1233:
	s_or_saveexec_b64 s[6:7], s[6:7]
	v_mov_b32_e32 v2, s10
	s_xor_b64 exec, exec, s[6:7]
	s_cbranch_execnz .LBB4_3284
.LBB4_1234:
	s_or_b64 exec, exec, s[6:7]
	s_and_saveexec_b64 s[6:7], s[4:5]
	s_cbranch_execz .LBB4_1236
.LBB4_1235:
	v_bfe_u32 v2, v8, 16, 3
	v_ffbh_u32_e32 v7, v2
	v_min_u32_e32 v7, 32, v7
	v_lshrrev_b32_e32 v3, 19, v8
	v_subrev_u32_e32 v10, 28, v7
	v_and_b32_e32 v3, 15, v3
	v_lshlrev_b32_sdwa v10, v10, v8 dst_sel:DWORD dst_unused:UNUSED_PAD src0_sel:DWORD src1_sel:WORD_1
	v_bfe_u32 v6, v8, 19, 4
	v_sub_u32_e32 v7, 29, v7
	v_and_b32_e32 v10, 7, v10
	v_cmp_eq_u16_e32 vcc, 0, v3
	v_cndmask_b32_e32 v2, v2, v10, vcc
	v_cndmask_b32_e32 v3, v6, v7, vcc
	v_lshlrev_b32_e32 v6, 8, v8
	v_mov_b32_e32 v7, 0x3b800000
	v_lshlrev_b32_e32 v2, 20, v2
	v_and_b32_e32 v6, 0x80000000, v6
	v_lshl_add_u32 v3, v3, 23, v7
	v_or3_b32 v2, v6, v3, v2
.LBB4_1236:
	s_or_b64 exec, exec, s[6:7]
	s_movk_i32 s4, 0xff
	v_and_b32_sdwa v3, v4, s4 dst_sel:DWORD dst_unused:UNUSED_PAD src0_sel:WORD_1 src1_sel:DWORD
	s_movk_i32 s4, 0x7f
	v_cmp_lt_i16_e32 vcc, s4, v3
	s_mov_b64 s[4:5], 0
                                        ; implicit-def: $sgpr10
	s_and_saveexec_b64 s[6:7], vcc
	s_xor_b64 s[6:7], exec, s[6:7]
	s_cbranch_execnz .LBB4_3285
; %bb.1237:
	s_or_saveexec_b64 s[6:7], s[6:7]
	v_mov_b32_e32 v6, s10
	s_xor_b64 exec, exec, s[6:7]
	s_cbranch_execnz .LBB4_3288
.LBB4_1238:
	s_or_b64 exec, exec, s[6:7]
	s_and_saveexec_b64 s[6:7], s[4:5]
	s_cbranch_execz .LBB4_1240
.LBB4_1239:
	v_bfe_u32 v3, v4, 16, 3
	v_ffbh_u32_e32 v10, v3
	v_min_u32_e32 v10, 32, v10
	v_lshrrev_b32_e32 v6, 19, v4
	v_subrev_u32_e32 v11, 28, v10
	v_and_b32_e32 v6, 15, v6
	v_lshlrev_b32_sdwa v11, v11, v4 dst_sel:DWORD dst_unused:UNUSED_PAD src0_sel:DWORD src1_sel:WORD_1
	v_bfe_u32 v7, v4, 19, 4
	v_sub_u32_e32 v10, 29, v10
	v_and_b32_e32 v11, 7, v11
	v_cmp_eq_u16_e32 vcc, 0, v6
	v_cndmask_b32_e32 v3, v3, v11, vcc
	v_cndmask_b32_e32 v6, v7, v10, vcc
	v_lshlrev_b32_e32 v7, 8, v4
	v_mov_b32_e32 v10, 0x3b800000
	v_lshlrev_b32_e32 v3, 20, v3
	v_and_b32_e32 v7, 0x80000000, v7
	v_lshl_add_u32 v6, v6, 23, v10
	v_or3_b32 v6, v7, v6, v3
.LBB4_1240:
	s_or_b64 exec, exec, s[6:7]
	s_nop 0
	v_mfma_f32_16x16x4f32 a[0:3], v2, v6, a[0:3]
	s_movk_i32 s4, 0x7f
	v_cmp_gt_i16_sdwa s[6:7], v8, s4 src0_sel:BYTE_3 src1_sel:DWORD
	s_mov_b64 s[4:5], 0
                                        ; implicit-def: $sgpr10
	s_and_saveexec_b64 s[8:9], s[6:7]
	s_xor_b64 s[6:7], exec, s[8:9]
	s_cbranch_execnz .LBB4_3289
; %bb.1241:
	s_or_saveexec_b64 s[6:7], s[6:7]
	v_mov_b32_e32 v2, s10
	s_xor_b64 exec, exec, s[6:7]
	s_cbranch_execnz .LBB4_3292
.LBB4_1242:
	s_or_b64 exec, exec, s[6:7]
	s_and_saveexec_b64 s[6:7], s[4:5]
	s_cbranch_execz .LBB4_1244
.LBB4_1243:
	v_bfe_u32 v2, v8, 24, 3
	v_ffbh_u32_e32 v10, v2
	v_min_u32_e32 v10, 32, v10
	v_lshrrev_b32_e32 v6, 27, v8
	v_subrev_u32_e32 v11, 28, v10
	v_and_b32_e32 v3, 0x80000000, v8
	v_and_b32_e32 v6, 15, v6
	v_bfe_u32 v7, v8, 27, 4
	v_lshlrev_b32_sdwa v8, v11, v8 dst_sel:DWORD dst_unused:UNUSED_PAD src0_sel:DWORD src1_sel:BYTE_3
	v_sub_u32_e32 v10, 29, v10
	v_and_b32_e32 v8, 7, v8
	v_cmp_eq_u16_e32 vcc, 0, v6
	v_cndmask_b32_e32 v2, v2, v8, vcc
	v_cndmask_b32_e32 v6, v7, v10, vcc
	v_mov_b32_e32 v7, 0x3b800000
	v_lshlrev_b32_e32 v2, 20, v2
	v_lshl_add_u32 v6, v6, 23, v7
	v_or3_b32 v2, v3, v6, v2
.LBB4_1244:
	s_or_b64 exec, exec, s[6:7]
	s_movk_i32 s4, 0x7f
	v_cmp_gt_i16_sdwa s[6:7], v4, s4 src0_sel:BYTE_3 src1_sel:DWORD
	s_mov_b64 s[4:5], 0
                                        ; implicit-def: $sgpr10
	s_and_saveexec_b64 s[8:9], s[6:7]
	s_xor_b64 s[6:7], exec, s[8:9]
	s_cbranch_execnz .LBB4_3293
; %bb.1245:
	s_or_saveexec_b64 s[6:7], s[6:7]
	v_mov_b32_e32 v3, s10
	s_xor_b64 exec, exec, s[6:7]
	s_cbranch_execnz .LBB4_3296
.LBB4_1246:
	s_or_b64 exec, exec, s[6:7]
	s_and_saveexec_b64 s[6:7], s[4:5]
	s_cbranch_execz .LBB4_1248
.LBB4_1247:
	v_bfe_u32 v3, v4, 24, 3
	v_ffbh_u32_e32 v10, v3
	v_min_u32_e32 v10, 32, v10
	v_lshrrev_b32_e32 v7, 27, v4
	v_subrev_u32_e32 v11, 28, v10
	v_and_b32_e32 v6, 0x80000000, v4
	v_and_b32_e32 v7, 15, v7
	v_bfe_u32 v8, v4, 27, 4
	v_lshlrev_b32_sdwa v4, v11, v4 dst_sel:DWORD dst_unused:UNUSED_PAD src0_sel:DWORD src1_sel:BYTE_3
	v_sub_u32_e32 v10, 29, v10
	v_and_b32_e32 v4, 7, v4
	v_cmp_eq_u16_e32 vcc, 0, v7
	v_cndmask_b32_e32 v3, v3, v4, vcc
	v_cndmask_b32_e32 v4, v8, v10, vcc
	v_mov_b32_e32 v7, 0x3b800000
	v_lshlrev_b32_e32 v3, 20, v3
	v_lshl_add_u32 v4, v4, 23, v7
	v_or3_b32 v3, v6, v4, v3
.LBB4_1248:
	s_or_b64 exec, exec, s[6:7]
	s_nop 0
	v_mfma_f32_16x16x4f32 a[0:3], v2, v3, a[0:3]
	s_movk_i32 s4, 0x7f
	v_cmp_gt_i16_sdwa s[6:7], v9, s4 src0_sel:BYTE_0 src1_sel:DWORD
	s_mov_b64 s[4:5], 0
                                        ; implicit-def: $sgpr10
	s_and_saveexec_b64 s[8:9], s[6:7]
	s_xor_b64 s[6:7], exec, s[8:9]
	s_cbranch_execnz .LBB4_3297
; %bb.1249:
	s_or_saveexec_b64 s[6:7], s[6:7]
	v_mov_b32_e32 v2, s10
	s_xor_b64 exec, exec, s[6:7]
	s_cbranch_execnz .LBB4_3300
.LBB4_1250:
	s_or_b64 exec, exec, s[6:7]
	s_and_saveexec_b64 s[6:7], s[4:5]
	s_cbranch_execz .LBB4_1252
.LBB4_1251:
	v_mov_b32_e32 v2, 8
	v_and_b32_e32 v3, 7, v9
	v_lshrrev_b32_sdwa v2, v2, v9 dst_sel:BYTE_1 dst_unused:UNUSED_PAD src0_sel:DWORD src1_sel:DWORD
	v_ffbh_u32_e32 v4, v3
	v_or_b32_sdwa v2, v9, v2 dst_sel:DWORD dst_unused:UNUSED_PAD src0_sel:BYTE_0 src1_sel:DWORD
	v_min_u32_e32 v4, 32, v4
	v_lshrrev_b16_e32 v2, 3, v2
	v_subrev_u32_e32 v6, 28, v4
	v_and_b32_e32 v2, 15, v2
	v_lshlrev_b32_e32 v6, v6, v9
	v_sub_u32_e32 v4, 29, v4
	v_and_b32_e32 v6, 7, v6
	v_cmp_eq_u16_e32 vcc, 0, v2
	v_cndmask_b32_e32 v3, v3, v6, vcc
	v_cndmask_b32_e32 v2, v2, v4, vcc
	v_lshlrev_b32_e32 v4, 24, v9
	v_mov_b32_e32 v6, 0x3b800000
	v_lshlrev_b32_e32 v3, 20, v3
	v_and_b32_e32 v4, 0x80000000, v4
	v_lshl_add_u32 v2, v2, 23, v6
	v_or3_b32 v2, v4, v2, v3
.LBB4_1252:
	s_or_b64 exec, exec, s[6:7]
	s_movk_i32 s4, 0x7f
	v_cmp_gt_i16_sdwa s[6:7], v5, s4 src0_sel:BYTE_0 src1_sel:DWORD
	s_mov_b64 s[4:5], 0
                                        ; implicit-def: $sgpr10
	s_and_saveexec_b64 s[8:9], s[6:7]
	s_xor_b64 s[6:7], exec, s[8:9]
	s_cbranch_execnz .LBB4_3301
; %bb.1253:
	s_or_saveexec_b64 s[6:7], s[6:7]
	v_mov_b32_e32 v3, s10
	s_xor_b64 exec, exec, s[6:7]
	s_cbranch_execnz .LBB4_3304
.LBB4_1254:
	s_or_b64 exec, exec, s[6:7]
	s_and_saveexec_b64 s[6:7], s[4:5]
	s_cbranch_execz .LBB4_1256
.LBB4_1255:
	v_mov_b32_e32 v3, 8
	v_and_b32_e32 v4, 7, v5
	v_lshrrev_b32_sdwa v3, v3, v5 dst_sel:BYTE_1 dst_unused:UNUSED_PAD src0_sel:DWORD src1_sel:DWORD
	v_ffbh_u32_e32 v6, v4
	v_or_b32_sdwa v3, v5, v3 dst_sel:DWORD dst_unused:UNUSED_PAD src0_sel:BYTE_0 src1_sel:DWORD
	v_min_u32_e32 v6, 32, v6
	v_lshrrev_b16_e32 v3, 3, v3
	v_subrev_u32_e32 v7, 28, v6
	v_and_b32_e32 v3, 15, v3
	v_lshlrev_b32_e32 v7, v7, v5
	v_sub_u32_e32 v6, 29, v6
	v_and_b32_e32 v7, 7, v7
	v_cmp_eq_u16_e32 vcc, 0, v3
	v_cndmask_b32_e32 v4, v4, v7, vcc
	v_cndmask_b32_e32 v3, v3, v6, vcc
	v_lshlrev_b32_e32 v6, 24, v5
	v_mov_b32_e32 v7, 0x3b800000
	v_lshlrev_b32_e32 v4, 20, v4
	v_and_b32_e32 v6, 0x80000000, v6
	v_lshl_add_u32 v3, v3, 23, v7
	v_or3_b32 v3, v6, v3, v4
.LBB4_1256:
	s_or_b64 exec, exec, s[6:7]
	s_nop 0
	v_mfma_f32_16x16x4f32 a[0:3], v2, v3, a[0:3]
	v_lshrrev_b32_e32 v3, 8, v9
	s_movk_i32 s4, 0x7f
	v_cmp_gt_i16_sdwa s[6:7], v3, s4 src0_sel:BYTE_0 src1_sel:DWORD
	s_mov_b64 s[4:5], 0
                                        ; implicit-def: $sgpr10
	s_and_saveexec_b64 s[8:9], s[6:7]
	s_xor_b64 s[6:7], exec, s[8:9]
	s_cbranch_execnz .LBB4_3305
; %bb.1257:
	s_or_saveexec_b64 s[6:7], s[6:7]
	v_mov_b32_e32 v2, s10
	s_xor_b64 exec, exec, s[6:7]
	s_cbranch_execnz .LBB4_3308
.LBB4_1258:
	s_or_b64 exec, exec, s[6:7]
	s_and_saveexec_b64 s[6:7], s[4:5]
	s_cbranch_execz .LBB4_1260
.LBB4_1259:
	v_bfe_u32 v2, v9, 8, 3
	v_ffbh_u32_e32 v6, v2
	v_min_u32_e32 v6, 32, v6
	v_lshrrev_b16_e32 v4, 3, v3
	v_subrev_u32_e32 v7, 28, v6
	v_and_b32_e32 v4, 15, v4
	v_lshlrev_b32_e32 v3, v7, v3
	v_sub_u32_e32 v6, 29, v6
	v_and_b32_e32 v3, 7, v3
	v_cmp_eq_u16_e32 vcc, 0, v4
	v_cndmask_b32_e32 v2, v2, v3, vcc
	v_cndmask_b32_e32 v3, v4, v6, vcc
	v_lshlrev_b32_e32 v4, 16, v9
	v_mov_b32_e32 v6, 0x3b800000
	v_lshlrev_b32_e32 v2, 20, v2
	v_and_b32_e32 v4, 0x80000000, v4
	v_lshl_add_u32 v3, v3, 23, v6
	v_or3_b32 v2, v4, v3, v2
.LBB4_1260:
	s_or_b64 exec, exec, s[6:7]
	v_lshrrev_b32_e32 v3, 8, v5
	s_movk_i32 s4, 0x7f
	v_cmp_gt_i16_sdwa s[6:7], v3, s4 src0_sel:BYTE_0 src1_sel:DWORD
	s_mov_b64 s[4:5], 0
                                        ; implicit-def: $sgpr10
	s_and_saveexec_b64 s[8:9], s[6:7]
	s_xor_b64 s[6:7], exec, s[8:9]
	s_cbranch_execnz .LBB4_3309
; %bb.1261:
	s_or_saveexec_b64 s[6:7], s[6:7]
	v_mov_b32_e32 v4, s10
	s_xor_b64 exec, exec, s[6:7]
	s_cbranch_execnz .LBB4_3312
.LBB4_1262:
	s_or_b64 exec, exec, s[6:7]
	s_and_saveexec_b64 s[6:7], s[4:5]
	s_cbranch_execz .LBB4_1264
.LBB4_1263:
	v_bfe_u32 v4, v5, 8, 3
	v_ffbh_u32_e32 v7, v4
	v_min_u32_e32 v7, 32, v7
	v_lshrrev_b16_e32 v6, 3, v3
	v_subrev_u32_e32 v8, 28, v7
	v_and_b32_e32 v6, 15, v6
	v_lshlrev_b32_e32 v3, v8, v3
	v_sub_u32_e32 v7, 29, v7
	v_and_b32_e32 v3, 7, v3
	v_cmp_eq_u16_e32 vcc, 0, v6
	v_cndmask_b32_e32 v3, v4, v3, vcc
	v_cndmask_b32_e32 v4, v6, v7, vcc
	v_lshlrev_b32_e32 v6, 16, v5
	v_mov_b32_e32 v7, 0x3b800000
	v_lshlrev_b32_e32 v3, 20, v3
	v_and_b32_e32 v6, 0x80000000, v6
	v_lshl_add_u32 v4, v4, 23, v7
	v_or3_b32 v4, v6, v4, v3
.LBB4_1264:
	s_or_b64 exec, exec, s[6:7]
	s_nop 0
	v_mfma_f32_16x16x4f32 a[0:3], v2, v4, a[0:3]
	s_movk_i32 s4, 0xff
	v_and_b32_sdwa v3, v9, s4 dst_sel:DWORD dst_unused:UNUSED_PAD src0_sel:WORD_1 src1_sel:DWORD
	s_movk_i32 s4, 0x7f
	v_cmp_lt_i16_e32 vcc, s4, v3
	s_mov_b64 s[4:5], 0
                                        ; implicit-def: $sgpr10
	s_and_saveexec_b64 s[6:7], vcc
	s_xor_b64 s[6:7], exec, s[6:7]
	s_cbranch_execnz .LBB4_3313
; %bb.1265:
	s_or_saveexec_b64 s[6:7], s[6:7]
	v_mov_b32_e32 v2, s10
	s_xor_b64 exec, exec, s[6:7]
	s_cbranch_execnz .LBB4_3316
.LBB4_1266:
	s_or_b64 exec, exec, s[6:7]
	s_and_saveexec_b64 s[6:7], s[4:5]
	s_cbranch_execz .LBB4_1268
.LBB4_1267:
	v_bfe_u32 v2, v9, 16, 3
	v_ffbh_u32_e32 v6, v2
	v_min_u32_e32 v6, 32, v6
	v_lshrrev_b32_e32 v3, 19, v9
	v_subrev_u32_e32 v7, 28, v6
	v_and_b32_e32 v3, 15, v3
	v_lshlrev_b32_sdwa v7, v7, v9 dst_sel:DWORD dst_unused:UNUSED_PAD src0_sel:DWORD src1_sel:WORD_1
	v_bfe_u32 v4, v9, 19, 4
	v_sub_u32_e32 v6, 29, v6
	v_and_b32_e32 v7, 7, v7
	v_cmp_eq_u16_e32 vcc, 0, v3
	v_cndmask_b32_e32 v2, v2, v7, vcc
	v_cndmask_b32_e32 v3, v4, v6, vcc
	v_lshlrev_b32_e32 v4, 8, v9
	v_mov_b32_e32 v6, 0x3b800000
	v_lshlrev_b32_e32 v2, 20, v2
	v_and_b32_e32 v4, 0x80000000, v4
	v_lshl_add_u32 v3, v3, 23, v6
	v_or3_b32 v2, v4, v3, v2
.LBB4_1268:
	s_or_b64 exec, exec, s[6:7]
	s_movk_i32 s4, 0xff
	v_and_b32_sdwa v3, v5, s4 dst_sel:DWORD dst_unused:UNUSED_PAD src0_sel:WORD_1 src1_sel:DWORD
	s_movk_i32 s4, 0x7f
	v_cmp_lt_i16_e32 vcc, s4, v3
	s_mov_b64 s[4:5], 0
                                        ; implicit-def: $sgpr10
	s_and_saveexec_b64 s[6:7], vcc
	s_xor_b64 s[6:7], exec, s[6:7]
	s_cbranch_execnz .LBB4_3317
; %bb.1269:
	s_or_saveexec_b64 s[6:7], s[6:7]
	v_mov_b32_e32 v4, s10
	s_xor_b64 exec, exec, s[6:7]
	s_cbranch_execnz .LBB4_3320
.LBB4_1270:
	s_or_b64 exec, exec, s[6:7]
	s_and_saveexec_b64 s[6:7], s[4:5]
	s_cbranch_execz .LBB4_1272
.LBB4_1271:
	v_bfe_u32 v3, v5, 16, 3
	v_ffbh_u32_e32 v7, v3
	v_min_u32_e32 v7, 32, v7
	v_lshrrev_b32_e32 v4, 19, v5
	v_subrev_u32_e32 v8, 28, v7
	v_and_b32_e32 v4, 15, v4
	v_lshlrev_b32_sdwa v8, v8, v5 dst_sel:DWORD dst_unused:UNUSED_PAD src0_sel:DWORD src1_sel:WORD_1
	v_bfe_u32 v6, v5, 19, 4
	v_sub_u32_e32 v7, 29, v7
	v_and_b32_e32 v8, 7, v8
	v_cmp_eq_u16_e32 vcc, 0, v4
	v_cndmask_b32_e32 v3, v3, v8, vcc
	v_cndmask_b32_e32 v4, v6, v7, vcc
	v_lshlrev_b32_e32 v6, 8, v5
	v_mov_b32_e32 v7, 0x3b800000
	v_lshlrev_b32_e32 v3, 20, v3
	v_and_b32_e32 v6, 0x80000000, v6
	v_lshl_add_u32 v4, v4, 23, v7
	v_or3_b32 v4, v6, v4, v3
.LBB4_1272:
	s_or_b64 exec, exec, s[6:7]
	s_nop 0
	v_mfma_f32_16x16x4f32 a[0:3], v2, v4, a[0:3]
	s_movk_i32 s4, 0x7f
	v_cmp_gt_i16_sdwa s[6:7], v9, s4 src0_sel:BYTE_3 src1_sel:DWORD
	s_mov_b64 s[4:5], 0
                                        ; implicit-def: $sgpr10
	s_and_saveexec_b64 s[8:9], s[6:7]
	s_xor_b64 s[6:7], exec, s[8:9]
	s_cbranch_execnz .LBB4_3321
; %bb.1273:
	s_or_saveexec_b64 s[6:7], s[6:7]
	v_mov_b32_e32 v2, s10
	s_xor_b64 exec, exec, s[6:7]
	s_cbranch_execnz .LBB4_3324
.LBB4_1274:
	s_or_b64 exec, exec, s[6:7]
	s_and_saveexec_b64 s[6:7], s[4:5]
	s_cbranch_execz .LBB4_1276
.LBB4_1275:
	v_bfe_u32 v2, v9, 24, 3
	v_ffbh_u32_e32 v7, v2
	v_min_u32_e32 v7, 32, v7
	v_lshrrev_b32_e32 v4, 27, v9
	v_subrev_u32_e32 v8, 28, v7
	v_and_b32_e32 v4, 15, v4
	v_lshlrev_b32_sdwa v8, v8, v9 dst_sel:DWORD dst_unused:UNUSED_PAD src0_sel:DWORD src1_sel:BYTE_3
	v_bfe_u32 v6, v9, 27, 4
	v_sub_u32_e32 v7, 29, v7
	v_and_b32_e32 v8, 7, v8
	v_cmp_eq_u16_e32 vcc, 0, v4
	v_cndmask_b32_e32 v2, v2, v8, vcc
	v_cndmask_b32_e32 v4, v6, v7, vcc
	v_mov_b32_e32 v6, 0x3b800000
	v_and_b32_e32 v3, 0x80000000, v9
	v_lshlrev_b32_e32 v2, 20, v2
	v_lshl_add_u32 v4, v4, 23, v6
	v_or3_b32 v2, v3, v4, v2
.LBB4_1276:
	s_or_b64 exec, exec, s[6:7]
	s_movk_i32 s4, 0x7f
	v_cmp_gt_i16_sdwa s[6:7], v5, s4 src0_sel:BYTE_3 src1_sel:DWORD
	s_mov_b64 s[4:5], 0
                                        ; implicit-def: $sgpr10
	s_and_saveexec_b64 s[8:9], s[6:7]
	s_xor_b64 s[6:7], exec, s[8:9]
	s_cbranch_execnz .LBB4_3325
; %bb.1277:
	s_or_saveexec_b64 s[6:7], s[6:7]
	v_mov_b32_e32 v3, s10
	s_xor_b64 exec, exec, s[6:7]
	s_cbranch_execnz .LBB4_3328
.LBB4_1278:
	s_or_b64 exec, exec, s[6:7]
	s_and_saveexec_b64 s[6:7], s[4:5]
	s_cbranch_execz .LBB4_1280
.LBB4_1279:
	v_bfe_u32 v3, v5, 24, 3
	v_ffbh_u32_e32 v8, v3
	v_min_u32_e32 v8, 32, v8
	v_lshrrev_b32_e32 v6, 27, v5
	v_subrev_u32_e32 v9, 28, v8
	v_and_b32_e32 v4, 0x80000000, v5
	v_and_b32_e32 v6, 15, v6
	v_bfe_u32 v7, v5, 27, 4
	v_lshlrev_b32_sdwa v5, v9, v5 dst_sel:DWORD dst_unused:UNUSED_PAD src0_sel:DWORD src1_sel:BYTE_3
	v_sub_u32_e32 v8, 29, v8
	v_and_b32_e32 v5, 7, v5
	v_cmp_eq_u16_e32 vcc, 0, v6
	v_cndmask_b32_e32 v3, v3, v5, vcc
	v_cndmask_b32_e32 v5, v7, v8, vcc
	v_mov_b32_e32 v6, 0x3b800000
	v_lshlrev_b32_e32 v3, 20, v3
	v_lshl_add_u32 v5, v5, 23, v6
	v_or3_b32 v3, v4, v5, v3
.LBB4_1280:
	s_or_b64 exec, exec, s[6:7]
	s_nop 0
	v_mfma_f32_16x16x4f32 a[0:3], v2, v3, a[0:3]
	s_movk_i32 s4, 0x7f
                                        ; implicit-def: $sgpr10
	s_nop 7
	s_nop 1
	flat_store_dwordx4 v[18:19], a[0:3] offset:320
	flat_load_dwordx4 v[20:23], v[0:1] offset:16
	s_nop 0
	flat_load_dwordx2 v[18:19], v[0:1] offset:32
	s_waitcnt vmcnt(0) lgkmcnt(0)
	flat_load_dwordx4 v[14:17], v[20:21]
	flat_load_dwordx4 v[6:9], v[20:21] offset:16
	flat_load_dwordx4 v[10:13], v[22:23] offset:160
	flat_load_dwordx4 v[2:5], v[22:23] offset:176
	s_waitcnt vmcnt(0) lgkmcnt(0)
	v_cmp_gt_i16_sdwa s[6:7], v14, s4 src0_sel:BYTE_0 src1_sel:DWORD
	s_mov_b64 s[4:5], 0
	s_and_saveexec_b64 s[8:9], s[6:7]
	s_xor_b64 s[6:7], exec, s[8:9]
	s_cbranch_execnz .LBB4_3329
; %bb.1281:
	s_or_saveexec_b64 s[6:7], s[6:7]
	v_mov_b32_e32 v20, s10
	s_xor_b64 exec, exec, s[6:7]
	s_cbranch_execnz .LBB4_3332
.LBB4_1282:
	s_or_b64 exec, exec, s[6:7]
	s_and_saveexec_b64 s[6:7], s[4:5]
	s_cbranch_execz .LBB4_1284
.LBB4_1283:
	v_and_b32_e32 v20, 7, v14
	v_ffbh_u32_e32 v22, v20
	v_min_u32_e32 v22, 32, v22
	v_lshrrev_b16_e32 v21, 3, v14
	v_subrev_u32_e32 v23, 28, v22
	v_and_b32_e32 v21, 15, v21
	v_lshlrev_b32_e32 v23, v23, v14
	v_sub_u32_e32 v22, 29, v22
	v_and_b32_e32 v23, 7, v23
	v_cmp_eq_u16_e32 vcc, 0, v21
	v_cndmask_b32_e32 v20, v20, v23, vcc
	v_cndmask_b32_e32 v21, v21, v22, vcc
	v_lshlrev_b32_e32 v22, 24, v14
	v_mov_b32_e32 v23, 0x3b800000
	v_lshlrev_b32_e32 v20, 20, v20
	v_and_b32_e32 v22, 0x80000000, v22
	v_lshl_add_u32 v21, v21, 23, v23
	v_or3_b32 v20, v22, v21, v20
.LBB4_1284:
	s_or_b64 exec, exec, s[6:7]
	s_movk_i32 s4, 0x7f
	v_cmp_gt_i16_sdwa s[6:7], v10, s4 src0_sel:BYTE_0 src1_sel:DWORD
	s_mov_b64 s[4:5], 0
                                        ; implicit-def: $sgpr10
	s_and_saveexec_b64 s[8:9], s[6:7]
	s_xor_b64 s[6:7], exec, s[8:9]
	s_cbranch_execnz .LBB4_3333
; %bb.1285:
	s_or_saveexec_b64 s[6:7], s[6:7]
	v_mov_b32_e32 v21, s10
	s_xor_b64 exec, exec, s[6:7]
	s_cbranch_execnz .LBB4_3336
.LBB4_1286:
	s_or_b64 exec, exec, s[6:7]
	s_and_saveexec_b64 s[6:7], s[4:5]
	s_cbranch_execz .LBB4_1288
.LBB4_1287:
	v_and_b32_e32 v21, 7, v10
	v_ffbh_u32_e32 v23, v21
	v_min_u32_e32 v23, 32, v23
	v_lshrrev_b16_e32 v22, 3, v10
	v_subrev_u32_e32 v24, 28, v23
	v_and_b32_e32 v22, 15, v22
	v_lshlrev_b32_e32 v24, v24, v10
	v_sub_u32_e32 v23, 29, v23
	v_and_b32_e32 v24, 7, v24
	v_cmp_eq_u16_e32 vcc, 0, v22
	v_cndmask_b32_e32 v21, v21, v24, vcc
	v_cndmask_b32_e32 v22, v22, v23, vcc
	v_lshlrev_b32_e32 v23, 24, v10
	v_mov_b32_e32 v24, 0x3b800000
	v_lshlrev_b32_e32 v21, 20, v21
	v_and_b32_e32 v23, 0x80000000, v23
	v_lshl_add_u32 v22, v22, 23, v24
	v_or3_b32 v21, v23, v22, v21
.LBB4_1288:
	s_or_b64 exec, exec, s[6:7]
	flat_load_dwordx4 a[0:3], v[18:19] offset:336
	s_movk_i32 s4, 0x7f
                                        ; implicit-def: $sgpr10
	s_waitcnt vmcnt(0) lgkmcnt(0)
	v_mfma_f32_16x16x4f32 a[0:3], v20, v21, a[0:3]
	v_lshrrev_b32_e32 v21, 8, v14
	v_cmp_gt_i16_sdwa s[6:7], v21, s4 src0_sel:BYTE_0 src1_sel:DWORD
	s_mov_b64 s[4:5], 0
	s_and_saveexec_b64 s[8:9], s[6:7]
	s_xor_b64 s[6:7], exec, s[8:9]
	s_cbranch_execnz .LBB4_3337
; %bb.1289:
	s_or_saveexec_b64 s[6:7], s[6:7]
	v_mov_b32_e32 v20, s10
	s_xor_b64 exec, exec, s[6:7]
	s_cbranch_execnz .LBB4_3340
.LBB4_1290:
	s_or_b64 exec, exec, s[6:7]
	s_and_saveexec_b64 s[6:7], s[4:5]
	s_cbranch_execz .LBB4_1292
.LBB4_1291:
	v_bfe_u32 v20, v14, 8, 3
	v_ffbh_u32_e32 v23, v20
	v_min_u32_e32 v23, 32, v23
	v_lshrrev_b16_e32 v22, 3, v21
	v_subrev_u32_e32 v24, 28, v23
	v_and_b32_e32 v22, 15, v22
	v_lshlrev_b32_e32 v21, v24, v21
	v_sub_u32_e32 v23, 29, v23
	v_and_b32_e32 v21, 7, v21
	v_cmp_eq_u16_e32 vcc, 0, v22
	v_cndmask_b32_e32 v20, v20, v21, vcc
	v_cndmask_b32_e32 v21, v22, v23, vcc
	v_lshlrev_b32_e32 v22, 16, v14
	v_mov_b32_e32 v23, 0x3b800000
	v_lshlrev_b32_e32 v20, 20, v20
	v_and_b32_e32 v22, 0x80000000, v22
	v_lshl_add_u32 v21, v21, 23, v23
	v_or3_b32 v20, v22, v21, v20
.LBB4_1292:
	s_or_b64 exec, exec, s[6:7]
	v_lshrrev_b32_e32 v21, 8, v10
	s_movk_i32 s4, 0x7f
	v_cmp_gt_i16_sdwa s[6:7], v21, s4 src0_sel:BYTE_0 src1_sel:DWORD
	s_mov_b64 s[4:5], 0
                                        ; implicit-def: $sgpr10
	s_and_saveexec_b64 s[8:9], s[6:7]
	s_xor_b64 s[6:7], exec, s[8:9]
	s_cbranch_execnz .LBB4_3341
; %bb.1293:
	s_or_saveexec_b64 s[6:7], s[6:7]
	v_mov_b32_e32 v22, s10
	s_xor_b64 exec, exec, s[6:7]
	s_cbranch_execnz .LBB4_3344
.LBB4_1294:
	s_or_b64 exec, exec, s[6:7]
	s_and_saveexec_b64 s[6:7], s[4:5]
	s_cbranch_execz .LBB4_1296
.LBB4_1295:
	v_bfe_u32 v22, v10, 8, 3
	v_ffbh_u32_e32 v24, v22
	v_min_u32_e32 v24, 32, v24
	v_lshrrev_b16_e32 v23, 3, v21
	v_subrev_u32_e32 v25, 28, v24
	v_and_b32_e32 v23, 15, v23
	v_lshlrev_b32_e32 v21, v25, v21
	v_sub_u32_e32 v24, 29, v24
	v_and_b32_e32 v21, 7, v21
	v_cmp_eq_u16_e32 vcc, 0, v23
	v_cndmask_b32_e32 v21, v22, v21, vcc
	v_cndmask_b32_e32 v22, v23, v24, vcc
	v_lshlrev_b32_e32 v23, 16, v10
	v_mov_b32_e32 v24, 0x3b800000
	v_lshlrev_b32_e32 v21, 20, v21
	v_and_b32_e32 v23, 0x80000000, v23
	v_lshl_add_u32 v22, v22, 23, v24
	v_or3_b32 v22, v23, v22, v21
.LBB4_1296:
	s_or_b64 exec, exec, s[6:7]
	s_nop 0
	v_mfma_f32_16x16x4f32 a[0:3], v20, v22, a[0:3]
	s_movk_i32 s4, 0xff
	v_and_b32_sdwa v21, v14, s4 dst_sel:DWORD dst_unused:UNUSED_PAD src0_sel:WORD_1 src1_sel:DWORD
	s_movk_i32 s4, 0x7f
	v_cmp_lt_i16_e32 vcc, s4, v21
	s_mov_b64 s[4:5], 0
                                        ; implicit-def: $sgpr10
	s_and_saveexec_b64 s[6:7], vcc
	s_xor_b64 s[6:7], exec, s[6:7]
	s_cbranch_execnz .LBB4_3345
; %bb.1297:
	s_or_saveexec_b64 s[6:7], s[6:7]
	v_mov_b32_e32 v20, s10
	s_xor_b64 exec, exec, s[6:7]
	s_cbranch_execnz .LBB4_3348
.LBB4_1298:
	s_or_b64 exec, exec, s[6:7]
	s_and_saveexec_b64 s[6:7], s[4:5]
	s_cbranch_execz .LBB4_1300
.LBB4_1299:
	v_bfe_u32 v20, v14, 16, 3
	v_ffbh_u32_e32 v23, v20
	v_min_u32_e32 v23, 32, v23
	v_lshrrev_b32_e32 v21, 19, v14
	v_subrev_u32_e32 v24, 28, v23
	v_and_b32_e32 v21, 15, v21
	v_lshlrev_b32_sdwa v24, v24, v14 dst_sel:DWORD dst_unused:UNUSED_PAD src0_sel:DWORD src1_sel:WORD_1
	v_bfe_u32 v22, v14, 19, 4
	v_sub_u32_e32 v23, 29, v23
	v_and_b32_e32 v24, 7, v24
	v_cmp_eq_u16_e32 vcc, 0, v21
	v_cndmask_b32_e32 v20, v20, v24, vcc
	v_cndmask_b32_e32 v21, v22, v23, vcc
	v_lshlrev_b32_e32 v22, 8, v14
	v_mov_b32_e32 v23, 0x3b800000
	v_lshlrev_b32_e32 v20, 20, v20
	v_and_b32_e32 v22, 0x80000000, v22
	v_lshl_add_u32 v21, v21, 23, v23
	v_or3_b32 v20, v22, v21, v20
.LBB4_1300:
	s_or_b64 exec, exec, s[6:7]
	s_movk_i32 s4, 0xff
	v_and_b32_sdwa v21, v10, s4 dst_sel:DWORD dst_unused:UNUSED_PAD src0_sel:WORD_1 src1_sel:DWORD
	s_movk_i32 s4, 0x7f
	v_cmp_lt_i16_e32 vcc, s4, v21
	s_mov_b64 s[4:5], 0
                                        ; implicit-def: $sgpr10
	s_and_saveexec_b64 s[6:7], vcc
	s_xor_b64 s[6:7], exec, s[6:7]
	s_cbranch_execnz .LBB4_3349
; %bb.1301:
	s_or_saveexec_b64 s[6:7], s[6:7]
	v_mov_b32_e32 v22, s10
	s_xor_b64 exec, exec, s[6:7]
	s_cbranch_execnz .LBB4_3352
.LBB4_1302:
	s_or_b64 exec, exec, s[6:7]
	s_and_saveexec_b64 s[6:7], s[4:5]
	s_cbranch_execz .LBB4_1304
.LBB4_1303:
	v_bfe_u32 v21, v10, 16, 3
	v_ffbh_u32_e32 v24, v21
	v_min_u32_e32 v24, 32, v24
	v_lshrrev_b32_e32 v22, 19, v10
	v_subrev_u32_e32 v25, 28, v24
	v_and_b32_e32 v22, 15, v22
	v_lshlrev_b32_sdwa v25, v25, v10 dst_sel:DWORD dst_unused:UNUSED_PAD src0_sel:DWORD src1_sel:WORD_1
	v_bfe_u32 v23, v10, 19, 4
	v_sub_u32_e32 v24, 29, v24
	v_and_b32_e32 v25, 7, v25
	v_cmp_eq_u16_e32 vcc, 0, v22
	v_cndmask_b32_e32 v21, v21, v25, vcc
	v_cndmask_b32_e32 v22, v23, v24, vcc
	v_lshlrev_b32_e32 v23, 8, v10
	v_mov_b32_e32 v24, 0x3b800000
	v_lshlrev_b32_e32 v21, 20, v21
	v_and_b32_e32 v23, 0x80000000, v23
	v_lshl_add_u32 v22, v22, 23, v24
	v_or3_b32 v22, v23, v22, v21
.LBB4_1304:
	s_or_b64 exec, exec, s[6:7]
	s_nop 0
	v_mfma_f32_16x16x4f32 a[0:3], v20, v22, a[0:3]
	s_movk_i32 s4, 0x7f
	v_cmp_gt_i16_sdwa s[6:7], v14, s4 src0_sel:BYTE_3 src1_sel:DWORD
	s_mov_b64 s[4:5], 0
                                        ; implicit-def: $sgpr10
	s_and_saveexec_b64 s[8:9], s[6:7]
	s_xor_b64 s[6:7], exec, s[8:9]
	s_cbranch_execnz .LBB4_3353
; %bb.1305:
	s_or_saveexec_b64 s[6:7], s[6:7]
	v_mov_b32_e32 v20, s10
	s_xor_b64 exec, exec, s[6:7]
	s_cbranch_execnz .LBB4_3356
.LBB4_1306:
	s_or_b64 exec, exec, s[6:7]
	s_and_saveexec_b64 s[6:7], s[4:5]
	s_cbranch_execz .LBB4_1308
.LBB4_1307:
	v_bfe_u32 v20, v14, 24, 3
	v_ffbh_u32_e32 v24, v20
	v_min_u32_e32 v24, 32, v24
	v_lshrrev_b32_e32 v22, 27, v14
	v_subrev_u32_e32 v25, 28, v24
	v_and_b32_e32 v21, 0x80000000, v14
	v_and_b32_e32 v22, 15, v22
	v_bfe_u32 v23, v14, 27, 4
	v_lshlrev_b32_sdwa v14, v25, v14 dst_sel:DWORD dst_unused:UNUSED_PAD src0_sel:DWORD src1_sel:BYTE_3
	v_sub_u32_e32 v24, 29, v24
	v_and_b32_e32 v14, 7, v14
	v_cmp_eq_u16_e32 vcc, 0, v22
	v_cndmask_b32_e32 v14, v20, v14, vcc
	v_cndmask_b32_e32 v20, v23, v24, vcc
	v_mov_b32_e32 v22, 0x3b800000
	v_lshlrev_b32_e32 v14, 20, v14
	v_lshl_add_u32 v20, v20, 23, v22
	v_or3_b32 v20, v21, v20, v14
.LBB4_1308:
	s_or_b64 exec, exec, s[6:7]
	s_movk_i32 s4, 0x7f
	v_cmp_gt_i16_sdwa s[6:7], v10, s4 src0_sel:BYTE_3 src1_sel:DWORD
	s_mov_b64 s[4:5], 0
                                        ; implicit-def: $sgpr10
	s_and_saveexec_b64 s[8:9], s[6:7]
	s_xor_b64 s[6:7], exec, s[8:9]
	s_cbranch_execnz .LBB4_3357
; %bb.1309:
	s_or_saveexec_b64 s[6:7], s[6:7]
	v_mov_b32_e32 v14, s10
	s_xor_b64 exec, exec, s[6:7]
	s_cbranch_execnz .LBB4_3360
.LBB4_1310:
	s_or_b64 exec, exec, s[6:7]
	s_and_saveexec_b64 s[6:7], s[4:5]
	s_cbranch_execz .LBB4_1312
.LBB4_1311:
	v_bfe_u32 v14, v10, 24, 3
	v_ffbh_u32_e32 v24, v14
	v_min_u32_e32 v24, 32, v24
	v_lshrrev_b32_e32 v22, 27, v10
	v_subrev_u32_e32 v25, 28, v24
	v_and_b32_e32 v21, 0x80000000, v10
	v_and_b32_e32 v22, 15, v22
	v_bfe_u32 v23, v10, 27, 4
	v_lshlrev_b32_sdwa v10, v25, v10 dst_sel:DWORD dst_unused:UNUSED_PAD src0_sel:DWORD src1_sel:BYTE_3
	v_sub_u32_e32 v24, 29, v24
	v_and_b32_e32 v10, 7, v10
	v_cmp_eq_u16_e32 vcc, 0, v22
	v_cndmask_b32_e32 v10, v14, v10, vcc
	v_cndmask_b32_e32 v14, v23, v24, vcc
	v_mov_b32_e32 v22, 0x3b800000
	v_lshlrev_b32_e32 v10, 20, v10
	v_lshl_add_u32 v14, v14, 23, v22
	v_or3_b32 v14, v21, v14, v10
.LBB4_1312:
	s_or_b64 exec, exec, s[6:7]
	s_nop 0
	v_mfma_f32_16x16x4f32 a[0:3], v20, v14, a[0:3]
	s_movk_i32 s4, 0x7f
	v_cmp_gt_i16_sdwa s[6:7], v15, s4 src0_sel:BYTE_0 src1_sel:DWORD
	s_mov_b64 s[4:5], 0
                                        ; implicit-def: $sgpr10
	s_and_saveexec_b64 s[8:9], s[6:7]
	s_xor_b64 s[6:7], exec, s[8:9]
	s_cbranch_execnz .LBB4_3361
; %bb.1313:
	s_or_saveexec_b64 s[6:7], s[6:7]
	v_mov_b32_e32 v10, s10
	s_xor_b64 exec, exec, s[6:7]
	s_cbranch_execnz .LBB4_3364
.LBB4_1314:
	s_or_b64 exec, exec, s[6:7]
	s_and_saveexec_b64 s[6:7], s[4:5]
	s_cbranch_execz .LBB4_1316
.LBB4_1315:
	v_and_b32_e32 v10, 7, v15
	v_ffbh_u32_e32 v20, v10
	v_min_u32_e32 v20, 32, v20
	v_lshrrev_b16_e32 v14, 3, v15
	v_subrev_u32_e32 v21, 28, v20
	v_and_b32_e32 v14, 15, v14
	v_lshlrev_b32_e32 v21, v21, v15
	v_sub_u32_e32 v20, 29, v20
	v_and_b32_e32 v21, 7, v21
	v_cmp_eq_u16_e32 vcc, 0, v14
	v_cndmask_b32_e32 v10, v10, v21, vcc
	v_cndmask_b32_e32 v14, v14, v20, vcc
	v_lshlrev_b32_e32 v20, 24, v15
	v_mov_b32_e32 v21, 0x3b800000
	v_lshlrev_b32_e32 v10, 20, v10
	v_and_b32_e32 v20, 0x80000000, v20
	v_lshl_add_u32 v14, v14, 23, v21
	v_or3_b32 v10, v20, v14, v10
.LBB4_1316:
	s_or_b64 exec, exec, s[6:7]
	s_movk_i32 s4, 0x7f
	v_cmp_gt_i16_sdwa s[6:7], v11, s4 src0_sel:BYTE_0 src1_sel:DWORD
	s_mov_b64 s[4:5], 0
                                        ; implicit-def: $sgpr10
	s_and_saveexec_b64 s[8:9], s[6:7]
	s_xor_b64 s[6:7], exec, s[8:9]
	s_cbranch_execnz .LBB4_3365
; %bb.1317:
	s_or_saveexec_b64 s[6:7], s[6:7]
	v_mov_b32_e32 v14, s10
	s_xor_b64 exec, exec, s[6:7]
	s_cbranch_execnz .LBB4_3368
.LBB4_1318:
	s_or_b64 exec, exec, s[6:7]
	s_and_saveexec_b64 s[6:7], s[4:5]
	s_cbranch_execz .LBB4_1320
.LBB4_1319:
	v_and_b32_e32 v14, 7, v11
	v_ffbh_u32_e32 v21, v14
	v_min_u32_e32 v21, 32, v21
	v_lshrrev_b16_e32 v20, 3, v11
	v_subrev_u32_e32 v22, 28, v21
	v_and_b32_e32 v20, 15, v20
	v_lshlrev_b32_e32 v22, v22, v11
	v_sub_u32_e32 v21, 29, v21
	v_and_b32_e32 v22, 7, v22
	v_cmp_eq_u16_e32 vcc, 0, v20
	v_cndmask_b32_e32 v14, v14, v22, vcc
	v_cndmask_b32_e32 v20, v20, v21, vcc
	v_lshlrev_b32_e32 v21, 24, v11
	v_mov_b32_e32 v22, 0x3b800000
	v_lshlrev_b32_e32 v14, 20, v14
	v_and_b32_e32 v21, 0x80000000, v21
	v_lshl_add_u32 v20, v20, 23, v22
	v_or3_b32 v14, v21, v20, v14
.LBB4_1320:
	s_or_b64 exec, exec, s[6:7]
	s_nop 0
	v_mfma_f32_16x16x4f32 a[0:3], v10, v14, a[0:3]
	v_lshrrev_b32_e32 v14, 8, v15
	s_movk_i32 s4, 0x7f
	v_cmp_gt_i16_sdwa s[6:7], v14, s4 src0_sel:BYTE_0 src1_sel:DWORD
	s_mov_b64 s[4:5], 0
                                        ; implicit-def: $sgpr10
	s_and_saveexec_b64 s[8:9], s[6:7]
	s_xor_b64 s[6:7], exec, s[8:9]
	s_cbranch_execnz .LBB4_3369
; %bb.1321:
	s_or_saveexec_b64 s[6:7], s[6:7]
	v_mov_b32_e32 v10, s10
	s_xor_b64 exec, exec, s[6:7]
	s_cbranch_execnz .LBB4_3372
.LBB4_1322:
	s_or_b64 exec, exec, s[6:7]
	s_and_saveexec_b64 s[6:7], s[4:5]
	s_cbranch_execz .LBB4_1324
.LBB4_1323:
	v_bfe_u32 v10, v15, 8, 3
	v_ffbh_u32_e32 v21, v10
	v_min_u32_e32 v21, 32, v21
	v_lshrrev_b16_e32 v20, 3, v14
	v_subrev_u32_e32 v22, 28, v21
	v_and_b32_e32 v20, 15, v20
	v_lshlrev_b32_e32 v14, v22, v14
	v_sub_u32_e32 v21, 29, v21
	v_and_b32_e32 v14, 7, v14
	v_cmp_eq_u16_e32 vcc, 0, v20
	v_cndmask_b32_e32 v10, v10, v14, vcc
	v_cndmask_b32_e32 v14, v20, v21, vcc
	v_lshlrev_b32_e32 v20, 16, v15
	v_mov_b32_e32 v21, 0x3b800000
	v_lshlrev_b32_e32 v10, 20, v10
	v_and_b32_e32 v20, 0x80000000, v20
	v_lshl_add_u32 v14, v14, 23, v21
	v_or3_b32 v10, v20, v14, v10
.LBB4_1324:
	s_or_b64 exec, exec, s[6:7]
	v_lshrrev_b32_e32 v14, 8, v11
	s_movk_i32 s4, 0x7f
	v_cmp_gt_i16_sdwa s[6:7], v14, s4 src0_sel:BYTE_0 src1_sel:DWORD
	s_mov_b64 s[4:5], 0
                                        ; implicit-def: $sgpr10
	s_and_saveexec_b64 s[8:9], s[6:7]
	s_xor_b64 s[6:7], exec, s[8:9]
	s_cbranch_execnz .LBB4_3373
; %bb.1325:
	s_or_saveexec_b64 s[6:7], s[6:7]
	v_mov_b32_e32 v20, s10
	s_xor_b64 exec, exec, s[6:7]
	s_cbranch_execnz .LBB4_3376
.LBB4_1326:
	s_or_b64 exec, exec, s[6:7]
	s_and_saveexec_b64 s[6:7], s[4:5]
	s_cbranch_execz .LBB4_1328
.LBB4_1327:
	v_bfe_u32 v20, v11, 8, 3
	v_ffbh_u32_e32 v22, v20
	v_min_u32_e32 v22, 32, v22
	v_lshrrev_b16_e32 v21, 3, v14
	v_subrev_u32_e32 v23, 28, v22
	v_and_b32_e32 v21, 15, v21
	v_lshlrev_b32_e32 v14, v23, v14
	v_sub_u32_e32 v22, 29, v22
	v_and_b32_e32 v14, 7, v14
	v_cmp_eq_u16_e32 vcc, 0, v21
	v_cndmask_b32_e32 v14, v20, v14, vcc
	v_cndmask_b32_e32 v20, v21, v22, vcc
	v_lshlrev_b32_e32 v21, 16, v11
	v_mov_b32_e32 v22, 0x3b800000
	v_lshlrev_b32_e32 v14, 20, v14
	v_and_b32_e32 v21, 0x80000000, v21
	v_lshl_add_u32 v20, v20, 23, v22
	v_or3_b32 v20, v21, v20, v14
.LBB4_1328:
	s_or_b64 exec, exec, s[6:7]
	s_nop 0
	v_mfma_f32_16x16x4f32 a[0:3], v10, v20, a[0:3]
	s_movk_i32 s4, 0xff
	v_and_b32_sdwa v14, v15, s4 dst_sel:DWORD dst_unused:UNUSED_PAD src0_sel:WORD_1 src1_sel:DWORD
	s_movk_i32 s4, 0x7f
	v_cmp_lt_i16_e32 vcc, s4, v14
	s_mov_b64 s[4:5], 0
                                        ; implicit-def: $sgpr10
	s_and_saveexec_b64 s[6:7], vcc
	s_xor_b64 s[6:7], exec, s[6:7]
	s_cbranch_execnz .LBB4_3377
; %bb.1329:
	s_or_saveexec_b64 s[6:7], s[6:7]
	v_mov_b32_e32 v10, s10
	s_xor_b64 exec, exec, s[6:7]
	s_cbranch_execnz .LBB4_3380
.LBB4_1330:
	s_or_b64 exec, exec, s[6:7]
	s_and_saveexec_b64 s[6:7], s[4:5]
	s_cbranch_execz .LBB4_1332
.LBB4_1331:
	v_bfe_u32 v10, v15, 16, 3
	v_ffbh_u32_e32 v21, v10
	v_min_u32_e32 v21, 32, v21
	v_lshrrev_b32_e32 v14, 19, v15
	v_subrev_u32_e32 v22, 28, v21
	v_and_b32_e32 v14, 15, v14
	v_lshlrev_b32_sdwa v22, v22, v15 dst_sel:DWORD dst_unused:UNUSED_PAD src0_sel:DWORD src1_sel:WORD_1
	v_bfe_u32 v20, v15, 19, 4
	v_sub_u32_e32 v21, 29, v21
	v_and_b32_e32 v22, 7, v22
	v_cmp_eq_u16_e32 vcc, 0, v14
	v_cndmask_b32_e32 v10, v10, v22, vcc
	v_cndmask_b32_e32 v14, v20, v21, vcc
	v_lshlrev_b32_e32 v20, 8, v15
	v_mov_b32_e32 v21, 0x3b800000
	v_lshlrev_b32_e32 v10, 20, v10
	v_and_b32_e32 v20, 0x80000000, v20
	v_lshl_add_u32 v14, v14, 23, v21
	v_or3_b32 v10, v20, v14, v10
.LBB4_1332:
	s_or_b64 exec, exec, s[6:7]
	s_movk_i32 s4, 0xff
	v_and_b32_sdwa v14, v11, s4 dst_sel:DWORD dst_unused:UNUSED_PAD src0_sel:WORD_1 src1_sel:DWORD
	s_movk_i32 s4, 0x7f
	v_cmp_lt_i16_e32 vcc, s4, v14
	s_mov_b64 s[4:5], 0
                                        ; implicit-def: $sgpr10
	s_and_saveexec_b64 s[6:7], vcc
	s_xor_b64 s[6:7], exec, s[6:7]
	s_cbranch_execnz .LBB4_3381
; %bb.1333:
	s_or_saveexec_b64 s[6:7], s[6:7]
	v_mov_b32_e32 v20, s10
	s_xor_b64 exec, exec, s[6:7]
	s_cbranch_execnz .LBB4_3384
.LBB4_1334:
	s_or_b64 exec, exec, s[6:7]
	s_and_saveexec_b64 s[6:7], s[4:5]
	s_cbranch_execz .LBB4_1336
.LBB4_1335:
	v_bfe_u32 v14, v11, 16, 3
	v_ffbh_u32_e32 v22, v14
	v_min_u32_e32 v22, 32, v22
	v_lshrrev_b32_e32 v20, 19, v11
	v_subrev_u32_e32 v23, 28, v22
	v_and_b32_e32 v20, 15, v20
	v_lshlrev_b32_sdwa v23, v23, v11 dst_sel:DWORD dst_unused:UNUSED_PAD src0_sel:DWORD src1_sel:WORD_1
	v_bfe_u32 v21, v11, 19, 4
	v_sub_u32_e32 v22, 29, v22
	v_and_b32_e32 v23, 7, v23
	v_cmp_eq_u16_e32 vcc, 0, v20
	v_cndmask_b32_e32 v14, v14, v23, vcc
	v_cndmask_b32_e32 v20, v21, v22, vcc
	v_lshlrev_b32_e32 v21, 8, v11
	v_mov_b32_e32 v22, 0x3b800000
	v_lshlrev_b32_e32 v14, 20, v14
	v_and_b32_e32 v21, 0x80000000, v21
	v_lshl_add_u32 v20, v20, 23, v22
	v_or3_b32 v20, v21, v20, v14
.LBB4_1336:
	s_or_b64 exec, exec, s[6:7]
	s_nop 0
	v_mfma_f32_16x16x4f32 a[0:3], v10, v20, a[0:3]
	s_movk_i32 s4, 0x7f
	v_cmp_gt_i16_sdwa s[6:7], v15, s4 src0_sel:BYTE_3 src1_sel:DWORD
	s_mov_b64 s[4:5], 0
                                        ; implicit-def: $sgpr10
	s_and_saveexec_b64 s[8:9], s[6:7]
	s_xor_b64 s[6:7], exec, s[8:9]
	s_cbranch_execnz .LBB4_3385
; %bb.1337:
	s_or_saveexec_b64 s[6:7], s[6:7]
	v_mov_b32_e32 v10, s10
	s_xor_b64 exec, exec, s[6:7]
	s_cbranch_execnz .LBB4_3388
.LBB4_1338:
	s_or_b64 exec, exec, s[6:7]
	s_and_saveexec_b64 s[6:7], s[4:5]
	s_cbranch_execz .LBB4_1340
.LBB4_1339:
	v_bfe_u32 v10, v15, 24, 3
	v_ffbh_u32_e32 v22, v10
	v_min_u32_e32 v22, 32, v22
	v_lshrrev_b32_e32 v20, 27, v15
	v_subrev_u32_e32 v23, 28, v22
	v_and_b32_e32 v14, 0x80000000, v15
	v_and_b32_e32 v20, 15, v20
	v_bfe_u32 v21, v15, 27, 4
	v_lshlrev_b32_sdwa v15, v23, v15 dst_sel:DWORD dst_unused:UNUSED_PAD src0_sel:DWORD src1_sel:BYTE_3
	v_sub_u32_e32 v22, 29, v22
	v_and_b32_e32 v15, 7, v15
	v_cmp_eq_u16_e32 vcc, 0, v20
	v_cndmask_b32_e32 v10, v10, v15, vcc
	v_cndmask_b32_e32 v15, v21, v22, vcc
	v_mov_b32_e32 v20, 0x3b800000
	v_lshlrev_b32_e32 v10, 20, v10
	v_lshl_add_u32 v15, v15, 23, v20
	v_or3_b32 v10, v14, v15, v10
.LBB4_1340:
	s_or_b64 exec, exec, s[6:7]
	s_movk_i32 s4, 0x7f
	v_cmp_gt_i16_sdwa s[6:7], v11, s4 src0_sel:BYTE_3 src1_sel:DWORD
	s_mov_b64 s[4:5], 0
                                        ; implicit-def: $sgpr10
	s_and_saveexec_b64 s[8:9], s[6:7]
	s_xor_b64 s[6:7], exec, s[8:9]
	s_cbranch_execnz .LBB4_3389
; %bb.1341:
	s_or_saveexec_b64 s[6:7], s[6:7]
	v_mov_b32_e32 v14, s10
	s_xor_b64 exec, exec, s[6:7]
	s_cbranch_execnz .LBB4_3392
.LBB4_1342:
	s_or_b64 exec, exec, s[6:7]
	s_and_saveexec_b64 s[6:7], s[4:5]
	s_cbranch_execz .LBB4_1344
.LBB4_1343:
	v_bfe_u32 v14, v11, 24, 3
	v_ffbh_u32_e32 v22, v14
	v_min_u32_e32 v22, 32, v22
	v_lshrrev_b32_e32 v20, 27, v11
	v_subrev_u32_e32 v23, 28, v22
	v_and_b32_e32 v15, 0x80000000, v11
	v_and_b32_e32 v20, 15, v20
	v_bfe_u32 v21, v11, 27, 4
	v_lshlrev_b32_sdwa v11, v23, v11 dst_sel:DWORD dst_unused:UNUSED_PAD src0_sel:DWORD src1_sel:BYTE_3
	v_sub_u32_e32 v22, 29, v22
	v_and_b32_e32 v11, 7, v11
	v_cmp_eq_u16_e32 vcc, 0, v20
	v_cndmask_b32_e32 v11, v14, v11, vcc
	v_cndmask_b32_e32 v14, v21, v22, vcc
	v_mov_b32_e32 v20, 0x3b800000
	v_lshlrev_b32_e32 v11, 20, v11
	v_lshl_add_u32 v14, v14, 23, v20
	v_or3_b32 v14, v15, v14, v11
.LBB4_1344:
	s_or_b64 exec, exec, s[6:7]
	s_nop 0
	v_mfma_f32_16x16x4f32 a[0:3], v10, v14, a[0:3]
	s_movk_i32 s4, 0x7f
	v_cmp_gt_i16_sdwa s[6:7], v16, s4 src0_sel:BYTE_0 src1_sel:DWORD
	s_mov_b64 s[4:5], 0
                                        ; implicit-def: $sgpr10
	s_and_saveexec_b64 s[8:9], s[6:7]
	s_xor_b64 s[6:7], exec, s[8:9]
	s_cbranch_execnz .LBB4_3393
; %bb.1345:
	s_or_saveexec_b64 s[6:7], s[6:7]
	v_mov_b32_e32 v10, s10
	s_xor_b64 exec, exec, s[6:7]
	s_cbranch_execnz .LBB4_3396
.LBB4_1346:
	s_or_b64 exec, exec, s[6:7]
	s_and_saveexec_b64 s[6:7], s[4:5]
	s_cbranch_execz .LBB4_1348
.LBB4_1347:
	v_and_b32_e32 v10, 7, v16
	v_ffbh_u32_e32 v14, v10
	v_min_u32_e32 v14, 32, v14
	v_lshrrev_b16_e32 v11, 3, v16
	v_subrev_u32_e32 v15, 28, v14
	v_and_b32_e32 v11, 15, v11
	v_lshlrev_b32_e32 v15, v15, v16
	v_sub_u32_e32 v14, 29, v14
	v_and_b32_e32 v15, 7, v15
	v_cmp_eq_u16_e32 vcc, 0, v11
	v_cndmask_b32_e32 v10, v10, v15, vcc
	v_cndmask_b32_e32 v11, v11, v14, vcc
	v_lshlrev_b32_e32 v14, 24, v16
	v_mov_b32_e32 v15, 0x3b800000
	v_lshlrev_b32_e32 v10, 20, v10
	v_and_b32_e32 v14, 0x80000000, v14
	v_lshl_add_u32 v11, v11, 23, v15
	v_or3_b32 v10, v14, v11, v10
.LBB4_1348:
	s_or_b64 exec, exec, s[6:7]
	s_movk_i32 s4, 0x7f
	v_cmp_gt_i16_sdwa s[6:7], v12, s4 src0_sel:BYTE_0 src1_sel:DWORD
	s_mov_b64 s[4:5], 0
                                        ; implicit-def: $sgpr10
	s_and_saveexec_b64 s[8:9], s[6:7]
	s_xor_b64 s[6:7], exec, s[8:9]
	s_cbranch_execnz .LBB4_3397
; %bb.1349:
	s_or_saveexec_b64 s[6:7], s[6:7]
	v_mov_b32_e32 v11, s10
	s_xor_b64 exec, exec, s[6:7]
	s_cbranch_execnz .LBB4_3400
.LBB4_1350:
	s_or_b64 exec, exec, s[6:7]
	s_and_saveexec_b64 s[6:7], s[4:5]
	s_cbranch_execz .LBB4_1352
.LBB4_1351:
	v_and_b32_e32 v11, 7, v12
	v_ffbh_u32_e32 v15, v11
	v_min_u32_e32 v15, 32, v15
	v_lshrrev_b16_e32 v14, 3, v12
	v_subrev_u32_e32 v20, 28, v15
	v_and_b32_e32 v14, 15, v14
	v_lshlrev_b32_e32 v20, v20, v12
	v_sub_u32_e32 v15, 29, v15
	v_and_b32_e32 v20, 7, v20
	v_cmp_eq_u16_e32 vcc, 0, v14
	v_cndmask_b32_e32 v11, v11, v20, vcc
	v_cndmask_b32_e32 v14, v14, v15, vcc
	v_lshlrev_b32_e32 v15, 24, v12
	v_mov_b32_e32 v20, 0x3b800000
	v_lshlrev_b32_e32 v11, 20, v11
	v_and_b32_e32 v15, 0x80000000, v15
	v_lshl_add_u32 v14, v14, 23, v20
	v_or3_b32 v11, v15, v14, v11
.LBB4_1352:
	s_or_b64 exec, exec, s[6:7]
	s_nop 0
	v_mfma_f32_16x16x4f32 a[0:3], v10, v11, a[0:3]
	v_lshrrev_b32_e32 v11, 8, v16
	s_movk_i32 s4, 0x7f
	v_cmp_gt_i16_sdwa s[6:7], v11, s4 src0_sel:BYTE_0 src1_sel:DWORD
	s_mov_b64 s[4:5], 0
                                        ; implicit-def: $sgpr10
	s_and_saveexec_b64 s[8:9], s[6:7]
	s_xor_b64 s[6:7], exec, s[8:9]
	s_cbranch_execnz .LBB4_3401
; %bb.1353:
	s_or_saveexec_b64 s[6:7], s[6:7]
	v_mov_b32_e32 v10, s10
	s_xor_b64 exec, exec, s[6:7]
	s_cbranch_execnz .LBB4_3404
.LBB4_1354:
	s_or_b64 exec, exec, s[6:7]
	s_and_saveexec_b64 s[6:7], s[4:5]
	s_cbranch_execz .LBB4_1356
.LBB4_1355:
	v_bfe_u32 v10, v16, 8, 3
	v_ffbh_u32_e32 v15, v10
	v_min_u32_e32 v15, 32, v15
	v_lshrrev_b16_e32 v14, 3, v11
	v_subrev_u32_e32 v20, 28, v15
	v_and_b32_e32 v14, 15, v14
	v_lshlrev_b32_e32 v11, v20, v11
	v_sub_u32_e32 v15, 29, v15
	v_and_b32_e32 v11, 7, v11
	v_cmp_eq_u16_e32 vcc, 0, v14
	v_cndmask_b32_e32 v10, v10, v11, vcc
	v_cndmask_b32_e32 v11, v14, v15, vcc
	v_lshlrev_b32_e32 v14, 16, v16
	v_mov_b32_e32 v15, 0x3b800000
	v_lshlrev_b32_e32 v10, 20, v10
	v_and_b32_e32 v14, 0x80000000, v14
	v_lshl_add_u32 v11, v11, 23, v15
	v_or3_b32 v10, v14, v11, v10
.LBB4_1356:
	s_or_b64 exec, exec, s[6:7]
	v_lshrrev_b32_e32 v11, 8, v12
	s_movk_i32 s4, 0x7f
	v_cmp_gt_i16_sdwa s[6:7], v11, s4 src0_sel:BYTE_0 src1_sel:DWORD
	s_mov_b64 s[4:5], 0
                                        ; implicit-def: $sgpr10
	s_and_saveexec_b64 s[8:9], s[6:7]
	s_xor_b64 s[6:7], exec, s[8:9]
	s_cbranch_execnz .LBB4_3405
; %bb.1357:
	s_or_saveexec_b64 s[6:7], s[6:7]
	v_mov_b32_e32 v14, s10
	s_xor_b64 exec, exec, s[6:7]
	s_cbranch_execnz .LBB4_3408
.LBB4_1358:
	s_or_b64 exec, exec, s[6:7]
	s_and_saveexec_b64 s[6:7], s[4:5]
	s_cbranch_execz .LBB4_1360
.LBB4_1359:
	v_bfe_u32 v14, v12, 8, 3
	v_ffbh_u32_e32 v20, v14
	v_min_u32_e32 v20, 32, v20
	v_lshrrev_b16_e32 v15, 3, v11
	v_subrev_u32_e32 v21, 28, v20
	v_and_b32_e32 v15, 15, v15
	v_lshlrev_b32_e32 v11, v21, v11
	v_sub_u32_e32 v20, 29, v20
	v_and_b32_e32 v11, 7, v11
	v_cmp_eq_u16_e32 vcc, 0, v15
	v_cndmask_b32_e32 v11, v14, v11, vcc
	v_cndmask_b32_e32 v14, v15, v20, vcc
	v_lshlrev_b32_e32 v15, 16, v12
	v_mov_b32_e32 v20, 0x3b800000
	v_lshlrev_b32_e32 v11, 20, v11
	v_and_b32_e32 v15, 0x80000000, v15
	v_lshl_add_u32 v14, v14, 23, v20
	v_or3_b32 v14, v15, v14, v11
.LBB4_1360:
	s_or_b64 exec, exec, s[6:7]
	s_nop 0
	v_mfma_f32_16x16x4f32 a[0:3], v10, v14, a[0:3]
	s_movk_i32 s4, 0xff
	v_and_b32_sdwa v11, v16, s4 dst_sel:DWORD dst_unused:UNUSED_PAD src0_sel:WORD_1 src1_sel:DWORD
	s_movk_i32 s4, 0x7f
	v_cmp_lt_i16_e32 vcc, s4, v11
	s_mov_b64 s[4:5], 0
                                        ; implicit-def: $sgpr10
	s_and_saveexec_b64 s[6:7], vcc
	s_xor_b64 s[6:7], exec, s[6:7]
	s_cbranch_execnz .LBB4_3409
; %bb.1361:
	s_or_saveexec_b64 s[6:7], s[6:7]
	v_mov_b32_e32 v10, s10
	s_xor_b64 exec, exec, s[6:7]
	s_cbranch_execnz .LBB4_3412
.LBB4_1362:
	s_or_b64 exec, exec, s[6:7]
	s_and_saveexec_b64 s[6:7], s[4:5]
	s_cbranch_execz .LBB4_1364
.LBB4_1363:
	v_bfe_u32 v10, v16, 16, 3
	v_ffbh_u32_e32 v15, v10
	v_min_u32_e32 v15, 32, v15
	v_lshrrev_b32_e32 v11, 19, v16
	v_subrev_u32_e32 v20, 28, v15
	v_and_b32_e32 v11, 15, v11
	v_lshlrev_b32_sdwa v20, v20, v16 dst_sel:DWORD dst_unused:UNUSED_PAD src0_sel:DWORD src1_sel:WORD_1
	v_bfe_u32 v14, v16, 19, 4
	v_sub_u32_e32 v15, 29, v15
	v_and_b32_e32 v20, 7, v20
	v_cmp_eq_u16_e32 vcc, 0, v11
	v_cndmask_b32_e32 v10, v10, v20, vcc
	v_cndmask_b32_e32 v11, v14, v15, vcc
	v_lshlrev_b32_e32 v14, 8, v16
	v_mov_b32_e32 v15, 0x3b800000
	v_lshlrev_b32_e32 v10, 20, v10
	v_and_b32_e32 v14, 0x80000000, v14
	v_lshl_add_u32 v11, v11, 23, v15
	v_or3_b32 v10, v14, v11, v10
.LBB4_1364:
	s_or_b64 exec, exec, s[6:7]
	s_movk_i32 s4, 0xff
	v_and_b32_sdwa v11, v12, s4 dst_sel:DWORD dst_unused:UNUSED_PAD src0_sel:WORD_1 src1_sel:DWORD
	s_movk_i32 s4, 0x7f
	v_cmp_lt_i16_e32 vcc, s4, v11
	s_mov_b64 s[4:5], 0
                                        ; implicit-def: $sgpr10
	s_and_saveexec_b64 s[6:7], vcc
	s_xor_b64 s[6:7], exec, s[6:7]
	s_cbranch_execnz .LBB4_3413
; %bb.1365:
	s_or_saveexec_b64 s[6:7], s[6:7]
	v_mov_b32_e32 v14, s10
	s_xor_b64 exec, exec, s[6:7]
	s_cbranch_execnz .LBB4_3416
.LBB4_1366:
	s_or_b64 exec, exec, s[6:7]
	s_and_saveexec_b64 s[6:7], s[4:5]
	s_cbranch_execz .LBB4_1368
.LBB4_1367:
	v_bfe_u32 v11, v12, 16, 3
	v_ffbh_u32_e32 v20, v11
	v_min_u32_e32 v20, 32, v20
	v_lshrrev_b32_e32 v14, 19, v12
	v_subrev_u32_e32 v21, 28, v20
	v_and_b32_e32 v14, 15, v14
	v_lshlrev_b32_sdwa v21, v21, v12 dst_sel:DWORD dst_unused:UNUSED_PAD src0_sel:DWORD src1_sel:WORD_1
	v_bfe_u32 v15, v12, 19, 4
	v_sub_u32_e32 v20, 29, v20
	v_and_b32_e32 v21, 7, v21
	v_cmp_eq_u16_e32 vcc, 0, v14
	v_cndmask_b32_e32 v11, v11, v21, vcc
	v_cndmask_b32_e32 v14, v15, v20, vcc
	v_lshlrev_b32_e32 v15, 8, v12
	v_mov_b32_e32 v20, 0x3b800000
	v_lshlrev_b32_e32 v11, 20, v11
	v_and_b32_e32 v15, 0x80000000, v15
	v_lshl_add_u32 v14, v14, 23, v20
	v_or3_b32 v14, v15, v14, v11
.LBB4_1368:
	s_or_b64 exec, exec, s[6:7]
	s_nop 0
	v_mfma_f32_16x16x4f32 a[0:3], v10, v14, a[0:3]
	s_movk_i32 s4, 0x7f
	v_cmp_gt_i16_sdwa s[6:7], v16, s4 src0_sel:BYTE_3 src1_sel:DWORD
	s_mov_b64 s[4:5], 0
                                        ; implicit-def: $sgpr10
	s_and_saveexec_b64 s[8:9], s[6:7]
	s_xor_b64 s[6:7], exec, s[8:9]
	s_cbranch_execnz .LBB4_3417
; %bb.1369:
	s_or_saveexec_b64 s[6:7], s[6:7]
	v_mov_b32_e32 v10, s10
	s_xor_b64 exec, exec, s[6:7]
	s_cbranch_execnz .LBB4_3420
.LBB4_1370:
	s_or_b64 exec, exec, s[6:7]
	s_and_saveexec_b64 s[6:7], s[4:5]
	s_cbranch_execz .LBB4_1372
.LBB4_1371:
	v_bfe_u32 v10, v16, 24, 3
	v_ffbh_u32_e32 v20, v10
	v_min_u32_e32 v20, 32, v20
	v_lshrrev_b32_e32 v14, 27, v16
	v_subrev_u32_e32 v21, 28, v20
	v_and_b32_e32 v11, 0x80000000, v16
	v_and_b32_e32 v14, 15, v14
	v_bfe_u32 v15, v16, 27, 4
	v_lshlrev_b32_sdwa v16, v21, v16 dst_sel:DWORD dst_unused:UNUSED_PAD src0_sel:DWORD src1_sel:BYTE_3
	v_sub_u32_e32 v20, 29, v20
	v_and_b32_e32 v16, 7, v16
	v_cmp_eq_u16_e32 vcc, 0, v14
	v_cndmask_b32_e32 v10, v10, v16, vcc
	v_cndmask_b32_e32 v14, v15, v20, vcc
	v_mov_b32_e32 v15, 0x3b800000
	v_lshlrev_b32_e32 v10, 20, v10
	v_lshl_add_u32 v14, v14, 23, v15
	v_or3_b32 v10, v11, v14, v10
.LBB4_1372:
	s_or_b64 exec, exec, s[6:7]
	s_movk_i32 s4, 0x7f
	v_cmp_gt_i16_sdwa s[6:7], v12, s4 src0_sel:BYTE_3 src1_sel:DWORD
	s_mov_b64 s[4:5], 0
                                        ; implicit-def: $sgpr10
	s_and_saveexec_b64 s[8:9], s[6:7]
	s_xor_b64 s[6:7], exec, s[8:9]
	s_cbranch_execnz .LBB4_3421
; %bb.1373:
	s_or_saveexec_b64 s[6:7], s[6:7]
	v_mov_b32_e32 v11, s10
	s_xor_b64 exec, exec, s[6:7]
	s_cbranch_execnz .LBB4_3424
.LBB4_1374:
	s_or_b64 exec, exec, s[6:7]
	s_and_saveexec_b64 s[6:7], s[4:5]
	s_cbranch_execz .LBB4_1376
.LBB4_1375:
	v_bfe_u32 v11, v12, 24, 3
	v_ffbh_u32_e32 v20, v11
	v_min_u32_e32 v20, 32, v20
	v_lshrrev_b32_e32 v15, 27, v12
	v_subrev_u32_e32 v21, 28, v20
	v_and_b32_e32 v14, 0x80000000, v12
	v_and_b32_e32 v15, 15, v15
	v_bfe_u32 v16, v12, 27, 4
	v_lshlrev_b32_sdwa v12, v21, v12 dst_sel:DWORD dst_unused:UNUSED_PAD src0_sel:DWORD src1_sel:BYTE_3
	v_sub_u32_e32 v20, 29, v20
	v_and_b32_e32 v12, 7, v12
	v_cmp_eq_u16_e32 vcc, 0, v15
	v_cndmask_b32_e32 v11, v11, v12, vcc
	v_cndmask_b32_e32 v12, v16, v20, vcc
	v_mov_b32_e32 v15, 0x3b800000
	v_lshlrev_b32_e32 v11, 20, v11
	v_lshl_add_u32 v12, v12, 23, v15
	v_or3_b32 v11, v14, v12, v11
.LBB4_1376:
	s_or_b64 exec, exec, s[6:7]
	s_nop 0
	v_mfma_f32_16x16x4f32 a[0:3], v10, v11, a[0:3]
	s_movk_i32 s4, 0x7f
	v_cmp_gt_i16_sdwa s[6:7], v17, s4 src0_sel:BYTE_0 src1_sel:DWORD
	s_mov_b64 s[4:5], 0
                                        ; implicit-def: $sgpr10
	s_and_saveexec_b64 s[8:9], s[6:7]
	s_xor_b64 s[6:7], exec, s[8:9]
	s_cbranch_execnz .LBB4_3425
; %bb.1377:
	s_or_saveexec_b64 s[6:7], s[6:7]
	v_mov_b32_e32 v10, s10
	s_xor_b64 exec, exec, s[6:7]
	s_cbranch_execnz .LBB4_3428
.LBB4_1378:
	s_or_b64 exec, exec, s[6:7]
	s_and_saveexec_b64 s[6:7], s[4:5]
	s_cbranch_execz .LBB4_1380
.LBB4_1379:
	v_and_b32_e32 v10, 7, v17
	v_ffbh_u32_e32 v12, v10
	v_min_u32_e32 v12, 32, v12
	v_lshrrev_b16_e32 v11, 3, v17
	v_subrev_u32_e32 v14, 28, v12
	v_and_b32_e32 v11, 15, v11
	v_lshlrev_b32_e32 v14, v14, v17
	v_sub_u32_e32 v12, 29, v12
	v_and_b32_e32 v14, 7, v14
	v_cmp_eq_u16_e32 vcc, 0, v11
	v_cndmask_b32_e32 v10, v10, v14, vcc
	v_cndmask_b32_e32 v11, v11, v12, vcc
	v_lshlrev_b32_e32 v12, 24, v17
	v_mov_b32_e32 v14, 0x3b800000
	v_lshlrev_b32_e32 v10, 20, v10
	v_and_b32_e32 v12, 0x80000000, v12
	v_lshl_add_u32 v11, v11, 23, v14
	v_or3_b32 v10, v12, v11, v10
.LBB4_1380:
	s_or_b64 exec, exec, s[6:7]
	s_movk_i32 s4, 0x7f
	v_cmp_gt_i16_sdwa s[6:7], v13, s4 src0_sel:BYTE_0 src1_sel:DWORD
	s_mov_b64 s[4:5], 0
                                        ; implicit-def: $sgpr10
	s_and_saveexec_b64 s[8:9], s[6:7]
	s_xor_b64 s[6:7], exec, s[8:9]
	s_cbranch_execnz .LBB4_3429
; %bb.1381:
	s_or_saveexec_b64 s[6:7], s[6:7]
	v_mov_b32_e32 v11, s10
	s_xor_b64 exec, exec, s[6:7]
	s_cbranch_execnz .LBB4_3432
.LBB4_1382:
	s_or_b64 exec, exec, s[6:7]
	s_and_saveexec_b64 s[6:7], s[4:5]
	s_cbranch_execz .LBB4_1384
.LBB4_1383:
	v_and_b32_e32 v11, 7, v13
	v_ffbh_u32_e32 v14, v11
	v_min_u32_e32 v14, 32, v14
	v_lshrrev_b16_e32 v12, 3, v13
	v_subrev_u32_e32 v15, 28, v14
	v_and_b32_e32 v12, 15, v12
	v_lshlrev_b32_e32 v15, v15, v13
	v_sub_u32_e32 v14, 29, v14
	v_and_b32_e32 v15, 7, v15
	v_cmp_eq_u16_e32 vcc, 0, v12
	v_cndmask_b32_e32 v11, v11, v15, vcc
	v_cndmask_b32_e32 v12, v12, v14, vcc
	v_lshlrev_b32_e32 v14, 24, v13
	v_mov_b32_e32 v15, 0x3b800000
	v_lshlrev_b32_e32 v11, 20, v11
	v_and_b32_e32 v14, 0x80000000, v14
	v_lshl_add_u32 v12, v12, 23, v15
	v_or3_b32 v11, v14, v12, v11
.LBB4_1384:
	s_or_b64 exec, exec, s[6:7]
	s_nop 0
	v_mfma_f32_16x16x4f32 a[0:3], v10, v11, a[0:3]
	v_lshrrev_b32_e32 v11, 8, v17
	s_movk_i32 s4, 0x7f
	v_cmp_gt_i16_sdwa s[6:7], v11, s4 src0_sel:BYTE_0 src1_sel:DWORD
	s_mov_b64 s[4:5], 0
                                        ; implicit-def: $sgpr10
	s_and_saveexec_b64 s[8:9], s[6:7]
	s_xor_b64 s[6:7], exec, s[8:9]
	s_cbranch_execnz .LBB4_3433
; %bb.1385:
	s_or_saveexec_b64 s[6:7], s[6:7]
	v_mov_b32_e32 v10, s10
	s_xor_b64 exec, exec, s[6:7]
	s_cbranch_execnz .LBB4_3436
.LBB4_1386:
	s_or_b64 exec, exec, s[6:7]
	s_and_saveexec_b64 s[6:7], s[4:5]
	s_cbranch_execz .LBB4_1388
.LBB4_1387:
	v_bfe_u32 v10, v17, 8, 3
	v_ffbh_u32_e32 v14, v10
	v_min_u32_e32 v14, 32, v14
	v_lshrrev_b16_e32 v12, 3, v11
	v_subrev_u32_e32 v15, 28, v14
	v_and_b32_e32 v12, 15, v12
	v_lshlrev_b32_e32 v11, v15, v11
	v_sub_u32_e32 v14, 29, v14
	v_and_b32_e32 v11, 7, v11
	v_cmp_eq_u16_e32 vcc, 0, v12
	v_cndmask_b32_e32 v10, v10, v11, vcc
	v_cndmask_b32_e32 v11, v12, v14, vcc
	v_lshlrev_b32_e32 v12, 16, v17
	v_mov_b32_e32 v14, 0x3b800000
	v_lshlrev_b32_e32 v10, 20, v10
	v_and_b32_e32 v12, 0x80000000, v12
	v_lshl_add_u32 v11, v11, 23, v14
	v_or3_b32 v10, v12, v11, v10
.LBB4_1388:
	s_or_b64 exec, exec, s[6:7]
	v_lshrrev_b32_e32 v11, 8, v13
	s_movk_i32 s4, 0x7f
	v_cmp_gt_i16_sdwa s[6:7], v11, s4 src0_sel:BYTE_0 src1_sel:DWORD
	s_mov_b64 s[4:5], 0
                                        ; implicit-def: $sgpr10
	s_and_saveexec_b64 s[8:9], s[6:7]
	s_xor_b64 s[6:7], exec, s[8:9]
	s_cbranch_execnz .LBB4_3437
; %bb.1389:
	s_or_saveexec_b64 s[6:7], s[6:7]
	v_mov_b32_e32 v12, s10
	s_xor_b64 exec, exec, s[6:7]
	s_cbranch_execnz .LBB4_3440
.LBB4_1390:
	s_or_b64 exec, exec, s[6:7]
	s_and_saveexec_b64 s[6:7], s[4:5]
	s_cbranch_execz .LBB4_1392
.LBB4_1391:
	v_bfe_u32 v12, v13, 8, 3
	v_ffbh_u32_e32 v15, v12
	v_min_u32_e32 v15, 32, v15
	v_lshrrev_b16_e32 v14, 3, v11
	v_subrev_u32_e32 v16, 28, v15
	v_and_b32_e32 v14, 15, v14
	v_lshlrev_b32_e32 v11, v16, v11
	v_sub_u32_e32 v15, 29, v15
	v_and_b32_e32 v11, 7, v11
	v_cmp_eq_u16_e32 vcc, 0, v14
	v_cndmask_b32_e32 v11, v12, v11, vcc
	v_cndmask_b32_e32 v12, v14, v15, vcc
	v_lshlrev_b32_e32 v14, 16, v13
	v_mov_b32_e32 v15, 0x3b800000
	v_lshlrev_b32_e32 v11, 20, v11
	v_and_b32_e32 v14, 0x80000000, v14
	v_lshl_add_u32 v12, v12, 23, v15
	v_or3_b32 v12, v14, v12, v11
.LBB4_1392:
	s_or_b64 exec, exec, s[6:7]
	s_nop 0
	v_mfma_f32_16x16x4f32 a[0:3], v10, v12, a[0:3]
	s_movk_i32 s4, 0xff
	v_and_b32_sdwa v11, v17, s4 dst_sel:DWORD dst_unused:UNUSED_PAD src0_sel:WORD_1 src1_sel:DWORD
	s_movk_i32 s4, 0x7f
	v_cmp_lt_i16_e32 vcc, s4, v11
	s_mov_b64 s[4:5], 0
                                        ; implicit-def: $sgpr10
	s_and_saveexec_b64 s[6:7], vcc
	s_xor_b64 s[6:7], exec, s[6:7]
	s_cbranch_execnz .LBB4_3441
; %bb.1393:
	s_or_saveexec_b64 s[6:7], s[6:7]
	v_mov_b32_e32 v10, s10
	s_xor_b64 exec, exec, s[6:7]
	s_cbranch_execnz .LBB4_3444
.LBB4_1394:
	s_or_b64 exec, exec, s[6:7]
	s_and_saveexec_b64 s[6:7], s[4:5]
	s_cbranch_execz .LBB4_1396
.LBB4_1395:
	v_bfe_u32 v10, v17, 16, 3
	v_ffbh_u32_e32 v14, v10
	v_min_u32_e32 v14, 32, v14
	v_lshrrev_b32_e32 v11, 19, v17
	v_subrev_u32_e32 v15, 28, v14
	v_and_b32_e32 v11, 15, v11
	v_lshlrev_b32_sdwa v15, v15, v17 dst_sel:DWORD dst_unused:UNUSED_PAD src0_sel:DWORD src1_sel:WORD_1
	v_bfe_u32 v12, v17, 19, 4
	v_sub_u32_e32 v14, 29, v14
	v_and_b32_e32 v15, 7, v15
	v_cmp_eq_u16_e32 vcc, 0, v11
	v_cndmask_b32_e32 v10, v10, v15, vcc
	v_cndmask_b32_e32 v11, v12, v14, vcc
	v_lshlrev_b32_e32 v12, 8, v17
	v_mov_b32_e32 v14, 0x3b800000
	v_lshlrev_b32_e32 v10, 20, v10
	v_and_b32_e32 v12, 0x80000000, v12
	v_lshl_add_u32 v11, v11, 23, v14
	v_or3_b32 v10, v12, v11, v10
.LBB4_1396:
	s_or_b64 exec, exec, s[6:7]
	s_movk_i32 s4, 0xff
	v_and_b32_sdwa v11, v13, s4 dst_sel:DWORD dst_unused:UNUSED_PAD src0_sel:WORD_1 src1_sel:DWORD
	s_movk_i32 s4, 0x7f
	v_cmp_lt_i16_e32 vcc, s4, v11
	s_mov_b64 s[4:5], 0
                                        ; implicit-def: $sgpr10
	s_and_saveexec_b64 s[6:7], vcc
	s_xor_b64 s[6:7], exec, s[6:7]
	s_cbranch_execnz .LBB4_3445
; %bb.1397:
	s_or_saveexec_b64 s[6:7], s[6:7]
	v_mov_b32_e32 v12, s10
	s_xor_b64 exec, exec, s[6:7]
	s_cbranch_execnz .LBB4_3448
.LBB4_1398:
	s_or_b64 exec, exec, s[6:7]
	s_and_saveexec_b64 s[6:7], s[4:5]
	s_cbranch_execz .LBB4_1400
.LBB4_1399:
	v_bfe_u32 v11, v13, 16, 3
	v_ffbh_u32_e32 v15, v11
	v_min_u32_e32 v15, 32, v15
	v_lshrrev_b32_e32 v12, 19, v13
	v_subrev_u32_e32 v16, 28, v15
	v_and_b32_e32 v12, 15, v12
	v_lshlrev_b32_sdwa v16, v16, v13 dst_sel:DWORD dst_unused:UNUSED_PAD src0_sel:DWORD src1_sel:WORD_1
	v_bfe_u32 v14, v13, 19, 4
	v_sub_u32_e32 v15, 29, v15
	v_and_b32_e32 v16, 7, v16
	v_cmp_eq_u16_e32 vcc, 0, v12
	v_cndmask_b32_e32 v11, v11, v16, vcc
	v_cndmask_b32_e32 v12, v14, v15, vcc
	v_lshlrev_b32_e32 v14, 8, v13
	v_mov_b32_e32 v15, 0x3b800000
	v_lshlrev_b32_e32 v11, 20, v11
	v_and_b32_e32 v14, 0x80000000, v14
	v_lshl_add_u32 v12, v12, 23, v15
	v_or3_b32 v12, v14, v12, v11
.LBB4_1400:
	s_or_b64 exec, exec, s[6:7]
	s_nop 0
	v_mfma_f32_16x16x4f32 a[0:3], v10, v12, a[0:3]
	s_movk_i32 s4, 0x7f
	v_cmp_gt_i16_sdwa s[6:7], v17, s4 src0_sel:BYTE_3 src1_sel:DWORD
	s_mov_b64 s[4:5], 0
                                        ; implicit-def: $sgpr10
	s_and_saveexec_b64 s[8:9], s[6:7]
	s_xor_b64 s[6:7], exec, s[8:9]
	s_cbranch_execnz .LBB4_3449
; %bb.1401:
	s_or_saveexec_b64 s[6:7], s[6:7]
	v_mov_b32_e32 v10, s10
	s_xor_b64 exec, exec, s[6:7]
	s_cbranch_execnz .LBB4_3452
.LBB4_1402:
	s_or_b64 exec, exec, s[6:7]
	s_and_saveexec_b64 s[6:7], s[4:5]
	s_cbranch_execz .LBB4_1404
.LBB4_1403:
	v_bfe_u32 v10, v17, 24, 3
	v_ffbh_u32_e32 v15, v10
	v_min_u32_e32 v15, 32, v15
	v_lshrrev_b32_e32 v12, 27, v17
	v_subrev_u32_e32 v16, 28, v15
	v_and_b32_e32 v12, 15, v12
	v_lshlrev_b32_sdwa v16, v16, v17 dst_sel:DWORD dst_unused:UNUSED_PAD src0_sel:DWORD src1_sel:BYTE_3
	v_bfe_u32 v14, v17, 27, 4
	v_sub_u32_e32 v15, 29, v15
	v_and_b32_e32 v16, 7, v16
	v_cmp_eq_u16_e32 vcc, 0, v12
	v_cndmask_b32_e32 v10, v10, v16, vcc
	v_cndmask_b32_e32 v12, v14, v15, vcc
	v_mov_b32_e32 v14, 0x3b800000
	v_and_b32_e32 v11, 0x80000000, v17
	v_lshlrev_b32_e32 v10, 20, v10
	v_lshl_add_u32 v12, v12, 23, v14
	v_or3_b32 v10, v11, v12, v10
.LBB4_1404:
	s_or_b64 exec, exec, s[6:7]
	s_movk_i32 s4, 0x7f
	v_cmp_gt_i16_sdwa s[6:7], v13, s4 src0_sel:BYTE_3 src1_sel:DWORD
	s_mov_b64 s[4:5], 0
                                        ; implicit-def: $sgpr10
	s_and_saveexec_b64 s[8:9], s[6:7]
	s_xor_b64 s[6:7], exec, s[8:9]
	s_cbranch_execnz .LBB4_3453
; %bb.1405:
	s_or_saveexec_b64 s[6:7], s[6:7]
	v_mov_b32_e32 v11, s10
	s_xor_b64 exec, exec, s[6:7]
	s_cbranch_execnz .LBB4_3456
.LBB4_1406:
	s_or_b64 exec, exec, s[6:7]
	s_and_saveexec_b64 s[6:7], s[4:5]
	s_cbranch_execz .LBB4_1408
.LBB4_1407:
	v_bfe_u32 v11, v13, 24, 3
	v_ffbh_u32_e32 v16, v11
	v_min_u32_e32 v16, 32, v16
	v_lshrrev_b32_e32 v14, 27, v13
	v_subrev_u32_e32 v17, 28, v16
	v_and_b32_e32 v12, 0x80000000, v13
	v_and_b32_e32 v14, 15, v14
	v_bfe_u32 v15, v13, 27, 4
	v_lshlrev_b32_sdwa v13, v17, v13 dst_sel:DWORD dst_unused:UNUSED_PAD src0_sel:DWORD src1_sel:BYTE_3
	v_sub_u32_e32 v16, 29, v16
	v_and_b32_e32 v13, 7, v13
	v_cmp_eq_u16_e32 vcc, 0, v14
	v_cndmask_b32_e32 v11, v11, v13, vcc
	v_cndmask_b32_e32 v13, v15, v16, vcc
	v_mov_b32_e32 v14, 0x3b800000
	v_lshlrev_b32_e32 v11, 20, v11
	v_lshl_add_u32 v13, v13, 23, v14
	v_or3_b32 v11, v12, v13, v11
.LBB4_1408:
	s_or_b64 exec, exec, s[6:7]
	s_nop 0
	v_mfma_f32_16x16x4f32 a[0:3], v10, v11, a[0:3]
	s_movk_i32 s4, 0x7f
	v_cmp_gt_i16_sdwa s[6:7], v6, s4 src0_sel:BYTE_0 src1_sel:DWORD
	s_mov_b64 s[4:5], 0
                                        ; implicit-def: $sgpr10
	s_and_saveexec_b64 s[8:9], s[6:7]
	s_xor_b64 s[6:7], exec, s[8:9]
	s_cbranch_execnz .LBB4_3457
; %bb.1409:
	s_or_saveexec_b64 s[6:7], s[6:7]
	v_mov_b32_e32 v10, s10
	s_xor_b64 exec, exec, s[6:7]
	s_cbranch_execnz .LBB4_3460
.LBB4_1410:
	s_or_b64 exec, exec, s[6:7]
	s_and_saveexec_b64 s[6:7], s[4:5]
	s_cbranch_execz .LBB4_1412
.LBB4_1411:
	v_and_b32_e32 v10, 7, v6
	v_ffbh_u32_e32 v12, v10
	v_min_u32_e32 v12, 32, v12
	v_lshrrev_b16_e32 v11, 3, v6
	v_subrev_u32_e32 v13, 28, v12
	v_and_b32_e32 v11, 15, v11
	v_lshlrev_b32_e32 v13, v13, v6
	v_sub_u32_e32 v12, 29, v12
	v_and_b32_e32 v13, 7, v13
	v_cmp_eq_u16_e32 vcc, 0, v11
	v_cndmask_b32_e32 v10, v10, v13, vcc
	v_cndmask_b32_e32 v11, v11, v12, vcc
	v_lshlrev_b32_e32 v12, 24, v6
	v_mov_b32_e32 v13, 0x3b800000
	v_lshlrev_b32_e32 v10, 20, v10
	v_and_b32_e32 v12, 0x80000000, v12
	v_lshl_add_u32 v11, v11, 23, v13
	v_or3_b32 v10, v12, v11, v10
.LBB4_1412:
	s_or_b64 exec, exec, s[6:7]
	s_movk_i32 s4, 0x7f
	v_cmp_gt_i16_sdwa s[6:7], v2, s4 src0_sel:BYTE_0 src1_sel:DWORD
	s_mov_b64 s[4:5], 0
                                        ; implicit-def: $sgpr10
	s_and_saveexec_b64 s[8:9], s[6:7]
	s_xor_b64 s[6:7], exec, s[8:9]
	s_cbranch_execnz .LBB4_3461
; %bb.1413:
	s_or_saveexec_b64 s[6:7], s[6:7]
	v_mov_b32_e32 v11, s10
	s_xor_b64 exec, exec, s[6:7]
	s_cbranch_execnz .LBB4_3464
.LBB4_1414:
	s_or_b64 exec, exec, s[6:7]
	s_and_saveexec_b64 s[6:7], s[4:5]
	s_cbranch_execz .LBB4_1416
.LBB4_1415:
	v_and_b32_e32 v11, 7, v2
	v_ffbh_u32_e32 v13, v11
	v_min_u32_e32 v13, 32, v13
	v_lshrrev_b16_e32 v12, 3, v2
	v_subrev_u32_e32 v14, 28, v13
	v_and_b32_e32 v12, 15, v12
	v_lshlrev_b32_e32 v14, v14, v2
	v_sub_u32_e32 v13, 29, v13
	v_and_b32_e32 v14, 7, v14
	v_cmp_eq_u16_e32 vcc, 0, v12
	v_cndmask_b32_e32 v11, v11, v14, vcc
	v_cndmask_b32_e32 v12, v12, v13, vcc
	v_lshlrev_b32_e32 v13, 24, v2
	v_mov_b32_e32 v14, 0x3b800000
	v_lshlrev_b32_e32 v11, 20, v11
	v_and_b32_e32 v13, 0x80000000, v13
	v_lshl_add_u32 v12, v12, 23, v14
	v_or3_b32 v11, v13, v12, v11
.LBB4_1416:
	s_or_b64 exec, exec, s[6:7]
	s_nop 0
	v_mfma_f32_16x16x4f32 a[0:3], v10, v11, a[0:3]
	v_lshrrev_b32_e32 v11, 8, v6
	s_movk_i32 s4, 0x7f
	v_cmp_gt_i16_sdwa s[6:7], v11, s4 src0_sel:BYTE_0 src1_sel:DWORD
	s_mov_b64 s[4:5], 0
                                        ; implicit-def: $sgpr10
	s_and_saveexec_b64 s[8:9], s[6:7]
	s_xor_b64 s[6:7], exec, s[8:9]
	s_cbranch_execnz .LBB4_3465
; %bb.1417:
	s_or_saveexec_b64 s[6:7], s[6:7]
	v_mov_b32_e32 v10, s10
	s_xor_b64 exec, exec, s[6:7]
	s_cbranch_execnz .LBB4_3468
.LBB4_1418:
	s_or_b64 exec, exec, s[6:7]
	s_and_saveexec_b64 s[6:7], s[4:5]
	s_cbranch_execz .LBB4_1420
.LBB4_1419:
	v_bfe_u32 v10, v6, 8, 3
	v_ffbh_u32_e32 v13, v10
	v_min_u32_e32 v13, 32, v13
	v_lshrrev_b16_e32 v12, 3, v11
	v_subrev_u32_e32 v14, 28, v13
	v_and_b32_e32 v12, 15, v12
	v_lshlrev_b32_e32 v11, v14, v11
	v_sub_u32_e32 v13, 29, v13
	v_and_b32_e32 v11, 7, v11
	v_cmp_eq_u16_e32 vcc, 0, v12
	v_cndmask_b32_e32 v10, v10, v11, vcc
	v_cndmask_b32_e32 v11, v12, v13, vcc
	v_lshlrev_b32_e32 v12, 16, v6
	v_mov_b32_e32 v13, 0x3b800000
	v_lshlrev_b32_e32 v10, 20, v10
	v_and_b32_e32 v12, 0x80000000, v12
	v_lshl_add_u32 v11, v11, 23, v13
	v_or3_b32 v10, v12, v11, v10
.LBB4_1420:
	s_or_b64 exec, exec, s[6:7]
	v_lshrrev_b32_e32 v11, 8, v2
	s_movk_i32 s4, 0x7f
	v_cmp_gt_i16_sdwa s[6:7], v11, s4 src0_sel:BYTE_0 src1_sel:DWORD
	s_mov_b64 s[4:5], 0
                                        ; implicit-def: $sgpr10
	s_and_saveexec_b64 s[8:9], s[6:7]
	s_xor_b64 s[6:7], exec, s[8:9]
	s_cbranch_execnz .LBB4_3469
; %bb.1421:
	s_or_saveexec_b64 s[6:7], s[6:7]
	v_mov_b32_e32 v12, s10
	s_xor_b64 exec, exec, s[6:7]
	s_cbranch_execnz .LBB4_3472
.LBB4_1422:
	s_or_b64 exec, exec, s[6:7]
	s_and_saveexec_b64 s[6:7], s[4:5]
	s_cbranch_execz .LBB4_1424
.LBB4_1423:
	v_bfe_u32 v12, v2, 8, 3
	v_ffbh_u32_e32 v14, v12
	v_min_u32_e32 v14, 32, v14
	v_lshrrev_b16_e32 v13, 3, v11
	v_subrev_u32_e32 v15, 28, v14
	v_and_b32_e32 v13, 15, v13
	v_lshlrev_b32_e32 v11, v15, v11
	v_sub_u32_e32 v14, 29, v14
	v_and_b32_e32 v11, 7, v11
	v_cmp_eq_u16_e32 vcc, 0, v13
	v_cndmask_b32_e32 v11, v12, v11, vcc
	v_cndmask_b32_e32 v12, v13, v14, vcc
	v_lshlrev_b32_e32 v13, 16, v2
	v_mov_b32_e32 v14, 0x3b800000
	v_lshlrev_b32_e32 v11, 20, v11
	v_and_b32_e32 v13, 0x80000000, v13
	v_lshl_add_u32 v12, v12, 23, v14
	v_or3_b32 v12, v13, v12, v11
.LBB4_1424:
	s_or_b64 exec, exec, s[6:7]
	s_nop 0
	v_mfma_f32_16x16x4f32 a[0:3], v10, v12, a[0:3]
	s_movk_i32 s4, 0xff
	v_and_b32_sdwa v11, v6, s4 dst_sel:DWORD dst_unused:UNUSED_PAD src0_sel:WORD_1 src1_sel:DWORD
	s_movk_i32 s4, 0x7f
	v_cmp_lt_i16_e32 vcc, s4, v11
	s_mov_b64 s[4:5], 0
                                        ; implicit-def: $sgpr10
	s_and_saveexec_b64 s[6:7], vcc
	s_xor_b64 s[6:7], exec, s[6:7]
	s_cbranch_execnz .LBB4_3473
; %bb.1425:
	s_or_saveexec_b64 s[6:7], s[6:7]
	v_mov_b32_e32 v10, s10
	s_xor_b64 exec, exec, s[6:7]
	s_cbranch_execnz .LBB4_3476
.LBB4_1426:
	s_or_b64 exec, exec, s[6:7]
	s_and_saveexec_b64 s[6:7], s[4:5]
	s_cbranch_execz .LBB4_1428
.LBB4_1427:
	v_bfe_u32 v10, v6, 16, 3
	v_ffbh_u32_e32 v13, v10
	v_min_u32_e32 v13, 32, v13
	v_lshrrev_b32_e32 v11, 19, v6
	v_subrev_u32_e32 v14, 28, v13
	v_and_b32_e32 v11, 15, v11
	v_lshlrev_b32_sdwa v14, v14, v6 dst_sel:DWORD dst_unused:UNUSED_PAD src0_sel:DWORD src1_sel:WORD_1
	v_bfe_u32 v12, v6, 19, 4
	v_sub_u32_e32 v13, 29, v13
	v_and_b32_e32 v14, 7, v14
	v_cmp_eq_u16_e32 vcc, 0, v11
	v_cndmask_b32_e32 v10, v10, v14, vcc
	v_cndmask_b32_e32 v11, v12, v13, vcc
	v_lshlrev_b32_e32 v12, 8, v6
	v_mov_b32_e32 v13, 0x3b800000
	v_lshlrev_b32_e32 v10, 20, v10
	v_and_b32_e32 v12, 0x80000000, v12
	v_lshl_add_u32 v11, v11, 23, v13
	v_or3_b32 v10, v12, v11, v10
.LBB4_1428:
	s_or_b64 exec, exec, s[6:7]
	s_movk_i32 s4, 0xff
	v_and_b32_sdwa v11, v2, s4 dst_sel:DWORD dst_unused:UNUSED_PAD src0_sel:WORD_1 src1_sel:DWORD
	s_movk_i32 s4, 0x7f
	v_cmp_lt_i16_e32 vcc, s4, v11
	s_mov_b64 s[4:5], 0
                                        ; implicit-def: $sgpr10
	s_and_saveexec_b64 s[6:7], vcc
	s_xor_b64 s[6:7], exec, s[6:7]
	s_cbranch_execnz .LBB4_3477
; %bb.1429:
	s_or_saveexec_b64 s[6:7], s[6:7]
	v_mov_b32_e32 v12, s10
	s_xor_b64 exec, exec, s[6:7]
	s_cbranch_execnz .LBB4_3480
.LBB4_1430:
	s_or_b64 exec, exec, s[6:7]
	s_and_saveexec_b64 s[6:7], s[4:5]
	s_cbranch_execz .LBB4_1432
.LBB4_1431:
	v_bfe_u32 v11, v2, 16, 3
	v_ffbh_u32_e32 v14, v11
	v_min_u32_e32 v14, 32, v14
	v_lshrrev_b32_e32 v12, 19, v2
	v_subrev_u32_e32 v15, 28, v14
	v_and_b32_e32 v12, 15, v12
	v_lshlrev_b32_sdwa v15, v15, v2 dst_sel:DWORD dst_unused:UNUSED_PAD src0_sel:DWORD src1_sel:WORD_1
	v_bfe_u32 v13, v2, 19, 4
	v_sub_u32_e32 v14, 29, v14
	v_and_b32_e32 v15, 7, v15
	v_cmp_eq_u16_e32 vcc, 0, v12
	v_cndmask_b32_e32 v11, v11, v15, vcc
	v_cndmask_b32_e32 v12, v13, v14, vcc
	v_lshlrev_b32_e32 v13, 8, v2
	v_mov_b32_e32 v14, 0x3b800000
	v_lshlrev_b32_e32 v11, 20, v11
	v_and_b32_e32 v13, 0x80000000, v13
	v_lshl_add_u32 v12, v12, 23, v14
	v_or3_b32 v12, v13, v12, v11
.LBB4_1432:
	s_or_b64 exec, exec, s[6:7]
	s_nop 0
	v_mfma_f32_16x16x4f32 a[0:3], v10, v12, a[0:3]
	s_movk_i32 s4, 0x7f
	v_cmp_gt_i16_sdwa s[6:7], v6, s4 src0_sel:BYTE_3 src1_sel:DWORD
	s_mov_b64 s[4:5], 0
                                        ; implicit-def: $sgpr10
	s_and_saveexec_b64 s[8:9], s[6:7]
	s_xor_b64 s[6:7], exec, s[8:9]
	s_cbranch_execnz .LBB4_3481
; %bb.1433:
	s_or_saveexec_b64 s[6:7], s[6:7]
	v_mov_b32_e32 v10, s10
	s_xor_b64 exec, exec, s[6:7]
	s_cbranch_execnz .LBB4_3484
.LBB4_1434:
	s_or_b64 exec, exec, s[6:7]
	s_and_saveexec_b64 s[6:7], s[4:5]
	s_cbranch_execz .LBB4_1436
.LBB4_1435:
	v_bfe_u32 v10, v6, 24, 3
	v_ffbh_u32_e32 v14, v10
	v_min_u32_e32 v14, 32, v14
	v_lshrrev_b32_e32 v12, 27, v6
	v_subrev_u32_e32 v15, 28, v14
	v_and_b32_e32 v11, 0x80000000, v6
	v_and_b32_e32 v12, 15, v12
	v_bfe_u32 v13, v6, 27, 4
	v_lshlrev_b32_sdwa v6, v15, v6 dst_sel:DWORD dst_unused:UNUSED_PAD src0_sel:DWORD src1_sel:BYTE_3
	v_sub_u32_e32 v14, 29, v14
	v_and_b32_e32 v6, 7, v6
	v_cmp_eq_u16_e32 vcc, 0, v12
	v_cndmask_b32_e32 v6, v10, v6, vcc
	v_cndmask_b32_e32 v10, v13, v14, vcc
	v_mov_b32_e32 v12, 0x3b800000
	v_lshlrev_b32_e32 v6, 20, v6
	v_lshl_add_u32 v10, v10, 23, v12
	v_or3_b32 v10, v11, v10, v6
.LBB4_1436:
	s_or_b64 exec, exec, s[6:7]
	s_movk_i32 s4, 0x7f
	v_cmp_gt_i16_sdwa s[6:7], v2, s4 src0_sel:BYTE_3 src1_sel:DWORD
	s_mov_b64 s[4:5], 0
                                        ; implicit-def: $sgpr10
	s_and_saveexec_b64 s[8:9], s[6:7]
	s_xor_b64 s[6:7], exec, s[8:9]
	s_cbranch_execnz .LBB4_3485
; %bb.1437:
	s_or_saveexec_b64 s[6:7], s[6:7]
	v_mov_b32_e32 v6, s10
	s_xor_b64 exec, exec, s[6:7]
	s_cbranch_execnz .LBB4_3488
.LBB4_1438:
	s_or_b64 exec, exec, s[6:7]
	s_and_saveexec_b64 s[6:7], s[4:5]
	s_cbranch_execz .LBB4_1440
.LBB4_1439:
	v_bfe_u32 v6, v2, 24, 3
	v_ffbh_u32_e32 v14, v6
	v_min_u32_e32 v14, 32, v14
	v_lshrrev_b32_e32 v12, 27, v2
	v_subrev_u32_e32 v15, 28, v14
	v_and_b32_e32 v11, 0x80000000, v2
	v_and_b32_e32 v12, 15, v12
	v_bfe_u32 v13, v2, 27, 4
	v_lshlrev_b32_sdwa v2, v15, v2 dst_sel:DWORD dst_unused:UNUSED_PAD src0_sel:DWORD src1_sel:BYTE_3
	v_sub_u32_e32 v14, 29, v14
	v_and_b32_e32 v2, 7, v2
	v_cmp_eq_u16_e32 vcc, 0, v12
	v_cndmask_b32_e32 v2, v6, v2, vcc
	v_cndmask_b32_e32 v6, v13, v14, vcc
	v_mov_b32_e32 v12, 0x3b800000
	v_lshlrev_b32_e32 v2, 20, v2
	v_lshl_add_u32 v6, v6, 23, v12
	v_or3_b32 v6, v11, v6, v2
.LBB4_1440:
	s_or_b64 exec, exec, s[6:7]
	s_nop 0
	v_mfma_f32_16x16x4f32 a[0:3], v10, v6, a[0:3]
	s_movk_i32 s4, 0x7f
	v_cmp_gt_i16_sdwa s[6:7], v7, s4 src0_sel:BYTE_0 src1_sel:DWORD
	s_mov_b64 s[4:5], 0
                                        ; implicit-def: $sgpr10
	s_and_saveexec_b64 s[8:9], s[6:7]
	s_xor_b64 s[6:7], exec, s[8:9]
	s_cbranch_execnz .LBB4_3489
; %bb.1441:
	s_or_saveexec_b64 s[6:7], s[6:7]
	v_mov_b32_e32 v2, s10
	s_xor_b64 exec, exec, s[6:7]
	s_cbranch_execnz .LBB4_3492
.LBB4_1442:
	s_or_b64 exec, exec, s[6:7]
	s_and_saveexec_b64 s[6:7], s[4:5]
	s_cbranch_execz .LBB4_1444
.LBB4_1443:
	v_and_b32_e32 v2, 7, v7
	v_ffbh_u32_e32 v10, v2
	v_min_u32_e32 v10, 32, v10
	v_lshrrev_b16_e32 v6, 3, v7
	v_subrev_u32_e32 v11, 28, v10
	v_and_b32_e32 v6, 15, v6
	v_lshlrev_b32_e32 v11, v11, v7
	v_sub_u32_e32 v10, 29, v10
	v_and_b32_e32 v11, 7, v11
	v_cmp_eq_u16_e32 vcc, 0, v6
	v_cndmask_b32_e32 v2, v2, v11, vcc
	v_cndmask_b32_e32 v6, v6, v10, vcc
	v_lshlrev_b32_e32 v10, 24, v7
	v_mov_b32_e32 v11, 0x3b800000
	v_lshlrev_b32_e32 v2, 20, v2
	v_and_b32_e32 v10, 0x80000000, v10
	v_lshl_add_u32 v6, v6, 23, v11
	v_or3_b32 v2, v10, v6, v2
.LBB4_1444:
	s_or_b64 exec, exec, s[6:7]
	s_movk_i32 s4, 0x7f
	v_cmp_gt_i16_sdwa s[6:7], v3, s4 src0_sel:BYTE_0 src1_sel:DWORD
	s_mov_b64 s[4:5], 0
                                        ; implicit-def: $sgpr10
	s_and_saveexec_b64 s[8:9], s[6:7]
	s_xor_b64 s[6:7], exec, s[8:9]
	s_cbranch_execnz .LBB4_3493
; %bb.1445:
	s_or_saveexec_b64 s[6:7], s[6:7]
	v_mov_b32_e32 v6, s10
	s_xor_b64 exec, exec, s[6:7]
	s_cbranch_execnz .LBB4_3496
.LBB4_1446:
	s_or_b64 exec, exec, s[6:7]
	s_and_saveexec_b64 s[6:7], s[4:5]
	s_cbranch_execz .LBB4_1448
.LBB4_1447:
	v_and_b32_e32 v6, 7, v3
	v_ffbh_u32_e32 v11, v6
	v_min_u32_e32 v11, 32, v11
	v_lshrrev_b16_e32 v10, 3, v3
	v_subrev_u32_e32 v12, 28, v11
	v_and_b32_e32 v10, 15, v10
	v_lshlrev_b32_e32 v12, v12, v3
	v_sub_u32_e32 v11, 29, v11
	v_and_b32_e32 v12, 7, v12
	v_cmp_eq_u16_e32 vcc, 0, v10
	v_cndmask_b32_e32 v6, v6, v12, vcc
	v_cndmask_b32_e32 v10, v10, v11, vcc
	v_lshlrev_b32_e32 v11, 24, v3
	v_mov_b32_e32 v12, 0x3b800000
	v_lshlrev_b32_e32 v6, 20, v6
	v_and_b32_e32 v11, 0x80000000, v11
	v_lshl_add_u32 v10, v10, 23, v12
	v_or3_b32 v6, v11, v10, v6
.LBB4_1448:
	s_or_b64 exec, exec, s[6:7]
	s_nop 0
	v_mfma_f32_16x16x4f32 a[0:3], v2, v6, a[0:3]
	v_lshrrev_b32_e32 v6, 8, v7
	s_movk_i32 s4, 0x7f
	v_cmp_gt_i16_sdwa s[6:7], v6, s4 src0_sel:BYTE_0 src1_sel:DWORD
	s_mov_b64 s[4:5], 0
                                        ; implicit-def: $sgpr10
	s_and_saveexec_b64 s[8:9], s[6:7]
	s_xor_b64 s[6:7], exec, s[8:9]
	s_cbranch_execnz .LBB4_3497
; %bb.1449:
	s_or_saveexec_b64 s[6:7], s[6:7]
	v_mov_b32_e32 v2, s10
	s_xor_b64 exec, exec, s[6:7]
	s_cbranch_execnz .LBB4_3500
.LBB4_1450:
	s_or_b64 exec, exec, s[6:7]
	s_and_saveexec_b64 s[6:7], s[4:5]
	s_cbranch_execz .LBB4_1452
.LBB4_1451:
	v_bfe_u32 v2, v7, 8, 3
	v_ffbh_u32_e32 v11, v2
	v_min_u32_e32 v11, 32, v11
	v_lshrrev_b16_e32 v10, 3, v6
	v_subrev_u32_e32 v12, 28, v11
	v_and_b32_e32 v10, 15, v10
	v_lshlrev_b32_e32 v6, v12, v6
	v_sub_u32_e32 v11, 29, v11
	v_and_b32_e32 v6, 7, v6
	v_cmp_eq_u16_e32 vcc, 0, v10
	v_cndmask_b32_e32 v2, v2, v6, vcc
	v_cndmask_b32_e32 v6, v10, v11, vcc
	v_lshlrev_b32_e32 v10, 16, v7
	v_mov_b32_e32 v11, 0x3b800000
	v_lshlrev_b32_e32 v2, 20, v2
	v_and_b32_e32 v10, 0x80000000, v10
	v_lshl_add_u32 v6, v6, 23, v11
	v_or3_b32 v2, v10, v6, v2
.LBB4_1452:
	s_or_b64 exec, exec, s[6:7]
	v_lshrrev_b32_e32 v6, 8, v3
	s_movk_i32 s4, 0x7f
	v_cmp_gt_i16_sdwa s[6:7], v6, s4 src0_sel:BYTE_0 src1_sel:DWORD
	s_mov_b64 s[4:5], 0
                                        ; implicit-def: $sgpr10
	s_and_saveexec_b64 s[8:9], s[6:7]
	s_xor_b64 s[6:7], exec, s[8:9]
	s_cbranch_execnz .LBB4_3501
; %bb.1453:
	s_or_saveexec_b64 s[6:7], s[6:7]
	v_mov_b32_e32 v10, s10
	s_xor_b64 exec, exec, s[6:7]
	s_cbranch_execnz .LBB4_3504
.LBB4_1454:
	s_or_b64 exec, exec, s[6:7]
	s_and_saveexec_b64 s[6:7], s[4:5]
	s_cbranch_execz .LBB4_1456
.LBB4_1455:
	v_bfe_u32 v10, v3, 8, 3
	v_ffbh_u32_e32 v12, v10
	v_min_u32_e32 v12, 32, v12
	v_lshrrev_b16_e32 v11, 3, v6
	v_subrev_u32_e32 v13, 28, v12
	v_and_b32_e32 v11, 15, v11
	v_lshlrev_b32_e32 v6, v13, v6
	v_sub_u32_e32 v12, 29, v12
	v_and_b32_e32 v6, 7, v6
	v_cmp_eq_u16_e32 vcc, 0, v11
	v_cndmask_b32_e32 v6, v10, v6, vcc
	v_cndmask_b32_e32 v10, v11, v12, vcc
	v_lshlrev_b32_e32 v11, 16, v3
	v_mov_b32_e32 v12, 0x3b800000
	v_lshlrev_b32_e32 v6, 20, v6
	v_and_b32_e32 v11, 0x80000000, v11
	v_lshl_add_u32 v10, v10, 23, v12
	v_or3_b32 v10, v11, v10, v6
.LBB4_1456:
	s_or_b64 exec, exec, s[6:7]
	s_nop 0
	v_mfma_f32_16x16x4f32 a[0:3], v2, v10, a[0:3]
	s_movk_i32 s4, 0xff
	v_and_b32_sdwa v6, v7, s4 dst_sel:DWORD dst_unused:UNUSED_PAD src0_sel:WORD_1 src1_sel:DWORD
	s_movk_i32 s4, 0x7f
	v_cmp_lt_i16_e32 vcc, s4, v6
	s_mov_b64 s[4:5], 0
                                        ; implicit-def: $sgpr10
	s_and_saveexec_b64 s[6:7], vcc
	s_xor_b64 s[6:7], exec, s[6:7]
	s_cbranch_execnz .LBB4_3505
; %bb.1457:
	s_or_saveexec_b64 s[6:7], s[6:7]
	v_mov_b32_e32 v2, s10
	s_xor_b64 exec, exec, s[6:7]
	s_cbranch_execnz .LBB4_3508
.LBB4_1458:
	s_or_b64 exec, exec, s[6:7]
	s_and_saveexec_b64 s[6:7], s[4:5]
	s_cbranch_execz .LBB4_1460
.LBB4_1459:
	v_bfe_u32 v2, v7, 16, 3
	v_ffbh_u32_e32 v11, v2
	v_min_u32_e32 v11, 32, v11
	v_lshrrev_b32_e32 v6, 19, v7
	v_subrev_u32_e32 v12, 28, v11
	v_and_b32_e32 v6, 15, v6
	v_lshlrev_b32_sdwa v12, v12, v7 dst_sel:DWORD dst_unused:UNUSED_PAD src0_sel:DWORD src1_sel:WORD_1
	v_bfe_u32 v10, v7, 19, 4
	v_sub_u32_e32 v11, 29, v11
	v_and_b32_e32 v12, 7, v12
	v_cmp_eq_u16_e32 vcc, 0, v6
	v_cndmask_b32_e32 v2, v2, v12, vcc
	v_cndmask_b32_e32 v6, v10, v11, vcc
	v_lshlrev_b32_e32 v10, 8, v7
	v_mov_b32_e32 v11, 0x3b800000
	v_lshlrev_b32_e32 v2, 20, v2
	v_and_b32_e32 v10, 0x80000000, v10
	v_lshl_add_u32 v6, v6, 23, v11
	v_or3_b32 v2, v10, v6, v2
.LBB4_1460:
	s_or_b64 exec, exec, s[6:7]
	s_movk_i32 s4, 0xff
	v_and_b32_sdwa v6, v3, s4 dst_sel:DWORD dst_unused:UNUSED_PAD src0_sel:WORD_1 src1_sel:DWORD
	s_movk_i32 s4, 0x7f
	v_cmp_lt_i16_e32 vcc, s4, v6
	s_mov_b64 s[4:5], 0
                                        ; implicit-def: $sgpr10
	s_and_saveexec_b64 s[6:7], vcc
	s_xor_b64 s[6:7], exec, s[6:7]
	s_cbranch_execnz .LBB4_3509
; %bb.1461:
	s_or_saveexec_b64 s[6:7], s[6:7]
	v_mov_b32_e32 v10, s10
	s_xor_b64 exec, exec, s[6:7]
	s_cbranch_execnz .LBB4_3512
.LBB4_1462:
	s_or_b64 exec, exec, s[6:7]
	s_and_saveexec_b64 s[6:7], s[4:5]
	s_cbranch_execz .LBB4_1464
.LBB4_1463:
	v_bfe_u32 v6, v3, 16, 3
	v_ffbh_u32_e32 v12, v6
	v_min_u32_e32 v12, 32, v12
	v_lshrrev_b32_e32 v10, 19, v3
	v_subrev_u32_e32 v13, 28, v12
	v_and_b32_e32 v10, 15, v10
	v_lshlrev_b32_sdwa v13, v13, v3 dst_sel:DWORD dst_unused:UNUSED_PAD src0_sel:DWORD src1_sel:WORD_1
	v_bfe_u32 v11, v3, 19, 4
	v_sub_u32_e32 v12, 29, v12
	v_and_b32_e32 v13, 7, v13
	v_cmp_eq_u16_e32 vcc, 0, v10
	v_cndmask_b32_e32 v6, v6, v13, vcc
	v_cndmask_b32_e32 v10, v11, v12, vcc
	v_lshlrev_b32_e32 v11, 8, v3
	v_mov_b32_e32 v12, 0x3b800000
	v_lshlrev_b32_e32 v6, 20, v6
	v_and_b32_e32 v11, 0x80000000, v11
	v_lshl_add_u32 v10, v10, 23, v12
	v_or3_b32 v10, v11, v10, v6
.LBB4_1464:
	s_or_b64 exec, exec, s[6:7]
	s_nop 0
	v_mfma_f32_16x16x4f32 a[0:3], v2, v10, a[0:3]
	s_movk_i32 s4, 0x7f
	v_cmp_gt_i16_sdwa s[6:7], v7, s4 src0_sel:BYTE_3 src1_sel:DWORD
	s_mov_b64 s[4:5], 0
                                        ; implicit-def: $sgpr10
	s_and_saveexec_b64 s[8:9], s[6:7]
	s_xor_b64 s[6:7], exec, s[8:9]
	s_cbranch_execnz .LBB4_3513
; %bb.1465:
	s_or_saveexec_b64 s[6:7], s[6:7]
	v_mov_b32_e32 v2, s10
	s_xor_b64 exec, exec, s[6:7]
	s_cbranch_execnz .LBB4_3516
.LBB4_1466:
	s_or_b64 exec, exec, s[6:7]
	s_and_saveexec_b64 s[6:7], s[4:5]
	s_cbranch_execz .LBB4_1468
.LBB4_1467:
	v_bfe_u32 v2, v7, 24, 3
	v_ffbh_u32_e32 v12, v2
	v_min_u32_e32 v12, 32, v12
	v_lshrrev_b32_e32 v10, 27, v7
	v_subrev_u32_e32 v13, 28, v12
	v_and_b32_e32 v6, 0x80000000, v7
	v_and_b32_e32 v10, 15, v10
	v_bfe_u32 v11, v7, 27, 4
	v_lshlrev_b32_sdwa v7, v13, v7 dst_sel:DWORD dst_unused:UNUSED_PAD src0_sel:DWORD src1_sel:BYTE_3
	v_sub_u32_e32 v12, 29, v12
	v_and_b32_e32 v7, 7, v7
	v_cmp_eq_u16_e32 vcc, 0, v10
	v_cndmask_b32_e32 v2, v2, v7, vcc
	v_cndmask_b32_e32 v7, v11, v12, vcc
	v_mov_b32_e32 v10, 0x3b800000
	v_lshlrev_b32_e32 v2, 20, v2
	v_lshl_add_u32 v7, v7, 23, v10
	v_or3_b32 v2, v6, v7, v2
.LBB4_1468:
	s_or_b64 exec, exec, s[6:7]
	s_movk_i32 s4, 0x7f
	v_cmp_gt_i16_sdwa s[6:7], v3, s4 src0_sel:BYTE_3 src1_sel:DWORD
	s_mov_b64 s[4:5], 0
                                        ; implicit-def: $sgpr10
	s_and_saveexec_b64 s[8:9], s[6:7]
	s_xor_b64 s[6:7], exec, s[8:9]
	s_cbranch_execnz .LBB4_3517
; %bb.1469:
	s_or_saveexec_b64 s[6:7], s[6:7]
	v_mov_b32_e32 v6, s10
	s_xor_b64 exec, exec, s[6:7]
	s_cbranch_execnz .LBB4_3520
.LBB4_1470:
	s_or_b64 exec, exec, s[6:7]
	s_and_saveexec_b64 s[6:7], s[4:5]
	s_cbranch_execz .LBB4_1472
.LBB4_1471:
	v_bfe_u32 v6, v3, 24, 3
	v_ffbh_u32_e32 v12, v6
	v_min_u32_e32 v12, 32, v12
	v_lshrrev_b32_e32 v10, 27, v3
	v_subrev_u32_e32 v13, 28, v12
	v_and_b32_e32 v7, 0x80000000, v3
	v_and_b32_e32 v10, 15, v10
	v_bfe_u32 v11, v3, 27, 4
	v_lshlrev_b32_sdwa v3, v13, v3 dst_sel:DWORD dst_unused:UNUSED_PAD src0_sel:DWORD src1_sel:BYTE_3
	v_sub_u32_e32 v12, 29, v12
	v_and_b32_e32 v3, 7, v3
	v_cmp_eq_u16_e32 vcc, 0, v10
	v_cndmask_b32_e32 v3, v6, v3, vcc
	v_cndmask_b32_e32 v6, v11, v12, vcc
	v_mov_b32_e32 v10, 0x3b800000
	v_lshlrev_b32_e32 v3, 20, v3
	v_lshl_add_u32 v6, v6, 23, v10
	v_or3_b32 v6, v7, v6, v3
.LBB4_1472:
	s_or_b64 exec, exec, s[6:7]
	s_nop 0
	v_mfma_f32_16x16x4f32 a[0:3], v2, v6, a[0:3]
	s_movk_i32 s4, 0x7f
	v_cmp_gt_i16_sdwa s[6:7], v8, s4 src0_sel:BYTE_0 src1_sel:DWORD
	s_mov_b64 s[4:5], 0
                                        ; implicit-def: $sgpr10
	s_and_saveexec_b64 s[8:9], s[6:7]
	s_xor_b64 s[6:7], exec, s[8:9]
	s_cbranch_execnz .LBB4_3521
; %bb.1473:
	s_or_saveexec_b64 s[6:7], s[6:7]
	v_mov_b32_e32 v2, s10
	s_xor_b64 exec, exec, s[6:7]
	s_cbranch_execnz .LBB4_3524
.LBB4_1474:
	s_or_b64 exec, exec, s[6:7]
	s_and_saveexec_b64 s[6:7], s[4:5]
	s_cbranch_execz .LBB4_1476
.LBB4_1475:
	v_and_b32_e32 v2, 7, v8
	v_ffbh_u32_e32 v6, v2
	v_min_u32_e32 v6, 32, v6
	v_lshrrev_b16_e32 v3, 3, v8
	v_subrev_u32_e32 v7, 28, v6
	v_and_b32_e32 v3, 15, v3
	v_lshlrev_b32_e32 v7, v7, v8
	v_sub_u32_e32 v6, 29, v6
	v_and_b32_e32 v7, 7, v7
	v_cmp_eq_u16_e32 vcc, 0, v3
	v_cndmask_b32_e32 v2, v2, v7, vcc
	v_cndmask_b32_e32 v3, v3, v6, vcc
	v_lshlrev_b32_e32 v6, 24, v8
	v_mov_b32_e32 v7, 0x3b800000
	v_lshlrev_b32_e32 v2, 20, v2
	v_and_b32_e32 v6, 0x80000000, v6
	v_lshl_add_u32 v3, v3, 23, v7
	v_or3_b32 v2, v6, v3, v2
.LBB4_1476:
	s_or_b64 exec, exec, s[6:7]
	s_movk_i32 s4, 0x7f
	v_cmp_gt_i16_sdwa s[6:7], v4, s4 src0_sel:BYTE_0 src1_sel:DWORD
	s_mov_b64 s[4:5], 0
                                        ; implicit-def: $sgpr10
	s_and_saveexec_b64 s[8:9], s[6:7]
	s_xor_b64 s[6:7], exec, s[8:9]
	s_cbranch_execnz .LBB4_3525
; %bb.1477:
	s_or_saveexec_b64 s[6:7], s[6:7]
	v_mov_b32_e32 v3, s10
	s_xor_b64 exec, exec, s[6:7]
	s_cbranch_execnz .LBB4_3528
.LBB4_1478:
	s_or_b64 exec, exec, s[6:7]
	s_and_saveexec_b64 s[6:7], s[4:5]
	s_cbranch_execz .LBB4_1480
.LBB4_1479:
	v_and_b32_e32 v3, 7, v4
	v_ffbh_u32_e32 v7, v3
	v_min_u32_e32 v7, 32, v7
	v_lshrrev_b16_e32 v6, 3, v4
	v_subrev_u32_e32 v10, 28, v7
	v_and_b32_e32 v6, 15, v6
	v_lshlrev_b32_e32 v10, v10, v4
	v_sub_u32_e32 v7, 29, v7
	v_and_b32_e32 v10, 7, v10
	v_cmp_eq_u16_e32 vcc, 0, v6
	v_cndmask_b32_e32 v3, v3, v10, vcc
	v_cndmask_b32_e32 v6, v6, v7, vcc
	v_lshlrev_b32_e32 v7, 24, v4
	v_mov_b32_e32 v10, 0x3b800000
	v_lshlrev_b32_e32 v3, 20, v3
	v_and_b32_e32 v7, 0x80000000, v7
	v_lshl_add_u32 v6, v6, 23, v10
	v_or3_b32 v3, v7, v6, v3
.LBB4_1480:
	s_or_b64 exec, exec, s[6:7]
	s_nop 0
	v_mfma_f32_16x16x4f32 a[0:3], v2, v3, a[0:3]
	v_lshrrev_b32_e32 v3, 8, v8
	s_movk_i32 s4, 0x7f
	v_cmp_gt_i16_sdwa s[6:7], v3, s4 src0_sel:BYTE_0 src1_sel:DWORD
	s_mov_b64 s[4:5], 0
                                        ; implicit-def: $sgpr10
	s_and_saveexec_b64 s[8:9], s[6:7]
	s_xor_b64 s[6:7], exec, s[8:9]
	s_cbranch_execnz .LBB4_3529
; %bb.1481:
	s_or_saveexec_b64 s[6:7], s[6:7]
	v_mov_b32_e32 v2, s10
	s_xor_b64 exec, exec, s[6:7]
	s_cbranch_execnz .LBB4_3532
.LBB4_1482:
	s_or_b64 exec, exec, s[6:7]
	s_and_saveexec_b64 s[6:7], s[4:5]
	s_cbranch_execz .LBB4_1484
.LBB4_1483:
	v_bfe_u32 v2, v8, 8, 3
	v_ffbh_u32_e32 v7, v2
	v_min_u32_e32 v7, 32, v7
	v_lshrrev_b16_e32 v6, 3, v3
	v_subrev_u32_e32 v10, 28, v7
	v_and_b32_e32 v6, 15, v6
	v_lshlrev_b32_e32 v3, v10, v3
	v_sub_u32_e32 v7, 29, v7
	v_and_b32_e32 v3, 7, v3
	v_cmp_eq_u16_e32 vcc, 0, v6
	v_cndmask_b32_e32 v2, v2, v3, vcc
	v_cndmask_b32_e32 v3, v6, v7, vcc
	v_lshlrev_b32_e32 v6, 16, v8
	v_mov_b32_e32 v7, 0x3b800000
	v_lshlrev_b32_e32 v2, 20, v2
	v_and_b32_e32 v6, 0x80000000, v6
	v_lshl_add_u32 v3, v3, 23, v7
	v_or3_b32 v2, v6, v3, v2
.LBB4_1484:
	s_or_b64 exec, exec, s[6:7]
	v_lshrrev_b32_e32 v3, 8, v4
	s_movk_i32 s4, 0x7f
	v_cmp_gt_i16_sdwa s[6:7], v3, s4 src0_sel:BYTE_0 src1_sel:DWORD
	s_mov_b64 s[4:5], 0
                                        ; implicit-def: $sgpr10
	s_and_saveexec_b64 s[8:9], s[6:7]
	s_xor_b64 s[6:7], exec, s[8:9]
	s_cbranch_execnz .LBB4_3533
; %bb.1485:
	s_or_saveexec_b64 s[6:7], s[6:7]
	v_mov_b32_e32 v6, s10
	s_xor_b64 exec, exec, s[6:7]
	s_cbranch_execnz .LBB4_3536
.LBB4_1486:
	s_or_b64 exec, exec, s[6:7]
	s_and_saveexec_b64 s[6:7], s[4:5]
	s_cbranch_execz .LBB4_1488
.LBB4_1487:
	v_bfe_u32 v6, v4, 8, 3
	v_ffbh_u32_e32 v10, v6
	v_min_u32_e32 v10, 32, v10
	v_lshrrev_b16_e32 v7, 3, v3
	v_subrev_u32_e32 v11, 28, v10
	v_and_b32_e32 v7, 15, v7
	v_lshlrev_b32_e32 v3, v11, v3
	v_sub_u32_e32 v10, 29, v10
	v_and_b32_e32 v3, 7, v3
	v_cmp_eq_u16_e32 vcc, 0, v7
	v_cndmask_b32_e32 v3, v6, v3, vcc
	v_cndmask_b32_e32 v6, v7, v10, vcc
	v_lshlrev_b32_e32 v7, 16, v4
	v_mov_b32_e32 v10, 0x3b800000
	v_lshlrev_b32_e32 v3, 20, v3
	v_and_b32_e32 v7, 0x80000000, v7
	v_lshl_add_u32 v6, v6, 23, v10
	v_or3_b32 v6, v7, v6, v3
.LBB4_1488:
	s_or_b64 exec, exec, s[6:7]
	s_nop 0
	v_mfma_f32_16x16x4f32 a[0:3], v2, v6, a[0:3]
	s_movk_i32 s4, 0xff
	v_and_b32_sdwa v3, v8, s4 dst_sel:DWORD dst_unused:UNUSED_PAD src0_sel:WORD_1 src1_sel:DWORD
	s_movk_i32 s4, 0x7f
	v_cmp_lt_i16_e32 vcc, s4, v3
	s_mov_b64 s[4:5], 0
                                        ; implicit-def: $sgpr10
	s_and_saveexec_b64 s[6:7], vcc
	s_xor_b64 s[6:7], exec, s[6:7]
	s_cbranch_execnz .LBB4_3537
; %bb.1489:
	s_or_saveexec_b64 s[6:7], s[6:7]
	v_mov_b32_e32 v2, s10
	s_xor_b64 exec, exec, s[6:7]
	s_cbranch_execnz .LBB4_3540
.LBB4_1490:
	s_or_b64 exec, exec, s[6:7]
	s_and_saveexec_b64 s[6:7], s[4:5]
	s_cbranch_execz .LBB4_1492
.LBB4_1491:
	v_bfe_u32 v2, v8, 16, 3
	v_ffbh_u32_e32 v7, v2
	v_min_u32_e32 v7, 32, v7
	v_lshrrev_b32_e32 v3, 19, v8
	v_subrev_u32_e32 v10, 28, v7
	v_and_b32_e32 v3, 15, v3
	v_lshlrev_b32_sdwa v10, v10, v8 dst_sel:DWORD dst_unused:UNUSED_PAD src0_sel:DWORD src1_sel:WORD_1
	v_bfe_u32 v6, v8, 19, 4
	v_sub_u32_e32 v7, 29, v7
	v_and_b32_e32 v10, 7, v10
	v_cmp_eq_u16_e32 vcc, 0, v3
	v_cndmask_b32_e32 v2, v2, v10, vcc
	v_cndmask_b32_e32 v3, v6, v7, vcc
	v_lshlrev_b32_e32 v6, 8, v8
	v_mov_b32_e32 v7, 0x3b800000
	v_lshlrev_b32_e32 v2, 20, v2
	v_and_b32_e32 v6, 0x80000000, v6
	v_lshl_add_u32 v3, v3, 23, v7
	v_or3_b32 v2, v6, v3, v2
.LBB4_1492:
	s_or_b64 exec, exec, s[6:7]
	s_movk_i32 s4, 0xff
	v_and_b32_sdwa v3, v4, s4 dst_sel:DWORD dst_unused:UNUSED_PAD src0_sel:WORD_1 src1_sel:DWORD
	s_movk_i32 s4, 0x7f
	v_cmp_lt_i16_e32 vcc, s4, v3
	s_mov_b64 s[4:5], 0
                                        ; implicit-def: $sgpr10
	s_and_saveexec_b64 s[6:7], vcc
	s_xor_b64 s[6:7], exec, s[6:7]
	s_cbranch_execnz .LBB4_3541
; %bb.1493:
	s_or_saveexec_b64 s[6:7], s[6:7]
	v_mov_b32_e32 v6, s10
	s_xor_b64 exec, exec, s[6:7]
	s_cbranch_execnz .LBB4_3544
.LBB4_1494:
	s_or_b64 exec, exec, s[6:7]
	s_and_saveexec_b64 s[6:7], s[4:5]
	s_cbranch_execz .LBB4_1496
.LBB4_1495:
	v_bfe_u32 v3, v4, 16, 3
	v_ffbh_u32_e32 v10, v3
	v_min_u32_e32 v10, 32, v10
	v_lshrrev_b32_e32 v6, 19, v4
	v_subrev_u32_e32 v11, 28, v10
	v_and_b32_e32 v6, 15, v6
	v_lshlrev_b32_sdwa v11, v11, v4 dst_sel:DWORD dst_unused:UNUSED_PAD src0_sel:DWORD src1_sel:WORD_1
	v_bfe_u32 v7, v4, 19, 4
	v_sub_u32_e32 v10, 29, v10
	v_and_b32_e32 v11, 7, v11
	v_cmp_eq_u16_e32 vcc, 0, v6
	v_cndmask_b32_e32 v3, v3, v11, vcc
	v_cndmask_b32_e32 v6, v7, v10, vcc
	v_lshlrev_b32_e32 v7, 8, v4
	v_mov_b32_e32 v10, 0x3b800000
	v_lshlrev_b32_e32 v3, 20, v3
	v_and_b32_e32 v7, 0x80000000, v7
	v_lshl_add_u32 v6, v6, 23, v10
	v_or3_b32 v6, v7, v6, v3
.LBB4_1496:
	s_or_b64 exec, exec, s[6:7]
	s_nop 0
	v_mfma_f32_16x16x4f32 a[0:3], v2, v6, a[0:3]
	s_movk_i32 s4, 0x7f
	v_cmp_gt_i16_sdwa s[6:7], v8, s4 src0_sel:BYTE_3 src1_sel:DWORD
	s_mov_b64 s[4:5], 0
                                        ; implicit-def: $sgpr10
	s_and_saveexec_b64 s[8:9], s[6:7]
	s_xor_b64 s[6:7], exec, s[8:9]
	s_cbranch_execnz .LBB4_3545
; %bb.1497:
	s_or_saveexec_b64 s[6:7], s[6:7]
	v_mov_b32_e32 v2, s10
	s_xor_b64 exec, exec, s[6:7]
	s_cbranch_execnz .LBB4_3548
.LBB4_1498:
	s_or_b64 exec, exec, s[6:7]
	s_and_saveexec_b64 s[6:7], s[4:5]
	s_cbranch_execz .LBB4_1500
.LBB4_1499:
	v_bfe_u32 v2, v8, 24, 3
	v_ffbh_u32_e32 v10, v2
	v_min_u32_e32 v10, 32, v10
	v_lshrrev_b32_e32 v6, 27, v8
	v_subrev_u32_e32 v11, 28, v10
	v_and_b32_e32 v3, 0x80000000, v8
	v_and_b32_e32 v6, 15, v6
	v_bfe_u32 v7, v8, 27, 4
	v_lshlrev_b32_sdwa v8, v11, v8 dst_sel:DWORD dst_unused:UNUSED_PAD src0_sel:DWORD src1_sel:BYTE_3
	v_sub_u32_e32 v10, 29, v10
	v_and_b32_e32 v8, 7, v8
	v_cmp_eq_u16_e32 vcc, 0, v6
	v_cndmask_b32_e32 v2, v2, v8, vcc
	v_cndmask_b32_e32 v6, v7, v10, vcc
	v_mov_b32_e32 v7, 0x3b800000
	v_lshlrev_b32_e32 v2, 20, v2
	v_lshl_add_u32 v6, v6, 23, v7
	v_or3_b32 v2, v3, v6, v2
.LBB4_1500:
	s_or_b64 exec, exec, s[6:7]
	s_movk_i32 s4, 0x7f
	v_cmp_gt_i16_sdwa s[6:7], v4, s4 src0_sel:BYTE_3 src1_sel:DWORD
	s_mov_b64 s[4:5], 0
                                        ; implicit-def: $sgpr10
	s_and_saveexec_b64 s[8:9], s[6:7]
	s_xor_b64 s[6:7], exec, s[8:9]
	s_cbranch_execnz .LBB4_3549
; %bb.1501:
	s_or_saveexec_b64 s[6:7], s[6:7]
	v_mov_b32_e32 v3, s10
	s_xor_b64 exec, exec, s[6:7]
	s_cbranch_execnz .LBB4_3552
.LBB4_1502:
	s_or_b64 exec, exec, s[6:7]
	s_and_saveexec_b64 s[6:7], s[4:5]
	s_cbranch_execz .LBB4_1504
.LBB4_1503:
	v_bfe_u32 v3, v4, 24, 3
	v_ffbh_u32_e32 v10, v3
	v_min_u32_e32 v10, 32, v10
	v_lshrrev_b32_e32 v7, 27, v4
	v_subrev_u32_e32 v11, 28, v10
	v_and_b32_e32 v6, 0x80000000, v4
	v_and_b32_e32 v7, 15, v7
	v_bfe_u32 v8, v4, 27, 4
	v_lshlrev_b32_sdwa v4, v11, v4 dst_sel:DWORD dst_unused:UNUSED_PAD src0_sel:DWORD src1_sel:BYTE_3
	v_sub_u32_e32 v10, 29, v10
	v_and_b32_e32 v4, 7, v4
	v_cmp_eq_u16_e32 vcc, 0, v7
	v_cndmask_b32_e32 v3, v3, v4, vcc
	v_cndmask_b32_e32 v4, v8, v10, vcc
	v_mov_b32_e32 v7, 0x3b800000
	v_lshlrev_b32_e32 v3, 20, v3
	v_lshl_add_u32 v4, v4, 23, v7
	v_or3_b32 v3, v6, v4, v3
.LBB4_1504:
	s_or_b64 exec, exec, s[6:7]
	s_nop 0
	v_mfma_f32_16x16x4f32 a[0:3], v2, v3, a[0:3]
	s_movk_i32 s4, 0x7f
	v_cmp_gt_i16_sdwa s[6:7], v9, s4 src0_sel:BYTE_0 src1_sel:DWORD
	s_mov_b64 s[4:5], 0
                                        ; implicit-def: $sgpr10
	s_and_saveexec_b64 s[8:9], s[6:7]
	s_xor_b64 s[6:7], exec, s[8:9]
	s_cbranch_execnz .LBB4_3553
; %bb.1505:
	s_or_saveexec_b64 s[6:7], s[6:7]
	v_mov_b32_e32 v2, s10
	s_xor_b64 exec, exec, s[6:7]
	s_cbranch_execnz .LBB4_3556
.LBB4_1506:
	s_or_b64 exec, exec, s[6:7]
	s_and_saveexec_b64 s[6:7], s[4:5]
	s_cbranch_execz .LBB4_1508
.LBB4_1507:
	v_mov_b32_e32 v2, 8
	v_and_b32_e32 v3, 7, v9
	v_lshrrev_b32_sdwa v2, v2, v9 dst_sel:BYTE_1 dst_unused:UNUSED_PAD src0_sel:DWORD src1_sel:DWORD
	v_ffbh_u32_e32 v4, v3
	v_or_b32_sdwa v2, v9, v2 dst_sel:DWORD dst_unused:UNUSED_PAD src0_sel:BYTE_0 src1_sel:DWORD
	v_min_u32_e32 v4, 32, v4
	v_lshrrev_b16_e32 v2, 3, v2
	v_subrev_u32_e32 v6, 28, v4
	v_and_b32_e32 v2, 15, v2
	v_lshlrev_b32_e32 v6, v6, v9
	v_sub_u32_e32 v4, 29, v4
	v_and_b32_e32 v6, 7, v6
	v_cmp_eq_u16_e32 vcc, 0, v2
	v_cndmask_b32_e32 v3, v3, v6, vcc
	v_cndmask_b32_e32 v2, v2, v4, vcc
	v_lshlrev_b32_e32 v4, 24, v9
	v_mov_b32_e32 v6, 0x3b800000
	v_lshlrev_b32_e32 v3, 20, v3
	v_and_b32_e32 v4, 0x80000000, v4
	v_lshl_add_u32 v2, v2, 23, v6
	v_or3_b32 v2, v4, v2, v3
.LBB4_1508:
	s_or_b64 exec, exec, s[6:7]
	s_movk_i32 s4, 0x7f
	v_cmp_gt_i16_sdwa s[6:7], v5, s4 src0_sel:BYTE_0 src1_sel:DWORD
	s_mov_b64 s[4:5], 0
                                        ; implicit-def: $sgpr10
	s_and_saveexec_b64 s[8:9], s[6:7]
	s_xor_b64 s[6:7], exec, s[8:9]
	s_cbranch_execnz .LBB4_3557
; %bb.1509:
	s_or_saveexec_b64 s[6:7], s[6:7]
	v_mov_b32_e32 v3, s10
	s_xor_b64 exec, exec, s[6:7]
	s_cbranch_execnz .LBB4_3560
.LBB4_1510:
	s_or_b64 exec, exec, s[6:7]
	s_and_saveexec_b64 s[6:7], s[4:5]
	s_cbranch_execz .LBB4_1512
.LBB4_1511:
	v_mov_b32_e32 v3, 8
	v_and_b32_e32 v4, 7, v5
	v_lshrrev_b32_sdwa v3, v3, v5 dst_sel:BYTE_1 dst_unused:UNUSED_PAD src0_sel:DWORD src1_sel:DWORD
	v_ffbh_u32_e32 v6, v4
	v_or_b32_sdwa v3, v5, v3 dst_sel:DWORD dst_unused:UNUSED_PAD src0_sel:BYTE_0 src1_sel:DWORD
	v_min_u32_e32 v6, 32, v6
	v_lshrrev_b16_e32 v3, 3, v3
	v_subrev_u32_e32 v7, 28, v6
	v_and_b32_e32 v3, 15, v3
	v_lshlrev_b32_e32 v7, v7, v5
	v_sub_u32_e32 v6, 29, v6
	v_and_b32_e32 v7, 7, v7
	v_cmp_eq_u16_e32 vcc, 0, v3
	v_cndmask_b32_e32 v4, v4, v7, vcc
	v_cndmask_b32_e32 v3, v3, v6, vcc
	v_lshlrev_b32_e32 v6, 24, v5
	v_mov_b32_e32 v7, 0x3b800000
	v_lshlrev_b32_e32 v4, 20, v4
	v_and_b32_e32 v6, 0x80000000, v6
	v_lshl_add_u32 v3, v3, 23, v7
	v_or3_b32 v3, v6, v3, v4
.LBB4_1512:
	s_or_b64 exec, exec, s[6:7]
	s_nop 0
	v_mfma_f32_16x16x4f32 a[0:3], v2, v3, a[0:3]
	v_lshrrev_b32_e32 v3, 8, v9
	s_movk_i32 s4, 0x7f
	v_cmp_gt_i16_sdwa s[6:7], v3, s4 src0_sel:BYTE_0 src1_sel:DWORD
	s_mov_b64 s[4:5], 0
                                        ; implicit-def: $sgpr10
	s_and_saveexec_b64 s[8:9], s[6:7]
	s_xor_b64 s[6:7], exec, s[8:9]
	s_cbranch_execnz .LBB4_3561
; %bb.1513:
	s_or_saveexec_b64 s[6:7], s[6:7]
	v_mov_b32_e32 v2, s10
	s_xor_b64 exec, exec, s[6:7]
	s_cbranch_execnz .LBB4_3564
.LBB4_1514:
	s_or_b64 exec, exec, s[6:7]
	s_and_saveexec_b64 s[6:7], s[4:5]
	s_cbranch_execz .LBB4_1516
.LBB4_1515:
	v_bfe_u32 v2, v9, 8, 3
	v_ffbh_u32_e32 v6, v2
	v_min_u32_e32 v6, 32, v6
	v_lshrrev_b16_e32 v4, 3, v3
	v_subrev_u32_e32 v7, 28, v6
	v_and_b32_e32 v4, 15, v4
	v_lshlrev_b32_e32 v3, v7, v3
	v_sub_u32_e32 v6, 29, v6
	v_and_b32_e32 v3, 7, v3
	v_cmp_eq_u16_e32 vcc, 0, v4
	v_cndmask_b32_e32 v2, v2, v3, vcc
	v_cndmask_b32_e32 v3, v4, v6, vcc
	v_lshlrev_b32_e32 v4, 16, v9
	v_mov_b32_e32 v6, 0x3b800000
	v_lshlrev_b32_e32 v2, 20, v2
	v_and_b32_e32 v4, 0x80000000, v4
	v_lshl_add_u32 v3, v3, 23, v6
	v_or3_b32 v2, v4, v3, v2
.LBB4_1516:
	s_or_b64 exec, exec, s[6:7]
	v_lshrrev_b32_e32 v3, 8, v5
	s_movk_i32 s4, 0x7f
	v_cmp_gt_i16_sdwa s[6:7], v3, s4 src0_sel:BYTE_0 src1_sel:DWORD
	s_mov_b64 s[4:5], 0
                                        ; implicit-def: $sgpr10
	s_and_saveexec_b64 s[8:9], s[6:7]
	s_xor_b64 s[6:7], exec, s[8:9]
	s_cbranch_execnz .LBB4_3565
; %bb.1517:
	s_or_saveexec_b64 s[6:7], s[6:7]
	v_mov_b32_e32 v4, s10
	s_xor_b64 exec, exec, s[6:7]
	s_cbranch_execnz .LBB4_3568
.LBB4_1518:
	s_or_b64 exec, exec, s[6:7]
	s_and_saveexec_b64 s[6:7], s[4:5]
	s_cbranch_execz .LBB4_1520
.LBB4_1519:
	v_bfe_u32 v4, v5, 8, 3
	v_ffbh_u32_e32 v7, v4
	v_min_u32_e32 v7, 32, v7
	v_lshrrev_b16_e32 v6, 3, v3
	v_subrev_u32_e32 v8, 28, v7
	v_and_b32_e32 v6, 15, v6
	v_lshlrev_b32_e32 v3, v8, v3
	v_sub_u32_e32 v7, 29, v7
	v_and_b32_e32 v3, 7, v3
	v_cmp_eq_u16_e32 vcc, 0, v6
	v_cndmask_b32_e32 v3, v4, v3, vcc
	v_cndmask_b32_e32 v4, v6, v7, vcc
	v_lshlrev_b32_e32 v6, 16, v5
	v_mov_b32_e32 v7, 0x3b800000
	v_lshlrev_b32_e32 v3, 20, v3
	v_and_b32_e32 v6, 0x80000000, v6
	v_lshl_add_u32 v4, v4, 23, v7
	v_or3_b32 v4, v6, v4, v3
.LBB4_1520:
	s_or_b64 exec, exec, s[6:7]
	s_nop 0
	v_mfma_f32_16x16x4f32 a[0:3], v2, v4, a[0:3]
	s_movk_i32 s4, 0xff
	v_and_b32_sdwa v3, v9, s4 dst_sel:DWORD dst_unused:UNUSED_PAD src0_sel:WORD_1 src1_sel:DWORD
	s_movk_i32 s4, 0x7f
	v_cmp_lt_i16_e32 vcc, s4, v3
	s_mov_b64 s[4:5], 0
                                        ; implicit-def: $sgpr10
	s_and_saveexec_b64 s[6:7], vcc
	s_xor_b64 s[6:7], exec, s[6:7]
	s_cbranch_execnz .LBB4_3569
; %bb.1521:
	s_or_saveexec_b64 s[6:7], s[6:7]
	v_mov_b32_e32 v2, s10
	s_xor_b64 exec, exec, s[6:7]
	s_cbranch_execnz .LBB4_3572
.LBB4_1522:
	s_or_b64 exec, exec, s[6:7]
	s_and_saveexec_b64 s[6:7], s[4:5]
	s_cbranch_execz .LBB4_1524
.LBB4_1523:
	v_bfe_u32 v2, v9, 16, 3
	v_ffbh_u32_e32 v6, v2
	v_min_u32_e32 v6, 32, v6
	v_lshrrev_b32_e32 v3, 19, v9
	v_subrev_u32_e32 v7, 28, v6
	v_and_b32_e32 v3, 15, v3
	v_lshlrev_b32_sdwa v7, v7, v9 dst_sel:DWORD dst_unused:UNUSED_PAD src0_sel:DWORD src1_sel:WORD_1
	v_bfe_u32 v4, v9, 19, 4
	v_sub_u32_e32 v6, 29, v6
	v_and_b32_e32 v7, 7, v7
	v_cmp_eq_u16_e32 vcc, 0, v3
	v_cndmask_b32_e32 v2, v2, v7, vcc
	v_cndmask_b32_e32 v3, v4, v6, vcc
	v_lshlrev_b32_e32 v4, 8, v9
	v_mov_b32_e32 v6, 0x3b800000
	v_lshlrev_b32_e32 v2, 20, v2
	v_and_b32_e32 v4, 0x80000000, v4
	v_lshl_add_u32 v3, v3, 23, v6
	v_or3_b32 v2, v4, v3, v2
.LBB4_1524:
	s_or_b64 exec, exec, s[6:7]
	s_movk_i32 s4, 0xff
	v_and_b32_sdwa v3, v5, s4 dst_sel:DWORD dst_unused:UNUSED_PAD src0_sel:WORD_1 src1_sel:DWORD
	s_movk_i32 s4, 0x7f
	v_cmp_lt_i16_e32 vcc, s4, v3
	s_mov_b64 s[4:5], 0
                                        ; implicit-def: $sgpr10
	s_and_saveexec_b64 s[6:7], vcc
	s_xor_b64 s[6:7], exec, s[6:7]
	s_cbranch_execnz .LBB4_3573
; %bb.1525:
	s_or_saveexec_b64 s[6:7], s[6:7]
	v_mov_b32_e32 v4, s10
	s_xor_b64 exec, exec, s[6:7]
	s_cbranch_execnz .LBB4_3576
.LBB4_1526:
	s_or_b64 exec, exec, s[6:7]
	s_and_saveexec_b64 s[6:7], s[4:5]
	s_cbranch_execz .LBB4_1528
.LBB4_1527:
	v_bfe_u32 v3, v5, 16, 3
	v_ffbh_u32_e32 v7, v3
	v_min_u32_e32 v7, 32, v7
	v_lshrrev_b32_e32 v4, 19, v5
	v_subrev_u32_e32 v8, 28, v7
	v_and_b32_e32 v4, 15, v4
	v_lshlrev_b32_sdwa v8, v8, v5 dst_sel:DWORD dst_unused:UNUSED_PAD src0_sel:DWORD src1_sel:WORD_1
	v_bfe_u32 v6, v5, 19, 4
	v_sub_u32_e32 v7, 29, v7
	v_and_b32_e32 v8, 7, v8
	v_cmp_eq_u16_e32 vcc, 0, v4
	v_cndmask_b32_e32 v3, v3, v8, vcc
	v_cndmask_b32_e32 v4, v6, v7, vcc
	v_lshlrev_b32_e32 v6, 8, v5
	v_mov_b32_e32 v7, 0x3b800000
	v_lshlrev_b32_e32 v3, 20, v3
	v_and_b32_e32 v6, 0x80000000, v6
	v_lshl_add_u32 v4, v4, 23, v7
	v_or3_b32 v4, v6, v4, v3
.LBB4_1528:
	s_or_b64 exec, exec, s[6:7]
	s_nop 0
	v_mfma_f32_16x16x4f32 a[0:3], v2, v4, a[0:3]
	s_movk_i32 s4, 0x7f
	v_cmp_gt_i16_sdwa s[6:7], v9, s4 src0_sel:BYTE_3 src1_sel:DWORD
	s_mov_b64 s[4:5], 0
                                        ; implicit-def: $sgpr10
	s_and_saveexec_b64 s[8:9], s[6:7]
	s_xor_b64 s[6:7], exec, s[8:9]
	s_cbranch_execnz .LBB4_3577
; %bb.1529:
	s_or_saveexec_b64 s[6:7], s[6:7]
	v_mov_b32_e32 v2, s10
	s_xor_b64 exec, exec, s[6:7]
	s_cbranch_execnz .LBB4_3580
.LBB4_1530:
	s_or_b64 exec, exec, s[6:7]
	s_and_saveexec_b64 s[6:7], s[4:5]
	s_cbranch_execz .LBB4_1532
.LBB4_1531:
	v_bfe_u32 v2, v9, 24, 3
	v_ffbh_u32_e32 v7, v2
	v_min_u32_e32 v7, 32, v7
	v_lshrrev_b32_e32 v4, 27, v9
	v_subrev_u32_e32 v8, 28, v7
	v_and_b32_e32 v4, 15, v4
	v_lshlrev_b32_sdwa v8, v8, v9 dst_sel:DWORD dst_unused:UNUSED_PAD src0_sel:DWORD src1_sel:BYTE_3
	v_bfe_u32 v6, v9, 27, 4
	v_sub_u32_e32 v7, 29, v7
	v_and_b32_e32 v8, 7, v8
	v_cmp_eq_u16_e32 vcc, 0, v4
	v_cndmask_b32_e32 v2, v2, v8, vcc
	v_cndmask_b32_e32 v4, v6, v7, vcc
	v_mov_b32_e32 v6, 0x3b800000
	v_and_b32_e32 v3, 0x80000000, v9
	v_lshlrev_b32_e32 v2, 20, v2
	v_lshl_add_u32 v4, v4, 23, v6
	v_or3_b32 v2, v3, v4, v2
.LBB4_1532:
	s_or_b64 exec, exec, s[6:7]
	s_movk_i32 s4, 0x7f
	v_cmp_gt_i16_sdwa s[6:7], v5, s4 src0_sel:BYTE_3 src1_sel:DWORD
	s_mov_b64 s[4:5], 0
                                        ; implicit-def: $sgpr10
	s_and_saveexec_b64 s[8:9], s[6:7]
	s_xor_b64 s[6:7], exec, s[8:9]
	s_cbranch_execnz .LBB4_3581
; %bb.1533:
	s_or_saveexec_b64 s[6:7], s[6:7]
	v_mov_b32_e32 v3, s10
	s_xor_b64 exec, exec, s[6:7]
	s_cbranch_execnz .LBB4_3584
.LBB4_1534:
	s_or_b64 exec, exec, s[6:7]
	s_and_saveexec_b64 s[6:7], s[4:5]
	s_cbranch_execz .LBB4_1536
.LBB4_1535:
	v_bfe_u32 v3, v5, 24, 3
	v_ffbh_u32_e32 v8, v3
	v_min_u32_e32 v8, 32, v8
	v_lshrrev_b32_e32 v6, 27, v5
	v_subrev_u32_e32 v9, 28, v8
	v_and_b32_e32 v4, 0x80000000, v5
	v_and_b32_e32 v6, 15, v6
	v_bfe_u32 v7, v5, 27, 4
	v_lshlrev_b32_sdwa v5, v9, v5 dst_sel:DWORD dst_unused:UNUSED_PAD src0_sel:DWORD src1_sel:BYTE_3
	v_sub_u32_e32 v8, 29, v8
	v_and_b32_e32 v5, 7, v5
	v_cmp_eq_u16_e32 vcc, 0, v6
	v_cndmask_b32_e32 v3, v3, v5, vcc
	v_cndmask_b32_e32 v5, v7, v8, vcc
	v_mov_b32_e32 v6, 0x3b800000
	v_lshlrev_b32_e32 v3, 20, v3
	v_lshl_add_u32 v5, v5, 23, v6
	v_or3_b32 v3, v4, v5, v3
.LBB4_1536:
	s_or_b64 exec, exec, s[6:7]
	s_nop 0
	v_mfma_f32_16x16x4f32 a[0:3], v2, v3, a[0:3]
	s_movk_i32 s4, 0x7f
                                        ; implicit-def: $sgpr10
	s_nop 7
	s_nop 1
	flat_store_dwordx4 v[18:19], a[0:3] offset:336
	flat_load_dwordx4 v[20:23], v[0:1] offset:16
	s_nop 0
	flat_load_dwordx2 v[18:19], v[0:1] offset:32
	s_waitcnt vmcnt(0) lgkmcnt(0)
	flat_load_dwordx4 v[14:17], v[20:21]
	flat_load_dwordx4 v[6:9], v[20:21] offset:16
	flat_load_dwordx4 v[10:13], v[22:23] offset:192
	;; [unrolled: 1-line block ×3, first 2 shown]
	s_waitcnt vmcnt(0) lgkmcnt(0)
	v_cmp_gt_i16_sdwa s[6:7], v14, s4 src0_sel:BYTE_0 src1_sel:DWORD
	s_mov_b64 s[4:5], 0
	s_and_saveexec_b64 s[8:9], s[6:7]
	s_xor_b64 s[6:7], exec, s[8:9]
	s_cbranch_execnz .LBB4_3585
; %bb.1537:
	s_or_saveexec_b64 s[6:7], s[6:7]
	v_mov_b32_e32 v20, s10
	s_xor_b64 exec, exec, s[6:7]
	s_cbranch_execnz .LBB4_3588
.LBB4_1538:
	s_or_b64 exec, exec, s[6:7]
	s_and_saveexec_b64 s[6:7], s[4:5]
	s_cbranch_execz .LBB4_1540
.LBB4_1539:
	v_and_b32_e32 v20, 7, v14
	v_ffbh_u32_e32 v22, v20
	v_min_u32_e32 v22, 32, v22
	v_lshrrev_b16_e32 v21, 3, v14
	v_subrev_u32_e32 v23, 28, v22
	v_and_b32_e32 v21, 15, v21
	v_lshlrev_b32_e32 v23, v23, v14
	v_sub_u32_e32 v22, 29, v22
	v_and_b32_e32 v23, 7, v23
	v_cmp_eq_u16_e32 vcc, 0, v21
	v_cndmask_b32_e32 v20, v20, v23, vcc
	v_cndmask_b32_e32 v21, v21, v22, vcc
	v_lshlrev_b32_e32 v22, 24, v14
	v_mov_b32_e32 v23, 0x3b800000
	v_lshlrev_b32_e32 v20, 20, v20
	v_and_b32_e32 v22, 0x80000000, v22
	v_lshl_add_u32 v21, v21, 23, v23
	v_or3_b32 v20, v22, v21, v20
.LBB4_1540:
	s_or_b64 exec, exec, s[6:7]
	s_movk_i32 s4, 0x7f
	v_cmp_gt_i16_sdwa s[6:7], v10, s4 src0_sel:BYTE_0 src1_sel:DWORD
	s_mov_b64 s[4:5], 0
                                        ; implicit-def: $sgpr10
	s_and_saveexec_b64 s[8:9], s[6:7]
	s_xor_b64 s[6:7], exec, s[8:9]
	s_cbranch_execnz .LBB4_3589
; %bb.1541:
	s_or_saveexec_b64 s[6:7], s[6:7]
	v_mov_b32_e32 v21, s10
	s_xor_b64 exec, exec, s[6:7]
	s_cbranch_execnz .LBB4_3592
.LBB4_1542:
	s_or_b64 exec, exec, s[6:7]
	s_and_saveexec_b64 s[6:7], s[4:5]
	s_cbranch_execz .LBB4_1544
.LBB4_1543:
	v_and_b32_e32 v21, 7, v10
	v_ffbh_u32_e32 v23, v21
	v_min_u32_e32 v23, 32, v23
	v_lshrrev_b16_e32 v22, 3, v10
	v_subrev_u32_e32 v24, 28, v23
	v_and_b32_e32 v22, 15, v22
	v_lshlrev_b32_e32 v24, v24, v10
	v_sub_u32_e32 v23, 29, v23
	v_and_b32_e32 v24, 7, v24
	v_cmp_eq_u16_e32 vcc, 0, v22
	v_cndmask_b32_e32 v21, v21, v24, vcc
	v_cndmask_b32_e32 v22, v22, v23, vcc
	v_lshlrev_b32_e32 v23, 24, v10
	v_mov_b32_e32 v24, 0x3b800000
	v_lshlrev_b32_e32 v21, 20, v21
	v_and_b32_e32 v23, 0x80000000, v23
	v_lshl_add_u32 v22, v22, 23, v24
	v_or3_b32 v21, v23, v22, v21
.LBB4_1544:
	s_or_b64 exec, exec, s[6:7]
	flat_load_dwordx4 a[0:3], v[18:19] offset:352
	s_movk_i32 s4, 0x7f
                                        ; implicit-def: $sgpr10
	s_waitcnt vmcnt(0) lgkmcnt(0)
	v_mfma_f32_16x16x4f32 a[0:3], v20, v21, a[0:3]
	v_lshrrev_b32_e32 v21, 8, v14
	v_cmp_gt_i16_sdwa s[6:7], v21, s4 src0_sel:BYTE_0 src1_sel:DWORD
	s_mov_b64 s[4:5], 0
	s_and_saveexec_b64 s[8:9], s[6:7]
	s_xor_b64 s[6:7], exec, s[8:9]
	s_cbranch_execnz .LBB4_3593
; %bb.1545:
	s_or_saveexec_b64 s[6:7], s[6:7]
	v_mov_b32_e32 v20, s10
	s_xor_b64 exec, exec, s[6:7]
	s_cbranch_execnz .LBB4_3596
.LBB4_1546:
	s_or_b64 exec, exec, s[6:7]
	s_and_saveexec_b64 s[6:7], s[4:5]
	s_cbranch_execz .LBB4_1548
.LBB4_1547:
	v_bfe_u32 v20, v14, 8, 3
	v_ffbh_u32_e32 v23, v20
	v_min_u32_e32 v23, 32, v23
	v_lshrrev_b16_e32 v22, 3, v21
	v_subrev_u32_e32 v24, 28, v23
	v_and_b32_e32 v22, 15, v22
	v_lshlrev_b32_e32 v21, v24, v21
	v_sub_u32_e32 v23, 29, v23
	v_and_b32_e32 v21, 7, v21
	v_cmp_eq_u16_e32 vcc, 0, v22
	v_cndmask_b32_e32 v20, v20, v21, vcc
	v_cndmask_b32_e32 v21, v22, v23, vcc
	v_lshlrev_b32_e32 v22, 16, v14
	v_mov_b32_e32 v23, 0x3b800000
	v_lshlrev_b32_e32 v20, 20, v20
	v_and_b32_e32 v22, 0x80000000, v22
	v_lshl_add_u32 v21, v21, 23, v23
	v_or3_b32 v20, v22, v21, v20
.LBB4_1548:
	s_or_b64 exec, exec, s[6:7]
	v_lshrrev_b32_e32 v21, 8, v10
	s_movk_i32 s4, 0x7f
	v_cmp_gt_i16_sdwa s[6:7], v21, s4 src0_sel:BYTE_0 src1_sel:DWORD
	s_mov_b64 s[4:5], 0
                                        ; implicit-def: $sgpr10
	s_and_saveexec_b64 s[8:9], s[6:7]
	s_xor_b64 s[6:7], exec, s[8:9]
	s_cbranch_execnz .LBB4_3597
; %bb.1549:
	s_or_saveexec_b64 s[6:7], s[6:7]
	v_mov_b32_e32 v22, s10
	s_xor_b64 exec, exec, s[6:7]
	s_cbranch_execnz .LBB4_3600
.LBB4_1550:
	s_or_b64 exec, exec, s[6:7]
	s_and_saveexec_b64 s[6:7], s[4:5]
	s_cbranch_execz .LBB4_1552
.LBB4_1551:
	v_bfe_u32 v22, v10, 8, 3
	v_ffbh_u32_e32 v24, v22
	v_min_u32_e32 v24, 32, v24
	v_lshrrev_b16_e32 v23, 3, v21
	v_subrev_u32_e32 v25, 28, v24
	v_and_b32_e32 v23, 15, v23
	v_lshlrev_b32_e32 v21, v25, v21
	v_sub_u32_e32 v24, 29, v24
	v_and_b32_e32 v21, 7, v21
	v_cmp_eq_u16_e32 vcc, 0, v23
	v_cndmask_b32_e32 v21, v22, v21, vcc
	v_cndmask_b32_e32 v22, v23, v24, vcc
	v_lshlrev_b32_e32 v23, 16, v10
	v_mov_b32_e32 v24, 0x3b800000
	v_lshlrev_b32_e32 v21, 20, v21
	v_and_b32_e32 v23, 0x80000000, v23
	v_lshl_add_u32 v22, v22, 23, v24
	v_or3_b32 v22, v23, v22, v21
.LBB4_1552:
	s_or_b64 exec, exec, s[6:7]
	s_nop 0
	v_mfma_f32_16x16x4f32 a[0:3], v20, v22, a[0:3]
	s_movk_i32 s4, 0xff
	v_and_b32_sdwa v21, v14, s4 dst_sel:DWORD dst_unused:UNUSED_PAD src0_sel:WORD_1 src1_sel:DWORD
	s_movk_i32 s4, 0x7f
	v_cmp_lt_i16_e32 vcc, s4, v21
	s_mov_b64 s[4:5], 0
                                        ; implicit-def: $sgpr10
	s_and_saveexec_b64 s[6:7], vcc
	s_xor_b64 s[6:7], exec, s[6:7]
	s_cbranch_execnz .LBB4_3601
; %bb.1553:
	s_or_saveexec_b64 s[6:7], s[6:7]
	v_mov_b32_e32 v20, s10
	s_xor_b64 exec, exec, s[6:7]
	s_cbranch_execnz .LBB4_3604
.LBB4_1554:
	s_or_b64 exec, exec, s[6:7]
	s_and_saveexec_b64 s[6:7], s[4:5]
	s_cbranch_execz .LBB4_1556
.LBB4_1555:
	v_bfe_u32 v20, v14, 16, 3
	v_ffbh_u32_e32 v23, v20
	v_min_u32_e32 v23, 32, v23
	v_lshrrev_b32_e32 v21, 19, v14
	v_subrev_u32_e32 v24, 28, v23
	v_and_b32_e32 v21, 15, v21
	v_lshlrev_b32_sdwa v24, v24, v14 dst_sel:DWORD dst_unused:UNUSED_PAD src0_sel:DWORD src1_sel:WORD_1
	v_bfe_u32 v22, v14, 19, 4
	v_sub_u32_e32 v23, 29, v23
	v_and_b32_e32 v24, 7, v24
	v_cmp_eq_u16_e32 vcc, 0, v21
	v_cndmask_b32_e32 v20, v20, v24, vcc
	v_cndmask_b32_e32 v21, v22, v23, vcc
	v_lshlrev_b32_e32 v22, 8, v14
	v_mov_b32_e32 v23, 0x3b800000
	v_lshlrev_b32_e32 v20, 20, v20
	v_and_b32_e32 v22, 0x80000000, v22
	v_lshl_add_u32 v21, v21, 23, v23
	v_or3_b32 v20, v22, v21, v20
.LBB4_1556:
	s_or_b64 exec, exec, s[6:7]
	s_movk_i32 s4, 0xff
	v_and_b32_sdwa v21, v10, s4 dst_sel:DWORD dst_unused:UNUSED_PAD src0_sel:WORD_1 src1_sel:DWORD
	s_movk_i32 s4, 0x7f
	v_cmp_lt_i16_e32 vcc, s4, v21
	s_mov_b64 s[4:5], 0
                                        ; implicit-def: $sgpr10
	s_and_saveexec_b64 s[6:7], vcc
	s_xor_b64 s[6:7], exec, s[6:7]
	s_cbranch_execnz .LBB4_3605
; %bb.1557:
	s_or_saveexec_b64 s[6:7], s[6:7]
	v_mov_b32_e32 v22, s10
	s_xor_b64 exec, exec, s[6:7]
	s_cbranch_execnz .LBB4_3608
.LBB4_1558:
	s_or_b64 exec, exec, s[6:7]
	s_and_saveexec_b64 s[6:7], s[4:5]
	s_cbranch_execz .LBB4_1560
.LBB4_1559:
	v_bfe_u32 v21, v10, 16, 3
	v_ffbh_u32_e32 v24, v21
	v_min_u32_e32 v24, 32, v24
	v_lshrrev_b32_e32 v22, 19, v10
	v_subrev_u32_e32 v25, 28, v24
	v_and_b32_e32 v22, 15, v22
	v_lshlrev_b32_sdwa v25, v25, v10 dst_sel:DWORD dst_unused:UNUSED_PAD src0_sel:DWORD src1_sel:WORD_1
	v_bfe_u32 v23, v10, 19, 4
	v_sub_u32_e32 v24, 29, v24
	v_and_b32_e32 v25, 7, v25
	v_cmp_eq_u16_e32 vcc, 0, v22
	v_cndmask_b32_e32 v21, v21, v25, vcc
	v_cndmask_b32_e32 v22, v23, v24, vcc
	v_lshlrev_b32_e32 v23, 8, v10
	v_mov_b32_e32 v24, 0x3b800000
	v_lshlrev_b32_e32 v21, 20, v21
	v_and_b32_e32 v23, 0x80000000, v23
	v_lshl_add_u32 v22, v22, 23, v24
	v_or3_b32 v22, v23, v22, v21
.LBB4_1560:
	s_or_b64 exec, exec, s[6:7]
	s_nop 0
	v_mfma_f32_16x16x4f32 a[0:3], v20, v22, a[0:3]
	s_movk_i32 s4, 0x7f
	v_cmp_gt_i16_sdwa s[6:7], v14, s4 src0_sel:BYTE_3 src1_sel:DWORD
	s_mov_b64 s[4:5], 0
                                        ; implicit-def: $sgpr10
	s_and_saveexec_b64 s[8:9], s[6:7]
	s_xor_b64 s[6:7], exec, s[8:9]
	s_cbranch_execnz .LBB4_3609
; %bb.1561:
	s_or_saveexec_b64 s[6:7], s[6:7]
	v_mov_b32_e32 v20, s10
	s_xor_b64 exec, exec, s[6:7]
	s_cbranch_execnz .LBB4_3612
.LBB4_1562:
	s_or_b64 exec, exec, s[6:7]
	s_and_saveexec_b64 s[6:7], s[4:5]
	s_cbranch_execz .LBB4_1564
.LBB4_1563:
	v_bfe_u32 v20, v14, 24, 3
	v_ffbh_u32_e32 v24, v20
	v_min_u32_e32 v24, 32, v24
	v_lshrrev_b32_e32 v22, 27, v14
	v_subrev_u32_e32 v25, 28, v24
	v_and_b32_e32 v21, 0x80000000, v14
	v_and_b32_e32 v22, 15, v22
	v_bfe_u32 v23, v14, 27, 4
	v_lshlrev_b32_sdwa v14, v25, v14 dst_sel:DWORD dst_unused:UNUSED_PAD src0_sel:DWORD src1_sel:BYTE_3
	v_sub_u32_e32 v24, 29, v24
	v_and_b32_e32 v14, 7, v14
	v_cmp_eq_u16_e32 vcc, 0, v22
	v_cndmask_b32_e32 v14, v20, v14, vcc
	v_cndmask_b32_e32 v20, v23, v24, vcc
	v_mov_b32_e32 v22, 0x3b800000
	v_lshlrev_b32_e32 v14, 20, v14
	v_lshl_add_u32 v20, v20, 23, v22
	v_or3_b32 v20, v21, v20, v14
.LBB4_1564:
	s_or_b64 exec, exec, s[6:7]
	s_movk_i32 s4, 0x7f
	v_cmp_gt_i16_sdwa s[6:7], v10, s4 src0_sel:BYTE_3 src1_sel:DWORD
	s_mov_b64 s[4:5], 0
                                        ; implicit-def: $sgpr10
	s_and_saveexec_b64 s[8:9], s[6:7]
	s_xor_b64 s[6:7], exec, s[8:9]
	s_cbranch_execnz .LBB4_3613
; %bb.1565:
	s_or_saveexec_b64 s[6:7], s[6:7]
	v_mov_b32_e32 v14, s10
	s_xor_b64 exec, exec, s[6:7]
	s_cbranch_execnz .LBB4_3616
.LBB4_1566:
	s_or_b64 exec, exec, s[6:7]
	s_and_saveexec_b64 s[6:7], s[4:5]
	s_cbranch_execz .LBB4_1568
.LBB4_1567:
	v_bfe_u32 v14, v10, 24, 3
	v_ffbh_u32_e32 v24, v14
	v_min_u32_e32 v24, 32, v24
	v_lshrrev_b32_e32 v22, 27, v10
	v_subrev_u32_e32 v25, 28, v24
	v_and_b32_e32 v21, 0x80000000, v10
	v_and_b32_e32 v22, 15, v22
	v_bfe_u32 v23, v10, 27, 4
	v_lshlrev_b32_sdwa v10, v25, v10 dst_sel:DWORD dst_unused:UNUSED_PAD src0_sel:DWORD src1_sel:BYTE_3
	v_sub_u32_e32 v24, 29, v24
	v_and_b32_e32 v10, 7, v10
	v_cmp_eq_u16_e32 vcc, 0, v22
	v_cndmask_b32_e32 v10, v14, v10, vcc
	v_cndmask_b32_e32 v14, v23, v24, vcc
	v_mov_b32_e32 v22, 0x3b800000
	v_lshlrev_b32_e32 v10, 20, v10
	v_lshl_add_u32 v14, v14, 23, v22
	v_or3_b32 v14, v21, v14, v10
.LBB4_1568:
	s_or_b64 exec, exec, s[6:7]
	s_nop 0
	v_mfma_f32_16x16x4f32 a[0:3], v20, v14, a[0:3]
	s_movk_i32 s4, 0x7f
	v_cmp_gt_i16_sdwa s[6:7], v15, s4 src0_sel:BYTE_0 src1_sel:DWORD
	s_mov_b64 s[4:5], 0
                                        ; implicit-def: $sgpr10
	s_and_saveexec_b64 s[8:9], s[6:7]
	s_xor_b64 s[6:7], exec, s[8:9]
	s_cbranch_execnz .LBB4_3617
; %bb.1569:
	s_or_saveexec_b64 s[6:7], s[6:7]
	v_mov_b32_e32 v10, s10
	s_xor_b64 exec, exec, s[6:7]
	s_cbranch_execnz .LBB4_3620
.LBB4_1570:
	s_or_b64 exec, exec, s[6:7]
	s_and_saveexec_b64 s[6:7], s[4:5]
	s_cbranch_execz .LBB4_1572
.LBB4_1571:
	v_and_b32_e32 v10, 7, v15
	v_ffbh_u32_e32 v20, v10
	v_min_u32_e32 v20, 32, v20
	v_lshrrev_b16_e32 v14, 3, v15
	v_subrev_u32_e32 v21, 28, v20
	v_and_b32_e32 v14, 15, v14
	v_lshlrev_b32_e32 v21, v21, v15
	v_sub_u32_e32 v20, 29, v20
	v_and_b32_e32 v21, 7, v21
	v_cmp_eq_u16_e32 vcc, 0, v14
	v_cndmask_b32_e32 v10, v10, v21, vcc
	v_cndmask_b32_e32 v14, v14, v20, vcc
	v_lshlrev_b32_e32 v20, 24, v15
	v_mov_b32_e32 v21, 0x3b800000
	v_lshlrev_b32_e32 v10, 20, v10
	v_and_b32_e32 v20, 0x80000000, v20
	v_lshl_add_u32 v14, v14, 23, v21
	v_or3_b32 v10, v20, v14, v10
.LBB4_1572:
	s_or_b64 exec, exec, s[6:7]
	s_movk_i32 s4, 0x7f
	v_cmp_gt_i16_sdwa s[6:7], v11, s4 src0_sel:BYTE_0 src1_sel:DWORD
	s_mov_b64 s[4:5], 0
                                        ; implicit-def: $sgpr10
	s_and_saveexec_b64 s[8:9], s[6:7]
	s_xor_b64 s[6:7], exec, s[8:9]
	s_cbranch_execnz .LBB4_3621
; %bb.1573:
	s_or_saveexec_b64 s[6:7], s[6:7]
	v_mov_b32_e32 v14, s10
	s_xor_b64 exec, exec, s[6:7]
	s_cbranch_execnz .LBB4_3624
.LBB4_1574:
	s_or_b64 exec, exec, s[6:7]
	s_and_saveexec_b64 s[6:7], s[4:5]
	s_cbranch_execz .LBB4_1576
.LBB4_1575:
	v_and_b32_e32 v14, 7, v11
	v_ffbh_u32_e32 v21, v14
	v_min_u32_e32 v21, 32, v21
	v_lshrrev_b16_e32 v20, 3, v11
	v_subrev_u32_e32 v22, 28, v21
	v_and_b32_e32 v20, 15, v20
	v_lshlrev_b32_e32 v22, v22, v11
	v_sub_u32_e32 v21, 29, v21
	v_and_b32_e32 v22, 7, v22
	v_cmp_eq_u16_e32 vcc, 0, v20
	v_cndmask_b32_e32 v14, v14, v22, vcc
	v_cndmask_b32_e32 v20, v20, v21, vcc
	v_lshlrev_b32_e32 v21, 24, v11
	v_mov_b32_e32 v22, 0x3b800000
	v_lshlrev_b32_e32 v14, 20, v14
	v_and_b32_e32 v21, 0x80000000, v21
	v_lshl_add_u32 v20, v20, 23, v22
	v_or3_b32 v14, v21, v20, v14
.LBB4_1576:
	s_or_b64 exec, exec, s[6:7]
	s_nop 0
	v_mfma_f32_16x16x4f32 a[0:3], v10, v14, a[0:3]
	v_lshrrev_b32_e32 v14, 8, v15
	s_movk_i32 s4, 0x7f
	v_cmp_gt_i16_sdwa s[6:7], v14, s4 src0_sel:BYTE_0 src1_sel:DWORD
	s_mov_b64 s[4:5], 0
                                        ; implicit-def: $sgpr10
	s_and_saveexec_b64 s[8:9], s[6:7]
	s_xor_b64 s[6:7], exec, s[8:9]
	s_cbranch_execnz .LBB4_3625
; %bb.1577:
	s_or_saveexec_b64 s[6:7], s[6:7]
	v_mov_b32_e32 v10, s10
	s_xor_b64 exec, exec, s[6:7]
	s_cbranch_execnz .LBB4_3628
.LBB4_1578:
	s_or_b64 exec, exec, s[6:7]
	s_and_saveexec_b64 s[6:7], s[4:5]
	s_cbranch_execz .LBB4_1580
.LBB4_1579:
	v_bfe_u32 v10, v15, 8, 3
	v_ffbh_u32_e32 v21, v10
	v_min_u32_e32 v21, 32, v21
	v_lshrrev_b16_e32 v20, 3, v14
	v_subrev_u32_e32 v22, 28, v21
	v_and_b32_e32 v20, 15, v20
	v_lshlrev_b32_e32 v14, v22, v14
	v_sub_u32_e32 v21, 29, v21
	v_and_b32_e32 v14, 7, v14
	v_cmp_eq_u16_e32 vcc, 0, v20
	v_cndmask_b32_e32 v10, v10, v14, vcc
	v_cndmask_b32_e32 v14, v20, v21, vcc
	v_lshlrev_b32_e32 v20, 16, v15
	v_mov_b32_e32 v21, 0x3b800000
	v_lshlrev_b32_e32 v10, 20, v10
	v_and_b32_e32 v20, 0x80000000, v20
	v_lshl_add_u32 v14, v14, 23, v21
	v_or3_b32 v10, v20, v14, v10
.LBB4_1580:
	s_or_b64 exec, exec, s[6:7]
	v_lshrrev_b32_e32 v14, 8, v11
	s_movk_i32 s4, 0x7f
	v_cmp_gt_i16_sdwa s[6:7], v14, s4 src0_sel:BYTE_0 src1_sel:DWORD
	s_mov_b64 s[4:5], 0
                                        ; implicit-def: $sgpr10
	s_and_saveexec_b64 s[8:9], s[6:7]
	s_xor_b64 s[6:7], exec, s[8:9]
	s_cbranch_execnz .LBB4_3629
; %bb.1581:
	s_or_saveexec_b64 s[6:7], s[6:7]
	v_mov_b32_e32 v20, s10
	s_xor_b64 exec, exec, s[6:7]
	s_cbranch_execnz .LBB4_3632
.LBB4_1582:
	s_or_b64 exec, exec, s[6:7]
	s_and_saveexec_b64 s[6:7], s[4:5]
	s_cbranch_execz .LBB4_1584
.LBB4_1583:
	v_bfe_u32 v20, v11, 8, 3
	v_ffbh_u32_e32 v22, v20
	v_min_u32_e32 v22, 32, v22
	v_lshrrev_b16_e32 v21, 3, v14
	v_subrev_u32_e32 v23, 28, v22
	v_and_b32_e32 v21, 15, v21
	v_lshlrev_b32_e32 v14, v23, v14
	v_sub_u32_e32 v22, 29, v22
	v_and_b32_e32 v14, 7, v14
	v_cmp_eq_u16_e32 vcc, 0, v21
	v_cndmask_b32_e32 v14, v20, v14, vcc
	v_cndmask_b32_e32 v20, v21, v22, vcc
	v_lshlrev_b32_e32 v21, 16, v11
	v_mov_b32_e32 v22, 0x3b800000
	v_lshlrev_b32_e32 v14, 20, v14
	v_and_b32_e32 v21, 0x80000000, v21
	v_lshl_add_u32 v20, v20, 23, v22
	v_or3_b32 v20, v21, v20, v14
.LBB4_1584:
	s_or_b64 exec, exec, s[6:7]
	s_nop 0
	v_mfma_f32_16x16x4f32 a[0:3], v10, v20, a[0:3]
	s_movk_i32 s4, 0xff
	v_and_b32_sdwa v14, v15, s4 dst_sel:DWORD dst_unused:UNUSED_PAD src0_sel:WORD_1 src1_sel:DWORD
	s_movk_i32 s4, 0x7f
	v_cmp_lt_i16_e32 vcc, s4, v14
	s_mov_b64 s[4:5], 0
                                        ; implicit-def: $sgpr10
	s_and_saveexec_b64 s[6:7], vcc
	s_xor_b64 s[6:7], exec, s[6:7]
	s_cbranch_execnz .LBB4_3633
; %bb.1585:
	s_or_saveexec_b64 s[6:7], s[6:7]
	v_mov_b32_e32 v10, s10
	s_xor_b64 exec, exec, s[6:7]
	s_cbranch_execnz .LBB4_3636
.LBB4_1586:
	s_or_b64 exec, exec, s[6:7]
	s_and_saveexec_b64 s[6:7], s[4:5]
	s_cbranch_execz .LBB4_1588
.LBB4_1587:
	v_bfe_u32 v10, v15, 16, 3
	v_ffbh_u32_e32 v21, v10
	v_min_u32_e32 v21, 32, v21
	v_lshrrev_b32_e32 v14, 19, v15
	v_subrev_u32_e32 v22, 28, v21
	v_and_b32_e32 v14, 15, v14
	v_lshlrev_b32_sdwa v22, v22, v15 dst_sel:DWORD dst_unused:UNUSED_PAD src0_sel:DWORD src1_sel:WORD_1
	v_bfe_u32 v20, v15, 19, 4
	v_sub_u32_e32 v21, 29, v21
	v_and_b32_e32 v22, 7, v22
	v_cmp_eq_u16_e32 vcc, 0, v14
	v_cndmask_b32_e32 v10, v10, v22, vcc
	v_cndmask_b32_e32 v14, v20, v21, vcc
	v_lshlrev_b32_e32 v20, 8, v15
	v_mov_b32_e32 v21, 0x3b800000
	v_lshlrev_b32_e32 v10, 20, v10
	v_and_b32_e32 v20, 0x80000000, v20
	v_lshl_add_u32 v14, v14, 23, v21
	v_or3_b32 v10, v20, v14, v10
.LBB4_1588:
	s_or_b64 exec, exec, s[6:7]
	s_movk_i32 s4, 0xff
	v_and_b32_sdwa v14, v11, s4 dst_sel:DWORD dst_unused:UNUSED_PAD src0_sel:WORD_1 src1_sel:DWORD
	s_movk_i32 s4, 0x7f
	v_cmp_lt_i16_e32 vcc, s4, v14
	s_mov_b64 s[4:5], 0
                                        ; implicit-def: $sgpr10
	s_and_saveexec_b64 s[6:7], vcc
	s_xor_b64 s[6:7], exec, s[6:7]
	s_cbranch_execnz .LBB4_3637
; %bb.1589:
	s_or_saveexec_b64 s[6:7], s[6:7]
	v_mov_b32_e32 v20, s10
	s_xor_b64 exec, exec, s[6:7]
	s_cbranch_execnz .LBB4_3640
.LBB4_1590:
	s_or_b64 exec, exec, s[6:7]
	s_and_saveexec_b64 s[6:7], s[4:5]
	s_cbranch_execz .LBB4_1592
.LBB4_1591:
	v_bfe_u32 v14, v11, 16, 3
	v_ffbh_u32_e32 v22, v14
	v_min_u32_e32 v22, 32, v22
	v_lshrrev_b32_e32 v20, 19, v11
	v_subrev_u32_e32 v23, 28, v22
	v_and_b32_e32 v20, 15, v20
	v_lshlrev_b32_sdwa v23, v23, v11 dst_sel:DWORD dst_unused:UNUSED_PAD src0_sel:DWORD src1_sel:WORD_1
	v_bfe_u32 v21, v11, 19, 4
	v_sub_u32_e32 v22, 29, v22
	v_and_b32_e32 v23, 7, v23
	v_cmp_eq_u16_e32 vcc, 0, v20
	v_cndmask_b32_e32 v14, v14, v23, vcc
	v_cndmask_b32_e32 v20, v21, v22, vcc
	v_lshlrev_b32_e32 v21, 8, v11
	v_mov_b32_e32 v22, 0x3b800000
	v_lshlrev_b32_e32 v14, 20, v14
	v_and_b32_e32 v21, 0x80000000, v21
	v_lshl_add_u32 v20, v20, 23, v22
	v_or3_b32 v20, v21, v20, v14
.LBB4_1592:
	s_or_b64 exec, exec, s[6:7]
	s_nop 0
	v_mfma_f32_16x16x4f32 a[0:3], v10, v20, a[0:3]
	s_movk_i32 s4, 0x7f
	v_cmp_gt_i16_sdwa s[6:7], v15, s4 src0_sel:BYTE_3 src1_sel:DWORD
	s_mov_b64 s[4:5], 0
                                        ; implicit-def: $sgpr10
	s_and_saveexec_b64 s[8:9], s[6:7]
	s_xor_b64 s[6:7], exec, s[8:9]
	s_cbranch_execnz .LBB4_3641
; %bb.1593:
	s_or_saveexec_b64 s[6:7], s[6:7]
	v_mov_b32_e32 v10, s10
	s_xor_b64 exec, exec, s[6:7]
	s_cbranch_execnz .LBB4_3644
.LBB4_1594:
	s_or_b64 exec, exec, s[6:7]
	s_and_saveexec_b64 s[6:7], s[4:5]
	s_cbranch_execz .LBB4_1596
.LBB4_1595:
	v_bfe_u32 v10, v15, 24, 3
	v_ffbh_u32_e32 v22, v10
	v_min_u32_e32 v22, 32, v22
	v_lshrrev_b32_e32 v20, 27, v15
	v_subrev_u32_e32 v23, 28, v22
	v_and_b32_e32 v14, 0x80000000, v15
	v_and_b32_e32 v20, 15, v20
	v_bfe_u32 v21, v15, 27, 4
	v_lshlrev_b32_sdwa v15, v23, v15 dst_sel:DWORD dst_unused:UNUSED_PAD src0_sel:DWORD src1_sel:BYTE_3
	v_sub_u32_e32 v22, 29, v22
	v_and_b32_e32 v15, 7, v15
	v_cmp_eq_u16_e32 vcc, 0, v20
	v_cndmask_b32_e32 v10, v10, v15, vcc
	v_cndmask_b32_e32 v15, v21, v22, vcc
	v_mov_b32_e32 v20, 0x3b800000
	v_lshlrev_b32_e32 v10, 20, v10
	v_lshl_add_u32 v15, v15, 23, v20
	v_or3_b32 v10, v14, v15, v10
.LBB4_1596:
	s_or_b64 exec, exec, s[6:7]
	s_movk_i32 s4, 0x7f
	v_cmp_gt_i16_sdwa s[6:7], v11, s4 src0_sel:BYTE_3 src1_sel:DWORD
	s_mov_b64 s[4:5], 0
                                        ; implicit-def: $sgpr10
	s_and_saveexec_b64 s[8:9], s[6:7]
	s_xor_b64 s[6:7], exec, s[8:9]
	s_cbranch_execnz .LBB4_3645
; %bb.1597:
	s_or_saveexec_b64 s[6:7], s[6:7]
	v_mov_b32_e32 v14, s10
	s_xor_b64 exec, exec, s[6:7]
	s_cbranch_execnz .LBB4_3648
.LBB4_1598:
	s_or_b64 exec, exec, s[6:7]
	s_and_saveexec_b64 s[6:7], s[4:5]
	s_cbranch_execz .LBB4_1600
.LBB4_1599:
	v_bfe_u32 v14, v11, 24, 3
	v_ffbh_u32_e32 v22, v14
	v_min_u32_e32 v22, 32, v22
	v_lshrrev_b32_e32 v20, 27, v11
	v_subrev_u32_e32 v23, 28, v22
	v_and_b32_e32 v15, 0x80000000, v11
	v_and_b32_e32 v20, 15, v20
	v_bfe_u32 v21, v11, 27, 4
	v_lshlrev_b32_sdwa v11, v23, v11 dst_sel:DWORD dst_unused:UNUSED_PAD src0_sel:DWORD src1_sel:BYTE_3
	v_sub_u32_e32 v22, 29, v22
	v_and_b32_e32 v11, 7, v11
	v_cmp_eq_u16_e32 vcc, 0, v20
	v_cndmask_b32_e32 v11, v14, v11, vcc
	v_cndmask_b32_e32 v14, v21, v22, vcc
	v_mov_b32_e32 v20, 0x3b800000
	v_lshlrev_b32_e32 v11, 20, v11
	v_lshl_add_u32 v14, v14, 23, v20
	v_or3_b32 v14, v15, v14, v11
.LBB4_1600:
	s_or_b64 exec, exec, s[6:7]
	s_nop 0
	v_mfma_f32_16x16x4f32 a[0:3], v10, v14, a[0:3]
	s_movk_i32 s4, 0x7f
	v_cmp_gt_i16_sdwa s[6:7], v16, s4 src0_sel:BYTE_0 src1_sel:DWORD
	s_mov_b64 s[4:5], 0
                                        ; implicit-def: $sgpr10
	s_and_saveexec_b64 s[8:9], s[6:7]
	s_xor_b64 s[6:7], exec, s[8:9]
	s_cbranch_execnz .LBB4_3649
; %bb.1601:
	s_or_saveexec_b64 s[6:7], s[6:7]
	v_mov_b32_e32 v10, s10
	s_xor_b64 exec, exec, s[6:7]
	s_cbranch_execnz .LBB4_3652
.LBB4_1602:
	s_or_b64 exec, exec, s[6:7]
	s_and_saveexec_b64 s[6:7], s[4:5]
	s_cbranch_execz .LBB4_1604
.LBB4_1603:
	v_and_b32_e32 v10, 7, v16
	v_ffbh_u32_e32 v14, v10
	v_min_u32_e32 v14, 32, v14
	v_lshrrev_b16_e32 v11, 3, v16
	v_subrev_u32_e32 v15, 28, v14
	v_and_b32_e32 v11, 15, v11
	v_lshlrev_b32_e32 v15, v15, v16
	v_sub_u32_e32 v14, 29, v14
	v_and_b32_e32 v15, 7, v15
	v_cmp_eq_u16_e32 vcc, 0, v11
	v_cndmask_b32_e32 v10, v10, v15, vcc
	v_cndmask_b32_e32 v11, v11, v14, vcc
	v_lshlrev_b32_e32 v14, 24, v16
	v_mov_b32_e32 v15, 0x3b800000
	v_lshlrev_b32_e32 v10, 20, v10
	v_and_b32_e32 v14, 0x80000000, v14
	v_lshl_add_u32 v11, v11, 23, v15
	v_or3_b32 v10, v14, v11, v10
.LBB4_1604:
	s_or_b64 exec, exec, s[6:7]
	s_movk_i32 s4, 0x7f
	v_cmp_gt_i16_sdwa s[6:7], v12, s4 src0_sel:BYTE_0 src1_sel:DWORD
	s_mov_b64 s[4:5], 0
                                        ; implicit-def: $sgpr10
	s_and_saveexec_b64 s[8:9], s[6:7]
	s_xor_b64 s[6:7], exec, s[8:9]
	s_cbranch_execnz .LBB4_3653
; %bb.1605:
	s_or_saveexec_b64 s[6:7], s[6:7]
	v_mov_b32_e32 v11, s10
	s_xor_b64 exec, exec, s[6:7]
	s_cbranch_execnz .LBB4_3656
.LBB4_1606:
	s_or_b64 exec, exec, s[6:7]
	s_and_saveexec_b64 s[6:7], s[4:5]
	s_cbranch_execz .LBB4_1608
.LBB4_1607:
	v_and_b32_e32 v11, 7, v12
	v_ffbh_u32_e32 v15, v11
	v_min_u32_e32 v15, 32, v15
	v_lshrrev_b16_e32 v14, 3, v12
	v_subrev_u32_e32 v20, 28, v15
	v_and_b32_e32 v14, 15, v14
	v_lshlrev_b32_e32 v20, v20, v12
	v_sub_u32_e32 v15, 29, v15
	v_and_b32_e32 v20, 7, v20
	v_cmp_eq_u16_e32 vcc, 0, v14
	v_cndmask_b32_e32 v11, v11, v20, vcc
	v_cndmask_b32_e32 v14, v14, v15, vcc
	v_lshlrev_b32_e32 v15, 24, v12
	v_mov_b32_e32 v20, 0x3b800000
	v_lshlrev_b32_e32 v11, 20, v11
	v_and_b32_e32 v15, 0x80000000, v15
	v_lshl_add_u32 v14, v14, 23, v20
	v_or3_b32 v11, v15, v14, v11
.LBB4_1608:
	s_or_b64 exec, exec, s[6:7]
	s_nop 0
	v_mfma_f32_16x16x4f32 a[0:3], v10, v11, a[0:3]
	v_lshrrev_b32_e32 v11, 8, v16
	s_movk_i32 s4, 0x7f
	v_cmp_gt_i16_sdwa s[6:7], v11, s4 src0_sel:BYTE_0 src1_sel:DWORD
	s_mov_b64 s[4:5], 0
                                        ; implicit-def: $sgpr10
	s_and_saveexec_b64 s[8:9], s[6:7]
	s_xor_b64 s[6:7], exec, s[8:9]
	s_cbranch_execnz .LBB4_3657
; %bb.1609:
	s_or_saveexec_b64 s[6:7], s[6:7]
	v_mov_b32_e32 v10, s10
	s_xor_b64 exec, exec, s[6:7]
	s_cbranch_execnz .LBB4_3660
.LBB4_1610:
	s_or_b64 exec, exec, s[6:7]
	s_and_saveexec_b64 s[6:7], s[4:5]
	s_cbranch_execz .LBB4_1612
.LBB4_1611:
	v_bfe_u32 v10, v16, 8, 3
	v_ffbh_u32_e32 v15, v10
	v_min_u32_e32 v15, 32, v15
	v_lshrrev_b16_e32 v14, 3, v11
	v_subrev_u32_e32 v20, 28, v15
	v_and_b32_e32 v14, 15, v14
	v_lshlrev_b32_e32 v11, v20, v11
	v_sub_u32_e32 v15, 29, v15
	v_and_b32_e32 v11, 7, v11
	v_cmp_eq_u16_e32 vcc, 0, v14
	v_cndmask_b32_e32 v10, v10, v11, vcc
	v_cndmask_b32_e32 v11, v14, v15, vcc
	v_lshlrev_b32_e32 v14, 16, v16
	v_mov_b32_e32 v15, 0x3b800000
	v_lshlrev_b32_e32 v10, 20, v10
	v_and_b32_e32 v14, 0x80000000, v14
	v_lshl_add_u32 v11, v11, 23, v15
	v_or3_b32 v10, v14, v11, v10
.LBB4_1612:
	s_or_b64 exec, exec, s[6:7]
	v_lshrrev_b32_e32 v11, 8, v12
	s_movk_i32 s4, 0x7f
	v_cmp_gt_i16_sdwa s[6:7], v11, s4 src0_sel:BYTE_0 src1_sel:DWORD
	s_mov_b64 s[4:5], 0
                                        ; implicit-def: $sgpr10
	s_and_saveexec_b64 s[8:9], s[6:7]
	s_xor_b64 s[6:7], exec, s[8:9]
	s_cbranch_execnz .LBB4_3661
; %bb.1613:
	s_or_saveexec_b64 s[6:7], s[6:7]
	v_mov_b32_e32 v14, s10
	s_xor_b64 exec, exec, s[6:7]
	s_cbranch_execnz .LBB4_3664
.LBB4_1614:
	s_or_b64 exec, exec, s[6:7]
	s_and_saveexec_b64 s[6:7], s[4:5]
	s_cbranch_execz .LBB4_1616
.LBB4_1615:
	v_bfe_u32 v14, v12, 8, 3
	v_ffbh_u32_e32 v20, v14
	v_min_u32_e32 v20, 32, v20
	v_lshrrev_b16_e32 v15, 3, v11
	v_subrev_u32_e32 v21, 28, v20
	v_and_b32_e32 v15, 15, v15
	v_lshlrev_b32_e32 v11, v21, v11
	v_sub_u32_e32 v20, 29, v20
	v_and_b32_e32 v11, 7, v11
	v_cmp_eq_u16_e32 vcc, 0, v15
	v_cndmask_b32_e32 v11, v14, v11, vcc
	v_cndmask_b32_e32 v14, v15, v20, vcc
	v_lshlrev_b32_e32 v15, 16, v12
	v_mov_b32_e32 v20, 0x3b800000
	v_lshlrev_b32_e32 v11, 20, v11
	v_and_b32_e32 v15, 0x80000000, v15
	v_lshl_add_u32 v14, v14, 23, v20
	v_or3_b32 v14, v15, v14, v11
.LBB4_1616:
	s_or_b64 exec, exec, s[6:7]
	s_nop 0
	v_mfma_f32_16x16x4f32 a[0:3], v10, v14, a[0:3]
	s_movk_i32 s4, 0xff
	v_and_b32_sdwa v11, v16, s4 dst_sel:DWORD dst_unused:UNUSED_PAD src0_sel:WORD_1 src1_sel:DWORD
	s_movk_i32 s4, 0x7f
	v_cmp_lt_i16_e32 vcc, s4, v11
	s_mov_b64 s[4:5], 0
                                        ; implicit-def: $sgpr10
	s_and_saveexec_b64 s[6:7], vcc
	s_xor_b64 s[6:7], exec, s[6:7]
	s_cbranch_execnz .LBB4_3665
; %bb.1617:
	s_or_saveexec_b64 s[6:7], s[6:7]
	v_mov_b32_e32 v10, s10
	s_xor_b64 exec, exec, s[6:7]
	s_cbranch_execnz .LBB4_3668
.LBB4_1618:
	s_or_b64 exec, exec, s[6:7]
	s_and_saveexec_b64 s[6:7], s[4:5]
	s_cbranch_execz .LBB4_1620
.LBB4_1619:
	v_bfe_u32 v10, v16, 16, 3
	v_ffbh_u32_e32 v15, v10
	v_min_u32_e32 v15, 32, v15
	v_lshrrev_b32_e32 v11, 19, v16
	v_subrev_u32_e32 v20, 28, v15
	v_and_b32_e32 v11, 15, v11
	v_lshlrev_b32_sdwa v20, v20, v16 dst_sel:DWORD dst_unused:UNUSED_PAD src0_sel:DWORD src1_sel:WORD_1
	v_bfe_u32 v14, v16, 19, 4
	v_sub_u32_e32 v15, 29, v15
	v_and_b32_e32 v20, 7, v20
	v_cmp_eq_u16_e32 vcc, 0, v11
	v_cndmask_b32_e32 v10, v10, v20, vcc
	v_cndmask_b32_e32 v11, v14, v15, vcc
	v_lshlrev_b32_e32 v14, 8, v16
	v_mov_b32_e32 v15, 0x3b800000
	v_lshlrev_b32_e32 v10, 20, v10
	v_and_b32_e32 v14, 0x80000000, v14
	v_lshl_add_u32 v11, v11, 23, v15
	v_or3_b32 v10, v14, v11, v10
.LBB4_1620:
	s_or_b64 exec, exec, s[6:7]
	s_movk_i32 s4, 0xff
	v_and_b32_sdwa v11, v12, s4 dst_sel:DWORD dst_unused:UNUSED_PAD src0_sel:WORD_1 src1_sel:DWORD
	s_movk_i32 s4, 0x7f
	v_cmp_lt_i16_e32 vcc, s4, v11
	s_mov_b64 s[4:5], 0
                                        ; implicit-def: $sgpr10
	s_and_saveexec_b64 s[6:7], vcc
	s_xor_b64 s[6:7], exec, s[6:7]
	s_cbranch_execnz .LBB4_3669
; %bb.1621:
	s_or_saveexec_b64 s[6:7], s[6:7]
	v_mov_b32_e32 v14, s10
	s_xor_b64 exec, exec, s[6:7]
	s_cbranch_execnz .LBB4_3672
.LBB4_1622:
	s_or_b64 exec, exec, s[6:7]
	s_and_saveexec_b64 s[6:7], s[4:5]
	s_cbranch_execz .LBB4_1624
.LBB4_1623:
	v_bfe_u32 v11, v12, 16, 3
	v_ffbh_u32_e32 v20, v11
	v_min_u32_e32 v20, 32, v20
	v_lshrrev_b32_e32 v14, 19, v12
	v_subrev_u32_e32 v21, 28, v20
	v_and_b32_e32 v14, 15, v14
	v_lshlrev_b32_sdwa v21, v21, v12 dst_sel:DWORD dst_unused:UNUSED_PAD src0_sel:DWORD src1_sel:WORD_1
	v_bfe_u32 v15, v12, 19, 4
	v_sub_u32_e32 v20, 29, v20
	v_and_b32_e32 v21, 7, v21
	v_cmp_eq_u16_e32 vcc, 0, v14
	v_cndmask_b32_e32 v11, v11, v21, vcc
	v_cndmask_b32_e32 v14, v15, v20, vcc
	v_lshlrev_b32_e32 v15, 8, v12
	v_mov_b32_e32 v20, 0x3b800000
	v_lshlrev_b32_e32 v11, 20, v11
	v_and_b32_e32 v15, 0x80000000, v15
	v_lshl_add_u32 v14, v14, 23, v20
	v_or3_b32 v14, v15, v14, v11
.LBB4_1624:
	s_or_b64 exec, exec, s[6:7]
	s_nop 0
	v_mfma_f32_16x16x4f32 a[0:3], v10, v14, a[0:3]
	s_movk_i32 s4, 0x7f
	v_cmp_gt_i16_sdwa s[6:7], v16, s4 src0_sel:BYTE_3 src1_sel:DWORD
	s_mov_b64 s[4:5], 0
                                        ; implicit-def: $sgpr10
	s_and_saveexec_b64 s[8:9], s[6:7]
	s_xor_b64 s[6:7], exec, s[8:9]
	s_cbranch_execnz .LBB4_3673
; %bb.1625:
	s_or_saveexec_b64 s[6:7], s[6:7]
	v_mov_b32_e32 v10, s10
	s_xor_b64 exec, exec, s[6:7]
	s_cbranch_execnz .LBB4_3676
.LBB4_1626:
	s_or_b64 exec, exec, s[6:7]
	s_and_saveexec_b64 s[6:7], s[4:5]
	s_cbranch_execz .LBB4_1628
.LBB4_1627:
	v_bfe_u32 v10, v16, 24, 3
	v_ffbh_u32_e32 v20, v10
	v_min_u32_e32 v20, 32, v20
	v_lshrrev_b32_e32 v14, 27, v16
	v_subrev_u32_e32 v21, 28, v20
	v_and_b32_e32 v11, 0x80000000, v16
	v_and_b32_e32 v14, 15, v14
	v_bfe_u32 v15, v16, 27, 4
	v_lshlrev_b32_sdwa v16, v21, v16 dst_sel:DWORD dst_unused:UNUSED_PAD src0_sel:DWORD src1_sel:BYTE_3
	v_sub_u32_e32 v20, 29, v20
	v_and_b32_e32 v16, 7, v16
	v_cmp_eq_u16_e32 vcc, 0, v14
	v_cndmask_b32_e32 v10, v10, v16, vcc
	v_cndmask_b32_e32 v14, v15, v20, vcc
	v_mov_b32_e32 v15, 0x3b800000
	v_lshlrev_b32_e32 v10, 20, v10
	v_lshl_add_u32 v14, v14, 23, v15
	v_or3_b32 v10, v11, v14, v10
.LBB4_1628:
	s_or_b64 exec, exec, s[6:7]
	s_movk_i32 s4, 0x7f
	v_cmp_gt_i16_sdwa s[6:7], v12, s4 src0_sel:BYTE_3 src1_sel:DWORD
	s_mov_b64 s[4:5], 0
                                        ; implicit-def: $sgpr10
	s_and_saveexec_b64 s[8:9], s[6:7]
	s_xor_b64 s[6:7], exec, s[8:9]
	s_cbranch_execnz .LBB4_3677
; %bb.1629:
	s_or_saveexec_b64 s[6:7], s[6:7]
	v_mov_b32_e32 v11, s10
	s_xor_b64 exec, exec, s[6:7]
	s_cbranch_execnz .LBB4_3680
.LBB4_1630:
	s_or_b64 exec, exec, s[6:7]
	s_and_saveexec_b64 s[6:7], s[4:5]
	s_cbranch_execz .LBB4_1632
.LBB4_1631:
	v_bfe_u32 v11, v12, 24, 3
	v_ffbh_u32_e32 v20, v11
	v_min_u32_e32 v20, 32, v20
	v_lshrrev_b32_e32 v15, 27, v12
	v_subrev_u32_e32 v21, 28, v20
	v_and_b32_e32 v14, 0x80000000, v12
	v_and_b32_e32 v15, 15, v15
	v_bfe_u32 v16, v12, 27, 4
	v_lshlrev_b32_sdwa v12, v21, v12 dst_sel:DWORD dst_unused:UNUSED_PAD src0_sel:DWORD src1_sel:BYTE_3
	v_sub_u32_e32 v20, 29, v20
	v_and_b32_e32 v12, 7, v12
	v_cmp_eq_u16_e32 vcc, 0, v15
	v_cndmask_b32_e32 v11, v11, v12, vcc
	v_cndmask_b32_e32 v12, v16, v20, vcc
	v_mov_b32_e32 v15, 0x3b800000
	v_lshlrev_b32_e32 v11, 20, v11
	v_lshl_add_u32 v12, v12, 23, v15
	v_or3_b32 v11, v14, v12, v11
.LBB4_1632:
	s_or_b64 exec, exec, s[6:7]
	s_nop 0
	v_mfma_f32_16x16x4f32 a[0:3], v10, v11, a[0:3]
	s_movk_i32 s4, 0x7f
	v_cmp_gt_i16_sdwa s[6:7], v17, s4 src0_sel:BYTE_0 src1_sel:DWORD
	s_mov_b64 s[4:5], 0
                                        ; implicit-def: $sgpr10
	s_and_saveexec_b64 s[8:9], s[6:7]
	s_xor_b64 s[6:7], exec, s[8:9]
	s_cbranch_execnz .LBB4_3681
; %bb.1633:
	s_or_saveexec_b64 s[6:7], s[6:7]
	v_mov_b32_e32 v10, s10
	s_xor_b64 exec, exec, s[6:7]
	s_cbranch_execnz .LBB4_3684
.LBB4_1634:
	s_or_b64 exec, exec, s[6:7]
	s_and_saveexec_b64 s[6:7], s[4:5]
	s_cbranch_execz .LBB4_1636
.LBB4_1635:
	v_and_b32_e32 v10, 7, v17
	v_ffbh_u32_e32 v12, v10
	v_min_u32_e32 v12, 32, v12
	v_lshrrev_b16_e32 v11, 3, v17
	v_subrev_u32_e32 v14, 28, v12
	v_and_b32_e32 v11, 15, v11
	v_lshlrev_b32_e32 v14, v14, v17
	v_sub_u32_e32 v12, 29, v12
	v_and_b32_e32 v14, 7, v14
	v_cmp_eq_u16_e32 vcc, 0, v11
	v_cndmask_b32_e32 v10, v10, v14, vcc
	v_cndmask_b32_e32 v11, v11, v12, vcc
	v_lshlrev_b32_e32 v12, 24, v17
	v_mov_b32_e32 v14, 0x3b800000
	v_lshlrev_b32_e32 v10, 20, v10
	v_and_b32_e32 v12, 0x80000000, v12
	v_lshl_add_u32 v11, v11, 23, v14
	v_or3_b32 v10, v12, v11, v10
.LBB4_1636:
	s_or_b64 exec, exec, s[6:7]
	s_movk_i32 s4, 0x7f
	v_cmp_gt_i16_sdwa s[6:7], v13, s4 src0_sel:BYTE_0 src1_sel:DWORD
	s_mov_b64 s[4:5], 0
                                        ; implicit-def: $sgpr10
	s_and_saveexec_b64 s[8:9], s[6:7]
	s_xor_b64 s[6:7], exec, s[8:9]
	s_cbranch_execnz .LBB4_3685
; %bb.1637:
	s_or_saveexec_b64 s[6:7], s[6:7]
	v_mov_b32_e32 v11, s10
	s_xor_b64 exec, exec, s[6:7]
	s_cbranch_execnz .LBB4_3688
.LBB4_1638:
	s_or_b64 exec, exec, s[6:7]
	s_and_saveexec_b64 s[6:7], s[4:5]
	s_cbranch_execz .LBB4_1640
.LBB4_1639:
	v_and_b32_e32 v11, 7, v13
	v_ffbh_u32_e32 v14, v11
	v_min_u32_e32 v14, 32, v14
	v_lshrrev_b16_e32 v12, 3, v13
	v_subrev_u32_e32 v15, 28, v14
	v_and_b32_e32 v12, 15, v12
	v_lshlrev_b32_e32 v15, v15, v13
	v_sub_u32_e32 v14, 29, v14
	v_and_b32_e32 v15, 7, v15
	v_cmp_eq_u16_e32 vcc, 0, v12
	v_cndmask_b32_e32 v11, v11, v15, vcc
	v_cndmask_b32_e32 v12, v12, v14, vcc
	v_lshlrev_b32_e32 v14, 24, v13
	v_mov_b32_e32 v15, 0x3b800000
	v_lshlrev_b32_e32 v11, 20, v11
	v_and_b32_e32 v14, 0x80000000, v14
	v_lshl_add_u32 v12, v12, 23, v15
	v_or3_b32 v11, v14, v12, v11
.LBB4_1640:
	s_or_b64 exec, exec, s[6:7]
	s_nop 0
	v_mfma_f32_16x16x4f32 a[0:3], v10, v11, a[0:3]
	v_lshrrev_b32_e32 v11, 8, v17
	s_movk_i32 s4, 0x7f
	v_cmp_gt_i16_sdwa s[6:7], v11, s4 src0_sel:BYTE_0 src1_sel:DWORD
	s_mov_b64 s[4:5], 0
                                        ; implicit-def: $sgpr10
	s_and_saveexec_b64 s[8:9], s[6:7]
	s_xor_b64 s[6:7], exec, s[8:9]
	s_cbranch_execnz .LBB4_3689
; %bb.1641:
	s_or_saveexec_b64 s[6:7], s[6:7]
	v_mov_b32_e32 v10, s10
	s_xor_b64 exec, exec, s[6:7]
	s_cbranch_execnz .LBB4_3692
.LBB4_1642:
	s_or_b64 exec, exec, s[6:7]
	s_and_saveexec_b64 s[6:7], s[4:5]
	s_cbranch_execz .LBB4_1644
.LBB4_1643:
	v_bfe_u32 v10, v17, 8, 3
	v_ffbh_u32_e32 v14, v10
	v_min_u32_e32 v14, 32, v14
	v_lshrrev_b16_e32 v12, 3, v11
	v_subrev_u32_e32 v15, 28, v14
	v_and_b32_e32 v12, 15, v12
	v_lshlrev_b32_e32 v11, v15, v11
	v_sub_u32_e32 v14, 29, v14
	v_and_b32_e32 v11, 7, v11
	v_cmp_eq_u16_e32 vcc, 0, v12
	v_cndmask_b32_e32 v10, v10, v11, vcc
	v_cndmask_b32_e32 v11, v12, v14, vcc
	v_lshlrev_b32_e32 v12, 16, v17
	v_mov_b32_e32 v14, 0x3b800000
	v_lshlrev_b32_e32 v10, 20, v10
	v_and_b32_e32 v12, 0x80000000, v12
	v_lshl_add_u32 v11, v11, 23, v14
	v_or3_b32 v10, v12, v11, v10
.LBB4_1644:
	s_or_b64 exec, exec, s[6:7]
	v_lshrrev_b32_e32 v11, 8, v13
	s_movk_i32 s4, 0x7f
	v_cmp_gt_i16_sdwa s[6:7], v11, s4 src0_sel:BYTE_0 src1_sel:DWORD
	s_mov_b64 s[4:5], 0
                                        ; implicit-def: $sgpr10
	s_and_saveexec_b64 s[8:9], s[6:7]
	s_xor_b64 s[6:7], exec, s[8:9]
	s_cbranch_execnz .LBB4_3693
; %bb.1645:
	s_or_saveexec_b64 s[6:7], s[6:7]
	v_mov_b32_e32 v12, s10
	s_xor_b64 exec, exec, s[6:7]
	s_cbranch_execnz .LBB4_3696
.LBB4_1646:
	s_or_b64 exec, exec, s[6:7]
	s_and_saveexec_b64 s[6:7], s[4:5]
	s_cbranch_execz .LBB4_1648
.LBB4_1647:
	v_bfe_u32 v12, v13, 8, 3
	v_ffbh_u32_e32 v15, v12
	v_min_u32_e32 v15, 32, v15
	v_lshrrev_b16_e32 v14, 3, v11
	v_subrev_u32_e32 v16, 28, v15
	v_and_b32_e32 v14, 15, v14
	v_lshlrev_b32_e32 v11, v16, v11
	v_sub_u32_e32 v15, 29, v15
	v_and_b32_e32 v11, 7, v11
	v_cmp_eq_u16_e32 vcc, 0, v14
	v_cndmask_b32_e32 v11, v12, v11, vcc
	v_cndmask_b32_e32 v12, v14, v15, vcc
	v_lshlrev_b32_e32 v14, 16, v13
	v_mov_b32_e32 v15, 0x3b800000
	v_lshlrev_b32_e32 v11, 20, v11
	v_and_b32_e32 v14, 0x80000000, v14
	v_lshl_add_u32 v12, v12, 23, v15
	v_or3_b32 v12, v14, v12, v11
.LBB4_1648:
	s_or_b64 exec, exec, s[6:7]
	s_nop 0
	v_mfma_f32_16x16x4f32 a[0:3], v10, v12, a[0:3]
	s_movk_i32 s4, 0xff
	v_and_b32_sdwa v11, v17, s4 dst_sel:DWORD dst_unused:UNUSED_PAD src0_sel:WORD_1 src1_sel:DWORD
	s_movk_i32 s4, 0x7f
	v_cmp_lt_i16_e32 vcc, s4, v11
	s_mov_b64 s[4:5], 0
                                        ; implicit-def: $sgpr10
	s_and_saveexec_b64 s[6:7], vcc
	s_xor_b64 s[6:7], exec, s[6:7]
	s_cbranch_execnz .LBB4_3697
; %bb.1649:
	s_or_saveexec_b64 s[6:7], s[6:7]
	v_mov_b32_e32 v10, s10
	s_xor_b64 exec, exec, s[6:7]
	s_cbranch_execnz .LBB4_3700
.LBB4_1650:
	s_or_b64 exec, exec, s[6:7]
	s_and_saveexec_b64 s[6:7], s[4:5]
	s_cbranch_execz .LBB4_1652
.LBB4_1651:
	v_bfe_u32 v10, v17, 16, 3
	v_ffbh_u32_e32 v14, v10
	v_min_u32_e32 v14, 32, v14
	v_lshrrev_b32_e32 v11, 19, v17
	v_subrev_u32_e32 v15, 28, v14
	v_and_b32_e32 v11, 15, v11
	v_lshlrev_b32_sdwa v15, v15, v17 dst_sel:DWORD dst_unused:UNUSED_PAD src0_sel:DWORD src1_sel:WORD_1
	v_bfe_u32 v12, v17, 19, 4
	v_sub_u32_e32 v14, 29, v14
	v_and_b32_e32 v15, 7, v15
	v_cmp_eq_u16_e32 vcc, 0, v11
	v_cndmask_b32_e32 v10, v10, v15, vcc
	v_cndmask_b32_e32 v11, v12, v14, vcc
	v_lshlrev_b32_e32 v12, 8, v17
	v_mov_b32_e32 v14, 0x3b800000
	v_lshlrev_b32_e32 v10, 20, v10
	v_and_b32_e32 v12, 0x80000000, v12
	v_lshl_add_u32 v11, v11, 23, v14
	v_or3_b32 v10, v12, v11, v10
.LBB4_1652:
	s_or_b64 exec, exec, s[6:7]
	s_movk_i32 s4, 0xff
	v_and_b32_sdwa v11, v13, s4 dst_sel:DWORD dst_unused:UNUSED_PAD src0_sel:WORD_1 src1_sel:DWORD
	s_movk_i32 s4, 0x7f
	v_cmp_lt_i16_e32 vcc, s4, v11
	s_mov_b64 s[4:5], 0
                                        ; implicit-def: $sgpr10
	s_and_saveexec_b64 s[6:7], vcc
	s_xor_b64 s[6:7], exec, s[6:7]
	s_cbranch_execnz .LBB4_3701
; %bb.1653:
	s_or_saveexec_b64 s[6:7], s[6:7]
	v_mov_b32_e32 v12, s10
	s_xor_b64 exec, exec, s[6:7]
	s_cbranch_execnz .LBB4_3704
.LBB4_1654:
	s_or_b64 exec, exec, s[6:7]
	s_and_saveexec_b64 s[6:7], s[4:5]
	s_cbranch_execz .LBB4_1656
.LBB4_1655:
	v_bfe_u32 v11, v13, 16, 3
	v_ffbh_u32_e32 v15, v11
	v_min_u32_e32 v15, 32, v15
	v_lshrrev_b32_e32 v12, 19, v13
	v_subrev_u32_e32 v16, 28, v15
	v_and_b32_e32 v12, 15, v12
	v_lshlrev_b32_sdwa v16, v16, v13 dst_sel:DWORD dst_unused:UNUSED_PAD src0_sel:DWORD src1_sel:WORD_1
	v_bfe_u32 v14, v13, 19, 4
	v_sub_u32_e32 v15, 29, v15
	v_and_b32_e32 v16, 7, v16
	v_cmp_eq_u16_e32 vcc, 0, v12
	v_cndmask_b32_e32 v11, v11, v16, vcc
	v_cndmask_b32_e32 v12, v14, v15, vcc
	v_lshlrev_b32_e32 v14, 8, v13
	v_mov_b32_e32 v15, 0x3b800000
	v_lshlrev_b32_e32 v11, 20, v11
	v_and_b32_e32 v14, 0x80000000, v14
	v_lshl_add_u32 v12, v12, 23, v15
	v_or3_b32 v12, v14, v12, v11
.LBB4_1656:
	s_or_b64 exec, exec, s[6:7]
	s_nop 0
	v_mfma_f32_16x16x4f32 a[0:3], v10, v12, a[0:3]
	s_movk_i32 s4, 0x7f
	v_cmp_gt_i16_sdwa s[6:7], v17, s4 src0_sel:BYTE_3 src1_sel:DWORD
	s_mov_b64 s[4:5], 0
                                        ; implicit-def: $sgpr10
	s_and_saveexec_b64 s[8:9], s[6:7]
	s_xor_b64 s[6:7], exec, s[8:9]
	s_cbranch_execnz .LBB4_3705
; %bb.1657:
	s_or_saveexec_b64 s[6:7], s[6:7]
	v_mov_b32_e32 v10, s10
	s_xor_b64 exec, exec, s[6:7]
	s_cbranch_execnz .LBB4_3708
.LBB4_1658:
	s_or_b64 exec, exec, s[6:7]
	s_and_saveexec_b64 s[6:7], s[4:5]
	s_cbranch_execz .LBB4_1660
.LBB4_1659:
	v_bfe_u32 v10, v17, 24, 3
	v_ffbh_u32_e32 v15, v10
	v_min_u32_e32 v15, 32, v15
	v_lshrrev_b32_e32 v12, 27, v17
	v_subrev_u32_e32 v16, 28, v15
	v_and_b32_e32 v12, 15, v12
	v_lshlrev_b32_sdwa v16, v16, v17 dst_sel:DWORD dst_unused:UNUSED_PAD src0_sel:DWORD src1_sel:BYTE_3
	v_bfe_u32 v14, v17, 27, 4
	v_sub_u32_e32 v15, 29, v15
	v_and_b32_e32 v16, 7, v16
	v_cmp_eq_u16_e32 vcc, 0, v12
	v_cndmask_b32_e32 v10, v10, v16, vcc
	v_cndmask_b32_e32 v12, v14, v15, vcc
	v_mov_b32_e32 v14, 0x3b800000
	v_and_b32_e32 v11, 0x80000000, v17
	v_lshlrev_b32_e32 v10, 20, v10
	v_lshl_add_u32 v12, v12, 23, v14
	v_or3_b32 v10, v11, v12, v10
.LBB4_1660:
	s_or_b64 exec, exec, s[6:7]
	s_movk_i32 s4, 0x7f
	v_cmp_gt_i16_sdwa s[6:7], v13, s4 src0_sel:BYTE_3 src1_sel:DWORD
	s_mov_b64 s[4:5], 0
                                        ; implicit-def: $sgpr10
	s_and_saveexec_b64 s[8:9], s[6:7]
	s_xor_b64 s[6:7], exec, s[8:9]
	s_cbranch_execnz .LBB4_3709
; %bb.1661:
	s_or_saveexec_b64 s[6:7], s[6:7]
	v_mov_b32_e32 v11, s10
	s_xor_b64 exec, exec, s[6:7]
	s_cbranch_execnz .LBB4_3712
.LBB4_1662:
	s_or_b64 exec, exec, s[6:7]
	s_and_saveexec_b64 s[6:7], s[4:5]
	s_cbranch_execz .LBB4_1664
.LBB4_1663:
	v_bfe_u32 v11, v13, 24, 3
	v_ffbh_u32_e32 v16, v11
	v_min_u32_e32 v16, 32, v16
	v_lshrrev_b32_e32 v14, 27, v13
	v_subrev_u32_e32 v17, 28, v16
	v_and_b32_e32 v12, 0x80000000, v13
	v_and_b32_e32 v14, 15, v14
	v_bfe_u32 v15, v13, 27, 4
	v_lshlrev_b32_sdwa v13, v17, v13 dst_sel:DWORD dst_unused:UNUSED_PAD src0_sel:DWORD src1_sel:BYTE_3
	v_sub_u32_e32 v16, 29, v16
	v_and_b32_e32 v13, 7, v13
	v_cmp_eq_u16_e32 vcc, 0, v14
	v_cndmask_b32_e32 v11, v11, v13, vcc
	v_cndmask_b32_e32 v13, v15, v16, vcc
	v_mov_b32_e32 v14, 0x3b800000
	v_lshlrev_b32_e32 v11, 20, v11
	v_lshl_add_u32 v13, v13, 23, v14
	v_or3_b32 v11, v12, v13, v11
.LBB4_1664:
	s_or_b64 exec, exec, s[6:7]
	s_nop 0
	v_mfma_f32_16x16x4f32 a[0:3], v10, v11, a[0:3]
	s_movk_i32 s4, 0x7f
	v_cmp_gt_i16_sdwa s[6:7], v6, s4 src0_sel:BYTE_0 src1_sel:DWORD
	s_mov_b64 s[4:5], 0
                                        ; implicit-def: $sgpr10
	s_and_saveexec_b64 s[8:9], s[6:7]
	s_xor_b64 s[6:7], exec, s[8:9]
	s_cbranch_execnz .LBB4_3713
; %bb.1665:
	s_or_saveexec_b64 s[6:7], s[6:7]
	v_mov_b32_e32 v10, s10
	s_xor_b64 exec, exec, s[6:7]
	s_cbranch_execnz .LBB4_3716
.LBB4_1666:
	s_or_b64 exec, exec, s[6:7]
	s_and_saveexec_b64 s[6:7], s[4:5]
	s_cbranch_execz .LBB4_1668
.LBB4_1667:
	v_and_b32_e32 v10, 7, v6
	v_ffbh_u32_e32 v12, v10
	v_min_u32_e32 v12, 32, v12
	v_lshrrev_b16_e32 v11, 3, v6
	v_subrev_u32_e32 v13, 28, v12
	v_and_b32_e32 v11, 15, v11
	v_lshlrev_b32_e32 v13, v13, v6
	v_sub_u32_e32 v12, 29, v12
	v_and_b32_e32 v13, 7, v13
	v_cmp_eq_u16_e32 vcc, 0, v11
	v_cndmask_b32_e32 v10, v10, v13, vcc
	v_cndmask_b32_e32 v11, v11, v12, vcc
	v_lshlrev_b32_e32 v12, 24, v6
	v_mov_b32_e32 v13, 0x3b800000
	v_lshlrev_b32_e32 v10, 20, v10
	v_and_b32_e32 v12, 0x80000000, v12
	v_lshl_add_u32 v11, v11, 23, v13
	v_or3_b32 v10, v12, v11, v10
.LBB4_1668:
	s_or_b64 exec, exec, s[6:7]
	s_movk_i32 s4, 0x7f
	v_cmp_gt_i16_sdwa s[6:7], v2, s4 src0_sel:BYTE_0 src1_sel:DWORD
	s_mov_b64 s[4:5], 0
                                        ; implicit-def: $sgpr10
	s_and_saveexec_b64 s[8:9], s[6:7]
	s_xor_b64 s[6:7], exec, s[8:9]
	s_cbranch_execnz .LBB4_3717
; %bb.1669:
	s_or_saveexec_b64 s[6:7], s[6:7]
	v_mov_b32_e32 v11, s10
	s_xor_b64 exec, exec, s[6:7]
	s_cbranch_execnz .LBB4_3720
.LBB4_1670:
	s_or_b64 exec, exec, s[6:7]
	s_and_saveexec_b64 s[6:7], s[4:5]
	s_cbranch_execz .LBB4_1672
.LBB4_1671:
	v_and_b32_e32 v11, 7, v2
	v_ffbh_u32_e32 v13, v11
	v_min_u32_e32 v13, 32, v13
	v_lshrrev_b16_e32 v12, 3, v2
	v_subrev_u32_e32 v14, 28, v13
	v_and_b32_e32 v12, 15, v12
	v_lshlrev_b32_e32 v14, v14, v2
	v_sub_u32_e32 v13, 29, v13
	v_and_b32_e32 v14, 7, v14
	v_cmp_eq_u16_e32 vcc, 0, v12
	v_cndmask_b32_e32 v11, v11, v14, vcc
	v_cndmask_b32_e32 v12, v12, v13, vcc
	v_lshlrev_b32_e32 v13, 24, v2
	v_mov_b32_e32 v14, 0x3b800000
	v_lshlrev_b32_e32 v11, 20, v11
	v_and_b32_e32 v13, 0x80000000, v13
	v_lshl_add_u32 v12, v12, 23, v14
	v_or3_b32 v11, v13, v12, v11
.LBB4_1672:
	s_or_b64 exec, exec, s[6:7]
	s_nop 0
	v_mfma_f32_16x16x4f32 a[0:3], v10, v11, a[0:3]
	v_lshrrev_b32_e32 v11, 8, v6
	s_movk_i32 s4, 0x7f
	v_cmp_gt_i16_sdwa s[6:7], v11, s4 src0_sel:BYTE_0 src1_sel:DWORD
	s_mov_b64 s[4:5], 0
                                        ; implicit-def: $sgpr10
	s_and_saveexec_b64 s[8:9], s[6:7]
	s_xor_b64 s[6:7], exec, s[8:9]
	s_cbranch_execnz .LBB4_3721
; %bb.1673:
	s_or_saveexec_b64 s[6:7], s[6:7]
	v_mov_b32_e32 v10, s10
	s_xor_b64 exec, exec, s[6:7]
	s_cbranch_execnz .LBB4_3724
.LBB4_1674:
	s_or_b64 exec, exec, s[6:7]
	s_and_saveexec_b64 s[6:7], s[4:5]
	s_cbranch_execz .LBB4_1676
.LBB4_1675:
	v_bfe_u32 v10, v6, 8, 3
	v_ffbh_u32_e32 v13, v10
	v_min_u32_e32 v13, 32, v13
	v_lshrrev_b16_e32 v12, 3, v11
	v_subrev_u32_e32 v14, 28, v13
	v_and_b32_e32 v12, 15, v12
	v_lshlrev_b32_e32 v11, v14, v11
	v_sub_u32_e32 v13, 29, v13
	v_and_b32_e32 v11, 7, v11
	v_cmp_eq_u16_e32 vcc, 0, v12
	v_cndmask_b32_e32 v10, v10, v11, vcc
	v_cndmask_b32_e32 v11, v12, v13, vcc
	v_lshlrev_b32_e32 v12, 16, v6
	v_mov_b32_e32 v13, 0x3b800000
	v_lshlrev_b32_e32 v10, 20, v10
	v_and_b32_e32 v12, 0x80000000, v12
	v_lshl_add_u32 v11, v11, 23, v13
	v_or3_b32 v10, v12, v11, v10
.LBB4_1676:
	s_or_b64 exec, exec, s[6:7]
	v_lshrrev_b32_e32 v11, 8, v2
	s_movk_i32 s4, 0x7f
	v_cmp_gt_i16_sdwa s[6:7], v11, s4 src0_sel:BYTE_0 src1_sel:DWORD
	s_mov_b64 s[4:5], 0
                                        ; implicit-def: $sgpr10
	s_and_saveexec_b64 s[8:9], s[6:7]
	s_xor_b64 s[6:7], exec, s[8:9]
	s_cbranch_execnz .LBB4_3725
; %bb.1677:
	s_or_saveexec_b64 s[6:7], s[6:7]
	v_mov_b32_e32 v12, s10
	s_xor_b64 exec, exec, s[6:7]
	s_cbranch_execnz .LBB4_3728
.LBB4_1678:
	s_or_b64 exec, exec, s[6:7]
	s_and_saveexec_b64 s[6:7], s[4:5]
	s_cbranch_execz .LBB4_1680
.LBB4_1679:
	v_bfe_u32 v12, v2, 8, 3
	v_ffbh_u32_e32 v14, v12
	v_min_u32_e32 v14, 32, v14
	v_lshrrev_b16_e32 v13, 3, v11
	v_subrev_u32_e32 v15, 28, v14
	v_and_b32_e32 v13, 15, v13
	v_lshlrev_b32_e32 v11, v15, v11
	v_sub_u32_e32 v14, 29, v14
	v_and_b32_e32 v11, 7, v11
	v_cmp_eq_u16_e32 vcc, 0, v13
	v_cndmask_b32_e32 v11, v12, v11, vcc
	v_cndmask_b32_e32 v12, v13, v14, vcc
	v_lshlrev_b32_e32 v13, 16, v2
	v_mov_b32_e32 v14, 0x3b800000
	v_lshlrev_b32_e32 v11, 20, v11
	v_and_b32_e32 v13, 0x80000000, v13
	v_lshl_add_u32 v12, v12, 23, v14
	v_or3_b32 v12, v13, v12, v11
.LBB4_1680:
	s_or_b64 exec, exec, s[6:7]
	s_nop 0
	v_mfma_f32_16x16x4f32 a[0:3], v10, v12, a[0:3]
	s_movk_i32 s4, 0xff
	v_and_b32_sdwa v11, v6, s4 dst_sel:DWORD dst_unused:UNUSED_PAD src0_sel:WORD_1 src1_sel:DWORD
	s_movk_i32 s4, 0x7f
	v_cmp_lt_i16_e32 vcc, s4, v11
	s_mov_b64 s[4:5], 0
                                        ; implicit-def: $sgpr10
	s_and_saveexec_b64 s[6:7], vcc
	s_xor_b64 s[6:7], exec, s[6:7]
	s_cbranch_execnz .LBB4_3729
; %bb.1681:
	s_or_saveexec_b64 s[6:7], s[6:7]
	v_mov_b32_e32 v10, s10
	s_xor_b64 exec, exec, s[6:7]
	s_cbranch_execnz .LBB4_3732
.LBB4_1682:
	s_or_b64 exec, exec, s[6:7]
	s_and_saveexec_b64 s[6:7], s[4:5]
	s_cbranch_execz .LBB4_1684
.LBB4_1683:
	v_bfe_u32 v10, v6, 16, 3
	v_ffbh_u32_e32 v13, v10
	v_min_u32_e32 v13, 32, v13
	v_lshrrev_b32_e32 v11, 19, v6
	v_subrev_u32_e32 v14, 28, v13
	v_and_b32_e32 v11, 15, v11
	v_lshlrev_b32_sdwa v14, v14, v6 dst_sel:DWORD dst_unused:UNUSED_PAD src0_sel:DWORD src1_sel:WORD_1
	v_bfe_u32 v12, v6, 19, 4
	v_sub_u32_e32 v13, 29, v13
	v_and_b32_e32 v14, 7, v14
	v_cmp_eq_u16_e32 vcc, 0, v11
	v_cndmask_b32_e32 v10, v10, v14, vcc
	v_cndmask_b32_e32 v11, v12, v13, vcc
	v_lshlrev_b32_e32 v12, 8, v6
	v_mov_b32_e32 v13, 0x3b800000
	v_lshlrev_b32_e32 v10, 20, v10
	v_and_b32_e32 v12, 0x80000000, v12
	v_lshl_add_u32 v11, v11, 23, v13
	v_or3_b32 v10, v12, v11, v10
.LBB4_1684:
	s_or_b64 exec, exec, s[6:7]
	s_movk_i32 s4, 0xff
	v_and_b32_sdwa v11, v2, s4 dst_sel:DWORD dst_unused:UNUSED_PAD src0_sel:WORD_1 src1_sel:DWORD
	s_movk_i32 s4, 0x7f
	v_cmp_lt_i16_e32 vcc, s4, v11
	s_mov_b64 s[4:5], 0
                                        ; implicit-def: $sgpr10
	s_and_saveexec_b64 s[6:7], vcc
	s_xor_b64 s[6:7], exec, s[6:7]
	s_cbranch_execnz .LBB4_3733
; %bb.1685:
	s_or_saveexec_b64 s[6:7], s[6:7]
	v_mov_b32_e32 v12, s10
	s_xor_b64 exec, exec, s[6:7]
	s_cbranch_execnz .LBB4_3736
.LBB4_1686:
	s_or_b64 exec, exec, s[6:7]
	s_and_saveexec_b64 s[6:7], s[4:5]
	s_cbranch_execz .LBB4_1688
.LBB4_1687:
	v_bfe_u32 v11, v2, 16, 3
	v_ffbh_u32_e32 v14, v11
	v_min_u32_e32 v14, 32, v14
	v_lshrrev_b32_e32 v12, 19, v2
	v_subrev_u32_e32 v15, 28, v14
	v_and_b32_e32 v12, 15, v12
	v_lshlrev_b32_sdwa v15, v15, v2 dst_sel:DWORD dst_unused:UNUSED_PAD src0_sel:DWORD src1_sel:WORD_1
	v_bfe_u32 v13, v2, 19, 4
	v_sub_u32_e32 v14, 29, v14
	v_and_b32_e32 v15, 7, v15
	v_cmp_eq_u16_e32 vcc, 0, v12
	v_cndmask_b32_e32 v11, v11, v15, vcc
	v_cndmask_b32_e32 v12, v13, v14, vcc
	v_lshlrev_b32_e32 v13, 8, v2
	v_mov_b32_e32 v14, 0x3b800000
	v_lshlrev_b32_e32 v11, 20, v11
	v_and_b32_e32 v13, 0x80000000, v13
	v_lshl_add_u32 v12, v12, 23, v14
	v_or3_b32 v12, v13, v12, v11
.LBB4_1688:
	s_or_b64 exec, exec, s[6:7]
	s_nop 0
	v_mfma_f32_16x16x4f32 a[0:3], v10, v12, a[0:3]
	s_movk_i32 s4, 0x7f
	v_cmp_gt_i16_sdwa s[6:7], v6, s4 src0_sel:BYTE_3 src1_sel:DWORD
	s_mov_b64 s[4:5], 0
                                        ; implicit-def: $sgpr10
	s_and_saveexec_b64 s[8:9], s[6:7]
	s_xor_b64 s[6:7], exec, s[8:9]
	s_cbranch_execnz .LBB4_3737
; %bb.1689:
	s_or_saveexec_b64 s[6:7], s[6:7]
	v_mov_b32_e32 v10, s10
	s_xor_b64 exec, exec, s[6:7]
	s_cbranch_execnz .LBB4_3740
.LBB4_1690:
	s_or_b64 exec, exec, s[6:7]
	s_and_saveexec_b64 s[6:7], s[4:5]
	s_cbranch_execz .LBB4_1692
.LBB4_1691:
	v_bfe_u32 v10, v6, 24, 3
	v_ffbh_u32_e32 v14, v10
	v_min_u32_e32 v14, 32, v14
	v_lshrrev_b32_e32 v12, 27, v6
	v_subrev_u32_e32 v15, 28, v14
	v_and_b32_e32 v11, 0x80000000, v6
	v_and_b32_e32 v12, 15, v12
	v_bfe_u32 v13, v6, 27, 4
	v_lshlrev_b32_sdwa v6, v15, v6 dst_sel:DWORD dst_unused:UNUSED_PAD src0_sel:DWORD src1_sel:BYTE_3
	v_sub_u32_e32 v14, 29, v14
	v_and_b32_e32 v6, 7, v6
	v_cmp_eq_u16_e32 vcc, 0, v12
	v_cndmask_b32_e32 v6, v10, v6, vcc
	v_cndmask_b32_e32 v10, v13, v14, vcc
	v_mov_b32_e32 v12, 0x3b800000
	v_lshlrev_b32_e32 v6, 20, v6
	v_lshl_add_u32 v10, v10, 23, v12
	v_or3_b32 v10, v11, v10, v6
.LBB4_1692:
	s_or_b64 exec, exec, s[6:7]
	s_movk_i32 s4, 0x7f
	v_cmp_gt_i16_sdwa s[6:7], v2, s4 src0_sel:BYTE_3 src1_sel:DWORD
	s_mov_b64 s[4:5], 0
                                        ; implicit-def: $sgpr10
	s_and_saveexec_b64 s[8:9], s[6:7]
	s_xor_b64 s[6:7], exec, s[8:9]
	s_cbranch_execnz .LBB4_3741
; %bb.1693:
	s_or_saveexec_b64 s[6:7], s[6:7]
	v_mov_b32_e32 v6, s10
	s_xor_b64 exec, exec, s[6:7]
	s_cbranch_execnz .LBB4_3744
.LBB4_1694:
	s_or_b64 exec, exec, s[6:7]
	s_and_saveexec_b64 s[6:7], s[4:5]
	s_cbranch_execz .LBB4_1696
.LBB4_1695:
	v_bfe_u32 v6, v2, 24, 3
	v_ffbh_u32_e32 v14, v6
	v_min_u32_e32 v14, 32, v14
	v_lshrrev_b32_e32 v12, 27, v2
	v_subrev_u32_e32 v15, 28, v14
	v_and_b32_e32 v11, 0x80000000, v2
	v_and_b32_e32 v12, 15, v12
	v_bfe_u32 v13, v2, 27, 4
	v_lshlrev_b32_sdwa v2, v15, v2 dst_sel:DWORD dst_unused:UNUSED_PAD src0_sel:DWORD src1_sel:BYTE_3
	v_sub_u32_e32 v14, 29, v14
	v_and_b32_e32 v2, 7, v2
	v_cmp_eq_u16_e32 vcc, 0, v12
	v_cndmask_b32_e32 v2, v6, v2, vcc
	v_cndmask_b32_e32 v6, v13, v14, vcc
	v_mov_b32_e32 v12, 0x3b800000
	v_lshlrev_b32_e32 v2, 20, v2
	v_lshl_add_u32 v6, v6, 23, v12
	v_or3_b32 v6, v11, v6, v2
.LBB4_1696:
	s_or_b64 exec, exec, s[6:7]
	s_nop 0
	v_mfma_f32_16x16x4f32 a[0:3], v10, v6, a[0:3]
	s_movk_i32 s4, 0x7f
	v_cmp_gt_i16_sdwa s[6:7], v7, s4 src0_sel:BYTE_0 src1_sel:DWORD
	s_mov_b64 s[4:5], 0
                                        ; implicit-def: $sgpr10
	s_and_saveexec_b64 s[8:9], s[6:7]
	s_xor_b64 s[6:7], exec, s[8:9]
	s_cbranch_execnz .LBB4_3745
; %bb.1697:
	s_or_saveexec_b64 s[6:7], s[6:7]
	v_mov_b32_e32 v2, s10
	s_xor_b64 exec, exec, s[6:7]
	s_cbranch_execnz .LBB4_3748
.LBB4_1698:
	s_or_b64 exec, exec, s[6:7]
	s_and_saveexec_b64 s[6:7], s[4:5]
	s_cbranch_execz .LBB4_1700
.LBB4_1699:
	v_and_b32_e32 v2, 7, v7
	v_ffbh_u32_e32 v10, v2
	v_min_u32_e32 v10, 32, v10
	v_lshrrev_b16_e32 v6, 3, v7
	v_subrev_u32_e32 v11, 28, v10
	v_and_b32_e32 v6, 15, v6
	v_lshlrev_b32_e32 v11, v11, v7
	v_sub_u32_e32 v10, 29, v10
	v_and_b32_e32 v11, 7, v11
	v_cmp_eq_u16_e32 vcc, 0, v6
	v_cndmask_b32_e32 v2, v2, v11, vcc
	v_cndmask_b32_e32 v6, v6, v10, vcc
	v_lshlrev_b32_e32 v10, 24, v7
	v_mov_b32_e32 v11, 0x3b800000
	v_lshlrev_b32_e32 v2, 20, v2
	v_and_b32_e32 v10, 0x80000000, v10
	v_lshl_add_u32 v6, v6, 23, v11
	v_or3_b32 v2, v10, v6, v2
.LBB4_1700:
	s_or_b64 exec, exec, s[6:7]
	s_movk_i32 s4, 0x7f
	v_cmp_gt_i16_sdwa s[6:7], v3, s4 src0_sel:BYTE_0 src1_sel:DWORD
	s_mov_b64 s[4:5], 0
                                        ; implicit-def: $sgpr10
	s_and_saveexec_b64 s[8:9], s[6:7]
	s_xor_b64 s[6:7], exec, s[8:9]
	s_cbranch_execnz .LBB4_3749
; %bb.1701:
	s_or_saveexec_b64 s[6:7], s[6:7]
	v_mov_b32_e32 v6, s10
	s_xor_b64 exec, exec, s[6:7]
	s_cbranch_execnz .LBB4_3752
.LBB4_1702:
	s_or_b64 exec, exec, s[6:7]
	s_and_saveexec_b64 s[6:7], s[4:5]
	s_cbranch_execz .LBB4_1704
.LBB4_1703:
	v_and_b32_e32 v6, 7, v3
	v_ffbh_u32_e32 v11, v6
	v_min_u32_e32 v11, 32, v11
	v_lshrrev_b16_e32 v10, 3, v3
	v_subrev_u32_e32 v12, 28, v11
	v_and_b32_e32 v10, 15, v10
	v_lshlrev_b32_e32 v12, v12, v3
	v_sub_u32_e32 v11, 29, v11
	v_and_b32_e32 v12, 7, v12
	v_cmp_eq_u16_e32 vcc, 0, v10
	v_cndmask_b32_e32 v6, v6, v12, vcc
	v_cndmask_b32_e32 v10, v10, v11, vcc
	v_lshlrev_b32_e32 v11, 24, v3
	v_mov_b32_e32 v12, 0x3b800000
	v_lshlrev_b32_e32 v6, 20, v6
	v_and_b32_e32 v11, 0x80000000, v11
	v_lshl_add_u32 v10, v10, 23, v12
	v_or3_b32 v6, v11, v10, v6
.LBB4_1704:
	s_or_b64 exec, exec, s[6:7]
	s_nop 0
	v_mfma_f32_16x16x4f32 a[0:3], v2, v6, a[0:3]
	v_lshrrev_b32_e32 v6, 8, v7
	s_movk_i32 s4, 0x7f
	v_cmp_gt_i16_sdwa s[6:7], v6, s4 src0_sel:BYTE_0 src1_sel:DWORD
	s_mov_b64 s[4:5], 0
                                        ; implicit-def: $sgpr10
	s_and_saveexec_b64 s[8:9], s[6:7]
	s_xor_b64 s[6:7], exec, s[8:9]
	s_cbranch_execnz .LBB4_3753
; %bb.1705:
	s_or_saveexec_b64 s[6:7], s[6:7]
	v_mov_b32_e32 v2, s10
	s_xor_b64 exec, exec, s[6:7]
	s_cbranch_execnz .LBB4_3756
.LBB4_1706:
	s_or_b64 exec, exec, s[6:7]
	s_and_saveexec_b64 s[6:7], s[4:5]
	s_cbranch_execz .LBB4_1708
.LBB4_1707:
	v_bfe_u32 v2, v7, 8, 3
	v_ffbh_u32_e32 v11, v2
	v_min_u32_e32 v11, 32, v11
	v_lshrrev_b16_e32 v10, 3, v6
	v_subrev_u32_e32 v12, 28, v11
	v_and_b32_e32 v10, 15, v10
	v_lshlrev_b32_e32 v6, v12, v6
	v_sub_u32_e32 v11, 29, v11
	v_and_b32_e32 v6, 7, v6
	v_cmp_eq_u16_e32 vcc, 0, v10
	v_cndmask_b32_e32 v2, v2, v6, vcc
	v_cndmask_b32_e32 v6, v10, v11, vcc
	v_lshlrev_b32_e32 v10, 16, v7
	v_mov_b32_e32 v11, 0x3b800000
	v_lshlrev_b32_e32 v2, 20, v2
	v_and_b32_e32 v10, 0x80000000, v10
	v_lshl_add_u32 v6, v6, 23, v11
	v_or3_b32 v2, v10, v6, v2
.LBB4_1708:
	s_or_b64 exec, exec, s[6:7]
	v_lshrrev_b32_e32 v6, 8, v3
	s_movk_i32 s4, 0x7f
	v_cmp_gt_i16_sdwa s[6:7], v6, s4 src0_sel:BYTE_0 src1_sel:DWORD
	s_mov_b64 s[4:5], 0
                                        ; implicit-def: $sgpr10
	s_and_saveexec_b64 s[8:9], s[6:7]
	s_xor_b64 s[6:7], exec, s[8:9]
	s_cbranch_execnz .LBB4_3757
; %bb.1709:
	s_or_saveexec_b64 s[6:7], s[6:7]
	v_mov_b32_e32 v10, s10
	s_xor_b64 exec, exec, s[6:7]
	s_cbranch_execnz .LBB4_3760
.LBB4_1710:
	s_or_b64 exec, exec, s[6:7]
	s_and_saveexec_b64 s[6:7], s[4:5]
	s_cbranch_execz .LBB4_1712
.LBB4_1711:
	v_bfe_u32 v10, v3, 8, 3
	v_ffbh_u32_e32 v12, v10
	v_min_u32_e32 v12, 32, v12
	v_lshrrev_b16_e32 v11, 3, v6
	v_subrev_u32_e32 v13, 28, v12
	v_and_b32_e32 v11, 15, v11
	v_lshlrev_b32_e32 v6, v13, v6
	v_sub_u32_e32 v12, 29, v12
	v_and_b32_e32 v6, 7, v6
	v_cmp_eq_u16_e32 vcc, 0, v11
	v_cndmask_b32_e32 v6, v10, v6, vcc
	v_cndmask_b32_e32 v10, v11, v12, vcc
	v_lshlrev_b32_e32 v11, 16, v3
	v_mov_b32_e32 v12, 0x3b800000
	v_lshlrev_b32_e32 v6, 20, v6
	v_and_b32_e32 v11, 0x80000000, v11
	v_lshl_add_u32 v10, v10, 23, v12
	v_or3_b32 v10, v11, v10, v6
.LBB4_1712:
	s_or_b64 exec, exec, s[6:7]
	s_nop 0
	v_mfma_f32_16x16x4f32 a[0:3], v2, v10, a[0:3]
	s_movk_i32 s4, 0xff
	v_and_b32_sdwa v6, v7, s4 dst_sel:DWORD dst_unused:UNUSED_PAD src0_sel:WORD_1 src1_sel:DWORD
	s_movk_i32 s4, 0x7f
	v_cmp_lt_i16_e32 vcc, s4, v6
	s_mov_b64 s[4:5], 0
                                        ; implicit-def: $sgpr10
	s_and_saveexec_b64 s[6:7], vcc
	s_xor_b64 s[6:7], exec, s[6:7]
	s_cbranch_execnz .LBB4_3761
; %bb.1713:
	s_or_saveexec_b64 s[6:7], s[6:7]
	v_mov_b32_e32 v2, s10
	s_xor_b64 exec, exec, s[6:7]
	s_cbranch_execnz .LBB4_3764
.LBB4_1714:
	s_or_b64 exec, exec, s[6:7]
	s_and_saveexec_b64 s[6:7], s[4:5]
	s_cbranch_execz .LBB4_1716
.LBB4_1715:
	v_bfe_u32 v2, v7, 16, 3
	v_ffbh_u32_e32 v11, v2
	v_min_u32_e32 v11, 32, v11
	v_lshrrev_b32_e32 v6, 19, v7
	v_subrev_u32_e32 v12, 28, v11
	v_and_b32_e32 v6, 15, v6
	v_lshlrev_b32_sdwa v12, v12, v7 dst_sel:DWORD dst_unused:UNUSED_PAD src0_sel:DWORD src1_sel:WORD_1
	v_bfe_u32 v10, v7, 19, 4
	v_sub_u32_e32 v11, 29, v11
	v_and_b32_e32 v12, 7, v12
	v_cmp_eq_u16_e32 vcc, 0, v6
	v_cndmask_b32_e32 v2, v2, v12, vcc
	v_cndmask_b32_e32 v6, v10, v11, vcc
	v_lshlrev_b32_e32 v10, 8, v7
	v_mov_b32_e32 v11, 0x3b800000
	v_lshlrev_b32_e32 v2, 20, v2
	v_and_b32_e32 v10, 0x80000000, v10
	v_lshl_add_u32 v6, v6, 23, v11
	v_or3_b32 v2, v10, v6, v2
.LBB4_1716:
	s_or_b64 exec, exec, s[6:7]
	s_movk_i32 s4, 0xff
	v_and_b32_sdwa v6, v3, s4 dst_sel:DWORD dst_unused:UNUSED_PAD src0_sel:WORD_1 src1_sel:DWORD
	s_movk_i32 s4, 0x7f
	v_cmp_lt_i16_e32 vcc, s4, v6
	s_mov_b64 s[4:5], 0
                                        ; implicit-def: $sgpr10
	s_and_saveexec_b64 s[6:7], vcc
	s_xor_b64 s[6:7], exec, s[6:7]
	s_cbranch_execnz .LBB4_3765
; %bb.1717:
	s_or_saveexec_b64 s[6:7], s[6:7]
	v_mov_b32_e32 v10, s10
	s_xor_b64 exec, exec, s[6:7]
	s_cbranch_execnz .LBB4_3768
.LBB4_1718:
	s_or_b64 exec, exec, s[6:7]
	s_and_saveexec_b64 s[6:7], s[4:5]
	s_cbranch_execz .LBB4_1720
.LBB4_1719:
	v_bfe_u32 v6, v3, 16, 3
	v_ffbh_u32_e32 v12, v6
	v_min_u32_e32 v12, 32, v12
	v_lshrrev_b32_e32 v10, 19, v3
	v_subrev_u32_e32 v13, 28, v12
	v_and_b32_e32 v10, 15, v10
	v_lshlrev_b32_sdwa v13, v13, v3 dst_sel:DWORD dst_unused:UNUSED_PAD src0_sel:DWORD src1_sel:WORD_1
	v_bfe_u32 v11, v3, 19, 4
	v_sub_u32_e32 v12, 29, v12
	v_and_b32_e32 v13, 7, v13
	v_cmp_eq_u16_e32 vcc, 0, v10
	v_cndmask_b32_e32 v6, v6, v13, vcc
	v_cndmask_b32_e32 v10, v11, v12, vcc
	v_lshlrev_b32_e32 v11, 8, v3
	v_mov_b32_e32 v12, 0x3b800000
	v_lshlrev_b32_e32 v6, 20, v6
	v_and_b32_e32 v11, 0x80000000, v11
	v_lshl_add_u32 v10, v10, 23, v12
	v_or3_b32 v10, v11, v10, v6
.LBB4_1720:
	s_or_b64 exec, exec, s[6:7]
	s_nop 0
	v_mfma_f32_16x16x4f32 a[0:3], v2, v10, a[0:3]
	s_movk_i32 s4, 0x7f
	v_cmp_gt_i16_sdwa s[6:7], v7, s4 src0_sel:BYTE_3 src1_sel:DWORD
	s_mov_b64 s[4:5], 0
                                        ; implicit-def: $sgpr10
	s_and_saveexec_b64 s[8:9], s[6:7]
	s_xor_b64 s[6:7], exec, s[8:9]
	s_cbranch_execnz .LBB4_3769
; %bb.1721:
	s_or_saveexec_b64 s[6:7], s[6:7]
	v_mov_b32_e32 v2, s10
	s_xor_b64 exec, exec, s[6:7]
	s_cbranch_execnz .LBB4_3772
.LBB4_1722:
	s_or_b64 exec, exec, s[6:7]
	s_and_saveexec_b64 s[6:7], s[4:5]
	s_cbranch_execz .LBB4_1724
.LBB4_1723:
	v_bfe_u32 v2, v7, 24, 3
	v_ffbh_u32_e32 v12, v2
	v_min_u32_e32 v12, 32, v12
	v_lshrrev_b32_e32 v10, 27, v7
	v_subrev_u32_e32 v13, 28, v12
	v_and_b32_e32 v6, 0x80000000, v7
	v_and_b32_e32 v10, 15, v10
	v_bfe_u32 v11, v7, 27, 4
	v_lshlrev_b32_sdwa v7, v13, v7 dst_sel:DWORD dst_unused:UNUSED_PAD src0_sel:DWORD src1_sel:BYTE_3
	v_sub_u32_e32 v12, 29, v12
	v_and_b32_e32 v7, 7, v7
	v_cmp_eq_u16_e32 vcc, 0, v10
	v_cndmask_b32_e32 v2, v2, v7, vcc
	v_cndmask_b32_e32 v7, v11, v12, vcc
	v_mov_b32_e32 v10, 0x3b800000
	v_lshlrev_b32_e32 v2, 20, v2
	v_lshl_add_u32 v7, v7, 23, v10
	v_or3_b32 v2, v6, v7, v2
.LBB4_1724:
	s_or_b64 exec, exec, s[6:7]
	s_movk_i32 s4, 0x7f
	v_cmp_gt_i16_sdwa s[6:7], v3, s4 src0_sel:BYTE_3 src1_sel:DWORD
	s_mov_b64 s[4:5], 0
                                        ; implicit-def: $sgpr10
	s_and_saveexec_b64 s[8:9], s[6:7]
	s_xor_b64 s[6:7], exec, s[8:9]
	s_cbranch_execnz .LBB4_3773
; %bb.1725:
	s_or_saveexec_b64 s[6:7], s[6:7]
	v_mov_b32_e32 v6, s10
	s_xor_b64 exec, exec, s[6:7]
	s_cbranch_execnz .LBB4_3776
.LBB4_1726:
	s_or_b64 exec, exec, s[6:7]
	s_and_saveexec_b64 s[6:7], s[4:5]
	s_cbranch_execz .LBB4_1728
.LBB4_1727:
	v_bfe_u32 v6, v3, 24, 3
	v_ffbh_u32_e32 v12, v6
	v_min_u32_e32 v12, 32, v12
	v_lshrrev_b32_e32 v10, 27, v3
	v_subrev_u32_e32 v13, 28, v12
	v_and_b32_e32 v7, 0x80000000, v3
	v_and_b32_e32 v10, 15, v10
	v_bfe_u32 v11, v3, 27, 4
	v_lshlrev_b32_sdwa v3, v13, v3 dst_sel:DWORD dst_unused:UNUSED_PAD src0_sel:DWORD src1_sel:BYTE_3
	v_sub_u32_e32 v12, 29, v12
	v_and_b32_e32 v3, 7, v3
	v_cmp_eq_u16_e32 vcc, 0, v10
	v_cndmask_b32_e32 v3, v6, v3, vcc
	v_cndmask_b32_e32 v6, v11, v12, vcc
	v_mov_b32_e32 v10, 0x3b800000
	v_lshlrev_b32_e32 v3, 20, v3
	v_lshl_add_u32 v6, v6, 23, v10
	v_or3_b32 v6, v7, v6, v3
.LBB4_1728:
	s_or_b64 exec, exec, s[6:7]
	s_nop 0
	v_mfma_f32_16x16x4f32 a[0:3], v2, v6, a[0:3]
	s_movk_i32 s4, 0x7f
	v_cmp_gt_i16_sdwa s[6:7], v8, s4 src0_sel:BYTE_0 src1_sel:DWORD
	s_mov_b64 s[4:5], 0
                                        ; implicit-def: $sgpr10
	s_and_saveexec_b64 s[8:9], s[6:7]
	s_xor_b64 s[6:7], exec, s[8:9]
	s_cbranch_execnz .LBB4_3777
; %bb.1729:
	s_or_saveexec_b64 s[6:7], s[6:7]
	v_mov_b32_e32 v2, s10
	s_xor_b64 exec, exec, s[6:7]
	s_cbranch_execnz .LBB4_3780
.LBB4_1730:
	s_or_b64 exec, exec, s[6:7]
	s_and_saveexec_b64 s[6:7], s[4:5]
	s_cbranch_execz .LBB4_1732
.LBB4_1731:
	v_and_b32_e32 v2, 7, v8
	v_ffbh_u32_e32 v6, v2
	v_min_u32_e32 v6, 32, v6
	v_lshrrev_b16_e32 v3, 3, v8
	v_subrev_u32_e32 v7, 28, v6
	v_and_b32_e32 v3, 15, v3
	v_lshlrev_b32_e32 v7, v7, v8
	v_sub_u32_e32 v6, 29, v6
	v_and_b32_e32 v7, 7, v7
	v_cmp_eq_u16_e32 vcc, 0, v3
	v_cndmask_b32_e32 v2, v2, v7, vcc
	v_cndmask_b32_e32 v3, v3, v6, vcc
	v_lshlrev_b32_e32 v6, 24, v8
	v_mov_b32_e32 v7, 0x3b800000
	v_lshlrev_b32_e32 v2, 20, v2
	v_and_b32_e32 v6, 0x80000000, v6
	v_lshl_add_u32 v3, v3, 23, v7
	v_or3_b32 v2, v6, v3, v2
.LBB4_1732:
	s_or_b64 exec, exec, s[6:7]
	s_movk_i32 s4, 0x7f
	v_cmp_gt_i16_sdwa s[6:7], v4, s4 src0_sel:BYTE_0 src1_sel:DWORD
	s_mov_b64 s[4:5], 0
                                        ; implicit-def: $sgpr10
	s_and_saveexec_b64 s[8:9], s[6:7]
	s_xor_b64 s[6:7], exec, s[8:9]
	s_cbranch_execnz .LBB4_3781
; %bb.1733:
	s_or_saveexec_b64 s[6:7], s[6:7]
	v_mov_b32_e32 v3, s10
	s_xor_b64 exec, exec, s[6:7]
	s_cbranch_execnz .LBB4_3784
.LBB4_1734:
	s_or_b64 exec, exec, s[6:7]
	s_and_saveexec_b64 s[6:7], s[4:5]
	s_cbranch_execz .LBB4_1736
.LBB4_1735:
	v_and_b32_e32 v3, 7, v4
	v_ffbh_u32_e32 v7, v3
	v_min_u32_e32 v7, 32, v7
	v_lshrrev_b16_e32 v6, 3, v4
	v_subrev_u32_e32 v10, 28, v7
	v_and_b32_e32 v6, 15, v6
	v_lshlrev_b32_e32 v10, v10, v4
	v_sub_u32_e32 v7, 29, v7
	v_and_b32_e32 v10, 7, v10
	v_cmp_eq_u16_e32 vcc, 0, v6
	v_cndmask_b32_e32 v3, v3, v10, vcc
	v_cndmask_b32_e32 v6, v6, v7, vcc
	v_lshlrev_b32_e32 v7, 24, v4
	v_mov_b32_e32 v10, 0x3b800000
	v_lshlrev_b32_e32 v3, 20, v3
	v_and_b32_e32 v7, 0x80000000, v7
	v_lshl_add_u32 v6, v6, 23, v10
	v_or3_b32 v3, v7, v6, v3
.LBB4_1736:
	s_or_b64 exec, exec, s[6:7]
	s_nop 0
	v_mfma_f32_16x16x4f32 a[0:3], v2, v3, a[0:3]
	v_lshrrev_b32_e32 v3, 8, v8
	s_movk_i32 s4, 0x7f
	v_cmp_gt_i16_sdwa s[6:7], v3, s4 src0_sel:BYTE_0 src1_sel:DWORD
	s_mov_b64 s[4:5], 0
                                        ; implicit-def: $sgpr10
	s_and_saveexec_b64 s[8:9], s[6:7]
	s_xor_b64 s[6:7], exec, s[8:9]
	s_cbranch_execnz .LBB4_3785
; %bb.1737:
	s_or_saveexec_b64 s[6:7], s[6:7]
	v_mov_b32_e32 v2, s10
	s_xor_b64 exec, exec, s[6:7]
	s_cbranch_execnz .LBB4_3788
.LBB4_1738:
	s_or_b64 exec, exec, s[6:7]
	s_and_saveexec_b64 s[6:7], s[4:5]
	s_cbranch_execz .LBB4_1740
.LBB4_1739:
	v_bfe_u32 v2, v8, 8, 3
	v_ffbh_u32_e32 v7, v2
	v_min_u32_e32 v7, 32, v7
	v_lshrrev_b16_e32 v6, 3, v3
	v_subrev_u32_e32 v10, 28, v7
	v_and_b32_e32 v6, 15, v6
	v_lshlrev_b32_e32 v3, v10, v3
	v_sub_u32_e32 v7, 29, v7
	v_and_b32_e32 v3, 7, v3
	v_cmp_eq_u16_e32 vcc, 0, v6
	v_cndmask_b32_e32 v2, v2, v3, vcc
	v_cndmask_b32_e32 v3, v6, v7, vcc
	v_lshlrev_b32_e32 v6, 16, v8
	v_mov_b32_e32 v7, 0x3b800000
	v_lshlrev_b32_e32 v2, 20, v2
	v_and_b32_e32 v6, 0x80000000, v6
	v_lshl_add_u32 v3, v3, 23, v7
	v_or3_b32 v2, v6, v3, v2
.LBB4_1740:
	s_or_b64 exec, exec, s[6:7]
	v_lshrrev_b32_e32 v3, 8, v4
	s_movk_i32 s4, 0x7f
	v_cmp_gt_i16_sdwa s[6:7], v3, s4 src0_sel:BYTE_0 src1_sel:DWORD
	s_mov_b64 s[4:5], 0
                                        ; implicit-def: $sgpr10
	s_and_saveexec_b64 s[8:9], s[6:7]
	s_xor_b64 s[6:7], exec, s[8:9]
	s_cbranch_execnz .LBB4_3789
; %bb.1741:
	s_or_saveexec_b64 s[6:7], s[6:7]
	v_mov_b32_e32 v6, s10
	s_xor_b64 exec, exec, s[6:7]
	s_cbranch_execnz .LBB4_3792
.LBB4_1742:
	s_or_b64 exec, exec, s[6:7]
	s_and_saveexec_b64 s[6:7], s[4:5]
	s_cbranch_execz .LBB4_1744
.LBB4_1743:
	v_bfe_u32 v6, v4, 8, 3
	v_ffbh_u32_e32 v10, v6
	v_min_u32_e32 v10, 32, v10
	v_lshrrev_b16_e32 v7, 3, v3
	v_subrev_u32_e32 v11, 28, v10
	v_and_b32_e32 v7, 15, v7
	v_lshlrev_b32_e32 v3, v11, v3
	v_sub_u32_e32 v10, 29, v10
	v_and_b32_e32 v3, 7, v3
	v_cmp_eq_u16_e32 vcc, 0, v7
	v_cndmask_b32_e32 v3, v6, v3, vcc
	v_cndmask_b32_e32 v6, v7, v10, vcc
	v_lshlrev_b32_e32 v7, 16, v4
	v_mov_b32_e32 v10, 0x3b800000
	v_lshlrev_b32_e32 v3, 20, v3
	v_and_b32_e32 v7, 0x80000000, v7
	v_lshl_add_u32 v6, v6, 23, v10
	v_or3_b32 v6, v7, v6, v3
.LBB4_1744:
	s_or_b64 exec, exec, s[6:7]
	s_nop 0
	v_mfma_f32_16x16x4f32 a[0:3], v2, v6, a[0:3]
	s_movk_i32 s4, 0xff
	v_and_b32_sdwa v3, v8, s4 dst_sel:DWORD dst_unused:UNUSED_PAD src0_sel:WORD_1 src1_sel:DWORD
	s_movk_i32 s4, 0x7f
	v_cmp_lt_i16_e32 vcc, s4, v3
	s_mov_b64 s[4:5], 0
                                        ; implicit-def: $sgpr10
	s_and_saveexec_b64 s[6:7], vcc
	s_xor_b64 s[6:7], exec, s[6:7]
	s_cbranch_execnz .LBB4_3793
; %bb.1745:
	s_or_saveexec_b64 s[6:7], s[6:7]
	v_mov_b32_e32 v2, s10
	s_xor_b64 exec, exec, s[6:7]
	s_cbranch_execnz .LBB4_3796
.LBB4_1746:
	s_or_b64 exec, exec, s[6:7]
	s_and_saveexec_b64 s[6:7], s[4:5]
	s_cbranch_execz .LBB4_1748
.LBB4_1747:
	v_bfe_u32 v2, v8, 16, 3
	v_ffbh_u32_e32 v7, v2
	v_min_u32_e32 v7, 32, v7
	v_lshrrev_b32_e32 v3, 19, v8
	v_subrev_u32_e32 v10, 28, v7
	v_and_b32_e32 v3, 15, v3
	v_lshlrev_b32_sdwa v10, v10, v8 dst_sel:DWORD dst_unused:UNUSED_PAD src0_sel:DWORD src1_sel:WORD_1
	v_bfe_u32 v6, v8, 19, 4
	v_sub_u32_e32 v7, 29, v7
	v_and_b32_e32 v10, 7, v10
	v_cmp_eq_u16_e32 vcc, 0, v3
	v_cndmask_b32_e32 v2, v2, v10, vcc
	v_cndmask_b32_e32 v3, v6, v7, vcc
	v_lshlrev_b32_e32 v6, 8, v8
	v_mov_b32_e32 v7, 0x3b800000
	v_lshlrev_b32_e32 v2, 20, v2
	v_and_b32_e32 v6, 0x80000000, v6
	v_lshl_add_u32 v3, v3, 23, v7
	v_or3_b32 v2, v6, v3, v2
.LBB4_1748:
	s_or_b64 exec, exec, s[6:7]
	s_movk_i32 s4, 0xff
	v_and_b32_sdwa v3, v4, s4 dst_sel:DWORD dst_unused:UNUSED_PAD src0_sel:WORD_1 src1_sel:DWORD
	s_movk_i32 s4, 0x7f
	v_cmp_lt_i16_e32 vcc, s4, v3
	s_mov_b64 s[4:5], 0
                                        ; implicit-def: $sgpr10
	s_and_saveexec_b64 s[6:7], vcc
	s_xor_b64 s[6:7], exec, s[6:7]
	s_cbranch_execnz .LBB4_3797
; %bb.1749:
	s_or_saveexec_b64 s[6:7], s[6:7]
	v_mov_b32_e32 v6, s10
	s_xor_b64 exec, exec, s[6:7]
	s_cbranch_execnz .LBB4_3800
.LBB4_1750:
	s_or_b64 exec, exec, s[6:7]
	s_and_saveexec_b64 s[6:7], s[4:5]
	s_cbranch_execz .LBB4_1752
.LBB4_1751:
	v_bfe_u32 v3, v4, 16, 3
	v_ffbh_u32_e32 v10, v3
	v_min_u32_e32 v10, 32, v10
	v_lshrrev_b32_e32 v6, 19, v4
	v_subrev_u32_e32 v11, 28, v10
	v_and_b32_e32 v6, 15, v6
	v_lshlrev_b32_sdwa v11, v11, v4 dst_sel:DWORD dst_unused:UNUSED_PAD src0_sel:DWORD src1_sel:WORD_1
	v_bfe_u32 v7, v4, 19, 4
	v_sub_u32_e32 v10, 29, v10
	v_and_b32_e32 v11, 7, v11
	v_cmp_eq_u16_e32 vcc, 0, v6
	v_cndmask_b32_e32 v3, v3, v11, vcc
	v_cndmask_b32_e32 v6, v7, v10, vcc
	v_lshlrev_b32_e32 v7, 8, v4
	v_mov_b32_e32 v10, 0x3b800000
	v_lshlrev_b32_e32 v3, 20, v3
	v_and_b32_e32 v7, 0x80000000, v7
	v_lshl_add_u32 v6, v6, 23, v10
	v_or3_b32 v6, v7, v6, v3
.LBB4_1752:
	s_or_b64 exec, exec, s[6:7]
	s_nop 0
	v_mfma_f32_16x16x4f32 a[0:3], v2, v6, a[0:3]
	s_movk_i32 s4, 0x7f
	v_cmp_gt_i16_sdwa s[6:7], v8, s4 src0_sel:BYTE_3 src1_sel:DWORD
	s_mov_b64 s[4:5], 0
                                        ; implicit-def: $sgpr10
	s_and_saveexec_b64 s[8:9], s[6:7]
	s_xor_b64 s[6:7], exec, s[8:9]
	s_cbranch_execnz .LBB4_3801
; %bb.1753:
	s_or_saveexec_b64 s[6:7], s[6:7]
	v_mov_b32_e32 v2, s10
	s_xor_b64 exec, exec, s[6:7]
	s_cbranch_execnz .LBB4_3804
.LBB4_1754:
	s_or_b64 exec, exec, s[6:7]
	s_and_saveexec_b64 s[6:7], s[4:5]
	s_cbranch_execz .LBB4_1756
.LBB4_1755:
	v_bfe_u32 v2, v8, 24, 3
	v_ffbh_u32_e32 v10, v2
	v_min_u32_e32 v10, 32, v10
	v_lshrrev_b32_e32 v6, 27, v8
	v_subrev_u32_e32 v11, 28, v10
	v_and_b32_e32 v3, 0x80000000, v8
	v_and_b32_e32 v6, 15, v6
	v_bfe_u32 v7, v8, 27, 4
	v_lshlrev_b32_sdwa v8, v11, v8 dst_sel:DWORD dst_unused:UNUSED_PAD src0_sel:DWORD src1_sel:BYTE_3
	v_sub_u32_e32 v10, 29, v10
	v_and_b32_e32 v8, 7, v8
	v_cmp_eq_u16_e32 vcc, 0, v6
	v_cndmask_b32_e32 v2, v2, v8, vcc
	v_cndmask_b32_e32 v6, v7, v10, vcc
	v_mov_b32_e32 v7, 0x3b800000
	v_lshlrev_b32_e32 v2, 20, v2
	v_lshl_add_u32 v6, v6, 23, v7
	v_or3_b32 v2, v3, v6, v2
.LBB4_1756:
	s_or_b64 exec, exec, s[6:7]
	s_movk_i32 s4, 0x7f
	v_cmp_gt_i16_sdwa s[6:7], v4, s4 src0_sel:BYTE_3 src1_sel:DWORD
	s_mov_b64 s[4:5], 0
                                        ; implicit-def: $sgpr10
	s_and_saveexec_b64 s[8:9], s[6:7]
	s_xor_b64 s[6:7], exec, s[8:9]
	s_cbranch_execnz .LBB4_3805
; %bb.1757:
	s_or_saveexec_b64 s[6:7], s[6:7]
	v_mov_b32_e32 v3, s10
	s_xor_b64 exec, exec, s[6:7]
	s_cbranch_execnz .LBB4_3808
.LBB4_1758:
	s_or_b64 exec, exec, s[6:7]
	s_and_saveexec_b64 s[6:7], s[4:5]
	s_cbranch_execz .LBB4_1760
.LBB4_1759:
	v_bfe_u32 v3, v4, 24, 3
	v_ffbh_u32_e32 v10, v3
	v_min_u32_e32 v10, 32, v10
	v_lshrrev_b32_e32 v7, 27, v4
	v_subrev_u32_e32 v11, 28, v10
	v_and_b32_e32 v6, 0x80000000, v4
	v_and_b32_e32 v7, 15, v7
	v_bfe_u32 v8, v4, 27, 4
	v_lshlrev_b32_sdwa v4, v11, v4 dst_sel:DWORD dst_unused:UNUSED_PAD src0_sel:DWORD src1_sel:BYTE_3
	v_sub_u32_e32 v10, 29, v10
	v_and_b32_e32 v4, 7, v4
	v_cmp_eq_u16_e32 vcc, 0, v7
	v_cndmask_b32_e32 v3, v3, v4, vcc
	v_cndmask_b32_e32 v4, v8, v10, vcc
	v_mov_b32_e32 v7, 0x3b800000
	v_lshlrev_b32_e32 v3, 20, v3
	v_lshl_add_u32 v4, v4, 23, v7
	v_or3_b32 v3, v6, v4, v3
.LBB4_1760:
	s_or_b64 exec, exec, s[6:7]
	s_nop 0
	v_mfma_f32_16x16x4f32 a[0:3], v2, v3, a[0:3]
	s_movk_i32 s4, 0x7f
	v_cmp_gt_i16_sdwa s[6:7], v9, s4 src0_sel:BYTE_0 src1_sel:DWORD
	s_mov_b64 s[4:5], 0
                                        ; implicit-def: $sgpr10
	s_and_saveexec_b64 s[8:9], s[6:7]
	s_xor_b64 s[6:7], exec, s[8:9]
	s_cbranch_execnz .LBB4_3809
; %bb.1761:
	s_or_saveexec_b64 s[6:7], s[6:7]
	v_mov_b32_e32 v2, s10
	s_xor_b64 exec, exec, s[6:7]
	s_cbranch_execnz .LBB4_3812
.LBB4_1762:
	s_or_b64 exec, exec, s[6:7]
	s_and_saveexec_b64 s[6:7], s[4:5]
	s_cbranch_execz .LBB4_1764
.LBB4_1763:
	v_mov_b32_e32 v2, 8
	v_and_b32_e32 v3, 7, v9
	v_lshrrev_b32_sdwa v2, v2, v9 dst_sel:BYTE_1 dst_unused:UNUSED_PAD src0_sel:DWORD src1_sel:DWORD
	v_ffbh_u32_e32 v4, v3
	v_or_b32_sdwa v2, v9, v2 dst_sel:DWORD dst_unused:UNUSED_PAD src0_sel:BYTE_0 src1_sel:DWORD
	v_min_u32_e32 v4, 32, v4
	v_lshrrev_b16_e32 v2, 3, v2
	v_subrev_u32_e32 v6, 28, v4
	v_and_b32_e32 v2, 15, v2
	v_lshlrev_b32_e32 v6, v6, v9
	v_sub_u32_e32 v4, 29, v4
	v_and_b32_e32 v6, 7, v6
	v_cmp_eq_u16_e32 vcc, 0, v2
	v_cndmask_b32_e32 v3, v3, v6, vcc
	v_cndmask_b32_e32 v2, v2, v4, vcc
	v_lshlrev_b32_e32 v4, 24, v9
	v_mov_b32_e32 v6, 0x3b800000
	v_lshlrev_b32_e32 v3, 20, v3
	v_and_b32_e32 v4, 0x80000000, v4
	v_lshl_add_u32 v2, v2, 23, v6
	v_or3_b32 v2, v4, v2, v3
.LBB4_1764:
	s_or_b64 exec, exec, s[6:7]
	s_movk_i32 s4, 0x7f
	v_cmp_gt_i16_sdwa s[6:7], v5, s4 src0_sel:BYTE_0 src1_sel:DWORD
	s_mov_b64 s[4:5], 0
                                        ; implicit-def: $sgpr10
	s_and_saveexec_b64 s[8:9], s[6:7]
	s_xor_b64 s[6:7], exec, s[8:9]
	s_cbranch_execnz .LBB4_3813
; %bb.1765:
	s_or_saveexec_b64 s[6:7], s[6:7]
	v_mov_b32_e32 v3, s10
	s_xor_b64 exec, exec, s[6:7]
	s_cbranch_execnz .LBB4_3816
.LBB4_1766:
	s_or_b64 exec, exec, s[6:7]
	s_and_saveexec_b64 s[6:7], s[4:5]
	s_cbranch_execz .LBB4_1768
.LBB4_1767:
	v_mov_b32_e32 v3, 8
	v_and_b32_e32 v4, 7, v5
	v_lshrrev_b32_sdwa v3, v3, v5 dst_sel:BYTE_1 dst_unused:UNUSED_PAD src0_sel:DWORD src1_sel:DWORD
	v_ffbh_u32_e32 v6, v4
	v_or_b32_sdwa v3, v5, v3 dst_sel:DWORD dst_unused:UNUSED_PAD src0_sel:BYTE_0 src1_sel:DWORD
	v_min_u32_e32 v6, 32, v6
	v_lshrrev_b16_e32 v3, 3, v3
	v_subrev_u32_e32 v7, 28, v6
	v_and_b32_e32 v3, 15, v3
	v_lshlrev_b32_e32 v7, v7, v5
	v_sub_u32_e32 v6, 29, v6
	v_and_b32_e32 v7, 7, v7
	v_cmp_eq_u16_e32 vcc, 0, v3
	v_cndmask_b32_e32 v4, v4, v7, vcc
	v_cndmask_b32_e32 v3, v3, v6, vcc
	v_lshlrev_b32_e32 v6, 24, v5
	v_mov_b32_e32 v7, 0x3b800000
	v_lshlrev_b32_e32 v4, 20, v4
	v_and_b32_e32 v6, 0x80000000, v6
	v_lshl_add_u32 v3, v3, 23, v7
	v_or3_b32 v3, v6, v3, v4
.LBB4_1768:
	s_or_b64 exec, exec, s[6:7]
	s_nop 0
	v_mfma_f32_16x16x4f32 a[0:3], v2, v3, a[0:3]
	v_lshrrev_b32_e32 v3, 8, v9
	s_movk_i32 s4, 0x7f
	v_cmp_gt_i16_sdwa s[6:7], v3, s4 src0_sel:BYTE_0 src1_sel:DWORD
	s_mov_b64 s[4:5], 0
                                        ; implicit-def: $sgpr10
	s_and_saveexec_b64 s[8:9], s[6:7]
	s_xor_b64 s[6:7], exec, s[8:9]
	s_cbranch_execnz .LBB4_3817
; %bb.1769:
	s_or_saveexec_b64 s[6:7], s[6:7]
	v_mov_b32_e32 v2, s10
	s_xor_b64 exec, exec, s[6:7]
	s_cbranch_execnz .LBB4_3820
.LBB4_1770:
	s_or_b64 exec, exec, s[6:7]
	s_and_saveexec_b64 s[6:7], s[4:5]
	s_cbranch_execz .LBB4_1772
.LBB4_1771:
	v_bfe_u32 v2, v9, 8, 3
	v_ffbh_u32_e32 v6, v2
	v_min_u32_e32 v6, 32, v6
	v_lshrrev_b16_e32 v4, 3, v3
	v_subrev_u32_e32 v7, 28, v6
	v_and_b32_e32 v4, 15, v4
	v_lshlrev_b32_e32 v3, v7, v3
	v_sub_u32_e32 v6, 29, v6
	v_and_b32_e32 v3, 7, v3
	v_cmp_eq_u16_e32 vcc, 0, v4
	v_cndmask_b32_e32 v2, v2, v3, vcc
	v_cndmask_b32_e32 v3, v4, v6, vcc
	v_lshlrev_b32_e32 v4, 16, v9
	v_mov_b32_e32 v6, 0x3b800000
	v_lshlrev_b32_e32 v2, 20, v2
	v_and_b32_e32 v4, 0x80000000, v4
	v_lshl_add_u32 v3, v3, 23, v6
	v_or3_b32 v2, v4, v3, v2
.LBB4_1772:
	s_or_b64 exec, exec, s[6:7]
	v_lshrrev_b32_e32 v3, 8, v5
	s_movk_i32 s4, 0x7f
	v_cmp_gt_i16_sdwa s[6:7], v3, s4 src0_sel:BYTE_0 src1_sel:DWORD
	s_mov_b64 s[4:5], 0
                                        ; implicit-def: $sgpr10
	s_and_saveexec_b64 s[8:9], s[6:7]
	s_xor_b64 s[6:7], exec, s[8:9]
	s_cbranch_execnz .LBB4_3821
; %bb.1773:
	s_or_saveexec_b64 s[6:7], s[6:7]
	v_mov_b32_e32 v4, s10
	s_xor_b64 exec, exec, s[6:7]
	s_cbranch_execnz .LBB4_3824
.LBB4_1774:
	s_or_b64 exec, exec, s[6:7]
	s_and_saveexec_b64 s[6:7], s[4:5]
	s_cbranch_execz .LBB4_1776
.LBB4_1775:
	v_bfe_u32 v4, v5, 8, 3
	v_ffbh_u32_e32 v7, v4
	v_min_u32_e32 v7, 32, v7
	v_lshrrev_b16_e32 v6, 3, v3
	v_subrev_u32_e32 v8, 28, v7
	v_and_b32_e32 v6, 15, v6
	v_lshlrev_b32_e32 v3, v8, v3
	v_sub_u32_e32 v7, 29, v7
	v_and_b32_e32 v3, 7, v3
	v_cmp_eq_u16_e32 vcc, 0, v6
	v_cndmask_b32_e32 v3, v4, v3, vcc
	v_cndmask_b32_e32 v4, v6, v7, vcc
	v_lshlrev_b32_e32 v6, 16, v5
	v_mov_b32_e32 v7, 0x3b800000
	v_lshlrev_b32_e32 v3, 20, v3
	v_and_b32_e32 v6, 0x80000000, v6
	v_lshl_add_u32 v4, v4, 23, v7
	v_or3_b32 v4, v6, v4, v3
.LBB4_1776:
	s_or_b64 exec, exec, s[6:7]
	s_nop 0
	v_mfma_f32_16x16x4f32 a[0:3], v2, v4, a[0:3]
	s_movk_i32 s4, 0xff
	v_and_b32_sdwa v3, v9, s4 dst_sel:DWORD dst_unused:UNUSED_PAD src0_sel:WORD_1 src1_sel:DWORD
	s_movk_i32 s4, 0x7f
	v_cmp_lt_i16_e32 vcc, s4, v3
	s_mov_b64 s[4:5], 0
                                        ; implicit-def: $sgpr10
	s_and_saveexec_b64 s[6:7], vcc
	s_xor_b64 s[6:7], exec, s[6:7]
	s_cbranch_execnz .LBB4_3825
; %bb.1777:
	s_or_saveexec_b64 s[6:7], s[6:7]
	v_mov_b32_e32 v2, s10
	s_xor_b64 exec, exec, s[6:7]
	s_cbranch_execnz .LBB4_3828
.LBB4_1778:
	s_or_b64 exec, exec, s[6:7]
	s_and_saveexec_b64 s[6:7], s[4:5]
	s_cbranch_execz .LBB4_1780
.LBB4_1779:
	v_bfe_u32 v2, v9, 16, 3
	v_ffbh_u32_e32 v6, v2
	v_min_u32_e32 v6, 32, v6
	v_lshrrev_b32_e32 v3, 19, v9
	v_subrev_u32_e32 v7, 28, v6
	v_and_b32_e32 v3, 15, v3
	v_lshlrev_b32_sdwa v7, v7, v9 dst_sel:DWORD dst_unused:UNUSED_PAD src0_sel:DWORD src1_sel:WORD_1
	v_bfe_u32 v4, v9, 19, 4
	v_sub_u32_e32 v6, 29, v6
	v_and_b32_e32 v7, 7, v7
	v_cmp_eq_u16_e32 vcc, 0, v3
	v_cndmask_b32_e32 v2, v2, v7, vcc
	v_cndmask_b32_e32 v3, v4, v6, vcc
	v_lshlrev_b32_e32 v4, 8, v9
	v_mov_b32_e32 v6, 0x3b800000
	v_lshlrev_b32_e32 v2, 20, v2
	v_and_b32_e32 v4, 0x80000000, v4
	v_lshl_add_u32 v3, v3, 23, v6
	v_or3_b32 v2, v4, v3, v2
.LBB4_1780:
	s_or_b64 exec, exec, s[6:7]
	s_movk_i32 s4, 0xff
	v_and_b32_sdwa v3, v5, s4 dst_sel:DWORD dst_unused:UNUSED_PAD src0_sel:WORD_1 src1_sel:DWORD
	s_movk_i32 s4, 0x7f
	v_cmp_lt_i16_e32 vcc, s4, v3
	s_mov_b64 s[4:5], 0
                                        ; implicit-def: $sgpr10
	s_and_saveexec_b64 s[6:7], vcc
	s_xor_b64 s[6:7], exec, s[6:7]
	s_cbranch_execnz .LBB4_3829
; %bb.1781:
	s_or_saveexec_b64 s[6:7], s[6:7]
	v_mov_b32_e32 v4, s10
	s_xor_b64 exec, exec, s[6:7]
	s_cbranch_execnz .LBB4_3832
.LBB4_1782:
	s_or_b64 exec, exec, s[6:7]
	s_and_saveexec_b64 s[6:7], s[4:5]
	s_cbranch_execz .LBB4_1784
.LBB4_1783:
	v_bfe_u32 v3, v5, 16, 3
	v_ffbh_u32_e32 v7, v3
	v_min_u32_e32 v7, 32, v7
	v_lshrrev_b32_e32 v4, 19, v5
	v_subrev_u32_e32 v8, 28, v7
	v_and_b32_e32 v4, 15, v4
	v_lshlrev_b32_sdwa v8, v8, v5 dst_sel:DWORD dst_unused:UNUSED_PAD src0_sel:DWORD src1_sel:WORD_1
	v_bfe_u32 v6, v5, 19, 4
	v_sub_u32_e32 v7, 29, v7
	v_and_b32_e32 v8, 7, v8
	v_cmp_eq_u16_e32 vcc, 0, v4
	v_cndmask_b32_e32 v3, v3, v8, vcc
	v_cndmask_b32_e32 v4, v6, v7, vcc
	v_lshlrev_b32_e32 v6, 8, v5
	v_mov_b32_e32 v7, 0x3b800000
	v_lshlrev_b32_e32 v3, 20, v3
	v_and_b32_e32 v6, 0x80000000, v6
	v_lshl_add_u32 v4, v4, 23, v7
	v_or3_b32 v4, v6, v4, v3
.LBB4_1784:
	s_or_b64 exec, exec, s[6:7]
	s_nop 0
	v_mfma_f32_16x16x4f32 a[0:3], v2, v4, a[0:3]
	s_movk_i32 s4, 0x7f
	v_cmp_gt_i16_sdwa s[6:7], v9, s4 src0_sel:BYTE_3 src1_sel:DWORD
	s_mov_b64 s[4:5], 0
                                        ; implicit-def: $sgpr10
	s_and_saveexec_b64 s[8:9], s[6:7]
	s_xor_b64 s[6:7], exec, s[8:9]
	s_cbranch_execnz .LBB4_3833
; %bb.1785:
	s_or_saveexec_b64 s[6:7], s[6:7]
	v_mov_b32_e32 v2, s10
	s_xor_b64 exec, exec, s[6:7]
	s_cbranch_execnz .LBB4_3836
.LBB4_1786:
	s_or_b64 exec, exec, s[6:7]
	s_and_saveexec_b64 s[6:7], s[4:5]
	s_cbranch_execz .LBB4_1788
.LBB4_1787:
	v_bfe_u32 v2, v9, 24, 3
	v_ffbh_u32_e32 v7, v2
	v_min_u32_e32 v7, 32, v7
	v_lshrrev_b32_e32 v4, 27, v9
	v_subrev_u32_e32 v8, 28, v7
	v_and_b32_e32 v4, 15, v4
	v_lshlrev_b32_sdwa v8, v8, v9 dst_sel:DWORD dst_unused:UNUSED_PAD src0_sel:DWORD src1_sel:BYTE_3
	v_bfe_u32 v6, v9, 27, 4
	v_sub_u32_e32 v7, 29, v7
	v_and_b32_e32 v8, 7, v8
	v_cmp_eq_u16_e32 vcc, 0, v4
	v_cndmask_b32_e32 v2, v2, v8, vcc
	v_cndmask_b32_e32 v4, v6, v7, vcc
	v_mov_b32_e32 v6, 0x3b800000
	v_and_b32_e32 v3, 0x80000000, v9
	v_lshlrev_b32_e32 v2, 20, v2
	v_lshl_add_u32 v4, v4, 23, v6
	v_or3_b32 v2, v3, v4, v2
.LBB4_1788:
	s_or_b64 exec, exec, s[6:7]
	s_movk_i32 s4, 0x7f
	v_cmp_gt_i16_sdwa s[6:7], v5, s4 src0_sel:BYTE_3 src1_sel:DWORD
	s_mov_b64 s[4:5], 0
                                        ; implicit-def: $sgpr10
	s_and_saveexec_b64 s[8:9], s[6:7]
	s_xor_b64 s[6:7], exec, s[8:9]
	s_cbranch_execnz .LBB4_3837
; %bb.1789:
	s_or_saveexec_b64 s[6:7], s[6:7]
	v_mov_b32_e32 v3, s10
	s_xor_b64 exec, exec, s[6:7]
	s_cbranch_execnz .LBB4_3840
.LBB4_1790:
	s_or_b64 exec, exec, s[6:7]
	s_and_saveexec_b64 s[6:7], s[4:5]
	s_cbranch_execz .LBB4_1792
.LBB4_1791:
	v_bfe_u32 v3, v5, 24, 3
	v_ffbh_u32_e32 v8, v3
	v_min_u32_e32 v8, 32, v8
	v_lshrrev_b32_e32 v6, 27, v5
	v_subrev_u32_e32 v9, 28, v8
	v_and_b32_e32 v4, 0x80000000, v5
	v_and_b32_e32 v6, 15, v6
	v_bfe_u32 v7, v5, 27, 4
	v_lshlrev_b32_sdwa v5, v9, v5 dst_sel:DWORD dst_unused:UNUSED_PAD src0_sel:DWORD src1_sel:BYTE_3
	v_sub_u32_e32 v8, 29, v8
	v_and_b32_e32 v5, 7, v5
	v_cmp_eq_u16_e32 vcc, 0, v6
	v_cndmask_b32_e32 v3, v3, v5, vcc
	v_cndmask_b32_e32 v5, v7, v8, vcc
	v_mov_b32_e32 v6, 0x3b800000
	v_lshlrev_b32_e32 v3, 20, v3
	v_lshl_add_u32 v5, v5, 23, v6
	v_or3_b32 v3, v4, v5, v3
.LBB4_1792:
	s_or_b64 exec, exec, s[6:7]
	s_nop 0
	v_mfma_f32_16x16x4f32 a[0:3], v2, v3, a[0:3]
	s_movk_i32 s4, 0x7f
                                        ; implicit-def: $sgpr10
	s_nop 7
	s_nop 1
	flat_store_dwordx4 v[18:19], a[0:3] offset:352
	flat_load_dwordx4 v[18:21], v[0:1] offset:16
	s_nop 0
	flat_load_dwordx2 v[16:17], v[0:1] offset:32
	s_waitcnt vmcnt(0) lgkmcnt(0)
	flat_load_dwordx4 v[12:15], v[18:19]
	flat_load_dwordx4 v[4:7], v[18:19] offset:16
	flat_load_dwordx4 v[8:11], v[20:21] offset:224
	;; [unrolled: 1-line block ×3, first 2 shown]
	s_waitcnt vmcnt(0) lgkmcnt(0)
	v_cmp_gt_i16_sdwa s[6:7], v12, s4 src0_sel:BYTE_0 src1_sel:DWORD
	s_mov_b64 s[4:5], 0
	s_and_saveexec_b64 s[8:9], s[6:7]
	s_xor_b64 s[6:7], exec, s[8:9]
	s_cbranch_execnz .LBB4_3841
; %bb.1793:
	s_or_saveexec_b64 s[6:7], s[6:7]
	v_mov_b32_e32 v18, s10
	s_xor_b64 exec, exec, s[6:7]
	s_cbranch_execnz .LBB4_3844
.LBB4_1794:
	s_or_b64 exec, exec, s[6:7]
	s_and_saveexec_b64 s[6:7], s[4:5]
	s_cbranch_execz .LBB4_1796
.LBB4_1795:
	v_and_b32_e32 v18, 7, v12
	v_ffbh_u32_e32 v20, v18
	v_min_u32_e32 v20, 32, v20
	v_lshrrev_b16_e32 v19, 3, v12
	v_subrev_u32_e32 v21, 28, v20
	v_and_b32_e32 v19, 15, v19
	v_lshlrev_b32_e32 v21, v21, v12
	v_sub_u32_e32 v20, 29, v20
	v_and_b32_e32 v21, 7, v21
	v_cmp_eq_u16_e32 vcc, 0, v19
	v_cndmask_b32_e32 v18, v18, v21, vcc
	v_cndmask_b32_e32 v19, v19, v20, vcc
	v_lshlrev_b32_e32 v20, 24, v12
	v_mov_b32_e32 v21, 0x3b800000
	v_lshlrev_b32_e32 v18, 20, v18
	v_and_b32_e32 v20, 0x80000000, v20
	v_lshl_add_u32 v19, v19, 23, v21
	v_or3_b32 v18, v20, v19, v18
.LBB4_1796:
	s_or_b64 exec, exec, s[6:7]
	s_movk_i32 s4, 0x7f
	v_cmp_gt_i16_sdwa s[6:7], v8, s4 src0_sel:BYTE_0 src1_sel:DWORD
	s_mov_b64 s[4:5], 0
                                        ; implicit-def: $sgpr10
	s_and_saveexec_b64 s[8:9], s[6:7]
	s_xor_b64 s[6:7], exec, s[8:9]
	s_cbranch_execnz .LBB4_3845
; %bb.1797:
	s_or_saveexec_b64 s[6:7], s[6:7]
	v_mov_b32_e32 v19, s10
	s_xor_b64 exec, exec, s[6:7]
	s_cbranch_execnz .LBB4_3848
.LBB4_1798:
	s_or_b64 exec, exec, s[6:7]
	s_and_saveexec_b64 s[6:7], s[4:5]
	s_cbranch_execz .LBB4_1800
.LBB4_1799:
	v_and_b32_e32 v19, 7, v8
	v_ffbh_u32_e32 v21, v19
	v_min_u32_e32 v21, 32, v21
	v_lshrrev_b16_e32 v20, 3, v8
	v_subrev_u32_e32 v22, 28, v21
	v_and_b32_e32 v20, 15, v20
	v_lshlrev_b32_e32 v22, v22, v8
	v_sub_u32_e32 v21, 29, v21
	v_and_b32_e32 v22, 7, v22
	v_cmp_eq_u16_e32 vcc, 0, v20
	v_cndmask_b32_e32 v19, v19, v22, vcc
	v_cndmask_b32_e32 v20, v20, v21, vcc
	v_lshlrev_b32_e32 v21, 24, v8
	v_mov_b32_e32 v22, 0x3b800000
	v_lshlrev_b32_e32 v19, 20, v19
	v_and_b32_e32 v21, 0x80000000, v21
	v_lshl_add_u32 v20, v20, 23, v22
	v_or3_b32 v19, v21, v20, v19
.LBB4_1800:
	s_or_b64 exec, exec, s[6:7]
	flat_load_dwordx4 a[0:3], v[16:17] offset:368
	s_movk_i32 s4, 0x7f
                                        ; implicit-def: $sgpr10
	s_waitcnt vmcnt(0) lgkmcnt(0)
	v_mfma_f32_16x16x4f32 a[0:3], v18, v19, a[0:3]
	v_lshrrev_b32_e32 v19, 8, v12
	v_cmp_gt_i16_sdwa s[6:7], v19, s4 src0_sel:BYTE_0 src1_sel:DWORD
	s_mov_b64 s[4:5], 0
	s_and_saveexec_b64 s[8:9], s[6:7]
	s_xor_b64 s[6:7], exec, s[8:9]
	s_cbranch_execnz .LBB4_3849
; %bb.1801:
	s_or_saveexec_b64 s[6:7], s[6:7]
	v_mov_b32_e32 v18, s10
	s_xor_b64 exec, exec, s[6:7]
	s_cbranch_execnz .LBB4_3852
.LBB4_1802:
	s_or_b64 exec, exec, s[6:7]
	s_and_saveexec_b64 s[6:7], s[4:5]
	s_cbranch_execz .LBB4_1804
.LBB4_1803:
	v_bfe_u32 v18, v12, 8, 3
	v_ffbh_u32_e32 v21, v18
	v_min_u32_e32 v21, 32, v21
	v_lshrrev_b16_e32 v20, 3, v19
	v_subrev_u32_e32 v22, 28, v21
	v_and_b32_e32 v20, 15, v20
	v_lshlrev_b32_e32 v19, v22, v19
	v_sub_u32_e32 v21, 29, v21
	v_and_b32_e32 v19, 7, v19
	v_cmp_eq_u16_e32 vcc, 0, v20
	v_cndmask_b32_e32 v18, v18, v19, vcc
	v_cndmask_b32_e32 v19, v20, v21, vcc
	v_lshlrev_b32_e32 v20, 16, v12
	v_mov_b32_e32 v21, 0x3b800000
	v_lshlrev_b32_e32 v18, 20, v18
	v_and_b32_e32 v20, 0x80000000, v20
	v_lshl_add_u32 v19, v19, 23, v21
	v_or3_b32 v18, v20, v19, v18
.LBB4_1804:
	s_or_b64 exec, exec, s[6:7]
	v_lshrrev_b32_e32 v19, 8, v8
	s_movk_i32 s4, 0x7f
	v_cmp_gt_i16_sdwa s[6:7], v19, s4 src0_sel:BYTE_0 src1_sel:DWORD
	s_mov_b64 s[4:5], 0
                                        ; implicit-def: $sgpr10
	s_and_saveexec_b64 s[8:9], s[6:7]
	s_xor_b64 s[6:7], exec, s[8:9]
	s_cbranch_execnz .LBB4_3853
; %bb.1805:
	s_or_saveexec_b64 s[6:7], s[6:7]
	v_mov_b32_e32 v20, s10
	s_xor_b64 exec, exec, s[6:7]
	s_cbranch_execnz .LBB4_3856
.LBB4_1806:
	s_or_b64 exec, exec, s[6:7]
	s_and_saveexec_b64 s[6:7], s[4:5]
	s_cbranch_execz .LBB4_1808
.LBB4_1807:
	v_bfe_u32 v20, v8, 8, 3
	v_ffbh_u32_e32 v22, v20
	v_min_u32_e32 v22, 32, v22
	v_lshrrev_b16_e32 v21, 3, v19
	v_subrev_u32_e32 v23, 28, v22
	v_and_b32_e32 v21, 15, v21
	v_lshlrev_b32_e32 v19, v23, v19
	v_sub_u32_e32 v22, 29, v22
	v_and_b32_e32 v19, 7, v19
	v_cmp_eq_u16_e32 vcc, 0, v21
	v_cndmask_b32_e32 v19, v20, v19, vcc
	v_cndmask_b32_e32 v20, v21, v22, vcc
	v_lshlrev_b32_e32 v21, 16, v8
	v_mov_b32_e32 v22, 0x3b800000
	v_lshlrev_b32_e32 v19, 20, v19
	v_and_b32_e32 v21, 0x80000000, v21
	v_lshl_add_u32 v20, v20, 23, v22
	v_or3_b32 v20, v21, v20, v19
.LBB4_1808:
	s_or_b64 exec, exec, s[6:7]
	s_nop 0
	v_mfma_f32_16x16x4f32 a[0:3], v18, v20, a[0:3]
	s_movk_i32 s4, 0xff
	v_and_b32_sdwa v19, v12, s4 dst_sel:DWORD dst_unused:UNUSED_PAD src0_sel:WORD_1 src1_sel:DWORD
	s_movk_i32 s4, 0x7f
	v_cmp_lt_i16_e32 vcc, s4, v19
	s_mov_b64 s[4:5], 0
                                        ; implicit-def: $sgpr10
	s_and_saveexec_b64 s[6:7], vcc
	s_xor_b64 s[6:7], exec, s[6:7]
	s_cbranch_execnz .LBB4_3857
; %bb.1809:
	s_or_saveexec_b64 s[6:7], s[6:7]
	v_mov_b32_e32 v18, s10
	s_xor_b64 exec, exec, s[6:7]
	s_cbranch_execnz .LBB4_3860
.LBB4_1810:
	s_or_b64 exec, exec, s[6:7]
	s_and_saveexec_b64 s[6:7], s[4:5]
	s_cbranch_execz .LBB4_1812
.LBB4_1811:
	v_bfe_u32 v18, v12, 16, 3
	v_ffbh_u32_e32 v21, v18
	v_min_u32_e32 v21, 32, v21
	v_lshrrev_b32_e32 v19, 19, v12
	v_subrev_u32_e32 v22, 28, v21
	v_and_b32_e32 v19, 15, v19
	v_lshlrev_b32_sdwa v22, v22, v12 dst_sel:DWORD dst_unused:UNUSED_PAD src0_sel:DWORD src1_sel:WORD_1
	v_bfe_u32 v20, v12, 19, 4
	v_sub_u32_e32 v21, 29, v21
	v_and_b32_e32 v22, 7, v22
	v_cmp_eq_u16_e32 vcc, 0, v19
	v_cndmask_b32_e32 v18, v18, v22, vcc
	v_cndmask_b32_e32 v19, v20, v21, vcc
	v_lshlrev_b32_e32 v20, 8, v12
	v_mov_b32_e32 v21, 0x3b800000
	v_lshlrev_b32_e32 v18, 20, v18
	v_and_b32_e32 v20, 0x80000000, v20
	v_lshl_add_u32 v19, v19, 23, v21
	v_or3_b32 v18, v20, v19, v18
.LBB4_1812:
	s_or_b64 exec, exec, s[6:7]
	s_movk_i32 s4, 0xff
	v_and_b32_sdwa v19, v8, s4 dst_sel:DWORD dst_unused:UNUSED_PAD src0_sel:WORD_1 src1_sel:DWORD
	s_movk_i32 s4, 0x7f
	v_cmp_lt_i16_e32 vcc, s4, v19
	s_mov_b64 s[4:5], 0
                                        ; implicit-def: $sgpr10
	s_and_saveexec_b64 s[6:7], vcc
	s_xor_b64 s[6:7], exec, s[6:7]
	s_cbranch_execnz .LBB4_3861
; %bb.1813:
	s_or_saveexec_b64 s[6:7], s[6:7]
	v_mov_b32_e32 v20, s10
	s_xor_b64 exec, exec, s[6:7]
	s_cbranch_execnz .LBB4_3864
.LBB4_1814:
	s_or_b64 exec, exec, s[6:7]
	s_and_saveexec_b64 s[6:7], s[4:5]
	s_cbranch_execz .LBB4_1816
.LBB4_1815:
	v_bfe_u32 v19, v8, 16, 3
	v_ffbh_u32_e32 v22, v19
	v_min_u32_e32 v22, 32, v22
	v_lshrrev_b32_e32 v20, 19, v8
	v_subrev_u32_e32 v23, 28, v22
	v_and_b32_e32 v20, 15, v20
	v_lshlrev_b32_sdwa v23, v23, v8 dst_sel:DWORD dst_unused:UNUSED_PAD src0_sel:DWORD src1_sel:WORD_1
	v_bfe_u32 v21, v8, 19, 4
	v_sub_u32_e32 v22, 29, v22
	v_and_b32_e32 v23, 7, v23
	v_cmp_eq_u16_e32 vcc, 0, v20
	v_cndmask_b32_e32 v19, v19, v23, vcc
	v_cndmask_b32_e32 v20, v21, v22, vcc
	v_lshlrev_b32_e32 v21, 8, v8
	v_mov_b32_e32 v22, 0x3b800000
	v_lshlrev_b32_e32 v19, 20, v19
	v_and_b32_e32 v21, 0x80000000, v21
	v_lshl_add_u32 v20, v20, 23, v22
	v_or3_b32 v20, v21, v20, v19
.LBB4_1816:
	s_or_b64 exec, exec, s[6:7]
	s_nop 0
	v_mfma_f32_16x16x4f32 a[0:3], v18, v20, a[0:3]
	s_movk_i32 s4, 0x7f
	v_cmp_gt_i16_sdwa s[6:7], v12, s4 src0_sel:BYTE_3 src1_sel:DWORD
	s_mov_b64 s[4:5], 0
                                        ; implicit-def: $sgpr10
	s_and_saveexec_b64 s[8:9], s[6:7]
	s_xor_b64 s[6:7], exec, s[8:9]
	s_cbranch_execnz .LBB4_3865
; %bb.1817:
	s_or_saveexec_b64 s[6:7], s[6:7]
	v_mov_b32_e32 v18, s10
	s_xor_b64 exec, exec, s[6:7]
	s_cbranch_execnz .LBB4_3868
.LBB4_1818:
	s_or_b64 exec, exec, s[6:7]
	s_and_saveexec_b64 s[6:7], s[4:5]
	s_cbranch_execz .LBB4_1820
.LBB4_1819:
	v_bfe_u32 v18, v12, 24, 3
	v_ffbh_u32_e32 v22, v18
	v_min_u32_e32 v22, 32, v22
	v_lshrrev_b32_e32 v20, 27, v12
	v_subrev_u32_e32 v23, 28, v22
	v_and_b32_e32 v19, 0x80000000, v12
	v_and_b32_e32 v20, 15, v20
	v_bfe_u32 v21, v12, 27, 4
	v_lshlrev_b32_sdwa v12, v23, v12 dst_sel:DWORD dst_unused:UNUSED_PAD src0_sel:DWORD src1_sel:BYTE_3
	v_sub_u32_e32 v22, 29, v22
	v_and_b32_e32 v12, 7, v12
	v_cmp_eq_u16_e32 vcc, 0, v20
	v_cndmask_b32_e32 v12, v18, v12, vcc
	v_cndmask_b32_e32 v18, v21, v22, vcc
	v_mov_b32_e32 v20, 0x3b800000
	v_lshlrev_b32_e32 v12, 20, v12
	v_lshl_add_u32 v18, v18, 23, v20
	v_or3_b32 v18, v19, v18, v12
.LBB4_1820:
	s_or_b64 exec, exec, s[6:7]
	s_movk_i32 s4, 0x7f
	v_cmp_gt_i16_sdwa s[6:7], v8, s4 src0_sel:BYTE_3 src1_sel:DWORD
	s_mov_b64 s[4:5], 0
                                        ; implicit-def: $sgpr10
	s_and_saveexec_b64 s[8:9], s[6:7]
	s_xor_b64 s[6:7], exec, s[8:9]
	s_cbranch_execnz .LBB4_3869
; %bb.1821:
	s_or_saveexec_b64 s[6:7], s[6:7]
	v_mov_b32_e32 v12, s10
	s_xor_b64 exec, exec, s[6:7]
	s_cbranch_execnz .LBB4_3872
.LBB4_1822:
	s_or_b64 exec, exec, s[6:7]
	s_and_saveexec_b64 s[6:7], s[4:5]
	s_cbranch_execz .LBB4_1824
.LBB4_1823:
	v_bfe_u32 v12, v8, 24, 3
	v_ffbh_u32_e32 v22, v12
	v_min_u32_e32 v22, 32, v22
	v_lshrrev_b32_e32 v20, 27, v8
	v_subrev_u32_e32 v23, 28, v22
	v_and_b32_e32 v19, 0x80000000, v8
	v_and_b32_e32 v20, 15, v20
	v_bfe_u32 v21, v8, 27, 4
	v_lshlrev_b32_sdwa v8, v23, v8 dst_sel:DWORD dst_unused:UNUSED_PAD src0_sel:DWORD src1_sel:BYTE_3
	v_sub_u32_e32 v22, 29, v22
	v_and_b32_e32 v8, 7, v8
	v_cmp_eq_u16_e32 vcc, 0, v20
	v_cndmask_b32_e32 v8, v12, v8, vcc
	v_cndmask_b32_e32 v12, v21, v22, vcc
	v_mov_b32_e32 v20, 0x3b800000
	v_lshlrev_b32_e32 v8, 20, v8
	v_lshl_add_u32 v12, v12, 23, v20
	v_or3_b32 v12, v19, v12, v8
.LBB4_1824:
	s_or_b64 exec, exec, s[6:7]
	s_nop 0
	v_mfma_f32_16x16x4f32 a[0:3], v18, v12, a[0:3]
	s_movk_i32 s4, 0x7f
	v_cmp_gt_i16_sdwa s[6:7], v13, s4 src0_sel:BYTE_0 src1_sel:DWORD
	s_mov_b64 s[4:5], 0
                                        ; implicit-def: $sgpr10
	s_and_saveexec_b64 s[8:9], s[6:7]
	s_xor_b64 s[6:7], exec, s[8:9]
	s_cbranch_execnz .LBB4_3873
; %bb.1825:
	s_or_saveexec_b64 s[6:7], s[6:7]
	v_mov_b32_e32 v8, s10
	s_xor_b64 exec, exec, s[6:7]
	s_cbranch_execnz .LBB4_3876
.LBB4_1826:
	s_or_b64 exec, exec, s[6:7]
	s_and_saveexec_b64 s[6:7], s[4:5]
	s_cbranch_execz .LBB4_1828
.LBB4_1827:
	v_and_b32_e32 v8, 7, v13
	v_ffbh_u32_e32 v18, v8
	v_min_u32_e32 v18, 32, v18
	v_lshrrev_b16_e32 v12, 3, v13
	v_subrev_u32_e32 v19, 28, v18
	v_and_b32_e32 v12, 15, v12
	v_lshlrev_b32_e32 v19, v19, v13
	v_sub_u32_e32 v18, 29, v18
	v_and_b32_e32 v19, 7, v19
	v_cmp_eq_u16_e32 vcc, 0, v12
	v_cndmask_b32_e32 v8, v8, v19, vcc
	v_cndmask_b32_e32 v12, v12, v18, vcc
	v_lshlrev_b32_e32 v18, 24, v13
	v_mov_b32_e32 v19, 0x3b800000
	v_lshlrev_b32_e32 v8, 20, v8
	v_and_b32_e32 v18, 0x80000000, v18
	v_lshl_add_u32 v12, v12, 23, v19
	v_or3_b32 v8, v18, v12, v8
.LBB4_1828:
	s_or_b64 exec, exec, s[6:7]
	s_movk_i32 s4, 0x7f
	v_cmp_gt_i16_sdwa s[6:7], v9, s4 src0_sel:BYTE_0 src1_sel:DWORD
	s_mov_b64 s[4:5], 0
                                        ; implicit-def: $sgpr10
	s_and_saveexec_b64 s[8:9], s[6:7]
	s_xor_b64 s[6:7], exec, s[8:9]
	s_cbranch_execnz .LBB4_3877
; %bb.1829:
	s_or_saveexec_b64 s[6:7], s[6:7]
	v_mov_b32_e32 v12, s10
	s_xor_b64 exec, exec, s[6:7]
	s_cbranch_execnz .LBB4_3880
.LBB4_1830:
	s_or_b64 exec, exec, s[6:7]
	s_and_saveexec_b64 s[6:7], s[4:5]
	s_cbranch_execz .LBB4_1832
.LBB4_1831:
	v_and_b32_e32 v12, 7, v9
	v_ffbh_u32_e32 v19, v12
	v_min_u32_e32 v19, 32, v19
	v_lshrrev_b16_e32 v18, 3, v9
	v_subrev_u32_e32 v20, 28, v19
	v_and_b32_e32 v18, 15, v18
	v_lshlrev_b32_e32 v20, v20, v9
	v_sub_u32_e32 v19, 29, v19
	v_and_b32_e32 v20, 7, v20
	v_cmp_eq_u16_e32 vcc, 0, v18
	v_cndmask_b32_e32 v12, v12, v20, vcc
	v_cndmask_b32_e32 v18, v18, v19, vcc
	v_lshlrev_b32_e32 v19, 24, v9
	v_mov_b32_e32 v20, 0x3b800000
	v_lshlrev_b32_e32 v12, 20, v12
	v_and_b32_e32 v19, 0x80000000, v19
	v_lshl_add_u32 v18, v18, 23, v20
	v_or3_b32 v12, v19, v18, v12
.LBB4_1832:
	s_or_b64 exec, exec, s[6:7]
	s_nop 0
	v_mfma_f32_16x16x4f32 a[0:3], v8, v12, a[0:3]
	v_lshrrev_b32_e32 v12, 8, v13
	s_movk_i32 s4, 0x7f
	v_cmp_gt_i16_sdwa s[6:7], v12, s4 src0_sel:BYTE_0 src1_sel:DWORD
	s_mov_b64 s[4:5], 0
                                        ; implicit-def: $sgpr10
	s_and_saveexec_b64 s[8:9], s[6:7]
	s_xor_b64 s[6:7], exec, s[8:9]
	s_cbranch_execnz .LBB4_3881
; %bb.1833:
	s_or_saveexec_b64 s[6:7], s[6:7]
	v_mov_b32_e32 v8, s10
	s_xor_b64 exec, exec, s[6:7]
	s_cbranch_execnz .LBB4_3884
.LBB4_1834:
	s_or_b64 exec, exec, s[6:7]
	s_and_saveexec_b64 s[6:7], s[4:5]
	s_cbranch_execz .LBB4_1836
.LBB4_1835:
	v_bfe_u32 v8, v13, 8, 3
	v_ffbh_u32_e32 v19, v8
	v_min_u32_e32 v19, 32, v19
	v_lshrrev_b16_e32 v18, 3, v12
	v_subrev_u32_e32 v20, 28, v19
	v_and_b32_e32 v18, 15, v18
	v_lshlrev_b32_e32 v12, v20, v12
	v_sub_u32_e32 v19, 29, v19
	v_and_b32_e32 v12, 7, v12
	v_cmp_eq_u16_e32 vcc, 0, v18
	v_cndmask_b32_e32 v8, v8, v12, vcc
	v_cndmask_b32_e32 v12, v18, v19, vcc
	v_lshlrev_b32_e32 v18, 16, v13
	v_mov_b32_e32 v19, 0x3b800000
	v_lshlrev_b32_e32 v8, 20, v8
	v_and_b32_e32 v18, 0x80000000, v18
	v_lshl_add_u32 v12, v12, 23, v19
	v_or3_b32 v8, v18, v12, v8
.LBB4_1836:
	s_or_b64 exec, exec, s[6:7]
	v_lshrrev_b32_e32 v12, 8, v9
	s_movk_i32 s4, 0x7f
	v_cmp_gt_i16_sdwa s[6:7], v12, s4 src0_sel:BYTE_0 src1_sel:DWORD
	s_mov_b64 s[4:5], 0
                                        ; implicit-def: $sgpr10
	s_and_saveexec_b64 s[8:9], s[6:7]
	s_xor_b64 s[6:7], exec, s[8:9]
	s_cbranch_execnz .LBB4_3885
; %bb.1837:
	s_or_saveexec_b64 s[6:7], s[6:7]
	v_mov_b32_e32 v18, s10
	s_xor_b64 exec, exec, s[6:7]
	s_cbranch_execnz .LBB4_3888
.LBB4_1838:
	s_or_b64 exec, exec, s[6:7]
	s_and_saveexec_b64 s[6:7], s[4:5]
	s_cbranch_execz .LBB4_1840
.LBB4_1839:
	v_bfe_u32 v18, v9, 8, 3
	v_ffbh_u32_e32 v20, v18
	v_min_u32_e32 v20, 32, v20
	v_lshrrev_b16_e32 v19, 3, v12
	v_subrev_u32_e32 v21, 28, v20
	v_and_b32_e32 v19, 15, v19
	v_lshlrev_b32_e32 v12, v21, v12
	v_sub_u32_e32 v20, 29, v20
	v_and_b32_e32 v12, 7, v12
	v_cmp_eq_u16_e32 vcc, 0, v19
	v_cndmask_b32_e32 v12, v18, v12, vcc
	v_cndmask_b32_e32 v18, v19, v20, vcc
	v_lshlrev_b32_e32 v19, 16, v9
	v_mov_b32_e32 v20, 0x3b800000
	v_lshlrev_b32_e32 v12, 20, v12
	v_and_b32_e32 v19, 0x80000000, v19
	v_lshl_add_u32 v18, v18, 23, v20
	v_or3_b32 v18, v19, v18, v12
.LBB4_1840:
	s_or_b64 exec, exec, s[6:7]
	s_nop 0
	v_mfma_f32_16x16x4f32 a[0:3], v8, v18, a[0:3]
	s_movk_i32 s4, 0xff
	v_and_b32_sdwa v12, v13, s4 dst_sel:DWORD dst_unused:UNUSED_PAD src0_sel:WORD_1 src1_sel:DWORD
	s_movk_i32 s4, 0x7f
	v_cmp_lt_i16_e32 vcc, s4, v12
	s_mov_b64 s[4:5], 0
                                        ; implicit-def: $sgpr10
	s_and_saveexec_b64 s[6:7], vcc
	s_xor_b64 s[6:7], exec, s[6:7]
	s_cbranch_execnz .LBB4_3889
; %bb.1841:
	s_or_saveexec_b64 s[6:7], s[6:7]
	v_mov_b32_e32 v8, s10
	s_xor_b64 exec, exec, s[6:7]
	s_cbranch_execnz .LBB4_3892
.LBB4_1842:
	s_or_b64 exec, exec, s[6:7]
	s_and_saveexec_b64 s[6:7], s[4:5]
	s_cbranch_execz .LBB4_1844
.LBB4_1843:
	v_bfe_u32 v8, v13, 16, 3
	v_ffbh_u32_e32 v19, v8
	v_min_u32_e32 v19, 32, v19
	v_lshrrev_b32_e32 v12, 19, v13
	v_subrev_u32_e32 v20, 28, v19
	v_and_b32_e32 v12, 15, v12
	v_lshlrev_b32_sdwa v20, v20, v13 dst_sel:DWORD dst_unused:UNUSED_PAD src0_sel:DWORD src1_sel:WORD_1
	v_bfe_u32 v18, v13, 19, 4
	v_sub_u32_e32 v19, 29, v19
	v_and_b32_e32 v20, 7, v20
	v_cmp_eq_u16_e32 vcc, 0, v12
	v_cndmask_b32_e32 v8, v8, v20, vcc
	v_cndmask_b32_e32 v12, v18, v19, vcc
	v_lshlrev_b32_e32 v18, 8, v13
	v_mov_b32_e32 v19, 0x3b800000
	v_lshlrev_b32_e32 v8, 20, v8
	v_and_b32_e32 v18, 0x80000000, v18
	v_lshl_add_u32 v12, v12, 23, v19
	v_or3_b32 v8, v18, v12, v8
.LBB4_1844:
	s_or_b64 exec, exec, s[6:7]
	s_movk_i32 s4, 0xff
	v_and_b32_sdwa v12, v9, s4 dst_sel:DWORD dst_unused:UNUSED_PAD src0_sel:WORD_1 src1_sel:DWORD
	s_movk_i32 s4, 0x7f
	v_cmp_lt_i16_e32 vcc, s4, v12
	s_mov_b64 s[4:5], 0
                                        ; implicit-def: $sgpr10
	s_and_saveexec_b64 s[6:7], vcc
	s_xor_b64 s[6:7], exec, s[6:7]
	s_cbranch_execnz .LBB4_3893
; %bb.1845:
	s_or_saveexec_b64 s[6:7], s[6:7]
	v_mov_b32_e32 v18, s10
	s_xor_b64 exec, exec, s[6:7]
	s_cbranch_execnz .LBB4_3896
.LBB4_1846:
	s_or_b64 exec, exec, s[6:7]
	s_and_saveexec_b64 s[6:7], s[4:5]
	s_cbranch_execz .LBB4_1848
.LBB4_1847:
	v_bfe_u32 v12, v9, 16, 3
	v_ffbh_u32_e32 v20, v12
	v_min_u32_e32 v20, 32, v20
	v_lshrrev_b32_e32 v18, 19, v9
	v_subrev_u32_e32 v21, 28, v20
	v_and_b32_e32 v18, 15, v18
	v_lshlrev_b32_sdwa v21, v21, v9 dst_sel:DWORD dst_unused:UNUSED_PAD src0_sel:DWORD src1_sel:WORD_1
	v_bfe_u32 v19, v9, 19, 4
	v_sub_u32_e32 v20, 29, v20
	v_and_b32_e32 v21, 7, v21
	v_cmp_eq_u16_e32 vcc, 0, v18
	v_cndmask_b32_e32 v12, v12, v21, vcc
	v_cndmask_b32_e32 v18, v19, v20, vcc
	v_lshlrev_b32_e32 v19, 8, v9
	v_mov_b32_e32 v20, 0x3b800000
	v_lshlrev_b32_e32 v12, 20, v12
	v_and_b32_e32 v19, 0x80000000, v19
	v_lshl_add_u32 v18, v18, 23, v20
	v_or3_b32 v18, v19, v18, v12
.LBB4_1848:
	s_or_b64 exec, exec, s[6:7]
	s_nop 0
	v_mfma_f32_16x16x4f32 a[0:3], v8, v18, a[0:3]
	s_movk_i32 s4, 0x7f
	v_cmp_gt_i16_sdwa s[6:7], v13, s4 src0_sel:BYTE_3 src1_sel:DWORD
	s_mov_b64 s[4:5], 0
                                        ; implicit-def: $sgpr10
	s_and_saveexec_b64 s[8:9], s[6:7]
	s_xor_b64 s[6:7], exec, s[8:9]
	s_cbranch_execnz .LBB4_3897
; %bb.1849:
	s_or_saveexec_b64 s[6:7], s[6:7]
	v_mov_b32_e32 v8, s10
	s_xor_b64 exec, exec, s[6:7]
	s_cbranch_execnz .LBB4_3900
.LBB4_1850:
	s_or_b64 exec, exec, s[6:7]
	s_and_saveexec_b64 s[6:7], s[4:5]
	s_cbranch_execz .LBB4_1852
.LBB4_1851:
	v_bfe_u32 v8, v13, 24, 3
	v_ffbh_u32_e32 v20, v8
	v_min_u32_e32 v20, 32, v20
	v_lshrrev_b32_e32 v18, 27, v13
	v_subrev_u32_e32 v21, 28, v20
	v_and_b32_e32 v12, 0x80000000, v13
	v_and_b32_e32 v18, 15, v18
	v_bfe_u32 v19, v13, 27, 4
	v_lshlrev_b32_sdwa v13, v21, v13 dst_sel:DWORD dst_unused:UNUSED_PAD src0_sel:DWORD src1_sel:BYTE_3
	v_sub_u32_e32 v20, 29, v20
	v_and_b32_e32 v13, 7, v13
	v_cmp_eq_u16_e32 vcc, 0, v18
	v_cndmask_b32_e32 v8, v8, v13, vcc
	v_cndmask_b32_e32 v13, v19, v20, vcc
	v_mov_b32_e32 v18, 0x3b800000
	v_lshlrev_b32_e32 v8, 20, v8
	v_lshl_add_u32 v13, v13, 23, v18
	v_or3_b32 v8, v12, v13, v8
.LBB4_1852:
	s_or_b64 exec, exec, s[6:7]
	s_movk_i32 s4, 0x7f
	v_cmp_gt_i16_sdwa s[6:7], v9, s4 src0_sel:BYTE_3 src1_sel:DWORD
	s_mov_b64 s[4:5], 0
                                        ; implicit-def: $sgpr10
	s_and_saveexec_b64 s[8:9], s[6:7]
	s_xor_b64 s[6:7], exec, s[8:9]
	s_cbranch_execnz .LBB4_3901
; %bb.1853:
	s_or_saveexec_b64 s[6:7], s[6:7]
	v_mov_b32_e32 v12, s10
	s_xor_b64 exec, exec, s[6:7]
	s_cbranch_execnz .LBB4_3904
.LBB4_1854:
	s_or_b64 exec, exec, s[6:7]
	s_and_saveexec_b64 s[6:7], s[4:5]
	s_cbranch_execz .LBB4_1856
.LBB4_1855:
	v_bfe_u32 v12, v9, 24, 3
	v_ffbh_u32_e32 v20, v12
	v_min_u32_e32 v20, 32, v20
	v_lshrrev_b32_e32 v18, 27, v9
	v_subrev_u32_e32 v21, 28, v20
	v_and_b32_e32 v13, 0x80000000, v9
	v_and_b32_e32 v18, 15, v18
	v_bfe_u32 v19, v9, 27, 4
	v_lshlrev_b32_sdwa v9, v21, v9 dst_sel:DWORD dst_unused:UNUSED_PAD src0_sel:DWORD src1_sel:BYTE_3
	v_sub_u32_e32 v20, 29, v20
	v_and_b32_e32 v9, 7, v9
	v_cmp_eq_u16_e32 vcc, 0, v18
	v_cndmask_b32_e32 v9, v12, v9, vcc
	v_cndmask_b32_e32 v12, v19, v20, vcc
	v_mov_b32_e32 v18, 0x3b800000
	v_lshlrev_b32_e32 v9, 20, v9
	v_lshl_add_u32 v12, v12, 23, v18
	v_or3_b32 v12, v13, v12, v9
.LBB4_1856:
	s_or_b64 exec, exec, s[6:7]
	s_nop 0
	v_mfma_f32_16x16x4f32 a[0:3], v8, v12, a[0:3]
	s_movk_i32 s4, 0x7f
	v_cmp_gt_i16_sdwa s[6:7], v14, s4 src0_sel:BYTE_0 src1_sel:DWORD
	s_mov_b64 s[4:5], 0
                                        ; implicit-def: $sgpr10
	s_and_saveexec_b64 s[8:9], s[6:7]
	s_xor_b64 s[6:7], exec, s[8:9]
	s_cbranch_execnz .LBB4_3905
; %bb.1857:
	s_or_saveexec_b64 s[6:7], s[6:7]
	v_mov_b32_e32 v8, s10
	s_xor_b64 exec, exec, s[6:7]
	s_cbranch_execnz .LBB4_3908
.LBB4_1858:
	s_or_b64 exec, exec, s[6:7]
	s_and_saveexec_b64 s[6:7], s[4:5]
	s_cbranch_execz .LBB4_1860
.LBB4_1859:
	v_and_b32_e32 v8, 7, v14
	v_ffbh_u32_e32 v12, v8
	v_min_u32_e32 v12, 32, v12
	v_lshrrev_b16_e32 v9, 3, v14
	v_subrev_u32_e32 v13, 28, v12
	v_and_b32_e32 v9, 15, v9
	v_lshlrev_b32_e32 v13, v13, v14
	v_sub_u32_e32 v12, 29, v12
	v_and_b32_e32 v13, 7, v13
	v_cmp_eq_u16_e32 vcc, 0, v9
	v_cndmask_b32_e32 v8, v8, v13, vcc
	v_cndmask_b32_e32 v9, v9, v12, vcc
	v_lshlrev_b32_e32 v12, 24, v14
	v_mov_b32_e32 v13, 0x3b800000
	v_lshlrev_b32_e32 v8, 20, v8
	v_and_b32_e32 v12, 0x80000000, v12
	v_lshl_add_u32 v9, v9, 23, v13
	v_or3_b32 v8, v12, v9, v8
.LBB4_1860:
	s_or_b64 exec, exec, s[6:7]
	s_movk_i32 s4, 0x7f
	v_cmp_gt_i16_sdwa s[6:7], v10, s4 src0_sel:BYTE_0 src1_sel:DWORD
	s_mov_b64 s[4:5], 0
                                        ; implicit-def: $sgpr10
	s_and_saveexec_b64 s[8:9], s[6:7]
	s_xor_b64 s[6:7], exec, s[8:9]
	s_cbranch_execnz .LBB4_3909
; %bb.1861:
	s_or_saveexec_b64 s[6:7], s[6:7]
	v_mov_b32_e32 v9, s10
	s_xor_b64 exec, exec, s[6:7]
	s_cbranch_execnz .LBB4_3912
.LBB4_1862:
	s_or_b64 exec, exec, s[6:7]
	s_and_saveexec_b64 s[6:7], s[4:5]
	s_cbranch_execz .LBB4_1864
.LBB4_1863:
	v_and_b32_e32 v9, 7, v10
	v_ffbh_u32_e32 v13, v9
	v_min_u32_e32 v13, 32, v13
	v_lshrrev_b16_e32 v12, 3, v10
	v_subrev_u32_e32 v18, 28, v13
	v_and_b32_e32 v12, 15, v12
	v_lshlrev_b32_e32 v18, v18, v10
	v_sub_u32_e32 v13, 29, v13
	v_and_b32_e32 v18, 7, v18
	v_cmp_eq_u16_e32 vcc, 0, v12
	v_cndmask_b32_e32 v9, v9, v18, vcc
	v_cndmask_b32_e32 v12, v12, v13, vcc
	v_lshlrev_b32_e32 v13, 24, v10
	v_mov_b32_e32 v18, 0x3b800000
	v_lshlrev_b32_e32 v9, 20, v9
	v_and_b32_e32 v13, 0x80000000, v13
	v_lshl_add_u32 v12, v12, 23, v18
	v_or3_b32 v9, v13, v12, v9
.LBB4_1864:
	s_or_b64 exec, exec, s[6:7]
	s_nop 0
	v_mfma_f32_16x16x4f32 a[0:3], v8, v9, a[0:3]
	v_lshrrev_b32_e32 v9, 8, v14
	s_movk_i32 s4, 0x7f
	v_cmp_gt_i16_sdwa s[6:7], v9, s4 src0_sel:BYTE_0 src1_sel:DWORD
	s_mov_b64 s[4:5], 0
                                        ; implicit-def: $sgpr10
	s_and_saveexec_b64 s[8:9], s[6:7]
	s_xor_b64 s[6:7], exec, s[8:9]
	s_cbranch_execnz .LBB4_3913
; %bb.1865:
	s_or_saveexec_b64 s[6:7], s[6:7]
	v_mov_b32_e32 v8, s10
	s_xor_b64 exec, exec, s[6:7]
	s_cbranch_execnz .LBB4_3916
.LBB4_1866:
	s_or_b64 exec, exec, s[6:7]
	s_and_saveexec_b64 s[6:7], s[4:5]
	s_cbranch_execz .LBB4_1868
.LBB4_1867:
	v_bfe_u32 v8, v14, 8, 3
	v_ffbh_u32_e32 v13, v8
	v_min_u32_e32 v13, 32, v13
	v_lshrrev_b16_e32 v12, 3, v9
	v_subrev_u32_e32 v18, 28, v13
	v_and_b32_e32 v12, 15, v12
	v_lshlrev_b32_e32 v9, v18, v9
	v_sub_u32_e32 v13, 29, v13
	v_and_b32_e32 v9, 7, v9
	v_cmp_eq_u16_e32 vcc, 0, v12
	v_cndmask_b32_e32 v8, v8, v9, vcc
	v_cndmask_b32_e32 v9, v12, v13, vcc
	v_lshlrev_b32_e32 v12, 16, v14
	v_mov_b32_e32 v13, 0x3b800000
	v_lshlrev_b32_e32 v8, 20, v8
	v_and_b32_e32 v12, 0x80000000, v12
	v_lshl_add_u32 v9, v9, 23, v13
	v_or3_b32 v8, v12, v9, v8
.LBB4_1868:
	s_or_b64 exec, exec, s[6:7]
	v_lshrrev_b32_e32 v9, 8, v10
	s_movk_i32 s4, 0x7f
	v_cmp_gt_i16_sdwa s[6:7], v9, s4 src0_sel:BYTE_0 src1_sel:DWORD
	s_mov_b64 s[4:5], 0
                                        ; implicit-def: $sgpr10
	s_and_saveexec_b64 s[8:9], s[6:7]
	s_xor_b64 s[6:7], exec, s[8:9]
	s_cbranch_execnz .LBB4_3917
; %bb.1869:
	s_or_saveexec_b64 s[6:7], s[6:7]
	v_mov_b32_e32 v12, s10
	s_xor_b64 exec, exec, s[6:7]
	s_cbranch_execnz .LBB4_3920
.LBB4_1870:
	s_or_b64 exec, exec, s[6:7]
	s_and_saveexec_b64 s[6:7], s[4:5]
	s_cbranch_execz .LBB4_1872
.LBB4_1871:
	v_bfe_u32 v12, v10, 8, 3
	v_ffbh_u32_e32 v18, v12
	v_min_u32_e32 v18, 32, v18
	v_lshrrev_b16_e32 v13, 3, v9
	v_subrev_u32_e32 v19, 28, v18
	v_and_b32_e32 v13, 15, v13
	v_lshlrev_b32_e32 v9, v19, v9
	v_sub_u32_e32 v18, 29, v18
	v_and_b32_e32 v9, 7, v9
	v_cmp_eq_u16_e32 vcc, 0, v13
	v_cndmask_b32_e32 v9, v12, v9, vcc
	v_cndmask_b32_e32 v12, v13, v18, vcc
	v_lshlrev_b32_e32 v13, 16, v10
	v_mov_b32_e32 v18, 0x3b800000
	v_lshlrev_b32_e32 v9, 20, v9
	v_and_b32_e32 v13, 0x80000000, v13
	v_lshl_add_u32 v12, v12, 23, v18
	v_or3_b32 v12, v13, v12, v9
.LBB4_1872:
	s_or_b64 exec, exec, s[6:7]
	s_nop 0
	v_mfma_f32_16x16x4f32 a[0:3], v8, v12, a[0:3]
	s_movk_i32 s4, 0xff
	v_and_b32_sdwa v9, v14, s4 dst_sel:DWORD dst_unused:UNUSED_PAD src0_sel:WORD_1 src1_sel:DWORD
	s_movk_i32 s4, 0x7f
	v_cmp_lt_i16_e32 vcc, s4, v9
	s_mov_b64 s[4:5], 0
                                        ; implicit-def: $sgpr10
	s_and_saveexec_b64 s[6:7], vcc
	s_xor_b64 s[6:7], exec, s[6:7]
	s_cbranch_execnz .LBB4_3921
; %bb.1873:
	s_or_saveexec_b64 s[6:7], s[6:7]
	v_mov_b32_e32 v8, s10
	s_xor_b64 exec, exec, s[6:7]
	s_cbranch_execnz .LBB4_3924
.LBB4_1874:
	s_or_b64 exec, exec, s[6:7]
	s_and_saveexec_b64 s[6:7], s[4:5]
	s_cbranch_execz .LBB4_1876
.LBB4_1875:
	v_bfe_u32 v8, v14, 16, 3
	v_ffbh_u32_e32 v13, v8
	v_min_u32_e32 v13, 32, v13
	v_lshrrev_b32_e32 v9, 19, v14
	v_subrev_u32_e32 v18, 28, v13
	v_and_b32_e32 v9, 15, v9
	v_lshlrev_b32_sdwa v18, v18, v14 dst_sel:DWORD dst_unused:UNUSED_PAD src0_sel:DWORD src1_sel:WORD_1
	v_bfe_u32 v12, v14, 19, 4
	v_sub_u32_e32 v13, 29, v13
	v_and_b32_e32 v18, 7, v18
	v_cmp_eq_u16_e32 vcc, 0, v9
	v_cndmask_b32_e32 v8, v8, v18, vcc
	v_cndmask_b32_e32 v9, v12, v13, vcc
	v_lshlrev_b32_e32 v12, 8, v14
	v_mov_b32_e32 v13, 0x3b800000
	v_lshlrev_b32_e32 v8, 20, v8
	v_and_b32_e32 v12, 0x80000000, v12
	v_lshl_add_u32 v9, v9, 23, v13
	v_or3_b32 v8, v12, v9, v8
.LBB4_1876:
	s_or_b64 exec, exec, s[6:7]
	s_movk_i32 s4, 0xff
	v_and_b32_sdwa v9, v10, s4 dst_sel:DWORD dst_unused:UNUSED_PAD src0_sel:WORD_1 src1_sel:DWORD
	s_movk_i32 s4, 0x7f
	v_cmp_lt_i16_e32 vcc, s4, v9
	s_mov_b64 s[4:5], 0
                                        ; implicit-def: $sgpr10
	s_and_saveexec_b64 s[6:7], vcc
	s_xor_b64 s[6:7], exec, s[6:7]
	s_cbranch_execnz .LBB4_3925
; %bb.1877:
	s_or_saveexec_b64 s[6:7], s[6:7]
	v_mov_b32_e32 v12, s10
	s_xor_b64 exec, exec, s[6:7]
	s_cbranch_execnz .LBB4_3928
.LBB4_1878:
	s_or_b64 exec, exec, s[6:7]
	s_and_saveexec_b64 s[6:7], s[4:5]
	s_cbranch_execz .LBB4_1880
.LBB4_1879:
	v_bfe_u32 v9, v10, 16, 3
	v_ffbh_u32_e32 v18, v9
	v_min_u32_e32 v18, 32, v18
	v_lshrrev_b32_e32 v12, 19, v10
	v_subrev_u32_e32 v19, 28, v18
	v_and_b32_e32 v12, 15, v12
	v_lshlrev_b32_sdwa v19, v19, v10 dst_sel:DWORD dst_unused:UNUSED_PAD src0_sel:DWORD src1_sel:WORD_1
	v_bfe_u32 v13, v10, 19, 4
	v_sub_u32_e32 v18, 29, v18
	v_and_b32_e32 v19, 7, v19
	v_cmp_eq_u16_e32 vcc, 0, v12
	v_cndmask_b32_e32 v9, v9, v19, vcc
	v_cndmask_b32_e32 v12, v13, v18, vcc
	v_lshlrev_b32_e32 v13, 8, v10
	v_mov_b32_e32 v18, 0x3b800000
	v_lshlrev_b32_e32 v9, 20, v9
	v_and_b32_e32 v13, 0x80000000, v13
	v_lshl_add_u32 v12, v12, 23, v18
	v_or3_b32 v12, v13, v12, v9
.LBB4_1880:
	s_or_b64 exec, exec, s[6:7]
	s_nop 0
	v_mfma_f32_16x16x4f32 a[0:3], v8, v12, a[0:3]
	s_movk_i32 s4, 0x7f
	v_cmp_gt_i16_sdwa s[6:7], v14, s4 src0_sel:BYTE_3 src1_sel:DWORD
	s_mov_b64 s[4:5], 0
                                        ; implicit-def: $sgpr10
	s_and_saveexec_b64 s[8:9], s[6:7]
	s_xor_b64 s[6:7], exec, s[8:9]
	s_cbranch_execnz .LBB4_3929
; %bb.1881:
	s_or_saveexec_b64 s[6:7], s[6:7]
	v_mov_b32_e32 v8, s10
	s_xor_b64 exec, exec, s[6:7]
	s_cbranch_execnz .LBB4_3932
.LBB4_1882:
	s_or_b64 exec, exec, s[6:7]
	s_and_saveexec_b64 s[6:7], s[4:5]
	s_cbranch_execz .LBB4_1884
.LBB4_1883:
	v_bfe_u32 v8, v14, 24, 3
	v_ffbh_u32_e32 v18, v8
	v_min_u32_e32 v18, 32, v18
	v_lshrrev_b32_e32 v12, 27, v14
	v_subrev_u32_e32 v19, 28, v18
	v_and_b32_e32 v9, 0x80000000, v14
	v_and_b32_e32 v12, 15, v12
	v_bfe_u32 v13, v14, 27, 4
	v_lshlrev_b32_sdwa v14, v19, v14 dst_sel:DWORD dst_unused:UNUSED_PAD src0_sel:DWORD src1_sel:BYTE_3
	v_sub_u32_e32 v18, 29, v18
	v_and_b32_e32 v14, 7, v14
	v_cmp_eq_u16_e32 vcc, 0, v12
	v_cndmask_b32_e32 v8, v8, v14, vcc
	v_cndmask_b32_e32 v12, v13, v18, vcc
	v_mov_b32_e32 v13, 0x3b800000
	v_lshlrev_b32_e32 v8, 20, v8
	v_lshl_add_u32 v12, v12, 23, v13
	v_or3_b32 v8, v9, v12, v8
.LBB4_1884:
	s_or_b64 exec, exec, s[6:7]
	s_movk_i32 s4, 0x7f
	v_cmp_gt_i16_sdwa s[6:7], v10, s4 src0_sel:BYTE_3 src1_sel:DWORD
	s_mov_b64 s[4:5], 0
                                        ; implicit-def: $sgpr10
	s_and_saveexec_b64 s[8:9], s[6:7]
	s_xor_b64 s[6:7], exec, s[8:9]
	s_cbranch_execnz .LBB4_3933
; %bb.1885:
	s_or_saveexec_b64 s[6:7], s[6:7]
	v_mov_b32_e32 v9, s10
	s_xor_b64 exec, exec, s[6:7]
	s_cbranch_execnz .LBB4_3936
.LBB4_1886:
	s_or_b64 exec, exec, s[6:7]
	s_and_saveexec_b64 s[6:7], s[4:5]
	s_cbranch_execz .LBB4_1888
.LBB4_1887:
	v_bfe_u32 v9, v10, 24, 3
	v_ffbh_u32_e32 v18, v9
	v_min_u32_e32 v18, 32, v18
	v_lshrrev_b32_e32 v13, 27, v10
	v_subrev_u32_e32 v19, 28, v18
	v_and_b32_e32 v12, 0x80000000, v10
	v_and_b32_e32 v13, 15, v13
	v_bfe_u32 v14, v10, 27, 4
	v_lshlrev_b32_sdwa v10, v19, v10 dst_sel:DWORD dst_unused:UNUSED_PAD src0_sel:DWORD src1_sel:BYTE_3
	v_sub_u32_e32 v18, 29, v18
	v_and_b32_e32 v10, 7, v10
	v_cmp_eq_u16_e32 vcc, 0, v13
	v_cndmask_b32_e32 v9, v9, v10, vcc
	v_cndmask_b32_e32 v10, v14, v18, vcc
	v_mov_b32_e32 v13, 0x3b800000
	v_lshlrev_b32_e32 v9, 20, v9
	v_lshl_add_u32 v10, v10, 23, v13
	v_or3_b32 v9, v12, v10, v9
.LBB4_1888:
	s_or_b64 exec, exec, s[6:7]
	s_nop 0
	v_mfma_f32_16x16x4f32 a[0:3], v8, v9, a[0:3]
	s_movk_i32 s4, 0x7f
	v_cmp_gt_i16_sdwa s[6:7], v15, s4 src0_sel:BYTE_0 src1_sel:DWORD
	s_mov_b64 s[4:5], 0
                                        ; implicit-def: $sgpr10
	s_and_saveexec_b64 s[8:9], s[6:7]
	s_xor_b64 s[6:7], exec, s[8:9]
	s_cbranch_execnz .LBB4_3937
; %bb.1889:
	s_or_saveexec_b64 s[6:7], s[6:7]
	v_mov_b32_e32 v8, s10
	s_xor_b64 exec, exec, s[6:7]
	s_cbranch_execnz .LBB4_3940
.LBB4_1890:
	s_or_b64 exec, exec, s[6:7]
	s_and_saveexec_b64 s[6:7], s[4:5]
	s_cbranch_execz .LBB4_1892
.LBB4_1891:
	v_and_b32_e32 v8, 7, v15
	v_ffbh_u32_e32 v10, v8
	v_min_u32_e32 v10, 32, v10
	v_lshrrev_b16_e32 v9, 3, v15
	v_subrev_u32_e32 v12, 28, v10
	v_and_b32_e32 v9, 15, v9
	v_lshlrev_b32_e32 v12, v12, v15
	v_sub_u32_e32 v10, 29, v10
	v_and_b32_e32 v12, 7, v12
	v_cmp_eq_u16_e32 vcc, 0, v9
	v_cndmask_b32_e32 v8, v8, v12, vcc
	v_cndmask_b32_e32 v9, v9, v10, vcc
	v_lshlrev_b32_e32 v10, 24, v15
	v_mov_b32_e32 v12, 0x3b800000
	v_lshlrev_b32_e32 v8, 20, v8
	v_and_b32_e32 v10, 0x80000000, v10
	v_lshl_add_u32 v9, v9, 23, v12
	v_or3_b32 v8, v10, v9, v8
.LBB4_1892:
	s_or_b64 exec, exec, s[6:7]
	s_movk_i32 s4, 0x7f
	v_cmp_gt_i16_sdwa s[6:7], v11, s4 src0_sel:BYTE_0 src1_sel:DWORD
	s_mov_b64 s[4:5], 0
                                        ; implicit-def: $sgpr10
	s_and_saveexec_b64 s[8:9], s[6:7]
	s_xor_b64 s[6:7], exec, s[8:9]
	s_cbranch_execnz .LBB4_3941
; %bb.1893:
	s_or_saveexec_b64 s[6:7], s[6:7]
	v_mov_b32_e32 v9, s10
	s_xor_b64 exec, exec, s[6:7]
	s_cbranch_execnz .LBB4_3944
.LBB4_1894:
	s_or_b64 exec, exec, s[6:7]
	s_and_saveexec_b64 s[6:7], s[4:5]
	s_cbranch_execz .LBB4_1896
.LBB4_1895:
	v_and_b32_e32 v9, 7, v11
	v_ffbh_u32_e32 v12, v9
	v_min_u32_e32 v12, 32, v12
	v_lshrrev_b16_e32 v10, 3, v11
	v_subrev_u32_e32 v13, 28, v12
	v_and_b32_e32 v10, 15, v10
	v_lshlrev_b32_e32 v13, v13, v11
	v_sub_u32_e32 v12, 29, v12
	v_and_b32_e32 v13, 7, v13
	v_cmp_eq_u16_e32 vcc, 0, v10
	v_cndmask_b32_e32 v9, v9, v13, vcc
	v_cndmask_b32_e32 v10, v10, v12, vcc
	v_lshlrev_b32_e32 v12, 24, v11
	v_mov_b32_e32 v13, 0x3b800000
	v_lshlrev_b32_e32 v9, 20, v9
	v_and_b32_e32 v12, 0x80000000, v12
	v_lshl_add_u32 v10, v10, 23, v13
	v_or3_b32 v9, v12, v10, v9
.LBB4_1896:
	s_or_b64 exec, exec, s[6:7]
	s_nop 0
	v_mfma_f32_16x16x4f32 a[0:3], v8, v9, a[0:3]
	v_lshrrev_b32_e32 v9, 8, v15
	s_movk_i32 s4, 0x7f
	v_cmp_gt_i16_sdwa s[6:7], v9, s4 src0_sel:BYTE_0 src1_sel:DWORD
	s_mov_b64 s[4:5], 0
                                        ; implicit-def: $sgpr10
	s_and_saveexec_b64 s[8:9], s[6:7]
	s_xor_b64 s[6:7], exec, s[8:9]
	s_cbranch_execnz .LBB4_3945
; %bb.1897:
	s_or_saveexec_b64 s[6:7], s[6:7]
	v_mov_b32_e32 v8, s10
	s_xor_b64 exec, exec, s[6:7]
	s_cbranch_execnz .LBB4_3948
.LBB4_1898:
	s_or_b64 exec, exec, s[6:7]
	s_and_saveexec_b64 s[6:7], s[4:5]
	s_cbranch_execz .LBB4_1900
.LBB4_1899:
	v_bfe_u32 v8, v15, 8, 3
	v_ffbh_u32_e32 v12, v8
	v_min_u32_e32 v12, 32, v12
	v_lshrrev_b16_e32 v10, 3, v9
	v_subrev_u32_e32 v13, 28, v12
	v_and_b32_e32 v10, 15, v10
	v_lshlrev_b32_e32 v9, v13, v9
	v_sub_u32_e32 v12, 29, v12
	v_and_b32_e32 v9, 7, v9
	v_cmp_eq_u16_e32 vcc, 0, v10
	v_cndmask_b32_e32 v8, v8, v9, vcc
	v_cndmask_b32_e32 v9, v10, v12, vcc
	v_lshlrev_b32_e32 v10, 16, v15
	v_mov_b32_e32 v12, 0x3b800000
	v_lshlrev_b32_e32 v8, 20, v8
	v_and_b32_e32 v10, 0x80000000, v10
	v_lshl_add_u32 v9, v9, 23, v12
	v_or3_b32 v8, v10, v9, v8
.LBB4_1900:
	s_or_b64 exec, exec, s[6:7]
	v_lshrrev_b32_e32 v9, 8, v11
	s_movk_i32 s4, 0x7f
	v_cmp_gt_i16_sdwa s[6:7], v9, s4 src0_sel:BYTE_0 src1_sel:DWORD
	s_mov_b64 s[4:5], 0
                                        ; implicit-def: $sgpr10
	s_and_saveexec_b64 s[8:9], s[6:7]
	s_xor_b64 s[6:7], exec, s[8:9]
	s_cbranch_execnz .LBB4_3949
; %bb.1901:
	s_or_saveexec_b64 s[6:7], s[6:7]
	v_mov_b32_e32 v10, s10
	s_xor_b64 exec, exec, s[6:7]
	s_cbranch_execnz .LBB4_3952
.LBB4_1902:
	s_or_b64 exec, exec, s[6:7]
	s_and_saveexec_b64 s[6:7], s[4:5]
	s_cbranch_execz .LBB4_1904
.LBB4_1903:
	v_bfe_u32 v10, v11, 8, 3
	v_ffbh_u32_e32 v13, v10
	v_min_u32_e32 v13, 32, v13
	v_lshrrev_b16_e32 v12, 3, v9
	v_subrev_u32_e32 v14, 28, v13
	v_and_b32_e32 v12, 15, v12
	v_lshlrev_b32_e32 v9, v14, v9
	v_sub_u32_e32 v13, 29, v13
	v_and_b32_e32 v9, 7, v9
	v_cmp_eq_u16_e32 vcc, 0, v12
	v_cndmask_b32_e32 v9, v10, v9, vcc
	v_cndmask_b32_e32 v10, v12, v13, vcc
	v_lshlrev_b32_e32 v12, 16, v11
	v_mov_b32_e32 v13, 0x3b800000
	v_lshlrev_b32_e32 v9, 20, v9
	v_and_b32_e32 v12, 0x80000000, v12
	v_lshl_add_u32 v10, v10, 23, v13
	v_or3_b32 v10, v12, v10, v9
.LBB4_1904:
	s_or_b64 exec, exec, s[6:7]
	s_nop 0
	v_mfma_f32_16x16x4f32 a[0:3], v8, v10, a[0:3]
	s_movk_i32 s4, 0xff
	v_and_b32_sdwa v9, v15, s4 dst_sel:DWORD dst_unused:UNUSED_PAD src0_sel:WORD_1 src1_sel:DWORD
	s_movk_i32 s4, 0x7f
	v_cmp_lt_i16_e32 vcc, s4, v9
	s_mov_b64 s[4:5], 0
                                        ; implicit-def: $sgpr10
	s_and_saveexec_b64 s[6:7], vcc
	s_xor_b64 s[6:7], exec, s[6:7]
	s_cbranch_execnz .LBB4_3953
; %bb.1905:
	s_or_saveexec_b64 s[6:7], s[6:7]
	v_mov_b32_e32 v8, s10
	s_xor_b64 exec, exec, s[6:7]
	s_cbranch_execnz .LBB4_3956
.LBB4_1906:
	s_or_b64 exec, exec, s[6:7]
	s_and_saveexec_b64 s[6:7], s[4:5]
	s_cbranch_execz .LBB4_1908
.LBB4_1907:
	v_bfe_u32 v8, v15, 16, 3
	v_ffbh_u32_e32 v12, v8
	v_min_u32_e32 v12, 32, v12
	v_lshrrev_b32_e32 v9, 19, v15
	v_subrev_u32_e32 v13, 28, v12
	v_and_b32_e32 v9, 15, v9
	v_lshlrev_b32_sdwa v13, v13, v15 dst_sel:DWORD dst_unused:UNUSED_PAD src0_sel:DWORD src1_sel:WORD_1
	v_bfe_u32 v10, v15, 19, 4
	v_sub_u32_e32 v12, 29, v12
	v_and_b32_e32 v13, 7, v13
	v_cmp_eq_u16_e32 vcc, 0, v9
	v_cndmask_b32_e32 v8, v8, v13, vcc
	v_cndmask_b32_e32 v9, v10, v12, vcc
	v_lshlrev_b32_e32 v10, 8, v15
	v_mov_b32_e32 v12, 0x3b800000
	v_lshlrev_b32_e32 v8, 20, v8
	v_and_b32_e32 v10, 0x80000000, v10
	v_lshl_add_u32 v9, v9, 23, v12
	v_or3_b32 v8, v10, v9, v8
.LBB4_1908:
	s_or_b64 exec, exec, s[6:7]
	s_movk_i32 s4, 0xff
	v_and_b32_sdwa v9, v11, s4 dst_sel:DWORD dst_unused:UNUSED_PAD src0_sel:WORD_1 src1_sel:DWORD
	s_movk_i32 s4, 0x7f
	v_cmp_lt_i16_e32 vcc, s4, v9
	s_mov_b64 s[4:5], 0
                                        ; implicit-def: $sgpr10
	s_and_saveexec_b64 s[6:7], vcc
	s_xor_b64 s[6:7], exec, s[6:7]
	s_cbranch_execnz .LBB4_3957
; %bb.1909:
	s_or_saveexec_b64 s[6:7], s[6:7]
	v_mov_b32_e32 v10, s10
	s_xor_b64 exec, exec, s[6:7]
	s_cbranch_execnz .LBB4_3960
.LBB4_1910:
	s_or_b64 exec, exec, s[6:7]
	s_and_saveexec_b64 s[6:7], s[4:5]
	s_cbranch_execz .LBB4_1912
.LBB4_1911:
	v_bfe_u32 v9, v11, 16, 3
	v_ffbh_u32_e32 v13, v9
	v_min_u32_e32 v13, 32, v13
	v_lshrrev_b32_e32 v10, 19, v11
	v_subrev_u32_e32 v14, 28, v13
	v_and_b32_e32 v10, 15, v10
	v_lshlrev_b32_sdwa v14, v14, v11 dst_sel:DWORD dst_unused:UNUSED_PAD src0_sel:DWORD src1_sel:WORD_1
	v_bfe_u32 v12, v11, 19, 4
	v_sub_u32_e32 v13, 29, v13
	v_and_b32_e32 v14, 7, v14
	v_cmp_eq_u16_e32 vcc, 0, v10
	v_cndmask_b32_e32 v9, v9, v14, vcc
	v_cndmask_b32_e32 v10, v12, v13, vcc
	v_lshlrev_b32_e32 v12, 8, v11
	v_mov_b32_e32 v13, 0x3b800000
	v_lshlrev_b32_e32 v9, 20, v9
	v_and_b32_e32 v12, 0x80000000, v12
	v_lshl_add_u32 v10, v10, 23, v13
	v_or3_b32 v10, v12, v10, v9
.LBB4_1912:
	s_or_b64 exec, exec, s[6:7]
	s_nop 0
	v_mfma_f32_16x16x4f32 a[0:3], v8, v10, a[0:3]
	s_movk_i32 s4, 0x7f
	v_cmp_gt_i16_sdwa s[6:7], v15, s4 src0_sel:BYTE_3 src1_sel:DWORD
	s_mov_b64 s[4:5], 0
                                        ; implicit-def: $sgpr10
	s_and_saveexec_b64 s[8:9], s[6:7]
	s_xor_b64 s[6:7], exec, s[8:9]
	s_cbranch_execnz .LBB4_3961
; %bb.1913:
	s_or_saveexec_b64 s[6:7], s[6:7]
	v_mov_b32_e32 v8, s10
	s_xor_b64 exec, exec, s[6:7]
	s_cbranch_execnz .LBB4_3964
.LBB4_1914:
	s_or_b64 exec, exec, s[6:7]
	s_and_saveexec_b64 s[6:7], s[4:5]
	s_cbranch_execz .LBB4_1916
.LBB4_1915:
	v_bfe_u32 v8, v15, 24, 3
	v_ffbh_u32_e32 v13, v8
	v_min_u32_e32 v13, 32, v13
	v_lshrrev_b32_e32 v10, 27, v15
	v_subrev_u32_e32 v14, 28, v13
	v_and_b32_e32 v10, 15, v10
	v_lshlrev_b32_sdwa v14, v14, v15 dst_sel:DWORD dst_unused:UNUSED_PAD src0_sel:DWORD src1_sel:BYTE_3
	v_bfe_u32 v12, v15, 27, 4
	v_sub_u32_e32 v13, 29, v13
	v_and_b32_e32 v14, 7, v14
	v_cmp_eq_u16_e32 vcc, 0, v10
	v_cndmask_b32_e32 v8, v8, v14, vcc
	v_cndmask_b32_e32 v10, v12, v13, vcc
	v_mov_b32_e32 v12, 0x3b800000
	v_and_b32_e32 v9, 0x80000000, v15
	v_lshlrev_b32_e32 v8, 20, v8
	v_lshl_add_u32 v10, v10, 23, v12
	v_or3_b32 v8, v9, v10, v8
.LBB4_1916:
	s_or_b64 exec, exec, s[6:7]
	s_movk_i32 s4, 0x7f
	v_cmp_gt_i16_sdwa s[6:7], v11, s4 src0_sel:BYTE_3 src1_sel:DWORD
	s_mov_b64 s[4:5], 0
                                        ; implicit-def: $sgpr10
	s_and_saveexec_b64 s[8:9], s[6:7]
	s_xor_b64 s[6:7], exec, s[8:9]
	s_cbranch_execnz .LBB4_3965
; %bb.1917:
	s_or_saveexec_b64 s[6:7], s[6:7]
	v_mov_b32_e32 v9, s10
	s_xor_b64 exec, exec, s[6:7]
	s_cbranch_execnz .LBB4_3968
.LBB4_1918:
	s_or_b64 exec, exec, s[6:7]
	s_and_saveexec_b64 s[6:7], s[4:5]
	s_cbranch_execz .LBB4_1920
.LBB4_1919:
	v_bfe_u32 v9, v11, 24, 3
	v_ffbh_u32_e32 v14, v9
	v_min_u32_e32 v14, 32, v14
	v_lshrrev_b32_e32 v12, 27, v11
	v_subrev_u32_e32 v15, 28, v14
	v_and_b32_e32 v10, 0x80000000, v11
	v_and_b32_e32 v12, 15, v12
	v_bfe_u32 v13, v11, 27, 4
	v_lshlrev_b32_sdwa v11, v15, v11 dst_sel:DWORD dst_unused:UNUSED_PAD src0_sel:DWORD src1_sel:BYTE_3
	v_sub_u32_e32 v14, 29, v14
	v_and_b32_e32 v11, 7, v11
	v_cmp_eq_u16_e32 vcc, 0, v12
	v_cndmask_b32_e32 v9, v9, v11, vcc
	v_cndmask_b32_e32 v11, v13, v14, vcc
	v_mov_b32_e32 v12, 0x3b800000
	v_lshlrev_b32_e32 v9, 20, v9
	v_lshl_add_u32 v11, v11, 23, v12
	v_or3_b32 v9, v10, v11, v9
.LBB4_1920:
	s_or_b64 exec, exec, s[6:7]
	s_nop 0
	v_mfma_f32_16x16x4f32 a[0:3], v8, v9, a[0:3]
	s_movk_i32 s4, 0x7f
	v_cmp_gt_i16_sdwa s[6:7], v4, s4 src0_sel:BYTE_0 src1_sel:DWORD
	s_mov_b64 s[4:5], 0
                                        ; implicit-def: $sgpr10
	s_and_saveexec_b64 s[8:9], s[6:7]
	s_xor_b64 s[6:7], exec, s[8:9]
	s_cbranch_execnz .LBB4_3969
; %bb.1921:
	s_or_saveexec_b64 s[6:7], s[6:7]
	v_mov_b32_e32 v8, s10
	s_xor_b64 exec, exec, s[6:7]
	s_cbranch_execnz .LBB4_3972
.LBB4_1922:
	s_or_b64 exec, exec, s[6:7]
	s_and_saveexec_b64 s[6:7], s[4:5]
	s_cbranch_execz .LBB4_1924
.LBB4_1923:
	v_and_b32_e32 v8, 7, v4
	v_ffbh_u32_e32 v10, v8
	v_min_u32_e32 v10, 32, v10
	v_lshrrev_b16_e32 v9, 3, v4
	v_subrev_u32_e32 v11, 28, v10
	v_and_b32_e32 v9, 15, v9
	v_lshlrev_b32_e32 v11, v11, v4
	v_sub_u32_e32 v10, 29, v10
	v_and_b32_e32 v11, 7, v11
	v_cmp_eq_u16_e32 vcc, 0, v9
	v_cndmask_b32_e32 v8, v8, v11, vcc
	v_cndmask_b32_e32 v9, v9, v10, vcc
	v_lshlrev_b32_e32 v10, 24, v4
	v_mov_b32_e32 v11, 0x3b800000
	v_lshlrev_b32_e32 v8, 20, v8
	v_and_b32_e32 v10, 0x80000000, v10
	v_lshl_add_u32 v9, v9, 23, v11
	v_or3_b32 v8, v10, v9, v8
.LBB4_1924:
	s_or_b64 exec, exec, s[6:7]
	s_movk_i32 s4, 0x7f
	v_cmp_gt_i16_sdwa s[6:7], v0, s4 src0_sel:BYTE_0 src1_sel:DWORD
	s_mov_b64 s[4:5], 0
                                        ; implicit-def: $sgpr10
	s_and_saveexec_b64 s[8:9], s[6:7]
	s_xor_b64 s[6:7], exec, s[8:9]
	s_cbranch_execnz .LBB4_3973
; %bb.1925:
	s_or_saveexec_b64 s[6:7], s[6:7]
	v_mov_b32_e32 v9, s10
	s_xor_b64 exec, exec, s[6:7]
	s_cbranch_execnz .LBB4_3976
.LBB4_1926:
	s_or_b64 exec, exec, s[6:7]
	s_and_saveexec_b64 s[6:7], s[4:5]
	s_cbranch_execz .LBB4_1928
.LBB4_1927:
	v_and_b32_e32 v9, 7, v0
	v_ffbh_u32_e32 v11, v9
	v_min_u32_e32 v11, 32, v11
	v_lshrrev_b16_e32 v10, 3, v0
	v_subrev_u32_e32 v12, 28, v11
	v_and_b32_e32 v10, 15, v10
	v_lshlrev_b32_e32 v12, v12, v0
	v_sub_u32_e32 v11, 29, v11
	v_and_b32_e32 v12, 7, v12
	v_cmp_eq_u16_e32 vcc, 0, v10
	v_cndmask_b32_e32 v9, v9, v12, vcc
	v_cndmask_b32_e32 v10, v10, v11, vcc
	v_lshlrev_b32_e32 v11, 24, v0
	v_mov_b32_e32 v12, 0x3b800000
	v_lshlrev_b32_e32 v9, 20, v9
	v_and_b32_e32 v11, 0x80000000, v11
	v_lshl_add_u32 v10, v10, 23, v12
	v_or3_b32 v9, v11, v10, v9
.LBB4_1928:
	s_or_b64 exec, exec, s[6:7]
	s_nop 0
	v_mfma_f32_16x16x4f32 a[0:3], v8, v9, a[0:3]
	v_lshrrev_b32_e32 v9, 8, v4
	s_movk_i32 s4, 0x7f
	v_cmp_gt_i16_sdwa s[6:7], v9, s4 src0_sel:BYTE_0 src1_sel:DWORD
	s_mov_b64 s[4:5], 0
                                        ; implicit-def: $sgpr10
	s_and_saveexec_b64 s[8:9], s[6:7]
	s_xor_b64 s[6:7], exec, s[8:9]
	s_cbranch_execnz .LBB4_3977
; %bb.1929:
	s_or_saveexec_b64 s[6:7], s[6:7]
	v_mov_b32_e32 v8, s10
	s_xor_b64 exec, exec, s[6:7]
	s_cbranch_execnz .LBB4_3980
.LBB4_1930:
	s_or_b64 exec, exec, s[6:7]
	s_and_saveexec_b64 s[6:7], s[4:5]
	s_cbranch_execz .LBB4_1932
.LBB4_1931:
	v_bfe_u32 v8, v4, 8, 3
	v_ffbh_u32_e32 v11, v8
	v_min_u32_e32 v11, 32, v11
	v_lshrrev_b16_e32 v10, 3, v9
	v_subrev_u32_e32 v12, 28, v11
	v_and_b32_e32 v10, 15, v10
	v_lshlrev_b32_e32 v9, v12, v9
	v_sub_u32_e32 v11, 29, v11
	v_and_b32_e32 v9, 7, v9
	v_cmp_eq_u16_e32 vcc, 0, v10
	v_cndmask_b32_e32 v8, v8, v9, vcc
	v_cndmask_b32_e32 v9, v10, v11, vcc
	v_lshlrev_b32_e32 v10, 16, v4
	v_mov_b32_e32 v11, 0x3b800000
	v_lshlrev_b32_e32 v8, 20, v8
	v_and_b32_e32 v10, 0x80000000, v10
	v_lshl_add_u32 v9, v9, 23, v11
	v_or3_b32 v8, v10, v9, v8
.LBB4_1932:
	s_or_b64 exec, exec, s[6:7]
	v_lshrrev_b32_e32 v9, 8, v0
	s_movk_i32 s4, 0x7f
	v_cmp_gt_i16_sdwa s[6:7], v9, s4 src0_sel:BYTE_0 src1_sel:DWORD
	s_mov_b64 s[4:5], 0
                                        ; implicit-def: $sgpr10
	s_and_saveexec_b64 s[8:9], s[6:7]
	s_xor_b64 s[6:7], exec, s[8:9]
	s_cbranch_execnz .LBB4_3981
; %bb.1933:
	s_or_saveexec_b64 s[6:7], s[6:7]
	v_mov_b32_e32 v10, s10
	s_xor_b64 exec, exec, s[6:7]
	s_cbranch_execnz .LBB4_3984
.LBB4_1934:
	s_or_b64 exec, exec, s[6:7]
	s_and_saveexec_b64 s[6:7], s[4:5]
	s_cbranch_execz .LBB4_1936
.LBB4_1935:
	v_bfe_u32 v10, v0, 8, 3
	v_ffbh_u32_e32 v12, v10
	v_min_u32_e32 v12, 32, v12
	v_lshrrev_b16_e32 v11, 3, v9
	v_subrev_u32_e32 v13, 28, v12
	v_and_b32_e32 v11, 15, v11
	v_lshlrev_b32_e32 v9, v13, v9
	v_sub_u32_e32 v12, 29, v12
	v_and_b32_e32 v9, 7, v9
	v_cmp_eq_u16_e32 vcc, 0, v11
	v_cndmask_b32_e32 v9, v10, v9, vcc
	v_cndmask_b32_e32 v10, v11, v12, vcc
	v_lshlrev_b32_e32 v11, 16, v0
	v_mov_b32_e32 v12, 0x3b800000
	v_lshlrev_b32_e32 v9, 20, v9
	v_and_b32_e32 v11, 0x80000000, v11
	v_lshl_add_u32 v10, v10, 23, v12
	v_or3_b32 v10, v11, v10, v9
.LBB4_1936:
	s_or_b64 exec, exec, s[6:7]
	s_nop 0
	v_mfma_f32_16x16x4f32 a[0:3], v8, v10, a[0:3]
	s_movk_i32 s4, 0xff
	v_and_b32_sdwa v9, v4, s4 dst_sel:DWORD dst_unused:UNUSED_PAD src0_sel:WORD_1 src1_sel:DWORD
	s_movk_i32 s4, 0x7f
	v_cmp_lt_i16_e32 vcc, s4, v9
	s_mov_b64 s[4:5], 0
                                        ; implicit-def: $sgpr10
	s_and_saveexec_b64 s[6:7], vcc
	s_xor_b64 s[6:7], exec, s[6:7]
	s_cbranch_execnz .LBB4_3985
; %bb.1937:
	s_or_saveexec_b64 s[6:7], s[6:7]
	v_mov_b32_e32 v8, s10
	s_xor_b64 exec, exec, s[6:7]
	s_cbranch_execnz .LBB4_3988
.LBB4_1938:
	s_or_b64 exec, exec, s[6:7]
	s_and_saveexec_b64 s[6:7], s[4:5]
	s_cbranch_execz .LBB4_1940
.LBB4_1939:
	v_bfe_u32 v8, v4, 16, 3
	v_ffbh_u32_e32 v11, v8
	v_min_u32_e32 v11, 32, v11
	v_lshrrev_b32_e32 v9, 19, v4
	v_subrev_u32_e32 v12, 28, v11
	v_and_b32_e32 v9, 15, v9
	v_lshlrev_b32_sdwa v12, v12, v4 dst_sel:DWORD dst_unused:UNUSED_PAD src0_sel:DWORD src1_sel:WORD_1
	v_bfe_u32 v10, v4, 19, 4
	v_sub_u32_e32 v11, 29, v11
	v_and_b32_e32 v12, 7, v12
	v_cmp_eq_u16_e32 vcc, 0, v9
	v_cndmask_b32_e32 v8, v8, v12, vcc
	v_cndmask_b32_e32 v9, v10, v11, vcc
	v_lshlrev_b32_e32 v10, 8, v4
	v_mov_b32_e32 v11, 0x3b800000
	v_lshlrev_b32_e32 v8, 20, v8
	v_and_b32_e32 v10, 0x80000000, v10
	v_lshl_add_u32 v9, v9, 23, v11
	v_or3_b32 v8, v10, v9, v8
.LBB4_1940:
	s_or_b64 exec, exec, s[6:7]
	s_movk_i32 s4, 0xff
	v_and_b32_sdwa v9, v0, s4 dst_sel:DWORD dst_unused:UNUSED_PAD src0_sel:WORD_1 src1_sel:DWORD
	s_movk_i32 s4, 0x7f
	v_cmp_lt_i16_e32 vcc, s4, v9
	s_mov_b64 s[4:5], 0
                                        ; implicit-def: $sgpr10
	s_and_saveexec_b64 s[6:7], vcc
	s_xor_b64 s[6:7], exec, s[6:7]
	s_cbranch_execnz .LBB4_3989
; %bb.1941:
	s_or_saveexec_b64 s[6:7], s[6:7]
	v_mov_b32_e32 v10, s10
	s_xor_b64 exec, exec, s[6:7]
	s_cbranch_execnz .LBB4_3992
.LBB4_1942:
	s_or_b64 exec, exec, s[6:7]
	s_and_saveexec_b64 s[6:7], s[4:5]
	s_cbranch_execz .LBB4_1944
.LBB4_1943:
	v_bfe_u32 v9, v0, 16, 3
	v_ffbh_u32_e32 v12, v9
	v_min_u32_e32 v12, 32, v12
	v_lshrrev_b32_e32 v10, 19, v0
	v_subrev_u32_e32 v13, 28, v12
	v_and_b32_e32 v10, 15, v10
	v_lshlrev_b32_sdwa v13, v13, v0 dst_sel:DWORD dst_unused:UNUSED_PAD src0_sel:DWORD src1_sel:WORD_1
	v_bfe_u32 v11, v0, 19, 4
	v_sub_u32_e32 v12, 29, v12
	v_and_b32_e32 v13, 7, v13
	v_cmp_eq_u16_e32 vcc, 0, v10
	v_cndmask_b32_e32 v9, v9, v13, vcc
	v_cndmask_b32_e32 v10, v11, v12, vcc
	v_lshlrev_b32_e32 v11, 8, v0
	v_mov_b32_e32 v12, 0x3b800000
	v_lshlrev_b32_e32 v9, 20, v9
	v_and_b32_e32 v11, 0x80000000, v11
	v_lshl_add_u32 v10, v10, 23, v12
	v_or3_b32 v10, v11, v10, v9
.LBB4_1944:
	s_or_b64 exec, exec, s[6:7]
	s_nop 0
	v_mfma_f32_16x16x4f32 a[0:3], v8, v10, a[0:3]
	s_movk_i32 s4, 0x7f
	v_cmp_gt_i16_sdwa s[6:7], v4, s4 src0_sel:BYTE_3 src1_sel:DWORD
	s_mov_b64 s[4:5], 0
                                        ; implicit-def: $sgpr10
	s_and_saveexec_b64 s[8:9], s[6:7]
	s_xor_b64 s[6:7], exec, s[8:9]
	s_cbranch_execnz .LBB4_3993
; %bb.1945:
	s_or_saveexec_b64 s[6:7], s[6:7]
	v_mov_b32_e32 v8, s10
	s_xor_b64 exec, exec, s[6:7]
	s_cbranch_execnz .LBB4_3996
.LBB4_1946:
	s_or_b64 exec, exec, s[6:7]
	s_and_saveexec_b64 s[6:7], s[4:5]
	s_cbranch_execz .LBB4_1948
.LBB4_1947:
	v_bfe_u32 v8, v4, 24, 3
	v_ffbh_u32_e32 v12, v8
	v_min_u32_e32 v12, 32, v12
	v_lshrrev_b32_e32 v10, 27, v4
	v_subrev_u32_e32 v13, 28, v12
	v_and_b32_e32 v9, 0x80000000, v4
	v_and_b32_e32 v10, 15, v10
	v_bfe_u32 v11, v4, 27, 4
	v_lshlrev_b32_sdwa v4, v13, v4 dst_sel:DWORD dst_unused:UNUSED_PAD src0_sel:DWORD src1_sel:BYTE_3
	v_sub_u32_e32 v12, 29, v12
	v_and_b32_e32 v4, 7, v4
	v_cmp_eq_u16_e32 vcc, 0, v10
	v_cndmask_b32_e32 v4, v8, v4, vcc
	v_cndmask_b32_e32 v8, v11, v12, vcc
	v_mov_b32_e32 v10, 0x3b800000
	v_lshlrev_b32_e32 v4, 20, v4
	v_lshl_add_u32 v8, v8, 23, v10
	v_or3_b32 v8, v9, v8, v4
.LBB4_1948:
	s_or_b64 exec, exec, s[6:7]
	s_movk_i32 s4, 0x7f
	v_cmp_gt_i16_sdwa s[6:7], v0, s4 src0_sel:BYTE_3 src1_sel:DWORD
	s_mov_b64 s[4:5], 0
                                        ; implicit-def: $sgpr10
	s_and_saveexec_b64 s[8:9], s[6:7]
	s_xor_b64 s[6:7], exec, s[8:9]
	s_cbranch_execnz .LBB4_3997
; %bb.1949:
	s_or_saveexec_b64 s[6:7], s[6:7]
	v_mov_b32_e32 v4, s10
	s_xor_b64 exec, exec, s[6:7]
	s_cbranch_execnz .LBB4_4000
.LBB4_1950:
	s_or_b64 exec, exec, s[6:7]
	s_and_saveexec_b64 s[6:7], s[4:5]
	s_cbranch_execz .LBB4_1952
.LBB4_1951:
	v_bfe_u32 v4, v0, 24, 3
	v_ffbh_u32_e32 v12, v4
	v_min_u32_e32 v12, 32, v12
	v_lshrrev_b32_e32 v10, 27, v0
	v_subrev_u32_e32 v13, 28, v12
	v_and_b32_e32 v9, 0x80000000, v0
	v_and_b32_e32 v10, 15, v10
	v_bfe_u32 v11, v0, 27, 4
	v_lshlrev_b32_sdwa v0, v13, v0 dst_sel:DWORD dst_unused:UNUSED_PAD src0_sel:DWORD src1_sel:BYTE_3
	v_sub_u32_e32 v12, 29, v12
	v_and_b32_e32 v0, 7, v0
	v_cmp_eq_u16_e32 vcc, 0, v10
	v_cndmask_b32_e32 v0, v4, v0, vcc
	v_cndmask_b32_e32 v4, v11, v12, vcc
	v_mov_b32_e32 v10, 0x3b800000
	v_lshlrev_b32_e32 v0, 20, v0
	v_lshl_add_u32 v4, v4, 23, v10
	v_or3_b32 v4, v9, v4, v0
.LBB4_1952:
	s_or_b64 exec, exec, s[6:7]
	s_nop 0
	v_mfma_f32_16x16x4f32 a[0:3], v8, v4, a[0:3]
	s_movk_i32 s4, 0x7f
	v_cmp_gt_i16_sdwa s[6:7], v5, s4 src0_sel:BYTE_0 src1_sel:DWORD
	s_mov_b64 s[4:5], 0
                                        ; implicit-def: $sgpr10
	s_and_saveexec_b64 s[8:9], s[6:7]
	s_xor_b64 s[6:7], exec, s[8:9]
	s_cbranch_execnz .LBB4_4001
; %bb.1953:
	s_or_saveexec_b64 s[6:7], s[6:7]
	v_mov_b32_e32 v0, s10
	s_xor_b64 exec, exec, s[6:7]
	s_cbranch_execnz .LBB4_4004
.LBB4_1954:
	s_or_b64 exec, exec, s[6:7]
	s_and_saveexec_b64 s[6:7], s[4:5]
	s_cbranch_execz .LBB4_1956
.LBB4_1955:
	v_and_b32_e32 v0, 7, v5
	v_ffbh_u32_e32 v8, v0
	v_min_u32_e32 v8, 32, v8
	v_lshrrev_b16_e32 v4, 3, v5
	v_subrev_u32_e32 v9, 28, v8
	v_and_b32_e32 v4, 15, v4
	v_lshlrev_b32_e32 v9, v9, v5
	v_sub_u32_e32 v8, 29, v8
	v_and_b32_e32 v9, 7, v9
	v_cmp_eq_u16_e32 vcc, 0, v4
	v_cndmask_b32_e32 v0, v0, v9, vcc
	v_cndmask_b32_e32 v4, v4, v8, vcc
	v_lshlrev_b32_e32 v8, 24, v5
	v_mov_b32_e32 v9, 0x3b800000
	v_lshlrev_b32_e32 v0, 20, v0
	v_and_b32_e32 v8, 0x80000000, v8
	v_lshl_add_u32 v4, v4, 23, v9
	v_or3_b32 v0, v8, v4, v0
.LBB4_1956:
	s_or_b64 exec, exec, s[6:7]
	s_movk_i32 s4, 0x7f
	v_cmp_gt_i16_sdwa s[6:7], v1, s4 src0_sel:BYTE_0 src1_sel:DWORD
	s_mov_b64 s[4:5], 0
                                        ; implicit-def: $sgpr10
	s_and_saveexec_b64 s[8:9], s[6:7]
	s_xor_b64 s[6:7], exec, s[8:9]
	s_cbranch_execnz .LBB4_4005
; %bb.1957:
	s_or_saveexec_b64 s[6:7], s[6:7]
	v_mov_b32_e32 v4, s10
	s_xor_b64 exec, exec, s[6:7]
	s_cbranch_execnz .LBB4_4008
.LBB4_1958:
	s_or_b64 exec, exec, s[6:7]
	s_and_saveexec_b64 s[6:7], s[4:5]
	s_cbranch_execz .LBB4_1960
.LBB4_1959:
	v_and_b32_e32 v4, 7, v1
	v_ffbh_u32_e32 v9, v4
	v_min_u32_e32 v9, 32, v9
	v_lshrrev_b16_e32 v8, 3, v1
	v_subrev_u32_e32 v10, 28, v9
	v_and_b32_e32 v8, 15, v8
	v_lshlrev_b32_e32 v10, v10, v1
	v_sub_u32_e32 v9, 29, v9
	v_and_b32_e32 v10, 7, v10
	v_cmp_eq_u16_e32 vcc, 0, v8
	v_cndmask_b32_e32 v4, v4, v10, vcc
	v_cndmask_b32_e32 v8, v8, v9, vcc
	v_lshlrev_b32_e32 v9, 24, v1
	v_mov_b32_e32 v10, 0x3b800000
	v_lshlrev_b32_e32 v4, 20, v4
	v_and_b32_e32 v9, 0x80000000, v9
	v_lshl_add_u32 v8, v8, 23, v10
	v_or3_b32 v4, v9, v8, v4
.LBB4_1960:
	s_or_b64 exec, exec, s[6:7]
	s_nop 0
	v_mfma_f32_16x16x4f32 a[0:3], v0, v4, a[0:3]
	v_lshrrev_b32_e32 v4, 8, v5
	s_movk_i32 s4, 0x7f
	v_cmp_gt_i16_sdwa s[6:7], v4, s4 src0_sel:BYTE_0 src1_sel:DWORD
	s_mov_b64 s[4:5], 0
                                        ; implicit-def: $sgpr10
	s_and_saveexec_b64 s[8:9], s[6:7]
	s_xor_b64 s[6:7], exec, s[8:9]
	s_cbranch_execnz .LBB4_4009
; %bb.1961:
	s_or_saveexec_b64 s[6:7], s[6:7]
	v_mov_b32_e32 v0, s10
	s_xor_b64 exec, exec, s[6:7]
	s_cbranch_execnz .LBB4_4012
.LBB4_1962:
	s_or_b64 exec, exec, s[6:7]
	s_and_saveexec_b64 s[6:7], s[4:5]
	s_cbranch_execz .LBB4_1964
.LBB4_1963:
	v_bfe_u32 v0, v5, 8, 3
	v_ffbh_u32_e32 v9, v0
	v_min_u32_e32 v9, 32, v9
	v_lshrrev_b16_e32 v8, 3, v4
	v_subrev_u32_e32 v10, 28, v9
	v_and_b32_e32 v8, 15, v8
	v_lshlrev_b32_e32 v4, v10, v4
	v_sub_u32_e32 v9, 29, v9
	v_and_b32_e32 v4, 7, v4
	v_cmp_eq_u16_e32 vcc, 0, v8
	v_cndmask_b32_e32 v0, v0, v4, vcc
	v_cndmask_b32_e32 v4, v8, v9, vcc
	v_lshlrev_b32_e32 v8, 16, v5
	v_mov_b32_e32 v9, 0x3b800000
	v_lshlrev_b32_e32 v0, 20, v0
	v_and_b32_e32 v8, 0x80000000, v8
	v_lshl_add_u32 v4, v4, 23, v9
	v_or3_b32 v0, v8, v4, v0
.LBB4_1964:
	s_or_b64 exec, exec, s[6:7]
	v_lshrrev_b32_e32 v4, 8, v1
	s_movk_i32 s4, 0x7f
	v_cmp_gt_i16_sdwa s[6:7], v4, s4 src0_sel:BYTE_0 src1_sel:DWORD
	s_mov_b64 s[4:5], 0
                                        ; implicit-def: $sgpr10
	s_and_saveexec_b64 s[8:9], s[6:7]
	s_xor_b64 s[6:7], exec, s[8:9]
	s_cbranch_execnz .LBB4_4013
; %bb.1965:
	s_or_saveexec_b64 s[6:7], s[6:7]
	v_mov_b32_e32 v8, s10
	s_xor_b64 exec, exec, s[6:7]
	s_cbranch_execnz .LBB4_4016
.LBB4_1966:
	s_or_b64 exec, exec, s[6:7]
	s_and_saveexec_b64 s[6:7], s[4:5]
	s_cbranch_execz .LBB4_1968
.LBB4_1967:
	v_bfe_u32 v8, v1, 8, 3
	v_ffbh_u32_e32 v10, v8
	v_min_u32_e32 v10, 32, v10
	v_lshrrev_b16_e32 v9, 3, v4
	v_subrev_u32_e32 v11, 28, v10
	v_and_b32_e32 v9, 15, v9
	v_lshlrev_b32_e32 v4, v11, v4
	v_sub_u32_e32 v10, 29, v10
	v_and_b32_e32 v4, 7, v4
	v_cmp_eq_u16_e32 vcc, 0, v9
	v_cndmask_b32_e32 v4, v8, v4, vcc
	v_cndmask_b32_e32 v8, v9, v10, vcc
	v_lshlrev_b32_e32 v9, 16, v1
	v_mov_b32_e32 v10, 0x3b800000
	v_lshlrev_b32_e32 v4, 20, v4
	v_and_b32_e32 v9, 0x80000000, v9
	v_lshl_add_u32 v8, v8, 23, v10
	v_or3_b32 v8, v9, v8, v4
.LBB4_1968:
	s_or_b64 exec, exec, s[6:7]
	s_nop 0
	v_mfma_f32_16x16x4f32 a[0:3], v0, v8, a[0:3]
	s_movk_i32 s4, 0xff
	v_and_b32_sdwa v4, v5, s4 dst_sel:DWORD dst_unused:UNUSED_PAD src0_sel:WORD_1 src1_sel:DWORD
	s_movk_i32 s4, 0x7f
	v_cmp_lt_i16_e32 vcc, s4, v4
	s_mov_b64 s[4:5], 0
                                        ; implicit-def: $sgpr10
	s_and_saveexec_b64 s[6:7], vcc
	s_xor_b64 s[6:7], exec, s[6:7]
	s_cbranch_execnz .LBB4_4017
; %bb.1969:
	s_or_saveexec_b64 s[6:7], s[6:7]
	v_mov_b32_e32 v0, s10
	s_xor_b64 exec, exec, s[6:7]
	s_cbranch_execnz .LBB4_4020
.LBB4_1970:
	s_or_b64 exec, exec, s[6:7]
	s_and_saveexec_b64 s[6:7], s[4:5]
	s_cbranch_execz .LBB4_1972
.LBB4_1971:
	v_bfe_u32 v0, v5, 16, 3
	v_ffbh_u32_e32 v9, v0
	v_min_u32_e32 v9, 32, v9
	v_lshrrev_b32_e32 v4, 19, v5
	v_subrev_u32_e32 v10, 28, v9
	v_and_b32_e32 v4, 15, v4
	v_lshlrev_b32_sdwa v10, v10, v5 dst_sel:DWORD dst_unused:UNUSED_PAD src0_sel:DWORD src1_sel:WORD_1
	v_bfe_u32 v8, v5, 19, 4
	v_sub_u32_e32 v9, 29, v9
	v_and_b32_e32 v10, 7, v10
	v_cmp_eq_u16_e32 vcc, 0, v4
	v_cndmask_b32_e32 v0, v0, v10, vcc
	v_cndmask_b32_e32 v4, v8, v9, vcc
	v_lshlrev_b32_e32 v8, 8, v5
	v_mov_b32_e32 v9, 0x3b800000
	v_lshlrev_b32_e32 v0, 20, v0
	v_and_b32_e32 v8, 0x80000000, v8
	v_lshl_add_u32 v4, v4, 23, v9
	v_or3_b32 v0, v8, v4, v0
.LBB4_1972:
	s_or_b64 exec, exec, s[6:7]
	s_movk_i32 s4, 0xff
	v_and_b32_sdwa v4, v1, s4 dst_sel:DWORD dst_unused:UNUSED_PAD src0_sel:WORD_1 src1_sel:DWORD
	s_movk_i32 s4, 0x7f
	v_cmp_lt_i16_e32 vcc, s4, v4
	s_mov_b64 s[4:5], 0
                                        ; implicit-def: $sgpr10
	s_and_saveexec_b64 s[6:7], vcc
	s_xor_b64 s[6:7], exec, s[6:7]
	s_cbranch_execnz .LBB4_4021
; %bb.1973:
	s_or_saveexec_b64 s[6:7], s[6:7]
	v_mov_b32_e32 v8, s10
	s_xor_b64 exec, exec, s[6:7]
	s_cbranch_execnz .LBB4_4024
.LBB4_1974:
	s_or_b64 exec, exec, s[6:7]
	s_and_saveexec_b64 s[6:7], s[4:5]
	s_cbranch_execz .LBB4_1976
.LBB4_1975:
	v_bfe_u32 v4, v1, 16, 3
	v_ffbh_u32_e32 v10, v4
	v_min_u32_e32 v10, 32, v10
	v_lshrrev_b32_e32 v8, 19, v1
	v_subrev_u32_e32 v11, 28, v10
	v_and_b32_e32 v8, 15, v8
	v_lshlrev_b32_sdwa v11, v11, v1 dst_sel:DWORD dst_unused:UNUSED_PAD src0_sel:DWORD src1_sel:WORD_1
	v_bfe_u32 v9, v1, 19, 4
	v_sub_u32_e32 v10, 29, v10
	v_and_b32_e32 v11, 7, v11
	v_cmp_eq_u16_e32 vcc, 0, v8
	v_cndmask_b32_e32 v4, v4, v11, vcc
	v_cndmask_b32_e32 v8, v9, v10, vcc
	v_lshlrev_b32_e32 v9, 8, v1
	v_mov_b32_e32 v10, 0x3b800000
	v_lshlrev_b32_e32 v4, 20, v4
	v_and_b32_e32 v9, 0x80000000, v9
	v_lshl_add_u32 v8, v8, 23, v10
	v_or3_b32 v8, v9, v8, v4
.LBB4_1976:
	s_or_b64 exec, exec, s[6:7]
	s_nop 0
	v_mfma_f32_16x16x4f32 a[0:3], v0, v8, a[0:3]
	s_movk_i32 s4, 0x7f
	v_cmp_gt_i16_sdwa s[6:7], v5, s4 src0_sel:BYTE_3 src1_sel:DWORD
	s_mov_b64 s[4:5], 0
                                        ; implicit-def: $sgpr10
	s_and_saveexec_b64 s[8:9], s[6:7]
	s_xor_b64 s[6:7], exec, s[8:9]
	s_cbranch_execnz .LBB4_4025
; %bb.1977:
	s_or_saveexec_b64 s[6:7], s[6:7]
	v_mov_b32_e32 v0, s10
	s_xor_b64 exec, exec, s[6:7]
	s_cbranch_execnz .LBB4_4028
.LBB4_1978:
	s_or_b64 exec, exec, s[6:7]
	s_and_saveexec_b64 s[6:7], s[4:5]
	s_cbranch_execz .LBB4_1980
.LBB4_1979:
	v_bfe_u32 v0, v5, 24, 3
	v_ffbh_u32_e32 v10, v0
	v_min_u32_e32 v10, 32, v10
	v_lshrrev_b32_e32 v8, 27, v5
	v_subrev_u32_e32 v11, 28, v10
	v_and_b32_e32 v4, 0x80000000, v5
	v_and_b32_e32 v8, 15, v8
	v_bfe_u32 v9, v5, 27, 4
	v_lshlrev_b32_sdwa v5, v11, v5 dst_sel:DWORD dst_unused:UNUSED_PAD src0_sel:DWORD src1_sel:BYTE_3
	v_sub_u32_e32 v10, 29, v10
	v_and_b32_e32 v5, 7, v5
	v_cmp_eq_u16_e32 vcc, 0, v8
	v_cndmask_b32_e32 v0, v0, v5, vcc
	v_cndmask_b32_e32 v5, v9, v10, vcc
	v_mov_b32_e32 v8, 0x3b800000
	v_lshlrev_b32_e32 v0, 20, v0
	v_lshl_add_u32 v5, v5, 23, v8
	v_or3_b32 v0, v4, v5, v0
.LBB4_1980:
	s_or_b64 exec, exec, s[6:7]
	s_movk_i32 s4, 0x7f
	v_cmp_gt_i16_sdwa s[6:7], v1, s4 src0_sel:BYTE_3 src1_sel:DWORD
	s_mov_b64 s[4:5], 0
                                        ; implicit-def: $sgpr10
	s_and_saveexec_b64 s[8:9], s[6:7]
	s_xor_b64 s[6:7], exec, s[8:9]
	s_cbranch_execnz .LBB4_4029
; %bb.1981:
	s_or_saveexec_b64 s[6:7], s[6:7]
	v_mov_b32_e32 v4, s10
	s_xor_b64 exec, exec, s[6:7]
	s_cbranch_execnz .LBB4_4032
.LBB4_1982:
	s_or_b64 exec, exec, s[6:7]
	s_and_saveexec_b64 s[6:7], s[4:5]
	s_cbranch_execz .LBB4_1984
.LBB4_1983:
	v_bfe_u32 v4, v1, 24, 3
	v_ffbh_u32_e32 v10, v4
	v_min_u32_e32 v10, 32, v10
	v_lshrrev_b32_e32 v8, 27, v1
	v_subrev_u32_e32 v11, 28, v10
	v_and_b32_e32 v5, 0x80000000, v1
	v_and_b32_e32 v8, 15, v8
	v_bfe_u32 v9, v1, 27, 4
	v_lshlrev_b32_sdwa v1, v11, v1 dst_sel:DWORD dst_unused:UNUSED_PAD src0_sel:DWORD src1_sel:BYTE_3
	v_sub_u32_e32 v10, 29, v10
	v_and_b32_e32 v1, 7, v1
	v_cmp_eq_u16_e32 vcc, 0, v8
	v_cndmask_b32_e32 v1, v4, v1, vcc
	v_cndmask_b32_e32 v4, v9, v10, vcc
	v_mov_b32_e32 v8, 0x3b800000
	v_lshlrev_b32_e32 v1, 20, v1
	v_lshl_add_u32 v4, v4, 23, v8
	v_or3_b32 v4, v5, v4, v1
.LBB4_1984:
	s_or_b64 exec, exec, s[6:7]
	s_nop 0
	v_mfma_f32_16x16x4f32 a[0:3], v0, v4, a[0:3]
	s_movk_i32 s4, 0x7f
	v_cmp_gt_i16_sdwa s[6:7], v6, s4 src0_sel:BYTE_0 src1_sel:DWORD
	s_mov_b64 s[4:5], 0
                                        ; implicit-def: $sgpr10
	s_and_saveexec_b64 s[8:9], s[6:7]
	s_xor_b64 s[6:7], exec, s[8:9]
	s_cbranch_execnz .LBB4_4033
; %bb.1985:
	s_or_saveexec_b64 s[6:7], s[6:7]
	v_mov_b32_e32 v0, s10
	s_xor_b64 exec, exec, s[6:7]
	s_cbranch_execnz .LBB4_4036
.LBB4_1986:
	s_or_b64 exec, exec, s[6:7]
	s_and_saveexec_b64 s[6:7], s[4:5]
	s_cbranch_execz .LBB4_1988
.LBB4_1987:
	v_and_b32_e32 v0, 7, v6
	v_ffbh_u32_e32 v4, v0
	v_min_u32_e32 v4, 32, v4
	v_lshrrev_b16_e32 v1, 3, v6
	v_subrev_u32_e32 v5, 28, v4
	v_and_b32_e32 v1, 15, v1
	v_lshlrev_b32_e32 v5, v5, v6
	v_sub_u32_e32 v4, 29, v4
	v_and_b32_e32 v5, 7, v5
	v_cmp_eq_u16_e32 vcc, 0, v1
	v_cndmask_b32_e32 v0, v0, v5, vcc
	v_cndmask_b32_e32 v1, v1, v4, vcc
	v_lshlrev_b32_e32 v4, 24, v6
	v_mov_b32_e32 v5, 0x3b800000
	v_lshlrev_b32_e32 v0, 20, v0
	v_and_b32_e32 v4, 0x80000000, v4
	v_lshl_add_u32 v1, v1, 23, v5
	v_or3_b32 v0, v4, v1, v0
.LBB4_1988:
	s_or_b64 exec, exec, s[6:7]
	s_movk_i32 s4, 0x7f
	v_cmp_gt_i16_sdwa s[6:7], v2, s4 src0_sel:BYTE_0 src1_sel:DWORD
	s_mov_b64 s[4:5], 0
                                        ; implicit-def: $sgpr10
	s_and_saveexec_b64 s[8:9], s[6:7]
	s_xor_b64 s[6:7], exec, s[8:9]
	s_cbranch_execnz .LBB4_4037
; %bb.1989:
	s_or_saveexec_b64 s[6:7], s[6:7]
	v_mov_b32_e32 v1, s10
	s_xor_b64 exec, exec, s[6:7]
	s_cbranch_execnz .LBB4_4040
.LBB4_1990:
	s_or_b64 exec, exec, s[6:7]
	s_and_saveexec_b64 s[6:7], s[4:5]
	s_cbranch_execz .LBB4_1992
.LBB4_1991:
	v_and_b32_e32 v1, 7, v2
	v_ffbh_u32_e32 v5, v1
	v_min_u32_e32 v5, 32, v5
	v_lshrrev_b16_e32 v4, 3, v2
	v_subrev_u32_e32 v8, 28, v5
	v_and_b32_e32 v4, 15, v4
	v_lshlrev_b32_e32 v8, v8, v2
	v_sub_u32_e32 v5, 29, v5
	v_and_b32_e32 v8, 7, v8
	v_cmp_eq_u16_e32 vcc, 0, v4
	v_cndmask_b32_e32 v1, v1, v8, vcc
	v_cndmask_b32_e32 v4, v4, v5, vcc
	v_lshlrev_b32_e32 v5, 24, v2
	v_mov_b32_e32 v8, 0x3b800000
	v_lshlrev_b32_e32 v1, 20, v1
	v_and_b32_e32 v5, 0x80000000, v5
	v_lshl_add_u32 v4, v4, 23, v8
	v_or3_b32 v1, v5, v4, v1
.LBB4_1992:
	s_or_b64 exec, exec, s[6:7]
	s_nop 0
	v_mfma_f32_16x16x4f32 a[0:3], v0, v1, a[0:3]
	v_lshrrev_b32_e32 v1, 8, v6
	s_movk_i32 s4, 0x7f
	v_cmp_gt_i16_sdwa s[6:7], v1, s4 src0_sel:BYTE_0 src1_sel:DWORD
	s_mov_b64 s[4:5], 0
                                        ; implicit-def: $sgpr10
	s_and_saveexec_b64 s[8:9], s[6:7]
	s_xor_b64 s[6:7], exec, s[8:9]
	s_cbranch_execnz .LBB4_4041
; %bb.1993:
	s_or_saveexec_b64 s[6:7], s[6:7]
	v_mov_b32_e32 v0, s10
	s_xor_b64 exec, exec, s[6:7]
	s_cbranch_execnz .LBB4_4044
.LBB4_1994:
	s_or_b64 exec, exec, s[6:7]
	s_and_saveexec_b64 s[6:7], s[4:5]
	s_cbranch_execz .LBB4_1996
.LBB4_1995:
	v_bfe_u32 v0, v6, 8, 3
	v_ffbh_u32_e32 v5, v0
	v_min_u32_e32 v5, 32, v5
	v_lshrrev_b16_e32 v4, 3, v1
	v_subrev_u32_e32 v8, 28, v5
	v_and_b32_e32 v4, 15, v4
	v_lshlrev_b32_e32 v1, v8, v1
	v_sub_u32_e32 v5, 29, v5
	v_and_b32_e32 v1, 7, v1
	v_cmp_eq_u16_e32 vcc, 0, v4
	v_cndmask_b32_e32 v0, v0, v1, vcc
	v_cndmask_b32_e32 v1, v4, v5, vcc
	v_lshlrev_b32_e32 v4, 16, v6
	v_mov_b32_e32 v5, 0x3b800000
	v_lshlrev_b32_e32 v0, 20, v0
	v_and_b32_e32 v4, 0x80000000, v4
	v_lshl_add_u32 v1, v1, 23, v5
	v_or3_b32 v0, v4, v1, v0
.LBB4_1996:
	s_or_b64 exec, exec, s[6:7]
	v_lshrrev_b32_e32 v1, 8, v2
	s_movk_i32 s4, 0x7f
	v_cmp_gt_i16_sdwa s[6:7], v1, s4 src0_sel:BYTE_0 src1_sel:DWORD
	s_mov_b64 s[4:5], 0
                                        ; implicit-def: $sgpr10
	s_and_saveexec_b64 s[8:9], s[6:7]
	s_xor_b64 s[6:7], exec, s[8:9]
	s_cbranch_execnz .LBB4_4045
; %bb.1997:
	s_or_saveexec_b64 s[6:7], s[6:7]
	v_mov_b32_e32 v4, s10
	s_xor_b64 exec, exec, s[6:7]
	s_cbranch_execnz .LBB4_4048
.LBB4_1998:
	s_or_b64 exec, exec, s[6:7]
	s_and_saveexec_b64 s[6:7], s[4:5]
	s_cbranch_execz .LBB4_2000
.LBB4_1999:
	v_bfe_u32 v4, v2, 8, 3
	v_ffbh_u32_e32 v8, v4
	v_min_u32_e32 v8, 32, v8
	v_lshrrev_b16_e32 v5, 3, v1
	v_subrev_u32_e32 v9, 28, v8
	v_and_b32_e32 v5, 15, v5
	v_lshlrev_b32_e32 v1, v9, v1
	v_sub_u32_e32 v8, 29, v8
	v_and_b32_e32 v1, 7, v1
	v_cmp_eq_u16_e32 vcc, 0, v5
	v_cndmask_b32_e32 v1, v4, v1, vcc
	v_cndmask_b32_e32 v4, v5, v8, vcc
	v_lshlrev_b32_e32 v5, 16, v2
	v_mov_b32_e32 v8, 0x3b800000
	v_lshlrev_b32_e32 v1, 20, v1
	v_and_b32_e32 v5, 0x80000000, v5
	v_lshl_add_u32 v4, v4, 23, v8
	v_or3_b32 v4, v5, v4, v1
.LBB4_2000:
	s_or_b64 exec, exec, s[6:7]
	s_nop 0
	v_mfma_f32_16x16x4f32 a[0:3], v0, v4, a[0:3]
	s_movk_i32 s4, 0xff
	v_and_b32_sdwa v1, v6, s4 dst_sel:DWORD dst_unused:UNUSED_PAD src0_sel:WORD_1 src1_sel:DWORD
	s_movk_i32 s4, 0x7f
	v_cmp_lt_i16_e32 vcc, s4, v1
	s_mov_b64 s[4:5], 0
                                        ; implicit-def: $sgpr10
	s_and_saveexec_b64 s[6:7], vcc
	s_xor_b64 s[6:7], exec, s[6:7]
	s_cbranch_execnz .LBB4_4049
; %bb.2001:
	s_or_saveexec_b64 s[6:7], s[6:7]
	v_mov_b32_e32 v0, s10
	s_xor_b64 exec, exec, s[6:7]
	s_cbranch_execnz .LBB4_4052
.LBB4_2002:
	s_or_b64 exec, exec, s[6:7]
	s_and_saveexec_b64 s[6:7], s[4:5]
	s_cbranch_execz .LBB4_2004
.LBB4_2003:
	v_bfe_u32 v0, v6, 16, 3
	v_ffbh_u32_e32 v5, v0
	v_min_u32_e32 v5, 32, v5
	v_lshrrev_b32_e32 v1, 19, v6
	v_subrev_u32_e32 v8, 28, v5
	v_and_b32_e32 v1, 15, v1
	v_lshlrev_b32_sdwa v8, v8, v6 dst_sel:DWORD dst_unused:UNUSED_PAD src0_sel:DWORD src1_sel:WORD_1
	v_bfe_u32 v4, v6, 19, 4
	v_sub_u32_e32 v5, 29, v5
	v_and_b32_e32 v8, 7, v8
	v_cmp_eq_u16_e32 vcc, 0, v1
	v_cndmask_b32_e32 v0, v0, v8, vcc
	v_cndmask_b32_e32 v1, v4, v5, vcc
	v_lshlrev_b32_e32 v4, 8, v6
	v_mov_b32_e32 v5, 0x3b800000
	v_lshlrev_b32_e32 v0, 20, v0
	v_and_b32_e32 v4, 0x80000000, v4
	v_lshl_add_u32 v1, v1, 23, v5
	v_or3_b32 v0, v4, v1, v0
.LBB4_2004:
	s_or_b64 exec, exec, s[6:7]
	s_movk_i32 s4, 0xff
	v_and_b32_sdwa v1, v2, s4 dst_sel:DWORD dst_unused:UNUSED_PAD src0_sel:WORD_1 src1_sel:DWORD
	s_movk_i32 s4, 0x7f
	v_cmp_lt_i16_e32 vcc, s4, v1
	s_mov_b64 s[4:5], 0
                                        ; implicit-def: $sgpr10
	s_and_saveexec_b64 s[6:7], vcc
	s_xor_b64 s[6:7], exec, s[6:7]
	s_cbranch_execnz .LBB4_4053
; %bb.2005:
	s_or_saveexec_b64 s[6:7], s[6:7]
	v_mov_b32_e32 v4, s10
	s_xor_b64 exec, exec, s[6:7]
	s_cbranch_execnz .LBB4_4056
.LBB4_2006:
	s_or_b64 exec, exec, s[6:7]
	s_and_saveexec_b64 s[6:7], s[4:5]
	s_cbranch_execz .LBB4_2008
.LBB4_2007:
	v_bfe_u32 v1, v2, 16, 3
	v_ffbh_u32_e32 v8, v1
	v_min_u32_e32 v8, 32, v8
	v_lshrrev_b32_e32 v4, 19, v2
	v_subrev_u32_e32 v9, 28, v8
	v_and_b32_e32 v4, 15, v4
	v_lshlrev_b32_sdwa v9, v9, v2 dst_sel:DWORD dst_unused:UNUSED_PAD src0_sel:DWORD src1_sel:WORD_1
	v_bfe_u32 v5, v2, 19, 4
	v_sub_u32_e32 v8, 29, v8
	v_and_b32_e32 v9, 7, v9
	v_cmp_eq_u16_e32 vcc, 0, v4
	v_cndmask_b32_e32 v1, v1, v9, vcc
	v_cndmask_b32_e32 v4, v5, v8, vcc
	v_lshlrev_b32_e32 v5, 8, v2
	v_mov_b32_e32 v8, 0x3b800000
	v_lshlrev_b32_e32 v1, 20, v1
	v_and_b32_e32 v5, 0x80000000, v5
	v_lshl_add_u32 v4, v4, 23, v8
	v_or3_b32 v4, v5, v4, v1
.LBB4_2008:
	s_or_b64 exec, exec, s[6:7]
	s_nop 0
	v_mfma_f32_16x16x4f32 a[0:3], v0, v4, a[0:3]
	s_movk_i32 s4, 0x7f
	v_cmp_gt_i16_sdwa s[6:7], v6, s4 src0_sel:BYTE_3 src1_sel:DWORD
	s_mov_b64 s[4:5], 0
                                        ; implicit-def: $sgpr10
	s_and_saveexec_b64 s[8:9], s[6:7]
	s_xor_b64 s[6:7], exec, s[8:9]
	s_cbranch_execnz .LBB4_4057
; %bb.2009:
	s_or_saveexec_b64 s[6:7], s[6:7]
	v_mov_b32_e32 v0, s10
	s_xor_b64 exec, exec, s[6:7]
	s_cbranch_execnz .LBB4_4060
.LBB4_2010:
	s_or_b64 exec, exec, s[6:7]
	s_and_saveexec_b64 s[6:7], s[4:5]
	s_cbranch_execz .LBB4_2012
.LBB4_2011:
	v_bfe_u32 v0, v6, 24, 3
	v_ffbh_u32_e32 v8, v0
	v_min_u32_e32 v8, 32, v8
	v_lshrrev_b32_e32 v4, 27, v6
	v_subrev_u32_e32 v9, 28, v8
	v_and_b32_e32 v1, 0x80000000, v6
	v_and_b32_e32 v4, 15, v4
	v_bfe_u32 v5, v6, 27, 4
	v_lshlrev_b32_sdwa v6, v9, v6 dst_sel:DWORD dst_unused:UNUSED_PAD src0_sel:DWORD src1_sel:BYTE_3
	v_sub_u32_e32 v8, 29, v8
	v_and_b32_e32 v6, 7, v6
	v_cmp_eq_u16_e32 vcc, 0, v4
	v_cndmask_b32_e32 v0, v0, v6, vcc
	v_cndmask_b32_e32 v4, v5, v8, vcc
	v_mov_b32_e32 v5, 0x3b800000
	v_lshlrev_b32_e32 v0, 20, v0
	v_lshl_add_u32 v4, v4, 23, v5
	v_or3_b32 v0, v1, v4, v0
.LBB4_2012:
	s_or_b64 exec, exec, s[6:7]
	s_movk_i32 s4, 0x7f
	v_cmp_gt_i16_sdwa s[6:7], v2, s4 src0_sel:BYTE_3 src1_sel:DWORD
	s_mov_b64 s[4:5], 0
                                        ; implicit-def: $sgpr10
	s_and_saveexec_b64 s[8:9], s[6:7]
	s_xor_b64 s[6:7], exec, s[8:9]
	s_cbranch_execnz .LBB4_4061
; %bb.2013:
	s_or_saveexec_b64 s[6:7], s[6:7]
	v_mov_b32_e32 v1, s10
	s_xor_b64 exec, exec, s[6:7]
	s_cbranch_execnz .LBB4_4064
.LBB4_2014:
	s_or_b64 exec, exec, s[6:7]
	s_and_saveexec_b64 s[6:7], s[4:5]
	s_cbranch_execz .LBB4_2016
.LBB4_2015:
	v_bfe_u32 v1, v2, 24, 3
	v_ffbh_u32_e32 v8, v1
	v_min_u32_e32 v8, 32, v8
	v_lshrrev_b32_e32 v5, 27, v2
	v_subrev_u32_e32 v9, 28, v8
	v_and_b32_e32 v4, 0x80000000, v2
	v_and_b32_e32 v5, 15, v5
	v_bfe_u32 v6, v2, 27, 4
	v_lshlrev_b32_sdwa v2, v9, v2 dst_sel:DWORD dst_unused:UNUSED_PAD src0_sel:DWORD src1_sel:BYTE_3
	v_sub_u32_e32 v8, 29, v8
	v_and_b32_e32 v2, 7, v2
	v_cmp_eq_u16_e32 vcc, 0, v5
	v_cndmask_b32_e32 v1, v1, v2, vcc
	v_cndmask_b32_e32 v2, v6, v8, vcc
	v_mov_b32_e32 v5, 0x3b800000
	v_lshlrev_b32_e32 v1, 20, v1
	v_lshl_add_u32 v2, v2, 23, v5
	v_or3_b32 v1, v4, v2, v1
.LBB4_2016:
	s_or_b64 exec, exec, s[6:7]
	s_nop 0
	v_mfma_f32_16x16x4f32 a[0:3], v0, v1, a[0:3]
	s_movk_i32 s4, 0x7f
	v_cmp_gt_i16_sdwa s[6:7], v7, s4 src0_sel:BYTE_0 src1_sel:DWORD
	s_mov_b64 s[4:5], 0
                                        ; implicit-def: $sgpr10
	s_and_saveexec_b64 s[8:9], s[6:7]
	s_xor_b64 s[6:7], exec, s[8:9]
	s_cbranch_execnz .LBB4_4065
; %bb.2017:
	s_or_saveexec_b64 s[6:7], s[6:7]
	v_mov_b32_e32 v0, s10
	s_xor_b64 exec, exec, s[6:7]
	s_cbranch_execnz .LBB4_4068
.LBB4_2018:
	s_or_b64 exec, exec, s[6:7]
	s_and_saveexec_b64 s[6:7], s[4:5]
	s_cbranch_execz .LBB4_2020
.LBB4_2019:
	v_mov_b32_e32 v0, 8
	v_and_b32_e32 v1, 7, v7
	v_lshrrev_b32_sdwa v0, v0, v7 dst_sel:BYTE_1 dst_unused:UNUSED_PAD src0_sel:DWORD src1_sel:DWORD
	v_ffbh_u32_e32 v2, v1
	v_or_b32_sdwa v0, v7, v0 dst_sel:DWORD dst_unused:UNUSED_PAD src0_sel:BYTE_0 src1_sel:DWORD
	v_min_u32_e32 v2, 32, v2
	v_lshrrev_b16_e32 v0, 3, v0
	v_subrev_u32_e32 v4, 28, v2
	v_and_b32_e32 v0, 15, v0
	v_lshlrev_b32_e32 v4, v4, v7
	v_sub_u32_e32 v2, 29, v2
	v_and_b32_e32 v4, 7, v4
	v_cmp_eq_u16_e32 vcc, 0, v0
	v_cndmask_b32_e32 v1, v1, v4, vcc
	v_cndmask_b32_e32 v0, v0, v2, vcc
	v_lshlrev_b32_e32 v2, 24, v7
	v_mov_b32_e32 v4, 0x3b800000
	v_lshlrev_b32_e32 v1, 20, v1
	v_and_b32_e32 v2, 0x80000000, v2
	v_lshl_add_u32 v0, v0, 23, v4
	v_or3_b32 v0, v2, v0, v1
.LBB4_2020:
	s_or_b64 exec, exec, s[6:7]
	s_movk_i32 s4, 0x7f
	v_cmp_gt_i16_sdwa s[6:7], v3, s4 src0_sel:BYTE_0 src1_sel:DWORD
	s_mov_b64 s[4:5], 0
                                        ; implicit-def: $sgpr10
	s_and_saveexec_b64 s[8:9], s[6:7]
	s_xor_b64 s[6:7], exec, s[8:9]
	s_cbranch_execnz .LBB4_4069
; %bb.2021:
	s_or_saveexec_b64 s[6:7], s[6:7]
	v_mov_b32_e32 v1, s10
	s_xor_b64 exec, exec, s[6:7]
	s_cbranch_execnz .LBB4_4072
.LBB4_2022:
	s_or_b64 exec, exec, s[6:7]
	s_and_saveexec_b64 s[6:7], s[4:5]
	s_cbranch_execz .LBB4_2024
.LBB4_2023:
	v_mov_b32_e32 v1, 8
	v_and_b32_e32 v2, 7, v3
	v_lshrrev_b32_sdwa v1, v1, v3 dst_sel:BYTE_1 dst_unused:UNUSED_PAD src0_sel:DWORD src1_sel:DWORD
	v_ffbh_u32_e32 v4, v2
	v_or_b32_sdwa v1, v3, v1 dst_sel:DWORD dst_unused:UNUSED_PAD src0_sel:BYTE_0 src1_sel:DWORD
	v_min_u32_e32 v4, 32, v4
	v_lshrrev_b16_e32 v1, 3, v1
	v_subrev_u32_e32 v5, 28, v4
	v_and_b32_e32 v1, 15, v1
	v_lshlrev_b32_e32 v5, v5, v3
	v_sub_u32_e32 v4, 29, v4
	v_and_b32_e32 v5, 7, v5
	v_cmp_eq_u16_e32 vcc, 0, v1
	v_cndmask_b32_e32 v2, v2, v5, vcc
	v_cndmask_b32_e32 v1, v1, v4, vcc
	v_lshlrev_b32_e32 v4, 24, v3
	v_mov_b32_e32 v5, 0x3b800000
	v_lshlrev_b32_e32 v2, 20, v2
	v_and_b32_e32 v4, 0x80000000, v4
	v_lshl_add_u32 v1, v1, 23, v5
	v_or3_b32 v1, v4, v1, v2
.LBB4_2024:
	s_or_b64 exec, exec, s[6:7]
	s_nop 0
	v_mfma_f32_16x16x4f32 a[0:3], v0, v1, a[0:3]
	v_lshrrev_b32_e32 v1, 8, v7
	s_movk_i32 s4, 0x7f
	v_cmp_gt_i16_sdwa s[6:7], v1, s4 src0_sel:BYTE_0 src1_sel:DWORD
	s_mov_b64 s[4:5], 0
                                        ; implicit-def: $sgpr10
	s_and_saveexec_b64 s[8:9], s[6:7]
	s_xor_b64 s[6:7], exec, s[8:9]
	s_cbranch_execnz .LBB4_4073
; %bb.2025:
	s_or_saveexec_b64 s[6:7], s[6:7]
	v_mov_b32_e32 v0, s10
	s_xor_b64 exec, exec, s[6:7]
	s_cbranch_execnz .LBB4_4076
.LBB4_2026:
	s_or_b64 exec, exec, s[6:7]
	s_and_saveexec_b64 s[6:7], s[4:5]
	s_cbranch_execz .LBB4_2028
.LBB4_2027:
	v_bfe_u32 v0, v7, 8, 3
	v_ffbh_u32_e32 v4, v0
	v_min_u32_e32 v4, 32, v4
	v_lshrrev_b16_e32 v2, 3, v1
	v_subrev_u32_e32 v5, 28, v4
	v_and_b32_e32 v2, 15, v2
	v_lshlrev_b32_e32 v1, v5, v1
	v_sub_u32_e32 v4, 29, v4
	v_and_b32_e32 v1, 7, v1
	v_cmp_eq_u16_e32 vcc, 0, v2
	v_cndmask_b32_e32 v0, v0, v1, vcc
	v_cndmask_b32_e32 v1, v2, v4, vcc
	v_lshlrev_b32_e32 v2, 16, v7
	v_mov_b32_e32 v4, 0x3b800000
	v_lshlrev_b32_e32 v0, 20, v0
	v_and_b32_e32 v2, 0x80000000, v2
	v_lshl_add_u32 v1, v1, 23, v4
	v_or3_b32 v0, v2, v1, v0
.LBB4_2028:
	s_or_b64 exec, exec, s[6:7]
	v_lshrrev_b32_e32 v1, 8, v3
	s_movk_i32 s4, 0x7f
	v_cmp_gt_i16_sdwa s[6:7], v1, s4 src0_sel:BYTE_0 src1_sel:DWORD
	s_mov_b64 s[4:5], 0
                                        ; implicit-def: $sgpr10
	s_and_saveexec_b64 s[8:9], s[6:7]
	s_xor_b64 s[6:7], exec, s[8:9]
	s_cbranch_execnz .LBB4_4077
; %bb.2029:
	s_or_saveexec_b64 s[6:7], s[6:7]
	v_mov_b32_e32 v2, s10
	s_xor_b64 exec, exec, s[6:7]
	s_cbranch_execnz .LBB4_4080
.LBB4_2030:
	s_or_b64 exec, exec, s[6:7]
	s_and_saveexec_b64 s[6:7], s[4:5]
	s_cbranch_execz .LBB4_2032
.LBB4_2031:
	v_bfe_u32 v2, v3, 8, 3
	v_ffbh_u32_e32 v5, v2
	v_min_u32_e32 v5, 32, v5
	v_lshrrev_b16_e32 v4, 3, v1
	v_subrev_u32_e32 v6, 28, v5
	v_and_b32_e32 v4, 15, v4
	v_lshlrev_b32_e32 v1, v6, v1
	v_sub_u32_e32 v5, 29, v5
	v_and_b32_e32 v1, 7, v1
	v_cmp_eq_u16_e32 vcc, 0, v4
	v_cndmask_b32_e32 v1, v2, v1, vcc
	v_cndmask_b32_e32 v2, v4, v5, vcc
	v_lshlrev_b32_e32 v4, 16, v3
	v_mov_b32_e32 v5, 0x3b800000
	v_lshlrev_b32_e32 v1, 20, v1
	v_and_b32_e32 v4, 0x80000000, v4
	v_lshl_add_u32 v2, v2, 23, v5
	v_or3_b32 v2, v4, v2, v1
.LBB4_2032:
	s_or_b64 exec, exec, s[6:7]
	s_nop 0
	v_mfma_f32_16x16x4f32 a[0:3], v0, v2, a[0:3]
	s_movk_i32 s4, 0xff
	v_and_b32_sdwa v1, v7, s4 dst_sel:DWORD dst_unused:UNUSED_PAD src0_sel:WORD_1 src1_sel:DWORD
	s_movk_i32 s4, 0x7f
	v_cmp_lt_i16_e32 vcc, s4, v1
	s_mov_b64 s[4:5], 0
                                        ; implicit-def: $sgpr10
	s_and_saveexec_b64 s[6:7], vcc
	s_xor_b64 s[6:7], exec, s[6:7]
	s_cbranch_execnz .LBB4_4081
; %bb.2033:
	s_or_saveexec_b64 s[6:7], s[6:7]
	v_mov_b32_e32 v0, s10
	s_xor_b64 exec, exec, s[6:7]
	s_cbranch_execnz .LBB4_4084
.LBB4_2034:
	s_or_b64 exec, exec, s[6:7]
	s_and_saveexec_b64 s[6:7], s[4:5]
	s_cbranch_execz .LBB4_2036
.LBB4_2035:
	v_bfe_u32 v0, v7, 16, 3
	v_ffbh_u32_e32 v4, v0
	v_min_u32_e32 v4, 32, v4
	v_lshrrev_b32_e32 v1, 19, v7
	v_subrev_u32_e32 v5, 28, v4
	v_and_b32_e32 v1, 15, v1
	v_lshlrev_b32_sdwa v5, v5, v7 dst_sel:DWORD dst_unused:UNUSED_PAD src0_sel:DWORD src1_sel:WORD_1
	v_bfe_u32 v2, v7, 19, 4
	v_sub_u32_e32 v4, 29, v4
	v_and_b32_e32 v5, 7, v5
	v_cmp_eq_u16_e32 vcc, 0, v1
	v_cndmask_b32_e32 v0, v0, v5, vcc
	v_cndmask_b32_e32 v1, v2, v4, vcc
	v_lshlrev_b32_e32 v2, 8, v7
	v_mov_b32_e32 v4, 0x3b800000
	v_lshlrev_b32_e32 v0, 20, v0
	v_and_b32_e32 v2, 0x80000000, v2
	v_lshl_add_u32 v1, v1, 23, v4
	v_or3_b32 v0, v2, v1, v0
.LBB4_2036:
	s_or_b64 exec, exec, s[6:7]
	s_movk_i32 s4, 0xff
	v_and_b32_sdwa v1, v3, s4 dst_sel:DWORD dst_unused:UNUSED_PAD src0_sel:WORD_1 src1_sel:DWORD
	s_movk_i32 s4, 0x7f
	v_cmp_lt_i16_e32 vcc, s4, v1
	s_mov_b64 s[4:5], 0
                                        ; implicit-def: $sgpr10
	s_and_saveexec_b64 s[6:7], vcc
	s_xor_b64 s[6:7], exec, s[6:7]
	s_cbranch_execnz .LBB4_4085
; %bb.2037:
	s_or_saveexec_b64 s[6:7], s[6:7]
	v_mov_b32_e32 v2, s10
	s_xor_b64 exec, exec, s[6:7]
	s_cbranch_execnz .LBB4_4088
.LBB4_2038:
	s_or_b64 exec, exec, s[6:7]
	s_and_saveexec_b64 s[6:7], s[4:5]
	s_cbranch_execz .LBB4_2040
.LBB4_2039:
	v_bfe_u32 v1, v3, 16, 3
	v_ffbh_u32_e32 v5, v1
	v_min_u32_e32 v5, 32, v5
	v_lshrrev_b32_e32 v2, 19, v3
	v_subrev_u32_e32 v6, 28, v5
	v_and_b32_e32 v2, 15, v2
	v_lshlrev_b32_sdwa v6, v6, v3 dst_sel:DWORD dst_unused:UNUSED_PAD src0_sel:DWORD src1_sel:WORD_1
	v_bfe_u32 v4, v3, 19, 4
	v_sub_u32_e32 v5, 29, v5
	v_and_b32_e32 v6, 7, v6
	v_cmp_eq_u16_e32 vcc, 0, v2
	v_cndmask_b32_e32 v1, v1, v6, vcc
	v_cndmask_b32_e32 v2, v4, v5, vcc
	v_lshlrev_b32_e32 v4, 8, v3
	v_mov_b32_e32 v5, 0x3b800000
	v_lshlrev_b32_e32 v1, 20, v1
	v_and_b32_e32 v4, 0x80000000, v4
	v_lshl_add_u32 v2, v2, 23, v5
	v_or3_b32 v2, v4, v2, v1
.LBB4_2040:
	s_or_b64 exec, exec, s[6:7]
	s_nop 0
	v_mfma_f32_16x16x4f32 a[0:3], v0, v2, a[0:3]
	s_movk_i32 s4, 0x7f
	v_cmp_gt_i16_sdwa s[6:7], v7, s4 src0_sel:BYTE_3 src1_sel:DWORD
	s_mov_b64 s[4:5], 0
                                        ; implicit-def: $sgpr10
	s_and_saveexec_b64 s[8:9], s[6:7]
	s_xor_b64 s[6:7], exec, s[8:9]
	s_cbranch_execnz .LBB4_4089
; %bb.2041:
	s_or_saveexec_b64 s[6:7], s[6:7]
	v_mov_b32_e32 v0, s10
	s_xor_b64 exec, exec, s[6:7]
	s_cbranch_execnz .LBB4_4092
.LBB4_2042:
	s_or_b64 exec, exec, s[6:7]
	s_and_saveexec_b64 s[6:7], s[4:5]
	s_cbranch_execz .LBB4_2044
.LBB4_2043:
	v_bfe_u32 v0, v7, 24, 3
	v_ffbh_u32_e32 v5, v0
	v_min_u32_e32 v5, 32, v5
	v_lshrrev_b32_e32 v2, 27, v7
	v_subrev_u32_e32 v6, 28, v5
	v_and_b32_e32 v2, 15, v2
	v_lshlrev_b32_sdwa v6, v6, v7 dst_sel:DWORD dst_unused:UNUSED_PAD src0_sel:DWORD src1_sel:BYTE_3
	v_bfe_u32 v4, v7, 27, 4
	v_sub_u32_e32 v5, 29, v5
	v_and_b32_e32 v6, 7, v6
	v_cmp_eq_u16_e32 vcc, 0, v2
	v_cndmask_b32_e32 v0, v0, v6, vcc
	v_cndmask_b32_e32 v2, v4, v5, vcc
	v_mov_b32_e32 v4, 0x3b800000
	v_and_b32_e32 v1, 0x80000000, v7
	v_lshlrev_b32_e32 v0, 20, v0
	v_lshl_add_u32 v2, v2, 23, v4
	v_or3_b32 v0, v1, v2, v0
.LBB4_2044:
	s_or_b64 exec, exec, s[6:7]
	s_movk_i32 s4, 0x7f
	v_cmp_gt_i16_sdwa s[6:7], v3, s4 src0_sel:BYTE_3 src1_sel:DWORD
	s_mov_b64 s[4:5], 0
                                        ; implicit-def: $sgpr10
	s_and_saveexec_b64 s[8:9], s[6:7]
	s_xor_b64 s[6:7], exec, s[8:9]
	s_cbranch_execnz .LBB4_4093
; %bb.2045:
	s_or_saveexec_b64 s[6:7], s[6:7]
	v_mov_b32_e32 v1, s10
	s_xor_b64 exec, exec, s[6:7]
	s_cbranch_execnz .LBB4_4096
.LBB4_2046:
	s_or_b64 exec, exec, s[6:7]
	s_and_saveexec_b64 s[6:7], s[4:5]
	s_cbranch_execz .LBB4_2048
.LBB4_2047:
	v_bfe_u32 v1, v3, 24, 3
	v_ffbh_u32_e32 v6, v1
	v_min_u32_e32 v6, 32, v6
	v_lshrrev_b32_e32 v4, 27, v3
	v_subrev_u32_e32 v7, 28, v6
	v_and_b32_e32 v2, 0x80000000, v3
	v_and_b32_e32 v4, 15, v4
	v_bfe_u32 v5, v3, 27, 4
	v_lshlrev_b32_sdwa v3, v7, v3 dst_sel:DWORD dst_unused:UNUSED_PAD src0_sel:DWORD src1_sel:BYTE_3
	v_sub_u32_e32 v6, 29, v6
	v_and_b32_e32 v3, 7, v3
	v_cmp_eq_u16_e32 vcc, 0, v4
	v_cndmask_b32_e32 v1, v1, v3, vcc
	v_cndmask_b32_e32 v3, v5, v6, vcc
	v_mov_b32_e32 v4, 0x3b800000
	v_lshlrev_b32_e32 v1, 20, v1
	v_lshl_add_u32 v3, v3, 23, v4
	v_or3_b32 v1, v2, v3, v1
.LBB4_2048:
	s_or_b64 exec, exec, s[6:7]
	s_nop 0
	v_mfma_f32_16x16x4f32 a[0:3], v0, v1, a[0:3]
	s_nop 7
	s_nop 2
	flat_store_dwordx4 v[16:17], a[0:3] offset:368
	s_waitcnt vmcnt(0) lgkmcnt(0)
	s_setpc_b64 s[30:31]
.LBB4_2049:
	s_movk_i32 s4, 0x80
	v_cmp_eq_u16_sdwa s[12:13], v14, s4 src0_sel:BYTE_0 src1_sel:DWORD
	s_mov_b64 s[4:5], -1
                                        ; implicit-def: $sgpr10
	s_and_saveexec_b64 s[8:9], s[12:13]
; %bb.2050:
	s_mov_b32 s10, 0x7f800001
	s_xor_b64 s[4:5], exec, -1
; %bb.2051:
	s_or_b64 exec, exec, s[8:9]
	s_and_b64 s[4:5], s[4:5], exec
	s_or_saveexec_b64 s[6:7], s[6:7]
	v_mov_b32_e32 v20, s10
	s_xor_b64 exec, exec, s[6:7]
	s_cbranch_execz .LBB4_2
.LBB4_2052:
	v_mov_b32_e32 v20, 0
	v_cmp_ne_u16_sdwa s[8:9], v14, v20 src0_sel:BYTE_0 src1_sel:DWORD
	s_andn2_b64 s[4:5], s[4:5], exec
	s_and_b64 s[8:9], s[8:9], exec
	s_or_b64 s[4:5], s[4:5], s[8:9]
	s_or_b64 exec, exec, s[6:7]
	s_and_saveexec_b64 s[6:7], s[4:5]
	s_cbranch_execnz .LBB4_3
	s_branch .LBB4_4
.LBB4_2053:
	s_movk_i32 s4, 0x80
	v_cmp_eq_u16_sdwa s[12:13], v10, s4 src0_sel:BYTE_0 src1_sel:DWORD
	s_mov_b64 s[4:5], -1
                                        ; implicit-def: $sgpr10
	s_and_saveexec_b64 s[8:9], s[12:13]
; %bb.2054:
	s_mov_b32 s10, 0x7f800001
	s_xor_b64 s[4:5], exec, -1
; %bb.2055:
	s_or_b64 exec, exec, s[8:9]
	s_and_b64 s[4:5], s[4:5], exec
	s_or_saveexec_b64 s[6:7], s[6:7]
	v_mov_b32_e32 v21, s10
	s_xor_b64 exec, exec, s[6:7]
	s_cbranch_execz .LBB4_6
.LBB4_2056:
	v_mov_b32_e32 v21, 0
	v_cmp_ne_u16_sdwa s[8:9], v10, v21 src0_sel:BYTE_0 src1_sel:DWORD
	s_andn2_b64 s[4:5], s[4:5], exec
	s_and_b64 s[8:9], s[8:9], exec
	s_or_b64 s[4:5], s[4:5], s[8:9]
	s_or_b64 exec, exec, s[6:7]
	s_and_saveexec_b64 s[6:7], s[4:5]
	s_cbranch_execnz .LBB4_7
	s_branch .LBB4_8
.LBB4_2057:
	s_movk_i32 s4, 0x80
	v_cmp_eq_u16_sdwa s[12:13], v21, s4 src0_sel:BYTE_0 src1_sel:DWORD
	s_mov_b64 s[4:5], -1
                                        ; implicit-def: $sgpr10
	s_and_saveexec_b64 s[8:9], s[12:13]
; %bb.2058:
	s_mov_b32 s10, 0x7f800001
	s_xor_b64 s[4:5], exec, -1
; %bb.2059:
	s_or_b64 exec, exec, s[8:9]
	s_and_b64 s[4:5], s[4:5], exec
	s_or_saveexec_b64 s[6:7], s[6:7]
	v_mov_b32_e32 v20, s10
	s_xor_b64 exec, exec, s[6:7]
	s_cbranch_execz .LBB4_10
.LBB4_2060:
	v_mov_b32_e32 v20, 0
	v_cmp_ne_u16_sdwa s[8:9], v21, v20 src0_sel:BYTE_0 src1_sel:DWORD
	s_andn2_b64 s[4:5], s[4:5], exec
	s_and_b64 s[8:9], s[8:9], exec
	s_or_b64 s[4:5], s[4:5], s[8:9]
	s_or_b64 exec, exec, s[6:7]
	s_and_saveexec_b64 s[6:7], s[4:5]
	s_cbranch_execnz .LBB4_11
	s_branch .LBB4_12
.LBB4_2061:
	s_movk_i32 s4, 0x80
	v_cmp_eq_u16_sdwa s[12:13], v21, s4 src0_sel:BYTE_0 src1_sel:DWORD
	s_mov_b64 s[4:5], -1
                                        ; implicit-def: $sgpr10
	s_and_saveexec_b64 s[8:9], s[12:13]
; %bb.2062:
	s_mov_b32 s10, 0x7f800001
	s_xor_b64 s[4:5], exec, -1
; %bb.2063:
	s_or_b64 exec, exec, s[8:9]
	s_and_b64 s[4:5], s[4:5], exec
	s_or_saveexec_b64 s[6:7], s[6:7]
	v_mov_b32_e32 v22, s10
	s_xor_b64 exec, exec, s[6:7]
	s_cbranch_execz .LBB4_14
.LBB4_2064:
	v_mov_b32_e32 v22, 0
	v_cmp_ne_u16_sdwa s[8:9], v21, v22 src0_sel:BYTE_0 src1_sel:DWORD
	s_andn2_b64 s[4:5], s[4:5], exec
	s_and_b64 s[8:9], s[8:9], exec
	s_or_b64 s[4:5], s[4:5], s[8:9]
	s_or_b64 exec, exec, s[6:7]
	s_and_saveexec_b64 s[6:7], s[4:5]
	s_cbranch_execnz .LBB4_15
	s_branch .LBB4_16
.LBB4_2065:
	s_movk_i32 s4, 0x80
	v_cmp_eq_u16_e32 vcc, s4, v21
	s_mov_b64 s[4:5], -1
                                        ; implicit-def: $sgpr10
	s_and_saveexec_b64 s[8:9], vcc
; %bb.2066:
	s_mov_b32 s10, 0x7f800001
	s_xor_b64 s[4:5], exec, -1
; %bb.2067:
	s_or_b64 exec, exec, s[8:9]
	s_and_b64 s[4:5], s[4:5], exec
                                        ; implicit-def: $vgpr21
	s_or_saveexec_b64 s[6:7], s[6:7]
	v_mov_b32_e32 v20, s10
	s_xor_b64 exec, exec, s[6:7]
	s_cbranch_execz .LBB4_18
.LBB4_2068:
	v_cmp_ne_u16_e32 vcc, 0, v21
	s_andn2_b64 s[4:5], s[4:5], exec
	s_and_b64 s[8:9], vcc, exec
	v_mov_b32_e32 v20, 0
	s_or_b64 s[4:5], s[4:5], s[8:9]
	s_or_b64 exec, exec, s[6:7]
	s_and_saveexec_b64 s[6:7], s[4:5]
	s_cbranch_execnz .LBB4_19
	s_branch .LBB4_20
.LBB4_2069:
	s_movk_i32 s4, 0x80
	v_cmp_eq_u16_e32 vcc, s4, v21
	s_mov_b64 s[4:5], -1
                                        ; implicit-def: $sgpr10
	s_and_saveexec_b64 s[8:9], vcc
; %bb.2070:
	s_mov_b32 s10, 0x7f800001
	s_xor_b64 s[4:5], exec, -1
; %bb.2071:
	s_or_b64 exec, exec, s[8:9]
	s_and_b64 s[4:5], s[4:5], exec
                                        ; implicit-def: $vgpr21
	s_or_saveexec_b64 s[6:7], s[6:7]
	v_mov_b32_e32 v22, s10
	s_xor_b64 exec, exec, s[6:7]
	s_cbranch_execz .LBB4_22
.LBB4_2072:
	v_cmp_ne_u16_e32 vcc, 0, v21
	s_andn2_b64 s[4:5], s[4:5], exec
	s_and_b64 s[8:9], vcc, exec
	v_mov_b32_e32 v22, 0
	s_or_b64 s[4:5], s[4:5], s[8:9]
	s_or_b64 exec, exec, s[6:7]
	s_and_saveexec_b64 s[6:7], s[4:5]
	s_cbranch_execnz .LBB4_23
	s_branch .LBB4_24
.LBB4_2073:
	s_movk_i32 s4, 0x80
	v_cmp_eq_u16_sdwa s[12:13], v14, s4 src0_sel:BYTE_3 src1_sel:DWORD
	s_mov_b64 s[4:5], -1
                                        ; implicit-def: $sgpr10
	s_and_saveexec_b64 s[8:9], s[12:13]
; %bb.2074:
	s_mov_b32 s10, 0x7f800001
	s_xor_b64 s[4:5], exec, -1
; %bb.2075:
	s_or_b64 exec, exec, s[8:9]
	s_and_b64 s[4:5], s[4:5], exec
	s_or_saveexec_b64 s[6:7], s[6:7]
	v_mov_b32_e32 v20, s10
	s_xor_b64 exec, exec, s[6:7]
	s_cbranch_execz .LBB4_26
.LBB4_2076:
	v_mov_b32_e32 v20, 0
	v_cmp_ne_u16_sdwa s[8:9], v14, v20 src0_sel:BYTE_3 src1_sel:DWORD
	s_andn2_b64 s[4:5], s[4:5], exec
	s_and_b64 s[8:9], s[8:9], exec
	s_or_b64 s[4:5], s[4:5], s[8:9]
	s_or_b64 exec, exec, s[6:7]
	s_and_saveexec_b64 s[6:7], s[4:5]
	s_cbranch_execnz .LBB4_27
	s_branch .LBB4_28
.LBB4_2077:
	s_movk_i32 s4, 0x80
	v_cmp_eq_u16_sdwa s[12:13], v10, s4 src0_sel:BYTE_3 src1_sel:DWORD
	s_mov_b64 s[4:5], -1
                                        ; implicit-def: $sgpr10
	s_and_saveexec_b64 s[8:9], s[12:13]
; %bb.2078:
	s_mov_b32 s10, 0x7f800001
	s_xor_b64 s[4:5], exec, -1
; %bb.2079:
	s_or_b64 exec, exec, s[8:9]
	s_and_b64 s[4:5], s[4:5], exec
	s_or_saveexec_b64 s[6:7], s[6:7]
	v_mov_b32_e32 v14, s10
	s_xor_b64 exec, exec, s[6:7]
	s_cbranch_execz .LBB4_30
.LBB4_2080:
	v_mov_b32_e32 v14, 0
	v_cmp_ne_u16_sdwa s[8:9], v10, v14 src0_sel:BYTE_3 src1_sel:DWORD
	s_andn2_b64 s[4:5], s[4:5], exec
	s_and_b64 s[8:9], s[8:9], exec
	s_or_b64 s[4:5], s[4:5], s[8:9]
	s_or_b64 exec, exec, s[6:7]
	s_and_saveexec_b64 s[6:7], s[4:5]
	s_cbranch_execnz .LBB4_31
	s_branch .LBB4_32
.LBB4_2081:
	s_movk_i32 s4, 0x80
	v_cmp_eq_u16_sdwa s[12:13], v15, s4 src0_sel:BYTE_0 src1_sel:DWORD
	s_mov_b64 s[4:5], -1
                                        ; implicit-def: $sgpr10
	s_and_saveexec_b64 s[8:9], s[12:13]
; %bb.2082:
	s_mov_b32 s10, 0x7f800001
	s_xor_b64 s[4:5], exec, -1
; %bb.2083:
	s_or_b64 exec, exec, s[8:9]
	s_and_b64 s[4:5], s[4:5], exec
	s_or_saveexec_b64 s[6:7], s[6:7]
	v_mov_b32_e32 v10, s10
	s_xor_b64 exec, exec, s[6:7]
	s_cbranch_execz .LBB4_34
.LBB4_2084:
	v_mov_b32_e32 v10, 0
	v_cmp_ne_u16_sdwa s[8:9], v15, v10 src0_sel:BYTE_0 src1_sel:DWORD
	s_andn2_b64 s[4:5], s[4:5], exec
	s_and_b64 s[8:9], s[8:9], exec
	s_or_b64 s[4:5], s[4:5], s[8:9]
	s_or_b64 exec, exec, s[6:7]
	s_and_saveexec_b64 s[6:7], s[4:5]
	s_cbranch_execnz .LBB4_35
	s_branch .LBB4_36
.LBB4_2085:
	s_movk_i32 s4, 0x80
	v_cmp_eq_u16_sdwa s[12:13], v11, s4 src0_sel:BYTE_0 src1_sel:DWORD
	s_mov_b64 s[4:5], -1
                                        ; implicit-def: $sgpr10
	s_and_saveexec_b64 s[8:9], s[12:13]
; %bb.2086:
	s_mov_b32 s10, 0x7f800001
	s_xor_b64 s[4:5], exec, -1
; %bb.2087:
	s_or_b64 exec, exec, s[8:9]
	s_and_b64 s[4:5], s[4:5], exec
	s_or_saveexec_b64 s[6:7], s[6:7]
	v_mov_b32_e32 v14, s10
	s_xor_b64 exec, exec, s[6:7]
	s_cbranch_execz .LBB4_38
.LBB4_2088:
	v_mov_b32_e32 v14, 0
	v_cmp_ne_u16_sdwa s[8:9], v11, v14 src0_sel:BYTE_0 src1_sel:DWORD
	s_andn2_b64 s[4:5], s[4:5], exec
	s_and_b64 s[8:9], s[8:9], exec
	s_or_b64 s[4:5], s[4:5], s[8:9]
	s_or_b64 exec, exec, s[6:7]
	s_and_saveexec_b64 s[6:7], s[4:5]
	s_cbranch_execnz .LBB4_39
	s_branch .LBB4_40
.LBB4_2089:
	s_movk_i32 s4, 0x80
	v_cmp_eq_u16_sdwa s[12:13], v14, s4 src0_sel:BYTE_0 src1_sel:DWORD
	s_mov_b64 s[4:5], -1
                                        ; implicit-def: $sgpr10
	s_and_saveexec_b64 s[8:9], s[12:13]
; %bb.2090:
	s_mov_b32 s10, 0x7f800001
	s_xor_b64 s[4:5], exec, -1
; %bb.2091:
	s_or_b64 exec, exec, s[8:9]
	s_and_b64 s[4:5], s[4:5], exec
	s_or_saveexec_b64 s[6:7], s[6:7]
	v_mov_b32_e32 v10, s10
	s_xor_b64 exec, exec, s[6:7]
	s_cbranch_execz .LBB4_42
.LBB4_2092:
	v_mov_b32_e32 v10, 0
	v_cmp_ne_u16_sdwa s[8:9], v14, v10 src0_sel:BYTE_0 src1_sel:DWORD
	s_andn2_b64 s[4:5], s[4:5], exec
	s_and_b64 s[8:9], s[8:9], exec
	s_or_b64 s[4:5], s[4:5], s[8:9]
	s_or_b64 exec, exec, s[6:7]
	s_and_saveexec_b64 s[6:7], s[4:5]
	s_cbranch_execnz .LBB4_43
	s_branch .LBB4_44
.LBB4_2093:
	s_movk_i32 s4, 0x80
	v_cmp_eq_u16_sdwa s[12:13], v14, s4 src0_sel:BYTE_0 src1_sel:DWORD
	s_mov_b64 s[4:5], -1
                                        ; implicit-def: $sgpr10
	s_and_saveexec_b64 s[8:9], s[12:13]
; %bb.2094:
	s_mov_b32 s10, 0x7f800001
	s_xor_b64 s[4:5], exec, -1
; %bb.2095:
	s_or_b64 exec, exec, s[8:9]
	s_and_b64 s[4:5], s[4:5], exec
	s_or_saveexec_b64 s[6:7], s[6:7]
	v_mov_b32_e32 v20, s10
	s_xor_b64 exec, exec, s[6:7]
	s_cbranch_execz .LBB4_46
.LBB4_2096:
	v_mov_b32_e32 v20, 0
	v_cmp_ne_u16_sdwa s[8:9], v14, v20 src0_sel:BYTE_0 src1_sel:DWORD
	s_andn2_b64 s[4:5], s[4:5], exec
	s_and_b64 s[8:9], s[8:9], exec
	s_or_b64 s[4:5], s[4:5], s[8:9]
	s_or_b64 exec, exec, s[6:7]
	s_and_saveexec_b64 s[6:7], s[4:5]
	s_cbranch_execnz .LBB4_47
	s_branch .LBB4_48
.LBB4_2097:
	s_movk_i32 s4, 0x80
	v_cmp_eq_u16_e32 vcc, s4, v14
	s_mov_b64 s[4:5], -1
                                        ; implicit-def: $sgpr10
	s_and_saveexec_b64 s[8:9], vcc
; %bb.2098:
	s_mov_b32 s10, 0x7f800001
	s_xor_b64 s[4:5], exec, -1
; %bb.2099:
	s_or_b64 exec, exec, s[8:9]
	s_and_b64 s[4:5], s[4:5], exec
                                        ; implicit-def: $vgpr14
	s_or_saveexec_b64 s[6:7], s[6:7]
	v_mov_b32_e32 v10, s10
	s_xor_b64 exec, exec, s[6:7]
	s_cbranch_execz .LBB4_50
.LBB4_2100:
	v_cmp_ne_u16_e32 vcc, 0, v14
	s_andn2_b64 s[4:5], s[4:5], exec
	s_and_b64 s[8:9], vcc, exec
	v_mov_b32_e32 v10, 0
	s_or_b64 s[4:5], s[4:5], s[8:9]
	s_or_b64 exec, exec, s[6:7]
	s_and_saveexec_b64 s[6:7], s[4:5]
	s_cbranch_execnz .LBB4_51
	s_branch .LBB4_52
.LBB4_2101:
	s_movk_i32 s4, 0x80
	v_cmp_eq_u16_e32 vcc, s4, v14
	s_mov_b64 s[4:5], -1
                                        ; implicit-def: $sgpr10
	s_and_saveexec_b64 s[8:9], vcc
; %bb.2102:
	s_mov_b32 s10, 0x7f800001
	s_xor_b64 s[4:5], exec, -1
; %bb.2103:
	s_or_b64 exec, exec, s[8:9]
	s_and_b64 s[4:5], s[4:5], exec
                                        ; implicit-def: $vgpr14
	s_or_saveexec_b64 s[6:7], s[6:7]
	v_mov_b32_e32 v20, s10
	s_xor_b64 exec, exec, s[6:7]
	s_cbranch_execz .LBB4_54
.LBB4_2104:
	v_cmp_ne_u16_e32 vcc, 0, v14
	s_andn2_b64 s[4:5], s[4:5], exec
	s_and_b64 s[8:9], vcc, exec
	v_mov_b32_e32 v20, 0
	s_or_b64 s[4:5], s[4:5], s[8:9]
	s_or_b64 exec, exec, s[6:7]
	s_and_saveexec_b64 s[6:7], s[4:5]
	s_cbranch_execnz .LBB4_55
	s_branch .LBB4_56
.LBB4_2105:
	s_movk_i32 s4, 0x80
	v_cmp_eq_u16_sdwa s[12:13], v15, s4 src0_sel:BYTE_3 src1_sel:DWORD
	s_mov_b64 s[4:5], -1
                                        ; implicit-def: $sgpr10
	s_and_saveexec_b64 s[8:9], s[12:13]
; %bb.2106:
	s_mov_b32 s10, 0x7f800001
	s_xor_b64 s[4:5], exec, -1
; %bb.2107:
	s_or_b64 exec, exec, s[8:9]
	s_and_b64 s[4:5], s[4:5], exec
	s_or_saveexec_b64 s[6:7], s[6:7]
	v_mov_b32_e32 v10, s10
	s_xor_b64 exec, exec, s[6:7]
	s_cbranch_execz .LBB4_58
.LBB4_2108:
	v_mov_b32_e32 v10, 0
	v_cmp_ne_u16_sdwa s[8:9], v15, v10 src0_sel:BYTE_3 src1_sel:DWORD
	s_andn2_b64 s[4:5], s[4:5], exec
	s_and_b64 s[8:9], s[8:9], exec
	s_or_b64 s[4:5], s[4:5], s[8:9]
	s_or_b64 exec, exec, s[6:7]
	s_and_saveexec_b64 s[6:7], s[4:5]
	s_cbranch_execnz .LBB4_59
	s_branch .LBB4_60
.LBB4_2109:
	s_movk_i32 s4, 0x80
	v_cmp_eq_u16_sdwa s[12:13], v11, s4 src0_sel:BYTE_3 src1_sel:DWORD
	s_mov_b64 s[4:5], -1
                                        ; implicit-def: $sgpr10
	s_and_saveexec_b64 s[8:9], s[12:13]
; %bb.2110:
	s_mov_b32 s10, 0x7f800001
	s_xor_b64 s[4:5], exec, -1
; %bb.2111:
	s_or_b64 exec, exec, s[8:9]
	s_and_b64 s[4:5], s[4:5], exec
	s_or_saveexec_b64 s[6:7], s[6:7]
	v_mov_b32_e32 v14, s10
	s_xor_b64 exec, exec, s[6:7]
	s_cbranch_execz .LBB4_62
.LBB4_2112:
	v_mov_b32_e32 v14, 0
	v_cmp_ne_u16_sdwa s[8:9], v11, v14 src0_sel:BYTE_3 src1_sel:DWORD
	s_andn2_b64 s[4:5], s[4:5], exec
	s_and_b64 s[8:9], s[8:9], exec
	s_or_b64 s[4:5], s[4:5], s[8:9]
	s_or_b64 exec, exec, s[6:7]
	s_and_saveexec_b64 s[6:7], s[4:5]
	s_cbranch_execnz .LBB4_63
	s_branch .LBB4_64
.LBB4_2113:
	s_movk_i32 s4, 0x80
	v_cmp_eq_u16_sdwa s[12:13], v16, s4 src0_sel:BYTE_0 src1_sel:DWORD
	s_mov_b64 s[4:5], -1
                                        ; implicit-def: $sgpr10
	s_and_saveexec_b64 s[8:9], s[12:13]
; %bb.2114:
	s_mov_b32 s10, 0x7f800001
	s_xor_b64 s[4:5], exec, -1
; %bb.2115:
	s_or_b64 exec, exec, s[8:9]
	s_and_b64 s[4:5], s[4:5], exec
	s_or_saveexec_b64 s[6:7], s[6:7]
	v_mov_b32_e32 v10, s10
	s_xor_b64 exec, exec, s[6:7]
	s_cbranch_execz .LBB4_66
.LBB4_2116:
	v_mov_b32_e32 v10, 0
	v_cmp_ne_u16_sdwa s[8:9], v16, v10 src0_sel:BYTE_0 src1_sel:DWORD
	s_andn2_b64 s[4:5], s[4:5], exec
	s_and_b64 s[8:9], s[8:9], exec
	s_or_b64 s[4:5], s[4:5], s[8:9]
	s_or_b64 exec, exec, s[6:7]
	s_and_saveexec_b64 s[6:7], s[4:5]
	s_cbranch_execnz .LBB4_67
	s_branch .LBB4_68
.LBB4_2117:
	s_movk_i32 s4, 0x80
	v_cmp_eq_u16_sdwa s[12:13], v12, s4 src0_sel:BYTE_0 src1_sel:DWORD
	s_mov_b64 s[4:5], -1
                                        ; implicit-def: $sgpr10
	s_and_saveexec_b64 s[8:9], s[12:13]
; %bb.2118:
	s_mov_b32 s10, 0x7f800001
	s_xor_b64 s[4:5], exec, -1
; %bb.2119:
	s_or_b64 exec, exec, s[8:9]
	s_and_b64 s[4:5], s[4:5], exec
	s_or_saveexec_b64 s[6:7], s[6:7]
	v_mov_b32_e32 v11, s10
	s_xor_b64 exec, exec, s[6:7]
	s_cbranch_execz .LBB4_70
.LBB4_2120:
	v_mov_b32_e32 v11, 0
	v_cmp_ne_u16_sdwa s[8:9], v12, v11 src0_sel:BYTE_0 src1_sel:DWORD
	s_andn2_b64 s[4:5], s[4:5], exec
	s_and_b64 s[8:9], s[8:9], exec
	s_or_b64 s[4:5], s[4:5], s[8:9]
	s_or_b64 exec, exec, s[6:7]
	s_and_saveexec_b64 s[6:7], s[4:5]
	s_cbranch_execnz .LBB4_71
	s_branch .LBB4_72
.LBB4_2121:
	s_movk_i32 s4, 0x80
	v_cmp_eq_u16_sdwa s[12:13], v11, s4 src0_sel:BYTE_0 src1_sel:DWORD
	s_mov_b64 s[4:5], -1
                                        ; implicit-def: $sgpr10
	s_and_saveexec_b64 s[8:9], s[12:13]
; %bb.2122:
	s_mov_b32 s10, 0x7f800001
	s_xor_b64 s[4:5], exec, -1
; %bb.2123:
	s_or_b64 exec, exec, s[8:9]
	s_and_b64 s[4:5], s[4:5], exec
	s_or_saveexec_b64 s[6:7], s[6:7]
	v_mov_b32_e32 v10, s10
	s_xor_b64 exec, exec, s[6:7]
	s_cbranch_execz .LBB4_74
.LBB4_2124:
	v_mov_b32_e32 v10, 0
	v_cmp_ne_u16_sdwa s[8:9], v11, v10 src0_sel:BYTE_0 src1_sel:DWORD
	s_andn2_b64 s[4:5], s[4:5], exec
	s_and_b64 s[8:9], s[8:9], exec
	s_or_b64 s[4:5], s[4:5], s[8:9]
	s_or_b64 exec, exec, s[6:7]
	s_and_saveexec_b64 s[6:7], s[4:5]
	s_cbranch_execnz .LBB4_75
	s_branch .LBB4_76
.LBB4_2125:
	s_movk_i32 s4, 0x80
	v_cmp_eq_u16_sdwa s[12:13], v11, s4 src0_sel:BYTE_0 src1_sel:DWORD
	s_mov_b64 s[4:5], -1
                                        ; implicit-def: $sgpr10
	s_and_saveexec_b64 s[8:9], s[12:13]
; %bb.2126:
	s_mov_b32 s10, 0x7f800001
	s_xor_b64 s[4:5], exec, -1
; %bb.2127:
	s_or_b64 exec, exec, s[8:9]
	s_and_b64 s[4:5], s[4:5], exec
	s_or_saveexec_b64 s[6:7], s[6:7]
	v_mov_b32_e32 v14, s10
	s_xor_b64 exec, exec, s[6:7]
	s_cbranch_execz .LBB4_78
.LBB4_2128:
	v_mov_b32_e32 v14, 0
	v_cmp_ne_u16_sdwa s[8:9], v11, v14 src0_sel:BYTE_0 src1_sel:DWORD
	s_andn2_b64 s[4:5], s[4:5], exec
	s_and_b64 s[8:9], s[8:9], exec
	s_or_b64 s[4:5], s[4:5], s[8:9]
	s_or_b64 exec, exec, s[6:7]
	s_and_saveexec_b64 s[6:7], s[4:5]
	s_cbranch_execnz .LBB4_79
	s_branch .LBB4_80
.LBB4_2129:
	s_movk_i32 s4, 0x80
	v_cmp_eq_u16_e32 vcc, s4, v11
	s_mov_b64 s[4:5], -1
                                        ; implicit-def: $sgpr10
	s_and_saveexec_b64 s[8:9], vcc
; %bb.2130:
	s_mov_b32 s10, 0x7f800001
	s_xor_b64 s[4:5], exec, -1
; %bb.2131:
	s_or_b64 exec, exec, s[8:9]
	s_and_b64 s[4:5], s[4:5], exec
                                        ; implicit-def: $vgpr11
	s_or_saveexec_b64 s[6:7], s[6:7]
	v_mov_b32_e32 v10, s10
	s_xor_b64 exec, exec, s[6:7]
	s_cbranch_execz .LBB4_82
.LBB4_2132:
	v_cmp_ne_u16_e32 vcc, 0, v11
	s_andn2_b64 s[4:5], s[4:5], exec
	s_and_b64 s[8:9], vcc, exec
	v_mov_b32_e32 v10, 0
	s_or_b64 s[4:5], s[4:5], s[8:9]
	s_or_b64 exec, exec, s[6:7]
	s_and_saveexec_b64 s[6:7], s[4:5]
	s_cbranch_execnz .LBB4_83
	s_branch .LBB4_84
.LBB4_2133:
	s_movk_i32 s4, 0x80
	v_cmp_eq_u16_e32 vcc, s4, v11
	s_mov_b64 s[4:5], -1
                                        ; implicit-def: $sgpr10
	s_and_saveexec_b64 s[8:9], vcc
; %bb.2134:
	s_mov_b32 s10, 0x7f800001
	s_xor_b64 s[4:5], exec, -1
; %bb.2135:
	s_or_b64 exec, exec, s[8:9]
	s_and_b64 s[4:5], s[4:5], exec
                                        ; implicit-def: $vgpr11
	s_or_saveexec_b64 s[6:7], s[6:7]
	v_mov_b32_e32 v14, s10
	s_xor_b64 exec, exec, s[6:7]
	s_cbranch_execz .LBB4_86
.LBB4_2136:
	v_cmp_ne_u16_e32 vcc, 0, v11
	s_andn2_b64 s[4:5], s[4:5], exec
	s_and_b64 s[8:9], vcc, exec
	v_mov_b32_e32 v14, 0
	s_or_b64 s[4:5], s[4:5], s[8:9]
	s_or_b64 exec, exec, s[6:7]
	s_and_saveexec_b64 s[6:7], s[4:5]
	s_cbranch_execnz .LBB4_87
	s_branch .LBB4_88
.LBB4_2137:
	s_movk_i32 s4, 0x80
	v_cmp_eq_u16_sdwa s[12:13], v16, s4 src0_sel:BYTE_3 src1_sel:DWORD
	s_mov_b64 s[4:5], -1
                                        ; implicit-def: $sgpr10
	s_and_saveexec_b64 s[8:9], s[12:13]
; %bb.2138:
	s_mov_b32 s10, 0x7f800001
	s_xor_b64 s[4:5], exec, -1
; %bb.2139:
	s_or_b64 exec, exec, s[8:9]
	s_and_b64 s[4:5], s[4:5], exec
	s_or_saveexec_b64 s[6:7], s[6:7]
	v_mov_b32_e32 v10, s10
	s_xor_b64 exec, exec, s[6:7]
	s_cbranch_execz .LBB4_90
.LBB4_2140:
	v_mov_b32_e32 v10, 0
	v_cmp_ne_u16_sdwa s[8:9], v16, v10 src0_sel:BYTE_3 src1_sel:DWORD
	s_andn2_b64 s[4:5], s[4:5], exec
	s_and_b64 s[8:9], s[8:9], exec
	s_or_b64 s[4:5], s[4:5], s[8:9]
	s_or_b64 exec, exec, s[6:7]
	s_and_saveexec_b64 s[6:7], s[4:5]
	s_cbranch_execnz .LBB4_91
	s_branch .LBB4_92
.LBB4_2141:
	s_movk_i32 s4, 0x80
	v_cmp_eq_u16_sdwa s[12:13], v12, s4 src0_sel:BYTE_3 src1_sel:DWORD
	s_mov_b64 s[4:5], -1
                                        ; implicit-def: $sgpr10
	s_and_saveexec_b64 s[8:9], s[12:13]
; %bb.2142:
	s_mov_b32 s10, 0x7f800001
	s_xor_b64 s[4:5], exec, -1
; %bb.2143:
	s_or_b64 exec, exec, s[8:9]
	s_and_b64 s[4:5], s[4:5], exec
	s_or_saveexec_b64 s[6:7], s[6:7]
	v_mov_b32_e32 v11, s10
	s_xor_b64 exec, exec, s[6:7]
	s_cbranch_execz .LBB4_94
.LBB4_2144:
	v_mov_b32_e32 v11, 0
	v_cmp_ne_u16_sdwa s[8:9], v12, v11 src0_sel:BYTE_3 src1_sel:DWORD
	s_andn2_b64 s[4:5], s[4:5], exec
	s_and_b64 s[8:9], s[8:9], exec
	s_or_b64 s[4:5], s[4:5], s[8:9]
	s_or_b64 exec, exec, s[6:7]
	s_and_saveexec_b64 s[6:7], s[4:5]
	s_cbranch_execnz .LBB4_95
	s_branch .LBB4_96
.LBB4_2145:
	s_movk_i32 s4, 0x80
	v_cmp_eq_u16_sdwa s[12:13], v17, s4 src0_sel:BYTE_0 src1_sel:DWORD
	s_mov_b64 s[4:5], -1
                                        ; implicit-def: $sgpr10
	s_and_saveexec_b64 s[8:9], s[12:13]
; %bb.2146:
	s_mov_b32 s10, 0x7f800001
	s_xor_b64 s[4:5], exec, -1
; %bb.2147:
	s_or_b64 exec, exec, s[8:9]
	s_and_b64 s[4:5], s[4:5], exec
	s_or_saveexec_b64 s[6:7], s[6:7]
	v_mov_b32_e32 v10, s10
	s_xor_b64 exec, exec, s[6:7]
	s_cbranch_execz .LBB4_98
.LBB4_2148:
	v_mov_b32_e32 v10, 0
	v_cmp_ne_u16_sdwa s[8:9], v17, v10 src0_sel:BYTE_0 src1_sel:DWORD
	s_andn2_b64 s[4:5], s[4:5], exec
	s_and_b64 s[8:9], s[8:9], exec
	s_or_b64 s[4:5], s[4:5], s[8:9]
	s_or_b64 exec, exec, s[6:7]
	s_and_saveexec_b64 s[6:7], s[4:5]
	s_cbranch_execnz .LBB4_99
	s_branch .LBB4_100
.LBB4_2149:
	s_movk_i32 s4, 0x80
	v_cmp_eq_u16_sdwa s[12:13], v13, s4 src0_sel:BYTE_0 src1_sel:DWORD
	s_mov_b64 s[4:5], -1
                                        ; implicit-def: $sgpr10
	s_and_saveexec_b64 s[8:9], s[12:13]
; %bb.2150:
	s_mov_b32 s10, 0x7f800001
	s_xor_b64 s[4:5], exec, -1
; %bb.2151:
	s_or_b64 exec, exec, s[8:9]
	s_and_b64 s[4:5], s[4:5], exec
	s_or_saveexec_b64 s[6:7], s[6:7]
	v_mov_b32_e32 v11, s10
	s_xor_b64 exec, exec, s[6:7]
	s_cbranch_execz .LBB4_102
.LBB4_2152:
	v_mov_b32_e32 v11, 0
	v_cmp_ne_u16_sdwa s[8:9], v13, v11 src0_sel:BYTE_0 src1_sel:DWORD
	s_andn2_b64 s[4:5], s[4:5], exec
	s_and_b64 s[8:9], s[8:9], exec
	s_or_b64 s[4:5], s[4:5], s[8:9]
	s_or_b64 exec, exec, s[6:7]
	s_and_saveexec_b64 s[6:7], s[4:5]
	s_cbranch_execnz .LBB4_103
	s_branch .LBB4_104
.LBB4_2153:
	s_movk_i32 s4, 0x80
	v_cmp_eq_u16_sdwa s[12:13], v11, s4 src0_sel:BYTE_0 src1_sel:DWORD
	s_mov_b64 s[4:5], -1
                                        ; implicit-def: $sgpr10
	s_and_saveexec_b64 s[8:9], s[12:13]
; %bb.2154:
	s_mov_b32 s10, 0x7f800001
	s_xor_b64 s[4:5], exec, -1
; %bb.2155:
	s_or_b64 exec, exec, s[8:9]
	s_and_b64 s[4:5], s[4:5], exec
	s_or_saveexec_b64 s[6:7], s[6:7]
	v_mov_b32_e32 v10, s10
	s_xor_b64 exec, exec, s[6:7]
	s_cbranch_execz .LBB4_106
.LBB4_2156:
	v_mov_b32_e32 v10, 0
	v_cmp_ne_u16_sdwa s[8:9], v11, v10 src0_sel:BYTE_0 src1_sel:DWORD
	s_andn2_b64 s[4:5], s[4:5], exec
	s_and_b64 s[8:9], s[8:9], exec
	s_or_b64 s[4:5], s[4:5], s[8:9]
	s_or_b64 exec, exec, s[6:7]
	s_and_saveexec_b64 s[6:7], s[4:5]
	s_cbranch_execnz .LBB4_107
	s_branch .LBB4_108
.LBB4_2157:
	s_movk_i32 s4, 0x80
	v_cmp_eq_u16_sdwa s[12:13], v11, s4 src0_sel:BYTE_0 src1_sel:DWORD
	s_mov_b64 s[4:5], -1
                                        ; implicit-def: $sgpr10
	s_and_saveexec_b64 s[8:9], s[12:13]
; %bb.2158:
	s_mov_b32 s10, 0x7f800001
	s_xor_b64 s[4:5], exec, -1
; %bb.2159:
	s_or_b64 exec, exec, s[8:9]
	s_and_b64 s[4:5], s[4:5], exec
	s_or_saveexec_b64 s[6:7], s[6:7]
	v_mov_b32_e32 v12, s10
	s_xor_b64 exec, exec, s[6:7]
	s_cbranch_execz .LBB4_110
.LBB4_2160:
	v_mov_b32_e32 v12, 0
	v_cmp_ne_u16_sdwa s[8:9], v11, v12 src0_sel:BYTE_0 src1_sel:DWORD
	s_andn2_b64 s[4:5], s[4:5], exec
	s_and_b64 s[8:9], s[8:9], exec
	s_or_b64 s[4:5], s[4:5], s[8:9]
	s_or_b64 exec, exec, s[6:7]
	s_and_saveexec_b64 s[6:7], s[4:5]
	s_cbranch_execnz .LBB4_111
	s_branch .LBB4_112
.LBB4_2161:
	s_movk_i32 s4, 0x80
	v_cmp_eq_u16_e32 vcc, s4, v11
	s_mov_b64 s[4:5], -1
                                        ; implicit-def: $sgpr10
	s_and_saveexec_b64 s[8:9], vcc
; %bb.2162:
	s_mov_b32 s10, 0x7f800001
	s_xor_b64 s[4:5], exec, -1
; %bb.2163:
	s_or_b64 exec, exec, s[8:9]
	s_and_b64 s[4:5], s[4:5], exec
                                        ; implicit-def: $vgpr11
	s_or_saveexec_b64 s[6:7], s[6:7]
	v_mov_b32_e32 v10, s10
	s_xor_b64 exec, exec, s[6:7]
	s_cbranch_execz .LBB4_114
.LBB4_2164:
	v_cmp_ne_u16_e32 vcc, 0, v11
	s_andn2_b64 s[4:5], s[4:5], exec
	s_and_b64 s[8:9], vcc, exec
	v_mov_b32_e32 v10, 0
	s_or_b64 s[4:5], s[4:5], s[8:9]
	s_or_b64 exec, exec, s[6:7]
	s_and_saveexec_b64 s[6:7], s[4:5]
	s_cbranch_execnz .LBB4_115
	s_branch .LBB4_116
.LBB4_2165:
	s_movk_i32 s4, 0x80
	v_cmp_eq_u16_e32 vcc, s4, v11
	s_mov_b64 s[4:5], -1
                                        ; implicit-def: $sgpr10
	s_and_saveexec_b64 s[8:9], vcc
; %bb.2166:
	s_mov_b32 s10, 0x7f800001
	s_xor_b64 s[4:5], exec, -1
; %bb.2167:
	s_or_b64 exec, exec, s[8:9]
	s_and_b64 s[4:5], s[4:5], exec
                                        ; implicit-def: $vgpr11
	s_or_saveexec_b64 s[6:7], s[6:7]
	v_mov_b32_e32 v12, s10
	s_xor_b64 exec, exec, s[6:7]
	s_cbranch_execz .LBB4_118
.LBB4_2168:
	v_cmp_ne_u16_e32 vcc, 0, v11
	s_andn2_b64 s[4:5], s[4:5], exec
	s_and_b64 s[8:9], vcc, exec
	v_mov_b32_e32 v12, 0
	s_or_b64 s[4:5], s[4:5], s[8:9]
	s_or_b64 exec, exec, s[6:7]
	s_and_saveexec_b64 s[6:7], s[4:5]
	s_cbranch_execnz .LBB4_119
	s_branch .LBB4_120
.LBB4_2169:
	s_movk_i32 s4, 0x80
	v_cmp_eq_u16_sdwa s[12:13], v17, s4 src0_sel:BYTE_3 src1_sel:DWORD
	s_mov_b64 s[4:5], -1
                                        ; implicit-def: $sgpr10
	s_and_saveexec_b64 s[8:9], s[12:13]
; %bb.2170:
	s_mov_b32 s10, 0x7f800001
	s_xor_b64 s[4:5], exec, -1
; %bb.2171:
	s_or_b64 exec, exec, s[8:9]
	s_and_b64 s[4:5], s[4:5], exec
	s_or_saveexec_b64 s[6:7], s[6:7]
	v_mov_b32_e32 v10, s10
	s_xor_b64 exec, exec, s[6:7]
	s_cbranch_execz .LBB4_122
.LBB4_2172:
	v_mov_b32_e32 v10, 0
	v_cmp_ne_u16_sdwa s[8:9], v17, v10 src0_sel:BYTE_3 src1_sel:DWORD
	s_andn2_b64 s[4:5], s[4:5], exec
	s_and_b64 s[8:9], s[8:9], exec
	s_or_b64 s[4:5], s[4:5], s[8:9]
	s_or_b64 exec, exec, s[6:7]
	s_and_saveexec_b64 s[6:7], s[4:5]
	s_cbranch_execnz .LBB4_123
	s_branch .LBB4_124
.LBB4_2173:
	s_movk_i32 s4, 0x80
	v_cmp_eq_u16_sdwa s[12:13], v13, s4 src0_sel:BYTE_3 src1_sel:DWORD
	s_mov_b64 s[4:5], -1
                                        ; implicit-def: $sgpr10
	s_and_saveexec_b64 s[8:9], s[12:13]
; %bb.2174:
	s_mov_b32 s10, 0x7f800001
	s_xor_b64 s[4:5], exec, -1
; %bb.2175:
	s_or_b64 exec, exec, s[8:9]
	s_and_b64 s[4:5], s[4:5], exec
	s_or_saveexec_b64 s[6:7], s[6:7]
	v_mov_b32_e32 v11, s10
	s_xor_b64 exec, exec, s[6:7]
	s_cbranch_execz .LBB4_126
.LBB4_2176:
	v_mov_b32_e32 v11, 0
	v_cmp_ne_u16_sdwa s[8:9], v13, v11 src0_sel:BYTE_3 src1_sel:DWORD
	s_andn2_b64 s[4:5], s[4:5], exec
	s_and_b64 s[8:9], s[8:9], exec
	s_or_b64 s[4:5], s[4:5], s[8:9]
	s_or_b64 exec, exec, s[6:7]
	s_and_saveexec_b64 s[6:7], s[4:5]
	s_cbranch_execnz .LBB4_127
	s_branch .LBB4_128
.LBB4_2177:
	s_movk_i32 s4, 0x80
	v_cmp_eq_u16_sdwa s[12:13], v6, s4 src0_sel:BYTE_0 src1_sel:DWORD
	s_mov_b64 s[4:5], -1
                                        ; implicit-def: $sgpr10
	s_and_saveexec_b64 s[8:9], s[12:13]
; %bb.2178:
	s_mov_b32 s10, 0x7f800001
	s_xor_b64 s[4:5], exec, -1
; %bb.2179:
	s_or_b64 exec, exec, s[8:9]
	s_and_b64 s[4:5], s[4:5], exec
	s_or_saveexec_b64 s[6:7], s[6:7]
	v_mov_b32_e32 v10, s10
	s_xor_b64 exec, exec, s[6:7]
	s_cbranch_execz .LBB4_130
.LBB4_2180:
	v_mov_b32_e32 v10, 0
	v_cmp_ne_u16_sdwa s[8:9], v6, v10 src0_sel:BYTE_0 src1_sel:DWORD
	s_andn2_b64 s[4:5], s[4:5], exec
	s_and_b64 s[8:9], s[8:9], exec
	s_or_b64 s[4:5], s[4:5], s[8:9]
	s_or_b64 exec, exec, s[6:7]
	s_and_saveexec_b64 s[6:7], s[4:5]
	s_cbranch_execnz .LBB4_131
	s_branch .LBB4_132
.LBB4_2181:
	s_movk_i32 s4, 0x80
	v_cmp_eq_u16_sdwa s[12:13], v2, s4 src0_sel:BYTE_0 src1_sel:DWORD
	s_mov_b64 s[4:5], -1
                                        ; implicit-def: $sgpr10
	s_and_saveexec_b64 s[8:9], s[12:13]
; %bb.2182:
	s_mov_b32 s10, 0x7f800001
	s_xor_b64 s[4:5], exec, -1
; %bb.2183:
	s_or_b64 exec, exec, s[8:9]
	s_and_b64 s[4:5], s[4:5], exec
	s_or_saveexec_b64 s[6:7], s[6:7]
	v_mov_b32_e32 v11, s10
	s_xor_b64 exec, exec, s[6:7]
	s_cbranch_execz .LBB4_134
.LBB4_2184:
	v_mov_b32_e32 v11, 0
	v_cmp_ne_u16_sdwa s[8:9], v2, v11 src0_sel:BYTE_0 src1_sel:DWORD
	s_andn2_b64 s[4:5], s[4:5], exec
	s_and_b64 s[8:9], s[8:9], exec
	s_or_b64 s[4:5], s[4:5], s[8:9]
	s_or_b64 exec, exec, s[6:7]
	s_and_saveexec_b64 s[6:7], s[4:5]
	s_cbranch_execnz .LBB4_135
	s_branch .LBB4_136
.LBB4_2185:
	s_movk_i32 s4, 0x80
	v_cmp_eq_u16_sdwa s[12:13], v11, s4 src0_sel:BYTE_0 src1_sel:DWORD
	s_mov_b64 s[4:5], -1
                                        ; implicit-def: $sgpr10
	s_and_saveexec_b64 s[8:9], s[12:13]
; %bb.2186:
	s_mov_b32 s10, 0x7f800001
	s_xor_b64 s[4:5], exec, -1
; %bb.2187:
	s_or_b64 exec, exec, s[8:9]
	s_and_b64 s[4:5], s[4:5], exec
	s_or_saveexec_b64 s[6:7], s[6:7]
	v_mov_b32_e32 v10, s10
	s_xor_b64 exec, exec, s[6:7]
	s_cbranch_execz .LBB4_138
.LBB4_2188:
	v_mov_b32_e32 v10, 0
	v_cmp_ne_u16_sdwa s[8:9], v11, v10 src0_sel:BYTE_0 src1_sel:DWORD
	s_andn2_b64 s[4:5], s[4:5], exec
	s_and_b64 s[8:9], s[8:9], exec
	s_or_b64 s[4:5], s[4:5], s[8:9]
	s_or_b64 exec, exec, s[6:7]
	s_and_saveexec_b64 s[6:7], s[4:5]
	s_cbranch_execnz .LBB4_139
	s_branch .LBB4_140
.LBB4_2189:
	s_movk_i32 s4, 0x80
	v_cmp_eq_u16_sdwa s[12:13], v11, s4 src0_sel:BYTE_0 src1_sel:DWORD
	s_mov_b64 s[4:5], -1
                                        ; implicit-def: $sgpr10
	s_and_saveexec_b64 s[8:9], s[12:13]
; %bb.2190:
	s_mov_b32 s10, 0x7f800001
	s_xor_b64 s[4:5], exec, -1
; %bb.2191:
	s_or_b64 exec, exec, s[8:9]
	s_and_b64 s[4:5], s[4:5], exec
	s_or_saveexec_b64 s[6:7], s[6:7]
	v_mov_b32_e32 v12, s10
	s_xor_b64 exec, exec, s[6:7]
	s_cbranch_execz .LBB4_142
.LBB4_2192:
	v_mov_b32_e32 v12, 0
	v_cmp_ne_u16_sdwa s[8:9], v11, v12 src0_sel:BYTE_0 src1_sel:DWORD
	s_andn2_b64 s[4:5], s[4:5], exec
	s_and_b64 s[8:9], s[8:9], exec
	s_or_b64 s[4:5], s[4:5], s[8:9]
	s_or_b64 exec, exec, s[6:7]
	s_and_saveexec_b64 s[6:7], s[4:5]
	s_cbranch_execnz .LBB4_143
	s_branch .LBB4_144
.LBB4_2193:
	s_movk_i32 s4, 0x80
	v_cmp_eq_u16_e32 vcc, s4, v11
	s_mov_b64 s[4:5], -1
                                        ; implicit-def: $sgpr10
	s_and_saveexec_b64 s[8:9], vcc
; %bb.2194:
	s_mov_b32 s10, 0x7f800001
	s_xor_b64 s[4:5], exec, -1
; %bb.2195:
	s_or_b64 exec, exec, s[8:9]
	s_and_b64 s[4:5], s[4:5], exec
                                        ; implicit-def: $vgpr11
	s_or_saveexec_b64 s[6:7], s[6:7]
	v_mov_b32_e32 v10, s10
	s_xor_b64 exec, exec, s[6:7]
	s_cbranch_execz .LBB4_146
.LBB4_2196:
	v_cmp_ne_u16_e32 vcc, 0, v11
	s_andn2_b64 s[4:5], s[4:5], exec
	s_and_b64 s[8:9], vcc, exec
	v_mov_b32_e32 v10, 0
	s_or_b64 s[4:5], s[4:5], s[8:9]
	s_or_b64 exec, exec, s[6:7]
	s_and_saveexec_b64 s[6:7], s[4:5]
	s_cbranch_execnz .LBB4_147
	s_branch .LBB4_148
.LBB4_2197:
	s_movk_i32 s4, 0x80
	v_cmp_eq_u16_e32 vcc, s4, v11
	s_mov_b64 s[4:5], -1
                                        ; implicit-def: $sgpr10
	s_and_saveexec_b64 s[8:9], vcc
; %bb.2198:
	s_mov_b32 s10, 0x7f800001
	s_xor_b64 s[4:5], exec, -1
; %bb.2199:
	s_or_b64 exec, exec, s[8:9]
	s_and_b64 s[4:5], s[4:5], exec
                                        ; implicit-def: $vgpr11
	s_or_saveexec_b64 s[6:7], s[6:7]
	v_mov_b32_e32 v12, s10
	s_xor_b64 exec, exec, s[6:7]
	s_cbranch_execz .LBB4_150
.LBB4_2200:
	v_cmp_ne_u16_e32 vcc, 0, v11
	s_andn2_b64 s[4:5], s[4:5], exec
	s_and_b64 s[8:9], vcc, exec
	v_mov_b32_e32 v12, 0
	s_or_b64 s[4:5], s[4:5], s[8:9]
	s_or_b64 exec, exec, s[6:7]
	s_and_saveexec_b64 s[6:7], s[4:5]
	s_cbranch_execnz .LBB4_151
	s_branch .LBB4_152
.LBB4_2201:
	s_movk_i32 s4, 0x80
	v_cmp_eq_u16_sdwa s[12:13], v6, s4 src0_sel:BYTE_3 src1_sel:DWORD
	s_mov_b64 s[4:5], -1
                                        ; implicit-def: $sgpr10
	s_and_saveexec_b64 s[8:9], s[12:13]
; %bb.2202:
	s_mov_b32 s10, 0x7f800001
	s_xor_b64 s[4:5], exec, -1
; %bb.2203:
	s_or_b64 exec, exec, s[8:9]
	s_and_b64 s[4:5], s[4:5], exec
	s_or_saveexec_b64 s[6:7], s[6:7]
	v_mov_b32_e32 v10, s10
	s_xor_b64 exec, exec, s[6:7]
	s_cbranch_execz .LBB4_154
.LBB4_2204:
	v_mov_b32_e32 v10, 0
	v_cmp_ne_u16_sdwa s[8:9], v6, v10 src0_sel:BYTE_3 src1_sel:DWORD
	s_andn2_b64 s[4:5], s[4:5], exec
	s_and_b64 s[8:9], s[8:9], exec
	s_or_b64 s[4:5], s[4:5], s[8:9]
	s_or_b64 exec, exec, s[6:7]
	s_and_saveexec_b64 s[6:7], s[4:5]
	s_cbranch_execnz .LBB4_155
	s_branch .LBB4_156
.LBB4_2205:
	s_movk_i32 s4, 0x80
	v_cmp_eq_u16_sdwa s[12:13], v2, s4 src0_sel:BYTE_3 src1_sel:DWORD
	s_mov_b64 s[4:5], -1
                                        ; implicit-def: $sgpr10
	s_and_saveexec_b64 s[8:9], s[12:13]
; %bb.2206:
	s_mov_b32 s10, 0x7f800001
	s_xor_b64 s[4:5], exec, -1
; %bb.2207:
	s_or_b64 exec, exec, s[8:9]
	s_and_b64 s[4:5], s[4:5], exec
	s_or_saveexec_b64 s[6:7], s[6:7]
	v_mov_b32_e32 v6, s10
	s_xor_b64 exec, exec, s[6:7]
	s_cbranch_execz .LBB4_158
.LBB4_2208:
	v_mov_b32_e32 v6, 0
	v_cmp_ne_u16_sdwa s[8:9], v2, v6 src0_sel:BYTE_3 src1_sel:DWORD
	s_andn2_b64 s[4:5], s[4:5], exec
	s_and_b64 s[8:9], s[8:9], exec
	s_or_b64 s[4:5], s[4:5], s[8:9]
	s_or_b64 exec, exec, s[6:7]
	s_and_saveexec_b64 s[6:7], s[4:5]
	s_cbranch_execnz .LBB4_159
	s_branch .LBB4_160
.LBB4_2209:
	s_movk_i32 s4, 0x80
	v_cmp_eq_u16_sdwa s[12:13], v7, s4 src0_sel:BYTE_0 src1_sel:DWORD
	s_mov_b64 s[4:5], -1
                                        ; implicit-def: $sgpr10
	s_and_saveexec_b64 s[8:9], s[12:13]
; %bb.2210:
	s_mov_b32 s10, 0x7f800001
	s_xor_b64 s[4:5], exec, -1
; %bb.2211:
	s_or_b64 exec, exec, s[8:9]
	s_and_b64 s[4:5], s[4:5], exec
	s_or_saveexec_b64 s[6:7], s[6:7]
	v_mov_b32_e32 v2, s10
	s_xor_b64 exec, exec, s[6:7]
	s_cbranch_execz .LBB4_162
.LBB4_2212:
	v_mov_b32_e32 v2, 0
	v_cmp_ne_u16_sdwa s[8:9], v7, v2 src0_sel:BYTE_0 src1_sel:DWORD
	s_andn2_b64 s[4:5], s[4:5], exec
	s_and_b64 s[8:9], s[8:9], exec
	s_or_b64 s[4:5], s[4:5], s[8:9]
	s_or_b64 exec, exec, s[6:7]
	s_and_saveexec_b64 s[6:7], s[4:5]
	s_cbranch_execnz .LBB4_163
	s_branch .LBB4_164
.LBB4_2213:
	s_movk_i32 s4, 0x80
	v_cmp_eq_u16_sdwa s[12:13], v3, s4 src0_sel:BYTE_0 src1_sel:DWORD
	s_mov_b64 s[4:5], -1
                                        ; implicit-def: $sgpr10
	s_and_saveexec_b64 s[8:9], s[12:13]
; %bb.2214:
	s_mov_b32 s10, 0x7f800001
	s_xor_b64 s[4:5], exec, -1
; %bb.2215:
	s_or_b64 exec, exec, s[8:9]
	s_and_b64 s[4:5], s[4:5], exec
	s_or_saveexec_b64 s[6:7], s[6:7]
	v_mov_b32_e32 v6, s10
	s_xor_b64 exec, exec, s[6:7]
	s_cbranch_execz .LBB4_166
.LBB4_2216:
	v_mov_b32_e32 v6, 0
	v_cmp_ne_u16_sdwa s[8:9], v3, v6 src0_sel:BYTE_0 src1_sel:DWORD
	s_andn2_b64 s[4:5], s[4:5], exec
	s_and_b64 s[8:9], s[8:9], exec
	s_or_b64 s[4:5], s[4:5], s[8:9]
	s_or_b64 exec, exec, s[6:7]
	s_and_saveexec_b64 s[6:7], s[4:5]
	s_cbranch_execnz .LBB4_167
	s_branch .LBB4_168
.LBB4_2217:
	s_movk_i32 s4, 0x80
	v_cmp_eq_u16_sdwa s[12:13], v6, s4 src0_sel:BYTE_0 src1_sel:DWORD
	s_mov_b64 s[4:5], -1
                                        ; implicit-def: $sgpr10
	s_and_saveexec_b64 s[8:9], s[12:13]
; %bb.2218:
	s_mov_b32 s10, 0x7f800001
	s_xor_b64 s[4:5], exec, -1
; %bb.2219:
	s_or_b64 exec, exec, s[8:9]
	s_and_b64 s[4:5], s[4:5], exec
	s_or_saveexec_b64 s[6:7], s[6:7]
	v_mov_b32_e32 v2, s10
	s_xor_b64 exec, exec, s[6:7]
	s_cbranch_execz .LBB4_170
.LBB4_2220:
	v_mov_b32_e32 v2, 0
	v_cmp_ne_u16_sdwa s[8:9], v6, v2 src0_sel:BYTE_0 src1_sel:DWORD
	s_andn2_b64 s[4:5], s[4:5], exec
	s_and_b64 s[8:9], s[8:9], exec
	s_or_b64 s[4:5], s[4:5], s[8:9]
	s_or_b64 exec, exec, s[6:7]
	s_and_saveexec_b64 s[6:7], s[4:5]
	s_cbranch_execnz .LBB4_171
	s_branch .LBB4_172
.LBB4_2221:
	s_movk_i32 s4, 0x80
	v_cmp_eq_u16_sdwa s[12:13], v6, s4 src0_sel:BYTE_0 src1_sel:DWORD
	s_mov_b64 s[4:5], -1
                                        ; implicit-def: $sgpr10
	s_and_saveexec_b64 s[8:9], s[12:13]
; %bb.2222:
	s_mov_b32 s10, 0x7f800001
	s_xor_b64 s[4:5], exec, -1
; %bb.2223:
	s_or_b64 exec, exec, s[8:9]
	s_and_b64 s[4:5], s[4:5], exec
	s_or_saveexec_b64 s[6:7], s[6:7]
	v_mov_b32_e32 v10, s10
	s_xor_b64 exec, exec, s[6:7]
	s_cbranch_execz .LBB4_174
.LBB4_2224:
	v_mov_b32_e32 v10, 0
	v_cmp_ne_u16_sdwa s[8:9], v6, v10 src0_sel:BYTE_0 src1_sel:DWORD
	s_andn2_b64 s[4:5], s[4:5], exec
	s_and_b64 s[8:9], s[8:9], exec
	s_or_b64 s[4:5], s[4:5], s[8:9]
	s_or_b64 exec, exec, s[6:7]
	s_and_saveexec_b64 s[6:7], s[4:5]
	s_cbranch_execnz .LBB4_175
	s_branch .LBB4_176
.LBB4_2225:
	s_movk_i32 s4, 0x80
	v_cmp_eq_u16_e32 vcc, s4, v6
	s_mov_b64 s[4:5], -1
                                        ; implicit-def: $sgpr10
	s_and_saveexec_b64 s[8:9], vcc
; %bb.2226:
	s_mov_b32 s10, 0x7f800001
	s_xor_b64 s[4:5], exec, -1
; %bb.2227:
	s_or_b64 exec, exec, s[8:9]
	s_and_b64 s[4:5], s[4:5], exec
                                        ; implicit-def: $vgpr6
	s_or_saveexec_b64 s[6:7], s[6:7]
	v_mov_b32_e32 v2, s10
	s_xor_b64 exec, exec, s[6:7]
	s_cbranch_execz .LBB4_178
.LBB4_2228:
	v_cmp_ne_u16_e32 vcc, 0, v6
	s_andn2_b64 s[4:5], s[4:5], exec
	s_and_b64 s[8:9], vcc, exec
	v_mov_b32_e32 v2, 0
	s_or_b64 s[4:5], s[4:5], s[8:9]
	s_or_b64 exec, exec, s[6:7]
	s_and_saveexec_b64 s[6:7], s[4:5]
	s_cbranch_execnz .LBB4_179
	s_branch .LBB4_180
.LBB4_2229:
	s_movk_i32 s4, 0x80
	v_cmp_eq_u16_e32 vcc, s4, v6
	s_mov_b64 s[4:5], -1
                                        ; implicit-def: $sgpr10
	s_and_saveexec_b64 s[8:9], vcc
; %bb.2230:
	s_mov_b32 s10, 0x7f800001
	s_xor_b64 s[4:5], exec, -1
; %bb.2231:
	s_or_b64 exec, exec, s[8:9]
	s_and_b64 s[4:5], s[4:5], exec
                                        ; implicit-def: $vgpr6
	s_or_saveexec_b64 s[6:7], s[6:7]
	v_mov_b32_e32 v10, s10
	s_xor_b64 exec, exec, s[6:7]
	s_cbranch_execz .LBB4_182
.LBB4_2232:
	v_cmp_ne_u16_e32 vcc, 0, v6
	s_andn2_b64 s[4:5], s[4:5], exec
	s_and_b64 s[8:9], vcc, exec
	v_mov_b32_e32 v10, 0
	s_or_b64 s[4:5], s[4:5], s[8:9]
	s_or_b64 exec, exec, s[6:7]
	s_and_saveexec_b64 s[6:7], s[4:5]
	s_cbranch_execnz .LBB4_183
	s_branch .LBB4_184
.LBB4_2233:
	s_movk_i32 s4, 0x80
	v_cmp_eq_u16_sdwa s[12:13], v7, s4 src0_sel:BYTE_3 src1_sel:DWORD
	s_mov_b64 s[4:5], -1
                                        ; implicit-def: $sgpr10
	s_and_saveexec_b64 s[8:9], s[12:13]
; %bb.2234:
	s_mov_b32 s10, 0x7f800001
	s_xor_b64 s[4:5], exec, -1
; %bb.2235:
	s_or_b64 exec, exec, s[8:9]
	s_and_b64 s[4:5], s[4:5], exec
	s_or_saveexec_b64 s[6:7], s[6:7]
	v_mov_b32_e32 v2, s10
	s_xor_b64 exec, exec, s[6:7]
	s_cbranch_execz .LBB4_186
.LBB4_2236:
	v_mov_b32_e32 v2, 0
	v_cmp_ne_u16_sdwa s[8:9], v7, v2 src0_sel:BYTE_3 src1_sel:DWORD
	s_andn2_b64 s[4:5], s[4:5], exec
	s_and_b64 s[8:9], s[8:9], exec
	s_or_b64 s[4:5], s[4:5], s[8:9]
	s_or_b64 exec, exec, s[6:7]
	s_and_saveexec_b64 s[6:7], s[4:5]
	s_cbranch_execnz .LBB4_187
	s_branch .LBB4_188
.LBB4_2237:
	s_movk_i32 s4, 0x80
	v_cmp_eq_u16_sdwa s[12:13], v3, s4 src0_sel:BYTE_3 src1_sel:DWORD
	s_mov_b64 s[4:5], -1
                                        ; implicit-def: $sgpr10
	s_and_saveexec_b64 s[8:9], s[12:13]
; %bb.2238:
	s_mov_b32 s10, 0x7f800001
	s_xor_b64 s[4:5], exec, -1
; %bb.2239:
	s_or_b64 exec, exec, s[8:9]
	s_and_b64 s[4:5], s[4:5], exec
	s_or_saveexec_b64 s[6:7], s[6:7]
	v_mov_b32_e32 v6, s10
	s_xor_b64 exec, exec, s[6:7]
	s_cbranch_execz .LBB4_190
.LBB4_2240:
	v_mov_b32_e32 v6, 0
	v_cmp_ne_u16_sdwa s[8:9], v3, v6 src0_sel:BYTE_3 src1_sel:DWORD
	s_andn2_b64 s[4:5], s[4:5], exec
	s_and_b64 s[8:9], s[8:9], exec
	s_or_b64 s[4:5], s[4:5], s[8:9]
	s_or_b64 exec, exec, s[6:7]
	s_and_saveexec_b64 s[6:7], s[4:5]
	s_cbranch_execnz .LBB4_191
	s_branch .LBB4_192
.LBB4_2241:
	s_movk_i32 s4, 0x80
	v_cmp_eq_u16_sdwa s[12:13], v8, s4 src0_sel:BYTE_0 src1_sel:DWORD
	s_mov_b64 s[4:5], -1
                                        ; implicit-def: $sgpr10
	s_and_saveexec_b64 s[8:9], s[12:13]
; %bb.2242:
	s_mov_b32 s10, 0x7f800001
	s_xor_b64 s[4:5], exec, -1
; %bb.2243:
	s_or_b64 exec, exec, s[8:9]
	s_and_b64 s[4:5], s[4:5], exec
	s_or_saveexec_b64 s[6:7], s[6:7]
	v_mov_b32_e32 v2, s10
	s_xor_b64 exec, exec, s[6:7]
	s_cbranch_execz .LBB4_194
.LBB4_2244:
	v_mov_b32_e32 v2, 0
	v_cmp_ne_u16_sdwa s[8:9], v8, v2 src0_sel:BYTE_0 src1_sel:DWORD
	s_andn2_b64 s[4:5], s[4:5], exec
	s_and_b64 s[8:9], s[8:9], exec
	s_or_b64 s[4:5], s[4:5], s[8:9]
	s_or_b64 exec, exec, s[6:7]
	s_and_saveexec_b64 s[6:7], s[4:5]
	s_cbranch_execnz .LBB4_195
	s_branch .LBB4_196
.LBB4_2245:
	s_movk_i32 s4, 0x80
	v_cmp_eq_u16_sdwa s[12:13], v4, s4 src0_sel:BYTE_0 src1_sel:DWORD
	s_mov_b64 s[4:5], -1
                                        ; implicit-def: $sgpr10
	s_and_saveexec_b64 s[8:9], s[12:13]
; %bb.2246:
	s_mov_b32 s10, 0x7f800001
	s_xor_b64 s[4:5], exec, -1
; %bb.2247:
	s_or_b64 exec, exec, s[8:9]
	s_and_b64 s[4:5], s[4:5], exec
	s_or_saveexec_b64 s[6:7], s[6:7]
	v_mov_b32_e32 v3, s10
	s_xor_b64 exec, exec, s[6:7]
	s_cbranch_execz .LBB4_198
.LBB4_2248:
	v_mov_b32_e32 v3, 0
	v_cmp_ne_u16_sdwa s[8:9], v4, v3 src0_sel:BYTE_0 src1_sel:DWORD
	s_andn2_b64 s[4:5], s[4:5], exec
	s_and_b64 s[8:9], s[8:9], exec
	s_or_b64 s[4:5], s[4:5], s[8:9]
	s_or_b64 exec, exec, s[6:7]
	s_and_saveexec_b64 s[6:7], s[4:5]
	s_cbranch_execnz .LBB4_199
	s_branch .LBB4_200
.LBB4_2249:
	s_movk_i32 s4, 0x80
	v_cmp_eq_u16_sdwa s[12:13], v3, s4 src0_sel:BYTE_0 src1_sel:DWORD
	s_mov_b64 s[4:5], -1
                                        ; implicit-def: $sgpr10
	s_and_saveexec_b64 s[8:9], s[12:13]
; %bb.2250:
	s_mov_b32 s10, 0x7f800001
	s_xor_b64 s[4:5], exec, -1
; %bb.2251:
	s_or_b64 exec, exec, s[8:9]
	s_and_b64 s[4:5], s[4:5], exec
	s_or_saveexec_b64 s[6:7], s[6:7]
	v_mov_b32_e32 v2, s10
	s_xor_b64 exec, exec, s[6:7]
	s_cbranch_execz .LBB4_202
.LBB4_2252:
	v_mov_b32_e32 v2, 0
	v_cmp_ne_u16_sdwa s[8:9], v3, v2 src0_sel:BYTE_0 src1_sel:DWORD
	s_andn2_b64 s[4:5], s[4:5], exec
	s_and_b64 s[8:9], s[8:9], exec
	s_or_b64 s[4:5], s[4:5], s[8:9]
	s_or_b64 exec, exec, s[6:7]
	s_and_saveexec_b64 s[6:7], s[4:5]
	s_cbranch_execnz .LBB4_203
	s_branch .LBB4_204
.LBB4_2253:
	s_movk_i32 s4, 0x80
	v_cmp_eq_u16_sdwa s[12:13], v3, s4 src0_sel:BYTE_0 src1_sel:DWORD
	s_mov_b64 s[4:5], -1
                                        ; implicit-def: $sgpr10
	s_and_saveexec_b64 s[8:9], s[12:13]
; %bb.2254:
	s_mov_b32 s10, 0x7f800001
	s_xor_b64 s[4:5], exec, -1
; %bb.2255:
	s_or_b64 exec, exec, s[8:9]
	s_and_b64 s[4:5], s[4:5], exec
	s_or_saveexec_b64 s[6:7], s[6:7]
	v_mov_b32_e32 v6, s10
	s_xor_b64 exec, exec, s[6:7]
	s_cbranch_execz .LBB4_206
.LBB4_2256:
	v_mov_b32_e32 v6, 0
	v_cmp_ne_u16_sdwa s[8:9], v3, v6 src0_sel:BYTE_0 src1_sel:DWORD
	s_andn2_b64 s[4:5], s[4:5], exec
	s_and_b64 s[8:9], s[8:9], exec
	s_or_b64 s[4:5], s[4:5], s[8:9]
	s_or_b64 exec, exec, s[6:7]
	s_and_saveexec_b64 s[6:7], s[4:5]
	s_cbranch_execnz .LBB4_207
	s_branch .LBB4_208
.LBB4_2257:
	s_movk_i32 s4, 0x80
	v_cmp_eq_u16_e32 vcc, s4, v3
	s_mov_b64 s[4:5], -1
                                        ; implicit-def: $sgpr10
	s_and_saveexec_b64 s[8:9], vcc
; %bb.2258:
	s_mov_b32 s10, 0x7f800001
	s_xor_b64 s[4:5], exec, -1
; %bb.2259:
	s_or_b64 exec, exec, s[8:9]
	s_and_b64 s[4:5], s[4:5], exec
                                        ; implicit-def: $vgpr3
	s_or_saveexec_b64 s[6:7], s[6:7]
	v_mov_b32_e32 v2, s10
	s_xor_b64 exec, exec, s[6:7]
	s_cbranch_execz .LBB4_210
.LBB4_2260:
	v_cmp_ne_u16_e32 vcc, 0, v3
	s_andn2_b64 s[4:5], s[4:5], exec
	s_and_b64 s[8:9], vcc, exec
	v_mov_b32_e32 v2, 0
	s_or_b64 s[4:5], s[4:5], s[8:9]
	s_or_b64 exec, exec, s[6:7]
	s_and_saveexec_b64 s[6:7], s[4:5]
	s_cbranch_execnz .LBB4_211
	s_branch .LBB4_212
.LBB4_2261:
	s_movk_i32 s4, 0x80
	v_cmp_eq_u16_e32 vcc, s4, v3
	s_mov_b64 s[4:5], -1
                                        ; implicit-def: $sgpr10
	s_and_saveexec_b64 s[8:9], vcc
; %bb.2262:
	s_mov_b32 s10, 0x7f800001
	s_xor_b64 s[4:5], exec, -1
; %bb.2263:
	s_or_b64 exec, exec, s[8:9]
	s_and_b64 s[4:5], s[4:5], exec
                                        ; implicit-def: $vgpr3
	s_or_saveexec_b64 s[6:7], s[6:7]
	v_mov_b32_e32 v6, s10
	s_xor_b64 exec, exec, s[6:7]
	s_cbranch_execz .LBB4_214
.LBB4_2264:
	v_cmp_ne_u16_e32 vcc, 0, v3
	s_andn2_b64 s[4:5], s[4:5], exec
	s_and_b64 s[8:9], vcc, exec
	v_mov_b32_e32 v6, 0
	s_or_b64 s[4:5], s[4:5], s[8:9]
	s_or_b64 exec, exec, s[6:7]
	s_and_saveexec_b64 s[6:7], s[4:5]
	s_cbranch_execnz .LBB4_215
	s_branch .LBB4_216
.LBB4_2265:
	s_movk_i32 s4, 0x80
	v_cmp_eq_u16_sdwa s[12:13], v8, s4 src0_sel:BYTE_3 src1_sel:DWORD
	s_mov_b64 s[4:5], -1
                                        ; implicit-def: $sgpr10
	s_and_saveexec_b64 s[8:9], s[12:13]
; %bb.2266:
	s_mov_b32 s10, 0x7f800001
	s_xor_b64 s[4:5], exec, -1
; %bb.2267:
	s_or_b64 exec, exec, s[8:9]
	s_and_b64 s[4:5], s[4:5], exec
	s_or_saveexec_b64 s[6:7], s[6:7]
	v_mov_b32_e32 v2, s10
	s_xor_b64 exec, exec, s[6:7]
	s_cbranch_execz .LBB4_218
.LBB4_2268:
	v_mov_b32_e32 v2, 0
	v_cmp_ne_u16_sdwa s[8:9], v8, v2 src0_sel:BYTE_3 src1_sel:DWORD
	s_andn2_b64 s[4:5], s[4:5], exec
	s_and_b64 s[8:9], s[8:9], exec
	s_or_b64 s[4:5], s[4:5], s[8:9]
	s_or_b64 exec, exec, s[6:7]
	s_and_saveexec_b64 s[6:7], s[4:5]
	s_cbranch_execnz .LBB4_219
	s_branch .LBB4_220
.LBB4_2269:
	s_movk_i32 s4, 0x80
	v_cmp_eq_u16_sdwa s[12:13], v4, s4 src0_sel:BYTE_3 src1_sel:DWORD
	s_mov_b64 s[4:5], -1
                                        ; implicit-def: $sgpr10
	s_and_saveexec_b64 s[8:9], s[12:13]
; %bb.2270:
	s_mov_b32 s10, 0x7f800001
	s_xor_b64 s[4:5], exec, -1
; %bb.2271:
	s_or_b64 exec, exec, s[8:9]
	s_and_b64 s[4:5], s[4:5], exec
	s_or_saveexec_b64 s[6:7], s[6:7]
	v_mov_b32_e32 v3, s10
	s_xor_b64 exec, exec, s[6:7]
	s_cbranch_execz .LBB4_222
.LBB4_2272:
	v_mov_b32_e32 v3, 0
	v_cmp_ne_u16_sdwa s[8:9], v4, v3 src0_sel:BYTE_3 src1_sel:DWORD
	s_andn2_b64 s[4:5], s[4:5], exec
	s_and_b64 s[8:9], s[8:9], exec
	s_or_b64 s[4:5], s[4:5], s[8:9]
	s_or_b64 exec, exec, s[6:7]
	s_and_saveexec_b64 s[6:7], s[4:5]
	s_cbranch_execnz .LBB4_223
	s_branch .LBB4_224
.LBB4_2273:
	s_movk_i32 s4, 0x80
	v_cmp_eq_u16_sdwa s[12:13], v9, s4 src0_sel:BYTE_0 src1_sel:DWORD
	s_mov_b64 s[4:5], -1
                                        ; implicit-def: $sgpr10
	s_and_saveexec_b64 s[8:9], s[12:13]
; %bb.2274:
	s_mov_b32 s10, 0x7f800001
	s_xor_b64 s[4:5], exec, -1
; %bb.2275:
	s_or_b64 exec, exec, s[8:9]
	s_and_b64 s[4:5], s[4:5], exec
	s_or_saveexec_b64 s[6:7], s[6:7]
	v_mov_b32_e32 v2, s10
	s_xor_b64 exec, exec, s[6:7]
	s_cbranch_execz .LBB4_226
.LBB4_2276:
	v_mov_b32_e32 v2, 0
	v_cmp_ne_u16_sdwa s[8:9], v9, v2 src0_sel:BYTE_0 src1_sel:DWORD
	s_andn2_b64 s[4:5], s[4:5], exec
	s_and_b64 s[8:9], s[8:9], exec
	s_or_b64 s[4:5], s[4:5], s[8:9]
	s_or_b64 exec, exec, s[6:7]
	s_and_saveexec_b64 s[6:7], s[4:5]
	s_cbranch_execnz .LBB4_227
	s_branch .LBB4_228
.LBB4_2277:
	s_movk_i32 s4, 0x80
	v_cmp_eq_u16_sdwa s[12:13], v5, s4 src0_sel:BYTE_0 src1_sel:DWORD
	s_mov_b64 s[4:5], -1
                                        ; implicit-def: $sgpr10
	s_and_saveexec_b64 s[8:9], s[12:13]
; %bb.2278:
	s_mov_b32 s10, 0x7f800001
	s_xor_b64 s[4:5], exec, -1
; %bb.2279:
	s_or_b64 exec, exec, s[8:9]
	s_and_b64 s[4:5], s[4:5], exec
	s_or_saveexec_b64 s[6:7], s[6:7]
	v_mov_b32_e32 v3, s10
	s_xor_b64 exec, exec, s[6:7]
	s_cbranch_execz .LBB4_230
.LBB4_2280:
	v_mov_b32_e32 v3, 0
	v_cmp_ne_u16_sdwa s[8:9], v5, v3 src0_sel:BYTE_0 src1_sel:DWORD
	s_andn2_b64 s[4:5], s[4:5], exec
	s_and_b64 s[8:9], s[8:9], exec
	s_or_b64 s[4:5], s[4:5], s[8:9]
	s_or_b64 exec, exec, s[6:7]
	s_and_saveexec_b64 s[6:7], s[4:5]
	s_cbranch_execnz .LBB4_231
	s_branch .LBB4_232
.LBB4_2281:
	s_movk_i32 s4, 0x80
	v_cmp_eq_u16_sdwa s[12:13], v3, s4 src0_sel:BYTE_0 src1_sel:DWORD
	s_mov_b64 s[4:5], -1
                                        ; implicit-def: $sgpr10
	s_and_saveexec_b64 s[8:9], s[12:13]
; %bb.2282:
	s_mov_b32 s10, 0x7f800001
	s_xor_b64 s[4:5], exec, -1
; %bb.2283:
	s_or_b64 exec, exec, s[8:9]
	s_and_b64 s[4:5], s[4:5], exec
	s_or_saveexec_b64 s[6:7], s[6:7]
	v_mov_b32_e32 v2, s10
	s_xor_b64 exec, exec, s[6:7]
	s_cbranch_execz .LBB4_234
.LBB4_2284:
	v_mov_b32_e32 v2, 0
	v_cmp_ne_u16_sdwa s[8:9], v3, v2 src0_sel:BYTE_0 src1_sel:DWORD
	s_andn2_b64 s[4:5], s[4:5], exec
	s_and_b64 s[8:9], s[8:9], exec
	s_or_b64 s[4:5], s[4:5], s[8:9]
	s_or_b64 exec, exec, s[6:7]
	s_and_saveexec_b64 s[6:7], s[4:5]
	s_cbranch_execnz .LBB4_235
	s_branch .LBB4_236
.LBB4_2285:
	s_movk_i32 s4, 0x80
	v_cmp_eq_u16_sdwa s[12:13], v3, s4 src0_sel:BYTE_0 src1_sel:DWORD
	s_mov_b64 s[4:5], -1
                                        ; implicit-def: $sgpr10
	s_and_saveexec_b64 s[8:9], s[12:13]
; %bb.2286:
	s_mov_b32 s10, 0x7f800001
	s_xor_b64 s[4:5], exec, -1
; %bb.2287:
	s_or_b64 exec, exec, s[8:9]
	s_and_b64 s[4:5], s[4:5], exec
	s_or_saveexec_b64 s[6:7], s[6:7]
	v_mov_b32_e32 v4, s10
	s_xor_b64 exec, exec, s[6:7]
	s_cbranch_execz .LBB4_238
.LBB4_2288:
	v_mov_b32_e32 v4, 0
	v_cmp_ne_u16_sdwa s[8:9], v3, v4 src0_sel:BYTE_0 src1_sel:DWORD
	s_andn2_b64 s[4:5], s[4:5], exec
	s_and_b64 s[8:9], s[8:9], exec
	s_or_b64 s[4:5], s[4:5], s[8:9]
	s_or_b64 exec, exec, s[6:7]
	s_and_saveexec_b64 s[6:7], s[4:5]
	s_cbranch_execnz .LBB4_239
	s_branch .LBB4_240
.LBB4_2289:
	s_movk_i32 s4, 0x80
	v_cmp_eq_u16_e32 vcc, s4, v3
	s_mov_b64 s[4:5], -1
                                        ; implicit-def: $sgpr10
	s_and_saveexec_b64 s[8:9], vcc
; %bb.2290:
	s_mov_b32 s10, 0x7f800001
	s_xor_b64 s[4:5], exec, -1
; %bb.2291:
	s_or_b64 exec, exec, s[8:9]
	s_and_b64 s[4:5], s[4:5], exec
                                        ; implicit-def: $vgpr3
	s_or_saveexec_b64 s[6:7], s[6:7]
	v_mov_b32_e32 v2, s10
	s_xor_b64 exec, exec, s[6:7]
	s_cbranch_execz .LBB4_242
.LBB4_2292:
	v_cmp_ne_u16_e32 vcc, 0, v3
	s_andn2_b64 s[4:5], s[4:5], exec
	s_and_b64 s[8:9], vcc, exec
	v_mov_b32_e32 v2, 0
	s_or_b64 s[4:5], s[4:5], s[8:9]
	s_or_b64 exec, exec, s[6:7]
	s_and_saveexec_b64 s[6:7], s[4:5]
	s_cbranch_execnz .LBB4_243
	s_branch .LBB4_244
.LBB4_2293:
	s_movk_i32 s4, 0x80
	v_cmp_eq_u16_e32 vcc, s4, v3
	s_mov_b64 s[4:5], -1
                                        ; implicit-def: $sgpr10
	s_and_saveexec_b64 s[8:9], vcc
; %bb.2294:
	s_mov_b32 s10, 0x7f800001
	s_xor_b64 s[4:5], exec, -1
; %bb.2295:
	s_or_b64 exec, exec, s[8:9]
	s_and_b64 s[4:5], s[4:5], exec
                                        ; implicit-def: $vgpr3
	s_or_saveexec_b64 s[6:7], s[6:7]
	v_mov_b32_e32 v4, s10
	s_xor_b64 exec, exec, s[6:7]
	s_cbranch_execz .LBB4_246
.LBB4_2296:
	v_cmp_ne_u16_e32 vcc, 0, v3
	s_andn2_b64 s[4:5], s[4:5], exec
	s_and_b64 s[8:9], vcc, exec
	v_mov_b32_e32 v4, 0
	s_or_b64 s[4:5], s[4:5], s[8:9]
	s_or_b64 exec, exec, s[6:7]
	s_and_saveexec_b64 s[6:7], s[4:5]
	s_cbranch_execnz .LBB4_247
	s_branch .LBB4_248
.LBB4_2297:
	s_movk_i32 s4, 0x80
	v_cmp_eq_u16_sdwa s[12:13], v9, s4 src0_sel:BYTE_3 src1_sel:DWORD
	s_mov_b64 s[4:5], -1
                                        ; implicit-def: $sgpr10
	s_and_saveexec_b64 s[8:9], s[12:13]
; %bb.2298:
	s_mov_b32 s10, 0x7f800001
	s_xor_b64 s[4:5], exec, -1
; %bb.2299:
	s_or_b64 exec, exec, s[8:9]
	s_and_b64 s[4:5], s[4:5], exec
	s_or_saveexec_b64 s[6:7], s[6:7]
	v_mov_b32_e32 v2, s10
	s_xor_b64 exec, exec, s[6:7]
	s_cbranch_execz .LBB4_250
.LBB4_2300:
	v_mov_b32_e32 v2, 0
	v_cmp_ne_u16_sdwa s[8:9], v9, v2 src0_sel:BYTE_3 src1_sel:DWORD
	s_andn2_b64 s[4:5], s[4:5], exec
	s_and_b64 s[8:9], s[8:9], exec
	s_or_b64 s[4:5], s[4:5], s[8:9]
	s_or_b64 exec, exec, s[6:7]
	s_and_saveexec_b64 s[6:7], s[4:5]
	s_cbranch_execnz .LBB4_251
	s_branch .LBB4_252
.LBB4_2301:
	s_movk_i32 s4, 0x80
	v_cmp_eq_u16_sdwa s[12:13], v5, s4 src0_sel:BYTE_3 src1_sel:DWORD
	s_mov_b64 s[4:5], -1
                                        ; implicit-def: $sgpr10
	s_and_saveexec_b64 s[8:9], s[12:13]
; %bb.2302:
	s_mov_b32 s10, 0x7f800001
	s_xor_b64 s[4:5], exec, -1
; %bb.2303:
	s_or_b64 exec, exec, s[8:9]
	s_and_b64 s[4:5], s[4:5], exec
	s_or_saveexec_b64 s[6:7], s[6:7]
	v_mov_b32_e32 v3, s10
	s_xor_b64 exec, exec, s[6:7]
	s_cbranch_execz .LBB4_254
.LBB4_2304:
	v_mov_b32_e32 v3, 0
	v_cmp_ne_u16_sdwa s[8:9], v5, v3 src0_sel:BYTE_3 src1_sel:DWORD
	s_andn2_b64 s[4:5], s[4:5], exec
	s_and_b64 s[8:9], s[8:9], exec
	s_or_b64 s[4:5], s[4:5], s[8:9]
	s_or_b64 exec, exec, s[6:7]
	s_and_saveexec_b64 s[6:7], s[4:5]
	s_cbranch_execnz .LBB4_255
	s_branch .LBB4_256
.LBB4_2305:
	s_movk_i32 s4, 0x80
	v_cmp_eq_u16_sdwa s[12:13], v14, s4 src0_sel:BYTE_0 src1_sel:DWORD
	s_mov_b64 s[4:5], -1
                                        ; implicit-def: $sgpr10
	s_and_saveexec_b64 s[8:9], s[12:13]
; %bb.2306:
	s_mov_b32 s10, 0x7f800001
	s_xor_b64 s[4:5], exec, -1
; %bb.2307:
	s_or_b64 exec, exec, s[8:9]
	s_and_b64 s[4:5], s[4:5], exec
	s_or_saveexec_b64 s[6:7], s[6:7]
	v_mov_b32_e32 v20, s10
	s_xor_b64 exec, exec, s[6:7]
	s_cbranch_execz .LBB4_258
.LBB4_2308:
	v_mov_b32_e32 v20, 0
	v_cmp_ne_u16_sdwa s[8:9], v14, v20 src0_sel:BYTE_0 src1_sel:DWORD
	s_andn2_b64 s[4:5], s[4:5], exec
	s_and_b64 s[8:9], s[8:9], exec
	s_or_b64 s[4:5], s[4:5], s[8:9]
	s_or_b64 exec, exec, s[6:7]
	s_and_saveexec_b64 s[6:7], s[4:5]
	s_cbranch_execnz .LBB4_259
	s_branch .LBB4_260
.LBB4_2309:
	s_movk_i32 s4, 0x80
	v_cmp_eq_u16_sdwa s[12:13], v10, s4 src0_sel:BYTE_0 src1_sel:DWORD
	s_mov_b64 s[4:5], -1
                                        ; implicit-def: $sgpr10
	s_and_saveexec_b64 s[8:9], s[12:13]
; %bb.2310:
	s_mov_b32 s10, 0x7f800001
	s_xor_b64 s[4:5], exec, -1
; %bb.2311:
	s_or_b64 exec, exec, s[8:9]
	s_and_b64 s[4:5], s[4:5], exec
	s_or_saveexec_b64 s[6:7], s[6:7]
	v_mov_b32_e32 v21, s10
	s_xor_b64 exec, exec, s[6:7]
	s_cbranch_execz .LBB4_262
.LBB4_2312:
	v_mov_b32_e32 v21, 0
	v_cmp_ne_u16_sdwa s[8:9], v10, v21 src0_sel:BYTE_0 src1_sel:DWORD
	s_andn2_b64 s[4:5], s[4:5], exec
	s_and_b64 s[8:9], s[8:9], exec
	s_or_b64 s[4:5], s[4:5], s[8:9]
	s_or_b64 exec, exec, s[6:7]
	s_and_saveexec_b64 s[6:7], s[4:5]
	s_cbranch_execnz .LBB4_263
	s_branch .LBB4_264
.LBB4_2313:
	s_movk_i32 s4, 0x80
	v_cmp_eq_u16_sdwa s[12:13], v21, s4 src0_sel:BYTE_0 src1_sel:DWORD
	s_mov_b64 s[4:5], -1
                                        ; implicit-def: $sgpr10
	s_and_saveexec_b64 s[8:9], s[12:13]
; %bb.2314:
	s_mov_b32 s10, 0x7f800001
	s_xor_b64 s[4:5], exec, -1
; %bb.2315:
	s_or_b64 exec, exec, s[8:9]
	s_and_b64 s[4:5], s[4:5], exec
	s_or_saveexec_b64 s[6:7], s[6:7]
	v_mov_b32_e32 v20, s10
	s_xor_b64 exec, exec, s[6:7]
	s_cbranch_execz .LBB4_266
.LBB4_2316:
	v_mov_b32_e32 v20, 0
	v_cmp_ne_u16_sdwa s[8:9], v21, v20 src0_sel:BYTE_0 src1_sel:DWORD
	s_andn2_b64 s[4:5], s[4:5], exec
	s_and_b64 s[8:9], s[8:9], exec
	s_or_b64 s[4:5], s[4:5], s[8:9]
	s_or_b64 exec, exec, s[6:7]
	s_and_saveexec_b64 s[6:7], s[4:5]
	s_cbranch_execnz .LBB4_267
	s_branch .LBB4_268
.LBB4_2317:
	s_movk_i32 s4, 0x80
	v_cmp_eq_u16_sdwa s[12:13], v21, s4 src0_sel:BYTE_0 src1_sel:DWORD
	s_mov_b64 s[4:5], -1
                                        ; implicit-def: $sgpr10
	s_and_saveexec_b64 s[8:9], s[12:13]
; %bb.2318:
	s_mov_b32 s10, 0x7f800001
	s_xor_b64 s[4:5], exec, -1
; %bb.2319:
	s_or_b64 exec, exec, s[8:9]
	s_and_b64 s[4:5], s[4:5], exec
	s_or_saveexec_b64 s[6:7], s[6:7]
	v_mov_b32_e32 v22, s10
	s_xor_b64 exec, exec, s[6:7]
	s_cbranch_execz .LBB4_270
.LBB4_2320:
	v_mov_b32_e32 v22, 0
	v_cmp_ne_u16_sdwa s[8:9], v21, v22 src0_sel:BYTE_0 src1_sel:DWORD
	s_andn2_b64 s[4:5], s[4:5], exec
	s_and_b64 s[8:9], s[8:9], exec
	s_or_b64 s[4:5], s[4:5], s[8:9]
	s_or_b64 exec, exec, s[6:7]
	s_and_saveexec_b64 s[6:7], s[4:5]
	s_cbranch_execnz .LBB4_271
	s_branch .LBB4_272
.LBB4_2321:
	s_movk_i32 s4, 0x80
	v_cmp_eq_u16_e32 vcc, s4, v21
	s_mov_b64 s[4:5], -1
                                        ; implicit-def: $sgpr10
	s_and_saveexec_b64 s[8:9], vcc
; %bb.2322:
	s_mov_b32 s10, 0x7f800001
	s_xor_b64 s[4:5], exec, -1
; %bb.2323:
	s_or_b64 exec, exec, s[8:9]
	s_and_b64 s[4:5], s[4:5], exec
                                        ; implicit-def: $vgpr21
	s_or_saveexec_b64 s[6:7], s[6:7]
	v_mov_b32_e32 v20, s10
	s_xor_b64 exec, exec, s[6:7]
	s_cbranch_execz .LBB4_274
.LBB4_2324:
	v_cmp_ne_u16_e32 vcc, 0, v21
	s_andn2_b64 s[4:5], s[4:5], exec
	s_and_b64 s[8:9], vcc, exec
	v_mov_b32_e32 v20, 0
	s_or_b64 s[4:5], s[4:5], s[8:9]
	s_or_b64 exec, exec, s[6:7]
	s_and_saveexec_b64 s[6:7], s[4:5]
	s_cbranch_execnz .LBB4_275
	s_branch .LBB4_276
.LBB4_2325:
	s_movk_i32 s4, 0x80
	v_cmp_eq_u16_e32 vcc, s4, v21
	s_mov_b64 s[4:5], -1
                                        ; implicit-def: $sgpr10
	s_and_saveexec_b64 s[8:9], vcc
; %bb.2326:
	s_mov_b32 s10, 0x7f800001
	s_xor_b64 s[4:5], exec, -1
; %bb.2327:
	s_or_b64 exec, exec, s[8:9]
	s_and_b64 s[4:5], s[4:5], exec
                                        ; implicit-def: $vgpr21
	s_or_saveexec_b64 s[6:7], s[6:7]
	v_mov_b32_e32 v22, s10
	s_xor_b64 exec, exec, s[6:7]
	s_cbranch_execz .LBB4_278
.LBB4_2328:
	v_cmp_ne_u16_e32 vcc, 0, v21
	s_andn2_b64 s[4:5], s[4:5], exec
	s_and_b64 s[8:9], vcc, exec
	v_mov_b32_e32 v22, 0
	s_or_b64 s[4:5], s[4:5], s[8:9]
	s_or_b64 exec, exec, s[6:7]
	s_and_saveexec_b64 s[6:7], s[4:5]
	s_cbranch_execnz .LBB4_279
	s_branch .LBB4_280
.LBB4_2329:
	s_movk_i32 s4, 0x80
	v_cmp_eq_u16_sdwa s[12:13], v14, s4 src0_sel:BYTE_3 src1_sel:DWORD
	s_mov_b64 s[4:5], -1
                                        ; implicit-def: $sgpr10
	s_and_saveexec_b64 s[8:9], s[12:13]
; %bb.2330:
	s_mov_b32 s10, 0x7f800001
	s_xor_b64 s[4:5], exec, -1
; %bb.2331:
	s_or_b64 exec, exec, s[8:9]
	s_and_b64 s[4:5], s[4:5], exec
	s_or_saveexec_b64 s[6:7], s[6:7]
	v_mov_b32_e32 v20, s10
	s_xor_b64 exec, exec, s[6:7]
	s_cbranch_execz .LBB4_282
.LBB4_2332:
	v_mov_b32_e32 v20, 0
	v_cmp_ne_u16_sdwa s[8:9], v14, v20 src0_sel:BYTE_3 src1_sel:DWORD
	s_andn2_b64 s[4:5], s[4:5], exec
	s_and_b64 s[8:9], s[8:9], exec
	s_or_b64 s[4:5], s[4:5], s[8:9]
	s_or_b64 exec, exec, s[6:7]
	s_and_saveexec_b64 s[6:7], s[4:5]
	s_cbranch_execnz .LBB4_283
	s_branch .LBB4_284
.LBB4_2333:
	s_movk_i32 s4, 0x80
	v_cmp_eq_u16_sdwa s[12:13], v10, s4 src0_sel:BYTE_3 src1_sel:DWORD
	s_mov_b64 s[4:5], -1
                                        ; implicit-def: $sgpr10
	s_and_saveexec_b64 s[8:9], s[12:13]
; %bb.2334:
	s_mov_b32 s10, 0x7f800001
	s_xor_b64 s[4:5], exec, -1
; %bb.2335:
	s_or_b64 exec, exec, s[8:9]
	s_and_b64 s[4:5], s[4:5], exec
	s_or_saveexec_b64 s[6:7], s[6:7]
	v_mov_b32_e32 v14, s10
	s_xor_b64 exec, exec, s[6:7]
	s_cbranch_execz .LBB4_286
.LBB4_2336:
	v_mov_b32_e32 v14, 0
	v_cmp_ne_u16_sdwa s[8:9], v10, v14 src0_sel:BYTE_3 src1_sel:DWORD
	s_andn2_b64 s[4:5], s[4:5], exec
	s_and_b64 s[8:9], s[8:9], exec
	s_or_b64 s[4:5], s[4:5], s[8:9]
	s_or_b64 exec, exec, s[6:7]
	s_and_saveexec_b64 s[6:7], s[4:5]
	s_cbranch_execnz .LBB4_287
	s_branch .LBB4_288
.LBB4_2337:
	s_movk_i32 s4, 0x80
	v_cmp_eq_u16_sdwa s[12:13], v15, s4 src0_sel:BYTE_0 src1_sel:DWORD
	s_mov_b64 s[4:5], -1
                                        ; implicit-def: $sgpr10
	s_and_saveexec_b64 s[8:9], s[12:13]
; %bb.2338:
	s_mov_b32 s10, 0x7f800001
	s_xor_b64 s[4:5], exec, -1
; %bb.2339:
	s_or_b64 exec, exec, s[8:9]
	s_and_b64 s[4:5], s[4:5], exec
	s_or_saveexec_b64 s[6:7], s[6:7]
	v_mov_b32_e32 v10, s10
	s_xor_b64 exec, exec, s[6:7]
	s_cbranch_execz .LBB4_290
.LBB4_2340:
	v_mov_b32_e32 v10, 0
	v_cmp_ne_u16_sdwa s[8:9], v15, v10 src0_sel:BYTE_0 src1_sel:DWORD
	s_andn2_b64 s[4:5], s[4:5], exec
	s_and_b64 s[8:9], s[8:9], exec
	s_or_b64 s[4:5], s[4:5], s[8:9]
	s_or_b64 exec, exec, s[6:7]
	s_and_saveexec_b64 s[6:7], s[4:5]
	s_cbranch_execnz .LBB4_291
	s_branch .LBB4_292
.LBB4_2341:
	s_movk_i32 s4, 0x80
	v_cmp_eq_u16_sdwa s[12:13], v11, s4 src0_sel:BYTE_0 src1_sel:DWORD
	s_mov_b64 s[4:5], -1
                                        ; implicit-def: $sgpr10
	s_and_saveexec_b64 s[8:9], s[12:13]
; %bb.2342:
	s_mov_b32 s10, 0x7f800001
	s_xor_b64 s[4:5], exec, -1
; %bb.2343:
	s_or_b64 exec, exec, s[8:9]
	s_and_b64 s[4:5], s[4:5], exec
	s_or_saveexec_b64 s[6:7], s[6:7]
	v_mov_b32_e32 v14, s10
	s_xor_b64 exec, exec, s[6:7]
	s_cbranch_execz .LBB4_294
.LBB4_2344:
	v_mov_b32_e32 v14, 0
	v_cmp_ne_u16_sdwa s[8:9], v11, v14 src0_sel:BYTE_0 src1_sel:DWORD
	s_andn2_b64 s[4:5], s[4:5], exec
	s_and_b64 s[8:9], s[8:9], exec
	s_or_b64 s[4:5], s[4:5], s[8:9]
	s_or_b64 exec, exec, s[6:7]
	s_and_saveexec_b64 s[6:7], s[4:5]
	s_cbranch_execnz .LBB4_295
	s_branch .LBB4_296
.LBB4_2345:
	s_movk_i32 s4, 0x80
	v_cmp_eq_u16_sdwa s[12:13], v14, s4 src0_sel:BYTE_0 src1_sel:DWORD
	s_mov_b64 s[4:5], -1
                                        ; implicit-def: $sgpr10
	s_and_saveexec_b64 s[8:9], s[12:13]
; %bb.2346:
	s_mov_b32 s10, 0x7f800001
	s_xor_b64 s[4:5], exec, -1
; %bb.2347:
	s_or_b64 exec, exec, s[8:9]
	s_and_b64 s[4:5], s[4:5], exec
	s_or_saveexec_b64 s[6:7], s[6:7]
	v_mov_b32_e32 v10, s10
	s_xor_b64 exec, exec, s[6:7]
	s_cbranch_execz .LBB4_298
.LBB4_2348:
	v_mov_b32_e32 v10, 0
	v_cmp_ne_u16_sdwa s[8:9], v14, v10 src0_sel:BYTE_0 src1_sel:DWORD
	s_andn2_b64 s[4:5], s[4:5], exec
	s_and_b64 s[8:9], s[8:9], exec
	s_or_b64 s[4:5], s[4:5], s[8:9]
	s_or_b64 exec, exec, s[6:7]
	s_and_saveexec_b64 s[6:7], s[4:5]
	s_cbranch_execnz .LBB4_299
	s_branch .LBB4_300
.LBB4_2349:
	s_movk_i32 s4, 0x80
	v_cmp_eq_u16_sdwa s[12:13], v14, s4 src0_sel:BYTE_0 src1_sel:DWORD
	s_mov_b64 s[4:5], -1
                                        ; implicit-def: $sgpr10
	s_and_saveexec_b64 s[8:9], s[12:13]
; %bb.2350:
	s_mov_b32 s10, 0x7f800001
	s_xor_b64 s[4:5], exec, -1
; %bb.2351:
	s_or_b64 exec, exec, s[8:9]
	s_and_b64 s[4:5], s[4:5], exec
	s_or_saveexec_b64 s[6:7], s[6:7]
	v_mov_b32_e32 v20, s10
	s_xor_b64 exec, exec, s[6:7]
	s_cbranch_execz .LBB4_302
.LBB4_2352:
	v_mov_b32_e32 v20, 0
	v_cmp_ne_u16_sdwa s[8:9], v14, v20 src0_sel:BYTE_0 src1_sel:DWORD
	s_andn2_b64 s[4:5], s[4:5], exec
	s_and_b64 s[8:9], s[8:9], exec
	s_or_b64 s[4:5], s[4:5], s[8:9]
	s_or_b64 exec, exec, s[6:7]
	s_and_saveexec_b64 s[6:7], s[4:5]
	s_cbranch_execnz .LBB4_303
	s_branch .LBB4_304
.LBB4_2353:
	s_movk_i32 s4, 0x80
	v_cmp_eq_u16_e32 vcc, s4, v14
	s_mov_b64 s[4:5], -1
                                        ; implicit-def: $sgpr10
	s_and_saveexec_b64 s[8:9], vcc
; %bb.2354:
	s_mov_b32 s10, 0x7f800001
	s_xor_b64 s[4:5], exec, -1
; %bb.2355:
	s_or_b64 exec, exec, s[8:9]
	s_and_b64 s[4:5], s[4:5], exec
                                        ; implicit-def: $vgpr14
	s_or_saveexec_b64 s[6:7], s[6:7]
	v_mov_b32_e32 v10, s10
	s_xor_b64 exec, exec, s[6:7]
	s_cbranch_execz .LBB4_306
.LBB4_2356:
	v_cmp_ne_u16_e32 vcc, 0, v14
	s_andn2_b64 s[4:5], s[4:5], exec
	s_and_b64 s[8:9], vcc, exec
	v_mov_b32_e32 v10, 0
	s_or_b64 s[4:5], s[4:5], s[8:9]
	s_or_b64 exec, exec, s[6:7]
	s_and_saveexec_b64 s[6:7], s[4:5]
	s_cbranch_execnz .LBB4_307
	s_branch .LBB4_308
.LBB4_2357:
	s_movk_i32 s4, 0x80
	v_cmp_eq_u16_e32 vcc, s4, v14
	s_mov_b64 s[4:5], -1
                                        ; implicit-def: $sgpr10
	s_and_saveexec_b64 s[8:9], vcc
; %bb.2358:
	s_mov_b32 s10, 0x7f800001
	s_xor_b64 s[4:5], exec, -1
; %bb.2359:
	s_or_b64 exec, exec, s[8:9]
	s_and_b64 s[4:5], s[4:5], exec
                                        ; implicit-def: $vgpr14
	s_or_saveexec_b64 s[6:7], s[6:7]
	v_mov_b32_e32 v20, s10
	s_xor_b64 exec, exec, s[6:7]
	s_cbranch_execz .LBB4_310
.LBB4_2360:
	v_cmp_ne_u16_e32 vcc, 0, v14
	s_andn2_b64 s[4:5], s[4:5], exec
	s_and_b64 s[8:9], vcc, exec
	v_mov_b32_e32 v20, 0
	s_or_b64 s[4:5], s[4:5], s[8:9]
	s_or_b64 exec, exec, s[6:7]
	s_and_saveexec_b64 s[6:7], s[4:5]
	s_cbranch_execnz .LBB4_311
	s_branch .LBB4_312
.LBB4_2361:
	s_movk_i32 s4, 0x80
	v_cmp_eq_u16_sdwa s[12:13], v15, s4 src0_sel:BYTE_3 src1_sel:DWORD
	s_mov_b64 s[4:5], -1
                                        ; implicit-def: $sgpr10
	s_and_saveexec_b64 s[8:9], s[12:13]
; %bb.2362:
	s_mov_b32 s10, 0x7f800001
	s_xor_b64 s[4:5], exec, -1
; %bb.2363:
	s_or_b64 exec, exec, s[8:9]
	s_and_b64 s[4:5], s[4:5], exec
	s_or_saveexec_b64 s[6:7], s[6:7]
	v_mov_b32_e32 v10, s10
	s_xor_b64 exec, exec, s[6:7]
	s_cbranch_execz .LBB4_314
.LBB4_2364:
	v_mov_b32_e32 v10, 0
	v_cmp_ne_u16_sdwa s[8:9], v15, v10 src0_sel:BYTE_3 src1_sel:DWORD
	s_andn2_b64 s[4:5], s[4:5], exec
	s_and_b64 s[8:9], s[8:9], exec
	s_or_b64 s[4:5], s[4:5], s[8:9]
	s_or_b64 exec, exec, s[6:7]
	s_and_saveexec_b64 s[6:7], s[4:5]
	s_cbranch_execnz .LBB4_315
	s_branch .LBB4_316
.LBB4_2365:
	s_movk_i32 s4, 0x80
	v_cmp_eq_u16_sdwa s[12:13], v11, s4 src0_sel:BYTE_3 src1_sel:DWORD
	s_mov_b64 s[4:5], -1
                                        ; implicit-def: $sgpr10
	s_and_saveexec_b64 s[8:9], s[12:13]
; %bb.2366:
	s_mov_b32 s10, 0x7f800001
	s_xor_b64 s[4:5], exec, -1
; %bb.2367:
	s_or_b64 exec, exec, s[8:9]
	s_and_b64 s[4:5], s[4:5], exec
	s_or_saveexec_b64 s[6:7], s[6:7]
	v_mov_b32_e32 v14, s10
	s_xor_b64 exec, exec, s[6:7]
	s_cbranch_execz .LBB4_318
.LBB4_2368:
	v_mov_b32_e32 v14, 0
	v_cmp_ne_u16_sdwa s[8:9], v11, v14 src0_sel:BYTE_3 src1_sel:DWORD
	s_andn2_b64 s[4:5], s[4:5], exec
	s_and_b64 s[8:9], s[8:9], exec
	s_or_b64 s[4:5], s[4:5], s[8:9]
	s_or_b64 exec, exec, s[6:7]
	s_and_saveexec_b64 s[6:7], s[4:5]
	s_cbranch_execnz .LBB4_319
	s_branch .LBB4_320
.LBB4_2369:
	s_movk_i32 s4, 0x80
	v_cmp_eq_u16_sdwa s[12:13], v16, s4 src0_sel:BYTE_0 src1_sel:DWORD
	s_mov_b64 s[4:5], -1
                                        ; implicit-def: $sgpr10
	s_and_saveexec_b64 s[8:9], s[12:13]
; %bb.2370:
	s_mov_b32 s10, 0x7f800001
	s_xor_b64 s[4:5], exec, -1
; %bb.2371:
	s_or_b64 exec, exec, s[8:9]
	s_and_b64 s[4:5], s[4:5], exec
	s_or_saveexec_b64 s[6:7], s[6:7]
	v_mov_b32_e32 v10, s10
	s_xor_b64 exec, exec, s[6:7]
	s_cbranch_execz .LBB4_322
.LBB4_2372:
	v_mov_b32_e32 v10, 0
	v_cmp_ne_u16_sdwa s[8:9], v16, v10 src0_sel:BYTE_0 src1_sel:DWORD
	s_andn2_b64 s[4:5], s[4:5], exec
	s_and_b64 s[8:9], s[8:9], exec
	s_or_b64 s[4:5], s[4:5], s[8:9]
	s_or_b64 exec, exec, s[6:7]
	s_and_saveexec_b64 s[6:7], s[4:5]
	s_cbranch_execnz .LBB4_323
	s_branch .LBB4_324
.LBB4_2373:
	s_movk_i32 s4, 0x80
	v_cmp_eq_u16_sdwa s[12:13], v12, s4 src0_sel:BYTE_0 src1_sel:DWORD
	s_mov_b64 s[4:5], -1
                                        ; implicit-def: $sgpr10
	s_and_saveexec_b64 s[8:9], s[12:13]
; %bb.2374:
	s_mov_b32 s10, 0x7f800001
	s_xor_b64 s[4:5], exec, -1
; %bb.2375:
	s_or_b64 exec, exec, s[8:9]
	s_and_b64 s[4:5], s[4:5], exec
	s_or_saveexec_b64 s[6:7], s[6:7]
	v_mov_b32_e32 v11, s10
	s_xor_b64 exec, exec, s[6:7]
	s_cbranch_execz .LBB4_326
.LBB4_2376:
	v_mov_b32_e32 v11, 0
	v_cmp_ne_u16_sdwa s[8:9], v12, v11 src0_sel:BYTE_0 src1_sel:DWORD
	s_andn2_b64 s[4:5], s[4:5], exec
	s_and_b64 s[8:9], s[8:9], exec
	s_or_b64 s[4:5], s[4:5], s[8:9]
	s_or_b64 exec, exec, s[6:7]
	s_and_saveexec_b64 s[6:7], s[4:5]
	s_cbranch_execnz .LBB4_327
	s_branch .LBB4_328
.LBB4_2377:
	s_movk_i32 s4, 0x80
	v_cmp_eq_u16_sdwa s[12:13], v11, s4 src0_sel:BYTE_0 src1_sel:DWORD
	s_mov_b64 s[4:5], -1
                                        ; implicit-def: $sgpr10
	s_and_saveexec_b64 s[8:9], s[12:13]
; %bb.2378:
	s_mov_b32 s10, 0x7f800001
	s_xor_b64 s[4:5], exec, -1
; %bb.2379:
	s_or_b64 exec, exec, s[8:9]
	s_and_b64 s[4:5], s[4:5], exec
	s_or_saveexec_b64 s[6:7], s[6:7]
	v_mov_b32_e32 v10, s10
	s_xor_b64 exec, exec, s[6:7]
	s_cbranch_execz .LBB4_330
.LBB4_2380:
	v_mov_b32_e32 v10, 0
	v_cmp_ne_u16_sdwa s[8:9], v11, v10 src0_sel:BYTE_0 src1_sel:DWORD
	s_andn2_b64 s[4:5], s[4:5], exec
	s_and_b64 s[8:9], s[8:9], exec
	s_or_b64 s[4:5], s[4:5], s[8:9]
	s_or_b64 exec, exec, s[6:7]
	s_and_saveexec_b64 s[6:7], s[4:5]
	s_cbranch_execnz .LBB4_331
	s_branch .LBB4_332
.LBB4_2381:
	s_movk_i32 s4, 0x80
	v_cmp_eq_u16_sdwa s[12:13], v11, s4 src0_sel:BYTE_0 src1_sel:DWORD
	s_mov_b64 s[4:5], -1
                                        ; implicit-def: $sgpr10
	s_and_saveexec_b64 s[8:9], s[12:13]
; %bb.2382:
	s_mov_b32 s10, 0x7f800001
	s_xor_b64 s[4:5], exec, -1
; %bb.2383:
	s_or_b64 exec, exec, s[8:9]
	s_and_b64 s[4:5], s[4:5], exec
	s_or_saveexec_b64 s[6:7], s[6:7]
	v_mov_b32_e32 v14, s10
	s_xor_b64 exec, exec, s[6:7]
	s_cbranch_execz .LBB4_334
.LBB4_2384:
	v_mov_b32_e32 v14, 0
	v_cmp_ne_u16_sdwa s[8:9], v11, v14 src0_sel:BYTE_0 src1_sel:DWORD
	s_andn2_b64 s[4:5], s[4:5], exec
	s_and_b64 s[8:9], s[8:9], exec
	s_or_b64 s[4:5], s[4:5], s[8:9]
	s_or_b64 exec, exec, s[6:7]
	s_and_saveexec_b64 s[6:7], s[4:5]
	s_cbranch_execnz .LBB4_335
	s_branch .LBB4_336
.LBB4_2385:
	s_movk_i32 s4, 0x80
	v_cmp_eq_u16_e32 vcc, s4, v11
	s_mov_b64 s[4:5], -1
                                        ; implicit-def: $sgpr10
	s_and_saveexec_b64 s[8:9], vcc
; %bb.2386:
	s_mov_b32 s10, 0x7f800001
	s_xor_b64 s[4:5], exec, -1
; %bb.2387:
	s_or_b64 exec, exec, s[8:9]
	s_and_b64 s[4:5], s[4:5], exec
                                        ; implicit-def: $vgpr11
	s_or_saveexec_b64 s[6:7], s[6:7]
	v_mov_b32_e32 v10, s10
	s_xor_b64 exec, exec, s[6:7]
	s_cbranch_execz .LBB4_338
.LBB4_2388:
	v_cmp_ne_u16_e32 vcc, 0, v11
	s_andn2_b64 s[4:5], s[4:5], exec
	s_and_b64 s[8:9], vcc, exec
	v_mov_b32_e32 v10, 0
	s_or_b64 s[4:5], s[4:5], s[8:9]
	s_or_b64 exec, exec, s[6:7]
	s_and_saveexec_b64 s[6:7], s[4:5]
	s_cbranch_execnz .LBB4_339
	s_branch .LBB4_340
.LBB4_2389:
	s_movk_i32 s4, 0x80
	v_cmp_eq_u16_e32 vcc, s4, v11
	s_mov_b64 s[4:5], -1
                                        ; implicit-def: $sgpr10
	s_and_saveexec_b64 s[8:9], vcc
; %bb.2390:
	s_mov_b32 s10, 0x7f800001
	s_xor_b64 s[4:5], exec, -1
; %bb.2391:
	s_or_b64 exec, exec, s[8:9]
	s_and_b64 s[4:5], s[4:5], exec
                                        ; implicit-def: $vgpr11
	s_or_saveexec_b64 s[6:7], s[6:7]
	v_mov_b32_e32 v14, s10
	s_xor_b64 exec, exec, s[6:7]
	s_cbranch_execz .LBB4_342
.LBB4_2392:
	v_cmp_ne_u16_e32 vcc, 0, v11
	s_andn2_b64 s[4:5], s[4:5], exec
	s_and_b64 s[8:9], vcc, exec
	v_mov_b32_e32 v14, 0
	s_or_b64 s[4:5], s[4:5], s[8:9]
	s_or_b64 exec, exec, s[6:7]
	s_and_saveexec_b64 s[6:7], s[4:5]
	s_cbranch_execnz .LBB4_343
	s_branch .LBB4_344
.LBB4_2393:
	s_movk_i32 s4, 0x80
	v_cmp_eq_u16_sdwa s[12:13], v16, s4 src0_sel:BYTE_3 src1_sel:DWORD
	s_mov_b64 s[4:5], -1
                                        ; implicit-def: $sgpr10
	s_and_saveexec_b64 s[8:9], s[12:13]
; %bb.2394:
	s_mov_b32 s10, 0x7f800001
	s_xor_b64 s[4:5], exec, -1
; %bb.2395:
	s_or_b64 exec, exec, s[8:9]
	s_and_b64 s[4:5], s[4:5], exec
	s_or_saveexec_b64 s[6:7], s[6:7]
	v_mov_b32_e32 v10, s10
	s_xor_b64 exec, exec, s[6:7]
	s_cbranch_execz .LBB4_346
.LBB4_2396:
	v_mov_b32_e32 v10, 0
	v_cmp_ne_u16_sdwa s[8:9], v16, v10 src0_sel:BYTE_3 src1_sel:DWORD
	s_andn2_b64 s[4:5], s[4:5], exec
	s_and_b64 s[8:9], s[8:9], exec
	s_or_b64 s[4:5], s[4:5], s[8:9]
	s_or_b64 exec, exec, s[6:7]
	s_and_saveexec_b64 s[6:7], s[4:5]
	s_cbranch_execnz .LBB4_347
	s_branch .LBB4_348
.LBB4_2397:
	s_movk_i32 s4, 0x80
	v_cmp_eq_u16_sdwa s[12:13], v12, s4 src0_sel:BYTE_3 src1_sel:DWORD
	s_mov_b64 s[4:5], -1
                                        ; implicit-def: $sgpr10
	s_and_saveexec_b64 s[8:9], s[12:13]
; %bb.2398:
	s_mov_b32 s10, 0x7f800001
	s_xor_b64 s[4:5], exec, -1
; %bb.2399:
	s_or_b64 exec, exec, s[8:9]
	s_and_b64 s[4:5], s[4:5], exec
	s_or_saveexec_b64 s[6:7], s[6:7]
	v_mov_b32_e32 v11, s10
	s_xor_b64 exec, exec, s[6:7]
	s_cbranch_execz .LBB4_350
.LBB4_2400:
	v_mov_b32_e32 v11, 0
	v_cmp_ne_u16_sdwa s[8:9], v12, v11 src0_sel:BYTE_3 src1_sel:DWORD
	s_andn2_b64 s[4:5], s[4:5], exec
	s_and_b64 s[8:9], s[8:9], exec
	s_or_b64 s[4:5], s[4:5], s[8:9]
	s_or_b64 exec, exec, s[6:7]
	s_and_saveexec_b64 s[6:7], s[4:5]
	s_cbranch_execnz .LBB4_351
	s_branch .LBB4_352
.LBB4_2401:
	s_movk_i32 s4, 0x80
	v_cmp_eq_u16_sdwa s[12:13], v17, s4 src0_sel:BYTE_0 src1_sel:DWORD
	s_mov_b64 s[4:5], -1
                                        ; implicit-def: $sgpr10
	s_and_saveexec_b64 s[8:9], s[12:13]
; %bb.2402:
	s_mov_b32 s10, 0x7f800001
	s_xor_b64 s[4:5], exec, -1
; %bb.2403:
	s_or_b64 exec, exec, s[8:9]
	s_and_b64 s[4:5], s[4:5], exec
	s_or_saveexec_b64 s[6:7], s[6:7]
	v_mov_b32_e32 v10, s10
	s_xor_b64 exec, exec, s[6:7]
	s_cbranch_execz .LBB4_354
.LBB4_2404:
	v_mov_b32_e32 v10, 0
	v_cmp_ne_u16_sdwa s[8:9], v17, v10 src0_sel:BYTE_0 src1_sel:DWORD
	s_andn2_b64 s[4:5], s[4:5], exec
	s_and_b64 s[8:9], s[8:9], exec
	s_or_b64 s[4:5], s[4:5], s[8:9]
	s_or_b64 exec, exec, s[6:7]
	s_and_saveexec_b64 s[6:7], s[4:5]
	s_cbranch_execnz .LBB4_355
	s_branch .LBB4_356
.LBB4_2405:
	s_movk_i32 s4, 0x80
	v_cmp_eq_u16_sdwa s[12:13], v13, s4 src0_sel:BYTE_0 src1_sel:DWORD
	s_mov_b64 s[4:5], -1
                                        ; implicit-def: $sgpr10
	s_and_saveexec_b64 s[8:9], s[12:13]
; %bb.2406:
	s_mov_b32 s10, 0x7f800001
	s_xor_b64 s[4:5], exec, -1
; %bb.2407:
	s_or_b64 exec, exec, s[8:9]
	s_and_b64 s[4:5], s[4:5], exec
	s_or_saveexec_b64 s[6:7], s[6:7]
	v_mov_b32_e32 v11, s10
	s_xor_b64 exec, exec, s[6:7]
	s_cbranch_execz .LBB4_358
.LBB4_2408:
	v_mov_b32_e32 v11, 0
	v_cmp_ne_u16_sdwa s[8:9], v13, v11 src0_sel:BYTE_0 src1_sel:DWORD
	s_andn2_b64 s[4:5], s[4:5], exec
	s_and_b64 s[8:9], s[8:9], exec
	s_or_b64 s[4:5], s[4:5], s[8:9]
	s_or_b64 exec, exec, s[6:7]
	s_and_saveexec_b64 s[6:7], s[4:5]
	s_cbranch_execnz .LBB4_359
	s_branch .LBB4_360
.LBB4_2409:
	s_movk_i32 s4, 0x80
	v_cmp_eq_u16_sdwa s[12:13], v11, s4 src0_sel:BYTE_0 src1_sel:DWORD
	s_mov_b64 s[4:5], -1
                                        ; implicit-def: $sgpr10
	s_and_saveexec_b64 s[8:9], s[12:13]
; %bb.2410:
	s_mov_b32 s10, 0x7f800001
	s_xor_b64 s[4:5], exec, -1
; %bb.2411:
	s_or_b64 exec, exec, s[8:9]
	s_and_b64 s[4:5], s[4:5], exec
	s_or_saveexec_b64 s[6:7], s[6:7]
	v_mov_b32_e32 v10, s10
	s_xor_b64 exec, exec, s[6:7]
	s_cbranch_execz .LBB4_362
.LBB4_2412:
	v_mov_b32_e32 v10, 0
	v_cmp_ne_u16_sdwa s[8:9], v11, v10 src0_sel:BYTE_0 src1_sel:DWORD
	s_andn2_b64 s[4:5], s[4:5], exec
	s_and_b64 s[8:9], s[8:9], exec
	s_or_b64 s[4:5], s[4:5], s[8:9]
	s_or_b64 exec, exec, s[6:7]
	s_and_saveexec_b64 s[6:7], s[4:5]
	s_cbranch_execnz .LBB4_363
	s_branch .LBB4_364
.LBB4_2413:
	s_movk_i32 s4, 0x80
	v_cmp_eq_u16_sdwa s[12:13], v11, s4 src0_sel:BYTE_0 src1_sel:DWORD
	s_mov_b64 s[4:5], -1
                                        ; implicit-def: $sgpr10
	s_and_saveexec_b64 s[8:9], s[12:13]
; %bb.2414:
	s_mov_b32 s10, 0x7f800001
	s_xor_b64 s[4:5], exec, -1
; %bb.2415:
	s_or_b64 exec, exec, s[8:9]
	s_and_b64 s[4:5], s[4:5], exec
	s_or_saveexec_b64 s[6:7], s[6:7]
	v_mov_b32_e32 v12, s10
	s_xor_b64 exec, exec, s[6:7]
	s_cbranch_execz .LBB4_366
.LBB4_2416:
	v_mov_b32_e32 v12, 0
	v_cmp_ne_u16_sdwa s[8:9], v11, v12 src0_sel:BYTE_0 src1_sel:DWORD
	s_andn2_b64 s[4:5], s[4:5], exec
	s_and_b64 s[8:9], s[8:9], exec
	s_or_b64 s[4:5], s[4:5], s[8:9]
	s_or_b64 exec, exec, s[6:7]
	s_and_saveexec_b64 s[6:7], s[4:5]
	s_cbranch_execnz .LBB4_367
	s_branch .LBB4_368
.LBB4_2417:
	s_movk_i32 s4, 0x80
	v_cmp_eq_u16_e32 vcc, s4, v11
	s_mov_b64 s[4:5], -1
                                        ; implicit-def: $sgpr10
	s_and_saveexec_b64 s[8:9], vcc
; %bb.2418:
	s_mov_b32 s10, 0x7f800001
	s_xor_b64 s[4:5], exec, -1
; %bb.2419:
	s_or_b64 exec, exec, s[8:9]
	s_and_b64 s[4:5], s[4:5], exec
                                        ; implicit-def: $vgpr11
	s_or_saveexec_b64 s[6:7], s[6:7]
	v_mov_b32_e32 v10, s10
	s_xor_b64 exec, exec, s[6:7]
	s_cbranch_execz .LBB4_370
.LBB4_2420:
	v_cmp_ne_u16_e32 vcc, 0, v11
	s_andn2_b64 s[4:5], s[4:5], exec
	s_and_b64 s[8:9], vcc, exec
	v_mov_b32_e32 v10, 0
	s_or_b64 s[4:5], s[4:5], s[8:9]
	s_or_b64 exec, exec, s[6:7]
	s_and_saveexec_b64 s[6:7], s[4:5]
	s_cbranch_execnz .LBB4_371
	s_branch .LBB4_372
.LBB4_2421:
	s_movk_i32 s4, 0x80
	v_cmp_eq_u16_e32 vcc, s4, v11
	s_mov_b64 s[4:5], -1
                                        ; implicit-def: $sgpr10
	s_and_saveexec_b64 s[8:9], vcc
; %bb.2422:
	s_mov_b32 s10, 0x7f800001
	s_xor_b64 s[4:5], exec, -1
; %bb.2423:
	s_or_b64 exec, exec, s[8:9]
	s_and_b64 s[4:5], s[4:5], exec
                                        ; implicit-def: $vgpr11
	s_or_saveexec_b64 s[6:7], s[6:7]
	v_mov_b32_e32 v12, s10
	s_xor_b64 exec, exec, s[6:7]
	s_cbranch_execz .LBB4_374
.LBB4_2424:
	v_cmp_ne_u16_e32 vcc, 0, v11
	s_andn2_b64 s[4:5], s[4:5], exec
	s_and_b64 s[8:9], vcc, exec
	v_mov_b32_e32 v12, 0
	s_or_b64 s[4:5], s[4:5], s[8:9]
	s_or_b64 exec, exec, s[6:7]
	s_and_saveexec_b64 s[6:7], s[4:5]
	s_cbranch_execnz .LBB4_375
	s_branch .LBB4_376
.LBB4_2425:
	s_movk_i32 s4, 0x80
	v_cmp_eq_u16_sdwa s[12:13], v17, s4 src0_sel:BYTE_3 src1_sel:DWORD
	s_mov_b64 s[4:5], -1
                                        ; implicit-def: $sgpr10
	s_and_saveexec_b64 s[8:9], s[12:13]
; %bb.2426:
	s_mov_b32 s10, 0x7f800001
	s_xor_b64 s[4:5], exec, -1
; %bb.2427:
	s_or_b64 exec, exec, s[8:9]
	s_and_b64 s[4:5], s[4:5], exec
	s_or_saveexec_b64 s[6:7], s[6:7]
	v_mov_b32_e32 v10, s10
	s_xor_b64 exec, exec, s[6:7]
	s_cbranch_execz .LBB4_378
.LBB4_2428:
	v_mov_b32_e32 v10, 0
	v_cmp_ne_u16_sdwa s[8:9], v17, v10 src0_sel:BYTE_3 src1_sel:DWORD
	s_andn2_b64 s[4:5], s[4:5], exec
	s_and_b64 s[8:9], s[8:9], exec
	s_or_b64 s[4:5], s[4:5], s[8:9]
	s_or_b64 exec, exec, s[6:7]
	s_and_saveexec_b64 s[6:7], s[4:5]
	s_cbranch_execnz .LBB4_379
	s_branch .LBB4_380
.LBB4_2429:
	s_movk_i32 s4, 0x80
	v_cmp_eq_u16_sdwa s[12:13], v13, s4 src0_sel:BYTE_3 src1_sel:DWORD
	s_mov_b64 s[4:5], -1
                                        ; implicit-def: $sgpr10
	s_and_saveexec_b64 s[8:9], s[12:13]
; %bb.2430:
	s_mov_b32 s10, 0x7f800001
	s_xor_b64 s[4:5], exec, -1
; %bb.2431:
	s_or_b64 exec, exec, s[8:9]
	s_and_b64 s[4:5], s[4:5], exec
	s_or_saveexec_b64 s[6:7], s[6:7]
	v_mov_b32_e32 v11, s10
	s_xor_b64 exec, exec, s[6:7]
	s_cbranch_execz .LBB4_382
.LBB4_2432:
	v_mov_b32_e32 v11, 0
	v_cmp_ne_u16_sdwa s[8:9], v13, v11 src0_sel:BYTE_3 src1_sel:DWORD
	s_andn2_b64 s[4:5], s[4:5], exec
	s_and_b64 s[8:9], s[8:9], exec
	s_or_b64 s[4:5], s[4:5], s[8:9]
	s_or_b64 exec, exec, s[6:7]
	s_and_saveexec_b64 s[6:7], s[4:5]
	s_cbranch_execnz .LBB4_383
	s_branch .LBB4_384
.LBB4_2433:
	s_movk_i32 s4, 0x80
	v_cmp_eq_u16_sdwa s[12:13], v6, s4 src0_sel:BYTE_0 src1_sel:DWORD
	s_mov_b64 s[4:5], -1
                                        ; implicit-def: $sgpr10
	s_and_saveexec_b64 s[8:9], s[12:13]
; %bb.2434:
	s_mov_b32 s10, 0x7f800001
	s_xor_b64 s[4:5], exec, -1
; %bb.2435:
	s_or_b64 exec, exec, s[8:9]
	s_and_b64 s[4:5], s[4:5], exec
	s_or_saveexec_b64 s[6:7], s[6:7]
	v_mov_b32_e32 v10, s10
	s_xor_b64 exec, exec, s[6:7]
	s_cbranch_execz .LBB4_386
.LBB4_2436:
	v_mov_b32_e32 v10, 0
	v_cmp_ne_u16_sdwa s[8:9], v6, v10 src0_sel:BYTE_0 src1_sel:DWORD
	s_andn2_b64 s[4:5], s[4:5], exec
	s_and_b64 s[8:9], s[8:9], exec
	s_or_b64 s[4:5], s[4:5], s[8:9]
	s_or_b64 exec, exec, s[6:7]
	s_and_saveexec_b64 s[6:7], s[4:5]
	s_cbranch_execnz .LBB4_387
	s_branch .LBB4_388
.LBB4_2437:
	s_movk_i32 s4, 0x80
	v_cmp_eq_u16_sdwa s[12:13], v2, s4 src0_sel:BYTE_0 src1_sel:DWORD
	s_mov_b64 s[4:5], -1
                                        ; implicit-def: $sgpr10
	s_and_saveexec_b64 s[8:9], s[12:13]
; %bb.2438:
	s_mov_b32 s10, 0x7f800001
	s_xor_b64 s[4:5], exec, -1
; %bb.2439:
	s_or_b64 exec, exec, s[8:9]
	s_and_b64 s[4:5], s[4:5], exec
	s_or_saveexec_b64 s[6:7], s[6:7]
	v_mov_b32_e32 v11, s10
	s_xor_b64 exec, exec, s[6:7]
	s_cbranch_execz .LBB4_390
.LBB4_2440:
	v_mov_b32_e32 v11, 0
	v_cmp_ne_u16_sdwa s[8:9], v2, v11 src0_sel:BYTE_0 src1_sel:DWORD
	s_andn2_b64 s[4:5], s[4:5], exec
	s_and_b64 s[8:9], s[8:9], exec
	s_or_b64 s[4:5], s[4:5], s[8:9]
	s_or_b64 exec, exec, s[6:7]
	s_and_saveexec_b64 s[6:7], s[4:5]
	s_cbranch_execnz .LBB4_391
	s_branch .LBB4_392
.LBB4_2441:
	s_movk_i32 s4, 0x80
	v_cmp_eq_u16_sdwa s[12:13], v11, s4 src0_sel:BYTE_0 src1_sel:DWORD
	s_mov_b64 s[4:5], -1
                                        ; implicit-def: $sgpr10
	s_and_saveexec_b64 s[8:9], s[12:13]
; %bb.2442:
	s_mov_b32 s10, 0x7f800001
	s_xor_b64 s[4:5], exec, -1
; %bb.2443:
	s_or_b64 exec, exec, s[8:9]
	s_and_b64 s[4:5], s[4:5], exec
	s_or_saveexec_b64 s[6:7], s[6:7]
	v_mov_b32_e32 v10, s10
	s_xor_b64 exec, exec, s[6:7]
	s_cbranch_execz .LBB4_394
.LBB4_2444:
	v_mov_b32_e32 v10, 0
	v_cmp_ne_u16_sdwa s[8:9], v11, v10 src0_sel:BYTE_0 src1_sel:DWORD
	s_andn2_b64 s[4:5], s[4:5], exec
	s_and_b64 s[8:9], s[8:9], exec
	s_or_b64 s[4:5], s[4:5], s[8:9]
	s_or_b64 exec, exec, s[6:7]
	s_and_saveexec_b64 s[6:7], s[4:5]
	s_cbranch_execnz .LBB4_395
	s_branch .LBB4_396
.LBB4_2445:
	s_movk_i32 s4, 0x80
	v_cmp_eq_u16_sdwa s[12:13], v11, s4 src0_sel:BYTE_0 src1_sel:DWORD
	s_mov_b64 s[4:5], -1
                                        ; implicit-def: $sgpr10
	s_and_saveexec_b64 s[8:9], s[12:13]
; %bb.2446:
	s_mov_b32 s10, 0x7f800001
	s_xor_b64 s[4:5], exec, -1
; %bb.2447:
	s_or_b64 exec, exec, s[8:9]
	s_and_b64 s[4:5], s[4:5], exec
	s_or_saveexec_b64 s[6:7], s[6:7]
	v_mov_b32_e32 v12, s10
	s_xor_b64 exec, exec, s[6:7]
	s_cbranch_execz .LBB4_398
.LBB4_2448:
	v_mov_b32_e32 v12, 0
	v_cmp_ne_u16_sdwa s[8:9], v11, v12 src0_sel:BYTE_0 src1_sel:DWORD
	s_andn2_b64 s[4:5], s[4:5], exec
	s_and_b64 s[8:9], s[8:9], exec
	s_or_b64 s[4:5], s[4:5], s[8:9]
	s_or_b64 exec, exec, s[6:7]
	s_and_saveexec_b64 s[6:7], s[4:5]
	s_cbranch_execnz .LBB4_399
	s_branch .LBB4_400
.LBB4_2449:
	s_movk_i32 s4, 0x80
	v_cmp_eq_u16_e32 vcc, s4, v11
	s_mov_b64 s[4:5], -1
                                        ; implicit-def: $sgpr10
	s_and_saveexec_b64 s[8:9], vcc
; %bb.2450:
	s_mov_b32 s10, 0x7f800001
	s_xor_b64 s[4:5], exec, -1
; %bb.2451:
	s_or_b64 exec, exec, s[8:9]
	s_and_b64 s[4:5], s[4:5], exec
                                        ; implicit-def: $vgpr11
	s_or_saveexec_b64 s[6:7], s[6:7]
	v_mov_b32_e32 v10, s10
	s_xor_b64 exec, exec, s[6:7]
	s_cbranch_execz .LBB4_402
.LBB4_2452:
	v_cmp_ne_u16_e32 vcc, 0, v11
	s_andn2_b64 s[4:5], s[4:5], exec
	s_and_b64 s[8:9], vcc, exec
	v_mov_b32_e32 v10, 0
	s_or_b64 s[4:5], s[4:5], s[8:9]
	s_or_b64 exec, exec, s[6:7]
	s_and_saveexec_b64 s[6:7], s[4:5]
	s_cbranch_execnz .LBB4_403
	s_branch .LBB4_404
.LBB4_2453:
	s_movk_i32 s4, 0x80
	v_cmp_eq_u16_e32 vcc, s4, v11
	s_mov_b64 s[4:5], -1
                                        ; implicit-def: $sgpr10
	s_and_saveexec_b64 s[8:9], vcc
; %bb.2454:
	s_mov_b32 s10, 0x7f800001
	s_xor_b64 s[4:5], exec, -1
; %bb.2455:
	s_or_b64 exec, exec, s[8:9]
	s_and_b64 s[4:5], s[4:5], exec
                                        ; implicit-def: $vgpr11
	s_or_saveexec_b64 s[6:7], s[6:7]
	v_mov_b32_e32 v12, s10
	s_xor_b64 exec, exec, s[6:7]
	s_cbranch_execz .LBB4_406
.LBB4_2456:
	v_cmp_ne_u16_e32 vcc, 0, v11
	s_andn2_b64 s[4:5], s[4:5], exec
	s_and_b64 s[8:9], vcc, exec
	v_mov_b32_e32 v12, 0
	s_or_b64 s[4:5], s[4:5], s[8:9]
	s_or_b64 exec, exec, s[6:7]
	s_and_saveexec_b64 s[6:7], s[4:5]
	s_cbranch_execnz .LBB4_407
	s_branch .LBB4_408
.LBB4_2457:
	s_movk_i32 s4, 0x80
	v_cmp_eq_u16_sdwa s[12:13], v6, s4 src0_sel:BYTE_3 src1_sel:DWORD
	s_mov_b64 s[4:5], -1
                                        ; implicit-def: $sgpr10
	s_and_saveexec_b64 s[8:9], s[12:13]
; %bb.2458:
	s_mov_b32 s10, 0x7f800001
	s_xor_b64 s[4:5], exec, -1
; %bb.2459:
	s_or_b64 exec, exec, s[8:9]
	s_and_b64 s[4:5], s[4:5], exec
	s_or_saveexec_b64 s[6:7], s[6:7]
	v_mov_b32_e32 v10, s10
	s_xor_b64 exec, exec, s[6:7]
	s_cbranch_execz .LBB4_410
.LBB4_2460:
	v_mov_b32_e32 v10, 0
	v_cmp_ne_u16_sdwa s[8:9], v6, v10 src0_sel:BYTE_3 src1_sel:DWORD
	s_andn2_b64 s[4:5], s[4:5], exec
	s_and_b64 s[8:9], s[8:9], exec
	s_or_b64 s[4:5], s[4:5], s[8:9]
	s_or_b64 exec, exec, s[6:7]
	s_and_saveexec_b64 s[6:7], s[4:5]
	s_cbranch_execnz .LBB4_411
	s_branch .LBB4_412
.LBB4_2461:
	s_movk_i32 s4, 0x80
	v_cmp_eq_u16_sdwa s[12:13], v2, s4 src0_sel:BYTE_3 src1_sel:DWORD
	s_mov_b64 s[4:5], -1
                                        ; implicit-def: $sgpr10
	s_and_saveexec_b64 s[8:9], s[12:13]
; %bb.2462:
	s_mov_b32 s10, 0x7f800001
	s_xor_b64 s[4:5], exec, -1
; %bb.2463:
	s_or_b64 exec, exec, s[8:9]
	s_and_b64 s[4:5], s[4:5], exec
	s_or_saveexec_b64 s[6:7], s[6:7]
	v_mov_b32_e32 v6, s10
	s_xor_b64 exec, exec, s[6:7]
	s_cbranch_execz .LBB4_414
.LBB4_2464:
	v_mov_b32_e32 v6, 0
	v_cmp_ne_u16_sdwa s[8:9], v2, v6 src0_sel:BYTE_3 src1_sel:DWORD
	s_andn2_b64 s[4:5], s[4:5], exec
	s_and_b64 s[8:9], s[8:9], exec
	s_or_b64 s[4:5], s[4:5], s[8:9]
	s_or_b64 exec, exec, s[6:7]
	s_and_saveexec_b64 s[6:7], s[4:5]
	s_cbranch_execnz .LBB4_415
	s_branch .LBB4_416
.LBB4_2465:
	s_movk_i32 s4, 0x80
	v_cmp_eq_u16_sdwa s[12:13], v7, s4 src0_sel:BYTE_0 src1_sel:DWORD
	s_mov_b64 s[4:5], -1
                                        ; implicit-def: $sgpr10
	s_and_saveexec_b64 s[8:9], s[12:13]
; %bb.2466:
	s_mov_b32 s10, 0x7f800001
	s_xor_b64 s[4:5], exec, -1
; %bb.2467:
	s_or_b64 exec, exec, s[8:9]
	s_and_b64 s[4:5], s[4:5], exec
	s_or_saveexec_b64 s[6:7], s[6:7]
	v_mov_b32_e32 v2, s10
	s_xor_b64 exec, exec, s[6:7]
	s_cbranch_execz .LBB4_418
.LBB4_2468:
	v_mov_b32_e32 v2, 0
	v_cmp_ne_u16_sdwa s[8:9], v7, v2 src0_sel:BYTE_0 src1_sel:DWORD
	s_andn2_b64 s[4:5], s[4:5], exec
	s_and_b64 s[8:9], s[8:9], exec
	s_or_b64 s[4:5], s[4:5], s[8:9]
	s_or_b64 exec, exec, s[6:7]
	s_and_saveexec_b64 s[6:7], s[4:5]
	s_cbranch_execnz .LBB4_419
	s_branch .LBB4_420
.LBB4_2469:
	s_movk_i32 s4, 0x80
	v_cmp_eq_u16_sdwa s[12:13], v3, s4 src0_sel:BYTE_0 src1_sel:DWORD
	s_mov_b64 s[4:5], -1
                                        ; implicit-def: $sgpr10
	s_and_saveexec_b64 s[8:9], s[12:13]
; %bb.2470:
	s_mov_b32 s10, 0x7f800001
	s_xor_b64 s[4:5], exec, -1
; %bb.2471:
	s_or_b64 exec, exec, s[8:9]
	s_and_b64 s[4:5], s[4:5], exec
	s_or_saveexec_b64 s[6:7], s[6:7]
	v_mov_b32_e32 v6, s10
	s_xor_b64 exec, exec, s[6:7]
	s_cbranch_execz .LBB4_422
.LBB4_2472:
	v_mov_b32_e32 v6, 0
	v_cmp_ne_u16_sdwa s[8:9], v3, v6 src0_sel:BYTE_0 src1_sel:DWORD
	s_andn2_b64 s[4:5], s[4:5], exec
	s_and_b64 s[8:9], s[8:9], exec
	s_or_b64 s[4:5], s[4:5], s[8:9]
	s_or_b64 exec, exec, s[6:7]
	s_and_saveexec_b64 s[6:7], s[4:5]
	s_cbranch_execnz .LBB4_423
	s_branch .LBB4_424
.LBB4_2473:
	s_movk_i32 s4, 0x80
	v_cmp_eq_u16_sdwa s[12:13], v6, s4 src0_sel:BYTE_0 src1_sel:DWORD
	s_mov_b64 s[4:5], -1
                                        ; implicit-def: $sgpr10
	s_and_saveexec_b64 s[8:9], s[12:13]
; %bb.2474:
	s_mov_b32 s10, 0x7f800001
	s_xor_b64 s[4:5], exec, -1
; %bb.2475:
	s_or_b64 exec, exec, s[8:9]
	s_and_b64 s[4:5], s[4:5], exec
	s_or_saveexec_b64 s[6:7], s[6:7]
	v_mov_b32_e32 v2, s10
	s_xor_b64 exec, exec, s[6:7]
	s_cbranch_execz .LBB4_426
.LBB4_2476:
	v_mov_b32_e32 v2, 0
	v_cmp_ne_u16_sdwa s[8:9], v6, v2 src0_sel:BYTE_0 src1_sel:DWORD
	s_andn2_b64 s[4:5], s[4:5], exec
	s_and_b64 s[8:9], s[8:9], exec
	s_or_b64 s[4:5], s[4:5], s[8:9]
	s_or_b64 exec, exec, s[6:7]
	s_and_saveexec_b64 s[6:7], s[4:5]
	s_cbranch_execnz .LBB4_427
	s_branch .LBB4_428
.LBB4_2477:
	s_movk_i32 s4, 0x80
	v_cmp_eq_u16_sdwa s[12:13], v6, s4 src0_sel:BYTE_0 src1_sel:DWORD
	s_mov_b64 s[4:5], -1
                                        ; implicit-def: $sgpr10
	s_and_saveexec_b64 s[8:9], s[12:13]
; %bb.2478:
	s_mov_b32 s10, 0x7f800001
	s_xor_b64 s[4:5], exec, -1
; %bb.2479:
	s_or_b64 exec, exec, s[8:9]
	s_and_b64 s[4:5], s[4:5], exec
	s_or_saveexec_b64 s[6:7], s[6:7]
	v_mov_b32_e32 v10, s10
	s_xor_b64 exec, exec, s[6:7]
	s_cbranch_execz .LBB4_430
.LBB4_2480:
	v_mov_b32_e32 v10, 0
	v_cmp_ne_u16_sdwa s[8:9], v6, v10 src0_sel:BYTE_0 src1_sel:DWORD
	s_andn2_b64 s[4:5], s[4:5], exec
	s_and_b64 s[8:9], s[8:9], exec
	s_or_b64 s[4:5], s[4:5], s[8:9]
	s_or_b64 exec, exec, s[6:7]
	s_and_saveexec_b64 s[6:7], s[4:5]
	s_cbranch_execnz .LBB4_431
	s_branch .LBB4_432
.LBB4_2481:
	s_movk_i32 s4, 0x80
	v_cmp_eq_u16_e32 vcc, s4, v6
	s_mov_b64 s[4:5], -1
                                        ; implicit-def: $sgpr10
	s_and_saveexec_b64 s[8:9], vcc
; %bb.2482:
	s_mov_b32 s10, 0x7f800001
	s_xor_b64 s[4:5], exec, -1
; %bb.2483:
	s_or_b64 exec, exec, s[8:9]
	s_and_b64 s[4:5], s[4:5], exec
                                        ; implicit-def: $vgpr6
	s_or_saveexec_b64 s[6:7], s[6:7]
	v_mov_b32_e32 v2, s10
	s_xor_b64 exec, exec, s[6:7]
	s_cbranch_execz .LBB4_434
.LBB4_2484:
	v_cmp_ne_u16_e32 vcc, 0, v6
	s_andn2_b64 s[4:5], s[4:5], exec
	s_and_b64 s[8:9], vcc, exec
	v_mov_b32_e32 v2, 0
	s_or_b64 s[4:5], s[4:5], s[8:9]
	s_or_b64 exec, exec, s[6:7]
	s_and_saveexec_b64 s[6:7], s[4:5]
	s_cbranch_execnz .LBB4_435
	s_branch .LBB4_436
.LBB4_2485:
	s_movk_i32 s4, 0x80
	v_cmp_eq_u16_e32 vcc, s4, v6
	s_mov_b64 s[4:5], -1
                                        ; implicit-def: $sgpr10
	s_and_saveexec_b64 s[8:9], vcc
; %bb.2486:
	s_mov_b32 s10, 0x7f800001
	s_xor_b64 s[4:5], exec, -1
; %bb.2487:
	s_or_b64 exec, exec, s[8:9]
	s_and_b64 s[4:5], s[4:5], exec
                                        ; implicit-def: $vgpr6
	s_or_saveexec_b64 s[6:7], s[6:7]
	v_mov_b32_e32 v10, s10
	s_xor_b64 exec, exec, s[6:7]
	s_cbranch_execz .LBB4_438
.LBB4_2488:
	v_cmp_ne_u16_e32 vcc, 0, v6
	s_andn2_b64 s[4:5], s[4:5], exec
	s_and_b64 s[8:9], vcc, exec
	v_mov_b32_e32 v10, 0
	s_or_b64 s[4:5], s[4:5], s[8:9]
	s_or_b64 exec, exec, s[6:7]
	s_and_saveexec_b64 s[6:7], s[4:5]
	s_cbranch_execnz .LBB4_439
	s_branch .LBB4_440
.LBB4_2489:
	s_movk_i32 s4, 0x80
	v_cmp_eq_u16_sdwa s[12:13], v7, s4 src0_sel:BYTE_3 src1_sel:DWORD
	s_mov_b64 s[4:5], -1
                                        ; implicit-def: $sgpr10
	s_and_saveexec_b64 s[8:9], s[12:13]
; %bb.2490:
	s_mov_b32 s10, 0x7f800001
	s_xor_b64 s[4:5], exec, -1
; %bb.2491:
	s_or_b64 exec, exec, s[8:9]
	s_and_b64 s[4:5], s[4:5], exec
	s_or_saveexec_b64 s[6:7], s[6:7]
	v_mov_b32_e32 v2, s10
	s_xor_b64 exec, exec, s[6:7]
	s_cbranch_execz .LBB4_442
.LBB4_2492:
	v_mov_b32_e32 v2, 0
	v_cmp_ne_u16_sdwa s[8:9], v7, v2 src0_sel:BYTE_3 src1_sel:DWORD
	s_andn2_b64 s[4:5], s[4:5], exec
	s_and_b64 s[8:9], s[8:9], exec
	s_or_b64 s[4:5], s[4:5], s[8:9]
	s_or_b64 exec, exec, s[6:7]
	s_and_saveexec_b64 s[6:7], s[4:5]
	s_cbranch_execnz .LBB4_443
	s_branch .LBB4_444
.LBB4_2493:
	s_movk_i32 s4, 0x80
	v_cmp_eq_u16_sdwa s[12:13], v3, s4 src0_sel:BYTE_3 src1_sel:DWORD
	s_mov_b64 s[4:5], -1
                                        ; implicit-def: $sgpr10
	s_and_saveexec_b64 s[8:9], s[12:13]
; %bb.2494:
	s_mov_b32 s10, 0x7f800001
	s_xor_b64 s[4:5], exec, -1
; %bb.2495:
	s_or_b64 exec, exec, s[8:9]
	s_and_b64 s[4:5], s[4:5], exec
	s_or_saveexec_b64 s[6:7], s[6:7]
	v_mov_b32_e32 v6, s10
	s_xor_b64 exec, exec, s[6:7]
	s_cbranch_execz .LBB4_446
.LBB4_2496:
	v_mov_b32_e32 v6, 0
	v_cmp_ne_u16_sdwa s[8:9], v3, v6 src0_sel:BYTE_3 src1_sel:DWORD
	s_andn2_b64 s[4:5], s[4:5], exec
	s_and_b64 s[8:9], s[8:9], exec
	s_or_b64 s[4:5], s[4:5], s[8:9]
	s_or_b64 exec, exec, s[6:7]
	s_and_saveexec_b64 s[6:7], s[4:5]
	s_cbranch_execnz .LBB4_447
	s_branch .LBB4_448
.LBB4_2497:
	s_movk_i32 s4, 0x80
	v_cmp_eq_u16_sdwa s[12:13], v8, s4 src0_sel:BYTE_0 src1_sel:DWORD
	s_mov_b64 s[4:5], -1
                                        ; implicit-def: $sgpr10
	s_and_saveexec_b64 s[8:9], s[12:13]
; %bb.2498:
	s_mov_b32 s10, 0x7f800001
	s_xor_b64 s[4:5], exec, -1
; %bb.2499:
	s_or_b64 exec, exec, s[8:9]
	s_and_b64 s[4:5], s[4:5], exec
	s_or_saveexec_b64 s[6:7], s[6:7]
	v_mov_b32_e32 v2, s10
	s_xor_b64 exec, exec, s[6:7]
	s_cbranch_execz .LBB4_450
.LBB4_2500:
	v_mov_b32_e32 v2, 0
	v_cmp_ne_u16_sdwa s[8:9], v8, v2 src0_sel:BYTE_0 src1_sel:DWORD
	s_andn2_b64 s[4:5], s[4:5], exec
	s_and_b64 s[8:9], s[8:9], exec
	s_or_b64 s[4:5], s[4:5], s[8:9]
	s_or_b64 exec, exec, s[6:7]
	s_and_saveexec_b64 s[6:7], s[4:5]
	s_cbranch_execnz .LBB4_451
	s_branch .LBB4_452
.LBB4_2501:
	s_movk_i32 s4, 0x80
	v_cmp_eq_u16_sdwa s[12:13], v4, s4 src0_sel:BYTE_0 src1_sel:DWORD
	s_mov_b64 s[4:5], -1
                                        ; implicit-def: $sgpr10
	s_and_saveexec_b64 s[8:9], s[12:13]
; %bb.2502:
	s_mov_b32 s10, 0x7f800001
	s_xor_b64 s[4:5], exec, -1
; %bb.2503:
	s_or_b64 exec, exec, s[8:9]
	s_and_b64 s[4:5], s[4:5], exec
	s_or_saveexec_b64 s[6:7], s[6:7]
	v_mov_b32_e32 v3, s10
	s_xor_b64 exec, exec, s[6:7]
	s_cbranch_execz .LBB4_454
.LBB4_2504:
	v_mov_b32_e32 v3, 0
	v_cmp_ne_u16_sdwa s[8:9], v4, v3 src0_sel:BYTE_0 src1_sel:DWORD
	s_andn2_b64 s[4:5], s[4:5], exec
	s_and_b64 s[8:9], s[8:9], exec
	s_or_b64 s[4:5], s[4:5], s[8:9]
	s_or_b64 exec, exec, s[6:7]
	s_and_saveexec_b64 s[6:7], s[4:5]
	s_cbranch_execnz .LBB4_455
	s_branch .LBB4_456
.LBB4_2505:
	s_movk_i32 s4, 0x80
	v_cmp_eq_u16_sdwa s[12:13], v3, s4 src0_sel:BYTE_0 src1_sel:DWORD
	s_mov_b64 s[4:5], -1
                                        ; implicit-def: $sgpr10
	s_and_saveexec_b64 s[8:9], s[12:13]
; %bb.2506:
	s_mov_b32 s10, 0x7f800001
	s_xor_b64 s[4:5], exec, -1
; %bb.2507:
	s_or_b64 exec, exec, s[8:9]
	s_and_b64 s[4:5], s[4:5], exec
	s_or_saveexec_b64 s[6:7], s[6:7]
	v_mov_b32_e32 v2, s10
	s_xor_b64 exec, exec, s[6:7]
	s_cbranch_execz .LBB4_458
.LBB4_2508:
	v_mov_b32_e32 v2, 0
	v_cmp_ne_u16_sdwa s[8:9], v3, v2 src0_sel:BYTE_0 src1_sel:DWORD
	s_andn2_b64 s[4:5], s[4:5], exec
	s_and_b64 s[8:9], s[8:9], exec
	s_or_b64 s[4:5], s[4:5], s[8:9]
	s_or_b64 exec, exec, s[6:7]
	s_and_saveexec_b64 s[6:7], s[4:5]
	s_cbranch_execnz .LBB4_459
	s_branch .LBB4_460
.LBB4_2509:
	s_movk_i32 s4, 0x80
	v_cmp_eq_u16_sdwa s[12:13], v3, s4 src0_sel:BYTE_0 src1_sel:DWORD
	s_mov_b64 s[4:5], -1
                                        ; implicit-def: $sgpr10
	s_and_saveexec_b64 s[8:9], s[12:13]
; %bb.2510:
	s_mov_b32 s10, 0x7f800001
	s_xor_b64 s[4:5], exec, -1
; %bb.2511:
	s_or_b64 exec, exec, s[8:9]
	s_and_b64 s[4:5], s[4:5], exec
	s_or_saveexec_b64 s[6:7], s[6:7]
	v_mov_b32_e32 v6, s10
	s_xor_b64 exec, exec, s[6:7]
	s_cbranch_execz .LBB4_462
.LBB4_2512:
	v_mov_b32_e32 v6, 0
	v_cmp_ne_u16_sdwa s[8:9], v3, v6 src0_sel:BYTE_0 src1_sel:DWORD
	s_andn2_b64 s[4:5], s[4:5], exec
	s_and_b64 s[8:9], s[8:9], exec
	s_or_b64 s[4:5], s[4:5], s[8:9]
	s_or_b64 exec, exec, s[6:7]
	s_and_saveexec_b64 s[6:7], s[4:5]
	s_cbranch_execnz .LBB4_463
	s_branch .LBB4_464
.LBB4_2513:
	s_movk_i32 s4, 0x80
	v_cmp_eq_u16_e32 vcc, s4, v3
	s_mov_b64 s[4:5], -1
                                        ; implicit-def: $sgpr10
	s_and_saveexec_b64 s[8:9], vcc
; %bb.2514:
	s_mov_b32 s10, 0x7f800001
	s_xor_b64 s[4:5], exec, -1
; %bb.2515:
	s_or_b64 exec, exec, s[8:9]
	s_and_b64 s[4:5], s[4:5], exec
                                        ; implicit-def: $vgpr3
	s_or_saveexec_b64 s[6:7], s[6:7]
	v_mov_b32_e32 v2, s10
	s_xor_b64 exec, exec, s[6:7]
	s_cbranch_execz .LBB4_466
.LBB4_2516:
	v_cmp_ne_u16_e32 vcc, 0, v3
	s_andn2_b64 s[4:5], s[4:5], exec
	s_and_b64 s[8:9], vcc, exec
	v_mov_b32_e32 v2, 0
	s_or_b64 s[4:5], s[4:5], s[8:9]
	s_or_b64 exec, exec, s[6:7]
	s_and_saveexec_b64 s[6:7], s[4:5]
	s_cbranch_execnz .LBB4_467
	s_branch .LBB4_468
.LBB4_2517:
	s_movk_i32 s4, 0x80
	v_cmp_eq_u16_e32 vcc, s4, v3
	s_mov_b64 s[4:5], -1
                                        ; implicit-def: $sgpr10
	s_and_saveexec_b64 s[8:9], vcc
; %bb.2518:
	s_mov_b32 s10, 0x7f800001
	s_xor_b64 s[4:5], exec, -1
; %bb.2519:
	s_or_b64 exec, exec, s[8:9]
	s_and_b64 s[4:5], s[4:5], exec
                                        ; implicit-def: $vgpr3
	s_or_saveexec_b64 s[6:7], s[6:7]
	v_mov_b32_e32 v6, s10
	s_xor_b64 exec, exec, s[6:7]
	s_cbranch_execz .LBB4_470
.LBB4_2520:
	v_cmp_ne_u16_e32 vcc, 0, v3
	s_andn2_b64 s[4:5], s[4:5], exec
	s_and_b64 s[8:9], vcc, exec
	v_mov_b32_e32 v6, 0
	s_or_b64 s[4:5], s[4:5], s[8:9]
	s_or_b64 exec, exec, s[6:7]
	s_and_saveexec_b64 s[6:7], s[4:5]
	s_cbranch_execnz .LBB4_471
	s_branch .LBB4_472
.LBB4_2521:
	s_movk_i32 s4, 0x80
	v_cmp_eq_u16_sdwa s[12:13], v8, s4 src0_sel:BYTE_3 src1_sel:DWORD
	s_mov_b64 s[4:5], -1
                                        ; implicit-def: $sgpr10
	s_and_saveexec_b64 s[8:9], s[12:13]
; %bb.2522:
	s_mov_b32 s10, 0x7f800001
	s_xor_b64 s[4:5], exec, -1
; %bb.2523:
	s_or_b64 exec, exec, s[8:9]
	s_and_b64 s[4:5], s[4:5], exec
	s_or_saveexec_b64 s[6:7], s[6:7]
	v_mov_b32_e32 v2, s10
	s_xor_b64 exec, exec, s[6:7]
	s_cbranch_execz .LBB4_474
.LBB4_2524:
	v_mov_b32_e32 v2, 0
	v_cmp_ne_u16_sdwa s[8:9], v8, v2 src0_sel:BYTE_3 src1_sel:DWORD
	s_andn2_b64 s[4:5], s[4:5], exec
	s_and_b64 s[8:9], s[8:9], exec
	s_or_b64 s[4:5], s[4:5], s[8:9]
	s_or_b64 exec, exec, s[6:7]
	s_and_saveexec_b64 s[6:7], s[4:5]
	s_cbranch_execnz .LBB4_475
	s_branch .LBB4_476
.LBB4_2525:
	s_movk_i32 s4, 0x80
	v_cmp_eq_u16_sdwa s[12:13], v4, s4 src0_sel:BYTE_3 src1_sel:DWORD
	s_mov_b64 s[4:5], -1
                                        ; implicit-def: $sgpr10
	s_and_saveexec_b64 s[8:9], s[12:13]
; %bb.2526:
	s_mov_b32 s10, 0x7f800001
	s_xor_b64 s[4:5], exec, -1
; %bb.2527:
	s_or_b64 exec, exec, s[8:9]
	s_and_b64 s[4:5], s[4:5], exec
	s_or_saveexec_b64 s[6:7], s[6:7]
	v_mov_b32_e32 v3, s10
	s_xor_b64 exec, exec, s[6:7]
	s_cbranch_execz .LBB4_478
.LBB4_2528:
	v_mov_b32_e32 v3, 0
	v_cmp_ne_u16_sdwa s[8:9], v4, v3 src0_sel:BYTE_3 src1_sel:DWORD
	s_andn2_b64 s[4:5], s[4:5], exec
	s_and_b64 s[8:9], s[8:9], exec
	s_or_b64 s[4:5], s[4:5], s[8:9]
	s_or_b64 exec, exec, s[6:7]
	s_and_saveexec_b64 s[6:7], s[4:5]
	s_cbranch_execnz .LBB4_479
	s_branch .LBB4_480
.LBB4_2529:
	s_movk_i32 s4, 0x80
	v_cmp_eq_u16_sdwa s[12:13], v9, s4 src0_sel:BYTE_0 src1_sel:DWORD
	s_mov_b64 s[4:5], -1
                                        ; implicit-def: $sgpr10
	s_and_saveexec_b64 s[8:9], s[12:13]
; %bb.2530:
	s_mov_b32 s10, 0x7f800001
	s_xor_b64 s[4:5], exec, -1
; %bb.2531:
	s_or_b64 exec, exec, s[8:9]
	s_and_b64 s[4:5], s[4:5], exec
	s_or_saveexec_b64 s[6:7], s[6:7]
	v_mov_b32_e32 v2, s10
	s_xor_b64 exec, exec, s[6:7]
	s_cbranch_execz .LBB4_482
.LBB4_2532:
	v_mov_b32_e32 v2, 0
	v_cmp_ne_u16_sdwa s[8:9], v9, v2 src0_sel:BYTE_0 src1_sel:DWORD
	s_andn2_b64 s[4:5], s[4:5], exec
	s_and_b64 s[8:9], s[8:9], exec
	s_or_b64 s[4:5], s[4:5], s[8:9]
	s_or_b64 exec, exec, s[6:7]
	s_and_saveexec_b64 s[6:7], s[4:5]
	s_cbranch_execnz .LBB4_483
	s_branch .LBB4_484
.LBB4_2533:
	s_movk_i32 s4, 0x80
	v_cmp_eq_u16_sdwa s[12:13], v5, s4 src0_sel:BYTE_0 src1_sel:DWORD
	s_mov_b64 s[4:5], -1
                                        ; implicit-def: $sgpr10
	s_and_saveexec_b64 s[8:9], s[12:13]
; %bb.2534:
	s_mov_b32 s10, 0x7f800001
	s_xor_b64 s[4:5], exec, -1
; %bb.2535:
	s_or_b64 exec, exec, s[8:9]
	s_and_b64 s[4:5], s[4:5], exec
	s_or_saveexec_b64 s[6:7], s[6:7]
	v_mov_b32_e32 v3, s10
	s_xor_b64 exec, exec, s[6:7]
	s_cbranch_execz .LBB4_486
.LBB4_2536:
	v_mov_b32_e32 v3, 0
	v_cmp_ne_u16_sdwa s[8:9], v5, v3 src0_sel:BYTE_0 src1_sel:DWORD
	s_andn2_b64 s[4:5], s[4:5], exec
	s_and_b64 s[8:9], s[8:9], exec
	s_or_b64 s[4:5], s[4:5], s[8:9]
	s_or_b64 exec, exec, s[6:7]
	s_and_saveexec_b64 s[6:7], s[4:5]
	s_cbranch_execnz .LBB4_487
	s_branch .LBB4_488
.LBB4_2537:
	s_movk_i32 s4, 0x80
	v_cmp_eq_u16_sdwa s[12:13], v3, s4 src0_sel:BYTE_0 src1_sel:DWORD
	s_mov_b64 s[4:5], -1
                                        ; implicit-def: $sgpr10
	s_and_saveexec_b64 s[8:9], s[12:13]
; %bb.2538:
	s_mov_b32 s10, 0x7f800001
	s_xor_b64 s[4:5], exec, -1
; %bb.2539:
	s_or_b64 exec, exec, s[8:9]
	s_and_b64 s[4:5], s[4:5], exec
	s_or_saveexec_b64 s[6:7], s[6:7]
	v_mov_b32_e32 v2, s10
	s_xor_b64 exec, exec, s[6:7]
	s_cbranch_execz .LBB4_490
.LBB4_2540:
	v_mov_b32_e32 v2, 0
	v_cmp_ne_u16_sdwa s[8:9], v3, v2 src0_sel:BYTE_0 src1_sel:DWORD
	s_andn2_b64 s[4:5], s[4:5], exec
	s_and_b64 s[8:9], s[8:9], exec
	s_or_b64 s[4:5], s[4:5], s[8:9]
	s_or_b64 exec, exec, s[6:7]
	s_and_saveexec_b64 s[6:7], s[4:5]
	s_cbranch_execnz .LBB4_491
	s_branch .LBB4_492
.LBB4_2541:
	s_movk_i32 s4, 0x80
	v_cmp_eq_u16_sdwa s[12:13], v3, s4 src0_sel:BYTE_0 src1_sel:DWORD
	s_mov_b64 s[4:5], -1
                                        ; implicit-def: $sgpr10
	s_and_saveexec_b64 s[8:9], s[12:13]
; %bb.2542:
	s_mov_b32 s10, 0x7f800001
	s_xor_b64 s[4:5], exec, -1
; %bb.2543:
	s_or_b64 exec, exec, s[8:9]
	s_and_b64 s[4:5], s[4:5], exec
	s_or_saveexec_b64 s[6:7], s[6:7]
	v_mov_b32_e32 v4, s10
	s_xor_b64 exec, exec, s[6:7]
	s_cbranch_execz .LBB4_494
.LBB4_2544:
	v_mov_b32_e32 v4, 0
	v_cmp_ne_u16_sdwa s[8:9], v3, v4 src0_sel:BYTE_0 src1_sel:DWORD
	s_andn2_b64 s[4:5], s[4:5], exec
	s_and_b64 s[8:9], s[8:9], exec
	s_or_b64 s[4:5], s[4:5], s[8:9]
	s_or_b64 exec, exec, s[6:7]
	s_and_saveexec_b64 s[6:7], s[4:5]
	s_cbranch_execnz .LBB4_495
	s_branch .LBB4_496
.LBB4_2545:
	s_movk_i32 s4, 0x80
	v_cmp_eq_u16_e32 vcc, s4, v3
	s_mov_b64 s[4:5], -1
                                        ; implicit-def: $sgpr10
	s_and_saveexec_b64 s[8:9], vcc
; %bb.2546:
	s_mov_b32 s10, 0x7f800001
	s_xor_b64 s[4:5], exec, -1
; %bb.2547:
	s_or_b64 exec, exec, s[8:9]
	s_and_b64 s[4:5], s[4:5], exec
                                        ; implicit-def: $vgpr3
	s_or_saveexec_b64 s[6:7], s[6:7]
	v_mov_b32_e32 v2, s10
	s_xor_b64 exec, exec, s[6:7]
	s_cbranch_execz .LBB4_498
.LBB4_2548:
	v_cmp_ne_u16_e32 vcc, 0, v3
	s_andn2_b64 s[4:5], s[4:5], exec
	s_and_b64 s[8:9], vcc, exec
	v_mov_b32_e32 v2, 0
	s_or_b64 s[4:5], s[4:5], s[8:9]
	s_or_b64 exec, exec, s[6:7]
	s_and_saveexec_b64 s[6:7], s[4:5]
	s_cbranch_execnz .LBB4_499
	s_branch .LBB4_500
.LBB4_2549:
	s_movk_i32 s4, 0x80
	v_cmp_eq_u16_e32 vcc, s4, v3
	s_mov_b64 s[4:5], -1
                                        ; implicit-def: $sgpr10
	s_and_saveexec_b64 s[8:9], vcc
; %bb.2550:
	s_mov_b32 s10, 0x7f800001
	s_xor_b64 s[4:5], exec, -1
; %bb.2551:
	s_or_b64 exec, exec, s[8:9]
	s_and_b64 s[4:5], s[4:5], exec
                                        ; implicit-def: $vgpr3
	s_or_saveexec_b64 s[6:7], s[6:7]
	v_mov_b32_e32 v4, s10
	s_xor_b64 exec, exec, s[6:7]
	s_cbranch_execz .LBB4_502
.LBB4_2552:
	v_cmp_ne_u16_e32 vcc, 0, v3
	s_andn2_b64 s[4:5], s[4:5], exec
	s_and_b64 s[8:9], vcc, exec
	v_mov_b32_e32 v4, 0
	s_or_b64 s[4:5], s[4:5], s[8:9]
	s_or_b64 exec, exec, s[6:7]
	s_and_saveexec_b64 s[6:7], s[4:5]
	s_cbranch_execnz .LBB4_503
	s_branch .LBB4_504
.LBB4_2553:
	s_movk_i32 s4, 0x80
	v_cmp_eq_u16_sdwa s[12:13], v9, s4 src0_sel:BYTE_3 src1_sel:DWORD
	s_mov_b64 s[4:5], -1
                                        ; implicit-def: $sgpr10
	s_and_saveexec_b64 s[8:9], s[12:13]
; %bb.2554:
	s_mov_b32 s10, 0x7f800001
	s_xor_b64 s[4:5], exec, -1
; %bb.2555:
	s_or_b64 exec, exec, s[8:9]
	s_and_b64 s[4:5], s[4:5], exec
	s_or_saveexec_b64 s[6:7], s[6:7]
	v_mov_b32_e32 v2, s10
	s_xor_b64 exec, exec, s[6:7]
	s_cbranch_execz .LBB4_506
.LBB4_2556:
	v_mov_b32_e32 v2, 0
	v_cmp_ne_u16_sdwa s[8:9], v9, v2 src0_sel:BYTE_3 src1_sel:DWORD
	s_andn2_b64 s[4:5], s[4:5], exec
	s_and_b64 s[8:9], s[8:9], exec
	s_or_b64 s[4:5], s[4:5], s[8:9]
	s_or_b64 exec, exec, s[6:7]
	s_and_saveexec_b64 s[6:7], s[4:5]
	s_cbranch_execnz .LBB4_507
	s_branch .LBB4_508
.LBB4_2557:
	s_movk_i32 s4, 0x80
	v_cmp_eq_u16_sdwa s[12:13], v5, s4 src0_sel:BYTE_3 src1_sel:DWORD
	s_mov_b64 s[4:5], -1
                                        ; implicit-def: $sgpr10
	s_and_saveexec_b64 s[8:9], s[12:13]
; %bb.2558:
	s_mov_b32 s10, 0x7f800001
	s_xor_b64 s[4:5], exec, -1
; %bb.2559:
	s_or_b64 exec, exec, s[8:9]
	s_and_b64 s[4:5], s[4:5], exec
	s_or_saveexec_b64 s[6:7], s[6:7]
	v_mov_b32_e32 v3, s10
	s_xor_b64 exec, exec, s[6:7]
	s_cbranch_execz .LBB4_510
.LBB4_2560:
	v_mov_b32_e32 v3, 0
	v_cmp_ne_u16_sdwa s[8:9], v5, v3 src0_sel:BYTE_3 src1_sel:DWORD
	s_andn2_b64 s[4:5], s[4:5], exec
	s_and_b64 s[8:9], s[8:9], exec
	s_or_b64 s[4:5], s[4:5], s[8:9]
	s_or_b64 exec, exec, s[6:7]
	s_and_saveexec_b64 s[6:7], s[4:5]
	s_cbranch_execnz .LBB4_511
	s_branch .LBB4_512
.LBB4_2561:
	s_movk_i32 s4, 0x80
	v_cmp_eq_u16_sdwa s[12:13], v14, s4 src0_sel:BYTE_0 src1_sel:DWORD
	s_mov_b64 s[4:5], -1
                                        ; implicit-def: $sgpr10
	s_and_saveexec_b64 s[8:9], s[12:13]
; %bb.2562:
	s_mov_b32 s10, 0x7f800001
	s_xor_b64 s[4:5], exec, -1
; %bb.2563:
	s_or_b64 exec, exec, s[8:9]
	s_and_b64 s[4:5], s[4:5], exec
	s_or_saveexec_b64 s[6:7], s[6:7]
	v_mov_b32_e32 v20, s10
	s_xor_b64 exec, exec, s[6:7]
	s_cbranch_execz .LBB4_514
.LBB4_2564:
	v_mov_b32_e32 v20, 0
	v_cmp_ne_u16_sdwa s[8:9], v14, v20 src0_sel:BYTE_0 src1_sel:DWORD
	s_andn2_b64 s[4:5], s[4:5], exec
	s_and_b64 s[8:9], s[8:9], exec
	s_or_b64 s[4:5], s[4:5], s[8:9]
	s_or_b64 exec, exec, s[6:7]
	s_and_saveexec_b64 s[6:7], s[4:5]
	s_cbranch_execnz .LBB4_515
	s_branch .LBB4_516
.LBB4_2565:
	s_movk_i32 s4, 0x80
	v_cmp_eq_u16_sdwa s[12:13], v10, s4 src0_sel:BYTE_0 src1_sel:DWORD
	s_mov_b64 s[4:5], -1
                                        ; implicit-def: $sgpr10
	s_and_saveexec_b64 s[8:9], s[12:13]
; %bb.2566:
	s_mov_b32 s10, 0x7f800001
	s_xor_b64 s[4:5], exec, -1
; %bb.2567:
	s_or_b64 exec, exec, s[8:9]
	s_and_b64 s[4:5], s[4:5], exec
	s_or_saveexec_b64 s[6:7], s[6:7]
	v_mov_b32_e32 v21, s10
	s_xor_b64 exec, exec, s[6:7]
	s_cbranch_execz .LBB4_518
.LBB4_2568:
	v_mov_b32_e32 v21, 0
	v_cmp_ne_u16_sdwa s[8:9], v10, v21 src0_sel:BYTE_0 src1_sel:DWORD
	s_andn2_b64 s[4:5], s[4:5], exec
	s_and_b64 s[8:9], s[8:9], exec
	s_or_b64 s[4:5], s[4:5], s[8:9]
	s_or_b64 exec, exec, s[6:7]
	s_and_saveexec_b64 s[6:7], s[4:5]
	s_cbranch_execnz .LBB4_519
	s_branch .LBB4_520
.LBB4_2569:
	s_movk_i32 s4, 0x80
	v_cmp_eq_u16_sdwa s[12:13], v21, s4 src0_sel:BYTE_0 src1_sel:DWORD
	s_mov_b64 s[4:5], -1
                                        ; implicit-def: $sgpr10
	s_and_saveexec_b64 s[8:9], s[12:13]
; %bb.2570:
	s_mov_b32 s10, 0x7f800001
	s_xor_b64 s[4:5], exec, -1
; %bb.2571:
	s_or_b64 exec, exec, s[8:9]
	s_and_b64 s[4:5], s[4:5], exec
	s_or_saveexec_b64 s[6:7], s[6:7]
	v_mov_b32_e32 v20, s10
	s_xor_b64 exec, exec, s[6:7]
	s_cbranch_execz .LBB4_522
.LBB4_2572:
	v_mov_b32_e32 v20, 0
	v_cmp_ne_u16_sdwa s[8:9], v21, v20 src0_sel:BYTE_0 src1_sel:DWORD
	s_andn2_b64 s[4:5], s[4:5], exec
	s_and_b64 s[8:9], s[8:9], exec
	s_or_b64 s[4:5], s[4:5], s[8:9]
	s_or_b64 exec, exec, s[6:7]
	s_and_saveexec_b64 s[6:7], s[4:5]
	s_cbranch_execnz .LBB4_523
	s_branch .LBB4_524
.LBB4_2573:
	s_movk_i32 s4, 0x80
	v_cmp_eq_u16_sdwa s[12:13], v21, s4 src0_sel:BYTE_0 src1_sel:DWORD
	s_mov_b64 s[4:5], -1
                                        ; implicit-def: $sgpr10
	s_and_saveexec_b64 s[8:9], s[12:13]
; %bb.2574:
	s_mov_b32 s10, 0x7f800001
	s_xor_b64 s[4:5], exec, -1
; %bb.2575:
	s_or_b64 exec, exec, s[8:9]
	s_and_b64 s[4:5], s[4:5], exec
	s_or_saveexec_b64 s[6:7], s[6:7]
	v_mov_b32_e32 v22, s10
	s_xor_b64 exec, exec, s[6:7]
	s_cbranch_execz .LBB4_526
.LBB4_2576:
	v_mov_b32_e32 v22, 0
	v_cmp_ne_u16_sdwa s[8:9], v21, v22 src0_sel:BYTE_0 src1_sel:DWORD
	s_andn2_b64 s[4:5], s[4:5], exec
	s_and_b64 s[8:9], s[8:9], exec
	s_or_b64 s[4:5], s[4:5], s[8:9]
	s_or_b64 exec, exec, s[6:7]
	s_and_saveexec_b64 s[6:7], s[4:5]
	s_cbranch_execnz .LBB4_527
	s_branch .LBB4_528
.LBB4_2577:
	s_movk_i32 s4, 0x80
	v_cmp_eq_u16_e32 vcc, s4, v21
	s_mov_b64 s[4:5], -1
                                        ; implicit-def: $sgpr10
	s_and_saveexec_b64 s[8:9], vcc
; %bb.2578:
	s_mov_b32 s10, 0x7f800001
	s_xor_b64 s[4:5], exec, -1
; %bb.2579:
	s_or_b64 exec, exec, s[8:9]
	s_and_b64 s[4:5], s[4:5], exec
                                        ; implicit-def: $vgpr21
	s_or_saveexec_b64 s[6:7], s[6:7]
	v_mov_b32_e32 v20, s10
	s_xor_b64 exec, exec, s[6:7]
	s_cbranch_execz .LBB4_530
.LBB4_2580:
	v_cmp_ne_u16_e32 vcc, 0, v21
	s_andn2_b64 s[4:5], s[4:5], exec
	s_and_b64 s[8:9], vcc, exec
	v_mov_b32_e32 v20, 0
	s_or_b64 s[4:5], s[4:5], s[8:9]
	s_or_b64 exec, exec, s[6:7]
	s_and_saveexec_b64 s[6:7], s[4:5]
	s_cbranch_execnz .LBB4_531
	s_branch .LBB4_532
.LBB4_2581:
	s_movk_i32 s4, 0x80
	v_cmp_eq_u16_e32 vcc, s4, v21
	s_mov_b64 s[4:5], -1
                                        ; implicit-def: $sgpr10
	s_and_saveexec_b64 s[8:9], vcc
; %bb.2582:
	s_mov_b32 s10, 0x7f800001
	s_xor_b64 s[4:5], exec, -1
; %bb.2583:
	s_or_b64 exec, exec, s[8:9]
	s_and_b64 s[4:5], s[4:5], exec
                                        ; implicit-def: $vgpr21
	s_or_saveexec_b64 s[6:7], s[6:7]
	v_mov_b32_e32 v22, s10
	s_xor_b64 exec, exec, s[6:7]
	s_cbranch_execz .LBB4_534
.LBB4_2584:
	v_cmp_ne_u16_e32 vcc, 0, v21
	s_andn2_b64 s[4:5], s[4:5], exec
	s_and_b64 s[8:9], vcc, exec
	v_mov_b32_e32 v22, 0
	s_or_b64 s[4:5], s[4:5], s[8:9]
	s_or_b64 exec, exec, s[6:7]
	s_and_saveexec_b64 s[6:7], s[4:5]
	s_cbranch_execnz .LBB4_535
	s_branch .LBB4_536
.LBB4_2585:
	s_movk_i32 s4, 0x80
	v_cmp_eq_u16_sdwa s[12:13], v14, s4 src0_sel:BYTE_3 src1_sel:DWORD
	s_mov_b64 s[4:5], -1
                                        ; implicit-def: $sgpr10
	s_and_saveexec_b64 s[8:9], s[12:13]
; %bb.2586:
	s_mov_b32 s10, 0x7f800001
	s_xor_b64 s[4:5], exec, -1
; %bb.2587:
	s_or_b64 exec, exec, s[8:9]
	s_and_b64 s[4:5], s[4:5], exec
	s_or_saveexec_b64 s[6:7], s[6:7]
	v_mov_b32_e32 v20, s10
	s_xor_b64 exec, exec, s[6:7]
	s_cbranch_execz .LBB4_538
.LBB4_2588:
	v_mov_b32_e32 v20, 0
	v_cmp_ne_u16_sdwa s[8:9], v14, v20 src0_sel:BYTE_3 src1_sel:DWORD
	s_andn2_b64 s[4:5], s[4:5], exec
	s_and_b64 s[8:9], s[8:9], exec
	s_or_b64 s[4:5], s[4:5], s[8:9]
	s_or_b64 exec, exec, s[6:7]
	s_and_saveexec_b64 s[6:7], s[4:5]
	s_cbranch_execnz .LBB4_539
	s_branch .LBB4_540
.LBB4_2589:
	s_movk_i32 s4, 0x80
	v_cmp_eq_u16_sdwa s[12:13], v10, s4 src0_sel:BYTE_3 src1_sel:DWORD
	s_mov_b64 s[4:5], -1
                                        ; implicit-def: $sgpr10
	s_and_saveexec_b64 s[8:9], s[12:13]
; %bb.2590:
	s_mov_b32 s10, 0x7f800001
	s_xor_b64 s[4:5], exec, -1
; %bb.2591:
	s_or_b64 exec, exec, s[8:9]
	s_and_b64 s[4:5], s[4:5], exec
	s_or_saveexec_b64 s[6:7], s[6:7]
	v_mov_b32_e32 v14, s10
	s_xor_b64 exec, exec, s[6:7]
	s_cbranch_execz .LBB4_542
.LBB4_2592:
	v_mov_b32_e32 v14, 0
	v_cmp_ne_u16_sdwa s[8:9], v10, v14 src0_sel:BYTE_3 src1_sel:DWORD
	s_andn2_b64 s[4:5], s[4:5], exec
	s_and_b64 s[8:9], s[8:9], exec
	s_or_b64 s[4:5], s[4:5], s[8:9]
	s_or_b64 exec, exec, s[6:7]
	s_and_saveexec_b64 s[6:7], s[4:5]
	s_cbranch_execnz .LBB4_543
	s_branch .LBB4_544
.LBB4_2593:
	s_movk_i32 s4, 0x80
	v_cmp_eq_u16_sdwa s[12:13], v15, s4 src0_sel:BYTE_0 src1_sel:DWORD
	s_mov_b64 s[4:5], -1
                                        ; implicit-def: $sgpr10
	s_and_saveexec_b64 s[8:9], s[12:13]
; %bb.2594:
	s_mov_b32 s10, 0x7f800001
	s_xor_b64 s[4:5], exec, -1
; %bb.2595:
	s_or_b64 exec, exec, s[8:9]
	s_and_b64 s[4:5], s[4:5], exec
	s_or_saveexec_b64 s[6:7], s[6:7]
	v_mov_b32_e32 v10, s10
	s_xor_b64 exec, exec, s[6:7]
	s_cbranch_execz .LBB4_546
.LBB4_2596:
	v_mov_b32_e32 v10, 0
	v_cmp_ne_u16_sdwa s[8:9], v15, v10 src0_sel:BYTE_0 src1_sel:DWORD
	s_andn2_b64 s[4:5], s[4:5], exec
	s_and_b64 s[8:9], s[8:9], exec
	s_or_b64 s[4:5], s[4:5], s[8:9]
	s_or_b64 exec, exec, s[6:7]
	s_and_saveexec_b64 s[6:7], s[4:5]
	s_cbranch_execnz .LBB4_547
	s_branch .LBB4_548
.LBB4_2597:
	s_movk_i32 s4, 0x80
	v_cmp_eq_u16_sdwa s[12:13], v11, s4 src0_sel:BYTE_0 src1_sel:DWORD
	s_mov_b64 s[4:5], -1
                                        ; implicit-def: $sgpr10
	s_and_saveexec_b64 s[8:9], s[12:13]
; %bb.2598:
	s_mov_b32 s10, 0x7f800001
	s_xor_b64 s[4:5], exec, -1
; %bb.2599:
	s_or_b64 exec, exec, s[8:9]
	s_and_b64 s[4:5], s[4:5], exec
	s_or_saveexec_b64 s[6:7], s[6:7]
	v_mov_b32_e32 v14, s10
	s_xor_b64 exec, exec, s[6:7]
	s_cbranch_execz .LBB4_550
.LBB4_2600:
	v_mov_b32_e32 v14, 0
	v_cmp_ne_u16_sdwa s[8:9], v11, v14 src0_sel:BYTE_0 src1_sel:DWORD
	s_andn2_b64 s[4:5], s[4:5], exec
	s_and_b64 s[8:9], s[8:9], exec
	s_or_b64 s[4:5], s[4:5], s[8:9]
	s_or_b64 exec, exec, s[6:7]
	s_and_saveexec_b64 s[6:7], s[4:5]
	s_cbranch_execnz .LBB4_551
	s_branch .LBB4_552
.LBB4_2601:
	s_movk_i32 s4, 0x80
	v_cmp_eq_u16_sdwa s[12:13], v14, s4 src0_sel:BYTE_0 src1_sel:DWORD
	s_mov_b64 s[4:5], -1
                                        ; implicit-def: $sgpr10
	s_and_saveexec_b64 s[8:9], s[12:13]
; %bb.2602:
	s_mov_b32 s10, 0x7f800001
	s_xor_b64 s[4:5], exec, -1
; %bb.2603:
	s_or_b64 exec, exec, s[8:9]
	s_and_b64 s[4:5], s[4:5], exec
	s_or_saveexec_b64 s[6:7], s[6:7]
	v_mov_b32_e32 v10, s10
	s_xor_b64 exec, exec, s[6:7]
	s_cbranch_execz .LBB4_554
.LBB4_2604:
	v_mov_b32_e32 v10, 0
	v_cmp_ne_u16_sdwa s[8:9], v14, v10 src0_sel:BYTE_0 src1_sel:DWORD
	s_andn2_b64 s[4:5], s[4:5], exec
	s_and_b64 s[8:9], s[8:9], exec
	s_or_b64 s[4:5], s[4:5], s[8:9]
	s_or_b64 exec, exec, s[6:7]
	s_and_saveexec_b64 s[6:7], s[4:5]
	s_cbranch_execnz .LBB4_555
	s_branch .LBB4_556
.LBB4_2605:
	s_movk_i32 s4, 0x80
	v_cmp_eq_u16_sdwa s[12:13], v14, s4 src0_sel:BYTE_0 src1_sel:DWORD
	s_mov_b64 s[4:5], -1
                                        ; implicit-def: $sgpr10
	s_and_saveexec_b64 s[8:9], s[12:13]
; %bb.2606:
	s_mov_b32 s10, 0x7f800001
	s_xor_b64 s[4:5], exec, -1
; %bb.2607:
	s_or_b64 exec, exec, s[8:9]
	s_and_b64 s[4:5], s[4:5], exec
	s_or_saveexec_b64 s[6:7], s[6:7]
	v_mov_b32_e32 v20, s10
	s_xor_b64 exec, exec, s[6:7]
	s_cbranch_execz .LBB4_558
.LBB4_2608:
	v_mov_b32_e32 v20, 0
	v_cmp_ne_u16_sdwa s[8:9], v14, v20 src0_sel:BYTE_0 src1_sel:DWORD
	s_andn2_b64 s[4:5], s[4:5], exec
	s_and_b64 s[8:9], s[8:9], exec
	s_or_b64 s[4:5], s[4:5], s[8:9]
	s_or_b64 exec, exec, s[6:7]
	s_and_saveexec_b64 s[6:7], s[4:5]
	s_cbranch_execnz .LBB4_559
	s_branch .LBB4_560
.LBB4_2609:
	s_movk_i32 s4, 0x80
	v_cmp_eq_u16_e32 vcc, s4, v14
	s_mov_b64 s[4:5], -1
                                        ; implicit-def: $sgpr10
	s_and_saveexec_b64 s[8:9], vcc
; %bb.2610:
	s_mov_b32 s10, 0x7f800001
	s_xor_b64 s[4:5], exec, -1
; %bb.2611:
	s_or_b64 exec, exec, s[8:9]
	s_and_b64 s[4:5], s[4:5], exec
                                        ; implicit-def: $vgpr14
	s_or_saveexec_b64 s[6:7], s[6:7]
	v_mov_b32_e32 v10, s10
	s_xor_b64 exec, exec, s[6:7]
	s_cbranch_execz .LBB4_562
.LBB4_2612:
	v_cmp_ne_u16_e32 vcc, 0, v14
	s_andn2_b64 s[4:5], s[4:5], exec
	s_and_b64 s[8:9], vcc, exec
	v_mov_b32_e32 v10, 0
	s_or_b64 s[4:5], s[4:5], s[8:9]
	s_or_b64 exec, exec, s[6:7]
	s_and_saveexec_b64 s[6:7], s[4:5]
	s_cbranch_execnz .LBB4_563
	s_branch .LBB4_564
.LBB4_2613:
	s_movk_i32 s4, 0x80
	v_cmp_eq_u16_e32 vcc, s4, v14
	s_mov_b64 s[4:5], -1
                                        ; implicit-def: $sgpr10
	s_and_saveexec_b64 s[8:9], vcc
; %bb.2614:
	s_mov_b32 s10, 0x7f800001
	s_xor_b64 s[4:5], exec, -1
; %bb.2615:
	s_or_b64 exec, exec, s[8:9]
	s_and_b64 s[4:5], s[4:5], exec
                                        ; implicit-def: $vgpr14
	s_or_saveexec_b64 s[6:7], s[6:7]
	v_mov_b32_e32 v20, s10
	s_xor_b64 exec, exec, s[6:7]
	s_cbranch_execz .LBB4_566
.LBB4_2616:
	v_cmp_ne_u16_e32 vcc, 0, v14
	s_andn2_b64 s[4:5], s[4:5], exec
	s_and_b64 s[8:9], vcc, exec
	v_mov_b32_e32 v20, 0
	s_or_b64 s[4:5], s[4:5], s[8:9]
	s_or_b64 exec, exec, s[6:7]
	s_and_saveexec_b64 s[6:7], s[4:5]
	s_cbranch_execnz .LBB4_567
	s_branch .LBB4_568
.LBB4_2617:
	s_movk_i32 s4, 0x80
	v_cmp_eq_u16_sdwa s[12:13], v15, s4 src0_sel:BYTE_3 src1_sel:DWORD
	s_mov_b64 s[4:5], -1
                                        ; implicit-def: $sgpr10
	s_and_saveexec_b64 s[8:9], s[12:13]
; %bb.2618:
	s_mov_b32 s10, 0x7f800001
	s_xor_b64 s[4:5], exec, -1
; %bb.2619:
	s_or_b64 exec, exec, s[8:9]
	s_and_b64 s[4:5], s[4:5], exec
	s_or_saveexec_b64 s[6:7], s[6:7]
	v_mov_b32_e32 v10, s10
	s_xor_b64 exec, exec, s[6:7]
	s_cbranch_execz .LBB4_570
.LBB4_2620:
	v_mov_b32_e32 v10, 0
	v_cmp_ne_u16_sdwa s[8:9], v15, v10 src0_sel:BYTE_3 src1_sel:DWORD
	s_andn2_b64 s[4:5], s[4:5], exec
	s_and_b64 s[8:9], s[8:9], exec
	s_or_b64 s[4:5], s[4:5], s[8:9]
	s_or_b64 exec, exec, s[6:7]
	s_and_saveexec_b64 s[6:7], s[4:5]
	s_cbranch_execnz .LBB4_571
	s_branch .LBB4_572
.LBB4_2621:
	s_movk_i32 s4, 0x80
	v_cmp_eq_u16_sdwa s[12:13], v11, s4 src0_sel:BYTE_3 src1_sel:DWORD
	s_mov_b64 s[4:5], -1
                                        ; implicit-def: $sgpr10
	s_and_saveexec_b64 s[8:9], s[12:13]
; %bb.2622:
	s_mov_b32 s10, 0x7f800001
	s_xor_b64 s[4:5], exec, -1
; %bb.2623:
	s_or_b64 exec, exec, s[8:9]
	s_and_b64 s[4:5], s[4:5], exec
	s_or_saveexec_b64 s[6:7], s[6:7]
	v_mov_b32_e32 v14, s10
	s_xor_b64 exec, exec, s[6:7]
	s_cbranch_execz .LBB4_574
.LBB4_2624:
	v_mov_b32_e32 v14, 0
	v_cmp_ne_u16_sdwa s[8:9], v11, v14 src0_sel:BYTE_3 src1_sel:DWORD
	s_andn2_b64 s[4:5], s[4:5], exec
	s_and_b64 s[8:9], s[8:9], exec
	s_or_b64 s[4:5], s[4:5], s[8:9]
	s_or_b64 exec, exec, s[6:7]
	s_and_saveexec_b64 s[6:7], s[4:5]
	s_cbranch_execnz .LBB4_575
	s_branch .LBB4_576
.LBB4_2625:
	s_movk_i32 s4, 0x80
	v_cmp_eq_u16_sdwa s[12:13], v16, s4 src0_sel:BYTE_0 src1_sel:DWORD
	s_mov_b64 s[4:5], -1
                                        ; implicit-def: $sgpr10
	s_and_saveexec_b64 s[8:9], s[12:13]
; %bb.2626:
	s_mov_b32 s10, 0x7f800001
	s_xor_b64 s[4:5], exec, -1
; %bb.2627:
	s_or_b64 exec, exec, s[8:9]
	s_and_b64 s[4:5], s[4:5], exec
	s_or_saveexec_b64 s[6:7], s[6:7]
	v_mov_b32_e32 v10, s10
	s_xor_b64 exec, exec, s[6:7]
	s_cbranch_execz .LBB4_578
.LBB4_2628:
	v_mov_b32_e32 v10, 0
	v_cmp_ne_u16_sdwa s[8:9], v16, v10 src0_sel:BYTE_0 src1_sel:DWORD
	s_andn2_b64 s[4:5], s[4:5], exec
	s_and_b64 s[8:9], s[8:9], exec
	s_or_b64 s[4:5], s[4:5], s[8:9]
	s_or_b64 exec, exec, s[6:7]
	s_and_saveexec_b64 s[6:7], s[4:5]
	s_cbranch_execnz .LBB4_579
	s_branch .LBB4_580
.LBB4_2629:
	s_movk_i32 s4, 0x80
	v_cmp_eq_u16_sdwa s[12:13], v12, s4 src0_sel:BYTE_0 src1_sel:DWORD
	s_mov_b64 s[4:5], -1
                                        ; implicit-def: $sgpr10
	s_and_saveexec_b64 s[8:9], s[12:13]
; %bb.2630:
	s_mov_b32 s10, 0x7f800001
	s_xor_b64 s[4:5], exec, -1
; %bb.2631:
	s_or_b64 exec, exec, s[8:9]
	s_and_b64 s[4:5], s[4:5], exec
	s_or_saveexec_b64 s[6:7], s[6:7]
	v_mov_b32_e32 v11, s10
	s_xor_b64 exec, exec, s[6:7]
	s_cbranch_execz .LBB4_582
.LBB4_2632:
	v_mov_b32_e32 v11, 0
	v_cmp_ne_u16_sdwa s[8:9], v12, v11 src0_sel:BYTE_0 src1_sel:DWORD
	s_andn2_b64 s[4:5], s[4:5], exec
	s_and_b64 s[8:9], s[8:9], exec
	s_or_b64 s[4:5], s[4:5], s[8:9]
	s_or_b64 exec, exec, s[6:7]
	s_and_saveexec_b64 s[6:7], s[4:5]
	s_cbranch_execnz .LBB4_583
	s_branch .LBB4_584
.LBB4_2633:
	s_movk_i32 s4, 0x80
	v_cmp_eq_u16_sdwa s[12:13], v11, s4 src0_sel:BYTE_0 src1_sel:DWORD
	s_mov_b64 s[4:5], -1
                                        ; implicit-def: $sgpr10
	s_and_saveexec_b64 s[8:9], s[12:13]
; %bb.2634:
	s_mov_b32 s10, 0x7f800001
	s_xor_b64 s[4:5], exec, -1
; %bb.2635:
	s_or_b64 exec, exec, s[8:9]
	s_and_b64 s[4:5], s[4:5], exec
	s_or_saveexec_b64 s[6:7], s[6:7]
	v_mov_b32_e32 v10, s10
	s_xor_b64 exec, exec, s[6:7]
	s_cbranch_execz .LBB4_586
.LBB4_2636:
	v_mov_b32_e32 v10, 0
	v_cmp_ne_u16_sdwa s[8:9], v11, v10 src0_sel:BYTE_0 src1_sel:DWORD
	s_andn2_b64 s[4:5], s[4:5], exec
	s_and_b64 s[8:9], s[8:9], exec
	s_or_b64 s[4:5], s[4:5], s[8:9]
	s_or_b64 exec, exec, s[6:7]
	s_and_saveexec_b64 s[6:7], s[4:5]
	s_cbranch_execnz .LBB4_587
	s_branch .LBB4_588
.LBB4_2637:
	s_movk_i32 s4, 0x80
	v_cmp_eq_u16_sdwa s[12:13], v11, s4 src0_sel:BYTE_0 src1_sel:DWORD
	s_mov_b64 s[4:5], -1
                                        ; implicit-def: $sgpr10
	s_and_saveexec_b64 s[8:9], s[12:13]
; %bb.2638:
	s_mov_b32 s10, 0x7f800001
	s_xor_b64 s[4:5], exec, -1
; %bb.2639:
	s_or_b64 exec, exec, s[8:9]
	s_and_b64 s[4:5], s[4:5], exec
	s_or_saveexec_b64 s[6:7], s[6:7]
	v_mov_b32_e32 v14, s10
	s_xor_b64 exec, exec, s[6:7]
	s_cbranch_execz .LBB4_590
.LBB4_2640:
	v_mov_b32_e32 v14, 0
	v_cmp_ne_u16_sdwa s[8:9], v11, v14 src0_sel:BYTE_0 src1_sel:DWORD
	s_andn2_b64 s[4:5], s[4:5], exec
	s_and_b64 s[8:9], s[8:9], exec
	s_or_b64 s[4:5], s[4:5], s[8:9]
	s_or_b64 exec, exec, s[6:7]
	s_and_saveexec_b64 s[6:7], s[4:5]
	s_cbranch_execnz .LBB4_591
	s_branch .LBB4_592
.LBB4_2641:
	s_movk_i32 s4, 0x80
	v_cmp_eq_u16_e32 vcc, s4, v11
	s_mov_b64 s[4:5], -1
                                        ; implicit-def: $sgpr10
	s_and_saveexec_b64 s[8:9], vcc
; %bb.2642:
	s_mov_b32 s10, 0x7f800001
	s_xor_b64 s[4:5], exec, -1
; %bb.2643:
	s_or_b64 exec, exec, s[8:9]
	s_and_b64 s[4:5], s[4:5], exec
                                        ; implicit-def: $vgpr11
	s_or_saveexec_b64 s[6:7], s[6:7]
	v_mov_b32_e32 v10, s10
	s_xor_b64 exec, exec, s[6:7]
	s_cbranch_execz .LBB4_594
.LBB4_2644:
	v_cmp_ne_u16_e32 vcc, 0, v11
	s_andn2_b64 s[4:5], s[4:5], exec
	s_and_b64 s[8:9], vcc, exec
	v_mov_b32_e32 v10, 0
	s_or_b64 s[4:5], s[4:5], s[8:9]
	s_or_b64 exec, exec, s[6:7]
	s_and_saveexec_b64 s[6:7], s[4:5]
	s_cbranch_execnz .LBB4_595
	s_branch .LBB4_596
.LBB4_2645:
	s_movk_i32 s4, 0x80
	v_cmp_eq_u16_e32 vcc, s4, v11
	s_mov_b64 s[4:5], -1
                                        ; implicit-def: $sgpr10
	s_and_saveexec_b64 s[8:9], vcc
; %bb.2646:
	s_mov_b32 s10, 0x7f800001
	s_xor_b64 s[4:5], exec, -1
; %bb.2647:
	s_or_b64 exec, exec, s[8:9]
	s_and_b64 s[4:5], s[4:5], exec
                                        ; implicit-def: $vgpr11
	s_or_saveexec_b64 s[6:7], s[6:7]
	v_mov_b32_e32 v14, s10
	s_xor_b64 exec, exec, s[6:7]
	s_cbranch_execz .LBB4_598
.LBB4_2648:
	v_cmp_ne_u16_e32 vcc, 0, v11
	s_andn2_b64 s[4:5], s[4:5], exec
	s_and_b64 s[8:9], vcc, exec
	v_mov_b32_e32 v14, 0
	s_or_b64 s[4:5], s[4:5], s[8:9]
	s_or_b64 exec, exec, s[6:7]
	s_and_saveexec_b64 s[6:7], s[4:5]
	s_cbranch_execnz .LBB4_599
	s_branch .LBB4_600
.LBB4_2649:
	s_movk_i32 s4, 0x80
	v_cmp_eq_u16_sdwa s[12:13], v16, s4 src0_sel:BYTE_3 src1_sel:DWORD
	s_mov_b64 s[4:5], -1
                                        ; implicit-def: $sgpr10
	s_and_saveexec_b64 s[8:9], s[12:13]
; %bb.2650:
	s_mov_b32 s10, 0x7f800001
	s_xor_b64 s[4:5], exec, -1
; %bb.2651:
	s_or_b64 exec, exec, s[8:9]
	s_and_b64 s[4:5], s[4:5], exec
	s_or_saveexec_b64 s[6:7], s[6:7]
	v_mov_b32_e32 v10, s10
	s_xor_b64 exec, exec, s[6:7]
	s_cbranch_execz .LBB4_602
.LBB4_2652:
	v_mov_b32_e32 v10, 0
	v_cmp_ne_u16_sdwa s[8:9], v16, v10 src0_sel:BYTE_3 src1_sel:DWORD
	s_andn2_b64 s[4:5], s[4:5], exec
	s_and_b64 s[8:9], s[8:9], exec
	s_or_b64 s[4:5], s[4:5], s[8:9]
	s_or_b64 exec, exec, s[6:7]
	s_and_saveexec_b64 s[6:7], s[4:5]
	s_cbranch_execnz .LBB4_603
	s_branch .LBB4_604
.LBB4_2653:
	s_movk_i32 s4, 0x80
	v_cmp_eq_u16_sdwa s[12:13], v12, s4 src0_sel:BYTE_3 src1_sel:DWORD
	s_mov_b64 s[4:5], -1
                                        ; implicit-def: $sgpr10
	s_and_saveexec_b64 s[8:9], s[12:13]
; %bb.2654:
	s_mov_b32 s10, 0x7f800001
	s_xor_b64 s[4:5], exec, -1
; %bb.2655:
	s_or_b64 exec, exec, s[8:9]
	s_and_b64 s[4:5], s[4:5], exec
	s_or_saveexec_b64 s[6:7], s[6:7]
	v_mov_b32_e32 v11, s10
	s_xor_b64 exec, exec, s[6:7]
	s_cbranch_execz .LBB4_606
.LBB4_2656:
	v_mov_b32_e32 v11, 0
	v_cmp_ne_u16_sdwa s[8:9], v12, v11 src0_sel:BYTE_3 src1_sel:DWORD
	s_andn2_b64 s[4:5], s[4:5], exec
	s_and_b64 s[8:9], s[8:9], exec
	s_or_b64 s[4:5], s[4:5], s[8:9]
	s_or_b64 exec, exec, s[6:7]
	s_and_saveexec_b64 s[6:7], s[4:5]
	s_cbranch_execnz .LBB4_607
	s_branch .LBB4_608
.LBB4_2657:
	s_movk_i32 s4, 0x80
	v_cmp_eq_u16_sdwa s[12:13], v17, s4 src0_sel:BYTE_0 src1_sel:DWORD
	s_mov_b64 s[4:5], -1
                                        ; implicit-def: $sgpr10
	s_and_saveexec_b64 s[8:9], s[12:13]
; %bb.2658:
	s_mov_b32 s10, 0x7f800001
	s_xor_b64 s[4:5], exec, -1
; %bb.2659:
	s_or_b64 exec, exec, s[8:9]
	s_and_b64 s[4:5], s[4:5], exec
	s_or_saveexec_b64 s[6:7], s[6:7]
	v_mov_b32_e32 v10, s10
	s_xor_b64 exec, exec, s[6:7]
	s_cbranch_execz .LBB4_610
.LBB4_2660:
	v_mov_b32_e32 v10, 0
	v_cmp_ne_u16_sdwa s[8:9], v17, v10 src0_sel:BYTE_0 src1_sel:DWORD
	s_andn2_b64 s[4:5], s[4:5], exec
	s_and_b64 s[8:9], s[8:9], exec
	s_or_b64 s[4:5], s[4:5], s[8:9]
	s_or_b64 exec, exec, s[6:7]
	s_and_saveexec_b64 s[6:7], s[4:5]
	s_cbranch_execnz .LBB4_611
	s_branch .LBB4_612
.LBB4_2661:
	s_movk_i32 s4, 0x80
	v_cmp_eq_u16_sdwa s[12:13], v13, s4 src0_sel:BYTE_0 src1_sel:DWORD
	s_mov_b64 s[4:5], -1
                                        ; implicit-def: $sgpr10
	s_and_saveexec_b64 s[8:9], s[12:13]
; %bb.2662:
	s_mov_b32 s10, 0x7f800001
	s_xor_b64 s[4:5], exec, -1
; %bb.2663:
	s_or_b64 exec, exec, s[8:9]
	s_and_b64 s[4:5], s[4:5], exec
	s_or_saveexec_b64 s[6:7], s[6:7]
	v_mov_b32_e32 v11, s10
	s_xor_b64 exec, exec, s[6:7]
	s_cbranch_execz .LBB4_614
.LBB4_2664:
	v_mov_b32_e32 v11, 0
	v_cmp_ne_u16_sdwa s[8:9], v13, v11 src0_sel:BYTE_0 src1_sel:DWORD
	s_andn2_b64 s[4:5], s[4:5], exec
	s_and_b64 s[8:9], s[8:9], exec
	s_or_b64 s[4:5], s[4:5], s[8:9]
	s_or_b64 exec, exec, s[6:7]
	s_and_saveexec_b64 s[6:7], s[4:5]
	s_cbranch_execnz .LBB4_615
	s_branch .LBB4_616
.LBB4_2665:
	s_movk_i32 s4, 0x80
	v_cmp_eq_u16_sdwa s[12:13], v11, s4 src0_sel:BYTE_0 src1_sel:DWORD
	s_mov_b64 s[4:5], -1
                                        ; implicit-def: $sgpr10
	s_and_saveexec_b64 s[8:9], s[12:13]
; %bb.2666:
	s_mov_b32 s10, 0x7f800001
	s_xor_b64 s[4:5], exec, -1
; %bb.2667:
	s_or_b64 exec, exec, s[8:9]
	s_and_b64 s[4:5], s[4:5], exec
	s_or_saveexec_b64 s[6:7], s[6:7]
	v_mov_b32_e32 v10, s10
	s_xor_b64 exec, exec, s[6:7]
	s_cbranch_execz .LBB4_618
.LBB4_2668:
	v_mov_b32_e32 v10, 0
	v_cmp_ne_u16_sdwa s[8:9], v11, v10 src0_sel:BYTE_0 src1_sel:DWORD
	s_andn2_b64 s[4:5], s[4:5], exec
	s_and_b64 s[8:9], s[8:9], exec
	s_or_b64 s[4:5], s[4:5], s[8:9]
	s_or_b64 exec, exec, s[6:7]
	s_and_saveexec_b64 s[6:7], s[4:5]
	s_cbranch_execnz .LBB4_619
	s_branch .LBB4_620
.LBB4_2669:
	s_movk_i32 s4, 0x80
	v_cmp_eq_u16_sdwa s[12:13], v11, s4 src0_sel:BYTE_0 src1_sel:DWORD
	s_mov_b64 s[4:5], -1
                                        ; implicit-def: $sgpr10
	s_and_saveexec_b64 s[8:9], s[12:13]
; %bb.2670:
	s_mov_b32 s10, 0x7f800001
	s_xor_b64 s[4:5], exec, -1
; %bb.2671:
	s_or_b64 exec, exec, s[8:9]
	s_and_b64 s[4:5], s[4:5], exec
	s_or_saveexec_b64 s[6:7], s[6:7]
	v_mov_b32_e32 v12, s10
	s_xor_b64 exec, exec, s[6:7]
	s_cbranch_execz .LBB4_622
.LBB4_2672:
	v_mov_b32_e32 v12, 0
	v_cmp_ne_u16_sdwa s[8:9], v11, v12 src0_sel:BYTE_0 src1_sel:DWORD
	s_andn2_b64 s[4:5], s[4:5], exec
	s_and_b64 s[8:9], s[8:9], exec
	s_or_b64 s[4:5], s[4:5], s[8:9]
	s_or_b64 exec, exec, s[6:7]
	s_and_saveexec_b64 s[6:7], s[4:5]
	s_cbranch_execnz .LBB4_623
	s_branch .LBB4_624
.LBB4_2673:
	s_movk_i32 s4, 0x80
	v_cmp_eq_u16_e32 vcc, s4, v11
	s_mov_b64 s[4:5], -1
                                        ; implicit-def: $sgpr10
	s_and_saveexec_b64 s[8:9], vcc
; %bb.2674:
	s_mov_b32 s10, 0x7f800001
	s_xor_b64 s[4:5], exec, -1
; %bb.2675:
	s_or_b64 exec, exec, s[8:9]
	s_and_b64 s[4:5], s[4:5], exec
                                        ; implicit-def: $vgpr11
	s_or_saveexec_b64 s[6:7], s[6:7]
	v_mov_b32_e32 v10, s10
	s_xor_b64 exec, exec, s[6:7]
	s_cbranch_execz .LBB4_626
.LBB4_2676:
	v_cmp_ne_u16_e32 vcc, 0, v11
	s_andn2_b64 s[4:5], s[4:5], exec
	s_and_b64 s[8:9], vcc, exec
	v_mov_b32_e32 v10, 0
	s_or_b64 s[4:5], s[4:5], s[8:9]
	s_or_b64 exec, exec, s[6:7]
	s_and_saveexec_b64 s[6:7], s[4:5]
	s_cbranch_execnz .LBB4_627
	s_branch .LBB4_628
.LBB4_2677:
	s_movk_i32 s4, 0x80
	v_cmp_eq_u16_e32 vcc, s4, v11
	s_mov_b64 s[4:5], -1
                                        ; implicit-def: $sgpr10
	s_and_saveexec_b64 s[8:9], vcc
; %bb.2678:
	s_mov_b32 s10, 0x7f800001
	s_xor_b64 s[4:5], exec, -1
; %bb.2679:
	s_or_b64 exec, exec, s[8:9]
	s_and_b64 s[4:5], s[4:5], exec
                                        ; implicit-def: $vgpr11
	s_or_saveexec_b64 s[6:7], s[6:7]
	v_mov_b32_e32 v12, s10
	s_xor_b64 exec, exec, s[6:7]
	s_cbranch_execz .LBB4_630
.LBB4_2680:
	v_cmp_ne_u16_e32 vcc, 0, v11
	s_andn2_b64 s[4:5], s[4:5], exec
	s_and_b64 s[8:9], vcc, exec
	v_mov_b32_e32 v12, 0
	s_or_b64 s[4:5], s[4:5], s[8:9]
	s_or_b64 exec, exec, s[6:7]
	s_and_saveexec_b64 s[6:7], s[4:5]
	s_cbranch_execnz .LBB4_631
	s_branch .LBB4_632
.LBB4_2681:
	s_movk_i32 s4, 0x80
	v_cmp_eq_u16_sdwa s[12:13], v17, s4 src0_sel:BYTE_3 src1_sel:DWORD
	s_mov_b64 s[4:5], -1
                                        ; implicit-def: $sgpr10
	s_and_saveexec_b64 s[8:9], s[12:13]
; %bb.2682:
	s_mov_b32 s10, 0x7f800001
	s_xor_b64 s[4:5], exec, -1
; %bb.2683:
	s_or_b64 exec, exec, s[8:9]
	s_and_b64 s[4:5], s[4:5], exec
	s_or_saveexec_b64 s[6:7], s[6:7]
	v_mov_b32_e32 v10, s10
	s_xor_b64 exec, exec, s[6:7]
	s_cbranch_execz .LBB4_634
.LBB4_2684:
	v_mov_b32_e32 v10, 0
	v_cmp_ne_u16_sdwa s[8:9], v17, v10 src0_sel:BYTE_3 src1_sel:DWORD
	s_andn2_b64 s[4:5], s[4:5], exec
	s_and_b64 s[8:9], s[8:9], exec
	s_or_b64 s[4:5], s[4:5], s[8:9]
	s_or_b64 exec, exec, s[6:7]
	s_and_saveexec_b64 s[6:7], s[4:5]
	s_cbranch_execnz .LBB4_635
	s_branch .LBB4_636
.LBB4_2685:
	s_movk_i32 s4, 0x80
	v_cmp_eq_u16_sdwa s[12:13], v13, s4 src0_sel:BYTE_3 src1_sel:DWORD
	s_mov_b64 s[4:5], -1
                                        ; implicit-def: $sgpr10
	s_and_saveexec_b64 s[8:9], s[12:13]
; %bb.2686:
	s_mov_b32 s10, 0x7f800001
	s_xor_b64 s[4:5], exec, -1
; %bb.2687:
	s_or_b64 exec, exec, s[8:9]
	s_and_b64 s[4:5], s[4:5], exec
	s_or_saveexec_b64 s[6:7], s[6:7]
	v_mov_b32_e32 v11, s10
	s_xor_b64 exec, exec, s[6:7]
	s_cbranch_execz .LBB4_638
.LBB4_2688:
	v_mov_b32_e32 v11, 0
	v_cmp_ne_u16_sdwa s[8:9], v13, v11 src0_sel:BYTE_3 src1_sel:DWORD
	s_andn2_b64 s[4:5], s[4:5], exec
	s_and_b64 s[8:9], s[8:9], exec
	s_or_b64 s[4:5], s[4:5], s[8:9]
	s_or_b64 exec, exec, s[6:7]
	s_and_saveexec_b64 s[6:7], s[4:5]
	s_cbranch_execnz .LBB4_639
	s_branch .LBB4_640
.LBB4_2689:
	s_movk_i32 s4, 0x80
	v_cmp_eq_u16_sdwa s[12:13], v6, s4 src0_sel:BYTE_0 src1_sel:DWORD
	s_mov_b64 s[4:5], -1
                                        ; implicit-def: $sgpr10
	s_and_saveexec_b64 s[8:9], s[12:13]
; %bb.2690:
	s_mov_b32 s10, 0x7f800001
	s_xor_b64 s[4:5], exec, -1
; %bb.2691:
	s_or_b64 exec, exec, s[8:9]
	s_and_b64 s[4:5], s[4:5], exec
	s_or_saveexec_b64 s[6:7], s[6:7]
	v_mov_b32_e32 v10, s10
	s_xor_b64 exec, exec, s[6:7]
	s_cbranch_execz .LBB4_642
.LBB4_2692:
	v_mov_b32_e32 v10, 0
	v_cmp_ne_u16_sdwa s[8:9], v6, v10 src0_sel:BYTE_0 src1_sel:DWORD
	s_andn2_b64 s[4:5], s[4:5], exec
	s_and_b64 s[8:9], s[8:9], exec
	s_or_b64 s[4:5], s[4:5], s[8:9]
	s_or_b64 exec, exec, s[6:7]
	s_and_saveexec_b64 s[6:7], s[4:5]
	s_cbranch_execnz .LBB4_643
	s_branch .LBB4_644
.LBB4_2693:
	s_movk_i32 s4, 0x80
	v_cmp_eq_u16_sdwa s[12:13], v2, s4 src0_sel:BYTE_0 src1_sel:DWORD
	s_mov_b64 s[4:5], -1
                                        ; implicit-def: $sgpr10
	s_and_saveexec_b64 s[8:9], s[12:13]
; %bb.2694:
	s_mov_b32 s10, 0x7f800001
	s_xor_b64 s[4:5], exec, -1
; %bb.2695:
	s_or_b64 exec, exec, s[8:9]
	s_and_b64 s[4:5], s[4:5], exec
	s_or_saveexec_b64 s[6:7], s[6:7]
	v_mov_b32_e32 v11, s10
	s_xor_b64 exec, exec, s[6:7]
	s_cbranch_execz .LBB4_646
.LBB4_2696:
	v_mov_b32_e32 v11, 0
	v_cmp_ne_u16_sdwa s[8:9], v2, v11 src0_sel:BYTE_0 src1_sel:DWORD
	s_andn2_b64 s[4:5], s[4:5], exec
	s_and_b64 s[8:9], s[8:9], exec
	s_or_b64 s[4:5], s[4:5], s[8:9]
	s_or_b64 exec, exec, s[6:7]
	s_and_saveexec_b64 s[6:7], s[4:5]
	s_cbranch_execnz .LBB4_647
	s_branch .LBB4_648
.LBB4_2697:
	s_movk_i32 s4, 0x80
	v_cmp_eq_u16_sdwa s[12:13], v11, s4 src0_sel:BYTE_0 src1_sel:DWORD
	s_mov_b64 s[4:5], -1
                                        ; implicit-def: $sgpr10
	s_and_saveexec_b64 s[8:9], s[12:13]
; %bb.2698:
	s_mov_b32 s10, 0x7f800001
	s_xor_b64 s[4:5], exec, -1
; %bb.2699:
	s_or_b64 exec, exec, s[8:9]
	s_and_b64 s[4:5], s[4:5], exec
	s_or_saveexec_b64 s[6:7], s[6:7]
	v_mov_b32_e32 v10, s10
	s_xor_b64 exec, exec, s[6:7]
	s_cbranch_execz .LBB4_650
.LBB4_2700:
	v_mov_b32_e32 v10, 0
	v_cmp_ne_u16_sdwa s[8:9], v11, v10 src0_sel:BYTE_0 src1_sel:DWORD
	s_andn2_b64 s[4:5], s[4:5], exec
	s_and_b64 s[8:9], s[8:9], exec
	s_or_b64 s[4:5], s[4:5], s[8:9]
	s_or_b64 exec, exec, s[6:7]
	s_and_saveexec_b64 s[6:7], s[4:5]
	s_cbranch_execnz .LBB4_651
	s_branch .LBB4_652
.LBB4_2701:
	s_movk_i32 s4, 0x80
	v_cmp_eq_u16_sdwa s[12:13], v11, s4 src0_sel:BYTE_0 src1_sel:DWORD
	s_mov_b64 s[4:5], -1
                                        ; implicit-def: $sgpr10
	s_and_saveexec_b64 s[8:9], s[12:13]
; %bb.2702:
	s_mov_b32 s10, 0x7f800001
	s_xor_b64 s[4:5], exec, -1
; %bb.2703:
	s_or_b64 exec, exec, s[8:9]
	s_and_b64 s[4:5], s[4:5], exec
	s_or_saveexec_b64 s[6:7], s[6:7]
	v_mov_b32_e32 v12, s10
	s_xor_b64 exec, exec, s[6:7]
	s_cbranch_execz .LBB4_654
.LBB4_2704:
	v_mov_b32_e32 v12, 0
	v_cmp_ne_u16_sdwa s[8:9], v11, v12 src0_sel:BYTE_0 src1_sel:DWORD
	s_andn2_b64 s[4:5], s[4:5], exec
	s_and_b64 s[8:9], s[8:9], exec
	s_or_b64 s[4:5], s[4:5], s[8:9]
	s_or_b64 exec, exec, s[6:7]
	s_and_saveexec_b64 s[6:7], s[4:5]
	s_cbranch_execnz .LBB4_655
	s_branch .LBB4_656
.LBB4_2705:
	s_movk_i32 s4, 0x80
	v_cmp_eq_u16_e32 vcc, s4, v11
	s_mov_b64 s[4:5], -1
                                        ; implicit-def: $sgpr10
	s_and_saveexec_b64 s[8:9], vcc
; %bb.2706:
	s_mov_b32 s10, 0x7f800001
	s_xor_b64 s[4:5], exec, -1
; %bb.2707:
	s_or_b64 exec, exec, s[8:9]
	s_and_b64 s[4:5], s[4:5], exec
                                        ; implicit-def: $vgpr11
	s_or_saveexec_b64 s[6:7], s[6:7]
	v_mov_b32_e32 v10, s10
	s_xor_b64 exec, exec, s[6:7]
	s_cbranch_execz .LBB4_658
.LBB4_2708:
	v_cmp_ne_u16_e32 vcc, 0, v11
	s_andn2_b64 s[4:5], s[4:5], exec
	s_and_b64 s[8:9], vcc, exec
	v_mov_b32_e32 v10, 0
	s_or_b64 s[4:5], s[4:5], s[8:9]
	s_or_b64 exec, exec, s[6:7]
	s_and_saveexec_b64 s[6:7], s[4:5]
	s_cbranch_execnz .LBB4_659
	s_branch .LBB4_660
.LBB4_2709:
	s_movk_i32 s4, 0x80
	v_cmp_eq_u16_e32 vcc, s4, v11
	s_mov_b64 s[4:5], -1
                                        ; implicit-def: $sgpr10
	s_and_saveexec_b64 s[8:9], vcc
; %bb.2710:
	s_mov_b32 s10, 0x7f800001
	s_xor_b64 s[4:5], exec, -1
; %bb.2711:
	s_or_b64 exec, exec, s[8:9]
	s_and_b64 s[4:5], s[4:5], exec
                                        ; implicit-def: $vgpr11
	s_or_saveexec_b64 s[6:7], s[6:7]
	v_mov_b32_e32 v12, s10
	s_xor_b64 exec, exec, s[6:7]
	s_cbranch_execz .LBB4_662
.LBB4_2712:
	v_cmp_ne_u16_e32 vcc, 0, v11
	s_andn2_b64 s[4:5], s[4:5], exec
	s_and_b64 s[8:9], vcc, exec
	v_mov_b32_e32 v12, 0
	s_or_b64 s[4:5], s[4:5], s[8:9]
	s_or_b64 exec, exec, s[6:7]
	s_and_saveexec_b64 s[6:7], s[4:5]
	s_cbranch_execnz .LBB4_663
	s_branch .LBB4_664
.LBB4_2713:
	s_movk_i32 s4, 0x80
	v_cmp_eq_u16_sdwa s[12:13], v6, s4 src0_sel:BYTE_3 src1_sel:DWORD
	s_mov_b64 s[4:5], -1
                                        ; implicit-def: $sgpr10
	s_and_saveexec_b64 s[8:9], s[12:13]
; %bb.2714:
	s_mov_b32 s10, 0x7f800001
	s_xor_b64 s[4:5], exec, -1
; %bb.2715:
	s_or_b64 exec, exec, s[8:9]
	s_and_b64 s[4:5], s[4:5], exec
	s_or_saveexec_b64 s[6:7], s[6:7]
	v_mov_b32_e32 v10, s10
	s_xor_b64 exec, exec, s[6:7]
	s_cbranch_execz .LBB4_666
.LBB4_2716:
	v_mov_b32_e32 v10, 0
	v_cmp_ne_u16_sdwa s[8:9], v6, v10 src0_sel:BYTE_3 src1_sel:DWORD
	s_andn2_b64 s[4:5], s[4:5], exec
	s_and_b64 s[8:9], s[8:9], exec
	s_or_b64 s[4:5], s[4:5], s[8:9]
	s_or_b64 exec, exec, s[6:7]
	s_and_saveexec_b64 s[6:7], s[4:5]
	s_cbranch_execnz .LBB4_667
	s_branch .LBB4_668
.LBB4_2717:
	s_movk_i32 s4, 0x80
	v_cmp_eq_u16_sdwa s[12:13], v2, s4 src0_sel:BYTE_3 src1_sel:DWORD
	s_mov_b64 s[4:5], -1
                                        ; implicit-def: $sgpr10
	s_and_saveexec_b64 s[8:9], s[12:13]
; %bb.2718:
	s_mov_b32 s10, 0x7f800001
	s_xor_b64 s[4:5], exec, -1
; %bb.2719:
	s_or_b64 exec, exec, s[8:9]
	s_and_b64 s[4:5], s[4:5], exec
	s_or_saveexec_b64 s[6:7], s[6:7]
	v_mov_b32_e32 v6, s10
	s_xor_b64 exec, exec, s[6:7]
	s_cbranch_execz .LBB4_670
.LBB4_2720:
	v_mov_b32_e32 v6, 0
	v_cmp_ne_u16_sdwa s[8:9], v2, v6 src0_sel:BYTE_3 src1_sel:DWORD
	s_andn2_b64 s[4:5], s[4:5], exec
	s_and_b64 s[8:9], s[8:9], exec
	s_or_b64 s[4:5], s[4:5], s[8:9]
	s_or_b64 exec, exec, s[6:7]
	s_and_saveexec_b64 s[6:7], s[4:5]
	s_cbranch_execnz .LBB4_671
	s_branch .LBB4_672
.LBB4_2721:
	s_movk_i32 s4, 0x80
	v_cmp_eq_u16_sdwa s[12:13], v7, s4 src0_sel:BYTE_0 src1_sel:DWORD
	s_mov_b64 s[4:5], -1
                                        ; implicit-def: $sgpr10
	s_and_saveexec_b64 s[8:9], s[12:13]
; %bb.2722:
	s_mov_b32 s10, 0x7f800001
	s_xor_b64 s[4:5], exec, -1
; %bb.2723:
	s_or_b64 exec, exec, s[8:9]
	s_and_b64 s[4:5], s[4:5], exec
	s_or_saveexec_b64 s[6:7], s[6:7]
	v_mov_b32_e32 v2, s10
	s_xor_b64 exec, exec, s[6:7]
	s_cbranch_execz .LBB4_674
.LBB4_2724:
	v_mov_b32_e32 v2, 0
	v_cmp_ne_u16_sdwa s[8:9], v7, v2 src0_sel:BYTE_0 src1_sel:DWORD
	s_andn2_b64 s[4:5], s[4:5], exec
	s_and_b64 s[8:9], s[8:9], exec
	s_or_b64 s[4:5], s[4:5], s[8:9]
	s_or_b64 exec, exec, s[6:7]
	s_and_saveexec_b64 s[6:7], s[4:5]
	s_cbranch_execnz .LBB4_675
	s_branch .LBB4_676
.LBB4_2725:
	s_movk_i32 s4, 0x80
	v_cmp_eq_u16_sdwa s[12:13], v3, s4 src0_sel:BYTE_0 src1_sel:DWORD
	s_mov_b64 s[4:5], -1
                                        ; implicit-def: $sgpr10
	s_and_saveexec_b64 s[8:9], s[12:13]
; %bb.2726:
	s_mov_b32 s10, 0x7f800001
	s_xor_b64 s[4:5], exec, -1
; %bb.2727:
	s_or_b64 exec, exec, s[8:9]
	s_and_b64 s[4:5], s[4:5], exec
	s_or_saveexec_b64 s[6:7], s[6:7]
	v_mov_b32_e32 v6, s10
	s_xor_b64 exec, exec, s[6:7]
	s_cbranch_execz .LBB4_678
.LBB4_2728:
	v_mov_b32_e32 v6, 0
	v_cmp_ne_u16_sdwa s[8:9], v3, v6 src0_sel:BYTE_0 src1_sel:DWORD
	s_andn2_b64 s[4:5], s[4:5], exec
	s_and_b64 s[8:9], s[8:9], exec
	s_or_b64 s[4:5], s[4:5], s[8:9]
	s_or_b64 exec, exec, s[6:7]
	s_and_saveexec_b64 s[6:7], s[4:5]
	s_cbranch_execnz .LBB4_679
	s_branch .LBB4_680
.LBB4_2729:
	s_movk_i32 s4, 0x80
	v_cmp_eq_u16_sdwa s[12:13], v6, s4 src0_sel:BYTE_0 src1_sel:DWORD
	s_mov_b64 s[4:5], -1
                                        ; implicit-def: $sgpr10
	s_and_saveexec_b64 s[8:9], s[12:13]
; %bb.2730:
	s_mov_b32 s10, 0x7f800001
	s_xor_b64 s[4:5], exec, -1
; %bb.2731:
	s_or_b64 exec, exec, s[8:9]
	s_and_b64 s[4:5], s[4:5], exec
	s_or_saveexec_b64 s[6:7], s[6:7]
	v_mov_b32_e32 v2, s10
	s_xor_b64 exec, exec, s[6:7]
	s_cbranch_execz .LBB4_682
.LBB4_2732:
	v_mov_b32_e32 v2, 0
	v_cmp_ne_u16_sdwa s[8:9], v6, v2 src0_sel:BYTE_0 src1_sel:DWORD
	s_andn2_b64 s[4:5], s[4:5], exec
	s_and_b64 s[8:9], s[8:9], exec
	s_or_b64 s[4:5], s[4:5], s[8:9]
	s_or_b64 exec, exec, s[6:7]
	s_and_saveexec_b64 s[6:7], s[4:5]
	s_cbranch_execnz .LBB4_683
	s_branch .LBB4_684
.LBB4_2733:
	s_movk_i32 s4, 0x80
	v_cmp_eq_u16_sdwa s[12:13], v6, s4 src0_sel:BYTE_0 src1_sel:DWORD
	s_mov_b64 s[4:5], -1
                                        ; implicit-def: $sgpr10
	s_and_saveexec_b64 s[8:9], s[12:13]
; %bb.2734:
	s_mov_b32 s10, 0x7f800001
	s_xor_b64 s[4:5], exec, -1
; %bb.2735:
	s_or_b64 exec, exec, s[8:9]
	s_and_b64 s[4:5], s[4:5], exec
	s_or_saveexec_b64 s[6:7], s[6:7]
	v_mov_b32_e32 v10, s10
	s_xor_b64 exec, exec, s[6:7]
	s_cbranch_execz .LBB4_686
.LBB4_2736:
	v_mov_b32_e32 v10, 0
	v_cmp_ne_u16_sdwa s[8:9], v6, v10 src0_sel:BYTE_0 src1_sel:DWORD
	s_andn2_b64 s[4:5], s[4:5], exec
	s_and_b64 s[8:9], s[8:9], exec
	s_or_b64 s[4:5], s[4:5], s[8:9]
	s_or_b64 exec, exec, s[6:7]
	s_and_saveexec_b64 s[6:7], s[4:5]
	s_cbranch_execnz .LBB4_687
	s_branch .LBB4_688
.LBB4_2737:
	s_movk_i32 s4, 0x80
	v_cmp_eq_u16_e32 vcc, s4, v6
	s_mov_b64 s[4:5], -1
                                        ; implicit-def: $sgpr10
	s_and_saveexec_b64 s[8:9], vcc
; %bb.2738:
	s_mov_b32 s10, 0x7f800001
	s_xor_b64 s[4:5], exec, -1
; %bb.2739:
	s_or_b64 exec, exec, s[8:9]
	s_and_b64 s[4:5], s[4:5], exec
                                        ; implicit-def: $vgpr6
	s_or_saveexec_b64 s[6:7], s[6:7]
	v_mov_b32_e32 v2, s10
	s_xor_b64 exec, exec, s[6:7]
	s_cbranch_execz .LBB4_690
.LBB4_2740:
	v_cmp_ne_u16_e32 vcc, 0, v6
	s_andn2_b64 s[4:5], s[4:5], exec
	s_and_b64 s[8:9], vcc, exec
	v_mov_b32_e32 v2, 0
	s_or_b64 s[4:5], s[4:5], s[8:9]
	s_or_b64 exec, exec, s[6:7]
	s_and_saveexec_b64 s[6:7], s[4:5]
	s_cbranch_execnz .LBB4_691
	s_branch .LBB4_692
.LBB4_2741:
	s_movk_i32 s4, 0x80
	v_cmp_eq_u16_e32 vcc, s4, v6
	s_mov_b64 s[4:5], -1
                                        ; implicit-def: $sgpr10
	s_and_saveexec_b64 s[8:9], vcc
; %bb.2742:
	s_mov_b32 s10, 0x7f800001
	s_xor_b64 s[4:5], exec, -1
; %bb.2743:
	s_or_b64 exec, exec, s[8:9]
	s_and_b64 s[4:5], s[4:5], exec
                                        ; implicit-def: $vgpr6
	s_or_saveexec_b64 s[6:7], s[6:7]
	v_mov_b32_e32 v10, s10
	s_xor_b64 exec, exec, s[6:7]
	s_cbranch_execz .LBB4_694
.LBB4_2744:
	v_cmp_ne_u16_e32 vcc, 0, v6
	s_andn2_b64 s[4:5], s[4:5], exec
	s_and_b64 s[8:9], vcc, exec
	v_mov_b32_e32 v10, 0
	s_or_b64 s[4:5], s[4:5], s[8:9]
	s_or_b64 exec, exec, s[6:7]
	s_and_saveexec_b64 s[6:7], s[4:5]
	s_cbranch_execnz .LBB4_695
	s_branch .LBB4_696
.LBB4_2745:
	s_movk_i32 s4, 0x80
	v_cmp_eq_u16_sdwa s[12:13], v7, s4 src0_sel:BYTE_3 src1_sel:DWORD
	s_mov_b64 s[4:5], -1
                                        ; implicit-def: $sgpr10
	s_and_saveexec_b64 s[8:9], s[12:13]
; %bb.2746:
	s_mov_b32 s10, 0x7f800001
	s_xor_b64 s[4:5], exec, -1
; %bb.2747:
	s_or_b64 exec, exec, s[8:9]
	s_and_b64 s[4:5], s[4:5], exec
	s_or_saveexec_b64 s[6:7], s[6:7]
	v_mov_b32_e32 v2, s10
	s_xor_b64 exec, exec, s[6:7]
	s_cbranch_execz .LBB4_698
.LBB4_2748:
	v_mov_b32_e32 v2, 0
	v_cmp_ne_u16_sdwa s[8:9], v7, v2 src0_sel:BYTE_3 src1_sel:DWORD
	s_andn2_b64 s[4:5], s[4:5], exec
	s_and_b64 s[8:9], s[8:9], exec
	s_or_b64 s[4:5], s[4:5], s[8:9]
	s_or_b64 exec, exec, s[6:7]
	s_and_saveexec_b64 s[6:7], s[4:5]
	s_cbranch_execnz .LBB4_699
	s_branch .LBB4_700
.LBB4_2749:
	s_movk_i32 s4, 0x80
	v_cmp_eq_u16_sdwa s[12:13], v3, s4 src0_sel:BYTE_3 src1_sel:DWORD
	s_mov_b64 s[4:5], -1
                                        ; implicit-def: $sgpr10
	s_and_saveexec_b64 s[8:9], s[12:13]
; %bb.2750:
	s_mov_b32 s10, 0x7f800001
	s_xor_b64 s[4:5], exec, -1
; %bb.2751:
	s_or_b64 exec, exec, s[8:9]
	s_and_b64 s[4:5], s[4:5], exec
	s_or_saveexec_b64 s[6:7], s[6:7]
	v_mov_b32_e32 v6, s10
	s_xor_b64 exec, exec, s[6:7]
	s_cbranch_execz .LBB4_702
.LBB4_2752:
	v_mov_b32_e32 v6, 0
	v_cmp_ne_u16_sdwa s[8:9], v3, v6 src0_sel:BYTE_3 src1_sel:DWORD
	s_andn2_b64 s[4:5], s[4:5], exec
	s_and_b64 s[8:9], s[8:9], exec
	s_or_b64 s[4:5], s[4:5], s[8:9]
	s_or_b64 exec, exec, s[6:7]
	s_and_saveexec_b64 s[6:7], s[4:5]
	s_cbranch_execnz .LBB4_703
	s_branch .LBB4_704
.LBB4_2753:
	s_movk_i32 s4, 0x80
	v_cmp_eq_u16_sdwa s[12:13], v8, s4 src0_sel:BYTE_0 src1_sel:DWORD
	s_mov_b64 s[4:5], -1
                                        ; implicit-def: $sgpr10
	s_and_saveexec_b64 s[8:9], s[12:13]
; %bb.2754:
	s_mov_b32 s10, 0x7f800001
	s_xor_b64 s[4:5], exec, -1
; %bb.2755:
	s_or_b64 exec, exec, s[8:9]
	s_and_b64 s[4:5], s[4:5], exec
	s_or_saveexec_b64 s[6:7], s[6:7]
	v_mov_b32_e32 v2, s10
	s_xor_b64 exec, exec, s[6:7]
	s_cbranch_execz .LBB4_706
.LBB4_2756:
	v_mov_b32_e32 v2, 0
	v_cmp_ne_u16_sdwa s[8:9], v8, v2 src0_sel:BYTE_0 src1_sel:DWORD
	s_andn2_b64 s[4:5], s[4:5], exec
	s_and_b64 s[8:9], s[8:9], exec
	s_or_b64 s[4:5], s[4:5], s[8:9]
	s_or_b64 exec, exec, s[6:7]
	s_and_saveexec_b64 s[6:7], s[4:5]
	s_cbranch_execnz .LBB4_707
	s_branch .LBB4_708
.LBB4_2757:
	s_movk_i32 s4, 0x80
	v_cmp_eq_u16_sdwa s[12:13], v4, s4 src0_sel:BYTE_0 src1_sel:DWORD
	s_mov_b64 s[4:5], -1
                                        ; implicit-def: $sgpr10
	s_and_saveexec_b64 s[8:9], s[12:13]
; %bb.2758:
	s_mov_b32 s10, 0x7f800001
	s_xor_b64 s[4:5], exec, -1
; %bb.2759:
	s_or_b64 exec, exec, s[8:9]
	s_and_b64 s[4:5], s[4:5], exec
	s_or_saveexec_b64 s[6:7], s[6:7]
	v_mov_b32_e32 v3, s10
	s_xor_b64 exec, exec, s[6:7]
	s_cbranch_execz .LBB4_710
.LBB4_2760:
	v_mov_b32_e32 v3, 0
	v_cmp_ne_u16_sdwa s[8:9], v4, v3 src0_sel:BYTE_0 src1_sel:DWORD
	s_andn2_b64 s[4:5], s[4:5], exec
	s_and_b64 s[8:9], s[8:9], exec
	s_or_b64 s[4:5], s[4:5], s[8:9]
	s_or_b64 exec, exec, s[6:7]
	s_and_saveexec_b64 s[6:7], s[4:5]
	s_cbranch_execnz .LBB4_711
	s_branch .LBB4_712
.LBB4_2761:
	s_movk_i32 s4, 0x80
	v_cmp_eq_u16_sdwa s[12:13], v3, s4 src0_sel:BYTE_0 src1_sel:DWORD
	s_mov_b64 s[4:5], -1
                                        ; implicit-def: $sgpr10
	s_and_saveexec_b64 s[8:9], s[12:13]
; %bb.2762:
	s_mov_b32 s10, 0x7f800001
	s_xor_b64 s[4:5], exec, -1
; %bb.2763:
	s_or_b64 exec, exec, s[8:9]
	s_and_b64 s[4:5], s[4:5], exec
	s_or_saveexec_b64 s[6:7], s[6:7]
	v_mov_b32_e32 v2, s10
	s_xor_b64 exec, exec, s[6:7]
	s_cbranch_execz .LBB4_714
.LBB4_2764:
	v_mov_b32_e32 v2, 0
	v_cmp_ne_u16_sdwa s[8:9], v3, v2 src0_sel:BYTE_0 src1_sel:DWORD
	s_andn2_b64 s[4:5], s[4:5], exec
	s_and_b64 s[8:9], s[8:9], exec
	s_or_b64 s[4:5], s[4:5], s[8:9]
	s_or_b64 exec, exec, s[6:7]
	s_and_saveexec_b64 s[6:7], s[4:5]
	s_cbranch_execnz .LBB4_715
	s_branch .LBB4_716
.LBB4_2765:
	s_movk_i32 s4, 0x80
	v_cmp_eq_u16_sdwa s[12:13], v3, s4 src0_sel:BYTE_0 src1_sel:DWORD
	s_mov_b64 s[4:5], -1
                                        ; implicit-def: $sgpr10
	s_and_saveexec_b64 s[8:9], s[12:13]
; %bb.2766:
	s_mov_b32 s10, 0x7f800001
	s_xor_b64 s[4:5], exec, -1
; %bb.2767:
	s_or_b64 exec, exec, s[8:9]
	s_and_b64 s[4:5], s[4:5], exec
	s_or_saveexec_b64 s[6:7], s[6:7]
	v_mov_b32_e32 v6, s10
	s_xor_b64 exec, exec, s[6:7]
	s_cbranch_execz .LBB4_718
.LBB4_2768:
	v_mov_b32_e32 v6, 0
	v_cmp_ne_u16_sdwa s[8:9], v3, v6 src0_sel:BYTE_0 src1_sel:DWORD
	s_andn2_b64 s[4:5], s[4:5], exec
	s_and_b64 s[8:9], s[8:9], exec
	s_or_b64 s[4:5], s[4:5], s[8:9]
	s_or_b64 exec, exec, s[6:7]
	s_and_saveexec_b64 s[6:7], s[4:5]
	s_cbranch_execnz .LBB4_719
	s_branch .LBB4_720
.LBB4_2769:
	s_movk_i32 s4, 0x80
	v_cmp_eq_u16_e32 vcc, s4, v3
	s_mov_b64 s[4:5], -1
                                        ; implicit-def: $sgpr10
	s_and_saveexec_b64 s[8:9], vcc
; %bb.2770:
	s_mov_b32 s10, 0x7f800001
	s_xor_b64 s[4:5], exec, -1
; %bb.2771:
	s_or_b64 exec, exec, s[8:9]
	s_and_b64 s[4:5], s[4:5], exec
                                        ; implicit-def: $vgpr3
	s_or_saveexec_b64 s[6:7], s[6:7]
	v_mov_b32_e32 v2, s10
	s_xor_b64 exec, exec, s[6:7]
	s_cbranch_execz .LBB4_722
.LBB4_2772:
	v_cmp_ne_u16_e32 vcc, 0, v3
	s_andn2_b64 s[4:5], s[4:5], exec
	s_and_b64 s[8:9], vcc, exec
	v_mov_b32_e32 v2, 0
	s_or_b64 s[4:5], s[4:5], s[8:9]
	s_or_b64 exec, exec, s[6:7]
	s_and_saveexec_b64 s[6:7], s[4:5]
	s_cbranch_execnz .LBB4_723
	s_branch .LBB4_724
.LBB4_2773:
	s_movk_i32 s4, 0x80
	v_cmp_eq_u16_e32 vcc, s4, v3
	s_mov_b64 s[4:5], -1
                                        ; implicit-def: $sgpr10
	s_and_saveexec_b64 s[8:9], vcc
; %bb.2774:
	s_mov_b32 s10, 0x7f800001
	s_xor_b64 s[4:5], exec, -1
; %bb.2775:
	s_or_b64 exec, exec, s[8:9]
	s_and_b64 s[4:5], s[4:5], exec
                                        ; implicit-def: $vgpr3
	s_or_saveexec_b64 s[6:7], s[6:7]
	v_mov_b32_e32 v6, s10
	s_xor_b64 exec, exec, s[6:7]
	s_cbranch_execz .LBB4_726
.LBB4_2776:
	v_cmp_ne_u16_e32 vcc, 0, v3
	s_andn2_b64 s[4:5], s[4:5], exec
	s_and_b64 s[8:9], vcc, exec
	v_mov_b32_e32 v6, 0
	s_or_b64 s[4:5], s[4:5], s[8:9]
	s_or_b64 exec, exec, s[6:7]
	s_and_saveexec_b64 s[6:7], s[4:5]
	s_cbranch_execnz .LBB4_727
	s_branch .LBB4_728
.LBB4_2777:
	s_movk_i32 s4, 0x80
	v_cmp_eq_u16_sdwa s[12:13], v8, s4 src0_sel:BYTE_3 src1_sel:DWORD
	s_mov_b64 s[4:5], -1
                                        ; implicit-def: $sgpr10
	s_and_saveexec_b64 s[8:9], s[12:13]
; %bb.2778:
	s_mov_b32 s10, 0x7f800001
	s_xor_b64 s[4:5], exec, -1
; %bb.2779:
	s_or_b64 exec, exec, s[8:9]
	s_and_b64 s[4:5], s[4:5], exec
	s_or_saveexec_b64 s[6:7], s[6:7]
	v_mov_b32_e32 v2, s10
	s_xor_b64 exec, exec, s[6:7]
	s_cbranch_execz .LBB4_730
.LBB4_2780:
	v_mov_b32_e32 v2, 0
	v_cmp_ne_u16_sdwa s[8:9], v8, v2 src0_sel:BYTE_3 src1_sel:DWORD
	s_andn2_b64 s[4:5], s[4:5], exec
	s_and_b64 s[8:9], s[8:9], exec
	s_or_b64 s[4:5], s[4:5], s[8:9]
	s_or_b64 exec, exec, s[6:7]
	s_and_saveexec_b64 s[6:7], s[4:5]
	s_cbranch_execnz .LBB4_731
	s_branch .LBB4_732
.LBB4_2781:
	s_movk_i32 s4, 0x80
	v_cmp_eq_u16_sdwa s[12:13], v4, s4 src0_sel:BYTE_3 src1_sel:DWORD
	s_mov_b64 s[4:5], -1
                                        ; implicit-def: $sgpr10
	s_and_saveexec_b64 s[8:9], s[12:13]
; %bb.2782:
	s_mov_b32 s10, 0x7f800001
	s_xor_b64 s[4:5], exec, -1
; %bb.2783:
	s_or_b64 exec, exec, s[8:9]
	s_and_b64 s[4:5], s[4:5], exec
	s_or_saveexec_b64 s[6:7], s[6:7]
	v_mov_b32_e32 v3, s10
	s_xor_b64 exec, exec, s[6:7]
	s_cbranch_execz .LBB4_734
.LBB4_2784:
	v_mov_b32_e32 v3, 0
	v_cmp_ne_u16_sdwa s[8:9], v4, v3 src0_sel:BYTE_3 src1_sel:DWORD
	s_andn2_b64 s[4:5], s[4:5], exec
	s_and_b64 s[8:9], s[8:9], exec
	s_or_b64 s[4:5], s[4:5], s[8:9]
	s_or_b64 exec, exec, s[6:7]
	s_and_saveexec_b64 s[6:7], s[4:5]
	s_cbranch_execnz .LBB4_735
	s_branch .LBB4_736
.LBB4_2785:
	s_movk_i32 s4, 0x80
	v_cmp_eq_u16_sdwa s[12:13], v9, s4 src0_sel:BYTE_0 src1_sel:DWORD
	s_mov_b64 s[4:5], -1
                                        ; implicit-def: $sgpr10
	s_and_saveexec_b64 s[8:9], s[12:13]
; %bb.2786:
	s_mov_b32 s10, 0x7f800001
	s_xor_b64 s[4:5], exec, -1
; %bb.2787:
	s_or_b64 exec, exec, s[8:9]
	s_and_b64 s[4:5], s[4:5], exec
	s_or_saveexec_b64 s[6:7], s[6:7]
	v_mov_b32_e32 v2, s10
	s_xor_b64 exec, exec, s[6:7]
	s_cbranch_execz .LBB4_738
.LBB4_2788:
	v_mov_b32_e32 v2, 0
	v_cmp_ne_u16_sdwa s[8:9], v9, v2 src0_sel:BYTE_0 src1_sel:DWORD
	s_andn2_b64 s[4:5], s[4:5], exec
	s_and_b64 s[8:9], s[8:9], exec
	s_or_b64 s[4:5], s[4:5], s[8:9]
	s_or_b64 exec, exec, s[6:7]
	s_and_saveexec_b64 s[6:7], s[4:5]
	s_cbranch_execnz .LBB4_739
	s_branch .LBB4_740
.LBB4_2789:
	s_movk_i32 s4, 0x80
	v_cmp_eq_u16_sdwa s[12:13], v5, s4 src0_sel:BYTE_0 src1_sel:DWORD
	s_mov_b64 s[4:5], -1
                                        ; implicit-def: $sgpr10
	s_and_saveexec_b64 s[8:9], s[12:13]
; %bb.2790:
	s_mov_b32 s10, 0x7f800001
	s_xor_b64 s[4:5], exec, -1
; %bb.2791:
	s_or_b64 exec, exec, s[8:9]
	s_and_b64 s[4:5], s[4:5], exec
	s_or_saveexec_b64 s[6:7], s[6:7]
	v_mov_b32_e32 v3, s10
	s_xor_b64 exec, exec, s[6:7]
	s_cbranch_execz .LBB4_742
.LBB4_2792:
	v_mov_b32_e32 v3, 0
	v_cmp_ne_u16_sdwa s[8:9], v5, v3 src0_sel:BYTE_0 src1_sel:DWORD
	s_andn2_b64 s[4:5], s[4:5], exec
	s_and_b64 s[8:9], s[8:9], exec
	s_or_b64 s[4:5], s[4:5], s[8:9]
	s_or_b64 exec, exec, s[6:7]
	s_and_saveexec_b64 s[6:7], s[4:5]
	s_cbranch_execnz .LBB4_743
	s_branch .LBB4_744
.LBB4_2793:
	s_movk_i32 s4, 0x80
	v_cmp_eq_u16_sdwa s[12:13], v3, s4 src0_sel:BYTE_0 src1_sel:DWORD
	s_mov_b64 s[4:5], -1
                                        ; implicit-def: $sgpr10
	s_and_saveexec_b64 s[8:9], s[12:13]
; %bb.2794:
	s_mov_b32 s10, 0x7f800001
	s_xor_b64 s[4:5], exec, -1
; %bb.2795:
	s_or_b64 exec, exec, s[8:9]
	s_and_b64 s[4:5], s[4:5], exec
	s_or_saveexec_b64 s[6:7], s[6:7]
	v_mov_b32_e32 v2, s10
	s_xor_b64 exec, exec, s[6:7]
	s_cbranch_execz .LBB4_746
.LBB4_2796:
	v_mov_b32_e32 v2, 0
	v_cmp_ne_u16_sdwa s[8:9], v3, v2 src0_sel:BYTE_0 src1_sel:DWORD
	s_andn2_b64 s[4:5], s[4:5], exec
	s_and_b64 s[8:9], s[8:9], exec
	s_or_b64 s[4:5], s[4:5], s[8:9]
	s_or_b64 exec, exec, s[6:7]
	s_and_saveexec_b64 s[6:7], s[4:5]
	s_cbranch_execnz .LBB4_747
	s_branch .LBB4_748
.LBB4_2797:
	s_movk_i32 s4, 0x80
	v_cmp_eq_u16_sdwa s[12:13], v3, s4 src0_sel:BYTE_0 src1_sel:DWORD
	s_mov_b64 s[4:5], -1
                                        ; implicit-def: $sgpr10
	s_and_saveexec_b64 s[8:9], s[12:13]
; %bb.2798:
	s_mov_b32 s10, 0x7f800001
	s_xor_b64 s[4:5], exec, -1
; %bb.2799:
	s_or_b64 exec, exec, s[8:9]
	s_and_b64 s[4:5], s[4:5], exec
	s_or_saveexec_b64 s[6:7], s[6:7]
	v_mov_b32_e32 v4, s10
	s_xor_b64 exec, exec, s[6:7]
	s_cbranch_execz .LBB4_750
.LBB4_2800:
	v_mov_b32_e32 v4, 0
	v_cmp_ne_u16_sdwa s[8:9], v3, v4 src0_sel:BYTE_0 src1_sel:DWORD
	s_andn2_b64 s[4:5], s[4:5], exec
	s_and_b64 s[8:9], s[8:9], exec
	s_or_b64 s[4:5], s[4:5], s[8:9]
	s_or_b64 exec, exec, s[6:7]
	s_and_saveexec_b64 s[6:7], s[4:5]
	s_cbranch_execnz .LBB4_751
	s_branch .LBB4_752
.LBB4_2801:
	s_movk_i32 s4, 0x80
	v_cmp_eq_u16_e32 vcc, s4, v3
	s_mov_b64 s[4:5], -1
                                        ; implicit-def: $sgpr10
	s_and_saveexec_b64 s[8:9], vcc
; %bb.2802:
	s_mov_b32 s10, 0x7f800001
	s_xor_b64 s[4:5], exec, -1
; %bb.2803:
	s_or_b64 exec, exec, s[8:9]
	s_and_b64 s[4:5], s[4:5], exec
                                        ; implicit-def: $vgpr3
	s_or_saveexec_b64 s[6:7], s[6:7]
	v_mov_b32_e32 v2, s10
	s_xor_b64 exec, exec, s[6:7]
	s_cbranch_execz .LBB4_754
.LBB4_2804:
	v_cmp_ne_u16_e32 vcc, 0, v3
	s_andn2_b64 s[4:5], s[4:5], exec
	s_and_b64 s[8:9], vcc, exec
	v_mov_b32_e32 v2, 0
	s_or_b64 s[4:5], s[4:5], s[8:9]
	s_or_b64 exec, exec, s[6:7]
	s_and_saveexec_b64 s[6:7], s[4:5]
	s_cbranch_execnz .LBB4_755
	s_branch .LBB4_756
.LBB4_2805:
	s_movk_i32 s4, 0x80
	v_cmp_eq_u16_e32 vcc, s4, v3
	s_mov_b64 s[4:5], -1
                                        ; implicit-def: $sgpr10
	s_and_saveexec_b64 s[8:9], vcc
; %bb.2806:
	s_mov_b32 s10, 0x7f800001
	s_xor_b64 s[4:5], exec, -1
; %bb.2807:
	s_or_b64 exec, exec, s[8:9]
	s_and_b64 s[4:5], s[4:5], exec
                                        ; implicit-def: $vgpr3
	s_or_saveexec_b64 s[6:7], s[6:7]
	v_mov_b32_e32 v4, s10
	s_xor_b64 exec, exec, s[6:7]
	s_cbranch_execz .LBB4_758
.LBB4_2808:
	v_cmp_ne_u16_e32 vcc, 0, v3
	s_andn2_b64 s[4:5], s[4:5], exec
	s_and_b64 s[8:9], vcc, exec
	v_mov_b32_e32 v4, 0
	s_or_b64 s[4:5], s[4:5], s[8:9]
	s_or_b64 exec, exec, s[6:7]
	s_and_saveexec_b64 s[6:7], s[4:5]
	s_cbranch_execnz .LBB4_759
	s_branch .LBB4_760
.LBB4_2809:
	s_movk_i32 s4, 0x80
	v_cmp_eq_u16_sdwa s[12:13], v9, s4 src0_sel:BYTE_3 src1_sel:DWORD
	s_mov_b64 s[4:5], -1
                                        ; implicit-def: $sgpr10
	s_and_saveexec_b64 s[8:9], s[12:13]
; %bb.2810:
	s_mov_b32 s10, 0x7f800001
	s_xor_b64 s[4:5], exec, -1
; %bb.2811:
	s_or_b64 exec, exec, s[8:9]
	s_and_b64 s[4:5], s[4:5], exec
	s_or_saveexec_b64 s[6:7], s[6:7]
	v_mov_b32_e32 v2, s10
	s_xor_b64 exec, exec, s[6:7]
	s_cbranch_execz .LBB4_762
.LBB4_2812:
	v_mov_b32_e32 v2, 0
	v_cmp_ne_u16_sdwa s[8:9], v9, v2 src0_sel:BYTE_3 src1_sel:DWORD
	s_andn2_b64 s[4:5], s[4:5], exec
	s_and_b64 s[8:9], s[8:9], exec
	s_or_b64 s[4:5], s[4:5], s[8:9]
	s_or_b64 exec, exec, s[6:7]
	s_and_saveexec_b64 s[6:7], s[4:5]
	s_cbranch_execnz .LBB4_763
	s_branch .LBB4_764
.LBB4_2813:
	s_movk_i32 s4, 0x80
	v_cmp_eq_u16_sdwa s[12:13], v5, s4 src0_sel:BYTE_3 src1_sel:DWORD
	s_mov_b64 s[4:5], -1
                                        ; implicit-def: $sgpr10
	s_and_saveexec_b64 s[8:9], s[12:13]
; %bb.2814:
	s_mov_b32 s10, 0x7f800001
	s_xor_b64 s[4:5], exec, -1
; %bb.2815:
	s_or_b64 exec, exec, s[8:9]
	s_and_b64 s[4:5], s[4:5], exec
	s_or_saveexec_b64 s[6:7], s[6:7]
	v_mov_b32_e32 v3, s10
	s_xor_b64 exec, exec, s[6:7]
	s_cbranch_execz .LBB4_766
.LBB4_2816:
	v_mov_b32_e32 v3, 0
	v_cmp_ne_u16_sdwa s[8:9], v5, v3 src0_sel:BYTE_3 src1_sel:DWORD
	s_andn2_b64 s[4:5], s[4:5], exec
	s_and_b64 s[8:9], s[8:9], exec
	s_or_b64 s[4:5], s[4:5], s[8:9]
	s_or_b64 exec, exec, s[6:7]
	s_and_saveexec_b64 s[6:7], s[4:5]
	s_cbranch_execnz .LBB4_767
	s_branch .LBB4_768
.LBB4_2817:
	s_movk_i32 s4, 0x80
	v_cmp_eq_u16_sdwa s[12:13], v14, s4 src0_sel:BYTE_0 src1_sel:DWORD
	s_mov_b64 s[4:5], -1
                                        ; implicit-def: $sgpr10
	s_and_saveexec_b64 s[8:9], s[12:13]
; %bb.2818:
	s_mov_b32 s10, 0x7f800001
	s_xor_b64 s[4:5], exec, -1
; %bb.2819:
	s_or_b64 exec, exec, s[8:9]
	s_and_b64 s[4:5], s[4:5], exec
	s_or_saveexec_b64 s[6:7], s[6:7]
	v_mov_b32_e32 v20, s10
	s_xor_b64 exec, exec, s[6:7]
	s_cbranch_execz .LBB4_770
.LBB4_2820:
	v_mov_b32_e32 v20, 0
	v_cmp_ne_u16_sdwa s[8:9], v14, v20 src0_sel:BYTE_0 src1_sel:DWORD
	s_andn2_b64 s[4:5], s[4:5], exec
	s_and_b64 s[8:9], s[8:9], exec
	s_or_b64 s[4:5], s[4:5], s[8:9]
	s_or_b64 exec, exec, s[6:7]
	s_and_saveexec_b64 s[6:7], s[4:5]
	s_cbranch_execnz .LBB4_771
	s_branch .LBB4_772
.LBB4_2821:
	s_movk_i32 s4, 0x80
	v_cmp_eq_u16_sdwa s[12:13], v10, s4 src0_sel:BYTE_0 src1_sel:DWORD
	s_mov_b64 s[4:5], -1
                                        ; implicit-def: $sgpr10
	s_and_saveexec_b64 s[8:9], s[12:13]
; %bb.2822:
	s_mov_b32 s10, 0x7f800001
	s_xor_b64 s[4:5], exec, -1
; %bb.2823:
	s_or_b64 exec, exec, s[8:9]
	s_and_b64 s[4:5], s[4:5], exec
	s_or_saveexec_b64 s[6:7], s[6:7]
	v_mov_b32_e32 v21, s10
	s_xor_b64 exec, exec, s[6:7]
	s_cbranch_execz .LBB4_774
.LBB4_2824:
	v_mov_b32_e32 v21, 0
	v_cmp_ne_u16_sdwa s[8:9], v10, v21 src0_sel:BYTE_0 src1_sel:DWORD
	s_andn2_b64 s[4:5], s[4:5], exec
	s_and_b64 s[8:9], s[8:9], exec
	s_or_b64 s[4:5], s[4:5], s[8:9]
	s_or_b64 exec, exec, s[6:7]
	s_and_saveexec_b64 s[6:7], s[4:5]
	s_cbranch_execnz .LBB4_775
	s_branch .LBB4_776
.LBB4_2825:
	s_movk_i32 s4, 0x80
	v_cmp_eq_u16_sdwa s[12:13], v21, s4 src0_sel:BYTE_0 src1_sel:DWORD
	s_mov_b64 s[4:5], -1
                                        ; implicit-def: $sgpr10
	s_and_saveexec_b64 s[8:9], s[12:13]
; %bb.2826:
	s_mov_b32 s10, 0x7f800001
	s_xor_b64 s[4:5], exec, -1
; %bb.2827:
	s_or_b64 exec, exec, s[8:9]
	s_and_b64 s[4:5], s[4:5], exec
	s_or_saveexec_b64 s[6:7], s[6:7]
	v_mov_b32_e32 v20, s10
	s_xor_b64 exec, exec, s[6:7]
	s_cbranch_execz .LBB4_778
.LBB4_2828:
	v_mov_b32_e32 v20, 0
	v_cmp_ne_u16_sdwa s[8:9], v21, v20 src0_sel:BYTE_0 src1_sel:DWORD
	s_andn2_b64 s[4:5], s[4:5], exec
	s_and_b64 s[8:9], s[8:9], exec
	s_or_b64 s[4:5], s[4:5], s[8:9]
	s_or_b64 exec, exec, s[6:7]
	s_and_saveexec_b64 s[6:7], s[4:5]
	s_cbranch_execnz .LBB4_779
	s_branch .LBB4_780
.LBB4_2829:
	s_movk_i32 s4, 0x80
	v_cmp_eq_u16_sdwa s[12:13], v21, s4 src0_sel:BYTE_0 src1_sel:DWORD
	s_mov_b64 s[4:5], -1
                                        ; implicit-def: $sgpr10
	s_and_saveexec_b64 s[8:9], s[12:13]
; %bb.2830:
	s_mov_b32 s10, 0x7f800001
	s_xor_b64 s[4:5], exec, -1
; %bb.2831:
	s_or_b64 exec, exec, s[8:9]
	s_and_b64 s[4:5], s[4:5], exec
	s_or_saveexec_b64 s[6:7], s[6:7]
	v_mov_b32_e32 v22, s10
	s_xor_b64 exec, exec, s[6:7]
	s_cbranch_execz .LBB4_782
.LBB4_2832:
	v_mov_b32_e32 v22, 0
	v_cmp_ne_u16_sdwa s[8:9], v21, v22 src0_sel:BYTE_0 src1_sel:DWORD
	s_andn2_b64 s[4:5], s[4:5], exec
	s_and_b64 s[8:9], s[8:9], exec
	s_or_b64 s[4:5], s[4:5], s[8:9]
	s_or_b64 exec, exec, s[6:7]
	s_and_saveexec_b64 s[6:7], s[4:5]
	s_cbranch_execnz .LBB4_783
	s_branch .LBB4_784
.LBB4_2833:
	s_movk_i32 s4, 0x80
	v_cmp_eq_u16_e32 vcc, s4, v21
	s_mov_b64 s[4:5], -1
                                        ; implicit-def: $sgpr10
	s_and_saveexec_b64 s[8:9], vcc
; %bb.2834:
	s_mov_b32 s10, 0x7f800001
	s_xor_b64 s[4:5], exec, -1
; %bb.2835:
	s_or_b64 exec, exec, s[8:9]
	s_and_b64 s[4:5], s[4:5], exec
                                        ; implicit-def: $vgpr21
	s_or_saveexec_b64 s[6:7], s[6:7]
	v_mov_b32_e32 v20, s10
	s_xor_b64 exec, exec, s[6:7]
	s_cbranch_execz .LBB4_786
.LBB4_2836:
	v_cmp_ne_u16_e32 vcc, 0, v21
	s_andn2_b64 s[4:5], s[4:5], exec
	s_and_b64 s[8:9], vcc, exec
	v_mov_b32_e32 v20, 0
	s_or_b64 s[4:5], s[4:5], s[8:9]
	s_or_b64 exec, exec, s[6:7]
	s_and_saveexec_b64 s[6:7], s[4:5]
	s_cbranch_execnz .LBB4_787
	s_branch .LBB4_788
.LBB4_2837:
	s_movk_i32 s4, 0x80
	v_cmp_eq_u16_e32 vcc, s4, v21
	s_mov_b64 s[4:5], -1
                                        ; implicit-def: $sgpr10
	s_and_saveexec_b64 s[8:9], vcc
; %bb.2838:
	s_mov_b32 s10, 0x7f800001
	s_xor_b64 s[4:5], exec, -1
; %bb.2839:
	s_or_b64 exec, exec, s[8:9]
	s_and_b64 s[4:5], s[4:5], exec
                                        ; implicit-def: $vgpr21
	s_or_saveexec_b64 s[6:7], s[6:7]
	v_mov_b32_e32 v22, s10
	s_xor_b64 exec, exec, s[6:7]
	s_cbranch_execz .LBB4_790
.LBB4_2840:
	v_cmp_ne_u16_e32 vcc, 0, v21
	s_andn2_b64 s[4:5], s[4:5], exec
	s_and_b64 s[8:9], vcc, exec
	v_mov_b32_e32 v22, 0
	s_or_b64 s[4:5], s[4:5], s[8:9]
	s_or_b64 exec, exec, s[6:7]
	s_and_saveexec_b64 s[6:7], s[4:5]
	s_cbranch_execnz .LBB4_791
	s_branch .LBB4_792
.LBB4_2841:
	s_movk_i32 s4, 0x80
	v_cmp_eq_u16_sdwa s[12:13], v14, s4 src0_sel:BYTE_3 src1_sel:DWORD
	s_mov_b64 s[4:5], -1
                                        ; implicit-def: $sgpr10
	s_and_saveexec_b64 s[8:9], s[12:13]
; %bb.2842:
	s_mov_b32 s10, 0x7f800001
	s_xor_b64 s[4:5], exec, -1
; %bb.2843:
	s_or_b64 exec, exec, s[8:9]
	s_and_b64 s[4:5], s[4:5], exec
	s_or_saveexec_b64 s[6:7], s[6:7]
	v_mov_b32_e32 v20, s10
	s_xor_b64 exec, exec, s[6:7]
	s_cbranch_execz .LBB4_794
.LBB4_2844:
	v_mov_b32_e32 v20, 0
	v_cmp_ne_u16_sdwa s[8:9], v14, v20 src0_sel:BYTE_3 src1_sel:DWORD
	s_andn2_b64 s[4:5], s[4:5], exec
	s_and_b64 s[8:9], s[8:9], exec
	s_or_b64 s[4:5], s[4:5], s[8:9]
	s_or_b64 exec, exec, s[6:7]
	s_and_saveexec_b64 s[6:7], s[4:5]
	s_cbranch_execnz .LBB4_795
	s_branch .LBB4_796
.LBB4_2845:
	s_movk_i32 s4, 0x80
	v_cmp_eq_u16_sdwa s[12:13], v10, s4 src0_sel:BYTE_3 src1_sel:DWORD
	s_mov_b64 s[4:5], -1
                                        ; implicit-def: $sgpr10
	s_and_saveexec_b64 s[8:9], s[12:13]
; %bb.2846:
	s_mov_b32 s10, 0x7f800001
	s_xor_b64 s[4:5], exec, -1
; %bb.2847:
	s_or_b64 exec, exec, s[8:9]
	s_and_b64 s[4:5], s[4:5], exec
	s_or_saveexec_b64 s[6:7], s[6:7]
	v_mov_b32_e32 v14, s10
	s_xor_b64 exec, exec, s[6:7]
	s_cbranch_execz .LBB4_798
.LBB4_2848:
	v_mov_b32_e32 v14, 0
	v_cmp_ne_u16_sdwa s[8:9], v10, v14 src0_sel:BYTE_3 src1_sel:DWORD
	s_andn2_b64 s[4:5], s[4:5], exec
	s_and_b64 s[8:9], s[8:9], exec
	s_or_b64 s[4:5], s[4:5], s[8:9]
	s_or_b64 exec, exec, s[6:7]
	s_and_saveexec_b64 s[6:7], s[4:5]
	s_cbranch_execnz .LBB4_799
	s_branch .LBB4_800
.LBB4_2849:
	s_movk_i32 s4, 0x80
	v_cmp_eq_u16_sdwa s[12:13], v15, s4 src0_sel:BYTE_0 src1_sel:DWORD
	s_mov_b64 s[4:5], -1
                                        ; implicit-def: $sgpr10
	s_and_saveexec_b64 s[8:9], s[12:13]
; %bb.2850:
	s_mov_b32 s10, 0x7f800001
	s_xor_b64 s[4:5], exec, -1
; %bb.2851:
	s_or_b64 exec, exec, s[8:9]
	s_and_b64 s[4:5], s[4:5], exec
	s_or_saveexec_b64 s[6:7], s[6:7]
	v_mov_b32_e32 v10, s10
	s_xor_b64 exec, exec, s[6:7]
	s_cbranch_execz .LBB4_802
.LBB4_2852:
	v_mov_b32_e32 v10, 0
	v_cmp_ne_u16_sdwa s[8:9], v15, v10 src0_sel:BYTE_0 src1_sel:DWORD
	s_andn2_b64 s[4:5], s[4:5], exec
	s_and_b64 s[8:9], s[8:9], exec
	s_or_b64 s[4:5], s[4:5], s[8:9]
	s_or_b64 exec, exec, s[6:7]
	s_and_saveexec_b64 s[6:7], s[4:5]
	s_cbranch_execnz .LBB4_803
	s_branch .LBB4_804
.LBB4_2853:
	s_movk_i32 s4, 0x80
	v_cmp_eq_u16_sdwa s[12:13], v11, s4 src0_sel:BYTE_0 src1_sel:DWORD
	s_mov_b64 s[4:5], -1
                                        ; implicit-def: $sgpr10
	s_and_saveexec_b64 s[8:9], s[12:13]
; %bb.2854:
	s_mov_b32 s10, 0x7f800001
	s_xor_b64 s[4:5], exec, -1
; %bb.2855:
	s_or_b64 exec, exec, s[8:9]
	s_and_b64 s[4:5], s[4:5], exec
	s_or_saveexec_b64 s[6:7], s[6:7]
	v_mov_b32_e32 v14, s10
	s_xor_b64 exec, exec, s[6:7]
	s_cbranch_execz .LBB4_806
.LBB4_2856:
	v_mov_b32_e32 v14, 0
	v_cmp_ne_u16_sdwa s[8:9], v11, v14 src0_sel:BYTE_0 src1_sel:DWORD
	s_andn2_b64 s[4:5], s[4:5], exec
	s_and_b64 s[8:9], s[8:9], exec
	s_or_b64 s[4:5], s[4:5], s[8:9]
	s_or_b64 exec, exec, s[6:7]
	s_and_saveexec_b64 s[6:7], s[4:5]
	s_cbranch_execnz .LBB4_807
	s_branch .LBB4_808
.LBB4_2857:
	s_movk_i32 s4, 0x80
	v_cmp_eq_u16_sdwa s[12:13], v14, s4 src0_sel:BYTE_0 src1_sel:DWORD
	s_mov_b64 s[4:5], -1
                                        ; implicit-def: $sgpr10
	s_and_saveexec_b64 s[8:9], s[12:13]
; %bb.2858:
	s_mov_b32 s10, 0x7f800001
	s_xor_b64 s[4:5], exec, -1
; %bb.2859:
	s_or_b64 exec, exec, s[8:9]
	s_and_b64 s[4:5], s[4:5], exec
	s_or_saveexec_b64 s[6:7], s[6:7]
	v_mov_b32_e32 v10, s10
	s_xor_b64 exec, exec, s[6:7]
	s_cbranch_execz .LBB4_810
.LBB4_2860:
	v_mov_b32_e32 v10, 0
	v_cmp_ne_u16_sdwa s[8:9], v14, v10 src0_sel:BYTE_0 src1_sel:DWORD
	s_andn2_b64 s[4:5], s[4:5], exec
	s_and_b64 s[8:9], s[8:9], exec
	s_or_b64 s[4:5], s[4:5], s[8:9]
	s_or_b64 exec, exec, s[6:7]
	s_and_saveexec_b64 s[6:7], s[4:5]
	s_cbranch_execnz .LBB4_811
	s_branch .LBB4_812
.LBB4_2861:
	s_movk_i32 s4, 0x80
	v_cmp_eq_u16_sdwa s[12:13], v14, s4 src0_sel:BYTE_0 src1_sel:DWORD
	s_mov_b64 s[4:5], -1
                                        ; implicit-def: $sgpr10
	s_and_saveexec_b64 s[8:9], s[12:13]
; %bb.2862:
	s_mov_b32 s10, 0x7f800001
	s_xor_b64 s[4:5], exec, -1
; %bb.2863:
	s_or_b64 exec, exec, s[8:9]
	s_and_b64 s[4:5], s[4:5], exec
	s_or_saveexec_b64 s[6:7], s[6:7]
	v_mov_b32_e32 v20, s10
	s_xor_b64 exec, exec, s[6:7]
	s_cbranch_execz .LBB4_814
.LBB4_2864:
	v_mov_b32_e32 v20, 0
	v_cmp_ne_u16_sdwa s[8:9], v14, v20 src0_sel:BYTE_0 src1_sel:DWORD
	s_andn2_b64 s[4:5], s[4:5], exec
	s_and_b64 s[8:9], s[8:9], exec
	s_or_b64 s[4:5], s[4:5], s[8:9]
	s_or_b64 exec, exec, s[6:7]
	s_and_saveexec_b64 s[6:7], s[4:5]
	s_cbranch_execnz .LBB4_815
	s_branch .LBB4_816
.LBB4_2865:
	s_movk_i32 s4, 0x80
	v_cmp_eq_u16_e32 vcc, s4, v14
	s_mov_b64 s[4:5], -1
                                        ; implicit-def: $sgpr10
	s_and_saveexec_b64 s[8:9], vcc
; %bb.2866:
	s_mov_b32 s10, 0x7f800001
	s_xor_b64 s[4:5], exec, -1
; %bb.2867:
	s_or_b64 exec, exec, s[8:9]
	s_and_b64 s[4:5], s[4:5], exec
                                        ; implicit-def: $vgpr14
	s_or_saveexec_b64 s[6:7], s[6:7]
	v_mov_b32_e32 v10, s10
	s_xor_b64 exec, exec, s[6:7]
	s_cbranch_execz .LBB4_818
.LBB4_2868:
	v_cmp_ne_u16_e32 vcc, 0, v14
	s_andn2_b64 s[4:5], s[4:5], exec
	s_and_b64 s[8:9], vcc, exec
	v_mov_b32_e32 v10, 0
	s_or_b64 s[4:5], s[4:5], s[8:9]
	s_or_b64 exec, exec, s[6:7]
	s_and_saveexec_b64 s[6:7], s[4:5]
	s_cbranch_execnz .LBB4_819
	s_branch .LBB4_820
.LBB4_2869:
	s_movk_i32 s4, 0x80
	v_cmp_eq_u16_e32 vcc, s4, v14
	s_mov_b64 s[4:5], -1
                                        ; implicit-def: $sgpr10
	s_and_saveexec_b64 s[8:9], vcc
; %bb.2870:
	s_mov_b32 s10, 0x7f800001
	s_xor_b64 s[4:5], exec, -1
; %bb.2871:
	s_or_b64 exec, exec, s[8:9]
	s_and_b64 s[4:5], s[4:5], exec
                                        ; implicit-def: $vgpr14
	s_or_saveexec_b64 s[6:7], s[6:7]
	v_mov_b32_e32 v20, s10
	s_xor_b64 exec, exec, s[6:7]
	s_cbranch_execz .LBB4_822
.LBB4_2872:
	v_cmp_ne_u16_e32 vcc, 0, v14
	s_andn2_b64 s[4:5], s[4:5], exec
	s_and_b64 s[8:9], vcc, exec
	v_mov_b32_e32 v20, 0
	s_or_b64 s[4:5], s[4:5], s[8:9]
	s_or_b64 exec, exec, s[6:7]
	s_and_saveexec_b64 s[6:7], s[4:5]
	s_cbranch_execnz .LBB4_823
	s_branch .LBB4_824
.LBB4_2873:
	s_movk_i32 s4, 0x80
	v_cmp_eq_u16_sdwa s[12:13], v15, s4 src0_sel:BYTE_3 src1_sel:DWORD
	s_mov_b64 s[4:5], -1
                                        ; implicit-def: $sgpr10
	s_and_saveexec_b64 s[8:9], s[12:13]
; %bb.2874:
	s_mov_b32 s10, 0x7f800001
	s_xor_b64 s[4:5], exec, -1
; %bb.2875:
	s_or_b64 exec, exec, s[8:9]
	s_and_b64 s[4:5], s[4:5], exec
	s_or_saveexec_b64 s[6:7], s[6:7]
	v_mov_b32_e32 v10, s10
	s_xor_b64 exec, exec, s[6:7]
	s_cbranch_execz .LBB4_826
.LBB4_2876:
	v_mov_b32_e32 v10, 0
	v_cmp_ne_u16_sdwa s[8:9], v15, v10 src0_sel:BYTE_3 src1_sel:DWORD
	s_andn2_b64 s[4:5], s[4:5], exec
	s_and_b64 s[8:9], s[8:9], exec
	s_or_b64 s[4:5], s[4:5], s[8:9]
	s_or_b64 exec, exec, s[6:7]
	s_and_saveexec_b64 s[6:7], s[4:5]
	s_cbranch_execnz .LBB4_827
	s_branch .LBB4_828
.LBB4_2877:
	s_movk_i32 s4, 0x80
	v_cmp_eq_u16_sdwa s[12:13], v11, s4 src0_sel:BYTE_3 src1_sel:DWORD
	s_mov_b64 s[4:5], -1
                                        ; implicit-def: $sgpr10
	s_and_saveexec_b64 s[8:9], s[12:13]
; %bb.2878:
	s_mov_b32 s10, 0x7f800001
	s_xor_b64 s[4:5], exec, -1
; %bb.2879:
	s_or_b64 exec, exec, s[8:9]
	s_and_b64 s[4:5], s[4:5], exec
	s_or_saveexec_b64 s[6:7], s[6:7]
	v_mov_b32_e32 v14, s10
	s_xor_b64 exec, exec, s[6:7]
	s_cbranch_execz .LBB4_830
.LBB4_2880:
	v_mov_b32_e32 v14, 0
	v_cmp_ne_u16_sdwa s[8:9], v11, v14 src0_sel:BYTE_3 src1_sel:DWORD
	s_andn2_b64 s[4:5], s[4:5], exec
	s_and_b64 s[8:9], s[8:9], exec
	s_or_b64 s[4:5], s[4:5], s[8:9]
	s_or_b64 exec, exec, s[6:7]
	s_and_saveexec_b64 s[6:7], s[4:5]
	s_cbranch_execnz .LBB4_831
	s_branch .LBB4_832
.LBB4_2881:
	s_movk_i32 s4, 0x80
	v_cmp_eq_u16_sdwa s[12:13], v16, s4 src0_sel:BYTE_0 src1_sel:DWORD
	s_mov_b64 s[4:5], -1
                                        ; implicit-def: $sgpr10
	s_and_saveexec_b64 s[8:9], s[12:13]
; %bb.2882:
	s_mov_b32 s10, 0x7f800001
	s_xor_b64 s[4:5], exec, -1
; %bb.2883:
	s_or_b64 exec, exec, s[8:9]
	s_and_b64 s[4:5], s[4:5], exec
	s_or_saveexec_b64 s[6:7], s[6:7]
	v_mov_b32_e32 v10, s10
	s_xor_b64 exec, exec, s[6:7]
	s_cbranch_execz .LBB4_834
.LBB4_2884:
	v_mov_b32_e32 v10, 0
	v_cmp_ne_u16_sdwa s[8:9], v16, v10 src0_sel:BYTE_0 src1_sel:DWORD
	s_andn2_b64 s[4:5], s[4:5], exec
	s_and_b64 s[8:9], s[8:9], exec
	s_or_b64 s[4:5], s[4:5], s[8:9]
	s_or_b64 exec, exec, s[6:7]
	s_and_saveexec_b64 s[6:7], s[4:5]
	s_cbranch_execnz .LBB4_835
	s_branch .LBB4_836
.LBB4_2885:
	s_movk_i32 s4, 0x80
	v_cmp_eq_u16_sdwa s[12:13], v12, s4 src0_sel:BYTE_0 src1_sel:DWORD
	s_mov_b64 s[4:5], -1
                                        ; implicit-def: $sgpr10
	s_and_saveexec_b64 s[8:9], s[12:13]
; %bb.2886:
	s_mov_b32 s10, 0x7f800001
	s_xor_b64 s[4:5], exec, -1
; %bb.2887:
	s_or_b64 exec, exec, s[8:9]
	s_and_b64 s[4:5], s[4:5], exec
	s_or_saveexec_b64 s[6:7], s[6:7]
	v_mov_b32_e32 v11, s10
	s_xor_b64 exec, exec, s[6:7]
	s_cbranch_execz .LBB4_838
.LBB4_2888:
	v_mov_b32_e32 v11, 0
	v_cmp_ne_u16_sdwa s[8:9], v12, v11 src0_sel:BYTE_0 src1_sel:DWORD
	s_andn2_b64 s[4:5], s[4:5], exec
	s_and_b64 s[8:9], s[8:9], exec
	s_or_b64 s[4:5], s[4:5], s[8:9]
	s_or_b64 exec, exec, s[6:7]
	s_and_saveexec_b64 s[6:7], s[4:5]
	s_cbranch_execnz .LBB4_839
	s_branch .LBB4_840
.LBB4_2889:
	s_movk_i32 s4, 0x80
	v_cmp_eq_u16_sdwa s[12:13], v11, s4 src0_sel:BYTE_0 src1_sel:DWORD
	s_mov_b64 s[4:5], -1
                                        ; implicit-def: $sgpr10
	s_and_saveexec_b64 s[8:9], s[12:13]
; %bb.2890:
	s_mov_b32 s10, 0x7f800001
	s_xor_b64 s[4:5], exec, -1
; %bb.2891:
	s_or_b64 exec, exec, s[8:9]
	s_and_b64 s[4:5], s[4:5], exec
	s_or_saveexec_b64 s[6:7], s[6:7]
	v_mov_b32_e32 v10, s10
	s_xor_b64 exec, exec, s[6:7]
	s_cbranch_execz .LBB4_842
.LBB4_2892:
	v_mov_b32_e32 v10, 0
	v_cmp_ne_u16_sdwa s[8:9], v11, v10 src0_sel:BYTE_0 src1_sel:DWORD
	s_andn2_b64 s[4:5], s[4:5], exec
	s_and_b64 s[8:9], s[8:9], exec
	s_or_b64 s[4:5], s[4:5], s[8:9]
	s_or_b64 exec, exec, s[6:7]
	s_and_saveexec_b64 s[6:7], s[4:5]
	s_cbranch_execnz .LBB4_843
	s_branch .LBB4_844
.LBB4_2893:
	s_movk_i32 s4, 0x80
	v_cmp_eq_u16_sdwa s[12:13], v11, s4 src0_sel:BYTE_0 src1_sel:DWORD
	s_mov_b64 s[4:5], -1
                                        ; implicit-def: $sgpr10
	s_and_saveexec_b64 s[8:9], s[12:13]
; %bb.2894:
	s_mov_b32 s10, 0x7f800001
	s_xor_b64 s[4:5], exec, -1
; %bb.2895:
	s_or_b64 exec, exec, s[8:9]
	s_and_b64 s[4:5], s[4:5], exec
	s_or_saveexec_b64 s[6:7], s[6:7]
	v_mov_b32_e32 v14, s10
	s_xor_b64 exec, exec, s[6:7]
	s_cbranch_execz .LBB4_846
.LBB4_2896:
	v_mov_b32_e32 v14, 0
	v_cmp_ne_u16_sdwa s[8:9], v11, v14 src0_sel:BYTE_0 src1_sel:DWORD
	s_andn2_b64 s[4:5], s[4:5], exec
	s_and_b64 s[8:9], s[8:9], exec
	s_or_b64 s[4:5], s[4:5], s[8:9]
	s_or_b64 exec, exec, s[6:7]
	s_and_saveexec_b64 s[6:7], s[4:5]
	s_cbranch_execnz .LBB4_847
	s_branch .LBB4_848
.LBB4_2897:
	s_movk_i32 s4, 0x80
	v_cmp_eq_u16_e32 vcc, s4, v11
	s_mov_b64 s[4:5], -1
                                        ; implicit-def: $sgpr10
	s_and_saveexec_b64 s[8:9], vcc
; %bb.2898:
	s_mov_b32 s10, 0x7f800001
	s_xor_b64 s[4:5], exec, -1
; %bb.2899:
	s_or_b64 exec, exec, s[8:9]
	s_and_b64 s[4:5], s[4:5], exec
                                        ; implicit-def: $vgpr11
	s_or_saveexec_b64 s[6:7], s[6:7]
	v_mov_b32_e32 v10, s10
	s_xor_b64 exec, exec, s[6:7]
	s_cbranch_execz .LBB4_850
.LBB4_2900:
	v_cmp_ne_u16_e32 vcc, 0, v11
	s_andn2_b64 s[4:5], s[4:5], exec
	s_and_b64 s[8:9], vcc, exec
	v_mov_b32_e32 v10, 0
	s_or_b64 s[4:5], s[4:5], s[8:9]
	s_or_b64 exec, exec, s[6:7]
	s_and_saveexec_b64 s[6:7], s[4:5]
	s_cbranch_execnz .LBB4_851
	s_branch .LBB4_852
.LBB4_2901:
	s_movk_i32 s4, 0x80
	v_cmp_eq_u16_e32 vcc, s4, v11
	s_mov_b64 s[4:5], -1
                                        ; implicit-def: $sgpr10
	s_and_saveexec_b64 s[8:9], vcc
; %bb.2902:
	s_mov_b32 s10, 0x7f800001
	s_xor_b64 s[4:5], exec, -1
; %bb.2903:
	s_or_b64 exec, exec, s[8:9]
	s_and_b64 s[4:5], s[4:5], exec
                                        ; implicit-def: $vgpr11
	s_or_saveexec_b64 s[6:7], s[6:7]
	v_mov_b32_e32 v14, s10
	s_xor_b64 exec, exec, s[6:7]
	s_cbranch_execz .LBB4_854
.LBB4_2904:
	v_cmp_ne_u16_e32 vcc, 0, v11
	s_andn2_b64 s[4:5], s[4:5], exec
	s_and_b64 s[8:9], vcc, exec
	v_mov_b32_e32 v14, 0
	s_or_b64 s[4:5], s[4:5], s[8:9]
	s_or_b64 exec, exec, s[6:7]
	s_and_saveexec_b64 s[6:7], s[4:5]
	s_cbranch_execnz .LBB4_855
	s_branch .LBB4_856
.LBB4_2905:
	s_movk_i32 s4, 0x80
	v_cmp_eq_u16_sdwa s[12:13], v16, s4 src0_sel:BYTE_3 src1_sel:DWORD
	s_mov_b64 s[4:5], -1
                                        ; implicit-def: $sgpr10
	s_and_saveexec_b64 s[8:9], s[12:13]
; %bb.2906:
	s_mov_b32 s10, 0x7f800001
	s_xor_b64 s[4:5], exec, -1
; %bb.2907:
	s_or_b64 exec, exec, s[8:9]
	s_and_b64 s[4:5], s[4:5], exec
	s_or_saveexec_b64 s[6:7], s[6:7]
	v_mov_b32_e32 v10, s10
	s_xor_b64 exec, exec, s[6:7]
	s_cbranch_execz .LBB4_858
.LBB4_2908:
	v_mov_b32_e32 v10, 0
	v_cmp_ne_u16_sdwa s[8:9], v16, v10 src0_sel:BYTE_3 src1_sel:DWORD
	s_andn2_b64 s[4:5], s[4:5], exec
	s_and_b64 s[8:9], s[8:9], exec
	s_or_b64 s[4:5], s[4:5], s[8:9]
	s_or_b64 exec, exec, s[6:7]
	s_and_saveexec_b64 s[6:7], s[4:5]
	s_cbranch_execnz .LBB4_859
	s_branch .LBB4_860
.LBB4_2909:
	s_movk_i32 s4, 0x80
	v_cmp_eq_u16_sdwa s[12:13], v12, s4 src0_sel:BYTE_3 src1_sel:DWORD
	s_mov_b64 s[4:5], -1
                                        ; implicit-def: $sgpr10
	s_and_saveexec_b64 s[8:9], s[12:13]
; %bb.2910:
	s_mov_b32 s10, 0x7f800001
	s_xor_b64 s[4:5], exec, -1
; %bb.2911:
	s_or_b64 exec, exec, s[8:9]
	s_and_b64 s[4:5], s[4:5], exec
	s_or_saveexec_b64 s[6:7], s[6:7]
	v_mov_b32_e32 v11, s10
	s_xor_b64 exec, exec, s[6:7]
	s_cbranch_execz .LBB4_862
.LBB4_2912:
	v_mov_b32_e32 v11, 0
	v_cmp_ne_u16_sdwa s[8:9], v12, v11 src0_sel:BYTE_3 src1_sel:DWORD
	s_andn2_b64 s[4:5], s[4:5], exec
	s_and_b64 s[8:9], s[8:9], exec
	s_or_b64 s[4:5], s[4:5], s[8:9]
	s_or_b64 exec, exec, s[6:7]
	s_and_saveexec_b64 s[6:7], s[4:5]
	s_cbranch_execnz .LBB4_863
	s_branch .LBB4_864
.LBB4_2913:
	s_movk_i32 s4, 0x80
	v_cmp_eq_u16_sdwa s[12:13], v17, s4 src0_sel:BYTE_0 src1_sel:DWORD
	s_mov_b64 s[4:5], -1
                                        ; implicit-def: $sgpr10
	s_and_saveexec_b64 s[8:9], s[12:13]
; %bb.2914:
	s_mov_b32 s10, 0x7f800001
	s_xor_b64 s[4:5], exec, -1
; %bb.2915:
	s_or_b64 exec, exec, s[8:9]
	s_and_b64 s[4:5], s[4:5], exec
	s_or_saveexec_b64 s[6:7], s[6:7]
	v_mov_b32_e32 v10, s10
	s_xor_b64 exec, exec, s[6:7]
	s_cbranch_execz .LBB4_866
.LBB4_2916:
	v_mov_b32_e32 v10, 0
	v_cmp_ne_u16_sdwa s[8:9], v17, v10 src0_sel:BYTE_0 src1_sel:DWORD
	s_andn2_b64 s[4:5], s[4:5], exec
	s_and_b64 s[8:9], s[8:9], exec
	s_or_b64 s[4:5], s[4:5], s[8:9]
	s_or_b64 exec, exec, s[6:7]
	s_and_saveexec_b64 s[6:7], s[4:5]
	s_cbranch_execnz .LBB4_867
	s_branch .LBB4_868
.LBB4_2917:
	s_movk_i32 s4, 0x80
	v_cmp_eq_u16_sdwa s[12:13], v13, s4 src0_sel:BYTE_0 src1_sel:DWORD
	s_mov_b64 s[4:5], -1
                                        ; implicit-def: $sgpr10
	s_and_saveexec_b64 s[8:9], s[12:13]
; %bb.2918:
	s_mov_b32 s10, 0x7f800001
	s_xor_b64 s[4:5], exec, -1
; %bb.2919:
	s_or_b64 exec, exec, s[8:9]
	s_and_b64 s[4:5], s[4:5], exec
	s_or_saveexec_b64 s[6:7], s[6:7]
	v_mov_b32_e32 v11, s10
	s_xor_b64 exec, exec, s[6:7]
	s_cbranch_execz .LBB4_870
.LBB4_2920:
	v_mov_b32_e32 v11, 0
	v_cmp_ne_u16_sdwa s[8:9], v13, v11 src0_sel:BYTE_0 src1_sel:DWORD
	s_andn2_b64 s[4:5], s[4:5], exec
	s_and_b64 s[8:9], s[8:9], exec
	s_or_b64 s[4:5], s[4:5], s[8:9]
	s_or_b64 exec, exec, s[6:7]
	s_and_saveexec_b64 s[6:7], s[4:5]
	s_cbranch_execnz .LBB4_871
	s_branch .LBB4_872
.LBB4_2921:
	s_movk_i32 s4, 0x80
	v_cmp_eq_u16_sdwa s[12:13], v11, s4 src0_sel:BYTE_0 src1_sel:DWORD
	s_mov_b64 s[4:5], -1
                                        ; implicit-def: $sgpr10
	s_and_saveexec_b64 s[8:9], s[12:13]
; %bb.2922:
	s_mov_b32 s10, 0x7f800001
	s_xor_b64 s[4:5], exec, -1
; %bb.2923:
	s_or_b64 exec, exec, s[8:9]
	s_and_b64 s[4:5], s[4:5], exec
	s_or_saveexec_b64 s[6:7], s[6:7]
	v_mov_b32_e32 v10, s10
	s_xor_b64 exec, exec, s[6:7]
	s_cbranch_execz .LBB4_874
.LBB4_2924:
	v_mov_b32_e32 v10, 0
	v_cmp_ne_u16_sdwa s[8:9], v11, v10 src0_sel:BYTE_0 src1_sel:DWORD
	s_andn2_b64 s[4:5], s[4:5], exec
	s_and_b64 s[8:9], s[8:9], exec
	s_or_b64 s[4:5], s[4:5], s[8:9]
	s_or_b64 exec, exec, s[6:7]
	s_and_saveexec_b64 s[6:7], s[4:5]
	s_cbranch_execnz .LBB4_875
	s_branch .LBB4_876
.LBB4_2925:
	s_movk_i32 s4, 0x80
	v_cmp_eq_u16_sdwa s[12:13], v11, s4 src0_sel:BYTE_0 src1_sel:DWORD
	s_mov_b64 s[4:5], -1
                                        ; implicit-def: $sgpr10
	s_and_saveexec_b64 s[8:9], s[12:13]
; %bb.2926:
	s_mov_b32 s10, 0x7f800001
	s_xor_b64 s[4:5], exec, -1
; %bb.2927:
	s_or_b64 exec, exec, s[8:9]
	s_and_b64 s[4:5], s[4:5], exec
	s_or_saveexec_b64 s[6:7], s[6:7]
	v_mov_b32_e32 v12, s10
	s_xor_b64 exec, exec, s[6:7]
	s_cbranch_execz .LBB4_878
.LBB4_2928:
	v_mov_b32_e32 v12, 0
	v_cmp_ne_u16_sdwa s[8:9], v11, v12 src0_sel:BYTE_0 src1_sel:DWORD
	s_andn2_b64 s[4:5], s[4:5], exec
	s_and_b64 s[8:9], s[8:9], exec
	s_or_b64 s[4:5], s[4:5], s[8:9]
	s_or_b64 exec, exec, s[6:7]
	s_and_saveexec_b64 s[6:7], s[4:5]
	s_cbranch_execnz .LBB4_879
	s_branch .LBB4_880
.LBB4_2929:
	s_movk_i32 s4, 0x80
	v_cmp_eq_u16_e32 vcc, s4, v11
	s_mov_b64 s[4:5], -1
                                        ; implicit-def: $sgpr10
	s_and_saveexec_b64 s[8:9], vcc
; %bb.2930:
	s_mov_b32 s10, 0x7f800001
	s_xor_b64 s[4:5], exec, -1
; %bb.2931:
	s_or_b64 exec, exec, s[8:9]
	s_and_b64 s[4:5], s[4:5], exec
                                        ; implicit-def: $vgpr11
	s_or_saveexec_b64 s[6:7], s[6:7]
	v_mov_b32_e32 v10, s10
	s_xor_b64 exec, exec, s[6:7]
	s_cbranch_execz .LBB4_882
.LBB4_2932:
	v_cmp_ne_u16_e32 vcc, 0, v11
	s_andn2_b64 s[4:5], s[4:5], exec
	s_and_b64 s[8:9], vcc, exec
	v_mov_b32_e32 v10, 0
	s_or_b64 s[4:5], s[4:5], s[8:9]
	s_or_b64 exec, exec, s[6:7]
	s_and_saveexec_b64 s[6:7], s[4:5]
	s_cbranch_execnz .LBB4_883
	s_branch .LBB4_884
.LBB4_2933:
	s_movk_i32 s4, 0x80
	v_cmp_eq_u16_e32 vcc, s4, v11
	s_mov_b64 s[4:5], -1
                                        ; implicit-def: $sgpr10
	s_and_saveexec_b64 s[8:9], vcc
; %bb.2934:
	s_mov_b32 s10, 0x7f800001
	s_xor_b64 s[4:5], exec, -1
; %bb.2935:
	s_or_b64 exec, exec, s[8:9]
	s_and_b64 s[4:5], s[4:5], exec
                                        ; implicit-def: $vgpr11
	s_or_saveexec_b64 s[6:7], s[6:7]
	v_mov_b32_e32 v12, s10
	s_xor_b64 exec, exec, s[6:7]
	s_cbranch_execz .LBB4_886
.LBB4_2936:
	v_cmp_ne_u16_e32 vcc, 0, v11
	s_andn2_b64 s[4:5], s[4:5], exec
	s_and_b64 s[8:9], vcc, exec
	v_mov_b32_e32 v12, 0
	s_or_b64 s[4:5], s[4:5], s[8:9]
	s_or_b64 exec, exec, s[6:7]
	s_and_saveexec_b64 s[6:7], s[4:5]
	s_cbranch_execnz .LBB4_887
	s_branch .LBB4_888
.LBB4_2937:
	s_movk_i32 s4, 0x80
	v_cmp_eq_u16_sdwa s[12:13], v17, s4 src0_sel:BYTE_3 src1_sel:DWORD
	s_mov_b64 s[4:5], -1
                                        ; implicit-def: $sgpr10
	s_and_saveexec_b64 s[8:9], s[12:13]
; %bb.2938:
	s_mov_b32 s10, 0x7f800001
	s_xor_b64 s[4:5], exec, -1
; %bb.2939:
	s_or_b64 exec, exec, s[8:9]
	s_and_b64 s[4:5], s[4:5], exec
	s_or_saveexec_b64 s[6:7], s[6:7]
	v_mov_b32_e32 v10, s10
	s_xor_b64 exec, exec, s[6:7]
	s_cbranch_execz .LBB4_890
.LBB4_2940:
	v_mov_b32_e32 v10, 0
	v_cmp_ne_u16_sdwa s[8:9], v17, v10 src0_sel:BYTE_3 src1_sel:DWORD
	s_andn2_b64 s[4:5], s[4:5], exec
	s_and_b64 s[8:9], s[8:9], exec
	s_or_b64 s[4:5], s[4:5], s[8:9]
	s_or_b64 exec, exec, s[6:7]
	s_and_saveexec_b64 s[6:7], s[4:5]
	s_cbranch_execnz .LBB4_891
	s_branch .LBB4_892
.LBB4_2941:
	s_movk_i32 s4, 0x80
	v_cmp_eq_u16_sdwa s[12:13], v13, s4 src0_sel:BYTE_3 src1_sel:DWORD
	s_mov_b64 s[4:5], -1
                                        ; implicit-def: $sgpr10
	s_and_saveexec_b64 s[8:9], s[12:13]
; %bb.2942:
	s_mov_b32 s10, 0x7f800001
	s_xor_b64 s[4:5], exec, -1
; %bb.2943:
	s_or_b64 exec, exec, s[8:9]
	s_and_b64 s[4:5], s[4:5], exec
	s_or_saveexec_b64 s[6:7], s[6:7]
	v_mov_b32_e32 v11, s10
	s_xor_b64 exec, exec, s[6:7]
	s_cbranch_execz .LBB4_894
.LBB4_2944:
	v_mov_b32_e32 v11, 0
	v_cmp_ne_u16_sdwa s[8:9], v13, v11 src0_sel:BYTE_3 src1_sel:DWORD
	s_andn2_b64 s[4:5], s[4:5], exec
	s_and_b64 s[8:9], s[8:9], exec
	s_or_b64 s[4:5], s[4:5], s[8:9]
	s_or_b64 exec, exec, s[6:7]
	s_and_saveexec_b64 s[6:7], s[4:5]
	s_cbranch_execnz .LBB4_895
	s_branch .LBB4_896
.LBB4_2945:
	s_movk_i32 s4, 0x80
	v_cmp_eq_u16_sdwa s[12:13], v6, s4 src0_sel:BYTE_0 src1_sel:DWORD
	s_mov_b64 s[4:5], -1
                                        ; implicit-def: $sgpr10
	s_and_saveexec_b64 s[8:9], s[12:13]
; %bb.2946:
	s_mov_b32 s10, 0x7f800001
	s_xor_b64 s[4:5], exec, -1
; %bb.2947:
	s_or_b64 exec, exec, s[8:9]
	s_and_b64 s[4:5], s[4:5], exec
	s_or_saveexec_b64 s[6:7], s[6:7]
	v_mov_b32_e32 v10, s10
	s_xor_b64 exec, exec, s[6:7]
	s_cbranch_execz .LBB4_898
.LBB4_2948:
	v_mov_b32_e32 v10, 0
	v_cmp_ne_u16_sdwa s[8:9], v6, v10 src0_sel:BYTE_0 src1_sel:DWORD
	s_andn2_b64 s[4:5], s[4:5], exec
	s_and_b64 s[8:9], s[8:9], exec
	s_or_b64 s[4:5], s[4:5], s[8:9]
	s_or_b64 exec, exec, s[6:7]
	s_and_saveexec_b64 s[6:7], s[4:5]
	s_cbranch_execnz .LBB4_899
	s_branch .LBB4_900
.LBB4_2949:
	s_movk_i32 s4, 0x80
	v_cmp_eq_u16_sdwa s[12:13], v2, s4 src0_sel:BYTE_0 src1_sel:DWORD
	s_mov_b64 s[4:5], -1
                                        ; implicit-def: $sgpr10
	s_and_saveexec_b64 s[8:9], s[12:13]
; %bb.2950:
	s_mov_b32 s10, 0x7f800001
	s_xor_b64 s[4:5], exec, -1
; %bb.2951:
	s_or_b64 exec, exec, s[8:9]
	s_and_b64 s[4:5], s[4:5], exec
	s_or_saveexec_b64 s[6:7], s[6:7]
	v_mov_b32_e32 v11, s10
	s_xor_b64 exec, exec, s[6:7]
	s_cbranch_execz .LBB4_902
.LBB4_2952:
	v_mov_b32_e32 v11, 0
	v_cmp_ne_u16_sdwa s[8:9], v2, v11 src0_sel:BYTE_0 src1_sel:DWORD
	s_andn2_b64 s[4:5], s[4:5], exec
	s_and_b64 s[8:9], s[8:9], exec
	s_or_b64 s[4:5], s[4:5], s[8:9]
	s_or_b64 exec, exec, s[6:7]
	s_and_saveexec_b64 s[6:7], s[4:5]
	s_cbranch_execnz .LBB4_903
	s_branch .LBB4_904
.LBB4_2953:
	s_movk_i32 s4, 0x80
	v_cmp_eq_u16_sdwa s[12:13], v11, s4 src0_sel:BYTE_0 src1_sel:DWORD
	s_mov_b64 s[4:5], -1
                                        ; implicit-def: $sgpr10
	s_and_saveexec_b64 s[8:9], s[12:13]
; %bb.2954:
	s_mov_b32 s10, 0x7f800001
	s_xor_b64 s[4:5], exec, -1
; %bb.2955:
	s_or_b64 exec, exec, s[8:9]
	s_and_b64 s[4:5], s[4:5], exec
	s_or_saveexec_b64 s[6:7], s[6:7]
	v_mov_b32_e32 v10, s10
	s_xor_b64 exec, exec, s[6:7]
	s_cbranch_execz .LBB4_906
.LBB4_2956:
	v_mov_b32_e32 v10, 0
	v_cmp_ne_u16_sdwa s[8:9], v11, v10 src0_sel:BYTE_0 src1_sel:DWORD
	s_andn2_b64 s[4:5], s[4:5], exec
	s_and_b64 s[8:9], s[8:9], exec
	s_or_b64 s[4:5], s[4:5], s[8:9]
	s_or_b64 exec, exec, s[6:7]
	s_and_saveexec_b64 s[6:7], s[4:5]
	s_cbranch_execnz .LBB4_907
	s_branch .LBB4_908
.LBB4_2957:
	s_movk_i32 s4, 0x80
	v_cmp_eq_u16_sdwa s[12:13], v11, s4 src0_sel:BYTE_0 src1_sel:DWORD
	s_mov_b64 s[4:5], -1
                                        ; implicit-def: $sgpr10
	s_and_saveexec_b64 s[8:9], s[12:13]
; %bb.2958:
	s_mov_b32 s10, 0x7f800001
	s_xor_b64 s[4:5], exec, -1
; %bb.2959:
	s_or_b64 exec, exec, s[8:9]
	s_and_b64 s[4:5], s[4:5], exec
	s_or_saveexec_b64 s[6:7], s[6:7]
	v_mov_b32_e32 v12, s10
	s_xor_b64 exec, exec, s[6:7]
	s_cbranch_execz .LBB4_910
.LBB4_2960:
	v_mov_b32_e32 v12, 0
	v_cmp_ne_u16_sdwa s[8:9], v11, v12 src0_sel:BYTE_0 src1_sel:DWORD
	s_andn2_b64 s[4:5], s[4:5], exec
	s_and_b64 s[8:9], s[8:9], exec
	s_or_b64 s[4:5], s[4:5], s[8:9]
	s_or_b64 exec, exec, s[6:7]
	s_and_saveexec_b64 s[6:7], s[4:5]
	s_cbranch_execnz .LBB4_911
	s_branch .LBB4_912
.LBB4_2961:
	s_movk_i32 s4, 0x80
	v_cmp_eq_u16_e32 vcc, s4, v11
	s_mov_b64 s[4:5], -1
                                        ; implicit-def: $sgpr10
	s_and_saveexec_b64 s[8:9], vcc
; %bb.2962:
	s_mov_b32 s10, 0x7f800001
	s_xor_b64 s[4:5], exec, -1
; %bb.2963:
	s_or_b64 exec, exec, s[8:9]
	s_and_b64 s[4:5], s[4:5], exec
                                        ; implicit-def: $vgpr11
	s_or_saveexec_b64 s[6:7], s[6:7]
	v_mov_b32_e32 v10, s10
	s_xor_b64 exec, exec, s[6:7]
	s_cbranch_execz .LBB4_914
.LBB4_2964:
	v_cmp_ne_u16_e32 vcc, 0, v11
	s_andn2_b64 s[4:5], s[4:5], exec
	s_and_b64 s[8:9], vcc, exec
	v_mov_b32_e32 v10, 0
	s_or_b64 s[4:5], s[4:5], s[8:9]
	s_or_b64 exec, exec, s[6:7]
	s_and_saveexec_b64 s[6:7], s[4:5]
	s_cbranch_execnz .LBB4_915
	s_branch .LBB4_916
.LBB4_2965:
	s_movk_i32 s4, 0x80
	v_cmp_eq_u16_e32 vcc, s4, v11
	s_mov_b64 s[4:5], -1
                                        ; implicit-def: $sgpr10
	s_and_saveexec_b64 s[8:9], vcc
; %bb.2966:
	s_mov_b32 s10, 0x7f800001
	s_xor_b64 s[4:5], exec, -1
; %bb.2967:
	s_or_b64 exec, exec, s[8:9]
	s_and_b64 s[4:5], s[4:5], exec
                                        ; implicit-def: $vgpr11
	s_or_saveexec_b64 s[6:7], s[6:7]
	v_mov_b32_e32 v12, s10
	s_xor_b64 exec, exec, s[6:7]
	s_cbranch_execz .LBB4_918
.LBB4_2968:
	v_cmp_ne_u16_e32 vcc, 0, v11
	s_andn2_b64 s[4:5], s[4:5], exec
	s_and_b64 s[8:9], vcc, exec
	v_mov_b32_e32 v12, 0
	s_or_b64 s[4:5], s[4:5], s[8:9]
	s_or_b64 exec, exec, s[6:7]
	s_and_saveexec_b64 s[6:7], s[4:5]
	s_cbranch_execnz .LBB4_919
	s_branch .LBB4_920
.LBB4_2969:
	s_movk_i32 s4, 0x80
	v_cmp_eq_u16_sdwa s[12:13], v6, s4 src0_sel:BYTE_3 src1_sel:DWORD
	s_mov_b64 s[4:5], -1
                                        ; implicit-def: $sgpr10
	s_and_saveexec_b64 s[8:9], s[12:13]
; %bb.2970:
	s_mov_b32 s10, 0x7f800001
	s_xor_b64 s[4:5], exec, -1
; %bb.2971:
	s_or_b64 exec, exec, s[8:9]
	s_and_b64 s[4:5], s[4:5], exec
	s_or_saveexec_b64 s[6:7], s[6:7]
	v_mov_b32_e32 v10, s10
	s_xor_b64 exec, exec, s[6:7]
	s_cbranch_execz .LBB4_922
.LBB4_2972:
	v_mov_b32_e32 v10, 0
	v_cmp_ne_u16_sdwa s[8:9], v6, v10 src0_sel:BYTE_3 src1_sel:DWORD
	s_andn2_b64 s[4:5], s[4:5], exec
	s_and_b64 s[8:9], s[8:9], exec
	s_or_b64 s[4:5], s[4:5], s[8:9]
	s_or_b64 exec, exec, s[6:7]
	s_and_saveexec_b64 s[6:7], s[4:5]
	s_cbranch_execnz .LBB4_923
	s_branch .LBB4_924
.LBB4_2973:
	s_movk_i32 s4, 0x80
	v_cmp_eq_u16_sdwa s[12:13], v2, s4 src0_sel:BYTE_3 src1_sel:DWORD
	s_mov_b64 s[4:5], -1
                                        ; implicit-def: $sgpr10
	s_and_saveexec_b64 s[8:9], s[12:13]
; %bb.2974:
	s_mov_b32 s10, 0x7f800001
	s_xor_b64 s[4:5], exec, -1
; %bb.2975:
	s_or_b64 exec, exec, s[8:9]
	s_and_b64 s[4:5], s[4:5], exec
	s_or_saveexec_b64 s[6:7], s[6:7]
	v_mov_b32_e32 v6, s10
	s_xor_b64 exec, exec, s[6:7]
	s_cbranch_execz .LBB4_926
.LBB4_2976:
	v_mov_b32_e32 v6, 0
	v_cmp_ne_u16_sdwa s[8:9], v2, v6 src0_sel:BYTE_3 src1_sel:DWORD
	s_andn2_b64 s[4:5], s[4:5], exec
	s_and_b64 s[8:9], s[8:9], exec
	s_or_b64 s[4:5], s[4:5], s[8:9]
	s_or_b64 exec, exec, s[6:7]
	s_and_saveexec_b64 s[6:7], s[4:5]
	s_cbranch_execnz .LBB4_927
	s_branch .LBB4_928
.LBB4_2977:
	s_movk_i32 s4, 0x80
	v_cmp_eq_u16_sdwa s[12:13], v7, s4 src0_sel:BYTE_0 src1_sel:DWORD
	s_mov_b64 s[4:5], -1
                                        ; implicit-def: $sgpr10
	s_and_saveexec_b64 s[8:9], s[12:13]
; %bb.2978:
	s_mov_b32 s10, 0x7f800001
	s_xor_b64 s[4:5], exec, -1
; %bb.2979:
	s_or_b64 exec, exec, s[8:9]
	s_and_b64 s[4:5], s[4:5], exec
	s_or_saveexec_b64 s[6:7], s[6:7]
	v_mov_b32_e32 v2, s10
	s_xor_b64 exec, exec, s[6:7]
	s_cbranch_execz .LBB4_930
.LBB4_2980:
	v_mov_b32_e32 v2, 0
	v_cmp_ne_u16_sdwa s[8:9], v7, v2 src0_sel:BYTE_0 src1_sel:DWORD
	s_andn2_b64 s[4:5], s[4:5], exec
	s_and_b64 s[8:9], s[8:9], exec
	s_or_b64 s[4:5], s[4:5], s[8:9]
	s_or_b64 exec, exec, s[6:7]
	s_and_saveexec_b64 s[6:7], s[4:5]
	s_cbranch_execnz .LBB4_931
	s_branch .LBB4_932
.LBB4_2981:
	s_movk_i32 s4, 0x80
	v_cmp_eq_u16_sdwa s[12:13], v3, s4 src0_sel:BYTE_0 src1_sel:DWORD
	s_mov_b64 s[4:5], -1
                                        ; implicit-def: $sgpr10
	s_and_saveexec_b64 s[8:9], s[12:13]
; %bb.2982:
	s_mov_b32 s10, 0x7f800001
	s_xor_b64 s[4:5], exec, -1
; %bb.2983:
	s_or_b64 exec, exec, s[8:9]
	s_and_b64 s[4:5], s[4:5], exec
	s_or_saveexec_b64 s[6:7], s[6:7]
	v_mov_b32_e32 v6, s10
	s_xor_b64 exec, exec, s[6:7]
	s_cbranch_execz .LBB4_934
.LBB4_2984:
	v_mov_b32_e32 v6, 0
	v_cmp_ne_u16_sdwa s[8:9], v3, v6 src0_sel:BYTE_0 src1_sel:DWORD
	s_andn2_b64 s[4:5], s[4:5], exec
	s_and_b64 s[8:9], s[8:9], exec
	s_or_b64 s[4:5], s[4:5], s[8:9]
	s_or_b64 exec, exec, s[6:7]
	s_and_saveexec_b64 s[6:7], s[4:5]
	s_cbranch_execnz .LBB4_935
	s_branch .LBB4_936
.LBB4_2985:
	s_movk_i32 s4, 0x80
	v_cmp_eq_u16_sdwa s[12:13], v6, s4 src0_sel:BYTE_0 src1_sel:DWORD
	s_mov_b64 s[4:5], -1
                                        ; implicit-def: $sgpr10
	s_and_saveexec_b64 s[8:9], s[12:13]
; %bb.2986:
	s_mov_b32 s10, 0x7f800001
	s_xor_b64 s[4:5], exec, -1
; %bb.2987:
	s_or_b64 exec, exec, s[8:9]
	s_and_b64 s[4:5], s[4:5], exec
	s_or_saveexec_b64 s[6:7], s[6:7]
	v_mov_b32_e32 v2, s10
	s_xor_b64 exec, exec, s[6:7]
	s_cbranch_execz .LBB4_938
.LBB4_2988:
	v_mov_b32_e32 v2, 0
	v_cmp_ne_u16_sdwa s[8:9], v6, v2 src0_sel:BYTE_0 src1_sel:DWORD
	s_andn2_b64 s[4:5], s[4:5], exec
	s_and_b64 s[8:9], s[8:9], exec
	s_or_b64 s[4:5], s[4:5], s[8:9]
	s_or_b64 exec, exec, s[6:7]
	s_and_saveexec_b64 s[6:7], s[4:5]
	s_cbranch_execnz .LBB4_939
	s_branch .LBB4_940
.LBB4_2989:
	s_movk_i32 s4, 0x80
	v_cmp_eq_u16_sdwa s[12:13], v6, s4 src0_sel:BYTE_0 src1_sel:DWORD
	s_mov_b64 s[4:5], -1
                                        ; implicit-def: $sgpr10
	s_and_saveexec_b64 s[8:9], s[12:13]
; %bb.2990:
	s_mov_b32 s10, 0x7f800001
	s_xor_b64 s[4:5], exec, -1
; %bb.2991:
	s_or_b64 exec, exec, s[8:9]
	s_and_b64 s[4:5], s[4:5], exec
	s_or_saveexec_b64 s[6:7], s[6:7]
	v_mov_b32_e32 v10, s10
	s_xor_b64 exec, exec, s[6:7]
	s_cbranch_execz .LBB4_942
.LBB4_2992:
	v_mov_b32_e32 v10, 0
	v_cmp_ne_u16_sdwa s[8:9], v6, v10 src0_sel:BYTE_0 src1_sel:DWORD
	s_andn2_b64 s[4:5], s[4:5], exec
	s_and_b64 s[8:9], s[8:9], exec
	s_or_b64 s[4:5], s[4:5], s[8:9]
	s_or_b64 exec, exec, s[6:7]
	s_and_saveexec_b64 s[6:7], s[4:5]
	s_cbranch_execnz .LBB4_943
	s_branch .LBB4_944
.LBB4_2993:
	s_movk_i32 s4, 0x80
	v_cmp_eq_u16_e32 vcc, s4, v6
	s_mov_b64 s[4:5], -1
                                        ; implicit-def: $sgpr10
	s_and_saveexec_b64 s[8:9], vcc
; %bb.2994:
	s_mov_b32 s10, 0x7f800001
	s_xor_b64 s[4:5], exec, -1
; %bb.2995:
	s_or_b64 exec, exec, s[8:9]
	s_and_b64 s[4:5], s[4:5], exec
                                        ; implicit-def: $vgpr6
	s_or_saveexec_b64 s[6:7], s[6:7]
	v_mov_b32_e32 v2, s10
	s_xor_b64 exec, exec, s[6:7]
	s_cbranch_execz .LBB4_946
.LBB4_2996:
	v_cmp_ne_u16_e32 vcc, 0, v6
	s_andn2_b64 s[4:5], s[4:5], exec
	s_and_b64 s[8:9], vcc, exec
	v_mov_b32_e32 v2, 0
	s_or_b64 s[4:5], s[4:5], s[8:9]
	s_or_b64 exec, exec, s[6:7]
	s_and_saveexec_b64 s[6:7], s[4:5]
	s_cbranch_execnz .LBB4_947
	s_branch .LBB4_948
.LBB4_2997:
	s_movk_i32 s4, 0x80
	v_cmp_eq_u16_e32 vcc, s4, v6
	s_mov_b64 s[4:5], -1
                                        ; implicit-def: $sgpr10
	s_and_saveexec_b64 s[8:9], vcc
; %bb.2998:
	s_mov_b32 s10, 0x7f800001
	s_xor_b64 s[4:5], exec, -1
; %bb.2999:
	s_or_b64 exec, exec, s[8:9]
	s_and_b64 s[4:5], s[4:5], exec
                                        ; implicit-def: $vgpr6
	s_or_saveexec_b64 s[6:7], s[6:7]
	v_mov_b32_e32 v10, s10
	s_xor_b64 exec, exec, s[6:7]
	s_cbranch_execz .LBB4_950
.LBB4_3000:
	v_cmp_ne_u16_e32 vcc, 0, v6
	s_andn2_b64 s[4:5], s[4:5], exec
	s_and_b64 s[8:9], vcc, exec
	v_mov_b32_e32 v10, 0
	s_or_b64 s[4:5], s[4:5], s[8:9]
	s_or_b64 exec, exec, s[6:7]
	s_and_saveexec_b64 s[6:7], s[4:5]
	s_cbranch_execnz .LBB4_951
	s_branch .LBB4_952
.LBB4_3001:
	s_movk_i32 s4, 0x80
	v_cmp_eq_u16_sdwa s[12:13], v7, s4 src0_sel:BYTE_3 src1_sel:DWORD
	s_mov_b64 s[4:5], -1
                                        ; implicit-def: $sgpr10
	s_and_saveexec_b64 s[8:9], s[12:13]
; %bb.3002:
	s_mov_b32 s10, 0x7f800001
	s_xor_b64 s[4:5], exec, -1
; %bb.3003:
	s_or_b64 exec, exec, s[8:9]
	s_and_b64 s[4:5], s[4:5], exec
	s_or_saveexec_b64 s[6:7], s[6:7]
	v_mov_b32_e32 v2, s10
	s_xor_b64 exec, exec, s[6:7]
	s_cbranch_execz .LBB4_954
.LBB4_3004:
	v_mov_b32_e32 v2, 0
	v_cmp_ne_u16_sdwa s[8:9], v7, v2 src0_sel:BYTE_3 src1_sel:DWORD
	s_andn2_b64 s[4:5], s[4:5], exec
	s_and_b64 s[8:9], s[8:9], exec
	s_or_b64 s[4:5], s[4:5], s[8:9]
	s_or_b64 exec, exec, s[6:7]
	s_and_saveexec_b64 s[6:7], s[4:5]
	s_cbranch_execnz .LBB4_955
	s_branch .LBB4_956
.LBB4_3005:
	s_movk_i32 s4, 0x80
	v_cmp_eq_u16_sdwa s[12:13], v3, s4 src0_sel:BYTE_3 src1_sel:DWORD
	s_mov_b64 s[4:5], -1
                                        ; implicit-def: $sgpr10
	s_and_saveexec_b64 s[8:9], s[12:13]
; %bb.3006:
	s_mov_b32 s10, 0x7f800001
	s_xor_b64 s[4:5], exec, -1
; %bb.3007:
	s_or_b64 exec, exec, s[8:9]
	s_and_b64 s[4:5], s[4:5], exec
	s_or_saveexec_b64 s[6:7], s[6:7]
	v_mov_b32_e32 v6, s10
	s_xor_b64 exec, exec, s[6:7]
	s_cbranch_execz .LBB4_958
.LBB4_3008:
	v_mov_b32_e32 v6, 0
	v_cmp_ne_u16_sdwa s[8:9], v3, v6 src0_sel:BYTE_3 src1_sel:DWORD
	s_andn2_b64 s[4:5], s[4:5], exec
	s_and_b64 s[8:9], s[8:9], exec
	s_or_b64 s[4:5], s[4:5], s[8:9]
	s_or_b64 exec, exec, s[6:7]
	s_and_saveexec_b64 s[6:7], s[4:5]
	s_cbranch_execnz .LBB4_959
	s_branch .LBB4_960
.LBB4_3009:
	s_movk_i32 s4, 0x80
	v_cmp_eq_u16_sdwa s[12:13], v8, s4 src0_sel:BYTE_0 src1_sel:DWORD
	s_mov_b64 s[4:5], -1
                                        ; implicit-def: $sgpr10
	s_and_saveexec_b64 s[8:9], s[12:13]
; %bb.3010:
	s_mov_b32 s10, 0x7f800001
	s_xor_b64 s[4:5], exec, -1
; %bb.3011:
	s_or_b64 exec, exec, s[8:9]
	s_and_b64 s[4:5], s[4:5], exec
	s_or_saveexec_b64 s[6:7], s[6:7]
	v_mov_b32_e32 v2, s10
	s_xor_b64 exec, exec, s[6:7]
	s_cbranch_execz .LBB4_962
.LBB4_3012:
	v_mov_b32_e32 v2, 0
	v_cmp_ne_u16_sdwa s[8:9], v8, v2 src0_sel:BYTE_0 src1_sel:DWORD
	s_andn2_b64 s[4:5], s[4:5], exec
	s_and_b64 s[8:9], s[8:9], exec
	s_or_b64 s[4:5], s[4:5], s[8:9]
	s_or_b64 exec, exec, s[6:7]
	s_and_saveexec_b64 s[6:7], s[4:5]
	s_cbranch_execnz .LBB4_963
	s_branch .LBB4_964
.LBB4_3013:
	s_movk_i32 s4, 0x80
	v_cmp_eq_u16_sdwa s[12:13], v4, s4 src0_sel:BYTE_0 src1_sel:DWORD
	s_mov_b64 s[4:5], -1
                                        ; implicit-def: $sgpr10
	s_and_saveexec_b64 s[8:9], s[12:13]
; %bb.3014:
	s_mov_b32 s10, 0x7f800001
	s_xor_b64 s[4:5], exec, -1
; %bb.3015:
	s_or_b64 exec, exec, s[8:9]
	s_and_b64 s[4:5], s[4:5], exec
	s_or_saveexec_b64 s[6:7], s[6:7]
	v_mov_b32_e32 v3, s10
	s_xor_b64 exec, exec, s[6:7]
	s_cbranch_execz .LBB4_966
.LBB4_3016:
	v_mov_b32_e32 v3, 0
	v_cmp_ne_u16_sdwa s[8:9], v4, v3 src0_sel:BYTE_0 src1_sel:DWORD
	s_andn2_b64 s[4:5], s[4:5], exec
	s_and_b64 s[8:9], s[8:9], exec
	s_or_b64 s[4:5], s[4:5], s[8:9]
	s_or_b64 exec, exec, s[6:7]
	s_and_saveexec_b64 s[6:7], s[4:5]
	s_cbranch_execnz .LBB4_967
	s_branch .LBB4_968
.LBB4_3017:
	s_movk_i32 s4, 0x80
	v_cmp_eq_u16_sdwa s[12:13], v3, s4 src0_sel:BYTE_0 src1_sel:DWORD
	s_mov_b64 s[4:5], -1
                                        ; implicit-def: $sgpr10
	s_and_saveexec_b64 s[8:9], s[12:13]
; %bb.3018:
	s_mov_b32 s10, 0x7f800001
	s_xor_b64 s[4:5], exec, -1
; %bb.3019:
	s_or_b64 exec, exec, s[8:9]
	s_and_b64 s[4:5], s[4:5], exec
	s_or_saveexec_b64 s[6:7], s[6:7]
	v_mov_b32_e32 v2, s10
	s_xor_b64 exec, exec, s[6:7]
	s_cbranch_execz .LBB4_970
.LBB4_3020:
	v_mov_b32_e32 v2, 0
	v_cmp_ne_u16_sdwa s[8:9], v3, v2 src0_sel:BYTE_0 src1_sel:DWORD
	s_andn2_b64 s[4:5], s[4:5], exec
	s_and_b64 s[8:9], s[8:9], exec
	s_or_b64 s[4:5], s[4:5], s[8:9]
	s_or_b64 exec, exec, s[6:7]
	s_and_saveexec_b64 s[6:7], s[4:5]
	s_cbranch_execnz .LBB4_971
	s_branch .LBB4_972
.LBB4_3021:
	s_movk_i32 s4, 0x80
	v_cmp_eq_u16_sdwa s[12:13], v3, s4 src0_sel:BYTE_0 src1_sel:DWORD
	s_mov_b64 s[4:5], -1
                                        ; implicit-def: $sgpr10
	s_and_saveexec_b64 s[8:9], s[12:13]
; %bb.3022:
	s_mov_b32 s10, 0x7f800001
	s_xor_b64 s[4:5], exec, -1
; %bb.3023:
	s_or_b64 exec, exec, s[8:9]
	s_and_b64 s[4:5], s[4:5], exec
	s_or_saveexec_b64 s[6:7], s[6:7]
	v_mov_b32_e32 v6, s10
	s_xor_b64 exec, exec, s[6:7]
	s_cbranch_execz .LBB4_974
.LBB4_3024:
	v_mov_b32_e32 v6, 0
	v_cmp_ne_u16_sdwa s[8:9], v3, v6 src0_sel:BYTE_0 src1_sel:DWORD
	s_andn2_b64 s[4:5], s[4:5], exec
	s_and_b64 s[8:9], s[8:9], exec
	s_or_b64 s[4:5], s[4:5], s[8:9]
	s_or_b64 exec, exec, s[6:7]
	s_and_saveexec_b64 s[6:7], s[4:5]
	s_cbranch_execnz .LBB4_975
	s_branch .LBB4_976
.LBB4_3025:
	s_movk_i32 s4, 0x80
	v_cmp_eq_u16_e32 vcc, s4, v3
	s_mov_b64 s[4:5], -1
                                        ; implicit-def: $sgpr10
	s_and_saveexec_b64 s[8:9], vcc
; %bb.3026:
	s_mov_b32 s10, 0x7f800001
	s_xor_b64 s[4:5], exec, -1
; %bb.3027:
	s_or_b64 exec, exec, s[8:9]
	s_and_b64 s[4:5], s[4:5], exec
                                        ; implicit-def: $vgpr3
	s_or_saveexec_b64 s[6:7], s[6:7]
	v_mov_b32_e32 v2, s10
	s_xor_b64 exec, exec, s[6:7]
	s_cbranch_execz .LBB4_978
.LBB4_3028:
	v_cmp_ne_u16_e32 vcc, 0, v3
	s_andn2_b64 s[4:5], s[4:5], exec
	s_and_b64 s[8:9], vcc, exec
	v_mov_b32_e32 v2, 0
	s_or_b64 s[4:5], s[4:5], s[8:9]
	s_or_b64 exec, exec, s[6:7]
	s_and_saveexec_b64 s[6:7], s[4:5]
	s_cbranch_execnz .LBB4_979
	s_branch .LBB4_980
.LBB4_3029:
	s_movk_i32 s4, 0x80
	v_cmp_eq_u16_e32 vcc, s4, v3
	s_mov_b64 s[4:5], -1
                                        ; implicit-def: $sgpr10
	s_and_saveexec_b64 s[8:9], vcc
; %bb.3030:
	s_mov_b32 s10, 0x7f800001
	s_xor_b64 s[4:5], exec, -1
; %bb.3031:
	s_or_b64 exec, exec, s[8:9]
	s_and_b64 s[4:5], s[4:5], exec
                                        ; implicit-def: $vgpr3
	s_or_saveexec_b64 s[6:7], s[6:7]
	v_mov_b32_e32 v6, s10
	s_xor_b64 exec, exec, s[6:7]
	s_cbranch_execz .LBB4_982
.LBB4_3032:
	v_cmp_ne_u16_e32 vcc, 0, v3
	s_andn2_b64 s[4:5], s[4:5], exec
	s_and_b64 s[8:9], vcc, exec
	v_mov_b32_e32 v6, 0
	s_or_b64 s[4:5], s[4:5], s[8:9]
	s_or_b64 exec, exec, s[6:7]
	s_and_saveexec_b64 s[6:7], s[4:5]
	s_cbranch_execnz .LBB4_983
	s_branch .LBB4_984
.LBB4_3033:
	s_movk_i32 s4, 0x80
	v_cmp_eq_u16_sdwa s[12:13], v8, s4 src0_sel:BYTE_3 src1_sel:DWORD
	s_mov_b64 s[4:5], -1
                                        ; implicit-def: $sgpr10
	s_and_saveexec_b64 s[8:9], s[12:13]
; %bb.3034:
	s_mov_b32 s10, 0x7f800001
	s_xor_b64 s[4:5], exec, -1
; %bb.3035:
	s_or_b64 exec, exec, s[8:9]
	s_and_b64 s[4:5], s[4:5], exec
	s_or_saveexec_b64 s[6:7], s[6:7]
	v_mov_b32_e32 v2, s10
	s_xor_b64 exec, exec, s[6:7]
	s_cbranch_execz .LBB4_986
.LBB4_3036:
	v_mov_b32_e32 v2, 0
	v_cmp_ne_u16_sdwa s[8:9], v8, v2 src0_sel:BYTE_3 src1_sel:DWORD
	s_andn2_b64 s[4:5], s[4:5], exec
	s_and_b64 s[8:9], s[8:9], exec
	s_or_b64 s[4:5], s[4:5], s[8:9]
	s_or_b64 exec, exec, s[6:7]
	s_and_saveexec_b64 s[6:7], s[4:5]
	s_cbranch_execnz .LBB4_987
	s_branch .LBB4_988
.LBB4_3037:
	s_movk_i32 s4, 0x80
	v_cmp_eq_u16_sdwa s[12:13], v4, s4 src0_sel:BYTE_3 src1_sel:DWORD
	s_mov_b64 s[4:5], -1
                                        ; implicit-def: $sgpr10
	s_and_saveexec_b64 s[8:9], s[12:13]
; %bb.3038:
	s_mov_b32 s10, 0x7f800001
	s_xor_b64 s[4:5], exec, -1
; %bb.3039:
	s_or_b64 exec, exec, s[8:9]
	s_and_b64 s[4:5], s[4:5], exec
	s_or_saveexec_b64 s[6:7], s[6:7]
	v_mov_b32_e32 v3, s10
	s_xor_b64 exec, exec, s[6:7]
	s_cbranch_execz .LBB4_990
.LBB4_3040:
	v_mov_b32_e32 v3, 0
	v_cmp_ne_u16_sdwa s[8:9], v4, v3 src0_sel:BYTE_3 src1_sel:DWORD
	s_andn2_b64 s[4:5], s[4:5], exec
	s_and_b64 s[8:9], s[8:9], exec
	s_or_b64 s[4:5], s[4:5], s[8:9]
	s_or_b64 exec, exec, s[6:7]
	s_and_saveexec_b64 s[6:7], s[4:5]
	s_cbranch_execnz .LBB4_991
	s_branch .LBB4_992
.LBB4_3041:
	s_movk_i32 s4, 0x80
	v_cmp_eq_u16_sdwa s[12:13], v9, s4 src0_sel:BYTE_0 src1_sel:DWORD
	s_mov_b64 s[4:5], -1
                                        ; implicit-def: $sgpr10
	s_and_saveexec_b64 s[8:9], s[12:13]
; %bb.3042:
	s_mov_b32 s10, 0x7f800001
	s_xor_b64 s[4:5], exec, -1
; %bb.3043:
	s_or_b64 exec, exec, s[8:9]
	s_and_b64 s[4:5], s[4:5], exec
	s_or_saveexec_b64 s[6:7], s[6:7]
	v_mov_b32_e32 v2, s10
	s_xor_b64 exec, exec, s[6:7]
	s_cbranch_execz .LBB4_994
.LBB4_3044:
	v_mov_b32_e32 v2, 0
	v_cmp_ne_u16_sdwa s[8:9], v9, v2 src0_sel:BYTE_0 src1_sel:DWORD
	s_andn2_b64 s[4:5], s[4:5], exec
	s_and_b64 s[8:9], s[8:9], exec
	s_or_b64 s[4:5], s[4:5], s[8:9]
	s_or_b64 exec, exec, s[6:7]
	s_and_saveexec_b64 s[6:7], s[4:5]
	s_cbranch_execnz .LBB4_995
	s_branch .LBB4_996
.LBB4_3045:
	s_movk_i32 s4, 0x80
	v_cmp_eq_u16_sdwa s[12:13], v5, s4 src0_sel:BYTE_0 src1_sel:DWORD
	s_mov_b64 s[4:5], -1
                                        ; implicit-def: $sgpr10
	s_and_saveexec_b64 s[8:9], s[12:13]
; %bb.3046:
	s_mov_b32 s10, 0x7f800001
	s_xor_b64 s[4:5], exec, -1
; %bb.3047:
	s_or_b64 exec, exec, s[8:9]
	s_and_b64 s[4:5], s[4:5], exec
	s_or_saveexec_b64 s[6:7], s[6:7]
	v_mov_b32_e32 v3, s10
	s_xor_b64 exec, exec, s[6:7]
	s_cbranch_execz .LBB4_998
.LBB4_3048:
	v_mov_b32_e32 v3, 0
	v_cmp_ne_u16_sdwa s[8:9], v5, v3 src0_sel:BYTE_0 src1_sel:DWORD
	s_andn2_b64 s[4:5], s[4:5], exec
	s_and_b64 s[8:9], s[8:9], exec
	s_or_b64 s[4:5], s[4:5], s[8:9]
	s_or_b64 exec, exec, s[6:7]
	s_and_saveexec_b64 s[6:7], s[4:5]
	s_cbranch_execnz .LBB4_999
	s_branch .LBB4_1000
.LBB4_3049:
	s_movk_i32 s4, 0x80
	v_cmp_eq_u16_sdwa s[12:13], v3, s4 src0_sel:BYTE_0 src1_sel:DWORD
	s_mov_b64 s[4:5], -1
                                        ; implicit-def: $sgpr10
	s_and_saveexec_b64 s[8:9], s[12:13]
; %bb.3050:
	s_mov_b32 s10, 0x7f800001
	s_xor_b64 s[4:5], exec, -1
; %bb.3051:
	s_or_b64 exec, exec, s[8:9]
	s_and_b64 s[4:5], s[4:5], exec
	s_or_saveexec_b64 s[6:7], s[6:7]
	v_mov_b32_e32 v2, s10
	s_xor_b64 exec, exec, s[6:7]
	s_cbranch_execz .LBB4_1002
.LBB4_3052:
	v_mov_b32_e32 v2, 0
	v_cmp_ne_u16_sdwa s[8:9], v3, v2 src0_sel:BYTE_0 src1_sel:DWORD
	s_andn2_b64 s[4:5], s[4:5], exec
	s_and_b64 s[8:9], s[8:9], exec
	s_or_b64 s[4:5], s[4:5], s[8:9]
	s_or_b64 exec, exec, s[6:7]
	s_and_saveexec_b64 s[6:7], s[4:5]
	s_cbranch_execnz .LBB4_1003
	s_branch .LBB4_1004
.LBB4_3053:
	s_movk_i32 s4, 0x80
	v_cmp_eq_u16_sdwa s[12:13], v3, s4 src0_sel:BYTE_0 src1_sel:DWORD
	s_mov_b64 s[4:5], -1
                                        ; implicit-def: $sgpr10
	s_and_saveexec_b64 s[8:9], s[12:13]
; %bb.3054:
	s_mov_b32 s10, 0x7f800001
	s_xor_b64 s[4:5], exec, -1
; %bb.3055:
	s_or_b64 exec, exec, s[8:9]
	s_and_b64 s[4:5], s[4:5], exec
	s_or_saveexec_b64 s[6:7], s[6:7]
	v_mov_b32_e32 v4, s10
	s_xor_b64 exec, exec, s[6:7]
	s_cbranch_execz .LBB4_1006
.LBB4_3056:
	v_mov_b32_e32 v4, 0
	v_cmp_ne_u16_sdwa s[8:9], v3, v4 src0_sel:BYTE_0 src1_sel:DWORD
	s_andn2_b64 s[4:5], s[4:5], exec
	s_and_b64 s[8:9], s[8:9], exec
	s_or_b64 s[4:5], s[4:5], s[8:9]
	s_or_b64 exec, exec, s[6:7]
	s_and_saveexec_b64 s[6:7], s[4:5]
	s_cbranch_execnz .LBB4_1007
	s_branch .LBB4_1008
.LBB4_3057:
	s_movk_i32 s4, 0x80
	v_cmp_eq_u16_e32 vcc, s4, v3
	s_mov_b64 s[4:5], -1
                                        ; implicit-def: $sgpr10
	s_and_saveexec_b64 s[8:9], vcc
; %bb.3058:
	s_mov_b32 s10, 0x7f800001
	s_xor_b64 s[4:5], exec, -1
; %bb.3059:
	s_or_b64 exec, exec, s[8:9]
	s_and_b64 s[4:5], s[4:5], exec
                                        ; implicit-def: $vgpr3
	s_or_saveexec_b64 s[6:7], s[6:7]
	v_mov_b32_e32 v2, s10
	s_xor_b64 exec, exec, s[6:7]
	s_cbranch_execz .LBB4_1010
.LBB4_3060:
	v_cmp_ne_u16_e32 vcc, 0, v3
	s_andn2_b64 s[4:5], s[4:5], exec
	s_and_b64 s[8:9], vcc, exec
	v_mov_b32_e32 v2, 0
	s_or_b64 s[4:5], s[4:5], s[8:9]
	s_or_b64 exec, exec, s[6:7]
	s_and_saveexec_b64 s[6:7], s[4:5]
	s_cbranch_execnz .LBB4_1011
	s_branch .LBB4_1012
.LBB4_3061:
	s_movk_i32 s4, 0x80
	v_cmp_eq_u16_e32 vcc, s4, v3
	s_mov_b64 s[4:5], -1
                                        ; implicit-def: $sgpr10
	s_and_saveexec_b64 s[8:9], vcc
; %bb.3062:
	s_mov_b32 s10, 0x7f800001
	s_xor_b64 s[4:5], exec, -1
; %bb.3063:
	s_or_b64 exec, exec, s[8:9]
	s_and_b64 s[4:5], s[4:5], exec
                                        ; implicit-def: $vgpr3
	s_or_saveexec_b64 s[6:7], s[6:7]
	v_mov_b32_e32 v4, s10
	s_xor_b64 exec, exec, s[6:7]
	s_cbranch_execz .LBB4_1014
.LBB4_3064:
	v_cmp_ne_u16_e32 vcc, 0, v3
	s_andn2_b64 s[4:5], s[4:5], exec
	s_and_b64 s[8:9], vcc, exec
	v_mov_b32_e32 v4, 0
	s_or_b64 s[4:5], s[4:5], s[8:9]
	s_or_b64 exec, exec, s[6:7]
	s_and_saveexec_b64 s[6:7], s[4:5]
	s_cbranch_execnz .LBB4_1015
	s_branch .LBB4_1016
.LBB4_3065:
	s_movk_i32 s4, 0x80
	v_cmp_eq_u16_sdwa s[12:13], v9, s4 src0_sel:BYTE_3 src1_sel:DWORD
	s_mov_b64 s[4:5], -1
                                        ; implicit-def: $sgpr10
	s_and_saveexec_b64 s[8:9], s[12:13]
; %bb.3066:
	s_mov_b32 s10, 0x7f800001
	s_xor_b64 s[4:5], exec, -1
; %bb.3067:
	s_or_b64 exec, exec, s[8:9]
	s_and_b64 s[4:5], s[4:5], exec
	s_or_saveexec_b64 s[6:7], s[6:7]
	v_mov_b32_e32 v2, s10
	s_xor_b64 exec, exec, s[6:7]
	s_cbranch_execz .LBB4_1018
.LBB4_3068:
	v_mov_b32_e32 v2, 0
	v_cmp_ne_u16_sdwa s[8:9], v9, v2 src0_sel:BYTE_3 src1_sel:DWORD
	s_andn2_b64 s[4:5], s[4:5], exec
	s_and_b64 s[8:9], s[8:9], exec
	s_or_b64 s[4:5], s[4:5], s[8:9]
	s_or_b64 exec, exec, s[6:7]
	s_and_saveexec_b64 s[6:7], s[4:5]
	s_cbranch_execnz .LBB4_1019
	s_branch .LBB4_1020
.LBB4_3069:
	s_movk_i32 s4, 0x80
	v_cmp_eq_u16_sdwa s[12:13], v5, s4 src0_sel:BYTE_3 src1_sel:DWORD
	s_mov_b64 s[4:5], -1
                                        ; implicit-def: $sgpr10
	s_and_saveexec_b64 s[8:9], s[12:13]
; %bb.3070:
	s_mov_b32 s10, 0x7f800001
	s_xor_b64 s[4:5], exec, -1
; %bb.3071:
	s_or_b64 exec, exec, s[8:9]
	s_and_b64 s[4:5], s[4:5], exec
	s_or_saveexec_b64 s[6:7], s[6:7]
	v_mov_b32_e32 v3, s10
	s_xor_b64 exec, exec, s[6:7]
	s_cbranch_execz .LBB4_1022
.LBB4_3072:
	v_mov_b32_e32 v3, 0
	v_cmp_ne_u16_sdwa s[8:9], v5, v3 src0_sel:BYTE_3 src1_sel:DWORD
	s_andn2_b64 s[4:5], s[4:5], exec
	s_and_b64 s[8:9], s[8:9], exec
	s_or_b64 s[4:5], s[4:5], s[8:9]
	s_or_b64 exec, exec, s[6:7]
	s_and_saveexec_b64 s[6:7], s[4:5]
	s_cbranch_execnz .LBB4_1023
	s_branch .LBB4_1024
.LBB4_3073:
	s_movk_i32 s4, 0x80
	v_cmp_eq_u16_sdwa s[12:13], v14, s4 src0_sel:BYTE_0 src1_sel:DWORD
	s_mov_b64 s[4:5], -1
                                        ; implicit-def: $sgpr10
	s_and_saveexec_b64 s[8:9], s[12:13]
; %bb.3074:
	s_mov_b32 s10, 0x7f800001
	s_xor_b64 s[4:5], exec, -1
; %bb.3075:
	s_or_b64 exec, exec, s[8:9]
	s_and_b64 s[4:5], s[4:5], exec
	s_or_saveexec_b64 s[6:7], s[6:7]
	v_mov_b32_e32 v20, s10
	s_xor_b64 exec, exec, s[6:7]
	s_cbranch_execz .LBB4_1026
.LBB4_3076:
	v_mov_b32_e32 v20, 0
	v_cmp_ne_u16_sdwa s[8:9], v14, v20 src0_sel:BYTE_0 src1_sel:DWORD
	s_andn2_b64 s[4:5], s[4:5], exec
	s_and_b64 s[8:9], s[8:9], exec
	s_or_b64 s[4:5], s[4:5], s[8:9]
	s_or_b64 exec, exec, s[6:7]
	s_and_saveexec_b64 s[6:7], s[4:5]
	s_cbranch_execnz .LBB4_1027
	s_branch .LBB4_1028
.LBB4_3077:
	s_movk_i32 s4, 0x80
	v_cmp_eq_u16_sdwa s[12:13], v10, s4 src0_sel:BYTE_0 src1_sel:DWORD
	s_mov_b64 s[4:5], -1
                                        ; implicit-def: $sgpr10
	s_and_saveexec_b64 s[8:9], s[12:13]
; %bb.3078:
	s_mov_b32 s10, 0x7f800001
	s_xor_b64 s[4:5], exec, -1
; %bb.3079:
	s_or_b64 exec, exec, s[8:9]
	s_and_b64 s[4:5], s[4:5], exec
	s_or_saveexec_b64 s[6:7], s[6:7]
	v_mov_b32_e32 v21, s10
	s_xor_b64 exec, exec, s[6:7]
	s_cbranch_execz .LBB4_1030
.LBB4_3080:
	v_mov_b32_e32 v21, 0
	v_cmp_ne_u16_sdwa s[8:9], v10, v21 src0_sel:BYTE_0 src1_sel:DWORD
	s_andn2_b64 s[4:5], s[4:5], exec
	s_and_b64 s[8:9], s[8:9], exec
	s_or_b64 s[4:5], s[4:5], s[8:9]
	s_or_b64 exec, exec, s[6:7]
	s_and_saveexec_b64 s[6:7], s[4:5]
	s_cbranch_execnz .LBB4_1031
	s_branch .LBB4_1032
.LBB4_3081:
	s_movk_i32 s4, 0x80
	v_cmp_eq_u16_sdwa s[12:13], v21, s4 src0_sel:BYTE_0 src1_sel:DWORD
	s_mov_b64 s[4:5], -1
                                        ; implicit-def: $sgpr10
	s_and_saveexec_b64 s[8:9], s[12:13]
; %bb.3082:
	s_mov_b32 s10, 0x7f800001
	s_xor_b64 s[4:5], exec, -1
; %bb.3083:
	s_or_b64 exec, exec, s[8:9]
	s_and_b64 s[4:5], s[4:5], exec
	s_or_saveexec_b64 s[6:7], s[6:7]
	v_mov_b32_e32 v20, s10
	s_xor_b64 exec, exec, s[6:7]
	s_cbranch_execz .LBB4_1034
.LBB4_3084:
	v_mov_b32_e32 v20, 0
	v_cmp_ne_u16_sdwa s[8:9], v21, v20 src0_sel:BYTE_0 src1_sel:DWORD
	s_andn2_b64 s[4:5], s[4:5], exec
	s_and_b64 s[8:9], s[8:9], exec
	s_or_b64 s[4:5], s[4:5], s[8:9]
	s_or_b64 exec, exec, s[6:7]
	s_and_saveexec_b64 s[6:7], s[4:5]
	s_cbranch_execnz .LBB4_1035
	s_branch .LBB4_1036
.LBB4_3085:
	s_movk_i32 s4, 0x80
	v_cmp_eq_u16_sdwa s[12:13], v21, s4 src0_sel:BYTE_0 src1_sel:DWORD
	s_mov_b64 s[4:5], -1
                                        ; implicit-def: $sgpr10
	s_and_saveexec_b64 s[8:9], s[12:13]
; %bb.3086:
	s_mov_b32 s10, 0x7f800001
	s_xor_b64 s[4:5], exec, -1
; %bb.3087:
	s_or_b64 exec, exec, s[8:9]
	s_and_b64 s[4:5], s[4:5], exec
	s_or_saveexec_b64 s[6:7], s[6:7]
	v_mov_b32_e32 v22, s10
	s_xor_b64 exec, exec, s[6:7]
	s_cbranch_execz .LBB4_1038
.LBB4_3088:
	v_mov_b32_e32 v22, 0
	v_cmp_ne_u16_sdwa s[8:9], v21, v22 src0_sel:BYTE_0 src1_sel:DWORD
	s_andn2_b64 s[4:5], s[4:5], exec
	s_and_b64 s[8:9], s[8:9], exec
	s_or_b64 s[4:5], s[4:5], s[8:9]
	s_or_b64 exec, exec, s[6:7]
	s_and_saveexec_b64 s[6:7], s[4:5]
	s_cbranch_execnz .LBB4_1039
	s_branch .LBB4_1040
.LBB4_3089:
	s_movk_i32 s4, 0x80
	v_cmp_eq_u16_e32 vcc, s4, v21
	s_mov_b64 s[4:5], -1
                                        ; implicit-def: $sgpr10
	s_and_saveexec_b64 s[8:9], vcc
; %bb.3090:
	s_mov_b32 s10, 0x7f800001
	s_xor_b64 s[4:5], exec, -1
; %bb.3091:
	s_or_b64 exec, exec, s[8:9]
	s_and_b64 s[4:5], s[4:5], exec
                                        ; implicit-def: $vgpr21
	s_or_saveexec_b64 s[6:7], s[6:7]
	v_mov_b32_e32 v20, s10
	s_xor_b64 exec, exec, s[6:7]
	s_cbranch_execz .LBB4_1042
.LBB4_3092:
	v_cmp_ne_u16_e32 vcc, 0, v21
	s_andn2_b64 s[4:5], s[4:5], exec
	s_and_b64 s[8:9], vcc, exec
	v_mov_b32_e32 v20, 0
	s_or_b64 s[4:5], s[4:5], s[8:9]
	s_or_b64 exec, exec, s[6:7]
	s_and_saveexec_b64 s[6:7], s[4:5]
	s_cbranch_execnz .LBB4_1043
	s_branch .LBB4_1044
.LBB4_3093:
	s_movk_i32 s4, 0x80
	v_cmp_eq_u16_e32 vcc, s4, v21
	s_mov_b64 s[4:5], -1
                                        ; implicit-def: $sgpr10
	s_and_saveexec_b64 s[8:9], vcc
; %bb.3094:
	s_mov_b32 s10, 0x7f800001
	s_xor_b64 s[4:5], exec, -1
; %bb.3095:
	s_or_b64 exec, exec, s[8:9]
	s_and_b64 s[4:5], s[4:5], exec
                                        ; implicit-def: $vgpr21
	s_or_saveexec_b64 s[6:7], s[6:7]
	v_mov_b32_e32 v22, s10
	s_xor_b64 exec, exec, s[6:7]
	s_cbranch_execz .LBB4_1046
.LBB4_3096:
	v_cmp_ne_u16_e32 vcc, 0, v21
	s_andn2_b64 s[4:5], s[4:5], exec
	s_and_b64 s[8:9], vcc, exec
	v_mov_b32_e32 v22, 0
	s_or_b64 s[4:5], s[4:5], s[8:9]
	s_or_b64 exec, exec, s[6:7]
	s_and_saveexec_b64 s[6:7], s[4:5]
	s_cbranch_execnz .LBB4_1047
	s_branch .LBB4_1048
.LBB4_3097:
	s_movk_i32 s4, 0x80
	v_cmp_eq_u16_sdwa s[12:13], v14, s4 src0_sel:BYTE_3 src1_sel:DWORD
	s_mov_b64 s[4:5], -1
                                        ; implicit-def: $sgpr10
	s_and_saveexec_b64 s[8:9], s[12:13]
; %bb.3098:
	s_mov_b32 s10, 0x7f800001
	s_xor_b64 s[4:5], exec, -1
; %bb.3099:
	s_or_b64 exec, exec, s[8:9]
	s_and_b64 s[4:5], s[4:5], exec
	s_or_saveexec_b64 s[6:7], s[6:7]
	v_mov_b32_e32 v20, s10
	s_xor_b64 exec, exec, s[6:7]
	s_cbranch_execz .LBB4_1050
.LBB4_3100:
	v_mov_b32_e32 v20, 0
	v_cmp_ne_u16_sdwa s[8:9], v14, v20 src0_sel:BYTE_3 src1_sel:DWORD
	s_andn2_b64 s[4:5], s[4:5], exec
	s_and_b64 s[8:9], s[8:9], exec
	s_or_b64 s[4:5], s[4:5], s[8:9]
	s_or_b64 exec, exec, s[6:7]
	s_and_saveexec_b64 s[6:7], s[4:5]
	s_cbranch_execnz .LBB4_1051
	s_branch .LBB4_1052
.LBB4_3101:
	s_movk_i32 s4, 0x80
	v_cmp_eq_u16_sdwa s[12:13], v10, s4 src0_sel:BYTE_3 src1_sel:DWORD
	s_mov_b64 s[4:5], -1
                                        ; implicit-def: $sgpr10
	s_and_saveexec_b64 s[8:9], s[12:13]
; %bb.3102:
	s_mov_b32 s10, 0x7f800001
	s_xor_b64 s[4:5], exec, -1
; %bb.3103:
	s_or_b64 exec, exec, s[8:9]
	s_and_b64 s[4:5], s[4:5], exec
	s_or_saveexec_b64 s[6:7], s[6:7]
	v_mov_b32_e32 v14, s10
	s_xor_b64 exec, exec, s[6:7]
	s_cbranch_execz .LBB4_1054
.LBB4_3104:
	v_mov_b32_e32 v14, 0
	v_cmp_ne_u16_sdwa s[8:9], v10, v14 src0_sel:BYTE_3 src1_sel:DWORD
	s_andn2_b64 s[4:5], s[4:5], exec
	s_and_b64 s[8:9], s[8:9], exec
	s_or_b64 s[4:5], s[4:5], s[8:9]
	s_or_b64 exec, exec, s[6:7]
	s_and_saveexec_b64 s[6:7], s[4:5]
	s_cbranch_execnz .LBB4_1055
	s_branch .LBB4_1056
.LBB4_3105:
	s_movk_i32 s4, 0x80
	v_cmp_eq_u16_sdwa s[12:13], v15, s4 src0_sel:BYTE_0 src1_sel:DWORD
	s_mov_b64 s[4:5], -1
                                        ; implicit-def: $sgpr10
	s_and_saveexec_b64 s[8:9], s[12:13]
; %bb.3106:
	s_mov_b32 s10, 0x7f800001
	s_xor_b64 s[4:5], exec, -1
; %bb.3107:
	s_or_b64 exec, exec, s[8:9]
	s_and_b64 s[4:5], s[4:5], exec
	s_or_saveexec_b64 s[6:7], s[6:7]
	v_mov_b32_e32 v10, s10
	s_xor_b64 exec, exec, s[6:7]
	s_cbranch_execz .LBB4_1058
.LBB4_3108:
	v_mov_b32_e32 v10, 0
	v_cmp_ne_u16_sdwa s[8:9], v15, v10 src0_sel:BYTE_0 src1_sel:DWORD
	s_andn2_b64 s[4:5], s[4:5], exec
	s_and_b64 s[8:9], s[8:9], exec
	s_or_b64 s[4:5], s[4:5], s[8:9]
	s_or_b64 exec, exec, s[6:7]
	s_and_saveexec_b64 s[6:7], s[4:5]
	s_cbranch_execnz .LBB4_1059
	s_branch .LBB4_1060
.LBB4_3109:
	s_movk_i32 s4, 0x80
	v_cmp_eq_u16_sdwa s[12:13], v11, s4 src0_sel:BYTE_0 src1_sel:DWORD
	s_mov_b64 s[4:5], -1
                                        ; implicit-def: $sgpr10
	s_and_saveexec_b64 s[8:9], s[12:13]
; %bb.3110:
	s_mov_b32 s10, 0x7f800001
	s_xor_b64 s[4:5], exec, -1
; %bb.3111:
	s_or_b64 exec, exec, s[8:9]
	s_and_b64 s[4:5], s[4:5], exec
	s_or_saveexec_b64 s[6:7], s[6:7]
	v_mov_b32_e32 v14, s10
	s_xor_b64 exec, exec, s[6:7]
	s_cbranch_execz .LBB4_1062
.LBB4_3112:
	v_mov_b32_e32 v14, 0
	v_cmp_ne_u16_sdwa s[8:9], v11, v14 src0_sel:BYTE_0 src1_sel:DWORD
	s_andn2_b64 s[4:5], s[4:5], exec
	s_and_b64 s[8:9], s[8:9], exec
	s_or_b64 s[4:5], s[4:5], s[8:9]
	s_or_b64 exec, exec, s[6:7]
	s_and_saveexec_b64 s[6:7], s[4:5]
	s_cbranch_execnz .LBB4_1063
	s_branch .LBB4_1064
.LBB4_3113:
	s_movk_i32 s4, 0x80
	v_cmp_eq_u16_sdwa s[12:13], v14, s4 src0_sel:BYTE_0 src1_sel:DWORD
	s_mov_b64 s[4:5], -1
                                        ; implicit-def: $sgpr10
	s_and_saveexec_b64 s[8:9], s[12:13]
; %bb.3114:
	s_mov_b32 s10, 0x7f800001
	s_xor_b64 s[4:5], exec, -1
; %bb.3115:
	s_or_b64 exec, exec, s[8:9]
	s_and_b64 s[4:5], s[4:5], exec
	s_or_saveexec_b64 s[6:7], s[6:7]
	v_mov_b32_e32 v10, s10
	s_xor_b64 exec, exec, s[6:7]
	s_cbranch_execz .LBB4_1066
.LBB4_3116:
	v_mov_b32_e32 v10, 0
	v_cmp_ne_u16_sdwa s[8:9], v14, v10 src0_sel:BYTE_0 src1_sel:DWORD
	s_andn2_b64 s[4:5], s[4:5], exec
	s_and_b64 s[8:9], s[8:9], exec
	s_or_b64 s[4:5], s[4:5], s[8:9]
	s_or_b64 exec, exec, s[6:7]
	s_and_saveexec_b64 s[6:7], s[4:5]
	s_cbranch_execnz .LBB4_1067
	s_branch .LBB4_1068
.LBB4_3117:
	s_movk_i32 s4, 0x80
	v_cmp_eq_u16_sdwa s[12:13], v14, s4 src0_sel:BYTE_0 src1_sel:DWORD
	s_mov_b64 s[4:5], -1
                                        ; implicit-def: $sgpr10
	s_and_saveexec_b64 s[8:9], s[12:13]
; %bb.3118:
	s_mov_b32 s10, 0x7f800001
	s_xor_b64 s[4:5], exec, -1
; %bb.3119:
	s_or_b64 exec, exec, s[8:9]
	s_and_b64 s[4:5], s[4:5], exec
	s_or_saveexec_b64 s[6:7], s[6:7]
	v_mov_b32_e32 v20, s10
	s_xor_b64 exec, exec, s[6:7]
	s_cbranch_execz .LBB4_1070
.LBB4_3120:
	v_mov_b32_e32 v20, 0
	v_cmp_ne_u16_sdwa s[8:9], v14, v20 src0_sel:BYTE_0 src1_sel:DWORD
	s_andn2_b64 s[4:5], s[4:5], exec
	s_and_b64 s[8:9], s[8:9], exec
	s_or_b64 s[4:5], s[4:5], s[8:9]
	s_or_b64 exec, exec, s[6:7]
	s_and_saveexec_b64 s[6:7], s[4:5]
	s_cbranch_execnz .LBB4_1071
	s_branch .LBB4_1072
.LBB4_3121:
	s_movk_i32 s4, 0x80
	v_cmp_eq_u16_e32 vcc, s4, v14
	s_mov_b64 s[4:5], -1
                                        ; implicit-def: $sgpr10
	s_and_saveexec_b64 s[8:9], vcc
; %bb.3122:
	s_mov_b32 s10, 0x7f800001
	s_xor_b64 s[4:5], exec, -1
; %bb.3123:
	s_or_b64 exec, exec, s[8:9]
	s_and_b64 s[4:5], s[4:5], exec
                                        ; implicit-def: $vgpr14
	s_or_saveexec_b64 s[6:7], s[6:7]
	v_mov_b32_e32 v10, s10
	s_xor_b64 exec, exec, s[6:7]
	s_cbranch_execz .LBB4_1074
.LBB4_3124:
	v_cmp_ne_u16_e32 vcc, 0, v14
	s_andn2_b64 s[4:5], s[4:5], exec
	s_and_b64 s[8:9], vcc, exec
	v_mov_b32_e32 v10, 0
	s_or_b64 s[4:5], s[4:5], s[8:9]
	s_or_b64 exec, exec, s[6:7]
	s_and_saveexec_b64 s[6:7], s[4:5]
	s_cbranch_execnz .LBB4_1075
	s_branch .LBB4_1076
.LBB4_3125:
	s_movk_i32 s4, 0x80
	v_cmp_eq_u16_e32 vcc, s4, v14
	s_mov_b64 s[4:5], -1
                                        ; implicit-def: $sgpr10
	s_and_saveexec_b64 s[8:9], vcc
; %bb.3126:
	s_mov_b32 s10, 0x7f800001
	s_xor_b64 s[4:5], exec, -1
; %bb.3127:
	s_or_b64 exec, exec, s[8:9]
	s_and_b64 s[4:5], s[4:5], exec
                                        ; implicit-def: $vgpr14
	s_or_saveexec_b64 s[6:7], s[6:7]
	v_mov_b32_e32 v20, s10
	s_xor_b64 exec, exec, s[6:7]
	s_cbranch_execz .LBB4_1078
.LBB4_3128:
	v_cmp_ne_u16_e32 vcc, 0, v14
	s_andn2_b64 s[4:5], s[4:5], exec
	s_and_b64 s[8:9], vcc, exec
	v_mov_b32_e32 v20, 0
	s_or_b64 s[4:5], s[4:5], s[8:9]
	s_or_b64 exec, exec, s[6:7]
	s_and_saveexec_b64 s[6:7], s[4:5]
	s_cbranch_execnz .LBB4_1079
	s_branch .LBB4_1080
.LBB4_3129:
	s_movk_i32 s4, 0x80
	v_cmp_eq_u16_sdwa s[12:13], v15, s4 src0_sel:BYTE_3 src1_sel:DWORD
	s_mov_b64 s[4:5], -1
                                        ; implicit-def: $sgpr10
	s_and_saveexec_b64 s[8:9], s[12:13]
; %bb.3130:
	s_mov_b32 s10, 0x7f800001
	s_xor_b64 s[4:5], exec, -1
; %bb.3131:
	s_or_b64 exec, exec, s[8:9]
	s_and_b64 s[4:5], s[4:5], exec
	s_or_saveexec_b64 s[6:7], s[6:7]
	v_mov_b32_e32 v10, s10
	s_xor_b64 exec, exec, s[6:7]
	s_cbranch_execz .LBB4_1082
.LBB4_3132:
	v_mov_b32_e32 v10, 0
	v_cmp_ne_u16_sdwa s[8:9], v15, v10 src0_sel:BYTE_3 src1_sel:DWORD
	s_andn2_b64 s[4:5], s[4:5], exec
	s_and_b64 s[8:9], s[8:9], exec
	s_or_b64 s[4:5], s[4:5], s[8:9]
	s_or_b64 exec, exec, s[6:7]
	s_and_saveexec_b64 s[6:7], s[4:5]
	s_cbranch_execnz .LBB4_1083
	s_branch .LBB4_1084
.LBB4_3133:
	s_movk_i32 s4, 0x80
	v_cmp_eq_u16_sdwa s[12:13], v11, s4 src0_sel:BYTE_3 src1_sel:DWORD
	s_mov_b64 s[4:5], -1
                                        ; implicit-def: $sgpr10
	s_and_saveexec_b64 s[8:9], s[12:13]
; %bb.3134:
	s_mov_b32 s10, 0x7f800001
	s_xor_b64 s[4:5], exec, -1
; %bb.3135:
	s_or_b64 exec, exec, s[8:9]
	s_and_b64 s[4:5], s[4:5], exec
	s_or_saveexec_b64 s[6:7], s[6:7]
	v_mov_b32_e32 v14, s10
	s_xor_b64 exec, exec, s[6:7]
	s_cbranch_execz .LBB4_1086
.LBB4_3136:
	v_mov_b32_e32 v14, 0
	v_cmp_ne_u16_sdwa s[8:9], v11, v14 src0_sel:BYTE_3 src1_sel:DWORD
	s_andn2_b64 s[4:5], s[4:5], exec
	s_and_b64 s[8:9], s[8:9], exec
	s_or_b64 s[4:5], s[4:5], s[8:9]
	s_or_b64 exec, exec, s[6:7]
	s_and_saveexec_b64 s[6:7], s[4:5]
	s_cbranch_execnz .LBB4_1087
	s_branch .LBB4_1088
.LBB4_3137:
	s_movk_i32 s4, 0x80
	v_cmp_eq_u16_sdwa s[12:13], v16, s4 src0_sel:BYTE_0 src1_sel:DWORD
	s_mov_b64 s[4:5], -1
                                        ; implicit-def: $sgpr10
	s_and_saveexec_b64 s[8:9], s[12:13]
; %bb.3138:
	s_mov_b32 s10, 0x7f800001
	s_xor_b64 s[4:5], exec, -1
; %bb.3139:
	s_or_b64 exec, exec, s[8:9]
	s_and_b64 s[4:5], s[4:5], exec
	s_or_saveexec_b64 s[6:7], s[6:7]
	v_mov_b32_e32 v10, s10
	s_xor_b64 exec, exec, s[6:7]
	s_cbranch_execz .LBB4_1090
.LBB4_3140:
	v_mov_b32_e32 v10, 0
	v_cmp_ne_u16_sdwa s[8:9], v16, v10 src0_sel:BYTE_0 src1_sel:DWORD
	s_andn2_b64 s[4:5], s[4:5], exec
	s_and_b64 s[8:9], s[8:9], exec
	s_or_b64 s[4:5], s[4:5], s[8:9]
	s_or_b64 exec, exec, s[6:7]
	s_and_saveexec_b64 s[6:7], s[4:5]
	s_cbranch_execnz .LBB4_1091
	s_branch .LBB4_1092
.LBB4_3141:
	s_movk_i32 s4, 0x80
	v_cmp_eq_u16_sdwa s[12:13], v12, s4 src0_sel:BYTE_0 src1_sel:DWORD
	s_mov_b64 s[4:5], -1
                                        ; implicit-def: $sgpr10
	s_and_saveexec_b64 s[8:9], s[12:13]
; %bb.3142:
	s_mov_b32 s10, 0x7f800001
	s_xor_b64 s[4:5], exec, -1
; %bb.3143:
	s_or_b64 exec, exec, s[8:9]
	s_and_b64 s[4:5], s[4:5], exec
	s_or_saveexec_b64 s[6:7], s[6:7]
	v_mov_b32_e32 v11, s10
	s_xor_b64 exec, exec, s[6:7]
	s_cbranch_execz .LBB4_1094
.LBB4_3144:
	v_mov_b32_e32 v11, 0
	v_cmp_ne_u16_sdwa s[8:9], v12, v11 src0_sel:BYTE_0 src1_sel:DWORD
	s_andn2_b64 s[4:5], s[4:5], exec
	s_and_b64 s[8:9], s[8:9], exec
	s_or_b64 s[4:5], s[4:5], s[8:9]
	s_or_b64 exec, exec, s[6:7]
	s_and_saveexec_b64 s[6:7], s[4:5]
	s_cbranch_execnz .LBB4_1095
	s_branch .LBB4_1096
.LBB4_3145:
	s_movk_i32 s4, 0x80
	v_cmp_eq_u16_sdwa s[12:13], v11, s4 src0_sel:BYTE_0 src1_sel:DWORD
	s_mov_b64 s[4:5], -1
                                        ; implicit-def: $sgpr10
	s_and_saveexec_b64 s[8:9], s[12:13]
; %bb.3146:
	s_mov_b32 s10, 0x7f800001
	s_xor_b64 s[4:5], exec, -1
; %bb.3147:
	s_or_b64 exec, exec, s[8:9]
	s_and_b64 s[4:5], s[4:5], exec
	s_or_saveexec_b64 s[6:7], s[6:7]
	v_mov_b32_e32 v10, s10
	s_xor_b64 exec, exec, s[6:7]
	s_cbranch_execz .LBB4_1098
.LBB4_3148:
	v_mov_b32_e32 v10, 0
	v_cmp_ne_u16_sdwa s[8:9], v11, v10 src0_sel:BYTE_0 src1_sel:DWORD
	s_andn2_b64 s[4:5], s[4:5], exec
	s_and_b64 s[8:9], s[8:9], exec
	s_or_b64 s[4:5], s[4:5], s[8:9]
	s_or_b64 exec, exec, s[6:7]
	s_and_saveexec_b64 s[6:7], s[4:5]
	s_cbranch_execnz .LBB4_1099
	s_branch .LBB4_1100
.LBB4_3149:
	s_movk_i32 s4, 0x80
	v_cmp_eq_u16_sdwa s[12:13], v11, s4 src0_sel:BYTE_0 src1_sel:DWORD
	s_mov_b64 s[4:5], -1
                                        ; implicit-def: $sgpr10
	s_and_saveexec_b64 s[8:9], s[12:13]
; %bb.3150:
	s_mov_b32 s10, 0x7f800001
	s_xor_b64 s[4:5], exec, -1
; %bb.3151:
	s_or_b64 exec, exec, s[8:9]
	s_and_b64 s[4:5], s[4:5], exec
	s_or_saveexec_b64 s[6:7], s[6:7]
	v_mov_b32_e32 v14, s10
	s_xor_b64 exec, exec, s[6:7]
	s_cbranch_execz .LBB4_1102
.LBB4_3152:
	v_mov_b32_e32 v14, 0
	v_cmp_ne_u16_sdwa s[8:9], v11, v14 src0_sel:BYTE_0 src1_sel:DWORD
	s_andn2_b64 s[4:5], s[4:5], exec
	s_and_b64 s[8:9], s[8:9], exec
	s_or_b64 s[4:5], s[4:5], s[8:9]
	s_or_b64 exec, exec, s[6:7]
	s_and_saveexec_b64 s[6:7], s[4:5]
	s_cbranch_execnz .LBB4_1103
	s_branch .LBB4_1104
.LBB4_3153:
	s_movk_i32 s4, 0x80
	v_cmp_eq_u16_e32 vcc, s4, v11
	s_mov_b64 s[4:5], -1
                                        ; implicit-def: $sgpr10
	s_and_saveexec_b64 s[8:9], vcc
; %bb.3154:
	s_mov_b32 s10, 0x7f800001
	s_xor_b64 s[4:5], exec, -1
; %bb.3155:
	s_or_b64 exec, exec, s[8:9]
	s_and_b64 s[4:5], s[4:5], exec
                                        ; implicit-def: $vgpr11
	s_or_saveexec_b64 s[6:7], s[6:7]
	v_mov_b32_e32 v10, s10
	s_xor_b64 exec, exec, s[6:7]
	s_cbranch_execz .LBB4_1106
.LBB4_3156:
	v_cmp_ne_u16_e32 vcc, 0, v11
	s_andn2_b64 s[4:5], s[4:5], exec
	s_and_b64 s[8:9], vcc, exec
	v_mov_b32_e32 v10, 0
	s_or_b64 s[4:5], s[4:5], s[8:9]
	s_or_b64 exec, exec, s[6:7]
	s_and_saveexec_b64 s[6:7], s[4:5]
	s_cbranch_execnz .LBB4_1107
	s_branch .LBB4_1108
.LBB4_3157:
	s_movk_i32 s4, 0x80
	v_cmp_eq_u16_e32 vcc, s4, v11
	s_mov_b64 s[4:5], -1
                                        ; implicit-def: $sgpr10
	s_and_saveexec_b64 s[8:9], vcc
; %bb.3158:
	s_mov_b32 s10, 0x7f800001
	s_xor_b64 s[4:5], exec, -1
; %bb.3159:
	s_or_b64 exec, exec, s[8:9]
	s_and_b64 s[4:5], s[4:5], exec
                                        ; implicit-def: $vgpr11
	s_or_saveexec_b64 s[6:7], s[6:7]
	v_mov_b32_e32 v14, s10
	s_xor_b64 exec, exec, s[6:7]
	s_cbranch_execz .LBB4_1110
.LBB4_3160:
	v_cmp_ne_u16_e32 vcc, 0, v11
	s_andn2_b64 s[4:5], s[4:5], exec
	s_and_b64 s[8:9], vcc, exec
	v_mov_b32_e32 v14, 0
	s_or_b64 s[4:5], s[4:5], s[8:9]
	s_or_b64 exec, exec, s[6:7]
	s_and_saveexec_b64 s[6:7], s[4:5]
	s_cbranch_execnz .LBB4_1111
	s_branch .LBB4_1112
.LBB4_3161:
	s_movk_i32 s4, 0x80
	v_cmp_eq_u16_sdwa s[12:13], v16, s4 src0_sel:BYTE_3 src1_sel:DWORD
	s_mov_b64 s[4:5], -1
                                        ; implicit-def: $sgpr10
	s_and_saveexec_b64 s[8:9], s[12:13]
; %bb.3162:
	s_mov_b32 s10, 0x7f800001
	s_xor_b64 s[4:5], exec, -1
; %bb.3163:
	s_or_b64 exec, exec, s[8:9]
	s_and_b64 s[4:5], s[4:5], exec
	s_or_saveexec_b64 s[6:7], s[6:7]
	v_mov_b32_e32 v10, s10
	s_xor_b64 exec, exec, s[6:7]
	s_cbranch_execz .LBB4_1114
.LBB4_3164:
	v_mov_b32_e32 v10, 0
	v_cmp_ne_u16_sdwa s[8:9], v16, v10 src0_sel:BYTE_3 src1_sel:DWORD
	s_andn2_b64 s[4:5], s[4:5], exec
	s_and_b64 s[8:9], s[8:9], exec
	s_or_b64 s[4:5], s[4:5], s[8:9]
	s_or_b64 exec, exec, s[6:7]
	s_and_saveexec_b64 s[6:7], s[4:5]
	s_cbranch_execnz .LBB4_1115
	s_branch .LBB4_1116
.LBB4_3165:
	s_movk_i32 s4, 0x80
	v_cmp_eq_u16_sdwa s[12:13], v12, s4 src0_sel:BYTE_3 src1_sel:DWORD
	s_mov_b64 s[4:5], -1
                                        ; implicit-def: $sgpr10
	s_and_saveexec_b64 s[8:9], s[12:13]
; %bb.3166:
	s_mov_b32 s10, 0x7f800001
	s_xor_b64 s[4:5], exec, -1
; %bb.3167:
	s_or_b64 exec, exec, s[8:9]
	s_and_b64 s[4:5], s[4:5], exec
	s_or_saveexec_b64 s[6:7], s[6:7]
	v_mov_b32_e32 v11, s10
	s_xor_b64 exec, exec, s[6:7]
	s_cbranch_execz .LBB4_1118
.LBB4_3168:
	v_mov_b32_e32 v11, 0
	v_cmp_ne_u16_sdwa s[8:9], v12, v11 src0_sel:BYTE_3 src1_sel:DWORD
	s_andn2_b64 s[4:5], s[4:5], exec
	s_and_b64 s[8:9], s[8:9], exec
	s_or_b64 s[4:5], s[4:5], s[8:9]
	s_or_b64 exec, exec, s[6:7]
	s_and_saveexec_b64 s[6:7], s[4:5]
	s_cbranch_execnz .LBB4_1119
	s_branch .LBB4_1120
.LBB4_3169:
	s_movk_i32 s4, 0x80
	v_cmp_eq_u16_sdwa s[12:13], v17, s4 src0_sel:BYTE_0 src1_sel:DWORD
	s_mov_b64 s[4:5], -1
                                        ; implicit-def: $sgpr10
	s_and_saveexec_b64 s[8:9], s[12:13]
; %bb.3170:
	s_mov_b32 s10, 0x7f800001
	s_xor_b64 s[4:5], exec, -1
; %bb.3171:
	s_or_b64 exec, exec, s[8:9]
	s_and_b64 s[4:5], s[4:5], exec
	s_or_saveexec_b64 s[6:7], s[6:7]
	v_mov_b32_e32 v10, s10
	s_xor_b64 exec, exec, s[6:7]
	s_cbranch_execz .LBB4_1122
.LBB4_3172:
	v_mov_b32_e32 v10, 0
	v_cmp_ne_u16_sdwa s[8:9], v17, v10 src0_sel:BYTE_0 src1_sel:DWORD
	s_andn2_b64 s[4:5], s[4:5], exec
	s_and_b64 s[8:9], s[8:9], exec
	s_or_b64 s[4:5], s[4:5], s[8:9]
	s_or_b64 exec, exec, s[6:7]
	s_and_saveexec_b64 s[6:7], s[4:5]
	s_cbranch_execnz .LBB4_1123
	s_branch .LBB4_1124
.LBB4_3173:
	s_movk_i32 s4, 0x80
	v_cmp_eq_u16_sdwa s[12:13], v13, s4 src0_sel:BYTE_0 src1_sel:DWORD
	s_mov_b64 s[4:5], -1
                                        ; implicit-def: $sgpr10
	s_and_saveexec_b64 s[8:9], s[12:13]
; %bb.3174:
	s_mov_b32 s10, 0x7f800001
	s_xor_b64 s[4:5], exec, -1
; %bb.3175:
	s_or_b64 exec, exec, s[8:9]
	s_and_b64 s[4:5], s[4:5], exec
	s_or_saveexec_b64 s[6:7], s[6:7]
	v_mov_b32_e32 v11, s10
	s_xor_b64 exec, exec, s[6:7]
	s_cbranch_execz .LBB4_1126
.LBB4_3176:
	v_mov_b32_e32 v11, 0
	v_cmp_ne_u16_sdwa s[8:9], v13, v11 src0_sel:BYTE_0 src1_sel:DWORD
	s_andn2_b64 s[4:5], s[4:5], exec
	s_and_b64 s[8:9], s[8:9], exec
	s_or_b64 s[4:5], s[4:5], s[8:9]
	s_or_b64 exec, exec, s[6:7]
	s_and_saveexec_b64 s[6:7], s[4:5]
	s_cbranch_execnz .LBB4_1127
	s_branch .LBB4_1128
.LBB4_3177:
	s_movk_i32 s4, 0x80
	v_cmp_eq_u16_sdwa s[12:13], v11, s4 src0_sel:BYTE_0 src1_sel:DWORD
	s_mov_b64 s[4:5], -1
                                        ; implicit-def: $sgpr10
	s_and_saveexec_b64 s[8:9], s[12:13]
; %bb.3178:
	s_mov_b32 s10, 0x7f800001
	s_xor_b64 s[4:5], exec, -1
; %bb.3179:
	s_or_b64 exec, exec, s[8:9]
	s_and_b64 s[4:5], s[4:5], exec
	s_or_saveexec_b64 s[6:7], s[6:7]
	v_mov_b32_e32 v10, s10
	s_xor_b64 exec, exec, s[6:7]
	s_cbranch_execz .LBB4_1130
.LBB4_3180:
	v_mov_b32_e32 v10, 0
	v_cmp_ne_u16_sdwa s[8:9], v11, v10 src0_sel:BYTE_0 src1_sel:DWORD
	s_andn2_b64 s[4:5], s[4:5], exec
	s_and_b64 s[8:9], s[8:9], exec
	s_or_b64 s[4:5], s[4:5], s[8:9]
	s_or_b64 exec, exec, s[6:7]
	s_and_saveexec_b64 s[6:7], s[4:5]
	s_cbranch_execnz .LBB4_1131
	s_branch .LBB4_1132
.LBB4_3181:
	s_movk_i32 s4, 0x80
	v_cmp_eq_u16_sdwa s[12:13], v11, s4 src0_sel:BYTE_0 src1_sel:DWORD
	s_mov_b64 s[4:5], -1
                                        ; implicit-def: $sgpr10
	s_and_saveexec_b64 s[8:9], s[12:13]
; %bb.3182:
	s_mov_b32 s10, 0x7f800001
	s_xor_b64 s[4:5], exec, -1
; %bb.3183:
	s_or_b64 exec, exec, s[8:9]
	s_and_b64 s[4:5], s[4:5], exec
	s_or_saveexec_b64 s[6:7], s[6:7]
	v_mov_b32_e32 v12, s10
	s_xor_b64 exec, exec, s[6:7]
	s_cbranch_execz .LBB4_1134
.LBB4_3184:
	v_mov_b32_e32 v12, 0
	v_cmp_ne_u16_sdwa s[8:9], v11, v12 src0_sel:BYTE_0 src1_sel:DWORD
	s_andn2_b64 s[4:5], s[4:5], exec
	s_and_b64 s[8:9], s[8:9], exec
	s_or_b64 s[4:5], s[4:5], s[8:9]
	s_or_b64 exec, exec, s[6:7]
	s_and_saveexec_b64 s[6:7], s[4:5]
	s_cbranch_execnz .LBB4_1135
	s_branch .LBB4_1136
.LBB4_3185:
	s_movk_i32 s4, 0x80
	v_cmp_eq_u16_e32 vcc, s4, v11
	s_mov_b64 s[4:5], -1
                                        ; implicit-def: $sgpr10
	s_and_saveexec_b64 s[8:9], vcc
; %bb.3186:
	s_mov_b32 s10, 0x7f800001
	s_xor_b64 s[4:5], exec, -1
; %bb.3187:
	s_or_b64 exec, exec, s[8:9]
	s_and_b64 s[4:5], s[4:5], exec
                                        ; implicit-def: $vgpr11
	s_or_saveexec_b64 s[6:7], s[6:7]
	v_mov_b32_e32 v10, s10
	s_xor_b64 exec, exec, s[6:7]
	s_cbranch_execz .LBB4_1138
.LBB4_3188:
	v_cmp_ne_u16_e32 vcc, 0, v11
	s_andn2_b64 s[4:5], s[4:5], exec
	s_and_b64 s[8:9], vcc, exec
	v_mov_b32_e32 v10, 0
	s_or_b64 s[4:5], s[4:5], s[8:9]
	s_or_b64 exec, exec, s[6:7]
	s_and_saveexec_b64 s[6:7], s[4:5]
	s_cbranch_execnz .LBB4_1139
	s_branch .LBB4_1140
.LBB4_3189:
	s_movk_i32 s4, 0x80
	v_cmp_eq_u16_e32 vcc, s4, v11
	s_mov_b64 s[4:5], -1
                                        ; implicit-def: $sgpr10
	s_and_saveexec_b64 s[8:9], vcc
; %bb.3190:
	s_mov_b32 s10, 0x7f800001
	s_xor_b64 s[4:5], exec, -1
; %bb.3191:
	s_or_b64 exec, exec, s[8:9]
	s_and_b64 s[4:5], s[4:5], exec
                                        ; implicit-def: $vgpr11
	s_or_saveexec_b64 s[6:7], s[6:7]
	v_mov_b32_e32 v12, s10
	s_xor_b64 exec, exec, s[6:7]
	s_cbranch_execz .LBB4_1142
.LBB4_3192:
	v_cmp_ne_u16_e32 vcc, 0, v11
	s_andn2_b64 s[4:5], s[4:5], exec
	s_and_b64 s[8:9], vcc, exec
	v_mov_b32_e32 v12, 0
	s_or_b64 s[4:5], s[4:5], s[8:9]
	s_or_b64 exec, exec, s[6:7]
	s_and_saveexec_b64 s[6:7], s[4:5]
	s_cbranch_execnz .LBB4_1143
	s_branch .LBB4_1144
.LBB4_3193:
	s_movk_i32 s4, 0x80
	v_cmp_eq_u16_sdwa s[12:13], v17, s4 src0_sel:BYTE_3 src1_sel:DWORD
	s_mov_b64 s[4:5], -1
                                        ; implicit-def: $sgpr10
	s_and_saveexec_b64 s[8:9], s[12:13]
; %bb.3194:
	s_mov_b32 s10, 0x7f800001
	s_xor_b64 s[4:5], exec, -1
; %bb.3195:
	s_or_b64 exec, exec, s[8:9]
	s_and_b64 s[4:5], s[4:5], exec
	s_or_saveexec_b64 s[6:7], s[6:7]
	v_mov_b32_e32 v10, s10
	s_xor_b64 exec, exec, s[6:7]
	s_cbranch_execz .LBB4_1146
.LBB4_3196:
	v_mov_b32_e32 v10, 0
	v_cmp_ne_u16_sdwa s[8:9], v17, v10 src0_sel:BYTE_3 src1_sel:DWORD
	s_andn2_b64 s[4:5], s[4:5], exec
	s_and_b64 s[8:9], s[8:9], exec
	s_or_b64 s[4:5], s[4:5], s[8:9]
	s_or_b64 exec, exec, s[6:7]
	s_and_saveexec_b64 s[6:7], s[4:5]
	s_cbranch_execnz .LBB4_1147
	s_branch .LBB4_1148
.LBB4_3197:
	s_movk_i32 s4, 0x80
	v_cmp_eq_u16_sdwa s[12:13], v13, s4 src0_sel:BYTE_3 src1_sel:DWORD
	s_mov_b64 s[4:5], -1
                                        ; implicit-def: $sgpr10
	s_and_saveexec_b64 s[8:9], s[12:13]
; %bb.3198:
	s_mov_b32 s10, 0x7f800001
	s_xor_b64 s[4:5], exec, -1
; %bb.3199:
	s_or_b64 exec, exec, s[8:9]
	s_and_b64 s[4:5], s[4:5], exec
	s_or_saveexec_b64 s[6:7], s[6:7]
	v_mov_b32_e32 v11, s10
	s_xor_b64 exec, exec, s[6:7]
	s_cbranch_execz .LBB4_1150
.LBB4_3200:
	v_mov_b32_e32 v11, 0
	v_cmp_ne_u16_sdwa s[8:9], v13, v11 src0_sel:BYTE_3 src1_sel:DWORD
	s_andn2_b64 s[4:5], s[4:5], exec
	s_and_b64 s[8:9], s[8:9], exec
	s_or_b64 s[4:5], s[4:5], s[8:9]
	s_or_b64 exec, exec, s[6:7]
	s_and_saveexec_b64 s[6:7], s[4:5]
	s_cbranch_execnz .LBB4_1151
	s_branch .LBB4_1152
.LBB4_3201:
	s_movk_i32 s4, 0x80
	v_cmp_eq_u16_sdwa s[12:13], v6, s4 src0_sel:BYTE_0 src1_sel:DWORD
	s_mov_b64 s[4:5], -1
                                        ; implicit-def: $sgpr10
	s_and_saveexec_b64 s[8:9], s[12:13]
; %bb.3202:
	s_mov_b32 s10, 0x7f800001
	s_xor_b64 s[4:5], exec, -1
; %bb.3203:
	s_or_b64 exec, exec, s[8:9]
	s_and_b64 s[4:5], s[4:5], exec
	s_or_saveexec_b64 s[6:7], s[6:7]
	v_mov_b32_e32 v10, s10
	s_xor_b64 exec, exec, s[6:7]
	s_cbranch_execz .LBB4_1154
.LBB4_3204:
	v_mov_b32_e32 v10, 0
	v_cmp_ne_u16_sdwa s[8:9], v6, v10 src0_sel:BYTE_0 src1_sel:DWORD
	s_andn2_b64 s[4:5], s[4:5], exec
	s_and_b64 s[8:9], s[8:9], exec
	s_or_b64 s[4:5], s[4:5], s[8:9]
	s_or_b64 exec, exec, s[6:7]
	s_and_saveexec_b64 s[6:7], s[4:5]
	s_cbranch_execnz .LBB4_1155
	s_branch .LBB4_1156
.LBB4_3205:
	s_movk_i32 s4, 0x80
	v_cmp_eq_u16_sdwa s[12:13], v2, s4 src0_sel:BYTE_0 src1_sel:DWORD
	s_mov_b64 s[4:5], -1
                                        ; implicit-def: $sgpr10
	s_and_saveexec_b64 s[8:9], s[12:13]
; %bb.3206:
	s_mov_b32 s10, 0x7f800001
	s_xor_b64 s[4:5], exec, -1
; %bb.3207:
	s_or_b64 exec, exec, s[8:9]
	s_and_b64 s[4:5], s[4:5], exec
	s_or_saveexec_b64 s[6:7], s[6:7]
	v_mov_b32_e32 v11, s10
	s_xor_b64 exec, exec, s[6:7]
	s_cbranch_execz .LBB4_1158
.LBB4_3208:
	v_mov_b32_e32 v11, 0
	v_cmp_ne_u16_sdwa s[8:9], v2, v11 src0_sel:BYTE_0 src1_sel:DWORD
	s_andn2_b64 s[4:5], s[4:5], exec
	s_and_b64 s[8:9], s[8:9], exec
	s_or_b64 s[4:5], s[4:5], s[8:9]
	s_or_b64 exec, exec, s[6:7]
	s_and_saveexec_b64 s[6:7], s[4:5]
	s_cbranch_execnz .LBB4_1159
	s_branch .LBB4_1160
.LBB4_3209:
	s_movk_i32 s4, 0x80
	v_cmp_eq_u16_sdwa s[12:13], v11, s4 src0_sel:BYTE_0 src1_sel:DWORD
	s_mov_b64 s[4:5], -1
                                        ; implicit-def: $sgpr10
	s_and_saveexec_b64 s[8:9], s[12:13]
; %bb.3210:
	s_mov_b32 s10, 0x7f800001
	s_xor_b64 s[4:5], exec, -1
; %bb.3211:
	s_or_b64 exec, exec, s[8:9]
	s_and_b64 s[4:5], s[4:5], exec
	s_or_saveexec_b64 s[6:7], s[6:7]
	v_mov_b32_e32 v10, s10
	s_xor_b64 exec, exec, s[6:7]
	s_cbranch_execz .LBB4_1162
.LBB4_3212:
	v_mov_b32_e32 v10, 0
	v_cmp_ne_u16_sdwa s[8:9], v11, v10 src0_sel:BYTE_0 src1_sel:DWORD
	s_andn2_b64 s[4:5], s[4:5], exec
	s_and_b64 s[8:9], s[8:9], exec
	s_or_b64 s[4:5], s[4:5], s[8:9]
	s_or_b64 exec, exec, s[6:7]
	s_and_saveexec_b64 s[6:7], s[4:5]
	s_cbranch_execnz .LBB4_1163
	s_branch .LBB4_1164
.LBB4_3213:
	s_movk_i32 s4, 0x80
	v_cmp_eq_u16_sdwa s[12:13], v11, s4 src0_sel:BYTE_0 src1_sel:DWORD
	s_mov_b64 s[4:5], -1
                                        ; implicit-def: $sgpr10
	s_and_saveexec_b64 s[8:9], s[12:13]
; %bb.3214:
	s_mov_b32 s10, 0x7f800001
	s_xor_b64 s[4:5], exec, -1
; %bb.3215:
	s_or_b64 exec, exec, s[8:9]
	s_and_b64 s[4:5], s[4:5], exec
	s_or_saveexec_b64 s[6:7], s[6:7]
	v_mov_b32_e32 v12, s10
	s_xor_b64 exec, exec, s[6:7]
	s_cbranch_execz .LBB4_1166
.LBB4_3216:
	v_mov_b32_e32 v12, 0
	v_cmp_ne_u16_sdwa s[8:9], v11, v12 src0_sel:BYTE_0 src1_sel:DWORD
	s_andn2_b64 s[4:5], s[4:5], exec
	s_and_b64 s[8:9], s[8:9], exec
	s_or_b64 s[4:5], s[4:5], s[8:9]
	s_or_b64 exec, exec, s[6:7]
	s_and_saveexec_b64 s[6:7], s[4:5]
	s_cbranch_execnz .LBB4_1167
	s_branch .LBB4_1168
.LBB4_3217:
	s_movk_i32 s4, 0x80
	v_cmp_eq_u16_e32 vcc, s4, v11
	s_mov_b64 s[4:5], -1
                                        ; implicit-def: $sgpr10
	s_and_saveexec_b64 s[8:9], vcc
; %bb.3218:
	s_mov_b32 s10, 0x7f800001
	s_xor_b64 s[4:5], exec, -1
; %bb.3219:
	s_or_b64 exec, exec, s[8:9]
	s_and_b64 s[4:5], s[4:5], exec
                                        ; implicit-def: $vgpr11
	s_or_saveexec_b64 s[6:7], s[6:7]
	v_mov_b32_e32 v10, s10
	s_xor_b64 exec, exec, s[6:7]
	s_cbranch_execz .LBB4_1170
.LBB4_3220:
	v_cmp_ne_u16_e32 vcc, 0, v11
	s_andn2_b64 s[4:5], s[4:5], exec
	s_and_b64 s[8:9], vcc, exec
	v_mov_b32_e32 v10, 0
	s_or_b64 s[4:5], s[4:5], s[8:9]
	s_or_b64 exec, exec, s[6:7]
	s_and_saveexec_b64 s[6:7], s[4:5]
	s_cbranch_execnz .LBB4_1171
	s_branch .LBB4_1172
.LBB4_3221:
	s_movk_i32 s4, 0x80
	v_cmp_eq_u16_e32 vcc, s4, v11
	s_mov_b64 s[4:5], -1
                                        ; implicit-def: $sgpr10
	s_and_saveexec_b64 s[8:9], vcc
; %bb.3222:
	s_mov_b32 s10, 0x7f800001
	s_xor_b64 s[4:5], exec, -1
; %bb.3223:
	s_or_b64 exec, exec, s[8:9]
	s_and_b64 s[4:5], s[4:5], exec
                                        ; implicit-def: $vgpr11
	s_or_saveexec_b64 s[6:7], s[6:7]
	v_mov_b32_e32 v12, s10
	s_xor_b64 exec, exec, s[6:7]
	s_cbranch_execz .LBB4_1174
.LBB4_3224:
	v_cmp_ne_u16_e32 vcc, 0, v11
	s_andn2_b64 s[4:5], s[4:5], exec
	s_and_b64 s[8:9], vcc, exec
	v_mov_b32_e32 v12, 0
	s_or_b64 s[4:5], s[4:5], s[8:9]
	s_or_b64 exec, exec, s[6:7]
	s_and_saveexec_b64 s[6:7], s[4:5]
	s_cbranch_execnz .LBB4_1175
	s_branch .LBB4_1176
.LBB4_3225:
	s_movk_i32 s4, 0x80
	v_cmp_eq_u16_sdwa s[12:13], v6, s4 src0_sel:BYTE_3 src1_sel:DWORD
	s_mov_b64 s[4:5], -1
                                        ; implicit-def: $sgpr10
	s_and_saveexec_b64 s[8:9], s[12:13]
; %bb.3226:
	s_mov_b32 s10, 0x7f800001
	s_xor_b64 s[4:5], exec, -1
; %bb.3227:
	s_or_b64 exec, exec, s[8:9]
	s_and_b64 s[4:5], s[4:5], exec
	s_or_saveexec_b64 s[6:7], s[6:7]
	v_mov_b32_e32 v10, s10
	s_xor_b64 exec, exec, s[6:7]
	s_cbranch_execz .LBB4_1178
.LBB4_3228:
	v_mov_b32_e32 v10, 0
	v_cmp_ne_u16_sdwa s[8:9], v6, v10 src0_sel:BYTE_3 src1_sel:DWORD
	s_andn2_b64 s[4:5], s[4:5], exec
	s_and_b64 s[8:9], s[8:9], exec
	s_or_b64 s[4:5], s[4:5], s[8:9]
	s_or_b64 exec, exec, s[6:7]
	s_and_saveexec_b64 s[6:7], s[4:5]
	s_cbranch_execnz .LBB4_1179
	s_branch .LBB4_1180
.LBB4_3229:
	s_movk_i32 s4, 0x80
	v_cmp_eq_u16_sdwa s[12:13], v2, s4 src0_sel:BYTE_3 src1_sel:DWORD
	s_mov_b64 s[4:5], -1
                                        ; implicit-def: $sgpr10
	s_and_saveexec_b64 s[8:9], s[12:13]
; %bb.3230:
	s_mov_b32 s10, 0x7f800001
	s_xor_b64 s[4:5], exec, -1
; %bb.3231:
	s_or_b64 exec, exec, s[8:9]
	s_and_b64 s[4:5], s[4:5], exec
	s_or_saveexec_b64 s[6:7], s[6:7]
	v_mov_b32_e32 v6, s10
	s_xor_b64 exec, exec, s[6:7]
	s_cbranch_execz .LBB4_1182
.LBB4_3232:
	v_mov_b32_e32 v6, 0
	v_cmp_ne_u16_sdwa s[8:9], v2, v6 src0_sel:BYTE_3 src1_sel:DWORD
	s_andn2_b64 s[4:5], s[4:5], exec
	s_and_b64 s[8:9], s[8:9], exec
	s_or_b64 s[4:5], s[4:5], s[8:9]
	s_or_b64 exec, exec, s[6:7]
	s_and_saveexec_b64 s[6:7], s[4:5]
	s_cbranch_execnz .LBB4_1183
	s_branch .LBB4_1184
.LBB4_3233:
	s_movk_i32 s4, 0x80
	v_cmp_eq_u16_sdwa s[12:13], v7, s4 src0_sel:BYTE_0 src1_sel:DWORD
	s_mov_b64 s[4:5], -1
                                        ; implicit-def: $sgpr10
	s_and_saveexec_b64 s[8:9], s[12:13]
; %bb.3234:
	s_mov_b32 s10, 0x7f800001
	s_xor_b64 s[4:5], exec, -1
; %bb.3235:
	s_or_b64 exec, exec, s[8:9]
	s_and_b64 s[4:5], s[4:5], exec
	s_or_saveexec_b64 s[6:7], s[6:7]
	v_mov_b32_e32 v2, s10
	s_xor_b64 exec, exec, s[6:7]
	s_cbranch_execz .LBB4_1186
.LBB4_3236:
	v_mov_b32_e32 v2, 0
	v_cmp_ne_u16_sdwa s[8:9], v7, v2 src0_sel:BYTE_0 src1_sel:DWORD
	s_andn2_b64 s[4:5], s[4:5], exec
	s_and_b64 s[8:9], s[8:9], exec
	s_or_b64 s[4:5], s[4:5], s[8:9]
	s_or_b64 exec, exec, s[6:7]
	s_and_saveexec_b64 s[6:7], s[4:5]
	s_cbranch_execnz .LBB4_1187
	s_branch .LBB4_1188
.LBB4_3237:
	s_movk_i32 s4, 0x80
	v_cmp_eq_u16_sdwa s[12:13], v3, s4 src0_sel:BYTE_0 src1_sel:DWORD
	s_mov_b64 s[4:5], -1
                                        ; implicit-def: $sgpr10
	s_and_saveexec_b64 s[8:9], s[12:13]
; %bb.3238:
	s_mov_b32 s10, 0x7f800001
	s_xor_b64 s[4:5], exec, -1
; %bb.3239:
	s_or_b64 exec, exec, s[8:9]
	s_and_b64 s[4:5], s[4:5], exec
	s_or_saveexec_b64 s[6:7], s[6:7]
	v_mov_b32_e32 v6, s10
	s_xor_b64 exec, exec, s[6:7]
	s_cbranch_execz .LBB4_1190
.LBB4_3240:
	v_mov_b32_e32 v6, 0
	v_cmp_ne_u16_sdwa s[8:9], v3, v6 src0_sel:BYTE_0 src1_sel:DWORD
	s_andn2_b64 s[4:5], s[4:5], exec
	s_and_b64 s[8:9], s[8:9], exec
	s_or_b64 s[4:5], s[4:5], s[8:9]
	s_or_b64 exec, exec, s[6:7]
	s_and_saveexec_b64 s[6:7], s[4:5]
	s_cbranch_execnz .LBB4_1191
	s_branch .LBB4_1192
.LBB4_3241:
	s_movk_i32 s4, 0x80
	v_cmp_eq_u16_sdwa s[12:13], v6, s4 src0_sel:BYTE_0 src1_sel:DWORD
	s_mov_b64 s[4:5], -1
                                        ; implicit-def: $sgpr10
	s_and_saveexec_b64 s[8:9], s[12:13]
; %bb.3242:
	s_mov_b32 s10, 0x7f800001
	s_xor_b64 s[4:5], exec, -1
; %bb.3243:
	s_or_b64 exec, exec, s[8:9]
	s_and_b64 s[4:5], s[4:5], exec
	s_or_saveexec_b64 s[6:7], s[6:7]
	v_mov_b32_e32 v2, s10
	s_xor_b64 exec, exec, s[6:7]
	s_cbranch_execz .LBB4_1194
.LBB4_3244:
	v_mov_b32_e32 v2, 0
	v_cmp_ne_u16_sdwa s[8:9], v6, v2 src0_sel:BYTE_0 src1_sel:DWORD
	s_andn2_b64 s[4:5], s[4:5], exec
	s_and_b64 s[8:9], s[8:9], exec
	s_or_b64 s[4:5], s[4:5], s[8:9]
	s_or_b64 exec, exec, s[6:7]
	s_and_saveexec_b64 s[6:7], s[4:5]
	s_cbranch_execnz .LBB4_1195
	s_branch .LBB4_1196
.LBB4_3245:
	s_movk_i32 s4, 0x80
	v_cmp_eq_u16_sdwa s[12:13], v6, s4 src0_sel:BYTE_0 src1_sel:DWORD
	s_mov_b64 s[4:5], -1
                                        ; implicit-def: $sgpr10
	s_and_saveexec_b64 s[8:9], s[12:13]
; %bb.3246:
	s_mov_b32 s10, 0x7f800001
	s_xor_b64 s[4:5], exec, -1
; %bb.3247:
	s_or_b64 exec, exec, s[8:9]
	s_and_b64 s[4:5], s[4:5], exec
	s_or_saveexec_b64 s[6:7], s[6:7]
	v_mov_b32_e32 v10, s10
	s_xor_b64 exec, exec, s[6:7]
	s_cbranch_execz .LBB4_1198
.LBB4_3248:
	v_mov_b32_e32 v10, 0
	v_cmp_ne_u16_sdwa s[8:9], v6, v10 src0_sel:BYTE_0 src1_sel:DWORD
	s_andn2_b64 s[4:5], s[4:5], exec
	s_and_b64 s[8:9], s[8:9], exec
	s_or_b64 s[4:5], s[4:5], s[8:9]
	s_or_b64 exec, exec, s[6:7]
	s_and_saveexec_b64 s[6:7], s[4:5]
	s_cbranch_execnz .LBB4_1199
	s_branch .LBB4_1200
.LBB4_3249:
	s_movk_i32 s4, 0x80
	v_cmp_eq_u16_e32 vcc, s4, v6
	s_mov_b64 s[4:5], -1
                                        ; implicit-def: $sgpr10
	s_and_saveexec_b64 s[8:9], vcc
; %bb.3250:
	s_mov_b32 s10, 0x7f800001
	s_xor_b64 s[4:5], exec, -1
; %bb.3251:
	s_or_b64 exec, exec, s[8:9]
	s_and_b64 s[4:5], s[4:5], exec
                                        ; implicit-def: $vgpr6
	s_or_saveexec_b64 s[6:7], s[6:7]
	v_mov_b32_e32 v2, s10
	s_xor_b64 exec, exec, s[6:7]
	s_cbranch_execz .LBB4_1202
.LBB4_3252:
	v_cmp_ne_u16_e32 vcc, 0, v6
	s_andn2_b64 s[4:5], s[4:5], exec
	s_and_b64 s[8:9], vcc, exec
	v_mov_b32_e32 v2, 0
	s_or_b64 s[4:5], s[4:5], s[8:9]
	s_or_b64 exec, exec, s[6:7]
	s_and_saveexec_b64 s[6:7], s[4:5]
	s_cbranch_execnz .LBB4_1203
	s_branch .LBB4_1204
.LBB4_3253:
	s_movk_i32 s4, 0x80
	v_cmp_eq_u16_e32 vcc, s4, v6
	s_mov_b64 s[4:5], -1
                                        ; implicit-def: $sgpr10
	s_and_saveexec_b64 s[8:9], vcc
; %bb.3254:
	s_mov_b32 s10, 0x7f800001
	s_xor_b64 s[4:5], exec, -1
; %bb.3255:
	s_or_b64 exec, exec, s[8:9]
	s_and_b64 s[4:5], s[4:5], exec
                                        ; implicit-def: $vgpr6
	s_or_saveexec_b64 s[6:7], s[6:7]
	v_mov_b32_e32 v10, s10
	s_xor_b64 exec, exec, s[6:7]
	s_cbranch_execz .LBB4_1206
.LBB4_3256:
	v_cmp_ne_u16_e32 vcc, 0, v6
	s_andn2_b64 s[4:5], s[4:5], exec
	s_and_b64 s[8:9], vcc, exec
	v_mov_b32_e32 v10, 0
	s_or_b64 s[4:5], s[4:5], s[8:9]
	s_or_b64 exec, exec, s[6:7]
	s_and_saveexec_b64 s[6:7], s[4:5]
	s_cbranch_execnz .LBB4_1207
	s_branch .LBB4_1208
.LBB4_3257:
	s_movk_i32 s4, 0x80
	v_cmp_eq_u16_sdwa s[12:13], v7, s4 src0_sel:BYTE_3 src1_sel:DWORD
	s_mov_b64 s[4:5], -1
                                        ; implicit-def: $sgpr10
	s_and_saveexec_b64 s[8:9], s[12:13]
; %bb.3258:
	s_mov_b32 s10, 0x7f800001
	s_xor_b64 s[4:5], exec, -1
; %bb.3259:
	s_or_b64 exec, exec, s[8:9]
	s_and_b64 s[4:5], s[4:5], exec
	s_or_saveexec_b64 s[6:7], s[6:7]
	v_mov_b32_e32 v2, s10
	s_xor_b64 exec, exec, s[6:7]
	s_cbranch_execz .LBB4_1210
.LBB4_3260:
	v_mov_b32_e32 v2, 0
	v_cmp_ne_u16_sdwa s[8:9], v7, v2 src0_sel:BYTE_3 src1_sel:DWORD
	s_andn2_b64 s[4:5], s[4:5], exec
	s_and_b64 s[8:9], s[8:9], exec
	s_or_b64 s[4:5], s[4:5], s[8:9]
	s_or_b64 exec, exec, s[6:7]
	s_and_saveexec_b64 s[6:7], s[4:5]
	s_cbranch_execnz .LBB4_1211
	s_branch .LBB4_1212
.LBB4_3261:
	s_movk_i32 s4, 0x80
	v_cmp_eq_u16_sdwa s[12:13], v3, s4 src0_sel:BYTE_3 src1_sel:DWORD
	s_mov_b64 s[4:5], -1
                                        ; implicit-def: $sgpr10
	s_and_saveexec_b64 s[8:9], s[12:13]
; %bb.3262:
	s_mov_b32 s10, 0x7f800001
	s_xor_b64 s[4:5], exec, -1
; %bb.3263:
	s_or_b64 exec, exec, s[8:9]
	s_and_b64 s[4:5], s[4:5], exec
	s_or_saveexec_b64 s[6:7], s[6:7]
	v_mov_b32_e32 v6, s10
	s_xor_b64 exec, exec, s[6:7]
	s_cbranch_execz .LBB4_1214
.LBB4_3264:
	v_mov_b32_e32 v6, 0
	v_cmp_ne_u16_sdwa s[8:9], v3, v6 src0_sel:BYTE_3 src1_sel:DWORD
	s_andn2_b64 s[4:5], s[4:5], exec
	s_and_b64 s[8:9], s[8:9], exec
	s_or_b64 s[4:5], s[4:5], s[8:9]
	s_or_b64 exec, exec, s[6:7]
	s_and_saveexec_b64 s[6:7], s[4:5]
	s_cbranch_execnz .LBB4_1215
	s_branch .LBB4_1216
.LBB4_3265:
	s_movk_i32 s4, 0x80
	v_cmp_eq_u16_sdwa s[12:13], v8, s4 src0_sel:BYTE_0 src1_sel:DWORD
	s_mov_b64 s[4:5], -1
                                        ; implicit-def: $sgpr10
	s_and_saveexec_b64 s[8:9], s[12:13]
; %bb.3266:
	s_mov_b32 s10, 0x7f800001
	s_xor_b64 s[4:5], exec, -1
; %bb.3267:
	s_or_b64 exec, exec, s[8:9]
	s_and_b64 s[4:5], s[4:5], exec
	s_or_saveexec_b64 s[6:7], s[6:7]
	v_mov_b32_e32 v2, s10
	s_xor_b64 exec, exec, s[6:7]
	s_cbranch_execz .LBB4_1218
.LBB4_3268:
	v_mov_b32_e32 v2, 0
	v_cmp_ne_u16_sdwa s[8:9], v8, v2 src0_sel:BYTE_0 src1_sel:DWORD
	s_andn2_b64 s[4:5], s[4:5], exec
	s_and_b64 s[8:9], s[8:9], exec
	s_or_b64 s[4:5], s[4:5], s[8:9]
	s_or_b64 exec, exec, s[6:7]
	s_and_saveexec_b64 s[6:7], s[4:5]
	s_cbranch_execnz .LBB4_1219
	s_branch .LBB4_1220
.LBB4_3269:
	s_movk_i32 s4, 0x80
	v_cmp_eq_u16_sdwa s[12:13], v4, s4 src0_sel:BYTE_0 src1_sel:DWORD
	s_mov_b64 s[4:5], -1
                                        ; implicit-def: $sgpr10
	s_and_saveexec_b64 s[8:9], s[12:13]
; %bb.3270:
	s_mov_b32 s10, 0x7f800001
	s_xor_b64 s[4:5], exec, -1
; %bb.3271:
	s_or_b64 exec, exec, s[8:9]
	s_and_b64 s[4:5], s[4:5], exec
	s_or_saveexec_b64 s[6:7], s[6:7]
	v_mov_b32_e32 v3, s10
	s_xor_b64 exec, exec, s[6:7]
	s_cbranch_execz .LBB4_1222
.LBB4_3272:
	v_mov_b32_e32 v3, 0
	v_cmp_ne_u16_sdwa s[8:9], v4, v3 src0_sel:BYTE_0 src1_sel:DWORD
	s_andn2_b64 s[4:5], s[4:5], exec
	s_and_b64 s[8:9], s[8:9], exec
	s_or_b64 s[4:5], s[4:5], s[8:9]
	s_or_b64 exec, exec, s[6:7]
	s_and_saveexec_b64 s[6:7], s[4:5]
	s_cbranch_execnz .LBB4_1223
	s_branch .LBB4_1224
.LBB4_3273:
	s_movk_i32 s4, 0x80
	v_cmp_eq_u16_sdwa s[12:13], v3, s4 src0_sel:BYTE_0 src1_sel:DWORD
	s_mov_b64 s[4:5], -1
                                        ; implicit-def: $sgpr10
	s_and_saveexec_b64 s[8:9], s[12:13]
; %bb.3274:
	s_mov_b32 s10, 0x7f800001
	s_xor_b64 s[4:5], exec, -1
; %bb.3275:
	s_or_b64 exec, exec, s[8:9]
	s_and_b64 s[4:5], s[4:5], exec
	s_or_saveexec_b64 s[6:7], s[6:7]
	v_mov_b32_e32 v2, s10
	s_xor_b64 exec, exec, s[6:7]
	s_cbranch_execz .LBB4_1226
.LBB4_3276:
	v_mov_b32_e32 v2, 0
	v_cmp_ne_u16_sdwa s[8:9], v3, v2 src0_sel:BYTE_0 src1_sel:DWORD
	s_andn2_b64 s[4:5], s[4:5], exec
	s_and_b64 s[8:9], s[8:9], exec
	s_or_b64 s[4:5], s[4:5], s[8:9]
	s_or_b64 exec, exec, s[6:7]
	s_and_saveexec_b64 s[6:7], s[4:5]
	s_cbranch_execnz .LBB4_1227
	s_branch .LBB4_1228
.LBB4_3277:
	s_movk_i32 s4, 0x80
	v_cmp_eq_u16_sdwa s[12:13], v3, s4 src0_sel:BYTE_0 src1_sel:DWORD
	s_mov_b64 s[4:5], -1
                                        ; implicit-def: $sgpr10
	s_and_saveexec_b64 s[8:9], s[12:13]
; %bb.3278:
	s_mov_b32 s10, 0x7f800001
	s_xor_b64 s[4:5], exec, -1
; %bb.3279:
	s_or_b64 exec, exec, s[8:9]
	s_and_b64 s[4:5], s[4:5], exec
	s_or_saveexec_b64 s[6:7], s[6:7]
	v_mov_b32_e32 v6, s10
	s_xor_b64 exec, exec, s[6:7]
	s_cbranch_execz .LBB4_1230
.LBB4_3280:
	v_mov_b32_e32 v6, 0
	v_cmp_ne_u16_sdwa s[8:9], v3, v6 src0_sel:BYTE_0 src1_sel:DWORD
	s_andn2_b64 s[4:5], s[4:5], exec
	s_and_b64 s[8:9], s[8:9], exec
	s_or_b64 s[4:5], s[4:5], s[8:9]
	s_or_b64 exec, exec, s[6:7]
	s_and_saveexec_b64 s[6:7], s[4:5]
	s_cbranch_execnz .LBB4_1231
	s_branch .LBB4_1232
.LBB4_3281:
	s_movk_i32 s4, 0x80
	v_cmp_eq_u16_e32 vcc, s4, v3
	s_mov_b64 s[4:5], -1
                                        ; implicit-def: $sgpr10
	s_and_saveexec_b64 s[8:9], vcc
; %bb.3282:
	s_mov_b32 s10, 0x7f800001
	s_xor_b64 s[4:5], exec, -1
; %bb.3283:
	s_or_b64 exec, exec, s[8:9]
	s_and_b64 s[4:5], s[4:5], exec
                                        ; implicit-def: $vgpr3
	s_or_saveexec_b64 s[6:7], s[6:7]
	v_mov_b32_e32 v2, s10
	s_xor_b64 exec, exec, s[6:7]
	s_cbranch_execz .LBB4_1234
.LBB4_3284:
	v_cmp_ne_u16_e32 vcc, 0, v3
	s_andn2_b64 s[4:5], s[4:5], exec
	s_and_b64 s[8:9], vcc, exec
	v_mov_b32_e32 v2, 0
	s_or_b64 s[4:5], s[4:5], s[8:9]
	s_or_b64 exec, exec, s[6:7]
	s_and_saveexec_b64 s[6:7], s[4:5]
	s_cbranch_execnz .LBB4_1235
	s_branch .LBB4_1236
.LBB4_3285:
	s_movk_i32 s4, 0x80
	v_cmp_eq_u16_e32 vcc, s4, v3
	s_mov_b64 s[4:5], -1
                                        ; implicit-def: $sgpr10
	s_and_saveexec_b64 s[8:9], vcc
; %bb.3286:
	s_mov_b32 s10, 0x7f800001
	s_xor_b64 s[4:5], exec, -1
; %bb.3287:
	s_or_b64 exec, exec, s[8:9]
	s_and_b64 s[4:5], s[4:5], exec
                                        ; implicit-def: $vgpr3
	s_or_saveexec_b64 s[6:7], s[6:7]
	v_mov_b32_e32 v6, s10
	s_xor_b64 exec, exec, s[6:7]
	s_cbranch_execz .LBB4_1238
.LBB4_3288:
	v_cmp_ne_u16_e32 vcc, 0, v3
	s_andn2_b64 s[4:5], s[4:5], exec
	s_and_b64 s[8:9], vcc, exec
	v_mov_b32_e32 v6, 0
	s_or_b64 s[4:5], s[4:5], s[8:9]
	s_or_b64 exec, exec, s[6:7]
	s_and_saveexec_b64 s[6:7], s[4:5]
	s_cbranch_execnz .LBB4_1239
	s_branch .LBB4_1240
.LBB4_3289:
	s_movk_i32 s4, 0x80
	v_cmp_eq_u16_sdwa s[12:13], v8, s4 src0_sel:BYTE_3 src1_sel:DWORD
	s_mov_b64 s[4:5], -1
                                        ; implicit-def: $sgpr10
	s_and_saveexec_b64 s[8:9], s[12:13]
; %bb.3290:
	s_mov_b32 s10, 0x7f800001
	s_xor_b64 s[4:5], exec, -1
; %bb.3291:
	s_or_b64 exec, exec, s[8:9]
	s_and_b64 s[4:5], s[4:5], exec
	s_or_saveexec_b64 s[6:7], s[6:7]
	v_mov_b32_e32 v2, s10
	s_xor_b64 exec, exec, s[6:7]
	s_cbranch_execz .LBB4_1242
.LBB4_3292:
	v_mov_b32_e32 v2, 0
	v_cmp_ne_u16_sdwa s[8:9], v8, v2 src0_sel:BYTE_3 src1_sel:DWORD
	s_andn2_b64 s[4:5], s[4:5], exec
	s_and_b64 s[8:9], s[8:9], exec
	s_or_b64 s[4:5], s[4:5], s[8:9]
	s_or_b64 exec, exec, s[6:7]
	s_and_saveexec_b64 s[6:7], s[4:5]
	s_cbranch_execnz .LBB4_1243
	s_branch .LBB4_1244
.LBB4_3293:
	s_movk_i32 s4, 0x80
	v_cmp_eq_u16_sdwa s[12:13], v4, s4 src0_sel:BYTE_3 src1_sel:DWORD
	s_mov_b64 s[4:5], -1
                                        ; implicit-def: $sgpr10
	s_and_saveexec_b64 s[8:9], s[12:13]
; %bb.3294:
	s_mov_b32 s10, 0x7f800001
	s_xor_b64 s[4:5], exec, -1
; %bb.3295:
	s_or_b64 exec, exec, s[8:9]
	s_and_b64 s[4:5], s[4:5], exec
	s_or_saveexec_b64 s[6:7], s[6:7]
	v_mov_b32_e32 v3, s10
	s_xor_b64 exec, exec, s[6:7]
	s_cbranch_execz .LBB4_1246
.LBB4_3296:
	v_mov_b32_e32 v3, 0
	v_cmp_ne_u16_sdwa s[8:9], v4, v3 src0_sel:BYTE_3 src1_sel:DWORD
	s_andn2_b64 s[4:5], s[4:5], exec
	s_and_b64 s[8:9], s[8:9], exec
	s_or_b64 s[4:5], s[4:5], s[8:9]
	s_or_b64 exec, exec, s[6:7]
	s_and_saveexec_b64 s[6:7], s[4:5]
	s_cbranch_execnz .LBB4_1247
	s_branch .LBB4_1248
.LBB4_3297:
	s_movk_i32 s4, 0x80
	v_cmp_eq_u16_sdwa s[12:13], v9, s4 src0_sel:BYTE_0 src1_sel:DWORD
	s_mov_b64 s[4:5], -1
                                        ; implicit-def: $sgpr10
	s_and_saveexec_b64 s[8:9], s[12:13]
; %bb.3298:
	s_mov_b32 s10, 0x7f800001
	s_xor_b64 s[4:5], exec, -1
; %bb.3299:
	s_or_b64 exec, exec, s[8:9]
	s_and_b64 s[4:5], s[4:5], exec
	s_or_saveexec_b64 s[6:7], s[6:7]
	v_mov_b32_e32 v2, s10
	s_xor_b64 exec, exec, s[6:7]
	s_cbranch_execz .LBB4_1250
.LBB4_3300:
	v_mov_b32_e32 v2, 0
	v_cmp_ne_u16_sdwa s[8:9], v9, v2 src0_sel:BYTE_0 src1_sel:DWORD
	s_andn2_b64 s[4:5], s[4:5], exec
	s_and_b64 s[8:9], s[8:9], exec
	s_or_b64 s[4:5], s[4:5], s[8:9]
	s_or_b64 exec, exec, s[6:7]
	s_and_saveexec_b64 s[6:7], s[4:5]
	s_cbranch_execnz .LBB4_1251
	s_branch .LBB4_1252
.LBB4_3301:
	s_movk_i32 s4, 0x80
	v_cmp_eq_u16_sdwa s[12:13], v5, s4 src0_sel:BYTE_0 src1_sel:DWORD
	s_mov_b64 s[4:5], -1
                                        ; implicit-def: $sgpr10
	s_and_saveexec_b64 s[8:9], s[12:13]
; %bb.3302:
	s_mov_b32 s10, 0x7f800001
	s_xor_b64 s[4:5], exec, -1
; %bb.3303:
	s_or_b64 exec, exec, s[8:9]
	s_and_b64 s[4:5], s[4:5], exec
	s_or_saveexec_b64 s[6:7], s[6:7]
	v_mov_b32_e32 v3, s10
	s_xor_b64 exec, exec, s[6:7]
	s_cbranch_execz .LBB4_1254
.LBB4_3304:
	v_mov_b32_e32 v3, 0
	v_cmp_ne_u16_sdwa s[8:9], v5, v3 src0_sel:BYTE_0 src1_sel:DWORD
	s_andn2_b64 s[4:5], s[4:5], exec
	s_and_b64 s[8:9], s[8:9], exec
	s_or_b64 s[4:5], s[4:5], s[8:9]
	s_or_b64 exec, exec, s[6:7]
	s_and_saveexec_b64 s[6:7], s[4:5]
	s_cbranch_execnz .LBB4_1255
	s_branch .LBB4_1256
.LBB4_3305:
	s_movk_i32 s4, 0x80
	v_cmp_eq_u16_sdwa s[12:13], v3, s4 src0_sel:BYTE_0 src1_sel:DWORD
	s_mov_b64 s[4:5], -1
                                        ; implicit-def: $sgpr10
	s_and_saveexec_b64 s[8:9], s[12:13]
; %bb.3306:
	s_mov_b32 s10, 0x7f800001
	s_xor_b64 s[4:5], exec, -1
; %bb.3307:
	s_or_b64 exec, exec, s[8:9]
	s_and_b64 s[4:5], s[4:5], exec
	s_or_saveexec_b64 s[6:7], s[6:7]
	v_mov_b32_e32 v2, s10
	s_xor_b64 exec, exec, s[6:7]
	s_cbranch_execz .LBB4_1258
.LBB4_3308:
	v_mov_b32_e32 v2, 0
	v_cmp_ne_u16_sdwa s[8:9], v3, v2 src0_sel:BYTE_0 src1_sel:DWORD
	s_andn2_b64 s[4:5], s[4:5], exec
	s_and_b64 s[8:9], s[8:9], exec
	s_or_b64 s[4:5], s[4:5], s[8:9]
	s_or_b64 exec, exec, s[6:7]
	s_and_saveexec_b64 s[6:7], s[4:5]
	s_cbranch_execnz .LBB4_1259
	s_branch .LBB4_1260
.LBB4_3309:
	s_movk_i32 s4, 0x80
	v_cmp_eq_u16_sdwa s[12:13], v3, s4 src0_sel:BYTE_0 src1_sel:DWORD
	s_mov_b64 s[4:5], -1
                                        ; implicit-def: $sgpr10
	s_and_saveexec_b64 s[8:9], s[12:13]
; %bb.3310:
	s_mov_b32 s10, 0x7f800001
	s_xor_b64 s[4:5], exec, -1
; %bb.3311:
	s_or_b64 exec, exec, s[8:9]
	s_and_b64 s[4:5], s[4:5], exec
	s_or_saveexec_b64 s[6:7], s[6:7]
	v_mov_b32_e32 v4, s10
	s_xor_b64 exec, exec, s[6:7]
	s_cbranch_execz .LBB4_1262
.LBB4_3312:
	v_mov_b32_e32 v4, 0
	v_cmp_ne_u16_sdwa s[8:9], v3, v4 src0_sel:BYTE_0 src1_sel:DWORD
	s_andn2_b64 s[4:5], s[4:5], exec
	s_and_b64 s[8:9], s[8:9], exec
	s_or_b64 s[4:5], s[4:5], s[8:9]
	s_or_b64 exec, exec, s[6:7]
	s_and_saveexec_b64 s[6:7], s[4:5]
	s_cbranch_execnz .LBB4_1263
	s_branch .LBB4_1264
.LBB4_3313:
	s_movk_i32 s4, 0x80
	v_cmp_eq_u16_e32 vcc, s4, v3
	s_mov_b64 s[4:5], -1
                                        ; implicit-def: $sgpr10
	s_and_saveexec_b64 s[8:9], vcc
; %bb.3314:
	s_mov_b32 s10, 0x7f800001
	s_xor_b64 s[4:5], exec, -1
; %bb.3315:
	s_or_b64 exec, exec, s[8:9]
	s_and_b64 s[4:5], s[4:5], exec
                                        ; implicit-def: $vgpr3
	s_or_saveexec_b64 s[6:7], s[6:7]
	v_mov_b32_e32 v2, s10
	s_xor_b64 exec, exec, s[6:7]
	s_cbranch_execz .LBB4_1266
.LBB4_3316:
	v_cmp_ne_u16_e32 vcc, 0, v3
	s_andn2_b64 s[4:5], s[4:5], exec
	s_and_b64 s[8:9], vcc, exec
	v_mov_b32_e32 v2, 0
	s_or_b64 s[4:5], s[4:5], s[8:9]
	s_or_b64 exec, exec, s[6:7]
	s_and_saveexec_b64 s[6:7], s[4:5]
	s_cbranch_execnz .LBB4_1267
	s_branch .LBB4_1268
.LBB4_3317:
	s_movk_i32 s4, 0x80
	v_cmp_eq_u16_e32 vcc, s4, v3
	s_mov_b64 s[4:5], -1
                                        ; implicit-def: $sgpr10
	s_and_saveexec_b64 s[8:9], vcc
; %bb.3318:
	s_mov_b32 s10, 0x7f800001
	s_xor_b64 s[4:5], exec, -1
; %bb.3319:
	s_or_b64 exec, exec, s[8:9]
	s_and_b64 s[4:5], s[4:5], exec
                                        ; implicit-def: $vgpr3
	s_or_saveexec_b64 s[6:7], s[6:7]
	v_mov_b32_e32 v4, s10
	s_xor_b64 exec, exec, s[6:7]
	s_cbranch_execz .LBB4_1270
.LBB4_3320:
	v_cmp_ne_u16_e32 vcc, 0, v3
	s_andn2_b64 s[4:5], s[4:5], exec
	s_and_b64 s[8:9], vcc, exec
	v_mov_b32_e32 v4, 0
	s_or_b64 s[4:5], s[4:5], s[8:9]
	s_or_b64 exec, exec, s[6:7]
	s_and_saveexec_b64 s[6:7], s[4:5]
	s_cbranch_execnz .LBB4_1271
	s_branch .LBB4_1272
.LBB4_3321:
	s_movk_i32 s4, 0x80
	v_cmp_eq_u16_sdwa s[12:13], v9, s4 src0_sel:BYTE_3 src1_sel:DWORD
	s_mov_b64 s[4:5], -1
                                        ; implicit-def: $sgpr10
	s_and_saveexec_b64 s[8:9], s[12:13]
; %bb.3322:
	s_mov_b32 s10, 0x7f800001
	s_xor_b64 s[4:5], exec, -1
; %bb.3323:
	s_or_b64 exec, exec, s[8:9]
	s_and_b64 s[4:5], s[4:5], exec
	s_or_saveexec_b64 s[6:7], s[6:7]
	v_mov_b32_e32 v2, s10
	s_xor_b64 exec, exec, s[6:7]
	s_cbranch_execz .LBB4_1274
.LBB4_3324:
	v_mov_b32_e32 v2, 0
	v_cmp_ne_u16_sdwa s[8:9], v9, v2 src0_sel:BYTE_3 src1_sel:DWORD
	s_andn2_b64 s[4:5], s[4:5], exec
	s_and_b64 s[8:9], s[8:9], exec
	s_or_b64 s[4:5], s[4:5], s[8:9]
	s_or_b64 exec, exec, s[6:7]
	s_and_saveexec_b64 s[6:7], s[4:5]
	s_cbranch_execnz .LBB4_1275
	s_branch .LBB4_1276
.LBB4_3325:
	s_movk_i32 s4, 0x80
	v_cmp_eq_u16_sdwa s[12:13], v5, s4 src0_sel:BYTE_3 src1_sel:DWORD
	s_mov_b64 s[4:5], -1
                                        ; implicit-def: $sgpr10
	s_and_saveexec_b64 s[8:9], s[12:13]
; %bb.3326:
	s_mov_b32 s10, 0x7f800001
	s_xor_b64 s[4:5], exec, -1
; %bb.3327:
	s_or_b64 exec, exec, s[8:9]
	s_and_b64 s[4:5], s[4:5], exec
	s_or_saveexec_b64 s[6:7], s[6:7]
	v_mov_b32_e32 v3, s10
	s_xor_b64 exec, exec, s[6:7]
	s_cbranch_execz .LBB4_1278
.LBB4_3328:
	v_mov_b32_e32 v3, 0
	v_cmp_ne_u16_sdwa s[8:9], v5, v3 src0_sel:BYTE_3 src1_sel:DWORD
	s_andn2_b64 s[4:5], s[4:5], exec
	s_and_b64 s[8:9], s[8:9], exec
	s_or_b64 s[4:5], s[4:5], s[8:9]
	s_or_b64 exec, exec, s[6:7]
	s_and_saveexec_b64 s[6:7], s[4:5]
	s_cbranch_execnz .LBB4_1279
	s_branch .LBB4_1280
.LBB4_3329:
	s_movk_i32 s4, 0x80
	v_cmp_eq_u16_sdwa s[12:13], v14, s4 src0_sel:BYTE_0 src1_sel:DWORD
	s_mov_b64 s[4:5], -1
                                        ; implicit-def: $sgpr10
	s_and_saveexec_b64 s[8:9], s[12:13]
; %bb.3330:
	s_mov_b32 s10, 0x7f800001
	s_xor_b64 s[4:5], exec, -1
; %bb.3331:
	s_or_b64 exec, exec, s[8:9]
	s_and_b64 s[4:5], s[4:5], exec
	s_or_saveexec_b64 s[6:7], s[6:7]
	v_mov_b32_e32 v20, s10
	s_xor_b64 exec, exec, s[6:7]
	s_cbranch_execz .LBB4_1282
.LBB4_3332:
	v_mov_b32_e32 v20, 0
	v_cmp_ne_u16_sdwa s[8:9], v14, v20 src0_sel:BYTE_0 src1_sel:DWORD
	s_andn2_b64 s[4:5], s[4:5], exec
	s_and_b64 s[8:9], s[8:9], exec
	s_or_b64 s[4:5], s[4:5], s[8:9]
	s_or_b64 exec, exec, s[6:7]
	s_and_saveexec_b64 s[6:7], s[4:5]
	s_cbranch_execnz .LBB4_1283
	s_branch .LBB4_1284
.LBB4_3333:
	s_movk_i32 s4, 0x80
	v_cmp_eq_u16_sdwa s[12:13], v10, s4 src0_sel:BYTE_0 src1_sel:DWORD
	s_mov_b64 s[4:5], -1
                                        ; implicit-def: $sgpr10
	s_and_saveexec_b64 s[8:9], s[12:13]
; %bb.3334:
	s_mov_b32 s10, 0x7f800001
	s_xor_b64 s[4:5], exec, -1
; %bb.3335:
	s_or_b64 exec, exec, s[8:9]
	s_and_b64 s[4:5], s[4:5], exec
	s_or_saveexec_b64 s[6:7], s[6:7]
	v_mov_b32_e32 v21, s10
	s_xor_b64 exec, exec, s[6:7]
	s_cbranch_execz .LBB4_1286
.LBB4_3336:
	v_mov_b32_e32 v21, 0
	v_cmp_ne_u16_sdwa s[8:9], v10, v21 src0_sel:BYTE_0 src1_sel:DWORD
	s_andn2_b64 s[4:5], s[4:5], exec
	s_and_b64 s[8:9], s[8:9], exec
	s_or_b64 s[4:5], s[4:5], s[8:9]
	s_or_b64 exec, exec, s[6:7]
	s_and_saveexec_b64 s[6:7], s[4:5]
	s_cbranch_execnz .LBB4_1287
	s_branch .LBB4_1288
.LBB4_3337:
	s_movk_i32 s4, 0x80
	v_cmp_eq_u16_sdwa s[12:13], v21, s4 src0_sel:BYTE_0 src1_sel:DWORD
	s_mov_b64 s[4:5], -1
                                        ; implicit-def: $sgpr10
	s_and_saveexec_b64 s[8:9], s[12:13]
; %bb.3338:
	s_mov_b32 s10, 0x7f800001
	s_xor_b64 s[4:5], exec, -1
; %bb.3339:
	s_or_b64 exec, exec, s[8:9]
	s_and_b64 s[4:5], s[4:5], exec
	s_or_saveexec_b64 s[6:7], s[6:7]
	v_mov_b32_e32 v20, s10
	s_xor_b64 exec, exec, s[6:7]
	s_cbranch_execz .LBB4_1290
.LBB4_3340:
	v_mov_b32_e32 v20, 0
	v_cmp_ne_u16_sdwa s[8:9], v21, v20 src0_sel:BYTE_0 src1_sel:DWORD
	s_andn2_b64 s[4:5], s[4:5], exec
	s_and_b64 s[8:9], s[8:9], exec
	s_or_b64 s[4:5], s[4:5], s[8:9]
	s_or_b64 exec, exec, s[6:7]
	s_and_saveexec_b64 s[6:7], s[4:5]
	s_cbranch_execnz .LBB4_1291
	s_branch .LBB4_1292
.LBB4_3341:
	s_movk_i32 s4, 0x80
	v_cmp_eq_u16_sdwa s[12:13], v21, s4 src0_sel:BYTE_0 src1_sel:DWORD
	s_mov_b64 s[4:5], -1
                                        ; implicit-def: $sgpr10
	s_and_saveexec_b64 s[8:9], s[12:13]
; %bb.3342:
	s_mov_b32 s10, 0x7f800001
	s_xor_b64 s[4:5], exec, -1
; %bb.3343:
	s_or_b64 exec, exec, s[8:9]
	s_and_b64 s[4:5], s[4:5], exec
	s_or_saveexec_b64 s[6:7], s[6:7]
	v_mov_b32_e32 v22, s10
	s_xor_b64 exec, exec, s[6:7]
	s_cbranch_execz .LBB4_1294
.LBB4_3344:
	v_mov_b32_e32 v22, 0
	v_cmp_ne_u16_sdwa s[8:9], v21, v22 src0_sel:BYTE_0 src1_sel:DWORD
	s_andn2_b64 s[4:5], s[4:5], exec
	s_and_b64 s[8:9], s[8:9], exec
	s_or_b64 s[4:5], s[4:5], s[8:9]
	s_or_b64 exec, exec, s[6:7]
	s_and_saveexec_b64 s[6:7], s[4:5]
	s_cbranch_execnz .LBB4_1295
	s_branch .LBB4_1296
.LBB4_3345:
	s_movk_i32 s4, 0x80
	v_cmp_eq_u16_e32 vcc, s4, v21
	s_mov_b64 s[4:5], -1
                                        ; implicit-def: $sgpr10
	s_and_saveexec_b64 s[8:9], vcc
; %bb.3346:
	s_mov_b32 s10, 0x7f800001
	s_xor_b64 s[4:5], exec, -1
; %bb.3347:
	s_or_b64 exec, exec, s[8:9]
	s_and_b64 s[4:5], s[4:5], exec
                                        ; implicit-def: $vgpr21
	s_or_saveexec_b64 s[6:7], s[6:7]
	v_mov_b32_e32 v20, s10
	s_xor_b64 exec, exec, s[6:7]
	s_cbranch_execz .LBB4_1298
.LBB4_3348:
	v_cmp_ne_u16_e32 vcc, 0, v21
	s_andn2_b64 s[4:5], s[4:5], exec
	s_and_b64 s[8:9], vcc, exec
	v_mov_b32_e32 v20, 0
	s_or_b64 s[4:5], s[4:5], s[8:9]
	s_or_b64 exec, exec, s[6:7]
	s_and_saveexec_b64 s[6:7], s[4:5]
	s_cbranch_execnz .LBB4_1299
	s_branch .LBB4_1300
.LBB4_3349:
	s_movk_i32 s4, 0x80
	v_cmp_eq_u16_e32 vcc, s4, v21
	s_mov_b64 s[4:5], -1
                                        ; implicit-def: $sgpr10
	s_and_saveexec_b64 s[8:9], vcc
; %bb.3350:
	s_mov_b32 s10, 0x7f800001
	s_xor_b64 s[4:5], exec, -1
; %bb.3351:
	s_or_b64 exec, exec, s[8:9]
	s_and_b64 s[4:5], s[4:5], exec
                                        ; implicit-def: $vgpr21
	s_or_saveexec_b64 s[6:7], s[6:7]
	v_mov_b32_e32 v22, s10
	s_xor_b64 exec, exec, s[6:7]
	s_cbranch_execz .LBB4_1302
.LBB4_3352:
	v_cmp_ne_u16_e32 vcc, 0, v21
	s_andn2_b64 s[4:5], s[4:5], exec
	s_and_b64 s[8:9], vcc, exec
	v_mov_b32_e32 v22, 0
	s_or_b64 s[4:5], s[4:5], s[8:9]
	s_or_b64 exec, exec, s[6:7]
	s_and_saveexec_b64 s[6:7], s[4:5]
	s_cbranch_execnz .LBB4_1303
	s_branch .LBB4_1304
.LBB4_3353:
	s_movk_i32 s4, 0x80
	v_cmp_eq_u16_sdwa s[12:13], v14, s4 src0_sel:BYTE_3 src1_sel:DWORD
	s_mov_b64 s[4:5], -1
                                        ; implicit-def: $sgpr10
	s_and_saveexec_b64 s[8:9], s[12:13]
; %bb.3354:
	s_mov_b32 s10, 0x7f800001
	s_xor_b64 s[4:5], exec, -1
; %bb.3355:
	s_or_b64 exec, exec, s[8:9]
	s_and_b64 s[4:5], s[4:5], exec
	s_or_saveexec_b64 s[6:7], s[6:7]
	v_mov_b32_e32 v20, s10
	s_xor_b64 exec, exec, s[6:7]
	s_cbranch_execz .LBB4_1306
.LBB4_3356:
	v_mov_b32_e32 v20, 0
	v_cmp_ne_u16_sdwa s[8:9], v14, v20 src0_sel:BYTE_3 src1_sel:DWORD
	s_andn2_b64 s[4:5], s[4:5], exec
	s_and_b64 s[8:9], s[8:9], exec
	s_or_b64 s[4:5], s[4:5], s[8:9]
	s_or_b64 exec, exec, s[6:7]
	s_and_saveexec_b64 s[6:7], s[4:5]
	s_cbranch_execnz .LBB4_1307
	s_branch .LBB4_1308
.LBB4_3357:
	s_movk_i32 s4, 0x80
	v_cmp_eq_u16_sdwa s[12:13], v10, s4 src0_sel:BYTE_3 src1_sel:DWORD
	s_mov_b64 s[4:5], -1
                                        ; implicit-def: $sgpr10
	s_and_saveexec_b64 s[8:9], s[12:13]
; %bb.3358:
	s_mov_b32 s10, 0x7f800001
	s_xor_b64 s[4:5], exec, -1
; %bb.3359:
	s_or_b64 exec, exec, s[8:9]
	s_and_b64 s[4:5], s[4:5], exec
	s_or_saveexec_b64 s[6:7], s[6:7]
	v_mov_b32_e32 v14, s10
	s_xor_b64 exec, exec, s[6:7]
	s_cbranch_execz .LBB4_1310
.LBB4_3360:
	v_mov_b32_e32 v14, 0
	v_cmp_ne_u16_sdwa s[8:9], v10, v14 src0_sel:BYTE_3 src1_sel:DWORD
	s_andn2_b64 s[4:5], s[4:5], exec
	s_and_b64 s[8:9], s[8:9], exec
	s_or_b64 s[4:5], s[4:5], s[8:9]
	s_or_b64 exec, exec, s[6:7]
	s_and_saveexec_b64 s[6:7], s[4:5]
	s_cbranch_execnz .LBB4_1311
	s_branch .LBB4_1312
.LBB4_3361:
	s_movk_i32 s4, 0x80
	v_cmp_eq_u16_sdwa s[12:13], v15, s4 src0_sel:BYTE_0 src1_sel:DWORD
	s_mov_b64 s[4:5], -1
                                        ; implicit-def: $sgpr10
	s_and_saveexec_b64 s[8:9], s[12:13]
; %bb.3362:
	s_mov_b32 s10, 0x7f800001
	s_xor_b64 s[4:5], exec, -1
; %bb.3363:
	s_or_b64 exec, exec, s[8:9]
	s_and_b64 s[4:5], s[4:5], exec
	s_or_saveexec_b64 s[6:7], s[6:7]
	v_mov_b32_e32 v10, s10
	s_xor_b64 exec, exec, s[6:7]
	s_cbranch_execz .LBB4_1314
.LBB4_3364:
	v_mov_b32_e32 v10, 0
	v_cmp_ne_u16_sdwa s[8:9], v15, v10 src0_sel:BYTE_0 src1_sel:DWORD
	s_andn2_b64 s[4:5], s[4:5], exec
	s_and_b64 s[8:9], s[8:9], exec
	s_or_b64 s[4:5], s[4:5], s[8:9]
	s_or_b64 exec, exec, s[6:7]
	s_and_saveexec_b64 s[6:7], s[4:5]
	s_cbranch_execnz .LBB4_1315
	s_branch .LBB4_1316
.LBB4_3365:
	s_movk_i32 s4, 0x80
	v_cmp_eq_u16_sdwa s[12:13], v11, s4 src0_sel:BYTE_0 src1_sel:DWORD
	s_mov_b64 s[4:5], -1
                                        ; implicit-def: $sgpr10
	s_and_saveexec_b64 s[8:9], s[12:13]
; %bb.3366:
	s_mov_b32 s10, 0x7f800001
	s_xor_b64 s[4:5], exec, -1
; %bb.3367:
	s_or_b64 exec, exec, s[8:9]
	s_and_b64 s[4:5], s[4:5], exec
	s_or_saveexec_b64 s[6:7], s[6:7]
	v_mov_b32_e32 v14, s10
	s_xor_b64 exec, exec, s[6:7]
	s_cbranch_execz .LBB4_1318
.LBB4_3368:
	v_mov_b32_e32 v14, 0
	v_cmp_ne_u16_sdwa s[8:9], v11, v14 src0_sel:BYTE_0 src1_sel:DWORD
	s_andn2_b64 s[4:5], s[4:5], exec
	s_and_b64 s[8:9], s[8:9], exec
	s_or_b64 s[4:5], s[4:5], s[8:9]
	s_or_b64 exec, exec, s[6:7]
	s_and_saveexec_b64 s[6:7], s[4:5]
	s_cbranch_execnz .LBB4_1319
	s_branch .LBB4_1320
.LBB4_3369:
	s_movk_i32 s4, 0x80
	v_cmp_eq_u16_sdwa s[12:13], v14, s4 src0_sel:BYTE_0 src1_sel:DWORD
	s_mov_b64 s[4:5], -1
                                        ; implicit-def: $sgpr10
	s_and_saveexec_b64 s[8:9], s[12:13]
; %bb.3370:
	s_mov_b32 s10, 0x7f800001
	s_xor_b64 s[4:5], exec, -1
; %bb.3371:
	s_or_b64 exec, exec, s[8:9]
	s_and_b64 s[4:5], s[4:5], exec
	s_or_saveexec_b64 s[6:7], s[6:7]
	v_mov_b32_e32 v10, s10
	s_xor_b64 exec, exec, s[6:7]
	s_cbranch_execz .LBB4_1322
.LBB4_3372:
	v_mov_b32_e32 v10, 0
	v_cmp_ne_u16_sdwa s[8:9], v14, v10 src0_sel:BYTE_0 src1_sel:DWORD
	s_andn2_b64 s[4:5], s[4:5], exec
	s_and_b64 s[8:9], s[8:9], exec
	s_or_b64 s[4:5], s[4:5], s[8:9]
	s_or_b64 exec, exec, s[6:7]
	s_and_saveexec_b64 s[6:7], s[4:5]
	s_cbranch_execnz .LBB4_1323
	s_branch .LBB4_1324
.LBB4_3373:
	s_movk_i32 s4, 0x80
	v_cmp_eq_u16_sdwa s[12:13], v14, s4 src0_sel:BYTE_0 src1_sel:DWORD
	s_mov_b64 s[4:5], -1
                                        ; implicit-def: $sgpr10
	s_and_saveexec_b64 s[8:9], s[12:13]
; %bb.3374:
	s_mov_b32 s10, 0x7f800001
	s_xor_b64 s[4:5], exec, -1
; %bb.3375:
	s_or_b64 exec, exec, s[8:9]
	s_and_b64 s[4:5], s[4:5], exec
	s_or_saveexec_b64 s[6:7], s[6:7]
	v_mov_b32_e32 v20, s10
	s_xor_b64 exec, exec, s[6:7]
	s_cbranch_execz .LBB4_1326
.LBB4_3376:
	v_mov_b32_e32 v20, 0
	v_cmp_ne_u16_sdwa s[8:9], v14, v20 src0_sel:BYTE_0 src1_sel:DWORD
	s_andn2_b64 s[4:5], s[4:5], exec
	s_and_b64 s[8:9], s[8:9], exec
	s_or_b64 s[4:5], s[4:5], s[8:9]
	s_or_b64 exec, exec, s[6:7]
	s_and_saveexec_b64 s[6:7], s[4:5]
	s_cbranch_execnz .LBB4_1327
	s_branch .LBB4_1328
.LBB4_3377:
	s_movk_i32 s4, 0x80
	v_cmp_eq_u16_e32 vcc, s4, v14
	s_mov_b64 s[4:5], -1
                                        ; implicit-def: $sgpr10
	s_and_saveexec_b64 s[8:9], vcc
; %bb.3378:
	s_mov_b32 s10, 0x7f800001
	s_xor_b64 s[4:5], exec, -1
; %bb.3379:
	s_or_b64 exec, exec, s[8:9]
	s_and_b64 s[4:5], s[4:5], exec
                                        ; implicit-def: $vgpr14
	s_or_saveexec_b64 s[6:7], s[6:7]
	v_mov_b32_e32 v10, s10
	s_xor_b64 exec, exec, s[6:7]
	s_cbranch_execz .LBB4_1330
.LBB4_3380:
	v_cmp_ne_u16_e32 vcc, 0, v14
	s_andn2_b64 s[4:5], s[4:5], exec
	s_and_b64 s[8:9], vcc, exec
	v_mov_b32_e32 v10, 0
	s_or_b64 s[4:5], s[4:5], s[8:9]
	s_or_b64 exec, exec, s[6:7]
	s_and_saveexec_b64 s[6:7], s[4:5]
	s_cbranch_execnz .LBB4_1331
	s_branch .LBB4_1332
.LBB4_3381:
	s_movk_i32 s4, 0x80
	v_cmp_eq_u16_e32 vcc, s4, v14
	s_mov_b64 s[4:5], -1
                                        ; implicit-def: $sgpr10
	s_and_saveexec_b64 s[8:9], vcc
; %bb.3382:
	s_mov_b32 s10, 0x7f800001
	s_xor_b64 s[4:5], exec, -1
; %bb.3383:
	s_or_b64 exec, exec, s[8:9]
	s_and_b64 s[4:5], s[4:5], exec
                                        ; implicit-def: $vgpr14
	s_or_saveexec_b64 s[6:7], s[6:7]
	v_mov_b32_e32 v20, s10
	s_xor_b64 exec, exec, s[6:7]
	s_cbranch_execz .LBB4_1334
.LBB4_3384:
	v_cmp_ne_u16_e32 vcc, 0, v14
	s_andn2_b64 s[4:5], s[4:5], exec
	s_and_b64 s[8:9], vcc, exec
	v_mov_b32_e32 v20, 0
	s_or_b64 s[4:5], s[4:5], s[8:9]
	s_or_b64 exec, exec, s[6:7]
	s_and_saveexec_b64 s[6:7], s[4:5]
	s_cbranch_execnz .LBB4_1335
	s_branch .LBB4_1336
.LBB4_3385:
	s_movk_i32 s4, 0x80
	v_cmp_eq_u16_sdwa s[12:13], v15, s4 src0_sel:BYTE_3 src1_sel:DWORD
	s_mov_b64 s[4:5], -1
                                        ; implicit-def: $sgpr10
	s_and_saveexec_b64 s[8:9], s[12:13]
; %bb.3386:
	s_mov_b32 s10, 0x7f800001
	s_xor_b64 s[4:5], exec, -1
; %bb.3387:
	s_or_b64 exec, exec, s[8:9]
	s_and_b64 s[4:5], s[4:5], exec
	s_or_saveexec_b64 s[6:7], s[6:7]
	v_mov_b32_e32 v10, s10
	s_xor_b64 exec, exec, s[6:7]
	s_cbranch_execz .LBB4_1338
.LBB4_3388:
	v_mov_b32_e32 v10, 0
	v_cmp_ne_u16_sdwa s[8:9], v15, v10 src0_sel:BYTE_3 src1_sel:DWORD
	s_andn2_b64 s[4:5], s[4:5], exec
	s_and_b64 s[8:9], s[8:9], exec
	s_or_b64 s[4:5], s[4:5], s[8:9]
	s_or_b64 exec, exec, s[6:7]
	s_and_saveexec_b64 s[6:7], s[4:5]
	s_cbranch_execnz .LBB4_1339
	s_branch .LBB4_1340
.LBB4_3389:
	s_movk_i32 s4, 0x80
	v_cmp_eq_u16_sdwa s[12:13], v11, s4 src0_sel:BYTE_3 src1_sel:DWORD
	s_mov_b64 s[4:5], -1
                                        ; implicit-def: $sgpr10
	s_and_saveexec_b64 s[8:9], s[12:13]
; %bb.3390:
	s_mov_b32 s10, 0x7f800001
	s_xor_b64 s[4:5], exec, -1
; %bb.3391:
	s_or_b64 exec, exec, s[8:9]
	s_and_b64 s[4:5], s[4:5], exec
	s_or_saveexec_b64 s[6:7], s[6:7]
	v_mov_b32_e32 v14, s10
	s_xor_b64 exec, exec, s[6:7]
	s_cbranch_execz .LBB4_1342
.LBB4_3392:
	v_mov_b32_e32 v14, 0
	v_cmp_ne_u16_sdwa s[8:9], v11, v14 src0_sel:BYTE_3 src1_sel:DWORD
	s_andn2_b64 s[4:5], s[4:5], exec
	s_and_b64 s[8:9], s[8:9], exec
	s_or_b64 s[4:5], s[4:5], s[8:9]
	s_or_b64 exec, exec, s[6:7]
	s_and_saveexec_b64 s[6:7], s[4:5]
	s_cbranch_execnz .LBB4_1343
	s_branch .LBB4_1344
.LBB4_3393:
	s_movk_i32 s4, 0x80
	v_cmp_eq_u16_sdwa s[12:13], v16, s4 src0_sel:BYTE_0 src1_sel:DWORD
	s_mov_b64 s[4:5], -1
                                        ; implicit-def: $sgpr10
	s_and_saveexec_b64 s[8:9], s[12:13]
; %bb.3394:
	s_mov_b32 s10, 0x7f800001
	s_xor_b64 s[4:5], exec, -1
; %bb.3395:
	s_or_b64 exec, exec, s[8:9]
	s_and_b64 s[4:5], s[4:5], exec
	s_or_saveexec_b64 s[6:7], s[6:7]
	v_mov_b32_e32 v10, s10
	s_xor_b64 exec, exec, s[6:7]
	s_cbranch_execz .LBB4_1346
.LBB4_3396:
	v_mov_b32_e32 v10, 0
	v_cmp_ne_u16_sdwa s[8:9], v16, v10 src0_sel:BYTE_0 src1_sel:DWORD
	s_andn2_b64 s[4:5], s[4:5], exec
	s_and_b64 s[8:9], s[8:9], exec
	s_or_b64 s[4:5], s[4:5], s[8:9]
	s_or_b64 exec, exec, s[6:7]
	s_and_saveexec_b64 s[6:7], s[4:5]
	s_cbranch_execnz .LBB4_1347
	s_branch .LBB4_1348
.LBB4_3397:
	s_movk_i32 s4, 0x80
	v_cmp_eq_u16_sdwa s[12:13], v12, s4 src0_sel:BYTE_0 src1_sel:DWORD
	s_mov_b64 s[4:5], -1
                                        ; implicit-def: $sgpr10
	s_and_saveexec_b64 s[8:9], s[12:13]
; %bb.3398:
	s_mov_b32 s10, 0x7f800001
	s_xor_b64 s[4:5], exec, -1
; %bb.3399:
	s_or_b64 exec, exec, s[8:9]
	s_and_b64 s[4:5], s[4:5], exec
	s_or_saveexec_b64 s[6:7], s[6:7]
	v_mov_b32_e32 v11, s10
	s_xor_b64 exec, exec, s[6:7]
	s_cbranch_execz .LBB4_1350
.LBB4_3400:
	v_mov_b32_e32 v11, 0
	v_cmp_ne_u16_sdwa s[8:9], v12, v11 src0_sel:BYTE_0 src1_sel:DWORD
	s_andn2_b64 s[4:5], s[4:5], exec
	s_and_b64 s[8:9], s[8:9], exec
	s_or_b64 s[4:5], s[4:5], s[8:9]
	s_or_b64 exec, exec, s[6:7]
	s_and_saveexec_b64 s[6:7], s[4:5]
	s_cbranch_execnz .LBB4_1351
	s_branch .LBB4_1352
.LBB4_3401:
	s_movk_i32 s4, 0x80
	v_cmp_eq_u16_sdwa s[12:13], v11, s4 src0_sel:BYTE_0 src1_sel:DWORD
	s_mov_b64 s[4:5], -1
                                        ; implicit-def: $sgpr10
	s_and_saveexec_b64 s[8:9], s[12:13]
; %bb.3402:
	s_mov_b32 s10, 0x7f800001
	s_xor_b64 s[4:5], exec, -1
; %bb.3403:
	s_or_b64 exec, exec, s[8:9]
	s_and_b64 s[4:5], s[4:5], exec
	s_or_saveexec_b64 s[6:7], s[6:7]
	v_mov_b32_e32 v10, s10
	s_xor_b64 exec, exec, s[6:7]
	s_cbranch_execz .LBB4_1354
.LBB4_3404:
	v_mov_b32_e32 v10, 0
	v_cmp_ne_u16_sdwa s[8:9], v11, v10 src0_sel:BYTE_0 src1_sel:DWORD
	s_andn2_b64 s[4:5], s[4:5], exec
	s_and_b64 s[8:9], s[8:9], exec
	s_or_b64 s[4:5], s[4:5], s[8:9]
	s_or_b64 exec, exec, s[6:7]
	s_and_saveexec_b64 s[6:7], s[4:5]
	s_cbranch_execnz .LBB4_1355
	s_branch .LBB4_1356
.LBB4_3405:
	s_movk_i32 s4, 0x80
	v_cmp_eq_u16_sdwa s[12:13], v11, s4 src0_sel:BYTE_0 src1_sel:DWORD
	s_mov_b64 s[4:5], -1
                                        ; implicit-def: $sgpr10
	s_and_saveexec_b64 s[8:9], s[12:13]
; %bb.3406:
	s_mov_b32 s10, 0x7f800001
	s_xor_b64 s[4:5], exec, -1
; %bb.3407:
	s_or_b64 exec, exec, s[8:9]
	s_and_b64 s[4:5], s[4:5], exec
	s_or_saveexec_b64 s[6:7], s[6:7]
	v_mov_b32_e32 v14, s10
	s_xor_b64 exec, exec, s[6:7]
	s_cbranch_execz .LBB4_1358
.LBB4_3408:
	v_mov_b32_e32 v14, 0
	v_cmp_ne_u16_sdwa s[8:9], v11, v14 src0_sel:BYTE_0 src1_sel:DWORD
	s_andn2_b64 s[4:5], s[4:5], exec
	s_and_b64 s[8:9], s[8:9], exec
	s_or_b64 s[4:5], s[4:5], s[8:9]
	s_or_b64 exec, exec, s[6:7]
	s_and_saveexec_b64 s[6:7], s[4:5]
	s_cbranch_execnz .LBB4_1359
	s_branch .LBB4_1360
.LBB4_3409:
	s_movk_i32 s4, 0x80
	v_cmp_eq_u16_e32 vcc, s4, v11
	s_mov_b64 s[4:5], -1
                                        ; implicit-def: $sgpr10
	s_and_saveexec_b64 s[8:9], vcc
; %bb.3410:
	s_mov_b32 s10, 0x7f800001
	s_xor_b64 s[4:5], exec, -1
; %bb.3411:
	s_or_b64 exec, exec, s[8:9]
	s_and_b64 s[4:5], s[4:5], exec
                                        ; implicit-def: $vgpr11
	s_or_saveexec_b64 s[6:7], s[6:7]
	v_mov_b32_e32 v10, s10
	s_xor_b64 exec, exec, s[6:7]
	s_cbranch_execz .LBB4_1362
.LBB4_3412:
	v_cmp_ne_u16_e32 vcc, 0, v11
	s_andn2_b64 s[4:5], s[4:5], exec
	s_and_b64 s[8:9], vcc, exec
	v_mov_b32_e32 v10, 0
	s_or_b64 s[4:5], s[4:5], s[8:9]
	s_or_b64 exec, exec, s[6:7]
	s_and_saveexec_b64 s[6:7], s[4:5]
	s_cbranch_execnz .LBB4_1363
	s_branch .LBB4_1364
.LBB4_3413:
	s_movk_i32 s4, 0x80
	v_cmp_eq_u16_e32 vcc, s4, v11
	s_mov_b64 s[4:5], -1
                                        ; implicit-def: $sgpr10
	s_and_saveexec_b64 s[8:9], vcc
; %bb.3414:
	s_mov_b32 s10, 0x7f800001
	s_xor_b64 s[4:5], exec, -1
; %bb.3415:
	s_or_b64 exec, exec, s[8:9]
	s_and_b64 s[4:5], s[4:5], exec
                                        ; implicit-def: $vgpr11
	s_or_saveexec_b64 s[6:7], s[6:7]
	v_mov_b32_e32 v14, s10
	s_xor_b64 exec, exec, s[6:7]
	s_cbranch_execz .LBB4_1366
.LBB4_3416:
	v_cmp_ne_u16_e32 vcc, 0, v11
	s_andn2_b64 s[4:5], s[4:5], exec
	s_and_b64 s[8:9], vcc, exec
	v_mov_b32_e32 v14, 0
	s_or_b64 s[4:5], s[4:5], s[8:9]
	s_or_b64 exec, exec, s[6:7]
	s_and_saveexec_b64 s[6:7], s[4:5]
	s_cbranch_execnz .LBB4_1367
	s_branch .LBB4_1368
.LBB4_3417:
	s_movk_i32 s4, 0x80
	v_cmp_eq_u16_sdwa s[12:13], v16, s4 src0_sel:BYTE_3 src1_sel:DWORD
	s_mov_b64 s[4:5], -1
                                        ; implicit-def: $sgpr10
	s_and_saveexec_b64 s[8:9], s[12:13]
; %bb.3418:
	s_mov_b32 s10, 0x7f800001
	s_xor_b64 s[4:5], exec, -1
; %bb.3419:
	s_or_b64 exec, exec, s[8:9]
	s_and_b64 s[4:5], s[4:5], exec
	s_or_saveexec_b64 s[6:7], s[6:7]
	v_mov_b32_e32 v10, s10
	s_xor_b64 exec, exec, s[6:7]
	s_cbranch_execz .LBB4_1370
.LBB4_3420:
	v_mov_b32_e32 v10, 0
	v_cmp_ne_u16_sdwa s[8:9], v16, v10 src0_sel:BYTE_3 src1_sel:DWORD
	s_andn2_b64 s[4:5], s[4:5], exec
	s_and_b64 s[8:9], s[8:9], exec
	s_or_b64 s[4:5], s[4:5], s[8:9]
	s_or_b64 exec, exec, s[6:7]
	s_and_saveexec_b64 s[6:7], s[4:5]
	s_cbranch_execnz .LBB4_1371
	s_branch .LBB4_1372
.LBB4_3421:
	s_movk_i32 s4, 0x80
	v_cmp_eq_u16_sdwa s[12:13], v12, s4 src0_sel:BYTE_3 src1_sel:DWORD
	s_mov_b64 s[4:5], -1
                                        ; implicit-def: $sgpr10
	s_and_saveexec_b64 s[8:9], s[12:13]
; %bb.3422:
	s_mov_b32 s10, 0x7f800001
	s_xor_b64 s[4:5], exec, -1
; %bb.3423:
	s_or_b64 exec, exec, s[8:9]
	s_and_b64 s[4:5], s[4:5], exec
	s_or_saveexec_b64 s[6:7], s[6:7]
	v_mov_b32_e32 v11, s10
	s_xor_b64 exec, exec, s[6:7]
	s_cbranch_execz .LBB4_1374
.LBB4_3424:
	v_mov_b32_e32 v11, 0
	v_cmp_ne_u16_sdwa s[8:9], v12, v11 src0_sel:BYTE_3 src1_sel:DWORD
	s_andn2_b64 s[4:5], s[4:5], exec
	s_and_b64 s[8:9], s[8:9], exec
	s_or_b64 s[4:5], s[4:5], s[8:9]
	s_or_b64 exec, exec, s[6:7]
	s_and_saveexec_b64 s[6:7], s[4:5]
	s_cbranch_execnz .LBB4_1375
	s_branch .LBB4_1376
.LBB4_3425:
	s_movk_i32 s4, 0x80
	v_cmp_eq_u16_sdwa s[12:13], v17, s4 src0_sel:BYTE_0 src1_sel:DWORD
	s_mov_b64 s[4:5], -1
                                        ; implicit-def: $sgpr10
	s_and_saveexec_b64 s[8:9], s[12:13]
; %bb.3426:
	s_mov_b32 s10, 0x7f800001
	s_xor_b64 s[4:5], exec, -1
; %bb.3427:
	s_or_b64 exec, exec, s[8:9]
	s_and_b64 s[4:5], s[4:5], exec
	s_or_saveexec_b64 s[6:7], s[6:7]
	v_mov_b32_e32 v10, s10
	s_xor_b64 exec, exec, s[6:7]
	s_cbranch_execz .LBB4_1378
.LBB4_3428:
	v_mov_b32_e32 v10, 0
	v_cmp_ne_u16_sdwa s[8:9], v17, v10 src0_sel:BYTE_0 src1_sel:DWORD
	s_andn2_b64 s[4:5], s[4:5], exec
	s_and_b64 s[8:9], s[8:9], exec
	s_or_b64 s[4:5], s[4:5], s[8:9]
	s_or_b64 exec, exec, s[6:7]
	s_and_saveexec_b64 s[6:7], s[4:5]
	s_cbranch_execnz .LBB4_1379
	s_branch .LBB4_1380
.LBB4_3429:
	s_movk_i32 s4, 0x80
	v_cmp_eq_u16_sdwa s[12:13], v13, s4 src0_sel:BYTE_0 src1_sel:DWORD
	s_mov_b64 s[4:5], -1
                                        ; implicit-def: $sgpr10
	s_and_saveexec_b64 s[8:9], s[12:13]
; %bb.3430:
	s_mov_b32 s10, 0x7f800001
	s_xor_b64 s[4:5], exec, -1
; %bb.3431:
	s_or_b64 exec, exec, s[8:9]
	s_and_b64 s[4:5], s[4:5], exec
	s_or_saveexec_b64 s[6:7], s[6:7]
	v_mov_b32_e32 v11, s10
	s_xor_b64 exec, exec, s[6:7]
	s_cbranch_execz .LBB4_1382
.LBB4_3432:
	v_mov_b32_e32 v11, 0
	v_cmp_ne_u16_sdwa s[8:9], v13, v11 src0_sel:BYTE_0 src1_sel:DWORD
	s_andn2_b64 s[4:5], s[4:5], exec
	s_and_b64 s[8:9], s[8:9], exec
	s_or_b64 s[4:5], s[4:5], s[8:9]
	s_or_b64 exec, exec, s[6:7]
	s_and_saveexec_b64 s[6:7], s[4:5]
	s_cbranch_execnz .LBB4_1383
	s_branch .LBB4_1384
.LBB4_3433:
	s_movk_i32 s4, 0x80
	v_cmp_eq_u16_sdwa s[12:13], v11, s4 src0_sel:BYTE_0 src1_sel:DWORD
	s_mov_b64 s[4:5], -1
                                        ; implicit-def: $sgpr10
	s_and_saveexec_b64 s[8:9], s[12:13]
; %bb.3434:
	s_mov_b32 s10, 0x7f800001
	s_xor_b64 s[4:5], exec, -1
; %bb.3435:
	s_or_b64 exec, exec, s[8:9]
	s_and_b64 s[4:5], s[4:5], exec
	s_or_saveexec_b64 s[6:7], s[6:7]
	v_mov_b32_e32 v10, s10
	s_xor_b64 exec, exec, s[6:7]
	s_cbranch_execz .LBB4_1386
.LBB4_3436:
	v_mov_b32_e32 v10, 0
	v_cmp_ne_u16_sdwa s[8:9], v11, v10 src0_sel:BYTE_0 src1_sel:DWORD
	s_andn2_b64 s[4:5], s[4:5], exec
	s_and_b64 s[8:9], s[8:9], exec
	s_or_b64 s[4:5], s[4:5], s[8:9]
	s_or_b64 exec, exec, s[6:7]
	s_and_saveexec_b64 s[6:7], s[4:5]
	s_cbranch_execnz .LBB4_1387
	s_branch .LBB4_1388
.LBB4_3437:
	s_movk_i32 s4, 0x80
	v_cmp_eq_u16_sdwa s[12:13], v11, s4 src0_sel:BYTE_0 src1_sel:DWORD
	s_mov_b64 s[4:5], -1
                                        ; implicit-def: $sgpr10
	s_and_saveexec_b64 s[8:9], s[12:13]
; %bb.3438:
	s_mov_b32 s10, 0x7f800001
	s_xor_b64 s[4:5], exec, -1
; %bb.3439:
	s_or_b64 exec, exec, s[8:9]
	s_and_b64 s[4:5], s[4:5], exec
	s_or_saveexec_b64 s[6:7], s[6:7]
	v_mov_b32_e32 v12, s10
	s_xor_b64 exec, exec, s[6:7]
	s_cbranch_execz .LBB4_1390
.LBB4_3440:
	v_mov_b32_e32 v12, 0
	v_cmp_ne_u16_sdwa s[8:9], v11, v12 src0_sel:BYTE_0 src1_sel:DWORD
	s_andn2_b64 s[4:5], s[4:5], exec
	s_and_b64 s[8:9], s[8:9], exec
	s_or_b64 s[4:5], s[4:5], s[8:9]
	s_or_b64 exec, exec, s[6:7]
	s_and_saveexec_b64 s[6:7], s[4:5]
	s_cbranch_execnz .LBB4_1391
	s_branch .LBB4_1392
.LBB4_3441:
	s_movk_i32 s4, 0x80
	v_cmp_eq_u16_e32 vcc, s4, v11
	s_mov_b64 s[4:5], -1
                                        ; implicit-def: $sgpr10
	s_and_saveexec_b64 s[8:9], vcc
; %bb.3442:
	s_mov_b32 s10, 0x7f800001
	s_xor_b64 s[4:5], exec, -1
; %bb.3443:
	s_or_b64 exec, exec, s[8:9]
	s_and_b64 s[4:5], s[4:5], exec
                                        ; implicit-def: $vgpr11
	s_or_saveexec_b64 s[6:7], s[6:7]
	v_mov_b32_e32 v10, s10
	s_xor_b64 exec, exec, s[6:7]
	s_cbranch_execz .LBB4_1394
.LBB4_3444:
	v_cmp_ne_u16_e32 vcc, 0, v11
	s_andn2_b64 s[4:5], s[4:5], exec
	s_and_b64 s[8:9], vcc, exec
	v_mov_b32_e32 v10, 0
	s_or_b64 s[4:5], s[4:5], s[8:9]
	s_or_b64 exec, exec, s[6:7]
	s_and_saveexec_b64 s[6:7], s[4:5]
	s_cbranch_execnz .LBB4_1395
	s_branch .LBB4_1396
.LBB4_3445:
	s_movk_i32 s4, 0x80
	v_cmp_eq_u16_e32 vcc, s4, v11
	s_mov_b64 s[4:5], -1
                                        ; implicit-def: $sgpr10
	s_and_saveexec_b64 s[8:9], vcc
; %bb.3446:
	s_mov_b32 s10, 0x7f800001
	s_xor_b64 s[4:5], exec, -1
; %bb.3447:
	s_or_b64 exec, exec, s[8:9]
	s_and_b64 s[4:5], s[4:5], exec
                                        ; implicit-def: $vgpr11
	s_or_saveexec_b64 s[6:7], s[6:7]
	v_mov_b32_e32 v12, s10
	s_xor_b64 exec, exec, s[6:7]
	s_cbranch_execz .LBB4_1398
.LBB4_3448:
	v_cmp_ne_u16_e32 vcc, 0, v11
	s_andn2_b64 s[4:5], s[4:5], exec
	s_and_b64 s[8:9], vcc, exec
	v_mov_b32_e32 v12, 0
	s_or_b64 s[4:5], s[4:5], s[8:9]
	s_or_b64 exec, exec, s[6:7]
	s_and_saveexec_b64 s[6:7], s[4:5]
	s_cbranch_execnz .LBB4_1399
	s_branch .LBB4_1400
.LBB4_3449:
	s_movk_i32 s4, 0x80
	v_cmp_eq_u16_sdwa s[12:13], v17, s4 src0_sel:BYTE_3 src1_sel:DWORD
	s_mov_b64 s[4:5], -1
                                        ; implicit-def: $sgpr10
	s_and_saveexec_b64 s[8:9], s[12:13]
; %bb.3450:
	s_mov_b32 s10, 0x7f800001
	s_xor_b64 s[4:5], exec, -1
; %bb.3451:
	s_or_b64 exec, exec, s[8:9]
	s_and_b64 s[4:5], s[4:5], exec
	s_or_saveexec_b64 s[6:7], s[6:7]
	v_mov_b32_e32 v10, s10
	s_xor_b64 exec, exec, s[6:7]
	s_cbranch_execz .LBB4_1402
.LBB4_3452:
	v_mov_b32_e32 v10, 0
	v_cmp_ne_u16_sdwa s[8:9], v17, v10 src0_sel:BYTE_3 src1_sel:DWORD
	s_andn2_b64 s[4:5], s[4:5], exec
	s_and_b64 s[8:9], s[8:9], exec
	s_or_b64 s[4:5], s[4:5], s[8:9]
	s_or_b64 exec, exec, s[6:7]
	s_and_saveexec_b64 s[6:7], s[4:5]
	s_cbranch_execnz .LBB4_1403
	s_branch .LBB4_1404
.LBB4_3453:
	s_movk_i32 s4, 0x80
	v_cmp_eq_u16_sdwa s[12:13], v13, s4 src0_sel:BYTE_3 src1_sel:DWORD
	s_mov_b64 s[4:5], -1
                                        ; implicit-def: $sgpr10
	s_and_saveexec_b64 s[8:9], s[12:13]
; %bb.3454:
	s_mov_b32 s10, 0x7f800001
	s_xor_b64 s[4:5], exec, -1
; %bb.3455:
	s_or_b64 exec, exec, s[8:9]
	s_and_b64 s[4:5], s[4:5], exec
	s_or_saveexec_b64 s[6:7], s[6:7]
	v_mov_b32_e32 v11, s10
	s_xor_b64 exec, exec, s[6:7]
	s_cbranch_execz .LBB4_1406
.LBB4_3456:
	v_mov_b32_e32 v11, 0
	v_cmp_ne_u16_sdwa s[8:9], v13, v11 src0_sel:BYTE_3 src1_sel:DWORD
	s_andn2_b64 s[4:5], s[4:5], exec
	s_and_b64 s[8:9], s[8:9], exec
	s_or_b64 s[4:5], s[4:5], s[8:9]
	s_or_b64 exec, exec, s[6:7]
	s_and_saveexec_b64 s[6:7], s[4:5]
	s_cbranch_execnz .LBB4_1407
	s_branch .LBB4_1408
.LBB4_3457:
	s_movk_i32 s4, 0x80
	v_cmp_eq_u16_sdwa s[12:13], v6, s4 src0_sel:BYTE_0 src1_sel:DWORD
	s_mov_b64 s[4:5], -1
                                        ; implicit-def: $sgpr10
	s_and_saveexec_b64 s[8:9], s[12:13]
; %bb.3458:
	s_mov_b32 s10, 0x7f800001
	s_xor_b64 s[4:5], exec, -1
; %bb.3459:
	s_or_b64 exec, exec, s[8:9]
	s_and_b64 s[4:5], s[4:5], exec
	s_or_saveexec_b64 s[6:7], s[6:7]
	v_mov_b32_e32 v10, s10
	s_xor_b64 exec, exec, s[6:7]
	s_cbranch_execz .LBB4_1410
.LBB4_3460:
	v_mov_b32_e32 v10, 0
	v_cmp_ne_u16_sdwa s[8:9], v6, v10 src0_sel:BYTE_0 src1_sel:DWORD
	s_andn2_b64 s[4:5], s[4:5], exec
	s_and_b64 s[8:9], s[8:9], exec
	s_or_b64 s[4:5], s[4:5], s[8:9]
	s_or_b64 exec, exec, s[6:7]
	s_and_saveexec_b64 s[6:7], s[4:5]
	s_cbranch_execnz .LBB4_1411
	s_branch .LBB4_1412
.LBB4_3461:
	s_movk_i32 s4, 0x80
	v_cmp_eq_u16_sdwa s[12:13], v2, s4 src0_sel:BYTE_0 src1_sel:DWORD
	s_mov_b64 s[4:5], -1
                                        ; implicit-def: $sgpr10
	s_and_saveexec_b64 s[8:9], s[12:13]
; %bb.3462:
	s_mov_b32 s10, 0x7f800001
	s_xor_b64 s[4:5], exec, -1
; %bb.3463:
	s_or_b64 exec, exec, s[8:9]
	s_and_b64 s[4:5], s[4:5], exec
	s_or_saveexec_b64 s[6:7], s[6:7]
	v_mov_b32_e32 v11, s10
	s_xor_b64 exec, exec, s[6:7]
	s_cbranch_execz .LBB4_1414
.LBB4_3464:
	v_mov_b32_e32 v11, 0
	v_cmp_ne_u16_sdwa s[8:9], v2, v11 src0_sel:BYTE_0 src1_sel:DWORD
	s_andn2_b64 s[4:5], s[4:5], exec
	s_and_b64 s[8:9], s[8:9], exec
	s_or_b64 s[4:5], s[4:5], s[8:9]
	s_or_b64 exec, exec, s[6:7]
	s_and_saveexec_b64 s[6:7], s[4:5]
	s_cbranch_execnz .LBB4_1415
	s_branch .LBB4_1416
.LBB4_3465:
	s_movk_i32 s4, 0x80
	v_cmp_eq_u16_sdwa s[12:13], v11, s4 src0_sel:BYTE_0 src1_sel:DWORD
	s_mov_b64 s[4:5], -1
                                        ; implicit-def: $sgpr10
	s_and_saveexec_b64 s[8:9], s[12:13]
; %bb.3466:
	s_mov_b32 s10, 0x7f800001
	s_xor_b64 s[4:5], exec, -1
; %bb.3467:
	s_or_b64 exec, exec, s[8:9]
	s_and_b64 s[4:5], s[4:5], exec
	s_or_saveexec_b64 s[6:7], s[6:7]
	v_mov_b32_e32 v10, s10
	s_xor_b64 exec, exec, s[6:7]
	s_cbranch_execz .LBB4_1418
.LBB4_3468:
	v_mov_b32_e32 v10, 0
	v_cmp_ne_u16_sdwa s[8:9], v11, v10 src0_sel:BYTE_0 src1_sel:DWORD
	s_andn2_b64 s[4:5], s[4:5], exec
	s_and_b64 s[8:9], s[8:9], exec
	s_or_b64 s[4:5], s[4:5], s[8:9]
	s_or_b64 exec, exec, s[6:7]
	s_and_saveexec_b64 s[6:7], s[4:5]
	s_cbranch_execnz .LBB4_1419
	s_branch .LBB4_1420
.LBB4_3469:
	s_movk_i32 s4, 0x80
	v_cmp_eq_u16_sdwa s[12:13], v11, s4 src0_sel:BYTE_0 src1_sel:DWORD
	s_mov_b64 s[4:5], -1
                                        ; implicit-def: $sgpr10
	s_and_saveexec_b64 s[8:9], s[12:13]
; %bb.3470:
	s_mov_b32 s10, 0x7f800001
	s_xor_b64 s[4:5], exec, -1
; %bb.3471:
	s_or_b64 exec, exec, s[8:9]
	s_and_b64 s[4:5], s[4:5], exec
	s_or_saveexec_b64 s[6:7], s[6:7]
	v_mov_b32_e32 v12, s10
	s_xor_b64 exec, exec, s[6:7]
	s_cbranch_execz .LBB4_1422
.LBB4_3472:
	v_mov_b32_e32 v12, 0
	v_cmp_ne_u16_sdwa s[8:9], v11, v12 src0_sel:BYTE_0 src1_sel:DWORD
	s_andn2_b64 s[4:5], s[4:5], exec
	s_and_b64 s[8:9], s[8:9], exec
	s_or_b64 s[4:5], s[4:5], s[8:9]
	s_or_b64 exec, exec, s[6:7]
	s_and_saveexec_b64 s[6:7], s[4:5]
	s_cbranch_execnz .LBB4_1423
	s_branch .LBB4_1424
.LBB4_3473:
	s_movk_i32 s4, 0x80
	v_cmp_eq_u16_e32 vcc, s4, v11
	s_mov_b64 s[4:5], -1
                                        ; implicit-def: $sgpr10
	s_and_saveexec_b64 s[8:9], vcc
; %bb.3474:
	s_mov_b32 s10, 0x7f800001
	s_xor_b64 s[4:5], exec, -1
; %bb.3475:
	s_or_b64 exec, exec, s[8:9]
	s_and_b64 s[4:5], s[4:5], exec
                                        ; implicit-def: $vgpr11
	s_or_saveexec_b64 s[6:7], s[6:7]
	v_mov_b32_e32 v10, s10
	s_xor_b64 exec, exec, s[6:7]
	s_cbranch_execz .LBB4_1426
.LBB4_3476:
	v_cmp_ne_u16_e32 vcc, 0, v11
	s_andn2_b64 s[4:5], s[4:5], exec
	s_and_b64 s[8:9], vcc, exec
	v_mov_b32_e32 v10, 0
	s_or_b64 s[4:5], s[4:5], s[8:9]
	s_or_b64 exec, exec, s[6:7]
	s_and_saveexec_b64 s[6:7], s[4:5]
	s_cbranch_execnz .LBB4_1427
	s_branch .LBB4_1428
.LBB4_3477:
	s_movk_i32 s4, 0x80
	v_cmp_eq_u16_e32 vcc, s4, v11
	s_mov_b64 s[4:5], -1
                                        ; implicit-def: $sgpr10
	s_and_saveexec_b64 s[8:9], vcc
; %bb.3478:
	s_mov_b32 s10, 0x7f800001
	s_xor_b64 s[4:5], exec, -1
; %bb.3479:
	s_or_b64 exec, exec, s[8:9]
	s_and_b64 s[4:5], s[4:5], exec
                                        ; implicit-def: $vgpr11
	s_or_saveexec_b64 s[6:7], s[6:7]
	v_mov_b32_e32 v12, s10
	s_xor_b64 exec, exec, s[6:7]
	s_cbranch_execz .LBB4_1430
.LBB4_3480:
	v_cmp_ne_u16_e32 vcc, 0, v11
	s_andn2_b64 s[4:5], s[4:5], exec
	s_and_b64 s[8:9], vcc, exec
	v_mov_b32_e32 v12, 0
	s_or_b64 s[4:5], s[4:5], s[8:9]
	s_or_b64 exec, exec, s[6:7]
	s_and_saveexec_b64 s[6:7], s[4:5]
	s_cbranch_execnz .LBB4_1431
	s_branch .LBB4_1432
.LBB4_3481:
	s_movk_i32 s4, 0x80
	v_cmp_eq_u16_sdwa s[12:13], v6, s4 src0_sel:BYTE_3 src1_sel:DWORD
	s_mov_b64 s[4:5], -1
                                        ; implicit-def: $sgpr10
	s_and_saveexec_b64 s[8:9], s[12:13]
; %bb.3482:
	s_mov_b32 s10, 0x7f800001
	s_xor_b64 s[4:5], exec, -1
; %bb.3483:
	s_or_b64 exec, exec, s[8:9]
	s_and_b64 s[4:5], s[4:5], exec
	s_or_saveexec_b64 s[6:7], s[6:7]
	v_mov_b32_e32 v10, s10
	s_xor_b64 exec, exec, s[6:7]
	s_cbranch_execz .LBB4_1434
.LBB4_3484:
	v_mov_b32_e32 v10, 0
	v_cmp_ne_u16_sdwa s[8:9], v6, v10 src0_sel:BYTE_3 src1_sel:DWORD
	s_andn2_b64 s[4:5], s[4:5], exec
	s_and_b64 s[8:9], s[8:9], exec
	s_or_b64 s[4:5], s[4:5], s[8:9]
	s_or_b64 exec, exec, s[6:7]
	s_and_saveexec_b64 s[6:7], s[4:5]
	s_cbranch_execnz .LBB4_1435
	s_branch .LBB4_1436
.LBB4_3485:
	s_movk_i32 s4, 0x80
	v_cmp_eq_u16_sdwa s[12:13], v2, s4 src0_sel:BYTE_3 src1_sel:DWORD
	s_mov_b64 s[4:5], -1
                                        ; implicit-def: $sgpr10
	s_and_saveexec_b64 s[8:9], s[12:13]
; %bb.3486:
	s_mov_b32 s10, 0x7f800001
	s_xor_b64 s[4:5], exec, -1
; %bb.3487:
	s_or_b64 exec, exec, s[8:9]
	s_and_b64 s[4:5], s[4:5], exec
	s_or_saveexec_b64 s[6:7], s[6:7]
	v_mov_b32_e32 v6, s10
	s_xor_b64 exec, exec, s[6:7]
	s_cbranch_execz .LBB4_1438
.LBB4_3488:
	v_mov_b32_e32 v6, 0
	v_cmp_ne_u16_sdwa s[8:9], v2, v6 src0_sel:BYTE_3 src1_sel:DWORD
	s_andn2_b64 s[4:5], s[4:5], exec
	s_and_b64 s[8:9], s[8:9], exec
	s_or_b64 s[4:5], s[4:5], s[8:9]
	s_or_b64 exec, exec, s[6:7]
	s_and_saveexec_b64 s[6:7], s[4:5]
	s_cbranch_execnz .LBB4_1439
	s_branch .LBB4_1440
.LBB4_3489:
	s_movk_i32 s4, 0x80
	v_cmp_eq_u16_sdwa s[12:13], v7, s4 src0_sel:BYTE_0 src1_sel:DWORD
	s_mov_b64 s[4:5], -1
                                        ; implicit-def: $sgpr10
	s_and_saveexec_b64 s[8:9], s[12:13]
; %bb.3490:
	s_mov_b32 s10, 0x7f800001
	s_xor_b64 s[4:5], exec, -1
; %bb.3491:
	s_or_b64 exec, exec, s[8:9]
	s_and_b64 s[4:5], s[4:5], exec
	s_or_saveexec_b64 s[6:7], s[6:7]
	v_mov_b32_e32 v2, s10
	s_xor_b64 exec, exec, s[6:7]
	s_cbranch_execz .LBB4_1442
.LBB4_3492:
	v_mov_b32_e32 v2, 0
	v_cmp_ne_u16_sdwa s[8:9], v7, v2 src0_sel:BYTE_0 src1_sel:DWORD
	s_andn2_b64 s[4:5], s[4:5], exec
	s_and_b64 s[8:9], s[8:9], exec
	s_or_b64 s[4:5], s[4:5], s[8:9]
	s_or_b64 exec, exec, s[6:7]
	s_and_saveexec_b64 s[6:7], s[4:5]
	s_cbranch_execnz .LBB4_1443
	s_branch .LBB4_1444
.LBB4_3493:
	s_movk_i32 s4, 0x80
	v_cmp_eq_u16_sdwa s[12:13], v3, s4 src0_sel:BYTE_0 src1_sel:DWORD
	s_mov_b64 s[4:5], -1
                                        ; implicit-def: $sgpr10
	s_and_saveexec_b64 s[8:9], s[12:13]
; %bb.3494:
	s_mov_b32 s10, 0x7f800001
	s_xor_b64 s[4:5], exec, -1
; %bb.3495:
	s_or_b64 exec, exec, s[8:9]
	s_and_b64 s[4:5], s[4:5], exec
	s_or_saveexec_b64 s[6:7], s[6:7]
	v_mov_b32_e32 v6, s10
	s_xor_b64 exec, exec, s[6:7]
	s_cbranch_execz .LBB4_1446
.LBB4_3496:
	v_mov_b32_e32 v6, 0
	v_cmp_ne_u16_sdwa s[8:9], v3, v6 src0_sel:BYTE_0 src1_sel:DWORD
	s_andn2_b64 s[4:5], s[4:5], exec
	s_and_b64 s[8:9], s[8:9], exec
	s_or_b64 s[4:5], s[4:5], s[8:9]
	s_or_b64 exec, exec, s[6:7]
	s_and_saveexec_b64 s[6:7], s[4:5]
	s_cbranch_execnz .LBB4_1447
	s_branch .LBB4_1448
.LBB4_3497:
	s_movk_i32 s4, 0x80
	v_cmp_eq_u16_sdwa s[12:13], v6, s4 src0_sel:BYTE_0 src1_sel:DWORD
	s_mov_b64 s[4:5], -1
                                        ; implicit-def: $sgpr10
	s_and_saveexec_b64 s[8:9], s[12:13]
; %bb.3498:
	s_mov_b32 s10, 0x7f800001
	s_xor_b64 s[4:5], exec, -1
; %bb.3499:
	s_or_b64 exec, exec, s[8:9]
	s_and_b64 s[4:5], s[4:5], exec
	s_or_saveexec_b64 s[6:7], s[6:7]
	v_mov_b32_e32 v2, s10
	s_xor_b64 exec, exec, s[6:7]
	s_cbranch_execz .LBB4_1450
.LBB4_3500:
	v_mov_b32_e32 v2, 0
	v_cmp_ne_u16_sdwa s[8:9], v6, v2 src0_sel:BYTE_0 src1_sel:DWORD
	s_andn2_b64 s[4:5], s[4:5], exec
	s_and_b64 s[8:9], s[8:9], exec
	s_or_b64 s[4:5], s[4:5], s[8:9]
	s_or_b64 exec, exec, s[6:7]
	s_and_saveexec_b64 s[6:7], s[4:5]
	s_cbranch_execnz .LBB4_1451
	s_branch .LBB4_1452
.LBB4_3501:
	s_movk_i32 s4, 0x80
	v_cmp_eq_u16_sdwa s[12:13], v6, s4 src0_sel:BYTE_0 src1_sel:DWORD
	s_mov_b64 s[4:5], -1
                                        ; implicit-def: $sgpr10
	s_and_saveexec_b64 s[8:9], s[12:13]
; %bb.3502:
	s_mov_b32 s10, 0x7f800001
	s_xor_b64 s[4:5], exec, -1
; %bb.3503:
	s_or_b64 exec, exec, s[8:9]
	s_and_b64 s[4:5], s[4:5], exec
	s_or_saveexec_b64 s[6:7], s[6:7]
	v_mov_b32_e32 v10, s10
	s_xor_b64 exec, exec, s[6:7]
	s_cbranch_execz .LBB4_1454
.LBB4_3504:
	v_mov_b32_e32 v10, 0
	v_cmp_ne_u16_sdwa s[8:9], v6, v10 src0_sel:BYTE_0 src1_sel:DWORD
	s_andn2_b64 s[4:5], s[4:5], exec
	s_and_b64 s[8:9], s[8:9], exec
	s_or_b64 s[4:5], s[4:5], s[8:9]
	s_or_b64 exec, exec, s[6:7]
	s_and_saveexec_b64 s[6:7], s[4:5]
	s_cbranch_execnz .LBB4_1455
	s_branch .LBB4_1456
.LBB4_3505:
	s_movk_i32 s4, 0x80
	v_cmp_eq_u16_e32 vcc, s4, v6
	s_mov_b64 s[4:5], -1
                                        ; implicit-def: $sgpr10
	s_and_saveexec_b64 s[8:9], vcc
; %bb.3506:
	s_mov_b32 s10, 0x7f800001
	s_xor_b64 s[4:5], exec, -1
; %bb.3507:
	s_or_b64 exec, exec, s[8:9]
	s_and_b64 s[4:5], s[4:5], exec
                                        ; implicit-def: $vgpr6
	s_or_saveexec_b64 s[6:7], s[6:7]
	v_mov_b32_e32 v2, s10
	s_xor_b64 exec, exec, s[6:7]
	s_cbranch_execz .LBB4_1458
.LBB4_3508:
	v_cmp_ne_u16_e32 vcc, 0, v6
	s_andn2_b64 s[4:5], s[4:5], exec
	s_and_b64 s[8:9], vcc, exec
	v_mov_b32_e32 v2, 0
	s_or_b64 s[4:5], s[4:5], s[8:9]
	s_or_b64 exec, exec, s[6:7]
	s_and_saveexec_b64 s[6:7], s[4:5]
	s_cbranch_execnz .LBB4_1459
	s_branch .LBB4_1460
.LBB4_3509:
	s_movk_i32 s4, 0x80
	v_cmp_eq_u16_e32 vcc, s4, v6
	s_mov_b64 s[4:5], -1
                                        ; implicit-def: $sgpr10
	s_and_saveexec_b64 s[8:9], vcc
; %bb.3510:
	s_mov_b32 s10, 0x7f800001
	s_xor_b64 s[4:5], exec, -1
; %bb.3511:
	s_or_b64 exec, exec, s[8:9]
	s_and_b64 s[4:5], s[4:5], exec
                                        ; implicit-def: $vgpr6
	s_or_saveexec_b64 s[6:7], s[6:7]
	v_mov_b32_e32 v10, s10
	s_xor_b64 exec, exec, s[6:7]
	s_cbranch_execz .LBB4_1462
.LBB4_3512:
	v_cmp_ne_u16_e32 vcc, 0, v6
	s_andn2_b64 s[4:5], s[4:5], exec
	s_and_b64 s[8:9], vcc, exec
	v_mov_b32_e32 v10, 0
	s_or_b64 s[4:5], s[4:5], s[8:9]
	s_or_b64 exec, exec, s[6:7]
	s_and_saveexec_b64 s[6:7], s[4:5]
	s_cbranch_execnz .LBB4_1463
	s_branch .LBB4_1464
.LBB4_3513:
	s_movk_i32 s4, 0x80
	v_cmp_eq_u16_sdwa s[12:13], v7, s4 src0_sel:BYTE_3 src1_sel:DWORD
	s_mov_b64 s[4:5], -1
                                        ; implicit-def: $sgpr10
	s_and_saveexec_b64 s[8:9], s[12:13]
; %bb.3514:
	s_mov_b32 s10, 0x7f800001
	s_xor_b64 s[4:5], exec, -1
; %bb.3515:
	s_or_b64 exec, exec, s[8:9]
	s_and_b64 s[4:5], s[4:5], exec
	s_or_saveexec_b64 s[6:7], s[6:7]
	v_mov_b32_e32 v2, s10
	s_xor_b64 exec, exec, s[6:7]
	s_cbranch_execz .LBB4_1466
.LBB4_3516:
	v_mov_b32_e32 v2, 0
	v_cmp_ne_u16_sdwa s[8:9], v7, v2 src0_sel:BYTE_3 src1_sel:DWORD
	s_andn2_b64 s[4:5], s[4:5], exec
	s_and_b64 s[8:9], s[8:9], exec
	s_or_b64 s[4:5], s[4:5], s[8:9]
	s_or_b64 exec, exec, s[6:7]
	s_and_saveexec_b64 s[6:7], s[4:5]
	s_cbranch_execnz .LBB4_1467
	s_branch .LBB4_1468
.LBB4_3517:
	s_movk_i32 s4, 0x80
	v_cmp_eq_u16_sdwa s[12:13], v3, s4 src0_sel:BYTE_3 src1_sel:DWORD
	s_mov_b64 s[4:5], -1
                                        ; implicit-def: $sgpr10
	s_and_saveexec_b64 s[8:9], s[12:13]
; %bb.3518:
	s_mov_b32 s10, 0x7f800001
	s_xor_b64 s[4:5], exec, -1
; %bb.3519:
	s_or_b64 exec, exec, s[8:9]
	s_and_b64 s[4:5], s[4:5], exec
	s_or_saveexec_b64 s[6:7], s[6:7]
	v_mov_b32_e32 v6, s10
	s_xor_b64 exec, exec, s[6:7]
	s_cbranch_execz .LBB4_1470
.LBB4_3520:
	v_mov_b32_e32 v6, 0
	v_cmp_ne_u16_sdwa s[8:9], v3, v6 src0_sel:BYTE_3 src1_sel:DWORD
	s_andn2_b64 s[4:5], s[4:5], exec
	s_and_b64 s[8:9], s[8:9], exec
	s_or_b64 s[4:5], s[4:5], s[8:9]
	s_or_b64 exec, exec, s[6:7]
	s_and_saveexec_b64 s[6:7], s[4:5]
	s_cbranch_execnz .LBB4_1471
	s_branch .LBB4_1472
.LBB4_3521:
	s_movk_i32 s4, 0x80
	v_cmp_eq_u16_sdwa s[12:13], v8, s4 src0_sel:BYTE_0 src1_sel:DWORD
	s_mov_b64 s[4:5], -1
                                        ; implicit-def: $sgpr10
	s_and_saveexec_b64 s[8:9], s[12:13]
; %bb.3522:
	s_mov_b32 s10, 0x7f800001
	s_xor_b64 s[4:5], exec, -1
; %bb.3523:
	s_or_b64 exec, exec, s[8:9]
	s_and_b64 s[4:5], s[4:5], exec
	s_or_saveexec_b64 s[6:7], s[6:7]
	v_mov_b32_e32 v2, s10
	s_xor_b64 exec, exec, s[6:7]
	s_cbranch_execz .LBB4_1474
.LBB4_3524:
	v_mov_b32_e32 v2, 0
	v_cmp_ne_u16_sdwa s[8:9], v8, v2 src0_sel:BYTE_0 src1_sel:DWORD
	s_andn2_b64 s[4:5], s[4:5], exec
	s_and_b64 s[8:9], s[8:9], exec
	s_or_b64 s[4:5], s[4:5], s[8:9]
	s_or_b64 exec, exec, s[6:7]
	s_and_saveexec_b64 s[6:7], s[4:5]
	s_cbranch_execnz .LBB4_1475
	s_branch .LBB4_1476
.LBB4_3525:
	s_movk_i32 s4, 0x80
	v_cmp_eq_u16_sdwa s[12:13], v4, s4 src0_sel:BYTE_0 src1_sel:DWORD
	s_mov_b64 s[4:5], -1
                                        ; implicit-def: $sgpr10
	s_and_saveexec_b64 s[8:9], s[12:13]
; %bb.3526:
	s_mov_b32 s10, 0x7f800001
	s_xor_b64 s[4:5], exec, -1
; %bb.3527:
	s_or_b64 exec, exec, s[8:9]
	s_and_b64 s[4:5], s[4:5], exec
	s_or_saveexec_b64 s[6:7], s[6:7]
	v_mov_b32_e32 v3, s10
	s_xor_b64 exec, exec, s[6:7]
	s_cbranch_execz .LBB4_1478
.LBB4_3528:
	v_mov_b32_e32 v3, 0
	v_cmp_ne_u16_sdwa s[8:9], v4, v3 src0_sel:BYTE_0 src1_sel:DWORD
	s_andn2_b64 s[4:5], s[4:5], exec
	s_and_b64 s[8:9], s[8:9], exec
	s_or_b64 s[4:5], s[4:5], s[8:9]
	s_or_b64 exec, exec, s[6:7]
	s_and_saveexec_b64 s[6:7], s[4:5]
	s_cbranch_execnz .LBB4_1479
	s_branch .LBB4_1480
.LBB4_3529:
	s_movk_i32 s4, 0x80
	v_cmp_eq_u16_sdwa s[12:13], v3, s4 src0_sel:BYTE_0 src1_sel:DWORD
	s_mov_b64 s[4:5], -1
                                        ; implicit-def: $sgpr10
	s_and_saveexec_b64 s[8:9], s[12:13]
; %bb.3530:
	s_mov_b32 s10, 0x7f800001
	s_xor_b64 s[4:5], exec, -1
; %bb.3531:
	s_or_b64 exec, exec, s[8:9]
	s_and_b64 s[4:5], s[4:5], exec
	s_or_saveexec_b64 s[6:7], s[6:7]
	v_mov_b32_e32 v2, s10
	s_xor_b64 exec, exec, s[6:7]
	s_cbranch_execz .LBB4_1482
.LBB4_3532:
	v_mov_b32_e32 v2, 0
	v_cmp_ne_u16_sdwa s[8:9], v3, v2 src0_sel:BYTE_0 src1_sel:DWORD
	s_andn2_b64 s[4:5], s[4:5], exec
	s_and_b64 s[8:9], s[8:9], exec
	s_or_b64 s[4:5], s[4:5], s[8:9]
	s_or_b64 exec, exec, s[6:7]
	s_and_saveexec_b64 s[6:7], s[4:5]
	s_cbranch_execnz .LBB4_1483
	s_branch .LBB4_1484
.LBB4_3533:
	s_movk_i32 s4, 0x80
	v_cmp_eq_u16_sdwa s[12:13], v3, s4 src0_sel:BYTE_0 src1_sel:DWORD
	s_mov_b64 s[4:5], -1
                                        ; implicit-def: $sgpr10
	s_and_saveexec_b64 s[8:9], s[12:13]
; %bb.3534:
	s_mov_b32 s10, 0x7f800001
	s_xor_b64 s[4:5], exec, -1
; %bb.3535:
	s_or_b64 exec, exec, s[8:9]
	s_and_b64 s[4:5], s[4:5], exec
	s_or_saveexec_b64 s[6:7], s[6:7]
	v_mov_b32_e32 v6, s10
	s_xor_b64 exec, exec, s[6:7]
	s_cbranch_execz .LBB4_1486
.LBB4_3536:
	v_mov_b32_e32 v6, 0
	v_cmp_ne_u16_sdwa s[8:9], v3, v6 src0_sel:BYTE_0 src1_sel:DWORD
	s_andn2_b64 s[4:5], s[4:5], exec
	s_and_b64 s[8:9], s[8:9], exec
	s_or_b64 s[4:5], s[4:5], s[8:9]
	s_or_b64 exec, exec, s[6:7]
	s_and_saveexec_b64 s[6:7], s[4:5]
	s_cbranch_execnz .LBB4_1487
	s_branch .LBB4_1488
.LBB4_3537:
	s_movk_i32 s4, 0x80
	v_cmp_eq_u16_e32 vcc, s4, v3
	s_mov_b64 s[4:5], -1
                                        ; implicit-def: $sgpr10
	s_and_saveexec_b64 s[8:9], vcc
; %bb.3538:
	s_mov_b32 s10, 0x7f800001
	s_xor_b64 s[4:5], exec, -1
; %bb.3539:
	s_or_b64 exec, exec, s[8:9]
	s_and_b64 s[4:5], s[4:5], exec
                                        ; implicit-def: $vgpr3
	s_or_saveexec_b64 s[6:7], s[6:7]
	v_mov_b32_e32 v2, s10
	s_xor_b64 exec, exec, s[6:7]
	s_cbranch_execz .LBB4_1490
.LBB4_3540:
	v_cmp_ne_u16_e32 vcc, 0, v3
	s_andn2_b64 s[4:5], s[4:5], exec
	s_and_b64 s[8:9], vcc, exec
	v_mov_b32_e32 v2, 0
	s_or_b64 s[4:5], s[4:5], s[8:9]
	s_or_b64 exec, exec, s[6:7]
	s_and_saveexec_b64 s[6:7], s[4:5]
	s_cbranch_execnz .LBB4_1491
	s_branch .LBB4_1492
.LBB4_3541:
	s_movk_i32 s4, 0x80
	v_cmp_eq_u16_e32 vcc, s4, v3
	s_mov_b64 s[4:5], -1
                                        ; implicit-def: $sgpr10
	s_and_saveexec_b64 s[8:9], vcc
; %bb.3542:
	s_mov_b32 s10, 0x7f800001
	s_xor_b64 s[4:5], exec, -1
; %bb.3543:
	s_or_b64 exec, exec, s[8:9]
	s_and_b64 s[4:5], s[4:5], exec
                                        ; implicit-def: $vgpr3
	s_or_saveexec_b64 s[6:7], s[6:7]
	v_mov_b32_e32 v6, s10
	s_xor_b64 exec, exec, s[6:7]
	s_cbranch_execz .LBB4_1494
.LBB4_3544:
	v_cmp_ne_u16_e32 vcc, 0, v3
	s_andn2_b64 s[4:5], s[4:5], exec
	s_and_b64 s[8:9], vcc, exec
	v_mov_b32_e32 v6, 0
	s_or_b64 s[4:5], s[4:5], s[8:9]
	s_or_b64 exec, exec, s[6:7]
	s_and_saveexec_b64 s[6:7], s[4:5]
	s_cbranch_execnz .LBB4_1495
	s_branch .LBB4_1496
.LBB4_3545:
	s_movk_i32 s4, 0x80
	v_cmp_eq_u16_sdwa s[12:13], v8, s4 src0_sel:BYTE_3 src1_sel:DWORD
	s_mov_b64 s[4:5], -1
                                        ; implicit-def: $sgpr10
	s_and_saveexec_b64 s[8:9], s[12:13]
; %bb.3546:
	s_mov_b32 s10, 0x7f800001
	s_xor_b64 s[4:5], exec, -1
; %bb.3547:
	s_or_b64 exec, exec, s[8:9]
	s_and_b64 s[4:5], s[4:5], exec
	s_or_saveexec_b64 s[6:7], s[6:7]
	v_mov_b32_e32 v2, s10
	s_xor_b64 exec, exec, s[6:7]
	s_cbranch_execz .LBB4_1498
.LBB4_3548:
	v_mov_b32_e32 v2, 0
	v_cmp_ne_u16_sdwa s[8:9], v8, v2 src0_sel:BYTE_3 src1_sel:DWORD
	s_andn2_b64 s[4:5], s[4:5], exec
	s_and_b64 s[8:9], s[8:9], exec
	s_or_b64 s[4:5], s[4:5], s[8:9]
	s_or_b64 exec, exec, s[6:7]
	s_and_saveexec_b64 s[6:7], s[4:5]
	s_cbranch_execnz .LBB4_1499
	s_branch .LBB4_1500
.LBB4_3549:
	s_movk_i32 s4, 0x80
	v_cmp_eq_u16_sdwa s[12:13], v4, s4 src0_sel:BYTE_3 src1_sel:DWORD
	s_mov_b64 s[4:5], -1
                                        ; implicit-def: $sgpr10
	s_and_saveexec_b64 s[8:9], s[12:13]
; %bb.3550:
	s_mov_b32 s10, 0x7f800001
	s_xor_b64 s[4:5], exec, -1
; %bb.3551:
	s_or_b64 exec, exec, s[8:9]
	s_and_b64 s[4:5], s[4:5], exec
	s_or_saveexec_b64 s[6:7], s[6:7]
	v_mov_b32_e32 v3, s10
	s_xor_b64 exec, exec, s[6:7]
	s_cbranch_execz .LBB4_1502
.LBB4_3552:
	v_mov_b32_e32 v3, 0
	v_cmp_ne_u16_sdwa s[8:9], v4, v3 src0_sel:BYTE_3 src1_sel:DWORD
	s_andn2_b64 s[4:5], s[4:5], exec
	s_and_b64 s[8:9], s[8:9], exec
	s_or_b64 s[4:5], s[4:5], s[8:9]
	s_or_b64 exec, exec, s[6:7]
	s_and_saveexec_b64 s[6:7], s[4:5]
	s_cbranch_execnz .LBB4_1503
	s_branch .LBB4_1504
.LBB4_3553:
	s_movk_i32 s4, 0x80
	v_cmp_eq_u16_sdwa s[12:13], v9, s4 src0_sel:BYTE_0 src1_sel:DWORD
	s_mov_b64 s[4:5], -1
                                        ; implicit-def: $sgpr10
	s_and_saveexec_b64 s[8:9], s[12:13]
; %bb.3554:
	s_mov_b32 s10, 0x7f800001
	s_xor_b64 s[4:5], exec, -1
; %bb.3555:
	s_or_b64 exec, exec, s[8:9]
	s_and_b64 s[4:5], s[4:5], exec
	s_or_saveexec_b64 s[6:7], s[6:7]
	v_mov_b32_e32 v2, s10
	s_xor_b64 exec, exec, s[6:7]
	s_cbranch_execz .LBB4_1506
.LBB4_3556:
	v_mov_b32_e32 v2, 0
	v_cmp_ne_u16_sdwa s[8:9], v9, v2 src0_sel:BYTE_0 src1_sel:DWORD
	s_andn2_b64 s[4:5], s[4:5], exec
	s_and_b64 s[8:9], s[8:9], exec
	s_or_b64 s[4:5], s[4:5], s[8:9]
	s_or_b64 exec, exec, s[6:7]
	s_and_saveexec_b64 s[6:7], s[4:5]
	s_cbranch_execnz .LBB4_1507
	s_branch .LBB4_1508
.LBB4_3557:
	s_movk_i32 s4, 0x80
	v_cmp_eq_u16_sdwa s[12:13], v5, s4 src0_sel:BYTE_0 src1_sel:DWORD
	s_mov_b64 s[4:5], -1
                                        ; implicit-def: $sgpr10
	s_and_saveexec_b64 s[8:9], s[12:13]
; %bb.3558:
	s_mov_b32 s10, 0x7f800001
	s_xor_b64 s[4:5], exec, -1
; %bb.3559:
	s_or_b64 exec, exec, s[8:9]
	s_and_b64 s[4:5], s[4:5], exec
	s_or_saveexec_b64 s[6:7], s[6:7]
	v_mov_b32_e32 v3, s10
	s_xor_b64 exec, exec, s[6:7]
	s_cbranch_execz .LBB4_1510
.LBB4_3560:
	v_mov_b32_e32 v3, 0
	v_cmp_ne_u16_sdwa s[8:9], v5, v3 src0_sel:BYTE_0 src1_sel:DWORD
	s_andn2_b64 s[4:5], s[4:5], exec
	s_and_b64 s[8:9], s[8:9], exec
	s_or_b64 s[4:5], s[4:5], s[8:9]
	s_or_b64 exec, exec, s[6:7]
	s_and_saveexec_b64 s[6:7], s[4:5]
	s_cbranch_execnz .LBB4_1511
	s_branch .LBB4_1512
.LBB4_3561:
	s_movk_i32 s4, 0x80
	v_cmp_eq_u16_sdwa s[12:13], v3, s4 src0_sel:BYTE_0 src1_sel:DWORD
	s_mov_b64 s[4:5], -1
                                        ; implicit-def: $sgpr10
	s_and_saveexec_b64 s[8:9], s[12:13]
; %bb.3562:
	s_mov_b32 s10, 0x7f800001
	s_xor_b64 s[4:5], exec, -1
; %bb.3563:
	s_or_b64 exec, exec, s[8:9]
	s_and_b64 s[4:5], s[4:5], exec
	s_or_saveexec_b64 s[6:7], s[6:7]
	v_mov_b32_e32 v2, s10
	s_xor_b64 exec, exec, s[6:7]
	s_cbranch_execz .LBB4_1514
.LBB4_3564:
	v_mov_b32_e32 v2, 0
	v_cmp_ne_u16_sdwa s[8:9], v3, v2 src0_sel:BYTE_0 src1_sel:DWORD
	s_andn2_b64 s[4:5], s[4:5], exec
	s_and_b64 s[8:9], s[8:9], exec
	s_or_b64 s[4:5], s[4:5], s[8:9]
	s_or_b64 exec, exec, s[6:7]
	s_and_saveexec_b64 s[6:7], s[4:5]
	s_cbranch_execnz .LBB4_1515
	s_branch .LBB4_1516
.LBB4_3565:
	s_movk_i32 s4, 0x80
	v_cmp_eq_u16_sdwa s[12:13], v3, s4 src0_sel:BYTE_0 src1_sel:DWORD
	s_mov_b64 s[4:5], -1
                                        ; implicit-def: $sgpr10
	s_and_saveexec_b64 s[8:9], s[12:13]
; %bb.3566:
	s_mov_b32 s10, 0x7f800001
	s_xor_b64 s[4:5], exec, -1
; %bb.3567:
	s_or_b64 exec, exec, s[8:9]
	s_and_b64 s[4:5], s[4:5], exec
	s_or_saveexec_b64 s[6:7], s[6:7]
	v_mov_b32_e32 v4, s10
	s_xor_b64 exec, exec, s[6:7]
	s_cbranch_execz .LBB4_1518
.LBB4_3568:
	v_mov_b32_e32 v4, 0
	v_cmp_ne_u16_sdwa s[8:9], v3, v4 src0_sel:BYTE_0 src1_sel:DWORD
	s_andn2_b64 s[4:5], s[4:5], exec
	s_and_b64 s[8:9], s[8:9], exec
	s_or_b64 s[4:5], s[4:5], s[8:9]
	s_or_b64 exec, exec, s[6:7]
	s_and_saveexec_b64 s[6:7], s[4:5]
	s_cbranch_execnz .LBB4_1519
	s_branch .LBB4_1520
.LBB4_3569:
	s_movk_i32 s4, 0x80
	v_cmp_eq_u16_e32 vcc, s4, v3
	s_mov_b64 s[4:5], -1
                                        ; implicit-def: $sgpr10
	s_and_saveexec_b64 s[8:9], vcc
; %bb.3570:
	s_mov_b32 s10, 0x7f800001
	s_xor_b64 s[4:5], exec, -1
; %bb.3571:
	s_or_b64 exec, exec, s[8:9]
	s_and_b64 s[4:5], s[4:5], exec
                                        ; implicit-def: $vgpr3
	s_or_saveexec_b64 s[6:7], s[6:7]
	v_mov_b32_e32 v2, s10
	s_xor_b64 exec, exec, s[6:7]
	s_cbranch_execz .LBB4_1522
.LBB4_3572:
	v_cmp_ne_u16_e32 vcc, 0, v3
	s_andn2_b64 s[4:5], s[4:5], exec
	s_and_b64 s[8:9], vcc, exec
	v_mov_b32_e32 v2, 0
	s_or_b64 s[4:5], s[4:5], s[8:9]
	s_or_b64 exec, exec, s[6:7]
	s_and_saveexec_b64 s[6:7], s[4:5]
	s_cbranch_execnz .LBB4_1523
	s_branch .LBB4_1524
.LBB4_3573:
	s_movk_i32 s4, 0x80
	v_cmp_eq_u16_e32 vcc, s4, v3
	s_mov_b64 s[4:5], -1
                                        ; implicit-def: $sgpr10
	s_and_saveexec_b64 s[8:9], vcc
; %bb.3574:
	s_mov_b32 s10, 0x7f800001
	s_xor_b64 s[4:5], exec, -1
; %bb.3575:
	s_or_b64 exec, exec, s[8:9]
	s_and_b64 s[4:5], s[4:5], exec
                                        ; implicit-def: $vgpr3
	s_or_saveexec_b64 s[6:7], s[6:7]
	v_mov_b32_e32 v4, s10
	s_xor_b64 exec, exec, s[6:7]
	s_cbranch_execz .LBB4_1526
.LBB4_3576:
	v_cmp_ne_u16_e32 vcc, 0, v3
	s_andn2_b64 s[4:5], s[4:5], exec
	s_and_b64 s[8:9], vcc, exec
	v_mov_b32_e32 v4, 0
	s_or_b64 s[4:5], s[4:5], s[8:9]
	s_or_b64 exec, exec, s[6:7]
	s_and_saveexec_b64 s[6:7], s[4:5]
	s_cbranch_execnz .LBB4_1527
	s_branch .LBB4_1528
.LBB4_3577:
	s_movk_i32 s4, 0x80
	v_cmp_eq_u16_sdwa s[12:13], v9, s4 src0_sel:BYTE_3 src1_sel:DWORD
	s_mov_b64 s[4:5], -1
                                        ; implicit-def: $sgpr10
	s_and_saveexec_b64 s[8:9], s[12:13]
; %bb.3578:
	s_mov_b32 s10, 0x7f800001
	s_xor_b64 s[4:5], exec, -1
; %bb.3579:
	s_or_b64 exec, exec, s[8:9]
	s_and_b64 s[4:5], s[4:5], exec
	s_or_saveexec_b64 s[6:7], s[6:7]
	v_mov_b32_e32 v2, s10
	s_xor_b64 exec, exec, s[6:7]
	s_cbranch_execz .LBB4_1530
.LBB4_3580:
	v_mov_b32_e32 v2, 0
	v_cmp_ne_u16_sdwa s[8:9], v9, v2 src0_sel:BYTE_3 src1_sel:DWORD
	s_andn2_b64 s[4:5], s[4:5], exec
	s_and_b64 s[8:9], s[8:9], exec
	s_or_b64 s[4:5], s[4:5], s[8:9]
	s_or_b64 exec, exec, s[6:7]
	s_and_saveexec_b64 s[6:7], s[4:5]
	s_cbranch_execnz .LBB4_1531
	s_branch .LBB4_1532
.LBB4_3581:
	s_movk_i32 s4, 0x80
	v_cmp_eq_u16_sdwa s[12:13], v5, s4 src0_sel:BYTE_3 src1_sel:DWORD
	s_mov_b64 s[4:5], -1
                                        ; implicit-def: $sgpr10
	s_and_saveexec_b64 s[8:9], s[12:13]
; %bb.3582:
	s_mov_b32 s10, 0x7f800001
	s_xor_b64 s[4:5], exec, -1
; %bb.3583:
	s_or_b64 exec, exec, s[8:9]
	s_and_b64 s[4:5], s[4:5], exec
	s_or_saveexec_b64 s[6:7], s[6:7]
	v_mov_b32_e32 v3, s10
	s_xor_b64 exec, exec, s[6:7]
	s_cbranch_execz .LBB4_1534
.LBB4_3584:
	v_mov_b32_e32 v3, 0
	v_cmp_ne_u16_sdwa s[8:9], v5, v3 src0_sel:BYTE_3 src1_sel:DWORD
	s_andn2_b64 s[4:5], s[4:5], exec
	s_and_b64 s[8:9], s[8:9], exec
	s_or_b64 s[4:5], s[4:5], s[8:9]
	s_or_b64 exec, exec, s[6:7]
	s_and_saveexec_b64 s[6:7], s[4:5]
	s_cbranch_execnz .LBB4_1535
	s_branch .LBB4_1536
.LBB4_3585:
	s_movk_i32 s4, 0x80
	v_cmp_eq_u16_sdwa s[12:13], v14, s4 src0_sel:BYTE_0 src1_sel:DWORD
	s_mov_b64 s[4:5], -1
                                        ; implicit-def: $sgpr10
	s_and_saveexec_b64 s[8:9], s[12:13]
; %bb.3586:
	s_mov_b32 s10, 0x7f800001
	s_xor_b64 s[4:5], exec, -1
; %bb.3587:
	s_or_b64 exec, exec, s[8:9]
	s_and_b64 s[4:5], s[4:5], exec
	s_or_saveexec_b64 s[6:7], s[6:7]
	v_mov_b32_e32 v20, s10
	s_xor_b64 exec, exec, s[6:7]
	s_cbranch_execz .LBB4_1538
.LBB4_3588:
	v_mov_b32_e32 v20, 0
	v_cmp_ne_u16_sdwa s[8:9], v14, v20 src0_sel:BYTE_0 src1_sel:DWORD
	s_andn2_b64 s[4:5], s[4:5], exec
	s_and_b64 s[8:9], s[8:9], exec
	s_or_b64 s[4:5], s[4:5], s[8:9]
	s_or_b64 exec, exec, s[6:7]
	s_and_saveexec_b64 s[6:7], s[4:5]
	s_cbranch_execnz .LBB4_1539
	s_branch .LBB4_1540
.LBB4_3589:
	s_movk_i32 s4, 0x80
	v_cmp_eq_u16_sdwa s[12:13], v10, s4 src0_sel:BYTE_0 src1_sel:DWORD
	s_mov_b64 s[4:5], -1
                                        ; implicit-def: $sgpr10
	s_and_saveexec_b64 s[8:9], s[12:13]
; %bb.3590:
	s_mov_b32 s10, 0x7f800001
	s_xor_b64 s[4:5], exec, -1
; %bb.3591:
	s_or_b64 exec, exec, s[8:9]
	s_and_b64 s[4:5], s[4:5], exec
	s_or_saveexec_b64 s[6:7], s[6:7]
	v_mov_b32_e32 v21, s10
	s_xor_b64 exec, exec, s[6:7]
	s_cbranch_execz .LBB4_1542
.LBB4_3592:
	v_mov_b32_e32 v21, 0
	v_cmp_ne_u16_sdwa s[8:9], v10, v21 src0_sel:BYTE_0 src1_sel:DWORD
	s_andn2_b64 s[4:5], s[4:5], exec
	s_and_b64 s[8:9], s[8:9], exec
	s_or_b64 s[4:5], s[4:5], s[8:9]
	s_or_b64 exec, exec, s[6:7]
	s_and_saveexec_b64 s[6:7], s[4:5]
	s_cbranch_execnz .LBB4_1543
	s_branch .LBB4_1544
.LBB4_3593:
	s_movk_i32 s4, 0x80
	v_cmp_eq_u16_sdwa s[12:13], v21, s4 src0_sel:BYTE_0 src1_sel:DWORD
	s_mov_b64 s[4:5], -1
                                        ; implicit-def: $sgpr10
	s_and_saveexec_b64 s[8:9], s[12:13]
; %bb.3594:
	s_mov_b32 s10, 0x7f800001
	s_xor_b64 s[4:5], exec, -1
; %bb.3595:
	s_or_b64 exec, exec, s[8:9]
	s_and_b64 s[4:5], s[4:5], exec
	s_or_saveexec_b64 s[6:7], s[6:7]
	v_mov_b32_e32 v20, s10
	s_xor_b64 exec, exec, s[6:7]
	s_cbranch_execz .LBB4_1546
.LBB4_3596:
	v_mov_b32_e32 v20, 0
	v_cmp_ne_u16_sdwa s[8:9], v21, v20 src0_sel:BYTE_0 src1_sel:DWORD
	s_andn2_b64 s[4:5], s[4:5], exec
	s_and_b64 s[8:9], s[8:9], exec
	s_or_b64 s[4:5], s[4:5], s[8:9]
	s_or_b64 exec, exec, s[6:7]
	s_and_saveexec_b64 s[6:7], s[4:5]
	s_cbranch_execnz .LBB4_1547
	s_branch .LBB4_1548
.LBB4_3597:
	s_movk_i32 s4, 0x80
	v_cmp_eq_u16_sdwa s[12:13], v21, s4 src0_sel:BYTE_0 src1_sel:DWORD
	s_mov_b64 s[4:5], -1
                                        ; implicit-def: $sgpr10
	s_and_saveexec_b64 s[8:9], s[12:13]
; %bb.3598:
	s_mov_b32 s10, 0x7f800001
	s_xor_b64 s[4:5], exec, -1
; %bb.3599:
	s_or_b64 exec, exec, s[8:9]
	s_and_b64 s[4:5], s[4:5], exec
	s_or_saveexec_b64 s[6:7], s[6:7]
	v_mov_b32_e32 v22, s10
	s_xor_b64 exec, exec, s[6:7]
	s_cbranch_execz .LBB4_1550
.LBB4_3600:
	v_mov_b32_e32 v22, 0
	v_cmp_ne_u16_sdwa s[8:9], v21, v22 src0_sel:BYTE_0 src1_sel:DWORD
	s_andn2_b64 s[4:5], s[4:5], exec
	s_and_b64 s[8:9], s[8:9], exec
	s_or_b64 s[4:5], s[4:5], s[8:9]
	s_or_b64 exec, exec, s[6:7]
	s_and_saveexec_b64 s[6:7], s[4:5]
	s_cbranch_execnz .LBB4_1551
	s_branch .LBB4_1552
.LBB4_3601:
	s_movk_i32 s4, 0x80
	v_cmp_eq_u16_e32 vcc, s4, v21
	s_mov_b64 s[4:5], -1
                                        ; implicit-def: $sgpr10
	s_and_saveexec_b64 s[8:9], vcc
; %bb.3602:
	s_mov_b32 s10, 0x7f800001
	s_xor_b64 s[4:5], exec, -1
; %bb.3603:
	s_or_b64 exec, exec, s[8:9]
	s_and_b64 s[4:5], s[4:5], exec
                                        ; implicit-def: $vgpr21
	s_or_saveexec_b64 s[6:7], s[6:7]
	v_mov_b32_e32 v20, s10
	s_xor_b64 exec, exec, s[6:7]
	s_cbranch_execz .LBB4_1554
.LBB4_3604:
	v_cmp_ne_u16_e32 vcc, 0, v21
	s_andn2_b64 s[4:5], s[4:5], exec
	s_and_b64 s[8:9], vcc, exec
	v_mov_b32_e32 v20, 0
	s_or_b64 s[4:5], s[4:5], s[8:9]
	s_or_b64 exec, exec, s[6:7]
	s_and_saveexec_b64 s[6:7], s[4:5]
	s_cbranch_execnz .LBB4_1555
	s_branch .LBB4_1556
.LBB4_3605:
	s_movk_i32 s4, 0x80
	v_cmp_eq_u16_e32 vcc, s4, v21
	s_mov_b64 s[4:5], -1
                                        ; implicit-def: $sgpr10
	s_and_saveexec_b64 s[8:9], vcc
; %bb.3606:
	s_mov_b32 s10, 0x7f800001
	s_xor_b64 s[4:5], exec, -1
; %bb.3607:
	s_or_b64 exec, exec, s[8:9]
	s_and_b64 s[4:5], s[4:5], exec
                                        ; implicit-def: $vgpr21
	s_or_saveexec_b64 s[6:7], s[6:7]
	v_mov_b32_e32 v22, s10
	s_xor_b64 exec, exec, s[6:7]
	s_cbranch_execz .LBB4_1558
.LBB4_3608:
	v_cmp_ne_u16_e32 vcc, 0, v21
	s_andn2_b64 s[4:5], s[4:5], exec
	s_and_b64 s[8:9], vcc, exec
	v_mov_b32_e32 v22, 0
	s_or_b64 s[4:5], s[4:5], s[8:9]
	s_or_b64 exec, exec, s[6:7]
	s_and_saveexec_b64 s[6:7], s[4:5]
	s_cbranch_execnz .LBB4_1559
	s_branch .LBB4_1560
.LBB4_3609:
	s_movk_i32 s4, 0x80
	v_cmp_eq_u16_sdwa s[12:13], v14, s4 src0_sel:BYTE_3 src1_sel:DWORD
	s_mov_b64 s[4:5], -1
                                        ; implicit-def: $sgpr10
	s_and_saveexec_b64 s[8:9], s[12:13]
; %bb.3610:
	s_mov_b32 s10, 0x7f800001
	s_xor_b64 s[4:5], exec, -1
; %bb.3611:
	s_or_b64 exec, exec, s[8:9]
	s_and_b64 s[4:5], s[4:5], exec
	s_or_saveexec_b64 s[6:7], s[6:7]
	v_mov_b32_e32 v20, s10
	s_xor_b64 exec, exec, s[6:7]
	s_cbranch_execz .LBB4_1562
.LBB4_3612:
	v_mov_b32_e32 v20, 0
	v_cmp_ne_u16_sdwa s[8:9], v14, v20 src0_sel:BYTE_3 src1_sel:DWORD
	s_andn2_b64 s[4:5], s[4:5], exec
	s_and_b64 s[8:9], s[8:9], exec
	s_or_b64 s[4:5], s[4:5], s[8:9]
	s_or_b64 exec, exec, s[6:7]
	s_and_saveexec_b64 s[6:7], s[4:5]
	s_cbranch_execnz .LBB4_1563
	s_branch .LBB4_1564
.LBB4_3613:
	s_movk_i32 s4, 0x80
	v_cmp_eq_u16_sdwa s[12:13], v10, s4 src0_sel:BYTE_3 src1_sel:DWORD
	s_mov_b64 s[4:5], -1
                                        ; implicit-def: $sgpr10
	s_and_saveexec_b64 s[8:9], s[12:13]
; %bb.3614:
	s_mov_b32 s10, 0x7f800001
	s_xor_b64 s[4:5], exec, -1
; %bb.3615:
	s_or_b64 exec, exec, s[8:9]
	s_and_b64 s[4:5], s[4:5], exec
	s_or_saveexec_b64 s[6:7], s[6:7]
	v_mov_b32_e32 v14, s10
	s_xor_b64 exec, exec, s[6:7]
	s_cbranch_execz .LBB4_1566
.LBB4_3616:
	v_mov_b32_e32 v14, 0
	v_cmp_ne_u16_sdwa s[8:9], v10, v14 src0_sel:BYTE_3 src1_sel:DWORD
	s_andn2_b64 s[4:5], s[4:5], exec
	s_and_b64 s[8:9], s[8:9], exec
	s_or_b64 s[4:5], s[4:5], s[8:9]
	s_or_b64 exec, exec, s[6:7]
	s_and_saveexec_b64 s[6:7], s[4:5]
	s_cbranch_execnz .LBB4_1567
	s_branch .LBB4_1568
.LBB4_3617:
	s_movk_i32 s4, 0x80
	v_cmp_eq_u16_sdwa s[12:13], v15, s4 src0_sel:BYTE_0 src1_sel:DWORD
	s_mov_b64 s[4:5], -1
                                        ; implicit-def: $sgpr10
	s_and_saveexec_b64 s[8:9], s[12:13]
; %bb.3618:
	s_mov_b32 s10, 0x7f800001
	s_xor_b64 s[4:5], exec, -1
; %bb.3619:
	s_or_b64 exec, exec, s[8:9]
	s_and_b64 s[4:5], s[4:5], exec
	s_or_saveexec_b64 s[6:7], s[6:7]
	v_mov_b32_e32 v10, s10
	s_xor_b64 exec, exec, s[6:7]
	s_cbranch_execz .LBB4_1570
.LBB4_3620:
	v_mov_b32_e32 v10, 0
	v_cmp_ne_u16_sdwa s[8:9], v15, v10 src0_sel:BYTE_0 src1_sel:DWORD
	s_andn2_b64 s[4:5], s[4:5], exec
	s_and_b64 s[8:9], s[8:9], exec
	s_or_b64 s[4:5], s[4:5], s[8:9]
	s_or_b64 exec, exec, s[6:7]
	s_and_saveexec_b64 s[6:7], s[4:5]
	s_cbranch_execnz .LBB4_1571
	s_branch .LBB4_1572
.LBB4_3621:
	s_movk_i32 s4, 0x80
	v_cmp_eq_u16_sdwa s[12:13], v11, s4 src0_sel:BYTE_0 src1_sel:DWORD
	s_mov_b64 s[4:5], -1
                                        ; implicit-def: $sgpr10
	s_and_saveexec_b64 s[8:9], s[12:13]
; %bb.3622:
	s_mov_b32 s10, 0x7f800001
	s_xor_b64 s[4:5], exec, -1
; %bb.3623:
	s_or_b64 exec, exec, s[8:9]
	s_and_b64 s[4:5], s[4:5], exec
	s_or_saveexec_b64 s[6:7], s[6:7]
	v_mov_b32_e32 v14, s10
	s_xor_b64 exec, exec, s[6:7]
	s_cbranch_execz .LBB4_1574
.LBB4_3624:
	v_mov_b32_e32 v14, 0
	v_cmp_ne_u16_sdwa s[8:9], v11, v14 src0_sel:BYTE_0 src1_sel:DWORD
	s_andn2_b64 s[4:5], s[4:5], exec
	s_and_b64 s[8:9], s[8:9], exec
	s_or_b64 s[4:5], s[4:5], s[8:9]
	s_or_b64 exec, exec, s[6:7]
	s_and_saveexec_b64 s[6:7], s[4:5]
	s_cbranch_execnz .LBB4_1575
	s_branch .LBB4_1576
.LBB4_3625:
	s_movk_i32 s4, 0x80
	v_cmp_eq_u16_sdwa s[12:13], v14, s4 src0_sel:BYTE_0 src1_sel:DWORD
	s_mov_b64 s[4:5], -1
                                        ; implicit-def: $sgpr10
	s_and_saveexec_b64 s[8:9], s[12:13]
; %bb.3626:
	s_mov_b32 s10, 0x7f800001
	s_xor_b64 s[4:5], exec, -1
; %bb.3627:
	s_or_b64 exec, exec, s[8:9]
	s_and_b64 s[4:5], s[4:5], exec
	s_or_saveexec_b64 s[6:7], s[6:7]
	v_mov_b32_e32 v10, s10
	s_xor_b64 exec, exec, s[6:7]
	s_cbranch_execz .LBB4_1578
.LBB4_3628:
	v_mov_b32_e32 v10, 0
	v_cmp_ne_u16_sdwa s[8:9], v14, v10 src0_sel:BYTE_0 src1_sel:DWORD
	s_andn2_b64 s[4:5], s[4:5], exec
	s_and_b64 s[8:9], s[8:9], exec
	s_or_b64 s[4:5], s[4:5], s[8:9]
	s_or_b64 exec, exec, s[6:7]
	s_and_saveexec_b64 s[6:7], s[4:5]
	s_cbranch_execnz .LBB4_1579
	s_branch .LBB4_1580
.LBB4_3629:
	s_movk_i32 s4, 0x80
	v_cmp_eq_u16_sdwa s[12:13], v14, s4 src0_sel:BYTE_0 src1_sel:DWORD
	s_mov_b64 s[4:5], -1
                                        ; implicit-def: $sgpr10
	s_and_saveexec_b64 s[8:9], s[12:13]
; %bb.3630:
	s_mov_b32 s10, 0x7f800001
	s_xor_b64 s[4:5], exec, -1
; %bb.3631:
	s_or_b64 exec, exec, s[8:9]
	s_and_b64 s[4:5], s[4:5], exec
	s_or_saveexec_b64 s[6:7], s[6:7]
	v_mov_b32_e32 v20, s10
	s_xor_b64 exec, exec, s[6:7]
	s_cbranch_execz .LBB4_1582
.LBB4_3632:
	v_mov_b32_e32 v20, 0
	v_cmp_ne_u16_sdwa s[8:9], v14, v20 src0_sel:BYTE_0 src1_sel:DWORD
	s_andn2_b64 s[4:5], s[4:5], exec
	s_and_b64 s[8:9], s[8:9], exec
	s_or_b64 s[4:5], s[4:5], s[8:9]
	s_or_b64 exec, exec, s[6:7]
	s_and_saveexec_b64 s[6:7], s[4:5]
	s_cbranch_execnz .LBB4_1583
	s_branch .LBB4_1584
.LBB4_3633:
	s_movk_i32 s4, 0x80
	v_cmp_eq_u16_e32 vcc, s4, v14
	s_mov_b64 s[4:5], -1
                                        ; implicit-def: $sgpr10
	s_and_saveexec_b64 s[8:9], vcc
; %bb.3634:
	s_mov_b32 s10, 0x7f800001
	s_xor_b64 s[4:5], exec, -1
; %bb.3635:
	s_or_b64 exec, exec, s[8:9]
	s_and_b64 s[4:5], s[4:5], exec
                                        ; implicit-def: $vgpr14
	s_or_saveexec_b64 s[6:7], s[6:7]
	v_mov_b32_e32 v10, s10
	s_xor_b64 exec, exec, s[6:7]
	s_cbranch_execz .LBB4_1586
.LBB4_3636:
	v_cmp_ne_u16_e32 vcc, 0, v14
	s_andn2_b64 s[4:5], s[4:5], exec
	s_and_b64 s[8:9], vcc, exec
	v_mov_b32_e32 v10, 0
	s_or_b64 s[4:5], s[4:5], s[8:9]
	s_or_b64 exec, exec, s[6:7]
	s_and_saveexec_b64 s[6:7], s[4:5]
	s_cbranch_execnz .LBB4_1587
	s_branch .LBB4_1588
.LBB4_3637:
	s_movk_i32 s4, 0x80
	v_cmp_eq_u16_e32 vcc, s4, v14
	s_mov_b64 s[4:5], -1
                                        ; implicit-def: $sgpr10
	s_and_saveexec_b64 s[8:9], vcc
; %bb.3638:
	s_mov_b32 s10, 0x7f800001
	s_xor_b64 s[4:5], exec, -1
; %bb.3639:
	s_or_b64 exec, exec, s[8:9]
	s_and_b64 s[4:5], s[4:5], exec
                                        ; implicit-def: $vgpr14
	s_or_saveexec_b64 s[6:7], s[6:7]
	v_mov_b32_e32 v20, s10
	s_xor_b64 exec, exec, s[6:7]
	s_cbranch_execz .LBB4_1590
.LBB4_3640:
	v_cmp_ne_u16_e32 vcc, 0, v14
	s_andn2_b64 s[4:5], s[4:5], exec
	s_and_b64 s[8:9], vcc, exec
	v_mov_b32_e32 v20, 0
	s_or_b64 s[4:5], s[4:5], s[8:9]
	s_or_b64 exec, exec, s[6:7]
	s_and_saveexec_b64 s[6:7], s[4:5]
	s_cbranch_execnz .LBB4_1591
	s_branch .LBB4_1592
.LBB4_3641:
	s_movk_i32 s4, 0x80
	v_cmp_eq_u16_sdwa s[12:13], v15, s4 src0_sel:BYTE_3 src1_sel:DWORD
	s_mov_b64 s[4:5], -1
                                        ; implicit-def: $sgpr10
	s_and_saveexec_b64 s[8:9], s[12:13]
; %bb.3642:
	s_mov_b32 s10, 0x7f800001
	s_xor_b64 s[4:5], exec, -1
; %bb.3643:
	s_or_b64 exec, exec, s[8:9]
	s_and_b64 s[4:5], s[4:5], exec
	s_or_saveexec_b64 s[6:7], s[6:7]
	v_mov_b32_e32 v10, s10
	s_xor_b64 exec, exec, s[6:7]
	s_cbranch_execz .LBB4_1594
.LBB4_3644:
	v_mov_b32_e32 v10, 0
	v_cmp_ne_u16_sdwa s[8:9], v15, v10 src0_sel:BYTE_3 src1_sel:DWORD
	s_andn2_b64 s[4:5], s[4:5], exec
	s_and_b64 s[8:9], s[8:9], exec
	s_or_b64 s[4:5], s[4:5], s[8:9]
	s_or_b64 exec, exec, s[6:7]
	s_and_saveexec_b64 s[6:7], s[4:5]
	s_cbranch_execnz .LBB4_1595
	s_branch .LBB4_1596
.LBB4_3645:
	s_movk_i32 s4, 0x80
	v_cmp_eq_u16_sdwa s[12:13], v11, s4 src0_sel:BYTE_3 src1_sel:DWORD
	s_mov_b64 s[4:5], -1
                                        ; implicit-def: $sgpr10
	s_and_saveexec_b64 s[8:9], s[12:13]
; %bb.3646:
	s_mov_b32 s10, 0x7f800001
	s_xor_b64 s[4:5], exec, -1
; %bb.3647:
	s_or_b64 exec, exec, s[8:9]
	s_and_b64 s[4:5], s[4:5], exec
	s_or_saveexec_b64 s[6:7], s[6:7]
	v_mov_b32_e32 v14, s10
	s_xor_b64 exec, exec, s[6:7]
	s_cbranch_execz .LBB4_1598
.LBB4_3648:
	v_mov_b32_e32 v14, 0
	v_cmp_ne_u16_sdwa s[8:9], v11, v14 src0_sel:BYTE_3 src1_sel:DWORD
	s_andn2_b64 s[4:5], s[4:5], exec
	s_and_b64 s[8:9], s[8:9], exec
	s_or_b64 s[4:5], s[4:5], s[8:9]
	s_or_b64 exec, exec, s[6:7]
	s_and_saveexec_b64 s[6:7], s[4:5]
	s_cbranch_execnz .LBB4_1599
	s_branch .LBB4_1600
.LBB4_3649:
	s_movk_i32 s4, 0x80
	v_cmp_eq_u16_sdwa s[12:13], v16, s4 src0_sel:BYTE_0 src1_sel:DWORD
	s_mov_b64 s[4:5], -1
                                        ; implicit-def: $sgpr10
	s_and_saveexec_b64 s[8:9], s[12:13]
; %bb.3650:
	s_mov_b32 s10, 0x7f800001
	s_xor_b64 s[4:5], exec, -1
; %bb.3651:
	s_or_b64 exec, exec, s[8:9]
	s_and_b64 s[4:5], s[4:5], exec
	s_or_saveexec_b64 s[6:7], s[6:7]
	v_mov_b32_e32 v10, s10
	s_xor_b64 exec, exec, s[6:7]
	s_cbranch_execz .LBB4_1602
.LBB4_3652:
	v_mov_b32_e32 v10, 0
	v_cmp_ne_u16_sdwa s[8:9], v16, v10 src0_sel:BYTE_0 src1_sel:DWORD
	s_andn2_b64 s[4:5], s[4:5], exec
	s_and_b64 s[8:9], s[8:9], exec
	s_or_b64 s[4:5], s[4:5], s[8:9]
	s_or_b64 exec, exec, s[6:7]
	s_and_saveexec_b64 s[6:7], s[4:5]
	s_cbranch_execnz .LBB4_1603
	s_branch .LBB4_1604
.LBB4_3653:
	s_movk_i32 s4, 0x80
	v_cmp_eq_u16_sdwa s[12:13], v12, s4 src0_sel:BYTE_0 src1_sel:DWORD
	s_mov_b64 s[4:5], -1
                                        ; implicit-def: $sgpr10
	s_and_saveexec_b64 s[8:9], s[12:13]
; %bb.3654:
	s_mov_b32 s10, 0x7f800001
	s_xor_b64 s[4:5], exec, -1
; %bb.3655:
	s_or_b64 exec, exec, s[8:9]
	s_and_b64 s[4:5], s[4:5], exec
	s_or_saveexec_b64 s[6:7], s[6:7]
	v_mov_b32_e32 v11, s10
	s_xor_b64 exec, exec, s[6:7]
	s_cbranch_execz .LBB4_1606
.LBB4_3656:
	v_mov_b32_e32 v11, 0
	v_cmp_ne_u16_sdwa s[8:9], v12, v11 src0_sel:BYTE_0 src1_sel:DWORD
	s_andn2_b64 s[4:5], s[4:5], exec
	s_and_b64 s[8:9], s[8:9], exec
	s_or_b64 s[4:5], s[4:5], s[8:9]
	s_or_b64 exec, exec, s[6:7]
	s_and_saveexec_b64 s[6:7], s[4:5]
	s_cbranch_execnz .LBB4_1607
	s_branch .LBB4_1608
.LBB4_3657:
	s_movk_i32 s4, 0x80
	v_cmp_eq_u16_sdwa s[12:13], v11, s4 src0_sel:BYTE_0 src1_sel:DWORD
	s_mov_b64 s[4:5], -1
                                        ; implicit-def: $sgpr10
	s_and_saveexec_b64 s[8:9], s[12:13]
; %bb.3658:
	s_mov_b32 s10, 0x7f800001
	s_xor_b64 s[4:5], exec, -1
; %bb.3659:
	s_or_b64 exec, exec, s[8:9]
	s_and_b64 s[4:5], s[4:5], exec
	s_or_saveexec_b64 s[6:7], s[6:7]
	v_mov_b32_e32 v10, s10
	s_xor_b64 exec, exec, s[6:7]
	s_cbranch_execz .LBB4_1610
.LBB4_3660:
	v_mov_b32_e32 v10, 0
	v_cmp_ne_u16_sdwa s[8:9], v11, v10 src0_sel:BYTE_0 src1_sel:DWORD
	s_andn2_b64 s[4:5], s[4:5], exec
	s_and_b64 s[8:9], s[8:9], exec
	s_or_b64 s[4:5], s[4:5], s[8:9]
	s_or_b64 exec, exec, s[6:7]
	s_and_saveexec_b64 s[6:7], s[4:5]
	s_cbranch_execnz .LBB4_1611
	s_branch .LBB4_1612
.LBB4_3661:
	s_movk_i32 s4, 0x80
	v_cmp_eq_u16_sdwa s[12:13], v11, s4 src0_sel:BYTE_0 src1_sel:DWORD
	s_mov_b64 s[4:5], -1
                                        ; implicit-def: $sgpr10
	s_and_saveexec_b64 s[8:9], s[12:13]
; %bb.3662:
	s_mov_b32 s10, 0x7f800001
	s_xor_b64 s[4:5], exec, -1
; %bb.3663:
	s_or_b64 exec, exec, s[8:9]
	s_and_b64 s[4:5], s[4:5], exec
	s_or_saveexec_b64 s[6:7], s[6:7]
	v_mov_b32_e32 v14, s10
	s_xor_b64 exec, exec, s[6:7]
	s_cbranch_execz .LBB4_1614
.LBB4_3664:
	v_mov_b32_e32 v14, 0
	v_cmp_ne_u16_sdwa s[8:9], v11, v14 src0_sel:BYTE_0 src1_sel:DWORD
	s_andn2_b64 s[4:5], s[4:5], exec
	s_and_b64 s[8:9], s[8:9], exec
	s_or_b64 s[4:5], s[4:5], s[8:9]
	s_or_b64 exec, exec, s[6:7]
	s_and_saveexec_b64 s[6:7], s[4:5]
	s_cbranch_execnz .LBB4_1615
	s_branch .LBB4_1616
.LBB4_3665:
	s_movk_i32 s4, 0x80
	v_cmp_eq_u16_e32 vcc, s4, v11
	s_mov_b64 s[4:5], -1
                                        ; implicit-def: $sgpr10
	s_and_saveexec_b64 s[8:9], vcc
; %bb.3666:
	s_mov_b32 s10, 0x7f800001
	s_xor_b64 s[4:5], exec, -1
; %bb.3667:
	s_or_b64 exec, exec, s[8:9]
	s_and_b64 s[4:5], s[4:5], exec
                                        ; implicit-def: $vgpr11
	s_or_saveexec_b64 s[6:7], s[6:7]
	v_mov_b32_e32 v10, s10
	s_xor_b64 exec, exec, s[6:7]
	s_cbranch_execz .LBB4_1618
.LBB4_3668:
	v_cmp_ne_u16_e32 vcc, 0, v11
	s_andn2_b64 s[4:5], s[4:5], exec
	s_and_b64 s[8:9], vcc, exec
	v_mov_b32_e32 v10, 0
	s_or_b64 s[4:5], s[4:5], s[8:9]
	s_or_b64 exec, exec, s[6:7]
	s_and_saveexec_b64 s[6:7], s[4:5]
	s_cbranch_execnz .LBB4_1619
	s_branch .LBB4_1620
.LBB4_3669:
	s_movk_i32 s4, 0x80
	v_cmp_eq_u16_e32 vcc, s4, v11
	s_mov_b64 s[4:5], -1
                                        ; implicit-def: $sgpr10
	s_and_saveexec_b64 s[8:9], vcc
; %bb.3670:
	s_mov_b32 s10, 0x7f800001
	s_xor_b64 s[4:5], exec, -1
; %bb.3671:
	s_or_b64 exec, exec, s[8:9]
	s_and_b64 s[4:5], s[4:5], exec
                                        ; implicit-def: $vgpr11
	s_or_saveexec_b64 s[6:7], s[6:7]
	v_mov_b32_e32 v14, s10
	s_xor_b64 exec, exec, s[6:7]
	s_cbranch_execz .LBB4_1622
.LBB4_3672:
	v_cmp_ne_u16_e32 vcc, 0, v11
	s_andn2_b64 s[4:5], s[4:5], exec
	s_and_b64 s[8:9], vcc, exec
	v_mov_b32_e32 v14, 0
	s_or_b64 s[4:5], s[4:5], s[8:9]
	s_or_b64 exec, exec, s[6:7]
	s_and_saveexec_b64 s[6:7], s[4:5]
	s_cbranch_execnz .LBB4_1623
	s_branch .LBB4_1624
.LBB4_3673:
	s_movk_i32 s4, 0x80
	v_cmp_eq_u16_sdwa s[12:13], v16, s4 src0_sel:BYTE_3 src1_sel:DWORD
	s_mov_b64 s[4:5], -1
                                        ; implicit-def: $sgpr10
	s_and_saveexec_b64 s[8:9], s[12:13]
; %bb.3674:
	s_mov_b32 s10, 0x7f800001
	s_xor_b64 s[4:5], exec, -1
; %bb.3675:
	s_or_b64 exec, exec, s[8:9]
	s_and_b64 s[4:5], s[4:5], exec
	s_or_saveexec_b64 s[6:7], s[6:7]
	v_mov_b32_e32 v10, s10
	s_xor_b64 exec, exec, s[6:7]
	s_cbranch_execz .LBB4_1626
.LBB4_3676:
	v_mov_b32_e32 v10, 0
	v_cmp_ne_u16_sdwa s[8:9], v16, v10 src0_sel:BYTE_3 src1_sel:DWORD
	s_andn2_b64 s[4:5], s[4:5], exec
	s_and_b64 s[8:9], s[8:9], exec
	s_or_b64 s[4:5], s[4:5], s[8:9]
	s_or_b64 exec, exec, s[6:7]
	s_and_saveexec_b64 s[6:7], s[4:5]
	s_cbranch_execnz .LBB4_1627
	s_branch .LBB4_1628
.LBB4_3677:
	s_movk_i32 s4, 0x80
	v_cmp_eq_u16_sdwa s[12:13], v12, s4 src0_sel:BYTE_3 src1_sel:DWORD
	s_mov_b64 s[4:5], -1
                                        ; implicit-def: $sgpr10
	s_and_saveexec_b64 s[8:9], s[12:13]
; %bb.3678:
	s_mov_b32 s10, 0x7f800001
	s_xor_b64 s[4:5], exec, -1
; %bb.3679:
	s_or_b64 exec, exec, s[8:9]
	s_and_b64 s[4:5], s[4:5], exec
	s_or_saveexec_b64 s[6:7], s[6:7]
	v_mov_b32_e32 v11, s10
	s_xor_b64 exec, exec, s[6:7]
	s_cbranch_execz .LBB4_1630
.LBB4_3680:
	v_mov_b32_e32 v11, 0
	v_cmp_ne_u16_sdwa s[8:9], v12, v11 src0_sel:BYTE_3 src1_sel:DWORD
	s_andn2_b64 s[4:5], s[4:5], exec
	s_and_b64 s[8:9], s[8:9], exec
	s_or_b64 s[4:5], s[4:5], s[8:9]
	s_or_b64 exec, exec, s[6:7]
	s_and_saveexec_b64 s[6:7], s[4:5]
	s_cbranch_execnz .LBB4_1631
	s_branch .LBB4_1632
.LBB4_3681:
	s_movk_i32 s4, 0x80
	v_cmp_eq_u16_sdwa s[12:13], v17, s4 src0_sel:BYTE_0 src1_sel:DWORD
	s_mov_b64 s[4:5], -1
                                        ; implicit-def: $sgpr10
	s_and_saveexec_b64 s[8:9], s[12:13]
; %bb.3682:
	s_mov_b32 s10, 0x7f800001
	s_xor_b64 s[4:5], exec, -1
; %bb.3683:
	s_or_b64 exec, exec, s[8:9]
	s_and_b64 s[4:5], s[4:5], exec
	s_or_saveexec_b64 s[6:7], s[6:7]
	v_mov_b32_e32 v10, s10
	s_xor_b64 exec, exec, s[6:7]
	s_cbranch_execz .LBB4_1634
.LBB4_3684:
	v_mov_b32_e32 v10, 0
	v_cmp_ne_u16_sdwa s[8:9], v17, v10 src0_sel:BYTE_0 src1_sel:DWORD
	s_andn2_b64 s[4:5], s[4:5], exec
	s_and_b64 s[8:9], s[8:9], exec
	s_or_b64 s[4:5], s[4:5], s[8:9]
	s_or_b64 exec, exec, s[6:7]
	s_and_saveexec_b64 s[6:7], s[4:5]
	s_cbranch_execnz .LBB4_1635
	s_branch .LBB4_1636
.LBB4_3685:
	s_movk_i32 s4, 0x80
	v_cmp_eq_u16_sdwa s[12:13], v13, s4 src0_sel:BYTE_0 src1_sel:DWORD
	s_mov_b64 s[4:5], -1
                                        ; implicit-def: $sgpr10
	s_and_saveexec_b64 s[8:9], s[12:13]
; %bb.3686:
	s_mov_b32 s10, 0x7f800001
	s_xor_b64 s[4:5], exec, -1
; %bb.3687:
	s_or_b64 exec, exec, s[8:9]
	s_and_b64 s[4:5], s[4:5], exec
	s_or_saveexec_b64 s[6:7], s[6:7]
	v_mov_b32_e32 v11, s10
	s_xor_b64 exec, exec, s[6:7]
	s_cbranch_execz .LBB4_1638
.LBB4_3688:
	v_mov_b32_e32 v11, 0
	v_cmp_ne_u16_sdwa s[8:9], v13, v11 src0_sel:BYTE_0 src1_sel:DWORD
	s_andn2_b64 s[4:5], s[4:5], exec
	s_and_b64 s[8:9], s[8:9], exec
	s_or_b64 s[4:5], s[4:5], s[8:9]
	s_or_b64 exec, exec, s[6:7]
	s_and_saveexec_b64 s[6:7], s[4:5]
	s_cbranch_execnz .LBB4_1639
	s_branch .LBB4_1640
.LBB4_3689:
	s_movk_i32 s4, 0x80
	v_cmp_eq_u16_sdwa s[12:13], v11, s4 src0_sel:BYTE_0 src1_sel:DWORD
	s_mov_b64 s[4:5], -1
                                        ; implicit-def: $sgpr10
	s_and_saveexec_b64 s[8:9], s[12:13]
; %bb.3690:
	s_mov_b32 s10, 0x7f800001
	s_xor_b64 s[4:5], exec, -1
; %bb.3691:
	s_or_b64 exec, exec, s[8:9]
	s_and_b64 s[4:5], s[4:5], exec
	s_or_saveexec_b64 s[6:7], s[6:7]
	v_mov_b32_e32 v10, s10
	s_xor_b64 exec, exec, s[6:7]
	s_cbranch_execz .LBB4_1642
.LBB4_3692:
	v_mov_b32_e32 v10, 0
	v_cmp_ne_u16_sdwa s[8:9], v11, v10 src0_sel:BYTE_0 src1_sel:DWORD
	s_andn2_b64 s[4:5], s[4:5], exec
	s_and_b64 s[8:9], s[8:9], exec
	s_or_b64 s[4:5], s[4:5], s[8:9]
	s_or_b64 exec, exec, s[6:7]
	s_and_saveexec_b64 s[6:7], s[4:5]
	s_cbranch_execnz .LBB4_1643
	s_branch .LBB4_1644
.LBB4_3693:
	s_movk_i32 s4, 0x80
	v_cmp_eq_u16_sdwa s[12:13], v11, s4 src0_sel:BYTE_0 src1_sel:DWORD
	s_mov_b64 s[4:5], -1
                                        ; implicit-def: $sgpr10
	s_and_saveexec_b64 s[8:9], s[12:13]
; %bb.3694:
	s_mov_b32 s10, 0x7f800001
	s_xor_b64 s[4:5], exec, -1
; %bb.3695:
	s_or_b64 exec, exec, s[8:9]
	s_and_b64 s[4:5], s[4:5], exec
	s_or_saveexec_b64 s[6:7], s[6:7]
	v_mov_b32_e32 v12, s10
	s_xor_b64 exec, exec, s[6:7]
	s_cbranch_execz .LBB4_1646
.LBB4_3696:
	v_mov_b32_e32 v12, 0
	v_cmp_ne_u16_sdwa s[8:9], v11, v12 src0_sel:BYTE_0 src1_sel:DWORD
	s_andn2_b64 s[4:5], s[4:5], exec
	s_and_b64 s[8:9], s[8:9], exec
	s_or_b64 s[4:5], s[4:5], s[8:9]
	s_or_b64 exec, exec, s[6:7]
	s_and_saveexec_b64 s[6:7], s[4:5]
	s_cbranch_execnz .LBB4_1647
	s_branch .LBB4_1648
.LBB4_3697:
	s_movk_i32 s4, 0x80
	v_cmp_eq_u16_e32 vcc, s4, v11
	s_mov_b64 s[4:5], -1
                                        ; implicit-def: $sgpr10
	s_and_saveexec_b64 s[8:9], vcc
; %bb.3698:
	s_mov_b32 s10, 0x7f800001
	s_xor_b64 s[4:5], exec, -1
; %bb.3699:
	s_or_b64 exec, exec, s[8:9]
	s_and_b64 s[4:5], s[4:5], exec
                                        ; implicit-def: $vgpr11
	s_or_saveexec_b64 s[6:7], s[6:7]
	v_mov_b32_e32 v10, s10
	s_xor_b64 exec, exec, s[6:7]
	s_cbranch_execz .LBB4_1650
.LBB4_3700:
	v_cmp_ne_u16_e32 vcc, 0, v11
	s_andn2_b64 s[4:5], s[4:5], exec
	s_and_b64 s[8:9], vcc, exec
	v_mov_b32_e32 v10, 0
	s_or_b64 s[4:5], s[4:5], s[8:9]
	s_or_b64 exec, exec, s[6:7]
	s_and_saveexec_b64 s[6:7], s[4:5]
	s_cbranch_execnz .LBB4_1651
	s_branch .LBB4_1652
.LBB4_3701:
	s_movk_i32 s4, 0x80
	v_cmp_eq_u16_e32 vcc, s4, v11
	s_mov_b64 s[4:5], -1
                                        ; implicit-def: $sgpr10
	s_and_saveexec_b64 s[8:9], vcc
; %bb.3702:
	s_mov_b32 s10, 0x7f800001
	s_xor_b64 s[4:5], exec, -1
; %bb.3703:
	s_or_b64 exec, exec, s[8:9]
	s_and_b64 s[4:5], s[4:5], exec
                                        ; implicit-def: $vgpr11
	s_or_saveexec_b64 s[6:7], s[6:7]
	v_mov_b32_e32 v12, s10
	s_xor_b64 exec, exec, s[6:7]
	s_cbranch_execz .LBB4_1654
.LBB4_3704:
	v_cmp_ne_u16_e32 vcc, 0, v11
	s_andn2_b64 s[4:5], s[4:5], exec
	s_and_b64 s[8:9], vcc, exec
	v_mov_b32_e32 v12, 0
	s_or_b64 s[4:5], s[4:5], s[8:9]
	s_or_b64 exec, exec, s[6:7]
	s_and_saveexec_b64 s[6:7], s[4:5]
	s_cbranch_execnz .LBB4_1655
	s_branch .LBB4_1656
.LBB4_3705:
	s_movk_i32 s4, 0x80
	v_cmp_eq_u16_sdwa s[12:13], v17, s4 src0_sel:BYTE_3 src1_sel:DWORD
	s_mov_b64 s[4:5], -1
                                        ; implicit-def: $sgpr10
	s_and_saveexec_b64 s[8:9], s[12:13]
; %bb.3706:
	s_mov_b32 s10, 0x7f800001
	s_xor_b64 s[4:5], exec, -1
; %bb.3707:
	s_or_b64 exec, exec, s[8:9]
	s_and_b64 s[4:5], s[4:5], exec
	s_or_saveexec_b64 s[6:7], s[6:7]
	v_mov_b32_e32 v10, s10
	s_xor_b64 exec, exec, s[6:7]
	s_cbranch_execz .LBB4_1658
.LBB4_3708:
	v_mov_b32_e32 v10, 0
	v_cmp_ne_u16_sdwa s[8:9], v17, v10 src0_sel:BYTE_3 src1_sel:DWORD
	s_andn2_b64 s[4:5], s[4:5], exec
	s_and_b64 s[8:9], s[8:9], exec
	s_or_b64 s[4:5], s[4:5], s[8:9]
	s_or_b64 exec, exec, s[6:7]
	s_and_saveexec_b64 s[6:7], s[4:5]
	s_cbranch_execnz .LBB4_1659
	s_branch .LBB4_1660
.LBB4_3709:
	s_movk_i32 s4, 0x80
	v_cmp_eq_u16_sdwa s[12:13], v13, s4 src0_sel:BYTE_3 src1_sel:DWORD
	s_mov_b64 s[4:5], -1
                                        ; implicit-def: $sgpr10
	s_and_saveexec_b64 s[8:9], s[12:13]
; %bb.3710:
	s_mov_b32 s10, 0x7f800001
	s_xor_b64 s[4:5], exec, -1
; %bb.3711:
	s_or_b64 exec, exec, s[8:9]
	s_and_b64 s[4:5], s[4:5], exec
	s_or_saveexec_b64 s[6:7], s[6:7]
	v_mov_b32_e32 v11, s10
	s_xor_b64 exec, exec, s[6:7]
	s_cbranch_execz .LBB4_1662
.LBB4_3712:
	v_mov_b32_e32 v11, 0
	v_cmp_ne_u16_sdwa s[8:9], v13, v11 src0_sel:BYTE_3 src1_sel:DWORD
	s_andn2_b64 s[4:5], s[4:5], exec
	s_and_b64 s[8:9], s[8:9], exec
	s_or_b64 s[4:5], s[4:5], s[8:9]
	s_or_b64 exec, exec, s[6:7]
	s_and_saveexec_b64 s[6:7], s[4:5]
	s_cbranch_execnz .LBB4_1663
	s_branch .LBB4_1664
.LBB4_3713:
	s_movk_i32 s4, 0x80
	v_cmp_eq_u16_sdwa s[12:13], v6, s4 src0_sel:BYTE_0 src1_sel:DWORD
	s_mov_b64 s[4:5], -1
                                        ; implicit-def: $sgpr10
	s_and_saveexec_b64 s[8:9], s[12:13]
; %bb.3714:
	s_mov_b32 s10, 0x7f800001
	s_xor_b64 s[4:5], exec, -1
; %bb.3715:
	s_or_b64 exec, exec, s[8:9]
	s_and_b64 s[4:5], s[4:5], exec
	s_or_saveexec_b64 s[6:7], s[6:7]
	v_mov_b32_e32 v10, s10
	s_xor_b64 exec, exec, s[6:7]
	s_cbranch_execz .LBB4_1666
.LBB4_3716:
	v_mov_b32_e32 v10, 0
	v_cmp_ne_u16_sdwa s[8:9], v6, v10 src0_sel:BYTE_0 src1_sel:DWORD
	s_andn2_b64 s[4:5], s[4:5], exec
	s_and_b64 s[8:9], s[8:9], exec
	s_or_b64 s[4:5], s[4:5], s[8:9]
	s_or_b64 exec, exec, s[6:7]
	s_and_saveexec_b64 s[6:7], s[4:5]
	s_cbranch_execnz .LBB4_1667
	s_branch .LBB4_1668
.LBB4_3717:
	s_movk_i32 s4, 0x80
	v_cmp_eq_u16_sdwa s[12:13], v2, s4 src0_sel:BYTE_0 src1_sel:DWORD
	s_mov_b64 s[4:5], -1
                                        ; implicit-def: $sgpr10
	s_and_saveexec_b64 s[8:9], s[12:13]
; %bb.3718:
	s_mov_b32 s10, 0x7f800001
	s_xor_b64 s[4:5], exec, -1
; %bb.3719:
	s_or_b64 exec, exec, s[8:9]
	s_and_b64 s[4:5], s[4:5], exec
	s_or_saveexec_b64 s[6:7], s[6:7]
	v_mov_b32_e32 v11, s10
	s_xor_b64 exec, exec, s[6:7]
	s_cbranch_execz .LBB4_1670
.LBB4_3720:
	v_mov_b32_e32 v11, 0
	v_cmp_ne_u16_sdwa s[8:9], v2, v11 src0_sel:BYTE_0 src1_sel:DWORD
	s_andn2_b64 s[4:5], s[4:5], exec
	s_and_b64 s[8:9], s[8:9], exec
	s_or_b64 s[4:5], s[4:5], s[8:9]
	s_or_b64 exec, exec, s[6:7]
	s_and_saveexec_b64 s[6:7], s[4:5]
	s_cbranch_execnz .LBB4_1671
	s_branch .LBB4_1672
.LBB4_3721:
	s_movk_i32 s4, 0x80
	v_cmp_eq_u16_sdwa s[12:13], v11, s4 src0_sel:BYTE_0 src1_sel:DWORD
	s_mov_b64 s[4:5], -1
                                        ; implicit-def: $sgpr10
	s_and_saveexec_b64 s[8:9], s[12:13]
; %bb.3722:
	s_mov_b32 s10, 0x7f800001
	s_xor_b64 s[4:5], exec, -1
; %bb.3723:
	s_or_b64 exec, exec, s[8:9]
	s_and_b64 s[4:5], s[4:5], exec
	s_or_saveexec_b64 s[6:7], s[6:7]
	v_mov_b32_e32 v10, s10
	s_xor_b64 exec, exec, s[6:7]
	s_cbranch_execz .LBB4_1674
.LBB4_3724:
	v_mov_b32_e32 v10, 0
	v_cmp_ne_u16_sdwa s[8:9], v11, v10 src0_sel:BYTE_0 src1_sel:DWORD
	s_andn2_b64 s[4:5], s[4:5], exec
	s_and_b64 s[8:9], s[8:9], exec
	s_or_b64 s[4:5], s[4:5], s[8:9]
	s_or_b64 exec, exec, s[6:7]
	s_and_saveexec_b64 s[6:7], s[4:5]
	s_cbranch_execnz .LBB4_1675
	s_branch .LBB4_1676
.LBB4_3725:
	s_movk_i32 s4, 0x80
	v_cmp_eq_u16_sdwa s[12:13], v11, s4 src0_sel:BYTE_0 src1_sel:DWORD
	s_mov_b64 s[4:5], -1
                                        ; implicit-def: $sgpr10
	s_and_saveexec_b64 s[8:9], s[12:13]
; %bb.3726:
	s_mov_b32 s10, 0x7f800001
	s_xor_b64 s[4:5], exec, -1
; %bb.3727:
	s_or_b64 exec, exec, s[8:9]
	s_and_b64 s[4:5], s[4:5], exec
	s_or_saveexec_b64 s[6:7], s[6:7]
	v_mov_b32_e32 v12, s10
	s_xor_b64 exec, exec, s[6:7]
	s_cbranch_execz .LBB4_1678
.LBB4_3728:
	v_mov_b32_e32 v12, 0
	v_cmp_ne_u16_sdwa s[8:9], v11, v12 src0_sel:BYTE_0 src1_sel:DWORD
	s_andn2_b64 s[4:5], s[4:5], exec
	s_and_b64 s[8:9], s[8:9], exec
	s_or_b64 s[4:5], s[4:5], s[8:9]
	s_or_b64 exec, exec, s[6:7]
	s_and_saveexec_b64 s[6:7], s[4:5]
	s_cbranch_execnz .LBB4_1679
	s_branch .LBB4_1680
.LBB4_3729:
	s_movk_i32 s4, 0x80
	v_cmp_eq_u16_e32 vcc, s4, v11
	s_mov_b64 s[4:5], -1
                                        ; implicit-def: $sgpr10
	s_and_saveexec_b64 s[8:9], vcc
; %bb.3730:
	s_mov_b32 s10, 0x7f800001
	s_xor_b64 s[4:5], exec, -1
; %bb.3731:
	s_or_b64 exec, exec, s[8:9]
	s_and_b64 s[4:5], s[4:5], exec
                                        ; implicit-def: $vgpr11
	s_or_saveexec_b64 s[6:7], s[6:7]
	v_mov_b32_e32 v10, s10
	s_xor_b64 exec, exec, s[6:7]
	s_cbranch_execz .LBB4_1682
.LBB4_3732:
	v_cmp_ne_u16_e32 vcc, 0, v11
	s_andn2_b64 s[4:5], s[4:5], exec
	s_and_b64 s[8:9], vcc, exec
	v_mov_b32_e32 v10, 0
	s_or_b64 s[4:5], s[4:5], s[8:9]
	s_or_b64 exec, exec, s[6:7]
	s_and_saveexec_b64 s[6:7], s[4:5]
	s_cbranch_execnz .LBB4_1683
	s_branch .LBB4_1684
.LBB4_3733:
	s_movk_i32 s4, 0x80
	v_cmp_eq_u16_e32 vcc, s4, v11
	s_mov_b64 s[4:5], -1
                                        ; implicit-def: $sgpr10
	s_and_saveexec_b64 s[8:9], vcc
; %bb.3734:
	s_mov_b32 s10, 0x7f800001
	s_xor_b64 s[4:5], exec, -1
; %bb.3735:
	s_or_b64 exec, exec, s[8:9]
	s_and_b64 s[4:5], s[4:5], exec
                                        ; implicit-def: $vgpr11
	s_or_saveexec_b64 s[6:7], s[6:7]
	v_mov_b32_e32 v12, s10
	s_xor_b64 exec, exec, s[6:7]
	s_cbranch_execz .LBB4_1686
.LBB4_3736:
	v_cmp_ne_u16_e32 vcc, 0, v11
	s_andn2_b64 s[4:5], s[4:5], exec
	s_and_b64 s[8:9], vcc, exec
	v_mov_b32_e32 v12, 0
	s_or_b64 s[4:5], s[4:5], s[8:9]
	s_or_b64 exec, exec, s[6:7]
	s_and_saveexec_b64 s[6:7], s[4:5]
	s_cbranch_execnz .LBB4_1687
	s_branch .LBB4_1688
.LBB4_3737:
	s_movk_i32 s4, 0x80
	v_cmp_eq_u16_sdwa s[12:13], v6, s4 src0_sel:BYTE_3 src1_sel:DWORD
	s_mov_b64 s[4:5], -1
                                        ; implicit-def: $sgpr10
	s_and_saveexec_b64 s[8:9], s[12:13]
; %bb.3738:
	s_mov_b32 s10, 0x7f800001
	s_xor_b64 s[4:5], exec, -1
; %bb.3739:
	s_or_b64 exec, exec, s[8:9]
	s_and_b64 s[4:5], s[4:5], exec
	s_or_saveexec_b64 s[6:7], s[6:7]
	v_mov_b32_e32 v10, s10
	s_xor_b64 exec, exec, s[6:7]
	s_cbranch_execz .LBB4_1690
.LBB4_3740:
	v_mov_b32_e32 v10, 0
	v_cmp_ne_u16_sdwa s[8:9], v6, v10 src0_sel:BYTE_3 src1_sel:DWORD
	s_andn2_b64 s[4:5], s[4:5], exec
	s_and_b64 s[8:9], s[8:9], exec
	s_or_b64 s[4:5], s[4:5], s[8:9]
	s_or_b64 exec, exec, s[6:7]
	s_and_saveexec_b64 s[6:7], s[4:5]
	s_cbranch_execnz .LBB4_1691
	s_branch .LBB4_1692
.LBB4_3741:
	s_movk_i32 s4, 0x80
	v_cmp_eq_u16_sdwa s[12:13], v2, s4 src0_sel:BYTE_3 src1_sel:DWORD
	s_mov_b64 s[4:5], -1
                                        ; implicit-def: $sgpr10
	s_and_saveexec_b64 s[8:9], s[12:13]
; %bb.3742:
	s_mov_b32 s10, 0x7f800001
	s_xor_b64 s[4:5], exec, -1
; %bb.3743:
	s_or_b64 exec, exec, s[8:9]
	s_and_b64 s[4:5], s[4:5], exec
	s_or_saveexec_b64 s[6:7], s[6:7]
	v_mov_b32_e32 v6, s10
	s_xor_b64 exec, exec, s[6:7]
	s_cbranch_execz .LBB4_1694
.LBB4_3744:
	v_mov_b32_e32 v6, 0
	v_cmp_ne_u16_sdwa s[8:9], v2, v6 src0_sel:BYTE_3 src1_sel:DWORD
	s_andn2_b64 s[4:5], s[4:5], exec
	s_and_b64 s[8:9], s[8:9], exec
	s_or_b64 s[4:5], s[4:5], s[8:9]
	s_or_b64 exec, exec, s[6:7]
	s_and_saveexec_b64 s[6:7], s[4:5]
	s_cbranch_execnz .LBB4_1695
	s_branch .LBB4_1696
.LBB4_3745:
	s_movk_i32 s4, 0x80
	v_cmp_eq_u16_sdwa s[12:13], v7, s4 src0_sel:BYTE_0 src1_sel:DWORD
	s_mov_b64 s[4:5], -1
                                        ; implicit-def: $sgpr10
	s_and_saveexec_b64 s[8:9], s[12:13]
; %bb.3746:
	s_mov_b32 s10, 0x7f800001
	s_xor_b64 s[4:5], exec, -1
; %bb.3747:
	s_or_b64 exec, exec, s[8:9]
	s_and_b64 s[4:5], s[4:5], exec
	s_or_saveexec_b64 s[6:7], s[6:7]
	v_mov_b32_e32 v2, s10
	s_xor_b64 exec, exec, s[6:7]
	s_cbranch_execz .LBB4_1698
.LBB4_3748:
	v_mov_b32_e32 v2, 0
	v_cmp_ne_u16_sdwa s[8:9], v7, v2 src0_sel:BYTE_0 src1_sel:DWORD
	s_andn2_b64 s[4:5], s[4:5], exec
	s_and_b64 s[8:9], s[8:9], exec
	s_or_b64 s[4:5], s[4:5], s[8:9]
	s_or_b64 exec, exec, s[6:7]
	s_and_saveexec_b64 s[6:7], s[4:5]
	s_cbranch_execnz .LBB4_1699
	s_branch .LBB4_1700
.LBB4_3749:
	s_movk_i32 s4, 0x80
	v_cmp_eq_u16_sdwa s[12:13], v3, s4 src0_sel:BYTE_0 src1_sel:DWORD
	s_mov_b64 s[4:5], -1
                                        ; implicit-def: $sgpr10
	s_and_saveexec_b64 s[8:9], s[12:13]
; %bb.3750:
	s_mov_b32 s10, 0x7f800001
	s_xor_b64 s[4:5], exec, -1
; %bb.3751:
	s_or_b64 exec, exec, s[8:9]
	s_and_b64 s[4:5], s[4:5], exec
	s_or_saveexec_b64 s[6:7], s[6:7]
	v_mov_b32_e32 v6, s10
	s_xor_b64 exec, exec, s[6:7]
	s_cbranch_execz .LBB4_1702
.LBB4_3752:
	v_mov_b32_e32 v6, 0
	v_cmp_ne_u16_sdwa s[8:9], v3, v6 src0_sel:BYTE_0 src1_sel:DWORD
	s_andn2_b64 s[4:5], s[4:5], exec
	s_and_b64 s[8:9], s[8:9], exec
	s_or_b64 s[4:5], s[4:5], s[8:9]
	s_or_b64 exec, exec, s[6:7]
	s_and_saveexec_b64 s[6:7], s[4:5]
	s_cbranch_execnz .LBB4_1703
	s_branch .LBB4_1704
.LBB4_3753:
	s_movk_i32 s4, 0x80
	v_cmp_eq_u16_sdwa s[12:13], v6, s4 src0_sel:BYTE_0 src1_sel:DWORD
	s_mov_b64 s[4:5], -1
                                        ; implicit-def: $sgpr10
	s_and_saveexec_b64 s[8:9], s[12:13]
; %bb.3754:
	s_mov_b32 s10, 0x7f800001
	s_xor_b64 s[4:5], exec, -1
; %bb.3755:
	s_or_b64 exec, exec, s[8:9]
	s_and_b64 s[4:5], s[4:5], exec
	s_or_saveexec_b64 s[6:7], s[6:7]
	v_mov_b32_e32 v2, s10
	s_xor_b64 exec, exec, s[6:7]
	s_cbranch_execz .LBB4_1706
.LBB4_3756:
	v_mov_b32_e32 v2, 0
	v_cmp_ne_u16_sdwa s[8:9], v6, v2 src0_sel:BYTE_0 src1_sel:DWORD
	s_andn2_b64 s[4:5], s[4:5], exec
	s_and_b64 s[8:9], s[8:9], exec
	s_or_b64 s[4:5], s[4:5], s[8:9]
	s_or_b64 exec, exec, s[6:7]
	s_and_saveexec_b64 s[6:7], s[4:5]
	s_cbranch_execnz .LBB4_1707
	s_branch .LBB4_1708
.LBB4_3757:
	s_movk_i32 s4, 0x80
	v_cmp_eq_u16_sdwa s[12:13], v6, s4 src0_sel:BYTE_0 src1_sel:DWORD
	s_mov_b64 s[4:5], -1
                                        ; implicit-def: $sgpr10
	s_and_saveexec_b64 s[8:9], s[12:13]
; %bb.3758:
	s_mov_b32 s10, 0x7f800001
	s_xor_b64 s[4:5], exec, -1
; %bb.3759:
	s_or_b64 exec, exec, s[8:9]
	s_and_b64 s[4:5], s[4:5], exec
	s_or_saveexec_b64 s[6:7], s[6:7]
	v_mov_b32_e32 v10, s10
	s_xor_b64 exec, exec, s[6:7]
	s_cbranch_execz .LBB4_1710
.LBB4_3760:
	v_mov_b32_e32 v10, 0
	v_cmp_ne_u16_sdwa s[8:9], v6, v10 src0_sel:BYTE_0 src1_sel:DWORD
	s_andn2_b64 s[4:5], s[4:5], exec
	s_and_b64 s[8:9], s[8:9], exec
	s_or_b64 s[4:5], s[4:5], s[8:9]
	s_or_b64 exec, exec, s[6:7]
	s_and_saveexec_b64 s[6:7], s[4:5]
	s_cbranch_execnz .LBB4_1711
	s_branch .LBB4_1712
.LBB4_3761:
	s_movk_i32 s4, 0x80
	v_cmp_eq_u16_e32 vcc, s4, v6
	s_mov_b64 s[4:5], -1
                                        ; implicit-def: $sgpr10
	s_and_saveexec_b64 s[8:9], vcc
; %bb.3762:
	s_mov_b32 s10, 0x7f800001
	s_xor_b64 s[4:5], exec, -1
; %bb.3763:
	s_or_b64 exec, exec, s[8:9]
	s_and_b64 s[4:5], s[4:5], exec
                                        ; implicit-def: $vgpr6
	s_or_saveexec_b64 s[6:7], s[6:7]
	v_mov_b32_e32 v2, s10
	s_xor_b64 exec, exec, s[6:7]
	s_cbranch_execz .LBB4_1714
.LBB4_3764:
	v_cmp_ne_u16_e32 vcc, 0, v6
	s_andn2_b64 s[4:5], s[4:5], exec
	s_and_b64 s[8:9], vcc, exec
	v_mov_b32_e32 v2, 0
	s_or_b64 s[4:5], s[4:5], s[8:9]
	s_or_b64 exec, exec, s[6:7]
	s_and_saveexec_b64 s[6:7], s[4:5]
	s_cbranch_execnz .LBB4_1715
	s_branch .LBB4_1716
.LBB4_3765:
	s_movk_i32 s4, 0x80
	v_cmp_eq_u16_e32 vcc, s4, v6
	s_mov_b64 s[4:5], -1
                                        ; implicit-def: $sgpr10
	s_and_saveexec_b64 s[8:9], vcc
; %bb.3766:
	s_mov_b32 s10, 0x7f800001
	s_xor_b64 s[4:5], exec, -1
; %bb.3767:
	s_or_b64 exec, exec, s[8:9]
	s_and_b64 s[4:5], s[4:5], exec
                                        ; implicit-def: $vgpr6
	s_or_saveexec_b64 s[6:7], s[6:7]
	v_mov_b32_e32 v10, s10
	s_xor_b64 exec, exec, s[6:7]
	s_cbranch_execz .LBB4_1718
.LBB4_3768:
	v_cmp_ne_u16_e32 vcc, 0, v6
	s_andn2_b64 s[4:5], s[4:5], exec
	s_and_b64 s[8:9], vcc, exec
	v_mov_b32_e32 v10, 0
	s_or_b64 s[4:5], s[4:5], s[8:9]
	s_or_b64 exec, exec, s[6:7]
	s_and_saveexec_b64 s[6:7], s[4:5]
	s_cbranch_execnz .LBB4_1719
	s_branch .LBB4_1720
.LBB4_3769:
	s_movk_i32 s4, 0x80
	v_cmp_eq_u16_sdwa s[12:13], v7, s4 src0_sel:BYTE_3 src1_sel:DWORD
	s_mov_b64 s[4:5], -1
                                        ; implicit-def: $sgpr10
	s_and_saveexec_b64 s[8:9], s[12:13]
; %bb.3770:
	s_mov_b32 s10, 0x7f800001
	s_xor_b64 s[4:5], exec, -1
; %bb.3771:
	s_or_b64 exec, exec, s[8:9]
	s_and_b64 s[4:5], s[4:5], exec
	s_or_saveexec_b64 s[6:7], s[6:7]
	v_mov_b32_e32 v2, s10
	s_xor_b64 exec, exec, s[6:7]
	s_cbranch_execz .LBB4_1722
.LBB4_3772:
	v_mov_b32_e32 v2, 0
	v_cmp_ne_u16_sdwa s[8:9], v7, v2 src0_sel:BYTE_3 src1_sel:DWORD
	s_andn2_b64 s[4:5], s[4:5], exec
	s_and_b64 s[8:9], s[8:9], exec
	s_or_b64 s[4:5], s[4:5], s[8:9]
	s_or_b64 exec, exec, s[6:7]
	s_and_saveexec_b64 s[6:7], s[4:5]
	s_cbranch_execnz .LBB4_1723
	s_branch .LBB4_1724
.LBB4_3773:
	s_movk_i32 s4, 0x80
	v_cmp_eq_u16_sdwa s[12:13], v3, s4 src0_sel:BYTE_3 src1_sel:DWORD
	s_mov_b64 s[4:5], -1
                                        ; implicit-def: $sgpr10
	s_and_saveexec_b64 s[8:9], s[12:13]
; %bb.3774:
	s_mov_b32 s10, 0x7f800001
	s_xor_b64 s[4:5], exec, -1
; %bb.3775:
	s_or_b64 exec, exec, s[8:9]
	s_and_b64 s[4:5], s[4:5], exec
	s_or_saveexec_b64 s[6:7], s[6:7]
	v_mov_b32_e32 v6, s10
	s_xor_b64 exec, exec, s[6:7]
	s_cbranch_execz .LBB4_1726
.LBB4_3776:
	v_mov_b32_e32 v6, 0
	v_cmp_ne_u16_sdwa s[8:9], v3, v6 src0_sel:BYTE_3 src1_sel:DWORD
	s_andn2_b64 s[4:5], s[4:5], exec
	s_and_b64 s[8:9], s[8:9], exec
	s_or_b64 s[4:5], s[4:5], s[8:9]
	s_or_b64 exec, exec, s[6:7]
	s_and_saveexec_b64 s[6:7], s[4:5]
	s_cbranch_execnz .LBB4_1727
	s_branch .LBB4_1728
.LBB4_3777:
	s_movk_i32 s4, 0x80
	v_cmp_eq_u16_sdwa s[12:13], v8, s4 src0_sel:BYTE_0 src1_sel:DWORD
	s_mov_b64 s[4:5], -1
                                        ; implicit-def: $sgpr10
	s_and_saveexec_b64 s[8:9], s[12:13]
; %bb.3778:
	s_mov_b32 s10, 0x7f800001
	s_xor_b64 s[4:5], exec, -1
; %bb.3779:
	s_or_b64 exec, exec, s[8:9]
	s_and_b64 s[4:5], s[4:5], exec
	s_or_saveexec_b64 s[6:7], s[6:7]
	v_mov_b32_e32 v2, s10
	s_xor_b64 exec, exec, s[6:7]
	s_cbranch_execz .LBB4_1730
.LBB4_3780:
	v_mov_b32_e32 v2, 0
	v_cmp_ne_u16_sdwa s[8:9], v8, v2 src0_sel:BYTE_0 src1_sel:DWORD
	s_andn2_b64 s[4:5], s[4:5], exec
	s_and_b64 s[8:9], s[8:9], exec
	s_or_b64 s[4:5], s[4:5], s[8:9]
	s_or_b64 exec, exec, s[6:7]
	s_and_saveexec_b64 s[6:7], s[4:5]
	s_cbranch_execnz .LBB4_1731
	s_branch .LBB4_1732
.LBB4_3781:
	s_movk_i32 s4, 0x80
	v_cmp_eq_u16_sdwa s[12:13], v4, s4 src0_sel:BYTE_0 src1_sel:DWORD
	s_mov_b64 s[4:5], -1
                                        ; implicit-def: $sgpr10
	s_and_saveexec_b64 s[8:9], s[12:13]
; %bb.3782:
	s_mov_b32 s10, 0x7f800001
	s_xor_b64 s[4:5], exec, -1
; %bb.3783:
	s_or_b64 exec, exec, s[8:9]
	s_and_b64 s[4:5], s[4:5], exec
	s_or_saveexec_b64 s[6:7], s[6:7]
	v_mov_b32_e32 v3, s10
	s_xor_b64 exec, exec, s[6:7]
	s_cbranch_execz .LBB4_1734
.LBB4_3784:
	v_mov_b32_e32 v3, 0
	v_cmp_ne_u16_sdwa s[8:9], v4, v3 src0_sel:BYTE_0 src1_sel:DWORD
	s_andn2_b64 s[4:5], s[4:5], exec
	s_and_b64 s[8:9], s[8:9], exec
	s_or_b64 s[4:5], s[4:5], s[8:9]
	s_or_b64 exec, exec, s[6:7]
	s_and_saveexec_b64 s[6:7], s[4:5]
	s_cbranch_execnz .LBB4_1735
	s_branch .LBB4_1736
.LBB4_3785:
	s_movk_i32 s4, 0x80
	v_cmp_eq_u16_sdwa s[12:13], v3, s4 src0_sel:BYTE_0 src1_sel:DWORD
	s_mov_b64 s[4:5], -1
                                        ; implicit-def: $sgpr10
	s_and_saveexec_b64 s[8:9], s[12:13]
; %bb.3786:
	s_mov_b32 s10, 0x7f800001
	s_xor_b64 s[4:5], exec, -1
; %bb.3787:
	s_or_b64 exec, exec, s[8:9]
	s_and_b64 s[4:5], s[4:5], exec
	s_or_saveexec_b64 s[6:7], s[6:7]
	v_mov_b32_e32 v2, s10
	s_xor_b64 exec, exec, s[6:7]
	s_cbranch_execz .LBB4_1738
.LBB4_3788:
	v_mov_b32_e32 v2, 0
	v_cmp_ne_u16_sdwa s[8:9], v3, v2 src0_sel:BYTE_0 src1_sel:DWORD
	s_andn2_b64 s[4:5], s[4:5], exec
	s_and_b64 s[8:9], s[8:9], exec
	s_or_b64 s[4:5], s[4:5], s[8:9]
	s_or_b64 exec, exec, s[6:7]
	s_and_saveexec_b64 s[6:7], s[4:5]
	s_cbranch_execnz .LBB4_1739
	s_branch .LBB4_1740
.LBB4_3789:
	s_movk_i32 s4, 0x80
	v_cmp_eq_u16_sdwa s[12:13], v3, s4 src0_sel:BYTE_0 src1_sel:DWORD
	s_mov_b64 s[4:5], -1
                                        ; implicit-def: $sgpr10
	s_and_saveexec_b64 s[8:9], s[12:13]
; %bb.3790:
	s_mov_b32 s10, 0x7f800001
	s_xor_b64 s[4:5], exec, -1
; %bb.3791:
	s_or_b64 exec, exec, s[8:9]
	s_and_b64 s[4:5], s[4:5], exec
	s_or_saveexec_b64 s[6:7], s[6:7]
	v_mov_b32_e32 v6, s10
	s_xor_b64 exec, exec, s[6:7]
	s_cbranch_execz .LBB4_1742
.LBB4_3792:
	v_mov_b32_e32 v6, 0
	v_cmp_ne_u16_sdwa s[8:9], v3, v6 src0_sel:BYTE_0 src1_sel:DWORD
	s_andn2_b64 s[4:5], s[4:5], exec
	s_and_b64 s[8:9], s[8:9], exec
	s_or_b64 s[4:5], s[4:5], s[8:9]
	s_or_b64 exec, exec, s[6:7]
	s_and_saveexec_b64 s[6:7], s[4:5]
	s_cbranch_execnz .LBB4_1743
	s_branch .LBB4_1744
.LBB4_3793:
	s_movk_i32 s4, 0x80
	v_cmp_eq_u16_e32 vcc, s4, v3
	s_mov_b64 s[4:5], -1
                                        ; implicit-def: $sgpr10
	s_and_saveexec_b64 s[8:9], vcc
; %bb.3794:
	s_mov_b32 s10, 0x7f800001
	s_xor_b64 s[4:5], exec, -1
; %bb.3795:
	s_or_b64 exec, exec, s[8:9]
	s_and_b64 s[4:5], s[4:5], exec
                                        ; implicit-def: $vgpr3
	s_or_saveexec_b64 s[6:7], s[6:7]
	v_mov_b32_e32 v2, s10
	s_xor_b64 exec, exec, s[6:7]
	s_cbranch_execz .LBB4_1746
.LBB4_3796:
	v_cmp_ne_u16_e32 vcc, 0, v3
	s_andn2_b64 s[4:5], s[4:5], exec
	s_and_b64 s[8:9], vcc, exec
	v_mov_b32_e32 v2, 0
	s_or_b64 s[4:5], s[4:5], s[8:9]
	s_or_b64 exec, exec, s[6:7]
	s_and_saveexec_b64 s[6:7], s[4:5]
	s_cbranch_execnz .LBB4_1747
	s_branch .LBB4_1748
.LBB4_3797:
	s_movk_i32 s4, 0x80
	v_cmp_eq_u16_e32 vcc, s4, v3
	s_mov_b64 s[4:5], -1
                                        ; implicit-def: $sgpr10
	s_and_saveexec_b64 s[8:9], vcc
; %bb.3798:
	s_mov_b32 s10, 0x7f800001
	s_xor_b64 s[4:5], exec, -1
; %bb.3799:
	s_or_b64 exec, exec, s[8:9]
	s_and_b64 s[4:5], s[4:5], exec
                                        ; implicit-def: $vgpr3
	s_or_saveexec_b64 s[6:7], s[6:7]
	v_mov_b32_e32 v6, s10
	s_xor_b64 exec, exec, s[6:7]
	s_cbranch_execz .LBB4_1750
.LBB4_3800:
	v_cmp_ne_u16_e32 vcc, 0, v3
	s_andn2_b64 s[4:5], s[4:5], exec
	s_and_b64 s[8:9], vcc, exec
	v_mov_b32_e32 v6, 0
	s_or_b64 s[4:5], s[4:5], s[8:9]
	s_or_b64 exec, exec, s[6:7]
	s_and_saveexec_b64 s[6:7], s[4:5]
	s_cbranch_execnz .LBB4_1751
	s_branch .LBB4_1752
.LBB4_3801:
	s_movk_i32 s4, 0x80
	v_cmp_eq_u16_sdwa s[12:13], v8, s4 src0_sel:BYTE_3 src1_sel:DWORD
	s_mov_b64 s[4:5], -1
                                        ; implicit-def: $sgpr10
	s_and_saveexec_b64 s[8:9], s[12:13]
; %bb.3802:
	s_mov_b32 s10, 0x7f800001
	s_xor_b64 s[4:5], exec, -1
; %bb.3803:
	s_or_b64 exec, exec, s[8:9]
	s_and_b64 s[4:5], s[4:5], exec
	s_or_saveexec_b64 s[6:7], s[6:7]
	v_mov_b32_e32 v2, s10
	s_xor_b64 exec, exec, s[6:7]
	s_cbranch_execz .LBB4_1754
.LBB4_3804:
	v_mov_b32_e32 v2, 0
	v_cmp_ne_u16_sdwa s[8:9], v8, v2 src0_sel:BYTE_3 src1_sel:DWORD
	s_andn2_b64 s[4:5], s[4:5], exec
	s_and_b64 s[8:9], s[8:9], exec
	s_or_b64 s[4:5], s[4:5], s[8:9]
	s_or_b64 exec, exec, s[6:7]
	s_and_saveexec_b64 s[6:7], s[4:5]
	s_cbranch_execnz .LBB4_1755
	s_branch .LBB4_1756
.LBB4_3805:
	s_movk_i32 s4, 0x80
	v_cmp_eq_u16_sdwa s[12:13], v4, s4 src0_sel:BYTE_3 src1_sel:DWORD
	s_mov_b64 s[4:5], -1
                                        ; implicit-def: $sgpr10
	s_and_saveexec_b64 s[8:9], s[12:13]
; %bb.3806:
	s_mov_b32 s10, 0x7f800001
	s_xor_b64 s[4:5], exec, -1
; %bb.3807:
	s_or_b64 exec, exec, s[8:9]
	s_and_b64 s[4:5], s[4:5], exec
	s_or_saveexec_b64 s[6:7], s[6:7]
	v_mov_b32_e32 v3, s10
	s_xor_b64 exec, exec, s[6:7]
	s_cbranch_execz .LBB4_1758
.LBB4_3808:
	v_mov_b32_e32 v3, 0
	v_cmp_ne_u16_sdwa s[8:9], v4, v3 src0_sel:BYTE_3 src1_sel:DWORD
	s_andn2_b64 s[4:5], s[4:5], exec
	s_and_b64 s[8:9], s[8:9], exec
	s_or_b64 s[4:5], s[4:5], s[8:9]
	s_or_b64 exec, exec, s[6:7]
	s_and_saveexec_b64 s[6:7], s[4:5]
	s_cbranch_execnz .LBB4_1759
	s_branch .LBB4_1760
.LBB4_3809:
	s_movk_i32 s4, 0x80
	v_cmp_eq_u16_sdwa s[12:13], v9, s4 src0_sel:BYTE_0 src1_sel:DWORD
	s_mov_b64 s[4:5], -1
                                        ; implicit-def: $sgpr10
	s_and_saveexec_b64 s[8:9], s[12:13]
; %bb.3810:
	s_mov_b32 s10, 0x7f800001
	s_xor_b64 s[4:5], exec, -1
; %bb.3811:
	s_or_b64 exec, exec, s[8:9]
	s_and_b64 s[4:5], s[4:5], exec
	s_or_saveexec_b64 s[6:7], s[6:7]
	v_mov_b32_e32 v2, s10
	s_xor_b64 exec, exec, s[6:7]
	s_cbranch_execz .LBB4_1762
.LBB4_3812:
	v_mov_b32_e32 v2, 0
	v_cmp_ne_u16_sdwa s[8:9], v9, v2 src0_sel:BYTE_0 src1_sel:DWORD
	s_andn2_b64 s[4:5], s[4:5], exec
	s_and_b64 s[8:9], s[8:9], exec
	s_or_b64 s[4:5], s[4:5], s[8:9]
	s_or_b64 exec, exec, s[6:7]
	s_and_saveexec_b64 s[6:7], s[4:5]
	s_cbranch_execnz .LBB4_1763
	s_branch .LBB4_1764
.LBB4_3813:
	s_movk_i32 s4, 0x80
	v_cmp_eq_u16_sdwa s[12:13], v5, s4 src0_sel:BYTE_0 src1_sel:DWORD
	s_mov_b64 s[4:5], -1
                                        ; implicit-def: $sgpr10
	s_and_saveexec_b64 s[8:9], s[12:13]
; %bb.3814:
	s_mov_b32 s10, 0x7f800001
	s_xor_b64 s[4:5], exec, -1
; %bb.3815:
	s_or_b64 exec, exec, s[8:9]
	s_and_b64 s[4:5], s[4:5], exec
	s_or_saveexec_b64 s[6:7], s[6:7]
	v_mov_b32_e32 v3, s10
	s_xor_b64 exec, exec, s[6:7]
	s_cbranch_execz .LBB4_1766
.LBB4_3816:
	v_mov_b32_e32 v3, 0
	v_cmp_ne_u16_sdwa s[8:9], v5, v3 src0_sel:BYTE_0 src1_sel:DWORD
	s_andn2_b64 s[4:5], s[4:5], exec
	s_and_b64 s[8:9], s[8:9], exec
	s_or_b64 s[4:5], s[4:5], s[8:9]
	s_or_b64 exec, exec, s[6:7]
	s_and_saveexec_b64 s[6:7], s[4:5]
	s_cbranch_execnz .LBB4_1767
	s_branch .LBB4_1768
.LBB4_3817:
	s_movk_i32 s4, 0x80
	v_cmp_eq_u16_sdwa s[12:13], v3, s4 src0_sel:BYTE_0 src1_sel:DWORD
	s_mov_b64 s[4:5], -1
                                        ; implicit-def: $sgpr10
	s_and_saveexec_b64 s[8:9], s[12:13]
; %bb.3818:
	s_mov_b32 s10, 0x7f800001
	s_xor_b64 s[4:5], exec, -1
; %bb.3819:
	s_or_b64 exec, exec, s[8:9]
	s_and_b64 s[4:5], s[4:5], exec
	s_or_saveexec_b64 s[6:7], s[6:7]
	v_mov_b32_e32 v2, s10
	s_xor_b64 exec, exec, s[6:7]
	s_cbranch_execz .LBB4_1770
.LBB4_3820:
	v_mov_b32_e32 v2, 0
	v_cmp_ne_u16_sdwa s[8:9], v3, v2 src0_sel:BYTE_0 src1_sel:DWORD
	s_andn2_b64 s[4:5], s[4:5], exec
	s_and_b64 s[8:9], s[8:9], exec
	s_or_b64 s[4:5], s[4:5], s[8:9]
	s_or_b64 exec, exec, s[6:7]
	s_and_saveexec_b64 s[6:7], s[4:5]
	s_cbranch_execnz .LBB4_1771
	s_branch .LBB4_1772
.LBB4_3821:
	s_movk_i32 s4, 0x80
	v_cmp_eq_u16_sdwa s[12:13], v3, s4 src0_sel:BYTE_0 src1_sel:DWORD
	s_mov_b64 s[4:5], -1
                                        ; implicit-def: $sgpr10
	s_and_saveexec_b64 s[8:9], s[12:13]
; %bb.3822:
	s_mov_b32 s10, 0x7f800001
	s_xor_b64 s[4:5], exec, -1
; %bb.3823:
	s_or_b64 exec, exec, s[8:9]
	s_and_b64 s[4:5], s[4:5], exec
	s_or_saveexec_b64 s[6:7], s[6:7]
	v_mov_b32_e32 v4, s10
	s_xor_b64 exec, exec, s[6:7]
	s_cbranch_execz .LBB4_1774
.LBB4_3824:
	v_mov_b32_e32 v4, 0
	v_cmp_ne_u16_sdwa s[8:9], v3, v4 src0_sel:BYTE_0 src1_sel:DWORD
	s_andn2_b64 s[4:5], s[4:5], exec
	s_and_b64 s[8:9], s[8:9], exec
	s_or_b64 s[4:5], s[4:5], s[8:9]
	s_or_b64 exec, exec, s[6:7]
	s_and_saveexec_b64 s[6:7], s[4:5]
	s_cbranch_execnz .LBB4_1775
	s_branch .LBB4_1776
.LBB4_3825:
	s_movk_i32 s4, 0x80
	v_cmp_eq_u16_e32 vcc, s4, v3
	s_mov_b64 s[4:5], -1
                                        ; implicit-def: $sgpr10
	s_and_saveexec_b64 s[8:9], vcc
; %bb.3826:
	s_mov_b32 s10, 0x7f800001
	s_xor_b64 s[4:5], exec, -1
; %bb.3827:
	s_or_b64 exec, exec, s[8:9]
	s_and_b64 s[4:5], s[4:5], exec
                                        ; implicit-def: $vgpr3
	s_or_saveexec_b64 s[6:7], s[6:7]
	v_mov_b32_e32 v2, s10
	s_xor_b64 exec, exec, s[6:7]
	s_cbranch_execz .LBB4_1778
.LBB4_3828:
	v_cmp_ne_u16_e32 vcc, 0, v3
	s_andn2_b64 s[4:5], s[4:5], exec
	s_and_b64 s[8:9], vcc, exec
	v_mov_b32_e32 v2, 0
	s_or_b64 s[4:5], s[4:5], s[8:9]
	s_or_b64 exec, exec, s[6:7]
	s_and_saveexec_b64 s[6:7], s[4:5]
	s_cbranch_execnz .LBB4_1779
	s_branch .LBB4_1780
.LBB4_3829:
	s_movk_i32 s4, 0x80
	v_cmp_eq_u16_e32 vcc, s4, v3
	s_mov_b64 s[4:5], -1
                                        ; implicit-def: $sgpr10
	s_and_saveexec_b64 s[8:9], vcc
; %bb.3830:
	s_mov_b32 s10, 0x7f800001
	s_xor_b64 s[4:5], exec, -1
; %bb.3831:
	s_or_b64 exec, exec, s[8:9]
	s_and_b64 s[4:5], s[4:5], exec
                                        ; implicit-def: $vgpr3
	s_or_saveexec_b64 s[6:7], s[6:7]
	v_mov_b32_e32 v4, s10
	s_xor_b64 exec, exec, s[6:7]
	s_cbranch_execz .LBB4_1782
.LBB4_3832:
	v_cmp_ne_u16_e32 vcc, 0, v3
	s_andn2_b64 s[4:5], s[4:5], exec
	s_and_b64 s[8:9], vcc, exec
	v_mov_b32_e32 v4, 0
	s_or_b64 s[4:5], s[4:5], s[8:9]
	s_or_b64 exec, exec, s[6:7]
	s_and_saveexec_b64 s[6:7], s[4:5]
	s_cbranch_execnz .LBB4_1783
	s_branch .LBB4_1784
.LBB4_3833:
	s_movk_i32 s4, 0x80
	v_cmp_eq_u16_sdwa s[12:13], v9, s4 src0_sel:BYTE_3 src1_sel:DWORD
	s_mov_b64 s[4:5], -1
                                        ; implicit-def: $sgpr10
	s_and_saveexec_b64 s[8:9], s[12:13]
; %bb.3834:
	s_mov_b32 s10, 0x7f800001
	s_xor_b64 s[4:5], exec, -1
; %bb.3835:
	s_or_b64 exec, exec, s[8:9]
	s_and_b64 s[4:5], s[4:5], exec
	s_or_saveexec_b64 s[6:7], s[6:7]
	v_mov_b32_e32 v2, s10
	s_xor_b64 exec, exec, s[6:7]
	s_cbranch_execz .LBB4_1786
.LBB4_3836:
	v_mov_b32_e32 v2, 0
	v_cmp_ne_u16_sdwa s[8:9], v9, v2 src0_sel:BYTE_3 src1_sel:DWORD
	s_andn2_b64 s[4:5], s[4:5], exec
	s_and_b64 s[8:9], s[8:9], exec
	s_or_b64 s[4:5], s[4:5], s[8:9]
	s_or_b64 exec, exec, s[6:7]
	s_and_saveexec_b64 s[6:7], s[4:5]
	s_cbranch_execnz .LBB4_1787
	s_branch .LBB4_1788
.LBB4_3837:
	s_movk_i32 s4, 0x80
	v_cmp_eq_u16_sdwa s[12:13], v5, s4 src0_sel:BYTE_3 src1_sel:DWORD
	s_mov_b64 s[4:5], -1
                                        ; implicit-def: $sgpr10
	s_and_saveexec_b64 s[8:9], s[12:13]
; %bb.3838:
	s_mov_b32 s10, 0x7f800001
	s_xor_b64 s[4:5], exec, -1
; %bb.3839:
	s_or_b64 exec, exec, s[8:9]
	s_and_b64 s[4:5], s[4:5], exec
	s_or_saveexec_b64 s[6:7], s[6:7]
	v_mov_b32_e32 v3, s10
	s_xor_b64 exec, exec, s[6:7]
	s_cbranch_execz .LBB4_1790
.LBB4_3840:
	v_mov_b32_e32 v3, 0
	v_cmp_ne_u16_sdwa s[8:9], v5, v3 src0_sel:BYTE_3 src1_sel:DWORD
	s_andn2_b64 s[4:5], s[4:5], exec
	s_and_b64 s[8:9], s[8:9], exec
	s_or_b64 s[4:5], s[4:5], s[8:9]
	s_or_b64 exec, exec, s[6:7]
	s_and_saveexec_b64 s[6:7], s[4:5]
	s_cbranch_execnz .LBB4_1791
	s_branch .LBB4_1792
.LBB4_3841:
	s_movk_i32 s4, 0x80
	v_cmp_eq_u16_sdwa s[12:13], v12, s4 src0_sel:BYTE_0 src1_sel:DWORD
	s_mov_b64 s[4:5], -1
                                        ; implicit-def: $sgpr10
	s_and_saveexec_b64 s[8:9], s[12:13]
; %bb.3842:
	s_mov_b32 s10, 0x7f800001
	s_xor_b64 s[4:5], exec, -1
; %bb.3843:
	s_or_b64 exec, exec, s[8:9]
	s_and_b64 s[4:5], s[4:5], exec
	s_or_saveexec_b64 s[6:7], s[6:7]
	v_mov_b32_e32 v18, s10
	s_xor_b64 exec, exec, s[6:7]
	s_cbranch_execz .LBB4_1794
.LBB4_3844:
	v_mov_b32_e32 v18, 0
	v_cmp_ne_u16_sdwa s[8:9], v12, v18 src0_sel:BYTE_0 src1_sel:DWORD
	s_andn2_b64 s[4:5], s[4:5], exec
	s_and_b64 s[8:9], s[8:9], exec
	s_or_b64 s[4:5], s[4:5], s[8:9]
	s_or_b64 exec, exec, s[6:7]
	s_and_saveexec_b64 s[6:7], s[4:5]
	s_cbranch_execnz .LBB4_1795
	s_branch .LBB4_1796
.LBB4_3845:
	s_movk_i32 s4, 0x80
	v_cmp_eq_u16_sdwa s[12:13], v8, s4 src0_sel:BYTE_0 src1_sel:DWORD
	s_mov_b64 s[4:5], -1
                                        ; implicit-def: $sgpr10
	s_and_saveexec_b64 s[8:9], s[12:13]
; %bb.3846:
	s_mov_b32 s10, 0x7f800001
	s_xor_b64 s[4:5], exec, -1
; %bb.3847:
	s_or_b64 exec, exec, s[8:9]
	s_and_b64 s[4:5], s[4:5], exec
	s_or_saveexec_b64 s[6:7], s[6:7]
	v_mov_b32_e32 v19, s10
	s_xor_b64 exec, exec, s[6:7]
	s_cbranch_execz .LBB4_1798
.LBB4_3848:
	v_mov_b32_e32 v19, 0
	v_cmp_ne_u16_sdwa s[8:9], v8, v19 src0_sel:BYTE_0 src1_sel:DWORD
	s_andn2_b64 s[4:5], s[4:5], exec
	s_and_b64 s[8:9], s[8:9], exec
	s_or_b64 s[4:5], s[4:5], s[8:9]
	s_or_b64 exec, exec, s[6:7]
	s_and_saveexec_b64 s[6:7], s[4:5]
	s_cbranch_execnz .LBB4_1799
	s_branch .LBB4_1800
.LBB4_3849:
	s_movk_i32 s4, 0x80
	v_cmp_eq_u16_sdwa s[12:13], v19, s4 src0_sel:BYTE_0 src1_sel:DWORD
	s_mov_b64 s[4:5], -1
                                        ; implicit-def: $sgpr10
	s_and_saveexec_b64 s[8:9], s[12:13]
; %bb.3850:
	s_mov_b32 s10, 0x7f800001
	s_xor_b64 s[4:5], exec, -1
; %bb.3851:
	s_or_b64 exec, exec, s[8:9]
	s_and_b64 s[4:5], s[4:5], exec
	s_or_saveexec_b64 s[6:7], s[6:7]
	v_mov_b32_e32 v18, s10
	s_xor_b64 exec, exec, s[6:7]
	s_cbranch_execz .LBB4_1802
.LBB4_3852:
	v_mov_b32_e32 v18, 0
	v_cmp_ne_u16_sdwa s[8:9], v19, v18 src0_sel:BYTE_0 src1_sel:DWORD
	s_andn2_b64 s[4:5], s[4:5], exec
	s_and_b64 s[8:9], s[8:9], exec
	s_or_b64 s[4:5], s[4:5], s[8:9]
	s_or_b64 exec, exec, s[6:7]
	s_and_saveexec_b64 s[6:7], s[4:5]
	s_cbranch_execnz .LBB4_1803
	s_branch .LBB4_1804
.LBB4_3853:
	s_movk_i32 s4, 0x80
	v_cmp_eq_u16_sdwa s[12:13], v19, s4 src0_sel:BYTE_0 src1_sel:DWORD
	s_mov_b64 s[4:5], -1
                                        ; implicit-def: $sgpr10
	s_and_saveexec_b64 s[8:9], s[12:13]
; %bb.3854:
	s_mov_b32 s10, 0x7f800001
	s_xor_b64 s[4:5], exec, -1
; %bb.3855:
	s_or_b64 exec, exec, s[8:9]
	s_and_b64 s[4:5], s[4:5], exec
	s_or_saveexec_b64 s[6:7], s[6:7]
	v_mov_b32_e32 v20, s10
	s_xor_b64 exec, exec, s[6:7]
	s_cbranch_execz .LBB4_1806
.LBB4_3856:
	v_mov_b32_e32 v20, 0
	v_cmp_ne_u16_sdwa s[8:9], v19, v20 src0_sel:BYTE_0 src1_sel:DWORD
	s_andn2_b64 s[4:5], s[4:5], exec
	s_and_b64 s[8:9], s[8:9], exec
	s_or_b64 s[4:5], s[4:5], s[8:9]
	s_or_b64 exec, exec, s[6:7]
	s_and_saveexec_b64 s[6:7], s[4:5]
	s_cbranch_execnz .LBB4_1807
	s_branch .LBB4_1808
.LBB4_3857:
	s_movk_i32 s4, 0x80
	v_cmp_eq_u16_e32 vcc, s4, v19
	s_mov_b64 s[4:5], -1
                                        ; implicit-def: $sgpr10
	s_and_saveexec_b64 s[8:9], vcc
; %bb.3858:
	s_mov_b32 s10, 0x7f800001
	s_xor_b64 s[4:5], exec, -1
; %bb.3859:
	s_or_b64 exec, exec, s[8:9]
	s_and_b64 s[4:5], s[4:5], exec
                                        ; implicit-def: $vgpr19
	s_or_saveexec_b64 s[6:7], s[6:7]
	v_mov_b32_e32 v18, s10
	s_xor_b64 exec, exec, s[6:7]
	s_cbranch_execz .LBB4_1810
.LBB4_3860:
	v_cmp_ne_u16_e32 vcc, 0, v19
	s_andn2_b64 s[4:5], s[4:5], exec
	s_and_b64 s[8:9], vcc, exec
	v_mov_b32_e32 v18, 0
	s_or_b64 s[4:5], s[4:5], s[8:9]
	s_or_b64 exec, exec, s[6:7]
	s_and_saveexec_b64 s[6:7], s[4:5]
	s_cbranch_execnz .LBB4_1811
	s_branch .LBB4_1812
.LBB4_3861:
	s_movk_i32 s4, 0x80
	v_cmp_eq_u16_e32 vcc, s4, v19
	s_mov_b64 s[4:5], -1
                                        ; implicit-def: $sgpr10
	s_and_saveexec_b64 s[8:9], vcc
; %bb.3862:
	s_mov_b32 s10, 0x7f800001
	s_xor_b64 s[4:5], exec, -1
; %bb.3863:
	s_or_b64 exec, exec, s[8:9]
	s_and_b64 s[4:5], s[4:5], exec
                                        ; implicit-def: $vgpr19
	s_or_saveexec_b64 s[6:7], s[6:7]
	v_mov_b32_e32 v20, s10
	s_xor_b64 exec, exec, s[6:7]
	s_cbranch_execz .LBB4_1814
.LBB4_3864:
	v_cmp_ne_u16_e32 vcc, 0, v19
	s_andn2_b64 s[4:5], s[4:5], exec
	s_and_b64 s[8:9], vcc, exec
	v_mov_b32_e32 v20, 0
	s_or_b64 s[4:5], s[4:5], s[8:9]
	s_or_b64 exec, exec, s[6:7]
	s_and_saveexec_b64 s[6:7], s[4:5]
	s_cbranch_execnz .LBB4_1815
	s_branch .LBB4_1816
.LBB4_3865:
	s_movk_i32 s4, 0x80
	v_cmp_eq_u16_sdwa s[12:13], v12, s4 src0_sel:BYTE_3 src1_sel:DWORD
	s_mov_b64 s[4:5], -1
                                        ; implicit-def: $sgpr10
	s_and_saveexec_b64 s[8:9], s[12:13]
; %bb.3866:
	s_mov_b32 s10, 0x7f800001
	s_xor_b64 s[4:5], exec, -1
; %bb.3867:
	s_or_b64 exec, exec, s[8:9]
	s_and_b64 s[4:5], s[4:5], exec
	s_or_saveexec_b64 s[6:7], s[6:7]
	v_mov_b32_e32 v18, s10
	s_xor_b64 exec, exec, s[6:7]
	s_cbranch_execz .LBB4_1818
.LBB4_3868:
	v_mov_b32_e32 v18, 0
	v_cmp_ne_u16_sdwa s[8:9], v12, v18 src0_sel:BYTE_3 src1_sel:DWORD
	s_andn2_b64 s[4:5], s[4:5], exec
	s_and_b64 s[8:9], s[8:9], exec
	s_or_b64 s[4:5], s[4:5], s[8:9]
	s_or_b64 exec, exec, s[6:7]
	s_and_saveexec_b64 s[6:7], s[4:5]
	s_cbranch_execnz .LBB4_1819
	s_branch .LBB4_1820
.LBB4_3869:
	s_movk_i32 s4, 0x80
	v_cmp_eq_u16_sdwa s[12:13], v8, s4 src0_sel:BYTE_3 src1_sel:DWORD
	s_mov_b64 s[4:5], -1
                                        ; implicit-def: $sgpr10
	s_and_saveexec_b64 s[8:9], s[12:13]
; %bb.3870:
	s_mov_b32 s10, 0x7f800001
	s_xor_b64 s[4:5], exec, -1
; %bb.3871:
	s_or_b64 exec, exec, s[8:9]
	s_and_b64 s[4:5], s[4:5], exec
	s_or_saveexec_b64 s[6:7], s[6:7]
	v_mov_b32_e32 v12, s10
	s_xor_b64 exec, exec, s[6:7]
	s_cbranch_execz .LBB4_1822
.LBB4_3872:
	v_mov_b32_e32 v12, 0
	v_cmp_ne_u16_sdwa s[8:9], v8, v12 src0_sel:BYTE_3 src1_sel:DWORD
	s_andn2_b64 s[4:5], s[4:5], exec
	s_and_b64 s[8:9], s[8:9], exec
	s_or_b64 s[4:5], s[4:5], s[8:9]
	s_or_b64 exec, exec, s[6:7]
	s_and_saveexec_b64 s[6:7], s[4:5]
	s_cbranch_execnz .LBB4_1823
	s_branch .LBB4_1824
.LBB4_3873:
	s_movk_i32 s4, 0x80
	v_cmp_eq_u16_sdwa s[12:13], v13, s4 src0_sel:BYTE_0 src1_sel:DWORD
	s_mov_b64 s[4:5], -1
                                        ; implicit-def: $sgpr10
	s_and_saveexec_b64 s[8:9], s[12:13]
; %bb.3874:
	s_mov_b32 s10, 0x7f800001
	s_xor_b64 s[4:5], exec, -1
; %bb.3875:
	s_or_b64 exec, exec, s[8:9]
	s_and_b64 s[4:5], s[4:5], exec
	s_or_saveexec_b64 s[6:7], s[6:7]
	v_mov_b32_e32 v8, s10
	s_xor_b64 exec, exec, s[6:7]
	s_cbranch_execz .LBB4_1826
.LBB4_3876:
	v_mov_b32_e32 v8, 0
	v_cmp_ne_u16_sdwa s[8:9], v13, v8 src0_sel:BYTE_0 src1_sel:DWORD
	s_andn2_b64 s[4:5], s[4:5], exec
	s_and_b64 s[8:9], s[8:9], exec
	s_or_b64 s[4:5], s[4:5], s[8:9]
	s_or_b64 exec, exec, s[6:7]
	s_and_saveexec_b64 s[6:7], s[4:5]
	s_cbranch_execnz .LBB4_1827
	s_branch .LBB4_1828
.LBB4_3877:
	s_movk_i32 s4, 0x80
	v_cmp_eq_u16_sdwa s[12:13], v9, s4 src0_sel:BYTE_0 src1_sel:DWORD
	s_mov_b64 s[4:5], -1
                                        ; implicit-def: $sgpr10
	s_and_saveexec_b64 s[8:9], s[12:13]
; %bb.3878:
	s_mov_b32 s10, 0x7f800001
	s_xor_b64 s[4:5], exec, -1
; %bb.3879:
	s_or_b64 exec, exec, s[8:9]
	s_and_b64 s[4:5], s[4:5], exec
	s_or_saveexec_b64 s[6:7], s[6:7]
	v_mov_b32_e32 v12, s10
	s_xor_b64 exec, exec, s[6:7]
	s_cbranch_execz .LBB4_1830
.LBB4_3880:
	v_mov_b32_e32 v12, 0
	v_cmp_ne_u16_sdwa s[8:9], v9, v12 src0_sel:BYTE_0 src1_sel:DWORD
	s_andn2_b64 s[4:5], s[4:5], exec
	s_and_b64 s[8:9], s[8:9], exec
	s_or_b64 s[4:5], s[4:5], s[8:9]
	s_or_b64 exec, exec, s[6:7]
	s_and_saveexec_b64 s[6:7], s[4:5]
	s_cbranch_execnz .LBB4_1831
	s_branch .LBB4_1832
.LBB4_3881:
	s_movk_i32 s4, 0x80
	v_cmp_eq_u16_sdwa s[12:13], v12, s4 src0_sel:BYTE_0 src1_sel:DWORD
	s_mov_b64 s[4:5], -1
                                        ; implicit-def: $sgpr10
	s_and_saveexec_b64 s[8:9], s[12:13]
; %bb.3882:
	s_mov_b32 s10, 0x7f800001
	s_xor_b64 s[4:5], exec, -1
; %bb.3883:
	s_or_b64 exec, exec, s[8:9]
	s_and_b64 s[4:5], s[4:5], exec
	s_or_saveexec_b64 s[6:7], s[6:7]
	v_mov_b32_e32 v8, s10
	s_xor_b64 exec, exec, s[6:7]
	s_cbranch_execz .LBB4_1834
.LBB4_3884:
	v_mov_b32_e32 v8, 0
	v_cmp_ne_u16_sdwa s[8:9], v12, v8 src0_sel:BYTE_0 src1_sel:DWORD
	s_andn2_b64 s[4:5], s[4:5], exec
	s_and_b64 s[8:9], s[8:9], exec
	s_or_b64 s[4:5], s[4:5], s[8:9]
	s_or_b64 exec, exec, s[6:7]
	s_and_saveexec_b64 s[6:7], s[4:5]
	s_cbranch_execnz .LBB4_1835
	s_branch .LBB4_1836
.LBB4_3885:
	s_movk_i32 s4, 0x80
	v_cmp_eq_u16_sdwa s[12:13], v12, s4 src0_sel:BYTE_0 src1_sel:DWORD
	s_mov_b64 s[4:5], -1
                                        ; implicit-def: $sgpr10
	s_and_saveexec_b64 s[8:9], s[12:13]
; %bb.3886:
	s_mov_b32 s10, 0x7f800001
	s_xor_b64 s[4:5], exec, -1
; %bb.3887:
	s_or_b64 exec, exec, s[8:9]
	s_and_b64 s[4:5], s[4:5], exec
	s_or_saveexec_b64 s[6:7], s[6:7]
	v_mov_b32_e32 v18, s10
	s_xor_b64 exec, exec, s[6:7]
	s_cbranch_execz .LBB4_1838
.LBB4_3888:
	v_mov_b32_e32 v18, 0
	v_cmp_ne_u16_sdwa s[8:9], v12, v18 src0_sel:BYTE_0 src1_sel:DWORD
	s_andn2_b64 s[4:5], s[4:5], exec
	s_and_b64 s[8:9], s[8:9], exec
	s_or_b64 s[4:5], s[4:5], s[8:9]
	s_or_b64 exec, exec, s[6:7]
	s_and_saveexec_b64 s[6:7], s[4:5]
	s_cbranch_execnz .LBB4_1839
	s_branch .LBB4_1840
.LBB4_3889:
	s_movk_i32 s4, 0x80
	v_cmp_eq_u16_e32 vcc, s4, v12
	s_mov_b64 s[4:5], -1
                                        ; implicit-def: $sgpr10
	s_and_saveexec_b64 s[8:9], vcc
; %bb.3890:
	s_mov_b32 s10, 0x7f800001
	s_xor_b64 s[4:5], exec, -1
; %bb.3891:
	s_or_b64 exec, exec, s[8:9]
	s_and_b64 s[4:5], s[4:5], exec
                                        ; implicit-def: $vgpr12
	s_or_saveexec_b64 s[6:7], s[6:7]
	v_mov_b32_e32 v8, s10
	s_xor_b64 exec, exec, s[6:7]
	s_cbranch_execz .LBB4_1842
.LBB4_3892:
	v_cmp_ne_u16_e32 vcc, 0, v12
	s_andn2_b64 s[4:5], s[4:5], exec
	s_and_b64 s[8:9], vcc, exec
	v_mov_b32_e32 v8, 0
	s_or_b64 s[4:5], s[4:5], s[8:9]
	s_or_b64 exec, exec, s[6:7]
	s_and_saveexec_b64 s[6:7], s[4:5]
	s_cbranch_execnz .LBB4_1843
	s_branch .LBB4_1844
.LBB4_3893:
	s_movk_i32 s4, 0x80
	v_cmp_eq_u16_e32 vcc, s4, v12
	s_mov_b64 s[4:5], -1
                                        ; implicit-def: $sgpr10
	s_and_saveexec_b64 s[8:9], vcc
; %bb.3894:
	s_mov_b32 s10, 0x7f800001
	s_xor_b64 s[4:5], exec, -1
; %bb.3895:
	s_or_b64 exec, exec, s[8:9]
	s_and_b64 s[4:5], s[4:5], exec
                                        ; implicit-def: $vgpr12
	s_or_saveexec_b64 s[6:7], s[6:7]
	v_mov_b32_e32 v18, s10
	s_xor_b64 exec, exec, s[6:7]
	s_cbranch_execz .LBB4_1846
.LBB4_3896:
	v_cmp_ne_u16_e32 vcc, 0, v12
	s_andn2_b64 s[4:5], s[4:5], exec
	s_and_b64 s[8:9], vcc, exec
	v_mov_b32_e32 v18, 0
	s_or_b64 s[4:5], s[4:5], s[8:9]
	s_or_b64 exec, exec, s[6:7]
	s_and_saveexec_b64 s[6:7], s[4:5]
	s_cbranch_execnz .LBB4_1847
	s_branch .LBB4_1848
.LBB4_3897:
	s_movk_i32 s4, 0x80
	v_cmp_eq_u16_sdwa s[12:13], v13, s4 src0_sel:BYTE_3 src1_sel:DWORD
	s_mov_b64 s[4:5], -1
                                        ; implicit-def: $sgpr10
	s_and_saveexec_b64 s[8:9], s[12:13]
; %bb.3898:
	s_mov_b32 s10, 0x7f800001
	s_xor_b64 s[4:5], exec, -1
; %bb.3899:
	s_or_b64 exec, exec, s[8:9]
	s_and_b64 s[4:5], s[4:5], exec
	s_or_saveexec_b64 s[6:7], s[6:7]
	v_mov_b32_e32 v8, s10
	s_xor_b64 exec, exec, s[6:7]
	s_cbranch_execz .LBB4_1850
.LBB4_3900:
	v_mov_b32_e32 v8, 0
	v_cmp_ne_u16_sdwa s[8:9], v13, v8 src0_sel:BYTE_3 src1_sel:DWORD
	s_andn2_b64 s[4:5], s[4:5], exec
	s_and_b64 s[8:9], s[8:9], exec
	s_or_b64 s[4:5], s[4:5], s[8:9]
	s_or_b64 exec, exec, s[6:7]
	s_and_saveexec_b64 s[6:7], s[4:5]
	s_cbranch_execnz .LBB4_1851
	s_branch .LBB4_1852
.LBB4_3901:
	s_movk_i32 s4, 0x80
	v_cmp_eq_u16_sdwa s[12:13], v9, s4 src0_sel:BYTE_3 src1_sel:DWORD
	s_mov_b64 s[4:5], -1
                                        ; implicit-def: $sgpr10
	s_and_saveexec_b64 s[8:9], s[12:13]
; %bb.3902:
	s_mov_b32 s10, 0x7f800001
	s_xor_b64 s[4:5], exec, -1
; %bb.3903:
	s_or_b64 exec, exec, s[8:9]
	s_and_b64 s[4:5], s[4:5], exec
	s_or_saveexec_b64 s[6:7], s[6:7]
	v_mov_b32_e32 v12, s10
	s_xor_b64 exec, exec, s[6:7]
	s_cbranch_execz .LBB4_1854
.LBB4_3904:
	v_mov_b32_e32 v12, 0
	v_cmp_ne_u16_sdwa s[8:9], v9, v12 src0_sel:BYTE_3 src1_sel:DWORD
	s_andn2_b64 s[4:5], s[4:5], exec
	s_and_b64 s[8:9], s[8:9], exec
	s_or_b64 s[4:5], s[4:5], s[8:9]
	s_or_b64 exec, exec, s[6:7]
	s_and_saveexec_b64 s[6:7], s[4:5]
	s_cbranch_execnz .LBB4_1855
	s_branch .LBB4_1856
.LBB4_3905:
	s_movk_i32 s4, 0x80
	v_cmp_eq_u16_sdwa s[12:13], v14, s4 src0_sel:BYTE_0 src1_sel:DWORD
	s_mov_b64 s[4:5], -1
                                        ; implicit-def: $sgpr10
	s_and_saveexec_b64 s[8:9], s[12:13]
; %bb.3906:
	s_mov_b32 s10, 0x7f800001
	s_xor_b64 s[4:5], exec, -1
; %bb.3907:
	s_or_b64 exec, exec, s[8:9]
	s_and_b64 s[4:5], s[4:5], exec
	s_or_saveexec_b64 s[6:7], s[6:7]
	v_mov_b32_e32 v8, s10
	s_xor_b64 exec, exec, s[6:7]
	s_cbranch_execz .LBB4_1858
.LBB4_3908:
	v_mov_b32_e32 v8, 0
	v_cmp_ne_u16_sdwa s[8:9], v14, v8 src0_sel:BYTE_0 src1_sel:DWORD
	s_andn2_b64 s[4:5], s[4:5], exec
	s_and_b64 s[8:9], s[8:9], exec
	s_or_b64 s[4:5], s[4:5], s[8:9]
	s_or_b64 exec, exec, s[6:7]
	s_and_saveexec_b64 s[6:7], s[4:5]
	s_cbranch_execnz .LBB4_1859
	s_branch .LBB4_1860
.LBB4_3909:
	s_movk_i32 s4, 0x80
	v_cmp_eq_u16_sdwa s[12:13], v10, s4 src0_sel:BYTE_0 src1_sel:DWORD
	s_mov_b64 s[4:5], -1
                                        ; implicit-def: $sgpr10
	s_and_saveexec_b64 s[8:9], s[12:13]
; %bb.3910:
	s_mov_b32 s10, 0x7f800001
	s_xor_b64 s[4:5], exec, -1
; %bb.3911:
	s_or_b64 exec, exec, s[8:9]
	s_and_b64 s[4:5], s[4:5], exec
	s_or_saveexec_b64 s[6:7], s[6:7]
	v_mov_b32_e32 v9, s10
	s_xor_b64 exec, exec, s[6:7]
	s_cbranch_execz .LBB4_1862
.LBB4_3912:
	v_mov_b32_e32 v9, 0
	v_cmp_ne_u16_sdwa s[8:9], v10, v9 src0_sel:BYTE_0 src1_sel:DWORD
	s_andn2_b64 s[4:5], s[4:5], exec
	s_and_b64 s[8:9], s[8:9], exec
	s_or_b64 s[4:5], s[4:5], s[8:9]
	s_or_b64 exec, exec, s[6:7]
	s_and_saveexec_b64 s[6:7], s[4:5]
	s_cbranch_execnz .LBB4_1863
	s_branch .LBB4_1864
.LBB4_3913:
	s_movk_i32 s4, 0x80
	v_cmp_eq_u16_sdwa s[12:13], v9, s4 src0_sel:BYTE_0 src1_sel:DWORD
	s_mov_b64 s[4:5], -1
                                        ; implicit-def: $sgpr10
	s_and_saveexec_b64 s[8:9], s[12:13]
; %bb.3914:
	s_mov_b32 s10, 0x7f800001
	s_xor_b64 s[4:5], exec, -1
; %bb.3915:
	s_or_b64 exec, exec, s[8:9]
	s_and_b64 s[4:5], s[4:5], exec
	s_or_saveexec_b64 s[6:7], s[6:7]
	v_mov_b32_e32 v8, s10
	s_xor_b64 exec, exec, s[6:7]
	s_cbranch_execz .LBB4_1866
.LBB4_3916:
	v_mov_b32_e32 v8, 0
	v_cmp_ne_u16_sdwa s[8:9], v9, v8 src0_sel:BYTE_0 src1_sel:DWORD
	s_andn2_b64 s[4:5], s[4:5], exec
	s_and_b64 s[8:9], s[8:9], exec
	s_or_b64 s[4:5], s[4:5], s[8:9]
	s_or_b64 exec, exec, s[6:7]
	s_and_saveexec_b64 s[6:7], s[4:5]
	s_cbranch_execnz .LBB4_1867
	s_branch .LBB4_1868
.LBB4_3917:
	s_movk_i32 s4, 0x80
	v_cmp_eq_u16_sdwa s[12:13], v9, s4 src0_sel:BYTE_0 src1_sel:DWORD
	s_mov_b64 s[4:5], -1
                                        ; implicit-def: $sgpr10
	s_and_saveexec_b64 s[8:9], s[12:13]
; %bb.3918:
	s_mov_b32 s10, 0x7f800001
	s_xor_b64 s[4:5], exec, -1
; %bb.3919:
	s_or_b64 exec, exec, s[8:9]
	s_and_b64 s[4:5], s[4:5], exec
	s_or_saveexec_b64 s[6:7], s[6:7]
	v_mov_b32_e32 v12, s10
	s_xor_b64 exec, exec, s[6:7]
	s_cbranch_execz .LBB4_1870
.LBB4_3920:
	v_mov_b32_e32 v12, 0
	v_cmp_ne_u16_sdwa s[8:9], v9, v12 src0_sel:BYTE_0 src1_sel:DWORD
	s_andn2_b64 s[4:5], s[4:5], exec
	s_and_b64 s[8:9], s[8:9], exec
	s_or_b64 s[4:5], s[4:5], s[8:9]
	s_or_b64 exec, exec, s[6:7]
	s_and_saveexec_b64 s[6:7], s[4:5]
	s_cbranch_execnz .LBB4_1871
	s_branch .LBB4_1872
.LBB4_3921:
	s_movk_i32 s4, 0x80
	v_cmp_eq_u16_e32 vcc, s4, v9
	s_mov_b64 s[4:5], -1
                                        ; implicit-def: $sgpr10
	s_and_saveexec_b64 s[8:9], vcc
; %bb.3922:
	s_mov_b32 s10, 0x7f800001
	s_xor_b64 s[4:5], exec, -1
; %bb.3923:
	s_or_b64 exec, exec, s[8:9]
	s_and_b64 s[4:5], s[4:5], exec
                                        ; implicit-def: $vgpr9
	s_or_saveexec_b64 s[6:7], s[6:7]
	v_mov_b32_e32 v8, s10
	s_xor_b64 exec, exec, s[6:7]
	s_cbranch_execz .LBB4_1874
.LBB4_3924:
	v_cmp_ne_u16_e32 vcc, 0, v9
	s_andn2_b64 s[4:5], s[4:5], exec
	s_and_b64 s[8:9], vcc, exec
	v_mov_b32_e32 v8, 0
	s_or_b64 s[4:5], s[4:5], s[8:9]
	s_or_b64 exec, exec, s[6:7]
	s_and_saveexec_b64 s[6:7], s[4:5]
	s_cbranch_execnz .LBB4_1875
	s_branch .LBB4_1876
.LBB4_3925:
	s_movk_i32 s4, 0x80
	v_cmp_eq_u16_e32 vcc, s4, v9
	s_mov_b64 s[4:5], -1
                                        ; implicit-def: $sgpr10
	s_and_saveexec_b64 s[8:9], vcc
; %bb.3926:
	s_mov_b32 s10, 0x7f800001
	s_xor_b64 s[4:5], exec, -1
; %bb.3927:
	s_or_b64 exec, exec, s[8:9]
	s_and_b64 s[4:5], s[4:5], exec
                                        ; implicit-def: $vgpr9
	s_or_saveexec_b64 s[6:7], s[6:7]
	v_mov_b32_e32 v12, s10
	s_xor_b64 exec, exec, s[6:7]
	s_cbranch_execz .LBB4_1878
.LBB4_3928:
	v_cmp_ne_u16_e32 vcc, 0, v9
	s_andn2_b64 s[4:5], s[4:5], exec
	s_and_b64 s[8:9], vcc, exec
	v_mov_b32_e32 v12, 0
	s_or_b64 s[4:5], s[4:5], s[8:9]
	s_or_b64 exec, exec, s[6:7]
	s_and_saveexec_b64 s[6:7], s[4:5]
	s_cbranch_execnz .LBB4_1879
	s_branch .LBB4_1880
.LBB4_3929:
	s_movk_i32 s4, 0x80
	v_cmp_eq_u16_sdwa s[12:13], v14, s4 src0_sel:BYTE_3 src1_sel:DWORD
	s_mov_b64 s[4:5], -1
                                        ; implicit-def: $sgpr10
	s_and_saveexec_b64 s[8:9], s[12:13]
; %bb.3930:
	s_mov_b32 s10, 0x7f800001
	s_xor_b64 s[4:5], exec, -1
; %bb.3931:
	s_or_b64 exec, exec, s[8:9]
	s_and_b64 s[4:5], s[4:5], exec
	s_or_saveexec_b64 s[6:7], s[6:7]
	v_mov_b32_e32 v8, s10
	s_xor_b64 exec, exec, s[6:7]
	s_cbranch_execz .LBB4_1882
.LBB4_3932:
	v_mov_b32_e32 v8, 0
	v_cmp_ne_u16_sdwa s[8:9], v14, v8 src0_sel:BYTE_3 src1_sel:DWORD
	s_andn2_b64 s[4:5], s[4:5], exec
	s_and_b64 s[8:9], s[8:9], exec
	s_or_b64 s[4:5], s[4:5], s[8:9]
	s_or_b64 exec, exec, s[6:7]
	s_and_saveexec_b64 s[6:7], s[4:5]
	s_cbranch_execnz .LBB4_1883
	s_branch .LBB4_1884
.LBB4_3933:
	s_movk_i32 s4, 0x80
	v_cmp_eq_u16_sdwa s[12:13], v10, s4 src0_sel:BYTE_3 src1_sel:DWORD
	s_mov_b64 s[4:5], -1
                                        ; implicit-def: $sgpr10
	s_and_saveexec_b64 s[8:9], s[12:13]
; %bb.3934:
	s_mov_b32 s10, 0x7f800001
	s_xor_b64 s[4:5], exec, -1
; %bb.3935:
	s_or_b64 exec, exec, s[8:9]
	s_and_b64 s[4:5], s[4:5], exec
	s_or_saveexec_b64 s[6:7], s[6:7]
	v_mov_b32_e32 v9, s10
	s_xor_b64 exec, exec, s[6:7]
	s_cbranch_execz .LBB4_1886
.LBB4_3936:
	v_mov_b32_e32 v9, 0
	v_cmp_ne_u16_sdwa s[8:9], v10, v9 src0_sel:BYTE_3 src1_sel:DWORD
	s_andn2_b64 s[4:5], s[4:5], exec
	s_and_b64 s[8:9], s[8:9], exec
	s_or_b64 s[4:5], s[4:5], s[8:9]
	s_or_b64 exec, exec, s[6:7]
	s_and_saveexec_b64 s[6:7], s[4:5]
	s_cbranch_execnz .LBB4_1887
	s_branch .LBB4_1888
.LBB4_3937:
	s_movk_i32 s4, 0x80
	v_cmp_eq_u16_sdwa s[12:13], v15, s4 src0_sel:BYTE_0 src1_sel:DWORD
	s_mov_b64 s[4:5], -1
                                        ; implicit-def: $sgpr10
	s_and_saveexec_b64 s[8:9], s[12:13]
; %bb.3938:
	s_mov_b32 s10, 0x7f800001
	s_xor_b64 s[4:5], exec, -1
; %bb.3939:
	s_or_b64 exec, exec, s[8:9]
	s_and_b64 s[4:5], s[4:5], exec
	s_or_saveexec_b64 s[6:7], s[6:7]
	v_mov_b32_e32 v8, s10
	s_xor_b64 exec, exec, s[6:7]
	s_cbranch_execz .LBB4_1890
.LBB4_3940:
	v_mov_b32_e32 v8, 0
	v_cmp_ne_u16_sdwa s[8:9], v15, v8 src0_sel:BYTE_0 src1_sel:DWORD
	s_andn2_b64 s[4:5], s[4:5], exec
	s_and_b64 s[8:9], s[8:9], exec
	s_or_b64 s[4:5], s[4:5], s[8:9]
	s_or_b64 exec, exec, s[6:7]
	s_and_saveexec_b64 s[6:7], s[4:5]
	s_cbranch_execnz .LBB4_1891
	s_branch .LBB4_1892
.LBB4_3941:
	s_movk_i32 s4, 0x80
	v_cmp_eq_u16_sdwa s[12:13], v11, s4 src0_sel:BYTE_0 src1_sel:DWORD
	s_mov_b64 s[4:5], -1
                                        ; implicit-def: $sgpr10
	s_and_saveexec_b64 s[8:9], s[12:13]
; %bb.3942:
	s_mov_b32 s10, 0x7f800001
	s_xor_b64 s[4:5], exec, -1
; %bb.3943:
	s_or_b64 exec, exec, s[8:9]
	s_and_b64 s[4:5], s[4:5], exec
	s_or_saveexec_b64 s[6:7], s[6:7]
	v_mov_b32_e32 v9, s10
	s_xor_b64 exec, exec, s[6:7]
	s_cbranch_execz .LBB4_1894
.LBB4_3944:
	v_mov_b32_e32 v9, 0
	v_cmp_ne_u16_sdwa s[8:9], v11, v9 src0_sel:BYTE_0 src1_sel:DWORD
	s_andn2_b64 s[4:5], s[4:5], exec
	s_and_b64 s[8:9], s[8:9], exec
	s_or_b64 s[4:5], s[4:5], s[8:9]
	s_or_b64 exec, exec, s[6:7]
	s_and_saveexec_b64 s[6:7], s[4:5]
	s_cbranch_execnz .LBB4_1895
	s_branch .LBB4_1896
.LBB4_3945:
	s_movk_i32 s4, 0x80
	v_cmp_eq_u16_sdwa s[12:13], v9, s4 src0_sel:BYTE_0 src1_sel:DWORD
	s_mov_b64 s[4:5], -1
                                        ; implicit-def: $sgpr10
	s_and_saveexec_b64 s[8:9], s[12:13]
; %bb.3946:
	s_mov_b32 s10, 0x7f800001
	s_xor_b64 s[4:5], exec, -1
; %bb.3947:
	s_or_b64 exec, exec, s[8:9]
	s_and_b64 s[4:5], s[4:5], exec
	s_or_saveexec_b64 s[6:7], s[6:7]
	v_mov_b32_e32 v8, s10
	s_xor_b64 exec, exec, s[6:7]
	s_cbranch_execz .LBB4_1898
.LBB4_3948:
	v_mov_b32_e32 v8, 0
	v_cmp_ne_u16_sdwa s[8:9], v9, v8 src0_sel:BYTE_0 src1_sel:DWORD
	s_andn2_b64 s[4:5], s[4:5], exec
	s_and_b64 s[8:9], s[8:9], exec
	s_or_b64 s[4:5], s[4:5], s[8:9]
	s_or_b64 exec, exec, s[6:7]
	s_and_saveexec_b64 s[6:7], s[4:5]
	s_cbranch_execnz .LBB4_1899
	s_branch .LBB4_1900
.LBB4_3949:
	s_movk_i32 s4, 0x80
	v_cmp_eq_u16_sdwa s[12:13], v9, s4 src0_sel:BYTE_0 src1_sel:DWORD
	s_mov_b64 s[4:5], -1
                                        ; implicit-def: $sgpr10
	s_and_saveexec_b64 s[8:9], s[12:13]
; %bb.3950:
	s_mov_b32 s10, 0x7f800001
	s_xor_b64 s[4:5], exec, -1
; %bb.3951:
	s_or_b64 exec, exec, s[8:9]
	s_and_b64 s[4:5], s[4:5], exec
	s_or_saveexec_b64 s[6:7], s[6:7]
	v_mov_b32_e32 v10, s10
	s_xor_b64 exec, exec, s[6:7]
	s_cbranch_execz .LBB4_1902
.LBB4_3952:
	v_mov_b32_e32 v10, 0
	v_cmp_ne_u16_sdwa s[8:9], v9, v10 src0_sel:BYTE_0 src1_sel:DWORD
	s_andn2_b64 s[4:5], s[4:5], exec
	s_and_b64 s[8:9], s[8:9], exec
	s_or_b64 s[4:5], s[4:5], s[8:9]
	s_or_b64 exec, exec, s[6:7]
	s_and_saveexec_b64 s[6:7], s[4:5]
	s_cbranch_execnz .LBB4_1903
	s_branch .LBB4_1904
.LBB4_3953:
	s_movk_i32 s4, 0x80
	v_cmp_eq_u16_e32 vcc, s4, v9
	s_mov_b64 s[4:5], -1
                                        ; implicit-def: $sgpr10
	s_and_saveexec_b64 s[8:9], vcc
; %bb.3954:
	s_mov_b32 s10, 0x7f800001
	s_xor_b64 s[4:5], exec, -1
; %bb.3955:
	s_or_b64 exec, exec, s[8:9]
	s_and_b64 s[4:5], s[4:5], exec
                                        ; implicit-def: $vgpr9
	s_or_saveexec_b64 s[6:7], s[6:7]
	v_mov_b32_e32 v8, s10
	s_xor_b64 exec, exec, s[6:7]
	s_cbranch_execz .LBB4_1906
.LBB4_3956:
	v_cmp_ne_u16_e32 vcc, 0, v9
	s_andn2_b64 s[4:5], s[4:5], exec
	s_and_b64 s[8:9], vcc, exec
	v_mov_b32_e32 v8, 0
	s_or_b64 s[4:5], s[4:5], s[8:9]
	s_or_b64 exec, exec, s[6:7]
	s_and_saveexec_b64 s[6:7], s[4:5]
	s_cbranch_execnz .LBB4_1907
	s_branch .LBB4_1908
.LBB4_3957:
	s_movk_i32 s4, 0x80
	v_cmp_eq_u16_e32 vcc, s4, v9
	s_mov_b64 s[4:5], -1
                                        ; implicit-def: $sgpr10
	s_and_saveexec_b64 s[8:9], vcc
; %bb.3958:
	s_mov_b32 s10, 0x7f800001
	s_xor_b64 s[4:5], exec, -1
; %bb.3959:
	s_or_b64 exec, exec, s[8:9]
	s_and_b64 s[4:5], s[4:5], exec
                                        ; implicit-def: $vgpr9
	s_or_saveexec_b64 s[6:7], s[6:7]
	v_mov_b32_e32 v10, s10
	s_xor_b64 exec, exec, s[6:7]
	s_cbranch_execz .LBB4_1910
.LBB4_3960:
	v_cmp_ne_u16_e32 vcc, 0, v9
	s_andn2_b64 s[4:5], s[4:5], exec
	s_and_b64 s[8:9], vcc, exec
	v_mov_b32_e32 v10, 0
	s_or_b64 s[4:5], s[4:5], s[8:9]
	s_or_b64 exec, exec, s[6:7]
	s_and_saveexec_b64 s[6:7], s[4:5]
	s_cbranch_execnz .LBB4_1911
	s_branch .LBB4_1912
.LBB4_3961:
	s_movk_i32 s4, 0x80
	v_cmp_eq_u16_sdwa s[12:13], v15, s4 src0_sel:BYTE_3 src1_sel:DWORD
	s_mov_b64 s[4:5], -1
                                        ; implicit-def: $sgpr10
	s_and_saveexec_b64 s[8:9], s[12:13]
; %bb.3962:
	s_mov_b32 s10, 0x7f800001
	s_xor_b64 s[4:5], exec, -1
; %bb.3963:
	s_or_b64 exec, exec, s[8:9]
	s_and_b64 s[4:5], s[4:5], exec
	s_or_saveexec_b64 s[6:7], s[6:7]
	v_mov_b32_e32 v8, s10
	s_xor_b64 exec, exec, s[6:7]
	s_cbranch_execz .LBB4_1914
.LBB4_3964:
	v_mov_b32_e32 v8, 0
	v_cmp_ne_u16_sdwa s[8:9], v15, v8 src0_sel:BYTE_3 src1_sel:DWORD
	s_andn2_b64 s[4:5], s[4:5], exec
	s_and_b64 s[8:9], s[8:9], exec
	s_or_b64 s[4:5], s[4:5], s[8:9]
	s_or_b64 exec, exec, s[6:7]
	s_and_saveexec_b64 s[6:7], s[4:5]
	s_cbranch_execnz .LBB4_1915
	s_branch .LBB4_1916
.LBB4_3965:
	s_movk_i32 s4, 0x80
	v_cmp_eq_u16_sdwa s[12:13], v11, s4 src0_sel:BYTE_3 src1_sel:DWORD
	s_mov_b64 s[4:5], -1
                                        ; implicit-def: $sgpr10
	s_and_saveexec_b64 s[8:9], s[12:13]
; %bb.3966:
	s_mov_b32 s10, 0x7f800001
	s_xor_b64 s[4:5], exec, -1
; %bb.3967:
	s_or_b64 exec, exec, s[8:9]
	s_and_b64 s[4:5], s[4:5], exec
	s_or_saveexec_b64 s[6:7], s[6:7]
	v_mov_b32_e32 v9, s10
	s_xor_b64 exec, exec, s[6:7]
	s_cbranch_execz .LBB4_1918
.LBB4_3968:
	v_mov_b32_e32 v9, 0
	v_cmp_ne_u16_sdwa s[8:9], v11, v9 src0_sel:BYTE_3 src1_sel:DWORD
	s_andn2_b64 s[4:5], s[4:5], exec
	s_and_b64 s[8:9], s[8:9], exec
	s_or_b64 s[4:5], s[4:5], s[8:9]
	s_or_b64 exec, exec, s[6:7]
	s_and_saveexec_b64 s[6:7], s[4:5]
	s_cbranch_execnz .LBB4_1919
	s_branch .LBB4_1920
.LBB4_3969:
	s_movk_i32 s4, 0x80
	v_cmp_eq_u16_sdwa s[12:13], v4, s4 src0_sel:BYTE_0 src1_sel:DWORD
	s_mov_b64 s[4:5], -1
                                        ; implicit-def: $sgpr10
	s_and_saveexec_b64 s[8:9], s[12:13]
; %bb.3970:
	s_mov_b32 s10, 0x7f800001
	s_xor_b64 s[4:5], exec, -1
; %bb.3971:
	s_or_b64 exec, exec, s[8:9]
	s_and_b64 s[4:5], s[4:5], exec
	s_or_saveexec_b64 s[6:7], s[6:7]
	v_mov_b32_e32 v8, s10
	s_xor_b64 exec, exec, s[6:7]
	s_cbranch_execz .LBB4_1922
.LBB4_3972:
	v_mov_b32_e32 v8, 0
	v_cmp_ne_u16_sdwa s[8:9], v4, v8 src0_sel:BYTE_0 src1_sel:DWORD
	s_andn2_b64 s[4:5], s[4:5], exec
	s_and_b64 s[8:9], s[8:9], exec
	s_or_b64 s[4:5], s[4:5], s[8:9]
	s_or_b64 exec, exec, s[6:7]
	s_and_saveexec_b64 s[6:7], s[4:5]
	s_cbranch_execnz .LBB4_1923
	s_branch .LBB4_1924
.LBB4_3973:
	s_movk_i32 s4, 0x80
	v_cmp_eq_u16_sdwa s[12:13], v0, s4 src0_sel:BYTE_0 src1_sel:DWORD
	s_mov_b64 s[4:5], -1
                                        ; implicit-def: $sgpr10
	s_and_saveexec_b64 s[8:9], s[12:13]
; %bb.3974:
	s_mov_b32 s10, 0x7f800001
	s_xor_b64 s[4:5], exec, -1
; %bb.3975:
	s_or_b64 exec, exec, s[8:9]
	s_and_b64 s[4:5], s[4:5], exec
	s_or_saveexec_b64 s[6:7], s[6:7]
	v_mov_b32_e32 v9, s10
	s_xor_b64 exec, exec, s[6:7]
	s_cbranch_execz .LBB4_1926
.LBB4_3976:
	v_mov_b32_e32 v9, 0
	v_cmp_ne_u16_sdwa s[8:9], v0, v9 src0_sel:BYTE_0 src1_sel:DWORD
	s_andn2_b64 s[4:5], s[4:5], exec
	s_and_b64 s[8:9], s[8:9], exec
	s_or_b64 s[4:5], s[4:5], s[8:9]
	s_or_b64 exec, exec, s[6:7]
	s_and_saveexec_b64 s[6:7], s[4:5]
	s_cbranch_execnz .LBB4_1927
	s_branch .LBB4_1928
.LBB4_3977:
	s_movk_i32 s4, 0x80
	v_cmp_eq_u16_sdwa s[12:13], v9, s4 src0_sel:BYTE_0 src1_sel:DWORD
	s_mov_b64 s[4:5], -1
                                        ; implicit-def: $sgpr10
	s_and_saveexec_b64 s[8:9], s[12:13]
; %bb.3978:
	s_mov_b32 s10, 0x7f800001
	s_xor_b64 s[4:5], exec, -1
; %bb.3979:
	s_or_b64 exec, exec, s[8:9]
	s_and_b64 s[4:5], s[4:5], exec
	s_or_saveexec_b64 s[6:7], s[6:7]
	v_mov_b32_e32 v8, s10
	s_xor_b64 exec, exec, s[6:7]
	s_cbranch_execz .LBB4_1930
.LBB4_3980:
	v_mov_b32_e32 v8, 0
	v_cmp_ne_u16_sdwa s[8:9], v9, v8 src0_sel:BYTE_0 src1_sel:DWORD
	s_andn2_b64 s[4:5], s[4:5], exec
	s_and_b64 s[8:9], s[8:9], exec
	s_or_b64 s[4:5], s[4:5], s[8:9]
	s_or_b64 exec, exec, s[6:7]
	s_and_saveexec_b64 s[6:7], s[4:5]
	s_cbranch_execnz .LBB4_1931
	s_branch .LBB4_1932
.LBB4_3981:
	s_movk_i32 s4, 0x80
	v_cmp_eq_u16_sdwa s[12:13], v9, s4 src0_sel:BYTE_0 src1_sel:DWORD
	s_mov_b64 s[4:5], -1
                                        ; implicit-def: $sgpr10
	s_and_saveexec_b64 s[8:9], s[12:13]
; %bb.3982:
	s_mov_b32 s10, 0x7f800001
	s_xor_b64 s[4:5], exec, -1
; %bb.3983:
	s_or_b64 exec, exec, s[8:9]
	s_and_b64 s[4:5], s[4:5], exec
	s_or_saveexec_b64 s[6:7], s[6:7]
	v_mov_b32_e32 v10, s10
	s_xor_b64 exec, exec, s[6:7]
	s_cbranch_execz .LBB4_1934
.LBB4_3984:
	v_mov_b32_e32 v10, 0
	v_cmp_ne_u16_sdwa s[8:9], v9, v10 src0_sel:BYTE_0 src1_sel:DWORD
	s_andn2_b64 s[4:5], s[4:5], exec
	s_and_b64 s[8:9], s[8:9], exec
	s_or_b64 s[4:5], s[4:5], s[8:9]
	s_or_b64 exec, exec, s[6:7]
	s_and_saveexec_b64 s[6:7], s[4:5]
	s_cbranch_execnz .LBB4_1935
	s_branch .LBB4_1936
.LBB4_3985:
	s_movk_i32 s4, 0x80
	v_cmp_eq_u16_e32 vcc, s4, v9
	s_mov_b64 s[4:5], -1
                                        ; implicit-def: $sgpr10
	s_and_saveexec_b64 s[8:9], vcc
; %bb.3986:
	s_mov_b32 s10, 0x7f800001
	s_xor_b64 s[4:5], exec, -1
; %bb.3987:
	s_or_b64 exec, exec, s[8:9]
	s_and_b64 s[4:5], s[4:5], exec
                                        ; implicit-def: $vgpr9
	s_or_saveexec_b64 s[6:7], s[6:7]
	v_mov_b32_e32 v8, s10
	s_xor_b64 exec, exec, s[6:7]
	s_cbranch_execz .LBB4_1938
.LBB4_3988:
	v_cmp_ne_u16_e32 vcc, 0, v9
	s_andn2_b64 s[4:5], s[4:5], exec
	s_and_b64 s[8:9], vcc, exec
	v_mov_b32_e32 v8, 0
	s_or_b64 s[4:5], s[4:5], s[8:9]
	s_or_b64 exec, exec, s[6:7]
	s_and_saveexec_b64 s[6:7], s[4:5]
	s_cbranch_execnz .LBB4_1939
	s_branch .LBB4_1940
.LBB4_3989:
	s_movk_i32 s4, 0x80
	v_cmp_eq_u16_e32 vcc, s4, v9
	s_mov_b64 s[4:5], -1
                                        ; implicit-def: $sgpr10
	s_and_saveexec_b64 s[8:9], vcc
; %bb.3990:
	s_mov_b32 s10, 0x7f800001
	s_xor_b64 s[4:5], exec, -1
; %bb.3991:
	s_or_b64 exec, exec, s[8:9]
	s_and_b64 s[4:5], s[4:5], exec
                                        ; implicit-def: $vgpr9
	s_or_saveexec_b64 s[6:7], s[6:7]
	v_mov_b32_e32 v10, s10
	s_xor_b64 exec, exec, s[6:7]
	s_cbranch_execz .LBB4_1942
.LBB4_3992:
	v_cmp_ne_u16_e32 vcc, 0, v9
	s_andn2_b64 s[4:5], s[4:5], exec
	s_and_b64 s[8:9], vcc, exec
	v_mov_b32_e32 v10, 0
	s_or_b64 s[4:5], s[4:5], s[8:9]
	s_or_b64 exec, exec, s[6:7]
	s_and_saveexec_b64 s[6:7], s[4:5]
	s_cbranch_execnz .LBB4_1943
	s_branch .LBB4_1944
.LBB4_3993:
	s_movk_i32 s4, 0x80
	v_cmp_eq_u16_sdwa s[12:13], v4, s4 src0_sel:BYTE_3 src1_sel:DWORD
	s_mov_b64 s[4:5], -1
                                        ; implicit-def: $sgpr10
	s_and_saveexec_b64 s[8:9], s[12:13]
; %bb.3994:
	s_mov_b32 s10, 0x7f800001
	s_xor_b64 s[4:5], exec, -1
; %bb.3995:
	s_or_b64 exec, exec, s[8:9]
	s_and_b64 s[4:5], s[4:5], exec
	s_or_saveexec_b64 s[6:7], s[6:7]
	v_mov_b32_e32 v8, s10
	s_xor_b64 exec, exec, s[6:7]
	s_cbranch_execz .LBB4_1946
.LBB4_3996:
	v_mov_b32_e32 v8, 0
	v_cmp_ne_u16_sdwa s[8:9], v4, v8 src0_sel:BYTE_3 src1_sel:DWORD
	s_andn2_b64 s[4:5], s[4:5], exec
	s_and_b64 s[8:9], s[8:9], exec
	s_or_b64 s[4:5], s[4:5], s[8:9]
	s_or_b64 exec, exec, s[6:7]
	s_and_saveexec_b64 s[6:7], s[4:5]
	s_cbranch_execnz .LBB4_1947
	s_branch .LBB4_1948
.LBB4_3997:
	s_movk_i32 s4, 0x80
	v_cmp_eq_u16_sdwa s[12:13], v0, s4 src0_sel:BYTE_3 src1_sel:DWORD
	s_mov_b64 s[4:5], -1
                                        ; implicit-def: $sgpr10
	s_and_saveexec_b64 s[8:9], s[12:13]
; %bb.3998:
	s_mov_b32 s10, 0x7f800001
	s_xor_b64 s[4:5], exec, -1
; %bb.3999:
	s_or_b64 exec, exec, s[8:9]
	s_and_b64 s[4:5], s[4:5], exec
	s_or_saveexec_b64 s[6:7], s[6:7]
	v_mov_b32_e32 v4, s10
	s_xor_b64 exec, exec, s[6:7]
	s_cbranch_execz .LBB4_1950
.LBB4_4000:
	v_mov_b32_e32 v4, 0
	v_cmp_ne_u16_sdwa s[8:9], v0, v4 src0_sel:BYTE_3 src1_sel:DWORD
	s_andn2_b64 s[4:5], s[4:5], exec
	s_and_b64 s[8:9], s[8:9], exec
	s_or_b64 s[4:5], s[4:5], s[8:9]
	s_or_b64 exec, exec, s[6:7]
	s_and_saveexec_b64 s[6:7], s[4:5]
	s_cbranch_execnz .LBB4_1951
	s_branch .LBB4_1952
.LBB4_4001:
	s_movk_i32 s4, 0x80
	v_cmp_eq_u16_sdwa s[12:13], v5, s4 src0_sel:BYTE_0 src1_sel:DWORD
	s_mov_b64 s[4:5], -1
                                        ; implicit-def: $sgpr10
	s_and_saveexec_b64 s[8:9], s[12:13]
; %bb.4002:
	s_mov_b32 s10, 0x7f800001
	s_xor_b64 s[4:5], exec, -1
; %bb.4003:
	s_or_b64 exec, exec, s[8:9]
	s_and_b64 s[4:5], s[4:5], exec
	s_or_saveexec_b64 s[6:7], s[6:7]
	v_mov_b32_e32 v0, s10
	s_xor_b64 exec, exec, s[6:7]
	s_cbranch_execz .LBB4_1954
.LBB4_4004:
	v_mov_b32_e32 v0, 0
	v_cmp_ne_u16_sdwa s[8:9], v5, v0 src0_sel:BYTE_0 src1_sel:DWORD
	s_andn2_b64 s[4:5], s[4:5], exec
	s_and_b64 s[8:9], s[8:9], exec
	s_or_b64 s[4:5], s[4:5], s[8:9]
	s_or_b64 exec, exec, s[6:7]
	s_and_saveexec_b64 s[6:7], s[4:5]
	s_cbranch_execnz .LBB4_1955
	s_branch .LBB4_1956
.LBB4_4005:
	s_movk_i32 s4, 0x80
	v_cmp_eq_u16_sdwa s[12:13], v1, s4 src0_sel:BYTE_0 src1_sel:DWORD
	s_mov_b64 s[4:5], -1
                                        ; implicit-def: $sgpr10
	s_and_saveexec_b64 s[8:9], s[12:13]
; %bb.4006:
	s_mov_b32 s10, 0x7f800001
	s_xor_b64 s[4:5], exec, -1
; %bb.4007:
	s_or_b64 exec, exec, s[8:9]
	s_and_b64 s[4:5], s[4:5], exec
	s_or_saveexec_b64 s[6:7], s[6:7]
	v_mov_b32_e32 v4, s10
	s_xor_b64 exec, exec, s[6:7]
	s_cbranch_execz .LBB4_1958
.LBB4_4008:
	v_mov_b32_e32 v4, 0
	v_cmp_ne_u16_sdwa s[8:9], v1, v4 src0_sel:BYTE_0 src1_sel:DWORD
	s_andn2_b64 s[4:5], s[4:5], exec
	s_and_b64 s[8:9], s[8:9], exec
	s_or_b64 s[4:5], s[4:5], s[8:9]
	s_or_b64 exec, exec, s[6:7]
	s_and_saveexec_b64 s[6:7], s[4:5]
	s_cbranch_execnz .LBB4_1959
	s_branch .LBB4_1960
.LBB4_4009:
	s_movk_i32 s4, 0x80
	v_cmp_eq_u16_sdwa s[12:13], v4, s4 src0_sel:BYTE_0 src1_sel:DWORD
	s_mov_b64 s[4:5], -1
                                        ; implicit-def: $sgpr10
	s_and_saveexec_b64 s[8:9], s[12:13]
; %bb.4010:
	s_mov_b32 s10, 0x7f800001
	s_xor_b64 s[4:5], exec, -1
; %bb.4011:
	s_or_b64 exec, exec, s[8:9]
	s_and_b64 s[4:5], s[4:5], exec
	s_or_saveexec_b64 s[6:7], s[6:7]
	v_mov_b32_e32 v0, s10
	s_xor_b64 exec, exec, s[6:7]
	s_cbranch_execz .LBB4_1962
.LBB4_4012:
	v_mov_b32_e32 v0, 0
	v_cmp_ne_u16_sdwa s[8:9], v4, v0 src0_sel:BYTE_0 src1_sel:DWORD
	s_andn2_b64 s[4:5], s[4:5], exec
	s_and_b64 s[8:9], s[8:9], exec
	s_or_b64 s[4:5], s[4:5], s[8:9]
	s_or_b64 exec, exec, s[6:7]
	s_and_saveexec_b64 s[6:7], s[4:5]
	s_cbranch_execnz .LBB4_1963
	s_branch .LBB4_1964
.LBB4_4013:
	s_movk_i32 s4, 0x80
	v_cmp_eq_u16_sdwa s[12:13], v4, s4 src0_sel:BYTE_0 src1_sel:DWORD
	s_mov_b64 s[4:5], -1
                                        ; implicit-def: $sgpr10
	s_and_saveexec_b64 s[8:9], s[12:13]
; %bb.4014:
	s_mov_b32 s10, 0x7f800001
	s_xor_b64 s[4:5], exec, -1
; %bb.4015:
	s_or_b64 exec, exec, s[8:9]
	s_and_b64 s[4:5], s[4:5], exec
	s_or_saveexec_b64 s[6:7], s[6:7]
	v_mov_b32_e32 v8, s10
	s_xor_b64 exec, exec, s[6:7]
	s_cbranch_execz .LBB4_1966
.LBB4_4016:
	v_mov_b32_e32 v8, 0
	v_cmp_ne_u16_sdwa s[8:9], v4, v8 src0_sel:BYTE_0 src1_sel:DWORD
	s_andn2_b64 s[4:5], s[4:5], exec
	s_and_b64 s[8:9], s[8:9], exec
	s_or_b64 s[4:5], s[4:5], s[8:9]
	s_or_b64 exec, exec, s[6:7]
	s_and_saveexec_b64 s[6:7], s[4:5]
	s_cbranch_execnz .LBB4_1967
	s_branch .LBB4_1968
.LBB4_4017:
	s_movk_i32 s4, 0x80
	v_cmp_eq_u16_e32 vcc, s4, v4
	s_mov_b64 s[4:5], -1
                                        ; implicit-def: $sgpr10
	s_and_saveexec_b64 s[8:9], vcc
; %bb.4018:
	s_mov_b32 s10, 0x7f800001
	s_xor_b64 s[4:5], exec, -1
; %bb.4019:
	s_or_b64 exec, exec, s[8:9]
	s_and_b64 s[4:5], s[4:5], exec
                                        ; implicit-def: $vgpr4
	s_or_saveexec_b64 s[6:7], s[6:7]
	v_mov_b32_e32 v0, s10
	s_xor_b64 exec, exec, s[6:7]
	s_cbranch_execz .LBB4_1970
.LBB4_4020:
	v_cmp_ne_u16_e32 vcc, 0, v4
	s_andn2_b64 s[4:5], s[4:5], exec
	s_and_b64 s[8:9], vcc, exec
	v_mov_b32_e32 v0, 0
	s_or_b64 s[4:5], s[4:5], s[8:9]
	s_or_b64 exec, exec, s[6:7]
	s_and_saveexec_b64 s[6:7], s[4:5]
	s_cbranch_execnz .LBB4_1971
	s_branch .LBB4_1972
.LBB4_4021:
	s_movk_i32 s4, 0x80
	v_cmp_eq_u16_e32 vcc, s4, v4
	s_mov_b64 s[4:5], -1
                                        ; implicit-def: $sgpr10
	s_and_saveexec_b64 s[8:9], vcc
; %bb.4022:
	s_mov_b32 s10, 0x7f800001
	s_xor_b64 s[4:5], exec, -1
; %bb.4023:
	s_or_b64 exec, exec, s[8:9]
	s_and_b64 s[4:5], s[4:5], exec
                                        ; implicit-def: $vgpr4
	s_or_saveexec_b64 s[6:7], s[6:7]
	v_mov_b32_e32 v8, s10
	s_xor_b64 exec, exec, s[6:7]
	s_cbranch_execz .LBB4_1974
.LBB4_4024:
	v_cmp_ne_u16_e32 vcc, 0, v4
	s_andn2_b64 s[4:5], s[4:5], exec
	s_and_b64 s[8:9], vcc, exec
	v_mov_b32_e32 v8, 0
	s_or_b64 s[4:5], s[4:5], s[8:9]
	s_or_b64 exec, exec, s[6:7]
	s_and_saveexec_b64 s[6:7], s[4:5]
	s_cbranch_execnz .LBB4_1975
	s_branch .LBB4_1976
.LBB4_4025:
	s_movk_i32 s4, 0x80
	v_cmp_eq_u16_sdwa s[12:13], v5, s4 src0_sel:BYTE_3 src1_sel:DWORD
	s_mov_b64 s[4:5], -1
                                        ; implicit-def: $sgpr10
	s_and_saveexec_b64 s[8:9], s[12:13]
; %bb.4026:
	s_mov_b32 s10, 0x7f800001
	s_xor_b64 s[4:5], exec, -1
; %bb.4027:
	s_or_b64 exec, exec, s[8:9]
	s_and_b64 s[4:5], s[4:5], exec
	s_or_saveexec_b64 s[6:7], s[6:7]
	v_mov_b32_e32 v0, s10
	s_xor_b64 exec, exec, s[6:7]
	s_cbranch_execz .LBB4_1978
.LBB4_4028:
	v_mov_b32_e32 v0, 0
	v_cmp_ne_u16_sdwa s[8:9], v5, v0 src0_sel:BYTE_3 src1_sel:DWORD
	s_andn2_b64 s[4:5], s[4:5], exec
	s_and_b64 s[8:9], s[8:9], exec
	s_or_b64 s[4:5], s[4:5], s[8:9]
	s_or_b64 exec, exec, s[6:7]
	s_and_saveexec_b64 s[6:7], s[4:5]
	s_cbranch_execnz .LBB4_1979
	s_branch .LBB4_1980
.LBB4_4029:
	s_movk_i32 s4, 0x80
	v_cmp_eq_u16_sdwa s[12:13], v1, s4 src0_sel:BYTE_3 src1_sel:DWORD
	s_mov_b64 s[4:5], -1
                                        ; implicit-def: $sgpr10
	s_and_saveexec_b64 s[8:9], s[12:13]
; %bb.4030:
	s_mov_b32 s10, 0x7f800001
	s_xor_b64 s[4:5], exec, -1
; %bb.4031:
	s_or_b64 exec, exec, s[8:9]
	s_and_b64 s[4:5], s[4:5], exec
	s_or_saveexec_b64 s[6:7], s[6:7]
	v_mov_b32_e32 v4, s10
	s_xor_b64 exec, exec, s[6:7]
	s_cbranch_execz .LBB4_1982
.LBB4_4032:
	v_mov_b32_e32 v4, 0
	v_cmp_ne_u16_sdwa s[8:9], v1, v4 src0_sel:BYTE_3 src1_sel:DWORD
	s_andn2_b64 s[4:5], s[4:5], exec
	s_and_b64 s[8:9], s[8:9], exec
	s_or_b64 s[4:5], s[4:5], s[8:9]
	s_or_b64 exec, exec, s[6:7]
	s_and_saveexec_b64 s[6:7], s[4:5]
	s_cbranch_execnz .LBB4_1983
	s_branch .LBB4_1984
.LBB4_4033:
	s_movk_i32 s4, 0x80
	v_cmp_eq_u16_sdwa s[12:13], v6, s4 src0_sel:BYTE_0 src1_sel:DWORD
	s_mov_b64 s[4:5], -1
                                        ; implicit-def: $sgpr10
	s_and_saveexec_b64 s[8:9], s[12:13]
; %bb.4034:
	s_mov_b32 s10, 0x7f800001
	s_xor_b64 s[4:5], exec, -1
; %bb.4035:
	s_or_b64 exec, exec, s[8:9]
	s_and_b64 s[4:5], s[4:5], exec
	s_or_saveexec_b64 s[6:7], s[6:7]
	v_mov_b32_e32 v0, s10
	s_xor_b64 exec, exec, s[6:7]
	s_cbranch_execz .LBB4_1986
.LBB4_4036:
	v_mov_b32_e32 v0, 0
	v_cmp_ne_u16_sdwa s[8:9], v6, v0 src0_sel:BYTE_0 src1_sel:DWORD
	s_andn2_b64 s[4:5], s[4:5], exec
	s_and_b64 s[8:9], s[8:9], exec
	s_or_b64 s[4:5], s[4:5], s[8:9]
	s_or_b64 exec, exec, s[6:7]
	s_and_saveexec_b64 s[6:7], s[4:5]
	s_cbranch_execnz .LBB4_1987
	s_branch .LBB4_1988
.LBB4_4037:
	s_movk_i32 s4, 0x80
	v_cmp_eq_u16_sdwa s[12:13], v2, s4 src0_sel:BYTE_0 src1_sel:DWORD
	s_mov_b64 s[4:5], -1
                                        ; implicit-def: $sgpr10
	s_and_saveexec_b64 s[8:9], s[12:13]
; %bb.4038:
	s_mov_b32 s10, 0x7f800001
	s_xor_b64 s[4:5], exec, -1
; %bb.4039:
	s_or_b64 exec, exec, s[8:9]
	s_and_b64 s[4:5], s[4:5], exec
	s_or_saveexec_b64 s[6:7], s[6:7]
	v_mov_b32_e32 v1, s10
	s_xor_b64 exec, exec, s[6:7]
	s_cbranch_execz .LBB4_1990
.LBB4_4040:
	v_mov_b32_e32 v1, 0
	v_cmp_ne_u16_sdwa s[8:9], v2, v1 src0_sel:BYTE_0 src1_sel:DWORD
	s_andn2_b64 s[4:5], s[4:5], exec
	s_and_b64 s[8:9], s[8:9], exec
	s_or_b64 s[4:5], s[4:5], s[8:9]
	s_or_b64 exec, exec, s[6:7]
	s_and_saveexec_b64 s[6:7], s[4:5]
	s_cbranch_execnz .LBB4_1991
	s_branch .LBB4_1992
.LBB4_4041:
	s_movk_i32 s4, 0x80
	v_cmp_eq_u16_sdwa s[12:13], v1, s4 src0_sel:BYTE_0 src1_sel:DWORD
	s_mov_b64 s[4:5], -1
                                        ; implicit-def: $sgpr10
	s_and_saveexec_b64 s[8:9], s[12:13]
; %bb.4042:
	s_mov_b32 s10, 0x7f800001
	s_xor_b64 s[4:5], exec, -1
; %bb.4043:
	s_or_b64 exec, exec, s[8:9]
	s_and_b64 s[4:5], s[4:5], exec
	s_or_saveexec_b64 s[6:7], s[6:7]
	v_mov_b32_e32 v0, s10
	s_xor_b64 exec, exec, s[6:7]
	s_cbranch_execz .LBB4_1994
.LBB4_4044:
	v_mov_b32_e32 v0, 0
	v_cmp_ne_u16_sdwa s[8:9], v1, v0 src0_sel:BYTE_0 src1_sel:DWORD
	s_andn2_b64 s[4:5], s[4:5], exec
	s_and_b64 s[8:9], s[8:9], exec
	s_or_b64 s[4:5], s[4:5], s[8:9]
	s_or_b64 exec, exec, s[6:7]
	s_and_saveexec_b64 s[6:7], s[4:5]
	s_cbranch_execnz .LBB4_1995
	s_branch .LBB4_1996
.LBB4_4045:
	s_movk_i32 s4, 0x80
	v_cmp_eq_u16_sdwa s[12:13], v1, s4 src0_sel:BYTE_0 src1_sel:DWORD
	s_mov_b64 s[4:5], -1
                                        ; implicit-def: $sgpr10
	s_and_saveexec_b64 s[8:9], s[12:13]
; %bb.4046:
	s_mov_b32 s10, 0x7f800001
	s_xor_b64 s[4:5], exec, -1
; %bb.4047:
	s_or_b64 exec, exec, s[8:9]
	s_and_b64 s[4:5], s[4:5], exec
	s_or_saveexec_b64 s[6:7], s[6:7]
	v_mov_b32_e32 v4, s10
	s_xor_b64 exec, exec, s[6:7]
	s_cbranch_execz .LBB4_1998
.LBB4_4048:
	v_mov_b32_e32 v4, 0
	v_cmp_ne_u16_sdwa s[8:9], v1, v4 src0_sel:BYTE_0 src1_sel:DWORD
	s_andn2_b64 s[4:5], s[4:5], exec
	s_and_b64 s[8:9], s[8:9], exec
	s_or_b64 s[4:5], s[4:5], s[8:9]
	s_or_b64 exec, exec, s[6:7]
	s_and_saveexec_b64 s[6:7], s[4:5]
	s_cbranch_execnz .LBB4_1999
	s_branch .LBB4_2000
.LBB4_4049:
	s_movk_i32 s4, 0x80
	v_cmp_eq_u16_e32 vcc, s4, v1
	s_mov_b64 s[4:5], -1
                                        ; implicit-def: $sgpr10
	s_and_saveexec_b64 s[8:9], vcc
; %bb.4050:
	s_mov_b32 s10, 0x7f800001
	s_xor_b64 s[4:5], exec, -1
; %bb.4051:
	s_or_b64 exec, exec, s[8:9]
	s_and_b64 s[4:5], s[4:5], exec
                                        ; implicit-def: $vgpr1
	s_or_saveexec_b64 s[6:7], s[6:7]
	v_mov_b32_e32 v0, s10
	s_xor_b64 exec, exec, s[6:7]
	s_cbranch_execz .LBB4_2002
.LBB4_4052:
	v_cmp_ne_u16_e32 vcc, 0, v1
	s_andn2_b64 s[4:5], s[4:5], exec
	s_and_b64 s[8:9], vcc, exec
	v_mov_b32_e32 v0, 0
	s_or_b64 s[4:5], s[4:5], s[8:9]
	s_or_b64 exec, exec, s[6:7]
	s_and_saveexec_b64 s[6:7], s[4:5]
	s_cbranch_execnz .LBB4_2003
	s_branch .LBB4_2004
.LBB4_4053:
	s_movk_i32 s4, 0x80
	v_cmp_eq_u16_e32 vcc, s4, v1
	s_mov_b64 s[4:5], -1
                                        ; implicit-def: $sgpr10
	s_and_saveexec_b64 s[8:9], vcc
; %bb.4054:
	s_mov_b32 s10, 0x7f800001
	s_xor_b64 s[4:5], exec, -1
; %bb.4055:
	s_or_b64 exec, exec, s[8:9]
	s_and_b64 s[4:5], s[4:5], exec
                                        ; implicit-def: $vgpr1
	s_or_saveexec_b64 s[6:7], s[6:7]
	v_mov_b32_e32 v4, s10
	s_xor_b64 exec, exec, s[6:7]
	s_cbranch_execz .LBB4_2006
.LBB4_4056:
	v_cmp_ne_u16_e32 vcc, 0, v1
	s_andn2_b64 s[4:5], s[4:5], exec
	s_and_b64 s[8:9], vcc, exec
	v_mov_b32_e32 v4, 0
	s_or_b64 s[4:5], s[4:5], s[8:9]
	s_or_b64 exec, exec, s[6:7]
	s_and_saveexec_b64 s[6:7], s[4:5]
	s_cbranch_execnz .LBB4_2007
	s_branch .LBB4_2008
.LBB4_4057:
	s_movk_i32 s4, 0x80
	v_cmp_eq_u16_sdwa s[12:13], v6, s4 src0_sel:BYTE_3 src1_sel:DWORD
	s_mov_b64 s[4:5], -1
                                        ; implicit-def: $sgpr10
	s_and_saveexec_b64 s[8:9], s[12:13]
; %bb.4058:
	s_mov_b32 s10, 0x7f800001
	s_xor_b64 s[4:5], exec, -1
; %bb.4059:
	s_or_b64 exec, exec, s[8:9]
	s_and_b64 s[4:5], s[4:5], exec
	s_or_saveexec_b64 s[6:7], s[6:7]
	v_mov_b32_e32 v0, s10
	s_xor_b64 exec, exec, s[6:7]
	s_cbranch_execz .LBB4_2010
.LBB4_4060:
	v_mov_b32_e32 v0, 0
	v_cmp_ne_u16_sdwa s[8:9], v6, v0 src0_sel:BYTE_3 src1_sel:DWORD
	s_andn2_b64 s[4:5], s[4:5], exec
	s_and_b64 s[8:9], s[8:9], exec
	s_or_b64 s[4:5], s[4:5], s[8:9]
	s_or_b64 exec, exec, s[6:7]
	s_and_saveexec_b64 s[6:7], s[4:5]
	s_cbranch_execnz .LBB4_2011
	s_branch .LBB4_2012
.LBB4_4061:
	s_movk_i32 s4, 0x80
	v_cmp_eq_u16_sdwa s[12:13], v2, s4 src0_sel:BYTE_3 src1_sel:DWORD
	s_mov_b64 s[4:5], -1
                                        ; implicit-def: $sgpr10
	s_and_saveexec_b64 s[8:9], s[12:13]
; %bb.4062:
	s_mov_b32 s10, 0x7f800001
	s_xor_b64 s[4:5], exec, -1
; %bb.4063:
	s_or_b64 exec, exec, s[8:9]
	s_and_b64 s[4:5], s[4:5], exec
	s_or_saveexec_b64 s[6:7], s[6:7]
	v_mov_b32_e32 v1, s10
	s_xor_b64 exec, exec, s[6:7]
	s_cbranch_execz .LBB4_2014
.LBB4_4064:
	v_mov_b32_e32 v1, 0
	v_cmp_ne_u16_sdwa s[8:9], v2, v1 src0_sel:BYTE_3 src1_sel:DWORD
	s_andn2_b64 s[4:5], s[4:5], exec
	s_and_b64 s[8:9], s[8:9], exec
	s_or_b64 s[4:5], s[4:5], s[8:9]
	s_or_b64 exec, exec, s[6:7]
	s_and_saveexec_b64 s[6:7], s[4:5]
	s_cbranch_execnz .LBB4_2015
	s_branch .LBB4_2016
.LBB4_4065:
	s_movk_i32 s4, 0x80
	v_cmp_eq_u16_sdwa s[12:13], v7, s4 src0_sel:BYTE_0 src1_sel:DWORD
	s_mov_b64 s[4:5], -1
                                        ; implicit-def: $sgpr10
	s_and_saveexec_b64 s[8:9], s[12:13]
; %bb.4066:
	s_mov_b32 s10, 0x7f800001
	s_xor_b64 s[4:5], exec, -1
; %bb.4067:
	s_or_b64 exec, exec, s[8:9]
	s_and_b64 s[4:5], s[4:5], exec
	s_or_saveexec_b64 s[6:7], s[6:7]
	v_mov_b32_e32 v0, s10
	s_xor_b64 exec, exec, s[6:7]
	s_cbranch_execz .LBB4_2018
.LBB4_4068:
	v_mov_b32_e32 v0, 0
	v_cmp_ne_u16_sdwa s[8:9], v7, v0 src0_sel:BYTE_0 src1_sel:DWORD
	s_andn2_b64 s[4:5], s[4:5], exec
	s_and_b64 s[8:9], s[8:9], exec
	s_or_b64 s[4:5], s[4:5], s[8:9]
	s_or_b64 exec, exec, s[6:7]
	s_and_saveexec_b64 s[6:7], s[4:5]
	s_cbranch_execnz .LBB4_2019
	s_branch .LBB4_2020
.LBB4_4069:
	s_movk_i32 s4, 0x80
	v_cmp_eq_u16_sdwa s[12:13], v3, s4 src0_sel:BYTE_0 src1_sel:DWORD
	s_mov_b64 s[4:5], -1
                                        ; implicit-def: $sgpr10
	s_and_saveexec_b64 s[8:9], s[12:13]
; %bb.4070:
	s_mov_b32 s10, 0x7f800001
	s_xor_b64 s[4:5], exec, -1
; %bb.4071:
	s_or_b64 exec, exec, s[8:9]
	s_and_b64 s[4:5], s[4:5], exec
	s_or_saveexec_b64 s[6:7], s[6:7]
	v_mov_b32_e32 v1, s10
	s_xor_b64 exec, exec, s[6:7]
	s_cbranch_execz .LBB4_2022
.LBB4_4072:
	v_mov_b32_e32 v1, 0
	v_cmp_ne_u16_sdwa s[8:9], v3, v1 src0_sel:BYTE_0 src1_sel:DWORD
	s_andn2_b64 s[4:5], s[4:5], exec
	s_and_b64 s[8:9], s[8:9], exec
	s_or_b64 s[4:5], s[4:5], s[8:9]
	s_or_b64 exec, exec, s[6:7]
	s_and_saveexec_b64 s[6:7], s[4:5]
	s_cbranch_execnz .LBB4_2023
	s_branch .LBB4_2024
.LBB4_4073:
	s_movk_i32 s4, 0x80
	v_cmp_eq_u16_sdwa s[12:13], v1, s4 src0_sel:BYTE_0 src1_sel:DWORD
	s_mov_b64 s[4:5], -1
                                        ; implicit-def: $sgpr10
	s_and_saveexec_b64 s[8:9], s[12:13]
; %bb.4074:
	s_mov_b32 s10, 0x7f800001
	s_xor_b64 s[4:5], exec, -1
; %bb.4075:
	s_or_b64 exec, exec, s[8:9]
	s_and_b64 s[4:5], s[4:5], exec
	s_or_saveexec_b64 s[6:7], s[6:7]
	v_mov_b32_e32 v0, s10
	s_xor_b64 exec, exec, s[6:7]
	s_cbranch_execz .LBB4_2026
.LBB4_4076:
	v_mov_b32_e32 v0, 0
	v_cmp_ne_u16_sdwa s[8:9], v1, v0 src0_sel:BYTE_0 src1_sel:DWORD
	s_andn2_b64 s[4:5], s[4:5], exec
	s_and_b64 s[8:9], s[8:9], exec
	s_or_b64 s[4:5], s[4:5], s[8:9]
	s_or_b64 exec, exec, s[6:7]
	s_and_saveexec_b64 s[6:7], s[4:5]
	s_cbranch_execnz .LBB4_2027
	s_branch .LBB4_2028
.LBB4_4077:
	s_movk_i32 s4, 0x80
	v_cmp_eq_u16_sdwa s[12:13], v1, s4 src0_sel:BYTE_0 src1_sel:DWORD
	s_mov_b64 s[4:5], -1
                                        ; implicit-def: $sgpr10
	s_and_saveexec_b64 s[8:9], s[12:13]
; %bb.4078:
	s_mov_b32 s10, 0x7f800001
	s_xor_b64 s[4:5], exec, -1
; %bb.4079:
	s_or_b64 exec, exec, s[8:9]
	s_and_b64 s[4:5], s[4:5], exec
	s_or_saveexec_b64 s[6:7], s[6:7]
	v_mov_b32_e32 v2, s10
	s_xor_b64 exec, exec, s[6:7]
	s_cbranch_execz .LBB4_2030
.LBB4_4080:
	v_mov_b32_e32 v2, 0
	v_cmp_ne_u16_sdwa s[8:9], v1, v2 src0_sel:BYTE_0 src1_sel:DWORD
	s_andn2_b64 s[4:5], s[4:5], exec
	s_and_b64 s[8:9], s[8:9], exec
	s_or_b64 s[4:5], s[4:5], s[8:9]
	s_or_b64 exec, exec, s[6:7]
	s_and_saveexec_b64 s[6:7], s[4:5]
	s_cbranch_execnz .LBB4_2031
	s_branch .LBB4_2032
.LBB4_4081:
	s_movk_i32 s4, 0x80
	v_cmp_eq_u16_e32 vcc, s4, v1
	s_mov_b64 s[4:5], -1
                                        ; implicit-def: $sgpr10
	s_and_saveexec_b64 s[8:9], vcc
; %bb.4082:
	s_mov_b32 s10, 0x7f800001
	s_xor_b64 s[4:5], exec, -1
; %bb.4083:
	s_or_b64 exec, exec, s[8:9]
	s_and_b64 s[4:5], s[4:5], exec
                                        ; implicit-def: $vgpr1
	s_or_saveexec_b64 s[6:7], s[6:7]
	v_mov_b32_e32 v0, s10
	s_xor_b64 exec, exec, s[6:7]
	s_cbranch_execz .LBB4_2034
.LBB4_4084:
	v_cmp_ne_u16_e32 vcc, 0, v1
	s_andn2_b64 s[4:5], s[4:5], exec
	s_and_b64 s[8:9], vcc, exec
	v_mov_b32_e32 v0, 0
	s_or_b64 s[4:5], s[4:5], s[8:9]
	s_or_b64 exec, exec, s[6:7]
	s_and_saveexec_b64 s[6:7], s[4:5]
	s_cbranch_execnz .LBB4_2035
	s_branch .LBB4_2036
.LBB4_4085:
	s_movk_i32 s4, 0x80
	v_cmp_eq_u16_e32 vcc, s4, v1
	s_mov_b64 s[4:5], -1
                                        ; implicit-def: $sgpr10
	s_and_saveexec_b64 s[8:9], vcc
; %bb.4086:
	s_mov_b32 s10, 0x7f800001
	s_xor_b64 s[4:5], exec, -1
; %bb.4087:
	s_or_b64 exec, exec, s[8:9]
	s_and_b64 s[4:5], s[4:5], exec
                                        ; implicit-def: $vgpr1
	s_or_saveexec_b64 s[6:7], s[6:7]
	v_mov_b32_e32 v2, s10
	s_xor_b64 exec, exec, s[6:7]
	s_cbranch_execz .LBB4_2038
.LBB4_4088:
	v_cmp_ne_u16_e32 vcc, 0, v1
	s_andn2_b64 s[4:5], s[4:5], exec
	s_and_b64 s[8:9], vcc, exec
	v_mov_b32_e32 v2, 0
	s_or_b64 s[4:5], s[4:5], s[8:9]
	s_or_b64 exec, exec, s[6:7]
	s_and_saveexec_b64 s[6:7], s[4:5]
	s_cbranch_execnz .LBB4_2039
	s_branch .LBB4_2040
.LBB4_4089:
	s_movk_i32 s4, 0x80
	v_cmp_eq_u16_sdwa s[12:13], v7, s4 src0_sel:BYTE_3 src1_sel:DWORD
	s_mov_b64 s[4:5], -1
                                        ; implicit-def: $sgpr10
	s_and_saveexec_b64 s[8:9], s[12:13]
; %bb.4090:
	s_mov_b32 s10, 0x7f800001
	s_xor_b64 s[4:5], exec, -1
; %bb.4091:
	s_or_b64 exec, exec, s[8:9]
	s_and_b64 s[4:5], s[4:5], exec
	s_or_saveexec_b64 s[6:7], s[6:7]
	v_mov_b32_e32 v0, s10
	s_xor_b64 exec, exec, s[6:7]
	s_cbranch_execz .LBB4_2042
.LBB4_4092:
	v_mov_b32_e32 v0, 0
	v_cmp_ne_u16_sdwa s[8:9], v7, v0 src0_sel:BYTE_3 src1_sel:DWORD
	s_andn2_b64 s[4:5], s[4:5], exec
	s_and_b64 s[8:9], s[8:9], exec
	s_or_b64 s[4:5], s[4:5], s[8:9]
	s_or_b64 exec, exec, s[6:7]
	s_and_saveexec_b64 s[6:7], s[4:5]
	s_cbranch_execnz .LBB4_2043
	s_branch .LBB4_2044
.LBB4_4093:
	s_movk_i32 s4, 0x80
	v_cmp_eq_u16_sdwa s[12:13], v3, s4 src0_sel:BYTE_3 src1_sel:DWORD
	s_mov_b64 s[4:5], -1
                                        ; implicit-def: $sgpr10
	s_and_saveexec_b64 s[8:9], s[12:13]
; %bb.4094:
	s_mov_b32 s10, 0x7f800001
	s_xor_b64 s[4:5], exec, -1
; %bb.4095:
	s_or_b64 exec, exec, s[8:9]
	s_and_b64 s[4:5], s[4:5], exec
	s_or_saveexec_b64 s[6:7], s[6:7]
	v_mov_b32_e32 v1, s10
	s_xor_b64 exec, exec, s[6:7]
	s_cbranch_execz .LBB4_2046
.LBB4_4096:
	v_mov_b32_e32 v1, 0
	v_cmp_ne_u16_sdwa s[8:9], v3, v1 src0_sel:BYTE_3 src1_sel:DWORD
	s_andn2_b64 s[4:5], s[4:5], exec
	s_and_b64 s[8:9], s[8:9], exec
	s_or_b64 s[4:5], s[4:5], s[8:9]
	s_or_b64 exec, exec, s[6:7]
	s_and_saveexec_b64 s[6:7], s[4:5]
	s_cbranch_execnz .LBB4_2047
	s_branch .LBB4_2048
.Lfunc_end4:
	.size	_ZNK2ck6detail7applierIiJLi0ELi1ELi2ELi3ELi4ELi5ELi6ELi7EEEclIZNKS_11static_fordINS_8SequenceIJLi1ELi8EEEENS5_IJLi0ELi1EEEEEclIZZZNKS_52BlockwiseGemmXdlops_pipeline_bpreshuffle_bdequant_v3ILNS_26BlockGemmPipelineSchedulerE0ELi256ENS_9f8_fnuz_tENS_7pk_i4_tESC_fNS_16TensorDescriptorINS_5TupleIJNS_5EmbedINSF_IJNS_17integral_constantIiLi8EEENSH_IiLi256EEENSH_IiLi16EEEEEENSF_IJSK_NSH_IiLi128EEENSH_IiLi1EEEEEELb0EEENS_3XorINSF_IJSJ_SI_EEELb1EEENS_11PassThroughISK_EENS_7UnMergeINSF_IJSI_SN_EEELb0EEENST_ISJ_EESU_NST_ISI_EENS_21Merge_v3_division_modINSF_IJSJ_SN_EEEEESU_EEENSF_IJNS5_IJLi0EEEENS5_IJLi2ELi1EEEENS5_IJLi3EEEENS5_IJLi5EEEENS5_IJLi4EEEENS5_IJLi6EEEENS5_IJLi7EEEENS5_IJLi9ELi8EEEENS5_IJLi10EEEEEEENSF_IJNS5_IJLi1ELi2ELi3EEEENS5_IJLi4ELi5EEEES19_NS5_IJLi7ELi8EEEENS5_IJLi9EEEES1C_NS5_IJLi11EEEENS5_IJLi12EEEENS5_IJLi13EEEEEEENS5_IJLi11ELi12ELi13EEEENSH_IlLl32768EEEEENSE_INSF_IJNSV_INSF_IJSI_SN_SN_NSH_IiLi32EEEEEELb0EEEEEENSF_IJS14_EEENSF_IJNS5_IJLi1ELi2ELi3ELi4EEEEEEES1U_NSH_IlLl256EEEEENSE_INSF_IJSP_SS_SU_SX_SY_SU_SZ_S12_SU_NS10_INSF_IJSI_SK_EEEEENSV_INSF_IJSI_NSH_IiLi2EEESK_EEELb0EEEEEENSF_IJS14_S15_S16_S17_S18_S19_S1A_S1B_S1C_NS5_IJLi11ELi13EEEES1J_EEENSF_IJS1E_S1F_S19_S1G_S1H_S1C_S1I_S1J_S1K_NS5_IJLi14EEEENS5_IJLi15ELi16ELi17EEEEEEENS5_IJLi15ELi16ELi17ELi14EEEES1N_EENSE_INSF_IJS1R_NS10_ISW_EES22_EEENSF_IJS14_NS5_IJLi1ELi3EEEENS5_IJLi2EEEEEEENSF_IJS1U_S17_NS5_IJLi6ELi7ELi8EEEEEEENS5_IJLi6ELi7ELi8ELi5EEEES1W_EELi16ELi32ELi256ELi256ELi128ELi16ELi16ELi8ELi8ELi32ELb0EE3RunILb1ELNS_10TailNumberE0ENSE_INSF_IJNSG_INSF_IJiiEEENSF_IJiSN_EEELb0EEENSV_IS2N_Lb0EEENST_IiEEEEENSF_IJS14_S2E_NS5_IJLi1EEEEEEENSF_IJNS5_IJLi1ELi2EEEENS5_IJLi3ELi4EEEES17_EEENS5_IJLi3ELi5ELi4EEEElEES1O_NS_35ThreadGroupTensorSliceTransfer_v4r1INS_15ThisThreadBlockILi256EEENS_16tensor_operation12element_wise11PassThroughES35_LNS_25InMemoryDataOperationEnumE0ENS5_IJLi8ELi256ELi16EEEENS5_IJLi8ELi32ELi1EEEENS5_IJLi1ELi0ELi2EEEESC_SC_RKS2Z_KS1O_S39_NS5_IJLi0ELi1ELi2EEEELi2ELi2ELi16ELi16ELi1ELi1ELb0ELb1ELi2EiEENS_13DynamicBufferILNS_16AddressSpaceEnumE1EKSC_lLb1ELNS_22AmdBufferCoherenceEnumE0EiEENSF_IJNS3F_ILS3G_2ESC_S1N_Lb1ELS3I_0EiEES3K_EEENSF_IJiiiEEENSE_INSF_IJNSG_INSF_IJiiiiEEENSF_IJiiiSN_EEELb0EEEEEES1T_S1V_S1U_lEENS_32ThreadwiseTensorSliceTransfer_v2ISD_SD_RKS3R_KS1X_NS5_IJLi8ELi1ELi1ELi32EEEENS5_IJLi1ELi2ELi0ELi3EEEELi3ELi32ELi0ELb1ELb0ELb0EEENS3F_ILS3G_1EKSD_lLb1ELS3I_0EiEENSF_IJNS_12StaticBufferILS3G_4ESD_Li256ELb1EEES42_EEES3N_NS_25StaticBufferTupleOfVectorILS3G_4EfLi64ELi4ELb1ELb0EEEEEvRKT1_RKT2_RT3_RKT4_RT5_RKT6_RKT7_RT8_RKT9_RT10_RKT11_RT12_iENKUlT_T0_E_clINSH_IiLi0EEESN_EEDaS51_S52_ENKUlS51_E_clIS20_EEDaS51_EUlS51_E_EEvS51_EUlS51_E_EEvS51_, .Lfunc_end4-_ZNK2ck6detail7applierIiJLi0ELi1ELi2ELi3ELi4ELi5ELi6ELi7EEEclIZNKS_11static_fordINS_8SequenceIJLi1ELi8EEEENS5_IJLi0ELi1EEEEEclIZZZNKS_52BlockwiseGemmXdlops_pipeline_bpreshuffle_bdequant_v3ILNS_26BlockGemmPipelineSchedulerE0ELi256ENS_9f8_fnuz_tENS_7pk_i4_tESC_fNS_16TensorDescriptorINS_5TupleIJNS_5EmbedINSF_IJNS_17integral_constantIiLi8EEENSH_IiLi256EEENSH_IiLi16EEEEEENSF_IJSK_NSH_IiLi128EEENSH_IiLi1EEEEEELb0EEENS_3XorINSF_IJSJ_SI_EEELb1EEENS_11PassThroughISK_EENS_7UnMergeINSF_IJSI_SN_EEELb0EEENST_ISJ_EESU_NST_ISI_EENS_21Merge_v3_division_modINSF_IJSJ_SN_EEEEESU_EEENSF_IJNS5_IJLi0EEEENS5_IJLi2ELi1EEEENS5_IJLi3EEEENS5_IJLi5EEEENS5_IJLi4EEEENS5_IJLi6EEEENS5_IJLi7EEEENS5_IJLi9ELi8EEEENS5_IJLi10EEEEEEENSF_IJNS5_IJLi1ELi2ELi3EEEENS5_IJLi4ELi5EEEES19_NS5_IJLi7ELi8EEEENS5_IJLi9EEEES1C_NS5_IJLi11EEEENS5_IJLi12EEEENS5_IJLi13EEEEEEENS5_IJLi11ELi12ELi13EEEENSH_IlLl32768EEEEENSE_INSF_IJNSV_INSF_IJSI_SN_SN_NSH_IiLi32EEEEEELb0EEEEEENSF_IJS14_EEENSF_IJNS5_IJLi1ELi2ELi3ELi4EEEEEEES1U_NSH_IlLl256EEEEENSE_INSF_IJSP_SS_SU_SX_SY_SU_SZ_S12_SU_NS10_INSF_IJSI_SK_EEEEENSV_INSF_IJSI_NSH_IiLi2EEESK_EEELb0EEEEEENSF_IJS14_S15_S16_S17_S18_S19_S1A_S1B_S1C_NS5_IJLi11ELi13EEEES1J_EEENSF_IJS1E_S1F_S19_S1G_S1H_S1C_S1I_S1J_S1K_NS5_IJLi14EEEENS5_IJLi15ELi16ELi17EEEEEEENS5_IJLi15ELi16ELi17ELi14EEEES1N_EENSE_INSF_IJS1R_NS10_ISW_EES22_EEENSF_IJS14_NS5_IJLi1ELi3EEEENS5_IJLi2EEEEEEENSF_IJS1U_S17_NS5_IJLi6ELi7ELi8EEEEEEENS5_IJLi6ELi7ELi8ELi5EEEES1W_EELi16ELi32ELi256ELi256ELi128ELi16ELi16ELi8ELi8ELi32ELb0EE3RunILb1ELNS_10TailNumberE0ENSE_INSF_IJNSG_INSF_IJiiEEENSF_IJiSN_EEELb0EEENSV_IS2N_Lb0EEENST_IiEEEEENSF_IJS14_S2E_NS5_IJLi1EEEEEEENSF_IJNS5_IJLi1ELi2EEEENS5_IJLi3ELi4EEEES17_EEENS5_IJLi3ELi5ELi4EEEElEES1O_NS_35ThreadGroupTensorSliceTransfer_v4r1INS_15ThisThreadBlockILi256EEENS_16tensor_operation12element_wise11PassThroughES35_LNS_25InMemoryDataOperationEnumE0ENS5_IJLi8ELi256ELi16EEEENS5_IJLi8ELi32ELi1EEEENS5_IJLi1ELi0ELi2EEEESC_SC_RKS2Z_KS1O_S39_NS5_IJLi0ELi1ELi2EEEELi2ELi2ELi16ELi16ELi1ELi1ELb0ELb1ELi2EiEENS_13DynamicBufferILNS_16AddressSpaceEnumE1EKSC_lLb1ELNS_22AmdBufferCoherenceEnumE0EiEENSF_IJNS3F_ILS3G_2ESC_S1N_Lb1ELS3I_0EiEES3K_EEENSF_IJiiiEEENSE_INSF_IJNSG_INSF_IJiiiiEEENSF_IJiiiSN_EEELb0EEEEEES1T_S1V_S1U_lEENS_32ThreadwiseTensorSliceTransfer_v2ISD_SD_RKS3R_KS1X_NS5_IJLi8ELi1ELi1ELi32EEEENS5_IJLi1ELi2ELi0ELi3EEEELi3ELi32ELi0ELb1ELb0ELb0EEENS3F_ILS3G_1EKSD_lLb1ELS3I_0EiEENSF_IJNS_12StaticBufferILS3G_4ESD_Li256ELb1EEES42_EEES3N_NS_25StaticBufferTupleOfVectorILS3G_4EfLi64ELi4ELb1ELb0EEEEEvRKT1_RKT2_RT3_RKT4_RT5_RKT6_RKT7_RT8_RKT9_RT10_RKT11_RT12_iENKUlT_T0_E_clINSH_IiLi0EEESN_EEDaS51_S52_ENKUlS51_E_clIS20_EEDaS51_EUlS51_E_EEvS51_EUlS51_E_EEvS51_
                                        ; -- End function
	.section	.AMDGPU.csdata,"",@progbits
; Function info:
; codeLenInByte = 133608
; NumSgprs: 36
; NumVgprs: 26
; NumAgprs: 4
; TotalNumVgprs: 32
; ScratchSize: 0
; MemoryBound: 1
	.text
	.p2align	2                               ; -- Begin function _ZNK2ck6detail7applierIiJLi0ELi1ELi2ELi3ELi4ELi5ELi6ELi7EEEclIZNKS_11static_fordINS_8SequenceIJLi1ELi8EEEENS5_IJLi0ELi1EEEEEclIZZZNKS_52BlockwiseGemmXdlops_pipeline_bpreshuffle_bdequant_v3ILNS_26BlockGemmPipelineSchedulerE0ELi256ENS_9f8_fnuz_tENS_7pk_i4_tESC_fNS_16TensorDescriptorINS_5TupleIJNS_5EmbedINSF_IJNS_17integral_constantIiLi8EEENSH_IiLi256EEENSH_IiLi16EEEEEENSF_IJSK_NSH_IiLi128EEENSH_IiLi1EEEEEELb0EEENS_3XorINSF_IJSJ_SI_EEELb1EEENS_11PassThroughISK_EENS_7UnMergeINSF_IJSI_SN_EEELb0EEENST_ISJ_EESU_NST_ISI_EENS_21Merge_v3_division_modINSF_IJSJ_SN_EEEEESU_EEENSF_IJNS5_IJLi0EEEENS5_IJLi2ELi1EEEENS5_IJLi3EEEENS5_IJLi5EEEENS5_IJLi4EEEENS5_IJLi6EEEENS5_IJLi7EEEENS5_IJLi9ELi8EEEENS5_IJLi10EEEEEEENSF_IJNS5_IJLi1ELi2ELi3EEEENS5_IJLi4ELi5EEEES19_NS5_IJLi7ELi8EEEENS5_IJLi9EEEES1C_NS5_IJLi11EEEENS5_IJLi12EEEENS5_IJLi13EEEEEEENS5_IJLi11ELi12ELi13EEEENSH_IlLl32768EEEEENSE_INSF_IJNSV_INSF_IJSI_SN_SN_NSH_IiLi32EEEEEELb0EEEEEENSF_IJS14_EEENSF_IJNS5_IJLi1ELi2ELi3ELi4EEEEEEES1U_NSH_IlLl256EEEEENSE_INSF_IJSP_SS_SU_SX_SY_SU_SZ_S12_SU_NS10_INSF_IJSI_SK_EEEEENSV_INSF_IJSI_NSH_IiLi2EEESK_EEELb0EEEEEENSF_IJS14_S15_S16_S17_S18_S19_S1A_S1B_S1C_NS5_IJLi11ELi13EEEES1J_EEENSF_IJS1E_S1F_S19_S1G_S1H_S1C_S1I_S1J_S1K_NS5_IJLi14EEEENS5_IJLi15ELi16ELi17EEEEEEENS5_IJLi15ELi16ELi17ELi14EEEES1N_EENSE_INSF_IJS1R_NS10_ISW_EES22_EEENSF_IJS14_NS5_IJLi1ELi3EEEENS5_IJLi2EEEEEEENSF_IJS1U_S17_NS5_IJLi6ELi7ELi8EEEEEEENS5_IJLi6ELi7ELi8ELi5EEEES1W_EELi16ELi32ELi256ELi256ELi128ELi16ELi16ELi8ELi8ELi32ELb0EE3RunILb1ELNS_10TailNumberE0ENSE_INSF_IJNSG_INSF_IJiiEEENSF_IJiSN_EEELb0EEENSV_IS2N_Lb0EEENST_IiEEEEENSF_IJS14_S2E_NS5_IJLi1EEEEEEENSF_IJNS5_IJLi1ELi2EEEENS5_IJLi3ELi4EEEES17_EEENS5_IJLi3ELi5ELi4EEEElEES1O_NS_35ThreadGroupTensorSliceTransfer_v4r1INS_15ThisThreadBlockILi256EEENS_16tensor_operation12element_wise11PassThroughES35_LNS_25InMemoryDataOperationEnumE0ENS5_IJLi8ELi256ELi16EEEENS5_IJLi8ELi32ELi1EEEENS5_IJLi1ELi0ELi2EEEESC_SC_RKS2Z_KS1O_S39_NS5_IJLi0ELi1ELi2EEEELi2ELi2ELi16ELi16ELi1ELi1ELb0ELb1ELi2EiEENS_13DynamicBufferILNS_16AddressSpaceEnumE1EKSC_lLb1ELNS_22AmdBufferCoherenceEnumE0EiEENSF_IJNS3F_ILS3G_2ESC_S1N_Lb1ELS3I_0EiEES3K_EEENSF_IJiiiEEENSE_INSF_IJNSG_INSF_IJiiiiEEENSF_IJiiiSN_EEELb0EEEEEES1T_S1V_S1U_lEENS_32ThreadwiseTensorSliceTransfer_v2ISD_SD_RKS3R_KS1X_NS5_IJLi8ELi1ELi1ELi32EEEENS5_IJLi1ELi2ELi0ELi3EEEELi3ELi32ELi0ELb1ELb0ELb0EEENS3F_ILS3G_1EKSD_lLb1ELS3I_0EiEENSF_IJNS_12StaticBufferILS3G_4ESD_Li256ELb1EEES42_EEES3N_NS_25StaticBufferTupleOfVectorILS3G_4EfLi64ELi4ELb1ELb0EEEEEvRKT1_RKT2_RT3_RKT4_RT5_RKT6_RKT7_RT8_RKT9_RT10_RKT11_RT12_iENKUlT_T0_E_clINSH_IiLi0EEESN_EEDaS51_S52_ENKUlS51_E_clINSH_IiLi3EEEEEDaS51_EUlS51_E_EEvS51_EUlS51_E_EEvS51_
	.type	_ZNK2ck6detail7applierIiJLi0ELi1ELi2ELi3ELi4ELi5ELi6ELi7EEEclIZNKS_11static_fordINS_8SequenceIJLi1ELi8EEEENS5_IJLi0ELi1EEEEEclIZZZNKS_52BlockwiseGemmXdlops_pipeline_bpreshuffle_bdequant_v3ILNS_26BlockGemmPipelineSchedulerE0ELi256ENS_9f8_fnuz_tENS_7pk_i4_tESC_fNS_16TensorDescriptorINS_5TupleIJNS_5EmbedINSF_IJNS_17integral_constantIiLi8EEENSH_IiLi256EEENSH_IiLi16EEEEEENSF_IJSK_NSH_IiLi128EEENSH_IiLi1EEEEEELb0EEENS_3XorINSF_IJSJ_SI_EEELb1EEENS_11PassThroughISK_EENS_7UnMergeINSF_IJSI_SN_EEELb0EEENST_ISJ_EESU_NST_ISI_EENS_21Merge_v3_division_modINSF_IJSJ_SN_EEEEESU_EEENSF_IJNS5_IJLi0EEEENS5_IJLi2ELi1EEEENS5_IJLi3EEEENS5_IJLi5EEEENS5_IJLi4EEEENS5_IJLi6EEEENS5_IJLi7EEEENS5_IJLi9ELi8EEEENS5_IJLi10EEEEEEENSF_IJNS5_IJLi1ELi2ELi3EEEENS5_IJLi4ELi5EEEES19_NS5_IJLi7ELi8EEEENS5_IJLi9EEEES1C_NS5_IJLi11EEEENS5_IJLi12EEEENS5_IJLi13EEEEEEENS5_IJLi11ELi12ELi13EEEENSH_IlLl32768EEEEENSE_INSF_IJNSV_INSF_IJSI_SN_SN_NSH_IiLi32EEEEEELb0EEEEEENSF_IJS14_EEENSF_IJNS5_IJLi1ELi2ELi3ELi4EEEEEEES1U_NSH_IlLl256EEEEENSE_INSF_IJSP_SS_SU_SX_SY_SU_SZ_S12_SU_NS10_INSF_IJSI_SK_EEEEENSV_INSF_IJSI_NSH_IiLi2EEESK_EEELb0EEEEEENSF_IJS14_S15_S16_S17_S18_S19_S1A_S1B_S1C_NS5_IJLi11ELi13EEEES1J_EEENSF_IJS1E_S1F_S19_S1G_S1H_S1C_S1I_S1J_S1K_NS5_IJLi14EEEENS5_IJLi15ELi16ELi17EEEEEEENS5_IJLi15ELi16ELi17ELi14EEEES1N_EENSE_INSF_IJS1R_NS10_ISW_EES22_EEENSF_IJS14_NS5_IJLi1ELi3EEEENS5_IJLi2EEEEEEENSF_IJS1U_S17_NS5_IJLi6ELi7ELi8EEEEEEENS5_IJLi6ELi7ELi8ELi5EEEES1W_EELi16ELi32ELi256ELi256ELi128ELi16ELi16ELi8ELi8ELi32ELb0EE3RunILb1ELNS_10TailNumberE0ENSE_INSF_IJNSG_INSF_IJiiEEENSF_IJiSN_EEELb0EEENSV_IS2N_Lb0EEENST_IiEEEEENSF_IJS14_S2E_NS5_IJLi1EEEEEEENSF_IJNS5_IJLi1ELi2EEEENS5_IJLi3ELi4EEEES17_EEENS5_IJLi3ELi5ELi4EEEElEES1O_NS_35ThreadGroupTensorSliceTransfer_v4r1INS_15ThisThreadBlockILi256EEENS_16tensor_operation12element_wise11PassThroughES35_LNS_25InMemoryDataOperationEnumE0ENS5_IJLi8ELi256ELi16EEEENS5_IJLi8ELi32ELi1EEEENS5_IJLi1ELi0ELi2EEEESC_SC_RKS2Z_KS1O_S39_NS5_IJLi0ELi1ELi2EEEELi2ELi2ELi16ELi16ELi1ELi1ELb0ELb1ELi2EiEENS_13DynamicBufferILNS_16AddressSpaceEnumE1EKSC_lLb1ELNS_22AmdBufferCoherenceEnumE0EiEENSF_IJNS3F_ILS3G_2ESC_S1N_Lb1ELS3I_0EiEES3K_EEENSF_IJiiiEEENSE_INSF_IJNSG_INSF_IJiiiiEEENSF_IJiiiSN_EEELb0EEEEEES1T_S1V_S1U_lEENS_32ThreadwiseTensorSliceTransfer_v2ISD_SD_RKS3R_KS1X_NS5_IJLi8ELi1ELi1ELi32EEEENS5_IJLi1ELi2ELi0ELi3EEEELi3ELi32ELi0ELb1ELb0ELb0EEENS3F_ILS3G_1EKSD_lLb1ELS3I_0EiEENSF_IJNS_12StaticBufferILS3G_4ESD_Li256ELb1EEES42_EEES3N_NS_25StaticBufferTupleOfVectorILS3G_4EfLi64ELi4ELb1ELb0EEEEEvRKT1_RKT2_RT3_RKT4_RT5_RKT6_RKT7_RT8_RKT9_RT10_RKT11_RT12_iENKUlT_T0_E_clINSH_IiLi0EEESN_EEDaS51_S52_ENKUlS51_E_clINSH_IiLi3EEEEEDaS51_EUlS51_E_EEvS51_EUlS51_E_EEvS51_,@function
_ZNK2ck6detail7applierIiJLi0ELi1ELi2ELi3ELi4ELi5ELi6ELi7EEEclIZNKS_11static_fordINS_8SequenceIJLi1ELi8EEEENS5_IJLi0ELi1EEEEEclIZZZNKS_52BlockwiseGemmXdlops_pipeline_bpreshuffle_bdequant_v3ILNS_26BlockGemmPipelineSchedulerE0ELi256ENS_9f8_fnuz_tENS_7pk_i4_tESC_fNS_16TensorDescriptorINS_5TupleIJNS_5EmbedINSF_IJNS_17integral_constantIiLi8EEENSH_IiLi256EEENSH_IiLi16EEEEEENSF_IJSK_NSH_IiLi128EEENSH_IiLi1EEEEEELb0EEENS_3XorINSF_IJSJ_SI_EEELb1EEENS_11PassThroughISK_EENS_7UnMergeINSF_IJSI_SN_EEELb0EEENST_ISJ_EESU_NST_ISI_EENS_21Merge_v3_division_modINSF_IJSJ_SN_EEEEESU_EEENSF_IJNS5_IJLi0EEEENS5_IJLi2ELi1EEEENS5_IJLi3EEEENS5_IJLi5EEEENS5_IJLi4EEEENS5_IJLi6EEEENS5_IJLi7EEEENS5_IJLi9ELi8EEEENS5_IJLi10EEEEEEENSF_IJNS5_IJLi1ELi2ELi3EEEENS5_IJLi4ELi5EEEES19_NS5_IJLi7ELi8EEEENS5_IJLi9EEEES1C_NS5_IJLi11EEEENS5_IJLi12EEEENS5_IJLi13EEEEEEENS5_IJLi11ELi12ELi13EEEENSH_IlLl32768EEEEENSE_INSF_IJNSV_INSF_IJSI_SN_SN_NSH_IiLi32EEEEEELb0EEEEEENSF_IJS14_EEENSF_IJNS5_IJLi1ELi2ELi3ELi4EEEEEEES1U_NSH_IlLl256EEEEENSE_INSF_IJSP_SS_SU_SX_SY_SU_SZ_S12_SU_NS10_INSF_IJSI_SK_EEEEENSV_INSF_IJSI_NSH_IiLi2EEESK_EEELb0EEEEEENSF_IJS14_S15_S16_S17_S18_S19_S1A_S1B_S1C_NS5_IJLi11ELi13EEEES1J_EEENSF_IJS1E_S1F_S19_S1G_S1H_S1C_S1I_S1J_S1K_NS5_IJLi14EEEENS5_IJLi15ELi16ELi17EEEEEEENS5_IJLi15ELi16ELi17ELi14EEEES1N_EENSE_INSF_IJS1R_NS10_ISW_EES22_EEENSF_IJS14_NS5_IJLi1ELi3EEEENS5_IJLi2EEEEEEENSF_IJS1U_S17_NS5_IJLi6ELi7ELi8EEEEEEENS5_IJLi6ELi7ELi8ELi5EEEES1W_EELi16ELi32ELi256ELi256ELi128ELi16ELi16ELi8ELi8ELi32ELb0EE3RunILb1ELNS_10TailNumberE0ENSE_INSF_IJNSG_INSF_IJiiEEENSF_IJiSN_EEELb0EEENSV_IS2N_Lb0EEENST_IiEEEEENSF_IJS14_S2E_NS5_IJLi1EEEEEEENSF_IJNS5_IJLi1ELi2EEEENS5_IJLi3ELi4EEEES17_EEENS5_IJLi3ELi5ELi4EEEElEES1O_NS_35ThreadGroupTensorSliceTransfer_v4r1INS_15ThisThreadBlockILi256EEENS_16tensor_operation12element_wise11PassThroughES35_LNS_25InMemoryDataOperationEnumE0ENS5_IJLi8ELi256ELi16EEEENS5_IJLi8ELi32ELi1EEEENS5_IJLi1ELi0ELi2EEEESC_SC_RKS2Z_KS1O_S39_NS5_IJLi0ELi1ELi2EEEELi2ELi2ELi16ELi16ELi1ELi1ELb0ELb1ELi2EiEENS_13DynamicBufferILNS_16AddressSpaceEnumE1EKSC_lLb1ELNS_22AmdBufferCoherenceEnumE0EiEENSF_IJNS3F_ILS3G_2ESC_S1N_Lb1ELS3I_0EiEES3K_EEENSF_IJiiiEEENSE_INSF_IJNSG_INSF_IJiiiiEEENSF_IJiiiSN_EEELb0EEEEEES1T_S1V_S1U_lEENS_32ThreadwiseTensorSliceTransfer_v2ISD_SD_RKS3R_KS1X_NS5_IJLi8ELi1ELi1ELi32EEEENS5_IJLi1ELi2ELi0ELi3EEEELi3ELi32ELi0ELb1ELb0ELb0EEENS3F_ILS3G_1EKSD_lLb1ELS3I_0EiEENSF_IJNS_12StaticBufferILS3G_4ESD_Li256ELb1EEES42_EEES3N_NS_25StaticBufferTupleOfVectorILS3G_4EfLi64ELi4ELb1ELb0EEEEEvRKT1_RKT2_RT3_RKT4_RT5_RKT6_RKT7_RT8_RKT9_RT10_RKT11_RT12_iENKUlT_T0_E_clINSH_IiLi0EEESN_EEDaS51_S52_ENKUlS51_E_clINSH_IiLi3EEEEEDaS51_EUlS51_E_EEvS51_EUlS51_E_EEvS51_: ; @_ZNK2ck6detail7applierIiJLi0ELi1ELi2ELi3ELi4ELi5ELi6ELi7EEEclIZNKS_11static_fordINS_8SequenceIJLi1ELi8EEEENS5_IJLi0ELi1EEEEEclIZZZNKS_52BlockwiseGemmXdlops_pipeline_bpreshuffle_bdequant_v3ILNS_26BlockGemmPipelineSchedulerE0ELi256ENS_9f8_fnuz_tENS_7pk_i4_tESC_fNS_16TensorDescriptorINS_5TupleIJNS_5EmbedINSF_IJNS_17integral_constantIiLi8EEENSH_IiLi256EEENSH_IiLi16EEEEEENSF_IJSK_NSH_IiLi128EEENSH_IiLi1EEEEEELb0EEENS_3XorINSF_IJSJ_SI_EEELb1EEENS_11PassThroughISK_EENS_7UnMergeINSF_IJSI_SN_EEELb0EEENST_ISJ_EESU_NST_ISI_EENS_21Merge_v3_division_modINSF_IJSJ_SN_EEEEESU_EEENSF_IJNS5_IJLi0EEEENS5_IJLi2ELi1EEEENS5_IJLi3EEEENS5_IJLi5EEEENS5_IJLi4EEEENS5_IJLi6EEEENS5_IJLi7EEEENS5_IJLi9ELi8EEEENS5_IJLi10EEEEEEENSF_IJNS5_IJLi1ELi2ELi3EEEENS5_IJLi4ELi5EEEES19_NS5_IJLi7ELi8EEEENS5_IJLi9EEEES1C_NS5_IJLi11EEEENS5_IJLi12EEEENS5_IJLi13EEEEEEENS5_IJLi11ELi12ELi13EEEENSH_IlLl32768EEEEENSE_INSF_IJNSV_INSF_IJSI_SN_SN_NSH_IiLi32EEEEEELb0EEEEEENSF_IJS14_EEENSF_IJNS5_IJLi1ELi2ELi3ELi4EEEEEEES1U_NSH_IlLl256EEEEENSE_INSF_IJSP_SS_SU_SX_SY_SU_SZ_S12_SU_NS10_INSF_IJSI_SK_EEEEENSV_INSF_IJSI_NSH_IiLi2EEESK_EEELb0EEEEEENSF_IJS14_S15_S16_S17_S18_S19_S1A_S1B_S1C_NS5_IJLi11ELi13EEEES1J_EEENSF_IJS1E_S1F_S19_S1G_S1H_S1C_S1I_S1J_S1K_NS5_IJLi14EEEENS5_IJLi15ELi16ELi17EEEEEEENS5_IJLi15ELi16ELi17ELi14EEEES1N_EENSE_INSF_IJS1R_NS10_ISW_EES22_EEENSF_IJS14_NS5_IJLi1ELi3EEEENS5_IJLi2EEEEEEENSF_IJS1U_S17_NS5_IJLi6ELi7ELi8EEEEEEENS5_IJLi6ELi7ELi8ELi5EEEES1W_EELi16ELi32ELi256ELi256ELi128ELi16ELi16ELi8ELi8ELi32ELb0EE3RunILb1ELNS_10TailNumberE0ENSE_INSF_IJNSG_INSF_IJiiEEENSF_IJiSN_EEELb0EEENSV_IS2N_Lb0EEENST_IiEEEEENSF_IJS14_S2E_NS5_IJLi1EEEEEEENSF_IJNS5_IJLi1ELi2EEEENS5_IJLi3ELi4EEEES17_EEENS5_IJLi3ELi5ELi4EEEElEES1O_NS_35ThreadGroupTensorSliceTransfer_v4r1INS_15ThisThreadBlockILi256EEENS_16tensor_operation12element_wise11PassThroughES35_LNS_25InMemoryDataOperationEnumE0ENS5_IJLi8ELi256ELi16EEEENS5_IJLi8ELi32ELi1EEEENS5_IJLi1ELi0ELi2EEEESC_SC_RKS2Z_KS1O_S39_NS5_IJLi0ELi1ELi2EEEELi2ELi2ELi16ELi16ELi1ELi1ELb0ELb1ELi2EiEENS_13DynamicBufferILNS_16AddressSpaceEnumE1EKSC_lLb1ELNS_22AmdBufferCoherenceEnumE0EiEENSF_IJNS3F_ILS3G_2ESC_S1N_Lb1ELS3I_0EiEES3K_EEENSF_IJiiiEEENSE_INSF_IJNSG_INSF_IJiiiiEEENSF_IJiiiSN_EEELb0EEEEEES1T_S1V_S1U_lEENS_32ThreadwiseTensorSliceTransfer_v2ISD_SD_RKS3R_KS1X_NS5_IJLi8ELi1ELi1ELi32EEEENS5_IJLi1ELi2ELi0ELi3EEEELi3ELi32ELi0ELb1ELb0ELb0EEENS3F_ILS3G_1EKSD_lLb1ELS3I_0EiEENSF_IJNS_12StaticBufferILS3G_4ESD_Li256ELb1EEES42_EEES3N_NS_25StaticBufferTupleOfVectorILS3G_4EfLi64ELi4ELb1ELb0EEEEEvRKT1_RKT2_RT3_RKT4_RT5_RKT6_RKT7_RT8_RKT9_RT10_RKT11_RT12_iENKUlT_T0_E_clINSH_IiLi0EEESN_EEDaS51_S52_ENKUlS51_E_clINSH_IiLi3EEEEEDaS51_EUlS51_E_EEvS51_EUlS51_E_EEvS51_
; %bb.0:
	s_waitcnt vmcnt(0) expcnt(0) lgkmcnt(0)
	flat_load_dwordx4 v[20:23], v[0:1] offset:16
	flat_load_dwordx2 v[18:19], v[0:1] offset:32
	s_movk_i32 s4, 0x7f
                                        ; implicit-def: $sgpr10
	s_waitcnt vmcnt(0) lgkmcnt(0)
	flat_load_dwordx4 v[14:17], v[20:21] offset:32
	flat_load_dwordx4 v[6:9], v[20:21] offset:48
	flat_load_dwordx4 v[10:13], v[22:23]
	flat_load_dwordx4 v[2:5], v[22:23] offset:16
	s_waitcnt vmcnt(0) lgkmcnt(0)
	v_cmp_gt_i16_sdwa s[6:7], v14, s4 src0_sel:BYTE_0 src1_sel:DWORD
	s_mov_b64 s[4:5], 0
	s_and_saveexec_b64 s[8:9], s[6:7]
	s_xor_b64 s[6:7], exec, s[8:9]
	s_cbranch_execnz .LBB5_2049
; %bb.1:
	s_or_saveexec_b64 s[6:7], s[6:7]
	v_mov_b32_e32 v20, s10
	s_xor_b64 exec, exec, s[6:7]
	s_cbranch_execnz .LBB5_2052
.LBB5_2:
	s_or_b64 exec, exec, s[6:7]
	s_and_saveexec_b64 s[6:7], s[4:5]
	s_cbranch_execz .LBB5_4
.LBB5_3:
	v_and_b32_e32 v20, 7, v14
	v_ffbh_u32_e32 v22, v20
	v_min_u32_e32 v22, 32, v22
	v_lshrrev_b16_e32 v21, 3, v14
	v_subrev_u32_e32 v23, 28, v22
	v_and_b32_e32 v21, 15, v21
	v_lshlrev_b32_e32 v23, v23, v14
	v_sub_u32_e32 v22, 29, v22
	v_and_b32_e32 v23, 7, v23
	v_cmp_eq_u16_e32 vcc, 0, v21
	v_cndmask_b32_e32 v20, v20, v23, vcc
	v_cndmask_b32_e32 v21, v21, v22, vcc
	v_lshlrev_b32_e32 v22, 24, v14
	v_mov_b32_e32 v23, 0x3b800000
	v_lshlrev_b32_e32 v20, 20, v20
	v_and_b32_e32 v22, 0x80000000, v22
	v_lshl_add_u32 v21, v21, 23, v23
	v_or3_b32 v20, v22, v21, v20
.LBB5_4:
	s_or_b64 exec, exec, s[6:7]
	s_movk_i32 s4, 0x7f
	v_cmp_gt_i16_sdwa s[6:7], v10, s4 src0_sel:BYTE_0 src1_sel:DWORD
	s_mov_b64 s[4:5], 0
                                        ; implicit-def: $sgpr10
	s_and_saveexec_b64 s[8:9], s[6:7]
	s_xor_b64 s[6:7], exec, s[8:9]
	s_cbranch_execnz .LBB5_2053
; %bb.5:
	s_or_saveexec_b64 s[6:7], s[6:7]
	v_mov_b32_e32 v21, s10
	s_xor_b64 exec, exec, s[6:7]
	s_cbranch_execnz .LBB5_2056
.LBB5_6:
	s_or_b64 exec, exec, s[6:7]
	s_and_saveexec_b64 s[6:7], s[4:5]
	s_cbranch_execz .LBB5_8
.LBB5_7:
	v_and_b32_e32 v21, 7, v10
	v_ffbh_u32_e32 v23, v21
	v_min_u32_e32 v23, 32, v23
	v_lshrrev_b16_e32 v22, 3, v10
	v_subrev_u32_e32 v24, 28, v23
	v_and_b32_e32 v22, 15, v22
	v_lshlrev_b32_e32 v24, v24, v10
	v_sub_u32_e32 v23, 29, v23
	v_and_b32_e32 v24, 7, v24
	v_cmp_eq_u16_e32 vcc, 0, v22
	v_cndmask_b32_e32 v21, v21, v24, vcc
	v_cndmask_b32_e32 v22, v22, v23, vcc
	v_lshlrev_b32_e32 v23, 24, v10
	v_mov_b32_e32 v24, 0x3b800000
	v_lshlrev_b32_e32 v21, 20, v21
	v_and_b32_e32 v23, 0x80000000, v23
	v_lshl_add_u32 v22, v22, 23, v24
	v_or3_b32 v21, v23, v22, v21
.LBB5_8:
	s_or_b64 exec, exec, s[6:7]
	flat_load_dwordx4 a[0:3], v[18:19] offset:384
	s_movk_i32 s4, 0x7f
                                        ; implicit-def: $sgpr10
	s_waitcnt vmcnt(0) lgkmcnt(0)
	v_mfma_f32_16x16x4f32 a[0:3], v20, v21, a[0:3]
	v_lshrrev_b32_e32 v21, 8, v14
	v_cmp_gt_i16_sdwa s[6:7], v21, s4 src0_sel:BYTE_0 src1_sel:DWORD
	s_mov_b64 s[4:5], 0
	s_and_saveexec_b64 s[8:9], s[6:7]
	s_xor_b64 s[6:7], exec, s[8:9]
	s_cbranch_execnz .LBB5_2057
; %bb.9:
	s_or_saveexec_b64 s[6:7], s[6:7]
	v_mov_b32_e32 v20, s10
	s_xor_b64 exec, exec, s[6:7]
	s_cbranch_execnz .LBB5_2060
.LBB5_10:
	s_or_b64 exec, exec, s[6:7]
	s_and_saveexec_b64 s[6:7], s[4:5]
	s_cbranch_execz .LBB5_12
.LBB5_11:
	v_bfe_u32 v20, v14, 8, 3
	v_ffbh_u32_e32 v23, v20
	v_min_u32_e32 v23, 32, v23
	v_lshrrev_b16_e32 v22, 3, v21
	v_subrev_u32_e32 v24, 28, v23
	v_and_b32_e32 v22, 15, v22
	v_lshlrev_b32_e32 v21, v24, v21
	v_sub_u32_e32 v23, 29, v23
	v_and_b32_e32 v21, 7, v21
	v_cmp_eq_u16_e32 vcc, 0, v22
	v_cndmask_b32_e32 v20, v20, v21, vcc
	v_cndmask_b32_e32 v21, v22, v23, vcc
	v_lshlrev_b32_e32 v22, 16, v14
	v_mov_b32_e32 v23, 0x3b800000
	v_lshlrev_b32_e32 v20, 20, v20
	v_and_b32_e32 v22, 0x80000000, v22
	v_lshl_add_u32 v21, v21, 23, v23
	v_or3_b32 v20, v22, v21, v20
.LBB5_12:
	s_or_b64 exec, exec, s[6:7]
	v_lshrrev_b32_e32 v21, 8, v10
	s_movk_i32 s4, 0x7f
	v_cmp_gt_i16_sdwa s[6:7], v21, s4 src0_sel:BYTE_0 src1_sel:DWORD
	s_mov_b64 s[4:5], 0
                                        ; implicit-def: $sgpr10
	s_and_saveexec_b64 s[8:9], s[6:7]
	s_xor_b64 s[6:7], exec, s[8:9]
	s_cbranch_execnz .LBB5_2061
; %bb.13:
	s_or_saveexec_b64 s[6:7], s[6:7]
	v_mov_b32_e32 v22, s10
	s_xor_b64 exec, exec, s[6:7]
	s_cbranch_execnz .LBB5_2064
.LBB5_14:
	s_or_b64 exec, exec, s[6:7]
	s_and_saveexec_b64 s[6:7], s[4:5]
	s_cbranch_execz .LBB5_16
.LBB5_15:
	v_bfe_u32 v22, v10, 8, 3
	v_ffbh_u32_e32 v24, v22
	v_min_u32_e32 v24, 32, v24
	v_lshrrev_b16_e32 v23, 3, v21
	v_subrev_u32_e32 v25, 28, v24
	v_and_b32_e32 v23, 15, v23
	v_lshlrev_b32_e32 v21, v25, v21
	v_sub_u32_e32 v24, 29, v24
	v_and_b32_e32 v21, 7, v21
	v_cmp_eq_u16_e32 vcc, 0, v23
	v_cndmask_b32_e32 v21, v22, v21, vcc
	v_cndmask_b32_e32 v22, v23, v24, vcc
	v_lshlrev_b32_e32 v23, 16, v10
	v_mov_b32_e32 v24, 0x3b800000
	v_lshlrev_b32_e32 v21, 20, v21
	v_and_b32_e32 v23, 0x80000000, v23
	v_lshl_add_u32 v22, v22, 23, v24
	v_or3_b32 v22, v23, v22, v21
.LBB5_16:
	s_or_b64 exec, exec, s[6:7]
	s_nop 0
	v_mfma_f32_16x16x4f32 a[0:3], v20, v22, a[0:3]
	s_movk_i32 s4, 0xff
	v_and_b32_sdwa v21, v14, s4 dst_sel:DWORD dst_unused:UNUSED_PAD src0_sel:WORD_1 src1_sel:DWORD
	s_movk_i32 s4, 0x7f
	v_cmp_lt_i16_e32 vcc, s4, v21
	s_mov_b64 s[4:5], 0
                                        ; implicit-def: $sgpr10
	s_and_saveexec_b64 s[6:7], vcc
	s_xor_b64 s[6:7], exec, s[6:7]
	s_cbranch_execnz .LBB5_2065
; %bb.17:
	s_or_saveexec_b64 s[6:7], s[6:7]
	v_mov_b32_e32 v20, s10
	s_xor_b64 exec, exec, s[6:7]
	s_cbranch_execnz .LBB5_2068
.LBB5_18:
	s_or_b64 exec, exec, s[6:7]
	s_and_saveexec_b64 s[6:7], s[4:5]
	s_cbranch_execz .LBB5_20
.LBB5_19:
	v_bfe_u32 v20, v14, 16, 3
	v_ffbh_u32_e32 v23, v20
	v_min_u32_e32 v23, 32, v23
	v_lshrrev_b32_e32 v21, 19, v14
	v_subrev_u32_e32 v24, 28, v23
	v_and_b32_e32 v21, 15, v21
	v_lshlrev_b32_sdwa v24, v24, v14 dst_sel:DWORD dst_unused:UNUSED_PAD src0_sel:DWORD src1_sel:WORD_1
	v_bfe_u32 v22, v14, 19, 4
	v_sub_u32_e32 v23, 29, v23
	v_and_b32_e32 v24, 7, v24
	v_cmp_eq_u16_e32 vcc, 0, v21
	v_cndmask_b32_e32 v20, v20, v24, vcc
	v_cndmask_b32_e32 v21, v22, v23, vcc
	v_lshlrev_b32_e32 v22, 8, v14
	v_mov_b32_e32 v23, 0x3b800000
	v_lshlrev_b32_e32 v20, 20, v20
	v_and_b32_e32 v22, 0x80000000, v22
	v_lshl_add_u32 v21, v21, 23, v23
	v_or3_b32 v20, v22, v21, v20
.LBB5_20:
	s_or_b64 exec, exec, s[6:7]
	s_movk_i32 s4, 0xff
	v_and_b32_sdwa v21, v10, s4 dst_sel:DWORD dst_unused:UNUSED_PAD src0_sel:WORD_1 src1_sel:DWORD
	s_movk_i32 s4, 0x7f
	v_cmp_lt_i16_e32 vcc, s4, v21
	s_mov_b64 s[4:5], 0
                                        ; implicit-def: $sgpr10
	s_and_saveexec_b64 s[6:7], vcc
	s_xor_b64 s[6:7], exec, s[6:7]
	s_cbranch_execnz .LBB5_2069
; %bb.21:
	s_or_saveexec_b64 s[6:7], s[6:7]
	v_mov_b32_e32 v22, s10
	s_xor_b64 exec, exec, s[6:7]
	s_cbranch_execnz .LBB5_2072
.LBB5_22:
	s_or_b64 exec, exec, s[6:7]
	s_and_saveexec_b64 s[6:7], s[4:5]
	s_cbranch_execz .LBB5_24
.LBB5_23:
	v_bfe_u32 v21, v10, 16, 3
	v_ffbh_u32_e32 v24, v21
	v_min_u32_e32 v24, 32, v24
	v_lshrrev_b32_e32 v22, 19, v10
	v_subrev_u32_e32 v25, 28, v24
	v_and_b32_e32 v22, 15, v22
	v_lshlrev_b32_sdwa v25, v25, v10 dst_sel:DWORD dst_unused:UNUSED_PAD src0_sel:DWORD src1_sel:WORD_1
	v_bfe_u32 v23, v10, 19, 4
	v_sub_u32_e32 v24, 29, v24
	v_and_b32_e32 v25, 7, v25
	v_cmp_eq_u16_e32 vcc, 0, v22
	v_cndmask_b32_e32 v21, v21, v25, vcc
	v_cndmask_b32_e32 v22, v23, v24, vcc
	v_lshlrev_b32_e32 v23, 8, v10
	v_mov_b32_e32 v24, 0x3b800000
	v_lshlrev_b32_e32 v21, 20, v21
	v_and_b32_e32 v23, 0x80000000, v23
	v_lshl_add_u32 v22, v22, 23, v24
	v_or3_b32 v22, v23, v22, v21
.LBB5_24:
	s_or_b64 exec, exec, s[6:7]
	s_nop 0
	v_mfma_f32_16x16x4f32 a[0:3], v20, v22, a[0:3]
	s_movk_i32 s4, 0x7f
	v_cmp_gt_i16_sdwa s[6:7], v14, s4 src0_sel:BYTE_3 src1_sel:DWORD
	s_mov_b64 s[4:5], 0
                                        ; implicit-def: $sgpr10
	s_and_saveexec_b64 s[8:9], s[6:7]
	s_xor_b64 s[6:7], exec, s[8:9]
	s_cbranch_execnz .LBB5_2073
; %bb.25:
	s_or_saveexec_b64 s[6:7], s[6:7]
	v_mov_b32_e32 v20, s10
	s_xor_b64 exec, exec, s[6:7]
	s_cbranch_execnz .LBB5_2076
.LBB5_26:
	s_or_b64 exec, exec, s[6:7]
	s_and_saveexec_b64 s[6:7], s[4:5]
	s_cbranch_execz .LBB5_28
.LBB5_27:
	v_bfe_u32 v20, v14, 24, 3
	v_ffbh_u32_e32 v24, v20
	v_min_u32_e32 v24, 32, v24
	v_lshrrev_b32_e32 v22, 27, v14
	v_subrev_u32_e32 v25, 28, v24
	v_and_b32_e32 v21, 0x80000000, v14
	v_and_b32_e32 v22, 15, v22
	v_bfe_u32 v23, v14, 27, 4
	v_lshlrev_b32_sdwa v14, v25, v14 dst_sel:DWORD dst_unused:UNUSED_PAD src0_sel:DWORD src1_sel:BYTE_3
	v_sub_u32_e32 v24, 29, v24
	v_and_b32_e32 v14, 7, v14
	v_cmp_eq_u16_e32 vcc, 0, v22
	v_cndmask_b32_e32 v14, v20, v14, vcc
	v_cndmask_b32_e32 v20, v23, v24, vcc
	v_mov_b32_e32 v22, 0x3b800000
	v_lshlrev_b32_e32 v14, 20, v14
	v_lshl_add_u32 v20, v20, 23, v22
	v_or3_b32 v20, v21, v20, v14
.LBB5_28:
	s_or_b64 exec, exec, s[6:7]
	s_movk_i32 s4, 0x7f
	v_cmp_gt_i16_sdwa s[6:7], v10, s4 src0_sel:BYTE_3 src1_sel:DWORD
	s_mov_b64 s[4:5], 0
                                        ; implicit-def: $sgpr10
	s_and_saveexec_b64 s[8:9], s[6:7]
	s_xor_b64 s[6:7], exec, s[8:9]
	s_cbranch_execnz .LBB5_2077
; %bb.29:
	s_or_saveexec_b64 s[6:7], s[6:7]
	v_mov_b32_e32 v14, s10
	s_xor_b64 exec, exec, s[6:7]
	s_cbranch_execnz .LBB5_2080
.LBB5_30:
	s_or_b64 exec, exec, s[6:7]
	s_and_saveexec_b64 s[6:7], s[4:5]
	s_cbranch_execz .LBB5_32
.LBB5_31:
	v_bfe_u32 v14, v10, 24, 3
	v_ffbh_u32_e32 v24, v14
	v_min_u32_e32 v24, 32, v24
	v_lshrrev_b32_e32 v22, 27, v10
	v_subrev_u32_e32 v25, 28, v24
	v_and_b32_e32 v21, 0x80000000, v10
	v_and_b32_e32 v22, 15, v22
	v_bfe_u32 v23, v10, 27, 4
	v_lshlrev_b32_sdwa v10, v25, v10 dst_sel:DWORD dst_unused:UNUSED_PAD src0_sel:DWORD src1_sel:BYTE_3
	v_sub_u32_e32 v24, 29, v24
	v_and_b32_e32 v10, 7, v10
	v_cmp_eq_u16_e32 vcc, 0, v22
	v_cndmask_b32_e32 v10, v14, v10, vcc
	v_cndmask_b32_e32 v14, v23, v24, vcc
	v_mov_b32_e32 v22, 0x3b800000
	v_lshlrev_b32_e32 v10, 20, v10
	v_lshl_add_u32 v14, v14, 23, v22
	v_or3_b32 v14, v21, v14, v10
.LBB5_32:
	s_or_b64 exec, exec, s[6:7]
	s_nop 0
	v_mfma_f32_16x16x4f32 a[0:3], v20, v14, a[0:3]
	s_movk_i32 s4, 0x7f
	v_cmp_gt_i16_sdwa s[6:7], v15, s4 src0_sel:BYTE_0 src1_sel:DWORD
	s_mov_b64 s[4:5], 0
                                        ; implicit-def: $sgpr10
	s_and_saveexec_b64 s[8:9], s[6:7]
	s_xor_b64 s[6:7], exec, s[8:9]
	s_cbranch_execnz .LBB5_2081
; %bb.33:
	s_or_saveexec_b64 s[6:7], s[6:7]
	v_mov_b32_e32 v10, s10
	s_xor_b64 exec, exec, s[6:7]
	s_cbranch_execnz .LBB5_2084
.LBB5_34:
	s_or_b64 exec, exec, s[6:7]
	s_and_saveexec_b64 s[6:7], s[4:5]
	s_cbranch_execz .LBB5_36
.LBB5_35:
	v_and_b32_e32 v10, 7, v15
	v_ffbh_u32_e32 v20, v10
	v_min_u32_e32 v20, 32, v20
	v_lshrrev_b16_e32 v14, 3, v15
	v_subrev_u32_e32 v21, 28, v20
	v_and_b32_e32 v14, 15, v14
	v_lshlrev_b32_e32 v21, v21, v15
	v_sub_u32_e32 v20, 29, v20
	v_and_b32_e32 v21, 7, v21
	v_cmp_eq_u16_e32 vcc, 0, v14
	v_cndmask_b32_e32 v10, v10, v21, vcc
	v_cndmask_b32_e32 v14, v14, v20, vcc
	v_lshlrev_b32_e32 v20, 24, v15
	v_mov_b32_e32 v21, 0x3b800000
	v_lshlrev_b32_e32 v10, 20, v10
	v_and_b32_e32 v20, 0x80000000, v20
	v_lshl_add_u32 v14, v14, 23, v21
	v_or3_b32 v10, v20, v14, v10
.LBB5_36:
	s_or_b64 exec, exec, s[6:7]
	s_movk_i32 s4, 0x7f
	v_cmp_gt_i16_sdwa s[6:7], v11, s4 src0_sel:BYTE_0 src1_sel:DWORD
	s_mov_b64 s[4:5], 0
                                        ; implicit-def: $sgpr10
	s_and_saveexec_b64 s[8:9], s[6:7]
	s_xor_b64 s[6:7], exec, s[8:9]
	s_cbranch_execnz .LBB5_2085
; %bb.37:
	s_or_saveexec_b64 s[6:7], s[6:7]
	v_mov_b32_e32 v14, s10
	s_xor_b64 exec, exec, s[6:7]
	s_cbranch_execnz .LBB5_2088
.LBB5_38:
	s_or_b64 exec, exec, s[6:7]
	s_and_saveexec_b64 s[6:7], s[4:5]
	s_cbranch_execz .LBB5_40
.LBB5_39:
	v_and_b32_e32 v14, 7, v11
	v_ffbh_u32_e32 v21, v14
	v_min_u32_e32 v21, 32, v21
	v_lshrrev_b16_e32 v20, 3, v11
	v_subrev_u32_e32 v22, 28, v21
	v_and_b32_e32 v20, 15, v20
	v_lshlrev_b32_e32 v22, v22, v11
	v_sub_u32_e32 v21, 29, v21
	v_and_b32_e32 v22, 7, v22
	v_cmp_eq_u16_e32 vcc, 0, v20
	v_cndmask_b32_e32 v14, v14, v22, vcc
	v_cndmask_b32_e32 v20, v20, v21, vcc
	v_lshlrev_b32_e32 v21, 24, v11
	v_mov_b32_e32 v22, 0x3b800000
	v_lshlrev_b32_e32 v14, 20, v14
	v_and_b32_e32 v21, 0x80000000, v21
	v_lshl_add_u32 v20, v20, 23, v22
	v_or3_b32 v14, v21, v20, v14
.LBB5_40:
	s_or_b64 exec, exec, s[6:7]
	s_nop 0
	v_mfma_f32_16x16x4f32 a[0:3], v10, v14, a[0:3]
	v_lshrrev_b32_e32 v14, 8, v15
	s_movk_i32 s4, 0x7f
	v_cmp_gt_i16_sdwa s[6:7], v14, s4 src0_sel:BYTE_0 src1_sel:DWORD
	s_mov_b64 s[4:5], 0
                                        ; implicit-def: $sgpr10
	s_and_saveexec_b64 s[8:9], s[6:7]
	s_xor_b64 s[6:7], exec, s[8:9]
	s_cbranch_execnz .LBB5_2089
; %bb.41:
	s_or_saveexec_b64 s[6:7], s[6:7]
	v_mov_b32_e32 v10, s10
	s_xor_b64 exec, exec, s[6:7]
	s_cbranch_execnz .LBB5_2092
.LBB5_42:
	s_or_b64 exec, exec, s[6:7]
	s_and_saveexec_b64 s[6:7], s[4:5]
	s_cbranch_execz .LBB5_44
.LBB5_43:
	v_bfe_u32 v10, v15, 8, 3
	v_ffbh_u32_e32 v21, v10
	v_min_u32_e32 v21, 32, v21
	v_lshrrev_b16_e32 v20, 3, v14
	v_subrev_u32_e32 v22, 28, v21
	v_and_b32_e32 v20, 15, v20
	v_lshlrev_b32_e32 v14, v22, v14
	v_sub_u32_e32 v21, 29, v21
	v_and_b32_e32 v14, 7, v14
	v_cmp_eq_u16_e32 vcc, 0, v20
	v_cndmask_b32_e32 v10, v10, v14, vcc
	v_cndmask_b32_e32 v14, v20, v21, vcc
	v_lshlrev_b32_e32 v20, 16, v15
	v_mov_b32_e32 v21, 0x3b800000
	v_lshlrev_b32_e32 v10, 20, v10
	v_and_b32_e32 v20, 0x80000000, v20
	v_lshl_add_u32 v14, v14, 23, v21
	v_or3_b32 v10, v20, v14, v10
.LBB5_44:
	s_or_b64 exec, exec, s[6:7]
	v_lshrrev_b32_e32 v14, 8, v11
	s_movk_i32 s4, 0x7f
	v_cmp_gt_i16_sdwa s[6:7], v14, s4 src0_sel:BYTE_0 src1_sel:DWORD
	s_mov_b64 s[4:5], 0
                                        ; implicit-def: $sgpr10
	s_and_saveexec_b64 s[8:9], s[6:7]
	s_xor_b64 s[6:7], exec, s[8:9]
	s_cbranch_execnz .LBB5_2093
; %bb.45:
	s_or_saveexec_b64 s[6:7], s[6:7]
	v_mov_b32_e32 v20, s10
	s_xor_b64 exec, exec, s[6:7]
	s_cbranch_execnz .LBB5_2096
.LBB5_46:
	s_or_b64 exec, exec, s[6:7]
	s_and_saveexec_b64 s[6:7], s[4:5]
	s_cbranch_execz .LBB5_48
.LBB5_47:
	v_bfe_u32 v20, v11, 8, 3
	v_ffbh_u32_e32 v22, v20
	v_min_u32_e32 v22, 32, v22
	v_lshrrev_b16_e32 v21, 3, v14
	v_subrev_u32_e32 v23, 28, v22
	v_and_b32_e32 v21, 15, v21
	v_lshlrev_b32_e32 v14, v23, v14
	v_sub_u32_e32 v22, 29, v22
	v_and_b32_e32 v14, 7, v14
	v_cmp_eq_u16_e32 vcc, 0, v21
	v_cndmask_b32_e32 v14, v20, v14, vcc
	v_cndmask_b32_e32 v20, v21, v22, vcc
	v_lshlrev_b32_e32 v21, 16, v11
	v_mov_b32_e32 v22, 0x3b800000
	v_lshlrev_b32_e32 v14, 20, v14
	v_and_b32_e32 v21, 0x80000000, v21
	v_lshl_add_u32 v20, v20, 23, v22
	v_or3_b32 v20, v21, v20, v14
.LBB5_48:
	s_or_b64 exec, exec, s[6:7]
	s_nop 0
	v_mfma_f32_16x16x4f32 a[0:3], v10, v20, a[0:3]
	s_movk_i32 s4, 0xff
	v_and_b32_sdwa v14, v15, s4 dst_sel:DWORD dst_unused:UNUSED_PAD src0_sel:WORD_1 src1_sel:DWORD
	s_movk_i32 s4, 0x7f
	v_cmp_lt_i16_e32 vcc, s4, v14
	s_mov_b64 s[4:5], 0
                                        ; implicit-def: $sgpr10
	s_and_saveexec_b64 s[6:7], vcc
	s_xor_b64 s[6:7], exec, s[6:7]
	s_cbranch_execnz .LBB5_2097
; %bb.49:
	s_or_saveexec_b64 s[6:7], s[6:7]
	v_mov_b32_e32 v10, s10
	s_xor_b64 exec, exec, s[6:7]
	s_cbranch_execnz .LBB5_2100
.LBB5_50:
	s_or_b64 exec, exec, s[6:7]
	s_and_saveexec_b64 s[6:7], s[4:5]
	s_cbranch_execz .LBB5_52
.LBB5_51:
	v_bfe_u32 v10, v15, 16, 3
	v_ffbh_u32_e32 v21, v10
	v_min_u32_e32 v21, 32, v21
	v_lshrrev_b32_e32 v14, 19, v15
	v_subrev_u32_e32 v22, 28, v21
	v_and_b32_e32 v14, 15, v14
	v_lshlrev_b32_sdwa v22, v22, v15 dst_sel:DWORD dst_unused:UNUSED_PAD src0_sel:DWORD src1_sel:WORD_1
	v_bfe_u32 v20, v15, 19, 4
	v_sub_u32_e32 v21, 29, v21
	v_and_b32_e32 v22, 7, v22
	v_cmp_eq_u16_e32 vcc, 0, v14
	v_cndmask_b32_e32 v10, v10, v22, vcc
	v_cndmask_b32_e32 v14, v20, v21, vcc
	v_lshlrev_b32_e32 v20, 8, v15
	v_mov_b32_e32 v21, 0x3b800000
	v_lshlrev_b32_e32 v10, 20, v10
	v_and_b32_e32 v20, 0x80000000, v20
	v_lshl_add_u32 v14, v14, 23, v21
	v_or3_b32 v10, v20, v14, v10
.LBB5_52:
	s_or_b64 exec, exec, s[6:7]
	s_movk_i32 s4, 0xff
	v_and_b32_sdwa v14, v11, s4 dst_sel:DWORD dst_unused:UNUSED_PAD src0_sel:WORD_1 src1_sel:DWORD
	s_movk_i32 s4, 0x7f
	v_cmp_lt_i16_e32 vcc, s4, v14
	s_mov_b64 s[4:5], 0
                                        ; implicit-def: $sgpr10
	s_and_saveexec_b64 s[6:7], vcc
	s_xor_b64 s[6:7], exec, s[6:7]
	s_cbranch_execnz .LBB5_2101
; %bb.53:
	s_or_saveexec_b64 s[6:7], s[6:7]
	v_mov_b32_e32 v20, s10
	s_xor_b64 exec, exec, s[6:7]
	s_cbranch_execnz .LBB5_2104
.LBB5_54:
	s_or_b64 exec, exec, s[6:7]
	s_and_saveexec_b64 s[6:7], s[4:5]
	s_cbranch_execz .LBB5_56
.LBB5_55:
	v_bfe_u32 v14, v11, 16, 3
	v_ffbh_u32_e32 v22, v14
	v_min_u32_e32 v22, 32, v22
	v_lshrrev_b32_e32 v20, 19, v11
	v_subrev_u32_e32 v23, 28, v22
	v_and_b32_e32 v20, 15, v20
	v_lshlrev_b32_sdwa v23, v23, v11 dst_sel:DWORD dst_unused:UNUSED_PAD src0_sel:DWORD src1_sel:WORD_1
	v_bfe_u32 v21, v11, 19, 4
	v_sub_u32_e32 v22, 29, v22
	v_and_b32_e32 v23, 7, v23
	v_cmp_eq_u16_e32 vcc, 0, v20
	v_cndmask_b32_e32 v14, v14, v23, vcc
	v_cndmask_b32_e32 v20, v21, v22, vcc
	v_lshlrev_b32_e32 v21, 8, v11
	v_mov_b32_e32 v22, 0x3b800000
	v_lshlrev_b32_e32 v14, 20, v14
	v_and_b32_e32 v21, 0x80000000, v21
	v_lshl_add_u32 v20, v20, 23, v22
	v_or3_b32 v20, v21, v20, v14
.LBB5_56:
	s_or_b64 exec, exec, s[6:7]
	s_nop 0
	v_mfma_f32_16x16x4f32 a[0:3], v10, v20, a[0:3]
	s_movk_i32 s4, 0x7f
	v_cmp_gt_i16_sdwa s[6:7], v15, s4 src0_sel:BYTE_3 src1_sel:DWORD
	s_mov_b64 s[4:5], 0
                                        ; implicit-def: $sgpr10
	s_and_saveexec_b64 s[8:9], s[6:7]
	s_xor_b64 s[6:7], exec, s[8:9]
	s_cbranch_execnz .LBB5_2105
; %bb.57:
	s_or_saveexec_b64 s[6:7], s[6:7]
	v_mov_b32_e32 v10, s10
	s_xor_b64 exec, exec, s[6:7]
	s_cbranch_execnz .LBB5_2108
.LBB5_58:
	s_or_b64 exec, exec, s[6:7]
	s_and_saveexec_b64 s[6:7], s[4:5]
	s_cbranch_execz .LBB5_60
.LBB5_59:
	v_bfe_u32 v10, v15, 24, 3
	v_ffbh_u32_e32 v22, v10
	v_min_u32_e32 v22, 32, v22
	v_lshrrev_b32_e32 v20, 27, v15
	v_subrev_u32_e32 v23, 28, v22
	v_and_b32_e32 v14, 0x80000000, v15
	v_and_b32_e32 v20, 15, v20
	v_bfe_u32 v21, v15, 27, 4
	v_lshlrev_b32_sdwa v15, v23, v15 dst_sel:DWORD dst_unused:UNUSED_PAD src0_sel:DWORD src1_sel:BYTE_3
	v_sub_u32_e32 v22, 29, v22
	v_and_b32_e32 v15, 7, v15
	v_cmp_eq_u16_e32 vcc, 0, v20
	v_cndmask_b32_e32 v10, v10, v15, vcc
	v_cndmask_b32_e32 v15, v21, v22, vcc
	v_mov_b32_e32 v20, 0x3b800000
	v_lshlrev_b32_e32 v10, 20, v10
	v_lshl_add_u32 v15, v15, 23, v20
	v_or3_b32 v10, v14, v15, v10
.LBB5_60:
	s_or_b64 exec, exec, s[6:7]
	s_movk_i32 s4, 0x7f
	v_cmp_gt_i16_sdwa s[6:7], v11, s4 src0_sel:BYTE_3 src1_sel:DWORD
	s_mov_b64 s[4:5], 0
                                        ; implicit-def: $sgpr10
	s_and_saveexec_b64 s[8:9], s[6:7]
	s_xor_b64 s[6:7], exec, s[8:9]
	s_cbranch_execnz .LBB5_2109
; %bb.61:
	s_or_saveexec_b64 s[6:7], s[6:7]
	v_mov_b32_e32 v14, s10
	s_xor_b64 exec, exec, s[6:7]
	s_cbranch_execnz .LBB5_2112
.LBB5_62:
	s_or_b64 exec, exec, s[6:7]
	s_and_saveexec_b64 s[6:7], s[4:5]
	s_cbranch_execz .LBB5_64
.LBB5_63:
	v_bfe_u32 v14, v11, 24, 3
	v_ffbh_u32_e32 v22, v14
	v_min_u32_e32 v22, 32, v22
	v_lshrrev_b32_e32 v20, 27, v11
	v_subrev_u32_e32 v23, 28, v22
	v_and_b32_e32 v15, 0x80000000, v11
	v_and_b32_e32 v20, 15, v20
	v_bfe_u32 v21, v11, 27, 4
	v_lshlrev_b32_sdwa v11, v23, v11 dst_sel:DWORD dst_unused:UNUSED_PAD src0_sel:DWORD src1_sel:BYTE_3
	v_sub_u32_e32 v22, 29, v22
	v_and_b32_e32 v11, 7, v11
	v_cmp_eq_u16_e32 vcc, 0, v20
	v_cndmask_b32_e32 v11, v14, v11, vcc
	v_cndmask_b32_e32 v14, v21, v22, vcc
	v_mov_b32_e32 v20, 0x3b800000
	v_lshlrev_b32_e32 v11, 20, v11
	v_lshl_add_u32 v14, v14, 23, v20
	v_or3_b32 v14, v15, v14, v11
.LBB5_64:
	s_or_b64 exec, exec, s[6:7]
	s_nop 0
	v_mfma_f32_16x16x4f32 a[0:3], v10, v14, a[0:3]
	s_movk_i32 s4, 0x7f
	v_cmp_gt_i16_sdwa s[6:7], v16, s4 src0_sel:BYTE_0 src1_sel:DWORD
	s_mov_b64 s[4:5], 0
                                        ; implicit-def: $sgpr10
	s_and_saveexec_b64 s[8:9], s[6:7]
	s_xor_b64 s[6:7], exec, s[8:9]
	s_cbranch_execnz .LBB5_2113
; %bb.65:
	s_or_saveexec_b64 s[6:7], s[6:7]
	v_mov_b32_e32 v10, s10
	s_xor_b64 exec, exec, s[6:7]
	s_cbranch_execnz .LBB5_2116
.LBB5_66:
	s_or_b64 exec, exec, s[6:7]
	s_and_saveexec_b64 s[6:7], s[4:5]
	s_cbranch_execz .LBB5_68
.LBB5_67:
	v_and_b32_e32 v10, 7, v16
	v_ffbh_u32_e32 v14, v10
	v_min_u32_e32 v14, 32, v14
	v_lshrrev_b16_e32 v11, 3, v16
	v_subrev_u32_e32 v15, 28, v14
	v_and_b32_e32 v11, 15, v11
	v_lshlrev_b32_e32 v15, v15, v16
	v_sub_u32_e32 v14, 29, v14
	v_and_b32_e32 v15, 7, v15
	v_cmp_eq_u16_e32 vcc, 0, v11
	v_cndmask_b32_e32 v10, v10, v15, vcc
	v_cndmask_b32_e32 v11, v11, v14, vcc
	v_lshlrev_b32_e32 v14, 24, v16
	v_mov_b32_e32 v15, 0x3b800000
	v_lshlrev_b32_e32 v10, 20, v10
	v_and_b32_e32 v14, 0x80000000, v14
	v_lshl_add_u32 v11, v11, 23, v15
	v_or3_b32 v10, v14, v11, v10
.LBB5_68:
	s_or_b64 exec, exec, s[6:7]
	s_movk_i32 s4, 0x7f
	v_cmp_gt_i16_sdwa s[6:7], v12, s4 src0_sel:BYTE_0 src1_sel:DWORD
	s_mov_b64 s[4:5], 0
                                        ; implicit-def: $sgpr10
	s_and_saveexec_b64 s[8:9], s[6:7]
	s_xor_b64 s[6:7], exec, s[8:9]
	s_cbranch_execnz .LBB5_2117
; %bb.69:
	s_or_saveexec_b64 s[6:7], s[6:7]
	v_mov_b32_e32 v11, s10
	s_xor_b64 exec, exec, s[6:7]
	s_cbranch_execnz .LBB5_2120
.LBB5_70:
	s_or_b64 exec, exec, s[6:7]
	s_and_saveexec_b64 s[6:7], s[4:5]
	s_cbranch_execz .LBB5_72
.LBB5_71:
	v_and_b32_e32 v11, 7, v12
	v_ffbh_u32_e32 v15, v11
	v_min_u32_e32 v15, 32, v15
	v_lshrrev_b16_e32 v14, 3, v12
	v_subrev_u32_e32 v20, 28, v15
	v_and_b32_e32 v14, 15, v14
	v_lshlrev_b32_e32 v20, v20, v12
	v_sub_u32_e32 v15, 29, v15
	v_and_b32_e32 v20, 7, v20
	v_cmp_eq_u16_e32 vcc, 0, v14
	v_cndmask_b32_e32 v11, v11, v20, vcc
	v_cndmask_b32_e32 v14, v14, v15, vcc
	v_lshlrev_b32_e32 v15, 24, v12
	v_mov_b32_e32 v20, 0x3b800000
	v_lshlrev_b32_e32 v11, 20, v11
	v_and_b32_e32 v15, 0x80000000, v15
	v_lshl_add_u32 v14, v14, 23, v20
	v_or3_b32 v11, v15, v14, v11
.LBB5_72:
	s_or_b64 exec, exec, s[6:7]
	s_nop 0
	v_mfma_f32_16x16x4f32 a[0:3], v10, v11, a[0:3]
	v_lshrrev_b32_e32 v11, 8, v16
	s_movk_i32 s4, 0x7f
	v_cmp_gt_i16_sdwa s[6:7], v11, s4 src0_sel:BYTE_0 src1_sel:DWORD
	s_mov_b64 s[4:5], 0
                                        ; implicit-def: $sgpr10
	s_and_saveexec_b64 s[8:9], s[6:7]
	s_xor_b64 s[6:7], exec, s[8:9]
	s_cbranch_execnz .LBB5_2121
; %bb.73:
	s_or_saveexec_b64 s[6:7], s[6:7]
	v_mov_b32_e32 v10, s10
	s_xor_b64 exec, exec, s[6:7]
	s_cbranch_execnz .LBB5_2124
.LBB5_74:
	s_or_b64 exec, exec, s[6:7]
	s_and_saveexec_b64 s[6:7], s[4:5]
	s_cbranch_execz .LBB5_76
.LBB5_75:
	v_bfe_u32 v10, v16, 8, 3
	v_ffbh_u32_e32 v15, v10
	v_min_u32_e32 v15, 32, v15
	v_lshrrev_b16_e32 v14, 3, v11
	v_subrev_u32_e32 v20, 28, v15
	v_and_b32_e32 v14, 15, v14
	v_lshlrev_b32_e32 v11, v20, v11
	v_sub_u32_e32 v15, 29, v15
	v_and_b32_e32 v11, 7, v11
	v_cmp_eq_u16_e32 vcc, 0, v14
	v_cndmask_b32_e32 v10, v10, v11, vcc
	v_cndmask_b32_e32 v11, v14, v15, vcc
	v_lshlrev_b32_e32 v14, 16, v16
	v_mov_b32_e32 v15, 0x3b800000
	v_lshlrev_b32_e32 v10, 20, v10
	v_and_b32_e32 v14, 0x80000000, v14
	v_lshl_add_u32 v11, v11, 23, v15
	v_or3_b32 v10, v14, v11, v10
.LBB5_76:
	s_or_b64 exec, exec, s[6:7]
	v_lshrrev_b32_e32 v11, 8, v12
	s_movk_i32 s4, 0x7f
	v_cmp_gt_i16_sdwa s[6:7], v11, s4 src0_sel:BYTE_0 src1_sel:DWORD
	s_mov_b64 s[4:5], 0
                                        ; implicit-def: $sgpr10
	s_and_saveexec_b64 s[8:9], s[6:7]
	s_xor_b64 s[6:7], exec, s[8:9]
	s_cbranch_execnz .LBB5_2125
; %bb.77:
	s_or_saveexec_b64 s[6:7], s[6:7]
	v_mov_b32_e32 v14, s10
	s_xor_b64 exec, exec, s[6:7]
	s_cbranch_execnz .LBB5_2128
.LBB5_78:
	s_or_b64 exec, exec, s[6:7]
	s_and_saveexec_b64 s[6:7], s[4:5]
	s_cbranch_execz .LBB5_80
.LBB5_79:
	v_bfe_u32 v14, v12, 8, 3
	v_ffbh_u32_e32 v20, v14
	v_min_u32_e32 v20, 32, v20
	v_lshrrev_b16_e32 v15, 3, v11
	v_subrev_u32_e32 v21, 28, v20
	v_and_b32_e32 v15, 15, v15
	v_lshlrev_b32_e32 v11, v21, v11
	v_sub_u32_e32 v20, 29, v20
	v_and_b32_e32 v11, 7, v11
	v_cmp_eq_u16_e32 vcc, 0, v15
	v_cndmask_b32_e32 v11, v14, v11, vcc
	v_cndmask_b32_e32 v14, v15, v20, vcc
	v_lshlrev_b32_e32 v15, 16, v12
	v_mov_b32_e32 v20, 0x3b800000
	v_lshlrev_b32_e32 v11, 20, v11
	v_and_b32_e32 v15, 0x80000000, v15
	v_lshl_add_u32 v14, v14, 23, v20
	v_or3_b32 v14, v15, v14, v11
.LBB5_80:
	s_or_b64 exec, exec, s[6:7]
	s_nop 0
	v_mfma_f32_16x16x4f32 a[0:3], v10, v14, a[0:3]
	s_movk_i32 s4, 0xff
	v_and_b32_sdwa v11, v16, s4 dst_sel:DWORD dst_unused:UNUSED_PAD src0_sel:WORD_1 src1_sel:DWORD
	s_movk_i32 s4, 0x7f
	v_cmp_lt_i16_e32 vcc, s4, v11
	s_mov_b64 s[4:5], 0
                                        ; implicit-def: $sgpr10
	s_and_saveexec_b64 s[6:7], vcc
	s_xor_b64 s[6:7], exec, s[6:7]
	s_cbranch_execnz .LBB5_2129
; %bb.81:
	s_or_saveexec_b64 s[6:7], s[6:7]
	v_mov_b32_e32 v10, s10
	s_xor_b64 exec, exec, s[6:7]
	s_cbranch_execnz .LBB5_2132
.LBB5_82:
	s_or_b64 exec, exec, s[6:7]
	s_and_saveexec_b64 s[6:7], s[4:5]
	s_cbranch_execz .LBB5_84
.LBB5_83:
	v_bfe_u32 v10, v16, 16, 3
	v_ffbh_u32_e32 v15, v10
	v_min_u32_e32 v15, 32, v15
	v_lshrrev_b32_e32 v11, 19, v16
	v_subrev_u32_e32 v20, 28, v15
	v_and_b32_e32 v11, 15, v11
	v_lshlrev_b32_sdwa v20, v20, v16 dst_sel:DWORD dst_unused:UNUSED_PAD src0_sel:DWORD src1_sel:WORD_1
	v_bfe_u32 v14, v16, 19, 4
	v_sub_u32_e32 v15, 29, v15
	v_and_b32_e32 v20, 7, v20
	v_cmp_eq_u16_e32 vcc, 0, v11
	v_cndmask_b32_e32 v10, v10, v20, vcc
	v_cndmask_b32_e32 v11, v14, v15, vcc
	v_lshlrev_b32_e32 v14, 8, v16
	v_mov_b32_e32 v15, 0x3b800000
	v_lshlrev_b32_e32 v10, 20, v10
	v_and_b32_e32 v14, 0x80000000, v14
	v_lshl_add_u32 v11, v11, 23, v15
	v_or3_b32 v10, v14, v11, v10
.LBB5_84:
	s_or_b64 exec, exec, s[6:7]
	s_movk_i32 s4, 0xff
	v_and_b32_sdwa v11, v12, s4 dst_sel:DWORD dst_unused:UNUSED_PAD src0_sel:WORD_1 src1_sel:DWORD
	s_movk_i32 s4, 0x7f
	v_cmp_lt_i16_e32 vcc, s4, v11
	s_mov_b64 s[4:5], 0
                                        ; implicit-def: $sgpr10
	s_and_saveexec_b64 s[6:7], vcc
	s_xor_b64 s[6:7], exec, s[6:7]
	s_cbranch_execnz .LBB5_2133
; %bb.85:
	s_or_saveexec_b64 s[6:7], s[6:7]
	v_mov_b32_e32 v14, s10
	s_xor_b64 exec, exec, s[6:7]
	s_cbranch_execnz .LBB5_2136
.LBB5_86:
	s_or_b64 exec, exec, s[6:7]
	s_and_saveexec_b64 s[6:7], s[4:5]
	s_cbranch_execz .LBB5_88
.LBB5_87:
	v_bfe_u32 v11, v12, 16, 3
	v_ffbh_u32_e32 v20, v11
	v_min_u32_e32 v20, 32, v20
	v_lshrrev_b32_e32 v14, 19, v12
	v_subrev_u32_e32 v21, 28, v20
	v_and_b32_e32 v14, 15, v14
	v_lshlrev_b32_sdwa v21, v21, v12 dst_sel:DWORD dst_unused:UNUSED_PAD src0_sel:DWORD src1_sel:WORD_1
	v_bfe_u32 v15, v12, 19, 4
	v_sub_u32_e32 v20, 29, v20
	v_and_b32_e32 v21, 7, v21
	v_cmp_eq_u16_e32 vcc, 0, v14
	v_cndmask_b32_e32 v11, v11, v21, vcc
	v_cndmask_b32_e32 v14, v15, v20, vcc
	v_lshlrev_b32_e32 v15, 8, v12
	v_mov_b32_e32 v20, 0x3b800000
	v_lshlrev_b32_e32 v11, 20, v11
	v_and_b32_e32 v15, 0x80000000, v15
	v_lshl_add_u32 v14, v14, 23, v20
	v_or3_b32 v14, v15, v14, v11
.LBB5_88:
	s_or_b64 exec, exec, s[6:7]
	s_nop 0
	v_mfma_f32_16x16x4f32 a[0:3], v10, v14, a[0:3]
	s_movk_i32 s4, 0x7f
	v_cmp_gt_i16_sdwa s[6:7], v16, s4 src0_sel:BYTE_3 src1_sel:DWORD
	s_mov_b64 s[4:5], 0
                                        ; implicit-def: $sgpr10
	s_and_saveexec_b64 s[8:9], s[6:7]
	s_xor_b64 s[6:7], exec, s[8:9]
	s_cbranch_execnz .LBB5_2137
; %bb.89:
	s_or_saveexec_b64 s[6:7], s[6:7]
	v_mov_b32_e32 v10, s10
	s_xor_b64 exec, exec, s[6:7]
	s_cbranch_execnz .LBB5_2140
.LBB5_90:
	s_or_b64 exec, exec, s[6:7]
	s_and_saveexec_b64 s[6:7], s[4:5]
	s_cbranch_execz .LBB5_92
.LBB5_91:
	v_bfe_u32 v10, v16, 24, 3
	v_ffbh_u32_e32 v20, v10
	v_min_u32_e32 v20, 32, v20
	v_lshrrev_b32_e32 v14, 27, v16
	v_subrev_u32_e32 v21, 28, v20
	v_and_b32_e32 v11, 0x80000000, v16
	v_and_b32_e32 v14, 15, v14
	v_bfe_u32 v15, v16, 27, 4
	v_lshlrev_b32_sdwa v16, v21, v16 dst_sel:DWORD dst_unused:UNUSED_PAD src0_sel:DWORD src1_sel:BYTE_3
	v_sub_u32_e32 v20, 29, v20
	v_and_b32_e32 v16, 7, v16
	v_cmp_eq_u16_e32 vcc, 0, v14
	v_cndmask_b32_e32 v10, v10, v16, vcc
	v_cndmask_b32_e32 v14, v15, v20, vcc
	v_mov_b32_e32 v15, 0x3b800000
	v_lshlrev_b32_e32 v10, 20, v10
	v_lshl_add_u32 v14, v14, 23, v15
	v_or3_b32 v10, v11, v14, v10
.LBB5_92:
	s_or_b64 exec, exec, s[6:7]
	s_movk_i32 s4, 0x7f
	v_cmp_gt_i16_sdwa s[6:7], v12, s4 src0_sel:BYTE_3 src1_sel:DWORD
	s_mov_b64 s[4:5], 0
                                        ; implicit-def: $sgpr10
	s_and_saveexec_b64 s[8:9], s[6:7]
	s_xor_b64 s[6:7], exec, s[8:9]
	s_cbranch_execnz .LBB5_2141
; %bb.93:
	s_or_saveexec_b64 s[6:7], s[6:7]
	v_mov_b32_e32 v11, s10
	s_xor_b64 exec, exec, s[6:7]
	s_cbranch_execnz .LBB5_2144
.LBB5_94:
	s_or_b64 exec, exec, s[6:7]
	s_and_saveexec_b64 s[6:7], s[4:5]
	s_cbranch_execz .LBB5_96
.LBB5_95:
	v_bfe_u32 v11, v12, 24, 3
	v_ffbh_u32_e32 v20, v11
	v_min_u32_e32 v20, 32, v20
	v_lshrrev_b32_e32 v15, 27, v12
	v_subrev_u32_e32 v21, 28, v20
	v_and_b32_e32 v14, 0x80000000, v12
	v_and_b32_e32 v15, 15, v15
	v_bfe_u32 v16, v12, 27, 4
	v_lshlrev_b32_sdwa v12, v21, v12 dst_sel:DWORD dst_unused:UNUSED_PAD src0_sel:DWORD src1_sel:BYTE_3
	v_sub_u32_e32 v20, 29, v20
	v_and_b32_e32 v12, 7, v12
	v_cmp_eq_u16_e32 vcc, 0, v15
	v_cndmask_b32_e32 v11, v11, v12, vcc
	v_cndmask_b32_e32 v12, v16, v20, vcc
	v_mov_b32_e32 v15, 0x3b800000
	v_lshlrev_b32_e32 v11, 20, v11
	v_lshl_add_u32 v12, v12, 23, v15
	v_or3_b32 v11, v14, v12, v11
.LBB5_96:
	s_or_b64 exec, exec, s[6:7]
	s_nop 0
	v_mfma_f32_16x16x4f32 a[0:3], v10, v11, a[0:3]
	s_movk_i32 s4, 0x7f
	v_cmp_gt_i16_sdwa s[6:7], v17, s4 src0_sel:BYTE_0 src1_sel:DWORD
	s_mov_b64 s[4:5], 0
                                        ; implicit-def: $sgpr10
	s_and_saveexec_b64 s[8:9], s[6:7]
	s_xor_b64 s[6:7], exec, s[8:9]
	s_cbranch_execnz .LBB5_2145
; %bb.97:
	s_or_saveexec_b64 s[6:7], s[6:7]
	v_mov_b32_e32 v10, s10
	s_xor_b64 exec, exec, s[6:7]
	s_cbranch_execnz .LBB5_2148
.LBB5_98:
	s_or_b64 exec, exec, s[6:7]
	s_and_saveexec_b64 s[6:7], s[4:5]
	s_cbranch_execz .LBB5_100
.LBB5_99:
	v_and_b32_e32 v10, 7, v17
	v_ffbh_u32_e32 v12, v10
	v_min_u32_e32 v12, 32, v12
	v_lshrrev_b16_e32 v11, 3, v17
	v_subrev_u32_e32 v14, 28, v12
	v_and_b32_e32 v11, 15, v11
	v_lshlrev_b32_e32 v14, v14, v17
	v_sub_u32_e32 v12, 29, v12
	v_and_b32_e32 v14, 7, v14
	v_cmp_eq_u16_e32 vcc, 0, v11
	v_cndmask_b32_e32 v10, v10, v14, vcc
	v_cndmask_b32_e32 v11, v11, v12, vcc
	v_lshlrev_b32_e32 v12, 24, v17
	v_mov_b32_e32 v14, 0x3b800000
	v_lshlrev_b32_e32 v10, 20, v10
	v_and_b32_e32 v12, 0x80000000, v12
	v_lshl_add_u32 v11, v11, 23, v14
	v_or3_b32 v10, v12, v11, v10
.LBB5_100:
	s_or_b64 exec, exec, s[6:7]
	s_movk_i32 s4, 0x7f
	v_cmp_gt_i16_sdwa s[6:7], v13, s4 src0_sel:BYTE_0 src1_sel:DWORD
	s_mov_b64 s[4:5], 0
                                        ; implicit-def: $sgpr10
	s_and_saveexec_b64 s[8:9], s[6:7]
	s_xor_b64 s[6:7], exec, s[8:9]
	s_cbranch_execnz .LBB5_2149
; %bb.101:
	s_or_saveexec_b64 s[6:7], s[6:7]
	v_mov_b32_e32 v11, s10
	s_xor_b64 exec, exec, s[6:7]
	s_cbranch_execnz .LBB5_2152
.LBB5_102:
	s_or_b64 exec, exec, s[6:7]
	s_and_saveexec_b64 s[6:7], s[4:5]
	s_cbranch_execz .LBB5_104
.LBB5_103:
	v_and_b32_e32 v11, 7, v13
	v_ffbh_u32_e32 v14, v11
	v_min_u32_e32 v14, 32, v14
	v_lshrrev_b16_e32 v12, 3, v13
	v_subrev_u32_e32 v15, 28, v14
	v_and_b32_e32 v12, 15, v12
	v_lshlrev_b32_e32 v15, v15, v13
	v_sub_u32_e32 v14, 29, v14
	v_and_b32_e32 v15, 7, v15
	v_cmp_eq_u16_e32 vcc, 0, v12
	v_cndmask_b32_e32 v11, v11, v15, vcc
	v_cndmask_b32_e32 v12, v12, v14, vcc
	v_lshlrev_b32_e32 v14, 24, v13
	v_mov_b32_e32 v15, 0x3b800000
	v_lshlrev_b32_e32 v11, 20, v11
	v_and_b32_e32 v14, 0x80000000, v14
	v_lshl_add_u32 v12, v12, 23, v15
	v_or3_b32 v11, v14, v12, v11
.LBB5_104:
	s_or_b64 exec, exec, s[6:7]
	s_nop 0
	v_mfma_f32_16x16x4f32 a[0:3], v10, v11, a[0:3]
	v_lshrrev_b32_e32 v11, 8, v17
	s_movk_i32 s4, 0x7f
	v_cmp_gt_i16_sdwa s[6:7], v11, s4 src0_sel:BYTE_0 src1_sel:DWORD
	s_mov_b64 s[4:5], 0
                                        ; implicit-def: $sgpr10
	s_and_saveexec_b64 s[8:9], s[6:7]
	s_xor_b64 s[6:7], exec, s[8:9]
	s_cbranch_execnz .LBB5_2153
; %bb.105:
	s_or_saveexec_b64 s[6:7], s[6:7]
	v_mov_b32_e32 v10, s10
	s_xor_b64 exec, exec, s[6:7]
	s_cbranch_execnz .LBB5_2156
.LBB5_106:
	s_or_b64 exec, exec, s[6:7]
	s_and_saveexec_b64 s[6:7], s[4:5]
	s_cbranch_execz .LBB5_108
.LBB5_107:
	v_bfe_u32 v10, v17, 8, 3
	v_ffbh_u32_e32 v14, v10
	v_min_u32_e32 v14, 32, v14
	v_lshrrev_b16_e32 v12, 3, v11
	v_subrev_u32_e32 v15, 28, v14
	v_and_b32_e32 v12, 15, v12
	v_lshlrev_b32_e32 v11, v15, v11
	v_sub_u32_e32 v14, 29, v14
	v_and_b32_e32 v11, 7, v11
	v_cmp_eq_u16_e32 vcc, 0, v12
	v_cndmask_b32_e32 v10, v10, v11, vcc
	v_cndmask_b32_e32 v11, v12, v14, vcc
	v_lshlrev_b32_e32 v12, 16, v17
	v_mov_b32_e32 v14, 0x3b800000
	v_lshlrev_b32_e32 v10, 20, v10
	v_and_b32_e32 v12, 0x80000000, v12
	v_lshl_add_u32 v11, v11, 23, v14
	v_or3_b32 v10, v12, v11, v10
.LBB5_108:
	s_or_b64 exec, exec, s[6:7]
	v_lshrrev_b32_e32 v11, 8, v13
	s_movk_i32 s4, 0x7f
	v_cmp_gt_i16_sdwa s[6:7], v11, s4 src0_sel:BYTE_0 src1_sel:DWORD
	s_mov_b64 s[4:5], 0
                                        ; implicit-def: $sgpr10
	s_and_saveexec_b64 s[8:9], s[6:7]
	s_xor_b64 s[6:7], exec, s[8:9]
	s_cbranch_execnz .LBB5_2157
; %bb.109:
	s_or_saveexec_b64 s[6:7], s[6:7]
	v_mov_b32_e32 v12, s10
	s_xor_b64 exec, exec, s[6:7]
	s_cbranch_execnz .LBB5_2160
.LBB5_110:
	s_or_b64 exec, exec, s[6:7]
	s_and_saveexec_b64 s[6:7], s[4:5]
	s_cbranch_execz .LBB5_112
.LBB5_111:
	v_bfe_u32 v12, v13, 8, 3
	v_ffbh_u32_e32 v15, v12
	v_min_u32_e32 v15, 32, v15
	v_lshrrev_b16_e32 v14, 3, v11
	v_subrev_u32_e32 v16, 28, v15
	v_and_b32_e32 v14, 15, v14
	v_lshlrev_b32_e32 v11, v16, v11
	v_sub_u32_e32 v15, 29, v15
	v_and_b32_e32 v11, 7, v11
	v_cmp_eq_u16_e32 vcc, 0, v14
	v_cndmask_b32_e32 v11, v12, v11, vcc
	v_cndmask_b32_e32 v12, v14, v15, vcc
	v_lshlrev_b32_e32 v14, 16, v13
	v_mov_b32_e32 v15, 0x3b800000
	v_lshlrev_b32_e32 v11, 20, v11
	v_and_b32_e32 v14, 0x80000000, v14
	v_lshl_add_u32 v12, v12, 23, v15
	v_or3_b32 v12, v14, v12, v11
.LBB5_112:
	s_or_b64 exec, exec, s[6:7]
	s_nop 0
	v_mfma_f32_16x16x4f32 a[0:3], v10, v12, a[0:3]
	s_movk_i32 s4, 0xff
	v_and_b32_sdwa v11, v17, s4 dst_sel:DWORD dst_unused:UNUSED_PAD src0_sel:WORD_1 src1_sel:DWORD
	s_movk_i32 s4, 0x7f
	v_cmp_lt_i16_e32 vcc, s4, v11
	s_mov_b64 s[4:5], 0
                                        ; implicit-def: $sgpr10
	s_and_saveexec_b64 s[6:7], vcc
	s_xor_b64 s[6:7], exec, s[6:7]
	s_cbranch_execnz .LBB5_2161
; %bb.113:
	s_or_saveexec_b64 s[6:7], s[6:7]
	v_mov_b32_e32 v10, s10
	s_xor_b64 exec, exec, s[6:7]
	s_cbranch_execnz .LBB5_2164
.LBB5_114:
	s_or_b64 exec, exec, s[6:7]
	s_and_saveexec_b64 s[6:7], s[4:5]
	s_cbranch_execz .LBB5_116
.LBB5_115:
	v_bfe_u32 v10, v17, 16, 3
	v_ffbh_u32_e32 v14, v10
	v_min_u32_e32 v14, 32, v14
	v_lshrrev_b32_e32 v11, 19, v17
	v_subrev_u32_e32 v15, 28, v14
	v_and_b32_e32 v11, 15, v11
	v_lshlrev_b32_sdwa v15, v15, v17 dst_sel:DWORD dst_unused:UNUSED_PAD src0_sel:DWORD src1_sel:WORD_1
	v_bfe_u32 v12, v17, 19, 4
	v_sub_u32_e32 v14, 29, v14
	v_and_b32_e32 v15, 7, v15
	v_cmp_eq_u16_e32 vcc, 0, v11
	v_cndmask_b32_e32 v10, v10, v15, vcc
	v_cndmask_b32_e32 v11, v12, v14, vcc
	v_lshlrev_b32_e32 v12, 8, v17
	v_mov_b32_e32 v14, 0x3b800000
	v_lshlrev_b32_e32 v10, 20, v10
	v_and_b32_e32 v12, 0x80000000, v12
	v_lshl_add_u32 v11, v11, 23, v14
	v_or3_b32 v10, v12, v11, v10
.LBB5_116:
	s_or_b64 exec, exec, s[6:7]
	s_movk_i32 s4, 0xff
	v_and_b32_sdwa v11, v13, s4 dst_sel:DWORD dst_unused:UNUSED_PAD src0_sel:WORD_1 src1_sel:DWORD
	s_movk_i32 s4, 0x7f
	v_cmp_lt_i16_e32 vcc, s4, v11
	s_mov_b64 s[4:5], 0
                                        ; implicit-def: $sgpr10
	s_and_saveexec_b64 s[6:7], vcc
	s_xor_b64 s[6:7], exec, s[6:7]
	s_cbranch_execnz .LBB5_2165
; %bb.117:
	s_or_saveexec_b64 s[6:7], s[6:7]
	v_mov_b32_e32 v12, s10
	s_xor_b64 exec, exec, s[6:7]
	s_cbranch_execnz .LBB5_2168
.LBB5_118:
	s_or_b64 exec, exec, s[6:7]
	s_and_saveexec_b64 s[6:7], s[4:5]
	s_cbranch_execz .LBB5_120
.LBB5_119:
	v_bfe_u32 v11, v13, 16, 3
	v_ffbh_u32_e32 v15, v11
	v_min_u32_e32 v15, 32, v15
	v_lshrrev_b32_e32 v12, 19, v13
	v_subrev_u32_e32 v16, 28, v15
	v_and_b32_e32 v12, 15, v12
	v_lshlrev_b32_sdwa v16, v16, v13 dst_sel:DWORD dst_unused:UNUSED_PAD src0_sel:DWORD src1_sel:WORD_1
	v_bfe_u32 v14, v13, 19, 4
	v_sub_u32_e32 v15, 29, v15
	v_and_b32_e32 v16, 7, v16
	v_cmp_eq_u16_e32 vcc, 0, v12
	v_cndmask_b32_e32 v11, v11, v16, vcc
	v_cndmask_b32_e32 v12, v14, v15, vcc
	v_lshlrev_b32_e32 v14, 8, v13
	v_mov_b32_e32 v15, 0x3b800000
	v_lshlrev_b32_e32 v11, 20, v11
	v_and_b32_e32 v14, 0x80000000, v14
	v_lshl_add_u32 v12, v12, 23, v15
	v_or3_b32 v12, v14, v12, v11
.LBB5_120:
	s_or_b64 exec, exec, s[6:7]
	s_nop 0
	v_mfma_f32_16x16x4f32 a[0:3], v10, v12, a[0:3]
	s_movk_i32 s4, 0x7f
	v_cmp_gt_i16_sdwa s[6:7], v17, s4 src0_sel:BYTE_3 src1_sel:DWORD
	s_mov_b64 s[4:5], 0
                                        ; implicit-def: $sgpr10
	s_and_saveexec_b64 s[8:9], s[6:7]
	s_xor_b64 s[6:7], exec, s[8:9]
	s_cbranch_execnz .LBB5_2169
; %bb.121:
	s_or_saveexec_b64 s[6:7], s[6:7]
	v_mov_b32_e32 v10, s10
	s_xor_b64 exec, exec, s[6:7]
	s_cbranch_execnz .LBB5_2172
.LBB5_122:
	s_or_b64 exec, exec, s[6:7]
	s_and_saveexec_b64 s[6:7], s[4:5]
	s_cbranch_execz .LBB5_124
.LBB5_123:
	v_bfe_u32 v10, v17, 24, 3
	v_ffbh_u32_e32 v15, v10
	v_min_u32_e32 v15, 32, v15
	v_lshrrev_b32_e32 v12, 27, v17
	v_subrev_u32_e32 v16, 28, v15
	v_and_b32_e32 v12, 15, v12
	v_lshlrev_b32_sdwa v16, v16, v17 dst_sel:DWORD dst_unused:UNUSED_PAD src0_sel:DWORD src1_sel:BYTE_3
	v_bfe_u32 v14, v17, 27, 4
	v_sub_u32_e32 v15, 29, v15
	v_and_b32_e32 v16, 7, v16
	v_cmp_eq_u16_e32 vcc, 0, v12
	v_cndmask_b32_e32 v10, v10, v16, vcc
	v_cndmask_b32_e32 v12, v14, v15, vcc
	v_mov_b32_e32 v14, 0x3b800000
	v_and_b32_e32 v11, 0x80000000, v17
	v_lshlrev_b32_e32 v10, 20, v10
	v_lshl_add_u32 v12, v12, 23, v14
	v_or3_b32 v10, v11, v12, v10
.LBB5_124:
	s_or_b64 exec, exec, s[6:7]
	s_movk_i32 s4, 0x7f
	v_cmp_gt_i16_sdwa s[6:7], v13, s4 src0_sel:BYTE_3 src1_sel:DWORD
	s_mov_b64 s[4:5], 0
                                        ; implicit-def: $sgpr10
	s_and_saveexec_b64 s[8:9], s[6:7]
	s_xor_b64 s[6:7], exec, s[8:9]
	s_cbranch_execnz .LBB5_2173
; %bb.125:
	s_or_saveexec_b64 s[6:7], s[6:7]
	v_mov_b32_e32 v11, s10
	s_xor_b64 exec, exec, s[6:7]
	s_cbranch_execnz .LBB5_2176
.LBB5_126:
	s_or_b64 exec, exec, s[6:7]
	s_and_saveexec_b64 s[6:7], s[4:5]
	s_cbranch_execz .LBB5_128
.LBB5_127:
	v_bfe_u32 v11, v13, 24, 3
	v_ffbh_u32_e32 v16, v11
	v_min_u32_e32 v16, 32, v16
	v_lshrrev_b32_e32 v14, 27, v13
	v_subrev_u32_e32 v17, 28, v16
	v_and_b32_e32 v12, 0x80000000, v13
	v_and_b32_e32 v14, 15, v14
	v_bfe_u32 v15, v13, 27, 4
	v_lshlrev_b32_sdwa v13, v17, v13 dst_sel:DWORD dst_unused:UNUSED_PAD src0_sel:DWORD src1_sel:BYTE_3
	v_sub_u32_e32 v16, 29, v16
	v_and_b32_e32 v13, 7, v13
	v_cmp_eq_u16_e32 vcc, 0, v14
	v_cndmask_b32_e32 v11, v11, v13, vcc
	v_cndmask_b32_e32 v13, v15, v16, vcc
	v_mov_b32_e32 v14, 0x3b800000
	v_lshlrev_b32_e32 v11, 20, v11
	v_lshl_add_u32 v13, v13, 23, v14
	v_or3_b32 v11, v12, v13, v11
.LBB5_128:
	s_or_b64 exec, exec, s[6:7]
	s_nop 0
	v_mfma_f32_16x16x4f32 a[0:3], v10, v11, a[0:3]
	s_movk_i32 s4, 0x7f
	v_cmp_gt_i16_sdwa s[6:7], v6, s4 src0_sel:BYTE_0 src1_sel:DWORD
	s_mov_b64 s[4:5], 0
                                        ; implicit-def: $sgpr10
	s_and_saveexec_b64 s[8:9], s[6:7]
	s_xor_b64 s[6:7], exec, s[8:9]
	s_cbranch_execnz .LBB5_2177
; %bb.129:
	s_or_saveexec_b64 s[6:7], s[6:7]
	v_mov_b32_e32 v10, s10
	s_xor_b64 exec, exec, s[6:7]
	s_cbranch_execnz .LBB5_2180
.LBB5_130:
	s_or_b64 exec, exec, s[6:7]
	s_and_saveexec_b64 s[6:7], s[4:5]
	s_cbranch_execz .LBB5_132
.LBB5_131:
	v_and_b32_e32 v10, 7, v6
	v_ffbh_u32_e32 v12, v10
	v_min_u32_e32 v12, 32, v12
	v_lshrrev_b16_e32 v11, 3, v6
	v_subrev_u32_e32 v13, 28, v12
	v_and_b32_e32 v11, 15, v11
	v_lshlrev_b32_e32 v13, v13, v6
	v_sub_u32_e32 v12, 29, v12
	v_and_b32_e32 v13, 7, v13
	v_cmp_eq_u16_e32 vcc, 0, v11
	v_cndmask_b32_e32 v10, v10, v13, vcc
	v_cndmask_b32_e32 v11, v11, v12, vcc
	v_lshlrev_b32_e32 v12, 24, v6
	v_mov_b32_e32 v13, 0x3b800000
	v_lshlrev_b32_e32 v10, 20, v10
	v_and_b32_e32 v12, 0x80000000, v12
	v_lshl_add_u32 v11, v11, 23, v13
	v_or3_b32 v10, v12, v11, v10
.LBB5_132:
	s_or_b64 exec, exec, s[6:7]
	s_movk_i32 s4, 0x7f
	v_cmp_gt_i16_sdwa s[6:7], v2, s4 src0_sel:BYTE_0 src1_sel:DWORD
	s_mov_b64 s[4:5], 0
                                        ; implicit-def: $sgpr10
	s_and_saveexec_b64 s[8:9], s[6:7]
	s_xor_b64 s[6:7], exec, s[8:9]
	s_cbranch_execnz .LBB5_2181
; %bb.133:
	s_or_saveexec_b64 s[6:7], s[6:7]
	v_mov_b32_e32 v11, s10
	s_xor_b64 exec, exec, s[6:7]
	s_cbranch_execnz .LBB5_2184
.LBB5_134:
	s_or_b64 exec, exec, s[6:7]
	s_and_saveexec_b64 s[6:7], s[4:5]
	s_cbranch_execz .LBB5_136
.LBB5_135:
	v_and_b32_e32 v11, 7, v2
	v_ffbh_u32_e32 v13, v11
	v_min_u32_e32 v13, 32, v13
	v_lshrrev_b16_e32 v12, 3, v2
	v_subrev_u32_e32 v14, 28, v13
	v_and_b32_e32 v12, 15, v12
	v_lshlrev_b32_e32 v14, v14, v2
	v_sub_u32_e32 v13, 29, v13
	v_and_b32_e32 v14, 7, v14
	v_cmp_eq_u16_e32 vcc, 0, v12
	v_cndmask_b32_e32 v11, v11, v14, vcc
	v_cndmask_b32_e32 v12, v12, v13, vcc
	v_lshlrev_b32_e32 v13, 24, v2
	v_mov_b32_e32 v14, 0x3b800000
	v_lshlrev_b32_e32 v11, 20, v11
	v_and_b32_e32 v13, 0x80000000, v13
	v_lshl_add_u32 v12, v12, 23, v14
	v_or3_b32 v11, v13, v12, v11
.LBB5_136:
	s_or_b64 exec, exec, s[6:7]
	s_nop 0
	v_mfma_f32_16x16x4f32 a[0:3], v10, v11, a[0:3]
	v_lshrrev_b32_e32 v11, 8, v6
	s_movk_i32 s4, 0x7f
	v_cmp_gt_i16_sdwa s[6:7], v11, s4 src0_sel:BYTE_0 src1_sel:DWORD
	s_mov_b64 s[4:5], 0
                                        ; implicit-def: $sgpr10
	s_and_saveexec_b64 s[8:9], s[6:7]
	s_xor_b64 s[6:7], exec, s[8:9]
	s_cbranch_execnz .LBB5_2185
; %bb.137:
	s_or_saveexec_b64 s[6:7], s[6:7]
	v_mov_b32_e32 v10, s10
	s_xor_b64 exec, exec, s[6:7]
	s_cbranch_execnz .LBB5_2188
.LBB5_138:
	s_or_b64 exec, exec, s[6:7]
	s_and_saveexec_b64 s[6:7], s[4:5]
	s_cbranch_execz .LBB5_140
.LBB5_139:
	v_bfe_u32 v10, v6, 8, 3
	v_ffbh_u32_e32 v13, v10
	v_min_u32_e32 v13, 32, v13
	v_lshrrev_b16_e32 v12, 3, v11
	v_subrev_u32_e32 v14, 28, v13
	v_and_b32_e32 v12, 15, v12
	v_lshlrev_b32_e32 v11, v14, v11
	v_sub_u32_e32 v13, 29, v13
	v_and_b32_e32 v11, 7, v11
	v_cmp_eq_u16_e32 vcc, 0, v12
	v_cndmask_b32_e32 v10, v10, v11, vcc
	v_cndmask_b32_e32 v11, v12, v13, vcc
	v_lshlrev_b32_e32 v12, 16, v6
	v_mov_b32_e32 v13, 0x3b800000
	v_lshlrev_b32_e32 v10, 20, v10
	v_and_b32_e32 v12, 0x80000000, v12
	v_lshl_add_u32 v11, v11, 23, v13
	v_or3_b32 v10, v12, v11, v10
.LBB5_140:
	s_or_b64 exec, exec, s[6:7]
	v_lshrrev_b32_e32 v11, 8, v2
	s_movk_i32 s4, 0x7f
	v_cmp_gt_i16_sdwa s[6:7], v11, s4 src0_sel:BYTE_0 src1_sel:DWORD
	s_mov_b64 s[4:5], 0
                                        ; implicit-def: $sgpr10
	s_and_saveexec_b64 s[8:9], s[6:7]
	s_xor_b64 s[6:7], exec, s[8:9]
	s_cbranch_execnz .LBB5_2189
; %bb.141:
	s_or_saveexec_b64 s[6:7], s[6:7]
	v_mov_b32_e32 v12, s10
	s_xor_b64 exec, exec, s[6:7]
	s_cbranch_execnz .LBB5_2192
.LBB5_142:
	s_or_b64 exec, exec, s[6:7]
	s_and_saveexec_b64 s[6:7], s[4:5]
	s_cbranch_execz .LBB5_144
.LBB5_143:
	v_bfe_u32 v12, v2, 8, 3
	v_ffbh_u32_e32 v14, v12
	v_min_u32_e32 v14, 32, v14
	v_lshrrev_b16_e32 v13, 3, v11
	v_subrev_u32_e32 v15, 28, v14
	v_and_b32_e32 v13, 15, v13
	v_lshlrev_b32_e32 v11, v15, v11
	v_sub_u32_e32 v14, 29, v14
	v_and_b32_e32 v11, 7, v11
	v_cmp_eq_u16_e32 vcc, 0, v13
	v_cndmask_b32_e32 v11, v12, v11, vcc
	v_cndmask_b32_e32 v12, v13, v14, vcc
	v_lshlrev_b32_e32 v13, 16, v2
	v_mov_b32_e32 v14, 0x3b800000
	v_lshlrev_b32_e32 v11, 20, v11
	v_and_b32_e32 v13, 0x80000000, v13
	v_lshl_add_u32 v12, v12, 23, v14
	v_or3_b32 v12, v13, v12, v11
.LBB5_144:
	s_or_b64 exec, exec, s[6:7]
	s_nop 0
	v_mfma_f32_16x16x4f32 a[0:3], v10, v12, a[0:3]
	s_movk_i32 s4, 0xff
	v_and_b32_sdwa v11, v6, s4 dst_sel:DWORD dst_unused:UNUSED_PAD src0_sel:WORD_1 src1_sel:DWORD
	s_movk_i32 s4, 0x7f
	v_cmp_lt_i16_e32 vcc, s4, v11
	s_mov_b64 s[4:5], 0
                                        ; implicit-def: $sgpr10
	s_and_saveexec_b64 s[6:7], vcc
	s_xor_b64 s[6:7], exec, s[6:7]
	s_cbranch_execnz .LBB5_2193
; %bb.145:
	s_or_saveexec_b64 s[6:7], s[6:7]
	v_mov_b32_e32 v10, s10
	s_xor_b64 exec, exec, s[6:7]
	s_cbranch_execnz .LBB5_2196
.LBB5_146:
	s_or_b64 exec, exec, s[6:7]
	s_and_saveexec_b64 s[6:7], s[4:5]
	s_cbranch_execz .LBB5_148
.LBB5_147:
	v_bfe_u32 v10, v6, 16, 3
	v_ffbh_u32_e32 v13, v10
	v_min_u32_e32 v13, 32, v13
	v_lshrrev_b32_e32 v11, 19, v6
	v_subrev_u32_e32 v14, 28, v13
	v_and_b32_e32 v11, 15, v11
	v_lshlrev_b32_sdwa v14, v14, v6 dst_sel:DWORD dst_unused:UNUSED_PAD src0_sel:DWORD src1_sel:WORD_1
	v_bfe_u32 v12, v6, 19, 4
	v_sub_u32_e32 v13, 29, v13
	v_and_b32_e32 v14, 7, v14
	v_cmp_eq_u16_e32 vcc, 0, v11
	v_cndmask_b32_e32 v10, v10, v14, vcc
	v_cndmask_b32_e32 v11, v12, v13, vcc
	v_lshlrev_b32_e32 v12, 8, v6
	v_mov_b32_e32 v13, 0x3b800000
	v_lshlrev_b32_e32 v10, 20, v10
	v_and_b32_e32 v12, 0x80000000, v12
	v_lshl_add_u32 v11, v11, 23, v13
	v_or3_b32 v10, v12, v11, v10
.LBB5_148:
	s_or_b64 exec, exec, s[6:7]
	s_movk_i32 s4, 0xff
	v_and_b32_sdwa v11, v2, s4 dst_sel:DWORD dst_unused:UNUSED_PAD src0_sel:WORD_1 src1_sel:DWORD
	s_movk_i32 s4, 0x7f
	v_cmp_lt_i16_e32 vcc, s4, v11
	s_mov_b64 s[4:5], 0
                                        ; implicit-def: $sgpr10
	s_and_saveexec_b64 s[6:7], vcc
	s_xor_b64 s[6:7], exec, s[6:7]
	s_cbranch_execnz .LBB5_2197
; %bb.149:
	s_or_saveexec_b64 s[6:7], s[6:7]
	v_mov_b32_e32 v12, s10
	s_xor_b64 exec, exec, s[6:7]
	s_cbranch_execnz .LBB5_2200
.LBB5_150:
	s_or_b64 exec, exec, s[6:7]
	s_and_saveexec_b64 s[6:7], s[4:5]
	s_cbranch_execz .LBB5_152
.LBB5_151:
	v_bfe_u32 v11, v2, 16, 3
	v_ffbh_u32_e32 v14, v11
	v_min_u32_e32 v14, 32, v14
	v_lshrrev_b32_e32 v12, 19, v2
	v_subrev_u32_e32 v15, 28, v14
	v_and_b32_e32 v12, 15, v12
	v_lshlrev_b32_sdwa v15, v15, v2 dst_sel:DWORD dst_unused:UNUSED_PAD src0_sel:DWORD src1_sel:WORD_1
	v_bfe_u32 v13, v2, 19, 4
	v_sub_u32_e32 v14, 29, v14
	v_and_b32_e32 v15, 7, v15
	v_cmp_eq_u16_e32 vcc, 0, v12
	v_cndmask_b32_e32 v11, v11, v15, vcc
	v_cndmask_b32_e32 v12, v13, v14, vcc
	v_lshlrev_b32_e32 v13, 8, v2
	v_mov_b32_e32 v14, 0x3b800000
	v_lshlrev_b32_e32 v11, 20, v11
	v_and_b32_e32 v13, 0x80000000, v13
	v_lshl_add_u32 v12, v12, 23, v14
	v_or3_b32 v12, v13, v12, v11
.LBB5_152:
	s_or_b64 exec, exec, s[6:7]
	s_nop 0
	v_mfma_f32_16x16x4f32 a[0:3], v10, v12, a[0:3]
	s_movk_i32 s4, 0x7f
	v_cmp_gt_i16_sdwa s[6:7], v6, s4 src0_sel:BYTE_3 src1_sel:DWORD
	s_mov_b64 s[4:5], 0
                                        ; implicit-def: $sgpr10
	s_and_saveexec_b64 s[8:9], s[6:7]
	s_xor_b64 s[6:7], exec, s[8:9]
	s_cbranch_execnz .LBB5_2201
; %bb.153:
	s_or_saveexec_b64 s[6:7], s[6:7]
	v_mov_b32_e32 v10, s10
	s_xor_b64 exec, exec, s[6:7]
	s_cbranch_execnz .LBB5_2204
.LBB5_154:
	s_or_b64 exec, exec, s[6:7]
	s_and_saveexec_b64 s[6:7], s[4:5]
	s_cbranch_execz .LBB5_156
.LBB5_155:
	v_bfe_u32 v10, v6, 24, 3
	v_ffbh_u32_e32 v14, v10
	v_min_u32_e32 v14, 32, v14
	v_lshrrev_b32_e32 v12, 27, v6
	v_subrev_u32_e32 v15, 28, v14
	v_and_b32_e32 v11, 0x80000000, v6
	v_and_b32_e32 v12, 15, v12
	v_bfe_u32 v13, v6, 27, 4
	v_lshlrev_b32_sdwa v6, v15, v6 dst_sel:DWORD dst_unused:UNUSED_PAD src0_sel:DWORD src1_sel:BYTE_3
	v_sub_u32_e32 v14, 29, v14
	v_and_b32_e32 v6, 7, v6
	v_cmp_eq_u16_e32 vcc, 0, v12
	v_cndmask_b32_e32 v6, v10, v6, vcc
	v_cndmask_b32_e32 v10, v13, v14, vcc
	v_mov_b32_e32 v12, 0x3b800000
	v_lshlrev_b32_e32 v6, 20, v6
	v_lshl_add_u32 v10, v10, 23, v12
	v_or3_b32 v10, v11, v10, v6
.LBB5_156:
	s_or_b64 exec, exec, s[6:7]
	s_movk_i32 s4, 0x7f
	v_cmp_gt_i16_sdwa s[6:7], v2, s4 src0_sel:BYTE_3 src1_sel:DWORD
	s_mov_b64 s[4:5], 0
                                        ; implicit-def: $sgpr10
	s_and_saveexec_b64 s[8:9], s[6:7]
	s_xor_b64 s[6:7], exec, s[8:9]
	s_cbranch_execnz .LBB5_2205
; %bb.157:
	s_or_saveexec_b64 s[6:7], s[6:7]
	v_mov_b32_e32 v6, s10
	s_xor_b64 exec, exec, s[6:7]
	s_cbranch_execnz .LBB5_2208
.LBB5_158:
	s_or_b64 exec, exec, s[6:7]
	s_and_saveexec_b64 s[6:7], s[4:5]
	s_cbranch_execz .LBB5_160
.LBB5_159:
	v_bfe_u32 v6, v2, 24, 3
	v_ffbh_u32_e32 v14, v6
	v_min_u32_e32 v14, 32, v14
	v_lshrrev_b32_e32 v12, 27, v2
	v_subrev_u32_e32 v15, 28, v14
	v_and_b32_e32 v11, 0x80000000, v2
	v_and_b32_e32 v12, 15, v12
	v_bfe_u32 v13, v2, 27, 4
	v_lshlrev_b32_sdwa v2, v15, v2 dst_sel:DWORD dst_unused:UNUSED_PAD src0_sel:DWORD src1_sel:BYTE_3
	v_sub_u32_e32 v14, 29, v14
	v_and_b32_e32 v2, 7, v2
	v_cmp_eq_u16_e32 vcc, 0, v12
	v_cndmask_b32_e32 v2, v6, v2, vcc
	v_cndmask_b32_e32 v6, v13, v14, vcc
	v_mov_b32_e32 v12, 0x3b800000
	v_lshlrev_b32_e32 v2, 20, v2
	v_lshl_add_u32 v6, v6, 23, v12
	v_or3_b32 v6, v11, v6, v2
.LBB5_160:
	s_or_b64 exec, exec, s[6:7]
	s_nop 0
	v_mfma_f32_16x16x4f32 a[0:3], v10, v6, a[0:3]
	s_movk_i32 s4, 0x7f
	v_cmp_gt_i16_sdwa s[6:7], v7, s4 src0_sel:BYTE_0 src1_sel:DWORD
	s_mov_b64 s[4:5], 0
                                        ; implicit-def: $sgpr10
	s_and_saveexec_b64 s[8:9], s[6:7]
	s_xor_b64 s[6:7], exec, s[8:9]
	s_cbranch_execnz .LBB5_2209
; %bb.161:
	s_or_saveexec_b64 s[6:7], s[6:7]
	v_mov_b32_e32 v2, s10
	s_xor_b64 exec, exec, s[6:7]
	s_cbranch_execnz .LBB5_2212
.LBB5_162:
	s_or_b64 exec, exec, s[6:7]
	s_and_saveexec_b64 s[6:7], s[4:5]
	s_cbranch_execz .LBB5_164
.LBB5_163:
	v_and_b32_e32 v2, 7, v7
	v_ffbh_u32_e32 v10, v2
	v_min_u32_e32 v10, 32, v10
	v_lshrrev_b16_e32 v6, 3, v7
	v_subrev_u32_e32 v11, 28, v10
	v_and_b32_e32 v6, 15, v6
	v_lshlrev_b32_e32 v11, v11, v7
	v_sub_u32_e32 v10, 29, v10
	v_and_b32_e32 v11, 7, v11
	v_cmp_eq_u16_e32 vcc, 0, v6
	v_cndmask_b32_e32 v2, v2, v11, vcc
	v_cndmask_b32_e32 v6, v6, v10, vcc
	v_lshlrev_b32_e32 v10, 24, v7
	v_mov_b32_e32 v11, 0x3b800000
	v_lshlrev_b32_e32 v2, 20, v2
	v_and_b32_e32 v10, 0x80000000, v10
	v_lshl_add_u32 v6, v6, 23, v11
	v_or3_b32 v2, v10, v6, v2
.LBB5_164:
	s_or_b64 exec, exec, s[6:7]
	s_movk_i32 s4, 0x7f
	v_cmp_gt_i16_sdwa s[6:7], v3, s4 src0_sel:BYTE_0 src1_sel:DWORD
	s_mov_b64 s[4:5], 0
                                        ; implicit-def: $sgpr10
	s_and_saveexec_b64 s[8:9], s[6:7]
	s_xor_b64 s[6:7], exec, s[8:9]
	s_cbranch_execnz .LBB5_2213
; %bb.165:
	s_or_saveexec_b64 s[6:7], s[6:7]
	v_mov_b32_e32 v6, s10
	s_xor_b64 exec, exec, s[6:7]
	s_cbranch_execnz .LBB5_2216
.LBB5_166:
	s_or_b64 exec, exec, s[6:7]
	s_and_saveexec_b64 s[6:7], s[4:5]
	s_cbranch_execz .LBB5_168
.LBB5_167:
	v_and_b32_e32 v6, 7, v3
	v_ffbh_u32_e32 v11, v6
	v_min_u32_e32 v11, 32, v11
	v_lshrrev_b16_e32 v10, 3, v3
	v_subrev_u32_e32 v12, 28, v11
	v_and_b32_e32 v10, 15, v10
	v_lshlrev_b32_e32 v12, v12, v3
	v_sub_u32_e32 v11, 29, v11
	v_and_b32_e32 v12, 7, v12
	v_cmp_eq_u16_e32 vcc, 0, v10
	v_cndmask_b32_e32 v6, v6, v12, vcc
	v_cndmask_b32_e32 v10, v10, v11, vcc
	v_lshlrev_b32_e32 v11, 24, v3
	v_mov_b32_e32 v12, 0x3b800000
	v_lshlrev_b32_e32 v6, 20, v6
	v_and_b32_e32 v11, 0x80000000, v11
	v_lshl_add_u32 v10, v10, 23, v12
	v_or3_b32 v6, v11, v10, v6
.LBB5_168:
	s_or_b64 exec, exec, s[6:7]
	s_nop 0
	v_mfma_f32_16x16x4f32 a[0:3], v2, v6, a[0:3]
	v_lshrrev_b32_e32 v6, 8, v7
	s_movk_i32 s4, 0x7f
	v_cmp_gt_i16_sdwa s[6:7], v6, s4 src0_sel:BYTE_0 src1_sel:DWORD
	s_mov_b64 s[4:5], 0
                                        ; implicit-def: $sgpr10
	s_and_saveexec_b64 s[8:9], s[6:7]
	s_xor_b64 s[6:7], exec, s[8:9]
	s_cbranch_execnz .LBB5_2217
; %bb.169:
	s_or_saveexec_b64 s[6:7], s[6:7]
	v_mov_b32_e32 v2, s10
	s_xor_b64 exec, exec, s[6:7]
	s_cbranch_execnz .LBB5_2220
.LBB5_170:
	s_or_b64 exec, exec, s[6:7]
	s_and_saveexec_b64 s[6:7], s[4:5]
	s_cbranch_execz .LBB5_172
.LBB5_171:
	v_bfe_u32 v2, v7, 8, 3
	v_ffbh_u32_e32 v11, v2
	v_min_u32_e32 v11, 32, v11
	v_lshrrev_b16_e32 v10, 3, v6
	v_subrev_u32_e32 v12, 28, v11
	v_and_b32_e32 v10, 15, v10
	v_lshlrev_b32_e32 v6, v12, v6
	v_sub_u32_e32 v11, 29, v11
	v_and_b32_e32 v6, 7, v6
	v_cmp_eq_u16_e32 vcc, 0, v10
	v_cndmask_b32_e32 v2, v2, v6, vcc
	v_cndmask_b32_e32 v6, v10, v11, vcc
	v_lshlrev_b32_e32 v10, 16, v7
	v_mov_b32_e32 v11, 0x3b800000
	v_lshlrev_b32_e32 v2, 20, v2
	v_and_b32_e32 v10, 0x80000000, v10
	v_lshl_add_u32 v6, v6, 23, v11
	v_or3_b32 v2, v10, v6, v2
.LBB5_172:
	s_or_b64 exec, exec, s[6:7]
	v_lshrrev_b32_e32 v6, 8, v3
	s_movk_i32 s4, 0x7f
	v_cmp_gt_i16_sdwa s[6:7], v6, s4 src0_sel:BYTE_0 src1_sel:DWORD
	s_mov_b64 s[4:5], 0
                                        ; implicit-def: $sgpr10
	s_and_saveexec_b64 s[8:9], s[6:7]
	s_xor_b64 s[6:7], exec, s[8:9]
	s_cbranch_execnz .LBB5_2221
; %bb.173:
	s_or_saveexec_b64 s[6:7], s[6:7]
	v_mov_b32_e32 v10, s10
	s_xor_b64 exec, exec, s[6:7]
	s_cbranch_execnz .LBB5_2224
.LBB5_174:
	s_or_b64 exec, exec, s[6:7]
	s_and_saveexec_b64 s[6:7], s[4:5]
	s_cbranch_execz .LBB5_176
.LBB5_175:
	v_bfe_u32 v10, v3, 8, 3
	v_ffbh_u32_e32 v12, v10
	v_min_u32_e32 v12, 32, v12
	v_lshrrev_b16_e32 v11, 3, v6
	v_subrev_u32_e32 v13, 28, v12
	v_and_b32_e32 v11, 15, v11
	v_lshlrev_b32_e32 v6, v13, v6
	v_sub_u32_e32 v12, 29, v12
	v_and_b32_e32 v6, 7, v6
	v_cmp_eq_u16_e32 vcc, 0, v11
	v_cndmask_b32_e32 v6, v10, v6, vcc
	v_cndmask_b32_e32 v10, v11, v12, vcc
	v_lshlrev_b32_e32 v11, 16, v3
	v_mov_b32_e32 v12, 0x3b800000
	v_lshlrev_b32_e32 v6, 20, v6
	v_and_b32_e32 v11, 0x80000000, v11
	v_lshl_add_u32 v10, v10, 23, v12
	v_or3_b32 v10, v11, v10, v6
.LBB5_176:
	s_or_b64 exec, exec, s[6:7]
	s_nop 0
	v_mfma_f32_16x16x4f32 a[0:3], v2, v10, a[0:3]
	s_movk_i32 s4, 0xff
	v_and_b32_sdwa v6, v7, s4 dst_sel:DWORD dst_unused:UNUSED_PAD src0_sel:WORD_1 src1_sel:DWORD
	s_movk_i32 s4, 0x7f
	v_cmp_lt_i16_e32 vcc, s4, v6
	s_mov_b64 s[4:5], 0
                                        ; implicit-def: $sgpr10
	s_and_saveexec_b64 s[6:7], vcc
	s_xor_b64 s[6:7], exec, s[6:7]
	s_cbranch_execnz .LBB5_2225
; %bb.177:
	s_or_saveexec_b64 s[6:7], s[6:7]
	v_mov_b32_e32 v2, s10
	s_xor_b64 exec, exec, s[6:7]
	s_cbranch_execnz .LBB5_2228
.LBB5_178:
	s_or_b64 exec, exec, s[6:7]
	s_and_saveexec_b64 s[6:7], s[4:5]
	s_cbranch_execz .LBB5_180
.LBB5_179:
	v_bfe_u32 v2, v7, 16, 3
	v_ffbh_u32_e32 v11, v2
	v_min_u32_e32 v11, 32, v11
	v_lshrrev_b32_e32 v6, 19, v7
	v_subrev_u32_e32 v12, 28, v11
	v_and_b32_e32 v6, 15, v6
	v_lshlrev_b32_sdwa v12, v12, v7 dst_sel:DWORD dst_unused:UNUSED_PAD src0_sel:DWORD src1_sel:WORD_1
	v_bfe_u32 v10, v7, 19, 4
	v_sub_u32_e32 v11, 29, v11
	v_and_b32_e32 v12, 7, v12
	v_cmp_eq_u16_e32 vcc, 0, v6
	v_cndmask_b32_e32 v2, v2, v12, vcc
	v_cndmask_b32_e32 v6, v10, v11, vcc
	v_lshlrev_b32_e32 v10, 8, v7
	v_mov_b32_e32 v11, 0x3b800000
	v_lshlrev_b32_e32 v2, 20, v2
	v_and_b32_e32 v10, 0x80000000, v10
	v_lshl_add_u32 v6, v6, 23, v11
	v_or3_b32 v2, v10, v6, v2
.LBB5_180:
	s_or_b64 exec, exec, s[6:7]
	s_movk_i32 s4, 0xff
	v_and_b32_sdwa v6, v3, s4 dst_sel:DWORD dst_unused:UNUSED_PAD src0_sel:WORD_1 src1_sel:DWORD
	s_movk_i32 s4, 0x7f
	v_cmp_lt_i16_e32 vcc, s4, v6
	s_mov_b64 s[4:5], 0
                                        ; implicit-def: $sgpr10
	s_and_saveexec_b64 s[6:7], vcc
	s_xor_b64 s[6:7], exec, s[6:7]
	s_cbranch_execnz .LBB5_2229
; %bb.181:
	s_or_saveexec_b64 s[6:7], s[6:7]
	v_mov_b32_e32 v10, s10
	s_xor_b64 exec, exec, s[6:7]
	s_cbranch_execnz .LBB5_2232
.LBB5_182:
	s_or_b64 exec, exec, s[6:7]
	s_and_saveexec_b64 s[6:7], s[4:5]
	s_cbranch_execz .LBB5_184
.LBB5_183:
	v_bfe_u32 v6, v3, 16, 3
	v_ffbh_u32_e32 v12, v6
	v_min_u32_e32 v12, 32, v12
	v_lshrrev_b32_e32 v10, 19, v3
	v_subrev_u32_e32 v13, 28, v12
	v_and_b32_e32 v10, 15, v10
	v_lshlrev_b32_sdwa v13, v13, v3 dst_sel:DWORD dst_unused:UNUSED_PAD src0_sel:DWORD src1_sel:WORD_1
	v_bfe_u32 v11, v3, 19, 4
	v_sub_u32_e32 v12, 29, v12
	v_and_b32_e32 v13, 7, v13
	v_cmp_eq_u16_e32 vcc, 0, v10
	v_cndmask_b32_e32 v6, v6, v13, vcc
	v_cndmask_b32_e32 v10, v11, v12, vcc
	v_lshlrev_b32_e32 v11, 8, v3
	v_mov_b32_e32 v12, 0x3b800000
	v_lshlrev_b32_e32 v6, 20, v6
	v_and_b32_e32 v11, 0x80000000, v11
	v_lshl_add_u32 v10, v10, 23, v12
	v_or3_b32 v10, v11, v10, v6
.LBB5_184:
	s_or_b64 exec, exec, s[6:7]
	s_nop 0
	v_mfma_f32_16x16x4f32 a[0:3], v2, v10, a[0:3]
	s_movk_i32 s4, 0x7f
	v_cmp_gt_i16_sdwa s[6:7], v7, s4 src0_sel:BYTE_3 src1_sel:DWORD
	s_mov_b64 s[4:5], 0
                                        ; implicit-def: $sgpr10
	s_and_saveexec_b64 s[8:9], s[6:7]
	s_xor_b64 s[6:7], exec, s[8:9]
	s_cbranch_execnz .LBB5_2233
; %bb.185:
	s_or_saveexec_b64 s[6:7], s[6:7]
	v_mov_b32_e32 v2, s10
	s_xor_b64 exec, exec, s[6:7]
	s_cbranch_execnz .LBB5_2236
.LBB5_186:
	s_or_b64 exec, exec, s[6:7]
	s_and_saveexec_b64 s[6:7], s[4:5]
	s_cbranch_execz .LBB5_188
.LBB5_187:
	v_bfe_u32 v2, v7, 24, 3
	v_ffbh_u32_e32 v12, v2
	v_min_u32_e32 v12, 32, v12
	v_lshrrev_b32_e32 v10, 27, v7
	v_subrev_u32_e32 v13, 28, v12
	v_and_b32_e32 v6, 0x80000000, v7
	v_and_b32_e32 v10, 15, v10
	v_bfe_u32 v11, v7, 27, 4
	v_lshlrev_b32_sdwa v7, v13, v7 dst_sel:DWORD dst_unused:UNUSED_PAD src0_sel:DWORD src1_sel:BYTE_3
	v_sub_u32_e32 v12, 29, v12
	v_and_b32_e32 v7, 7, v7
	v_cmp_eq_u16_e32 vcc, 0, v10
	v_cndmask_b32_e32 v2, v2, v7, vcc
	v_cndmask_b32_e32 v7, v11, v12, vcc
	v_mov_b32_e32 v10, 0x3b800000
	v_lshlrev_b32_e32 v2, 20, v2
	v_lshl_add_u32 v7, v7, 23, v10
	v_or3_b32 v2, v6, v7, v2
.LBB5_188:
	s_or_b64 exec, exec, s[6:7]
	s_movk_i32 s4, 0x7f
	v_cmp_gt_i16_sdwa s[6:7], v3, s4 src0_sel:BYTE_3 src1_sel:DWORD
	s_mov_b64 s[4:5], 0
                                        ; implicit-def: $sgpr10
	s_and_saveexec_b64 s[8:9], s[6:7]
	s_xor_b64 s[6:7], exec, s[8:9]
	s_cbranch_execnz .LBB5_2237
; %bb.189:
	s_or_saveexec_b64 s[6:7], s[6:7]
	v_mov_b32_e32 v6, s10
	s_xor_b64 exec, exec, s[6:7]
	s_cbranch_execnz .LBB5_2240
.LBB5_190:
	s_or_b64 exec, exec, s[6:7]
	s_and_saveexec_b64 s[6:7], s[4:5]
	s_cbranch_execz .LBB5_192
.LBB5_191:
	v_bfe_u32 v6, v3, 24, 3
	v_ffbh_u32_e32 v12, v6
	v_min_u32_e32 v12, 32, v12
	v_lshrrev_b32_e32 v10, 27, v3
	v_subrev_u32_e32 v13, 28, v12
	v_and_b32_e32 v7, 0x80000000, v3
	v_and_b32_e32 v10, 15, v10
	v_bfe_u32 v11, v3, 27, 4
	v_lshlrev_b32_sdwa v3, v13, v3 dst_sel:DWORD dst_unused:UNUSED_PAD src0_sel:DWORD src1_sel:BYTE_3
	v_sub_u32_e32 v12, 29, v12
	v_and_b32_e32 v3, 7, v3
	v_cmp_eq_u16_e32 vcc, 0, v10
	v_cndmask_b32_e32 v3, v6, v3, vcc
	v_cndmask_b32_e32 v6, v11, v12, vcc
	v_mov_b32_e32 v10, 0x3b800000
	v_lshlrev_b32_e32 v3, 20, v3
	v_lshl_add_u32 v6, v6, 23, v10
	v_or3_b32 v6, v7, v6, v3
.LBB5_192:
	s_or_b64 exec, exec, s[6:7]
	s_nop 0
	v_mfma_f32_16x16x4f32 a[0:3], v2, v6, a[0:3]
	s_movk_i32 s4, 0x7f
	v_cmp_gt_i16_sdwa s[6:7], v8, s4 src0_sel:BYTE_0 src1_sel:DWORD
	s_mov_b64 s[4:5], 0
                                        ; implicit-def: $sgpr10
	s_and_saveexec_b64 s[8:9], s[6:7]
	s_xor_b64 s[6:7], exec, s[8:9]
	s_cbranch_execnz .LBB5_2241
; %bb.193:
	s_or_saveexec_b64 s[6:7], s[6:7]
	v_mov_b32_e32 v2, s10
	s_xor_b64 exec, exec, s[6:7]
	s_cbranch_execnz .LBB5_2244
.LBB5_194:
	s_or_b64 exec, exec, s[6:7]
	s_and_saveexec_b64 s[6:7], s[4:5]
	s_cbranch_execz .LBB5_196
.LBB5_195:
	v_and_b32_e32 v2, 7, v8
	v_ffbh_u32_e32 v6, v2
	v_min_u32_e32 v6, 32, v6
	v_lshrrev_b16_e32 v3, 3, v8
	v_subrev_u32_e32 v7, 28, v6
	v_and_b32_e32 v3, 15, v3
	v_lshlrev_b32_e32 v7, v7, v8
	v_sub_u32_e32 v6, 29, v6
	v_and_b32_e32 v7, 7, v7
	v_cmp_eq_u16_e32 vcc, 0, v3
	v_cndmask_b32_e32 v2, v2, v7, vcc
	v_cndmask_b32_e32 v3, v3, v6, vcc
	v_lshlrev_b32_e32 v6, 24, v8
	v_mov_b32_e32 v7, 0x3b800000
	v_lshlrev_b32_e32 v2, 20, v2
	v_and_b32_e32 v6, 0x80000000, v6
	v_lshl_add_u32 v3, v3, 23, v7
	v_or3_b32 v2, v6, v3, v2
.LBB5_196:
	s_or_b64 exec, exec, s[6:7]
	s_movk_i32 s4, 0x7f
	v_cmp_gt_i16_sdwa s[6:7], v4, s4 src0_sel:BYTE_0 src1_sel:DWORD
	s_mov_b64 s[4:5], 0
                                        ; implicit-def: $sgpr10
	s_and_saveexec_b64 s[8:9], s[6:7]
	s_xor_b64 s[6:7], exec, s[8:9]
	s_cbranch_execnz .LBB5_2245
; %bb.197:
	s_or_saveexec_b64 s[6:7], s[6:7]
	v_mov_b32_e32 v3, s10
	s_xor_b64 exec, exec, s[6:7]
	s_cbranch_execnz .LBB5_2248
.LBB5_198:
	s_or_b64 exec, exec, s[6:7]
	s_and_saveexec_b64 s[6:7], s[4:5]
	s_cbranch_execz .LBB5_200
.LBB5_199:
	v_and_b32_e32 v3, 7, v4
	v_ffbh_u32_e32 v7, v3
	v_min_u32_e32 v7, 32, v7
	v_lshrrev_b16_e32 v6, 3, v4
	v_subrev_u32_e32 v10, 28, v7
	v_and_b32_e32 v6, 15, v6
	v_lshlrev_b32_e32 v10, v10, v4
	v_sub_u32_e32 v7, 29, v7
	v_and_b32_e32 v10, 7, v10
	v_cmp_eq_u16_e32 vcc, 0, v6
	v_cndmask_b32_e32 v3, v3, v10, vcc
	v_cndmask_b32_e32 v6, v6, v7, vcc
	v_lshlrev_b32_e32 v7, 24, v4
	v_mov_b32_e32 v10, 0x3b800000
	v_lshlrev_b32_e32 v3, 20, v3
	v_and_b32_e32 v7, 0x80000000, v7
	v_lshl_add_u32 v6, v6, 23, v10
	v_or3_b32 v3, v7, v6, v3
.LBB5_200:
	s_or_b64 exec, exec, s[6:7]
	s_nop 0
	v_mfma_f32_16x16x4f32 a[0:3], v2, v3, a[0:3]
	v_lshrrev_b32_e32 v3, 8, v8
	s_movk_i32 s4, 0x7f
	v_cmp_gt_i16_sdwa s[6:7], v3, s4 src0_sel:BYTE_0 src1_sel:DWORD
	s_mov_b64 s[4:5], 0
                                        ; implicit-def: $sgpr10
	s_and_saveexec_b64 s[8:9], s[6:7]
	s_xor_b64 s[6:7], exec, s[8:9]
	s_cbranch_execnz .LBB5_2249
; %bb.201:
	s_or_saveexec_b64 s[6:7], s[6:7]
	v_mov_b32_e32 v2, s10
	s_xor_b64 exec, exec, s[6:7]
	s_cbranch_execnz .LBB5_2252
.LBB5_202:
	s_or_b64 exec, exec, s[6:7]
	s_and_saveexec_b64 s[6:7], s[4:5]
	s_cbranch_execz .LBB5_204
.LBB5_203:
	v_bfe_u32 v2, v8, 8, 3
	v_ffbh_u32_e32 v7, v2
	v_min_u32_e32 v7, 32, v7
	v_lshrrev_b16_e32 v6, 3, v3
	v_subrev_u32_e32 v10, 28, v7
	v_and_b32_e32 v6, 15, v6
	v_lshlrev_b32_e32 v3, v10, v3
	v_sub_u32_e32 v7, 29, v7
	v_and_b32_e32 v3, 7, v3
	v_cmp_eq_u16_e32 vcc, 0, v6
	v_cndmask_b32_e32 v2, v2, v3, vcc
	v_cndmask_b32_e32 v3, v6, v7, vcc
	v_lshlrev_b32_e32 v6, 16, v8
	v_mov_b32_e32 v7, 0x3b800000
	v_lshlrev_b32_e32 v2, 20, v2
	v_and_b32_e32 v6, 0x80000000, v6
	v_lshl_add_u32 v3, v3, 23, v7
	v_or3_b32 v2, v6, v3, v2
.LBB5_204:
	s_or_b64 exec, exec, s[6:7]
	v_lshrrev_b32_e32 v3, 8, v4
	s_movk_i32 s4, 0x7f
	v_cmp_gt_i16_sdwa s[6:7], v3, s4 src0_sel:BYTE_0 src1_sel:DWORD
	s_mov_b64 s[4:5], 0
                                        ; implicit-def: $sgpr10
	s_and_saveexec_b64 s[8:9], s[6:7]
	s_xor_b64 s[6:7], exec, s[8:9]
	s_cbranch_execnz .LBB5_2253
; %bb.205:
	s_or_saveexec_b64 s[6:7], s[6:7]
	v_mov_b32_e32 v6, s10
	s_xor_b64 exec, exec, s[6:7]
	s_cbranch_execnz .LBB5_2256
.LBB5_206:
	s_or_b64 exec, exec, s[6:7]
	s_and_saveexec_b64 s[6:7], s[4:5]
	s_cbranch_execz .LBB5_208
.LBB5_207:
	v_bfe_u32 v6, v4, 8, 3
	v_ffbh_u32_e32 v10, v6
	v_min_u32_e32 v10, 32, v10
	v_lshrrev_b16_e32 v7, 3, v3
	v_subrev_u32_e32 v11, 28, v10
	v_and_b32_e32 v7, 15, v7
	v_lshlrev_b32_e32 v3, v11, v3
	v_sub_u32_e32 v10, 29, v10
	v_and_b32_e32 v3, 7, v3
	v_cmp_eq_u16_e32 vcc, 0, v7
	v_cndmask_b32_e32 v3, v6, v3, vcc
	v_cndmask_b32_e32 v6, v7, v10, vcc
	v_lshlrev_b32_e32 v7, 16, v4
	v_mov_b32_e32 v10, 0x3b800000
	v_lshlrev_b32_e32 v3, 20, v3
	v_and_b32_e32 v7, 0x80000000, v7
	v_lshl_add_u32 v6, v6, 23, v10
	v_or3_b32 v6, v7, v6, v3
.LBB5_208:
	s_or_b64 exec, exec, s[6:7]
	s_nop 0
	v_mfma_f32_16x16x4f32 a[0:3], v2, v6, a[0:3]
	s_movk_i32 s4, 0xff
	v_and_b32_sdwa v3, v8, s4 dst_sel:DWORD dst_unused:UNUSED_PAD src0_sel:WORD_1 src1_sel:DWORD
	s_movk_i32 s4, 0x7f
	v_cmp_lt_i16_e32 vcc, s4, v3
	s_mov_b64 s[4:5], 0
                                        ; implicit-def: $sgpr10
	s_and_saveexec_b64 s[6:7], vcc
	s_xor_b64 s[6:7], exec, s[6:7]
	s_cbranch_execnz .LBB5_2257
; %bb.209:
	s_or_saveexec_b64 s[6:7], s[6:7]
	v_mov_b32_e32 v2, s10
	s_xor_b64 exec, exec, s[6:7]
	s_cbranch_execnz .LBB5_2260
.LBB5_210:
	s_or_b64 exec, exec, s[6:7]
	s_and_saveexec_b64 s[6:7], s[4:5]
	s_cbranch_execz .LBB5_212
.LBB5_211:
	v_bfe_u32 v2, v8, 16, 3
	v_ffbh_u32_e32 v7, v2
	v_min_u32_e32 v7, 32, v7
	v_lshrrev_b32_e32 v3, 19, v8
	v_subrev_u32_e32 v10, 28, v7
	v_and_b32_e32 v3, 15, v3
	v_lshlrev_b32_sdwa v10, v10, v8 dst_sel:DWORD dst_unused:UNUSED_PAD src0_sel:DWORD src1_sel:WORD_1
	v_bfe_u32 v6, v8, 19, 4
	v_sub_u32_e32 v7, 29, v7
	v_and_b32_e32 v10, 7, v10
	v_cmp_eq_u16_e32 vcc, 0, v3
	v_cndmask_b32_e32 v2, v2, v10, vcc
	v_cndmask_b32_e32 v3, v6, v7, vcc
	v_lshlrev_b32_e32 v6, 8, v8
	v_mov_b32_e32 v7, 0x3b800000
	v_lshlrev_b32_e32 v2, 20, v2
	v_and_b32_e32 v6, 0x80000000, v6
	v_lshl_add_u32 v3, v3, 23, v7
	v_or3_b32 v2, v6, v3, v2
.LBB5_212:
	s_or_b64 exec, exec, s[6:7]
	s_movk_i32 s4, 0xff
	v_and_b32_sdwa v3, v4, s4 dst_sel:DWORD dst_unused:UNUSED_PAD src0_sel:WORD_1 src1_sel:DWORD
	s_movk_i32 s4, 0x7f
	v_cmp_lt_i16_e32 vcc, s4, v3
	s_mov_b64 s[4:5], 0
                                        ; implicit-def: $sgpr10
	s_and_saveexec_b64 s[6:7], vcc
	s_xor_b64 s[6:7], exec, s[6:7]
	s_cbranch_execnz .LBB5_2261
; %bb.213:
	s_or_saveexec_b64 s[6:7], s[6:7]
	v_mov_b32_e32 v6, s10
	s_xor_b64 exec, exec, s[6:7]
	s_cbranch_execnz .LBB5_2264
.LBB5_214:
	s_or_b64 exec, exec, s[6:7]
	s_and_saveexec_b64 s[6:7], s[4:5]
	s_cbranch_execz .LBB5_216
.LBB5_215:
	v_bfe_u32 v3, v4, 16, 3
	v_ffbh_u32_e32 v10, v3
	v_min_u32_e32 v10, 32, v10
	v_lshrrev_b32_e32 v6, 19, v4
	v_subrev_u32_e32 v11, 28, v10
	v_and_b32_e32 v6, 15, v6
	v_lshlrev_b32_sdwa v11, v11, v4 dst_sel:DWORD dst_unused:UNUSED_PAD src0_sel:DWORD src1_sel:WORD_1
	v_bfe_u32 v7, v4, 19, 4
	v_sub_u32_e32 v10, 29, v10
	v_and_b32_e32 v11, 7, v11
	v_cmp_eq_u16_e32 vcc, 0, v6
	v_cndmask_b32_e32 v3, v3, v11, vcc
	v_cndmask_b32_e32 v6, v7, v10, vcc
	v_lshlrev_b32_e32 v7, 8, v4
	v_mov_b32_e32 v10, 0x3b800000
	v_lshlrev_b32_e32 v3, 20, v3
	v_and_b32_e32 v7, 0x80000000, v7
	v_lshl_add_u32 v6, v6, 23, v10
	v_or3_b32 v6, v7, v6, v3
.LBB5_216:
	s_or_b64 exec, exec, s[6:7]
	s_nop 0
	v_mfma_f32_16x16x4f32 a[0:3], v2, v6, a[0:3]
	s_movk_i32 s4, 0x7f
	v_cmp_gt_i16_sdwa s[6:7], v8, s4 src0_sel:BYTE_3 src1_sel:DWORD
	s_mov_b64 s[4:5], 0
                                        ; implicit-def: $sgpr10
	s_and_saveexec_b64 s[8:9], s[6:7]
	s_xor_b64 s[6:7], exec, s[8:9]
	s_cbranch_execnz .LBB5_2265
; %bb.217:
	s_or_saveexec_b64 s[6:7], s[6:7]
	v_mov_b32_e32 v2, s10
	s_xor_b64 exec, exec, s[6:7]
	s_cbranch_execnz .LBB5_2268
.LBB5_218:
	s_or_b64 exec, exec, s[6:7]
	s_and_saveexec_b64 s[6:7], s[4:5]
	s_cbranch_execz .LBB5_220
.LBB5_219:
	v_bfe_u32 v2, v8, 24, 3
	v_ffbh_u32_e32 v10, v2
	v_min_u32_e32 v10, 32, v10
	v_lshrrev_b32_e32 v6, 27, v8
	v_subrev_u32_e32 v11, 28, v10
	v_and_b32_e32 v3, 0x80000000, v8
	v_and_b32_e32 v6, 15, v6
	v_bfe_u32 v7, v8, 27, 4
	v_lshlrev_b32_sdwa v8, v11, v8 dst_sel:DWORD dst_unused:UNUSED_PAD src0_sel:DWORD src1_sel:BYTE_3
	v_sub_u32_e32 v10, 29, v10
	v_and_b32_e32 v8, 7, v8
	v_cmp_eq_u16_e32 vcc, 0, v6
	v_cndmask_b32_e32 v2, v2, v8, vcc
	v_cndmask_b32_e32 v6, v7, v10, vcc
	v_mov_b32_e32 v7, 0x3b800000
	v_lshlrev_b32_e32 v2, 20, v2
	v_lshl_add_u32 v6, v6, 23, v7
	v_or3_b32 v2, v3, v6, v2
.LBB5_220:
	s_or_b64 exec, exec, s[6:7]
	s_movk_i32 s4, 0x7f
	v_cmp_gt_i16_sdwa s[6:7], v4, s4 src0_sel:BYTE_3 src1_sel:DWORD
	s_mov_b64 s[4:5], 0
                                        ; implicit-def: $sgpr10
	s_and_saveexec_b64 s[8:9], s[6:7]
	s_xor_b64 s[6:7], exec, s[8:9]
	s_cbranch_execnz .LBB5_2269
; %bb.221:
	s_or_saveexec_b64 s[6:7], s[6:7]
	v_mov_b32_e32 v3, s10
	s_xor_b64 exec, exec, s[6:7]
	s_cbranch_execnz .LBB5_2272
.LBB5_222:
	s_or_b64 exec, exec, s[6:7]
	s_and_saveexec_b64 s[6:7], s[4:5]
	s_cbranch_execz .LBB5_224
.LBB5_223:
	v_bfe_u32 v3, v4, 24, 3
	v_ffbh_u32_e32 v10, v3
	v_min_u32_e32 v10, 32, v10
	v_lshrrev_b32_e32 v7, 27, v4
	v_subrev_u32_e32 v11, 28, v10
	v_and_b32_e32 v6, 0x80000000, v4
	v_and_b32_e32 v7, 15, v7
	v_bfe_u32 v8, v4, 27, 4
	v_lshlrev_b32_sdwa v4, v11, v4 dst_sel:DWORD dst_unused:UNUSED_PAD src0_sel:DWORD src1_sel:BYTE_3
	v_sub_u32_e32 v10, 29, v10
	v_and_b32_e32 v4, 7, v4
	v_cmp_eq_u16_e32 vcc, 0, v7
	v_cndmask_b32_e32 v3, v3, v4, vcc
	v_cndmask_b32_e32 v4, v8, v10, vcc
	v_mov_b32_e32 v7, 0x3b800000
	v_lshlrev_b32_e32 v3, 20, v3
	v_lshl_add_u32 v4, v4, 23, v7
	v_or3_b32 v3, v6, v4, v3
.LBB5_224:
	s_or_b64 exec, exec, s[6:7]
	s_nop 0
	v_mfma_f32_16x16x4f32 a[0:3], v2, v3, a[0:3]
	s_movk_i32 s4, 0x7f
	v_cmp_gt_i16_sdwa s[6:7], v9, s4 src0_sel:BYTE_0 src1_sel:DWORD
	s_mov_b64 s[4:5], 0
                                        ; implicit-def: $sgpr10
	s_and_saveexec_b64 s[8:9], s[6:7]
	s_xor_b64 s[6:7], exec, s[8:9]
	s_cbranch_execnz .LBB5_2273
; %bb.225:
	s_or_saveexec_b64 s[6:7], s[6:7]
	v_mov_b32_e32 v2, s10
	s_xor_b64 exec, exec, s[6:7]
	s_cbranch_execnz .LBB5_2276
.LBB5_226:
	s_or_b64 exec, exec, s[6:7]
	s_and_saveexec_b64 s[6:7], s[4:5]
	s_cbranch_execz .LBB5_228
.LBB5_227:
	v_mov_b32_e32 v2, 8
	v_and_b32_e32 v3, 7, v9
	v_lshrrev_b32_sdwa v2, v2, v9 dst_sel:BYTE_1 dst_unused:UNUSED_PAD src0_sel:DWORD src1_sel:DWORD
	v_ffbh_u32_e32 v4, v3
	v_or_b32_sdwa v2, v9, v2 dst_sel:DWORD dst_unused:UNUSED_PAD src0_sel:BYTE_0 src1_sel:DWORD
	v_min_u32_e32 v4, 32, v4
	v_lshrrev_b16_e32 v2, 3, v2
	v_subrev_u32_e32 v6, 28, v4
	v_and_b32_e32 v2, 15, v2
	v_lshlrev_b32_e32 v6, v6, v9
	v_sub_u32_e32 v4, 29, v4
	v_and_b32_e32 v6, 7, v6
	v_cmp_eq_u16_e32 vcc, 0, v2
	v_cndmask_b32_e32 v3, v3, v6, vcc
	v_cndmask_b32_e32 v2, v2, v4, vcc
	v_lshlrev_b32_e32 v4, 24, v9
	v_mov_b32_e32 v6, 0x3b800000
	v_lshlrev_b32_e32 v3, 20, v3
	v_and_b32_e32 v4, 0x80000000, v4
	v_lshl_add_u32 v2, v2, 23, v6
	v_or3_b32 v2, v4, v2, v3
.LBB5_228:
	s_or_b64 exec, exec, s[6:7]
	s_movk_i32 s4, 0x7f
	v_cmp_gt_i16_sdwa s[6:7], v5, s4 src0_sel:BYTE_0 src1_sel:DWORD
	s_mov_b64 s[4:5], 0
                                        ; implicit-def: $sgpr10
	s_and_saveexec_b64 s[8:9], s[6:7]
	s_xor_b64 s[6:7], exec, s[8:9]
	s_cbranch_execnz .LBB5_2277
; %bb.229:
	s_or_saveexec_b64 s[6:7], s[6:7]
	v_mov_b32_e32 v3, s10
	s_xor_b64 exec, exec, s[6:7]
	s_cbranch_execnz .LBB5_2280
.LBB5_230:
	s_or_b64 exec, exec, s[6:7]
	s_and_saveexec_b64 s[6:7], s[4:5]
	s_cbranch_execz .LBB5_232
.LBB5_231:
	v_mov_b32_e32 v3, 8
	v_and_b32_e32 v4, 7, v5
	v_lshrrev_b32_sdwa v3, v3, v5 dst_sel:BYTE_1 dst_unused:UNUSED_PAD src0_sel:DWORD src1_sel:DWORD
	v_ffbh_u32_e32 v6, v4
	v_or_b32_sdwa v3, v5, v3 dst_sel:DWORD dst_unused:UNUSED_PAD src0_sel:BYTE_0 src1_sel:DWORD
	v_min_u32_e32 v6, 32, v6
	v_lshrrev_b16_e32 v3, 3, v3
	v_subrev_u32_e32 v7, 28, v6
	v_and_b32_e32 v3, 15, v3
	v_lshlrev_b32_e32 v7, v7, v5
	v_sub_u32_e32 v6, 29, v6
	v_and_b32_e32 v7, 7, v7
	v_cmp_eq_u16_e32 vcc, 0, v3
	v_cndmask_b32_e32 v4, v4, v7, vcc
	v_cndmask_b32_e32 v3, v3, v6, vcc
	v_lshlrev_b32_e32 v6, 24, v5
	v_mov_b32_e32 v7, 0x3b800000
	v_lshlrev_b32_e32 v4, 20, v4
	v_and_b32_e32 v6, 0x80000000, v6
	v_lshl_add_u32 v3, v3, 23, v7
	v_or3_b32 v3, v6, v3, v4
.LBB5_232:
	s_or_b64 exec, exec, s[6:7]
	s_nop 0
	v_mfma_f32_16x16x4f32 a[0:3], v2, v3, a[0:3]
	v_lshrrev_b32_e32 v3, 8, v9
	s_movk_i32 s4, 0x7f
	v_cmp_gt_i16_sdwa s[6:7], v3, s4 src0_sel:BYTE_0 src1_sel:DWORD
	s_mov_b64 s[4:5], 0
                                        ; implicit-def: $sgpr10
	s_and_saveexec_b64 s[8:9], s[6:7]
	s_xor_b64 s[6:7], exec, s[8:9]
	s_cbranch_execnz .LBB5_2281
; %bb.233:
	s_or_saveexec_b64 s[6:7], s[6:7]
	v_mov_b32_e32 v2, s10
	s_xor_b64 exec, exec, s[6:7]
	s_cbranch_execnz .LBB5_2284
.LBB5_234:
	s_or_b64 exec, exec, s[6:7]
	s_and_saveexec_b64 s[6:7], s[4:5]
	s_cbranch_execz .LBB5_236
.LBB5_235:
	v_bfe_u32 v2, v9, 8, 3
	v_ffbh_u32_e32 v6, v2
	v_min_u32_e32 v6, 32, v6
	v_lshrrev_b16_e32 v4, 3, v3
	v_subrev_u32_e32 v7, 28, v6
	v_and_b32_e32 v4, 15, v4
	v_lshlrev_b32_e32 v3, v7, v3
	v_sub_u32_e32 v6, 29, v6
	v_and_b32_e32 v3, 7, v3
	v_cmp_eq_u16_e32 vcc, 0, v4
	v_cndmask_b32_e32 v2, v2, v3, vcc
	v_cndmask_b32_e32 v3, v4, v6, vcc
	v_lshlrev_b32_e32 v4, 16, v9
	v_mov_b32_e32 v6, 0x3b800000
	v_lshlrev_b32_e32 v2, 20, v2
	v_and_b32_e32 v4, 0x80000000, v4
	v_lshl_add_u32 v3, v3, 23, v6
	v_or3_b32 v2, v4, v3, v2
.LBB5_236:
	s_or_b64 exec, exec, s[6:7]
	v_lshrrev_b32_e32 v3, 8, v5
	s_movk_i32 s4, 0x7f
	v_cmp_gt_i16_sdwa s[6:7], v3, s4 src0_sel:BYTE_0 src1_sel:DWORD
	s_mov_b64 s[4:5], 0
                                        ; implicit-def: $sgpr10
	s_and_saveexec_b64 s[8:9], s[6:7]
	s_xor_b64 s[6:7], exec, s[8:9]
	s_cbranch_execnz .LBB5_2285
; %bb.237:
	s_or_saveexec_b64 s[6:7], s[6:7]
	v_mov_b32_e32 v4, s10
	s_xor_b64 exec, exec, s[6:7]
	s_cbranch_execnz .LBB5_2288
.LBB5_238:
	s_or_b64 exec, exec, s[6:7]
	s_and_saveexec_b64 s[6:7], s[4:5]
	s_cbranch_execz .LBB5_240
.LBB5_239:
	v_bfe_u32 v4, v5, 8, 3
	v_ffbh_u32_e32 v7, v4
	v_min_u32_e32 v7, 32, v7
	v_lshrrev_b16_e32 v6, 3, v3
	v_subrev_u32_e32 v8, 28, v7
	v_and_b32_e32 v6, 15, v6
	v_lshlrev_b32_e32 v3, v8, v3
	v_sub_u32_e32 v7, 29, v7
	v_and_b32_e32 v3, 7, v3
	v_cmp_eq_u16_e32 vcc, 0, v6
	v_cndmask_b32_e32 v3, v4, v3, vcc
	v_cndmask_b32_e32 v4, v6, v7, vcc
	v_lshlrev_b32_e32 v6, 16, v5
	v_mov_b32_e32 v7, 0x3b800000
	v_lshlrev_b32_e32 v3, 20, v3
	v_and_b32_e32 v6, 0x80000000, v6
	v_lshl_add_u32 v4, v4, 23, v7
	v_or3_b32 v4, v6, v4, v3
.LBB5_240:
	s_or_b64 exec, exec, s[6:7]
	s_nop 0
	v_mfma_f32_16x16x4f32 a[0:3], v2, v4, a[0:3]
	s_movk_i32 s4, 0xff
	v_and_b32_sdwa v3, v9, s4 dst_sel:DWORD dst_unused:UNUSED_PAD src0_sel:WORD_1 src1_sel:DWORD
	s_movk_i32 s4, 0x7f
	v_cmp_lt_i16_e32 vcc, s4, v3
	s_mov_b64 s[4:5], 0
                                        ; implicit-def: $sgpr10
	s_and_saveexec_b64 s[6:7], vcc
	s_xor_b64 s[6:7], exec, s[6:7]
	s_cbranch_execnz .LBB5_2289
; %bb.241:
	s_or_saveexec_b64 s[6:7], s[6:7]
	v_mov_b32_e32 v2, s10
	s_xor_b64 exec, exec, s[6:7]
	s_cbranch_execnz .LBB5_2292
.LBB5_242:
	s_or_b64 exec, exec, s[6:7]
	s_and_saveexec_b64 s[6:7], s[4:5]
	s_cbranch_execz .LBB5_244
.LBB5_243:
	v_bfe_u32 v2, v9, 16, 3
	v_ffbh_u32_e32 v6, v2
	v_min_u32_e32 v6, 32, v6
	v_lshrrev_b32_e32 v3, 19, v9
	v_subrev_u32_e32 v7, 28, v6
	v_and_b32_e32 v3, 15, v3
	v_lshlrev_b32_sdwa v7, v7, v9 dst_sel:DWORD dst_unused:UNUSED_PAD src0_sel:DWORD src1_sel:WORD_1
	v_bfe_u32 v4, v9, 19, 4
	v_sub_u32_e32 v6, 29, v6
	v_and_b32_e32 v7, 7, v7
	v_cmp_eq_u16_e32 vcc, 0, v3
	v_cndmask_b32_e32 v2, v2, v7, vcc
	v_cndmask_b32_e32 v3, v4, v6, vcc
	v_lshlrev_b32_e32 v4, 8, v9
	v_mov_b32_e32 v6, 0x3b800000
	v_lshlrev_b32_e32 v2, 20, v2
	v_and_b32_e32 v4, 0x80000000, v4
	v_lshl_add_u32 v3, v3, 23, v6
	v_or3_b32 v2, v4, v3, v2
.LBB5_244:
	s_or_b64 exec, exec, s[6:7]
	s_movk_i32 s4, 0xff
	v_and_b32_sdwa v3, v5, s4 dst_sel:DWORD dst_unused:UNUSED_PAD src0_sel:WORD_1 src1_sel:DWORD
	s_movk_i32 s4, 0x7f
	v_cmp_lt_i16_e32 vcc, s4, v3
	s_mov_b64 s[4:5], 0
                                        ; implicit-def: $sgpr10
	s_and_saveexec_b64 s[6:7], vcc
	s_xor_b64 s[6:7], exec, s[6:7]
	s_cbranch_execnz .LBB5_2293
; %bb.245:
	s_or_saveexec_b64 s[6:7], s[6:7]
	v_mov_b32_e32 v4, s10
	s_xor_b64 exec, exec, s[6:7]
	s_cbranch_execnz .LBB5_2296
.LBB5_246:
	s_or_b64 exec, exec, s[6:7]
	s_and_saveexec_b64 s[6:7], s[4:5]
	s_cbranch_execz .LBB5_248
.LBB5_247:
	v_bfe_u32 v3, v5, 16, 3
	v_ffbh_u32_e32 v7, v3
	v_min_u32_e32 v7, 32, v7
	v_lshrrev_b32_e32 v4, 19, v5
	v_subrev_u32_e32 v8, 28, v7
	v_and_b32_e32 v4, 15, v4
	v_lshlrev_b32_sdwa v8, v8, v5 dst_sel:DWORD dst_unused:UNUSED_PAD src0_sel:DWORD src1_sel:WORD_1
	v_bfe_u32 v6, v5, 19, 4
	v_sub_u32_e32 v7, 29, v7
	v_and_b32_e32 v8, 7, v8
	v_cmp_eq_u16_e32 vcc, 0, v4
	v_cndmask_b32_e32 v3, v3, v8, vcc
	v_cndmask_b32_e32 v4, v6, v7, vcc
	v_lshlrev_b32_e32 v6, 8, v5
	v_mov_b32_e32 v7, 0x3b800000
	v_lshlrev_b32_e32 v3, 20, v3
	v_and_b32_e32 v6, 0x80000000, v6
	v_lshl_add_u32 v4, v4, 23, v7
	v_or3_b32 v4, v6, v4, v3
.LBB5_248:
	s_or_b64 exec, exec, s[6:7]
	s_nop 0
	v_mfma_f32_16x16x4f32 a[0:3], v2, v4, a[0:3]
	s_movk_i32 s4, 0x7f
	v_cmp_gt_i16_sdwa s[6:7], v9, s4 src0_sel:BYTE_3 src1_sel:DWORD
	s_mov_b64 s[4:5], 0
                                        ; implicit-def: $sgpr10
	s_and_saveexec_b64 s[8:9], s[6:7]
	s_xor_b64 s[6:7], exec, s[8:9]
	s_cbranch_execnz .LBB5_2297
; %bb.249:
	s_or_saveexec_b64 s[6:7], s[6:7]
	v_mov_b32_e32 v2, s10
	s_xor_b64 exec, exec, s[6:7]
	s_cbranch_execnz .LBB5_2300
.LBB5_250:
	s_or_b64 exec, exec, s[6:7]
	s_and_saveexec_b64 s[6:7], s[4:5]
	s_cbranch_execz .LBB5_252
.LBB5_251:
	v_bfe_u32 v2, v9, 24, 3
	v_ffbh_u32_e32 v7, v2
	v_min_u32_e32 v7, 32, v7
	v_lshrrev_b32_e32 v4, 27, v9
	v_subrev_u32_e32 v8, 28, v7
	v_and_b32_e32 v4, 15, v4
	v_lshlrev_b32_sdwa v8, v8, v9 dst_sel:DWORD dst_unused:UNUSED_PAD src0_sel:DWORD src1_sel:BYTE_3
	v_bfe_u32 v6, v9, 27, 4
	v_sub_u32_e32 v7, 29, v7
	v_and_b32_e32 v8, 7, v8
	v_cmp_eq_u16_e32 vcc, 0, v4
	v_cndmask_b32_e32 v2, v2, v8, vcc
	v_cndmask_b32_e32 v4, v6, v7, vcc
	v_mov_b32_e32 v6, 0x3b800000
	v_and_b32_e32 v3, 0x80000000, v9
	v_lshlrev_b32_e32 v2, 20, v2
	v_lshl_add_u32 v4, v4, 23, v6
	v_or3_b32 v2, v3, v4, v2
.LBB5_252:
	s_or_b64 exec, exec, s[6:7]
	s_movk_i32 s4, 0x7f
	v_cmp_gt_i16_sdwa s[6:7], v5, s4 src0_sel:BYTE_3 src1_sel:DWORD
	s_mov_b64 s[4:5], 0
                                        ; implicit-def: $sgpr10
	s_and_saveexec_b64 s[8:9], s[6:7]
	s_xor_b64 s[6:7], exec, s[8:9]
	s_cbranch_execnz .LBB5_2301
; %bb.253:
	s_or_saveexec_b64 s[6:7], s[6:7]
	v_mov_b32_e32 v3, s10
	s_xor_b64 exec, exec, s[6:7]
	s_cbranch_execnz .LBB5_2304
.LBB5_254:
	s_or_b64 exec, exec, s[6:7]
	s_and_saveexec_b64 s[6:7], s[4:5]
	s_cbranch_execz .LBB5_256
.LBB5_255:
	v_bfe_u32 v3, v5, 24, 3
	v_ffbh_u32_e32 v8, v3
	v_min_u32_e32 v8, 32, v8
	v_lshrrev_b32_e32 v6, 27, v5
	v_subrev_u32_e32 v9, 28, v8
	v_and_b32_e32 v4, 0x80000000, v5
	v_and_b32_e32 v6, 15, v6
	v_bfe_u32 v7, v5, 27, 4
	v_lshlrev_b32_sdwa v5, v9, v5 dst_sel:DWORD dst_unused:UNUSED_PAD src0_sel:DWORD src1_sel:BYTE_3
	v_sub_u32_e32 v8, 29, v8
	v_and_b32_e32 v5, 7, v5
	v_cmp_eq_u16_e32 vcc, 0, v6
	v_cndmask_b32_e32 v3, v3, v5, vcc
	v_cndmask_b32_e32 v5, v7, v8, vcc
	v_mov_b32_e32 v6, 0x3b800000
	v_lshlrev_b32_e32 v3, 20, v3
	v_lshl_add_u32 v5, v5, 23, v6
	v_or3_b32 v3, v4, v5, v3
.LBB5_256:
	s_or_b64 exec, exec, s[6:7]
	s_nop 0
	v_mfma_f32_16x16x4f32 a[0:3], v2, v3, a[0:3]
	s_movk_i32 s4, 0x7f
                                        ; implicit-def: $sgpr10
	s_nop 7
	s_nop 1
	flat_store_dwordx4 v[18:19], a[0:3] offset:384
	flat_load_dwordx4 v[20:23], v[0:1] offset:16
	s_nop 0
	flat_load_dwordx2 v[18:19], v[0:1] offset:32
	s_waitcnt vmcnt(0) lgkmcnt(0)
	flat_load_dwordx4 v[14:17], v[20:21] offset:32
	flat_load_dwordx4 v[10:13], v[22:23] offset:32
	;; [unrolled: 1-line block ×4, first 2 shown]
	s_waitcnt vmcnt(0) lgkmcnt(0)
	v_cmp_gt_i16_sdwa s[6:7], v14, s4 src0_sel:BYTE_0 src1_sel:DWORD
	s_mov_b64 s[4:5], 0
	s_and_saveexec_b64 s[8:9], s[6:7]
	s_xor_b64 s[6:7], exec, s[8:9]
	s_cbranch_execnz .LBB5_2305
; %bb.257:
	s_or_saveexec_b64 s[6:7], s[6:7]
	v_mov_b32_e32 v20, s10
	s_xor_b64 exec, exec, s[6:7]
	s_cbranch_execnz .LBB5_2308
.LBB5_258:
	s_or_b64 exec, exec, s[6:7]
	s_and_saveexec_b64 s[6:7], s[4:5]
	s_cbranch_execz .LBB5_260
.LBB5_259:
	v_and_b32_e32 v20, 7, v14
	v_ffbh_u32_e32 v22, v20
	v_min_u32_e32 v22, 32, v22
	v_lshrrev_b16_e32 v21, 3, v14
	v_subrev_u32_e32 v23, 28, v22
	v_and_b32_e32 v21, 15, v21
	v_lshlrev_b32_e32 v23, v23, v14
	v_sub_u32_e32 v22, 29, v22
	v_and_b32_e32 v23, 7, v23
	v_cmp_eq_u16_e32 vcc, 0, v21
	v_cndmask_b32_e32 v20, v20, v23, vcc
	v_cndmask_b32_e32 v21, v21, v22, vcc
	v_lshlrev_b32_e32 v22, 24, v14
	v_mov_b32_e32 v23, 0x3b800000
	v_lshlrev_b32_e32 v20, 20, v20
	v_and_b32_e32 v22, 0x80000000, v22
	v_lshl_add_u32 v21, v21, 23, v23
	v_or3_b32 v20, v22, v21, v20
.LBB5_260:
	s_or_b64 exec, exec, s[6:7]
	s_movk_i32 s4, 0x7f
	v_cmp_gt_i16_sdwa s[6:7], v10, s4 src0_sel:BYTE_0 src1_sel:DWORD
	s_mov_b64 s[4:5], 0
                                        ; implicit-def: $sgpr10
	s_and_saveexec_b64 s[8:9], s[6:7]
	s_xor_b64 s[6:7], exec, s[8:9]
	s_cbranch_execnz .LBB5_2309
; %bb.261:
	s_or_saveexec_b64 s[6:7], s[6:7]
	v_mov_b32_e32 v21, s10
	s_xor_b64 exec, exec, s[6:7]
	s_cbranch_execnz .LBB5_2312
.LBB5_262:
	s_or_b64 exec, exec, s[6:7]
	s_and_saveexec_b64 s[6:7], s[4:5]
	s_cbranch_execz .LBB5_264
.LBB5_263:
	v_and_b32_e32 v21, 7, v10
	v_ffbh_u32_e32 v23, v21
	v_min_u32_e32 v23, 32, v23
	v_lshrrev_b16_e32 v22, 3, v10
	v_subrev_u32_e32 v24, 28, v23
	v_and_b32_e32 v22, 15, v22
	v_lshlrev_b32_e32 v24, v24, v10
	v_sub_u32_e32 v23, 29, v23
	v_and_b32_e32 v24, 7, v24
	v_cmp_eq_u16_e32 vcc, 0, v22
	v_cndmask_b32_e32 v21, v21, v24, vcc
	v_cndmask_b32_e32 v22, v22, v23, vcc
	v_lshlrev_b32_e32 v23, 24, v10
	v_mov_b32_e32 v24, 0x3b800000
	v_lshlrev_b32_e32 v21, 20, v21
	v_and_b32_e32 v23, 0x80000000, v23
	v_lshl_add_u32 v22, v22, 23, v24
	v_or3_b32 v21, v23, v22, v21
.LBB5_264:
	s_or_b64 exec, exec, s[6:7]
	flat_load_dwordx4 a[0:3], v[18:19] offset:400
	s_movk_i32 s4, 0x7f
                                        ; implicit-def: $sgpr10
	s_waitcnt vmcnt(0) lgkmcnt(0)
	v_mfma_f32_16x16x4f32 a[0:3], v20, v21, a[0:3]
	v_lshrrev_b32_e32 v21, 8, v14
	v_cmp_gt_i16_sdwa s[6:7], v21, s4 src0_sel:BYTE_0 src1_sel:DWORD
	s_mov_b64 s[4:5], 0
	s_and_saveexec_b64 s[8:9], s[6:7]
	s_xor_b64 s[6:7], exec, s[8:9]
	s_cbranch_execnz .LBB5_2313
; %bb.265:
	s_or_saveexec_b64 s[6:7], s[6:7]
	v_mov_b32_e32 v20, s10
	s_xor_b64 exec, exec, s[6:7]
	s_cbranch_execnz .LBB5_2316
.LBB5_266:
	s_or_b64 exec, exec, s[6:7]
	s_and_saveexec_b64 s[6:7], s[4:5]
	s_cbranch_execz .LBB5_268
.LBB5_267:
	v_bfe_u32 v20, v14, 8, 3
	v_ffbh_u32_e32 v23, v20
	v_min_u32_e32 v23, 32, v23
	v_lshrrev_b16_e32 v22, 3, v21
	v_subrev_u32_e32 v24, 28, v23
	v_and_b32_e32 v22, 15, v22
	v_lshlrev_b32_e32 v21, v24, v21
	v_sub_u32_e32 v23, 29, v23
	v_and_b32_e32 v21, 7, v21
	v_cmp_eq_u16_e32 vcc, 0, v22
	v_cndmask_b32_e32 v20, v20, v21, vcc
	v_cndmask_b32_e32 v21, v22, v23, vcc
	v_lshlrev_b32_e32 v22, 16, v14
	v_mov_b32_e32 v23, 0x3b800000
	v_lshlrev_b32_e32 v20, 20, v20
	v_and_b32_e32 v22, 0x80000000, v22
	v_lshl_add_u32 v21, v21, 23, v23
	v_or3_b32 v20, v22, v21, v20
.LBB5_268:
	s_or_b64 exec, exec, s[6:7]
	v_lshrrev_b32_e32 v21, 8, v10
	s_movk_i32 s4, 0x7f
	v_cmp_gt_i16_sdwa s[6:7], v21, s4 src0_sel:BYTE_0 src1_sel:DWORD
	s_mov_b64 s[4:5], 0
                                        ; implicit-def: $sgpr10
	s_and_saveexec_b64 s[8:9], s[6:7]
	s_xor_b64 s[6:7], exec, s[8:9]
	s_cbranch_execnz .LBB5_2317
; %bb.269:
	s_or_saveexec_b64 s[6:7], s[6:7]
	v_mov_b32_e32 v22, s10
	s_xor_b64 exec, exec, s[6:7]
	s_cbranch_execnz .LBB5_2320
.LBB5_270:
	s_or_b64 exec, exec, s[6:7]
	s_and_saveexec_b64 s[6:7], s[4:5]
	s_cbranch_execz .LBB5_272
.LBB5_271:
	v_bfe_u32 v22, v10, 8, 3
	v_ffbh_u32_e32 v24, v22
	v_min_u32_e32 v24, 32, v24
	v_lshrrev_b16_e32 v23, 3, v21
	v_subrev_u32_e32 v25, 28, v24
	v_and_b32_e32 v23, 15, v23
	v_lshlrev_b32_e32 v21, v25, v21
	v_sub_u32_e32 v24, 29, v24
	v_and_b32_e32 v21, 7, v21
	v_cmp_eq_u16_e32 vcc, 0, v23
	v_cndmask_b32_e32 v21, v22, v21, vcc
	v_cndmask_b32_e32 v22, v23, v24, vcc
	v_lshlrev_b32_e32 v23, 16, v10
	v_mov_b32_e32 v24, 0x3b800000
	v_lshlrev_b32_e32 v21, 20, v21
	v_and_b32_e32 v23, 0x80000000, v23
	v_lshl_add_u32 v22, v22, 23, v24
	v_or3_b32 v22, v23, v22, v21
.LBB5_272:
	s_or_b64 exec, exec, s[6:7]
	s_nop 0
	v_mfma_f32_16x16x4f32 a[0:3], v20, v22, a[0:3]
	s_movk_i32 s4, 0xff
	v_and_b32_sdwa v21, v14, s4 dst_sel:DWORD dst_unused:UNUSED_PAD src0_sel:WORD_1 src1_sel:DWORD
	s_movk_i32 s4, 0x7f
	v_cmp_lt_i16_e32 vcc, s4, v21
	s_mov_b64 s[4:5], 0
                                        ; implicit-def: $sgpr10
	s_and_saveexec_b64 s[6:7], vcc
	s_xor_b64 s[6:7], exec, s[6:7]
	s_cbranch_execnz .LBB5_2321
; %bb.273:
	s_or_saveexec_b64 s[6:7], s[6:7]
	v_mov_b32_e32 v20, s10
	s_xor_b64 exec, exec, s[6:7]
	s_cbranch_execnz .LBB5_2324
.LBB5_274:
	s_or_b64 exec, exec, s[6:7]
	s_and_saveexec_b64 s[6:7], s[4:5]
	s_cbranch_execz .LBB5_276
.LBB5_275:
	v_bfe_u32 v20, v14, 16, 3
	v_ffbh_u32_e32 v23, v20
	v_min_u32_e32 v23, 32, v23
	v_lshrrev_b32_e32 v21, 19, v14
	v_subrev_u32_e32 v24, 28, v23
	v_and_b32_e32 v21, 15, v21
	v_lshlrev_b32_sdwa v24, v24, v14 dst_sel:DWORD dst_unused:UNUSED_PAD src0_sel:DWORD src1_sel:WORD_1
	v_bfe_u32 v22, v14, 19, 4
	v_sub_u32_e32 v23, 29, v23
	v_and_b32_e32 v24, 7, v24
	v_cmp_eq_u16_e32 vcc, 0, v21
	v_cndmask_b32_e32 v20, v20, v24, vcc
	v_cndmask_b32_e32 v21, v22, v23, vcc
	v_lshlrev_b32_e32 v22, 8, v14
	v_mov_b32_e32 v23, 0x3b800000
	v_lshlrev_b32_e32 v20, 20, v20
	v_and_b32_e32 v22, 0x80000000, v22
	v_lshl_add_u32 v21, v21, 23, v23
	v_or3_b32 v20, v22, v21, v20
.LBB5_276:
	s_or_b64 exec, exec, s[6:7]
	s_movk_i32 s4, 0xff
	v_and_b32_sdwa v21, v10, s4 dst_sel:DWORD dst_unused:UNUSED_PAD src0_sel:WORD_1 src1_sel:DWORD
	s_movk_i32 s4, 0x7f
	v_cmp_lt_i16_e32 vcc, s4, v21
	s_mov_b64 s[4:5], 0
                                        ; implicit-def: $sgpr10
	s_and_saveexec_b64 s[6:7], vcc
	s_xor_b64 s[6:7], exec, s[6:7]
	s_cbranch_execnz .LBB5_2325
; %bb.277:
	s_or_saveexec_b64 s[6:7], s[6:7]
	v_mov_b32_e32 v22, s10
	s_xor_b64 exec, exec, s[6:7]
	s_cbranch_execnz .LBB5_2328
.LBB5_278:
	s_or_b64 exec, exec, s[6:7]
	s_and_saveexec_b64 s[6:7], s[4:5]
	s_cbranch_execz .LBB5_280
.LBB5_279:
	v_bfe_u32 v21, v10, 16, 3
	v_ffbh_u32_e32 v24, v21
	v_min_u32_e32 v24, 32, v24
	v_lshrrev_b32_e32 v22, 19, v10
	v_subrev_u32_e32 v25, 28, v24
	v_and_b32_e32 v22, 15, v22
	v_lshlrev_b32_sdwa v25, v25, v10 dst_sel:DWORD dst_unused:UNUSED_PAD src0_sel:DWORD src1_sel:WORD_1
	v_bfe_u32 v23, v10, 19, 4
	v_sub_u32_e32 v24, 29, v24
	v_and_b32_e32 v25, 7, v25
	v_cmp_eq_u16_e32 vcc, 0, v22
	v_cndmask_b32_e32 v21, v21, v25, vcc
	v_cndmask_b32_e32 v22, v23, v24, vcc
	v_lshlrev_b32_e32 v23, 8, v10
	v_mov_b32_e32 v24, 0x3b800000
	v_lshlrev_b32_e32 v21, 20, v21
	v_and_b32_e32 v23, 0x80000000, v23
	v_lshl_add_u32 v22, v22, 23, v24
	v_or3_b32 v22, v23, v22, v21
.LBB5_280:
	s_or_b64 exec, exec, s[6:7]
	s_nop 0
	v_mfma_f32_16x16x4f32 a[0:3], v20, v22, a[0:3]
	s_movk_i32 s4, 0x7f
	v_cmp_gt_i16_sdwa s[6:7], v14, s4 src0_sel:BYTE_3 src1_sel:DWORD
	s_mov_b64 s[4:5], 0
                                        ; implicit-def: $sgpr10
	s_and_saveexec_b64 s[8:9], s[6:7]
	s_xor_b64 s[6:7], exec, s[8:9]
	s_cbranch_execnz .LBB5_2329
; %bb.281:
	s_or_saveexec_b64 s[6:7], s[6:7]
	v_mov_b32_e32 v20, s10
	s_xor_b64 exec, exec, s[6:7]
	s_cbranch_execnz .LBB5_2332
.LBB5_282:
	s_or_b64 exec, exec, s[6:7]
	s_and_saveexec_b64 s[6:7], s[4:5]
	s_cbranch_execz .LBB5_284
.LBB5_283:
	v_bfe_u32 v20, v14, 24, 3
	v_ffbh_u32_e32 v24, v20
	v_min_u32_e32 v24, 32, v24
	v_lshrrev_b32_e32 v22, 27, v14
	v_subrev_u32_e32 v25, 28, v24
	v_and_b32_e32 v21, 0x80000000, v14
	v_and_b32_e32 v22, 15, v22
	v_bfe_u32 v23, v14, 27, 4
	v_lshlrev_b32_sdwa v14, v25, v14 dst_sel:DWORD dst_unused:UNUSED_PAD src0_sel:DWORD src1_sel:BYTE_3
	v_sub_u32_e32 v24, 29, v24
	v_and_b32_e32 v14, 7, v14
	v_cmp_eq_u16_e32 vcc, 0, v22
	v_cndmask_b32_e32 v14, v20, v14, vcc
	v_cndmask_b32_e32 v20, v23, v24, vcc
	v_mov_b32_e32 v22, 0x3b800000
	v_lshlrev_b32_e32 v14, 20, v14
	v_lshl_add_u32 v20, v20, 23, v22
	v_or3_b32 v20, v21, v20, v14
.LBB5_284:
	s_or_b64 exec, exec, s[6:7]
	s_movk_i32 s4, 0x7f
	v_cmp_gt_i16_sdwa s[6:7], v10, s4 src0_sel:BYTE_3 src1_sel:DWORD
	s_mov_b64 s[4:5], 0
                                        ; implicit-def: $sgpr10
	s_and_saveexec_b64 s[8:9], s[6:7]
	s_xor_b64 s[6:7], exec, s[8:9]
	s_cbranch_execnz .LBB5_2333
; %bb.285:
	s_or_saveexec_b64 s[6:7], s[6:7]
	v_mov_b32_e32 v14, s10
	s_xor_b64 exec, exec, s[6:7]
	s_cbranch_execnz .LBB5_2336
.LBB5_286:
	s_or_b64 exec, exec, s[6:7]
	s_and_saveexec_b64 s[6:7], s[4:5]
	s_cbranch_execz .LBB5_288
.LBB5_287:
	v_bfe_u32 v14, v10, 24, 3
	v_ffbh_u32_e32 v24, v14
	v_min_u32_e32 v24, 32, v24
	v_lshrrev_b32_e32 v22, 27, v10
	v_subrev_u32_e32 v25, 28, v24
	v_and_b32_e32 v21, 0x80000000, v10
	v_and_b32_e32 v22, 15, v22
	v_bfe_u32 v23, v10, 27, 4
	v_lshlrev_b32_sdwa v10, v25, v10 dst_sel:DWORD dst_unused:UNUSED_PAD src0_sel:DWORD src1_sel:BYTE_3
	v_sub_u32_e32 v24, 29, v24
	v_and_b32_e32 v10, 7, v10
	v_cmp_eq_u16_e32 vcc, 0, v22
	v_cndmask_b32_e32 v10, v14, v10, vcc
	v_cndmask_b32_e32 v14, v23, v24, vcc
	v_mov_b32_e32 v22, 0x3b800000
	v_lshlrev_b32_e32 v10, 20, v10
	v_lshl_add_u32 v14, v14, 23, v22
	v_or3_b32 v14, v21, v14, v10
.LBB5_288:
	s_or_b64 exec, exec, s[6:7]
	s_nop 0
	v_mfma_f32_16x16x4f32 a[0:3], v20, v14, a[0:3]
	s_movk_i32 s4, 0x7f
	v_cmp_gt_i16_sdwa s[6:7], v15, s4 src0_sel:BYTE_0 src1_sel:DWORD
	s_mov_b64 s[4:5], 0
                                        ; implicit-def: $sgpr10
	s_and_saveexec_b64 s[8:9], s[6:7]
	s_xor_b64 s[6:7], exec, s[8:9]
	s_cbranch_execnz .LBB5_2337
; %bb.289:
	s_or_saveexec_b64 s[6:7], s[6:7]
	v_mov_b32_e32 v10, s10
	s_xor_b64 exec, exec, s[6:7]
	s_cbranch_execnz .LBB5_2340
.LBB5_290:
	s_or_b64 exec, exec, s[6:7]
	s_and_saveexec_b64 s[6:7], s[4:5]
	s_cbranch_execz .LBB5_292
.LBB5_291:
	v_and_b32_e32 v10, 7, v15
	v_ffbh_u32_e32 v20, v10
	v_min_u32_e32 v20, 32, v20
	v_lshrrev_b16_e32 v14, 3, v15
	v_subrev_u32_e32 v21, 28, v20
	v_and_b32_e32 v14, 15, v14
	v_lshlrev_b32_e32 v21, v21, v15
	v_sub_u32_e32 v20, 29, v20
	v_and_b32_e32 v21, 7, v21
	v_cmp_eq_u16_e32 vcc, 0, v14
	v_cndmask_b32_e32 v10, v10, v21, vcc
	v_cndmask_b32_e32 v14, v14, v20, vcc
	v_lshlrev_b32_e32 v20, 24, v15
	v_mov_b32_e32 v21, 0x3b800000
	v_lshlrev_b32_e32 v10, 20, v10
	v_and_b32_e32 v20, 0x80000000, v20
	v_lshl_add_u32 v14, v14, 23, v21
	v_or3_b32 v10, v20, v14, v10
.LBB5_292:
	s_or_b64 exec, exec, s[6:7]
	s_movk_i32 s4, 0x7f
	v_cmp_gt_i16_sdwa s[6:7], v11, s4 src0_sel:BYTE_0 src1_sel:DWORD
	s_mov_b64 s[4:5], 0
                                        ; implicit-def: $sgpr10
	s_and_saveexec_b64 s[8:9], s[6:7]
	s_xor_b64 s[6:7], exec, s[8:9]
	s_cbranch_execnz .LBB5_2341
; %bb.293:
	s_or_saveexec_b64 s[6:7], s[6:7]
	v_mov_b32_e32 v14, s10
	s_xor_b64 exec, exec, s[6:7]
	s_cbranch_execnz .LBB5_2344
.LBB5_294:
	s_or_b64 exec, exec, s[6:7]
	s_and_saveexec_b64 s[6:7], s[4:5]
	s_cbranch_execz .LBB5_296
.LBB5_295:
	v_and_b32_e32 v14, 7, v11
	v_ffbh_u32_e32 v21, v14
	v_min_u32_e32 v21, 32, v21
	v_lshrrev_b16_e32 v20, 3, v11
	v_subrev_u32_e32 v22, 28, v21
	v_and_b32_e32 v20, 15, v20
	v_lshlrev_b32_e32 v22, v22, v11
	v_sub_u32_e32 v21, 29, v21
	v_and_b32_e32 v22, 7, v22
	v_cmp_eq_u16_e32 vcc, 0, v20
	v_cndmask_b32_e32 v14, v14, v22, vcc
	v_cndmask_b32_e32 v20, v20, v21, vcc
	v_lshlrev_b32_e32 v21, 24, v11
	v_mov_b32_e32 v22, 0x3b800000
	v_lshlrev_b32_e32 v14, 20, v14
	v_and_b32_e32 v21, 0x80000000, v21
	v_lshl_add_u32 v20, v20, 23, v22
	v_or3_b32 v14, v21, v20, v14
.LBB5_296:
	s_or_b64 exec, exec, s[6:7]
	s_nop 0
	v_mfma_f32_16x16x4f32 a[0:3], v10, v14, a[0:3]
	v_lshrrev_b32_e32 v14, 8, v15
	s_movk_i32 s4, 0x7f
	v_cmp_gt_i16_sdwa s[6:7], v14, s4 src0_sel:BYTE_0 src1_sel:DWORD
	s_mov_b64 s[4:5], 0
                                        ; implicit-def: $sgpr10
	s_and_saveexec_b64 s[8:9], s[6:7]
	s_xor_b64 s[6:7], exec, s[8:9]
	s_cbranch_execnz .LBB5_2345
; %bb.297:
	s_or_saveexec_b64 s[6:7], s[6:7]
	v_mov_b32_e32 v10, s10
	s_xor_b64 exec, exec, s[6:7]
	s_cbranch_execnz .LBB5_2348
.LBB5_298:
	s_or_b64 exec, exec, s[6:7]
	s_and_saveexec_b64 s[6:7], s[4:5]
	s_cbranch_execz .LBB5_300
.LBB5_299:
	v_bfe_u32 v10, v15, 8, 3
	v_ffbh_u32_e32 v21, v10
	v_min_u32_e32 v21, 32, v21
	v_lshrrev_b16_e32 v20, 3, v14
	v_subrev_u32_e32 v22, 28, v21
	v_and_b32_e32 v20, 15, v20
	v_lshlrev_b32_e32 v14, v22, v14
	v_sub_u32_e32 v21, 29, v21
	v_and_b32_e32 v14, 7, v14
	v_cmp_eq_u16_e32 vcc, 0, v20
	v_cndmask_b32_e32 v10, v10, v14, vcc
	v_cndmask_b32_e32 v14, v20, v21, vcc
	v_lshlrev_b32_e32 v20, 16, v15
	v_mov_b32_e32 v21, 0x3b800000
	v_lshlrev_b32_e32 v10, 20, v10
	v_and_b32_e32 v20, 0x80000000, v20
	v_lshl_add_u32 v14, v14, 23, v21
	v_or3_b32 v10, v20, v14, v10
.LBB5_300:
	s_or_b64 exec, exec, s[6:7]
	v_lshrrev_b32_e32 v14, 8, v11
	s_movk_i32 s4, 0x7f
	v_cmp_gt_i16_sdwa s[6:7], v14, s4 src0_sel:BYTE_0 src1_sel:DWORD
	s_mov_b64 s[4:5], 0
                                        ; implicit-def: $sgpr10
	s_and_saveexec_b64 s[8:9], s[6:7]
	s_xor_b64 s[6:7], exec, s[8:9]
	s_cbranch_execnz .LBB5_2349
; %bb.301:
	s_or_saveexec_b64 s[6:7], s[6:7]
	v_mov_b32_e32 v20, s10
	s_xor_b64 exec, exec, s[6:7]
	s_cbranch_execnz .LBB5_2352
.LBB5_302:
	s_or_b64 exec, exec, s[6:7]
	s_and_saveexec_b64 s[6:7], s[4:5]
	s_cbranch_execz .LBB5_304
.LBB5_303:
	v_bfe_u32 v20, v11, 8, 3
	v_ffbh_u32_e32 v22, v20
	v_min_u32_e32 v22, 32, v22
	v_lshrrev_b16_e32 v21, 3, v14
	v_subrev_u32_e32 v23, 28, v22
	v_and_b32_e32 v21, 15, v21
	v_lshlrev_b32_e32 v14, v23, v14
	v_sub_u32_e32 v22, 29, v22
	v_and_b32_e32 v14, 7, v14
	v_cmp_eq_u16_e32 vcc, 0, v21
	v_cndmask_b32_e32 v14, v20, v14, vcc
	v_cndmask_b32_e32 v20, v21, v22, vcc
	v_lshlrev_b32_e32 v21, 16, v11
	v_mov_b32_e32 v22, 0x3b800000
	v_lshlrev_b32_e32 v14, 20, v14
	v_and_b32_e32 v21, 0x80000000, v21
	v_lshl_add_u32 v20, v20, 23, v22
	v_or3_b32 v20, v21, v20, v14
.LBB5_304:
	s_or_b64 exec, exec, s[6:7]
	s_nop 0
	v_mfma_f32_16x16x4f32 a[0:3], v10, v20, a[0:3]
	s_movk_i32 s4, 0xff
	v_and_b32_sdwa v14, v15, s4 dst_sel:DWORD dst_unused:UNUSED_PAD src0_sel:WORD_1 src1_sel:DWORD
	s_movk_i32 s4, 0x7f
	v_cmp_lt_i16_e32 vcc, s4, v14
	s_mov_b64 s[4:5], 0
                                        ; implicit-def: $sgpr10
	s_and_saveexec_b64 s[6:7], vcc
	s_xor_b64 s[6:7], exec, s[6:7]
	s_cbranch_execnz .LBB5_2353
; %bb.305:
	s_or_saveexec_b64 s[6:7], s[6:7]
	v_mov_b32_e32 v10, s10
	s_xor_b64 exec, exec, s[6:7]
	s_cbranch_execnz .LBB5_2356
.LBB5_306:
	s_or_b64 exec, exec, s[6:7]
	s_and_saveexec_b64 s[6:7], s[4:5]
	s_cbranch_execz .LBB5_308
.LBB5_307:
	v_bfe_u32 v10, v15, 16, 3
	v_ffbh_u32_e32 v21, v10
	v_min_u32_e32 v21, 32, v21
	v_lshrrev_b32_e32 v14, 19, v15
	v_subrev_u32_e32 v22, 28, v21
	v_and_b32_e32 v14, 15, v14
	v_lshlrev_b32_sdwa v22, v22, v15 dst_sel:DWORD dst_unused:UNUSED_PAD src0_sel:DWORD src1_sel:WORD_1
	v_bfe_u32 v20, v15, 19, 4
	v_sub_u32_e32 v21, 29, v21
	v_and_b32_e32 v22, 7, v22
	v_cmp_eq_u16_e32 vcc, 0, v14
	v_cndmask_b32_e32 v10, v10, v22, vcc
	v_cndmask_b32_e32 v14, v20, v21, vcc
	v_lshlrev_b32_e32 v20, 8, v15
	v_mov_b32_e32 v21, 0x3b800000
	v_lshlrev_b32_e32 v10, 20, v10
	v_and_b32_e32 v20, 0x80000000, v20
	v_lshl_add_u32 v14, v14, 23, v21
	v_or3_b32 v10, v20, v14, v10
.LBB5_308:
	s_or_b64 exec, exec, s[6:7]
	s_movk_i32 s4, 0xff
	v_and_b32_sdwa v14, v11, s4 dst_sel:DWORD dst_unused:UNUSED_PAD src0_sel:WORD_1 src1_sel:DWORD
	s_movk_i32 s4, 0x7f
	v_cmp_lt_i16_e32 vcc, s4, v14
	s_mov_b64 s[4:5], 0
                                        ; implicit-def: $sgpr10
	s_and_saveexec_b64 s[6:7], vcc
	s_xor_b64 s[6:7], exec, s[6:7]
	s_cbranch_execnz .LBB5_2357
; %bb.309:
	s_or_saveexec_b64 s[6:7], s[6:7]
	v_mov_b32_e32 v20, s10
	s_xor_b64 exec, exec, s[6:7]
	s_cbranch_execnz .LBB5_2360
.LBB5_310:
	s_or_b64 exec, exec, s[6:7]
	s_and_saveexec_b64 s[6:7], s[4:5]
	s_cbranch_execz .LBB5_312
.LBB5_311:
	v_bfe_u32 v14, v11, 16, 3
	v_ffbh_u32_e32 v22, v14
	v_min_u32_e32 v22, 32, v22
	v_lshrrev_b32_e32 v20, 19, v11
	v_subrev_u32_e32 v23, 28, v22
	v_and_b32_e32 v20, 15, v20
	v_lshlrev_b32_sdwa v23, v23, v11 dst_sel:DWORD dst_unused:UNUSED_PAD src0_sel:DWORD src1_sel:WORD_1
	v_bfe_u32 v21, v11, 19, 4
	v_sub_u32_e32 v22, 29, v22
	v_and_b32_e32 v23, 7, v23
	v_cmp_eq_u16_e32 vcc, 0, v20
	v_cndmask_b32_e32 v14, v14, v23, vcc
	v_cndmask_b32_e32 v20, v21, v22, vcc
	v_lshlrev_b32_e32 v21, 8, v11
	v_mov_b32_e32 v22, 0x3b800000
	v_lshlrev_b32_e32 v14, 20, v14
	v_and_b32_e32 v21, 0x80000000, v21
	v_lshl_add_u32 v20, v20, 23, v22
	v_or3_b32 v20, v21, v20, v14
.LBB5_312:
	s_or_b64 exec, exec, s[6:7]
	s_nop 0
	v_mfma_f32_16x16x4f32 a[0:3], v10, v20, a[0:3]
	s_movk_i32 s4, 0x7f
	v_cmp_gt_i16_sdwa s[6:7], v15, s4 src0_sel:BYTE_3 src1_sel:DWORD
	s_mov_b64 s[4:5], 0
                                        ; implicit-def: $sgpr10
	s_and_saveexec_b64 s[8:9], s[6:7]
	s_xor_b64 s[6:7], exec, s[8:9]
	s_cbranch_execnz .LBB5_2361
; %bb.313:
	s_or_saveexec_b64 s[6:7], s[6:7]
	v_mov_b32_e32 v10, s10
	s_xor_b64 exec, exec, s[6:7]
	s_cbranch_execnz .LBB5_2364
.LBB5_314:
	s_or_b64 exec, exec, s[6:7]
	s_and_saveexec_b64 s[6:7], s[4:5]
	s_cbranch_execz .LBB5_316
.LBB5_315:
	v_bfe_u32 v10, v15, 24, 3
	v_ffbh_u32_e32 v22, v10
	v_min_u32_e32 v22, 32, v22
	v_lshrrev_b32_e32 v20, 27, v15
	v_subrev_u32_e32 v23, 28, v22
	v_and_b32_e32 v14, 0x80000000, v15
	v_and_b32_e32 v20, 15, v20
	v_bfe_u32 v21, v15, 27, 4
	v_lshlrev_b32_sdwa v15, v23, v15 dst_sel:DWORD dst_unused:UNUSED_PAD src0_sel:DWORD src1_sel:BYTE_3
	v_sub_u32_e32 v22, 29, v22
	v_and_b32_e32 v15, 7, v15
	v_cmp_eq_u16_e32 vcc, 0, v20
	v_cndmask_b32_e32 v10, v10, v15, vcc
	v_cndmask_b32_e32 v15, v21, v22, vcc
	v_mov_b32_e32 v20, 0x3b800000
	v_lshlrev_b32_e32 v10, 20, v10
	v_lshl_add_u32 v15, v15, 23, v20
	v_or3_b32 v10, v14, v15, v10
.LBB5_316:
	s_or_b64 exec, exec, s[6:7]
	s_movk_i32 s4, 0x7f
	v_cmp_gt_i16_sdwa s[6:7], v11, s4 src0_sel:BYTE_3 src1_sel:DWORD
	s_mov_b64 s[4:5], 0
                                        ; implicit-def: $sgpr10
	s_and_saveexec_b64 s[8:9], s[6:7]
	s_xor_b64 s[6:7], exec, s[8:9]
	s_cbranch_execnz .LBB5_2365
; %bb.317:
	s_or_saveexec_b64 s[6:7], s[6:7]
	v_mov_b32_e32 v14, s10
	s_xor_b64 exec, exec, s[6:7]
	s_cbranch_execnz .LBB5_2368
.LBB5_318:
	s_or_b64 exec, exec, s[6:7]
	s_and_saveexec_b64 s[6:7], s[4:5]
	s_cbranch_execz .LBB5_320
.LBB5_319:
	v_bfe_u32 v14, v11, 24, 3
	v_ffbh_u32_e32 v22, v14
	v_min_u32_e32 v22, 32, v22
	v_lshrrev_b32_e32 v20, 27, v11
	v_subrev_u32_e32 v23, 28, v22
	v_and_b32_e32 v15, 0x80000000, v11
	v_and_b32_e32 v20, 15, v20
	v_bfe_u32 v21, v11, 27, 4
	v_lshlrev_b32_sdwa v11, v23, v11 dst_sel:DWORD dst_unused:UNUSED_PAD src0_sel:DWORD src1_sel:BYTE_3
	v_sub_u32_e32 v22, 29, v22
	v_and_b32_e32 v11, 7, v11
	v_cmp_eq_u16_e32 vcc, 0, v20
	v_cndmask_b32_e32 v11, v14, v11, vcc
	v_cndmask_b32_e32 v14, v21, v22, vcc
	v_mov_b32_e32 v20, 0x3b800000
	v_lshlrev_b32_e32 v11, 20, v11
	v_lshl_add_u32 v14, v14, 23, v20
	v_or3_b32 v14, v15, v14, v11
.LBB5_320:
	s_or_b64 exec, exec, s[6:7]
	s_nop 0
	v_mfma_f32_16x16x4f32 a[0:3], v10, v14, a[0:3]
	s_movk_i32 s4, 0x7f
	v_cmp_gt_i16_sdwa s[6:7], v16, s4 src0_sel:BYTE_0 src1_sel:DWORD
	s_mov_b64 s[4:5], 0
                                        ; implicit-def: $sgpr10
	s_and_saveexec_b64 s[8:9], s[6:7]
	s_xor_b64 s[6:7], exec, s[8:9]
	s_cbranch_execnz .LBB5_2369
; %bb.321:
	s_or_saveexec_b64 s[6:7], s[6:7]
	v_mov_b32_e32 v10, s10
	s_xor_b64 exec, exec, s[6:7]
	s_cbranch_execnz .LBB5_2372
.LBB5_322:
	s_or_b64 exec, exec, s[6:7]
	s_and_saveexec_b64 s[6:7], s[4:5]
	s_cbranch_execz .LBB5_324
.LBB5_323:
	v_and_b32_e32 v10, 7, v16
	v_ffbh_u32_e32 v14, v10
	v_min_u32_e32 v14, 32, v14
	v_lshrrev_b16_e32 v11, 3, v16
	v_subrev_u32_e32 v15, 28, v14
	v_and_b32_e32 v11, 15, v11
	v_lshlrev_b32_e32 v15, v15, v16
	v_sub_u32_e32 v14, 29, v14
	v_and_b32_e32 v15, 7, v15
	v_cmp_eq_u16_e32 vcc, 0, v11
	v_cndmask_b32_e32 v10, v10, v15, vcc
	v_cndmask_b32_e32 v11, v11, v14, vcc
	v_lshlrev_b32_e32 v14, 24, v16
	v_mov_b32_e32 v15, 0x3b800000
	v_lshlrev_b32_e32 v10, 20, v10
	v_and_b32_e32 v14, 0x80000000, v14
	v_lshl_add_u32 v11, v11, 23, v15
	v_or3_b32 v10, v14, v11, v10
.LBB5_324:
	s_or_b64 exec, exec, s[6:7]
	s_movk_i32 s4, 0x7f
	v_cmp_gt_i16_sdwa s[6:7], v12, s4 src0_sel:BYTE_0 src1_sel:DWORD
	s_mov_b64 s[4:5], 0
                                        ; implicit-def: $sgpr10
	s_and_saveexec_b64 s[8:9], s[6:7]
	s_xor_b64 s[6:7], exec, s[8:9]
	s_cbranch_execnz .LBB5_2373
; %bb.325:
	s_or_saveexec_b64 s[6:7], s[6:7]
	v_mov_b32_e32 v11, s10
	s_xor_b64 exec, exec, s[6:7]
	s_cbranch_execnz .LBB5_2376
.LBB5_326:
	s_or_b64 exec, exec, s[6:7]
	s_and_saveexec_b64 s[6:7], s[4:5]
	s_cbranch_execz .LBB5_328
.LBB5_327:
	v_and_b32_e32 v11, 7, v12
	v_ffbh_u32_e32 v15, v11
	v_min_u32_e32 v15, 32, v15
	v_lshrrev_b16_e32 v14, 3, v12
	v_subrev_u32_e32 v20, 28, v15
	v_and_b32_e32 v14, 15, v14
	v_lshlrev_b32_e32 v20, v20, v12
	v_sub_u32_e32 v15, 29, v15
	v_and_b32_e32 v20, 7, v20
	v_cmp_eq_u16_e32 vcc, 0, v14
	v_cndmask_b32_e32 v11, v11, v20, vcc
	v_cndmask_b32_e32 v14, v14, v15, vcc
	v_lshlrev_b32_e32 v15, 24, v12
	v_mov_b32_e32 v20, 0x3b800000
	v_lshlrev_b32_e32 v11, 20, v11
	v_and_b32_e32 v15, 0x80000000, v15
	v_lshl_add_u32 v14, v14, 23, v20
	v_or3_b32 v11, v15, v14, v11
.LBB5_328:
	s_or_b64 exec, exec, s[6:7]
	s_nop 0
	v_mfma_f32_16x16x4f32 a[0:3], v10, v11, a[0:3]
	v_lshrrev_b32_e32 v11, 8, v16
	s_movk_i32 s4, 0x7f
	v_cmp_gt_i16_sdwa s[6:7], v11, s4 src0_sel:BYTE_0 src1_sel:DWORD
	s_mov_b64 s[4:5], 0
                                        ; implicit-def: $sgpr10
	s_and_saveexec_b64 s[8:9], s[6:7]
	s_xor_b64 s[6:7], exec, s[8:9]
	s_cbranch_execnz .LBB5_2377
; %bb.329:
	s_or_saveexec_b64 s[6:7], s[6:7]
	v_mov_b32_e32 v10, s10
	s_xor_b64 exec, exec, s[6:7]
	s_cbranch_execnz .LBB5_2380
.LBB5_330:
	s_or_b64 exec, exec, s[6:7]
	s_and_saveexec_b64 s[6:7], s[4:5]
	s_cbranch_execz .LBB5_332
.LBB5_331:
	v_bfe_u32 v10, v16, 8, 3
	v_ffbh_u32_e32 v15, v10
	v_min_u32_e32 v15, 32, v15
	v_lshrrev_b16_e32 v14, 3, v11
	v_subrev_u32_e32 v20, 28, v15
	v_and_b32_e32 v14, 15, v14
	v_lshlrev_b32_e32 v11, v20, v11
	v_sub_u32_e32 v15, 29, v15
	v_and_b32_e32 v11, 7, v11
	v_cmp_eq_u16_e32 vcc, 0, v14
	v_cndmask_b32_e32 v10, v10, v11, vcc
	v_cndmask_b32_e32 v11, v14, v15, vcc
	v_lshlrev_b32_e32 v14, 16, v16
	v_mov_b32_e32 v15, 0x3b800000
	v_lshlrev_b32_e32 v10, 20, v10
	v_and_b32_e32 v14, 0x80000000, v14
	v_lshl_add_u32 v11, v11, 23, v15
	v_or3_b32 v10, v14, v11, v10
.LBB5_332:
	s_or_b64 exec, exec, s[6:7]
	v_lshrrev_b32_e32 v11, 8, v12
	s_movk_i32 s4, 0x7f
	v_cmp_gt_i16_sdwa s[6:7], v11, s4 src0_sel:BYTE_0 src1_sel:DWORD
	s_mov_b64 s[4:5], 0
                                        ; implicit-def: $sgpr10
	s_and_saveexec_b64 s[8:9], s[6:7]
	s_xor_b64 s[6:7], exec, s[8:9]
	s_cbranch_execnz .LBB5_2381
; %bb.333:
	s_or_saveexec_b64 s[6:7], s[6:7]
	v_mov_b32_e32 v14, s10
	s_xor_b64 exec, exec, s[6:7]
	s_cbranch_execnz .LBB5_2384
.LBB5_334:
	s_or_b64 exec, exec, s[6:7]
	s_and_saveexec_b64 s[6:7], s[4:5]
	s_cbranch_execz .LBB5_336
.LBB5_335:
	v_bfe_u32 v14, v12, 8, 3
	v_ffbh_u32_e32 v20, v14
	v_min_u32_e32 v20, 32, v20
	v_lshrrev_b16_e32 v15, 3, v11
	v_subrev_u32_e32 v21, 28, v20
	v_and_b32_e32 v15, 15, v15
	v_lshlrev_b32_e32 v11, v21, v11
	v_sub_u32_e32 v20, 29, v20
	v_and_b32_e32 v11, 7, v11
	v_cmp_eq_u16_e32 vcc, 0, v15
	v_cndmask_b32_e32 v11, v14, v11, vcc
	v_cndmask_b32_e32 v14, v15, v20, vcc
	v_lshlrev_b32_e32 v15, 16, v12
	v_mov_b32_e32 v20, 0x3b800000
	v_lshlrev_b32_e32 v11, 20, v11
	v_and_b32_e32 v15, 0x80000000, v15
	v_lshl_add_u32 v14, v14, 23, v20
	v_or3_b32 v14, v15, v14, v11
.LBB5_336:
	s_or_b64 exec, exec, s[6:7]
	s_nop 0
	v_mfma_f32_16x16x4f32 a[0:3], v10, v14, a[0:3]
	s_movk_i32 s4, 0xff
	v_and_b32_sdwa v11, v16, s4 dst_sel:DWORD dst_unused:UNUSED_PAD src0_sel:WORD_1 src1_sel:DWORD
	s_movk_i32 s4, 0x7f
	v_cmp_lt_i16_e32 vcc, s4, v11
	s_mov_b64 s[4:5], 0
                                        ; implicit-def: $sgpr10
	s_and_saveexec_b64 s[6:7], vcc
	s_xor_b64 s[6:7], exec, s[6:7]
	s_cbranch_execnz .LBB5_2385
; %bb.337:
	s_or_saveexec_b64 s[6:7], s[6:7]
	v_mov_b32_e32 v10, s10
	s_xor_b64 exec, exec, s[6:7]
	s_cbranch_execnz .LBB5_2388
.LBB5_338:
	s_or_b64 exec, exec, s[6:7]
	s_and_saveexec_b64 s[6:7], s[4:5]
	s_cbranch_execz .LBB5_340
.LBB5_339:
	v_bfe_u32 v10, v16, 16, 3
	v_ffbh_u32_e32 v15, v10
	v_min_u32_e32 v15, 32, v15
	v_lshrrev_b32_e32 v11, 19, v16
	v_subrev_u32_e32 v20, 28, v15
	v_and_b32_e32 v11, 15, v11
	v_lshlrev_b32_sdwa v20, v20, v16 dst_sel:DWORD dst_unused:UNUSED_PAD src0_sel:DWORD src1_sel:WORD_1
	v_bfe_u32 v14, v16, 19, 4
	v_sub_u32_e32 v15, 29, v15
	v_and_b32_e32 v20, 7, v20
	v_cmp_eq_u16_e32 vcc, 0, v11
	v_cndmask_b32_e32 v10, v10, v20, vcc
	v_cndmask_b32_e32 v11, v14, v15, vcc
	v_lshlrev_b32_e32 v14, 8, v16
	v_mov_b32_e32 v15, 0x3b800000
	v_lshlrev_b32_e32 v10, 20, v10
	v_and_b32_e32 v14, 0x80000000, v14
	v_lshl_add_u32 v11, v11, 23, v15
	v_or3_b32 v10, v14, v11, v10
.LBB5_340:
	s_or_b64 exec, exec, s[6:7]
	s_movk_i32 s4, 0xff
	v_and_b32_sdwa v11, v12, s4 dst_sel:DWORD dst_unused:UNUSED_PAD src0_sel:WORD_1 src1_sel:DWORD
	s_movk_i32 s4, 0x7f
	v_cmp_lt_i16_e32 vcc, s4, v11
	s_mov_b64 s[4:5], 0
                                        ; implicit-def: $sgpr10
	s_and_saveexec_b64 s[6:7], vcc
	s_xor_b64 s[6:7], exec, s[6:7]
	s_cbranch_execnz .LBB5_2389
; %bb.341:
	s_or_saveexec_b64 s[6:7], s[6:7]
	v_mov_b32_e32 v14, s10
	s_xor_b64 exec, exec, s[6:7]
	s_cbranch_execnz .LBB5_2392
.LBB5_342:
	s_or_b64 exec, exec, s[6:7]
	s_and_saveexec_b64 s[6:7], s[4:5]
	s_cbranch_execz .LBB5_344
.LBB5_343:
	v_bfe_u32 v11, v12, 16, 3
	v_ffbh_u32_e32 v20, v11
	v_min_u32_e32 v20, 32, v20
	v_lshrrev_b32_e32 v14, 19, v12
	v_subrev_u32_e32 v21, 28, v20
	v_and_b32_e32 v14, 15, v14
	v_lshlrev_b32_sdwa v21, v21, v12 dst_sel:DWORD dst_unused:UNUSED_PAD src0_sel:DWORD src1_sel:WORD_1
	v_bfe_u32 v15, v12, 19, 4
	v_sub_u32_e32 v20, 29, v20
	v_and_b32_e32 v21, 7, v21
	v_cmp_eq_u16_e32 vcc, 0, v14
	v_cndmask_b32_e32 v11, v11, v21, vcc
	v_cndmask_b32_e32 v14, v15, v20, vcc
	v_lshlrev_b32_e32 v15, 8, v12
	v_mov_b32_e32 v20, 0x3b800000
	v_lshlrev_b32_e32 v11, 20, v11
	v_and_b32_e32 v15, 0x80000000, v15
	v_lshl_add_u32 v14, v14, 23, v20
	v_or3_b32 v14, v15, v14, v11
.LBB5_344:
	s_or_b64 exec, exec, s[6:7]
	s_nop 0
	v_mfma_f32_16x16x4f32 a[0:3], v10, v14, a[0:3]
	s_movk_i32 s4, 0x7f
	v_cmp_gt_i16_sdwa s[6:7], v16, s4 src0_sel:BYTE_3 src1_sel:DWORD
	s_mov_b64 s[4:5], 0
                                        ; implicit-def: $sgpr10
	s_and_saveexec_b64 s[8:9], s[6:7]
	s_xor_b64 s[6:7], exec, s[8:9]
	s_cbranch_execnz .LBB5_2393
; %bb.345:
	s_or_saveexec_b64 s[6:7], s[6:7]
	v_mov_b32_e32 v10, s10
	s_xor_b64 exec, exec, s[6:7]
	s_cbranch_execnz .LBB5_2396
.LBB5_346:
	s_or_b64 exec, exec, s[6:7]
	s_and_saveexec_b64 s[6:7], s[4:5]
	s_cbranch_execz .LBB5_348
.LBB5_347:
	v_bfe_u32 v10, v16, 24, 3
	v_ffbh_u32_e32 v20, v10
	v_min_u32_e32 v20, 32, v20
	v_lshrrev_b32_e32 v14, 27, v16
	v_subrev_u32_e32 v21, 28, v20
	v_and_b32_e32 v11, 0x80000000, v16
	v_and_b32_e32 v14, 15, v14
	v_bfe_u32 v15, v16, 27, 4
	v_lshlrev_b32_sdwa v16, v21, v16 dst_sel:DWORD dst_unused:UNUSED_PAD src0_sel:DWORD src1_sel:BYTE_3
	v_sub_u32_e32 v20, 29, v20
	v_and_b32_e32 v16, 7, v16
	v_cmp_eq_u16_e32 vcc, 0, v14
	v_cndmask_b32_e32 v10, v10, v16, vcc
	v_cndmask_b32_e32 v14, v15, v20, vcc
	v_mov_b32_e32 v15, 0x3b800000
	v_lshlrev_b32_e32 v10, 20, v10
	v_lshl_add_u32 v14, v14, 23, v15
	v_or3_b32 v10, v11, v14, v10
.LBB5_348:
	s_or_b64 exec, exec, s[6:7]
	s_movk_i32 s4, 0x7f
	v_cmp_gt_i16_sdwa s[6:7], v12, s4 src0_sel:BYTE_3 src1_sel:DWORD
	s_mov_b64 s[4:5], 0
                                        ; implicit-def: $sgpr10
	s_and_saveexec_b64 s[8:9], s[6:7]
	s_xor_b64 s[6:7], exec, s[8:9]
	s_cbranch_execnz .LBB5_2397
; %bb.349:
	s_or_saveexec_b64 s[6:7], s[6:7]
	v_mov_b32_e32 v11, s10
	s_xor_b64 exec, exec, s[6:7]
	s_cbranch_execnz .LBB5_2400
.LBB5_350:
	s_or_b64 exec, exec, s[6:7]
	s_and_saveexec_b64 s[6:7], s[4:5]
	s_cbranch_execz .LBB5_352
.LBB5_351:
	v_bfe_u32 v11, v12, 24, 3
	v_ffbh_u32_e32 v20, v11
	v_min_u32_e32 v20, 32, v20
	v_lshrrev_b32_e32 v15, 27, v12
	v_subrev_u32_e32 v21, 28, v20
	v_and_b32_e32 v14, 0x80000000, v12
	v_and_b32_e32 v15, 15, v15
	v_bfe_u32 v16, v12, 27, 4
	v_lshlrev_b32_sdwa v12, v21, v12 dst_sel:DWORD dst_unused:UNUSED_PAD src0_sel:DWORD src1_sel:BYTE_3
	v_sub_u32_e32 v20, 29, v20
	v_and_b32_e32 v12, 7, v12
	v_cmp_eq_u16_e32 vcc, 0, v15
	v_cndmask_b32_e32 v11, v11, v12, vcc
	v_cndmask_b32_e32 v12, v16, v20, vcc
	v_mov_b32_e32 v15, 0x3b800000
	v_lshlrev_b32_e32 v11, 20, v11
	v_lshl_add_u32 v12, v12, 23, v15
	v_or3_b32 v11, v14, v12, v11
.LBB5_352:
	s_or_b64 exec, exec, s[6:7]
	s_nop 0
	v_mfma_f32_16x16x4f32 a[0:3], v10, v11, a[0:3]
	s_movk_i32 s4, 0x7f
	v_cmp_gt_i16_sdwa s[6:7], v17, s4 src0_sel:BYTE_0 src1_sel:DWORD
	s_mov_b64 s[4:5], 0
                                        ; implicit-def: $sgpr10
	s_and_saveexec_b64 s[8:9], s[6:7]
	s_xor_b64 s[6:7], exec, s[8:9]
	s_cbranch_execnz .LBB5_2401
; %bb.353:
	s_or_saveexec_b64 s[6:7], s[6:7]
	v_mov_b32_e32 v10, s10
	s_xor_b64 exec, exec, s[6:7]
	s_cbranch_execnz .LBB5_2404
.LBB5_354:
	s_or_b64 exec, exec, s[6:7]
	s_and_saveexec_b64 s[6:7], s[4:5]
	s_cbranch_execz .LBB5_356
.LBB5_355:
	v_and_b32_e32 v10, 7, v17
	v_ffbh_u32_e32 v12, v10
	v_min_u32_e32 v12, 32, v12
	v_lshrrev_b16_e32 v11, 3, v17
	v_subrev_u32_e32 v14, 28, v12
	v_and_b32_e32 v11, 15, v11
	v_lshlrev_b32_e32 v14, v14, v17
	v_sub_u32_e32 v12, 29, v12
	v_and_b32_e32 v14, 7, v14
	v_cmp_eq_u16_e32 vcc, 0, v11
	v_cndmask_b32_e32 v10, v10, v14, vcc
	v_cndmask_b32_e32 v11, v11, v12, vcc
	v_lshlrev_b32_e32 v12, 24, v17
	v_mov_b32_e32 v14, 0x3b800000
	v_lshlrev_b32_e32 v10, 20, v10
	v_and_b32_e32 v12, 0x80000000, v12
	v_lshl_add_u32 v11, v11, 23, v14
	v_or3_b32 v10, v12, v11, v10
.LBB5_356:
	s_or_b64 exec, exec, s[6:7]
	s_movk_i32 s4, 0x7f
	v_cmp_gt_i16_sdwa s[6:7], v13, s4 src0_sel:BYTE_0 src1_sel:DWORD
	s_mov_b64 s[4:5], 0
                                        ; implicit-def: $sgpr10
	s_and_saveexec_b64 s[8:9], s[6:7]
	s_xor_b64 s[6:7], exec, s[8:9]
	s_cbranch_execnz .LBB5_2405
; %bb.357:
	s_or_saveexec_b64 s[6:7], s[6:7]
	v_mov_b32_e32 v11, s10
	s_xor_b64 exec, exec, s[6:7]
	s_cbranch_execnz .LBB5_2408
.LBB5_358:
	s_or_b64 exec, exec, s[6:7]
	s_and_saveexec_b64 s[6:7], s[4:5]
	s_cbranch_execz .LBB5_360
.LBB5_359:
	v_and_b32_e32 v11, 7, v13
	v_ffbh_u32_e32 v14, v11
	v_min_u32_e32 v14, 32, v14
	v_lshrrev_b16_e32 v12, 3, v13
	v_subrev_u32_e32 v15, 28, v14
	v_and_b32_e32 v12, 15, v12
	v_lshlrev_b32_e32 v15, v15, v13
	v_sub_u32_e32 v14, 29, v14
	v_and_b32_e32 v15, 7, v15
	v_cmp_eq_u16_e32 vcc, 0, v12
	v_cndmask_b32_e32 v11, v11, v15, vcc
	v_cndmask_b32_e32 v12, v12, v14, vcc
	v_lshlrev_b32_e32 v14, 24, v13
	v_mov_b32_e32 v15, 0x3b800000
	v_lshlrev_b32_e32 v11, 20, v11
	v_and_b32_e32 v14, 0x80000000, v14
	v_lshl_add_u32 v12, v12, 23, v15
	v_or3_b32 v11, v14, v12, v11
.LBB5_360:
	s_or_b64 exec, exec, s[6:7]
	s_nop 0
	v_mfma_f32_16x16x4f32 a[0:3], v10, v11, a[0:3]
	v_lshrrev_b32_e32 v11, 8, v17
	s_movk_i32 s4, 0x7f
	v_cmp_gt_i16_sdwa s[6:7], v11, s4 src0_sel:BYTE_0 src1_sel:DWORD
	s_mov_b64 s[4:5], 0
                                        ; implicit-def: $sgpr10
	s_and_saveexec_b64 s[8:9], s[6:7]
	s_xor_b64 s[6:7], exec, s[8:9]
	s_cbranch_execnz .LBB5_2409
; %bb.361:
	s_or_saveexec_b64 s[6:7], s[6:7]
	v_mov_b32_e32 v10, s10
	s_xor_b64 exec, exec, s[6:7]
	s_cbranch_execnz .LBB5_2412
.LBB5_362:
	s_or_b64 exec, exec, s[6:7]
	s_and_saveexec_b64 s[6:7], s[4:5]
	s_cbranch_execz .LBB5_364
.LBB5_363:
	v_bfe_u32 v10, v17, 8, 3
	v_ffbh_u32_e32 v14, v10
	v_min_u32_e32 v14, 32, v14
	v_lshrrev_b16_e32 v12, 3, v11
	v_subrev_u32_e32 v15, 28, v14
	v_and_b32_e32 v12, 15, v12
	v_lshlrev_b32_e32 v11, v15, v11
	v_sub_u32_e32 v14, 29, v14
	v_and_b32_e32 v11, 7, v11
	v_cmp_eq_u16_e32 vcc, 0, v12
	v_cndmask_b32_e32 v10, v10, v11, vcc
	v_cndmask_b32_e32 v11, v12, v14, vcc
	v_lshlrev_b32_e32 v12, 16, v17
	v_mov_b32_e32 v14, 0x3b800000
	v_lshlrev_b32_e32 v10, 20, v10
	v_and_b32_e32 v12, 0x80000000, v12
	v_lshl_add_u32 v11, v11, 23, v14
	v_or3_b32 v10, v12, v11, v10
.LBB5_364:
	s_or_b64 exec, exec, s[6:7]
	v_lshrrev_b32_e32 v11, 8, v13
	s_movk_i32 s4, 0x7f
	v_cmp_gt_i16_sdwa s[6:7], v11, s4 src0_sel:BYTE_0 src1_sel:DWORD
	s_mov_b64 s[4:5], 0
                                        ; implicit-def: $sgpr10
	s_and_saveexec_b64 s[8:9], s[6:7]
	s_xor_b64 s[6:7], exec, s[8:9]
	s_cbranch_execnz .LBB5_2413
; %bb.365:
	s_or_saveexec_b64 s[6:7], s[6:7]
	v_mov_b32_e32 v12, s10
	s_xor_b64 exec, exec, s[6:7]
	s_cbranch_execnz .LBB5_2416
.LBB5_366:
	s_or_b64 exec, exec, s[6:7]
	s_and_saveexec_b64 s[6:7], s[4:5]
	s_cbranch_execz .LBB5_368
.LBB5_367:
	v_bfe_u32 v12, v13, 8, 3
	v_ffbh_u32_e32 v15, v12
	v_min_u32_e32 v15, 32, v15
	v_lshrrev_b16_e32 v14, 3, v11
	v_subrev_u32_e32 v16, 28, v15
	v_and_b32_e32 v14, 15, v14
	v_lshlrev_b32_e32 v11, v16, v11
	v_sub_u32_e32 v15, 29, v15
	v_and_b32_e32 v11, 7, v11
	v_cmp_eq_u16_e32 vcc, 0, v14
	v_cndmask_b32_e32 v11, v12, v11, vcc
	v_cndmask_b32_e32 v12, v14, v15, vcc
	v_lshlrev_b32_e32 v14, 16, v13
	v_mov_b32_e32 v15, 0x3b800000
	v_lshlrev_b32_e32 v11, 20, v11
	v_and_b32_e32 v14, 0x80000000, v14
	v_lshl_add_u32 v12, v12, 23, v15
	v_or3_b32 v12, v14, v12, v11
.LBB5_368:
	s_or_b64 exec, exec, s[6:7]
	s_nop 0
	v_mfma_f32_16x16x4f32 a[0:3], v10, v12, a[0:3]
	s_movk_i32 s4, 0xff
	v_and_b32_sdwa v11, v17, s4 dst_sel:DWORD dst_unused:UNUSED_PAD src0_sel:WORD_1 src1_sel:DWORD
	s_movk_i32 s4, 0x7f
	v_cmp_lt_i16_e32 vcc, s4, v11
	s_mov_b64 s[4:5], 0
                                        ; implicit-def: $sgpr10
	s_and_saveexec_b64 s[6:7], vcc
	s_xor_b64 s[6:7], exec, s[6:7]
	s_cbranch_execnz .LBB5_2417
; %bb.369:
	s_or_saveexec_b64 s[6:7], s[6:7]
	v_mov_b32_e32 v10, s10
	s_xor_b64 exec, exec, s[6:7]
	s_cbranch_execnz .LBB5_2420
.LBB5_370:
	s_or_b64 exec, exec, s[6:7]
	s_and_saveexec_b64 s[6:7], s[4:5]
	s_cbranch_execz .LBB5_372
.LBB5_371:
	v_bfe_u32 v10, v17, 16, 3
	v_ffbh_u32_e32 v14, v10
	v_min_u32_e32 v14, 32, v14
	v_lshrrev_b32_e32 v11, 19, v17
	v_subrev_u32_e32 v15, 28, v14
	v_and_b32_e32 v11, 15, v11
	v_lshlrev_b32_sdwa v15, v15, v17 dst_sel:DWORD dst_unused:UNUSED_PAD src0_sel:DWORD src1_sel:WORD_1
	v_bfe_u32 v12, v17, 19, 4
	v_sub_u32_e32 v14, 29, v14
	v_and_b32_e32 v15, 7, v15
	v_cmp_eq_u16_e32 vcc, 0, v11
	v_cndmask_b32_e32 v10, v10, v15, vcc
	v_cndmask_b32_e32 v11, v12, v14, vcc
	v_lshlrev_b32_e32 v12, 8, v17
	v_mov_b32_e32 v14, 0x3b800000
	v_lshlrev_b32_e32 v10, 20, v10
	v_and_b32_e32 v12, 0x80000000, v12
	v_lshl_add_u32 v11, v11, 23, v14
	v_or3_b32 v10, v12, v11, v10
.LBB5_372:
	s_or_b64 exec, exec, s[6:7]
	s_movk_i32 s4, 0xff
	v_and_b32_sdwa v11, v13, s4 dst_sel:DWORD dst_unused:UNUSED_PAD src0_sel:WORD_1 src1_sel:DWORD
	s_movk_i32 s4, 0x7f
	v_cmp_lt_i16_e32 vcc, s4, v11
	s_mov_b64 s[4:5], 0
                                        ; implicit-def: $sgpr10
	s_and_saveexec_b64 s[6:7], vcc
	s_xor_b64 s[6:7], exec, s[6:7]
	s_cbranch_execnz .LBB5_2421
; %bb.373:
	s_or_saveexec_b64 s[6:7], s[6:7]
	v_mov_b32_e32 v12, s10
	s_xor_b64 exec, exec, s[6:7]
	s_cbranch_execnz .LBB5_2424
.LBB5_374:
	s_or_b64 exec, exec, s[6:7]
	s_and_saveexec_b64 s[6:7], s[4:5]
	s_cbranch_execz .LBB5_376
.LBB5_375:
	v_bfe_u32 v11, v13, 16, 3
	v_ffbh_u32_e32 v15, v11
	v_min_u32_e32 v15, 32, v15
	v_lshrrev_b32_e32 v12, 19, v13
	v_subrev_u32_e32 v16, 28, v15
	v_and_b32_e32 v12, 15, v12
	v_lshlrev_b32_sdwa v16, v16, v13 dst_sel:DWORD dst_unused:UNUSED_PAD src0_sel:DWORD src1_sel:WORD_1
	v_bfe_u32 v14, v13, 19, 4
	v_sub_u32_e32 v15, 29, v15
	v_and_b32_e32 v16, 7, v16
	v_cmp_eq_u16_e32 vcc, 0, v12
	v_cndmask_b32_e32 v11, v11, v16, vcc
	v_cndmask_b32_e32 v12, v14, v15, vcc
	v_lshlrev_b32_e32 v14, 8, v13
	v_mov_b32_e32 v15, 0x3b800000
	v_lshlrev_b32_e32 v11, 20, v11
	v_and_b32_e32 v14, 0x80000000, v14
	v_lshl_add_u32 v12, v12, 23, v15
	v_or3_b32 v12, v14, v12, v11
.LBB5_376:
	s_or_b64 exec, exec, s[6:7]
	s_nop 0
	v_mfma_f32_16x16x4f32 a[0:3], v10, v12, a[0:3]
	s_movk_i32 s4, 0x7f
	v_cmp_gt_i16_sdwa s[6:7], v17, s4 src0_sel:BYTE_3 src1_sel:DWORD
	s_mov_b64 s[4:5], 0
                                        ; implicit-def: $sgpr10
	s_and_saveexec_b64 s[8:9], s[6:7]
	s_xor_b64 s[6:7], exec, s[8:9]
	s_cbranch_execnz .LBB5_2425
; %bb.377:
	s_or_saveexec_b64 s[6:7], s[6:7]
	v_mov_b32_e32 v10, s10
	s_xor_b64 exec, exec, s[6:7]
	s_cbranch_execnz .LBB5_2428
.LBB5_378:
	s_or_b64 exec, exec, s[6:7]
	s_and_saveexec_b64 s[6:7], s[4:5]
	s_cbranch_execz .LBB5_380
.LBB5_379:
	v_bfe_u32 v10, v17, 24, 3
	v_ffbh_u32_e32 v15, v10
	v_min_u32_e32 v15, 32, v15
	v_lshrrev_b32_e32 v12, 27, v17
	v_subrev_u32_e32 v16, 28, v15
	v_and_b32_e32 v12, 15, v12
	v_lshlrev_b32_sdwa v16, v16, v17 dst_sel:DWORD dst_unused:UNUSED_PAD src0_sel:DWORD src1_sel:BYTE_3
	v_bfe_u32 v14, v17, 27, 4
	v_sub_u32_e32 v15, 29, v15
	v_and_b32_e32 v16, 7, v16
	v_cmp_eq_u16_e32 vcc, 0, v12
	v_cndmask_b32_e32 v10, v10, v16, vcc
	v_cndmask_b32_e32 v12, v14, v15, vcc
	v_mov_b32_e32 v14, 0x3b800000
	v_and_b32_e32 v11, 0x80000000, v17
	v_lshlrev_b32_e32 v10, 20, v10
	v_lshl_add_u32 v12, v12, 23, v14
	v_or3_b32 v10, v11, v12, v10
.LBB5_380:
	s_or_b64 exec, exec, s[6:7]
	s_movk_i32 s4, 0x7f
	v_cmp_gt_i16_sdwa s[6:7], v13, s4 src0_sel:BYTE_3 src1_sel:DWORD
	s_mov_b64 s[4:5], 0
                                        ; implicit-def: $sgpr10
	s_and_saveexec_b64 s[8:9], s[6:7]
	s_xor_b64 s[6:7], exec, s[8:9]
	s_cbranch_execnz .LBB5_2429
; %bb.381:
	s_or_saveexec_b64 s[6:7], s[6:7]
	v_mov_b32_e32 v11, s10
	s_xor_b64 exec, exec, s[6:7]
	s_cbranch_execnz .LBB5_2432
.LBB5_382:
	s_or_b64 exec, exec, s[6:7]
	s_and_saveexec_b64 s[6:7], s[4:5]
	s_cbranch_execz .LBB5_384
.LBB5_383:
	v_bfe_u32 v11, v13, 24, 3
	v_ffbh_u32_e32 v16, v11
	v_min_u32_e32 v16, 32, v16
	v_lshrrev_b32_e32 v14, 27, v13
	v_subrev_u32_e32 v17, 28, v16
	v_and_b32_e32 v12, 0x80000000, v13
	v_and_b32_e32 v14, 15, v14
	v_bfe_u32 v15, v13, 27, 4
	v_lshlrev_b32_sdwa v13, v17, v13 dst_sel:DWORD dst_unused:UNUSED_PAD src0_sel:DWORD src1_sel:BYTE_3
	v_sub_u32_e32 v16, 29, v16
	v_and_b32_e32 v13, 7, v13
	v_cmp_eq_u16_e32 vcc, 0, v14
	v_cndmask_b32_e32 v11, v11, v13, vcc
	v_cndmask_b32_e32 v13, v15, v16, vcc
	v_mov_b32_e32 v14, 0x3b800000
	v_lshlrev_b32_e32 v11, 20, v11
	v_lshl_add_u32 v13, v13, 23, v14
	v_or3_b32 v11, v12, v13, v11
.LBB5_384:
	s_or_b64 exec, exec, s[6:7]
	s_nop 0
	v_mfma_f32_16x16x4f32 a[0:3], v10, v11, a[0:3]
	s_movk_i32 s4, 0x7f
	v_cmp_gt_i16_sdwa s[6:7], v6, s4 src0_sel:BYTE_0 src1_sel:DWORD
	s_mov_b64 s[4:5], 0
                                        ; implicit-def: $sgpr10
	s_and_saveexec_b64 s[8:9], s[6:7]
	s_xor_b64 s[6:7], exec, s[8:9]
	s_cbranch_execnz .LBB5_2433
; %bb.385:
	s_or_saveexec_b64 s[6:7], s[6:7]
	v_mov_b32_e32 v10, s10
	s_xor_b64 exec, exec, s[6:7]
	s_cbranch_execnz .LBB5_2436
.LBB5_386:
	s_or_b64 exec, exec, s[6:7]
	s_and_saveexec_b64 s[6:7], s[4:5]
	s_cbranch_execz .LBB5_388
.LBB5_387:
	v_and_b32_e32 v10, 7, v6
	v_ffbh_u32_e32 v12, v10
	v_min_u32_e32 v12, 32, v12
	v_lshrrev_b16_e32 v11, 3, v6
	v_subrev_u32_e32 v13, 28, v12
	v_and_b32_e32 v11, 15, v11
	v_lshlrev_b32_e32 v13, v13, v6
	v_sub_u32_e32 v12, 29, v12
	v_and_b32_e32 v13, 7, v13
	v_cmp_eq_u16_e32 vcc, 0, v11
	v_cndmask_b32_e32 v10, v10, v13, vcc
	v_cndmask_b32_e32 v11, v11, v12, vcc
	v_lshlrev_b32_e32 v12, 24, v6
	v_mov_b32_e32 v13, 0x3b800000
	v_lshlrev_b32_e32 v10, 20, v10
	v_and_b32_e32 v12, 0x80000000, v12
	v_lshl_add_u32 v11, v11, 23, v13
	v_or3_b32 v10, v12, v11, v10
.LBB5_388:
	s_or_b64 exec, exec, s[6:7]
	s_movk_i32 s4, 0x7f
	v_cmp_gt_i16_sdwa s[6:7], v2, s4 src0_sel:BYTE_0 src1_sel:DWORD
	s_mov_b64 s[4:5], 0
                                        ; implicit-def: $sgpr10
	s_and_saveexec_b64 s[8:9], s[6:7]
	s_xor_b64 s[6:7], exec, s[8:9]
	s_cbranch_execnz .LBB5_2437
; %bb.389:
	s_or_saveexec_b64 s[6:7], s[6:7]
	v_mov_b32_e32 v11, s10
	s_xor_b64 exec, exec, s[6:7]
	s_cbranch_execnz .LBB5_2440
.LBB5_390:
	s_or_b64 exec, exec, s[6:7]
	s_and_saveexec_b64 s[6:7], s[4:5]
	s_cbranch_execz .LBB5_392
.LBB5_391:
	v_and_b32_e32 v11, 7, v2
	v_ffbh_u32_e32 v13, v11
	v_min_u32_e32 v13, 32, v13
	v_lshrrev_b16_e32 v12, 3, v2
	v_subrev_u32_e32 v14, 28, v13
	v_and_b32_e32 v12, 15, v12
	v_lshlrev_b32_e32 v14, v14, v2
	v_sub_u32_e32 v13, 29, v13
	v_and_b32_e32 v14, 7, v14
	v_cmp_eq_u16_e32 vcc, 0, v12
	v_cndmask_b32_e32 v11, v11, v14, vcc
	v_cndmask_b32_e32 v12, v12, v13, vcc
	v_lshlrev_b32_e32 v13, 24, v2
	v_mov_b32_e32 v14, 0x3b800000
	v_lshlrev_b32_e32 v11, 20, v11
	v_and_b32_e32 v13, 0x80000000, v13
	v_lshl_add_u32 v12, v12, 23, v14
	v_or3_b32 v11, v13, v12, v11
.LBB5_392:
	s_or_b64 exec, exec, s[6:7]
	s_nop 0
	v_mfma_f32_16x16x4f32 a[0:3], v10, v11, a[0:3]
	v_lshrrev_b32_e32 v11, 8, v6
	s_movk_i32 s4, 0x7f
	v_cmp_gt_i16_sdwa s[6:7], v11, s4 src0_sel:BYTE_0 src1_sel:DWORD
	s_mov_b64 s[4:5], 0
                                        ; implicit-def: $sgpr10
	s_and_saveexec_b64 s[8:9], s[6:7]
	s_xor_b64 s[6:7], exec, s[8:9]
	s_cbranch_execnz .LBB5_2441
; %bb.393:
	s_or_saveexec_b64 s[6:7], s[6:7]
	v_mov_b32_e32 v10, s10
	s_xor_b64 exec, exec, s[6:7]
	s_cbranch_execnz .LBB5_2444
.LBB5_394:
	s_or_b64 exec, exec, s[6:7]
	s_and_saveexec_b64 s[6:7], s[4:5]
	s_cbranch_execz .LBB5_396
.LBB5_395:
	v_bfe_u32 v10, v6, 8, 3
	v_ffbh_u32_e32 v13, v10
	v_min_u32_e32 v13, 32, v13
	v_lshrrev_b16_e32 v12, 3, v11
	v_subrev_u32_e32 v14, 28, v13
	v_and_b32_e32 v12, 15, v12
	v_lshlrev_b32_e32 v11, v14, v11
	v_sub_u32_e32 v13, 29, v13
	v_and_b32_e32 v11, 7, v11
	v_cmp_eq_u16_e32 vcc, 0, v12
	v_cndmask_b32_e32 v10, v10, v11, vcc
	v_cndmask_b32_e32 v11, v12, v13, vcc
	v_lshlrev_b32_e32 v12, 16, v6
	v_mov_b32_e32 v13, 0x3b800000
	v_lshlrev_b32_e32 v10, 20, v10
	v_and_b32_e32 v12, 0x80000000, v12
	v_lshl_add_u32 v11, v11, 23, v13
	v_or3_b32 v10, v12, v11, v10
.LBB5_396:
	s_or_b64 exec, exec, s[6:7]
	v_lshrrev_b32_e32 v11, 8, v2
	s_movk_i32 s4, 0x7f
	v_cmp_gt_i16_sdwa s[6:7], v11, s4 src0_sel:BYTE_0 src1_sel:DWORD
	s_mov_b64 s[4:5], 0
                                        ; implicit-def: $sgpr10
	s_and_saveexec_b64 s[8:9], s[6:7]
	s_xor_b64 s[6:7], exec, s[8:9]
	s_cbranch_execnz .LBB5_2445
; %bb.397:
	s_or_saveexec_b64 s[6:7], s[6:7]
	v_mov_b32_e32 v12, s10
	s_xor_b64 exec, exec, s[6:7]
	s_cbranch_execnz .LBB5_2448
.LBB5_398:
	s_or_b64 exec, exec, s[6:7]
	s_and_saveexec_b64 s[6:7], s[4:5]
	s_cbranch_execz .LBB5_400
.LBB5_399:
	v_bfe_u32 v12, v2, 8, 3
	v_ffbh_u32_e32 v14, v12
	v_min_u32_e32 v14, 32, v14
	v_lshrrev_b16_e32 v13, 3, v11
	v_subrev_u32_e32 v15, 28, v14
	v_and_b32_e32 v13, 15, v13
	v_lshlrev_b32_e32 v11, v15, v11
	v_sub_u32_e32 v14, 29, v14
	v_and_b32_e32 v11, 7, v11
	v_cmp_eq_u16_e32 vcc, 0, v13
	v_cndmask_b32_e32 v11, v12, v11, vcc
	v_cndmask_b32_e32 v12, v13, v14, vcc
	v_lshlrev_b32_e32 v13, 16, v2
	v_mov_b32_e32 v14, 0x3b800000
	v_lshlrev_b32_e32 v11, 20, v11
	v_and_b32_e32 v13, 0x80000000, v13
	v_lshl_add_u32 v12, v12, 23, v14
	v_or3_b32 v12, v13, v12, v11
.LBB5_400:
	s_or_b64 exec, exec, s[6:7]
	s_nop 0
	v_mfma_f32_16x16x4f32 a[0:3], v10, v12, a[0:3]
	s_movk_i32 s4, 0xff
	v_and_b32_sdwa v11, v6, s4 dst_sel:DWORD dst_unused:UNUSED_PAD src0_sel:WORD_1 src1_sel:DWORD
	s_movk_i32 s4, 0x7f
	v_cmp_lt_i16_e32 vcc, s4, v11
	s_mov_b64 s[4:5], 0
                                        ; implicit-def: $sgpr10
	s_and_saveexec_b64 s[6:7], vcc
	s_xor_b64 s[6:7], exec, s[6:7]
	s_cbranch_execnz .LBB5_2449
; %bb.401:
	s_or_saveexec_b64 s[6:7], s[6:7]
	v_mov_b32_e32 v10, s10
	s_xor_b64 exec, exec, s[6:7]
	s_cbranch_execnz .LBB5_2452
.LBB5_402:
	s_or_b64 exec, exec, s[6:7]
	s_and_saveexec_b64 s[6:7], s[4:5]
	s_cbranch_execz .LBB5_404
.LBB5_403:
	v_bfe_u32 v10, v6, 16, 3
	v_ffbh_u32_e32 v13, v10
	v_min_u32_e32 v13, 32, v13
	v_lshrrev_b32_e32 v11, 19, v6
	v_subrev_u32_e32 v14, 28, v13
	v_and_b32_e32 v11, 15, v11
	v_lshlrev_b32_sdwa v14, v14, v6 dst_sel:DWORD dst_unused:UNUSED_PAD src0_sel:DWORD src1_sel:WORD_1
	v_bfe_u32 v12, v6, 19, 4
	v_sub_u32_e32 v13, 29, v13
	v_and_b32_e32 v14, 7, v14
	v_cmp_eq_u16_e32 vcc, 0, v11
	v_cndmask_b32_e32 v10, v10, v14, vcc
	v_cndmask_b32_e32 v11, v12, v13, vcc
	v_lshlrev_b32_e32 v12, 8, v6
	v_mov_b32_e32 v13, 0x3b800000
	v_lshlrev_b32_e32 v10, 20, v10
	v_and_b32_e32 v12, 0x80000000, v12
	v_lshl_add_u32 v11, v11, 23, v13
	v_or3_b32 v10, v12, v11, v10
.LBB5_404:
	s_or_b64 exec, exec, s[6:7]
	s_movk_i32 s4, 0xff
	v_and_b32_sdwa v11, v2, s4 dst_sel:DWORD dst_unused:UNUSED_PAD src0_sel:WORD_1 src1_sel:DWORD
	s_movk_i32 s4, 0x7f
	v_cmp_lt_i16_e32 vcc, s4, v11
	s_mov_b64 s[4:5], 0
                                        ; implicit-def: $sgpr10
	s_and_saveexec_b64 s[6:7], vcc
	s_xor_b64 s[6:7], exec, s[6:7]
	s_cbranch_execnz .LBB5_2453
; %bb.405:
	s_or_saveexec_b64 s[6:7], s[6:7]
	v_mov_b32_e32 v12, s10
	s_xor_b64 exec, exec, s[6:7]
	s_cbranch_execnz .LBB5_2456
.LBB5_406:
	s_or_b64 exec, exec, s[6:7]
	s_and_saveexec_b64 s[6:7], s[4:5]
	s_cbranch_execz .LBB5_408
.LBB5_407:
	v_bfe_u32 v11, v2, 16, 3
	v_ffbh_u32_e32 v14, v11
	v_min_u32_e32 v14, 32, v14
	v_lshrrev_b32_e32 v12, 19, v2
	v_subrev_u32_e32 v15, 28, v14
	v_and_b32_e32 v12, 15, v12
	v_lshlrev_b32_sdwa v15, v15, v2 dst_sel:DWORD dst_unused:UNUSED_PAD src0_sel:DWORD src1_sel:WORD_1
	v_bfe_u32 v13, v2, 19, 4
	v_sub_u32_e32 v14, 29, v14
	v_and_b32_e32 v15, 7, v15
	v_cmp_eq_u16_e32 vcc, 0, v12
	v_cndmask_b32_e32 v11, v11, v15, vcc
	v_cndmask_b32_e32 v12, v13, v14, vcc
	v_lshlrev_b32_e32 v13, 8, v2
	v_mov_b32_e32 v14, 0x3b800000
	v_lshlrev_b32_e32 v11, 20, v11
	v_and_b32_e32 v13, 0x80000000, v13
	v_lshl_add_u32 v12, v12, 23, v14
	v_or3_b32 v12, v13, v12, v11
.LBB5_408:
	s_or_b64 exec, exec, s[6:7]
	s_nop 0
	v_mfma_f32_16x16x4f32 a[0:3], v10, v12, a[0:3]
	s_movk_i32 s4, 0x7f
	v_cmp_gt_i16_sdwa s[6:7], v6, s4 src0_sel:BYTE_3 src1_sel:DWORD
	s_mov_b64 s[4:5], 0
                                        ; implicit-def: $sgpr10
	s_and_saveexec_b64 s[8:9], s[6:7]
	s_xor_b64 s[6:7], exec, s[8:9]
	s_cbranch_execnz .LBB5_2457
; %bb.409:
	s_or_saveexec_b64 s[6:7], s[6:7]
	v_mov_b32_e32 v10, s10
	s_xor_b64 exec, exec, s[6:7]
	s_cbranch_execnz .LBB5_2460
.LBB5_410:
	s_or_b64 exec, exec, s[6:7]
	s_and_saveexec_b64 s[6:7], s[4:5]
	s_cbranch_execz .LBB5_412
.LBB5_411:
	v_bfe_u32 v10, v6, 24, 3
	v_ffbh_u32_e32 v14, v10
	v_min_u32_e32 v14, 32, v14
	v_lshrrev_b32_e32 v12, 27, v6
	v_subrev_u32_e32 v15, 28, v14
	v_and_b32_e32 v11, 0x80000000, v6
	v_and_b32_e32 v12, 15, v12
	v_bfe_u32 v13, v6, 27, 4
	v_lshlrev_b32_sdwa v6, v15, v6 dst_sel:DWORD dst_unused:UNUSED_PAD src0_sel:DWORD src1_sel:BYTE_3
	v_sub_u32_e32 v14, 29, v14
	v_and_b32_e32 v6, 7, v6
	v_cmp_eq_u16_e32 vcc, 0, v12
	v_cndmask_b32_e32 v6, v10, v6, vcc
	v_cndmask_b32_e32 v10, v13, v14, vcc
	v_mov_b32_e32 v12, 0x3b800000
	v_lshlrev_b32_e32 v6, 20, v6
	v_lshl_add_u32 v10, v10, 23, v12
	v_or3_b32 v10, v11, v10, v6
.LBB5_412:
	s_or_b64 exec, exec, s[6:7]
	s_movk_i32 s4, 0x7f
	v_cmp_gt_i16_sdwa s[6:7], v2, s4 src0_sel:BYTE_3 src1_sel:DWORD
	s_mov_b64 s[4:5], 0
                                        ; implicit-def: $sgpr10
	s_and_saveexec_b64 s[8:9], s[6:7]
	s_xor_b64 s[6:7], exec, s[8:9]
	s_cbranch_execnz .LBB5_2461
; %bb.413:
	s_or_saveexec_b64 s[6:7], s[6:7]
	v_mov_b32_e32 v6, s10
	s_xor_b64 exec, exec, s[6:7]
	s_cbranch_execnz .LBB5_2464
.LBB5_414:
	s_or_b64 exec, exec, s[6:7]
	s_and_saveexec_b64 s[6:7], s[4:5]
	s_cbranch_execz .LBB5_416
.LBB5_415:
	v_bfe_u32 v6, v2, 24, 3
	v_ffbh_u32_e32 v14, v6
	v_min_u32_e32 v14, 32, v14
	v_lshrrev_b32_e32 v12, 27, v2
	v_subrev_u32_e32 v15, 28, v14
	v_and_b32_e32 v11, 0x80000000, v2
	v_and_b32_e32 v12, 15, v12
	v_bfe_u32 v13, v2, 27, 4
	v_lshlrev_b32_sdwa v2, v15, v2 dst_sel:DWORD dst_unused:UNUSED_PAD src0_sel:DWORD src1_sel:BYTE_3
	v_sub_u32_e32 v14, 29, v14
	v_and_b32_e32 v2, 7, v2
	v_cmp_eq_u16_e32 vcc, 0, v12
	v_cndmask_b32_e32 v2, v6, v2, vcc
	v_cndmask_b32_e32 v6, v13, v14, vcc
	v_mov_b32_e32 v12, 0x3b800000
	v_lshlrev_b32_e32 v2, 20, v2
	v_lshl_add_u32 v6, v6, 23, v12
	v_or3_b32 v6, v11, v6, v2
.LBB5_416:
	s_or_b64 exec, exec, s[6:7]
	s_nop 0
	v_mfma_f32_16x16x4f32 a[0:3], v10, v6, a[0:3]
	s_movk_i32 s4, 0x7f
	v_cmp_gt_i16_sdwa s[6:7], v7, s4 src0_sel:BYTE_0 src1_sel:DWORD
	s_mov_b64 s[4:5], 0
                                        ; implicit-def: $sgpr10
	s_and_saveexec_b64 s[8:9], s[6:7]
	s_xor_b64 s[6:7], exec, s[8:9]
	s_cbranch_execnz .LBB5_2465
; %bb.417:
	s_or_saveexec_b64 s[6:7], s[6:7]
	v_mov_b32_e32 v2, s10
	s_xor_b64 exec, exec, s[6:7]
	s_cbranch_execnz .LBB5_2468
.LBB5_418:
	s_or_b64 exec, exec, s[6:7]
	s_and_saveexec_b64 s[6:7], s[4:5]
	s_cbranch_execz .LBB5_420
.LBB5_419:
	v_and_b32_e32 v2, 7, v7
	v_ffbh_u32_e32 v10, v2
	v_min_u32_e32 v10, 32, v10
	v_lshrrev_b16_e32 v6, 3, v7
	v_subrev_u32_e32 v11, 28, v10
	v_and_b32_e32 v6, 15, v6
	v_lshlrev_b32_e32 v11, v11, v7
	v_sub_u32_e32 v10, 29, v10
	v_and_b32_e32 v11, 7, v11
	v_cmp_eq_u16_e32 vcc, 0, v6
	v_cndmask_b32_e32 v2, v2, v11, vcc
	v_cndmask_b32_e32 v6, v6, v10, vcc
	v_lshlrev_b32_e32 v10, 24, v7
	v_mov_b32_e32 v11, 0x3b800000
	v_lshlrev_b32_e32 v2, 20, v2
	v_and_b32_e32 v10, 0x80000000, v10
	v_lshl_add_u32 v6, v6, 23, v11
	v_or3_b32 v2, v10, v6, v2
.LBB5_420:
	s_or_b64 exec, exec, s[6:7]
	s_movk_i32 s4, 0x7f
	v_cmp_gt_i16_sdwa s[6:7], v3, s4 src0_sel:BYTE_0 src1_sel:DWORD
	s_mov_b64 s[4:5], 0
                                        ; implicit-def: $sgpr10
	s_and_saveexec_b64 s[8:9], s[6:7]
	s_xor_b64 s[6:7], exec, s[8:9]
	s_cbranch_execnz .LBB5_2469
; %bb.421:
	s_or_saveexec_b64 s[6:7], s[6:7]
	v_mov_b32_e32 v6, s10
	s_xor_b64 exec, exec, s[6:7]
	s_cbranch_execnz .LBB5_2472
.LBB5_422:
	s_or_b64 exec, exec, s[6:7]
	s_and_saveexec_b64 s[6:7], s[4:5]
	s_cbranch_execz .LBB5_424
.LBB5_423:
	v_and_b32_e32 v6, 7, v3
	v_ffbh_u32_e32 v11, v6
	v_min_u32_e32 v11, 32, v11
	v_lshrrev_b16_e32 v10, 3, v3
	v_subrev_u32_e32 v12, 28, v11
	v_and_b32_e32 v10, 15, v10
	v_lshlrev_b32_e32 v12, v12, v3
	v_sub_u32_e32 v11, 29, v11
	v_and_b32_e32 v12, 7, v12
	v_cmp_eq_u16_e32 vcc, 0, v10
	v_cndmask_b32_e32 v6, v6, v12, vcc
	v_cndmask_b32_e32 v10, v10, v11, vcc
	v_lshlrev_b32_e32 v11, 24, v3
	v_mov_b32_e32 v12, 0x3b800000
	v_lshlrev_b32_e32 v6, 20, v6
	v_and_b32_e32 v11, 0x80000000, v11
	v_lshl_add_u32 v10, v10, 23, v12
	v_or3_b32 v6, v11, v10, v6
.LBB5_424:
	s_or_b64 exec, exec, s[6:7]
	s_nop 0
	v_mfma_f32_16x16x4f32 a[0:3], v2, v6, a[0:3]
	v_lshrrev_b32_e32 v6, 8, v7
	s_movk_i32 s4, 0x7f
	v_cmp_gt_i16_sdwa s[6:7], v6, s4 src0_sel:BYTE_0 src1_sel:DWORD
	s_mov_b64 s[4:5], 0
                                        ; implicit-def: $sgpr10
	s_and_saveexec_b64 s[8:9], s[6:7]
	s_xor_b64 s[6:7], exec, s[8:9]
	s_cbranch_execnz .LBB5_2473
; %bb.425:
	s_or_saveexec_b64 s[6:7], s[6:7]
	v_mov_b32_e32 v2, s10
	s_xor_b64 exec, exec, s[6:7]
	s_cbranch_execnz .LBB5_2476
.LBB5_426:
	s_or_b64 exec, exec, s[6:7]
	s_and_saveexec_b64 s[6:7], s[4:5]
	s_cbranch_execz .LBB5_428
.LBB5_427:
	v_bfe_u32 v2, v7, 8, 3
	v_ffbh_u32_e32 v11, v2
	v_min_u32_e32 v11, 32, v11
	v_lshrrev_b16_e32 v10, 3, v6
	v_subrev_u32_e32 v12, 28, v11
	v_and_b32_e32 v10, 15, v10
	v_lshlrev_b32_e32 v6, v12, v6
	v_sub_u32_e32 v11, 29, v11
	v_and_b32_e32 v6, 7, v6
	v_cmp_eq_u16_e32 vcc, 0, v10
	v_cndmask_b32_e32 v2, v2, v6, vcc
	v_cndmask_b32_e32 v6, v10, v11, vcc
	v_lshlrev_b32_e32 v10, 16, v7
	v_mov_b32_e32 v11, 0x3b800000
	v_lshlrev_b32_e32 v2, 20, v2
	v_and_b32_e32 v10, 0x80000000, v10
	v_lshl_add_u32 v6, v6, 23, v11
	v_or3_b32 v2, v10, v6, v2
.LBB5_428:
	s_or_b64 exec, exec, s[6:7]
	v_lshrrev_b32_e32 v6, 8, v3
	s_movk_i32 s4, 0x7f
	v_cmp_gt_i16_sdwa s[6:7], v6, s4 src0_sel:BYTE_0 src1_sel:DWORD
	s_mov_b64 s[4:5], 0
                                        ; implicit-def: $sgpr10
	s_and_saveexec_b64 s[8:9], s[6:7]
	s_xor_b64 s[6:7], exec, s[8:9]
	s_cbranch_execnz .LBB5_2477
; %bb.429:
	s_or_saveexec_b64 s[6:7], s[6:7]
	v_mov_b32_e32 v10, s10
	s_xor_b64 exec, exec, s[6:7]
	s_cbranch_execnz .LBB5_2480
.LBB5_430:
	s_or_b64 exec, exec, s[6:7]
	s_and_saveexec_b64 s[6:7], s[4:5]
	s_cbranch_execz .LBB5_432
.LBB5_431:
	v_bfe_u32 v10, v3, 8, 3
	v_ffbh_u32_e32 v12, v10
	v_min_u32_e32 v12, 32, v12
	v_lshrrev_b16_e32 v11, 3, v6
	v_subrev_u32_e32 v13, 28, v12
	v_and_b32_e32 v11, 15, v11
	v_lshlrev_b32_e32 v6, v13, v6
	v_sub_u32_e32 v12, 29, v12
	v_and_b32_e32 v6, 7, v6
	v_cmp_eq_u16_e32 vcc, 0, v11
	v_cndmask_b32_e32 v6, v10, v6, vcc
	v_cndmask_b32_e32 v10, v11, v12, vcc
	v_lshlrev_b32_e32 v11, 16, v3
	v_mov_b32_e32 v12, 0x3b800000
	v_lshlrev_b32_e32 v6, 20, v6
	v_and_b32_e32 v11, 0x80000000, v11
	v_lshl_add_u32 v10, v10, 23, v12
	v_or3_b32 v10, v11, v10, v6
.LBB5_432:
	s_or_b64 exec, exec, s[6:7]
	s_nop 0
	v_mfma_f32_16x16x4f32 a[0:3], v2, v10, a[0:3]
	s_movk_i32 s4, 0xff
	v_and_b32_sdwa v6, v7, s4 dst_sel:DWORD dst_unused:UNUSED_PAD src0_sel:WORD_1 src1_sel:DWORD
	s_movk_i32 s4, 0x7f
	v_cmp_lt_i16_e32 vcc, s4, v6
	s_mov_b64 s[4:5], 0
                                        ; implicit-def: $sgpr10
	s_and_saveexec_b64 s[6:7], vcc
	s_xor_b64 s[6:7], exec, s[6:7]
	s_cbranch_execnz .LBB5_2481
; %bb.433:
	s_or_saveexec_b64 s[6:7], s[6:7]
	v_mov_b32_e32 v2, s10
	s_xor_b64 exec, exec, s[6:7]
	s_cbranch_execnz .LBB5_2484
.LBB5_434:
	s_or_b64 exec, exec, s[6:7]
	s_and_saveexec_b64 s[6:7], s[4:5]
	s_cbranch_execz .LBB5_436
.LBB5_435:
	v_bfe_u32 v2, v7, 16, 3
	v_ffbh_u32_e32 v11, v2
	v_min_u32_e32 v11, 32, v11
	v_lshrrev_b32_e32 v6, 19, v7
	v_subrev_u32_e32 v12, 28, v11
	v_and_b32_e32 v6, 15, v6
	v_lshlrev_b32_sdwa v12, v12, v7 dst_sel:DWORD dst_unused:UNUSED_PAD src0_sel:DWORD src1_sel:WORD_1
	v_bfe_u32 v10, v7, 19, 4
	v_sub_u32_e32 v11, 29, v11
	v_and_b32_e32 v12, 7, v12
	v_cmp_eq_u16_e32 vcc, 0, v6
	v_cndmask_b32_e32 v2, v2, v12, vcc
	v_cndmask_b32_e32 v6, v10, v11, vcc
	v_lshlrev_b32_e32 v10, 8, v7
	v_mov_b32_e32 v11, 0x3b800000
	v_lshlrev_b32_e32 v2, 20, v2
	v_and_b32_e32 v10, 0x80000000, v10
	v_lshl_add_u32 v6, v6, 23, v11
	v_or3_b32 v2, v10, v6, v2
.LBB5_436:
	s_or_b64 exec, exec, s[6:7]
	s_movk_i32 s4, 0xff
	v_and_b32_sdwa v6, v3, s4 dst_sel:DWORD dst_unused:UNUSED_PAD src0_sel:WORD_1 src1_sel:DWORD
	s_movk_i32 s4, 0x7f
	v_cmp_lt_i16_e32 vcc, s4, v6
	s_mov_b64 s[4:5], 0
                                        ; implicit-def: $sgpr10
	s_and_saveexec_b64 s[6:7], vcc
	s_xor_b64 s[6:7], exec, s[6:7]
	s_cbranch_execnz .LBB5_2485
; %bb.437:
	s_or_saveexec_b64 s[6:7], s[6:7]
	v_mov_b32_e32 v10, s10
	s_xor_b64 exec, exec, s[6:7]
	s_cbranch_execnz .LBB5_2488
.LBB5_438:
	s_or_b64 exec, exec, s[6:7]
	s_and_saveexec_b64 s[6:7], s[4:5]
	s_cbranch_execz .LBB5_440
.LBB5_439:
	v_bfe_u32 v6, v3, 16, 3
	v_ffbh_u32_e32 v12, v6
	v_min_u32_e32 v12, 32, v12
	v_lshrrev_b32_e32 v10, 19, v3
	v_subrev_u32_e32 v13, 28, v12
	v_and_b32_e32 v10, 15, v10
	v_lshlrev_b32_sdwa v13, v13, v3 dst_sel:DWORD dst_unused:UNUSED_PAD src0_sel:DWORD src1_sel:WORD_1
	v_bfe_u32 v11, v3, 19, 4
	v_sub_u32_e32 v12, 29, v12
	v_and_b32_e32 v13, 7, v13
	v_cmp_eq_u16_e32 vcc, 0, v10
	v_cndmask_b32_e32 v6, v6, v13, vcc
	v_cndmask_b32_e32 v10, v11, v12, vcc
	v_lshlrev_b32_e32 v11, 8, v3
	v_mov_b32_e32 v12, 0x3b800000
	v_lshlrev_b32_e32 v6, 20, v6
	v_and_b32_e32 v11, 0x80000000, v11
	v_lshl_add_u32 v10, v10, 23, v12
	v_or3_b32 v10, v11, v10, v6
.LBB5_440:
	s_or_b64 exec, exec, s[6:7]
	s_nop 0
	v_mfma_f32_16x16x4f32 a[0:3], v2, v10, a[0:3]
	s_movk_i32 s4, 0x7f
	v_cmp_gt_i16_sdwa s[6:7], v7, s4 src0_sel:BYTE_3 src1_sel:DWORD
	s_mov_b64 s[4:5], 0
                                        ; implicit-def: $sgpr10
	s_and_saveexec_b64 s[8:9], s[6:7]
	s_xor_b64 s[6:7], exec, s[8:9]
	s_cbranch_execnz .LBB5_2489
; %bb.441:
	s_or_saveexec_b64 s[6:7], s[6:7]
	v_mov_b32_e32 v2, s10
	s_xor_b64 exec, exec, s[6:7]
	s_cbranch_execnz .LBB5_2492
.LBB5_442:
	s_or_b64 exec, exec, s[6:7]
	s_and_saveexec_b64 s[6:7], s[4:5]
	s_cbranch_execz .LBB5_444
.LBB5_443:
	v_bfe_u32 v2, v7, 24, 3
	v_ffbh_u32_e32 v12, v2
	v_min_u32_e32 v12, 32, v12
	v_lshrrev_b32_e32 v10, 27, v7
	v_subrev_u32_e32 v13, 28, v12
	v_and_b32_e32 v6, 0x80000000, v7
	v_and_b32_e32 v10, 15, v10
	v_bfe_u32 v11, v7, 27, 4
	v_lshlrev_b32_sdwa v7, v13, v7 dst_sel:DWORD dst_unused:UNUSED_PAD src0_sel:DWORD src1_sel:BYTE_3
	v_sub_u32_e32 v12, 29, v12
	v_and_b32_e32 v7, 7, v7
	v_cmp_eq_u16_e32 vcc, 0, v10
	v_cndmask_b32_e32 v2, v2, v7, vcc
	v_cndmask_b32_e32 v7, v11, v12, vcc
	v_mov_b32_e32 v10, 0x3b800000
	v_lshlrev_b32_e32 v2, 20, v2
	v_lshl_add_u32 v7, v7, 23, v10
	v_or3_b32 v2, v6, v7, v2
.LBB5_444:
	s_or_b64 exec, exec, s[6:7]
	s_movk_i32 s4, 0x7f
	v_cmp_gt_i16_sdwa s[6:7], v3, s4 src0_sel:BYTE_3 src1_sel:DWORD
	s_mov_b64 s[4:5], 0
                                        ; implicit-def: $sgpr10
	s_and_saveexec_b64 s[8:9], s[6:7]
	s_xor_b64 s[6:7], exec, s[8:9]
	s_cbranch_execnz .LBB5_2493
; %bb.445:
	s_or_saveexec_b64 s[6:7], s[6:7]
	v_mov_b32_e32 v6, s10
	s_xor_b64 exec, exec, s[6:7]
	s_cbranch_execnz .LBB5_2496
.LBB5_446:
	s_or_b64 exec, exec, s[6:7]
	s_and_saveexec_b64 s[6:7], s[4:5]
	s_cbranch_execz .LBB5_448
.LBB5_447:
	v_bfe_u32 v6, v3, 24, 3
	v_ffbh_u32_e32 v12, v6
	v_min_u32_e32 v12, 32, v12
	v_lshrrev_b32_e32 v10, 27, v3
	v_subrev_u32_e32 v13, 28, v12
	v_and_b32_e32 v7, 0x80000000, v3
	v_and_b32_e32 v10, 15, v10
	v_bfe_u32 v11, v3, 27, 4
	v_lshlrev_b32_sdwa v3, v13, v3 dst_sel:DWORD dst_unused:UNUSED_PAD src0_sel:DWORD src1_sel:BYTE_3
	v_sub_u32_e32 v12, 29, v12
	v_and_b32_e32 v3, 7, v3
	v_cmp_eq_u16_e32 vcc, 0, v10
	v_cndmask_b32_e32 v3, v6, v3, vcc
	v_cndmask_b32_e32 v6, v11, v12, vcc
	v_mov_b32_e32 v10, 0x3b800000
	v_lshlrev_b32_e32 v3, 20, v3
	v_lshl_add_u32 v6, v6, 23, v10
	v_or3_b32 v6, v7, v6, v3
.LBB5_448:
	s_or_b64 exec, exec, s[6:7]
	s_nop 0
	v_mfma_f32_16x16x4f32 a[0:3], v2, v6, a[0:3]
	s_movk_i32 s4, 0x7f
	v_cmp_gt_i16_sdwa s[6:7], v8, s4 src0_sel:BYTE_0 src1_sel:DWORD
	s_mov_b64 s[4:5], 0
                                        ; implicit-def: $sgpr10
	s_and_saveexec_b64 s[8:9], s[6:7]
	s_xor_b64 s[6:7], exec, s[8:9]
	s_cbranch_execnz .LBB5_2497
; %bb.449:
	s_or_saveexec_b64 s[6:7], s[6:7]
	v_mov_b32_e32 v2, s10
	s_xor_b64 exec, exec, s[6:7]
	s_cbranch_execnz .LBB5_2500
.LBB5_450:
	s_or_b64 exec, exec, s[6:7]
	s_and_saveexec_b64 s[6:7], s[4:5]
	s_cbranch_execz .LBB5_452
.LBB5_451:
	v_and_b32_e32 v2, 7, v8
	v_ffbh_u32_e32 v6, v2
	v_min_u32_e32 v6, 32, v6
	v_lshrrev_b16_e32 v3, 3, v8
	v_subrev_u32_e32 v7, 28, v6
	v_and_b32_e32 v3, 15, v3
	v_lshlrev_b32_e32 v7, v7, v8
	v_sub_u32_e32 v6, 29, v6
	v_and_b32_e32 v7, 7, v7
	v_cmp_eq_u16_e32 vcc, 0, v3
	v_cndmask_b32_e32 v2, v2, v7, vcc
	v_cndmask_b32_e32 v3, v3, v6, vcc
	v_lshlrev_b32_e32 v6, 24, v8
	v_mov_b32_e32 v7, 0x3b800000
	v_lshlrev_b32_e32 v2, 20, v2
	v_and_b32_e32 v6, 0x80000000, v6
	v_lshl_add_u32 v3, v3, 23, v7
	v_or3_b32 v2, v6, v3, v2
.LBB5_452:
	s_or_b64 exec, exec, s[6:7]
	s_movk_i32 s4, 0x7f
	v_cmp_gt_i16_sdwa s[6:7], v4, s4 src0_sel:BYTE_0 src1_sel:DWORD
	s_mov_b64 s[4:5], 0
                                        ; implicit-def: $sgpr10
	s_and_saveexec_b64 s[8:9], s[6:7]
	s_xor_b64 s[6:7], exec, s[8:9]
	s_cbranch_execnz .LBB5_2501
; %bb.453:
	s_or_saveexec_b64 s[6:7], s[6:7]
	v_mov_b32_e32 v3, s10
	s_xor_b64 exec, exec, s[6:7]
	s_cbranch_execnz .LBB5_2504
.LBB5_454:
	s_or_b64 exec, exec, s[6:7]
	s_and_saveexec_b64 s[6:7], s[4:5]
	s_cbranch_execz .LBB5_456
.LBB5_455:
	v_and_b32_e32 v3, 7, v4
	v_ffbh_u32_e32 v7, v3
	v_min_u32_e32 v7, 32, v7
	v_lshrrev_b16_e32 v6, 3, v4
	v_subrev_u32_e32 v10, 28, v7
	v_and_b32_e32 v6, 15, v6
	v_lshlrev_b32_e32 v10, v10, v4
	v_sub_u32_e32 v7, 29, v7
	v_and_b32_e32 v10, 7, v10
	v_cmp_eq_u16_e32 vcc, 0, v6
	v_cndmask_b32_e32 v3, v3, v10, vcc
	v_cndmask_b32_e32 v6, v6, v7, vcc
	v_lshlrev_b32_e32 v7, 24, v4
	v_mov_b32_e32 v10, 0x3b800000
	v_lshlrev_b32_e32 v3, 20, v3
	v_and_b32_e32 v7, 0x80000000, v7
	v_lshl_add_u32 v6, v6, 23, v10
	v_or3_b32 v3, v7, v6, v3
.LBB5_456:
	s_or_b64 exec, exec, s[6:7]
	s_nop 0
	v_mfma_f32_16x16x4f32 a[0:3], v2, v3, a[0:3]
	v_lshrrev_b32_e32 v3, 8, v8
	s_movk_i32 s4, 0x7f
	v_cmp_gt_i16_sdwa s[6:7], v3, s4 src0_sel:BYTE_0 src1_sel:DWORD
	s_mov_b64 s[4:5], 0
                                        ; implicit-def: $sgpr10
	s_and_saveexec_b64 s[8:9], s[6:7]
	s_xor_b64 s[6:7], exec, s[8:9]
	s_cbranch_execnz .LBB5_2505
; %bb.457:
	s_or_saveexec_b64 s[6:7], s[6:7]
	v_mov_b32_e32 v2, s10
	s_xor_b64 exec, exec, s[6:7]
	s_cbranch_execnz .LBB5_2508
.LBB5_458:
	s_or_b64 exec, exec, s[6:7]
	s_and_saveexec_b64 s[6:7], s[4:5]
	s_cbranch_execz .LBB5_460
.LBB5_459:
	v_bfe_u32 v2, v8, 8, 3
	v_ffbh_u32_e32 v7, v2
	v_min_u32_e32 v7, 32, v7
	v_lshrrev_b16_e32 v6, 3, v3
	v_subrev_u32_e32 v10, 28, v7
	v_and_b32_e32 v6, 15, v6
	v_lshlrev_b32_e32 v3, v10, v3
	v_sub_u32_e32 v7, 29, v7
	v_and_b32_e32 v3, 7, v3
	v_cmp_eq_u16_e32 vcc, 0, v6
	v_cndmask_b32_e32 v2, v2, v3, vcc
	v_cndmask_b32_e32 v3, v6, v7, vcc
	v_lshlrev_b32_e32 v6, 16, v8
	v_mov_b32_e32 v7, 0x3b800000
	v_lshlrev_b32_e32 v2, 20, v2
	v_and_b32_e32 v6, 0x80000000, v6
	v_lshl_add_u32 v3, v3, 23, v7
	v_or3_b32 v2, v6, v3, v2
.LBB5_460:
	s_or_b64 exec, exec, s[6:7]
	v_lshrrev_b32_e32 v3, 8, v4
	s_movk_i32 s4, 0x7f
	v_cmp_gt_i16_sdwa s[6:7], v3, s4 src0_sel:BYTE_0 src1_sel:DWORD
	s_mov_b64 s[4:5], 0
                                        ; implicit-def: $sgpr10
	s_and_saveexec_b64 s[8:9], s[6:7]
	s_xor_b64 s[6:7], exec, s[8:9]
	s_cbranch_execnz .LBB5_2509
; %bb.461:
	s_or_saveexec_b64 s[6:7], s[6:7]
	v_mov_b32_e32 v6, s10
	s_xor_b64 exec, exec, s[6:7]
	s_cbranch_execnz .LBB5_2512
.LBB5_462:
	s_or_b64 exec, exec, s[6:7]
	s_and_saveexec_b64 s[6:7], s[4:5]
	s_cbranch_execz .LBB5_464
.LBB5_463:
	v_bfe_u32 v6, v4, 8, 3
	v_ffbh_u32_e32 v10, v6
	v_min_u32_e32 v10, 32, v10
	v_lshrrev_b16_e32 v7, 3, v3
	v_subrev_u32_e32 v11, 28, v10
	v_and_b32_e32 v7, 15, v7
	v_lshlrev_b32_e32 v3, v11, v3
	v_sub_u32_e32 v10, 29, v10
	v_and_b32_e32 v3, 7, v3
	v_cmp_eq_u16_e32 vcc, 0, v7
	v_cndmask_b32_e32 v3, v6, v3, vcc
	v_cndmask_b32_e32 v6, v7, v10, vcc
	v_lshlrev_b32_e32 v7, 16, v4
	v_mov_b32_e32 v10, 0x3b800000
	v_lshlrev_b32_e32 v3, 20, v3
	v_and_b32_e32 v7, 0x80000000, v7
	v_lshl_add_u32 v6, v6, 23, v10
	v_or3_b32 v6, v7, v6, v3
.LBB5_464:
	s_or_b64 exec, exec, s[6:7]
	s_nop 0
	v_mfma_f32_16x16x4f32 a[0:3], v2, v6, a[0:3]
	s_movk_i32 s4, 0xff
	v_and_b32_sdwa v3, v8, s4 dst_sel:DWORD dst_unused:UNUSED_PAD src0_sel:WORD_1 src1_sel:DWORD
	s_movk_i32 s4, 0x7f
	v_cmp_lt_i16_e32 vcc, s4, v3
	s_mov_b64 s[4:5], 0
                                        ; implicit-def: $sgpr10
	s_and_saveexec_b64 s[6:7], vcc
	s_xor_b64 s[6:7], exec, s[6:7]
	s_cbranch_execnz .LBB5_2513
; %bb.465:
	s_or_saveexec_b64 s[6:7], s[6:7]
	v_mov_b32_e32 v2, s10
	s_xor_b64 exec, exec, s[6:7]
	s_cbranch_execnz .LBB5_2516
.LBB5_466:
	s_or_b64 exec, exec, s[6:7]
	s_and_saveexec_b64 s[6:7], s[4:5]
	s_cbranch_execz .LBB5_468
.LBB5_467:
	v_bfe_u32 v2, v8, 16, 3
	v_ffbh_u32_e32 v7, v2
	v_min_u32_e32 v7, 32, v7
	v_lshrrev_b32_e32 v3, 19, v8
	v_subrev_u32_e32 v10, 28, v7
	v_and_b32_e32 v3, 15, v3
	v_lshlrev_b32_sdwa v10, v10, v8 dst_sel:DWORD dst_unused:UNUSED_PAD src0_sel:DWORD src1_sel:WORD_1
	v_bfe_u32 v6, v8, 19, 4
	v_sub_u32_e32 v7, 29, v7
	v_and_b32_e32 v10, 7, v10
	v_cmp_eq_u16_e32 vcc, 0, v3
	v_cndmask_b32_e32 v2, v2, v10, vcc
	v_cndmask_b32_e32 v3, v6, v7, vcc
	v_lshlrev_b32_e32 v6, 8, v8
	v_mov_b32_e32 v7, 0x3b800000
	v_lshlrev_b32_e32 v2, 20, v2
	v_and_b32_e32 v6, 0x80000000, v6
	v_lshl_add_u32 v3, v3, 23, v7
	v_or3_b32 v2, v6, v3, v2
.LBB5_468:
	s_or_b64 exec, exec, s[6:7]
	s_movk_i32 s4, 0xff
	v_and_b32_sdwa v3, v4, s4 dst_sel:DWORD dst_unused:UNUSED_PAD src0_sel:WORD_1 src1_sel:DWORD
	s_movk_i32 s4, 0x7f
	v_cmp_lt_i16_e32 vcc, s4, v3
	s_mov_b64 s[4:5], 0
                                        ; implicit-def: $sgpr10
	s_and_saveexec_b64 s[6:7], vcc
	s_xor_b64 s[6:7], exec, s[6:7]
	s_cbranch_execnz .LBB5_2517
; %bb.469:
	s_or_saveexec_b64 s[6:7], s[6:7]
	v_mov_b32_e32 v6, s10
	s_xor_b64 exec, exec, s[6:7]
	s_cbranch_execnz .LBB5_2520
.LBB5_470:
	s_or_b64 exec, exec, s[6:7]
	s_and_saveexec_b64 s[6:7], s[4:5]
	s_cbranch_execz .LBB5_472
.LBB5_471:
	v_bfe_u32 v3, v4, 16, 3
	v_ffbh_u32_e32 v10, v3
	v_min_u32_e32 v10, 32, v10
	v_lshrrev_b32_e32 v6, 19, v4
	v_subrev_u32_e32 v11, 28, v10
	v_and_b32_e32 v6, 15, v6
	v_lshlrev_b32_sdwa v11, v11, v4 dst_sel:DWORD dst_unused:UNUSED_PAD src0_sel:DWORD src1_sel:WORD_1
	v_bfe_u32 v7, v4, 19, 4
	v_sub_u32_e32 v10, 29, v10
	v_and_b32_e32 v11, 7, v11
	v_cmp_eq_u16_e32 vcc, 0, v6
	v_cndmask_b32_e32 v3, v3, v11, vcc
	v_cndmask_b32_e32 v6, v7, v10, vcc
	v_lshlrev_b32_e32 v7, 8, v4
	v_mov_b32_e32 v10, 0x3b800000
	v_lshlrev_b32_e32 v3, 20, v3
	v_and_b32_e32 v7, 0x80000000, v7
	v_lshl_add_u32 v6, v6, 23, v10
	v_or3_b32 v6, v7, v6, v3
.LBB5_472:
	s_or_b64 exec, exec, s[6:7]
	s_nop 0
	v_mfma_f32_16x16x4f32 a[0:3], v2, v6, a[0:3]
	s_movk_i32 s4, 0x7f
	v_cmp_gt_i16_sdwa s[6:7], v8, s4 src0_sel:BYTE_3 src1_sel:DWORD
	s_mov_b64 s[4:5], 0
                                        ; implicit-def: $sgpr10
	s_and_saveexec_b64 s[8:9], s[6:7]
	s_xor_b64 s[6:7], exec, s[8:9]
	s_cbranch_execnz .LBB5_2521
; %bb.473:
	s_or_saveexec_b64 s[6:7], s[6:7]
	v_mov_b32_e32 v2, s10
	s_xor_b64 exec, exec, s[6:7]
	s_cbranch_execnz .LBB5_2524
.LBB5_474:
	s_or_b64 exec, exec, s[6:7]
	s_and_saveexec_b64 s[6:7], s[4:5]
	s_cbranch_execz .LBB5_476
.LBB5_475:
	v_bfe_u32 v2, v8, 24, 3
	v_ffbh_u32_e32 v10, v2
	v_min_u32_e32 v10, 32, v10
	v_lshrrev_b32_e32 v6, 27, v8
	v_subrev_u32_e32 v11, 28, v10
	v_and_b32_e32 v3, 0x80000000, v8
	v_and_b32_e32 v6, 15, v6
	v_bfe_u32 v7, v8, 27, 4
	v_lshlrev_b32_sdwa v8, v11, v8 dst_sel:DWORD dst_unused:UNUSED_PAD src0_sel:DWORD src1_sel:BYTE_3
	v_sub_u32_e32 v10, 29, v10
	v_and_b32_e32 v8, 7, v8
	v_cmp_eq_u16_e32 vcc, 0, v6
	v_cndmask_b32_e32 v2, v2, v8, vcc
	v_cndmask_b32_e32 v6, v7, v10, vcc
	v_mov_b32_e32 v7, 0x3b800000
	v_lshlrev_b32_e32 v2, 20, v2
	v_lshl_add_u32 v6, v6, 23, v7
	v_or3_b32 v2, v3, v6, v2
.LBB5_476:
	s_or_b64 exec, exec, s[6:7]
	s_movk_i32 s4, 0x7f
	v_cmp_gt_i16_sdwa s[6:7], v4, s4 src0_sel:BYTE_3 src1_sel:DWORD
	s_mov_b64 s[4:5], 0
                                        ; implicit-def: $sgpr10
	s_and_saveexec_b64 s[8:9], s[6:7]
	s_xor_b64 s[6:7], exec, s[8:9]
	s_cbranch_execnz .LBB5_2525
; %bb.477:
	s_or_saveexec_b64 s[6:7], s[6:7]
	v_mov_b32_e32 v3, s10
	s_xor_b64 exec, exec, s[6:7]
	s_cbranch_execnz .LBB5_2528
.LBB5_478:
	s_or_b64 exec, exec, s[6:7]
	s_and_saveexec_b64 s[6:7], s[4:5]
	s_cbranch_execz .LBB5_480
.LBB5_479:
	v_bfe_u32 v3, v4, 24, 3
	v_ffbh_u32_e32 v10, v3
	v_min_u32_e32 v10, 32, v10
	v_lshrrev_b32_e32 v7, 27, v4
	v_subrev_u32_e32 v11, 28, v10
	v_and_b32_e32 v6, 0x80000000, v4
	v_and_b32_e32 v7, 15, v7
	v_bfe_u32 v8, v4, 27, 4
	v_lshlrev_b32_sdwa v4, v11, v4 dst_sel:DWORD dst_unused:UNUSED_PAD src0_sel:DWORD src1_sel:BYTE_3
	v_sub_u32_e32 v10, 29, v10
	v_and_b32_e32 v4, 7, v4
	v_cmp_eq_u16_e32 vcc, 0, v7
	v_cndmask_b32_e32 v3, v3, v4, vcc
	v_cndmask_b32_e32 v4, v8, v10, vcc
	v_mov_b32_e32 v7, 0x3b800000
	v_lshlrev_b32_e32 v3, 20, v3
	v_lshl_add_u32 v4, v4, 23, v7
	v_or3_b32 v3, v6, v4, v3
.LBB5_480:
	s_or_b64 exec, exec, s[6:7]
	s_nop 0
	v_mfma_f32_16x16x4f32 a[0:3], v2, v3, a[0:3]
	s_movk_i32 s4, 0x7f
	v_cmp_gt_i16_sdwa s[6:7], v9, s4 src0_sel:BYTE_0 src1_sel:DWORD
	s_mov_b64 s[4:5], 0
                                        ; implicit-def: $sgpr10
	s_and_saveexec_b64 s[8:9], s[6:7]
	s_xor_b64 s[6:7], exec, s[8:9]
	s_cbranch_execnz .LBB5_2529
; %bb.481:
	s_or_saveexec_b64 s[6:7], s[6:7]
	v_mov_b32_e32 v2, s10
	s_xor_b64 exec, exec, s[6:7]
	s_cbranch_execnz .LBB5_2532
.LBB5_482:
	s_or_b64 exec, exec, s[6:7]
	s_and_saveexec_b64 s[6:7], s[4:5]
	s_cbranch_execz .LBB5_484
.LBB5_483:
	v_mov_b32_e32 v2, 8
	v_and_b32_e32 v3, 7, v9
	v_lshrrev_b32_sdwa v2, v2, v9 dst_sel:BYTE_1 dst_unused:UNUSED_PAD src0_sel:DWORD src1_sel:DWORD
	v_ffbh_u32_e32 v4, v3
	v_or_b32_sdwa v2, v9, v2 dst_sel:DWORD dst_unused:UNUSED_PAD src0_sel:BYTE_0 src1_sel:DWORD
	v_min_u32_e32 v4, 32, v4
	v_lshrrev_b16_e32 v2, 3, v2
	v_subrev_u32_e32 v6, 28, v4
	v_and_b32_e32 v2, 15, v2
	v_lshlrev_b32_e32 v6, v6, v9
	v_sub_u32_e32 v4, 29, v4
	v_and_b32_e32 v6, 7, v6
	v_cmp_eq_u16_e32 vcc, 0, v2
	v_cndmask_b32_e32 v3, v3, v6, vcc
	v_cndmask_b32_e32 v2, v2, v4, vcc
	v_lshlrev_b32_e32 v4, 24, v9
	v_mov_b32_e32 v6, 0x3b800000
	v_lshlrev_b32_e32 v3, 20, v3
	v_and_b32_e32 v4, 0x80000000, v4
	v_lshl_add_u32 v2, v2, 23, v6
	v_or3_b32 v2, v4, v2, v3
.LBB5_484:
	s_or_b64 exec, exec, s[6:7]
	s_movk_i32 s4, 0x7f
	v_cmp_gt_i16_sdwa s[6:7], v5, s4 src0_sel:BYTE_0 src1_sel:DWORD
	s_mov_b64 s[4:5], 0
                                        ; implicit-def: $sgpr10
	s_and_saveexec_b64 s[8:9], s[6:7]
	s_xor_b64 s[6:7], exec, s[8:9]
	s_cbranch_execnz .LBB5_2533
; %bb.485:
	s_or_saveexec_b64 s[6:7], s[6:7]
	v_mov_b32_e32 v3, s10
	s_xor_b64 exec, exec, s[6:7]
	s_cbranch_execnz .LBB5_2536
.LBB5_486:
	s_or_b64 exec, exec, s[6:7]
	s_and_saveexec_b64 s[6:7], s[4:5]
	s_cbranch_execz .LBB5_488
.LBB5_487:
	v_mov_b32_e32 v3, 8
	v_and_b32_e32 v4, 7, v5
	v_lshrrev_b32_sdwa v3, v3, v5 dst_sel:BYTE_1 dst_unused:UNUSED_PAD src0_sel:DWORD src1_sel:DWORD
	v_ffbh_u32_e32 v6, v4
	v_or_b32_sdwa v3, v5, v3 dst_sel:DWORD dst_unused:UNUSED_PAD src0_sel:BYTE_0 src1_sel:DWORD
	v_min_u32_e32 v6, 32, v6
	v_lshrrev_b16_e32 v3, 3, v3
	v_subrev_u32_e32 v7, 28, v6
	v_and_b32_e32 v3, 15, v3
	v_lshlrev_b32_e32 v7, v7, v5
	v_sub_u32_e32 v6, 29, v6
	v_and_b32_e32 v7, 7, v7
	v_cmp_eq_u16_e32 vcc, 0, v3
	v_cndmask_b32_e32 v4, v4, v7, vcc
	v_cndmask_b32_e32 v3, v3, v6, vcc
	v_lshlrev_b32_e32 v6, 24, v5
	v_mov_b32_e32 v7, 0x3b800000
	v_lshlrev_b32_e32 v4, 20, v4
	v_and_b32_e32 v6, 0x80000000, v6
	v_lshl_add_u32 v3, v3, 23, v7
	v_or3_b32 v3, v6, v3, v4
.LBB5_488:
	s_or_b64 exec, exec, s[6:7]
	s_nop 0
	v_mfma_f32_16x16x4f32 a[0:3], v2, v3, a[0:3]
	v_lshrrev_b32_e32 v3, 8, v9
	s_movk_i32 s4, 0x7f
	v_cmp_gt_i16_sdwa s[6:7], v3, s4 src0_sel:BYTE_0 src1_sel:DWORD
	s_mov_b64 s[4:5], 0
                                        ; implicit-def: $sgpr10
	s_and_saveexec_b64 s[8:9], s[6:7]
	s_xor_b64 s[6:7], exec, s[8:9]
	s_cbranch_execnz .LBB5_2537
; %bb.489:
	s_or_saveexec_b64 s[6:7], s[6:7]
	v_mov_b32_e32 v2, s10
	s_xor_b64 exec, exec, s[6:7]
	s_cbranch_execnz .LBB5_2540
.LBB5_490:
	s_or_b64 exec, exec, s[6:7]
	s_and_saveexec_b64 s[6:7], s[4:5]
	s_cbranch_execz .LBB5_492
.LBB5_491:
	v_bfe_u32 v2, v9, 8, 3
	v_ffbh_u32_e32 v6, v2
	v_min_u32_e32 v6, 32, v6
	v_lshrrev_b16_e32 v4, 3, v3
	v_subrev_u32_e32 v7, 28, v6
	v_and_b32_e32 v4, 15, v4
	v_lshlrev_b32_e32 v3, v7, v3
	v_sub_u32_e32 v6, 29, v6
	v_and_b32_e32 v3, 7, v3
	v_cmp_eq_u16_e32 vcc, 0, v4
	v_cndmask_b32_e32 v2, v2, v3, vcc
	v_cndmask_b32_e32 v3, v4, v6, vcc
	v_lshlrev_b32_e32 v4, 16, v9
	v_mov_b32_e32 v6, 0x3b800000
	v_lshlrev_b32_e32 v2, 20, v2
	v_and_b32_e32 v4, 0x80000000, v4
	v_lshl_add_u32 v3, v3, 23, v6
	v_or3_b32 v2, v4, v3, v2
.LBB5_492:
	s_or_b64 exec, exec, s[6:7]
	v_lshrrev_b32_e32 v3, 8, v5
	s_movk_i32 s4, 0x7f
	v_cmp_gt_i16_sdwa s[6:7], v3, s4 src0_sel:BYTE_0 src1_sel:DWORD
	s_mov_b64 s[4:5], 0
                                        ; implicit-def: $sgpr10
	s_and_saveexec_b64 s[8:9], s[6:7]
	s_xor_b64 s[6:7], exec, s[8:9]
	s_cbranch_execnz .LBB5_2541
; %bb.493:
	s_or_saveexec_b64 s[6:7], s[6:7]
	v_mov_b32_e32 v4, s10
	s_xor_b64 exec, exec, s[6:7]
	s_cbranch_execnz .LBB5_2544
.LBB5_494:
	s_or_b64 exec, exec, s[6:7]
	s_and_saveexec_b64 s[6:7], s[4:5]
	s_cbranch_execz .LBB5_496
.LBB5_495:
	v_bfe_u32 v4, v5, 8, 3
	v_ffbh_u32_e32 v7, v4
	v_min_u32_e32 v7, 32, v7
	v_lshrrev_b16_e32 v6, 3, v3
	v_subrev_u32_e32 v8, 28, v7
	v_and_b32_e32 v6, 15, v6
	v_lshlrev_b32_e32 v3, v8, v3
	v_sub_u32_e32 v7, 29, v7
	v_and_b32_e32 v3, 7, v3
	v_cmp_eq_u16_e32 vcc, 0, v6
	v_cndmask_b32_e32 v3, v4, v3, vcc
	v_cndmask_b32_e32 v4, v6, v7, vcc
	v_lshlrev_b32_e32 v6, 16, v5
	v_mov_b32_e32 v7, 0x3b800000
	v_lshlrev_b32_e32 v3, 20, v3
	v_and_b32_e32 v6, 0x80000000, v6
	v_lshl_add_u32 v4, v4, 23, v7
	v_or3_b32 v4, v6, v4, v3
.LBB5_496:
	s_or_b64 exec, exec, s[6:7]
	s_nop 0
	v_mfma_f32_16x16x4f32 a[0:3], v2, v4, a[0:3]
	s_movk_i32 s4, 0xff
	v_and_b32_sdwa v3, v9, s4 dst_sel:DWORD dst_unused:UNUSED_PAD src0_sel:WORD_1 src1_sel:DWORD
	s_movk_i32 s4, 0x7f
	v_cmp_lt_i16_e32 vcc, s4, v3
	s_mov_b64 s[4:5], 0
                                        ; implicit-def: $sgpr10
	s_and_saveexec_b64 s[6:7], vcc
	s_xor_b64 s[6:7], exec, s[6:7]
	s_cbranch_execnz .LBB5_2545
; %bb.497:
	s_or_saveexec_b64 s[6:7], s[6:7]
	v_mov_b32_e32 v2, s10
	s_xor_b64 exec, exec, s[6:7]
	s_cbranch_execnz .LBB5_2548
.LBB5_498:
	s_or_b64 exec, exec, s[6:7]
	s_and_saveexec_b64 s[6:7], s[4:5]
	s_cbranch_execz .LBB5_500
.LBB5_499:
	v_bfe_u32 v2, v9, 16, 3
	v_ffbh_u32_e32 v6, v2
	v_min_u32_e32 v6, 32, v6
	v_lshrrev_b32_e32 v3, 19, v9
	v_subrev_u32_e32 v7, 28, v6
	v_and_b32_e32 v3, 15, v3
	v_lshlrev_b32_sdwa v7, v7, v9 dst_sel:DWORD dst_unused:UNUSED_PAD src0_sel:DWORD src1_sel:WORD_1
	v_bfe_u32 v4, v9, 19, 4
	v_sub_u32_e32 v6, 29, v6
	v_and_b32_e32 v7, 7, v7
	v_cmp_eq_u16_e32 vcc, 0, v3
	v_cndmask_b32_e32 v2, v2, v7, vcc
	v_cndmask_b32_e32 v3, v4, v6, vcc
	v_lshlrev_b32_e32 v4, 8, v9
	v_mov_b32_e32 v6, 0x3b800000
	v_lshlrev_b32_e32 v2, 20, v2
	v_and_b32_e32 v4, 0x80000000, v4
	v_lshl_add_u32 v3, v3, 23, v6
	v_or3_b32 v2, v4, v3, v2
.LBB5_500:
	s_or_b64 exec, exec, s[6:7]
	s_movk_i32 s4, 0xff
	v_and_b32_sdwa v3, v5, s4 dst_sel:DWORD dst_unused:UNUSED_PAD src0_sel:WORD_1 src1_sel:DWORD
	s_movk_i32 s4, 0x7f
	v_cmp_lt_i16_e32 vcc, s4, v3
	s_mov_b64 s[4:5], 0
                                        ; implicit-def: $sgpr10
	s_and_saveexec_b64 s[6:7], vcc
	s_xor_b64 s[6:7], exec, s[6:7]
	s_cbranch_execnz .LBB5_2549
; %bb.501:
	s_or_saveexec_b64 s[6:7], s[6:7]
	v_mov_b32_e32 v4, s10
	s_xor_b64 exec, exec, s[6:7]
	s_cbranch_execnz .LBB5_2552
.LBB5_502:
	s_or_b64 exec, exec, s[6:7]
	s_and_saveexec_b64 s[6:7], s[4:5]
	s_cbranch_execz .LBB5_504
.LBB5_503:
	v_bfe_u32 v3, v5, 16, 3
	v_ffbh_u32_e32 v7, v3
	v_min_u32_e32 v7, 32, v7
	v_lshrrev_b32_e32 v4, 19, v5
	v_subrev_u32_e32 v8, 28, v7
	v_and_b32_e32 v4, 15, v4
	v_lshlrev_b32_sdwa v8, v8, v5 dst_sel:DWORD dst_unused:UNUSED_PAD src0_sel:DWORD src1_sel:WORD_1
	v_bfe_u32 v6, v5, 19, 4
	v_sub_u32_e32 v7, 29, v7
	v_and_b32_e32 v8, 7, v8
	v_cmp_eq_u16_e32 vcc, 0, v4
	v_cndmask_b32_e32 v3, v3, v8, vcc
	v_cndmask_b32_e32 v4, v6, v7, vcc
	v_lshlrev_b32_e32 v6, 8, v5
	v_mov_b32_e32 v7, 0x3b800000
	v_lshlrev_b32_e32 v3, 20, v3
	v_and_b32_e32 v6, 0x80000000, v6
	v_lshl_add_u32 v4, v4, 23, v7
	v_or3_b32 v4, v6, v4, v3
.LBB5_504:
	s_or_b64 exec, exec, s[6:7]
	s_nop 0
	v_mfma_f32_16x16x4f32 a[0:3], v2, v4, a[0:3]
	s_movk_i32 s4, 0x7f
	v_cmp_gt_i16_sdwa s[6:7], v9, s4 src0_sel:BYTE_3 src1_sel:DWORD
	s_mov_b64 s[4:5], 0
                                        ; implicit-def: $sgpr10
	s_and_saveexec_b64 s[8:9], s[6:7]
	s_xor_b64 s[6:7], exec, s[8:9]
	s_cbranch_execnz .LBB5_2553
; %bb.505:
	s_or_saveexec_b64 s[6:7], s[6:7]
	v_mov_b32_e32 v2, s10
	s_xor_b64 exec, exec, s[6:7]
	s_cbranch_execnz .LBB5_2556
.LBB5_506:
	s_or_b64 exec, exec, s[6:7]
	s_and_saveexec_b64 s[6:7], s[4:5]
	s_cbranch_execz .LBB5_508
.LBB5_507:
	v_bfe_u32 v2, v9, 24, 3
	v_ffbh_u32_e32 v7, v2
	v_min_u32_e32 v7, 32, v7
	v_lshrrev_b32_e32 v4, 27, v9
	v_subrev_u32_e32 v8, 28, v7
	v_and_b32_e32 v4, 15, v4
	v_lshlrev_b32_sdwa v8, v8, v9 dst_sel:DWORD dst_unused:UNUSED_PAD src0_sel:DWORD src1_sel:BYTE_3
	v_bfe_u32 v6, v9, 27, 4
	v_sub_u32_e32 v7, 29, v7
	v_and_b32_e32 v8, 7, v8
	v_cmp_eq_u16_e32 vcc, 0, v4
	v_cndmask_b32_e32 v2, v2, v8, vcc
	v_cndmask_b32_e32 v4, v6, v7, vcc
	v_mov_b32_e32 v6, 0x3b800000
	v_and_b32_e32 v3, 0x80000000, v9
	v_lshlrev_b32_e32 v2, 20, v2
	v_lshl_add_u32 v4, v4, 23, v6
	v_or3_b32 v2, v3, v4, v2
.LBB5_508:
	s_or_b64 exec, exec, s[6:7]
	s_movk_i32 s4, 0x7f
	v_cmp_gt_i16_sdwa s[6:7], v5, s4 src0_sel:BYTE_3 src1_sel:DWORD
	s_mov_b64 s[4:5], 0
                                        ; implicit-def: $sgpr10
	s_and_saveexec_b64 s[8:9], s[6:7]
	s_xor_b64 s[6:7], exec, s[8:9]
	s_cbranch_execnz .LBB5_2557
; %bb.509:
	s_or_saveexec_b64 s[6:7], s[6:7]
	v_mov_b32_e32 v3, s10
	s_xor_b64 exec, exec, s[6:7]
	s_cbranch_execnz .LBB5_2560
.LBB5_510:
	s_or_b64 exec, exec, s[6:7]
	s_and_saveexec_b64 s[6:7], s[4:5]
	s_cbranch_execz .LBB5_512
.LBB5_511:
	v_bfe_u32 v3, v5, 24, 3
	v_ffbh_u32_e32 v8, v3
	v_min_u32_e32 v8, 32, v8
	v_lshrrev_b32_e32 v6, 27, v5
	v_subrev_u32_e32 v9, 28, v8
	v_and_b32_e32 v4, 0x80000000, v5
	v_and_b32_e32 v6, 15, v6
	v_bfe_u32 v7, v5, 27, 4
	v_lshlrev_b32_sdwa v5, v9, v5 dst_sel:DWORD dst_unused:UNUSED_PAD src0_sel:DWORD src1_sel:BYTE_3
	v_sub_u32_e32 v8, 29, v8
	v_and_b32_e32 v5, 7, v5
	v_cmp_eq_u16_e32 vcc, 0, v6
	v_cndmask_b32_e32 v3, v3, v5, vcc
	v_cndmask_b32_e32 v5, v7, v8, vcc
	v_mov_b32_e32 v6, 0x3b800000
	v_lshlrev_b32_e32 v3, 20, v3
	v_lshl_add_u32 v5, v5, 23, v6
	v_or3_b32 v3, v4, v5, v3
.LBB5_512:
	s_or_b64 exec, exec, s[6:7]
	s_nop 0
	v_mfma_f32_16x16x4f32 a[0:3], v2, v3, a[0:3]
	s_movk_i32 s4, 0x7f
                                        ; implicit-def: $sgpr10
	s_nop 7
	s_nop 1
	flat_store_dwordx4 v[18:19], a[0:3] offset:400
	flat_load_dwordx4 v[20:23], v[0:1] offset:16
	s_nop 0
	flat_load_dwordx2 v[18:19], v[0:1] offset:32
	s_waitcnt vmcnt(0) lgkmcnt(0)
	flat_load_dwordx4 v[14:17], v[20:21] offset:32
	flat_load_dwordx4 v[6:9], v[20:21] offset:48
	;; [unrolled: 1-line block ×4, first 2 shown]
	s_waitcnt vmcnt(0) lgkmcnt(0)
	v_cmp_gt_i16_sdwa s[6:7], v14, s4 src0_sel:BYTE_0 src1_sel:DWORD
	s_mov_b64 s[4:5], 0
	s_and_saveexec_b64 s[8:9], s[6:7]
	s_xor_b64 s[6:7], exec, s[8:9]
	s_cbranch_execnz .LBB5_2561
; %bb.513:
	s_or_saveexec_b64 s[6:7], s[6:7]
	v_mov_b32_e32 v20, s10
	s_xor_b64 exec, exec, s[6:7]
	s_cbranch_execnz .LBB5_2564
.LBB5_514:
	s_or_b64 exec, exec, s[6:7]
	s_and_saveexec_b64 s[6:7], s[4:5]
	s_cbranch_execz .LBB5_516
.LBB5_515:
	v_and_b32_e32 v20, 7, v14
	v_ffbh_u32_e32 v22, v20
	v_min_u32_e32 v22, 32, v22
	v_lshrrev_b16_e32 v21, 3, v14
	v_subrev_u32_e32 v23, 28, v22
	v_and_b32_e32 v21, 15, v21
	v_lshlrev_b32_e32 v23, v23, v14
	v_sub_u32_e32 v22, 29, v22
	v_and_b32_e32 v23, 7, v23
	v_cmp_eq_u16_e32 vcc, 0, v21
	v_cndmask_b32_e32 v20, v20, v23, vcc
	v_cndmask_b32_e32 v21, v21, v22, vcc
	v_lshlrev_b32_e32 v22, 24, v14
	v_mov_b32_e32 v23, 0x3b800000
	v_lshlrev_b32_e32 v20, 20, v20
	v_and_b32_e32 v22, 0x80000000, v22
	v_lshl_add_u32 v21, v21, 23, v23
	v_or3_b32 v20, v22, v21, v20
.LBB5_516:
	s_or_b64 exec, exec, s[6:7]
	s_movk_i32 s4, 0x7f
	v_cmp_gt_i16_sdwa s[6:7], v10, s4 src0_sel:BYTE_0 src1_sel:DWORD
	s_mov_b64 s[4:5], 0
                                        ; implicit-def: $sgpr10
	s_and_saveexec_b64 s[8:9], s[6:7]
	s_xor_b64 s[6:7], exec, s[8:9]
	s_cbranch_execnz .LBB5_2565
; %bb.517:
	s_or_saveexec_b64 s[6:7], s[6:7]
	v_mov_b32_e32 v21, s10
	s_xor_b64 exec, exec, s[6:7]
	s_cbranch_execnz .LBB5_2568
.LBB5_518:
	s_or_b64 exec, exec, s[6:7]
	s_and_saveexec_b64 s[6:7], s[4:5]
	s_cbranch_execz .LBB5_520
.LBB5_519:
	v_and_b32_e32 v21, 7, v10
	v_ffbh_u32_e32 v23, v21
	v_min_u32_e32 v23, 32, v23
	v_lshrrev_b16_e32 v22, 3, v10
	v_subrev_u32_e32 v24, 28, v23
	v_and_b32_e32 v22, 15, v22
	v_lshlrev_b32_e32 v24, v24, v10
	v_sub_u32_e32 v23, 29, v23
	v_and_b32_e32 v24, 7, v24
	v_cmp_eq_u16_e32 vcc, 0, v22
	v_cndmask_b32_e32 v21, v21, v24, vcc
	v_cndmask_b32_e32 v22, v22, v23, vcc
	v_lshlrev_b32_e32 v23, 24, v10
	v_mov_b32_e32 v24, 0x3b800000
	v_lshlrev_b32_e32 v21, 20, v21
	v_and_b32_e32 v23, 0x80000000, v23
	v_lshl_add_u32 v22, v22, 23, v24
	v_or3_b32 v21, v23, v22, v21
.LBB5_520:
	s_or_b64 exec, exec, s[6:7]
	flat_load_dwordx4 a[0:3], v[18:19] offset:416
	s_movk_i32 s4, 0x7f
                                        ; implicit-def: $sgpr10
	s_waitcnt vmcnt(0) lgkmcnt(0)
	v_mfma_f32_16x16x4f32 a[0:3], v20, v21, a[0:3]
	v_lshrrev_b32_e32 v21, 8, v14
	v_cmp_gt_i16_sdwa s[6:7], v21, s4 src0_sel:BYTE_0 src1_sel:DWORD
	s_mov_b64 s[4:5], 0
	s_and_saveexec_b64 s[8:9], s[6:7]
	s_xor_b64 s[6:7], exec, s[8:9]
	s_cbranch_execnz .LBB5_2569
; %bb.521:
	s_or_saveexec_b64 s[6:7], s[6:7]
	v_mov_b32_e32 v20, s10
	s_xor_b64 exec, exec, s[6:7]
	s_cbranch_execnz .LBB5_2572
.LBB5_522:
	s_or_b64 exec, exec, s[6:7]
	s_and_saveexec_b64 s[6:7], s[4:5]
	s_cbranch_execz .LBB5_524
.LBB5_523:
	v_bfe_u32 v20, v14, 8, 3
	v_ffbh_u32_e32 v23, v20
	v_min_u32_e32 v23, 32, v23
	v_lshrrev_b16_e32 v22, 3, v21
	v_subrev_u32_e32 v24, 28, v23
	v_and_b32_e32 v22, 15, v22
	v_lshlrev_b32_e32 v21, v24, v21
	v_sub_u32_e32 v23, 29, v23
	v_and_b32_e32 v21, 7, v21
	v_cmp_eq_u16_e32 vcc, 0, v22
	v_cndmask_b32_e32 v20, v20, v21, vcc
	v_cndmask_b32_e32 v21, v22, v23, vcc
	v_lshlrev_b32_e32 v22, 16, v14
	v_mov_b32_e32 v23, 0x3b800000
	v_lshlrev_b32_e32 v20, 20, v20
	v_and_b32_e32 v22, 0x80000000, v22
	v_lshl_add_u32 v21, v21, 23, v23
	v_or3_b32 v20, v22, v21, v20
.LBB5_524:
	s_or_b64 exec, exec, s[6:7]
	v_lshrrev_b32_e32 v21, 8, v10
	s_movk_i32 s4, 0x7f
	v_cmp_gt_i16_sdwa s[6:7], v21, s4 src0_sel:BYTE_0 src1_sel:DWORD
	s_mov_b64 s[4:5], 0
                                        ; implicit-def: $sgpr10
	s_and_saveexec_b64 s[8:9], s[6:7]
	s_xor_b64 s[6:7], exec, s[8:9]
	s_cbranch_execnz .LBB5_2573
; %bb.525:
	s_or_saveexec_b64 s[6:7], s[6:7]
	v_mov_b32_e32 v22, s10
	s_xor_b64 exec, exec, s[6:7]
	s_cbranch_execnz .LBB5_2576
.LBB5_526:
	s_or_b64 exec, exec, s[6:7]
	s_and_saveexec_b64 s[6:7], s[4:5]
	s_cbranch_execz .LBB5_528
.LBB5_527:
	v_bfe_u32 v22, v10, 8, 3
	v_ffbh_u32_e32 v24, v22
	v_min_u32_e32 v24, 32, v24
	v_lshrrev_b16_e32 v23, 3, v21
	v_subrev_u32_e32 v25, 28, v24
	v_and_b32_e32 v23, 15, v23
	v_lshlrev_b32_e32 v21, v25, v21
	v_sub_u32_e32 v24, 29, v24
	v_and_b32_e32 v21, 7, v21
	v_cmp_eq_u16_e32 vcc, 0, v23
	v_cndmask_b32_e32 v21, v22, v21, vcc
	v_cndmask_b32_e32 v22, v23, v24, vcc
	v_lshlrev_b32_e32 v23, 16, v10
	v_mov_b32_e32 v24, 0x3b800000
	v_lshlrev_b32_e32 v21, 20, v21
	v_and_b32_e32 v23, 0x80000000, v23
	v_lshl_add_u32 v22, v22, 23, v24
	v_or3_b32 v22, v23, v22, v21
.LBB5_528:
	s_or_b64 exec, exec, s[6:7]
	s_nop 0
	v_mfma_f32_16x16x4f32 a[0:3], v20, v22, a[0:3]
	s_movk_i32 s4, 0xff
	v_and_b32_sdwa v21, v14, s4 dst_sel:DWORD dst_unused:UNUSED_PAD src0_sel:WORD_1 src1_sel:DWORD
	s_movk_i32 s4, 0x7f
	v_cmp_lt_i16_e32 vcc, s4, v21
	s_mov_b64 s[4:5], 0
                                        ; implicit-def: $sgpr10
	s_and_saveexec_b64 s[6:7], vcc
	s_xor_b64 s[6:7], exec, s[6:7]
	s_cbranch_execnz .LBB5_2577
; %bb.529:
	s_or_saveexec_b64 s[6:7], s[6:7]
	v_mov_b32_e32 v20, s10
	s_xor_b64 exec, exec, s[6:7]
	s_cbranch_execnz .LBB5_2580
.LBB5_530:
	s_or_b64 exec, exec, s[6:7]
	s_and_saveexec_b64 s[6:7], s[4:5]
	s_cbranch_execz .LBB5_532
.LBB5_531:
	v_bfe_u32 v20, v14, 16, 3
	v_ffbh_u32_e32 v23, v20
	v_min_u32_e32 v23, 32, v23
	v_lshrrev_b32_e32 v21, 19, v14
	v_subrev_u32_e32 v24, 28, v23
	v_and_b32_e32 v21, 15, v21
	v_lshlrev_b32_sdwa v24, v24, v14 dst_sel:DWORD dst_unused:UNUSED_PAD src0_sel:DWORD src1_sel:WORD_1
	v_bfe_u32 v22, v14, 19, 4
	v_sub_u32_e32 v23, 29, v23
	v_and_b32_e32 v24, 7, v24
	v_cmp_eq_u16_e32 vcc, 0, v21
	v_cndmask_b32_e32 v20, v20, v24, vcc
	v_cndmask_b32_e32 v21, v22, v23, vcc
	v_lshlrev_b32_e32 v22, 8, v14
	v_mov_b32_e32 v23, 0x3b800000
	v_lshlrev_b32_e32 v20, 20, v20
	v_and_b32_e32 v22, 0x80000000, v22
	v_lshl_add_u32 v21, v21, 23, v23
	v_or3_b32 v20, v22, v21, v20
.LBB5_532:
	s_or_b64 exec, exec, s[6:7]
	s_movk_i32 s4, 0xff
	v_and_b32_sdwa v21, v10, s4 dst_sel:DWORD dst_unused:UNUSED_PAD src0_sel:WORD_1 src1_sel:DWORD
	s_movk_i32 s4, 0x7f
	v_cmp_lt_i16_e32 vcc, s4, v21
	s_mov_b64 s[4:5], 0
                                        ; implicit-def: $sgpr10
	s_and_saveexec_b64 s[6:7], vcc
	s_xor_b64 s[6:7], exec, s[6:7]
	s_cbranch_execnz .LBB5_2581
; %bb.533:
	s_or_saveexec_b64 s[6:7], s[6:7]
	v_mov_b32_e32 v22, s10
	s_xor_b64 exec, exec, s[6:7]
	s_cbranch_execnz .LBB5_2584
.LBB5_534:
	s_or_b64 exec, exec, s[6:7]
	s_and_saveexec_b64 s[6:7], s[4:5]
	s_cbranch_execz .LBB5_536
.LBB5_535:
	v_bfe_u32 v21, v10, 16, 3
	v_ffbh_u32_e32 v24, v21
	v_min_u32_e32 v24, 32, v24
	v_lshrrev_b32_e32 v22, 19, v10
	v_subrev_u32_e32 v25, 28, v24
	v_and_b32_e32 v22, 15, v22
	v_lshlrev_b32_sdwa v25, v25, v10 dst_sel:DWORD dst_unused:UNUSED_PAD src0_sel:DWORD src1_sel:WORD_1
	v_bfe_u32 v23, v10, 19, 4
	v_sub_u32_e32 v24, 29, v24
	v_and_b32_e32 v25, 7, v25
	v_cmp_eq_u16_e32 vcc, 0, v22
	v_cndmask_b32_e32 v21, v21, v25, vcc
	v_cndmask_b32_e32 v22, v23, v24, vcc
	v_lshlrev_b32_e32 v23, 8, v10
	v_mov_b32_e32 v24, 0x3b800000
	v_lshlrev_b32_e32 v21, 20, v21
	v_and_b32_e32 v23, 0x80000000, v23
	v_lshl_add_u32 v22, v22, 23, v24
	v_or3_b32 v22, v23, v22, v21
.LBB5_536:
	s_or_b64 exec, exec, s[6:7]
	s_nop 0
	v_mfma_f32_16x16x4f32 a[0:3], v20, v22, a[0:3]
	s_movk_i32 s4, 0x7f
	v_cmp_gt_i16_sdwa s[6:7], v14, s4 src0_sel:BYTE_3 src1_sel:DWORD
	s_mov_b64 s[4:5], 0
                                        ; implicit-def: $sgpr10
	s_and_saveexec_b64 s[8:9], s[6:7]
	s_xor_b64 s[6:7], exec, s[8:9]
	s_cbranch_execnz .LBB5_2585
; %bb.537:
	s_or_saveexec_b64 s[6:7], s[6:7]
	v_mov_b32_e32 v20, s10
	s_xor_b64 exec, exec, s[6:7]
	s_cbranch_execnz .LBB5_2588
.LBB5_538:
	s_or_b64 exec, exec, s[6:7]
	s_and_saveexec_b64 s[6:7], s[4:5]
	s_cbranch_execz .LBB5_540
.LBB5_539:
	v_bfe_u32 v20, v14, 24, 3
	v_ffbh_u32_e32 v24, v20
	v_min_u32_e32 v24, 32, v24
	v_lshrrev_b32_e32 v22, 27, v14
	v_subrev_u32_e32 v25, 28, v24
	v_and_b32_e32 v21, 0x80000000, v14
	v_and_b32_e32 v22, 15, v22
	v_bfe_u32 v23, v14, 27, 4
	v_lshlrev_b32_sdwa v14, v25, v14 dst_sel:DWORD dst_unused:UNUSED_PAD src0_sel:DWORD src1_sel:BYTE_3
	v_sub_u32_e32 v24, 29, v24
	v_and_b32_e32 v14, 7, v14
	v_cmp_eq_u16_e32 vcc, 0, v22
	v_cndmask_b32_e32 v14, v20, v14, vcc
	v_cndmask_b32_e32 v20, v23, v24, vcc
	v_mov_b32_e32 v22, 0x3b800000
	v_lshlrev_b32_e32 v14, 20, v14
	v_lshl_add_u32 v20, v20, 23, v22
	v_or3_b32 v20, v21, v20, v14
.LBB5_540:
	s_or_b64 exec, exec, s[6:7]
	s_movk_i32 s4, 0x7f
	v_cmp_gt_i16_sdwa s[6:7], v10, s4 src0_sel:BYTE_3 src1_sel:DWORD
	s_mov_b64 s[4:5], 0
                                        ; implicit-def: $sgpr10
	s_and_saveexec_b64 s[8:9], s[6:7]
	s_xor_b64 s[6:7], exec, s[8:9]
	s_cbranch_execnz .LBB5_2589
; %bb.541:
	s_or_saveexec_b64 s[6:7], s[6:7]
	v_mov_b32_e32 v14, s10
	s_xor_b64 exec, exec, s[6:7]
	s_cbranch_execnz .LBB5_2592
.LBB5_542:
	s_or_b64 exec, exec, s[6:7]
	s_and_saveexec_b64 s[6:7], s[4:5]
	s_cbranch_execz .LBB5_544
.LBB5_543:
	v_bfe_u32 v14, v10, 24, 3
	v_ffbh_u32_e32 v24, v14
	v_min_u32_e32 v24, 32, v24
	v_lshrrev_b32_e32 v22, 27, v10
	v_subrev_u32_e32 v25, 28, v24
	v_and_b32_e32 v21, 0x80000000, v10
	v_and_b32_e32 v22, 15, v22
	v_bfe_u32 v23, v10, 27, 4
	v_lshlrev_b32_sdwa v10, v25, v10 dst_sel:DWORD dst_unused:UNUSED_PAD src0_sel:DWORD src1_sel:BYTE_3
	v_sub_u32_e32 v24, 29, v24
	v_and_b32_e32 v10, 7, v10
	v_cmp_eq_u16_e32 vcc, 0, v22
	v_cndmask_b32_e32 v10, v14, v10, vcc
	v_cndmask_b32_e32 v14, v23, v24, vcc
	v_mov_b32_e32 v22, 0x3b800000
	v_lshlrev_b32_e32 v10, 20, v10
	v_lshl_add_u32 v14, v14, 23, v22
	v_or3_b32 v14, v21, v14, v10
.LBB5_544:
	s_or_b64 exec, exec, s[6:7]
	s_nop 0
	v_mfma_f32_16x16x4f32 a[0:3], v20, v14, a[0:3]
	s_movk_i32 s4, 0x7f
	v_cmp_gt_i16_sdwa s[6:7], v15, s4 src0_sel:BYTE_0 src1_sel:DWORD
	s_mov_b64 s[4:5], 0
                                        ; implicit-def: $sgpr10
	s_and_saveexec_b64 s[8:9], s[6:7]
	s_xor_b64 s[6:7], exec, s[8:9]
	s_cbranch_execnz .LBB5_2593
; %bb.545:
	s_or_saveexec_b64 s[6:7], s[6:7]
	v_mov_b32_e32 v10, s10
	s_xor_b64 exec, exec, s[6:7]
	s_cbranch_execnz .LBB5_2596
.LBB5_546:
	s_or_b64 exec, exec, s[6:7]
	s_and_saveexec_b64 s[6:7], s[4:5]
	s_cbranch_execz .LBB5_548
.LBB5_547:
	v_and_b32_e32 v10, 7, v15
	v_ffbh_u32_e32 v20, v10
	v_min_u32_e32 v20, 32, v20
	v_lshrrev_b16_e32 v14, 3, v15
	v_subrev_u32_e32 v21, 28, v20
	v_and_b32_e32 v14, 15, v14
	v_lshlrev_b32_e32 v21, v21, v15
	v_sub_u32_e32 v20, 29, v20
	v_and_b32_e32 v21, 7, v21
	v_cmp_eq_u16_e32 vcc, 0, v14
	v_cndmask_b32_e32 v10, v10, v21, vcc
	v_cndmask_b32_e32 v14, v14, v20, vcc
	v_lshlrev_b32_e32 v20, 24, v15
	v_mov_b32_e32 v21, 0x3b800000
	v_lshlrev_b32_e32 v10, 20, v10
	v_and_b32_e32 v20, 0x80000000, v20
	v_lshl_add_u32 v14, v14, 23, v21
	v_or3_b32 v10, v20, v14, v10
.LBB5_548:
	s_or_b64 exec, exec, s[6:7]
	s_movk_i32 s4, 0x7f
	v_cmp_gt_i16_sdwa s[6:7], v11, s4 src0_sel:BYTE_0 src1_sel:DWORD
	s_mov_b64 s[4:5], 0
                                        ; implicit-def: $sgpr10
	s_and_saveexec_b64 s[8:9], s[6:7]
	s_xor_b64 s[6:7], exec, s[8:9]
	s_cbranch_execnz .LBB5_2597
; %bb.549:
	s_or_saveexec_b64 s[6:7], s[6:7]
	v_mov_b32_e32 v14, s10
	s_xor_b64 exec, exec, s[6:7]
	s_cbranch_execnz .LBB5_2600
.LBB5_550:
	s_or_b64 exec, exec, s[6:7]
	s_and_saveexec_b64 s[6:7], s[4:5]
	s_cbranch_execz .LBB5_552
.LBB5_551:
	v_and_b32_e32 v14, 7, v11
	v_ffbh_u32_e32 v21, v14
	v_min_u32_e32 v21, 32, v21
	v_lshrrev_b16_e32 v20, 3, v11
	v_subrev_u32_e32 v22, 28, v21
	v_and_b32_e32 v20, 15, v20
	v_lshlrev_b32_e32 v22, v22, v11
	v_sub_u32_e32 v21, 29, v21
	v_and_b32_e32 v22, 7, v22
	v_cmp_eq_u16_e32 vcc, 0, v20
	v_cndmask_b32_e32 v14, v14, v22, vcc
	v_cndmask_b32_e32 v20, v20, v21, vcc
	v_lshlrev_b32_e32 v21, 24, v11
	v_mov_b32_e32 v22, 0x3b800000
	v_lshlrev_b32_e32 v14, 20, v14
	v_and_b32_e32 v21, 0x80000000, v21
	v_lshl_add_u32 v20, v20, 23, v22
	v_or3_b32 v14, v21, v20, v14
.LBB5_552:
	s_or_b64 exec, exec, s[6:7]
	s_nop 0
	v_mfma_f32_16x16x4f32 a[0:3], v10, v14, a[0:3]
	v_lshrrev_b32_e32 v14, 8, v15
	s_movk_i32 s4, 0x7f
	v_cmp_gt_i16_sdwa s[6:7], v14, s4 src0_sel:BYTE_0 src1_sel:DWORD
	s_mov_b64 s[4:5], 0
                                        ; implicit-def: $sgpr10
	s_and_saveexec_b64 s[8:9], s[6:7]
	s_xor_b64 s[6:7], exec, s[8:9]
	s_cbranch_execnz .LBB5_2601
; %bb.553:
	s_or_saveexec_b64 s[6:7], s[6:7]
	v_mov_b32_e32 v10, s10
	s_xor_b64 exec, exec, s[6:7]
	s_cbranch_execnz .LBB5_2604
.LBB5_554:
	s_or_b64 exec, exec, s[6:7]
	s_and_saveexec_b64 s[6:7], s[4:5]
	s_cbranch_execz .LBB5_556
.LBB5_555:
	v_bfe_u32 v10, v15, 8, 3
	v_ffbh_u32_e32 v21, v10
	v_min_u32_e32 v21, 32, v21
	v_lshrrev_b16_e32 v20, 3, v14
	v_subrev_u32_e32 v22, 28, v21
	v_and_b32_e32 v20, 15, v20
	v_lshlrev_b32_e32 v14, v22, v14
	v_sub_u32_e32 v21, 29, v21
	v_and_b32_e32 v14, 7, v14
	v_cmp_eq_u16_e32 vcc, 0, v20
	v_cndmask_b32_e32 v10, v10, v14, vcc
	v_cndmask_b32_e32 v14, v20, v21, vcc
	v_lshlrev_b32_e32 v20, 16, v15
	v_mov_b32_e32 v21, 0x3b800000
	v_lshlrev_b32_e32 v10, 20, v10
	v_and_b32_e32 v20, 0x80000000, v20
	v_lshl_add_u32 v14, v14, 23, v21
	v_or3_b32 v10, v20, v14, v10
.LBB5_556:
	s_or_b64 exec, exec, s[6:7]
	v_lshrrev_b32_e32 v14, 8, v11
	s_movk_i32 s4, 0x7f
	v_cmp_gt_i16_sdwa s[6:7], v14, s4 src0_sel:BYTE_0 src1_sel:DWORD
	s_mov_b64 s[4:5], 0
                                        ; implicit-def: $sgpr10
	s_and_saveexec_b64 s[8:9], s[6:7]
	s_xor_b64 s[6:7], exec, s[8:9]
	s_cbranch_execnz .LBB5_2605
; %bb.557:
	s_or_saveexec_b64 s[6:7], s[6:7]
	v_mov_b32_e32 v20, s10
	s_xor_b64 exec, exec, s[6:7]
	s_cbranch_execnz .LBB5_2608
.LBB5_558:
	s_or_b64 exec, exec, s[6:7]
	s_and_saveexec_b64 s[6:7], s[4:5]
	s_cbranch_execz .LBB5_560
.LBB5_559:
	v_bfe_u32 v20, v11, 8, 3
	v_ffbh_u32_e32 v22, v20
	v_min_u32_e32 v22, 32, v22
	v_lshrrev_b16_e32 v21, 3, v14
	v_subrev_u32_e32 v23, 28, v22
	v_and_b32_e32 v21, 15, v21
	v_lshlrev_b32_e32 v14, v23, v14
	v_sub_u32_e32 v22, 29, v22
	v_and_b32_e32 v14, 7, v14
	v_cmp_eq_u16_e32 vcc, 0, v21
	v_cndmask_b32_e32 v14, v20, v14, vcc
	v_cndmask_b32_e32 v20, v21, v22, vcc
	v_lshlrev_b32_e32 v21, 16, v11
	v_mov_b32_e32 v22, 0x3b800000
	v_lshlrev_b32_e32 v14, 20, v14
	v_and_b32_e32 v21, 0x80000000, v21
	v_lshl_add_u32 v20, v20, 23, v22
	v_or3_b32 v20, v21, v20, v14
.LBB5_560:
	s_or_b64 exec, exec, s[6:7]
	s_nop 0
	v_mfma_f32_16x16x4f32 a[0:3], v10, v20, a[0:3]
	s_movk_i32 s4, 0xff
	v_and_b32_sdwa v14, v15, s4 dst_sel:DWORD dst_unused:UNUSED_PAD src0_sel:WORD_1 src1_sel:DWORD
	s_movk_i32 s4, 0x7f
	v_cmp_lt_i16_e32 vcc, s4, v14
	s_mov_b64 s[4:5], 0
                                        ; implicit-def: $sgpr10
	s_and_saveexec_b64 s[6:7], vcc
	s_xor_b64 s[6:7], exec, s[6:7]
	s_cbranch_execnz .LBB5_2609
; %bb.561:
	s_or_saveexec_b64 s[6:7], s[6:7]
	v_mov_b32_e32 v10, s10
	s_xor_b64 exec, exec, s[6:7]
	s_cbranch_execnz .LBB5_2612
.LBB5_562:
	s_or_b64 exec, exec, s[6:7]
	s_and_saveexec_b64 s[6:7], s[4:5]
	s_cbranch_execz .LBB5_564
.LBB5_563:
	v_bfe_u32 v10, v15, 16, 3
	v_ffbh_u32_e32 v21, v10
	v_min_u32_e32 v21, 32, v21
	v_lshrrev_b32_e32 v14, 19, v15
	v_subrev_u32_e32 v22, 28, v21
	v_and_b32_e32 v14, 15, v14
	v_lshlrev_b32_sdwa v22, v22, v15 dst_sel:DWORD dst_unused:UNUSED_PAD src0_sel:DWORD src1_sel:WORD_1
	v_bfe_u32 v20, v15, 19, 4
	v_sub_u32_e32 v21, 29, v21
	v_and_b32_e32 v22, 7, v22
	v_cmp_eq_u16_e32 vcc, 0, v14
	v_cndmask_b32_e32 v10, v10, v22, vcc
	v_cndmask_b32_e32 v14, v20, v21, vcc
	v_lshlrev_b32_e32 v20, 8, v15
	v_mov_b32_e32 v21, 0x3b800000
	v_lshlrev_b32_e32 v10, 20, v10
	v_and_b32_e32 v20, 0x80000000, v20
	v_lshl_add_u32 v14, v14, 23, v21
	v_or3_b32 v10, v20, v14, v10
.LBB5_564:
	s_or_b64 exec, exec, s[6:7]
	s_movk_i32 s4, 0xff
	v_and_b32_sdwa v14, v11, s4 dst_sel:DWORD dst_unused:UNUSED_PAD src0_sel:WORD_1 src1_sel:DWORD
	s_movk_i32 s4, 0x7f
	v_cmp_lt_i16_e32 vcc, s4, v14
	s_mov_b64 s[4:5], 0
                                        ; implicit-def: $sgpr10
	s_and_saveexec_b64 s[6:7], vcc
	s_xor_b64 s[6:7], exec, s[6:7]
	s_cbranch_execnz .LBB5_2613
; %bb.565:
	s_or_saveexec_b64 s[6:7], s[6:7]
	v_mov_b32_e32 v20, s10
	s_xor_b64 exec, exec, s[6:7]
	s_cbranch_execnz .LBB5_2616
.LBB5_566:
	s_or_b64 exec, exec, s[6:7]
	s_and_saveexec_b64 s[6:7], s[4:5]
	s_cbranch_execz .LBB5_568
.LBB5_567:
	v_bfe_u32 v14, v11, 16, 3
	v_ffbh_u32_e32 v22, v14
	v_min_u32_e32 v22, 32, v22
	v_lshrrev_b32_e32 v20, 19, v11
	v_subrev_u32_e32 v23, 28, v22
	v_and_b32_e32 v20, 15, v20
	v_lshlrev_b32_sdwa v23, v23, v11 dst_sel:DWORD dst_unused:UNUSED_PAD src0_sel:DWORD src1_sel:WORD_1
	v_bfe_u32 v21, v11, 19, 4
	v_sub_u32_e32 v22, 29, v22
	v_and_b32_e32 v23, 7, v23
	v_cmp_eq_u16_e32 vcc, 0, v20
	v_cndmask_b32_e32 v14, v14, v23, vcc
	v_cndmask_b32_e32 v20, v21, v22, vcc
	v_lshlrev_b32_e32 v21, 8, v11
	v_mov_b32_e32 v22, 0x3b800000
	v_lshlrev_b32_e32 v14, 20, v14
	v_and_b32_e32 v21, 0x80000000, v21
	v_lshl_add_u32 v20, v20, 23, v22
	v_or3_b32 v20, v21, v20, v14
.LBB5_568:
	s_or_b64 exec, exec, s[6:7]
	s_nop 0
	v_mfma_f32_16x16x4f32 a[0:3], v10, v20, a[0:3]
	s_movk_i32 s4, 0x7f
	v_cmp_gt_i16_sdwa s[6:7], v15, s4 src0_sel:BYTE_3 src1_sel:DWORD
	s_mov_b64 s[4:5], 0
                                        ; implicit-def: $sgpr10
	s_and_saveexec_b64 s[8:9], s[6:7]
	s_xor_b64 s[6:7], exec, s[8:9]
	s_cbranch_execnz .LBB5_2617
; %bb.569:
	s_or_saveexec_b64 s[6:7], s[6:7]
	v_mov_b32_e32 v10, s10
	s_xor_b64 exec, exec, s[6:7]
	s_cbranch_execnz .LBB5_2620
.LBB5_570:
	s_or_b64 exec, exec, s[6:7]
	s_and_saveexec_b64 s[6:7], s[4:5]
	s_cbranch_execz .LBB5_572
.LBB5_571:
	v_bfe_u32 v10, v15, 24, 3
	v_ffbh_u32_e32 v22, v10
	v_min_u32_e32 v22, 32, v22
	v_lshrrev_b32_e32 v20, 27, v15
	v_subrev_u32_e32 v23, 28, v22
	v_and_b32_e32 v14, 0x80000000, v15
	v_and_b32_e32 v20, 15, v20
	v_bfe_u32 v21, v15, 27, 4
	v_lshlrev_b32_sdwa v15, v23, v15 dst_sel:DWORD dst_unused:UNUSED_PAD src0_sel:DWORD src1_sel:BYTE_3
	v_sub_u32_e32 v22, 29, v22
	v_and_b32_e32 v15, 7, v15
	v_cmp_eq_u16_e32 vcc, 0, v20
	v_cndmask_b32_e32 v10, v10, v15, vcc
	v_cndmask_b32_e32 v15, v21, v22, vcc
	v_mov_b32_e32 v20, 0x3b800000
	v_lshlrev_b32_e32 v10, 20, v10
	v_lshl_add_u32 v15, v15, 23, v20
	v_or3_b32 v10, v14, v15, v10
.LBB5_572:
	s_or_b64 exec, exec, s[6:7]
	s_movk_i32 s4, 0x7f
	v_cmp_gt_i16_sdwa s[6:7], v11, s4 src0_sel:BYTE_3 src1_sel:DWORD
	s_mov_b64 s[4:5], 0
                                        ; implicit-def: $sgpr10
	s_and_saveexec_b64 s[8:9], s[6:7]
	s_xor_b64 s[6:7], exec, s[8:9]
	s_cbranch_execnz .LBB5_2621
; %bb.573:
	s_or_saveexec_b64 s[6:7], s[6:7]
	v_mov_b32_e32 v14, s10
	s_xor_b64 exec, exec, s[6:7]
	s_cbranch_execnz .LBB5_2624
.LBB5_574:
	s_or_b64 exec, exec, s[6:7]
	s_and_saveexec_b64 s[6:7], s[4:5]
	s_cbranch_execz .LBB5_576
.LBB5_575:
	v_bfe_u32 v14, v11, 24, 3
	v_ffbh_u32_e32 v22, v14
	v_min_u32_e32 v22, 32, v22
	v_lshrrev_b32_e32 v20, 27, v11
	v_subrev_u32_e32 v23, 28, v22
	v_and_b32_e32 v15, 0x80000000, v11
	v_and_b32_e32 v20, 15, v20
	v_bfe_u32 v21, v11, 27, 4
	v_lshlrev_b32_sdwa v11, v23, v11 dst_sel:DWORD dst_unused:UNUSED_PAD src0_sel:DWORD src1_sel:BYTE_3
	v_sub_u32_e32 v22, 29, v22
	v_and_b32_e32 v11, 7, v11
	v_cmp_eq_u16_e32 vcc, 0, v20
	v_cndmask_b32_e32 v11, v14, v11, vcc
	v_cndmask_b32_e32 v14, v21, v22, vcc
	v_mov_b32_e32 v20, 0x3b800000
	v_lshlrev_b32_e32 v11, 20, v11
	v_lshl_add_u32 v14, v14, 23, v20
	v_or3_b32 v14, v15, v14, v11
.LBB5_576:
	s_or_b64 exec, exec, s[6:7]
	s_nop 0
	v_mfma_f32_16x16x4f32 a[0:3], v10, v14, a[0:3]
	s_movk_i32 s4, 0x7f
	v_cmp_gt_i16_sdwa s[6:7], v16, s4 src0_sel:BYTE_0 src1_sel:DWORD
	s_mov_b64 s[4:5], 0
                                        ; implicit-def: $sgpr10
	s_and_saveexec_b64 s[8:9], s[6:7]
	s_xor_b64 s[6:7], exec, s[8:9]
	s_cbranch_execnz .LBB5_2625
; %bb.577:
	s_or_saveexec_b64 s[6:7], s[6:7]
	v_mov_b32_e32 v10, s10
	s_xor_b64 exec, exec, s[6:7]
	s_cbranch_execnz .LBB5_2628
.LBB5_578:
	s_or_b64 exec, exec, s[6:7]
	s_and_saveexec_b64 s[6:7], s[4:5]
	s_cbranch_execz .LBB5_580
.LBB5_579:
	v_and_b32_e32 v10, 7, v16
	v_ffbh_u32_e32 v14, v10
	v_min_u32_e32 v14, 32, v14
	v_lshrrev_b16_e32 v11, 3, v16
	v_subrev_u32_e32 v15, 28, v14
	v_and_b32_e32 v11, 15, v11
	v_lshlrev_b32_e32 v15, v15, v16
	v_sub_u32_e32 v14, 29, v14
	v_and_b32_e32 v15, 7, v15
	v_cmp_eq_u16_e32 vcc, 0, v11
	v_cndmask_b32_e32 v10, v10, v15, vcc
	v_cndmask_b32_e32 v11, v11, v14, vcc
	v_lshlrev_b32_e32 v14, 24, v16
	v_mov_b32_e32 v15, 0x3b800000
	v_lshlrev_b32_e32 v10, 20, v10
	v_and_b32_e32 v14, 0x80000000, v14
	v_lshl_add_u32 v11, v11, 23, v15
	v_or3_b32 v10, v14, v11, v10
.LBB5_580:
	s_or_b64 exec, exec, s[6:7]
	s_movk_i32 s4, 0x7f
	v_cmp_gt_i16_sdwa s[6:7], v12, s4 src0_sel:BYTE_0 src1_sel:DWORD
	s_mov_b64 s[4:5], 0
                                        ; implicit-def: $sgpr10
	s_and_saveexec_b64 s[8:9], s[6:7]
	s_xor_b64 s[6:7], exec, s[8:9]
	s_cbranch_execnz .LBB5_2629
; %bb.581:
	s_or_saveexec_b64 s[6:7], s[6:7]
	v_mov_b32_e32 v11, s10
	s_xor_b64 exec, exec, s[6:7]
	s_cbranch_execnz .LBB5_2632
.LBB5_582:
	s_or_b64 exec, exec, s[6:7]
	s_and_saveexec_b64 s[6:7], s[4:5]
	s_cbranch_execz .LBB5_584
.LBB5_583:
	v_and_b32_e32 v11, 7, v12
	v_ffbh_u32_e32 v15, v11
	v_min_u32_e32 v15, 32, v15
	v_lshrrev_b16_e32 v14, 3, v12
	v_subrev_u32_e32 v20, 28, v15
	v_and_b32_e32 v14, 15, v14
	v_lshlrev_b32_e32 v20, v20, v12
	v_sub_u32_e32 v15, 29, v15
	v_and_b32_e32 v20, 7, v20
	v_cmp_eq_u16_e32 vcc, 0, v14
	v_cndmask_b32_e32 v11, v11, v20, vcc
	v_cndmask_b32_e32 v14, v14, v15, vcc
	v_lshlrev_b32_e32 v15, 24, v12
	v_mov_b32_e32 v20, 0x3b800000
	v_lshlrev_b32_e32 v11, 20, v11
	v_and_b32_e32 v15, 0x80000000, v15
	v_lshl_add_u32 v14, v14, 23, v20
	v_or3_b32 v11, v15, v14, v11
.LBB5_584:
	s_or_b64 exec, exec, s[6:7]
	s_nop 0
	v_mfma_f32_16x16x4f32 a[0:3], v10, v11, a[0:3]
	v_lshrrev_b32_e32 v11, 8, v16
	s_movk_i32 s4, 0x7f
	v_cmp_gt_i16_sdwa s[6:7], v11, s4 src0_sel:BYTE_0 src1_sel:DWORD
	s_mov_b64 s[4:5], 0
                                        ; implicit-def: $sgpr10
	s_and_saveexec_b64 s[8:9], s[6:7]
	s_xor_b64 s[6:7], exec, s[8:9]
	s_cbranch_execnz .LBB5_2633
; %bb.585:
	s_or_saveexec_b64 s[6:7], s[6:7]
	v_mov_b32_e32 v10, s10
	s_xor_b64 exec, exec, s[6:7]
	s_cbranch_execnz .LBB5_2636
.LBB5_586:
	s_or_b64 exec, exec, s[6:7]
	s_and_saveexec_b64 s[6:7], s[4:5]
	s_cbranch_execz .LBB5_588
.LBB5_587:
	v_bfe_u32 v10, v16, 8, 3
	v_ffbh_u32_e32 v15, v10
	v_min_u32_e32 v15, 32, v15
	v_lshrrev_b16_e32 v14, 3, v11
	v_subrev_u32_e32 v20, 28, v15
	v_and_b32_e32 v14, 15, v14
	v_lshlrev_b32_e32 v11, v20, v11
	v_sub_u32_e32 v15, 29, v15
	v_and_b32_e32 v11, 7, v11
	v_cmp_eq_u16_e32 vcc, 0, v14
	v_cndmask_b32_e32 v10, v10, v11, vcc
	v_cndmask_b32_e32 v11, v14, v15, vcc
	v_lshlrev_b32_e32 v14, 16, v16
	v_mov_b32_e32 v15, 0x3b800000
	v_lshlrev_b32_e32 v10, 20, v10
	v_and_b32_e32 v14, 0x80000000, v14
	v_lshl_add_u32 v11, v11, 23, v15
	v_or3_b32 v10, v14, v11, v10
.LBB5_588:
	s_or_b64 exec, exec, s[6:7]
	v_lshrrev_b32_e32 v11, 8, v12
	s_movk_i32 s4, 0x7f
	v_cmp_gt_i16_sdwa s[6:7], v11, s4 src0_sel:BYTE_0 src1_sel:DWORD
	s_mov_b64 s[4:5], 0
                                        ; implicit-def: $sgpr10
	s_and_saveexec_b64 s[8:9], s[6:7]
	s_xor_b64 s[6:7], exec, s[8:9]
	s_cbranch_execnz .LBB5_2637
; %bb.589:
	s_or_saveexec_b64 s[6:7], s[6:7]
	v_mov_b32_e32 v14, s10
	s_xor_b64 exec, exec, s[6:7]
	s_cbranch_execnz .LBB5_2640
.LBB5_590:
	s_or_b64 exec, exec, s[6:7]
	s_and_saveexec_b64 s[6:7], s[4:5]
	s_cbranch_execz .LBB5_592
.LBB5_591:
	v_bfe_u32 v14, v12, 8, 3
	v_ffbh_u32_e32 v20, v14
	v_min_u32_e32 v20, 32, v20
	v_lshrrev_b16_e32 v15, 3, v11
	v_subrev_u32_e32 v21, 28, v20
	v_and_b32_e32 v15, 15, v15
	v_lshlrev_b32_e32 v11, v21, v11
	v_sub_u32_e32 v20, 29, v20
	v_and_b32_e32 v11, 7, v11
	v_cmp_eq_u16_e32 vcc, 0, v15
	v_cndmask_b32_e32 v11, v14, v11, vcc
	v_cndmask_b32_e32 v14, v15, v20, vcc
	v_lshlrev_b32_e32 v15, 16, v12
	v_mov_b32_e32 v20, 0x3b800000
	v_lshlrev_b32_e32 v11, 20, v11
	v_and_b32_e32 v15, 0x80000000, v15
	v_lshl_add_u32 v14, v14, 23, v20
	v_or3_b32 v14, v15, v14, v11
.LBB5_592:
	s_or_b64 exec, exec, s[6:7]
	s_nop 0
	v_mfma_f32_16x16x4f32 a[0:3], v10, v14, a[0:3]
	s_movk_i32 s4, 0xff
	v_and_b32_sdwa v11, v16, s4 dst_sel:DWORD dst_unused:UNUSED_PAD src0_sel:WORD_1 src1_sel:DWORD
	s_movk_i32 s4, 0x7f
	v_cmp_lt_i16_e32 vcc, s4, v11
	s_mov_b64 s[4:5], 0
                                        ; implicit-def: $sgpr10
	s_and_saveexec_b64 s[6:7], vcc
	s_xor_b64 s[6:7], exec, s[6:7]
	s_cbranch_execnz .LBB5_2641
; %bb.593:
	s_or_saveexec_b64 s[6:7], s[6:7]
	v_mov_b32_e32 v10, s10
	s_xor_b64 exec, exec, s[6:7]
	s_cbranch_execnz .LBB5_2644
.LBB5_594:
	s_or_b64 exec, exec, s[6:7]
	s_and_saveexec_b64 s[6:7], s[4:5]
	s_cbranch_execz .LBB5_596
.LBB5_595:
	v_bfe_u32 v10, v16, 16, 3
	v_ffbh_u32_e32 v15, v10
	v_min_u32_e32 v15, 32, v15
	v_lshrrev_b32_e32 v11, 19, v16
	v_subrev_u32_e32 v20, 28, v15
	v_and_b32_e32 v11, 15, v11
	v_lshlrev_b32_sdwa v20, v20, v16 dst_sel:DWORD dst_unused:UNUSED_PAD src0_sel:DWORD src1_sel:WORD_1
	v_bfe_u32 v14, v16, 19, 4
	v_sub_u32_e32 v15, 29, v15
	v_and_b32_e32 v20, 7, v20
	v_cmp_eq_u16_e32 vcc, 0, v11
	v_cndmask_b32_e32 v10, v10, v20, vcc
	v_cndmask_b32_e32 v11, v14, v15, vcc
	v_lshlrev_b32_e32 v14, 8, v16
	v_mov_b32_e32 v15, 0x3b800000
	v_lshlrev_b32_e32 v10, 20, v10
	v_and_b32_e32 v14, 0x80000000, v14
	v_lshl_add_u32 v11, v11, 23, v15
	v_or3_b32 v10, v14, v11, v10
.LBB5_596:
	s_or_b64 exec, exec, s[6:7]
	s_movk_i32 s4, 0xff
	v_and_b32_sdwa v11, v12, s4 dst_sel:DWORD dst_unused:UNUSED_PAD src0_sel:WORD_1 src1_sel:DWORD
	s_movk_i32 s4, 0x7f
	v_cmp_lt_i16_e32 vcc, s4, v11
	s_mov_b64 s[4:5], 0
                                        ; implicit-def: $sgpr10
	s_and_saveexec_b64 s[6:7], vcc
	s_xor_b64 s[6:7], exec, s[6:7]
	s_cbranch_execnz .LBB5_2645
; %bb.597:
	s_or_saveexec_b64 s[6:7], s[6:7]
	v_mov_b32_e32 v14, s10
	s_xor_b64 exec, exec, s[6:7]
	s_cbranch_execnz .LBB5_2648
.LBB5_598:
	s_or_b64 exec, exec, s[6:7]
	s_and_saveexec_b64 s[6:7], s[4:5]
	s_cbranch_execz .LBB5_600
.LBB5_599:
	v_bfe_u32 v11, v12, 16, 3
	v_ffbh_u32_e32 v20, v11
	v_min_u32_e32 v20, 32, v20
	v_lshrrev_b32_e32 v14, 19, v12
	v_subrev_u32_e32 v21, 28, v20
	v_and_b32_e32 v14, 15, v14
	v_lshlrev_b32_sdwa v21, v21, v12 dst_sel:DWORD dst_unused:UNUSED_PAD src0_sel:DWORD src1_sel:WORD_1
	v_bfe_u32 v15, v12, 19, 4
	v_sub_u32_e32 v20, 29, v20
	v_and_b32_e32 v21, 7, v21
	v_cmp_eq_u16_e32 vcc, 0, v14
	v_cndmask_b32_e32 v11, v11, v21, vcc
	v_cndmask_b32_e32 v14, v15, v20, vcc
	v_lshlrev_b32_e32 v15, 8, v12
	v_mov_b32_e32 v20, 0x3b800000
	v_lshlrev_b32_e32 v11, 20, v11
	v_and_b32_e32 v15, 0x80000000, v15
	v_lshl_add_u32 v14, v14, 23, v20
	v_or3_b32 v14, v15, v14, v11
.LBB5_600:
	s_or_b64 exec, exec, s[6:7]
	s_nop 0
	v_mfma_f32_16x16x4f32 a[0:3], v10, v14, a[0:3]
	s_movk_i32 s4, 0x7f
	v_cmp_gt_i16_sdwa s[6:7], v16, s4 src0_sel:BYTE_3 src1_sel:DWORD
	s_mov_b64 s[4:5], 0
                                        ; implicit-def: $sgpr10
	s_and_saveexec_b64 s[8:9], s[6:7]
	s_xor_b64 s[6:7], exec, s[8:9]
	s_cbranch_execnz .LBB5_2649
; %bb.601:
	s_or_saveexec_b64 s[6:7], s[6:7]
	v_mov_b32_e32 v10, s10
	s_xor_b64 exec, exec, s[6:7]
	s_cbranch_execnz .LBB5_2652
.LBB5_602:
	s_or_b64 exec, exec, s[6:7]
	s_and_saveexec_b64 s[6:7], s[4:5]
	s_cbranch_execz .LBB5_604
.LBB5_603:
	v_bfe_u32 v10, v16, 24, 3
	v_ffbh_u32_e32 v20, v10
	v_min_u32_e32 v20, 32, v20
	v_lshrrev_b32_e32 v14, 27, v16
	v_subrev_u32_e32 v21, 28, v20
	v_and_b32_e32 v11, 0x80000000, v16
	v_and_b32_e32 v14, 15, v14
	v_bfe_u32 v15, v16, 27, 4
	v_lshlrev_b32_sdwa v16, v21, v16 dst_sel:DWORD dst_unused:UNUSED_PAD src0_sel:DWORD src1_sel:BYTE_3
	v_sub_u32_e32 v20, 29, v20
	v_and_b32_e32 v16, 7, v16
	v_cmp_eq_u16_e32 vcc, 0, v14
	v_cndmask_b32_e32 v10, v10, v16, vcc
	v_cndmask_b32_e32 v14, v15, v20, vcc
	v_mov_b32_e32 v15, 0x3b800000
	v_lshlrev_b32_e32 v10, 20, v10
	v_lshl_add_u32 v14, v14, 23, v15
	v_or3_b32 v10, v11, v14, v10
.LBB5_604:
	s_or_b64 exec, exec, s[6:7]
	s_movk_i32 s4, 0x7f
	v_cmp_gt_i16_sdwa s[6:7], v12, s4 src0_sel:BYTE_3 src1_sel:DWORD
	s_mov_b64 s[4:5], 0
                                        ; implicit-def: $sgpr10
	s_and_saveexec_b64 s[8:9], s[6:7]
	s_xor_b64 s[6:7], exec, s[8:9]
	s_cbranch_execnz .LBB5_2653
; %bb.605:
	s_or_saveexec_b64 s[6:7], s[6:7]
	v_mov_b32_e32 v11, s10
	s_xor_b64 exec, exec, s[6:7]
	s_cbranch_execnz .LBB5_2656
.LBB5_606:
	s_or_b64 exec, exec, s[6:7]
	s_and_saveexec_b64 s[6:7], s[4:5]
	s_cbranch_execz .LBB5_608
.LBB5_607:
	v_bfe_u32 v11, v12, 24, 3
	v_ffbh_u32_e32 v20, v11
	v_min_u32_e32 v20, 32, v20
	v_lshrrev_b32_e32 v15, 27, v12
	v_subrev_u32_e32 v21, 28, v20
	v_and_b32_e32 v14, 0x80000000, v12
	v_and_b32_e32 v15, 15, v15
	v_bfe_u32 v16, v12, 27, 4
	v_lshlrev_b32_sdwa v12, v21, v12 dst_sel:DWORD dst_unused:UNUSED_PAD src0_sel:DWORD src1_sel:BYTE_3
	v_sub_u32_e32 v20, 29, v20
	v_and_b32_e32 v12, 7, v12
	v_cmp_eq_u16_e32 vcc, 0, v15
	v_cndmask_b32_e32 v11, v11, v12, vcc
	v_cndmask_b32_e32 v12, v16, v20, vcc
	v_mov_b32_e32 v15, 0x3b800000
	v_lshlrev_b32_e32 v11, 20, v11
	v_lshl_add_u32 v12, v12, 23, v15
	v_or3_b32 v11, v14, v12, v11
.LBB5_608:
	s_or_b64 exec, exec, s[6:7]
	s_nop 0
	v_mfma_f32_16x16x4f32 a[0:3], v10, v11, a[0:3]
	s_movk_i32 s4, 0x7f
	v_cmp_gt_i16_sdwa s[6:7], v17, s4 src0_sel:BYTE_0 src1_sel:DWORD
	s_mov_b64 s[4:5], 0
                                        ; implicit-def: $sgpr10
	s_and_saveexec_b64 s[8:9], s[6:7]
	s_xor_b64 s[6:7], exec, s[8:9]
	s_cbranch_execnz .LBB5_2657
; %bb.609:
	s_or_saveexec_b64 s[6:7], s[6:7]
	v_mov_b32_e32 v10, s10
	s_xor_b64 exec, exec, s[6:7]
	s_cbranch_execnz .LBB5_2660
.LBB5_610:
	s_or_b64 exec, exec, s[6:7]
	s_and_saveexec_b64 s[6:7], s[4:5]
	s_cbranch_execz .LBB5_612
.LBB5_611:
	v_and_b32_e32 v10, 7, v17
	v_ffbh_u32_e32 v12, v10
	v_min_u32_e32 v12, 32, v12
	v_lshrrev_b16_e32 v11, 3, v17
	v_subrev_u32_e32 v14, 28, v12
	v_and_b32_e32 v11, 15, v11
	v_lshlrev_b32_e32 v14, v14, v17
	v_sub_u32_e32 v12, 29, v12
	v_and_b32_e32 v14, 7, v14
	v_cmp_eq_u16_e32 vcc, 0, v11
	v_cndmask_b32_e32 v10, v10, v14, vcc
	v_cndmask_b32_e32 v11, v11, v12, vcc
	v_lshlrev_b32_e32 v12, 24, v17
	v_mov_b32_e32 v14, 0x3b800000
	v_lshlrev_b32_e32 v10, 20, v10
	v_and_b32_e32 v12, 0x80000000, v12
	v_lshl_add_u32 v11, v11, 23, v14
	v_or3_b32 v10, v12, v11, v10
.LBB5_612:
	s_or_b64 exec, exec, s[6:7]
	s_movk_i32 s4, 0x7f
	v_cmp_gt_i16_sdwa s[6:7], v13, s4 src0_sel:BYTE_0 src1_sel:DWORD
	s_mov_b64 s[4:5], 0
                                        ; implicit-def: $sgpr10
	s_and_saveexec_b64 s[8:9], s[6:7]
	s_xor_b64 s[6:7], exec, s[8:9]
	s_cbranch_execnz .LBB5_2661
; %bb.613:
	s_or_saveexec_b64 s[6:7], s[6:7]
	v_mov_b32_e32 v11, s10
	s_xor_b64 exec, exec, s[6:7]
	s_cbranch_execnz .LBB5_2664
.LBB5_614:
	s_or_b64 exec, exec, s[6:7]
	s_and_saveexec_b64 s[6:7], s[4:5]
	s_cbranch_execz .LBB5_616
.LBB5_615:
	v_and_b32_e32 v11, 7, v13
	v_ffbh_u32_e32 v14, v11
	v_min_u32_e32 v14, 32, v14
	v_lshrrev_b16_e32 v12, 3, v13
	v_subrev_u32_e32 v15, 28, v14
	v_and_b32_e32 v12, 15, v12
	v_lshlrev_b32_e32 v15, v15, v13
	v_sub_u32_e32 v14, 29, v14
	v_and_b32_e32 v15, 7, v15
	v_cmp_eq_u16_e32 vcc, 0, v12
	v_cndmask_b32_e32 v11, v11, v15, vcc
	v_cndmask_b32_e32 v12, v12, v14, vcc
	v_lshlrev_b32_e32 v14, 24, v13
	v_mov_b32_e32 v15, 0x3b800000
	v_lshlrev_b32_e32 v11, 20, v11
	v_and_b32_e32 v14, 0x80000000, v14
	v_lshl_add_u32 v12, v12, 23, v15
	v_or3_b32 v11, v14, v12, v11
.LBB5_616:
	s_or_b64 exec, exec, s[6:7]
	s_nop 0
	v_mfma_f32_16x16x4f32 a[0:3], v10, v11, a[0:3]
	v_lshrrev_b32_e32 v11, 8, v17
	s_movk_i32 s4, 0x7f
	v_cmp_gt_i16_sdwa s[6:7], v11, s4 src0_sel:BYTE_0 src1_sel:DWORD
	s_mov_b64 s[4:5], 0
                                        ; implicit-def: $sgpr10
	s_and_saveexec_b64 s[8:9], s[6:7]
	s_xor_b64 s[6:7], exec, s[8:9]
	s_cbranch_execnz .LBB5_2665
; %bb.617:
	s_or_saveexec_b64 s[6:7], s[6:7]
	v_mov_b32_e32 v10, s10
	s_xor_b64 exec, exec, s[6:7]
	s_cbranch_execnz .LBB5_2668
.LBB5_618:
	s_or_b64 exec, exec, s[6:7]
	s_and_saveexec_b64 s[6:7], s[4:5]
	s_cbranch_execz .LBB5_620
.LBB5_619:
	v_bfe_u32 v10, v17, 8, 3
	v_ffbh_u32_e32 v14, v10
	v_min_u32_e32 v14, 32, v14
	v_lshrrev_b16_e32 v12, 3, v11
	v_subrev_u32_e32 v15, 28, v14
	v_and_b32_e32 v12, 15, v12
	v_lshlrev_b32_e32 v11, v15, v11
	v_sub_u32_e32 v14, 29, v14
	v_and_b32_e32 v11, 7, v11
	v_cmp_eq_u16_e32 vcc, 0, v12
	v_cndmask_b32_e32 v10, v10, v11, vcc
	v_cndmask_b32_e32 v11, v12, v14, vcc
	v_lshlrev_b32_e32 v12, 16, v17
	v_mov_b32_e32 v14, 0x3b800000
	v_lshlrev_b32_e32 v10, 20, v10
	v_and_b32_e32 v12, 0x80000000, v12
	v_lshl_add_u32 v11, v11, 23, v14
	v_or3_b32 v10, v12, v11, v10
.LBB5_620:
	s_or_b64 exec, exec, s[6:7]
	v_lshrrev_b32_e32 v11, 8, v13
	s_movk_i32 s4, 0x7f
	v_cmp_gt_i16_sdwa s[6:7], v11, s4 src0_sel:BYTE_0 src1_sel:DWORD
	s_mov_b64 s[4:5], 0
                                        ; implicit-def: $sgpr10
	s_and_saveexec_b64 s[8:9], s[6:7]
	s_xor_b64 s[6:7], exec, s[8:9]
	s_cbranch_execnz .LBB5_2669
; %bb.621:
	s_or_saveexec_b64 s[6:7], s[6:7]
	v_mov_b32_e32 v12, s10
	s_xor_b64 exec, exec, s[6:7]
	s_cbranch_execnz .LBB5_2672
.LBB5_622:
	s_or_b64 exec, exec, s[6:7]
	s_and_saveexec_b64 s[6:7], s[4:5]
	s_cbranch_execz .LBB5_624
.LBB5_623:
	v_bfe_u32 v12, v13, 8, 3
	v_ffbh_u32_e32 v15, v12
	v_min_u32_e32 v15, 32, v15
	v_lshrrev_b16_e32 v14, 3, v11
	v_subrev_u32_e32 v16, 28, v15
	v_and_b32_e32 v14, 15, v14
	v_lshlrev_b32_e32 v11, v16, v11
	v_sub_u32_e32 v15, 29, v15
	v_and_b32_e32 v11, 7, v11
	v_cmp_eq_u16_e32 vcc, 0, v14
	v_cndmask_b32_e32 v11, v12, v11, vcc
	v_cndmask_b32_e32 v12, v14, v15, vcc
	v_lshlrev_b32_e32 v14, 16, v13
	v_mov_b32_e32 v15, 0x3b800000
	v_lshlrev_b32_e32 v11, 20, v11
	v_and_b32_e32 v14, 0x80000000, v14
	v_lshl_add_u32 v12, v12, 23, v15
	v_or3_b32 v12, v14, v12, v11
.LBB5_624:
	s_or_b64 exec, exec, s[6:7]
	s_nop 0
	v_mfma_f32_16x16x4f32 a[0:3], v10, v12, a[0:3]
	s_movk_i32 s4, 0xff
	v_and_b32_sdwa v11, v17, s4 dst_sel:DWORD dst_unused:UNUSED_PAD src0_sel:WORD_1 src1_sel:DWORD
	s_movk_i32 s4, 0x7f
	v_cmp_lt_i16_e32 vcc, s4, v11
	s_mov_b64 s[4:5], 0
                                        ; implicit-def: $sgpr10
	s_and_saveexec_b64 s[6:7], vcc
	s_xor_b64 s[6:7], exec, s[6:7]
	s_cbranch_execnz .LBB5_2673
; %bb.625:
	s_or_saveexec_b64 s[6:7], s[6:7]
	v_mov_b32_e32 v10, s10
	s_xor_b64 exec, exec, s[6:7]
	s_cbranch_execnz .LBB5_2676
.LBB5_626:
	s_or_b64 exec, exec, s[6:7]
	s_and_saveexec_b64 s[6:7], s[4:5]
	s_cbranch_execz .LBB5_628
.LBB5_627:
	v_bfe_u32 v10, v17, 16, 3
	v_ffbh_u32_e32 v14, v10
	v_min_u32_e32 v14, 32, v14
	v_lshrrev_b32_e32 v11, 19, v17
	v_subrev_u32_e32 v15, 28, v14
	v_and_b32_e32 v11, 15, v11
	v_lshlrev_b32_sdwa v15, v15, v17 dst_sel:DWORD dst_unused:UNUSED_PAD src0_sel:DWORD src1_sel:WORD_1
	v_bfe_u32 v12, v17, 19, 4
	v_sub_u32_e32 v14, 29, v14
	v_and_b32_e32 v15, 7, v15
	v_cmp_eq_u16_e32 vcc, 0, v11
	v_cndmask_b32_e32 v10, v10, v15, vcc
	v_cndmask_b32_e32 v11, v12, v14, vcc
	v_lshlrev_b32_e32 v12, 8, v17
	v_mov_b32_e32 v14, 0x3b800000
	v_lshlrev_b32_e32 v10, 20, v10
	v_and_b32_e32 v12, 0x80000000, v12
	v_lshl_add_u32 v11, v11, 23, v14
	v_or3_b32 v10, v12, v11, v10
.LBB5_628:
	s_or_b64 exec, exec, s[6:7]
	s_movk_i32 s4, 0xff
	v_and_b32_sdwa v11, v13, s4 dst_sel:DWORD dst_unused:UNUSED_PAD src0_sel:WORD_1 src1_sel:DWORD
	s_movk_i32 s4, 0x7f
	v_cmp_lt_i16_e32 vcc, s4, v11
	s_mov_b64 s[4:5], 0
                                        ; implicit-def: $sgpr10
	s_and_saveexec_b64 s[6:7], vcc
	s_xor_b64 s[6:7], exec, s[6:7]
	s_cbranch_execnz .LBB5_2677
; %bb.629:
	s_or_saveexec_b64 s[6:7], s[6:7]
	v_mov_b32_e32 v12, s10
	s_xor_b64 exec, exec, s[6:7]
	s_cbranch_execnz .LBB5_2680
.LBB5_630:
	s_or_b64 exec, exec, s[6:7]
	s_and_saveexec_b64 s[6:7], s[4:5]
	s_cbranch_execz .LBB5_632
.LBB5_631:
	v_bfe_u32 v11, v13, 16, 3
	v_ffbh_u32_e32 v15, v11
	v_min_u32_e32 v15, 32, v15
	v_lshrrev_b32_e32 v12, 19, v13
	v_subrev_u32_e32 v16, 28, v15
	v_and_b32_e32 v12, 15, v12
	v_lshlrev_b32_sdwa v16, v16, v13 dst_sel:DWORD dst_unused:UNUSED_PAD src0_sel:DWORD src1_sel:WORD_1
	v_bfe_u32 v14, v13, 19, 4
	v_sub_u32_e32 v15, 29, v15
	v_and_b32_e32 v16, 7, v16
	v_cmp_eq_u16_e32 vcc, 0, v12
	v_cndmask_b32_e32 v11, v11, v16, vcc
	v_cndmask_b32_e32 v12, v14, v15, vcc
	v_lshlrev_b32_e32 v14, 8, v13
	v_mov_b32_e32 v15, 0x3b800000
	v_lshlrev_b32_e32 v11, 20, v11
	v_and_b32_e32 v14, 0x80000000, v14
	v_lshl_add_u32 v12, v12, 23, v15
	v_or3_b32 v12, v14, v12, v11
.LBB5_632:
	s_or_b64 exec, exec, s[6:7]
	s_nop 0
	v_mfma_f32_16x16x4f32 a[0:3], v10, v12, a[0:3]
	s_movk_i32 s4, 0x7f
	v_cmp_gt_i16_sdwa s[6:7], v17, s4 src0_sel:BYTE_3 src1_sel:DWORD
	s_mov_b64 s[4:5], 0
                                        ; implicit-def: $sgpr10
	s_and_saveexec_b64 s[8:9], s[6:7]
	s_xor_b64 s[6:7], exec, s[8:9]
	s_cbranch_execnz .LBB5_2681
; %bb.633:
	s_or_saveexec_b64 s[6:7], s[6:7]
	v_mov_b32_e32 v10, s10
	s_xor_b64 exec, exec, s[6:7]
	s_cbranch_execnz .LBB5_2684
.LBB5_634:
	s_or_b64 exec, exec, s[6:7]
	s_and_saveexec_b64 s[6:7], s[4:5]
	s_cbranch_execz .LBB5_636
.LBB5_635:
	v_bfe_u32 v10, v17, 24, 3
	v_ffbh_u32_e32 v15, v10
	v_min_u32_e32 v15, 32, v15
	v_lshrrev_b32_e32 v12, 27, v17
	v_subrev_u32_e32 v16, 28, v15
	v_and_b32_e32 v12, 15, v12
	v_lshlrev_b32_sdwa v16, v16, v17 dst_sel:DWORD dst_unused:UNUSED_PAD src0_sel:DWORD src1_sel:BYTE_3
	v_bfe_u32 v14, v17, 27, 4
	v_sub_u32_e32 v15, 29, v15
	v_and_b32_e32 v16, 7, v16
	v_cmp_eq_u16_e32 vcc, 0, v12
	v_cndmask_b32_e32 v10, v10, v16, vcc
	v_cndmask_b32_e32 v12, v14, v15, vcc
	v_mov_b32_e32 v14, 0x3b800000
	v_and_b32_e32 v11, 0x80000000, v17
	v_lshlrev_b32_e32 v10, 20, v10
	v_lshl_add_u32 v12, v12, 23, v14
	v_or3_b32 v10, v11, v12, v10
.LBB5_636:
	s_or_b64 exec, exec, s[6:7]
	s_movk_i32 s4, 0x7f
	v_cmp_gt_i16_sdwa s[6:7], v13, s4 src0_sel:BYTE_3 src1_sel:DWORD
	s_mov_b64 s[4:5], 0
                                        ; implicit-def: $sgpr10
	s_and_saveexec_b64 s[8:9], s[6:7]
	s_xor_b64 s[6:7], exec, s[8:9]
	s_cbranch_execnz .LBB5_2685
; %bb.637:
	s_or_saveexec_b64 s[6:7], s[6:7]
	v_mov_b32_e32 v11, s10
	s_xor_b64 exec, exec, s[6:7]
	s_cbranch_execnz .LBB5_2688
.LBB5_638:
	s_or_b64 exec, exec, s[6:7]
	s_and_saveexec_b64 s[6:7], s[4:5]
	s_cbranch_execz .LBB5_640
.LBB5_639:
	v_bfe_u32 v11, v13, 24, 3
	v_ffbh_u32_e32 v16, v11
	v_min_u32_e32 v16, 32, v16
	v_lshrrev_b32_e32 v14, 27, v13
	v_subrev_u32_e32 v17, 28, v16
	v_and_b32_e32 v12, 0x80000000, v13
	v_and_b32_e32 v14, 15, v14
	v_bfe_u32 v15, v13, 27, 4
	v_lshlrev_b32_sdwa v13, v17, v13 dst_sel:DWORD dst_unused:UNUSED_PAD src0_sel:DWORD src1_sel:BYTE_3
	v_sub_u32_e32 v16, 29, v16
	v_and_b32_e32 v13, 7, v13
	v_cmp_eq_u16_e32 vcc, 0, v14
	v_cndmask_b32_e32 v11, v11, v13, vcc
	v_cndmask_b32_e32 v13, v15, v16, vcc
	v_mov_b32_e32 v14, 0x3b800000
	v_lshlrev_b32_e32 v11, 20, v11
	v_lshl_add_u32 v13, v13, 23, v14
	v_or3_b32 v11, v12, v13, v11
.LBB5_640:
	s_or_b64 exec, exec, s[6:7]
	s_nop 0
	v_mfma_f32_16x16x4f32 a[0:3], v10, v11, a[0:3]
	s_movk_i32 s4, 0x7f
	v_cmp_gt_i16_sdwa s[6:7], v6, s4 src0_sel:BYTE_0 src1_sel:DWORD
	s_mov_b64 s[4:5], 0
                                        ; implicit-def: $sgpr10
	s_and_saveexec_b64 s[8:9], s[6:7]
	s_xor_b64 s[6:7], exec, s[8:9]
	s_cbranch_execnz .LBB5_2689
; %bb.641:
	s_or_saveexec_b64 s[6:7], s[6:7]
	v_mov_b32_e32 v10, s10
	s_xor_b64 exec, exec, s[6:7]
	s_cbranch_execnz .LBB5_2692
.LBB5_642:
	s_or_b64 exec, exec, s[6:7]
	s_and_saveexec_b64 s[6:7], s[4:5]
	s_cbranch_execz .LBB5_644
.LBB5_643:
	v_and_b32_e32 v10, 7, v6
	v_ffbh_u32_e32 v12, v10
	v_min_u32_e32 v12, 32, v12
	v_lshrrev_b16_e32 v11, 3, v6
	v_subrev_u32_e32 v13, 28, v12
	v_and_b32_e32 v11, 15, v11
	v_lshlrev_b32_e32 v13, v13, v6
	v_sub_u32_e32 v12, 29, v12
	v_and_b32_e32 v13, 7, v13
	v_cmp_eq_u16_e32 vcc, 0, v11
	v_cndmask_b32_e32 v10, v10, v13, vcc
	v_cndmask_b32_e32 v11, v11, v12, vcc
	v_lshlrev_b32_e32 v12, 24, v6
	v_mov_b32_e32 v13, 0x3b800000
	v_lshlrev_b32_e32 v10, 20, v10
	v_and_b32_e32 v12, 0x80000000, v12
	v_lshl_add_u32 v11, v11, 23, v13
	v_or3_b32 v10, v12, v11, v10
.LBB5_644:
	s_or_b64 exec, exec, s[6:7]
	s_movk_i32 s4, 0x7f
	v_cmp_gt_i16_sdwa s[6:7], v2, s4 src0_sel:BYTE_0 src1_sel:DWORD
	s_mov_b64 s[4:5], 0
                                        ; implicit-def: $sgpr10
	s_and_saveexec_b64 s[8:9], s[6:7]
	s_xor_b64 s[6:7], exec, s[8:9]
	s_cbranch_execnz .LBB5_2693
; %bb.645:
	s_or_saveexec_b64 s[6:7], s[6:7]
	v_mov_b32_e32 v11, s10
	s_xor_b64 exec, exec, s[6:7]
	s_cbranch_execnz .LBB5_2696
.LBB5_646:
	s_or_b64 exec, exec, s[6:7]
	s_and_saveexec_b64 s[6:7], s[4:5]
	s_cbranch_execz .LBB5_648
.LBB5_647:
	v_and_b32_e32 v11, 7, v2
	v_ffbh_u32_e32 v13, v11
	v_min_u32_e32 v13, 32, v13
	v_lshrrev_b16_e32 v12, 3, v2
	v_subrev_u32_e32 v14, 28, v13
	v_and_b32_e32 v12, 15, v12
	v_lshlrev_b32_e32 v14, v14, v2
	v_sub_u32_e32 v13, 29, v13
	v_and_b32_e32 v14, 7, v14
	v_cmp_eq_u16_e32 vcc, 0, v12
	v_cndmask_b32_e32 v11, v11, v14, vcc
	v_cndmask_b32_e32 v12, v12, v13, vcc
	v_lshlrev_b32_e32 v13, 24, v2
	v_mov_b32_e32 v14, 0x3b800000
	v_lshlrev_b32_e32 v11, 20, v11
	v_and_b32_e32 v13, 0x80000000, v13
	v_lshl_add_u32 v12, v12, 23, v14
	v_or3_b32 v11, v13, v12, v11
.LBB5_648:
	s_or_b64 exec, exec, s[6:7]
	s_nop 0
	v_mfma_f32_16x16x4f32 a[0:3], v10, v11, a[0:3]
	v_lshrrev_b32_e32 v11, 8, v6
	s_movk_i32 s4, 0x7f
	v_cmp_gt_i16_sdwa s[6:7], v11, s4 src0_sel:BYTE_0 src1_sel:DWORD
	s_mov_b64 s[4:5], 0
                                        ; implicit-def: $sgpr10
	s_and_saveexec_b64 s[8:9], s[6:7]
	s_xor_b64 s[6:7], exec, s[8:9]
	s_cbranch_execnz .LBB5_2697
; %bb.649:
	s_or_saveexec_b64 s[6:7], s[6:7]
	v_mov_b32_e32 v10, s10
	s_xor_b64 exec, exec, s[6:7]
	s_cbranch_execnz .LBB5_2700
.LBB5_650:
	s_or_b64 exec, exec, s[6:7]
	s_and_saveexec_b64 s[6:7], s[4:5]
	s_cbranch_execz .LBB5_652
.LBB5_651:
	v_bfe_u32 v10, v6, 8, 3
	v_ffbh_u32_e32 v13, v10
	v_min_u32_e32 v13, 32, v13
	v_lshrrev_b16_e32 v12, 3, v11
	v_subrev_u32_e32 v14, 28, v13
	v_and_b32_e32 v12, 15, v12
	v_lshlrev_b32_e32 v11, v14, v11
	v_sub_u32_e32 v13, 29, v13
	v_and_b32_e32 v11, 7, v11
	v_cmp_eq_u16_e32 vcc, 0, v12
	v_cndmask_b32_e32 v10, v10, v11, vcc
	v_cndmask_b32_e32 v11, v12, v13, vcc
	v_lshlrev_b32_e32 v12, 16, v6
	v_mov_b32_e32 v13, 0x3b800000
	v_lshlrev_b32_e32 v10, 20, v10
	v_and_b32_e32 v12, 0x80000000, v12
	v_lshl_add_u32 v11, v11, 23, v13
	v_or3_b32 v10, v12, v11, v10
.LBB5_652:
	s_or_b64 exec, exec, s[6:7]
	v_lshrrev_b32_e32 v11, 8, v2
	s_movk_i32 s4, 0x7f
	v_cmp_gt_i16_sdwa s[6:7], v11, s4 src0_sel:BYTE_0 src1_sel:DWORD
	s_mov_b64 s[4:5], 0
                                        ; implicit-def: $sgpr10
	s_and_saveexec_b64 s[8:9], s[6:7]
	s_xor_b64 s[6:7], exec, s[8:9]
	s_cbranch_execnz .LBB5_2701
; %bb.653:
	s_or_saveexec_b64 s[6:7], s[6:7]
	v_mov_b32_e32 v12, s10
	s_xor_b64 exec, exec, s[6:7]
	s_cbranch_execnz .LBB5_2704
.LBB5_654:
	s_or_b64 exec, exec, s[6:7]
	s_and_saveexec_b64 s[6:7], s[4:5]
	s_cbranch_execz .LBB5_656
.LBB5_655:
	v_bfe_u32 v12, v2, 8, 3
	v_ffbh_u32_e32 v14, v12
	v_min_u32_e32 v14, 32, v14
	v_lshrrev_b16_e32 v13, 3, v11
	v_subrev_u32_e32 v15, 28, v14
	v_and_b32_e32 v13, 15, v13
	v_lshlrev_b32_e32 v11, v15, v11
	v_sub_u32_e32 v14, 29, v14
	v_and_b32_e32 v11, 7, v11
	v_cmp_eq_u16_e32 vcc, 0, v13
	v_cndmask_b32_e32 v11, v12, v11, vcc
	v_cndmask_b32_e32 v12, v13, v14, vcc
	v_lshlrev_b32_e32 v13, 16, v2
	v_mov_b32_e32 v14, 0x3b800000
	v_lshlrev_b32_e32 v11, 20, v11
	v_and_b32_e32 v13, 0x80000000, v13
	v_lshl_add_u32 v12, v12, 23, v14
	v_or3_b32 v12, v13, v12, v11
.LBB5_656:
	s_or_b64 exec, exec, s[6:7]
	s_nop 0
	v_mfma_f32_16x16x4f32 a[0:3], v10, v12, a[0:3]
	s_movk_i32 s4, 0xff
	v_and_b32_sdwa v11, v6, s4 dst_sel:DWORD dst_unused:UNUSED_PAD src0_sel:WORD_1 src1_sel:DWORD
	s_movk_i32 s4, 0x7f
	v_cmp_lt_i16_e32 vcc, s4, v11
	s_mov_b64 s[4:5], 0
                                        ; implicit-def: $sgpr10
	s_and_saveexec_b64 s[6:7], vcc
	s_xor_b64 s[6:7], exec, s[6:7]
	s_cbranch_execnz .LBB5_2705
; %bb.657:
	s_or_saveexec_b64 s[6:7], s[6:7]
	v_mov_b32_e32 v10, s10
	s_xor_b64 exec, exec, s[6:7]
	s_cbranch_execnz .LBB5_2708
.LBB5_658:
	s_or_b64 exec, exec, s[6:7]
	s_and_saveexec_b64 s[6:7], s[4:5]
	s_cbranch_execz .LBB5_660
.LBB5_659:
	v_bfe_u32 v10, v6, 16, 3
	v_ffbh_u32_e32 v13, v10
	v_min_u32_e32 v13, 32, v13
	v_lshrrev_b32_e32 v11, 19, v6
	v_subrev_u32_e32 v14, 28, v13
	v_and_b32_e32 v11, 15, v11
	v_lshlrev_b32_sdwa v14, v14, v6 dst_sel:DWORD dst_unused:UNUSED_PAD src0_sel:DWORD src1_sel:WORD_1
	v_bfe_u32 v12, v6, 19, 4
	v_sub_u32_e32 v13, 29, v13
	v_and_b32_e32 v14, 7, v14
	v_cmp_eq_u16_e32 vcc, 0, v11
	v_cndmask_b32_e32 v10, v10, v14, vcc
	v_cndmask_b32_e32 v11, v12, v13, vcc
	v_lshlrev_b32_e32 v12, 8, v6
	v_mov_b32_e32 v13, 0x3b800000
	v_lshlrev_b32_e32 v10, 20, v10
	v_and_b32_e32 v12, 0x80000000, v12
	v_lshl_add_u32 v11, v11, 23, v13
	v_or3_b32 v10, v12, v11, v10
.LBB5_660:
	s_or_b64 exec, exec, s[6:7]
	s_movk_i32 s4, 0xff
	v_and_b32_sdwa v11, v2, s4 dst_sel:DWORD dst_unused:UNUSED_PAD src0_sel:WORD_1 src1_sel:DWORD
	s_movk_i32 s4, 0x7f
	v_cmp_lt_i16_e32 vcc, s4, v11
	s_mov_b64 s[4:5], 0
                                        ; implicit-def: $sgpr10
	s_and_saveexec_b64 s[6:7], vcc
	s_xor_b64 s[6:7], exec, s[6:7]
	s_cbranch_execnz .LBB5_2709
; %bb.661:
	s_or_saveexec_b64 s[6:7], s[6:7]
	v_mov_b32_e32 v12, s10
	s_xor_b64 exec, exec, s[6:7]
	s_cbranch_execnz .LBB5_2712
.LBB5_662:
	s_or_b64 exec, exec, s[6:7]
	s_and_saveexec_b64 s[6:7], s[4:5]
	s_cbranch_execz .LBB5_664
.LBB5_663:
	v_bfe_u32 v11, v2, 16, 3
	v_ffbh_u32_e32 v14, v11
	v_min_u32_e32 v14, 32, v14
	v_lshrrev_b32_e32 v12, 19, v2
	v_subrev_u32_e32 v15, 28, v14
	v_and_b32_e32 v12, 15, v12
	v_lshlrev_b32_sdwa v15, v15, v2 dst_sel:DWORD dst_unused:UNUSED_PAD src0_sel:DWORD src1_sel:WORD_1
	v_bfe_u32 v13, v2, 19, 4
	v_sub_u32_e32 v14, 29, v14
	v_and_b32_e32 v15, 7, v15
	v_cmp_eq_u16_e32 vcc, 0, v12
	v_cndmask_b32_e32 v11, v11, v15, vcc
	v_cndmask_b32_e32 v12, v13, v14, vcc
	v_lshlrev_b32_e32 v13, 8, v2
	v_mov_b32_e32 v14, 0x3b800000
	v_lshlrev_b32_e32 v11, 20, v11
	v_and_b32_e32 v13, 0x80000000, v13
	v_lshl_add_u32 v12, v12, 23, v14
	v_or3_b32 v12, v13, v12, v11
.LBB5_664:
	s_or_b64 exec, exec, s[6:7]
	s_nop 0
	v_mfma_f32_16x16x4f32 a[0:3], v10, v12, a[0:3]
	s_movk_i32 s4, 0x7f
	v_cmp_gt_i16_sdwa s[6:7], v6, s4 src0_sel:BYTE_3 src1_sel:DWORD
	s_mov_b64 s[4:5], 0
                                        ; implicit-def: $sgpr10
	s_and_saveexec_b64 s[8:9], s[6:7]
	s_xor_b64 s[6:7], exec, s[8:9]
	s_cbranch_execnz .LBB5_2713
; %bb.665:
	s_or_saveexec_b64 s[6:7], s[6:7]
	v_mov_b32_e32 v10, s10
	s_xor_b64 exec, exec, s[6:7]
	s_cbranch_execnz .LBB5_2716
.LBB5_666:
	s_or_b64 exec, exec, s[6:7]
	s_and_saveexec_b64 s[6:7], s[4:5]
	s_cbranch_execz .LBB5_668
.LBB5_667:
	v_bfe_u32 v10, v6, 24, 3
	v_ffbh_u32_e32 v14, v10
	v_min_u32_e32 v14, 32, v14
	v_lshrrev_b32_e32 v12, 27, v6
	v_subrev_u32_e32 v15, 28, v14
	v_and_b32_e32 v11, 0x80000000, v6
	v_and_b32_e32 v12, 15, v12
	v_bfe_u32 v13, v6, 27, 4
	v_lshlrev_b32_sdwa v6, v15, v6 dst_sel:DWORD dst_unused:UNUSED_PAD src0_sel:DWORD src1_sel:BYTE_3
	v_sub_u32_e32 v14, 29, v14
	v_and_b32_e32 v6, 7, v6
	v_cmp_eq_u16_e32 vcc, 0, v12
	v_cndmask_b32_e32 v6, v10, v6, vcc
	v_cndmask_b32_e32 v10, v13, v14, vcc
	v_mov_b32_e32 v12, 0x3b800000
	v_lshlrev_b32_e32 v6, 20, v6
	v_lshl_add_u32 v10, v10, 23, v12
	v_or3_b32 v10, v11, v10, v6
.LBB5_668:
	s_or_b64 exec, exec, s[6:7]
	s_movk_i32 s4, 0x7f
	v_cmp_gt_i16_sdwa s[6:7], v2, s4 src0_sel:BYTE_3 src1_sel:DWORD
	s_mov_b64 s[4:5], 0
                                        ; implicit-def: $sgpr10
	s_and_saveexec_b64 s[8:9], s[6:7]
	s_xor_b64 s[6:7], exec, s[8:9]
	s_cbranch_execnz .LBB5_2717
; %bb.669:
	s_or_saveexec_b64 s[6:7], s[6:7]
	v_mov_b32_e32 v6, s10
	s_xor_b64 exec, exec, s[6:7]
	s_cbranch_execnz .LBB5_2720
.LBB5_670:
	s_or_b64 exec, exec, s[6:7]
	s_and_saveexec_b64 s[6:7], s[4:5]
	s_cbranch_execz .LBB5_672
.LBB5_671:
	v_bfe_u32 v6, v2, 24, 3
	v_ffbh_u32_e32 v14, v6
	v_min_u32_e32 v14, 32, v14
	v_lshrrev_b32_e32 v12, 27, v2
	v_subrev_u32_e32 v15, 28, v14
	v_and_b32_e32 v11, 0x80000000, v2
	v_and_b32_e32 v12, 15, v12
	v_bfe_u32 v13, v2, 27, 4
	v_lshlrev_b32_sdwa v2, v15, v2 dst_sel:DWORD dst_unused:UNUSED_PAD src0_sel:DWORD src1_sel:BYTE_3
	v_sub_u32_e32 v14, 29, v14
	v_and_b32_e32 v2, 7, v2
	v_cmp_eq_u16_e32 vcc, 0, v12
	v_cndmask_b32_e32 v2, v6, v2, vcc
	v_cndmask_b32_e32 v6, v13, v14, vcc
	v_mov_b32_e32 v12, 0x3b800000
	v_lshlrev_b32_e32 v2, 20, v2
	v_lshl_add_u32 v6, v6, 23, v12
	v_or3_b32 v6, v11, v6, v2
.LBB5_672:
	s_or_b64 exec, exec, s[6:7]
	s_nop 0
	v_mfma_f32_16x16x4f32 a[0:3], v10, v6, a[0:3]
	s_movk_i32 s4, 0x7f
	v_cmp_gt_i16_sdwa s[6:7], v7, s4 src0_sel:BYTE_0 src1_sel:DWORD
	s_mov_b64 s[4:5], 0
                                        ; implicit-def: $sgpr10
	s_and_saveexec_b64 s[8:9], s[6:7]
	s_xor_b64 s[6:7], exec, s[8:9]
	s_cbranch_execnz .LBB5_2721
; %bb.673:
	s_or_saveexec_b64 s[6:7], s[6:7]
	v_mov_b32_e32 v2, s10
	s_xor_b64 exec, exec, s[6:7]
	s_cbranch_execnz .LBB5_2724
.LBB5_674:
	s_or_b64 exec, exec, s[6:7]
	s_and_saveexec_b64 s[6:7], s[4:5]
	s_cbranch_execz .LBB5_676
.LBB5_675:
	v_and_b32_e32 v2, 7, v7
	v_ffbh_u32_e32 v10, v2
	v_min_u32_e32 v10, 32, v10
	v_lshrrev_b16_e32 v6, 3, v7
	v_subrev_u32_e32 v11, 28, v10
	v_and_b32_e32 v6, 15, v6
	v_lshlrev_b32_e32 v11, v11, v7
	v_sub_u32_e32 v10, 29, v10
	v_and_b32_e32 v11, 7, v11
	v_cmp_eq_u16_e32 vcc, 0, v6
	v_cndmask_b32_e32 v2, v2, v11, vcc
	v_cndmask_b32_e32 v6, v6, v10, vcc
	v_lshlrev_b32_e32 v10, 24, v7
	v_mov_b32_e32 v11, 0x3b800000
	v_lshlrev_b32_e32 v2, 20, v2
	v_and_b32_e32 v10, 0x80000000, v10
	v_lshl_add_u32 v6, v6, 23, v11
	v_or3_b32 v2, v10, v6, v2
.LBB5_676:
	s_or_b64 exec, exec, s[6:7]
	s_movk_i32 s4, 0x7f
	v_cmp_gt_i16_sdwa s[6:7], v3, s4 src0_sel:BYTE_0 src1_sel:DWORD
	s_mov_b64 s[4:5], 0
                                        ; implicit-def: $sgpr10
	s_and_saveexec_b64 s[8:9], s[6:7]
	s_xor_b64 s[6:7], exec, s[8:9]
	s_cbranch_execnz .LBB5_2725
; %bb.677:
	s_or_saveexec_b64 s[6:7], s[6:7]
	v_mov_b32_e32 v6, s10
	s_xor_b64 exec, exec, s[6:7]
	s_cbranch_execnz .LBB5_2728
.LBB5_678:
	s_or_b64 exec, exec, s[6:7]
	s_and_saveexec_b64 s[6:7], s[4:5]
	s_cbranch_execz .LBB5_680
.LBB5_679:
	v_and_b32_e32 v6, 7, v3
	v_ffbh_u32_e32 v11, v6
	v_min_u32_e32 v11, 32, v11
	v_lshrrev_b16_e32 v10, 3, v3
	v_subrev_u32_e32 v12, 28, v11
	v_and_b32_e32 v10, 15, v10
	v_lshlrev_b32_e32 v12, v12, v3
	v_sub_u32_e32 v11, 29, v11
	v_and_b32_e32 v12, 7, v12
	v_cmp_eq_u16_e32 vcc, 0, v10
	v_cndmask_b32_e32 v6, v6, v12, vcc
	v_cndmask_b32_e32 v10, v10, v11, vcc
	v_lshlrev_b32_e32 v11, 24, v3
	v_mov_b32_e32 v12, 0x3b800000
	v_lshlrev_b32_e32 v6, 20, v6
	v_and_b32_e32 v11, 0x80000000, v11
	v_lshl_add_u32 v10, v10, 23, v12
	v_or3_b32 v6, v11, v10, v6
.LBB5_680:
	s_or_b64 exec, exec, s[6:7]
	s_nop 0
	v_mfma_f32_16x16x4f32 a[0:3], v2, v6, a[0:3]
	v_lshrrev_b32_e32 v6, 8, v7
	s_movk_i32 s4, 0x7f
	v_cmp_gt_i16_sdwa s[6:7], v6, s4 src0_sel:BYTE_0 src1_sel:DWORD
	s_mov_b64 s[4:5], 0
                                        ; implicit-def: $sgpr10
	s_and_saveexec_b64 s[8:9], s[6:7]
	s_xor_b64 s[6:7], exec, s[8:9]
	s_cbranch_execnz .LBB5_2729
; %bb.681:
	s_or_saveexec_b64 s[6:7], s[6:7]
	v_mov_b32_e32 v2, s10
	s_xor_b64 exec, exec, s[6:7]
	s_cbranch_execnz .LBB5_2732
.LBB5_682:
	s_or_b64 exec, exec, s[6:7]
	s_and_saveexec_b64 s[6:7], s[4:5]
	s_cbranch_execz .LBB5_684
.LBB5_683:
	v_bfe_u32 v2, v7, 8, 3
	v_ffbh_u32_e32 v11, v2
	v_min_u32_e32 v11, 32, v11
	v_lshrrev_b16_e32 v10, 3, v6
	v_subrev_u32_e32 v12, 28, v11
	v_and_b32_e32 v10, 15, v10
	v_lshlrev_b32_e32 v6, v12, v6
	v_sub_u32_e32 v11, 29, v11
	v_and_b32_e32 v6, 7, v6
	v_cmp_eq_u16_e32 vcc, 0, v10
	v_cndmask_b32_e32 v2, v2, v6, vcc
	v_cndmask_b32_e32 v6, v10, v11, vcc
	v_lshlrev_b32_e32 v10, 16, v7
	v_mov_b32_e32 v11, 0x3b800000
	v_lshlrev_b32_e32 v2, 20, v2
	v_and_b32_e32 v10, 0x80000000, v10
	v_lshl_add_u32 v6, v6, 23, v11
	v_or3_b32 v2, v10, v6, v2
.LBB5_684:
	s_or_b64 exec, exec, s[6:7]
	v_lshrrev_b32_e32 v6, 8, v3
	s_movk_i32 s4, 0x7f
	v_cmp_gt_i16_sdwa s[6:7], v6, s4 src0_sel:BYTE_0 src1_sel:DWORD
	s_mov_b64 s[4:5], 0
                                        ; implicit-def: $sgpr10
	s_and_saveexec_b64 s[8:9], s[6:7]
	s_xor_b64 s[6:7], exec, s[8:9]
	s_cbranch_execnz .LBB5_2733
; %bb.685:
	s_or_saveexec_b64 s[6:7], s[6:7]
	v_mov_b32_e32 v10, s10
	s_xor_b64 exec, exec, s[6:7]
	s_cbranch_execnz .LBB5_2736
.LBB5_686:
	s_or_b64 exec, exec, s[6:7]
	s_and_saveexec_b64 s[6:7], s[4:5]
	s_cbranch_execz .LBB5_688
.LBB5_687:
	v_bfe_u32 v10, v3, 8, 3
	v_ffbh_u32_e32 v12, v10
	v_min_u32_e32 v12, 32, v12
	v_lshrrev_b16_e32 v11, 3, v6
	v_subrev_u32_e32 v13, 28, v12
	v_and_b32_e32 v11, 15, v11
	v_lshlrev_b32_e32 v6, v13, v6
	v_sub_u32_e32 v12, 29, v12
	v_and_b32_e32 v6, 7, v6
	v_cmp_eq_u16_e32 vcc, 0, v11
	v_cndmask_b32_e32 v6, v10, v6, vcc
	v_cndmask_b32_e32 v10, v11, v12, vcc
	v_lshlrev_b32_e32 v11, 16, v3
	v_mov_b32_e32 v12, 0x3b800000
	v_lshlrev_b32_e32 v6, 20, v6
	v_and_b32_e32 v11, 0x80000000, v11
	v_lshl_add_u32 v10, v10, 23, v12
	v_or3_b32 v10, v11, v10, v6
.LBB5_688:
	s_or_b64 exec, exec, s[6:7]
	s_nop 0
	v_mfma_f32_16x16x4f32 a[0:3], v2, v10, a[0:3]
	s_movk_i32 s4, 0xff
	v_and_b32_sdwa v6, v7, s4 dst_sel:DWORD dst_unused:UNUSED_PAD src0_sel:WORD_1 src1_sel:DWORD
	s_movk_i32 s4, 0x7f
	v_cmp_lt_i16_e32 vcc, s4, v6
	s_mov_b64 s[4:5], 0
                                        ; implicit-def: $sgpr10
	s_and_saveexec_b64 s[6:7], vcc
	s_xor_b64 s[6:7], exec, s[6:7]
	s_cbranch_execnz .LBB5_2737
; %bb.689:
	s_or_saveexec_b64 s[6:7], s[6:7]
	v_mov_b32_e32 v2, s10
	s_xor_b64 exec, exec, s[6:7]
	s_cbranch_execnz .LBB5_2740
.LBB5_690:
	s_or_b64 exec, exec, s[6:7]
	s_and_saveexec_b64 s[6:7], s[4:5]
	s_cbranch_execz .LBB5_692
.LBB5_691:
	v_bfe_u32 v2, v7, 16, 3
	v_ffbh_u32_e32 v11, v2
	v_min_u32_e32 v11, 32, v11
	v_lshrrev_b32_e32 v6, 19, v7
	v_subrev_u32_e32 v12, 28, v11
	v_and_b32_e32 v6, 15, v6
	v_lshlrev_b32_sdwa v12, v12, v7 dst_sel:DWORD dst_unused:UNUSED_PAD src0_sel:DWORD src1_sel:WORD_1
	v_bfe_u32 v10, v7, 19, 4
	v_sub_u32_e32 v11, 29, v11
	v_and_b32_e32 v12, 7, v12
	v_cmp_eq_u16_e32 vcc, 0, v6
	v_cndmask_b32_e32 v2, v2, v12, vcc
	v_cndmask_b32_e32 v6, v10, v11, vcc
	v_lshlrev_b32_e32 v10, 8, v7
	v_mov_b32_e32 v11, 0x3b800000
	v_lshlrev_b32_e32 v2, 20, v2
	v_and_b32_e32 v10, 0x80000000, v10
	v_lshl_add_u32 v6, v6, 23, v11
	v_or3_b32 v2, v10, v6, v2
.LBB5_692:
	s_or_b64 exec, exec, s[6:7]
	s_movk_i32 s4, 0xff
	v_and_b32_sdwa v6, v3, s4 dst_sel:DWORD dst_unused:UNUSED_PAD src0_sel:WORD_1 src1_sel:DWORD
	s_movk_i32 s4, 0x7f
	v_cmp_lt_i16_e32 vcc, s4, v6
	s_mov_b64 s[4:5], 0
                                        ; implicit-def: $sgpr10
	s_and_saveexec_b64 s[6:7], vcc
	s_xor_b64 s[6:7], exec, s[6:7]
	s_cbranch_execnz .LBB5_2741
; %bb.693:
	s_or_saveexec_b64 s[6:7], s[6:7]
	v_mov_b32_e32 v10, s10
	s_xor_b64 exec, exec, s[6:7]
	s_cbranch_execnz .LBB5_2744
.LBB5_694:
	s_or_b64 exec, exec, s[6:7]
	s_and_saveexec_b64 s[6:7], s[4:5]
	s_cbranch_execz .LBB5_696
.LBB5_695:
	v_bfe_u32 v6, v3, 16, 3
	v_ffbh_u32_e32 v12, v6
	v_min_u32_e32 v12, 32, v12
	v_lshrrev_b32_e32 v10, 19, v3
	v_subrev_u32_e32 v13, 28, v12
	v_and_b32_e32 v10, 15, v10
	v_lshlrev_b32_sdwa v13, v13, v3 dst_sel:DWORD dst_unused:UNUSED_PAD src0_sel:DWORD src1_sel:WORD_1
	v_bfe_u32 v11, v3, 19, 4
	v_sub_u32_e32 v12, 29, v12
	v_and_b32_e32 v13, 7, v13
	v_cmp_eq_u16_e32 vcc, 0, v10
	v_cndmask_b32_e32 v6, v6, v13, vcc
	v_cndmask_b32_e32 v10, v11, v12, vcc
	v_lshlrev_b32_e32 v11, 8, v3
	v_mov_b32_e32 v12, 0x3b800000
	v_lshlrev_b32_e32 v6, 20, v6
	v_and_b32_e32 v11, 0x80000000, v11
	v_lshl_add_u32 v10, v10, 23, v12
	v_or3_b32 v10, v11, v10, v6
.LBB5_696:
	s_or_b64 exec, exec, s[6:7]
	s_nop 0
	v_mfma_f32_16x16x4f32 a[0:3], v2, v10, a[0:3]
	s_movk_i32 s4, 0x7f
	v_cmp_gt_i16_sdwa s[6:7], v7, s4 src0_sel:BYTE_3 src1_sel:DWORD
	s_mov_b64 s[4:5], 0
                                        ; implicit-def: $sgpr10
	s_and_saveexec_b64 s[8:9], s[6:7]
	s_xor_b64 s[6:7], exec, s[8:9]
	s_cbranch_execnz .LBB5_2745
; %bb.697:
	s_or_saveexec_b64 s[6:7], s[6:7]
	v_mov_b32_e32 v2, s10
	s_xor_b64 exec, exec, s[6:7]
	s_cbranch_execnz .LBB5_2748
.LBB5_698:
	s_or_b64 exec, exec, s[6:7]
	s_and_saveexec_b64 s[6:7], s[4:5]
	s_cbranch_execz .LBB5_700
.LBB5_699:
	v_bfe_u32 v2, v7, 24, 3
	v_ffbh_u32_e32 v12, v2
	v_min_u32_e32 v12, 32, v12
	v_lshrrev_b32_e32 v10, 27, v7
	v_subrev_u32_e32 v13, 28, v12
	v_and_b32_e32 v6, 0x80000000, v7
	v_and_b32_e32 v10, 15, v10
	v_bfe_u32 v11, v7, 27, 4
	v_lshlrev_b32_sdwa v7, v13, v7 dst_sel:DWORD dst_unused:UNUSED_PAD src0_sel:DWORD src1_sel:BYTE_3
	v_sub_u32_e32 v12, 29, v12
	v_and_b32_e32 v7, 7, v7
	v_cmp_eq_u16_e32 vcc, 0, v10
	v_cndmask_b32_e32 v2, v2, v7, vcc
	v_cndmask_b32_e32 v7, v11, v12, vcc
	v_mov_b32_e32 v10, 0x3b800000
	v_lshlrev_b32_e32 v2, 20, v2
	v_lshl_add_u32 v7, v7, 23, v10
	v_or3_b32 v2, v6, v7, v2
.LBB5_700:
	s_or_b64 exec, exec, s[6:7]
	s_movk_i32 s4, 0x7f
	v_cmp_gt_i16_sdwa s[6:7], v3, s4 src0_sel:BYTE_3 src1_sel:DWORD
	s_mov_b64 s[4:5], 0
                                        ; implicit-def: $sgpr10
	s_and_saveexec_b64 s[8:9], s[6:7]
	s_xor_b64 s[6:7], exec, s[8:9]
	s_cbranch_execnz .LBB5_2749
; %bb.701:
	s_or_saveexec_b64 s[6:7], s[6:7]
	v_mov_b32_e32 v6, s10
	s_xor_b64 exec, exec, s[6:7]
	s_cbranch_execnz .LBB5_2752
.LBB5_702:
	s_or_b64 exec, exec, s[6:7]
	s_and_saveexec_b64 s[6:7], s[4:5]
	s_cbranch_execz .LBB5_704
.LBB5_703:
	v_bfe_u32 v6, v3, 24, 3
	v_ffbh_u32_e32 v12, v6
	v_min_u32_e32 v12, 32, v12
	v_lshrrev_b32_e32 v10, 27, v3
	v_subrev_u32_e32 v13, 28, v12
	v_and_b32_e32 v7, 0x80000000, v3
	v_and_b32_e32 v10, 15, v10
	v_bfe_u32 v11, v3, 27, 4
	v_lshlrev_b32_sdwa v3, v13, v3 dst_sel:DWORD dst_unused:UNUSED_PAD src0_sel:DWORD src1_sel:BYTE_3
	v_sub_u32_e32 v12, 29, v12
	v_and_b32_e32 v3, 7, v3
	v_cmp_eq_u16_e32 vcc, 0, v10
	v_cndmask_b32_e32 v3, v6, v3, vcc
	v_cndmask_b32_e32 v6, v11, v12, vcc
	v_mov_b32_e32 v10, 0x3b800000
	v_lshlrev_b32_e32 v3, 20, v3
	v_lshl_add_u32 v6, v6, 23, v10
	v_or3_b32 v6, v7, v6, v3
.LBB5_704:
	s_or_b64 exec, exec, s[6:7]
	s_nop 0
	v_mfma_f32_16x16x4f32 a[0:3], v2, v6, a[0:3]
	s_movk_i32 s4, 0x7f
	v_cmp_gt_i16_sdwa s[6:7], v8, s4 src0_sel:BYTE_0 src1_sel:DWORD
	s_mov_b64 s[4:5], 0
                                        ; implicit-def: $sgpr10
	s_and_saveexec_b64 s[8:9], s[6:7]
	s_xor_b64 s[6:7], exec, s[8:9]
	s_cbranch_execnz .LBB5_2753
; %bb.705:
	s_or_saveexec_b64 s[6:7], s[6:7]
	v_mov_b32_e32 v2, s10
	s_xor_b64 exec, exec, s[6:7]
	s_cbranch_execnz .LBB5_2756
.LBB5_706:
	s_or_b64 exec, exec, s[6:7]
	s_and_saveexec_b64 s[6:7], s[4:5]
	s_cbranch_execz .LBB5_708
.LBB5_707:
	v_and_b32_e32 v2, 7, v8
	v_ffbh_u32_e32 v6, v2
	v_min_u32_e32 v6, 32, v6
	v_lshrrev_b16_e32 v3, 3, v8
	v_subrev_u32_e32 v7, 28, v6
	v_and_b32_e32 v3, 15, v3
	v_lshlrev_b32_e32 v7, v7, v8
	v_sub_u32_e32 v6, 29, v6
	v_and_b32_e32 v7, 7, v7
	v_cmp_eq_u16_e32 vcc, 0, v3
	v_cndmask_b32_e32 v2, v2, v7, vcc
	v_cndmask_b32_e32 v3, v3, v6, vcc
	v_lshlrev_b32_e32 v6, 24, v8
	v_mov_b32_e32 v7, 0x3b800000
	v_lshlrev_b32_e32 v2, 20, v2
	v_and_b32_e32 v6, 0x80000000, v6
	v_lshl_add_u32 v3, v3, 23, v7
	v_or3_b32 v2, v6, v3, v2
.LBB5_708:
	s_or_b64 exec, exec, s[6:7]
	s_movk_i32 s4, 0x7f
	v_cmp_gt_i16_sdwa s[6:7], v4, s4 src0_sel:BYTE_0 src1_sel:DWORD
	s_mov_b64 s[4:5], 0
                                        ; implicit-def: $sgpr10
	s_and_saveexec_b64 s[8:9], s[6:7]
	s_xor_b64 s[6:7], exec, s[8:9]
	s_cbranch_execnz .LBB5_2757
; %bb.709:
	s_or_saveexec_b64 s[6:7], s[6:7]
	v_mov_b32_e32 v3, s10
	s_xor_b64 exec, exec, s[6:7]
	s_cbranch_execnz .LBB5_2760
.LBB5_710:
	s_or_b64 exec, exec, s[6:7]
	s_and_saveexec_b64 s[6:7], s[4:5]
	s_cbranch_execz .LBB5_712
.LBB5_711:
	v_and_b32_e32 v3, 7, v4
	v_ffbh_u32_e32 v7, v3
	v_min_u32_e32 v7, 32, v7
	v_lshrrev_b16_e32 v6, 3, v4
	v_subrev_u32_e32 v10, 28, v7
	v_and_b32_e32 v6, 15, v6
	v_lshlrev_b32_e32 v10, v10, v4
	v_sub_u32_e32 v7, 29, v7
	v_and_b32_e32 v10, 7, v10
	v_cmp_eq_u16_e32 vcc, 0, v6
	v_cndmask_b32_e32 v3, v3, v10, vcc
	v_cndmask_b32_e32 v6, v6, v7, vcc
	v_lshlrev_b32_e32 v7, 24, v4
	v_mov_b32_e32 v10, 0x3b800000
	v_lshlrev_b32_e32 v3, 20, v3
	v_and_b32_e32 v7, 0x80000000, v7
	v_lshl_add_u32 v6, v6, 23, v10
	v_or3_b32 v3, v7, v6, v3
.LBB5_712:
	s_or_b64 exec, exec, s[6:7]
	s_nop 0
	v_mfma_f32_16x16x4f32 a[0:3], v2, v3, a[0:3]
	v_lshrrev_b32_e32 v3, 8, v8
	s_movk_i32 s4, 0x7f
	v_cmp_gt_i16_sdwa s[6:7], v3, s4 src0_sel:BYTE_0 src1_sel:DWORD
	s_mov_b64 s[4:5], 0
                                        ; implicit-def: $sgpr10
	s_and_saveexec_b64 s[8:9], s[6:7]
	s_xor_b64 s[6:7], exec, s[8:9]
	s_cbranch_execnz .LBB5_2761
; %bb.713:
	s_or_saveexec_b64 s[6:7], s[6:7]
	v_mov_b32_e32 v2, s10
	s_xor_b64 exec, exec, s[6:7]
	s_cbranch_execnz .LBB5_2764
.LBB5_714:
	s_or_b64 exec, exec, s[6:7]
	s_and_saveexec_b64 s[6:7], s[4:5]
	s_cbranch_execz .LBB5_716
.LBB5_715:
	v_bfe_u32 v2, v8, 8, 3
	v_ffbh_u32_e32 v7, v2
	v_min_u32_e32 v7, 32, v7
	v_lshrrev_b16_e32 v6, 3, v3
	v_subrev_u32_e32 v10, 28, v7
	v_and_b32_e32 v6, 15, v6
	v_lshlrev_b32_e32 v3, v10, v3
	v_sub_u32_e32 v7, 29, v7
	v_and_b32_e32 v3, 7, v3
	v_cmp_eq_u16_e32 vcc, 0, v6
	v_cndmask_b32_e32 v2, v2, v3, vcc
	v_cndmask_b32_e32 v3, v6, v7, vcc
	v_lshlrev_b32_e32 v6, 16, v8
	v_mov_b32_e32 v7, 0x3b800000
	v_lshlrev_b32_e32 v2, 20, v2
	v_and_b32_e32 v6, 0x80000000, v6
	v_lshl_add_u32 v3, v3, 23, v7
	v_or3_b32 v2, v6, v3, v2
.LBB5_716:
	s_or_b64 exec, exec, s[6:7]
	v_lshrrev_b32_e32 v3, 8, v4
	s_movk_i32 s4, 0x7f
	v_cmp_gt_i16_sdwa s[6:7], v3, s4 src0_sel:BYTE_0 src1_sel:DWORD
	s_mov_b64 s[4:5], 0
                                        ; implicit-def: $sgpr10
	s_and_saveexec_b64 s[8:9], s[6:7]
	s_xor_b64 s[6:7], exec, s[8:9]
	s_cbranch_execnz .LBB5_2765
; %bb.717:
	s_or_saveexec_b64 s[6:7], s[6:7]
	v_mov_b32_e32 v6, s10
	s_xor_b64 exec, exec, s[6:7]
	s_cbranch_execnz .LBB5_2768
.LBB5_718:
	s_or_b64 exec, exec, s[6:7]
	s_and_saveexec_b64 s[6:7], s[4:5]
	s_cbranch_execz .LBB5_720
.LBB5_719:
	v_bfe_u32 v6, v4, 8, 3
	v_ffbh_u32_e32 v10, v6
	v_min_u32_e32 v10, 32, v10
	v_lshrrev_b16_e32 v7, 3, v3
	v_subrev_u32_e32 v11, 28, v10
	v_and_b32_e32 v7, 15, v7
	v_lshlrev_b32_e32 v3, v11, v3
	v_sub_u32_e32 v10, 29, v10
	v_and_b32_e32 v3, 7, v3
	v_cmp_eq_u16_e32 vcc, 0, v7
	v_cndmask_b32_e32 v3, v6, v3, vcc
	v_cndmask_b32_e32 v6, v7, v10, vcc
	v_lshlrev_b32_e32 v7, 16, v4
	v_mov_b32_e32 v10, 0x3b800000
	v_lshlrev_b32_e32 v3, 20, v3
	v_and_b32_e32 v7, 0x80000000, v7
	v_lshl_add_u32 v6, v6, 23, v10
	v_or3_b32 v6, v7, v6, v3
.LBB5_720:
	s_or_b64 exec, exec, s[6:7]
	s_nop 0
	v_mfma_f32_16x16x4f32 a[0:3], v2, v6, a[0:3]
	s_movk_i32 s4, 0xff
	v_and_b32_sdwa v3, v8, s4 dst_sel:DWORD dst_unused:UNUSED_PAD src0_sel:WORD_1 src1_sel:DWORD
	s_movk_i32 s4, 0x7f
	v_cmp_lt_i16_e32 vcc, s4, v3
	s_mov_b64 s[4:5], 0
                                        ; implicit-def: $sgpr10
	s_and_saveexec_b64 s[6:7], vcc
	s_xor_b64 s[6:7], exec, s[6:7]
	s_cbranch_execnz .LBB5_2769
; %bb.721:
	s_or_saveexec_b64 s[6:7], s[6:7]
	v_mov_b32_e32 v2, s10
	s_xor_b64 exec, exec, s[6:7]
	s_cbranch_execnz .LBB5_2772
.LBB5_722:
	s_or_b64 exec, exec, s[6:7]
	s_and_saveexec_b64 s[6:7], s[4:5]
	s_cbranch_execz .LBB5_724
.LBB5_723:
	v_bfe_u32 v2, v8, 16, 3
	v_ffbh_u32_e32 v7, v2
	v_min_u32_e32 v7, 32, v7
	v_lshrrev_b32_e32 v3, 19, v8
	v_subrev_u32_e32 v10, 28, v7
	v_and_b32_e32 v3, 15, v3
	v_lshlrev_b32_sdwa v10, v10, v8 dst_sel:DWORD dst_unused:UNUSED_PAD src0_sel:DWORD src1_sel:WORD_1
	v_bfe_u32 v6, v8, 19, 4
	v_sub_u32_e32 v7, 29, v7
	v_and_b32_e32 v10, 7, v10
	v_cmp_eq_u16_e32 vcc, 0, v3
	v_cndmask_b32_e32 v2, v2, v10, vcc
	v_cndmask_b32_e32 v3, v6, v7, vcc
	v_lshlrev_b32_e32 v6, 8, v8
	v_mov_b32_e32 v7, 0x3b800000
	v_lshlrev_b32_e32 v2, 20, v2
	v_and_b32_e32 v6, 0x80000000, v6
	v_lshl_add_u32 v3, v3, 23, v7
	v_or3_b32 v2, v6, v3, v2
.LBB5_724:
	s_or_b64 exec, exec, s[6:7]
	s_movk_i32 s4, 0xff
	v_and_b32_sdwa v3, v4, s4 dst_sel:DWORD dst_unused:UNUSED_PAD src0_sel:WORD_1 src1_sel:DWORD
	s_movk_i32 s4, 0x7f
	v_cmp_lt_i16_e32 vcc, s4, v3
	s_mov_b64 s[4:5], 0
                                        ; implicit-def: $sgpr10
	s_and_saveexec_b64 s[6:7], vcc
	s_xor_b64 s[6:7], exec, s[6:7]
	s_cbranch_execnz .LBB5_2773
; %bb.725:
	s_or_saveexec_b64 s[6:7], s[6:7]
	v_mov_b32_e32 v6, s10
	s_xor_b64 exec, exec, s[6:7]
	s_cbranch_execnz .LBB5_2776
.LBB5_726:
	s_or_b64 exec, exec, s[6:7]
	s_and_saveexec_b64 s[6:7], s[4:5]
	s_cbranch_execz .LBB5_728
.LBB5_727:
	v_bfe_u32 v3, v4, 16, 3
	v_ffbh_u32_e32 v10, v3
	v_min_u32_e32 v10, 32, v10
	v_lshrrev_b32_e32 v6, 19, v4
	v_subrev_u32_e32 v11, 28, v10
	v_and_b32_e32 v6, 15, v6
	v_lshlrev_b32_sdwa v11, v11, v4 dst_sel:DWORD dst_unused:UNUSED_PAD src0_sel:DWORD src1_sel:WORD_1
	v_bfe_u32 v7, v4, 19, 4
	v_sub_u32_e32 v10, 29, v10
	v_and_b32_e32 v11, 7, v11
	v_cmp_eq_u16_e32 vcc, 0, v6
	v_cndmask_b32_e32 v3, v3, v11, vcc
	v_cndmask_b32_e32 v6, v7, v10, vcc
	v_lshlrev_b32_e32 v7, 8, v4
	v_mov_b32_e32 v10, 0x3b800000
	v_lshlrev_b32_e32 v3, 20, v3
	v_and_b32_e32 v7, 0x80000000, v7
	v_lshl_add_u32 v6, v6, 23, v10
	v_or3_b32 v6, v7, v6, v3
.LBB5_728:
	s_or_b64 exec, exec, s[6:7]
	s_nop 0
	v_mfma_f32_16x16x4f32 a[0:3], v2, v6, a[0:3]
	s_movk_i32 s4, 0x7f
	v_cmp_gt_i16_sdwa s[6:7], v8, s4 src0_sel:BYTE_3 src1_sel:DWORD
	s_mov_b64 s[4:5], 0
                                        ; implicit-def: $sgpr10
	s_and_saveexec_b64 s[8:9], s[6:7]
	s_xor_b64 s[6:7], exec, s[8:9]
	s_cbranch_execnz .LBB5_2777
; %bb.729:
	s_or_saveexec_b64 s[6:7], s[6:7]
	v_mov_b32_e32 v2, s10
	s_xor_b64 exec, exec, s[6:7]
	s_cbranch_execnz .LBB5_2780
.LBB5_730:
	s_or_b64 exec, exec, s[6:7]
	s_and_saveexec_b64 s[6:7], s[4:5]
	s_cbranch_execz .LBB5_732
.LBB5_731:
	v_bfe_u32 v2, v8, 24, 3
	v_ffbh_u32_e32 v10, v2
	v_min_u32_e32 v10, 32, v10
	v_lshrrev_b32_e32 v6, 27, v8
	v_subrev_u32_e32 v11, 28, v10
	v_and_b32_e32 v3, 0x80000000, v8
	v_and_b32_e32 v6, 15, v6
	v_bfe_u32 v7, v8, 27, 4
	v_lshlrev_b32_sdwa v8, v11, v8 dst_sel:DWORD dst_unused:UNUSED_PAD src0_sel:DWORD src1_sel:BYTE_3
	v_sub_u32_e32 v10, 29, v10
	v_and_b32_e32 v8, 7, v8
	v_cmp_eq_u16_e32 vcc, 0, v6
	v_cndmask_b32_e32 v2, v2, v8, vcc
	v_cndmask_b32_e32 v6, v7, v10, vcc
	v_mov_b32_e32 v7, 0x3b800000
	v_lshlrev_b32_e32 v2, 20, v2
	v_lshl_add_u32 v6, v6, 23, v7
	v_or3_b32 v2, v3, v6, v2
.LBB5_732:
	s_or_b64 exec, exec, s[6:7]
	s_movk_i32 s4, 0x7f
	v_cmp_gt_i16_sdwa s[6:7], v4, s4 src0_sel:BYTE_3 src1_sel:DWORD
	s_mov_b64 s[4:5], 0
                                        ; implicit-def: $sgpr10
	s_and_saveexec_b64 s[8:9], s[6:7]
	s_xor_b64 s[6:7], exec, s[8:9]
	s_cbranch_execnz .LBB5_2781
; %bb.733:
	s_or_saveexec_b64 s[6:7], s[6:7]
	v_mov_b32_e32 v3, s10
	s_xor_b64 exec, exec, s[6:7]
	s_cbranch_execnz .LBB5_2784
.LBB5_734:
	s_or_b64 exec, exec, s[6:7]
	s_and_saveexec_b64 s[6:7], s[4:5]
	s_cbranch_execz .LBB5_736
.LBB5_735:
	v_bfe_u32 v3, v4, 24, 3
	v_ffbh_u32_e32 v10, v3
	v_min_u32_e32 v10, 32, v10
	v_lshrrev_b32_e32 v7, 27, v4
	v_subrev_u32_e32 v11, 28, v10
	v_and_b32_e32 v6, 0x80000000, v4
	v_and_b32_e32 v7, 15, v7
	v_bfe_u32 v8, v4, 27, 4
	v_lshlrev_b32_sdwa v4, v11, v4 dst_sel:DWORD dst_unused:UNUSED_PAD src0_sel:DWORD src1_sel:BYTE_3
	v_sub_u32_e32 v10, 29, v10
	v_and_b32_e32 v4, 7, v4
	v_cmp_eq_u16_e32 vcc, 0, v7
	v_cndmask_b32_e32 v3, v3, v4, vcc
	v_cndmask_b32_e32 v4, v8, v10, vcc
	v_mov_b32_e32 v7, 0x3b800000
	v_lshlrev_b32_e32 v3, 20, v3
	v_lshl_add_u32 v4, v4, 23, v7
	v_or3_b32 v3, v6, v4, v3
.LBB5_736:
	s_or_b64 exec, exec, s[6:7]
	s_nop 0
	v_mfma_f32_16x16x4f32 a[0:3], v2, v3, a[0:3]
	s_movk_i32 s4, 0x7f
	v_cmp_gt_i16_sdwa s[6:7], v9, s4 src0_sel:BYTE_0 src1_sel:DWORD
	s_mov_b64 s[4:5], 0
                                        ; implicit-def: $sgpr10
	s_and_saveexec_b64 s[8:9], s[6:7]
	s_xor_b64 s[6:7], exec, s[8:9]
	s_cbranch_execnz .LBB5_2785
; %bb.737:
	s_or_saveexec_b64 s[6:7], s[6:7]
	v_mov_b32_e32 v2, s10
	s_xor_b64 exec, exec, s[6:7]
	s_cbranch_execnz .LBB5_2788
.LBB5_738:
	s_or_b64 exec, exec, s[6:7]
	s_and_saveexec_b64 s[6:7], s[4:5]
	s_cbranch_execz .LBB5_740
.LBB5_739:
	v_mov_b32_e32 v2, 8
	v_and_b32_e32 v3, 7, v9
	v_lshrrev_b32_sdwa v2, v2, v9 dst_sel:BYTE_1 dst_unused:UNUSED_PAD src0_sel:DWORD src1_sel:DWORD
	v_ffbh_u32_e32 v4, v3
	v_or_b32_sdwa v2, v9, v2 dst_sel:DWORD dst_unused:UNUSED_PAD src0_sel:BYTE_0 src1_sel:DWORD
	v_min_u32_e32 v4, 32, v4
	v_lshrrev_b16_e32 v2, 3, v2
	v_subrev_u32_e32 v6, 28, v4
	v_and_b32_e32 v2, 15, v2
	v_lshlrev_b32_e32 v6, v6, v9
	v_sub_u32_e32 v4, 29, v4
	v_and_b32_e32 v6, 7, v6
	v_cmp_eq_u16_e32 vcc, 0, v2
	v_cndmask_b32_e32 v3, v3, v6, vcc
	v_cndmask_b32_e32 v2, v2, v4, vcc
	v_lshlrev_b32_e32 v4, 24, v9
	v_mov_b32_e32 v6, 0x3b800000
	v_lshlrev_b32_e32 v3, 20, v3
	v_and_b32_e32 v4, 0x80000000, v4
	v_lshl_add_u32 v2, v2, 23, v6
	v_or3_b32 v2, v4, v2, v3
.LBB5_740:
	s_or_b64 exec, exec, s[6:7]
	s_movk_i32 s4, 0x7f
	v_cmp_gt_i16_sdwa s[6:7], v5, s4 src0_sel:BYTE_0 src1_sel:DWORD
	s_mov_b64 s[4:5], 0
                                        ; implicit-def: $sgpr10
	s_and_saveexec_b64 s[8:9], s[6:7]
	s_xor_b64 s[6:7], exec, s[8:9]
	s_cbranch_execnz .LBB5_2789
; %bb.741:
	s_or_saveexec_b64 s[6:7], s[6:7]
	v_mov_b32_e32 v3, s10
	s_xor_b64 exec, exec, s[6:7]
	s_cbranch_execnz .LBB5_2792
.LBB5_742:
	s_or_b64 exec, exec, s[6:7]
	s_and_saveexec_b64 s[6:7], s[4:5]
	s_cbranch_execz .LBB5_744
.LBB5_743:
	v_mov_b32_e32 v3, 8
	v_and_b32_e32 v4, 7, v5
	v_lshrrev_b32_sdwa v3, v3, v5 dst_sel:BYTE_1 dst_unused:UNUSED_PAD src0_sel:DWORD src1_sel:DWORD
	v_ffbh_u32_e32 v6, v4
	v_or_b32_sdwa v3, v5, v3 dst_sel:DWORD dst_unused:UNUSED_PAD src0_sel:BYTE_0 src1_sel:DWORD
	v_min_u32_e32 v6, 32, v6
	v_lshrrev_b16_e32 v3, 3, v3
	v_subrev_u32_e32 v7, 28, v6
	v_and_b32_e32 v3, 15, v3
	v_lshlrev_b32_e32 v7, v7, v5
	v_sub_u32_e32 v6, 29, v6
	v_and_b32_e32 v7, 7, v7
	v_cmp_eq_u16_e32 vcc, 0, v3
	v_cndmask_b32_e32 v4, v4, v7, vcc
	v_cndmask_b32_e32 v3, v3, v6, vcc
	v_lshlrev_b32_e32 v6, 24, v5
	v_mov_b32_e32 v7, 0x3b800000
	v_lshlrev_b32_e32 v4, 20, v4
	v_and_b32_e32 v6, 0x80000000, v6
	v_lshl_add_u32 v3, v3, 23, v7
	v_or3_b32 v3, v6, v3, v4
.LBB5_744:
	s_or_b64 exec, exec, s[6:7]
	s_nop 0
	v_mfma_f32_16x16x4f32 a[0:3], v2, v3, a[0:3]
	v_lshrrev_b32_e32 v3, 8, v9
	s_movk_i32 s4, 0x7f
	v_cmp_gt_i16_sdwa s[6:7], v3, s4 src0_sel:BYTE_0 src1_sel:DWORD
	s_mov_b64 s[4:5], 0
                                        ; implicit-def: $sgpr10
	s_and_saveexec_b64 s[8:9], s[6:7]
	s_xor_b64 s[6:7], exec, s[8:9]
	s_cbranch_execnz .LBB5_2793
; %bb.745:
	s_or_saveexec_b64 s[6:7], s[6:7]
	v_mov_b32_e32 v2, s10
	s_xor_b64 exec, exec, s[6:7]
	s_cbranch_execnz .LBB5_2796
.LBB5_746:
	s_or_b64 exec, exec, s[6:7]
	s_and_saveexec_b64 s[6:7], s[4:5]
	s_cbranch_execz .LBB5_748
.LBB5_747:
	v_bfe_u32 v2, v9, 8, 3
	v_ffbh_u32_e32 v6, v2
	v_min_u32_e32 v6, 32, v6
	v_lshrrev_b16_e32 v4, 3, v3
	v_subrev_u32_e32 v7, 28, v6
	v_and_b32_e32 v4, 15, v4
	v_lshlrev_b32_e32 v3, v7, v3
	v_sub_u32_e32 v6, 29, v6
	v_and_b32_e32 v3, 7, v3
	v_cmp_eq_u16_e32 vcc, 0, v4
	v_cndmask_b32_e32 v2, v2, v3, vcc
	v_cndmask_b32_e32 v3, v4, v6, vcc
	v_lshlrev_b32_e32 v4, 16, v9
	v_mov_b32_e32 v6, 0x3b800000
	v_lshlrev_b32_e32 v2, 20, v2
	v_and_b32_e32 v4, 0x80000000, v4
	v_lshl_add_u32 v3, v3, 23, v6
	v_or3_b32 v2, v4, v3, v2
.LBB5_748:
	s_or_b64 exec, exec, s[6:7]
	v_lshrrev_b32_e32 v3, 8, v5
	s_movk_i32 s4, 0x7f
	v_cmp_gt_i16_sdwa s[6:7], v3, s4 src0_sel:BYTE_0 src1_sel:DWORD
	s_mov_b64 s[4:5], 0
                                        ; implicit-def: $sgpr10
	s_and_saveexec_b64 s[8:9], s[6:7]
	s_xor_b64 s[6:7], exec, s[8:9]
	s_cbranch_execnz .LBB5_2797
; %bb.749:
	s_or_saveexec_b64 s[6:7], s[6:7]
	v_mov_b32_e32 v4, s10
	s_xor_b64 exec, exec, s[6:7]
	s_cbranch_execnz .LBB5_2800
.LBB5_750:
	s_or_b64 exec, exec, s[6:7]
	s_and_saveexec_b64 s[6:7], s[4:5]
	s_cbranch_execz .LBB5_752
.LBB5_751:
	v_bfe_u32 v4, v5, 8, 3
	v_ffbh_u32_e32 v7, v4
	v_min_u32_e32 v7, 32, v7
	v_lshrrev_b16_e32 v6, 3, v3
	v_subrev_u32_e32 v8, 28, v7
	v_and_b32_e32 v6, 15, v6
	v_lshlrev_b32_e32 v3, v8, v3
	v_sub_u32_e32 v7, 29, v7
	v_and_b32_e32 v3, 7, v3
	v_cmp_eq_u16_e32 vcc, 0, v6
	v_cndmask_b32_e32 v3, v4, v3, vcc
	v_cndmask_b32_e32 v4, v6, v7, vcc
	v_lshlrev_b32_e32 v6, 16, v5
	v_mov_b32_e32 v7, 0x3b800000
	v_lshlrev_b32_e32 v3, 20, v3
	v_and_b32_e32 v6, 0x80000000, v6
	v_lshl_add_u32 v4, v4, 23, v7
	v_or3_b32 v4, v6, v4, v3
.LBB5_752:
	s_or_b64 exec, exec, s[6:7]
	s_nop 0
	v_mfma_f32_16x16x4f32 a[0:3], v2, v4, a[0:3]
	s_movk_i32 s4, 0xff
	v_and_b32_sdwa v3, v9, s4 dst_sel:DWORD dst_unused:UNUSED_PAD src0_sel:WORD_1 src1_sel:DWORD
	s_movk_i32 s4, 0x7f
	v_cmp_lt_i16_e32 vcc, s4, v3
	s_mov_b64 s[4:5], 0
                                        ; implicit-def: $sgpr10
	s_and_saveexec_b64 s[6:7], vcc
	s_xor_b64 s[6:7], exec, s[6:7]
	s_cbranch_execnz .LBB5_2801
; %bb.753:
	s_or_saveexec_b64 s[6:7], s[6:7]
	v_mov_b32_e32 v2, s10
	s_xor_b64 exec, exec, s[6:7]
	s_cbranch_execnz .LBB5_2804
.LBB5_754:
	s_or_b64 exec, exec, s[6:7]
	s_and_saveexec_b64 s[6:7], s[4:5]
	s_cbranch_execz .LBB5_756
.LBB5_755:
	v_bfe_u32 v2, v9, 16, 3
	v_ffbh_u32_e32 v6, v2
	v_min_u32_e32 v6, 32, v6
	v_lshrrev_b32_e32 v3, 19, v9
	v_subrev_u32_e32 v7, 28, v6
	v_and_b32_e32 v3, 15, v3
	v_lshlrev_b32_sdwa v7, v7, v9 dst_sel:DWORD dst_unused:UNUSED_PAD src0_sel:DWORD src1_sel:WORD_1
	v_bfe_u32 v4, v9, 19, 4
	v_sub_u32_e32 v6, 29, v6
	v_and_b32_e32 v7, 7, v7
	v_cmp_eq_u16_e32 vcc, 0, v3
	v_cndmask_b32_e32 v2, v2, v7, vcc
	v_cndmask_b32_e32 v3, v4, v6, vcc
	v_lshlrev_b32_e32 v4, 8, v9
	v_mov_b32_e32 v6, 0x3b800000
	v_lshlrev_b32_e32 v2, 20, v2
	v_and_b32_e32 v4, 0x80000000, v4
	v_lshl_add_u32 v3, v3, 23, v6
	v_or3_b32 v2, v4, v3, v2
.LBB5_756:
	s_or_b64 exec, exec, s[6:7]
	s_movk_i32 s4, 0xff
	v_and_b32_sdwa v3, v5, s4 dst_sel:DWORD dst_unused:UNUSED_PAD src0_sel:WORD_1 src1_sel:DWORD
	s_movk_i32 s4, 0x7f
	v_cmp_lt_i16_e32 vcc, s4, v3
	s_mov_b64 s[4:5], 0
                                        ; implicit-def: $sgpr10
	s_and_saveexec_b64 s[6:7], vcc
	s_xor_b64 s[6:7], exec, s[6:7]
	s_cbranch_execnz .LBB5_2805
; %bb.757:
	s_or_saveexec_b64 s[6:7], s[6:7]
	v_mov_b32_e32 v4, s10
	s_xor_b64 exec, exec, s[6:7]
	s_cbranch_execnz .LBB5_2808
.LBB5_758:
	s_or_b64 exec, exec, s[6:7]
	s_and_saveexec_b64 s[6:7], s[4:5]
	s_cbranch_execz .LBB5_760
.LBB5_759:
	v_bfe_u32 v3, v5, 16, 3
	v_ffbh_u32_e32 v7, v3
	v_min_u32_e32 v7, 32, v7
	v_lshrrev_b32_e32 v4, 19, v5
	v_subrev_u32_e32 v8, 28, v7
	v_and_b32_e32 v4, 15, v4
	v_lshlrev_b32_sdwa v8, v8, v5 dst_sel:DWORD dst_unused:UNUSED_PAD src0_sel:DWORD src1_sel:WORD_1
	v_bfe_u32 v6, v5, 19, 4
	v_sub_u32_e32 v7, 29, v7
	v_and_b32_e32 v8, 7, v8
	v_cmp_eq_u16_e32 vcc, 0, v4
	v_cndmask_b32_e32 v3, v3, v8, vcc
	v_cndmask_b32_e32 v4, v6, v7, vcc
	v_lshlrev_b32_e32 v6, 8, v5
	v_mov_b32_e32 v7, 0x3b800000
	v_lshlrev_b32_e32 v3, 20, v3
	v_and_b32_e32 v6, 0x80000000, v6
	v_lshl_add_u32 v4, v4, 23, v7
	v_or3_b32 v4, v6, v4, v3
.LBB5_760:
	s_or_b64 exec, exec, s[6:7]
	s_nop 0
	v_mfma_f32_16x16x4f32 a[0:3], v2, v4, a[0:3]
	s_movk_i32 s4, 0x7f
	v_cmp_gt_i16_sdwa s[6:7], v9, s4 src0_sel:BYTE_3 src1_sel:DWORD
	s_mov_b64 s[4:5], 0
                                        ; implicit-def: $sgpr10
	s_and_saveexec_b64 s[8:9], s[6:7]
	s_xor_b64 s[6:7], exec, s[8:9]
	s_cbranch_execnz .LBB5_2809
; %bb.761:
	s_or_saveexec_b64 s[6:7], s[6:7]
	v_mov_b32_e32 v2, s10
	s_xor_b64 exec, exec, s[6:7]
	s_cbranch_execnz .LBB5_2812
.LBB5_762:
	s_or_b64 exec, exec, s[6:7]
	s_and_saveexec_b64 s[6:7], s[4:5]
	s_cbranch_execz .LBB5_764
.LBB5_763:
	v_bfe_u32 v2, v9, 24, 3
	v_ffbh_u32_e32 v7, v2
	v_min_u32_e32 v7, 32, v7
	v_lshrrev_b32_e32 v4, 27, v9
	v_subrev_u32_e32 v8, 28, v7
	v_and_b32_e32 v4, 15, v4
	v_lshlrev_b32_sdwa v8, v8, v9 dst_sel:DWORD dst_unused:UNUSED_PAD src0_sel:DWORD src1_sel:BYTE_3
	v_bfe_u32 v6, v9, 27, 4
	v_sub_u32_e32 v7, 29, v7
	v_and_b32_e32 v8, 7, v8
	v_cmp_eq_u16_e32 vcc, 0, v4
	v_cndmask_b32_e32 v2, v2, v8, vcc
	v_cndmask_b32_e32 v4, v6, v7, vcc
	v_mov_b32_e32 v6, 0x3b800000
	v_and_b32_e32 v3, 0x80000000, v9
	v_lshlrev_b32_e32 v2, 20, v2
	v_lshl_add_u32 v4, v4, 23, v6
	v_or3_b32 v2, v3, v4, v2
.LBB5_764:
	s_or_b64 exec, exec, s[6:7]
	s_movk_i32 s4, 0x7f
	v_cmp_gt_i16_sdwa s[6:7], v5, s4 src0_sel:BYTE_3 src1_sel:DWORD
	s_mov_b64 s[4:5], 0
                                        ; implicit-def: $sgpr10
	s_and_saveexec_b64 s[8:9], s[6:7]
	s_xor_b64 s[6:7], exec, s[8:9]
	s_cbranch_execnz .LBB5_2813
; %bb.765:
	s_or_saveexec_b64 s[6:7], s[6:7]
	v_mov_b32_e32 v3, s10
	s_xor_b64 exec, exec, s[6:7]
	s_cbranch_execnz .LBB5_2816
.LBB5_766:
	s_or_b64 exec, exec, s[6:7]
	s_and_saveexec_b64 s[6:7], s[4:5]
	s_cbranch_execz .LBB5_768
.LBB5_767:
	v_bfe_u32 v3, v5, 24, 3
	v_ffbh_u32_e32 v8, v3
	v_min_u32_e32 v8, 32, v8
	v_lshrrev_b32_e32 v6, 27, v5
	v_subrev_u32_e32 v9, 28, v8
	v_and_b32_e32 v4, 0x80000000, v5
	v_and_b32_e32 v6, 15, v6
	v_bfe_u32 v7, v5, 27, 4
	v_lshlrev_b32_sdwa v5, v9, v5 dst_sel:DWORD dst_unused:UNUSED_PAD src0_sel:DWORD src1_sel:BYTE_3
	v_sub_u32_e32 v8, 29, v8
	v_and_b32_e32 v5, 7, v5
	v_cmp_eq_u16_e32 vcc, 0, v6
	v_cndmask_b32_e32 v3, v3, v5, vcc
	v_cndmask_b32_e32 v5, v7, v8, vcc
	v_mov_b32_e32 v6, 0x3b800000
	v_lshlrev_b32_e32 v3, 20, v3
	v_lshl_add_u32 v5, v5, 23, v6
	v_or3_b32 v3, v4, v5, v3
.LBB5_768:
	s_or_b64 exec, exec, s[6:7]
	s_nop 0
	v_mfma_f32_16x16x4f32 a[0:3], v2, v3, a[0:3]
	s_movk_i32 s4, 0x7f
                                        ; implicit-def: $sgpr10
	s_nop 7
	s_nop 1
	flat_store_dwordx4 v[18:19], a[0:3] offset:416
	flat_load_dwordx4 v[20:23], v[0:1] offset:16
	s_nop 0
	flat_load_dwordx2 v[18:19], v[0:1] offset:32
	s_waitcnt vmcnt(0) lgkmcnt(0)
	flat_load_dwordx4 v[14:17], v[20:21] offset:32
	flat_load_dwordx4 v[6:9], v[20:21] offset:48
	;; [unrolled: 1-line block ×4, first 2 shown]
	s_waitcnt vmcnt(0) lgkmcnt(0)
	v_cmp_gt_i16_sdwa s[6:7], v14, s4 src0_sel:BYTE_0 src1_sel:DWORD
	s_mov_b64 s[4:5], 0
	s_and_saveexec_b64 s[8:9], s[6:7]
	s_xor_b64 s[6:7], exec, s[8:9]
	s_cbranch_execnz .LBB5_2817
; %bb.769:
	s_or_saveexec_b64 s[6:7], s[6:7]
	v_mov_b32_e32 v20, s10
	s_xor_b64 exec, exec, s[6:7]
	s_cbranch_execnz .LBB5_2820
.LBB5_770:
	s_or_b64 exec, exec, s[6:7]
	s_and_saveexec_b64 s[6:7], s[4:5]
	s_cbranch_execz .LBB5_772
.LBB5_771:
	v_and_b32_e32 v20, 7, v14
	v_ffbh_u32_e32 v22, v20
	v_min_u32_e32 v22, 32, v22
	v_lshrrev_b16_e32 v21, 3, v14
	v_subrev_u32_e32 v23, 28, v22
	v_and_b32_e32 v21, 15, v21
	v_lshlrev_b32_e32 v23, v23, v14
	v_sub_u32_e32 v22, 29, v22
	v_and_b32_e32 v23, 7, v23
	v_cmp_eq_u16_e32 vcc, 0, v21
	v_cndmask_b32_e32 v20, v20, v23, vcc
	v_cndmask_b32_e32 v21, v21, v22, vcc
	v_lshlrev_b32_e32 v22, 24, v14
	v_mov_b32_e32 v23, 0x3b800000
	v_lshlrev_b32_e32 v20, 20, v20
	v_and_b32_e32 v22, 0x80000000, v22
	v_lshl_add_u32 v21, v21, 23, v23
	v_or3_b32 v20, v22, v21, v20
.LBB5_772:
	s_or_b64 exec, exec, s[6:7]
	s_movk_i32 s4, 0x7f
	v_cmp_gt_i16_sdwa s[6:7], v10, s4 src0_sel:BYTE_0 src1_sel:DWORD
	s_mov_b64 s[4:5], 0
                                        ; implicit-def: $sgpr10
	s_and_saveexec_b64 s[8:9], s[6:7]
	s_xor_b64 s[6:7], exec, s[8:9]
	s_cbranch_execnz .LBB5_2821
; %bb.773:
	s_or_saveexec_b64 s[6:7], s[6:7]
	v_mov_b32_e32 v21, s10
	s_xor_b64 exec, exec, s[6:7]
	s_cbranch_execnz .LBB5_2824
.LBB5_774:
	s_or_b64 exec, exec, s[6:7]
	s_and_saveexec_b64 s[6:7], s[4:5]
	s_cbranch_execz .LBB5_776
.LBB5_775:
	v_and_b32_e32 v21, 7, v10
	v_ffbh_u32_e32 v23, v21
	v_min_u32_e32 v23, 32, v23
	v_lshrrev_b16_e32 v22, 3, v10
	v_subrev_u32_e32 v24, 28, v23
	v_and_b32_e32 v22, 15, v22
	v_lshlrev_b32_e32 v24, v24, v10
	v_sub_u32_e32 v23, 29, v23
	v_and_b32_e32 v24, 7, v24
	v_cmp_eq_u16_e32 vcc, 0, v22
	v_cndmask_b32_e32 v21, v21, v24, vcc
	v_cndmask_b32_e32 v22, v22, v23, vcc
	v_lshlrev_b32_e32 v23, 24, v10
	v_mov_b32_e32 v24, 0x3b800000
	v_lshlrev_b32_e32 v21, 20, v21
	v_and_b32_e32 v23, 0x80000000, v23
	v_lshl_add_u32 v22, v22, 23, v24
	v_or3_b32 v21, v23, v22, v21
.LBB5_776:
	s_or_b64 exec, exec, s[6:7]
	flat_load_dwordx4 a[0:3], v[18:19] offset:432
	s_movk_i32 s4, 0x7f
                                        ; implicit-def: $sgpr10
	s_waitcnt vmcnt(0) lgkmcnt(0)
	v_mfma_f32_16x16x4f32 a[0:3], v20, v21, a[0:3]
	v_lshrrev_b32_e32 v21, 8, v14
	v_cmp_gt_i16_sdwa s[6:7], v21, s4 src0_sel:BYTE_0 src1_sel:DWORD
	s_mov_b64 s[4:5], 0
	s_and_saveexec_b64 s[8:9], s[6:7]
	s_xor_b64 s[6:7], exec, s[8:9]
	s_cbranch_execnz .LBB5_2825
; %bb.777:
	s_or_saveexec_b64 s[6:7], s[6:7]
	v_mov_b32_e32 v20, s10
	s_xor_b64 exec, exec, s[6:7]
	s_cbranch_execnz .LBB5_2828
.LBB5_778:
	s_or_b64 exec, exec, s[6:7]
	s_and_saveexec_b64 s[6:7], s[4:5]
	s_cbranch_execz .LBB5_780
.LBB5_779:
	v_bfe_u32 v20, v14, 8, 3
	v_ffbh_u32_e32 v23, v20
	v_min_u32_e32 v23, 32, v23
	v_lshrrev_b16_e32 v22, 3, v21
	v_subrev_u32_e32 v24, 28, v23
	v_and_b32_e32 v22, 15, v22
	v_lshlrev_b32_e32 v21, v24, v21
	v_sub_u32_e32 v23, 29, v23
	v_and_b32_e32 v21, 7, v21
	v_cmp_eq_u16_e32 vcc, 0, v22
	v_cndmask_b32_e32 v20, v20, v21, vcc
	v_cndmask_b32_e32 v21, v22, v23, vcc
	v_lshlrev_b32_e32 v22, 16, v14
	v_mov_b32_e32 v23, 0x3b800000
	v_lshlrev_b32_e32 v20, 20, v20
	v_and_b32_e32 v22, 0x80000000, v22
	v_lshl_add_u32 v21, v21, 23, v23
	v_or3_b32 v20, v22, v21, v20
.LBB5_780:
	s_or_b64 exec, exec, s[6:7]
	v_lshrrev_b32_e32 v21, 8, v10
	s_movk_i32 s4, 0x7f
	v_cmp_gt_i16_sdwa s[6:7], v21, s4 src0_sel:BYTE_0 src1_sel:DWORD
	s_mov_b64 s[4:5], 0
                                        ; implicit-def: $sgpr10
	s_and_saveexec_b64 s[8:9], s[6:7]
	s_xor_b64 s[6:7], exec, s[8:9]
	s_cbranch_execnz .LBB5_2829
; %bb.781:
	s_or_saveexec_b64 s[6:7], s[6:7]
	v_mov_b32_e32 v22, s10
	s_xor_b64 exec, exec, s[6:7]
	s_cbranch_execnz .LBB5_2832
.LBB5_782:
	s_or_b64 exec, exec, s[6:7]
	s_and_saveexec_b64 s[6:7], s[4:5]
	s_cbranch_execz .LBB5_784
.LBB5_783:
	v_bfe_u32 v22, v10, 8, 3
	v_ffbh_u32_e32 v24, v22
	v_min_u32_e32 v24, 32, v24
	v_lshrrev_b16_e32 v23, 3, v21
	v_subrev_u32_e32 v25, 28, v24
	v_and_b32_e32 v23, 15, v23
	v_lshlrev_b32_e32 v21, v25, v21
	v_sub_u32_e32 v24, 29, v24
	v_and_b32_e32 v21, 7, v21
	v_cmp_eq_u16_e32 vcc, 0, v23
	v_cndmask_b32_e32 v21, v22, v21, vcc
	v_cndmask_b32_e32 v22, v23, v24, vcc
	v_lshlrev_b32_e32 v23, 16, v10
	v_mov_b32_e32 v24, 0x3b800000
	v_lshlrev_b32_e32 v21, 20, v21
	v_and_b32_e32 v23, 0x80000000, v23
	v_lshl_add_u32 v22, v22, 23, v24
	v_or3_b32 v22, v23, v22, v21
.LBB5_784:
	s_or_b64 exec, exec, s[6:7]
	s_nop 0
	v_mfma_f32_16x16x4f32 a[0:3], v20, v22, a[0:3]
	s_movk_i32 s4, 0xff
	v_and_b32_sdwa v21, v14, s4 dst_sel:DWORD dst_unused:UNUSED_PAD src0_sel:WORD_1 src1_sel:DWORD
	s_movk_i32 s4, 0x7f
	v_cmp_lt_i16_e32 vcc, s4, v21
	s_mov_b64 s[4:5], 0
                                        ; implicit-def: $sgpr10
	s_and_saveexec_b64 s[6:7], vcc
	s_xor_b64 s[6:7], exec, s[6:7]
	s_cbranch_execnz .LBB5_2833
; %bb.785:
	s_or_saveexec_b64 s[6:7], s[6:7]
	v_mov_b32_e32 v20, s10
	s_xor_b64 exec, exec, s[6:7]
	s_cbranch_execnz .LBB5_2836
.LBB5_786:
	s_or_b64 exec, exec, s[6:7]
	s_and_saveexec_b64 s[6:7], s[4:5]
	s_cbranch_execz .LBB5_788
.LBB5_787:
	v_bfe_u32 v20, v14, 16, 3
	v_ffbh_u32_e32 v23, v20
	v_min_u32_e32 v23, 32, v23
	v_lshrrev_b32_e32 v21, 19, v14
	v_subrev_u32_e32 v24, 28, v23
	v_and_b32_e32 v21, 15, v21
	v_lshlrev_b32_sdwa v24, v24, v14 dst_sel:DWORD dst_unused:UNUSED_PAD src0_sel:DWORD src1_sel:WORD_1
	v_bfe_u32 v22, v14, 19, 4
	v_sub_u32_e32 v23, 29, v23
	v_and_b32_e32 v24, 7, v24
	v_cmp_eq_u16_e32 vcc, 0, v21
	v_cndmask_b32_e32 v20, v20, v24, vcc
	v_cndmask_b32_e32 v21, v22, v23, vcc
	v_lshlrev_b32_e32 v22, 8, v14
	v_mov_b32_e32 v23, 0x3b800000
	v_lshlrev_b32_e32 v20, 20, v20
	v_and_b32_e32 v22, 0x80000000, v22
	v_lshl_add_u32 v21, v21, 23, v23
	v_or3_b32 v20, v22, v21, v20
.LBB5_788:
	s_or_b64 exec, exec, s[6:7]
	s_movk_i32 s4, 0xff
	v_and_b32_sdwa v21, v10, s4 dst_sel:DWORD dst_unused:UNUSED_PAD src0_sel:WORD_1 src1_sel:DWORD
	s_movk_i32 s4, 0x7f
	v_cmp_lt_i16_e32 vcc, s4, v21
	s_mov_b64 s[4:5], 0
                                        ; implicit-def: $sgpr10
	s_and_saveexec_b64 s[6:7], vcc
	s_xor_b64 s[6:7], exec, s[6:7]
	s_cbranch_execnz .LBB5_2837
; %bb.789:
	s_or_saveexec_b64 s[6:7], s[6:7]
	v_mov_b32_e32 v22, s10
	s_xor_b64 exec, exec, s[6:7]
	s_cbranch_execnz .LBB5_2840
.LBB5_790:
	s_or_b64 exec, exec, s[6:7]
	s_and_saveexec_b64 s[6:7], s[4:5]
	s_cbranch_execz .LBB5_792
.LBB5_791:
	v_bfe_u32 v21, v10, 16, 3
	v_ffbh_u32_e32 v24, v21
	v_min_u32_e32 v24, 32, v24
	v_lshrrev_b32_e32 v22, 19, v10
	v_subrev_u32_e32 v25, 28, v24
	v_and_b32_e32 v22, 15, v22
	v_lshlrev_b32_sdwa v25, v25, v10 dst_sel:DWORD dst_unused:UNUSED_PAD src0_sel:DWORD src1_sel:WORD_1
	v_bfe_u32 v23, v10, 19, 4
	v_sub_u32_e32 v24, 29, v24
	v_and_b32_e32 v25, 7, v25
	v_cmp_eq_u16_e32 vcc, 0, v22
	v_cndmask_b32_e32 v21, v21, v25, vcc
	v_cndmask_b32_e32 v22, v23, v24, vcc
	v_lshlrev_b32_e32 v23, 8, v10
	v_mov_b32_e32 v24, 0x3b800000
	v_lshlrev_b32_e32 v21, 20, v21
	v_and_b32_e32 v23, 0x80000000, v23
	v_lshl_add_u32 v22, v22, 23, v24
	v_or3_b32 v22, v23, v22, v21
.LBB5_792:
	s_or_b64 exec, exec, s[6:7]
	s_nop 0
	v_mfma_f32_16x16x4f32 a[0:3], v20, v22, a[0:3]
	s_movk_i32 s4, 0x7f
	v_cmp_gt_i16_sdwa s[6:7], v14, s4 src0_sel:BYTE_3 src1_sel:DWORD
	s_mov_b64 s[4:5], 0
                                        ; implicit-def: $sgpr10
	s_and_saveexec_b64 s[8:9], s[6:7]
	s_xor_b64 s[6:7], exec, s[8:9]
	s_cbranch_execnz .LBB5_2841
; %bb.793:
	s_or_saveexec_b64 s[6:7], s[6:7]
	v_mov_b32_e32 v20, s10
	s_xor_b64 exec, exec, s[6:7]
	s_cbranch_execnz .LBB5_2844
.LBB5_794:
	s_or_b64 exec, exec, s[6:7]
	s_and_saveexec_b64 s[6:7], s[4:5]
	s_cbranch_execz .LBB5_796
.LBB5_795:
	v_bfe_u32 v20, v14, 24, 3
	v_ffbh_u32_e32 v24, v20
	v_min_u32_e32 v24, 32, v24
	v_lshrrev_b32_e32 v22, 27, v14
	v_subrev_u32_e32 v25, 28, v24
	v_and_b32_e32 v21, 0x80000000, v14
	v_and_b32_e32 v22, 15, v22
	v_bfe_u32 v23, v14, 27, 4
	v_lshlrev_b32_sdwa v14, v25, v14 dst_sel:DWORD dst_unused:UNUSED_PAD src0_sel:DWORD src1_sel:BYTE_3
	v_sub_u32_e32 v24, 29, v24
	v_and_b32_e32 v14, 7, v14
	v_cmp_eq_u16_e32 vcc, 0, v22
	v_cndmask_b32_e32 v14, v20, v14, vcc
	v_cndmask_b32_e32 v20, v23, v24, vcc
	v_mov_b32_e32 v22, 0x3b800000
	v_lshlrev_b32_e32 v14, 20, v14
	v_lshl_add_u32 v20, v20, 23, v22
	v_or3_b32 v20, v21, v20, v14
.LBB5_796:
	s_or_b64 exec, exec, s[6:7]
	s_movk_i32 s4, 0x7f
	v_cmp_gt_i16_sdwa s[6:7], v10, s4 src0_sel:BYTE_3 src1_sel:DWORD
	s_mov_b64 s[4:5], 0
                                        ; implicit-def: $sgpr10
	s_and_saveexec_b64 s[8:9], s[6:7]
	s_xor_b64 s[6:7], exec, s[8:9]
	s_cbranch_execnz .LBB5_2845
; %bb.797:
	s_or_saveexec_b64 s[6:7], s[6:7]
	v_mov_b32_e32 v14, s10
	s_xor_b64 exec, exec, s[6:7]
	s_cbranch_execnz .LBB5_2848
.LBB5_798:
	s_or_b64 exec, exec, s[6:7]
	s_and_saveexec_b64 s[6:7], s[4:5]
	s_cbranch_execz .LBB5_800
.LBB5_799:
	v_bfe_u32 v14, v10, 24, 3
	v_ffbh_u32_e32 v24, v14
	v_min_u32_e32 v24, 32, v24
	v_lshrrev_b32_e32 v22, 27, v10
	v_subrev_u32_e32 v25, 28, v24
	v_and_b32_e32 v21, 0x80000000, v10
	v_and_b32_e32 v22, 15, v22
	v_bfe_u32 v23, v10, 27, 4
	v_lshlrev_b32_sdwa v10, v25, v10 dst_sel:DWORD dst_unused:UNUSED_PAD src0_sel:DWORD src1_sel:BYTE_3
	v_sub_u32_e32 v24, 29, v24
	v_and_b32_e32 v10, 7, v10
	v_cmp_eq_u16_e32 vcc, 0, v22
	v_cndmask_b32_e32 v10, v14, v10, vcc
	v_cndmask_b32_e32 v14, v23, v24, vcc
	v_mov_b32_e32 v22, 0x3b800000
	v_lshlrev_b32_e32 v10, 20, v10
	v_lshl_add_u32 v14, v14, 23, v22
	v_or3_b32 v14, v21, v14, v10
.LBB5_800:
	s_or_b64 exec, exec, s[6:7]
	s_nop 0
	v_mfma_f32_16x16x4f32 a[0:3], v20, v14, a[0:3]
	s_movk_i32 s4, 0x7f
	v_cmp_gt_i16_sdwa s[6:7], v15, s4 src0_sel:BYTE_0 src1_sel:DWORD
	s_mov_b64 s[4:5], 0
                                        ; implicit-def: $sgpr10
	s_and_saveexec_b64 s[8:9], s[6:7]
	s_xor_b64 s[6:7], exec, s[8:9]
	s_cbranch_execnz .LBB5_2849
; %bb.801:
	s_or_saveexec_b64 s[6:7], s[6:7]
	v_mov_b32_e32 v10, s10
	s_xor_b64 exec, exec, s[6:7]
	s_cbranch_execnz .LBB5_2852
.LBB5_802:
	s_or_b64 exec, exec, s[6:7]
	s_and_saveexec_b64 s[6:7], s[4:5]
	s_cbranch_execz .LBB5_804
.LBB5_803:
	v_and_b32_e32 v10, 7, v15
	v_ffbh_u32_e32 v20, v10
	v_min_u32_e32 v20, 32, v20
	v_lshrrev_b16_e32 v14, 3, v15
	v_subrev_u32_e32 v21, 28, v20
	v_and_b32_e32 v14, 15, v14
	v_lshlrev_b32_e32 v21, v21, v15
	v_sub_u32_e32 v20, 29, v20
	v_and_b32_e32 v21, 7, v21
	v_cmp_eq_u16_e32 vcc, 0, v14
	v_cndmask_b32_e32 v10, v10, v21, vcc
	v_cndmask_b32_e32 v14, v14, v20, vcc
	v_lshlrev_b32_e32 v20, 24, v15
	v_mov_b32_e32 v21, 0x3b800000
	v_lshlrev_b32_e32 v10, 20, v10
	v_and_b32_e32 v20, 0x80000000, v20
	v_lshl_add_u32 v14, v14, 23, v21
	v_or3_b32 v10, v20, v14, v10
.LBB5_804:
	s_or_b64 exec, exec, s[6:7]
	s_movk_i32 s4, 0x7f
	v_cmp_gt_i16_sdwa s[6:7], v11, s4 src0_sel:BYTE_0 src1_sel:DWORD
	s_mov_b64 s[4:5], 0
                                        ; implicit-def: $sgpr10
	s_and_saveexec_b64 s[8:9], s[6:7]
	s_xor_b64 s[6:7], exec, s[8:9]
	s_cbranch_execnz .LBB5_2853
; %bb.805:
	s_or_saveexec_b64 s[6:7], s[6:7]
	v_mov_b32_e32 v14, s10
	s_xor_b64 exec, exec, s[6:7]
	s_cbranch_execnz .LBB5_2856
.LBB5_806:
	s_or_b64 exec, exec, s[6:7]
	s_and_saveexec_b64 s[6:7], s[4:5]
	s_cbranch_execz .LBB5_808
.LBB5_807:
	v_and_b32_e32 v14, 7, v11
	v_ffbh_u32_e32 v21, v14
	v_min_u32_e32 v21, 32, v21
	v_lshrrev_b16_e32 v20, 3, v11
	v_subrev_u32_e32 v22, 28, v21
	v_and_b32_e32 v20, 15, v20
	v_lshlrev_b32_e32 v22, v22, v11
	v_sub_u32_e32 v21, 29, v21
	v_and_b32_e32 v22, 7, v22
	v_cmp_eq_u16_e32 vcc, 0, v20
	v_cndmask_b32_e32 v14, v14, v22, vcc
	v_cndmask_b32_e32 v20, v20, v21, vcc
	v_lshlrev_b32_e32 v21, 24, v11
	v_mov_b32_e32 v22, 0x3b800000
	v_lshlrev_b32_e32 v14, 20, v14
	v_and_b32_e32 v21, 0x80000000, v21
	v_lshl_add_u32 v20, v20, 23, v22
	v_or3_b32 v14, v21, v20, v14
.LBB5_808:
	s_or_b64 exec, exec, s[6:7]
	s_nop 0
	v_mfma_f32_16x16x4f32 a[0:3], v10, v14, a[0:3]
	v_lshrrev_b32_e32 v14, 8, v15
	s_movk_i32 s4, 0x7f
	v_cmp_gt_i16_sdwa s[6:7], v14, s4 src0_sel:BYTE_0 src1_sel:DWORD
	s_mov_b64 s[4:5], 0
                                        ; implicit-def: $sgpr10
	s_and_saveexec_b64 s[8:9], s[6:7]
	s_xor_b64 s[6:7], exec, s[8:9]
	s_cbranch_execnz .LBB5_2857
; %bb.809:
	s_or_saveexec_b64 s[6:7], s[6:7]
	v_mov_b32_e32 v10, s10
	s_xor_b64 exec, exec, s[6:7]
	s_cbranch_execnz .LBB5_2860
.LBB5_810:
	s_or_b64 exec, exec, s[6:7]
	s_and_saveexec_b64 s[6:7], s[4:5]
	s_cbranch_execz .LBB5_812
.LBB5_811:
	v_bfe_u32 v10, v15, 8, 3
	v_ffbh_u32_e32 v21, v10
	v_min_u32_e32 v21, 32, v21
	v_lshrrev_b16_e32 v20, 3, v14
	v_subrev_u32_e32 v22, 28, v21
	v_and_b32_e32 v20, 15, v20
	v_lshlrev_b32_e32 v14, v22, v14
	v_sub_u32_e32 v21, 29, v21
	v_and_b32_e32 v14, 7, v14
	v_cmp_eq_u16_e32 vcc, 0, v20
	v_cndmask_b32_e32 v10, v10, v14, vcc
	v_cndmask_b32_e32 v14, v20, v21, vcc
	v_lshlrev_b32_e32 v20, 16, v15
	v_mov_b32_e32 v21, 0x3b800000
	v_lshlrev_b32_e32 v10, 20, v10
	v_and_b32_e32 v20, 0x80000000, v20
	v_lshl_add_u32 v14, v14, 23, v21
	v_or3_b32 v10, v20, v14, v10
.LBB5_812:
	s_or_b64 exec, exec, s[6:7]
	v_lshrrev_b32_e32 v14, 8, v11
	s_movk_i32 s4, 0x7f
	v_cmp_gt_i16_sdwa s[6:7], v14, s4 src0_sel:BYTE_0 src1_sel:DWORD
	s_mov_b64 s[4:5], 0
                                        ; implicit-def: $sgpr10
	s_and_saveexec_b64 s[8:9], s[6:7]
	s_xor_b64 s[6:7], exec, s[8:9]
	s_cbranch_execnz .LBB5_2861
; %bb.813:
	s_or_saveexec_b64 s[6:7], s[6:7]
	v_mov_b32_e32 v20, s10
	s_xor_b64 exec, exec, s[6:7]
	s_cbranch_execnz .LBB5_2864
.LBB5_814:
	s_or_b64 exec, exec, s[6:7]
	s_and_saveexec_b64 s[6:7], s[4:5]
	s_cbranch_execz .LBB5_816
.LBB5_815:
	v_bfe_u32 v20, v11, 8, 3
	v_ffbh_u32_e32 v22, v20
	v_min_u32_e32 v22, 32, v22
	v_lshrrev_b16_e32 v21, 3, v14
	v_subrev_u32_e32 v23, 28, v22
	v_and_b32_e32 v21, 15, v21
	v_lshlrev_b32_e32 v14, v23, v14
	v_sub_u32_e32 v22, 29, v22
	v_and_b32_e32 v14, 7, v14
	v_cmp_eq_u16_e32 vcc, 0, v21
	v_cndmask_b32_e32 v14, v20, v14, vcc
	v_cndmask_b32_e32 v20, v21, v22, vcc
	v_lshlrev_b32_e32 v21, 16, v11
	v_mov_b32_e32 v22, 0x3b800000
	v_lshlrev_b32_e32 v14, 20, v14
	v_and_b32_e32 v21, 0x80000000, v21
	v_lshl_add_u32 v20, v20, 23, v22
	v_or3_b32 v20, v21, v20, v14
.LBB5_816:
	s_or_b64 exec, exec, s[6:7]
	s_nop 0
	v_mfma_f32_16x16x4f32 a[0:3], v10, v20, a[0:3]
	s_movk_i32 s4, 0xff
	v_and_b32_sdwa v14, v15, s4 dst_sel:DWORD dst_unused:UNUSED_PAD src0_sel:WORD_1 src1_sel:DWORD
	s_movk_i32 s4, 0x7f
	v_cmp_lt_i16_e32 vcc, s4, v14
	s_mov_b64 s[4:5], 0
                                        ; implicit-def: $sgpr10
	s_and_saveexec_b64 s[6:7], vcc
	s_xor_b64 s[6:7], exec, s[6:7]
	s_cbranch_execnz .LBB5_2865
; %bb.817:
	s_or_saveexec_b64 s[6:7], s[6:7]
	v_mov_b32_e32 v10, s10
	s_xor_b64 exec, exec, s[6:7]
	s_cbranch_execnz .LBB5_2868
.LBB5_818:
	s_or_b64 exec, exec, s[6:7]
	s_and_saveexec_b64 s[6:7], s[4:5]
	s_cbranch_execz .LBB5_820
.LBB5_819:
	v_bfe_u32 v10, v15, 16, 3
	v_ffbh_u32_e32 v21, v10
	v_min_u32_e32 v21, 32, v21
	v_lshrrev_b32_e32 v14, 19, v15
	v_subrev_u32_e32 v22, 28, v21
	v_and_b32_e32 v14, 15, v14
	v_lshlrev_b32_sdwa v22, v22, v15 dst_sel:DWORD dst_unused:UNUSED_PAD src0_sel:DWORD src1_sel:WORD_1
	v_bfe_u32 v20, v15, 19, 4
	v_sub_u32_e32 v21, 29, v21
	v_and_b32_e32 v22, 7, v22
	v_cmp_eq_u16_e32 vcc, 0, v14
	v_cndmask_b32_e32 v10, v10, v22, vcc
	v_cndmask_b32_e32 v14, v20, v21, vcc
	v_lshlrev_b32_e32 v20, 8, v15
	v_mov_b32_e32 v21, 0x3b800000
	v_lshlrev_b32_e32 v10, 20, v10
	v_and_b32_e32 v20, 0x80000000, v20
	v_lshl_add_u32 v14, v14, 23, v21
	v_or3_b32 v10, v20, v14, v10
.LBB5_820:
	s_or_b64 exec, exec, s[6:7]
	s_movk_i32 s4, 0xff
	v_and_b32_sdwa v14, v11, s4 dst_sel:DWORD dst_unused:UNUSED_PAD src0_sel:WORD_1 src1_sel:DWORD
	s_movk_i32 s4, 0x7f
	v_cmp_lt_i16_e32 vcc, s4, v14
	s_mov_b64 s[4:5], 0
                                        ; implicit-def: $sgpr10
	s_and_saveexec_b64 s[6:7], vcc
	s_xor_b64 s[6:7], exec, s[6:7]
	s_cbranch_execnz .LBB5_2869
; %bb.821:
	s_or_saveexec_b64 s[6:7], s[6:7]
	v_mov_b32_e32 v20, s10
	s_xor_b64 exec, exec, s[6:7]
	s_cbranch_execnz .LBB5_2872
.LBB5_822:
	s_or_b64 exec, exec, s[6:7]
	s_and_saveexec_b64 s[6:7], s[4:5]
	s_cbranch_execz .LBB5_824
.LBB5_823:
	v_bfe_u32 v14, v11, 16, 3
	v_ffbh_u32_e32 v22, v14
	v_min_u32_e32 v22, 32, v22
	v_lshrrev_b32_e32 v20, 19, v11
	v_subrev_u32_e32 v23, 28, v22
	v_and_b32_e32 v20, 15, v20
	v_lshlrev_b32_sdwa v23, v23, v11 dst_sel:DWORD dst_unused:UNUSED_PAD src0_sel:DWORD src1_sel:WORD_1
	v_bfe_u32 v21, v11, 19, 4
	v_sub_u32_e32 v22, 29, v22
	v_and_b32_e32 v23, 7, v23
	v_cmp_eq_u16_e32 vcc, 0, v20
	v_cndmask_b32_e32 v14, v14, v23, vcc
	v_cndmask_b32_e32 v20, v21, v22, vcc
	v_lshlrev_b32_e32 v21, 8, v11
	v_mov_b32_e32 v22, 0x3b800000
	v_lshlrev_b32_e32 v14, 20, v14
	v_and_b32_e32 v21, 0x80000000, v21
	v_lshl_add_u32 v20, v20, 23, v22
	v_or3_b32 v20, v21, v20, v14
.LBB5_824:
	s_or_b64 exec, exec, s[6:7]
	s_nop 0
	v_mfma_f32_16x16x4f32 a[0:3], v10, v20, a[0:3]
	s_movk_i32 s4, 0x7f
	v_cmp_gt_i16_sdwa s[6:7], v15, s4 src0_sel:BYTE_3 src1_sel:DWORD
	s_mov_b64 s[4:5], 0
                                        ; implicit-def: $sgpr10
	s_and_saveexec_b64 s[8:9], s[6:7]
	s_xor_b64 s[6:7], exec, s[8:9]
	s_cbranch_execnz .LBB5_2873
; %bb.825:
	s_or_saveexec_b64 s[6:7], s[6:7]
	v_mov_b32_e32 v10, s10
	s_xor_b64 exec, exec, s[6:7]
	s_cbranch_execnz .LBB5_2876
.LBB5_826:
	s_or_b64 exec, exec, s[6:7]
	s_and_saveexec_b64 s[6:7], s[4:5]
	s_cbranch_execz .LBB5_828
.LBB5_827:
	v_bfe_u32 v10, v15, 24, 3
	v_ffbh_u32_e32 v22, v10
	v_min_u32_e32 v22, 32, v22
	v_lshrrev_b32_e32 v20, 27, v15
	v_subrev_u32_e32 v23, 28, v22
	v_and_b32_e32 v14, 0x80000000, v15
	v_and_b32_e32 v20, 15, v20
	v_bfe_u32 v21, v15, 27, 4
	v_lshlrev_b32_sdwa v15, v23, v15 dst_sel:DWORD dst_unused:UNUSED_PAD src0_sel:DWORD src1_sel:BYTE_3
	v_sub_u32_e32 v22, 29, v22
	v_and_b32_e32 v15, 7, v15
	v_cmp_eq_u16_e32 vcc, 0, v20
	v_cndmask_b32_e32 v10, v10, v15, vcc
	v_cndmask_b32_e32 v15, v21, v22, vcc
	v_mov_b32_e32 v20, 0x3b800000
	v_lshlrev_b32_e32 v10, 20, v10
	v_lshl_add_u32 v15, v15, 23, v20
	v_or3_b32 v10, v14, v15, v10
.LBB5_828:
	s_or_b64 exec, exec, s[6:7]
	s_movk_i32 s4, 0x7f
	v_cmp_gt_i16_sdwa s[6:7], v11, s4 src0_sel:BYTE_3 src1_sel:DWORD
	s_mov_b64 s[4:5], 0
                                        ; implicit-def: $sgpr10
	s_and_saveexec_b64 s[8:9], s[6:7]
	s_xor_b64 s[6:7], exec, s[8:9]
	s_cbranch_execnz .LBB5_2877
; %bb.829:
	s_or_saveexec_b64 s[6:7], s[6:7]
	v_mov_b32_e32 v14, s10
	s_xor_b64 exec, exec, s[6:7]
	s_cbranch_execnz .LBB5_2880
.LBB5_830:
	s_or_b64 exec, exec, s[6:7]
	s_and_saveexec_b64 s[6:7], s[4:5]
	s_cbranch_execz .LBB5_832
.LBB5_831:
	v_bfe_u32 v14, v11, 24, 3
	v_ffbh_u32_e32 v22, v14
	v_min_u32_e32 v22, 32, v22
	v_lshrrev_b32_e32 v20, 27, v11
	v_subrev_u32_e32 v23, 28, v22
	v_and_b32_e32 v15, 0x80000000, v11
	v_and_b32_e32 v20, 15, v20
	v_bfe_u32 v21, v11, 27, 4
	v_lshlrev_b32_sdwa v11, v23, v11 dst_sel:DWORD dst_unused:UNUSED_PAD src0_sel:DWORD src1_sel:BYTE_3
	v_sub_u32_e32 v22, 29, v22
	v_and_b32_e32 v11, 7, v11
	v_cmp_eq_u16_e32 vcc, 0, v20
	v_cndmask_b32_e32 v11, v14, v11, vcc
	v_cndmask_b32_e32 v14, v21, v22, vcc
	v_mov_b32_e32 v20, 0x3b800000
	v_lshlrev_b32_e32 v11, 20, v11
	v_lshl_add_u32 v14, v14, 23, v20
	v_or3_b32 v14, v15, v14, v11
.LBB5_832:
	s_or_b64 exec, exec, s[6:7]
	s_nop 0
	v_mfma_f32_16x16x4f32 a[0:3], v10, v14, a[0:3]
	s_movk_i32 s4, 0x7f
	v_cmp_gt_i16_sdwa s[6:7], v16, s4 src0_sel:BYTE_0 src1_sel:DWORD
	s_mov_b64 s[4:5], 0
                                        ; implicit-def: $sgpr10
	s_and_saveexec_b64 s[8:9], s[6:7]
	s_xor_b64 s[6:7], exec, s[8:9]
	s_cbranch_execnz .LBB5_2881
; %bb.833:
	s_or_saveexec_b64 s[6:7], s[6:7]
	v_mov_b32_e32 v10, s10
	s_xor_b64 exec, exec, s[6:7]
	s_cbranch_execnz .LBB5_2884
.LBB5_834:
	s_or_b64 exec, exec, s[6:7]
	s_and_saveexec_b64 s[6:7], s[4:5]
	s_cbranch_execz .LBB5_836
.LBB5_835:
	v_and_b32_e32 v10, 7, v16
	v_ffbh_u32_e32 v14, v10
	v_min_u32_e32 v14, 32, v14
	v_lshrrev_b16_e32 v11, 3, v16
	v_subrev_u32_e32 v15, 28, v14
	v_and_b32_e32 v11, 15, v11
	v_lshlrev_b32_e32 v15, v15, v16
	v_sub_u32_e32 v14, 29, v14
	v_and_b32_e32 v15, 7, v15
	v_cmp_eq_u16_e32 vcc, 0, v11
	v_cndmask_b32_e32 v10, v10, v15, vcc
	v_cndmask_b32_e32 v11, v11, v14, vcc
	v_lshlrev_b32_e32 v14, 24, v16
	v_mov_b32_e32 v15, 0x3b800000
	v_lshlrev_b32_e32 v10, 20, v10
	v_and_b32_e32 v14, 0x80000000, v14
	v_lshl_add_u32 v11, v11, 23, v15
	v_or3_b32 v10, v14, v11, v10
.LBB5_836:
	s_or_b64 exec, exec, s[6:7]
	s_movk_i32 s4, 0x7f
	v_cmp_gt_i16_sdwa s[6:7], v12, s4 src0_sel:BYTE_0 src1_sel:DWORD
	s_mov_b64 s[4:5], 0
                                        ; implicit-def: $sgpr10
	s_and_saveexec_b64 s[8:9], s[6:7]
	s_xor_b64 s[6:7], exec, s[8:9]
	s_cbranch_execnz .LBB5_2885
; %bb.837:
	s_or_saveexec_b64 s[6:7], s[6:7]
	v_mov_b32_e32 v11, s10
	s_xor_b64 exec, exec, s[6:7]
	s_cbranch_execnz .LBB5_2888
.LBB5_838:
	s_or_b64 exec, exec, s[6:7]
	s_and_saveexec_b64 s[6:7], s[4:5]
	s_cbranch_execz .LBB5_840
.LBB5_839:
	v_and_b32_e32 v11, 7, v12
	v_ffbh_u32_e32 v15, v11
	v_min_u32_e32 v15, 32, v15
	v_lshrrev_b16_e32 v14, 3, v12
	v_subrev_u32_e32 v20, 28, v15
	v_and_b32_e32 v14, 15, v14
	v_lshlrev_b32_e32 v20, v20, v12
	v_sub_u32_e32 v15, 29, v15
	v_and_b32_e32 v20, 7, v20
	v_cmp_eq_u16_e32 vcc, 0, v14
	v_cndmask_b32_e32 v11, v11, v20, vcc
	v_cndmask_b32_e32 v14, v14, v15, vcc
	v_lshlrev_b32_e32 v15, 24, v12
	v_mov_b32_e32 v20, 0x3b800000
	v_lshlrev_b32_e32 v11, 20, v11
	v_and_b32_e32 v15, 0x80000000, v15
	v_lshl_add_u32 v14, v14, 23, v20
	v_or3_b32 v11, v15, v14, v11
.LBB5_840:
	s_or_b64 exec, exec, s[6:7]
	s_nop 0
	v_mfma_f32_16x16x4f32 a[0:3], v10, v11, a[0:3]
	v_lshrrev_b32_e32 v11, 8, v16
	s_movk_i32 s4, 0x7f
	v_cmp_gt_i16_sdwa s[6:7], v11, s4 src0_sel:BYTE_0 src1_sel:DWORD
	s_mov_b64 s[4:5], 0
                                        ; implicit-def: $sgpr10
	s_and_saveexec_b64 s[8:9], s[6:7]
	s_xor_b64 s[6:7], exec, s[8:9]
	s_cbranch_execnz .LBB5_2889
; %bb.841:
	s_or_saveexec_b64 s[6:7], s[6:7]
	v_mov_b32_e32 v10, s10
	s_xor_b64 exec, exec, s[6:7]
	s_cbranch_execnz .LBB5_2892
.LBB5_842:
	s_or_b64 exec, exec, s[6:7]
	s_and_saveexec_b64 s[6:7], s[4:5]
	s_cbranch_execz .LBB5_844
.LBB5_843:
	v_bfe_u32 v10, v16, 8, 3
	v_ffbh_u32_e32 v15, v10
	v_min_u32_e32 v15, 32, v15
	v_lshrrev_b16_e32 v14, 3, v11
	v_subrev_u32_e32 v20, 28, v15
	v_and_b32_e32 v14, 15, v14
	v_lshlrev_b32_e32 v11, v20, v11
	v_sub_u32_e32 v15, 29, v15
	v_and_b32_e32 v11, 7, v11
	v_cmp_eq_u16_e32 vcc, 0, v14
	v_cndmask_b32_e32 v10, v10, v11, vcc
	v_cndmask_b32_e32 v11, v14, v15, vcc
	v_lshlrev_b32_e32 v14, 16, v16
	v_mov_b32_e32 v15, 0x3b800000
	v_lshlrev_b32_e32 v10, 20, v10
	v_and_b32_e32 v14, 0x80000000, v14
	v_lshl_add_u32 v11, v11, 23, v15
	v_or3_b32 v10, v14, v11, v10
.LBB5_844:
	s_or_b64 exec, exec, s[6:7]
	v_lshrrev_b32_e32 v11, 8, v12
	s_movk_i32 s4, 0x7f
	v_cmp_gt_i16_sdwa s[6:7], v11, s4 src0_sel:BYTE_0 src1_sel:DWORD
	s_mov_b64 s[4:5], 0
                                        ; implicit-def: $sgpr10
	s_and_saveexec_b64 s[8:9], s[6:7]
	s_xor_b64 s[6:7], exec, s[8:9]
	s_cbranch_execnz .LBB5_2893
; %bb.845:
	s_or_saveexec_b64 s[6:7], s[6:7]
	v_mov_b32_e32 v14, s10
	s_xor_b64 exec, exec, s[6:7]
	s_cbranch_execnz .LBB5_2896
.LBB5_846:
	s_or_b64 exec, exec, s[6:7]
	s_and_saveexec_b64 s[6:7], s[4:5]
	s_cbranch_execz .LBB5_848
.LBB5_847:
	v_bfe_u32 v14, v12, 8, 3
	v_ffbh_u32_e32 v20, v14
	v_min_u32_e32 v20, 32, v20
	v_lshrrev_b16_e32 v15, 3, v11
	v_subrev_u32_e32 v21, 28, v20
	v_and_b32_e32 v15, 15, v15
	v_lshlrev_b32_e32 v11, v21, v11
	v_sub_u32_e32 v20, 29, v20
	v_and_b32_e32 v11, 7, v11
	v_cmp_eq_u16_e32 vcc, 0, v15
	v_cndmask_b32_e32 v11, v14, v11, vcc
	v_cndmask_b32_e32 v14, v15, v20, vcc
	v_lshlrev_b32_e32 v15, 16, v12
	v_mov_b32_e32 v20, 0x3b800000
	v_lshlrev_b32_e32 v11, 20, v11
	v_and_b32_e32 v15, 0x80000000, v15
	v_lshl_add_u32 v14, v14, 23, v20
	v_or3_b32 v14, v15, v14, v11
.LBB5_848:
	s_or_b64 exec, exec, s[6:7]
	s_nop 0
	v_mfma_f32_16x16x4f32 a[0:3], v10, v14, a[0:3]
	s_movk_i32 s4, 0xff
	v_and_b32_sdwa v11, v16, s4 dst_sel:DWORD dst_unused:UNUSED_PAD src0_sel:WORD_1 src1_sel:DWORD
	s_movk_i32 s4, 0x7f
	v_cmp_lt_i16_e32 vcc, s4, v11
	s_mov_b64 s[4:5], 0
                                        ; implicit-def: $sgpr10
	s_and_saveexec_b64 s[6:7], vcc
	s_xor_b64 s[6:7], exec, s[6:7]
	s_cbranch_execnz .LBB5_2897
; %bb.849:
	s_or_saveexec_b64 s[6:7], s[6:7]
	v_mov_b32_e32 v10, s10
	s_xor_b64 exec, exec, s[6:7]
	s_cbranch_execnz .LBB5_2900
.LBB5_850:
	s_or_b64 exec, exec, s[6:7]
	s_and_saveexec_b64 s[6:7], s[4:5]
	s_cbranch_execz .LBB5_852
.LBB5_851:
	v_bfe_u32 v10, v16, 16, 3
	v_ffbh_u32_e32 v15, v10
	v_min_u32_e32 v15, 32, v15
	v_lshrrev_b32_e32 v11, 19, v16
	v_subrev_u32_e32 v20, 28, v15
	v_and_b32_e32 v11, 15, v11
	v_lshlrev_b32_sdwa v20, v20, v16 dst_sel:DWORD dst_unused:UNUSED_PAD src0_sel:DWORD src1_sel:WORD_1
	v_bfe_u32 v14, v16, 19, 4
	v_sub_u32_e32 v15, 29, v15
	v_and_b32_e32 v20, 7, v20
	v_cmp_eq_u16_e32 vcc, 0, v11
	v_cndmask_b32_e32 v10, v10, v20, vcc
	v_cndmask_b32_e32 v11, v14, v15, vcc
	v_lshlrev_b32_e32 v14, 8, v16
	v_mov_b32_e32 v15, 0x3b800000
	v_lshlrev_b32_e32 v10, 20, v10
	v_and_b32_e32 v14, 0x80000000, v14
	v_lshl_add_u32 v11, v11, 23, v15
	v_or3_b32 v10, v14, v11, v10
.LBB5_852:
	s_or_b64 exec, exec, s[6:7]
	s_movk_i32 s4, 0xff
	v_and_b32_sdwa v11, v12, s4 dst_sel:DWORD dst_unused:UNUSED_PAD src0_sel:WORD_1 src1_sel:DWORD
	s_movk_i32 s4, 0x7f
	v_cmp_lt_i16_e32 vcc, s4, v11
	s_mov_b64 s[4:5], 0
                                        ; implicit-def: $sgpr10
	s_and_saveexec_b64 s[6:7], vcc
	s_xor_b64 s[6:7], exec, s[6:7]
	s_cbranch_execnz .LBB5_2901
; %bb.853:
	s_or_saveexec_b64 s[6:7], s[6:7]
	v_mov_b32_e32 v14, s10
	s_xor_b64 exec, exec, s[6:7]
	s_cbranch_execnz .LBB5_2904
.LBB5_854:
	s_or_b64 exec, exec, s[6:7]
	s_and_saveexec_b64 s[6:7], s[4:5]
	s_cbranch_execz .LBB5_856
.LBB5_855:
	v_bfe_u32 v11, v12, 16, 3
	v_ffbh_u32_e32 v20, v11
	v_min_u32_e32 v20, 32, v20
	v_lshrrev_b32_e32 v14, 19, v12
	v_subrev_u32_e32 v21, 28, v20
	v_and_b32_e32 v14, 15, v14
	v_lshlrev_b32_sdwa v21, v21, v12 dst_sel:DWORD dst_unused:UNUSED_PAD src0_sel:DWORD src1_sel:WORD_1
	v_bfe_u32 v15, v12, 19, 4
	v_sub_u32_e32 v20, 29, v20
	v_and_b32_e32 v21, 7, v21
	v_cmp_eq_u16_e32 vcc, 0, v14
	v_cndmask_b32_e32 v11, v11, v21, vcc
	v_cndmask_b32_e32 v14, v15, v20, vcc
	v_lshlrev_b32_e32 v15, 8, v12
	v_mov_b32_e32 v20, 0x3b800000
	v_lshlrev_b32_e32 v11, 20, v11
	v_and_b32_e32 v15, 0x80000000, v15
	v_lshl_add_u32 v14, v14, 23, v20
	v_or3_b32 v14, v15, v14, v11
.LBB5_856:
	s_or_b64 exec, exec, s[6:7]
	s_nop 0
	v_mfma_f32_16x16x4f32 a[0:3], v10, v14, a[0:3]
	s_movk_i32 s4, 0x7f
	v_cmp_gt_i16_sdwa s[6:7], v16, s4 src0_sel:BYTE_3 src1_sel:DWORD
	s_mov_b64 s[4:5], 0
                                        ; implicit-def: $sgpr10
	s_and_saveexec_b64 s[8:9], s[6:7]
	s_xor_b64 s[6:7], exec, s[8:9]
	s_cbranch_execnz .LBB5_2905
; %bb.857:
	s_or_saveexec_b64 s[6:7], s[6:7]
	v_mov_b32_e32 v10, s10
	s_xor_b64 exec, exec, s[6:7]
	s_cbranch_execnz .LBB5_2908
.LBB5_858:
	s_or_b64 exec, exec, s[6:7]
	s_and_saveexec_b64 s[6:7], s[4:5]
	s_cbranch_execz .LBB5_860
.LBB5_859:
	v_bfe_u32 v10, v16, 24, 3
	v_ffbh_u32_e32 v20, v10
	v_min_u32_e32 v20, 32, v20
	v_lshrrev_b32_e32 v14, 27, v16
	v_subrev_u32_e32 v21, 28, v20
	v_and_b32_e32 v11, 0x80000000, v16
	v_and_b32_e32 v14, 15, v14
	v_bfe_u32 v15, v16, 27, 4
	v_lshlrev_b32_sdwa v16, v21, v16 dst_sel:DWORD dst_unused:UNUSED_PAD src0_sel:DWORD src1_sel:BYTE_3
	v_sub_u32_e32 v20, 29, v20
	v_and_b32_e32 v16, 7, v16
	v_cmp_eq_u16_e32 vcc, 0, v14
	v_cndmask_b32_e32 v10, v10, v16, vcc
	v_cndmask_b32_e32 v14, v15, v20, vcc
	v_mov_b32_e32 v15, 0x3b800000
	v_lshlrev_b32_e32 v10, 20, v10
	v_lshl_add_u32 v14, v14, 23, v15
	v_or3_b32 v10, v11, v14, v10
.LBB5_860:
	s_or_b64 exec, exec, s[6:7]
	s_movk_i32 s4, 0x7f
	v_cmp_gt_i16_sdwa s[6:7], v12, s4 src0_sel:BYTE_3 src1_sel:DWORD
	s_mov_b64 s[4:5], 0
                                        ; implicit-def: $sgpr10
	s_and_saveexec_b64 s[8:9], s[6:7]
	s_xor_b64 s[6:7], exec, s[8:9]
	s_cbranch_execnz .LBB5_2909
; %bb.861:
	s_or_saveexec_b64 s[6:7], s[6:7]
	v_mov_b32_e32 v11, s10
	s_xor_b64 exec, exec, s[6:7]
	s_cbranch_execnz .LBB5_2912
.LBB5_862:
	s_or_b64 exec, exec, s[6:7]
	s_and_saveexec_b64 s[6:7], s[4:5]
	s_cbranch_execz .LBB5_864
.LBB5_863:
	v_bfe_u32 v11, v12, 24, 3
	v_ffbh_u32_e32 v20, v11
	v_min_u32_e32 v20, 32, v20
	v_lshrrev_b32_e32 v15, 27, v12
	v_subrev_u32_e32 v21, 28, v20
	v_and_b32_e32 v14, 0x80000000, v12
	v_and_b32_e32 v15, 15, v15
	v_bfe_u32 v16, v12, 27, 4
	v_lshlrev_b32_sdwa v12, v21, v12 dst_sel:DWORD dst_unused:UNUSED_PAD src0_sel:DWORD src1_sel:BYTE_3
	v_sub_u32_e32 v20, 29, v20
	v_and_b32_e32 v12, 7, v12
	v_cmp_eq_u16_e32 vcc, 0, v15
	v_cndmask_b32_e32 v11, v11, v12, vcc
	v_cndmask_b32_e32 v12, v16, v20, vcc
	v_mov_b32_e32 v15, 0x3b800000
	v_lshlrev_b32_e32 v11, 20, v11
	v_lshl_add_u32 v12, v12, 23, v15
	v_or3_b32 v11, v14, v12, v11
.LBB5_864:
	s_or_b64 exec, exec, s[6:7]
	s_nop 0
	v_mfma_f32_16x16x4f32 a[0:3], v10, v11, a[0:3]
	s_movk_i32 s4, 0x7f
	v_cmp_gt_i16_sdwa s[6:7], v17, s4 src0_sel:BYTE_0 src1_sel:DWORD
	s_mov_b64 s[4:5], 0
                                        ; implicit-def: $sgpr10
	s_and_saveexec_b64 s[8:9], s[6:7]
	s_xor_b64 s[6:7], exec, s[8:9]
	s_cbranch_execnz .LBB5_2913
; %bb.865:
	s_or_saveexec_b64 s[6:7], s[6:7]
	v_mov_b32_e32 v10, s10
	s_xor_b64 exec, exec, s[6:7]
	s_cbranch_execnz .LBB5_2916
.LBB5_866:
	s_or_b64 exec, exec, s[6:7]
	s_and_saveexec_b64 s[6:7], s[4:5]
	s_cbranch_execz .LBB5_868
.LBB5_867:
	v_and_b32_e32 v10, 7, v17
	v_ffbh_u32_e32 v12, v10
	v_min_u32_e32 v12, 32, v12
	v_lshrrev_b16_e32 v11, 3, v17
	v_subrev_u32_e32 v14, 28, v12
	v_and_b32_e32 v11, 15, v11
	v_lshlrev_b32_e32 v14, v14, v17
	v_sub_u32_e32 v12, 29, v12
	v_and_b32_e32 v14, 7, v14
	v_cmp_eq_u16_e32 vcc, 0, v11
	v_cndmask_b32_e32 v10, v10, v14, vcc
	v_cndmask_b32_e32 v11, v11, v12, vcc
	v_lshlrev_b32_e32 v12, 24, v17
	v_mov_b32_e32 v14, 0x3b800000
	v_lshlrev_b32_e32 v10, 20, v10
	v_and_b32_e32 v12, 0x80000000, v12
	v_lshl_add_u32 v11, v11, 23, v14
	v_or3_b32 v10, v12, v11, v10
.LBB5_868:
	s_or_b64 exec, exec, s[6:7]
	s_movk_i32 s4, 0x7f
	v_cmp_gt_i16_sdwa s[6:7], v13, s4 src0_sel:BYTE_0 src1_sel:DWORD
	s_mov_b64 s[4:5], 0
                                        ; implicit-def: $sgpr10
	s_and_saveexec_b64 s[8:9], s[6:7]
	s_xor_b64 s[6:7], exec, s[8:9]
	s_cbranch_execnz .LBB5_2917
; %bb.869:
	s_or_saveexec_b64 s[6:7], s[6:7]
	v_mov_b32_e32 v11, s10
	s_xor_b64 exec, exec, s[6:7]
	s_cbranch_execnz .LBB5_2920
.LBB5_870:
	s_or_b64 exec, exec, s[6:7]
	s_and_saveexec_b64 s[6:7], s[4:5]
	s_cbranch_execz .LBB5_872
.LBB5_871:
	v_and_b32_e32 v11, 7, v13
	v_ffbh_u32_e32 v14, v11
	v_min_u32_e32 v14, 32, v14
	v_lshrrev_b16_e32 v12, 3, v13
	v_subrev_u32_e32 v15, 28, v14
	v_and_b32_e32 v12, 15, v12
	v_lshlrev_b32_e32 v15, v15, v13
	v_sub_u32_e32 v14, 29, v14
	v_and_b32_e32 v15, 7, v15
	v_cmp_eq_u16_e32 vcc, 0, v12
	v_cndmask_b32_e32 v11, v11, v15, vcc
	v_cndmask_b32_e32 v12, v12, v14, vcc
	v_lshlrev_b32_e32 v14, 24, v13
	v_mov_b32_e32 v15, 0x3b800000
	v_lshlrev_b32_e32 v11, 20, v11
	v_and_b32_e32 v14, 0x80000000, v14
	v_lshl_add_u32 v12, v12, 23, v15
	v_or3_b32 v11, v14, v12, v11
.LBB5_872:
	s_or_b64 exec, exec, s[6:7]
	s_nop 0
	v_mfma_f32_16x16x4f32 a[0:3], v10, v11, a[0:3]
	v_lshrrev_b32_e32 v11, 8, v17
	s_movk_i32 s4, 0x7f
	v_cmp_gt_i16_sdwa s[6:7], v11, s4 src0_sel:BYTE_0 src1_sel:DWORD
	s_mov_b64 s[4:5], 0
                                        ; implicit-def: $sgpr10
	s_and_saveexec_b64 s[8:9], s[6:7]
	s_xor_b64 s[6:7], exec, s[8:9]
	s_cbranch_execnz .LBB5_2921
; %bb.873:
	s_or_saveexec_b64 s[6:7], s[6:7]
	v_mov_b32_e32 v10, s10
	s_xor_b64 exec, exec, s[6:7]
	s_cbranch_execnz .LBB5_2924
.LBB5_874:
	s_or_b64 exec, exec, s[6:7]
	s_and_saveexec_b64 s[6:7], s[4:5]
	s_cbranch_execz .LBB5_876
.LBB5_875:
	v_bfe_u32 v10, v17, 8, 3
	v_ffbh_u32_e32 v14, v10
	v_min_u32_e32 v14, 32, v14
	v_lshrrev_b16_e32 v12, 3, v11
	v_subrev_u32_e32 v15, 28, v14
	v_and_b32_e32 v12, 15, v12
	v_lshlrev_b32_e32 v11, v15, v11
	v_sub_u32_e32 v14, 29, v14
	v_and_b32_e32 v11, 7, v11
	v_cmp_eq_u16_e32 vcc, 0, v12
	v_cndmask_b32_e32 v10, v10, v11, vcc
	v_cndmask_b32_e32 v11, v12, v14, vcc
	v_lshlrev_b32_e32 v12, 16, v17
	v_mov_b32_e32 v14, 0x3b800000
	v_lshlrev_b32_e32 v10, 20, v10
	v_and_b32_e32 v12, 0x80000000, v12
	v_lshl_add_u32 v11, v11, 23, v14
	v_or3_b32 v10, v12, v11, v10
.LBB5_876:
	s_or_b64 exec, exec, s[6:7]
	v_lshrrev_b32_e32 v11, 8, v13
	s_movk_i32 s4, 0x7f
	v_cmp_gt_i16_sdwa s[6:7], v11, s4 src0_sel:BYTE_0 src1_sel:DWORD
	s_mov_b64 s[4:5], 0
                                        ; implicit-def: $sgpr10
	s_and_saveexec_b64 s[8:9], s[6:7]
	s_xor_b64 s[6:7], exec, s[8:9]
	s_cbranch_execnz .LBB5_2925
; %bb.877:
	s_or_saveexec_b64 s[6:7], s[6:7]
	v_mov_b32_e32 v12, s10
	s_xor_b64 exec, exec, s[6:7]
	s_cbranch_execnz .LBB5_2928
.LBB5_878:
	s_or_b64 exec, exec, s[6:7]
	s_and_saveexec_b64 s[6:7], s[4:5]
	s_cbranch_execz .LBB5_880
.LBB5_879:
	v_bfe_u32 v12, v13, 8, 3
	v_ffbh_u32_e32 v15, v12
	v_min_u32_e32 v15, 32, v15
	v_lshrrev_b16_e32 v14, 3, v11
	v_subrev_u32_e32 v16, 28, v15
	v_and_b32_e32 v14, 15, v14
	v_lshlrev_b32_e32 v11, v16, v11
	v_sub_u32_e32 v15, 29, v15
	v_and_b32_e32 v11, 7, v11
	v_cmp_eq_u16_e32 vcc, 0, v14
	v_cndmask_b32_e32 v11, v12, v11, vcc
	v_cndmask_b32_e32 v12, v14, v15, vcc
	v_lshlrev_b32_e32 v14, 16, v13
	v_mov_b32_e32 v15, 0x3b800000
	v_lshlrev_b32_e32 v11, 20, v11
	v_and_b32_e32 v14, 0x80000000, v14
	v_lshl_add_u32 v12, v12, 23, v15
	v_or3_b32 v12, v14, v12, v11
.LBB5_880:
	s_or_b64 exec, exec, s[6:7]
	s_nop 0
	v_mfma_f32_16x16x4f32 a[0:3], v10, v12, a[0:3]
	s_movk_i32 s4, 0xff
	v_and_b32_sdwa v11, v17, s4 dst_sel:DWORD dst_unused:UNUSED_PAD src0_sel:WORD_1 src1_sel:DWORD
	s_movk_i32 s4, 0x7f
	v_cmp_lt_i16_e32 vcc, s4, v11
	s_mov_b64 s[4:5], 0
                                        ; implicit-def: $sgpr10
	s_and_saveexec_b64 s[6:7], vcc
	s_xor_b64 s[6:7], exec, s[6:7]
	s_cbranch_execnz .LBB5_2929
; %bb.881:
	s_or_saveexec_b64 s[6:7], s[6:7]
	v_mov_b32_e32 v10, s10
	s_xor_b64 exec, exec, s[6:7]
	s_cbranch_execnz .LBB5_2932
.LBB5_882:
	s_or_b64 exec, exec, s[6:7]
	s_and_saveexec_b64 s[6:7], s[4:5]
	s_cbranch_execz .LBB5_884
.LBB5_883:
	v_bfe_u32 v10, v17, 16, 3
	v_ffbh_u32_e32 v14, v10
	v_min_u32_e32 v14, 32, v14
	v_lshrrev_b32_e32 v11, 19, v17
	v_subrev_u32_e32 v15, 28, v14
	v_and_b32_e32 v11, 15, v11
	v_lshlrev_b32_sdwa v15, v15, v17 dst_sel:DWORD dst_unused:UNUSED_PAD src0_sel:DWORD src1_sel:WORD_1
	v_bfe_u32 v12, v17, 19, 4
	v_sub_u32_e32 v14, 29, v14
	v_and_b32_e32 v15, 7, v15
	v_cmp_eq_u16_e32 vcc, 0, v11
	v_cndmask_b32_e32 v10, v10, v15, vcc
	v_cndmask_b32_e32 v11, v12, v14, vcc
	v_lshlrev_b32_e32 v12, 8, v17
	v_mov_b32_e32 v14, 0x3b800000
	v_lshlrev_b32_e32 v10, 20, v10
	v_and_b32_e32 v12, 0x80000000, v12
	v_lshl_add_u32 v11, v11, 23, v14
	v_or3_b32 v10, v12, v11, v10
.LBB5_884:
	s_or_b64 exec, exec, s[6:7]
	s_movk_i32 s4, 0xff
	v_and_b32_sdwa v11, v13, s4 dst_sel:DWORD dst_unused:UNUSED_PAD src0_sel:WORD_1 src1_sel:DWORD
	s_movk_i32 s4, 0x7f
	v_cmp_lt_i16_e32 vcc, s4, v11
	s_mov_b64 s[4:5], 0
                                        ; implicit-def: $sgpr10
	s_and_saveexec_b64 s[6:7], vcc
	s_xor_b64 s[6:7], exec, s[6:7]
	s_cbranch_execnz .LBB5_2933
; %bb.885:
	s_or_saveexec_b64 s[6:7], s[6:7]
	v_mov_b32_e32 v12, s10
	s_xor_b64 exec, exec, s[6:7]
	s_cbranch_execnz .LBB5_2936
.LBB5_886:
	s_or_b64 exec, exec, s[6:7]
	s_and_saveexec_b64 s[6:7], s[4:5]
	s_cbranch_execz .LBB5_888
.LBB5_887:
	v_bfe_u32 v11, v13, 16, 3
	v_ffbh_u32_e32 v15, v11
	v_min_u32_e32 v15, 32, v15
	v_lshrrev_b32_e32 v12, 19, v13
	v_subrev_u32_e32 v16, 28, v15
	v_and_b32_e32 v12, 15, v12
	v_lshlrev_b32_sdwa v16, v16, v13 dst_sel:DWORD dst_unused:UNUSED_PAD src0_sel:DWORD src1_sel:WORD_1
	v_bfe_u32 v14, v13, 19, 4
	v_sub_u32_e32 v15, 29, v15
	v_and_b32_e32 v16, 7, v16
	v_cmp_eq_u16_e32 vcc, 0, v12
	v_cndmask_b32_e32 v11, v11, v16, vcc
	v_cndmask_b32_e32 v12, v14, v15, vcc
	v_lshlrev_b32_e32 v14, 8, v13
	v_mov_b32_e32 v15, 0x3b800000
	v_lshlrev_b32_e32 v11, 20, v11
	v_and_b32_e32 v14, 0x80000000, v14
	v_lshl_add_u32 v12, v12, 23, v15
	v_or3_b32 v12, v14, v12, v11
.LBB5_888:
	s_or_b64 exec, exec, s[6:7]
	s_nop 0
	v_mfma_f32_16x16x4f32 a[0:3], v10, v12, a[0:3]
	s_movk_i32 s4, 0x7f
	v_cmp_gt_i16_sdwa s[6:7], v17, s4 src0_sel:BYTE_3 src1_sel:DWORD
	s_mov_b64 s[4:5], 0
                                        ; implicit-def: $sgpr10
	s_and_saveexec_b64 s[8:9], s[6:7]
	s_xor_b64 s[6:7], exec, s[8:9]
	s_cbranch_execnz .LBB5_2937
; %bb.889:
	s_or_saveexec_b64 s[6:7], s[6:7]
	v_mov_b32_e32 v10, s10
	s_xor_b64 exec, exec, s[6:7]
	s_cbranch_execnz .LBB5_2940
.LBB5_890:
	s_or_b64 exec, exec, s[6:7]
	s_and_saveexec_b64 s[6:7], s[4:5]
	s_cbranch_execz .LBB5_892
.LBB5_891:
	v_bfe_u32 v10, v17, 24, 3
	v_ffbh_u32_e32 v15, v10
	v_min_u32_e32 v15, 32, v15
	v_lshrrev_b32_e32 v12, 27, v17
	v_subrev_u32_e32 v16, 28, v15
	v_and_b32_e32 v12, 15, v12
	v_lshlrev_b32_sdwa v16, v16, v17 dst_sel:DWORD dst_unused:UNUSED_PAD src0_sel:DWORD src1_sel:BYTE_3
	v_bfe_u32 v14, v17, 27, 4
	v_sub_u32_e32 v15, 29, v15
	v_and_b32_e32 v16, 7, v16
	v_cmp_eq_u16_e32 vcc, 0, v12
	v_cndmask_b32_e32 v10, v10, v16, vcc
	v_cndmask_b32_e32 v12, v14, v15, vcc
	v_mov_b32_e32 v14, 0x3b800000
	v_and_b32_e32 v11, 0x80000000, v17
	v_lshlrev_b32_e32 v10, 20, v10
	v_lshl_add_u32 v12, v12, 23, v14
	v_or3_b32 v10, v11, v12, v10
.LBB5_892:
	s_or_b64 exec, exec, s[6:7]
	s_movk_i32 s4, 0x7f
	v_cmp_gt_i16_sdwa s[6:7], v13, s4 src0_sel:BYTE_3 src1_sel:DWORD
	s_mov_b64 s[4:5], 0
                                        ; implicit-def: $sgpr10
	s_and_saveexec_b64 s[8:9], s[6:7]
	s_xor_b64 s[6:7], exec, s[8:9]
	s_cbranch_execnz .LBB5_2941
; %bb.893:
	s_or_saveexec_b64 s[6:7], s[6:7]
	v_mov_b32_e32 v11, s10
	s_xor_b64 exec, exec, s[6:7]
	s_cbranch_execnz .LBB5_2944
.LBB5_894:
	s_or_b64 exec, exec, s[6:7]
	s_and_saveexec_b64 s[6:7], s[4:5]
	s_cbranch_execz .LBB5_896
.LBB5_895:
	v_bfe_u32 v11, v13, 24, 3
	v_ffbh_u32_e32 v16, v11
	v_min_u32_e32 v16, 32, v16
	v_lshrrev_b32_e32 v14, 27, v13
	v_subrev_u32_e32 v17, 28, v16
	v_and_b32_e32 v12, 0x80000000, v13
	v_and_b32_e32 v14, 15, v14
	v_bfe_u32 v15, v13, 27, 4
	v_lshlrev_b32_sdwa v13, v17, v13 dst_sel:DWORD dst_unused:UNUSED_PAD src0_sel:DWORD src1_sel:BYTE_3
	v_sub_u32_e32 v16, 29, v16
	v_and_b32_e32 v13, 7, v13
	v_cmp_eq_u16_e32 vcc, 0, v14
	v_cndmask_b32_e32 v11, v11, v13, vcc
	v_cndmask_b32_e32 v13, v15, v16, vcc
	v_mov_b32_e32 v14, 0x3b800000
	v_lshlrev_b32_e32 v11, 20, v11
	v_lshl_add_u32 v13, v13, 23, v14
	v_or3_b32 v11, v12, v13, v11
.LBB5_896:
	s_or_b64 exec, exec, s[6:7]
	s_nop 0
	v_mfma_f32_16x16x4f32 a[0:3], v10, v11, a[0:3]
	s_movk_i32 s4, 0x7f
	v_cmp_gt_i16_sdwa s[6:7], v6, s4 src0_sel:BYTE_0 src1_sel:DWORD
	s_mov_b64 s[4:5], 0
                                        ; implicit-def: $sgpr10
	s_and_saveexec_b64 s[8:9], s[6:7]
	s_xor_b64 s[6:7], exec, s[8:9]
	s_cbranch_execnz .LBB5_2945
; %bb.897:
	s_or_saveexec_b64 s[6:7], s[6:7]
	v_mov_b32_e32 v10, s10
	s_xor_b64 exec, exec, s[6:7]
	s_cbranch_execnz .LBB5_2948
.LBB5_898:
	s_or_b64 exec, exec, s[6:7]
	s_and_saveexec_b64 s[6:7], s[4:5]
	s_cbranch_execz .LBB5_900
.LBB5_899:
	v_and_b32_e32 v10, 7, v6
	v_ffbh_u32_e32 v12, v10
	v_min_u32_e32 v12, 32, v12
	v_lshrrev_b16_e32 v11, 3, v6
	v_subrev_u32_e32 v13, 28, v12
	v_and_b32_e32 v11, 15, v11
	v_lshlrev_b32_e32 v13, v13, v6
	v_sub_u32_e32 v12, 29, v12
	v_and_b32_e32 v13, 7, v13
	v_cmp_eq_u16_e32 vcc, 0, v11
	v_cndmask_b32_e32 v10, v10, v13, vcc
	v_cndmask_b32_e32 v11, v11, v12, vcc
	v_lshlrev_b32_e32 v12, 24, v6
	v_mov_b32_e32 v13, 0x3b800000
	v_lshlrev_b32_e32 v10, 20, v10
	v_and_b32_e32 v12, 0x80000000, v12
	v_lshl_add_u32 v11, v11, 23, v13
	v_or3_b32 v10, v12, v11, v10
.LBB5_900:
	s_or_b64 exec, exec, s[6:7]
	s_movk_i32 s4, 0x7f
	v_cmp_gt_i16_sdwa s[6:7], v2, s4 src0_sel:BYTE_0 src1_sel:DWORD
	s_mov_b64 s[4:5], 0
                                        ; implicit-def: $sgpr10
	s_and_saveexec_b64 s[8:9], s[6:7]
	s_xor_b64 s[6:7], exec, s[8:9]
	s_cbranch_execnz .LBB5_2949
; %bb.901:
	s_or_saveexec_b64 s[6:7], s[6:7]
	v_mov_b32_e32 v11, s10
	s_xor_b64 exec, exec, s[6:7]
	s_cbranch_execnz .LBB5_2952
.LBB5_902:
	s_or_b64 exec, exec, s[6:7]
	s_and_saveexec_b64 s[6:7], s[4:5]
	s_cbranch_execz .LBB5_904
.LBB5_903:
	v_and_b32_e32 v11, 7, v2
	v_ffbh_u32_e32 v13, v11
	v_min_u32_e32 v13, 32, v13
	v_lshrrev_b16_e32 v12, 3, v2
	v_subrev_u32_e32 v14, 28, v13
	v_and_b32_e32 v12, 15, v12
	v_lshlrev_b32_e32 v14, v14, v2
	v_sub_u32_e32 v13, 29, v13
	v_and_b32_e32 v14, 7, v14
	v_cmp_eq_u16_e32 vcc, 0, v12
	v_cndmask_b32_e32 v11, v11, v14, vcc
	v_cndmask_b32_e32 v12, v12, v13, vcc
	v_lshlrev_b32_e32 v13, 24, v2
	v_mov_b32_e32 v14, 0x3b800000
	v_lshlrev_b32_e32 v11, 20, v11
	v_and_b32_e32 v13, 0x80000000, v13
	v_lshl_add_u32 v12, v12, 23, v14
	v_or3_b32 v11, v13, v12, v11
.LBB5_904:
	s_or_b64 exec, exec, s[6:7]
	s_nop 0
	v_mfma_f32_16x16x4f32 a[0:3], v10, v11, a[0:3]
	v_lshrrev_b32_e32 v11, 8, v6
	s_movk_i32 s4, 0x7f
	v_cmp_gt_i16_sdwa s[6:7], v11, s4 src0_sel:BYTE_0 src1_sel:DWORD
	s_mov_b64 s[4:5], 0
                                        ; implicit-def: $sgpr10
	s_and_saveexec_b64 s[8:9], s[6:7]
	s_xor_b64 s[6:7], exec, s[8:9]
	s_cbranch_execnz .LBB5_2953
; %bb.905:
	s_or_saveexec_b64 s[6:7], s[6:7]
	v_mov_b32_e32 v10, s10
	s_xor_b64 exec, exec, s[6:7]
	s_cbranch_execnz .LBB5_2956
.LBB5_906:
	s_or_b64 exec, exec, s[6:7]
	s_and_saveexec_b64 s[6:7], s[4:5]
	s_cbranch_execz .LBB5_908
.LBB5_907:
	v_bfe_u32 v10, v6, 8, 3
	v_ffbh_u32_e32 v13, v10
	v_min_u32_e32 v13, 32, v13
	v_lshrrev_b16_e32 v12, 3, v11
	v_subrev_u32_e32 v14, 28, v13
	v_and_b32_e32 v12, 15, v12
	v_lshlrev_b32_e32 v11, v14, v11
	v_sub_u32_e32 v13, 29, v13
	v_and_b32_e32 v11, 7, v11
	v_cmp_eq_u16_e32 vcc, 0, v12
	v_cndmask_b32_e32 v10, v10, v11, vcc
	v_cndmask_b32_e32 v11, v12, v13, vcc
	v_lshlrev_b32_e32 v12, 16, v6
	v_mov_b32_e32 v13, 0x3b800000
	v_lshlrev_b32_e32 v10, 20, v10
	v_and_b32_e32 v12, 0x80000000, v12
	v_lshl_add_u32 v11, v11, 23, v13
	v_or3_b32 v10, v12, v11, v10
.LBB5_908:
	s_or_b64 exec, exec, s[6:7]
	v_lshrrev_b32_e32 v11, 8, v2
	s_movk_i32 s4, 0x7f
	v_cmp_gt_i16_sdwa s[6:7], v11, s4 src0_sel:BYTE_0 src1_sel:DWORD
	s_mov_b64 s[4:5], 0
                                        ; implicit-def: $sgpr10
	s_and_saveexec_b64 s[8:9], s[6:7]
	s_xor_b64 s[6:7], exec, s[8:9]
	s_cbranch_execnz .LBB5_2957
; %bb.909:
	s_or_saveexec_b64 s[6:7], s[6:7]
	v_mov_b32_e32 v12, s10
	s_xor_b64 exec, exec, s[6:7]
	s_cbranch_execnz .LBB5_2960
.LBB5_910:
	s_or_b64 exec, exec, s[6:7]
	s_and_saveexec_b64 s[6:7], s[4:5]
	s_cbranch_execz .LBB5_912
.LBB5_911:
	v_bfe_u32 v12, v2, 8, 3
	v_ffbh_u32_e32 v14, v12
	v_min_u32_e32 v14, 32, v14
	v_lshrrev_b16_e32 v13, 3, v11
	v_subrev_u32_e32 v15, 28, v14
	v_and_b32_e32 v13, 15, v13
	v_lshlrev_b32_e32 v11, v15, v11
	v_sub_u32_e32 v14, 29, v14
	v_and_b32_e32 v11, 7, v11
	v_cmp_eq_u16_e32 vcc, 0, v13
	v_cndmask_b32_e32 v11, v12, v11, vcc
	v_cndmask_b32_e32 v12, v13, v14, vcc
	v_lshlrev_b32_e32 v13, 16, v2
	v_mov_b32_e32 v14, 0x3b800000
	v_lshlrev_b32_e32 v11, 20, v11
	v_and_b32_e32 v13, 0x80000000, v13
	v_lshl_add_u32 v12, v12, 23, v14
	v_or3_b32 v12, v13, v12, v11
.LBB5_912:
	s_or_b64 exec, exec, s[6:7]
	s_nop 0
	v_mfma_f32_16x16x4f32 a[0:3], v10, v12, a[0:3]
	s_movk_i32 s4, 0xff
	v_and_b32_sdwa v11, v6, s4 dst_sel:DWORD dst_unused:UNUSED_PAD src0_sel:WORD_1 src1_sel:DWORD
	s_movk_i32 s4, 0x7f
	v_cmp_lt_i16_e32 vcc, s4, v11
	s_mov_b64 s[4:5], 0
                                        ; implicit-def: $sgpr10
	s_and_saveexec_b64 s[6:7], vcc
	s_xor_b64 s[6:7], exec, s[6:7]
	s_cbranch_execnz .LBB5_2961
; %bb.913:
	s_or_saveexec_b64 s[6:7], s[6:7]
	v_mov_b32_e32 v10, s10
	s_xor_b64 exec, exec, s[6:7]
	s_cbranch_execnz .LBB5_2964
.LBB5_914:
	s_or_b64 exec, exec, s[6:7]
	s_and_saveexec_b64 s[6:7], s[4:5]
	s_cbranch_execz .LBB5_916
.LBB5_915:
	v_bfe_u32 v10, v6, 16, 3
	v_ffbh_u32_e32 v13, v10
	v_min_u32_e32 v13, 32, v13
	v_lshrrev_b32_e32 v11, 19, v6
	v_subrev_u32_e32 v14, 28, v13
	v_and_b32_e32 v11, 15, v11
	v_lshlrev_b32_sdwa v14, v14, v6 dst_sel:DWORD dst_unused:UNUSED_PAD src0_sel:DWORD src1_sel:WORD_1
	v_bfe_u32 v12, v6, 19, 4
	v_sub_u32_e32 v13, 29, v13
	v_and_b32_e32 v14, 7, v14
	v_cmp_eq_u16_e32 vcc, 0, v11
	v_cndmask_b32_e32 v10, v10, v14, vcc
	v_cndmask_b32_e32 v11, v12, v13, vcc
	v_lshlrev_b32_e32 v12, 8, v6
	v_mov_b32_e32 v13, 0x3b800000
	v_lshlrev_b32_e32 v10, 20, v10
	v_and_b32_e32 v12, 0x80000000, v12
	v_lshl_add_u32 v11, v11, 23, v13
	v_or3_b32 v10, v12, v11, v10
.LBB5_916:
	s_or_b64 exec, exec, s[6:7]
	s_movk_i32 s4, 0xff
	v_and_b32_sdwa v11, v2, s4 dst_sel:DWORD dst_unused:UNUSED_PAD src0_sel:WORD_1 src1_sel:DWORD
	s_movk_i32 s4, 0x7f
	v_cmp_lt_i16_e32 vcc, s4, v11
	s_mov_b64 s[4:5], 0
                                        ; implicit-def: $sgpr10
	s_and_saveexec_b64 s[6:7], vcc
	s_xor_b64 s[6:7], exec, s[6:7]
	s_cbranch_execnz .LBB5_2965
; %bb.917:
	s_or_saveexec_b64 s[6:7], s[6:7]
	v_mov_b32_e32 v12, s10
	s_xor_b64 exec, exec, s[6:7]
	s_cbranch_execnz .LBB5_2968
.LBB5_918:
	s_or_b64 exec, exec, s[6:7]
	s_and_saveexec_b64 s[6:7], s[4:5]
	s_cbranch_execz .LBB5_920
.LBB5_919:
	v_bfe_u32 v11, v2, 16, 3
	v_ffbh_u32_e32 v14, v11
	v_min_u32_e32 v14, 32, v14
	v_lshrrev_b32_e32 v12, 19, v2
	v_subrev_u32_e32 v15, 28, v14
	v_and_b32_e32 v12, 15, v12
	v_lshlrev_b32_sdwa v15, v15, v2 dst_sel:DWORD dst_unused:UNUSED_PAD src0_sel:DWORD src1_sel:WORD_1
	v_bfe_u32 v13, v2, 19, 4
	v_sub_u32_e32 v14, 29, v14
	v_and_b32_e32 v15, 7, v15
	v_cmp_eq_u16_e32 vcc, 0, v12
	v_cndmask_b32_e32 v11, v11, v15, vcc
	v_cndmask_b32_e32 v12, v13, v14, vcc
	v_lshlrev_b32_e32 v13, 8, v2
	v_mov_b32_e32 v14, 0x3b800000
	v_lshlrev_b32_e32 v11, 20, v11
	v_and_b32_e32 v13, 0x80000000, v13
	v_lshl_add_u32 v12, v12, 23, v14
	v_or3_b32 v12, v13, v12, v11
.LBB5_920:
	s_or_b64 exec, exec, s[6:7]
	s_nop 0
	v_mfma_f32_16x16x4f32 a[0:3], v10, v12, a[0:3]
	s_movk_i32 s4, 0x7f
	v_cmp_gt_i16_sdwa s[6:7], v6, s4 src0_sel:BYTE_3 src1_sel:DWORD
	s_mov_b64 s[4:5], 0
                                        ; implicit-def: $sgpr10
	s_and_saveexec_b64 s[8:9], s[6:7]
	s_xor_b64 s[6:7], exec, s[8:9]
	s_cbranch_execnz .LBB5_2969
; %bb.921:
	s_or_saveexec_b64 s[6:7], s[6:7]
	v_mov_b32_e32 v10, s10
	s_xor_b64 exec, exec, s[6:7]
	s_cbranch_execnz .LBB5_2972
.LBB5_922:
	s_or_b64 exec, exec, s[6:7]
	s_and_saveexec_b64 s[6:7], s[4:5]
	s_cbranch_execz .LBB5_924
.LBB5_923:
	v_bfe_u32 v10, v6, 24, 3
	v_ffbh_u32_e32 v14, v10
	v_min_u32_e32 v14, 32, v14
	v_lshrrev_b32_e32 v12, 27, v6
	v_subrev_u32_e32 v15, 28, v14
	v_and_b32_e32 v11, 0x80000000, v6
	v_and_b32_e32 v12, 15, v12
	v_bfe_u32 v13, v6, 27, 4
	v_lshlrev_b32_sdwa v6, v15, v6 dst_sel:DWORD dst_unused:UNUSED_PAD src0_sel:DWORD src1_sel:BYTE_3
	v_sub_u32_e32 v14, 29, v14
	v_and_b32_e32 v6, 7, v6
	v_cmp_eq_u16_e32 vcc, 0, v12
	v_cndmask_b32_e32 v6, v10, v6, vcc
	v_cndmask_b32_e32 v10, v13, v14, vcc
	v_mov_b32_e32 v12, 0x3b800000
	v_lshlrev_b32_e32 v6, 20, v6
	v_lshl_add_u32 v10, v10, 23, v12
	v_or3_b32 v10, v11, v10, v6
.LBB5_924:
	s_or_b64 exec, exec, s[6:7]
	s_movk_i32 s4, 0x7f
	v_cmp_gt_i16_sdwa s[6:7], v2, s4 src0_sel:BYTE_3 src1_sel:DWORD
	s_mov_b64 s[4:5], 0
                                        ; implicit-def: $sgpr10
	s_and_saveexec_b64 s[8:9], s[6:7]
	s_xor_b64 s[6:7], exec, s[8:9]
	s_cbranch_execnz .LBB5_2973
; %bb.925:
	s_or_saveexec_b64 s[6:7], s[6:7]
	v_mov_b32_e32 v6, s10
	s_xor_b64 exec, exec, s[6:7]
	s_cbranch_execnz .LBB5_2976
.LBB5_926:
	s_or_b64 exec, exec, s[6:7]
	s_and_saveexec_b64 s[6:7], s[4:5]
	s_cbranch_execz .LBB5_928
.LBB5_927:
	v_bfe_u32 v6, v2, 24, 3
	v_ffbh_u32_e32 v14, v6
	v_min_u32_e32 v14, 32, v14
	v_lshrrev_b32_e32 v12, 27, v2
	v_subrev_u32_e32 v15, 28, v14
	v_and_b32_e32 v11, 0x80000000, v2
	v_and_b32_e32 v12, 15, v12
	v_bfe_u32 v13, v2, 27, 4
	v_lshlrev_b32_sdwa v2, v15, v2 dst_sel:DWORD dst_unused:UNUSED_PAD src0_sel:DWORD src1_sel:BYTE_3
	v_sub_u32_e32 v14, 29, v14
	v_and_b32_e32 v2, 7, v2
	v_cmp_eq_u16_e32 vcc, 0, v12
	v_cndmask_b32_e32 v2, v6, v2, vcc
	v_cndmask_b32_e32 v6, v13, v14, vcc
	v_mov_b32_e32 v12, 0x3b800000
	v_lshlrev_b32_e32 v2, 20, v2
	v_lshl_add_u32 v6, v6, 23, v12
	v_or3_b32 v6, v11, v6, v2
.LBB5_928:
	s_or_b64 exec, exec, s[6:7]
	s_nop 0
	v_mfma_f32_16x16x4f32 a[0:3], v10, v6, a[0:3]
	s_movk_i32 s4, 0x7f
	v_cmp_gt_i16_sdwa s[6:7], v7, s4 src0_sel:BYTE_0 src1_sel:DWORD
	s_mov_b64 s[4:5], 0
                                        ; implicit-def: $sgpr10
	s_and_saveexec_b64 s[8:9], s[6:7]
	s_xor_b64 s[6:7], exec, s[8:9]
	s_cbranch_execnz .LBB5_2977
; %bb.929:
	s_or_saveexec_b64 s[6:7], s[6:7]
	v_mov_b32_e32 v2, s10
	s_xor_b64 exec, exec, s[6:7]
	s_cbranch_execnz .LBB5_2980
.LBB5_930:
	s_or_b64 exec, exec, s[6:7]
	s_and_saveexec_b64 s[6:7], s[4:5]
	s_cbranch_execz .LBB5_932
.LBB5_931:
	v_and_b32_e32 v2, 7, v7
	v_ffbh_u32_e32 v10, v2
	v_min_u32_e32 v10, 32, v10
	v_lshrrev_b16_e32 v6, 3, v7
	v_subrev_u32_e32 v11, 28, v10
	v_and_b32_e32 v6, 15, v6
	v_lshlrev_b32_e32 v11, v11, v7
	v_sub_u32_e32 v10, 29, v10
	v_and_b32_e32 v11, 7, v11
	v_cmp_eq_u16_e32 vcc, 0, v6
	v_cndmask_b32_e32 v2, v2, v11, vcc
	v_cndmask_b32_e32 v6, v6, v10, vcc
	v_lshlrev_b32_e32 v10, 24, v7
	v_mov_b32_e32 v11, 0x3b800000
	v_lshlrev_b32_e32 v2, 20, v2
	v_and_b32_e32 v10, 0x80000000, v10
	v_lshl_add_u32 v6, v6, 23, v11
	v_or3_b32 v2, v10, v6, v2
.LBB5_932:
	s_or_b64 exec, exec, s[6:7]
	s_movk_i32 s4, 0x7f
	v_cmp_gt_i16_sdwa s[6:7], v3, s4 src0_sel:BYTE_0 src1_sel:DWORD
	s_mov_b64 s[4:5], 0
                                        ; implicit-def: $sgpr10
	s_and_saveexec_b64 s[8:9], s[6:7]
	s_xor_b64 s[6:7], exec, s[8:9]
	s_cbranch_execnz .LBB5_2981
; %bb.933:
	s_or_saveexec_b64 s[6:7], s[6:7]
	v_mov_b32_e32 v6, s10
	s_xor_b64 exec, exec, s[6:7]
	s_cbranch_execnz .LBB5_2984
.LBB5_934:
	s_or_b64 exec, exec, s[6:7]
	s_and_saveexec_b64 s[6:7], s[4:5]
	s_cbranch_execz .LBB5_936
.LBB5_935:
	v_and_b32_e32 v6, 7, v3
	v_ffbh_u32_e32 v11, v6
	v_min_u32_e32 v11, 32, v11
	v_lshrrev_b16_e32 v10, 3, v3
	v_subrev_u32_e32 v12, 28, v11
	v_and_b32_e32 v10, 15, v10
	v_lshlrev_b32_e32 v12, v12, v3
	v_sub_u32_e32 v11, 29, v11
	v_and_b32_e32 v12, 7, v12
	v_cmp_eq_u16_e32 vcc, 0, v10
	v_cndmask_b32_e32 v6, v6, v12, vcc
	v_cndmask_b32_e32 v10, v10, v11, vcc
	v_lshlrev_b32_e32 v11, 24, v3
	v_mov_b32_e32 v12, 0x3b800000
	v_lshlrev_b32_e32 v6, 20, v6
	v_and_b32_e32 v11, 0x80000000, v11
	v_lshl_add_u32 v10, v10, 23, v12
	v_or3_b32 v6, v11, v10, v6
.LBB5_936:
	s_or_b64 exec, exec, s[6:7]
	s_nop 0
	v_mfma_f32_16x16x4f32 a[0:3], v2, v6, a[0:3]
	v_lshrrev_b32_e32 v6, 8, v7
	s_movk_i32 s4, 0x7f
	v_cmp_gt_i16_sdwa s[6:7], v6, s4 src0_sel:BYTE_0 src1_sel:DWORD
	s_mov_b64 s[4:5], 0
                                        ; implicit-def: $sgpr10
	s_and_saveexec_b64 s[8:9], s[6:7]
	s_xor_b64 s[6:7], exec, s[8:9]
	s_cbranch_execnz .LBB5_2985
; %bb.937:
	s_or_saveexec_b64 s[6:7], s[6:7]
	v_mov_b32_e32 v2, s10
	s_xor_b64 exec, exec, s[6:7]
	s_cbranch_execnz .LBB5_2988
.LBB5_938:
	s_or_b64 exec, exec, s[6:7]
	s_and_saveexec_b64 s[6:7], s[4:5]
	s_cbranch_execz .LBB5_940
.LBB5_939:
	v_bfe_u32 v2, v7, 8, 3
	v_ffbh_u32_e32 v11, v2
	v_min_u32_e32 v11, 32, v11
	v_lshrrev_b16_e32 v10, 3, v6
	v_subrev_u32_e32 v12, 28, v11
	v_and_b32_e32 v10, 15, v10
	v_lshlrev_b32_e32 v6, v12, v6
	v_sub_u32_e32 v11, 29, v11
	v_and_b32_e32 v6, 7, v6
	v_cmp_eq_u16_e32 vcc, 0, v10
	v_cndmask_b32_e32 v2, v2, v6, vcc
	v_cndmask_b32_e32 v6, v10, v11, vcc
	v_lshlrev_b32_e32 v10, 16, v7
	v_mov_b32_e32 v11, 0x3b800000
	v_lshlrev_b32_e32 v2, 20, v2
	v_and_b32_e32 v10, 0x80000000, v10
	v_lshl_add_u32 v6, v6, 23, v11
	v_or3_b32 v2, v10, v6, v2
.LBB5_940:
	s_or_b64 exec, exec, s[6:7]
	v_lshrrev_b32_e32 v6, 8, v3
	s_movk_i32 s4, 0x7f
	v_cmp_gt_i16_sdwa s[6:7], v6, s4 src0_sel:BYTE_0 src1_sel:DWORD
	s_mov_b64 s[4:5], 0
                                        ; implicit-def: $sgpr10
	s_and_saveexec_b64 s[8:9], s[6:7]
	s_xor_b64 s[6:7], exec, s[8:9]
	s_cbranch_execnz .LBB5_2989
; %bb.941:
	s_or_saveexec_b64 s[6:7], s[6:7]
	v_mov_b32_e32 v10, s10
	s_xor_b64 exec, exec, s[6:7]
	s_cbranch_execnz .LBB5_2992
.LBB5_942:
	s_or_b64 exec, exec, s[6:7]
	s_and_saveexec_b64 s[6:7], s[4:5]
	s_cbranch_execz .LBB5_944
.LBB5_943:
	v_bfe_u32 v10, v3, 8, 3
	v_ffbh_u32_e32 v12, v10
	v_min_u32_e32 v12, 32, v12
	v_lshrrev_b16_e32 v11, 3, v6
	v_subrev_u32_e32 v13, 28, v12
	v_and_b32_e32 v11, 15, v11
	v_lshlrev_b32_e32 v6, v13, v6
	v_sub_u32_e32 v12, 29, v12
	v_and_b32_e32 v6, 7, v6
	v_cmp_eq_u16_e32 vcc, 0, v11
	v_cndmask_b32_e32 v6, v10, v6, vcc
	v_cndmask_b32_e32 v10, v11, v12, vcc
	v_lshlrev_b32_e32 v11, 16, v3
	v_mov_b32_e32 v12, 0x3b800000
	v_lshlrev_b32_e32 v6, 20, v6
	v_and_b32_e32 v11, 0x80000000, v11
	v_lshl_add_u32 v10, v10, 23, v12
	v_or3_b32 v10, v11, v10, v6
.LBB5_944:
	s_or_b64 exec, exec, s[6:7]
	s_nop 0
	v_mfma_f32_16x16x4f32 a[0:3], v2, v10, a[0:3]
	s_movk_i32 s4, 0xff
	v_and_b32_sdwa v6, v7, s4 dst_sel:DWORD dst_unused:UNUSED_PAD src0_sel:WORD_1 src1_sel:DWORD
	s_movk_i32 s4, 0x7f
	v_cmp_lt_i16_e32 vcc, s4, v6
	s_mov_b64 s[4:5], 0
                                        ; implicit-def: $sgpr10
	s_and_saveexec_b64 s[6:7], vcc
	s_xor_b64 s[6:7], exec, s[6:7]
	s_cbranch_execnz .LBB5_2993
; %bb.945:
	s_or_saveexec_b64 s[6:7], s[6:7]
	v_mov_b32_e32 v2, s10
	s_xor_b64 exec, exec, s[6:7]
	s_cbranch_execnz .LBB5_2996
.LBB5_946:
	s_or_b64 exec, exec, s[6:7]
	s_and_saveexec_b64 s[6:7], s[4:5]
	s_cbranch_execz .LBB5_948
.LBB5_947:
	v_bfe_u32 v2, v7, 16, 3
	v_ffbh_u32_e32 v11, v2
	v_min_u32_e32 v11, 32, v11
	v_lshrrev_b32_e32 v6, 19, v7
	v_subrev_u32_e32 v12, 28, v11
	v_and_b32_e32 v6, 15, v6
	v_lshlrev_b32_sdwa v12, v12, v7 dst_sel:DWORD dst_unused:UNUSED_PAD src0_sel:DWORD src1_sel:WORD_1
	v_bfe_u32 v10, v7, 19, 4
	v_sub_u32_e32 v11, 29, v11
	v_and_b32_e32 v12, 7, v12
	v_cmp_eq_u16_e32 vcc, 0, v6
	v_cndmask_b32_e32 v2, v2, v12, vcc
	v_cndmask_b32_e32 v6, v10, v11, vcc
	v_lshlrev_b32_e32 v10, 8, v7
	v_mov_b32_e32 v11, 0x3b800000
	v_lshlrev_b32_e32 v2, 20, v2
	v_and_b32_e32 v10, 0x80000000, v10
	v_lshl_add_u32 v6, v6, 23, v11
	v_or3_b32 v2, v10, v6, v2
.LBB5_948:
	s_or_b64 exec, exec, s[6:7]
	s_movk_i32 s4, 0xff
	v_and_b32_sdwa v6, v3, s4 dst_sel:DWORD dst_unused:UNUSED_PAD src0_sel:WORD_1 src1_sel:DWORD
	s_movk_i32 s4, 0x7f
	v_cmp_lt_i16_e32 vcc, s4, v6
	s_mov_b64 s[4:5], 0
                                        ; implicit-def: $sgpr10
	s_and_saveexec_b64 s[6:7], vcc
	s_xor_b64 s[6:7], exec, s[6:7]
	s_cbranch_execnz .LBB5_2997
; %bb.949:
	s_or_saveexec_b64 s[6:7], s[6:7]
	v_mov_b32_e32 v10, s10
	s_xor_b64 exec, exec, s[6:7]
	s_cbranch_execnz .LBB5_3000
.LBB5_950:
	s_or_b64 exec, exec, s[6:7]
	s_and_saveexec_b64 s[6:7], s[4:5]
	s_cbranch_execz .LBB5_952
.LBB5_951:
	v_bfe_u32 v6, v3, 16, 3
	v_ffbh_u32_e32 v12, v6
	v_min_u32_e32 v12, 32, v12
	v_lshrrev_b32_e32 v10, 19, v3
	v_subrev_u32_e32 v13, 28, v12
	v_and_b32_e32 v10, 15, v10
	v_lshlrev_b32_sdwa v13, v13, v3 dst_sel:DWORD dst_unused:UNUSED_PAD src0_sel:DWORD src1_sel:WORD_1
	v_bfe_u32 v11, v3, 19, 4
	v_sub_u32_e32 v12, 29, v12
	v_and_b32_e32 v13, 7, v13
	v_cmp_eq_u16_e32 vcc, 0, v10
	v_cndmask_b32_e32 v6, v6, v13, vcc
	v_cndmask_b32_e32 v10, v11, v12, vcc
	v_lshlrev_b32_e32 v11, 8, v3
	v_mov_b32_e32 v12, 0x3b800000
	v_lshlrev_b32_e32 v6, 20, v6
	v_and_b32_e32 v11, 0x80000000, v11
	v_lshl_add_u32 v10, v10, 23, v12
	v_or3_b32 v10, v11, v10, v6
.LBB5_952:
	s_or_b64 exec, exec, s[6:7]
	s_nop 0
	v_mfma_f32_16x16x4f32 a[0:3], v2, v10, a[0:3]
	s_movk_i32 s4, 0x7f
	v_cmp_gt_i16_sdwa s[6:7], v7, s4 src0_sel:BYTE_3 src1_sel:DWORD
	s_mov_b64 s[4:5], 0
                                        ; implicit-def: $sgpr10
	s_and_saveexec_b64 s[8:9], s[6:7]
	s_xor_b64 s[6:7], exec, s[8:9]
	s_cbranch_execnz .LBB5_3001
; %bb.953:
	s_or_saveexec_b64 s[6:7], s[6:7]
	v_mov_b32_e32 v2, s10
	s_xor_b64 exec, exec, s[6:7]
	s_cbranch_execnz .LBB5_3004
.LBB5_954:
	s_or_b64 exec, exec, s[6:7]
	s_and_saveexec_b64 s[6:7], s[4:5]
	s_cbranch_execz .LBB5_956
.LBB5_955:
	v_bfe_u32 v2, v7, 24, 3
	v_ffbh_u32_e32 v12, v2
	v_min_u32_e32 v12, 32, v12
	v_lshrrev_b32_e32 v10, 27, v7
	v_subrev_u32_e32 v13, 28, v12
	v_and_b32_e32 v6, 0x80000000, v7
	v_and_b32_e32 v10, 15, v10
	v_bfe_u32 v11, v7, 27, 4
	v_lshlrev_b32_sdwa v7, v13, v7 dst_sel:DWORD dst_unused:UNUSED_PAD src0_sel:DWORD src1_sel:BYTE_3
	v_sub_u32_e32 v12, 29, v12
	v_and_b32_e32 v7, 7, v7
	v_cmp_eq_u16_e32 vcc, 0, v10
	v_cndmask_b32_e32 v2, v2, v7, vcc
	v_cndmask_b32_e32 v7, v11, v12, vcc
	v_mov_b32_e32 v10, 0x3b800000
	v_lshlrev_b32_e32 v2, 20, v2
	v_lshl_add_u32 v7, v7, 23, v10
	v_or3_b32 v2, v6, v7, v2
.LBB5_956:
	s_or_b64 exec, exec, s[6:7]
	s_movk_i32 s4, 0x7f
	v_cmp_gt_i16_sdwa s[6:7], v3, s4 src0_sel:BYTE_3 src1_sel:DWORD
	s_mov_b64 s[4:5], 0
                                        ; implicit-def: $sgpr10
	s_and_saveexec_b64 s[8:9], s[6:7]
	s_xor_b64 s[6:7], exec, s[8:9]
	s_cbranch_execnz .LBB5_3005
; %bb.957:
	s_or_saveexec_b64 s[6:7], s[6:7]
	v_mov_b32_e32 v6, s10
	s_xor_b64 exec, exec, s[6:7]
	s_cbranch_execnz .LBB5_3008
.LBB5_958:
	s_or_b64 exec, exec, s[6:7]
	s_and_saveexec_b64 s[6:7], s[4:5]
	s_cbranch_execz .LBB5_960
.LBB5_959:
	v_bfe_u32 v6, v3, 24, 3
	v_ffbh_u32_e32 v12, v6
	v_min_u32_e32 v12, 32, v12
	v_lshrrev_b32_e32 v10, 27, v3
	v_subrev_u32_e32 v13, 28, v12
	v_and_b32_e32 v7, 0x80000000, v3
	v_and_b32_e32 v10, 15, v10
	v_bfe_u32 v11, v3, 27, 4
	v_lshlrev_b32_sdwa v3, v13, v3 dst_sel:DWORD dst_unused:UNUSED_PAD src0_sel:DWORD src1_sel:BYTE_3
	v_sub_u32_e32 v12, 29, v12
	v_and_b32_e32 v3, 7, v3
	v_cmp_eq_u16_e32 vcc, 0, v10
	v_cndmask_b32_e32 v3, v6, v3, vcc
	v_cndmask_b32_e32 v6, v11, v12, vcc
	v_mov_b32_e32 v10, 0x3b800000
	v_lshlrev_b32_e32 v3, 20, v3
	v_lshl_add_u32 v6, v6, 23, v10
	v_or3_b32 v6, v7, v6, v3
.LBB5_960:
	s_or_b64 exec, exec, s[6:7]
	s_nop 0
	v_mfma_f32_16x16x4f32 a[0:3], v2, v6, a[0:3]
	s_movk_i32 s4, 0x7f
	v_cmp_gt_i16_sdwa s[6:7], v8, s4 src0_sel:BYTE_0 src1_sel:DWORD
	s_mov_b64 s[4:5], 0
                                        ; implicit-def: $sgpr10
	s_and_saveexec_b64 s[8:9], s[6:7]
	s_xor_b64 s[6:7], exec, s[8:9]
	s_cbranch_execnz .LBB5_3009
; %bb.961:
	s_or_saveexec_b64 s[6:7], s[6:7]
	v_mov_b32_e32 v2, s10
	s_xor_b64 exec, exec, s[6:7]
	s_cbranch_execnz .LBB5_3012
.LBB5_962:
	s_or_b64 exec, exec, s[6:7]
	s_and_saveexec_b64 s[6:7], s[4:5]
	s_cbranch_execz .LBB5_964
.LBB5_963:
	v_and_b32_e32 v2, 7, v8
	v_ffbh_u32_e32 v6, v2
	v_min_u32_e32 v6, 32, v6
	v_lshrrev_b16_e32 v3, 3, v8
	v_subrev_u32_e32 v7, 28, v6
	v_and_b32_e32 v3, 15, v3
	v_lshlrev_b32_e32 v7, v7, v8
	v_sub_u32_e32 v6, 29, v6
	v_and_b32_e32 v7, 7, v7
	v_cmp_eq_u16_e32 vcc, 0, v3
	v_cndmask_b32_e32 v2, v2, v7, vcc
	v_cndmask_b32_e32 v3, v3, v6, vcc
	v_lshlrev_b32_e32 v6, 24, v8
	v_mov_b32_e32 v7, 0x3b800000
	v_lshlrev_b32_e32 v2, 20, v2
	v_and_b32_e32 v6, 0x80000000, v6
	v_lshl_add_u32 v3, v3, 23, v7
	v_or3_b32 v2, v6, v3, v2
.LBB5_964:
	s_or_b64 exec, exec, s[6:7]
	s_movk_i32 s4, 0x7f
	v_cmp_gt_i16_sdwa s[6:7], v4, s4 src0_sel:BYTE_0 src1_sel:DWORD
	s_mov_b64 s[4:5], 0
                                        ; implicit-def: $sgpr10
	s_and_saveexec_b64 s[8:9], s[6:7]
	s_xor_b64 s[6:7], exec, s[8:9]
	s_cbranch_execnz .LBB5_3013
; %bb.965:
	s_or_saveexec_b64 s[6:7], s[6:7]
	v_mov_b32_e32 v3, s10
	s_xor_b64 exec, exec, s[6:7]
	s_cbranch_execnz .LBB5_3016
.LBB5_966:
	s_or_b64 exec, exec, s[6:7]
	s_and_saveexec_b64 s[6:7], s[4:5]
	s_cbranch_execz .LBB5_968
.LBB5_967:
	v_and_b32_e32 v3, 7, v4
	v_ffbh_u32_e32 v7, v3
	v_min_u32_e32 v7, 32, v7
	v_lshrrev_b16_e32 v6, 3, v4
	v_subrev_u32_e32 v10, 28, v7
	v_and_b32_e32 v6, 15, v6
	v_lshlrev_b32_e32 v10, v10, v4
	v_sub_u32_e32 v7, 29, v7
	v_and_b32_e32 v10, 7, v10
	v_cmp_eq_u16_e32 vcc, 0, v6
	v_cndmask_b32_e32 v3, v3, v10, vcc
	v_cndmask_b32_e32 v6, v6, v7, vcc
	v_lshlrev_b32_e32 v7, 24, v4
	v_mov_b32_e32 v10, 0x3b800000
	v_lshlrev_b32_e32 v3, 20, v3
	v_and_b32_e32 v7, 0x80000000, v7
	v_lshl_add_u32 v6, v6, 23, v10
	v_or3_b32 v3, v7, v6, v3
.LBB5_968:
	s_or_b64 exec, exec, s[6:7]
	s_nop 0
	v_mfma_f32_16x16x4f32 a[0:3], v2, v3, a[0:3]
	v_lshrrev_b32_e32 v3, 8, v8
	s_movk_i32 s4, 0x7f
	v_cmp_gt_i16_sdwa s[6:7], v3, s4 src0_sel:BYTE_0 src1_sel:DWORD
	s_mov_b64 s[4:5], 0
                                        ; implicit-def: $sgpr10
	s_and_saveexec_b64 s[8:9], s[6:7]
	s_xor_b64 s[6:7], exec, s[8:9]
	s_cbranch_execnz .LBB5_3017
; %bb.969:
	s_or_saveexec_b64 s[6:7], s[6:7]
	v_mov_b32_e32 v2, s10
	s_xor_b64 exec, exec, s[6:7]
	s_cbranch_execnz .LBB5_3020
.LBB5_970:
	s_or_b64 exec, exec, s[6:7]
	s_and_saveexec_b64 s[6:7], s[4:5]
	s_cbranch_execz .LBB5_972
.LBB5_971:
	v_bfe_u32 v2, v8, 8, 3
	v_ffbh_u32_e32 v7, v2
	v_min_u32_e32 v7, 32, v7
	v_lshrrev_b16_e32 v6, 3, v3
	v_subrev_u32_e32 v10, 28, v7
	v_and_b32_e32 v6, 15, v6
	v_lshlrev_b32_e32 v3, v10, v3
	v_sub_u32_e32 v7, 29, v7
	v_and_b32_e32 v3, 7, v3
	v_cmp_eq_u16_e32 vcc, 0, v6
	v_cndmask_b32_e32 v2, v2, v3, vcc
	v_cndmask_b32_e32 v3, v6, v7, vcc
	v_lshlrev_b32_e32 v6, 16, v8
	v_mov_b32_e32 v7, 0x3b800000
	v_lshlrev_b32_e32 v2, 20, v2
	v_and_b32_e32 v6, 0x80000000, v6
	v_lshl_add_u32 v3, v3, 23, v7
	v_or3_b32 v2, v6, v3, v2
.LBB5_972:
	s_or_b64 exec, exec, s[6:7]
	v_lshrrev_b32_e32 v3, 8, v4
	s_movk_i32 s4, 0x7f
	v_cmp_gt_i16_sdwa s[6:7], v3, s4 src0_sel:BYTE_0 src1_sel:DWORD
	s_mov_b64 s[4:5], 0
                                        ; implicit-def: $sgpr10
	s_and_saveexec_b64 s[8:9], s[6:7]
	s_xor_b64 s[6:7], exec, s[8:9]
	s_cbranch_execnz .LBB5_3021
; %bb.973:
	s_or_saveexec_b64 s[6:7], s[6:7]
	v_mov_b32_e32 v6, s10
	s_xor_b64 exec, exec, s[6:7]
	s_cbranch_execnz .LBB5_3024
.LBB5_974:
	s_or_b64 exec, exec, s[6:7]
	s_and_saveexec_b64 s[6:7], s[4:5]
	s_cbranch_execz .LBB5_976
.LBB5_975:
	v_bfe_u32 v6, v4, 8, 3
	v_ffbh_u32_e32 v10, v6
	v_min_u32_e32 v10, 32, v10
	v_lshrrev_b16_e32 v7, 3, v3
	v_subrev_u32_e32 v11, 28, v10
	v_and_b32_e32 v7, 15, v7
	v_lshlrev_b32_e32 v3, v11, v3
	v_sub_u32_e32 v10, 29, v10
	v_and_b32_e32 v3, 7, v3
	v_cmp_eq_u16_e32 vcc, 0, v7
	v_cndmask_b32_e32 v3, v6, v3, vcc
	v_cndmask_b32_e32 v6, v7, v10, vcc
	v_lshlrev_b32_e32 v7, 16, v4
	v_mov_b32_e32 v10, 0x3b800000
	v_lshlrev_b32_e32 v3, 20, v3
	v_and_b32_e32 v7, 0x80000000, v7
	v_lshl_add_u32 v6, v6, 23, v10
	v_or3_b32 v6, v7, v6, v3
.LBB5_976:
	s_or_b64 exec, exec, s[6:7]
	s_nop 0
	v_mfma_f32_16x16x4f32 a[0:3], v2, v6, a[0:3]
	s_movk_i32 s4, 0xff
	v_and_b32_sdwa v3, v8, s4 dst_sel:DWORD dst_unused:UNUSED_PAD src0_sel:WORD_1 src1_sel:DWORD
	s_movk_i32 s4, 0x7f
	v_cmp_lt_i16_e32 vcc, s4, v3
	s_mov_b64 s[4:5], 0
                                        ; implicit-def: $sgpr10
	s_and_saveexec_b64 s[6:7], vcc
	s_xor_b64 s[6:7], exec, s[6:7]
	s_cbranch_execnz .LBB5_3025
; %bb.977:
	s_or_saveexec_b64 s[6:7], s[6:7]
	v_mov_b32_e32 v2, s10
	s_xor_b64 exec, exec, s[6:7]
	s_cbranch_execnz .LBB5_3028
.LBB5_978:
	s_or_b64 exec, exec, s[6:7]
	s_and_saveexec_b64 s[6:7], s[4:5]
	s_cbranch_execz .LBB5_980
.LBB5_979:
	v_bfe_u32 v2, v8, 16, 3
	v_ffbh_u32_e32 v7, v2
	v_min_u32_e32 v7, 32, v7
	v_lshrrev_b32_e32 v3, 19, v8
	v_subrev_u32_e32 v10, 28, v7
	v_and_b32_e32 v3, 15, v3
	v_lshlrev_b32_sdwa v10, v10, v8 dst_sel:DWORD dst_unused:UNUSED_PAD src0_sel:DWORD src1_sel:WORD_1
	v_bfe_u32 v6, v8, 19, 4
	v_sub_u32_e32 v7, 29, v7
	v_and_b32_e32 v10, 7, v10
	v_cmp_eq_u16_e32 vcc, 0, v3
	v_cndmask_b32_e32 v2, v2, v10, vcc
	v_cndmask_b32_e32 v3, v6, v7, vcc
	v_lshlrev_b32_e32 v6, 8, v8
	v_mov_b32_e32 v7, 0x3b800000
	v_lshlrev_b32_e32 v2, 20, v2
	v_and_b32_e32 v6, 0x80000000, v6
	v_lshl_add_u32 v3, v3, 23, v7
	v_or3_b32 v2, v6, v3, v2
.LBB5_980:
	s_or_b64 exec, exec, s[6:7]
	s_movk_i32 s4, 0xff
	v_and_b32_sdwa v3, v4, s4 dst_sel:DWORD dst_unused:UNUSED_PAD src0_sel:WORD_1 src1_sel:DWORD
	s_movk_i32 s4, 0x7f
	v_cmp_lt_i16_e32 vcc, s4, v3
	s_mov_b64 s[4:5], 0
                                        ; implicit-def: $sgpr10
	s_and_saveexec_b64 s[6:7], vcc
	s_xor_b64 s[6:7], exec, s[6:7]
	s_cbranch_execnz .LBB5_3029
; %bb.981:
	s_or_saveexec_b64 s[6:7], s[6:7]
	v_mov_b32_e32 v6, s10
	s_xor_b64 exec, exec, s[6:7]
	s_cbranch_execnz .LBB5_3032
.LBB5_982:
	s_or_b64 exec, exec, s[6:7]
	s_and_saveexec_b64 s[6:7], s[4:5]
	s_cbranch_execz .LBB5_984
.LBB5_983:
	v_bfe_u32 v3, v4, 16, 3
	v_ffbh_u32_e32 v10, v3
	v_min_u32_e32 v10, 32, v10
	v_lshrrev_b32_e32 v6, 19, v4
	v_subrev_u32_e32 v11, 28, v10
	v_and_b32_e32 v6, 15, v6
	v_lshlrev_b32_sdwa v11, v11, v4 dst_sel:DWORD dst_unused:UNUSED_PAD src0_sel:DWORD src1_sel:WORD_1
	v_bfe_u32 v7, v4, 19, 4
	v_sub_u32_e32 v10, 29, v10
	v_and_b32_e32 v11, 7, v11
	v_cmp_eq_u16_e32 vcc, 0, v6
	v_cndmask_b32_e32 v3, v3, v11, vcc
	v_cndmask_b32_e32 v6, v7, v10, vcc
	v_lshlrev_b32_e32 v7, 8, v4
	v_mov_b32_e32 v10, 0x3b800000
	v_lshlrev_b32_e32 v3, 20, v3
	v_and_b32_e32 v7, 0x80000000, v7
	v_lshl_add_u32 v6, v6, 23, v10
	v_or3_b32 v6, v7, v6, v3
.LBB5_984:
	s_or_b64 exec, exec, s[6:7]
	s_nop 0
	v_mfma_f32_16x16x4f32 a[0:3], v2, v6, a[0:3]
	s_movk_i32 s4, 0x7f
	v_cmp_gt_i16_sdwa s[6:7], v8, s4 src0_sel:BYTE_3 src1_sel:DWORD
	s_mov_b64 s[4:5], 0
                                        ; implicit-def: $sgpr10
	s_and_saveexec_b64 s[8:9], s[6:7]
	s_xor_b64 s[6:7], exec, s[8:9]
	s_cbranch_execnz .LBB5_3033
; %bb.985:
	s_or_saveexec_b64 s[6:7], s[6:7]
	v_mov_b32_e32 v2, s10
	s_xor_b64 exec, exec, s[6:7]
	s_cbranch_execnz .LBB5_3036
.LBB5_986:
	s_or_b64 exec, exec, s[6:7]
	s_and_saveexec_b64 s[6:7], s[4:5]
	s_cbranch_execz .LBB5_988
.LBB5_987:
	v_bfe_u32 v2, v8, 24, 3
	v_ffbh_u32_e32 v10, v2
	v_min_u32_e32 v10, 32, v10
	v_lshrrev_b32_e32 v6, 27, v8
	v_subrev_u32_e32 v11, 28, v10
	v_and_b32_e32 v3, 0x80000000, v8
	v_and_b32_e32 v6, 15, v6
	v_bfe_u32 v7, v8, 27, 4
	v_lshlrev_b32_sdwa v8, v11, v8 dst_sel:DWORD dst_unused:UNUSED_PAD src0_sel:DWORD src1_sel:BYTE_3
	v_sub_u32_e32 v10, 29, v10
	v_and_b32_e32 v8, 7, v8
	v_cmp_eq_u16_e32 vcc, 0, v6
	v_cndmask_b32_e32 v2, v2, v8, vcc
	v_cndmask_b32_e32 v6, v7, v10, vcc
	v_mov_b32_e32 v7, 0x3b800000
	v_lshlrev_b32_e32 v2, 20, v2
	v_lshl_add_u32 v6, v6, 23, v7
	v_or3_b32 v2, v3, v6, v2
.LBB5_988:
	s_or_b64 exec, exec, s[6:7]
	s_movk_i32 s4, 0x7f
	v_cmp_gt_i16_sdwa s[6:7], v4, s4 src0_sel:BYTE_3 src1_sel:DWORD
	s_mov_b64 s[4:5], 0
                                        ; implicit-def: $sgpr10
	s_and_saveexec_b64 s[8:9], s[6:7]
	s_xor_b64 s[6:7], exec, s[8:9]
	s_cbranch_execnz .LBB5_3037
; %bb.989:
	s_or_saveexec_b64 s[6:7], s[6:7]
	v_mov_b32_e32 v3, s10
	s_xor_b64 exec, exec, s[6:7]
	s_cbranch_execnz .LBB5_3040
.LBB5_990:
	s_or_b64 exec, exec, s[6:7]
	s_and_saveexec_b64 s[6:7], s[4:5]
	s_cbranch_execz .LBB5_992
.LBB5_991:
	v_bfe_u32 v3, v4, 24, 3
	v_ffbh_u32_e32 v10, v3
	v_min_u32_e32 v10, 32, v10
	v_lshrrev_b32_e32 v7, 27, v4
	v_subrev_u32_e32 v11, 28, v10
	v_and_b32_e32 v6, 0x80000000, v4
	v_and_b32_e32 v7, 15, v7
	v_bfe_u32 v8, v4, 27, 4
	v_lshlrev_b32_sdwa v4, v11, v4 dst_sel:DWORD dst_unused:UNUSED_PAD src0_sel:DWORD src1_sel:BYTE_3
	v_sub_u32_e32 v10, 29, v10
	v_and_b32_e32 v4, 7, v4
	v_cmp_eq_u16_e32 vcc, 0, v7
	v_cndmask_b32_e32 v3, v3, v4, vcc
	v_cndmask_b32_e32 v4, v8, v10, vcc
	v_mov_b32_e32 v7, 0x3b800000
	v_lshlrev_b32_e32 v3, 20, v3
	v_lshl_add_u32 v4, v4, 23, v7
	v_or3_b32 v3, v6, v4, v3
.LBB5_992:
	s_or_b64 exec, exec, s[6:7]
	s_nop 0
	v_mfma_f32_16x16x4f32 a[0:3], v2, v3, a[0:3]
	s_movk_i32 s4, 0x7f
	v_cmp_gt_i16_sdwa s[6:7], v9, s4 src0_sel:BYTE_0 src1_sel:DWORD
	s_mov_b64 s[4:5], 0
                                        ; implicit-def: $sgpr10
	s_and_saveexec_b64 s[8:9], s[6:7]
	s_xor_b64 s[6:7], exec, s[8:9]
	s_cbranch_execnz .LBB5_3041
; %bb.993:
	s_or_saveexec_b64 s[6:7], s[6:7]
	v_mov_b32_e32 v2, s10
	s_xor_b64 exec, exec, s[6:7]
	s_cbranch_execnz .LBB5_3044
.LBB5_994:
	s_or_b64 exec, exec, s[6:7]
	s_and_saveexec_b64 s[6:7], s[4:5]
	s_cbranch_execz .LBB5_996
.LBB5_995:
	v_mov_b32_e32 v2, 8
	v_and_b32_e32 v3, 7, v9
	v_lshrrev_b32_sdwa v2, v2, v9 dst_sel:BYTE_1 dst_unused:UNUSED_PAD src0_sel:DWORD src1_sel:DWORD
	v_ffbh_u32_e32 v4, v3
	v_or_b32_sdwa v2, v9, v2 dst_sel:DWORD dst_unused:UNUSED_PAD src0_sel:BYTE_0 src1_sel:DWORD
	v_min_u32_e32 v4, 32, v4
	v_lshrrev_b16_e32 v2, 3, v2
	v_subrev_u32_e32 v6, 28, v4
	v_and_b32_e32 v2, 15, v2
	v_lshlrev_b32_e32 v6, v6, v9
	v_sub_u32_e32 v4, 29, v4
	v_and_b32_e32 v6, 7, v6
	v_cmp_eq_u16_e32 vcc, 0, v2
	v_cndmask_b32_e32 v3, v3, v6, vcc
	v_cndmask_b32_e32 v2, v2, v4, vcc
	v_lshlrev_b32_e32 v4, 24, v9
	v_mov_b32_e32 v6, 0x3b800000
	v_lshlrev_b32_e32 v3, 20, v3
	v_and_b32_e32 v4, 0x80000000, v4
	v_lshl_add_u32 v2, v2, 23, v6
	v_or3_b32 v2, v4, v2, v3
.LBB5_996:
	s_or_b64 exec, exec, s[6:7]
	s_movk_i32 s4, 0x7f
	v_cmp_gt_i16_sdwa s[6:7], v5, s4 src0_sel:BYTE_0 src1_sel:DWORD
	s_mov_b64 s[4:5], 0
                                        ; implicit-def: $sgpr10
	s_and_saveexec_b64 s[8:9], s[6:7]
	s_xor_b64 s[6:7], exec, s[8:9]
	s_cbranch_execnz .LBB5_3045
; %bb.997:
	s_or_saveexec_b64 s[6:7], s[6:7]
	v_mov_b32_e32 v3, s10
	s_xor_b64 exec, exec, s[6:7]
	s_cbranch_execnz .LBB5_3048
.LBB5_998:
	s_or_b64 exec, exec, s[6:7]
	s_and_saveexec_b64 s[6:7], s[4:5]
	s_cbranch_execz .LBB5_1000
.LBB5_999:
	v_mov_b32_e32 v3, 8
	v_and_b32_e32 v4, 7, v5
	v_lshrrev_b32_sdwa v3, v3, v5 dst_sel:BYTE_1 dst_unused:UNUSED_PAD src0_sel:DWORD src1_sel:DWORD
	v_ffbh_u32_e32 v6, v4
	v_or_b32_sdwa v3, v5, v3 dst_sel:DWORD dst_unused:UNUSED_PAD src0_sel:BYTE_0 src1_sel:DWORD
	v_min_u32_e32 v6, 32, v6
	v_lshrrev_b16_e32 v3, 3, v3
	v_subrev_u32_e32 v7, 28, v6
	v_and_b32_e32 v3, 15, v3
	v_lshlrev_b32_e32 v7, v7, v5
	v_sub_u32_e32 v6, 29, v6
	v_and_b32_e32 v7, 7, v7
	v_cmp_eq_u16_e32 vcc, 0, v3
	v_cndmask_b32_e32 v4, v4, v7, vcc
	v_cndmask_b32_e32 v3, v3, v6, vcc
	v_lshlrev_b32_e32 v6, 24, v5
	v_mov_b32_e32 v7, 0x3b800000
	v_lshlrev_b32_e32 v4, 20, v4
	v_and_b32_e32 v6, 0x80000000, v6
	v_lshl_add_u32 v3, v3, 23, v7
	v_or3_b32 v3, v6, v3, v4
.LBB5_1000:
	s_or_b64 exec, exec, s[6:7]
	s_nop 0
	v_mfma_f32_16x16x4f32 a[0:3], v2, v3, a[0:3]
	v_lshrrev_b32_e32 v3, 8, v9
	s_movk_i32 s4, 0x7f
	v_cmp_gt_i16_sdwa s[6:7], v3, s4 src0_sel:BYTE_0 src1_sel:DWORD
	s_mov_b64 s[4:5], 0
                                        ; implicit-def: $sgpr10
	s_and_saveexec_b64 s[8:9], s[6:7]
	s_xor_b64 s[6:7], exec, s[8:9]
	s_cbranch_execnz .LBB5_3049
; %bb.1001:
	s_or_saveexec_b64 s[6:7], s[6:7]
	v_mov_b32_e32 v2, s10
	s_xor_b64 exec, exec, s[6:7]
	s_cbranch_execnz .LBB5_3052
.LBB5_1002:
	s_or_b64 exec, exec, s[6:7]
	s_and_saveexec_b64 s[6:7], s[4:5]
	s_cbranch_execz .LBB5_1004
.LBB5_1003:
	v_bfe_u32 v2, v9, 8, 3
	v_ffbh_u32_e32 v6, v2
	v_min_u32_e32 v6, 32, v6
	v_lshrrev_b16_e32 v4, 3, v3
	v_subrev_u32_e32 v7, 28, v6
	v_and_b32_e32 v4, 15, v4
	v_lshlrev_b32_e32 v3, v7, v3
	v_sub_u32_e32 v6, 29, v6
	v_and_b32_e32 v3, 7, v3
	v_cmp_eq_u16_e32 vcc, 0, v4
	v_cndmask_b32_e32 v2, v2, v3, vcc
	v_cndmask_b32_e32 v3, v4, v6, vcc
	v_lshlrev_b32_e32 v4, 16, v9
	v_mov_b32_e32 v6, 0x3b800000
	v_lshlrev_b32_e32 v2, 20, v2
	v_and_b32_e32 v4, 0x80000000, v4
	v_lshl_add_u32 v3, v3, 23, v6
	v_or3_b32 v2, v4, v3, v2
.LBB5_1004:
	s_or_b64 exec, exec, s[6:7]
	v_lshrrev_b32_e32 v3, 8, v5
	s_movk_i32 s4, 0x7f
	v_cmp_gt_i16_sdwa s[6:7], v3, s4 src0_sel:BYTE_0 src1_sel:DWORD
	s_mov_b64 s[4:5], 0
                                        ; implicit-def: $sgpr10
	s_and_saveexec_b64 s[8:9], s[6:7]
	s_xor_b64 s[6:7], exec, s[8:9]
	s_cbranch_execnz .LBB5_3053
; %bb.1005:
	s_or_saveexec_b64 s[6:7], s[6:7]
	v_mov_b32_e32 v4, s10
	s_xor_b64 exec, exec, s[6:7]
	s_cbranch_execnz .LBB5_3056
.LBB5_1006:
	s_or_b64 exec, exec, s[6:7]
	s_and_saveexec_b64 s[6:7], s[4:5]
	s_cbranch_execz .LBB5_1008
.LBB5_1007:
	v_bfe_u32 v4, v5, 8, 3
	v_ffbh_u32_e32 v7, v4
	v_min_u32_e32 v7, 32, v7
	v_lshrrev_b16_e32 v6, 3, v3
	v_subrev_u32_e32 v8, 28, v7
	v_and_b32_e32 v6, 15, v6
	v_lshlrev_b32_e32 v3, v8, v3
	v_sub_u32_e32 v7, 29, v7
	v_and_b32_e32 v3, 7, v3
	v_cmp_eq_u16_e32 vcc, 0, v6
	v_cndmask_b32_e32 v3, v4, v3, vcc
	v_cndmask_b32_e32 v4, v6, v7, vcc
	v_lshlrev_b32_e32 v6, 16, v5
	v_mov_b32_e32 v7, 0x3b800000
	v_lshlrev_b32_e32 v3, 20, v3
	v_and_b32_e32 v6, 0x80000000, v6
	v_lshl_add_u32 v4, v4, 23, v7
	v_or3_b32 v4, v6, v4, v3
.LBB5_1008:
	s_or_b64 exec, exec, s[6:7]
	s_nop 0
	v_mfma_f32_16x16x4f32 a[0:3], v2, v4, a[0:3]
	s_movk_i32 s4, 0xff
	v_and_b32_sdwa v3, v9, s4 dst_sel:DWORD dst_unused:UNUSED_PAD src0_sel:WORD_1 src1_sel:DWORD
	s_movk_i32 s4, 0x7f
	v_cmp_lt_i16_e32 vcc, s4, v3
	s_mov_b64 s[4:5], 0
                                        ; implicit-def: $sgpr10
	s_and_saveexec_b64 s[6:7], vcc
	s_xor_b64 s[6:7], exec, s[6:7]
	s_cbranch_execnz .LBB5_3057
; %bb.1009:
	s_or_saveexec_b64 s[6:7], s[6:7]
	v_mov_b32_e32 v2, s10
	s_xor_b64 exec, exec, s[6:7]
	s_cbranch_execnz .LBB5_3060
.LBB5_1010:
	s_or_b64 exec, exec, s[6:7]
	s_and_saveexec_b64 s[6:7], s[4:5]
	s_cbranch_execz .LBB5_1012
.LBB5_1011:
	v_bfe_u32 v2, v9, 16, 3
	v_ffbh_u32_e32 v6, v2
	v_min_u32_e32 v6, 32, v6
	v_lshrrev_b32_e32 v3, 19, v9
	v_subrev_u32_e32 v7, 28, v6
	v_and_b32_e32 v3, 15, v3
	v_lshlrev_b32_sdwa v7, v7, v9 dst_sel:DWORD dst_unused:UNUSED_PAD src0_sel:DWORD src1_sel:WORD_1
	v_bfe_u32 v4, v9, 19, 4
	v_sub_u32_e32 v6, 29, v6
	v_and_b32_e32 v7, 7, v7
	v_cmp_eq_u16_e32 vcc, 0, v3
	v_cndmask_b32_e32 v2, v2, v7, vcc
	v_cndmask_b32_e32 v3, v4, v6, vcc
	v_lshlrev_b32_e32 v4, 8, v9
	v_mov_b32_e32 v6, 0x3b800000
	v_lshlrev_b32_e32 v2, 20, v2
	v_and_b32_e32 v4, 0x80000000, v4
	v_lshl_add_u32 v3, v3, 23, v6
	v_or3_b32 v2, v4, v3, v2
.LBB5_1012:
	s_or_b64 exec, exec, s[6:7]
	s_movk_i32 s4, 0xff
	v_and_b32_sdwa v3, v5, s4 dst_sel:DWORD dst_unused:UNUSED_PAD src0_sel:WORD_1 src1_sel:DWORD
	s_movk_i32 s4, 0x7f
	v_cmp_lt_i16_e32 vcc, s4, v3
	s_mov_b64 s[4:5], 0
                                        ; implicit-def: $sgpr10
	s_and_saveexec_b64 s[6:7], vcc
	s_xor_b64 s[6:7], exec, s[6:7]
	s_cbranch_execnz .LBB5_3061
; %bb.1013:
	s_or_saveexec_b64 s[6:7], s[6:7]
	v_mov_b32_e32 v4, s10
	s_xor_b64 exec, exec, s[6:7]
	s_cbranch_execnz .LBB5_3064
.LBB5_1014:
	s_or_b64 exec, exec, s[6:7]
	s_and_saveexec_b64 s[6:7], s[4:5]
	s_cbranch_execz .LBB5_1016
.LBB5_1015:
	v_bfe_u32 v3, v5, 16, 3
	v_ffbh_u32_e32 v7, v3
	v_min_u32_e32 v7, 32, v7
	v_lshrrev_b32_e32 v4, 19, v5
	v_subrev_u32_e32 v8, 28, v7
	v_and_b32_e32 v4, 15, v4
	v_lshlrev_b32_sdwa v8, v8, v5 dst_sel:DWORD dst_unused:UNUSED_PAD src0_sel:DWORD src1_sel:WORD_1
	v_bfe_u32 v6, v5, 19, 4
	v_sub_u32_e32 v7, 29, v7
	v_and_b32_e32 v8, 7, v8
	v_cmp_eq_u16_e32 vcc, 0, v4
	v_cndmask_b32_e32 v3, v3, v8, vcc
	v_cndmask_b32_e32 v4, v6, v7, vcc
	v_lshlrev_b32_e32 v6, 8, v5
	v_mov_b32_e32 v7, 0x3b800000
	v_lshlrev_b32_e32 v3, 20, v3
	v_and_b32_e32 v6, 0x80000000, v6
	v_lshl_add_u32 v4, v4, 23, v7
	v_or3_b32 v4, v6, v4, v3
.LBB5_1016:
	s_or_b64 exec, exec, s[6:7]
	s_nop 0
	v_mfma_f32_16x16x4f32 a[0:3], v2, v4, a[0:3]
	s_movk_i32 s4, 0x7f
	v_cmp_gt_i16_sdwa s[6:7], v9, s4 src0_sel:BYTE_3 src1_sel:DWORD
	s_mov_b64 s[4:5], 0
                                        ; implicit-def: $sgpr10
	s_and_saveexec_b64 s[8:9], s[6:7]
	s_xor_b64 s[6:7], exec, s[8:9]
	s_cbranch_execnz .LBB5_3065
; %bb.1017:
	s_or_saveexec_b64 s[6:7], s[6:7]
	v_mov_b32_e32 v2, s10
	s_xor_b64 exec, exec, s[6:7]
	s_cbranch_execnz .LBB5_3068
.LBB5_1018:
	s_or_b64 exec, exec, s[6:7]
	s_and_saveexec_b64 s[6:7], s[4:5]
	s_cbranch_execz .LBB5_1020
.LBB5_1019:
	v_bfe_u32 v2, v9, 24, 3
	v_ffbh_u32_e32 v7, v2
	v_min_u32_e32 v7, 32, v7
	v_lshrrev_b32_e32 v4, 27, v9
	v_subrev_u32_e32 v8, 28, v7
	v_and_b32_e32 v4, 15, v4
	v_lshlrev_b32_sdwa v8, v8, v9 dst_sel:DWORD dst_unused:UNUSED_PAD src0_sel:DWORD src1_sel:BYTE_3
	v_bfe_u32 v6, v9, 27, 4
	v_sub_u32_e32 v7, 29, v7
	v_and_b32_e32 v8, 7, v8
	v_cmp_eq_u16_e32 vcc, 0, v4
	v_cndmask_b32_e32 v2, v2, v8, vcc
	v_cndmask_b32_e32 v4, v6, v7, vcc
	v_mov_b32_e32 v6, 0x3b800000
	v_and_b32_e32 v3, 0x80000000, v9
	v_lshlrev_b32_e32 v2, 20, v2
	v_lshl_add_u32 v4, v4, 23, v6
	v_or3_b32 v2, v3, v4, v2
.LBB5_1020:
	s_or_b64 exec, exec, s[6:7]
	s_movk_i32 s4, 0x7f
	v_cmp_gt_i16_sdwa s[6:7], v5, s4 src0_sel:BYTE_3 src1_sel:DWORD
	s_mov_b64 s[4:5], 0
                                        ; implicit-def: $sgpr10
	s_and_saveexec_b64 s[8:9], s[6:7]
	s_xor_b64 s[6:7], exec, s[8:9]
	s_cbranch_execnz .LBB5_3069
; %bb.1021:
	s_or_saveexec_b64 s[6:7], s[6:7]
	v_mov_b32_e32 v3, s10
	s_xor_b64 exec, exec, s[6:7]
	s_cbranch_execnz .LBB5_3072
.LBB5_1022:
	s_or_b64 exec, exec, s[6:7]
	s_and_saveexec_b64 s[6:7], s[4:5]
	s_cbranch_execz .LBB5_1024
.LBB5_1023:
	v_bfe_u32 v3, v5, 24, 3
	v_ffbh_u32_e32 v8, v3
	v_min_u32_e32 v8, 32, v8
	v_lshrrev_b32_e32 v6, 27, v5
	v_subrev_u32_e32 v9, 28, v8
	v_and_b32_e32 v4, 0x80000000, v5
	v_and_b32_e32 v6, 15, v6
	v_bfe_u32 v7, v5, 27, 4
	v_lshlrev_b32_sdwa v5, v9, v5 dst_sel:DWORD dst_unused:UNUSED_PAD src0_sel:DWORD src1_sel:BYTE_3
	v_sub_u32_e32 v8, 29, v8
	v_and_b32_e32 v5, 7, v5
	v_cmp_eq_u16_e32 vcc, 0, v6
	v_cndmask_b32_e32 v3, v3, v5, vcc
	v_cndmask_b32_e32 v5, v7, v8, vcc
	v_mov_b32_e32 v6, 0x3b800000
	v_lshlrev_b32_e32 v3, 20, v3
	v_lshl_add_u32 v5, v5, 23, v6
	v_or3_b32 v3, v4, v5, v3
.LBB5_1024:
	s_or_b64 exec, exec, s[6:7]
	s_nop 0
	v_mfma_f32_16x16x4f32 a[0:3], v2, v3, a[0:3]
	s_movk_i32 s4, 0x7f
                                        ; implicit-def: $sgpr10
	s_nop 7
	s_nop 1
	flat_store_dwordx4 v[18:19], a[0:3] offset:432
	flat_load_dwordx4 v[20:23], v[0:1] offset:16
	s_nop 0
	flat_load_dwordx2 v[18:19], v[0:1] offset:32
	s_waitcnt vmcnt(0) lgkmcnt(0)
	flat_load_dwordx4 v[14:17], v[20:21] offset:32
	flat_load_dwordx4 v[6:9], v[20:21] offset:48
	;; [unrolled: 1-line block ×4, first 2 shown]
	s_waitcnt vmcnt(0) lgkmcnt(0)
	v_cmp_gt_i16_sdwa s[6:7], v14, s4 src0_sel:BYTE_0 src1_sel:DWORD
	s_mov_b64 s[4:5], 0
	s_and_saveexec_b64 s[8:9], s[6:7]
	s_xor_b64 s[6:7], exec, s[8:9]
	s_cbranch_execnz .LBB5_3073
; %bb.1025:
	s_or_saveexec_b64 s[6:7], s[6:7]
	v_mov_b32_e32 v20, s10
	s_xor_b64 exec, exec, s[6:7]
	s_cbranch_execnz .LBB5_3076
.LBB5_1026:
	s_or_b64 exec, exec, s[6:7]
	s_and_saveexec_b64 s[6:7], s[4:5]
	s_cbranch_execz .LBB5_1028
.LBB5_1027:
	v_and_b32_e32 v20, 7, v14
	v_ffbh_u32_e32 v22, v20
	v_min_u32_e32 v22, 32, v22
	v_lshrrev_b16_e32 v21, 3, v14
	v_subrev_u32_e32 v23, 28, v22
	v_and_b32_e32 v21, 15, v21
	v_lshlrev_b32_e32 v23, v23, v14
	v_sub_u32_e32 v22, 29, v22
	v_and_b32_e32 v23, 7, v23
	v_cmp_eq_u16_e32 vcc, 0, v21
	v_cndmask_b32_e32 v20, v20, v23, vcc
	v_cndmask_b32_e32 v21, v21, v22, vcc
	v_lshlrev_b32_e32 v22, 24, v14
	v_mov_b32_e32 v23, 0x3b800000
	v_lshlrev_b32_e32 v20, 20, v20
	v_and_b32_e32 v22, 0x80000000, v22
	v_lshl_add_u32 v21, v21, 23, v23
	v_or3_b32 v20, v22, v21, v20
.LBB5_1028:
	s_or_b64 exec, exec, s[6:7]
	s_movk_i32 s4, 0x7f
	v_cmp_gt_i16_sdwa s[6:7], v10, s4 src0_sel:BYTE_0 src1_sel:DWORD
	s_mov_b64 s[4:5], 0
                                        ; implicit-def: $sgpr10
	s_and_saveexec_b64 s[8:9], s[6:7]
	s_xor_b64 s[6:7], exec, s[8:9]
	s_cbranch_execnz .LBB5_3077
; %bb.1029:
	s_or_saveexec_b64 s[6:7], s[6:7]
	v_mov_b32_e32 v21, s10
	s_xor_b64 exec, exec, s[6:7]
	s_cbranch_execnz .LBB5_3080
.LBB5_1030:
	s_or_b64 exec, exec, s[6:7]
	s_and_saveexec_b64 s[6:7], s[4:5]
	s_cbranch_execz .LBB5_1032
.LBB5_1031:
	v_and_b32_e32 v21, 7, v10
	v_ffbh_u32_e32 v23, v21
	v_min_u32_e32 v23, 32, v23
	v_lshrrev_b16_e32 v22, 3, v10
	v_subrev_u32_e32 v24, 28, v23
	v_and_b32_e32 v22, 15, v22
	v_lshlrev_b32_e32 v24, v24, v10
	v_sub_u32_e32 v23, 29, v23
	v_and_b32_e32 v24, 7, v24
	v_cmp_eq_u16_e32 vcc, 0, v22
	v_cndmask_b32_e32 v21, v21, v24, vcc
	v_cndmask_b32_e32 v22, v22, v23, vcc
	v_lshlrev_b32_e32 v23, 24, v10
	v_mov_b32_e32 v24, 0x3b800000
	v_lshlrev_b32_e32 v21, 20, v21
	v_and_b32_e32 v23, 0x80000000, v23
	v_lshl_add_u32 v22, v22, 23, v24
	v_or3_b32 v21, v23, v22, v21
.LBB5_1032:
	s_or_b64 exec, exec, s[6:7]
	flat_load_dwordx4 a[0:3], v[18:19] offset:448
	s_movk_i32 s4, 0x7f
                                        ; implicit-def: $sgpr10
	s_waitcnt vmcnt(0) lgkmcnt(0)
	v_mfma_f32_16x16x4f32 a[0:3], v20, v21, a[0:3]
	v_lshrrev_b32_e32 v21, 8, v14
	v_cmp_gt_i16_sdwa s[6:7], v21, s4 src0_sel:BYTE_0 src1_sel:DWORD
	s_mov_b64 s[4:5], 0
	s_and_saveexec_b64 s[8:9], s[6:7]
	s_xor_b64 s[6:7], exec, s[8:9]
	s_cbranch_execnz .LBB5_3081
; %bb.1033:
	s_or_saveexec_b64 s[6:7], s[6:7]
	v_mov_b32_e32 v20, s10
	s_xor_b64 exec, exec, s[6:7]
	s_cbranch_execnz .LBB5_3084
.LBB5_1034:
	s_or_b64 exec, exec, s[6:7]
	s_and_saveexec_b64 s[6:7], s[4:5]
	s_cbranch_execz .LBB5_1036
.LBB5_1035:
	v_bfe_u32 v20, v14, 8, 3
	v_ffbh_u32_e32 v23, v20
	v_min_u32_e32 v23, 32, v23
	v_lshrrev_b16_e32 v22, 3, v21
	v_subrev_u32_e32 v24, 28, v23
	v_and_b32_e32 v22, 15, v22
	v_lshlrev_b32_e32 v21, v24, v21
	v_sub_u32_e32 v23, 29, v23
	v_and_b32_e32 v21, 7, v21
	v_cmp_eq_u16_e32 vcc, 0, v22
	v_cndmask_b32_e32 v20, v20, v21, vcc
	v_cndmask_b32_e32 v21, v22, v23, vcc
	v_lshlrev_b32_e32 v22, 16, v14
	v_mov_b32_e32 v23, 0x3b800000
	v_lshlrev_b32_e32 v20, 20, v20
	v_and_b32_e32 v22, 0x80000000, v22
	v_lshl_add_u32 v21, v21, 23, v23
	v_or3_b32 v20, v22, v21, v20
.LBB5_1036:
	s_or_b64 exec, exec, s[6:7]
	v_lshrrev_b32_e32 v21, 8, v10
	s_movk_i32 s4, 0x7f
	v_cmp_gt_i16_sdwa s[6:7], v21, s4 src0_sel:BYTE_0 src1_sel:DWORD
	s_mov_b64 s[4:5], 0
                                        ; implicit-def: $sgpr10
	s_and_saveexec_b64 s[8:9], s[6:7]
	s_xor_b64 s[6:7], exec, s[8:9]
	s_cbranch_execnz .LBB5_3085
; %bb.1037:
	s_or_saveexec_b64 s[6:7], s[6:7]
	v_mov_b32_e32 v22, s10
	s_xor_b64 exec, exec, s[6:7]
	s_cbranch_execnz .LBB5_3088
.LBB5_1038:
	s_or_b64 exec, exec, s[6:7]
	s_and_saveexec_b64 s[6:7], s[4:5]
	s_cbranch_execz .LBB5_1040
.LBB5_1039:
	v_bfe_u32 v22, v10, 8, 3
	v_ffbh_u32_e32 v24, v22
	v_min_u32_e32 v24, 32, v24
	v_lshrrev_b16_e32 v23, 3, v21
	v_subrev_u32_e32 v25, 28, v24
	v_and_b32_e32 v23, 15, v23
	v_lshlrev_b32_e32 v21, v25, v21
	v_sub_u32_e32 v24, 29, v24
	v_and_b32_e32 v21, 7, v21
	v_cmp_eq_u16_e32 vcc, 0, v23
	v_cndmask_b32_e32 v21, v22, v21, vcc
	v_cndmask_b32_e32 v22, v23, v24, vcc
	v_lshlrev_b32_e32 v23, 16, v10
	v_mov_b32_e32 v24, 0x3b800000
	v_lshlrev_b32_e32 v21, 20, v21
	v_and_b32_e32 v23, 0x80000000, v23
	v_lshl_add_u32 v22, v22, 23, v24
	v_or3_b32 v22, v23, v22, v21
.LBB5_1040:
	s_or_b64 exec, exec, s[6:7]
	s_nop 0
	v_mfma_f32_16x16x4f32 a[0:3], v20, v22, a[0:3]
	s_movk_i32 s4, 0xff
	v_and_b32_sdwa v21, v14, s4 dst_sel:DWORD dst_unused:UNUSED_PAD src0_sel:WORD_1 src1_sel:DWORD
	s_movk_i32 s4, 0x7f
	v_cmp_lt_i16_e32 vcc, s4, v21
	s_mov_b64 s[4:5], 0
                                        ; implicit-def: $sgpr10
	s_and_saveexec_b64 s[6:7], vcc
	s_xor_b64 s[6:7], exec, s[6:7]
	s_cbranch_execnz .LBB5_3089
; %bb.1041:
	s_or_saveexec_b64 s[6:7], s[6:7]
	v_mov_b32_e32 v20, s10
	s_xor_b64 exec, exec, s[6:7]
	s_cbranch_execnz .LBB5_3092
.LBB5_1042:
	s_or_b64 exec, exec, s[6:7]
	s_and_saveexec_b64 s[6:7], s[4:5]
	s_cbranch_execz .LBB5_1044
.LBB5_1043:
	v_bfe_u32 v20, v14, 16, 3
	v_ffbh_u32_e32 v23, v20
	v_min_u32_e32 v23, 32, v23
	v_lshrrev_b32_e32 v21, 19, v14
	v_subrev_u32_e32 v24, 28, v23
	v_and_b32_e32 v21, 15, v21
	v_lshlrev_b32_sdwa v24, v24, v14 dst_sel:DWORD dst_unused:UNUSED_PAD src0_sel:DWORD src1_sel:WORD_1
	v_bfe_u32 v22, v14, 19, 4
	v_sub_u32_e32 v23, 29, v23
	v_and_b32_e32 v24, 7, v24
	v_cmp_eq_u16_e32 vcc, 0, v21
	v_cndmask_b32_e32 v20, v20, v24, vcc
	v_cndmask_b32_e32 v21, v22, v23, vcc
	v_lshlrev_b32_e32 v22, 8, v14
	v_mov_b32_e32 v23, 0x3b800000
	v_lshlrev_b32_e32 v20, 20, v20
	v_and_b32_e32 v22, 0x80000000, v22
	v_lshl_add_u32 v21, v21, 23, v23
	v_or3_b32 v20, v22, v21, v20
.LBB5_1044:
	s_or_b64 exec, exec, s[6:7]
	s_movk_i32 s4, 0xff
	v_and_b32_sdwa v21, v10, s4 dst_sel:DWORD dst_unused:UNUSED_PAD src0_sel:WORD_1 src1_sel:DWORD
	s_movk_i32 s4, 0x7f
	v_cmp_lt_i16_e32 vcc, s4, v21
	s_mov_b64 s[4:5], 0
                                        ; implicit-def: $sgpr10
	s_and_saveexec_b64 s[6:7], vcc
	s_xor_b64 s[6:7], exec, s[6:7]
	s_cbranch_execnz .LBB5_3093
; %bb.1045:
	s_or_saveexec_b64 s[6:7], s[6:7]
	v_mov_b32_e32 v22, s10
	s_xor_b64 exec, exec, s[6:7]
	s_cbranch_execnz .LBB5_3096
.LBB5_1046:
	s_or_b64 exec, exec, s[6:7]
	s_and_saveexec_b64 s[6:7], s[4:5]
	s_cbranch_execz .LBB5_1048
.LBB5_1047:
	v_bfe_u32 v21, v10, 16, 3
	v_ffbh_u32_e32 v24, v21
	v_min_u32_e32 v24, 32, v24
	v_lshrrev_b32_e32 v22, 19, v10
	v_subrev_u32_e32 v25, 28, v24
	v_and_b32_e32 v22, 15, v22
	v_lshlrev_b32_sdwa v25, v25, v10 dst_sel:DWORD dst_unused:UNUSED_PAD src0_sel:DWORD src1_sel:WORD_1
	v_bfe_u32 v23, v10, 19, 4
	v_sub_u32_e32 v24, 29, v24
	v_and_b32_e32 v25, 7, v25
	v_cmp_eq_u16_e32 vcc, 0, v22
	v_cndmask_b32_e32 v21, v21, v25, vcc
	v_cndmask_b32_e32 v22, v23, v24, vcc
	v_lshlrev_b32_e32 v23, 8, v10
	v_mov_b32_e32 v24, 0x3b800000
	v_lshlrev_b32_e32 v21, 20, v21
	v_and_b32_e32 v23, 0x80000000, v23
	v_lshl_add_u32 v22, v22, 23, v24
	v_or3_b32 v22, v23, v22, v21
.LBB5_1048:
	s_or_b64 exec, exec, s[6:7]
	s_nop 0
	v_mfma_f32_16x16x4f32 a[0:3], v20, v22, a[0:3]
	s_movk_i32 s4, 0x7f
	v_cmp_gt_i16_sdwa s[6:7], v14, s4 src0_sel:BYTE_3 src1_sel:DWORD
	s_mov_b64 s[4:5], 0
                                        ; implicit-def: $sgpr10
	s_and_saveexec_b64 s[8:9], s[6:7]
	s_xor_b64 s[6:7], exec, s[8:9]
	s_cbranch_execnz .LBB5_3097
; %bb.1049:
	s_or_saveexec_b64 s[6:7], s[6:7]
	v_mov_b32_e32 v20, s10
	s_xor_b64 exec, exec, s[6:7]
	s_cbranch_execnz .LBB5_3100
.LBB5_1050:
	s_or_b64 exec, exec, s[6:7]
	s_and_saveexec_b64 s[6:7], s[4:5]
	s_cbranch_execz .LBB5_1052
.LBB5_1051:
	v_bfe_u32 v20, v14, 24, 3
	v_ffbh_u32_e32 v24, v20
	v_min_u32_e32 v24, 32, v24
	v_lshrrev_b32_e32 v22, 27, v14
	v_subrev_u32_e32 v25, 28, v24
	v_and_b32_e32 v21, 0x80000000, v14
	v_and_b32_e32 v22, 15, v22
	v_bfe_u32 v23, v14, 27, 4
	v_lshlrev_b32_sdwa v14, v25, v14 dst_sel:DWORD dst_unused:UNUSED_PAD src0_sel:DWORD src1_sel:BYTE_3
	v_sub_u32_e32 v24, 29, v24
	v_and_b32_e32 v14, 7, v14
	v_cmp_eq_u16_e32 vcc, 0, v22
	v_cndmask_b32_e32 v14, v20, v14, vcc
	v_cndmask_b32_e32 v20, v23, v24, vcc
	v_mov_b32_e32 v22, 0x3b800000
	v_lshlrev_b32_e32 v14, 20, v14
	v_lshl_add_u32 v20, v20, 23, v22
	v_or3_b32 v20, v21, v20, v14
.LBB5_1052:
	s_or_b64 exec, exec, s[6:7]
	s_movk_i32 s4, 0x7f
	v_cmp_gt_i16_sdwa s[6:7], v10, s4 src0_sel:BYTE_3 src1_sel:DWORD
	s_mov_b64 s[4:5], 0
                                        ; implicit-def: $sgpr10
	s_and_saveexec_b64 s[8:9], s[6:7]
	s_xor_b64 s[6:7], exec, s[8:9]
	s_cbranch_execnz .LBB5_3101
; %bb.1053:
	s_or_saveexec_b64 s[6:7], s[6:7]
	v_mov_b32_e32 v14, s10
	s_xor_b64 exec, exec, s[6:7]
	s_cbranch_execnz .LBB5_3104
.LBB5_1054:
	s_or_b64 exec, exec, s[6:7]
	s_and_saveexec_b64 s[6:7], s[4:5]
	s_cbranch_execz .LBB5_1056
.LBB5_1055:
	v_bfe_u32 v14, v10, 24, 3
	v_ffbh_u32_e32 v24, v14
	v_min_u32_e32 v24, 32, v24
	v_lshrrev_b32_e32 v22, 27, v10
	v_subrev_u32_e32 v25, 28, v24
	v_and_b32_e32 v21, 0x80000000, v10
	v_and_b32_e32 v22, 15, v22
	v_bfe_u32 v23, v10, 27, 4
	v_lshlrev_b32_sdwa v10, v25, v10 dst_sel:DWORD dst_unused:UNUSED_PAD src0_sel:DWORD src1_sel:BYTE_3
	v_sub_u32_e32 v24, 29, v24
	v_and_b32_e32 v10, 7, v10
	v_cmp_eq_u16_e32 vcc, 0, v22
	v_cndmask_b32_e32 v10, v14, v10, vcc
	v_cndmask_b32_e32 v14, v23, v24, vcc
	v_mov_b32_e32 v22, 0x3b800000
	v_lshlrev_b32_e32 v10, 20, v10
	v_lshl_add_u32 v14, v14, 23, v22
	v_or3_b32 v14, v21, v14, v10
.LBB5_1056:
	s_or_b64 exec, exec, s[6:7]
	s_nop 0
	v_mfma_f32_16x16x4f32 a[0:3], v20, v14, a[0:3]
	s_movk_i32 s4, 0x7f
	v_cmp_gt_i16_sdwa s[6:7], v15, s4 src0_sel:BYTE_0 src1_sel:DWORD
	s_mov_b64 s[4:5], 0
                                        ; implicit-def: $sgpr10
	s_and_saveexec_b64 s[8:9], s[6:7]
	s_xor_b64 s[6:7], exec, s[8:9]
	s_cbranch_execnz .LBB5_3105
; %bb.1057:
	s_or_saveexec_b64 s[6:7], s[6:7]
	v_mov_b32_e32 v10, s10
	s_xor_b64 exec, exec, s[6:7]
	s_cbranch_execnz .LBB5_3108
.LBB5_1058:
	s_or_b64 exec, exec, s[6:7]
	s_and_saveexec_b64 s[6:7], s[4:5]
	s_cbranch_execz .LBB5_1060
.LBB5_1059:
	v_and_b32_e32 v10, 7, v15
	v_ffbh_u32_e32 v20, v10
	v_min_u32_e32 v20, 32, v20
	v_lshrrev_b16_e32 v14, 3, v15
	v_subrev_u32_e32 v21, 28, v20
	v_and_b32_e32 v14, 15, v14
	v_lshlrev_b32_e32 v21, v21, v15
	v_sub_u32_e32 v20, 29, v20
	v_and_b32_e32 v21, 7, v21
	v_cmp_eq_u16_e32 vcc, 0, v14
	v_cndmask_b32_e32 v10, v10, v21, vcc
	v_cndmask_b32_e32 v14, v14, v20, vcc
	v_lshlrev_b32_e32 v20, 24, v15
	v_mov_b32_e32 v21, 0x3b800000
	v_lshlrev_b32_e32 v10, 20, v10
	v_and_b32_e32 v20, 0x80000000, v20
	v_lshl_add_u32 v14, v14, 23, v21
	v_or3_b32 v10, v20, v14, v10
.LBB5_1060:
	s_or_b64 exec, exec, s[6:7]
	s_movk_i32 s4, 0x7f
	v_cmp_gt_i16_sdwa s[6:7], v11, s4 src0_sel:BYTE_0 src1_sel:DWORD
	s_mov_b64 s[4:5], 0
                                        ; implicit-def: $sgpr10
	s_and_saveexec_b64 s[8:9], s[6:7]
	s_xor_b64 s[6:7], exec, s[8:9]
	s_cbranch_execnz .LBB5_3109
; %bb.1061:
	s_or_saveexec_b64 s[6:7], s[6:7]
	v_mov_b32_e32 v14, s10
	s_xor_b64 exec, exec, s[6:7]
	s_cbranch_execnz .LBB5_3112
.LBB5_1062:
	s_or_b64 exec, exec, s[6:7]
	s_and_saveexec_b64 s[6:7], s[4:5]
	s_cbranch_execz .LBB5_1064
.LBB5_1063:
	v_and_b32_e32 v14, 7, v11
	v_ffbh_u32_e32 v21, v14
	v_min_u32_e32 v21, 32, v21
	v_lshrrev_b16_e32 v20, 3, v11
	v_subrev_u32_e32 v22, 28, v21
	v_and_b32_e32 v20, 15, v20
	v_lshlrev_b32_e32 v22, v22, v11
	v_sub_u32_e32 v21, 29, v21
	v_and_b32_e32 v22, 7, v22
	v_cmp_eq_u16_e32 vcc, 0, v20
	v_cndmask_b32_e32 v14, v14, v22, vcc
	v_cndmask_b32_e32 v20, v20, v21, vcc
	v_lshlrev_b32_e32 v21, 24, v11
	v_mov_b32_e32 v22, 0x3b800000
	v_lshlrev_b32_e32 v14, 20, v14
	v_and_b32_e32 v21, 0x80000000, v21
	v_lshl_add_u32 v20, v20, 23, v22
	v_or3_b32 v14, v21, v20, v14
.LBB5_1064:
	s_or_b64 exec, exec, s[6:7]
	s_nop 0
	v_mfma_f32_16x16x4f32 a[0:3], v10, v14, a[0:3]
	v_lshrrev_b32_e32 v14, 8, v15
	s_movk_i32 s4, 0x7f
	v_cmp_gt_i16_sdwa s[6:7], v14, s4 src0_sel:BYTE_0 src1_sel:DWORD
	s_mov_b64 s[4:5], 0
                                        ; implicit-def: $sgpr10
	s_and_saveexec_b64 s[8:9], s[6:7]
	s_xor_b64 s[6:7], exec, s[8:9]
	s_cbranch_execnz .LBB5_3113
; %bb.1065:
	s_or_saveexec_b64 s[6:7], s[6:7]
	v_mov_b32_e32 v10, s10
	s_xor_b64 exec, exec, s[6:7]
	s_cbranch_execnz .LBB5_3116
.LBB5_1066:
	s_or_b64 exec, exec, s[6:7]
	s_and_saveexec_b64 s[6:7], s[4:5]
	s_cbranch_execz .LBB5_1068
.LBB5_1067:
	v_bfe_u32 v10, v15, 8, 3
	v_ffbh_u32_e32 v21, v10
	v_min_u32_e32 v21, 32, v21
	v_lshrrev_b16_e32 v20, 3, v14
	v_subrev_u32_e32 v22, 28, v21
	v_and_b32_e32 v20, 15, v20
	v_lshlrev_b32_e32 v14, v22, v14
	v_sub_u32_e32 v21, 29, v21
	v_and_b32_e32 v14, 7, v14
	v_cmp_eq_u16_e32 vcc, 0, v20
	v_cndmask_b32_e32 v10, v10, v14, vcc
	v_cndmask_b32_e32 v14, v20, v21, vcc
	v_lshlrev_b32_e32 v20, 16, v15
	v_mov_b32_e32 v21, 0x3b800000
	v_lshlrev_b32_e32 v10, 20, v10
	v_and_b32_e32 v20, 0x80000000, v20
	v_lshl_add_u32 v14, v14, 23, v21
	v_or3_b32 v10, v20, v14, v10
.LBB5_1068:
	s_or_b64 exec, exec, s[6:7]
	v_lshrrev_b32_e32 v14, 8, v11
	s_movk_i32 s4, 0x7f
	v_cmp_gt_i16_sdwa s[6:7], v14, s4 src0_sel:BYTE_0 src1_sel:DWORD
	s_mov_b64 s[4:5], 0
                                        ; implicit-def: $sgpr10
	s_and_saveexec_b64 s[8:9], s[6:7]
	s_xor_b64 s[6:7], exec, s[8:9]
	s_cbranch_execnz .LBB5_3117
; %bb.1069:
	s_or_saveexec_b64 s[6:7], s[6:7]
	v_mov_b32_e32 v20, s10
	s_xor_b64 exec, exec, s[6:7]
	s_cbranch_execnz .LBB5_3120
.LBB5_1070:
	s_or_b64 exec, exec, s[6:7]
	s_and_saveexec_b64 s[6:7], s[4:5]
	s_cbranch_execz .LBB5_1072
.LBB5_1071:
	v_bfe_u32 v20, v11, 8, 3
	v_ffbh_u32_e32 v22, v20
	v_min_u32_e32 v22, 32, v22
	v_lshrrev_b16_e32 v21, 3, v14
	v_subrev_u32_e32 v23, 28, v22
	v_and_b32_e32 v21, 15, v21
	v_lshlrev_b32_e32 v14, v23, v14
	v_sub_u32_e32 v22, 29, v22
	v_and_b32_e32 v14, 7, v14
	v_cmp_eq_u16_e32 vcc, 0, v21
	v_cndmask_b32_e32 v14, v20, v14, vcc
	v_cndmask_b32_e32 v20, v21, v22, vcc
	v_lshlrev_b32_e32 v21, 16, v11
	v_mov_b32_e32 v22, 0x3b800000
	v_lshlrev_b32_e32 v14, 20, v14
	v_and_b32_e32 v21, 0x80000000, v21
	v_lshl_add_u32 v20, v20, 23, v22
	v_or3_b32 v20, v21, v20, v14
.LBB5_1072:
	s_or_b64 exec, exec, s[6:7]
	s_nop 0
	v_mfma_f32_16x16x4f32 a[0:3], v10, v20, a[0:3]
	s_movk_i32 s4, 0xff
	v_and_b32_sdwa v14, v15, s4 dst_sel:DWORD dst_unused:UNUSED_PAD src0_sel:WORD_1 src1_sel:DWORD
	s_movk_i32 s4, 0x7f
	v_cmp_lt_i16_e32 vcc, s4, v14
	s_mov_b64 s[4:5], 0
                                        ; implicit-def: $sgpr10
	s_and_saveexec_b64 s[6:7], vcc
	s_xor_b64 s[6:7], exec, s[6:7]
	s_cbranch_execnz .LBB5_3121
; %bb.1073:
	s_or_saveexec_b64 s[6:7], s[6:7]
	v_mov_b32_e32 v10, s10
	s_xor_b64 exec, exec, s[6:7]
	s_cbranch_execnz .LBB5_3124
.LBB5_1074:
	s_or_b64 exec, exec, s[6:7]
	s_and_saveexec_b64 s[6:7], s[4:5]
	s_cbranch_execz .LBB5_1076
.LBB5_1075:
	v_bfe_u32 v10, v15, 16, 3
	v_ffbh_u32_e32 v21, v10
	v_min_u32_e32 v21, 32, v21
	v_lshrrev_b32_e32 v14, 19, v15
	v_subrev_u32_e32 v22, 28, v21
	v_and_b32_e32 v14, 15, v14
	v_lshlrev_b32_sdwa v22, v22, v15 dst_sel:DWORD dst_unused:UNUSED_PAD src0_sel:DWORD src1_sel:WORD_1
	v_bfe_u32 v20, v15, 19, 4
	v_sub_u32_e32 v21, 29, v21
	v_and_b32_e32 v22, 7, v22
	v_cmp_eq_u16_e32 vcc, 0, v14
	v_cndmask_b32_e32 v10, v10, v22, vcc
	v_cndmask_b32_e32 v14, v20, v21, vcc
	v_lshlrev_b32_e32 v20, 8, v15
	v_mov_b32_e32 v21, 0x3b800000
	v_lshlrev_b32_e32 v10, 20, v10
	v_and_b32_e32 v20, 0x80000000, v20
	v_lshl_add_u32 v14, v14, 23, v21
	v_or3_b32 v10, v20, v14, v10
.LBB5_1076:
	s_or_b64 exec, exec, s[6:7]
	s_movk_i32 s4, 0xff
	v_and_b32_sdwa v14, v11, s4 dst_sel:DWORD dst_unused:UNUSED_PAD src0_sel:WORD_1 src1_sel:DWORD
	s_movk_i32 s4, 0x7f
	v_cmp_lt_i16_e32 vcc, s4, v14
	s_mov_b64 s[4:5], 0
                                        ; implicit-def: $sgpr10
	s_and_saveexec_b64 s[6:7], vcc
	s_xor_b64 s[6:7], exec, s[6:7]
	s_cbranch_execnz .LBB5_3125
; %bb.1077:
	s_or_saveexec_b64 s[6:7], s[6:7]
	v_mov_b32_e32 v20, s10
	s_xor_b64 exec, exec, s[6:7]
	s_cbranch_execnz .LBB5_3128
.LBB5_1078:
	s_or_b64 exec, exec, s[6:7]
	s_and_saveexec_b64 s[6:7], s[4:5]
	s_cbranch_execz .LBB5_1080
.LBB5_1079:
	v_bfe_u32 v14, v11, 16, 3
	v_ffbh_u32_e32 v22, v14
	v_min_u32_e32 v22, 32, v22
	v_lshrrev_b32_e32 v20, 19, v11
	v_subrev_u32_e32 v23, 28, v22
	v_and_b32_e32 v20, 15, v20
	v_lshlrev_b32_sdwa v23, v23, v11 dst_sel:DWORD dst_unused:UNUSED_PAD src0_sel:DWORD src1_sel:WORD_1
	v_bfe_u32 v21, v11, 19, 4
	v_sub_u32_e32 v22, 29, v22
	v_and_b32_e32 v23, 7, v23
	v_cmp_eq_u16_e32 vcc, 0, v20
	v_cndmask_b32_e32 v14, v14, v23, vcc
	v_cndmask_b32_e32 v20, v21, v22, vcc
	v_lshlrev_b32_e32 v21, 8, v11
	v_mov_b32_e32 v22, 0x3b800000
	v_lshlrev_b32_e32 v14, 20, v14
	v_and_b32_e32 v21, 0x80000000, v21
	v_lshl_add_u32 v20, v20, 23, v22
	v_or3_b32 v20, v21, v20, v14
.LBB5_1080:
	s_or_b64 exec, exec, s[6:7]
	s_nop 0
	v_mfma_f32_16x16x4f32 a[0:3], v10, v20, a[0:3]
	s_movk_i32 s4, 0x7f
	v_cmp_gt_i16_sdwa s[6:7], v15, s4 src0_sel:BYTE_3 src1_sel:DWORD
	s_mov_b64 s[4:5], 0
                                        ; implicit-def: $sgpr10
	s_and_saveexec_b64 s[8:9], s[6:7]
	s_xor_b64 s[6:7], exec, s[8:9]
	s_cbranch_execnz .LBB5_3129
; %bb.1081:
	s_or_saveexec_b64 s[6:7], s[6:7]
	v_mov_b32_e32 v10, s10
	s_xor_b64 exec, exec, s[6:7]
	s_cbranch_execnz .LBB5_3132
.LBB5_1082:
	s_or_b64 exec, exec, s[6:7]
	s_and_saveexec_b64 s[6:7], s[4:5]
	s_cbranch_execz .LBB5_1084
.LBB5_1083:
	v_bfe_u32 v10, v15, 24, 3
	v_ffbh_u32_e32 v22, v10
	v_min_u32_e32 v22, 32, v22
	v_lshrrev_b32_e32 v20, 27, v15
	v_subrev_u32_e32 v23, 28, v22
	v_and_b32_e32 v14, 0x80000000, v15
	v_and_b32_e32 v20, 15, v20
	v_bfe_u32 v21, v15, 27, 4
	v_lshlrev_b32_sdwa v15, v23, v15 dst_sel:DWORD dst_unused:UNUSED_PAD src0_sel:DWORD src1_sel:BYTE_3
	v_sub_u32_e32 v22, 29, v22
	v_and_b32_e32 v15, 7, v15
	v_cmp_eq_u16_e32 vcc, 0, v20
	v_cndmask_b32_e32 v10, v10, v15, vcc
	v_cndmask_b32_e32 v15, v21, v22, vcc
	v_mov_b32_e32 v20, 0x3b800000
	v_lshlrev_b32_e32 v10, 20, v10
	v_lshl_add_u32 v15, v15, 23, v20
	v_or3_b32 v10, v14, v15, v10
.LBB5_1084:
	s_or_b64 exec, exec, s[6:7]
	s_movk_i32 s4, 0x7f
	v_cmp_gt_i16_sdwa s[6:7], v11, s4 src0_sel:BYTE_3 src1_sel:DWORD
	s_mov_b64 s[4:5], 0
                                        ; implicit-def: $sgpr10
	s_and_saveexec_b64 s[8:9], s[6:7]
	s_xor_b64 s[6:7], exec, s[8:9]
	s_cbranch_execnz .LBB5_3133
; %bb.1085:
	s_or_saveexec_b64 s[6:7], s[6:7]
	v_mov_b32_e32 v14, s10
	s_xor_b64 exec, exec, s[6:7]
	s_cbranch_execnz .LBB5_3136
.LBB5_1086:
	s_or_b64 exec, exec, s[6:7]
	s_and_saveexec_b64 s[6:7], s[4:5]
	s_cbranch_execz .LBB5_1088
.LBB5_1087:
	v_bfe_u32 v14, v11, 24, 3
	v_ffbh_u32_e32 v22, v14
	v_min_u32_e32 v22, 32, v22
	v_lshrrev_b32_e32 v20, 27, v11
	v_subrev_u32_e32 v23, 28, v22
	v_and_b32_e32 v15, 0x80000000, v11
	v_and_b32_e32 v20, 15, v20
	v_bfe_u32 v21, v11, 27, 4
	v_lshlrev_b32_sdwa v11, v23, v11 dst_sel:DWORD dst_unused:UNUSED_PAD src0_sel:DWORD src1_sel:BYTE_3
	v_sub_u32_e32 v22, 29, v22
	v_and_b32_e32 v11, 7, v11
	v_cmp_eq_u16_e32 vcc, 0, v20
	v_cndmask_b32_e32 v11, v14, v11, vcc
	v_cndmask_b32_e32 v14, v21, v22, vcc
	v_mov_b32_e32 v20, 0x3b800000
	v_lshlrev_b32_e32 v11, 20, v11
	v_lshl_add_u32 v14, v14, 23, v20
	v_or3_b32 v14, v15, v14, v11
.LBB5_1088:
	s_or_b64 exec, exec, s[6:7]
	s_nop 0
	v_mfma_f32_16x16x4f32 a[0:3], v10, v14, a[0:3]
	s_movk_i32 s4, 0x7f
	v_cmp_gt_i16_sdwa s[6:7], v16, s4 src0_sel:BYTE_0 src1_sel:DWORD
	s_mov_b64 s[4:5], 0
                                        ; implicit-def: $sgpr10
	s_and_saveexec_b64 s[8:9], s[6:7]
	s_xor_b64 s[6:7], exec, s[8:9]
	s_cbranch_execnz .LBB5_3137
; %bb.1089:
	s_or_saveexec_b64 s[6:7], s[6:7]
	v_mov_b32_e32 v10, s10
	s_xor_b64 exec, exec, s[6:7]
	s_cbranch_execnz .LBB5_3140
.LBB5_1090:
	s_or_b64 exec, exec, s[6:7]
	s_and_saveexec_b64 s[6:7], s[4:5]
	s_cbranch_execz .LBB5_1092
.LBB5_1091:
	v_and_b32_e32 v10, 7, v16
	v_ffbh_u32_e32 v14, v10
	v_min_u32_e32 v14, 32, v14
	v_lshrrev_b16_e32 v11, 3, v16
	v_subrev_u32_e32 v15, 28, v14
	v_and_b32_e32 v11, 15, v11
	v_lshlrev_b32_e32 v15, v15, v16
	v_sub_u32_e32 v14, 29, v14
	v_and_b32_e32 v15, 7, v15
	v_cmp_eq_u16_e32 vcc, 0, v11
	v_cndmask_b32_e32 v10, v10, v15, vcc
	v_cndmask_b32_e32 v11, v11, v14, vcc
	v_lshlrev_b32_e32 v14, 24, v16
	v_mov_b32_e32 v15, 0x3b800000
	v_lshlrev_b32_e32 v10, 20, v10
	v_and_b32_e32 v14, 0x80000000, v14
	v_lshl_add_u32 v11, v11, 23, v15
	v_or3_b32 v10, v14, v11, v10
.LBB5_1092:
	s_or_b64 exec, exec, s[6:7]
	s_movk_i32 s4, 0x7f
	v_cmp_gt_i16_sdwa s[6:7], v12, s4 src0_sel:BYTE_0 src1_sel:DWORD
	s_mov_b64 s[4:5], 0
                                        ; implicit-def: $sgpr10
	s_and_saveexec_b64 s[8:9], s[6:7]
	s_xor_b64 s[6:7], exec, s[8:9]
	s_cbranch_execnz .LBB5_3141
; %bb.1093:
	s_or_saveexec_b64 s[6:7], s[6:7]
	v_mov_b32_e32 v11, s10
	s_xor_b64 exec, exec, s[6:7]
	s_cbranch_execnz .LBB5_3144
.LBB5_1094:
	s_or_b64 exec, exec, s[6:7]
	s_and_saveexec_b64 s[6:7], s[4:5]
	s_cbranch_execz .LBB5_1096
.LBB5_1095:
	v_and_b32_e32 v11, 7, v12
	v_ffbh_u32_e32 v15, v11
	v_min_u32_e32 v15, 32, v15
	v_lshrrev_b16_e32 v14, 3, v12
	v_subrev_u32_e32 v20, 28, v15
	v_and_b32_e32 v14, 15, v14
	v_lshlrev_b32_e32 v20, v20, v12
	v_sub_u32_e32 v15, 29, v15
	v_and_b32_e32 v20, 7, v20
	v_cmp_eq_u16_e32 vcc, 0, v14
	v_cndmask_b32_e32 v11, v11, v20, vcc
	v_cndmask_b32_e32 v14, v14, v15, vcc
	v_lshlrev_b32_e32 v15, 24, v12
	v_mov_b32_e32 v20, 0x3b800000
	v_lshlrev_b32_e32 v11, 20, v11
	v_and_b32_e32 v15, 0x80000000, v15
	v_lshl_add_u32 v14, v14, 23, v20
	v_or3_b32 v11, v15, v14, v11
.LBB5_1096:
	s_or_b64 exec, exec, s[6:7]
	s_nop 0
	v_mfma_f32_16x16x4f32 a[0:3], v10, v11, a[0:3]
	v_lshrrev_b32_e32 v11, 8, v16
	s_movk_i32 s4, 0x7f
	v_cmp_gt_i16_sdwa s[6:7], v11, s4 src0_sel:BYTE_0 src1_sel:DWORD
	s_mov_b64 s[4:5], 0
                                        ; implicit-def: $sgpr10
	s_and_saveexec_b64 s[8:9], s[6:7]
	s_xor_b64 s[6:7], exec, s[8:9]
	s_cbranch_execnz .LBB5_3145
; %bb.1097:
	s_or_saveexec_b64 s[6:7], s[6:7]
	v_mov_b32_e32 v10, s10
	s_xor_b64 exec, exec, s[6:7]
	s_cbranch_execnz .LBB5_3148
.LBB5_1098:
	s_or_b64 exec, exec, s[6:7]
	s_and_saveexec_b64 s[6:7], s[4:5]
	s_cbranch_execz .LBB5_1100
.LBB5_1099:
	v_bfe_u32 v10, v16, 8, 3
	v_ffbh_u32_e32 v15, v10
	v_min_u32_e32 v15, 32, v15
	v_lshrrev_b16_e32 v14, 3, v11
	v_subrev_u32_e32 v20, 28, v15
	v_and_b32_e32 v14, 15, v14
	v_lshlrev_b32_e32 v11, v20, v11
	v_sub_u32_e32 v15, 29, v15
	v_and_b32_e32 v11, 7, v11
	v_cmp_eq_u16_e32 vcc, 0, v14
	v_cndmask_b32_e32 v10, v10, v11, vcc
	v_cndmask_b32_e32 v11, v14, v15, vcc
	v_lshlrev_b32_e32 v14, 16, v16
	v_mov_b32_e32 v15, 0x3b800000
	v_lshlrev_b32_e32 v10, 20, v10
	v_and_b32_e32 v14, 0x80000000, v14
	v_lshl_add_u32 v11, v11, 23, v15
	v_or3_b32 v10, v14, v11, v10
.LBB5_1100:
	s_or_b64 exec, exec, s[6:7]
	v_lshrrev_b32_e32 v11, 8, v12
	s_movk_i32 s4, 0x7f
	v_cmp_gt_i16_sdwa s[6:7], v11, s4 src0_sel:BYTE_0 src1_sel:DWORD
	s_mov_b64 s[4:5], 0
                                        ; implicit-def: $sgpr10
	s_and_saveexec_b64 s[8:9], s[6:7]
	s_xor_b64 s[6:7], exec, s[8:9]
	s_cbranch_execnz .LBB5_3149
; %bb.1101:
	s_or_saveexec_b64 s[6:7], s[6:7]
	v_mov_b32_e32 v14, s10
	s_xor_b64 exec, exec, s[6:7]
	s_cbranch_execnz .LBB5_3152
.LBB5_1102:
	s_or_b64 exec, exec, s[6:7]
	s_and_saveexec_b64 s[6:7], s[4:5]
	s_cbranch_execz .LBB5_1104
.LBB5_1103:
	v_bfe_u32 v14, v12, 8, 3
	v_ffbh_u32_e32 v20, v14
	v_min_u32_e32 v20, 32, v20
	v_lshrrev_b16_e32 v15, 3, v11
	v_subrev_u32_e32 v21, 28, v20
	v_and_b32_e32 v15, 15, v15
	v_lshlrev_b32_e32 v11, v21, v11
	v_sub_u32_e32 v20, 29, v20
	v_and_b32_e32 v11, 7, v11
	v_cmp_eq_u16_e32 vcc, 0, v15
	v_cndmask_b32_e32 v11, v14, v11, vcc
	v_cndmask_b32_e32 v14, v15, v20, vcc
	v_lshlrev_b32_e32 v15, 16, v12
	v_mov_b32_e32 v20, 0x3b800000
	v_lshlrev_b32_e32 v11, 20, v11
	v_and_b32_e32 v15, 0x80000000, v15
	v_lshl_add_u32 v14, v14, 23, v20
	v_or3_b32 v14, v15, v14, v11
.LBB5_1104:
	s_or_b64 exec, exec, s[6:7]
	s_nop 0
	v_mfma_f32_16x16x4f32 a[0:3], v10, v14, a[0:3]
	s_movk_i32 s4, 0xff
	v_and_b32_sdwa v11, v16, s4 dst_sel:DWORD dst_unused:UNUSED_PAD src0_sel:WORD_1 src1_sel:DWORD
	s_movk_i32 s4, 0x7f
	v_cmp_lt_i16_e32 vcc, s4, v11
	s_mov_b64 s[4:5], 0
                                        ; implicit-def: $sgpr10
	s_and_saveexec_b64 s[6:7], vcc
	s_xor_b64 s[6:7], exec, s[6:7]
	s_cbranch_execnz .LBB5_3153
; %bb.1105:
	s_or_saveexec_b64 s[6:7], s[6:7]
	v_mov_b32_e32 v10, s10
	s_xor_b64 exec, exec, s[6:7]
	s_cbranch_execnz .LBB5_3156
.LBB5_1106:
	s_or_b64 exec, exec, s[6:7]
	s_and_saveexec_b64 s[6:7], s[4:5]
	s_cbranch_execz .LBB5_1108
.LBB5_1107:
	v_bfe_u32 v10, v16, 16, 3
	v_ffbh_u32_e32 v15, v10
	v_min_u32_e32 v15, 32, v15
	v_lshrrev_b32_e32 v11, 19, v16
	v_subrev_u32_e32 v20, 28, v15
	v_and_b32_e32 v11, 15, v11
	v_lshlrev_b32_sdwa v20, v20, v16 dst_sel:DWORD dst_unused:UNUSED_PAD src0_sel:DWORD src1_sel:WORD_1
	v_bfe_u32 v14, v16, 19, 4
	v_sub_u32_e32 v15, 29, v15
	v_and_b32_e32 v20, 7, v20
	v_cmp_eq_u16_e32 vcc, 0, v11
	v_cndmask_b32_e32 v10, v10, v20, vcc
	v_cndmask_b32_e32 v11, v14, v15, vcc
	v_lshlrev_b32_e32 v14, 8, v16
	v_mov_b32_e32 v15, 0x3b800000
	v_lshlrev_b32_e32 v10, 20, v10
	v_and_b32_e32 v14, 0x80000000, v14
	v_lshl_add_u32 v11, v11, 23, v15
	v_or3_b32 v10, v14, v11, v10
.LBB5_1108:
	s_or_b64 exec, exec, s[6:7]
	s_movk_i32 s4, 0xff
	v_and_b32_sdwa v11, v12, s4 dst_sel:DWORD dst_unused:UNUSED_PAD src0_sel:WORD_1 src1_sel:DWORD
	s_movk_i32 s4, 0x7f
	v_cmp_lt_i16_e32 vcc, s4, v11
	s_mov_b64 s[4:5], 0
                                        ; implicit-def: $sgpr10
	s_and_saveexec_b64 s[6:7], vcc
	s_xor_b64 s[6:7], exec, s[6:7]
	s_cbranch_execnz .LBB5_3157
; %bb.1109:
	s_or_saveexec_b64 s[6:7], s[6:7]
	v_mov_b32_e32 v14, s10
	s_xor_b64 exec, exec, s[6:7]
	s_cbranch_execnz .LBB5_3160
.LBB5_1110:
	s_or_b64 exec, exec, s[6:7]
	s_and_saveexec_b64 s[6:7], s[4:5]
	s_cbranch_execz .LBB5_1112
.LBB5_1111:
	v_bfe_u32 v11, v12, 16, 3
	v_ffbh_u32_e32 v20, v11
	v_min_u32_e32 v20, 32, v20
	v_lshrrev_b32_e32 v14, 19, v12
	v_subrev_u32_e32 v21, 28, v20
	v_and_b32_e32 v14, 15, v14
	v_lshlrev_b32_sdwa v21, v21, v12 dst_sel:DWORD dst_unused:UNUSED_PAD src0_sel:DWORD src1_sel:WORD_1
	v_bfe_u32 v15, v12, 19, 4
	v_sub_u32_e32 v20, 29, v20
	v_and_b32_e32 v21, 7, v21
	v_cmp_eq_u16_e32 vcc, 0, v14
	v_cndmask_b32_e32 v11, v11, v21, vcc
	v_cndmask_b32_e32 v14, v15, v20, vcc
	v_lshlrev_b32_e32 v15, 8, v12
	v_mov_b32_e32 v20, 0x3b800000
	v_lshlrev_b32_e32 v11, 20, v11
	v_and_b32_e32 v15, 0x80000000, v15
	v_lshl_add_u32 v14, v14, 23, v20
	v_or3_b32 v14, v15, v14, v11
.LBB5_1112:
	s_or_b64 exec, exec, s[6:7]
	s_nop 0
	v_mfma_f32_16x16x4f32 a[0:3], v10, v14, a[0:3]
	s_movk_i32 s4, 0x7f
	v_cmp_gt_i16_sdwa s[6:7], v16, s4 src0_sel:BYTE_3 src1_sel:DWORD
	s_mov_b64 s[4:5], 0
                                        ; implicit-def: $sgpr10
	s_and_saveexec_b64 s[8:9], s[6:7]
	s_xor_b64 s[6:7], exec, s[8:9]
	s_cbranch_execnz .LBB5_3161
; %bb.1113:
	s_or_saveexec_b64 s[6:7], s[6:7]
	v_mov_b32_e32 v10, s10
	s_xor_b64 exec, exec, s[6:7]
	s_cbranch_execnz .LBB5_3164
.LBB5_1114:
	s_or_b64 exec, exec, s[6:7]
	s_and_saveexec_b64 s[6:7], s[4:5]
	s_cbranch_execz .LBB5_1116
.LBB5_1115:
	v_bfe_u32 v10, v16, 24, 3
	v_ffbh_u32_e32 v20, v10
	v_min_u32_e32 v20, 32, v20
	v_lshrrev_b32_e32 v14, 27, v16
	v_subrev_u32_e32 v21, 28, v20
	v_and_b32_e32 v11, 0x80000000, v16
	v_and_b32_e32 v14, 15, v14
	v_bfe_u32 v15, v16, 27, 4
	v_lshlrev_b32_sdwa v16, v21, v16 dst_sel:DWORD dst_unused:UNUSED_PAD src0_sel:DWORD src1_sel:BYTE_3
	v_sub_u32_e32 v20, 29, v20
	v_and_b32_e32 v16, 7, v16
	v_cmp_eq_u16_e32 vcc, 0, v14
	v_cndmask_b32_e32 v10, v10, v16, vcc
	v_cndmask_b32_e32 v14, v15, v20, vcc
	v_mov_b32_e32 v15, 0x3b800000
	v_lshlrev_b32_e32 v10, 20, v10
	v_lshl_add_u32 v14, v14, 23, v15
	v_or3_b32 v10, v11, v14, v10
.LBB5_1116:
	s_or_b64 exec, exec, s[6:7]
	s_movk_i32 s4, 0x7f
	v_cmp_gt_i16_sdwa s[6:7], v12, s4 src0_sel:BYTE_3 src1_sel:DWORD
	s_mov_b64 s[4:5], 0
                                        ; implicit-def: $sgpr10
	s_and_saveexec_b64 s[8:9], s[6:7]
	s_xor_b64 s[6:7], exec, s[8:9]
	s_cbranch_execnz .LBB5_3165
; %bb.1117:
	s_or_saveexec_b64 s[6:7], s[6:7]
	v_mov_b32_e32 v11, s10
	s_xor_b64 exec, exec, s[6:7]
	s_cbranch_execnz .LBB5_3168
.LBB5_1118:
	s_or_b64 exec, exec, s[6:7]
	s_and_saveexec_b64 s[6:7], s[4:5]
	s_cbranch_execz .LBB5_1120
.LBB5_1119:
	v_bfe_u32 v11, v12, 24, 3
	v_ffbh_u32_e32 v20, v11
	v_min_u32_e32 v20, 32, v20
	v_lshrrev_b32_e32 v15, 27, v12
	v_subrev_u32_e32 v21, 28, v20
	v_and_b32_e32 v14, 0x80000000, v12
	v_and_b32_e32 v15, 15, v15
	v_bfe_u32 v16, v12, 27, 4
	v_lshlrev_b32_sdwa v12, v21, v12 dst_sel:DWORD dst_unused:UNUSED_PAD src0_sel:DWORD src1_sel:BYTE_3
	v_sub_u32_e32 v20, 29, v20
	v_and_b32_e32 v12, 7, v12
	v_cmp_eq_u16_e32 vcc, 0, v15
	v_cndmask_b32_e32 v11, v11, v12, vcc
	v_cndmask_b32_e32 v12, v16, v20, vcc
	v_mov_b32_e32 v15, 0x3b800000
	v_lshlrev_b32_e32 v11, 20, v11
	v_lshl_add_u32 v12, v12, 23, v15
	v_or3_b32 v11, v14, v12, v11
.LBB5_1120:
	s_or_b64 exec, exec, s[6:7]
	s_nop 0
	v_mfma_f32_16x16x4f32 a[0:3], v10, v11, a[0:3]
	s_movk_i32 s4, 0x7f
	v_cmp_gt_i16_sdwa s[6:7], v17, s4 src0_sel:BYTE_0 src1_sel:DWORD
	s_mov_b64 s[4:5], 0
                                        ; implicit-def: $sgpr10
	s_and_saveexec_b64 s[8:9], s[6:7]
	s_xor_b64 s[6:7], exec, s[8:9]
	s_cbranch_execnz .LBB5_3169
; %bb.1121:
	s_or_saveexec_b64 s[6:7], s[6:7]
	v_mov_b32_e32 v10, s10
	s_xor_b64 exec, exec, s[6:7]
	s_cbranch_execnz .LBB5_3172
.LBB5_1122:
	s_or_b64 exec, exec, s[6:7]
	s_and_saveexec_b64 s[6:7], s[4:5]
	s_cbranch_execz .LBB5_1124
.LBB5_1123:
	v_and_b32_e32 v10, 7, v17
	v_ffbh_u32_e32 v12, v10
	v_min_u32_e32 v12, 32, v12
	v_lshrrev_b16_e32 v11, 3, v17
	v_subrev_u32_e32 v14, 28, v12
	v_and_b32_e32 v11, 15, v11
	v_lshlrev_b32_e32 v14, v14, v17
	v_sub_u32_e32 v12, 29, v12
	v_and_b32_e32 v14, 7, v14
	v_cmp_eq_u16_e32 vcc, 0, v11
	v_cndmask_b32_e32 v10, v10, v14, vcc
	v_cndmask_b32_e32 v11, v11, v12, vcc
	v_lshlrev_b32_e32 v12, 24, v17
	v_mov_b32_e32 v14, 0x3b800000
	v_lshlrev_b32_e32 v10, 20, v10
	v_and_b32_e32 v12, 0x80000000, v12
	v_lshl_add_u32 v11, v11, 23, v14
	v_or3_b32 v10, v12, v11, v10
.LBB5_1124:
	s_or_b64 exec, exec, s[6:7]
	s_movk_i32 s4, 0x7f
	v_cmp_gt_i16_sdwa s[6:7], v13, s4 src0_sel:BYTE_0 src1_sel:DWORD
	s_mov_b64 s[4:5], 0
                                        ; implicit-def: $sgpr10
	s_and_saveexec_b64 s[8:9], s[6:7]
	s_xor_b64 s[6:7], exec, s[8:9]
	s_cbranch_execnz .LBB5_3173
; %bb.1125:
	s_or_saveexec_b64 s[6:7], s[6:7]
	v_mov_b32_e32 v11, s10
	s_xor_b64 exec, exec, s[6:7]
	s_cbranch_execnz .LBB5_3176
.LBB5_1126:
	s_or_b64 exec, exec, s[6:7]
	s_and_saveexec_b64 s[6:7], s[4:5]
	s_cbranch_execz .LBB5_1128
.LBB5_1127:
	v_and_b32_e32 v11, 7, v13
	v_ffbh_u32_e32 v14, v11
	v_min_u32_e32 v14, 32, v14
	v_lshrrev_b16_e32 v12, 3, v13
	v_subrev_u32_e32 v15, 28, v14
	v_and_b32_e32 v12, 15, v12
	v_lshlrev_b32_e32 v15, v15, v13
	v_sub_u32_e32 v14, 29, v14
	v_and_b32_e32 v15, 7, v15
	v_cmp_eq_u16_e32 vcc, 0, v12
	v_cndmask_b32_e32 v11, v11, v15, vcc
	v_cndmask_b32_e32 v12, v12, v14, vcc
	v_lshlrev_b32_e32 v14, 24, v13
	v_mov_b32_e32 v15, 0x3b800000
	v_lshlrev_b32_e32 v11, 20, v11
	v_and_b32_e32 v14, 0x80000000, v14
	v_lshl_add_u32 v12, v12, 23, v15
	v_or3_b32 v11, v14, v12, v11
.LBB5_1128:
	s_or_b64 exec, exec, s[6:7]
	s_nop 0
	v_mfma_f32_16x16x4f32 a[0:3], v10, v11, a[0:3]
	v_lshrrev_b32_e32 v11, 8, v17
	s_movk_i32 s4, 0x7f
	v_cmp_gt_i16_sdwa s[6:7], v11, s4 src0_sel:BYTE_0 src1_sel:DWORD
	s_mov_b64 s[4:5], 0
                                        ; implicit-def: $sgpr10
	s_and_saveexec_b64 s[8:9], s[6:7]
	s_xor_b64 s[6:7], exec, s[8:9]
	s_cbranch_execnz .LBB5_3177
; %bb.1129:
	s_or_saveexec_b64 s[6:7], s[6:7]
	v_mov_b32_e32 v10, s10
	s_xor_b64 exec, exec, s[6:7]
	s_cbranch_execnz .LBB5_3180
.LBB5_1130:
	s_or_b64 exec, exec, s[6:7]
	s_and_saveexec_b64 s[6:7], s[4:5]
	s_cbranch_execz .LBB5_1132
.LBB5_1131:
	v_bfe_u32 v10, v17, 8, 3
	v_ffbh_u32_e32 v14, v10
	v_min_u32_e32 v14, 32, v14
	v_lshrrev_b16_e32 v12, 3, v11
	v_subrev_u32_e32 v15, 28, v14
	v_and_b32_e32 v12, 15, v12
	v_lshlrev_b32_e32 v11, v15, v11
	v_sub_u32_e32 v14, 29, v14
	v_and_b32_e32 v11, 7, v11
	v_cmp_eq_u16_e32 vcc, 0, v12
	v_cndmask_b32_e32 v10, v10, v11, vcc
	v_cndmask_b32_e32 v11, v12, v14, vcc
	v_lshlrev_b32_e32 v12, 16, v17
	v_mov_b32_e32 v14, 0x3b800000
	v_lshlrev_b32_e32 v10, 20, v10
	v_and_b32_e32 v12, 0x80000000, v12
	v_lshl_add_u32 v11, v11, 23, v14
	v_or3_b32 v10, v12, v11, v10
.LBB5_1132:
	s_or_b64 exec, exec, s[6:7]
	v_lshrrev_b32_e32 v11, 8, v13
	s_movk_i32 s4, 0x7f
	v_cmp_gt_i16_sdwa s[6:7], v11, s4 src0_sel:BYTE_0 src1_sel:DWORD
	s_mov_b64 s[4:5], 0
                                        ; implicit-def: $sgpr10
	s_and_saveexec_b64 s[8:9], s[6:7]
	s_xor_b64 s[6:7], exec, s[8:9]
	s_cbranch_execnz .LBB5_3181
; %bb.1133:
	s_or_saveexec_b64 s[6:7], s[6:7]
	v_mov_b32_e32 v12, s10
	s_xor_b64 exec, exec, s[6:7]
	s_cbranch_execnz .LBB5_3184
.LBB5_1134:
	s_or_b64 exec, exec, s[6:7]
	s_and_saveexec_b64 s[6:7], s[4:5]
	s_cbranch_execz .LBB5_1136
.LBB5_1135:
	v_bfe_u32 v12, v13, 8, 3
	v_ffbh_u32_e32 v15, v12
	v_min_u32_e32 v15, 32, v15
	v_lshrrev_b16_e32 v14, 3, v11
	v_subrev_u32_e32 v16, 28, v15
	v_and_b32_e32 v14, 15, v14
	v_lshlrev_b32_e32 v11, v16, v11
	v_sub_u32_e32 v15, 29, v15
	v_and_b32_e32 v11, 7, v11
	v_cmp_eq_u16_e32 vcc, 0, v14
	v_cndmask_b32_e32 v11, v12, v11, vcc
	v_cndmask_b32_e32 v12, v14, v15, vcc
	v_lshlrev_b32_e32 v14, 16, v13
	v_mov_b32_e32 v15, 0x3b800000
	v_lshlrev_b32_e32 v11, 20, v11
	v_and_b32_e32 v14, 0x80000000, v14
	v_lshl_add_u32 v12, v12, 23, v15
	v_or3_b32 v12, v14, v12, v11
.LBB5_1136:
	s_or_b64 exec, exec, s[6:7]
	s_nop 0
	v_mfma_f32_16x16x4f32 a[0:3], v10, v12, a[0:3]
	s_movk_i32 s4, 0xff
	v_and_b32_sdwa v11, v17, s4 dst_sel:DWORD dst_unused:UNUSED_PAD src0_sel:WORD_1 src1_sel:DWORD
	s_movk_i32 s4, 0x7f
	v_cmp_lt_i16_e32 vcc, s4, v11
	s_mov_b64 s[4:5], 0
                                        ; implicit-def: $sgpr10
	s_and_saveexec_b64 s[6:7], vcc
	s_xor_b64 s[6:7], exec, s[6:7]
	s_cbranch_execnz .LBB5_3185
; %bb.1137:
	s_or_saveexec_b64 s[6:7], s[6:7]
	v_mov_b32_e32 v10, s10
	s_xor_b64 exec, exec, s[6:7]
	s_cbranch_execnz .LBB5_3188
.LBB5_1138:
	s_or_b64 exec, exec, s[6:7]
	s_and_saveexec_b64 s[6:7], s[4:5]
	s_cbranch_execz .LBB5_1140
.LBB5_1139:
	v_bfe_u32 v10, v17, 16, 3
	v_ffbh_u32_e32 v14, v10
	v_min_u32_e32 v14, 32, v14
	v_lshrrev_b32_e32 v11, 19, v17
	v_subrev_u32_e32 v15, 28, v14
	v_and_b32_e32 v11, 15, v11
	v_lshlrev_b32_sdwa v15, v15, v17 dst_sel:DWORD dst_unused:UNUSED_PAD src0_sel:DWORD src1_sel:WORD_1
	v_bfe_u32 v12, v17, 19, 4
	v_sub_u32_e32 v14, 29, v14
	v_and_b32_e32 v15, 7, v15
	v_cmp_eq_u16_e32 vcc, 0, v11
	v_cndmask_b32_e32 v10, v10, v15, vcc
	v_cndmask_b32_e32 v11, v12, v14, vcc
	v_lshlrev_b32_e32 v12, 8, v17
	v_mov_b32_e32 v14, 0x3b800000
	v_lshlrev_b32_e32 v10, 20, v10
	v_and_b32_e32 v12, 0x80000000, v12
	v_lshl_add_u32 v11, v11, 23, v14
	v_or3_b32 v10, v12, v11, v10
.LBB5_1140:
	s_or_b64 exec, exec, s[6:7]
	s_movk_i32 s4, 0xff
	v_and_b32_sdwa v11, v13, s4 dst_sel:DWORD dst_unused:UNUSED_PAD src0_sel:WORD_1 src1_sel:DWORD
	s_movk_i32 s4, 0x7f
	v_cmp_lt_i16_e32 vcc, s4, v11
	s_mov_b64 s[4:5], 0
                                        ; implicit-def: $sgpr10
	s_and_saveexec_b64 s[6:7], vcc
	s_xor_b64 s[6:7], exec, s[6:7]
	s_cbranch_execnz .LBB5_3189
; %bb.1141:
	s_or_saveexec_b64 s[6:7], s[6:7]
	v_mov_b32_e32 v12, s10
	s_xor_b64 exec, exec, s[6:7]
	s_cbranch_execnz .LBB5_3192
.LBB5_1142:
	s_or_b64 exec, exec, s[6:7]
	s_and_saveexec_b64 s[6:7], s[4:5]
	s_cbranch_execz .LBB5_1144
.LBB5_1143:
	v_bfe_u32 v11, v13, 16, 3
	v_ffbh_u32_e32 v15, v11
	v_min_u32_e32 v15, 32, v15
	v_lshrrev_b32_e32 v12, 19, v13
	v_subrev_u32_e32 v16, 28, v15
	v_and_b32_e32 v12, 15, v12
	v_lshlrev_b32_sdwa v16, v16, v13 dst_sel:DWORD dst_unused:UNUSED_PAD src0_sel:DWORD src1_sel:WORD_1
	v_bfe_u32 v14, v13, 19, 4
	v_sub_u32_e32 v15, 29, v15
	v_and_b32_e32 v16, 7, v16
	v_cmp_eq_u16_e32 vcc, 0, v12
	v_cndmask_b32_e32 v11, v11, v16, vcc
	v_cndmask_b32_e32 v12, v14, v15, vcc
	v_lshlrev_b32_e32 v14, 8, v13
	v_mov_b32_e32 v15, 0x3b800000
	v_lshlrev_b32_e32 v11, 20, v11
	v_and_b32_e32 v14, 0x80000000, v14
	v_lshl_add_u32 v12, v12, 23, v15
	v_or3_b32 v12, v14, v12, v11
.LBB5_1144:
	s_or_b64 exec, exec, s[6:7]
	s_nop 0
	v_mfma_f32_16x16x4f32 a[0:3], v10, v12, a[0:3]
	s_movk_i32 s4, 0x7f
	v_cmp_gt_i16_sdwa s[6:7], v17, s4 src0_sel:BYTE_3 src1_sel:DWORD
	s_mov_b64 s[4:5], 0
                                        ; implicit-def: $sgpr10
	s_and_saveexec_b64 s[8:9], s[6:7]
	s_xor_b64 s[6:7], exec, s[8:9]
	s_cbranch_execnz .LBB5_3193
; %bb.1145:
	s_or_saveexec_b64 s[6:7], s[6:7]
	v_mov_b32_e32 v10, s10
	s_xor_b64 exec, exec, s[6:7]
	s_cbranch_execnz .LBB5_3196
.LBB5_1146:
	s_or_b64 exec, exec, s[6:7]
	s_and_saveexec_b64 s[6:7], s[4:5]
	s_cbranch_execz .LBB5_1148
.LBB5_1147:
	v_bfe_u32 v10, v17, 24, 3
	v_ffbh_u32_e32 v15, v10
	v_min_u32_e32 v15, 32, v15
	v_lshrrev_b32_e32 v12, 27, v17
	v_subrev_u32_e32 v16, 28, v15
	v_and_b32_e32 v12, 15, v12
	v_lshlrev_b32_sdwa v16, v16, v17 dst_sel:DWORD dst_unused:UNUSED_PAD src0_sel:DWORD src1_sel:BYTE_3
	v_bfe_u32 v14, v17, 27, 4
	v_sub_u32_e32 v15, 29, v15
	v_and_b32_e32 v16, 7, v16
	v_cmp_eq_u16_e32 vcc, 0, v12
	v_cndmask_b32_e32 v10, v10, v16, vcc
	v_cndmask_b32_e32 v12, v14, v15, vcc
	v_mov_b32_e32 v14, 0x3b800000
	v_and_b32_e32 v11, 0x80000000, v17
	v_lshlrev_b32_e32 v10, 20, v10
	v_lshl_add_u32 v12, v12, 23, v14
	v_or3_b32 v10, v11, v12, v10
.LBB5_1148:
	s_or_b64 exec, exec, s[6:7]
	s_movk_i32 s4, 0x7f
	v_cmp_gt_i16_sdwa s[6:7], v13, s4 src0_sel:BYTE_3 src1_sel:DWORD
	s_mov_b64 s[4:5], 0
                                        ; implicit-def: $sgpr10
	s_and_saveexec_b64 s[8:9], s[6:7]
	s_xor_b64 s[6:7], exec, s[8:9]
	s_cbranch_execnz .LBB5_3197
; %bb.1149:
	s_or_saveexec_b64 s[6:7], s[6:7]
	v_mov_b32_e32 v11, s10
	s_xor_b64 exec, exec, s[6:7]
	s_cbranch_execnz .LBB5_3200
.LBB5_1150:
	s_or_b64 exec, exec, s[6:7]
	s_and_saveexec_b64 s[6:7], s[4:5]
	s_cbranch_execz .LBB5_1152
.LBB5_1151:
	v_bfe_u32 v11, v13, 24, 3
	v_ffbh_u32_e32 v16, v11
	v_min_u32_e32 v16, 32, v16
	v_lshrrev_b32_e32 v14, 27, v13
	v_subrev_u32_e32 v17, 28, v16
	v_and_b32_e32 v12, 0x80000000, v13
	v_and_b32_e32 v14, 15, v14
	v_bfe_u32 v15, v13, 27, 4
	v_lshlrev_b32_sdwa v13, v17, v13 dst_sel:DWORD dst_unused:UNUSED_PAD src0_sel:DWORD src1_sel:BYTE_3
	v_sub_u32_e32 v16, 29, v16
	v_and_b32_e32 v13, 7, v13
	v_cmp_eq_u16_e32 vcc, 0, v14
	v_cndmask_b32_e32 v11, v11, v13, vcc
	v_cndmask_b32_e32 v13, v15, v16, vcc
	v_mov_b32_e32 v14, 0x3b800000
	v_lshlrev_b32_e32 v11, 20, v11
	v_lshl_add_u32 v13, v13, 23, v14
	v_or3_b32 v11, v12, v13, v11
.LBB5_1152:
	s_or_b64 exec, exec, s[6:7]
	s_nop 0
	v_mfma_f32_16x16x4f32 a[0:3], v10, v11, a[0:3]
	s_movk_i32 s4, 0x7f
	v_cmp_gt_i16_sdwa s[6:7], v6, s4 src0_sel:BYTE_0 src1_sel:DWORD
	s_mov_b64 s[4:5], 0
                                        ; implicit-def: $sgpr10
	s_and_saveexec_b64 s[8:9], s[6:7]
	s_xor_b64 s[6:7], exec, s[8:9]
	s_cbranch_execnz .LBB5_3201
; %bb.1153:
	s_or_saveexec_b64 s[6:7], s[6:7]
	v_mov_b32_e32 v10, s10
	s_xor_b64 exec, exec, s[6:7]
	s_cbranch_execnz .LBB5_3204
.LBB5_1154:
	s_or_b64 exec, exec, s[6:7]
	s_and_saveexec_b64 s[6:7], s[4:5]
	s_cbranch_execz .LBB5_1156
.LBB5_1155:
	v_and_b32_e32 v10, 7, v6
	v_ffbh_u32_e32 v12, v10
	v_min_u32_e32 v12, 32, v12
	v_lshrrev_b16_e32 v11, 3, v6
	v_subrev_u32_e32 v13, 28, v12
	v_and_b32_e32 v11, 15, v11
	v_lshlrev_b32_e32 v13, v13, v6
	v_sub_u32_e32 v12, 29, v12
	v_and_b32_e32 v13, 7, v13
	v_cmp_eq_u16_e32 vcc, 0, v11
	v_cndmask_b32_e32 v10, v10, v13, vcc
	v_cndmask_b32_e32 v11, v11, v12, vcc
	v_lshlrev_b32_e32 v12, 24, v6
	v_mov_b32_e32 v13, 0x3b800000
	v_lshlrev_b32_e32 v10, 20, v10
	v_and_b32_e32 v12, 0x80000000, v12
	v_lshl_add_u32 v11, v11, 23, v13
	v_or3_b32 v10, v12, v11, v10
.LBB5_1156:
	s_or_b64 exec, exec, s[6:7]
	s_movk_i32 s4, 0x7f
	v_cmp_gt_i16_sdwa s[6:7], v2, s4 src0_sel:BYTE_0 src1_sel:DWORD
	s_mov_b64 s[4:5], 0
                                        ; implicit-def: $sgpr10
	s_and_saveexec_b64 s[8:9], s[6:7]
	s_xor_b64 s[6:7], exec, s[8:9]
	s_cbranch_execnz .LBB5_3205
; %bb.1157:
	s_or_saveexec_b64 s[6:7], s[6:7]
	v_mov_b32_e32 v11, s10
	s_xor_b64 exec, exec, s[6:7]
	s_cbranch_execnz .LBB5_3208
.LBB5_1158:
	s_or_b64 exec, exec, s[6:7]
	s_and_saveexec_b64 s[6:7], s[4:5]
	s_cbranch_execz .LBB5_1160
.LBB5_1159:
	v_and_b32_e32 v11, 7, v2
	v_ffbh_u32_e32 v13, v11
	v_min_u32_e32 v13, 32, v13
	v_lshrrev_b16_e32 v12, 3, v2
	v_subrev_u32_e32 v14, 28, v13
	v_and_b32_e32 v12, 15, v12
	v_lshlrev_b32_e32 v14, v14, v2
	v_sub_u32_e32 v13, 29, v13
	v_and_b32_e32 v14, 7, v14
	v_cmp_eq_u16_e32 vcc, 0, v12
	v_cndmask_b32_e32 v11, v11, v14, vcc
	v_cndmask_b32_e32 v12, v12, v13, vcc
	v_lshlrev_b32_e32 v13, 24, v2
	v_mov_b32_e32 v14, 0x3b800000
	v_lshlrev_b32_e32 v11, 20, v11
	v_and_b32_e32 v13, 0x80000000, v13
	v_lshl_add_u32 v12, v12, 23, v14
	v_or3_b32 v11, v13, v12, v11
.LBB5_1160:
	s_or_b64 exec, exec, s[6:7]
	s_nop 0
	v_mfma_f32_16x16x4f32 a[0:3], v10, v11, a[0:3]
	v_lshrrev_b32_e32 v11, 8, v6
	s_movk_i32 s4, 0x7f
	v_cmp_gt_i16_sdwa s[6:7], v11, s4 src0_sel:BYTE_0 src1_sel:DWORD
	s_mov_b64 s[4:5], 0
                                        ; implicit-def: $sgpr10
	s_and_saveexec_b64 s[8:9], s[6:7]
	s_xor_b64 s[6:7], exec, s[8:9]
	s_cbranch_execnz .LBB5_3209
; %bb.1161:
	s_or_saveexec_b64 s[6:7], s[6:7]
	v_mov_b32_e32 v10, s10
	s_xor_b64 exec, exec, s[6:7]
	s_cbranch_execnz .LBB5_3212
.LBB5_1162:
	s_or_b64 exec, exec, s[6:7]
	s_and_saveexec_b64 s[6:7], s[4:5]
	s_cbranch_execz .LBB5_1164
.LBB5_1163:
	v_bfe_u32 v10, v6, 8, 3
	v_ffbh_u32_e32 v13, v10
	v_min_u32_e32 v13, 32, v13
	v_lshrrev_b16_e32 v12, 3, v11
	v_subrev_u32_e32 v14, 28, v13
	v_and_b32_e32 v12, 15, v12
	v_lshlrev_b32_e32 v11, v14, v11
	v_sub_u32_e32 v13, 29, v13
	v_and_b32_e32 v11, 7, v11
	v_cmp_eq_u16_e32 vcc, 0, v12
	v_cndmask_b32_e32 v10, v10, v11, vcc
	v_cndmask_b32_e32 v11, v12, v13, vcc
	v_lshlrev_b32_e32 v12, 16, v6
	v_mov_b32_e32 v13, 0x3b800000
	v_lshlrev_b32_e32 v10, 20, v10
	v_and_b32_e32 v12, 0x80000000, v12
	v_lshl_add_u32 v11, v11, 23, v13
	v_or3_b32 v10, v12, v11, v10
.LBB5_1164:
	s_or_b64 exec, exec, s[6:7]
	v_lshrrev_b32_e32 v11, 8, v2
	s_movk_i32 s4, 0x7f
	v_cmp_gt_i16_sdwa s[6:7], v11, s4 src0_sel:BYTE_0 src1_sel:DWORD
	s_mov_b64 s[4:5], 0
                                        ; implicit-def: $sgpr10
	s_and_saveexec_b64 s[8:9], s[6:7]
	s_xor_b64 s[6:7], exec, s[8:9]
	s_cbranch_execnz .LBB5_3213
; %bb.1165:
	s_or_saveexec_b64 s[6:7], s[6:7]
	v_mov_b32_e32 v12, s10
	s_xor_b64 exec, exec, s[6:7]
	s_cbranch_execnz .LBB5_3216
.LBB5_1166:
	s_or_b64 exec, exec, s[6:7]
	s_and_saveexec_b64 s[6:7], s[4:5]
	s_cbranch_execz .LBB5_1168
.LBB5_1167:
	v_bfe_u32 v12, v2, 8, 3
	v_ffbh_u32_e32 v14, v12
	v_min_u32_e32 v14, 32, v14
	v_lshrrev_b16_e32 v13, 3, v11
	v_subrev_u32_e32 v15, 28, v14
	v_and_b32_e32 v13, 15, v13
	v_lshlrev_b32_e32 v11, v15, v11
	v_sub_u32_e32 v14, 29, v14
	v_and_b32_e32 v11, 7, v11
	v_cmp_eq_u16_e32 vcc, 0, v13
	v_cndmask_b32_e32 v11, v12, v11, vcc
	v_cndmask_b32_e32 v12, v13, v14, vcc
	v_lshlrev_b32_e32 v13, 16, v2
	v_mov_b32_e32 v14, 0x3b800000
	v_lshlrev_b32_e32 v11, 20, v11
	v_and_b32_e32 v13, 0x80000000, v13
	v_lshl_add_u32 v12, v12, 23, v14
	v_or3_b32 v12, v13, v12, v11
.LBB5_1168:
	s_or_b64 exec, exec, s[6:7]
	s_nop 0
	v_mfma_f32_16x16x4f32 a[0:3], v10, v12, a[0:3]
	s_movk_i32 s4, 0xff
	v_and_b32_sdwa v11, v6, s4 dst_sel:DWORD dst_unused:UNUSED_PAD src0_sel:WORD_1 src1_sel:DWORD
	s_movk_i32 s4, 0x7f
	v_cmp_lt_i16_e32 vcc, s4, v11
	s_mov_b64 s[4:5], 0
                                        ; implicit-def: $sgpr10
	s_and_saveexec_b64 s[6:7], vcc
	s_xor_b64 s[6:7], exec, s[6:7]
	s_cbranch_execnz .LBB5_3217
; %bb.1169:
	s_or_saveexec_b64 s[6:7], s[6:7]
	v_mov_b32_e32 v10, s10
	s_xor_b64 exec, exec, s[6:7]
	s_cbranch_execnz .LBB5_3220
.LBB5_1170:
	s_or_b64 exec, exec, s[6:7]
	s_and_saveexec_b64 s[6:7], s[4:5]
	s_cbranch_execz .LBB5_1172
.LBB5_1171:
	v_bfe_u32 v10, v6, 16, 3
	v_ffbh_u32_e32 v13, v10
	v_min_u32_e32 v13, 32, v13
	v_lshrrev_b32_e32 v11, 19, v6
	v_subrev_u32_e32 v14, 28, v13
	v_and_b32_e32 v11, 15, v11
	v_lshlrev_b32_sdwa v14, v14, v6 dst_sel:DWORD dst_unused:UNUSED_PAD src0_sel:DWORD src1_sel:WORD_1
	v_bfe_u32 v12, v6, 19, 4
	v_sub_u32_e32 v13, 29, v13
	v_and_b32_e32 v14, 7, v14
	v_cmp_eq_u16_e32 vcc, 0, v11
	v_cndmask_b32_e32 v10, v10, v14, vcc
	v_cndmask_b32_e32 v11, v12, v13, vcc
	v_lshlrev_b32_e32 v12, 8, v6
	v_mov_b32_e32 v13, 0x3b800000
	v_lshlrev_b32_e32 v10, 20, v10
	v_and_b32_e32 v12, 0x80000000, v12
	v_lshl_add_u32 v11, v11, 23, v13
	v_or3_b32 v10, v12, v11, v10
.LBB5_1172:
	s_or_b64 exec, exec, s[6:7]
	s_movk_i32 s4, 0xff
	v_and_b32_sdwa v11, v2, s4 dst_sel:DWORD dst_unused:UNUSED_PAD src0_sel:WORD_1 src1_sel:DWORD
	s_movk_i32 s4, 0x7f
	v_cmp_lt_i16_e32 vcc, s4, v11
	s_mov_b64 s[4:5], 0
                                        ; implicit-def: $sgpr10
	s_and_saveexec_b64 s[6:7], vcc
	s_xor_b64 s[6:7], exec, s[6:7]
	s_cbranch_execnz .LBB5_3221
; %bb.1173:
	s_or_saveexec_b64 s[6:7], s[6:7]
	v_mov_b32_e32 v12, s10
	s_xor_b64 exec, exec, s[6:7]
	s_cbranch_execnz .LBB5_3224
.LBB5_1174:
	s_or_b64 exec, exec, s[6:7]
	s_and_saveexec_b64 s[6:7], s[4:5]
	s_cbranch_execz .LBB5_1176
.LBB5_1175:
	v_bfe_u32 v11, v2, 16, 3
	v_ffbh_u32_e32 v14, v11
	v_min_u32_e32 v14, 32, v14
	v_lshrrev_b32_e32 v12, 19, v2
	v_subrev_u32_e32 v15, 28, v14
	v_and_b32_e32 v12, 15, v12
	v_lshlrev_b32_sdwa v15, v15, v2 dst_sel:DWORD dst_unused:UNUSED_PAD src0_sel:DWORD src1_sel:WORD_1
	v_bfe_u32 v13, v2, 19, 4
	v_sub_u32_e32 v14, 29, v14
	v_and_b32_e32 v15, 7, v15
	v_cmp_eq_u16_e32 vcc, 0, v12
	v_cndmask_b32_e32 v11, v11, v15, vcc
	v_cndmask_b32_e32 v12, v13, v14, vcc
	v_lshlrev_b32_e32 v13, 8, v2
	v_mov_b32_e32 v14, 0x3b800000
	v_lshlrev_b32_e32 v11, 20, v11
	v_and_b32_e32 v13, 0x80000000, v13
	v_lshl_add_u32 v12, v12, 23, v14
	v_or3_b32 v12, v13, v12, v11
.LBB5_1176:
	s_or_b64 exec, exec, s[6:7]
	s_nop 0
	v_mfma_f32_16x16x4f32 a[0:3], v10, v12, a[0:3]
	s_movk_i32 s4, 0x7f
	v_cmp_gt_i16_sdwa s[6:7], v6, s4 src0_sel:BYTE_3 src1_sel:DWORD
	s_mov_b64 s[4:5], 0
                                        ; implicit-def: $sgpr10
	s_and_saveexec_b64 s[8:9], s[6:7]
	s_xor_b64 s[6:7], exec, s[8:9]
	s_cbranch_execnz .LBB5_3225
; %bb.1177:
	s_or_saveexec_b64 s[6:7], s[6:7]
	v_mov_b32_e32 v10, s10
	s_xor_b64 exec, exec, s[6:7]
	s_cbranch_execnz .LBB5_3228
.LBB5_1178:
	s_or_b64 exec, exec, s[6:7]
	s_and_saveexec_b64 s[6:7], s[4:5]
	s_cbranch_execz .LBB5_1180
.LBB5_1179:
	v_bfe_u32 v10, v6, 24, 3
	v_ffbh_u32_e32 v14, v10
	v_min_u32_e32 v14, 32, v14
	v_lshrrev_b32_e32 v12, 27, v6
	v_subrev_u32_e32 v15, 28, v14
	v_and_b32_e32 v11, 0x80000000, v6
	v_and_b32_e32 v12, 15, v12
	v_bfe_u32 v13, v6, 27, 4
	v_lshlrev_b32_sdwa v6, v15, v6 dst_sel:DWORD dst_unused:UNUSED_PAD src0_sel:DWORD src1_sel:BYTE_3
	v_sub_u32_e32 v14, 29, v14
	v_and_b32_e32 v6, 7, v6
	v_cmp_eq_u16_e32 vcc, 0, v12
	v_cndmask_b32_e32 v6, v10, v6, vcc
	v_cndmask_b32_e32 v10, v13, v14, vcc
	v_mov_b32_e32 v12, 0x3b800000
	v_lshlrev_b32_e32 v6, 20, v6
	v_lshl_add_u32 v10, v10, 23, v12
	v_or3_b32 v10, v11, v10, v6
.LBB5_1180:
	s_or_b64 exec, exec, s[6:7]
	s_movk_i32 s4, 0x7f
	v_cmp_gt_i16_sdwa s[6:7], v2, s4 src0_sel:BYTE_3 src1_sel:DWORD
	s_mov_b64 s[4:5], 0
                                        ; implicit-def: $sgpr10
	s_and_saveexec_b64 s[8:9], s[6:7]
	s_xor_b64 s[6:7], exec, s[8:9]
	s_cbranch_execnz .LBB5_3229
; %bb.1181:
	s_or_saveexec_b64 s[6:7], s[6:7]
	v_mov_b32_e32 v6, s10
	s_xor_b64 exec, exec, s[6:7]
	s_cbranch_execnz .LBB5_3232
.LBB5_1182:
	s_or_b64 exec, exec, s[6:7]
	s_and_saveexec_b64 s[6:7], s[4:5]
	s_cbranch_execz .LBB5_1184
.LBB5_1183:
	v_bfe_u32 v6, v2, 24, 3
	v_ffbh_u32_e32 v14, v6
	v_min_u32_e32 v14, 32, v14
	v_lshrrev_b32_e32 v12, 27, v2
	v_subrev_u32_e32 v15, 28, v14
	v_and_b32_e32 v11, 0x80000000, v2
	v_and_b32_e32 v12, 15, v12
	v_bfe_u32 v13, v2, 27, 4
	v_lshlrev_b32_sdwa v2, v15, v2 dst_sel:DWORD dst_unused:UNUSED_PAD src0_sel:DWORD src1_sel:BYTE_3
	v_sub_u32_e32 v14, 29, v14
	v_and_b32_e32 v2, 7, v2
	v_cmp_eq_u16_e32 vcc, 0, v12
	v_cndmask_b32_e32 v2, v6, v2, vcc
	v_cndmask_b32_e32 v6, v13, v14, vcc
	v_mov_b32_e32 v12, 0x3b800000
	v_lshlrev_b32_e32 v2, 20, v2
	v_lshl_add_u32 v6, v6, 23, v12
	v_or3_b32 v6, v11, v6, v2
.LBB5_1184:
	s_or_b64 exec, exec, s[6:7]
	s_nop 0
	v_mfma_f32_16x16x4f32 a[0:3], v10, v6, a[0:3]
	s_movk_i32 s4, 0x7f
	v_cmp_gt_i16_sdwa s[6:7], v7, s4 src0_sel:BYTE_0 src1_sel:DWORD
	s_mov_b64 s[4:5], 0
                                        ; implicit-def: $sgpr10
	s_and_saveexec_b64 s[8:9], s[6:7]
	s_xor_b64 s[6:7], exec, s[8:9]
	s_cbranch_execnz .LBB5_3233
; %bb.1185:
	s_or_saveexec_b64 s[6:7], s[6:7]
	v_mov_b32_e32 v2, s10
	s_xor_b64 exec, exec, s[6:7]
	s_cbranch_execnz .LBB5_3236
.LBB5_1186:
	s_or_b64 exec, exec, s[6:7]
	s_and_saveexec_b64 s[6:7], s[4:5]
	s_cbranch_execz .LBB5_1188
.LBB5_1187:
	v_and_b32_e32 v2, 7, v7
	v_ffbh_u32_e32 v10, v2
	v_min_u32_e32 v10, 32, v10
	v_lshrrev_b16_e32 v6, 3, v7
	v_subrev_u32_e32 v11, 28, v10
	v_and_b32_e32 v6, 15, v6
	v_lshlrev_b32_e32 v11, v11, v7
	v_sub_u32_e32 v10, 29, v10
	v_and_b32_e32 v11, 7, v11
	v_cmp_eq_u16_e32 vcc, 0, v6
	v_cndmask_b32_e32 v2, v2, v11, vcc
	v_cndmask_b32_e32 v6, v6, v10, vcc
	v_lshlrev_b32_e32 v10, 24, v7
	v_mov_b32_e32 v11, 0x3b800000
	v_lshlrev_b32_e32 v2, 20, v2
	v_and_b32_e32 v10, 0x80000000, v10
	v_lshl_add_u32 v6, v6, 23, v11
	v_or3_b32 v2, v10, v6, v2
.LBB5_1188:
	s_or_b64 exec, exec, s[6:7]
	s_movk_i32 s4, 0x7f
	v_cmp_gt_i16_sdwa s[6:7], v3, s4 src0_sel:BYTE_0 src1_sel:DWORD
	s_mov_b64 s[4:5], 0
                                        ; implicit-def: $sgpr10
	s_and_saveexec_b64 s[8:9], s[6:7]
	s_xor_b64 s[6:7], exec, s[8:9]
	s_cbranch_execnz .LBB5_3237
; %bb.1189:
	s_or_saveexec_b64 s[6:7], s[6:7]
	v_mov_b32_e32 v6, s10
	s_xor_b64 exec, exec, s[6:7]
	s_cbranch_execnz .LBB5_3240
.LBB5_1190:
	s_or_b64 exec, exec, s[6:7]
	s_and_saveexec_b64 s[6:7], s[4:5]
	s_cbranch_execz .LBB5_1192
.LBB5_1191:
	v_and_b32_e32 v6, 7, v3
	v_ffbh_u32_e32 v11, v6
	v_min_u32_e32 v11, 32, v11
	v_lshrrev_b16_e32 v10, 3, v3
	v_subrev_u32_e32 v12, 28, v11
	v_and_b32_e32 v10, 15, v10
	v_lshlrev_b32_e32 v12, v12, v3
	v_sub_u32_e32 v11, 29, v11
	v_and_b32_e32 v12, 7, v12
	v_cmp_eq_u16_e32 vcc, 0, v10
	v_cndmask_b32_e32 v6, v6, v12, vcc
	v_cndmask_b32_e32 v10, v10, v11, vcc
	v_lshlrev_b32_e32 v11, 24, v3
	v_mov_b32_e32 v12, 0x3b800000
	v_lshlrev_b32_e32 v6, 20, v6
	v_and_b32_e32 v11, 0x80000000, v11
	v_lshl_add_u32 v10, v10, 23, v12
	v_or3_b32 v6, v11, v10, v6
.LBB5_1192:
	s_or_b64 exec, exec, s[6:7]
	s_nop 0
	v_mfma_f32_16x16x4f32 a[0:3], v2, v6, a[0:3]
	v_lshrrev_b32_e32 v6, 8, v7
	s_movk_i32 s4, 0x7f
	v_cmp_gt_i16_sdwa s[6:7], v6, s4 src0_sel:BYTE_0 src1_sel:DWORD
	s_mov_b64 s[4:5], 0
                                        ; implicit-def: $sgpr10
	s_and_saveexec_b64 s[8:9], s[6:7]
	s_xor_b64 s[6:7], exec, s[8:9]
	s_cbranch_execnz .LBB5_3241
; %bb.1193:
	s_or_saveexec_b64 s[6:7], s[6:7]
	v_mov_b32_e32 v2, s10
	s_xor_b64 exec, exec, s[6:7]
	s_cbranch_execnz .LBB5_3244
.LBB5_1194:
	s_or_b64 exec, exec, s[6:7]
	s_and_saveexec_b64 s[6:7], s[4:5]
	s_cbranch_execz .LBB5_1196
.LBB5_1195:
	v_bfe_u32 v2, v7, 8, 3
	v_ffbh_u32_e32 v11, v2
	v_min_u32_e32 v11, 32, v11
	v_lshrrev_b16_e32 v10, 3, v6
	v_subrev_u32_e32 v12, 28, v11
	v_and_b32_e32 v10, 15, v10
	v_lshlrev_b32_e32 v6, v12, v6
	v_sub_u32_e32 v11, 29, v11
	v_and_b32_e32 v6, 7, v6
	v_cmp_eq_u16_e32 vcc, 0, v10
	v_cndmask_b32_e32 v2, v2, v6, vcc
	v_cndmask_b32_e32 v6, v10, v11, vcc
	v_lshlrev_b32_e32 v10, 16, v7
	v_mov_b32_e32 v11, 0x3b800000
	v_lshlrev_b32_e32 v2, 20, v2
	v_and_b32_e32 v10, 0x80000000, v10
	v_lshl_add_u32 v6, v6, 23, v11
	v_or3_b32 v2, v10, v6, v2
.LBB5_1196:
	s_or_b64 exec, exec, s[6:7]
	v_lshrrev_b32_e32 v6, 8, v3
	s_movk_i32 s4, 0x7f
	v_cmp_gt_i16_sdwa s[6:7], v6, s4 src0_sel:BYTE_0 src1_sel:DWORD
	s_mov_b64 s[4:5], 0
                                        ; implicit-def: $sgpr10
	s_and_saveexec_b64 s[8:9], s[6:7]
	s_xor_b64 s[6:7], exec, s[8:9]
	s_cbranch_execnz .LBB5_3245
; %bb.1197:
	s_or_saveexec_b64 s[6:7], s[6:7]
	v_mov_b32_e32 v10, s10
	s_xor_b64 exec, exec, s[6:7]
	s_cbranch_execnz .LBB5_3248
.LBB5_1198:
	s_or_b64 exec, exec, s[6:7]
	s_and_saveexec_b64 s[6:7], s[4:5]
	s_cbranch_execz .LBB5_1200
.LBB5_1199:
	v_bfe_u32 v10, v3, 8, 3
	v_ffbh_u32_e32 v12, v10
	v_min_u32_e32 v12, 32, v12
	v_lshrrev_b16_e32 v11, 3, v6
	v_subrev_u32_e32 v13, 28, v12
	v_and_b32_e32 v11, 15, v11
	v_lshlrev_b32_e32 v6, v13, v6
	v_sub_u32_e32 v12, 29, v12
	v_and_b32_e32 v6, 7, v6
	v_cmp_eq_u16_e32 vcc, 0, v11
	v_cndmask_b32_e32 v6, v10, v6, vcc
	v_cndmask_b32_e32 v10, v11, v12, vcc
	v_lshlrev_b32_e32 v11, 16, v3
	v_mov_b32_e32 v12, 0x3b800000
	v_lshlrev_b32_e32 v6, 20, v6
	v_and_b32_e32 v11, 0x80000000, v11
	v_lshl_add_u32 v10, v10, 23, v12
	v_or3_b32 v10, v11, v10, v6
.LBB5_1200:
	s_or_b64 exec, exec, s[6:7]
	s_nop 0
	v_mfma_f32_16x16x4f32 a[0:3], v2, v10, a[0:3]
	s_movk_i32 s4, 0xff
	v_and_b32_sdwa v6, v7, s4 dst_sel:DWORD dst_unused:UNUSED_PAD src0_sel:WORD_1 src1_sel:DWORD
	s_movk_i32 s4, 0x7f
	v_cmp_lt_i16_e32 vcc, s4, v6
	s_mov_b64 s[4:5], 0
                                        ; implicit-def: $sgpr10
	s_and_saveexec_b64 s[6:7], vcc
	s_xor_b64 s[6:7], exec, s[6:7]
	s_cbranch_execnz .LBB5_3249
; %bb.1201:
	s_or_saveexec_b64 s[6:7], s[6:7]
	v_mov_b32_e32 v2, s10
	s_xor_b64 exec, exec, s[6:7]
	s_cbranch_execnz .LBB5_3252
.LBB5_1202:
	s_or_b64 exec, exec, s[6:7]
	s_and_saveexec_b64 s[6:7], s[4:5]
	s_cbranch_execz .LBB5_1204
.LBB5_1203:
	v_bfe_u32 v2, v7, 16, 3
	v_ffbh_u32_e32 v11, v2
	v_min_u32_e32 v11, 32, v11
	v_lshrrev_b32_e32 v6, 19, v7
	v_subrev_u32_e32 v12, 28, v11
	v_and_b32_e32 v6, 15, v6
	v_lshlrev_b32_sdwa v12, v12, v7 dst_sel:DWORD dst_unused:UNUSED_PAD src0_sel:DWORD src1_sel:WORD_1
	v_bfe_u32 v10, v7, 19, 4
	v_sub_u32_e32 v11, 29, v11
	v_and_b32_e32 v12, 7, v12
	v_cmp_eq_u16_e32 vcc, 0, v6
	v_cndmask_b32_e32 v2, v2, v12, vcc
	v_cndmask_b32_e32 v6, v10, v11, vcc
	v_lshlrev_b32_e32 v10, 8, v7
	v_mov_b32_e32 v11, 0x3b800000
	v_lshlrev_b32_e32 v2, 20, v2
	v_and_b32_e32 v10, 0x80000000, v10
	v_lshl_add_u32 v6, v6, 23, v11
	v_or3_b32 v2, v10, v6, v2
.LBB5_1204:
	s_or_b64 exec, exec, s[6:7]
	s_movk_i32 s4, 0xff
	v_and_b32_sdwa v6, v3, s4 dst_sel:DWORD dst_unused:UNUSED_PAD src0_sel:WORD_1 src1_sel:DWORD
	s_movk_i32 s4, 0x7f
	v_cmp_lt_i16_e32 vcc, s4, v6
	s_mov_b64 s[4:5], 0
                                        ; implicit-def: $sgpr10
	s_and_saveexec_b64 s[6:7], vcc
	s_xor_b64 s[6:7], exec, s[6:7]
	s_cbranch_execnz .LBB5_3253
; %bb.1205:
	s_or_saveexec_b64 s[6:7], s[6:7]
	v_mov_b32_e32 v10, s10
	s_xor_b64 exec, exec, s[6:7]
	s_cbranch_execnz .LBB5_3256
.LBB5_1206:
	s_or_b64 exec, exec, s[6:7]
	s_and_saveexec_b64 s[6:7], s[4:5]
	s_cbranch_execz .LBB5_1208
.LBB5_1207:
	v_bfe_u32 v6, v3, 16, 3
	v_ffbh_u32_e32 v12, v6
	v_min_u32_e32 v12, 32, v12
	v_lshrrev_b32_e32 v10, 19, v3
	v_subrev_u32_e32 v13, 28, v12
	v_and_b32_e32 v10, 15, v10
	v_lshlrev_b32_sdwa v13, v13, v3 dst_sel:DWORD dst_unused:UNUSED_PAD src0_sel:DWORD src1_sel:WORD_1
	v_bfe_u32 v11, v3, 19, 4
	v_sub_u32_e32 v12, 29, v12
	v_and_b32_e32 v13, 7, v13
	v_cmp_eq_u16_e32 vcc, 0, v10
	v_cndmask_b32_e32 v6, v6, v13, vcc
	v_cndmask_b32_e32 v10, v11, v12, vcc
	v_lshlrev_b32_e32 v11, 8, v3
	v_mov_b32_e32 v12, 0x3b800000
	v_lshlrev_b32_e32 v6, 20, v6
	v_and_b32_e32 v11, 0x80000000, v11
	v_lshl_add_u32 v10, v10, 23, v12
	v_or3_b32 v10, v11, v10, v6
.LBB5_1208:
	s_or_b64 exec, exec, s[6:7]
	s_nop 0
	v_mfma_f32_16x16x4f32 a[0:3], v2, v10, a[0:3]
	s_movk_i32 s4, 0x7f
	v_cmp_gt_i16_sdwa s[6:7], v7, s4 src0_sel:BYTE_3 src1_sel:DWORD
	s_mov_b64 s[4:5], 0
                                        ; implicit-def: $sgpr10
	s_and_saveexec_b64 s[8:9], s[6:7]
	s_xor_b64 s[6:7], exec, s[8:9]
	s_cbranch_execnz .LBB5_3257
; %bb.1209:
	s_or_saveexec_b64 s[6:7], s[6:7]
	v_mov_b32_e32 v2, s10
	s_xor_b64 exec, exec, s[6:7]
	s_cbranch_execnz .LBB5_3260
.LBB5_1210:
	s_or_b64 exec, exec, s[6:7]
	s_and_saveexec_b64 s[6:7], s[4:5]
	s_cbranch_execz .LBB5_1212
.LBB5_1211:
	v_bfe_u32 v2, v7, 24, 3
	v_ffbh_u32_e32 v12, v2
	v_min_u32_e32 v12, 32, v12
	v_lshrrev_b32_e32 v10, 27, v7
	v_subrev_u32_e32 v13, 28, v12
	v_and_b32_e32 v6, 0x80000000, v7
	v_and_b32_e32 v10, 15, v10
	v_bfe_u32 v11, v7, 27, 4
	v_lshlrev_b32_sdwa v7, v13, v7 dst_sel:DWORD dst_unused:UNUSED_PAD src0_sel:DWORD src1_sel:BYTE_3
	v_sub_u32_e32 v12, 29, v12
	v_and_b32_e32 v7, 7, v7
	v_cmp_eq_u16_e32 vcc, 0, v10
	v_cndmask_b32_e32 v2, v2, v7, vcc
	v_cndmask_b32_e32 v7, v11, v12, vcc
	v_mov_b32_e32 v10, 0x3b800000
	v_lshlrev_b32_e32 v2, 20, v2
	v_lshl_add_u32 v7, v7, 23, v10
	v_or3_b32 v2, v6, v7, v2
.LBB5_1212:
	s_or_b64 exec, exec, s[6:7]
	s_movk_i32 s4, 0x7f
	v_cmp_gt_i16_sdwa s[6:7], v3, s4 src0_sel:BYTE_3 src1_sel:DWORD
	s_mov_b64 s[4:5], 0
                                        ; implicit-def: $sgpr10
	s_and_saveexec_b64 s[8:9], s[6:7]
	s_xor_b64 s[6:7], exec, s[8:9]
	s_cbranch_execnz .LBB5_3261
; %bb.1213:
	s_or_saveexec_b64 s[6:7], s[6:7]
	v_mov_b32_e32 v6, s10
	s_xor_b64 exec, exec, s[6:7]
	s_cbranch_execnz .LBB5_3264
.LBB5_1214:
	s_or_b64 exec, exec, s[6:7]
	s_and_saveexec_b64 s[6:7], s[4:5]
	s_cbranch_execz .LBB5_1216
.LBB5_1215:
	v_bfe_u32 v6, v3, 24, 3
	v_ffbh_u32_e32 v12, v6
	v_min_u32_e32 v12, 32, v12
	v_lshrrev_b32_e32 v10, 27, v3
	v_subrev_u32_e32 v13, 28, v12
	v_and_b32_e32 v7, 0x80000000, v3
	v_and_b32_e32 v10, 15, v10
	v_bfe_u32 v11, v3, 27, 4
	v_lshlrev_b32_sdwa v3, v13, v3 dst_sel:DWORD dst_unused:UNUSED_PAD src0_sel:DWORD src1_sel:BYTE_3
	v_sub_u32_e32 v12, 29, v12
	v_and_b32_e32 v3, 7, v3
	v_cmp_eq_u16_e32 vcc, 0, v10
	v_cndmask_b32_e32 v3, v6, v3, vcc
	v_cndmask_b32_e32 v6, v11, v12, vcc
	v_mov_b32_e32 v10, 0x3b800000
	v_lshlrev_b32_e32 v3, 20, v3
	v_lshl_add_u32 v6, v6, 23, v10
	v_or3_b32 v6, v7, v6, v3
.LBB5_1216:
	s_or_b64 exec, exec, s[6:7]
	s_nop 0
	v_mfma_f32_16x16x4f32 a[0:3], v2, v6, a[0:3]
	s_movk_i32 s4, 0x7f
	v_cmp_gt_i16_sdwa s[6:7], v8, s4 src0_sel:BYTE_0 src1_sel:DWORD
	s_mov_b64 s[4:5], 0
                                        ; implicit-def: $sgpr10
	s_and_saveexec_b64 s[8:9], s[6:7]
	s_xor_b64 s[6:7], exec, s[8:9]
	s_cbranch_execnz .LBB5_3265
; %bb.1217:
	s_or_saveexec_b64 s[6:7], s[6:7]
	v_mov_b32_e32 v2, s10
	s_xor_b64 exec, exec, s[6:7]
	s_cbranch_execnz .LBB5_3268
.LBB5_1218:
	s_or_b64 exec, exec, s[6:7]
	s_and_saveexec_b64 s[6:7], s[4:5]
	s_cbranch_execz .LBB5_1220
.LBB5_1219:
	v_and_b32_e32 v2, 7, v8
	v_ffbh_u32_e32 v6, v2
	v_min_u32_e32 v6, 32, v6
	v_lshrrev_b16_e32 v3, 3, v8
	v_subrev_u32_e32 v7, 28, v6
	v_and_b32_e32 v3, 15, v3
	v_lshlrev_b32_e32 v7, v7, v8
	v_sub_u32_e32 v6, 29, v6
	v_and_b32_e32 v7, 7, v7
	v_cmp_eq_u16_e32 vcc, 0, v3
	v_cndmask_b32_e32 v2, v2, v7, vcc
	v_cndmask_b32_e32 v3, v3, v6, vcc
	v_lshlrev_b32_e32 v6, 24, v8
	v_mov_b32_e32 v7, 0x3b800000
	v_lshlrev_b32_e32 v2, 20, v2
	v_and_b32_e32 v6, 0x80000000, v6
	v_lshl_add_u32 v3, v3, 23, v7
	v_or3_b32 v2, v6, v3, v2
.LBB5_1220:
	s_or_b64 exec, exec, s[6:7]
	s_movk_i32 s4, 0x7f
	v_cmp_gt_i16_sdwa s[6:7], v4, s4 src0_sel:BYTE_0 src1_sel:DWORD
	s_mov_b64 s[4:5], 0
                                        ; implicit-def: $sgpr10
	s_and_saveexec_b64 s[8:9], s[6:7]
	s_xor_b64 s[6:7], exec, s[8:9]
	s_cbranch_execnz .LBB5_3269
; %bb.1221:
	s_or_saveexec_b64 s[6:7], s[6:7]
	v_mov_b32_e32 v3, s10
	s_xor_b64 exec, exec, s[6:7]
	s_cbranch_execnz .LBB5_3272
.LBB5_1222:
	s_or_b64 exec, exec, s[6:7]
	s_and_saveexec_b64 s[6:7], s[4:5]
	s_cbranch_execz .LBB5_1224
.LBB5_1223:
	v_and_b32_e32 v3, 7, v4
	v_ffbh_u32_e32 v7, v3
	v_min_u32_e32 v7, 32, v7
	v_lshrrev_b16_e32 v6, 3, v4
	v_subrev_u32_e32 v10, 28, v7
	v_and_b32_e32 v6, 15, v6
	v_lshlrev_b32_e32 v10, v10, v4
	v_sub_u32_e32 v7, 29, v7
	v_and_b32_e32 v10, 7, v10
	v_cmp_eq_u16_e32 vcc, 0, v6
	v_cndmask_b32_e32 v3, v3, v10, vcc
	v_cndmask_b32_e32 v6, v6, v7, vcc
	v_lshlrev_b32_e32 v7, 24, v4
	v_mov_b32_e32 v10, 0x3b800000
	v_lshlrev_b32_e32 v3, 20, v3
	v_and_b32_e32 v7, 0x80000000, v7
	v_lshl_add_u32 v6, v6, 23, v10
	v_or3_b32 v3, v7, v6, v3
.LBB5_1224:
	s_or_b64 exec, exec, s[6:7]
	s_nop 0
	v_mfma_f32_16x16x4f32 a[0:3], v2, v3, a[0:3]
	v_lshrrev_b32_e32 v3, 8, v8
	s_movk_i32 s4, 0x7f
	v_cmp_gt_i16_sdwa s[6:7], v3, s4 src0_sel:BYTE_0 src1_sel:DWORD
	s_mov_b64 s[4:5], 0
                                        ; implicit-def: $sgpr10
	s_and_saveexec_b64 s[8:9], s[6:7]
	s_xor_b64 s[6:7], exec, s[8:9]
	s_cbranch_execnz .LBB5_3273
; %bb.1225:
	s_or_saveexec_b64 s[6:7], s[6:7]
	v_mov_b32_e32 v2, s10
	s_xor_b64 exec, exec, s[6:7]
	s_cbranch_execnz .LBB5_3276
.LBB5_1226:
	s_or_b64 exec, exec, s[6:7]
	s_and_saveexec_b64 s[6:7], s[4:5]
	s_cbranch_execz .LBB5_1228
.LBB5_1227:
	v_bfe_u32 v2, v8, 8, 3
	v_ffbh_u32_e32 v7, v2
	v_min_u32_e32 v7, 32, v7
	v_lshrrev_b16_e32 v6, 3, v3
	v_subrev_u32_e32 v10, 28, v7
	v_and_b32_e32 v6, 15, v6
	v_lshlrev_b32_e32 v3, v10, v3
	v_sub_u32_e32 v7, 29, v7
	v_and_b32_e32 v3, 7, v3
	v_cmp_eq_u16_e32 vcc, 0, v6
	v_cndmask_b32_e32 v2, v2, v3, vcc
	v_cndmask_b32_e32 v3, v6, v7, vcc
	v_lshlrev_b32_e32 v6, 16, v8
	v_mov_b32_e32 v7, 0x3b800000
	v_lshlrev_b32_e32 v2, 20, v2
	v_and_b32_e32 v6, 0x80000000, v6
	v_lshl_add_u32 v3, v3, 23, v7
	v_or3_b32 v2, v6, v3, v2
.LBB5_1228:
	s_or_b64 exec, exec, s[6:7]
	v_lshrrev_b32_e32 v3, 8, v4
	s_movk_i32 s4, 0x7f
	v_cmp_gt_i16_sdwa s[6:7], v3, s4 src0_sel:BYTE_0 src1_sel:DWORD
	s_mov_b64 s[4:5], 0
                                        ; implicit-def: $sgpr10
	s_and_saveexec_b64 s[8:9], s[6:7]
	s_xor_b64 s[6:7], exec, s[8:9]
	s_cbranch_execnz .LBB5_3277
; %bb.1229:
	s_or_saveexec_b64 s[6:7], s[6:7]
	v_mov_b32_e32 v6, s10
	s_xor_b64 exec, exec, s[6:7]
	s_cbranch_execnz .LBB5_3280
.LBB5_1230:
	s_or_b64 exec, exec, s[6:7]
	s_and_saveexec_b64 s[6:7], s[4:5]
	s_cbranch_execz .LBB5_1232
.LBB5_1231:
	v_bfe_u32 v6, v4, 8, 3
	v_ffbh_u32_e32 v10, v6
	v_min_u32_e32 v10, 32, v10
	v_lshrrev_b16_e32 v7, 3, v3
	v_subrev_u32_e32 v11, 28, v10
	v_and_b32_e32 v7, 15, v7
	v_lshlrev_b32_e32 v3, v11, v3
	v_sub_u32_e32 v10, 29, v10
	v_and_b32_e32 v3, 7, v3
	v_cmp_eq_u16_e32 vcc, 0, v7
	v_cndmask_b32_e32 v3, v6, v3, vcc
	v_cndmask_b32_e32 v6, v7, v10, vcc
	v_lshlrev_b32_e32 v7, 16, v4
	v_mov_b32_e32 v10, 0x3b800000
	v_lshlrev_b32_e32 v3, 20, v3
	v_and_b32_e32 v7, 0x80000000, v7
	v_lshl_add_u32 v6, v6, 23, v10
	v_or3_b32 v6, v7, v6, v3
.LBB5_1232:
	s_or_b64 exec, exec, s[6:7]
	s_nop 0
	v_mfma_f32_16x16x4f32 a[0:3], v2, v6, a[0:3]
	s_movk_i32 s4, 0xff
	v_and_b32_sdwa v3, v8, s4 dst_sel:DWORD dst_unused:UNUSED_PAD src0_sel:WORD_1 src1_sel:DWORD
	s_movk_i32 s4, 0x7f
	v_cmp_lt_i16_e32 vcc, s4, v3
	s_mov_b64 s[4:5], 0
                                        ; implicit-def: $sgpr10
	s_and_saveexec_b64 s[6:7], vcc
	s_xor_b64 s[6:7], exec, s[6:7]
	s_cbranch_execnz .LBB5_3281
; %bb.1233:
	s_or_saveexec_b64 s[6:7], s[6:7]
	v_mov_b32_e32 v2, s10
	s_xor_b64 exec, exec, s[6:7]
	s_cbranch_execnz .LBB5_3284
.LBB5_1234:
	s_or_b64 exec, exec, s[6:7]
	s_and_saveexec_b64 s[6:7], s[4:5]
	s_cbranch_execz .LBB5_1236
.LBB5_1235:
	v_bfe_u32 v2, v8, 16, 3
	v_ffbh_u32_e32 v7, v2
	v_min_u32_e32 v7, 32, v7
	v_lshrrev_b32_e32 v3, 19, v8
	v_subrev_u32_e32 v10, 28, v7
	v_and_b32_e32 v3, 15, v3
	v_lshlrev_b32_sdwa v10, v10, v8 dst_sel:DWORD dst_unused:UNUSED_PAD src0_sel:DWORD src1_sel:WORD_1
	v_bfe_u32 v6, v8, 19, 4
	v_sub_u32_e32 v7, 29, v7
	v_and_b32_e32 v10, 7, v10
	v_cmp_eq_u16_e32 vcc, 0, v3
	v_cndmask_b32_e32 v2, v2, v10, vcc
	v_cndmask_b32_e32 v3, v6, v7, vcc
	v_lshlrev_b32_e32 v6, 8, v8
	v_mov_b32_e32 v7, 0x3b800000
	v_lshlrev_b32_e32 v2, 20, v2
	v_and_b32_e32 v6, 0x80000000, v6
	v_lshl_add_u32 v3, v3, 23, v7
	v_or3_b32 v2, v6, v3, v2
.LBB5_1236:
	s_or_b64 exec, exec, s[6:7]
	s_movk_i32 s4, 0xff
	v_and_b32_sdwa v3, v4, s4 dst_sel:DWORD dst_unused:UNUSED_PAD src0_sel:WORD_1 src1_sel:DWORD
	s_movk_i32 s4, 0x7f
	v_cmp_lt_i16_e32 vcc, s4, v3
	s_mov_b64 s[4:5], 0
                                        ; implicit-def: $sgpr10
	s_and_saveexec_b64 s[6:7], vcc
	s_xor_b64 s[6:7], exec, s[6:7]
	s_cbranch_execnz .LBB5_3285
; %bb.1237:
	s_or_saveexec_b64 s[6:7], s[6:7]
	v_mov_b32_e32 v6, s10
	s_xor_b64 exec, exec, s[6:7]
	s_cbranch_execnz .LBB5_3288
.LBB5_1238:
	s_or_b64 exec, exec, s[6:7]
	s_and_saveexec_b64 s[6:7], s[4:5]
	s_cbranch_execz .LBB5_1240
.LBB5_1239:
	v_bfe_u32 v3, v4, 16, 3
	v_ffbh_u32_e32 v10, v3
	v_min_u32_e32 v10, 32, v10
	v_lshrrev_b32_e32 v6, 19, v4
	v_subrev_u32_e32 v11, 28, v10
	v_and_b32_e32 v6, 15, v6
	v_lshlrev_b32_sdwa v11, v11, v4 dst_sel:DWORD dst_unused:UNUSED_PAD src0_sel:DWORD src1_sel:WORD_1
	v_bfe_u32 v7, v4, 19, 4
	v_sub_u32_e32 v10, 29, v10
	v_and_b32_e32 v11, 7, v11
	v_cmp_eq_u16_e32 vcc, 0, v6
	v_cndmask_b32_e32 v3, v3, v11, vcc
	v_cndmask_b32_e32 v6, v7, v10, vcc
	v_lshlrev_b32_e32 v7, 8, v4
	v_mov_b32_e32 v10, 0x3b800000
	v_lshlrev_b32_e32 v3, 20, v3
	v_and_b32_e32 v7, 0x80000000, v7
	v_lshl_add_u32 v6, v6, 23, v10
	v_or3_b32 v6, v7, v6, v3
.LBB5_1240:
	s_or_b64 exec, exec, s[6:7]
	s_nop 0
	v_mfma_f32_16x16x4f32 a[0:3], v2, v6, a[0:3]
	s_movk_i32 s4, 0x7f
	v_cmp_gt_i16_sdwa s[6:7], v8, s4 src0_sel:BYTE_3 src1_sel:DWORD
	s_mov_b64 s[4:5], 0
                                        ; implicit-def: $sgpr10
	s_and_saveexec_b64 s[8:9], s[6:7]
	s_xor_b64 s[6:7], exec, s[8:9]
	s_cbranch_execnz .LBB5_3289
; %bb.1241:
	s_or_saveexec_b64 s[6:7], s[6:7]
	v_mov_b32_e32 v2, s10
	s_xor_b64 exec, exec, s[6:7]
	s_cbranch_execnz .LBB5_3292
.LBB5_1242:
	s_or_b64 exec, exec, s[6:7]
	s_and_saveexec_b64 s[6:7], s[4:5]
	s_cbranch_execz .LBB5_1244
.LBB5_1243:
	v_bfe_u32 v2, v8, 24, 3
	v_ffbh_u32_e32 v10, v2
	v_min_u32_e32 v10, 32, v10
	v_lshrrev_b32_e32 v6, 27, v8
	v_subrev_u32_e32 v11, 28, v10
	v_and_b32_e32 v3, 0x80000000, v8
	v_and_b32_e32 v6, 15, v6
	v_bfe_u32 v7, v8, 27, 4
	v_lshlrev_b32_sdwa v8, v11, v8 dst_sel:DWORD dst_unused:UNUSED_PAD src0_sel:DWORD src1_sel:BYTE_3
	v_sub_u32_e32 v10, 29, v10
	v_and_b32_e32 v8, 7, v8
	v_cmp_eq_u16_e32 vcc, 0, v6
	v_cndmask_b32_e32 v2, v2, v8, vcc
	v_cndmask_b32_e32 v6, v7, v10, vcc
	v_mov_b32_e32 v7, 0x3b800000
	v_lshlrev_b32_e32 v2, 20, v2
	v_lshl_add_u32 v6, v6, 23, v7
	v_or3_b32 v2, v3, v6, v2
.LBB5_1244:
	s_or_b64 exec, exec, s[6:7]
	s_movk_i32 s4, 0x7f
	v_cmp_gt_i16_sdwa s[6:7], v4, s4 src0_sel:BYTE_3 src1_sel:DWORD
	s_mov_b64 s[4:5], 0
                                        ; implicit-def: $sgpr10
	s_and_saveexec_b64 s[8:9], s[6:7]
	s_xor_b64 s[6:7], exec, s[8:9]
	s_cbranch_execnz .LBB5_3293
; %bb.1245:
	s_or_saveexec_b64 s[6:7], s[6:7]
	v_mov_b32_e32 v3, s10
	s_xor_b64 exec, exec, s[6:7]
	s_cbranch_execnz .LBB5_3296
.LBB5_1246:
	s_or_b64 exec, exec, s[6:7]
	s_and_saveexec_b64 s[6:7], s[4:5]
	s_cbranch_execz .LBB5_1248
.LBB5_1247:
	v_bfe_u32 v3, v4, 24, 3
	v_ffbh_u32_e32 v10, v3
	v_min_u32_e32 v10, 32, v10
	v_lshrrev_b32_e32 v7, 27, v4
	v_subrev_u32_e32 v11, 28, v10
	v_and_b32_e32 v6, 0x80000000, v4
	v_and_b32_e32 v7, 15, v7
	v_bfe_u32 v8, v4, 27, 4
	v_lshlrev_b32_sdwa v4, v11, v4 dst_sel:DWORD dst_unused:UNUSED_PAD src0_sel:DWORD src1_sel:BYTE_3
	v_sub_u32_e32 v10, 29, v10
	v_and_b32_e32 v4, 7, v4
	v_cmp_eq_u16_e32 vcc, 0, v7
	v_cndmask_b32_e32 v3, v3, v4, vcc
	v_cndmask_b32_e32 v4, v8, v10, vcc
	v_mov_b32_e32 v7, 0x3b800000
	v_lshlrev_b32_e32 v3, 20, v3
	v_lshl_add_u32 v4, v4, 23, v7
	v_or3_b32 v3, v6, v4, v3
.LBB5_1248:
	s_or_b64 exec, exec, s[6:7]
	s_nop 0
	v_mfma_f32_16x16x4f32 a[0:3], v2, v3, a[0:3]
	s_movk_i32 s4, 0x7f
	v_cmp_gt_i16_sdwa s[6:7], v9, s4 src0_sel:BYTE_0 src1_sel:DWORD
	s_mov_b64 s[4:5], 0
                                        ; implicit-def: $sgpr10
	s_and_saveexec_b64 s[8:9], s[6:7]
	s_xor_b64 s[6:7], exec, s[8:9]
	s_cbranch_execnz .LBB5_3297
; %bb.1249:
	s_or_saveexec_b64 s[6:7], s[6:7]
	v_mov_b32_e32 v2, s10
	s_xor_b64 exec, exec, s[6:7]
	s_cbranch_execnz .LBB5_3300
.LBB5_1250:
	s_or_b64 exec, exec, s[6:7]
	s_and_saveexec_b64 s[6:7], s[4:5]
	s_cbranch_execz .LBB5_1252
.LBB5_1251:
	v_mov_b32_e32 v2, 8
	v_and_b32_e32 v3, 7, v9
	v_lshrrev_b32_sdwa v2, v2, v9 dst_sel:BYTE_1 dst_unused:UNUSED_PAD src0_sel:DWORD src1_sel:DWORD
	v_ffbh_u32_e32 v4, v3
	v_or_b32_sdwa v2, v9, v2 dst_sel:DWORD dst_unused:UNUSED_PAD src0_sel:BYTE_0 src1_sel:DWORD
	v_min_u32_e32 v4, 32, v4
	v_lshrrev_b16_e32 v2, 3, v2
	v_subrev_u32_e32 v6, 28, v4
	v_and_b32_e32 v2, 15, v2
	v_lshlrev_b32_e32 v6, v6, v9
	v_sub_u32_e32 v4, 29, v4
	v_and_b32_e32 v6, 7, v6
	v_cmp_eq_u16_e32 vcc, 0, v2
	v_cndmask_b32_e32 v3, v3, v6, vcc
	v_cndmask_b32_e32 v2, v2, v4, vcc
	v_lshlrev_b32_e32 v4, 24, v9
	v_mov_b32_e32 v6, 0x3b800000
	v_lshlrev_b32_e32 v3, 20, v3
	v_and_b32_e32 v4, 0x80000000, v4
	v_lshl_add_u32 v2, v2, 23, v6
	v_or3_b32 v2, v4, v2, v3
.LBB5_1252:
	s_or_b64 exec, exec, s[6:7]
	s_movk_i32 s4, 0x7f
	v_cmp_gt_i16_sdwa s[6:7], v5, s4 src0_sel:BYTE_0 src1_sel:DWORD
	s_mov_b64 s[4:5], 0
                                        ; implicit-def: $sgpr10
	s_and_saveexec_b64 s[8:9], s[6:7]
	s_xor_b64 s[6:7], exec, s[8:9]
	s_cbranch_execnz .LBB5_3301
; %bb.1253:
	s_or_saveexec_b64 s[6:7], s[6:7]
	v_mov_b32_e32 v3, s10
	s_xor_b64 exec, exec, s[6:7]
	s_cbranch_execnz .LBB5_3304
.LBB5_1254:
	s_or_b64 exec, exec, s[6:7]
	s_and_saveexec_b64 s[6:7], s[4:5]
	s_cbranch_execz .LBB5_1256
.LBB5_1255:
	v_mov_b32_e32 v3, 8
	v_and_b32_e32 v4, 7, v5
	v_lshrrev_b32_sdwa v3, v3, v5 dst_sel:BYTE_1 dst_unused:UNUSED_PAD src0_sel:DWORD src1_sel:DWORD
	v_ffbh_u32_e32 v6, v4
	v_or_b32_sdwa v3, v5, v3 dst_sel:DWORD dst_unused:UNUSED_PAD src0_sel:BYTE_0 src1_sel:DWORD
	v_min_u32_e32 v6, 32, v6
	v_lshrrev_b16_e32 v3, 3, v3
	v_subrev_u32_e32 v7, 28, v6
	v_and_b32_e32 v3, 15, v3
	v_lshlrev_b32_e32 v7, v7, v5
	v_sub_u32_e32 v6, 29, v6
	v_and_b32_e32 v7, 7, v7
	v_cmp_eq_u16_e32 vcc, 0, v3
	v_cndmask_b32_e32 v4, v4, v7, vcc
	v_cndmask_b32_e32 v3, v3, v6, vcc
	v_lshlrev_b32_e32 v6, 24, v5
	v_mov_b32_e32 v7, 0x3b800000
	v_lshlrev_b32_e32 v4, 20, v4
	v_and_b32_e32 v6, 0x80000000, v6
	v_lshl_add_u32 v3, v3, 23, v7
	v_or3_b32 v3, v6, v3, v4
.LBB5_1256:
	s_or_b64 exec, exec, s[6:7]
	s_nop 0
	v_mfma_f32_16x16x4f32 a[0:3], v2, v3, a[0:3]
	v_lshrrev_b32_e32 v3, 8, v9
	s_movk_i32 s4, 0x7f
	v_cmp_gt_i16_sdwa s[6:7], v3, s4 src0_sel:BYTE_0 src1_sel:DWORD
	s_mov_b64 s[4:5], 0
                                        ; implicit-def: $sgpr10
	s_and_saveexec_b64 s[8:9], s[6:7]
	s_xor_b64 s[6:7], exec, s[8:9]
	s_cbranch_execnz .LBB5_3305
; %bb.1257:
	s_or_saveexec_b64 s[6:7], s[6:7]
	v_mov_b32_e32 v2, s10
	s_xor_b64 exec, exec, s[6:7]
	s_cbranch_execnz .LBB5_3308
.LBB5_1258:
	s_or_b64 exec, exec, s[6:7]
	s_and_saveexec_b64 s[6:7], s[4:5]
	s_cbranch_execz .LBB5_1260
.LBB5_1259:
	v_bfe_u32 v2, v9, 8, 3
	v_ffbh_u32_e32 v6, v2
	v_min_u32_e32 v6, 32, v6
	v_lshrrev_b16_e32 v4, 3, v3
	v_subrev_u32_e32 v7, 28, v6
	v_and_b32_e32 v4, 15, v4
	v_lshlrev_b32_e32 v3, v7, v3
	v_sub_u32_e32 v6, 29, v6
	v_and_b32_e32 v3, 7, v3
	v_cmp_eq_u16_e32 vcc, 0, v4
	v_cndmask_b32_e32 v2, v2, v3, vcc
	v_cndmask_b32_e32 v3, v4, v6, vcc
	v_lshlrev_b32_e32 v4, 16, v9
	v_mov_b32_e32 v6, 0x3b800000
	v_lshlrev_b32_e32 v2, 20, v2
	v_and_b32_e32 v4, 0x80000000, v4
	v_lshl_add_u32 v3, v3, 23, v6
	v_or3_b32 v2, v4, v3, v2
.LBB5_1260:
	s_or_b64 exec, exec, s[6:7]
	v_lshrrev_b32_e32 v3, 8, v5
	s_movk_i32 s4, 0x7f
	v_cmp_gt_i16_sdwa s[6:7], v3, s4 src0_sel:BYTE_0 src1_sel:DWORD
	s_mov_b64 s[4:5], 0
                                        ; implicit-def: $sgpr10
	s_and_saveexec_b64 s[8:9], s[6:7]
	s_xor_b64 s[6:7], exec, s[8:9]
	s_cbranch_execnz .LBB5_3309
; %bb.1261:
	s_or_saveexec_b64 s[6:7], s[6:7]
	v_mov_b32_e32 v4, s10
	s_xor_b64 exec, exec, s[6:7]
	s_cbranch_execnz .LBB5_3312
.LBB5_1262:
	s_or_b64 exec, exec, s[6:7]
	s_and_saveexec_b64 s[6:7], s[4:5]
	s_cbranch_execz .LBB5_1264
.LBB5_1263:
	v_bfe_u32 v4, v5, 8, 3
	v_ffbh_u32_e32 v7, v4
	v_min_u32_e32 v7, 32, v7
	v_lshrrev_b16_e32 v6, 3, v3
	v_subrev_u32_e32 v8, 28, v7
	v_and_b32_e32 v6, 15, v6
	v_lshlrev_b32_e32 v3, v8, v3
	v_sub_u32_e32 v7, 29, v7
	v_and_b32_e32 v3, 7, v3
	v_cmp_eq_u16_e32 vcc, 0, v6
	v_cndmask_b32_e32 v3, v4, v3, vcc
	v_cndmask_b32_e32 v4, v6, v7, vcc
	v_lshlrev_b32_e32 v6, 16, v5
	v_mov_b32_e32 v7, 0x3b800000
	v_lshlrev_b32_e32 v3, 20, v3
	v_and_b32_e32 v6, 0x80000000, v6
	v_lshl_add_u32 v4, v4, 23, v7
	v_or3_b32 v4, v6, v4, v3
.LBB5_1264:
	s_or_b64 exec, exec, s[6:7]
	s_nop 0
	v_mfma_f32_16x16x4f32 a[0:3], v2, v4, a[0:3]
	s_movk_i32 s4, 0xff
	v_and_b32_sdwa v3, v9, s4 dst_sel:DWORD dst_unused:UNUSED_PAD src0_sel:WORD_1 src1_sel:DWORD
	s_movk_i32 s4, 0x7f
	v_cmp_lt_i16_e32 vcc, s4, v3
	s_mov_b64 s[4:5], 0
                                        ; implicit-def: $sgpr10
	s_and_saveexec_b64 s[6:7], vcc
	s_xor_b64 s[6:7], exec, s[6:7]
	s_cbranch_execnz .LBB5_3313
; %bb.1265:
	s_or_saveexec_b64 s[6:7], s[6:7]
	v_mov_b32_e32 v2, s10
	s_xor_b64 exec, exec, s[6:7]
	s_cbranch_execnz .LBB5_3316
.LBB5_1266:
	s_or_b64 exec, exec, s[6:7]
	s_and_saveexec_b64 s[6:7], s[4:5]
	s_cbranch_execz .LBB5_1268
.LBB5_1267:
	v_bfe_u32 v2, v9, 16, 3
	v_ffbh_u32_e32 v6, v2
	v_min_u32_e32 v6, 32, v6
	v_lshrrev_b32_e32 v3, 19, v9
	v_subrev_u32_e32 v7, 28, v6
	v_and_b32_e32 v3, 15, v3
	v_lshlrev_b32_sdwa v7, v7, v9 dst_sel:DWORD dst_unused:UNUSED_PAD src0_sel:DWORD src1_sel:WORD_1
	v_bfe_u32 v4, v9, 19, 4
	v_sub_u32_e32 v6, 29, v6
	v_and_b32_e32 v7, 7, v7
	v_cmp_eq_u16_e32 vcc, 0, v3
	v_cndmask_b32_e32 v2, v2, v7, vcc
	v_cndmask_b32_e32 v3, v4, v6, vcc
	v_lshlrev_b32_e32 v4, 8, v9
	v_mov_b32_e32 v6, 0x3b800000
	v_lshlrev_b32_e32 v2, 20, v2
	v_and_b32_e32 v4, 0x80000000, v4
	v_lshl_add_u32 v3, v3, 23, v6
	v_or3_b32 v2, v4, v3, v2
.LBB5_1268:
	s_or_b64 exec, exec, s[6:7]
	s_movk_i32 s4, 0xff
	v_and_b32_sdwa v3, v5, s4 dst_sel:DWORD dst_unused:UNUSED_PAD src0_sel:WORD_1 src1_sel:DWORD
	s_movk_i32 s4, 0x7f
	v_cmp_lt_i16_e32 vcc, s4, v3
	s_mov_b64 s[4:5], 0
                                        ; implicit-def: $sgpr10
	s_and_saveexec_b64 s[6:7], vcc
	s_xor_b64 s[6:7], exec, s[6:7]
	s_cbranch_execnz .LBB5_3317
; %bb.1269:
	s_or_saveexec_b64 s[6:7], s[6:7]
	v_mov_b32_e32 v4, s10
	s_xor_b64 exec, exec, s[6:7]
	s_cbranch_execnz .LBB5_3320
.LBB5_1270:
	s_or_b64 exec, exec, s[6:7]
	s_and_saveexec_b64 s[6:7], s[4:5]
	s_cbranch_execz .LBB5_1272
.LBB5_1271:
	v_bfe_u32 v3, v5, 16, 3
	v_ffbh_u32_e32 v7, v3
	v_min_u32_e32 v7, 32, v7
	v_lshrrev_b32_e32 v4, 19, v5
	v_subrev_u32_e32 v8, 28, v7
	v_and_b32_e32 v4, 15, v4
	v_lshlrev_b32_sdwa v8, v8, v5 dst_sel:DWORD dst_unused:UNUSED_PAD src0_sel:DWORD src1_sel:WORD_1
	v_bfe_u32 v6, v5, 19, 4
	v_sub_u32_e32 v7, 29, v7
	v_and_b32_e32 v8, 7, v8
	v_cmp_eq_u16_e32 vcc, 0, v4
	v_cndmask_b32_e32 v3, v3, v8, vcc
	v_cndmask_b32_e32 v4, v6, v7, vcc
	v_lshlrev_b32_e32 v6, 8, v5
	v_mov_b32_e32 v7, 0x3b800000
	v_lshlrev_b32_e32 v3, 20, v3
	v_and_b32_e32 v6, 0x80000000, v6
	v_lshl_add_u32 v4, v4, 23, v7
	v_or3_b32 v4, v6, v4, v3
.LBB5_1272:
	s_or_b64 exec, exec, s[6:7]
	s_nop 0
	v_mfma_f32_16x16x4f32 a[0:3], v2, v4, a[0:3]
	s_movk_i32 s4, 0x7f
	v_cmp_gt_i16_sdwa s[6:7], v9, s4 src0_sel:BYTE_3 src1_sel:DWORD
	s_mov_b64 s[4:5], 0
                                        ; implicit-def: $sgpr10
	s_and_saveexec_b64 s[8:9], s[6:7]
	s_xor_b64 s[6:7], exec, s[8:9]
	s_cbranch_execnz .LBB5_3321
; %bb.1273:
	s_or_saveexec_b64 s[6:7], s[6:7]
	v_mov_b32_e32 v2, s10
	s_xor_b64 exec, exec, s[6:7]
	s_cbranch_execnz .LBB5_3324
.LBB5_1274:
	s_or_b64 exec, exec, s[6:7]
	s_and_saveexec_b64 s[6:7], s[4:5]
	s_cbranch_execz .LBB5_1276
.LBB5_1275:
	v_bfe_u32 v2, v9, 24, 3
	v_ffbh_u32_e32 v7, v2
	v_min_u32_e32 v7, 32, v7
	v_lshrrev_b32_e32 v4, 27, v9
	v_subrev_u32_e32 v8, 28, v7
	v_and_b32_e32 v4, 15, v4
	v_lshlrev_b32_sdwa v8, v8, v9 dst_sel:DWORD dst_unused:UNUSED_PAD src0_sel:DWORD src1_sel:BYTE_3
	v_bfe_u32 v6, v9, 27, 4
	v_sub_u32_e32 v7, 29, v7
	v_and_b32_e32 v8, 7, v8
	v_cmp_eq_u16_e32 vcc, 0, v4
	v_cndmask_b32_e32 v2, v2, v8, vcc
	v_cndmask_b32_e32 v4, v6, v7, vcc
	v_mov_b32_e32 v6, 0x3b800000
	v_and_b32_e32 v3, 0x80000000, v9
	v_lshlrev_b32_e32 v2, 20, v2
	v_lshl_add_u32 v4, v4, 23, v6
	v_or3_b32 v2, v3, v4, v2
.LBB5_1276:
	s_or_b64 exec, exec, s[6:7]
	s_movk_i32 s4, 0x7f
	v_cmp_gt_i16_sdwa s[6:7], v5, s4 src0_sel:BYTE_3 src1_sel:DWORD
	s_mov_b64 s[4:5], 0
                                        ; implicit-def: $sgpr10
	s_and_saveexec_b64 s[8:9], s[6:7]
	s_xor_b64 s[6:7], exec, s[8:9]
	s_cbranch_execnz .LBB5_3325
; %bb.1277:
	s_or_saveexec_b64 s[6:7], s[6:7]
	v_mov_b32_e32 v3, s10
	s_xor_b64 exec, exec, s[6:7]
	s_cbranch_execnz .LBB5_3328
.LBB5_1278:
	s_or_b64 exec, exec, s[6:7]
	s_and_saveexec_b64 s[6:7], s[4:5]
	s_cbranch_execz .LBB5_1280
.LBB5_1279:
	v_bfe_u32 v3, v5, 24, 3
	v_ffbh_u32_e32 v8, v3
	v_min_u32_e32 v8, 32, v8
	v_lshrrev_b32_e32 v6, 27, v5
	v_subrev_u32_e32 v9, 28, v8
	v_and_b32_e32 v4, 0x80000000, v5
	v_and_b32_e32 v6, 15, v6
	v_bfe_u32 v7, v5, 27, 4
	v_lshlrev_b32_sdwa v5, v9, v5 dst_sel:DWORD dst_unused:UNUSED_PAD src0_sel:DWORD src1_sel:BYTE_3
	v_sub_u32_e32 v8, 29, v8
	v_and_b32_e32 v5, 7, v5
	v_cmp_eq_u16_e32 vcc, 0, v6
	v_cndmask_b32_e32 v3, v3, v5, vcc
	v_cndmask_b32_e32 v5, v7, v8, vcc
	v_mov_b32_e32 v6, 0x3b800000
	v_lshlrev_b32_e32 v3, 20, v3
	v_lshl_add_u32 v5, v5, 23, v6
	v_or3_b32 v3, v4, v5, v3
.LBB5_1280:
	s_or_b64 exec, exec, s[6:7]
	s_nop 0
	v_mfma_f32_16x16x4f32 a[0:3], v2, v3, a[0:3]
	s_movk_i32 s4, 0x7f
                                        ; implicit-def: $sgpr10
	s_nop 7
	s_nop 1
	flat_store_dwordx4 v[18:19], a[0:3] offset:448
	flat_load_dwordx4 v[20:23], v[0:1] offset:16
	s_nop 0
	flat_load_dwordx2 v[18:19], v[0:1] offset:32
	s_waitcnt vmcnt(0) lgkmcnt(0)
	flat_load_dwordx4 v[14:17], v[20:21] offset:32
	flat_load_dwordx4 v[6:9], v[20:21] offset:48
	;; [unrolled: 1-line block ×4, first 2 shown]
	s_waitcnt vmcnt(0) lgkmcnt(0)
	v_cmp_gt_i16_sdwa s[6:7], v14, s4 src0_sel:BYTE_0 src1_sel:DWORD
	s_mov_b64 s[4:5], 0
	s_and_saveexec_b64 s[8:9], s[6:7]
	s_xor_b64 s[6:7], exec, s[8:9]
	s_cbranch_execnz .LBB5_3329
; %bb.1281:
	s_or_saveexec_b64 s[6:7], s[6:7]
	v_mov_b32_e32 v20, s10
	s_xor_b64 exec, exec, s[6:7]
	s_cbranch_execnz .LBB5_3332
.LBB5_1282:
	s_or_b64 exec, exec, s[6:7]
	s_and_saveexec_b64 s[6:7], s[4:5]
	s_cbranch_execz .LBB5_1284
.LBB5_1283:
	v_and_b32_e32 v20, 7, v14
	v_ffbh_u32_e32 v22, v20
	v_min_u32_e32 v22, 32, v22
	v_lshrrev_b16_e32 v21, 3, v14
	v_subrev_u32_e32 v23, 28, v22
	v_and_b32_e32 v21, 15, v21
	v_lshlrev_b32_e32 v23, v23, v14
	v_sub_u32_e32 v22, 29, v22
	v_and_b32_e32 v23, 7, v23
	v_cmp_eq_u16_e32 vcc, 0, v21
	v_cndmask_b32_e32 v20, v20, v23, vcc
	v_cndmask_b32_e32 v21, v21, v22, vcc
	v_lshlrev_b32_e32 v22, 24, v14
	v_mov_b32_e32 v23, 0x3b800000
	v_lshlrev_b32_e32 v20, 20, v20
	v_and_b32_e32 v22, 0x80000000, v22
	v_lshl_add_u32 v21, v21, 23, v23
	v_or3_b32 v20, v22, v21, v20
.LBB5_1284:
	s_or_b64 exec, exec, s[6:7]
	s_movk_i32 s4, 0x7f
	v_cmp_gt_i16_sdwa s[6:7], v10, s4 src0_sel:BYTE_0 src1_sel:DWORD
	s_mov_b64 s[4:5], 0
                                        ; implicit-def: $sgpr10
	s_and_saveexec_b64 s[8:9], s[6:7]
	s_xor_b64 s[6:7], exec, s[8:9]
	s_cbranch_execnz .LBB5_3333
; %bb.1285:
	s_or_saveexec_b64 s[6:7], s[6:7]
	v_mov_b32_e32 v21, s10
	s_xor_b64 exec, exec, s[6:7]
	s_cbranch_execnz .LBB5_3336
.LBB5_1286:
	s_or_b64 exec, exec, s[6:7]
	s_and_saveexec_b64 s[6:7], s[4:5]
	s_cbranch_execz .LBB5_1288
.LBB5_1287:
	v_and_b32_e32 v21, 7, v10
	v_ffbh_u32_e32 v23, v21
	v_min_u32_e32 v23, 32, v23
	v_lshrrev_b16_e32 v22, 3, v10
	v_subrev_u32_e32 v24, 28, v23
	v_and_b32_e32 v22, 15, v22
	v_lshlrev_b32_e32 v24, v24, v10
	v_sub_u32_e32 v23, 29, v23
	v_and_b32_e32 v24, 7, v24
	v_cmp_eq_u16_e32 vcc, 0, v22
	v_cndmask_b32_e32 v21, v21, v24, vcc
	v_cndmask_b32_e32 v22, v22, v23, vcc
	v_lshlrev_b32_e32 v23, 24, v10
	v_mov_b32_e32 v24, 0x3b800000
	v_lshlrev_b32_e32 v21, 20, v21
	v_and_b32_e32 v23, 0x80000000, v23
	v_lshl_add_u32 v22, v22, 23, v24
	v_or3_b32 v21, v23, v22, v21
.LBB5_1288:
	s_or_b64 exec, exec, s[6:7]
	flat_load_dwordx4 a[0:3], v[18:19] offset:464
	s_movk_i32 s4, 0x7f
                                        ; implicit-def: $sgpr10
	s_waitcnt vmcnt(0) lgkmcnt(0)
	v_mfma_f32_16x16x4f32 a[0:3], v20, v21, a[0:3]
	v_lshrrev_b32_e32 v21, 8, v14
	v_cmp_gt_i16_sdwa s[6:7], v21, s4 src0_sel:BYTE_0 src1_sel:DWORD
	s_mov_b64 s[4:5], 0
	s_and_saveexec_b64 s[8:9], s[6:7]
	s_xor_b64 s[6:7], exec, s[8:9]
	s_cbranch_execnz .LBB5_3337
; %bb.1289:
	s_or_saveexec_b64 s[6:7], s[6:7]
	v_mov_b32_e32 v20, s10
	s_xor_b64 exec, exec, s[6:7]
	s_cbranch_execnz .LBB5_3340
.LBB5_1290:
	s_or_b64 exec, exec, s[6:7]
	s_and_saveexec_b64 s[6:7], s[4:5]
	s_cbranch_execz .LBB5_1292
.LBB5_1291:
	v_bfe_u32 v20, v14, 8, 3
	v_ffbh_u32_e32 v23, v20
	v_min_u32_e32 v23, 32, v23
	v_lshrrev_b16_e32 v22, 3, v21
	v_subrev_u32_e32 v24, 28, v23
	v_and_b32_e32 v22, 15, v22
	v_lshlrev_b32_e32 v21, v24, v21
	v_sub_u32_e32 v23, 29, v23
	v_and_b32_e32 v21, 7, v21
	v_cmp_eq_u16_e32 vcc, 0, v22
	v_cndmask_b32_e32 v20, v20, v21, vcc
	v_cndmask_b32_e32 v21, v22, v23, vcc
	v_lshlrev_b32_e32 v22, 16, v14
	v_mov_b32_e32 v23, 0x3b800000
	v_lshlrev_b32_e32 v20, 20, v20
	v_and_b32_e32 v22, 0x80000000, v22
	v_lshl_add_u32 v21, v21, 23, v23
	v_or3_b32 v20, v22, v21, v20
.LBB5_1292:
	s_or_b64 exec, exec, s[6:7]
	v_lshrrev_b32_e32 v21, 8, v10
	s_movk_i32 s4, 0x7f
	v_cmp_gt_i16_sdwa s[6:7], v21, s4 src0_sel:BYTE_0 src1_sel:DWORD
	s_mov_b64 s[4:5], 0
                                        ; implicit-def: $sgpr10
	s_and_saveexec_b64 s[8:9], s[6:7]
	s_xor_b64 s[6:7], exec, s[8:9]
	s_cbranch_execnz .LBB5_3341
; %bb.1293:
	s_or_saveexec_b64 s[6:7], s[6:7]
	v_mov_b32_e32 v22, s10
	s_xor_b64 exec, exec, s[6:7]
	s_cbranch_execnz .LBB5_3344
.LBB5_1294:
	s_or_b64 exec, exec, s[6:7]
	s_and_saveexec_b64 s[6:7], s[4:5]
	s_cbranch_execz .LBB5_1296
.LBB5_1295:
	v_bfe_u32 v22, v10, 8, 3
	v_ffbh_u32_e32 v24, v22
	v_min_u32_e32 v24, 32, v24
	v_lshrrev_b16_e32 v23, 3, v21
	v_subrev_u32_e32 v25, 28, v24
	v_and_b32_e32 v23, 15, v23
	v_lshlrev_b32_e32 v21, v25, v21
	v_sub_u32_e32 v24, 29, v24
	v_and_b32_e32 v21, 7, v21
	v_cmp_eq_u16_e32 vcc, 0, v23
	v_cndmask_b32_e32 v21, v22, v21, vcc
	v_cndmask_b32_e32 v22, v23, v24, vcc
	v_lshlrev_b32_e32 v23, 16, v10
	v_mov_b32_e32 v24, 0x3b800000
	v_lshlrev_b32_e32 v21, 20, v21
	v_and_b32_e32 v23, 0x80000000, v23
	v_lshl_add_u32 v22, v22, 23, v24
	v_or3_b32 v22, v23, v22, v21
.LBB5_1296:
	s_or_b64 exec, exec, s[6:7]
	s_nop 0
	v_mfma_f32_16x16x4f32 a[0:3], v20, v22, a[0:3]
	s_movk_i32 s4, 0xff
	v_and_b32_sdwa v21, v14, s4 dst_sel:DWORD dst_unused:UNUSED_PAD src0_sel:WORD_1 src1_sel:DWORD
	s_movk_i32 s4, 0x7f
	v_cmp_lt_i16_e32 vcc, s4, v21
	s_mov_b64 s[4:5], 0
                                        ; implicit-def: $sgpr10
	s_and_saveexec_b64 s[6:7], vcc
	s_xor_b64 s[6:7], exec, s[6:7]
	s_cbranch_execnz .LBB5_3345
; %bb.1297:
	s_or_saveexec_b64 s[6:7], s[6:7]
	v_mov_b32_e32 v20, s10
	s_xor_b64 exec, exec, s[6:7]
	s_cbranch_execnz .LBB5_3348
.LBB5_1298:
	s_or_b64 exec, exec, s[6:7]
	s_and_saveexec_b64 s[6:7], s[4:5]
	s_cbranch_execz .LBB5_1300
.LBB5_1299:
	v_bfe_u32 v20, v14, 16, 3
	v_ffbh_u32_e32 v23, v20
	v_min_u32_e32 v23, 32, v23
	v_lshrrev_b32_e32 v21, 19, v14
	v_subrev_u32_e32 v24, 28, v23
	v_and_b32_e32 v21, 15, v21
	v_lshlrev_b32_sdwa v24, v24, v14 dst_sel:DWORD dst_unused:UNUSED_PAD src0_sel:DWORD src1_sel:WORD_1
	v_bfe_u32 v22, v14, 19, 4
	v_sub_u32_e32 v23, 29, v23
	v_and_b32_e32 v24, 7, v24
	v_cmp_eq_u16_e32 vcc, 0, v21
	v_cndmask_b32_e32 v20, v20, v24, vcc
	v_cndmask_b32_e32 v21, v22, v23, vcc
	v_lshlrev_b32_e32 v22, 8, v14
	v_mov_b32_e32 v23, 0x3b800000
	v_lshlrev_b32_e32 v20, 20, v20
	v_and_b32_e32 v22, 0x80000000, v22
	v_lshl_add_u32 v21, v21, 23, v23
	v_or3_b32 v20, v22, v21, v20
.LBB5_1300:
	s_or_b64 exec, exec, s[6:7]
	s_movk_i32 s4, 0xff
	v_and_b32_sdwa v21, v10, s4 dst_sel:DWORD dst_unused:UNUSED_PAD src0_sel:WORD_1 src1_sel:DWORD
	s_movk_i32 s4, 0x7f
	v_cmp_lt_i16_e32 vcc, s4, v21
	s_mov_b64 s[4:5], 0
                                        ; implicit-def: $sgpr10
	s_and_saveexec_b64 s[6:7], vcc
	s_xor_b64 s[6:7], exec, s[6:7]
	s_cbranch_execnz .LBB5_3349
; %bb.1301:
	s_or_saveexec_b64 s[6:7], s[6:7]
	v_mov_b32_e32 v22, s10
	s_xor_b64 exec, exec, s[6:7]
	s_cbranch_execnz .LBB5_3352
.LBB5_1302:
	s_or_b64 exec, exec, s[6:7]
	s_and_saveexec_b64 s[6:7], s[4:5]
	s_cbranch_execz .LBB5_1304
.LBB5_1303:
	v_bfe_u32 v21, v10, 16, 3
	v_ffbh_u32_e32 v24, v21
	v_min_u32_e32 v24, 32, v24
	v_lshrrev_b32_e32 v22, 19, v10
	v_subrev_u32_e32 v25, 28, v24
	v_and_b32_e32 v22, 15, v22
	v_lshlrev_b32_sdwa v25, v25, v10 dst_sel:DWORD dst_unused:UNUSED_PAD src0_sel:DWORD src1_sel:WORD_1
	v_bfe_u32 v23, v10, 19, 4
	v_sub_u32_e32 v24, 29, v24
	v_and_b32_e32 v25, 7, v25
	v_cmp_eq_u16_e32 vcc, 0, v22
	v_cndmask_b32_e32 v21, v21, v25, vcc
	v_cndmask_b32_e32 v22, v23, v24, vcc
	v_lshlrev_b32_e32 v23, 8, v10
	v_mov_b32_e32 v24, 0x3b800000
	v_lshlrev_b32_e32 v21, 20, v21
	v_and_b32_e32 v23, 0x80000000, v23
	v_lshl_add_u32 v22, v22, 23, v24
	v_or3_b32 v22, v23, v22, v21
.LBB5_1304:
	s_or_b64 exec, exec, s[6:7]
	s_nop 0
	v_mfma_f32_16x16x4f32 a[0:3], v20, v22, a[0:3]
	s_movk_i32 s4, 0x7f
	v_cmp_gt_i16_sdwa s[6:7], v14, s4 src0_sel:BYTE_3 src1_sel:DWORD
	s_mov_b64 s[4:5], 0
                                        ; implicit-def: $sgpr10
	s_and_saveexec_b64 s[8:9], s[6:7]
	s_xor_b64 s[6:7], exec, s[8:9]
	s_cbranch_execnz .LBB5_3353
; %bb.1305:
	s_or_saveexec_b64 s[6:7], s[6:7]
	v_mov_b32_e32 v20, s10
	s_xor_b64 exec, exec, s[6:7]
	s_cbranch_execnz .LBB5_3356
.LBB5_1306:
	s_or_b64 exec, exec, s[6:7]
	s_and_saveexec_b64 s[6:7], s[4:5]
	s_cbranch_execz .LBB5_1308
.LBB5_1307:
	v_bfe_u32 v20, v14, 24, 3
	v_ffbh_u32_e32 v24, v20
	v_min_u32_e32 v24, 32, v24
	v_lshrrev_b32_e32 v22, 27, v14
	v_subrev_u32_e32 v25, 28, v24
	v_and_b32_e32 v21, 0x80000000, v14
	v_and_b32_e32 v22, 15, v22
	v_bfe_u32 v23, v14, 27, 4
	v_lshlrev_b32_sdwa v14, v25, v14 dst_sel:DWORD dst_unused:UNUSED_PAD src0_sel:DWORD src1_sel:BYTE_3
	v_sub_u32_e32 v24, 29, v24
	v_and_b32_e32 v14, 7, v14
	v_cmp_eq_u16_e32 vcc, 0, v22
	v_cndmask_b32_e32 v14, v20, v14, vcc
	v_cndmask_b32_e32 v20, v23, v24, vcc
	v_mov_b32_e32 v22, 0x3b800000
	v_lshlrev_b32_e32 v14, 20, v14
	v_lshl_add_u32 v20, v20, 23, v22
	v_or3_b32 v20, v21, v20, v14
.LBB5_1308:
	s_or_b64 exec, exec, s[6:7]
	s_movk_i32 s4, 0x7f
	v_cmp_gt_i16_sdwa s[6:7], v10, s4 src0_sel:BYTE_3 src1_sel:DWORD
	s_mov_b64 s[4:5], 0
                                        ; implicit-def: $sgpr10
	s_and_saveexec_b64 s[8:9], s[6:7]
	s_xor_b64 s[6:7], exec, s[8:9]
	s_cbranch_execnz .LBB5_3357
; %bb.1309:
	s_or_saveexec_b64 s[6:7], s[6:7]
	v_mov_b32_e32 v14, s10
	s_xor_b64 exec, exec, s[6:7]
	s_cbranch_execnz .LBB5_3360
.LBB5_1310:
	s_or_b64 exec, exec, s[6:7]
	s_and_saveexec_b64 s[6:7], s[4:5]
	s_cbranch_execz .LBB5_1312
.LBB5_1311:
	v_bfe_u32 v14, v10, 24, 3
	v_ffbh_u32_e32 v24, v14
	v_min_u32_e32 v24, 32, v24
	v_lshrrev_b32_e32 v22, 27, v10
	v_subrev_u32_e32 v25, 28, v24
	v_and_b32_e32 v21, 0x80000000, v10
	v_and_b32_e32 v22, 15, v22
	v_bfe_u32 v23, v10, 27, 4
	v_lshlrev_b32_sdwa v10, v25, v10 dst_sel:DWORD dst_unused:UNUSED_PAD src0_sel:DWORD src1_sel:BYTE_3
	v_sub_u32_e32 v24, 29, v24
	v_and_b32_e32 v10, 7, v10
	v_cmp_eq_u16_e32 vcc, 0, v22
	v_cndmask_b32_e32 v10, v14, v10, vcc
	v_cndmask_b32_e32 v14, v23, v24, vcc
	v_mov_b32_e32 v22, 0x3b800000
	v_lshlrev_b32_e32 v10, 20, v10
	v_lshl_add_u32 v14, v14, 23, v22
	v_or3_b32 v14, v21, v14, v10
.LBB5_1312:
	s_or_b64 exec, exec, s[6:7]
	s_nop 0
	v_mfma_f32_16x16x4f32 a[0:3], v20, v14, a[0:3]
	s_movk_i32 s4, 0x7f
	v_cmp_gt_i16_sdwa s[6:7], v15, s4 src0_sel:BYTE_0 src1_sel:DWORD
	s_mov_b64 s[4:5], 0
                                        ; implicit-def: $sgpr10
	s_and_saveexec_b64 s[8:9], s[6:7]
	s_xor_b64 s[6:7], exec, s[8:9]
	s_cbranch_execnz .LBB5_3361
; %bb.1313:
	s_or_saveexec_b64 s[6:7], s[6:7]
	v_mov_b32_e32 v10, s10
	s_xor_b64 exec, exec, s[6:7]
	s_cbranch_execnz .LBB5_3364
.LBB5_1314:
	s_or_b64 exec, exec, s[6:7]
	s_and_saveexec_b64 s[6:7], s[4:5]
	s_cbranch_execz .LBB5_1316
.LBB5_1315:
	v_and_b32_e32 v10, 7, v15
	v_ffbh_u32_e32 v20, v10
	v_min_u32_e32 v20, 32, v20
	v_lshrrev_b16_e32 v14, 3, v15
	v_subrev_u32_e32 v21, 28, v20
	v_and_b32_e32 v14, 15, v14
	v_lshlrev_b32_e32 v21, v21, v15
	v_sub_u32_e32 v20, 29, v20
	v_and_b32_e32 v21, 7, v21
	v_cmp_eq_u16_e32 vcc, 0, v14
	v_cndmask_b32_e32 v10, v10, v21, vcc
	v_cndmask_b32_e32 v14, v14, v20, vcc
	v_lshlrev_b32_e32 v20, 24, v15
	v_mov_b32_e32 v21, 0x3b800000
	v_lshlrev_b32_e32 v10, 20, v10
	v_and_b32_e32 v20, 0x80000000, v20
	v_lshl_add_u32 v14, v14, 23, v21
	v_or3_b32 v10, v20, v14, v10
.LBB5_1316:
	s_or_b64 exec, exec, s[6:7]
	s_movk_i32 s4, 0x7f
	v_cmp_gt_i16_sdwa s[6:7], v11, s4 src0_sel:BYTE_0 src1_sel:DWORD
	s_mov_b64 s[4:5], 0
                                        ; implicit-def: $sgpr10
	s_and_saveexec_b64 s[8:9], s[6:7]
	s_xor_b64 s[6:7], exec, s[8:9]
	s_cbranch_execnz .LBB5_3365
; %bb.1317:
	s_or_saveexec_b64 s[6:7], s[6:7]
	v_mov_b32_e32 v14, s10
	s_xor_b64 exec, exec, s[6:7]
	s_cbranch_execnz .LBB5_3368
.LBB5_1318:
	s_or_b64 exec, exec, s[6:7]
	s_and_saveexec_b64 s[6:7], s[4:5]
	s_cbranch_execz .LBB5_1320
.LBB5_1319:
	v_and_b32_e32 v14, 7, v11
	v_ffbh_u32_e32 v21, v14
	v_min_u32_e32 v21, 32, v21
	v_lshrrev_b16_e32 v20, 3, v11
	v_subrev_u32_e32 v22, 28, v21
	v_and_b32_e32 v20, 15, v20
	v_lshlrev_b32_e32 v22, v22, v11
	v_sub_u32_e32 v21, 29, v21
	v_and_b32_e32 v22, 7, v22
	v_cmp_eq_u16_e32 vcc, 0, v20
	v_cndmask_b32_e32 v14, v14, v22, vcc
	v_cndmask_b32_e32 v20, v20, v21, vcc
	v_lshlrev_b32_e32 v21, 24, v11
	v_mov_b32_e32 v22, 0x3b800000
	v_lshlrev_b32_e32 v14, 20, v14
	v_and_b32_e32 v21, 0x80000000, v21
	v_lshl_add_u32 v20, v20, 23, v22
	v_or3_b32 v14, v21, v20, v14
.LBB5_1320:
	s_or_b64 exec, exec, s[6:7]
	s_nop 0
	v_mfma_f32_16x16x4f32 a[0:3], v10, v14, a[0:3]
	v_lshrrev_b32_e32 v14, 8, v15
	s_movk_i32 s4, 0x7f
	v_cmp_gt_i16_sdwa s[6:7], v14, s4 src0_sel:BYTE_0 src1_sel:DWORD
	s_mov_b64 s[4:5], 0
                                        ; implicit-def: $sgpr10
	s_and_saveexec_b64 s[8:9], s[6:7]
	s_xor_b64 s[6:7], exec, s[8:9]
	s_cbranch_execnz .LBB5_3369
; %bb.1321:
	s_or_saveexec_b64 s[6:7], s[6:7]
	v_mov_b32_e32 v10, s10
	s_xor_b64 exec, exec, s[6:7]
	s_cbranch_execnz .LBB5_3372
.LBB5_1322:
	s_or_b64 exec, exec, s[6:7]
	s_and_saveexec_b64 s[6:7], s[4:5]
	s_cbranch_execz .LBB5_1324
.LBB5_1323:
	v_bfe_u32 v10, v15, 8, 3
	v_ffbh_u32_e32 v21, v10
	v_min_u32_e32 v21, 32, v21
	v_lshrrev_b16_e32 v20, 3, v14
	v_subrev_u32_e32 v22, 28, v21
	v_and_b32_e32 v20, 15, v20
	v_lshlrev_b32_e32 v14, v22, v14
	v_sub_u32_e32 v21, 29, v21
	v_and_b32_e32 v14, 7, v14
	v_cmp_eq_u16_e32 vcc, 0, v20
	v_cndmask_b32_e32 v10, v10, v14, vcc
	v_cndmask_b32_e32 v14, v20, v21, vcc
	v_lshlrev_b32_e32 v20, 16, v15
	v_mov_b32_e32 v21, 0x3b800000
	v_lshlrev_b32_e32 v10, 20, v10
	v_and_b32_e32 v20, 0x80000000, v20
	v_lshl_add_u32 v14, v14, 23, v21
	v_or3_b32 v10, v20, v14, v10
.LBB5_1324:
	s_or_b64 exec, exec, s[6:7]
	v_lshrrev_b32_e32 v14, 8, v11
	s_movk_i32 s4, 0x7f
	v_cmp_gt_i16_sdwa s[6:7], v14, s4 src0_sel:BYTE_0 src1_sel:DWORD
	s_mov_b64 s[4:5], 0
                                        ; implicit-def: $sgpr10
	s_and_saveexec_b64 s[8:9], s[6:7]
	s_xor_b64 s[6:7], exec, s[8:9]
	s_cbranch_execnz .LBB5_3373
; %bb.1325:
	s_or_saveexec_b64 s[6:7], s[6:7]
	v_mov_b32_e32 v20, s10
	s_xor_b64 exec, exec, s[6:7]
	s_cbranch_execnz .LBB5_3376
.LBB5_1326:
	s_or_b64 exec, exec, s[6:7]
	s_and_saveexec_b64 s[6:7], s[4:5]
	s_cbranch_execz .LBB5_1328
.LBB5_1327:
	v_bfe_u32 v20, v11, 8, 3
	v_ffbh_u32_e32 v22, v20
	v_min_u32_e32 v22, 32, v22
	v_lshrrev_b16_e32 v21, 3, v14
	v_subrev_u32_e32 v23, 28, v22
	v_and_b32_e32 v21, 15, v21
	v_lshlrev_b32_e32 v14, v23, v14
	v_sub_u32_e32 v22, 29, v22
	v_and_b32_e32 v14, 7, v14
	v_cmp_eq_u16_e32 vcc, 0, v21
	v_cndmask_b32_e32 v14, v20, v14, vcc
	v_cndmask_b32_e32 v20, v21, v22, vcc
	v_lshlrev_b32_e32 v21, 16, v11
	v_mov_b32_e32 v22, 0x3b800000
	v_lshlrev_b32_e32 v14, 20, v14
	v_and_b32_e32 v21, 0x80000000, v21
	v_lshl_add_u32 v20, v20, 23, v22
	v_or3_b32 v20, v21, v20, v14
.LBB5_1328:
	s_or_b64 exec, exec, s[6:7]
	s_nop 0
	v_mfma_f32_16x16x4f32 a[0:3], v10, v20, a[0:3]
	s_movk_i32 s4, 0xff
	v_and_b32_sdwa v14, v15, s4 dst_sel:DWORD dst_unused:UNUSED_PAD src0_sel:WORD_1 src1_sel:DWORD
	s_movk_i32 s4, 0x7f
	v_cmp_lt_i16_e32 vcc, s4, v14
	s_mov_b64 s[4:5], 0
                                        ; implicit-def: $sgpr10
	s_and_saveexec_b64 s[6:7], vcc
	s_xor_b64 s[6:7], exec, s[6:7]
	s_cbranch_execnz .LBB5_3377
; %bb.1329:
	s_or_saveexec_b64 s[6:7], s[6:7]
	v_mov_b32_e32 v10, s10
	s_xor_b64 exec, exec, s[6:7]
	s_cbranch_execnz .LBB5_3380
.LBB5_1330:
	s_or_b64 exec, exec, s[6:7]
	s_and_saveexec_b64 s[6:7], s[4:5]
	s_cbranch_execz .LBB5_1332
.LBB5_1331:
	v_bfe_u32 v10, v15, 16, 3
	v_ffbh_u32_e32 v21, v10
	v_min_u32_e32 v21, 32, v21
	v_lshrrev_b32_e32 v14, 19, v15
	v_subrev_u32_e32 v22, 28, v21
	v_and_b32_e32 v14, 15, v14
	v_lshlrev_b32_sdwa v22, v22, v15 dst_sel:DWORD dst_unused:UNUSED_PAD src0_sel:DWORD src1_sel:WORD_1
	v_bfe_u32 v20, v15, 19, 4
	v_sub_u32_e32 v21, 29, v21
	v_and_b32_e32 v22, 7, v22
	v_cmp_eq_u16_e32 vcc, 0, v14
	v_cndmask_b32_e32 v10, v10, v22, vcc
	v_cndmask_b32_e32 v14, v20, v21, vcc
	v_lshlrev_b32_e32 v20, 8, v15
	v_mov_b32_e32 v21, 0x3b800000
	v_lshlrev_b32_e32 v10, 20, v10
	v_and_b32_e32 v20, 0x80000000, v20
	v_lshl_add_u32 v14, v14, 23, v21
	v_or3_b32 v10, v20, v14, v10
.LBB5_1332:
	s_or_b64 exec, exec, s[6:7]
	s_movk_i32 s4, 0xff
	v_and_b32_sdwa v14, v11, s4 dst_sel:DWORD dst_unused:UNUSED_PAD src0_sel:WORD_1 src1_sel:DWORD
	s_movk_i32 s4, 0x7f
	v_cmp_lt_i16_e32 vcc, s4, v14
	s_mov_b64 s[4:5], 0
                                        ; implicit-def: $sgpr10
	s_and_saveexec_b64 s[6:7], vcc
	s_xor_b64 s[6:7], exec, s[6:7]
	s_cbranch_execnz .LBB5_3381
; %bb.1333:
	s_or_saveexec_b64 s[6:7], s[6:7]
	v_mov_b32_e32 v20, s10
	s_xor_b64 exec, exec, s[6:7]
	s_cbranch_execnz .LBB5_3384
.LBB5_1334:
	s_or_b64 exec, exec, s[6:7]
	s_and_saveexec_b64 s[6:7], s[4:5]
	s_cbranch_execz .LBB5_1336
.LBB5_1335:
	v_bfe_u32 v14, v11, 16, 3
	v_ffbh_u32_e32 v22, v14
	v_min_u32_e32 v22, 32, v22
	v_lshrrev_b32_e32 v20, 19, v11
	v_subrev_u32_e32 v23, 28, v22
	v_and_b32_e32 v20, 15, v20
	v_lshlrev_b32_sdwa v23, v23, v11 dst_sel:DWORD dst_unused:UNUSED_PAD src0_sel:DWORD src1_sel:WORD_1
	v_bfe_u32 v21, v11, 19, 4
	v_sub_u32_e32 v22, 29, v22
	v_and_b32_e32 v23, 7, v23
	v_cmp_eq_u16_e32 vcc, 0, v20
	v_cndmask_b32_e32 v14, v14, v23, vcc
	v_cndmask_b32_e32 v20, v21, v22, vcc
	v_lshlrev_b32_e32 v21, 8, v11
	v_mov_b32_e32 v22, 0x3b800000
	v_lshlrev_b32_e32 v14, 20, v14
	v_and_b32_e32 v21, 0x80000000, v21
	v_lshl_add_u32 v20, v20, 23, v22
	v_or3_b32 v20, v21, v20, v14
.LBB5_1336:
	s_or_b64 exec, exec, s[6:7]
	s_nop 0
	v_mfma_f32_16x16x4f32 a[0:3], v10, v20, a[0:3]
	s_movk_i32 s4, 0x7f
	v_cmp_gt_i16_sdwa s[6:7], v15, s4 src0_sel:BYTE_3 src1_sel:DWORD
	s_mov_b64 s[4:5], 0
                                        ; implicit-def: $sgpr10
	s_and_saveexec_b64 s[8:9], s[6:7]
	s_xor_b64 s[6:7], exec, s[8:9]
	s_cbranch_execnz .LBB5_3385
; %bb.1337:
	s_or_saveexec_b64 s[6:7], s[6:7]
	v_mov_b32_e32 v10, s10
	s_xor_b64 exec, exec, s[6:7]
	s_cbranch_execnz .LBB5_3388
.LBB5_1338:
	s_or_b64 exec, exec, s[6:7]
	s_and_saveexec_b64 s[6:7], s[4:5]
	s_cbranch_execz .LBB5_1340
.LBB5_1339:
	v_bfe_u32 v10, v15, 24, 3
	v_ffbh_u32_e32 v22, v10
	v_min_u32_e32 v22, 32, v22
	v_lshrrev_b32_e32 v20, 27, v15
	v_subrev_u32_e32 v23, 28, v22
	v_and_b32_e32 v14, 0x80000000, v15
	v_and_b32_e32 v20, 15, v20
	v_bfe_u32 v21, v15, 27, 4
	v_lshlrev_b32_sdwa v15, v23, v15 dst_sel:DWORD dst_unused:UNUSED_PAD src0_sel:DWORD src1_sel:BYTE_3
	v_sub_u32_e32 v22, 29, v22
	v_and_b32_e32 v15, 7, v15
	v_cmp_eq_u16_e32 vcc, 0, v20
	v_cndmask_b32_e32 v10, v10, v15, vcc
	v_cndmask_b32_e32 v15, v21, v22, vcc
	v_mov_b32_e32 v20, 0x3b800000
	v_lshlrev_b32_e32 v10, 20, v10
	v_lshl_add_u32 v15, v15, 23, v20
	v_or3_b32 v10, v14, v15, v10
.LBB5_1340:
	s_or_b64 exec, exec, s[6:7]
	s_movk_i32 s4, 0x7f
	v_cmp_gt_i16_sdwa s[6:7], v11, s4 src0_sel:BYTE_3 src1_sel:DWORD
	s_mov_b64 s[4:5], 0
                                        ; implicit-def: $sgpr10
	s_and_saveexec_b64 s[8:9], s[6:7]
	s_xor_b64 s[6:7], exec, s[8:9]
	s_cbranch_execnz .LBB5_3389
; %bb.1341:
	s_or_saveexec_b64 s[6:7], s[6:7]
	v_mov_b32_e32 v14, s10
	s_xor_b64 exec, exec, s[6:7]
	s_cbranch_execnz .LBB5_3392
.LBB5_1342:
	s_or_b64 exec, exec, s[6:7]
	s_and_saveexec_b64 s[6:7], s[4:5]
	s_cbranch_execz .LBB5_1344
.LBB5_1343:
	v_bfe_u32 v14, v11, 24, 3
	v_ffbh_u32_e32 v22, v14
	v_min_u32_e32 v22, 32, v22
	v_lshrrev_b32_e32 v20, 27, v11
	v_subrev_u32_e32 v23, 28, v22
	v_and_b32_e32 v15, 0x80000000, v11
	v_and_b32_e32 v20, 15, v20
	v_bfe_u32 v21, v11, 27, 4
	v_lshlrev_b32_sdwa v11, v23, v11 dst_sel:DWORD dst_unused:UNUSED_PAD src0_sel:DWORD src1_sel:BYTE_3
	v_sub_u32_e32 v22, 29, v22
	v_and_b32_e32 v11, 7, v11
	v_cmp_eq_u16_e32 vcc, 0, v20
	v_cndmask_b32_e32 v11, v14, v11, vcc
	v_cndmask_b32_e32 v14, v21, v22, vcc
	v_mov_b32_e32 v20, 0x3b800000
	v_lshlrev_b32_e32 v11, 20, v11
	v_lshl_add_u32 v14, v14, 23, v20
	v_or3_b32 v14, v15, v14, v11
.LBB5_1344:
	s_or_b64 exec, exec, s[6:7]
	s_nop 0
	v_mfma_f32_16x16x4f32 a[0:3], v10, v14, a[0:3]
	s_movk_i32 s4, 0x7f
	v_cmp_gt_i16_sdwa s[6:7], v16, s4 src0_sel:BYTE_0 src1_sel:DWORD
	s_mov_b64 s[4:5], 0
                                        ; implicit-def: $sgpr10
	s_and_saveexec_b64 s[8:9], s[6:7]
	s_xor_b64 s[6:7], exec, s[8:9]
	s_cbranch_execnz .LBB5_3393
; %bb.1345:
	s_or_saveexec_b64 s[6:7], s[6:7]
	v_mov_b32_e32 v10, s10
	s_xor_b64 exec, exec, s[6:7]
	s_cbranch_execnz .LBB5_3396
.LBB5_1346:
	s_or_b64 exec, exec, s[6:7]
	s_and_saveexec_b64 s[6:7], s[4:5]
	s_cbranch_execz .LBB5_1348
.LBB5_1347:
	v_and_b32_e32 v10, 7, v16
	v_ffbh_u32_e32 v14, v10
	v_min_u32_e32 v14, 32, v14
	v_lshrrev_b16_e32 v11, 3, v16
	v_subrev_u32_e32 v15, 28, v14
	v_and_b32_e32 v11, 15, v11
	v_lshlrev_b32_e32 v15, v15, v16
	v_sub_u32_e32 v14, 29, v14
	v_and_b32_e32 v15, 7, v15
	v_cmp_eq_u16_e32 vcc, 0, v11
	v_cndmask_b32_e32 v10, v10, v15, vcc
	v_cndmask_b32_e32 v11, v11, v14, vcc
	v_lshlrev_b32_e32 v14, 24, v16
	v_mov_b32_e32 v15, 0x3b800000
	v_lshlrev_b32_e32 v10, 20, v10
	v_and_b32_e32 v14, 0x80000000, v14
	v_lshl_add_u32 v11, v11, 23, v15
	v_or3_b32 v10, v14, v11, v10
.LBB5_1348:
	s_or_b64 exec, exec, s[6:7]
	s_movk_i32 s4, 0x7f
	v_cmp_gt_i16_sdwa s[6:7], v12, s4 src0_sel:BYTE_0 src1_sel:DWORD
	s_mov_b64 s[4:5], 0
                                        ; implicit-def: $sgpr10
	s_and_saveexec_b64 s[8:9], s[6:7]
	s_xor_b64 s[6:7], exec, s[8:9]
	s_cbranch_execnz .LBB5_3397
; %bb.1349:
	s_or_saveexec_b64 s[6:7], s[6:7]
	v_mov_b32_e32 v11, s10
	s_xor_b64 exec, exec, s[6:7]
	s_cbranch_execnz .LBB5_3400
.LBB5_1350:
	s_or_b64 exec, exec, s[6:7]
	s_and_saveexec_b64 s[6:7], s[4:5]
	s_cbranch_execz .LBB5_1352
.LBB5_1351:
	v_and_b32_e32 v11, 7, v12
	v_ffbh_u32_e32 v15, v11
	v_min_u32_e32 v15, 32, v15
	v_lshrrev_b16_e32 v14, 3, v12
	v_subrev_u32_e32 v20, 28, v15
	v_and_b32_e32 v14, 15, v14
	v_lshlrev_b32_e32 v20, v20, v12
	v_sub_u32_e32 v15, 29, v15
	v_and_b32_e32 v20, 7, v20
	v_cmp_eq_u16_e32 vcc, 0, v14
	v_cndmask_b32_e32 v11, v11, v20, vcc
	v_cndmask_b32_e32 v14, v14, v15, vcc
	v_lshlrev_b32_e32 v15, 24, v12
	v_mov_b32_e32 v20, 0x3b800000
	v_lshlrev_b32_e32 v11, 20, v11
	v_and_b32_e32 v15, 0x80000000, v15
	v_lshl_add_u32 v14, v14, 23, v20
	v_or3_b32 v11, v15, v14, v11
.LBB5_1352:
	s_or_b64 exec, exec, s[6:7]
	s_nop 0
	v_mfma_f32_16x16x4f32 a[0:3], v10, v11, a[0:3]
	v_lshrrev_b32_e32 v11, 8, v16
	s_movk_i32 s4, 0x7f
	v_cmp_gt_i16_sdwa s[6:7], v11, s4 src0_sel:BYTE_0 src1_sel:DWORD
	s_mov_b64 s[4:5], 0
                                        ; implicit-def: $sgpr10
	s_and_saveexec_b64 s[8:9], s[6:7]
	s_xor_b64 s[6:7], exec, s[8:9]
	s_cbranch_execnz .LBB5_3401
; %bb.1353:
	s_or_saveexec_b64 s[6:7], s[6:7]
	v_mov_b32_e32 v10, s10
	s_xor_b64 exec, exec, s[6:7]
	s_cbranch_execnz .LBB5_3404
.LBB5_1354:
	s_or_b64 exec, exec, s[6:7]
	s_and_saveexec_b64 s[6:7], s[4:5]
	s_cbranch_execz .LBB5_1356
.LBB5_1355:
	v_bfe_u32 v10, v16, 8, 3
	v_ffbh_u32_e32 v15, v10
	v_min_u32_e32 v15, 32, v15
	v_lshrrev_b16_e32 v14, 3, v11
	v_subrev_u32_e32 v20, 28, v15
	v_and_b32_e32 v14, 15, v14
	v_lshlrev_b32_e32 v11, v20, v11
	v_sub_u32_e32 v15, 29, v15
	v_and_b32_e32 v11, 7, v11
	v_cmp_eq_u16_e32 vcc, 0, v14
	v_cndmask_b32_e32 v10, v10, v11, vcc
	v_cndmask_b32_e32 v11, v14, v15, vcc
	v_lshlrev_b32_e32 v14, 16, v16
	v_mov_b32_e32 v15, 0x3b800000
	v_lshlrev_b32_e32 v10, 20, v10
	v_and_b32_e32 v14, 0x80000000, v14
	v_lshl_add_u32 v11, v11, 23, v15
	v_or3_b32 v10, v14, v11, v10
.LBB5_1356:
	s_or_b64 exec, exec, s[6:7]
	v_lshrrev_b32_e32 v11, 8, v12
	s_movk_i32 s4, 0x7f
	v_cmp_gt_i16_sdwa s[6:7], v11, s4 src0_sel:BYTE_0 src1_sel:DWORD
	s_mov_b64 s[4:5], 0
                                        ; implicit-def: $sgpr10
	s_and_saveexec_b64 s[8:9], s[6:7]
	s_xor_b64 s[6:7], exec, s[8:9]
	s_cbranch_execnz .LBB5_3405
; %bb.1357:
	s_or_saveexec_b64 s[6:7], s[6:7]
	v_mov_b32_e32 v14, s10
	s_xor_b64 exec, exec, s[6:7]
	s_cbranch_execnz .LBB5_3408
.LBB5_1358:
	s_or_b64 exec, exec, s[6:7]
	s_and_saveexec_b64 s[6:7], s[4:5]
	s_cbranch_execz .LBB5_1360
.LBB5_1359:
	v_bfe_u32 v14, v12, 8, 3
	v_ffbh_u32_e32 v20, v14
	v_min_u32_e32 v20, 32, v20
	v_lshrrev_b16_e32 v15, 3, v11
	v_subrev_u32_e32 v21, 28, v20
	v_and_b32_e32 v15, 15, v15
	v_lshlrev_b32_e32 v11, v21, v11
	v_sub_u32_e32 v20, 29, v20
	v_and_b32_e32 v11, 7, v11
	v_cmp_eq_u16_e32 vcc, 0, v15
	v_cndmask_b32_e32 v11, v14, v11, vcc
	v_cndmask_b32_e32 v14, v15, v20, vcc
	v_lshlrev_b32_e32 v15, 16, v12
	v_mov_b32_e32 v20, 0x3b800000
	v_lshlrev_b32_e32 v11, 20, v11
	v_and_b32_e32 v15, 0x80000000, v15
	v_lshl_add_u32 v14, v14, 23, v20
	v_or3_b32 v14, v15, v14, v11
.LBB5_1360:
	s_or_b64 exec, exec, s[6:7]
	s_nop 0
	v_mfma_f32_16x16x4f32 a[0:3], v10, v14, a[0:3]
	s_movk_i32 s4, 0xff
	v_and_b32_sdwa v11, v16, s4 dst_sel:DWORD dst_unused:UNUSED_PAD src0_sel:WORD_1 src1_sel:DWORD
	s_movk_i32 s4, 0x7f
	v_cmp_lt_i16_e32 vcc, s4, v11
	s_mov_b64 s[4:5], 0
                                        ; implicit-def: $sgpr10
	s_and_saveexec_b64 s[6:7], vcc
	s_xor_b64 s[6:7], exec, s[6:7]
	s_cbranch_execnz .LBB5_3409
; %bb.1361:
	s_or_saveexec_b64 s[6:7], s[6:7]
	v_mov_b32_e32 v10, s10
	s_xor_b64 exec, exec, s[6:7]
	s_cbranch_execnz .LBB5_3412
.LBB5_1362:
	s_or_b64 exec, exec, s[6:7]
	s_and_saveexec_b64 s[6:7], s[4:5]
	s_cbranch_execz .LBB5_1364
.LBB5_1363:
	v_bfe_u32 v10, v16, 16, 3
	v_ffbh_u32_e32 v15, v10
	v_min_u32_e32 v15, 32, v15
	v_lshrrev_b32_e32 v11, 19, v16
	v_subrev_u32_e32 v20, 28, v15
	v_and_b32_e32 v11, 15, v11
	v_lshlrev_b32_sdwa v20, v20, v16 dst_sel:DWORD dst_unused:UNUSED_PAD src0_sel:DWORD src1_sel:WORD_1
	v_bfe_u32 v14, v16, 19, 4
	v_sub_u32_e32 v15, 29, v15
	v_and_b32_e32 v20, 7, v20
	v_cmp_eq_u16_e32 vcc, 0, v11
	v_cndmask_b32_e32 v10, v10, v20, vcc
	v_cndmask_b32_e32 v11, v14, v15, vcc
	v_lshlrev_b32_e32 v14, 8, v16
	v_mov_b32_e32 v15, 0x3b800000
	v_lshlrev_b32_e32 v10, 20, v10
	v_and_b32_e32 v14, 0x80000000, v14
	v_lshl_add_u32 v11, v11, 23, v15
	v_or3_b32 v10, v14, v11, v10
.LBB5_1364:
	s_or_b64 exec, exec, s[6:7]
	s_movk_i32 s4, 0xff
	v_and_b32_sdwa v11, v12, s4 dst_sel:DWORD dst_unused:UNUSED_PAD src0_sel:WORD_1 src1_sel:DWORD
	s_movk_i32 s4, 0x7f
	v_cmp_lt_i16_e32 vcc, s4, v11
	s_mov_b64 s[4:5], 0
                                        ; implicit-def: $sgpr10
	s_and_saveexec_b64 s[6:7], vcc
	s_xor_b64 s[6:7], exec, s[6:7]
	s_cbranch_execnz .LBB5_3413
; %bb.1365:
	s_or_saveexec_b64 s[6:7], s[6:7]
	v_mov_b32_e32 v14, s10
	s_xor_b64 exec, exec, s[6:7]
	s_cbranch_execnz .LBB5_3416
.LBB5_1366:
	s_or_b64 exec, exec, s[6:7]
	s_and_saveexec_b64 s[6:7], s[4:5]
	s_cbranch_execz .LBB5_1368
.LBB5_1367:
	v_bfe_u32 v11, v12, 16, 3
	v_ffbh_u32_e32 v20, v11
	v_min_u32_e32 v20, 32, v20
	v_lshrrev_b32_e32 v14, 19, v12
	v_subrev_u32_e32 v21, 28, v20
	v_and_b32_e32 v14, 15, v14
	v_lshlrev_b32_sdwa v21, v21, v12 dst_sel:DWORD dst_unused:UNUSED_PAD src0_sel:DWORD src1_sel:WORD_1
	v_bfe_u32 v15, v12, 19, 4
	v_sub_u32_e32 v20, 29, v20
	v_and_b32_e32 v21, 7, v21
	v_cmp_eq_u16_e32 vcc, 0, v14
	v_cndmask_b32_e32 v11, v11, v21, vcc
	v_cndmask_b32_e32 v14, v15, v20, vcc
	v_lshlrev_b32_e32 v15, 8, v12
	v_mov_b32_e32 v20, 0x3b800000
	v_lshlrev_b32_e32 v11, 20, v11
	v_and_b32_e32 v15, 0x80000000, v15
	v_lshl_add_u32 v14, v14, 23, v20
	v_or3_b32 v14, v15, v14, v11
.LBB5_1368:
	s_or_b64 exec, exec, s[6:7]
	s_nop 0
	v_mfma_f32_16x16x4f32 a[0:3], v10, v14, a[0:3]
	s_movk_i32 s4, 0x7f
	v_cmp_gt_i16_sdwa s[6:7], v16, s4 src0_sel:BYTE_3 src1_sel:DWORD
	s_mov_b64 s[4:5], 0
                                        ; implicit-def: $sgpr10
	s_and_saveexec_b64 s[8:9], s[6:7]
	s_xor_b64 s[6:7], exec, s[8:9]
	s_cbranch_execnz .LBB5_3417
; %bb.1369:
	s_or_saveexec_b64 s[6:7], s[6:7]
	v_mov_b32_e32 v10, s10
	s_xor_b64 exec, exec, s[6:7]
	s_cbranch_execnz .LBB5_3420
.LBB5_1370:
	s_or_b64 exec, exec, s[6:7]
	s_and_saveexec_b64 s[6:7], s[4:5]
	s_cbranch_execz .LBB5_1372
.LBB5_1371:
	v_bfe_u32 v10, v16, 24, 3
	v_ffbh_u32_e32 v20, v10
	v_min_u32_e32 v20, 32, v20
	v_lshrrev_b32_e32 v14, 27, v16
	v_subrev_u32_e32 v21, 28, v20
	v_and_b32_e32 v11, 0x80000000, v16
	v_and_b32_e32 v14, 15, v14
	v_bfe_u32 v15, v16, 27, 4
	v_lshlrev_b32_sdwa v16, v21, v16 dst_sel:DWORD dst_unused:UNUSED_PAD src0_sel:DWORD src1_sel:BYTE_3
	v_sub_u32_e32 v20, 29, v20
	v_and_b32_e32 v16, 7, v16
	v_cmp_eq_u16_e32 vcc, 0, v14
	v_cndmask_b32_e32 v10, v10, v16, vcc
	v_cndmask_b32_e32 v14, v15, v20, vcc
	v_mov_b32_e32 v15, 0x3b800000
	v_lshlrev_b32_e32 v10, 20, v10
	v_lshl_add_u32 v14, v14, 23, v15
	v_or3_b32 v10, v11, v14, v10
.LBB5_1372:
	s_or_b64 exec, exec, s[6:7]
	s_movk_i32 s4, 0x7f
	v_cmp_gt_i16_sdwa s[6:7], v12, s4 src0_sel:BYTE_3 src1_sel:DWORD
	s_mov_b64 s[4:5], 0
                                        ; implicit-def: $sgpr10
	s_and_saveexec_b64 s[8:9], s[6:7]
	s_xor_b64 s[6:7], exec, s[8:9]
	s_cbranch_execnz .LBB5_3421
; %bb.1373:
	s_or_saveexec_b64 s[6:7], s[6:7]
	v_mov_b32_e32 v11, s10
	s_xor_b64 exec, exec, s[6:7]
	s_cbranch_execnz .LBB5_3424
.LBB5_1374:
	s_or_b64 exec, exec, s[6:7]
	s_and_saveexec_b64 s[6:7], s[4:5]
	s_cbranch_execz .LBB5_1376
.LBB5_1375:
	v_bfe_u32 v11, v12, 24, 3
	v_ffbh_u32_e32 v20, v11
	v_min_u32_e32 v20, 32, v20
	v_lshrrev_b32_e32 v15, 27, v12
	v_subrev_u32_e32 v21, 28, v20
	v_and_b32_e32 v14, 0x80000000, v12
	v_and_b32_e32 v15, 15, v15
	v_bfe_u32 v16, v12, 27, 4
	v_lshlrev_b32_sdwa v12, v21, v12 dst_sel:DWORD dst_unused:UNUSED_PAD src0_sel:DWORD src1_sel:BYTE_3
	v_sub_u32_e32 v20, 29, v20
	v_and_b32_e32 v12, 7, v12
	v_cmp_eq_u16_e32 vcc, 0, v15
	v_cndmask_b32_e32 v11, v11, v12, vcc
	v_cndmask_b32_e32 v12, v16, v20, vcc
	v_mov_b32_e32 v15, 0x3b800000
	v_lshlrev_b32_e32 v11, 20, v11
	v_lshl_add_u32 v12, v12, 23, v15
	v_or3_b32 v11, v14, v12, v11
.LBB5_1376:
	s_or_b64 exec, exec, s[6:7]
	s_nop 0
	v_mfma_f32_16x16x4f32 a[0:3], v10, v11, a[0:3]
	s_movk_i32 s4, 0x7f
	v_cmp_gt_i16_sdwa s[6:7], v17, s4 src0_sel:BYTE_0 src1_sel:DWORD
	s_mov_b64 s[4:5], 0
                                        ; implicit-def: $sgpr10
	s_and_saveexec_b64 s[8:9], s[6:7]
	s_xor_b64 s[6:7], exec, s[8:9]
	s_cbranch_execnz .LBB5_3425
; %bb.1377:
	s_or_saveexec_b64 s[6:7], s[6:7]
	v_mov_b32_e32 v10, s10
	s_xor_b64 exec, exec, s[6:7]
	s_cbranch_execnz .LBB5_3428
.LBB5_1378:
	s_or_b64 exec, exec, s[6:7]
	s_and_saveexec_b64 s[6:7], s[4:5]
	s_cbranch_execz .LBB5_1380
.LBB5_1379:
	v_and_b32_e32 v10, 7, v17
	v_ffbh_u32_e32 v12, v10
	v_min_u32_e32 v12, 32, v12
	v_lshrrev_b16_e32 v11, 3, v17
	v_subrev_u32_e32 v14, 28, v12
	v_and_b32_e32 v11, 15, v11
	v_lshlrev_b32_e32 v14, v14, v17
	v_sub_u32_e32 v12, 29, v12
	v_and_b32_e32 v14, 7, v14
	v_cmp_eq_u16_e32 vcc, 0, v11
	v_cndmask_b32_e32 v10, v10, v14, vcc
	v_cndmask_b32_e32 v11, v11, v12, vcc
	v_lshlrev_b32_e32 v12, 24, v17
	v_mov_b32_e32 v14, 0x3b800000
	v_lshlrev_b32_e32 v10, 20, v10
	v_and_b32_e32 v12, 0x80000000, v12
	v_lshl_add_u32 v11, v11, 23, v14
	v_or3_b32 v10, v12, v11, v10
.LBB5_1380:
	s_or_b64 exec, exec, s[6:7]
	s_movk_i32 s4, 0x7f
	v_cmp_gt_i16_sdwa s[6:7], v13, s4 src0_sel:BYTE_0 src1_sel:DWORD
	s_mov_b64 s[4:5], 0
                                        ; implicit-def: $sgpr10
	s_and_saveexec_b64 s[8:9], s[6:7]
	s_xor_b64 s[6:7], exec, s[8:9]
	s_cbranch_execnz .LBB5_3429
; %bb.1381:
	s_or_saveexec_b64 s[6:7], s[6:7]
	v_mov_b32_e32 v11, s10
	s_xor_b64 exec, exec, s[6:7]
	s_cbranch_execnz .LBB5_3432
.LBB5_1382:
	s_or_b64 exec, exec, s[6:7]
	s_and_saveexec_b64 s[6:7], s[4:5]
	s_cbranch_execz .LBB5_1384
.LBB5_1383:
	v_and_b32_e32 v11, 7, v13
	v_ffbh_u32_e32 v14, v11
	v_min_u32_e32 v14, 32, v14
	v_lshrrev_b16_e32 v12, 3, v13
	v_subrev_u32_e32 v15, 28, v14
	v_and_b32_e32 v12, 15, v12
	v_lshlrev_b32_e32 v15, v15, v13
	v_sub_u32_e32 v14, 29, v14
	v_and_b32_e32 v15, 7, v15
	v_cmp_eq_u16_e32 vcc, 0, v12
	v_cndmask_b32_e32 v11, v11, v15, vcc
	v_cndmask_b32_e32 v12, v12, v14, vcc
	v_lshlrev_b32_e32 v14, 24, v13
	v_mov_b32_e32 v15, 0x3b800000
	v_lshlrev_b32_e32 v11, 20, v11
	v_and_b32_e32 v14, 0x80000000, v14
	v_lshl_add_u32 v12, v12, 23, v15
	v_or3_b32 v11, v14, v12, v11
.LBB5_1384:
	s_or_b64 exec, exec, s[6:7]
	s_nop 0
	v_mfma_f32_16x16x4f32 a[0:3], v10, v11, a[0:3]
	v_lshrrev_b32_e32 v11, 8, v17
	s_movk_i32 s4, 0x7f
	v_cmp_gt_i16_sdwa s[6:7], v11, s4 src0_sel:BYTE_0 src1_sel:DWORD
	s_mov_b64 s[4:5], 0
                                        ; implicit-def: $sgpr10
	s_and_saveexec_b64 s[8:9], s[6:7]
	s_xor_b64 s[6:7], exec, s[8:9]
	s_cbranch_execnz .LBB5_3433
; %bb.1385:
	s_or_saveexec_b64 s[6:7], s[6:7]
	v_mov_b32_e32 v10, s10
	s_xor_b64 exec, exec, s[6:7]
	s_cbranch_execnz .LBB5_3436
.LBB5_1386:
	s_or_b64 exec, exec, s[6:7]
	s_and_saveexec_b64 s[6:7], s[4:5]
	s_cbranch_execz .LBB5_1388
.LBB5_1387:
	v_bfe_u32 v10, v17, 8, 3
	v_ffbh_u32_e32 v14, v10
	v_min_u32_e32 v14, 32, v14
	v_lshrrev_b16_e32 v12, 3, v11
	v_subrev_u32_e32 v15, 28, v14
	v_and_b32_e32 v12, 15, v12
	v_lshlrev_b32_e32 v11, v15, v11
	v_sub_u32_e32 v14, 29, v14
	v_and_b32_e32 v11, 7, v11
	v_cmp_eq_u16_e32 vcc, 0, v12
	v_cndmask_b32_e32 v10, v10, v11, vcc
	v_cndmask_b32_e32 v11, v12, v14, vcc
	v_lshlrev_b32_e32 v12, 16, v17
	v_mov_b32_e32 v14, 0x3b800000
	v_lshlrev_b32_e32 v10, 20, v10
	v_and_b32_e32 v12, 0x80000000, v12
	v_lshl_add_u32 v11, v11, 23, v14
	v_or3_b32 v10, v12, v11, v10
.LBB5_1388:
	s_or_b64 exec, exec, s[6:7]
	v_lshrrev_b32_e32 v11, 8, v13
	s_movk_i32 s4, 0x7f
	v_cmp_gt_i16_sdwa s[6:7], v11, s4 src0_sel:BYTE_0 src1_sel:DWORD
	s_mov_b64 s[4:5], 0
                                        ; implicit-def: $sgpr10
	s_and_saveexec_b64 s[8:9], s[6:7]
	s_xor_b64 s[6:7], exec, s[8:9]
	s_cbranch_execnz .LBB5_3437
; %bb.1389:
	s_or_saveexec_b64 s[6:7], s[6:7]
	v_mov_b32_e32 v12, s10
	s_xor_b64 exec, exec, s[6:7]
	s_cbranch_execnz .LBB5_3440
.LBB5_1390:
	s_or_b64 exec, exec, s[6:7]
	s_and_saveexec_b64 s[6:7], s[4:5]
	s_cbranch_execz .LBB5_1392
.LBB5_1391:
	v_bfe_u32 v12, v13, 8, 3
	v_ffbh_u32_e32 v15, v12
	v_min_u32_e32 v15, 32, v15
	v_lshrrev_b16_e32 v14, 3, v11
	v_subrev_u32_e32 v16, 28, v15
	v_and_b32_e32 v14, 15, v14
	v_lshlrev_b32_e32 v11, v16, v11
	v_sub_u32_e32 v15, 29, v15
	v_and_b32_e32 v11, 7, v11
	v_cmp_eq_u16_e32 vcc, 0, v14
	v_cndmask_b32_e32 v11, v12, v11, vcc
	v_cndmask_b32_e32 v12, v14, v15, vcc
	v_lshlrev_b32_e32 v14, 16, v13
	v_mov_b32_e32 v15, 0x3b800000
	v_lshlrev_b32_e32 v11, 20, v11
	v_and_b32_e32 v14, 0x80000000, v14
	v_lshl_add_u32 v12, v12, 23, v15
	v_or3_b32 v12, v14, v12, v11
.LBB5_1392:
	s_or_b64 exec, exec, s[6:7]
	s_nop 0
	v_mfma_f32_16x16x4f32 a[0:3], v10, v12, a[0:3]
	s_movk_i32 s4, 0xff
	v_and_b32_sdwa v11, v17, s4 dst_sel:DWORD dst_unused:UNUSED_PAD src0_sel:WORD_1 src1_sel:DWORD
	s_movk_i32 s4, 0x7f
	v_cmp_lt_i16_e32 vcc, s4, v11
	s_mov_b64 s[4:5], 0
                                        ; implicit-def: $sgpr10
	s_and_saveexec_b64 s[6:7], vcc
	s_xor_b64 s[6:7], exec, s[6:7]
	s_cbranch_execnz .LBB5_3441
; %bb.1393:
	s_or_saveexec_b64 s[6:7], s[6:7]
	v_mov_b32_e32 v10, s10
	s_xor_b64 exec, exec, s[6:7]
	s_cbranch_execnz .LBB5_3444
.LBB5_1394:
	s_or_b64 exec, exec, s[6:7]
	s_and_saveexec_b64 s[6:7], s[4:5]
	s_cbranch_execz .LBB5_1396
.LBB5_1395:
	v_bfe_u32 v10, v17, 16, 3
	v_ffbh_u32_e32 v14, v10
	v_min_u32_e32 v14, 32, v14
	v_lshrrev_b32_e32 v11, 19, v17
	v_subrev_u32_e32 v15, 28, v14
	v_and_b32_e32 v11, 15, v11
	v_lshlrev_b32_sdwa v15, v15, v17 dst_sel:DWORD dst_unused:UNUSED_PAD src0_sel:DWORD src1_sel:WORD_1
	v_bfe_u32 v12, v17, 19, 4
	v_sub_u32_e32 v14, 29, v14
	v_and_b32_e32 v15, 7, v15
	v_cmp_eq_u16_e32 vcc, 0, v11
	v_cndmask_b32_e32 v10, v10, v15, vcc
	v_cndmask_b32_e32 v11, v12, v14, vcc
	v_lshlrev_b32_e32 v12, 8, v17
	v_mov_b32_e32 v14, 0x3b800000
	v_lshlrev_b32_e32 v10, 20, v10
	v_and_b32_e32 v12, 0x80000000, v12
	v_lshl_add_u32 v11, v11, 23, v14
	v_or3_b32 v10, v12, v11, v10
.LBB5_1396:
	s_or_b64 exec, exec, s[6:7]
	s_movk_i32 s4, 0xff
	v_and_b32_sdwa v11, v13, s4 dst_sel:DWORD dst_unused:UNUSED_PAD src0_sel:WORD_1 src1_sel:DWORD
	s_movk_i32 s4, 0x7f
	v_cmp_lt_i16_e32 vcc, s4, v11
	s_mov_b64 s[4:5], 0
                                        ; implicit-def: $sgpr10
	s_and_saveexec_b64 s[6:7], vcc
	s_xor_b64 s[6:7], exec, s[6:7]
	s_cbranch_execnz .LBB5_3445
; %bb.1397:
	s_or_saveexec_b64 s[6:7], s[6:7]
	v_mov_b32_e32 v12, s10
	s_xor_b64 exec, exec, s[6:7]
	s_cbranch_execnz .LBB5_3448
.LBB5_1398:
	s_or_b64 exec, exec, s[6:7]
	s_and_saveexec_b64 s[6:7], s[4:5]
	s_cbranch_execz .LBB5_1400
.LBB5_1399:
	v_bfe_u32 v11, v13, 16, 3
	v_ffbh_u32_e32 v15, v11
	v_min_u32_e32 v15, 32, v15
	v_lshrrev_b32_e32 v12, 19, v13
	v_subrev_u32_e32 v16, 28, v15
	v_and_b32_e32 v12, 15, v12
	v_lshlrev_b32_sdwa v16, v16, v13 dst_sel:DWORD dst_unused:UNUSED_PAD src0_sel:DWORD src1_sel:WORD_1
	v_bfe_u32 v14, v13, 19, 4
	v_sub_u32_e32 v15, 29, v15
	v_and_b32_e32 v16, 7, v16
	v_cmp_eq_u16_e32 vcc, 0, v12
	v_cndmask_b32_e32 v11, v11, v16, vcc
	v_cndmask_b32_e32 v12, v14, v15, vcc
	v_lshlrev_b32_e32 v14, 8, v13
	v_mov_b32_e32 v15, 0x3b800000
	v_lshlrev_b32_e32 v11, 20, v11
	v_and_b32_e32 v14, 0x80000000, v14
	v_lshl_add_u32 v12, v12, 23, v15
	v_or3_b32 v12, v14, v12, v11
.LBB5_1400:
	s_or_b64 exec, exec, s[6:7]
	s_nop 0
	v_mfma_f32_16x16x4f32 a[0:3], v10, v12, a[0:3]
	s_movk_i32 s4, 0x7f
	v_cmp_gt_i16_sdwa s[6:7], v17, s4 src0_sel:BYTE_3 src1_sel:DWORD
	s_mov_b64 s[4:5], 0
                                        ; implicit-def: $sgpr10
	s_and_saveexec_b64 s[8:9], s[6:7]
	s_xor_b64 s[6:7], exec, s[8:9]
	s_cbranch_execnz .LBB5_3449
; %bb.1401:
	s_or_saveexec_b64 s[6:7], s[6:7]
	v_mov_b32_e32 v10, s10
	s_xor_b64 exec, exec, s[6:7]
	s_cbranch_execnz .LBB5_3452
.LBB5_1402:
	s_or_b64 exec, exec, s[6:7]
	s_and_saveexec_b64 s[6:7], s[4:5]
	s_cbranch_execz .LBB5_1404
.LBB5_1403:
	v_bfe_u32 v10, v17, 24, 3
	v_ffbh_u32_e32 v15, v10
	v_min_u32_e32 v15, 32, v15
	v_lshrrev_b32_e32 v12, 27, v17
	v_subrev_u32_e32 v16, 28, v15
	v_and_b32_e32 v12, 15, v12
	v_lshlrev_b32_sdwa v16, v16, v17 dst_sel:DWORD dst_unused:UNUSED_PAD src0_sel:DWORD src1_sel:BYTE_3
	v_bfe_u32 v14, v17, 27, 4
	v_sub_u32_e32 v15, 29, v15
	v_and_b32_e32 v16, 7, v16
	v_cmp_eq_u16_e32 vcc, 0, v12
	v_cndmask_b32_e32 v10, v10, v16, vcc
	v_cndmask_b32_e32 v12, v14, v15, vcc
	v_mov_b32_e32 v14, 0x3b800000
	v_and_b32_e32 v11, 0x80000000, v17
	v_lshlrev_b32_e32 v10, 20, v10
	v_lshl_add_u32 v12, v12, 23, v14
	v_or3_b32 v10, v11, v12, v10
.LBB5_1404:
	s_or_b64 exec, exec, s[6:7]
	s_movk_i32 s4, 0x7f
	v_cmp_gt_i16_sdwa s[6:7], v13, s4 src0_sel:BYTE_3 src1_sel:DWORD
	s_mov_b64 s[4:5], 0
                                        ; implicit-def: $sgpr10
	s_and_saveexec_b64 s[8:9], s[6:7]
	s_xor_b64 s[6:7], exec, s[8:9]
	s_cbranch_execnz .LBB5_3453
; %bb.1405:
	s_or_saveexec_b64 s[6:7], s[6:7]
	v_mov_b32_e32 v11, s10
	s_xor_b64 exec, exec, s[6:7]
	s_cbranch_execnz .LBB5_3456
.LBB5_1406:
	s_or_b64 exec, exec, s[6:7]
	s_and_saveexec_b64 s[6:7], s[4:5]
	s_cbranch_execz .LBB5_1408
.LBB5_1407:
	v_bfe_u32 v11, v13, 24, 3
	v_ffbh_u32_e32 v16, v11
	v_min_u32_e32 v16, 32, v16
	v_lshrrev_b32_e32 v14, 27, v13
	v_subrev_u32_e32 v17, 28, v16
	v_and_b32_e32 v12, 0x80000000, v13
	v_and_b32_e32 v14, 15, v14
	v_bfe_u32 v15, v13, 27, 4
	v_lshlrev_b32_sdwa v13, v17, v13 dst_sel:DWORD dst_unused:UNUSED_PAD src0_sel:DWORD src1_sel:BYTE_3
	v_sub_u32_e32 v16, 29, v16
	v_and_b32_e32 v13, 7, v13
	v_cmp_eq_u16_e32 vcc, 0, v14
	v_cndmask_b32_e32 v11, v11, v13, vcc
	v_cndmask_b32_e32 v13, v15, v16, vcc
	v_mov_b32_e32 v14, 0x3b800000
	v_lshlrev_b32_e32 v11, 20, v11
	v_lshl_add_u32 v13, v13, 23, v14
	v_or3_b32 v11, v12, v13, v11
.LBB5_1408:
	s_or_b64 exec, exec, s[6:7]
	s_nop 0
	v_mfma_f32_16x16x4f32 a[0:3], v10, v11, a[0:3]
	s_movk_i32 s4, 0x7f
	v_cmp_gt_i16_sdwa s[6:7], v6, s4 src0_sel:BYTE_0 src1_sel:DWORD
	s_mov_b64 s[4:5], 0
                                        ; implicit-def: $sgpr10
	s_and_saveexec_b64 s[8:9], s[6:7]
	s_xor_b64 s[6:7], exec, s[8:9]
	s_cbranch_execnz .LBB5_3457
; %bb.1409:
	s_or_saveexec_b64 s[6:7], s[6:7]
	v_mov_b32_e32 v10, s10
	s_xor_b64 exec, exec, s[6:7]
	s_cbranch_execnz .LBB5_3460
.LBB5_1410:
	s_or_b64 exec, exec, s[6:7]
	s_and_saveexec_b64 s[6:7], s[4:5]
	s_cbranch_execz .LBB5_1412
.LBB5_1411:
	v_and_b32_e32 v10, 7, v6
	v_ffbh_u32_e32 v12, v10
	v_min_u32_e32 v12, 32, v12
	v_lshrrev_b16_e32 v11, 3, v6
	v_subrev_u32_e32 v13, 28, v12
	v_and_b32_e32 v11, 15, v11
	v_lshlrev_b32_e32 v13, v13, v6
	v_sub_u32_e32 v12, 29, v12
	v_and_b32_e32 v13, 7, v13
	v_cmp_eq_u16_e32 vcc, 0, v11
	v_cndmask_b32_e32 v10, v10, v13, vcc
	v_cndmask_b32_e32 v11, v11, v12, vcc
	v_lshlrev_b32_e32 v12, 24, v6
	v_mov_b32_e32 v13, 0x3b800000
	v_lshlrev_b32_e32 v10, 20, v10
	v_and_b32_e32 v12, 0x80000000, v12
	v_lshl_add_u32 v11, v11, 23, v13
	v_or3_b32 v10, v12, v11, v10
.LBB5_1412:
	s_or_b64 exec, exec, s[6:7]
	s_movk_i32 s4, 0x7f
	v_cmp_gt_i16_sdwa s[6:7], v2, s4 src0_sel:BYTE_0 src1_sel:DWORD
	s_mov_b64 s[4:5], 0
                                        ; implicit-def: $sgpr10
	s_and_saveexec_b64 s[8:9], s[6:7]
	s_xor_b64 s[6:7], exec, s[8:9]
	s_cbranch_execnz .LBB5_3461
; %bb.1413:
	s_or_saveexec_b64 s[6:7], s[6:7]
	v_mov_b32_e32 v11, s10
	s_xor_b64 exec, exec, s[6:7]
	s_cbranch_execnz .LBB5_3464
.LBB5_1414:
	s_or_b64 exec, exec, s[6:7]
	s_and_saveexec_b64 s[6:7], s[4:5]
	s_cbranch_execz .LBB5_1416
.LBB5_1415:
	v_and_b32_e32 v11, 7, v2
	v_ffbh_u32_e32 v13, v11
	v_min_u32_e32 v13, 32, v13
	v_lshrrev_b16_e32 v12, 3, v2
	v_subrev_u32_e32 v14, 28, v13
	v_and_b32_e32 v12, 15, v12
	v_lshlrev_b32_e32 v14, v14, v2
	v_sub_u32_e32 v13, 29, v13
	v_and_b32_e32 v14, 7, v14
	v_cmp_eq_u16_e32 vcc, 0, v12
	v_cndmask_b32_e32 v11, v11, v14, vcc
	v_cndmask_b32_e32 v12, v12, v13, vcc
	v_lshlrev_b32_e32 v13, 24, v2
	v_mov_b32_e32 v14, 0x3b800000
	v_lshlrev_b32_e32 v11, 20, v11
	v_and_b32_e32 v13, 0x80000000, v13
	v_lshl_add_u32 v12, v12, 23, v14
	v_or3_b32 v11, v13, v12, v11
.LBB5_1416:
	s_or_b64 exec, exec, s[6:7]
	s_nop 0
	v_mfma_f32_16x16x4f32 a[0:3], v10, v11, a[0:3]
	v_lshrrev_b32_e32 v11, 8, v6
	s_movk_i32 s4, 0x7f
	v_cmp_gt_i16_sdwa s[6:7], v11, s4 src0_sel:BYTE_0 src1_sel:DWORD
	s_mov_b64 s[4:5], 0
                                        ; implicit-def: $sgpr10
	s_and_saveexec_b64 s[8:9], s[6:7]
	s_xor_b64 s[6:7], exec, s[8:9]
	s_cbranch_execnz .LBB5_3465
; %bb.1417:
	s_or_saveexec_b64 s[6:7], s[6:7]
	v_mov_b32_e32 v10, s10
	s_xor_b64 exec, exec, s[6:7]
	s_cbranch_execnz .LBB5_3468
.LBB5_1418:
	s_or_b64 exec, exec, s[6:7]
	s_and_saveexec_b64 s[6:7], s[4:5]
	s_cbranch_execz .LBB5_1420
.LBB5_1419:
	v_bfe_u32 v10, v6, 8, 3
	v_ffbh_u32_e32 v13, v10
	v_min_u32_e32 v13, 32, v13
	v_lshrrev_b16_e32 v12, 3, v11
	v_subrev_u32_e32 v14, 28, v13
	v_and_b32_e32 v12, 15, v12
	v_lshlrev_b32_e32 v11, v14, v11
	v_sub_u32_e32 v13, 29, v13
	v_and_b32_e32 v11, 7, v11
	v_cmp_eq_u16_e32 vcc, 0, v12
	v_cndmask_b32_e32 v10, v10, v11, vcc
	v_cndmask_b32_e32 v11, v12, v13, vcc
	v_lshlrev_b32_e32 v12, 16, v6
	v_mov_b32_e32 v13, 0x3b800000
	v_lshlrev_b32_e32 v10, 20, v10
	v_and_b32_e32 v12, 0x80000000, v12
	v_lshl_add_u32 v11, v11, 23, v13
	v_or3_b32 v10, v12, v11, v10
.LBB5_1420:
	s_or_b64 exec, exec, s[6:7]
	v_lshrrev_b32_e32 v11, 8, v2
	s_movk_i32 s4, 0x7f
	v_cmp_gt_i16_sdwa s[6:7], v11, s4 src0_sel:BYTE_0 src1_sel:DWORD
	s_mov_b64 s[4:5], 0
                                        ; implicit-def: $sgpr10
	s_and_saveexec_b64 s[8:9], s[6:7]
	s_xor_b64 s[6:7], exec, s[8:9]
	s_cbranch_execnz .LBB5_3469
; %bb.1421:
	s_or_saveexec_b64 s[6:7], s[6:7]
	v_mov_b32_e32 v12, s10
	s_xor_b64 exec, exec, s[6:7]
	s_cbranch_execnz .LBB5_3472
.LBB5_1422:
	s_or_b64 exec, exec, s[6:7]
	s_and_saveexec_b64 s[6:7], s[4:5]
	s_cbranch_execz .LBB5_1424
.LBB5_1423:
	v_bfe_u32 v12, v2, 8, 3
	v_ffbh_u32_e32 v14, v12
	v_min_u32_e32 v14, 32, v14
	v_lshrrev_b16_e32 v13, 3, v11
	v_subrev_u32_e32 v15, 28, v14
	v_and_b32_e32 v13, 15, v13
	v_lshlrev_b32_e32 v11, v15, v11
	v_sub_u32_e32 v14, 29, v14
	v_and_b32_e32 v11, 7, v11
	v_cmp_eq_u16_e32 vcc, 0, v13
	v_cndmask_b32_e32 v11, v12, v11, vcc
	v_cndmask_b32_e32 v12, v13, v14, vcc
	v_lshlrev_b32_e32 v13, 16, v2
	v_mov_b32_e32 v14, 0x3b800000
	v_lshlrev_b32_e32 v11, 20, v11
	v_and_b32_e32 v13, 0x80000000, v13
	v_lshl_add_u32 v12, v12, 23, v14
	v_or3_b32 v12, v13, v12, v11
.LBB5_1424:
	s_or_b64 exec, exec, s[6:7]
	s_nop 0
	v_mfma_f32_16x16x4f32 a[0:3], v10, v12, a[0:3]
	s_movk_i32 s4, 0xff
	v_and_b32_sdwa v11, v6, s4 dst_sel:DWORD dst_unused:UNUSED_PAD src0_sel:WORD_1 src1_sel:DWORD
	s_movk_i32 s4, 0x7f
	v_cmp_lt_i16_e32 vcc, s4, v11
	s_mov_b64 s[4:5], 0
                                        ; implicit-def: $sgpr10
	s_and_saveexec_b64 s[6:7], vcc
	s_xor_b64 s[6:7], exec, s[6:7]
	s_cbranch_execnz .LBB5_3473
; %bb.1425:
	s_or_saveexec_b64 s[6:7], s[6:7]
	v_mov_b32_e32 v10, s10
	s_xor_b64 exec, exec, s[6:7]
	s_cbranch_execnz .LBB5_3476
.LBB5_1426:
	s_or_b64 exec, exec, s[6:7]
	s_and_saveexec_b64 s[6:7], s[4:5]
	s_cbranch_execz .LBB5_1428
.LBB5_1427:
	v_bfe_u32 v10, v6, 16, 3
	v_ffbh_u32_e32 v13, v10
	v_min_u32_e32 v13, 32, v13
	v_lshrrev_b32_e32 v11, 19, v6
	v_subrev_u32_e32 v14, 28, v13
	v_and_b32_e32 v11, 15, v11
	v_lshlrev_b32_sdwa v14, v14, v6 dst_sel:DWORD dst_unused:UNUSED_PAD src0_sel:DWORD src1_sel:WORD_1
	v_bfe_u32 v12, v6, 19, 4
	v_sub_u32_e32 v13, 29, v13
	v_and_b32_e32 v14, 7, v14
	v_cmp_eq_u16_e32 vcc, 0, v11
	v_cndmask_b32_e32 v10, v10, v14, vcc
	v_cndmask_b32_e32 v11, v12, v13, vcc
	v_lshlrev_b32_e32 v12, 8, v6
	v_mov_b32_e32 v13, 0x3b800000
	v_lshlrev_b32_e32 v10, 20, v10
	v_and_b32_e32 v12, 0x80000000, v12
	v_lshl_add_u32 v11, v11, 23, v13
	v_or3_b32 v10, v12, v11, v10
.LBB5_1428:
	s_or_b64 exec, exec, s[6:7]
	s_movk_i32 s4, 0xff
	v_and_b32_sdwa v11, v2, s4 dst_sel:DWORD dst_unused:UNUSED_PAD src0_sel:WORD_1 src1_sel:DWORD
	s_movk_i32 s4, 0x7f
	v_cmp_lt_i16_e32 vcc, s4, v11
	s_mov_b64 s[4:5], 0
                                        ; implicit-def: $sgpr10
	s_and_saveexec_b64 s[6:7], vcc
	s_xor_b64 s[6:7], exec, s[6:7]
	s_cbranch_execnz .LBB5_3477
; %bb.1429:
	s_or_saveexec_b64 s[6:7], s[6:7]
	v_mov_b32_e32 v12, s10
	s_xor_b64 exec, exec, s[6:7]
	s_cbranch_execnz .LBB5_3480
.LBB5_1430:
	s_or_b64 exec, exec, s[6:7]
	s_and_saveexec_b64 s[6:7], s[4:5]
	s_cbranch_execz .LBB5_1432
.LBB5_1431:
	v_bfe_u32 v11, v2, 16, 3
	v_ffbh_u32_e32 v14, v11
	v_min_u32_e32 v14, 32, v14
	v_lshrrev_b32_e32 v12, 19, v2
	v_subrev_u32_e32 v15, 28, v14
	v_and_b32_e32 v12, 15, v12
	v_lshlrev_b32_sdwa v15, v15, v2 dst_sel:DWORD dst_unused:UNUSED_PAD src0_sel:DWORD src1_sel:WORD_1
	v_bfe_u32 v13, v2, 19, 4
	v_sub_u32_e32 v14, 29, v14
	v_and_b32_e32 v15, 7, v15
	v_cmp_eq_u16_e32 vcc, 0, v12
	v_cndmask_b32_e32 v11, v11, v15, vcc
	v_cndmask_b32_e32 v12, v13, v14, vcc
	v_lshlrev_b32_e32 v13, 8, v2
	v_mov_b32_e32 v14, 0x3b800000
	v_lshlrev_b32_e32 v11, 20, v11
	v_and_b32_e32 v13, 0x80000000, v13
	v_lshl_add_u32 v12, v12, 23, v14
	v_or3_b32 v12, v13, v12, v11
.LBB5_1432:
	s_or_b64 exec, exec, s[6:7]
	s_nop 0
	v_mfma_f32_16x16x4f32 a[0:3], v10, v12, a[0:3]
	s_movk_i32 s4, 0x7f
	v_cmp_gt_i16_sdwa s[6:7], v6, s4 src0_sel:BYTE_3 src1_sel:DWORD
	s_mov_b64 s[4:5], 0
                                        ; implicit-def: $sgpr10
	s_and_saveexec_b64 s[8:9], s[6:7]
	s_xor_b64 s[6:7], exec, s[8:9]
	s_cbranch_execnz .LBB5_3481
; %bb.1433:
	s_or_saveexec_b64 s[6:7], s[6:7]
	v_mov_b32_e32 v10, s10
	s_xor_b64 exec, exec, s[6:7]
	s_cbranch_execnz .LBB5_3484
.LBB5_1434:
	s_or_b64 exec, exec, s[6:7]
	s_and_saveexec_b64 s[6:7], s[4:5]
	s_cbranch_execz .LBB5_1436
.LBB5_1435:
	v_bfe_u32 v10, v6, 24, 3
	v_ffbh_u32_e32 v14, v10
	v_min_u32_e32 v14, 32, v14
	v_lshrrev_b32_e32 v12, 27, v6
	v_subrev_u32_e32 v15, 28, v14
	v_and_b32_e32 v11, 0x80000000, v6
	v_and_b32_e32 v12, 15, v12
	v_bfe_u32 v13, v6, 27, 4
	v_lshlrev_b32_sdwa v6, v15, v6 dst_sel:DWORD dst_unused:UNUSED_PAD src0_sel:DWORD src1_sel:BYTE_3
	v_sub_u32_e32 v14, 29, v14
	v_and_b32_e32 v6, 7, v6
	v_cmp_eq_u16_e32 vcc, 0, v12
	v_cndmask_b32_e32 v6, v10, v6, vcc
	v_cndmask_b32_e32 v10, v13, v14, vcc
	v_mov_b32_e32 v12, 0x3b800000
	v_lshlrev_b32_e32 v6, 20, v6
	v_lshl_add_u32 v10, v10, 23, v12
	v_or3_b32 v10, v11, v10, v6
.LBB5_1436:
	s_or_b64 exec, exec, s[6:7]
	s_movk_i32 s4, 0x7f
	v_cmp_gt_i16_sdwa s[6:7], v2, s4 src0_sel:BYTE_3 src1_sel:DWORD
	s_mov_b64 s[4:5], 0
                                        ; implicit-def: $sgpr10
	s_and_saveexec_b64 s[8:9], s[6:7]
	s_xor_b64 s[6:7], exec, s[8:9]
	s_cbranch_execnz .LBB5_3485
; %bb.1437:
	s_or_saveexec_b64 s[6:7], s[6:7]
	v_mov_b32_e32 v6, s10
	s_xor_b64 exec, exec, s[6:7]
	s_cbranch_execnz .LBB5_3488
.LBB5_1438:
	s_or_b64 exec, exec, s[6:7]
	s_and_saveexec_b64 s[6:7], s[4:5]
	s_cbranch_execz .LBB5_1440
.LBB5_1439:
	v_bfe_u32 v6, v2, 24, 3
	v_ffbh_u32_e32 v14, v6
	v_min_u32_e32 v14, 32, v14
	v_lshrrev_b32_e32 v12, 27, v2
	v_subrev_u32_e32 v15, 28, v14
	v_and_b32_e32 v11, 0x80000000, v2
	v_and_b32_e32 v12, 15, v12
	v_bfe_u32 v13, v2, 27, 4
	v_lshlrev_b32_sdwa v2, v15, v2 dst_sel:DWORD dst_unused:UNUSED_PAD src0_sel:DWORD src1_sel:BYTE_3
	v_sub_u32_e32 v14, 29, v14
	v_and_b32_e32 v2, 7, v2
	v_cmp_eq_u16_e32 vcc, 0, v12
	v_cndmask_b32_e32 v2, v6, v2, vcc
	v_cndmask_b32_e32 v6, v13, v14, vcc
	v_mov_b32_e32 v12, 0x3b800000
	v_lshlrev_b32_e32 v2, 20, v2
	v_lshl_add_u32 v6, v6, 23, v12
	v_or3_b32 v6, v11, v6, v2
.LBB5_1440:
	s_or_b64 exec, exec, s[6:7]
	s_nop 0
	v_mfma_f32_16x16x4f32 a[0:3], v10, v6, a[0:3]
	s_movk_i32 s4, 0x7f
	v_cmp_gt_i16_sdwa s[6:7], v7, s4 src0_sel:BYTE_0 src1_sel:DWORD
	s_mov_b64 s[4:5], 0
                                        ; implicit-def: $sgpr10
	s_and_saveexec_b64 s[8:9], s[6:7]
	s_xor_b64 s[6:7], exec, s[8:9]
	s_cbranch_execnz .LBB5_3489
; %bb.1441:
	s_or_saveexec_b64 s[6:7], s[6:7]
	v_mov_b32_e32 v2, s10
	s_xor_b64 exec, exec, s[6:7]
	s_cbranch_execnz .LBB5_3492
.LBB5_1442:
	s_or_b64 exec, exec, s[6:7]
	s_and_saveexec_b64 s[6:7], s[4:5]
	s_cbranch_execz .LBB5_1444
.LBB5_1443:
	v_and_b32_e32 v2, 7, v7
	v_ffbh_u32_e32 v10, v2
	v_min_u32_e32 v10, 32, v10
	v_lshrrev_b16_e32 v6, 3, v7
	v_subrev_u32_e32 v11, 28, v10
	v_and_b32_e32 v6, 15, v6
	v_lshlrev_b32_e32 v11, v11, v7
	v_sub_u32_e32 v10, 29, v10
	v_and_b32_e32 v11, 7, v11
	v_cmp_eq_u16_e32 vcc, 0, v6
	v_cndmask_b32_e32 v2, v2, v11, vcc
	v_cndmask_b32_e32 v6, v6, v10, vcc
	v_lshlrev_b32_e32 v10, 24, v7
	v_mov_b32_e32 v11, 0x3b800000
	v_lshlrev_b32_e32 v2, 20, v2
	v_and_b32_e32 v10, 0x80000000, v10
	v_lshl_add_u32 v6, v6, 23, v11
	v_or3_b32 v2, v10, v6, v2
.LBB5_1444:
	s_or_b64 exec, exec, s[6:7]
	s_movk_i32 s4, 0x7f
	v_cmp_gt_i16_sdwa s[6:7], v3, s4 src0_sel:BYTE_0 src1_sel:DWORD
	s_mov_b64 s[4:5], 0
                                        ; implicit-def: $sgpr10
	s_and_saveexec_b64 s[8:9], s[6:7]
	s_xor_b64 s[6:7], exec, s[8:9]
	s_cbranch_execnz .LBB5_3493
; %bb.1445:
	s_or_saveexec_b64 s[6:7], s[6:7]
	v_mov_b32_e32 v6, s10
	s_xor_b64 exec, exec, s[6:7]
	s_cbranch_execnz .LBB5_3496
.LBB5_1446:
	s_or_b64 exec, exec, s[6:7]
	s_and_saveexec_b64 s[6:7], s[4:5]
	s_cbranch_execz .LBB5_1448
.LBB5_1447:
	v_and_b32_e32 v6, 7, v3
	v_ffbh_u32_e32 v11, v6
	v_min_u32_e32 v11, 32, v11
	v_lshrrev_b16_e32 v10, 3, v3
	v_subrev_u32_e32 v12, 28, v11
	v_and_b32_e32 v10, 15, v10
	v_lshlrev_b32_e32 v12, v12, v3
	v_sub_u32_e32 v11, 29, v11
	v_and_b32_e32 v12, 7, v12
	v_cmp_eq_u16_e32 vcc, 0, v10
	v_cndmask_b32_e32 v6, v6, v12, vcc
	v_cndmask_b32_e32 v10, v10, v11, vcc
	v_lshlrev_b32_e32 v11, 24, v3
	v_mov_b32_e32 v12, 0x3b800000
	v_lshlrev_b32_e32 v6, 20, v6
	v_and_b32_e32 v11, 0x80000000, v11
	v_lshl_add_u32 v10, v10, 23, v12
	v_or3_b32 v6, v11, v10, v6
.LBB5_1448:
	s_or_b64 exec, exec, s[6:7]
	s_nop 0
	v_mfma_f32_16x16x4f32 a[0:3], v2, v6, a[0:3]
	v_lshrrev_b32_e32 v6, 8, v7
	s_movk_i32 s4, 0x7f
	v_cmp_gt_i16_sdwa s[6:7], v6, s4 src0_sel:BYTE_0 src1_sel:DWORD
	s_mov_b64 s[4:5], 0
                                        ; implicit-def: $sgpr10
	s_and_saveexec_b64 s[8:9], s[6:7]
	s_xor_b64 s[6:7], exec, s[8:9]
	s_cbranch_execnz .LBB5_3497
; %bb.1449:
	s_or_saveexec_b64 s[6:7], s[6:7]
	v_mov_b32_e32 v2, s10
	s_xor_b64 exec, exec, s[6:7]
	s_cbranch_execnz .LBB5_3500
.LBB5_1450:
	s_or_b64 exec, exec, s[6:7]
	s_and_saveexec_b64 s[6:7], s[4:5]
	s_cbranch_execz .LBB5_1452
.LBB5_1451:
	v_bfe_u32 v2, v7, 8, 3
	v_ffbh_u32_e32 v11, v2
	v_min_u32_e32 v11, 32, v11
	v_lshrrev_b16_e32 v10, 3, v6
	v_subrev_u32_e32 v12, 28, v11
	v_and_b32_e32 v10, 15, v10
	v_lshlrev_b32_e32 v6, v12, v6
	v_sub_u32_e32 v11, 29, v11
	v_and_b32_e32 v6, 7, v6
	v_cmp_eq_u16_e32 vcc, 0, v10
	v_cndmask_b32_e32 v2, v2, v6, vcc
	v_cndmask_b32_e32 v6, v10, v11, vcc
	v_lshlrev_b32_e32 v10, 16, v7
	v_mov_b32_e32 v11, 0x3b800000
	v_lshlrev_b32_e32 v2, 20, v2
	v_and_b32_e32 v10, 0x80000000, v10
	v_lshl_add_u32 v6, v6, 23, v11
	v_or3_b32 v2, v10, v6, v2
.LBB5_1452:
	s_or_b64 exec, exec, s[6:7]
	v_lshrrev_b32_e32 v6, 8, v3
	s_movk_i32 s4, 0x7f
	v_cmp_gt_i16_sdwa s[6:7], v6, s4 src0_sel:BYTE_0 src1_sel:DWORD
	s_mov_b64 s[4:5], 0
                                        ; implicit-def: $sgpr10
	s_and_saveexec_b64 s[8:9], s[6:7]
	s_xor_b64 s[6:7], exec, s[8:9]
	s_cbranch_execnz .LBB5_3501
; %bb.1453:
	s_or_saveexec_b64 s[6:7], s[6:7]
	v_mov_b32_e32 v10, s10
	s_xor_b64 exec, exec, s[6:7]
	s_cbranch_execnz .LBB5_3504
.LBB5_1454:
	s_or_b64 exec, exec, s[6:7]
	s_and_saveexec_b64 s[6:7], s[4:5]
	s_cbranch_execz .LBB5_1456
.LBB5_1455:
	v_bfe_u32 v10, v3, 8, 3
	v_ffbh_u32_e32 v12, v10
	v_min_u32_e32 v12, 32, v12
	v_lshrrev_b16_e32 v11, 3, v6
	v_subrev_u32_e32 v13, 28, v12
	v_and_b32_e32 v11, 15, v11
	v_lshlrev_b32_e32 v6, v13, v6
	v_sub_u32_e32 v12, 29, v12
	v_and_b32_e32 v6, 7, v6
	v_cmp_eq_u16_e32 vcc, 0, v11
	v_cndmask_b32_e32 v6, v10, v6, vcc
	v_cndmask_b32_e32 v10, v11, v12, vcc
	v_lshlrev_b32_e32 v11, 16, v3
	v_mov_b32_e32 v12, 0x3b800000
	v_lshlrev_b32_e32 v6, 20, v6
	v_and_b32_e32 v11, 0x80000000, v11
	v_lshl_add_u32 v10, v10, 23, v12
	v_or3_b32 v10, v11, v10, v6
.LBB5_1456:
	s_or_b64 exec, exec, s[6:7]
	s_nop 0
	v_mfma_f32_16x16x4f32 a[0:3], v2, v10, a[0:3]
	s_movk_i32 s4, 0xff
	v_and_b32_sdwa v6, v7, s4 dst_sel:DWORD dst_unused:UNUSED_PAD src0_sel:WORD_1 src1_sel:DWORD
	s_movk_i32 s4, 0x7f
	v_cmp_lt_i16_e32 vcc, s4, v6
	s_mov_b64 s[4:5], 0
                                        ; implicit-def: $sgpr10
	s_and_saveexec_b64 s[6:7], vcc
	s_xor_b64 s[6:7], exec, s[6:7]
	s_cbranch_execnz .LBB5_3505
; %bb.1457:
	s_or_saveexec_b64 s[6:7], s[6:7]
	v_mov_b32_e32 v2, s10
	s_xor_b64 exec, exec, s[6:7]
	s_cbranch_execnz .LBB5_3508
.LBB5_1458:
	s_or_b64 exec, exec, s[6:7]
	s_and_saveexec_b64 s[6:7], s[4:5]
	s_cbranch_execz .LBB5_1460
.LBB5_1459:
	v_bfe_u32 v2, v7, 16, 3
	v_ffbh_u32_e32 v11, v2
	v_min_u32_e32 v11, 32, v11
	v_lshrrev_b32_e32 v6, 19, v7
	v_subrev_u32_e32 v12, 28, v11
	v_and_b32_e32 v6, 15, v6
	v_lshlrev_b32_sdwa v12, v12, v7 dst_sel:DWORD dst_unused:UNUSED_PAD src0_sel:DWORD src1_sel:WORD_1
	v_bfe_u32 v10, v7, 19, 4
	v_sub_u32_e32 v11, 29, v11
	v_and_b32_e32 v12, 7, v12
	v_cmp_eq_u16_e32 vcc, 0, v6
	v_cndmask_b32_e32 v2, v2, v12, vcc
	v_cndmask_b32_e32 v6, v10, v11, vcc
	v_lshlrev_b32_e32 v10, 8, v7
	v_mov_b32_e32 v11, 0x3b800000
	v_lshlrev_b32_e32 v2, 20, v2
	v_and_b32_e32 v10, 0x80000000, v10
	v_lshl_add_u32 v6, v6, 23, v11
	v_or3_b32 v2, v10, v6, v2
.LBB5_1460:
	s_or_b64 exec, exec, s[6:7]
	s_movk_i32 s4, 0xff
	v_and_b32_sdwa v6, v3, s4 dst_sel:DWORD dst_unused:UNUSED_PAD src0_sel:WORD_1 src1_sel:DWORD
	s_movk_i32 s4, 0x7f
	v_cmp_lt_i16_e32 vcc, s4, v6
	s_mov_b64 s[4:5], 0
                                        ; implicit-def: $sgpr10
	s_and_saveexec_b64 s[6:7], vcc
	s_xor_b64 s[6:7], exec, s[6:7]
	s_cbranch_execnz .LBB5_3509
; %bb.1461:
	s_or_saveexec_b64 s[6:7], s[6:7]
	v_mov_b32_e32 v10, s10
	s_xor_b64 exec, exec, s[6:7]
	s_cbranch_execnz .LBB5_3512
.LBB5_1462:
	s_or_b64 exec, exec, s[6:7]
	s_and_saveexec_b64 s[6:7], s[4:5]
	s_cbranch_execz .LBB5_1464
.LBB5_1463:
	v_bfe_u32 v6, v3, 16, 3
	v_ffbh_u32_e32 v12, v6
	v_min_u32_e32 v12, 32, v12
	v_lshrrev_b32_e32 v10, 19, v3
	v_subrev_u32_e32 v13, 28, v12
	v_and_b32_e32 v10, 15, v10
	v_lshlrev_b32_sdwa v13, v13, v3 dst_sel:DWORD dst_unused:UNUSED_PAD src0_sel:DWORD src1_sel:WORD_1
	v_bfe_u32 v11, v3, 19, 4
	v_sub_u32_e32 v12, 29, v12
	v_and_b32_e32 v13, 7, v13
	v_cmp_eq_u16_e32 vcc, 0, v10
	v_cndmask_b32_e32 v6, v6, v13, vcc
	v_cndmask_b32_e32 v10, v11, v12, vcc
	v_lshlrev_b32_e32 v11, 8, v3
	v_mov_b32_e32 v12, 0x3b800000
	v_lshlrev_b32_e32 v6, 20, v6
	v_and_b32_e32 v11, 0x80000000, v11
	v_lshl_add_u32 v10, v10, 23, v12
	v_or3_b32 v10, v11, v10, v6
.LBB5_1464:
	s_or_b64 exec, exec, s[6:7]
	s_nop 0
	v_mfma_f32_16x16x4f32 a[0:3], v2, v10, a[0:3]
	s_movk_i32 s4, 0x7f
	v_cmp_gt_i16_sdwa s[6:7], v7, s4 src0_sel:BYTE_3 src1_sel:DWORD
	s_mov_b64 s[4:5], 0
                                        ; implicit-def: $sgpr10
	s_and_saveexec_b64 s[8:9], s[6:7]
	s_xor_b64 s[6:7], exec, s[8:9]
	s_cbranch_execnz .LBB5_3513
; %bb.1465:
	s_or_saveexec_b64 s[6:7], s[6:7]
	v_mov_b32_e32 v2, s10
	s_xor_b64 exec, exec, s[6:7]
	s_cbranch_execnz .LBB5_3516
.LBB5_1466:
	s_or_b64 exec, exec, s[6:7]
	s_and_saveexec_b64 s[6:7], s[4:5]
	s_cbranch_execz .LBB5_1468
.LBB5_1467:
	v_bfe_u32 v2, v7, 24, 3
	v_ffbh_u32_e32 v12, v2
	v_min_u32_e32 v12, 32, v12
	v_lshrrev_b32_e32 v10, 27, v7
	v_subrev_u32_e32 v13, 28, v12
	v_and_b32_e32 v6, 0x80000000, v7
	v_and_b32_e32 v10, 15, v10
	v_bfe_u32 v11, v7, 27, 4
	v_lshlrev_b32_sdwa v7, v13, v7 dst_sel:DWORD dst_unused:UNUSED_PAD src0_sel:DWORD src1_sel:BYTE_3
	v_sub_u32_e32 v12, 29, v12
	v_and_b32_e32 v7, 7, v7
	v_cmp_eq_u16_e32 vcc, 0, v10
	v_cndmask_b32_e32 v2, v2, v7, vcc
	v_cndmask_b32_e32 v7, v11, v12, vcc
	v_mov_b32_e32 v10, 0x3b800000
	v_lshlrev_b32_e32 v2, 20, v2
	v_lshl_add_u32 v7, v7, 23, v10
	v_or3_b32 v2, v6, v7, v2
.LBB5_1468:
	s_or_b64 exec, exec, s[6:7]
	s_movk_i32 s4, 0x7f
	v_cmp_gt_i16_sdwa s[6:7], v3, s4 src0_sel:BYTE_3 src1_sel:DWORD
	s_mov_b64 s[4:5], 0
                                        ; implicit-def: $sgpr10
	s_and_saveexec_b64 s[8:9], s[6:7]
	s_xor_b64 s[6:7], exec, s[8:9]
	s_cbranch_execnz .LBB5_3517
; %bb.1469:
	s_or_saveexec_b64 s[6:7], s[6:7]
	v_mov_b32_e32 v6, s10
	s_xor_b64 exec, exec, s[6:7]
	s_cbranch_execnz .LBB5_3520
.LBB5_1470:
	s_or_b64 exec, exec, s[6:7]
	s_and_saveexec_b64 s[6:7], s[4:5]
	s_cbranch_execz .LBB5_1472
.LBB5_1471:
	v_bfe_u32 v6, v3, 24, 3
	v_ffbh_u32_e32 v12, v6
	v_min_u32_e32 v12, 32, v12
	v_lshrrev_b32_e32 v10, 27, v3
	v_subrev_u32_e32 v13, 28, v12
	v_and_b32_e32 v7, 0x80000000, v3
	v_and_b32_e32 v10, 15, v10
	v_bfe_u32 v11, v3, 27, 4
	v_lshlrev_b32_sdwa v3, v13, v3 dst_sel:DWORD dst_unused:UNUSED_PAD src0_sel:DWORD src1_sel:BYTE_3
	v_sub_u32_e32 v12, 29, v12
	v_and_b32_e32 v3, 7, v3
	v_cmp_eq_u16_e32 vcc, 0, v10
	v_cndmask_b32_e32 v3, v6, v3, vcc
	v_cndmask_b32_e32 v6, v11, v12, vcc
	v_mov_b32_e32 v10, 0x3b800000
	v_lshlrev_b32_e32 v3, 20, v3
	v_lshl_add_u32 v6, v6, 23, v10
	v_or3_b32 v6, v7, v6, v3
.LBB5_1472:
	s_or_b64 exec, exec, s[6:7]
	s_nop 0
	v_mfma_f32_16x16x4f32 a[0:3], v2, v6, a[0:3]
	s_movk_i32 s4, 0x7f
	v_cmp_gt_i16_sdwa s[6:7], v8, s4 src0_sel:BYTE_0 src1_sel:DWORD
	s_mov_b64 s[4:5], 0
                                        ; implicit-def: $sgpr10
	s_and_saveexec_b64 s[8:9], s[6:7]
	s_xor_b64 s[6:7], exec, s[8:9]
	s_cbranch_execnz .LBB5_3521
; %bb.1473:
	s_or_saveexec_b64 s[6:7], s[6:7]
	v_mov_b32_e32 v2, s10
	s_xor_b64 exec, exec, s[6:7]
	s_cbranch_execnz .LBB5_3524
.LBB5_1474:
	s_or_b64 exec, exec, s[6:7]
	s_and_saveexec_b64 s[6:7], s[4:5]
	s_cbranch_execz .LBB5_1476
.LBB5_1475:
	v_and_b32_e32 v2, 7, v8
	v_ffbh_u32_e32 v6, v2
	v_min_u32_e32 v6, 32, v6
	v_lshrrev_b16_e32 v3, 3, v8
	v_subrev_u32_e32 v7, 28, v6
	v_and_b32_e32 v3, 15, v3
	v_lshlrev_b32_e32 v7, v7, v8
	v_sub_u32_e32 v6, 29, v6
	v_and_b32_e32 v7, 7, v7
	v_cmp_eq_u16_e32 vcc, 0, v3
	v_cndmask_b32_e32 v2, v2, v7, vcc
	v_cndmask_b32_e32 v3, v3, v6, vcc
	v_lshlrev_b32_e32 v6, 24, v8
	v_mov_b32_e32 v7, 0x3b800000
	v_lshlrev_b32_e32 v2, 20, v2
	v_and_b32_e32 v6, 0x80000000, v6
	v_lshl_add_u32 v3, v3, 23, v7
	v_or3_b32 v2, v6, v3, v2
.LBB5_1476:
	s_or_b64 exec, exec, s[6:7]
	s_movk_i32 s4, 0x7f
	v_cmp_gt_i16_sdwa s[6:7], v4, s4 src0_sel:BYTE_0 src1_sel:DWORD
	s_mov_b64 s[4:5], 0
                                        ; implicit-def: $sgpr10
	s_and_saveexec_b64 s[8:9], s[6:7]
	s_xor_b64 s[6:7], exec, s[8:9]
	s_cbranch_execnz .LBB5_3525
; %bb.1477:
	s_or_saveexec_b64 s[6:7], s[6:7]
	v_mov_b32_e32 v3, s10
	s_xor_b64 exec, exec, s[6:7]
	s_cbranch_execnz .LBB5_3528
.LBB5_1478:
	s_or_b64 exec, exec, s[6:7]
	s_and_saveexec_b64 s[6:7], s[4:5]
	s_cbranch_execz .LBB5_1480
.LBB5_1479:
	v_and_b32_e32 v3, 7, v4
	v_ffbh_u32_e32 v7, v3
	v_min_u32_e32 v7, 32, v7
	v_lshrrev_b16_e32 v6, 3, v4
	v_subrev_u32_e32 v10, 28, v7
	v_and_b32_e32 v6, 15, v6
	v_lshlrev_b32_e32 v10, v10, v4
	v_sub_u32_e32 v7, 29, v7
	v_and_b32_e32 v10, 7, v10
	v_cmp_eq_u16_e32 vcc, 0, v6
	v_cndmask_b32_e32 v3, v3, v10, vcc
	v_cndmask_b32_e32 v6, v6, v7, vcc
	v_lshlrev_b32_e32 v7, 24, v4
	v_mov_b32_e32 v10, 0x3b800000
	v_lshlrev_b32_e32 v3, 20, v3
	v_and_b32_e32 v7, 0x80000000, v7
	v_lshl_add_u32 v6, v6, 23, v10
	v_or3_b32 v3, v7, v6, v3
.LBB5_1480:
	s_or_b64 exec, exec, s[6:7]
	s_nop 0
	v_mfma_f32_16x16x4f32 a[0:3], v2, v3, a[0:3]
	v_lshrrev_b32_e32 v3, 8, v8
	s_movk_i32 s4, 0x7f
	v_cmp_gt_i16_sdwa s[6:7], v3, s4 src0_sel:BYTE_0 src1_sel:DWORD
	s_mov_b64 s[4:5], 0
                                        ; implicit-def: $sgpr10
	s_and_saveexec_b64 s[8:9], s[6:7]
	s_xor_b64 s[6:7], exec, s[8:9]
	s_cbranch_execnz .LBB5_3529
; %bb.1481:
	s_or_saveexec_b64 s[6:7], s[6:7]
	v_mov_b32_e32 v2, s10
	s_xor_b64 exec, exec, s[6:7]
	s_cbranch_execnz .LBB5_3532
.LBB5_1482:
	s_or_b64 exec, exec, s[6:7]
	s_and_saveexec_b64 s[6:7], s[4:5]
	s_cbranch_execz .LBB5_1484
.LBB5_1483:
	v_bfe_u32 v2, v8, 8, 3
	v_ffbh_u32_e32 v7, v2
	v_min_u32_e32 v7, 32, v7
	v_lshrrev_b16_e32 v6, 3, v3
	v_subrev_u32_e32 v10, 28, v7
	v_and_b32_e32 v6, 15, v6
	v_lshlrev_b32_e32 v3, v10, v3
	v_sub_u32_e32 v7, 29, v7
	v_and_b32_e32 v3, 7, v3
	v_cmp_eq_u16_e32 vcc, 0, v6
	v_cndmask_b32_e32 v2, v2, v3, vcc
	v_cndmask_b32_e32 v3, v6, v7, vcc
	v_lshlrev_b32_e32 v6, 16, v8
	v_mov_b32_e32 v7, 0x3b800000
	v_lshlrev_b32_e32 v2, 20, v2
	v_and_b32_e32 v6, 0x80000000, v6
	v_lshl_add_u32 v3, v3, 23, v7
	v_or3_b32 v2, v6, v3, v2
.LBB5_1484:
	s_or_b64 exec, exec, s[6:7]
	v_lshrrev_b32_e32 v3, 8, v4
	s_movk_i32 s4, 0x7f
	v_cmp_gt_i16_sdwa s[6:7], v3, s4 src0_sel:BYTE_0 src1_sel:DWORD
	s_mov_b64 s[4:5], 0
                                        ; implicit-def: $sgpr10
	s_and_saveexec_b64 s[8:9], s[6:7]
	s_xor_b64 s[6:7], exec, s[8:9]
	s_cbranch_execnz .LBB5_3533
; %bb.1485:
	s_or_saveexec_b64 s[6:7], s[6:7]
	v_mov_b32_e32 v6, s10
	s_xor_b64 exec, exec, s[6:7]
	s_cbranch_execnz .LBB5_3536
.LBB5_1486:
	s_or_b64 exec, exec, s[6:7]
	s_and_saveexec_b64 s[6:7], s[4:5]
	s_cbranch_execz .LBB5_1488
.LBB5_1487:
	v_bfe_u32 v6, v4, 8, 3
	v_ffbh_u32_e32 v10, v6
	v_min_u32_e32 v10, 32, v10
	v_lshrrev_b16_e32 v7, 3, v3
	v_subrev_u32_e32 v11, 28, v10
	v_and_b32_e32 v7, 15, v7
	v_lshlrev_b32_e32 v3, v11, v3
	v_sub_u32_e32 v10, 29, v10
	v_and_b32_e32 v3, 7, v3
	v_cmp_eq_u16_e32 vcc, 0, v7
	v_cndmask_b32_e32 v3, v6, v3, vcc
	v_cndmask_b32_e32 v6, v7, v10, vcc
	v_lshlrev_b32_e32 v7, 16, v4
	v_mov_b32_e32 v10, 0x3b800000
	v_lshlrev_b32_e32 v3, 20, v3
	v_and_b32_e32 v7, 0x80000000, v7
	v_lshl_add_u32 v6, v6, 23, v10
	v_or3_b32 v6, v7, v6, v3
.LBB5_1488:
	s_or_b64 exec, exec, s[6:7]
	s_nop 0
	v_mfma_f32_16x16x4f32 a[0:3], v2, v6, a[0:3]
	s_movk_i32 s4, 0xff
	v_and_b32_sdwa v3, v8, s4 dst_sel:DWORD dst_unused:UNUSED_PAD src0_sel:WORD_1 src1_sel:DWORD
	s_movk_i32 s4, 0x7f
	v_cmp_lt_i16_e32 vcc, s4, v3
	s_mov_b64 s[4:5], 0
                                        ; implicit-def: $sgpr10
	s_and_saveexec_b64 s[6:7], vcc
	s_xor_b64 s[6:7], exec, s[6:7]
	s_cbranch_execnz .LBB5_3537
; %bb.1489:
	s_or_saveexec_b64 s[6:7], s[6:7]
	v_mov_b32_e32 v2, s10
	s_xor_b64 exec, exec, s[6:7]
	s_cbranch_execnz .LBB5_3540
.LBB5_1490:
	s_or_b64 exec, exec, s[6:7]
	s_and_saveexec_b64 s[6:7], s[4:5]
	s_cbranch_execz .LBB5_1492
.LBB5_1491:
	v_bfe_u32 v2, v8, 16, 3
	v_ffbh_u32_e32 v7, v2
	v_min_u32_e32 v7, 32, v7
	v_lshrrev_b32_e32 v3, 19, v8
	v_subrev_u32_e32 v10, 28, v7
	v_and_b32_e32 v3, 15, v3
	v_lshlrev_b32_sdwa v10, v10, v8 dst_sel:DWORD dst_unused:UNUSED_PAD src0_sel:DWORD src1_sel:WORD_1
	v_bfe_u32 v6, v8, 19, 4
	v_sub_u32_e32 v7, 29, v7
	v_and_b32_e32 v10, 7, v10
	v_cmp_eq_u16_e32 vcc, 0, v3
	v_cndmask_b32_e32 v2, v2, v10, vcc
	v_cndmask_b32_e32 v3, v6, v7, vcc
	v_lshlrev_b32_e32 v6, 8, v8
	v_mov_b32_e32 v7, 0x3b800000
	v_lshlrev_b32_e32 v2, 20, v2
	v_and_b32_e32 v6, 0x80000000, v6
	v_lshl_add_u32 v3, v3, 23, v7
	v_or3_b32 v2, v6, v3, v2
.LBB5_1492:
	s_or_b64 exec, exec, s[6:7]
	s_movk_i32 s4, 0xff
	v_and_b32_sdwa v3, v4, s4 dst_sel:DWORD dst_unused:UNUSED_PAD src0_sel:WORD_1 src1_sel:DWORD
	s_movk_i32 s4, 0x7f
	v_cmp_lt_i16_e32 vcc, s4, v3
	s_mov_b64 s[4:5], 0
                                        ; implicit-def: $sgpr10
	s_and_saveexec_b64 s[6:7], vcc
	s_xor_b64 s[6:7], exec, s[6:7]
	s_cbranch_execnz .LBB5_3541
; %bb.1493:
	s_or_saveexec_b64 s[6:7], s[6:7]
	v_mov_b32_e32 v6, s10
	s_xor_b64 exec, exec, s[6:7]
	s_cbranch_execnz .LBB5_3544
.LBB5_1494:
	s_or_b64 exec, exec, s[6:7]
	s_and_saveexec_b64 s[6:7], s[4:5]
	s_cbranch_execz .LBB5_1496
.LBB5_1495:
	v_bfe_u32 v3, v4, 16, 3
	v_ffbh_u32_e32 v10, v3
	v_min_u32_e32 v10, 32, v10
	v_lshrrev_b32_e32 v6, 19, v4
	v_subrev_u32_e32 v11, 28, v10
	v_and_b32_e32 v6, 15, v6
	v_lshlrev_b32_sdwa v11, v11, v4 dst_sel:DWORD dst_unused:UNUSED_PAD src0_sel:DWORD src1_sel:WORD_1
	v_bfe_u32 v7, v4, 19, 4
	v_sub_u32_e32 v10, 29, v10
	v_and_b32_e32 v11, 7, v11
	v_cmp_eq_u16_e32 vcc, 0, v6
	v_cndmask_b32_e32 v3, v3, v11, vcc
	v_cndmask_b32_e32 v6, v7, v10, vcc
	v_lshlrev_b32_e32 v7, 8, v4
	v_mov_b32_e32 v10, 0x3b800000
	v_lshlrev_b32_e32 v3, 20, v3
	v_and_b32_e32 v7, 0x80000000, v7
	v_lshl_add_u32 v6, v6, 23, v10
	v_or3_b32 v6, v7, v6, v3
.LBB5_1496:
	s_or_b64 exec, exec, s[6:7]
	s_nop 0
	v_mfma_f32_16x16x4f32 a[0:3], v2, v6, a[0:3]
	s_movk_i32 s4, 0x7f
	v_cmp_gt_i16_sdwa s[6:7], v8, s4 src0_sel:BYTE_3 src1_sel:DWORD
	s_mov_b64 s[4:5], 0
                                        ; implicit-def: $sgpr10
	s_and_saveexec_b64 s[8:9], s[6:7]
	s_xor_b64 s[6:7], exec, s[8:9]
	s_cbranch_execnz .LBB5_3545
; %bb.1497:
	s_or_saveexec_b64 s[6:7], s[6:7]
	v_mov_b32_e32 v2, s10
	s_xor_b64 exec, exec, s[6:7]
	s_cbranch_execnz .LBB5_3548
.LBB5_1498:
	s_or_b64 exec, exec, s[6:7]
	s_and_saveexec_b64 s[6:7], s[4:5]
	s_cbranch_execz .LBB5_1500
.LBB5_1499:
	v_bfe_u32 v2, v8, 24, 3
	v_ffbh_u32_e32 v10, v2
	v_min_u32_e32 v10, 32, v10
	v_lshrrev_b32_e32 v6, 27, v8
	v_subrev_u32_e32 v11, 28, v10
	v_and_b32_e32 v3, 0x80000000, v8
	v_and_b32_e32 v6, 15, v6
	v_bfe_u32 v7, v8, 27, 4
	v_lshlrev_b32_sdwa v8, v11, v8 dst_sel:DWORD dst_unused:UNUSED_PAD src0_sel:DWORD src1_sel:BYTE_3
	v_sub_u32_e32 v10, 29, v10
	v_and_b32_e32 v8, 7, v8
	v_cmp_eq_u16_e32 vcc, 0, v6
	v_cndmask_b32_e32 v2, v2, v8, vcc
	v_cndmask_b32_e32 v6, v7, v10, vcc
	v_mov_b32_e32 v7, 0x3b800000
	v_lshlrev_b32_e32 v2, 20, v2
	v_lshl_add_u32 v6, v6, 23, v7
	v_or3_b32 v2, v3, v6, v2
.LBB5_1500:
	s_or_b64 exec, exec, s[6:7]
	s_movk_i32 s4, 0x7f
	v_cmp_gt_i16_sdwa s[6:7], v4, s4 src0_sel:BYTE_3 src1_sel:DWORD
	s_mov_b64 s[4:5], 0
                                        ; implicit-def: $sgpr10
	s_and_saveexec_b64 s[8:9], s[6:7]
	s_xor_b64 s[6:7], exec, s[8:9]
	s_cbranch_execnz .LBB5_3549
; %bb.1501:
	s_or_saveexec_b64 s[6:7], s[6:7]
	v_mov_b32_e32 v3, s10
	s_xor_b64 exec, exec, s[6:7]
	s_cbranch_execnz .LBB5_3552
.LBB5_1502:
	s_or_b64 exec, exec, s[6:7]
	s_and_saveexec_b64 s[6:7], s[4:5]
	s_cbranch_execz .LBB5_1504
.LBB5_1503:
	v_bfe_u32 v3, v4, 24, 3
	v_ffbh_u32_e32 v10, v3
	v_min_u32_e32 v10, 32, v10
	v_lshrrev_b32_e32 v7, 27, v4
	v_subrev_u32_e32 v11, 28, v10
	v_and_b32_e32 v6, 0x80000000, v4
	v_and_b32_e32 v7, 15, v7
	v_bfe_u32 v8, v4, 27, 4
	v_lshlrev_b32_sdwa v4, v11, v4 dst_sel:DWORD dst_unused:UNUSED_PAD src0_sel:DWORD src1_sel:BYTE_3
	v_sub_u32_e32 v10, 29, v10
	v_and_b32_e32 v4, 7, v4
	v_cmp_eq_u16_e32 vcc, 0, v7
	v_cndmask_b32_e32 v3, v3, v4, vcc
	v_cndmask_b32_e32 v4, v8, v10, vcc
	v_mov_b32_e32 v7, 0x3b800000
	v_lshlrev_b32_e32 v3, 20, v3
	v_lshl_add_u32 v4, v4, 23, v7
	v_or3_b32 v3, v6, v4, v3
.LBB5_1504:
	s_or_b64 exec, exec, s[6:7]
	s_nop 0
	v_mfma_f32_16x16x4f32 a[0:3], v2, v3, a[0:3]
	s_movk_i32 s4, 0x7f
	v_cmp_gt_i16_sdwa s[6:7], v9, s4 src0_sel:BYTE_0 src1_sel:DWORD
	s_mov_b64 s[4:5], 0
                                        ; implicit-def: $sgpr10
	s_and_saveexec_b64 s[8:9], s[6:7]
	s_xor_b64 s[6:7], exec, s[8:9]
	s_cbranch_execnz .LBB5_3553
; %bb.1505:
	s_or_saveexec_b64 s[6:7], s[6:7]
	v_mov_b32_e32 v2, s10
	s_xor_b64 exec, exec, s[6:7]
	s_cbranch_execnz .LBB5_3556
.LBB5_1506:
	s_or_b64 exec, exec, s[6:7]
	s_and_saveexec_b64 s[6:7], s[4:5]
	s_cbranch_execz .LBB5_1508
.LBB5_1507:
	v_mov_b32_e32 v2, 8
	v_and_b32_e32 v3, 7, v9
	v_lshrrev_b32_sdwa v2, v2, v9 dst_sel:BYTE_1 dst_unused:UNUSED_PAD src0_sel:DWORD src1_sel:DWORD
	v_ffbh_u32_e32 v4, v3
	v_or_b32_sdwa v2, v9, v2 dst_sel:DWORD dst_unused:UNUSED_PAD src0_sel:BYTE_0 src1_sel:DWORD
	v_min_u32_e32 v4, 32, v4
	v_lshrrev_b16_e32 v2, 3, v2
	v_subrev_u32_e32 v6, 28, v4
	v_and_b32_e32 v2, 15, v2
	v_lshlrev_b32_e32 v6, v6, v9
	v_sub_u32_e32 v4, 29, v4
	v_and_b32_e32 v6, 7, v6
	v_cmp_eq_u16_e32 vcc, 0, v2
	v_cndmask_b32_e32 v3, v3, v6, vcc
	v_cndmask_b32_e32 v2, v2, v4, vcc
	v_lshlrev_b32_e32 v4, 24, v9
	v_mov_b32_e32 v6, 0x3b800000
	v_lshlrev_b32_e32 v3, 20, v3
	v_and_b32_e32 v4, 0x80000000, v4
	v_lshl_add_u32 v2, v2, 23, v6
	v_or3_b32 v2, v4, v2, v3
.LBB5_1508:
	s_or_b64 exec, exec, s[6:7]
	s_movk_i32 s4, 0x7f
	v_cmp_gt_i16_sdwa s[6:7], v5, s4 src0_sel:BYTE_0 src1_sel:DWORD
	s_mov_b64 s[4:5], 0
                                        ; implicit-def: $sgpr10
	s_and_saveexec_b64 s[8:9], s[6:7]
	s_xor_b64 s[6:7], exec, s[8:9]
	s_cbranch_execnz .LBB5_3557
; %bb.1509:
	s_or_saveexec_b64 s[6:7], s[6:7]
	v_mov_b32_e32 v3, s10
	s_xor_b64 exec, exec, s[6:7]
	s_cbranch_execnz .LBB5_3560
.LBB5_1510:
	s_or_b64 exec, exec, s[6:7]
	s_and_saveexec_b64 s[6:7], s[4:5]
	s_cbranch_execz .LBB5_1512
.LBB5_1511:
	v_mov_b32_e32 v3, 8
	v_and_b32_e32 v4, 7, v5
	v_lshrrev_b32_sdwa v3, v3, v5 dst_sel:BYTE_1 dst_unused:UNUSED_PAD src0_sel:DWORD src1_sel:DWORD
	v_ffbh_u32_e32 v6, v4
	v_or_b32_sdwa v3, v5, v3 dst_sel:DWORD dst_unused:UNUSED_PAD src0_sel:BYTE_0 src1_sel:DWORD
	v_min_u32_e32 v6, 32, v6
	v_lshrrev_b16_e32 v3, 3, v3
	v_subrev_u32_e32 v7, 28, v6
	v_and_b32_e32 v3, 15, v3
	v_lshlrev_b32_e32 v7, v7, v5
	v_sub_u32_e32 v6, 29, v6
	v_and_b32_e32 v7, 7, v7
	v_cmp_eq_u16_e32 vcc, 0, v3
	v_cndmask_b32_e32 v4, v4, v7, vcc
	v_cndmask_b32_e32 v3, v3, v6, vcc
	v_lshlrev_b32_e32 v6, 24, v5
	v_mov_b32_e32 v7, 0x3b800000
	v_lshlrev_b32_e32 v4, 20, v4
	v_and_b32_e32 v6, 0x80000000, v6
	v_lshl_add_u32 v3, v3, 23, v7
	v_or3_b32 v3, v6, v3, v4
.LBB5_1512:
	s_or_b64 exec, exec, s[6:7]
	s_nop 0
	v_mfma_f32_16x16x4f32 a[0:3], v2, v3, a[0:3]
	v_lshrrev_b32_e32 v3, 8, v9
	s_movk_i32 s4, 0x7f
	v_cmp_gt_i16_sdwa s[6:7], v3, s4 src0_sel:BYTE_0 src1_sel:DWORD
	s_mov_b64 s[4:5], 0
                                        ; implicit-def: $sgpr10
	s_and_saveexec_b64 s[8:9], s[6:7]
	s_xor_b64 s[6:7], exec, s[8:9]
	s_cbranch_execnz .LBB5_3561
; %bb.1513:
	s_or_saveexec_b64 s[6:7], s[6:7]
	v_mov_b32_e32 v2, s10
	s_xor_b64 exec, exec, s[6:7]
	s_cbranch_execnz .LBB5_3564
.LBB5_1514:
	s_or_b64 exec, exec, s[6:7]
	s_and_saveexec_b64 s[6:7], s[4:5]
	s_cbranch_execz .LBB5_1516
.LBB5_1515:
	v_bfe_u32 v2, v9, 8, 3
	v_ffbh_u32_e32 v6, v2
	v_min_u32_e32 v6, 32, v6
	v_lshrrev_b16_e32 v4, 3, v3
	v_subrev_u32_e32 v7, 28, v6
	v_and_b32_e32 v4, 15, v4
	v_lshlrev_b32_e32 v3, v7, v3
	v_sub_u32_e32 v6, 29, v6
	v_and_b32_e32 v3, 7, v3
	v_cmp_eq_u16_e32 vcc, 0, v4
	v_cndmask_b32_e32 v2, v2, v3, vcc
	v_cndmask_b32_e32 v3, v4, v6, vcc
	v_lshlrev_b32_e32 v4, 16, v9
	v_mov_b32_e32 v6, 0x3b800000
	v_lshlrev_b32_e32 v2, 20, v2
	v_and_b32_e32 v4, 0x80000000, v4
	v_lshl_add_u32 v3, v3, 23, v6
	v_or3_b32 v2, v4, v3, v2
.LBB5_1516:
	s_or_b64 exec, exec, s[6:7]
	v_lshrrev_b32_e32 v3, 8, v5
	s_movk_i32 s4, 0x7f
	v_cmp_gt_i16_sdwa s[6:7], v3, s4 src0_sel:BYTE_0 src1_sel:DWORD
	s_mov_b64 s[4:5], 0
                                        ; implicit-def: $sgpr10
	s_and_saveexec_b64 s[8:9], s[6:7]
	s_xor_b64 s[6:7], exec, s[8:9]
	s_cbranch_execnz .LBB5_3565
; %bb.1517:
	s_or_saveexec_b64 s[6:7], s[6:7]
	v_mov_b32_e32 v4, s10
	s_xor_b64 exec, exec, s[6:7]
	s_cbranch_execnz .LBB5_3568
.LBB5_1518:
	s_or_b64 exec, exec, s[6:7]
	s_and_saveexec_b64 s[6:7], s[4:5]
	s_cbranch_execz .LBB5_1520
.LBB5_1519:
	v_bfe_u32 v4, v5, 8, 3
	v_ffbh_u32_e32 v7, v4
	v_min_u32_e32 v7, 32, v7
	v_lshrrev_b16_e32 v6, 3, v3
	v_subrev_u32_e32 v8, 28, v7
	v_and_b32_e32 v6, 15, v6
	v_lshlrev_b32_e32 v3, v8, v3
	v_sub_u32_e32 v7, 29, v7
	v_and_b32_e32 v3, 7, v3
	v_cmp_eq_u16_e32 vcc, 0, v6
	v_cndmask_b32_e32 v3, v4, v3, vcc
	v_cndmask_b32_e32 v4, v6, v7, vcc
	v_lshlrev_b32_e32 v6, 16, v5
	v_mov_b32_e32 v7, 0x3b800000
	v_lshlrev_b32_e32 v3, 20, v3
	v_and_b32_e32 v6, 0x80000000, v6
	v_lshl_add_u32 v4, v4, 23, v7
	v_or3_b32 v4, v6, v4, v3
.LBB5_1520:
	s_or_b64 exec, exec, s[6:7]
	s_nop 0
	v_mfma_f32_16x16x4f32 a[0:3], v2, v4, a[0:3]
	s_movk_i32 s4, 0xff
	v_and_b32_sdwa v3, v9, s4 dst_sel:DWORD dst_unused:UNUSED_PAD src0_sel:WORD_1 src1_sel:DWORD
	s_movk_i32 s4, 0x7f
	v_cmp_lt_i16_e32 vcc, s4, v3
	s_mov_b64 s[4:5], 0
                                        ; implicit-def: $sgpr10
	s_and_saveexec_b64 s[6:7], vcc
	s_xor_b64 s[6:7], exec, s[6:7]
	s_cbranch_execnz .LBB5_3569
; %bb.1521:
	s_or_saveexec_b64 s[6:7], s[6:7]
	v_mov_b32_e32 v2, s10
	s_xor_b64 exec, exec, s[6:7]
	s_cbranch_execnz .LBB5_3572
.LBB5_1522:
	s_or_b64 exec, exec, s[6:7]
	s_and_saveexec_b64 s[6:7], s[4:5]
	s_cbranch_execz .LBB5_1524
.LBB5_1523:
	v_bfe_u32 v2, v9, 16, 3
	v_ffbh_u32_e32 v6, v2
	v_min_u32_e32 v6, 32, v6
	v_lshrrev_b32_e32 v3, 19, v9
	v_subrev_u32_e32 v7, 28, v6
	v_and_b32_e32 v3, 15, v3
	v_lshlrev_b32_sdwa v7, v7, v9 dst_sel:DWORD dst_unused:UNUSED_PAD src0_sel:DWORD src1_sel:WORD_1
	v_bfe_u32 v4, v9, 19, 4
	v_sub_u32_e32 v6, 29, v6
	v_and_b32_e32 v7, 7, v7
	v_cmp_eq_u16_e32 vcc, 0, v3
	v_cndmask_b32_e32 v2, v2, v7, vcc
	v_cndmask_b32_e32 v3, v4, v6, vcc
	v_lshlrev_b32_e32 v4, 8, v9
	v_mov_b32_e32 v6, 0x3b800000
	v_lshlrev_b32_e32 v2, 20, v2
	v_and_b32_e32 v4, 0x80000000, v4
	v_lshl_add_u32 v3, v3, 23, v6
	v_or3_b32 v2, v4, v3, v2
.LBB5_1524:
	s_or_b64 exec, exec, s[6:7]
	s_movk_i32 s4, 0xff
	v_and_b32_sdwa v3, v5, s4 dst_sel:DWORD dst_unused:UNUSED_PAD src0_sel:WORD_1 src1_sel:DWORD
	s_movk_i32 s4, 0x7f
	v_cmp_lt_i16_e32 vcc, s4, v3
	s_mov_b64 s[4:5], 0
                                        ; implicit-def: $sgpr10
	s_and_saveexec_b64 s[6:7], vcc
	s_xor_b64 s[6:7], exec, s[6:7]
	s_cbranch_execnz .LBB5_3573
; %bb.1525:
	s_or_saveexec_b64 s[6:7], s[6:7]
	v_mov_b32_e32 v4, s10
	s_xor_b64 exec, exec, s[6:7]
	s_cbranch_execnz .LBB5_3576
.LBB5_1526:
	s_or_b64 exec, exec, s[6:7]
	s_and_saveexec_b64 s[6:7], s[4:5]
	s_cbranch_execz .LBB5_1528
.LBB5_1527:
	v_bfe_u32 v3, v5, 16, 3
	v_ffbh_u32_e32 v7, v3
	v_min_u32_e32 v7, 32, v7
	v_lshrrev_b32_e32 v4, 19, v5
	v_subrev_u32_e32 v8, 28, v7
	v_and_b32_e32 v4, 15, v4
	v_lshlrev_b32_sdwa v8, v8, v5 dst_sel:DWORD dst_unused:UNUSED_PAD src0_sel:DWORD src1_sel:WORD_1
	v_bfe_u32 v6, v5, 19, 4
	v_sub_u32_e32 v7, 29, v7
	v_and_b32_e32 v8, 7, v8
	v_cmp_eq_u16_e32 vcc, 0, v4
	v_cndmask_b32_e32 v3, v3, v8, vcc
	v_cndmask_b32_e32 v4, v6, v7, vcc
	v_lshlrev_b32_e32 v6, 8, v5
	v_mov_b32_e32 v7, 0x3b800000
	v_lshlrev_b32_e32 v3, 20, v3
	v_and_b32_e32 v6, 0x80000000, v6
	v_lshl_add_u32 v4, v4, 23, v7
	v_or3_b32 v4, v6, v4, v3
.LBB5_1528:
	s_or_b64 exec, exec, s[6:7]
	s_nop 0
	v_mfma_f32_16x16x4f32 a[0:3], v2, v4, a[0:3]
	s_movk_i32 s4, 0x7f
	v_cmp_gt_i16_sdwa s[6:7], v9, s4 src0_sel:BYTE_3 src1_sel:DWORD
	s_mov_b64 s[4:5], 0
                                        ; implicit-def: $sgpr10
	s_and_saveexec_b64 s[8:9], s[6:7]
	s_xor_b64 s[6:7], exec, s[8:9]
	s_cbranch_execnz .LBB5_3577
; %bb.1529:
	s_or_saveexec_b64 s[6:7], s[6:7]
	v_mov_b32_e32 v2, s10
	s_xor_b64 exec, exec, s[6:7]
	s_cbranch_execnz .LBB5_3580
.LBB5_1530:
	s_or_b64 exec, exec, s[6:7]
	s_and_saveexec_b64 s[6:7], s[4:5]
	s_cbranch_execz .LBB5_1532
.LBB5_1531:
	v_bfe_u32 v2, v9, 24, 3
	v_ffbh_u32_e32 v7, v2
	v_min_u32_e32 v7, 32, v7
	v_lshrrev_b32_e32 v4, 27, v9
	v_subrev_u32_e32 v8, 28, v7
	v_and_b32_e32 v4, 15, v4
	v_lshlrev_b32_sdwa v8, v8, v9 dst_sel:DWORD dst_unused:UNUSED_PAD src0_sel:DWORD src1_sel:BYTE_3
	v_bfe_u32 v6, v9, 27, 4
	v_sub_u32_e32 v7, 29, v7
	v_and_b32_e32 v8, 7, v8
	v_cmp_eq_u16_e32 vcc, 0, v4
	v_cndmask_b32_e32 v2, v2, v8, vcc
	v_cndmask_b32_e32 v4, v6, v7, vcc
	v_mov_b32_e32 v6, 0x3b800000
	v_and_b32_e32 v3, 0x80000000, v9
	v_lshlrev_b32_e32 v2, 20, v2
	v_lshl_add_u32 v4, v4, 23, v6
	v_or3_b32 v2, v3, v4, v2
.LBB5_1532:
	s_or_b64 exec, exec, s[6:7]
	s_movk_i32 s4, 0x7f
	v_cmp_gt_i16_sdwa s[6:7], v5, s4 src0_sel:BYTE_3 src1_sel:DWORD
	s_mov_b64 s[4:5], 0
                                        ; implicit-def: $sgpr10
	s_and_saveexec_b64 s[8:9], s[6:7]
	s_xor_b64 s[6:7], exec, s[8:9]
	s_cbranch_execnz .LBB5_3581
; %bb.1533:
	s_or_saveexec_b64 s[6:7], s[6:7]
	v_mov_b32_e32 v3, s10
	s_xor_b64 exec, exec, s[6:7]
	s_cbranch_execnz .LBB5_3584
.LBB5_1534:
	s_or_b64 exec, exec, s[6:7]
	s_and_saveexec_b64 s[6:7], s[4:5]
	s_cbranch_execz .LBB5_1536
.LBB5_1535:
	v_bfe_u32 v3, v5, 24, 3
	v_ffbh_u32_e32 v8, v3
	v_min_u32_e32 v8, 32, v8
	v_lshrrev_b32_e32 v6, 27, v5
	v_subrev_u32_e32 v9, 28, v8
	v_and_b32_e32 v4, 0x80000000, v5
	v_and_b32_e32 v6, 15, v6
	v_bfe_u32 v7, v5, 27, 4
	v_lshlrev_b32_sdwa v5, v9, v5 dst_sel:DWORD dst_unused:UNUSED_PAD src0_sel:DWORD src1_sel:BYTE_3
	v_sub_u32_e32 v8, 29, v8
	v_and_b32_e32 v5, 7, v5
	v_cmp_eq_u16_e32 vcc, 0, v6
	v_cndmask_b32_e32 v3, v3, v5, vcc
	v_cndmask_b32_e32 v5, v7, v8, vcc
	v_mov_b32_e32 v6, 0x3b800000
	v_lshlrev_b32_e32 v3, 20, v3
	v_lshl_add_u32 v5, v5, 23, v6
	v_or3_b32 v3, v4, v5, v3
.LBB5_1536:
	s_or_b64 exec, exec, s[6:7]
	s_nop 0
	v_mfma_f32_16x16x4f32 a[0:3], v2, v3, a[0:3]
	s_movk_i32 s4, 0x7f
                                        ; implicit-def: $sgpr10
	s_nop 7
	s_nop 1
	flat_store_dwordx4 v[18:19], a[0:3] offset:464
	flat_load_dwordx4 v[20:23], v[0:1] offset:16
	s_nop 0
	flat_load_dwordx2 v[18:19], v[0:1] offset:32
	s_waitcnt vmcnt(0) lgkmcnt(0)
	flat_load_dwordx4 v[14:17], v[20:21] offset:32
	flat_load_dwordx4 v[6:9], v[20:21] offset:48
	;; [unrolled: 1-line block ×4, first 2 shown]
	s_waitcnt vmcnt(0) lgkmcnt(0)
	v_cmp_gt_i16_sdwa s[6:7], v14, s4 src0_sel:BYTE_0 src1_sel:DWORD
	s_mov_b64 s[4:5], 0
	s_and_saveexec_b64 s[8:9], s[6:7]
	s_xor_b64 s[6:7], exec, s[8:9]
	s_cbranch_execnz .LBB5_3585
; %bb.1537:
	s_or_saveexec_b64 s[6:7], s[6:7]
	v_mov_b32_e32 v20, s10
	s_xor_b64 exec, exec, s[6:7]
	s_cbranch_execnz .LBB5_3588
.LBB5_1538:
	s_or_b64 exec, exec, s[6:7]
	s_and_saveexec_b64 s[6:7], s[4:5]
	s_cbranch_execz .LBB5_1540
.LBB5_1539:
	v_and_b32_e32 v20, 7, v14
	v_ffbh_u32_e32 v22, v20
	v_min_u32_e32 v22, 32, v22
	v_lshrrev_b16_e32 v21, 3, v14
	v_subrev_u32_e32 v23, 28, v22
	v_and_b32_e32 v21, 15, v21
	v_lshlrev_b32_e32 v23, v23, v14
	v_sub_u32_e32 v22, 29, v22
	v_and_b32_e32 v23, 7, v23
	v_cmp_eq_u16_e32 vcc, 0, v21
	v_cndmask_b32_e32 v20, v20, v23, vcc
	v_cndmask_b32_e32 v21, v21, v22, vcc
	v_lshlrev_b32_e32 v22, 24, v14
	v_mov_b32_e32 v23, 0x3b800000
	v_lshlrev_b32_e32 v20, 20, v20
	v_and_b32_e32 v22, 0x80000000, v22
	v_lshl_add_u32 v21, v21, 23, v23
	v_or3_b32 v20, v22, v21, v20
.LBB5_1540:
	s_or_b64 exec, exec, s[6:7]
	s_movk_i32 s4, 0x7f
	v_cmp_gt_i16_sdwa s[6:7], v10, s4 src0_sel:BYTE_0 src1_sel:DWORD
	s_mov_b64 s[4:5], 0
                                        ; implicit-def: $sgpr10
	s_and_saveexec_b64 s[8:9], s[6:7]
	s_xor_b64 s[6:7], exec, s[8:9]
	s_cbranch_execnz .LBB5_3589
; %bb.1541:
	s_or_saveexec_b64 s[6:7], s[6:7]
	v_mov_b32_e32 v21, s10
	s_xor_b64 exec, exec, s[6:7]
	s_cbranch_execnz .LBB5_3592
.LBB5_1542:
	s_or_b64 exec, exec, s[6:7]
	s_and_saveexec_b64 s[6:7], s[4:5]
	s_cbranch_execz .LBB5_1544
.LBB5_1543:
	v_and_b32_e32 v21, 7, v10
	v_ffbh_u32_e32 v23, v21
	v_min_u32_e32 v23, 32, v23
	v_lshrrev_b16_e32 v22, 3, v10
	v_subrev_u32_e32 v24, 28, v23
	v_and_b32_e32 v22, 15, v22
	v_lshlrev_b32_e32 v24, v24, v10
	v_sub_u32_e32 v23, 29, v23
	v_and_b32_e32 v24, 7, v24
	v_cmp_eq_u16_e32 vcc, 0, v22
	v_cndmask_b32_e32 v21, v21, v24, vcc
	v_cndmask_b32_e32 v22, v22, v23, vcc
	v_lshlrev_b32_e32 v23, 24, v10
	v_mov_b32_e32 v24, 0x3b800000
	v_lshlrev_b32_e32 v21, 20, v21
	v_and_b32_e32 v23, 0x80000000, v23
	v_lshl_add_u32 v22, v22, 23, v24
	v_or3_b32 v21, v23, v22, v21
.LBB5_1544:
	s_or_b64 exec, exec, s[6:7]
	flat_load_dwordx4 a[0:3], v[18:19] offset:480
	s_movk_i32 s4, 0x7f
                                        ; implicit-def: $sgpr10
	s_waitcnt vmcnt(0) lgkmcnt(0)
	v_mfma_f32_16x16x4f32 a[0:3], v20, v21, a[0:3]
	v_lshrrev_b32_e32 v21, 8, v14
	v_cmp_gt_i16_sdwa s[6:7], v21, s4 src0_sel:BYTE_0 src1_sel:DWORD
	s_mov_b64 s[4:5], 0
	s_and_saveexec_b64 s[8:9], s[6:7]
	s_xor_b64 s[6:7], exec, s[8:9]
	s_cbranch_execnz .LBB5_3593
; %bb.1545:
	s_or_saveexec_b64 s[6:7], s[6:7]
	v_mov_b32_e32 v20, s10
	s_xor_b64 exec, exec, s[6:7]
	s_cbranch_execnz .LBB5_3596
.LBB5_1546:
	s_or_b64 exec, exec, s[6:7]
	s_and_saveexec_b64 s[6:7], s[4:5]
	s_cbranch_execz .LBB5_1548
.LBB5_1547:
	v_bfe_u32 v20, v14, 8, 3
	v_ffbh_u32_e32 v23, v20
	v_min_u32_e32 v23, 32, v23
	v_lshrrev_b16_e32 v22, 3, v21
	v_subrev_u32_e32 v24, 28, v23
	v_and_b32_e32 v22, 15, v22
	v_lshlrev_b32_e32 v21, v24, v21
	v_sub_u32_e32 v23, 29, v23
	v_and_b32_e32 v21, 7, v21
	v_cmp_eq_u16_e32 vcc, 0, v22
	v_cndmask_b32_e32 v20, v20, v21, vcc
	v_cndmask_b32_e32 v21, v22, v23, vcc
	v_lshlrev_b32_e32 v22, 16, v14
	v_mov_b32_e32 v23, 0x3b800000
	v_lshlrev_b32_e32 v20, 20, v20
	v_and_b32_e32 v22, 0x80000000, v22
	v_lshl_add_u32 v21, v21, 23, v23
	v_or3_b32 v20, v22, v21, v20
.LBB5_1548:
	s_or_b64 exec, exec, s[6:7]
	v_lshrrev_b32_e32 v21, 8, v10
	s_movk_i32 s4, 0x7f
	v_cmp_gt_i16_sdwa s[6:7], v21, s4 src0_sel:BYTE_0 src1_sel:DWORD
	s_mov_b64 s[4:5], 0
                                        ; implicit-def: $sgpr10
	s_and_saveexec_b64 s[8:9], s[6:7]
	s_xor_b64 s[6:7], exec, s[8:9]
	s_cbranch_execnz .LBB5_3597
; %bb.1549:
	s_or_saveexec_b64 s[6:7], s[6:7]
	v_mov_b32_e32 v22, s10
	s_xor_b64 exec, exec, s[6:7]
	s_cbranch_execnz .LBB5_3600
.LBB5_1550:
	s_or_b64 exec, exec, s[6:7]
	s_and_saveexec_b64 s[6:7], s[4:5]
	s_cbranch_execz .LBB5_1552
.LBB5_1551:
	v_bfe_u32 v22, v10, 8, 3
	v_ffbh_u32_e32 v24, v22
	v_min_u32_e32 v24, 32, v24
	v_lshrrev_b16_e32 v23, 3, v21
	v_subrev_u32_e32 v25, 28, v24
	v_and_b32_e32 v23, 15, v23
	v_lshlrev_b32_e32 v21, v25, v21
	v_sub_u32_e32 v24, 29, v24
	v_and_b32_e32 v21, 7, v21
	v_cmp_eq_u16_e32 vcc, 0, v23
	v_cndmask_b32_e32 v21, v22, v21, vcc
	v_cndmask_b32_e32 v22, v23, v24, vcc
	v_lshlrev_b32_e32 v23, 16, v10
	v_mov_b32_e32 v24, 0x3b800000
	v_lshlrev_b32_e32 v21, 20, v21
	v_and_b32_e32 v23, 0x80000000, v23
	v_lshl_add_u32 v22, v22, 23, v24
	v_or3_b32 v22, v23, v22, v21
.LBB5_1552:
	s_or_b64 exec, exec, s[6:7]
	s_nop 0
	v_mfma_f32_16x16x4f32 a[0:3], v20, v22, a[0:3]
	s_movk_i32 s4, 0xff
	v_and_b32_sdwa v21, v14, s4 dst_sel:DWORD dst_unused:UNUSED_PAD src0_sel:WORD_1 src1_sel:DWORD
	s_movk_i32 s4, 0x7f
	v_cmp_lt_i16_e32 vcc, s4, v21
	s_mov_b64 s[4:5], 0
                                        ; implicit-def: $sgpr10
	s_and_saveexec_b64 s[6:7], vcc
	s_xor_b64 s[6:7], exec, s[6:7]
	s_cbranch_execnz .LBB5_3601
; %bb.1553:
	s_or_saveexec_b64 s[6:7], s[6:7]
	v_mov_b32_e32 v20, s10
	s_xor_b64 exec, exec, s[6:7]
	s_cbranch_execnz .LBB5_3604
.LBB5_1554:
	s_or_b64 exec, exec, s[6:7]
	s_and_saveexec_b64 s[6:7], s[4:5]
	s_cbranch_execz .LBB5_1556
.LBB5_1555:
	v_bfe_u32 v20, v14, 16, 3
	v_ffbh_u32_e32 v23, v20
	v_min_u32_e32 v23, 32, v23
	v_lshrrev_b32_e32 v21, 19, v14
	v_subrev_u32_e32 v24, 28, v23
	v_and_b32_e32 v21, 15, v21
	v_lshlrev_b32_sdwa v24, v24, v14 dst_sel:DWORD dst_unused:UNUSED_PAD src0_sel:DWORD src1_sel:WORD_1
	v_bfe_u32 v22, v14, 19, 4
	v_sub_u32_e32 v23, 29, v23
	v_and_b32_e32 v24, 7, v24
	v_cmp_eq_u16_e32 vcc, 0, v21
	v_cndmask_b32_e32 v20, v20, v24, vcc
	v_cndmask_b32_e32 v21, v22, v23, vcc
	v_lshlrev_b32_e32 v22, 8, v14
	v_mov_b32_e32 v23, 0x3b800000
	v_lshlrev_b32_e32 v20, 20, v20
	v_and_b32_e32 v22, 0x80000000, v22
	v_lshl_add_u32 v21, v21, 23, v23
	v_or3_b32 v20, v22, v21, v20
.LBB5_1556:
	s_or_b64 exec, exec, s[6:7]
	s_movk_i32 s4, 0xff
	v_and_b32_sdwa v21, v10, s4 dst_sel:DWORD dst_unused:UNUSED_PAD src0_sel:WORD_1 src1_sel:DWORD
	s_movk_i32 s4, 0x7f
	v_cmp_lt_i16_e32 vcc, s4, v21
	s_mov_b64 s[4:5], 0
                                        ; implicit-def: $sgpr10
	s_and_saveexec_b64 s[6:7], vcc
	s_xor_b64 s[6:7], exec, s[6:7]
	s_cbranch_execnz .LBB5_3605
; %bb.1557:
	s_or_saveexec_b64 s[6:7], s[6:7]
	v_mov_b32_e32 v22, s10
	s_xor_b64 exec, exec, s[6:7]
	s_cbranch_execnz .LBB5_3608
.LBB5_1558:
	s_or_b64 exec, exec, s[6:7]
	s_and_saveexec_b64 s[6:7], s[4:5]
	s_cbranch_execz .LBB5_1560
.LBB5_1559:
	v_bfe_u32 v21, v10, 16, 3
	v_ffbh_u32_e32 v24, v21
	v_min_u32_e32 v24, 32, v24
	v_lshrrev_b32_e32 v22, 19, v10
	v_subrev_u32_e32 v25, 28, v24
	v_and_b32_e32 v22, 15, v22
	v_lshlrev_b32_sdwa v25, v25, v10 dst_sel:DWORD dst_unused:UNUSED_PAD src0_sel:DWORD src1_sel:WORD_1
	v_bfe_u32 v23, v10, 19, 4
	v_sub_u32_e32 v24, 29, v24
	v_and_b32_e32 v25, 7, v25
	v_cmp_eq_u16_e32 vcc, 0, v22
	v_cndmask_b32_e32 v21, v21, v25, vcc
	v_cndmask_b32_e32 v22, v23, v24, vcc
	v_lshlrev_b32_e32 v23, 8, v10
	v_mov_b32_e32 v24, 0x3b800000
	v_lshlrev_b32_e32 v21, 20, v21
	v_and_b32_e32 v23, 0x80000000, v23
	v_lshl_add_u32 v22, v22, 23, v24
	v_or3_b32 v22, v23, v22, v21
.LBB5_1560:
	s_or_b64 exec, exec, s[6:7]
	s_nop 0
	v_mfma_f32_16x16x4f32 a[0:3], v20, v22, a[0:3]
	s_movk_i32 s4, 0x7f
	v_cmp_gt_i16_sdwa s[6:7], v14, s4 src0_sel:BYTE_3 src1_sel:DWORD
	s_mov_b64 s[4:5], 0
                                        ; implicit-def: $sgpr10
	s_and_saveexec_b64 s[8:9], s[6:7]
	s_xor_b64 s[6:7], exec, s[8:9]
	s_cbranch_execnz .LBB5_3609
; %bb.1561:
	s_or_saveexec_b64 s[6:7], s[6:7]
	v_mov_b32_e32 v20, s10
	s_xor_b64 exec, exec, s[6:7]
	s_cbranch_execnz .LBB5_3612
.LBB5_1562:
	s_or_b64 exec, exec, s[6:7]
	s_and_saveexec_b64 s[6:7], s[4:5]
	s_cbranch_execz .LBB5_1564
.LBB5_1563:
	v_bfe_u32 v20, v14, 24, 3
	v_ffbh_u32_e32 v24, v20
	v_min_u32_e32 v24, 32, v24
	v_lshrrev_b32_e32 v22, 27, v14
	v_subrev_u32_e32 v25, 28, v24
	v_and_b32_e32 v21, 0x80000000, v14
	v_and_b32_e32 v22, 15, v22
	v_bfe_u32 v23, v14, 27, 4
	v_lshlrev_b32_sdwa v14, v25, v14 dst_sel:DWORD dst_unused:UNUSED_PAD src0_sel:DWORD src1_sel:BYTE_3
	v_sub_u32_e32 v24, 29, v24
	v_and_b32_e32 v14, 7, v14
	v_cmp_eq_u16_e32 vcc, 0, v22
	v_cndmask_b32_e32 v14, v20, v14, vcc
	v_cndmask_b32_e32 v20, v23, v24, vcc
	v_mov_b32_e32 v22, 0x3b800000
	v_lshlrev_b32_e32 v14, 20, v14
	v_lshl_add_u32 v20, v20, 23, v22
	v_or3_b32 v20, v21, v20, v14
.LBB5_1564:
	s_or_b64 exec, exec, s[6:7]
	s_movk_i32 s4, 0x7f
	v_cmp_gt_i16_sdwa s[6:7], v10, s4 src0_sel:BYTE_3 src1_sel:DWORD
	s_mov_b64 s[4:5], 0
                                        ; implicit-def: $sgpr10
	s_and_saveexec_b64 s[8:9], s[6:7]
	s_xor_b64 s[6:7], exec, s[8:9]
	s_cbranch_execnz .LBB5_3613
; %bb.1565:
	s_or_saveexec_b64 s[6:7], s[6:7]
	v_mov_b32_e32 v14, s10
	s_xor_b64 exec, exec, s[6:7]
	s_cbranch_execnz .LBB5_3616
.LBB5_1566:
	s_or_b64 exec, exec, s[6:7]
	s_and_saveexec_b64 s[6:7], s[4:5]
	s_cbranch_execz .LBB5_1568
.LBB5_1567:
	v_bfe_u32 v14, v10, 24, 3
	v_ffbh_u32_e32 v24, v14
	v_min_u32_e32 v24, 32, v24
	v_lshrrev_b32_e32 v22, 27, v10
	v_subrev_u32_e32 v25, 28, v24
	v_and_b32_e32 v21, 0x80000000, v10
	v_and_b32_e32 v22, 15, v22
	v_bfe_u32 v23, v10, 27, 4
	v_lshlrev_b32_sdwa v10, v25, v10 dst_sel:DWORD dst_unused:UNUSED_PAD src0_sel:DWORD src1_sel:BYTE_3
	v_sub_u32_e32 v24, 29, v24
	v_and_b32_e32 v10, 7, v10
	v_cmp_eq_u16_e32 vcc, 0, v22
	v_cndmask_b32_e32 v10, v14, v10, vcc
	v_cndmask_b32_e32 v14, v23, v24, vcc
	v_mov_b32_e32 v22, 0x3b800000
	v_lshlrev_b32_e32 v10, 20, v10
	v_lshl_add_u32 v14, v14, 23, v22
	v_or3_b32 v14, v21, v14, v10
.LBB5_1568:
	s_or_b64 exec, exec, s[6:7]
	s_nop 0
	v_mfma_f32_16x16x4f32 a[0:3], v20, v14, a[0:3]
	s_movk_i32 s4, 0x7f
	v_cmp_gt_i16_sdwa s[6:7], v15, s4 src0_sel:BYTE_0 src1_sel:DWORD
	s_mov_b64 s[4:5], 0
                                        ; implicit-def: $sgpr10
	s_and_saveexec_b64 s[8:9], s[6:7]
	s_xor_b64 s[6:7], exec, s[8:9]
	s_cbranch_execnz .LBB5_3617
; %bb.1569:
	s_or_saveexec_b64 s[6:7], s[6:7]
	v_mov_b32_e32 v10, s10
	s_xor_b64 exec, exec, s[6:7]
	s_cbranch_execnz .LBB5_3620
.LBB5_1570:
	s_or_b64 exec, exec, s[6:7]
	s_and_saveexec_b64 s[6:7], s[4:5]
	s_cbranch_execz .LBB5_1572
.LBB5_1571:
	v_and_b32_e32 v10, 7, v15
	v_ffbh_u32_e32 v20, v10
	v_min_u32_e32 v20, 32, v20
	v_lshrrev_b16_e32 v14, 3, v15
	v_subrev_u32_e32 v21, 28, v20
	v_and_b32_e32 v14, 15, v14
	v_lshlrev_b32_e32 v21, v21, v15
	v_sub_u32_e32 v20, 29, v20
	v_and_b32_e32 v21, 7, v21
	v_cmp_eq_u16_e32 vcc, 0, v14
	v_cndmask_b32_e32 v10, v10, v21, vcc
	v_cndmask_b32_e32 v14, v14, v20, vcc
	v_lshlrev_b32_e32 v20, 24, v15
	v_mov_b32_e32 v21, 0x3b800000
	v_lshlrev_b32_e32 v10, 20, v10
	v_and_b32_e32 v20, 0x80000000, v20
	v_lshl_add_u32 v14, v14, 23, v21
	v_or3_b32 v10, v20, v14, v10
.LBB5_1572:
	s_or_b64 exec, exec, s[6:7]
	s_movk_i32 s4, 0x7f
	v_cmp_gt_i16_sdwa s[6:7], v11, s4 src0_sel:BYTE_0 src1_sel:DWORD
	s_mov_b64 s[4:5], 0
                                        ; implicit-def: $sgpr10
	s_and_saveexec_b64 s[8:9], s[6:7]
	s_xor_b64 s[6:7], exec, s[8:9]
	s_cbranch_execnz .LBB5_3621
; %bb.1573:
	s_or_saveexec_b64 s[6:7], s[6:7]
	v_mov_b32_e32 v14, s10
	s_xor_b64 exec, exec, s[6:7]
	s_cbranch_execnz .LBB5_3624
.LBB5_1574:
	s_or_b64 exec, exec, s[6:7]
	s_and_saveexec_b64 s[6:7], s[4:5]
	s_cbranch_execz .LBB5_1576
.LBB5_1575:
	v_and_b32_e32 v14, 7, v11
	v_ffbh_u32_e32 v21, v14
	v_min_u32_e32 v21, 32, v21
	v_lshrrev_b16_e32 v20, 3, v11
	v_subrev_u32_e32 v22, 28, v21
	v_and_b32_e32 v20, 15, v20
	v_lshlrev_b32_e32 v22, v22, v11
	v_sub_u32_e32 v21, 29, v21
	v_and_b32_e32 v22, 7, v22
	v_cmp_eq_u16_e32 vcc, 0, v20
	v_cndmask_b32_e32 v14, v14, v22, vcc
	v_cndmask_b32_e32 v20, v20, v21, vcc
	v_lshlrev_b32_e32 v21, 24, v11
	v_mov_b32_e32 v22, 0x3b800000
	v_lshlrev_b32_e32 v14, 20, v14
	v_and_b32_e32 v21, 0x80000000, v21
	v_lshl_add_u32 v20, v20, 23, v22
	v_or3_b32 v14, v21, v20, v14
.LBB5_1576:
	s_or_b64 exec, exec, s[6:7]
	s_nop 0
	v_mfma_f32_16x16x4f32 a[0:3], v10, v14, a[0:3]
	v_lshrrev_b32_e32 v14, 8, v15
	s_movk_i32 s4, 0x7f
	v_cmp_gt_i16_sdwa s[6:7], v14, s4 src0_sel:BYTE_0 src1_sel:DWORD
	s_mov_b64 s[4:5], 0
                                        ; implicit-def: $sgpr10
	s_and_saveexec_b64 s[8:9], s[6:7]
	s_xor_b64 s[6:7], exec, s[8:9]
	s_cbranch_execnz .LBB5_3625
; %bb.1577:
	s_or_saveexec_b64 s[6:7], s[6:7]
	v_mov_b32_e32 v10, s10
	s_xor_b64 exec, exec, s[6:7]
	s_cbranch_execnz .LBB5_3628
.LBB5_1578:
	s_or_b64 exec, exec, s[6:7]
	s_and_saveexec_b64 s[6:7], s[4:5]
	s_cbranch_execz .LBB5_1580
.LBB5_1579:
	v_bfe_u32 v10, v15, 8, 3
	v_ffbh_u32_e32 v21, v10
	v_min_u32_e32 v21, 32, v21
	v_lshrrev_b16_e32 v20, 3, v14
	v_subrev_u32_e32 v22, 28, v21
	v_and_b32_e32 v20, 15, v20
	v_lshlrev_b32_e32 v14, v22, v14
	v_sub_u32_e32 v21, 29, v21
	v_and_b32_e32 v14, 7, v14
	v_cmp_eq_u16_e32 vcc, 0, v20
	v_cndmask_b32_e32 v10, v10, v14, vcc
	v_cndmask_b32_e32 v14, v20, v21, vcc
	v_lshlrev_b32_e32 v20, 16, v15
	v_mov_b32_e32 v21, 0x3b800000
	v_lshlrev_b32_e32 v10, 20, v10
	v_and_b32_e32 v20, 0x80000000, v20
	v_lshl_add_u32 v14, v14, 23, v21
	v_or3_b32 v10, v20, v14, v10
.LBB5_1580:
	s_or_b64 exec, exec, s[6:7]
	v_lshrrev_b32_e32 v14, 8, v11
	s_movk_i32 s4, 0x7f
	v_cmp_gt_i16_sdwa s[6:7], v14, s4 src0_sel:BYTE_0 src1_sel:DWORD
	s_mov_b64 s[4:5], 0
                                        ; implicit-def: $sgpr10
	s_and_saveexec_b64 s[8:9], s[6:7]
	s_xor_b64 s[6:7], exec, s[8:9]
	s_cbranch_execnz .LBB5_3629
; %bb.1581:
	s_or_saveexec_b64 s[6:7], s[6:7]
	v_mov_b32_e32 v20, s10
	s_xor_b64 exec, exec, s[6:7]
	s_cbranch_execnz .LBB5_3632
.LBB5_1582:
	s_or_b64 exec, exec, s[6:7]
	s_and_saveexec_b64 s[6:7], s[4:5]
	s_cbranch_execz .LBB5_1584
.LBB5_1583:
	v_bfe_u32 v20, v11, 8, 3
	v_ffbh_u32_e32 v22, v20
	v_min_u32_e32 v22, 32, v22
	v_lshrrev_b16_e32 v21, 3, v14
	v_subrev_u32_e32 v23, 28, v22
	v_and_b32_e32 v21, 15, v21
	v_lshlrev_b32_e32 v14, v23, v14
	v_sub_u32_e32 v22, 29, v22
	v_and_b32_e32 v14, 7, v14
	v_cmp_eq_u16_e32 vcc, 0, v21
	v_cndmask_b32_e32 v14, v20, v14, vcc
	v_cndmask_b32_e32 v20, v21, v22, vcc
	v_lshlrev_b32_e32 v21, 16, v11
	v_mov_b32_e32 v22, 0x3b800000
	v_lshlrev_b32_e32 v14, 20, v14
	v_and_b32_e32 v21, 0x80000000, v21
	v_lshl_add_u32 v20, v20, 23, v22
	v_or3_b32 v20, v21, v20, v14
.LBB5_1584:
	s_or_b64 exec, exec, s[6:7]
	s_nop 0
	v_mfma_f32_16x16x4f32 a[0:3], v10, v20, a[0:3]
	s_movk_i32 s4, 0xff
	v_and_b32_sdwa v14, v15, s4 dst_sel:DWORD dst_unused:UNUSED_PAD src0_sel:WORD_1 src1_sel:DWORD
	s_movk_i32 s4, 0x7f
	v_cmp_lt_i16_e32 vcc, s4, v14
	s_mov_b64 s[4:5], 0
                                        ; implicit-def: $sgpr10
	s_and_saveexec_b64 s[6:7], vcc
	s_xor_b64 s[6:7], exec, s[6:7]
	s_cbranch_execnz .LBB5_3633
; %bb.1585:
	s_or_saveexec_b64 s[6:7], s[6:7]
	v_mov_b32_e32 v10, s10
	s_xor_b64 exec, exec, s[6:7]
	s_cbranch_execnz .LBB5_3636
.LBB5_1586:
	s_or_b64 exec, exec, s[6:7]
	s_and_saveexec_b64 s[6:7], s[4:5]
	s_cbranch_execz .LBB5_1588
.LBB5_1587:
	v_bfe_u32 v10, v15, 16, 3
	v_ffbh_u32_e32 v21, v10
	v_min_u32_e32 v21, 32, v21
	v_lshrrev_b32_e32 v14, 19, v15
	v_subrev_u32_e32 v22, 28, v21
	v_and_b32_e32 v14, 15, v14
	v_lshlrev_b32_sdwa v22, v22, v15 dst_sel:DWORD dst_unused:UNUSED_PAD src0_sel:DWORD src1_sel:WORD_1
	v_bfe_u32 v20, v15, 19, 4
	v_sub_u32_e32 v21, 29, v21
	v_and_b32_e32 v22, 7, v22
	v_cmp_eq_u16_e32 vcc, 0, v14
	v_cndmask_b32_e32 v10, v10, v22, vcc
	v_cndmask_b32_e32 v14, v20, v21, vcc
	v_lshlrev_b32_e32 v20, 8, v15
	v_mov_b32_e32 v21, 0x3b800000
	v_lshlrev_b32_e32 v10, 20, v10
	v_and_b32_e32 v20, 0x80000000, v20
	v_lshl_add_u32 v14, v14, 23, v21
	v_or3_b32 v10, v20, v14, v10
.LBB5_1588:
	s_or_b64 exec, exec, s[6:7]
	s_movk_i32 s4, 0xff
	v_and_b32_sdwa v14, v11, s4 dst_sel:DWORD dst_unused:UNUSED_PAD src0_sel:WORD_1 src1_sel:DWORD
	s_movk_i32 s4, 0x7f
	v_cmp_lt_i16_e32 vcc, s4, v14
	s_mov_b64 s[4:5], 0
                                        ; implicit-def: $sgpr10
	s_and_saveexec_b64 s[6:7], vcc
	s_xor_b64 s[6:7], exec, s[6:7]
	s_cbranch_execnz .LBB5_3637
; %bb.1589:
	s_or_saveexec_b64 s[6:7], s[6:7]
	v_mov_b32_e32 v20, s10
	s_xor_b64 exec, exec, s[6:7]
	s_cbranch_execnz .LBB5_3640
.LBB5_1590:
	s_or_b64 exec, exec, s[6:7]
	s_and_saveexec_b64 s[6:7], s[4:5]
	s_cbranch_execz .LBB5_1592
.LBB5_1591:
	v_bfe_u32 v14, v11, 16, 3
	v_ffbh_u32_e32 v22, v14
	v_min_u32_e32 v22, 32, v22
	v_lshrrev_b32_e32 v20, 19, v11
	v_subrev_u32_e32 v23, 28, v22
	v_and_b32_e32 v20, 15, v20
	v_lshlrev_b32_sdwa v23, v23, v11 dst_sel:DWORD dst_unused:UNUSED_PAD src0_sel:DWORD src1_sel:WORD_1
	v_bfe_u32 v21, v11, 19, 4
	v_sub_u32_e32 v22, 29, v22
	v_and_b32_e32 v23, 7, v23
	v_cmp_eq_u16_e32 vcc, 0, v20
	v_cndmask_b32_e32 v14, v14, v23, vcc
	v_cndmask_b32_e32 v20, v21, v22, vcc
	v_lshlrev_b32_e32 v21, 8, v11
	v_mov_b32_e32 v22, 0x3b800000
	v_lshlrev_b32_e32 v14, 20, v14
	v_and_b32_e32 v21, 0x80000000, v21
	v_lshl_add_u32 v20, v20, 23, v22
	v_or3_b32 v20, v21, v20, v14
.LBB5_1592:
	s_or_b64 exec, exec, s[6:7]
	s_nop 0
	v_mfma_f32_16x16x4f32 a[0:3], v10, v20, a[0:3]
	s_movk_i32 s4, 0x7f
	v_cmp_gt_i16_sdwa s[6:7], v15, s4 src0_sel:BYTE_3 src1_sel:DWORD
	s_mov_b64 s[4:5], 0
                                        ; implicit-def: $sgpr10
	s_and_saveexec_b64 s[8:9], s[6:7]
	s_xor_b64 s[6:7], exec, s[8:9]
	s_cbranch_execnz .LBB5_3641
; %bb.1593:
	s_or_saveexec_b64 s[6:7], s[6:7]
	v_mov_b32_e32 v10, s10
	s_xor_b64 exec, exec, s[6:7]
	s_cbranch_execnz .LBB5_3644
.LBB5_1594:
	s_or_b64 exec, exec, s[6:7]
	s_and_saveexec_b64 s[6:7], s[4:5]
	s_cbranch_execz .LBB5_1596
.LBB5_1595:
	v_bfe_u32 v10, v15, 24, 3
	v_ffbh_u32_e32 v22, v10
	v_min_u32_e32 v22, 32, v22
	v_lshrrev_b32_e32 v20, 27, v15
	v_subrev_u32_e32 v23, 28, v22
	v_and_b32_e32 v14, 0x80000000, v15
	v_and_b32_e32 v20, 15, v20
	v_bfe_u32 v21, v15, 27, 4
	v_lshlrev_b32_sdwa v15, v23, v15 dst_sel:DWORD dst_unused:UNUSED_PAD src0_sel:DWORD src1_sel:BYTE_3
	v_sub_u32_e32 v22, 29, v22
	v_and_b32_e32 v15, 7, v15
	v_cmp_eq_u16_e32 vcc, 0, v20
	v_cndmask_b32_e32 v10, v10, v15, vcc
	v_cndmask_b32_e32 v15, v21, v22, vcc
	v_mov_b32_e32 v20, 0x3b800000
	v_lshlrev_b32_e32 v10, 20, v10
	v_lshl_add_u32 v15, v15, 23, v20
	v_or3_b32 v10, v14, v15, v10
.LBB5_1596:
	s_or_b64 exec, exec, s[6:7]
	s_movk_i32 s4, 0x7f
	v_cmp_gt_i16_sdwa s[6:7], v11, s4 src0_sel:BYTE_3 src1_sel:DWORD
	s_mov_b64 s[4:5], 0
                                        ; implicit-def: $sgpr10
	s_and_saveexec_b64 s[8:9], s[6:7]
	s_xor_b64 s[6:7], exec, s[8:9]
	s_cbranch_execnz .LBB5_3645
; %bb.1597:
	s_or_saveexec_b64 s[6:7], s[6:7]
	v_mov_b32_e32 v14, s10
	s_xor_b64 exec, exec, s[6:7]
	s_cbranch_execnz .LBB5_3648
.LBB5_1598:
	s_or_b64 exec, exec, s[6:7]
	s_and_saveexec_b64 s[6:7], s[4:5]
	s_cbranch_execz .LBB5_1600
.LBB5_1599:
	v_bfe_u32 v14, v11, 24, 3
	v_ffbh_u32_e32 v22, v14
	v_min_u32_e32 v22, 32, v22
	v_lshrrev_b32_e32 v20, 27, v11
	v_subrev_u32_e32 v23, 28, v22
	v_and_b32_e32 v15, 0x80000000, v11
	v_and_b32_e32 v20, 15, v20
	v_bfe_u32 v21, v11, 27, 4
	v_lshlrev_b32_sdwa v11, v23, v11 dst_sel:DWORD dst_unused:UNUSED_PAD src0_sel:DWORD src1_sel:BYTE_3
	v_sub_u32_e32 v22, 29, v22
	v_and_b32_e32 v11, 7, v11
	v_cmp_eq_u16_e32 vcc, 0, v20
	v_cndmask_b32_e32 v11, v14, v11, vcc
	v_cndmask_b32_e32 v14, v21, v22, vcc
	v_mov_b32_e32 v20, 0x3b800000
	v_lshlrev_b32_e32 v11, 20, v11
	v_lshl_add_u32 v14, v14, 23, v20
	v_or3_b32 v14, v15, v14, v11
.LBB5_1600:
	s_or_b64 exec, exec, s[6:7]
	s_nop 0
	v_mfma_f32_16x16x4f32 a[0:3], v10, v14, a[0:3]
	s_movk_i32 s4, 0x7f
	v_cmp_gt_i16_sdwa s[6:7], v16, s4 src0_sel:BYTE_0 src1_sel:DWORD
	s_mov_b64 s[4:5], 0
                                        ; implicit-def: $sgpr10
	s_and_saveexec_b64 s[8:9], s[6:7]
	s_xor_b64 s[6:7], exec, s[8:9]
	s_cbranch_execnz .LBB5_3649
; %bb.1601:
	s_or_saveexec_b64 s[6:7], s[6:7]
	v_mov_b32_e32 v10, s10
	s_xor_b64 exec, exec, s[6:7]
	s_cbranch_execnz .LBB5_3652
.LBB5_1602:
	s_or_b64 exec, exec, s[6:7]
	s_and_saveexec_b64 s[6:7], s[4:5]
	s_cbranch_execz .LBB5_1604
.LBB5_1603:
	v_and_b32_e32 v10, 7, v16
	v_ffbh_u32_e32 v14, v10
	v_min_u32_e32 v14, 32, v14
	v_lshrrev_b16_e32 v11, 3, v16
	v_subrev_u32_e32 v15, 28, v14
	v_and_b32_e32 v11, 15, v11
	v_lshlrev_b32_e32 v15, v15, v16
	v_sub_u32_e32 v14, 29, v14
	v_and_b32_e32 v15, 7, v15
	v_cmp_eq_u16_e32 vcc, 0, v11
	v_cndmask_b32_e32 v10, v10, v15, vcc
	v_cndmask_b32_e32 v11, v11, v14, vcc
	v_lshlrev_b32_e32 v14, 24, v16
	v_mov_b32_e32 v15, 0x3b800000
	v_lshlrev_b32_e32 v10, 20, v10
	v_and_b32_e32 v14, 0x80000000, v14
	v_lshl_add_u32 v11, v11, 23, v15
	v_or3_b32 v10, v14, v11, v10
.LBB5_1604:
	s_or_b64 exec, exec, s[6:7]
	s_movk_i32 s4, 0x7f
	v_cmp_gt_i16_sdwa s[6:7], v12, s4 src0_sel:BYTE_0 src1_sel:DWORD
	s_mov_b64 s[4:5], 0
                                        ; implicit-def: $sgpr10
	s_and_saveexec_b64 s[8:9], s[6:7]
	s_xor_b64 s[6:7], exec, s[8:9]
	s_cbranch_execnz .LBB5_3653
; %bb.1605:
	s_or_saveexec_b64 s[6:7], s[6:7]
	v_mov_b32_e32 v11, s10
	s_xor_b64 exec, exec, s[6:7]
	s_cbranch_execnz .LBB5_3656
.LBB5_1606:
	s_or_b64 exec, exec, s[6:7]
	s_and_saveexec_b64 s[6:7], s[4:5]
	s_cbranch_execz .LBB5_1608
.LBB5_1607:
	v_and_b32_e32 v11, 7, v12
	v_ffbh_u32_e32 v15, v11
	v_min_u32_e32 v15, 32, v15
	v_lshrrev_b16_e32 v14, 3, v12
	v_subrev_u32_e32 v20, 28, v15
	v_and_b32_e32 v14, 15, v14
	v_lshlrev_b32_e32 v20, v20, v12
	v_sub_u32_e32 v15, 29, v15
	v_and_b32_e32 v20, 7, v20
	v_cmp_eq_u16_e32 vcc, 0, v14
	v_cndmask_b32_e32 v11, v11, v20, vcc
	v_cndmask_b32_e32 v14, v14, v15, vcc
	v_lshlrev_b32_e32 v15, 24, v12
	v_mov_b32_e32 v20, 0x3b800000
	v_lshlrev_b32_e32 v11, 20, v11
	v_and_b32_e32 v15, 0x80000000, v15
	v_lshl_add_u32 v14, v14, 23, v20
	v_or3_b32 v11, v15, v14, v11
.LBB5_1608:
	s_or_b64 exec, exec, s[6:7]
	s_nop 0
	v_mfma_f32_16x16x4f32 a[0:3], v10, v11, a[0:3]
	v_lshrrev_b32_e32 v11, 8, v16
	s_movk_i32 s4, 0x7f
	v_cmp_gt_i16_sdwa s[6:7], v11, s4 src0_sel:BYTE_0 src1_sel:DWORD
	s_mov_b64 s[4:5], 0
                                        ; implicit-def: $sgpr10
	s_and_saveexec_b64 s[8:9], s[6:7]
	s_xor_b64 s[6:7], exec, s[8:9]
	s_cbranch_execnz .LBB5_3657
; %bb.1609:
	s_or_saveexec_b64 s[6:7], s[6:7]
	v_mov_b32_e32 v10, s10
	s_xor_b64 exec, exec, s[6:7]
	s_cbranch_execnz .LBB5_3660
.LBB5_1610:
	s_or_b64 exec, exec, s[6:7]
	s_and_saveexec_b64 s[6:7], s[4:5]
	s_cbranch_execz .LBB5_1612
.LBB5_1611:
	v_bfe_u32 v10, v16, 8, 3
	v_ffbh_u32_e32 v15, v10
	v_min_u32_e32 v15, 32, v15
	v_lshrrev_b16_e32 v14, 3, v11
	v_subrev_u32_e32 v20, 28, v15
	v_and_b32_e32 v14, 15, v14
	v_lshlrev_b32_e32 v11, v20, v11
	v_sub_u32_e32 v15, 29, v15
	v_and_b32_e32 v11, 7, v11
	v_cmp_eq_u16_e32 vcc, 0, v14
	v_cndmask_b32_e32 v10, v10, v11, vcc
	v_cndmask_b32_e32 v11, v14, v15, vcc
	v_lshlrev_b32_e32 v14, 16, v16
	v_mov_b32_e32 v15, 0x3b800000
	v_lshlrev_b32_e32 v10, 20, v10
	v_and_b32_e32 v14, 0x80000000, v14
	v_lshl_add_u32 v11, v11, 23, v15
	v_or3_b32 v10, v14, v11, v10
.LBB5_1612:
	s_or_b64 exec, exec, s[6:7]
	v_lshrrev_b32_e32 v11, 8, v12
	s_movk_i32 s4, 0x7f
	v_cmp_gt_i16_sdwa s[6:7], v11, s4 src0_sel:BYTE_0 src1_sel:DWORD
	s_mov_b64 s[4:5], 0
                                        ; implicit-def: $sgpr10
	s_and_saveexec_b64 s[8:9], s[6:7]
	s_xor_b64 s[6:7], exec, s[8:9]
	s_cbranch_execnz .LBB5_3661
; %bb.1613:
	s_or_saveexec_b64 s[6:7], s[6:7]
	v_mov_b32_e32 v14, s10
	s_xor_b64 exec, exec, s[6:7]
	s_cbranch_execnz .LBB5_3664
.LBB5_1614:
	s_or_b64 exec, exec, s[6:7]
	s_and_saveexec_b64 s[6:7], s[4:5]
	s_cbranch_execz .LBB5_1616
.LBB5_1615:
	v_bfe_u32 v14, v12, 8, 3
	v_ffbh_u32_e32 v20, v14
	v_min_u32_e32 v20, 32, v20
	v_lshrrev_b16_e32 v15, 3, v11
	v_subrev_u32_e32 v21, 28, v20
	v_and_b32_e32 v15, 15, v15
	v_lshlrev_b32_e32 v11, v21, v11
	v_sub_u32_e32 v20, 29, v20
	v_and_b32_e32 v11, 7, v11
	v_cmp_eq_u16_e32 vcc, 0, v15
	v_cndmask_b32_e32 v11, v14, v11, vcc
	v_cndmask_b32_e32 v14, v15, v20, vcc
	v_lshlrev_b32_e32 v15, 16, v12
	v_mov_b32_e32 v20, 0x3b800000
	v_lshlrev_b32_e32 v11, 20, v11
	v_and_b32_e32 v15, 0x80000000, v15
	v_lshl_add_u32 v14, v14, 23, v20
	v_or3_b32 v14, v15, v14, v11
.LBB5_1616:
	s_or_b64 exec, exec, s[6:7]
	s_nop 0
	v_mfma_f32_16x16x4f32 a[0:3], v10, v14, a[0:3]
	s_movk_i32 s4, 0xff
	v_and_b32_sdwa v11, v16, s4 dst_sel:DWORD dst_unused:UNUSED_PAD src0_sel:WORD_1 src1_sel:DWORD
	s_movk_i32 s4, 0x7f
	v_cmp_lt_i16_e32 vcc, s4, v11
	s_mov_b64 s[4:5], 0
                                        ; implicit-def: $sgpr10
	s_and_saveexec_b64 s[6:7], vcc
	s_xor_b64 s[6:7], exec, s[6:7]
	s_cbranch_execnz .LBB5_3665
; %bb.1617:
	s_or_saveexec_b64 s[6:7], s[6:7]
	v_mov_b32_e32 v10, s10
	s_xor_b64 exec, exec, s[6:7]
	s_cbranch_execnz .LBB5_3668
.LBB5_1618:
	s_or_b64 exec, exec, s[6:7]
	s_and_saveexec_b64 s[6:7], s[4:5]
	s_cbranch_execz .LBB5_1620
.LBB5_1619:
	v_bfe_u32 v10, v16, 16, 3
	v_ffbh_u32_e32 v15, v10
	v_min_u32_e32 v15, 32, v15
	v_lshrrev_b32_e32 v11, 19, v16
	v_subrev_u32_e32 v20, 28, v15
	v_and_b32_e32 v11, 15, v11
	v_lshlrev_b32_sdwa v20, v20, v16 dst_sel:DWORD dst_unused:UNUSED_PAD src0_sel:DWORD src1_sel:WORD_1
	v_bfe_u32 v14, v16, 19, 4
	v_sub_u32_e32 v15, 29, v15
	v_and_b32_e32 v20, 7, v20
	v_cmp_eq_u16_e32 vcc, 0, v11
	v_cndmask_b32_e32 v10, v10, v20, vcc
	v_cndmask_b32_e32 v11, v14, v15, vcc
	v_lshlrev_b32_e32 v14, 8, v16
	v_mov_b32_e32 v15, 0x3b800000
	v_lshlrev_b32_e32 v10, 20, v10
	v_and_b32_e32 v14, 0x80000000, v14
	v_lshl_add_u32 v11, v11, 23, v15
	v_or3_b32 v10, v14, v11, v10
.LBB5_1620:
	s_or_b64 exec, exec, s[6:7]
	s_movk_i32 s4, 0xff
	v_and_b32_sdwa v11, v12, s4 dst_sel:DWORD dst_unused:UNUSED_PAD src0_sel:WORD_1 src1_sel:DWORD
	s_movk_i32 s4, 0x7f
	v_cmp_lt_i16_e32 vcc, s4, v11
	s_mov_b64 s[4:5], 0
                                        ; implicit-def: $sgpr10
	s_and_saveexec_b64 s[6:7], vcc
	s_xor_b64 s[6:7], exec, s[6:7]
	s_cbranch_execnz .LBB5_3669
; %bb.1621:
	s_or_saveexec_b64 s[6:7], s[6:7]
	v_mov_b32_e32 v14, s10
	s_xor_b64 exec, exec, s[6:7]
	s_cbranch_execnz .LBB5_3672
.LBB5_1622:
	s_or_b64 exec, exec, s[6:7]
	s_and_saveexec_b64 s[6:7], s[4:5]
	s_cbranch_execz .LBB5_1624
.LBB5_1623:
	v_bfe_u32 v11, v12, 16, 3
	v_ffbh_u32_e32 v20, v11
	v_min_u32_e32 v20, 32, v20
	v_lshrrev_b32_e32 v14, 19, v12
	v_subrev_u32_e32 v21, 28, v20
	v_and_b32_e32 v14, 15, v14
	v_lshlrev_b32_sdwa v21, v21, v12 dst_sel:DWORD dst_unused:UNUSED_PAD src0_sel:DWORD src1_sel:WORD_1
	v_bfe_u32 v15, v12, 19, 4
	v_sub_u32_e32 v20, 29, v20
	v_and_b32_e32 v21, 7, v21
	v_cmp_eq_u16_e32 vcc, 0, v14
	v_cndmask_b32_e32 v11, v11, v21, vcc
	v_cndmask_b32_e32 v14, v15, v20, vcc
	v_lshlrev_b32_e32 v15, 8, v12
	v_mov_b32_e32 v20, 0x3b800000
	v_lshlrev_b32_e32 v11, 20, v11
	v_and_b32_e32 v15, 0x80000000, v15
	v_lshl_add_u32 v14, v14, 23, v20
	v_or3_b32 v14, v15, v14, v11
.LBB5_1624:
	s_or_b64 exec, exec, s[6:7]
	s_nop 0
	v_mfma_f32_16x16x4f32 a[0:3], v10, v14, a[0:3]
	s_movk_i32 s4, 0x7f
	v_cmp_gt_i16_sdwa s[6:7], v16, s4 src0_sel:BYTE_3 src1_sel:DWORD
	s_mov_b64 s[4:5], 0
                                        ; implicit-def: $sgpr10
	s_and_saveexec_b64 s[8:9], s[6:7]
	s_xor_b64 s[6:7], exec, s[8:9]
	s_cbranch_execnz .LBB5_3673
; %bb.1625:
	s_or_saveexec_b64 s[6:7], s[6:7]
	v_mov_b32_e32 v10, s10
	s_xor_b64 exec, exec, s[6:7]
	s_cbranch_execnz .LBB5_3676
.LBB5_1626:
	s_or_b64 exec, exec, s[6:7]
	s_and_saveexec_b64 s[6:7], s[4:5]
	s_cbranch_execz .LBB5_1628
.LBB5_1627:
	v_bfe_u32 v10, v16, 24, 3
	v_ffbh_u32_e32 v20, v10
	v_min_u32_e32 v20, 32, v20
	v_lshrrev_b32_e32 v14, 27, v16
	v_subrev_u32_e32 v21, 28, v20
	v_and_b32_e32 v11, 0x80000000, v16
	v_and_b32_e32 v14, 15, v14
	v_bfe_u32 v15, v16, 27, 4
	v_lshlrev_b32_sdwa v16, v21, v16 dst_sel:DWORD dst_unused:UNUSED_PAD src0_sel:DWORD src1_sel:BYTE_3
	v_sub_u32_e32 v20, 29, v20
	v_and_b32_e32 v16, 7, v16
	v_cmp_eq_u16_e32 vcc, 0, v14
	v_cndmask_b32_e32 v10, v10, v16, vcc
	v_cndmask_b32_e32 v14, v15, v20, vcc
	v_mov_b32_e32 v15, 0x3b800000
	v_lshlrev_b32_e32 v10, 20, v10
	v_lshl_add_u32 v14, v14, 23, v15
	v_or3_b32 v10, v11, v14, v10
.LBB5_1628:
	s_or_b64 exec, exec, s[6:7]
	s_movk_i32 s4, 0x7f
	v_cmp_gt_i16_sdwa s[6:7], v12, s4 src0_sel:BYTE_3 src1_sel:DWORD
	s_mov_b64 s[4:5], 0
                                        ; implicit-def: $sgpr10
	s_and_saveexec_b64 s[8:9], s[6:7]
	s_xor_b64 s[6:7], exec, s[8:9]
	s_cbranch_execnz .LBB5_3677
; %bb.1629:
	s_or_saveexec_b64 s[6:7], s[6:7]
	v_mov_b32_e32 v11, s10
	s_xor_b64 exec, exec, s[6:7]
	s_cbranch_execnz .LBB5_3680
.LBB5_1630:
	s_or_b64 exec, exec, s[6:7]
	s_and_saveexec_b64 s[6:7], s[4:5]
	s_cbranch_execz .LBB5_1632
.LBB5_1631:
	v_bfe_u32 v11, v12, 24, 3
	v_ffbh_u32_e32 v20, v11
	v_min_u32_e32 v20, 32, v20
	v_lshrrev_b32_e32 v15, 27, v12
	v_subrev_u32_e32 v21, 28, v20
	v_and_b32_e32 v14, 0x80000000, v12
	v_and_b32_e32 v15, 15, v15
	v_bfe_u32 v16, v12, 27, 4
	v_lshlrev_b32_sdwa v12, v21, v12 dst_sel:DWORD dst_unused:UNUSED_PAD src0_sel:DWORD src1_sel:BYTE_3
	v_sub_u32_e32 v20, 29, v20
	v_and_b32_e32 v12, 7, v12
	v_cmp_eq_u16_e32 vcc, 0, v15
	v_cndmask_b32_e32 v11, v11, v12, vcc
	v_cndmask_b32_e32 v12, v16, v20, vcc
	v_mov_b32_e32 v15, 0x3b800000
	v_lshlrev_b32_e32 v11, 20, v11
	v_lshl_add_u32 v12, v12, 23, v15
	v_or3_b32 v11, v14, v12, v11
.LBB5_1632:
	s_or_b64 exec, exec, s[6:7]
	s_nop 0
	v_mfma_f32_16x16x4f32 a[0:3], v10, v11, a[0:3]
	s_movk_i32 s4, 0x7f
	v_cmp_gt_i16_sdwa s[6:7], v17, s4 src0_sel:BYTE_0 src1_sel:DWORD
	s_mov_b64 s[4:5], 0
                                        ; implicit-def: $sgpr10
	s_and_saveexec_b64 s[8:9], s[6:7]
	s_xor_b64 s[6:7], exec, s[8:9]
	s_cbranch_execnz .LBB5_3681
; %bb.1633:
	s_or_saveexec_b64 s[6:7], s[6:7]
	v_mov_b32_e32 v10, s10
	s_xor_b64 exec, exec, s[6:7]
	s_cbranch_execnz .LBB5_3684
.LBB5_1634:
	s_or_b64 exec, exec, s[6:7]
	s_and_saveexec_b64 s[6:7], s[4:5]
	s_cbranch_execz .LBB5_1636
.LBB5_1635:
	v_and_b32_e32 v10, 7, v17
	v_ffbh_u32_e32 v12, v10
	v_min_u32_e32 v12, 32, v12
	v_lshrrev_b16_e32 v11, 3, v17
	v_subrev_u32_e32 v14, 28, v12
	v_and_b32_e32 v11, 15, v11
	v_lshlrev_b32_e32 v14, v14, v17
	v_sub_u32_e32 v12, 29, v12
	v_and_b32_e32 v14, 7, v14
	v_cmp_eq_u16_e32 vcc, 0, v11
	v_cndmask_b32_e32 v10, v10, v14, vcc
	v_cndmask_b32_e32 v11, v11, v12, vcc
	v_lshlrev_b32_e32 v12, 24, v17
	v_mov_b32_e32 v14, 0x3b800000
	v_lshlrev_b32_e32 v10, 20, v10
	v_and_b32_e32 v12, 0x80000000, v12
	v_lshl_add_u32 v11, v11, 23, v14
	v_or3_b32 v10, v12, v11, v10
.LBB5_1636:
	s_or_b64 exec, exec, s[6:7]
	s_movk_i32 s4, 0x7f
	v_cmp_gt_i16_sdwa s[6:7], v13, s4 src0_sel:BYTE_0 src1_sel:DWORD
	s_mov_b64 s[4:5], 0
                                        ; implicit-def: $sgpr10
	s_and_saveexec_b64 s[8:9], s[6:7]
	s_xor_b64 s[6:7], exec, s[8:9]
	s_cbranch_execnz .LBB5_3685
; %bb.1637:
	s_or_saveexec_b64 s[6:7], s[6:7]
	v_mov_b32_e32 v11, s10
	s_xor_b64 exec, exec, s[6:7]
	s_cbranch_execnz .LBB5_3688
.LBB5_1638:
	s_or_b64 exec, exec, s[6:7]
	s_and_saveexec_b64 s[6:7], s[4:5]
	s_cbranch_execz .LBB5_1640
.LBB5_1639:
	v_and_b32_e32 v11, 7, v13
	v_ffbh_u32_e32 v14, v11
	v_min_u32_e32 v14, 32, v14
	v_lshrrev_b16_e32 v12, 3, v13
	v_subrev_u32_e32 v15, 28, v14
	v_and_b32_e32 v12, 15, v12
	v_lshlrev_b32_e32 v15, v15, v13
	v_sub_u32_e32 v14, 29, v14
	v_and_b32_e32 v15, 7, v15
	v_cmp_eq_u16_e32 vcc, 0, v12
	v_cndmask_b32_e32 v11, v11, v15, vcc
	v_cndmask_b32_e32 v12, v12, v14, vcc
	v_lshlrev_b32_e32 v14, 24, v13
	v_mov_b32_e32 v15, 0x3b800000
	v_lshlrev_b32_e32 v11, 20, v11
	v_and_b32_e32 v14, 0x80000000, v14
	v_lshl_add_u32 v12, v12, 23, v15
	v_or3_b32 v11, v14, v12, v11
.LBB5_1640:
	s_or_b64 exec, exec, s[6:7]
	s_nop 0
	v_mfma_f32_16x16x4f32 a[0:3], v10, v11, a[0:3]
	v_lshrrev_b32_e32 v11, 8, v17
	s_movk_i32 s4, 0x7f
	v_cmp_gt_i16_sdwa s[6:7], v11, s4 src0_sel:BYTE_0 src1_sel:DWORD
	s_mov_b64 s[4:5], 0
                                        ; implicit-def: $sgpr10
	s_and_saveexec_b64 s[8:9], s[6:7]
	s_xor_b64 s[6:7], exec, s[8:9]
	s_cbranch_execnz .LBB5_3689
; %bb.1641:
	s_or_saveexec_b64 s[6:7], s[6:7]
	v_mov_b32_e32 v10, s10
	s_xor_b64 exec, exec, s[6:7]
	s_cbranch_execnz .LBB5_3692
.LBB5_1642:
	s_or_b64 exec, exec, s[6:7]
	s_and_saveexec_b64 s[6:7], s[4:5]
	s_cbranch_execz .LBB5_1644
.LBB5_1643:
	v_bfe_u32 v10, v17, 8, 3
	v_ffbh_u32_e32 v14, v10
	v_min_u32_e32 v14, 32, v14
	v_lshrrev_b16_e32 v12, 3, v11
	v_subrev_u32_e32 v15, 28, v14
	v_and_b32_e32 v12, 15, v12
	v_lshlrev_b32_e32 v11, v15, v11
	v_sub_u32_e32 v14, 29, v14
	v_and_b32_e32 v11, 7, v11
	v_cmp_eq_u16_e32 vcc, 0, v12
	v_cndmask_b32_e32 v10, v10, v11, vcc
	v_cndmask_b32_e32 v11, v12, v14, vcc
	v_lshlrev_b32_e32 v12, 16, v17
	v_mov_b32_e32 v14, 0x3b800000
	v_lshlrev_b32_e32 v10, 20, v10
	v_and_b32_e32 v12, 0x80000000, v12
	v_lshl_add_u32 v11, v11, 23, v14
	v_or3_b32 v10, v12, v11, v10
.LBB5_1644:
	s_or_b64 exec, exec, s[6:7]
	v_lshrrev_b32_e32 v11, 8, v13
	s_movk_i32 s4, 0x7f
	v_cmp_gt_i16_sdwa s[6:7], v11, s4 src0_sel:BYTE_0 src1_sel:DWORD
	s_mov_b64 s[4:5], 0
                                        ; implicit-def: $sgpr10
	s_and_saveexec_b64 s[8:9], s[6:7]
	s_xor_b64 s[6:7], exec, s[8:9]
	s_cbranch_execnz .LBB5_3693
; %bb.1645:
	s_or_saveexec_b64 s[6:7], s[6:7]
	v_mov_b32_e32 v12, s10
	s_xor_b64 exec, exec, s[6:7]
	s_cbranch_execnz .LBB5_3696
.LBB5_1646:
	s_or_b64 exec, exec, s[6:7]
	s_and_saveexec_b64 s[6:7], s[4:5]
	s_cbranch_execz .LBB5_1648
.LBB5_1647:
	v_bfe_u32 v12, v13, 8, 3
	v_ffbh_u32_e32 v15, v12
	v_min_u32_e32 v15, 32, v15
	v_lshrrev_b16_e32 v14, 3, v11
	v_subrev_u32_e32 v16, 28, v15
	v_and_b32_e32 v14, 15, v14
	v_lshlrev_b32_e32 v11, v16, v11
	v_sub_u32_e32 v15, 29, v15
	v_and_b32_e32 v11, 7, v11
	v_cmp_eq_u16_e32 vcc, 0, v14
	v_cndmask_b32_e32 v11, v12, v11, vcc
	v_cndmask_b32_e32 v12, v14, v15, vcc
	v_lshlrev_b32_e32 v14, 16, v13
	v_mov_b32_e32 v15, 0x3b800000
	v_lshlrev_b32_e32 v11, 20, v11
	v_and_b32_e32 v14, 0x80000000, v14
	v_lshl_add_u32 v12, v12, 23, v15
	v_or3_b32 v12, v14, v12, v11
.LBB5_1648:
	s_or_b64 exec, exec, s[6:7]
	s_nop 0
	v_mfma_f32_16x16x4f32 a[0:3], v10, v12, a[0:3]
	s_movk_i32 s4, 0xff
	v_and_b32_sdwa v11, v17, s4 dst_sel:DWORD dst_unused:UNUSED_PAD src0_sel:WORD_1 src1_sel:DWORD
	s_movk_i32 s4, 0x7f
	v_cmp_lt_i16_e32 vcc, s4, v11
	s_mov_b64 s[4:5], 0
                                        ; implicit-def: $sgpr10
	s_and_saveexec_b64 s[6:7], vcc
	s_xor_b64 s[6:7], exec, s[6:7]
	s_cbranch_execnz .LBB5_3697
; %bb.1649:
	s_or_saveexec_b64 s[6:7], s[6:7]
	v_mov_b32_e32 v10, s10
	s_xor_b64 exec, exec, s[6:7]
	s_cbranch_execnz .LBB5_3700
.LBB5_1650:
	s_or_b64 exec, exec, s[6:7]
	s_and_saveexec_b64 s[6:7], s[4:5]
	s_cbranch_execz .LBB5_1652
.LBB5_1651:
	v_bfe_u32 v10, v17, 16, 3
	v_ffbh_u32_e32 v14, v10
	v_min_u32_e32 v14, 32, v14
	v_lshrrev_b32_e32 v11, 19, v17
	v_subrev_u32_e32 v15, 28, v14
	v_and_b32_e32 v11, 15, v11
	v_lshlrev_b32_sdwa v15, v15, v17 dst_sel:DWORD dst_unused:UNUSED_PAD src0_sel:DWORD src1_sel:WORD_1
	v_bfe_u32 v12, v17, 19, 4
	v_sub_u32_e32 v14, 29, v14
	v_and_b32_e32 v15, 7, v15
	v_cmp_eq_u16_e32 vcc, 0, v11
	v_cndmask_b32_e32 v10, v10, v15, vcc
	v_cndmask_b32_e32 v11, v12, v14, vcc
	v_lshlrev_b32_e32 v12, 8, v17
	v_mov_b32_e32 v14, 0x3b800000
	v_lshlrev_b32_e32 v10, 20, v10
	v_and_b32_e32 v12, 0x80000000, v12
	v_lshl_add_u32 v11, v11, 23, v14
	v_or3_b32 v10, v12, v11, v10
.LBB5_1652:
	s_or_b64 exec, exec, s[6:7]
	s_movk_i32 s4, 0xff
	v_and_b32_sdwa v11, v13, s4 dst_sel:DWORD dst_unused:UNUSED_PAD src0_sel:WORD_1 src1_sel:DWORD
	s_movk_i32 s4, 0x7f
	v_cmp_lt_i16_e32 vcc, s4, v11
	s_mov_b64 s[4:5], 0
                                        ; implicit-def: $sgpr10
	s_and_saveexec_b64 s[6:7], vcc
	s_xor_b64 s[6:7], exec, s[6:7]
	s_cbranch_execnz .LBB5_3701
; %bb.1653:
	s_or_saveexec_b64 s[6:7], s[6:7]
	v_mov_b32_e32 v12, s10
	s_xor_b64 exec, exec, s[6:7]
	s_cbranch_execnz .LBB5_3704
.LBB5_1654:
	s_or_b64 exec, exec, s[6:7]
	s_and_saveexec_b64 s[6:7], s[4:5]
	s_cbranch_execz .LBB5_1656
.LBB5_1655:
	v_bfe_u32 v11, v13, 16, 3
	v_ffbh_u32_e32 v15, v11
	v_min_u32_e32 v15, 32, v15
	v_lshrrev_b32_e32 v12, 19, v13
	v_subrev_u32_e32 v16, 28, v15
	v_and_b32_e32 v12, 15, v12
	v_lshlrev_b32_sdwa v16, v16, v13 dst_sel:DWORD dst_unused:UNUSED_PAD src0_sel:DWORD src1_sel:WORD_1
	v_bfe_u32 v14, v13, 19, 4
	v_sub_u32_e32 v15, 29, v15
	v_and_b32_e32 v16, 7, v16
	v_cmp_eq_u16_e32 vcc, 0, v12
	v_cndmask_b32_e32 v11, v11, v16, vcc
	v_cndmask_b32_e32 v12, v14, v15, vcc
	v_lshlrev_b32_e32 v14, 8, v13
	v_mov_b32_e32 v15, 0x3b800000
	v_lshlrev_b32_e32 v11, 20, v11
	v_and_b32_e32 v14, 0x80000000, v14
	v_lshl_add_u32 v12, v12, 23, v15
	v_or3_b32 v12, v14, v12, v11
.LBB5_1656:
	s_or_b64 exec, exec, s[6:7]
	s_nop 0
	v_mfma_f32_16x16x4f32 a[0:3], v10, v12, a[0:3]
	s_movk_i32 s4, 0x7f
	v_cmp_gt_i16_sdwa s[6:7], v17, s4 src0_sel:BYTE_3 src1_sel:DWORD
	s_mov_b64 s[4:5], 0
                                        ; implicit-def: $sgpr10
	s_and_saveexec_b64 s[8:9], s[6:7]
	s_xor_b64 s[6:7], exec, s[8:9]
	s_cbranch_execnz .LBB5_3705
; %bb.1657:
	s_or_saveexec_b64 s[6:7], s[6:7]
	v_mov_b32_e32 v10, s10
	s_xor_b64 exec, exec, s[6:7]
	s_cbranch_execnz .LBB5_3708
.LBB5_1658:
	s_or_b64 exec, exec, s[6:7]
	s_and_saveexec_b64 s[6:7], s[4:5]
	s_cbranch_execz .LBB5_1660
.LBB5_1659:
	v_bfe_u32 v10, v17, 24, 3
	v_ffbh_u32_e32 v15, v10
	v_min_u32_e32 v15, 32, v15
	v_lshrrev_b32_e32 v12, 27, v17
	v_subrev_u32_e32 v16, 28, v15
	v_and_b32_e32 v12, 15, v12
	v_lshlrev_b32_sdwa v16, v16, v17 dst_sel:DWORD dst_unused:UNUSED_PAD src0_sel:DWORD src1_sel:BYTE_3
	v_bfe_u32 v14, v17, 27, 4
	v_sub_u32_e32 v15, 29, v15
	v_and_b32_e32 v16, 7, v16
	v_cmp_eq_u16_e32 vcc, 0, v12
	v_cndmask_b32_e32 v10, v10, v16, vcc
	v_cndmask_b32_e32 v12, v14, v15, vcc
	v_mov_b32_e32 v14, 0x3b800000
	v_and_b32_e32 v11, 0x80000000, v17
	v_lshlrev_b32_e32 v10, 20, v10
	v_lshl_add_u32 v12, v12, 23, v14
	v_or3_b32 v10, v11, v12, v10
.LBB5_1660:
	s_or_b64 exec, exec, s[6:7]
	s_movk_i32 s4, 0x7f
	v_cmp_gt_i16_sdwa s[6:7], v13, s4 src0_sel:BYTE_3 src1_sel:DWORD
	s_mov_b64 s[4:5], 0
                                        ; implicit-def: $sgpr10
	s_and_saveexec_b64 s[8:9], s[6:7]
	s_xor_b64 s[6:7], exec, s[8:9]
	s_cbranch_execnz .LBB5_3709
; %bb.1661:
	s_or_saveexec_b64 s[6:7], s[6:7]
	v_mov_b32_e32 v11, s10
	s_xor_b64 exec, exec, s[6:7]
	s_cbranch_execnz .LBB5_3712
.LBB5_1662:
	s_or_b64 exec, exec, s[6:7]
	s_and_saveexec_b64 s[6:7], s[4:5]
	s_cbranch_execz .LBB5_1664
.LBB5_1663:
	v_bfe_u32 v11, v13, 24, 3
	v_ffbh_u32_e32 v16, v11
	v_min_u32_e32 v16, 32, v16
	v_lshrrev_b32_e32 v14, 27, v13
	v_subrev_u32_e32 v17, 28, v16
	v_and_b32_e32 v12, 0x80000000, v13
	v_and_b32_e32 v14, 15, v14
	v_bfe_u32 v15, v13, 27, 4
	v_lshlrev_b32_sdwa v13, v17, v13 dst_sel:DWORD dst_unused:UNUSED_PAD src0_sel:DWORD src1_sel:BYTE_3
	v_sub_u32_e32 v16, 29, v16
	v_and_b32_e32 v13, 7, v13
	v_cmp_eq_u16_e32 vcc, 0, v14
	v_cndmask_b32_e32 v11, v11, v13, vcc
	v_cndmask_b32_e32 v13, v15, v16, vcc
	v_mov_b32_e32 v14, 0x3b800000
	v_lshlrev_b32_e32 v11, 20, v11
	v_lshl_add_u32 v13, v13, 23, v14
	v_or3_b32 v11, v12, v13, v11
.LBB5_1664:
	s_or_b64 exec, exec, s[6:7]
	s_nop 0
	v_mfma_f32_16x16x4f32 a[0:3], v10, v11, a[0:3]
	s_movk_i32 s4, 0x7f
	v_cmp_gt_i16_sdwa s[6:7], v6, s4 src0_sel:BYTE_0 src1_sel:DWORD
	s_mov_b64 s[4:5], 0
                                        ; implicit-def: $sgpr10
	s_and_saveexec_b64 s[8:9], s[6:7]
	s_xor_b64 s[6:7], exec, s[8:9]
	s_cbranch_execnz .LBB5_3713
; %bb.1665:
	s_or_saveexec_b64 s[6:7], s[6:7]
	v_mov_b32_e32 v10, s10
	s_xor_b64 exec, exec, s[6:7]
	s_cbranch_execnz .LBB5_3716
.LBB5_1666:
	s_or_b64 exec, exec, s[6:7]
	s_and_saveexec_b64 s[6:7], s[4:5]
	s_cbranch_execz .LBB5_1668
.LBB5_1667:
	v_and_b32_e32 v10, 7, v6
	v_ffbh_u32_e32 v12, v10
	v_min_u32_e32 v12, 32, v12
	v_lshrrev_b16_e32 v11, 3, v6
	v_subrev_u32_e32 v13, 28, v12
	v_and_b32_e32 v11, 15, v11
	v_lshlrev_b32_e32 v13, v13, v6
	v_sub_u32_e32 v12, 29, v12
	v_and_b32_e32 v13, 7, v13
	v_cmp_eq_u16_e32 vcc, 0, v11
	v_cndmask_b32_e32 v10, v10, v13, vcc
	v_cndmask_b32_e32 v11, v11, v12, vcc
	v_lshlrev_b32_e32 v12, 24, v6
	v_mov_b32_e32 v13, 0x3b800000
	v_lshlrev_b32_e32 v10, 20, v10
	v_and_b32_e32 v12, 0x80000000, v12
	v_lshl_add_u32 v11, v11, 23, v13
	v_or3_b32 v10, v12, v11, v10
.LBB5_1668:
	s_or_b64 exec, exec, s[6:7]
	s_movk_i32 s4, 0x7f
	v_cmp_gt_i16_sdwa s[6:7], v2, s4 src0_sel:BYTE_0 src1_sel:DWORD
	s_mov_b64 s[4:5], 0
                                        ; implicit-def: $sgpr10
	s_and_saveexec_b64 s[8:9], s[6:7]
	s_xor_b64 s[6:7], exec, s[8:9]
	s_cbranch_execnz .LBB5_3717
; %bb.1669:
	s_or_saveexec_b64 s[6:7], s[6:7]
	v_mov_b32_e32 v11, s10
	s_xor_b64 exec, exec, s[6:7]
	s_cbranch_execnz .LBB5_3720
.LBB5_1670:
	s_or_b64 exec, exec, s[6:7]
	s_and_saveexec_b64 s[6:7], s[4:5]
	s_cbranch_execz .LBB5_1672
.LBB5_1671:
	v_and_b32_e32 v11, 7, v2
	v_ffbh_u32_e32 v13, v11
	v_min_u32_e32 v13, 32, v13
	v_lshrrev_b16_e32 v12, 3, v2
	v_subrev_u32_e32 v14, 28, v13
	v_and_b32_e32 v12, 15, v12
	v_lshlrev_b32_e32 v14, v14, v2
	v_sub_u32_e32 v13, 29, v13
	v_and_b32_e32 v14, 7, v14
	v_cmp_eq_u16_e32 vcc, 0, v12
	v_cndmask_b32_e32 v11, v11, v14, vcc
	v_cndmask_b32_e32 v12, v12, v13, vcc
	v_lshlrev_b32_e32 v13, 24, v2
	v_mov_b32_e32 v14, 0x3b800000
	v_lshlrev_b32_e32 v11, 20, v11
	v_and_b32_e32 v13, 0x80000000, v13
	v_lshl_add_u32 v12, v12, 23, v14
	v_or3_b32 v11, v13, v12, v11
.LBB5_1672:
	s_or_b64 exec, exec, s[6:7]
	s_nop 0
	v_mfma_f32_16x16x4f32 a[0:3], v10, v11, a[0:3]
	v_lshrrev_b32_e32 v11, 8, v6
	s_movk_i32 s4, 0x7f
	v_cmp_gt_i16_sdwa s[6:7], v11, s4 src0_sel:BYTE_0 src1_sel:DWORD
	s_mov_b64 s[4:5], 0
                                        ; implicit-def: $sgpr10
	s_and_saveexec_b64 s[8:9], s[6:7]
	s_xor_b64 s[6:7], exec, s[8:9]
	s_cbranch_execnz .LBB5_3721
; %bb.1673:
	s_or_saveexec_b64 s[6:7], s[6:7]
	v_mov_b32_e32 v10, s10
	s_xor_b64 exec, exec, s[6:7]
	s_cbranch_execnz .LBB5_3724
.LBB5_1674:
	s_or_b64 exec, exec, s[6:7]
	s_and_saveexec_b64 s[6:7], s[4:5]
	s_cbranch_execz .LBB5_1676
.LBB5_1675:
	v_bfe_u32 v10, v6, 8, 3
	v_ffbh_u32_e32 v13, v10
	v_min_u32_e32 v13, 32, v13
	v_lshrrev_b16_e32 v12, 3, v11
	v_subrev_u32_e32 v14, 28, v13
	v_and_b32_e32 v12, 15, v12
	v_lshlrev_b32_e32 v11, v14, v11
	v_sub_u32_e32 v13, 29, v13
	v_and_b32_e32 v11, 7, v11
	v_cmp_eq_u16_e32 vcc, 0, v12
	v_cndmask_b32_e32 v10, v10, v11, vcc
	v_cndmask_b32_e32 v11, v12, v13, vcc
	v_lshlrev_b32_e32 v12, 16, v6
	v_mov_b32_e32 v13, 0x3b800000
	v_lshlrev_b32_e32 v10, 20, v10
	v_and_b32_e32 v12, 0x80000000, v12
	v_lshl_add_u32 v11, v11, 23, v13
	v_or3_b32 v10, v12, v11, v10
.LBB5_1676:
	s_or_b64 exec, exec, s[6:7]
	v_lshrrev_b32_e32 v11, 8, v2
	s_movk_i32 s4, 0x7f
	v_cmp_gt_i16_sdwa s[6:7], v11, s4 src0_sel:BYTE_0 src1_sel:DWORD
	s_mov_b64 s[4:5], 0
                                        ; implicit-def: $sgpr10
	s_and_saveexec_b64 s[8:9], s[6:7]
	s_xor_b64 s[6:7], exec, s[8:9]
	s_cbranch_execnz .LBB5_3725
; %bb.1677:
	s_or_saveexec_b64 s[6:7], s[6:7]
	v_mov_b32_e32 v12, s10
	s_xor_b64 exec, exec, s[6:7]
	s_cbranch_execnz .LBB5_3728
.LBB5_1678:
	s_or_b64 exec, exec, s[6:7]
	s_and_saveexec_b64 s[6:7], s[4:5]
	s_cbranch_execz .LBB5_1680
.LBB5_1679:
	v_bfe_u32 v12, v2, 8, 3
	v_ffbh_u32_e32 v14, v12
	v_min_u32_e32 v14, 32, v14
	v_lshrrev_b16_e32 v13, 3, v11
	v_subrev_u32_e32 v15, 28, v14
	v_and_b32_e32 v13, 15, v13
	v_lshlrev_b32_e32 v11, v15, v11
	v_sub_u32_e32 v14, 29, v14
	v_and_b32_e32 v11, 7, v11
	v_cmp_eq_u16_e32 vcc, 0, v13
	v_cndmask_b32_e32 v11, v12, v11, vcc
	v_cndmask_b32_e32 v12, v13, v14, vcc
	v_lshlrev_b32_e32 v13, 16, v2
	v_mov_b32_e32 v14, 0x3b800000
	v_lshlrev_b32_e32 v11, 20, v11
	v_and_b32_e32 v13, 0x80000000, v13
	v_lshl_add_u32 v12, v12, 23, v14
	v_or3_b32 v12, v13, v12, v11
.LBB5_1680:
	s_or_b64 exec, exec, s[6:7]
	s_nop 0
	v_mfma_f32_16x16x4f32 a[0:3], v10, v12, a[0:3]
	s_movk_i32 s4, 0xff
	v_and_b32_sdwa v11, v6, s4 dst_sel:DWORD dst_unused:UNUSED_PAD src0_sel:WORD_1 src1_sel:DWORD
	s_movk_i32 s4, 0x7f
	v_cmp_lt_i16_e32 vcc, s4, v11
	s_mov_b64 s[4:5], 0
                                        ; implicit-def: $sgpr10
	s_and_saveexec_b64 s[6:7], vcc
	s_xor_b64 s[6:7], exec, s[6:7]
	s_cbranch_execnz .LBB5_3729
; %bb.1681:
	s_or_saveexec_b64 s[6:7], s[6:7]
	v_mov_b32_e32 v10, s10
	s_xor_b64 exec, exec, s[6:7]
	s_cbranch_execnz .LBB5_3732
.LBB5_1682:
	s_or_b64 exec, exec, s[6:7]
	s_and_saveexec_b64 s[6:7], s[4:5]
	s_cbranch_execz .LBB5_1684
.LBB5_1683:
	v_bfe_u32 v10, v6, 16, 3
	v_ffbh_u32_e32 v13, v10
	v_min_u32_e32 v13, 32, v13
	v_lshrrev_b32_e32 v11, 19, v6
	v_subrev_u32_e32 v14, 28, v13
	v_and_b32_e32 v11, 15, v11
	v_lshlrev_b32_sdwa v14, v14, v6 dst_sel:DWORD dst_unused:UNUSED_PAD src0_sel:DWORD src1_sel:WORD_1
	v_bfe_u32 v12, v6, 19, 4
	v_sub_u32_e32 v13, 29, v13
	v_and_b32_e32 v14, 7, v14
	v_cmp_eq_u16_e32 vcc, 0, v11
	v_cndmask_b32_e32 v10, v10, v14, vcc
	v_cndmask_b32_e32 v11, v12, v13, vcc
	v_lshlrev_b32_e32 v12, 8, v6
	v_mov_b32_e32 v13, 0x3b800000
	v_lshlrev_b32_e32 v10, 20, v10
	v_and_b32_e32 v12, 0x80000000, v12
	v_lshl_add_u32 v11, v11, 23, v13
	v_or3_b32 v10, v12, v11, v10
.LBB5_1684:
	s_or_b64 exec, exec, s[6:7]
	s_movk_i32 s4, 0xff
	v_and_b32_sdwa v11, v2, s4 dst_sel:DWORD dst_unused:UNUSED_PAD src0_sel:WORD_1 src1_sel:DWORD
	s_movk_i32 s4, 0x7f
	v_cmp_lt_i16_e32 vcc, s4, v11
	s_mov_b64 s[4:5], 0
                                        ; implicit-def: $sgpr10
	s_and_saveexec_b64 s[6:7], vcc
	s_xor_b64 s[6:7], exec, s[6:7]
	s_cbranch_execnz .LBB5_3733
; %bb.1685:
	s_or_saveexec_b64 s[6:7], s[6:7]
	v_mov_b32_e32 v12, s10
	s_xor_b64 exec, exec, s[6:7]
	s_cbranch_execnz .LBB5_3736
.LBB5_1686:
	s_or_b64 exec, exec, s[6:7]
	s_and_saveexec_b64 s[6:7], s[4:5]
	s_cbranch_execz .LBB5_1688
.LBB5_1687:
	v_bfe_u32 v11, v2, 16, 3
	v_ffbh_u32_e32 v14, v11
	v_min_u32_e32 v14, 32, v14
	v_lshrrev_b32_e32 v12, 19, v2
	v_subrev_u32_e32 v15, 28, v14
	v_and_b32_e32 v12, 15, v12
	v_lshlrev_b32_sdwa v15, v15, v2 dst_sel:DWORD dst_unused:UNUSED_PAD src0_sel:DWORD src1_sel:WORD_1
	v_bfe_u32 v13, v2, 19, 4
	v_sub_u32_e32 v14, 29, v14
	v_and_b32_e32 v15, 7, v15
	v_cmp_eq_u16_e32 vcc, 0, v12
	v_cndmask_b32_e32 v11, v11, v15, vcc
	v_cndmask_b32_e32 v12, v13, v14, vcc
	v_lshlrev_b32_e32 v13, 8, v2
	v_mov_b32_e32 v14, 0x3b800000
	v_lshlrev_b32_e32 v11, 20, v11
	v_and_b32_e32 v13, 0x80000000, v13
	v_lshl_add_u32 v12, v12, 23, v14
	v_or3_b32 v12, v13, v12, v11
.LBB5_1688:
	s_or_b64 exec, exec, s[6:7]
	s_nop 0
	v_mfma_f32_16x16x4f32 a[0:3], v10, v12, a[0:3]
	s_movk_i32 s4, 0x7f
	v_cmp_gt_i16_sdwa s[6:7], v6, s4 src0_sel:BYTE_3 src1_sel:DWORD
	s_mov_b64 s[4:5], 0
                                        ; implicit-def: $sgpr10
	s_and_saveexec_b64 s[8:9], s[6:7]
	s_xor_b64 s[6:7], exec, s[8:9]
	s_cbranch_execnz .LBB5_3737
; %bb.1689:
	s_or_saveexec_b64 s[6:7], s[6:7]
	v_mov_b32_e32 v10, s10
	s_xor_b64 exec, exec, s[6:7]
	s_cbranch_execnz .LBB5_3740
.LBB5_1690:
	s_or_b64 exec, exec, s[6:7]
	s_and_saveexec_b64 s[6:7], s[4:5]
	s_cbranch_execz .LBB5_1692
.LBB5_1691:
	v_bfe_u32 v10, v6, 24, 3
	v_ffbh_u32_e32 v14, v10
	v_min_u32_e32 v14, 32, v14
	v_lshrrev_b32_e32 v12, 27, v6
	v_subrev_u32_e32 v15, 28, v14
	v_and_b32_e32 v11, 0x80000000, v6
	v_and_b32_e32 v12, 15, v12
	v_bfe_u32 v13, v6, 27, 4
	v_lshlrev_b32_sdwa v6, v15, v6 dst_sel:DWORD dst_unused:UNUSED_PAD src0_sel:DWORD src1_sel:BYTE_3
	v_sub_u32_e32 v14, 29, v14
	v_and_b32_e32 v6, 7, v6
	v_cmp_eq_u16_e32 vcc, 0, v12
	v_cndmask_b32_e32 v6, v10, v6, vcc
	v_cndmask_b32_e32 v10, v13, v14, vcc
	v_mov_b32_e32 v12, 0x3b800000
	v_lshlrev_b32_e32 v6, 20, v6
	v_lshl_add_u32 v10, v10, 23, v12
	v_or3_b32 v10, v11, v10, v6
.LBB5_1692:
	s_or_b64 exec, exec, s[6:7]
	s_movk_i32 s4, 0x7f
	v_cmp_gt_i16_sdwa s[6:7], v2, s4 src0_sel:BYTE_3 src1_sel:DWORD
	s_mov_b64 s[4:5], 0
                                        ; implicit-def: $sgpr10
	s_and_saveexec_b64 s[8:9], s[6:7]
	s_xor_b64 s[6:7], exec, s[8:9]
	s_cbranch_execnz .LBB5_3741
; %bb.1693:
	s_or_saveexec_b64 s[6:7], s[6:7]
	v_mov_b32_e32 v6, s10
	s_xor_b64 exec, exec, s[6:7]
	s_cbranch_execnz .LBB5_3744
.LBB5_1694:
	s_or_b64 exec, exec, s[6:7]
	s_and_saveexec_b64 s[6:7], s[4:5]
	s_cbranch_execz .LBB5_1696
.LBB5_1695:
	v_bfe_u32 v6, v2, 24, 3
	v_ffbh_u32_e32 v14, v6
	v_min_u32_e32 v14, 32, v14
	v_lshrrev_b32_e32 v12, 27, v2
	v_subrev_u32_e32 v15, 28, v14
	v_and_b32_e32 v11, 0x80000000, v2
	v_and_b32_e32 v12, 15, v12
	v_bfe_u32 v13, v2, 27, 4
	v_lshlrev_b32_sdwa v2, v15, v2 dst_sel:DWORD dst_unused:UNUSED_PAD src0_sel:DWORD src1_sel:BYTE_3
	v_sub_u32_e32 v14, 29, v14
	v_and_b32_e32 v2, 7, v2
	v_cmp_eq_u16_e32 vcc, 0, v12
	v_cndmask_b32_e32 v2, v6, v2, vcc
	v_cndmask_b32_e32 v6, v13, v14, vcc
	v_mov_b32_e32 v12, 0x3b800000
	v_lshlrev_b32_e32 v2, 20, v2
	v_lshl_add_u32 v6, v6, 23, v12
	v_or3_b32 v6, v11, v6, v2
.LBB5_1696:
	s_or_b64 exec, exec, s[6:7]
	s_nop 0
	v_mfma_f32_16x16x4f32 a[0:3], v10, v6, a[0:3]
	s_movk_i32 s4, 0x7f
	v_cmp_gt_i16_sdwa s[6:7], v7, s4 src0_sel:BYTE_0 src1_sel:DWORD
	s_mov_b64 s[4:5], 0
                                        ; implicit-def: $sgpr10
	s_and_saveexec_b64 s[8:9], s[6:7]
	s_xor_b64 s[6:7], exec, s[8:9]
	s_cbranch_execnz .LBB5_3745
; %bb.1697:
	s_or_saveexec_b64 s[6:7], s[6:7]
	v_mov_b32_e32 v2, s10
	s_xor_b64 exec, exec, s[6:7]
	s_cbranch_execnz .LBB5_3748
.LBB5_1698:
	s_or_b64 exec, exec, s[6:7]
	s_and_saveexec_b64 s[6:7], s[4:5]
	s_cbranch_execz .LBB5_1700
.LBB5_1699:
	v_and_b32_e32 v2, 7, v7
	v_ffbh_u32_e32 v10, v2
	v_min_u32_e32 v10, 32, v10
	v_lshrrev_b16_e32 v6, 3, v7
	v_subrev_u32_e32 v11, 28, v10
	v_and_b32_e32 v6, 15, v6
	v_lshlrev_b32_e32 v11, v11, v7
	v_sub_u32_e32 v10, 29, v10
	v_and_b32_e32 v11, 7, v11
	v_cmp_eq_u16_e32 vcc, 0, v6
	v_cndmask_b32_e32 v2, v2, v11, vcc
	v_cndmask_b32_e32 v6, v6, v10, vcc
	v_lshlrev_b32_e32 v10, 24, v7
	v_mov_b32_e32 v11, 0x3b800000
	v_lshlrev_b32_e32 v2, 20, v2
	v_and_b32_e32 v10, 0x80000000, v10
	v_lshl_add_u32 v6, v6, 23, v11
	v_or3_b32 v2, v10, v6, v2
.LBB5_1700:
	s_or_b64 exec, exec, s[6:7]
	s_movk_i32 s4, 0x7f
	v_cmp_gt_i16_sdwa s[6:7], v3, s4 src0_sel:BYTE_0 src1_sel:DWORD
	s_mov_b64 s[4:5], 0
                                        ; implicit-def: $sgpr10
	s_and_saveexec_b64 s[8:9], s[6:7]
	s_xor_b64 s[6:7], exec, s[8:9]
	s_cbranch_execnz .LBB5_3749
; %bb.1701:
	s_or_saveexec_b64 s[6:7], s[6:7]
	v_mov_b32_e32 v6, s10
	s_xor_b64 exec, exec, s[6:7]
	s_cbranch_execnz .LBB5_3752
.LBB5_1702:
	s_or_b64 exec, exec, s[6:7]
	s_and_saveexec_b64 s[6:7], s[4:5]
	s_cbranch_execz .LBB5_1704
.LBB5_1703:
	v_and_b32_e32 v6, 7, v3
	v_ffbh_u32_e32 v11, v6
	v_min_u32_e32 v11, 32, v11
	v_lshrrev_b16_e32 v10, 3, v3
	v_subrev_u32_e32 v12, 28, v11
	v_and_b32_e32 v10, 15, v10
	v_lshlrev_b32_e32 v12, v12, v3
	v_sub_u32_e32 v11, 29, v11
	v_and_b32_e32 v12, 7, v12
	v_cmp_eq_u16_e32 vcc, 0, v10
	v_cndmask_b32_e32 v6, v6, v12, vcc
	v_cndmask_b32_e32 v10, v10, v11, vcc
	v_lshlrev_b32_e32 v11, 24, v3
	v_mov_b32_e32 v12, 0x3b800000
	v_lshlrev_b32_e32 v6, 20, v6
	v_and_b32_e32 v11, 0x80000000, v11
	v_lshl_add_u32 v10, v10, 23, v12
	v_or3_b32 v6, v11, v10, v6
.LBB5_1704:
	s_or_b64 exec, exec, s[6:7]
	s_nop 0
	v_mfma_f32_16x16x4f32 a[0:3], v2, v6, a[0:3]
	v_lshrrev_b32_e32 v6, 8, v7
	s_movk_i32 s4, 0x7f
	v_cmp_gt_i16_sdwa s[6:7], v6, s4 src0_sel:BYTE_0 src1_sel:DWORD
	s_mov_b64 s[4:5], 0
                                        ; implicit-def: $sgpr10
	s_and_saveexec_b64 s[8:9], s[6:7]
	s_xor_b64 s[6:7], exec, s[8:9]
	s_cbranch_execnz .LBB5_3753
; %bb.1705:
	s_or_saveexec_b64 s[6:7], s[6:7]
	v_mov_b32_e32 v2, s10
	s_xor_b64 exec, exec, s[6:7]
	s_cbranch_execnz .LBB5_3756
.LBB5_1706:
	s_or_b64 exec, exec, s[6:7]
	s_and_saveexec_b64 s[6:7], s[4:5]
	s_cbranch_execz .LBB5_1708
.LBB5_1707:
	v_bfe_u32 v2, v7, 8, 3
	v_ffbh_u32_e32 v11, v2
	v_min_u32_e32 v11, 32, v11
	v_lshrrev_b16_e32 v10, 3, v6
	v_subrev_u32_e32 v12, 28, v11
	v_and_b32_e32 v10, 15, v10
	v_lshlrev_b32_e32 v6, v12, v6
	v_sub_u32_e32 v11, 29, v11
	v_and_b32_e32 v6, 7, v6
	v_cmp_eq_u16_e32 vcc, 0, v10
	v_cndmask_b32_e32 v2, v2, v6, vcc
	v_cndmask_b32_e32 v6, v10, v11, vcc
	v_lshlrev_b32_e32 v10, 16, v7
	v_mov_b32_e32 v11, 0x3b800000
	v_lshlrev_b32_e32 v2, 20, v2
	v_and_b32_e32 v10, 0x80000000, v10
	v_lshl_add_u32 v6, v6, 23, v11
	v_or3_b32 v2, v10, v6, v2
.LBB5_1708:
	s_or_b64 exec, exec, s[6:7]
	v_lshrrev_b32_e32 v6, 8, v3
	s_movk_i32 s4, 0x7f
	v_cmp_gt_i16_sdwa s[6:7], v6, s4 src0_sel:BYTE_0 src1_sel:DWORD
	s_mov_b64 s[4:5], 0
                                        ; implicit-def: $sgpr10
	s_and_saveexec_b64 s[8:9], s[6:7]
	s_xor_b64 s[6:7], exec, s[8:9]
	s_cbranch_execnz .LBB5_3757
; %bb.1709:
	s_or_saveexec_b64 s[6:7], s[6:7]
	v_mov_b32_e32 v10, s10
	s_xor_b64 exec, exec, s[6:7]
	s_cbranch_execnz .LBB5_3760
.LBB5_1710:
	s_or_b64 exec, exec, s[6:7]
	s_and_saveexec_b64 s[6:7], s[4:5]
	s_cbranch_execz .LBB5_1712
.LBB5_1711:
	v_bfe_u32 v10, v3, 8, 3
	v_ffbh_u32_e32 v12, v10
	v_min_u32_e32 v12, 32, v12
	v_lshrrev_b16_e32 v11, 3, v6
	v_subrev_u32_e32 v13, 28, v12
	v_and_b32_e32 v11, 15, v11
	v_lshlrev_b32_e32 v6, v13, v6
	v_sub_u32_e32 v12, 29, v12
	v_and_b32_e32 v6, 7, v6
	v_cmp_eq_u16_e32 vcc, 0, v11
	v_cndmask_b32_e32 v6, v10, v6, vcc
	v_cndmask_b32_e32 v10, v11, v12, vcc
	v_lshlrev_b32_e32 v11, 16, v3
	v_mov_b32_e32 v12, 0x3b800000
	v_lshlrev_b32_e32 v6, 20, v6
	v_and_b32_e32 v11, 0x80000000, v11
	v_lshl_add_u32 v10, v10, 23, v12
	v_or3_b32 v10, v11, v10, v6
.LBB5_1712:
	s_or_b64 exec, exec, s[6:7]
	s_nop 0
	v_mfma_f32_16x16x4f32 a[0:3], v2, v10, a[0:3]
	s_movk_i32 s4, 0xff
	v_and_b32_sdwa v6, v7, s4 dst_sel:DWORD dst_unused:UNUSED_PAD src0_sel:WORD_1 src1_sel:DWORD
	s_movk_i32 s4, 0x7f
	v_cmp_lt_i16_e32 vcc, s4, v6
	s_mov_b64 s[4:5], 0
                                        ; implicit-def: $sgpr10
	s_and_saveexec_b64 s[6:7], vcc
	s_xor_b64 s[6:7], exec, s[6:7]
	s_cbranch_execnz .LBB5_3761
; %bb.1713:
	s_or_saveexec_b64 s[6:7], s[6:7]
	v_mov_b32_e32 v2, s10
	s_xor_b64 exec, exec, s[6:7]
	s_cbranch_execnz .LBB5_3764
.LBB5_1714:
	s_or_b64 exec, exec, s[6:7]
	s_and_saveexec_b64 s[6:7], s[4:5]
	s_cbranch_execz .LBB5_1716
.LBB5_1715:
	v_bfe_u32 v2, v7, 16, 3
	v_ffbh_u32_e32 v11, v2
	v_min_u32_e32 v11, 32, v11
	v_lshrrev_b32_e32 v6, 19, v7
	v_subrev_u32_e32 v12, 28, v11
	v_and_b32_e32 v6, 15, v6
	v_lshlrev_b32_sdwa v12, v12, v7 dst_sel:DWORD dst_unused:UNUSED_PAD src0_sel:DWORD src1_sel:WORD_1
	v_bfe_u32 v10, v7, 19, 4
	v_sub_u32_e32 v11, 29, v11
	v_and_b32_e32 v12, 7, v12
	v_cmp_eq_u16_e32 vcc, 0, v6
	v_cndmask_b32_e32 v2, v2, v12, vcc
	v_cndmask_b32_e32 v6, v10, v11, vcc
	v_lshlrev_b32_e32 v10, 8, v7
	v_mov_b32_e32 v11, 0x3b800000
	v_lshlrev_b32_e32 v2, 20, v2
	v_and_b32_e32 v10, 0x80000000, v10
	v_lshl_add_u32 v6, v6, 23, v11
	v_or3_b32 v2, v10, v6, v2
.LBB5_1716:
	s_or_b64 exec, exec, s[6:7]
	s_movk_i32 s4, 0xff
	v_and_b32_sdwa v6, v3, s4 dst_sel:DWORD dst_unused:UNUSED_PAD src0_sel:WORD_1 src1_sel:DWORD
	s_movk_i32 s4, 0x7f
	v_cmp_lt_i16_e32 vcc, s4, v6
	s_mov_b64 s[4:5], 0
                                        ; implicit-def: $sgpr10
	s_and_saveexec_b64 s[6:7], vcc
	s_xor_b64 s[6:7], exec, s[6:7]
	s_cbranch_execnz .LBB5_3765
; %bb.1717:
	s_or_saveexec_b64 s[6:7], s[6:7]
	v_mov_b32_e32 v10, s10
	s_xor_b64 exec, exec, s[6:7]
	s_cbranch_execnz .LBB5_3768
.LBB5_1718:
	s_or_b64 exec, exec, s[6:7]
	s_and_saveexec_b64 s[6:7], s[4:5]
	s_cbranch_execz .LBB5_1720
.LBB5_1719:
	v_bfe_u32 v6, v3, 16, 3
	v_ffbh_u32_e32 v12, v6
	v_min_u32_e32 v12, 32, v12
	v_lshrrev_b32_e32 v10, 19, v3
	v_subrev_u32_e32 v13, 28, v12
	v_and_b32_e32 v10, 15, v10
	v_lshlrev_b32_sdwa v13, v13, v3 dst_sel:DWORD dst_unused:UNUSED_PAD src0_sel:DWORD src1_sel:WORD_1
	v_bfe_u32 v11, v3, 19, 4
	v_sub_u32_e32 v12, 29, v12
	v_and_b32_e32 v13, 7, v13
	v_cmp_eq_u16_e32 vcc, 0, v10
	v_cndmask_b32_e32 v6, v6, v13, vcc
	v_cndmask_b32_e32 v10, v11, v12, vcc
	v_lshlrev_b32_e32 v11, 8, v3
	v_mov_b32_e32 v12, 0x3b800000
	v_lshlrev_b32_e32 v6, 20, v6
	v_and_b32_e32 v11, 0x80000000, v11
	v_lshl_add_u32 v10, v10, 23, v12
	v_or3_b32 v10, v11, v10, v6
.LBB5_1720:
	s_or_b64 exec, exec, s[6:7]
	s_nop 0
	v_mfma_f32_16x16x4f32 a[0:3], v2, v10, a[0:3]
	s_movk_i32 s4, 0x7f
	v_cmp_gt_i16_sdwa s[6:7], v7, s4 src0_sel:BYTE_3 src1_sel:DWORD
	s_mov_b64 s[4:5], 0
                                        ; implicit-def: $sgpr10
	s_and_saveexec_b64 s[8:9], s[6:7]
	s_xor_b64 s[6:7], exec, s[8:9]
	s_cbranch_execnz .LBB5_3769
; %bb.1721:
	s_or_saveexec_b64 s[6:7], s[6:7]
	v_mov_b32_e32 v2, s10
	s_xor_b64 exec, exec, s[6:7]
	s_cbranch_execnz .LBB5_3772
.LBB5_1722:
	s_or_b64 exec, exec, s[6:7]
	s_and_saveexec_b64 s[6:7], s[4:5]
	s_cbranch_execz .LBB5_1724
.LBB5_1723:
	v_bfe_u32 v2, v7, 24, 3
	v_ffbh_u32_e32 v12, v2
	v_min_u32_e32 v12, 32, v12
	v_lshrrev_b32_e32 v10, 27, v7
	v_subrev_u32_e32 v13, 28, v12
	v_and_b32_e32 v6, 0x80000000, v7
	v_and_b32_e32 v10, 15, v10
	v_bfe_u32 v11, v7, 27, 4
	v_lshlrev_b32_sdwa v7, v13, v7 dst_sel:DWORD dst_unused:UNUSED_PAD src0_sel:DWORD src1_sel:BYTE_3
	v_sub_u32_e32 v12, 29, v12
	v_and_b32_e32 v7, 7, v7
	v_cmp_eq_u16_e32 vcc, 0, v10
	v_cndmask_b32_e32 v2, v2, v7, vcc
	v_cndmask_b32_e32 v7, v11, v12, vcc
	v_mov_b32_e32 v10, 0x3b800000
	v_lshlrev_b32_e32 v2, 20, v2
	v_lshl_add_u32 v7, v7, 23, v10
	v_or3_b32 v2, v6, v7, v2
.LBB5_1724:
	s_or_b64 exec, exec, s[6:7]
	s_movk_i32 s4, 0x7f
	v_cmp_gt_i16_sdwa s[6:7], v3, s4 src0_sel:BYTE_3 src1_sel:DWORD
	s_mov_b64 s[4:5], 0
                                        ; implicit-def: $sgpr10
	s_and_saveexec_b64 s[8:9], s[6:7]
	s_xor_b64 s[6:7], exec, s[8:9]
	s_cbranch_execnz .LBB5_3773
; %bb.1725:
	s_or_saveexec_b64 s[6:7], s[6:7]
	v_mov_b32_e32 v6, s10
	s_xor_b64 exec, exec, s[6:7]
	s_cbranch_execnz .LBB5_3776
.LBB5_1726:
	s_or_b64 exec, exec, s[6:7]
	s_and_saveexec_b64 s[6:7], s[4:5]
	s_cbranch_execz .LBB5_1728
.LBB5_1727:
	v_bfe_u32 v6, v3, 24, 3
	v_ffbh_u32_e32 v12, v6
	v_min_u32_e32 v12, 32, v12
	v_lshrrev_b32_e32 v10, 27, v3
	v_subrev_u32_e32 v13, 28, v12
	v_and_b32_e32 v7, 0x80000000, v3
	v_and_b32_e32 v10, 15, v10
	v_bfe_u32 v11, v3, 27, 4
	v_lshlrev_b32_sdwa v3, v13, v3 dst_sel:DWORD dst_unused:UNUSED_PAD src0_sel:DWORD src1_sel:BYTE_3
	v_sub_u32_e32 v12, 29, v12
	v_and_b32_e32 v3, 7, v3
	v_cmp_eq_u16_e32 vcc, 0, v10
	v_cndmask_b32_e32 v3, v6, v3, vcc
	v_cndmask_b32_e32 v6, v11, v12, vcc
	v_mov_b32_e32 v10, 0x3b800000
	v_lshlrev_b32_e32 v3, 20, v3
	v_lshl_add_u32 v6, v6, 23, v10
	v_or3_b32 v6, v7, v6, v3
.LBB5_1728:
	s_or_b64 exec, exec, s[6:7]
	s_nop 0
	v_mfma_f32_16x16x4f32 a[0:3], v2, v6, a[0:3]
	s_movk_i32 s4, 0x7f
	v_cmp_gt_i16_sdwa s[6:7], v8, s4 src0_sel:BYTE_0 src1_sel:DWORD
	s_mov_b64 s[4:5], 0
                                        ; implicit-def: $sgpr10
	s_and_saveexec_b64 s[8:9], s[6:7]
	s_xor_b64 s[6:7], exec, s[8:9]
	s_cbranch_execnz .LBB5_3777
; %bb.1729:
	s_or_saveexec_b64 s[6:7], s[6:7]
	v_mov_b32_e32 v2, s10
	s_xor_b64 exec, exec, s[6:7]
	s_cbranch_execnz .LBB5_3780
.LBB5_1730:
	s_or_b64 exec, exec, s[6:7]
	s_and_saveexec_b64 s[6:7], s[4:5]
	s_cbranch_execz .LBB5_1732
.LBB5_1731:
	v_and_b32_e32 v2, 7, v8
	v_ffbh_u32_e32 v6, v2
	v_min_u32_e32 v6, 32, v6
	v_lshrrev_b16_e32 v3, 3, v8
	v_subrev_u32_e32 v7, 28, v6
	v_and_b32_e32 v3, 15, v3
	v_lshlrev_b32_e32 v7, v7, v8
	v_sub_u32_e32 v6, 29, v6
	v_and_b32_e32 v7, 7, v7
	v_cmp_eq_u16_e32 vcc, 0, v3
	v_cndmask_b32_e32 v2, v2, v7, vcc
	v_cndmask_b32_e32 v3, v3, v6, vcc
	v_lshlrev_b32_e32 v6, 24, v8
	v_mov_b32_e32 v7, 0x3b800000
	v_lshlrev_b32_e32 v2, 20, v2
	v_and_b32_e32 v6, 0x80000000, v6
	v_lshl_add_u32 v3, v3, 23, v7
	v_or3_b32 v2, v6, v3, v2
.LBB5_1732:
	s_or_b64 exec, exec, s[6:7]
	s_movk_i32 s4, 0x7f
	v_cmp_gt_i16_sdwa s[6:7], v4, s4 src0_sel:BYTE_0 src1_sel:DWORD
	s_mov_b64 s[4:5], 0
                                        ; implicit-def: $sgpr10
	s_and_saveexec_b64 s[8:9], s[6:7]
	s_xor_b64 s[6:7], exec, s[8:9]
	s_cbranch_execnz .LBB5_3781
; %bb.1733:
	s_or_saveexec_b64 s[6:7], s[6:7]
	v_mov_b32_e32 v3, s10
	s_xor_b64 exec, exec, s[6:7]
	s_cbranch_execnz .LBB5_3784
.LBB5_1734:
	s_or_b64 exec, exec, s[6:7]
	s_and_saveexec_b64 s[6:7], s[4:5]
	s_cbranch_execz .LBB5_1736
.LBB5_1735:
	v_and_b32_e32 v3, 7, v4
	v_ffbh_u32_e32 v7, v3
	v_min_u32_e32 v7, 32, v7
	v_lshrrev_b16_e32 v6, 3, v4
	v_subrev_u32_e32 v10, 28, v7
	v_and_b32_e32 v6, 15, v6
	v_lshlrev_b32_e32 v10, v10, v4
	v_sub_u32_e32 v7, 29, v7
	v_and_b32_e32 v10, 7, v10
	v_cmp_eq_u16_e32 vcc, 0, v6
	v_cndmask_b32_e32 v3, v3, v10, vcc
	v_cndmask_b32_e32 v6, v6, v7, vcc
	v_lshlrev_b32_e32 v7, 24, v4
	v_mov_b32_e32 v10, 0x3b800000
	v_lshlrev_b32_e32 v3, 20, v3
	v_and_b32_e32 v7, 0x80000000, v7
	v_lshl_add_u32 v6, v6, 23, v10
	v_or3_b32 v3, v7, v6, v3
.LBB5_1736:
	s_or_b64 exec, exec, s[6:7]
	s_nop 0
	v_mfma_f32_16x16x4f32 a[0:3], v2, v3, a[0:3]
	v_lshrrev_b32_e32 v3, 8, v8
	s_movk_i32 s4, 0x7f
	v_cmp_gt_i16_sdwa s[6:7], v3, s4 src0_sel:BYTE_0 src1_sel:DWORD
	s_mov_b64 s[4:5], 0
                                        ; implicit-def: $sgpr10
	s_and_saveexec_b64 s[8:9], s[6:7]
	s_xor_b64 s[6:7], exec, s[8:9]
	s_cbranch_execnz .LBB5_3785
; %bb.1737:
	s_or_saveexec_b64 s[6:7], s[6:7]
	v_mov_b32_e32 v2, s10
	s_xor_b64 exec, exec, s[6:7]
	s_cbranch_execnz .LBB5_3788
.LBB5_1738:
	s_or_b64 exec, exec, s[6:7]
	s_and_saveexec_b64 s[6:7], s[4:5]
	s_cbranch_execz .LBB5_1740
.LBB5_1739:
	v_bfe_u32 v2, v8, 8, 3
	v_ffbh_u32_e32 v7, v2
	v_min_u32_e32 v7, 32, v7
	v_lshrrev_b16_e32 v6, 3, v3
	v_subrev_u32_e32 v10, 28, v7
	v_and_b32_e32 v6, 15, v6
	v_lshlrev_b32_e32 v3, v10, v3
	v_sub_u32_e32 v7, 29, v7
	v_and_b32_e32 v3, 7, v3
	v_cmp_eq_u16_e32 vcc, 0, v6
	v_cndmask_b32_e32 v2, v2, v3, vcc
	v_cndmask_b32_e32 v3, v6, v7, vcc
	v_lshlrev_b32_e32 v6, 16, v8
	v_mov_b32_e32 v7, 0x3b800000
	v_lshlrev_b32_e32 v2, 20, v2
	v_and_b32_e32 v6, 0x80000000, v6
	v_lshl_add_u32 v3, v3, 23, v7
	v_or3_b32 v2, v6, v3, v2
.LBB5_1740:
	s_or_b64 exec, exec, s[6:7]
	v_lshrrev_b32_e32 v3, 8, v4
	s_movk_i32 s4, 0x7f
	v_cmp_gt_i16_sdwa s[6:7], v3, s4 src0_sel:BYTE_0 src1_sel:DWORD
	s_mov_b64 s[4:5], 0
                                        ; implicit-def: $sgpr10
	s_and_saveexec_b64 s[8:9], s[6:7]
	s_xor_b64 s[6:7], exec, s[8:9]
	s_cbranch_execnz .LBB5_3789
; %bb.1741:
	s_or_saveexec_b64 s[6:7], s[6:7]
	v_mov_b32_e32 v6, s10
	s_xor_b64 exec, exec, s[6:7]
	s_cbranch_execnz .LBB5_3792
.LBB5_1742:
	s_or_b64 exec, exec, s[6:7]
	s_and_saveexec_b64 s[6:7], s[4:5]
	s_cbranch_execz .LBB5_1744
.LBB5_1743:
	v_bfe_u32 v6, v4, 8, 3
	v_ffbh_u32_e32 v10, v6
	v_min_u32_e32 v10, 32, v10
	v_lshrrev_b16_e32 v7, 3, v3
	v_subrev_u32_e32 v11, 28, v10
	v_and_b32_e32 v7, 15, v7
	v_lshlrev_b32_e32 v3, v11, v3
	v_sub_u32_e32 v10, 29, v10
	v_and_b32_e32 v3, 7, v3
	v_cmp_eq_u16_e32 vcc, 0, v7
	v_cndmask_b32_e32 v3, v6, v3, vcc
	v_cndmask_b32_e32 v6, v7, v10, vcc
	v_lshlrev_b32_e32 v7, 16, v4
	v_mov_b32_e32 v10, 0x3b800000
	v_lshlrev_b32_e32 v3, 20, v3
	v_and_b32_e32 v7, 0x80000000, v7
	v_lshl_add_u32 v6, v6, 23, v10
	v_or3_b32 v6, v7, v6, v3
.LBB5_1744:
	s_or_b64 exec, exec, s[6:7]
	s_nop 0
	v_mfma_f32_16x16x4f32 a[0:3], v2, v6, a[0:3]
	s_movk_i32 s4, 0xff
	v_and_b32_sdwa v3, v8, s4 dst_sel:DWORD dst_unused:UNUSED_PAD src0_sel:WORD_1 src1_sel:DWORD
	s_movk_i32 s4, 0x7f
	v_cmp_lt_i16_e32 vcc, s4, v3
	s_mov_b64 s[4:5], 0
                                        ; implicit-def: $sgpr10
	s_and_saveexec_b64 s[6:7], vcc
	s_xor_b64 s[6:7], exec, s[6:7]
	s_cbranch_execnz .LBB5_3793
; %bb.1745:
	s_or_saveexec_b64 s[6:7], s[6:7]
	v_mov_b32_e32 v2, s10
	s_xor_b64 exec, exec, s[6:7]
	s_cbranch_execnz .LBB5_3796
.LBB5_1746:
	s_or_b64 exec, exec, s[6:7]
	s_and_saveexec_b64 s[6:7], s[4:5]
	s_cbranch_execz .LBB5_1748
.LBB5_1747:
	v_bfe_u32 v2, v8, 16, 3
	v_ffbh_u32_e32 v7, v2
	v_min_u32_e32 v7, 32, v7
	v_lshrrev_b32_e32 v3, 19, v8
	v_subrev_u32_e32 v10, 28, v7
	v_and_b32_e32 v3, 15, v3
	v_lshlrev_b32_sdwa v10, v10, v8 dst_sel:DWORD dst_unused:UNUSED_PAD src0_sel:DWORD src1_sel:WORD_1
	v_bfe_u32 v6, v8, 19, 4
	v_sub_u32_e32 v7, 29, v7
	v_and_b32_e32 v10, 7, v10
	v_cmp_eq_u16_e32 vcc, 0, v3
	v_cndmask_b32_e32 v2, v2, v10, vcc
	v_cndmask_b32_e32 v3, v6, v7, vcc
	v_lshlrev_b32_e32 v6, 8, v8
	v_mov_b32_e32 v7, 0x3b800000
	v_lshlrev_b32_e32 v2, 20, v2
	v_and_b32_e32 v6, 0x80000000, v6
	v_lshl_add_u32 v3, v3, 23, v7
	v_or3_b32 v2, v6, v3, v2
.LBB5_1748:
	s_or_b64 exec, exec, s[6:7]
	s_movk_i32 s4, 0xff
	v_and_b32_sdwa v3, v4, s4 dst_sel:DWORD dst_unused:UNUSED_PAD src0_sel:WORD_1 src1_sel:DWORD
	s_movk_i32 s4, 0x7f
	v_cmp_lt_i16_e32 vcc, s4, v3
	s_mov_b64 s[4:5], 0
                                        ; implicit-def: $sgpr10
	s_and_saveexec_b64 s[6:7], vcc
	s_xor_b64 s[6:7], exec, s[6:7]
	s_cbranch_execnz .LBB5_3797
; %bb.1749:
	s_or_saveexec_b64 s[6:7], s[6:7]
	v_mov_b32_e32 v6, s10
	s_xor_b64 exec, exec, s[6:7]
	s_cbranch_execnz .LBB5_3800
.LBB5_1750:
	s_or_b64 exec, exec, s[6:7]
	s_and_saveexec_b64 s[6:7], s[4:5]
	s_cbranch_execz .LBB5_1752
.LBB5_1751:
	v_bfe_u32 v3, v4, 16, 3
	v_ffbh_u32_e32 v10, v3
	v_min_u32_e32 v10, 32, v10
	v_lshrrev_b32_e32 v6, 19, v4
	v_subrev_u32_e32 v11, 28, v10
	v_and_b32_e32 v6, 15, v6
	v_lshlrev_b32_sdwa v11, v11, v4 dst_sel:DWORD dst_unused:UNUSED_PAD src0_sel:DWORD src1_sel:WORD_1
	v_bfe_u32 v7, v4, 19, 4
	v_sub_u32_e32 v10, 29, v10
	v_and_b32_e32 v11, 7, v11
	v_cmp_eq_u16_e32 vcc, 0, v6
	v_cndmask_b32_e32 v3, v3, v11, vcc
	v_cndmask_b32_e32 v6, v7, v10, vcc
	v_lshlrev_b32_e32 v7, 8, v4
	v_mov_b32_e32 v10, 0x3b800000
	v_lshlrev_b32_e32 v3, 20, v3
	v_and_b32_e32 v7, 0x80000000, v7
	v_lshl_add_u32 v6, v6, 23, v10
	v_or3_b32 v6, v7, v6, v3
.LBB5_1752:
	s_or_b64 exec, exec, s[6:7]
	s_nop 0
	v_mfma_f32_16x16x4f32 a[0:3], v2, v6, a[0:3]
	s_movk_i32 s4, 0x7f
	v_cmp_gt_i16_sdwa s[6:7], v8, s4 src0_sel:BYTE_3 src1_sel:DWORD
	s_mov_b64 s[4:5], 0
                                        ; implicit-def: $sgpr10
	s_and_saveexec_b64 s[8:9], s[6:7]
	s_xor_b64 s[6:7], exec, s[8:9]
	s_cbranch_execnz .LBB5_3801
; %bb.1753:
	s_or_saveexec_b64 s[6:7], s[6:7]
	v_mov_b32_e32 v2, s10
	s_xor_b64 exec, exec, s[6:7]
	s_cbranch_execnz .LBB5_3804
.LBB5_1754:
	s_or_b64 exec, exec, s[6:7]
	s_and_saveexec_b64 s[6:7], s[4:5]
	s_cbranch_execz .LBB5_1756
.LBB5_1755:
	v_bfe_u32 v2, v8, 24, 3
	v_ffbh_u32_e32 v10, v2
	v_min_u32_e32 v10, 32, v10
	v_lshrrev_b32_e32 v6, 27, v8
	v_subrev_u32_e32 v11, 28, v10
	v_and_b32_e32 v3, 0x80000000, v8
	v_and_b32_e32 v6, 15, v6
	v_bfe_u32 v7, v8, 27, 4
	v_lshlrev_b32_sdwa v8, v11, v8 dst_sel:DWORD dst_unused:UNUSED_PAD src0_sel:DWORD src1_sel:BYTE_3
	v_sub_u32_e32 v10, 29, v10
	v_and_b32_e32 v8, 7, v8
	v_cmp_eq_u16_e32 vcc, 0, v6
	v_cndmask_b32_e32 v2, v2, v8, vcc
	v_cndmask_b32_e32 v6, v7, v10, vcc
	v_mov_b32_e32 v7, 0x3b800000
	v_lshlrev_b32_e32 v2, 20, v2
	v_lshl_add_u32 v6, v6, 23, v7
	v_or3_b32 v2, v3, v6, v2
.LBB5_1756:
	s_or_b64 exec, exec, s[6:7]
	s_movk_i32 s4, 0x7f
	v_cmp_gt_i16_sdwa s[6:7], v4, s4 src0_sel:BYTE_3 src1_sel:DWORD
	s_mov_b64 s[4:5], 0
                                        ; implicit-def: $sgpr10
	s_and_saveexec_b64 s[8:9], s[6:7]
	s_xor_b64 s[6:7], exec, s[8:9]
	s_cbranch_execnz .LBB5_3805
; %bb.1757:
	s_or_saveexec_b64 s[6:7], s[6:7]
	v_mov_b32_e32 v3, s10
	s_xor_b64 exec, exec, s[6:7]
	s_cbranch_execnz .LBB5_3808
.LBB5_1758:
	s_or_b64 exec, exec, s[6:7]
	s_and_saveexec_b64 s[6:7], s[4:5]
	s_cbranch_execz .LBB5_1760
.LBB5_1759:
	v_bfe_u32 v3, v4, 24, 3
	v_ffbh_u32_e32 v10, v3
	v_min_u32_e32 v10, 32, v10
	v_lshrrev_b32_e32 v7, 27, v4
	v_subrev_u32_e32 v11, 28, v10
	v_and_b32_e32 v6, 0x80000000, v4
	v_and_b32_e32 v7, 15, v7
	v_bfe_u32 v8, v4, 27, 4
	v_lshlrev_b32_sdwa v4, v11, v4 dst_sel:DWORD dst_unused:UNUSED_PAD src0_sel:DWORD src1_sel:BYTE_3
	v_sub_u32_e32 v10, 29, v10
	v_and_b32_e32 v4, 7, v4
	v_cmp_eq_u16_e32 vcc, 0, v7
	v_cndmask_b32_e32 v3, v3, v4, vcc
	v_cndmask_b32_e32 v4, v8, v10, vcc
	v_mov_b32_e32 v7, 0x3b800000
	v_lshlrev_b32_e32 v3, 20, v3
	v_lshl_add_u32 v4, v4, 23, v7
	v_or3_b32 v3, v6, v4, v3
.LBB5_1760:
	s_or_b64 exec, exec, s[6:7]
	s_nop 0
	v_mfma_f32_16x16x4f32 a[0:3], v2, v3, a[0:3]
	s_movk_i32 s4, 0x7f
	v_cmp_gt_i16_sdwa s[6:7], v9, s4 src0_sel:BYTE_0 src1_sel:DWORD
	s_mov_b64 s[4:5], 0
                                        ; implicit-def: $sgpr10
	s_and_saveexec_b64 s[8:9], s[6:7]
	s_xor_b64 s[6:7], exec, s[8:9]
	s_cbranch_execnz .LBB5_3809
; %bb.1761:
	s_or_saveexec_b64 s[6:7], s[6:7]
	v_mov_b32_e32 v2, s10
	s_xor_b64 exec, exec, s[6:7]
	s_cbranch_execnz .LBB5_3812
.LBB5_1762:
	s_or_b64 exec, exec, s[6:7]
	s_and_saveexec_b64 s[6:7], s[4:5]
	s_cbranch_execz .LBB5_1764
.LBB5_1763:
	v_mov_b32_e32 v2, 8
	v_and_b32_e32 v3, 7, v9
	v_lshrrev_b32_sdwa v2, v2, v9 dst_sel:BYTE_1 dst_unused:UNUSED_PAD src0_sel:DWORD src1_sel:DWORD
	v_ffbh_u32_e32 v4, v3
	v_or_b32_sdwa v2, v9, v2 dst_sel:DWORD dst_unused:UNUSED_PAD src0_sel:BYTE_0 src1_sel:DWORD
	v_min_u32_e32 v4, 32, v4
	v_lshrrev_b16_e32 v2, 3, v2
	v_subrev_u32_e32 v6, 28, v4
	v_and_b32_e32 v2, 15, v2
	v_lshlrev_b32_e32 v6, v6, v9
	v_sub_u32_e32 v4, 29, v4
	v_and_b32_e32 v6, 7, v6
	v_cmp_eq_u16_e32 vcc, 0, v2
	v_cndmask_b32_e32 v3, v3, v6, vcc
	v_cndmask_b32_e32 v2, v2, v4, vcc
	v_lshlrev_b32_e32 v4, 24, v9
	v_mov_b32_e32 v6, 0x3b800000
	v_lshlrev_b32_e32 v3, 20, v3
	v_and_b32_e32 v4, 0x80000000, v4
	v_lshl_add_u32 v2, v2, 23, v6
	v_or3_b32 v2, v4, v2, v3
.LBB5_1764:
	s_or_b64 exec, exec, s[6:7]
	s_movk_i32 s4, 0x7f
	v_cmp_gt_i16_sdwa s[6:7], v5, s4 src0_sel:BYTE_0 src1_sel:DWORD
	s_mov_b64 s[4:5], 0
                                        ; implicit-def: $sgpr10
	s_and_saveexec_b64 s[8:9], s[6:7]
	s_xor_b64 s[6:7], exec, s[8:9]
	s_cbranch_execnz .LBB5_3813
; %bb.1765:
	s_or_saveexec_b64 s[6:7], s[6:7]
	v_mov_b32_e32 v3, s10
	s_xor_b64 exec, exec, s[6:7]
	s_cbranch_execnz .LBB5_3816
.LBB5_1766:
	s_or_b64 exec, exec, s[6:7]
	s_and_saveexec_b64 s[6:7], s[4:5]
	s_cbranch_execz .LBB5_1768
.LBB5_1767:
	v_mov_b32_e32 v3, 8
	v_and_b32_e32 v4, 7, v5
	v_lshrrev_b32_sdwa v3, v3, v5 dst_sel:BYTE_1 dst_unused:UNUSED_PAD src0_sel:DWORD src1_sel:DWORD
	v_ffbh_u32_e32 v6, v4
	v_or_b32_sdwa v3, v5, v3 dst_sel:DWORD dst_unused:UNUSED_PAD src0_sel:BYTE_0 src1_sel:DWORD
	v_min_u32_e32 v6, 32, v6
	v_lshrrev_b16_e32 v3, 3, v3
	v_subrev_u32_e32 v7, 28, v6
	v_and_b32_e32 v3, 15, v3
	v_lshlrev_b32_e32 v7, v7, v5
	v_sub_u32_e32 v6, 29, v6
	v_and_b32_e32 v7, 7, v7
	v_cmp_eq_u16_e32 vcc, 0, v3
	v_cndmask_b32_e32 v4, v4, v7, vcc
	v_cndmask_b32_e32 v3, v3, v6, vcc
	v_lshlrev_b32_e32 v6, 24, v5
	v_mov_b32_e32 v7, 0x3b800000
	v_lshlrev_b32_e32 v4, 20, v4
	v_and_b32_e32 v6, 0x80000000, v6
	v_lshl_add_u32 v3, v3, 23, v7
	v_or3_b32 v3, v6, v3, v4
.LBB5_1768:
	s_or_b64 exec, exec, s[6:7]
	s_nop 0
	v_mfma_f32_16x16x4f32 a[0:3], v2, v3, a[0:3]
	v_lshrrev_b32_e32 v3, 8, v9
	s_movk_i32 s4, 0x7f
	v_cmp_gt_i16_sdwa s[6:7], v3, s4 src0_sel:BYTE_0 src1_sel:DWORD
	s_mov_b64 s[4:5], 0
                                        ; implicit-def: $sgpr10
	s_and_saveexec_b64 s[8:9], s[6:7]
	s_xor_b64 s[6:7], exec, s[8:9]
	s_cbranch_execnz .LBB5_3817
; %bb.1769:
	s_or_saveexec_b64 s[6:7], s[6:7]
	v_mov_b32_e32 v2, s10
	s_xor_b64 exec, exec, s[6:7]
	s_cbranch_execnz .LBB5_3820
.LBB5_1770:
	s_or_b64 exec, exec, s[6:7]
	s_and_saveexec_b64 s[6:7], s[4:5]
	s_cbranch_execz .LBB5_1772
.LBB5_1771:
	v_bfe_u32 v2, v9, 8, 3
	v_ffbh_u32_e32 v6, v2
	v_min_u32_e32 v6, 32, v6
	v_lshrrev_b16_e32 v4, 3, v3
	v_subrev_u32_e32 v7, 28, v6
	v_and_b32_e32 v4, 15, v4
	v_lshlrev_b32_e32 v3, v7, v3
	v_sub_u32_e32 v6, 29, v6
	v_and_b32_e32 v3, 7, v3
	v_cmp_eq_u16_e32 vcc, 0, v4
	v_cndmask_b32_e32 v2, v2, v3, vcc
	v_cndmask_b32_e32 v3, v4, v6, vcc
	v_lshlrev_b32_e32 v4, 16, v9
	v_mov_b32_e32 v6, 0x3b800000
	v_lshlrev_b32_e32 v2, 20, v2
	v_and_b32_e32 v4, 0x80000000, v4
	v_lshl_add_u32 v3, v3, 23, v6
	v_or3_b32 v2, v4, v3, v2
.LBB5_1772:
	s_or_b64 exec, exec, s[6:7]
	v_lshrrev_b32_e32 v3, 8, v5
	s_movk_i32 s4, 0x7f
	v_cmp_gt_i16_sdwa s[6:7], v3, s4 src0_sel:BYTE_0 src1_sel:DWORD
	s_mov_b64 s[4:5], 0
                                        ; implicit-def: $sgpr10
	s_and_saveexec_b64 s[8:9], s[6:7]
	s_xor_b64 s[6:7], exec, s[8:9]
	s_cbranch_execnz .LBB5_3821
; %bb.1773:
	s_or_saveexec_b64 s[6:7], s[6:7]
	v_mov_b32_e32 v4, s10
	s_xor_b64 exec, exec, s[6:7]
	s_cbranch_execnz .LBB5_3824
.LBB5_1774:
	s_or_b64 exec, exec, s[6:7]
	s_and_saveexec_b64 s[6:7], s[4:5]
	s_cbranch_execz .LBB5_1776
.LBB5_1775:
	v_bfe_u32 v4, v5, 8, 3
	v_ffbh_u32_e32 v7, v4
	v_min_u32_e32 v7, 32, v7
	v_lshrrev_b16_e32 v6, 3, v3
	v_subrev_u32_e32 v8, 28, v7
	v_and_b32_e32 v6, 15, v6
	v_lshlrev_b32_e32 v3, v8, v3
	v_sub_u32_e32 v7, 29, v7
	v_and_b32_e32 v3, 7, v3
	v_cmp_eq_u16_e32 vcc, 0, v6
	v_cndmask_b32_e32 v3, v4, v3, vcc
	v_cndmask_b32_e32 v4, v6, v7, vcc
	v_lshlrev_b32_e32 v6, 16, v5
	v_mov_b32_e32 v7, 0x3b800000
	v_lshlrev_b32_e32 v3, 20, v3
	v_and_b32_e32 v6, 0x80000000, v6
	v_lshl_add_u32 v4, v4, 23, v7
	v_or3_b32 v4, v6, v4, v3
.LBB5_1776:
	s_or_b64 exec, exec, s[6:7]
	s_nop 0
	v_mfma_f32_16x16x4f32 a[0:3], v2, v4, a[0:3]
	s_movk_i32 s4, 0xff
	v_and_b32_sdwa v3, v9, s4 dst_sel:DWORD dst_unused:UNUSED_PAD src0_sel:WORD_1 src1_sel:DWORD
	s_movk_i32 s4, 0x7f
	v_cmp_lt_i16_e32 vcc, s4, v3
	s_mov_b64 s[4:5], 0
                                        ; implicit-def: $sgpr10
	s_and_saveexec_b64 s[6:7], vcc
	s_xor_b64 s[6:7], exec, s[6:7]
	s_cbranch_execnz .LBB5_3825
; %bb.1777:
	s_or_saveexec_b64 s[6:7], s[6:7]
	v_mov_b32_e32 v2, s10
	s_xor_b64 exec, exec, s[6:7]
	s_cbranch_execnz .LBB5_3828
.LBB5_1778:
	s_or_b64 exec, exec, s[6:7]
	s_and_saveexec_b64 s[6:7], s[4:5]
	s_cbranch_execz .LBB5_1780
.LBB5_1779:
	v_bfe_u32 v2, v9, 16, 3
	v_ffbh_u32_e32 v6, v2
	v_min_u32_e32 v6, 32, v6
	v_lshrrev_b32_e32 v3, 19, v9
	v_subrev_u32_e32 v7, 28, v6
	v_and_b32_e32 v3, 15, v3
	v_lshlrev_b32_sdwa v7, v7, v9 dst_sel:DWORD dst_unused:UNUSED_PAD src0_sel:DWORD src1_sel:WORD_1
	v_bfe_u32 v4, v9, 19, 4
	v_sub_u32_e32 v6, 29, v6
	v_and_b32_e32 v7, 7, v7
	v_cmp_eq_u16_e32 vcc, 0, v3
	v_cndmask_b32_e32 v2, v2, v7, vcc
	v_cndmask_b32_e32 v3, v4, v6, vcc
	v_lshlrev_b32_e32 v4, 8, v9
	v_mov_b32_e32 v6, 0x3b800000
	v_lshlrev_b32_e32 v2, 20, v2
	v_and_b32_e32 v4, 0x80000000, v4
	v_lshl_add_u32 v3, v3, 23, v6
	v_or3_b32 v2, v4, v3, v2
.LBB5_1780:
	s_or_b64 exec, exec, s[6:7]
	s_movk_i32 s4, 0xff
	v_and_b32_sdwa v3, v5, s4 dst_sel:DWORD dst_unused:UNUSED_PAD src0_sel:WORD_1 src1_sel:DWORD
	s_movk_i32 s4, 0x7f
	v_cmp_lt_i16_e32 vcc, s4, v3
	s_mov_b64 s[4:5], 0
                                        ; implicit-def: $sgpr10
	s_and_saveexec_b64 s[6:7], vcc
	s_xor_b64 s[6:7], exec, s[6:7]
	s_cbranch_execnz .LBB5_3829
; %bb.1781:
	s_or_saveexec_b64 s[6:7], s[6:7]
	v_mov_b32_e32 v4, s10
	s_xor_b64 exec, exec, s[6:7]
	s_cbranch_execnz .LBB5_3832
.LBB5_1782:
	s_or_b64 exec, exec, s[6:7]
	s_and_saveexec_b64 s[6:7], s[4:5]
	s_cbranch_execz .LBB5_1784
.LBB5_1783:
	v_bfe_u32 v3, v5, 16, 3
	v_ffbh_u32_e32 v7, v3
	v_min_u32_e32 v7, 32, v7
	v_lshrrev_b32_e32 v4, 19, v5
	v_subrev_u32_e32 v8, 28, v7
	v_and_b32_e32 v4, 15, v4
	v_lshlrev_b32_sdwa v8, v8, v5 dst_sel:DWORD dst_unused:UNUSED_PAD src0_sel:DWORD src1_sel:WORD_1
	v_bfe_u32 v6, v5, 19, 4
	v_sub_u32_e32 v7, 29, v7
	v_and_b32_e32 v8, 7, v8
	v_cmp_eq_u16_e32 vcc, 0, v4
	v_cndmask_b32_e32 v3, v3, v8, vcc
	v_cndmask_b32_e32 v4, v6, v7, vcc
	v_lshlrev_b32_e32 v6, 8, v5
	v_mov_b32_e32 v7, 0x3b800000
	v_lshlrev_b32_e32 v3, 20, v3
	v_and_b32_e32 v6, 0x80000000, v6
	v_lshl_add_u32 v4, v4, 23, v7
	v_or3_b32 v4, v6, v4, v3
.LBB5_1784:
	s_or_b64 exec, exec, s[6:7]
	s_nop 0
	v_mfma_f32_16x16x4f32 a[0:3], v2, v4, a[0:3]
	s_movk_i32 s4, 0x7f
	v_cmp_gt_i16_sdwa s[6:7], v9, s4 src0_sel:BYTE_3 src1_sel:DWORD
	s_mov_b64 s[4:5], 0
                                        ; implicit-def: $sgpr10
	s_and_saveexec_b64 s[8:9], s[6:7]
	s_xor_b64 s[6:7], exec, s[8:9]
	s_cbranch_execnz .LBB5_3833
; %bb.1785:
	s_or_saveexec_b64 s[6:7], s[6:7]
	v_mov_b32_e32 v2, s10
	s_xor_b64 exec, exec, s[6:7]
	s_cbranch_execnz .LBB5_3836
.LBB5_1786:
	s_or_b64 exec, exec, s[6:7]
	s_and_saveexec_b64 s[6:7], s[4:5]
	s_cbranch_execz .LBB5_1788
.LBB5_1787:
	v_bfe_u32 v2, v9, 24, 3
	v_ffbh_u32_e32 v7, v2
	v_min_u32_e32 v7, 32, v7
	v_lshrrev_b32_e32 v4, 27, v9
	v_subrev_u32_e32 v8, 28, v7
	v_and_b32_e32 v4, 15, v4
	v_lshlrev_b32_sdwa v8, v8, v9 dst_sel:DWORD dst_unused:UNUSED_PAD src0_sel:DWORD src1_sel:BYTE_3
	v_bfe_u32 v6, v9, 27, 4
	v_sub_u32_e32 v7, 29, v7
	v_and_b32_e32 v8, 7, v8
	v_cmp_eq_u16_e32 vcc, 0, v4
	v_cndmask_b32_e32 v2, v2, v8, vcc
	v_cndmask_b32_e32 v4, v6, v7, vcc
	v_mov_b32_e32 v6, 0x3b800000
	v_and_b32_e32 v3, 0x80000000, v9
	v_lshlrev_b32_e32 v2, 20, v2
	v_lshl_add_u32 v4, v4, 23, v6
	v_or3_b32 v2, v3, v4, v2
.LBB5_1788:
	s_or_b64 exec, exec, s[6:7]
	s_movk_i32 s4, 0x7f
	v_cmp_gt_i16_sdwa s[6:7], v5, s4 src0_sel:BYTE_3 src1_sel:DWORD
	s_mov_b64 s[4:5], 0
                                        ; implicit-def: $sgpr10
	s_and_saveexec_b64 s[8:9], s[6:7]
	s_xor_b64 s[6:7], exec, s[8:9]
	s_cbranch_execnz .LBB5_3837
; %bb.1789:
	s_or_saveexec_b64 s[6:7], s[6:7]
	v_mov_b32_e32 v3, s10
	s_xor_b64 exec, exec, s[6:7]
	s_cbranch_execnz .LBB5_3840
.LBB5_1790:
	s_or_b64 exec, exec, s[6:7]
	s_and_saveexec_b64 s[6:7], s[4:5]
	s_cbranch_execz .LBB5_1792
.LBB5_1791:
	v_bfe_u32 v3, v5, 24, 3
	v_ffbh_u32_e32 v8, v3
	v_min_u32_e32 v8, 32, v8
	v_lshrrev_b32_e32 v6, 27, v5
	v_subrev_u32_e32 v9, 28, v8
	v_and_b32_e32 v4, 0x80000000, v5
	v_and_b32_e32 v6, 15, v6
	v_bfe_u32 v7, v5, 27, 4
	v_lshlrev_b32_sdwa v5, v9, v5 dst_sel:DWORD dst_unused:UNUSED_PAD src0_sel:DWORD src1_sel:BYTE_3
	v_sub_u32_e32 v8, 29, v8
	v_and_b32_e32 v5, 7, v5
	v_cmp_eq_u16_e32 vcc, 0, v6
	v_cndmask_b32_e32 v3, v3, v5, vcc
	v_cndmask_b32_e32 v5, v7, v8, vcc
	v_mov_b32_e32 v6, 0x3b800000
	v_lshlrev_b32_e32 v3, 20, v3
	v_lshl_add_u32 v5, v5, 23, v6
	v_or3_b32 v3, v4, v5, v3
.LBB5_1792:
	s_or_b64 exec, exec, s[6:7]
	s_nop 0
	v_mfma_f32_16x16x4f32 a[0:3], v2, v3, a[0:3]
	s_movk_i32 s4, 0x7f
                                        ; implicit-def: $sgpr10
	s_nop 7
	s_nop 1
	flat_store_dwordx4 v[18:19], a[0:3] offset:480
	flat_load_dwordx4 v[18:21], v[0:1] offset:16
	s_nop 0
	flat_load_dwordx2 v[16:17], v[0:1] offset:32
	s_waitcnt vmcnt(0) lgkmcnt(0)
	flat_load_dwordx4 v[12:15], v[18:19] offset:32
	flat_load_dwordx4 v[4:7], v[18:19] offset:48
	;; [unrolled: 1-line block ×4, first 2 shown]
	s_waitcnt vmcnt(0) lgkmcnt(0)
	v_cmp_gt_i16_sdwa s[6:7], v12, s4 src0_sel:BYTE_0 src1_sel:DWORD
	s_mov_b64 s[4:5], 0
	s_and_saveexec_b64 s[8:9], s[6:7]
	s_xor_b64 s[6:7], exec, s[8:9]
	s_cbranch_execnz .LBB5_3841
; %bb.1793:
	s_or_saveexec_b64 s[6:7], s[6:7]
	v_mov_b32_e32 v18, s10
	s_xor_b64 exec, exec, s[6:7]
	s_cbranch_execnz .LBB5_3844
.LBB5_1794:
	s_or_b64 exec, exec, s[6:7]
	s_and_saveexec_b64 s[6:7], s[4:5]
	s_cbranch_execz .LBB5_1796
.LBB5_1795:
	v_and_b32_e32 v18, 7, v12
	v_ffbh_u32_e32 v20, v18
	v_min_u32_e32 v20, 32, v20
	v_lshrrev_b16_e32 v19, 3, v12
	v_subrev_u32_e32 v21, 28, v20
	v_and_b32_e32 v19, 15, v19
	v_lshlrev_b32_e32 v21, v21, v12
	v_sub_u32_e32 v20, 29, v20
	v_and_b32_e32 v21, 7, v21
	v_cmp_eq_u16_e32 vcc, 0, v19
	v_cndmask_b32_e32 v18, v18, v21, vcc
	v_cndmask_b32_e32 v19, v19, v20, vcc
	v_lshlrev_b32_e32 v20, 24, v12
	v_mov_b32_e32 v21, 0x3b800000
	v_lshlrev_b32_e32 v18, 20, v18
	v_and_b32_e32 v20, 0x80000000, v20
	v_lshl_add_u32 v19, v19, 23, v21
	v_or3_b32 v18, v20, v19, v18
.LBB5_1796:
	s_or_b64 exec, exec, s[6:7]
	s_movk_i32 s4, 0x7f
	v_cmp_gt_i16_sdwa s[6:7], v8, s4 src0_sel:BYTE_0 src1_sel:DWORD
	s_mov_b64 s[4:5], 0
                                        ; implicit-def: $sgpr10
	s_and_saveexec_b64 s[8:9], s[6:7]
	s_xor_b64 s[6:7], exec, s[8:9]
	s_cbranch_execnz .LBB5_3845
; %bb.1797:
	s_or_saveexec_b64 s[6:7], s[6:7]
	v_mov_b32_e32 v19, s10
	s_xor_b64 exec, exec, s[6:7]
	s_cbranch_execnz .LBB5_3848
.LBB5_1798:
	s_or_b64 exec, exec, s[6:7]
	s_and_saveexec_b64 s[6:7], s[4:5]
	s_cbranch_execz .LBB5_1800
.LBB5_1799:
	v_and_b32_e32 v19, 7, v8
	v_ffbh_u32_e32 v21, v19
	v_min_u32_e32 v21, 32, v21
	v_lshrrev_b16_e32 v20, 3, v8
	v_subrev_u32_e32 v22, 28, v21
	v_and_b32_e32 v20, 15, v20
	v_lshlrev_b32_e32 v22, v22, v8
	v_sub_u32_e32 v21, 29, v21
	v_and_b32_e32 v22, 7, v22
	v_cmp_eq_u16_e32 vcc, 0, v20
	v_cndmask_b32_e32 v19, v19, v22, vcc
	v_cndmask_b32_e32 v20, v20, v21, vcc
	v_lshlrev_b32_e32 v21, 24, v8
	v_mov_b32_e32 v22, 0x3b800000
	v_lshlrev_b32_e32 v19, 20, v19
	v_and_b32_e32 v21, 0x80000000, v21
	v_lshl_add_u32 v20, v20, 23, v22
	v_or3_b32 v19, v21, v20, v19
.LBB5_1800:
	s_or_b64 exec, exec, s[6:7]
	flat_load_dwordx4 a[0:3], v[16:17] offset:496
	s_movk_i32 s4, 0x7f
                                        ; implicit-def: $sgpr10
	s_waitcnt vmcnt(0) lgkmcnt(0)
	v_mfma_f32_16x16x4f32 a[0:3], v18, v19, a[0:3]
	v_lshrrev_b32_e32 v19, 8, v12
	v_cmp_gt_i16_sdwa s[6:7], v19, s4 src0_sel:BYTE_0 src1_sel:DWORD
	s_mov_b64 s[4:5], 0
	s_and_saveexec_b64 s[8:9], s[6:7]
	s_xor_b64 s[6:7], exec, s[8:9]
	s_cbranch_execnz .LBB5_3849
; %bb.1801:
	s_or_saveexec_b64 s[6:7], s[6:7]
	v_mov_b32_e32 v18, s10
	s_xor_b64 exec, exec, s[6:7]
	s_cbranch_execnz .LBB5_3852
.LBB5_1802:
	s_or_b64 exec, exec, s[6:7]
	s_and_saveexec_b64 s[6:7], s[4:5]
	s_cbranch_execz .LBB5_1804
.LBB5_1803:
	v_bfe_u32 v18, v12, 8, 3
	v_ffbh_u32_e32 v21, v18
	v_min_u32_e32 v21, 32, v21
	v_lshrrev_b16_e32 v20, 3, v19
	v_subrev_u32_e32 v22, 28, v21
	v_and_b32_e32 v20, 15, v20
	v_lshlrev_b32_e32 v19, v22, v19
	v_sub_u32_e32 v21, 29, v21
	v_and_b32_e32 v19, 7, v19
	v_cmp_eq_u16_e32 vcc, 0, v20
	v_cndmask_b32_e32 v18, v18, v19, vcc
	v_cndmask_b32_e32 v19, v20, v21, vcc
	v_lshlrev_b32_e32 v20, 16, v12
	v_mov_b32_e32 v21, 0x3b800000
	v_lshlrev_b32_e32 v18, 20, v18
	v_and_b32_e32 v20, 0x80000000, v20
	v_lshl_add_u32 v19, v19, 23, v21
	v_or3_b32 v18, v20, v19, v18
.LBB5_1804:
	s_or_b64 exec, exec, s[6:7]
	v_lshrrev_b32_e32 v19, 8, v8
	s_movk_i32 s4, 0x7f
	v_cmp_gt_i16_sdwa s[6:7], v19, s4 src0_sel:BYTE_0 src1_sel:DWORD
	s_mov_b64 s[4:5], 0
                                        ; implicit-def: $sgpr10
	s_and_saveexec_b64 s[8:9], s[6:7]
	s_xor_b64 s[6:7], exec, s[8:9]
	s_cbranch_execnz .LBB5_3853
; %bb.1805:
	s_or_saveexec_b64 s[6:7], s[6:7]
	v_mov_b32_e32 v20, s10
	s_xor_b64 exec, exec, s[6:7]
	s_cbranch_execnz .LBB5_3856
.LBB5_1806:
	s_or_b64 exec, exec, s[6:7]
	s_and_saveexec_b64 s[6:7], s[4:5]
	s_cbranch_execz .LBB5_1808
.LBB5_1807:
	v_bfe_u32 v20, v8, 8, 3
	v_ffbh_u32_e32 v22, v20
	v_min_u32_e32 v22, 32, v22
	v_lshrrev_b16_e32 v21, 3, v19
	v_subrev_u32_e32 v23, 28, v22
	v_and_b32_e32 v21, 15, v21
	v_lshlrev_b32_e32 v19, v23, v19
	v_sub_u32_e32 v22, 29, v22
	v_and_b32_e32 v19, 7, v19
	v_cmp_eq_u16_e32 vcc, 0, v21
	v_cndmask_b32_e32 v19, v20, v19, vcc
	v_cndmask_b32_e32 v20, v21, v22, vcc
	v_lshlrev_b32_e32 v21, 16, v8
	v_mov_b32_e32 v22, 0x3b800000
	v_lshlrev_b32_e32 v19, 20, v19
	v_and_b32_e32 v21, 0x80000000, v21
	v_lshl_add_u32 v20, v20, 23, v22
	v_or3_b32 v20, v21, v20, v19
.LBB5_1808:
	s_or_b64 exec, exec, s[6:7]
	s_nop 0
	v_mfma_f32_16x16x4f32 a[0:3], v18, v20, a[0:3]
	s_movk_i32 s4, 0xff
	v_and_b32_sdwa v19, v12, s4 dst_sel:DWORD dst_unused:UNUSED_PAD src0_sel:WORD_1 src1_sel:DWORD
	s_movk_i32 s4, 0x7f
	v_cmp_lt_i16_e32 vcc, s4, v19
	s_mov_b64 s[4:5], 0
                                        ; implicit-def: $sgpr10
	s_and_saveexec_b64 s[6:7], vcc
	s_xor_b64 s[6:7], exec, s[6:7]
	s_cbranch_execnz .LBB5_3857
; %bb.1809:
	s_or_saveexec_b64 s[6:7], s[6:7]
	v_mov_b32_e32 v18, s10
	s_xor_b64 exec, exec, s[6:7]
	s_cbranch_execnz .LBB5_3860
.LBB5_1810:
	s_or_b64 exec, exec, s[6:7]
	s_and_saveexec_b64 s[6:7], s[4:5]
	s_cbranch_execz .LBB5_1812
.LBB5_1811:
	v_bfe_u32 v18, v12, 16, 3
	v_ffbh_u32_e32 v21, v18
	v_min_u32_e32 v21, 32, v21
	v_lshrrev_b32_e32 v19, 19, v12
	v_subrev_u32_e32 v22, 28, v21
	v_and_b32_e32 v19, 15, v19
	v_lshlrev_b32_sdwa v22, v22, v12 dst_sel:DWORD dst_unused:UNUSED_PAD src0_sel:DWORD src1_sel:WORD_1
	v_bfe_u32 v20, v12, 19, 4
	v_sub_u32_e32 v21, 29, v21
	v_and_b32_e32 v22, 7, v22
	v_cmp_eq_u16_e32 vcc, 0, v19
	v_cndmask_b32_e32 v18, v18, v22, vcc
	v_cndmask_b32_e32 v19, v20, v21, vcc
	v_lshlrev_b32_e32 v20, 8, v12
	v_mov_b32_e32 v21, 0x3b800000
	v_lshlrev_b32_e32 v18, 20, v18
	v_and_b32_e32 v20, 0x80000000, v20
	v_lshl_add_u32 v19, v19, 23, v21
	v_or3_b32 v18, v20, v19, v18
.LBB5_1812:
	s_or_b64 exec, exec, s[6:7]
	s_movk_i32 s4, 0xff
	v_and_b32_sdwa v19, v8, s4 dst_sel:DWORD dst_unused:UNUSED_PAD src0_sel:WORD_1 src1_sel:DWORD
	s_movk_i32 s4, 0x7f
	v_cmp_lt_i16_e32 vcc, s4, v19
	s_mov_b64 s[4:5], 0
                                        ; implicit-def: $sgpr10
	s_and_saveexec_b64 s[6:7], vcc
	s_xor_b64 s[6:7], exec, s[6:7]
	s_cbranch_execnz .LBB5_3861
; %bb.1813:
	s_or_saveexec_b64 s[6:7], s[6:7]
	v_mov_b32_e32 v20, s10
	s_xor_b64 exec, exec, s[6:7]
	s_cbranch_execnz .LBB5_3864
.LBB5_1814:
	s_or_b64 exec, exec, s[6:7]
	s_and_saveexec_b64 s[6:7], s[4:5]
	s_cbranch_execz .LBB5_1816
.LBB5_1815:
	v_bfe_u32 v19, v8, 16, 3
	v_ffbh_u32_e32 v22, v19
	v_min_u32_e32 v22, 32, v22
	v_lshrrev_b32_e32 v20, 19, v8
	v_subrev_u32_e32 v23, 28, v22
	v_and_b32_e32 v20, 15, v20
	v_lshlrev_b32_sdwa v23, v23, v8 dst_sel:DWORD dst_unused:UNUSED_PAD src0_sel:DWORD src1_sel:WORD_1
	v_bfe_u32 v21, v8, 19, 4
	v_sub_u32_e32 v22, 29, v22
	v_and_b32_e32 v23, 7, v23
	v_cmp_eq_u16_e32 vcc, 0, v20
	v_cndmask_b32_e32 v19, v19, v23, vcc
	v_cndmask_b32_e32 v20, v21, v22, vcc
	v_lshlrev_b32_e32 v21, 8, v8
	v_mov_b32_e32 v22, 0x3b800000
	v_lshlrev_b32_e32 v19, 20, v19
	v_and_b32_e32 v21, 0x80000000, v21
	v_lshl_add_u32 v20, v20, 23, v22
	v_or3_b32 v20, v21, v20, v19
.LBB5_1816:
	s_or_b64 exec, exec, s[6:7]
	s_nop 0
	v_mfma_f32_16x16x4f32 a[0:3], v18, v20, a[0:3]
	s_movk_i32 s4, 0x7f
	v_cmp_gt_i16_sdwa s[6:7], v12, s4 src0_sel:BYTE_3 src1_sel:DWORD
	s_mov_b64 s[4:5], 0
                                        ; implicit-def: $sgpr10
	s_and_saveexec_b64 s[8:9], s[6:7]
	s_xor_b64 s[6:7], exec, s[8:9]
	s_cbranch_execnz .LBB5_3865
; %bb.1817:
	s_or_saveexec_b64 s[6:7], s[6:7]
	v_mov_b32_e32 v18, s10
	s_xor_b64 exec, exec, s[6:7]
	s_cbranch_execnz .LBB5_3868
.LBB5_1818:
	s_or_b64 exec, exec, s[6:7]
	s_and_saveexec_b64 s[6:7], s[4:5]
	s_cbranch_execz .LBB5_1820
.LBB5_1819:
	v_bfe_u32 v18, v12, 24, 3
	v_ffbh_u32_e32 v22, v18
	v_min_u32_e32 v22, 32, v22
	v_lshrrev_b32_e32 v20, 27, v12
	v_subrev_u32_e32 v23, 28, v22
	v_and_b32_e32 v19, 0x80000000, v12
	v_and_b32_e32 v20, 15, v20
	v_bfe_u32 v21, v12, 27, 4
	v_lshlrev_b32_sdwa v12, v23, v12 dst_sel:DWORD dst_unused:UNUSED_PAD src0_sel:DWORD src1_sel:BYTE_3
	v_sub_u32_e32 v22, 29, v22
	v_and_b32_e32 v12, 7, v12
	v_cmp_eq_u16_e32 vcc, 0, v20
	v_cndmask_b32_e32 v12, v18, v12, vcc
	v_cndmask_b32_e32 v18, v21, v22, vcc
	v_mov_b32_e32 v20, 0x3b800000
	v_lshlrev_b32_e32 v12, 20, v12
	v_lshl_add_u32 v18, v18, 23, v20
	v_or3_b32 v18, v19, v18, v12
.LBB5_1820:
	s_or_b64 exec, exec, s[6:7]
	s_movk_i32 s4, 0x7f
	v_cmp_gt_i16_sdwa s[6:7], v8, s4 src0_sel:BYTE_3 src1_sel:DWORD
	s_mov_b64 s[4:5], 0
                                        ; implicit-def: $sgpr10
	s_and_saveexec_b64 s[8:9], s[6:7]
	s_xor_b64 s[6:7], exec, s[8:9]
	s_cbranch_execnz .LBB5_3869
; %bb.1821:
	s_or_saveexec_b64 s[6:7], s[6:7]
	v_mov_b32_e32 v12, s10
	s_xor_b64 exec, exec, s[6:7]
	s_cbranch_execnz .LBB5_3872
.LBB5_1822:
	s_or_b64 exec, exec, s[6:7]
	s_and_saveexec_b64 s[6:7], s[4:5]
	s_cbranch_execz .LBB5_1824
.LBB5_1823:
	v_bfe_u32 v12, v8, 24, 3
	v_ffbh_u32_e32 v22, v12
	v_min_u32_e32 v22, 32, v22
	v_lshrrev_b32_e32 v20, 27, v8
	v_subrev_u32_e32 v23, 28, v22
	v_and_b32_e32 v19, 0x80000000, v8
	v_and_b32_e32 v20, 15, v20
	v_bfe_u32 v21, v8, 27, 4
	v_lshlrev_b32_sdwa v8, v23, v8 dst_sel:DWORD dst_unused:UNUSED_PAD src0_sel:DWORD src1_sel:BYTE_3
	v_sub_u32_e32 v22, 29, v22
	v_and_b32_e32 v8, 7, v8
	v_cmp_eq_u16_e32 vcc, 0, v20
	v_cndmask_b32_e32 v8, v12, v8, vcc
	v_cndmask_b32_e32 v12, v21, v22, vcc
	v_mov_b32_e32 v20, 0x3b800000
	v_lshlrev_b32_e32 v8, 20, v8
	v_lshl_add_u32 v12, v12, 23, v20
	v_or3_b32 v12, v19, v12, v8
.LBB5_1824:
	s_or_b64 exec, exec, s[6:7]
	s_nop 0
	v_mfma_f32_16x16x4f32 a[0:3], v18, v12, a[0:3]
	s_movk_i32 s4, 0x7f
	v_cmp_gt_i16_sdwa s[6:7], v13, s4 src0_sel:BYTE_0 src1_sel:DWORD
	s_mov_b64 s[4:5], 0
                                        ; implicit-def: $sgpr10
	s_and_saveexec_b64 s[8:9], s[6:7]
	s_xor_b64 s[6:7], exec, s[8:9]
	s_cbranch_execnz .LBB5_3873
; %bb.1825:
	s_or_saveexec_b64 s[6:7], s[6:7]
	v_mov_b32_e32 v8, s10
	s_xor_b64 exec, exec, s[6:7]
	s_cbranch_execnz .LBB5_3876
.LBB5_1826:
	s_or_b64 exec, exec, s[6:7]
	s_and_saveexec_b64 s[6:7], s[4:5]
	s_cbranch_execz .LBB5_1828
.LBB5_1827:
	v_and_b32_e32 v8, 7, v13
	v_ffbh_u32_e32 v18, v8
	v_min_u32_e32 v18, 32, v18
	v_lshrrev_b16_e32 v12, 3, v13
	v_subrev_u32_e32 v19, 28, v18
	v_and_b32_e32 v12, 15, v12
	v_lshlrev_b32_e32 v19, v19, v13
	v_sub_u32_e32 v18, 29, v18
	v_and_b32_e32 v19, 7, v19
	v_cmp_eq_u16_e32 vcc, 0, v12
	v_cndmask_b32_e32 v8, v8, v19, vcc
	v_cndmask_b32_e32 v12, v12, v18, vcc
	v_lshlrev_b32_e32 v18, 24, v13
	v_mov_b32_e32 v19, 0x3b800000
	v_lshlrev_b32_e32 v8, 20, v8
	v_and_b32_e32 v18, 0x80000000, v18
	v_lshl_add_u32 v12, v12, 23, v19
	v_or3_b32 v8, v18, v12, v8
.LBB5_1828:
	s_or_b64 exec, exec, s[6:7]
	s_movk_i32 s4, 0x7f
	v_cmp_gt_i16_sdwa s[6:7], v9, s4 src0_sel:BYTE_0 src1_sel:DWORD
	s_mov_b64 s[4:5], 0
                                        ; implicit-def: $sgpr10
	s_and_saveexec_b64 s[8:9], s[6:7]
	s_xor_b64 s[6:7], exec, s[8:9]
	s_cbranch_execnz .LBB5_3877
; %bb.1829:
	s_or_saveexec_b64 s[6:7], s[6:7]
	v_mov_b32_e32 v12, s10
	s_xor_b64 exec, exec, s[6:7]
	s_cbranch_execnz .LBB5_3880
.LBB5_1830:
	s_or_b64 exec, exec, s[6:7]
	s_and_saveexec_b64 s[6:7], s[4:5]
	s_cbranch_execz .LBB5_1832
.LBB5_1831:
	v_and_b32_e32 v12, 7, v9
	v_ffbh_u32_e32 v19, v12
	v_min_u32_e32 v19, 32, v19
	v_lshrrev_b16_e32 v18, 3, v9
	v_subrev_u32_e32 v20, 28, v19
	v_and_b32_e32 v18, 15, v18
	v_lshlrev_b32_e32 v20, v20, v9
	v_sub_u32_e32 v19, 29, v19
	v_and_b32_e32 v20, 7, v20
	v_cmp_eq_u16_e32 vcc, 0, v18
	v_cndmask_b32_e32 v12, v12, v20, vcc
	v_cndmask_b32_e32 v18, v18, v19, vcc
	v_lshlrev_b32_e32 v19, 24, v9
	v_mov_b32_e32 v20, 0x3b800000
	v_lshlrev_b32_e32 v12, 20, v12
	v_and_b32_e32 v19, 0x80000000, v19
	v_lshl_add_u32 v18, v18, 23, v20
	v_or3_b32 v12, v19, v18, v12
.LBB5_1832:
	s_or_b64 exec, exec, s[6:7]
	s_nop 0
	v_mfma_f32_16x16x4f32 a[0:3], v8, v12, a[0:3]
	v_lshrrev_b32_e32 v12, 8, v13
	s_movk_i32 s4, 0x7f
	v_cmp_gt_i16_sdwa s[6:7], v12, s4 src0_sel:BYTE_0 src1_sel:DWORD
	s_mov_b64 s[4:5], 0
                                        ; implicit-def: $sgpr10
	s_and_saveexec_b64 s[8:9], s[6:7]
	s_xor_b64 s[6:7], exec, s[8:9]
	s_cbranch_execnz .LBB5_3881
; %bb.1833:
	s_or_saveexec_b64 s[6:7], s[6:7]
	v_mov_b32_e32 v8, s10
	s_xor_b64 exec, exec, s[6:7]
	s_cbranch_execnz .LBB5_3884
.LBB5_1834:
	s_or_b64 exec, exec, s[6:7]
	s_and_saveexec_b64 s[6:7], s[4:5]
	s_cbranch_execz .LBB5_1836
.LBB5_1835:
	v_bfe_u32 v8, v13, 8, 3
	v_ffbh_u32_e32 v19, v8
	v_min_u32_e32 v19, 32, v19
	v_lshrrev_b16_e32 v18, 3, v12
	v_subrev_u32_e32 v20, 28, v19
	v_and_b32_e32 v18, 15, v18
	v_lshlrev_b32_e32 v12, v20, v12
	v_sub_u32_e32 v19, 29, v19
	v_and_b32_e32 v12, 7, v12
	v_cmp_eq_u16_e32 vcc, 0, v18
	v_cndmask_b32_e32 v8, v8, v12, vcc
	v_cndmask_b32_e32 v12, v18, v19, vcc
	v_lshlrev_b32_e32 v18, 16, v13
	v_mov_b32_e32 v19, 0x3b800000
	v_lshlrev_b32_e32 v8, 20, v8
	v_and_b32_e32 v18, 0x80000000, v18
	v_lshl_add_u32 v12, v12, 23, v19
	v_or3_b32 v8, v18, v12, v8
.LBB5_1836:
	s_or_b64 exec, exec, s[6:7]
	v_lshrrev_b32_e32 v12, 8, v9
	s_movk_i32 s4, 0x7f
	v_cmp_gt_i16_sdwa s[6:7], v12, s4 src0_sel:BYTE_0 src1_sel:DWORD
	s_mov_b64 s[4:5], 0
                                        ; implicit-def: $sgpr10
	s_and_saveexec_b64 s[8:9], s[6:7]
	s_xor_b64 s[6:7], exec, s[8:9]
	s_cbranch_execnz .LBB5_3885
; %bb.1837:
	s_or_saveexec_b64 s[6:7], s[6:7]
	v_mov_b32_e32 v18, s10
	s_xor_b64 exec, exec, s[6:7]
	s_cbranch_execnz .LBB5_3888
.LBB5_1838:
	s_or_b64 exec, exec, s[6:7]
	s_and_saveexec_b64 s[6:7], s[4:5]
	s_cbranch_execz .LBB5_1840
.LBB5_1839:
	v_bfe_u32 v18, v9, 8, 3
	v_ffbh_u32_e32 v20, v18
	v_min_u32_e32 v20, 32, v20
	v_lshrrev_b16_e32 v19, 3, v12
	v_subrev_u32_e32 v21, 28, v20
	v_and_b32_e32 v19, 15, v19
	v_lshlrev_b32_e32 v12, v21, v12
	v_sub_u32_e32 v20, 29, v20
	v_and_b32_e32 v12, 7, v12
	v_cmp_eq_u16_e32 vcc, 0, v19
	v_cndmask_b32_e32 v12, v18, v12, vcc
	v_cndmask_b32_e32 v18, v19, v20, vcc
	v_lshlrev_b32_e32 v19, 16, v9
	v_mov_b32_e32 v20, 0x3b800000
	v_lshlrev_b32_e32 v12, 20, v12
	v_and_b32_e32 v19, 0x80000000, v19
	v_lshl_add_u32 v18, v18, 23, v20
	v_or3_b32 v18, v19, v18, v12
.LBB5_1840:
	s_or_b64 exec, exec, s[6:7]
	s_nop 0
	v_mfma_f32_16x16x4f32 a[0:3], v8, v18, a[0:3]
	s_movk_i32 s4, 0xff
	v_and_b32_sdwa v12, v13, s4 dst_sel:DWORD dst_unused:UNUSED_PAD src0_sel:WORD_1 src1_sel:DWORD
	s_movk_i32 s4, 0x7f
	v_cmp_lt_i16_e32 vcc, s4, v12
	s_mov_b64 s[4:5], 0
                                        ; implicit-def: $sgpr10
	s_and_saveexec_b64 s[6:7], vcc
	s_xor_b64 s[6:7], exec, s[6:7]
	s_cbranch_execnz .LBB5_3889
; %bb.1841:
	s_or_saveexec_b64 s[6:7], s[6:7]
	v_mov_b32_e32 v8, s10
	s_xor_b64 exec, exec, s[6:7]
	s_cbranch_execnz .LBB5_3892
.LBB5_1842:
	s_or_b64 exec, exec, s[6:7]
	s_and_saveexec_b64 s[6:7], s[4:5]
	s_cbranch_execz .LBB5_1844
.LBB5_1843:
	v_bfe_u32 v8, v13, 16, 3
	v_ffbh_u32_e32 v19, v8
	v_min_u32_e32 v19, 32, v19
	v_lshrrev_b32_e32 v12, 19, v13
	v_subrev_u32_e32 v20, 28, v19
	v_and_b32_e32 v12, 15, v12
	v_lshlrev_b32_sdwa v20, v20, v13 dst_sel:DWORD dst_unused:UNUSED_PAD src0_sel:DWORD src1_sel:WORD_1
	v_bfe_u32 v18, v13, 19, 4
	v_sub_u32_e32 v19, 29, v19
	v_and_b32_e32 v20, 7, v20
	v_cmp_eq_u16_e32 vcc, 0, v12
	v_cndmask_b32_e32 v8, v8, v20, vcc
	v_cndmask_b32_e32 v12, v18, v19, vcc
	v_lshlrev_b32_e32 v18, 8, v13
	v_mov_b32_e32 v19, 0x3b800000
	v_lshlrev_b32_e32 v8, 20, v8
	v_and_b32_e32 v18, 0x80000000, v18
	v_lshl_add_u32 v12, v12, 23, v19
	v_or3_b32 v8, v18, v12, v8
.LBB5_1844:
	s_or_b64 exec, exec, s[6:7]
	s_movk_i32 s4, 0xff
	v_and_b32_sdwa v12, v9, s4 dst_sel:DWORD dst_unused:UNUSED_PAD src0_sel:WORD_1 src1_sel:DWORD
	s_movk_i32 s4, 0x7f
	v_cmp_lt_i16_e32 vcc, s4, v12
	s_mov_b64 s[4:5], 0
                                        ; implicit-def: $sgpr10
	s_and_saveexec_b64 s[6:7], vcc
	s_xor_b64 s[6:7], exec, s[6:7]
	s_cbranch_execnz .LBB5_3893
; %bb.1845:
	s_or_saveexec_b64 s[6:7], s[6:7]
	v_mov_b32_e32 v18, s10
	s_xor_b64 exec, exec, s[6:7]
	s_cbranch_execnz .LBB5_3896
.LBB5_1846:
	s_or_b64 exec, exec, s[6:7]
	s_and_saveexec_b64 s[6:7], s[4:5]
	s_cbranch_execz .LBB5_1848
.LBB5_1847:
	v_bfe_u32 v12, v9, 16, 3
	v_ffbh_u32_e32 v20, v12
	v_min_u32_e32 v20, 32, v20
	v_lshrrev_b32_e32 v18, 19, v9
	v_subrev_u32_e32 v21, 28, v20
	v_and_b32_e32 v18, 15, v18
	v_lshlrev_b32_sdwa v21, v21, v9 dst_sel:DWORD dst_unused:UNUSED_PAD src0_sel:DWORD src1_sel:WORD_1
	v_bfe_u32 v19, v9, 19, 4
	v_sub_u32_e32 v20, 29, v20
	v_and_b32_e32 v21, 7, v21
	v_cmp_eq_u16_e32 vcc, 0, v18
	v_cndmask_b32_e32 v12, v12, v21, vcc
	v_cndmask_b32_e32 v18, v19, v20, vcc
	v_lshlrev_b32_e32 v19, 8, v9
	v_mov_b32_e32 v20, 0x3b800000
	v_lshlrev_b32_e32 v12, 20, v12
	v_and_b32_e32 v19, 0x80000000, v19
	v_lshl_add_u32 v18, v18, 23, v20
	v_or3_b32 v18, v19, v18, v12
.LBB5_1848:
	s_or_b64 exec, exec, s[6:7]
	s_nop 0
	v_mfma_f32_16x16x4f32 a[0:3], v8, v18, a[0:3]
	s_movk_i32 s4, 0x7f
	v_cmp_gt_i16_sdwa s[6:7], v13, s4 src0_sel:BYTE_3 src1_sel:DWORD
	s_mov_b64 s[4:5], 0
                                        ; implicit-def: $sgpr10
	s_and_saveexec_b64 s[8:9], s[6:7]
	s_xor_b64 s[6:7], exec, s[8:9]
	s_cbranch_execnz .LBB5_3897
; %bb.1849:
	s_or_saveexec_b64 s[6:7], s[6:7]
	v_mov_b32_e32 v8, s10
	s_xor_b64 exec, exec, s[6:7]
	s_cbranch_execnz .LBB5_3900
.LBB5_1850:
	s_or_b64 exec, exec, s[6:7]
	s_and_saveexec_b64 s[6:7], s[4:5]
	s_cbranch_execz .LBB5_1852
.LBB5_1851:
	v_bfe_u32 v8, v13, 24, 3
	v_ffbh_u32_e32 v20, v8
	v_min_u32_e32 v20, 32, v20
	v_lshrrev_b32_e32 v18, 27, v13
	v_subrev_u32_e32 v21, 28, v20
	v_and_b32_e32 v12, 0x80000000, v13
	v_and_b32_e32 v18, 15, v18
	v_bfe_u32 v19, v13, 27, 4
	v_lshlrev_b32_sdwa v13, v21, v13 dst_sel:DWORD dst_unused:UNUSED_PAD src0_sel:DWORD src1_sel:BYTE_3
	v_sub_u32_e32 v20, 29, v20
	v_and_b32_e32 v13, 7, v13
	v_cmp_eq_u16_e32 vcc, 0, v18
	v_cndmask_b32_e32 v8, v8, v13, vcc
	v_cndmask_b32_e32 v13, v19, v20, vcc
	v_mov_b32_e32 v18, 0x3b800000
	v_lshlrev_b32_e32 v8, 20, v8
	v_lshl_add_u32 v13, v13, 23, v18
	v_or3_b32 v8, v12, v13, v8
.LBB5_1852:
	s_or_b64 exec, exec, s[6:7]
	s_movk_i32 s4, 0x7f
	v_cmp_gt_i16_sdwa s[6:7], v9, s4 src0_sel:BYTE_3 src1_sel:DWORD
	s_mov_b64 s[4:5], 0
                                        ; implicit-def: $sgpr10
	s_and_saveexec_b64 s[8:9], s[6:7]
	s_xor_b64 s[6:7], exec, s[8:9]
	s_cbranch_execnz .LBB5_3901
; %bb.1853:
	s_or_saveexec_b64 s[6:7], s[6:7]
	v_mov_b32_e32 v12, s10
	s_xor_b64 exec, exec, s[6:7]
	s_cbranch_execnz .LBB5_3904
.LBB5_1854:
	s_or_b64 exec, exec, s[6:7]
	s_and_saveexec_b64 s[6:7], s[4:5]
	s_cbranch_execz .LBB5_1856
.LBB5_1855:
	v_bfe_u32 v12, v9, 24, 3
	v_ffbh_u32_e32 v20, v12
	v_min_u32_e32 v20, 32, v20
	v_lshrrev_b32_e32 v18, 27, v9
	v_subrev_u32_e32 v21, 28, v20
	v_and_b32_e32 v13, 0x80000000, v9
	v_and_b32_e32 v18, 15, v18
	v_bfe_u32 v19, v9, 27, 4
	v_lshlrev_b32_sdwa v9, v21, v9 dst_sel:DWORD dst_unused:UNUSED_PAD src0_sel:DWORD src1_sel:BYTE_3
	v_sub_u32_e32 v20, 29, v20
	v_and_b32_e32 v9, 7, v9
	v_cmp_eq_u16_e32 vcc, 0, v18
	v_cndmask_b32_e32 v9, v12, v9, vcc
	v_cndmask_b32_e32 v12, v19, v20, vcc
	v_mov_b32_e32 v18, 0x3b800000
	v_lshlrev_b32_e32 v9, 20, v9
	v_lshl_add_u32 v12, v12, 23, v18
	v_or3_b32 v12, v13, v12, v9
.LBB5_1856:
	s_or_b64 exec, exec, s[6:7]
	s_nop 0
	v_mfma_f32_16x16x4f32 a[0:3], v8, v12, a[0:3]
	s_movk_i32 s4, 0x7f
	v_cmp_gt_i16_sdwa s[6:7], v14, s4 src0_sel:BYTE_0 src1_sel:DWORD
	s_mov_b64 s[4:5], 0
                                        ; implicit-def: $sgpr10
	s_and_saveexec_b64 s[8:9], s[6:7]
	s_xor_b64 s[6:7], exec, s[8:9]
	s_cbranch_execnz .LBB5_3905
; %bb.1857:
	s_or_saveexec_b64 s[6:7], s[6:7]
	v_mov_b32_e32 v8, s10
	s_xor_b64 exec, exec, s[6:7]
	s_cbranch_execnz .LBB5_3908
.LBB5_1858:
	s_or_b64 exec, exec, s[6:7]
	s_and_saveexec_b64 s[6:7], s[4:5]
	s_cbranch_execz .LBB5_1860
.LBB5_1859:
	v_and_b32_e32 v8, 7, v14
	v_ffbh_u32_e32 v12, v8
	v_min_u32_e32 v12, 32, v12
	v_lshrrev_b16_e32 v9, 3, v14
	v_subrev_u32_e32 v13, 28, v12
	v_and_b32_e32 v9, 15, v9
	v_lshlrev_b32_e32 v13, v13, v14
	v_sub_u32_e32 v12, 29, v12
	v_and_b32_e32 v13, 7, v13
	v_cmp_eq_u16_e32 vcc, 0, v9
	v_cndmask_b32_e32 v8, v8, v13, vcc
	v_cndmask_b32_e32 v9, v9, v12, vcc
	v_lshlrev_b32_e32 v12, 24, v14
	v_mov_b32_e32 v13, 0x3b800000
	v_lshlrev_b32_e32 v8, 20, v8
	v_and_b32_e32 v12, 0x80000000, v12
	v_lshl_add_u32 v9, v9, 23, v13
	v_or3_b32 v8, v12, v9, v8
.LBB5_1860:
	s_or_b64 exec, exec, s[6:7]
	s_movk_i32 s4, 0x7f
	v_cmp_gt_i16_sdwa s[6:7], v10, s4 src0_sel:BYTE_0 src1_sel:DWORD
	s_mov_b64 s[4:5], 0
                                        ; implicit-def: $sgpr10
	s_and_saveexec_b64 s[8:9], s[6:7]
	s_xor_b64 s[6:7], exec, s[8:9]
	s_cbranch_execnz .LBB5_3909
; %bb.1861:
	s_or_saveexec_b64 s[6:7], s[6:7]
	v_mov_b32_e32 v9, s10
	s_xor_b64 exec, exec, s[6:7]
	s_cbranch_execnz .LBB5_3912
.LBB5_1862:
	s_or_b64 exec, exec, s[6:7]
	s_and_saveexec_b64 s[6:7], s[4:5]
	s_cbranch_execz .LBB5_1864
.LBB5_1863:
	v_and_b32_e32 v9, 7, v10
	v_ffbh_u32_e32 v13, v9
	v_min_u32_e32 v13, 32, v13
	v_lshrrev_b16_e32 v12, 3, v10
	v_subrev_u32_e32 v18, 28, v13
	v_and_b32_e32 v12, 15, v12
	v_lshlrev_b32_e32 v18, v18, v10
	v_sub_u32_e32 v13, 29, v13
	v_and_b32_e32 v18, 7, v18
	v_cmp_eq_u16_e32 vcc, 0, v12
	v_cndmask_b32_e32 v9, v9, v18, vcc
	v_cndmask_b32_e32 v12, v12, v13, vcc
	v_lshlrev_b32_e32 v13, 24, v10
	v_mov_b32_e32 v18, 0x3b800000
	v_lshlrev_b32_e32 v9, 20, v9
	v_and_b32_e32 v13, 0x80000000, v13
	v_lshl_add_u32 v12, v12, 23, v18
	v_or3_b32 v9, v13, v12, v9
.LBB5_1864:
	s_or_b64 exec, exec, s[6:7]
	s_nop 0
	v_mfma_f32_16x16x4f32 a[0:3], v8, v9, a[0:3]
	v_lshrrev_b32_e32 v9, 8, v14
	s_movk_i32 s4, 0x7f
	v_cmp_gt_i16_sdwa s[6:7], v9, s4 src0_sel:BYTE_0 src1_sel:DWORD
	s_mov_b64 s[4:5], 0
                                        ; implicit-def: $sgpr10
	s_and_saveexec_b64 s[8:9], s[6:7]
	s_xor_b64 s[6:7], exec, s[8:9]
	s_cbranch_execnz .LBB5_3913
; %bb.1865:
	s_or_saveexec_b64 s[6:7], s[6:7]
	v_mov_b32_e32 v8, s10
	s_xor_b64 exec, exec, s[6:7]
	s_cbranch_execnz .LBB5_3916
.LBB5_1866:
	s_or_b64 exec, exec, s[6:7]
	s_and_saveexec_b64 s[6:7], s[4:5]
	s_cbranch_execz .LBB5_1868
.LBB5_1867:
	v_bfe_u32 v8, v14, 8, 3
	v_ffbh_u32_e32 v13, v8
	v_min_u32_e32 v13, 32, v13
	v_lshrrev_b16_e32 v12, 3, v9
	v_subrev_u32_e32 v18, 28, v13
	v_and_b32_e32 v12, 15, v12
	v_lshlrev_b32_e32 v9, v18, v9
	v_sub_u32_e32 v13, 29, v13
	v_and_b32_e32 v9, 7, v9
	v_cmp_eq_u16_e32 vcc, 0, v12
	v_cndmask_b32_e32 v8, v8, v9, vcc
	v_cndmask_b32_e32 v9, v12, v13, vcc
	v_lshlrev_b32_e32 v12, 16, v14
	v_mov_b32_e32 v13, 0x3b800000
	v_lshlrev_b32_e32 v8, 20, v8
	v_and_b32_e32 v12, 0x80000000, v12
	v_lshl_add_u32 v9, v9, 23, v13
	v_or3_b32 v8, v12, v9, v8
.LBB5_1868:
	s_or_b64 exec, exec, s[6:7]
	v_lshrrev_b32_e32 v9, 8, v10
	s_movk_i32 s4, 0x7f
	v_cmp_gt_i16_sdwa s[6:7], v9, s4 src0_sel:BYTE_0 src1_sel:DWORD
	s_mov_b64 s[4:5], 0
                                        ; implicit-def: $sgpr10
	s_and_saveexec_b64 s[8:9], s[6:7]
	s_xor_b64 s[6:7], exec, s[8:9]
	s_cbranch_execnz .LBB5_3917
; %bb.1869:
	s_or_saveexec_b64 s[6:7], s[6:7]
	v_mov_b32_e32 v12, s10
	s_xor_b64 exec, exec, s[6:7]
	s_cbranch_execnz .LBB5_3920
.LBB5_1870:
	s_or_b64 exec, exec, s[6:7]
	s_and_saveexec_b64 s[6:7], s[4:5]
	s_cbranch_execz .LBB5_1872
.LBB5_1871:
	v_bfe_u32 v12, v10, 8, 3
	v_ffbh_u32_e32 v18, v12
	v_min_u32_e32 v18, 32, v18
	v_lshrrev_b16_e32 v13, 3, v9
	v_subrev_u32_e32 v19, 28, v18
	v_and_b32_e32 v13, 15, v13
	v_lshlrev_b32_e32 v9, v19, v9
	v_sub_u32_e32 v18, 29, v18
	v_and_b32_e32 v9, 7, v9
	v_cmp_eq_u16_e32 vcc, 0, v13
	v_cndmask_b32_e32 v9, v12, v9, vcc
	v_cndmask_b32_e32 v12, v13, v18, vcc
	v_lshlrev_b32_e32 v13, 16, v10
	v_mov_b32_e32 v18, 0x3b800000
	v_lshlrev_b32_e32 v9, 20, v9
	v_and_b32_e32 v13, 0x80000000, v13
	v_lshl_add_u32 v12, v12, 23, v18
	v_or3_b32 v12, v13, v12, v9
.LBB5_1872:
	s_or_b64 exec, exec, s[6:7]
	s_nop 0
	v_mfma_f32_16x16x4f32 a[0:3], v8, v12, a[0:3]
	s_movk_i32 s4, 0xff
	v_and_b32_sdwa v9, v14, s4 dst_sel:DWORD dst_unused:UNUSED_PAD src0_sel:WORD_1 src1_sel:DWORD
	s_movk_i32 s4, 0x7f
	v_cmp_lt_i16_e32 vcc, s4, v9
	s_mov_b64 s[4:5], 0
                                        ; implicit-def: $sgpr10
	s_and_saveexec_b64 s[6:7], vcc
	s_xor_b64 s[6:7], exec, s[6:7]
	s_cbranch_execnz .LBB5_3921
; %bb.1873:
	s_or_saveexec_b64 s[6:7], s[6:7]
	v_mov_b32_e32 v8, s10
	s_xor_b64 exec, exec, s[6:7]
	s_cbranch_execnz .LBB5_3924
.LBB5_1874:
	s_or_b64 exec, exec, s[6:7]
	s_and_saveexec_b64 s[6:7], s[4:5]
	s_cbranch_execz .LBB5_1876
.LBB5_1875:
	v_bfe_u32 v8, v14, 16, 3
	v_ffbh_u32_e32 v13, v8
	v_min_u32_e32 v13, 32, v13
	v_lshrrev_b32_e32 v9, 19, v14
	v_subrev_u32_e32 v18, 28, v13
	v_and_b32_e32 v9, 15, v9
	v_lshlrev_b32_sdwa v18, v18, v14 dst_sel:DWORD dst_unused:UNUSED_PAD src0_sel:DWORD src1_sel:WORD_1
	v_bfe_u32 v12, v14, 19, 4
	v_sub_u32_e32 v13, 29, v13
	v_and_b32_e32 v18, 7, v18
	v_cmp_eq_u16_e32 vcc, 0, v9
	v_cndmask_b32_e32 v8, v8, v18, vcc
	v_cndmask_b32_e32 v9, v12, v13, vcc
	v_lshlrev_b32_e32 v12, 8, v14
	v_mov_b32_e32 v13, 0x3b800000
	v_lshlrev_b32_e32 v8, 20, v8
	v_and_b32_e32 v12, 0x80000000, v12
	v_lshl_add_u32 v9, v9, 23, v13
	v_or3_b32 v8, v12, v9, v8
.LBB5_1876:
	s_or_b64 exec, exec, s[6:7]
	s_movk_i32 s4, 0xff
	v_and_b32_sdwa v9, v10, s4 dst_sel:DWORD dst_unused:UNUSED_PAD src0_sel:WORD_1 src1_sel:DWORD
	s_movk_i32 s4, 0x7f
	v_cmp_lt_i16_e32 vcc, s4, v9
	s_mov_b64 s[4:5], 0
                                        ; implicit-def: $sgpr10
	s_and_saveexec_b64 s[6:7], vcc
	s_xor_b64 s[6:7], exec, s[6:7]
	s_cbranch_execnz .LBB5_3925
; %bb.1877:
	s_or_saveexec_b64 s[6:7], s[6:7]
	v_mov_b32_e32 v12, s10
	s_xor_b64 exec, exec, s[6:7]
	s_cbranch_execnz .LBB5_3928
.LBB5_1878:
	s_or_b64 exec, exec, s[6:7]
	s_and_saveexec_b64 s[6:7], s[4:5]
	s_cbranch_execz .LBB5_1880
.LBB5_1879:
	v_bfe_u32 v9, v10, 16, 3
	v_ffbh_u32_e32 v18, v9
	v_min_u32_e32 v18, 32, v18
	v_lshrrev_b32_e32 v12, 19, v10
	v_subrev_u32_e32 v19, 28, v18
	v_and_b32_e32 v12, 15, v12
	v_lshlrev_b32_sdwa v19, v19, v10 dst_sel:DWORD dst_unused:UNUSED_PAD src0_sel:DWORD src1_sel:WORD_1
	v_bfe_u32 v13, v10, 19, 4
	v_sub_u32_e32 v18, 29, v18
	v_and_b32_e32 v19, 7, v19
	v_cmp_eq_u16_e32 vcc, 0, v12
	v_cndmask_b32_e32 v9, v9, v19, vcc
	v_cndmask_b32_e32 v12, v13, v18, vcc
	v_lshlrev_b32_e32 v13, 8, v10
	v_mov_b32_e32 v18, 0x3b800000
	v_lshlrev_b32_e32 v9, 20, v9
	v_and_b32_e32 v13, 0x80000000, v13
	v_lshl_add_u32 v12, v12, 23, v18
	v_or3_b32 v12, v13, v12, v9
.LBB5_1880:
	s_or_b64 exec, exec, s[6:7]
	s_nop 0
	v_mfma_f32_16x16x4f32 a[0:3], v8, v12, a[0:3]
	s_movk_i32 s4, 0x7f
	v_cmp_gt_i16_sdwa s[6:7], v14, s4 src0_sel:BYTE_3 src1_sel:DWORD
	s_mov_b64 s[4:5], 0
                                        ; implicit-def: $sgpr10
	s_and_saveexec_b64 s[8:9], s[6:7]
	s_xor_b64 s[6:7], exec, s[8:9]
	s_cbranch_execnz .LBB5_3929
; %bb.1881:
	s_or_saveexec_b64 s[6:7], s[6:7]
	v_mov_b32_e32 v8, s10
	s_xor_b64 exec, exec, s[6:7]
	s_cbranch_execnz .LBB5_3932
.LBB5_1882:
	s_or_b64 exec, exec, s[6:7]
	s_and_saveexec_b64 s[6:7], s[4:5]
	s_cbranch_execz .LBB5_1884
.LBB5_1883:
	v_bfe_u32 v8, v14, 24, 3
	v_ffbh_u32_e32 v18, v8
	v_min_u32_e32 v18, 32, v18
	v_lshrrev_b32_e32 v12, 27, v14
	v_subrev_u32_e32 v19, 28, v18
	v_and_b32_e32 v9, 0x80000000, v14
	v_and_b32_e32 v12, 15, v12
	v_bfe_u32 v13, v14, 27, 4
	v_lshlrev_b32_sdwa v14, v19, v14 dst_sel:DWORD dst_unused:UNUSED_PAD src0_sel:DWORD src1_sel:BYTE_3
	v_sub_u32_e32 v18, 29, v18
	v_and_b32_e32 v14, 7, v14
	v_cmp_eq_u16_e32 vcc, 0, v12
	v_cndmask_b32_e32 v8, v8, v14, vcc
	v_cndmask_b32_e32 v12, v13, v18, vcc
	v_mov_b32_e32 v13, 0x3b800000
	v_lshlrev_b32_e32 v8, 20, v8
	v_lshl_add_u32 v12, v12, 23, v13
	v_or3_b32 v8, v9, v12, v8
.LBB5_1884:
	s_or_b64 exec, exec, s[6:7]
	s_movk_i32 s4, 0x7f
	v_cmp_gt_i16_sdwa s[6:7], v10, s4 src0_sel:BYTE_3 src1_sel:DWORD
	s_mov_b64 s[4:5], 0
                                        ; implicit-def: $sgpr10
	s_and_saveexec_b64 s[8:9], s[6:7]
	s_xor_b64 s[6:7], exec, s[8:9]
	s_cbranch_execnz .LBB5_3933
; %bb.1885:
	s_or_saveexec_b64 s[6:7], s[6:7]
	v_mov_b32_e32 v9, s10
	s_xor_b64 exec, exec, s[6:7]
	s_cbranch_execnz .LBB5_3936
.LBB5_1886:
	s_or_b64 exec, exec, s[6:7]
	s_and_saveexec_b64 s[6:7], s[4:5]
	s_cbranch_execz .LBB5_1888
.LBB5_1887:
	v_bfe_u32 v9, v10, 24, 3
	v_ffbh_u32_e32 v18, v9
	v_min_u32_e32 v18, 32, v18
	v_lshrrev_b32_e32 v13, 27, v10
	v_subrev_u32_e32 v19, 28, v18
	v_and_b32_e32 v12, 0x80000000, v10
	v_and_b32_e32 v13, 15, v13
	v_bfe_u32 v14, v10, 27, 4
	v_lshlrev_b32_sdwa v10, v19, v10 dst_sel:DWORD dst_unused:UNUSED_PAD src0_sel:DWORD src1_sel:BYTE_3
	v_sub_u32_e32 v18, 29, v18
	v_and_b32_e32 v10, 7, v10
	v_cmp_eq_u16_e32 vcc, 0, v13
	v_cndmask_b32_e32 v9, v9, v10, vcc
	v_cndmask_b32_e32 v10, v14, v18, vcc
	v_mov_b32_e32 v13, 0x3b800000
	v_lshlrev_b32_e32 v9, 20, v9
	v_lshl_add_u32 v10, v10, 23, v13
	v_or3_b32 v9, v12, v10, v9
.LBB5_1888:
	s_or_b64 exec, exec, s[6:7]
	s_nop 0
	v_mfma_f32_16x16x4f32 a[0:3], v8, v9, a[0:3]
	s_movk_i32 s4, 0x7f
	v_cmp_gt_i16_sdwa s[6:7], v15, s4 src0_sel:BYTE_0 src1_sel:DWORD
	s_mov_b64 s[4:5], 0
                                        ; implicit-def: $sgpr10
	s_and_saveexec_b64 s[8:9], s[6:7]
	s_xor_b64 s[6:7], exec, s[8:9]
	s_cbranch_execnz .LBB5_3937
; %bb.1889:
	s_or_saveexec_b64 s[6:7], s[6:7]
	v_mov_b32_e32 v8, s10
	s_xor_b64 exec, exec, s[6:7]
	s_cbranch_execnz .LBB5_3940
.LBB5_1890:
	s_or_b64 exec, exec, s[6:7]
	s_and_saveexec_b64 s[6:7], s[4:5]
	s_cbranch_execz .LBB5_1892
.LBB5_1891:
	v_and_b32_e32 v8, 7, v15
	v_ffbh_u32_e32 v10, v8
	v_min_u32_e32 v10, 32, v10
	v_lshrrev_b16_e32 v9, 3, v15
	v_subrev_u32_e32 v12, 28, v10
	v_and_b32_e32 v9, 15, v9
	v_lshlrev_b32_e32 v12, v12, v15
	v_sub_u32_e32 v10, 29, v10
	v_and_b32_e32 v12, 7, v12
	v_cmp_eq_u16_e32 vcc, 0, v9
	v_cndmask_b32_e32 v8, v8, v12, vcc
	v_cndmask_b32_e32 v9, v9, v10, vcc
	v_lshlrev_b32_e32 v10, 24, v15
	v_mov_b32_e32 v12, 0x3b800000
	v_lshlrev_b32_e32 v8, 20, v8
	v_and_b32_e32 v10, 0x80000000, v10
	v_lshl_add_u32 v9, v9, 23, v12
	v_or3_b32 v8, v10, v9, v8
.LBB5_1892:
	s_or_b64 exec, exec, s[6:7]
	s_movk_i32 s4, 0x7f
	v_cmp_gt_i16_sdwa s[6:7], v11, s4 src0_sel:BYTE_0 src1_sel:DWORD
	s_mov_b64 s[4:5], 0
                                        ; implicit-def: $sgpr10
	s_and_saveexec_b64 s[8:9], s[6:7]
	s_xor_b64 s[6:7], exec, s[8:9]
	s_cbranch_execnz .LBB5_3941
; %bb.1893:
	s_or_saveexec_b64 s[6:7], s[6:7]
	v_mov_b32_e32 v9, s10
	s_xor_b64 exec, exec, s[6:7]
	s_cbranch_execnz .LBB5_3944
.LBB5_1894:
	s_or_b64 exec, exec, s[6:7]
	s_and_saveexec_b64 s[6:7], s[4:5]
	s_cbranch_execz .LBB5_1896
.LBB5_1895:
	v_and_b32_e32 v9, 7, v11
	v_ffbh_u32_e32 v12, v9
	v_min_u32_e32 v12, 32, v12
	v_lshrrev_b16_e32 v10, 3, v11
	v_subrev_u32_e32 v13, 28, v12
	v_and_b32_e32 v10, 15, v10
	v_lshlrev_b32_e32 v13, v13, v11
	v_sub_u32_e32 v12, 29, v12
	v_and_b32_e32 v13, 7, v13
	v_cmp_eq_u16_e32 vcc, 0, v10
	v_cndmask_b32_e32 v9, v9, v13, vcc
	v_cndmask_b32_e32 v10, v10, v12, vcc
	v_lshlrev_b32_e32 v12, 24, v11
	v_mov_b32_e32 v13, 0x3b800000
	v_lshlrev_b32_e32 v9, 20, v9
	v_and_b32_e32 v12, 0x80000000, v12
	v_lshl_add_u32 v10, v10, 23, v13
	v_or3_b32 v9, v12, v10, v9
.LBB5_1896:
	s_or_b64 exec, exec, s[6:7]
	s_nop 0
	v_mfma_f32_16x16x4f32 a[0:3], v8, v9, a[0:3]
	v_lshrrev_b32_e32 v9, 8, v15
	s_movk_i32 s4, 0x7f
	v_cmp_gt_i16_sdwa s[6:7], v9, s4 src0_sel:BYTE_0 src1_sel:DWORD
	s_mov_b64 s[4:5], 0
                                        ; implicit-def: $sgpr10
	s_and_saveexec_b64 s[8:9], s[6:7]
	s_xor_b64 s[6:7], exec, s[8:9]
	s_cbranch_execnz .LBB5_3945
; %bb.1897:
	s_or_saveexec_b64 s[6:7], s[6:7]
	v_mov_b32_e32 v8, s10
	s_xor_b64 exec, exec, s[6:7]
	s_cbranch_execnz .LBB5_3948
.LBB5_1898:
	s_or_b64 exec, exec, s[6:7]
	s_and_saveexec_b64 s[6:7], s[4:5]
	s_cbranch_execz .LBB5_1900
.LBB5_1899:
	v_bfe_u32 v8, v15, 8, 3
	v_ffbh_u32_e32 v12, v8
	v_min_u32_e32 v12, 32, v12
	v_lshrrev_b16_e32 v10, 3, v9
	v_subrev_u32_e32 v13, 28, v12
	v_and_b32_e32 v10, 15, v10
	v_lshlrev_b32_e32 v9, v13, v9
	v_sub_u32_e32 v12, 29, v12
	v_and_b32_e32 v9, 7, v9
	v_cmp_eq_u16_e32 vcc, 0, v10
	v_cndmask_b32_e32 v8, v8, v9, vcc
	v_cndmask_b32_e32 v9, v10, v12, vcc
	v_lshlrev_b32_e32 v10, 16, v15
	v_mov_b32_e32 v12, 0x3b800000
	v_lshlrev_b32_e32 v8, 20, v8
	v_and_b32_e32 v10, 0x80000000, v10
	v_lshl_add_u32 v9, v9, 23, v12
	v_or3_b32 v8, v10, v9, v8
.LBB5_1900:
	s_or_b64 exec, exec, s[6:7]
	v_lshrrev_b32_e32 v9, 8, v11
	s_movk_i32 s4, 0x7f
	v_cmp_gt_i16_sdwa s[6:7], v9, s4 src0_sel:BYTE_0 src1_sel:DWORD
	s_mov_b64 s[4:5], 0
                                        ; implicit-def: $sgpr10
	s_and_saveexec_b64 s[8:9], s[6:7]
	s_xor_b64 s[6:7], exec, s[8:9]
	s_cbranch_execnz .LBB5_3949
; %bb.1901:
	s_or_saveexec_b64 s[6:7], s[6:7]
	v_mov_b32_e32 v10, s10
	s_xor_b64 exec, exec, s[6:7]
	s_cbranch_execnz .LBB5_3952
.LBB5_1902:
	s_or_b64 exec, exec, s[6:7]
	s_and_saveexec_b64 s[6:7], s[4:5]
	s_cbranch_execz .LBB5_1904
.LBB5_1903:
	v_bfe_u32 v10, v11, 8, 3
	v_ffbh_u32_e32 v13, v10
	v_min_u32_e32 v13, 32, v13
	v_lshrrev_b16_e32 v12, 3, v9
	v_subrev_u32_e32 v14, 28, v13
	v_and_b32_e32 v12, 15, v12
	v_lshlrev_b32_e32 v9, v14, v9
	v_sub_u32_e32 v13, 29, v13
	v_and_b32_e32 v9, 7, v9
	v_cmp_eq_u16_e32 vcc, 0, v12
	v_cndmask_b32_e32 v9, v10, v9, vcc
	v_cndmask_b32_e32 v10, v12, v13, vcc
	v_lshlrev_b32_e32 v12, 16, v11
	v_mov_b32_e32 v13, 0x3b800000
	v_lshlrev_b32_e32 v9, 20, v9
	v_and_b32_e32 v12, 0x80000000, v12
	v_lshl_add_u32 v10, v10, 23, v13
	v_or3_b32 v10, v12, v10, v9
.LBB5_1904:
	s_or_b64 exec, exec, s[6:7]
	s_nop 0
	v_mfma_f32_16x16x4f32 a[0:3], v8, v10, a[0:3]
	s_movk_i32 s4, 0xff
	v_and_b32_sdwa v9, v15, s4 dst_sel:DWORD dst_unused:UNUSED_PAD src0_sel:WORD_1 src1_sel:DWORD
	s_movk_i32 s4, 0x7f
	v_cmp_lt_i16_e32 vcc, s4, v9
	s_mov_b64 s[4:5], 0
                                        ; implicit-def: $sgpr10
	s_and_saveexec_b64 s[6:7], vcc
	s_xor_b64 s[6:7], exec, s[6:7]
	s_cbranch_execnz .LBB5_3953
; %bb.1905:
	s_or_saveexec_b64 s[6:7], s[6:7]
	v_mov_b32_e32 v8, s10
	s_xor_b64 exec, exec, s[6:7]
	s_cbranch_execnz .LBB5_3956
.LBB5_1906:
	s_or_b64 exec, exec, s[6:7]
	s_and_saveexec_b64 s[6:7], s[4:5]
	s_cbranch_execz .LBB5_1908
.LBB5_1907:
	v_bfe_u32 v8, v15, 16, 3
	v_ffbh_u32_e32 v12, v8
	v_min_u32_e32 v12, 32, v12
	v_lshrrev_b32_e32 v9, 19, v15
	v_subrev_u32_e32 v13, 28, v12
	v_and_b32_e32 v9, 15, v9
	v_lshlrev_b32_sdwa v13, v13, v15 dst_sel:DWORD dst_unused:UNUSED_PAD src0_sel:DWORD src1_sel:WORD_1
	v_bfe_u32 v10, v15, 19, 4
	v_sub_u32_e32 v12, 29, v12
	v_and_b32_e32 v13, 7, v13
	v_cmp_eq_u16_e32 vcc, 0, v9
	v_cndmask_b32_e32 v8, v8, v13, vcc
	v_cndmask_b32_e32 v9, v10, v12, vcc
	v_lshlrev_b32_e32 v10, 8, v15
	v_mov_b32_e32 v12, 0x3b800000
	v_lshlrev_b32_e32 v8, 20, v8
	v_and_b32_e32 v10, 0x80000000, v10
	v_lshl_add_u32 v9, v9, 23, v12
	v_or3_b32 v8, v10, v9, v8
.LBB5_1908:
	s_or_b64 exec, exec, s[6:7]
	s_movk_i32 s4, 0xff
	v_and_b32_sdwa v9, v11, s4 dst_sel:DWORD dst_unused:UNUSED_PAD src0_sel:WORD_1 src1_sel:DWORD
	s_movk_i32 s4, 0x7f
	v_cmp_lt_i16_e32 vcc, s4, v9
	s_mov_b64 s[4:5], 0
                                        ; implicit-def: $sgpr10
	s_and_saveexec_b64 s[6:7], vcc
	s_xor_b64 s[6:7], exec, s[6:7]
	s_cbranch_execnz .LBB5_3957
; %bb.1909:
	s_or_saveexec_b64 s[6:7], s[6:7]
	v_mov_b32_e32 v10, s10
	s_xor_b64 exec, exec, s[6:7]
	s_cbranch_execnz .LBB5_3960
.LBB5_1910:
	s_or_b64 exec, exec, s[6:7]
	s_and_saveexec_b64 s[6:7], s[4:5]
	s_cbranch_execz .LBB5_1912
.LBB5_1911:
	v_bfe_u32 v9, v11, 16, 3
	v_ffbh_u32_e32 v13, v9
	v_min_u32_e32 v13, 32, v13
	v_lshrrev_b32_e32 v10, 19, v11
	v_subrev_u32_e32 v14, 28, v13
	v_and_b32_e32 v10, 15, v10
	v_lshlrev_b32_sdwa v14, v14, v11 dst_sel:DWORD dst_unused:UNUSED_PAD src0_sel:DWORD src1_sel:WORD_1
	v_bfe_u32 v12, v11, 19, 4
	v_sub_u32_e32 v13, 29, v13
	v_and_b32_e32 v14, 7, v14
	v_cmp_eq_u16_e32 vcc, 0, v10
	v_cndmask_b32_e32 v9, v9, v14, vcc
	v_cndmask_b32_e32 v10, v12, v13, vcc
	v_lshlrev_b32_e32 v12, 8, v11
	v_mov_b32_e32 v13, 0x3b800000
	v_lshlrev_b32_e32 v9, 20, v9
	v_and_b32_e32 v12, 0x80000000, v12
	v_lshl_add_u32 v10, v10, 23, v13
	v_or3_b32 v10, v12, v10, v9
.LBB5_1912:
	s_or_b64 exec, exec, s[6:7]
	s_nop 0
	v_mfma_f32_16x16x4f32 a[0:3], v8, v10, a[0:3]
	s_movk_i32 s4, 0x7f
	v_cmp_gt_i16_sdwa s[6:7], v15, s4 src0_sel:BYTE_3 src1_sel:DWORD
	s_mov_b64 s[4:5], 0
                                        ; implicit-def: $sgpr10
	s_and_saveexec_b64 s[8:9], s[6:7]
	s_xor_b64 s[6:7], exec, s[8:9]
	s_cbranch_execnz .LBB5_3961
; %bb.1913:
	s_or_saveexec_b64 s[6:7], s[6:7]
	v_mov_b32_e32 v8, s10
	s_xor_b64 exec, exec, s[6:7]
	s_cbranch_execnz .LBB5_3964
.LBB5_1914:
	s_or_b64 exec, exec, s[6:7]
	s_and_saveexec_b64 s[6:7], s[4:5]
	s_cbranch_execz .LBB5_1916
.LBB5_1915:
	v_bfe_u32 v8, v15, 24, 3
	v_ffbh_u32_e32 v13, v8
	v_min_u32_e32 v13, 32, v13
	v_lshrrev_b32_e32 v10, 27, v15
	v_subrev_u32_e32 v14, 28, v13
	v_and_b32_e32 v10, 15, v10
	v_lshlrev_b32_sdwa v14, v14, v15 dst_sel:DWORD dst_unused:UNUSED_PAD src0_sel:DWORD src1_sel:BYTE_3
	v_bfe_u32 v12, v15, 27, 4
	v_sub_u32_e32 v13, 29, v13
	v_and_b32_e32 v14, 7, v14
	v_cmp_eq_u16_e32 vcc, 0, v10
	v_cndmask_b32_e32 v8, v8, v14, vcc
	v_cndmask_b32_e32 v10, v12, v13, vcc
	v_mov_b32_e32 v12, 0x3b800000
	v_and_b32_e32 v9, 0x80000000, v15
	v_lshlrev_b32_e32 v8, 20, v8
	v_lshl_add_u32 v10, v10, 23, v12
	v_or3_b32 v8, v9, v10, v8
.LBB5_1916:
	s_or_b64 exec, exec, s[6:7]
	s_movk_i32 s4, 0x7f
	v_cmp_gt_i16_sdwa s[6:7], v11, s4 src0_sel:BYTE_3 src1_sel:DWORD
	s_mov_b64 s[4:5], 0
                                        ; implicit-def: $sgpr10
	s_and_saveexec_b64 s[8:9], s[6:7]
	s_xor_b64 s[6:7], exec, s[8:9]
	s_cbranch_execnz .LBB5_3965
; %bb.1917:
	s_or_saveexec_b64 s[6:7], s[6:7]
	v_mov_b32_e32 v9, s10
	s_xor_b64 exec, exec, s[6:7]
	s_cbranch_execnz .LBB5_3968
.LBB5_1918:
	s_or_b64 exec, exec, s[6:7]
	s_and_saveexec_b64 s[6:7], s[4:5]
	s_cbranch_execz .LBB5_1920
.LBB5_1919:
	v_bfe_u32 v9, v11, 24, 3
	v_ffbh_u32_e32 v14, v9
	v_min_u32_e32 v14, 32, v14
	v_lshrrev_b32_e32 v12, 27, v11
	v_subrev_u32_e32 v15, 28, v14
	v_and_b32_e32 v10, 0x80000000, v11
	v_and_b32_e32 v12, 15, v12
	v_bfe_u32 v13, v11, 27, 4
	v_lshlrev_b32_sdwa v11, v15, v11 dst_sel:DWORD dst_unused:UNUSED_PAD src0_sel:DWORD src1_sel:BYTE_3
	v_sub_u32_e32 v14, 29, v14
	v_and_b32_e32 v11, 7, v11
	v_cmp_eq_u16_e32 vcc, 0, v12
	v_cndmask_b32_e32 v9, v9, v11, vcc
	v_cndmask_b32_e32 v11, v13, v14, vcc
	v_mov_b32_e32 v12, 0x3b800000
	v_lshlrev_b32_e32 v9, 20, v9
	v_lshl_add_u32 v11, v11, 23, v12
	v_or3_b32 v9, v10, v11, v9
.LBB5_1920:
	s_or_b64 exec, exec, s[6:7]
	s_nop 0
	v_mfma_f32_16x16x4f32 a[0:3], v8, v9, a[0:3]
	s_movk_i32 s4, 0x7f
	v_cmp_gt_i16_sdwa s[6:7], v4, s4 src0_sel:BYTE_0 src1_sel:DWORD
	s_mov_b64 s[4:5], 0
                                        ; implicit-def: $sgpr10
	s_and_saveexec_b64 s[8:9], s[6:7]
	s_xor_b64 s[6:7], exec, s[8:9]
	s_cbranch_execnz .LBB5_3969
; %bb.1921:
	s_or_saveexec_b64 s[6:7], s[6:7]
	v_mov_b32_e32 v8, s10
	s_xor_b64 exec, exec, s[6:7]
	s_cbranch_execnz .LBB5_3972
.LBB5_1922:
	s_or_b64 exec, exec, s[6:7]
	s_and_saveexec_b64 s[6:7], s[4:5]
	s_cbranch_execz .LBB5_1924
.LBB5_1923:
	v_and_b32_e32 v8, 7, v4
	v_ffbh_u32_e32 v10, v8
	v_min_u32_e32 v10, 32, v10
	v_lshrrev_b16_e32 v9, 3, v4
	v_subrev_u32_e32 v11, 28, v10
	v_and_b32_e32 v9, 15, v9
	v_lshlrev_b32_e32 v11, v11, v4
	v_sub_u32_e32 v10, 29, v10
	v_and_b32_e32 v11, 7, v11
	v_cmp_eq_u16_e32 vcc, 0, v9
	v_cndmask_b32_e32 v8, v8, v11, vcc
	v_cndmask_b32_e32 v9, v9, v10, vcc
	v_lshlrev_b32_e32 v10, 24, v4
	v_mov_b32_e32 v11, 0x3b800000
	v_lshlrev_b32_e32 v8, 20, v8
	v_and_b32_e32 v10, 0x80000000, v10
	v_lshl_add_u32 v9, v9, 23, v11
	v_or3_b32 v8, v10, v9, v8
.LBB5_1924:
	s_or_b64 exec, exec, s[6:7]
	s_movk_i32 s4, 0x7f
	v_cmp_gt_i16_sdwa s[6:7], v0, s4 src0_sel:BYTE_0 src1_sel:DWORD
	s_mov_b64 s[4:5], 0
                                        ; implicit-def: $sgpr10
	s_and_saveexec_b64 s[8:9], s[6:7]
	s_xor_b64 s[6:7], exec, s[8:9]
	s_cbranch_execnz .LBB5_3973
; %bb.1925:
	s_or_saveexec_b64 s[6:7], s[6:7]
	v_mov_b32_e32 v9, s10
	s_xor_b64 exec, exec, s[6:7]
	s_cbranch_execnz .LBB5_3976
.LBB5_1926:
	s_or_b64 exec, exec, s[6:7]
	s_and_saveexec_b64 s[6:7], s[4:5]
	s_cbranch_execz .LBB5_1928
.LBB5_1927:
	v_and_b32_e32 v9, 7, v0
	v_ffbh_u32_e32 v11, v9
	v_min_u32_e32 v11, 32, v11
	v_lshrrev_b16_e32 v10, 3, v0
	v_subrev_u32_e32 v12, 28, v11
	v_and_b32_e32 v10, 15, v10
	v_lshlrev_b32_e32 v12, v12, v0
	v_sub_u32_e32 v11, 29, v11
	v_and_b32_e32 v12, 7, v12
	v_cmp_eq_u16_e32 vcc, 0, v10
	v_cndmask_b32_e32 v9, v9, v12, vcc
	v_cndmask_b32_e32 v10, v10, v11, vcc
	v_lshlrev_b32_e32 v11, 24, v0
	v_mov_b32_e32 v12, 0x3b800000
	v_lshlrev_b32_e32 v9, 20, v9
	v_and_b32_e32 v11, 0x80000000, v11
	v_lshl_add_u32 v10, v10, 23, v12
	v_or3_b32 v9, v11, v10, v9
.LBB5_1928:
	s_or_b64 exec, exec, s[6:7]
	s_nop 0
	v_mfma_f32_16x16x4f32 a[0:3], v8, v9, a[0:3]
	v_lshrrev_b32_e32 v9, 8, v4
	s_movk_i32 s4, 0x7f
	v_cmp_gt_i16_sdwa s[6:7], v9, s4 src0_sel:BYTE_0 src1_sel:DWORD
	s_mov_b64 s[4:5], 0
                                        ; implicit-def: $sgpr10
	s_and_saveexec_b64 s[8:9], s[6:7]
	s_xor_b64 s[6:7], exec, s[8:9]
	s_cbranch_execnz .LBB5_3977
; %bb.1929:
	s_or_saveexec_b64 s[6:7], s[6:7]
	v_mov_b32_e32 v8, s10
	s_xor_b64 exec, exec, s[6:7]
	s_cbranch_execnz .LBB5_3980
.LBB5_1930:
	s_or_b64 exec, exec, s[6:7]
	s_and_saveexec_b64 s[6:7], s[4:5]
	s_cbranch_execz .LBB5_1932
.LBB5_1931:
	v_bfe_u32 v8, v4, 8, 3
	v_ffbh_u32_e32 v11, v8
	v_min_u32_e32 v11, 32, v11
	v_lshrrev_b16_e32 v10, 3, v9
	v_subrev_u32_e32 v12, 28, v11
	v_and_b32_e32 v10, 15, v10
	v_lshlrev_b32_e32 v9, v12, v9
	v_sub_u32_e32 v11, 29, v11
	v_and_b32_e32 v9, 7, v9
	v_cmp_eq_u16_e32 vcc, 0, v10
	v_cndmask_b32_e32 v8, v8, v9, vcc
	v_cndmask_b32_e32 v9, v10, v11, vcc
	v_lshlrev_b32_e32 v10, 16, v4
	v_mov_b32_e32 v11, 0x3b800000
	v_lshlrev_b32_e32 v8, 20, v8
	v_and_b32_e32 v10, 0x80000000, v10
	v_lshl_add_u32 v9, v9, 23, v11
	v_or3_b32 v8, v10, v9, v8
.LBB5_1932:
	s_or_b64 exec, exec, s[6:7]
	v_lshrrev_b32_e32 v9, 8, v0
	s_movk_i32 s4, 0x7f
	v_cmp_gt_i16_sdwa s[6:7], v9, s4 src0_sel:BYTE_0 src1_sel:DWORD
	s_mov_b64 s[4:5], 0
                                        ; implicit-def: $sgpr10
	s_and_saveexec_b64 s[8:9], s[6:7]
	s_xor_b64 s[6:7], exec, s[8:9]
	s_cbranch_execnz .LBB5_3981
; %bb.1933:
	s_or_saveexec_b64 s[6:7], s[6:7]
	v_mov_b32_e32 v10, s10
	s_xor_b64 exec, exec, s[6:7]
	s_cbranch_execnz .LBB5_3984
.LBB5_1934:
	s_or_b64 exec, exec, s[6:7]
	s_and_saveexec_b64 s[6:7], s[4:5]
	s_cbranch_execz .LBB5_1936
.LBB5_1935:
	v_bfe_u32 v10, v0, 8, 3
	v_ffbh_u32_e32 v12, v10
	v_min_u32_e32 v12, 32, v12
	v_lshrrev_b16_e32 v11, 3, v9
	v_subrev_u32_e32 v13, 28, v12
	v_and_b32_e32 v11, 15, v11
	v_lshlrev_b32_e32 v9, v13, v9
	v_sub_u32_e32 v12, 29, v12
	v_and_b32_e32 v9, 7, v9
	v_cmp_eq_u16_e32 vcc, 0, v11
	v_cndmask_b32_e32 v9, v10, v9, vcc
	v_cndmask_b32_e32 v10, v11, v12, vcc
	v_lshlrev_b32_e32 v11, 16, v0
	v_mov_b32_e32 v12, 0x3b800000
	v_lshlrev_b32_e32 v9, 20, v9
	v_and_b32_e32 v11, 0x80000000, v11
	v_lshl_add_u32 v10, v10, 23, v12
	v_or3_b32 v10, v11, v10, v9
.LBB5_1936:
	s_or_b64 exec, exec, s[6:7]
	s_nop 0
	v_mfma_f32_16x16x4f32 a[0:3], v8, v10, a[0:3]
	s_movk_i32 s4, 0xff
	v_and_b32_sdwa v9, v4, s4 dst_sel:DWORD dst_unused:UNUSED_PAD src0_sel:WORD_1 src1_sel:DWORD
	s_movk_i32 s4, 0x7f
	v_cmp_lt_i16_e32 vcc, s4, v9
	s_mov_b64 s[4:5], 0
                                        ; implicit-def: $sgpr10
	s_and_saveexec_b64 s[6:7], vcc
	s_xor_b64 s[6:7], exec, s[6:7]
	s_cbranch_execnz .LBB5_3985
; %bb.1937:
	s_or_saveexec_b64 s[6:7], s[6:7]
	v_mov_b32_e32 v8, s10
	s_xor_b64 exec, exec, s[6:7]
	s_cbranch_execnz .LBB5_3988
.LBB5_1938:
	s_or_b64 exec, exec, s[6:7]
	s_and_saveexec_b64 s[6:7], s[4:5]
	s_cbranch_execz .LBB5_1940
.LBB5_1939:
	v_bfe_u32 v8, v4, 16, 3
	v_ffbh_u32_e32 v11, v8
	v_min_u32_e32 v11, 32, v11
	v_lshrrev_b32_e32 v9, 19, v4
	v_subrev_u32_e32 v12, 28, v11
	v_and_b32_e32 v9, 15, v9
	v_lshlrev_b32_sdwa v12, v12, v4 dst_sel:DWORD dst_unused:UNUSED_PAD src0_sel:DWORD src1_sel:WORD_1
	v_bfe_u32 v10, v4, 19, 4
	v_sub_u32_e32 v11, 29, v11
	v_and_b32_e32 v12, 7, v12
	v_cmp_eq_u16_e32 vcc, 0, v9
	v_cndmask_b32_e32 v8, v8, v12, vcc
	v_cndmask_b32_e32 v9, v10, v11, vcc
	v_lshlrev_b32_e32 v10, 8, v4
	v_mov_b32_e32 v11, 0x3b800000
	v_lshlrev_b32_e32 v8, 20, v8
	v_and_b32_e32 v10, 0x80000000, v10
	v_lshl_add_u32 v9, v9, 23, v11
	v_or3_b32 v8, v10, v9, v8
.LBB5_1940:
	s_or_b64 exec, exec, s[6:7]
	s_movk_i32 s4, 0xff
	v_and_b32_sdwa v9, v0, s4 dst_sel:DWORD dst_unused:UNUSED_PAD src0_sel:WORD_1 src1_sel:DWORD
	s_movk_i32 s4, 0x7f
	v_cmp_lt_i16_e32 vcc, s4, v9
	s_mov_b64 s[4:5], 0
                                        ; implicit-def: $sgpr10
	s_and_saveexec_b64 s[6:7], vcc
	s_xor_b64 s[6:7], exec, s[6:7]
	s_cbranch_execnz .LBB5_3989
; %bb.1941:
	s_or_saveexec_b64 s[6:7], s[6:7]
	v_mov_b32_e32 v10, s10
	s_xor_b64 exec, exec, s[6:7]
	s_cbranch_execnz .LBB5_3992
.LBB5_1942:
	s_or_b64 exec, exec, s[6:7]
	s_and_saveexec_b64 s[6:7], s[4:5]
	s_cbranch_execz .LBB5_1944
.LBB5_1943:
	v_bfe_u32 v9, v0, 16, 3
	v_ffbh_u32_e32 v12, v9
	v_min_u32_e32 v12, 32, v12
	v_lshrrev_b32_e32 v10, 19, v0
	v_subrev_u32_e32 v13, 28, v12
	v_and_b32_e32 v10, 15, v10
	v_lshlrev_b32_sdwa v13, v13, v0 dst_sel:DWORD dst_unused:UNUSED_PAD src0_sel:DWORD src1_sel:WORD_1
	v_bfe_u32 v11, v0, 19, 4
	v_sub_u32_e32 v12, 29, v12
	v_and_b32_e32 v13, 7, v13
	v_cmp_eq_u16_e32 vcc, 0, v10
	v_cndmask_b32_e32 v9, v9, v13, vcc
	v_cndmask_b32_e32 v10, v11, v12, vcc
	v_lshlrev_b32_e32 v11, 8, v0
	v_mov_b32_e32 v12, 0x3b800000
	v_lshlrev_b32_e32 v9, 20, v9
	v_and_b32_e32 v11, 0x80000000, v11
	v_lshl_add_u32 v10, v10, 23, v12
	v_or3_b32 v10, v11, v10, v9
.LBB5_1944:
	s_or_b64 exec, exec, s[6:7]
	s_nop 0
	v_mfma_f32_16x16x4f32 a[0:3], v8, v10, a[0:3]
	s_movk_i32 s4, 0x7f
	v_cmp_gt_i16_sdwa s[6:7], v4, s4 src0_sel:BYTE_3 src1_sel:DWORD
	s_mov_b64 s[4:5], 0
                                        ; implicit-def: $sgpr10
	s_and_saveexec_b64 s[8:9], s[6:7]
	s_xor_b64 s[6:7], exec, s[8:9]
	s_cbranch_execnz .LBB5_3993
; %bb.1945:
	s_or_saveexec_b64 s[6:7], s[6:7]
	v_mov_b32_e32 v8, s10
	s_xor_b64 exec, exec, s[6:7]
	s_cbranch_execnz .LBB5_3996
.LBB5_1946:
	s_or_b64 exec, exec, s[6:7]
	s_and_saveexec_b64 s[6:7], s[4:5]
	s_cbranch_execz .LBB5_1948
.LBB5_1947:
	v_bfe_u32 v8, v4, 24, 3
	v_ffbh_u32_e32 v12, v8
	v_min_u32_e32 v12, 32, v12
	v_lshrrev_b32_e32 v10, 27, v4
	v_subrev_u32_e32 v13, 28, v12
	v_and_b32_e32 v9, 0x80000000, v4
	v_and_b32_e32 v10, 15, v10
	v_bfe_u32 v11, v4, 27, 4
	v_lshlrev_b32_sdwa v4, v13, v4 dst_sel:DWORD dst_unused:UNUSED_PAD src0_sel:DWORD src1_sel:BYTE_3
	v_sub_u32_e32 v12, 29, v12
	v_and_b32_e32 v4, 7, v4
	v_cmp_eq_u16_e32 vcc, 0, v10
	v_cndmask_b32_e32 v4, v8, v4, vcc
	v_cndmask_b32_e32 v8, v11, v12, vcc
	v_mov_b32_e32 v10, 0x3b800000
	v_lshlrev_b32_e32 v4, 20, v4
	v_lshl_add_u32 v8, v8, 23, v10
	v_or3_b32 v8, v9, v8, v4
.LBB5_1948:
	s_or_b64 exec, exec, s[6:7]
	s_movk_i32 s4, 0x7f
	v_cmp_gt_i16_sdwa s[6:7], v0, s4 src0_sel:BYTE_3 src1_sel:DWORD
	s_mov_b64 s[4:5], 0
                                        ; implicit-def: $sgpr10
	s_and_saveexec_b64 s[8:9], s[6:7]
	s_xor_b64 s[6:7], exec, s[8:9]
	s_cbranch_execnz .LBB5_3997
; %bb.1949:
	s_or_saveexec_b64 s[6:7], s[6:7]
	v_mov_b32_e32 v4, s10
	s_xor_b64 exec, exec, s[6:7]
	s_cbranch_execnz .LBB5_4000
.LBB5_1950:
	s_or_b64 exec, exec, s[6:7]
	s_and_saveexec_b64 s[6:7], s[4:5]
	s_cbranch_execz .LBB5_1952
.LBB5_1951:
	v_bfe_u32 v4, v0, 24, 3
	v_ffbh_u32_e32 v12, v4
	v_min_u32_e32 v12, 32, v12
	v_lshrrev_b32_e32 v10, 27, v0
	v_subrev_u32_e32 v13, 28, v12
	v_and_b32_e32 v9, 0x80000000, v0
	v_and_b32_e32 v10, 15, v10
	v_bfe_u32 v11, v0, 27, 4
	v_lshlrev_b32_sdwa v0, v13, v0 dst_sel:DWORD dst_unused:UNUSED_PAD src0_sel:DWORD src1_sel:BYTE_3
	v_sub_u32_e32 v12, 29, v12
	v_and_b32_e32 v0, 7, v0
	v_cmp_eq_u16_e32 vcc, 0, v10
	v_cndmask_b32_e32 v0, v4, v0, vcc
	v_cndmask_b32_e32 v4, v11, v12, vcc
	v_mov_b32_e32 v10, 0x3b800000
	v_lshlrev_b32_e32 v0, 20, v0
	v_lshl_add_u32 v4, v4, 23, v10
	v_or3_b32 v4, v9, v4, v0
.LBB5_1952:
	s_or_b64 exec, exec, s[6:7]
	s_nop 0
	v_mfma_f32_16x16x4f32 a[0:3], v8, v4, a[0:3]
	s_movk_i32 s4, 0x7f
	v_cmp_gt_i16_sdwa s[6:7], v5, s4 src0_sel:BYTE_0 src1_sel:DWORD
	s_mov_b64 s[4:5], 0
                                        ; implicit-def: $sgpr10
	s_and_saveexec_b64 s[8:9], s[6:7]
	s_xor_b64 s[6:7], exec, s[8:9]
	s_cbranch_execnz .LBB5_4001
; %bb.1953:
	s_or_saveexec_b64 s[6:7], s[6:7]
	v_mov_b32_e32 v0, s10
	s_xor_b64 exec, exec, s[6:7]
	s_cbranch_execnz .LBB5_4004
.LBB5_1954:
	s_or_b64 exec, exec, s[6:7]
	s_and_saveexec_b64 s[6:7], s[4:5]
	s_cbranch_execz .LBB5_1956
.LBB5_1955:
	v_and_b32_e32 v0, 7, v5
	v_ffbh_u32_e32 v8, v0
	v_min_u32_e32 v8, 32, v8
	v_lshrrev_b16_e32 v4, 3, v5
	v_subrev_u32_e32 v9, 28, v8
	v_and_b32_e32 v4, 15, v4
	v_lshlrev_b32_e32 v9, v9, v5
	v_sub_u32_e32 v8, 29, v8
	v_and_b32_e32 v9, 7, v9
	v_cmp_eq_u16_e32 vcc, 0, v4
	v_cndmask_b32_e32 v0, v0, v9, vcc
	v_cndmask_b32_e32 v4, v4, v8, vcc
	v_lshlrev_b32_e32 v8, 24, v5
	v_mov_b32_e32 v9, 0x3b800000
	v_lshlrev_b32_e32 v0, 20, v0
	v_and_b32_e32 v8, 0x80000000, v8
	v_lshl_add_u32 v4, v4, 23, v9
	v_or3_b32 v0, v8, v4, v0
.LBB5_1956:
	s_or_b64 exec, exec, s[6:7]
	s_movk_i32 s4, 0x7f
	v_cmp_gt_i16_sdwa s[6:7], v1, s4 src0_sel:BYTE_0 src1_sel:DWORD
	s_mov_b64 s[4:5], 0
                                        ; implicit-def: $sgpr10
	s_and_saveexec_b64 s[8:9], s[6:7]
	s_xor_b64 s[6:7], exec, s[8:9]
	s_cbranch_execnz .LBB5_4005
; %bb.1957:
	s_or_saveexec_b64 s[6:7], s[6:7]
	v_mov_b32_e32 v4, s10
	s_xor_b64 exec, exec, s[6:7]
	s_cbranch_execnz .LBB5_4008
.LBB5_1958:
	s_or_b64 exec, exec, s[6:7]
	s_and_saveexec_b64 s[6:7], s[4:5]
	s_cbranch_execz .LBB5_1960
.LBB5_1959:
	v_and_b32_e32 v4, 7, v1
	v_ffbh_u32_e32 v9, v4
	v_min_u32_e32 v9, 32, v9
	v_lshrrev_b16_e32 v8, 3, v1
	v_subrev_u32_e32 v10, 28, v9
	v_and_b32_e32 v8, 15, v8
	v_lshlrev_b32_e32 v10, v10, v1
	v_sub_u32_e32 v9, 29, v9
	v_and_b32_e32 v10, 7, v10
	v_cmp_eq_u16_e32 vcc, 0, v8
	v_cndmask_b32_e32 v4, v4, v10, vcc
	v_cndmask_b32_e32 v8, v8, v9, vcc
	v_lshlrev_b32_e32 v9, 24, v1
	v_mov_b32_e32 v10, 0x3b800000
	v_lshlrev_b32_e32 v4, 20, v4
	v_and_b32_e32 v9, 0x80000000, v9
	v_lshl_add_u32 v8, v8, 23, v10
	v_or3_b32 v4, v9, v8, v4
.LBB5_1960:
	s_or_b64 exec, exec, s[6:7]
	s_nop 0
	v_mfma_f32_16x16x4f32 a[0:3], v0, v4, a[0:3]
	v_lshrrev_b32_e32 v4, 8, v5
	s_movk_i32 s4, 0x7f
	v_cmp_gt_i16_sdwa s[6:7], v4, s4 src0_sel:BYTE_0 src1_sel:DWORD
	s_mov_b64 s[4:5], 0
                                        ; implicit-def: $sgpr10
	s_and_saveexec_b64 s[8:9], s[6:7]
	s_xor_b64 s[6:7], exec, s[8:9]
	s_cbranch_execnz .LBB5_4009
; %bb.1961:
	s_or_saveexec_b64 s[6:7], s[6:7]
	v_mov_b32_e32 v0, s10
	s_xor_b64 exec, exec, s[6:7]
	s_cbranch_execnz .LBB5_4012
.LBB5_1962:
	s_or_b64 exec, exec, s[6:7]
	s_and_saveexec_b64 s[6:7], s[4:5]
	s_cbranch_execz .LBB5_1964
.LBB5_1963:
	v_bfe_u32 v0, v5, 8, 3
	v_ffbh_u32_e32 v9, v0
	v_min_u32_e32 v9, 32, v9
	v_lshrrev_b16_e32 v8, 3, v4
	v_subrev_u32_e32 v10, 28, v9
	v_and_b32_e32 v8, 15, v8
	v_lshlrev_b32_e32 v4, v10, v4
	v_sub_u32_e32 v9, 29, v9
	v_and_b32_e32 v4, 7, v4
	v_cmp_eq_u16_e32 vcc, 0, v8
	v_cndmask_b32_e32 v0, v0, v4, vcc
	v_cndmask_b32_e32 v4, v8, v9, vcc
	v_lshlrev_b32_e32 v8, 16, v5
	v_mov_b32_e32 v9, 0x3b800000
	v_lshlrev_b32_e32 v0, 20, v0
	v_and_b32_e32 v8, 0x80000000, v8
	v_lshl_add_u32 v4, v4, 23, v9
	v_or3_b32 v0, v8, v4, v0
.LBB5_1964:
	s_or_b64 exec, exec, s[6:7]
	v_lshrrev_b32_e32 v4, 8, v1
	s_movk_i32 s4, 0x7f
	v_cmp_gt_i16_sdwa s[6:7], v4, s4 src0_sel:BYTE_0 src1_sel:DWORD
	s_mov_b64 s[4:5], 0
                                        ; implicit-def: $sgpr10
	s_and_saveexec_b64 s[8:9], s[6:7]
	s_xor_b64 s[6:7], exec, s[8:9]
	s_cbranch_execnz .LBB5_4013
; %bb.1965:
	s_or_saveexec_b64 s[6:7], s[6:7]
	v_mov_b32_e32 v8, s10
	s_xor_b64 exec, exec, s[6:7]
	s_cbranch_execnz .LBB5_4016
.LBB5_1966:
	s_or_b64 exec, exec, s[6:7]
	s_and_saveexec_b64 s[6:7], s[4:5]
	s_cbranch_execz .LBB5_1968
.LBB5_1967:
	v_bfe_u32 v8, v1, 8, 3
	v_ffbh_u32_e32 v10, v8
	v_min_u32_e32 v10, 32, v10
	v_lshrrev_b16_e32 v9, 3, v4
	v_subrev_u32_e32 v11, 28, v10
	v_and_b32_e32 v9, 15, v9
	v_lshlrev_b32_e32 v4, v11, v4
	v_sub_u32_e32 v10, 29, v10
	v_and_b32_e32 v4, 7, v4
	v_cmp_eq_u16_e32 vcc, 0, v9
	v_cndmask_b32_e32 v4, v8, v4, vcc
	v_cndmask_b32_e32 v8, v9, v10, vcc
	v_lshlrev_b32_e32 v9, 16, v1
	v_mov_b32_e32 v10, 0x3b800000
	v_lshlrev_b32_e32 v4, 20, v4
	v_and_b32_e32 v9, 0x80000000, v9
	v_lshl_add_u32 v8, v8, 23, v10
	v_or3_b32 v8, v9, v8, v4
.LBB5_1968:
	s_or_b64 exec, exec, s[6:7]
	s_nop 0
	v_mfma_f32_16x16x4f32 a[0:3], v0, v8, a[0:3]
	s_movk_i32 s4, 0xff
	v_and_b32_sdwa v4, v5, s4 dst_sel:DWORD dst_unused:UNUSED_PAD src0_sel:WORD_1 src1_sel:DWORD
	s_movk_i32 s4, 0x7f
	v_cmp_lt_i16_e32 vcc, s4, v4
	s_mov_b64 s[4:5], 0
                                        ; implicit-def: $sgpr10
	s_and_saveexec_b64 s[6:7], vcc
	s_xor_b64 s[6:7], exec, s[6:7]
	s_cbranch_execnz .LBB5_4017
; %bb.1969:
	s_or_saveexec_b64 s[6:7], s[6:7]
	v_mov_b32_e32 v0, s10
	s_xor_b64 exec, exec, s[6:7]
	s_cbranch_execnz .LBB5_4020
.LBB5_1970:
	s_or_b64 exec, exec, s[6:7]
	s_and_saveexec_b64 s[6:7], s[4:5]
	s_cbranch_execz .LBB5_1972
.LBB5_1971:
	v_bfe_u32 v0, v5, 16, 3
	v_ffbh_u32_e32 v9, v0
	v_min_u32_e32 v9, 32, v9
	v_lshrrev_b32_e32 v4, 19, v5
	v_subrev_u32_e32 v10, 28, v9
	v_and_b32_e32 v4, 15, v4
	v_lshlrev_b32_sdwa v10, v10, v5 dst_sel:DWORD dst_unused:UNUSED_PAD src0_sel:DWORD src1_sel:WORD_1
	v_bfe_u32 v8, v5, 19, 4
	v_sub_u32_e32 v9, 29, v9
	v_and_b32_e32 v10, 7, v10
	v_cmp_eq_u16_e32 vcc, 0, v4
	v_cndmask_b32_e32 v0, v0, v10, vcc
	v_cndmask_b32_e32 v4, v8, v9, vcc
	v_lshlrev_b32_e32 v8, 8, v5
	v_mov_b32_e32 v9, 0x3b800000
	v_lshlrev_b32_e32 v0, 20, v0
	v_and_b32_e32 v8, 0x80000000, v8
	v_lshl_add_u32 v4, v4, 23, v9
	v_or3_b32 v0, v8, v4, v0
.LBB5_1972:
	s_or_b64 exec, exec, s[6:7]
	s_movk_i32 s4, 0xff
	v_and_b32_sdwa v4, v1, s4 dst_sel:DWORD dst_unused:UNUSED_PAD src0_sel:WORD_1 src1_sel:DWORD
	s_movk_i32 s4, 0x7f
	v_cmp_lt_i16_e32 vcc, s4, v4
	s_mov_b64 s[4:5], 0
                                        ; implicit-def: $sgpr10
	s_and_saveexec_b64 s[6:7], vcc
	s_xor_b64 s[6:7], exec, s[6:7]
	s_cbranch_execnz .LBB5_4021
; %bb.1973:
	s_or_saveexec_b64 s[6:7], s[6:7]
	v_mov_b32_e32 v8, s10
	s_xor_b64 exec, exec, s[6:7]
	s_cbranch_execnz .LBB5_4024
.LBB5_1974:
	s_or_b64 exec, exec, s[6:7]
	s_and_saveexec_b64 s[6:7], s[4:5]
	s_cbranch_execz .LBB5_1976
.LBB5_1975:
	v_bfe_u32 v4, v1, 16, 3
	v_ffbh_u32_e32 v10, v4
	v_min_u32_e32 v10, 32, v10
	v_lshrrev_b32_e32 v8, 19, v1
	v_subrev_u32_e32 v11, 28, v10
	v_and_b32_e32 v8, 15, v8
	v_lshlrev_b32_sdwa v11, v11, v1 dst_sel:DWORD dst_unused:UNUSED_PAD src0_sel:DWORD src1_sel:WORD_1
	v_bfe_u32 v9, v1, 19, 4
	v_sub_u32_e32 v10, 29, v10
	v_and_b32_e32 v11, 7, v11
	v_cmp_eq_u16_e32 vcc, 0, v8
	v_cndmask_b32_e32 v4, v4, v11, vcc
	v_cndmask_b32_e32 v8, v9, v10, vcc
	v_lshlrev_b32_e32 v9, 8, v1
	v_mov_b32_e32 v10, 0x3b800000
	v_lshlrev_b32_e32 v4, 20, v4
	v_and_b32_e32 v9, 0x80000000, v9
	v_lshl_add_u32 v8, v8, 23, v10
	v_or3_b32 v8, v9, v8, v4
.LBB5_1976:
	s_or_b64 exec, exec, s[6:7]
	s_nop 0
	v_mfma_f32_16x16x4f32 a[0:3], v0, v8, a[0:3]
	s_movk_i32 s4, 0x7f
	v_cmp_gt_i16_sdwa s[6:7], v5, s4 src0_sel:BYTE_3 src1_sel:DWORD
	s_mov_b64 s[4:5], 0
                                        ; implicit-def: $sgpr10
	s_and_saveexec_b64 s[8:9], s[6:7]
	s_xor_b64 s[6:7], exec, s[8:9]
	s_cbranch_execnz .LBB5_4025
; %bb.1977:
	s_or_saveexec_b64 s[6:7], s[6:7]
	v_mov_b32_e32 v0, s10
	s_xor_b64 exec, exec, s[6:7]
	s_cbranch_execnz .LBB5_4028
.LBB5_1978:
	s_or_b64 exec, exec, s[6:7]
	s_and_saveexec_b64 s[6:7], s[4:5]
	s_cbranch_execz .LBB5_1980
.LBB5_1979:
	v_bfe_u32 v0, v5, 24, 3
	v_ffbh_u32_e32 v10, v0
	v_min_u32_e32 v10, 32, v10
	v_lshrrev_b32_e32 v8, 27, v5
	v_subrev_u32_e32 v11, 28, v10
	v_and_b32_e32 v4, 0x80000000, v5
	v_and_b32_e32 v8, 15, v8
	v_bfe_u32 v9, v5, 27, 4
	v_lshlrev_b32_sdwa v5, v11, v5 dst_sel:DWORD dst_unused:UNUSED_PAD src0_sel:DWORD src1_sel:BYTE_3
	v_sub_u32_e32 v10, 29, v10
	v_and_b32_e32 v5, 7, v5
	v_cmp_eq_u16_e32 vcc, 0, v8
	v_cndmask_b32_e32 v0, v0, v5, vcc
	v_cndmask_b32_e32 v5, v9, v10, vcc
	v_mov_b32_e32 v8, 0x3b800000
	v_lshlrev_b32_e32 v0, 20, v0
	v_lshl_add_u32 v5, v5, 23, v8
	v_or3_b32 v0, v4, v5, v0
.LBB5_1980:
	s_or_b64 exec, exec, s[6:7]
	s_movk_i32 s4, 0x7f
	v_cmp_gt_i16_sdwa s[6:7], v1, s4 src0_sel:BYTE_3 src1_sel:DWORD
	s_mov_b64 s[4:5], 0
                                        ; implicit-def: $sgpr10
	s_and_saveexec_b64 s[8:9], s[6:7]
	s_xor_b64 s[6:7], exec, s[8:9]
	s_cbranch_execnz .LBB5_4029
; %bb.1981:
	s_or_saveexec_b64 s[6:7], s[6:7]
	v_mov_b32_e32 v4, s10
	s_xor_b64 exec, exec, s[6:7]
	s_cbranch_execnz .LBB5_4032
.LBB5_1982:
	s_or_b64 exec, exec, s[6:7]
	s_and_saveexec_b64 s[6:7], s[4:5]
	s_cbranch_execz .LBB5_1984
.LBB5_1983:
	v_bfe_u32 v4, v1, 24, 3
	v_ffbh_u32_e32 v10, v4
	v_min_u32_e32 v10, 32, v10
	v_lshrrev_b32_e32 v8, 27, v1
	v_subrev_u32_e32 v11, 28, v10
	v_and_b32_e32 v5, 0x80000000, v1
	v_and_b32_e32 v8, 15, v8
	v_bfe_u32 v9, v1, 27, 4
	v_lshlrev_b32_sdwa v1, v11, v1 dst_sel:DWORD dst_unused:UNUSED_PAD src0_sel:DWORD src1_sel:BYTE_3
	v_sub_u32_e32 v10, 29, v10
	v_and_b32_e32 v1, 7, v1
	v_cmp_eq_u16_e32 vcc, 0, v8
	v_cndmask_b32_e32 v1, v4, v1, vcc
	v_cndmask_b32_e32 v4, v9, v10, vcc
	v_mov_b32_e32 v8, 0x3b800000
	v_lshlrev_b32_e32 v1, 20, v1
	v_lshl_add_u32 v4, v4, 23, v8
	v_or3_b32 v4, v5, v4, v1
.LBB5_1984:
	s_or_b64 exec, exec, s[6:7]
	s_nop 0
	v_mfma_f32_16x16x4f32 a[0:3], v0, v4, a[0:3]
	s_movk_i32 s4, 0x7f
	v_cmp_gt_i16_sdwa s[6:7], v6, s4 src0_sel:BYTE_0 src1_sel:DWORD
	s_mov_b64 s[4:5], 0
                                        ; implicit-def: $sgpr10
	s_and_saveexec_b64 s[8:9], s[6:7]
	s_xor_b64 s[6:7], exec, s[8:9]
	s_cbranch_execnz .LBB5_4033
; %bb.1985:
	s_or_saveexec_b64 s[6:7], s[6:7]
	v_mov_b32_e32 v0, s10
	s_xor_b64 exec, exec, s[6:7]
	s_cbranch_execnz .LBB5_4036
.LBB5_1986:
	s_or_b64 exec, exec, s[6:7]
	s_and_saveexec_b64 s[6:7], s[4:5]
	s_cbranch_execz .LBB5_1988
.LBB5_1987:
	v_and_b32_e32 v0, 7, v6
	v_ffbh_u32_e32 v4, v0
	v_min_u32_e32 v4, 32, v4
	v_lshrrev_b16_e32 v1, 3, v6
	v_subrev_u32_e32 v5, 28, v4
	v_and_b32_e32 v1, 15, v1
	v_lshlrev_b32_e32 v5, v5, v6
	v_sub_u32_e32 v4, 29, v4
	v_and_b32_e32 v5, 7, v5
	v_cmp_eq_u16_e32 vcc, 0, v1
	v_cndmask_b32_e32 v0, v0, v5, vcc
	v_cndmask_b32_e32 v1, v1, v4, vcc
	v_lshlrev_b32_e32 v4, 24, v6
	v_mov_b32_e32 v5, 0x3b800000
	v_lshlrev_b32_e32 v0, 20, v0
	v_and_b32_e32 v4, 0x80000000, v4
	v_lshl_add_u32 v1, v1, 23, v5
	v_or3_b32 v0, v4, v1, v0
.LBB5_1988:
	s_or_b64 exec, exec, s[6:7]
	s_movk_i32 s4, 0x7f
	v_cmp_gt_i16_sdwa s[6:7], v2, s4 src0_sel:BYTE_0 src1_sel:DWORD
	s_mov_b64 s[4:5], 0
                                        ; implicit-def: $sgpr10
	s_and_saveexec_b64 s[8:9], s[6:7]
	s_xor_b64 s[6:7], exec, s[8:9]
	s_cbranch_execnz .LBB5_4037
; %bb.1989:
	s_or_saveexec_b64 s[6:7], s[6:7]
	v_mov_b32_e32 v1, s10
	s_xor_b64 exec, exec, s[6:7]
	s_cbranch_execnz .LBB5_4040
.LBB5_1990:
	s_or_b64 exec, exec, s[6:7]
	s_and_saveexec_b64 s[6:7], s[4:5]
	s_cbranch_execz .LBB5_1992
.LBB5_1991:
	v_and_b32_e32 v1, 7, v2
	v_ffbh_u32_e32 v5, v1
	v_min_u32_e32 v5, 32, v5
	v_lshrrev_b16_e32 v4, 3, v2
	v_subrev_u32_e32 v8, 28, v5
	v_and_b32_e32 v4, 15, v4
	v_lshlrev_b32_e32 v8, v8, v2
	v_sub_u32_e32 v5, 29, v5
	v_and_b32_e32 v8, 7, v8
	v_cmp_eq_u16_e32 vcc, 0, v4
	v_cndmask_b32_e32 v1, v1, v8, vcc
	v_cndmask_b32_e32 v4, v4, v5, vcc
	v_lshlrev_b32_e32 v5, 24, v2
	v_mov_b32_e32 v8, 0x3b800000
	v_lshlrev_b32_e32 v1, 20, v1
	v_and_b32_e32 v5, 0x80000000, v5
	v_lshl_add_u32 v4, v4, 23, v8
	v_or3_b32 v1, v5, v4, v1
.LBB5_1992:
	s_or_b64 exec, exec, s[6:7]
	s_nop 0
	v_mfma_f32_16x16x4f32 a[0:3], v0, v1, a[0:3]
	v_lshrrev_b32_e32 v1, 8, v6
	s_movk_i32 s4, 0x7f
	v_cmp_gt_i16_sdwa s[6:7], v1, s4 src0_sel:BYTE_0 src1_sel:DWORD
	s_mov_b64 s[4:5], 0
                                        ; implicit-def: $sgpr10
	s_and_saveexec_b64 s[8:9], s[6:7]
	s_xor_b64 s[6:7], exec, s[8:9]
	s_cbranch_execnz .LBB5_4041
; %bb.1993:
	s_or_saveexec_b64 s[6:7], s[6:7]
	v_mov_b32_e32 v0, s10
	s_xor_b64 exec, exec, s[6:7]
	s_cbranch_execnz .LBB5_4044
.LBB5_1994:
	s_or_b64 exec, exec, s[6:7]
	s_and_saveexec_b64 s[6:7], s[4:5]
	s_cbranch_execz .LBB5_1996
.LBB5_1995:
	v_bfe_u32 v0, v6, 8, 3
	v_ffbh_u32_e32 v5, v0
	v_min_u32_e32 v5, 32, v5
	v_lshrrev_b16_e32 v4, 3, v1
	v_subrev_u32_e32 v8, 28, v5
	v_and_b32_e32 v4, 15, v4
	v_lshlrev_b32_e32 v1, v8, v1
	v_sub_u32_e32 v5, 29, v5
	v_and_b32_e32 v1, 7, v1
	v_cmp_eq_u16_e32 vcc, 0, v4
	v_cndmask_b32_e32 v0, v0, v1, vcc
	v_cndmask_b32_e32 v1, v4, v5, vcc
	v_lshlrev_b32_e32 v4, 16, v6
	v_mov_b32_e32 v5, 0x3b800000
	v_lshlrev_b32_e32 v0, 20, v0
	v_and_b32_e32 v4, 0x80000000, v4
	v_lshl_add_u32 v1, v1, 23, v5
	v_or3_b32 v0, v4, v1, v0
.LBB5_1996:
	s_or_b64 exec, exec, s[6:7]
	v_lshrrev_b32_e32 v1, 8, v2
	s_movk_i32 s4, 0x7f
	v_cmp_gt_i16_sdwa s[6:7], v1, s4 src0_sel:BYTE_0 src1_sel:DWORD
	s_mov_b64 s[4:5], 0
                                        ; implicit-def: $sgpr10
	s_and_saveexec_b64 s[8:9], s[6:7]
	s_xor_b64 s[6:7], exec, s[8:9]
	s_cbranch_execnz .LBB5_4045
; %bb.1997:
	s_or_saveexec_b64 s[6:7], s[6:7]
	v_mov_b32_e32 v4, s10
	s_xor_b64 exec, exec, s[6:7]
	s_cbranch_execnz .LBB5_4048
.LBB5_1998:
	s_or_b64 exec, exec, s[6:7]
	s_and_saveexec_b64 s[6:7], s[4:5]
	s_cbranch_execz .LBB5_2000
.LBB5_1999:
	v_bfe_u32 v4, v2, 8, 3
	v_ffbh_u32_e32 v8, v4
	v_min_u32_e32 v8, 32, v8
	v_lshrrev_b16_e32 v5, 3, v1
	v_subrev_u32_e32 v9, 28, v8
	v_and_b32_e32 v5, 15, v5
	v_lshlrev_b32_e32 v1, v9, v1
	v_sub_u32_e32 v8, 29, v8
	v_and_b32_e32 v1, 7, v1
	v_cmp_eq_u16_e32 vcc, 0, v5
	v_cndmask_b32_e32 v1, v4, v1, vcc
	v_cndmask_b32_e32 v4, v5, v8, vcc
	v_lshlrev_b32_e32 v5, 16, v2
	v_mov_b32_e32 v8, 0x3b800000
	v_lshlrev_b32_e32 v1, 20, v1
	v_and_b32_e32 v5, 0x80000000, v5
	v_lshl_add_u32 v4, v4, 23, v8
	v_or3_b32 v4, v5, v4, v1
.LBB5_2000:
	s_or_b64 exec, exec, s[6:7]
	s_nop 0
	v_mfma_f32_16x16x4f32 a[0:3], v0, v4, a[0:3]
	s_movk_i32 s4, 0xff
	v_and_b32_sdwa v1, v6, s4 dst_sel:DWORD dst_unused:UNUSED_PAD src0_sel:WORD_1 src1_sel:DWORD
	s_movk_i32 s4, 0x7f
	v_cmp_lt_i16_e32 vcc, s4, v1
	s_mov_b64 s[4:5], 0
                                        ; implicit-def: $sgpr10
	s_and_saveexec_b64 s[6:7], vcc
	s_xor_b64 s[6:7], exec, s[6:7]
	s_cbranch_execnz .LBB5_4049
; %bb.2001:
	s_or_saveexec_b64 s[6:7], s[6:7]
	v_mov_b32_e32 v0, s10
	s_xor_b64 exec, exec, s[6:7]
	s_cbranch_execnz .LBB5_4052
.LBB5_2002:
	s_or_b64 exec, exec, s[6:7]
	s_and_saveexec_b64 s[6:7], s[4:5]
	s_cbranch_execz .LBB5_2004
.LBB5_2003:
	v_bfe_u32 v0, v6, 16, 3
	v_ffbh_u32_e32 v5, v0
	v_min_u32_e32 v5, 32, v5
	v_lshrrev_b32_e32 v1, 19, v6
	v_subrev_u32_e32 v8, 28, v5
	v_and_b32_e32 v1, 15, v1
	v_lshlrev_b32_sdwa v8, v8, v6 dst_sel:DWORD dst_unused:UNUSED_PAD src0_sel:DWORD src1_sel:WORD_1
	v_bfe_u32 v4, v6, 19, 4
	v_sub_u32_e32 v5, 29, v5
	v_and_b32_e32 v8, 7, v8
	v_cmp_eq_u16_e32 vcc, 0, v1
	v_cndmask_b32_e32 v0, v0, v8, vcc
	v_cndmask_b32_e32 v1, v4, v5, vcc
	v_lshlrev_b32_e32 v4, 8, v6
	v_mov_b32_e32 v5, 0x3b800000
	v_lshlrev_b32_e32 v0, 20, v0
	v_and_b32_e32 v4, 0x80000000, v4
	v_lshl_add_u32 v1, v1, 23, v5
	v_or3_b32 v0, v4, v1, v0
.LBB5_2004:
	s_or_b64 exec, exec, s[6:7]
	s_movk_i32 s4, 0xff
	v_and_b32_sdwa v1, v2, s4 dst_sel:DWORD dst_unused:UNUSED_PAD src0_sel:WORD_1 src1_sel:DWORD
	s_movk_i32 s4, 0x7f
	v_cmp_lt_i16_e32 vcc, s4, v1
	s_mov_b64 s[4:5], 0
                                        ; implicit-def: $sgpr10
	s_and_saveexec_b64 s[6:7], vcc
	s_xor_b64 s[6:7], exec, s[6:7]
	s_cbranch_execnz .LBB5_4053
; %bb.2005:
	s_or_saveexec_b64 s[6:7], s[6:7]
	v_mov_b32_e32 v4, s10
	s_xor_b64 exec, exec, s[6:7]
	s_cbranch_execnz .LBB5_4056
.LBB5_2006:
	s_or_b64 exec, exec, s[6:7]
	s_and_saveexec_b64 s[6:7], s[4:5]
	s_cbranch_execz .LBB5_2008
.LBB5_2007:
	v_bfe_u32 v1, v2, 16, 3
	v_ffbh_u32_e32 v8, v1
	v_min_u32_e32 v8, 32, v8
	v_lshrrev_b32_e32 v4, 19, v2
	v_subrev_u32_e32 v9, 28, v8
	v_and_b32_e32 v4, 15, v4
	v_lshlrev_b32_sdwa v9, v9, v2 dst_sel:DWORD dst_unused:UNUSED_PAD src0_sel:DWORD src1_sel:WORD_1
	v_bfe_u32 v5, v2, 19, 4
	v_sub_u32_e32 v8, 29, v8
	v_and_b32_e32 v9, 7, v9
	v_cmp_eq_u16_e32 vcc, 0, v4
	v_cndmask_b32_e32 v1, v1, v9, vcc
	v_cndmask_b32_e32 v4, v5, v8, vcc
	v_lshlrev_b32_e32 v5, 8, v2
	v_mov_b32_e32 v8, 0x3b800000
	v_lshlrev_b32_e32 v1, 20, v1
	v_and_b32_e32 v5, 0x80000000, v5
	v_lshl_add_u32 v4, v4, 23, v8
	v_or3_b32 v4, v5, v4, v1
.LBB5_2008:
	s_or_b64 exec, exec, s[6:7]
	s_nop 0
	v_mfma_f32_16x16x4f32 a[0:3], v0, v4, a[0:3]
	s_movk_i32 s4, 0x7f
	v_cmp_gt_i16_sdwa s[6:7], v6, s4 src0_sel:BYTE_3 src1_sel:DWORD
	s_mov_b64 s[4:5], 0
                                        ; implicit-def: $sgpr10
	s_and_saveexec_b64 s[8:9], s[6:7]
	s_xor_b64 s[6:7], exec, s[8:9]
	s_cbranch_execnz .LBB5_4057
; %bb.2009:
	s_or_saveexec_b64 s[6:7], s[6:7]
	v_mov_b32_e32 v0, s10
	s_xor_b64 exec, exec, s[6:7]
	s_cbranch_execnz .LBB5_4060
.LBB5_2010:
	s_or_b64 exec, exec, s[6:7]
	s_and_saveexec_b64 s[6:7], s[4:5]
	s_cbranch_execz .LBB5_2012
.LBB5_2011:
	v_bfe_u32 v0, v6, 24, 3
	v_ffbh_u32_e32 v8, v0
	v_min_u32_e32 v8, 32, v8
	v_lshrrev_b32_e32 v4, 27, v6
	v_subrev_u32_e32 v9, 28, v8
	v_and_b32_e32 v1, 0x80000000, v6
	v_and_b32_e32 v4, 15, v4
	v_bfe_u32 v5, v6, 27, 4
	v_lshlrev_b32_sdwa v6, v9, v6 dst_sel:DWORD dst_unused:UNUSED_PAD src0_sel:DWORD src1_sel:BYTE_3
	v_sub_u32_e32 v8, 29, v8
	v_and_b32_e32 v6, 7, v6
	v_cmp_eq_u16_e32 vcc, 0, v4
	v_cndmask_b32_e32 v0, v0, v6, vcc
	v_cndmask_b32_e32 v4, v5, v8, vcc
	v_mov_b32_e32 v5, 0x3b800000
	v_lshlrev_b32_e32 v0, 20, v0
	v_lshl_add_u32 v4, v4, 23, v5
	v_or3_b32 v0, v1, v4, v0
.LBB5_2012:
	s_or_b64 exec, exec, s[6:7]
	s_movk_i32 s4, 0x7f
	v_cmp_gt_i16_sdwa s[6:7], v2, s4 src0_sel:BYTE_3 src1_sel:DWORD
	s_mov_b64 s[4:5], 0
                                        ; implicit-def: $sgpr10
	s_and_saveexec_b64 s[8:9], s[6:7]
	s_xor_b64 s[6:7], exec, s[8:9]
	s_cbranch_execnz .LBB5_4061
; %bb.2013:
	s_or_saveexec_b64 s[6:7], s[6:7]
	v_mov_b32_e32 v1, s10
	s_xor_b64 exec, exec, s[6:7]
	s_cbranch_execnz .LBB5_4064
.LBB5_2014:
	s_or_b64 exec, exec, s[6:7]
	s_and_saveexec_b64 s[6:7], s[4:5]
	s_cbranch_execz .LBB5_2016
.LBB5_2015:
	v_bfe_u32 v1, v2, 24, 3
	v_ffbh_u32_e32 v8, v1
	v_min_u32_e32 v8, 32, v8
	v_lshrrev_b32_e32 v5, 27, v2
	v_subrev_u32_e32 v9, 28, v8
	v_and_b32_e32 v4, 0x80000000, v2
	v_and_b32_e32 v5, 15, v5
	v_bfe_u32 v6, v2, 27, 4
	v_lshlrev_b32_sdwa v2, v9, v2 dst_sel:DWORD dst_unused:UNUSED_PAD src0_sel:DWORD src1_sel:BYTE_3
	v_sub_u32_e32 v8, 29, v8
	v_and_b32_e32 v2, 7, v2
	v_cmp_eq_u16_e32 vcc, 0, v5
	v_cndmask_b32_e32 v1, v1, v2, vcc
	v_cndmask_b32_e32 v2, v6, v8, vcc
	v_mov_b32_e32 v5, 0x3b800000
	v_lshlrev_b32_e32 v1, 20, v1
	v_lshl_add_u32 v2, v2, 23, v5
	v_or3_b32 v1, v4, v2, v1
.LBB5_2016:
	s_or_b64 exec, exec, s[6:7]
	s_nop 0
	v_mfma_f32_16x16x4f32 a[0:3], v0, v1, a[0:3]
	s_movk_i32 s4, 0x7f
	v_cmp_gt_i16_sdwa s[6:7], v7, s4 src0_sel:BYTE_0 src1_sel:DWORD
	s_mov_b64 s[4:5], 0
                                        ; implicit-def: $sgpr10
	s_and_saveexec_b64 s[8:9], s[6:7]
	s_xor_b64 s[6:7], exec, s[8:9]
	s_cbranch_execnz .LBB5_4065
; %bb.2017:
	s_or_saveexec_b64 s[6:7], s[6:7]
	v_mov_b32_e32 v0, s10
	s_xor_b64 exec, exec, s[6:7]
	s_cbranch_execnz .LBB5_4068
.LBB5_2018:
	s_or_b64 exec, exec, s[6:7]
	s_and_saveexec_b64 s[6:7], s[4:5]
	s_cbranch_execz .LBB5_2020
.LBB5_2019:
	v_mov_b32_e32 v0, 8
	v_and_b32_e32 v1, 7, v7
	v_lshrrev_b32_sdwa v0, v0, v7 dst_sel:BYTE_1 dst_unused:UNUSED_PAD src0_sel:DWORD src1_sel:DWORD
	v_ffbh_u32_e32 v2, v1
	v_or_b32_sdwa v0, v7, v0 dst_sel:DWORD dst_unused:UNUSED_PAD src0_sel:BYTE_0 src1_sel:DWORD
	v_min_u32_e32 v2, 32, v2
	v_lshrrev_b16_e32 v0, 3, v0
	v_subrev_u32_e32 v4, 28, v2
	v_and_b32_e32 v0, 15, v0
	v_lshlrev_b32_e32 v4, v4, v7
	v_sub_u32_e32 v2, 29, v2
	v_and_b32_e32 v4, 7, v4
	v_cmp_eq_u16_e32 vcc, 0, v0
	v_cndmask_b32_e32 v1, v1, v4, vcc
	v_cndmask_b32_e32 v0, v0, v2, vcc
	v_lshlrev_b32_e32 v2, 24, v7
	v_mov_b32_e32 v4, 0x3b800000
	v_lshlrev_b32_e32 v1, 20, v1
	v_and_b32_e32 v2, 0x80000000, v2
	v_lshl_add_u32 v0, v0, 23, v4
	v_or3_b32 v0, v2, v0, v1
.LBB5_2020:
	s_or_b64 exec, exec, s[6:7]
	s_movk_i32 s4, 0x7f
	v_cmp_gt_i16_sdwa s[6:7], v3, s4 src0_sel:BYTE_0 src1_sel:DWORD
	s_mov_b64 s[4:5], 0
                                        ; implicit-def: $sgpr10
	s_and_saveexec_b64 s[8:9], s[6:7]
	s_xor_b64 s[6:7], exec, s[8:9]
	s_cbranch_execnz .LBB5_4069
; %bb.2021:
	s_or_saveexec_b64 s[6:7], s[6:7]
	v_mov_b32_e32 v1, s10
	s_xor_b64 exec, exec, s[6:7]
	s_cbranch_execnz .LBB5_4072
.LBB5_2022:
	s_or_b64 exec, exec, s[6:7]
	s_and_saveexec_b64 s[6:7], s[4:5]
	s_cbranch_execz .LBB5_2024
.LBB5_2023:
	v_mov_b32_e32 v1, 8
	v_and_b32_e32 v2, 7, v3
	v_lshrrev_b32_sdwa v1, v1, v3 dst_sel:BYTE_1 dst_unused:UNUSED_PAD src0_sel:DWORD src1_sel:DWORD
	v_ffbh_u32_e32 v4, v2
	v_or_b32_sdwa v1, v3, v1 dst_sel:DWORD dst_unused:UNUSED_PAD src0_sel:BYTE_0 src1_sel:DWORD
	v_min_u32_e32 v4, 32, v4
	v_lshrrev_b16_e32 v1, 3, v1
	v_subrev_u32_e32 v5, 28, v4
	v_and_b32_e32 v1, 15, v1
	v_lshlrev_b32_e32 v5, v5, v3
	v_sub_u32_e32 v4, 29, v4
	v_and_b32_e32 v5, 7, v5
	v_cmp_eq_u16_e32 vcc, 0, v1
	v_cndmask_b32_e32 v2, v2, v5, vcc
	v_cndmask_b32_e32 v1, v1, v4, vcc
	v_lshlrev_b32_e32 v4, 24, v3
	v_mov_b32_e32 v5, 0x3b800000
	v_lshlrev_b32_e32 v2, 20, v2
	v_and_b32_e32 v4, 0x80000000, v4
	v_lshl_add_u32 v1, v1, 23, v5
	v_or3_b32 v1, v4, v1, v2
.LBB5_2024:
	s_or_b64 exec, exec, s[6:7]
	s_nop 0
	v_mfma_f32_16x16x4f32 a[0:3], v0, v1, a[0:3]
	v_lshrrev_b32_e32 v1, 8, v7
	s_movk_i32 s4, 0x7f
	v_cmp_gt_i16_sdwa s[6:7], v1, s4 src0_sel:BYTE_0 src1_sel:DWORD
	s_mov_b64 s[4:5], 0
                                        ; implicit-def: $sgpr10
	s_and_saveexec_b64 s[8:9], s[6:7]
	s_xor_b64 s[6:7], exec, s[8:9]
	s_cbranch_execnz .LBB5_4073
; %bb.2025:
	s_or_saveexec_b64 s[6:7], s[6:7]
	v_mov_b32_e32 v0, s10
	s_xor_b64 exec, exec, s[6:7]
	s_cbranch_execnz .LBB5_4076
.LBB5_2026:
	s_or_b64 exec, exec, s[6:7]
	s_and_saveexec_b64 s[6:7], s[4:5]
	s_cbranch_execz .LBB5_2028
.LBB5_2027:
	v_bfe_u32 v0, v7, 8, 3
	v_ffbh_u32_e32 v4, v0
	v_min_u32_e32 v4, 32, v4
	v_lshrrev_b16_e32 v2, 3, v1
	v_subrev_u32_e32 v5, 28, v4
	v_and_b32_e32 v2, 15, v2
	v_lshlrev_b32_e32 v1, v5, v1
	v_sub_u32_e32 v4, 29, v4
	v_and_b32_e32 v1, 7, v1
	v_cmp_eq_u16_e32 vcc, 0, v2
	v_cndmask_b32_e32 v0, v0, v1, vcc
	v_cndmask_b32_e32 v1, v2, v4, vcc
	v_lshlrev_b32_e32 v2, 16, v7
	v_mov_b32_e32 v4, 0x3b800000
	v_lshlrev_b32_e32 v0, 20, v0
	v_and_b32_e32 v2, 0x80000000, v2
	v_lshl_add_u32 v1, v1, 23, v4
	v_or3_b32 v0, v2, v1, v0
.LBB5_2028:
	s_or_b64 exec, exec, s[6:7]
	v_lshrrev_b32_e32 v1, 8, v3
	s_movk_i32 s4, 0x7f
	v_cmp_gt_i16_sdwa s[6:7], v1, s4 src0_sel:BYTE_0 src1_sel:DWORD
	s_mov_b64 s[4:5], 0
                                        ; implicit-def: $sgpr10
	s_and_saveexec_b64 s[8:9], s[6:7]
	s_xor_b64 s[6:7], exec, s[8:9]
	s_cbranch_execnz .LBB5_4077
; %bb.2029:
	s_or_saveexec_b64 s[6:7], s[6:7]
	v_mov_b32_e32 v2, s10
	s_xor_b64 exec, exec, s[6:7]
	s_cbranch_execnz .LBB5_4080
.LBB5_2030:
	s_or_b64 exec, exec, s[6:7]
	s_and_saveexec_b64 s[6:7], s[4:5]
	s_cbranch_execz .LBB5_2032
.LBB5_2031:
	v_bfe_u32 v2, v3, 8, 3
	v_ffbh_u32_e32 v5, v2
	v_min_u32_e32 v5, 32, v5
	v_lshrrev_b16_e32 v4, 3, v1
	v_subrev_u32_e32 v6, 28, v5
	v_and_b32_e32 v4, 15, v4
	v_lshlrev_b32_e32 v1, v6, v1
	v_sub_u32_e32 v5, 29, v5
	v_and_b32_e32 v1, 7, v1
	v_cmp_eq_u16_e32 vcc, 0, v4
	v_cndmask_b32_e32 v1, v2, v1, vcc
	v_cndmask_b32_e32 v2, v4, v5, vcc
	v_lshlrev_b32_e32 v4, 16, v3
	v_mov_b32_e32 v5, 0x3b800000
	v_lshlrev_b32_e32 v1, 20, v1
	v_and_b32_e32 v4, 0x80000000, v4
	v_lshl_add_u32 v2, v2, 23, v5
	v_or3_b32 v2, v4, v2, v1
.LBB5_2032:
	s_or_b64 exec, exec, s[6:7]
	s_nop 0
	v_mfma_f32_16x16x4f32 a[0:3], v0, v2, a[0:3]
	s_movk_i32 s4, 0xff
	v_and_b32_sdwa v1, v7, s4 dst_sel:DWORD dst_unused:UNUSED_PAD src0_sel:WORD_1 src1_sel:DWORD
	s_movk_i32 s4, 0x7f
	v_cmp_lt_i16_e32 vcc, s4, v1
	s_mov_b64 s[4:5], 0
                                        ; implicit-def: $sgpr10
	s_and_saveexec_b64 s[6:7], vcc
	s_xor_b64 s[6:7], exec, s[6:7]
	s_cbranch_execnz .LBB5_4081
; %bb.2033:
	s_or_saveexec_b64 s[6:7], s[6:7]
	v_mov_b32_e32 v0, s10
	s_xor_b64 exec, exec, s[6:7]
	s_cbranch_execnz .LBB5_4084
.LBB5_2034:
	s_or_b64 exec, exec, s[6:7]
	s_and_saveexec_b64 s[6:7], s[4:5]
	s_cbranch_execz .LBB5_2036
.LBB5_2035:
	v_bfe_u32 v0, v7, 16, 3
	v_ffbh_u32_e32 v4, v0
	v_min_u32_e32 v4, 32, v4
	v_lshrrev_b32_e32 v1, 19, v7
	v_subrev_u32_e32 v5, 28, v4
	v_and_b32_e32 v1, 15, v1
	v_lshlrev_b32_sdwa v5, v5, v7 dst_sel:DWORD dst_unused:UNUSED_PAD src0_sel:DWORD src1_sel:WORD_1
	v_bfe_u32 v2, v7, 19, 4
	v_sub_u32_e32 v4, 29, v4
	v_and_b32_e32 v5, 7, v5
	v_cmp_eq_u16_e32 vcc, 0, v1
	v_cndmask_b32_e32 v0, v0, v5, vcc
	v_cndmask_b32_e32 v1, v2, v4, vcc
	v_lshlrev_b32_e32 v2, 8, v7
	v_mov_b32_e32 v4, 0x3b800000
	v_lshlrev_b32_e32 v0, 20, v0
	v_and_b32_e32 v2, 0x80000000, v2
	v_lshl_add_u32 v1, v1, 23, v4
	v_or3_b32 v0, v2, v1, v0
.LBB5_2036:
	s_or_b64 exec, exec, s[6:7]
	s_movk_i32 s4, 0xff
	v_and_b32_sdwa v1, v3, s4 dst_sel:DWORD dst_unused:UNUSED_PAD src0_sel:WORD_1 src1_sel:DWORD
	s_movk_i32 s4, 0x7f
	v_cmp_lt_i16_e32 vcc, s4, v1
	s_mov_b64 s[4:5], 0
                                        ; implicit-def: $sgpr10
	s_and_saveexec_b64 s[6:7], vcc
	s_xor_b64 s[6:7], exec, s[6:7]
	s_cbranch_execnz .LBB5_4085
; %bb.2037:
	s_or_saveexec_b64 s[6:7], s[6:7]
	v_mov_b32_e32 v2, s10
	s_xor_b64 exec, exec, s[6:7]
	s_cbranch_execnz .LBB5_4088
.LBB5_2038:
	s_or_b64 exec, exec, s[6:7]
	s_and_saveexec_b64 s[6:7], s[4:5]
	s_cbranch_execz .LBB5_2040
.LBB5_2039:
	v_bfe_u32 v1, v3, 16, 3
	v_ffbh_u32_e32 v5, v1
	v_min_u32_e32 v5, 32, v5
	v_lshrrev_b32_e32 v2, 19, v3
	v_subrev_u32_e32 v6, 28, v5
	v_and_b32_e32 v2, 15, v2
	v_lshlrev_b32_sdwa v6, v6, v3 dst_sel:DWORD dst_unused:UNUSED_PAD src0_sel:DWORD src1_sel:WORD_1
	v_bfe_u32 v4, v3, 19, 4
	v_sub_u32_e32 v5, 29, v5
	v_and_b32_e32 v6, 7, v6
	v_cmp_eq_u16_e32 vcc, 0, v2
	v_cndmask_b32_e32 v1, v1, v6, vcc
	v_cndmask_b32_e32 v2, v4, v5, vcc
	v_lshlrev_b32_e32 v4, 8, v3
	v_mov_b32_e32 v5, 0x3b800000
	v_lshlrev_b32_e32 v1, 20, v1
	v_and_b32_e32 v4, 0x80000000, v4
	v_lshl_add_u32 v2, v2, 23, v5
	v_or3_b32 v2, v4, v2, v1
.LBB5_2040:
	s_or_b64 exec, exec, s[6:7]
	s_nop 0
	v_mfma_f32_16x16x4f32 a[0:3], v0, v2, a[0:3]
	s_movk_i32 s4, 0x7f
	v_cmp_gt_i16_sdwa s[6:7], v7, s4 src0_sel:BYTE_3 src1_sel:DWORD
	s_mov_b64 s[4:5], 0
                                        ; implicit-def: $sgpr10
	s_and_saveexec_b64 s[8:9], s[6:7]
	s_xor_b64 s[6:7], exec, s[8:9]
	s_cbranch_execnz .LBB5_4089
; %bb.2041:
	s_or_saveexec_b64 s[6:7], s[6:7]
	v_mov_b32_e32 v0, s10
	s_xor_b64 exec, exec, s[6:7]
	s_cbranch_execnz .LBB5_4092
.LBB5_2042:
	s_or_b64 exec, exec, s[6:7]
	s_and_saveexec_b64 s[6:7], s[4:5]
	s_cbranch_execz .LBB5_2044
.LBB5_2043:
	v_bfe_u32 v0, v7, 24, 3
	v_ffbh_u32_e32 v5, v0
	v_min_u32_e32 v5, 32, v5
	v_lshrrev_b32_e32 v2, 27, v7
	v_subrev_u32_e32 v6, 28, v5
	v_and_b32_e32 v2, 15, v2
	v_lshlrev_b32_sdwa v6, v6, v7 dst_sel:DWORD dst_unused:UNUSED_PAD src0_sel:DWORD src1_sel:BYTE_3
	v_bfe_u32 v4, v7, 27, 4
	v_sub_u32_e32 v5, 29, v5
	v_and_b32_e32 v6, 7, v6
	v_cmp_eq_u16_e32 vcc, 0, v2
	v_cndmask_b32_e32 v0, v0, v6, vcc
	v_cndmask_b32_e32 v2, v4, v5, vcc
	v_mov_b32_e32 v4, 0x3b800000
	v_and_b32_e32 v1, 0x80000000, v7
	v_lshlrev_b32_e32 v0, 20, v0
	v_lshl_add_u32 v2, v2, 23, v4
	v_or3_b32 v0, v1, v2, v0
.LBB5_2044:
	s_or_b64 exec, exec, s[6:7]
	s_movk_i32 s4, 0x7f
	v_cmp_gt_i16_sdwa s[6:7], v3, s4 src0_sel:BYTE_3 src1_sel:DWORD
	s_mov_b64 s[4:5], 0
                                        ; implicit-def: $sgpr10
	s_and_saveexec_b64 s[8:9], s[6:7]
	s_xor_b64 s[6:7], exec, s[8:9]
	s_cbranch_execnz .LBB5_4093
; %bb.2045:
	s_or_saveexec_b64 s[6:7], s[6:7]
	v_mov_b32_e32 v1, s10
	s_xor_b64 exec, exec, s[6:7]
	s_cbranch_execnz .LBB5_4096
.LBB5_2046:
	s_or_b64 exec, exec, s[6:7]
	s_and_saveexec_b64 s[6:7], s[4:5]
	s_cbranch_execz .LBB5_2048
.LBB5_2047:
	v_bfe_u32 v1, v3, 24, 3
	v_ffbh_u32_e32 v6, v1
	v_min_u32_e32 v6, 32, v6
	v_lshrrev_b32_e32 v4, 27, v3
	v_subrev_u32_e32 v7, 28, v6
	v_and_b32_e32 v2, 0x80000000, v3
	v_and_b32_e32 v4, 15, v4
	v_bfe_u32 v5, v3, 27, 4
	v_lshlrev_b32_sdwa v3, v7, v3 dst_sel:DWORD dst_unused:UNUSED_PAD src0_sel:DWORD src1_sel:BYTE_3
	v_sub_u32_e32 v6, 29, v6
	v_and_b32_e32 v3, 7, v3
	v_cmp_eq_u16_e32 vcc, 0, v4
	v_cndmask_b32_e32 v1, v1, v3, vcc
	v_cndmask_b32_e32 v3, v5, v6, vcc
	v_mov_b32_e32 v4, 0x3b800000
	v_lshlrev_b32_e32 v1, 20, v1
	v_lshl_add_u32 v3, v3, 23, v4
	v_or3_b32 v1, v2, v3, v1
.LBB5_2048:
	s_or_b64 exec, exec, s[6:7]
	s_nop 0
	v_mfma_f32_16x16x4f32 a[0:3], v0, v1, a[0:3]
	s_nop 7
	s_nop 2
	flat_store_dwordx4 v[16:17], a[0:3] offset:496
	s_waitcnt vmcnt(0) lgkmcnt(0)
	s_setpc_b64 s[30:31]
.LBB5_2049:
	s_movk_i32 s4, 0x80
	v_cmp_eq_u16_sdwa s[12:13], v14, s4 src0_sel:BYTE_0 src1_sel:DWORD
	s_mov_b64 s[4:5], -1
                                        ; implicit-def: $sgpr10
	s_and_saveexec_b64 s[8:9], s[12:13]
; %bb.2050:
	s_mov_b32 s10, 0x7f800001
	s_xor_b64 s[4:5], exec, -1
; %bb.2051:
	s_or_b64 exec, exec, s[8:9]
	s_and_b64 s[4:5], s[4:5], exec
	s_or_saveexec_b64 s[6:7], s[6:7]
	v_mov_b32_e32 v20, s10
	s_xor_b64 exec, exec, s[6:7]
	s_cbranch_execz .LBB5_2
.LBB5_2052:
	v_mov_b32_e32 v20, 0
	v_cmp_ne_u16_sdwa s[8:9], v14, v20 src0_sel:BYTE_0 src1_sel:DWORD
	s_andn2_b64 s[4:5], s[4:5], exec
	s_and_b64 s[8:9], s[8:9], exec
	s_or_b64 s[4:5], s[4:5], s[8:9]
	s_or_b64 exec, exec, s[6:7]
	s_and_saveexec_b64 s[6:7], s[4:5]
	s_cbranch_execnz .LBB5_3
	s_branch .LBB5_4
.LBB5_2053:
	s_movk_i32 s4, 0x80
	v_cmp_eq_u16_sdwa s[12:13], v10, s4 src0_sel:BYTE_0 src1_sel:DWORD
	s_mov_b64 s[4:5], -1
                                        ; implicit-def: $sgpr10
	s_and_saveexec_b64 s[8:9], s[12:13]
; %bb.2054:
	s_mov_b32 s10, 0x7f800001
	s_xor_b64 s[4:5], exec, -1
; %bb.2055:
	s_or_b64 exec, exec, s[8:9]
	s_and_b64 s[4:5], s[4:5], exec
	s_or_saveexec_b64 s[6:7], s[6:7]
	v_mov_b32_e32 v21, s10
	s_xor_b64 exec, exec, s[6:7]
	s_cbranch_execz .LBB5_6
.LBB5_2056:
	v_mov_b32_e32 v21, 0
	v_cmp_ne_u16_sdwa s[8:9], v10, v21 src0_sel:BYTE_0 src1_sel:DWORD
	s_andn2_b64 s[4:5], s[4:5], exec
	s_and_b64 s[8:9], s[8:9], exec
	s_or_b64 s[4:5], s[4:5], s[8:9]
	s_or_b64 exec, exec, s[6:7]
	s_and_saveexec_b64 s[6:7], s[4:5]
	s_cbranch_execnz .LBB5_7
	s_branch .LBB5_8
.LBB5_2057:
	s_movk_i32 s4, 0x80
	v_cmp_eq_u16_sdwa s[12:13], v21, s4 src0_sel:BYTE_0 src1_sel:DWORD
	s_mov_b64 s[4:5], -1
                                        ; implicit-def: $sgpr10
	s_and_saveexec_b64 s[8:9], s[12:13]
; %bb.2058:
	s_mov_b32 s10, 0x7f800001
	s_xor_b64 s[4:5], exec, -1
; %bb.2059:
	s_or_b64 exec, exec, s[8:9]
	s_and_b64 s[4:5], s[4:5], exec
	s_or_saveexec_b64 s[6:7], s[6:7]
	v_mov_b32_e32 v20, s10
	s_xor_b64 exec, exec, s[6:7]
	s_cbranch_execz .LBB5_10
.LBB5_2060:
	v_mov_b32_e32 v20, 0
	v_cmp_ne_u16_sdwa s[8:9], v21, v20 src0_sel:BYTE_0 src1_sel:DWORD
	s_andn2_b64 s[4:5], s[4:5], exec
	s_and_b64 s[8:9], s[8:9], exec
	s_or_b64 s[4:5], s[4:5], s[8:9]
	s_or_b64 exec, exec, s[6:7]
	s_and_saveexec_b64 s[6:7], s[4:5]
	s_cbranch_execnz .LBB5_11
	s_branch .LBB5_12
.LBB5_2061:
	s_movk_i32 s4, 0x80
	v_cmp_eq_u16_sdwa s[12:13], v21, s4 src0_sel:BYTE_0 src1_sel:DWORD
	s_mov_b64 s[4:5], -1
                                        ; implicit-def: $sgpr10
	s_and_saveexec_b64 s[8:9], s[12:13]
; %bb.2062:
	s_mov_b32 s10, 0x7f800001
	s_xor_b64 s[4:5], exec, -1
; %bb.2063:
	s_or_b64 exec, exec, s[8:9]
	s_and_b64 s[4:5], s[4:5], exec
	s_or_saveexec_b64 s[6:7], s[6:7]
	v_mov_b32_e32 v22, s10
	s_xor_b64 exec, exec, s[6:7]
	s_cbranch_execz .LBB5_14
.LBB5_2064:
	v_mov_b32_e32 v22, 0
	v_cmp_ne_u16_sdwa s[8:9], v21, v22 src0_sel:BYTE_0 src1_sel:DWORD
	s_andn2_b64 s[4:5], s[4:5], exec
	s_and_b64 s[8:9], s[8:9], exec
	s_or_b64 s[4:5], s[4:5], s[8:9]
	s_or_b64 exec, exec, s[6:7]
	s_and_saveexec_b64 s[6:7], s[4:5]
	s_cbranch_execnz .LBB5_15
	s_branch .LBB5_16
.LBB5_2065:
	s_movk_i32 s4, 0x80
	v_cmp_eq_u16_e32 vcc, s4, v21
	s_mov_b64 s[4:5], -1
                                        ; implicit-def: $sgpr10
	s_and_saveexec_b64 s[8:9], vcc
; %bb.2066:
	s_mov_b32 s10, 0x7f800001
	s_xor_b64 s[4:5], exec, -1
; %bb.2067:
	s_or_b64 exec, exec, s[8:9]
	s_and_b64 s[4:5], s[4:5], exec
                                        ; implicit-def: $vgpr21
	s_or_saveexec_b64 s[6:7], s[6:7]
	v_mov_b32_e32 v20, s10
	s_xor_b64 exec, exec, s[6:7]
	s_cbranch_execz .LBB5_18
.LBB5_2068:
	v_cmp_ne_u16_e32 vcc, 0, v21
	s_andn2_b64 s[4:5], s[4:5], exec
	s_and_b64 s[8:9], vcc, exec
	v_mov_b32_e32 v20, 0
	s_or_b64 s[4:5], s[4:5], s[8:9]
	s_or_b64 exec, exec, s[6:7]
	s_and_saveexec_b64 s[6:7], s[4:5]
	s_cbranch_execnz .LBB5_19
	s_branch .LBB5_20
.LBB5_2069:
	s_movk_i32 s4, 0x80
	v_cmp_eq_u16_e32 vcc, s4, v21
	s_mov_b64 s[4:5], -1
                                        ; implicit-def: $sgpr10
	s_and_saveexec_b64 s[8:9], vcc
; %bb.2070:
	s_mov_b32 s10, 0x7f800001
	s_xor_b64 s[4:5], exec, -1
; %bb.2071:
	s_or_b64 exec, exec, s[8:9]
	s_and_b64 s[4:5], s[4:5], exec
                                        ; implicit-def: $vgpr21
	s_or_saveexec_b64 s[6:7], s[6:7]
	v_mov_b32_e32 v22, s10
	s_xor_b64 exec, exec, s[6:7]
	s_cbranch_execz .LBB5_22
.LBB5_2072:
	v_cmp_ne_u16_e32 vcc, 0, v21
	s_andn2_b64 s[4:5], s[4:5], exec
	s_and_b64 s[8:9], vcc, exec
	v_mov_b32_e32 v22, 0
	s_or_b64 s[4:5], s[4:5], s[8:9]
	s_or_b64 exec, exec, s[6:7]
	s_and_saveexec_b64 s[6:7], s[4:5]
	s_cbranch_execnz .LBB5_23
	s_branch .LBB5_24
.LBB5_2073:
	s_movk_i32 s4, 0x80
	v_cmp_eq_u16_sdwa s[12:13], v14, s4 src0_sel:BYTE_3 src1_sel:DWORD
	s_mov_b64 s[4:5], -1
                                        ; implicit-def: $sgpr10
	s_and_saveexec_b64 s[8:9], s[12:13]
; %bb.2074:
	s_mov_b32 s10, 0x7f800001
	s_xor_b64 s[4:5], exec, -1
; %bb.2075:
	s_or_b64 exec, exec, s[8:9]
	s_and_b64 s[4:5], s[4:5], exec
	s_or_saveexec_b64 s[6:7], s[6:7]
	v_mov_b32_e32 v20, s10
	s_xor_b64 exec, exec, s[6:7]
	s_cbranch_execz .LBB5_26
.LBB5_2076:
	v_mov_b32_e32 v20, 0
	v_cmp_ne_u16_sdwa s[8:9], v14, v20 src0_sel:BYTE_3 src1_sel:DWORD
	s_andn2_b64 s[4:5], s[4:5], exec
	s_and_b64 s[8:9], s[8:9], exec
	s_or_b64 s[4:5], s[4:5], s[8:9]
	s_or_b64 exec, exec, s[6:7]
	s_and_saveexec_b64 s[6:7], s[4:5]
	s_cbranch_execnz .LBB5_27
	s_branch .LBB5_28
.LBB5_2077:
	s_movk_i32 s4, 0x80
	v_cmp_eq_u16_sdwa s[12:13], v10, s4 src0_sel:BYTE_3 src1_sel:DWORD
	s_mov_b64 s[4:5], -1
                                        ; implicit-def: $sgpr10
	s_and_saveexec_b64 s[8:9], s[12:13]
; %bb.2078:
	s_mov_b32 s10, 0x7f800001
	s_xor_b64 s[4:5], exec, -1
; %bb.2079:
	s_or_b64 exec, exec, s[8:9]
	s_and_b64 s[4:5], s[4:5], exec
	s_or_saveexec_b64 s[6:7], s[6:7]
	v_mov_b32_e32 v14, s10
	s_xor_b64 exec, exec, s[6:7]
	s_cbranch_execz .LBB5_30
.LBB5_2080:
	v_mov_b32_e32 v14, 0
	v_cmp_ne_u16_sdwa s[8:9], v10, v14 src0_sel:BYTE_3 src1_sel:DWORD
	s_andn2_b64 s[4:5], s[4:5], exec
	s_and_b64 s[8:9], s[8:9], exec
	s_or_b64 s[4:5], s[4:5], s[8:9]
	s_or_b64 exec, exec, s[6:7]
	s_and_saveexec_b64 s[6:7], s[4:5]
	s_cbranch_execnz .LBB5_31
	s_branch .LBB5_32
.LBB5_2081:
	s_movk_i32 s4, 0x80
	v_cmp_eq_u16_sdwa s[12:13], v15, s4 src0_sel:BYTE_0 src1_sel:DWORD
	s_mov_b64 s[4:5], -1
                                        ; implicit-def: $sgpr10
	s_and_saveexec_b64 s[8:9], s[12:13]
; %bb.2082:
	s_mov_b32 s10, 0x7f800001
	s_xor_b64 s[4:5], exec, -1
; %bb.2083:
	s_or_b64 exec, exec, s[8:9]
	s_and_b64 s[4:5], s[4:5], exec
	s_or_saveexec_b64 s[6:7], s[6:7]
	v_mov_b32_e32 v10, s10
	s_xor_b64 exec, exec, s[6:7]
	s_cbranch_execz .LBB5_34
.LBB5_2084:
	v_mov_b32_e32 v10, 0
	v_cmp_ne_u16_sdwa s[8:9], v15, v10 src0_sel:BYTE_0 src1_sel:DWORD
	s_andn2_b64 s[4:5], s[4:5], exec
	s_and_b64 s[8:9], s[8:9], exec
	s_or_b64 s[4:5], s[4:5], s[8:9]
	s_or_b64 exec, exec, s[6:7]
	s_and_saveexec_b64 s[6:7], s[4:5]
	s_cbranch_execnz .LBB5_35
	s_branch .LBB5_36
.LBB5_2085:
	s_movk_i32 s4, 0x80
	v_cmp_eq_u16_sdwa s[12:13], v11, s4 src0_sel:BYTE_0 src1_sel:DWORD
	s_mov_b64 s[4:5], -1
                                        ; implicit-def: $sgpr10
	s_and_saveexec_b64 s[8:9], s[12:13]
; %bb.2086:
	s_mov_b32 s10, 0x7f800001
	s_xor_b64 s[4:5], exec, -1
; %bb.2087:
	s_or_b64 exec, exec, s[8:9]
	s_and_b64 s[4:5], s[4:5], exec
	s_or_saveexec_b64 s[6:7], s[6:7]
	v_mov_b32_e32 v14, s10
	s_xor_b64 exec, exec, s[6:7]
	s_cbranch_execz .LBB5_38
.LBB5_2088:
	v_mov_b32_e32 v14, 0
	v_cmp_ne_u16_sdwa s[8:9], v11, v14 src0_sel:BYTE_0 src1_sel:DWORD
	s_andn2_b64 s[4:5], s[4:5], exec
	s_and_b64 s[8:9], s[8:9], exec
	s_or_b64 s[4:5], s[4:5], s[8:9]
	s_or_b64 exec, exec, s[6:7]
	s_and_saveexec_b64 s[6:7], s[4:5]
	s_cbranch_execnz .LBB5_39
	s_branch .LBB5_40
.LBB5_2089:
	s_movk_i32 s4, 0x80
	v_cmp_eq_u16_sdwa s[12:13], v14, s4 src0_sel:BYTE_0 src1_sel:DWORD
	s_mov_b64 s[4:5], -1
                                        ; implicit-def: $sgpr10
	s_and_saveexec_b64 s[8:9], s[12:13]
; %bb.2090:
	s_mov_b32 s10, 0x7f800001
	s_xor_b64 s[4:5], exec, -1
; %bb.2091:
	s_or_b64 exec, exec, s[8:9]
	s_and_b64 s[4:5], s[4:5], exec
	s_or_saveexec_b64 s[6:7], s[6:7]
	v_mov_b32_e32 v10, s10
	s_xor_b64 exec, exec, s[6:7]
	s_cbranch_execz .LBB5_42
.LBB5_2092:
	v_mov_b32_e32 v10, 0
	v_cmp_ne_u16_sdwa s[8:9], v14, v10 src0_sel:BYTE_0 src1_sel:DWORD
	s_andn2_b64 s[4:5], s[4:5], exec
	s_and_b64 s[8:9], s[8:9], exec
	s_or_b64 s[4:5], s[4:5], s[8:9]
	s_or_b64 exec, exec, s[6:7]
	s_and_saveexec_b64 s[6:7], s[4:5]
	s_cbranch_execnz .LBB5_43
	s_branch .LBB5_44
.LBB5_2093:
	s_movk_i32 s4, 0x80
	v_cmp_eq_u16_sdwa s[12:13], v14, s4 src0_sel:BYTE_0 src1_sel:DWORD
	s_mov_b64 s[4:5], -1
                                        ; implicit-def: $sgpr10
	s_and_saveexec_b64 s[8:9], s[12:13]
; %bb.2094:
	s_mov_b32 s10, 0x7f800001
	s_xor_b64 s[4:5], exec, -1
; %bb.2095:
	s_or_b64 exec, exec, s[8:9]
	s_and_b64 s[4:5], s[4:5], exec
	s_or_saveexec_b64 s[6:7], s[6:7]
	v_mov_b32_e32 v20, s10
	s_xor_b64 exec, exec, s[6:7]
	s_cbranch_execz .LBB5_46
.LBB5_2096:
	v_mov_b32_e32 v20, 0
	v_cmp_ne_u16_sdwa s[8:9], v14, v20 src0_sel:BYTE_0 src1_sel:DWORD
	s_andn2_b64 s[4:5], s[4:5], exec
	s_and_b64 s[8:9], s[8:9], exec
	s_or_b64 s[4:5], s[4:5], s[8:9]
	s_or_b64 exec, exec, s[6:7]
	s_and_saveexec_b64 s[6:7], s[4:5]
	s_cbranch_execnz .LBB5_47
	s_branch .LBB5_48
.LBB5_2097:
	s_movk_i32 s4, 0x80
	v_cmp_eq_u16_e32 vcc, s4, v14
	s_mov_b64 s[4:5], -1
                                        ; implicit-def: $sgpr10
	s_and_saveexec_b64 s[8:9], vcc
; %bb.2098:
	s_mov_b32 s10, 0x7f800001
	s_xor_b64 s[4:5], exec, -1
; %bb.2099:
	s_or_b64 exec, exec, s[8:9]
	s_and_b64 s[4:5], s[4:5], exec
                                        ; implicit-def: $vgpr14
	s_or_saveexec_b64 s[6:7], s[6:7]
	v_mov_b32_e32 v10, s10
	s_xor_b64 exec, exec, s[6:7]
	s_cbranch_execz .LBB5_50
.LBB5_2100:
	v_cmp_ne_u16_e32 vcc, 0, v14
	s_andn2_b64 s[4:5], s[4:5], exec
	s_and_b64 s[8:9], vcc, exec
	v_mov_b32_e32 v10, 0
	s_or_b64 s[4:5], s[4:5], s[8:9]
	s_or_b64 exec, exec, s[6:7]
	s_and_saveexec_b64 s[6:7], s[4:5]
	s_cbranch_execnz .LBB5_51
	s_branch .LBB5_52
.LBB5_2101:
	s_movk_i32 s4, 0x80
	v_cmp_eq_u16_e32 vcc, s4, v14
	s_mov_b64 s[4:5], -1
                                        ; implicit-def: $sgpr10
	s_and_saveexec_b64 s[8:9], vcc
; %bb.2102:
	s_mov_b32 s10, 0x7f800001
	s_xor_b64 s[4:5], exec, -1
; %bb.2103:
	s_or_b64 exec, exec, s[8:9]
	s_and_b64 s[4:5], s[4:5], exec
                                        ; implicit-def: $vgpr14
	s_or_saveexec_b64 s[6:7], s[6:7]
	v_mov_b32_e32 v20, s10
	s_xor_b64 exec, exec, s[6:7]
	s_cbranch_execz .LBB5_54
.LBB5_2104:
	v_cmp_ne_u16_e32 vcc, 0, v14
	s_andn2_b64 s[4:5], s[4:5], exec
	s_and_b64 s[8:9], vcc, exec
	v_mov_b32_e32 v20, 0
	s_or_b64 s[4:5], s[4:5], s[8:9]
	s_or_b64 exec, exec, s[6:7]
	s_and_saveexec_b64 s[6:7], s[4:5]
	s_cbranch_execnz .LBB5_55
	s_branch .LBB5_56
.LBB5_2105:
	s_movk_i32 s4, 0x80
	v_cmp_eq_u16_sdwa s[12:13], v15, s4 src0_sel:BYTE_3 src1_sel:DWORD
	s_mov_b64 s[4:5], -1
                                        ; implicit-def: $sgpr10
	s_and_saveexec_b64 s[8:9], s[12:13]
; %bb.2106:
	s_mov_b32 s10, 0x7f800001
	s_xor_b64 s[4:5], exec, -1
; %bb.2107:
	s_or_b64 exec, exec, s[8:9]
	s_and_b64 s[4:5], s[4:5], exec
	s_or_saveexec_b64 s[6:7], s[6:7]
	v_mov_b32_e32 v10, s10
	s_xor_b64 exec, exec, s[6:7]
	s_cbranch_execz .LBB5_58
.LBB5_2108:
	v_mov_b32_e32 v10, 0
	v_cmp_ne_u16_sdwa s[8:9], v15, v10 src0_sel:BYTE_3 src1_sel:DWORD
	s_andn2_b64 s[4:5], s[4:5], exec
	s_and_b64 s[8:9], s[8:9], exec
	s_or_b64 s[4:5], s[4:5], s[8:9]
	s_or_b64 exec, exec, s[6:7]
	s_and_saveexec_b64 s[6:7], s[4:5]
	s_cbranch_execnz .LBB5_59
	s_branch .LBB5_60
.LBB5_2109:
	s_movk_i32 s4, 0x80
	v_cmp_eq_u16_sdwa s[12:13], v11, s4 src0_sel:BYTE_3 src1_sel:DWORD
	s_mov_b64 s[4:5], -1
                                        ; implicit-def: $sgpr10
	s_and_saveexec_b64 s[8:9], s[12:13]
; %bb.2110:
	s_mov_b32 s10, 0x7f800001
	s_xor_b64 s[4:5], exec, -1
; %bb.2111:
	s_or_b64 exec, exec, s[8:9]
	s_and_b64 s[4:5], s[4:5], exec
	s_or_saveexec_b64 s[6:7], s[6:7]
	v_mov_b32_e32 v14, s10
	s_xor_b64 exec, exec, s[6:7]
	s_cbranch_execz .LBB5_62
.LBB5_2112:
	v_mov_b32_e32 v14, 0
	v_cmp_ne_u16_sdwa s[8:9], v11, v14 src0_sel:BYTE_3 src1_sel:DWORD
	s_andn2_b64 s[4:5], s[4:5], exec
	s_and_b64 s[8:9], s[8:9], exec
	s_or_b64 s[4:5], s[4:5], s[8:9]
	s_or_b64 exec, exec, s[6:7]
	s_and_saveexec_b64 s[6:7], s[4:5]
	s_cbranch_execnz .LBB5_63
	s_branch .LBB5_64
.LBB5_2113:
	s_movk_i32 s4, 0x80
	v_cmp_eq_u16_sdwa s[12:13], v16, s4 src0_sel:BYTE_0 src1_sel:DWORD
	s_mov_b64 s[4:5], -1
                                        ; implicit-def: $sgpr10
	s_and_saveexec_b64 s[8:9], s[12:13]
; %bb.2114:
	s_mov_b32 s10, 0x7f800001
	s_xor_b64 s[4:5], exec, -1
; %bb.2115:
	s_or_b64 exec, exec, s[8:9]
	s_and_b64 s[4:5], s[4:5], exec
	s_or_saveexec_b64 s[6:7], s[6:7]
	v_mov_b32_e32 v10, s10
	s_xor_b64 exec, exec, s[6:7]
	s_cbranch_execz .LBB5_66
.LBB5_2116:
	v_mov_b32_e32 v10, 0
	v_cmp_ne_u16_sdwa s[8:9], v16, v10 src0_sel:BYTE_0 src1_sel:DWORD
	s_andn2_b64 s[4:5], s[4:5], exec
	s_and_b64 s[8:9], s[8:9], exec
	s_or_b64 s[4:5], s[4:5], s[8:9]
	s_or_b64 exec, exec, s[6:7]
	s_and_saveexec_b64 s[6:7], s[4:5]
	s_cbranch_execnz .LBB5_67
	s_branch .LBB5_68
.LBB5_2117:
	s_movk_i32 s4, 0x80
	v_cmp_eq_u16_sdwa s[12:13], v12, s4 src0_sel:BYTE_0 src1_sel:DWORD
	s_mov_b64 s[4:5], -1
                                        ; implicit-def: $sgpr10
	s_and_saveexec_b64 s[8:9], s[12:13]
; %bb.2118:
	s_mov_b32 s10, 0x7f800001
	s_xor_b64 s[4:5], exec, -1
; %bb.2119:
	s_or_b64 exec, exec, s[8:9]
	s_and_b64 s[4:5], s[4:5], exec
	s_or_saveexec_b64 s[6:7], s[6:7]
	v_mov_b32_e32 v11, s10
	s_xor_b64 exec, exec, s[6:7]
	s_cbranch_execz .LBB5_70
.LBB5_2120:
	v_mov_b32_e32 v11, 0
	v_cmp_ne_u16_sdwa s[8:9], v12, v11 src0_sel:BYTE_0 src1_sel:DWORD
	s_andn2_b64 s[4:5], s[4:5], exec
	s_and_b64 s[8:9], s[8:9], exec
	s_or_b64 s[4:5], s[4:5], s[8:9]
	s_or_b64 exec, exec, s[6:7]
	s_and_saveexec_b64 s[6:7], s[4:5]
	s_cbranch_execnz .LBB5_71
	s_branch .LBB5_72
.LBB5_2121:
	s_movk_i32 s4, 0x80
	v_cmp_eq_u16_sdwa s[12:13], v11, s4 src0_sel:BYTE_0 src1_sel:DWORD
	s_mov_b64 s[4:5], -1
                                        ; implicit-def: $sgpr10
	s_and_saveexec_b64 s[8:9], s[12:13]
; %bb.2122:
	s_mov_b32 s10, 0x7f800001
	s_xor_b64 s[4:5], exec, -1
; %bb.2123:
	s_or_b64 exec, exec, s[8:9]
	s_and_b64 s[4:5], s[4:5], exec
	s_or_saveexec_b64 s[6:7], s[6:7]
	v_mov_b32_e32 v10, s10
	s_xor_b64 exec, exec, s[6:7]
	s_cbranch_execz .LBB5_74
.LBB5_2124:
	v_mov_b32_e32 v10, 0
	v_cmp_ne_u16_sdwa s[8:9], v11, v10 src0_sel:BYTE_0 src1_sel:DWORD
	s_andn2_b64 s[4:5], s[4:5], exec
	s_and_b64 s[8:9], s[8:9], exec
	s_or_b64 s[4:5], s[4:5], s[8:9]
	s_or_b64 exec, exec, s[6:7]
	s_and_saveexec_b64 s[6:7], s[4:5]
	s_cbranch_execnz .LBB5_75
	s_branch .LBB5_76
.LBB5_2125:
	s_movk_i32 s4, 0x80
	v_cmp_eq_u16_sdwa s[12:13], v11, s4 src0_sel:BYTE_0 src1_sel:DWORD
	s_mov_b64 s[4:5], -1
                                        ; implicit-def: $sgpr10
	s_and_saveexec_b64 s[8:9], s[12:13]
; %bb.2126:
	s_mov_b32 s10, 0x7f800001
	s_xor_b64 s[4:5], exec, -1
; %bb.2127:
	s_or_b64 exec, exec, s[8:9]
	s_and_b64 s[4:5], s[4:5], exec
	s_or_saveexec_b64 s[6:7], s[6:7]
	v_mov_b32_e32 v14, s10
	s_xor_b64 exec, exec, s[6:7]
	s_cbranch_execz .LBB5_78
.LBB5_2128:
	v_mov_b32_e32 v14, 0
	v_cmp_ne_u16_sdwa s[8:9], v11, v14 src0_sel:BYTE_0 src1_sel:DWORD
	s_andn2_b64 s[4:5], s[4:5], exec
	s_and_b64 s[8:9], s[8:9], exec
	s_or_b64 s[4:5], s[4:5], s[8:9]
	s_or_b64 exec, exec, s[6:7]
	s_and_saveexec_b64 s[6:7], s[4:5]
	s_cbranch_execnz .LBB5_79
	s_branch .LBB5_80
.LBB5_2129:
	s_movk_i32 s4, 0x80
	v_cmp_eq_u16_e32 vcc, s4, v11
	s_mov_b64 s[4:5], -1
                                        ; implicit-def: $sgpr10
	s_and_saveexec_b64 s[8:9], vcc
; %bb.2130:
	s_mov_b32 s10, 0x7f800001
	s_xor_b64 s[4:5], exec, -1
; %bb.2131:
	s_or_b64 exec, exec, s[8:9]
	s_and_b64 s[4:5], s[4:5], exec
                                        ; implicit-def: $vgpr11
	s_or_saveexec_b64 s[6:7], s[6:7]
	v_mov_b32_e32 v10, s10
	s_xor_b64 exec, exec, s[6:7]
	s_cbranch_execz .LBB5_82
.LBB5_2132:
	v_cmp_ne_u16_e32 vcc, 0, v11
	s_andn2_b64 s[4:5], s[4:5], exec
	s_and_b64 s[8:9], vcc, exec
	v_mov_b32_e32 v10, 0
	s_or_b64 s[4:5], s[4:5], s[8:9]
	s_or_b64 exec, exec, s[6:7]
	s_and_saveexec_b64 s[6:7], s[4:5]
	s_cbranch_execnz .LBB5_83
	s_branch .LBB5_84
.LBB5_2133:
	s_movk_i32 s4, 0x80
	v_cmp_eq_u16_e32 vcc, s4, v11
	s_mov_b64 s[4:5], -1
                                        ; implicit-def: $sgpr10
	s_and_saveexec_b64 s[8:9], vcc
; %bb.2134:
	s_mov_b32 s10, 0x7f800001
	s_xor_b64 s[4:5], exec, -1
; %bb.2135:
	s_or_b64 exec, exec, s[8:9]
	s_and_b64 s[4:5], s[4:5], exec
                                        ; implicit-def: $vgpr11
	s_or_saveexec_b64 s[6:7], s[6:7]
	v_mov_b32_e32 v14, s10
	s_xor_b64 exec, exec, s[6:7]
	s_cbranch_execz .LBB5_86
.LBB5_2136:
	v_cmp_ne_u16_e32 vcc, 0, v11
	s_andn2_b64 s[4:5], s[4:5], exec
	s_and_b64 s[8:9], vcc, exec
	v_mov_b32_e32 v14, 0
	s_or_b64 s[4:5], s[4:5], s[8:9]
	s_or_b64 exec, exec, s[6:7]
	s_and_saveexec_b64 s[6:7], s[4:5]
	s_cbranch_execnz .LBB5_87
	s_branch .LBB5_88
.LBB5_2137:
	s_movk_i32 s4, 0x80
	v_cmp_eq_u16_sdwa s[12:13], v16, s4 src0_sel:BYTE_3 src1_sel:DWORD
	s_mov_b64 s[4:5], -1
                                        ; implicit-def: $sgpr10
	s_and_saveexec_b64 s[8:9], s[12:13]
; %bb.2138:
	s_mov_b32 s10, 0x7f800001
	s_xor_b64 s[4:5], exec, -1
; %bb.2139:
	s_or_b64 exec, exec, s[8:9]
	s_and_b64 s[4:5], s[4:5], exec
	s_or_saveexec_b64 s[6:7], s[6:7]
	v_mov_b32_e32 v10, s10
	s_xor_b64 exec, exec, s[6:7]
	s_cbranch_execz .LBB5_90
.LBB5_2140:
	v_mov_b32_e32 v10, 0
	v_cmp_ne_u16_sdwa s[8:9], v16, v10 src0_sel:BYTE_3 src1_sel:DWORD
	s_andn2_b64 s[4:5], s[4:5], exec
	s_and_b64 s[8:9], s[8:9], exec
	s_or_b64 s[4:5], s[4:5], s[8:9]
	s_or_b64 exec, exec, s[6:7]
	s_and_saveexec_b64 s[6:7], s[4:5]
	s_cbranch_execnz .LBB5_91
	s_branch .LBB5_92
.LBB5_2141:
	s_movk_i32 s4, 0x80
	v_cmp_eq_u16_sdwa s[12:13], v12, s4 src0_sel:BYTE_3 src1_sel:DWORD
	s_mov_b64 s[4:5], -1
                                        ; implicit-def: $sgpr10
	s_and_saveexec_b64 s[8:9], s[12:13]
; %bb.2142:
	s_mov_b32 s10, 0x7f800001
	s_xor_b64 s[4:5], exec, -1
; %bb.2143:
	s_or_b64 exec, exec, s[8:9]
	s_and_b64 s[4:5], s[4:5], exec
	s_or_saveexec_b64 s[6:7], s[6:7]
	v_mov_b32_e32 v11, s10
	s_xor_b64 exec, exec, s[6:7]
	s_cbranch_execz .LBB5_94
.LBB5_2144:
	v_mov_b32_e32 v11, 0
	v_cmp_ne_u16_sdwa s[8:9], v12, v11 src0_sel:BYTE_3 src1_sel:DWORD
	s_andn2_b64 s[4:5], s[4:5], exec
	s_and_b64 s[8:9], s[8:9], exec
	s_or_b64 s[4:5], s[4:5], s[8:9]
	s_or_b64 exec, exec, s[6:7]
	s_and_saveexec_b64 s[6:7], s[4:5]
	s_cbranch_execnz .LBB5_95
	s_branch .LBB5_96
.LBB5_2145:
	s_movk_i32 s4, 0x80
	v_cmp_eq_u16_sdwa s[12:13], v17, s4 src0_sel:BYTE_0 src1_sel:DWORD
	s_mov_b64 s[4:5], -1
                                        ; implicit-def: $sgpr10
	s_and_saveexec_b64 s[8:9], s[12:13]
; %bb.2146:
	s_mov_b32 s10, 0x7f800001
	s_xor_b64 s[4:5], exec, -1
; %bb.2147:
	s_or_b64 exec, exec, s[8:9]
	s_and_b64 s[4:5], s[4:5], exec
	s_or_saveexec_b64 s[6:7], s[6:7]
	v_mov_b32_e32 v10, s10
	s_xor_b64 exec, exec, s[6:7]
	s_cbranch_execz .LBB5_98
.LBB5_2148:
	v_mov_b32_e32 v10, 0
	v_cmp_ne_u16_sdwa s[8:9], v17, v10 src0_sel:BYTE_0 src1_sel:DWORD
	s_andn2_b64 s[4:5], s[4:5], exec
	s_and_b64 s[8:9], s[8:9], exec
	s_or_b64 s[4:5], s[4:5], s[8:9]
	s_or_b64 exec, exec, s[6:7]
	s_and_saveexec_b64 s[6:7], s[4:5]
	s_cbranch_execnz .LBB5_99
	s_branch .LBB5_100
.LBB5_2149:
	s_movk_i32 s4, 0x80
	v_cmp_eq_u16_sdwa s[12:13], v13, s4 src0_sel:BYTE_0 src1_sel:DWORD
	s_mov_b64 s[4:5], -1
                                        ; implicit-def: $sgpr10
	s_and_saveexec_b64 s[8:9], s[12:13]
; %bb.2150:
	s_mov_b32 s10, 0x7f800001
	s_xor_b64 s[4:5], exec, -1
; %bb.2151:
	s_or_b64 exec, exec, s[8:9]
	s_and_b64 s[4:5], s[4:5], exec
	s_or_saveexec_b64 s[6:7], s[6:7]
	v_mov_b32_e32 v11, s10
	s_xor_b64 exec, exec, s[6:7]
	s_cbranch_execz .LBB5_102
.LBB5_2152:
	v_mov_b32_e32 v11, 0
	v_cmp_ne_u16_sdwa s[8:9], v13, v11 src0_sel:BYTE_0 src1_sel:DWORD
	s_andn2_b64 s[4:5], s[4:5], exec
	s_and_b64 s[8:9], s[8:9], exec
	s_or_b64 s[4:5], s[4:5], s[8:9]
	s_or_b64 exec, exec, s[6:7]
	s_and_saveexec_b64 s[6:7], s[4:5]
	s_cbranch_execnz .LBB5_103
	s_branch .LBB5_104
.LBB5_2153:
	s_movk_i32 s4, 0x80
	v_cmp_eq_u16_sdwa s[12:13], v11, s4 src0_sel:BYTE_0 src1_sel:DWORD
	s_mov_b64 s[4:5], -1
                                        ; implicit-def: $sgpr10
	s_and_saveexec_b64 s[8:9], s[12:13]
; %bb.2154:
	s_mov_b32 s10, 0x7f800001
	s_xor_b64 s[4:5], exec, -1
; %bb.2155:
	s_or_b64 exec, exec, s[8:9]
	s_and_b64 s[4:5], s[4:5], exec
	s_or_saveexec_b64 s[6:7], s[6:7]
	v_mov_b32_e32 v10, s10
	s_xor_b64 exec, exec, s[6:7]
	s_cbranch_execz .LBB5_106
.LBB5_2156:
	v_mov_b32_e32 v10, 0
	v_cmp_ne_u16_sdwa s[8:9], v11, v10 src0_sel:BYTE_0 src1_sel:DWORD
	s_andn2_b64 s[4:5], s[4:5], exec
	s_and_b64 s[8:9], s[8:9], exec
	s_or_b64 s[4:5], s[4:5], s[8:9]
	s_or_b64 exec, exec, s[6:7]
	s_and_saveexec_b64 s[6:7], s[4:5]
	s_cbranch_execnz .LBB5_107
	s_branch .LBB5_108
.LBB5_2157:
	s_movk_i32 s4, 0x80
	v_cmp_eq_u16_sdwa s[12:13], v11, s4 src0_sel:BYTE_0 src1_sel:DWORD
	s_mov_b64 s[4:5], -1
                                        ; implicit-def: $sgpr10
	s_and_saveexec_b64 s[8:9], s[12:13]
; %bb.2158:
	s_mov_b32 s10, 0x7f800001
	s_xor_b64 s[4:5], exec, -1
; %bb.2159:
	s_or_b64 exec, exec, s[8:9]
	s_and_b64 s[4:5], s[4:5], exec
	s_or_saveexec_b64 s[6:7], s[6:7]
	v_mov_b32_e32 v12, s10
	s_xor_b64 exec, exec, s[6:7]
	s_cbranch_execz .LBB5_110
.LBB5_2160:
	v_mov_b32_e32 v12, 0
	v_cmp_ne_u16_sdwa s[8:9], v11, v12 src0_sel:BYTE_0 src1_sel:DWORD
	s_andn2_b64 s[4:5], s[4:5], exec
	s_and_b64 s[8:9], s[8:9], exec
	s_or_b64 s[4:5], s[4:5], s[8:9]
	s_or_b64 exec, exec, s[6:7]
	s_and_saveexec_b64 s[6:7], s[4:5]
	s_cbranch_execnz .LBB5_111
	s_branch .LBB5_112
.LBB5_2161:
	s_movk_i32 s4, 0x80
	v_cmp_eq_u16_e32 vcc, s4, v11
	s_mov_b64 s[4:5], -1
                                        ; implicit-def: $sgpr10
	s_and_saveexec_b64 s[8:9], vcc
; %bb.2162:
	s_mov_b32 s10, 0x7f800001
	s_xor_b64 s[4:5], exec, -1
; %bb.2163:
	s_or_b64 exec, exec, s[8:9]
	s_and_b64 s[4:5], s[4:5], exec
                                        ; implicit-def: $vgpr11
	s_or_saveexec_b64 s[6:7], s[6:7]
	v_mov_b32_e32 v10, s10
	s_xor_b64 exec, exec, s[6:7]
	s_cbranch_execz .LBB5_114
.LBB5_2164:
	v_cmp_ne_u16_e32 vcc, 0, v11
	s_andn2_b64 s[4:5], s[4:5], exec
	s_and_b64 s[8:9], vcc, exec
	v_mov_b32_e32 v10, 0
	s_or_b64 s[4:5], s[4:5], s[8:9]
	s_or_b64 exec, exec, s[6:7]
	s_and_saveexec_b64 s[6:7], s[4:5]
	s_cbranch_execnz .LBB5_115
	s_branch .LBB5_116
.LBB5_2165:
	s_movk_i32 s4, 0x80
	v_cmp_eq_u16_e32 vcc, s4, v11
	s_mov_b64 s[4:5], -1
                                        ; implicit-def: $sgpr10
	s_and_saveexec_b64 s[8:9], vcc
; %bb.2166:
	s_mov_b32 s10, 0x7f800001
	s_xor_b64 s[4:5], exec, -1
; %bb.2167:
	s_or_b64 exec, exec, s[8:9]
	s_and_b64 s[4:5], s[4:5], exec
                                        ; implicit-def: $vgpr11
	s_or_saveexec_b64 s[6:7], s[6:7]
	v_mov_b32_e32 v12, s10
	s_xor_b64 exec, exec, s[6:7]
	s_cbranch_execz .LBB5_118
.LBB5_2168:
	v_cmp_ne_u16_e32 vcc, 0, v11
	s_andn2_b64 s[4:5], s[4:5], exec
	s_and_b64 s[8:9], vcc, exec
	v_mov_b32_e32 v12, 0
	s_or_b64 s[4:5], s[4:5], s[8:9]
	s_or_b64 exec, exec, s[6:7]
	s_and_saveexec_b64 s[6:7], s[4:5]
	s_cbranch_execnz .LBB5_119
	s_branch .LBB5_120
.LBB5_2169:
	s_movk_i32 s4, 0x80
	v_cmp_eq_u16_sdwa s[12:13], v17, s4 src0_sel:BYTE_3 src1_sel:DWORD
	s_mov_b64 s[4:5], -1
                                        ; implicit-def: $sgpr10
	s_and_saveexec_b64 s[8:9], s[12:13]
; %bb.2170:
	s_mov_b32 s10, 0x7f800001
	s_xor_b64 s[4:5], exec, -1
; %bb.2171:
	s_or_b64 exec, exec, s[8:9]
	s_and_b64 s[4:5], s[4:5], exec
	s_or_saveexec_b64 s[6:7], s[6:7]
	v_mov_b32_e32 v10, s10
	s_xor_b64 exec, exec, s[6:7]
	s_cbranch_execz .LBB5_122
.LBB5_2172:
	v_mov_b32_e32 v10, 0
	v_cmp_ne_u16_sdwa s[8:9], v17, v10 src0_sel:BYTE_3 src1_sel:DWORD
	s_andn2_b64 s[4:5], s[4:5], exec
	s_and_b64 s[8:9], s[8:9], exec
	s_or_b64 s[4:5], s[4:5], s[8:9]
	s_or_b64 exec, exec, s[6:7]
	s_and_saveexec_b64 s[6:7], s[4:5]
	s_cbranch_execnz .LBB5_123
	s_branch .LBB5_124
.LBB5_2173:
	s_movk_i32 s4, 0x80
	v_cmp_eq_u16_sdwa s[12:13], v13, s4 src0_sel:BYTE_3 src1_sel:DWORD
	s_mov_b64 s[4:5], -1
                                        ; implicit-def: $sgpr10
	s_and_saveexec_b64 s[8:9], s[12:13]
; %bb.2174:
	s_mov_b32 s10, 0x7f800001
	s_xor_b64 s[4:5], exec, -1
; %bb.2175:
	s_or_b64 exec, exec, s[8:9]
	s_and_b64 s[4:5], s[4:5], exec
	s_or_saveexec_b64 s[6:7], s[6:7]
	v_mov_b32_e32 v11, s10
	s_xor_b64 exec, exec, s[6:7]
	s_cbranch_execz .LBB5_126
.LBB5_2176:
	v_mov_b32_e32 v11, 0
	v_cmp_ne_u16_sdwa s[8:9], v13, v11 src0_sel:BYTE_3 src1_sel:DWORD
	s_andn2_b64 s[4:5], s[4:5], exec
	s_and_b64 s[8:9], s[8:9], exec
	s_or_b64 s[4:5], s[4:5], s[8:9]
	s_or_b64 exec, exec, s[6:7]
	s_and_saveexec_b64 s[6:7], s[4:5]
	s_cbranch_execnz .LBB5_127
	s_branch .LBB5_128
.LBB5_2177:
	s_movk_i32 s4, 0x80
	v_cmp_eq_u16_sdwa s[12:13], v6, s4 src0_sel:BYTE_0 src1_sel:DWORD
	s_mov_b64 s[4:5], -1
                                        ; implicit-def: $sgpr10
	s_and_saveexec_b64 s[8:9], s[12:13]
; %bb.2178:
	s_mov_b32 s10, 0x7f800001
	s_xor_b64 s[4:5], exec, -1
; %bb.2179:
	s_or_b64 exec, exec, s[8:9]
	s_and_b64 s[4:5], s[4:5], exec
	s_or_saveexec_b64 s[6:7], s[6:7]
	v_mov_b32_e32 v10, s10
	s_xor_b64 exec, exec, s[6:7]
	s_cbranch_execz .LBB5_130
.LBB5_2180:
	v_mov_b32_e32 v10, 0
	v_cmp_ne_u16_sdwa s[8:9], v6, v10 src0_sel:BYTE_0 src1_sel:DWORD
	s_andn2_b64 s[4:5], s[4:5], exec
	s_and_b64 s[8:9], s[8:9], exec
	s_or_b64 s[4:5], s[4:5], s[8:9]
	s_or_b64 exec, exec, s[6:7]
	s_and_saveexec_b64 s[6:7], s[4:5]
	s_cbranch_execnz .LBB5_131
	s_branch .LBB5_132
.LBB5_2181:
	s_movk_i32 s4, 0x80
	v_cmp_eq_u16_sdwa s[12:13], v2, s4 src0_sel:BYTE_0 src1_sel:DWORD
	s_mov_b64 s[4:5], -1
                                        ; implicit-def: $sgpr10
	s_and_saveexec_b64 s[8:9], s[12:13]
; %bb.2182:
	s_mov_b32 s10, 0x7f800001
	s_xor_b64 s[4:5], exec, -1
; %bb.2183:
	s_or_b64 exec, exec, s[8:9]
	s_and_b64 s[4:5], s[4:5], exec
	s_or_saveexec_b64 s[6:7], s[6:7]
	v_mov_b32_e32 v11, s10
	s_xor_b64 exec, exec, s[6:7]
	s_cbranch_execz .LBB5_134
.LBB5_2184:
	v_mov_b32_e32 v11, 0
	v_cmp_ne_u16_sdwa s[8:9], v2, v11 src0_sel:BYTE_0 src1_sel:DWORD
	s_andn2_b64 s[4:5], s[4:5], exec
	s_and_b64 s[8:9], s[8:9], exec
	s_or_b64 s[4:5], s[4:5], s[8:9]
	s_or_b64 exec, exec, s[6:7]
	s_and_saveexec_b64 s[6:7], s[4:5]
	s_cbranch_execnz .LBB5_135
	s_branch .LBB5_136
.LBB5_2185:
	s_movk_i32 s4, 0x80
	v_cmp_eq_u16_sdwa s[12:13], v11, s4 src0_sel:BYTE_0 src1_sel:DWORD
	s_mov_b64 s[4:5], -1
                                        ; implicit-def: $sgpr10
	s_and_saveexec_b64 s[8:9], s[12:13]
; %bb.2186:
	s_mov_b32 s10, 0x7f800001
	s_xor_b64 s[4:5], exec, -1
; %bb.2187:
	s_or_b64 exec, exec, s[8:9]
	s_and_b64 s[4:5], s[4:5], exec
	s_or_saveexec_b64 s[6:7], s[6:7]
	v_mov_b32_e32 v10, s10
	s_xor_b64 exec, exec, s[6:7]
	s_cbranch_execz .LBB5_138
.LBB5_2188:
	v_mov_b32_e32 v10, 0
	v_cmp_ne_u16_sdwa s[8:9], v11, v10 src0_sel:BYTE_0 src1_sel:DWORD
	s_andn2_b64 s[4:5], s[4:5], exec
	s_and_b64 s[8:9], s[8:9], exec
	s_or_b64 s[4:5], s[4:5], s[8:9]
	s_or_b64 exec, exec, s[6:7]
	s_and_saveexec_b64 s[6:7], s[4:5]
	s_cbranch_execnz .LBB5_139
	s_branch .LBB5_140
.LBB5_2189:
	s_movk_i32 s4, 0x80
	v_cmp_eq_u16_sdwa s[12:13], v11, s4 src0_sel:BYTE_0 src1_sel:DWORD
	s_mov_b64 s[4:5], -1
                                        ; implicit-def: $sgpr10
	s_and_saveexec_b64 s[8:9], s[12:13]
; %bb.2190:
	s_mov_b32 s10, 0x7f800001
	s_xor_b64 s[4:5], exec, -1
; %bb.2191:
	s_or_b64 exec, exec, s[8:9]
	s_and_b64 s[4:5], s[4:5], exec
	s_or_saveexec_b64 s[6:7], s[6:7]
	v_mov_b32_e32 v12, s10
	s_xor_b64 exec, exec, s[6:7]
	s_cbranch_execz .LBB5_142
.LBB5_2192:
	v_mov_b32_e32 v12, 0
	v_cmp_ne_u16_sdwa s[8:9], v11, v12 src0_sel:BYTE_0 src1_sel:DWORD
	s_andn2_b64 s[4:5], s[4:5], exec
	s_and_b64 s[8:9], s[8:9], exec
	s_or_b64 s[4:5], s[4:5], s[8:9]
	s_or_b64 exec, exec, s[6:7]
	s_and_saveexec_b64 s[6:7], s[4:5]
	s_cbranch_execnz .LBB5_143
	s_branch .LBB5_144
.LBB5_2193:
	s_movk_i32 s4, 0x80
	v_cmp_eq_u16_e32 vcc, s4, v11
	s_mov_b64 s[4:5], -1
                                        ; implicit-def: $sgpr10
	s_and_saveexec_b64 s[8:9], vcc
; %bb.2194:
	s_mov_b32 s10, 0x7f800001
	s_xor_b64 s[4:5], exec, -1
; %bb.2195:
	s_or_b64 exec, exec, s[8:9]
	s_and_b64 s[4:5], s[4:5], exec
                                        ; implicit-def: $vgpr11
	s_or_saveexec_b64 s[6:7], s[6:7]
	v_mov_b32_e32 v10, s10
	s_xor_b64 exec, exec, s[6:7]
	s_cbranch_execz .LBB5_146
.LBB5_2196:
	v_cmp_ne_u16_e32 vcc, 0, v11
	s_andn2_b64 s[4:5], s[4:5], exec
	s_and_b64 s[8:9], vcc, exec
	v_mov_b32_e32 v10, 0
	s_or_b64 s[4:5], s[4:5], s[8:9]
	s_or_b64 exec, exec, s[6:7]
	s_and_saveexec_b64 s[6:7], s[4:5]
	s_cbranch_execnz .LBB5_147
	s_branch .LBB5_148
.LBB5_2197:
	s_movk_i32 s4, 0x80
	v_cmp_eq_u16_e32 vcc, s4, v11
	s_mov_b64 s[4:5], -1
                                        ; implicit-def: $sgpr10
	s_and_saveexec_b64 s[8:9], vcc
; %bb.2198:
	s_mov_b32 s10, 0x7f800001
	s_xor_b64 s[4:5], exec, -1
; %bb.2199:
	s_or_b64 exec, exec, s[8:9]
	s_and_b64 s[4:5], s[4:5], exec
                                        ; implicit-def: $vgpr11
	s_or_saveexec_b64 s[6:7], s[6:7]
	v_mov_b32_e32 v12, s10
	s_xor_b64 exec, exec, s[6:7]
	s_cbranch_execz .LBB5_150
.LBB5_2200:
	v_cmp_ne_u16_e32 vcc, 0, v11
	s_andn2_b64 s[4:5], s[4:5], exec
	s_and_b64 s[8:9], vcc, exec
	v_mov_b32_e32 v12, 0
	s_or_b64 s[4:5], s[4:5], s[8:9]
	s_or_b64 exec, exec, s[6:7]
	s_and_saveexec_b64 s[6:7], s[4:5]
	s_cbranch_execnz .LBB5_151
	s_branch .LBB5_152
.LBB5_2201:
	s_movk_i32 s4, 0x80
	v_cmp_eq_u16_sdwa s[12:13], v6, s4 src0_sel:BYTE_3 src1_sel:DWORD
	s_mov_b64 s[4:5], -1
                                        ; implicit-def: $sgpr10
	s_and_saveexec_b64 s[8:9], s[12:13]
; %bb.2202:
	s_mov_b32 s10, 0x7f800001
	s_xor_b64 s[4:5], exec, -1
; %bb.2203:
	s_or_b64 exec, exec, s[8:9]
	s_and_b64 s[4:5], s[4:5], exec
	s_or_saveexec_b64 s[6:7], s[6:7]
	v_mov_b32_e32 v10, s10
	s_xor_b64 exec, exec, s[6:7]
	s_cbranch_execz .LBB5_154
.LBB5_2204:
	v_mov_b32_e32 v10, 0
	v_cmp_ne_u16_sdwa s[8:9], v6, v10 src0_sel:BYTE_3 src1_sel:DWORD
	s_andn2_b64 s[4:5], s[4:5], exec
	s_and_b64 s[8:9], s[8:9], exec
	s_or_b64 s[4:5], s[4:5], s[8:9]
	s_or_b64 exec, exec, s[6:7]
	s_and_saveexec_b64 s[6:7], s[4:5]
	s_cbranch_execnz .LBB5_155
	s_branch .LBB5_156
.LBB5_2205:
	s_movk_i32 s4, 0x80
	v_cmp_eq_u16_sdwa s[12:13], v2, s4 src0_sel:BYTE_3 src1_sel:DWORD
	s_mov_b64 s[4:5], -1
                                        ; implicit-def: $sgpr10
	s_and_saveexec_b64 s[8:9], s[12:13]
; %bb.2206:
	s_mov_b32 s10, 0x7f800001
	s_xor_b64 s[4:5], exec, -1
; %bb.2207:
	s_or_b64 exec, exec, s[8:9]
	s_and_b64 s[4:5], s[4:5], exec
	s_or_saveexec_b64 s[6:7], s[6:7]
	v_mov_b32_e32 v6, s10
	s_xor_b64 exec, exec, s[6:7]
	s_cbranch_execz .LBB5_158
.LBB5_2208:
	v_mov_b32_e32 v6, 0
	v_cmp_ne_u16_sdwa s[8:9], v2, v6 src0_sel:BYTE_3 src1_sel:DWORD
	s_andn2_b64 s[4:5], s[4:5], exec
	s_and_b64 s[8:9], s[8:9], exec
	s_or_b64 s[4:5], s[4:5], s[8:9]
	s_or_b64 exec, exec, s[6:7]
	s_and_saveexec_b64 s[6:7], s[4:5]
	s_cbranch_execnz .LBB5_159
	s_branch .LBB5_160
.LBB5_2209:
	s_movk_i32 s4, 0x80
	v_cmp_eq_u16_sdwa s[12:13], v7, s4 src0_sel:BYTE_0 src1_sel:DWORD
	s_mov_b64 s[4:5], -1
                                        ; implicit-def: $sgpr10
	s_and_saveexec_b64 s[8:9], s[12:13]
; %bb.2210:
	s_mov_b32 s10, 0x7f800001
	s_xor_b64 s[4:5], exec, -1
; %bb.2211:
	s_or_b64 exec, exec, s[8:9]
	s_and_b64 s[4:5], s[4:5], exec
	s_or_saveexec_b64 s[6:7], s[6:7]
	v_mov_b32_e32 v2, s10
	s_xor_b64 exec, exec, s[6:7]
	s_cbranch_execz .LBB5_162
.LBB5_2212:
	v_mov_b32_e32 v2, 0
	v_cmp_ne_u16_sdwa s[8:9], v7, v2 src0_sel:BYTE_0 src1_sel:DWORD
	s_andn2_b64 s[4:5], s[4:5], exec
	s_and_b64 s[8:9], s[8:9], exec
	s_or_b64 s[4:5], s[4:5], s[8:9]
	s_or_b64 exec, exec, s[6:7]
	s_and_saveexec_b64 s[6:7], s[4:5]
	s_cbranch_execnz .LBB5_163
	s_branch .LBB5_164
.LBB5_2213:
	s_movk_i32 s4, 0x80
	v_cmp_eq_u16_sdwa s[12:13], v3, s4 src0_sel:BYTE_0 src1_sel:DWORD
	s_mov_b64 s[4:5], -1
                                        ; implicit-def: $sgpr10
	s_and_saveexec_b64 s[8:9], s[12:13]
; %bb.2214:
	s_mov_b32 s10, 0x7f800001
	s_xor_b64 s[4:5], exec, -1
; %bb.2215:
	s_or_b64 exec, exec, s[8:9]
	s_and_b64 s[4:5], s[4:5], exec
	s_or_saveexec_b64 s[6:7], s[6:7]
	v_mov_b32_e32 v6, s10
	s_xor_b64 exec, exec, s[6:7]
	s_cbranch_execz .LBB5_166
.LBB5_2216:
	v_mov_b32_e32 v6, 0
	v_cmp_ne_u16_sdwa s[8:9], v3, v6 src0_sel:BYTE_0 src1_sel:DWORD
	s_andn2_b64 s[4:5], s[4:5], exec
	s_and_b64 s[8:9], s[8:9], exec
	s_or_b64 s[4:5], s[4:5], s[8:9]
	s_or_b64 exec, exec, s[6:7]
	s_and_saveexec_b64 s[6:7], s[4:5]
	s_cbranch_execnz .LBB5_167
	s_branch .LBB5_168
.LBB5_2217:
	s_movk_i32 s4, 0x80
	v_cmp_eq_u16_sdwa s[12:13], v6, s4 src0_sel:BYTE_0 src1_sel:DWORD
	s_mov_b64 s[4:5], -1
                                        ; implicit-def: $sgpr10
	s_and_saveexec_b64 s[8:9], s[12:13]
; %bb.2218:
	s_mov_b32 s10, 0x7f800001
	s_xor_b64 s[4:5], exec, -1
; %bb.2219:
	s_or_b64 exec, exec, s[8:9]
	s_and_b64 s[4:5], s[4:5], exec
	s_or_saveexec_b64 s[6:7], s[6:7]
	v_mov_b32_e32 v2, s10
	s_xor_b64 exec, exec, s[6:7]
	s_cbranch_execz .LBB5_170
.LBB5_2220:
	v_mov_b32_e32 v2, 0
	v_cmp_ne_u16_sdwa s[8:9], v6, v2 src0_sel:BYTE_0 src1_sel:DWORD
	s_andn2_b64 s[4:5], s[4:5], exec
	s_and_b64 s[8:9], s[8:9], exec
	s_or_b64 s[4:5], s[4:5], s[8:9]
	s_or_b64 exec, exec, s[6:7]
	s_and_saveexec_b64 s[6:7], s[4:5]
	s_cbranch_execnz .LBB5_171
	s_branch .LBB5_172
.LBB5_2221:
	s_movk_i32 s4, 0x80
	v_cmp_eq_u16_sdwa s[12:13], v6, s4 src0_sel:BYTE_0 src1_sel:DWORD
	s_mov_b64 s[4:5], -1
                                        ; implicit-def: $sgpr10
	s_and_saveexec_b64 s[8:9], s[12:13]
; %bb.2222:
	s_mov_b32 s10, 0x7f800001
	s_xor_b64 s[4:5], exec, -1
; %bb.2223:
	s_or_b64 exec, exec, s[8:9]
	s_and_b64 s[4:5], s[4:5], exec
	s_or_saveexec_b64 s[6:7], s[6:7]
	v_mov_b32_e32 v10, s10
	s_xor_b64 exec, exec, s[6:7]
	s_cbranch_execz .LBB5_174
.LBB5_2224:
	v_mov_b32_e32 v10, 0
	v_cmp_ne_u16_sdwa s[8:9], v6, v10 src0_sel:BYTE_0 src1_sel:DWORD
	s_andn2_b64 s[4:5], s[4:5], exec
	s_and_b64 s[8:9], s[8:9], exec
	s_or_b64 s[4:5], s[4:5], s[8:9]
	s_or_b64 exec, exec, s[6:7]
	s_and_saveexec_b64 s[6:7], s[4:5]
	s_cbranch_execnz .LBB5_175
	s_branch .LBB5_176
.LBB5_2225:
	s_movk_i32 s4, 0x80
	v_cmp_eq_u16_e32 vcc, s4, v6
	s_mov_b64 s[4:5], -1
                                        ; implicit-def: $sgpr10
	s_and_saveexec_b64 s[8:9], vcc
; %bb.2226:
	s_mov_b32 s10, 0x7f800001
	s_xor_b64 s[4:5], exec, -1
; %bb.2227:
	s_or_b64 exec, exec, s[8:9]
	s_and_b64 s[4:5], s[4:5], exec
                                        ; implicit-def: $vgpr6
	s_or_saveexec_b64 s[6:7], s[6:7]
	v_mov_b32_e32 v2, s10
	s_xor_b64 exec, exec, s[6:7]
	s_cbranch_execz .LBB5_178
.LBB5_2228:
	v_cmp_ne_u16_e32 vcc, 0, v6
	s_andn2_b64 s[4:5], s[4:5], exec
	s_and_b64 s[8:9], vcc, exec
	v_mov_b32_e32 v2, 0
	s_or_b64 s[4:5], s[4:5], s[8:9]
	s_or_b64 exec, exec, s[6:7]
	s_and_saveexec_b64 s[6:7], s[4:5]
	s_cbranch_execnz .LBB5_179
	s_branch .LBB5_180
.LBB5_2229:
	s_movk_i32 s4, 0x80
	v_cmp_eq_u16_e32 vcc, s4, v6
	s_mov_b64 s[4:5], -1
                                        ; implicit-def: $sgpr10
	s_and_saveexec_b64 s[8:9], vcc
; %bb.2230:
	s_mov_b32 s10, 0x7f800001
	s_xor_b64 s[4:5], exec, -1
; %bb.2231:
	s_or_b64 exec, exec, s[8:9]
	s_and_b64 s[4:5], s[4:5], exec
                                        ; implicit-def: $vgpr6
	s_or_saveexec_b64 s[6:7], s[6:7]
	v_mov_b32_e32 v10, s10
	s_xor_b64 exec, exec, s[6:7]
	s_cbranch_execz .LBB5_182
.LBB5_2232:
	v_cmp_ne_u16_e32 vcc, 0, v6
	s_andn2_b64 s[4:5], s[4:5], exec
	s_and_b64 s[8:9], vcc, exec
	v_mov_b32_e32 v10, 0
	s_or_b64 s[4:5], s[4:5], s[8:9]
	s_or_b64 exec, exec, s[6:7]
	s_and_saveexec_b64 s[6:7], s[4:5]
	s_cbranch_execnz .LBB5_183
	s_branch .LBB5_184
.LBB5_2233:
	s_movk_i32 s4, 0x80
	v_cmp_eq_u16_sdwa s[12:13], v7, s4 src0_sel:BYTE_3 src1_sel:DWORD
	s_mov_b64 s[4:5], -1
                                        ; implicit-def: $sgpr10
	s_and_saveexec_b64 s[8:9], s[12:13]
; %bb.2234:
	s_mov_b32 s10, 0x7f800001
	s_xor_b64 s[4:5], exec, -1
; %bb.2235:
	s_or_b64 exec, exec, s[8:9]
	s_and_b64 s[4:5], s[4:5], exec
	s_or_saveexec_b64 s[6:7], s[6:7]
	v_mov_b32_e32 v2, s10
	s_xor_b64 exec, exec, s[6:7]
	s_cbranch_execz .LBB5_186
.LBB5_2236:
	v_mov_b32_e32 v2, 0
	v_cmp_ne_u16_sdwa s[8:9], v7, v2 src0_sel:BYTE_3 src1_sel:DWORD
	s_andn2_b64 s[4:5], s[4:5], exec
	s_and_b64 s[8:9], s[8:9], exec
	s_or_b64 s[4:5], s[4:5], s[8:9]
	s_or_b64 exec, exec, s[6:7]
	s_and_saveexec_b64 s[6:7], s[4:5]
	s_cbranch_execnz .LBB5_187
	s_branch .LBB5_188
.LBB5_2237:
	s_movk_i32 s4, 0x80
	v_cmp_eq_u16_sdwa s[12:13], v3, s4 src0_sel:BYTE_3 src1_sel:DWORD
	s_mov_b64 s[4:5], -1
                                        ; implicit-def: $sgpr10
	s_and_saveexec_b64 s[8:9], s[12:13]
; %bb.2238:
	s_mov_b32 s10, 0x7f800001
	s_xor_b64 s[4:5], exec, -1
; %bb.2239:
	s_or_b64 exec, exec, s[8:9]
	s_and_b64 s[4:5], s[4:5], exec
	s_or_saveexec_b64 s[6:7], s[6:7]
	v_mov_b32_e32 v6, s10
	s_xor_b64 exec, exec, s[6:7]
	s_cbranch_execz .LBB5_190
.LBB5_2240:
	v_mov_b32_e32 v6, 0
	v_cmp_ne_u16_sdwa s[8:9], v3, v6 src0_sel:BYTE_3 src1_sel:DWORD
	s_andn2_b64 s[4:5], s[4:5], exec
	s_and_b64 s[8:9], s[8:9], exec
	s_or_b64 s[4:5], s[4:5], s[8:9]
	s_or_b64 exec, exec, s[6:7]
	s_and_saveexec_b64 s[6:7], s[4:5]
	s_cbranch_execnz .LBB5_191
	s_branch .LBB5_192
.LBB5_2241:
	s_movk_i32 s4, 0x80
	v_cmp_eq_u16_sdwa s[12:13], v8, s4 src0_sel:BYTE_0 src1_sel:DWORD
	s_mov_b64 s[4:5], -1
                                        ; implicit-def: $sgpr10
	s_and_saveexec_b64 s[8:9], s[12:13]
; %bb.2242:
	s_mov_b32 s10, 0x7f800001
	s_xor_b64 s[4:5], exec, -1
; %bb.2243:
	s_or_b64 exec, exec, s[8:9]
	s_and_b64 s[4:5], s[4:5], exec
	s_or_saveexec_b64 s[6:7], s[6:7]
	v_mov_b32_e32 v2, s10
	s_xor_b64 exec, exec, s[6:7]
	s_cbranch_execz .LBB5_194
.LBB5_2244:
	v_mov_b32_e32 v2, 0
	v_cmp_ne_u16_sdwa s[8:9], v8, v2 src0_sel:BYTE_0 src1_sel:DWORD
	s_andn2_b64 s[4:5], s[4:5], exec
	s_and_b64 s[8:9], s[8:9], exec
	s_or_b64 s[4:5], s[4:5], s[8:9]
	s_or_b64 exec, exec, s[6:7]
	s_and_saveexec_b64 s[6:7], s[4:5]
	s_cbranch_execnz .LBB5_195
	s_branch .LBB5_196
.LBB5_2245:
	s_movk_i32 s4, 0x80
	v_cmp_eq_u16_sdwa s[12:13], v4, s4 src0_sel:BYTE_0 src1_sel:DWORD
	s_mov_b64 s[4:5], -1
                                        ; implicit-def: $sgpr10
	s_and_saveexec_b64 s[8:9], s[12:13]
; %bb.2246:
	s_mov_b32 s10, 0x7f800001
	s_xor_b64 s[4:5], exec, -1
; %bb.2247:
	s_or_b64 exec, exec, s[8:9]
	s_and_b64 s[4:5], s[4:5], exec
	s_or_saveexec_b64 s[6:7], s[6:7]
	v_mov_b32_e32 v3, s10
	s_xor_b64 exec, exec, s[6:7]
	s_cbranch_execz .LBB5_198
.LBB5_2248:
	v_mov_b32_e32 v3, 0
	v_cmp_ne_u16_sdwa s[8:9], v4, v3 src0_sel:BYTE_0 src1_sel:DWORD
	s_andn2_b64 s[4:5], s[4:5], exec
	s_and_b64 s[8:9], s[8:9], exec
	s_or_b64 s[4:5], s[4:5], s[8:9]
	s_or_b64 exec, exec, s[6:7]
	s_and_saveexec_b64 s[6:7], s[4:5]
	s_cbranch_execnz .LBB5_199
	s_branch .LBB5_200
.LBB5_2249:
	s_movk_i32 s4, 0x80
	v_cmp_eq_u16_sdwa s[12:13], v3, s4 src0_sel:BYTE_0 src1_sel:DWORD
	s_mov_b64 s[4:5], -1
                                        ; implicit-def: $sgpr10
	s_and_saveexec_b64 s[8:9], s[12:13]
; %bb.2250:
	s_mov_b32 s10, 0x7f800001
	s_xor_b64 s[4:5], exec, -1
; %bb.2251:
	s_or_b64 exec, exec, s[8:9]
	s_and_b64 s[4:5], s[4:5], exec
	s_or_saveexec_b64 s[6:7], s[6:7]
	v_mov_b32_e32 v2, s10
	s_xor_b64 exec, exec, s[6:7]
	s_cbranch_execz .LBB5_202
.LBB5_2252:
	v_mov_b32_e32 v2, 0
	v_cmp_ne_u16_sdwa s[8:9], v3, v2 src0_sel:BYTE_0 src1_sel:DWORD
	s_andn2_b64 s[4:5], s[4:5], exec
	s_and_b64 s[8:9], s[8:9], exec
	s_or_b64 s[4:5], s[4:5], s[8:9]
	s_or_b64 exec, exec, s[6:7]
	s_and_saveexec_b64 s[6:7], s[4:5]
	s_cbranch_execnz .LBB5_203
	s_branch .LBB5_204
.LBB5_2253:
	s_movk_i32 s4, 0x80
	v_cmp_eq_u16_sdwa s[12:13], v3, s4 src0_sel:BYTE_0 src1_sel:DWORD
	s_mov_b64 s[4:5], -1
                                        ; implicit-def: $sgpr10
	s_and_saveexec_b64 s[8:9], s[12:13]
; %bb.2254:
	s_mov_b32 s10, 0x7f800001
	s_xor_b64 s[4:5], exec, -1
; %bb.2255:
	s_or_b64 exec, exec, s[8:9]
	s_and_b64 s[4:5], s[4:5], exec
	s_or_saveexec_b64 s[6:7], s[6:7]
	v_mov_b32_e32 v6, s10
	s_xor_b64 exec, exec, s[6:7]
	s_cbranch_execz .LBB5_206
.LBB5_2256:
	v_mov_b32_e32 v6, 0
	v_cmp_ne_u16_sdwa s[8:9], v3, v6 src0_sel:BYTE_0 src1_sel:DWORD
	s_andn2_b64 s[4:5], s[4:5], exec
	s_and_b64 s[8:9], s[8:9], exec
	s_or_b64 s[4:5], s[4:5], s[8:9]
	s_or_b64 exec, exec, s[6:7]
	s_and_saveexec_b64 s[6:7], s[4:5]
	s_cbranch_execnz .LBB5_207
	s_branch .LBB5_208
.LBB5_2257:
	s_movk_i32 s4, 0x80
	v_cmp_eq_u16_e32 vcc, s4, v3
	s_mov_b64 s[4:5], -1
                                        ; implicit-def: $sgpr10
	s_and_saveexec_b64 s[8:9], vcc
; %bb.2258:
	s_mov_b32 s10, 0x7f800001
	s_xor_b64 s[4:5], exec, -1
; %bb.2259:
	s_or_b64 exec, exec, s[8:9]
	s_and_b64 s[4:5], s[4:5], exec
                                        ; implicit-def: $vgpr3
	s_or_saveexec_b64 s[6:7], s[6:7]
	v_mov_b32_e32 v2, s10
	s_xor_b64 exec, exec, s[6:7]
	s_cbranch_execz .LBB5_210
.LBB5_2260:
	v_cmp_ne_u16_e32 vcc, 0, v3
	s_andn2_b64 s[4:5], s[4:5], exec
	s_and_b64 s[8:9], vcc, exec
	v_mov_b32_e32 v2, 0
	s_or_b64 s[4:5], s[4:5], s[8:9]
	s_or_b64 exec, exec, s[6:7]
	s_and_saveexec_b64 s[6:7], s[4:5]
	s_cbranch_execnz .LBB5_211
	s_branch .LBB5_212
.LBB5_2261:
	s_movk_i32 s4, 0x80
	v_cmp_eq_u16_e32 vcc, s4, v3
	s_mov_b64 s[4:5], -1
                                        ; implicit-def: $sgpr10
	s_and_saveexec_b64 s[8:9], vcc
; %bb.2262:
	s_mov_b32 s10, 0x7f800001
	s_xor_b64 s[4:5], exec, -1
; %bb.2263:
	s_or_b64 exec, exec, s[8:9]
	s_and_b64 s[4:5], s[4:5], exec
                                        ; implicit-def: $vgpr3
	s_or_saveexec_b64 s[6:7], s[6:7]
	v_mov_b32_e32 v6, s10
	s_xor_b64 exec, exec, s[6:7]
	s_cbranch_execz .LBB5_214
.LBB5_2264:
	v_cmp_ne_u16_e32 vcc, 0, v3
	s_andn2_b64 s[4:5], s[4:5], exec
	s_and_b64 s[8:9], vcc, exec
	v_mov_b32_e32 v6, 0
	s_or_b64 s[4:5], s[4:5], s[8:9]
	s_or_b64 exec, exec, s[6:7]
	s_and_saveexec_b64 s[6:7], s[4:5]
	s_cbranch_execnz .LBB5_215
	s_branch .LBB5_216
.LBB5_2265:
	s_movk_i32 s4, 0x80
	v_cmp_eq_u16_sdwa s[12:13], v8, s4 src0_sel:BYTE_3 src1_sel:DWORD
	s_mov_b64 s[4:5], -1
                                        ; implicit-def: $sgpr10
	s_and_saveexec_b64 s[8:9], s[12:13]
; %bb.2266:
	s_mov_b32 s10, 0x7f800001
	s_xor_b64 s[4:5], exec, -1
; %bb.2267:
	s_or_b64 exec, exec, s[8:9]
	s_and_b64 s[4:5], s[4:5], exec
	s_or_saveexec_b64 s[6:7], s[6:7]
	v_mov_b32_e32 v2, s10
	s_xor_b64 exec, exec, s[6:7]
	s_cbranch_execz .LBB5_218
.LBB5_2268:
	v_mov_b32_e32 v2, 0
	v_cmp_ne_u16_sdwa s[8:9], v8, v2 src0_sel:BYTE_3 src1_sel:DWORD
	s_andn2_b64 s[4:5], s[4:5], exec
	s_and_b64 s[8:9], s[8:9], exec
	s_or_b64 s[4:5], s[4:5], s[8:9]
	s_or_b64 exec, exec, s[6:7]
	s_and_saveexec_b64 s[6:7], s[4:5]
	s_cbranch_execnz .LBB5_219
	s_branch .LBB5_220
.LBB5_2269:
	s_movk_i32 s4, 0x80
	v_cmp_eq_u16_sdwa s[12:13], v4, s4 src0_sel:BYTE_3 src1_sel:DWORD
	s_mov_b64 s[4:5], -1
                                        ; implicit-def: $sgpr10
	s_and_saveexec_b64 s[8:9], s[12:13]
; %bb.2270:
	s_mov_b32 s10, 0x7f800001
	s_xor_b64 s[4:5], exec, -1
; %bb.2271:
	s_or_b64 exec, exec, s[8:9]
	s_and_b64 s[4:5], s[4:5], exec
	s_or_saveexec_b64 s[6:7], s[6:7]
	v_mov_b32_e32 v3, s10
	s_xor_b64 exec, exec, s[6:7]
	s_cbranch_execz .LBB5_222
.LBB5_2272:
	v_mov_b32_e32 v3, 0
	v_cmp_ne_u16_sdwa s[8:9], v4, v3 src0_sel:BYTE_3 src1_sel:DWORD
	s_andn2_b64 s[4:5], s[4:5], exec
	s_and_b64 s[8:9], s[8:9], exec
	s_or_b64 s[4:5], s[4:5], s[8:9]
	s_or_b64 exec, exec, s[6:7]
	s_and_saveexec_b64 s[6:7], s[4:5]
	s_cbranch_execnz .LBB5_223
	s_branch .LBB5_224
.LBB5_2273:
	s_movk_i32 s4, 0x80
	v_cmp_eq_u16_sdwa s[12:13], v9, s4 src0_sel:BYTE_0 src1_sel:DWORD
	s_mov_b64 s[4:5], -1
                                        ; implicit-def: $sgpr10
	s_and_saveexec_b64 s[8:9], s[12:13]
; %bb.2274:
	s_mov_b32 s10, 0x7f800001
	s_xor_b64 s[4:5], exec, -1
; %bb.2275:
	s_or_b64 exec, exec, s[8:9]
	s_and_b64 s[4:5], s[4:5], exec
	s_or_saveexec_b64 s[6:7], s[6:7]
	v_mov_b32_e32 v2, s10
	s_xor_b64 exec, exec, s[6:7]
	s_cbranch_execz .LBB5_226
.LBB5_2276:
	v_mov_b32_e32 v2, 0
	v_cmp_ne_u16_sdwa s[8:9], v9, v2 src0_sel:BYTE_0 src1_sel:DWORD
	s_andn2_b64 s[4:5], s[4:5], exec
	s_and_b64 s[8:9], s[8:9], exec
	s_or_b64 s[4:5], s[4:5], s[8:9]
	s_or_b64 exec, exec, s[6:7]
	s_and_saveexec_b64 s[6:7], s[4:5]
	s_cbranch_execnz .LBB5_227
	s_branch .LBB5_228
.LBB5_2277:
	s_movk_i32 s4, 0x80
	v_cmp_eq_u16_sdwa s[12:13], v5, s4 src0_sel:BYTE_0 src1_sel:DWORD
	s_mov_b64 s[4:5], -1
                                        ; implicit-def: $sgpr10
	s_and_saveexec_b64 s[8:9], s[12:13]
; %bb.2278:
	s_mov_b32 s10, 0x7f800001
	s_xor_b64 s[4:5], exec, -1
; %bb.2279:
	s_or_b64 exec, exec, s[8:9]
	s_and_b64 s[4:5], s[4:5], exec
	s_or_saveexec_b64 s[6:7], s[6:7]
	v_mov_b32_e32 v3, s10
	s_xor_b64 exec, exec, s[6:7]
	s_cbranch_execz .LBB5_230
.LBB5_2280:
	v_mov_b32_e32 v3, 0
	v_cmp_ne_u16_sdwa s[8:9], v5, v3 src0_sel:BYTE_0 src1_sel:DWORD
	s_andn2_b64 s[4:5], s[4:5], exec
	s_and_b64 s[8:9], s[8:9], exec
	s_or_b64 s[4:5], s[4:5], s[8:9]
	s_or_b64 exec, exec, s[6:7]
	s_and_saveexec_b64 s[6:7], s[4:5]
	s_cbranch_execnz .LBB5_231
	s_branch .LBB5_232
.LBB5_2281:
	s_movk_i32 s4, 0x80
	v_cmp_eq_u16_sdwa s[12:13], v3, s4 src0_sel:BYTE_0 src1_sel:DWORD
	s_mov_b64 s[4:5], -1
                                        ; implicit-def: $sgpr10
	s_and_saveexec_b64 s[8:9], s[12:13]
; %bb.2282:
	s_mov_b32 s10, 0x7f800001
	s_xor_b64 s[4:5], exec, -1
; %bb.2283:
	s_or_b64 exec, exec, s[8:9]
	s_and_b64 s[4:5], s[4:5], exec
	s_or_saveexec_b64 s[6:7], s[6:7]
	v_mov_b32_e32 v2, s10
	s_xor_b64 exec, exec, s[6:7]
	s_cbranch_execz .LBB5_234
.LBB5_2284:
	v_mov_b32_e32 v2, 0
	v_cmp_ne_u16_sdwa s[8:9], v3, v2 src0_sel:BYTE_0 src1_sel:DWORD
	s_andn2_b64 s[4:5], s[4:5], exec
	s_and_b64 s[8:9], s[8:9], exec
	s_or_b64 s[4:5], s[4:5], s[8:9]
	s_or_b64 exec, exec, s[6:7]
	s_and_saveexec_b64 s[6:7], s[4:5]
	s_cbranch_execnz .LBB5_235
	s_branch .LBB5_236
.LBB5_2285:
	s_movk_i32 s4, 0x80
	v_cmp_eq_u16_sdwa s[12:13], v3, s4 src0_sel:BYTE_0 src1_sel:DWORD
	s_mov_b64 s[4:5], -1
                                        ; implicit-def: $sgpr10
	s_and_saveexec_b64 s[8:9], s[12:13]
; %bb.2286:
	s_mov_b32 s10, 0x7f800001
	s_xor_b64 s[4:5], exec, -1
; %bb.2287:
	s_or_b64 exec, exec, s[8:9]
	s_and_b64 s[4:5], s[4:5], exec
	s_or_saveexec_b64 s[6:7], s[6:7]
	v_mov_b32_e32 v4, s10
	s_xor_b64 exec, exec, s[6:7]
	s_cbranch_execz .LBB5_238
.LBB5_2288:
	v_mov_b32_e32 v4, 0
	v_cmp_ne_u16_sdwa s[8:9], v3, v4 src0_sel:BYTE_0 src1_sel:DWORD
	s_andn2_b64 s[4:5], s[4:5], exec
	s_and_b64 s[8:9], s[8:9], exec
	s_or_b64 s[4:5], s[4:5], s[8:9]
	s_or_b64 exec, exec, s[6:7]
	s_and_saveexec_b64 s[6:7], s[4:5]
	s_cbranch_execnz .LBB5_239
	s_branch .LBB5_240
.LBB5_2289:
	s_movk_i32 s4, 0x80
	v_cmp_eq_u16_e32 vcc, s4, v3
	s_mov_b64 s[4:5], -1
                                        ; implicit-def: $sgpr10
	s_and_saveexec_b64 s[8:9], vcc
; %bb.2290:
	s_mov_b32 s10, 0x7f800001
	s_xor_b64 s[4:5], exec, -1
; %bb.2291:
	s_or_b64 exec, exec, s[8:9]
	s_and_b64 s[4:5], s[4:5], exec
                                        ; implicit-def: $vgpr3
	s_or_saveexec_b64 s[6:7], s[6:7]
	v_mov_b32_e32 v2, s10
	s_xor_b64 exec, exec, s[6:7]
	s_cbranch_execz .LBB5_242
.LBB5_2292:
	v_cmp_ne_u16_e32 vcc, 0, v3
	s_andn2_b64 s[4:5], s[4:5], exec
	s_and_b64 s[8:9], vcc, exec
	v_mov_b32_e32 v2, 0
	s_or_b64 s[4:5], s[4:5], s[8:9]
	s_or_b64 exec, exec, s[6:7]
	s_and_saveexec_b64 s[6:7], s[4:5]
	s_cbranch_execnz .LBB5_243
	s_branch .LBB5_244
.LBB5_2293:
	s_movk_i32 s4, 0x80
	v_cmp_eq_u16_e32 vcc, s4, v3
	s_mov_b64 s[4:5], -1
                                        ; implicit-def: $sgpr10
	s_and_saveexec_b64 s[8:9], vcc
; %bb.2294:
	s_mov_b32 s10, 0x7f800001
	s_xor_b64 s[4:5], exec, -1
; %bb.2295:
	s_or_b64 exec, exec, s[8:9]
	s_and_b64 s[4:5], s[4:5], exec
                                        ; implicit-def: $vgpr3
	s_or_saveexec_b64 s[6:7], s[6:7]
	v_mov_b32_e32 v4, s10
	s_xor_b64 exec, exec, s[6:7]
	s_cbranch_execz .LBB5_246
.LBB5_2296:
	v_cmp_ne_u16_e32 vcc, 0, v3
	s_andn2_b64 s[4:5], s[4:5], exec
	s_and_b64 s[8:9], vcc, exec
	v_mov_b32_e32 v4, 0
	s_or_b64 s[4:5], s[4:5], s[8:9]
	s_or_b64 exec, exec, s[6:7]
	s_and_saveexec_b64 s[6:7], s[4:5]
	s_cbranch_execnz .LBB5_247
	s_branch .LBB5_248
.LBB5_2297:
	s_movk_i32 s4, 0x80
	v_cmp_eq_u16_sdwa s[12:13], v9, s4 src0_sel:BYTE_3 src1_sel:DWORD
	s_mov_b64 s[4:5], -1
                                        ; implicit-def: $sgpr10
	s_and_saveexec_b64 s[8:9], s[12:13]
; %bb.2298:
	s_mov_b32 s10, 0x7f800001
	s_xor_b64 s[4:5], exec, -1
; %bb.2299:
	s_or_b64 exec, exec, s[8:9]
	s_and_b64 s[4:5], s[4:5], exec
	s_or_saveexec_b64 s[6:7], s[6:7]
	v_mov_b32_e32 v2, s10
	s_xor_b64 exec, exec, s[6:7]
	s_cbranch_execz .LBB5_250
.LBB5_2300:
	v_mov_b32_e32 v2, 0
	v_cmp_ne_u16_sdwa s[8:9], v9, v2 src0_sel:BYTE_3 src1_sel:DWORD
	s_andn2_b64 s[4:5], s[4:5], exec
	s_and_b64 s[8:9], s[8:9], exec
	s_or_b64 s[4:5], s[4:5], s[8:9]
	s_or_b64 exec, exec, s[6:7]
	s_and_saveexec_b64 s[6:7], s[4:5]
	s_cbranch_execnz .LBB5_251
	s_branch .LBB5_252
.LBB5_2301:
	s_movk_i32 s4, 0x80
	v_cmp_eq_u16_sdwa s[12:13], v5, s4 src0_sel:BYTE_3 src1_sel:DWORD
	s_mov_b64 s[4:5], -1
                                        ; implicit-def: $sgpr10
	s_and_saveexec_b64 s[8:9], s[12:13]
; %bb.2302:
	s_mov_b32 s10, 0x7f800001
	s_xor_b64 s[4:5], exec, -1
; %bb.2303:
	s_or_b64 exec, exec, s[8:9]
	s_and_b64 s[4:5], s[4:5], exec
	s_or_saveexec_b64 s[6:7], s[6:7]
	v_mov_b32_e32 v3, s10
	s_xor_b64 exec, exec, s[6:7]
	s_cbranch_execz .LBB5_254
.LBB5_2304:
	v_mov_b32_e32 v3, 0
	v_cmp_ne_u16_sdwa s[8:9], v5, v3 src0_sel:BYTE_3 src1_sel:DWORD
	s_andn2_b64 s[4:5], s[4:5], exec
	s_and_b64 s[8:9], s[8:9], exec
	s_or_b64 s[4:5], s[4:5], s[8:9]
	s_or_b64 exec, exec, s[6:7]
	s_and_saveexec_b64 s[6:7], s[4:5]
	s_cbranch_execnz .LBB5_255
	s_branch .LBB5_256
.LBB5_2305:
	s_movk_i32 s4, 0x80
	v_cmp_eq_u16_sdwa s[12:13], v14, s4 src0_sel:BYTE_0 src1_sel:DWORD
	s_mov_b64 s[4:5], -1
                                        ; implicit-def: $sgpr10
	s_and_saveexec_b64 s[8:9], s[12:13]
; %bb.2306:
	s_mov_b32 s10, 0x7f800001
	s_xor_b64 s[4:5], exec, -1
; %bb.2307:
	s_or_b64 exec, exec, s[8:9]
	s_and_b64 s[4:5], s[4:5], exec
	s_or_saveexec_b64 s[6:7], s[6:7]
	v_mov_b32_e32 v20, s10
	s_xor_b64 exec, exec, s[6:7]
	s_cbranch_execz .LBB5_258
.LBB5_2308:
	v_mov_b32_e32 v20, 0
	v_cmp_ne_u16_sdwa s[8:9], v14, v20 src0_sel:BYTE_0 src1_sel:DWORD
	s_andn2_b64 s[4:5], s[4:5], exec
	s_and_b64 s[8:9], s[8:9], exec
	s_or_b64 s[4:5], s[4:5], s[8:9]
	s_or_b64 exec, exec, s[6:7]
	s_and_saveexec_b64 s[6:7], s[4:5]
	s_cbranch_execnz .LBB5_259
	s_branch .LBB5_260
.LBB5_2309:
	s_movk_i32 s4, 0x80
	v_cmp_eq_u16_sdwa s[12:13], v10, s4 src0_sel:BYTE_0 src1_sel:DWORD
	s_mov_b64 s[4:5], -1
                                        ; implicit-def: $sgpr10
	s_and_saveexec_b64 s[8:9], s[12:13]
; %bb.2310:
	s_mov_b32 s10, 0x7f800001
	s_xor_b64 s[4:5], exec, -1
; %bb.2311:
	s_or_b64 exec, exec, s[8:9]
	s_and_b64 s[4:5], s[4:5], exec
	s_or_saveexec_b64 s[6:7], s[6:7]
	v_mov_b32_e32 v21, s10
	s_xor_b64 exec, exec, s[6:7]
	s_cbranch_execz .LBB5_262
.LBB5_2312:
	v_mov_b32_e32 v21, 0
	v_cmp_ne_u16_sdwa s[8:9], v10, v21 src0_sel:BYTE_0 src1_sel:DWORD
	s_andn2_b64 s[4:5], s[4:5], exec
	s_and_b64 s[8:9], s[8:9], exec
	s_or_b64 s[4:5], s[4:5], s[8:9]
	s_or_b64 exec, exec, s[6:7]
	s_and_saveexec_b64 s[6:7], s[4:5]
	s_cbranch_execnz .LBB5_263
	s_branch .LBB5_264
.LBB5_2313:
	s_movk_i32 s4, 0x80
	v_cmp_eq_u16_sdwa s[12:13], v21, s4 src0_sel:BYTE_0 src1_sel:DWORD
	s_mov_b64 s[4:5], -1
                                        ; implicit-def: $sgpr10
	s_and_saveexec_b64 s[8:9], s[12:13]
; %bb.2314:
	s_mov_b32 s10, 0x7f800001
	s_xor_b64 s[4:5], exec, -1
; %bb.2315:
	s_or_b64 exec, exec, s[8:9]
	s_and_b64 s[4:5], s[4:5], exec
	s_or_saveexec_b64 s[6:7], s[6:7]
	v_mov_b32_e32 v20, s10
	s_xor_b64 exec, exec, s[6:7]
	s_cbranch_execz .LBB5_266
.LBB5_2316:
	v_mov_b32_e32 v20, 0
	v_cmp_ne_u16_sdwa s[8:9], v21, v20 src0_sel:BYTE_0 src1_sel:DWORD
	s_andn2_b64 s[4:5], s[4:5], exec
	s_and_b64 s[8:9], s[8:9], exec
	s_or_b64 s[4:5], s[4:5], s[8:9]
	s_or_b64 exec, exec, s[6:7]
	s_and_saveexec_b64 s[6:7], s[4:5]
	s_cbranch_execnz .LBB5_267
	s_branch .LBB5_268
.LBB5_2317:
	s_movk_i32 s4, 0x80
	v_cmp_eq_u16_sdwa s[12:13], v21, s4 src0_sel:BYTE_0 src1_sel:DWORD
	s_mov_b64 s[4:5], -1
                                        ; implicit-def: $sgpr10
	s_and_saveexec_b64 s[8:9], s[12:13]
; %bb.2318:
	s_mov_b32 s10, 0x7f800001
	s_xor_b64 s[4:5], exec, -1
; %bb.2319:
	s_or_b64 exec, exec, s[8:9]
	s_and_b64 s[4:5], s[4:5], exec
	s_or_saveexec_b64 s[6:7], s[6:7]
	v_mov_b32_e32 v22, s10
	s_xor_b64 exec, exec, s[6:7]
	s_cbranch_execz .LBB5_270
.LBB5_2320:
	v_mov_b32_e32 v22, 0
	v_cmp_ne_u16_sdwa s[8:9], v21, v22 src0_sel:BYTE_0 src1_sel:DWORD
	s_andn2_b64 s[4:5], s[4:5], exec
	s_and_b64 s[8:9], s[8:9], exec
	s_or_b64 s[4:5], s[4:5], s[8:9]
	s_or_b64 exec, exec, s[6:7]
	s_and_saveexec_b64 s[6:7], s[4:5]
	s_cbranch_execnz .LBB5_271
	s_branch .LBB5_272
.LBB5_2321:
	s_movk_i32 s4, 0x80
	v_cmp_eq_u16_e32 vcc, s4, v21
	s_mov_b64 s[4:5], -1
                                        ; implicit-def: $sgpr10
	s_and_saveexec_b64 s[8:9], vcc
; %bb.2322:
	s_mov_b32 s10, 0x7f800001
	s_xor_b64 s[4:5], exec, -1
; %bb.2323:
	s_or_b64 exec, exec, s[8:9]
	s_and_b64 s[4:5], s[4:5], exec
                                        ; implicit-def: $vgpr21
	s_or_saveexec_b64 s[6:7], s[6:7]
	v_mov_b32_e32 v20, s10
	s_xor_b64 exec, exec, s[6:7]
	s_cbranch_execz .LBB5_274
.LBB5_2324:
	v_cmp_ne_u16_e32 vcc, 0, v21
	s_andn2_b64 s[4:5], s[4:5], exec
	s_and_b64 s[8:9], vcc, exec
	v_mov_b32_e32 v20, 0
	s_or_b64 s[4:5], s[4:5], s[8:9]
	s_or_b64 exec, exec, s[6:7]
	s_and_saveexec_b64 s[6:7], s[4:5]
	s_cbranch_execnz .LBB5_275
	s_branch .LBB5_276
.LBB5_2325:
	s_movk_i32 s4, 0x80
	v_cmp_eq_u16_e32 vcc, s4, v21
	s_mov_b64 s[4:5], -1
                                        ; implicit-def: $sgpr10
	s_and_saveexec_b64 s[8:9], vcc
; %bb.2326:
	s_mov_b32 s10, 0x7f800001
	s_xor_b64 s[4:5], exec, -1
; %bb.2327:
	s_or_b64 exec, exec, s[8:9]
	s_and_b64 s[4:5], s[4:5], exec
                                        ; implicit-def: $vgpr21
	s_or_saveexec_b64 s[6:7], s[6:7]
	v_mov_b32_e32 v22, s10
	s_xor_b64 exec, exec, s[6:7]
	s_cbranch_execz .LBB5_278
.LBB5_2328:
	v_cmp_ne_u16_e32 vcc, 0, v21
	s_andn2_b64 s[4:5], s[4:5], exec
	s_and_b64 s[8:9], vcc, exec
	v_mov_b32_e32 v22, 0
	s_or_b64 s[4:5], s[4:5], s[8:9]
	s_or_b64 exec, exec, s[6:7]
	s_and_saveexec_b64 s[6:7], s[4:5]
	s_cbranch_execnz .LBB5_279
	s_branch .LBB5_280
.LBB5_2329:
	s_movk_i32 s4, 0x80
	v_cmp_eq_u16_sdwa s[12:13], v14, s4 src0_sel:BYTE_3 src1_sel:DWORD
	s_mov_b64 s[4:5], -1
                                        ; implicit-def: $sgpr10
	s_and_saveexec_b64 s[8:9], s[12:13]
; %bb.2330:
	s_mov_b32 s10, 0x7f800001
	s_xor_b64 s[4:5], exec, -1
; %bb.2331:
	s_or_b64 exec, exec, s[8:9]
	s_and_b64 s[4:5], s[4:5], exec
	s_or_saveexec_b64 s[6:7], s[6:7]
	v_mov_b32_e32 v20, s10
	s_xor_b64 exec, exec, s[6:7]
	s_cbranch_execz .LBB5_282
.LBB5_2332:
	v_mov_b32_e32 v20, 0
	v_cmp_ne_u16_sdwa s[8:9], v14, v20 src0_sel:BYTE_3 src1_sel:DWORD
	s_andn2_b64 s[4:5], s[4:5], exec
	s_and_b64 s[8:9], s[8:9], exec
	s_or_b64 s[4:5], s[4:5], s[8:9]
	s_or_b64 exec, exec, s[6:7]
	s_and_saveexec_b64 s[6:7], s[4:5]
	s_cbranch_execnz .LBB5_283
	s_branch .LBB5_284
.LBB5_2333:
	s_movk_i32 s4, 0x80
	v_cmp_eq_u16_sdwa s[12:13], v10, s4 src0_sel:BYTE_3 src1_sel:DWORD
	s_mov_b64 s[4:5], -1
                                        ; implicit-def: $sgpr10
	s_and_saveexec_b64 s[8:9], s[12:13]
; %bb.2334:
	s_mov_b32 s10, 0x7f800001
	s_xor_b64 s[4:5], exec, -1
; %bb.2335:
	s_or_b64 exec, exec, s[8:9]
	s_and_b64 s[4:5], s[4:5], exec
	s_or_saveexec_b64 s[6:7], s[6:7]
	v_mov_b32_e32 v14, s10
	s_xor_b64 exec, exec, s[6:7]
	s_cbranch_execz .LBB5_286
.LBB5_2336:
	v_mov_b32_e32 v14, 0
	v_cmp_ne_u16_sdwa s[8:9], v10, v14 src0_sel:BYTE_3 src1_sel:DWORD
	s_andn2_b64 s[4:5], s[4:5], exec
	s_and_b64 s[8:9], s[8:9], exec
	s_or_b64 s[4:5], s[4:5], s[8:9]
	s_or_b64 exec, exec, s[6:7]
	s_and_saveexec_b64 s[6:7], s[4:5]
	s_cbranch_execnz .LBB5_287
	s_branch .LBB5_288
.LBB5_2337:
	s_movk_i32 s4, 0x80
	v_cmp_eq_u16_sdwa s[12:13], v15, s4 src0_sel:BYTE_0 src1_sel:DWORD
	s_mov_b64 s[4:5], -1
                                        ; implicit-def: $sgpr10
	s_and_saveexec_b64 s[8:9], s[12:13]
; %bb.2338:
	s_mov_b32 s10, 0x7f800001
	s_xor_b64 s[4:5], exec, -1
; %bb.2339:
	s_or_b64 exec, exec, s[8:9]
	s_and_b64 s[4:5], s[4:5], exec
	s_or_saveexec_b64 s[6:7], s[6:7]
	v_mov_b32_e32 v10, s10
	s_xor_b64 exec, exec, s[6:7]
	s_cbranch_execz .LBB5_290
.LBB5_2340:
	v_mov_b32_e32 v10, 0
	v_cmp_ne_u16_sdwa s[8:9], v15, v10 src0_sel:BYTE_0 src1_sel:DWORD
	s_andn2_b64 s[4:5], s[4:5], exec
	s_and_b64 s[8:9], s[8:9], exec
	s_or_b64 s[4:5], s[4:5], s[8:9]
	s_or_b64 exec, exec, s[6:7]
	s_and_saveexec_b64 s[6:7], s[4:5]
	s_cbranch_execnz .LBB5_291
	s_branch .LBB5_292
.LBB5_2341:
	s_movk_i32 s4, 0x80
	v_cmp_eq_u16_sdwa s[12:13], v11, s4 src0_sel:BYTE_0 src1_sel:DWORD
	s_mov_b64 s[4:5], -1
                                        ; implicit-def: $sgpr10
	s_and_saveexec_b64 s[8:9], s[12:13]
; %bb.2342:
	s_mov_b32 s10, 0x7f800001
	s_xor_b64 s[4:5], exec, -1
; %bb.2343:
	s_or_b64 exec, exec, s[8:9]
	s_and_b64 s[4:5], s[4:5], exec
	s_or_saveexec_b64 s[6:7], s[6:7]
	v_mov_b32_e32 v14, s10
	s_xor_b64 exec, exec, s[6:7]
	s_cbranch_execz .LBB5_294
.LBB5_2344:
	v_mov_b32_e32 v14, 0
	v_cmp_ne_u16_sdwa s[8:9], v11, v14 src0_sel:BYTE_0 src1_sel:DWORD
	s_andn2_b64 s[4:5], s[4:5], exec
	s_and_b64 s[8:9], s[8:9], exec
	s_or_b64 s[4:5], s[4:5], s[8:9]
	s_or_b64 exec, exec, s[6:7]
	s_and_saveexec_b64 s[6:7], s[4:5]
	s_cbranch_execnz .LBB5_295
	s_branch .LBB5_296
.LBB5_2345:
	s_movk_i32 s4, 0x80
	v_cmp_eq_u16_sdwa s[12:13], v14, s4 src0_sel:BYTE_0 src1_sel:DWORD
	s_mov_b64 s[4:5], -1
                                        ; implicit-def: $sgpr10
	s_and_saveexec_b64 s[8:9], s[12:13]
; %bb.2346:
	s_mov_b32 s10, 0x7f800001
	s_xor_b64 s[4:5], exec, -1
; %bb.2347:
	s_or_b64 exec, exec, s[8:9]
	s_and_b64 s[4:5], s[4:5], exec
	s_or_saveexec_b64 s[6:7], s[6:7]
	v_mov_b32_e32 v10, s10
	s_xor_b64 exec, exec, s[6:7]
	s_cbranch_execz .LBB5_298
.LBB5_2348:
	v_mov_b32_e32 v10, 0
	v_cmp_ne_u16_sdwa s[8:9], v14, v10 src0_sel:BYTE_0 src1_sel:DWORD
	s_andn2_b64 s[4:5], s[4:5], exec
	s_and_b64 s[8:9], s[8:9], exec
	s_or_b64 s[4:5], s[4:5], s[8:9]
	s_or_b64 exec, exec, s[6:7]
	s_and_saveexec_b64 s[6:7], s[4:5]
	s_cbranch_execnz .LBB5_299
	s_branch .LBB5_300
.LBB5_2349:
	s_movk_i32 s4, 0x80
	v_cmp_eq_u16_sdwa s[12:13], v14, s4 src0_sel:BYTE_0 src1_sel:DWORD
	s_mov_b64 s[4:5], -1
                                        ; implicit-def: $sgpr10
	s_and_saveexec_b64 s[8:9], s[12:13]
; %bb.2350:
	s_mov_b32 s10, 0x7f800001
	s_xor_b64 s[4:5], exec, -1
; %bb.2351:
	s_or_b64 exec, exec, s[8:9]
	s_and_b64 s[4:5], s[4:5], exec
	s_or_saveexec_b64 s[6:7], s[6:7]
	v_mov_b32_e32 v20, s10
	s_xor_b64 exec, exec, s[6:7]
	s_cbranch_execz .LBB5_302
.LBB5_2352:
	v_mov_b32_e32 v20, 0
	v_cmp_ne_u16_sdwa s[8:9], v14, v20 src0_sel:BYTE_0 src1_sel:DWORD
	s_andn2_b64 s[4:5], s[4:5], exec
	s_and_b64 s[8:9], s[8:9], exec
	s_or_b64 s[4:5], s[4:5], s[8:9]
	s_or_b64 exec, exec, s[6:7]
	s_and_saveexec_b64 s[6:7], s[4:5]
	s_cbranch_execnz .LBB5_303
	s_branch .LBB5_304
.LBB5_2353:
	s_movk_i32 s4, 0x80
	v_cmp_eq_u16_e32 vcc, s4, v14
	s_mov_b64 s[4:5], -1
                                        ; implicit-def: $sgpr10
	s_and_saveexec_b64 s[8:9], vcc
; %bb.2354:
	s_mov_b32 s10, 0x7f800001
	s_xor_b64 s[4:5], exec, -1
; %bb.2355:
	s_or_b64 exec, exec, s[8:9]
	s_and_b64 s[4:5], s[4:5], exec
                                        ; implicit-def: $vgpr14
	s_or_saveexec_b64 s[6:7], s[6:7]
	v_mov_b32_e32 v10, s10
	s_xor_b64 exec, exec, s[6:7]
	s_cbranch_execz .LBB5_306
.LBB5_2356:
	v_cmp_ne_u16_e32 vcc, 0, v14
	s_andn2_b64 s[4:5], s[4:5], exec
	s_and_b64 s[8:9], vcc, exec
	v_mov_b32_e32 v10, 0
	s_or_b64 s[4:5], s[4:5], s[8:9]
	s_or_b64 exec, exec, s[6:7]
	s_and_saveexec_b64 s[6:7], s[4:5]
	s_cbranch_execnz .LBB5_307
	s_branch .LBB5_308
.LBB5_2357:
	s_movk_i32 s4, 0x80
	v_cmp_eq_u16_e32 vcc, s4, v14
	s_mov_b64 s[4:5], -1
                                        ; implicit-def: $sgpr10
	s_and_saveexec_b64 s[8:9], vcc
; %bb.2358:
	s_mov_b32 s10, 0x7f800001
	s_xor_b64 s[4:5], exec, -1
; %bb.2359:
	s_or_b64 exec, exec, s[8:9]
	s_and_b64 s[4:5], s[4:5], exec
                                        ; implicit-def: $vgpr14
	s_or_saveexec_b64 s[6:7], s[6:7]
	v_mov_b32_e32 v20, s10
	s_xor_b64 exec, exec, s[6:7]
	s_cbranch_execz .LBB5_310
.LBB5_2360:
	v_cmp_ne_u16_e32 vcc, 0, v14
	s_andn2_b64 s[4:5], s[4:5], exec
	s_and_b64 s[8:9], vcc, exec
	v_mov_b32_e32 v20, 0
	s_or_b64 s[4:5], s[4:5], s[8:9]
	s_or_b64 exec, exec, s[6:7]
	s_and_saveexec_b64 s[6:7], s[4:5]
	s_cbranch_execnz .LBB5_311
	s_branch .LBB5_312
.LBB5_2361:
	s_movk_i32 s4, 0x80
	v_cmp_eq_u16_sdwa s[12:13], v15, s4 src0_sel:BYTE_3 src1_sel:DWORD
	s_mov_b64 s[4:5], -1
                                        ; implicit-def: $sgpr10
	s_and_saveexec_b64 s[8:9], s[12:13]
; %bb.2362:
	s_mov_b32 s10, 0x7f800001
	s_xor_b64 s[4:5], exec, -1
; %bb.2363:
	s_or_b64 exec, exec, s[8:9]
	s_and_b64 s[4:5], s[4:5], exec
	s_or_saveexec_b64 s[6:7], s[6:7]
	v_mov_b32_e32 v10, s10
	s_xor_b64 exec, exec, s[6:7]
	s_cbranch_execz .LBB5_314
.LBB5_2364:
	v_mov_b32_e32 v10, 0
	v_cmp_ne_u16_sdwa s[8:9], v15, v10 src0_sel:BYTE_3 src1_sel:DWORD
	s_andn2_b64 s[4:5], s[4:5], exec
	s_and_b64 s[8:9], s[8:9], exec
	s_or_b64 s[4:5], s[4:5], s[8:9]
	s_or_b64 exec, exec, s[6:7]
	s_and_saveexec_b64 s[6:7], s[4:5]
	s_cbranch_execnz .LBB5_315
	s_branch .LBB5_316
.LBB5_2365:
	s_movk_i32 s4, 0x80
	v_cmp_eq_u16_sdwa s[12:13], v11, s4 src0_sel:BYTE_3 src1_sel:DWORD
	s_mov_b64 s[4:5], -1
                                        ; implicit-def: $sgpr10
	s_and_saveexec_b64 s[8:9], s[12:13]
; %bb.2366:
	s_mov_b32 s10, 0x7f800001
	s_xor_b64 s[4:5], exec, -1
; %bb.2367:
	s_or_b64 exec, exec, s[8:9]
	s_and_b64 s[4:5], s[4:5], exec
	s_or_saveexec_b64 s[6:7], s[6:7]
	v_mov_b32_e32 v14, s10
	s_xor_b64 exec, exec, s[6:7]
	s_cbranch_execz .LBB5_318
.LBB5_2368:
	v_mov_b32_e32 v14, 0
	v_cmp_ne_u16_sdwa s[8:9], v11, v14 src0_sel:BYTE_3 src1_sel:DWORD
	s_andn2_b64 s[4:5], s[4:5], exec
	s_and_b64 s[8:9], s[8:9], exec
	s_or_b64 s[4:5], s[4:5], s[8:9]
	s_or_b64 exec, exec, s[6:7]
	s_and_saveexec_b64 s[6:7], s[4:5]
	s_cbranch_execnz .LBB5_319
	s_branch .LBB5_320
.LBB5_2369:
	s_movk_i32 s4, 0x80
	v_cmp_eq_u16_sdwa s[12:13], v16, s4 src0_sel:BYTE_0 src1_sel:DWORD
	s_mov_b64 s[4:5], -1
                                        ; implicit-def: $sgpr10
	s_and_saveexec_b64 s[8:9], s[12:13]
; %bb.2370:
	s_mov_b32 s10, 0x7f800001
	s_xor_b64 s[4:5], exec, -1
; %bb.2371:
	s_or_b64 exec, exec, s[8:9]
	s_and_b64 s[4:5], s[4:5], exec
	s_or_saveexec_b64 s[6:7], s[6:7]
	v_mov_b32_e32 v10, s10
	s_xor_b64 exec, exec, s[6:7]
	s_cbranch_execz .LBB5_322
.LBB5_2372:
	v_mov_b32_e32 v10, 0
	v_cmp_ne_u16_sdwa s[8:9], v16, v10 src0_sel:BYTE_0 src1_sel:DWORD
	s_andn2_b64 s[4:5], s[4:5], exec
	s_and_b64 s[8:9], s[8:9], exec
	s_or_b64 s[4:5], s[4:5], s[8:9]
	s_or_b64 exec, exec, s[6:7]
	s_and_saveexec_b64 s[6:7], s[4:5]
	s_cbranch_execnz .LBB5_323
	s_branch .LBB5_324
.LBB5_2373:
	s_movk_i32 s4, 0x80
	v_cmp_eq_u16_sdwa s[12:13], v12, s4 src0_sel:BYTE_0 src1_sel:DWORD
	s_mov_b64 s[4:5], -1
                                        ; implicit-def: $sgpr10
	s_and_saveexec_b64 s[8:9], s[12:13]
; %bb.2374:
	s_mov_b32 s10, 0x7f800001
	s_xor_b64 s[4:5], exec, -1
; %bb.2375:
	s_or_b64 exec, exec, s[8:9]
	s_and_b64 s[4:5], s[4:5], exec
	s_or_saveexec_b64 s[6:7], s[6:7]
	v_mov_b32_e32 v11, s10
	s_xor_b64 exec, exec, s[6:7]
	s_cbranch_execz .LBB5_326
.LBB5_2376:
	v_mov_b32_e32 v11, 0
	v_cmp_ne_u16_sdwa s[8:9], v12, v11 src0_sel:BYTE_0 src1_sel:DWORD
	s_andn2_b64 s[4:5], s[4:5], exec
	s_and_b64 s[8:9], s[8:9], exec
	s_or_b64 s[4:5], s[4:5], s[8:9]
	s_or_b64 exec, exec, s[6:7]
	s_and_saveexec_b64 s[6:7], s[4:5]
	s_cbranch_execnz .LBB5_327
	s_branch .LBB5_328
.LBB5_2377:
	s_movk_i32 s4, 0x80
	v_cmp_eq_u16_sdwa s[12:13], v11, s4 src0_sel:BYTE_0 src1_sel:DWORD
	s_mov_b64 s[4:5], -1
                                        ; implicit-def: $sgpr10
	s_and_saveexec_b64 s[8:9], s[12:13]
; %bb.2378:
	s_mov_b32 s10, 0x7f800001
	s_xor_b64 s[4:5], exec, -1
; %bb.2379:
	s_or_b64 exec, exec, s[8:9]
	s_and_b64 s[4:5], s[4:5], exec
	s_or_saveexec_b64 s[6:7], s[6:7]
	v_mov_b32_e32 v10, s10
	s_xor_b64 exec, exec, s[6:7]
	s_cbranch_execz .LBB5_330
.LBB5_2380:
	v_mov_b32_e32 v10, 0
	v_cmp_ne_u16_sdwa s[8:9], v11, v10 src0_sel:BYTE_0 src1_sel:DWORD
	s_andn2_b64 s[4:5], s[4:5], exec
	s_and_b64 s[8:9], s[8:9], exec
	s_or_b64 s[4:5], s[4:5], s[8:9]
	s_or_b64 exec, exec, s[6:7]
	s_and_saveexec_b64 s[6:7], s[4:5]
	s_cbranch_execnz .LBB5_331
	s_branch .LBB5_332
.LBB5_2381:
	s_movk_i32 s4, 0x80
	v_cmp_eq_u16_sdwa s[12:13], v11, s4 src0_sel:BYTE_0 src1_sel:DWORD
	s_mov_b64 s[4:5], -1
                                        ; implicit-def: $sgpr10
	s_and_saveexec_b64 s[8:9], s[12:13]
; %bb.2382:
	s_mov_b32 s10, 0x7f800001
	s_xor_b64 s[4:5], exec, -1
; %bb.2383:
	s_or_b64 exec, exec, s[8:9]
	s_and_b64 s[4:5], s[4:5], exec
	s_or_saveexec_b64 s[6:7], s[6:7]
	v_mov_b32_e32 v14, s10
	s_xor_b64 exec, exec, s[6:7]
	s_cbranch_execz .LBB5_334
.LBB5_2384:
	v_mov_b32_e32 v14, 0
	v_cmp_ne_u16_sdwa s[8:9], v11, v14 src0_sel:BYTE_0 src1_sel:DWORD
	s_andn2_b64 s[4:5], s[4:5], exec
	s_and_b64 s[8:9], s[8:9], exec
	s_or_b64 s[4:5], s[4:5], s[8:9]
	s_or_b64 exec, exec, s[6:7]
	s_and_saveexec_b64 s[6:7], s[4:5]
	s_cbranch_execnz .LBB5_335
	s_branch .LBB5_336
.LBB5_2385:
	s_movk_i32 s4, 0x80
	v_cmp_eq_u16_e32 vcc, s4, v11
	s_mov_b64 s[4:5], -1
                                        ; implicit-def: $sgpr10
	s_and_saveexec_b64 s[8:9], vcc
; %bb.2386:
	s_mov_b32 s10, 0x7f800001
	s_xor_b64 s[4:5], exec, -1
; %bb.2387:
	s_or_b64 exec, exec, s[8:9]
	s_and_b64 s[4:5], s[4:5], exec
                                        ; implicit-def: $vgpr11
	s_or_saveexec_b64 s[6:7], s[6:7]
	v_mov_b32_e32 v10, s10
	s_xor_b64 exec, exec, s[6:7]
	s_cbranch_execz .LBB5_338
.LBB5_2388:
	v_cmp_ne_u16_e32 vcc, 0, v11
	s_andn2_b64 s[4:5], s[4:5], exec
	s_and_b64 s[8:9], vcc, exec
	v_mov_b32_e32 v10, 0
	s_or_b64 s[4:5], s[4:5], s[8:9]
	s_or_b64 exec, exec, s[6:7]
	s_and_saveexec_b64 s[6:7], s[4:5]
	s_cbranch_execnz .LBB5_339
	s_branch .LBB5_340
.LBB5_2389:
	s_movk_i32 s4, 0x80
	v_cmp_eq_u16_e32 vcc, s4, v11
	s_mov_b64 s[4:5], -1
                                        ; implicit-def: $sgpr10
	s_and_saveexec_b64 s[8:9], vcc
; %bb.2390:
	s_mov_b32 s10, 0x7f800001
	s_xor_b64 s[4:5], exec, -1
; %bb.2391:
	s_or_b64 exec, exec, s[8:9]
	s_and_b64 s[4:5], s[4:5], exec
                                        ; implicit-def: $vgpr11
	s_or_saveexec_b64 s[6:7], s[6:7]
	v_mov_b32_e32 v14, s10
	s_xor_b64 exec, exec, s[6:7]
	s_cbranch_execz .LBB5_342
.LBB5_2392:
	v_cmp_ne_u16_e32 vcc, 0, v11
	s_andn2_b64 s[4:5], s[4:5], exec
	s_and_b64 s[8:9], vcc, exec
	v_mov_b32_e32 v14, 0
	s_or_b64 s[4:5], s[4:5], s[8:9]
	s_or_b64 exec, exec, s[6:7]
	s_and_saveexec_b64 s[6:7], s[4:5]
	s_cbranch_execnz .LBB5_343
	s_branch .LBB5_344
.LBB5_2393:
	s_movk_i32 s4, 0x80
	v_cmp_eq_u16_sdwa s[12:13], v16, s4 src0_sel:BYTE_3 src1_sel:DWORD
	s_mov_b64 s[4:5], -1
                                        ; implicit-def: $sgpr10
	s_and_saveexec_b64 s[8:9], s[12:13]
; %bb.2394:
	s_mov_b32 s10, 0x7f800001
	s_xor_b64 s[4:5], exec, -1
; %bb.2395:
	s_or_b64 exec, exec, s[8:9]
	s_and_b64 s[4:5], s[4:5], exec
	s_or_saveexec_b64 s[6:7], s[6:7]
	v_mov_b32_e32 v10, s10
	s_xor_b64 exec, exec, s[6:7]
	s_cbranch_execz .LBB5_346
.LBB5_2396:
	v_mov_b32_e32 v10, 0
	v_cmp_ne_u16_sdwa s[8:9], v16, v10 src0_sel:BYTE_3 src1_sel:DWORD
	s_andn2_b64 s[4:5], s[4:5], exec
	s_and_b64 s[8:9], s[8:9], exec
	s_or_b64 s[4:5], s[4:5], s[8:9]
	s_or_b64 exec, exec, s[6:7]
	s_and_saveexec_b64 s[6:7], s[4:5]
	s_cbranch_execnz .LBB5_347
	s_branch .LBB5_348
.LBB5_2397:
	s_movk_i32 s4, 0x80
	v_cmp_eq_u16_sdwa s[12:13], v12, s4 src0_sel:BYTE_3 src1_sel:DWORD
	s_mov_b64 s[4:5], -1
                                        ; implicit-def: $sgpr10
	s_and_saveexec_b64 s[8:9], s[12:13]
; %bb.2398:
	s_mov_b32 s10, 0x7f800001
	s_xor_b64 s[4:5], exec, -1
; %bb.2399:
	s_or_b64 exec, exec, s[8:9]
	s_and_b64 s[4:5], s[4:5], exec
	s_or_saveexec_b64 s[6:7], s[6:7]
	v_mov_b32_e32 v11, s10
	s_xor_b64 exec, exec, s[6:7]
	s_cbranch_execz .LBB5_350
.LBB5_2400:
	v_mov_b32_e32 v11, 0
	v_cmp_ne_u16_sdwa s[8:9], v12, v11 src0_sel:BYTE_3 src1_sel:DWORD
	s_andn2_b64 s[4:5], s[4:5], exec
	s_and_b64 s[8:9], s[8:9], exec
	s_or_b64 s[4:5], s[4:5], s[8:9]
	s_or_b64 exec, exec, s[6:7]
	s_and_saveexec_b64 s[6:7], s[4:5]
	s_cbranch_execnz .LBB5_351
	s_branch .LBB5_352
.LBB5_2401:
	s_movk_i32 s4, 0x80
	v_cmp_eq_u16_sdwa s[12:13], v17, s4 src0_sel:BYTE_0 src1_sel:DWORD
	s_mov_b64 s[4:5], -1
                                        ; implicit-def: $sgpr10
	s_and_saveexec_b64 s[8:9], s[12:13]
; %bb.2402:
	s_mov_b32 s10, 0x7f800001
	s_xor_b64 s[4:5], exec, -1
; %bb.2403:
	s_or_b64 exec, exec, s[8:9]
	s_and_b64 s[4:5], s[4:5], exec
	s_or_saveexec_b64 s[6:7], s[6:7]
	v_mov_b32_e32 v10, s10
	s_xor_b64 exec, exec, s[6:7]
	s_cbranch_execz .LBB5_354
.LBB5_2404:
	v_mov_b32_e32 v10, 0
	v_cmp_ne_u16_sdwa s[8:9], v17, v10 src0_sel:BYTE_0 src1_sel:DWORD
	s_andn2_b64 s[4:5], s[4:5], exec
	s_and_b64 s[8:9], s[8:9], exec
	s_or_b64 s[4:5], s[4:5], s[8:9]
	s_or_b64 exec, exec, s[6:7]
	s_and_saveexec_b64 s[6:7], s[4:5]
	s_cbranch_execnz .LBB5_355
	s_branch .LBB5_356
.LBB5_2405:
	s_movk_i32 s4, 0x80
	v_cmp_eq_u16_sdwa s[12:13], v13, s4 src0_sel:BYTE_0 src1_sel:DWORD
	s_mov_b64 s[4:5], -1
                                        ; implicit-def: $sgpr10
	s_and_saveexec_b64 s[8:9], s[12:13]
; %bb.2406:
	s_mov_b32 s10, 0x7f800001
	s_xor_b64 s[4:5], exec, -1
; %bb.2407:
	s_or_b64 exec, exec, s[8:9]
	s_and_b64 s[4:5], s[4:5], exec
	s_or_saveexec_b64 s[6:7], s[6:7]
	v_mov_b32_e32 v11, s10
	s_xor_b64 exec, exec, s[6:7]
	s_cbranch_execz .LBB5_358
.LBB5_2408:
	v_mov_b32_e32 v11, 0
	v_cmp_ne_u16_sdwa s[8:9], v13, v11 src0_sel:BYTE_0 src1_sel:DWORD
	s_andn2_b64 s[4:5], s[4:5], exec
	s_and_b64 s[8:9], s[8:9], exec
	s_or_b64 s[4:5], s[4:5], s[8:9]
	s_or_b64 exec, exec, s[6:7]
	s_and_saveexec_b64 s[6:7], s[4:5]
	s_cbranch_execnz .LBB5_359
	s_branch .LBB5_360
.LBB5_2409:
	s_movk_i32 s4, 0x80
	v_cmp_eq_u16_sdwa s[12:13], v11, s4 src0_sel:BYTE_0 src1_sel:DWORD
	s_mov_b64 s[4:5], -1
                                        ; implicit-def: $sgpr10
	s_and_saveexec_b64 s[8:9], s[12:13]
; %bb.2410:
	s_mov_b32 s10, 0x7f800001
	s_xor_b64 s[4:5], exec, -1
; %bb.2411:
	s_or_b64 exec, exec, s[8:9]
	s_and_b64 s[4:5], s[4:5], exec
	s_or_saveexec_b64 s[6:7], s[6:7]
	v_mov_b32_e32 v10, s10
	s_xor_b64 exec, exec, s[6:7]
	s_cbranch_execz .LBB5_362
.LBB5_2412:
	v_mov_b32_e32 v10, 0
	v_cmp_ne_u16_sdwa s[8:9], v11, v10 src0_sel:BYTE_0 src1_sel:DWORD
	s_andn2_b64 s[4:5], s[4:5], exec
	s_and_b64 s[8:9], s[8:9], exec
	s_or_b64 s[4:5], s[4:5], s[8:9]
	s_or_b64 exec, exec, s[6:7]
	s_and_saveexec_b64 s[6:7], s[4:5]
	s_cbranch_execnz .LBB5_363
	s_branch .LBB5_364
.LBB5_2413:
	s_movk_i32 s4, 0x80
	v_cmp_eq_u16_sdwa s[12:13], v11, s4 src0_sel:BYTE_0 src1_sel:DWORD
	s_mov_b64 s[4:5], -1
                                        ; implicit-def: $sgpr10
	s_and_saveexec_b64 s[8:9], s[12:13]
; %bb.2414:
	s_mov_b32 s10, 0x7f800001
	s_xor_b64 s[4:5], exec, -1
; %bb.2415:
	s_or_b64 exec, exec, s[8:9]
	s_and_b64 s[4:5], s[4:5], exec
	s_or_saveexec_b64 s[6:7], s[6:7]
	v_mov_b32_e32 v12, s10
	s_xor_b64 exec, exec, s[6:7]
	s_cbranch_execz .LBB5_366
.LBB5_2416:
	v_mov_b32_e32 v12, 0
	v_cmp_ne_u16_sdwa s[8:9], v11, v12 src0_sel:BYTE_0 src1_sel:DWORD
	s_andn2_b64 s[4:5], s[4:5], exec
	s_and_b64 s[8:9], s[8:9], exec
	s_or_b64 s[4:5], s[4:5], s[8:9]
	s_or_b64 exec, exec, s[6:7]
	s_and_saveexec_b64 s[6:7], s[4:5]
	s_cbranch_execnz .LBB5_367
	s_branch .LBB5_368
.LBB5_2417:
	s_movk_i32 s4, 0x80
	v_cmp_eq_u16_e32 vcc, s4, v11
	s_mov_b64 s[4:5], -1
                                        ; implicit-def: $sgpr10
	s_and_saveexec_b64 s[8:9], vcc
; %bb.2418:
	s_mov_b32 s10, 0x7f800001
	s_xor_b64 s[4:5], exec, -1
; %bb.2419:
	s_or_b64 exec, exec, s[8:9]
	s_and_b64 s[4:5], s[4:5], exec
                                        ; implicit-def: $vgpr11
	s_or_saveexec_b64 s[6:7], s[6:7]
	v_mov_b32_e32 v10, s10
	s_xor_b64 exec, exec, s[6:7]
	s_cbranch_execz .LBB5_370
.LBB5_2420:
	v_cmp_ne_u16_e32 vcc, 0, v11
	s_andn2_b64 s[4:5], s[4:5], exec
	s_and_b64 s[8:9], vcc, exec
	v_mov_b32_e32 v10, 0
	s_or_b64 s[4:5], s[4:5], s[8:9]
	s_or_b64 exec, exec, s[6:7]
	s_and_saveexec_b64 s[6:7], s[4:5]
	s_cbranch_execnz .LBB5_371
	s_branch .LBB5_372
.LBB5_2421:
	s_movk_i32 s4, 0x80
	v_cmp_eq_u16_e32 vcc, s4, v11
	s_mov_b64 s[4:5], -1
                                        ; implicit-def: $sgpr10
	s_and_saveexec_b64 s[8:9], vcc
; %bb.2422:
	s_mov_b32 s10, 0x7f800001
	s_xor_b64 s[4:5], exec, -1
; %bb.2423:
	s_or_b64 exec, exec, s[8:9]
	s_and_b64 s[4:5], s[4:5], exec
                                        ; implicit-def: $vgpr11
	s_or_saveexec_b64 s[6:7], s[6:7]
	v_mov_b32_e32 v12, s10
	s_xor_b64 exec, exec, s[6:7]
	s_cbranch_execz .LBB5_374
.LBB5_2424:
	v_cmp_ne_u16_e32 vcc, 0, v11
	s_andn2_b64 s[4:5], s[4:5], exec
	s_and_b64 s[8:9], vcc, exec
	v_mov_b32_e32 v12, 0
	s_or_b64 s[4:5], s[4:5], s[8:9]
	s_or_b64 exec, exec, s[6:7]
	s_and_saveexec_b64 s[6:7], s[4:5]
	s_cbranch_execnz .LBB5_375
	s_branch .LBB5_376
.LBB5_2425:
	s_movk_i32 s4, 0x80
	v_cmp_eq_u16_sdwa s[12:13], v17, s4 src0_sel:BYTE_3 src1_sel:DWORD
	s_mov_b64 s[4:5], -1
                                        ; implicit-def: $sgpr10
	s_and_saveexec_b64 s[8:9], s[12:13]
; %bb.2426:
	s_mov_b32 s10, 0x7f800001
	s_xor_b64 s[4:5], exec, -1
; %bb.2427:
	s_or_b64 exec, exec, s[8:9]
	s_and_b64 s[4:5], s[4:5], exec
	s_or_saveexec_b64 s[6:7], s[6:7]
	v_mov_b32_e32 v10, s10
	s_xor_b64 exec, exec, s[6:7]
	s_cbranch_execz .LBB5_378
.LBB5_2428:
	v_mov_b32_e32 v10, 0
	v_cmp_ne_u16_sdwa s[8:9], v17, v10 src0_sel:BYTE_3 src1_sel:DWORD
	s_andn2_b64 s[4:5], s[4:5], exec
	s_and_b64 s[8:9], s[8:9], exec
	s_or_b64 s[4:5], s[4:5], s[8:9]
	s_or_b64 exec, exec, s[6:7]
	s_and_saveexec_b64 s[6:7], s[4:5]
	s_cbranch_execnz .LBB5_379
	s_branch .LBB5_380
.LBB5_2429:
	s_movk_i32 s4, 0x80
	v_cmp_eq_u16_sdwa s[12:13], v13, s4 src0_sel:BYTE_3 src1_sel:DWORD
	s_mov_b64 s[4:5], -1
                                        ; implicit-def: $sgpr10
	s_and_saveexec_b64 s[8:9], s[12:13]
; %bb.2430:
	s_mov_b32 s10, 0x7f800001
	s_xor_b64 s[4:5], exec, -1
; %bb.2431:
	s_or_b64 exec, exec, s[8:9]
	s_and_b64 s[4:5], s[4:5], exec
	s_or_saveexec_b64 s[6:7], s[6:7]
	v_mov_b32_e32 v11, s10
	s_xor_b64 exec, exec, s[6:7]
	s_cbranch_execz .LBB5_382
.LBB5_2432:
	v_mov_b32_e32 v11, 0
	v_cmp_ne_u16_sdwa s[8:9], v13, v11 src0_sel:BYTE_3 src1_sel:DWORD
	s_andn2_b64 s[4:5], s[4:5], exec
	s_and_b64 s[8:9], s[8:9], exec
	s_or_b64 s[4:5], s[4:5], s[8:9]
	s_or_b64 exec, exec, s[6:7]
	s_and_saveexec_b64 s[6:7], s[4:5]
	s_cbranch_execnz .LBB5_383
	s_branch .LBB5_384
.LBB5_2433:
	s_movk_i32 s4, 0x80
	v_cmp_eq_u16_sdwa s[12:13], v6, s4 src0_sel:BYTE_0 src1_sel:DWORD
	s_mov_b64 s[4:5], -1
                                        ; implicit-def: $sgpr10
	s_and_saveexec_b64 s[8:9], s[12:13]
; %bb.2434:
	s_mov_b32 s10, 0x7f800001
	s_xor_b64 s[4:5], exec, -1
; %bb.2435:
	s_or_b64 exec, exec, s[8:9]
	s_and_b64 s[4:5], s[4:5], exec
	s_or_saveexec_b64 s[6:7], s[6:7]
	v_mov_b32_e32 v10, s10
	s_xor_b64 exec, exec, s[6:7]
	s_cbranch_execz .LBB5_386
.LBB5_2436:
	v_mov_b32_e32 v10, 0
	v_cmp_ne_u16_sdwa s[8:9], v6, v10 src0_sel:BYTE_0 src1_sel:DWORD
	s_andn2_b64 s[4:5], s[4:5], exec
	s_and_b64 s[8:9], s[8:9], exec
	s_or_b64 s[4:5], s[4:5], s[8:9]
	s_or_b64 exec, exec, s[6:7]
	s_and_saveexec_b64 s[6:7], s[4:5]
	s_cbranch_execnz .LBB5_387
	s_branch .LBB5_388
.LBB5_2437:
	s_movk_i32 s4, 0x80
	v_cmp_eq_u16_sdwa s[12:13], v2, s4 src0_sel:BYTE_0 src1_sel:DWORD
	s_mov_b64 s[4:5], -1
                                        ; implicit-def: $sgpr10
	s_and_saveexec_b64 s[8:9], s[12:13]
; %bb.2438:
	s_mov_b32 s10, 0x7f800001
	s_xor_b64 s[4:5], exec, -1
; %bb.2439:
	s_or_b64 exec, exec, s[8:9]
	s_and_b64 s[4:5], s[4:5], exec
	s_or_saveexec_b64 s[6:7], s[6:7]
	v_mov_b32_e32 v11, s10
	s_xor_b64 exec, exec, s[6:7]
	s_cbranch_execz .LBB5_390
.LBB5_2440:
	v_mov_b32_e32 v11, 0
	v_cmp_ne_u16_sdwa s[8:9], v2, v11 src0_sel:BYTE_0 src1_sel:DWORD
	s_andn2_b64 s[4:5], s[4:5], exec
	s_and_b64 s[8:9], s[8:9], exec
	s_or_b64 s[4:5], s[4:5], s[8:9]
	s_or_b64 exec, exec, s[6:7]
	s_and_saveexec_b64 s[6:7], s[4:5]
	s_cbranch_execnz .LBB5_391
	s_branch .LBB5_392
.LBB5_2441:
	s_movk_i32 s4, 0x80
	v_cmp_eq_u16_sdwa s[12:13], v11, s4 src0_sel:BYTE_0 src1_sel:DWORD
	s_mov_b64 s[4:5], -1
                                        ; implicit-def: $sgpr10
	s_and_saveexec_b64 s[8:9], s[12:13]
; %bb.2442:
	s_mov_b32 s10, 0x7f800001
	s_xor_b64 s[4:5], exec, -1
; %bb.2443:
	s_or_b64 exec, exec, s[8:9]
	s_and_b64 s[4:5], s[4:5], exec
	s_or_saveexec_b64 s[6:7], s[6:7]
	v_mov_b32_e32 v10, s10
	s_xor_b64 exec, exec, s[6:7]
	s_cbranch_execz .LBB5_394
.LBB5_2444:
	v_mov_b32_e32 v10, 0
	v_cmp_ne_u16_sdwa s[8:9], v11, v10 src0_sel:BYTE_0 src1_sel:DWORD
	s_andn2_b64 s[4:5], s[4:5], exec
	s_and_b64 s[8:9], s[8:9], exec
	s_or_b64 s[4:5], s[4:5], s[8:9]
	s_or_b64 exec, exec, s[6:7]
	s_and_saveexec_b64 s[6:7], s[4:5]
	s_cbranch_execnz .LBB5_395
	s_branch .LBB5_396
.LBB5_2445:
	s_movk_i32 s4, 0x80
	v_cmp_eq_u16_sdwa s[12:13], v11, s4 src0_sel:BYTE_0 src1_sel:DWORD
	s_mov_b64 s[4:5], -1
                                        ; implicit-def: $sgpr10
	s_and_saveexec_b64 s[8:9], s[12:13]
; %bb.2446:
	s_mov_b32 s10, 0x7f800001
	s_xor_b64 s[4:5], exec, -1
; %bb.2447:
	s_or_b64 exec, exec, s[8:9]
	s_and_b64 s[4:5], s[4:5], exec
	s_or_saveexec_b64 s[6:7], s[6:7]
	v_mov_b32_e32 v12, s10
	s_xor_b64 exec, exec, s[6:7]
	s_cbranch_execz .LBB5_398
.LBB5_2448:
	v_mov_b32_e32 v12, 0
	v_cmp_ne_u16_sdwa s[8:9], v11, v12 src0_sel:BYTE_0 src1_sel:DWORD
	s_andn2_b64 s[4:5], s[4:5], exec
	s_and_b64 s[8:9], s[8:9], exec
	s_or_b64 s[4:5], s[4:5], s[8:9]
	s_or_b64 exec, exec, s[6:7]
	s_and_saveexec_b64 s[6:7], s[4:5]
	s_cbranch_execnz .LBB5_399
	s_branch .LBB5_400
.LBB5_2449:
	s_movk_i32 s4, 0x80
	v_cmp_eq_u16_e32 vcc, s4, v11
	s_mov_b64 s[4:5], -1
                                        ; implicit-def: $sgpr10
	s_and_saveexec_b64 s[8:9], vcc
; %bb.2450:
	s_mov_b32 s10, 0x7f800001
	s_xor_b64 s[4:5], exec, -1
; %bb.2451:
	s_or_b64 exec, exec, s[8:9]
	s_and_b64 s[4:5], s[4:5], exec
                                        ; implicit-def: $vgpr11
	s_or_saveexec_b64 s[6:7], s[6:7]
	v_mov_b32_e32 v10, s10
	s_xor_b64 exec, exec, s[6:7]
	s_cbranch_execz .LBB5_402
.LBB5_2452:
	v_cmp_ne_u16_e32 vcc, 0, v11
	s_andn2_b64 s[4:5], s[4:5], exec
	s_and_b64 s[8:9], vcc, exec
	v_mov_b32_e32 v10, 0
	s_or_b64 s[4:5], s[4:5], s[8:9]
	s_or_b64 exec, exec, s[6:7]
	s_and_saveexec_b64 s[6:7], s[4:5]
	s_cbranch_execnz .LBB5_403
	s_branch .LBB5_404
.LBB5_2453:
	s_movk_i32 s4, 0x80
	v_cmp_eq_u16_e32 vcc, s4, v11
	s_mov_b64 s[4:5], -1
                                        ; implicit-def: $sgpr10
	s_and_saveexec_b64 s[8:9], vcc
; %bb.2454:
	s_mov_b32 s10, 0x7f800001
	s_xor_b64 s[4:5], exec, -1
; %bb.2455:
	s_or_b64 exec, exec, s[8:9]
	s_and_b64 s[4:5], s[4:5], exec
                                        ; implicit-def: $vgpr11
	s_or_saveexec_b64 s[6:7], s[6:7]
	v_mov_b32_e32 v12, s10
	s_xor_b64 exec, exec, s[6:7]
	s_cbranch_execz .LBB5_406
.LBB5_2456:
	v_cmp_ne_u16_e32 vcc, 0, v11
	s_andn2_b64 s[4:5], s[4:5], exec
	s_and_b64 s[8:9], vcc, exec
	v_mov_b32_e32 v12, 0
	s_or_b64 s[4:5], s[4:5], s[8:9]
	s_or_b64 exec, exec, s[6:7]
	s_and_saveexec_b64 s[6:7], s[4:5]
	s_cbranch_execnz .LBB5_407
	s_branch .LBB5_408
.LBB5_2457:
	s_movk_i32 s4, 0x80
	v_cmp_eq_u16_sdwa s[12:13], v6, s4 src0_sel:BYTE_3 src1_sel:DWORD
	s_mov_b64 s[4:5], -1
                                        ; implicit-def: $sgpr10
	s_and_saveexec_b64 s[8:9], s[12:13]
; %bb.2458:
	s_mov_b32 s10, 0x7f800001
	s_xor_b64 s[4:5], exec, -1
; %bb.2459:
	s_or_b64 exec, exec, s[8:9]
	s_and_b64 s[4:5], s[4:5], exec
	s_or_saveexec_b64 s[6:7], s[6:7]
	v_mov_b32_e32 v10, s10
	s_xor_b64 exec, exec, s[6:7]
	s_cbranch_execz .LBB5_410
.LBB5_2460:
	v_mov_b32_e32 v10, 0
	v_cmp_ne_u16_sdwa s[8:9], v6, v10 src0_sel:BYTE_3 src1_sel:DWORD
	s_andn2_b64 s[4:5], s[4:5], exec
	s_and_b64 s[8:9], s[8:9], exec
	s_or_b64 s[4:5], s[4:5], s[8:9]
	s_or_b64 exec, exec, s[6:7]
	s_and_saveexec_b64 s[6:7], s[4:5]
	s_cbranch_execnz .LBB5_411
	s_branch .LBB5_412
.LBB5_2461:
	s_movk_i32 s4, 0x80
	v_cmp_eq_u16_sdwa s[12:13], v2, s4 src0_sel:BYTE_3 src1_sel:DWORD
	s_mov_b64 s[4:5], -1
                                        ; implicit-def: $sgpr10
	s_and_saveexec_b64 s[8:9], s[12:13]
; %bb.2462:
	s_mov_b32 s10, 0x7f800001
	s_xor_b64 s[4:5], exec, -1
; %bb.2463:
	s_or_b64 exec, exec, s[8:9]
	s_and_b64 s[4:5], s[4:5], exec
	s_or_saveexec_b64 s[6:7], s[6:7]
	v_mov_b32_e32 v6, s10
	s_xor_b64 exec, exec, s[6:7]
	s_cbranch_execz .LBB5_414
.LBB5_2464:
	v_mov_b32_e32 v6, 0
	v_cmp_ne_u16_sdwa s[8:9], v2, v6 src0_sel:BYTE_3 src1_sel:DWORD
	s_andn2_b64 s[4:5], s[4:5], exec
	s_and_b64 s[8:9], s[8:9], exec
	s_or_b64 s[4:5], s[4:5], s[8:9]
	s_or_b64 exec, exec, s[6:7]
	s_and_saveexec_b64 s[6:7], s[4:5]
	s_cbranch_execnz .LBB5_415
	s_branch .LBB5_416
.LBB5_2465:
	s_movk_i32 s4, 0x80
	v_cmp_eq_u16_sdwa s[12:13], v7, s4 src0_sel:BYTE_0 src1_sel:DWORD
	s_mov_b64 s[4:5], -1
                                        ; implicit-def: $sgpr10
	s_and_saveexec_b64 s[8:9], s[12:13]
; %bb.2466:
	s_mov_b32 s10, 0x7f800001
	s_xor_b64 s[4:5], exec, -1
; %bb.2467:
	s_or_b64 exec, exec, s[8:9]
	s_and_b64 s[4:5], s[4:5], exec
	s_or_saveexec_b64 s[6:7], s[6:7]
	v_mov_b32_e32 v2, s10
	s_xor_b64 exec, exec, s[6:7]
	s_cbranch_execz .LBB5_418
.LBB5_2468:
	v_mov_b32_e32 v2, 0
	v_cmp_ne_u16_sdwa s[8:9], v7, v2 src0_sel:BYTE_0 src1_sel:DWORD
	s_andn2_b64 s[4:5], s[4:5], exec
	s_and_b64 s[8:9], s[8:9], exec
	s_or_b64 s[4:5], s[4:5], s[8:9]
	s_or_b64 exec, exec, s[6:7]
	s_and_saveexec_b64 s[6:7], s[4:5]
	s_cbranch_execnz .LBB5_419
	s_branch .LBB5_420
.LBB5_2469:
	s_movk_i32 s4, 0x80
	v_cmp_eq_u16_sdwa s[12:13], v3, s4 src0_sel:BYTE_0 src1_sel:DWORD
	s_mov_b64 s[4:5], -1
                                        ; implicit-def: $sgpr10
	s_and_saveexec_b64 s[8:9], s[12:13]
; %bb.2470:
	s_mov_b32 s10, 0x7f800001
	s_xor_b64 s[4:5], exec, -1
; %bb.2471:
	s_or_b64 exec, exec, s[8:9]
	s_and_b64 s[4:5], s[4:5], exec
	s_or_saveexec_b64 s[6:7], s[6:7]
	v_mov_b32_e32 v6, s10
	s_xor_b64 exec, exec, s[6:7]
	s_cbranch_execz .LBB5_422
.LBB5_2472:
	v_mov_b32_e32 v6, 0
	v_cmp_ne_u16_sdwa s[8:9], v3, v6 src0_sel:BYTE_0 src1_sel:DWORD
	s_andn2_b64 s[4:5], s[4:5], exec
	s_and_b64 s[8:9], s[8:9], exec
	s_or_b64 s[4:5], s[4:5], s[8:9]
	s_or_b64 exec, exec, s[6:7]
	s_and_saveexec_b64 s[6:7], s[4:5]
	s_cbranch_execnz .LBB5_423
	s_branch .LBB5_424
.LBB5_2473:
	s_movk_i32 s4, 0x80
	v_cmp_eq_u16_sdwa s[12:13], v6, s4 src0_sel:BYTE_0 src1_sel:DWORD
	s_mov_b64 s[4:5], -1
                                        ; implicit-def: $sgpr10
	s_and_saveexec_b64 s[8:9], s[12:13]
; %bb.2474:
	s_mov_b32 s10, 0x7f800001
	s_xor_b64 s[4:5], exec, -1
; %bb.2475:
	s_or_b64 exec, exec, s[8:9]
	s_and_b64 s[4:5], s[4:5], exec
	s_or_saveexec_b64 s[6:7], s[6:7]
	v_mov_b32_e32 v2, s10
	s_xor_b64 exec, exec, s[6:7]
	s_cbranch_execz .LBB5_426
.LBB5_2476:
	v_mov_b32_e32 v2, 0
	v_cmp_ne_u16_sdwa s[8:9], v6, v2 src0_sel:BYTE_0 src1_sel:DWORD
	s_andn2_b64 s[4:5], s[4:5], exec
	s_and_b64 s[8:9], s[8:9], exec
	s_or_b64 s[4:5], s[4:5], s[8:9]
	s_or_b64 exec, exec, s[6:7]
	s_and_saveexec_b64 s[6:7], s[4:5]
	s_cbranch_execnz .LBB5_427
	s_branch .LBB5_428
.LBB5_2477:
	s_movk_i32 s4, 0x80
	v_cmp_eq_u16_sdwa s[12:13], v6, s4 src0_sel:BYTE_0 src1_sel:DWORD
	s_mov_b64 s[4:5], -1
                                        ; implicit-def: $sgpr10
	s_and_saveexec_b64 s[8:9], s[12:13]
; %bb.2478:
	s_mov_b32 s10, 0x7f800001
	s_xor_b64 s[4:5], exec, -1
; %bb.2479:
	s_or_b64 exec, exec, s[8:9]
	s_and_b64 s[4:5], s[4:5], exec
	s_or_saveexec_b64 s[6:7], s[6:7]
	v_mov_b32_e32 v10, s10
	s_xor_b64 exec, exec, s[6:7]
	s_cbranch_execz .LBB5_430
.LBB5_2480:
	v_mov_b32_e32 v10, 0
	v_cmp_ne_u16_sdwa s[8:9], v6, v10 src0_sel:BYTE_0 src1_sel:DWORD
	s_andn2_b64 s[4:5], s[4:5], exec
	s_and_b64 s[8:9], s[8:9], exec
	s_or_b64 s[4:5], s[4:5], s[8:9]
	s_or_b64 exec, exec, s[6:7]
	s_and_saveexec_b64 s[6:7], s[4:5]
	s_cbranch_execnz .LBB5_431
	s_branch .LBB5_432
.LBB5_2481:
	s_movk_i32 s4, 0x80
	v_cmp_eq_u16_e32 vcc, s4, v6
	s_mov_b64 s[4:5], -1
                                        ; implicit-def: $sgpr10
	s_and_saveexec_b64 s[8:9], vcc
; %bb.2482:
	s_mov_b32 s10, 0x7f800001
	s_xor_b64 s[4:5], exec, -1
; %bb.2483:
	s_or_b64 exec, exec, s[8:9]
	s_and_b64 s[4:5], s[4:5], exec
                                        ; implicit-def: $vgpr6
	s_or_saveexec_b64 s[6:7], s[6:7]
	v_mov_b32_e32 v2, s10
	s_xor_b64 exec, exec, s[6:7]
	s_cbranch_execz .LBB5_434
.LBB5_2484:
	v_cmp_ne_u16_e32 vcc, 0, v6
	s_andn2_b64 s[4:5], s[4:5], exec
	s_and_b64 s[8:9], vcc, exec
	v_mov_b32_e32 v2, 0
	s_or_b64 s[4:5], s[4:5], s[8:9]
	s_or_b64 exec, exec, s[6:7]
	s_and_saveexec_b64 s[6:7], s[4:5]
	s_cbranch_execnz .LBB5_435
	s_branch .LBB5_436
.LBB5_2485:
	s_movk_i32 s4, 0x80
	v_cmp_eq_u16_e32 vcc, s4, v6
	s_mov_b64 s[4:5], -1
                                        ; implicit-def: $sgpr10
	s_and_saveexec_b64 s[8:9], vcc
; %bb.2486:
	s_mov_b32 s10, 0x7f800001
	s_xor_b64 s[4:5], exec, -1
; %bb.2487:
	s_or_b64 exec, exec, s[8:9]
	s_and_b64 s[4:5], s[4:5], exec
                                        ; implicit-def: $vgpr6
	s_or_saveexec_b64 s[6:7], s[6:7]
	v_mov_b32_e32 v10, s10
	s_xor_b64 exec, exec, s[6:7]
	s_cbranch_execz .LBB5_438
.LBB5_2488:
	v_cmp_ne_u16_e32 vcc, 0, v6
	s_andn2_b64 s[4:5], s[4:5], exec
	s_and_b64 s[8:9], vcc, exec
	v_mov_b32_e32 v10, 0
	s_or_b64 s[4:5], s[4:5], s[8:9]
	s_or_b64 exec, exec, s[6:7]
	s_and_saveexec_b64 s[6:7], s[4:5]
	s_cbranch_execnz .LBB5_439
	s_branch .LBB5_440
.LBB5_2489:
	s_movk_i32 s4, 0x80
	v_cmp_eq_u16_sdwa s[12:13], v7, s4 src0_sel:BYTE_3 src1_sel:DWORD
	s_mov_b64 s[4:5], -1
                                        ; implicit-def: $sgpr10
	s_and_saveexec_b64 s[8:9], s[12:13]
; %bb.2490:
	s_mov_b32 s10, 0x7f800001
	s_xor_b64 s[4:5], exec, -1
; %bb.2491:
	s_or_b64 exec, exec, s[8:9]
	s_and_b64 s[4:5], s[4:5], exec
	s_or_saveexec_b64 s[6:7], s[6:7]
	v_mov_b32_e32 v2, s10
	s_xor_b64 exec, exec, s[6:7]
	s_cbranch_execz .LBB5_442
.LBB5_2492:
	v_mov_b32_e32 v2, 0
	v_cmp_ne_u16_sdwa s[8:9], v7, v2 src0_sel:BYTE_3 src1_sel:DWORD
	s_andn2_b64 s[4:5], s[4:5], exec
	s_and_b64 s[8:9], s[8:9], exec
	s_or_b64 s[4:5], s[4:5], s[8:9]
	s_or_b64 exec, exec, s[6:7]
	s_and_saveexec_b64 s[6:7], s[4:5]
	s_cbranch_execnz .LBB5_443
	s_branch .LBB5_444
.LBB5_2493:
	s_movk_i32 s4, 0x80
	v_cmp_eq_u16_sdwa s[12:13], v3, s4 src0_sel:BYTE_3 src1_sel:DWORD
	s_mov_b64 s[4:5], -1
                                        ; implicit-def: $sgpr10
	s_and_saveexec_b64 s[8:9], s[12:13]
; %bb.2494:
	s_mov_b32 s10, 0x7f800001
	s_xor_b64 s[4:5], exec, -1
; %bb.2495:
	s_or_b64 exec, exec, s[8:9]
	s_and_b64 s[4:5], s[4:5], exec
	s_or_saveexec_b64 s[6:7], s[6:7]
	v_mov_b32_e32 v6, s10
	s_xor_b64 exec, exec, s[6:7]
	s_cbranch_execz .LBB5_446
.LBB5_2496:
	v_mov_b32_e32 v6, 0
	v_cmp_ne_u16_sdwa s[8:9], v3, v6 src0_sel:BYTE_3 src1_sel:DWORD
	s_andn2_b64 s[4:5], s[4:5], exec
	s_and_b64 s[8:9], s[8:9], exec
	s_or_b64 s[4:5], s[4:5], s[8:9]
	s_or_b64 exec, exec, s[6:7]
	s_and_saveexec_b64 s[6:7], s[4:5]
	s_cbranch_execnz .LBB5_447
	s_branch .LBB5_448
.LBB5_2497:
	s_movk_i32 s4, 0x80
	v_cmp_eq_u16_sdwa s[12:13], v8, s4 src0_sel:BYTE_0 src1_sel:DWORD
	s_mov_b64 s[4:5], -1
                                        ; implicit-def: $sgpr10
	s_and_saveexec_b64 s[8:9], s[12:13]
; %bb.2498:
	s_mov_b32 s10, 0x7f800001
	s_xor_b64 s[4:5], exec, -1
; %bb.2499:
	s_or_b64 exec, exec, s[8:9]
	s_and_b64 s[4:5], s[4:5], exec
	s_or_saveexec_b64 s[6:7], s[6:7]
	v_mov_b32_e32 v2, s10
	s_xor_b64 exec, exec, s[6:7]
	s_cbranch_execz .LBB5_450
.LBB5_2500:
	v_mov_b32_e32 v2, 0
	v_cmp_ne_u16_sdwa s[8:9], v8, v2 src0_sel:BYTE_0 src1_sel:DWORD
	s_andn2_b64 s[4:5], s[4:5], exec
	s_and_b64 s[8:9], s[8:9], exec
	s_or_b64 s[4:5], s[4:5], s[8:9]
	s_or_b64 exec, exec, s[6:7]
	s_and_saveexec_b64 s[6:7], s[4:5]
	s_cbranch_execnz .LBB5_451
	s_branch .LBB5_452
.LBB5_2501:
	s_movk_i32 s4, 0x80
	v_cmp_eq_u16_sdwa s[12:13], v4, s4 src0_sel:BYTE_0 src1_sel:DWORD
	s_mov_b64 s[4:5], -1
                                        ; implicit-def: $sgpr10
	s_and_saveexec_b64 s[8:9], s[12:13]
; %bb.2502:
	s_mov_b32 s10, 0x7f800001
	s_xor_b64 s[4:5], exec, -1
; %bb.2503:
	s_or_b64 exec, exec, s[8:9]
	s_and_b64 s[4:5], s[4:5], exec
	s_or_saveexec_b64 s[6:7], s[6:7]
	v_mov_b32_e32 v3, s10
	s_xor_b64 exec, exec, s[6:7]
	s_cbranch_execz .LBB5_454
.LBB5_2504:
	v_mov_b32_e32 v3, 0
	v_cmp_ne_u16_sdwa s[8:9], v4, v3 src0_sel:BYTE_0 src1_sel:DWORD
	s_andn2_b64 s[4:5], s[4:5], exec
	s_and_b64 s[8:9], s[8:9], exec
	s_or_b64 s[4:5], s[4:5], s[8:9]
	s_or_b64 exec, exec, s[6:7]
	s_and_saveexec_b64 s[6:7], s[4:5]
	s_cbranch_execnz .LBB5_455
	s_branch .LBB5_456
.LBB5_2505:
	s_movk_i32 s4, 0x80
	v_cmp_eq_u16_sdwa s[12:13], v3, s4 src0_sel:BYTE_0 src1_sel:DWORD
	s_mov_b64 s[4:5], -1
                                        ; implicit-def: $sgpr10
	s_and_saveexec_b64 s[8:9], s[12:13]
; %bb.2506:
	s_mov_b32 s10, 0x7f800001
	s_xor_b64 s[4:5], exec, -1
; %bb.2507:
	s_or_b64 exec, exec, s[8:9]
	s_and_b64 s[4:5], s[4:5], exec
	s_or_saveexec_b64 s[6:7], s[6:7]
	v_mov_b32_e32 v2, s10
	s_xor_b64 exec, exec, s[6:7]
	s_cbranch_execz .LBB5_458
.LBB5_2508:
	v_mov_b32_e32 v2, 0
	v_cmp_ne_u16_sdwa s[8:9], v3, v2 src0_sel:BYTE_0 src1_sel:DWORD
	s_andn2_b64 s[4:5], s[4:5], exec
	s_and_b64 s[8:9], s[8:9], exec
	s_or_b64 s[4:5], s[4:5], s[8:9]
	s_or_b64 exec, exec, s[6:7]
	s_and_saveexec_b64 s[6:7], s[4:5]
	s_cbranch_execnz .LBB5_459
	s_branch .LBB5_460
.LBB5_2509:
	s_movk_i32 s4, 0x80
	v_cmp_eq_u16_sdwa s[12:13], v3, s4 src0_sel:BYTE_0 src1_sel:DWORD
	s_mov_b64 s[4:5], -1
                                        ; implicit-def: $sgpr10
	s_and_saveexec_b64 s[8:9], s[12:13]
; %bb.2510:
	s_mov_b32 s10, 0x7f800001
	s_xor_b64 s[4:5], exec, -1
; %bb.2511:
	s_or_b64 exec, exec, s[8:9]
	s_and_b64 s[4:5], s[4:5], exec
	s_or_saveexec_b64 s[6:7], s[6:7]
	v_mov_b32_e32 v6, s10
	s_xor_b64 exec, exec, s[6:7]
	s_cbranch_execz .LBB5_462
.LBB5_2512:
	v_mov_b32_e32 v6, 0
	v_cmp_ne_u16_sdwa s[8:9], v3, v6 src0_sel:BYTE_0 src1_sel:DWORD
	s_andn2_b64 s[4:5], s[4:5], exec
	s_and_b64 s[8:9], s[8:9], exec
	s_or_b64 s[4:5], s[4:5], s[8:9]
	s_or_b64 exec, exec, s[6:7]
	s_and_saveexec_b64 s[6:7], s[4:5]
	s_cbranch_execnz .LBB5_463
	s_branch .LBB5_464
.LBB5_2513:
	s_movk_i32 s4, 0x80
	v_cmp_eq_u16_e32 vcc, s4, v3
	s_mov_b64 s[4:5], -1
                                        ; implicit-def: $sgpr10
	s_and_saveexec_b64 s[8:9], vcc
; %bb.2514:
	s_mov_b32 s10, 0x7f800001
	s_xor_b64 s[4:5], exec, -1
; %bb.2515:
	s_or_b64 exec, exec, s[8:9]
	s_and_b64 s[4:5], s[4:5], exec
                                        ; implicit-def: $vgpr3
	s_or_saveexec_b64 s[6:7], s[6:7]
	v_mov_b32_e32 v2, s10
	s_xor_b64 exec, exec, s[6:7]
	s_cbranch_execz .LBB5_466
.LBB5_2516:
	v_cmp_ne_u16_e32 vcc, 0, v3
	s_andn2_b64 s[4:5], s[4:5], exec
	s_and_b64 s[8:9], vcc, exec
	v_mov_b32_e32 v2, 0
	s_or_b64 s[4:5], s[4:5], s[8:9]
	s_or_b64 exec, exec, s[6:7]
	s_and_saveexec_b64 s[6:7], s[4:5]
	s_cbranch_execnz .LBB5_467
	s_branch .LBB5_468
.LBB5_2517:
	s_movk_i32 s4, 0x80
	v_cmp_eq_u16_e32 vcc, s4, v3
	s_mov_b64 s[4:5], -1
                                        ; implicit-def: $sgpr10
	s_and_saveexec_b64 s[8:9], vcc
; %bb.2518:
	s_mov_b32 s10, 0x7f800001
	s_xor_b64 s[4:5], exec, -1
; %bb.2519:
	s_or_b64 exec, exec, s[8:9]
	s_and_b64 s[4:5], s[4:5], exec
                                        ; implicit-def: $vgpr3
	s_or_saveexec_b64 s[6:7], s[6:7]
	v_mov_b32_e32 v6, s10
	s_xor_b64 exec, exec, s[6:7]
	s_cbranch_execz .LBB5_470
.LBB5_2520:
	v_cmp_ne_u16_e32 vcc, 0, v3
	s_andn2_b64 s[4:5], s[4:5], exec
	s_and_b64 s[8:9], vcc, exec
	v_mov_b32_e32 v6, 0
	s_or_b64 s[4:5], s[4:5], s[8:9]
	s_or_b64 exec, exec, s[6:7]
	s_and_saveexec_b64 s[6:7], s[4:5]
	s_cbranch_execnz .LBB5_471
	s_branch .LBB5_472
.LBB5_2521:
	s_movk_i32 s4, 0x80
	v_cmp_eq_u16_sdwa s[12:13], v8, s4 src0_sel:BYTE_3 src1_sel:DWORD
	s_mov_b64 s[4:5], -1
                                        ; implicit-def: $sgpr10
	s_and_saveexec_b64 s[8:9], s[12:13]
; %bb.2522:
	s_mov_b32 s10, 0x7f800001
	s_xor_b64 s[4:5], exec, -1
; %bb.2523:
	s_or_b64 exec, exec, s[8:9]
	s_and_b64 s[4:5], s[4:5], exec
	s_or_saveexec_b64 s[6:7], s[6:7]
	v_mov_b32_e32 v2, s10
	s_xor_b64 exec, exec, s[6:7]
	s_cbranch_execz .LBB5_474
.LBB5_2524:
	v_mov_b32_e32 v2, 0
	v_cmp_ne_u16_sdwa s[8:9], v8, v2 src0_sel:BYTE_3 src1_sel:DWORD
	s_andn2_b64 s[4:5], s[4:5], exec
	s_and_b64 s[8:9], s[8:9], exec
	s_or_b64 s[4:5], s[4:5], s[8:9]
	s_or_b64 exec, exec, s[6:7]
	s_and_saveexec_b64 s[6:7], s[4:5]
	s_cbranch_execnz .LBB5_475
	s_branch .LBB5_476
.LBB5_2525:
	s_movk_i32 s4, 0x80
	v_cmp_eq_u16_sdwa s[12:13], v4, s4 src0_sel:BYTE_3 src1_sel:DWORD
	s_mov_b64 s[4:5], -1
                                        ; implicit-def: $sgpr10
	s_and_saveexec_b64 s[8:9], s[12:13]
; %bb.2526:
	s_mov_b32 s10, 0x7f800001
	s_xor_b64 s[4:5], exec, -1
; %bb.2527:
	s_or_b64 exec, exec, s[8:9]
	s_and_b64 s[4:5], s[4:5], exec
	s_or_saveexec_b64 s[6:7], s[6:7]
	v_mov_b32_e32 v3, s10
	s_xor_b64 exec, exec, s[6:7]
	s_cbranch_execz .LBB5_478
.LBB5_2528:
	v_mov_b32_e32 v3, 0
	v_cmp_ne_u16_sdwa s[8:9], v4, v3 src0_sel:BYTE_3 src1_sel:DWORD
	s_andn2_b64 s[4:5], s[4:5], exec
	s_and_b64 s[8:9], s[8:9], exec
	s_or_b64 s[4:5], s[4:5], s[8:9]
	s_or_b64 exec, exec, s[6:7]
	s_and_saveexec_b64 s[6:7], s[4:5]
	s_cbranch_execnz .LBB5_479
	s_branch .LBB5_480
.LBB5_2529:
	s_movk_i32 s4, 0x80
	v_cmp_eq_u16_sdwa s[12:13], v9, s4 src0_sel:BYTE_0 src1_sel:DWORD
	s_mov_b64 s[4:5], -1
                                        ; implicit-def: $sgpr10
	s_and_saveexec_b64 s[8:9], s[12:13]
; %bb.2530:
	s_mov_b32 s10, 0x7f800001
	s_xor_b64 s[4:5], exec, -1
; %bb.2531:
	s_or_b64 exec, exec, s[8:9]
	s_and_b64 s[4:5], s[4:5], exec
	s_or_saveexec_b64 s[6:7], s[6:7]
	v_mov_b32_e32 v2, s10
	s_xor_b64 exec, exec, s[6:7]
	s_cbranch_execz .LBB5_482
.LBB5_2532:
	v_mov_b32_e32 v2, 0
	v_cmp_ne_u16_sdwa s[8:9], v9, v2 src0_sel:BYTE_0 src1_sel:DWORD
	s_andn2_b64 s[4:5], s[4:5], exec
	s_and_b64 s[8:9], s[8:9], exec
	s_or_b64 s[4:5], s[4:5], s[8:9]
	s_or_b64 exec, exec, s[6:7]
	s_and_saveexec_b64 s[6:7], s[4:5]
	s_cbranch_execnz .LBB5_483
	s_branch .LBB5_484
.LBB5_2533:
	s_movk_i32 s4, 0x80
	v_cmp_eq_u16_sdwa s[12:13], v5, s4 src0_sel:BYTE_0 src1_sel:DWORD
	s_mov_b64 s[4:5], -1
                                        ; implicit-def: $sgpr10
	s_and_saveexec_b64 s[8:9], s[12:13]
; %bb.2534:
	s_mov_b32 s10, 0x7f800001
	s_xor_b64 s[4:5], exec, -1
; %bb.2535:
	s_or_b64 exec, exec, s[8:9]
	s_and_b64 s[4:5], s[4:5], exec
	s_or_saveexec_b64 s[6:7], s[6:7]
	v_mov_b32_e32 v3, s10
	s_xor_b64 exec, exec, s[6:7]
	s_cbranch_execz .LBB5_486
.LBB5_2536:
	v_mov_b32_e32 v3, 0
	v_cmp_ne_u16_sdwa s[8:9], v5, v3 src0_sel:BYTE_0 src1_sel:DWORD
	s_andn2_b64 s[4:5], s[4:5], exec
	s_and_b64 s[8:9], s[8:9], exec
	s_or_b64 s[4:5], s[4:5], s[8:9]
	s_or_b64 exec, exec, s[6:7]
	s_and_saveexec_b64 s[6:7], s[4:5]
	s_cbranch_execnz .LBB5_487
	s_branch .LBB5_488
.LBB5_2537:
	s_movk_i32 s4, 0x80
	v_cmp_eq_u16_sdwa s[12:13], v3, s4 src0_sel:BYTE_0 src1_sel:DWORD
	s_mov_b64 s[4:5], -1
                                        ; implicit-def: $sgpr10
	s_and_saveexec_b64 s[8:9], s[12:13]
; %bb.2538:
	s_mov_b32 s10, 0x7f800001
	s_xor_b64 s[4:5], exec, -1
; %bb.2539:
	s_or_b64 exec, exec, s[8:9]
	s_and_b64 s[4:5], s[4:5], exec
	s_or_saveexec_b64 s[6:7], s[6:7]
	v_mov_b32_e32 v2, s10
	s_xor_b64 exec, exec, s[6:7]
	s_cbranch_execz .LBB5_490
.LBB5_2540:
	v_mov_b32_e32 v2, 0
	v_cmp_ne_u16_sdwa s[8:9], v3, v2 src0_sel:BYTE_0 src1_sel:DWORD
	s_andn2_b64 s[4:5], s[4:5], exec
	s_and_b64 s[8:9], s[8:9], exec
	s_or_b64 s[4:5], s[4:5], s[8:9]
	s_or_b64 exec, exec, s[6:7]
	s_and_saveexec_b64 s[6:7], s[4:5]
	s_cbranch_execnz .LBB5_491
	s_branch .LBB5_492
.LBB5_2541:
	s_movk_i32 s4, 0x80
	v_cmp_eq_u16_sdwa s[12:13], v3, s4 src0_sel:BYTE_0 src1_sel:DWORD
	s_mov_b64 s[4:5], -1
                                        ; implicit-def: $sgpr10
	s_and_saveexec_b64 s[8:9], s[12:13]
; %bb.2542:
	s_mov_b32 s10, 0x7f800001
	s_xor_b64 s[4:5], exec, -1
; %bb.2543:
	s_or_b64 exec, exec, s[8:9]
	s_and_b64 s[4:5], s[4:5], exec
	s_or_saveexec_b64 s[6:7], s[6:7]
	v_mov_b32_e32 v4, s10
	s_xor_b64 exec, exec, s[6:7]
	s_cbranch_execz .LBB5_494
.LBB5_2544:
	v_mov_b32_e32 v4, 0
	v_cmp_ne_u16_sdwa s[8:9], v3, v4 src0_sel:BYTE_0 src1_sel:DWORD
	s_andn2_b64 s[4:5], s[4:5], exec
	s_and_b64 s[8:9], s[8:9], exec
	s_or_b64 s[4:5], s[4:5], s[8:9]
	s_or_b64 exec, exec, s[6:7]
	s_and_saveexec_b64 s[6:7], s[4:5]
	s_cbranch_execnz .LBB5_495
	s_branch .LBB5_496
.LBB5_2545:
	s_movk_i32 s4, 0x80
	v_cmp_eq_u16_e32 vcc, s4, v3
	s_mov_b64 s[4:5], -1
                                        ; implicit-def: $sgpr10
	s_and_saveexec_b64 s[8:9], vcc
; %bb.2546:
	s_mov_b32 s10, 0x7f800001
	s_xor_b64 s[4:5], exec, -1
; %bb.2547:
	s_or_b64 exec, exec, s[8:9]
	s_and_b64 s[4:5], s[4:5], exec
                                        ; implicit-def: $vgpr3
	s_or_saveexec_b64 s[6:7], s[6:7]
	v_mov_b32_e32 v2, s10
	s_xor_b64 exec, exec, s[6:7]
	s_cbranch_execz .LBB5_498
.LBB5_2548:
	v_cmp_ne_u16_e32 vcc, 0, v3
	s_andn2_b64 s[4:5], s[4:5], exec
	s_and_b64 s[8:9], vcc, exec
	v_mov_b32_e32 v2, 0
	s_or_b64 s[4:5], s[4:5], s[8:9]
	s_or_b64 exec, exec, s[6:7]
	s_and_saveexec_b64 s[6:7], s[4:5]
	s_cbranch_execnz .LBB5_499
	s_branch .LBB5_500
.LBB5_2549:
	s_movk_i32 s4, 0x80
	v_cmp_eq_u16_e32 vcc, s4, v3
	s_mov_b64 s[4:5], -1
                                        ; implicit-def: $sgpr10
	s_and_saveexec_b64 s[8:9], vcc
; %bb.2550:
	s_mov_b32 s10, 0x7f800001
	s_xor_b64 s[4:5], exec, -1
; %bb.2551:
	s_or_b64 exec, exec, s[8:9]
	s_and_b64 s[4:5], s[4:5], exec
                                        ; implicit-def: $vgpr3
	s_or_saveexec_b64 s[6:7], s[6:7]
	v_mov_b32_e32 v4, s10
	s_xor_b64 exec, exec, s[6:7]
	s_cbranch_execz .LBB5_502
.LBB5_2552:
	v_cmp_ne_u16_e32 vcc, 0, v3
	s_andn2_b64 s[4:5], s[4:5], exec
	s_and_b64 s[8:9], vcc, exec
	v_mov_b32_e32 v4, 0
	s_or_b64 s[4:5], s[4:5], s[8:9]
	s_or_b64 exec, exec, s[6:7]
	s_and_saveexec_b64 s[6:7], s[4:5]
	s_cbranch_execnz .LBB5_503
	s_branch .LBB5_504
.LBB5_2553:
	s_movk_i32 s4, 0x80
	v_cmp_eq_u16_sdwa s[12:13], v9, s4 src0_sel:BYTE_3 src1_sel:DWORD
	s_mov_b64 s[4:5], -1
                                        ; implicit-def: $sgpr10
	s_and_saveexec_b64 s[8:9], s[12:13]
; %bb.2554:
	s_mov_b32 s10, 0x7f800001
	s_xor_b64 s[4:5], exec, -1
; %bb.2555:
	s_or_b64 exec, exec, s[8:9]
	s_and_b64 s[4:5], s[4:5], exec
	s_or_saveexec_b64 s[6:7], s[6:7]
	v_mov_b32_e32 v2, s10
	s_xor_b64 exec, exec, s[6:7]
	s_cbranch_execz .LBB5_506
.LBB5_2556:
	v_mov_b32_e32 v2, 0
	v_cmp_ne_u16_sdwa s[8:9], v9, v2 src0_sel:BYTE_3 src1_sel:DWORD
	s_andn2_b64 s[4:5], s[4:5], exec
	s_and_b64 s[8:9], s[8:9], exec
	s_or_b64 s[4:5], s[4:5], s[8:9]
	s_or_b64 exec, exec, s[6:7]
	s_and_saveexec_b64 s[6:7], s[4:5]
	s_cbranch_execnz .LBB5_507
	s_branch .LBB5_508
.LBB5_2557:
	s_movk_i32 s4, 0x80
	v_cmp_eq_u16_sdwa s[12:13], v5, s4 src0_sel:BYTE_3 src1_sel:DWORD
	s_mov_b64 s[4:5], -1
                                        ; implicit-def: $sgpr10
	s_and_saveexec_b64 s[8:9], s[12:13]
; %bb.2558:
	s_mov_b32 s10, 0x7f800001
	s_xor_b64 s[4:5], exec, -1
; %bb.2559:
	s_or_b64 exec, exec, s[8:9]
	s_and_b64 s[4:5], s[4:5], exec
	s_or_saveexec_b64 s[6:7], s[6:7]
	v_mov_b32_e32 v3, s10
	s_xor_b64 exec, exec, s[6:7]
	s_cbranch_execz .LBB5_510
.LBB5_2560:
	v_mov_b32_e32 v3, 0
	v_cmp_ne_u16_sdwa s[8:9], v5, v3 src0_sel:BYTE_3 src1_sel:DWORD
	s_andn2_b64 s[4:5], s[4:5], exec
	s_and_b64 s[8:9], s[8:9], exec
	s_or_b64 s[4:5], s[4:5], s[8:9]
	s_or_b64 exec, exec, s[6:7]
	s_and_saveexec_b64 s[6:7], s[4:5]
	s_cbranch_execnz .LBB5_511
	s_branch .LBB5_512
.LBB5_2561:
	s_movk_i32 s4, 0x80
	v_cmp_eq_u16_sdwa s[12:13], v14, s4 src0_sel:BYTE_0 src1_sel:DWORD
	s_mov_b64 s[4:5], -1
                                        ; implicit-def: $sgpr10
	s_and_saveexec_b64 s[8:9], s[12:13]
; %bb.2562:
	s_mov_b32 s10, 0x7f800001
	s_xor_b64 s[4:5], exec, -1
; %bb.2563:
	s_or_b64 exec, exec, s[8:9]
	s_and_b64 s[4:5], s[4:5], exec
	s_or_saveexec_b64 s[6:7], s[6:7]
	v_mov_b32_e32 v20, s10
	s_xor_b64 exec, exec, s[6:7]
	s_cbranch_execz .LBB5_514
.LBB5_2564:
	v_mov_b32_e32 v20, 0
	v_cmp_ne_u16_sdwa s[8:9], v14, v20 src0_sel:BYTE_0 src1_sel:DWORD
	s_andn2_b64 s[4:5], s[4:5], exec
	s_and_b64 s[8:9], s[8:9], exec
	s_or_b64 s[4:5], s[4:5], s[8:9]
	s_or_b64 exec, exec, s[6:7]
	s_and_saveexec_b64 s[6:7], s[4:5]
	s_cbranch_execnz .LBB5_515
	s_branch .LBB5_516
.LBB5_2565:
	s_movk_i32 s4, 0x80
	v_cmp_eq_u16_sdwa s[12:13], v10, s4 src0_sel:BYTE_0 src1_sel:DWORD
	s_mov_b64 s[4:5], -1
                                        ; implicit-def: $sgpr10
	s_and_saveexec_b64 s[8:9], s[12:13]
; %bb.2566:
	s_mov_b32 s10, 0x7f800001
	s_xor_b64 s[4:5], exec, -1
; %bb.2567:
	s_or_b64 exec, exec, s[8:9]
	s_and_b64 s[4:5], s[4:5], exec
	s_or_saveexec_b64 s[6:7], s[6:7]
	v_mov_b32_e32 v21, s10
	s_xor_b64 exec, exec, s[6:7]
	s_cbranch_execz .LBB5_518
.LBB5_2568:
	v_mov_b32_e32 v21, 0
	v_cmp_ne_u16_sdwa s[8:9], v10, v21 src0_sel:BYTE_0 src1_sel:DWORD
	s_andn2_b64 s[4:5], s[4:5], exec
	s_and_b64 s[8:9], s[8:9], exec
	s_or_b64 s[4:5], s[4:5], s[8:9]
	s_or_b64 exec, exec, s[6:7]
	s_and_saveexec_b64 s[6:7], s[4:5]
	s_cbranch_execnz .LBB5_519
	s_branch .LBB5_520
.LBB5_2569:
	s_movk_i32 s4, 0x80
	v_cmp_eq_u16_sdwa s[12:13], v21, s4 src0_sel:BYTE_0 src1_sel:DWORD
	s_mov_b64 s[4:5], -1
                                        ; implicit-def: $sgpr10
	s_and_saveexec_b64 s[8:9], s[12:13]
; %bb.2570:
	s_mov_b32 s10, 0x7f800001
	s_xor_b64 s[4:5], exec, -1
; %bb.2571:
	s_or_b64 exec, exec, s[8:9]
	s_and_b64 s[4:5], s[4:5], exec
	s_or_saveexec_b64 s[6:7], s[6:7]
	v_mov_b32_e32 v20, s10
	s_xor_b64 exec, exec, s[6:7]
	s_cbranch_execz .LBB5_522
.LBB5_2572:
	v_mov_b32_e32 v20, 0
	v_cmp_ne_u16_sdwa s[8:9], v21, v20 src0_sel:BYTE_0 src1_sel:DWORD
	s_andn2_b64 s[4:5], s[4:5], exec
	s_and_b64 s[8:9], s[8:9], exec
	s_or_b64 s[4:5], s[4:5], s[8:9]
	s_or_b64 exec, exec, s[6:7]
	s_and_saveexec_b64 s[6:7], s[4:5]
	s_cbranch_execnz .LBB5_523
	s_branch .LBB5_524
.LBB5_2573:
	s_movk_i32 s4, 0x80
	v_cmp_eq_u16_sdwa s[12:13], v21, s4 src0_sel:BYTE_0 src1_sel:DWORD
	s_mov_b64 s[4:5], -1
                                        ; implicit-def: $sgpr10
	s_and_saveexec_b64 s[8:9], s[12:13]
; %bb.2574:
	s_mov_b32 s10, 0x7f800001
	s_xor_b64 s[4:5], exec, -1
; %bb.2575:
	s_or_b64 exec, exec, s[8:9]
	s_and_b64 s[4:5], s[4:5], exec
	s_or_saveexec_b64 s[6:7], s[6:7]
	v_mov_b32_e32 v22, s10
	s_xor_b64 exec, exec, s[6:7]
	s_cbranch_execz .LBB5_526
.LBB5_2576:
	v_mov_b32_e32 v22, 0
	v_cmp_ne_u16_sdwa s[8:9], v21, v22 src0_sel:BYTE_0 src1_sel:DWORD
	s_andn2_b64 s[4:5], s[4:5], exec
	s_and_b64 s[8:9], s[8:9], exec
	s_or_b64 s[4:5], s[4:5], s[8:9]
	s_or_b64 exec, exec, s[6:7]
	s_and_saveexec_b64 s[6:7], s[4:5]
	s_cbranch_execnz .LBB5_527
	s_branch .LBB5_528
.LBB5_2577:
	s_movk_i32 s4, 0x80
	v_cmp_eq_u16_e32 vcc, s4, v21
	s_mov_b64 s[4:5], -1
                                        ; implicit-def: $sgpr10
	s_and_saveexec_b64 s[8:9], vcc
; %bb.2578:
	s_mov_b32 s10, 0x7f800001
	s_xor_b64 s[4:5], exec, -1
; %bb.2579:
	s_or_b64 exec, exec, s[8:9]
	s_and_b64 s[4:5], s[4:5], exec
                                        ; implicit-def: $vgpr21
	s_or_saveexec_b64 s[6:7], s[6:7]
	v_mov_b32_e32 v20, s10
	s_xor_b64 exec, exec, s[6:7]
	s_cbranch_execz .LBB5_530
.LBB5_2580:
	v_cmp_ne_u16_e32 vcc, 0, v21
	s_andn2_b64 s[4:5], s[4:5], exec
	s_and_b64 s[8:9], vcc, exec
	v_mov_b32_e32 v20, 0
	s_or_b64 s[4:5], s[4:5], s[8:9]
	s_or_b64 exec, exec, s[6:7]
	s_and_saveexec_b64 s[6:7], s[4:5]
	s_cbranch_execnz .LBB5_531
	s_branch .LBB5_532
.LBB5_2581:
	s_movk_i32 s4, 0x80
	v_cmp_eq_u16_e32 vcc, s4, v21
	s_mov_b64 s[4:5], -1
                                        ; implicit-def: $sgpr10
	s_and_saveexec_b64 s[8:9], vcc
; %bb.2582:
	s_mov_b32 s10, 0x7f800001
	s_xor_b64 s[4:5], exec, -1
; %bb.2583:
	s_or_b64 exec, exec, s[8:9]
	s_and_b64 s[4:5], s[4:5], exec
                                        ; implicit-def: $vgpr21
	s_or_saveexec_b64 s[6:7], s[6:7]
	v_mov_b32_e32 v22, s10
	s_xor_b64 exec, exec, s[6:7]
	s_cbranch_execz .LBB5_534
.LBB5_2584:
	v_cmp_ne_u16_e32 vcc, 0, v21
	s_andn2_b64 s[4:5], s[4:5], exec
	s_and_b64 s[8:9], vcc, exec
	v_mov_b32_e32 v22, 0
	s_or_b64 s[4:5], s[4:5], s[8:9]
	s_or_b64 exec, exec, s[6:7]
	s_and_saveexec_b64 s[6:7], s[4:5]
	s_cbranch_execnz .LBB5_535
	s_branch .LBB5_536
.LBB5_2585:
	s_movk_i32 s4, 0x80
	v_cmp_eq_u16_sdwa s[12:13], v14, s4 src0_sel:BYTE_3 src1_sel:DWORD
	s_mov_b64 s[4:5], -1
                                        ; implicit-def: $sgpr10
	s_and_saveexec_b64 s[8:9], s[12:13]
; %bb.2586:
	s_mov_b32 s10, 0x7f800001
	s_xor_b64 s[4:5], exec, -1
; %bb.2587:
	s_or_b64 exec, exec, s[8:9]
	s_and_b64 s[4:5], s[4:5], exec
	s_or_saveexec_b64 s[6:7], s[6:7]
	v_mov_b32_e32 v20, s10
	s_xor_b64 exec, exec, s[6:7]
	s_cbranch_execz .LBB5_538
.LBB5_2588:
	v_mov_b32_e32 v20, 0
	v_cmp_ne_u16_sdwa s[8:9], v14, v20 src0_sel:BYTE_3 src1_sel:DWORD
	s_andn2_b64 s[4:5], s[4:5], exec
	s_and_b64 s[8:9], s[8:9], exec
	s_or_b64 s[4:5], s[4:5], s[8:9]
	s_or_b64 exec, exec, s[6:7]
	s_and_saveexec_b64 s[6:7], s[4:5]
	s_cbranch_execnz .LBB5_539
	s_branch .LBB5_540
.LBB5_2589:
	s_movk_i32 s4, 0x80
	v_cmp_eq_u16_sdwa s[12:13], v10, s4 src0_sel:BYTE_3 src1_sel:DWORD
	s_mov_b64 s[4:5], -1
                                        ; implicit-def: $sgpr10
	s_and_saveexec_b64 s[8:9], s[12:13]
; %bb.2590:
	s_mov_b32 s10, 0x7f800001
	s_xor_b64 s[4:5], exec, -1
; %bb.2591:
	s_or_b64 exec, exec, s[8:9]
	s_and_b64 s[4:5], s[4:5], exec
	s_or_saveexec_b64 s[6:7], s[6:7]
	v_mov_b32_e32 v14, s10
	s_xor_b64 exec, exec, s[6:7]
	s_cbranch_execz .LBB5_542
.LBB5_2592:
	v_mov_b32_e32 v14, 0
	v_cmp_ne_u16_sdwa s[8:9], v10, v14 src0_sel:BYTE_3 src1_sel:DWORD
	s_andn2_b64 s[4:5], s[4:5], exec
	s_and_b64 s[8:9], s[8:9], exec
	s_or_b64 s[4:5], s[4:5], s[8:9]
	s_or_b64 exec, exec, s[6:7]
	s_and_saveexec_b64 s[6:7], s[4:5]
	s_cbranch_execnz .LBB5_543
	s_branch .LBB5_544
.LBB5_2593:
	s_movk_i32 s4, 0x80
	v_cmp_eq_u16_sdwa s[12:13], v15, s4 src0_sel:BYTE_0 src1_sel:DWORD
	s_mov_b64 s[4:5], -1
                                        ; implicit-def: $sgpr10
	s_and_saveexec_b64 s[8:9], s[12:13]
; %bb.2594:
	s_mov_b32 s10, 0x7f800001
	s_xor_b64 s[4:5], exec, -1
; %bb.2595:
	s_or_b64 exec, exec, s[8:9]
	s_and_b64 s[4:5], s[4:5], exec
	s_or_saveexec_b64 s[6:7], s[6:7]
	v_mov_b32_e32 v10, s10
	s_xor_b64 exec, exec, s[6:7]
	s_cbranch_execz .LBB5_546
.LBB5_2596:
	v_mov_b32_e32 v10, 0
	v_cmp_ne_u16_sdwa s[8:9], v15, v10 src0_sel:BYTE_0 src1_sel:DWORD
	s_andn2_b64 s[4:5], s[4:5], exec
	s_and_b64 s[8:9], s[8:9], exec
	s_or_b64 s[4:5], s[4:5], s[8:9]
	s_or_b64 exec, exec, s[6:7]
	s_and_saveexec_b64 s[6:7], s[4:5]
	s_cbranch_execnz .LBB5_547
	s_branch .LBB5_548
.LBB5_2597:
	s_movk_i32 s4, 0x80
	v_cmp_eq_u16_sdwa s[12:13], v11, s4 src0_sel:BYTE_0 src1_sel:DWORD
	s_mov_b64 s[4:5], -1
                                        ; implicit-def: $sgpr10
	s_and_saveexec_b64 s[8:9], s[12:13]
; %bb.2598:
	s_mov_b32 s10, 0x7f800001
	s_xor_b64 s[4:5], exec, -1
; %bb.2599:
	s_or_b64 exec, exec, s[8:9]
	s_and_b64 s[4:5], s[4:5], exec
	s_or_saveexec_b64 s[6:7], s[6:7]
	v_mov_b32_e32 v14, s10
	s_xor_b64 exec, exec, s[6:7]
	s_cbranch_execz .LBB5_550
.LBB5_2600:
	v_mov_b32_e32 v14, 0
	v_cmp_ne_u16_sdwa s[8:9], v11, v14 src0_sel:BYTE_0 src1_sel:DWORD
	s_andn2_b64 s[4:5], s[4:5], exec
	s_and_b64 s[8:9], s[8:9], exec
	s_or_b64 s[4:5], s[4:5], s[8:9]
	s_or_b64 exec, exec, s[6:7]
	s_and_saveexec_b64 s[6:7], s[4:5]
	s_cbranch_execnz .LBB5_551
	s_branch .LBB5_552
.LBB5_2601:
	s_movk_i32 s4, 0x80
	v_cmp_eq_u16_sdwa s[12:13], v14, s4 src0_sel:BYTE_0 src1_sel:DWORD
	s_mov_b64 s[4:5], -1
                                        ; implicit-def: $sgpr10
	s_and_saveexec_b64 s[8:9], s[12:13]
; %bb.2602:
	s_mov_b32 s10, 0x7f800001
	s_xor_b64 s[4:5], exec, -1
; %bb.2603:
	s_or_b64 exec, exec, s[8:9]
	s_and_b64 s[4:5], s[4:5], exec
	s_or_saveexec_b64 s[6:7], s[6:7]
	v_mov_b32_e32 v10, s10
	s_xor_b64 exec, exec, s[6:7]
	s_cbranch_execz .LBB5_554
.LBB5_2604:
	v_mov_b32_e32 v10, 0
	v_cmp_ne_u16_sdwa s[8:9], v14, v10 src0_sel:BYTE_0 src1_sel:DWORD
	s_andn2_b64 s[4:5], s[4:5], exec
	s_and_b64 s[8:9], s[8:9], exec
	s_or_b64 s[4:5], s[4:5], s[8:9]
	s_or_b64 exec, exec, s[6:7]
	s_and_saveexec_b64 s[6:7], s[4:5]
	s_cbranch_execnz .LBB5_555
	s_branch .LBB5_556
.LBB5_2605:
	s_movk_i32 s4, 0x80
	v_cmp_eq_u16_sdwa s[12:13], v14, s4 src0_sel:BYTE_0 src1_sel:DWORD
	s_mov_b64 s[4:5], -1
                                        ; implicit-def: $sgpr10
	s_and_saveexec_b64 s[8:9], s[12:13]
; %bb.2606:
	s_mov_b32 s10, 0x7f800001
	s_xor_b64 s[4:5], exec, -1
; %bb.2607:
	s_or_b64 exec, exec, s[8:9]
	s_and_b64 s[4:5], s[4:5], exec
	s_or_saveexec_b64 s[6:7], s[6:7]
	v_mov_b32_e32 v20, s10
	s_xor_b64 exec, exec, s[6:7]
	s_cbranch_execz .LBB5_558
.LBB5_2608:
	v_mov_b32_e32 v20, 0
	v_cmp_ne_u16_sdwa s[8:9], v14, v20 src0_sel:BYTE_0 src1_sel:DWORD
	s_andn2_b64 s[4:5], s[4:5], exec
	s_and_b64 s[8:9], s[8:9], exec
	s_or_b64 s[4:5], s[4:5], s[8:9]
	s_or_b64 exec, exec, s[6:7]
	s_and_saveexec_b64 s[6:7], s[4:5]
	s_cbranch_execnz .LBB5_559
	s_branch .LBB5_560
.LBB5_2609:
	s_movk_i32 s4, 0x80
	v_cmp_eq_u16_e32 vcc, s4, v14
	s_mov_b64 s[4:5], -1
                                        ; implicit-def: $sgpr10
	s_and_saveexec_b64 s[8:9], vcc
; %bb.2610:
	s_mov_b32 s10, 0x7f800001
	s_xor_b64 s[4:5], exec, -1
; %bb.2611:
	s_or_b64 exec, exec, s[8:9]
	s_and_b64 s[4:5], s[4:5], exec
                                        ; implicit-def: $vgpr14
	s_or_saveexec_b64 s[6:7], s[6:7]
	v_mov_b32_e32 v10, s10
	s_xor_b64 exec, exec, s[6:7]
	s_cbranch_execz .LBB5_562
.LBB5_2612:
	v_cmp_ne_u16_e32 vcc, 0, v14
	s_andn2_b64 s[4:5], s[4:5], exec
	s_and_b64 s[8:9], vcc, exec
	v_mov_b32_e32 v10, 0
	s_or_b64 s[4:5], s[4:5], s[8:9]
	s_or_b64 exec, exec, s[6:7]
	s_and_saveexec_b64 s[6:7], s[4:5]
	s_cbranch_execnz .LBB5_563
	s_branch .LBB5_564
.LBB5_2613:
	s_movk_i32 s4, 0x80
	v_cmp_eq_u16_e32 vcc, s4, v14
	s_mov_b64 s[4:5], -1
                                        ; implicit-def: $sgpr10
	s_and_saveexec_b64 s[8:9], vcc
; %bb.2614:
	s_mov_b32 s10, 0x7f800001
	s_xor_b64 s[4:5], exec, -1
; %bb.2615:
	s_or_b64 exec, exec, s[8:9]
	s_and_b64 s[4:5], s[4:5], exec
                                        ; implicit-def: $vgpr14
	s_or_saveexec_b64 s[6:7], s[6:7]
	v_mov_b32_e32 v20, s10
	s_xor_b64 exec, exec, s[6:7]
	s_cbranch_execz .LBB5_566
.LBB5_2616:
	v_cmp_ne_u16_e32 vcc, 0, v14
	s_andn2_b64 s[4:5], s[4:5], exec
	s_and_b64 s[8:9], vcc, exec
	v_mov_b32_e32 v20, 0
	s_or_b64 s[4:5], s[4:5], s[8:9]
	s_or_b64 exec, exec, s[6:7]
	s_and_saveexec_b64 s[6:7], s[4:5]
	s_cbranch_execnz .LBB5_567
	s_branch .LBB5_568
.LBB5_2617:
	s_movk_i32 s4, 0x80
	v_cmp_eq_u16_sdwa s[12:13], v15, s4 src0_sel:BYTE_3 src1_sel:DWORD
	s_mov_b64 s[4:5], -1
                                        ; implicit-def: $sgpr10
	s_and_saveexec_b64 s[8:9], s[12:13]
; %bb.2618:
	s_mov_b32 s10, 0x7f800001
	s_xor_b64 s[4:5], exec, -1
; %bb.2619:
	s_or_b64 exec, exec, s[8:9]
	s_and_b64 s[4:5], s[4:5], exec
	s_or_saveexec_b64 s[6:7], s[6:7]
	v_mov_b32_e32 v10, s10
	s_xor_b64 exec, exec, s[6:7]
	s_cbranch_execz .LBB5_570
.LBB5_2620:
	v_mov_b32_e32 v10, 0
	v_cmp_ne_u16_sdwa s[8:9], v15, v10 src0_sel:BYTE_3 src1_sel:DWORD
	s_andn2_b64 s[4:5], s[4:5], exec
	s_and_b64 s[8:9], s[8:9], exec
	s_or_b64 s[4:5], s[4:5], s[8:9]
	s_or_b64 exec, exec, s[6:7]
	s_and_saveexec_b64 s[6:7], s[4:5]
	s_cbranch_execnz .LBB5_571
	s_branch .LBB5_572
.LBB5_2621:
	s_movk_i32 s4, 0x80
	v_cmp_eq_u16_sdwa s[12:13], v11, s4 src0_sel:BYTE_3 src1_sel:DWORD
	s_mov_b64 s[4:5], -1
                                        ; implicit-def: $sgpr10
	s_and_saveexec_b64 s[8:9], s[12:13]
; %bb.2622:
	s_mov_b32 s10, 0x7f800001
	s_xor_b64 s[4:5], exec, -1
; %bb.2623:
	s_or_b64 exec, exec, s[8:9]
	s_and_b64 s[4:5], s[4:5], exec
	s_or_saveexec_b64 s[6:7], s[6:7]
	v_mov_b32_e32 v14, s10
	s_xor_b64 exec, exec, s[6:7]
	s_cbranch_execz .LBB5_574
.LBB5_2624:
	v_mov_b32_e32 v14, 0
	v_cmp_ne_u16_sdwa s[8:9], v11, v14 src0_sel:BYTE_3 src1_sel:DWORD
	s_andn2_b64 s[4:5], s[4:5], exec
	s_and_b64 s[8:9], s[8:9], exec
	s_or_b64 s[4:5], s[4:5], s[8:9]
	s_or_b64 exec, exec, s[6:7]
	s_and_saveexec_b64 s[6:7], s[4:5]
	s_cbranch_execnz .LBB5_575
	s_branch .LBB5_576
.LBB5_2625:
	s_movk_i32 s4, 0x80
	v_cmp_eq_u16_sdwa s[12:13], v16, s4 src0_sel:BYTE_0 src1_sel:DWORD
	s_mov_b64 s[4:5], -1
                                        ; implicit-def: $sgpr10
	s_and_saveexec_b64 s[8:9], s[12:13]
; %bb.2626:
	s_mov_b32 s10, 0x7f800001
	s_xor_b64 s[4:5], exec, -1
; %bb.2627:
	s_or_b64 exec, exec, s[8:9]
	s_and_b64 s[4:5], s[4:5], exec
	s_or_saveexec_b64 s[6:7], s[6:7]
	v_mov_b32_e32 v10, s10
	s_xor_b64 exec, exec, s[6:7]
	s_cbranch_execz .LBB5_578
.LBB5_2628:
	v_mov_b32_e32 v10, 0
	v_cmp_ne_u16_sdwa s[8:9], v16, v10 src0_sel:BYTE_0 src1_sel:DWORD
	s_andn2_b64 s[4:5], s[4:5], exec
	s_and_b64 s[8:9], s[8:9], exec
	s_or_b64 s[4:5], s[4:5], s[8:9]
	s_or_b64 exec, exec, s[6:7]
	s_and_saveexec_b64 s[6:7], s[4:5]
	s_cbranch_execnz .LBB5_579
	s_branch .LBB5_580
.LBB5_2629:
	s_movk_i32 s4, 0x80
	v_cmp_eq_u16_sdwa s[12:13], v12, s4 src0_sel:BYTE_0 src1_sel:DWORD
	s_mov_b64 s[4:5], -1
                                        ; implicit-def: $sgpr10
	s_and_saveexec_b64 s[8:9], s[12:13]
; %bb.2630:
	s_mov_b32 s10, 0x7f800001
	s_xor_b64 s[4:5], exec, -1
; %bb.2631:
	s_or_b64 exec, exec, s[8:9]
	s_and_b64 s[4:5], s[4:5], exec
	s_or_saveexec_b64 s[6:7], s[6:7]
	v_mov_b32_e32 v11, s10
	s_xor_b64 exec, exec, s[6:7]
	s_cbranch_execz .LBB5_582
.LBB5_2632:
	v_mov_b32_e32 v11, 0
	v_cmp_ne_u16_sdwa s[8:9], v12, v11 src0_sel:BYTE_0 src1_sel:DWORD
	s_andn2_b64 s[4:5], s[4:5], exec
	s_and_b64 s[8:9], s[8:9], exec
	s_or_b64 s[4:5], s[4:5], s[8:9]
	s_or_b64 exec, exec, s[6:7]
	s_and_saveexec_b64 s[6:7], s[4:5]
	s_cbranch_execnz .LBB5_583
	s_branch .LBB5_584
.LBB5_2633:
	s_movk_i32 s4, 0x80
	v_cmp_eq_u16_sdwa s[12:13], v11, s4 src0_sel:BYTE_0 src1_sel:DWORD
	s_mov_b64 s[4:5], -1
                                        ; implicit-def: $sgpr10
	s_and_saveexec_b64 s[8:9], s[12:13]
; %bb.2634:
	s_mov_b32 s10, 0x7f800001
	s_xor_b64 s[4:5], exec, -1
; %bb.2635:
	s_or_b64 exec, exec, s[8:9]
	s_and_b64 s[4:5], s[4:5], exec
	s_or_saveexec_b64 s[6:7], s[6:7]
	v_mov_b32_e32 v10, s10
	s_xor_b64 exec, exec, s[6:7]
	s_cbranch_execz .LBB5_586
.LBB5_2636:
	v_mov_b32_e32 v10, 0
	v_cmp_ne_u16_sdwa s[8:9], v11, v10 src0_sel:BYTE_0 src1_sel:DWORD
	s_andn2_b64 s[4:5], s[4:5], exec
	s_and_b64 s[8:9], s[8:9], exec
	s_or_b64 s[4:5], s[4:5], s[8:9]
	s_or_b64 exec, exec, s[6:7]
	s_and_saveexec_b64 s[6:7], s[4:5]
	s_cbranch_execnz .LBB5_587
	s_branch .LBB5_588
.LBB5_2637:
	s_movk_i32 s4, 0x80
	v_cmp_eq_u16_sdwa s[12:13], v11, s4 src0_sel:BYTE_0 src1_sel:DWORD
	s_mov_b64 s[4:5], -1
                                        ; implicit-def: $sgpr10
	s_and_saveexec_b64 s[8:9], s[12:13]
; %bb.2638:
	s_mov_b32 s10, 0x7f800001
	s_xor_b64 s[4:5], exec, -1
; %bb.2639:
	s_or_b64 exec, exec, s[8:9]
	s_and_b64 s[4:5], s[4:5], exec
	s_or_saveexec_b64 s[6:7], s[6:7]
	v_mov_b32_e32 v14, s10
	s_xor_b64 exec, exec, s[6:7]
	s_cbranch_execz .LBB5_590
.LBB5_2640:
	v_mov_b32_e32 v14, 0
	v_cmp_ne_u16_sdwa s[8:9], v11, v14 src0_sel:BYTE_0 src1_sel:DWORD
	s_andn2_b64 s[4:5], s[4:5], exec
	s_and_b64 s[8:9], s[8:9], exec
	s_or_b64 s[4:5], s[4:5], s[8:9]
	s_or_b64 exec, exec, s[6:7]
	s_and_saveexec_b64 s[6:7], s[4:5]
	s_cbranch_execnz .LBB5_591
	s_branch .LBB5_592
.LBB5_2641:
	s_movk_i32 s4, 0x80
	v_cmp_eq_u16_e32 vcc, s4, v11
	s_mov_b64 s[4:5], -1
                                        ; implicit-def: $sgpr10
	s_and_saveexec_b64 s[8:9], vcc
; %bb.2642:
	s_mov_b32 s10, 0x7f800001
	s_xor_b64 s[4:5], exec, -1
; %bb.2643:
	s_or_b64 exec, exec, s[8:9]
	s_and_b64 s[4:5], s[4:5], exec
                                        ; implicit-def: $vgpr11
	s_or_saveexec_b64 s[6:7], s[6:7]
	v_mov_b32_e32 v10, s10
	s_xor_b64 exec, exec, s[6:7]
	s_cbranch_execz .LBB5_594
.LBB5_2644:
	v_cmp_ne_u16_e32 vcc, 0, v11
	s_andn2_b64 s[4:5], s[4:5], exec
	s_and_b64 s[8:9], vcc, exec
	v_mov_b32_e32 v10, 0
	s_or_b64 s[4:5], s[4:5], s[8:9]
	s_or_b64 exec, exec, s[6:7]
	s_and_saveexec_b64 s[6:7], s[4:5]
	s_cbranch_execnz .LBB5_595
	s_branch .LBB5_596
.LBB5_2645:
	s_movk_i32 s4, 0x80
	v_cmp_eq_u16_e32 vcc, s4, v11
	s_mov_b64 s[4:5], -1
                                        ; implicit-def: $sgpr10
	s_and_saveexec_b64 s[8:9], vcc
; %bb.2646:
	s_mov_b32 s10, 0x7f800001
	s_xor_b64 s[4:5], exec, -1
; %bb.2647:
	s_or_b64 exec, exec, s[8:9]
	s_and_b64 s[4:5], s[4:5], exec
                                        ; implicit-def: $vgpr11
	s_or_saveexec_b64 s[6:7], s[6:7]
	v_mov_b32_e32 v14, s10
	s_xor_b64 exec, exec, s[6:7]
	s_cbranch_execz .LBB5_598
.LBB5_2648:
	v_cmp_ne_u16_e32 vcc, 0, v11
	s_andn2_b64 s[4:5], s[4:5], exec
	s_and_b64 s[8:9], vcc, exec
	v_mov_b32_e32 v14, 0
	s_or_b64 s[4:5], s[4:5], s[8:9]
	s_or_b64 exec, exec, s[6:7]
	s_and_saveexec_b64 s[6:7], s[4:5]
	s_cbranch_execnz .LBB5_599
	s_branch .LBB5_600
.LBB5_2649:
	s_movk_i32 s4, 0x80
	v_cmp_eq_u16_sdwa s[12:13], v16, s4 src0_sel:BYTE_3 src1_sel:DWORD
	s_mov_b64 s[4:5], -1
                                        ; implicit-def: $sgpr10
	s_and_saveexec_b64 s[8:9], s[12:13]
; %bb.2650:
	s_mov_b32 s10, 0x7f800001
	s_xor_b64 s[4:5], exec, -1
; %bb.2651:
	s_or_b64 exec, exec, s[8:9]
	s_and_b64 s[4:5], s[4:5], exec
	s_or_saveexec_b64 s[6:7], s[6:7]
	v_mov_b32_e32 v10, s10
	s_xor_b64 exec, exec, s[6:7]
	s_cbranch_execz .LBB5_602
.LBB5_2652:
	v_mov_b32_e32 v10, 0
	v_cmp_ne_u16_sdwa s[8:9], v16, v10 src0_sel:BYTE_3 src1_sel:DWORD
	s_andn2_b64 s[4:5], s[4:5], exec
	s_and_b64 s[8:9], s[8:9], exec
	s_or_b64 s[4:5], s[4:5], s[8:9]
	s_or_b64 exec, exec, s[6:7]
	s_and_saveexec_b64 s[6:7], s[4:5]
	s_cbranch_execnz .LBB5_603
	s_branch .LBB5_604
.LBB5_2653:
	s_movk_i32 s4, 0x80
	v_cmp_eq_u16_sdwa s[12:13], v12, s4 src0_sel:BYTE_3 src1_sel:DWORD
	s_mov_b64 s[4:5], -1
                                        ; implicit-def: $sgpr10
	s_and_saveexec_b64 s[8:9], s[12:13]
; %bb.2654:
	s_mov_b32 s10, 0x7f800001
	s_xor_b64 s[4:5], exec, -1
; %bb.2655:
	s_or_b64 exec, exec, s[8:9]
	s_and_b64 s[4:5], s[4:5], exec
	s_or_saveexec_b64 s[6:7], s[6:7]
	v_mov_b32_e32 v11, s10
	s_xor_b64 exec, exec, s[6:7]
	s_cbranch_execz .LBB5_606
.LBB5_2656:
	v_mov_b32_e32 v11, 0
	v_cmp_ne_u16_sdwa s[8:9], v12, v11 src0_sel:BYTE_3 src1_sel:DWORD
	s_andn2_b64 s[4:5], s[4:5], exec
	s_and_b64 s[8:9], s[8:9], exec
	s_or_b64 s[4:5], s[4:5], s[8:9]
	s_or_b64 exec, exec, s[6:7]
	s_and_saveexec_b64 s[6:7], s[4:5]
	s_cbranch_execnz .LBB5_607
	s_branch .LBB5_608
.LBB5_2657:
	s_movk_i32 s4, 0x80
	v_cmp_eq_u16_sdwa s[12:13], v17, s4 src0_sel:BYTE_0 src1_sel:DWORD
	s_mov_b64 s[4:5], -1
                                        ; implicit-def: $sgpr10
	s_and_saveexec_b64 s[8:9], s[12:13]
; %bb.2658:
	s_mov_b32 s10, 0x7f800001
	s_xor_b64 s[4:5], exec, -1
; %bb.2659:
	s_or_b64 exec, exec, s[8:9]
	s_and_b64 s[4:5], s[4:5], exec
	s_or_saveexec_b64 s[6:7], s[6:7]
	v_mov_b32_e32 v10, s10
	s_xor_b64 exec, exec, s[6:7]
	s_cbranch_execz .LBB5_610
.LBB5_2660:
	v_mov_b32_e32 v10, 0
	v_cmp_ne_u16_sdwa s[8:9], v17, v10 src0_sel:BYTE_0 src1_sel:DWORD
	s_andn2_b64 s[4:5], s[4:5], exec
	s_and_b64 s[8:9], s[8:9], exec
	s_or_b64 s[4:5], s[4:5], s[8:9]
	s_or_b64 exec, exec, s[6:7]
	s_and_saveexec_b64 s[6:7], s[4:5]
	s_cbranch_execnz .LBB5_611
	s_branch .LBB5_612
.LBB5_2661:
	s_movk_i32 s4, 0x80
	v_cmp_eq_u16_sdwa s[12:13], v13, s4 src0_sel:BYTE_0 src1_sel:DWORD
	s_mov_b64 s[4:5], -1
                                        ; implicit-def: $sgpr10
	s_and_saveexec_b64 s[8:9], s[12:13]
; %bb.2662:
	s_mov_b32 s10, 0x7f800001
	s_xor_b64 s[4:5], exec, -1
; %bb.2663:
	s_or_b64 exec, exec, s[8:9]
	s_and_b64 s[4:5], s[4:5], exec
	s_or_saveexec_b64 s[6:7], s[6:7]
	v_mov_b32_e32 v11, s10
	s_xor_b64 exec, exec, s[6:7]
	s_cbranch_execz .LBB5_614
.LBB5_2664:
	v_mov_b32_e32 v11, 0
	v_cmp_ne_u16_sdwa s[8:9], v13, v11 src0_sel:BYTE_0 src1_sel:DWORD
	s_andn2_b64 s[4:5], s[4:5], exec
	s_and_b64 s[8:9], s[8:9], exec
	s_or_b64 s[4:5], s[4:5], s[8:9]
	s_or_b64 exec, exec, s[6:7]
	s_and_saveexec_b64 s[6:7], s[4:5]
	s_cbranch_execnz .LBB5_615
	s_branch .LBB5_616
.LBB5_2665:
	s_movk_i32 s4, 0x80
	v_cmp_eq_u16_sdwa s[12:13], v11, s4 src0_sel:BYTE_0 src1_sel:DWORD
	s_mov_b64 s[4:5], -1
                                        ; implicit-def: $sgpr10
	s_and_saveexec_b64 s[8:9], s[12:13]
; %bb.2666:
	s_mov_b32 s10, 0x7f800001
	s_xor_b64 s[4:5], exec, -1
; %bb.2667:
	s_or_b64 exec, exec, s[8:9]
	s_and_b64 s[4:5], s[4:5], exec
	s_or_saveexec_b64 s[6:7], s[6:7]
	v_mov_b32_e32 v10, s10
	s_xor_b64 exec, exec, s[6:7]
	s_cbranch_execz .LBB5_618
.LBB5_2668:
	v_mov_b32_e32 v10, 0
	v_cmp_ne_u16_sdwa s[8:9], v11, v10 src0_sel:BYTE_0 src1_sel:DWORD
	s_andn2_b64 s[4:5], s[4:5], exec
	s_and_b64 s[8:9], s[8:9], exec
	s_or_b64 s[4:5], s[4:5], s[8:9]
	s_or_b64 exec, exec, s[6:7]
	s_and_saveexec_b64 s[6:7], s[4:5]
	s_cbranch_execnz .LBB5_619
	s_branch .LBB5_620
.LBB5_2669:
	s_movk_i32 s4, 0x80
	v_cmp_eq_u16_sdwa s[12:13], v11, s4 src0_sel:BYTE_0 src1_sel:DWORD
	s_mov_b64 s[4:5], -1
                                        ; implicit-def: $sgpr10
	s_and_saveexec_b64 s[8:9], s[12:13]
; %bb.2670:
	s_mov_b32 s10, 0x7f800001
	s_xor_b64 s[4:5], exec, -1
; %bb.2671:
	s_or_b64 exec, exec, s[8:9]
	s_and_b64 s[4:5], s[4:5], exec
	s_or_saveexec_b64 s[6:7], s[6:7]
	v_mov_b32_e32 v12, s10
	s_xor_b64 exec, exec, s[6:7]
	s_cbranch_execz .LBB5_622
.LBB5_2672:
	v_mov_b32_e32 v12, 0
	v_cmp_ne_u16_sdwa s[8:9], v11, v12 src0_sel:BYTE_0 src1_sel:DWORD
	s_andn2_b64 s[4:5], s[4:5], exec
	s_and_b64 s[8:9], s[8:9], exec
	s_or_b64 s[4:5], s[4:5], s[8:9]
	s_or_b64 exec, exec, s[6:7]
	s_and_saveexec_b64 s[6:7], s[4:5]
	s_cbranch_execnz .LBB5_623
	s_branch .LBB5_624
.LBB5_2673:
	s_movk_i32 s4, 0x80
	v_cmp_eq_u16_e32 vcc, s4, v11
	s_mov_b64 s[4:5], -1
                                        ; implicit-def: $sgpr10
	s_and_saveexec_b64 s[8:9], vcc
; %bb.2674:
	s_mov_b32 s10, 0x7f800001
	s_xor_b64 s[4:5], exec, -1
; %bb.2675:
	s_or_b64 exec, exec, s[8:9]
	s_and_b64 s[4:5], s[4:5], exec
                                        ; implicit-def: $vgpr11
	s_or_saveexec_b64 s[6:7], s[6:7]
	v_mov_b32_e32 v10, s10
	s_xor_b64 exec, exec, s[6:7]
	s_cbranch_execz .LBB5_626
.LBB5_2676:
	v_cmp_ne_u16_e32 vcc, 0, v11
	s_andn2_b64 s[4:5], s[4:5], exec
	s_and_b64 s[8:9], vcc, exec
	v_mov_b32_e32 v10, 0
	s_or_b64 s[4:5], s[4:5], s[8:9]
	s_or_b64 exec, exec, s[6:7]
	s_and_saveexec_b64 s[6:7], s[4:5]
	s_cbranch_execnz .LBB5_627
	s_branch .LBB5_628
.LBB5_2677:
	s_movk_i32 s4, 0x80
	v_cmp_eq_u16_e32 vcc, s4, v11
	s_mov_b64 s[4:5], -1
                                        ; implicit-def: $sgpr10
	s_and_saveexec_b64 s[8:9], vcc
; %bb.2678:
	s_mov_b32 s10, 0x7f800001
	s_xor_b64 s[4:5], exec, -1
; %bb.2679:
	s_or_b64 exec, exec, s[8:9]
	s_and_b64 s[4:5], s[4:5], exec
                                        ; implicit-def: $vgpr11
	s_or_saveexec_b64 s[6:7], s[6:7]
	v_mov_b32_e32 v12, s10
	s_xor_b64 exec, exec, s[6:7]
	s_cbranch_execz .LBB5_630
.LBB5_2680:
	v_cmp_ne_u16_e32 vcc, 0, v11
	s_andn2_b64 s[4:5], s[4:5], exec
	s_and_b64 s[8:9], vcc, exec
	v_mov_b32_e32 v12, 0
	s_or_b64 s[4:5], s[4:5], s[8:9]
	s_or_b64 exec, exec, s[6:7]
	s_and_saveexec_b64 s[6:7], s[4:5]
	s_cbranch_execnz .LBB5_631
	s_branch .LBB5_632
.LBB5_2681:
	s_movk_i32 s4, 0x80
	v_cmp_eq_u16_sdwa s[12:13], v17, s4 src0_sel:BYTE_3 src1_sel:DWORD
	s_mov_b64 s[4:5], -1
                                        ; implicit-def: $sgpr10
	s_and_saveexec_b64 s[8:9], s[12:13]
; %bb.2682:
	s_mov_b32 s10, 0x7f800001
	s_xor_b64 s[4:5], exec, -1
; %bb.2683:
	s_or_b64 exec, exec, s[8:9]
	s_and_b64 s[4:5], s[4:5], exec
	s_or_saveexec_b64 s[6:7], s[6:7]
	v_mov_b32_e32 v10, s10
	s_xor_b64 exec, exec, s[6:7]
	s_cbranch_execz .LBB5_634
.LBB5_2684:
	v_mov_b32_e32 v10, 0
	v_cmp_ne_u16_sdwa s[8:9], v17, v10 src0_sel:BYTE_3 src1_sel:DWORD
	s_andn2_b64 s[4:5], s[4:5], exec
	s_and_b64 s[8:9], s[8:9], exec
	s_or_b64 s[4:5], s[4:5], s[8:9]
	s_or_b64 exec, exec, s[6:7]
	s_and_saveexec_b64 s[6:7], s[4:5]
	s_cbranch_execnz .LBB5_635
	s_branch .LBB5_636
.LBB5_2685:
	s_movk_i32 s4, 0x80
	v_cmp_eq_u16_sdwa s[12:13], v13, s4 src0_sel:BYTE_3 src1_sel:DWORD
	s_mov_b64 s[4:5], -1
                                        ; implicit-def: $sgpr10
	s_and_saveexec_b64 s[8:9], s[12:13]
; %bb.2686:
	s_mov_b32 s10, 0x7f800001
	s_xor_b64 s[4:5], exec, -1
; %bb.2687:
	s_or_b64 exec, exec, s[8:9]
	s_and_b64 s[4:5], s[4:5], exec
	s_or_saveexec_b64 s[6:7], s[6:7]
	v_mov_b32_e32 v11, s10
	s_xor_b64 exec, exec, s[6:7]
	s_cbranch_execz .LBB5_638
.LBB5_2688:
	v_mov_b32_e32 v11, 0
	v_cmp_ne_u16_sdwa s[8:9], v13, v11 src0_sel:BYTE_3 src1_sel:DWORD
	s_andn2_b64 s[4:5], s[4:5], exec
	s_and_b64 s[8:9], s[8:9], exec
	s_or_b64 s[4:5], s[4:5], s[8:9]
	s_or_b64 exec, exec, s[6:7]
	s_and_saveexec_b64 s[6:7], s[4:5]
	s_cbranch_execnz .LBB5_639
	s_branch .LBB5_640
.LBB5_2689:
	s_movk_i32 s4, 0x80
	v_cmp_eq_u16_sdwa s[12:13], v6, s4 src0_sel:BYTE_0 src1_sel:DWORD
	s_mov_b64 s[4:5], -1
                                        ; implicit-def: $sgpr10
	s_and_saveexec_b64 s[8:9], s[12:13]
; %bb.2690:
	s_mov_b32 s10, 0x7f800001
	s_xor_b64 s[4:5], exec, -1
; %bb.2691:
	s_or_b64 exec, exec, s[8:9]
	s_and_b64 s[4:5], s[4:5], exec
	s_or_saveexec_b64 s[6:7], s[6:7]
	v_mov_b32_e32 v10, s10
	s_xor_b64 exec, exec, s[6:7]
	s_cbranch_execz .LBB5_642
.LBB5_2692:
	v_mov_b32_e32 v10, 0
	v_cmp_ne_u16_sdwa s[8:9], v6, v10 src0_sel:BYTE_0 src1_sel:DWORD
	s_andn2_b64 s[4:5], s[4:5], exec
	s_and_b64 s[8:9], s[8:9], exec
	s_or_b64 s[4:5], s[4:5], s[8:9]
	s_or_b64 exec, exec, s[6:7]
	s_and_saveexec_b64 s[6:7], s[4:5]
	s_cbranch_execnz .LBB5_643
	s_branch .LBB5_644
.LBB5_2693:
	s_movk_i32 s4, 0x80
	v_cmp_eq_u16_sdwa s[12:13], v2, s4 src0_sel:BYTE_0 src1_sel:DWORD
	s_mov_b64 s[4:5], -1
                                        ; implicit-def: $sgpr10
	s_and_saveexec_b64 s[8:9], s[12:13]
; %bb.2694:
	s_mov_b32 s10, 0x7f800001
	s_xor_b64 s[4:5], exec, -1
; %bb.2695:
	s_or_b64 exec, exec, s[8:9]
	s_and_b64 s[4:5], s[4:5], exec
	s_or_saveexec_b64 s[6:7], s[6:7]
	v_mov_b32_e32 v11, s10
	s_xor_b64 exec, exec, s[6:7]
	s_cbranch_execz .LBB5_646
.LBB5_2696:
	v_mov_b32_e32 v11, 0
	v_cmp_ne_u16_sdwa s[8:9], v2, v11 src0_sel:BYTE_0 src1_sel:DWORD
	s_andn2_b64 s[4:5], s[4:5], exec
	s_and_b64 s[8:9], s[8:9], exec
	s_or_b64 s[4:5], s[4:5], s[8:9]
	s_or_b64 exec, exec, s[6:7]
	s_and_saveexec_b64 s[6:7], s[4:5]
	s_cbranch_execnz .LBB5_647
	s_branch .LBB5_648
.LBB5_2697:
	s_movk_i32 s4, 0x80
	v_cmp_eq_u16_sdwa s[12:13], v11, s4 src0_sel:BYTE_0 src1_sel:DWORD
	s_mov_b64 s[4:5], -1
                                        ; implicit-def: $sgpr10
	s_and_saveexec_b64 s[8:9], s[12:13]
; %bb.2698:
	s_mov_b32 s10, 0x7f800001
	s_xor_b64 s[4:5], exec, -1
; %bb.2699:
	s_or_b64 exec, exec, s[8:9]
	s_and_b64 s[4:5], s[4:5], exec
	s_or_saveexec_b64 s[6:7], s[6:7]
	v_mov_b32_e32 v10, s10
	s_xor_b64 exec, exec, s[6:7]
	s_cbranch_execz .LBB5_650
.LBB5_2700:
	v_mov_b32_e32 v10, 0
	v_cmp_ne_u16_sdwa s[8:9], v11, v10 src0_sel:BYTE_0 src1_sel:DWORD
	s_andn2_b64 s[4:5], s[4:5], exec
	s_and_b64 s[8:9], s[8:9], exec
	s_or_b64 s[4:5], s[4:5], s[8:9]
	s_or_b64 exec, exec, s[6:7]
	s_and_saveexec_b64 s[6:7], s[4:5]
	s_cbranch_execnz .LBB5_651
	s_branch .LBB5_652
.LBB5_2701:
	s_movk_i32 s4, 0x80
	v_cmp_eq_u16_sdwa s[12:13], v11, s4 src0_sel:BYTE_0 src1_sel:DWORD
	s_mov_b64 s[4:5], -1
                                        ; implicit-def: $sgpr10
	s_and_saveexec_b64 s[8:9], s[12:13]
; %bb.2702:
	s_mov_b32 s10, 0x7f800001
	s_xor_b64 s[4:5], exec, -1
; %bb.2703:
	s_or_b64 exec, exec, s[8:9]
	s_and_b64 s[4:5], s[4:5], exec
	s_or_saveexec_b64 s[6:7], s[6:7]
	v_mov_b32_e32 v12, s10
	s_xor_b64 exec, exec, s[6:7]
	s_cbranch_execz .LBB5_654
.LBB5_2704:
	v_mov_b32_e32 v12, 0
	v_cmp_ne_u16_sdwa s[8:9], v11, v12 src0_sel:BYTE_0 src1_sel:DWORD
	s_andn2_b64 s[4:5], s[4:5], exec
	s_and_b64 s[8:9], s[8:9], exec
	s_or_b64 s[4:5], s[4:5], s[8:9]
	s_or_b64 exec, exec, s[6:7]
	s_and_saveexec_b64 s[6:7], s[4:5]
	s_cbranch_execnz .LBB5_655
	s_branch .LBB5_656
.LBB5_2705:
	s_movk_i32 s4, 0x80
	v_cmp_eq_u16_e32 vcc, s4, v11
	s_mov_b64 s[4:5], -1
                                        ; implicit-def: $sgpr10
	s_and_saveexec_b64 s[8:9], vcc
; %bb.2706:
	s_mov_b32 s10, 0x7f800001
	s_xor_b64 s[4:5], exec, -1
; %bb.2707:
	s_or_b64 exec, exec, s[8:9]
	s_and_b64 s[4:5], s[4:5], exec
                                        ; implicit-def: $vgpr11
	s_or_saveexec_b64 s[6:7], s[6:7]
	v_mov_b32_e32 v10, s10
	s_xor_b64 exec, exec, s[6:7]
	s_cbranch_execz .LBB5_658
.LBB5_2708:
	v_cmp_ne_u16_e32 vcc, 0, v11
	s_andn2_b64 s[4:5], s[4:5], exec
	s_and_b64 s[8:9], vcc, exec
	v_mov_b32_e32 v10, 0
	s_or_b64 s[4:5], s[4:5], s[8:9]
	s_or_b64 exec, exec, s[6:7]
	s_and_saveexec_b64 s[6:7], s[4:5]
	s_cbranch_execnz .LBB5_659
	s_branch .LBB5_660
.LBB5_2709:
	s_movk_i32 s4, 0x80
	v_cmp_eq_u16_e32 vcc, s4, v11
	s_mov_b64 s[4:5], -1
                                        ; implicit-def: $sgpr10
	s_and_saveexec_b64 s[8:9], vcc
; %bb.2710:
	s_mov_b32 s10, 0x7f800001
	s_xor_b64 s[4:5], exec, -1
; %bb.2711:
	s_or_b64 exec, exec, s[8:9]
	s_and_b64 s[4:5], s[4:5], exec
                                        ; implicit-def: $vgpr11
	s_or_saveexec_b64 s[6:7], s[6:7]
	v_mov_b32_e32 v12, s10
	s_xor_b64 exec, exec, s[6:7]
	s_cbranch_execz .LBB5_662
.LBB5_2712:
	v_cmp_ne_u16_e32 vcc, 0, v11
	s_andn2_b64 s[4:5], s[4:5], exec
	s_and_b64 s[8:9], vcc, exec
	v_mov_b32_e32 v12, 0
	s_or_b64 s[4:5], s[4:5], s[8:9]
	s_or_b64 exec, exec, s[6:7]
	s_and_saveexec_b64 s[6:7], s[4:5]
	s_cbranch_execnz .LBB5_663
	s_branch .LBB5_664
.LBB5_2713:
	s_movk_i32 s4, 0x80
	v_cmp_eq_u16_sdwa s[12:13], v6, s4 src0_sel:BYTE_3 src1_sel:DWORD
	s_mov_b64 s[4:5], -1
                                        ; implicit-def: $sgpr10
	s_and_saveexec_b64 s[8:9], s[12:13]
; %bb.2714:
	s_mov_b32 s10, 0x7f800001
	s_xor_b64 s[4:5], exec, -1
; %bb.2715:
	s_or_b64 exec, exec, s[8:9]
	s_and_b64 s[4:5], s[4:5], exec
	s_or_saveexec_b64 s[6:7], s[6:7]
	v_mov_b32_e32 v10, s10
	s_xor_b64 exec, exec, s[6:7]
	s_cbranch_execz .LBB5_666
.LBB5_2716:
	v_mov_b32_e32 v10, 0
	v_cmp_ne_u16_sdwa s[8:9], v6, v10 src0_sel:BYTE_3 src1_sel:DWORD
	s_andn2_b64 s[4:5], s[4:5], exec
	s_and_b64 s[8:9], s[8:9], exec
	s_or_b64 s[4:5], s[4:5], s[8:9]
	s_or_b64 exec, exec, s[6:7]
	s_and_saveexec_b64 s[6:7], s[4:5]
	s_cbranch_execnz .LBB5_667
	s_branch .LBB5_668
.LBB5_2717:
	s_movk_i32 s4, 0x80
	v_cmp_eq_u16_sdwa s[12:13], v2, s4 src0_sel:BYTE_3 src1_sel:DWORD
	s_mov_b64 s[4:5], -1
                                        ; implicit-def: $sgpr10
	s_and_saveexec_b64 s[8:9], s[12:13]
; %bb.2718:
	s_mov_b32 s10, 0x7f800001
	s_xor_b64 s[4:5], exec, -1
; %bb.2719:
	s_or_b64 exec, exec, s[8:9]
	s_and_b64 s[4:5], s[4:5], exec
	s_or_saveexec_b64 s[6:7], s[6:7]
	v_mov_b32_e32 v6, s10
	s_xor_b64 exec, exec, s[6:7]
	s_cbranch_execz .LBB5_670
.LBB5_2720:
	v_mov_b32_e32 v6, 0
	v_cmp_ne_u16_sdwa s[8:9], v2, v6 src0_sel:BYTE_3 src1_sel:DWORD
	s_andn2_b64 s[4:5], s[4:5], exec
	s_and_b64 s[8:9], s[8:9], exec
	s_or_b64 s[4:5], s[4:5], s[8:9]
	s_or_b64 exec, exec, s[6:7]
	s_and_saveexec_b64 s[6:7], s[4:5]
	s_cbranch_execnz .LBB5_671
	s_branch .LBB5_672
.LBB5_2721:
	s_movk_i32 s4, 0x80
	v_cmp_eq_u16_sdwa s[12:13], v7, s4 src0_sel:BYTE_0 src1_sel:DWORD
	s_mov_b64 s[4:5], -1
                                        ; implicit-def: $sgpr10
	s_and_saveexec_b64 s[8:9], s[12:13]
; %bb.2722:
	s_mov_b32 s10, 0x7f800001
	s_xor_b64 s[4:5], exec, -1
; %bb.2723:
	s_or_b64 exec, exec, s[8:9]
	s_and_b64 s[4:5], s[4:5], exec
	s_or_saveexec_b64 s[6:7], s[6:7]
	v_mov_b32_e32 v2, s10
	s_xor_b64 exec, exec, s[6:7]
	s_cbranch_execz .LBB5_674
.LBB5_2724:
	v_mov_b32_e32 v2, 0
	v_cmp_ne_u16_sdwa s[8:9], v7, v2 src0_sel:BYTE_0 src1_sel:DWORD
	s_andn2_b64 s[4:5], s[4:5], exec
	s_and_b64 s[8:9], s[8:9], exec
	s_or_b64 s[4:5], s[4:5], s[8:9]
	s_or_b64 exec, exec, s[6:7]
	s_and_saveexec_b64 s[6:7], s[4:5]
	s_cbranch_execnz .LBB5_675
	s_branch .LBB5_676
.LBB5_2725:
	s_movk_i32 s4, 0x80
	v_cmp_eq_u16_sdwa s[12:13], v3, s4 src0_sel:BYTE_0 src1_sel:DWORD
	s_mov_b64 s[4:5], -1
                                        ; implicit-def: $sgpr10
	s_and_saveexec_b64 s[8:9], s[12:13]
; %bb.2726:
	s_mov_b32 s10, 0x7f800001
	s_xor_b64 s[4:5], exec, -1
; %bb.2727:
	s_or_b64 exec, exec, s[8:9]
	s_and_b64 s[4:5], s[4:5], exec
	s_or_saveexec_b64 s[6:7], s[6:7]
	v_mov_b32_e32 v6, s10
	s_xor_b64 exec, exec, s[6:7]
	s_cbranch_execz .LBB5_678
.LBB5_2728:
	v_mov_b32_e32 v6, 0
	v_cmp_ne_u16_sdwa s[8:9], v3, v6 src0_sel:BYTE_0 src1_sel:DWORD
	s_andn2_b64 s[4:5], s[4:5], exec
	s_and_b64 s[8:9], s[8:9], exec
	s_or_b64 s[4:5], s[4:5], s[8:9]
	s_or_b64 exec, exec, s[6:7]
	s_and_saveexec_b64 s[6:7], s[4:5]
	s_cbranch_execnz .LBB5_679
	s_branch .LBB5_680
.LBB5_2729:
	s_movk_i32 s4, 0x80
	v_cmp_eq_u16_sdwa s[12:13], v6, s4 src0_sel:BYTE_0 src1_sel:DWORD
	s_mov_b64 s[4:5], -1
                                        ; implicit-def: $sgpr10
	s_and_saveexec_b64 s[8:9], s[12:13]
; %bb.2730:
	s_mov_b32 s10, 0x7f800001
	s_xor_b64 s[4:5], exec, -1
; %bb.2731:
	s_or_b64 exec, exec, s[8:9]
	s_and_b64 s[4:5], s[4:5], exec
	s_or_saveexec_b64 s[6:7], s[6:7]
	v_mov_b32_e32 v2, s10
	s_xor_b64 exec, exec, s[6:7]
	s_cbranch_execz .LBB5_682
.LBB5_2732:
	v_mov_b32_e32 v2, 0
	v_cmp_ne_u16_sdwa s[8:9], v6, v2 src0_sel:BYTE_0 src1_sel:DWORD
	s_andn2_b64 s[4:5], s[4:5], exec
	s_and_b64 s[8:9], s[8:9], exec
	s_or_b64 s[4:5], s[4:5], s[8:9]
	s_or_b64 exec, exec, s[6:7]
	s_and_saveexec_b64 s[6:7], s[4:5]
	s_cbranch_execnz .LBB5_683
	s_branch .LBB5_684
.LBB5_2733:
	s_movk_i32 s4, 0x80
	v_cmp_eq_u16_sdwa s[12:13], v6, s4 src0_sel:BYTE_0 src1_sel:DWORD
	s_mov_b64 s[4:5], -1
                                        ; implicit-def: $sgpr10
	s_and_saveexec_b64 s[8:9], s[12:13]
; %bb.2734:
	s_mov_b32 s10, 0x7f800001
	s_xor_b64 s[4:5], exec, -1
; %bb.2735:
	s_or_b64 exec, exec, s[8:9]
	s_and_b64 s[4:5], s[4:5], exec
	s_or_saveexec_b64 s[6:7], s[6:7]
	v_mov_b32_e32 v10, s10
	s_xor_b64 exec, exec, s[6:7]
	s_cbranch_execz .LBB5_686
.LBB5_2736:
	v_mov_b32_e32 v10, 0
	v_cmp_ne_u16_sdwa s[8:9], v6, v10 src0_sel:BYTE_0 src1_sel:DWORD
	s_andn2_b64 s[4:5], s[4:5], exec
	s_and_b64 s[8:9], s[8:9], exec
	s_or_b64 s[4:5], s[4:5], s[8:9]
	s_or_b64 exec, exec, s[6:7]
	s_and_saveexec_b64 s[6:7], s[4:5]
	s_cbranch_execnz .LBB5_687
	s_branch .LBB5_688
.LBB5_2737:
	s_movk_i32 s4, 0x80
	v_cmp_eq_u16_e32 vcc, s4, v6
	s_mov_b64 s[4:5], -1
                                        ; implicit-def: $sgpr10
	s_and_saveexec_b64 s[8:9], vcc
; %bb.2738:
	s_mov_b32 s10, 0x7f800001
	s_xor_b64 s[4:5], exec, -1
; %bb.2739:
	s_or_b64 exec, exec, s[8:9]
	s_and_b64 s[4:5], s[4:5], exec
                                        ; implicit-def: $vgpr6
	s_or_saveexec_b64 s[6:7], s[6:7]
	v_mov_b32_e32 v2, s10
	s_xor_b64 exec, exec, s[6:7]
	s_cbranch_execz .LBB5_690
.LBB5_2740:
	v_cmp_ne_u16_e32 vcc, 0, v6
	s_andn2_b64 s[4:5], s[4:5], exec
	s_and_b64 s[8:9], vcc, exec
	v_mov_b32_e32 v2, 0
	s_or_b64 s[4:5], s[4:5], s[8:9]
	s_or_b64 exec, exec, s[6:7]
	s_and_saveexec_b64 s[6:7], s[4:5]
	s_cbranch_execnz .LBB5_691
	s_branch .LBB5_692
.LBB5_2741:
	s_movk_i32 s4, 0x80
	v_cmp_eq_u16_e32 vcc, s4, v6
	s_mov_b64 s[4:5], -1
                                        ; implicit-def: $sgpr10
	s_and_saveexec_b64 s[8:9], vcc
; %bb.2742:
	s_mov_b32 s10, 0x7f800001
	s_xor_b64 s[4:5], exec, -1
; %bb.2743:
	s_or_b64 exec, exec, s[8:9]
	s_and_b64 s[4:5], s[4:5], exec
                                        ; implicit-def: $vgpr6
	s_or_saveexec_b64 s[6:7], s[6:7]
	v_mov_b32_e32 v10, s10
	s_xor_b64 exec, exec, s[6:7]
	s_cbranch_execz .LBB5_694
.LBB5_2744:
	v_cmp_ne_u16_e32 vcc, 0, v6
	s_andn2_b64 s[4:5], s[4:5], exec
	s_and_b64 s[8:9], vcc, exec
	v_mov_b32_e32 v10, 0
	s_or_b64 s[4:5], s[4:5], s[8:9]
	s_or_b64 exec, exec, s[6:7]
	s_and_saveexec_b64 s[6:7], s[4:5]
	s_cbranch_execnz .LBB5_695
	s_branch .LBB5_696
.LBB5_2745:
	s_movk_i32 s4, 0x80
	v_cmp_eq_u16_sdwa s[12:13], v7, s4 src0_sel:BYTE_3 src1_sel:DWORD
	s_mov_b64 s[4:5], -1
                                        ; implicit-def: $sgpr10
	s_and_saveexec_b64 s[8:9], s[12:13]
; %bb.2746:
	s_mov_b32 s10, 0x7f800001
	s_xor_b64 s[4:5], exec, -1
; %bb.2747:
	s_or_b64 exec, exec, s[8:9]
	s_and_b64 s[4:5], s[4:5], exec
	s_or_saveexec_b64 s[6:7], s[6:7]
	v_mov_b32_e32 v2, s10
	s_xor_b64 exec, exec, s[6:7]
	s_cbranch_execz .LBB5_698
.LBB5_2748:
	v_mov_b32_e32 v2, 0
	v_cmp_ne_u16_sdwa s[8:9], v7, v2 src0_sel:BYTE_3 src1_sel:DWORD
	s_andn2_b64 s[4:5], s[4:5], exec
	s_and_b64 s[8:9], s[8:9], exec
	s_or_b64 s[4:5], s[4:5], s[8:9]
	s_or_b64 exec, exec, s[6:7]
	s_and_saveexec_b64 s[6:7], s[4:5]
	s_cbranch_execnz .LBB5_699
	s_branch .LBB5_700
.LBB5_2749:
	s_movk_i32 s4, 0x80
	v_cmp_eq_u16_sdwa s[12:13], v3, s4 src0_sel:BYTE_3 src1_sel:DWORD
	s_mov_b64 s[4:5], -1
                                        ; implicit-def: $sgpr10
	s_and_saveexec_b64 s[8:9], s[12:13]
; %bb.2750:
	s_mov_b32 s10, 0x7f800001
	s_xor_b64 s[4:5], exec, -1
; %bb.2751:
	s_or_b64 exec, exec, s[8:9]
	s_and_b64 s[4:5], s[4:5], exec
	s_or_saveexec_b64 s[6:7], s[6:7]
	v_mov_b32_e32 v6, s10
	s_xor_b64 exec, exec, s[6:7]
	s_cbranch_execz .LBB5_702
.LBB5_2752:
	v_mov_b32_e32 v6, 0
	v_cmp_ne_u16_sdwa s[8:9], v3, v6 src0_sel:BYTE_3 src1_sel:DWORD
	s_andn2_b64 s[4:5], s[4:5], exec
	s_and_b64 s[8:9], s[8:9], exec
	s_or_b64 s[4:5], s[4:5], s[8:9]
	s_or_b64 exec, exec, s[6:7]
	s_and_saveexec_b64 s[6:7], s[4:5]
	s_cbranch_execnz .LBB5_703
	s_branch .LBB5_704
.LBB5_2753:
	s_movk_i32 s4, 0x80
	v_cmp_eq_u16_sdwa s[12:13], v8, s4 src0_sel:BYTE_0 src1_sel:DWORD
	s_mov_b64 s[4:5], -1
                                        ; implicit-def: $sgpr10
	s_and_saveexec_b64 s[8:9], s[12:13]
; %bb.2754:
	s_mov_b32 s10, 0x7f800001
	s_xor_b64 s[4:5], exec, -1
; %bb.2755:
	s_or_b64 exec, exec, s[8:9]
	s_and_b64 s[4:5], s[4:5], exec
	s_or_saveexec_b64 s[6:7], s[6:7]
	v_mov_b32_e32 v2, s10
	s_xor_b64 exec, exec, s[6:7]
	s_cbranch_execz .LBB5_706
.LBB5_2756:
	v_mov_b32_e32 v2, 0
	v_cmp_ne_u16_sdwa s[8:9], v8, v2 src0_sel:BYTE_0 src1_sel:DWORD
	s_andn2_b64 s[4:5], s[4:5], exec
	s_and_b64 s[8:9], s[8:9], exec
	s_or_b64 s[4:5], s[4:5], s[8:9]
	s_or_b64 exec, exec, s[6:7]
	s_and_saveexec_b64 s[6:7], s[4:5]
	s_cbranch_execnz .LBB5_707
	s_branch .LBB5_708
.LBB5_2757:
	s_movk_i32 s4, 0x80
	v_cmp_eq_u16_sdwa s[12:13], v4, s4 src0_sel:BYTE_0 src1_sel:DWORD
	s_mov_b64 s[4:5], -1
                                        ; implicit-def: $sgpr10
	s_and_saveexec_b64 s[8:9], s[12:13]
; %bb.2758:
	s_mov_b32 s10, 0x7f800001
	s_xor_b64 s[4:5], exec, -1
; %bb.2759:
	s_or_b64 exec, exec, s[8:9]
	s_and_b64 s[4:5], s[4:5], exec
	s_or_saveexec_b64 s[6:7], s[6:7]
	v_mov_b32_e32 v3, s10
	s_xor_b64 exec, exec, s[6:7]
	s_cbranch_execz .LBB5_710
.LBB5_2760:
	v_mov_b32_e32 v3, 0
	v_cmp_ne_u16_sdwa s[8:9], v4, v3 src0_sel:BYTE_0 src1_sel:DWORD
	s_andn2_b64 s[4:5], s[4:5], exec
	s_and_b64 s[8:9], s[8:9], exec
	s_or_b64 s[4:5], s[4:5], s[8:9]
	s_or_b64 exec, exec, s[6:7]
	s_and_saveexec_b64 s[6:7], s[4:5]
	s_cbranch_execnz .LBB5_711
	s_branch .LBB5_712
.LBB5_2761:
	s_movk_i32 s4, 0x80
	v_cmp_eq_u16_sdwa s[12:13], v3, s4 src0_sel:BYTE_0 src1_sel:DWORD
	s_mov_b64 s[4:5], -1
                                        ; implicit-def: $sgpr10
	s_and_saveexec_b64 s[8:9], s[12:13]
; %bb.2762:
	s_mov_b32 s10, 0x7f800001
	s_xor_b64 s[4:5], exec, -1
; %bb.2763:
	s_or_b64 exec, exec, s[8:9]
	s_and_b64 s[4:5], s[4:5], exec
	s_or_saveexec_b64 s[6:7], s[6:7]
	v_mov_b32_e32 v2, s10
	s_xor_b64 exec, exec, s[6:7]
	s_cbranch_execz .LBB5_714
.LBB5_2764:
	v_mov_b32_e32 v2, 0
	v_cmp_ne_u16_sdwa s[8:9], v3, v2 src0_sel:BYTE_0 src1_sel:DWORD
	s_andn2_b64 s[4:5], s[4:5], exec
	s_and_b64 s[8:9], s[8:9], exec
	s_or_b64 s[4:5], s[4:5], s[8:9]
	s_or_b64 exec, exec, s[6:7]
	s_and_saveexec_b64 s[6:7], s[4:5]
	s_cbranch_execnz .LBB5_715
	s_branch .LBB5_716
.LBB5_2765:
	s_movk_i32 s4, 0x80
	v_cmp_eq_u16_sdwa s[12:13], v3, s4 src0_sel:BYTE_0 src1_sel:DWORD
	s_mov_b64 s[4:5], -1
                                        ; implicit-def: $sgpr10
	s_and_saveexec_b64 s[8:9], s[12:13]
; %bb.2766:
	s_mov_b32 s10, 0x7f800001
	s_xor_b64 s[4:5], exec, -1
; %bb.2767:
	s_or_b64 exec, exec, s[8:9]
	s_and_b64 s[4:5], s[4:5], exec
	s_or_saveexec_b64 s[6:7], s[6:7]
	v_mov_b32_e32 v6, s10
	s_xor_b64 exec, exec, s[6:7]
	s_cbranch_execz .LBB5_718
.LBB5_2768:
	v_mov_b32_e32 v6, 0
	v_cmp_ne_u16_sdwa s[8:9], v3, v6 src0_sel:BYTE_0 src1_sel:DWORD
	s_andn2_b64 s[4:5], s[4:5], exec
	s_and_b64 s[8:9], s[8:9], exec
	s_or_b64 s[4:5], s[4:5], s[8:9]
	s_or_b64 exec, exec, s[6:7]
	s_and_saveexec_b64 s[6:7], s[4:5]
	s_cbranch_execnz .LBB5_719
	s_branch .LBB5_720
.LBB5_2769:
	s_movk_i32 s4, 0x80
	v_cmp_eq_u16_e32 vcc, s4, v3
	s_mov_b64 s[4:5], -1
                                        ; implicit-def: $sgpr10
	s_and_saveexec_b64 s[8:9], vcc
; %bb.2770:
	s_mov_b32 s10, 0x7f800001
	s_xor_b64 s[4:5], exec, -1
; %bb.2771:
	s_or_b64 exec, exec, s[8:9]
	s_and_b64 s[4:5], s[4:5], exec
                                        ; implicit-def: $vgpr3
	s_or_saveexec_b64 s[6:7], s[6:7]
	v_mov_b32_e32 v2, s10
	s_xor_b64 exec, exec, s[6:7]
	s_cbranch_execz .LBB5_722
.LBB5_2772:
	v_cmp_ne_u16_e32 vcc, 0, v3
	s_andn2_b64 s[4:5], s[4:5], exec
	s_and_b64 s[8:9], vcc, exec
	v_mov_b32_e32 v2, 0
	s_or_b64 s[4:5], s[4:5], s[8:9]
	s_or_b64 exec, exec, s[6:7]
	s_and_saveexec_b64 s[6:7], s[4:5]
	s_cbranch_execnz .LBB5_723
	s_branch .LBB5_724
.LBB5_2773:
	s_movk_i32 s4, 0x80
	v_cmp_eq_u16_e32 vcc, s4, v3
	s_mov_b64 s[4:5], -1
                                        ; implicit-def: $sgpr10
	s_and_saveexec_b64 s[8:9], vcc
; %bb.2774:
	s_mov_b32 s10, 0x7f800001
	s_xor_b64 s[4:5], exec, -1
; %bb.2775:
	s_or_b64 exec, exec, s[8:9]
	s_and_b64 s[4:5], s[4:5], exec
                                        ; implicit-def: $vgpr3
	s_or_saveexec_b64 s[6:7], s[6:7]
	v_mov_b32_e32 v6, s10
	s_xor_b64 exec, exec, s[6:7]
	s_cbranch_execz .LBB5_726
.LBB5_2776:
	v_cmp_ne_u16_e32 vcc, 0, v3
	s_andn2_b64 s[4:5], s[4:5], exec
	s_and_b64 s[8:9], vcc, exec
	v_mov_b32_e32 v6, 0
	s_or_b64 s[4:5], s[4:5], s[8:9]
	s_or_b64 exec, exec, s[6:7]
	s_and_saveexec_b64 s[6:7], s[4:5]
	s_cbranch_execnz .LBB5_727
	s_branch .LBB5_728
.LBB5_2777:
	s_movk_i32 s4, 0x80
	v_cmp_eq_u16_sdwa s[12:13], v8, s4 src0_sel:BYTE_3 src1_sel:DWORD
	s_mov_b64 s[4:5], -1
                                        ; implicit-def: $sgpr10
	s_and_saveexec_b64 s[8:9], s[12:13]
; %bb.2778:
	s_mov_b32 s10, 0x7f800001
	s_xor_b64 s[4:5], exec, -1
; %bb.2779:
	s_or_b64 exec, exec, s[8:9]
	s_and_b64 s[4:5], s[4:5], exec
	s_or_saveexec_b64 s[6:7], s[6:7]
	v_mov_b32_e32 v2, s10
	s_xor_b64 exec, exec, s[6:7]
	s_cbranch_execz .LBB5_730
.LBB5_2780:
	v_mov_b32_e32 v2, 0
	v_cmp_ne_u16_sdwa s[8:9], v8, v2 src0_sel:BYTE_3 src1_sel:DWORD
	s_andn2_b64 s[4:5], s[4:5], exec
	s_and_b64 s[8:9], s[8:9], exec
	s_or_b64 s[4:5], s[4:5], s[8:9]
	s_or_b64 exec, exec, s[6:7]
	s_and_saveexec_b64 s[6:7], s[4:5]
	s_cbranch_execnz .LBB5_731
	s_branch .LBB5_732
.LBB5_2781:
	s_movk_i32 s4, 0x80
	v_cmp_eq_u16_sdwa s[12:13], v4, s4 src0_sel:BYTE_3 src1_sel:DWORD
	s_mov_b64 s[4:5], -1
                                        ; implicit-def: $sgpr10
	s_and_saveexec_b64 s[8:9], s[12:13]
; %bb.2782:
	s_mov_b32 s10, 0x7f800001
	s_xor_b64 s[4:5], exec, -1
; %bb.2783:
	s_or_b64 exec, exec, s[8:9]
	s_and_b64 s[4:5], s[4:5], exec
	s_or_saveexec_b64 s[6:7], s[6:7]
	v_mov_b32_e32 v3, s10
	s_xor_b64 exec, exec, s[6:7]
	s_cbranch_execz .LBB5_734
.LBB5_2784:
	v_mov_b32_e32 v3, 0
	v_cmp_ne_u16_sdwa s[8:9], v4, v3 src0_sel:BYTE_3 src1_sel:DWORD
	s_andn2_b64 s[4:5], s[4:5], exec
	s_and_b64 s[8:9], s[8:9], exec
	s_or_b64 s[4:5], s[4:5], s[8:9]
	s_or_b64 exec, exec, s[6:7]
	s_and_saveexec_b64 s[6:7], s[4:5]
	s_cbranch_execnz .LBB5_735
	s_branch .LBB5_736
.LBB5_2785:
	s_movk_i32 s4, 0x80
	v_cmp_eq_u16_sdwa s[12:13], v9, s4 src0_sel:BYTE_0 src1_sel:DWORD
	s_mov_b64 s[4:5], -1
                                        ; implicit-def: $sgpr10
	s_and_saveexec_b64 s[8:9], s[12:13]
; %bb.2786:
	s_mov_b32 s10, 0x7f800001
	s_xor_b64 s[4:5], exec, -1
; %bb.2787:
	s_or_b64 exec, exec, s[8:9]
	s_and_b64 s[4:5], s[4:5], exec
	s_or_saveexec_b64 s[6:7], s[6:7]
	v_mov_b32_e32 v2, s10
	s_xor_b64 exec, exec, s[6:7]
	s_cbranch_execz .LBB5_738
.LBB5_2788:
	v_mov_b32_e32 v2, 0
	v_cmp_ne_u16_sdwa s[8:9], v9, v2 src0_sel:BYTE_0 src1_sel:DWORD
	s_andn2_b64 s[4:5], s[4:5], exec
	s_and_b64 s[8:9], s[8:9], exec
	s_or_b64 s[4:5], s[4:5], s[8:9]
	s_or_b64 exec, exec, s[6:7]
	s_and_saveexec_b64 s[6:7], s[4:5]
	s_cbranch_execnz .LBB5_739
	s_branch .LBB5_740
.LBB5_2789:
	s_movk_i32 s4, 0x80
	v_cmp_eq_u16_sdwa s[12:13], v5, s4 src0_sel:BYTE_0 src1_sel:DWORD
	s_mov_b64 s[4:5], -1
                                        ; implicit-def: $sgpr10
	s_and_saveexec_b64 s[8:9], s[12:13]
; %bb.2790:
	s_mov_b32 s10, 0x7f800001
	s_xor_b64 s[4:5], exec, -1
; %bb.2791:
	s_or_b64 exec, exec, s[8:9]
	s_and_b64 s[4:5], s[4:5], exec
	s_or_saveexec_b64 s[6:7], s[6:7]
	v_mov_b32_e32 v3, s10
	s_xor_b64 exec, exec, s[6:7]
	s_cbranch_execz .LBB5_742
.LBB5_2792:
	v_mov_b32_e32 v3, 0
	v_cmp_ne_u16_sdwa s[8:9], v5, v3 src0_sel:BYTE_0 src1_sel:DWORD
	s_andn2_b64 s[4:5], s[4:5], exec
	s_and_b64 s[8:9], s[8:9], exec
	s_or_b64 s[4:5], s[4:5], s[8:9]
	s_or_b64 exec, exec, s[6:7]
	s_and_saveexec_b64 s[6:7], s[4:5]
	s_cbranch_execnz .LBB5_743
	s_branch .LBB5_744
.LBB5_2793:
	s_movk_i32 s4, 0x80
	v_cmp_eq_u16_sdwa s[12:13], v3, s4 src0_sel:BYTE_0 src1_sel:DWORD
	s_mov_b64 s[4:5], -1
                                        ; implicit-def: $sgpr10
	s_and_saveexec_b64 s[8:9], s[12:13]
; %bb.2794:
	s_mov_b32 s10, 0x7f800001
	s_xor_b64 s[4:5], exec, -1
; %bb.2795:
	s_or_b64 exec, exec, s[8:9]
	s_and_b64 s[4:5], s[4:5], exec
	s_or_saveexec_b64 s[6:7], s[6:7]
	v_mov_b32_e32 v2, s10
	s_xor_b64 exec, exec, s[6:7]
	s_cbranch_execz .LBB5_746
.LBB5_2796:
	v_mov_b32_e32 v2, 0
	v_cmp_ne_u16_sdwa s[8:9], v3, v2 src0_sel:BYTE_0 src1_sel:DWORD
	s_andn2_b64 s[4:5], s[4:5], exec
	s_and_b64 s[8:9], s[8:9], exec
	s_or_b64 s[4:5], s[4:5], s[8:9]
	s_or_b64 exec, exec, s[6:7]
	s_and_saveexec_b64 s[6:7], s[4:5]
	s_cbranch_execnz .LBB5_747
	s_branch .LBB5_748
.LBB5_2797:
	s_movk_i32 s4, 0x80
	v_cmp_eq_u16_sdwa s[12:13], v3, s4 src0_sel:BYTE_0 src1_sel:DWORD
	s_mov_b64 s[4:5], -1
                                        ; implicit-def: $sgpr10
	s_and_saveexec_b64 s[8:9], s[12:13]
; %bb.2798:
	s_mov_b32 s10, 0x7f800001
	s_xor_b64 s[4:5], exec, -1
; %bb.2799:
	s_or_b64 exec, exec, s[8:9]
	s_and_b64 s[4:5], s[4:5], exec
	s_or_saveexec_b64 s[6:7], s[6:7]
	v_mov_b32_e32 v4, s10
	s_xor_b64 exec, exec, s[6:7]
	s_cbranch_execz .LBB5_750
.LBB5_2800:
	v_mov_b32_e32 v4, 0
	v_cmp_ne_u16_sdwa s[8:9], v3, v4 src0_sel:BYTE_0 src1_sel:DWORD
	s_andn2_b64 s[4:5], s[4:5], exec
	s_and_b64 s[8:9], s[8:9], exec
	s_or_b64 s[4:5], s[4:5], s[8:9]
	s_or_b64 exec, exec, s[6:7]
	s_and_saveexec_b64 s[6:7], s[4:5]
	s_cbranch_execnz .LBB5_751
	s_branch .LBB5_752
.LBB5_2801:
	s_movk_i32 s4, 0x80
	v_cmp_eq_u16_e32 vcc, s4, v3
	s_mov_b64 s[4:5], -1
                                        ; implicit-def: $sgpr10
	s_and_saveexec_b64 s[8:9], vcc
; %bb.2802:
	s_mov_b32 s10, 0x7f800001
	s_xor_b64 s[4:5], exec, -1
; %bb.2803:
	s_or_b64 exec, exec, s[8:9]
	s_and_b64 s[4:5], s[4:5], exec
                                        ; implicit-def: $vgpr3
	s_or_saveexec_b64 s[6:7], s[6:7]
	v_mov_b32_e32 v2, s10
	s_xor_b64 exec, exec, s[6:7]
	s_cbranch_execz .LBB5_754
.LBB5_2804:
	v_cmp_ne_u16_e32 vcc, 0, v3
	s_andn2_b64 s[4:5], s[4:5], exec
	s_and_b64 s[8:9], vcc, exec
	v_mov_b32_e32 v2, 0
	s_or_b64 s[4:5], s[4:5], s[8:9]
	s_or_b64 exec, exec, s[6:7]
	s_and_saveexec_b64 s[6:7], s[4:5]
	s_cbranch_execnz .LBB5_755
	s_branch .LBB5_756
.LBB5_2805:
	s_movk_i32 s4, 0x80
	v_cmp_eq_u16_e32 vcc, s4, v3
	s_mov_b64 s[4:5], -1
                                        ; implicit-def: $sgpr10
	s_and_saveexec_b64 s[8:9], vcc
; %bb.2806:
	s_mov_b32 s10, 0x7f800001
	s_xor_b64 s[4:5], exec, -1
; %bb.2807:
	s_or_b64 exec, exec, s[8:9]
	s_and_b64 s[4:5], s[4:5], exec
                                        ; implicit-def: $vgpr3
	s_or_saveexec_b64 s[6:7], s[6:7]
	v_mov_b32_e32 v4, s10
	s_xor_b64 exec, exec, s[6:7]
	s_cbranch_execz .LBB5_758
.LBB5_2808:
	v_cmp_ne_u16_e32 vcc, 0, v3
	s_andn2_b64 s[4:5], s[4:5], exec
	s_and_b64 s[8:9], vcc, exec
	v_mov_b32_e32 v4, 0
	s_or_b64 s[4:5], s[4:5], s[8:9]
	s_or_b64 exec, exec, s[6:7]
	s_and_saveexec_b64 s[6:7], s[4:5]
	s_cbranch_execnz .LBB5_759
	s_branch .LBB5_760
.LBB5_2809:
	s_movk_i32 s4, 0x80
	v_cmp_eq_u16_sdwa s[12:13], v9, s4 src0_sel:BYTE_3 src1_sel:DWORD
	s_mov_b64 s[4:5], -1
                                        ; implicit-def: $sgpr10
	s_and_saveexec_b64 s[8:9], s[12:13]
; %bb.2810:
	s_mov_b32 s10, 0x7f800001
	s_xor_b64 s[4:5], exec, -1
; %bb.2811:
	s_or_b64 exec, exec, s[8:9]
	s_and_b64 s[4:5], s[4:5], exec
	s_or_saveexec_b64 s[6:7], s[6:7]
	v_mov_b32_e32 v2, s10
	s_xor_b64 exec, exec, s[6:7]
	s_cbranch_execz .LBB5_762
.LBB5_2812:
	v_mov_b32_e32 v2, 0
	v_cmp_ne_u16_sdwa s[8:9], v9, v2 src0_sel:BYTE_3 src1_sel:DWORD
	s_andn2_b64 s[4:5], s[4:5], exec
	s_and_b64 s[8:9], s[8:9], exec
	s_or_b64 s[4:5], s[4:5], s[8:9]
	s_or_b64 exec, exec, s[6:7]
	s_and_saveexec_b64 s[6:7], s[4:5]
	s_cbranch_execnz .LBB5_763
	s_branch .LBB5_764
.LBB5_2813:
	s_movk_i32 s4, 0x80
	v_cmp_eq_u16_sdwa s[12:13], v5, s4 src0_sel:BYTE_3 src1_sel:DWORD
	s_mov_b64 s[4:5], -1
                                        ; implicit-def: $sgpr10
	s_and_saveexec_b64 s[8:9], s[12:13]
; %bb.2814:
	s_mov_b32 s10, 0x7f800001
	s_xor_b64 s[4:5], exec, -1
; %bb.2815:
	s_or_b64 exec, exec, s[8:9]
	s_and_b64 s[4:5], s[4:5], exec
	s_or_saveexec_b64 s[6:7], s[6:7]
	v_mov_b32_e32 v3, s10
	s_xor_b64 exec, exec, s[6:7]
	s_cbranch_execz .LBB5_766
.LBB5_2816:
	v_mov_b32_e32 v3, 0
	v_cmp_ne_u16_sdwa s[8:9], v5, v3 src0_sel:BYTE_3 src1_sel:DWORD
	s_andn2_b64 s[4:5], s[4:5], exec
	s_and_b64 s[8:9], s[8:9], exec
	s_or_b64 s[4:5], s[4:5], s[8:9]
	s_or_b64 exec, exec, s[6:7]
	s_and_saveexec_b64 s[6:7], s[4:5]
	s_cbranch_execnz .LBB5_767
	s_branch .LBB5_768
.LBB5_2817:
	s_movk_i32 s4, 0x80
	v_cmp_eq_u16_sdwa s[12:13], v14, s4 src0_sel:BYTE_0 src1_sel:DWORD
	s_mov_b64 s[4:5], -1
                                        ; implicit-def: $sgpr10
	s_and_saveexec_b64 s[8:9], s[12:13]
; %bb.2818:
	s_mov_b32 s10, 0x7f800001
	s_xor_b64 s[4:5], exec, -1
; %bb.2819:
	s_or_b64 exec, exec, s[8:9]
	s_and_b64 s[4:5], s[4:5], exec
	s_or_saveexec_b64 s[6:7], s[6:7]
	v_mov_b32_e32 v20, s10
	s_xor_b64 exec, exec, s[6:7]
	s_cbranch_execz .LBB5_770
.LBB5_2820:
	v_mov_b32_e32 v20, 0
	v_cmp_ne_u16_sdwa s[8:9], v14, v20 src0_sel:BYTE_0 src1_sel:DWORD
	s_andn2_b64 s[4:5], s[4:5], exec
	s_and_b64 s[8:9], s[8:9], exec
	s_or_b64 s[4:5], s[4:5], s[8:9]
	s_or_b64 exec, exec, s[6:7]
	s_and_saveexec_b64 s[6:7], s[4:5]
	s_cbranch_execnz .LBB5_771
	s_branch .LBB5_772
.LBB5_2821:
	s_movk_i32 s4, 0x80
	v_cmp_eq_u16_sdwa s[12:13], v10, s4 src0_sel:BYTE_0 src1_sel:DWORD
	s_mov_b64 s[4:5], -1
                                        ; implicit-def: $sgpr10
	s_and_saveexec_b64 s[8:9], s[12:13]
; %bb.2822:
	s_mov_b32 s10, 0x7f800001
	s_xor_b64 s[4:5], exec, -1
; %bb.2823:
	s_or_b64 exec, exec, s[8:9]
	s_and_b64 s[4:5], s[4:5], exec
	s_or_saveexec_b64 s[6:7], s[6:7]
	v_mov_b32_e32 v21, s10
	s_xor_b64 exec, exec, s[6:7]
	s_cbranch_execz .LBB5_774
.LBB5_2824:
	v_mov_b32_e32 v21, 0
	v_cmp_ne_u16_sdwa s[8:9], v10, v21 src0_sel:BYTE_0 src1_sel:DWORD
	s_andn2_b64 s[4:5], s[4:5], exec
	s_and_b64 s[8:9], s[8:9], exec
	s_or_b64 s[4:5], s[4:5], s[8:9]
	s_or_b64 exec, exec, s[6:7]
	s_and_saveexec_b64 s[6:7], s[4:5]
	s_cbranch_execnz .LBB5_775
	s_branch .LBB5_776
.LBB5_2825:
	s_movk_i32 s4, 0x80
	v_cmp_eq_u16_sdwa s[12:13], v21, s4 src0_sel:BYTE_0 src1_sel:DWORD
	s_mov_b64 s[4:5], -1
                                        ; implicit-def: $sgpr10
	s_and_saveexec_b64 s[8:9], s[12:13]
; %bb.2826:
	s_mov_b32 s10, 0x7f800001
	s_xor_b64 s[4:5], exec, -1
; %bb.2827:
	s_or_b64 exec, exec, s[8:9]
	s_and_b64 s[4:5], s[4:5], exec
	s_or_saveexec_b64 s[6:7], s[6:7]
	v_mov_b32_e32 v20, s10
	s_xor_b64 exec, exec, s[6:7]
	s_cbranch_execz .LBB5_778
.LBB5_2828:
	v_mov_b32_e32 v20, 0
	v_cmp_ne_u16_sdwa s[8:9], v21, v20 src0_sel:BYTE_0 src1_sel:DWORD
	s_andn2_b64 s[4:5], s[4:5], exec
	s_and_b64 s[8:9], s[8:9], exec
	s_or_b64 s[4:5], s[4:5], s[8:9]
	s_or_b64 exec, exec, s[6:7]
	s_and_saveexec_b64 s[6:7], s[4:5]
	s_cbranch_execnz .LBB5_779
	s_branch .LBB5_780
.LBB5_2829:
	s_movk_i32 s4, 0x80
	v_cmp_eq_u16_sdwa s[12:13], v21, s4 src0_sel:BYTE_0 src1_sel:DWORD
	s_mov_b64 s[4:5], -1
                                        ; implicit-def: $sgpr10
	s_and_saveexec_b64 s[8:9], s[12:13]
; %bb.2830:
	s_mov_b32 s10, 0x7f800001
	s_xor_b64 s[4:5], exec, -1
; %bb.2831:
	s_or_b64 exec, exec, s[8:9]
	s_and_b64 s[4:5], s[4:5], exec
	s_or_saveexec_b64 s[6:7], s[6:7]
	v_mov_b32_e32 v22, s10
	s_xor_b64 exec, exec, s[6:7]
	s_cbranch_execz .LBB5_782
.LBB5_2832:
	v_mov_b32_e32 v22, 0
	v_cmp_ne_u16_sdwa s[8:9], v21, v22 src0_sel:BYTE_0 src1_sel:DWORD
	s_andn2_b64 s[4:5], s[4:5], exec
	s_and_b64 s[8:9], s[8:9], exec
	s_or_b64 s[4:5], s[4:5], s[8:9]
	s_or_b64 exec, exec, s[6:7]
	s_and_saveexec_b64 s[6:7], s[4:5]
	s_cbranch_execnz .LBB5_783
	s_branch .LBB5_784
.LBB5_2833:
	s_movk_i32 s4, 0x80
	v_cmp_eq_u16_e32 vcc, s4, v21
	s_mov_b64 s[4:5], -1
                                        ; implicit-def: $sgpr10
	s_and_saveexec_b64 s[8:9], vcc
; %bb.2834:
	s_mov_b32 s10, 0x7f800001
	s_xor_b64 s[4:5], exec, -1
; %bb.2835:
	s_or_b64 exec, exec, s[8:9]
	s_and_b64 s[4:5], s[4:5], exec
                                        ; implicit-def: $vgpr21
	s_or_saveexec_b64 s[6:7], s[6:7]
	v_mov_b32_e32 v20, s10
	s_xor_b64 exec, exec, s[6:7]
	s_cbranch_execz .LBB5_786
.LBB5_2836:
	v_cmp_ne_u16_e32 vcc, 0, v21
	s_andn2_b64 s[4:5], s[4:5], exec
	s_and_b64 s[8:9], vcc, exec
	v_mov_b32_e32 v20, 0
	s_or_b64 s[4:5], s[4:5], s[8:9]
	s_or_b64 exec, exec, s[6:7]
	s_and_saveexec_b64 s[6:7], s[4:5]
	s_cbranch_execnz .LBB5_787
	s_branch .LBB5_788
.LBB5_2837:
	s_movk_i32 s4, 0x80
	v_cmp_eq_u16_e32 vcc, s4, v21
	s_mov_b64 s[4:5], -1
                                        ; implicit-def: $sgpr10
	s_and_saveexec_b64 s[8:9], vcc
; %bb.2838:
	s_mov_b32 s10, 0x7f800001
	s_xor_b64 s[4:5], exec, -1
; %bb.2839:
	s_or_b64 exec, exec, s[8:9]
	s_and_b64 s[4:5], s[4:5], exec
                                        ; implicit-def: $vgpr21
	s_or_saveexec_b64 s[6:7], s[6:7]
	v_mov_b32_e32 v22, s10
	s_xor_b64 exec, exec, s[6:7]
	s_cbranch_execz .LBB5_790
.LBB5_2840:
	v_cmp_ne_u16_e32 vcc, 0, v21
	s_andn2_b64 s[4:5], s[4:5], exec
	s_and_b64 s[8:9], vcc, exec
	v_mov_b32_e32 v22, 0
	s_or_b64 s[4:5], s[4:5], s[8:9]
	s_or_b64 exec, exec, s[6:7]
	s_and_saveexec_b64 s[6:7], s[4:5]
	s_cbranch_execnz .LBB5_791
	s_branch .LBB5_792
.LBB5_2841:
	s_movk_i32 s4, 0x80
	v_cmp_eq_u16_sdwa s[12:13], v14, s4 src0_sel:BYTE_3 src1_sel:DWORD
	s_mov_b64 s[4:5], -1
                                        ; implicit-def: $sgpr10
	s_and_saveexec_b64 s[8:9], s[12:13]
; %bb.2842:
	s_mov_b32 s10, 0x7f800001
	s_xor_b64 s[4:5], exec, -1
; %bb.2843:
	s_or_b64 exec, exec, s[8:9]
	s_and_b64 s[4:5], s[4:5], exec
	s_or_saveexec_b64 s[6:7], s[6:7]
	v_mov_b32_e32 v20, s10
	s_xor_b64 exec, exec, s[6:7]
	s_cbranch_execz .LBB5_794
.LBB5_2844:
	v_mov_b32_e32 v20, 0
	v_cmp_ne_u16_sdwa s[8:9], v14, v20 src0_sel:BYTE_3 src1_sel:DWORD
	s_andn2_b64 s[4:5], s[4:5], exec
	s_and_b64 s[8:9], s[8:9], exec
	s_or_b64 s[4:5], s[4:5], s[8:9]
	s_or_b64 exec, exec, s[6:7]
	s_and_saveexec_b64 s[6:7], s[4:5]
	s_cbranch_execnz .LBB5_795
	s_branch .LBB5_796
.LBB5_2845:
	s_movk_i32 s4, 0x80
	v_cmp_eq_u16_sdwa s[12:13], v10, s4 src0_sel:BYTE_3 src1_sel:DWORD
	s_mov_b64 s[4:5], -1
                                        ; implicit-def: $sgpr10
	s_and_saveexec_b64 s[8:9], s[12:13]
; %bb.2846:
	s_mov_b32 s10, 0x7f800001
	s_xor_b64 s[4:5], exec, -1
; %bb.2847:
	s_or_b64 exec, exec, s[8:9]
	s_and_b64 s[4:5], s[4:5], exec
	s_or_saveexec_b64 s[6:7], s[6:7]
	v_mov_b32_e32 v14, s10
	s_xor_b64 exec, exec, s[6:7]
	s_cbranch_execz .LBB5_798
.LBB5_2848:
	v_mov_b32_e32 v14, 0
	v_cmp_ne_u16_sdwa s[8:9], v10, v14 src0_sel:BYTE_3 src1_sel:DWORD
	s_andn2_b64 s[4:5], s[4:5], exec
	s_and_b64 s[8:9], s[8:9], exec
	s_or_b64 s[4:5], s[4:5], s[8:9]
	s_or_b64 exec, exec, s[6:7]
	s_and_saveexec_b64 s[6:7], s[4:5]
	s_cbranch_execnz .LBB5_799
	s_branch .LBB5_800
.LBB5_2849:
	s_movk_i32 s4, 0x80
	v_cmp_eq_u16_sdwa s[12:13], v15, s4 src0_sel:BYTE_0 src1_sel:DWORD
	s_mov_b64 s[4:5], -1
                                        ; implicit-def: $sgpr10
	s_and_saveexec_b64 s[8:9], s[12:13]
; %bb.2850:
	s_mov_b32 s10, 0x7f800001
	s_xor_b64 s[4:5], exec, -1
; %bb.2851:
	s_or_b64 exec, exec, s[8:9]
	s_and_b64 s[4:5], s[4:5], exec
	s_or_saveexec_b64 s[6:7], s[6:7]
	v_mov_b32_e32 v10, s10
	s_xor_b64 exec, exec, s[6:7]
	s_cbranch_execz .LBB5_802
.LBB5_2852:
	v_mov_b32_e32 v10, 0
	v_cmp_ne_u16_sdwa s[8:9], v15, v10 src0_sel:BYTE_0 src1_sel:DWORD
	s_andn2_b64 s[4:5], s[4:5], exec
	s_and_b64 s[8:9], s[8:9], exec
	s_or_b64 s[4:5], s[4:5], s[8:9]
	s_or_b64 exec, exec, s[6:7]
	s_and_saveexec_b64 s[6:7], s[4:5]
	s_cbranch_execnz .LBB5_803
	s_branch .LBB5_804
.LBB5_2853:
	s_movk_i32 s4, 0x80
	v_cmp_eq_u16_sdwa s[12:13], v11, s4 src0_sel:BYTE_0 src1_sel:DWORD
	s_mov_b64 s[4:5], -1
                                        ; implicit-def: $sgpr10
	s_and_saveexec_b64 s[8:9], s[12:13]
; %bb.2854:
	s_mov_b32 s10, 0x7f800001
	s_xor_b64 s[4:5], exec, -1
; %bb.2855:
	s_or_b64 exec, exec, s[8:9]
	s_and_b64 s[4:5], s[4:5], exec
	s_or_saveexec_b64 s[6:7], s[6:7]
	v_mov_b32_e32 v14, s10
	s_xor_b64 exec, exec, s[6:7]
	s_cbranch_execz .LBB5_806
.LBB5_2856:
	v_mov_b32_e32 v14, 0
	v_cmp_ne_u16_sdwa s[8:9], v11, v14 src0_sel:BYTE_0 src1_sel:DWORD
	s_andn2_b64 s[4:5], s[4:5], exec
	s_and_b64 s[8:9], s[8:9], exec
	s_or_b64 s[4:5], s[4:5], s[8:9]
	s_or_b64 exec, exec, s[6:7]
	s_and_saveexec_b64 s[6:7], s[4:5]
	s_cbranch_execnz .LBB5_807
	s_branch .LBB5_808
.LBB5_2857:
	s_movk_i32 s4, 0x80
	v_cmp_eq_u16_sdwa s[12:13], v14, s4 src0_sel:BYTE_0 src1_sel:DWORD
	s_mov_b64 s[4:5], -1
                                        ; implicit-def: $sgpr10
	s_and_saveexec_b64 s[8:9], s[12:13]
; %bb.2858:
	s_mov_b32 s10, 0x7f800001
	s_xor_b64 s[4:5], exec, -1
; %bb.2859:
	s_or_b64 exec, exec, s[8:9]
	s_and_b64 s[4:5], s[4:5], exec
	s_or_saveexec_b64 s[6:7], s[6:7]
	v_mov_b32_e32 v10, s10
	s_xor_b64 exec, exec, s[6:7]
	s_cbranch_execz .LBB5_810
.LBB5_2860:
	v_mov_b32_e32 v10, 0
	v_cmp_ne_u16_sdwa s[8:9], v14, v10 src0_sel:BYTE_0 src1_sel:DWORD
	s_andn2_b64 s[4:5], s[4:5], exec
	s_and_b64 s[8:9], s[8:9], exec
	s_or_b64 s[4:5], s[4:5], s[8:9]
	s_or_b64 exec, exec, s[6:7]
	s_and_saveexec_b64 s[6:7], s[4:5]
	s_cbranch_execnz .LBB5_811
	s_branch .LBB5_812
.LBB5_2861:
	s_movk_i32 s4, 0x80
	v_cmp_eq_u16_sdwa s[12:13], v14, s4 src0_sel:BYTE_0 src1_sel:DWORD
	s_mov_b64 s[4:5], -1
                                        ; implicit-def: $sgpr10
	s_and_saveexec_b64 s[8:9], s[12:13]
; %bb.2862:
	s_mov_b32 s10, 0x7f800001
	s_xor_b64 s[4:5], exec, -1
; %bb.2863:
	s_or_b64 exec, exec, s[8:9]
	s_and_b64 s[4:5], s[4:5], exec
	s_or_saveexec_b64 s[6:7], s[6:7]
	v_mov_b32_e32 v20, s10
	s_xor_b64 exec, exec, s[6:7]
	s_cbranch_execz .LBB5_814
.LBB5_2864:
	v_mov_b32_e32 v20, 0
	v_cmp_ne_u16_sdwa s[8:9], v14, v20 src0_sel:BYTE_0 src1_sel:DWORD
	s_andn2_b64 s[4:5], s[4:5], exec
	s_and_b64 s[8:9], s[8:9], exec
	s_or_b64 s[4:5], s[4:5], s[8:9]
	s_or_b64 exec, exec, s[6:7]
	s_and_saveexec_b64 s[6:7], s[4:5]
	s_cbranch_execnz .LBB5_815
	s_branch .LBB5_816
.LBB5_2865:
	s_movk_i32 s4, 0x80
	v_cmp_eq_u16_e32 vcc, s4, v14
	s_mov_b64 s[4:5], -1
                                        ; implicit-def: $sgpr10
	s_and_saveexec_b64 s[8:9], vcc
; %bb.2866:
	s_mov_b32 s10, 0x7f800001
	s_xor_b64 s[4:5], exec, -1
; %bb.2867:
	s_or_b64 exec, exec, s[8:9]
	s_and_b64 s[4:5], s[4:5], exec
                                        ; implicit-def: $vgpr14
	s_or_saveexec_b64 s[6:7], s[6:7]
	v_mov_b32_e32 v10, s10
	s_xor_b64 exec, exec, s[6:7]
	s_cbranch_execz .LBB5_818
.LBB5_2868:
	v_cmp_ne_u16_e32 vcc, 0, v14
	s_andn2_b64 s[4:5], s[4:5], exec
	s_and_b64 s[8:9], vcc, exec
	v_mov_b32_e32 v10, 0
	s_or_b64 s[4:5], s[4:5], s[8:9]
	s_or_b64 exec, exec, s[6:7]
	s_and_saveexec_b64 s[6:7], s[4:5]
	s_cbranch_execnz .LBB5_819
	s_branch .LBB5_820
.LBB5_2869:
	s_movk_i32 s4, 0x80
	v_cmp_eq_u16_e32 vcc, s4, v14
	s_mov_b64 s[4:5], -1
                                        ; implicit-def: $sgpr10
	s_and_saveexec_b64 s[8:9], vcc
; %bb.2870:
	s_mov_b32 s10, 0x7f800001
	s_xor_b64 s[4:5], exec, -1
; %bb.2871:
	s_or_b64 exec, exec, s[8:9]
	s_and_b64 s[4:5], s[4:5], exec
                                        ; implicit-def: $vgpr14
	s_or_saveexec_b64 s[6:7], s[6:7]
	v_mov_b32_e32 v20, s10
	s_xor_b64 exec, exec, s[6:7]
	s_cbranch_execz .LBB5_822
.LBB5_2872:
	v_cmp_ne_u16_e32 vcc, 0, v14
	s_andn2_b64 s[4:5], s[4:5], exec
	s_and_b64 s[8:9], vcc, exec
	v_mov_b32_e32 v20, 0
	s_or_b64 s[4:5], s[4:5], s[8:9]
	s_or_b64 exec, exec, s[6:7]
	s_and_saveexec_b64 s[6:7], s[4:5]
	s_cbranch_execnz .LBB5_823
	s_branch .LBB5_824
.LBB5_2873:
	s_movk_i32 s4, 0x80
	v_cmp_eq_u16_sdwa s[12:13], v15, s4 src0_sel:BYTE_3 src1_sel:DWORD
	s_mov_b64 s[4:5], -1
                                        ; implicit-def: $sgpr10
	s_and_saveexec_b64 s[8:9], s[12:13]
; %bb.2874:
	s_mov_b32 s10, 0x7f800001
	s_xor_b64 s[4:5], exec, -1
; %bb.2875:
	s_or_b64 exec, exec, s[8:9]
	s_and_b64 s[4:5], s[4:5], exec
	s_or_saveexec_b64 s[6:7], s[6:7]
	v_mov_b32_e32 v10, s10
	s_xor_b64 exec, exec, s[6:7]
	s_cbranch_execz .LBB5_826
.LBB5_2876:
	v_mov_b32_e32 v10, 0
	v_cmp_ne_u16_sdwa s[8:9], v15, v10 src0_sel:BYTE_3 src1_sel:DWORD
	s_andn2_b64 s[4:5], s[4:5], exec
	s_and_b64 s[8:9], s[8:9], exec
	s_or_b64 s[4:5], s[4:5], s[8:9]
	s_or_b64 exec, exec, s[6:7]
	s_and_saveexec_b64 s[6:7], s[4:5]
	s_cbranch_execnz .LBB5_827
	s_branch .LBB5_828
.LBB5_2877:
	s_movk_i32 s4, 0x80
	v_cmp_eq_u16_sdwa s[12:13], v11, s4 src0_sel:BYTE_3 src1_sel:DWORD
	s_mov_b64 s[4:5], -1
                                        ; implicit-def: $sgpr10
	s_and_saveexec_b64 s[8:9], s[12:13]
; %bb.2878:
	s_mov_b32 s10, 0x7f800001
	s_xor_b64 s[4:5], exec, -1
; %bb.2879:
	s_or_b64 exec, exec, s[8:9]
	s_and_b64 s[4:5], s[4:5], exec
	s_or_saveexec_b64 s[6:7], s[6:7]
	v_mov_b32_e32 v14, s10
	s_xor_b64 exec, exec, s[6:7]
	s_cbranch_execz .LBB5_830
.LBB5_2880:
	v_mov_b32_e32 v14, 0
	v_cmp_ne_u16_sdwa s[8:9], v11, v14 src0_sel:BYTE_3 src1_sel:DWORD
	s_andn2_b64 s[4:5], s[4:5], exec
	s_and_b64 s[8:9], s[8:9], exec
	s_or_b64 s[4:5], s[4:5], s[8:9]
	s_or_b64 exec, exec, s[6:7]
	s_and_saveexec_b64 s[6:7], s[4:5]
	s_cbranch_execnz .LBB5_831
	s_branch .LBB5_832
.LBB5_2881:
	s_movk_i32 s4, 0x80
	v_cmp_eq_u16_sdwa s[12:13], v16, s4 src0_sel:BYTE_0 src1_sel:DWORD
	s_mov_b64 s[4:5], -1
                                        ; implicit-def: $sgpr10
	s_and_saveexec_b64 s[8:9], s[12:13]
; %bb.2882:
	s_mov_b32 s10, 0x7f800001
	s_xor_b64 s[4:5], exec, -1
; %bb.2883:
	s_or_b64 exec, exec, s[8:9]
	s_and_b64 s[4:5], s[4:5], exec
	s_or_saveexec_b64 s[6:7], s[6:7]
	v_mov_b32_e32 v10, s10
	s_xor_b64 exec, exec, s[6:7]
	s_cbranch_execz .LBB5_834
.LBB5_2884:
	v_mov_b32_e32 v10, 0
	v_cmp_ne_u16_sdwa s[8:9], v16, v10 src0_sel:BYTE_0 src1_sel:DWORD
	s_andn2_b64 s[4:5], s[4:5], exec
	s_and_b64 s[8:9], s[8:9], exec
	s_or_b64 s[4:5], s[4:5], s[8:9]
	s_or_b64 exec, exec, s[6:7]
	s_and_saveexec_b64 s[6:7], s[4:5]
	s_cbranch_execnz .LBB5_835
	s_branch .LBB5_836
.LBB5_2885:
	s_movk_i32 s4, 0x80
	v_cmp_eq_u16_sdwa s[12:13], v12, s4 src0_sel:BYTE_0 src1_sel:DWORD
	s_mov_b64 s[4:5], -1
                                        ; implicit-def: $sgpr10
	s_and_saveexec_b64 s[8:9], s[12:13]
; %bb.2886:
	s_mov_b32 s10, 0x7f800001
	s_xor_b64 s[4:5], exec, -1
; %bb.2887:
	s_or_b64 exec, exec, s[8:9]
	s_and_b64 s[4:5], s[4:5], exec
	s_or_saveexec_b64 s[6:7], s[6:7]
	v_mov_b32_e32 v11, s10
	s_xor_b64 exec, exec, s[6:7]
	s_cbranch_execz .LBB5_838
.LBB5_2888:
	v_mov_b32_e32 v11, 0
	v_cmp_ne_u16_sdwa s[8:9], v12, v11 src0_sel:BYTE_0 src1_sel:DWORD
	s_andn2_b64 s[4:5], s[4:5], exec
	s_and_b64 s[8:9], s[8:9], exec
	s_or_b64 s[4:5], s[4:5], s[8:9]
	s_or_b64 exec, exec, s[6:7]
	s_and_saveexec_b64 s[6:7], s[4:5]
	s_cbranch_execnz .LBB5_839
	s_branch .LBB5_840
.LBB5_2889:
	s_movk_i32 s4, 0x80
	v_cmp_eq_u16_sdwa s[12:13], v11, s4 src0_sel:BYTE_0 src1_sel:DWORD
	s_mov_b64 s[4:5], -1
                                        ; implicit-def: $sgpr10
	s_and_saveexec_b64 s[8:9], s[12:13]
; %bb.2890:
	s_mov_b32 s10, 0x7f800001
	s_xor_b64 s[4:5], exec, -1
; %bb.2891:
	s_or_b64 exec, exec, s[8:9]
	s_and_b64 s[4:5], s[4:5], exec
	s_or_saveexec_b64 s[6:7], s[6:7]
	v_mov_b32_e32 v10, s10
	s_xor_b64 exec, exec, s[6:7]
	s_cbranch_execz .LBB5_842
.LBB5_2892:
	v_mov_b32_e32 v10, 0
	v_cmp_ne_u16_sdwa s[8:9], v11, v10 src0_sel:BYTE_0 src1_sel:DWORD
	s_andn2_b64 s[4:5], s[4:5], exec
	s_and_b64 s[8:9], s[8:9], exec
	s_or_b64 s[4:5], s[4:5], s[8:9]
	s_or_b64 exec, exec, s[6:7]
	s_and_saveexec_b64 s[6:7], s[4:5]
	s_cbranch_execnz .LBB5_843
	s_branch .LBB5_844
.LBB5_2893:
	s_movk_i32 s4, 0x80
	v_cmp_eq_u16_sdwa s[12:13], v11, s4 src0_sel:BYTE_0 src1_sel:DWORD
	s_mov_b64 s[4:5], -1
                                        ; implicit-def: $sgpr10
	s_and_saveexec_b64 s[8:9], s[12:13]
; %bb.2894:
	s_mov_b32 s10, 0x7f800001
	s_xor_b64 s[4:5], exec, -1
; %bb.2895:
	s_or_b64 exec, exec, s[8:9]
	s_and_b64 s[4:5], s[4:5], exec
	s_or_saveexec_b64 s[6:7], s[6:7]
	v_mov_b32_e32 v14, s10
	s_xor_b64 exec, exec, s[6:7]
	s_cbranch_execz .LBB5_846
.LBB5_2896:
	v_mov_b32_e32 v14, 0
	v_cmp_ne_u16_sdwa s[8:9], v11, v14 src0_sel:BYTE_0 src1_sel:DWORD
	s_andn2_b64 s[4:5], s[4:5], exec
	s_and_b64 s[8:9], s[8:9], exec
	s_or_b64 s[4:5], s[4:5], s[8:9]
	s_or_b64 exec, exec, s[6:7]
	s_and_saveexec_b64 s[6:7], s[4:5]
	s_cbranch_execnz .LBB5_847
	s_branch .LBB5_848
.LBB5_2897:
	s_movk_i32 s4, 0x80
	v_cmp_eq_u16_e32 vcc, s4, v11
	s_mov_b64 s[4:5], -1
                                        ; implicit-def: $sgpr10
	s_and_saveexec_b64 s[8:9], vcc
; %bb.2898:
	s_mov_b32 s10, 0x7f800001
	s_xor_b64 s[4:5], exec, -1
; %bb.2899:
	s_or_b64 exec, exec, s[8:9]
	s_and_b64 s[4:5], s[4:5], exec
                                        ; implicit-def: $vgpr11
	s_or_saveexec_b64 s[6:7], s[6:7]
	v_mov_b32_e32 v10, s10
	s_xor_b64 exec, exec, s[6:7]
	s_cbranch_execz .LBB5_850
.LBB5_2900:
	v_cmp_ne_u16_e32 vcc, 0, v11
	s_andn2_b64 s[4:5], s[4:5], exec
	s_and_b64 s[8:9], vcc, exec
	v_mov_b32_e32 v10, 0
	s_or_b64 s[4:5], s[4:5], s[8:9]
	s_or_b64 exec, exec, s[6:7]
	s_and_saveexec_b64 s[6:7], s[4:5]
	s_cbranch_execnz .LBB5_851
	s_branch .LBB5_852
.LBB5_2901:
	s_movk_i32 s4, 0x80
	v_cmp_eq_u16_e32 vcc, s4, v11
	s_mov_b64 s[4:5], -1
                                        ; implicit-def: $sgpr10
	s_and_saveexec_b64 s[8:9], vcc
; %bb.2902:
	s_mov_b32 s10, 0x7f800001
	s_xor_b64 s[4:5], exec, -1
; %bb.2903:
	s_or_b64 exec, exec, s[8:9]
	s_and_b64 s[4:5], s[4:5], exec
                                        ; implicit-def: $vgpr11
	s_or_saveexec_b64 s[6:7], s[6:7]
	v_mov_b32_e32 v14, s10
	s_xor_b64 exec, exec, s[6:7]
	s_cbranch_execz .LBB5_854
.LBB5_2904:
	v_cmp_ne_u16_e32 vcc, 0, v11
	s_andn2_b64 s[4:5], s[4:5], exec
	s_and_b64 s[8:9], vcc, exec
	v_mov_b32_e32 v14, 0
	s_or_b64 s[4:5], s[4:5], s[8:9]
	s_or_b64 exec, exec, s[6:7]
	s_and_saveexec_b64 s[6:7], s[4:5]
	s_cbranch_execnz .LBB5_855
	s_branch .LBB5_856
.LBB5_2905:
	s_movk_i32 s4, 0x80
	v_cmp_eq_u16_sdwa s[12:13], v16, s4 src0_sel:BYTE_3 src1_sel:DWORD
	s_mov_b64 s[4:5], -1
                                        ; implicit-def: $sgpr10
	s_and_saveexec_b64 s[8:9], s[12:13]
; %bb.2906:
	s_mov_b32 s10, 0x7f800001
	s_xor_b64 s[4:5], exec, -1
; %bb.2907:
	s_or_b64 exec, exec, s[8:9]
	s_and_b64 s[4:5], s[4:5], exec
	s_or_saveexec_b64 s[6:7], s[6:7]
	v_mov_b32_e32 v10, s10
	s_xor_b64 exec, exec, s[6:7]
	s_cbranch_execz .LBB5_858
.LBB5_2908:
	v_mov_b32_e32 v10, 0
	v_cmp_ne_u16_sdwa s[8:9], v16, v10 src0_sel:BYTE_3 src1_sel:DWORD
	s_andn2_b64 s[4:5], s[4:5], exec
	s_and_b64 s[8:9], s[8:9], exec
	s_or_b64 s[4:5], s[4:5], s[8:9]
	s_or_b64 exec, exec, s[6:7]
	s_and_saveexec_b64 s[6:7], s[4:5]
	s_cbranch_execnz .LBB5_859
	s_branch .LBB5_860
.LBB5_2909:
	s_movk_i32 s4, 0x80
	v_cmp_eq_u16_sdwa s[12:13], v12, s4 src0_sel:BYTE_3 src1_sel:DWORD
	s_mov_b64 s[4:5], -1
                                        ; implicit-def: $sgpr10
	s_and_saveexec_b64 s[8:9], s[12:13]
; %bb.2910:
	s_mov_b32 s10, 0x7f800001
	s_xor_b64 s[4:5], exec, -1
; %bb.2911:
	s_or_b64 exec, exec, s[8:9]
	s_and_b64 s[4:5], s[4:5], exec
	s_or_saveexec_b64 s[6:7], s[6:7]
	v_mov_b32_e32 v11, s10
	s_xor_b64 exec, exec, s[6:7]
	s_cbranch_execz .LBB5_862
.LBB5_2912:
	v_mov_b32_e32 v11, 0
	v_cmp_ne_u16_sdwa s[8:9], v12, v11 src0_sel:BYTE_3 src1_sel:DWORD
	s_andn2_b64 s[4:5], s[4:5], exec
	s_and_b64 s[8:9], s[8:9], exec
	s_or_b64 s[4:5], s[4:5], s[8:9]
	s_or_b64 exec, exec, s[6:7]
	s_and_saveexec_b64 s[6:7], s[4:5]
	s_cbranch_execnz .LBB5_863
	s_branch .LBB5_864
.LBB5_2913:
	s_movk_i32 s4, 0x80
	v_cmp_eq_u16_sdwa s[12:13], v17, s4 src0_sel:BYTE_0 src1_sel:DWORD
	s_mov_b64 s[4:5], -1
                                        ; implicit-def: $sgpr10
	s_and_saveexec_b64 s[8:9], s[12:13]
; %bb.2914:
	s_mov_b32 s10, 0x7f800001
	s_xor_b64 s[4:5], exec, -1
; %bb.2915:
	s_or_b64 exec, exec, s[8:9]
	s_and_b64 s[4:5], s[4:5], exec
	s_or_saveexec_b64 s[6:7], s[6:7]
	v_mov_b32_e32 v10, s10
	s_xor_b64 exec, exec, s[6:7]
	s_cbranch_execz .LBB5_866
.LBB5_2916:
	v_mov_b32_e32 v10, 0
	v_cmp_ne_u16_sdwa s[8:9], v17, v10 src0_sel:BYTE_0 src1_sel:DWORD
	s_andn2_b64 s[4:5], s[4:5], exec
	s_and_b64 s[8:9], s[8:9], exec
	s_or_b64 s[4:5], s[4:5], s[8:9]
	s_or_b64 exec, exec, s[6:7]
	s_and_saveexec_b64 s[6:7], s[4:5]
	s_cbranch_execnz .LBB5_867
	s_branch .LBB5_868
.LBB5_2917:
	s_movk_i32 s4, 0x80
	v_cmp_eq_u16_sdwa s[12:13], v13, s4 src0_sel:BYTE_0 src1_sel:DWORD
	s_mov_b64 s[4:5], -1
                                        ; implicit-def: $sgpr10
	s_and_saveexec_b64 s[8:9], s[12:13]
; %bb.2918:
	s_mov_b32 s10, 0x7f800001
	s_xor_b64 s[4:5], exec, -1
; %bb.2919:
	s_or_b64 exec, exec, s[8:9]
	s_and_b64 s[4:5], s[4:5], exec
	s_or_saveexec_b64 s[6:7], s[6:7]
	v_mov_b32_e32 v11, s10
	s_xor_b64 exec, exec, s[6:7]
	s_cbranch_execz .LBB5_870
.LBB5_2920:
	v_mov_b32_e32 v11, 0
	v_cmp_ne_u16_sdwa s[8:9], v13, v11 src0_sel:BYTE_0 src1_sel:DWORD
	s_andn2_b64 s[4:5], s[4:5], exec
	s_and_b64 s[8:9], s[8:9], exec
	s_or_b64 s[4:5], s[4:5], s[8:9]
	s_or_b64 exec, exec, s[6:7]
	s_and_saveexec_b64 s[6:7], s[4:5]
	s_cbranch_execnz .LBB5_871
	s_branch .LBB5_872
.LBB5_2921:
	s_movk_i32 s4, 0x80
	v_cmp_eq_u16_sdwa s[12:13], v11, s4 src0_sel:BYTE_0 src1_sel:DWORD
	s_mov_b64 s[4:5], -1
                                        ; implicit-def: $sgpr10
	s_and_saveexec_b64 s[8:9], s[12:13]
; %bb.2922:
	s_mov_b32 s10, 0x7f800001
	s_xor_b64 s[4:5], exec, -1
; %bb.2923:
	s_or_b64 exec, exec, s[8:9]
	s_and_b64 s[4:5], s[4:5], exec
	s_or_saveexec_b64 s[6:7], s[6:7]
	v_mov_b32_e32 v10, s10
	s_xor_b64 exec, exec, s[6:7]
	s_cbranch_execz .LBB5_874
.LBB5_2924:
	v_mov_b32_e32 v10, 0
	v_cmp_ne_u16_sdwa s[8:9], v11, v10 src0_sel:BYTE_0 src1_sel:DWORD
	s_andn2_b64 s[4:5], s[4:5], exec
	s_and_b64 s[8:9], s[8:9], exec
	s_or_b64 s[4:5], s[4:5], s[8:9]
	s_or_b64 exec, exec, s[6:7]
	s_and_saveexec_b64 s[6:7], s[4:5]
	s_cbranch_execnz .LBB5_875
	s_branch .LBB5_876
.LBB5_2925:
	s_movk_i32 s4, 0x80
	v_cmp_eq_u16_sdwa s[12:13], v11, s4 src0_sel:BYTE_0 src1_sel:DWORD
	s_mov_b64 s[4:5], -1
                                        ; implicit-def: $sgpr10
	s_and_saveexec_b64 s[8:9], s[12:13]
; %bb.2926:
	s_mov_b32 s10, 0x7f800001
	s_xor_b64 s[4:5], exec, -1
; %bb.2927:
	s_or_b64 exec, exec, s[8:9]
	s_and_b64 s[4:5], s[4:5], exec
	s_or_saveexec_b64 s[6:7], s[6:7]
	v_mov_b32_e32 v12, s10
	s_xor_b64 exec, exec, s[6:7]
	s_cbranch_execz .LBB5_878
.LBB5_2928:
	v_mov_b32_e32 v12, 0
	v_cmp_ne_u16_sdwa s[8:9], v11, v12 src0_sel:BYTE_0 src1_sel:DWORD
	s_andn2_b64 s[4:5], s[4:5], exec
	s_and_b64 s[8:9], s[8:9], exec
	s_or_b64 s[4:5], s[4:5], s[8:9]
	s_or_b64 exec, exec, s[6:7]
	s_and_saveexec_b64 s[6:7], s[4:5]
	s_cbranch_execnz .LBB5_879
	s_branch .LBB5_880
.LBB5_2929:
	s_movk_i32 s4, 0x80
	v_cmp_eq_u16_e32 vcc, s4, v11
	s_mov_b64 s[4:5], -1
                                        ; implicit-def: $sgpr10
	s_and_saveexec_b64 s[8:9], vcc
; %bb.2930:
	s_mov_b32 s10, 0x7f800001
	s_xor_b64 s[4:5], exec, -1
; %bb.2931:
	s_or_b64 exec, exec, s[8:9]
	s_and_b64 s[4:5], s[4:5], exec
                                        ; implicit-def: $vgpr11
	s_or_saveexec_b64 s[6:7], s[6:7]
	v_mov_b32_e32 v10, s10
	s_xor_b64 exec, exec, s[6:7]
	s_cbranch_execz .LBB5_882
.LBB5_2932:
	v_cmp_ne_u16_e32 vcc, 0, v11
	s_andn2_b64 s[4:5], s[4:5], exec
	s_and_b64 s[8:9], vcc, exec
	v_mov_b32_e32 v10, 0
	s_or_b64 s[4:5], s[4:5], s[8:9]
	s_or_b64 exec, exec, s[6:7]
	s_and_saveexec_b64 s[6:7], s[4:5]
	s_cbranch_execnz .LBB5_883
	s_branch .LBB5_884
.LBB5_2933:
	s_movk_i32 s4, 0x80
	v_cmp_eq_u16_e32 vcc, s4, v11
	s_mov_b64 s[4:5], -1
                                        ; implicit-def: $sgpr10
	s_and_saveexec_b64 s[8:9], vcc
; %bb.2934:
	s_mov_b32 s10, 0x7f800001
	s_xor_b64 s[4:5], exec, -1
; %bb.2935:
	s_or_b64 exec, exec, s[8:9]
	s_and_b64 s[4:5], s[4:5], exec
                                        ; implicit-def: $vgpr11
	s_or_saveexec_b64 s[6:7], s[6:7]
	v_mov_b32_e32 v12, s10
	s_xor_b64 exec, exec, s[6:7]
	s_cbranch_execz .LBB5_886
.LBB5_2936:
	v_cmp_ne_u16_e32 vcc, 0, v11
	s_andn2_b64 s[4:5], s[4:5], exec
	s_and_b64 s[8:9], vcc, exec
	v_mov_b32_e32 v12, 0
	s_or_b64 s[4:5], s[4:5], s[8:9]
	s_or_b64 exec, exec, s[6:7]
	s_and_saveexec_b64 s[6:7], s[4:5]
	s_cbranch_execnz .LBB5_887
	s_branch .LBB5_888
.LBB5_2937:
	s_movk_i32 s4, 0x80
	v_cmp_eq_u16_sdwa s[12:13], v17, s4 src0_sel:BYTE_3 src1_sel:DWORD
	s_mov_b64 s[4:5], -1
                                        ; implicit-def: $sgpr10
	s_and_saveexec_b64 s[8:9], s[12:13]
; %bb.2938:
	s_mov_b32 s10, 0x7f800001
	s_xor_b64 s[4:5], exec, -1
; %bb.2939:
	s_or_b64 exec, exec, s[8:9]
	s_and_b64 s[4:5], s[4:5], exec
	s_or_saveexec_b64 s[6:7], s[6:7]
	v_mov_b32_e32 v10, s10
	s_xor_b64 exec, exec, s[6:7]
	s_cbranch_execz .LBB5_890
.LBB5_2940:
	v_mov_b32_e32 v10, 0
	v_cmp_ne_u16_sdwa s[8:9], v17, v10 src0_sel:BYTE_3 src1_sel:DWORD
	s_andn2_b64 s[4:5], s[4:5], exec
	s_and_b64 s[8:9], s[8:9], exec
	s_or_b64 s[4:5], s[4:5], s[8:9]
	s_or_b64 exec, exec, s[6:7]
	s_and_saveexec_b64 s[6:7], s[4:5]
	s_cbranch_execnz .LBB5_891
	s_branch .LBB5_892
.LBB5_2941:
	s_movk_i32 s4, 0x80
	v_cmp_eq_u16_sdwa s[12:13], v13, s4 src0_sel:BYTE_3 src1_sel:DWORD
	s_mov_b64 s[4:5], -1
                                        ; implicit-def: $sgpr10
	s_and_saveexec_b64 s[8:9], s[12:13]
; %bb.2942:
	s_mov_b32 s10, 0x7f800001
	s_xor_b64 s[4:5], exec, -1
; %bb.2943:
	s_or_b64 exec, exec, s[8:9]
	s_and_b64 s[4:5], s[4:5], exec
	s_or_saveexec_b64 s[6:7], s[6:7]
	v_mov_b32_e32 v11, s10
	s_xor_b64 exec, exec, s[6:7]
	s_cbranch_execz .LBB5_894
.LBB5_2944:
	v_mov_b32_e32 v11, 0
	v_cmp_ne_u16_sdwa s[8:9], v13, v11 src0_sel:BYTE_3 src1_sel:DWORD
	s_andn2_b64 s[4:5], s[4:5], exec
	s_and_b64 s[8:9], s[8:9], exec
	s_or_b64 s[4:5], s[4:5], s[8:9]
	s_or_b64 exec, exec, s[6:7]
	s_and_saveexec_b64 s[6:7], s[4:5]
	s_cbranch_execnz .LBB5_895
	s_branch .LBB5_896
.LBB5_2945:
	s_movk_i32 s4, 0x80
	v_cmp_eq_u16_sdwa s[12:13], v6, s4 src0_sel:BYTE_0 src1_sel:DWORD
	s_mov_b64 s[4:5], -1
                                        ; implicit-def: $sgpr10
	s_and_saveexec_b64 s[8:9], s[12:13]
; %bb.2946:
	s_mov_b32 s10, 0x7f800001
	s_xor_b64 s[4:5], exec, -1
; %bb.2947:
	s_or_b64 exec, exec, s[8:9]
	s_and_b64 s[4:5], s[4:5], exec
	s_or_saveexec_b64 s[6:7], s[6:7]
	v_mov_b32_e32 v10, s10
	s_xor_b64 exec, exec, s[6:7]
	s_cbranch_execz .LBB5_898
.LBB5_2948:
	v_mov_b32_e32 v10, 0
	v_cmp_ne_u16_sdwa s[8:9], v6, v10 src0_sel:BYTE_0 src1_sel:DWORD
	s_andn2_b64 s[4:5], s[4:5], exec
	s_and_b64 s[8:9], s[8:9], exec
	s_or_b64 s[4:5], s[4:5], s[8:9]
	s_or_b64 exec, exec, s[6:7]
	s_and_saveexec_b64 s[6:7], s[4:5]
	s_cbranch_execnz .LBB5_899
	s_branch .LBB5_900
.LBB5_2949:
	s_movk_i32 s4, 0x80
	v_cmp_eq_u16_sdwa s[12:13], v2, s4 src0_sel:BYTE_0 src1_sel:DWORD
	s_mov_b64 s[4:5], -1
                                        ; implicit-def: $sgpr10
	s_and_saveexec_b64 s[8:9], s[12:13]
; %bb.2950:
	s_mov_b32 s10, 0x7f800001
	s_xor_b64 s[4:5], exec, -1
; %bb.2951:
	s_or_b64 exec, exec, s[8:9]
	s_and_b64 s[4:5], s[4:5], exec
	s_or_saveexec_b64 s[6:7], s[6:7]
	v_mov_b32_e32 v11, s10
	s_xor_b64 exec, exec, s[6:7]
	s_cbranch_execz .LBB5_902
.LBB5_2952:
	v_mov_b32_e32 v11, 0
	v_cmp_ne_u16_sdwa s[8:9], v2, v11 src0_sel:BYTE_0 src1_sel:DWORD
	s_andn2_b64 s[4:5], s[4:5], exec
	s_and_b64 s[8:9], s[8:9], exec
	s_or_b64 s[4:5], s[4:5], s[8:9]
	s_or_b64 exec, exec, s[6:7]
	s_and_saveexec_b64 s[6:7], s[4:5]
	s_cbranch_execnz .LBB5_903
	s_branch .LBB5_904
.LBB5_2953:
	s_movk_i32 s4, 0x80
	v_cmp_eq_u16_sdwa s[12:13], v11, s4 src0_sel:BYTE_0 src1_sel:DWORD
	s_mov_b64 s[4:5], -1
                                        ; implicit-def: $sgpr10
	s_and_saveexec_b64 s[8:9], s[12:13]
; %bb.2954:
	s_mov_b32 s10, 0x7f800001
	s_xor_b64 s[4:5], exec, -1
; %bb.2955:
	s_or_b64 exec, exec, s[8:9]
	s_and_b64 s[4:5], s[4:5], exec
	s_or_saveexec_b64 s[6:7], s[6:7]
	v_mov_b32_e32 v10, s10
	s_xor_b64 exec, exec, s[6:7]
	s_cbranch_execz .LBB5_906
.LBB5_2956:
	v_mov_b32_e32 v10, 0
	v_cmp_ne_u16_sdwa s[8:9], v11, v10 src0_sel:BYTE_0 src1_sel:DWORD
	s_andn2_b64 s[4:5], s[4:5], exec
	s_and_b64 s[8:9], s[8:9], exec
	s_or_b64 s[4:5], s[4:5], s[8:9]
	s_or_b64 exec, exec, s[6:7]
	s_and_saveexec_b64 s[6:7], s[4:5]
	s_cbranch_execnz .LBB5_907
	s_branch .LBB5_908
.LBB5_2957:
	s_movk_i32 s4, 0x80
	v_cmp_eq_u16_sdwa s[12:13], v11, s4 src0_sel:BYTE_0 src1_sel:DWORD
	s_mov_b64 s[4:5], -1
                                        ; implicit-def: $sgpr10
	s_and_saveexec_b64 s[8:9], s[12:13]
; %bb.2958:
	s_mov_b32 s10, 0x7f800001
	s_xor_b64 s[4:5], exec, -1
; %bb.2959:
	s_or_b64 exec, exec, s[8:9]
	s_and_b64 s[4:5], s[4:5], exec
	s_or_saveexec_b64 s[6:7], s[6:7]
	v_mov_b32_e32 v12, s10
	s_xor_b64 exec, exec, s[6:7]
	s_cbranch_execz .LBB5_910
.LBB5_2960:
	v_mov_b32_e32 v12, 0
	v_cmp_ne_u16_sdwa s[8:9], v11, v12 src0_sel:BYTE_0 src1_sel:DWORD
	s_andn2_b64 s[4:5], s[4:5], exec
	s_and_b64 s[8:9], s[8:9], exec
	s_or_b64 s[4:5], s[4:5], s[8:9]
	s_or_b64 exec, exec, s[6:7]
	s_and_saveexec_b64 s[6:7], s[4:5]
	s_cbranch_execnz .LBB5_911
	s_branch .LBB5_912
.LBB5_2961:
	s_movk_i32 s4, 0x80
	v_cmp_eq_u16_e32 vcc, s4, v11
	s_mov_b64 s[4:5], -1
                                        ; implicit-def: $sgpr10
	s_and_saveexec_b64 s[8:9], vcc
; %bb.2962:
	s_mov_b32 s10, 0x7f800001
	s_xor_b64 s[4:5], exec, -1
; %bb.2963:
	s_or_b64 exec, exec, s[8:9]
	s_and_b64 s[4:5], s[4:5], exec
                                        ; implicit-def: $vgpr11
	s_or_saveexec_b64 s[6:7], s[6:7]
	v_mov_b32_e32 v10, s10
	s_xor_b64 exec, exec, s[6:7]
	s_cbranch_execz .LBB5_914
.LBB5_2964:
	v_cmp_ne_u16_e32 vcc, 0, v11
	s_andn2_b64 s[4:5], s[4:5], exec
	s_and_b64 s[8:9], vcc, exec
	v_mov_b32_e32 v10, 0
	s_or_b64 s[4:5], s[4:5], s[8:9]
	s_or_b64 exec, exec, s[6:7]
	s_and_saveexec_b64 s[6:7], s[4:5]
	s_cbranch_execnz .LBB5_915
	s_branch .LBB5_916
.LBB5_2965:
	s_movk_i32 s4, 0x80
	v_cmp_eq_u16_e32 vcc, s4, v11
	s_mov_b64 s[4:5], -1
                                        ; implicit-def: $sgpr10
	s_and_saveexec_b64 s[8:9], vcc
; %bb.2966:
	s_mov_b32 s10, 0x7f800001
	s_xor_b64 s[4:5], exec, -1
; %bb.2967:
	s_or_b64 exec, exec, s[8:9]
	s_and_b64 s[4:5], s[4:5], exec
                                        ; implicit-def: $vgpr11
	s_or_saveexec_b64 s[6:7], s[6:7]
	v_mov_b32_e32 v12, s10
	s_xor_b64 exec, exec, s[6:7]
	s_cbranch_execz .LBB5_918
.LBB5_2968:
	v_cmp_ne_u16_e32 vcc, 0, v11
	s_andn2_b64 s[4:5], s[4:5], exec
	s_and_b64 s[8:9], vcc, exec
	v_mov_b32_e32 v12, 0
	s_or_b64 s[4:5], s[4:5], s[8:9]
	s_or_b64 exec, exec, s[6:7]
	s_and_saveexec_b64 s[6:7], s[4:5]
	s_cbranch_execnz .LBB5_919
	s_branch .LBB5_920
.LBB5_2969:
	s_movk_i32 s4, 0x80
	v_cmp_eq_u16_sdwa s[12:13], v6, s4 src0_sel:BYTE_3 src1_sel:DWORD
	s_mov_b64 s[4:5], -1
                                        ; implicit-def: $sgpr10
	s_and_saveexec_b64 s[8:9], s[12:13]
; %bb.2970:
	s_mov_b32 s10, 0x7f800001
	s_xor_b64 s[4:5], exec, -1
; %bb.2971:
	s_or_b64 exec, exec, s[8:9]
	s_and_b64 s[4:5], s[4:5], exec
	s_or_saveexec_b64 s[6:7], s[6:7]
	v_mov_b32_e32 v10, s10
	s_xor_b64 exec, exec, s[6:7]
	s_cbranch_execz .LBB5_922
.LBB5_2972:
	v_mov_b32_e32 v10, 0
	v_cmp_ne_u16_sdwa s[8:9], v6, v10 src0_sel:BYTE_3 src1_sel:DWORD
	s_andn2_b64 s[4:5], s[4:5], exec
	s_and_b64 s[8:9], s[8:9], exec
	s_or_b64 s[4:5], s[4:5], s[8:9]
	s_or_b64 exec, exec, s[6:7]
	s_and_saveexec_b64 s[6:7], s[4:5]
	s_cbranch_execnz .LBB5_923
	s_branch .LBB5_924
.LBB5_2973:
	s_movk_i32 s4, 0x80
	v_cmp_eq_u16_sdwa s[12:13], v2, s4 src0_sel:BYTE_3 src1_sel:DWORD
	s_mov_b64 s[4:5], -1
                                        ; implicit-def: $sgpr10
	s_and_saveexec_b64 s[8:9], s[12:13]
; %bb.2974:
	s_mov_b32 s10, 0x7f800001
	s_xor_b64 s[4:5], exec, -1
; %bb.2975:
	s_or_b64 exec, exec, s[8:9]
	s_and_b64 s[4:5], s[4:5], exec
	s_or_saveexec_b64 s[6:7], s[6:7]
	v_mov_b32_e32 v6, s10
	s_xor_b64 exec, exec, s[6:7]
	s_cbranch_execz .LBB5_926
.LBB5_2976:
	v_mov_b32_e32 v6, 0
	v_cmp_ne_u16_sdwa s[8:9], v2, v6 src0_sel:BYTE_3 src1_sel:DWORD
	s_andn2_b64 s[4:5], s[4:5], exec
	s_and_b64 s[8:9], s[8:9], exec
	s_or_b64 s[4:5], s[4:5], s[8:9]
	s_or_b64 exec, exec, s[6:7]
	s_and_saveexec_b64 s[6:7], s[4:5]
	s_cbranch_execnz .LBB5_927
	s_branch .LBB5_928
.LBB5_2977:
	s_movk_i32 s4, 0x80
	v_cmp_eq_u16_sdwa s[12:13], v7, s4 src0_sel:BYTE_0 src1_sel:DWORD
	s_mov_b64 s[4:5], -1
                                        ; implicit-def: $sgpr10
	s_and_saveexec_b64 s[8:9], s[12:13]
; %bb.2978:
	s_mov_b32 s10, 0x7f800001
	s_xor_b64 s[4:5], exec, -1
; %bb.2979:
	s_or_b64 exec, exec, s[8:9]
	s_and_b64 s[4:5], s[4:5], exec
	s_or_saveexec_b64 s[6:7], s[6:7]
	v_mov_b32_e32 v2, s10
	s_xor_b64 exec, exec, s[6:7]
	s_cbranch_execz .LBB5_930
.LBB5_2980:
	v_mov_b32_e32 v2, 0
	v_cmp_ne_u16_sdwa s[8:9], v7, v2 src0_sel:BYTE_0 src1_sel:DWORD
	s_andn2_b64 s[4:5], s[4:5], exec
	s_and_b64 s[8:9], s[8:9], exec
	s_or_b64 s[4:5], s[4:5], s[8:9]
	s_or_b64 exec, exec, s[6:7]
	s_and_saveexec_b64 s[6:7], s[4:5]
	s_cbranch_execnz .LBB5_931
	s_branch .LBB5_932
.LBB5_2981:
	s_movk_i32 s4, 0x80
	v_cmp_eq_u16_sdwa s[12:13], v3, s4 src0_sel:BYTE_0 src1_sel:DWORD
	s_mov_b64 s[4:5], -1
                                        ; implicit-def: $sgpr10
	s_and_saveexec_b64 s[8:9], s[12:13]
; %bb.2982:
	s_mov_b32 s10, 0x7f800001
	s_xor_b64 s[4:5], exec, -1
; %bb.2983:
	s_or_b64 exec, exec, s[8:9]
	s_and_b64 s[4:5], s[4:5], exec
	s_or_saveexec_b64 s[6:7], s[6:7]
	v_mov_b32_e32 v6, s10
	s_xor_b64 exec, exec, s[6:7]
	s_cbranch_execz .LBB5_934
.LBB5_2984:
	v_mov_b32_e32 v6, 0
	v_cmp_ne_u16_sdwa s[8:9], v3, v6 src0_sel:BYTE_0 src1_sel:DWORD
	s_andn2_b64 s[4:5], s[4:5], exec
	s_and_b64 s[8:9], s[8:9], exec
	s_or_b64 s[4:5], s[4:5], s[8:9]
	s_or_b64 exec, exec, s[6:7]
	s_and_saveexec_b64 s[6:7], s[4:5]
	s_cbranch_execnz .LBB5_935
	s_branch .LBB5_936
.LBB5_2985:
	s_movk_i32 s4, 0x80
	v_cmp_eq_u16_sdwa s[12:13], v6, s4 src0_sel:BYTE_0 src1_sel:DWORD
	s_mov_b64 s[4:5], -1
                                        ; implicit-def: $sgpr10
	s_and_saveexec_b64 s[8:9], s[12:13]
; %bb.2986:
	s_mov_b32 s10, 0x7f800001
	s_xor_b64 s[4:5], exec, -1
; %bb.2987:
	s_or_b64 exec, exec, s[8:9]
	s_and_b64 s[4:5], s[4:5], exec
	s_or_saveexec_b64 s[6:7], s[6:7]
	v_mov_b32_e32 v2, s10
	s_xor_b64 exec, exec, s[6:7]
	s_cbranch_execz .LBB5_938
.LBB5_2988:
	v_mov_b32_e32 v2, 0
	v_cmp_ne_u16_sdwa s[8:9], v6, v2 src0_sel:BYTE_0 src1_sel:DWORD
	s_andn2_b64 s[4:5], s[4:5], exec
	s_and_b64 s[8:9], s[8:9], exec
	s_or_b64 s[4:5], s[4:5], s[8:9]
	s_or_b64 exec, exec, s[6:7]
	s_and_saveexec_b64 s[6:7], s[4:5]
	s_cbranch_execnz .LBB5_939
	s_branch .LBB5_940
.LBB5_2989:
	s_movk_i32 s4, 0x80
	v_cmp_eq_u16_sdwa s[12:13], v6, s4 src0_sel:BYTE_0 src1_sel:DWORD
	s_mov_b64 s[4:5], -1
                                        ; implicit-def: $sgpr10
	s_and_saveexec_b64 s[8:9], s[12:13]
; %bb.2990:
	s_mov_b32 s10, 0x7f800001
	s_xor_b64 s[4:5], exec, -1
; %bb.2991:
	s_or_b64 exec, exec, s[8:9]
	s_and_b64 s[4:5], s[4:5], exec
	s_or_saveexec_b64 s[6:7], s[6:7]
	v_mov_b32_e32 v10, s10
	s_xor_b64 exec, exec, s[6:7]
	s_cbranch_execz .LBB5_942
.LBB5_2992:
	v_mov_b32_e32 v10, 0
	v_cmp_ne_u16_sdwa s[8:9], v6, v10 src0_sel:BYTE_0 src1_sel:DWORD
	s_andn2_b64 s[4:5], s[4:5], exec
	s_and_b64 s[8:9], s[8:9], exec
	s_or_b64 s[4:5], s[4:5], s[8:9]
	s_or_b64 exec, exec, s[6:7]
	s_and_saveexec_b64 s[6:7], s[4:5]
	s_cbranch_execnz .LBB5_943
	s_branch .LBB5_944
.LBB5_2993:
	s_movk_i32 s4, 0x80
	v_cmp_eq_u16_e32 vcc, s4, v6
	s_mov_b64 s[4:5], -1
                                        ; implicit-def: $sgpr10
	s_and_saveexec_b64 s[8:9], vcc
; %bb.2994:
	s_mov_b32 s10, 0x7f800001
	s_xor_b64 s[4:5], exec, -1
; %bb.2995:
	s_or_b64 exec, exec, s[8:9]
	s_and_b64 s[4:5], s[4:5], exec
                                        ; implicit-def: $vgpr6
	s_or_saveexec_b64 s[6:7], s[6:7]
	v_mov_b32_e32 v2, s10
	s_xor_b64 exec, exec, s[6:7]
	s_cbranch_execz .LBB5_946
.LBB5_2996:
	v_cmp_ne_u16_e32 vcc, 0, v6
	s_andn2_b64 s[4:5], s[4:5], exec
	s_and_b64 s[8:9], vcc, exec
	v_mov_b32_e32 v2, 0
	s_or_b64 s[4:5], s[4:5], s[8:9]
	s_or_b64 exec, exec, s[6:7]
	s_and_saveexec_b64 s[6:7], s[4:5]
	s_cbranch_execnz .LBB5_947
	s_branch .LBB5_948
.LBB5_2997:
	s_movk_i32 s4, 0x80
	v_cmp_eq_u16_e32 vcc, s4, v6
	s_mov_b64 s[4:5], -1
                                        ; implicit-def: $sgpr10
	s_and_saveexec_b64 s[8:9], vcc
; %bb.2998:
	s_mov_b32 s10, 0x7f800001
	s_xor_b64 s[4:5], exec, -1
; %bb.2999:
	s_or_b64 exec, exec, s[8:9]
	s_and_b64 s[4:5], s[4:5], exec
                                        ; implicit-def: $vgpr6
	s_or_saveexec_b64 s[6:7], s[6:7]
	v_mov_b32_e32 v10, s10
	s_xor_b64 exec, exec, s[6:7]
	s_cbranch_execz .LBB5_950
.LBB5_3000:
	v_cmp_ne_u16_e32 vcc, 0, v6
	s_andn2_b64 s[4:5], s[4:5], exec
	s_and_b64 s[8:9], vcc, exec
	v_mov_b32_e32 v10, 0
	s_or_b64 s[4:5], s[4:5], s[8:9]
	s_or_b64 exec, exec, s[6:7]
	s_and_saveexec_b64 s[6:7], s[4:5]
	s_cbranch_execnz .LBB5_951
	s_branch .LBB5_952
.LBB5_3001:
	s_movk_i32 s4, 0x80
	v_cmp_eq_u16_sdwa s[12:13], v7, s4 src0_sel:BYTE_3 src1_sel:DWORD
	s_mov_b64 s[4:5], -1
                                        ; implicit-def: $sgpr10
	s_and_saveexec_b64 s[8:9], s[12:13]
; %bb.3002:
	s_mov_b32 s10, 0x7f800001
	s_xor_b64 s[4:5], exec, -1
; %bb.3003:
	s_or_b64 exec, exec, s[8:9]
	s_and_b64 s[4:5], s[4:5], exec
	s_or_saveexec_b64 s[6:7], s[6:7]
	v_mov_b32_e32 v2, s10
	s_xor_b64 exec, exec, s[6:7]
	s_cbranch_execz .LBB5_954
.LBB5_3004:
	v_mov_b32_e32 v2, 0
	v_cmp_ne_u16_sdwa s[8:9], v7, v2 src0_sel:BYTE_3 src1_sel:DWORD
	s_andn2_b64 s[4:5], s[4:5], exec
	s_and_b64 s[8:9], s[8:9], exec
	s_or_b64 s[4:5], s[4:5], s[8:9]
	s_or_b64 exec, exec, s[6:7]
	s_and_saveexec_b64 s[6:7], s[4:5]
	s_cbranch_execnz .LBB5_955
	s_branch .LBB5_956
.LBB5_3005:
	s_movk_i32 s4, 0x80
	v_cmp_eq_u16_sdwa s[12:13], v3, s4 src0_sel:BYTE_3 src1_sel:DWORD
	s_mov_b64 s[4:5], -1
                                        ; implicit-def: $sgpr10
	s_and_saveexec_b64 s[8:9], s[12:13]
; %bb.3006:
	s_mov_b32 s10, 0x7f800001
	s_xor_b64 s[4:5], exec, -1
; %bb.3007:
	s_or_b64 exec, exec, s[8:9]
	s_and_b64 s[4:5], s[4:5], exec
	s_or_saveexec_b64 s[6:7], s[6:7]
	v_mov_b32_e32 v6, s10
	s_xor_b64 exec, exec, s[6:7]
	s_cbranch_execz .LBB5_958
.LBB5_3008:
	v_mov_b32_e32 v6, 0
	v_cmp_ne_u16_sdwa s[8:9], v3, v6 src0_sel:BYTE_3 src1_sel:DWORD
	s_andn2_b64 s[4:5], s[4:5], exec
	s_and_b64 s[8:9], s[8:9], exec
	s_or_b64 s[4:5], s[4:5], s[8:9]
	s_or_b64 exec, exec, s[6:7]
	s_and_saveexec_b64 s[6:7], s[4:5]
	s_cbranch_execnz .LBB5_959
	s_branch .LBB5_960
.LBB5_3009:
	s_movk_i32 s4, 0x80
	v_cmp_eq_u16_sdwa s[12:13], v8, s4 src0_sel:BYTE_0 src1_sel:DWORD
	s_mov_b64 s[4:5], -1
                                        ; implicit-def: $sgpr10
	s_and_saveexec_b64 s[8:9], s[12:13]
; %bb.3010:
	s_mov_b32 s10, 0x7f800001
	s_xor_b64 s[4:5], exec, -1
; %bb.3011:
	s_or_b64 exec, exec, s[8:9]
	s_and_b64 s[4:5], s[4:5], exec
	s_or_saveexec_b64 s[6:7], s[6:7]
	v_mov_b32_e32 v2, s10
	s_xor_b64 exec, exec, s[6:7]
	s_cbranch_execz .LBB5_962
.LBB5_3012:
	v_mov_b32_e32 v2, 0
	v_cmp_ne_u16_sdwa s[8:9], v8, v2 src0_sel:BYTE_0 src1_sel:DWORD
	s_andn2_b64 s[4:5], s[4:5], exec
	s_and_b64 s[8:9], s[8:9], exec
	s_or_b64 s[4:5], s[4:5], s[8:9]
	s_or_b64 exec, exec, s[6:7]
	s_and_saveexec_b64 s[6:7], s[4:5]
	s_cbranch_execnz .LBB5_963
	s_branch .LBB5_964
.LBB5_3013:
	s_movk_i32 s4, 0x80
	v_cmp_eq_u16_sdwa s[12:13], v4, s4 src0_sel:BYTE_0 src1_sel:DWORD
	s_mov_b64 s[4:5], -1
                                        ; implicit-def: $sgpr10
	s_and_saveexec_b64 s[8:9], s[12:13]
; %bb.3014:
	s_mov_b32 s10, 0x7f800001
	s_xor_b64 s[4:5], exec, -1
; %bb.3015:
	s_or_b64 exec, exec, s[8:9]
	s_and_b64 s[4:5], s[4:5], exec
	s_or_saveexec_b64 s[6:7], s[6:7]
	v_mov_b32_e32 v3, s10
	s_xor_b64 exec, exec, s[6:7]
	s_cbranch_execz .LBB5_966
.LBB5_3016:
	v_mov_b32_e32 v3, 0
	v_cmp_ne_u16_sdwa s[8:9], v4, v3 src0_sel:BYTE_0 src1_sel:DWORD
	s_andn2_b64 s[4:5], s[4:5], exec
	s_and_b64 s[8:9], s[8:9], exec
	s_or_b64 s[4:5], s[4:5], s[8:9]
	s_or_b64 exec, exec, s[6:7]
	s_and_saveexec_b64 s[6:7], s[4:5]
	s_cbranch_execnz .LBB5_967
	s_branch .LBB5_968
.LBB5_3017:
	s_movk_i32 s4, 0x80
	v_cmp_eq_u16_sdwa s[12:13], v3, s4 src0_sel:BYTE_0 src1_sel:DWORD
	s_mov_b64 s[4:5], -1
                                        ; implicit-def: $sgpr10
	s_and_saveexec_b64 s[8:9], s[12:13]
; %bb.3018:
	s_mov_b32 s10, 0x7f800001
	s_xor_b64 s[4:5], exec, -1
; %bb.3019:
	s_or_b64 exec, exec, s[8:9]
	s_and_b64 s[4:5], s[4:5], exec
	s_or_saveexec_b64 s[6:7], s[6:7]
	v_mov_b32_e32 v2, s10
	s_xor_b64 exec, exec, s[6:7]
	s_cbranch_execz .LBB5_970
.LBB5_3020:
	v_mov_b32_e32 v2, 0
	v_cmp_ne_u16_sdwa s[8:9], v3, v2 src0_sel:BYTE_0 src1_sel:DWORD
	s_andn2_b64 s[4:5], s[4:5], exec
	s_and_b64 s[8:9], s[8:9], exec
	s_or_b64 s[4:5], s[4:5], s[8:9]
	s_or_b64 exec, exec, s[6:7]
	s_and_saveexec_b64 s[6:7], s[4:5]
	s_cbranch_execnz .LBB5_971
	s_branch .LBB5_972
.LBB5_3021:
	s_movk_i32 s4, 0x80
	v_cmp_eq_u16_sdwa s[12:13], v3, s4 src0_sel:BYTE_0 src1_sel:DWORD
	s_mov_b64 s[4:5], -1
                                        ; implicit-def: $sgpr10
	s_and_saveexec_b64 s[8:9], s[12:13]
; %bb.3022:
	s_mov_b32 s10, 0x7f800001
	s_xor_b64 s[4:5], exec, -1
; %bb.3023:
	s_or_b64 exec, exec, s[8:9]
	s_and_b64 s[4:5], s[4:5], exec
	s_or_saveexec_b64 s[6:7], s[6:7]
	v_mov_b32_e32 v6, s10
	s_xor_b64 exec, exec, s[6:7]
	s_cbranch_execz .LBB5_974
.LBB5_3024:
	v_mov_b32_e32 v6, 0
	v_cmp_ne_u16_sdwa s[8:9], v3, v6 src0_sel:BYTE_0 src1_sel:DWORD
	s_andn2_b64 s[4:5], s[4:5], exec
	s_and_b64 s[8:9], s[8:9], exec
	s_or_b64 s[4:5], s[4:5], s[8:9]
	s_or_b64 exec, exec, s[6:7]
	s_and_saveexec_b64 s[6:7], s[4:5]
	s_cbranch_execnz .LBB5_975
	s_branch .LBB5_976
.LBB5_3025:
	s_movk_i32 s4, 0x80
	v_cmp_eq_u16_e32 vcc, s4, v3
	s_mov_b64 s[4:5], -1
                                        ; implicit-def: $sgpr10
	s_and_saveexec_b64 s[8:9], vcc
; %bb.3026:
	s_mov_b32 s10, 0x7f800001
	s_xor_b64 s[4:5], exec, -1
; %bb.3027:
	s_or_b64 exec, exec, s[8:9]
	s_and_b64 s[4:5], s[4:5], exec
                                        ; implicit-def: $vgpr3
	s_or_saveexec_b64 s[6:7], s[6:7]
	v_mov_b32_e32 v2, s10
	s_xor_b64 exec, exec, s[6:7]
	s_cbranch_execz .LBB5_978
.LBB5_3028:
	v_cmp_ne_u16_e32 vcc, 0, v3
	s_andn2_b64 s[4:5], s[4:5], exec
	s_and_b64 s[8:9], vcc, exec
	v_mov_b32_e32 v2, 0
	s_or_b64 s[4:5], s[4:5], s[8:9]
	s_or_b64 exec, exec, s[6:7]
	s_and_saveexec_b64 s[6:7], s[4:5]
	s_cbranch_execnz .LBB5_979
	s_branch .LBB5_980
.LBB5_3029:
	s_movk_i32 s4, 0x80
	v_cmp_eq_u16_e32 vcc, s4, v3
	s_mov_b64 s[4:5], -1
                                        ; implicit-def: $sgpr10
	s_and_saveexec_b64 s[8:9], vcc
; %bb.3030:
	s_mov_b32 s10, 0x7f800001
	s_xor_b64 s[4:5], exec, -1
; %bb.3031:
	s_or_b64 exec, exec, s[8:9]
	s_and_b64 s[4:5], s[4:5], exec
                                        ; implicit-def: $vgpr3
	s_or_saveexec_b64 s[6:7], s[6:7]
	v_mov_b32_e32 v6, s10
	s_xor_b64 exec, exec, s[6:7]
	s_cbranch_execz .LBB5_982
.LBB5_3032:
	v_cmp_ne_u16_e32 vcc, 0, v3
	s_andn2_b64 s[4:5], s[4:5], exec
	s_and_b64 s[8:9], vcc, exec
	v_mov_b32_e32 v6, 0
	s_or_b64 s[4:5], s[4:5], s[8:9]
	s_or_b64 exec, exec, s[6:7]
	s_and_saveexec_b64 s[6:7], s[4:5]
	s_cbranch_execnz .LBB5_983
	s_branch .LBB5_984
.LBB5_3033:
	s_movk_i32 s4, 0x80
	v_cmp_eq_u16_sdwa s[12:13], v8, s4 src0_sel:BYTE_3 src1_sel:DWORD
	s_mov_b64 s[4:5], -1
                                        ; implicit-def: $sgpr10
	s_and_saveexec_b64 s[8:9], s[12:13]
; %bb.3034:
	s_mov_b32 s10, 0x7f800001
	s_xor_b64 s[4:5], exec, -1
; %bb.3035:
	s_or_b64 exec, exec, s[8:9]
	s_and_b64 s[4:5], s[4:5], exec
	s_or_saveexec_b64 s[6:7], s[6:7]
	v_mov_b32_e32 v2, s10
	s_xor_b64 exec, exec, s[6:7]
	s_cbranch_execz .LBB5_986
.LBB5_3036:
	v_mov_b32_e32 v2, 0
	v_cmp_ne_u16_sdwa s[8:9], v8, v2 src0_sel:BYTE_3 src1_sel:DWORD
	s_andn2_b64 s[4:5], s[4:5], exec
	s_and_b64 s[8:9], s[8:9], exec
	s_or_b64 s[4:5], s[4:5], s[8:9]
	s_or_b64 exec, exec, s[6:7]
	s_and_saveexec_b64 s[6:7], s[4:5]
	s_cbranch_execnz .LBB5_987
	s_branch .LBB5_988
.LBB5_3037:
	s_movk_i32 s4, 0x80
	v_cmp_eq_u16_sdwa s[12:13], v4, s4 src0_sel:BYTE_3 src1_sel:DWORD
	s_mov_b64 s[4:5], -1
                                        ; implicit-def: $sgpr10
	s_and_saveexec_b64 s[8:9], s[12:13]
; %bb.3038:
	s_mov_b32 s10, 0x7f800001
	s_xor_b64 s[4:5], exec, -1
; %bb.3039:
	s_or_b64 exec, exec, s[8:9]
	s_and_b64 s[4:5], s[4:5], exec
	s_or_saveexec_b64 s[6:7], s[6:7]
	v_mov_b32_e32 v3, s10
	s_xor_b64 exec, exec, s[6:7]
	s_cbranch_execz .LBB5_990
.LBB5_3040:
	v_mov_b32_e32 v3, 0
	v_cmp_ne_u16_sdwa s[8:9], v4, v3 src0_sel:BYTE_3 src1_sel:DWORD
	s_andn2_b64 s[4:5], s[4:5], exec
	s_and_b64 s[8:9], s[8:9], exec
	s_or_b64 s[4:5], s[4:5], s[8:9]
	s_or_b64 exec, exec, s[6:7]
	s_and_saveexec_b64 s[6:7], s[4:5]
	s_cbranch_execnz .LBB5_991
	s_branch .LBB5_992
.LBB5_3041:
	s_movk_i32 s4, 0x80
	v_cmp_eq_u16_sdwa s[12:13], v9, s4 src0_sel:BYTE_0 src1_sel:DWORD
	s_mov_b64 s[4:5], -1
                                        ; implicit-def: $sgpr10
	s_and_saveexec_b64 s[8:9], s[12:13]
; %bb.3042:
	s_mov_b32 s10, 0x7f800001
	s_xor_b64 s[4:5], exec, -1
; %bb.3043:
	s_or_b64 exec, exec, s[8:9]
	s_and_b64 s[4:5], s[4:5], exec
	s_or_saveexec_b64 s[6:7], s[6:7]
	v_mov_b32_e32 v2, s10
	s_xor_b64 exec, exec, s[6:7]
	s_cbranch_execz .LBB5_994
.LBB5_3044:
	v_mov_b32_e32 v2, 0
	v_cmp_ne_u16_sdwa s[8:9], v9, v2 src0_sel:BYTE_0 src1_sel:DWORD
	s_andn2_b64 s[4:5], s[4:5], exec
	s_and_b64 s[8:9], s[8:9], exec
	s_or_b64 s[4:5], s[4:5], s[8:9]
	s_or_b64 exec, exec, s[6:7]
	s_and_saveexec_b64 s[6:7], s[4:5]
	s_cbranch_execnz .LBB5_995
	s_branch .LBB5_996
.LBB5_3045:
	s_movk_i32 s4, 0x80
	v_cmp_eq_u16_sdwa s[12:13], v5, s4 src0_sel:BYTE_0 src1_sel:DWORD
	s_mov_b64 s[4:5], -1
                                        ; implicit-def: $sgpr10
	s_and_saveexec_b64 s[8:9], s[12:13]
; %bb.3046:
	s_mov_b32 s10, 0x7f800001
	s_xor_b64 s[4:5], exec, -1
; %bb.3047:
	s_or_b64 exec, exec, s[8:9]
	s_and_b64 s[4:5], s[4:5], exec
	s_or_saveexec_b64 s[6:7], s[6:7]
	v_mov_b32_e32 v3, s10
	s_xor_b64 exec, exec, s[6:7]
	s_cbranch_execz .LBB5_998
.LBB5_3048:
	v_mov_b32_e32 v3, 0
	v_cmp_ne_u16_sdwa s[8:9], v5, v3 src0_sel:BYTE_0 src1_sel:DWORD
	s_andn2_b64 s[4:5], s[4:5], exec
	s_and_b64 s[8:9], s[8:9], exec
	s_or_b64 s[4:5], s[4:5], s[8:9]
	s_or_b64 exec, exec, s[6:7]
	s_and_saveexec_b64 s[6:7], s[4:5]
	s_cbranch_execnz .LBB5_999
	s_branch .LBB5_1000
.LBB5_3049:
	s_movk_i32 s4, 0x80
	v_cmp_eq_u16_sdwa s[12:13], v3, s4 src0_sel:BYTE_0 src1_sel:DWORD
	s_mov_b64 s[4:5], -1
                                        ; implicit-def: $sgpr10
	s_and_saveexec_b64 s[8:9], s[12:13]
; %bb.3050:
	s_mov_b32 s10, 0x7f800001
	s_xor_b64 s[4:5], exec, -1
; %bb.3051:
	s_or_b64 exec, exec, s[8:9]
	s_and_b64 s[4:5], s[4:5], exec
	s_or_saveexec_b64 s[6:7], s[6:7]
	v_mov_b32_e32 v2, s10
	s_xor_b64 exec, exec, s[6:7]
	s_cbranch_execz .LBB5_1002
.LBB5_3052:
	v_mov_b32_e32 v2, 0
	v_cmp_ne_u16_sdwa s[8:9], v3, v2 src0_sel:BYTE_0 src1_sel:DWORD
	s_andn2_b64 s[4:5], s[4:5], exec
	s_and_b64 s[8:9], s[8:9], exec
	s_or_b64 s[4:5], s[4:5], s[8:9]
	s_or_b64 exec, exec, s[6:7]
	s_and_saveexec_b64 s[6:7], s[4:5]
	s_cbranch_execnz .LBB5_1003
	s_branch .LBB5_1004
.LBB5_3053:
	s_movk_i32 s4, 0x80
	v_cmp_eq_u16_sdwa s[12:13], v3, s4 src0_sel:BYTE_0 src1_sel:DWORD
	s_mov_b64 s[4:5], -1
                                        ; implicit-def: $sgpr10
	s_and_saveexec_b64 s[8:9], s[12:13]
; %bb.3054:
	s_mov_b32 s10, 0x7f800001
	s_xor_b64 s[4:5], exec, -1
; %bb.3055:
	s_or_b64 exec, exec, s[8:9]
	s_and_b64 s[4:5], s[4:5], exec
	s_or_saveexec_b64 s[6:7], s[6:7]
	v_mov_b32_e32 v4, s10
	s_xor_b64 exec, exec, s[6:7]
	s_cbranch_execz .LBB5_1006
.LBB5_3056:
	v_mov_b32_e32 v4, 0
	v_cmp_ne_u16_sdwa s[8:9], v3, v4 src0_sel:BYTE_0 src1_sel:DWORD
	s_andn2_b64 s[4:5], s[4:5], exec
	s_and_b64 s[8:9], s[8:9], exec
	s_or_b64 s[4:5], s[4:5], s[8:9]
	s_or_b64 exec, exec, s[6:7]
	s_and_saveexec_b64 s[6:7], s[4:5]
	s_cbranch_execnz .LBB5_1007
	s_branch .LBB5_1008
.LBB5_3057:
	s_movk_i32 s4, 0x80
	v_cmp_eq_u16_e32 vcc, s4, v3
	s_mov_b64 s[4:5], -1
                                        ; implicit-def: $sgpr10
	s_and_saveexec_b64 s[8:9], vcc
; %bb.3058:
	s_mov_b32 s10, 0x7f800001
	s_xor_b64 s[4:5], exec, -1
; %bb.3059:
	s_or_b64 exec, exec, s[8:9]
	s_and_b64 s[4:5], s[4:5], exec
                                        ; implicit-def: $vgpr3
	s_or_saveexec_b64 s[6:7], s[6:7]
	v_mov_b32_e32 v2, s10
	s_xor_b64 exec, exec, s[6:7]
	s_cbranch_execz .LBB5_1010
.LBB5_3060:
	v_cmp_ne_u16_e32 vcc, 0, v3
	s_andn2_b64 s[4:5], s[4:5], exec
	s_and_b64 s[8:9], vcc, exec
	v_mov_b32_e32 v2, 0
	s_or_b64 s[4:5], s[4:5], s[8:9]
	s_or_b64 exec, exec, s[6:7]
	s_and_saveexec_b64 s[6:7], s[4:5]
	s_cbranch_execnz .LBB5_1011
	s_branch .LBB5_1012
.LBB5_3061:
	s_movk_i32 s4, 0x80
	v_cmp_eq_u16_e32 vcc, s4, v3
	s_mov_b64 s[4:5], -1
                                        ; implicit-def: $sgpr10
	s_and_saveexec_b64 s[8:9], vcc
; %bb.3062:
	s_mov_b32 s10, 0x7f800001
	s_xor_b64 s[4:5], exec, -1
; %bb.3063:
	s_or_b64 exec, exec, s[8:9]
	s_and_b64 s[4:5], s[4:5], exec
                                        ; implicit-def: $vgpr3
	s_or_saveexec_b64 s[6:7], s[6:7]
	v_mov_b32_e32 v4, s10
	s_xor_b64 exec, exec, s[6:7]
	s_cbranch_execz .LBB5_1014
.LBB5_3064:
	v_cmp_ne_u16_e32 vcc, 0, v3
	s_andn2_b64 s[4:5], s[4:5], exec
	s_and_b64 s[8:9], vcc, exec
	v_mov_b32_e32 v4, 0
	s_or_b64 s[4:5], s[4:5], s[8:9]
	s_or_b64 exec, exec, s[6:7]
	s_and_saveexec_b64 s[6:7], s[4:5]
	s_cbranch_execnz .LBB5_1015
	s_branch .LBB5_1016
.LBB5_3065:
	s_movk_i32 s4, 0x80
	v_cmp_eq_u16_sdwa s[12:13], v9, s4 src0_sel:BYTE_3 src1_sel:DWORD
	s_mov_b64 s[4:5], -1
                                        ; implicit-def: $sgpr10
	s_and_saveexec_b64 s[8:9], s[12:13]
; %bb.3066:
	s_mov_b32 s10, 0x7f800001
	s_xor_b64 s[4:5], exec, -1
; %bb.3067:
	s_or_b64 exec, exec, s[8:9]
	s_and_b64 s[4:5], s[4:5], exec
	s_or_saveexec_b64 s[6:7], s[6:7]
	v_mov_b32_e32 v2, s10
	s_xor_b64 exec, exec, s[6:7]
	s_cbranch_execz .LBB5_1018
.LBB5_3068:
	v_mov_b32_e32 v2, 0
	v_cmp_ne_u16_sdwa s[8:9], v9, v2 src0_sel:BYTE_3 src1_sel:DWORD
	s_andn2_b64 s[4:5], s[4:5], exec
	s_and_b64 s[8:9], s[8:9], exec
	s_or_b64 s[4:5], s[4:5], s[8:9]
	s_or_b64 exec, exec, s[6:7]
	s_and_saveexec_b64 s[6:7], s[4:5]
	s_cbranch_execnz .LBB5_1019
	s_branch .LBB5_1020
.LBB5_3069:
	s_movk_i32 s4, 0x80
	v_cmp_eq_u16_sdwa s[12:13], v5, s4 src0_sel:BYTE_3 src1_sel:DWORD
	s_mov_b64 s[4:5], -1
                                        ; implicit-def: $sgpr10
	s_and_saveexec_b64 s[8:9], s[12:13]
; %bb.3070:
	s_mov_b32 s10, 0x7f800001
	s_xor_b64 s[4:5], exec, -1
; %bb.3071:
	s_or_b64 exec, exec, s[8:9]
	s_and_b64 s[4:5], s[4:5], exec
	s_or_saveexec_b64 s[6:7], s[6:7]
	v_mov_b32_e32 v3, s10
	s_xor_b64 exec, exec, s[6:7]
	s_cbranch_execz .LBB5_1022
.LBB5_3072:
	v_mov_b32_e32 v3, 0
	v_cmp_ne_u16_sdwa s[8:9], v5, v3 src0_sel:BYTE_3 src1_sel:DWORD
	s_andn2_b64 s[4:5], s[4:5], exec
	s_and_b64 s[8:9], s[8:9], exec
	s_or_b64 s[4:5], s[4:5], s[8:9]
	s_or_b64 exec, exec, s[6:7]
	s_and_saveexec_b64 s[6:7], s[4:5]
	s_cbranch_execnz .LBB5_1023
	s_branch .LBB5_1024
.LBB5_3073:
	s_movk_i32 s4, 0x80
	v_cmp_eq_u16_sdwa s[12:13], v14, s4 src0_sel:BYTE_0 src1_sel:DWORD
	s_mov_b64 s[4:5], -1
                                        ; implicit-def: $sgpr10
	s_and_saveexec_b64 s[8:9], s[12:13]
; %bb.3074:
	s_mov_b32 s10, 0x7f800001
	s_xor_b64 s[4:5], exec, -1
; %bb.3075:
	s_or_b64 exec, exec, s[8:9]
	s_and_b64 s[4:5], s[4:5], exec
	s_or_saveexec_b64 s[6:7], s[6:7]
	v_mov_b32_e32 v20, s10
	s_xor_b64 exec, exec, s[6:7]
	s_cbranch_execz .LBB5_1026
.LBB5_3076:
	v_mov_b32_e32 v20, 0
	v_cmp_ne_u16_sdwa s[8:9], v14, v20 src0_sel:BYTE_0 src1_sel:DWORD
	s_andn2_b64 s[4:5], s[4:5], exec
	s_and_b64 s[8:9], s[8:9], exec
	s_or_b64 s[4:5], s[4:5], s[8:9]
	s_or_b64 exec, exec, s[6:7]
	s_and_saveexec_b64 s[6:7], s[4:5]
	s_cbranch_execnz .LBB5_1027
	s_branch .LBB5_1028
.LBB5_3077:
	s_movk_i32 s4, 0x80
	v_cmp_eq_u16_sdwa s[12:13], v10, s4 src0_sel:BYTE_0 src1_sel:DWORD
	s_mov_b64 s[4:5], -1
                                        ; implicit-def: $sgpr10
	s_and_saveexec_b64 s[8:9], s[12:13]
; %bb.3078:
	s_mov_b32 s10, 0x7f800001
	s_xor_b64 s[4:5], exec, -1
; %bb.3079:
	s_or_b64 exec, exec, s[8:9]
	s_and_b64 s[4:5], s[4:5], exec
	s_or_saveexec_b64 s[6:7], s[6:7]
	v_mov_b32_e32 v21, s10
	s_xor_b64 exec, exec, s[6:7]
	s_cbranch_execz .LBB5_1030
.LBB5_3080:
	v_mov_b32_e32 v21, 0
	v_cmp_ne_u16_sdwa s[8:9], v10, v21 src0_sel:BYTE_0 src1_sel:DWORD
	s_andn2_b64 s[4:5], s[4:5], exec
	s_and_b64 s[8:9], s[8:9], exec
	s_or_b64 s[4:5], s[4:5], s[8:9]
	s_or_b64 exec, exec, s[6:7]
	s_and_saveexec_b64 s[6:7], s[4:5]
	s_cbranch_execnz .LBB5_1031
	s_branch .LBB5_1032
.LBB5_3081:
	s_movk_i32 s4, 0x80
	v_cmp_eq_u16_sdwa s[12:13], v21, s4 src0_sel:BYTE_0 src1_sel:DWORD
	s_mov_b64 s[4:5], -1
                                        ; implicit-def: $sgpr10
	s_and_saveexec_b64 s[8:9], s[12:13]
; %bb.3082:
	s_mov_b32 s10, 0x7f800001
	s_xor_b64 s[4:5], exec, -1
; %bb.3083:
	s_or_b64 exec, exec, s[8:9]
	s_and_b64 s[4:5], s[4:5], exec
	s_or_saveexec_b64 s[6:7], s[6:7]
	v_mov_b32_e32 v20, s10
	s_xor_b64 exec, exec, s[6:7]
	s_cbranch_execz .LBB5_1034
.LBB5_3084:
	v_mov_b32_e32 v20, 0
	v_cmp_ne_u16_sdwa s[8:9], v21, v20 src0_sel:BYTE_0 src1_sel:DWORD
	s_andn2_b64 s[4:5], s[4:5], exec
	s_and_b64 s[8:9], s[8:9], exec
	s_or_b64 s[4:5], s[4:5], s[8:9]
	s_or_b64 exec, exec, s[6:7]
	s_and_saveexec_b64 s[6:7], s[4:5]
	s_cbranch_execnz .LBB5_1035
	s_branch .LBB5_1036
.LBB5_3085:
	s_movk_i32 s4, 0x80
	v_cmp_eq_u16_sdwa s[12:13], v21, s4 src0_sel:BYTE_0 src1_sel:DWORD
	s_mov_b64 s[4:5], -1
                                        ; implicit-def: $sgpr10
	s_and_saveexec_b64 s[8:9], s[12:13]
; %bb.3086:
	s_mov_b32 s10, 0x7f800001
	s_xor_b64 s[4:5], exec, -1
; %bb.3087:
	s_or_b64 exec, exec, s[8:9]
	s_and_b64 s[4:5], s[4:5], exec
	s_or_saveexec_b64 s[6:7], s[6:7]
	v_mov_b32_e32 v22, s10
	s_xor_b64 exec, exec, s[6:7]
	s_cbranch_execz .LBB5_1038
.LBB5_3088:
	v_mov_b32_e32 v22, 0
	v_cmp_ne_u16_sdwa s[8:9], v21, v22 src0_sel:BYTE_0 src1_sel:DWORD
	s_andn2_b64 s[4:5], s[4:5], exec
	s_and_b64 s[8:9], s[8:9], exec
	s_or_b64 s[4:5], s[4:5], s[8:9]
	s_or_b64 exec, exec, s[6:7]
	s_and_saveexec_b64 s[6:7], s[4:5]
	s_cbranch_execnz .LBB5_1039
	s_branch .LBB5_1040
.LBB5_3089:
	s_movk_i32 s4, 0x80
	v_cmp_eq_u16_e32 vcc, s4, v21
	s_mov_b64 s[4:5], -1
                                        ; implicit-def: $sgpr10
	s_and_saveexec_b64 s[8:9], vcc
; %bb.3090:
	s_mov_b32 s10, 0x7f800001
	s_xor_b64 s[4:5], exec, -1
; %bb.3091:
	s_or_b64 exec, exec, s[8:9]
	s_and_b64 s[4:5], s[4:5], exec
                                        ; implicit-def: $vgpr21
	s_or_saveexec_b64 s[6:7], s[6:7]
	v_mov_b32_e32 v20, s10
	s_xor_b64 exec, exec, s[6:7]
	s_cbranch_execz .LBB5_1042
.LBB5_3092:
	v_cmp_ne_u16_e32 vcc, 0, v21
	s_andn2_b64 s[4:5], s[4:5], exec
	s_and_b64 s[8:9], vcc, exec
	v_mov_b32_e32 v20, 0
	s_or_b64 s[4:5], s[4:5], s[8:9]
	s_or_b64 exec, exec, s[6:7]
	s_and_saveexec_b64 s[6:7], s[4:5]
	s_cbranch_execnz .LBB5_1043
	s_branch .LBB5_1044
.LBB5_3093:
	s_movk_i32 s4, 0x80
	v_cmp_eq_u16_e32 vcc, s4, v21
	s_mov_b64 s[4:5], -1
                                        ; implicit-def: $sgpr10
	s_and_saveexec_b64 s[8:9], vcc
; %bb.3094:
	s_mov_b32 s10, 0x7f800001
	s_xor_b64 s[4:5], exec, -1
; %bb.3095:
	s_or_b64 exec, exec, s[8:9]
	s_and_b64 s[4:5], s[4:5], exec
                                        ; implicit-def: $vgpr21
	s_or_saveexec_b64 s[6:7], s[6:7]
	v_mov_b32_e32 v22, s10
	s_xor_b64 exec, exec, s[6:7]
	s_cbranch_execz .LBB5_1046
.LBB5_3096:
	v_cmp_ne_u16_e32 vcc, 0, v21
	s_andn2_b64 s[4:5], s[4:5], exec
	s_and_b64 s[8:9], vcc, exec
	v_mov_b32_e32 v22, 0
	s_or_b64 s[4:5], s[4:5], s[8:9]
	s_or_b64 exec, exec, s[6:7]
	s_and_saveexec_b64 s[6:7], s[4:5]
	s_cbranch_execnz .LBB5_1047
	s_branch .LBB5_1048
.LBB5_3097:
	s_movk_i32 s4, 0x80
	v_cmp_eq_u16_sdwa s[12:13], v14, s4 src0_sel:BYTE_3 src1_sel:DWORD
	s_mov_b64 s[4:5], -1
                                        ; implicit-def: $sgpr10
	s_and_saveexec_b64 s[8:9], s[12:13]
; %bb.3098:
	s_mov_b32 s10, 0x7f800001
	s_xor_b64 s[4:5], exec, -1
; %bb.3099:
	s_or_b64 exec, exec, s[8:9]
	s_and_b64 s[4:5], s[4:5], exec
	s_or_saveexec_b64 s[6:7], s[6:7]
	v_mov_b32_e32 v20, s10
	s_xor_b64 exec, exec, s[6:7]
	s_cbranch_execz .LBB5_1050
.LBB5_3100:
	v_mov_b32_e32 v20, 0
	v_cmp_ne_u16_sdwa s[8:9], v14, v20 src0_sel:BYTE_3 src1_sel:DWORD
	s_andn2_b64 s[4:5], s[4:5], exec
	s_and_b64 s[8:9], s[8:9], exec
	s_or_b64 s[4:5], s[4:5], s[8:9]
	s_or_b64 exec, exec, s[6:7]
	s_and_saveexec_b64 s[6:7], s[4:5]
	s_cbranch_execnz .LBB5_1051
	s_branch .LBB5_1052
.LBB5_3101:
	s_movk_i32 s4, 0x80
	v_cmp_eq_u16_sdwa s[12:13], v10, s4 src0_sel:BYTE_3 src1_sel:DWORD
	s_mov_b64 s[4:5], -1
                                        ; implicit-def: $sgpr10
	s_and_saveexec_b64 s[8:9], s[12:13]
; %bb.3102:
	s_mov_b32 s10, 0x7f800001
	s_xor_b64 s[4:5], exec, -1
; %bb.3103:
	s_or_b64 exec, exec, s[8:9]
	s_and_b64 s[4:5], s[4:5], exec
	s_or_saveexec_b64 s[6:7], s[6:7]
	v_mov_b32_e32 v14, s10
	s_xor_b64 exec, exec, s[6:7]
	s_cbranch_execz .LBB5_1054
.LBB5_3104:
	v_mov_b32_e32 v14, 0
	v_cmp_ne_u16_sdwa s[8:9], v10, v14 src0_sel:BYTE_3 src1_sel:DWORD
	s_andn2_b64 s[4:5], s[4:5], exec
	s_and_b64 s[8:9], s[8:9], exec
	s_or_b64 s[4:5], s[4:5], s[8:9]
	s_or_b64 exec, exec, s[6:7]
	s_and_saveexec_b64 s[6:7], s[4:5]
	s_cbranch_execnz .LBB5_1055
	s_branch .LBB5_1056
.LBB5_3105:
	s_movk_i32 s4, 0x80
	v_cmp_eq_u16_sdwa s[12:13], v15, s4 src0_sel:BYTE_0 src1_sel:DWORD
	s_mov_b64 s[4:5], -1
                                        ; implicit-def: $sgpr10
	s_and_saveexec_b64 s[8:9], s[12:13]
; %bb.3106:
	s_mov_b32 s10, 0x7f800001
	s_xor_b64 s[4:5], exec, -1
; %bb.3107:
	s_or_b64 exec, exec, s[8:9]
	s_and_b64 s[4:5], s[4:5], exec
	s_or_saveexec_b64 s[6:7], s[6:7]
	v_mov_b32_e32 v10, s10
	s_xor_b64 exec, exec, s[6:7]
	s_cbranch_execz .LBB5_1058
.LBB5_3108:
	v_mov_b32_e32 v10, 0
	v_cmp_ne_u16_sdwa s[8:9], v15, v10 src0_sel:BYTE_0 src1_sel:DWORD
	s_andn2_b64 s[4:5], s[4:5], exec
	s_and_b64 s[8:9], s[8:9], exec
	s_or_b64 s[4:5], s[4:5], s[8:9]
	s_or_b64 exec, exec, s[6:7]
	s_and_saveexec_b64 s[6:7], s[4:5]
	s_cbranch_execnz .LBB5_1059
	s_branch .LBB5_1060
.LBB5_3109:
	s_movk_i32 s4, 0x80
	v_cmp_eq_u16_sdwa s[12:13], v11, s4 src0_sel:BYTE_0 src1_sel:DWORD
	s_mov_b64 s[4:5], -1
                                        ; implicit-def: $sgpr10
	s_and_saveexec_b64 s[8:9], s[12:13]
; %bb.3110:
	s_mov_b32 s10, 0x7f800001
	s_xor_b64 s[4:5], exec, -1
; %bb.3111:
	s_or_b64 exec, exec, s[8:9]
	s_and_b64 s[4:5], s[4:5], exec
	s_or_saveexec_b64 s[6:7], s[6:7]
	v_mov_b32_e32 v14, s10
	s_xor_b64 exec, exec, s[6:7]
	s_cbranch_execz .LBB5_1062
.LBB5_3112:
	v_mov_b32_e32 v14, 0
	v_cmp_ne_u16_sdwa s[8:9], v11, v14 src0_sel:BYTE_0 src1_sel:DWORD
	s_andn2_b64 s[4:5], s[4:5], exec
	s_and_b64 s[8:9], s[8:9], exec
	s_or_b64 s[4:5], s[4:5], s[8:9]
	s_or_b64 exec, exec, s[6:7]
	s_and_saveexec_b64 s[6:7], s[4:5]
	s_cbranch_execnz .LBB5_1063
	s_branch .LBB5_1064
.LBB5_3113:
	s_movk_i32 s4, 0x80
	v_cmp_eq_u16_sdwa s[12:13], v14, s4 src0_sel:BYTE_0 src1_sel:DWORD
	s_mov_b64 s[4:5], -1
                                        ; implicit-def: $sgpr10
	s_and_saveexec_b64 s[8:9], s[12:13]
; %bb.3114:
	s_mov_b32 s10, 0x7f800001
	s_xor_b64 s[4:5], exec, -1
; %bb.3115:
	s_or_b64 exec, exec, s[8:9]
	s_and_b64 s[4:5], s[4:5], exec
	s_or_saveexec_b64 s[6:7], s[6:7]
	v_mov_b32_e32 v10, s10
	s_xor_b64 exec, exec, s[6:7]
	s_cbranch_execz .LBB5_1066
.LBB5_3116:
	v_mov_b32_e32 v10, 0
	v_cmp_ne_u16_sdwa s[8:9], v14, v10 src0_sel:BYTE_0 src1_sel:DWORD
	s_andn2_b64 s[4:5], s[4:5], exec
	s_and_b64 s[8:9], s[8:9], exec
	s_or_b64 s[4:5], s[4:5], s[8:9]
	s_or_b64 exec, exec, s[6:7]
	s_and_saveexec_b64 s[6:7], s[4:5]
	s_cbranch_execnz .LBB5_1067
	s_branch .LBB5_1068
.LBB5_3117:
	s_movk_i32 s4, 0x80
	v_cmp_eq_u16_sdwa s[12:13], v14, s4 src0_sel:BYTE_0 src1_sel:DWORD
	s_mov_b64 s[4:5], -1
                                        ; implicit-def: $sgpr10
	s_and_saveexec_b64 s[8:9], s[12:13]
; %bb.3118:
	s_mov_b32 s10, 0x7f800001
	s_xor_b64 s[4:5], exec, -1
; %bb.3119:
	s_or_b64 exec, exec, s[8:9]
	s_and_b64 s[4:5], s[4:5], exec
	s_or_saveexec_b64 s[6:7], s[6:7]
	v_mov_b32_e32 v20, s10
	s_xor_b64 exec, exec, s[6:7]
	s_cbranch_execz .LBB5_1070
.LBB5_3120:
	v_mov_b32_e32 v20, 0
	v_cmp_ne_u16_sdwa s[8:9], v14, v20 src0_sel:BYTE_0 src1_sel:DWORD
	s_andn2_b64 s[4:5], s[4:5], exec
	s_and_b64 s[8:9], s[8:9], exec
	s_or_b64 s[4:5], s[4:5], s[8:9]
	s_or_b64 exec, exec, s[6:7]
	s_and_saveexec_b64 s[6:7], s[4:5]
	s_cbranch_execnz .LBB5_1071
	s_branch .LBB5_1072
.LBB5_3121:
	s_movk_i32 s4, 0x80
	v_cmp_eq_u16_e32 vcc, s4, v14
	s_mov_b64 s[4:5], -1
                                        ; implicit-def: $sgpr10
	s_and_saveexec_b64 s[8:9], vcc
; %bb.3122:
	s_mov_b32 s10, 0x7f800001
	s_xor_b64 s[4:5], exec, -1
; %bb.3123:
	s_or_b64 exec, exec, s[8:9]
	s_and_b64 s[4:5], s[4:5], exec
                                        ; implicit-def: $vgpr14
	s_or_saveexec_b64 s[6:7], s[6:7]
	v_mov_b32_e32 v10, s10
	s_xor_b64 exec, exec, s[6:7]
	s_cbranch_execz .LBB5_1074
.LBB5_3124:
	v_cmp_ne_u16_e32 vcc, 0, v14
	s_andn2_b64 s[4:5], s[4:5], exec
	s_and_b64 s[8:9], vcc, exec
	v_mov_b32_e32 v10, 0
	s_or_b64 s[4:5], s[4:5], s[8:9]
	s_or_b64 exec, exec, s[6:7]
	s_and_saveexec_b64 s[6:7], s[4:5]
	s_cbranch_execnz .LBB5_1075
	s_branch .LBB5_1076
.LBB5_3125:
	s_movk_i32 s4, 0x80
	v_cmp_eq_u16_e32 vcc, s4, v14
	s_mov_b64 s[4:5], -1
                                        ; implicit-def: $sgpr10
	s_and_saveexec_b64 s[8:9], vcc
; %bb.3126:
	s_mov_b32 s10, 0x7f800001
	s_xor_b64 s[4:5], exec, -1
; %bb.3127:
	s_or_b64 exec, exec, s[8:9]
	s_and_b64 s[4:5], s[4:5], exec
                                        ; implicit-def: $vgpr14
	s_or_saveexec_b64 s[6:7], s[6:7]
	v_mov_b32_e32 v20, s10
	s_xor_b64 exec, exec, s[6:7]
	s_cbranch_execz .LBB5_1078
.LBB5_3128:
	v_cmp_ne_u16_e32 vcc, 0, v14
	s_andn2_b64 s[4:5], s[4:5], exec
	s_and_b64 s[8:9], vcc, exec
	v_mov_b32_e32 v20, 0
	s_or_b64 s[4:5], s[4:5], s[8:9]
	s_or_b64 exec, exec, s[6:7]
	s_and_saveexec_b64 s[6:7], s[4:5]
	s_cbranch_execnz .LBB5_1079
	s_branch .LBB5_1080
.LBB5_3129:
	s_movk_i32 s4, 0x80
	v_cmp_eq_u16_sdwa s[12:13], v15, s4 src0_sel:BYTE_3 src1_sel:DWORD
	s_mov_b64 s[4:5], -1
                                        ; implicit-def: $sgpr10
	s_and_saveexec_b64 s[8:9], s[12:13]
; %bb.3130:
	s_mov_b32 s10, 0x7f800001
	s_xor_b64 s[4:5], exec, -1
; %bb.3131:
	s_or_b64 exec, exec, s[8:9]
	s_and_b64 s[4:5], s[4:5], exec
	s_or_saveexec_b64 s[6:7], s[6:7]
	v_mov_b32_e32 v10, s10
	s_xor_b64 exec, exec, s[6:7]
	s_cbranch_execz .LBB5_1082
.LBB5_3132:
	v_mov_b32_e32 v10, 0
	v_cmp_ne_u16_sdwa s[8:9], v15, v10 src0_sel:BYTE_3 src1_sel:DWORD
	s_andn2_b64 s[4:5], s[4:5], exec
	s_and_b64 s[8:9], s[8:9], exec
	s_or_b64 s[4:5], s[4:5], s[8:9]
	s_or_b64 exec, exec, s[6:7]
	s_and_saveexec_b64 s[6:7], s[4:5]
	s_cbranch_execnz .LBB5_1083
	s_branch .LBB5_1084
.LBB5_3133:
	s_movk_i32 s4, 0x80
	v_cmp_eq_u16_sdwa s[12:13], v11, s4 src0_sel:BYTE_3 src1_sel:DWORD
	s_mov_b64 s[4:5], -1
                                        ; implicit-def: $sgpr10
	s_and_saveexec_b64 s[8:9], s[12:13]
; %bb.3134:
	s_mov_b32 s10, 0x7f800001
	s_xor_b64 s[4:5], exec, -1
; %bb.3135:
	s_or_b64 exec, exec, s[8:9]
	s_and_b64 s[4:5], s[4:5], exec
	s_or_saveexec_b64 s[6:7], s[6:7]
	v_mov_b32_e32 v14, s10
	s_xor_b64 exec, exec, s[6:7]
	s_cbranch_execz .LBB5_1086
.LBB5_3136:
	v_mov_b32_e32 v14, 0
	v_cmp_ne_u16_sdwa s[8:9], v11, v14 src0_sel:BYTE_3 src1_sel:DWORD
	s_andn2_b64 s[4:5], s[4:5], exec
	s_and_b64 s[8:9], s[8:9], exec
	s_or_b64 s[4:5], s[4:5], s[8:9]
	s_or_b64 exec, exec, s[6:7]
	s_and_saveexec_b64 s[6:7], s[4:5]
	s_cbranch_execnz .LBB5_1087
	s_branch .LBB5_1088
.LBB5_3137:
	s_movk_i32 s4, 0x80
	v_cmp_eq_u16_sdwa s[12:13], v16, s4 src0_sel:BYTE_0 src1_sel:DWORD
	s_mov_b64 s[4:5], -1
                                        ; implicit-def: $sgpr10
	s_and_saveexec_b64 s[8:9], s[12:13]
; %bb.3138:
	s_mov_b32 s10, 0x7f800001
	s_xor_b64 s[4:5], exec, -1
; %bb.3139:
	s_or_b64 exec, exec, s[8:9]
	s_and_b64 s[4:5], s[4:5], exec
	s_or_saveexec_b64 s[6:7], s[6:7]
	v_mov_b32_e32 v10, s10
	s_xor_b64 exec, exec, s[6:7]
	s_cbranch_execz .LBB5_1090
.LBB5_3140:
	v_mov_b32_e32 v10, 0
	v_cmp_ne_u16_sdwa s[8:9], v16, v10 src0_sel:BYTE_0 src1_sel:DWORD
	s_andn2_b64 s[4:5], s[4:5], exec
	s_and_b64 s[8:9], s[8:9], exec
	s_or_b64 s[4:5], s[4:5], s[8:9]
	s_or_b64 exec, exec, s[6:7]
	s_and_saveexec_b64 s[6:7], s[4:5]
	s_cbranch_execnz .LBB5_1091
	s_branch .LBB5_1092
.LBB5_3141:
	s_movk_i32 s4, 0x80
	v_cmp_eq_u16_sdwa s[12:13], v12, s4 src0_sel:BYTE_0 src1_sel:DWORD
	s_mov_b64 s[4:5], -1
                                        ; implicit-def: $sgpr10
	s_and_saveexec_b64 s[8:9], s[12:13]
; %bb.3142:
	s_mov_b32 s10, 0x7f800001
	s_xor_b64 s[4:5], exec, -1
; %bb.3143:
	s_or_b64 exec, exec, s[8:9]
	s_and_b64 s[4:5], s[4:5], exec
	s_or_saveexec_b64 s[6:7], s[6:7]
	v_mov_b32_e32 v11, s10
	s_xor_b64 exec, exec, s[6:7]
	s_cbranch_execz .LBB5_1094
.LBB5_3144:
	v_mov_b32_e32 v11, 0
	v_cmp_ne_u16_sdwa s[8:9], v12, v11 src0_sel:BYTE_0 src1_sel:DWORD
	s_andn2_b64 s[4:5], s[4:5], exec
	s_and_b64 s[8:9], s[8:9], exec
	s_or_b64 s[4:5], s[4:5], s[8:9]
	s_or_b64 exec, exec, s[6:7]
	s_and_saveexec_b64 s[6:7], s[4:5]
	s_cbranch_execnz .LBB5_1095
	s_branch .LBB5_1096
.LBB5_3145:
	s_movk_i32 s4, 0x80
	v_cmp_eq_u16_sdwa s[12:13], v11, s4 src0_sel:BYTE_0 src1_sel:DWORD
	s_mov_b64 s[4:5], -1
                                        ; implicit-def: $sgpr10
	s_and_saveexec_b64 s[8:9], s[12:13]
; %bb.3146:
	s_mov_b32 s10, 0x7f800001
	s_xor_b64 s[4:5], exec, -1
; %bb.3147:
	s_or_b64 exec, exec, s[8:9]
	s_and_b64 s[4:5], s[4:5], exec
	s_or_saveexec_b64 s[6:7], s[6:7]
	v_mov_b32_e32 v10, s10
	s_xor_b64 exec, exec, s[6:7]
	s_cbranch_execz .LBB5_1098
.LBB5_3148:
	v_mov_b32_e32 v10, 0
	v_cmp_ne_u16_sdwa s[8:9], v11, v10 src0_sel:BYTE_0 src1_sel:DWORD
	s_andn2_b64 s[4:5], s[4:5], exec
	s_and_b64 s[8:9], s[8:9], exec
	s_or_b64 s[4:5], s[4:5], s[8:9]
	s_or_b64 exec, exec, s[6:7]
	s_and_saveexec_b64 s[6:7], s[4:5]
	s_cbranch_execnz .LBB5_1099
	s_branch .LBB5_1100
.LBB5_3149:
	s_movk_i32 s4, 0x80
	v_cmp_eq_u16_sdwa s[12:13], v11, s4 src0_sel:BYTE_0 src1_sel:DWORD
	s_mov_b64 s[4:5], -1
                                        ; implicit-def: $sgpr10
	s_and_saveexec_b64 s[8:9], s[12:13]
; %bb.3150:
	s_mov_b32 s10, 0x7f800001
	s_xor_b64 s[4:5], exec, -1
; %bb.3151:
	s_or_b64 exec, exec, s[8:9]
	s_and_b64 s[4:5], s[4:5], exec
	s_or_saveexec_b64 s[6:7], s[6:7]
	v_mov_b32_e32 v14, s10
	s_xor_b64 exec, exec, s[6:7]
	s_cbranch_execz .LBB5_1102
.LBB5_3152:
	v_mov_b32_e32 v14, 0
	v_cmp_ne_u16_sdwa s[8:9], v11, v14 src0_sel:BYTE_0 src1_sel:DWORD
	s_andn2_b64 s[4:5], s[4:5], exec
	s_and_b64 s[8:9], s[8:9], exec
	s_or_b64 s[4:5], s[4:5], s[8:9]
	s_or_b64 exec, exec, s[6:7]
	s_and_saveexec_b64 s[6:7], s[4:5]
	s_cbranch_execnz .LBB5_1103
	s_branch .LBB5_1104
.LBB5_3153:
	s_movk_i32 s4, 0x80
	v_cmp_eq_u16_e32 vcc, s4, v11
	s_mov_b64 s[4:5], -1
                                        ; implicit-def: $sgpr10
	s_and_saveexec_b64 s[8:9], vcc
; %bb.3154:
	s_mov_b32 s10, 0x7f800001
	s_xor_b64 s[4:5], exec, -1
; %bb.3155:
	s_or_b64 exec, exec, s[8:9]
	s_and_b64 s[4:5], s[4:5], exec
                                        ; implicit-def: $vgpr11
	s_or_saveexec_b64 s[6:7], s[6:7]
	v_mov_b32_e32 v10, s10
	s_xor_b64 exec, exec, s[6:7]
	s_cbranch_execz .LBB5_1106
.LBB5_3156:
	v_cmp_ne_u16_e32 vcc, 0, v11
	s_andn2_b64 s[4:5], s[4:5], exec
	s_and_b64 s[8:9], vcc, exec
	v_mov_b32_e32 v10, 0
	s_or_b64 s[4:5], s[4:5], s[8:9]
	s_or_b64 exec, exec, s[6:7]
	s_and_saveexec_b64 s[6:7], s[4:5]
	s_cbranch_execnz .LBB5_1107
	s_branch .LBB5_1108
.LBB5_3157:
	s_movk_i32 s4, 0x80
	v_cmp_eq_u16_e32 vcc, s4, v11
	s_mov_b64 s[4:5], -1
                                        ; implicit-def: $sgpr10
	s_and_saveexec_b64 s[8:9], vcc
; %bb.3158:
	s_mov_b32 s10, 0x7f800001
	s_xor_b64 s[4:5], exec, -1
; %bb.3159:
	s_or_b64 exec, exec, s[8:9]
	s_and_b64 s[4:5], s[4:5], exec
                                        ; implicit-def: $vgpr11
	s_or_saveexec_b64 s[6:7], s[6:7]
	v_mov_b32_e32 v14, s10
	s_xor_b64 exec, exec, s[6:7]
	s_cbranch_execz .LBB5_1110
.LBB5_3160:
	v_cmp_ne_u16_e32 vcc, 0, v11
	s_andn2_b64 s[4:5], s[4:5], exec
	s_and_b64 s[8:9], vcc, exec
	v_mov_b32_e32 v14, 0
	s_or_b64 s[4:5], s[4:5], s[8:9]
	s_or_b64 exec, exec, s[6:7]
	s_and_saveexec_b64 s[6:7], s[4:5]
	s_cbranch_execnz .LBB5_1111
	s_branch .LBB5_1112
.LBB5_3161:
	s_movk_i32 s4, 0x80
	v_cmp_eq_u16_sdwa s[12:13], v16, s4 src0_sel:BYTE_3 src1_sel:DWORD
	s_mov_b64 s[4:5], -1
                                        ; implicit-def: $sgpr10
	s_and_saveexec_b64 s[8:9], s[12:13]
; %bb.3162:
	s_mov_b32 s10, 0x7f800001
	s_xor_b64 s[4:5], exec, -1
; %bb.3163:
	s_or_b64 exec, exec, s[8:9]
	s_and_b64 s[4:5], s[4:5], exec
	s_or_saveexec_b64 s[6:7], s[6:7]
	v_mov_b32_e32 v10, s10
	s_xor_b64 exec, exec, s[6:7]
	s_cbranch_execz .LBB5_1114
.LBB5_3164:
	v_mov_b32_e32 v10, 0
	v_cmp_ne_u16_sdwa s[8:9], v16, v10 src0_sel:BYTE_3 src1_sel:DWORD
	s_andn2_b64 s[4:5], s[4:5], exec
	s_and_b64 s[8:9], s[8:9], exec
	s_or_b64 s[4:5], s[4:5], s[8:9]
	s_or_b64 exec, exec, s[6:7]
	s_and_saveexec_b64 s[6:7], s[4:5]
	s_cbranch_execnz .LBB5_1115
	s_branch .LBB5_1116
.LBB5_3165:
	s_movk_i32 s4, 0x80
	v_cmp_eq_u16_sdwa s[12:13], v12, s4 src0_sel:BYTE_3 src1_sel:DWORD
	s_mov_b64 s[4:5], -1
                                        ; implicit-def: $sgpr10
	s_and_saveexec_b64 s[8:9], s[12:13]
; %bb.3166:
	s_mov_b32 s10, 0x7f800001
	s_xor_b64 s[4:5], exec, -1
; %bb.3167:
	s_or_b64 exec, exec, s[8:9]
	s_and_b64 s[4:5], s[4:5], exec
	s_or_saveexec_b64 s[6:7], s[6:7]
	v_mov_b32_e32 v11, s10
	s_xor_b64 exec, exec, s[6:7]
	s_cbranch_execz .LBB5_1118
.LBB5_3168:
	v_mov_b32_e32 v11, 0
	v_cmp_ne_u16_sdwa s[8:9], v12, v11 src0_sel:BYTE_3 src1_sel:DWORD
	s_andn2_b64 s[4:5], s[4:5], exec
	s_and_b64 s[8:9], s[8:9], exec
	s_or_b64 s[4:5], s[4:5], s[8:9]
	s_or_b64 exec, exec, s[6:7]
	s_and_saveexec_b64 s[6:7], s[4:5]
	s_cbranch_execnz .LBB5_1119
	s_branch .LBB5_1120
.LBB5_3169:
	s_movk_i32 s4, 0x80
	v_cmp_eq_u16_sdwa s[12:13], v17, s4 src0_sel:BYTE_0 src1_sel:DWORD
	s_mov_b64 s[4:5], -1
                                        ; implicit-def: $sgpr10
	s_and_saveexec_b64 s[8:9], s[12:13]
; %bb.3170:
	s_mov_b32 s10, 0x7f800001
	s_xor_b64 s[4:5], exec, -1
; %bb.3171:
	s_or_b64 exec, exec, s[8:9]
	s_and_b64 s[4:5], s[4:5], exec
	s_or_saveexec_b64 s[6:7], s[6:7]
	v_mov_b32_e32 v10, s10
	s_xor_b64 exec, exec, s[6:7]
	s_cbranch_execz .LBB5_1122
.LBB5_3172:
	v_mov_b32_e32 v10, 0
	v_cmp_ne_u16_sdwa s[8:9], v17, v10 src0_sel:BYTE_0 src1_sel:DWORD
	s_andn2_b64 s[4:5], s[4:5], exec
	s_and_b64 s[8:9], s[8:9], exec
	s_or_b64 s[4:5], s[4:5], s[8:9]
	s_or_b64 exec, exec, s[6:7]
	s_and_saveexec_b64 s[6:7], s[4:5]
	s_cbranch_execnz .LBB5_1123
	s_branch .LBB5_1124
.LBB5_3173:
	s_movk_i32 s4, 0x80
	v_cmp_eq_u16_sdwa s[12:13], v13, s4 src0_sel:BYTE_0 src1_sel:DWORD
	s_mov_b64 s[4:5], -1
                                        ; implicit-def: $sgpr10
	s_and_saveexec_b64 s[8:9], s[12:13]
; %bb.3174:
	s_mov_b32 s10, 0x7f800001
	s_xor_b64 s[4:5], exec, -1
; %bb.3175:
	s_or_b64 exec, exec, s[8:9]
	s_and_b64 s[4:5], s[4:5], exec
	s_or_saveexec_b64 s[6:7], s[6:7]
	v_mov_b32_e32 v11, s10
	s_xor_b64 exec, exec, s[6:7]
	s_cbranch_execz .LBB5_1126
.LBB5_3176:
	v_mov_b32_e32 v11, 0
	v_cmp_ne_u16_sdwa s[8:9], v13, v11 src0_sel:BYTE_0 src1_sel:DWORD
	s_andn2_b64 s[4:5], s[4:5], exec
	s_and_b64 s[8:9], s[8:9], exec
	s_or_b64 s[4:5], s[4:5], s[8:9]
	s_or_b64 exec, exec, s[6:7]
	s_and_saveexec_b64 s[6:7], s[4:5]
	s_cbranch_execnz .LBB5_1127
	s_branch .LBB5_1128
.LBB5_3177:
	s_movk_i32 s4, 0x80
	v_cmp_eq_u16_sdwa s[12:13], v11, s4 src0_sel:BYTE_0 src1_sel:DWORD
	s_mov_b64 s[4:5], -1
                                        ; implicit-def: $sgpr10
	s_and_saveexec_b64 s[8:9], s[12:13]
; %bb.3178:
	s_mov_b32 s10, 0x7f800001
	s_xor_b64 s[4:5], exec, -1
; %bb.3179:
	s_or_b64 exec, exec, s[8:9]
	s_and_b64 s[4:5], s[4:5], exec
	s_or_saveexec_b64 s[6:7], s[6:7]
	v_mov_b32_e32 v10, s10
	s_xor_b64 exec, exec, s[6:7]
	s_cbranch_execz .LBB5_1130
.LBB5_3180:
	v_mov_b32_e32 v10, 0
	v_cmp_ne_u16_sdwa s[8:9], v11, v10 src0_sel:BYTE_0 src1_sel:DWORD
	s_andn2_b64 s[4:5], s[4:5], exec
	s_and_b64 s[8:9], s[8:9], exec
	s_or_b64 s[4:5], s[4:5], s[8:9]
	s_or_b64 exec, exec, s[6:7]
	s_and_saveexec_b64 s[6:7], s[4:5]
	s_cbranch_execnz .LBB5_1131
	s_branch .LBB5_1132
.LBB5_3181:
	s_movk_i32 s4, 0x80
	v_cmp_eq_u16_sdwa s[12:13], v11, s4 src0_sel:BYTE_0 src1_sel:DWORD
	s_mov_b64 s[4:5], -1
                                        ; implicit-def: $sgpr10
	s_and_saveexec_b64 s[8:9], s[12:13]
; %bb.3182:
	s_mov_b32 s10, 0x7f800001
	s_xor_b64 s[4:5], exec, -1
; %bb.3183:
	s_or_b64 exec, exec, s[8:9]
	s_and_b64 s[4:5], s[4:5], exec
	s_or_saveexec_b64 s[6:7], s[6:7]
	v_mov_b32_e32 v12, s10
	s_xor_b64 exec, exec, s[6:7]
	s_cbranch_execz .LBB5_1134
.LBB5_3184:
	v_mov_b32_e32 v12, 0
	v_cmp_ne_u16_sdwa s[8:9], v11, v12 src0_sel:BYTE_0 src1_sel:DWORD
	s_andn2_b64 s[4:5], s[4:5], exec
	s_and_b64 s[8:9], s[8:9], exec
	s_or_b64 s[4:5], s[4:5], s[8:9]
	s_or_b64 exec, exec, s[6:7]
	s_and_saveexec_b64 s[6:7], s[4:5]
	s_cbranch_execnz .LBB5_1135
	s_branch .LBB5_1136
.LBB5_3185:
	s_movk_i32 s4, 0x80
	v_cmp_eq_u16_e32 vcc, s4, v11
	s_mov_b64 s[4:5], -1
                                        ; implicit-def: $sgpr10
	s_and_saveexec_b64 s[8:9], vcc
; %bb.3186:
	s_mov_b32 s10, 0x7f800001
	s_xor_b64 s[4:5], exec, -1
; %bb.3187:
	s_or_b64 exec, exec, s[8:9]
	s_and_b64 s[4:5], s[4:5], exec
                                        ; implicit-def: $vgpr11
	s_or_saveexec_b64 s[6:7], s[6:7]
	v_mov_b32_e32 v10, s10
	s_xor_b64 exec, exec, s[6:7]
	s_cbranch_execz .LBB5_1138
.LBB5_3188:
	v_cmp_ne_u16_e32 vcc, 0, v11
	s_andn2_b64 s[4:5], s[4:5], exec
	s_and_b64 s[8:9], vcc, exec
	v_mov_b32_e32 v10, 0
	s_or_b64 s[4:5], s[4:5], s[8:9]
	s_or_b64 exec, exec, s[6:7]
	s_and_saveexec_b64 s[6:7], s[4:5]
	s_cbranch_execnz .LBB5_1139
	s_branch .LBB5_1140
.LBB5_3189:
	s_movk_i32 s4, 0x80
	v_cmp_eq_u16_e32 vcc, s4, v11
	s_mov_b64 s[4:5], -1
                                        ; implicit-def: $sgpr10
	s_and_saveexec_b64 s[8:9], vcc
; %bb.3190:
	s_mov_b32 s10, 0x7f800001
	s_xor_b64 s[4:5], exec, -1
; %bb.3191:
	s_or_b64 exec, exec, s[8:9]
	s_and_b64 s[4:5], s[4:5], exec
                                        ; implicit-def: $vgpr11
	s_or_saveexec_b64 s[6:7], s[6:7]
	v_mov_b32_e32 v12, s10
	s_xor_b64 exec, exec, s[6:7]
	s_cbranch_execz .LBB5_1142
.LBB5_3192:
	v_cmp_ne_u16_e32 vcc, 0, v11
	s_andn2_b64 s[4:5], s[4:5], exec
	s_and_b64 s[8:9], vcc, exec
	v_mov_b32_e32 v12, 0
	s_or_b64 s[4:5], s[4:5], s[8:9]
	s_or_b64 exec, exec, s[6:7]
	s_and_saveexec_b64 s[6:7], s[4:5]
	s_cbranch_execnz .LBB5_1143
	s_branch .LBB5_1144
.LBB5_3193:
	s_movk_i32 s4, 0x80
	v_cmp_eq_u16_sdwa s[12:13], v17, s4 src0_sel:BYTE_3 src1_sel:DWORD
	s_mov_b64 s[4:5], -1
                                        ; implicit-def: $sgpr10
	s_and_saveexec_b64 s[8:9], s[12:13]
; %bb.3194:
	s_mov_b32 s10, 0x7f800001
	s_xor_b64 s[4:5], exec, -1
; %bb.3195:
	s_or_b64 exec, exec, s[8:9]
	s_and_b64 s[4:5], s[4:5], exec
	s_or_saveexec_b64 s[6:7], s[6:7]
	v_mov_b32_e32 v10, s10
	s_xor_b64 exec, exec, s[6:7]
	s_cbranch_execz .LBB5_1146
.LBB5_3196:
	v_mov_b32_e32 v10, 0
	v_cmp_ne_u16_sdwa s[8:9], v17, v10 src0_sel:BYTE_3 src1_sel:DWORD
	s_andn2_b64 s[4:5], s[4:5], exec
	s_and_b64 s[8:9], s[8:9], exec
	s_or_b64 s[4:5], s[4:5], s[8:9]
	s_or_b64 exec, exec, s[6:7]
	s_and_saveexec_b64 s[6:7], s[4:5]
	s_cbranch_execnz .LBB5_1147
	s_branch .LBB5_1148
.LBB5_3197:
	s_movk_i32 s4, 0x80
	v_cmp_eq_u16_sdwa s[12:13], v13, s4 src0_sel:BYTE_3 src1_sel:DWORD
	s_mov_b64 s[4:5], -1
                                        ; implicit-def: $sgpr10
	s_and_saveexec_b64 s[8:9], s[12:13]
; %bb.3198:
	s_mov_b32 s10, 0x7f800001
	s_xor_b64 s[4:5], exec, -1
; %bb.3199:
	s_or_b64 exec, exec, s[8:9]
	s_and_b64 s[4:5], s[4:5], exec
	s_or_saveexec_b64 s[6:7], s[6:7]
	v_mov_b32_e32 v11, s10
	s_xor_b64 exec, exec, s[6:7]
	s_cbranch_execz .LBB5_1150
.LBB5_3200:
	v_mov_b32_e32 v11, 0
	v_cmp_ne_u16_sdwa s[8:9], v13, v11 src0_sel:BYTE_3 src1_sel:DWORD
	s_andn2_b64 s[4:5], s[4:5], exec
	s_and_b64 s[8:9], s[8:9], exec
	s_or_b64 s[4:5], s[4:5], s[8:9]
	s_or_b64 exec, exec, s[6:7]
	s_and_saveexec_b64 s[6:7], s[4:5]
	s_cbranch_execnz .LBB5_1151
	s_branch .LBB5_1152
.LBB5_3201:
	s_movk_i32 s4, 0x80
	v_cmp_eq_u16_sdwa s[12:13], v6, s4 src0_sel:BYTE_0 src1_sel:DWORD
	s_mov_b64 s[4:5], -1
                                        ; implicit-def: $sgpr10
	s_and_saveexec_b64 s[8:9], s[12:13]
; %bb.3202:
	s_mov_b32 s10, 0x7f800001
	s_xor_b64 s[4:5], exec, -1
; %bb.3203:
	s_or_b64 exec, exec, s[8:9]
	s_and_b64 s[4:5], s[4:5], exec
	s_or_saveexec_b64 s[6:7], s[6:7]
	v_mov_b32_e32 v10, s10
	s_xor_b64 exec, exec, s[6:7]
	s_cbranch_execz .LBB5_1154
.LBB5_3204:
	v_mov_b32_e32 v10, 0
	v_cmp_ne_u16_sdwa s[8:9], v6, v10 src0_sel:BYTE_0 src1_sel:DWORD
	s_andn2_b64 s[4:5], s[4:5], exec
	s_and_b64 s[8:9], s[8:9], exec
	s_or_b64 s[4:5], s[4:5], s[8:9]
	s_or_b64 exec, exec, s[6:7]
	s_and_saveexec_b64 s[6:7], s[4:5]
	s_cbranch_execnz .LBB5_1155
	s_branch .LBB5_1156
.LBB5_3205:
	s_movk_i32 s4, 0x80
	v_cmp_eq_u16_sdwa s[12:13], v2, s4 src0_sel:BYTE_0 src1_sel:DWORD
	s_mov_b64 s[4:5], -1
                                        ; implicit-def: $sgpr10
	s_and_saveexec_b64 s[8:9], s[12:13]
; %bb.3206:
	s_mov_b32 s10, 0x7f800001
	s_xor_b64 s[4:5], exec, -1
; %bb.3207:
	s_or_b64 exec, exec, s[8:9]
	s_and_b64 s[4:5], s[4:5], exec
	s_or_saveexec_b64 s[6:7], s[6:7]
	v_mov_b32_e32 v11, s10
	s_xor_b64 exec, exec, s[6:7]
	s_cbranch_execz .LBB5_1158
.LBB5_3208:
	v_mov_b32_e32 v11, 0
	v_cmp_ne_u16_sdwa s[8:9], v2, v11 src0_sel:BYTE_0 src1_sel:DWORD
	s_andn2_b64 s[4:5], s[4:5], exec
	s_and_b64 s[8:9], s[8:9], exec
	s_or_b64 s[4:5], s[4:5], s[8:9]
	s_or_b64 exec, exec, s[6:7]
	s_and_saveexec_b64 s[6:7], s[4:5]
	s_cbranch_execnz .LBB5_1159
	s_branch .LBB5_1160
.LBB5_3209:
	s_movk_i32 s4, 0x80
	v_cmp_eq_u16_sdwa s[12:13], v11, s4 src0_sel:BYTE_0 src1_sel:DWORD
	s_mov_b64 s[4:5], -1
                                        ; implicit-def: $sgpr10
	s_and_saveexec_b64 s[8:9], s[12:13]
; %bb.3210:
	s_mov_b32 s10, 0x7f800001
	s_xor_b64 s[4:5], exec, -1
; %bb.3211:
	s_or_b64 exec, exec, s[8:9]
	s_and_b64 s[4:5], s[4:5], exec
	s_or_saveexec_b64 s[6:7], s[6:7]
	v_mov_b32_e32 v10, s10
	s_xor_b64 exec, exec, s[6:7]
	s_cbranch_execz .LBB5_1162
.LBB5_3212:
	v_mov_b32_e32 v10, 0
	v_cmp_ne_u16_sdwa s[8:9], v11, v10 src0_sel:BYTE_0 src1_sel:DWORD
	s_andn2_b64 s[4:5], s[4:5], exec
	s_and_b64 s[8:9], s[8:9], exec
	s_or_b64 s[4:5], s[4:5], s[8:9]
	s_or_b64 exec, exec, s[6:7]
	s_and_saveexec_b64 s[6:7], s[4:5]
	s_cbranch_execnz .LBB5_1163
	s_branch .LBB5_1164
.LBB5_3213:
	s_movk_i32 s4, 0x80
	v_cmp_eq_u16_sdwa s[12:13], v11, s4 src0_sel:BYTE_0 src1_sel:DWORD
	s_mov_b64 s[4:5], -1
                                        ; implicit-def: $sgpr10
	s_and_saveexec_b64 s[8:9], s[12:13]
; %bb.3214:
	s_mov_b32 s10, 0x7f800001
	s_xor_b64 s[4:5], exec, -1
; %bb.3215:
	s_or_b64 exec, exec, s[8:9]
	s_and_b64 s[4:5], s[4:5], exec
	s_or_saveexec_b64 s[6:7], s[6:7]
	v_mov_b32_e32 v12, s10
	s_xor_b64 exec, exec, s[6:7]
	s_cbranch_execz .LBB5_1166
.LBB5_3216:
	v_mov_b32_e32 v12, 0
	v_cmp_ne_u16_sdwa s[8:9], v11, v12 src0_sel:BYTE_0 src1_sel:DWORD
	s_andn2_b64 s[4:5], s[4:5], exec
	s_and_b64 s[8:9], s[8:9], exec
	s_or_b64 s[4:5], s[4:5], s[8:9]
	s_or_b64 exec, exec, s[6:7]
	s_and_saveexec_b64 s[6:7], s[4:5]
	s_cbranch_execnz .LBB5_1167
	s_branch .LBB5_1168
.LBB5_3217:
	s_movk_i32 s4, 0x80
	v_cmp_eq_u16_e32 vcc, s4, v11
	s_mov_b64 s[4:5], -1
                                        ; implicit-def: $sgpr10
	s_and_saveexec_b64 s[8:9], vcc
; %bb.3218:
	s_mov_b32 s10, 0x7f800001
	s_xor_b64 s[4:5], exec, -1
; %bb.3219:
	s_or_b64 exec, exec, s[8:9]
	s_and_b64 s[4:5], s[4:5], exec
                                        ; implicit-def: $vgpr11
	s_or_saveexec_b64 s[6:7], s[6:7]
	v_mov_b32_e32 v10, s10
	s_xor_b64 exec, exec, s[6:7]
	s_cbranch_execz .LBB5_1170
.LBB5_3220:
	v_cmp_ne_u16_e32 vcc, 0, v11
	s_andn2_b64 s[4:5], s[4:5], exec
	s_and_b64 s[8:9], vcc, exec
	v_mov_b32_e32 v10, 0
	s_or_b64 s[4:5], s[4:5], s[8:9]
	s_or_b64 exec, exec, s[6:7]
	s_and_saveexec_b64 s[6:7], s[4:5]
	s_cbranch_execnz .LBB5_1171
	s_branch .LBB5_1172
.LBB5_3221:
	s_movk_i32 s4, 0x80
	v_cmp_eq_u16_e32 vcc, s4, v11
	s_mov_b64 s[4:5], -1
                                        ; implicit-def: $sgpr10
	s_and_saveexec_b64 s[8:9], vcc
; %bb.3222:
	s_mov_b32 s10, 0x7f800001
	s_xor_b64 s[4:5], exec, -1
; %bb.3223:
	s_or_b64 exec, exec, s[8:9]
	s_and_b64 s[4:5], s[4:5], exec
                                        ; implicit-def: $vgpr11
	s_or_saveexec_b64 s[6:7], s[6:7]
	v_mov_b32_e32 v12, s10
	s_xor_b64 exec, exec, s[6:7]
	s_cbranch_execz .LBB5_1174
.LBB5_3224:
	v_cmp_ne_u16_e32 vcc, 0, v11
	s_andn2_b64 s[4:5], s[4:5], exec
	s_and_b64 s[8:9], vcc, exec
	v_mov_b32_e32 v12, 0
	s_or_b64 s[4:5], s[4:5], s[8:9]
	s_or_b64 exec, exec, s[6:7]
	s_and_saveexec_b64 s[6:7], s[4:5]
	s_cbranch_execnz .LBB5_1175
	s_branch .LBB5_1176
.LBB5_3225:
	s_movk_i32 s4, 0x80
	v_cmp_eq_u16_sdwa s[12:13], v6, s4 src0_sel:BYTE_3 src1_sel:DWORD
	s_mov_b64 s[4:5], -1
                                        ; implicit-def: $sgpr10
	s_and_saveexec_b64 s[8:9], s[12:13]
; %bb.3226:
	s_mov_b32 s10, 0x7f800001
	s_xor_b64 s[4:5], exec, -1
; %bb.3227:
	s_or_b64 exec, exec, s[8:9]
	s_and_b64 s[4:5], s[4:5], exec
	s_or_saveexec_b64 s[6:7], s[6:7]
	v_mov_b32_e32 v10, s10
	s_xor_b64 exec, exec, s[6:7]
	s_cbranch_execz .LBB5_1178
.LBB5_3228:
	v_mov_b32_e32 v10, 0
	v_cmp_ne_u16_sdwa s[8:9], v6, v10 src0_sel:BYTE_3 src1_sel:DWORD
	s_andn2_b64 s[4:5], s[4:5], exec
	s_and_b64 s[8:9], s[8:9], exec
	s_or_b64 s[4:5], s[4:5], s[8:9]
	s_or_b64 exec, exec, s[6:7]
	s_and_saveexec_b64 s[6:7], s[4:5]
	s_cbranch_execnz .LBB5_1179
	s_branch .LBB5_1180
.LBB5_3229:
	s_movk_i32 s4, 0x80
	v_cmp_eq_u16_sdwa s[12:13], v2, s4 src0_sel:BYTE_3 src1_sel:DWORD
	s_mov_b64 s[4:5], -1
                                        ; implicit-def: $sgpr10
	s_and_saveexec_b64 s[8:9], s[12:13]
; %bb.3230:
	s_mov_b32 s10, 0x7f800001
	s_xor_b64 s[4:5], exec, -1
; %bb.3231:
	s_or_b64 exec, exec, s[8:9]
	s_and_b64 s[4:5], s[4:5], exec
	s_or_saveexec_b64 s[6:7], s[6:7]
	v_mov_b32_e32 v6, s10
	s_xor_b64 exec, exec, s[6:7]
	s_cbranch_execz .LBB5_1182
.LBB5_3232:
	v_mov_b32_e32 v6, 0
	v_cmp_ne_u16_sdwa s[8:9], v2, v6 src0_sel:BYTE_3 src1_sel:DWORD
	s_andn2_b64 s[4:5], s[4:5], exec
	s_and_b64 s[8:9], s[8:9], exec
	s_or_b64 s[4:5], s[4:5], s[8:9]
	s_or_b64 exec, exec, s[6:7]
	s_and_saveexec_b64 s[6:7], s[4:5]
	s_cbranch_execnz .LBB5_1183
	s_branch .LBB5_1184
.LBB5_3233:
	s_movk_i32 s4, 0x80
	v_cmp_eq_u16_sdwa s[12:13], v7, s4 src0_sel:BYTE_0 src1_sel:DWORD
	s_mov_b64 s[4:5], -1
                                        ; implicit-def: $sgpr10
	s_and_saveexec_b64 s[8:9], s[12:13]
; %bb.3234:
	s_mov_b32 s10, 0x7f800001
	s_xor_b64 s[4:5], exec, -1
; %bb.3235:
	s_or_b64 exec, exec, s[8:9]
	s_and_b64 s[4:5], s[4:5], exec
	s_or_saveexec_b64 s[6:7], s[6:7]
	v_mov_b32_e32 v2, s10
	s_xor_b64 exec, exec, s[6:7]
	s_cbranch_execz .LBB5_1186
.LBB5_3236:
	v_mov_b32_e32 v2, 0
	v_cmp_ne_u16_sdwa s[8:9], v7, v2 src0_sel:BYTE_0 src1_sel:DWORD
	s_andn2_b64 s[4:5], s[4:5], exec
	s_and_b64 s[8:9], s[8:9], exec
	s_or_b64 s[4:5], s[4:5], s[8:9]
	s_or_b64 exec, exec, s[6:7]
	s_and_saveexec_b64 s[6:7], s[4:5]
	s_cbranch_execnz .LBB5_1187
	s_branch .LBB5_1188
.LBB5_3237:
	s_movk_i32 s4, 0x80
	v_cmp_eq_u16_sdwa s[12:13], v3, s4 src0_sel:BYTE_0 src1_sel:DWORD
	s_mov_b64 s[4:5], -1
                                        ; implicit-def: $sgpr10
	s_and_saveexec_b64 s[8:9], s[12:13]
; %bb.3238:
	s_mov_b32 s10, 0x7f800001
	s_xor_b64 s[4:5], exec, -1
; %bb.3239:
	s_or_b64 exec, exec, s[8:9]
	s_and_b64 s[4:5], s[4:5], exec
	s_or_saveexec_b64 s[6:7], s[6:7]
	v_mov_b32_e32 v6, s10
	s_xor_b64 exec, exec, s[6:7]
	s_cbranch_execz .LBB5_1190
.LBB5_3240:
	v_mov_b32_e32 v6, 0
	v_cmp_ne_u16_sdwa s[8:9], v3, v6 src0_sel:BYTE_0 src1_sel:DWORD
	s_andn2_b64 s[4:5], s[4:5], exec
	s_and_b64 s[8:9], s[8:9], exec
	s_or_b64 s[4:5], s[4:5], s[8:9]
	s_or_b64 exec, exec, s[6:7]
	s_and_saveexec_b64 s[6:7], s[4:5]
	s_cbranch_execnz .LBB5_1191
	s_branch .LBB5_1192
.LBB5_3241:
	s_movk_i32 s4, 0x80
	v_cmp_eq_u16_sdwa s[12:13], v6, s4 src0_sel:BYTE_0 src1_sel:DWORD
	s_mov_b64 s[4:5], -1
                                        ; implicit-def: $sgpr10
	s_and_saveexec_b64 s[8:9], s[12:13]
; %bb.3242:
	s_mov_b32 s10, 0x7f800001
	s_xor_b64 s[4:5], exec, -1
; %bb.3243:
	s_or_b64 exec, exec, s[8:9]
	s_and_b64 s[4:5], s[4:5], exec
	s_or_saveexec_b64 s[6:7], s[6:7]
	v_mov_b32_e32 v2, s10
	s_xor_b64 exec, exec, s[6:7]
	s_cbranch_execz .LBB5_1194
.LBB5_3244:
	v_mov_b32_e32 v2, 0
	v_cmp_ne_u16_sdwa s[8:9], v6, v2 src0_sel:BYTE_0 src1_sel:DWORD
	s_andn2_b64 s[4:5], s[4:5], exec
	s_and_b64 s[8:9], s[8:9], exec
	s_or_b64 s[4:5], s[4:5], s[8:9]
	s_or_b64 exec, exec, s[6:7]
	s_and_saveexec_b64 s[6:7], s[4:5]
	s_cbranch_execnz .LBB5_1195
	s_branch .LBB5_1196
.LBB5_3245:
	s_movk_i32 s4, 0x80
	v_cmp_eq_u16_sdwa s[12:13], v6, s4 src0_sel:BYTE_0 src1_sel:DWORD
	s_mov_b64 s[4:5], -1
                                        ; implicit-def: $sgpr10
	s_and_saveexec_b64 s[8:9], s[12:13]
; %bb.3246:
	s_mov_b32 s10, 0x7f800001
	s_xor_b64 s[4:5], exec, -1
; %bb.3247:
	s_or_b64 exec, exec, s[8:9]
	s_and_b64 s[4:5], s[4:5], exec
	s_or_saveexec_b64 s[6:7], s[6:7]
	v_mov_b32_e32 v10, s10
	s_xor_b64 exec, exec, s[6:7]
	s_cbranch_execz .LBB5_1198
.LBB5_3248:
	v_mov_b32_e32 v10, 0
	v_cmp_ne_u16_sdwa s[8:9], v6, v10 src0_sel:BYTE_0 src1_sel:DWORD
	s_andn2_b64 s[4:5], s[4:5], exec
	s_and_b64 s[8:9], s[8:9], exec
	s_or_b64 s[4:5], s[4:5], s[8:9]
	s_or_b64 exec, exec, s[6:7]
	s_and_saveexec_b64 s[6:7], s[4:5]
	s_cbranch_execnz .LBB5_1199
	s_branch .LBB5_1200
.LBB5_3249:
	s_movk_i32 s4, 0x80
	v_cmp_eq_u16_e32 vcc, s4, v6
	s_mov_b64 s[4:5], -1
                                        ; implicit-def: $sgpr10
	s_and_saveexec_b64 s[8:9], vcc
; %bb.3250:
	s_mov_b32 s10, 0x7f800001
	s_xor_b64 s[4:5], exec, -1
; %bb.3251:
	s_or_b64 exec, exec, s[8:9]
	s_and_b64 s[4:5], s[4:5], exec
                                        ; implicit-def: $vgpr6
	s_or_saveexec_b64 s[6:7], s[6:7]
	v_mov_b32_e32 v2, s10
	s_xor_b64 exec, exec, s[6:7]
	s_cbranch_execz .LBB5_1202
.LBB5_3252:
	v_cmp_ne_u16_e32 vcc, 0, v6
	s_andn2_b64 s[4:5], s[4:5], exec
	s_and_b64 s[8:9], vcc, exec
	v_mov_b32_e32 v2, 0
	s_or_b64 s[4:5], s[4:5], s[8:9]
	s_or_b64 exec, exec, s[6:7]
	s_and_saveexec_b64 s[6:7], s[4:5]
	s_cbranch_execnz .LBB5_1203
	s_branch .LBB5_1204
.LBB5_3253:
	s_movk_i32 s4, 0x80
	v_cmp_eq_u16_e32 vcc, s4, v6
	s_mov_b64 s[4:5], -1
                                        ; implicit-def: $sgpr10
	s_and_saveexec_b64 s[8:9], vcc
; %bb.3254:
	s_mov_b32 s10, 0x7f800001
	s_xor_b64 s[4:5], exec, -1
; %bb.3255:
	s_or_b64 exec, exec, s[8:9]
	s_and_b64 s[4:5], s[4:5], exec
                                        ; implicit-def: $vgpr6
	s_or_saveexec_b64 s[6:7], s[6:7]
	v_mov_b32_e32 v10, s10
	s_xor_b64 exec, exec, s[6:7]
	s_cbranch_execz .LBB5_1206
.LBB5_3256:
	v_cmp_ne_u16_e32 vcc, 0, v6
	s_andn2_b64 s[4:5], s[4:5], exec
	s_and_b64 s[8:9], vcc, exec
	v_mov_b32_e32 v10, 0
	s_or_b64 s[4:5], s[4:5], s[8:9]
	s_or_b64 exec, exec, s[6:7]
	s_and_saveexec_b64 s[6:7], s[4:5]
	s_cbranch_execnz .LBB5_1207
	s_branch .LBB5_1208
.LBB5_3257:
	s_movk_i32 s4, 0x80
	v_cmp_eq_u16_sdwa s[12:13], v7, s4 src0_sel:BYTE_3 src1_sel:DWORD
	s_mov_b64 s[4:5], -1
                                        ; implicit-def: $sgpr10
	s_and_saveexec_b64 s[8:9], s[12:13]
; %bb.3258:
	s_mov_b32 s10, 0x7f800001
	s_xor_b64 s[4:5], exec, -1
; %bb.3259:
	s_or_b64 exec, exec, s[8:9]
	s_and_b64 s[4:5], s[4:5], exec
	s_or_saveexec_b64 s[6:7], s[6:7]
	v_mov_b32_e32 v2, s10
	s_xor_b64 exec, exec, s[6:7]
	s_cbranch_execz .LBB5_1210
.LBB5_3260:
	v_mov_b32_e32 v2, 0
	v_cmp_ne_u16_sdwa s[8:9], v7, v2 src0_sel:BYTE_3 src1_sel:DWORD
	s_andn2_b64 s[4:5], s[4:5], exec
	s_and_b64 s[8:9], s[8:9], exec
	s_or_b64 s[4:5], s[4:5], s[8:9]
	s_or_b64 exec, exec, s[6:7]
	s_and_saveexec_b64 s[6:7], s[4:5]
	s_cbranch_execnz .LBB5_1211
	s_branch .LBB5_1212
.LBB5_3261:
	s_movk_i32 s4, 0x80
	v_cmp_eq_u16_sdwa s[12:13], v3, s4 src0_sel:BYTE_3 src1_sel:DWORD
	s_mov_b64 s[4:5], -1
                                        ; implicit-def: $sgpr10
	s_and_saveexec_b64 s[8:9], s[12:13]
; %bb.3262:
	s_mov_b32 s10, 0x7f800001
	s_xor_b64 s[4:5], exec, -1
; %bb.3263:
	s_or_b64 exec, exec, s[8:9]
	s_and_b64 s[4:5], s[4:5], exec
	s_or_saveexec_b64 s[6:7], s[6:7]
	v_mov_b32_e32 v6, s10
	s_xor_b64 exec, exec, s[6:7]
	s_cbranch_execz .LBB5_1214
.LBB5_3264:
	v_mov_b32_e32 v6, 0
	v_cmp_ne_u16_sdwa s[8:9], v3, v6 src0_sel:BYTE_3 src1_sel:DWORD
	s_andn2_b64 s[4:5], s[4:5], exec
	s_and_b64 s[8:9], s[8:9], exec
	s_or_b64 s[4:5], s[4:5], s[8:9]
	s_or_b64 exec, exec, s[6:7]
	s_and_saveexec_b64 s[6:7], s[4:5]
	s_cbranch_execnz .LBB5_1215
	s_branch .LBB5_1216
.LBB5_3265:
	s_movk_i32 s4, 0x80
	v_cmp_eq_u16_sdwa s[12:13], v8, s4 src0_sel:BYTE_0 src1_sel:DWORD
	s_mov_b64 s[4:5], -1
                                        ; implicit-def: $sgpr10
	s_and_saveexec_b64 s[8:9], s[12:13]
; %bb.3266:
	s_mov_b32 s10, 0x7f800001
	s_xor_b64 s[4:5], exec, -1
; %bb.3267:
	s_or_b64 exec, exec, s[8:9]
	s_and_b64 s[4:5], s[4:5], exec
	s_or_saveexec_b64 s[6:7], s[6:7]
	v_mov_b32_e32 v2, s10
	s_xor_b64 exec, exec, s[6:7]
	s_cbranch_execz .LBB5_1218
.LBB5_3268:
	v_mov_b32_e32 v2, 0
	v_cmp_ne_u16_sdwa s[8:9], v8, v2 src0_sel:BYTE_0 src1_sel:DWORD
	s_andn2_b64 s[4:5], s[4:5], exec
	s_and_b64 s[8:9], s[8:9], exec
	s_or_b64 s[4:5], s[4:5], s[8:9]
	s_or_b64 exec, exec, s[6:7]
	s_and_saveexec_b64 s[6:7], s[4:5]
	s_cbranch_execnz .LBB5_1219
	s_branch .LBB5_1220
.LBB5_3269:
	s_movk_i32 s4, 0x80
	v_cmp_eq_u16_sdwa s[12:13], v4, s4 src0_sel:BYTE_0 src1_sel:DWORD
	s_mov_b64 s[4:5], -1
                                        ; implicit-def: $sgpr10
	s_and_saveexec_b64 s[8:9], s[12:13]
; %bb.3270:
	s_mov_b32 s10, 0x7f800001
	s_xor_b64 s[4:5], exec, -1
; %bb.3271:
	s_or_b64 exec, exec, s[8:9]
	s_and_b64 s[4:5], s[4:5], exec
	s_or_saveexec_b64 s[6:7], s[6:7]
	v_mov_b32_e32 v3, s10
	s_xor_b64 exec, exec, s[6:7]
	s_cbranch_execz .LBB5_1222
.LBB5_3272:
	v_mov_b32_e32 v3, 0
	v_cmp_ne_u16_sdwa s[8:9], v4, v3 src0_sel:BYTE_0 src1_sel:DWORD
	s_andn2_b64 s[4:5], s[4:5], exec
	s_and_b64 s[8:9], s[8:9], exec
	s_or_b64 s[4:5], s[4:5], s[8:9]
	s_or_b64 exec, exec, s[6:7]
	s_and_saveexec_b64 s[6:7], s[4:5]
	s_cbranch_execnz .LBB5_1223
	s_branch .LBB5_1224
.LBB5_3273:
	s_movk_i32 s4, 0x80
	v_cmp_eq_u16_sdwa s[12:13], v3, s4 src0_sel:BYTE_0 src1_sel:DWORD
	s_mov_b64 s[4:5], -1
                                        ; implicit-def: $sgpr10
	s_and_saveexec_b64 s[8:9], s[12:13]
; %bb.3274:
	s_mov_b32 s10, 0x7f800001
	s_xor_b64 s[4:5], exec, -1
; %bb.3275:
	s_or_b64 exec, exec, s[8:9]
	s_and_b64 s[4:5], s[4:5], exec
	s_or_saveexec_b64 s[6:7], s[6:7]
	v_mov_b32_e32 v2, s10
	s_xor_b64 exec, exec, s[6:7]
	s_cbranch_execz .LBB5_1226
.LBB5_3276:
	v_mov_b32_e32 v2, 0
	v_cmp_ne_u16_sdwa s[8:9], v3, v2 src0_sel:BYTE_0 src1_sel:DWORD
	s_andn2_b64 s[4:5], s[4:5], exec
	s_and_b64 s[8:9], s[8:9], exec
	s_or_b64 s[4:5], s[4:5], s[8:9]
	s_or_b64 exec, exec, s[6:7]
	s_and_saveexec_b64 s[6:7], s[4:5]
	s_cbranch_execnz .LBB5_1227
	s_branch .LBB5_1228
.LBB5_3277:
	s_movk_i32 s4, 0x80
	v_cmp_eq_u16_sdwa s[12:13], v3, s4 src0_sel:BYTE_0 src1_sel:DWORD
	s_mov_b64 s[4:5], -1
                                        ; implicit-def: $sgpr10
	s_and_saveexec_b64 s[8:9], s[12:13]
; %bb.3278:
	s_mov_b32 s10, 0x7f800001
	s_xor_b64 s[4:5], exec, -1
; %bb.3279:
	s_or_b64 exec, exec, s[8:9]
	s_and_b64 s[4:5], s[4:5], exec
	s_or_saveexec_b64 s[6:7], s[6:7]
	v_mov_b32_e32 v6, s10
	s_xor_b64 exec, exec, s[6:7]
	s_cbranch_execz .LBB5_1230
.LBB5_3280:
	v_mov_b32_e32 v6, 0
	v_cmp_ne_u16_sdwa s[8:9], v3, v6 src0_sel:BYTE_0 src1_sel:DWORD
	s_andn2_b64 s[4:5], s[4:5], exec
	s_and_b64 s[8:9], s[8:9], exec
	s_or_b64 s[4:5], s[4:5], s[8:9]
	s_or_b64 exec, exec, s[6:7]
	s_and_saveexec_b64 s[6:7], s[4:5]
	s_cbranch_execnz .LBB5_1231
	s_branch .LBB5_1232
.LBB5_3281:
	s_movk_i32 s4, 0x80
	v_cmp_eq_u16_e32 vcc, s4, v3
	s_mov_b64 s[4:5], -1
                                        ; implicit-def: $sgpr10
	s_and_saveexec_b64 s[8:9], vcc
; %bb.3282:
	s_mov_b32 s10, 0x7f800001
	s_xor_b64 s[4:5], exec, -1
; %bb.3283:
	s_or_b64 exec, exec, s[8:9]
	s_and_b64 s[4:5], s[4:5], exec
                                        ; implicit-def: $vgpr3
	s_or_saveexec_b64 s[6:7], s[6:7]
	v_mov_b32_e32 v2, s10
	s_xor_b64 exec, exec, s[6:7]
	s_cbranch_execz .LBB5_1234
.LBB5_3284:
	v_cmp_ne_u16_e32 vcc, 0, v3
	s_andn2_b64 s[4:5], s[4:5], exec
	s_and_b64 s[8:9], vcc, exec
	v_mov_b32_e32 v2, 0
	s_or_b64 s[4:5], s[4:5], s[8:9]
	s_or_b64 exec, exec, s[6:7]
	s_and_saveexec_b64 s[6:7], s[4:5]
	s_cbranch_execnz .LBB5_1235
	s_branch .LBB5_1236
.LBB5_3285:
	s_movk_i32 s4, 0x80
	v_cmp_eq_u16_e32 vcc, s4, v3
	s_mov_b64 s[4:5], -1
                                        ; implicit-def: $sgpr10
	s_and_saveexec_b64 s[8:9], vcc
; %bb.3286:
	s_mov_b32 s10, 0x7f800001
	s_xor_b64 s[4:5], exec, -1
; %bb.3287:
	s_or_b64 exec, exec, s[8:9]
	s_and_b64 s[4:5], s[4:5], exec
                                        ; implicit-def: $vgpr3
	s_or_saveexec_b64 s[6:7], s[6:7]
	v_mov_b32_e32 v6, s10
	s_xor_b64 exec, exec, s[6:7]
	s_cbranch_execz .LBB5_1238
.LBB5_3288:
	v_cmp_ne_u16_e32 vcc, 0, v3
	s_andn2_b64 s[4:5], s[4:5], exec
	s_and_b64 s[8:9], vcc, exec
	v_mov_b32_e32 v6, 0
	s_or_b64 s[4:5], s[4:5], s[8:9]
	s_or_b64 exec, exec, s[6:7]
	s_and_saveexec_b64 s[6:7], s[4:5]
	s_cbranch_execnz .LBB5_1239
	s_branch .LBB5_1240
.LBB5_3289:
	s_movk_i32 s4, 0x80
	v_cmp_eq_u16_sdwa s[12:13], v8, s4 src0_sel:BYTE_3 src1_sel:DWORD
	s_mov_b64 s[4:5], -1
                                        ; implicit-def: $sgpr10
	s_and_saveexec_b64 s[8:9], s[12:13]
; %bb.3290:
	s_mov_b32 s10, 0x7f800001
	s_xor_b64 s[4:5], exec, -1
; %bb.3291:
	s_or_b64 exec, exec, s[8:9]
	s_and_b64 s[4:5], s[4:5], exec
	s_or_saveexec_b64 s[6:7], s[6:7]
	v_mov_b32_e32 v2, s10
	s_xor_b64 exec, exec, s[6:7]
	s_cbranch_execz .LBB5_1242
.LBB5_3292:
	v_mov_b32_e32 v2, 0
	v_cmp_ne_u16_sdwa s[8:9], v8, v2 src0_sel:BYTE_3 src1_sel:DWORD
	s_andn2_b64 s[4:5], s[4:5], exec
	s_and_b64 s[8:9], s[8:9], exec
	s_or_b64 s[4:5], s[4:5], s[8:9]
	s_or_b64 exec, exec, s[6:7]
	s_and_saveexec_b64 s[6:7], s[4:5]
	s_cbranch_execnz .LBB5_1243
	s_branch .LBB5_1244
.LBB5_3293:
	s_movk_i32 s4, 0x80
	v_cmp_eq_u16_sdwa s[12:13], v4, s4 src0_sel:BYTE_3 src1_sel:DWORD
	s_mov_b64 s[4:5], -1
                                        ; implicit-def: $sgpr10
	s_and_saveexec_b64 s[8:9], s[12:13]
; %bb.3294:
	s_mov_b32 s10, 0x7f800001
	s_xor_b64 s[4:5], exec, -1
; %bb.3295:
	s_or_b64 exec, exec, s[8:9]
	s_and_b64 s[4:5], s[4:5], exec
	s_or_saveexec_b64 s[6:7], s[6:7]
	v_mov_b32_e32 v3, s10
	s_xor_b64 exec, exec, s[6:7]
	s_cbranch_execz .LBB5_1246
.LBB5_3296:
	v_mov_b32_e32 v3, 0
	v_cmp_ne_u16_sdwa s[8:9], v4, v3 src0_sel:BYTE_3 src1_sel:DWORD
	s_andn2_b64 s[4:5], s[4:5], exec
	s_and_b64 s[8:9], s[8:9], exec
	s_or_b64 s[4:5], s[4:5], s[8:9]
	s_or_b64 exec, exec, s[6:7]
	s_and_saveexec_b64 s[6:7], s[4:5]
	s_cbranch_execnz .LBB5_1247
	s_branch .LBB5_1248
.LBB5_3297:
	s_movk_i32 s4, 0x80
	v_cmp_eq_u16_sdwa s[12:13], v9, s4 src0_sel:BYTE_0 src1_sel:DWORD
	s_mov_b64 s[4:5], -1
                                        ; implicit-def: $sgpr10
	s_and_saveexec_b64 s[8:9], s[12:13]
; %bb.3298:
	s_mov_b32 s10, 0x7f800001
	s_xor_b64 s[4:5], exec, -1
; %bb.3299:
	s_or_b64 exec, exec, s[8:9]
	s_and_b64 s[4:5], s[4:5], exec
	s_or_saveexec_b64 s[6:7], s[6:7]
	v_mov_b32_e32 v2, s10
	s_xor_b64 exec, exec, s[6:7]
	s_cbranch_execz .LBB5_1250
.LBB5_3300:
	v_mov_b32_e32 v2, 0
	v_cmp_ne_u16_sdwa s[8:9], v9, v2 src0_sel:BYTE_0 src1_sel:DWORD
	s_andn2_b64 s[4:5], s[4:5], exec
	s_and_b64 s[8:9], s[8:9], exec
	s_or_b64 s[4:5], s[4:5], s[8:9]
	s_or_b64 exec, exec, s[6:7]
	s_and_saveexec_b64 s[6:7], s[4:5]
	s_cbranch_execnz .LBB5_1251
	s_branch .LBB5_1252
.LBB5_3301:
	s_movk_i32 s4, 0x80
	v_cmp_eq_u16_sdwa s[12:13], v5, s4 src0_sel:BYTE_0 src1_sel:DWORD
	s_mov_b64 s[4:5], -1
                                        ; implicit-def: $sgpr10
	s_and_saveexec_b64 s[8:9], s[12:13]
; %bb.3302:
	s_mov_b32 s10, 0x7f800001
	s_xor_b64 s[4:5], exec, -1
; %bb.3303:
	s_or_b64 exec, exec, s[8:9]
	s_and_b64 s[4:5], s[4:5], exec
	s_or_saveexec_b64 s[6:7], s[6:7]
	v_mov_b32_e32 v3, s10
	s_xor_b64 exec, exec, s[6:7]
	s_cbranch_execz .LBB5_1254
.LBB5_3304:
	v_mov_b32_e32 v3, 0
	v_cmp_ne_u16_sdwa s[8:9], v5, v3 src0_sel:BYTE_0 src1_sel:DWORD
	s_andn2_b64 s[4:5], s[4:5], exec
	s_and_b64 s[8:9], s[8:9], exec
	s_or_b64 s[4:5], s[4:5], s[8:9]
	s_or_b64 exec, exec, s[6:7]
	s_and_saveexec_b64 s[6:7], s[4:5]
	s_cbranch_execnz .LBB5_1255
	s_branch .LBB5_1256
.LBB5_3305:
	s_movk_i32 s4, 0x80
	v_cmp_eq_u16_sdwa s[12:13], v3, s4 src0_sel:BYTE_0 src1_sel:DWORD
	s_mov_b64 s[4:5], -1
                                        ; implicit-def: $sgpr10
	s_and_saveexec_b64 s[8:9], s[12:13]
; %bb.3306:
	s_mov_b32 s10, 0x7f800001
	s_xor_b64 s[4:5], exec, -1
; %bb.3307:
	s_or_b64 exec, exec, s[8:9]
	s_and_b64 s[4:5], s[4:5], exec
	s_or_saveexec_b64 s[6:7], s[6:7]
	v_mov_b32_e32 v2, s10
	s_xor_b64 exec, exec, s[6:7]
	s_cbranch_execz .LBB5_1258
.LBB5_3308:
	v_mov_b32_e32 v2, 0
	v_cmp_ne_u16_sdwa s[8:9], v3, v2 src0_sel:BYTE_0 src1_sel:DWORD
	s_andn2_b64 s[4:5], s[4:5], exec
	s_and_b64 s[8:9], s[8:9], exec
	s_or_b64 s[4:5], s[4:5], s[8:9]
	s_or_b64 exec, exec, s[6:7]
	s_and_saveexec_b64 s[6:7], s[4:5]
	s_cbranch_execnz .LBB5_1259
	s_branch .LBB5_1260
.LBB5_3309:
	s_movk_i32 s4, 0x80
	v_cmp_eq_u16_sdwa s[12:13], v3, s4 src0_sel:BYTE_0 src1_sel:DWORD
	s_mov_b64 s[4:5], -1
                                        ; implicit-def: $sgpr10
	s_and_saveexec_b64 s[8:9], s[12:13]
; %bb.3310:
	s_mov_b32 s10, 0x7f800001
	s_xor_b64 s[4:5], exec, -1
; %bb.3311:
	s_or_b64 exec, exec, s[8:9]
	s_and_b64 s[4:5], s[4:5], exec
	s_or_saveexec_b64 s[6:7], s[6:7]
	v_mov_b32_e32 v4, s10
	s_xor_b64 exec, exec, s[6:7]
	s_cbranch_execz .LBB5_1262
.LBB5_3312:
	v_mov_b32_e32 v4, 0
	v_cmp_ne_u16_sdwa s[8:9], v3, v4 src0_sel:BYTE_0 src1_sel:DWORD
	s_andn2_b64 s[4:5], s[4:5], exec
	s_and_b64 s[8:9], s[8:9], exec
	s_or_b64 s[4:5], s[4:5], s[8:9]
	s_or_b64 exec, exec, s[6:7]
	s_and_saveexec_b64 s[6:7], s[4:5]
	s_cbranch_execnz .LBB5_1263
	s_branch .LBB5_1264
.LBB5_3313:
	s_movk_i32 s4, 0x80
	v_cmp_eq_u16_e32 vcc, s4, v3
	s_mov_b64 s[4:5], -1
                                        ; implicit-def: $sgpr10
	s_and_saveexec_b64 s[8:9], vcc
; %bb.3314:
	s_mov_b32 s10, 0x7f800001
	s_xor_b64 s[4:5], exec, -1
; %bb.3315:
	s_or_b64 exec, exec, s[8:9]
	s_and_b64 s[4:5], s[4:5], exec
                                        ; implicit-def: $vgpr3
	s_or_saveexec_b64 s[6:7], s[6:7]
	v_mov_b32_e32 v2, s10
	s_xor_b64 exec, exec, s[6:7]
	s_cbranch_execz .LBB5_1266
.LBB5_3316:
	v_cmp_ne_u16_e32 vcc, 0, v3
	s_andn2_b64 s[4:5], s[4:5], exec
	s_and_b64 s[8:9], vcc, exec
	v_mov_b32_e32 v2, 0
	s_or_b64 s[4:5], s[4:5], s[8:9]
	s_or_b64 exec, exec, s[6:7]
	s_and_saveexec_b64 s[6:7], s[4:5]
	s_cbranch_execnz .LBB5_1267
	s_branch .LBB5_1268
.LBB5_3317:
	s_movk_i32 s4, 0x80
	v_cmp_eq_u16_e32 vcc, s4, v3
	s_mov_b64 s[4:5], -1
                                        ; implicit-def: $sgpr10
	s_and_saveexec_b64 s[8:9], vcc
; %bb.3318:
	s_mov_b32 s10, 0x7f800001
	s_xor_b64 s[4:5], exec, -1
; %bb.3319:
	s_or_b64 exec, exec, s[8:9]
	s_and_b64 s[4:5], s[4:5], exec
                                        ; implicit-def: $vgpr3
	s_or_saveexec_b64 s[6:7], s[6:7]
	v_mov_b32_e32 v4, s10
	s_xor_b64 exec, exec, s[6:7]
	s_cbranch_execz .LBB5_1270
.LBB5_3320:
	v_cmp_ne_u16_e32 vcc, 0, v3
	s_andn2_b64 s[4:5], s[4:5], exec
	s_and_b64 s[8:9], vcc, exec
	v_mov_b32_e32 v4, 0
	s_or_b64 s[4:5], s[4:5], s[8:9]
	s_or_b64 exec, exec, s[6:7]
	s_and_saveexec_b64 s[6:7], s[4:5]
	s_cbranch_execnz .LBB5_1271
	s_branch .LBB5_1272
.LBB5_3321:
	s_movk_i32 s4, 0x80
	v_cmp_eq_u16_sdwa s[12:13], v9, s4 src0_sel:BYTE_3 src1_sel:DWORD
	s_mov_b64 s[4:5], -1
                                        ; implicit-def: $sgpr10
	s_and_saveexec_b64 s[8:9], s[12:13]
; %bb.3322:
	s_mov_b32 s10, 0x7f800001
	s_xor_b64 s[4:5], exec, -1
; %bb.3323:
	s_or_b64 exec, exec, s[8:9]
	s_and_b64 s[4:5], s[4:5], exec
	s_or_saveexec_b64 s[6:7], s[6:7]
	v_mov_b32_e32 v2, s10
	s_xor_b64 exec, exec, s[6:7]
	s_cbranch_execz .LBB5_1274
.LBB5_3324:
	v_mov_b32_e32 v2, 0
	v_cmp_ne_u16_sdwa s[8:9], v9, v2 src0_sel:BYTE_3 src1_sel:DWORD
	s_andn2_b64 s[4:5], s[4:5], exec
	s_and_b64 s[8:9], s[8:9], exec
	s_or_b64 s[4:5], s[4:5], s[8:9]
	s_or_b64 exec, exec, s[6:7]
	s_and_saveexec_b64 s[6:7], s[4:5]
	s_cbranch_execnz .LBB5_1275
	s_branch .LBB5_1276
.LBB5_3325:
	s_movk_i32 s4, 0x80
	v_cmp_eq_u16_sdwa s[12:13], v5, s4 src0_sel:BYTE_3 src1_sel:DWORD
	s_mov_b64 s[4:5], -1
                                        ; implicit-def: $sgpr10
	s_and_saveexec_b64 s[8:9], s[12:13]
; %bb.3326:
	s_mov_b32 s10, 0x7f800001
	s_xor_b64 s[4:5], exec, -1
; %bb.3327:
	s_or_b64 exec, exec, s[8:9]
	s_and_b64 s[4:5], s[4:5], exec
	s_or_saveexec_b64 s[6:7], s[6:7]
	v_mov_b32_e32 v3, s10
	s_xor_b64 exec, exec, s[6:7]
	s_cbranch_execz .LBB5_1278
.LBB5_3328:
	v_mov_b32_e32 v3, 0
	v_cmp_ne_u16_sdwa s[8:9], v5, v3 src0_sel:BYTE_3 src1_sel:DWORD
	s_andn2_b64 s[4:5], s[4:5], exec
	s_and_b64 s[8:9], s[8:9], exec
	s_or_b64 s[4:5], s[4:5], s[8:9]
	s_or_b64 exec, exec, s[6:7]
	s_and_saveexec_b64 s[6:7], s[4:5]
	s_cbranch_execnz .LBB5_1279
	s_branch .LBB5_1280
.LBB5_3329:
	s_movk_i32 s4, 0x80
	v_cmp_eq_u16_sdwa s[12:13], v14, s4 src0_sel:BYTE_0 src1_sel:DWORD
	s_mov_b64 s[4:5], -1
                                        ; implicit-def: $sgpr10
	s_and_saveexec_b64 s[8:9], s[12:13]
; %bb.3330:
	s_mov_b32 s10, 0x7f800001
	s_xor_b64 s[4:5], exec, -1
; %bb.3331:
	s_or_b64 exec, exec, s[8:9]
	s_and_b64 s[4:5], s[4:5], exec
	s_or_saveexec_b64 s[6:7], s[6:7]
	v_mov_b32_e32 v20, s10
	s_xor_b64 exec, exec, s[6:7]
	s_cbranch_execz .LBB5_1282
.LBB5_3332:
	v_mov_b32_e32 v20, 0
	v_cmp_ne_u16_sdwa s[8:9], v14, v20 src0_sel:BYTE_0 src1_sel:DWORD
	s_andn2_b64 s[4:5], s[4:5], exec
	s_and_b64 s[8:9], s[8:9], exec
	s_or_b64 s[4:5], s[4:5], s[8:9]
	s_or_b64 exec, exec, s[6:7]
	s_and_saveexec_b64 s[6:7], s[4:5]
	s_cbranch_execnz .LBB5_1283
	s_branch .LBB5_1284
.LBB5_3333:
	s_movk_i32 s4, 0x80
	v_cmp_eq_u16_sdwa s[12:13], v10, s4 src0_sel:BYTE_0 src1_sel:DWORD
	s_mov_b64 s[4:5], -1
                                        ; implicit-def: $sgpr10
	s_and_saveexec_b64 s[8:9], s[12:13]
; %bb.3334:
	s_mov_b32 s10, 0x7f800001
	s_xor_b64 s[4:5], exec, -1
; %bb.3335:
	s_or_b64 exec, exec, s[8:9]
	s_and_b64 s[4:5], s[4:5], exec
	s_or_saveexec_b64 s[6:7], s[6:7]
	v_mov_b32_e32 v21, s10
	s_xor_b64 exec, exec, s[6:7]
	s_cbranch_execz .LBB5_1286
.LBB5_3336:
	v_mov_b32_e32 v21, 0
	v_cmp_ne_u16_sdwa s[8:9], v10, v21 src0_sel:BYTE_0 src1_sel:DWORD
	s_andn2_b64 s[4:5], s[4:5], exec
	s_and_b64 s[8:9], s[8:9], exec
	s_or_b64 s[4:5], s[4:5], s[8:9]
	s_or_b64 exec, exec, s[6:7]
	s_and_saveexec_b64 s[6:7], s[4:5]
	s_cbranch_execnz .LBB5_1287
	s_branch .LBB5_1288
.LBB5_3337:
	s_movk_i32 s4, 0x80
	v_cmp_eq_u16_sdwa s[12:13], v21, s4 src0_sel:BYTE_0 src1_sel:DWORD
	s_mov_b64 s[4:5], -1
                                        ; implicit-def: $sgpr10
	s_and_saveexec_b64 s[8:9], s[12:13]
; %bb.3338:
	s_mov_b32 s10, 0x7f800001
	s_xor_b64 s[4:5], exec, -1
; %bb.3339:
	s_or_b64 exec, exec, s[8:9]
	s_and_b64 s[4:5], s[4:5], exec
	s_or_saveexec_b64 s[6:7], s[6:7]
	v_mov_b32_e32 v20, s10
	s_xor_b64 exec, exec, s[6:7]
	s_cbranch_execz .LBB5_1290
.LBB5_3340:
	v_mov_b32_e32 v20, 0
	v_cmp_ne_u16_sdwa s[8:9], v21, v20 src0_sel:BYTE_0 src1_sel:DWORD
	s_andn2_b64 s[4:5], s[4:5], exec
	s_and_b64 s[8:9], s[8:9], exec
	s_or_b64 s[4:5], s[4:5], s[8:9]
	s_or_b64 exec, exec, s[6:7]
	s_and_saveexec_b64 s[6:7], s[4:5]
	s_cbranch_execnz .LBB5_1291
	s_branch .LBB5_1292
.LBB5_3341:
	s_movk_i32 s4, 0x80
	v_cmp_eq_u16_sdwa s[12:13], v21, s4 src0_sel:BYTE_0 src1_sel:DWORD
	s_mov_b64 s[4:5], -1
                                        ; implicit-def: $sgpr10
	s_and_saveexec_b64 s[8:9], s[12:13]
; %bb.3342:
	s_mov_b32 s10, 0x7f800001
	s_xor_b64 s[4:5], exec, -1
; %bb.3343:
	s_or_b64 exec, exec, s[8:9]
	s_and_b64 s[4:5], s[4:5], exec
	s_or_saveexec_b64 s[6:7], s[6:7]
	v_mov_b32_e32 v22, s10
	s_xor_b64 exec, exec, s[6:7]
	s_cbranch_execz .LBB5_1294
.LBB5_3344:
	v_mov_b32_e32 v22, 0
	v_cmp_ne_u16_sdwa s[8:9], v21, v22 src0_sel:BYTE_0 src1_sel:DWORD
	s_andn2_b64 s[4:5], s[4:5], exec
	s_and_b64 s[8:9], s[8:9], exec
	s_or_b64 s[4:5], s[4:5], s[8:9]
	s_or_b64 exec, exec, s[6:7]
	s_and_saveexec_b64 s[6:7], s[4:5]
	s_cbranch_execnz .LBB5_1295
	s_branch .LBB5_1296
.LBB5_3345:
	s_movk_i32 s4, 0x80
	v_cmp_eq_u16_e32 vcc, s4, v21
	s_mov_b64 s[4:5], -1
                                        ; implicit-def: $sgpr10
	s_and_saveexec_b64 s[8:9], vcc
; %bb.3346:
	s_mov_b32 s10, 0x7f800001
	s_xor_b64 s[4:5], exec, -1
; %bb.3347:
	s_or_b64 exec, exec, s[8:9]
	s_and_b64 s[4:5], s[4:5], exec
                                        ; implicit-def: $vgpr21
	s_or_saveexec_b64 s[6:7], s[6:7]
	v_mov_b32_e32 v20, s10
	s_xor_b64 exec, exec, s[6:7]
	s_cbranch_execz .LBB5_1298
.LBB5_3348:
	v_cmp_ne_u16_e32 vcc, 0, v21
	s_andn2_b64 s[4:5], s[4:5], exec
	s_and_b64 s[8:9], vcc, exec
	v_mov_b32_e32 v20, 0
	s_or_b64 s[4:5], s[4:5], s[8:9]
	s_or_b64 exec, exec, s[6:7]
	s_and_saveexec_b64 s[6:7], s[4:5]
	s_cbranch_execnz .LBB5_1299
	s_branch .LBB5_1300
.LBB5_3349:
	s_movk_i32 s4, 0x80
	v_cmp_eq_u16_e32 vcc, s4, v21
	s_mov_b64 s[4:5], -1
                                        ; implicit-def: $sgpr10
	s_and_saveexec_b64 s[8:9], vcc
; %bb.3350:
	s_mov_b32 s10, 0x7f800001
	s_xor_b64 s[4:5], exec, -1
; %bb.3351:
	s_or_b64 exec, exec, s[8:9]
	s_and_b64 s[4:5], s[4:5], exec
                                        ; implicit-def: $vgpr21
	s_or_saveexec_b64 s[6:7], s[6:7]
	v_mov_b32_e32 v22, s10
	s_xor_b64 exec, exec, s[6:7]
	s_cbranch_execz .LBB5_1302
.LBB5_3352:
	v_cmp_ne_u16_e32 vcc, 0, v21
	s_andn2_b64 s[4:5], s[4:5], exec
	s_and_b64 s[8:9], vcc, exec
	v_mov_b32_e32 v22, 0
	s_or_b64 s[4:5], s[4:5], s[8:9]
	s_or_b64 exec, exec, s[6:7]
	s_and_saveexec_b64 s[6:7], s[4:5]
	s_cbranch_execnz .LBB5_1303
	s_branch .LBB5_1304
.LBB5_3353:
	s_movk_i32 s4, 0x80
	v_cmp_eq_u16_sdwa s[12:13], v14, s4 src0_sel:BYTE_3 src1_sel:DWORD
	s_mov_b64 s[4:5], -1
                                        ; implicit-def: $sgpr10
	s_and_saveexec_b64 s[8:9], s[12:13]
; %bb.3354:
	s_mov_b32 s10, 0x7f800001
	s_xor_b64 s[4:5], exec, -1
; %bb.3355:
	s_or_b64 exec, exec, s[8:9]
	s_and_b64 s[4:5], s[4:5], exec
	s_or_saveexec_b64 s[6:7], s[6:7]
	v_mov_b32_e32 v20, s10
	s_xor_b64 exec, exec, s[6:7]
	s_cbranch_execz .LBB5_1306
.LBB5_3356:
	v_mov_b32_e32 v20, 0
	v_cmp_ne_u16_sdwa s[8:9], v14, v20 src0_sel:BYTE_3 src1_sel:DWORD
	s_andn2_b64 s[4:5], s[4:5], exec
	s_and_b64 s[8:9], s[8:9], exec
	s_or_b64 s[4:5], s[4:5], s[8:9]
	s_or_b64 exec, exec, s[6:7]
	s_and_saveexec_b64 s[6:7], s[4:5]
	s_cbranch_execnz .LBB5_1307
	s_branch .LBB5_1308
.LBB5_3357:
	s_movk_i32 s4, 0x80
	v_cmp_eq_u16_sdwa s[12:13], v10, s4 src0_sel:BYTE_3 src1_sel:DWORD
	s_mov_b64 s[4:5], -1
                                        ; implicit-def: $sgpr10
	s_and_saveexec_b64 s[8:9], s[12:13]
; %bb.3358:
	s_mov_b32 s10, 0x7f800001
	s_xor_b64 s[4:5], exec, -1
; %bb.3359:
	s_or_b64 exec, exec, s[8:9]
	s_and_b64 s[4:5], s[4:5], exec
	s_or_saveexec_b64 s[6:7], s[6:7]
	v_mov_b32_e32 v14, s10
	s_xor_b64 exec, exec, s[6:7]
	s_cbranch_execz .LBB5_1310
.LBB5_3360:
	v_mov_b32_e32 v14, 0
	v_cmp_ne_u16_sdwa s[8:9], v10, v14 src0_sel:BYTE_3 src1_sel:DWORD
	s_andn2_b64 s[4:5], s[4:5], exec
	s_and_b64 s[8:9], s[8:9], exec
	s_or_b64 s[4:5], s[4:5], s[8:9]
	s_or_b64 exec, exec, s[6:7]
	s_and_saveexec_b64 s[6:7], s[4:5]
	s_cbranch_execnz .LBB5_1311
	s_branch .LBB5_1312
.LBB5_3361:
	s_movk_i32 s4, 0x80
	v_cmp_eq_u16_sdwa s[12:13], v15, s4 src0_sel:BYTE_0 src1_sel:DWORD
	s_mov_b64 s[4:5], -1
                                        ; implicit-def: $sgpr10
	s_and_saveexec_b64 s[8:9], s[12:13]
; %bb.3362:
	s_mov_b32 s10, 0x7f800001
	s_xor_b64 s[4:5], exec, -1
; %bb.3363:
	s_or_b64 exec, exec, s[8:9]
	s_and_b64 s[4:5], s[4:5], exec
	s_or_saveexec_b64 s[6:7], s[6:7]
	v_mov_b32_e32 v10, s10
	s_xor_b64 exec, exec, s[6:7]
	s_cbranch_execz .LBB5_1314
.LBB5_3364:
	v_mov_b32_e32 v10, 0
	v_cmp_ne_u16_sdwa s[8:9], v15, v10 src0_sel:BYTE_0 src1_sel:DWORD
	s_andn2_b64 s[4:5], s[4:5], exec
	s_and_b64 s[8:9], s[8:9], exec
	s_or_b64 s[4:5], s[4:5], s[8:9]
	s_or_b64 exec, exec, s[6:7]
	s_and_saveexec_b64 s[6:7], s[4:5]
	s_cbranch_execnz .LBB5_1315
	s_branch .LBB5_1316
.LBB5_3365:
	s_movk_i32 s4, 0x80
	v_cmp_eq_u16_sdwa s[12:13], v11, s4 src0_sel:BYTE_0 src1_sel:DWORD
	s_mov_b64 s[4:5], -1
                                        ; implicit-def: $sgpr10
	s_and_saveexec_b64 s[8:9], s[12:13]
; %bb.3366:
	s_mov_b32 s10, 0x7f800001
	s_xor_b64 s[4:5], exec, -1
; %bb.3367:
	s_or_b64 exec, exec, s[8:9]
	s_and_b64 s[4:5], s[4:5], exec
	s_or_saveexec_b64 s[6:7], s[6:7]
	v_mov_b32_e32 v14, s10
	s_xor_b64 exec, exec, s[6:7]
	s_cbranch_execz .LBB5_1318
.LBB5_3368:
	v_mov_b32_e32 v14, 0
	v_cmp_ne_u16_sdwa s[8:9], v11, v14 src0_sel:BYTE_0 src1_sel:DWORD
	s_andn2_b64 s[4:5], s[4:5], exec
	s_and_b64 s[8:9], s[8:9], exec
	s_or_b64 s[4:5], s[4:5], s[8:9]
	s_or_b64 exec, exec, s[6:7]
	s_and_saveexec_b64 s[6:7], s[4:5]
	s_cbranch_execnz .LBB5_1319
	s_branch .LBB5_1320
.LBB5_3369:
	s_movk_i32 s4, 0x80
	v_cmp_eq_u16_sdwa s[12:13], v14, s4 src0_sel:BYTE_0 src1_sel:DWORD
	s_mov_b64 s[4:5], -1
                                        ; implicit-def: $sgpr10
	s_and_saveexec_b64 s[8:9], s[12:13]
; %bb.3370:
	s_mov_b32 s10, 0x7f800001
	s_xor_b64 s[4:5], exec, -1
; %bb.3371:
	s_or_b64 exec, exec, s[8:9]
	s_and_b64 s[4:5], s[4:5], exec
	s_or_saveexec_b64 s[6:7], s[6:7]
	v_mov_b32_e32 v10, s10
	s_xor_b64 exec, exec, s[6:7]
	s_cbranch_execz .LBB5_1322
.LBB5_3372:
	v_mov_b32_e32 v10, 0
	v_cmp_ne_u16_sdwa s[8:9], v14, v10 src0_sel:BYTE_0 src1_sel:DWORD
	s_andn2_b64 s[4:5], s[4:5], exec
	s_and_b64 s[8:9], s[8:9], exec
	s_or_b64 s[4:5], s[4:5], s[8:9]
	s_or_b64 exec, exec, s[6:7]
	s_and_saveexec_b64 s[6:7], s[4:5]
	s_cbranch_execnz .LBB5_1323
	s_branch .LBB5_1324
.LBB5_3373:
	s_movk_i32 s4, 0x80
	v_cmp_eq_u16_sdwa s[12:13], v14, s4 src0_sel:BYTE_0 src1_sel:DWORD
	s_mov_b64 s[4:5], -1
                                        ; implicit-def: $sgpr10
	s_and_saveexec_b64 s[8:9], s[12:13]
; %bb.3374:
	s_mov_b32 s10, 0x7f800001
	s_xor_b64 s[4:5], exec, -1
; %bb.3375:
	s_or_b64 exec, exec, s[8:9]
	s_and_b64 s[4:5], s[4:5], exec
	s_or_saveexec_b64 s[6:7], s[6:7]
	v_mov_b32_e32 v20, s10
	s_xor_b64 exec, exec, s[6:7]
	s_cbranch_execz .LBB5_1326
.LBB5_3376:
	v_mov_b32_e32 v20, 0
	v_cmp_ne_u16_sdwa s[8:9], v14, v20 src0_sel:BYTE_0 src1_sel:DWORD
	s_andn2_b64 s[4:5], s[4:5], exec
	s_and_b64 s[8:9], s[8:9], exec
	s_or_b64 s[4:5], s[4:5], s[8:9]
	s_or_b64 exec, exec, s[6:7]
	s_and_saveexec_b64 s[6:7], s[4:5]
	s_cbranch_execnz .LBB5_1327
	s_branch .LBB5_1328
.LBB5_3377:
	s_movk_i32 s4, 0x80
	v_cmp_eq_u16_e32 vcc, s4, v14
	s_mov_b64 s[4:5], -1
                                        ; implicit-def: $sgpr10
	s_and_saveexec_b64 s[8:9], vcc
; %bb.3378:
	s_mov_b32 s10, 0x7f800001
	s_xor_b64 s[4:5], exec, -1
; %bb.3379:
	s_or_b64 exec, exec, s[8:9]
	s_and_b64 s[4:5], s[4:5], exec
                                        ; implicit-def: $vgpr14
	s_or_saveexec_b64 s[6:7], s[6:7]
	v_mov_b32_e32 v10, s10
	s_xor_b64 exec, exec, s[6:7]
	s_cbranch_execz .LBB5_1330
.LBB5_3380:
	v_cmp_ne_u16_e32 vcc, 0, v14
	s_andn2_b64 s[4:5], s[4:5], exec
	s_and_b64 s[8:9], vcc, exec
	v_mov_b32_e32 v10, 0
	s_or_b64 s[4:5], s[4:5], s[8:9]
	s_or_b64 exec, exec, s[6:7]
	s_and_saveexec_b64 s[6:7], s[4:5]
	s_cbranch_execnz .LBB5_1331
	s_branch .LBB5_1332
.LBB5_3381:
	s_movk_i32 s4, 0x80
	v_cmp_eq_u16_e32 vcc, s4, v14
	s_mov_b64 s[4:5], -1
                                        ; implicit-def: $sgpr10
	s_and_saveexec_b64 s[8:9], vcc
; %bb.3382:
	s_mov_b32 s10, 0x7f800001
	s_xor_b64 s[4:5], exec, -1
; %bb.3383:
	s_or_b64 exec, exec, s[8:9]
	s_and_b64 s[4:5], s[4:5], exec
                                        ; implicit-def: $vgpr14
	s_or_saveexec_b64 s[6:7], s[6:7]
	v_mov_b32_e32 v20, s10
	s_xor_b64 exec, exec, s[6:7]
	s_cbranch_execz .LBB5_1334
.LBB5_3384:
	v_cmp_ne_u16_e32 vcc, 0, v14
	s_andn2_b64 s[4:5], s[4:5], exec
	s_and_b64 s[8:9], vcc, exec
	v_mov_b32_e32 v20, 0
	s_or_b64 s[4:5], s[4:5], s[8:9]
	s_or_b64 exec, exec, s[6:7]
	s_and_saveexec_b64 s[6:7], s[4:5]
	s_cbranch_execnz .LBB5_1335
	s_branch .LBB5_1336
.LBB5_3385:
	s_movk_i32 s4, 0x80
	v_cmp_eq_u16_sdwa s[12:13], v15, s4 src0_sel:BYTE_3 src1_sel:DWORD
	s_mov_b64 s[4:5], -1
                                        ; implicit-def: $sgpr10
	s_and_saveexec_b64 s[8:9], s[12:13]
; %bb.3386:
	s_mov_b32 s10, 0x7f800001
	s_xor_b64 s[4:5], exec, -1
; %bb.3387:
	s_or_b64 exec, exec, s[8:9]
	s_and_b64 s[4:5], s[4:5], exec
	s_or_saveexec_b64 s[6:7], s[6:7]
	v_mov_b32_e32 v10, s10
	s_xor_b64 exec, exec, s[6:7]
	s_cbranch_execz .LBB5_1338
.LBB5_3388:
	v_mov_b32_e32 v10, 0
	v_cmp_ne_u16_sdwa s[8:9], v15, v10 src0_sel:BYTE_3 src1_sel:DWORD
	s_andn2_b64 s[4:5], s[4:5], exec
	s_and_b64 s[8:9], s[8:9], exec
	s_or_b64 s[4:5], s[4:5], s[8:9]
	s_or_b64 exec, exec, s[6:7]
	s_and_saveexec_b64 s[6:7], s[4:5]
	s_cbranch_execnz .LBB5_1339
	s_branch .LBB5_1340
.LBB5_3389:
	s_movk_i32 s4, 0x80
	v_cmp_eq_u16_sdwa s[12:13], v11, s4 src0_sel:BYTE_3 src1_sel:DWORD
	s_mov_b64 s[4:5], -1
                                        ; implicit-def: $sgpr10
	s_and_saveexec_b64 s[8:9], s[12:13]
; %bb.3390:
	s_mov_b32 s10, 0x7f800001
	s_xor_b64 s[4:5], exec, -1
; %bb.3391:
	s_or_b64 exec, exec, s[8:9]
	s_and_b64 s[4:5], s[4:5], exec
	s_or_saveexec_b64 s[6:7], s[6:7]
	v_mov_b32_e32 v14, s10
	s_xor_b64 exec, exec, s[6:7]
	s_cbranch_execz .LBB5_1342
.LBB5_3392:
	v_mov_b32_e32 v14, 0
	v_cmp_ne_u16_sdwa s[8:9], v11, v14 src0_sel:BYTE_3 src1_sel:DWORD
	s_andn2_b64 s[4:5], s[4:5], exec
	s_and_b64 s[8:9], s[8:9], exec
	s_or_b64 s[4:5], s[4:5], s[8:9]
	s_or_b64 exec, exec, s[6:7]
	s_and_saveexec_b64 s[6:7], s[4:5]
	s_cbranch_execnz .LBB5_1343
	s_branch .LBB5_1344
.LBB5_3393:
	s_movk_i32 s4, 0x80
	v_cmp_eq_u16_sdwa s[12:13], v16, s4 src0_sel:BYTE_0 src1_sel:DWORD
	s_mov_b64 s[4:5], -1
                                        ; implicit-def: $sgpr10
	s_and_saveexec_b64 s[8:9], s[12:13]
; %bb.3394:
	s_mov_b32 s10, 0x7f800001
	s_xor_b64 s[4:5], exec, -1
; %bb.3395:
	s_or_b64 exec, exec, s[8:9]
	s_and_b64 s[4:5], s[4:5], exec
	s_or_saveexec_b64 s[6:7], s[6:7]
	v_mov_b32_e32 v10, s10
	s_xor_b64 exec, exec, s[6:7]
	s_cbranch_execz .LBB5_1346
.LBB5_3396:
	v_mov_b32_e32 v10, 0
	v_cmp_ne_u16_sdwa s[8:9], v16, v10 src0_sel:BYTE_0 src1_sel:DWORD
	s_andn2_b64 s[4:5], s[4:5], exec
	s_and_b64 s[8:9], s[8:9], exec
	s_or_b64 s[4:5], s[4:5], s[8:9]
	s_or_b64 exec, exec, s[6:7]
	s_and_saveexec_b64 s[6:7], s[4:5]
	s_cbranch_execnz .LBB5_1347
	s_branch .LBB5_1348
.LBB5_3397:
	s_movk_i32 s4, 0x80
	v_cmp_eq_u16_sdwa s[12:13], v12, s4 src0_sel:BYTE_0 src1_sel:DWORD
	s_mov_b64 s[4:5], -1
                                        ; implicit-def: $sgpr10
	s_and_saveexec_b64 s[8:9], s[12:13]
; %bb.3398:
	s_mov_b32 s10, 0x7f800001
	s_xor_b64 s[4:5], exec, -1
; %bb.3399:
	s_or_b64 exec, exec, s[8:9]
	s_and_b64 s[4:5], s[4:5], exec
	s_or_saveexec_b64 s[6:7], s[6:7]
	v_mov_b32_e32 v11, s10
	s_xor_b64 exec, exec, s[6:7]
	s_cbranch_execz .LBB5_1350
.LBB5_3400:
	v_mov_b32_e32 v11, 0
	v_cmp_ne_u16_sdwa s[8:9], v12, v11 src0_sel:BYTE_0 src1_sel:DWORD
	s_andn2_b64 s[4:5], s[4:5], exec
	s_and_b64 s[8:9], s[8:9], exec
	s_or_b64 s[4:5], s[4:5], s[8:9]
	s_or_b64 exec, exec, s[6:7]
	s_and_saveexec_b64 s[6:7], s[4:5]
	s_cbranch_execnz .LBB5_1351
	s_branch .LBB5_1352
.LBB5_3401:
	s_movk_i32 s4, 0x80
	v_cmp_eq_u16_sdwa s[12:13], v11, s4 src0_sel:BYTE_0 src1_sel:DWORD
	s_mov_b64 s[4:5], -1
                                        ; implicit-def: $sgpr10
	s_and_saveexec_b64 s[8:9], s[12:13]
; %bb.3402:
	s_mov_b32 s10, 0x7f800001
	s_xor_b64 s[4:5], exec, -1
; %bb.3403:
	s_or_b64 exec, exec, s[8:9]
	s_and_b64 s[4:5], s[4:5], exec
	s_or_saveexec_b64 s[6:7], s[6:7]
	v_mov_b32_e32 v10, s10
	s_xor_b64 exec, exec, s[6:7]
	s_cbranch_execz .LBB5_1354
.LBB5_3404:
	v_mov_b32_e32 v10, 0
	v_cmp_ne_u16_sdwa s[8:9], v11, v10 src0_sel:BYTE_0 src1_sel:DWORD
	s_andn2_b64 s[4:5], s[4:5], exec
	s_and_b64 s[8:9], s[8:9], exec
	s_or_b64 s[4:5], s[4:5], s[8:9]
	s_or_b64 exec, exec, s[6:7]
	s_and_saveexec_b64 s[6:7], s[4:5]
	s_cbranch_execnz .LBB5_1355
	s_branch .LBB5_1356
.LBB5_3405:
	s_movk_i32 s4, 0x80
	v_cmp_eq_u16_sdwa s[12:13], v11, s4 src0_sel:BYTE_0 src1_sel:DWORD
	s_mov_b64 s[4:5], -1
                                        ; implicit-def: $sgpr10
	s_and_saveexec_b64 s[8:9], s[12:13]
; %bb.3406:
	s_mov_b32 s10, 0x7f800001
	s_xor_b64 s[4:5], exec, -1
; %bb.3407:
	s_or_b64 exec, exec, s[8:9]
	s_and_b64 s[4:5], s[4:5], exec
	s_or_saveexec_b64 s[6:7], s[6:7]
	v_mov_b32_e32 v14, s10
	s_xor_b64 exec, exec, s[6:7]
	s_cbranch_execz .LBB5_1358
.LBB5_3408:
	v_mov_b32_e32 v14, 0
	v_cmp_ne_u16_sdwa s[8:9], v11, v14 src0_sel:BYTE_0 src1_sel:DWORD
	s_andn2_b64 s[4:5], s[4:5], exec
	s_and_b64 s[8:9], s[8:9], exec
	s_or_b64 s[4:5], s[4:5], s[8:9]
	s_or_b64 exec, exec, s[6:7]
	s_and_saveexec_b64 s[6:7], s[4:5]
	s_cbranch_execnz .LBB5_1359
	s_branch .LBB5_1360
.LBB5_3409:
	s_movk_i32 s4, 0x80
	v_cmp_eq_u16_e32 vcc, s4, v11
	s_mov_b64 s[4:5], -1
                                        ; implicit-def: $sgpr10
	s_and_saveexec_b64 s[8:9], vcc
; %bb.3410:
	s_mov_b32 s10, 0x7f800001
	s_xor_b64 s[4:5], exec, -1
; %bb.3411:
	s_or_b64 exec, exec, s[8:9]
	s_and_b64 s[4:5], s[4:5], exec
                                        ; implicit-def: $vgpr11
	s_or_saveexec_b64 s[6:7], s[6:7]
	v_mov_b32_e32 v10, s10
	s_xor_b64 exec, exec, s[6:7]
	s_cbranch_execz .LBB5_1362
.LBB5_3412:
	v_cmp_ne_u16_e32 vcc, 0, v11
	s_andn2_b64 s[4:5], s[4:5], exec
	s_and_b64 s[8:9], vcc, exec
	v_mov_b32_e32 v10, 0
	s_or_b64 s[4:5], s[4:5], s[8:9]
	s_or_b64 exec, exec, s[6:7]
	s_and_saveexec_b64 s[6:7], s[4:5]
	s_cbranch_execnz .LBB5_1363
	s_branch .LBB5_1364
.LBB5_3413:
	s_movk_i32 s4, 0x80
	v_cmp_eq_u16_e32 vcc, s4, v11
	s_mov_b64 s[4:5], -1
                                        ; implicit-def: $sgpr10
	s_and_saveexec_b64 s[8:9], vcc
; %bb.3414:
	s_mov_b32 s10, 0x7f800001
	s_xor_b64 s[4:5], exec, -1
; %bb.3415:
	s_or_b64 exec, exec, s[8:9]
	s_and_b64 s[4:5], s[4:5], exec
                                        ; implicit-def: $vgpr11
	s_or_saveexec_b64 s[6:7], s[6:7]
	v_mov_b32_e32 v14, s10
	s_xor_b64 exec, exec, s[6:7]
	s_cbranch_execz .LBB5_1366
.LBB5_3416:
	v_cmp_ne_u16_e32 vcc, 0, v11
	s_andn2_b64 s[4:5], s[4:5], exec
	s_and_b64 s[8:9], vcc, exec
	v_mov_b32_e32 v14, 0
	s_or_b64 s[4:5], s[4:5], s[8:9]
	s_or_b64 exec, exec, s[6:7]
	s_and_saveexec_b64 s[6:7], s[4:5]
	s_cbranch_execnz .LBB5_1367
	s_branch .LBB5_1368
.LBB5_3417:
	s_movk_i32 s4, 0x80
	v_cmp_eq_u16_sdwa s[12:13], v16, s4 src0_sel:BYTE_3 src1_sel:DWORD
	s_mov_b64 s[4:5], -1
                                        ; implicit-def: $sgpr10
	s_and_saveexec_b64 s[8:9], s[12:13]
; %bb.3418:
	s_mov_b32 s10, 0x7f800001
	s_xor_b64 s[4:5], exec, -1
; %bb.3419:
	s_or_b64 exec, exec, s[8:9]
	s_and_b64 s[4:5], s[4:5], exec
	s_or_saveexec_b64 s[6:7], s[6:7]
	v_mov_b32_e32 v10, s10
	s_xor_b64 exec, exec, s[6:7]
	s_cbranch_execz .LBB5_1370
.LBB5_3420:
	v_mov_b32_e32 v10, 0
	v_cmp_ne_u16_sdwa s[8:9], v16, v10 src0_sel:BYTE_3 src1_sel:DWORD
	s_andn2_b64 s[4:5], s[4:5], exec
	s_and_b64 s[8:9], s[8:9], exec
	s_or_b64 s[4:5], s[4:5], s[8:9]
	s_or_b64 exec, exec, s[6:7]
	s_and_saveexec_b64 s[6:7], s[4:5]
	s_cbranch_execnz .LBB5_1371
	s_branch .LBB5_1372
.LBB5_3421:
	s_movk_i32 s4, 0x80
	v_cmp_eq_u16_sdwa s[12:13], v12, s4 src0_sel:BYTE_3 src1_sel:DWORD
	s_mov_b64 s[4:5], -1
                                        ; implicit-def: $sgpr10
	s_and_saveexec_b64 s[8:9], s[12:13]
; %bb.3422:
	s_mov_b32 s10, 0x7f800001
	s_xor_b64 s[4:5], exec, -1
; %bb.3423:
	s_or_b64 exec, exec, s[8:9]
	s_and_b64 s[4:5], s[4:5], exec
	s_or_saveexec_b64 s[6:7], s[6:7]
	v_mov_b32_e32 v11, s10
	s_xor_b64 exec, exec, s[6:7]
	s_cbranch_execz .LBB5_1374
.LBB5_3424:
	v_mov_b32_e32 v11, 0
	v_cmp_ne_u16_sdwa s[8:9], v12, v11 src0_sel:BYTE_3 src1_sel:DWORD
	s_andn2_b64 s[4:5], s[4:5], exec
	s_and_b64 s[8:9], s[8:9], exec
	s_or_b64 s[4:5], s[4:5], s[8:9]
	s_or_b64 exec, exec, s[6:7]
	s_and_saveexec_b64 s[6:7], s[4:5]
	s_cbranch_execnz .LBB5_1375
	s_branch .LBB5_1376
.LBB5_3425:
	s_movk_i32 s4, 0x80
	v_cmp_eq_u16_sdwa s[12:13], v17, s4 src0_sel:BYTE_0 src1_sel:DWORD
	s_mov_b64 s[4:5], -1
                                        ; implicit-def: $sgpr10
	s_and_saveexec_b64 s[8:9], s[12:13]
; %bb.3426:
	s_mov_b32 s10, 0x7f800001
	s_xor_b64 s[4:5], exec, -1
; %bb.3427:
	s_or_b64 exec, exec, s[8:9]
	s_and_b64 s[4:5], s[4:5], exec
	s_or_saveexec_b64 s[6:7], s[6:7]
	v_mov_b32_e32 v10, s10
	s_xor_b64 exec, exec, s[6:7]
	s_cbranch_execz .LBB5_1378
.LBB5_3428:
	v_mov_b32_e32 v10, 0
	v_cmp_ne_u16_sdwa s[8:9], v17, v10 src0_sel:BYTE_0 src1_sel:DWORD
	s_andn2_b64 s[4:5], s[4:5], exec
	s_and_b64 s[8:9], s[8:9], exec
	s_or_b64 s[4:5], s[4:5], s[8:9]
	s_or_b64 exec, exec, s[6:7]
	s_and_saveexec_b64 s[6:7], s[4:5]
	s_cbranch_execnz .LBB5_1379
	s_branch .LBB5_1380
.LBB5_3429:
	s_movk_i32 s4, 0x80
	v_cmp_eq_u16_sdwa s[12:13], v13, s4 src0_sel:BYTE_0 src1_sel:DWORD
	s_mov_b64 s[4:5], -1
                                        ; implicit-def: $sgpr10
	s_and_saveexec_b64 s[8:9], s[12:13]
; %bb.3430:
	s_mov_b32 s10, 0x7f800001
	s_xor_b64 s[4:5], exec, -1
; %bb.3431:
	s_or_b64 exec, exec, s[8:9]
	s_and_b64 s[4:5], s[4:5], exec
	s_or_saveexec_b64 s[6:7], s[6:7]
	v_mov_b32_e32 v11, s10
	s_xor_b64 exec, exec, s[6:7]
	s_cbranch_execz .LBB5_1382
.LBB5_3432:
	v_mov_b32_e32 v11, 0
	v_cmp_ne_u16_sdwa s[8:9], v13, v11 src0_sel:BYTE_0 src1_sel:DWORD
	s_andn2_b64 s[4:5], s[4:5], exec
	s_and_b64 s[8:9], s[8:9], exec
	s_or_b64 s[4:5], s[4:5], s[8:9]
	s_or_b64 exec, exec, s[6:7]
	s_and_saveexec_b64 s[6:7], s[4:5]
	s_cbranch_execnz .LBB5_1383
	s_branch .LBB5_1384
.LBB5_3433:
	s_movk_i32 s4, 0x80
	v_cmp_eq_u16_sdwa s[12:13], v11, s4 src0_sel:BYTE_0 src1_sel:DWORD
	s_mov_b64 s[4:5], -1
                                        ; implicit-def: $sgpr10
	s_and_saveexec_b64 s[8:9], s[12:13]
; %bb.3434:
	s_mov_b32 s10, 0x7f800001
	s_xor_b64 s[4:5], exec, -1
; %bb.3435:
	s_or_b64 exec, exec, s[8:9]
	s_and_b64 s[4:5], s[4:5], exec
	s_or_saveexec_b64 s[6:7], s[6:7]
	v_mov_b32_e32 v10, s10
	s_xor_b64 exec, exec, s[6:7]
	s_cbranch_execz .LBB5_1386
.LBB5_3436:
	v_mov_b32_e32 v10, 0
	v_cmp_ne_u16_sdwa s[8:9], v11, v10 src0_sel:BYTE_0 src1_sel:DWORD
	s_andn2_b64 s[4:5], s[4:5], exec
	s_and_b64 s[8:9], s[8:9], exec
	s_or_b64 s[4:5], s[4:5], s[8:9]
	s_or_b64 exec, exec, s[6:7]
	s_and_saveexec_b64 s[6:7], s[4:5]
	s_cbranch_execnz .LBB5_1387
	s_branch .LBB5_1388
.LBB5_3437:
	s_movk_i32 s4, 0x80
	v_cmp_eq_u16_sdwa s[12:13], v11, s4 src0_sel:BYTE_0 src1_sel:DWORD
	s_mov_b64 s[4:5], -1
                                        ; implicit-def: $sgpr10
	s_and_saveexec_b64 s[8:9], s[12:13]
; %bb.3438:
	s_mov_b32 s10, 0x7f800001
	s_xor_b64 s[4:5], exec, -1
; %bb.3439:
	s_or_b64 exec, exec, s[8:9]
	s_and_b64 s[4:5], s[4:5], exec
	s_or_saveexec_b64 s[6:7], s[6:7]
	v_mov_b32_e32 v12, s10
	s_xor_b64 exec, exec, s[6:7]
	s_cbranch_execz .LBB5_1390
.LBB5_3440:
	v_mov_b32_e32 v12, 0
	v_cmp_ne_u16_sdwa s[8:9], v11, v12 src0_sel:BYTE_0 src1_sel:DWORD
	s_andn2_b64 s[4:5], s[4:5], exec
	s_and_b64 s[8:9], s[8:9], exec
	s_or_b64 s[4:5], s[4:5], s[8:9]
	s_or_b64 exec, exec, s[6:7]
	s_and_saveexec_b64 s[6:7], s[4:5]
	s_cbranch_execnz .LBB5_1391
	s_branch .LBB5_1392
.LBB5_3441:
	s_movk_i32 s4, 0x80
	v_cmp_eq_u16_e32 vcc, s4, v11
	s_mov_b64 s[4:5], -1
                                        ; implicit-def: $sgpr10
	s_and_saveexec_b64 s[8:9], vcc
; %bb.3442:
	s_mov_b32 s10, 0x7f800001
	s_xor_b64 s[4:5], exec, -1
; %bb.3443:
	s_or_b64 exec, exec, s[8:9]
	s_and_b64 s[4:5], s[4:5], exec
                                        ; implicit-def: $vgpr11
	s_or_saveexec_b64 s[6:7], s[6:7]
	v_mov_b32_e32 v10, s10
	s_xor_b64 exec, exec, s[6:7]
	s_cbranch_execz .LBB5_1394
.LBB5_3444:
	v_cmp_ne_u16_e32 vcc, 0, v11
	s_andn2_b64 s[4:5], s[4:5], exec
	s_and_b64 s[8:9], vcc, exec
	v_mov_b32_e32 v10, 0
	s_or_b64 s[4:5], s[4:5], s[8:9]
	s_or_b64 exec, exec, s[6:7]
	s_and_saveexec_b64 s[6:7], s[4:5]
	s_cbranch_execnz .LBB5_1395
	s_branch .LBB5_1396
.LBB5_3445:
	s_movk_i32 s4, 0x80
	v_cmp_eq_u16_e32 vcc, s4, v11
	s_mov_b64 s[4:5], -1
                                        ; implicit-def: $sgpr10
	s_and_saveexec_b64 s[8:9], vcc
; %bb.3446:
	s_mov_b32 s10, 0x7f800001
	s_xor_b64 s[4:5], exec, -1
; %bb.3447:
	s_or_b64 exec, exec, s[8:9]
	s_and_b64 s[4:5], s[4:5], exec
                                        ; implicit-def: $vgpr11
	s_or_saveexec_b64 s[6:7], s[6:7]
	v_mov_b32_e32 v12, s10
	s_xor_b64 exec, exec, s[6:7]
	s_cbranch_execz .LBB5_1398
.LBB5_3448:
	v_cmp_ne_u16_e32 vcc, 0, v11
	s_andn2_b64 s[4:5], s[4:5], exec
	s_and_b64 s[8:9], vcc, exec
	v_mov_b32_e32 v12, 0
	s_or_b64 s[4:5], s[4:5], s[8:9]
	s_or_b64 exec, exec, s[6:7]
	s_and_saveexec_b64 s[6:7], s[4:5]
	s_cbranch_execnz .LBB5_1399
	s_branch .LBB5_1400
.LBB5_3449:
	s_movk_i32 s4, 0x80
	v_cmp_eq_u16_sdwa s[12:13], v17, s4 src0_sel:BYTE_3 src1_sel:DWORD
	s_mov_b64 s[4:5], -1
                                        ; implicit-def: $sgpr10
	s_and_saveexec_b64 s[8:9], s[12:13]
; %bb.3450:
	s_mov_b32 s10, 0x7f800001
	s_xor_b64 s[4:5], exec, -1
; %bb.3451:
	s_or_b64 exec, exec, s[8:9]
	s_and_b64 s[4:5], s[4:5], exec
	s_or_saveexec_b64 s[6:7], s[6:7]
	v_mov_b32_e32 v10, s10
	s_xor_b64 exec, exec, s[6:7]
	s_cbranch_execz .LBB5_1402
.LBB5_3452:
	v_mov_b32_e32 v10, 0
	v_cmp_ne_u16_sdwa s[8:9], v17, v10 src0_sel:BYTE_3 src1_sel:DWORD
	s_andn2_b64 s[4:5], s[4:5], exec
	s_and_b64 s[8:9], s[8:9], exec
	s_or_b64 s[4:5], s[4:5], s[8:9]
	s_or_b64 exec, exec, s[6:7]
	s_and_saveexec_b64 s[6:7], s[4:5]
	s_cbranch_execnz .LBB5_1403
	s_branch .LBB5_1404
.LBB5_3453:
	s_movk_i32 s4, 0x80
	v_cmp_eq_u16_sdwa s[12:13], v13, s4 src0_sel:BYTE_3 src1_sel:DWORD
	s_mov_b64 s[4:5], -1
                                        ; implicit-def: $sgpr10
	s_and_saveexec_b64 s[8:9], s[12:13]
; %bb.3454:
	s_mov_b32 s10, 0x7f800001
	s_xor_b64 s[4:5], exec, -1
; %bb.3455:
	s_or_b64 exec, exec, s[8:9]
	s_and_b64 s[4:5], s[4:5], exec
	s_or_saveexec_b64 s[6:7], s[6:7]
	v_mov_b32_e32 v11, s10
	s_xor_b64 exec, exec, s[6:7]
	s_cbranch_execz .LBB5_1406
.LBB5_3456:
	v_mov_b32_e32 v11, 0
	v_cmp_ne_u16_sdwa s[8:9], v13, v11 src0_sel:BYTE_3 src1_sel:DWORD
	s_andn2_b64 s[4:5], s[4:5], exec
	s_and_b64 s[8:9], s[8:9], exec
	s_or_b64 s[4:5], s[4:5], s[8:9]
	s_or_b64 exec, exec, s[6:7]
	s_and_saveexec_b64 s[6:7], s[4:5]
	s_cbranch_execnz .LBB5_1407
	s_branch .LBB5_1408
.LBB5_3457:
	s_movk_i32 s4, 0x80
	v_cmp_eq_u16_sdwa s[12:13], v6, s4 src0_sel:BYTE_0 src1_sel:DWORD
	s_mov_b64 s[4:5], -1
                                        ; implicit-def: $sgpr10
	s_and_saveexec_b64 s[8:9], s[12:13]
; %bb.3458:
	s_mov_b32 s10, 0x7f800001
	s_xor_b64 s[4:5], exec, -1
; %bb.3459:
	s_or_b64 exec, exec, s[8:9]
	s_and_b64 s[4:5], s[4:5], exec
	s_or_saveexec_b64 s[6:7], s[6:7]
	v_mov_b32_e32 v10, s10
	s_xor_b64 exec, exec, s[6:7]
	s_cbranch_execz .LBB5_1410
.LBB5_3460:
	v_mov_b32_e32 v10, 0
	v_cmp_ne_u16_sdwa s[8:9], v6, v10 src0_sel:BYTE_0 src1_sel:DWORD
	s_andn2_b64 s[4:5], s[4:5], exec
	s_and_b64 s[8:9], s[8:9], exec
	s_or_b64 s[4:5], s[4:5], s[8:9]
	s_or_b64 exec, exec, s[6:7]
	s_and_saveexec_b64 s[6:7], s[4:5]
	s_cbranch_execnz .LBB5_1411
	s_branch .LBB5_1412
.LBB5_3461:
	s_movk_i32 s4, 0x80
	v_cmp_eq_u16_sdwa s[12:13], v2, s4 src0_sel:BYTE_0 src1_sel:DWORD
	s_mov_b64 s[4:5], -1
                                        ; implicit-def: $sgpr10
	s_and_saveexec_b64 s[8:9], s[12:13]
; %bb.3462:
	s_mov_b32 s10, 0x7f800001
	s_xor_b64 s[4:5], exec, -1
; %bb.3463:
	s_or_b64 exec, exec, s[8:9]
	s_and_b64 s[4:5], s[4:5], exec
	s_or_saveexec_b64 s[6:7], s[6:7]
	v_mov_b32_e32 v11, s10
	s_xor_b64 exec, exec, s[6:7]
	s_cbranch_execz .LBB5_1414
.LBB5_3464:
	v_mov_b32_e32 v11, 0
	v_cmp_ne_u16_sdwa s[8:9], v2, v11 src0_sel:BYTE_0 src1_sel:DWORD
	s_andn2_b64 s[4:5], s[4:5], exec
	s_and_b64 s[8:9], s[8:9], exec
	s_or_b64 s[4:5], s[4:5], s[8:9]
	s_or_b64 exec, exec, s[6:7]
	s_and_saveexec_b64 s[6:7], s[4:5]
	s_cbranch_execnz .LBB5_1415
	s_branch .LBB5_1416
.LBB5_3465:
	s_movk_i32 s4, 0x80
	v_cmp_eq_u16_sdwa s[12:13], v11, s4 src0_sel:BYTE_0 src1_sel:DWORD
	s_mov_b64 s[4:5], -1
                                        ; implicit-def: $sgpr10
	s_and_saveexec_b64 s[8:9], s[12:13]
; %bb.3466:
	s_mov_b32 s10, 0x7f800001
	s_xor_b64 s[4:5], exec, -1
; %bb.3467:
	s_or_b64 exec, exec, s[8:9]
	s_and_b64 s[4:5], s[4:5], exec
	s_or_saveexec_b64 s[6:7], s[6:7]
	v_mov_b32_e32 v10, s10
	s_xor_b64 exec, exec, s[6:7]
	s_cbranch_execz .LBB5_1418
.LBB5_3468:
	v_mov_b32_e32 v10, 0
	v_cmp_ne_u16_sdwa s[8:9], v11, v10 src0_sel:BYTE_0 src1_sel:DWORD
	s_andn2_b64 s[4:5], s[4:5], exec
	s_and_b64 s[8:9], s[8:9], exec
	s_or_b64 s[4:5], s[4:5], s[8:9]
	s_or_b64 exec, exec, s[6:7]
	s_and_saveexec_b64 s[6:7], s[4:5]
	s_cbranch_execnz .LBB5_1419
	s_branch .LBB5_1420
.LBB5_3469:
	s_movk_i32 s4, 0x80
	v_cmp_eq_u16_sdwa s[12:13], v11, s4 src0_sel:BYTE_0 src1_sel:DWORD
	s_mov_b64 s[4:5], -1
                                        ; implicit-def: $sgpr10
	s_and_saveexec_b64 s[8:9], s[12:13]
; %bb.3470:
	s_mov_b32 s10, 0x7f800001
	s_xor_b64 s[4:5], exec, -1
; %bb.3471:
	s_or_b64 exec, exec, s[8:9]
	s_and_b64 s[4:5], s[4:5], exec
	s_or_saveexec_b64 s[6:7], s[6:7]
	v_mov_b32_e32 v12, s10
	s_xor_b64 exec, exec, s[6:7]
	s_cbranch_execz .LBB5_1422
.LBB5_3472:
	v_mov_b32_e32 v12, 0
	v_cmp_ne_u16_sdwa s[8:9], v11, v12 src0_sel:BYTE_0 src1_sel:DWORD
	s_andn2_b64 s[4:5], s[4:5], exec
	s_and_b64 s[8:9], s[8:9], exec
	s_or_b64 s[4:5], s[4:5], s[8:9]
	s_or_b64 exec, exec, s[6:7]
	s_and_saveexec_b64 s[6:7], s[4:5]
	s_cbranch_execnz .LBB5_1423
	s_branch .LBB5_1424
.LBB5_3473:
	s_movk_i32 s4, 0x80
	v_cmp_eq_u16_e32 vcc, s4, v11
	s_mov_b64 s[4:5], -1
                                        ; implicit-def: $sgpr10
	s_and_saveexec_b64 s[8:9], vcc
; %bb.3474:
	s_mov_b32 s10, 0x7f800001
	s_xor_b64 s[4:5], exec, -1
; %bb.3475:
	s_or_b64 exec, exec, s[8:9]
	s_and_b64 s[4:5], s[4:5], exec
                                        ; implicit-def: $vgpr11
	s_or_saveexec_b64 s[6:7], s[6:7]
	v_mov_b32_e32 v10, s10
	s_xor_b64 exec, exec, s[6:7]
	s_cbranch_execz .LBB5_1426
.LBB5_3476:
	v_cmp_ne_u16_e32 vcc, 0, v11
	s_andn2_b64 s[4:5], s[4:5], exec
	s_and_b64 s[8:9], vcc, exec
	v_mov_b32_e32 v10, 0
	s_or_b64 s[4:5], s[4:5], s[8:9]
	s_or_b64 exec, exec, s[6:7]
	s_and_saveexec_b64 s[6:7], s[4:5]
	s_cbranch_execnz .LBB5_1427
	s_branch .LBB5_1428
.LBB5_3477:
	s_movk_i32 s4, 0x80
	v_cmp_eq_u16_e32 vcc, s4, v11
	s_mov_b64 s[4:5], -1
                                        ; implicit-def: $sgpr10
	s_and_saveexec_b64 s[8:9], vcc
; %bb.3478:
	s_mov_b32 s10, 0x7f800001
	s_xor_b64 s[4:5], exec, -1
; %bb.3479:
	s_or_b64 exec, exec, s[8:9]
	s_and_b64 s[4:5], s[4:5], exec
                                        ; implicit-def: $vgpr11
	s_or_saveexec_b64 s[6:7], s[6:7]
	v_mov_b32_e32 v12, s10
	s_xor_b64 exec, exec, s[6:7]
	s_cbranch_execz .LBB5_1430
.LBB5_3480:
	v_cmp_ne_u16_e32 vcc, 0, v11
	s_andn2_b64 s[4:5], s[4:5], exec
	s_and_b64 s[8:9], vcc, exec
	v_mov_b32_e32 v12, 0
	s_or_b64 s[4:5], s[4:5], s[8:9]
	s_or_b64 exec, exec, s[6:7]
	s_and_saveexec_b64 s[6:7], s[4:5]
	s_cbranch_execnz .LBB5_1431
	s_branch .LBB5_1432
.LBB5_3481:
	s_movk_i32 s4, 0x80
	v_cmp_eq_u16_sdwa s[12:13], v6, s4 src0_sel:BYTE_3 src1_sel:DWORD
	s_mov_b64 s[4:5], -1
                                        ; implicit-def: $sgpr10
	s_and_saveexec_b64 s[8:9], s[12:13]
; %bb.3482:
	s_mov_b32 s10, 0x7f800001
	s_xor_b64 s[4:5], exec, -1
; %bb.3483:
	s_or_b64 exec, exec, s[8:9]
	s_and_b64 s[4:5], s[4:5], exec
	s_or_saveexec_b64 s[6:7], s[6:7]
	v_mov_b32_e32 v10, s10
	s_xor_b64 exec, exec, s[6:7]
	s_cbranch_execz .LBB5_1434
.LBB5_3484:
	v_mov_b32_e32 v10, 0
	v_cmp_ne_u16_sdwa s[8:9], v6, v10 src0_sel:BYTE_3 src1_sel:DWORD
	s_andn2_b64 s[4:5], s[4:5], exec
	s_and_b64 s[8:9], s[8:9], exec
	s_or_b64 s[4:5], s[4:5], s[8:9]
	s_or_b64 exec, exec, s[6:7]
	s_and_saveexec_b64 s[6:7], s[4:5]
	s_cbranch_execnz .LBB5_1435
	s_branch .LBB5_1436
.LBB5_3485:
	s_movk_i32 s4, 0x80
	v_cmp_eq_u16_sdwa s[12:13], v2, s4 src0_sel:BYTE_3 src1_sel:DWORD
	s_mov_b64 s[4:5], -1
                                        ; implicit-def: $sgpr10
	s_and_saveexec_b64 s[8:9], s[12:13]
; %bb.3486:
	s_mov_b32 s10, 0x7f800001
	s_xor_b64 s[4:5], exec, -1
; %bb.3487:
	s_or_b64 exec, exec, s[8:9]
	s_and_b64 s[4:5], s[4:5], exec
	s_or_saveexec_b64 s[6:7], s[6:7]
	v_mov_b32_e32 v6, s10
	s_xor_b64 exec, exec, s[6:7]
	s_cbranch_execz .LBB5_1438
.LBB5_3488:
	v_mov_b32_e32 v6, 0
	v_cmp_ne_u16_sdwa s[8:9], v2, v6 src0_sel:BYTE_3 src1_sel:DWORD
	s_andn2_b64 s[4:5], s[4:5], exec
	s_and_b64 s[8:9], s[8:9], exec
	s_or_b64 s[4:5], s[4:5], s[8:9]
	s_or_b64 exec, exec, s[6:7]
	s_and_saveexec_b64 s[6:7], s[4:5]
	s_cbranch_execnz .LBB5_1439
	s_branch .LBB5_1440
.LBB5_3489:
	s_movk_i32 s4, 0x80
	v_cmp_eq_u16_sdwa s[12:13], v7, s4 src0_sel:BYTE_0 src1_sel:DWORD
	s_mov_b64 s[4:5], -1
                                        ; implicit-def: $sgpr10
	s_and_saveexec_b64 s[8:9], s[12:13]
; %bb.3490:
	s_mov_b32 s10, 0x7f800001
	s_xor_b64 s[4:5], exec, -1
; %bb.3491:
	s_or_b64 exec, exec, s[8:9]
	s_and_b64 s[4:5], s[4:5], exec
	s_or_saveexec_b64 s[6:7], s[6:7]
	v_mov_b32_e32 v2, s10
	s_xor_b64 exec, exec, s[6:7]
	s_cbranch_execz .LBB5_1442
.LBB5_3492:
	v_mov_b32_e32 v2, 0
	v_cmp_ne_u16_sdwa s[8:9], v7, v2 src0_sel:BYTE_0 src1_sel:DWORD
	s_andn2_b64 s[4:5], s[4:5], exec
	s_and_b64 s[8:9], s[8:9], exec
	s_or_b64 s[4:5], s[4:5], s[8:9]
	s_or_b64 exec, exec, s[6:7]
	s_and_saveexec_b64 s[6:7], s[4:5]
	s_cbranch_execnz .LBB5_1443
	s_branch .LBB5_1444
.LBB5_3493:
	s_movk_i32 s4, 0x80
	v_cmp_eq_u16_sdwa s[12:13], v3, s4 src0_sel:BYTE_0 src1_sel:DWORD
	s_mov_b64 s[4:5], -1
                                        ; implicit-def: $sgpr10
	s_and_saveexec_b64 s[8:9], s[12:13]
; %bb.3494:
	s_mov_b32 s10, 0x7f800001
	s_xor_b64 s[4:5], exec, -1
; %bb.3495:
	s_or_b64 exec, exec, s[8:9]
	s_and_b64 s[4:5], s[4:5], exec
	s_or_saveexec_b64 s[6:7], s[6:7]
	v_mov_b32_e32 v6, s10
	s_xor_b64 exec, exec, s[6:7]
	s_cbranch_execz .LBB5_1446
.LBB5_3496:
	v_mov_b32_e32 v6, 0
	v_cmp_ne_u16_sdwa s[8:9], v3, v6 src0_sel:BYTE_0 src1_sel:DWORD
	s_andn2_b64 s[4:5], s[4:5], exec
	s_and_b64 s[8:9], s[8:9], exec
	s_or_b64 s[4:5], s[4:5], s[8:9]
	s_or_b64 exec, exec, s[6:7]
	s_and_saveexec_b64 s[6:7], s[4:5]
	s_cbranch_execnz .LBB5_1447
	s_branch .LBB5_1448
.LBB5_3497:
	s_movk_i32 s4, 0x80
	v_cmp_eq_u16_sdwa s[12:13], v6, s4 src0_sel:BYTE_0 src1_sel:DWORD
	s_mov_b64 s[4:5], -1
                                        ; implicit-def: $sgpr10
	s_and_saveexec_b64 s[8:9], s[12:13]
; %bb.3498:
	s_mov_b32 s10, 0x7f800001
	s_xor_b64 s[4:5], exec, -1
; %bb.3499:
	s_or_b64 exec, exec, s[8:9]
	s_and_b64 s[4:5], s[4:5], exec
	s_or_saveexec_b64 s[6:7], s[6:7]
	v_mov_b32_e32 v2, s10
	s_xor_b64 exec, exec, s[6:7]
	s_cbranch_execz .LBB5_1450
.LBB5_3500:
	v_mov_b32_e32 v2, 0
	v_cmp_ne_u16_sdwa s[8:9], v6, v2 src0_sel:BYTE_0 src1_sel:DWORD
	s_andn2_b64 s[4:5], s[4:5], exec
	s_and_b64 s[8:9], s[8:9], exec
	s_or_b64 s[4:5], s[4:5], s[8:9]
	s_or_b64 exec, exec, s[6:7]
	s_and_saveexec_b64 s[6:7], s[4:5]
	s_cbranch_execnz .LBB5_1451
	s_branch .LBB5_1452
.LBB5_3501:
	s_movk_i32 s4, 0x80
	v_cmp_eq_u16_sdwa s[12:13], v6, s4 src0_sel:BYTE_0 src1_sel:DWORD
	s_mov_b64 s[4:5], -1
                                        ; implicit-def: $sgpr10
	s_and_saveexec_b64 s[8:9], s[12:13]
; %bb.3502:
	s_mov_b32 s10, 0x7f800001
	s_xor_b64 s[4:5], exec, -1
; %bb.3503:
	s_or_b64 exec, exec, s[8:9]
	s_and_b64 s[4:5], s[4:5], exec
	s_or_saveexec_b64 s[6:7], s[6:7]
	v_mov_b32_e32 v10, s10
	s_xor_b64 exec, exec, s[6:7]
	s_cbranch_execz .LBB5_1454
.LBB5_3504:
	v_mov_b32_e32 v10, 0
	v_cmp_ne_u16_sdwa s[8:9], v6, v10 src0_sel:BYTE_0 src1_sel:DWORD
	s_andn2_b64 s[4:5], s[4:5], exec
	s_and_b64 s[8:9], s[8:9], exec
	s_or_b64 s[4:5], s[4:5], s[8:9]
	s_or_b64 exec, exec, s[6:7]
	s_and_saveexec_b64 s[6:7], s[4:5]
	s_cbranch_execnz .LBB5_1455
	s_branch .LBB5_1456
.LBB5_3505:
	s_movk_i32 s4, 0x80
	v_cmp_eq_u16_e32 vcc, s4, v6
	s_mov_b64 s[4:5], -1
                                        ; implicit-def: $sgpr10
	s_and_saveexec_b64 s[8:9], vcc
; %bb.3506:
	s_mov_b32 s10, 0x7f800001
	s_xor_b64 s[4:5], exec, -1
; %bb.3507:
	s_or_b64 exec, exec, s[8:9]
	s_and_b64 s[4:5], s[4:5], exec
                                        ; implicit-def: $vgpr6
	s_or_saveexec_b64 s[6:7], s[6:7]
	v_mov_b32_e32 v2, s10
	s_xor_b64 exec, exec, s[6:7]
	s_cbranch_execz .LBB5_1458
.LBB5_3508:
	v_cmp_ne_u16_e32 vcc, 0, v6
	s_andn2_b64 s[4:5], s[4:5], exec
	s_and_b64 s[8:9], vcc, exec
	v_mov_b32_e32 v2, 0
	s_or_b64 s[4:5], s[4:5], s[8:9]
	s_or_b64 exec, exec, s[6:7]
	s_and_saveexec_b64 s[6:7], s[4:5]
	s_cbranch_execnz .LBB5_1459
	s_branch .LBB5_1460
.LBB5_3509:
	s_movk_i32 s4, 0x80
	v_cmp_eq_u16_e32 vcc, s4, v6
	s_mov_b64 s[4:5], -1
                                        ; implicit-def: $sgpr10
	s_and_saveexec_b64 s[8:9], vcc
; %bb.3510:
	s_mov_b32 s10, 0x7f800001
	s_xor_b64 s[4:5], exec, -1
; %bb.3511:
	s_or_b64 exec, exec, s[8:9]
	s_and_b64 s[4:5], s[4:5], exec
                                        ; implicit-def: $vgpr6
	s_or_saveexec_b64 s[6:7], s[6:7]
	v_mov_b32_e32 v10, s10
	s_xor_b64 exec, exec, s[6:7]
	s_cbranch_execz .LBB5_1462
.LBB5_3512:
	v_cmp_ne_u16_e32 vcc, 0, v6
	s_andn2_b64 s[4:5], s[4:5], exec
	s_and_b64 s[8:9], vcc, exec
	v_mov_b32_e32 v10, 0
	s_or_b64 s[4:5], s[4:5], s[8:9]
	s_or_b64 exec, exec, s[6:7]
	s_and_saveexec_b64 s[6:7], s[4:5]
	s_cbranch_execnz .LBB5_1463
	s_branch .LBB5_1464
.LBB5_3513:
	s_movk_i32 s4, 0x80
	v_cmp_eq_u16_sdwa s[12:13], v7, s4 src0_sel:BYTE_3 src1_sel:DWORD
	s_mov_b64 s[4:5], -1
                                        ; implicit-def: $sgpr10
	s_and_saveexec_b64 s[8:9], s[12:13]
; %bb.3514:
	s_mov_b32 s10, 0x7f800001
	s_xor_b64 s[4:5], exec, -1
; %bb.3515:
	s_or_b64 exec, exec, s[8:9]
	s_and_b64 s[4:5], s[4:5], exec
	s_or_saveexec_b64 s[6:7], s[6:7]
	v_mov_b32_e32 v2, s10
	s_xor_b64 exec, exec, s[6:7]
	s_cbranch_execz .LBB5_1466
.LBB5_3516:
	v_mov_b32_e32 v2, 0
	v_cmp_ne_u16_sdwa s[8:9], v7, v2 src0_sel:BYTE_3 src1_sel:DWORD
	s_andn2_b64 s[4:5], s[4:5], exec
	s_and_b64 s[8:9], s[8:9], exec
	s_or_b64 s[4:5], s[4:5], s[8:9]
	s_or_b64 exec, exec, s[6:7]
	s_and_saveexec_b64 s[6:7], s[4:5]
	s_cbranch_execnz .LBB5_1467
	s_branch .LBB5_1468
.LBB5_3517:
	s_movk_i32 s4, 0x80
	v_cmp_eq_u16_sdwa s[12:13], v3, s4 src0_sel:BYTE_3 src1_sel:DWORD
	s_mov_b64 s[4:5], -1
                                        ; implicit-def: $sgpr10
	s_and_saveexec_b64 s[8:9], s[12:13]
; %bb.3518:
	s_mov_b32 s10, 0x7f800001
	s_xor_b64 s[4:5], exec, -1
; %bb.3519:
	s_or_b64 exec, exec, s[8:9]
	s_and_b64 s[4:5], s[4:5], exec
	s_or_saveexec_b64 s[6:7], s[6:7]
	v_mov_b32_e32 v6, s10
	s_xor_b64 exec, exec, s[6:7]
	s_cbranch_execz .LBB5_1470
.LBB5_3520:
	v_mov_b32_e32 v6, 0
	v_cmp_ne_u16_sdwa s[8:9], v3, v6 src0_sel:BYTE_3 src1_sel:DWORD
	s_andn2_b64 s[4:5], s[4:5], exec
	s_and_b64 s[8:9], s[8:9], exec
	s_or_b64 s[4:5], s[4:5], s[8:9]
	s_or_b64 exec, exec, s[6:7]
	s_and_saveexec_b64 s[6:7], s[4:5]
	s_cbranch_execnz .LBB5_1471
	s_branch .LBB5_1472
.LBB5_3521:
	s_movk_i32 s4, 0x80
	v_cmp_eq_u16_sdwa s[12:13], v8, s4 src0_sel:BYTE_0 src1_sel:DWORD
	s_mov_b64 s[4:5], -1
                                        ; implicit-def: $sgpr10
	s_and_saveexec_b64 s[8:9], s[12:13]
; %bb.3522:
	s_mov_b32 s10, 0x7f800001
	s_xor_b64 s[4:5], exec, -1
; %bb.3523:
	s_or_b64 exec, exec, s[8:9]
	s_and_b64 s[4:5], s[4:5], exec
	s_or_saveexec_b64 s[6:7], s[6:7]
	v_mov_b32_e32 v2, s10
	s_xor_b64 exec, exec, s[6:7]
	s_cbranch_execz .LBB5_1474
.LBB5_3524:
	v_mov_b32_e32 v2, 0
	v_cmp_ne_u16_sdwa s[8:9], v8, v2 src0_sel:BYTE_0 src1_sel:DWORD
	s_andn2_b64 s[4:5], s[4:5], exec
	s_and_b64 s[8:9], s[8:9], exec
	s_or_b64 s[4:5], s[4:5], s[8:9]
	s_or_b64 exec, exec, s[6:7]
	s_and_saveexec_b64 s[6:7], s[4:5]
	s_cbranch_execnz .LBB5_1475
	s_branch .LBB5_1476
.LBB5_3525:
	s_movk_i32 s4, 0x80
	v_cmp_eq_u16_sdwa s[12:13], v4, s4 src0_sel:BYTE_0 src1_sel:DWORD
	s_mov_b64 s[4:5], -1
                                        ; implicit-def: $sgpr10
	s_and_saveexec_b64 s[8:9], s[12:13]
; %bb.3526:
	s_mov_b32 s10, 0x7f800001
	s_xor_b64 s[4:5], exec, -1
; %bb.3527:
	s_or_b64 exec, exec, s[8:9]
	s_and_b64 s[4:5], s[4:5], exec
	s_or_saveexec_b64 s[6:7], s[6:7]
	v_mov_b32_e32 v3, s10
	s_xor_b64 exec, exec, s[6:7]
	s_cbranch_execz .LBB5_1478
.LBB5_3528:
	v_mov_b32_e32 v3, 0
	v_cmp_ne_u16_sdwa s[8:9], v4, v3 src0_sel:BYTE_0 src1_sel:DWORD
	s_andn2_b64 s[4:5], s[4:5], exec
	s_and_b64 s[8:9], s[8:9], exec
	s_or_b64 s[4:5], s[4:5], s[8:9]
	s_or_b64 exec, exec, s[6:7]
	s_and_saveexec_b64 s[6:7], s[4:5]
	s_cbranch_execnz .LBB5_1479
	s_branch .LBB5_1480
.LBB5_3529:
	s_movk_i32 s4, 0x80
	v_cmp_eq_u16_sdwa s[12:13], v3, s4 src0_sel:BYTE_0 src1_sel:DWORD
	s_mov_b64 s[4:5], -1
                                        ; implicit-def: $sgpr10
	s_and_saveexec_b64 s[8:9], s[12:13]
; %bb.3530:
	s_mov_b32 s10, 0x7f800001
	s_xor_b64 s[4:5], exec, -1
; %bb.3531:
	s_or_b64 exec, exec, s[8:9]
	s_and_b64 s[4:5], s[4:5], exec
	s_or_saveexec_b64 s[6:7], s[6:7]
	v_mov_b32_e32 v2, s10
	s_xor_b64 exec, exec, s[6:7]
	s_cbranch_execz .LBB5_1482
.LBB5_3532:
	v_mov_b32_e32 v2, 0
	v_cmp_ne_u16_sdwa s[8:9], v3, v2 src0_sel:BYTE_0 src1_sel:DWORD
	s_andn2_b64 s[4:5], s[4:5], exec
	s_and_b64 s[8:9], s[8:9], exec
	s_or_b64 s[4:5], s[4:5], s[8:9]
	s_or_b64 exec, exec, s[6:7]
	s_and_saveexec_b64 s[6:7], s[4:5]
	s_cbranch_execnz .LBB5_1483
	s_branch .LBB5_1484
.LBB5_3533:
	s_movk_i32 s4, 0x80
	v_cmp_eq_u16_sdwa s[12:13], v3, s4 src0_sel:BYTE_0 src1_sel:DWORD
	s_mov_b64 s[4:5], -1
                                        ; implicit-def: $sgpr10
	s_and_saveexec_b64 s[8:9], s[12:13]
; %bb.3534:
	s_mov_b32 s10, 0x7f800001
	s_xor_b64 s[4:5], exec, -1
; %bb.3535:
	s_or_b64 exec, exec, s[8:9]
	s_and_b64 s[4:5], s[4:5], exec
	s_or_saveexec_b64 s[6:7], s[6:7]
	v_mov_b32_e32 v6, s10
	s_xor_b64 exec, exec, s[6:7]
	s_cbranch_execz .LBB5_1486
.LBB5_3536:
	v_mov_b32_e32 v6, 0
	v_cmp_ne_u16_sdwa s[8:9], v3, v6 src0_sel:BYTE_0 src1_sel:DWORD
	s_andn2_b64 s[4:5], s[4:5], exec
	s_and_b64 s[8:9], s[8:9], exec
	s_or_b64 s[4:5], s[4:5], s[8:9]
	s_or_b64 exec, exec, s[6:7]
	s_and_saveexec_b64 s[6:7], s[4:5]
	s_cbranch_execnz .LBB5_1487
	s_branch .LBB5_1488
.LBB5_3537:
	s_movk_i32 s4, 0x80
	v_cmp_eq_u16_e32 vcc, s4, v3
	s_mov_b64 s[4:5], -1
                                        ; implicit-def: $sgpr10
	s_and_saveexec_b64 s[8:9], vcc
; %bb.3538:
	s_mov_b32 s10, 0x7f800001
	s_xor_b64 s[4:5], exec, -1
; %bb.3539:
	s_or_b64 exec, exec, s[8:9]
	s_and_b64 s[4:5], s[4:5], exec
                                        ; implicit-def: $vgpr3
	s_or_saveexec_b64 s[6:7], s[6:7]
	v_mov_b32_e32 v2, s10
	s_xor_b64 exec, exec, s[6:7]
	s_cbranch_execz .LBB5_1490
.LBB5_3540:
	v_cmp_ne_u16_e32 vcc, 0, v3
	s_andn2_b64 s[4:5], s[4:5], exec
	s_and_b64 s[8:9], vcc, exec
	v_mov_b32_e32 v2, 0
	s_or_b64 s[4:5], s[4:5], s[8:9]
	s_or_b64 exec, exec, s[6:7]
	s_and_saveexec_b64 s[6:7], s[4:5]
	s_cbranch_execnz .LBB5_1491
	s_branch .LBB5_1492
.LBB5_3541:
	s_movk_i32 s4, 0x80
	v_cmp_eq_u16_e32 vcc, s4, v3
	s_mov_b64 s[4:5], -1
                                        ; implicit-def: $sgpr10
	s_and_saveexec_b64 s[8:9], vcc
; %bb.3542:
	s_mov_b32 s10, 0x7f800001
	s_xor_b64 s[4:5], exec, -1
; %bb.3543:
	s_or_b64 exec, exec, s[8:9]
	s_and_b64 s[4:5], s[4:5], exec
                                        ; implicit-def: $vgpr3
	s_or_saveexec_b64 s[6:7], s[6:7]
	v_mov_b32_e32 v6, s10
	s_xor_b64 exec, exec, s[6:7]
	s_cbranch_execz .LBB5_1494
.LBB5_3544:
	v_cmp_ne_u16_e32 vcc, 0, v3
	s_andn2_b64 s[4:5], s[4:5], exec
	s_and_b64 s[8:9], vcc, exec
	v_mov_b32_e32 v6, 0
	s_or_b64 s[4:5], s[4:5], s[8:9]
	s_or_b64 exec, exec, s[6:7]
	s_and_saveexec_b64 s[6:7], s[4:5]
	s_cbranch_execnz .LBB5_1495
	s_branch .LBB5_1496
.LBB5_3545:
	s_movk_i32 s4, 0x80
	v_cmp_eq_u16_sdwa s[12:13], v8, s4 src0_sel:BYTE_3 src1_sel:DWORD
	s_mov_b64 s[4:5], -1
                                        ; implicit-def: $sgpr10
	s_and_saveexec_b64 s[8:9], s[12:13]
; %bb.3546:
	s_mov_b32 s10, 0x7f800001
	s_xor_b64 s[4:5], exec, -1
; %bb.3547:
	s_or_b64 exec, exec, s[8:9]
	s_and_b64 s[4:5], s[4:5], exec
	s_or_saveexec_b64 s[6:7], s[6:7]
	v_mov_b32_e32 v2, s10
	s_xor_b64 exec, exec, s[6:7]
	s_cbranch_execz .LBB5_1498
.LBB5_3548:
	v_mov_b32_e32 v2, 0
	v_cmp_ne_u16_sdwa s[8:9], v8, v2 src0_sel:BYTE_3 src1_sel:DWORD
	s_andn2_b64 s[4:5], s[4:5], exec
	s_and_b64 s[8:9], s[8:9], exec
	s_or_b64 s[4:5], s[4:5], s[8:9]
	s_or_b64 exec, exec, s[6:7]
	s_and_saveexec_b64 s[6:7], s[4:5]
	s_cbranch_execnz .LBB5_1499
	s_branch .LBB5_1500
.LBB5_3549:
	s_movk_i32 s4, 0x80
	v_cmp_eq_u16_sdwa s[12:13], v4, s4 src0_sel:BYTE_3 src1_sel:DWORD
	s_mov_b64 s[4:5], -1
                                        ; implicit-def: $sgpr10
	s_and_saveexec_b64 s[8:9], s[12:13]
; %bb.3550:
	s_mov_b32 s10, 0x7f800001
	s_xor_b64 s[4:5], exec, -1
; %bb.3551:
	s_or_b64 exec, exec, s[8:9]
	s_and_b64 s[4:5], s[4:5], exec
	s_or_saveexec_b64 s[6:7], s[6:7]
	v_mov_b32_e32 v3, s10
	s_xor_b64 exec, exec, s[6:7]
	s_cbranch_execz .LBB5_1502
.LBB5_3552:
	v_mov_b32_e32 v3, 0
	v_cmp_ne_u16_sdwa s[8:9], v4, v3 src0_sel:BYTE_3 src1_sel:DWORD
	s_andn2_b64 s[4:5], s[4:5], exec
	s_and_b64 s[8:9], s[8:9], exec
	s_or_b64 s[4:5], s[4:5], s[8:9]
	s_or_b64 exec, exec, s[6:7]
	s_and_saveexec_b64 s[6:7], s[4:5]
	s_cbranch_execnz .LBB5_1503
	s_branch .LBB5_1504
.LBB5_3553:
	s_movk_i32 s4, 0x80
	v_cmp_eq_u16_sdwa s[12:13], v9, s4 src0_sel:BYTE_0 src1_sel:DWORD
	s_mov_b64 s[4:5], -1
                                        ; implicit-def: $sgpr10
	s_and_saveexec_b64 s[8:9], s[12:13]
; %bb.3554:
	s_mov_b32 s10, 0x7f800001
	s_xor_b64 s[4:5], exec, -1
; %bb.3555:
	s_or_b64 exec, exec, s[8:9]
	s_and_b64 s[4:5], s[4:5], exec
	s_or_saveexec_b64 s[6:7], s[6:7]
	v_mov_b32_e32 v2, s10
	s_xor_b64 exec, exec, s[6:7]
	s_cbranch_execz .LBB5_1506
.LBB5_3556:
	v_mov_b32_e32 v2, 0
	v_cmp_ne_u16_sdwa s[8:9], v9, v2 src0_sel:BYTE_0 src1_sel:DWORD
	s_andn2_b64 s[4:5], s[4:5], exec
	s_and_b64 s[8:9], s[8:9], exec
	s_or_b64 s[4:5], s[4:5], s[8:9]
	s_or_b64 exec, exec, s[6:7]
	s_and_saveexec_b64 s[6:7], s[4:5]
	s_cbranch_execnz .LBB5_1507
	s_branch .LBB5_1508
.LBB5_3557:
	s_movk_i32 s4, 0x80
	v_cmp_eq_u16_sdwa s[12:13], v5, s4 src0_sel:BYTE_0 src1_sel:DWORD
	s_mov_b64 s[4:5], -1
                                        ; implicit-def: $sgpr10
	s_and_saveexec_b64 s[8:9], s[12:13]
; %bb.3558:
	s_mov_b32 s10, 0x7f800001
	s_xor_b64 s[4:5], exec, -1
; %bb.3559:
	s_or_b64 exec, exec, s[8:9]
	s_and_b64 s[4:5], s[4:5], exec
	s_or_saveexec_b64 s[6:7], s[6:7]
	v_mov_b32_e32 v3, s10
	s_xor_b64 exec, exec, s[6:7]
	s_cbranch_execz .LBB5_1510
.LBB5_3560:
	v_mov_b32_e32 v3, 0
	v_cmp_ne_u16_sdwa s[8:9], v5, v3 src0_sel:BYTE_0 src1_sel:DWORD
	s_andn2_b64 s[4:5], s[4:5], exec
	s_and_b64 s[8:9], s[8:9], exec
	s_or_b64 s[4:5], s[4:5], s[8:9]
	s_or_b64 exec, exec, s[6:7]
	s_and_saveexec_b64 s[6:7], s[4:5]
	s_cbranch_execnz .LBB5_1511
	s_branch .LBB5_1512
.LBB5_3561:
	s_movk_i32 s4, 0x80
	v_cmp_eq_u16_sdwa s[12:13], v3, s4 src0_sel:BYTE_0 src1_sel:DWORD
	s_mov_b64 s[4:5], -1
                                        ; implicit-def: $sgpr10
	s_and_saveexec_b64 s[8:9], s[12:13]
; %bb.3562:
	s_mov_b32 s10, 0x7f800001
	s_xor_b64 s[4:5], exec, -1
; %bb.3563:
	s_or_b64 exec, exec, s[8:9]
	s_and_b64 s[4:5], s[4:5], exec
	s_or_saveexec_b64 s[6:7], s[6:7]
	v_mov_b32_e32 v2, s10
	s_xor_b64 exec, exec, s[6:7]
	s_cbranch_execz .LBB5_1514
.LBB5_3564:
	v_mov_b32_e32 v2, 0
	v_cmp_ne_u16_sdwa s[8:9], v3, v2 src0_sel:BYTE_0 src1_sel:DWORD
	s_andn2_b64 s[4:5], s[4:5], exec
	s_and_b64 s[8:9], s[8:9], exec
	s_or_b64 s[4:5], s[4:5], s[8:9]
	s_or_b64 exec, exec, s[6:7]
	s_and_saveexec_b64 s[6:7], s[4:5]
	s_cbranch_execnz .LBB5_1515
	s_branch .LBB5_1516
.LBB5_3565:
	s_movk_i32 s4, 0x80
	v_cmp_eq_u16_sdwa s[12:13], v3, s4 src0_sel:BYTE_0 src1_sel:DWORD
	s_mov_b64 s[4:5], -1
                                        ; implicit-def: $sgpr10
	s_and_saveexec_b64 s[8:9], s[12:13]
; %bb.3566:
	s_mov_b32 s10, 0x7f800001
	s_xor_b64 s[4:5], exec, -1
; %bb.3567:
	s_or_b64 exec, exec, s[8:9]
	s_and_b64 s[4:5], s[4:5], exec
	s_or_saveexec_b64 s[6:7], s[6:7]
	v_mov_b32_e32 v4, s10
	s_xor_b64 exec, exec, s[6:7]
	s_cbranch_execz .LBB5_1518
.LBB5_3568:
	v_mov_b32_e32 v4, 0
	v_cmp_ne_u16_sdwa s[8:9], v3, v4 src0_sel:BYTE_0 src1_sel:DWORD
	s_andn2_b64 s[4:5], s[4:5], exec
	s_and_b64 s[8:9], s[8:9], exec
	s_or_b64 s[4:5], s[4:5], s[8:9]
	s_or_b64 exec, exec, s[6:7]
	s_and_saveexec_b64 s[6:7], s[4:5]
	s_cbranch_execnz .LBB5_1519
	s_branch .LBB5_1520
.LBB5_3569:
	s_movk_i32 s4, 0x80
	v_cmp_eq_u16_e32 vcc, s4, v3
	s_mov_b64 s[4:5], -1
                                        ; implicit-def: $sgpr10
	s_and_saveexec_b64 s[8:9], vcc
; %bb.3570:
	s_mov_b32 s10, 0x7f800001
	s_xor_b64 s[4:5], exec, -1
; %bb.3571:
	s_or_b64 exec, exec, s[8:9]
	s_and_b64 s[4:5], s[4:5], exec
                                        ; implicit-def: $vgpr3
	s_or_saveexec_b64 s[6:7], s[6:7]
	v_mov_b32_e32 v2, s10
	s_xor_b64 exec, exec, s[6:7]
	s_cbranch_execz .LBB5_1522
.LBB5_3572:
	v_cmp_ne_u16_e32 vcc, 0, v3
	s_andn2_b64 s[4:5], s[4:5], exec
	s_and_b64 s[8:9], vcc, exec
	v_mov_b32_e32 v2, 0
	s_or_b64 s[4:5], s[4:5], s[8:9]
	s_or_b64 exec, exec, s[6:7]
	s_and_saveexec_b64 s[6:7], s[4:5]
	s_cbranch_execnz .LBB5_1523
	s_branch .LBB5_1524
.LBB5_3573:
	s_movk_i32 s4, 0x80
	v_cmp_eq_u16_e32 vcc, s4, v3
	s_mov_b64 s[4:5], -1
                                        ; implicit-def: $sgpr10
	s_and_saveexec_b64 s[8:9], vcc
; %bb.3574:
	s_mov_b32 s10, 0x7f800001
	s_xor_b64 s[4:5], exec, -1
; %bb.3575:
	s_or_b64 exec, exec, s[8:9]
	s_and_b64 s[4:5], s[4:5], exec
                                        ; implicit-def: $vgpr3
	s_or_saveexec_b64 s[6:7], s[6:7]
	v_mov_b32_e32 v4, s10
	s_xor_b64 exec, exec, s[6:7]
	s_cbranch_execz .LBB5_1526
.LBB5_3576:
	v_cmp_ne_u16_e32 vcc, 0, v3
	s_andn2_b64 s[4:5], s[4:5], exec
	s_and_b64 s[8:9], vcc, exec
	v_mov_b32_e32 v4, 0
	s_or_b64 s[4:5], s[4:5], s[8:9]
	s_or_b64 exec, exec, s[6:7]
	s_and_saveexec_b64 s[6:7], s[4:5]
	s_cbranch_execnz .LBB5_1527
	s_branch .LBB5_1528
.LBB5_3577:
	s_movk_i32 s4, 0x80
	v_cmp_eq_u16_sdwa s[12:13], v9, s4 src0_sel:BYTE_3 src1_sel:DWORD
	s_mov_b64 s[4:5], -1
                                        ; implicit-def: $sgpr10
	s_and_saveexec_b64 s[8:9], s[12:13]
; %bb.3578:
	s_mov_b32 s10, 0x7f800001
	s_xor_b64 s[4:5], exec, -1
; %bb.3579:
	s_or_b64 exec, exec, s[8:9]
	s_and_b64 s[4:5], s[4:5], exec
	s_or_saveexec_b64 s[6:7], s[6:7]
	v_mov_b32_e32 v2, s10
	s_xor_b64 exec, exec, s[6:7]
	s_cbranch_execz .LBB5_1530
.LBB5_3580:
	v_mov_b32_e32 v2, 0
	v_cmp_ne_u16_sdwa s[8:9], v9, v2 src0_sel:BYTE_3 src1_sel:DWORD
	s_andn2_b64 s[4:5], s[4:5], exec
	s_and_b64 s[8:9], s[8:9], exec
	s_or_b64 s[4:5], s[4:5], s[8:9]
	s_or_b64 exec, exec, s[6:7]
	s_and_saveexec_b64 s[6:7], s[4:5]
	s_cbranch_execnz .LBB5_1531
	s_branch .LBB5_1532
.LBB5_3581:
	s_movk_i32 s4, 0x80
	v_cmp_eq_u16_sdwa s[12:13], v5, s4 src0_sel:BYTE_3 src1_sel:DWORD
	s_mov_b64 s[4:5], -1
                                        ; implicit-def: $sgpr10
	s_and_saveexec_b64 s[8:9], s[12:13]
; %bb.3582:
	s_mov_b32 s10, 0x7f800001
	s_xor_b64 s[4:5], exec, -1
; %bb.3583:
	s_or_b64 exec, exec, s[8:9]
	s_and_b64 s[4:5], s[4:5], exec
	s_or_saveexec_b64 s[6:7], s[6:7]
	v_mov_b32_e32 v3, s10
	s_xor_b64 exec, exec, s[6:7]
	s_cbranch_execz .LBB5_1534
.LBB5_3584:
	v_mov_b32_e32 v3, 0
	v_cmp_ne_u16_sdwa s[8:9], v5, v3 src0_sel:BYTE_3 src1_sel:DWORD
	s_andn2_b64 s[4:5], s[4:5], exec
	s_and_b64 s[8:9], s[8:9], exec
	s_or_b64 s[4:5], s[4:5], s[8:9]
	s_or_b64 exec, exec, s[6:7]
	s_and_saveexec_b64 s[6:7], s[4:5]
	s_cbranch_execnz .LBB5_1535
	s_branch .LBB5_1536
.LBB5_3585:
	s_movk_i32 s4, 0x80
	v_cmp_eq_u16_sdwa s[12:13], v14, s4 src0_sel:BYTE_0 src1_sel:DWORD
	s_mov_b64 s[4:5], -1
                                        ; implicit-def: $sgpr10
	s_and_saveexec_b64 s[8:9], s[12:13]
; %bb.3586:
	s_mov_b32 s10, 0x7f800001
	s_xor_b64 s[4:5], exec, -1
; %bb.3587:
	s_or_b64 exec, exec, s[8:9]
	s_and_b64 s[4:5], s[4:5], exec
	s_or_saveexec_b64 s[6:7], s[6:7]
	v_mov_b32_e32 v20, s10
	s_xor_b64 exec, exec, s[6:7]
	s_cbranch_execz .LBB5_1538
.LBB5_3588:
	v_mov_b32_e32 v20, 0
	v_cmp_ne_u16_sdwa s[8:9], v14, v20 src0_sel:BYTE_0 src1_sel:DWORD
	s_andn2_b64 s[4:5], s[4:5], exec
	s_and_b64 s[8:9], s[8:9], exec
	s_or_b64 s[4:5], s[4:5], s[8:9]
	s_or_b64 exec, exec, s[6:7]
	s_and_saveexec_b64 s[6:7], s[4:5]
	s_cbranch_execnz .LBB5_1539
	s_branch .LBB5_1540
.LBB5_3589:
	s_movk_i32 s4, 0x80
	v_cmp_eq_u16_sdwa s[12:13], v10, s4 src0_sel:BYTE_0 src1_sel:DWORD
	s_mov_b64 s[4:5], -1
                                        ; implicit-def: $sgpr10
	s_and_saveexec_b64 s[8:9], s[12:13]
; %bb.3590:
	s_mov_b32 s10, 0x7f800001
	s_xor_b64 s[4:5], exec, -1
; %bb.3591:
	s_or_b64 exec, exec, s[8:9]
	s_and_b64 s[4:5], s[4:5], exec
	s_or_saveexec_b64 s[6:7], s[6:7]
	v_mov_b32_e32 v21, s10
	s_xor_b64 exec, exec, s[6:7]
	s_cbranch_execz .LBB5_1542
.LBB5_3592:
	v_mov_b32_e32 v21, 0
	v_cmp_ne_u16_sdwa s[8:9], v10, v21 src0_sel:BYTE_0 src1_sel:DWORD
	s_andn2_b64 s[4:5], s[4:5], exec
	s_and_b64 s[8:9], s[8:9], exec
	s_or_b64 s[4:5], s[4:5], s[8:9]
	s_or_b64 exec, exec, s[6:7]
	s_and_saveexec_b64 s[6:7], s[4:5]
	s_cbranch_execnz .LBB5_1543
	s_branch .LBB5_1544
.LBB5_3593:
	s_movk_i32 s4, 0x80
	v_cmp_eq_u16_sdwa s[12:13], v21, s4 src0_sel:BYTE_0 src1_sel:DWORD
	s_mov_b64 s[4:5], -1
                                        ; implicit-def: $sgpr10
	s_and_saveexec_b64 s[8:9], s[12:13]
; %bb.3594:
	s_mov_b32 s10, 0x7f800001
	s_xor_b64 s[4:5], exec, -1
; %bb.3595:
	s_or_b64 exec, exec, s[8:9]
	s_and_b64 s[4:5], s[4:5], exec
	s_or_saveexec_b64 s[6:7], s[6:7]
	v_mov_b32_e32 v20, s10
	s_xor_b64 exec, exec, s[6:7]
	s_cbranch_execz .LBB5_1546
.LBB5_3596:
	v_mov_b32_e32 v20, 0
	v_cmp_ne_u16_sdwa s[8:9], v21, v20 src0_sel:BYTE_0 src1_sel:DWORD
	s_andn2_b64 s[4:5], s[4:5], exec
	s_and_b64 s[8:9], s[8:9], exec
	s_or_b64 s[4:5], s[4:5], s[8:9]
	s_or_b64 exec, exec, s[6:7]
	s_and_saveexec_b64 s[6:7], s[4:5]
	s_cbranch_execnz .LBB5_1547
	s_branch .LBB5_1548
.LBB5_3597:
	s_movk_i32 s4, 0x80
	v_cmp_eq_u16_sdwa s[12:13], v21, s4 src0_sel:BYTE_0 src1_sel:DWORD
	s_mov_b64 s[4:5], -1
                                        ; implicit-def: $sgpr10
	s_and_saveexec_b64 s[8:9], s[12:13]
; %bb.3598:
	s_mov_b32 s10, 0x7f800001
	s_xor_b64 s[4:5], exec, -1
; %bb.3599:
	s_or_b64 exec, exec, s[8:9]
	s_and_b64 s[4:5], s[4:5], exec
	s_or_saveexec_b64 s[6:7], s[6:7]
	v_mov_b32_e32 v22, s10
	s_xor_b64 exec, exec, s[6:7]
	s_cbranch_execz .LBB5_1550
.LBB5_3600:
	v_mov_b32_e32 v22, 0
	v_cmp_ne_u16_sdwa s[8:9], v21, v22 src0_sel:BYTE_0 src1_sel:DWORD
	s_andn2_b64 s[4:5], s[4:5], exec
	s_and_b64 s[8:9], s[8:9], exec
	s_or_b64 s[4:5], s[4:5], s[8:9]
	s_or_b64 exec, exec, s[6:7]
	s_and_saveexec_b64 s[6:7], s[4:5]
	s_cbranch_execnz .LBB5_1551
	s_branch .LBB5_1552
.LBB5_3601:
	s_movk_i32 s4, 0x80
	v_cmp_eq_u16_e32 vcc, s4, v21
	s_mov_b64 s[4:5], -1
                                        ; implicit-def: $sgpr10
	s_and_saveexec_b64 s[8:9], vcc
; %bb.3602:
	s_mov_b32 s10, 0x7f800001
	s_xor_b64 s[4:5], exec, -1
; %bb.3603:
	s_or_b64 exec, exec, s[8:9]
	s_and_b64 s[4:5], s[4:5], exec
                                        ; implicit-def: $vgpr21
	s_or_saveexec_b64 s[6:7], s[6:7]
	v_mov_b32_e32 v20, s10
	s_xor_b64 exec, exec, s[6:7]
	s_cbranch_execz .LBB5_1554
.LBB5_3604:
	v_cmp_ne_u16_e32 vcc, 0, v21
	s_andn2_b64 s[4:5], s[4:5], exec
	s_and_b64 s[8:9], vcc, exec
	v_mov_b32_e32 v20, 0
	s_or_b64 s[4:5], s[4:5], s[8:9]
	s_or_b64 exec, exec, s[6:7]
	s_and_saveexec_b64 s[6:7], s[4:5]
	s_cbranch_execnz .LBB5_1555
	s_branch .LBB5_1556
.LBB5_3605:
	s_movk_i32 s4, 0x80
	v_cmp_eq_u16_e32 vcc, s4, v21
	s_mov_b64 s[4:5], -1
                                        ; implicit-def: $sgpr10
	s_and_saveexec_b64 s[8:9], vcc
; %bb.3606:
	s_mov_b32 s10, 0x7f800001
	s_xor_b64 s[4:5], exec, -1
; %bb.3607:
	s_or_b64 exec, exec, s[8:9]
	s_and_b64 s[4:5], s[4:5], exec
                                        ; implicit-def: $vgpr21
	s_or_saveexec_b64 s[6:7], s[6:7]
	v_mov_b32_e32 v22, s10
	s_xor_b64 exec, exec, s[6:7]
	s_cbranch_execz .LBB5_1558
.LBB5_3608:
	v_cmp_ne_u16_e32 vcc, 0, v21
	s_andn2_b64 s[4:5], s[4:5], exec
	s_and_b64 s[8:9], vcc, exec
	v_mov_b32_e32 v22, 0
	s_or_b64 s[4:5], s[4:5], s[8:9]
	s_or_b64 exec, exec, s[6:7]
	s_and_saveexec_b64 s[6:7], s[4:5]
	s_cbranch_execnz .LBB5_1559
	s_branch .LBB5_1560
.LBB5_3609:
	s_movk_i32 s4, 0x80
	v_cmp_eq_u16_sdwa s[12:13], v14, s4 src0_sel:BYTE_3 src1_sel:DWORD
	s_mov_b64 s[4:5], -1
                                        ; implicit-def: $sgpr10
	s_and_saveexec_b64 s[8:9], s[12:13]
; %bb.3610:
	s_mov_b32 s10, 0x7f800001
	s_xor_b64 s[4:5], exec, -1
; %bb.3611:
	s_or_b64 exec, exec, s[8:9]
	s_and_b64 s[4:5], s[4:5], exec
	s_or_saveexec_b64 s[6:7], s[6:7]
	v_mov_b32_e32 v20, s10
	s_xor_b64 exec, exec, s[6:7]
	s_cbranch_execz .LBB5_1562
.LBB5_3612:
	v_mov_b32_e32 v20, 0
	v_cmp_ne_u16_sdwa s[8:9], v14, v20 src0_sel:BYTE_3 src1_sel:DWORD
	s_andn2_b64 s[4:5], s[4:5], exec
	s_and_b64 s[8:9], s[8:9], exec
	s_or_b64 s[4:5], s[4:5], s[8:9]
	s_or_b64 exec, exec, s[6:7]
	s_and_saveexec_b64 s[6:7], s[4:5]
	s_cbranch_execnz .LBB5_1563
	s_branch .LBB5_1564
.LBB5_3613:
	s_movk_i32 s4, 0x80
	v_cmp_eq_u16_sdwa s[12:13], v10, s4 src0_sel:BYTE_3 src1_sel:DWORD
	s_mov_b64 s[4:5], -1
                                        ; implicit-def: $sgpr10
	s_and_saveexec_b64 s[8:9], s[12:13]
; %bb.3614:
	s_mov_b32 s10, 0x7f800001
	s_xor_b64 s[4:5], exec, -1
; %bb.3615:
	s_or_b64 exec, exec, s[8:9]
	s_and_b64 s[4:5], s[4:5], exec
	s_or_saveexec_b64 s[6:7], s[6:7]
	v_mov_b32_e32 v14, s10
	s_xor_b64 exec, exec, s[6:7]
	s_cbranch_execz .LBB5_1566
.LBB5_3616:
	v_mov_b32_e32 v14, 0
	v_cmp_ne_u16_sdwa s[8:9], v10, v14 src0_sel:BYTE_3 src1_sel:DWORD
	s_andn2_b64 s[4:5], s[4:5], exec
	s_and_b64 s[8:9], s[8:9], exec
	s_or_b64 s[4:5], s[4:5], s[8:9]
	s_or_b64 exec, exec, s[6:7]
	s_and_saveexec_b64 s[6:7], s[4:5]
	s_cbranch_execnz .LBB5_1567
	s_branch .LBB5_1568
.LBB5_3617:
	s_movk_i32 s4, 0x80
	v_cmp_eq_u16_sdwa s[12:13], v15, s4 src0_sel:BYTE_0 src1_sel:DWORD
	s_mov_b64 s[4:5], -1
                                        ; implicit-def: $sgpr10
	s_and_saveexec_b64 s[8:9], s[12:13]
; %bb.3618:
	s_mov_b32 s10, 0x7f800001
	s_xor_b64 s[4:5], exec, -1
; %bb.3619:
	s_or_b64 exec, exec, s[8:9]
	s_and_b64 s[4:5], s[4:5], exec
	s_or_saveexec_b64 s[6:7], s[6:7]
	v_mov_b32_e32 v10, s10
	s_xor_b64 exec, exec, s[6:7]
	s_cbranch_execz .LBB5_1570
.LBB5_3620:
	v_mov_b32_e32 v10, 0
	v_cmp_ne_u16_sdwa s[8:9], v15, v10 src0_sel:BYTE_0 src1_sel:DWORD
	s_andn2_b64 s[4:5], s[4:5], exec
	s_and_b64 s[8:9], s[8:9], exec
	s_or_b64 s[4:5], s[4:5], s[8:9]
	s_or_b64 exec, exec, s[6:7]
	s_and_saveexec_b64 s[6:7], s[4:5]
	s_cbranch_execnz .LBB5_1571
	s_branch .LBB5_1572
.LBB5_3621:
	s_movk_i32 s4, 0x80
	v_cmp_eq_u16_sdwa s[12:13], v11, s4 src0_sel:BYTE_0 src1_sel:DWORD
	s_mov_b64 s[4:5], -1
                                        ; implicit-def: $sgpr10
	s_and_saveexec_b64 s[8:9], s[12:13]
; %bb.3622:
	s_mov_b32 s10, 0x7f800001
	s_xor_b64 s[4:5], exec, -1
; %bb.3623:
	s_or_b64 exec, exec, s[8:9]
	s_and_b64 s[4:5], s[4:5], exec
	s_or_saveexec_b64 s[6:7], s[6:7]
	v_mov_b32_e32 v14, s10
	s_xor_b64 exec, exec, s[6:7]
	s_cbranch_execz .LBB5_1574
.LBB5_3624:
	v_mov_b32_e32 v14, 0
	v_cmp_ne_u16_sdwa s[8:9], v11, v14 src0_sel:BYTE_0 src1_sel:DWORD
	s_andn2_b64 s[4:5], s[4:5], exec
	s_and_b64 s[8:9], s[8:9], exec
	s_or_b64 s[4:5], s[4:5], s[8:9]
	s_or_b64 exec, exec, s[6:7]
	s_and_saveexec_b64 s[6:7], s[4:5]
	s_cbranch_execnz .LBB5_1575
	s_branch .LBB5_1576
.LBB5_3625:
	s_movk_i32 s4, 0x80
	v_cmp_eq_u16_sdwa s[12:13], v14, s4 src0_sel:BYTE_0 src1_sel:DWORD
	s_mov_b64 s[4:5], -1
                                        ; implicit-def: $sgpr10
	s_and_saveexec_b64 s[8:9], s[12:13]
; %bb.3626:
	s_mov_b32 s10, 0x7f800001
	s_xor_b64 s[4:5], exec, -1
; %bb.3627:
	s_or_b64 exec, exec, s[8:9]
	s_and_b64 s[4:5], s[4:5], exec
	s_or_saveexec_b64 s[6:7], s[6:7]
	v_mov_b32_e32 v10, s10
	s_xor_b64 exec, exec, s[6:7]
	s_cbranch_execz .LBB5_1578
.LBB5_3628:
	v_mov_b32_e32 v10, 0
	v_cmp_ne_u16_sdwa s[8:9], v14, v10 src0_sel:BYTE_0 src1_sel:DWORD
	s_andn2_b64 s[4:5], s[4:5], exec
	s_and_b64 s[8:9], s[8:9], exec
	s_or_b64 s[4:5], s[4:5], s[8:9]
	s_or_b64 exec, exec, s[6:7]
	s_and_saveexec_b64 s[6:7], s[4:5]
	s_cbranch_execnz .LBB5_1579
	s_branch .LBB5_1580
.LBB5_3629:
	s_movk_i32 s4, 0x80
	v_cmp_eq_u16_sdwa s[12:13], v14, s4 src0_sel:BYTE_0 src1_sel:DWORD
	s_mov_b64 s[4:5], -1
                                        ; implicit-def: $sgpr10
	s_and_saveexec_b64 s[8:9], s[12:13]
; %bb.3630:
	s_mov_b32 s10, 0x7f800001
	s_xor_b64 s[4:5], exec, -1
; %bb.3631:
	s_or_b64 exec, exec, s[8:9]
	s_and_b64 s[4:5], s[4:5], exec
	s_or_saveexec_b64 s[6:7], s[6:7]
	v_mov_b32_e32 v20, s10
	s_xor_b64 exec, exec, s[6:7]
	s_cbranch_execz .LBB5_1582
.LBB5_3632:
	v_mov_b32_e32 v20, 0
	v_cmp_ne_u16_sdwa s[8:9], v14, v20 src0_sel:BYTE_0 src1_sel:DWORD
	s_andn2_b64 s[4:5], s[4:5], exec
	s_and_b64 s[8:9], s[8:9], exec
	s_or_b64 s[4:5], s[4:5], s[8:9]
	s_or_b64 exec, exec, s[6:7]
	s_and_saveexec_b64 s[6:7], s[4:5]
	s_cbranch_execnz .LBB5_1583
	s_branch .LBB5_1584
.LBB5_3633:
	s_movk_i32 s4, 0x80
	v_cmp_eq_u16_e32 vcc, s4, v14
	s_mov_b64 s[4:5], -1
                                        ; implicit-def: $sgpr10
	s_and_saveexec_b64 s[8:9], vcc
; %bb.3634:
	s_mov_b32 s10, 0x7f800001
	s_xor_b64 s[4:5], exec, -1
; %bb.3635:
	s_or_b64 exec, exec, s[8:9]
	s_and_b64 s[4:5], s[4:5], exec
                                        ; implicit-def: $vgpr14
	s_or_saveexec_b64 s[6:7], s[6:7]
	v_mov_b32_e32 v10, s10
	s_xor_b64 exec, exec, s[6:7]
	s_cbranch_execz .LBB5_1586
.LBB5_3636:
	v_cmp_ne_u16_e32 vcc, 0, v14
	s_andn2_b64 s[4:5], s[4:5], exec
	s_and_b64 s[8:9], vcc, exec
	v_mov_b32_e32 v10, 0
	s_or_b64 s[4:5], s[4:5], s[8:9]
	s_or_b64 exec, exec, s[6:7]
	s_and_saveexec_b64 s[6:7], s[4:5]
	s_cbranch_execnz .LBB5_1587
	s_branch .LBB5_1588
.LBB5_3637:
	s_movk_i32 s4, 0x80
	v_cmp_eq_u16_e32 vcc, s4, v14
	s_mov_b64 s[4:5], -1
                                        ; implicit-def: $sgpr10
	s_and_saveexec_b64 s[8:9], vcc
; %bb.3638:
	s_mov_b32 s10, 0x7f800001
	s_xor_b64 s[4:5], exec, -1
; %bb.3639:
	s_or_b64 exec, exec, s[8:9]
	s_and_b64 s[4:5], s[4:5], exec
                                        ; implicit-def: $vgpr14
	s_or_saveexec_b64 s[6:7], s[6:7]
	v_mov_b32_e32 v20, s10
	s_xor_b64 exec, exec, s[6:7]
	s_cbranch_execz .LBB5_1590
.LBB5_3640:
	v_cmp_ne_u16_e32 vcc, 0, v14
	s_andn2_b64 s[4:5], s[4:5], exec
	s_and_b64 s[8:9], vcc, exec
	v_mov_b32_e32 v20, 0
	s_or_b64 s[4:5], s[4:5], s[8:9]
	s_or_b64 exec, exec, s[6:7]
	s_and_saveexec_b64 s[6:7], s[4:5]
	s_cbranch_execnz .LBB5_1591
	s_branch .LBB5_1592
.LBB5_3641:
	s_movk_i32 s4, 0x80
	v_cmp_eq_u16_sdwa s[12:13], v15, s4 src0_sel:BYTE_3 src1_sel:DWORD
	s_mov_b64 s[4:5], -1
                                        ; implicit-def: $sgpr10
	s_and_saveexec_b64 s[8:9], s[12:13]
; %bb.3642:
	s_mov_b32 s10, 0x7f800001
	s_xor_b64 s[4:5], exec, -1
; %bb.3643:
	s_or_b64 exec, exec, s[8:9]
	s_and_b64 s[4:5], s[4:5], exec
	s_or_saveexec_b64 s[6:7], s[6:7]
	v_mov_b32_e32 v10, s10
	s_xor_b64 exec, exec, s[6:7]
	s_cbranch_execz .LBB5_1594
.LBB5_3644:
	v_mov_b32_e32 v10, 0
	v_cmp_ne_u16_sdwa s[8:9], v15, v10 src0_sel:BYTE_3 src1_sel:DWORD
	s_andn2_b64 s[4:5], s[4:5], exec
	s_and_b64 s[8:9], s[8:9], exec
	s_or_b64 s[4:5], s[4:5], s[8:9]
	s_or_b64 exec, exec, s[6:7]
	s_and_saveexec_b64 s[6:7], s[4:5]
	s_cbranch_execnz .LBB5_1595
	s_branch .LBB5_1596
.LBB5_3645:
	s_movk_i32 s4, 0x80
	v_cmp_eq_u16_sdwa s[12:13], v11, s4 src0_sel:BYTE_3 src1_sel:DWORD
	s_mov_b64 s[4:5], -1
                                        ; implicit-def: $sgpr10
	s_and_saveexec_b64 s[8:9], s[12:13]
; %bb.3646:
	s_mov_b32 s10, 0x7f800001
	s_xor_b64 s[4:5], exec, -1
; %bb.3647:
	s_or_b64 exec, exec, s[8:9]
	s_and_b64 s[4:5], s[4:5], exec
	s_or_saveexec_b64 s[6:7], s[6:7]
	v_mov_b32_e32 v14, s10
	s_xor_b64 exec, exec, s[6:7]
	s_cbranch_execz .LBB5_1598
.LBB5_3648:
	v_mov_b32_e32 v14, 0
	v_cmp_ne_u16_sdwa s[8:9], v11, v14 src0_sel:BYTE_3 src1_sel:DWORD
	s_andn2_b64 s[4:5], s[4:5], exec
	s_and_b64 s[8:9], s[8:9], exec
	s_or_b64 s[4:5], s[4:5], s[8:9]
	s_or_b64 exec, exec, s[6:7]
	s_and_saveexec_b64 s[6:7], s[4:5]
	s_cbranch_execnz .LBB5_1599
	s_branch .LBB5_1600
.LBB5_3649:
	s_movk_i32 s4, 0x80
	v_cmp_eq_u16_sdwa s[12:13], v16, s4 src0_sel:BYTE_0 src1_sel:DWORD
	s_mov_b64 s[4:5], -1
                                        ; implicit-def: $sgpr10
	s_and_saveexec_b64 s[8:9], s[12:13]
; %bb.3650:
	s_mov_b32 s10, 0x7f800001
	s_xor_b64 s[4:5], exec, -1
; %bb.3651:
	s_or_b64 exec, exec, s[8:9]
	s_and_b64 s[4:5], s[4:5], exec
	s_or_saveexec_b64 s[6:7], s[6:7]
	v_mov_b32_e32 v10, s10
	s_xor_b64 exec, exec, s[6:7]
	s_cbranch_execz .LBB5_1602
.LBB5_3652:
	v_mov_b32_e32 v10, 0
	v_cmp_ne_u16_sdwa s[8:9], v16, v10 src0_sel:BYTE_0 src1_sel:DWORD
	s_andn2_b64 s[4:5], s[4:5], exec
	s_and_b64 s[8:9], s[8:9], exec
	s_or_b64 s[4:5], s[4:5], s[8:9]
	s_or_b64 exec, exec, s[6:7]
	s_and_saveexec_b64 s[6:7], s[4:5]
	s_cbranch_execnz .LBB5_1603
	s_branch .LBB5_1604
.LBB5_3653:
	s_movk_i32 s4, 0x80
	v_cmp_eq_u16_sdwa s[12:13], v12, s4 src0_sel:BYTE_0 src1_sel:DWORD
	s_mov_b64 s[4:5], -1
                                        ; implicit-def: $sgpr10
	s_and_saveexec_b64 s[8:9], s[12:13]
; %bb.3654:
	s_mov_b32 s10, 0x7f800001
	s_xor_b64 s[4:5], exec, -1
; %bb.3655:
	s_or_b64 exec, exec, s[8:9]
	s_and_b64 s[4:5], s[4:5], exec
	s_or_saveexec_b64 s[6:7], s[6:7]
	v_mov_b32_e32 v11, s10
	s_xor_b64 exec, exec, s[6:7]
	s_cbranch_execz .LBB5_1606
.LBB5_3656:
	v_mov_b32_e32 v11, 0
	v_cmp_ne_u16_sdwa s[8:9], v12, v11 src0_sel:BYTE_0 src1_sel:DWORD
	s_andn2_b64 s[4:5], s[4:5], exec
	s_and_b64 s[8:9], s[8:9], exec
	s_or_b64 s[4:5], s[4:5], s[8:9]
	s_or_b64 exec, exec, s[6:7]
	s_and_saveexec_b64 s[6:7], s[4:5]
	s_cbranch_execnz .LBB5_1607
	s_branch .LBB5_1608
.LBB5_3657:
	s_movk_i32 s4, 0x80
	v_cmp_eq_u16_sdwa s[12:13], v11, s4 src0_sel:BYTE_0 src1_sel:DWORD
	s_mov_b64 s[4:5], -1
                                        ; implicit-def: $sgpr10
	s_and_saveexec_b64 s[8:9], s[12:13]
; %bb.3658:
	s_mov_b32 s10, 0x7f800001
	s_xor_b64 s[4:5], exec, -1
; %bb.3659:
	s_or_b64 exec, exec, s[8:9]
	s_and_b64 s[4:5], s[4:5], exec
	s_or_saveexec_b64 s[6:7], s[6:7]
	v_mov_b32_e32 v10, s10
	s_xor_b64 exec, exec, s[6:7]
	s_cbranch_execz .LBB5_1610
.LBB5_3660:
	v_mov_b32_e32 v10, 0
	v_cmp_ne_u16_sdwa s[8:9], v11, v10 src0_sel:BYTE_0 src1_sel:DWORD
	s_andn2_b64 s[4:5], s[4:5], exec
	s_and_b64 s[8:9], s[8:9], exec
	s_or_b64 s[4:5], s[4:5], s[8:9]
	s_or_b64 exec, exec, s[6:7]
	s_and_saveexec_b64 s[6:7], s[4:5]
	s_cbranch_execnz .LBB5_1611
	s_branch .LBB5_1612
.LBB5_3661:
	s_movk_i32 s4, 0x80
	v_cmp_eq_u16_sdwa s[12:13], v11, s4 src0_sel:BYTE_0 src1_sel:DWORD
	s_mov_b64 s[4:5], -1
                                        ; implicit-def: $sgpr10
	s_and_saveexec_b64 s[8:9], s[12:13]
; %bb.3662:
	s_mov_b32 s10, 0x7f800001
	s_xor_b64 s[4:5], exec, -1
; %bb.3663:
	s_or_b64 exec, exec, s[8:9]
	s_and_b64 s[4:5], s[4:5], exec
	s_or_saveexec_b64 s[6:7], s[6:7]
	v_mov_b32_e32 v14, s10
	s_xor_b64 exec, exec, s[6:7]
	s_cbranch_execz .LBB5_1614
.LBB5_3664:
	v_mov_b32_e32 v14, 0
	v_cmp_ne_u16_sdwa s[8:9], v11, v14 src0_sel:BYTE_0 src1_sel:DWORD
	s_andn2_b64 s[4:5], s[4:5], exec
	s_and_b64 s[8:9], s[8:9], exec
	s_or_b64 s[4:5], s[4:5], s[8:9]
	s_or_b64 exec, exec, s[6:7]
	s_and_saveexec_b64 s[6:7], s[4:5]
	s_cbranch_execnz .LBB5_1615
	s_branch .LBB5_1616
.LBB5_3665:
	s_movk_i32 s4, 0x80
	v_cmp_eq_u16_e32 vcc, s4, v11
	s_mov_b64 s[4:5], -1
                                        ; implicit-def: $sgpr10
	s_and_saveexec_b64 s[8:9], vcc
; %bb.3666:
	s_mov_b32 s10, 0x7f800001
	s_xor_b64 s[4:5], exec, -1
; %bb.3667:
	s_or_b64 exec, exec, s[8:9]
	s_and_b64 s[4:5], s[4:5], exec
                                        ; implicit-def: $vgpr11
	s_or_saveexec_b64 s[6:7], s[6:7]
	v_mov_b32_e32 v10, s10
	s_xor_b64 exec, exec, s[6:7]
	s_cbranch_execz .LBB5_1618
.LBB5_3668:
	v_cmp_ne_u16_e32 vcc, 0, v11
	s_andn2_b64 s[4:5], s[4:5], exec
	s_and_b64 s[8:9], vcc, exec
	v_mov_b32_e32 v10, 0
	s_or_b64 s[4:5], s[4:5], s[8:9]
	s_or_b64 exec, exec, s[6:7]
	s_and_saveexec_b64 s[6:7], s[4:5]
	s_cbranch_execnz .LBB5_1619
	s_branch .LBB5_1620
.LBB5_3669:
	s_movk_i32 s4, 0x80
	v_cmp_eq_u16_e32 vcc, s4, v11
	s_mov_b64 s[4:5], -1
                                        ; implicit-def: $sgpr10
	s_and_saveexec_b64 s[8:9], vcc
; %bb.3670:
	s_mov_b32 s10, 0x7f800001
	s_xor_b64 s[4:5], exec, -1
; %bb.3671:
	s_or_b64 exec, exec, s[8:9]
	s_and_b64 s[4:5], s[4:5], exec
                                        ; implicit-def: $vgpr11
	s_or_saveexec_b64 s[6:7], s[6:7]
	v_mov_b32_e32 v14, s10
	s_xor_b64 exec, exec, s[6:7]
	s_cbranch_execz .LBB5_1622
.LBB5_3672:
	v_cmp_ne_u16_e32 vcc, 0, v11
	s_andn2_b64 s[4:5], s[4:5], exec
	s_and_b64 s[8:9], vcc, exec
	v_mov_b32_e32 v14, 0
	s_or_b64 s[4:5], s[4:5], s[8:9]
	s_or_b64 exec, exec, s[6:7]
	s_and_saveexec_b64 s[6:7], s[4:5]
	s_cbranch_execnz .LBB5_1623
	s_branch .LBB5_1624
.LBB5_3673:
	s_movk_i32 s4, 0x80
	v_cmp_eq_u16_sdwa s[12:13], v16, s4 src0_sel:BYTE_3 src1_sel:DWORD
	s_mov_b64 s[4:5], -1
                                        ; implicit-def: $sgpr10
	s_and_saveexec_b64 s[8:9], s[12:13]
; %bb.3674:
	s_mov_b32 s10, 0x7f800001
	s_xor_b64 s[4:5], exec, -1
; %bb.3675:
	s_or_b64 exec, exec, s[8:9]
	s_and_b64 s[4:5], s[4:5], exec
	s_or_saveexec_b64 s[6:7], s[6:7]
	v_mov_b32_e32 v10, s10
	s_xor_b64 exec, exec, s[6:7]
	s_cbranch_execz .LBB5_1626
.LBB5_3676:
	v_mov_b32_e32 v10, 0
	v_cmp_ne_u16_sdwa s[8:9], v16, v10 src0_sel:BYTE_3 src1_sel:DWORD
	s_andn2_b64 s[4:5], s[4:5], exec
	s_and_b64 s[8:9], s[8:9], exec
	s_or_b64 s[4:5], s[4:5], s[8:9]
	s_or_b64 exec, exec, s[6:7]
	s_and_saveexec_b64 s[6:7], s[4:5]
	s_cbranch_execnz .LBB5_1627
	s_branch .LBB5_1628
.LBB5_3677:
	s_movk_i32 s4, 0x80
	v_cmp_eq_u16_sdwa s[12:13], v12, s4 src0_sel:BYTE_3 src1_sel:DWORD
	s_mov_b64 s[4:5], -1
                                        ; implicit-def: $sgpr10
	s_and_saveexec_b64 s[8:9], s[12:13]
; %bb.3678:
	s_mov_b32 s10, 0x7f800001
	s_xor_b64 s[4:5], exec, -1
; %bb.3679:
	s_or_b64 exec, exec, s[8:9]
	s_and_b64 s[4:5], s[4:5], exec
	s_or_saveexec_b64 s[6:7], s[6:7]
	v_mov_b32_e32 v11, s10
	s_xor_b64 exec, exec, s[6:7]
	s_cbranch_execz .LBB5_1630
.LBB5_3680:
	v_mov_b32_e32 v11, 0
	v_cmp_ne_u16_sdwa s[8:9], v12, v11 src0_sel:BYTE_3 src1_sel:DWORD
	s_andn2_b64 s[4:5], s[4:5], exec
	s_and_b64 s[8:9], s[8:9], exec
	s_or_b64 s[4:5], s[4:5], s[8:9]
	s_or_b64 exec, exec, s[6:7]
	s_and_saveexec_b64 s[6:7], s[4:5]
	s_cbranch_execnz .LBB5_1631
	s_branch .LBB5_1632
.LBB5_3681:
	s_movk_i32 s4, 0x80
	v_cmp_eq_u16_sdwa s[12:13], v17, s4 src0_sel:BYTE_0 src1_sel:DWORD
	s_mov_b64 s[4:5], -1
                                        ; implicit-def: $sgpr10
	s_and_saveexec_b64 s[8:9], s[12:13]
; %bb.3682:
	s_mov_b32 s10, 0x7f800001
	s_xor_b64 s[4:5], exec, -1
; %bb.3683:
	s_or_b64 exec, exec, s[8:9]
	s_and_b64 s[4:5], s[4:5], exec
	s_or_saveexec_b64 s[6:7], s[6:7]
	v_mov_b32_e32 v10, s10
	s_xor_b64 exec, exec, s[6:7]
	s_cbranch_execz .LBB5_1634
.LBB5_3684:
	v_mov_b32_e32 v10, 0
	v_cmp_ne_u16_sdwa s[8:9], v17, v10 src0_sel:BYTE_0 src1_sel:DWORD
	s_andn2_b64 s[4:5], s[4:5], exec
	s_and_b64 s[8:9], s[8:9], exec
	s_or_b64 s[4:5], s[4:5], s[8:9]
	s_or_b64 exec, exec, s[6:7]
	s_and_saveexec_b64 s[6:7], s[4:5]
	s_cbranch_execnz .LBB5_1635
	s_branch .LBB5_1636
.LBB5_3685:
	s_movk_i32 s4, 0x80
	v_cmp_eq_u16_sdwa s[12:13], v13, s4 src0_sel:BYTE_0 src1_sel:DWORD
	s_mov_b64 s[4:5], -1
                                        ; implicit-def: $sgpr10
	s_and_saveexec_b64 s[8:9], s[12:13]
; %bb.3686:
	s_mov_b32 s10, 0x7f800001
	s_xor_b64 s[4:5], exec, -1
; %bb.3687:
	s_or_b64 exec, exec, s[8:9]
	s_and_b64 s[4:5], s[4:5], exec
	s_or_saveexec_b64 s[6:7], s[6:7]
	v_mov_b32_e32 v11, s10
	s_xor_b64 exec, exec, s[6:7]
	s_cbranch_execz .LBB5_1638
.LBB5_3688:
	v_mov_b32_e32 v11, 0
	v_cmp_ne_u16_sdwa s[8:9], v13, v11 src0_sel:BYTE_0 src1_sel:DWORD
	s_andn2_b64 s[4:5], s[4:5], exec
	s_and_b64 s[8:9], s[8:9], exec
	s_or_b64 s[4:5], s[4:5], s[8:9]
	s_or_b64 exec, exec, s[6:7]
	s_and_saveexec_b64 s[6:7], s[4:5]
	s_cbranch_execnz .LBB5_1639
	s_branch .LBB5_1640
.LBB5_3689:
	s_movk_i32 s4, 0x80
	v_cmp_eq_u16_sdwa s[12:13], v11, s4 src0_sel:BYTE_0 src1_sel:DWORD
	s_mov_b64 s[4:5], -1
                                        ; implicit-def: $sgpr10
	s_and_saveexec_b64 s[8:9], s[12:13]
; %bb.3690:
	s_mov_b32 s10, 0x7f800001
	s_xor_b64 s[4:5], exec, -1
; %bb.3691:
	s_or_b64 exec, exec, s[8:9]
	s_and_b64 s[4:5], s[4:5], exec
	s_or_saveexec_b64 s[6:7], s[6:7]
	v_mov_b32_e32 v10, s10
	s_xor_b64 exec, exec, s[6:7]
	s_cbranch_execz .LBB5_1642
.LBB5_3692:
	v_mov_b32_e32 v10, 0
	v_cmp_ne_u16_sdwa s[8:9], v11, v10 src0_sel:BYTE_0 src1_sel:DWORD
	s_andn2_b64 s[4:5], s[4:5], exec
	s_and_b64 s[8:9], s[8:9], exec
	s_or_b64 s[4:5], s[4:5], s[8:9]
	s_or_b64 exec, exec, s[6:7]
	s_and_saveexec_b64 s[6:7], s[4:5]
	s_cbranch_execnz .LBB5_1643
	s_branch .LBB5_1644
.LBB5_3693:
	s_movk_i32 s4, 0x80
	v_cmp_eq_u16_sdwa s[12:13], v11, s4 src0_sel:BYTE_0 src1_sel:DWORD
	s_mov_b64 s[4:5], -1
                                        ; implicit-def: $sgpr10
	s_and_saveexec_b64 s[8:9], s[12:13]
; %bb.3694:
	s_mov_b32 s10, 0x7f800001
	s_xor_b64 s[4:5], exec, -1
; %bb.3695:
	s_or_b64 exec, exec, s[8:9]
	s_and_b64 s[4:5], s[4:5], exec
	s_or_saveexec_b64 s[6:7], s[6:7]
	v_mov_b32_e32 v12, s10
	s_xor_b64 exec, exec, s[6:7]
	s_cbranch_execz .LBB5_1646
.LBB5_3696:
	v_mov_b32_e32 v12, 0
	v_cmp_ne_u16_sdwa s[8:9], v11, v12 src0_sel:BYTE_0 src1_sel:DWORD
	s_andn2_b64 s[4:5], s[4:5], exec
	s_and_b64 s[8:9], s[8:9], exec
	s_or_b64 s[4:5], s[4:5], s[8:9]
	s_or_b64 exec, exec, s[6:7]
	s_and_saveexec_b64 s[6:7], s[4:5]
	s_cbranch_execnz .LBB5_1647
	s_branch .LBB5_1648
.LBB5_3697:
	s_movk_i32 s4, 0x80
	v_cmp_eq_u16_e32 vcc, s4, v11
	s_mov_b64 s[4:5], -1
                                        ; implicit-def: $sgpr10
	s_and_saveexec_b64 s[8:9], vcc
; %bb.3698:
	s_mov_b32 s10, 0x7f800001
	s_xor_b64 s[4:5], exec, -1
; %bb.3699:
	s_or_b64 exec, exec, s[8:9]
	s_and_b64 s[4:5], s[4:5], exec
                                        ; implicit-def: $vgpr11
	s_or_saveexec_b64 s[6:7], s[6:7]
	v_mov_b32_e32 v10, s10
	s_xor_b64 exec, exec, s[6:7]
	s_cbranch_execz .LBB5_1650
.LBB5_3700:
	v_cmp_ne_u16_e32 vcc, 0, v11
	s_andn2_b64 s[4:5], s[4:5], exec
	s_and_b64 s[8:9], vcc, exec
	v_mov_b32_e32 v10, 0
	s_or_b64 s[4:5], s[4:5], s[8:9]
	s_or_b64 exec, exec, s[6:7]
	s_and_saveexec_b64 s[6:7], s[4:5]
	s_cbranch_execnz .LBB5_1651
	s_branch .LBB5_1652
.LBB5_3701:
	s_movk_i32 s4, 0x80
	v_cmp_eq_u16_e32 vcc, s4, v11
	s_mov_b64 s[4:5], -1
                                        ; implicit-def: $sgpr10
	s_and_saveexec_b64 s[8:9], vcc
; %bb.3702:
	s_mov_b32 s10, 0x7f800001
	s_xor_b64 s[4:5], exec, -1
; %bb.3703:
	s_or_b64 exec, exec, s[8:9]
	s_and_b64 s[4:5], s[4:5], exec
                                        ; implicit-def: $vgpr11
	s_or_saveexec_b64 s[6:7], s[6:7]
	v_mov_b32_e32 v12, s10
	s_xor_b64 exec, exec, s[6:7]
	s_cbranch_execz .LBB5_1654
.LBB5_3704:
	v_cmp_ne_u16_e32 vcc, 0, v11
	s_andn2_b64 s[4:5], s[4:5], exec
	s_and_b64 s[8:9], vcc, exec
	v_mov_b32_e32 v12, 0
	s_or_b64 s[4:5], s[4:5], s[8:9]
	s_or_b64 exec, exec, s[6:7]
	s_and_saveexec_b64 s[6:7], s[4:5]
	s_cbranch_execnz .LBB5_1655
	s_branch .LBB5_1656
.LBB5_3705:
	s_movk_i32 s4, 0x80
	v_cmp_eq_u16_sdwa s[12:13], v17, s4 src0_sel:BYTE_3 src1_sel:DWORD
	s_mov_b64 s[4:5], -1
                                        ; implicit-def: $sgpr10
	s_and_saveexec_b64 s[8:9], s[12:13]
; %bb.3706:
	s_mov_b32 s10, 0x7f800001
	s_xor_b64 s[4:5], exec, -1
; %bb.3707:
	s_or_b64 exec, exec, s[8:9]
	s_and_b64 s[4:5], s[4:5], exec
	s_or_saveexec_b64 s[6:7], s[6:7]
	v_mov_b32_e32 v10, s10
	s_xor_b64 exec, exec, s[6:7]
	s_cbranch_execz .LBB5_1658
.LBB5_3708:
	v_mov_b32_e32 v10, 0
	v_cmp_ne_u16_sdwa s[8:9], v17, v10 src0_sel:BYTE_3 src1_sel:DWORD
	s_andn2_b64 s[4:5], s[4:5], exec
	s_and_b64 s[8:9], s[8:9], exec
	s_or_b64 s[4:5], s[4:5], s[8:9]
	s_or_b64 exec, exec, s[6:7]
	s_and_saveexec_b64 s[6:7], s[4:5]
	s_cbranch_execnz .LBB5_1659
	s_branch .LBB5_1660
.LBB5_3709:
	s_movk_i32 s4, 0x80
	v_cmp_eq_u16_sdwa s[12:13], v13, s4 src0_sel:BYTE_3 src1_sel:DWORD
	s_mov_b64 s[4:5], -1
                                        ; implicit-def: $sgpr10
	s_and_saveexec_b64 s[8:9], s[12:13]
; %bb.3710:
	s_mov_b32 s10, 0x7f800001
	s_xor_b64 s[4:5], exec, -1
; %bb.3711:
	s_or_b64 exec, exec, s[8:9]
	s_and_b64 s[4:5], s[4:5], exec
	s_or_saveexec_b64 s[6:7], s[6:7]
	v_mov_b32_e32 v11, s10
	s_xor_b64 exec, exec, s[6:7]
	s_cbranch_execz .LBB5_1662
.LBB5_3712:
	v_mov_b32_e32 v11, 0
	v_cmp_ne_u16_sdwa s[8:9], v13, v11 src0_sel:BYTE_3 src1_sel:DWORD
	s_andn2_b64 s[4:5], s[4:5], exec
	s_and_b64 s[8:9], s[8:9], exec
	s_or_b64 s[4:5], s[4:5], s[8:9]
	s_or_b64 exec, exec, s[6:7]
	s_and_saveexec_b64 s[6:7], s[4:5]
	s_cbranch_execnz .LBB5_1663
	s_branch .LBB5_1664
.LBB5_3713:
	s_movk_i32 s4, 0x80
	v_cmp_eq_u16_sdwa s[12:13], v6, s4 src0_sel:BYTE_0 src1_sel:DWORD
	s_mov_b64 s[4:5], -1
                                        ; implicit-def: $sgpr10
	s_and_saveexec_b64 s[8:9], s[12:13]
; %bb.3714:
	s_mov_b32 s10, 0x7f800001
	s_xor_b64 s[4:5], exec, -1
; %bb.3715:
	s_or_b64 exec, exec, s[8:9]
	s_and_b64 s[4:5], s[4:5], exec
	s_or_saveexec_b64 s[6:7], s[6:7]
	v_mov_b32_e32 v10, s10
	s_xor_b64 exec, exec, s[6:7]
	s_cbranch_execz .LBB5_1666
.LBB5_3716:
	v_mov_b32_e32 v10, 0
	v_cmp_ne_u16_sdwa s[8:9], v6, v10 src0_sel:BYTE_0 src1_sel:DWORD
	s_andn2_b64 s[4:5], s[4:5], exec
	s_and_b64 s[8:9], s[8:9], exec
	s_or_b64 s[4:5], s[4:5], s[8:9]
	s_or_b64 exec, exec, s[6:7]
	s_and_saveexec_b64 s[6:7], s[4:5]
	s_cbranch_execnz .LBB5_1667
	s_branch .LBB5_1668
.LBB5_3717:
	s_movk_i32 s4, 0x80
	v_cmp_eq_u16_sdwa s[12:13], v2, s4 src0_sel:BYTE_0 src1_sel:DWORD
	s_mov_b64 s[4:5], -1
                                        ; implicit-def: $sgpr10
	s_and_saveexec_b64 s[8:9], s[12:13]
; %bb.3718:
	s_mov_b32 s10, 0x7f800001
	s_xor_b64 s[4:5], exec, -1
; %bb.3719:
	s_or_b64 exec, exec, s[8:9]
	s_and_b64 s[4:5], s[4:5], exec
	s_or_saveexec_b64 s[6:7], s[6:7]
	v_mov_b32_e32 v11, s10
	s_xor_b64 exec, exec, s[6:7]
	s_cbranch_execz .LBB5_1670
.LBB5_3720:
	v_mov_b32_e32 v11, 0
	v_cmp_ne_u16_sdwa s[8:9], v2, v11 src0_sel:BYTE_0 src1_sel:DWORD
	s_andn2_b64 s[4:5], s[4:5], exec
	s_and_b64 s[8:9], s[8:9], exec
	s_or_b64 s[4:5], s[4:5], s[8:9]
	s_or_b64 exec, exec, s[6:7]
	s_and_saveexec_b64 s[6:7], s[4:5]
	s_cbranch_execnz .LBB5_1671
	s_branch .LBB5_1672
.LBB5_3721:
	s_movk_i32 s4, 0x80
	v_cmp_eq_u16_sdwa s[12:13], v11, s4 src0_sel:BYTE_0 src1_sel:DWORD
	s_mov_b64 s[4:5], -1
                                        ; implicit-def: $sgpr10
	s_and_saveexec_b64 s[8:9], s[12:13]
; %bb.3722:
	s_mov_b32 s10, 0x7f800001
	s_xor_b64 s[4:5], exec, -1
; %bb.3723:
	s_or_b64 exec, exec, s[8:9]
	s_and_b64 s[4:5], s[4:5], exec
	s_or_saveexec_b64 s[6:7], s[6:7]
	v_mov_b32_e32 v10, s10
	s_xor_b64 exec, exec, s[6:7]
	s_cbranch_execz .LBB5_1674
.LBB5_3724:
	v_mov_b32_e32 v10, 0
	v_cmp_ne_u16_sdwa s[8:9], v11, v10 src0_sel:BYTE_0 src1_sel:DWORD
	s_andn2_b64 s[4:5], s[4:5], exec
	s_and_b64 s[8:9], s[8:9], exec
	s_or_b64 s[4:5], s[4:5], s[8:9]
	s_or_b64 exec, exec, s[6:7]
	s_and_saveexec_b64 s[6:7], s[4:5]
	s_cbranch_execnz .LBB5_1675
	s_branch .LBB5_1676
.LBB5_3725:
	s_movk_i32 s4, 0x80
	v_cmp_eq_u16_sdwa s[12:13], v11, s4 src0_sel:BYTE_0 src1_sel:DWORD
	s_mov_b64 s[4:5], -1
                                        ; implicit-def: $sgpr10
	s_and_saveexec_b64 s[8:9], s[12:13]
; %bb.3726:
	s_mov_b32 s10, 0x7f800001
	s_xor_b64 s[4:5], exec, -1
; %bb.3727:
	s_or_b64 exec, exec, s[8:9]
	s_and_b64 s[4:5], s[4:5], exec
	s_or_saveexec_b64 s[6:7], s[6:7]
	v_mov_b32_e32 v12, s10
	s_xor_b64 exec, exec, s[6:7]
	s_cbranch_execz .LBB5_1678
.LBB5_3728:
	v_mov_b32_e32 v12, 0
	v_cmp_ne_u16_sdwa s[8:9], v11, v12 src0_sel:BYTE_0 src1_sel:DWORD
	s_andn2_b64 s[4:5], s[4:5], exec
	s_and_b64 s[8:9], s[8:9], exec
	s_or_b64 s[4:5], s[4:5], s[8:9]
	s_or_b64 exec, exec, s[6:7]
	s_and_saveexec_b64 s[6:7], s[4:5]
	s_cbranch_execnz .LBB5_1679
	s_branch .LBB5_1680
.LBB5_3729:
	s_movk_i32 s4, 0x80
	v_cmp_eq_u16_e32 vcc, s4, v11
	s_mov_b64 s[4:5], -1
                                        ; implicit-def: $sgpr10
	s_and_saveexec_b64 s[8:9], vcc
; %bb.3730:
	s_mov_b32 s10, 0x7f800001
	s_xor_b64 s[4:5], exec, -1
; %bb.3731:
	s_or_b64 exec, exec, s[8:9]
	s_and_b64 s[4:5], s[4:5], exec
                                        ; implicit-def: $vgpr11
	s_or_saveexec_b64 s[6:7], s[6:7]
	v_mov_b32_e32 v10, s10
	s_xor_b64 exec, exec, s[6:7]
	s_cbranch_execz .LBB5_1682
.LBB5_3732:
	v_cmp_ne_u16_e32 vcc, 0, v11
	s_andn2_b64 s[4:5], s[4:5], exec
	s_and_b64 s[8:9], vcc, exec
	v_mov_b32_e32 v10, 0
	s_or_b64 s[4:5], s[4:5], s[8:9]
	s_or_b64 exec, exec, s[6:7]
	s_and_saveexec_b64 s[6:7], s[4:5]
	s_cbranch_execnz .LBB5_1683
	s_branch .LBB5_1684
.LBB5_3733:
	s_movk_i32 s4, 0x80
	v_cmp_eq_u16_e32 vcc, s4, v11
	s_mov_b64 s[4:5], -1
                                        ; implicit-def: $sgpr10
	s_and_saveexec_b64 s[8:9], vcc
; %bb.3734:
	s_mov_b32 s10, 0x7f800001
	s_xor_b64 s[4:5], exec, -1
; %bb.3735:
	s_or_b64 exec, exec, s[8:9]
	s_and_b64 s[4:5], s[4:5], exec
                                        ; implicit-def: $vgpr11
	s_or_saveexec_b64 s[6:7], s[6:7]
	v_mov_b32_e32 v12, s10
	s_xor_b64 exec, exec, s[6:7]
	s_cbranch_execz .LBB5_1686
.LBB5_3736:
	v_cmp_ne_u16_e32 vcc, 0, v11
	s_andn2_b64 s[4:5], s[4:5], exec
	s_and_b64 s[8:9], vcc, exec
	v_mov_b32_e32 v12, 0
	s_or_b64 s[4:5], s[4:5], s[8:9]
	s_or_b64 exec, exec, s[6:7]
	s_and_saveexec_b64 s[6:7], s[4:5]
	s_cbranch_execnz .LBB5_1687
	s_branch .LBB5_1688
.LBB5_3737:
	s_movk_i32 s4, 0x80
	v_cmp_eq_u16_sdwa s[12:13], v6, s4 src0_sel:BYTE_3 src1_sel:DWORD
	s_mov_b64 s[4:5], -1
                                        ; implicit-def: $sgpr10
	s_and_saveexec_b64 s[8:9], s[12:13]
; %bb.3738:
	s_mov_b32 s10, 0x7f800001
	s_xor_b64 s[4:5], exec, -1
; %bb.3739:
	s_or_b64 exec, exec, s[8:9]
	s_and_b64 s[4:5], s[4:5], exec
	s_or_saveexec_b64 s[6:7], s[6:7]
	v_mov_b32_e32 v10, s10
	s_xor_b64 exec, exec, s[6:7]
	s_cbranch_execz .LBB5_1690
.LBB5_3740:
	v_mov_b32_e32 v10, 0
	v_cmp_ne_u16_sdwa s[8:9], v6, v10 src0_sel:BYTE_3 src1_sel:DWORD
	s_andn2_b64 s[4:5], s[4:5], exec
	s_and_b64 s[8:9], s[8:9], exec
	s_or_b64 s[4:5], s[4:5], s[8:9]
	s_or_b64 exec, exec, s[6:7]
	s_and_saveexec_b64 s[6:7], s[4:5]
	s_cbranch_execnz .LBB5_1691
	s_branch .LBB5_1692
.LBB5_3741:
	s_movk_i32 s4, 0x80
	v_cmp_eq_u16_sdwa s[12:13], v2, s4 src0_sel:BYTE_3 src1_sel:DWORD
	s_mov_b64 s[4:5], -1
                                        ; implicit-def: $sgpr10
	s_and_saveexec_b64 s[8:9], s[12:13]
; %bb.3742:
	s_mov_b32 s10, 0x7f800001
	s_xor_b64 s[4:5], exec, -1
; %bb.3743:
	s_or_b64 exec, exec, s[8:9]
	s_and_b64 s[4:5], s[4:5], exec
	s_or_saveexec_b64 s[6:7], s[6:7]
	v_mov_b32_e32 v6, s10
	s_xor_b64 exec, exec, s[6:7]
	s_cbranch_execz .LBB5_1694
.LBB5_3744:
	v_mov_b32_e32 v6, 0
	v_cmp_ne_u16_sdwa s[8:9], v2, v6 src0_sel:BYTE_3 src1_sel:DWORD
	s_andn2_b64 s[4:5], s[4:5], exec
	s_and_b64 s[8:9], s[8:9], exec
	s_or_b64 s[4:5], s[4:5], s[8:9]
	s_or_b64 exec, exec, s[6:7]
	s_and_saveexec_b64 s[6:7], s[4:5]
	s_cbranch_execnz .LBB5_1695
	s_branch .LBB5_1696
.LBB5_3745:
	s_movk_i32 s4, 0x80
	v_cmp_eq_u16_sdwa s[12:13], v7, s4 src0_sel:BYTE_0 src1_sel:DWORD
	s_mov_b64 s[4:5], -1
                                        ; implicit-def: $sgpr10
	s_and_saveexec_b64 s[8:9], s[12:13]
; %bb.3746:
	s_mov_b32 s10, 0x7f800001
	s_xor_b64 s[4:5], exec, -1
; %bb.3747:
	s_or_b64 exec, exec, s[8:9]
	s_and_b64 s[4:5], s[4:5], exec
	s_or_saveexec_b64 s[6:7], s[6:7]
	v_mov_b32_e32 v2, s10
	s_xor_b64 exec, exec, s[6:7]
	s_cbranch_execz .LBB5_1698
.LBB5_3748:
	v_mov_b32_e32 v2, 0
	v_cmp_ne_u16_sdwa s[8:9], v7, v2 src0_sel:BYTE_0 src1_sel:DWORD
	s_andn2_b64 s[4:5], s[4:5], exec
	s_and_b64 s[8:9], s[8:9], exec
	s_or_b64 s[4:5], s[4:5], s[8:9]
	s_or_b64 exec, exec, s[6:7]
	s_and_saveexec_b64 s[6:7], s[4:5]
	s_cbranch_execnz .LBB5_1699
	s_branch .LBB5_1700
.LBB5_3749:
	s_movk_i32 s4, 0x80
	v_cmp_eq_u16_sdwa s[12:13], v3, s4 src0_sel:BYTE_0 src1_sel:DWORD
	s_mov_b64 s[4:5], -1
                                        ; implicit-def: $sgpr10
	s_and_saveexec_b64 s[8:9], s[12:13]
; %bb.3750:
	s_mov_b32 s10, 0x7f800001
	s_xor_b64 s[4:5], exec, -1
; %bb.3751:
	s_or_b64 exec, exec, s[8:9]
	s_and_b64 s[4:5], s[4:5], exec
	s_or_saveexec_b64 s[6:7], s[6:7]
	v_mov_b32_e32 v6, s10
	s_xor_b64 exec, exec, s[6:7]
	s_cbranch_execz .LBB5_1702
.LBB5_3752:
	v_mov_b32_e32 v6, 0
	v_cmp_ne_u16_sdwa s[8:9], v3, v6 src0_sel:BYTE_0 src1_sel:DWORD
	s_andn2_b64 s[4:5], s[4:5], exec
	s_and_b64 s[8:9], s[8:9], exec
	s_or_b64 s[4:5], s[4:5], s[8:9]
	s_or_b64 exec, exec, s[6:7]
	s_and_saveexec_b64 s[6:7], s[4:5]
	s_cbranch_execnz .LBB5_1703
	s_branch .LBB5_1704
.LBB5_3753:
	s_movk_i32 s4, 0x80
	v_cmp_eq_u16_sdwa s[12:13], v6, s4 src0_sel:BYTE_0 src1_sel:DWORD
	s_mov_b64 s[4:5], -1
                                        ; implicit-def: $sgpr10
	s_and_saveexec_b64 s[8:9], s[12:13]
; %bb.3754:
	s_mov_b32 s10, 0x7f800001
	s_xor_b64 s[4:5], exec, -1
; %bb.3755:
	s_or_b64 exec, exec, s[8:9]
	s_and_b64 s[4:5], s[4:5], exec
	s_or_saveexec_b64 s[6:7], s[6:7]
	v_mov_b32_e32 v2, s10
	s_xor_b64 exec, exec, s[6:7]
	s_cbranch_execz .LBB5_1706
.LBB5_3756:
	v_mov_b32_e32 v2, 0
	v_cmp_ne_u16_sdwa s[8:9], v6, v2 src0_sel:BYTE_0 src1_sel:DWORD
	s_andn2_b64 s[4:5], s[4:5], exec
	s_and_b64 s[8:9], s[8:9], exec
	s_or_b64 s[4:5], s[4:5], s[8:9]
	s_or_b64 exec, exec, s[6:7]
	s_and_saveexec_b64 s[6:7], s[4:5]
	s_cbranch_execnz .LBB5_1707
	s_branch .LBB5_1708
.LBB5_3757:
	s_movk_i32 s4, 0x80
	v_cmp_eq_u16_sdwa s[12:13], v6, s4 src0_sel:BYTE_0 src1_sel:DWORD
	s_mov_b64 s[4:5], -1
                                        ; implicit-def: $sgpr10
	s_and_saveexec_b64 s[8:9], s[12:13]
; %bb.3758:
	s_mov_b32 s10, 0x7f800001
	s_xor_b64 s[4:5], exec, -1
; %bb.3759:
	s_or_b64 exec, exec, s[8:9]
	s_and_b64 s[4:5], s[4:5], exec
	s_or_saveexec_b64 s[6:7], s[6:7]
	v_mov_b32_e32 v10, s10
	s_xor_b64 exec, exec, s[6:7]
	s_cbranch_execz .LBB5_1710
.LBB5_3760:
	v_mov_b32_e32 v10, 0
	v_cmp_ne_u16_sdwa s[8:9], v6, v10 src0_sel:BYTE_0 src1_sel:DWORD
	s_andn2_b64 s[4:5], s[4:5], exec
	s_and_b64 s[8:9], s[8:9], exec
	s_or_b64 s[4:5], s[4:5], s[8:9]
	s_or_b64 exec, exec, s[6:7]
	s_and_saveexec_b64 s[6:7], s[4:5]
	s_cbranch_execnz .LBB5_1711
	s_branch .LBB5_1712
.LBB5_3761:
	s_movk_i32 s4, 0x80
	v_cmp_eq_u16_e32 vcc, s4, v6
	s_mov_b64 s[4:5], -1
                                        ; implicit-def: $sgpr10
	s_and_saveexec_b64 s[8:9], vcc
; %bb.3762:
	s_mov_b32 s10, 0x7f800001
	s_xor_b64 s[4:5], exec, -1
; %bb.3763:
	s_or_b64 exec, exec, s[8:9]
	s_and_b64 s[4:5], s[4:5], exec
                                        ; implicit-def: $vgpr6
	s_or_saveexec_b64 s[6:7], s[6:7]
	v_mov_b32_e32 v2, s10
	s_xor_b64 exec, exec, s[6:7]
	s_cbranch_execz .LBB5_1714
.LBB5_3764:
	v_cmp_ne_u16_e32 vcc, 0, v6
	s_andn2_b64 s[4:5], s[4:5], exec
	s_and_b64 s[8:9], vcc, exec
	v_mov_b32_e32 v2, 0
	s_or_b64 s[4:5], s[4:5], s[8:9]
	s_or_b64 exec, exec, s[6:7]
	s_and_saveexec_b64 s[6:7], s[4:5]
	s_cbranch_execnz .LBB5_1715
	s_branch .LBB5_1716
.LBB5_3765:
	s_movk_i32 s4, 0x80
	v_cmp_eq_u16_e32 vcc, s4, v6
	s_mov_b64 s[4:5], -1
                                        ; implicit-def: $sgpr10
	s_and_saveexec_b64 s[8:9], vcc
; %bb.3766:
	s_mov_b32 s10, 0x7f800001
	s_xor_b64 s[4:5], exec, -1
; %bb.3767:
	s_or_b64 exec, exec, s[8:9]
	s_and_b64 s[4:5], s[4:5], exec
                                        ; implicit-def: $vgpr6
	s_or_saveexec_b64 s[6:7], s[6:7]
	v_mov_b32_e32 v10, s10
	s_xor_b64 exec, exec, s[6:7]
	s_cbranch_execz .LBB5_1718
.LBB5_3768:
	v_cmp_ne_u16_e32 vcc, 0, v6
	s_andn2_b64 s[4:5], s[4:5], exec
	s_and_b64 s[8:9], vcc, exec
	v_mov_b32_e32 v10, 0
	s_or_b64 s[4:5], s[4:5], s[8:9]
	s_or_b64 exec, exec, s[6:7]
	s_and_saveexec_b64 s[6:7], s[4:5]
	s_cbranch_execnz .LBB5_1719
	s_branch .LBB5_1720
.LBB5_3769:
	s_movk_i32 s4, 0x80
	v_cmp_eq_u16_sdwa s[12:13], v7, s4 src0_sel:BYTE_3 src1_sel:DWORD
	s_mov_b64 s[4:5], -1
                                        ; implicit-def: $sgpr10
	s_and_saveexec_b64 s[8:9], s[12:13]
; %bb.3770:
	s_mov_b32 s10, 0x7f800001
	s_xor_b64 s[4:5], exec, -1
; %bb.3771:
	s_or_b64 exec, exec, s[8:9]
	s_and_b64 s[4:5], s[4:5], exec
	s_or_saveexec_b64 s[6:7], s[6:7]
	v_mov_b32_e32 v2, s10
	s_xor_b64 exec, exec, s[6:7]
	s_cbranch_execz .LBB5_1722
.LBB5_3772:
	v_mov_b32_e32 v2, 0
	v_cmp_ne_u16_sdwa s[8:9], v7, v2 src0_sel:BYTE_3 src1_sel:DWORD
	s_andn2_b64 s[4:5], s[4:5], exec
	s_and_b64 s[8:9], s[8:9], exec
	s_or_b64 s[4:5], s[4:5], s[8:9]
	s_or_b64 exec, exec, s[6:7]
	s_and_saveexec_b64 s[6:7], s[4:5]
	s_cbranch_execnz .LBB5_1723
	s_branch .LBB5_1724
.LBB5_3773:
	s_movk_i32 s4, 0x80
	v_cmp_eq_u16_sdwa s[12:13], v3, s4 src0_sel:BYTE_3 src1_sel:DWORD
	s_mov_b64 s[4:5], -1
                                        ; implicit-def: $sgpr10
	s_and_saveexec_b64 s[8:9], s[12:13]
; %bb.3774:
	s_mov_b32 s10, 0x7f800001
	s_xor_b64 s[4:5], exec, -1
; %bb.3775:
	s_or_b64 exec, exec, s[8:9]
	s_and_b64 s[4:5], s[4:5], exec
	s_or_saveexec_b64 s[6:7], s[6:7]
	v_mov_b32_e32 v6, s10
	s_xor_b64 exec, exec, s[6:7]
	s_cbranch_execz .LBB5_1726
.LBB5_3776:
	v_mov_b32_e32 v6, 0
	v_cmp_ne_u16_sdwa s[8:9], v3, v6 src0_sel:BYTE_3 src1_sel:DWORD
	s_andn2_b64 s[4:5], s[4:5], exec
	s_and_b64 s[8:9], s[8:9], exec
	s_or_b64 s[4:5], s[4:5], s[8:9]
	s_or_b64 exec, exec, s[6:7]
	s_and_saveexec_b64 s[6:7], s[4:5]
	s_cbranch_execnz .LBB5_1727
	s_branch .LBB5_1728
.LBB5_3777:
	s_movk_i32 s4, 0x80
	v_cmp_eq_u16_sdwa s[12:13], v8, s4 src0_sel:BYTE_0 src1_sel:DWORD
	s_mov_b64 s[4:5], -1
                                        ; implicit-def: $sgpr10
	s_and_saveexec_b64 s[8:9], s[12:13]
; %bb.3778:
	s_mov_b32 s10, 0x7f800001
	s_xor_b64 s[4:5], exec, -1
; %bb.3779:
	s_or_b64 exec, exec, s[8:9]
	s_and_b64 s[4:5], s[4:5], exec
	s_or_saveexec_b64 s[6:7], s[6:7]
	v_mov_b32_e32 v2, s10
	s_xor_b64 exec, exec, s[6:7]
	s_cbranch_execz .LBB5_1730
.LBB5_3780:
	v_mov_b32_e32 v2, 0
	v_cmp_ne_u16_sdwa s[8:9], v8, v2 src0_sel:BYTE_0 src1_sel:DWORD
	s_andn2_b64 s[4:5], s[4:5], exec
	s_and_b64 s[8:9], s[8:9], exec
	s_or_b64 s[4:5], s[4:5], s[8:9]
	s_or_b64 exec, exec, s[6:7]
	s_and_saveexec_b64 s[6:7], s[4:5]
	s_cbranch_execnz .LBB5_1731
	s_branch .LBB5_1732
.LBB5_3781:
	s_movk_i32 s4, 0x80
	v_cmp_eq_u16_sdwa s[12:13], v4, s4 src0_sel:BYTE_0 src1_sel:DWORD
	s_mov_b64 s[4:5], -1
                                        ; implicit-def: $sgpr10
	s_and_saveexec_b64 s[8:9], s[12:13]
; %bb.3782:
	s_mov_b32 s10, 0x7f800001
	s_xor_b64 s[4:5], exec, -1
; %bb.3783:
	s_or_b64 exec, exec, s[8:9]
	s_and_b64 s[4:5], s[4:5], exec
	s_or_saveexec_b64 s[6:7], s[6:7]
	v_mov_b32_e32 v3, s10
	s_xor_b64 exec, exec, s[6:7]
	s_cbranch_execz .LBB5_1734
.LBB5_3784:
	v_mov_b32_e32 v3, 0
	v_cmp_ne_u16_sdwa s[8:9], v4, v3 src0_sel:BYTE_0 src1_sel:DWORD
	s_andn2_b64 s[4:5], s[4:5], exec
	s_and_b64 s[8:9], s[8:9], exec
	s_or_b64 s[4:5], s[4:5], s[8:9]
	s_or_b64 exec, exec, s[6:7]
	s_and_saveexec_b64 s[6:7], s[4:5]
	s_cbranch_execnz .LBB5_1735
	s_branch .LBB5_1736
.LBB5_3785:
	s_movk_i32 s4, 0x80
	v_cmp_eq_u16_sdwa s[12:13], v3, s4 src0_sel:BYTE_0 src1_sel:DWORD
	s_mov_b64 s[4:5], -1
                                        ; implicit-def: $sgpr10
	s_and_saveexec_b64 s[8:9], s[12:13]
; %bb.3786:
	s_mov_b32 s10, 0x7f800001
	s_xor_b64 s[4:5], exec, -1
; %bb.3787:
	s_or_b64 exec, exec, s[8:9]
	s_and_b64 s[4:5], s[4:5], exec
	s_or_saveexec_b64 s[6:7], s[6:7]
	v_mov_b32_e32 v2, s10
	s_xor_b64 exec, exec, s[6:7]
	s_cbranch_execz .LBB5_1738
.LBB5_3788:
	v_mov_b32_e32 v2, 0
	v_cmp_ne_u16_sdwa s[8:9], v3, v2 src0_sel:BYTE_0 src1_sel:DWORD
	s_andn2_b64 s[4:5], s[4:5], exec
	s_and_b64 s[8:9], s[8:9], exec
	s_or_b64 s[4:5], s[4:5], s[8:9]
	s_or_b64 exec, exec, s[6:7]
	s_and_saveexec_b64 s[6:7], s[4:5]
	s_cbranch_execnz .LBB5_1739
	s_branch .LBB5_1740
.LBB5_3789:
	s_movk_i32 s4, 0x80
	v_cmp_eq_u16_sdwa s[12:13], v3, s4 src0_sel:BYTE_0 src1_sel:DWORD
	s_mov_b64 s[4:5], -1
                                        ; implicit-def: $sgpr10
	s_and_saveexec_b64 s[8:9], s[12:13]
; %bb.3790:
	s_mov_b32 s10, 0x7f800001
	s_xor_b64 s[4:5], exec, -1
; %bb.3791:
	s_or_b64 exec, exec, s[8:9]
	s_and_b64 s[4:5], s[4:5], exec
	s_or_saveexec_b64 s[6:7], s[6:7]
	v_mov_b32_e32 v6, s10
	s_xor_b64 exec, exec, s[6:7]
	s_cbranch_execz .LBB5_1742
.LBB5_3792:
	v_mov_b32_e32 v6, 0
	v_cmp_ne_u16_sdwa s[8:9], v3, v6 src0_sel:BYTE_0 src1_sel:DWORD
	s_andn2_b64 s[4:5], s[4:5], exec
	s_and_b64 s[8:9], s[8:9], exec
	s_or_b64 s[4:5], s[4:5], s[8:9]
	s_or_b64 exec, exec, s[6:7]
	s_and_saveexec_b64 s[6:7], s[4:5]
	s_cbranch_execnz .LBB5_1743
	s_branch .LBB5_1744
.LBB5_3793:
	s_movk_i32 s4, 0x80
	v_cmp_eq_u16_e32 vcc, s4, v3
	s_mov_b64 s[4:5], -1
                                        ; implicit-def: $sgpr10
	s_and_saveexec_b64 s[8:9], vcc
; %bb.3794:
	s_mov_b32 s10, 0x7f800001
	s_xor_b64 s[4:5], exec, -1
; %bb.3795:
	s_or_b64 exec, exec, s[8:9]
	s_and_b64 s[4:5], s[4:5], exec
                                        ; implicit-def: $vgpr3
	s_or_saveexec_b64 s[6:7], s[6:7]
	v_mov_b32_e32 v2, s10
	s_xor_b64 exec, exec, s[6:7]
	s_cbranch_execz .LBB5_1746
.LBB5_3796:
	v_cmp_ne_u16_e32 vcc, 0, v3
	s_andn2_b64 s[4:5], s[4:5], exec
	s_and_b64 s[8:9], vcc, exec
	v_mov_b32_e32 v2, 0
	s_or_b64 s[4:5], s[4:5], s[8:9]
	s_or_b64 exec, exec, s[6:7]
	s_and_saveexec_b64 s[6:7], s[4:5]
	s_cbranch_execnz .LBB5_1747
	s_branch .LBB5_1748
.LBB5_3797:
	s_movk_i32 s4, 0x80
	v_cmp_eq_u16_e32 vcc, s4, v3
	s_mov_b64 s[4:5], -1
                                        ; implicit-def: $sgpr10
	s_and_saveexec_b64 s[8:9], vcc
; %bb.3798:
	s_mov_b32 s10, 0x7f800001
	s_xor_b64 s[4:5], exec, -1
; %bb.3799:
	s_or_b64 exec, exec, s[8:9]
	s_and_b64 s[4:5], s[4:5], exec
                                        ; implicit-def: $vgpr3
	s_or_saveexec_b64 s[6:7], s[6:7]
	v_mov_b32_e32 v6, s10
	s_xor_b64 exec, exec, s[6:7]
	s_cbranch_execz .LBB5_1750
.LBB5_3800:
	v_cmp_ne_u16_e32 vcc, 0, v3
	s_andn2_b64 s[4:5], s[4:5], exec
	s_and_b64 s[8:9], vcc, exec
	v_mov_b32_e32 v6, 0
	s_or_b64 s[4:5], s[4:5], s[8:9]
	s_or_b64 exec, exec, s[6:7]
	s_and_saveexec_b64 s[6:7], s[4:5]
	s_cbranch_execnz .LBB5_1751
	s_branch .LBB5_1752
.LBB5_3801:
	s_movk_i32 s4, 0x80
	v_cmp_eq_u16_sdwa s[12:13], v8, s4 src0_sel:BYTE_3 src1_sel:DWORD
	s_mov_b64 s[4:5], -1
                                        ; implicit-def: $sgpr10
	s_and_saveexec_b64 s[8:9], s[12:13]
; %bb.3802:
	s_mov_b32 s10, 0x7f800001
	s_xor_b64 s[4:5], exec, -1
; %bb.3803:
	s_or_b64 exec, exec, s[8:9]
	s_and_b64 s[4:5], s[4:5], exec
	s_or_saveexec_b64 s[6:7], s[6:7]
	v_mov_b32_e32 v2, s10
	s_xor_b64 exec, exec, s[6:7]
	s_cbranch_execz .LBB5_1754
.LBB5_3804:
	v_mov_b32_e32 v2, 0
	v_cmp_ne_u16_sdwa s[8:9], v8, v2 src0_sel:BYTE_3 src1_sel:DWORD
	s_andn2_b64 s[4:5], s[4:5], exec
	s_and_b64 s[8:9], s[8:9], exec
	s_or_b64 s[4:5], s[4:5], s[8:9]
	s_or_b64 exec, exec, s[6:7]
	s_and_saveexec_b64 s[6:7], s[4:5]
	s_cbranch_execnz .LBB5_1755
	s_branch .LBB5_1756
.LBB5_3805:
	s_movk_i32 s4, 0x80
	v_cmp_eq_u16_sdwa s[12:13], v4, s4 src0_sel:BYTE_3 src1_sel:DWORD
	s_mov_b64 s[4:5], -1
                                        ; implicit-def: $sgpr10
	s_and_saveexec_b64 s[8:9], s[12:13]
; %bb.3806:
	s_mov_b32 s10, 0x7f800001
	s_xor_b64 s[4:5], exec, -1
; %bb.3807:
	s_or_b64 exec, exec, s[8:9]
	s_and_b64 s[4:5], s[4:5], exec
	s_or_saveexec_b64 s[6:7], s[6:7]
	v_mov_b32_e32 v3, s10
	s_xor_b64 exec, exec, s[6:7]
	s_cbranch_execz .LBB5_1758
.LBB5_3808:
	v_mov_b32_e32 v3, 0
	v_cmp_ne_u16_sdwa s[8:9], v4, v3 src0_sel:BYTE_3 src1_sel:DWORD
	s_andn2_b64 s[4:5], s[4:5], exec
	s_and_b64 s[8:9], s[8:9], exec
	s_or_b64 s[4:5], s[4:5], s[8:9]
	s_or_b64 exec, exec, s[6:7]
	s_and_saveexec_b64 s[6:7], s[4:5]
	s_cbranch_execnz .LBB5_1759
	s_branch .LBB5_1760
.LBB5_3809:
	s_movk_i32 s4, 0x80
	v_cmp_eq_u16_sdwa s[12:13], v9, s4 src0_sel:BYTE_0 src1_sel:DWORD
	s_mov_b64 s[4:5], -1
                                        ; implicit-def: $sgpr10
	s_and_saveexec_b64 s[8:9], s[12:13]
; %bb.3810:
	s_mov_b32 s10, 0x7f800001
	s_xor_b64 s[4:5], exec, -1
; %bb.3811:
	s_or_b64 exec, exec, s[8:9]
	s_and_b64 s[4:5], s[4:5], exec
	s_or_saveexec_b64 s[6:7], s[6:7]
	v_mov_b32_e32 v2, s10
	s_xor_b64 exec, exec, s[6:7]
	s_cbranch_execz .LBB5_1762
.LBB5_3812:
	v_mov_b32_e32 v2, 0
	v_cmp_ne_u16_sdwa s[8:9], v9, v2 src0_sel:BYTE_0 src1_sel:DWORD
	s_andn2_b64 s[4:5], s[4:5], exec
	s_and_b64 s[8:9], s[8:9], exec
	s_or_b64 s[4:5], s[4:5], s[8:9]
	s_or_b64 exec, exec, s[6:7]
	s_and_saveexec_b64 s[6:7], s[4:5]
	s_cbranch_execnz .LBB5_1763
	s_branch .LBB5_1764
.LBB5_3813:
	s_movk_i32 s4, 0x80
	v_cmp_eq_u16_sdwa s[12:13], v5, s4 src0_sel:BYTE_0 src1_sel:DWORD
	s_mov_b64 s[4:5], -1
                                        ; implicit-def: $sgpr10
	s_and_saveexec_b64 s[8:9], s[12:13]
; %bb.3814:
	s_mov_b32 s10, 0x7f800001
	s_xor_b64 s[4:5], exec, -1
; %bb.3815:
	s_or_b64 exec, exec, s[8:9]
	s_and_b64 s[4:5], s[4:5], exec
	s_or_saveexec_b64 s[6:7], s[6:7]
	v_mov_b32_e32 v3, s10
	s_xor_b64 exec, exec, s[6:7]
	s_cbranch_execz .LBB5_1766
.LBB5_3816:
	v_mov_b32_e32 v3, 0
	v_cmp_ne_u16_sdwa s[8:9], v5, v3 src0_sel:BYTE_0 src1_sel:DWORD
	s_andn2_b64 s[4:5], s[4:5], exec
	s_and_b64 s[8:9], s[8:9], exec
	s_or_b64 s[4:5], s[4:5], s[8:9]
	s_or_b64 exec, exec, s[6:7]
	s_and_saveexec_b64 s[6:7], s[4:5]
	s_cbranch_execnz .LBB5_1767
	s_branch .LBB5_1768
.LBB5_3817:
	s_movk_i32 s4, 0x80
	v_cmp_eq_u16_sdwa s[12:13], v3, s4 src0_sel:BYTE_0 src1_sel:DWORD
	s_mov_b64 s[4:5], -1
                                        ; implicit-def: $sgpr10
	s_and_saveexec_b64 s[8:9], s[12:13]
; %bb.3818:
	s_mov_b32 s10, 0x7f800001
	s_xor_b64 s[4:5], exec, -1
; %bb.3819:
	s_or_b64 exec, exec, s[8:9]
	s_and_b64 s[4:5], s[4:5], exec
	s_or_saveexec_b64 s[6:7], s[6:7]
	v_mov_b32_e32 v2, s10
	s_xor_b64 exec, exec, s[6:7]
	s_cbranch_execz .LBB5_1770
.LBB5_3820:
	v_mov_b32_e32 v2, 0
	v_cmp_ne_u16_sdwa s[8:9], v3, v2 src0_sel:BYTE_0 src1_sel:DWORD
	s_andn2_b64 s[4:5], s[4:5], exec
	s_and_b64 s[8:9], s[8:9], exec
	s_or_b64 s[4:5], s[4:5], s[8:9]
	s_or_b64 exec, exec, s[6:7]
	s_and_saveexec_b64 s[6:7], s[4:5]
	s_cbranch_execnz .LBB5_1771
	s_branch .LBB5_1772
.LBB5_3821:
	s_movk_i32 s4, 0x80
	v_cmp_eq_u16_sdwa s[12:13], v3, s4 src0_sel:BYTE_0 src1_sel:DWORD
	s_mov_b64 s[4:5], -1
                                        ; implicit-def: $sgpr10
	s_and_saveexec_b64 s[8:9], s[12:13]
; %bb.3822:
	s_mov_b32 s10, 0x7f800001
	s_xor_b64 s[4:5], exec, -1
; %bb.3823:
	s_or_b64 exec, exec, s[8:9]
	s_and_b64 s[4:5], s[4:5], exec
	s_or_saveexec_b64 s[6:7], s[6:7]
	v_mov_b32_e32 v4, s10
	s_xor_b64 exec, exec, s[6:7]
	s_cbranch_execz .LBB5_1774
.LBB5_3824:
	v_mov_b32_e32 v4, 0
	v_cmp_ne_u16_sdwa s[8:9], v3, v4 src0_sel:BYTE_0 src1_sel:DWORD
	s_andn2_b64 s[4:5], s[4:5], exec
	s_and_b64 s[8:9], s[8:9], exec
	s_or_b64 s[4:5], s[4:5], s[8:9]
	s_or_b64 exec, exec, s[6:7]
	s_and_saveexec_b64 s[6:7], s[4:5]
	s_cbranch_execnz .LBB5_1775
	s_branch .LBB5_1776
.LBB5_3825:
	s_movk_i32 s4, 0x80
	v_cmp_eq_u16_e32 vcc, s4, v3
	s_mov_b64 s[4:5], -1
                                        ; implicit-def: $sgpr10
	s_and_saveexec_b64 s[8:9], vcc
; %bb.3826:
	s_mov_b32 s10, 0x7f800001
	s_xor_b64 s[4:5], exec, -1
; %bb.3827:
	s_or_b64 exec, exec, s[8:9]
	s_and_b64 s[4:5], s[4:5], exec
                                        ; implicit-def: $vgpr3
	s_or_saveexec_b64 s[6:7], s[6:7]
	v_mov_b32_e32 v2, s10
	s_xor_b64 exec, exec, s[6:7]
	s_cbranch_execz .LBB5_1778
.LBB5_3828:
	v_cmp_ne_u16_e32 vcc, 0, v3
	s_andn2_b64 s[4:5], s[4:5], exec
	s_and_b64 s[8:9], vcc, exec
	v_mov_b32_e32 v2, 0
	s_or_b64 s[4:5], s[4:5], s[8:9]
	s_or_b64 exec, exec, s[6:7]
	s_and_saveexec_b64 s[6:7], s[4:5]
	s_cbranch_execnz .LBB5_1779
	s_branch .LBB5_1780
.LBB5_3829:
	s_movk_i32 s4, 0x80
	v_cmp_eq_u16_e32 vcc, s4, v3
	s_mov_b64 s[4:5], -1
                                        ; implicit-def: $sgpr10
	s_and_saveexec_b64 s[8:9], vcc
; %bb.3830:
	s_mov_b32 s10, 0x7f800001
	s_xor_b64 s[4:5], exec, -1
; %bb.3831:
	s_or_b64 exec, exec, s[8:9]
	s_and_b64 s[4:5], s[4:5], exec
                                        ; implicit-def: $vgpr3
	s_or_saveexec_b64 s[6:7], s[6:7]
	v_mov_b32_e32 v4, s10
	s_xor_b64 exec, exec, s[6:7]
	s_cbranch_execz .LBB5_1782
.LBB5_3832:
	v_cmp_ne_u16_e32 vcc, 0, v3
	s_andn2_b64 s[4:5], s[4:5], exec
	s_and_b64 s[8:9], vcc, exec
	v_mov_b32_e32 v4, 0
	s_or_b64 s[4:5], s[4:5], s[8:9]
	s_or_b64 exec, exec, s[6:7]
	s_and_saveexec_b64 s[6:7], s[4:5]
	s_cbranch_execnz .LBB5_1783
	s_branch .LBB5_1784
.LBB5_3833:
	s_movk_i32 s4, 0x80
	v_cmp_eq_u16_sdwa s[12:13], v9, s4 src0_sel:BYTE_3 src1_sel:DWORD
	s_mov_b64 s[4:5], -1
                                        ; implicit-def: $sgpr10
	s_and_saveexec_b64 s[8:9], s[12:13]
; %bb.3834:
	s_mov_b32 s10, 0x7f800001
	s_xor_b64 s[4:5], exec, -1
; %bb.3835:
	s_or_b64 exec, exec, s[8:9]
	s_and_b64 s[4:5], s[4:5], exec
	s_or_saveexec_b64 s[6:7], s[6:7]
	v_mov_b32_e32 v2, s10
	s_xor_b64 exec, exec, s[6:7]
	s_cbranch_execz .LBB5_1786
.LBB5_3836:
	v_mov_b32_e32 v2, 0
	v_cmp_ne_u16_sdwa s[8:9], v9, v2 src0_sel:BYTE_3 src1_sel:DWORD
	s_andn2_b64 s[4:5], s[4:5], exec
	s_and_b64 s[8:9], s[8:9], exec
	s_or_b64 s[4:5], s[4:5], s[8:9]
	s_or_b64 exec, exec, s[6:7]
	s_and_saveexec_b64 s[6:7], s[4:5]
	s_cbranch_execnz .LBB5_1787
	s_branch .LBB5_1788
.LBB5_3837:
	s_movk_i32 s4, 0x80
	v_cmp_eq_u16_sdwa s[12:13], v5, s4 src0_sel:BYTE_3 src1_sel:DWORD
	s_mov_b64 s[4:5], -1
                                        ; implicit-def: $sgpr10
	s_and_saveexec_b64 s[8:9], s[12:13]
; %bb.3838:
	s_mov_b32 s10, 0x7f800001
	s_xor_b64 s[4:5], exec, -1
; %bb.3839:
	s_or_b64 exec, exec, s[8:9]
	s_and_b64 s[4:5], s[4:5], exec
	s_or_saveexec_b64 s[6:7], s[6:7]
	v_mov_b32_e32 v3, s10
	s_xor_b64 exec, exec, s[6:7]
	s_cbranch_execz .LBB5_1790
.LBB5_3840:
	v_mov_b32_e32 v3, 0
	v_cmp_ne_u16_sdwa s[8:9], v5, v3 src0_sel:BYTE_3 src1_sel:DWORD
	s_andn2_b64 s[4:5], s[4:5], exec
	s_and_b64 s[8:9], s[8:9], exec
	s_or_b64 s[4:5], s[4:5], s[8:9]
	s_or_b64 exec, exec, s[6:7]
	s_and_saveexec_b64 s[6:7], s[4:5]
	s_cbranch_execnz .LBB5_1791
	s_branch .LBB5_1792
.LBB5_3841:
	s_movk_i32 s4, 0x80
	v_cmp_eq_u16_sdwa s[12:13], v12, s4 src0_sel:BYTE_0 src1_sel:DWORD
	s_mov_b64 s[4:5], -1
                                        ; implicit-def: $sgpr10
	s_and_saveexec_b64 s[8:9], s[12:13]
; %bb.3842:
	s_mov_b32 s10, 0x7f800001
	s_xor_b64 s[4:5], exec, -1
; %bb.3843:
	s_or_b64 exec, exec, s[8:9]
	s_and_b64 s[4:5], s[4:5], exec
	s_or_saveexec_b64 s[6:7], s[6:7]
	v_mov_b32_e32 v18, s10
	s_xor_b64 exec, exec, s[6:7]
	s_cbranch_execz .LBB5_1794
.LBB5_3844:
	v_mov_b32_e32 v18, 0
	v_cmp_ne_u16_sdwa s[8:9], v12, v18 src0_sel:BYTE_0 src1_sel:DWORD
	s_andn2_b64 s[4:5], s[4:5], exec
	s_and_b64 s[8:9], s[8:9], exec
	s_or_b64 s[4:5], s[4:5], s[8:9]
	s_or_b64 exec, exec, s[6:7]
	s_and_saveexec_b64 s[6:7], s[4:5]
	s_cbranch_execnz .LBB5_1795
	s_branch .LBB5_1796
.LBB5_3845:
	s_movk_i32 s4, 0x80
	v_cmp_eq_u16_sdwa s[12:13], v8, s4 src0_sel:BYTE_0 src1_sel:DWORD
	s_mov_b64 s[4:5], -1
                                        ; implicit-def: $sgpr10
	s_and_saveexec_b64 s[8:9], s[12:13]
; %bb.3846:
	s_mov_b32 s10, 0x7f800001
	s_xor_b64 s[4:5], exec, -1
; %bb.3847:
	s_or_b64 exec, exec, s[8:9]
	s_and_b64 s[4:5], s[4:5], exec
	s_or_saveexec_b64 s[6:7], s[6:7]
	v_mov_b32_e32 v19, s10
	s_xor_b64 exec, exec, s[6:7]
	s_cbranch_execz .LBB5_1798
.LBB5_3848:
	v_mov_b32_e32 v19, 0
	v_cmp_ne_u16_sdwa s[8:9], v8, v19 src0_sel:BYTE_0 src1_sel:DWORD
	s_andn2_b64 s[4:5], s[4:5], exec
	s_and_b64 s[8:9], s[8:9], exec
	s_or_b64 s[4:5], s[4:5], s[8:9]
	s_or_b64 exec, exec, s[6:7]
	s_and_saveexec_b64 s[6:7], s[4:5]
	s_cbranch_execnz .LBB5_1799
	s_branch .LBB5_1800
.LBB5_3849:
	s_movk_i32 s4, 0x80
	v_cmp_eq_u16_sdwa s[12:13], v19, s4 src0_sel:BYTE_0 src1_sel:DWORD
	s_mov_b64 s[4:5], -1
                                        ; implicit-def: $sgpr10
	s_and_saveexec_b64 s[8:9], s[12:13]
; %bb.3850:
	s_mov_b32 s10, 0x7f800001
	s_xor_b64 s[4:5], exec, -1
; %bb.3851:
	s_or_b64 exec, exec, s[8:9]
	s_and_b64 s[4:5], s[4:5], exec
	s_or_saveexec_b64 s[6:7], s[6:7]
	v_mov_b32_e32 v18, s10
	s_xor_b64 exec, exec, s[6:7]
	s_cbranch_execz .LBB5_1802
.LBB5_3852:
	v_mov_b32_e32 v18, 0
	v_cmp_ne_u16_sdwa s[8:9], v19, v18 src0_sel:BYTE_0 src1_sel:DWORD
	s_andn2_b64 s[4:5], s[4:5], exec
	s_and_b64 s[8:9], s[8:9], exec
	s_or_b64 s[4:5], s[4:5], s[8:9]
	s_or_b64 exec, exec, s[6:7]
	s_and_saveexec_b64 s[6:7], s[4:5]
	s_cbranch_execnz .LBB5_1803
	s_branch .LBB5_1804
.LBB5_3853:
	s_movk_i32 s4, 0x80
	v_cmp_eq_u16_sdwa s[12:13], v19, s4 src0_sel:BYTE_0 src1_sel:DWORD
	s_mov_b64 s[4:5], -1
                                        ; implicit-def: $sgpr10
	s_and_saveexec_b64 s[8:9], s[12:13]
; %bb.3854:
	s_mov_b32 s10, 0x7f800001
	s_xor_b64 s[4:5], exec, -1
; %bb.3855:
	s_or_b64 exec, exec, s[8:9]
	s_and_b64 s[4:5], s[4:5], exec
	s_or_saveexec_b64 s[6:7], s[6:7]
	v_mov_b32_e32 v20, s10
	s_xor_b64 exec, exec, s[6:7]
	s_cbranch_execz .LBB5_1806
.LBB5_3856:
	v_mov_b32_e32 v20, 0
	v_cmp_ne_u16_sdwa s[8:9], v19, v20 src0_sel:BYTE_0 src1_sel:DWORD
	s_andn2_b64 s[4:5], s[4:5], exec
	s_and_b64 s[8:9], s[8:9], exec
	s_or_b64 s[4:5], s[4:5], s[8:9]
	s_or_b64 exec, exec, s[6:7]
	s_and_saveexec_b64 s[6:7], s[4:5]
	s_cbranch_execnz .LBB5_1807
	s_branch .LBB5_1808
.LBB5_3857:
	s_movk_i32 s4, 0x80
	v_cmp_eq_u16_e32 vcc, s4, v19
	s_mov_b64 s[4:5], -1
                                        ; implicit-def: $sgpr10
	s_and_saveexec_b64 s[8:9], vcc
; %bb.3858:
	s_mov_b32 s10, 0x7f800001
	s_xor_b64 s[4:5], exec, -1
; %bb.3859:
	s_or_b64 exec, exec, s[8:9]
	s_and_b64 s[4:5], s[4:5], exec
                                        ; implicit-def: $vgpr19
	s_or_saveexec_b64 s[6:7], s[6:7]
	v_mov_b32_e32 v18, s10
	s_xor_b64 exec, exec, s[6:7]
	s_cbranch_execz .LBB5_1810
.LBB5_3860:
	v_cmp_ne_u16_e32 vcc, 0, v19
	s_andn2_b64 s[4:5], s[4:5], exec
	s_and_b64 s[8:9], vcc, exec
	v_mov_b32_e32 v18, 0
	s_or_b64 s[4:5], s[4:5], s[8:9]
	s_or_b64 exec, exec, s[6:7]
	s_and_saveexec_b64 s[6:7], s[4:5]
	s_cbranch_execnz .LBB5_1811
	s_branch .LBB5_1812
.LBB5_3861:
	s_movk_i32 s4, 0x80
	v_cmp_eq_u16_e32 vcc, s4, v19
	s_mov_b64 s[4:5], -1
                                        ; implicit-def: $sgpr10
	s_and_saveexec_b64 s[8:9], vcc
; %bb.3862:
	s_mov_b32 s10, 0x7f800001
	s_xor_b64 s[4:5], exec, -1
; %bb.3863:
	s_or_b64 exec, exec, s[8:9]
	s_and_b64 s[4:5], s[4:5], exec
                                        ; implicit-def: $vgpr19
	s_or_saveexec_b64 s[6:7], s[6:7]
	v_mov_b32_e32 v20, s10
	s_xor_b64 exec, exec, s[6:7]
	s_cbranch_execz .LBB5_1814
.LBB5_3864:
	v_cmp_ne_u16_e32 vcc, 0, v19
	s_andn2_b64 s[4:5], s[4:5], exec
	s_and_b64 s[8:9], vcc, exec
	v_mov_b32_e32 v20, 0
	s_or_b64 s[4:5], s[4:5], s[8:9]
	s_or_b64 exec, exec, s[6:7]
	s_and_saveexec_b64 s[6:7], s[4:5]
	s_cbranch_execnz .LBB5_1815
	s_branch .LBB5_1816
.LBB5_3865:
	s_movk_i32 s4, 0x80
	v_cmp_eq_u16_sdwa s[12:13], v12, s4 src0_sel:BYTE_3 src1_sel:DWORD
	s_mov_b64 s[4:5], -1
                                        ; implicit-def: $sgpr10
	s_and_saveexec_b64 s[8:9], s[12:13]
; %bb.3866:
	s_mov_b32 s10, 0x7f800001
	s_xor_b64 s[4:5], exec, -1
; %bb.3867:
	s_or_b64 exec, exec, s[8:9]
	s_and_b64 s[4:5], s[4:5], exec
	s_or_saveexec_b64 s[6:7], s[6:7]
	v_mov_b32_e32 v18, s10
	s_xor_b64 exec, exec, s[6:7]
	s_cbranch_execz .LBB5_1818
.LBB5_3868:
	v_mov_b32_e32 v18, 0
	v_cmp_ne_u16_sdwa s[8:9], v12, v18 src0_sel:BYTE_3 src1_sel:DWORD
	s_andn2_b64 s[4:5], s[4:5], exec
	s_and_b64 s[8:9], s[8:9], exec
	s_or_b64 s[4:5], s[4:5], s[8:9]
	s_or_b64 exec, exec, s[6:7]
	s_and_saveexec_b64 s[6:7], s[4:5]
	s_cbranch_execnz .LBB5_1819
	s_branch .LBB5_1820
.LBB5_3869:
	s_movk_i32 s4, 0x80
	v_cmp_eq_u16_sdwa s[12:13], v8, s4 src0_sel:BYTE_3 src1_sel:DWORD
	s_mov_b64 s[4:5], -1
                                        ; implicit-def: $sgpr10
	s_and_saveexec_b64 s[8:9], s[12:13]
; %bb.3870:
	s_mov_b32 s10, 0x7f800001
	s_xor_b64 s[4:5], exec, -1
; %bb.3871:
	s_or_b64 exec, exec, s[8:9]
	s_and_b64 s[4:5], s[4:5], exec
	s_or_saveexec_b64 s[6:7], s[6:7]
	v_mov_b32_e32 v12, s10
	s_xor_b64 exec, exec, s[6:7]
	s_cbranch_execz .LBB5_1822
.LBB5_3872:
	v_mov_b32_e32 v12, 0
	v_cmp_ne_u16_sdwa s[8:9], v8, v12 src0_sel:BYTE_3 src1_sel:DWORD
	s_andn2_b64 s[4:5], s[4:5], exec
	s_and_b64 s[8:9], s[8:9], exec
	s_or_b64 s[4:5], s[4:5], s[8:9]
	s_or_b64 exec, exec, s[6:7]
	s_and_saveexec_b64 s[6:7], s[4:5]
	s_cbranch_execnz .LBB5_1823
	s_branch .LBB5_1824
.LBB5_3873:
	s_movk_i32 s4, 0x80
	v_cmp_eq_u16_sdwa s[12:13], v13, s4 src0_sel:BYTE_0 src1_sel:DWORD
	s_mov_b64 s[4:5], -1
                                        ; implicit-def: $sgpr10
	s_and_saveexec_b64 s[8:9], s[12:13]
; %bb.3874:
	s_mov_b32 s10, 0x7f800001
	s_xor_b64 s[4:5], exec, -1
; %bb.3875:
	s_or_b64 exec, exec, s[8:9]
	s_and_b64 s[4:5], s[4:5], exec
	s_or_saveexec_b64 s[6:7], s[6:7]
	v_mov_b32_e32 v8, s10
	s_xor_b64 exec, exec, s[6:7]
	s_cbranch_execz .LBB5_1826
.LBB5_3876:
	v_mov_b32_e32 v8, 0
	v_cmp_ne_u16_sdwa s[8:9], v13, v8 src0_sel:BYTE_0 src1_sel:DWORD
	s_andn2_b64 s[4:5], s[4:5], exec
	s_and_b64 s[8:9], s[8:9], exec
	s_or_b64 s[4:5], s[4:5], s[8:9]
	s_or_b64 exec, exec, s[6:7]
	s_and_saveexec_b64 s[6:7], s[4:5]
	s_cbranch_execnz .LBB5_1827
	s_branch .LBB5_1828
.LBB5_3877:
	s_movk_i32 s4, 0x80
	v_cmp_eq_u16_sdwa s[12:13], v9, s4 src0_sel:BYTE_0 src1_sel:DWORD
	s_mov_b64 s[4:5], -1
                                        ; implicit-def: $sgpr10
	s_and_saveexec_b64 s[8:9], s[12:13]
; %bb.3878:
	s_mov_b32 s10, 0x7f800001
	s_xor_b64 s[4:5], exec, -1
; %bb.3879:
	s_or_b64 exec, exec, s[8:9]
	s_and_b64 s[4:5], s[4:5], exec
	s_or_saveexec_b64 s[6:7], s[6:7]
	v_mov_b32_e32 v12, s10
	s_xor_b64 exec, exec, s[6:7]
	s_cbranch_execz .LBB5_1830
.LBB5_3880:
	v_mov_b32_e32 v12, 0
	v_cmp_ne_u16_sdwa s[8:9], v9, v12 src0_sel:BYTE_0 src1_sel:DWORD
	s_andn2_b64 s[4:5], s[4:5], exec
	s_and_b64 s[8:9], s[8:9], exec
	s_or_b64 s[4:5], s[4:5], s[8:9]
	s_or_b64 exec, exec, s[6:7]
	s_and_saveexec_b64 s[6:7], s[4:5]
	s_cbranch_execnz .LBB5_1831
	s_branch .LBB5_1832
.LBB5_3881:
	s_movk_i32 s4, 0x80
	v_cmp_eq_u16_sdwa s[12:13], v12, s4 src0_sel:BYTE_0 src1_sel:DWORD
	s_mov_b64 s[4:5], -1
                                        ; implicit-def: $sgpr10
	s_and_saveexec_b64 s[8:9], s[12:13]
; %bb.3882:
	s_mov_b32 s10, 0x7f800001
	s_xor_b64 s[4:5], exec, -1
; %bb.3883:
	s_or_b64 exec, exec, s[8:9]
	s_and_b64 s[4:5], s[4:5], exec
	s_or_saveexec_b64 s[6:7], s[6:7]
	v_mov_b32_e32 v8, s10
	s_xor_b64 exec, exec, s[6:7]
	s_cbranch_execz .LBB5_1834
.LBB5_3884:
	v_mov_b32_e32 v8, 0
	v_cmp_ne_u16_sdwa s[8:9], v12, v8 src0_sel:BYTE_0 src1_sel:DWORD
	s_andn2_b64 s[4:5], s[4:5], exec
	s_and_b64 s[8:9], s[8:9], exec
	s_or_b64 s[4:5], s[4:5], s[8:9]
	s_or_b64 exec, exec, s[6:7]
	s_and_saveexec_b64 s[6:7], s[4:5]
	s_cbranch_execnz .LBB5_1835
	s_branch .LBB5_1836
.LBB5_3885:
	s_movk_i32 s4, 0x80
	v_cmp_eq_u16_sdwa s[12:13], v12, s4 src0_sel:BYTE_0 src1_sel:DWORD
	s_mov_b64 s[4:5], -1
                                        ; implicit-def: $sgpr10
	s_and_saveexec_b64 s[8:9], s[12:13]
; %bb.3886:
	s_mov_b32 s10, 0x7f800001
	s_xor_b64 s[4:5], exec, -1
; %bb.3887:
	s_or_b64 exec, exec, s[8:9]
	s_and_b64 s[4:5], s[4:5], exec
	s_or_saveexec_b64 s[6:7], s[6:7]
	v_mov_b32_e32 v18, s10
	s_xor_b64 exec, exec, s[6:7]
	s_cbranch_execz .LBB5_1838
.LBB5_3888:
	v_mov_b32_e32 v18, 0
	v_cmp_ne_u16_sdwa s[8:9], v12, v18 src0_sel:BYTE_0 src1_sel:DWORD
	s_andn2_b64 s[4:5], s[4:5], exec
	s_and_b64 s[8:9], s[8:9], exec
	s_or_b64 s[4:5], s[4:5], s[8:9]
	s_or_b64 exec, exec, s[6:7]
	s_and_saveexec_b64 s[6:7], s[4:5]
	s_cbranch_execnz .LBB5_1839
	s_branch .LBB5_1840
.LBB5_3889:
	s_movk_i32 s4, 0x80
	v_cmp_eq_u16_e32 vcc, s4, v12
	s_mov_b64 s[4:5], -1
                                        ; implicit-def: $sgpr10
	s_and_saveexec_b64 s[8:9], vcc
; %bb.3890:
	s_mov_b32 s10, 0x7f800001
	s_xor_b64 s[4:5], exec, -1
; %bb.3891:
	s_or_b64 exec, exec, s[8:9]
	s_and_b64 s[4:5], s[4:5], exec
                                        ; implicit-def: $vgpr12
	s_or_saveexec_b64 s[6:7], s[6:7]
	v_mov_b32_e32 v8, s10
	s_xor_b64 exec, exec, s[6:7]
	s_cbranch_execz .LBB5_1842
.LBB5_3892:
	v_cmp_ne_u16_e32 vcc, 0, v12
	s_andn2_b64 s[4:5], s[4:5], exec
	s_and_b64 s[8:9], vcc, exec
	v_mov_b32_e32 v8, 0
	s_or_b64 s[4:5], s[4:5], s[8:9]
	s_or_b64 exec, exec, s[6:7]
	s_and_saveexec_b64 s[6:7], s[4:5]
	s_cbranch_execnz .LBB5_1843
	s_branch .LBB5_1844
.LBB5_3893:
	s_movk_i32 s4, 0x80
	v_cmp_eq_u16_e32 vcc, s4, v12
	s_mov_b64 s[4:5], -1
                                        ; implicit-def: $sgpr10
	s_and_saveexec_b64 s[8:9], vcc
; %bb.3894:
	s_mov_b32 s10, 0x7f800001
	s_xor_b64 s[4:5], exec, -1
; %bb.3895:
	s_or_b64 exec, exec, s[8:9]
	s_and_b64 s[4:5], s[4:5], exec
                                        ; implicit-def: $vgpr12
	s_or_saveexec_b64 s[6:7], s[6:7]
	v_mov_b32_e32 v18, s10
	s_xor_b64 exec, exec, s[6:7]
	s_cbranch_execz .LBB5_1846
.LBB5_3896:
	v_cmp_ne_u16_e32 vcc, 0, v12
	s_andn2_b64 s[4:5], s[4:5], exec
	s_and_b64 s[8:9], vcc, exec
	v_mov_b32_e32 v18, 0
	s_or_b64 s[4:5], s[4:5], s[8:9]
	s_or_b64 exec, exec, s[6:7]
	s_and_saveexec_b64 s[6:7], s[4:5]
	s_cbranch_execnz .LBB5_1847
	s_branch .LBB5_1848
.LBB5_3897:
	s_movk_i32 s4, 0x80
	v_cmp_eq_u16_sdwa s[12:13], v13, s4 src0_sel:BYTE_3 src1_sel:DWORD
	s_mov_b64 s[4:5], -1
                                        ; implicit-def: $sgpr10
	s_and_saveexec_b64 s[8:9], s[12:13]
; %bb.3898:
	s_mov_b32 s10, 0x7f800001
	s_xor_b64 s[4:5], exec, -1
; %bb.3899:
	s_or_b64 exec, exec, s[8:9]
	s_and_b64 s[4:5], s[4:5], exec
	s_or_saveexec_b64 s[6:7], s[6:7]
	v_mov_b32_e32 v8, s10
	s_xor_b64 exec, exec, s[6:7]
	s_cbranch_execz .LBB5_1850
.LBB5_3900:
	v_mov_b32_e32 v8, 0
	v_cmp_ne_u16_sdwa s[8:9], v13, v8 src0_sel:BYTE_3 src1_sel:DWORD
	s_andn2_b64 s[4:5], s[4:5], exec
	s_and_b64 s[8:9], s[8:9], exec
	s_or_b64 s[4:5], s[4:5], s[8:9]
	s_or_b64 exec, exec, s[6:7]
	s_and_saveexec_b64 s[6:7], s[4:5]
	s_cbranch_execnz .LBB5_1851
	s_branch .LBB5_1852
.LBB5_3901:
	s_movk_i32 s4, 0x80
	v_cmp_eq_u16_sdwa s[12:13], v9, s4 src0_sel:BYTE_3 src1_sel:DWORD
	s_mov_b64 s[4:5], -1
                                        ; implicit-def: $sgpr10
	s_and_saveexec_b64 s[8:9], s[12:13]
; %bb.3902:
	s_mov_b32 s10, 0x7f800001
	s_xor_b64 s[4:5], exec, -1
; %bb.3903:
	s_or_b64 exec, exec, s[8:9]
	s_and_b64 s[4:5], s[4:5], exec
	s_or_saveexec_b64 s[6:7], s[6:7]
	v_mov_b32_e32 v12, s10
	s_xor_b64 exec, exec, s[6:7]
	s_cbranch_execz .LBB5_1854
.LBB5_3904:
	v_mov_b32_e32 v12, 0
	v_cmp_ne_u16_sdwa s[8:9], v9, v12 src0_sel:BYTE_3 src1_sel:DWORD
	s_andn2_b64 s[4:5], s[4:5], exec
	s_and_b64 s[8:9], s[8:9], exec
	s_or_b64 s[4:5], s[4:5], s[8:9]
	s_or_b64 exec, exec, s[6:7]
	s_and_saveexec_b64 s[6:7], s[4:5]
	s_cbranch_execnz .LBB5_1855
	s_branch .LBB5_1856
.LBB5_3905:
	s_movk_i32 s4, 0x80
	v_cmp_eq_u16_sdwa s[12:13], v14, s4 src0_sel:BYTE_0 src1_sel:DWORD
	s_mov_b64 s[4:5], -1
                                        ; implicit-def: $sgpr10
	s_and_saveexec_b64 s[8:9], s[12:13]
; %bb.3906:
	s_mov_b32 s10, 0x7f800001
	s_xor_b64 s[4:5], exec, -1
; %bb.3907:
	s_or_b64 exec, exec, s[8:9]
	s_and_b64 s[4:5], s[4:5], exec
	s_or_saveexec_b64 s[6:7], s[6:7]
	v_mov_b32_e32 v8, s10
	s_xor_b64 exec, exec, s[6:7]
	s_cbranch_execz .LBB5_1858
.LBB5_3908:
	v_mov_b32_e32 v8, 0
	v_cmp_ne_u16_sdwa s[8:9], v14, v8 src0_sel:BYTE_0 src1_sel:DWORD
	s_andn2_b64 s[4:5], s[4:5], exec
	s_and_b64 s[8:9], s[8:9], exec
	s_or_b64 s[4:5], s[4:5], s[8:9]
	s_or_b64 exec, exec, s[6:7]
	s_and_saveexec_b64 s[6:7], s[4:5]
	s_cbranch_execnz .LBB5_1859
	s_branch .LBB5_1860
.LBB5_3909:
	s_movk_i32 s4, 0x80
	v_cmp_eq_u16_sdwa s[12:13], v10, s4 src0_sel:BYTE_0 src1_sel:DWORD
	s_mov_b64 s[4:5], -1
                                        ; implicit-def: $sgpr10
	s_and_saveexec_b64 s[8:9], s[12:13]
; %bb.3910:
	s_mov_b32 s10, 0x7f800001
	s_xor_b64 s[4:5], exec, -1
; %bb.3911:
	s_or_b64 exec, exec, s[8:9]
	s_and_b64 s[4:5], s[4:5], exec
	s_or_saveexec_b64 s[6:7], s[6:7]
	v_mov_b32_e32 v9, s10
	s_xor_b64 exec, exec, s[6:7]
	s_cbranch_execz .LBB5_1862
.LBB5_3912:
	v_mov_b32_e32 v9, 0
	v_cmp_ne_u16_sdwa s[8:9], v10, v9 src0_sel:BYTE_0 src1_sel:DWORD
	s_andn2_b64 s[4:5], s[4:5], exec
	s_and_b64 s[8:9], s[8:9], exec
	s_or_b64 s[4:5], s[4:5], s[8:9]
	s_or_b64 exec, exec, s[6:7]
	s_and_saveexec_b64 s[6:7], s[4:5]
	s_cbranch_execnz .LBB5_1863
	s_branch .LBB5_1864
.LBB5_3913:
	s_movk_i32 s4, 0x80
	v_cmp_eq_u16_sdwa s[12:13], v9, s4 src0_sel:BYTE_0 src1_sel:DWORD
	s_mov_b64 s[4:5], -1
                                        ; implicit-def: $sgpr10
	s_and_saveexec_b64 s[8:9], s[12:13]
; %bb.3914:
	s_mov_b32 s10, 0x7f800001
	s_xor_b64 s[4:5], exec, -1
; %bb.3915:
	s_or_b64 exec, exec, s[8:9]
	s_and_b64 s[4:5], s[4:5], exec
	s_or_saveexec_b64 s[6:7], s[6:7]
	v_mov_b32_e32 v8, s10
	s_xor_b64 exec, exec, s[6:7]
	s_cbranch_execz .LBB5_1866
.LBB5_3916:
	v_mov_b32_e32 v8, 0
	v_cmp_ne_u16_sdwa s[8:9], v9, v8 src0_sel:BYTE_0 src1_sel:DWORD
	s_andn2_b64 s[4:5], s[4:5], exec
	s_and_b64 s[8:9], s[8:9], exec
	s_or_b64 s[4:5], s[4:5], s[8:9]
	s_or_b64 exec, exec, s[6:7]
	s_and_saveexec_b64 s[6:7], s[4:5]
	s_cbranch_execnz .LBB5_1867
	s_branch .LBB5_1868
.LBB5_3917:
	s_movk_i32 s4, 0x80
	v_cmp_eq_u16_sdwa s[12:13], v9, s4 src0_sel:BYTE_0 src1_sel:DWORD
	s_mov_b64 s[4:5], -1
                                        ; implicit-def: $sgpr10
	s_and_saveexec_b64 s[8:9], s[12:13]
; %bb.3918:
	s_mov_b32 s10, 0x7f800001
	s_xor_b64 s[4:5], exec, -1
; %bb.3919:
	s_or_b64 exec, exec, s[8:9]
	s_and_b64 s[4:5], s[4:5], exec
	s_or_saveexec_b64 s[6:7], s[6:7]
	v_mov_b32_e32 v12, s10
	s_xor_b64 exec, exec, s[6:7]
	s_cbranch_execz .LBB5_1870
.LBB5_3920:
	v_mov_b32_e32 v12, 0
	v_cmp_ne_u16_sdwa s[8:9], v9, v12 src0_sel:BYTE_0 src1_sel:DWORD
	s_andn2_b64 s[4:5], s[4:5], exec
	s_and_b64 s[8:9], s[8:9], exec
	s_or_b64 s[4:5], s[4:5], s[8:9]
	s_or_b64 exec, exec, s[6:7]
	s_and_saveexec_b64 s[6:7], s[4:5]
	s_cbranch_execnz .LBB5_1871
	s_branch .LBB5_1872
.LBB5_3921:
	s_movk_i32 s4, 0x80
	v_cmp_eq_u16_e32 vcc, s4, v9
	s_mov_b64 s[4:5], -1
                                        ; implicit-def: $sgpr10
	s_and_saveexec_b64 s[8:9], vcc
; %bb.3922:
	s_mov_b32 s10, 0x7f800001
	s_xor_b64 s[4:5], exec, -1
; %bb.3923:
	s_or_b64 exec, exec, s[8:9]
	s_and_b64 s[4:5], s[4:5], exec
                                        ; implicit-def: $vgpr9
	s_or_saveexec_b64 s[6:7], s[6:7]
	v_mov_b32_e32 v8, s10
	s_xor_b64 exec, exec, s[6:7]
	s_cbranch_execz .LBB5_1874
.LBB5_3924:
	v_cmp_ne_u16_e32 vcc, 0, v9
	s_andn2_b64 s[4:5], s[4:5], exec
	s_and_b64 s[8:9], vcc, exec
	v_mov_b32_e32 v8, 0
	s_or_b64 s[4:5], s[4:5], s[8:9]
	s_or_b64 exec, exec, s[6:7]
	s_and_saveexec_b64 s[6:7], s[4:5]
	s_cbranch_execnz .LBB5_1875
	s_branch .LBB5_1876
.LBB5_3925:
	s_movk_i32 s4, 0x80
	v_cmp_eq_u16_e32 vcc, s4, v9
	s_mov_b64 s[4:5], -1
                                        ; implicit-def: $sgpr10
	s_and_saveexec_b64 s[8:9], vcc
; %bb.3926:
	s_mov_b32 s10, 0x7f800001
	s_xor_b64 s[4:5], exec, -1
; %bb.3927:
	s_or_b64 exec, exec, s[8:9]
	s_and_b64 s[4:5], s[4:5], exec
                                        ; implicit-def: $vgpr9
	s_or_saveexec_b64 s[6:7], s[6:7]
	v_mov_b32_e32 v12, s10
	s_xor_b64 exec, exec, s[6:7]
	s_cbranch_execz .LBB5_1878
.LBB5_3928:
	v_cmp_ne_u16_e32 vcc, 0, v9
	s_andn2_b64 s[4:5], s[4:5], exec
	s_and_b64 s[8:9], vcc, exec
	v_mov_b32_e32 v12, 0
	s_or_b64 s[4:5], s[4:5], s[8:9]
	s_or_b64 exec, exec, s[6:7]
	s_and_saveexec_b64 s[6:7], s[4:5]
	s_cbranch_execnz .LBB5_1879
	s_branch .LBB5_1880
.LBB5_3929:
	s_movk_i32 s4, 0x80
	v_cmp_eq_u16_sdwa s[12:13], v14, s4 src0_sel:BYTE_3 src1_sel:DWORD
	s_mov_b64 s[4:5], -1
                                        ; implicit-def: $sgpr10
	s_and_saveexec_b64 s[8:9], s[12:13]
; %bb.3930:
	s_mov_b32 s10, 0x7f800001
	s_xor_b64 s[4:5], exec, -1
; %bb.3931:
	s_or_b64 exec, exec, s[8:9]
	s_and_b64 s[4:5], s[4:5], exec
	s_or_saveexec_b64 s[6:7], s[6:7]
	v_mov_b32_e32 v8, s10
	s_xor_b64 exec, exec, s[6:7]
	s_cbranch_execz .LBB5_1882
.LBB5_3932:
	v_mov_b32_e32 v8, 0
	v_cmp_ne_u16_sdwa s[8:9], v14, v8 src0_sel:BYTE_3 src1_sel:DWORD
	s_andn2_b64 s[4:5], s[4:5], exec
	s_and_b64 s[8:9], s[8:9], exec
	s_or_b64 s[4:5], s[4:5], s[8:9]
	s_or_b64 exec, exec, s[6:7]
	s_and_saveexec_b64 s[6:7], s[4:5]
	s_cbranch_execnz .LBB5_1883
	s_branch .LBB5_1884
.LBB5_3933:
	s_movk_i32 s4, 0x80
	v_cmp_eq_u16_sdwa s[12:13], v10, s4 src0_sel:BYTE_3 src1_sel:DWORD
	s_mov_b64 s[4:5], -1
                                        ; implicit-def: $sgpr10
	s_and_saveexec_b64 s[8:9], s[12:13]
; %bb.3934:
	s_mov_b32 s10, 0x7f800001
	s_xor_b64 s[4:5], exec, -1
; %bb.3935:
	s_or_b64 exec, exec, s[8:9]
	s_and_b64 s[4:5], s[4:5], exec
	s_or_saveexec_b64 s[6:7], s[6:7]
	v_mov_b32_e32 v9, s10
	s_xor_b64 exec, exec, s[6:7]
	s_cbranch_execz .LBB5_1886
.LBB5_3936:
	v_mov_b32_e32 v9, 0
	v_cmp_ne_u16_sdwa s[8:9], v10, v9 src0_sel:BYTE_3 src1_sel:DWORD
	s_andn2_b64 s[4:5], s[4:5], exec
	s_and_b64 s[8:9], s[8:9], exec
	s_or_b64 s[4:5], s[4:5], s[8:9]
	s_or_b64 exec, exec, s[6:7]
	s_and_saveexec_b64 s[6:7], s[4:5]
	s_cbranch_execnz .LBB5_1887
	s_branch .LBB5_1888
.LBB5_3937:
	s_movk_i32 s4, 0x80
	v_cmp_eq_u16_sdwa s[12:13], v15, s4 src0_sel:BYTE_0 src1_sel:DWORD
	s_mov_b64 s[4:5], -1
                                        ; implicit-def: $sgpr10
	s_and_saveexec_b64 s[8:9], s[12:13]
; %bb.3938:
	s_mov_b32 s10, 0x7f800001
	s_xor_b64 s[4:5], exec, -1
; %bb.3939:
	s_or_b64 exec, exec, s[8:9]
	s_and_b64 s[4:5], s[4:5], exec
	s_or_saveexec_b64 s[6:7], s[6:7]
	v_mov_b32_e32 v8, s10
	s_xor_b64 exec, exec, s[6:7]
	s_cbranch_execz .LBB5_1890
.LBB5_3940:
	v_mov_b32_e32 v8, 0
	v_cmp_ne_u16_sdwa s[8:9], v15, v8 src0_sel:BYTE_0 src1_sel:DWORD
	s_andn2_b64 s[4:5], s[4:5], exec
	s_and_b64 s[8:9], s[8:9], exec
	s_or_b64 s[4:5], s[4:5], s[8:9]
	s_or_b64 exec, exec, s[6:7]
	s_and_saveexec_b64 s[6:7], s[4:5]
	s_cbranch_execnz .LBB5_1891
	s_branch .LBB5_1892
.LBB5_3941:
	s_movk_i32 s4, 0x80
	v_cmp_eq_u16_sdwa s[12:13], v11, s4 src0_sel:BYTE_0 src1_sel:DWORD
	s_mov_b64 s[4:5], -1
                                        ; implicit-def: $sgpr10
	s_and_saveexec_b64 s[8:9], s[12:13]
; %bb.3942:
	s_mov_b32 s10, 0x7f800001
	s_xor_b64 s[4:5], exec, -1
; %bb.3943:
	s_or_b64 exec, exec, s[8:9]
	s_and_b64 s[4:5], s[4:5], exec
	s_or_saveexec_b64 s[6:7], s[6:7]
	v_mov_b32_e32 v9, s10
	s_xor_b64 exec, exec, s[6:7]
	s_cbranch_execz .LBB5_1894
.LBB5_3944:
	v_mov_b32_e32 v9, 0
	v_cmp_ne_u16_sdwa s[8:9], v11, v9 src0_sel:BYTE_0 src1_sel:DWORD
	s_andn2_b64 s[4:5], s[4:5], exec
	s_and_b64 s[8:9], s[8:9], exec
	s_or_b64 s[4:5], s[4:5], s[8:9]
	s_or_b64 exec, exec, s[6:7]
	s_and_saveexec_b64 s[6:7], s[4:5]
	s_cbranch_execnz .LBB5_1895
	s_branch .LBB5_1896
.LBB5_3945:
	s_movk_i32 s4, 0x80
	v_cmp_eq_u16_sdwa s[12:13], v9, s4 src0_sel:BYTE_0 src1_sel:DWORD
	s_mov_b64 s[4:5], -1
                                        ; implicit-def: $sgpr10
	s_and_saveexec_b64 s[8:9], s[12:13]
; %bb.3946:
	s_mov_b32 s10, 0x7f800001
	s_xor_b64 s[4:5], exec, -1
; %bb.3947:
	s_or_b64 exec, exec, s[8:9]
	s_and_b64 s[4:5], s[4:5], exec
	s_or_saveexec_b64 s[6:7], s[6:7]
	v_mov_b32_e32 v8, s10
	s_xor_b64 exec, exec, s[6:7]
	s_cbranch_execz .LBB5_1898
.LBB5_3948:
	v_mov_b32_e32 v8, 0
	v_cmp_ne_u16_sdwa s[8:9], v9, v8 src0_sel:BYTE_0 src1_sel:DWORD
	s_andn2_b64 s[4:5], s[4:5], exec
	s_and_b64 s[8:9], s[8:9], exec
	s_or_b64 s[4:5], s[4:5], s[8:9]
	s_or_b64 exec, exec, s[6:7]
	s_and_saveexec_b64 s[6:7], s[4:5]
	s_cbranch_execnz .LBB5_1899
	s_branch .LBB5_1900
.LBB5_3949:
	s_movk_i32 s4, 0x80
	v_cmp_eq_u16_sdwa s[12:13], v9, s4 src0_sel:BYTE_0 src1_sel:DWORD
	s_mov_b64 s[4:5], -1
                                        ; implicit-def: $sgpr10
	s_and_saveexec_b64 s[8:9], s[12:13]
; %bb.3950:
	s_mov_b32 s10, 0x7f800001
	s_xor_b64 s[4:5], exec, -1
; %bb.3951:
	s_or_b64 exec, exec, s[8:9]
	s_and_b64 s[4:5], s[4:5], exec
	s_or_saveexec_b64 s[6:7], s[6:7]
	v_mov_b32_e32 v10, s10
	s_xor_b64 exec, exec, s[6:7]
	s_cbranch_execz .LBB5_1902
.LBB5_3952:
	v_mov_b32_e32 v10, 0
	v_cmp_ne_u16_sdwa s[8:9], v9, v10 src0_sel:BYTE_0 src1_sel:DWORD
	s_andn2_b64 s[4:5], s[4:5], exec
	s_and_b64 s[8:9], s[8:9], exec
	s_or_b64 s[4:5], s[4:5], s[8:9]
	s_or_b64 exec, exec, s[6:7]
	s_and_saveexec_b64 s[6:7], s[4:5]
	s_cbranch_execnz .LBB5_1903
	s_branch .LBB5_1904
.LBB5_3953:
	s_movk_i32 s4, 0x80
	v_cmp_eq_u16_e32 vcc, s4, v9
	s_mov_b64 s[4:5], -1
                                        ; implicit-def: $sgpr10
	s_and_saveexec_b64 s[8:9], vcc
; %bb.3954:
	s_mov_b32 s10, 0x7f800001
	s_xor_b64 s[4:5], exec, -1
; %bb.3955:
	s_or_b64 exec, exec, s[8:9]
	s_and_b64 s[4:5], s[4:5], exec
                                        ; implicit-def: $vgpr9
	s_or_saveexec_b64 s[6:7], s[6:7]
	v_mov_b32_e32 v8, s10
	s_xor_b64 exec, exec, s[6:7]
	s_cbranch_execz .LBB5_1906
.LBB5_3956:
	v_cmp_ne_u16_e32 vcc, 0, v9
	s_andn2_b64 s[4:5], s[4:5], exec
	s_and_b64 s[8:9], vcc, exec
	v_mov_b32_e32 v8, 0
	s_or_b64 s[4:5], s[4:5], s[8:9]
	s_or_b64 exec, exec, s[6:7]
	s_and_saveexec_b64 s[6:7], s[4:5]
	s_cbranch_execnz .LBB5_1907
	s_branch .LBB5_1908
.LBB5_3957:
	s_movk_i32 s4, 0x80
	v_cmp_eq_u16_e32 vcc, s4, v9
	s_mov_b64 s[4:5], -1
                                        ; implicit-def: $sgpr10
	s_and_saveexec_b64 s[8:9], vcc
; %bb.3958:
	s_mov_b32 s10, 0x7f800001
	s_xor_b64 s[4:5], exec, -1
; %bb.3959:
	s_or_b64 exec, exec, s[8:9]
	s_and_b64 s[4:5], s[4:5], exec
                                        ; implicit-def: $vgpr9
	s_or_saveexec_b64 s[6:7], s[6:7]
	v_mov_b32_e32 v10, s10
	s_xor_b64 exec, exec, s[6:7]
	s_cbranch_execz .LBB5_1910
.LBB5_3960:
	v_cmp_ne_u16_e32 vcc, 0, v9
	s_andn2_b64 s[4:5], s[4:5], exec
	s_and_b64 s[8:9], vcc, exec
	v_mov_b32_e32 v10, 0
	s_or_b64 s[4:5], s[4:5], s[8:9]
	s_or_b64 exec, exec, s[6:7]
	s_and_saveexec_b64 s[6:7], s[4:5]
	s_cbranch_execnz .LBB5_1911
	s_branch .LBB5_1912
.LBB5_3961:
	s_movk_i32 s4, 0x80
	v_cmp_eq_u16_sdwa s[12:13], v15, s4 src0_sel:BYTE_3 src1_sel:DWORD
	s_mov_b64 s[4:5], -1
                                        ; implicit-def: $sgpr10
	s_and_saveexec_b64 s[8:9], s[12:13]
; %bb.3962:
	s_mov_b32 s10, 0x7f800001
	s_xor_b64 s[4:5], exec, -1
; %bb.3963:
	s_or_b64 exec, exec, s[8:9]
	s_and_b64 s[4:5], s[4:5], exec
	s_or_saveexec_b64 s[6:7], s[6:7]
	v_mov_b32_e32 v8, s10
	s_xor_b64 exec, exec, s[6:7]
	s_cbranch_execz .LBB5_1914
.LBB5_3964:
	v_mov_b32_e32 v8, 0
	v_cmp_ne_u16_sdwa s[8:9], v15, v8 src0_sel:BYTE_3 src1_sel:DWORD
	s_andn2_b64 s[4:5], s[4:5], exec
	s_and_b64 s[8:9], s[8:9], exec
	s_or_b64 s[4:5], s[4:5], s[8:9]
	s_or_b64 exec, exec, s[6:7]
	s_and_saveexec_b64 s[6:7], s[4:5]
	s_cbranch_execnz .LBB5_1915
	s_branch .LBB5_1916
.LBB5_3965:
	s_movk_i32 s4, 0x80
	v_cmp_eq_u16_sdwa s[12:13], v11, s4 src0_sel:BYTE_3 src1_sel:DWORD
	s_mov_b64 s[4:5], -1
                                        ; implicit-def: $sgpr10
	s_and_saveexec_b64 s[8:9], s[12:13]
; %bb.3966:
	s_mov_b32 s10, 0x7f800001
	s_xor_b64 s[4:5], exec, -1
; %bb.3967:
	s_or_b64 exec, exec, s[8:9]
	s_and_b64 s[4:5], s[4:5], exec
	s_or_saveexec_b64 s[6:7], s[6:7]
	v_mov_b32_e32 v9, s10
	s_xor_b64 exec, exec, s[6:7]
	s_cbranch_execz .LBB5_1918
.LBB5_3968:
	v_mov_b32_e32 v9, 0
	v_cmp_ne_u16_sdwa s[8:9], v11, v9 src0_sel:BYTE_3 src1_sel:DWORD
	s_andn2_b64 s[4:5], s[4:5], exec
	s_and_b64 s[8:9], s[8:9], exec
	s_or_b64 s[4:5], s[4:5], s[8:9]
	s_or_b64 exec, exec, s[6:7]
	s_and_saveexec_b64 s[6:7], s[4:5]
	s_cbranch_execnz .LBB5_1919
	s_branch .LBB5_1920
.LBB5_3969:
	s_movk_i32 s4, 0x80
	v_cmp_eq_u16_sdwa s[12:13], v4, s4 src0_sel:BYTE_0 src1_sel:DWORD
	s_mov_b64 s[4:5], -1
                                        ; implicit-def: $sgpr10
	s_and_saveexec_b64 s[8:9], s[12:13]
; %bb.3970:
	s_mov_b32 s10, 0x7f800001
	s_xor_b64 s[4:5], exec, -1
; %bb.3971:
	s_or_b64 exec, exec, s[8:9]
	s_and_b64 s[4:5], s[4:5], exec
	s_or_saveexec_b64 s[6:7], s[6:7]
	v_mov_b32_e32 v8, s10
	s_xor_b64 exec, exec, s[6:7]
	s_cbranch_execz .LBB5_1922
.LBB5_3972:
	v_mov_b32_e32 v8, 0
	v_cmp_ne_u16_sdwa s[8:9], v4, v8 src0_sel:BYTE_0 src1_sel:DWORD
	s_andn2_b64 s[4:5], s[4:5], exec
	s_and_b64 s[8:9], s[8:9], exec
	s_or_b64 s[4:5], s[4:5], s[8:9]
	s_or_b64 exec, exec, s[6:7]
	s_and_saveexec_b64 s[6:7], s[4:5]
	s_cbranch_execnz .LBB5_1923
	s_branch .LBB5_1924
.LBB5_3973:
	s_movk_i32 s4, 0x80
	v_cmp_eq_u16_sdwa s[12:13], v0, s4 src0_sel:BYTE_0 src1_sel:DWORD
	s_mov_b64 s[4:5], -1
                                        ; implicit-def: $sgpr10
	s_and_saveexec_b64 s[8:9], s[12:13]
; %bb.3974:
	s_mov_b32 s10, 0x7f800001
	s_xor_b64 s[4:5], exec, -1
; %bb.3975:
	s_or_b64 exec, exec, s[8:9]
	s_and_b64 s[4:5], s[4:5], exec
	s_or_saveexec_b64 s[6:7], s[6:7]
	v_mov_b32_e32 v9, s10
	s_xor_b64 exec, exec, s[6:7]
	s_cbranch_execz .LBB5_1926
.LBB5_3976:
	v_mov_b32_e32 v9, 0
	v_cmp_ne_u16_sdwa s[8:9], v0, v9 src0_sel:BYTE_0 src1_sel:DWORD
	s_andn2_b64 s[4:5], s[4:5], exec
	s_and_b64 s[8:9], s[8:9], exec
	s_or_b64 s[4:5], s[4:5], s[8:9]
	s_or_b64 exec, exec, s[6:7]
	s_and_saveexec_b64 s[6:7], s[4:5]
	s_cbranch_execnz .LBB5_1927
	s_branch .LBB5_1928
.LBB5_3977:
	s_movk_i32 s4, 0x80
	v_cmp_eq_u16_sdwa s[12:13], v9, s4 src0_sel:BYTE_0 src1_sel:DWORD
	s_mov_b64 s[4:5], -1
                                        ; implicit-def: $sgpr10
	s_and_saveexec_b64 s[8:9], s[12:13]
; %bb.3978:
	s_mov_b32 s10, 0x7f800001
	s_xor_b64 s[4:5], exec, -1
; %bb.3979:
	s_or_b64 exec, exec, s[8:9]
	s_and_b64 s[4:5], s[4:5], exec
	s_or_saveexec_b64 s[6:7], s[6:7]
	v_mov_b32_e32 v8, s10
	s_xor_b64 exec, exec, s[6:7]
	s_cbranch_execz .LBB5_1930
.LBB5_3980:
	v_mov_b32_e32 v8, 0
	v_cmp_ne_u16_sdwa s[8:9], v9, v8 src0_sel:BYTE_0 src1_sel:DWORD
	s_andn2_b64 s[4:5], s[4:5], exec
	s_and_b64 s[8:9], s[8:9], exec
	s_or_b64 s[4:5], s[4:5], s[8:9]
	s_or_b64 exec, exec, s[6:7]
	s_and_saveexec_b64 s[6:7], s[4:5]
	s_cbranch_execnz .LBB5_1931
	s_branch .LBB5_1932
.LBB5_3981:
	s_movk_i32 s4, 0x80
	v_cmp_eq_u16_sdwa s[12:13], v9, s4 src0_sel:BYTE_0 src1_sel:DWORD
	s_mov_b64 s[4:5], -1
                                        ; implicit-def: $sgpr10
	s_and_saveexec_b64 s[8:9], s[12:13]
; %bb.3982:
	s_mov_b32 s10, 0x7f800001
	s_xor_b64 s[4:5], exec, -1
; %bb.3983:
	s_or_b64 exec, exec, s[8:9]
	s_and_b64 s[4:5], s[4:5], exec
	s_or_saveexec_b64 s[6:7], s[6:7]
	v_mov_b32_e32 v10, s10
	s_xor_b64 exec, exec, s[6:7]
	s_cbranch_execz .LBB5_1934
.LBB5_3984:
	v_mov_b32_e32 v10, 0
	v_cmp_ne_u16_sdwa s[8:9], v9, v10 src0_sel:BYTE_0 src1_sel:DWORD
	s_andn2_b64 s[4:5], s[4:5], exec
	s_and_b64 s[8:9], s[8:9], exec
	s_or_b64 s[4:5], s[4:5], s[8:9]
	s_or_b64 exec, exec, s[6:7]
	s_and_saveexec_b64 s[6:7], s[4:5]
	s_cbranch_execnz .LBB5_1935
	s_branch .LBB5_1936
.LBB5_3985:
	s_movk_i32 s4, 0x80
	v_cmp_eq_u16_e32 vcc, s4, v9
	s_mov_b64 s[4:5], -1
                                        ; implicit-def: $sgpr10
	s_and_saveexec_b64 s[8:9], vcc
; %bb.3986:
	s_mov_b32 s10, 0x7f800001
	s_xor_b64 s[4:5], exec, -1
; %bb.3987:
	s_or_b64 exec, exec, s[8:9]
	s_and_b64 s[4:5], s[4:5], exec
                                        ; implicit-def: $vgpr9
	s_or_saveexec_b64 s[6:7], s[6:7]
	v_mov_b32_e32 v8, s10
	s_xor_b64 exec, exec, s[6:7]
	s_cbranch_execz .LBB5_1938
.LBB5_3988:
	v_cmp_ne_u16_e32 vcc, 0, v9
	s_andn2_b64 s[4:5], s[4:5], exec
	s_and_b64 s[8:9], vcc, exec
	v_mov_b32_e32 v8, 0
	s_or_b64 s[4:5], s[4:5], s[8:9]
	s_or_b64 exec, exec, s[6:7]
	s_and_saveexec_b64 s[6:7], s[4:5]
	s_cbranch_execnz .LBB5_1939
	s_branch .LBB5_1940
.LBB5_3989:
	s_movk_i32 s4, 0x80
	v_cmp_eq_u16_e32 vcc, s4, v9
	s_mov_b64 s[4:5], -1
                                        ; implicit-def: $sgpr10
	s_and_saveexec_b64 s[8:9], vcc
; %bb.3990:
	s_mov_b32 s10, 0x7f800001
	s_xor_b64 s[4:5], exec, -1
; %bb.3991:
	s_or_b64 exec, exec, s[8:9]
	s_and_b64 s[4:5], s[4:5], exec
                                        ; implicit-def: $vgpr9
	s_or_saveexec_b64 s[6:7], s[6:7]
	v_mov_b32_e32 v10, s10
	s_xor_b64 exec, exec, s[6:7]
	s_cbranch_execz .LBB5_1942
.LBB5_3992:
	v_cmp_ne_u16_e32 vcc, 0, v9
	s_andn2_b64 s[4:5], s[4:5], exec
	s_and_b64 s[8:9], vcc, exec
	v_mov_b32_e32 v10, 0
	s_or_b64 s[4:5], s[4:5], s[8:9]
	s_or_b64 exec, exec, s[6:7]
	s_and_saveexec_b64 s[6:7], s[4:5]
	s_cbranch_execnz .LBB5_1943
	s_branch .LBB5_1944
.LBB5_3993:
	s_movk_i32 s4, 0x80
	v_cmp_eq_u16_sdwa s[12:13], v4, s4 src0_sel:BYTE_3 src1_sel:DWORD
	s_mov_b64 s[4:5], -1
                                        ; implicit-def: $sgpr10
	s_and_saveexec_b64 s[8:9], s[12:13]
; %bb.3994:
	s_mov_b32 s10, 0x7f800001
	s_xor_b64 s[4:5], exec, -1
; %bb.3995:
	s_or_b64 exec, exec, s[8:9]
	s_and_b64 s[4:5], s[4:5], exec
	s_or_saveexec_b64 s[6:7], s[6:7]
	v_mov_b32_e32 v8, s10
	s_xor_b64 exec, exec, s[6:7]
	s_cbranch_execz .LBB5_1946
.LBB5_3996:
	v_mov_b32_e32 v8, 0
	v_cmp_ne_u16_sdwa s[8:9], v4, v8 src0_sel:BYTE_3 src1_sel:DWORD
	s_andn2_b64 s[4:5], s[4:5], exec
	s_and_b64 s[8:9], s[8:9], exec
	s_or_b64 s[4:5], s[4:5], s[8:9]
	s_or_b64 exec, exec, s[6:7]
	s_and_saveexec_b64 s[6:7], s[4:5]
	s_cbranch_execnz .LBB5_1947
	s_branch .LBB5_1948
.LBB5_3997:
	s_movk_i32 s4, 0x80
	v_cmp_eq_u16_sdwa s[12:13], v0, s4 src0_sel:BYTE_3 src1_sel:DWORD
	s_mov_b64 s[4:5], -1
                                        ; implicit-def: $sgpr10
	s_and_saveexec_b64 s[8:9], s[12:13]
; %bb.3998:
	s_mov_b32 s10, 0x7f800001
	s_xor_b64 s[4:5], exec, -1
; %bb.3999:
	s_or_b64 exec, exec, s[8:9]
	s_and_b64 s[4:5], s[4:5], exec
	s_or_saveexec_b64 s[6:7], s[6:7]
	v_mov_b32_e32 v4, s10
	s_xor_b64 exec, exec, s[6:7]
	s_cbranch_execz .LBB5_1950
.LBB5_4000:
	v_mov_b32_e32 v4, 0
	v_cmp_ne_u16_sdwa s[8:9], v0, v4 src0_sel:BYTE_3 src1_sel:DWORD
	s_andn2_b64 s[4:5], s[4:5], exec
	s_and_b64 s[8:9], s[8:9], exec
	s_or_b64 s[4:5], s[4:5], s[8:9]
	s_or_b64 exec, exec, s[6:7]
	s_and_saveexec_b64 s[6:7], s[4:5]
	s_cbranch_execnz .LBB5_1951
	s_branch .LBB5_1952
.LBB5_4001:
	s_movk_i32 s4, 0x80
	v_cmp_eq_u16_sdwa s[12:13], v5, s4 src0_sel:BYTE_0 src1_sel:DWORD
	s_mov_b64 s[4:5], -1
                                        ; implicit-def: $sgpr10
	s_and_saveexec_b64 s[8:9], s[12:13]
; %bb.4002:
	s_mov_b32 s10, 0x7f800001
	s_xor_b64 s[4:5], exec, -1
; %bb.4003:
	s_or_b64 exec, exec, s[8:9]
	s_and_b64 s[4:5], s[4:5], exec
	s_or_saveexec_b64 s[6:7], s[6:7]
	v_mov_b32_e32 v0, s10
	s_xor_b64 exec, exec, s[6:7]
	s_cbranch_execz .LBB5_1954
.LBB5_4004:
	v_mov_b32_e32 v0, 0
	v_cmp_ne_u16_sdwa s[8:9], v5, v0 src0_sel:BYTE_0 src1_sel:DWORD
	s_andn2_b64 s[4:5], s[4:5], exec
	s_and_b64 s[8:9], s[8:9], exec
	s_or_b64 s[4:5], s[4:5], s[8:9]
	s_or_b64 exec, exec, s[6:7]
	s_and_saveexec_b64 s[6:7], s[4:5]
	s_cbranch_execnz .LBB5_1955
	s_branch .LBB5_1956
.LBB5_4005:
	s_movk_i32 s4, 0x80
	v_cmp_eq_u16_sdwa s[12:13], v1, s4 src0_sel:BYTE_0 src1_sel:DWORD
	s_mov_b64 s[4:5], -1
                                        ; implicit-def: $sgpr10
	s_and_saveexec_b64 s[8:9], s[12:13]
; %bb.4006:
	s_mov_b32 s10, 0x7f800001
	s_xor_b64 s[4:5], exec, -1
; %bb.4007:
	s_or_b64 exec, exec, s[8:9]
	s_and_b64 s[4:5], s[4:5], exec
	s_or_saveexec_b64 s[6:7], s[6:7]
	v_mov_b32_e32 v4, s10
	s_xor_b64 exec, exec, s[6:7]
	s_cbranch_execz .LBB5_1958
.LBB5_4008:
	v_mov_b32_e32 v4, 0
	v_cmp_ne_u16_sdwa s[8:9], v1, v4 src0_sel:BYTE_0 src1_sel:DWORD
	s_andn2_b64 s[4:5], s[4:5], exec
	s_and_b64 s[8:9], s[8:9], exec
	s_or_b64 s[4:5], s[4:5], s[8:9]
	s_or_b64 exec, exec, s[6:7]
	s_and_saveexec_b64 s[6:7], s[4:5]
	s_cbranch_execnz .LBB5_1959
	s_branch .LBB5_1960
.LBB5_4009:
	s_movk_i32 s4, 0x80
	v_cmp_eq_u16_sdwa s[12:13], v4, s4 src0_sel:BYTE_0 src1_sel:DWORD
	s_mov_b64 s[4:5], -1
                                        ; implicit-def: $sgpr10
	s_and_saveexec_b64 s[8:9], s[12:13]
; %bb.4010:
	s_mov_b32 s10, 0x7f800001
	s_xor_b64 s[4:5], exec, -1
; %bb.4011:
	s_or_b64 exec, exec, s[8:9]
	s_and_b64 s[4:5], s[4:5], exec
	s_or_saveexec_b64 s[6:7], s[6:7]
	v_mov_b32_e32 v0, s10
	s_xor_b64 exec, exec, s[6:7]
	s_cbranch_execz .LBB5_1962
.LBB5_4012:
	v_mov_b32_e32 v0, 0
	v_cmp_ne_u16_sdwa s[8:9], v4, v0 src0_sel:BYTE_0 src1_sel:DWORD
	s_andn2_b64 s[4:5], s[4:5], exec
	s_and_b64 s[8:9], s[8:9], exec
	s_or_b64 s[4:5], s[4:5], s[8:9]
	s_or_b64 exec, exec, s[6:7]
	s_and_saveexec_b64 s[6:7], s[4:5]
	s_cbranch_execnz .LBB5_1963
	s_branch .LBB5_1964
.LBB5_4013:
	s_movk_i32 s4, 0x80
	v_cmp_eq_u16_sdwa s[12:13], v4, s4 src0_sel:BYTE_0 src1_sel:DWORD
	s_mov_b64 s[4:5], -1
                                        ; implicit-def: $sgpr10
	s_and_saveexec_b64 s[8:9], s[12:13]
; %bb.4014:
	s_mov_b32 s10, 0x7f800001
	s_xor_b64 s[4:5], exec, -1
; %bb.4015:
	s_or_b64 exec, exec, s[8:9]
	s_and_b64 s[4:5], s[4:5], exec
	s_or_saveexec_b64 s[6:7], s[6:7]
	v_mov_b32_e32 v8, s10
	s_xor_b64 exec, exec, s[6:7]
	s_cbranch_execz .LBB5_1966
.LBB5_4016:
	v_mov_b32_e32 v8, 0
	v_cmp_ne_u16_sdwa s[8:9], v4, v8 src0_sel:BYTE_0 src1_sel:DWORD
	s_andn2_b64 s[4:5], s[4:5], exec
	s_and_b64 s[8:9], s[8:9], exec
	s_or_b64 s[4:5], s[4:5], s[8:9]
	s_or_b64 exec, exec, s[6:7]
	s_and_saveexec_b64 s[6:7], s[4:5]
	s_cbranch_execnz .LBB5_1967
	s_branch .LBB5_1968
.LBB5_4017:
	s_movk_i32 s4, 0x80
	v_cmp_eq_u16_e32 vcc, s4, v4
	s_mov_b64 s[4:5], -1
                                        ; implicit-def: $sgpr10
	s_and_saveexec_b64 s[8:9], vcc
; %bb.4018:
	s_mov_b32 s10, 0x7f800001
	s_xor_b64 s[4:5], exec, -1
; %bb.4019:
	s_or_b64 exec, exec, s[8:9]
	s_and_b64 s[4:5], s[4:5], exec
                                        ; implicit-def: $vgpr4
	s_or_saveexec_b64 s[6:7], s[6:7]
	v_mov_b32_e32 v0, s10
	s_xor_b64 exec, exec, s[6:7]
	s_cbranch_execz .LBB5_1970
.LBB5_4020:
	v_cmp_ne_u16_e32 vcc, 0, v4
	s_andn2_b64 s[4:5], s[4:5], exec
	s_and_b64 s[8:9], vcc, exec
	v_mov_b32_e32 v0, 0
	s_or_b64 s[4:5], s[4:5], s[8:9]
	s_or_b64 exec, exec, s[6:7]
	s_and_saveexec_b64 s[6:7], s[4:5]
	s_cbranch_execnz .LBB5_1971
	s_branch .LBB5_1972
.LBB5_4021:
	s_movk_i32 s4, 0x80
	v_cmp_eq_u16_e32 vcc, s4, v4
	s_mov_b64 s[4:5], -1
                                        ; implicit-def: $sgpr10
	s_and_saveexec_b64 s[8:9], vcc
; %bb.4022:
	s_mov_b32 s10, 0x7f800001
	s_xor_b64 s[4:5], exec, -1
; %bb.4023:
	s_or_b64 exec, exec, s[8:9]
	s_and_b64 s[4:5], s[4:5], exec
                                        ; implicit-def: $vgpr4
	s_or_saveexec_b64 s[6:7], s[6:7]
	v_mov_b32_e32 v8, s10
	s_xor_b64 exec, exec, s[6:7]
	s_cbranch_execz .LBB5_1974
.LBB5_4024:
	v_cmp_ne_u16_e32 vcc, 0, v4
	s_andn2_b64 s[4:5], s[4:5], exec
	s_and_b64 s[8:9], vcc, exec
	v_mov_b32_e32 v8, 0
	s_or_b64 s[4:5], s[4:5], s[8:9]
	s_or_b64 exec, exec, s[6:7]
	s_and_saveexec_b64 s[6:7], s[4:5]
	s_cbranch_execnz .LBB5_1975
	s_branch .LBB5_1976
.LBB5_4025:
	s_movk_i32 s4, 0x80
	v_cmp_eq_u16_sdwa s[12:13], v5, s4 src0_sel:BYTE_3 src1_sel:DWORD
	s_mov_b64 s[4:5], -1
                                        ; implicit-def: $sgpr10
	s_and_saveexec_b64 s[8:9], s[12:13]
; %bb.4026:
	s_mov_b32 s10, 0x7f800001
	s_xor_b64 s[4:5], exec, -1
; %bb.4027:
	s_or_b64 exec, exec, s[8:9]
	s_and_b64 s[4:5], s[4:5], exec
	s_or_saveexec_b64 s[6:7], s[6:7]
	v_mov_b32_e32 v0, s10
	s_xor_b64 exec, exec, s[6:7]
	s_cbranch_execz .LBB5_1978
.LBB5_4028:
	v_mov_b32_e32 v0, 0
	v_cmp_ne_u16_sdwa s[8:9], v5, v0 src0_sel:BYTE_3 src1_sel:DWORD
	s_andn2_b64 s[4:5], s[4:5], exec
	s_and_b64 s[8:9], s[8:9], exec
	s_or_b64 s[4:5], s[4:5], s[8:9]
	s_or_b64 exec, exec, s[6:7]
	s_and_saveexec_b64 s[6:7], s[4:5]
	s_cbranch_execnz .LBB5_1979
	s_branch .LBB5_1980
.LBB5_4029:
	s_movk_i32 s4, 0x80
	v_cmp_eq_u16_sdwa s[12:13], v1, s4 src0_sel:BYTE_3 src1_sel:DWORD
	s_mov_b64 s[4:5], -1
                                        ; implicit-def: $sgpr10
	s_and_saveexec_b64 s[8:9], s[12:13]
; %bb.4030:
	s_mov_b32 s10, 0x7f800001
	s_xor_b64 s[4:5], exec, -1
; %bb.4031:
	s_or_b64 exec, exec, s[8:9]
	s_and_b64 s[4:5], s[4:5], exec
	s_or_saveexec_b64 s[6:7], s[6:7]
	v_mov_b32_e32 v4, s10
	s_xor_b64 exec, exec, s[6:7]
	s_cbranch_execz .LBB5_1982
.LBB5_4032:
	v_mov_b32_e32 v4, 0
	v_cmp_ne_u16_sdwa s[8:9], v1, v4 src0_sel:BYTE_3 src1_sel:DWORD
	s_andn2_b64 s[4:5], s[4:5], exec
	s_and_b64 s[8:9], s[8:9], exec
	s_or_b64 s[4:5], s[4:5], s[8:9]
	s_or_b64 exec, exec, s[6:7]
	s_and_saveexec_b64 s[6:7], s[4:5]
	s_cbranch_execnz .LBB5_1983
	s_branch .LBB5_1984
.LBB5_4033:
	s_movk_i32 s4, 0x80
	v_cmp_eq_u16_sdwa s[12:13], v6, s4 src0_sel:BYTE_0 src1_sel:DWORD
	s_mov_b64 s[4:5], -1
                                        ; implicit-def: $sgpr10
	s_and_saveexec_b64 s[8:9], s[12:13]
; %bb.4034:
	s_mov_b32 s10, 0x7f800001
	s_xor_b64 s[4:5], exec, -1
; %bb.4035:
	s_or_b64 exec, exec, s[8:9]
	s_and_b64 s[4:5], s[4:5], exec
	s_or_saveexec_b64 s[6:7], s[6:7]
	v_mov_b32_e32 v0, s10
	s_xor_b64 exec, exec, s[6:7]
	s_cbranch_execz .LBB5_1986
.LBB5_4036:
	v_mov_b32_e32 v0, 0
	v_cmp_ne_u16_sdwa s[8:9], v6, v0 src0_sel:BYTE_0 src1_sel:DWORD
	s_andn2_b64 s[4:5], s[4:5], exec
	s_and_b64 s[8:9], s[8:9], exec
	s_or_b64 s[4:5], s[4:5], s[8:9]
	s_or_b64 exec, exec, s[6:7]
	s_and_saveexec_b64 s[6:7], s[4:5]
	s_cbranch_execnz .LBB5_1987
	s_branch .LBB5_1988
.LBB5_4037:
	s_movk_i32 s4, 0x80
	v_cmp_eq_u16_sdwa s[12:13], v2, s4 src0_sel:BYTE_0 src1_sel:DWORD
	s_mov_b64 s[4:5], -1
                                        ; implicit-def: $sgpr10
	s_and_saveexec_b64 s[8:9], s[12:13]
; %bb.4038:
	s_mov_b32 s10, 0x7f800001
	s_xor_b64 s[4:5], exec, -1
; %bb.4039:
	s_or_b64 exec, exec, s[8:9]
	s_and_b64 s[4:5], s[4:5], exec
	s_or_saveexec_b64 s[6:7], s[6:7]
	v_mov_b32_e32 v1, s10
	s_xor_b64 exec, exec, s[6:7]
	s_cbranch_execz .LBB5_1990
.LBB5_4040:
	v_mov_b32_e32 v1, 0
	v_cmp_ne_u16_sdwa s[8:9], v2, v1 src0_sel:BYTE_0 src1_sel:DWORD
	s_andn2_b64 s[4:5], s[4:5], exec
	s_and_b64 s[8:9], s[8:9], exec
	s_or_b64 s[4:5], s[4:5], s[8:9]
	s_or_b64 exec, exec, s[6:7]
	s_and_saveexec_b64 s[6:7], s[4:5]
	s_cbranch_execnz .LBB5_1991
	s_branch .LBB5_1992
.LBB5_4041:
	s_movk_i32 s4, 0x80
	v_cmp_eq_u16_sdwa s[12:13], v1, s4 src0_sel:BYTE_0 src1_sel:DWORD
	s_mov_b64 s[4:5], -1
                                        ; implicit-def: $sgpr10
	s_and_saveexec_b64 s[8:9], s[12:13]
; %bb.4042:
	s_mov_b32 s10, 0x7f800001
	s_xor_b64 s[4:5], exec, -1
; %bb.4043:
	s_or_b64 exec, exec, s[8:9]
	s_and_b64 s[4:5], s[4:5], exec
	s_or_saveexec_b64 s[6:7], s[6:7]
	v_mov_b32_e32 v0, s10
	s_xor_b64 exec, exec, s[6:7]
	s_cbranch_execz .LBB5_1994
.LBB5_4044:
	v_mov_b32_e32 v0, 0
	v_cmp_ne_u16_sdwa s[8:9], v1, v0 src0_sel:BYTE_0 src1_sel:DWORD
	s_andn2_b64 s[4:5], s[4:5], exec
	s_and_b64 s[8:9], s[8:9], exec
	s_or_b64 s[4:5], s[4:5], s[8:9]
	s_or_b64 exec, exec, s[6:7]
	s_and_saveexec_b64 s[6:7], s[4:5]
	s_cbranch_execnz .LBB5_1995
	s_branch .LBB5_1996
.LBB5_4045:
	s_movk_i32 s4, 0x80
	v_cmp_eq_u16_sdwa s[12:13], v1, s4 src0_sel:BYTE_0 src1_sel:DWORD
	s_mov_b64 s[4:5], -1
                                        ; implicit-def: $sgpr10
	s_and_saveexec_b64 s[8:9], s[12:13]
; %bb.4046:
	s_mov_b32 s10, 0x7f800001
	s_xor_b64 s[4:5], exec, -1
; %bb.4047:
	s_or_b64 exec, exec, s[8:9]
	s_and_b64 s[4:5], s[4:5], exec
	s_or_saveexec_b64 s[6:7], s[6:7]
	v_mov_b32_e32 v4, s10
	s_xor_b64 exec, exec, s[6:7]
	s_cbranch_execz .LBB5_1998
.LBB5_4048:
	v_mov_b32_e32 v4, 0
	v_cmp_ne_u16_sdwa s[8:9], v1, v4 src0_sel:BYTE_0 src1_sel:DWORD
	s_andn2_b64 s[4:5], s[4:5], exec
	s_and_b64 s[8:9], s[8:9], exec
	s_or_b64 s[4:5], s[4:5], s[8:9]
	s_or_b64 exec, exec, s[6:7]
	s_and_saveexec_b64 s[6:7], s[4:5]
	s_cbranch_execnz .LBB5_1999
	s_branch .LBB5_2000
.LBB5_4049:
	s_movk_i32 s4, 0x80
	v_cmp_eq_u16_e32 vcc, s4, v1
	s_mov_b64 s[4:5], -1
                                        ; implicit-def: $sgpr10
	s_and_saveexec_b64 s[8:9], vcc
; %bb.4050:
	s_mov_b32 s10, 0x7f800001
	s_xor_b64 s[4:5], exec, -1
; %bb.4051:
	s_or_b64 exec, exec, s[8:9]
	s_and_b64 s[4:5], s[4:5], exec
                                        ; implicit-def: $vgpr1
	s_or_saveexec_b64 s[6:7], s[6:7]
	v_mov_b32_e32 v0, s10
	s_xor_b64 exec, exec, s[6:7]
	s_cbranch_execz .LBB5_2002
.LBB5_4052:
	v_cmp_ne_u16_e32 vcc, 0, v1
	s_andn2_b64 s[4:5], s[4:5], exec
	s_and_b64 s[8:9], vcc, exec
	v_mov_b32_e32 v0, 0
	s_or_b64 s[4:5], s[4:5], s[8:9]
	s_or_b64 exec, exec, s[6:7]
	s_and_saveexec_b64 s[6:7], s[4:5]
	s_cbranch_execnz .LBB5_2003
	s_branch .LBB5_2004
.LBB5_4053:
	s_movk_i32 s4, 0x80
	v_cmp_eq_u16_e32 vcc, s4, v1
	s_mov_b64 s[4:5], -1
                                        ; implicit-def: $sgpr10
	s_and_saveexec_b64 s[8:9], vcc
; %bb.4054:
	s_mov_b32 s10, 0x7f800001
	s_xor_b64 s[4:5], exec, -1
; %bb.4055:
	s_or_b64 exec, exec, s[8:9]
	s_and_b64 s[4:5], s[4:5], exec
                                        ; implicit-def: $vgpr1
	s_or_saveexec_b64 s[6:7], s[6:7]
	v_mov_b32_e32 v4, s10
	s_xor_b64 exec, exec, s[6:7]
	s_cbranch_execz .LBB5_2006
.LBB5_4056:
	v_cmp_ne_u16_e32 vcc, 0, v1
	s_andn2_b64 s[4:5], s[4:5], exec
	s_and_b64 s[8:9], vcc, exec
	v_mov_b32_e32 v4, 0
	s_or_b64 s[4:5], s[4:5], s[8:9]
	s_or_b64 exec, exec, s[6:7]
	s_and_saveexec_b64 s[6:7], s[4:5]
	s_cbranch_execnz .LBB5_2007
	s_branch .LBB5_2008
.LBB5_4057:
	s_movk_i32 s4, 0x80
	v_cmp_eq_u16_sdwa s[12:13], v6, s4 src0_sel:BYTE_3 src1_sel:DWORD
	s_mov_b64 s[4:5], -1
                                        ; implicit-def: $sgpr10
	s_and_saveexec_b64 s[8:9], s[12:13]
; %bb.4058:
	s_mov_b32 s10, 0x7f800001
	s_xor_b64 s[4:5], exec, -1
; %bb.4059:
	s_or_b64 exec, exec, s[8:9]
	s_and_b64 s[4:5], s[4:5], exec
	s_or_saveexec_b64 s[6:7], s[6:7]
	v_mov_b32_e32 v0, s10
	s_xor_b64 exec, exec, s[6:7]
	s_cbranch_execz .LBB5_2010
.LBB5_4060:
	v_mov_b32_e32 v0, 0
	v_cmp_ne_u16_sdwa s[8:9], v6, v0 src0_sel:BYTE_3 src1_sel:DWORD
	s_andn2_b64 s[4:5], s[4:5], exec
	s_and_b64 s[8:9], s[8:9], exec
	s_or_b64 s[4:5], s[4:5], s[8:9]
	s_or_b64 exec, exec, s[6:7]
	s_and_saveexec_b64 s[6:7], s[4:5]
	s_cbranch_execnz .LBB5_2011
	s_branch .LBB5_2012
.LBB5_4061:
	s_movk_i32 s4, 0x80
	v_cmp_eq_u16_sdwa s[12:13], v2, s4 src0_sel:BYTE_3 src1_sel:DWORD
	s_mov_b64 s[4:5], -1
                                        ; implicit-def: $sgpr10
	s_and_saveexec_b64 s[8:9], s[12:13]
; %bb.4062:
	s_mov_b32 s10, 0x7f800001
	s_xor_b64 s[4:5], exec, -1
; %bb.4063:
	s_or_b64 exec, exec, s[8:9]
	s_and_b64 s[4:5], s[4:5], exec
	s_or_saveexec_b64 s[6:7], s[6:7]
	v_mov_b32_e32 v1, s10
	s_xor_b64 exec, exec, s[6:7]
	s_cbranch_execz .LBB5_2014
.LBB5_4064:
	v_mov_b32_e32 v1, 0
	v_cmp_ne_u16_sdwa s[8:9], v2, v1 src0_sel:BYTE_3 src1_sel:DWORD
	s_andn2_b64 s[4:5], s[4:5], exec
	s_and_b64 s[8:9], s[8:9], exec
	s_or_b64 s[4:5], s[4:5], s[8:9]
	s_or_b64 exec, exec, s[6:7]
	s_and_saveexec_b64 s[6:7], s[4:5]
	s_cbranch_execnz .LBB5_2015
	s_branch .LBB5_2016
.LBB5_4065:
	s_movk_i32 s4, 0x80
	v_cmp_eq_u16_sdwa s[12:13], v7, s4 src0_sel:BYTE_0 src1_sel:DWORD
	s_mov_b64 s[4:5], -1
                                        ; implicit-def: $sgpr10
	s_and_saveexec_b64 s[8:9], s[12:13]
; %bb.4066:
	s_mov_b32 s10, 0x7f800001
	s_xor_b64 s[4:5], exec, -1
; %bb.4067:
	s_or_b64 exec, exec, s[8:9]
	s_and_b64 s[4:5], s[4:5], exec
	s_or_saveexec_b64 s[6:7], s[6:7]
	v_mov_b32_e32 v0, s10
	s_xor_b64 exec, exec, s[6:7]
	s_cbranch_execz .LBB5_2018
.LBB5_4068:
	v_mov_b32_e32 v0, 0
	v_cmp_ne_u16_sdwa s[8:9], v7, v0 src0_sel:BYTE_0 src1_sel:DWORD
	s_andn2_b64 s[4:5], s[4:5], exec
	s_and_b64 s[8:9], s[8:9], exec
	s_or_b64 s[4:5], s[4:5], s[8:9]
	s_or_b64 exec, exec, s[6:7]
	s_and_saveexec_b64 s[6:7], s[4:5]
	s_cbranch_execnz .LBB5_2019
	s_branch .LBB5_2020
.LBB5_4069:
	s_movk_i32 s4, 0x80
	v_cmp_eq_u16_sdwa s[12:13], v3, s4 src0_sel:BYTE_0 src1_sel:DWORD
	s_mov_b64 s[4:5], -1
                                        ; implicit-def: $sgpr10
	s_and_saveexec_b64 s[8:9], s[12:13]
; %bb.4070:
	s_mov_b32 s10, 0x7f800001
	s_xor_b64 s[4:5], exec, -1
; %bb.4071:
	s_or_b64 exec, exec, s[8:9]
	s_and_b64 s[4:5], s[4:5], exec
	s_or_saveexec_b64 s[6:7], s[6:7]
	v_mov_b32_e32 v1, s10
	s_xor_b64 exec, exec, s[6:7]
	s_cbranch_execz .LBB5_2022
.LBB5_4072:
	v_mov_b32_e32 v1, 0
	v_cmp_ne_u16_sdwa s[8:9], v3, v1 src0_sel:BYTE_0 src1_sel:DWORD
	s_andn2_b64 s[4:5], s[4:5], exec
	s_and_b64 s[8:9], s[8:9], exec
	s_or_b64 s[4:5], s[4:5], s[8:9]
	s_or_b64 exec, exec, s[6:7]
	s_and_saveexec_b64 s[6:7], s[4:5]
	s_cbranch_execnz .LBB5_2023
	s_branch .LBB5_2024
.LBB5_4073:
	s_movk_i32 s4, 0x80
	v_cmp_eq_u16_sdwa s[12:13], v1, s4 src0_sel:BYTE_0 src1_sel:DWORD
	s_mov_b64 s[4:5], -1
                                        ; implicit-def: $sgpr10
	s_and_saveexec_b64 s[8:9], s[12:13]
; %bb.4074:
	s_mov_b32 s10, 0x7f800001
	s_xor_b64 s[4:5], exec, -1
; %bb.4075:
	s_or_b64 exec, exec, s[8:9]
	s_and_b64 s[4:5], s[4:5], exec
	s_or_saveexec_b64 s[6:7], s[6:7]
	v_mov_b32_e32 v0, s10
	s_xor_b64 exec, exec, s[6:7]
	s_cbranch_execz .LBB5_2026
.LBB5_4076:
	v_mov_b32_e32 v0, 0
	v_cmp_ne_u16_sdwa s[8:9], v1, v0 src0_sel:BYTE_0 src1_sel:DWORD
	s_andn2_b64 s[4:5], s[4:5], exec
	s_and_b64 s[8:9], s[8:9], exec
	s_or_b64 s[4:5], s[4:5], s[8:9]
	s_or_b64 exec, exec, s[6:7]
	s_and_saveexec_b64 s[6:7], s[4:5]
	s_cbranch_execnz .LBB5_2027
	s_branch .LBB5_2028
.LBB5_4077:
	s_movk_i32 s4, 0x80
	v_cmp_eq_u16_sdwa s[12:13], v1, s4 src0_sel:BYTE_0 src1_sel:DWORD
	s_mov_b64 s[4:5], -1
                                        ; implicit-def: $sgpr10
	s_and_saveexec_b64 s[8:9], s[12:13]
; %bb.4078:
	s_mov_b32 s10, 0x7f800001
	s_xor_b64 s[4:5], exec, -1
; %bb.4079:
	s_or_b64 exec, exec, s[8:9]
	s_and_b64 s[4:5], s[4:5], exec
	s_or_saveexec_b64 s[6:7], s[6:7]
	v_mov_b32_e32 v2, s10
	s_xor_b64 exec, exec, s[6:7]
	s_cbranch_execz .LBB5_2030
.LBB5_4080:
	v_mov_b32_e32 v2, 0
	v_cmp_ne_u16_sdwa s[8:9], v1, v2 src0_sel:BYTE_0 src1_sel:DWORD
	s_andn2_b64 s[4:5], s[4:5], exec
	s_and_b64 s[8:9], s[8:9], exec
	s_or_b64 s[4:5], s[4:5], s[8:9]
	s_or_b64 exec, exec, s[6:7]
	s_and_saveexec_b64 s[6:7], s[4:5]
	s_cbranch_execnz .LBB5_2031
	s_branch .LBB5_2032
.LBB5_4081:
	s_movk_i32 s4, 0x80
	v_cmp_eq_u16_e32 vcc, s4, v1
	s_mov_b64 s[4:5], -1
                                        ; implicit-def: $sgpr10
	s_and_saveexec_b64 s[8:9], vcc
; %bb.4082:
	s_mov_b32 s10, 0x7f800001
	s_xor_b64 s[4:5], exec, -1
; %bb.4083:
	s_or_b64 exec, exec, s[8:9]
	s_and_b64 s[4:5], s[4:5], exec
                                        ; implicit-def: $vgpr1
	s_or_saveexec_b64 s[6:7], s[6:7]
	v_mov_b32_e32 v0, s10
	s_xor_b64 exec, exec, s[6:7]
	s_cbranch_execz .LBB5_2034
.LBB5_4084:
	v_cmp_ne_u16_e32 vcc, 0, v1
	s_andn2_b64 s[4:5], s[4:5], exec
	s_and_b64 s[8:9], vcc, exec
	v_mov_b32_e32 v0, 0
	s_or_b64 s[4:5], s[4:5], s[8:9]
	s_or_b64 exec, exec, s[6:7]
	s_and_saveexec_b64 s[6:7], s[4:5]
	s_cbranch_execnz .LBB5_2035
	s_branch .LBB5_2036
.LBB5_4085:
	s_movk_i32 s4, 0x80
	v_cmp_eq_u16_e32 vcc, s4, v1
	s_mov_b64 s[4:5], -1
                                        ; implicit-def: $sgpr10
	s_and_saveexec_b64 s[8:9], vcc
; %bb.4086:
	s_mov_b32 s10, 0x7f800001
	s_xor_b64 s[4:5], exec, -1
; %bb.4087:
	s_or_b64 exec, exec, s[8:9]
	s_and_b64 s[4:5], s[4:5], exec
                                        ; implicit-def: $vgpr1
	s_or_saveexec_b64 s[6:7], s[6:7]
	v_mov_b32_e32 v2, s10
	s_xor_b64 exec, exec, s[6:7]
	s_cbranch_execz .LBB5_2038
.LBB5_4088:
	v_cmp_ne_u16_e32 vcc, 0, v1
	s_andn2_b64 s[4:5], s[4:5], exec
	s_and_b64 s[8:9], vcc, exec
	v_mov_b32_e32 v2, 0
	s_or_b64 s[4:5], s[4:5], s[8:9]
	s_or_b64 exec, exec, s[6:7]
	s_and_saveexec_b64 s[6:7], s[4:5]
	s_cbranch_execnz .LBB5_2039
	s_branch .LBB5_2040
.LBB5_4089:
	s_movk_i32 s4, 0x80
	v_cmp_eq_u16_sdwa s[12:13], v7, s4 src0_sel:BYTE_3 src1_sel:DWORD
	s_mov_b64 s[4:5], -1
                                        ; implicit-def: $sgpr10
	s_and_saveexec_b64 s[8:9], s[12:13]
; %bb.4090:
	s_mov_b32 s10, 0x7f800001
	s_xor_b64 s[4:5], exec, -1
; %bb.4091:
	s_or_b64 exec, exec, s[8:9]
	s_and_b64 s[4:5], s[4:5], exec
	s_or_saveexec_b64 s[6:7], s[6:7]
	v_mov_b32_e32 v0, s10
	s_xor_b64 exec, exec, s[6:7]
	s_cbranch_execz .LBB5_2042
.LBB5_4092:
	v_mov_b32_e32 v0, 0
	v_cmp_ne_u16_sdwa s[8:9], v7, v0 src0_sel:BYTE_3 src1_sel:DWORD
	s_andn2_b64 s[4:5], s[4:5], exec
	s_and_b64 s[8:9], s[8:9], exec
	s_or_b64 s[4:5], s[4:5], s[8:9]
	s_or_b64 exec, exec, s[6:7]
	s_and_saveexec_b64 s[6:7], s[4:5]
	s_cbranch_execnz .LBB5_2043
	s_branch .LBB5_2044
.LBB5_4093:
	s_movk_i32 s4, 0x80
	v_cmp_eq_u16_sdwa s[12:13], v3, s4 src0_sel:BYTE_3 src1_sel:DWORD
	s_mov_b64 s[4:5], -1
                                        ; implicit-def: $sgpr10
	s_and_saveexec_b64 s[8:9], s[12:13]
; %bb.4094:
	s_mov_b32 s10, 0x7f800001
	s_xor_b64 s[4:5], exec, -1
; %bb.4095:
	s_or_b64 exec, exec, s[8:9]
	s_and_b64 s[4:5], s[4:5], exec
	s_or_saveexec_b64 s[6:7], s[6:7]
	v_mov_b32_e32 v1, s10
	s_xor_b64 exec, exec, s[6:7]
	s_cbranch_execz .LBB5_2046
.LBB5_4096:
	v_mov_b32_e32 v1, 0
	v_cmp_ne_u16_sdwa s[8:9], v3, v1 src0_sel:BYTE_3 src1_sel:DWORD
	s_andn2_b64 s[4:5], s[4:5], exec
	s_and_b64 s[8:9], s[8:9], exec
	s_or_b64 s[4:5], s[4:5], s[8:9]
	s_or_b64 exec, exec, s[6:7]
	s_and_saveexec_b64 s[6:7], s[4:5]
	s_cbranch_execnz .LBB5_2047
	s_branch .LBB5_2048
.Lfunc_end5:
	.size	_ZNK2ck6detail7applierIiJLi0ELi1ELi2ELi3ELi4ELi5ELi6ELi7EEEclIZNKS_11static_fordINS_8SequenceIJLi1ELi8EEEENS5_IJLi0ELi1EEEEEclIZZZNKS_52BlockwiseGemmXdlops_pipeline_bpreshuffle_bdequant_v3ILNS_26BlockGemmPipelineSchedulerE0ELi256ENS_9f8_fnuz_tENS_7pk_i4_tESC_fNS_16TensorDescriptorINS_5TupleIJNS_5EmbedINSF_IJNS_17integral_constantIiLi8EEENSH_IiLi256EEENSH_IiLi16EEEEEENSF_IJSK_NSH_IiLi128EEENSH_IiLi1EEEEEELb0EEENS_3XorINSF_IJSJ_SI_EEELb1EEENS_11PassThroughISK_EENS_7UnMergeINSF_IJSI_SN_EEELb0EEENST_ISJ_EESU_NST_ISI_EENS_21Merge_v3_division_modINSF_IJSJ_SN_EEEEESU_EEENSF_IJNS5_IJLi0EEEENS5_IJLi2ELi1EEEENS5_IJLi3EEEENS5_IJLi5EEEENS5_IJLi4EEEENS5_IJLi6EEEENS5_IJLi7EEEENS5_IJLi9ELi8EEEENS5_IJLi10EEEEEEENSF_IJNS5_IJLi1ELi2ELi3EEEENS5_IJLi4ELi5EEEES19_NS5_IJLi7ELi8EEEENS5_IJLi9EEEES1C_NS5_IJLi11EEEENS5_IJLi12EEEENS5_IJLi13EEEEEEENS5_IJLi11ELi12ELi13EEEENSH_IlLl32768EEEEENSE_INSF_IJNSV_INSF_IJSI_SN_SN_NSH_IiLi32EEEEEELb0EEEEEENSF_IJS14_EEENSF_IJNS5_IJLi1ELi2ELi3ELi4EEEEEEES1U_NSH_IlLl256EEEEENSE_INSF_IJSP_SS_SU_SX_SY_SU_SZ_S12_SU_NS10_INSF_IJSI_SK_EEEEENSV_INSF_IJSI_NSH_IiLi2EEESK_EEELb0EEEEEENSF_IJS14_S15_S16_S17_S18_S19_S1A_S1B_S1C_NS5_IJLi11ELi13EEEES1J_EEENSF_IJS1E_S1F_S19_S1G_S1H_S1C_S1I_S1J_S1K_NS5_IJLi14EEEENS5_IJLi15ELi16ELi17EEEEEEENS5_IJLi15ELi16ELi17ELi14EEEES1N_EENSE_INSF_IJS1R_NS10_ISW_EES22_EEENSF_IJS14_NS5_IJLi1ELi3EEEENS5_IJLi2EEEEEEENSF_IJS1U_S17_NS5_IJLi6ELi7ELi8EEEEEEENS5_IJLi6ELi7ELi8ELi5EEEES1W_EELi16ELi32ELi256ELi256ELi128ELi16ELi16ELi8ELi8ELi32ELb0EE3RunILb1ELNS_10TailNumberE0ENSE_INSF_IJNSG_INSF_IJiiEEENSF_IJiSN_EEELb0EEENSV_IS2N_Lb0EEENST_IiEEEEENSF_IJS14_S2E_NS5_IJLi1EEEEEEENSF_IJNS5_IJLi1ELi2EEEENS5_IJLi3ELi4EEEES17_EEENS5_IJLi3ELi5ELi4EEEElEES1O_NS_35ThreadGroupTensorSliceTransfer_v4r1INS_15ThisThreadBlockILi256EEENS_16tensor_operation12element_wise11PassThroughES35_LNS_25InMemoryDataOperationEnumE0ENS5_IJLi8ELi256ELi16EEEENS5_IJLi8ELi32ELi1EEEENS5_IJLi1ELi0ELi2EEEESC_SC_RKS2Z_KS1O_S39_NS5_IJLi0ELi1ELi2EEEELi2ELi2ELi16ELi16ELi1ELi1ELb0ELb1ELi2EiEENS_13DynamicBufferILNS_16AddressSpaceEnumE1EKSC_lLb1ELNS_22AmdBufferCoherenceEnumE0EiEENSF_IJNS3F_ILS3G_2ESC_S1N_Lb1ELS3I_0EiEES3K_EEENSF_IJiiiEEENSE_INSF_IJNSG_INSF_IJiiiiEEENSF_IJiiiSN_EEELb0EEEEEES1T_S1V_S1U_lEENS_32ThreadwiseTensorSliceTransfer_v2ISD_SD_RKS3R_KS1X_NS5_IJLi8ELi1ELi1ELi32EEEENS5_IJLi1ELi2ELi0ELi3EEEELi3ELi32ELi0ELb1ELb0ELb0EEENS3F_ILS3G_1EKSD_lLb1ELS3I_0EiEENSF_IJNS_12StaticBufferILS3G_4ESD_Li256ELb1EEES42_EEES3N_NS_25StaticBufferTupleOfVectorILS3G_4EfLi64ELi4ELb1ELb0EEEEEvRKT1_RKT2_RT3_RKT4_RT5_RKT6_RKT7_RT8_RKT9_RT10_RKT11_RT12_iENKUlT_T0_E_clINSH_IiLi0EEESN_EEDaS51_S52_ENKUlS51_E_clINSH_IiLi3EEEEEDaS51_EUlS51_E_EEvS51_EUlS51_E_EEvS51_, .Lfunc_end5-_ZNK2ck6detail7applierIiJLi0ELi1ELi2ELi3ELi4ELi5ELi6ELi7EEEclIZNKS_11static_fordINS_8SequenceIJLi1ELi8EEEENS5_IJLi0ELi1EEEEEclIZZZNKS_52BlockwiseGemmXdlops_pipeline_bpreshuffle_bdequant_v3ILNS_26BlockGemmPipelineSchedulerE0ELi256ENS_9f8_fnuz_tENS_7pk_i4_tESC_fNS_16TensorDescriptorINS_5TupleIJNS_5EmbedINSF_IJNS_17integral_constantIiLi8EEENSH_IiLi256EEENSH_IiLi16EEEEEENSF_IJSK_NSH_IiLi128EEENSH_IiLi1EEEEEELb0EEENS_3XorINSF_IJSJ_SI_EEELb1EEENS_11PassThroughISK_EENS_7UnMergeINSF_IJSI_SN_EEELb0EEENST_ISJ_EESU_NST_ISI_EENS_21Merge_v3_division_modINSF_IJSJ_SN_EEEEESU_EEENSF_IJNS5_IJLi0EEEENS5_IJLi2ELi1EEEENS5_IJLi3EEEENS5_IJLi5EEEENS5_IJLi4EEEENS5_IJLi6EEEENS5_IJLi7EEEENS5_IJLi9ELi8EEEENS5_IJLi10EEEEEEENSF_IJNS5_IJLi1ELi2ELi3EEEENS5_IJLi4ELi5EEEES19_NS5_IJLi7ELi8EEEENS5_IJLi9EEEES1C_NS5_IJLi11EEEENS5_IJLi12EEEENS5_IJLi13EEEEEEENS5_IJLi11ELi12ELi13EEEENSH_IlLl32768EEEEENSE_INSF_IJNSV_INSF_IJSI_SN_SN_NSH_IiLi32EEEEEELb0EEEEEENSF_IJS14_EEENSF_IJNS5_IJLi1ELi2ELi3ELi4EEEEEEES1U_NSH_IlLl256EEEEENSE_INSF_IJSP_SS_SU_SX_SY_SU_SZ_S12_SU_NS10_INSF_IJSI_SK_EEEEENSV_INSF_IJSI_NSH_IiLi2EEESK_EEELb0EEEEEENSF_IJS14_S15_S16_S17_S18_S19_S1A_S1B_S1C_NS5_IJLi11ELi13EEEES1J_EEENSF_IJS1E_S1F_S19_S1G_S1H_S1C_S1I_S1J_S1K_NS5_IJLi14EEEENS5_IJLi15ELi16ELi17EEEEEEENS5_IJLi15ELi16ELi17ELi14EEEES1N_EENSE_INSF_IJS1R_NS10_ISW_EES22_EEENSF_IJS14_NS5_IJLi1ELi3EEEENS5_IJLi2EEEEEEENSF_IJS1U_S17_NS5_IJLi6ELi7ELi8EEEEEEENS5_IJLi6ELi7ELi8ELi5EEEES1W_EELi16ELi32ELi256ELi256ELi128ELi16ELi16ELi8ELi8ELi32ELb0EE3RunILb1ELNS_10TailNumberE0ENSE_INSF_IJNSG_INSF_IJiiEEENSF_IJiSN_EEELb0EEENSV_IS2N_Lb0EEENST_IiEEEEENSF_IJS14_S2E_NS5_IJLi1EEEEEEENSF_IJNS5_IJLi1ELi2EEEENS5_IJLi3ELi4EEEES17_EEENS5_IJLi3ELi5ELi4EEEElEES1O_NS_35ThreadGroupTensorSliceTransfer_v4r1INS_15ThisThreadBlockILi256EEENS_16tensor_operation12element_wise11PassThroughES35_LNS_25InMemoryDataOperationEnumE0ENS5_IJLi8ELi256ELi16EEEENS5_IJLi8ELi32ELi1EEEENS5_IJLi1ELi0ELi2EEEESC_SC_RKS2Z_KS1O_S39_NS5_IJLi0ELi1ELi2EEEELi2ELi2ELi16ELi16ELi1ELi1ELb0ELb1ELi2EiEENS_13DynamicBufferILNS_16AddressSpaceEnumE1EKSC_lLb1ELNS_22AmdBufferCoherenceEnumE0EiEENSF_IJNS3F_ILS3G_2ESC_S1N_Lb1ELS3I_0EiEES3K_EEENSF_IJiiiEEENSE_INSF_IJNSG_INSF_IJiiiiEEENSF_IJiiiSN_EEELb0EEEEEES1T_S1V_S1U_lEENS_32ThreadwiseTensorSliceTransfer_v2ISD_SD_RKS3R_KS1X_NS5_IJLi8ELi1ELi1ELi32EEEENS5_IJLi1ELi2ELi0ELi3EEEELi3ELi32ELi0ELb1ELb0ELb0EEENS3F_ILS3G_1EKSD_lLb1ELS3I_0EiEENSF_IJNS_12StaticBufferILS3G_4ESD_Li256ELb1EEES42_EEES3N_NS_25StaticBufferTupleOfVectorILS3G_4EfLi64ELi4ELb1ELb0EEEEEvRKT1_RKT2_RT3_RKT4_RT5_RKT6_RKT7_RT8_RKT9_RT10_RKT11_RT12_iENKUlT_T0_E_clINSH_IiLi0EEESN_EEDaS51_S52_ENKUlS51_E_clINSH_IiLi3EEEEEDaS51_EUlS51_E_EEvS51_EUlS51_E_EEvS51_
                                        ; -- End function
	.section	.AMDGPU.csdata,"",@progbits
; Function info:
; codeLenInByte = 133608
; NumSgprs: 36
; NumVgprs: 26
; NumAgprs: 4
; TotalNumVgprs: 32
; ScratchSize: 0
; MemoryBound: 1
	.text
	.p2align	2                               ; -- Begin function _ZNK2ck6detail7applierIiJLi0ELi1ELi2ELi3ELi4ELi5ELi6ELi7EEEclIZNKS_11static_fordINS_8SequenceIJLi1ELi8EEEENS5_IJLi0ELi1EEEEEclIZZZNKS_52BlockwiseGemmXdlops_pipeline_bpreshuffle_bdequant_v3ILNS_26BlockGemmPipelineSchedulerE0ELi256ENS_9f8_fnuz_tENS_7pk_i4_tESC_fNS_16TensorDescriptorINS_5TupleIJNS_5EmbedINSF_IJNS_17integral_constantIiLi8EEENSH_IiLi256EEENSH_IiLi16EEEEEENSF_IJSK_NSH_IiLi128EEENSH_IiLi1EEEEEELb0EEENS_3XorINSF_IJSJ_SI_EEELb1EEENS_11PassThroughISK_EENS_7UnMergeINSF_IJSI_SN_EEELb0EEENST_ISJ_EESU_NST_ISI_EENS_21Merge_v3_division_modINSF_IJSJ_SN_EEEEESU_EEENSF_IJNS5_IJLi0EEEENS5_IJLi2ELi1EEEENS5_IJLi3EEEENS5_IJLi5EEEENS5_IJLi4EEEENS5_IJLi6EEEENS5_IJLi7EEEENS5_IJLi9ELi8EEEENS5_IJLi10EEEEEEENSF_IJNS5_IJLi1ELi2ELi3EEEENS5_IJLi4ELi5EEEES19_NS5_IJLi7ELi8EEEENS5_IJLi9EEEES1C_NS5_IJLi11EEEENS5_IJLi12EEEENS5_IJLi13EEEEEEENS5_IJLi11ELi12ELi13EEEENSH_IlLl32768EEEEENSE_INSF_IJNSV_INSF_IJSI_SN_SN_NSH_IiLi32EEEEEELb0EEEEEENSF_IJS14_EEENSF_IJNS5_IJLi1ELi2ELi3ELi4EEEEEEES1U_NSH_IlLl256EEEEENSE_INSF_IJSP_SS_SU_SX_SY_SU_SZ_S12_SU_NS10_INSF_IJSI_SK_EEEEENSV_INSF_IJSI_NSH_IiLi2EEESK_EEELb0EEEEEENSF_IJS14_S15_S16_S17_S18_S19_S1A_S1B_S1C_NS5_IJLi11ELi13EEEES1J_EEENSF_IJS1E_S1F_S19_S1G_S1H_S1C_S1I_S1J_S1K_NS5_IJLi14EEEENS5_IJLi15ELi16ELi17EEEEEEENS5_IJLi15ELi16ELi17ELi14EEEES1N_EENSE_INSF_IJS1R_NS10_ISW_EES22_EEENSF_IJS14_NS5_IJLi1ELi3EEEENS5_IJLi2EEEEEEENSF_IJS1U_S17_NS5_IJLi6ELi7ELi8EEEEEEENS5_IJLi6ELi7ELi8ELi5EEEES1W_EELi16ELi32ELi256ELi256ELi128ELi16ELi16ELi8ELi8ELi32ELb0EE3RunILb1ELNS_10TailNumberE0ENSE_INSF_IJNSG_INSF_IJiiEEENSF_IJiSN_EEELb0EEENSV_IS2N_Lb0EEENST_IiEEEEENSF_IJS14_S2E_NS5_IJLi1EEEEEEENSF_IJNS5_IJLi1ELi2EEEENS5_IJLi3ELi4EEEES17_EEENS5_IJLi3ELi5ELi4EEEElEES1O_NS_35ThreadGroupTensorSliceTransfer_v4r1INS_15ThisThreadBlockILi256EEENS_16tensor_operation12element_wise11PassThroughES35_LNS_25InMemoryDataOperationEnumE0ENS5_IJLi8ELi256ELi16EEEENS5_IJLi8ELi32ELi1EEEENS5_IJLi1ELi0ELi2EEEESC_SC_RKS2Z_KS1O_S39_NS5_IJLi0ELi1ELi2EEEELi2ELi2ELi16ELi16ELi1ELi1ELb0ELb1ELi2EiEENS_13DynamicBufferILNS_16AddressSpaceEnumE1EKSC_lLb1ELNS_22AmdBufferCoherenceEnumE0EiEENSF_IJNS3F_ILS3G_2ESC_S1N_Lb1ELS3I_0EiEES3K_EEENSF_IJiiiEEENSE_INSF_IJNSG_INSF_IJiiiiEEENSF_IJiiiSN_EEELb0EEEEEES1T_S1V_S1U_lEENS_32ThreadwiseTensorSliceTransfer_v2ISD_SD_RKS3R_KS1X_NS5_IJLi8ELi1ELi1ELi32EEEENS5_IJLi1ELi2ELi0ELi3EEEELi3ELi32ELi0ELb1ELb0ELb0EEENS3F_ILS3G_1EKSD_lLb1ELS3I_0EiEENSF_IJNS_12StaticBufferILS3G_4ESD_Li256ELb1EEES42_EEES3N_NS_25StaticBufferTupleOfVectorILS3G_4EfLi64ELi4ELb1ELb0EEEEEvRKT1_RKT2_RT3_RKT4_RT5_RKT6_RKT7_RT8_RKT9_RT10_RKT11_RT12_iENKUlT_T0_E_clINSH_IiLi0EEESN_EEDaS51_S52_ENKUlS51_E_clINSH_IiLi4EEEEEDaS51_EUlS51_E_EEvS51_EUlS51_E_EEvS51_
	.type	_ZNK2ck6detail7applierIiJLi0ELi1ELi2ELi3ELi4ELi5ELi6ELi7EEEclIZNKS_11static_fordINS_8SequenceIJLi1ELi8EEEENS5_IJLi0ELi1EEEEEclIZZZNKS_52BlockwiseGemmXdlops_pipeline_bpreshuffle_bdequant_v3ILNS_26BlockGemmPipelineSchedulerE0ELi256ENS_9f8_fnuz_tENS_7pk_i4_tESC_fNS_16TensorDescriptorINS_5TupleIJNS_5EmbedINSF_IJNS_17integral_constantIiLi8EEENSH_IiLi256EEENSH_IiLi16EEEEEENSF_IJSK_NSH_IiLi128EEENSH_IiLi1EEEEEELb0EEENS_3XorINSF_IJSJ_SI_EEELb1EEENS_11PassThroughISK_EENS_7UnMergeINSF_IJSI_SN_EEELb0EEENST_ISJ_EESU_NST_ISI_EENS_21Merge_v3_division_modINSF_IJSJ_SN_EEEEESU_EEENSF_IJNS5_IJLi0EEEENS5_IJLi2ELi1EEEENS5_IJLi3EEEENS5_IJLi5EEEENS5_IJLi4EEEENS5_IJLi6EEEENS5_IJLi7EEEENS5_IJLi9ELi8EEEENS5_IJLi10EEEEEEENSF_IJNS5_IJLi1ELi2ELi3EEEENS5_IJLi4ELi5EEEES19_NS5_IJLi7ELi8EEEENS5_IJLi9EEEES1C_NS5_IJLi11EEEENS5_IJLi12EEEENS5_IJLi13EEEEEEENS5_IJLi11ELi12ELi13EEEENSH_IlLl32768EEEEENSE_INSF_IJNSV_INSF_IJSI_SN_SN_NSH_IiLi32EEEEEELb0EEEEEENSF_IJS14_EEENSF_IJNS5_IJLi1ELi2ELi3ELi4EEEEEEES1U_NSH_IlLl256EEEEENSE_INSF_IJSP_SS_SU_SX_SY_SU_SZ_S12_SU_NS10_INSF_IJSI_SK_EEEEENSV_INSF_IJSI_NSH_IiLi2EEESK_EEELb0EEEEEENSF_IJS14_S15_S16_S17_S18_S19_S1A_S1B_S1C_NS5_IJLi11ELi13EEEES1J_EEENSF_IJS1E_S1F_S19_S1G_S1H_S1C_S1I_S1J_S1K_NS5_IJLi14EEEENS5_IJLi15ELi16ELi17EEEEEEENS5_IJLi15ELi16ELi17ELi14EEEES1N_EENSE_INSF_IJS1R_NS10_ISW_EES22_EEENSF_IJS14_NS5_IJLi1ELi3EEEENS5_IJLi2EEEEEEENSF_IJS1U_S17_NS5_IJLi6ELi7ELi8EEEEEEENS5_IJLi6ELi7ELi8ELi5EEEES1W_EELi16ELi32ELi256ELi256ELi128ELi16ELi16ELi8ELi8ELi32ELb0EE3RunILb1ELNS_10TailNumberE0ENSE_INSF_IJNSG_INSF_IJiiEEENSF_IJiSN_EEELb0EEENSV_IS2N_Lb0EEENST_IiEEEEENSF_IJS14_S2E_NS5_IJLi1EEEEEEENSF_IJNS5_IJLi1ELi2EEEENS5_IJLi3ELi4EEEES17_EEENS5_IJLi3ELi5ELi4EEEElEES1O_NS_35ThreadGroupTensorSliceTransfer_v4r1INS_15ThisThreadBlockILi256EEENS_16tensor_operation12element_wise11PassThroughES35_LNS_25InMemoryDataOperationEnumE0ENS5_IJLi8ELi256ELi16EEEENS5_IJLi8ELi32ELi1EEEENS5_IJLi1ELi0ELi2EEEESC_SC_RKS2Z_KS1O_S39_NS5_IJLi0ELi1ELi2EEEELi2ELi2ELi16ELi16ELi1ELi1ELb0ELb1ELi2EiEENS_13DynamicBufferILNS_16AddressSpaceEnumE1EKSC_lLb1ELNS_22AmdBufferCoherenceEnumE0EiEENSF_IJNS3F_ILS3G_2ESC_S1N_Lb1ELS3I_0EiEES3K_EEENSF_IJiiiEEENSE_INSF_IJNSG_INSF_IJiiiiEEENSF_IJiiiSN_EEELb0EEEEEES1T_S1V_S1U_lEENS_32ThreadwiseTensorSliceTransfer_v2ISD_SD_RKS3R_KS1X_NS5_IJLi8ELi1ELi1ELi32EEEENS5_IJLi1ELi2ELi0ELi3EEEELi3ELi32ELi0ELb1ELb0ELb0EEENS3F_ILS3G_1EKSD_lLb1ELS3I_0EiEENSF_IJNS_12StaticBufferILS3G_4ESD_Li256ELb1EEES42_EEES3N_NS_25StaticBufferTupleOfVectorILS3G_4EfLi64ELi4ELb1ELb0EEEEEvRKT1_RKT2_RT3_RKT4_RT5_RKT6_RKT7_RT8_RKT9_RT10_RKT11_RT12_iENKUlT_T0_E_clINSH_IiLi0EEESN_EEDaS51_S52_ENKUlS51_E_clINSH_IiLi4EEEEEDaS51_EUlS51_E_EEvS51_EUlS51_E_EEvS51_,@function
_ZNK2ck6detail7applierIiJLi0ELi1ELi2ELi3ELi4ELi5ELi6ELi7EEEclIZNKS_11static_fordINS_8SequenceIJLi1ELi8EEEENS5_IJLi0ELi1EEEEEclIZZZNKS_52BlockwiseGemmXdlops_pipeline_bpreshuffle_bdequant_v3ILNS_26BlockGemmPipelineSchedulerE0ELi256ENS_9f8_fnuz_tENS_7pk_i4_tESC_fNS_16TensorDescriptorINS_5TupleIJNS_5EmbedINSF_IJNS_17integral_constantIiLi8EEENSH_IiLi256EEENSH_IiLi16EEEEEENSF_IJSK_NSH_IiLi128EEENSH_IiLi1EEEEEELb0EEENS_3XorINSF_IJSJ_SI_EEELb1EEENS_11PassThroughISK_EENS_7UnMergeINSF_IJSI_SN_EEELb0EEENST_ISJ_EESU_NST_ISI_EENS_21Merge_v3_division_modINSF_IJSJ_SN_EEEEESU_EEENSF_IJNS5_IJLi0EEEENS5_IJLi2ELi1EEEENS5_IJLi3EEEENS5_IJLi5EEEENS5_IJLi4EEEENS5_IJLi6EEEENS5_IJLi7EEEENS5_IJLi9ELi8EEEENS5_IJLi10EEEEEEENSF_IJNS5_IJLi1ELi2ELi3EEEENS5_IJLi4ELi5EEEES19_NS5_IJLi7ELi8EEEENS5_IJLi9EEEES1C_NS5_IJLi11EEEENS5_IJLi12EEEENS5_IJLi13EEEEEEENS5_IJLi11ELi12ELi13EEEENSH_IlLl32768EEEEENSE_INSF_IJNSV_INSF_IJSI_SN_SN_NSH_IiLi32EEEEEELb0EEEEEENSF_IJS14_EEENSF_IJNS5_IJLi1ELi2ELi3ELi4EEEEEEES1U_NSH_IlLl256EEEEENSE_INSF_IJSP_SS_SU_SX_SY_SU_SZ_S12_SU_NS10_INSF_IJSI_SK_EEEEENSV_INSF_IJSI_NSH_IiLi2EEESK_EEELb0EEEEEENSF_IJS14_S15_S16_S17_S18_S19_S1A_S1B_S1C_NS5_IJLi11ELi13EEEES1J_EEENSF_IJS1E_S1F_S19_S1G_S1H_S1C_S1I_S1J_S1K_NS5_IJLi14EEEENS5_IJLi15ELi16ELi17EEEEEEENS5_IJLi15ELi16ELi17ELi14EEEES1N_EENSE_INSF_IJS1R_NS10_ISW_EES22_EEENSF_IJS14_NS5_IJLi1ELi3EEEENS5_IJLi2EEEEEEENSF_IJS1U_S17_NS5_IJLi6ELi7ELi8EEEEEEENS5_IJLi6ELi7ELi8ELi5EEEES1W_EELi16ELi32ELi256ELi256ELi128ELi16ELi16ELi8ELi8ELi32ELb0EE3RunILb1ELNS_10TailNumberE0ENSE_INSF_IJNSG_INSF_IJiiEEENSF_IJiSN_EEELb0EEENSV_IS2N_Lb0EEENST_IiEEEEENSF_IJS14_S2E_NS5_IJLi1EEEEEEENSF_IJNS5_IJLi1ELi2EEEENS5_IJLi3ELi4EEEES17_EEENS5_IJLi3ELi5ELi4EEEElEES1O_NS_35ThreadGroupTensorSliceTransfer_v4r1INS_15ThisThreadBlockILi256EEENS_16tensor_operation12element_wise11PassThroughES35_LNS_25InMemoryDataOperationEnumE0ENS5_IJLi8ELi256ELi16EEEENS5_IJLi8ELi32ELi1EEEENS5_IJLi1ELi0ELi2EEEESC_SC_RKS2Z_KS1O_S39_NS5_IJLi0ELi1ELi2EEEELi2ELi2ELi16ELi16ELi1ELi1ELb0ELb1ELi2EiEENS_13DynamicBufferILNS_16AddressSpaceEnumE1EKSC_lLb1ELNS_22AmdBufferCoherenceEnumE0EiEENSF_IJNS3F_ILS3G_2ESC_S1N_Lb1ELS3I_0EiEES3K_EEENSF_IJiiiEEENSE_INSF_IJNSG_INSF_IJiiiiEEENSF_IJiiiSN_EEELb0EEEEEES1T_S1V_S1U_lEENS_32ThreadwiseTensorSliceTransfer_v2ISD_SD_RKS3R_KS1X_NS5_IJLi8ELi1ELi1ELi32EEEENS5_IJLi1ELi2ELi0ELi3EEEELi3ELi32ELi0ELb1ELb0ELb0EEENS3F_ILS3G_1EKSD_lLb1ELS3I_0EiEENSF_IJNS_12StaticBufferILS3G_4ESD_Li256ELb1EEES42_EEES3N_NS_25StaticBufferTupleOfVectorILS3G_4EfLi64ELi4ELb1ELb0EEEEEvRKT1_RKT2_RT3_RKT4_RT5_RKT6_RKT7_RT8_RKT9_RT10_RKT11_RT12_iENKUlT_T0_E_clINSH_IiLi0EEESN_EEDaS51_S52_ENKUlS51_E_clINSH_IiLi4EEEEEDaS51_EUlS51_E_EEvS51_EUlS51_E_EEvS51_: ; @_ZNK2ck6detail7applierIiJLi0ELi1ELi2ELi3ELi4ELi5ELi6ELi7EEEclIZNKS_11static_fordINS_8SequenceIJLi1ELi8EEEENS5_IJLi0ELi1EEEEEclIZZZNKS_52BlockwiseGemmXdlops_pipeline_bpreshuffle_bdequant_v3ILNS_26BlockGemmPipelineSchedulerE0ELi256ENS_9f8_fnuz_tENS_7pk_i4_tESC_fNS_16TensorDescriptorINS_5TupleIJNS_5EmbedINSF_IJNS_17integral_constantIiLi8EEENSH_IiLi256EEENSH_IiLi16EEEEEENSF_IJSK_NSH_IiLi128EEENSH_IiLi1EEEEEELb0EEENS_3XorINSF_IJSJ_SI_EEELb1EEENS_11PassThroughISK_EENS_7UnMergeINSF_IJSI_SN_EEELb0EEENST_ISJ_EESU_NST_ISI_EENS_21Merge_v3_division_modINSF_IJSJ_SN_EEEEESU_EEENSF_IJNS5_IJLi0EEEENS5_IJLi2ELi1EEEENS5_IJLi3EEEENS5_IJLi5EEEENS5_IJLi4EEEENS5_IJLi6EEEENS5_IJLi7EEEENS5_IJLi9ELi8EEEENS5_IJLi10EEEEEEENSF_IJNS5_IJLi1ELi2ELi3EEEENS5_IJLi4ELi5EEEES19_NS5_IJLi7ELi8EEEENS5_IJLi9EEEES1C_NS5_IJLi11EEEENS5_IJLi12EEEENS5_IJLi13EEEEEEENS5_IJLi11ELi12ELi13EEEENSH_IlLl32768EEEEENSE_INSF_IJNSV_INSF_IJSI_SN_SN_NSH_IiLi32EEEEEELb0EEEEEENSF_IJS14_EEENSF_IJNS5_IJLi1ELi2ELi3ELi4EEEEEEES1U_NSH_IlLl256EEEEENSE_INSF_IJSP_SS_SU_SX_SY_SU_SZ_S12_SU_NS10_INSF_IJSI_SK_EEEEENSV_INSF_IJSI_NSH_IiLi2EEESK_EEELb0EEEEEENSF_IJS14_S15_S16_S17_S18_S19_S1A_S1B_S1C_NS5_IJLi11ELi13EEEES1J_EEENSF_IJS1E_S1F_S19_S1G_S1H_S1C_S1I_S1J_S1K_NS5_IJLi14EEEENS5_IJLi15ELi16ELi17EEEEEEENS5_IJLi15ELi16ELi17ELi14EEEES1N_EENSE_INSF_IJS1R_NS10_ISW_EES22_EEENSF_IJS14_NS5_IJLi1ELi3EEEENS5_IJLi2EEEEEEENSF_IJS1U_S17_NS5_IJLi6ELi7ELi8EEEEEEENS5_IJLi6ELi7ELi8ELi5EEEES1W_EELi16ELi32ELi256ELi256ELi128ELi16ELi16ELi8ELi8ELi32ELb0EE3RunILb1ELNS_10TailNumberE0ENSE_INSF_IJNSG_INSF_IJiiEEENSF_IJiSN_EEELb0EEENSV_IS2N_Lb0EEENST_IiEEEEENSF_IJS14_S2E_NS5_IJLi1EEEEEEENSF_IJNS5_IJLi1ELi2EEEENS5_IJLi3ELi4EEEES17_EEENS5_IJLi3ELi5ELi4EEEElEES1O_NS_35ThreadGroupTensorSliceTransfer_v4r1INS_15ThisThreadBlockILi256EEENS_16tensor_operation12element_wise11PassThroughES35_LNS_25InMemoryDataOperationEnumE0ENS5_IJLi8ELi256ELi16EEEENS5_IJLi8ELi32ELi1EEEENS5_IJLi1ELi0ELi2EEEESC_SC_RKS2Z_KS1O_S39_NS5_IJLi0ELi1ELi2EEEELi2ELi2ELi16ELi16ELi1ELi1ELb0ELb1ELi2EiEENS_13DynamicBufferILNS_16AddressSpaceEnumE1EKSC_lLb1ELNS_22AmdBufferCoherenceEnumE0EiEENSF_IJNS3F_ILS3G_2ESC_S1N_Lb1ELS3I_0EiEES3K_EEENSF_IJiiiEEENSE_INSF_IJNSG_INSF_IJiiiiEEENSF_IJiiiSN_EEELb0EEEEEES1T_S1V_S1U_lEENS_32ThreadwiseTensorSliceTransfer_v2ISD_SD_RKS3R_KS1X_NS5_IJLi8ELi1ELi1ELi32EEEENS5_IJLi1ELi2ELi0ELi3EEEELi3ELi32ELi0ELb1ELb0ELb0EEENS3F_ILS3G_1EKSD_lLb1ELS3I_0EiEENSF_IJNS_12StaticBufferILS3G_4ESD_Li256ELb1EEES42_EEES3N_NS_25StaticBufferTupleOfVectorILS3G_4EfLi64ELi4ELb1ELb0EEEEEvRKT1_RKT2_RT3_RKT4_RT5_RKT6_RKT7_RT8_RKT9_RT10_RKT11_RT12_iENKUlT_T0_E_clINSH_IiLi0EEESN_EEDaS51_S52_ENKUlS51_E_clINSH_IiLi4EEEEEDaS51_EUlS51_E_EEvS51_EUlS51_E_EEvS51_
; %bb.0:
	s_waitcnt vmcnt(0) expcnt(0) lgkmcnt(0)
	flat_load_dwordx4 v[20:23], v[0:1] offset:16
	flat_load_dwordx2 v[18:19], v[0:1] offset:32
	s_movk_i32 s4, 0x7f
                                        ; implicit-def: $sgpr10
	s_waitcnt vmcnt(0) lgkmcnt(0)
	flat_load_dwordx4 v[14:17], v[20:21]
	flat_load_dwordx4 v[10:13], v[22:23]
	flat_load_dwordx4 v[6:9], v[20:21] offset:16
	flat_load_dwordx4 v[2:5], v[22:23] offset:16
	s_waitcnt vmcnt(0) lgkmcnt(0)
	v_cmp_gt_i16_sdwa s[6:7], v14, s4 src0_sel:BYTE_0 src1_sel:DWORD
	s_mov_b64 s[4:5], 0
	s_and_saveexec_b64 s[8:9], s[6:7]
	s_xor_b64 s[6:7], exec, s[8:9]
	s_cbranch_execnz .LBB6_2049
; %bb.1:
	s_or_saveexec_b64 s[6:7], s[6:7]
	v_mov_b32_e32 v20, s10
	s_xor_b64 exec, exec, s[6:7]
	s_cbranch_execnz .LBB6_2052
.LBB6_2:
	s_or_b64 exec, exec, s[6:7]
	s_and_saveexec_b64 s[6:7], s[4:5]
	s_cbranch_execz .LBB6_4
.LBB6_3:
	v_and_b32_e32 v20, 7, v14
	v_ffbh_u32_e32 v22, v20
	v_min_u32_e32 v22, 32, v22
	v_lshrrev_b16_e32 v21, 3, v14
	v_subrev_u32_e32 v23, 28, v22
	v_and_b32_e32 v21, 15, v21
	v_lshlrev_b32_e32 v23, v23, v14
	v_sub_u32_e32 v22, 29, v22
	v_and_b32_e32 v23, 7, v23
	v_cmp_eq_u16_e32 vcc, 0, v21
	v_cndmask_b32_e32 v20, v20, v23, vcc
	v_cndmask_b32_e32 v21, v21, v22, vcc
	v_lshlrev_b32_e32 v22, 24, v14
	v_mov_b32_e32 v23, 0x3b800000
	v_lshlrev_b32_e32 v20, 20, v20
	v_and_b32_e32 v22, 0x80000000, v22
	v_lshl_add_u32 v21, v21, 23, v23
	v_or3_b32 v20, v22, v21, v20
.LBB6_4:
	s_or_b64 exec, exec, s[6:7]
	s_movk_i32 s4, 0x7f
	v_cmp_gt_i16_sdwa s[6:7], v10, s4 src0_sel:BYTE_0 src1_sel:DWORD
	s_mov_b64 s[4:5], 0
                                        ; implicit-def: $sgpr10
	s_and_saveexec_b64 s[8:9], s[6:7]
	s_xor_b64 s[6:7], exec, s[8:9]
	s_cbranch_execnz .LBB6_2053
; %bb.5:
	s_or_saveexec_b64 s[6:7], s[6:7]
	v_mov_b32_e32 v21, s10
	s_xor_b64 exec, exec, s[6:7]
	s_cbranch_execnz .LBB6_2056
.LBB6_6:
	s_or_b64 exec, exec, s[6:7]
	s_and_saveexec_b64 s[6:7], s[4:5]
	s_cbranch_execz .LBB6_8
.LBB6_7:
	v_and_b32_e32 v21, 7, v10
	v_ffbh_u32_e32 v23, v21
	v_min_u32_e32 v23, 32, v23
	v_lshrrev_b16_e32 v22, 3, v10
	v_subrev_u32_e32 v24, 28, v23
	v_and_b32_e32 v22, 15, v22
	v_lshlrev_b32_e32 v24, v24, v10
	v_sub_u32_e32 v23, 29, v23
	v_and_b32_e32 v24, 7, v24
	v_cmp_eq_u16_e32 vcc, 0, v22
	v_cndmask_b32_e32 v21, v21, v24, vcc
	v_cndmask_b32_e32 v22, v22, v23, vcc
	v_lshlrev_b32_e32 v23, 24, v10
	v_mov_b32_e32 v24, 0x3b800000
	v_lshlrev_b32_e32 v21, 20, v21
	v_and_b32_e32 v23, 0x80000000, v23
	v_lshl_add_u32 v22, v22, 23, v24
	v_or3_b32 v21, v23, v22, v21
.LBB6_8:
	s_or_b64 exec, exec, s[6:7]
	flat_load_dwordx4 a[0:3], v[18:19] offset:512
	s_movk_i32 s4, 0x7f
                                        ; implicit-def: $sgpr10
	s_waitcnt vmcnt(0) lgkmcnt(0)
	v_mfma_f32_16x16x4f32 a[0:3], v20, v21, a[0:3]
	v_lshrrev_b32_e32 v21, 8, v14
	v_cmp_gt_i16_sdwa s[6:7], v21, s4 src0_sel:BYTE_0 src1_sel:DWORD
	s_mov_b64 s[4:5], 0
	s_and_saveexec_b64 s[8:9], s[6:7]
	s_xor_b64 s[6:7], exec, s[8:9]
	s_cbranch_execnz .LBB6_2057
; %bb.9:
	s_or_saveexec_b64 s[6:7], s[6:7]
	v_mov_b32_e32 v20, s10
	s_xor_b64 exec, exec, s[6:7]
	s_cbranch_execnz .LBB6_2060
.LBB6_10:
	s_or_b64 exec, exec, s[6:7]
	s_and_saveexec_b64 s[6:7], s[4:5]
	s_cbranch_execz .LBB6_12
.LBB6_11:
	v_bfe_u32 v20, v14, 8, 3
	v_ffbh_u32_e32 v23, v20
	v_min_u32_e32 v23, 32, v23
	v_lshrrev_b16_e32 v22, 3, v21
	v_subrev_u32_e32 v24, 28, v23
	v_and_b32_e32 v22, 15, v22
	v_lshlrev_b32_e32 v21, v24, v21
	v_sub_u32_e32 v23, 29, v23
	v_and_b32_e32 v21, 7, v21
	v_cmp_eq_u16_e32 vcc, 0, v22
	v_cndmask_b32_e32 v20, v20, v21, vcc
	v_cndmask_b32_e32 v21, v22, v23, vcc
	v_lshlrev_b32_e32 v22, 16, v14
	v_mov_b32_e32 v23, 0x3b800000
	v_lshlrev_b32_e32 v20, 20, v20
	v_and_b32_e32 v22, 0x80000000, v22
	v_lshl_add_u32 v21, v21, 23, v23
	v_or3_b32 v20, v22, v21, v20
.LBB6_12:
	s_or_b64 exec, exec, s[6:7]
	v_lshrrev_b32_e32 v21, 8, v10
	s_movk_i32 s4, 0x7f
	v_cmp_gt_i16_sdwa s[6:7], v21, s4 src0_sel:BYTE_0 src1_sel:DWORD
	s_mov_b64 s[4:5], 0
                                        ; implicit-def: $sgpr10
	s_and_saveexec_b64 s[8:9], s[6:7]
	s_xor_b64 s[6:7], exec, s[8:9]
	s_cbranch_execnz .LBB6_2061
; %bb.13:
	s_or_saveexec_b64 s[6:7], s[6:7]
	v_mov_b32_e32 v22, s10
	s_xor_b64 exec, exec, s[6:7]
	s_cbranch_execnz .LBB6_2064
.LBB6_14:
	s_or_b64 exec, exec, s[6:7]
	s_and_saveexec_b64 s[6:7], s[4:5]
	s_cbranch_execz .LBB6_16
.LBB6_15:
	v_bfe_u32 v22, v10, 8, 3
	v_ffbh_u32_e32 v24, v22
	v_min_u32_e32 v24, 32, v24
	v_lshrrev_b16_e32 v23, 3, v21
	v_subrev_u32_e32 v25, 28, v24
	v_and_b32_e32 v23, 15, v23
	v_lshlrev_b32_e32 v21, v25, v21
	v_sub_u32_e32 v24, 29, v24
	v_and_b32_e32 v21, 7, v21
	v_cmp_eq_u16_e32 vcc, 0, v23
	v_cndmask_b32_e32 v21, v22, v21, vcc
	v_cndmask_b32_e32 v22, v23, v24, vcc
	v_lshlrev_b32_e32 v23, 16, v10
	v_mov_b32_e32 v24, 0x3b800000
	v_lshlrev_b32_e32 v21, 20, v21
	v_and_b32_e32 v23, 0x80000000, v23
	v_lshl_add_u32 v22, v22, 23, v24
	v_or3_b32 v22, v23, v22, v21
.LBB6_16:
	s_or_b64 exec, exec, s[6:7]
	s_nop 0
	v_mfma_f32_16x16x4f32 a[0:3], v20, v22, a[0:3]
	s_movk_i32 s4, 0xff
	v_and_b32_sdwa v21, v14, s4 dst_sel:DWORD dst_unused:UNUSED_PAD src0_sel:WORD_1 src1_sel:DWORD
	s_movk_i32 s4, 0x7f
	v_cmp_lt_i16_e32 vcc, s4, v21
	s_mov_b64 s[4:5], 0
                                        ; implicit-def: $sgpr10
	s_and_saveexec_b64 s[6:7], vcc
	s_xor_b64 s[6:7], exec, s[6:7]
	s_cbranch_execnz .LBB6_2065
; %bb.17:
	s_or_saveexec_b64 s[6:7], s[6:7]
	v_mov_b32_e32 v20, s10
	s_xor_b64 exec, exec, s[6:7]
	s_cbranch_execnz .LBB6_2068
.LBB6_18:
	s_or_b64 exec, exec, s[6:7]
	s_and_saveexec_b64 s[6:7], s[4:5]
	s_cbranch_execz .LBB6_20
.LBB6_19:
	v_bfe_u32 v20, v14, 16, 3
	v_ffbh_u32_e32 v23, v20
	v_min_u32_e32 v23, 32, v23
	v_lshrrev_b32_e32 v21, 19, v14
	v_subrev_u32_e32 v24, 28, v23
	v_and_b32_e32 v21, 15, v21
	v_lshlrev_b32_sdwa v24, v24, v14 dst_sel:DWORD dst_unused:UNUSED_PAD src0_sel:DWORD src1_sel:WORD_1
	v_bfe_u32 v22, v14, 19, 4
	v_sub_u32_e32 v23, 29, v23
	v_and_b32_e32 v24, 7, v24
	v_cmp_eq_u16_e32 vcc, 0, v21
	v_cndmask_b32_e32 v20, v20, v24, vcc
	v_cndmask_b32_e32 v21, v22, v23, vcc
	v_lshlrev_b32_e32 v22, 8, v14
	v_mov_b32_e32 v23, 0x3b800000
	v_lshlrev_b32_e32 v20, 20, v20
	v_and_b32_e32 v22, 0x80000000, v22
	v_lshl_add_u32 v21, v21, 23, v23
	v_or3_b32 v20, v22, v21, v20
.LBB6_20:
	s_or_b64 exec, exec, s[6:7]
	s_movk_i32 s4, 0xff
	v_and_b32_sdwa v21, v10, s4 dst_sel:DWORD dst_unused:UNUSED_PAD src0_sel:WORD_1 src1_sel:DWORD
	s_movk_i32 s4, 0x7f
	v_cmp_lt_i16_e32 vcc, s4, v21
	s_mov_b64 s[4:5], 0
                                        ; implicit-def: $sgpr10
	s_and_saveexec_b64 s[6:7], vcc
	s_xor_b64 s[6:7], exec, s[6:7]
	s_cbranch_execnz .LBB6_2069
; %bb.21:
	s_or_saveexec_b64 s[6:7], s[6:7]
	v_mov_b32_e32 v22, s10
	s_xor_b64 exec, exec, s[6:7]
	s_cbranch_execnz .LBB6_2072
.LBB6_22:
	s_or_b64 exec, exec, s[6:7]
	s_and_saveexec_b64 s[6:7], s[4:5]
	s_cbranch_execz .LBB6_24
.LBB6_23:
	v_bfe_u32 v21, v10, 16, 3
	v_ffbh_u32_e32 v24, v21
	v_min_u32_e32 v24, 32, v24
	v_lshrrev_b32_e32 v22, 19, v10
	v_subrev_u32_e32 v25, 28, v24
	v_and_b32_e32 v22, 15, v22
	v_lshlrev_b32_sdwa v25, v25, v10 dst_sel:DWORD dst_unused:UNUSED_PAD src0_sel:DWORD src1_sel:WORD_1
	v_bfe_u32 v23, v10, 19, 4
	v_sub_u32_e32 v24, 29, v24
	v_and_b32_e32 v25, 7, v25
	v_cmp_eq_u16_e32 vcc, 0, v22
	v_cndmask_b32_e32 v21, v21, v25, vcc
	v_cndmask_b32_e32 v22, v23, v24, vcc
	v_lshlrev_b32_e32 v23, 8, v10
	v_mov_b32_e32 v24, 0x3b800000
	v_lshlrev_b32_e32 v21, 20, v21
	v_and_b32_e32 v23, 0x80000000, v23
	v_lshl_add_u32 v22, v22, 23, v24
	v_or3_b32 v22, v23, v22, v21
.LBB6_24:
	s_or_b64 exec, exec, s[6:7]
	s_nop 0
	v_mfma_f32_16x16x4f32 a[0:3], v20, v22, a[0:3]
	s_movk_i32 s4, 0x7f
	v_cmp_gt_i16_sdwa s[6:7], v14, s4 src0_sel:BYTE_3 src1_sel:DWORD
	s_mov_b64 s[4:5], 0
                                        ; implicit-def: $sgpr10
	s_and_saveexec_b64 s[8:9], s[6:7]
	s_xor_b64 s[6:7], exec, s[8:9]
	s_cbranch_execnz .LBB6_2073
; %bb.25:
	s_or_saveexec_b64 s[6:7], s[6:7]
	v_mov_b32_e32 v20, s10
	s_xor_b64 exec, exec, s[6:7]
	s_cbranch_execnz .LBB6_2076
.LBB6_26:
	s_or_b64 exec, exec, s[6:7]
	s_and_saveexec_b64 s[6:7], s[4:5]
	s_cbranch_execz .LBB6_28
.LBB6_27:
	v_bfe_u32 v20, v14, 24, 3
	v_ffbh_u32_e32 v24, v20
	v_min_u32_e32 v24, 32, v24
	v_lshrrev_b32_e32 v22, 27, v14
	v_subrev_u32_e32 v25, 28, v24
	v_and_b32_e32 v21, 0x80000000, v14
	v_and_b32_e32 v22, 15, v22
	v_bfe_u32 v23, v14, 27, 4
	v_lshlrev_b32_sdwa v14, v25, v14 dst_sel:DWORD dst_unused:UNUSED_PAD src0_sel:DWORD src1_sel:BYTE_3
	v_sub_u32_e32 v24, 29, v24
	v_and_b32_e32 v14, 7, v14
	v_cmp_eq_u16_e32 vcc, 0, v22
	v_cndmask_b32_e32 v14, v20, v14, vcc
	v_cndmask_b32_e32 v20, v23, v24, vcc
	v_mov_b32_e32 v22, 0x3b800000
	v_lshlrev_b32_e32 v14, 20, v14
	v_lshl_add_u32 v20, v20, 23, v22
	v_or3_b32 v20, v21, v20, v14
.LBB6_28:
	s_or_b64 exec, exec, s[6:7]
	s_movk_i32 s4, 0x7f
	v_cmp_gt_i16_sdwa s[6:7], v10, s4 src0_sel:BYTE_3 src1_sel:DWORD
	s_mov_b64 s[4:5], 0
                                        ; implicit-def: $sgpr10
	s_and_saveexec_b64 s[8:9], s[6:7]
	s_xor_b64 s[6:7], exec, s[8:9]
	s_cbranch_execnz .LBB6_2077
; %bb.29:
	s_or_saveexec_b64 s[6:7], s[6:7]
	v_mov_b32_e32 v14, s10
	s_xor_b64 exec, exec, s[6:7]
	s_cbranch_execnz .LBB6_2080
.LBB6_30:
	s_or_b64 exec, exec, s[6:7]
	s_and_saveexec_b64 s[6:7], s[4:5]
	s_cbranch_execz .LBB6_32
.LBB6_31:
	v_bfe_u32 v14, v10, 24, 3
	v_ffbh_u32_e32 v24, v14
	v_min_u32_e32 v24, 32, v24
	v_lshrrev_b32_e32 v22, 27, v10
	v_subrev_u32_e32 v25, 28, v24
	v_and_b32_e32 v21, 0x80000000, v10
	v_and_b32_e32 v22, 15, v22
	v_bfe_u32 v23, v10, 27, 4
	v_lshlrev_b32_sdwa v10, v25, v10 dst_sel:DWORD dst_unused:UNUSED_PAD src0_sel:DWORD src1_sel:BYTE_3
	v_sub_u32_e32 v24, 29, v24
	v_and_b32_e32 v10, 7, v10
	v_cmp_eq_u16_e32 vcc, 0, v22
	v_cndmask_b32_e32 v10, v14, v10, vcc
	v_cndmask_b32_e32 v14, v23, v24, vcc
	v_mov_b32_e32 v22, 0x3b800000
	v_lshlrev_b32_e32 v10, 20, v10
	v_lshl_add_u32 v14, v14, 23, v22
	v_or3_b32 v14, v21, v14, v10
.LBB6_32:
	s_or_b64 exec, exec, s[6:7]
	s_nop 0
	v_mfma_f32_16x16x4f32 a[0:3], v20, v14, a[0:3]
	s_movk_i32 s4, 0x7f
	v_cmp_gt_i16_sdwa s[6:7], v15, s4 src0_sel:BYTE_0 src1_sel:DWORD
	s_mov_b64 s[4:5], 0
                                        ; implicit-def: $sgpr10
	s_and_saveexec_b64 s[8:9], s[6:7]
	s_xor_b64 s[6:7], exec, s[8:9]
	s_cbranch_execnz .LBB6_2081
; %bb.33:
	s_or_saveexec_b64 s[6:7], s[6:7]
	v_mov_b32_e32 v10, s10
	s_xor_b64 exec, exec, s[6:7]
	s_cbranch_execnz .LBB6_2084
.LBB6_34:
	s_or_b64 exec, exec, s[6:7]
	s_and_saveexec_b64 s[6:7], s[4:5]
	s_cbranch_execz .LBB6_36
.LBB6_35:
	v_and_b32_e32 v10, 7, v15
	v_ffbh_u32_e32 v20, v10
	v_min_u32_e32 v20, 32, v20
	v_lshrrev_b16_e32 v14, 3, v15
	v_subrev_u32_e32 v21, 28, v20
	v_and_b32_e32 v14, 15, v14
	v_lshlrev_b32_e32 v21, v21, v15
	v_sub_u32_e32 v20, 29, v20
	v_and_b32_e32 v21, 7, v21
	v_cmp_eq_u16_e32 vcc, 0, v14
	v_cndmask_b32_e32 v10, v10, v21, vcc
	v_cndmask_b32_e32 v14, v14, v20, vcc
	v_lshlrev_b32_e32 v20, 24, v15
	v_mov_b32_e32 v21, 0x3b800000
	v_lshlrev_b32_e32 v10, 20, v10
	v_and_b32_e32 v20, 0x80000000, v20
	v_lshl_add_u32 v14, v14, 23, v21
	v_or3_b32 v10, v20, v14, v10
.LBB6_36:
	s_or_b64 exec, exec, s[6:7]
	s_movk_i32 s4, 0x7f
	v_cmp_gt_i16_sdwa s[6:7], v11, s4 src0_sel:BYTE_0 src1_sel:DWORD
	s_mov_b64 s[4:5], 0
                                        ; implicit-def: $sgpr10
	s_and_saveexec_b64 s[8:9], s[6:7]
	s_xor_b64 s[6:7], exec, s[8:9]
	s_cbranch_execnz .LBB6_2085
; %bb.37:
	s_or_saveexec_b64 s[6:7], s[6:7]
	v_mov_b32_e32 v14, s10
	s_xor_b64 exec, exec, s[6:7]
	s_cbranch_execnz .LBB6_2088
.LBB6_38:
	s_or_b64 exec, exec, s[6:7]
	s_and_saveexec_b64 s[6:7], s[4:5]
	s_cbranch_execz .LBB6_40
.LBB6_39:
	v_and_b32_e32 v14, 7, v11
	v_ffbh_u32_e32 v21, v14
	v_min_u32_e32 v21, 32, v21
	v_lshrrev_b16_e32 v20, 3, v11
	v_subrev_u32_e32 v22, 28, v21
	v_and_b32_e32 v20, 15, v20
	v_lshlrev_b32_e32 v22, v22, v11
	v_sub_u32_e32 v21, 29, v21
	v_and_b32_e32 v22, 7, v22
	v_cmp_eq_u16_e32 vcc, 0, v20
	v_cndmask_b32_e32 v14, v14, v22, vcc
	v_cndmask_b32_e32 v20, v20, v21, vcc
	v_lshlrev_b32_e32 v21, 24, v11
	v_mov_b32_e32 v22, 0x3b800000
	v_lshlrev_b32_e32 v14, 20, v14
	v_and_b32_e32 v21, 0x80000000, v21
	v_lshl_add_u32 v20, v20, 23, v22
	v_or3_b32 v14, v21, v20, v14
.LBB6_40:
	s_or_b64 exec, exec, s[6:7]
	s_nop 0
	v_mfma_f32_16x16x4f32 a[0:3], v10, v14, a[0:3]
	v_lshrrev_b32_e32 v14, 8, v15
	s_movk_i32 s4, 0x7f
	v_cmp_gt_i16_sdwa s[6:7], v14, s4 src0_sel:BYTE_0 src1_sel:DWORD
	s_mov_b64 s[4:5], 0
                                        ; implicit-def: $sgpr10
	s_and_saveexec_b64 s[8:9], s[6:7]
	s_xor_b64 s[6:7], exec, s[8:9]
	s_cbranch_execnz .LBB6_2089
; %bb.41:
	s_or_saveexec_b64 s[6:7], s[6:7]
	v_mov_b32_e32 v10, s10
	s_xor_b64 exec, exec, s[6:7]
	s_cbranch_execnz .LBB6_2092
.LBB6_42:
	s_or_b64 exec, exec, s[6:7]
	s_and_saveexec_b64 s[6:7], s[4:5]
	s_cbranch_execz .LBB6_44
.LBB6_43:
	v_bfe_u32 v10, v15, 8, 3
	v_ffbh_u32_e32 v21, v10
	v_min_u32_e32 v21, 32, v21
	v_lshrrev_b16_e32 v20, 3, v14
	v_subrev_u32_e32 v22, 28, v21
	v_and_b32_e32 v20, 15, v20
	v_lshlrev_b32_e32 v14, v22, v14
	v_sub_u32_e32 v21, 29, v21
	v_and_b32_e32 v14, 7, v14
	v_cmp_eq_u16_e32 vcc, 0, v20
	v_cndmask_b32_e32 v10, v10, v14, vcc
	v_cndmask_b32_e32 v14, v20, v21, vcc
	v_lshlrev_b32_e32 v20, 16, v15
	v_mov_b32_e32 v21, 0x3b800000
	v_lshlrev_b32_e32 v10, 20, v10
	v_and_b32_e32 v20, 0x80000000, v20
	v_lshl_add_u32 v14, v14, 23, v21
	v_or3_b32 v10, v20, v14, v10
.LBB6_44:
	s_or_b64 exec, exec, s[6:7]
	v_lshrrev_b32_e32 v14, 8, v11
	s_movk_i32 s4, 0x7f
	v_cmp_gt_i16_sdwa s[6:7], v14, s4 src0_sel:BYTE_0 src1_sel:DWORD
	s_mov_b64 s[4:5], 0
                                        ; implicit-def: $sgpr10
	s_and_saveexec_b64 s[8:9], s[6:7]
	s_xor_b64 s[6:7], exec, s[8:9]
	s_cbranch_execnz .LBB6_2093
; %bb.45:
	s_or_saveexec_b64 s[6:7], s[6:7]
	v_mov_b32_e32 v20, s10
	s_xor_b64 exec, exec, s[6:7]
	s_cbranch_execnz .LBB6_2096
.LBB6_46:
	s_or_b64 exec, exec, s[6:7]
	s_and_saveexec_b64 s[6:7], s[4:5]
	s_cbranch_execz .LBB6_48
.LBB6_47:
	v_bfe_u32 v20, v11, 8, 3
	v_ffbh_u32_e32 v22, v20
	v_min_u32_e32 v22, 32, v22
	v_lshrrev_b16_e32 v21, 3, v14
	v_subrev_u32_e32 v23, 28, v22
	v_and_b32_e32 v21, 15, v21
	v_lshlrev_b32_e32 v14, v23, v14
	v_sub_u32_e32 v22, 29, v22
	v_and_b32_e32 v14, 7, v14
	v_cmp_eq_u16_e32 vcc, 0, v21
	v_cndmask_b32_e32 v14, v20, v14, vcc
	v_cndmask_b32_e32 v20, v21, v22, vcc
	v_lshlrev_b32_e32 v21, 16, v11
	v_mov_b32_e32 v22, 0x3b800000
	v_lshlrev_b32_e32 v14, 20, v14
	v_and_b32_e32 v21, 0x80000000, v21
	v_lshl_add_u32 v20, v20, 23, v22
	v_or3_b32 v20, v21, v20, v14
.LBB6_48:
	s_or_b64 exec, exec, s[6:7]
	s_nop 0
	v_mfma_f32_16x16x4f32 a[0:3], v10, v20, a[0:3]
	s_movk_i32 s4, 0xff
	v_and_b32_sdwa v14, v15, s4 dst_sel:DWORD dst_unused:UNUSED_PAD src0_sel:WORD_1 src1_sel:DWORD
	s_movk_i32 s4, 0x7f
	v_cmp_lt_i16_e32 vcc, s4, v14
	s_mov_b64 s[4:5], 0
                                        ; implicit-def: $sgpr10
	s_and_saveexec_b64 s[6:7], vcc
	s_xor_b64 s[6:7], exec, s[6:7]
	s_cbranch_execnz .LBB6_2097
; %bb.49:
	s_or_saveexec_b64 s[6:7], s[6:7]
	v_mov_b32_e32 v10, s10
	s_xor_b64 exec, exec, s[6:7]
	s_cbranch_execnz .LBB6_2100
.LBB6_50:
	s_or_b64 exec, exec, s[6:7]
	s_and_saveexec_b64 s[6:7], s[4:5]
	s_cbranch_execz .LBB6_52
.LBB6_51:
	v_bfe_u32 v10, v15, 16, 3
	v_ffbh_u32_e32 v21, v10
	v_min_u32_e32 v21, 32, v21
	v_lshrrev_b32_e32 v14, 19, v15
	v_subrev_u32_e32 v22, 28, v21
	v_and_b32_e32 v14, 15, v14
	v_lshlrev_b32_sdwa v22, v22, v15 dst_sel:DWORD dst_unused:UNUSED_PAD src0_sel:DWORD src1_sel:WORD_1
	v_bfe_u32 v20, v15, 19, 4
	v_sub_u32_e32 v21, 29, v21
	v_and_b32_e32 v22, 7, v22
	v_cmp_eq_u16_e32 vcc, 0, v14
	v_cndmask_b32_e32 v10, v10, v22, vcc
	v_cndmask_b32_e32 v14, v20, v21, vcc
	v_lshlrev_b32_e32 v20, 8, v15
	v_mov_b32_e32 v21, 0x3b800000
	v_lshlrev_b32_e32 v10, 20, v10
	v_and_b32_e32 v20, 0x80000000, v20
	v_lshl_add_u32 v14, v14, 23, v21
	v_or3_b32 v10, v20, v14, v10
.LBB6_52:
	s_or_b64 exec, exec, s[6:7]
	s_movk_i32 s4, 0xff
	v_and_b32_sdwa v14, v11, s4 dst_sel:DWORD dst_unused:UNUSED_PAD src0_sel:WORD_1 src1_sel:DWORD
	s_movk_i32 s4, 0x7f
	v_cmp_lt_i16_e32 vcc, s4, v14
	s_mov_b64 s[4:5], 0
                                        ; implicit-def: $sgpr10
	s_and_saveexec_b64 s[6:7], vcc
	s_xor_b64 s[6:7], exec, s[6:7]
	s_cbranch_execnz .LBB6_2101
; %bb.53:
	s_or_saveexec_b64 s[6:7], s[6:7]
	v_mov_b32_e32 v20, s10
	s_xor_b64 exec, exec, s[6:7]
	s_cbranch_execnz .LBB6_2104
.LBB6_54:
	s_or_b64 exec, exec, s[6:7]
	s_and_saveexec_b64 s[6:7], s[4:5]
	s_cbranch_execz .LBB6_56
.LBB6_55:
	v_bfe_u32 v14, v11, 16, 3
	v_ffbh_u32_e32 v22, v14
	v_min_u32_e32 v22, 32, v22
	v_lshrrev_b32_e32 v20, 19, v11
	v_subrev_u32_e32 v23, 28, v22
	v_and_b32_e32 v20, 15, v20
	v_lshlrev_b32_sdwa v23, v23, v11 dst_sel:DWORD dst_unused:UNUSED_PAD src0_sel:DWORD src1_sel:WORD_1
	v_bfe_u32 v21, v11, 19, 4
	v_sub_u32_e32 v22, 29, v22
	v_and_b32_e32 v23, 7, v23
	v_cmp_eq_u16_e32 vcc, 0, v20
	v_cndmask_b32_e32 v14, v14, v23, vcc
	v_cndmask_b32_e32 v20, v21, v22, vcc
	v_lshlrev_b32_e32 v21, 8, v11
	v_mov_b32_e32 v22, 0x3b800000
	v_lshlrev_b32_e32 v14, 20, v14
	v_and_b32_e32 v21, 0x80000000, v21
	v_lshl_add_u32 v20, v20, 23, v22
	v_or3_b32 v20, v21, v20, v14
.LBB6_56:
	s_or_b64 exec, exec, s[6:7]
	s_nop 0
	v_mfma_f32_16x16x4f32 a[0:3], v10, v20, a[0:3]
	s_movk_i32 s4, 0x7f
	v_cmp_gt_i16_sdwa s[6:7], v15, s4 src0_sel:BYTE_3 src1_sel:DWORD
	s_mov_b64 s[4:5], 0
                                        ; implicit-def: $sgpr10
	s_and_saveexec_b64 s[8:9], s[6:7]
	s_xor_b64 s[6:7], exec, s[8:9]
	s_cbranch_execnz .LBB6_2105
; %bb.57:
	s_or_saveexec_b64 s[6:7], s[6:7]
	v_mov_b32_e32 v10, s10
	s_xor_b64 exec, exec, s[6:7]
	s_cbranch_execnz .LBB6_2108
.LBB6_58:
	s_or_b64 exec, exec, s[6:7]
	s_and_saveexec_b64 s[6:7], s[4:5]
	s_cbranch_execz .LBB6_60
.LBB6_59:
	v_bfe_u32 v10, v15, 24, 3
	v_ffbh_u32_e32 v22, v10
	v_min_u32_e32 v22, 32, v22
	v_lshrrev_b32_e32 v20, 27, v15
	v_subrev_u32_e32 v23, 28, v22
	v_and_b32_e32 v14, 0x80000000, v15
	v_and_b32_e32 v20, 15, v20
	v_bfe_u32 v21, v15, 27, 4
	v_lshlrev_b32_sdwa v15, v23, v15 dst_sel:DWORD dst_unused:UNUSED_PAD src0_sel:DWORD src1_sel:BYTE_3
	v_sub_u32_e32 v22, 29, v22
	v_and_b32_e32 v15, 7, v15
	v_cmp_eq_u16_e32 vcc, 0, v20
	v_cndmask_b32_e32 v10, v10, v15, vcc
	v_cndmask_b32_e32 v15, v21, v22, vcc
	v_mov_b32_e32 v20, 0x3b800000
	v_lshlrev_b32_e32 v10, 20, v10
	v_lshl_add_u32 v15, v15, 23, v20
	v_or3_b32 v10, v14, v15, v10
.LBB6_60:
	s_or_b64 exec, exec, s[6:7]
	s_movk_i32 s4, 0x7f
	v_cmp_gt_i16_sdwa s[6:7], v11, s4 src0_sel:BYTE_3 src1_sel:DWORD
	s_mov_b64 s[4:5], 0
                                        ; implicit-def: $sgpr10
	s_and_saveexec_b64 s[8:9], s[6:7]
	s_xor_b64 s[6:7], exec, s[8:9]
	s_cbranch_execnz .LBB6_2109
; %bb.61:
	s_or_saveexec_b64 s[6:7], s[6:7]
	v_mov_b32_e32 v14, s10
	s_xor_b64 exec, exec, s[6:7]
	s_cbranch_execnz .LBB6_2112
.LBB6_62:
	s_or_b64 exec, exec, s[6:7]
	s_and_saveexec_b64 s[6:7], s[4:5]
	s_cbranch_execz .LBB6_64
.LBB6_63:
	v_bfe_u32 v14, v11, 24, 3
	v_ffbh_u32_e32 v22, v14
	v_min_u32_e32 v22, 32, v22
	v_lshrrev_b32_e32 v20, 27, v11
	v_subrev_u32_e32 v23, 28, v22
	v_and_b32_e32 v15, 0x80000000, v11
	v_and_b32_e32 v20, 15, v20
	v_bfe_u32 v21, v11, 27, 4
	v_lshlrev_b32_sdwa v11, v23, v11 dst_sel:DWORD dst_unused:UNUSED_PAD src0_sel:DWORD src1_sel:BYTE_3
	v_sub_u32_e32 v22, 29, v22
	v_and_b32_e32 v11, 7, v11
	v_cmp_eq_u16_e32 vcc, 0, v20
	v_cndmask_b32_e32 v11, v14, v11, vcc
	v_cndmask_b32_e32 v14, v21, v22, vcc
	v_mov_b32_e32 v20, 0x3b800000
	v_lshlrev_b32_e32 v11, 20, v11
	v_lshl_add_u32 v14, v14, 23, v20
	v_or3_b32 v14, v15, v14, v11
.LBB6_64:
	s_or_b64 exec, exec, s[6:7]
	s_nop 0
	v_mfma_f32_16x16x4f32 a[0:3], v10, v14, a[0:3]
	s_movk_i32 s4, 0x7f
	v_cmp_gt_i16_sdwa s[6:7], v16, s4 src0_sel:BYTE_0 src1_sel:DWORD
	s_mov_b64 s[4:5], 0
                                        ; implicit-def: $sgpr10
	s_and_saveexec_b64 s[8:9], s[6:7]
	s_xor_b64 s[6:7], exec, s[8:9]
	s_cbranch_execnz .LBB6_2113
; %bb.65:
	s_or_saveexec_b64 s[6:7], s[6:7]
	v_mov_b32_e32 v10, s10
	s_xor_b64 exec, exec, s[6:7]
	s_cbranch_execnz .LBB6_2116
.LBB6_66:
	s_or_b64 exec, exec, s[6:7]
	s_and_saveexec_b64 s[6:7], s[4:5]
	s_cbranch_execz .LBB6_68
.LBB6_67:
	v_and_b32_e32 v10, 7, v16
	v_ffbh_u32_e32 v14, v10
	v_min_u32_e32 v14, 32, v14
	v_lshrrev_b16_e32 v11, 3, v16
	v_subrev_u32_e32 v15, 28, v14
	v_and_b32_e32 v11, 15, v11
	v_lshlrev_b32_e32 v15, v15, v16
	v_sub_u32_e32 v14, 29, v14
	v_and_b32_e32 v15, 7, v15
	v_cmp_eq_u16_e32 vcc, 0, v11
	v_cndmask_b32_e32 v10, v10, v15, vcc
	v_cndmask_b32_e32 v11, v11, v14, vcc
	v_lshlrev_b32_e32 v14, 24, v16
	v_mov_b32_e32 v15, 0x3b800000
	v_lshlrev_b32_e32 v10, 20, v10
	v_and_b32_e32 v14, 0x80000000, v14
	v_lshl_add_u32 v11, v11, 23, v15
	v_or3_b32 v10, v14, v11, v10
.LBB6_68:
	s_or_b64 exec, exec, s[6:7]
	s_movk_i32 s4, 0x7f
	v_cmp_gt_i16_sdwa s[6:7], v12, s4 src0_sel:BYTE_0 src1_sel:DWORD
	s_mov_b64 s[4:5], 0
                                        ; implicit-def: $sgpr10
	s_and_saveexec_b64 s[8:9], s[6:7]
	s_xor_b64 s[6:7], exec, s[8:9]
	s_cbranch_execnz .LBB6_2117
; %bb.69:
	s_or_saveexec_b64 s[6:7], s[6:7]
	v_mov_b32_e32 v11, s10
	s_xor_b64 exec, exec, s[6:7]
	s_cbranch_execnz .LBB6_2120
.LBB6_70:
	s_or_b64 exec, exec, s[6:7]
	s_and_saveexec_b64 s[6:7], s[4:5]
	s_cbranch_execz .LBB6_72
.LBB6_71:
	v_and_b32_e32 v11, 7, v12
	v_ffbh_u32_e32 v15, v11
	v_min_u32_e32 v15, 32, v15
	v_lshrrev_b16_e32 v14, 3, v12
	v_subrev_u32_e32 v20, 28, v15
	v_and_b32_e32 v14, 15, v14
	v_lshlrev_b32_e32 v20, v20, v12
	v_sub_u32_e32 v15, 29, v15
	v_and_b32_e32 v20, 7, v20
	v_cmp_eq_u16_e32 vcc, 0, v14
	v_cndmask_b32_e32 v11, v11, v20, vcc
	v_cndmask_b32_e32 v14, v14, v15, vcc
	v_lshlrev_b32_e32 v15, 24, v12
	v_mov_b32_e32 v20, 0x3b800000
	v_lshlrev_b32_e32 v11, 20, v11
	v_and_b32_e32 v15, 0x80000000, v15
	v_lshl_add_u32 v14, v14, 23, v20
	v_or3_b32 v11, v15, v14, v11
.LBB6_72:
	s_or_b64 exec, exec, s[6:7]
	s_nop 0
	v_mfma_f32_16x16x4f32 a[0:3], v10, v11, a[0:3]
	v_lshrrev_b32_e32 v11, 8, v16
	s_movk_i32 s4, 0x7f
	v_cmp_gt_i16_sdwa s[6:7], v11, s4 src0_sel:BYTE_0 src1_sel:DWORD
	s_mov_b64 s[4:5], 0
                                        ; implicit-def: $sgpr10
	s_and_saveexec_b64 s[8:9], s[6:7]
	s_xor_b64 s[6:7], exec, s[8:9]
	s_cbranch_execnz .LBB6_2121
; %bb.73:
	s_or_saveexec_b64 s[6:7], s[6:7]
	v_mov_b32_e32 v10, s10
	s_xor_b64 exec, exec, s[6:7]
	s_cbranch_execnz .LBB6_2124
.LBB6_74:
	s_or_b64 exec, exec, s[6:7]
	s_and_saveexec_b64 s[6:7], s[4:5]
	s_cbranch_execz .LBB6_76
.LBB6_75:
	v_bfe_u32 v10, v16, 8, 3
	v_ffbh_u32_e32 v15, v10
	v_min_u32_e32 v15, 32, v15
	v_lshrrev_b16_e32 v14, 3, v11
	v_subrev_u32_e32 v20, 28, v15
	v_and_b32_e32 v14, 15, v14
	v_lshlrev_b32_e32 v11, v20, v11
	v_sub_u32_e32 v15, 29, v15
	v_and_b32_e32 v11, 7, v11
	v_cmp_eq_u16_e32 vcc, 0, v14
	v_cndmask_b32_e32 v10, v10, v11, vcc
	v_cndmask_b32_e32 v11, v14, v15, vcc
	v_lshlrev_b32_e32 v14, 16, v16
	v_mov_b32_e32 v15, 0x3b800000
	v_lshlrev_b32_e32 v10, 20, v10
	v_and_b32_e32 v14, 0x80000000, v14
	v_lshl_add_u32 v11, v11, 23, v15
	v_or3_b32 v10, v14, v11, v10
.LBB6_76:
	s_or_b64 exec, exec, s[6:7]
	v_lshrrev_b32_e32 v11, 8, v12
	s_movk_i32 s4, 0x7f
	v_cmp_gt_i16_sdwa s[6:7], v11, s4 src0_sel:BYTE_0 src1_sel:DWORD
	s_mov_b64 s[4:5], 0
                                        ; implicit-def: $sgpr10
	s_and_saveexec_b64 s[8:9], s[6:7]
	s_xor_b64 s[6:7], exec, s[8:9]
	s_cbranch_execnz .LBB6_2125
; %bb.77:
	s_or_saveexec_b64 s[6:7], s[6:7]
	v_mov_b32_e32 v14, s10
	s_xor_b64 exec, exec, s[6:7]
	s_cbranch_execnz .LBB6_2128
.LBB6_78:
	s_or_b64 exec, exec, s[6:7]
	s_and_saveexec_b64 s[6:7], s[4:5]
	s_cbranch_execz .LBB6_80
.LBB6_79:
	v_bfe_u32 v14, v12, 8, 3
	v_ffbh_u32_e32 v20, v14
	v_min_u32_e32 v20, 32, v20
	v_lshrrev_b16_e32 v15, 3, v11
	v_subrev_u32_e32 v21, 28, v20
	v_and_b32_e32 v15, 15, v15
	v_lshlrev_b32_e32 v11, v21, v11
	v_sub_u32_e32 v20, 29, v20
	v_and_b32_e32 v11, 7, v11
	v_cmp_eq_u16_e32 vcc, 0, v15
	v_cndmask_b32_e32 v11, v14, v11, vcc
	v_cndmask_b32_e32 v14, v15, v20, vcc
	v_lshlrev_b32_e32 v15, 16, v12
	v_mov_b32_e32 v20, 0x3b800000
	v_lshlrev_b32_e32 v11, 20, v11
	v_and_b32_e32 v15, 0x80000000, v15
	v_lshl_add_u32 v14, v14, 23, v20
	v_or3_b32 v14, v15, v14, v11
.LBB6_80:
	s_or_b64 exec, exec, s[6:7]
	s_nop 0
	v_mfma_f32_16x16x4f32 a[0:3], v10, v14, a[0:3]
	s_movk_i32 s4, 0xff
	v_and_b32_sdwa v11, v16, s4 dst_sel:DWORD dst_unused:UNUSED_PAD src0_sel:WORD_1 src1_sel:DWORD
	s_movk_i32 s4, 0x7f
	v_cmp_lt_i16_e32 vcc, s4, v11
	s_mov_b64 s[4:5], 0
                                        ; implicit-def: $sgpr10
	s_and_saveexec_b64 s[6:7], vcc
	s_xor_b64 s[6:7], exec, s[6:7]
	s_cbranch_execnz .LBB6_2129
; %bb.81:
	s_or_saveexec_b64 s[6:7], s[6:7]
	v_mov_b32_e32 v10, s10
	s_xor_b64 exec, exec, s[6:7]
	s_cbranch_execnz .LBB6_2132
.LBB6_82:
	s_or_b64 exec, exec, s[6:7]
	s_and_saveexec_b64 s[6:7], s[4:5]
	s_cbranch_execz .LBB6_84
.LBB6_83:
	v_bfe_u32 v10, v16, 16, 3
	v_ffbh_u32_e32 v15, v10
	v_min_u32_e32 v15, 32, v15
	v_lshrrev_b32_e32 v11, 19, v16
	v_subrev_u32_e32 v20, 28, v15
	v_and_b32_e32 v11, 15, v11
	v_lshlrev_b32_sdwa v20, v20, v16 dst_sel:DWORD dst_unused:UNUSED_PAD src0_sel:DWORD src1_sel:WORD_1
	v_bfe_u32 v14, v16, 19, 4
	v_sub_u32_e32 v15, 29, v15
	v_and_b32_e32 v20, 7, v20
	v_cmp_eq_u16_e32 vcc, 0, v11
	v_cndmask_b32_e32 v10, v10, v20, vcc
	v_cndmask_b32_e32 v11, v14, v15, vcc
	v_lshlrev_b32_e32 v14, 8, v16
	v_mov_b32_e32 v15, 0x3b800000
	v_lshlrev_b32_e32 v10, 20, v10
	v_and_b32_e32 v14, 0x80000000, v14
	v_lshl_add_u32 v11, v11, 23, v15
	v_or3_b32 v10, v14, v11, v10
.LBB6_84:
	s_or_b64 exec, exec, s[6:7]
	s_movk_i32 s4, 0xff
	v_and_b32_sdwa v11, v12, s4 dst_sel:DWORD dst_unused:UNUSED_PAD src0_sel:WORD_1 src1_sel:DWORD
	s_movk_i32 s4, 0x7f
	v_cmp_lt_i16_e32 vcc, s4, v11
	s_mov_b64 s[4:5], 0
                                        ; implicit-def: $sgpr10
	s_and_saveexec_b64 s[6:7], vcc
	s_xor_b64 s[6:7], exec, s[6:7]
	s_cbranch_execnz .LBB6_2133
; %bb.85:
	s_or_saveexec_b64 s[6:7], s[6:7]
	v_mov_b32_e32 v14, s10
	s_xor_b64 exec, exec, s[6:7]
	s_cbranch_execnz .LBB6_2136
.LBB6_86:
	s_or_b64 exec, exec, s[6:7]
	s_and_saveexec_b64 s[6:7], s[4:5]
	s_cbranch_execz .LBB6_88
.LBB6_87:
	v_bfe_u32 v11, v12, 16, 3
	v_ffbh_u32_e32 v20, v11
	v_min_u32_e32 v20, 32, v20
	v_lshrrev_b32_e32 v14, 19, v12
	v_subrev_u32_e32 v21, 28, v20
	v_and_b32_e32 v14, 15, v14
	v_lshlrev_b32_sdwa v21, v21, v12 dst_sel:DWORD dst_unused:UNUSED_PAD src0_sel:DWORD src1_sel:WORD_1
	v_bfe_u32 v15, v12, 19, 4
	v_sub_u32_e32 v20, 29, v20
	v_and_b32_e32 v21, 7, v21
	v_cmp_eq_u16_e32 vcc, 0, v14
	v_cndmask_b32_e32 v11, v11, v21, vcc
	v_cndmask_b32_e32 v14, v15, v20, vcc
	v_lshlrev_b32_e32 v15, 8, v12
	v_mov_b32_e32 v20, 0x3b800000
	v_lshlrev_b32_e32 v11, 20, v11
	v_and_b32_e32 v15, 0x80000000, v15
	v_lshl_add_u32 v14, v14, 23, v20
	v_or3_b32 v14, v15, v14, v11
.LBB6_88:
	s_or_b64 exec, exec, s[6:7]
	s_nop 0
	v_mfma_f32_16x16x4f32 a[0:3], v10, v14, a[0:3]
	s_movk_i32 s4, 0x7f
	v_cmp_gt_i16_sdwa s[6:7], v16, s4 src0_sel:BYTE_3 src1_sel:DWORD
	s_mov_b64 s[4:5], 0
                                        ; implicit-def: $sgpr10
	s_and_saveexec_b64 s[8:9], s[6:7]
	s_xor_b64 s[6:7], exec, s[8:9]
	s_cbranch_execnz .LBB6_2137
; %bb.89:
	s_or_saveexec_b64 s[6:7], s[6:7]
	v_mov_b32_e32 v10, s10
	s_xor_b64 exec, exec, s[6:7]
	s_cbranch_execnz .LBB6_2140
.LBB6_90:
	s_or_b64 exec, exec, s[6:7]
	s_and_saveexec_b64 s[6:7], s[4:5]
	s_cbranch_execz .LBB6_92
.LBB6_91:
	v_bfe_u32 v10, v16, 24, 3
	v_ffbh_u32_e32 v20, v10
	v_min_u32_e32 v20, 32, v20
	v_lshrrev_b32_e32 v14, 27, v16
	v_subrev_u32_e32 v21, 28, v20
	v_and_b32_e32 v11, 0x80000000, v16
	v_and_b32_e32 v14, 15, v14
	v_bfe_u32 v15, v16, 27, 4
	v_lshlrev_b32_sdwa v16, v21, v16 dst_sel:DWORD dst_unused:UNUSED_PAD src0_sel:DWORD src1_sel:BYTE_3
	v_sub_u32_e32 v20, 29, v20
	v_and_b32_e32 v16, 7, v16
	v_cmp_eq_u16_e32 vcc, 0, v14
	v_cndmask_b32_e32 v10, v10, v16, vcc
	v_cndmask_b32_e32 v14, v15, v20, vcc
	v_mov_b32_e32 v15, 0x3b800000
	v_lshlrev_b32_e32 v10, 20, v10
	v_lshl_add_u32 v14, v14, 23, v15
	v_or3_b32 v10, v11, v14, v10
.LBB6_92:
	s_or_b64 exec, exec, s[6:7]
	s_movk_i32 s4, 0x7f
	v_cmp_gt_i16_sdwa s[6:7], v12, s4 src0_sel:BYTE_3 src1_sel:DWORD
	s_mov_b64 s[4:5], 0
                                        ; implicit-def: $sgpr10
	s_and_saveexec_b64 s[8:9], s[6:7]
	s_xor_b64 s[6:7], exec, s[8:9]
	s_cbranch_execnz .LBB6_2141
; %bb.93:
	s_or_saveexec_b64 s[6:7], s[6:7]
	v_mov_b32_e32 v11, s10
	s_xor_b64 exec, exec, s[6:7]
	s_cbranch_execnz .LBB6_2144
.LBB6_94:
	s_or_b64 exec, exec, s[6:7]
	s_and_saveexec_b64 s[6:7], s[4:5]
	s_cbranch_execz .LBB6_96
.LBB6_95:
	v_bfe_u32 v11, v12, 24, 3
	v_ffbh_u32_e32 v20, v11
	v_min_u32_e32 v20, 32, v20
	v_lshrrev_b32_e32 v15, 27, v12
	v_subrev_u32_e32 v21, 28, v20
	v_and_b32_e32 v14, 0x80000000, v12
	v_and_b32_e32 v15, 15, v15
	v_bfe_u32 v16, v12, 27, 4
	v_lshlrev_b32_sdwa v12, v21, v12 dst_sel:DWORD dst_unused:UNUSED_PAD src0_sel:DWORD src1_sel:BYTE_3
	v_sub_u32_e32 v20, 29, v20
	v_and_b32_e32 v12, 7, v12
	v_cmp_eq_u16_e32 vcc, 0, v15
	v_cndmask_b32_e32 v11, v11, v12, vcc
	v_cndmask_b32_e32 v12, v16, v20, vcc
	v_mov_b32_e32 v15, 0x3b800000
	v_lshlrev_b32_e32 v11, 20, v11
	v_lshl_add_u32 v12, v12, 23, v15
	v_or3_b32 v11, v14, v12, v11
.LBB6_96:
	s_or_b64 exec, exec, s[6:7]
	s_nop 0
	v_mfma_f32_16x16x4f32 a[0:3], v10, v11, a[0:3]
	s_movk_i32 s4, 0x7f
	v_cmp_gt_i16_sdwa s[6:7], v17, s4 src0_sel:BYTE_0 src1_sel:DWORD
	s_mov_b64 s[4:5], 0
                                        ; implicit-def: $sgpr10
	s_and_saveexec_b64 s[8:9], s[6:7]
	s_xor_b64 s[6:7], exec, s[8:9]
	s_cbranch_execnz .LBB6_2145
; %bb.97:
	s_or_saveexec_b64 s[6:7], s[6:7]
	v_mov_b32_e32 v10, s10
	s_xor_b64 exec, exec, s[6:7]
	s_cbranch_execnz .LBB6_2148
.LBB6_98:
	s_or_b64 exec, exec, s[6:7]
	s_and_saveexec_b64 s[6:7], s[4:5]
	s_cbranch_execz .LBB6_100
.LBB6_99:
	v_and_b32_e32 v10, 7, v17
	v_ffbh_u32_e32 v12, v10
	v_min_u32_e32 v12, 32, v12
	v_lshrrev_b16_e32 v11, 3, v17
	v_subrev_u32_e32 v14, 28, v12
	v_and_b32_e32 v11, 15, v11
	v_lshlrev_b32_e32 v14, v14, v17
	v_sub_u32_e32 v12, 29, v12
	v_and_b32_e32 v14, 7, v14
	v_cmp_eq_u16_e32 vcc, 0, v11
	v_cndmask_b32_e32 v10, v10, v14, vcc
	v_cndmask_b32_e32 v11, v11, v12, vcc
	v_lshlrev_b32_e32 v12, 24, v17
	v_mov_b32_e32 v14, 0x3b800000
	v_lshlrev_b32_e32 v10, 20, v10
	v_and_b32_e32 v12, 0x80000000, v12
	v_lshl_add_u32 v11, v11, 23, v14
	v_or3_b32 v10, v12, v11, v10
.LBB6_100:
	s_or_b64 exec, exec, s[6:7]
	s_movk_i32 s4, 0x7f
	v_cmp_gt_i16_sdwa s[6:7], v13, s4 src0_sel:BYTE_0 src1_sel:DWORD
	s_mov_b64 s[4:5], 0
                                        ; implicit-def: $sgpr10
	s_and_saveexec_b64 s[8:9], s[6:7]
	s_xor_b64 s[6:7], exec, s[8:9]
	s_cbranch_execnz .LBB6_2149
; %bb.101:
	s_or_saveexec_b64 s[6:7], s[6:7]
	v_mov_b32_e32 v11, s10
	s_xor_b64 exec, exec, s[6:7]
	s_cbranch_execnz .LBB6_2152
.LBB6_102:
	s_or_b64 exec, exec, s[6:7]
	s_and_saveexec_b64 s[6:7], s[4:5]
	s_cbranch_execz .LBB6_104
.LBB6_103:
	v_and_b32_e32 v11, 7, v13
	v_ffbh_u32_e32 v14, v11
	v_min_u32_e32 v14, 32, v14
	v_lshrrev_b16_e32 v12, 3, v13
	v_subrev_u32_e32 v15, 28, v14
	v_and_b32_e32 v12, 15, v12
	v_lshlrev_b32_e32 v15, v15, v13
	v_sub_u32_e32 v14, 29, v14
	v_and_b32_e32 v15, 7, v15
	v_cmp_eq_u16_e32 vcc, 0, v12
	v_cndmask_b32_e32 v11, v11, v15, vcc
	v_cndmask_b32_e32 v12, v12, v14, vcc
	v_lshlrev_b32_e32 v14, 24, v13
	v_mov_b32_e32 v15, 0x3b800000
	v_lshlrev_b32_e32 v11, 20, v11
	v_and_b32_e32 v14, 0x80000000, v14
	v_lshl_add_u32 v12, v12, 23, v15
	v_or3_b32 v11, v14, v12, v11
.LBB6_104:
	s_or_b64 exec, exec, s[6:7]
	s_nop 0
	v_mfma_f32_16x16x4f32 a[0:3], v10, v11, a[0:3]
	v_lshrrev_b32_e32 v11, 8, v17
	s_movk_i32 s4, 0x7f
	v_cmp_gt_i16_sdwa s[6:7], v11, s4 src0_sel:BYTE_0 src1_sel:DWORD
	s_mov_b64 s[4:5], 0
                                        ; implicit-def: $sgpr10
	s_and_saveexec_b64 s[8:9], s[6:7]
	s_xor_b64 s[6:7], exec, s[8:9]
	s_cbranch_execnz .LBB6_2153
; %bb.105:
	s_or_saveexec_b64 s[6:7], s[6:7]
	v_mov_b32_e32 v10, s10
	s_xor_b64 exec, exec, s[6:7]
	s_cbranch_execnz .LBB6_2156
.LBB6_106:
	s_or_b64 exec, exec, s[6:7]
	s_and_saveexec_b64 s[6:7], s[4:5]
	s_cbranch_execz .LBB6_108
.LBB6_107:
	v_bfe_u32 v10, v17, 8, 3
	v_ffbh_u32_e32 v14, v10
	v_min_u32_e32 v14, 32, v14
	v_lshrrev_b16_e32 v12, 3, v11
	v_subrev_u32_e32 v15, 28, v14
	v_and_b32_e32 v12, 15, v12
	v_lshlrev_b32_e32 v11, v15, v11
	v_sub_u32_e32 v14, 29, v14
	v_and_b32_e32 v11, 7, v11
	v_cmp_eq_u16_e32 vcc, 0, v12
	v_cndmask_b32_e32 v10, v10, v11, vcc
	v_cndmask_b32_e32 v11, v12, v14, vcc
	v_lshlrev_b32_e32 v12, 16, v17
	v_mov_b32_e32 v14, 0x3b800000
	v_lshlrev_b32_e32 v10, 20, v10
	v_and_b32_e32 v12, 0x80000000, v12
	v_lshl_add_u32 v11, v11, 23, v14
	v_or3_b32 v10, v12, v11, v10
.LBB6_108:
	s_or_b64 exec, exec, s[6:7]
	v_lshrrev_b32_e32 v11, 8, v13
	s_movk_i32 s4, 0x7f
	v_cmp_gt_i16_sdwa s[6:7], v11, s4 src0_sel:BYTE_0 src1_sel:DWORD
	s_mov_b64 s[4:5], 0
                                        ; implicit-def: $sgpr10
	s_and_saveexec_b64 s[8:9], s[6:7]
	s_xor_b64 s[6:7], exec, s[8:9]
	s_cbranch_execnz .LBB6_2157
; %bb.109:
	s_or_saveexec_b64 s[6:7], s[6:7]
	v_mov_b32_e32 v12, s10
	s_xor_b64 exec, exec, s[6:7]
	s_cbranch_execnz .LBB6_2160
.LBB6_110:
	s_or_b64 exec, exec, s[6:7]
	s_and_saveexec_b64 s[6:7], s[4:5]
	s_cbranch_execz .LBB6_112
.LBB6_111:
	v_bfe_u32 v12, v13, 8, 3
	v_ffbh_u32_e32 v15, v12
	v_min_u32_e32 v15, 32, v15
	v_lshrrev_b16_e32 v14, 3, v11
	v_subrev_u32_e32 v16, 28, v15
	v_and_b32_e32 v14, 15, v14
	v_lshlrev_b32_e32 v11, v16, v11
	v_sub_u32_e32 v15, 29, v15
	v_and_b32_e32 v11, 7, v11
	v_cmp_eq_u16_e32 vcc, 0, v14
	v_cndmask_b32_e32 v11, v12, v11, vcc
	v_cndmask_b32_e32 v12, v14, v15, vcc
	v_lshlrev_b32_e32 v14, 16, v13
	v_mov_b32_e32 v15, 0x3b800000
	v_lshlrev_b32_e32 v11, 20, v11
	v_and_b32_e32 v14, 0x80000000, v14
	v_lshl_add_u32 v12, v12, 23, v15
	v_or3_b32 v12, v14, v12, v11
.LBB6_112:
	s_or_b64 exec, exec, s[6:7]
	s_nop 0
	v_mfma_f32_16x16x4f32 a[0:3], v10, v12, a[0:3]
	s_movk_i32 s4, 0xff
	v_and_b32_sdwa v11, v17, s4 dst_sel:DWORD dst_unused:UNUSED_PAD src0_sel:WORD_1 src1_sel:DWORD
	s_movk_i32 s4, 0x7f
	v_cmp_lt_i16_e32 vcc, s4, v11
	s_mov_b64 s[4:5], 0
                                        ; implicit-def: $sgpr10
	s_and_saveexec_b64 s[6:7], vcc
	s_xor_b64 s[6:7], exec, s[6:7]
	s_cbranch_execnz .LBB6_2161
; %bb.113:
	s_or_saveexec_b64 s[6:7], s[6:7]
	v_mov_b32_e32 v10, s10
	s_xor_b64 exec, exec, s[6:7]
	s_cbranch_execnz .LBB6_2164
.LBB6_114:
	s_or_b64 exec, exec, s[6:7]
	s_and_saveexec_b64 s[6:7], s[4:5]
	s_cbranch_execz .LBB6_116
.LBB6_115:
	v_bfe_u32 v10, v17, 16, 3
	v_ffbh_u32_e32 v14, v10
	v_min_u32_e32 v14, 32, v14
	v_lshrrev_b32_e32 v11, 19, v17
	v_subrev_u32_e32 v15, 28, v14
	v_and_b32_e32 v11, 15, v11
	v_lshlrev_b32_sdwa v15, v15, v17 dst_sel:DWORD dst_unused:UNUSED_PAD src0_sel:DWORD src1_sel:WORD_1
	v_bfe_u32 v12, v17, 19, 4
	v_sub_u32_e32 v14, 29, v14
	v_and_b32_e32 v15, 7, v15
	v_cmp_eq_u16_e32 vcc, 0, v11
	v_cndmask_b32_e32 v10, v10, v15, vcc
	v_cndmask_b32_e32 v11, v12, v14, vcc
	v_lshlrev_b32_e32 v12, 8, v17
	v_mov_b32_e32 v14, 0x3b800000
	v_lshlrev_b32_e32 v10, 20, v10
	v_and_b32_e32 v12, 0x80000000, v12
	v_lshl_add_u32 v11, v11, 23, v14
	v_or3_b32 v10, v12, v11, v10
.LBB6_116:
	s_or_b64 exec, exec, s[6:7]
	s_movk_i32 s4, 0xff
	v_and_b32_sdwa v11, v13, s4 dst_sel:DWORD dst_unused:UNUSED_PAD src0_sel:WORD_1 src1_sel:DWORD
	s_movk_i32 s4, 0x7f
	v_cmp_lt_i16_e32 vcc, s4, v11
	s_mov_b64 s[4:5], 0
                                        ; implicit-def: $sgpr10
	s_and_saveexec_b64 s[6:7], vcc
	s_xor_b64 s[6:7], exec, s[6:7]
	s_cbranch_execnz .LBB6_2165
; %bb.117:
	s_or_saveexec_b64 s[6:7], s[6:7]
	v_mov_b32_e32 v12, s10
	s_xor_b64 exec, exec, s[6:7]
	s_cbranch_execnz .LBB6_2168
.LBB6_118:
	s_or_b64 exec, exec, s[6:7]
	s_and_saveexec_b64 s[6:7], s[4:5]
	s_cbranch_execz .LBB6_120
.LBB6_119:
	v_bfe_u32 v11, v13, 16, 3
	v_ffbh_u32_e32 v15, v11
	v_min_u32_e32 v15, 32, v15
	v_lshrrev_b32_e32 v12, 19, v13
	v_subrev_u32_e32 v16, 28, v15
	v_and_b32_e32 v12, 15, v12
	v_lshlrev_b32_sdwa v16, v16, v13 dst_sel:DWORD dst_unused:UNUSED_PAD src0_sel:DWORD src1_sel:WORD_1
	v_bfe_u32 v14, v13, 19, 4
	v_sub_u32_e32 v15, 29, v15
	v_and_b32_e32 v16, 7, v16
	v_cmp_eq_u16_e32 vcc, 0, v12
	v_cndmask_b32_e32 v11, v11, v16, vcc
	v_cndmask_b32_e32 v12, v14, v15, vcc
	v_lshlrev_b32_e32 v14, 8, v13
	v_mov_b32_e32 v15, 0x3b800000
	v_lshlrev_b32_e32 v11, 20, v11
	v_and_b32_e32 v14, 0x80000000, v14
	v_lshl_add_u32 v12, v12, 23, v15
	v_or3_b32 v12, v14, v12, v11
.LBB6_120:
	s_or_b64 exec, exec, s[6:7]
	s_nop 0
	v_mfma_f32_16x16x4f32 a[0:3], v10, v12, a[0:3]
	s_movk_i32 s4, 0x7f
	v_cmp_gt_i16_sdwa s[6:7], v17, s4 src0_sel:BYTE_3 src1_sel:DWORD
	s_mov_b64 s[4:5], 0
                                        ; implicit-def: $sgpr10
	s_and_saveexec_b64 s[8:9], s[6:7]
	s_xor_b64 s[6:7], exec, s[8:9]
	s_cbranch_execnz .LBB6_2169
; %bb.121:
	s_or_saveexec_b64 s[6:7], s[6:7]
	v_mov_b32_e32 v10, s10
	s_xor_b64 exec, exec, s[6:7]
	s_cbranch_execnz .LBB6_2172
.LBB6_122:
	s_or_b64 exec, exec, s[6:7]
	s_and_saveexec_b64 s[6:7], s[4:5]
	s_cbranch_execz .LBB6_124
.LBB6_123:
	v_bfe_u32 v10, v17, 24, 3
	v_ffbh_u32_e32 v15, v10
	v_min_u32_e32 v15, 32, v15
	v_lshrrev_b32_e32 v12, 27, v17
	v_subrev_u32_e32 v16, 28, v15
	v_and_b32_e32 v12, 15, v12
	v_lshlrev_b32_sdwa v16, v16, v17 dst_sel:DWORD dst_unused:UNUSED_PAD src0_sel:DWORD src1_sel:BYTE_3
	v_bfe_u32 v14, v17, 27, 4
	v_sub_u32_e32 v15, 29, v15
	v_and_b32_e32 v16, 7, v16
	v_cmp_eq_u16_e32 vcc, 0, v12
	v_cndmask_b32_e32 v10, v10, v16, vcc
	v_cndmask_b32_e32 v12, v14, v15, vcc
	v_mov_b32_e32 v14, 0x3b800000
	v_and_b32_e32 v11, 0x80000000, v17
	v_lshlrev_b32_e32 v10, 20, v10
	v_lshl_add_u32 v12, v12, 23, v14
	v_or3_b32 v10, v11, v12, v10
.LBB6_124:
	s_or_b64 exec, exec, s[6:7]
	s_movk_i32 s4, 0x7f
	v_cmp_gt_i16_sdwa s[6:7], v13, s4 src0_sel:BYTE_3 src1_sel:DWORD
	s_mov_b64 s[4:5], 0
                                        ; implicit-def: $sgpr10
	s_and_saveexec_b64 s[8:9], s[6:7]
	s_xor_b64 s[6:7], exec, s[8:9]
	s_cbranch_execnz .LBB6_2173
; %bb.125:
	s_or_saveexec_b64 s[6:7], s[6:7]
	v_mov_b32_e32 v11, s10
	s_xor_b64 exec, exec, s[6:7]
	s_cbranch_execnz .LBB6_2176
.LBB6_126:
	s_or_b64 exec, exec, s[6:7]
	s_and_saveexec_b64 s[6:7], s[4:5]
	s_cbranch_execz .LBB6_128
.LBB6_127:
	v_bfe_u32 v11, v13, 24, 3
	v_ffbh_u32_e32 v16, v11
	v_min_u32_e32 v16, 32, v16
	v_lshrrev_b32_e32 v14, 27, v13
	v_subrev_u32_e32 v17, 28, v16
	v_and_b32_e32 v12, 0x80000000, v13
	v_and_b32_e32 v14, 15, v14
	v_bfe_u32 v15, v13, 27, 4
	v_lshlrev_b32_sdwa v13, v17, v13 dst_sel:DWORD dst_unused:UNUSED_PAD src0_sel:DWORD src1_sel:BYTE_3
	v_sub_u32_e32 v16, 29, v16
	v_and_b32_e32 v13, 7, v13
	v_cmp_eq_u16_e32 vcc, 0, v14
	v_cndmask_b32_e32 v11, v11, v13, vcc
	v_cndmask_b32_e32 v13, v15, v16, vcc
	v_mov_b32_e32 v14, 0x3b800000
	v_lshlrev_b32_e32 v11, 20, v11
	v_lshl_add_u32 v13, v13, 23, v14
	v_or3_b32 v11, v12, v13, v11
.LBB6_128:
	s_or_b64 exec, exec, s[6:7]
	s_nop 0
	v_mfma_f32_16x16x4f32 a[0:3], v10, v11, a[0:3]
	s_movk_i32 s4, 0x7f
	v_cmp_gt_i16_sdwa s[6:7], v6, s4 src0_sel:BYTE_0 src1_sel:DWORD
	s_mov_b64 s[4:5], 0
                                        ; implicit-def: $sgpr10
	s_and_saveexec_b64 s[8:9], s[6:7]
	s_xor_b64 s[6:7], exec, s[8:9]
	s_cbranch_execnz .LBB6_2177
; %bb.129:
	s_or_saveexec_b64 s[6:7], s[6:7]
	v_mov_b32_e32 v10, s10
	s_xor_b64 exec, exec, s[6:7]
	s_cbranch_execnz .LBB6_2180
.LBB6_130:
	s_or_b64 exec, exec, s[6:7]
	s_and_saveexec_b64 s[6:7], s[4:5]
	s_cbranch_execz .LBB6_132
.LBB6_131:
	v_and_b32_e32 v10, 7, v6
	v_ffbh_u32_e32 v12, v10
	v_min_u32_e32 v12, 32, v12
	v_lshrrev_b16_e32 v11, 3, v6
	v_subrev_u32_e32 v13, 28, v12
	v_and_b32_e32 v11, 15, v11
	v_lshlrev_b32_e32 v13, v13, v6
	v_sub_u32_e32 v12, 29, v12
	v_and_b32_e32 v13, 7, v13
	v_cmp_eq_u16_e32 vcc, 0, v11
	v_cndmask_b32_e32 v10, v10, v13, vcc
	v_cndmask_b32_e32 v11, v11, v12, vcc
	v_lshlrev_b32_e32 v12, 24, v6
	v_mov_b32_e32 v13, 0x3b800000
	v_lshlrev_b32_e32 v10, 20, v10
	v_and_b32_e32 v12, 0x80000000, v12
	v_lshl_add_u32 v11, v11, 23, v13
	v_or3_b32 v10, v12, v11, v10
.LBB6_132:
	s_or_b64 exec, exec, s[6:7]
	s_movk_i32 s4, 0x7f
	v_cmp_gt_i16_sdwa s[6:7], v2, s4 src0_sel:BYTE_0 src1_sel:DWORD
	s_mov_b64 s[4:5], 0
                                        ; implicit-def: $sgpr10
	s_and_saveexec_b64 s[8:9], s[6:7]
	s_xor_b64 s[6:7], exec, s[8:9]
	s_cbranch_execnz .LBB6_2181
; %bb.133:
	s_or_saveexec_b64 s[6:7], s[6:7]
	v_mov_b32_e32 v11, s10
	s_xor_b64 exec, exec, s[6:7]
	s_cbranch_execnz .LBB6_2184
.LBB6_134:
	s_or_b64 exec, exec, s[6:7]
	s_and_saveexec_b64 s[6:7], s[4:5]
	s_cbranch_execz .LBB6_136
.LBB6_135:
	v_and_b32_e32 v11, 7, v2
	v_ffbh_u32_e32 v13, v11
	v_min_u32_e32 v13, 32, v13
	v_lshrrev_b16_e32 v12, 3, v2
	v_subrev_u32_e32 v14, 28, v13
	v_and_b32_e32 v12, 15, v12
	v_lshlrev_b32_e32 v14, v14, v2
	v_sub_u32_e32 v13, 29, v13
	v_and_b32_e32 v14, 7, v14
	v_cmp_eq_u16_e32 vcc, 0, v12
	v_cndmask_b32_e32 v11, v11, v14, vcc
	v_cndmask_b32_e32 v12, v12, v13, vcc
	v_lshlrev_b32_e32 v13, 24, v2
	v_mov_b32_e32 v14, 0x3b800000
	v_lshlrev_b32_e32 v11, 20, v11
	v_and_b32_e32 v13, 0x80000000, v13
	v_lshl_add_u32 v12, v12, 23, v14
	v_or3_b32 v11, v13, v12, v11
.LBB6_136:
	s_or_b64 exec, exec, s[6:7]
	s_nop 0
	v_mfma_f32_16x16x4f32 a[0:3], v10, v11, a[0:3]
	v_lshrrev_b32_e32 v11, 8, v6
	s_movk_i32 s4, 0x7f
	v_cmp_gt_i16_sdwa s[6:7], v11, s4 src0_sel:BYTE_0 src1_sel:DWORD
	s_mov_b64 s[4:5], 0
                                        ; implicit-def: $sgpr10
	s_and_saveexec_b64 s[8:9], s[6:7]
	s_xor_b64 s[6:7], exec, s[8:9]
	s_cbranch_execnz .LBB6_2185
; %bb.137:
	s_or_saveexec_b64 s[6:7], s[6:7]
	v_mov_b32_e32 v10, s10
	s_xor_b64 exec, exec, s[6:7]
	s_cbranch_execnz .LBB6_2188
.LBB6_138:
	s_or_b64 exec, exec, s[6:7]
	s_and_saveexec_b64 s[6:7], s[4:5]
	s_cbranch_execz .LBB6_140
.LBB6_139:
	v_bfe_u32 v10, v6, 8, 3
	v_ffbh_u32_e32 v13, v10
	v_min_u32_e32 v13, 32, v13
	v_lshrrev_b16_e32 v12, 3, v11
	v_subrev_u32_e32 v14, 28, v13
	v_and_b32_e32 v12, 15, v12
	v_lshlrev_b32_e32 v11, v14, v11
	v_sub_u32_e32 v13, 29, v13
	v_and_b32_e32 v11, 7, v11
	v_cmp_eq_u16_e32 vcc, 0, v12
	v_cndmask_b32_e32 v10, v10, v11, vcc
	v_cndmask_b32_e32 v11, v12, v13, vcc
	v_lshlrev_b32_e32 v12, 16, v6
	v_mov_b32_e32 v13, 0x3b800000
	v_lshlrev_b32_e32 v10, 20, v10
	v_and_b32_e32 v12, 0x80000000, v12
	v_lshl_add_u32 v11, v11, 23, v13
	v_or3_b32 v10, v12, v11, v10
.LBB6_140:
	s_or_b64 exec, exec, s[6:7]
	v_lshrrev_b32_e32 v11, 8, v2
	s_movk_i32 s4, 0x7f
	v_cmp_gt_i16_sdwa s[6:7], v11, s4 src0_sel:BYTE_0 src1_sel:DWORD
	s_mov_b64 s[4:5], 0
                                        ; implicit-def: $sgpr10
	s_and_saveexec_b64 s[8:9], s[6:7]
	s_xor_b64 s[6:7], exec, s[8:9]
	s_cbranch_execnz .LBB6_2189
; %bb.141:
	s_or_saveexec_b64 s[6:7], s[6:7]
	v_mov_b32_e32 v12, s10
	s_xor_b64 exec, exec, s[6:7]
	s_cbranch_execnz .LBB6_2192
.LBB6_142:
	s_or_b64 exec, exec, s[6:7]
	s_and_saveexec_b64 s[6:7], s[4:5]
	s_cbranch_execz .LBB6_144
.LBB6_143:
	v_bfe_u32 v12, v2, 8, 3
	v_ffbh_u32_e32 v14, v12
	v_min_u32_e32 v14, 32, v14
	v_lshrrev_b16_e32 v13, 3, v11
	v_subrev_u32_e32 v15, 28, v14
	v_and_b32_e32 v13, 15, v13
	v_lshlrev_b32_e32 v11, v15, v11
	v_sub_u32_e32 v14, 29, v14
	v_and_b32_e32 v11, 7, v11
	v_cmp_eq_u16_e32 vcc, 0, v13
	v_cndmask_b32_e32 v11, v12, v11, vcc
	v_cndmask_b32_e32 v12, v13, v14, vcc
	v_lshlrev_b32_e32 v13, 16, v2
	v_mov_b32_e32 v14, 0x3b800000
	v_lshlrev_b32_e32 v11, 20, v11
	v_and_b32_e32 v13, 0x80000000, v13
	v_lshl_add_u32 v12, v12, 23, v14
	v_or3_b32 v12, v13, v12, v11
.LBB6_144:
	s_or_b64 exec, exec, s[6:7]
	s_nop 0
	v_mfma_f32_16x16x4f32 a[0:3], v10, v12, a[0:3]
	s_movk_i32 s4, 0xff
	v_and_b32_sdwa v11, v6, s4 dst_sel:DWORD dst_unused:UNUSED_PAD src0_sel:WORD_1 src1_sel:DWORD
	s_movk_i32 s4, 0x7f
	v_cmp_lt_i16_e32 vcc, s4, v11
	s_mov_b64 s[4:5], 0
                                        ; implicit-def: $sgpr10
	s_and_saveexec_b64 s[6:7], vcc
	s_xor_b64 s[6:7], exec, s[6:7]
	s_cbranch_execnz .LBB6_2193
; %bb.145:
	s_or_saveexec_b64 s[6:7], s[6:7]
	v_mov_b32_e32 v10, s10
	s_xor_b64 exec, exec, s[6:7]
	s_cbranch_execnz .LBB6_2196
.LBB6_146:
	s_or_b64 exec, exec, s[6:7]
	s_and_saveexec_b64 s[6:7], s[4:5]
	s_cbranch_execz .LBB6_148
.LBB6_147:
	v_bfe_u32 v10, v6, 16, 3
	v_ffbh_u32_e32 v13, v10
	v_min_u32_e32 v13, 32, v13
	v_lshrrev_b32_e32 v11, 19, v6
	v_subrev_u32_e32 v14, 28, v13
	v_and_b32_e32 v11, 15, v11
	v_lshlrev_b32_sdwa v14, v14, v6 dst_sel:DWORD dst_unused:UNUSED_PAD src0_sel:DWORD src1_sel:WORD_1
	v_bfe_u32 v12, v6, 19, 4
	v_sub_u32_e32 v13, 29, v13
	v_and_b32_e32 v14, 7, v14
	v_cmp_eq_u16_e32 vcc, 0, v11
	v_cndmask_b32_e32 v10, v10, v14, vcc
	v_cndmask_b32_e32 v11, v12, v13, vcc
	v_lshlrev_b32_e32 v12, 8, v6
	v_mov_b32_e32 v13, 0x3b800000
	v_lshlrev_b32_e32 v10, 20, v10
	v_and_b32_e32 v12, 0x80000000, v12
	v_lshl_add_u32 v11, v11, 23, v13
	v_or3_b32 v10, v12, v11, v10
.LBB6_148:
	s_or_b64 exec, exec, s[6:7]
	s_movk_i32 s4, 0xff
	v_and_b32_sdwa v11, v2, s4 dst_sel:DWORD dst_unused:UNUSED_PAD src0_sel:WORD_1 src1_sel:DWORD
	s_movk_i32 s4, 0x7f
	v_cmp_lt_i16_e32 vcc, s4, v11
	s_mov_b64 s[4:5], 0
                                        ; implicit-def: $sgpr10
	s_and_saveexec_b64 s[6:7], vcc
	s_xor_b64 s[6:7], exec, s[6:7]
	s_cbranch_execnz .LBB6_2197
; %bb.149:
	s_or_saveexec_b64 s[6:7], s[6:7]
	v_mov_b32_e32 v12, s10
	s_xor_b64 exec, exec, s[6:7]
	s_cbranch_execnz .LBB6_2200
.LBB6_150:
	s_or_b64 exec, exec, s[6:7]
	s_and_saveexec_b64 s[6:7], s[4:5]
	s_cbranch_execz .LBB6_152
.LBB6_151:
	v_bfe_u32 v11, v2, 16, 3
	v_ffbh_u32_e32 v14, v11
	v_min_u32_e32 v14, 32, v14
	v_lshrrev_b32_e32 v12, 19, v2
	v_subrev_u32_e32 v15, 28, v14
	v_and_b32_e32 v12, 15, v12
	v_lshlrev_b32_sdwa v15, v15, v2 dst_sel:DWORD dst_unused:UNUSED_PAD src0_sel:DWORD src1_sel:WORD_1
	v_bfe_u32 v13, v2, 19, 4
	v_sub_u32_e32 v14, 29, v14
	v_and_b32_e32 v15, 7, v15
	v_cmp_eq_u16_e32 vcc, 0, v12
	v_cndmask_b32_e32 v11, v11, v15, vcc
	v_cndmask_b32_e32 v12, v13, v14, vcc
	v_lshlrev_b32_e32 v13, 8, v2
	v_mov_b32_e32 v14, 0x3b800000
	v_lshlrev_b32_e32 v11, 20, v11
	v_and_b32_e32 v13, 0x80000000, v13
	v_lshl_add_u32 v12, v12, 23, v14
	v_or3_b32 v12, v13, v12, v11
.LBB6_152:
	s_or_b64 exec, exec, s[6:7]
	s_nop 0
	v_mfma_f32_16x16x4f32 a[0:3], v10, v12, a[0:3]
	s_movk_i32 s4, 0x7f
	v_cmp_gt_i16_sdwa s[6:7], v6, s4 src0_sel:BYTE_3 src1_sel:DWORD
	s_mov_b64 s[4:5], 0
                                        ; implicit-def: $sgpr10
	s_and_saveexec_b64 s[8:9], s[6:7]
	s_xor_b64 s[6:7], exec, s[8:9]
	s_cbranch_execnz .LBB6_2201
; %bb.153:
	s_or_saveexec_b64 s[6:7], s[6:7]
	v_mov_b32_e32 v10, s10
	s_xor_b64 exec, exec, s[6:7]
	s_cbranch_execnz .LBB6_2204
.LBB6_154:
	s_or_b64 exec, exec, s[6:7]
	s_and_saveexec_b64 s[6:7], s[4:5]
	s_cbranch_execz .LBB6_156
.LBB6_155:
	v_bfe_u32 v10, v6, 24, 3
	v_ffbh_u32_e32 v14, v10
	v_min_u32_e32 v14, 32, v14
	v_lshrrev_b32_e32 v12, 27, v6
	v_subrev_u32_e32 v15, 28, v14
	v_and_b32_e32 v11, 0x80000000, v6
	v_and_b32_e32 v12, 15, v12
	v_bfe_u32 v13, v6, 27, 4
	v_lshlrev_b32_sdwa v6, v15, v6 dst_sel:DWORD dst_unused:UNUSED_PAD src0_sel:DWORD src1_sel:BYTE_3
	v_sub_u32_e32 v14, 29, v14
	v_and_b32_e32 v6, 7, v6
	v_cmp_eq_u16_e32 vcc, 0, v12
	v_cndmask_b32_e32 v6, v10, v6, vcc
	v_cndmask_b32_e32 v10, v13, v14, vcc
	v_mov_b32_e32 v12, 0x3b800000
	v_lshlrev_b32_e32 v6, 20, v6
	v_lshl_add_u32 v10, v10, 23, v12
	v_or3_b32 v10, v11, v10, v6
.LBB6_156:
	s_or_b64 exec, exec, s[6:7]
	s_movk_i32 s4, 0x7f
	v_cmp_gt_i16_sdwa s[6:7], v2, s4 src0_sel:BYTE_3 src1_sel:DWORD
	s_mov_b64 s[4:5], 0
                                        ; implicit-def: $sgpr10
	s_and_saveexec_b64 s[8:9], s[6:7]
	s_xor_b64 s[6:7], exec, s[8:9]
	s_cbranch_execnz .LBB6_2205
; %bb.157:
	s_or_saveexec_b64 s[6:7], s[6:7]
	v_mov_b32_e32 v6, s10
	s_xor_b64 exec, exec, s[6:7]
	s_cbranch_execnz .LBB6_2208
.LBB6_158:
	s_or_b64 exec, exec, s[6:7]
	s_and_saveexec_b64 s[6:7], s[4:5]
	s_cbranch_execz .LBB6_160
.LBB6_159:
	v_bfe_u32 v6, v2, 24, 3
	v_ffbh_u32_e32 v14, v6
	v_min_u32_e32 v14, 32, v14
	v_lshrrev_b32_e32 v12, 27, v2
	v_subrev_u32_e32 v15, 28, v14
	v_and_b32_e32 v11, 0x80000000, v2
	v_and_b32_e32 v12, 15, v12
	v_bfe_u32 v13, v2, 27, 4
	v_lshlrev_b32_sdwa v2, v15, v2 dst_sel:DWORD dst_unused:UNUSED_PAD src0_sel:DWORD src1_sel:BYTE_3
	v_sub_u32_e32 v14, 29, v14
	v_and_b32_e32 v2, 7, v2
	v_cmp_eq_u16_e32 vcc, 0, v12
	v_cndmask_b32_e32 v2, v6, v2, vcc
	v_cndmask_b32_e32 v6, v13, v14, vcc
	v_mov_b32_e32 v12, 0x3b800000
	v_lshlrev_b32_e32 v2, 20, v2
	v_lshl_add_u32 v6, v6, 23, v12
	v_or3_b32 v6, v11, v6, v2
.LBB6_160:
	s_or_b64 exec, exec, s[6:7]
	s_nop 0
	v_mfma_f32_16x16x4f32 a[0:3], v10, v6, a[0:3]
	s_movk_i32 s4, 0x7f
	v_cmp_gt_i16_sdwa s[6:7], v7, s4 src0_sel:BYTE_0 src1_sel:DWORD
	s_mov_b64 s[4:5], 0
                                        ; implicit-def: $sgpr10
	s_and_saveexec_b64 s[8:9], s[6:7]
	s_xor_b64 s[6:7], exec, s[8:9]
	s_cbranch_execnz .LBB6_2209
; %bb.161:
	s_or_saveexec_b64 s[6:7], s[6:7]
	v_mov_b32_e32 v2, s10
	s_xor_b64 exec, exec, s[6:7]
	s_cbranch_execnz .LBB6_2212
.LBB6_162:
	s_or_b64 exec, exec, s[6:7]
	s_and_saveexec_b64 s[6:7], s[4:5]
	s_cbranch_execz .LBB6_164
.LBB6_163:
	v_and_b32_e32 v2, 7, v7
	v_ffbh_u32_e32 v10, v2
	v_min_u32_e32 v10, 32, v10
	v_lshrrev_b16_e32 v6, 3, v7
	v_subrev_u32_e32 v11, 28, v10
	v_and_b32_e32 v6, 15, v6
	v_lshlrev_b32_e32 v11, v11, v7
	v_sub_u32_e32 v10, 29, v10
	v_and_b32_e32 v11, 7, v11
	v_cmp_eq_u16_e32 vcc, 0, v6
	v_cndmask_b32_e32 v2, v2, v11, vcc
	v_cndmask_b32_e32 v6, v6, v10, vcc
	v_lshlrev_b32_e32 v10, 24, v7
	v_mov_b32_e32 v11, 0x3b800000
	v_lshlrev_b32_e32 v2, 20, v2
	v_and_b32_e32 v10, 0x80000000, v10
	v_lshl_add_u32 v6, v6, 23, v11
	v_or3_b32 v2, v10, v6, v2
.LBB6_164:
	s_or_b64 exec, exec, s[6:7]
	s_movk_i32 s4, 0x7f
	v_cmp_gt_i16_sdwa s[6:7], v3, s4 src0_sel:BYTE_0 src1_sel:DWORD
	s_mov_b64 s[4:5], 0
                                        ; implicit-def: $sgpr10
	s_and_saveexec_b64 s[8:9], s[6:7]
	s_xor_b64 s[6:7], exec, s[8:9]
	s_cbranch_execnz .LBB6_2213
; %bb.165:
	s_or_saveexec_b64 s[6:7], s[6:7]
	v_mov_b32_e32 v6, s10
	s_xor_b64 exec, exec, s[6:7]
	s_cbranch_execnz .LBB6_2216
.LBB6_166:
	s_or_b64 exec, exec, s[6:7]
	s_and_saveexec_b64 s[6:7], s[4:5]
	s_cbranch_execz .LBB6_168
.LBB6_167:
	v_and_b32_e32 v6, 7, v3
	v_ffbh_u32_e32 v11, v6
	v_min_u32_e32 v11, 32, v11
	v_lshrrev_b16_e32 v10, 3, v3
	v_subrev_u32_e32 v12, 28, v11
	v_and_b32_e32 v10, 15, v10
	v_lshlrev_b32_e32 v12, v12, v3
	v_sub_u32_e32 v11, 29, v11
	v_and_b32_e32 v12, 7, v12
	v_cmp_eq_u16_e32 vcc, 0, v10
	v_cndmask_b32_e32 v6, v6, v12, vcc
	v_cndmask_b32_e32 v10, v10, v11, vcc
	v_lshlrev_b32_e32 v11, 24, v3
	v_mov_b32_e32 v12, 0x3b800000
	v_lshlrev_b32_e32 v6, 20, v6
	v_and_b32_e32 v11, 0x80000000, v11
	v_lshl_add_u32 v10, v10, 23, v12
	v_or3_b32 v6, v11, v10, v6
.LBB6_168:
	s_or_b64 exec, exec, s[6:7]
	s_nop 0
	v_mfma_f32_16x16x4f32 a[0:3], v2, v6, a[0:3]
	v_lshrrev_b32_e32 v6, 8, v7
	s_movk_i32 s4, 0x7f
	v_cmp_gt_i16_sdwa s[6:7], v6, s4 src0_sel:BYTE_0 src1_sel:DWORD
	s_mov_b64 s[4:5], 0
                                        ; implicit-def: $sgpr10
	s_and_saveexec_b64 s[8:9], s[6:7]
	s_xor_b64 s[6:7], exec, s[8:9]
	s_cbranch_execnz .LBB6_2217
; %bb.169:
	s_or_saveexec_b64 s[6:7], s[6:7]
	v_mov_b32_e32 v2, s10
	s_xor_b64 exec, exec, s[6:7]
	s_cbranch_execnz .LBB6_2220
.LBB6_170:
	s_or_b64 exec, exec, s[6:7]
	s_and_saveexec_b64 s[6:7], s[4:5]
	s_cbranch_execz .LBB6_172
.LBB6_171:
	v_bfe_u32 v2, v7, 8, 3
	v_ffbh_u32_e32 v11, v2
	v_min_u32_e32 v11, 32, v11
	v_lshrrev_b16_e32 v10, 3, v6
	v_subrev_u32_e32 v12, 28, v11
	v_and_b32_e32 v10, 15, v10
	v_lshlrev_b32_e32 v6, v12, v6
	v_sub_u32_e32 v11, 29, v11
	v_and_b32_e32 v6, 7, v6
	v_cmp_eq_u16_e32 vcc, 0, v10
	v_cndmask_b32_e32 v2, v2, v6, vcc
	v_cndmask_b32_e32 v6, v10, v11, vcc
	v_lshlrev_b32_e32 v10, 16, v7
	v_mov_b32_e32 v11, 0x3b800000
	v_lshlrev_b32_e32 v2, 20, v2
	v_and_b32_e32 v10, 0x80000000, v10
	v_lshl_add_u32 v6, v6, 23, v11
	v_or3_b32 v2, v10, v6, v2
.LBB6_172:
	s_or_b64 exec, exec, s[6:7]
	v_lshrrev_b32_e32 v6, 8, v3
	s_movk_i32 s4, 0x7f
	v_cmp_gt_i16_sdwa s[6:7], v6, s4 src0_sel:BYTE_0 src1_sel:DWORD
	s_mov_b64 s[4:5], 0
                                        ; implicit-def: $sgpr10
	s_and_saveexec_b64 s[8:9], s[6:7]
	s_xor_b64 s[6:7], exec, s[8:9]
	s_cbranch_execnz .LBB6_2221
; %bb.173:
	s_or_saveexec_b64 s[6:7], s[6:7]
	v_mov_b32_e32 v10, s10
	s_xor_b64 exec, exec, s[6:7]
	s_cbranch_execnz .LBB6_2224
.LBB6_174:
	s_or_b64 exec, exec, s[6:7]
	s_and_saveexec_b64 s[6:7], s[4:5]
	s_cbranch_execz .LBB6_176
.LBB6_175:
	v_bfe_u32 v10, v3, 8, 3
	v_ffbh_u32_e32 v12, v10
	v_min_u32_e32 v12, 32, v12
	v_lshrrev_b16_e32 v11, 3, v6
	v_subrev_u32_e32 v13, 28, v12
	v_and_b32_e32 v11, 15, v11
	v_lshlrev_b32_e32 v6, v13, v6
	v_sub_u32_e32 v12, 29, v12
	v_and_b32_e32 v6, 7, v6
	v_cmp_eq_u16_e32 vcc, 0, v11
	v_cndmask_b32_e32 v6, v10, v6, vcc
	v_cndmask_b32_e32 v10, v11, v12, vcc
	v_lshlrev_b32_e32 v11, 16, v3
	v_mov_b32_e32 v12, 0x3b800000
	v_lshlrev_b32_e32 v6, 20, v6
	v_and_b32_e32 v11, 0x80000000, v11
	v_lshl_add_u32 v10, v10, 23, v12
	v_or3_b32 v10, v11, v10, v6
.LBB6_176:
	s_or_b64 exec, exec, s[6:7]
	s_nop 0
	v_mfma_f32_16x16x4f32 a[0:3], v2, v10, a[0:3]
	s_movk_i32 s4, 0xff
	v_and_b32_sdwa v6, v7, s4 dst_sel:DWORD dst_unused:UNUSED_PAD src0_sel:WORD_1 src1_sel:DWORD
	s_movk_i32 s4, 0x7f
	v_cmp_lt_i16_e32 vcc, s4, v6
	s_mov_b64 s[4:5], 0
                                        ; implicit-def: $sgpr10
	s_and_saveexec_b64 s[6:7], vcc
	s_xor_b64 s[6:7], exec, s[6:7]
	s_cbranch_execnz .LBB6_2225
; %bb.177:
	s_or_saveexec_b64 s[6:7], s[6:7]
	v_mov_b32_e32 v2, s10
	s_xor_b64 exec, exec, s[6:7]
	s_cbranch_execnz .LBB6_2228
.LBB6_178:
	s_or_b64 exec, exec, s[6:7]
	s_and_saveexec_b64 s[6:7], s[4:5]
	s_cbranch_execz .LBB6_180
.LBB6_179:
	v_bfe_u32 v2, v7, 16, 3
	v_ffbh_u32_e32 v11, v2
	v_min_u32_e32 v11, 32, v11
	v_lshrrev_b32_e32 v6, 19, v7
	v_subrev_u32_e32 v12, 28, v11
	v_and_b32_e32 v6, 15, v6
	v_lshlrev_b32_sdwa v12, v12, v7 dst_sel:DWORD dst_unused:UNUSED_PAD src0_sel:DWORD src1_sel:WORD_1
	v_bfe_u32 v10, v7, 19, 4
	v_sub_u32_e32 v11, 29, v11
	v_and_b32_e32 v12, 7, v12
	v_cmp_eq_u16_e32 vcc, 0, v6
	v_cndmask_b32_e32 v2, v2, v12, vcc
	v_cndmask_b32_e32 v6, v10, v11, vcc
	v_lshlrev_b32_e32 v10, 8, v7
	v_mov_b32_e32 v11, 0x3b800000
	v_lshlrev_b32_e32 v2, 20, v2
	v_and_b32_e32 v10, 0x80000000, v10
	v_lshl_add_u32 v6, v6, 23, v11
	v_or3_b32 v2, v10, v6, v2
.LBB6_180:
	s_or_b64 exec, exec, s[6:7]
	s_movk_i32 s4, 0xff
	v_and_b32_sdwa v6, v3, s4 dst_sel:DWORD dst_unused:UNUSED_PAD src0_sel:WORD_1 src1_sel:DWORD
	s_movk_i32 s4, 0x7f
	v_cmp_lt_i16_e32 vcc, s4, v6
	s_mov_b64 s[4:5], 0
                                        ; implicit-def: $sgpr10
	s_and_saveexec_b64 s[6:7], vcc
	s_xor_b64 s[6:7], exec, s[6:7]
	s_cbranch_execnz .LBB6_2229
; %bb.181:
	s_or_saveexec_b64 s[6:7], s[6:7]
	v_mov_b32_e32 v10, s10
	s_xor_b64 exec, exec, s[6:7]
	s_cbranch_execnz .LBB6_2232
.LBB6_182:
	s_or_b64 exec, exec, s[6:7]
	s_and_saveexec_b64 s[6:7], s[4:5]
	s_cbranch_execz .LBB6_184
.LBB6_183:
	v_bfe_u32 v6, v3, 16, 3
	v_ffbh_u32_e32 v12, v6
	v_min_u32_e32 v12, 32, v12
	v_lshrrev_b32_e32 v10, 19, v3
	v_subrev_u32_e32 v13, 28, v12
	v_and_b32_e32 v10, 15, v10
	v_lshlrev_b32_sdwa v13, v13, v3 dst_sel:DWORD dst_unused:UNUSED_PAD src0_sel:DWORD src1_sel:WORD_1
	v_bfe_u32 v11, v3, 19, 4
	v_sub_u32_e32 v12, 29, v12
	v_and_b32_e32 v13, 7, v13
	v_cmp_eq_u16_e32 vcc, 0, v10
	v_cndmask_b32_e32 v6, v6, v13, vcc
	v_cndmask_b32_e32 v10, v11, v12, vcc
	v_lshlrev_b32_e32 v11, 8, v3
	v_mov_b32_e32 v12, 0x3b800000
	v_lshlrev_b32_e32 v6, 20, v6
	v_and_b32_e32 v11, 0x80000000, v11
	v_lshl_add_u32 v10, v10, 23, v12
	v_or3_b32 v10, v11, v10, v6
.LBB6_184:
	s_or_b64 exec, exec, s[6:7]
	s_nop 0
	v_mfma_f32_16x16x4f32 a[0:3], v2, v10, a[0:3]
	s_movk_i32 s4, 0x7f
	v_cmp_gt_i16_sdwa s[6:7], v7, s4 src0_sel:BYTE_3 src1_sel:DWORD
	s_mov_b64 s[4:5], 0
                                        ; implicit-def: $sgpr10
	s_and_saveexec_b64 s[8:9], s[6:7]
	s_xor_b64 s[6:7], exec, s[8:9]
	s_cbranch_execnz .LBB6_2233
; %bb.185:
	s_or_saveexec_b64 s[6:7], s[6:7]
	v_mov_b32_e32 v2, s10
	s_xor_b64 exec, exec, s[6:7]
	s_cbranch_execnz .LBB6_2236
.LBB6_186:
	s_or_b64 exec, exec, s[6:7]
	s_and_saveexec_b64 s[6:7], s[4:5]
	s_cbranch_execz .LBB6_188
.LBB6_187:
	v_bfe_u32 v2, v7, 24, 3
	v_ffbh_u32_e32 v12, v2
	v_min_u32_e32 v12, 32, v12
	v_lshrrev_b32_e32 v10, 27, v7
	v_subrev_u32_e32 v13, 28, v12
	v_and_b32_e32 v6, 0x80000000, v7
	v_and_b32_e32 v10, 15, v10
	v_bfe_u32 v11, v7, 27, 4
	v_lshlrev_b32_sdwa v7, v13, v7 dst_sel:DWORD dst_unused:UNUSED_PAD src0_sel:DWORD src1_sel:BYTE_3
	v_sub_u32_e32 v12, 29, v12
	v_and_b32_e32 v7, 7, v7
	v_cmp_eq_u16_e32 vcc, 0, v10
	v_cndmask_b32_e32 v2, v2, v7, vcc
	v_cndmask_b32_e32 v7, v11, v12, vcc
	v_mov_b32_e32 v10, 0x3b800000
	v_lshlrev_b32_e32 v2, 20, v2
	v_lshl_add_u32 v7, v7, 23, v10
	v_or3_b32 v2, v6, v7, v2
.LBB6_188:
	s_or_b64 exec, exec, s[6:7]
	s_movk_i32 s4, 0x7f
	v_cmp_gt_i16_sdwa s[6:7], v3, s4 src0_sel:BYTE_3 src1_sel:DWORD
	s_mov_b64 s[4:5], 0
                                        ; implicit-def: $sgpr10
	s_and_saveexec_b64 s[8:9], s[6:7]
	s_xor_b64 s[6:7], exec, s[8:9]
	s_cbranch_execnz .LBB6_2237
; %bb.189:
	s_or_saveexec_b64 s[6:7], s[6:7]
	v_mov_b32_e32 v6, s10
	s_xor_b64 exec, exec, s[6:7]
	s_cbranch_execnz .LBB6_2240
.LBB6_190:
	s_or_b64 exec, exec, s[6:7]
	s_and_saveexec_b64 s[6:7], s[4:5]
	s_cbranch_execz .LBB6_192
.LBB6_191:
	v_bfe_u32 v6, v3, 24, 3
	v_ffbh_u32_e32 v12, v6
	v_min_u32_e32 v12, 32, v12
	v_lshrrev_b32_e32 v10, 27, v3
	v_subrev_u32_e32 v13, 28, v12
	v_and_b32_e32 v7, 0x80000000, v3
	v_and_b32_e32 v10, 15, v10
	v_bfe_u32 v11, v3, 27, 4
	v_lshlrev_b32_sdwa v3, v13, v3 dst_sel:DWORD dst_unused:UNUSED_PAD src0_sel:DWORD src1_sel:BYTE_3
	v_sub_u32_e32 v12, 29, v12
	v_and_b32_e32 v3, 7, v3
	v_cmp_eq_u16_e32 vcc, 0, v10
	v_cndmask_b32_e32 v3, v6, v3, vcc
	v_cndmask_b32_e32 v6, v11, v12, vcc
	v_mov_b32_e32 v10, 0x3b800000
	v_lshlrev_b32_e32 v3, 20, v3
	v_lshl_add_u32 v6, v6, 23, v10
	v_or3_b32 v6, v7, v6, v3
.LBB6_192:
	s_or_b64 exec, exec, s[6:7]
	s_nop 0
	v_mfma_f32_16x16x4f32 a[0:3], v2, v6, a[0:3]
	s_movk_i32 s4, 0x7f
	v_cmp_gt_i16_sdwa s[6:7], v8, s4 src0_sel:BYTE_0 src1_sel:DWORD
	s_mov_b64 s[4:5], 0
                                        ; implicit-def: $sgpr10
	s_and_saveexec_b64 s[8:9], s[6:7]
	s_xor_b64 s[6:7], exec, s[8:9]
	s_cbranch_execnz .LBB6_2241
; %bb.193:
	s_or_saveexec_b64 s[6:7], s[6:7]
	v_mov_b32_e32 v2, s10
	s_xor_b64 exec, exec, s[6:7]
	s_cbranch_execnz .LBB6_2244
.LBB6_194:
	s_or_b64 exec, exec, s[6:7]
	s_and_saveexec_b64 s[6:7], s[4:5]
	s_cbranch_execz .LBB6_196
.LBB6_195:
	v_and_b32_e32 v2, 7, v8
	v_ffbh_u32_e32 v6, v2
	v_min_u32_e32 v6, 32, v6
	v_lshrrev_b16_e32 v3, 3, v8
	v_subrev_u32_e32 v7, 28, v6
	v_and_b32_e32 v3, 15, v3
	v_lshlrev_b32_e32 v7, v7, v8
	v_sub_u32_e32 v6, 29, v6
	v_and_b32_e32 v7, 7, v7
	v_cmp_eq_u16_e32 vcc, 0, v3
	v_cndmask_b32_e32 v2, v2, v7, vcc
	v_cndmask_b32_e32 v3, v3, v6, vcc
	v_lshlrev_b32_e32 v6, 24, v8
	v_mov_b32_e32 v7, 0x3b800000
	v_lshlrev_b32_e32 v2, 20, v2
	v_and_b32_e32 v6, 0x80000000, v6
	v_lshl_add_u32 v3, v3, 23, v7
	v_or3_b32 v2, v6, v3, v2
.LBB6_196:
	s_or_b64 exec, exec, s[6:7]
	s_movk_i32 s4, 0x7f
	v_cmp_gt_i16_sdwa s[6:7], v4, s4 src0_sel:BYTE_0 src1_sel:DWORD
	s_mov_b64 s[4:5], 0
                                        ; implicit-def: $sgpr10
	s_and_saveexec_b64 s[8:9], s[6:7]
	s_xor_b64 s[6:7], exec, s[8:9]
	s_cbranch_execnz .LBB6_2245
; %bb.197:
	s_or_saveexec_b64 s[6:7], s[6:7]
	v_mov_b32_e32 v3, s10
	s_xor_b64 exec, exec, s[6:7]
	s_cbranch_execnz .LBB6_2248
.LBB6_198:
	s_or_b64 exec, exec, s[6:7]
	s_and_saveexec_b64 s[6:7], s[4:5]
	s_cbranch_execz .LBB6_200
.LBB6_199:
	v_and_b32_e32 v3, 7, v4
	v_ffbh_u32_e32 v7, v3
	v_min_u32_e32 v7, 32, v7
	v_lshrrev_b16_e32 v6, 3, v4
	v_subrev_u32_e32 v10, 28, v7
	v_and_b32_e32 v6, 15, v6
	v_lshlrev_b32_e32 v10, v10, v4
	v_sub_u32_e32 v7, 29, v7
	v_and_b32_e32 v10, 7, v10
	v_cmp_eq_u16_e32 vcc, 0, v6
	v_cndmask_b32_e32 v3, v3, v10, vcc
	v_cndmask_b32_e32 v6, v6, v7, vcc
	v_lshlrev_b32_e32 v7, 24, v4
	v_mov_b32_e32 v10, 0x3b800000
	v_lshlrev_b32_e32 v3, 20, v3
	v_and_b32_e32 v7, 0x80000000, v7
	v_lshl_add_u32 v6, v6, 23, v10
	v_or3_b32 v3, v7, v6, v3
.LBB6_200:
	s_or_b64 exec, exec, s[6:7]
	s_nop 0
	v_mfma_f32_16x16x4f32 a[0:3], v2, v3, a[0:3]
	v_lshrrev_b32_e32 v3, 8, v8
	s_movk_i32 s4, 0x7f
	v_cmp_gt_i16_sdwa s[6:7], v3, s4 src0_sel:BYTE_0 src1_sel:DWORD
	s_mov_b64 s[4:5], 0
                                        ; implicit-def: $sgpr10
	s_and_saveexec_b64 s[8:9], s[6:7]
	s_xor_b64 s[6:7], exec, s[8:9]
	s_cbranch_execnz .LBB6_2249
; %bb.201:
	s_or_saveexec_b64 s[6:7], s[6:7]
	v_mov_b32_e32 v2, s10
	s_xor_b64 exec, exec, s[6:7]
	s_cbranch_execnz .LBB6_2252
.LBB6_202:
	s_or_b64 exec, exec, s[6:7]
	s_and_saveexec_b64 s[6:7], s[4:5]
	s_cbranch_execz .LBB6_204
.LBB6_203:
	v_bfe_u32 v2, v8, 8, 3
	v_ffbh_u32_e32 v7, v2
	v_min_u32_e32 v7, 32, v7
	v_lshrrev_b16_e32 v6, 3, v3
	v_subrev_u32_e32 v10, 28, v7
	v_and_b32_e32 v6, 15, v6
	v_lshlrev_b32_e32 v3, v10, v3
	v_sub_u32_e32 v7, 29, v7
	v_and_b32_e32 v3, 7, v3
	v_cmp_eq_u16_e32 vcc, 0, v6
	v_cndmask_b32_e32 v2, v2, v3, vcc
	v_cndmask_b32_e32 v3, v6, v7, vcc
	v_lshlrev_b32_e32 v6, 16, v8
	v_mov_b32_e32 v7, 0x3b800000
	v_lshlrev_b32_e32 v2, 20, v2
	v_and_b32_e32 v6, 0x80000000, v6
	v_lshl_add_u32 v3, v3, 23, v7
	v_or3_b32 v2, v6, v3, v2
.LBB6_204:
	s_or_b64 exec, exec, s[6:7]
	v_lshrrev_b32_e32 v3, 8, v4
	s_movk_i32 s4, 0x7f
	v_cmp_gt_i16_sdwa s[6:7], v3, s4 src0_sel:BYTE_0 src1_sel:DWORD
	s_mov_b64 s[4:5], 0
                                        ; implicit-def: $sgpr10
	s_and_saveexec_b64 s[8:9], s[6:7]
	s_xor_b64 s[6:7], exec, s[8:9]
	s_cbranch_execnz .LBB6_2253
; %bb.205:
	s_or_saveexec_b64 s[6:7], s[6:7]
	v_mov_b32_e32 v6, s10
	s_xor_b64 exec, exec, s[6:7]
	s_cbranch_execnz .LBB6_2256
.LBB6_206:
	s_or_b64 exec, exec, s[6:7]
	s_and_saveexec_b64 s[6:7], s[4:5]
	s_cbranch_execz .LBB6_208
.LBB6_207:
	v_bfe_u32 v6, v4, 8, 3
	v_ffbh_u32_e32 v10, v6
	v_min_u32_e32 v10, 32, v10
	v_lshrrev_b16_e32 v7, 3, v3
	v_subrev_u32_e32 v11, 28, v10
	v_and_b32_e32 v7, 15, v7
	v_lshlrev_b32_e32 v3, v11, v3
	v_sub_u32_e32 v10, 29, v10
	v_and_b32_e32 v3, 7, v3
	v_cmp_eq_u16_e32 vcc, 0, v7
	v_cndmask_b32_e32 v3, v6, v3, vcc
	v_cndmask_b32_e32 v6, v7, v10, vcc
	v_lshlrev_b32_e32 v7, 16, v4
	v_mov_b32_e32 v10, 0x3b800000
	v_lshlrev_b32_e32 v3, 20, v3
	v_and_b32_e32 v7, 0x80000000, v7
	v_lshl_add_u32 v6, v6, 23, v10
	v_or3_b32 v6, v7, v6, v3
.LBB6_208:
	s_or_b64 exec, exec, s[6:7]
	s_nop 0
	v_mfma_f32_16x16x4f32 a[0:3], v2, v6, a[0:3]
	s_movk_i32 s4, 0xff
	v_and_b32_sdwa v3, v8, s4 dst_sel:DWORD dst_unused:UNUSED_PAD src0_sel:WORD_1 src1_sel:DWORD
	s_movk_i32 s4, 0x7f
	v_cmp_lt_i16_e32 vcc, s4, v3
	s_mov_b64 s[4:5], 0
                                        ; implicit-def: $sgpr10
	s_and_saveexec_b64 s[6:7], vcc
	s_xor_b64 s[6:7], exec, s[6:7]
	s_cbranch_execnz .LBB6_2257
; %bb.209:
	s_or_saveexec_b64 s[6:7], s[6:7]
	v_mov_b32_e32 v2, s10
	s_xor_b64 exec, exec, s[6:7]
	s_cbranch_execnz .LBB6_2260
.LBB6_210:
	s_or_b64 exec, exec, s[6:7]
	s_and_saveexec_b64 s[6:7], s[4:5]
	s_cbranch_execz .LBB6_212
.LBB6_211:
	v_bfe_u32 v2, v8, 16, 3
	v_ffbh_u32_e32 v7, v2
	v_min_u32_e32 v7, 32, v7
	v_lshrrev_b32_e32 v3, 19, v8
	v_subrev_u32_e32 v10, 28, v7
	v_and_b32_e32 v3, 15, v3
	v_lshlrev_b32_sdwa v10, v10, v8 dst_sel:DWORD dst_unused:UNUSED_PAD src0_sel:DWORD src1_sel:WORD_1
	v_bfe_u32 v6, v8, 19, 4
	v_sub_u32_e32 v7, 29, v7
	v_and_b32_e32 v10, 7, v10
	v_cmp_eq_u16_e32 vcc, 0, v3
	v_cndmask_b32_e32 v2, v2, v10, vcc
	v_cndmask_b32_e32 v3, v6, v7, vcc
	v_lshlrev_b32_e32 v6, 8, v8
	v_mov_b32_e32 v7, 0x3b800000
	v_lshlrev_b32_e32 v2, 20, v2
	v_and_b32_e32 v6, 0x80000000, v6
	v_lshl_add_u32 v3, v3, 23, v7
	v_or3_b32 v2, v6, v3, v2
.LBB6_212:
	s_or_b64 exec, exec, s[6:7]
	s_movk_i32 s4, 0xff
	v_and_b32_sdwa v3, v4, s4 dst_sel:DWORD dst_unused:UNUSED_PAD src0_sel:WORD_1 src1_sel:DWORD
	s_movk_i32 s4, 0x7f
	v_cmp_lt_i16_e32 vcc, s4, v3
	s_mov_b64 s[4:5], 0
                                        ; implicit-def: $sgpr10
	s_and_saveexec_b64 s[6:7], vcc
	s_xor_b64 s[6:7], exec, s[6:7]
	s_cbranch_execnz .LBB6_2261
; %bb.213:
	s_or_saveexec_b64 s[6:7], s[6:7]
	v_mov_b32_e32 v6, s10
	s_xor_b64 exec, exec, s[6:7]
	s_cbranch_execnz .LBB6_2264
.LBB6_214:
	s_or_b64 exec, exec, s[6:7]
	s_and_saveexec_b64 s[6:7], s[4:5]
	s_cbranch_execz .LBB6_216
.LBB6_215:
	v_bfe_u32 v3, v4, 16, 3
	v_ffbh_u32_e32 v10, v3
	v_min_u32_e32 v10, 32, v10
	v_lshrrev_b32_e32 v6, 19, v4
	v_subrev_u32_e32 v11, 28, v10
	v_and_b32_e32 v6, 15, v6
	v_lshlrev_b32_sdwa v11, v11, v4 dst_sel:DWORD dst_unused:UNUSED_PAD src0_sel:DWORD src1_sel:WORD_1
	v_bfe_u32 v7, v4, 19, 4
	v_sub_u32_e32 v10, 29, v10
	v_and_b32_e32 v11, 7, v11
	v_cmp_eq_u16_e32 vcc, 0, v6
	v_cndmask_b32_e32 v3, v3, v11, vcc
	v_cndmask_b32_e32 v6, v7, v10, vcc
	v_lshlrev_b32_e32 v7, 8, v4
	v_mov_b32_e32 v10, 0x3b800000
	v_lshlrev_b32_e32 v3, 20, v3
	v_and_b32_e32 v7, 0x80000000, v7
	v_lshl_add_u32 v6, v6, 23, v10
	v_or3_b32 v6, v7, v6, v3
.LBB6_216:
	s_or_b64 exec, exec, s[6:7]
	s_nop 0
	v_mfma_f32_16x16x4f32 a[0:3], v2, v6, a[0:3]
	s_movk_i32 s4, 0x7f
	v_cmp_gt_i16_sdwa s[6:7], v8, s4 src0_sel:BYTE_3 src1_sel:DWORD
	s_mov_b64 s[4:5], 0
                                        ; implicit-def: $sgpr10
	s_and_saveexec_b64 s[8:9], s[6:7]
	s_xor_b64 s[6:7], exec, s[8:9]
	s_cbranch_execnz .LBB6_2265
; %bb.217:
	s_or_saveexec_b64 s[6:7], s[6:7]
	v_mov_b32_e32 v2, s10
	s_xor_b64 exec, exec, s[6:7]
	s_cbranch_execnz .LBB6_2268
.LBB6_218:
	s_or_b64 exec, exec, s[6:7]
	s_and_saveexec_b64 s[6:7], s[4:5]
	s_cbranch_execz .LBB6_220
.LBB6_219:
	v_bfe_u32 v2, v8, 24, 3
	v_ffbh_u32_e32 v10, v2
	v_min_u32_e32 v10, 32, v10
	v_lshrrev_b32_e32 v6, 27, v8
	v_subrev_u32_e32 v11, 28, v10
	v_and_b32_e32 v3, 0x80000000, v8
	v_and_b32_e32 v6, 15, v6
	v_bfe_u32 v7, v8, 27, 4
	v_lshlrev_b32_sdwa v8, v11, v8 dst_sel:DWORD dst_unused:UNUSED_PAD src0_sel:DWORD src1_sel:BYTE_3
	v_sub_u32_e32 v10, 29, v10
	v_and_b32_e32 v8, 7, v8
	v_cmp_eq_u16_e32 vcc, 0, v6
	v_cndmask_b32_e32 v2, v2, v8, vcc
	v_cndmask_b32_e32 v6, v7, v10, vcc
	v_mov_b32_e32 v7, 0x3b800000
	v_lshlrev_b32_e32 v2, 20, v2
	v_lshl_add_u32 v6, v6, 23, v7
	v_or3_b32 v2, v3, v6, v2
.LBB6_220:
	s_or_b64 exec, exec, s[6:7]
	s_movk_i32 s4, 0x7f
	v_cmp_gt_i16_sdwa s[6:7], v4, s4 src0_sel:BYTE_3 src1_sel:DWORD
	s_mov_b64 s[4:5], 0
                                        ; implicit-def: $sgpr10
	s_and_saveexec_b64 s[8:9], s[6:7]
	s_xor_b64 s[6:7], exec, s[8:9]
	s_cbranch_execnz .LBB6_2269
; %bb.221:
	s_or_saveexec_b64 s[6:7], s[6:7]
	v_mov_b32_e32 v3, s10
	s_xor_b64 exec, exec, s[6:7]
	s_cbranch_execnz .LBB6_2272
.LBB6_222:
	s_or_b64 exec, exec, s[6:7]
	s_and_saveexec_b64 s[6:7], s[4:5]
	s_cbranch_execz .LBB6_224
.LBB6_223:
	v_bfe_u32 v3, v4, 24, 3
	v_ffbh_u32_e32 v10, v3
	v_min_u32_e32 v10, 32, v10
	v_lshrrev_b32_e32 v7, 27, v4
	v_subrev_u32_e32 v11, 28, v10
	v_and_b32_e32 v6, 0x80000000, v4
	v_and_b32_e32 v7, 15, v7
	v_bfe_u32 v8, v4, 27, 4
	v_lshlrev_b32_sdwa v4, v11, v4 dst_sel:DWORD dst_unused:UNUSED_PAD src0_sel:DWORD src1_sel:BYTE_3
	v_sub_u32_e32 v10, 29, v10
	v_and_b32_e32 v4, 7, v4
	v_cmp_eq_u16_e32 vcc, 0, v7
	v_cndmask_b32_e32 v3, v3, v4, vcc
	v_cndmask_b32_e32 v4, v8, v10, vcc
	v_mov_b32_e32 v7, 0x3b800000
	v_lshlrev_b32_e32 v3, 20, v3
	v_lshl_add_u32 v4, v4, 23, v7
	v_or3_b32 v3, v6, v4, v3
.LBB6_224:
	s_or_b64 exec, exec, s[6:7]
	s_nop 0
	v_mfma_f32_16x16x4f32 a[0:3], v2, v3, a[0:3]
	s_movk_i32 s4, 0x7f
	v_cmp_gt_i16_sdwa s[6:7], v9, s4 src0_sel:BYTE_0 src1_sel:DWORD
	s_mov_b64 s[4:5], 0
                                        ; implicit-def: $sgpr10
	s_and_saveexec_b64 s[8:9], s[6:7]
	s_xor_b64 s[6:7], exec, s[8:9]
	s_cbranch_execnz .LBB6_2273
; %bb.225:
	s_or_saveexec_b64 s[6:7], s[6:7]
	v_mov_b32_e32 v2, s10
	s_xor_b64 exec, exec, s[6:7]
	s_cbranch_execnz .LBB6_2276
.LBB6_226:
	s_or_b64 exec, exec, s[6:7]
	s_and_saveexec_b64 s[6:7], s[4:5]
	s_cbranch_execz .LBB6_228
.LBB6_227:
	v_mov_b32_e32 v2, 8
	v_and_b32_e32 v3, 7, v9
	v_lshrrev_b32_sdwa v2, v2, v9 dst_sel:BYTE_1 dst_unused:UNUSED_PAD src0_sel:DWORD src1_sel:DWORD
	v_ffbh_u32_e32 v4, v3
	v_or_b32_sdwa v2, v9, v2 dst_sel:DWORD dst_unused:UNUSED_PAD src0_sel:BYTE_0 src1_sel:DWORD
	v_min_u32_e32 v4, 32, v4
	v_lshrrev_b16_e32 v2, 3, v2
	v_subrev_u32_e32 v6, 28, v4
	v_and_b32_e32 v2, 15, v2
	v_lshlrev_b32_e32 v6, v6, v9
	v_sub_u32_e32 v4, 29, v4
	v_and_b32_e32 v6, 7, v6
	v_cmp_eq_u16_e32 vcc, 0, v2
	v_cndmask_b32_e32 v3, v3, v6, vcc
	v_cndmask_b32_e32 v2, v2, v4, vcc
	v_lshlrev_b32_e32 v4, 24, v9
	v_mov_b32_e32 v6, 0x3b800000
	v_lshlrev_b32_e32 v3, 20, v3
	v_and_b32_e32 v4, 0x80000000, v4
	v_lshl_add_u32 v2, v2, 23, v6
	v_or3_b32 v2, v4, v2, v3
.LBB6_228:
	s_or_b64 exec, exec, s[6:7]
	s_movk_i32 s4, 0x7f
	v_cmp_gt_i16_sdwa s[6:7], v5, s4 src0_sel:BYTE_0 src1_sel:DWORD
	s_mov_b64 s[4:5], 0
                                        ; implicit-def: $sgpr10
	s_and_saveexec_b64 s[8:9], s[6:7]
	s_xor_b64 s[6:7], exec, s[8:9]
	s_cbranch_execnz .LBB6_2277
; %bb.229:
	s_or_saveexec_b64 s[6:7], s[6:7]
	v_mov_b32_e32 v3, s10
	s_xor_b64 exec, exec, s[6:7]
	s_cbranch_execnz .LBB6_2280
.LBB6_230:
	s_or_b64 exec, exec, s[6:7]
	s_and_saveexec_b64 s[6:7], s[4:5]
	s_cbranch_execz .LBB6_232
.LBB6_231:
	v_mov_b32_e32 v3, 8
	v_and_b32_e32 v4, 7, v5
	v_lshrrev_b32_sdwa v3, v3, v5 dst_sel:BYTE_1 dst_unused:UNUSED_PAD src0_sel:DWORD src1_sel:DWORD
	v_ffbh_u32_e32 v6, v4
	v_or_b32_sdwa v3, v5, v3 dst_sel:DWORD dst_unused:UNUSED_PAD src0_sel:BYTE_0 src1_sel:DWORD
	v_min_u32_e32 v6, 32, v6
	v_lshrrev_b16_e32 v3, 3, v3
	v_subrev_u32_e32 v7, 28, v6
	v_and_b32_e32 v3, 15, v3
	v_lshlrev_b32_e32 v7, v7, v5
	v_sub_u32_e32 v6, 29, v6
	v_and_b32_e32 v7, 7, v7
	v_cmp_eq_u16_e32 vcc, 0, v3
	v_cndmask_b32_e32 v4, v4, v7, vcc
	v_cndmask_b32_e32 v3, v3, v6, vcc
	v_lshlrev_b32_e32 v6, 24, v5
	v_mov_b32_e32 v7, 0x3b800000
	v_lshlrev_b32_e32 v4, 20, v4
	v_and_b32_e32 v6, 0x80000000, v6
	v_lshl_add_u32 v3, v3, 23, v7
	v_or3_b32 v3, v6, v3, v4
.LBB6_232:
	s_or_b64 exec, exec, s[6:7]
	s_nop 0
	v_mfma_f32_16x16x4f32 a[0:3], v2, v3, a[0:3]
	v_lshrrev_b32_e32 v3, 8, v9
	s_movk_i32 s4, 0x7f
	v_cmp_gt_i16_sdwa s[6:7], v3, s4 src0_sel:BYTE_0 src1_sel:DWORD
	s_mov_b64 s[4:5], 0
                                        ; implicit-def: $sgpr10
	s_and_saveexec_b64 s[8:9], s[6:7]
	s_xor_b64 s[6:7], exec, s[8:9]
	s_cbranch_execnz .LBB6_2281
; %bb.233:
	s_or_saveexec_b64 s[6:7], s[6:7]
	v_mov_b32_e32 v2, s10
	s_xor_b64 exec, exec, s[6:7]
	s_cbranch_execnz .LBB6_2284
.LBB6_234:
	s_or_b64 exec, exec, s[6:7]
	s_and_saveexec_b64 s[6:7], s[4:5]
	s_cbranch_execz .LBB6_236
.LBB6_235:
	v_bfe_u32 v2, v9, 8, 3
	v_ffbh_u32_e32 v6, v2
	v_min_u32_e32 v6, 32, v6
	v_lshrrev_b16_e32 v4, 3, v3
	v_subrev_u32_e32 v7, 28, v6
	v_and_b32_e32 v4, 15, v4
	v_lshlrev_b32_e32 v3, v7, v3
	v_sub_u32_e32 v6, 29, v6
	v_and_b32_e32 v3, 7, v3
	v_cmp_eq_u16_e32 vcc, 0, v4
	v_cndmask_b32_e32 v2, v2, v3, vcc
	v_cndmask_b32_e32 v3, v4, v6, vcc
	v_lshlrev_b32_e32 v4, 16, v9
	v_mov_b32_e32 v6, 0x3b800000
	v_lshlrev_b32_e32 v2, 20, v2
	v_and_b32_e32 v4, 0x80000000, v4
	v_lshl_add_u32 v3, v3, 23, v6
	v_or3_b32 v2, v4, v3, v2
.LBB6_236:
	s_or_b64 exec, exec, s[6:7]
	v_lshrrev_b32_e32 v3, 8, v5
	s_movk_i32 s4, 0x7f
	v_cmp_gt_i16_sdwa s[6:7], v3, s4 src0_sel:BYTE_0 src1_sel:DWORD
	s_mov_b64 s[4:5], 0
                                        ; implicit-def: $sgpr10
	s_and_saveexec_b64 s[8:9], s[6:7]
	s_xor_b64 s[6:7], exec, s[8:9]
	s_cbranch_execnz .LBB6_2285
; %bb.237:
	s_or_saveexec_b64 s[6:7], s[6:7]
	v_mov_b32_e32 v4, s10
	s_xor_b64 exec, exec, s[6:7]
	s_cbranch_execnz .LBB6_2288
.LBB6_238:
	s_or_b64 exec, exec, s[6:7]
	s_and_saveexec_b64 s[6:7], s[4:5]
	s_cbranch_execz .LBB6_240
.LBB6_239:
	v_bfe_u32 v4, v5, 8, 3
	v_ffbh_u32_e32 v7, v4
	v_min_u32_e32 v7, 32, v7
	v_lshrrev_b16_e32 v6, 3, v3
	v_subrev_u32_e32 v8, 28, v7
	v_and_b32_e32 v6, 15, v6
	v_lshlrev_b32_e32 v3, v8, v3
	v_sub_u32_e32 v7, 29, v7
	v_and_b32_e32 v3, 7, v3
	v_cmp_eq_u16_e32 vcc, 0, v6
	v_cndmask_b32_e32 v3, v4, v3, vcc
	v_cndmask_b32_e32 v4, v6, v7, vcc
	v_lshlrev_b32_e32 v6, 16, v5
	v_mov_b32_e32 v7, 0x3b800000
	v_lshlrev_b32_e32 v3, 20, v3
	v_and_b32_e32 v6, 0x80000000, v6
	v_lshl_add_u32 v4, v4, 23, v7
	v_or3_b32 v4, v6, v4, v3
.LBB6_240:
	s_or_b64 exec, exec, s[6:7]
	s_nop 0
	v_mfma_f32_16x16x4f32 a[0:3], v2, v4, a[0:3]
	s_movk_i32 s4, 0xff
	v_and_b32_sdwa v3, v9, s4 dst_sel:DWORD dst_unused:UNUSED_PAD src0_sel:WORD_1 src1_sel:DWORD
	s_movk_i32 s4, 0x7f
	v_cmp_lt_i16_e32 vcc, s4, v3
	s_mov_b64 s[4:5], 0
                                        ; implicit-def: $sgpr10
	s_and_saveexec_b64 s[6:7], vcc
	s_xor_b64 s[6:7], exec, s[6:7]
	s_cbranch_execnz .LBB6_2289
; %bb.241:
	s_or_saveexec_b64 s[6:7], s[6:7]
	v_mov_b32_e32 v2, s10
	s_xor_b64 exec, exec, s[6:7]
	s_cbranch_execnz .LBB6_2292
.LBB6_242:
	s_or_b64 exec, exec, s[6:7]
	s_and_saveexec_b64 s[6:7], s[4:5]
	s_cbranch_execz .LBB6_244
.LBB6_243:
	v_bfe_u32 v2, v9, 16, 3
	v_ffbh_u32_e32 v6, v2
	v_min_u32_e32 v6, 32, v6
	v_lshrrev_b32_e32 v3, 19, v9
	v_subrev_u32_e32 v7, 28, v6
	v_and_b32_e32 v3, 15, v3
	v_lshlrev_b32_sdwa v7, v7, v9 dst_sel:DWORD dst_unused:UNUSED_PAD src0_sel:DWORD src1_sel:WORD_1
	v_bfe_u32 v4, v9, 19, 4
	v_sub_u32_e32 v6, 29, v6
	v_and_b32_e32 v7, 7, v7
	v_cmp_eq_u16_e32 vcc, 0, v3
	v_cndmask_b32_e32 v2, v2, v7, vcc
	v_cndmask_b32_e32 v3, v4, v6, vcc
	v_lshlrev_b32_e32 v4, 8, v9
	v_mov_b32_e32 v6, 0x3b800000
	v_lshlrev_b32_e32 v2, 20, v2
	v_and_b32_e32 v4, 0x80000000, v4
	v_lshl_add_u32 v3, v3, 23, v6
	v_or3_b32 v2, v4, v3, v2
.LBB6_244:
	s_or_b64 exec, exec, s[6:7]
	s_movk_i32 s4, 0xff
	v_and_b32_sdwa v3, v5, s4 dst_sel:DWORD dst_unused:UNUSED_PAD src0_sel:WORD_1 src1_sel:DWORD
	s_movk_i32 s4, 0x7f
	v_cmp_lt_i16_e32 vcc, s4, v3
	s_mov_b64 s[4:5], 0
                                        ; implicit-def: $sgpr10
	s_and_saveexec_b64 s[6:7], vcc
	s_xor_b64 s[6:7], exec, s[6:7]
	s_cbranch_execnz .LBB6_2293
; %bb.245:
	s_or_saveexec_b64 s[6:7], s[6:7]
	v_mov_b32_e32 v4, s10
	s_xor_b64 exec, exec, s[6:7]
	s_cbranch_execnz .LBB6_2296
.LBB6_246:
	s_or_b64 exec, exec, s[6:7]
	s_and_saveexec_b64 s[6:7], s[4:5]
	s_cbranch_execz .LBB6_248
.LBB6_247:
	v_bfe_u32 v3, v5, 16, 3
	v_ffbh_u32_e32 v7, v3
	v_min_u32_e32 v7, 32, v7
	v_lshrrev_b32_e32 v4, 19, v5
	v_subrev_u32_e32 v8, 28, v7
	v_and_b32_e32 v4, 15, v4
	v_lshlrev_b32_sdwa v8, v8, v5 dst_sel:DWORD dst_unused:UNUSED_PAD src0_sel:DWORD src1_sel:WORD_1
	v_bfe_u32 v6, v5, 19, 4
	v_sub_u32_e32 v7, 29, v7
	v_and_b32_e32 v8, 7, v8
	v_cmp_eq_u16_e32 vcc, 0, v4
	v_cndmask_b32_e32 v3, v3, v8, vcc
	v_cndmask_b32_e32 v4, v6, v7, vcc
	v_lshlrev_b32_e32 v6, 8, v5
	v_mov_b32_e32 v7, 0x3b800000
	v_lshlrev_b32_e32 v3, 20, v3
	v_and_b32_e32 v6, 0x80000000, v6
	v_lshl_add_u32 v4, v4, 23, v7
	v_or3_b32 v4, v6, v4, v3
.LBB6_248:
	s_or_b64 exec, exec, s[6:7]
	s_nop 0
	v_mfma_f32_16x16x4f32 a[0:3], v2, v4, a[0:3]
	s_movk_i32 s4, 0x7f
	v_cmp_gt_i16_sdwa s[6:7], v9, s4 src0_sel:BYTE_3 src1_sel:DWORD
	s_mov_b64 s[4:5], 0
                                        ; implicit-def: $sgpr10
	s_and_saveexec_b64 s[8:9], s[6:7]
	s_xor_b64 s[6:7], exec, s[8:9]
	s_cbranch_execnz .LBB6_2297
; %bb.249:
	s_or_saveexec_b64 s[6:7], s[6:7]
	v_mov_b32_e32 v2, s10
	s_xor_b64 exec, exec, s[6:7]
	s_cbranch_execnz .LBB6_2300
.LBB6_250:
	s_or_b64 exec, exec, s[6:7]
	s_and_saveexec_b64 s[6:7], s[4:5]
	s_cbranch_execz .LBB6_252
.LBB6_251:
	v_bfe_u32 v2, v9, 24, 3
	v_ffbh_u32_e32 v7, v2
	v_min_u32_e32 v7, 32, v7
	v_lshrrev_b32_e32 v4, 27, v9
	v_subrev_u32_e32 v8, 28, v7
	v_and_b32_e32 v4, 15, v4
	v_lshlrev_b32_sdwa v8, v8, v9 dst_sel:DWORD dst_unused:UNUSED_PAD src0_sel:DWORD src1_sel:BYTE_3
	v_bfe_u32 v6, v9, 27, 4
	v_sub_u32_e32 v7, 29, v7
	v_and_b32_e32 v8, 7, v8
	v_cmp_eq_u16_e32 vcc, 0, v4
	v_cndmask_b32_e32 v2, v2, v8, vcc
	v_cndmask_b32_e32 v4, v6, v7, vcc
	v_mov_b32_e32 v6, 0x3b800000
	v_and_b32_e32 v3, 0x80000000, v9
	v_lshlrev_b32_e32 v2, 20, v2
	v_lshl_add_u32 v4, v4, 23, v6
	v_or3_b32 v2, v3, v4, v2
.LBB6_252:
	s_or_b64 exec, exec, s[6:7]
	s_movk_i32 s4, 0x7f
	v_cmp_gt_i16_sdwa s[6:7], v5, s4 src0_sel:BYTE_3 src1_sel:DWORD
	s_mov_b64 s[4:5], 0
                                        ; implicit-def: $sgpr10
	s_and_saveexec_b64 s[8:9], s[6:7]
	s_xor_b64 s[6:7], exec, s[8:9]
	s_cbranch_execnz .LBB6_2301
; %bb.253:
	s_or_saveexec_b64 s[6:7], s[6:7]
	v_mov_b32_e32 v3, s10
	s_xor_b64 exec, exec, s[6:7]
	s_cbranch_execnz .LBB6_2304
.LBB6_254:
	s_or_b64 exec, exec, s[6:7]
	s_and_saveexec_b64 s[6:7], s[4:5]
	s_cbranch_execz .LBB6_256
.LBB6_255:
	v_bfe_u32 v3, v5, 24, 3
	v_ffbh_u32_e32 v8, v3
	v_min_u32_e32 v8, 32, v8
	v_lshrrev_b32_e32 v6, 27, v5
	v_subrev_u32_e32 v9, 28, v8
	v_and_b32_e32 v4, 0x80000000, v5
	v_and_b32_e32 v6, 15, v6
	v_bfe_u32 v7, v5, 27, 4
	v_lshlrev_b32_sdwa v5, v9, v5 dst_sel:DWORD dst_unused:UNUSED_PAD src0_sel:DWORD src1_sel:BYTE_3
	v_sub_u32_e32 v8, 29, v8
	v_and_b32_e32 v5, 7, v5
	v_cmp_eq_u16_e32 vcc, 0, v6
	v_cndmask_b32_e32 v3, v3, v5, vcc
	v_cndmask_b32_e32 v5, v7, v8, vcc
	v_mov_b32_e32 v6, 0x3b800000
	v_lshlrev_b32_e32 v3, 20, v3
	v_lshl_add_u32 v5, v5, 23, v6
	v_or3_b32 v3, v4, v5, v3
.LBB6_256:
	s_or_b64 exec, exec, s[6:7]
	s_nop 0
	v_mfma_f32_16x16x4f32 a[0:3], v2, v3, a[0:3]
	s_movk_i32 s4, 0x7f
                                        ; implicit-def: $sgpr10
	s_nop 7
	s_nop 1
	flat_store_dwordx4 v[18:19], a[0:3] offset:512
	flat_load_dwordx4 v[20:23], v[0:1] offset:16
	s_nop 0
	flat_load_dwordx2 v[18:19], v[0:1] offset:32
	s_waitcnt vmcnt(0) lgkmcnt(0)
	flat_load_dwordx4 v[14:17], v[20:21]
	flat_load_dwordx4 v[6:9], v[20:21] offset:16
	flat_load_dwordx4 v[10:13], v[22:23] offset:32
	;; [unrolled: 1-line block ×3, first 2 shown]
	s_waitcnt vmcnt(0) lgkmcnt(0)
	v_cmp_gt_i16_sdwa s[6:7], v14, s4 src0_sel:BYTE_0 src1_sel:DWORD
	s_mov_b64 s[4:5], 0
	s_and_saveexec_b64 s[8:9], s[6:7]
	s_xor_b64 s[6:7], exec, s[8:9]
	s_cbranch_execnz .LBB6_2305
; %bb.257:
	s_or_saveexec_b64 s[6:7], s[6:7]
	v_mov_b32_e32 v20, s10
	s_xor_b64 exec, exec, s[6:7]
	s_cbranch_execnz .LBB6_2308
.LBB6_258:
	s_or_b64 exec, exec, s[6:7]
	s_and_saveexec_b64 s[6:7], s[4:5]
	s_cbranch_execz .LBB6_260
.LBB6_259:
	v_and_b32_e32 v20, 7, v14
	v_ffbh_u32_e32 v22, v20
	v_min_u32_e32 v22, 32, v22
	v_lshrrev_b16_e32 v21, 3, v14
	v_subrev_u32_e32 v23, 28, v22
	v_and_b32_e32 v21, 15, v21
	v_lshlrev_b32_e32 v23, v23, v14
	v_sub_u32_e32 v22, 29, v22
	v_and_b32_e32 v23, 7, v23
	v_cmp_eq_u16_e32 vcc, 0, v21
	v_cndmask_b32_e32 v20, v20, v23, vcc
	v_cndmask_b32_e32 v21, v21, v22, vcc
	v_lshlrev_b32_e32 v22, 24, v14
	v_mov_b32_e32 v23, 0x3b800000
	v_lshlrev_b32_e32 v20, 20, v20
	v_and_b32_e32 v22, 0x80000000, v22
	v_lshl_add_u32 v21, v21, 23, v23
	v_or3_b32 v20, v22, v21, v20
.LBB6_260:
	s_or_b64 exec, exec, s[6:7]
	s_movk_i32 s4, 0x7f
	v_cmp_gt_i16_sdwa s[6:7], v10, s4 src0_sel:BYTE_0 src1_sel:DWORD
	s_mov_b64 s[4:5], 0
                                        ; implicit-def: $sgpr10
	s_and_saveexec_b64 s[8:9], s[6:7]
	s_xor_b64 s[6:7], exec, s[8:9]
	s_cbranch_execnz .LBB6_2309
; %bb.261:
	s_or_saveexec_b64 s[6:7], s[6:7]
	v_mov_b32_e32 v21, s10
	s_xor_b64 exec, exec, s[6:7]
	s_cbranch_execnz .LBB6_2312
.LBB6_262:
	s_or_b64 exec, exec, s[6:7]
	s_and_saveexec_b64 s[6:7], s[4:5]
	s_cbranch_execz .LBB6_264
.LBB6_263:
	v_and_b32_e32 v21, 7, v10
	v_ffbh_u32_e32 v23, v21
	v_min_u32_e32 v23, 32, v23
	v_lshrrev_b16_e32 v22, 3, v10
	v_subrev_u32_e32 v24, 28, v23
	v_and_b32_e32 v22, 15, v22
	v_lshlrev_b32_e32 v24, v24, v10
	v_sub_u32_e32 v23, 29, v23
	v_and_b32_e32 v24, 7, v24
	v_cmp_eq_u16_e32 vcc, 0, v22
	v_cndmask_b32_e32 v21, v21, v24, vcc
	v_cndmask_b32_e32 v22, v22, v23, vcc
	v_lshlrev_b32_e32 v23, 24, v10
	v_mov_b32_e32 v24, 0x3b800000
	v_lshlrev_b32_e32 v21, 20, v21
	v_and_b32_e32 v23, 0x80000000, v23
	v_lshl_add_u32 v22, v22, 23, v24
	v_or3_b32 v21, v23, v22, v21
.LBB6_264:
	s_or_b64 exec, exec, s[6:7]
	flat_load_dwordx4 a[0:3], v[18:19] offset:528
	s_movk_i32 s4, 0x7f
                                        ; implicit-def: $sgpr10
	s_waitcnt vmcnt(0) lgkmcnt(0)
	v_mfma_f32_16x16x4f32 a[0:3], v20, v21, a[0:3]
	v_lshrrev_b32_e32 v21, 8, v14
	v_cmp_gt_i16_sdwa s[6:7], v21, s4 src0_sel:BYTE_0 src1_sel:DWORD
	s_mov_b64 s[4:5], 0
	s_and_saveexec_b64 s[8:9], s[6:7]
	s_xor_b64 s[6:7], exec, s[8:9]
	s_cbranch_execnz .LBB6_2313
; %bb.265:
	s_or_saveexec_b64 s[6:7], s[6:7]
	v_mov_b32_e32 v20, s10
	s_xor_b64 exec, exec, s[6:7]
	s_cbranch_execnz .LBB6_2316
.LBB6_266:
	s_or_b64 exec, exec, s[6:7]
	s_and_saveexec_b64 s[6:7], s[4:5]
	s_cbranch_execz .LBB6_268
.LBB6_267:
	v_bfe_u32 v20, v14, 8, 3
	v_ffbh_u32_e32 v23, v20
	v_min_u32_e32 v23, 32, v23
	v_lshrrev_b16_e32 v22, 3, v21
	v_subrev_u32_e32 v24, 28, v23
	v_and_b32_e32 v22, 15, v22
	v_lshlrev_b32_e32 v21, v24, v21
	v_sub_u32_e32 v23, 29, v23
	v_and_b32_e32 v21, 7, v21
	v_cmp_eq_u16_e32 vcc, 0, v22
	v_cndmask_b32_e32 v20, v20, v21, vcc
	v_cndmask_b32_e32 v21, v22, v23, vcc
	v_lshlrev_b32_e32 v22, 16, v14
	v_mov_b32_e32 v23, 0x3b800000
	v_lshlrev_b32_e32 v20, 20, v20
	v_and_b32_e32 v22, 0x80000000, v22
	v_lshl_add_u32 v21, v21, 23, v23
	v_or3_b32 v20, v22, v21, v20
.LBB6_268:
	s_or_b64 exec, exec, s[6:7]
	v_lshrrev_b32_e32 v21, 8, v10
	s_movk_i32 s4, 0x7f
	v_cmp_gt_i16_sdwa s[6:7], v21, s4 src0_sel:BYTE_0 src1_sel:DWORD
	s_mov_b64 s[4:5], 0
                                        ; implicit-def: $sgpr10
	s_and_saveexec_b64 s[8:9], s[6:7]
	s_xor_b64 s[6:7], exec, s[8:9]
	s_cbranch_execnz .LBB6_2317
; %bb.269:
	s_or_saveexec_b64 s[6:7], s[6:7]
	v_mov_b32_e32 v22, s10
	s_xor_b64 exec, exec, s[6:7]
	s_cbranch_execnz .LBB6_2320
.LBB6_270:
	s_or_b64 exec, exec, s[6:7]
	s_and_saveexec_b64 s[6:7], s[4:5]
	s_cbranch_execz .LBB6_272
.LBB6_271:
	v_bfe_u32 v22, v10, 8, 3
	v_ffbh_u32_e32 v24, v22
	v_min_u32_e32 v24, 32, v24
	v_lshrrev_b16_e32 v23, 3, v21
	v_subrev_u32_e32 v25, 28, v24
	v_and_b32_e32 v23, 15, v23
	v_lshlrev_b32_e32 v21, v25, v21
	v_sub_u32_e32 v24, 29, v24
	v_and_b32_e32 v21, 7, v21
	v_cmp_eq_u16_e32 vcc, 0, v23
	v_cndmask_b32_e32 v21, v22, v21, vcc
	v_cndmask_b32_e32 v22, v23, v24, vcc
	v_lshlrev_b32_e32 v23, 16, v10
	v_mov_b32_e32 v24, 0x3b800000
	v_lshlrev_b32_e32 v21, 20, v21
	v_and_b32_e32 v23, 0x80000000, v23
	v_lshl_add_u32 v22, v22, 23, v24
	v_or3_b32 v22, v23, v22, v21
.LBB6_272:
	s_or_b64 exec, exec, s[6:7]
	s_nop 0
	v_mfma_f32_16x16x4f32 a[0:3], v20, v22, a[0:3]
	s_movk_i32 s4, 0xff
	v_and_b32_sdwa v21, v14, s4 dst_sel:DWORD dst_unused:UNUSED_PAD src0_sel:WORD_1 src1_sel:DWORD
	s_movk_i32 s4, 0x7f
	v_cmp_lt_i16_e32 vcc, s4, v21
	s_mov_b64 s[4:5], 0
                                        ; implicit-def: $sgpr10
	s_and_saveexec_b64 s[6:7], vcc
	s_xor_b64 s[6:7], exec, s[6:7]
	s_cbranch_execnz .LBB6_2321
; %bb.273:
	s_or_saveexec_b64 s[6:7], s[6:7]
	v_mov_b32_e32 v20, s10
	s_xor_b64 exec, exec, s[6:7]
	s_cbranch_execnz .LBB6_2324
.LBB6_274:
	s_or_b64 exec, exec, s[6:7]
	s_and_saveexec_b64 s[6:7], s[4:5]
	s_cbranch_execz .LBB6_276
.LBB6_275:
	v_bfe_u32 v20, v14, 16, 3
	v_ffbh_u32_e32 v23, v20
	v_min_u32_e32 v23, 32, v23
	v_lshrrev_b32_e32 v21, 19, v14
	v_subrev_u32_e32 v24, 28, v23
	v_and_b32_e32 v21, 15, v21
	v_lshlrev_b32_sdwa v24, v24, v14 dst_sel:DWORD dst_unused:UNUSED_PAD src0_sel:DWORD src1_sel:WORD_1
	v_bfe_u32 v22, v14, 19, 4
	v_sub_u32_e32 v23, 29, v23
	v_and_b32_e32 v24, 7, v24
	v_cmp_eq_u16_e32 vcc, 0, v21
	v_cndmask_b32_e32 v20, v20, v24, vcc
	v_cndmask_b32_e32 v21, v22, v23, vcc
	v_lshlrev_b32_e32 v22, 8, v14
	v_mov_b32_e32 v23, 0x3b800000
	v_lshlrev_b32_e32 v20, 20, v20
	v_and_b32_e32 v22, 0x80000000, v22
	v_lshl_add_u32 v21, v21, 23, v23
	v_or3_b32 v20, v22, v21, v20
.LBB6_276:
	s_or_b64 exec, exec, s[6:7]
	s_movk_i32 s4, 0xff
	v_and_b32_sdwa v21, v10, s4 dst_sel:DWORD dst_unused:UNUSED_PAD src0_sel:WORD_1 src1_sel:DWORD
	s_movk_i32 s4, 0x7f
	v_cmp_lt_i16_e32 vcc, s4, v21
	s_mov_b64 s[4:5], 0
                                        ; implicit-def: $sgpr10
	s_and_saveexec_b64 s[6:7], vcc
	s_xor_b64 s[6:7], exec, s[6:7]
	s_cbranch_execnz .LBB6_2325
; %bb.277:
	s_or_saveexec_b64 s[6:7], s[6:7]
	v_mov_b32_e32 v22, s10
	s_xor_b64 exec, exec, s[6:7]
	s_cbranch_execnz .LBB6_2328
.LBB6_278:
	s_or_b64 exec, exec, s[6:7]
	s_and_saveexec_b64 s[6:7], s[4:5]
	s_cbranch_execz .LBB6_280
.LBB6_279:
	v_bfe_u32 v21, v10, 16, 3
	v_ffbh_u32_e32 v24, v21
	v_min_u32_e32 v24, 32, v24
	v_lshrrev_b32_e32 v22, 19, v10
	v_subrev_u32_e32 v25, 28, v24
	v_and_b32_e32 v22, 15, v22
	v_lshlrev_b32_sdwa v25, v25, v10 dst_sel:DWORD dst_unused:UNUSED_PAD src0_sel:DWORD src1_sel:WORD_1
	v_bfe_u32 v23, v10, 19, 4
	v_sub_u32_e32 v24, 29, v24
	v_and_b32_e32 v25, 7, v25
	v_cmp_eq_u16_e32 vcc, 0, v22
	v_cndmask_b32_e32 v21, v21, v25, vcc
	v_cndmask_b32_e32 v22, v23, v24, vcc
	v_lshlrev_b32_e32 v23, 8, v10
	v_mov_b32_e32 v24, 0x3b800000
	v_lshlrev_b32_e32 v21, 20, v21
	v_and_b32_e32 v23, 0x80000000, v23
	v_lshl_add_u32 v22, v22, 23, v24
	v_or3_b32 v22, v23, v22, v21
.LBB6_280:
	s_or_b64 exec, exec, s[6:7]
	s_nop 0
	v_mfma_f32_16x16x4f32 a[0:3], v20, v22, a[0:3]
	s_movk_i32 s4, 0x7f
	v_cmp_gt_i16_sdwa s[6:7], v14, s4 src0_sel:BYTE_3 src1_sel:DWORD
	s_mov_b64 s[4:5], 0
                                        ; implicit-def: $sgpr10
	s_and_saveexec_b64 s[8:9], s[6:7]
	s_xor_b64 s[6:7], exec, s[8:9]
	s_cbranch_execnz .LBB6_2329
; %bb.281:
	s_or_saveexec_b64 s[6:7], s[6:7]
	v_mov_b32_e32 v20, s10
	s_xor_b64 exec, exec, s[6:7]
	s_cbranch_execnz .LBB6_2332
.LBB6_282:
	s_or_b64 exec, exec, s[6:7]
	s_and_saveexec_b64 s[6:7], s[4:5]
	s_cbranch_execz .LBB6_284
.LBB6_283:
	v_bfe_u32 v20, v14, 24, 3
	v_ffbh_u32_e32 v24, v20
	v_min_u32_e32 v24, 32, v24
	v_lshrrev_b32_e32 v22, 27, v14
	v_subrev_u32_e32 v25, 28, v24
	v_and_b32_e32 v21, 0x80000000, v14
	v_and_b32_e32 v22, 15, v22
	v_bfe_u32 v23, v14, 27, 4
	v_lshlrev_b32_sdwa v14, v25, v14 dst_sel:DWORD dst_unused:UNUSED_PAD src0_sel:DWORD src1_sel:BYTE_3
	v_sub_u32_e32 v24, 29, v24
	v_and_b32_e32 v14, 7, v14
	v_cmp_eq_u16_e32 vcc, 0, v22
	v_cndmask_b32_e32 v14, v20, v14, vcc
	v_cndmask_b32_e32 v20, v23, v24, vcc
	v_mov_b32_e32 v22, 0x3b800000
	v_lshlrev_b32_e32 v14, 20, v14
	v_lshl_add_u32 v20, v20, 23, v22
	v_or3_b32 v20, v21, v20, v14
.LBB6_284:
	s_or_b64 exec, exec, s[6:7]
	s_movk_i32 s4, 0x7f
	v_cmp_gt_i16_sdwa s[6:7], v10, s4 src0_sel:BYTE_3 src1_sel:DWORD
	s_mov_b64 s[4:5], 0
                                        ; implicit-def: $sgpr10
	s_and_saveexec_b64 s[8:9], s[6:7]
	s_xor_b64 s[6:7], exec, s[8:9]
	s_cbranch_execnz .LBB6_2333
; %bb.285:
	s_or_saveexec_b64 s[6:7], s[6:7]
	v_mov_b32_e32 v14, s10
	s_xor_b64 exec, exec, s[6:7]
	s_cbranch_execnz .LBB6_2336
.LBB6_286:
	s_or_b64 exec, exec, s[6:7]
	s_and_saveexec_b64 s[6:7], s[4:5]
	s_cbranch_execz .LBB6_288
.LBB6_287:
	v_bfe_u32 v14, v10, 24, 3
	v_ffbh_u32_e32 v24, v14
	v_min_u32_e32 v24, 32, v24
	v_lshrrev_b32_e32 v22, 27, v10
	v_subrev_u32_e32 v25, 28, v24
	v_and_b32_e32 v21, 0x80000000, v10
	v_and_b32_e32 v22, 15, v22
	v_bfe_u32 v23, v10, 27, 4
	v_lshlrev_b32_sdwa v10, v25, v10 dst_sel:DWORD dst_unused:UNUSED_PAD src0_sel:DWORD src1_sel:BYTE_3
	v_sub_u32_e32 v24, 29, v24
	v_and_b32_e32 v10, 7, v10
	v_cmp_eq_u16_e32 vcc, 0, v22
	v_cndmask_b32_e32 v10, v14, v10, vcc
	v_cndmask_b32_e32 v14, v23, v24, vcc
	v_mov_b32_e32 v22, 0x3b800000
	v_lshlrev_b32_e32 v10, 20, v10
	v_lshl_add_u32 v14, v14, 23, v22
	v_or3_b32 v14, v21, v14, v10
.LBB6_288:
	s_or_b64 exec, exec, s[6:7]
	s_nop 0
	v_mfma_f32_16x16x4f32 a[0:3], v20, v14, a[0:3]
	s_movk_i32 s4, 0x7f
	v_cmp_gt_i16_sdwa s[6:7], v15, s4 src0_sel:BYTE_0 src1_sel:DWORD
	s_mov_b64 s[4:5], 0
                                        ; implicit-def: $sgpr10
	s_and_saveexec_b64 s[8:9], s[6:7]
	s_xor_b64 s[6:7], exec, s[8:9]
	s_cbranch_execnz .LBB6_2337
; %bb.289:
	s_or_saveexec_b64 s[6:7], s[6:7]
	v_mov_b32_e32 v10, s10
	s_xor_b64 exec, exec, s[6:7]
	s_cbranch_execnz .LBB6_2340
.LBB6_290:
	s_or_b64 exec, exec, s[6:7]
	s_and_saveexec_b64 s[6:7], s[4:5]
	s_cbranch_execz .LBB6_292
.LBB6_291:
	v_and_b32_e32 v10, 7, v15
	v_ffbh_u32_e32 v20, v10
	v_min_u32_e32 v20, 32, v20
	v_lshrrev_b16_e32 v14, 3, v15
	v_subrev_u32_e32 v21, 28, v20
	v_and_b32_e32 v14, 15, v14
	v_lshlrev_b32_e32 v21, v21, v15
	v_sub_u32_e32 v20, 29, v20
	v_and_b32_e32 v21, 7, v21
	v_cmp_eq_u16_e32 vcc, 0, v14
	v_cndmask_b32_e32 v10, v10, v21, vcc
	v_cndmask_b32_e32 v14, v14, v20, vcc
	v_lshlrev_b32_e32 v20, 24, v15
	v_mov_b32_e32 v21, 0x3b800000
	v_lshlrev_b32_e32 v10, 20, v10
	v_and_b32_e32 v20, 0x80000000, v20
	v_lshl_add_u32 v14, v14, 23, v21
	v_or3_b32 v10, v20, v14, v10
.LBB6_292:
	s_or_b64 exec, exec, s[6:7]
	s_movk_i32 s4, 0x7f
	v_cmp_gt_i16_sdwa s[6:7], v11, s4 src0_sel:BYTE_0 src1_sel:DWORD
	s_mov_b64 s[4:5], 0
                                        ; implicit-def: $sgpr10
	s_and_saveexec_b64 s[8:9], s[6:7]
	s_xor_b64 s[6:7], exec, s[8:9]
	s_cbranch_execnz .LBB6_2341
; %bb.293:
	s_or_saveexec_b64 s[6:7], s[6:7]
	v_mov_b32_e32 v14, s10
	s_xor_b64 exec, exec, s[6:7]
	s_cbranch_execnz .LBB6_2344
.LBB6_294:
	s_or_b64 exec, exec, s[6:7]
	s_and_saveexec_b64 s[6:7], s[4:5]
	s_cbranch_execz .LBB6_296
.LBB6_295:
	v_and_b32_e32 v14, 7, v11
	v_ffbh_u32_e32 v21, v14
	v_min_u32_e32 v21, 32, v21
	v_lshrrev_b16_e32 v20, 3, v11
	v_subrev_u32_e32 v22, 28, v21
	v_and_b32_e32 v20, 15, v20
	v_lshlrev_b32_e32 v22, v22, v11
	v_sub_u32_e32 v21, 29, v21
	v_and_b32_e32 v22, 7, v22
	v_cmp_eq_u16_e32 vcc, 0, v20
	v_cndmask_b32_e32 v14, v14, v22, vcc
	v_cndmask_b32_e32 v20, v20, v21, vcc
	v_lshlrev_b32_e32 v21, 24, v11
	v_mov_b32_e32 v22, 0x3b800000
	v_lshlrev_b32_e32 v14, 20, v14
	v_and_b32_e32 v21, 0x80000000, v21
	v_lshl_add_u32 v20, v20, 23, v22
	v_or3_b32 v14, v21, v20, v14
.LBB6_296:
	s_or_b64 exec, exec, s[6:7]
	s_nop 0
	v_mfma_f32_16x16x4f32 a[0:3], v10, v14, a[0:3]
	v_lshrrev_b32_e32 v14, 8, v15
	s_movk_i32 s4, 0x7f
	v_cmp_gt_i16_sdwa s[6:7], v14, s4 src0_sel:BYTE_0 src1_sel:DWORD
	s_mov_b64 s[4:5], 0
                                        ; implicit-def: $sgpr10
	s_and_saveexec_b64 s[8:9], s[6:7]
	s_xor_b64 s[6:7], exec, s[8:9]
	s_cbranch_execnz .LBB6_2345
; %bb.297:
	s_or_saveexec_b64 s[6:7], s[6:7]
	v_mov_b32_e32 v10, s10
	s_xor_b64 exec, exec, s[6:7]
	s_cbranch_execnz .LBB6_2348
.LBB6_298:
	s_or_b64 exec, exec, s[6:7]
	s_and_saveexec_b64 s[6:7], s[4:5]
	s_cbranch_execz .LBB6_300
.LBB6_299:
	v_bfe_u32 v10, v15, 8, 3
	v_ffbh_u32_e32 v21, v10
	v_min_u32_e32 v21, 32, v21
	v_lshrrev_b16_e32 v20, 3, v14
	v_subrev_u32_e32 v22, 28, v21
	v_and_b32_e32 v20, 15, v20
	v_lshlrev_b32_e32 v14, v22, v14
	v_sub_u32_e32 v21, 29, v21
	v_and_b32_e32 v14, 7, v14
	v_cmp_eq_u16_e32 vcc, 0, v20
	v_cndmask_b32_e32 v10, v10, v14, vcc
	v_cndmask_b32_e32 v14, v20, v21, vcc
	v_lshlrev_b32_e32 v20, 16, v15
	v_mov_b32_e32 v21, 0x3b800000
	v_lshlrev_b32_e32 v10, 20, v10
	v_and_b32_e32 v20, 0x80000000, v20
	v_lshl_add_u32 v14, v14, 23, v21
	v_or3_b32 v10, v20, v14, v10
.LBB6_300:
	s_or_b64 exec, exec, s[6:7]
	v_lshrrev_b32_e32 v14, 8, v11
	s_movk_i32 s4, 0x7f
	v_cmp_gt_i16_sdwa s[6:7], v14, s4 src0_sel:BYTE_0 src1_sel:DWORD
	s_mov_b64 s[4:5], 0
                                        ; implicit-def: $sgpr10
	s_and_saveexec_b64 s[8:9], s[6:7]
	s_xor_b64 s[6:7], exec, s[8:9]
	s_cbranch_execnz .LBB6_2349
; %bb.301:
	s_or_saveexec_b64 s[6:7], s[6:7]
	v_mov_b32_e32 v20, s10
	s_xor_b64 exec, exec, s[6:7]
	s_cbranch_execnz .LBB6_2352
.LBB6_302:
	s_or_b64 exec, exec, s[6:7]
	s_and_saveexec_b64 s[6:7], s[4:5]
	s_cbranch_execz .LBB6_304
.LBB6_303:
	v_bfe_u32 v20, v11, 8, 3
	v_ffbh_u32_e32 v22, v20
	v_min_u32_e32 v22, 32, v22
	v_lshrrev_b16_e32 v21, 3, v14
	v_subrev_u32_e32 v23, 28, v22
	v_and_b32_e32 v21, 15, v21
	v_lshlrev_b32_e32 v14, v23, v14
	v_sub_u32_e32 v22, 29, v22
	v_and_b32_e32 v14, 7, v14
	v_cmp_eq_u16_e32 vcc, 0, v21
	v_cndmask_b32_e32 v14, v20, v14, vcc
	v_cndmask_b32_e32 v20, v21, v22, vcc
	v_lshlrev_b32_e32 v21, 16, v11
	v_mov_b32_e32 v22, 0x3b800000
	v_lshlrev_b32_e32 v14, 20, v14
	v_and_b32_e32 v21, 0x80000000, v21
	v_lshl_add_u32 v20, v20, 23, v22
	v_or3_b32 v20, v21, v20, v14
.LBB6_304:
	s_or_b64 exec, exec, s[6:7]
	s_nop 0
	v_mfma_f32_16x16x4f32 a[0:3], v10, v20, a[0:3]
	s_movk_i32 s4, 0xff
	v_and_b32_sdwa v14, v15, s4 dst_sel:DWORD dst_unused:UNUSED_PAD src0_sel:WORD_1 src1_sel:DWORD
	s_movk_i32 s4, 0x7f
	v_cmp_lt_i16_e32 vcc, s4, v14
	s_mov_b64 s[4:5], 0
                                        ; implicit-def: $sgpr10
	s_and_saveexec_b64 s[6:7], vcc
	s_xor_b64 s[6:7], exec, s[6:7]
	s_cbranch_execnz .LBB6_2353
; %bb.305:
	s_or_saveexec_b64 s[6:7], s[6:7]
	v_mov_b32_e32 v10, s10
	s_xor_b64 exec, exec, s[6:7]
	s_cbranch_execnz .LBB6_2356
.LBB6_306:
	s_or_b64 exec, exec, s[6:7]
	s_and_saveexec_b64 s[6:7], s[4:5]
	s_cbranch_execz .LBB6_308
.LBB6_307:
	v_bfe_u32 v10, v15, 16, 3
	v_ffbh_u32_e32 v21, v10
	v_min_u32_e32 v21, 32, v21
	v_lshrrev_b32_e32 v14, 19, v15
	v_subrev_u32_e32 v22, 28, v21
	v_and_b32_e32 v14, 15, v14
	v_lshlrev_b32_sdwa v22, v22, v15 dst_sel:DWORD dst_unused:UNUSED_PAD src0_sel:DWORD src1_sel:WORD_1
	v_bfe_u32 v20, v15, 19, 4
	v_sub_u32_e32 v21, 29, v21
	v_and_b32_e32 v22, 7, v22
	v_cmp_eq_u16_e32 vcc, 0, v14
	v_cndmask_b32_e32 v10, v10, v22, vcc
	v_cndmask_b32_e32 v14, v20, v21, vcc
	v_lshlrev_b32_e32 v20, 8, v15
	v_mov_b32_e32 v21, 0x3b800000
	v_lshlrev_b32_e32 v10, 20, v10
	v_and_b32_e32 v20, 0x80000000, v20
	v_lshl_add_u32 v14, v14, 23, v21
	v_or3_b32 v10, v20, v14, v10
.LBB6_308:
	s_or_b64 exec, exec, s[6:7]
	s_movk_i32 s4, 0xff
	v_and_b32_sdwa v14, v11, s4 dst_sel:DWORD dst_unused:UNUSED_PAD src0_sel:WORD_1 src1_sel:DWORD
	s_movk_i32 s4, 0x7f
	v_cmp_lt_i16_e32 vcc, s4, v14
	s_mov_b64 s[4:5], 0
                                        ; implicit-def: $sgpr10
	s_and_saveexec_b64 s[6:7], vcc
	s_xor_b64 s[6:7], exec, s[6:7]
	s_cbranch_execnz .LBB6_2357
; %bb.309:
	s_or_saveexec_b64 s[6:7], s[6:7]
	v_mov_b32_e32 v20, s10
	s_xor_b64 exec, exec, s[6:7]
	s_cbranch_execnz .LBB6_2360
.LBB6_310:
	s_or_b64 exec, exec, s[6:7]
	s_and_saveexec_b64 s[6:7], s[4:5]
	s_cbranch_execz .LBB6_312
.LBB6_311:
	v_bfe_u32 v14, v11, 16, 3
	v_ffbh_u32_e32 v22, v14
	v_min_u32_e32 v22, 32, v22
	v_lshrrev_b32_e32 v20, 19, v11
	v_subrev_u32_e32 v23, 28, v22
	v_and_b32_e32 v20, 15, v20
	v_lshlrev_b32_sdwa v23, v23, v11 dst_sel:DWORD dst_unused:UNUSED_PAD src0_sel:DWORD src1_sel:WORD_1
	v_bfe_u32 v21, v11, 19, 4
	v_sub_u32_e32 v22, 29, v22
	v_and_b32_e32 v23, 7, v23
	v_cmp_eq_u16_e32 vcc, 0, v20
	v_cndmask_b32_e32 v14, v14, v23, vcc
	v_cndmask_b32_e32 v20, v21, v22, vcc
	v_lshlrev_b32_e32 v21, 8, v11
	v_mov_b32_e32 v22, 0x3b800000
	v_lshlrev_b32_e32 v14, 20, v14
	v_and_b32_e32 v21, 0x80000000, v21
	v_lshl_add_u32 v20, v20, 23, v22
	v_or3_b32 v20, v21, v20, v14
.LBB6_312:
	s_or_b64 exec, exec, s[6:7]
	s_nop 0
	v_mfma_f32_16x16x4f32 a[0:3], v10, v20, a[0:3]
	s_movk_i32 s4, 0x7f
	v_cmp_gt_i16_sdwa s[6:7], v15, s4 src0_sel:BYTE_3 src1_sel:DWORD
	s_mov_b64 s[4:5], 0
                                        ; implicit-def: $sgpr10
	s_and_saveexec_b64 s[8:9], s[6:7]
	s_xor_b64 s[6:7], exec, s[8:9]
	s_cbranch_execnz .LBB6_2361
; %bb.313:
	s_or_saveexec_b64 s[6:7], s[6:7]
	v_mov_b32_e32 v10, s10
	s_xor_b64 exec, exec, s[6:7]
	s_cbranch_execnz .LBB6_2364
.LBB6_314:
	s_or_b64 exec, exec, s[6:7]
	s_and_saveexec_b64 s[6:7], s[4:5]
	s_cbranch_execz .LBB6_316
.LBB6_315:
	v_bfe_u32 v10, v15, 24, 3
	v_ffbh_u32_e32 v22, v10
	v_min_u32_e32 v22, 32, v22
	v_lshrrev_b32_e32 v20, 27, v15
	v_subrev_u32_e32 v23, 28, v22
	v_and_b32_e32 v14, 0x80000000, v15
	v_and_b32_e32 v20, 15, v20
	v_bfe_u32 v21, v15, 27, 4
	v_lshlrev_b32_sdwa v15, v23, v15 dst_sel:DWORD dst_unused:UNUSED_PAD src0_sel:DWORD src1_sel:BYTE_3
	v_sub_u32_e32 v22, 29, v22
	v_and_b32_e32 v15, 7, v15
	v_cmp_eq_u16_e32 vcc, 0, v20
	v_cndmask_b32_e32 v10, v10, v15, vcc
	v_cndmask_b32_e32 v15, v21, v22, vcc
	v_mov_b32_e32 v20, 0x3b800000
	v_lshlrev_b32_e32 v10, 20, v10
	v_lshl_add_u32 v15, v15, 23, v20
	v_or3_b32 v10, v14, v15, v10
.LBB6_316:
	s_or_b64 exec, exec, s[6:7]
	s_movk_i32 s4, 0x7f
	v_cmp_gt_i16_sdwa s[6:7], v11, s4 src0_sel:BYTE_3 src1_sel:DWORD
	s_mov_b64 s[4:5], 0
                                        ; implicit-def: $sgpr10
	s_and_saveexec_b64 s[8:9], s[6:7]
	s_xor_b64 s[6:7], exec, s[8:9]
	s_cbranch_execnz .LBB6_2365
; %bb.317:
	s_or_saveexec_b64 s[6:7], s[6:7]
	v_mov_b32_e32 v14, s10
	s_xor_b64 exec, exec, s[6:7]
	s_cbranch_execnz .LBB6_2368
.LBB6_318:
	s_or_b64 exec, exec, s[6:7]
	s_and_saveexec_b64 s[6:7], s[4:5]
	s_cbranch_execz .LBB6_320
.LBB6_319:
	v_bfe_u32 v14, v11, 24, 3
	v_ffbh_u32_e32 v22, v14
	v_min_u32_e32 v22, 32, v22
	v_lshrrev_b32_e32 v20, 27, v11
	v_subrev_u32_e32 v23, 28, v22
	v_and_b32_e32 v15, 0x80000000, v11
	v_and_b32_e32 v20, 15, v20
	v_bfe_u32 v21, v11, 27, 4
	v_lshlrev_b32_sdwa v11, v23, v11 dst_sel:DWORD dst_unused:UNUSED_PAD src0_sel:DWORD src1_sel:BYTE_3
	v_sub_u32_e32 v22, 29, v22
	v_and_b32_e32 v11, 7, v11
	v_cmp_eq_u16_e32 vcc, 0, v20
	v_cndmask_b32_e32 v11, v14, v11, vcc
	v_cndmask_b32_e32 v14, v21, v22, vcc
	v_mov_b32_e32 v20, 0x3b800000
	v_lshlrev_b32_e32 v11, 20, v11
	v_lshl_add_u32 v14, v14, 23, v20
	v_or3_b32 v14, v15, v14, v11
.LBB6_320:
	s_or_b64 exec, exec, s[6:7]
	s_nop 0
	v_mfma_f32_16x16x4f32 a[0:3], v10, v14, a[0:3]
	s_movk_i32 s4, 0x7f
	v_cmp_gt_i16_sdwa s[6:7], v16, s4 src0_sel:BYTE_0 src1_sel:DWORD
	s_mov_b64 s[4:5], 0
                                        ; implicit-def: $sgpr10
	s_and_saveexec_b64 s[8:9], s[6:7]
	s_xor_b64 s[6:7], exec, s[8:9]
	s_cbranch_execnz .LBB6_2369
; %bb.321:
	s_or_saveexec_b64 s[6:7], s[6:7]
	v_mov_b32_e32 v10, s10
	s_xor_b64 exec, exec, s[6:7]
	s_cbranch_execnz .LBB6_2372
.LBB6_322:
	s_or_b64 exec, exec, s[6:7]
	s_and_saveexec_b64 s[6:7], s[4:5]
	s_cbranch_execz .LBB6_324
.LBB6_323:
	v_and_b32_e32 v10, 7, v16
	v_ffbh_u32_e32 v14, v10
	v_min_u32_e32 v14, 32, v14
	v_lshrrev_b16_e32 v11, 3, v16
	v_subrev_u32_e32 v15, 28, v14
	v_and_b32_e32 v11, 15, v11
	v_lshlrev_b32_e32 v15, v15, v16
	v_sub_u32_e32 v14, 29, v14
	v_and_b32_e32 v15, 7, v15
	v_cmp_eq_u16_e32 vcc, 0, v11
	v_cndmask_b32_e32 v10, v10, v15, vcc
	v_cndmask_b32_e32 v11, v11, v14, vcc
	v_lshlrev_b32_e32 v14, 24, v16
	v_mov_b32_e32 v15, 0x3b800000
	v_lshlrev_b32_e32 v10, 20, v10
	v_and_b32_e32 v14, 0x80000000, v14
	v_lshl_add_u32 v11, v11, 23, v15
	v_or3_b32 v10, v14, v11, v10
.LBB6_324:
	s_or_b64 exec, exec, s[6:7]
	s_movk_i32 s4, 0x7f
	v_cmp_gt_i16_sdwa s[6:7], v12, s4 src0_sel:BYTE_0 src1_sel:DWORD
	s_mov_b64 s[4:5], 0
                                        ; implicit-def: $sgpr10
	s_and_saveexec_b64 s[8:9], s[6:7]
	s_xor_b64 s[6:7], exec, s[8:9]
	s_cbranch_execnz .LBB6_2373
; %bb.325:
	s_or_saveexec_b64 s[6:7], s[6:7]
	v_mov_b32_e32 v11, s10
	s_xor_b64 exec, exec, s[6:7]
	s_cbranch_execnz .LBB6_2376
.LBB6_326:
	s_or_b64 exec, exec, s[6:7]
	s_and_saveexec_b64 s[6:7], s[4:5]
	s_cbranch_execz .LBB6_328
.LBB6_327:
	v_and_b32_e32 v11, 7, v12
	v_ffbh_u32_e32 v15, v11
	v_min_u32_e32 v15, 32, v15
	v_lshrrev_b16_e32 v14, 3, v12
	v_subrev_u32_e32 v20, 28, v15
	v_and_b32_e32 v14, 15, v14
	v_lshlrev_b32_e32 v20, v20, v12
	v_sub_u32_e32 v15, 29, v15
	v_and_b32_e32 v20, 7, v20
	v_cmp_eq_u16_e32 vcc, 0, v14
	v_cndmask_b32_e32 v11, v11, v20, vcc
	v_cndmask_b32_e32 v14, v14, v15, vcc
	v_lshlrev_b32_e32 v15, 24, v12
	v_mov_b32_e32 v20, 0x3b800000
	v_lshlrev_b32_e32 v11, 20, v11
	v_and_b32_e32 v15, 0x80000000, v15
	v_lshl_add_u32 v14, v14, 23, v20
	v_or3_b32 v11, v15, v14, v11
.LBB6_328:
	s_or_b64 exec, exec, s[6:7]
	s_nop 0
	v_mfma_f32_16x16x4f32 a[0:3], v10, v11, a[0:3]
	v_lshrrev_b32_e32 v11, 8, v16
	s_movk_i32 s4, 0x7f
	v_cmp_gt_i16_sdwa s[6:7], v11, s4 src0_sel:BYTE_0 src1_sel:DWORD
	s_mov_b64 s[4:5], 0
                                        ; implicit-def: $sgpr10
	s_and_saveexec_b64 s[8:9], s[6:7]
	s_xor_b64 s[6:7], exec, s[8:9]
	s_cbranch_execnz .LBB6_2377
; %bb.329:
	s_or_saveexec_b64 s[6:7], s[6:7]
	v_mov_b32_e32 v10, s10
	s_xor_b64 exec, exec, s[6:7]
	s_cbranch_execnz .LBB6_2380
.LBB6_330:
	s_or_b64 exec, exec, s[6:7]
	s_and_saveexec_b64 s[6:7], s[4:5]
	s_cbranch_execz .LBB6_332
.LBB6_331:
	v_bfe_u32 v10, v16, 8, 3
	v_ffbh_u32_e32 v15, v10
	v_min_u32_e32 v15, 32, v15
	v_lshrrev_b16_e32 v14, 3, v11
	v_subrev_u32_e32 v20, 28, v15
	v_and_b32_e32 v14, 15, v14
	v_lshlrev_b32_e32 v11, v20, v11
	v_sub_u32_e32 v15, 29, v15
	v_and_b32_e32 v11, 7, v11
	v_cmp_eq_u16_e32 vcc, 0, v14
	v_cndmask_b32_e32 v10, v10, v11, vcc
	v_cndmask_b32_e32 v11, v14, v15, vcc
	v_lshlrev_b32_e32 v14, 16, v16
	v_mov_b32_e32 v15, 0x3b800000
	v_lshlrev_b32_e32 v10, 20, v10
	v_and_b32_e32 v14, 0x80000000, v14
	v_lshl_add_u32 v11, v11, 23, v15
	v_or3_b32 v10, v14, v11, v10
.LBB6_332:
	s_or_b64 exec, exec, s[6:7]
	v_lshrrev_b32_e32 v11, 8, v12
	s_movk_i32 s4, 0x7f
	v_cmp_gt_i16_sdwa s[6:7], v11, s4 src0_sel:BYTE_0 src1_sel:DWORD
	s_mov_b64 s[4:5], 0
                                        ; implicit-def: $sgpr10
	s_and_saveexec_b64 s[8:9], s[6:7]
	s_xor_b64 s[6:7], exec, s[8:9]
	s_cbranch_execnz .LBB6_2381
; %bb.333:
	s_or_saveexec_b64 s[6:7], s[6:7]
	v_mov_b32_e32 v14, s10
	s_xor_b64 exec, exec, s[6:7]
	s_cbranch_execnz .LBB6_2384
.LBB6_334:
	s_or_b64 exec, exec, s[6:7]
	s_and_saveexec_b64 s[6:7], s[4:5]
	s_cbranch_execz .LBB6_336
.LBB6_335:
	v_bfe_u32 v14, v12, 8, 3
	v_ffbh_u32_e32 v20, v14
	v_min_u32_e32 v20, 32, v20
	v_lshrrev_b16_e32 v15, 3, v11
	v_subrev_u32_e32 v21, 28, v20
	v_and_b32_e32 v15, 15, v15
	v_lshlrev_b32_e32 v11, v21, v11
	v_sub_u32_e32 v20, 29, v20
	v_and_b32_e32 v11, 7, v11
	v_cmp_eq_u16_e32 vcc, 0, v15
	v_cndmask_b32_e32 v11, v14, v11, vcc
	v_cndmask_b32_e32 v14, v15, v20, vcc
	v_lshlrev_b32_e32 v15, 16, v12
	v_mov_b32_e32 v20, 0x3b800000
	v_lshlrev_b32_e32 v11, 20, v11
	v_and_b32_e32 v15, 0x80000000, v15
	v_lshl_add_u32 v14, v14, 23, v20
	v_or3_b32 v14, v15, v14, v11
.LBB6_336:
	s_or_b64 exec, exec, s[6:7]
	s_nop 0
	v_mfma_f32_16x16x4f32 a[0:3], v10, v14, a[0:3]
	s_movk_i32 s4, 0xff
	v_and_b32_sdwa v11, v16, s4 dst_sel:DWORD dst_unused:UNUSED_PAD src0_sel:WORD_1 src1_sel:DWORD
	s_movk_i32 s4, 0x7f
	v_cmp_lt_i16_e32 vcc, s4, v11
	s_mov_b64 s[4:5], 0
                                        ; implicit-def: $sgpr10
	s_and_saveexec_b64 s[6:7], vcc
	s_xor_b64 s[6:7], exec, s[6:7]
	s_cbranch_execnz .LBB6_2385
; %bb.337:
	s_or_saveexec_b64 s[6:7], s[6:7]
	v_mov_b32_e32 v10, s10
	s_xor_b64 exec, exec, s[6:7]
	s_cbranch_execnz .LBB6_2388
.LBB6_338:
	s_or_b64 exec, exec, s[6:7]
	s_and_saveexec_b64 s[6:7], s[4:5]
	s_cbranch_execz .LBB6_340
.LBB6_339:
	v_bfe_u32 v10, v16, 16, 3
	v_ffbh_u32_e32 v15, v10
	v_min_u32_e32 v15, 32, v15
	v_lshrrev_b32_e32 v11, 19, v16
	v_subrev_u32_e32 v20, 28, v15
	v_and_b32_e32 v11, 15, v11
	v_lshlrev_b32_sdwa v20, v20, v16 dst_sel:DWORD dst_unused:UNUSED_PAD src0_sel:DWORD src1_sel:WORD_1
	v_bfe_u32 v14, v16, 19, 4
	v_sub_u32_e32 v15, 29, v15
	v_and_b32_e32 v20, 7, v20
	v_cmp_eq_u16_e32 vcc, 0, v11
	v_cndmask_b32_e32 v10, v10, v20, vcc
	v_cndmask_b32_e32 v11, v14, v15, vcc
	v_lshlrev_b32_e32 v14, 8, v16
	v_mov_b32_e32 v15, 0x3b800000
	v_lshlrev_b32_e32 v10, 20, v10
	v_and_b32_e32 v14, 0x80000000, v14
	v_lshl_add_u32 v11, v11, 23, v15
	v_or3_b32 v10, v14, v11, v10
.LBB6_340:
	s_or_b64 exec, exec, s[6:7]
	s_movk_i32 s4, 0xff
	v_and_b32_sdwa v11, v12, s4 dst_sel:DWORD dst_unused:UNUSED_PAD src0_sel:WORD_1 src1_sel:DWORD
	s_movk_i32 s4, 0x7f
	v_cmp_lt_i16_e32 vcc, s4, v11
	s_mov_b64 s[4:5], 0
                                        ; implicit-def: $sgpr10
	s_and_saveexec_b64 s[6:7], vcc
	s_xor_b64 s[6:7], exec, s[6:7]
	s_cbranch_execnz .LBB6_2389
; %bb.341:
	s_or_saveexec_b64 s[6:7], s[6:7]
	v_mov_b32_e32 v14, s10
	s_xor_b64 exec, exec, s[6:7]
	s_cbranch_execnz .LBB6_2392
.LBB6_342:
	s_or_b64 exec, exec, s[6:7]
	s_and_saveexec_b64 s[6:7], s[4:5]
	s_cbranch_execz .LBB6_344
.LBB6_343:
	v_bfe_u32 v11, v12, 16, 3
	v_ffbh_u32_e32 v20, v11
	v_min_u32_e32 v20, 32, v20
	v_lshrrev_b32_e32 v14, 19, v12
	v_subrev_u32_e32 v21, 28, v20
	v_and_b32_e32 v14, 15, v14
	v_lshlrev_b32_sdwa v21, v21, v12 dst_sel:DWORD dst_unused:UNUSED_PAD src0_sel:DWORD src1_sel:WORD_1
	v_bfe_u32 v15, v12, 19, 4
	v_sub_u32_e32 v20, 29, v20
	v_and_b32_e32 v21, 7, v21
	v_cmp_eq_u16_e32 vcc, 0, v14
	v_cndmask_b32_e32 v11, v11, v21, vcc
	v_cndmask_b32_e32 v14, v15, v20, vcc
	v_lshlrev_b32_e32 v15, 8, v12
	v_mov_b32_e32 v20, 0x3b800000
	v_lshlrev_b32_e32 v11, 20, v11
	v_and_b32_e32 v15, 0x80000000, v15
	v_lshl_add_u32 v14, v14, 23, v20
	v_or3_b32 v14, v15, v14, v11
.LBB6_344:
	s_or_b64 exec, exec, s[6:7]
	s_nop 0
	v_mfma_f32_16x16x4f32 a[0:3], v10, v14, a[0:3]
	s_movk_i32 s4, 0x7f
	v_cmp_gt_i16_sdwa s[6:7], v16, s4 src0_sel:BYTE_3 src1_sel:DWORD
	s_mov_b64 s[4:5], 0
                                        ; implicit-def: $sgpr10
	s_and_saveexec_b64 s[8:9], s[6:7]
	s_xor_b64 s[6:7], exec, s[8:9]
	s_cbranch_execnz .LBB6_2393
; %bb.345:
	s_or_saveexec_b64 s[6:7], s[6:7]
	v_mov_b32_e32 v10, s10
	s_xor_b64 exec, exec, s[6:7]
	s_cbranch_execnz .LBB6_2396
.LBB6_346:
	s_or_b64 exec, exec, s[6:7]
	s_and_saveexec_b64 s[6:7], s[4:5]
	s_cbranch_execz .LBB6_348
.LBB6_347:
	v_bfe_u32 v10, v16, 24, 3
	v_ffbh_u32_e32 v20, v10
	v_min_u32_e32 v20, 32, v20
	v_lshrrev_b32_e32 v14, 27, v16
	v_subrev_u32_e32 v21, 28, v20
	v_and_b32_e32 v11, 0x80000000, v16
	v_and_b32_e32 v14, 15, v14
	v_bfe_u32 v15, v16, 27, 4
	v_lshlrev_b32_sdwa v16, v21, v16 dst_sel:DWORD dst_unused:UNUSED_PAD src0_sel:DWORD src1_sel:BYTE_3
	v_sub_u32_e32 v20, 29, v20
	v_and_b32_e32 v16, 7, v16
	v_cmp_eq_u16_e32 vcc, 0, v14
	v_cndmask_b32_e32 v10, v10, v16, vcc
	v_cndmask_b32_e32 v14, v15, v20, vcc
	v_mov_b32_e32 v15, 0x3b800000
	v_lshlrev_b32_e32 v10, 20, v10
	v_lshl_add_u32 v14, v14, 23, v15
	v_or3_b32 v10, v11, v14, v10
.LBB6_348:
	s_or_b64 exec, exec, s[6:7]
	s_movk_i32 s4, 0x7f
	v_cmp_gt_i16_sdwa s[6:7], v12, s4 src0_sel:BYTE_3 src1_sel:DWORD
	s_mov_b64 s[4:5], 0
                                        ; implicit-def: $sgpr10
	s_and_saveexec_b64 s[8:9], s[6:7]
	s_xor_b64 s[6:7], exec, s[8:9]
	s_cbranch_execnz .LBB6_2397
; %bb.349:
	s_or_saveexec_b64 s[6:7], s[6:7]
	v_mov_b32_e32 v11, s10
	s_xor_b64 exec, exec, s[6:7]
	s_cbranch_execnz .LBB6_2400
.LBB6_350:
	s_or_b64 exec, exec, s[6:7]
	s_and_saveexec_b64 s[6:7], s[4:5]
	s_cbranch_execz .LBB6_352
.LBB6_351:
	v_bfe_u32 v11, v12, 24, 3
	v_ffbh_u32_e32 v20, v11
	v_min_u32_e32 v20, 32, v20
	v_lshrrev_b32_e32 v15, 27, v12
	v_subrev_u32_e32 v21, 28, v20
	v_and_b32_e32 v14, 0x80000000, v12
	v_and_b32_e32 v15, 15, v15
	v_bfe_u32 v16, v12, 27, 4
	v_lshlrev_b32_sdwa v12, v21, v12 dst_sel:DWORD dst_unused:UNUSED_PAD src0_sel:DWORD src1_sel:BYTE_3
	v_sub_u32_e32 v20, 29, v20
	v_and_b32_e32 v12, 7, v12
	v_cmp_eq_u16_e32 vcc, 0, v15
	v_cndmask_b32_e32 v11, v11, v12, vcc
	v_cndmask_b32_e32 v12, v16, v20, vcc
	v_mov_b32_e32 v15, 0x3b800000
	v_lshlrev_b32_e32 v11, 20, v11
	v_lshl_add_u32 v12, v12, 23, v15
	v_or3_b32 v11, v14, v12, v11
.LBB6_352:
	s_or_b64 exec, exec, s[6:7]
	s_nop 0
	v_mfma_f32_16x16x4f32 a[0:3], v10, v11, a[0:3]
	s_movk_i32 s4, 0x7f
	v_cmp_gt_i16_sdwa s[6:7], v17, s4 src0_sel:BYTE_0 src1_sel:DWORD
	s_mov_b64 s[4:5], 0
                                        ; implicit-def: $sgpr10
	s_and_saveexec_b64 s[8:9], s[6:7]
	s_xor_b64 s[6:7], exec, s[8:9]
	s_cbranch_execnz .LBB6_2401
; %bb.353:
	s_or_saveexec_b64 s[6:7], s[6:7]
	v_mov_b32_e32 v10, s10
	s_xor_b64 exec, exec, s[6:7]
	s_cbranch_execnz .LBB6_2404
.LBB6_354:
	s_or_b64 exec, exec, s[6:7]
	s_and_saveexec_b64 s[6:7], s[4:5]
	s_cbranch_execz .LBB6_356
.LBB6_355:
	v_and_b32_e32 v10, 7, v17
	v_ffbh_u32_e32 v12, v10
	v_min_u32_e32 v12, 32, v12
	v_lshrrev_b16_e32 v11, 3, v17
	v_subrev_u32_e32 v14, 28, v12
	v_and_b32_e32 v11, 15, v11
	v_lshlrev_b32_e32 v14, v14, v17
	v_sub_u32_e32 v12, 29, v12
	v_and_b32_e32 v14, 7, v14
	v_cmp_eq_u16_e32 vcc, 0, v11
	v_cndmask_b32_e32 v10, v10, v14, vcc
	v_cndmask_b32_e32 v11, v11, v12, vcc
	v_lshlrev_b32_e32 v12, 24, v17
	v_mov_b32_e32 v14, 0x3b800000
	v_lshlrev_b32_e32 v10, 20, v10
	v_and_b32_e32 v12, 0x80000000, v12
	v_lshl_add_u32 v11, v11, 23, v14
	v_or3_b32 v10, v12, v11, v10
.LBB6_356:
	s_or_b64 exec, exec, s[6:7]
	s_movk_i32 s4, 0x7f
	v_cmp_gt_i16_sdwa s[6:7], v13, s4 src0_sel:BYTE_0 src1_sel:DWORD
	s_mov_b64 s[4:5], 0
                                        ; implicit-def: $sgpr10
	s_and_saveexec_b64 s[8:9], s[6:7]
	s_xor_b64 s[6:7], exec, s[8:9]
	s_cbranch_execnz .LBB6_2405
; %bb.357:
	s_or_saveexec_b64 s[6:7], s[6:7]
	v_mov_b32_e32 v11, s10
	s_xor_b64 exec, exec, s[6:7]
	s_cbranch_execnz .LBB6_2408
.LBB6_358:
	s_or_b64 exec, exec, s[6:7]
	s_and_saveexec_b64 s[6:7], s[4:5]
	s_cbranch_execz .LBB6_360
.LBB6_359:
	v_and_b32_e32 v11, 7, v13
	v_ffbh_u32_e32 v14, v11
	v_min_u32_e32 v14, 32, v14
	v_lshrrev_b16_e32 v12, 3, v13
	v_subrev_u32_e32 v15, 28, v14
	v_and_b32_e32 v12, 15, v12
	v_lshlrev_b32_e32 v15, v15, v13
	v_sub_u32_e32 v14, 29, v14
	v_and_b32_e32 v15, 7, v15
	v_cmp_eq_u16_e32 vcc, 0, v12
	v_cndmask_b32_e32 v11, v11, v15, vcc
	v_cndmask_b32_e32 v12, v12, v14, vcc
	v_lshlrev_b32_e32 v14, 24, v13
	v_mov_b32_e32 v15, 0x3b800000
	v_lshlrev_b32_e32 v11, 20, v11
	v_and_b32_e32 v14, 0x80000000, v14
	v_lshl_add_u32 v12, v12, 23, v15
	v_or3_b32 v11, v14, v12, v11
.LBB6_360:
	s_or_b64 exec, exec, s[6:7]
	s_nop 0
	v_mfma_f32_16x16x4f32 a[0:3], v10, v11, a[0:3]
	v_lshrrev_b32_e32 v11, 8, v17
	s_movk_i32 s4, 0x7f
	v_cmp_gt_i16_sdwa s[6:7], v11, s4 src0_sel:BYTE_0 src1_sel:DWORD
	s_mov_b64 s[4:5], 0
                                        ; implicit-def: $sgpr10
	s_and_saveexec_b64 s[8:9], s[6:7]
	s_xor_b64 s[6:7], exec, s[8:9]
	s_cbranch_execnz .LBB6_2409
; %bb.361:
	s_or_saveexec_b64 s[6:7], s[6:7]
	v_mov_b32_e32 v10, s10
	s_xor_b64 exec, exec, s[6:7]
	s_cbranch_execnz .LBB6_2412
.LBB6_362:
	s_or_b64 exec, exec, s[6:7]
	s_and_saveexec_b64 s[6:7], s[4:5]
	s_cbranch_execz .LBB6_364
.LBB6_363:
	v_bfe_u32 v10, v17, 8, 3
	v_ffbh_u32_e32 v14, v10
	v_min_u32_e32 v14, 32, v14
	v_lshrrev_b16_e32 v12, 3, v11
	v_subrev_u32_e32 v15, 28, v14
	v_and_b32_e32 v12, 15, v12
	v_lshlrev_b32_e32 v11, v15, v11
	v_sub_u32_e32 v14, 29, v14
	v_and_b32_e32 v11, 7, v11
	v_cmp_eq_u16_e32 vcc, 0, v12
	v_cndmask_b32_e32 v10, v10, v11, vcc
	v_cndmask_b32_e32 v11, v12, v14, vcc
	v_lshlrev_b32_e32 v12, 16, v17
	v_mov_b32_e32 v14, 0x3b800000
	v_lshlrev_b32_e32 v10, 20, v10
	v_and_b32_e32 v12, 0x80000000, v12
	v_lshl_add_u32 v11, v11, 23, v14
	v_or3_b32 v10, v12, v11, v10
.LBB6_364:
	s_or_b64 exec, exec, s[6:7]
	v_lshrrev_b32_e32 v11, 8, v13
	s_movk_i32 s4, 0x7f
	v_cmp_gt_i16_sdwa s[6:7], v11, s4 src0_sel:BYTE_0 src1_sel:DWORD
	s_mov_b64 s[4:5], 0
                                        ; implicit-def: $sgpr10
	s_and_saveexec_b64 s[8:9], s[6:7]
	s_xor_b64 s[6:7], exec, s[8:9]
	s_cbranch_execnz .LBB6_2413
; %bb.365:
	s_or_saveexec_b64 s[6:7], s[6:7]
	v_mov_b32_e32 v12, s10
	s_xor_b64 exec, exec, s[6:7]
	s_cbranch_execnz .LBB6_2416
.LBB6_366:
	s_or_b64 exec, exec, s[6:7]
	s_and_saveexec_b64 s[6:7], s[4:5]
	s_cbranch_execz .LBB6_368
.LBB6_367:
	v_bfe_u32 v12, v13, 8, 3
	v_ffbh_u32_e32 v15, v12
	v_min_u32_e32 v15, 32, v15
	v_lshrrev_b16_e32 v14, 3, v11
	v_subrev_u32_e32 v16, 28, v15
	v_and_b32_e32 v14, 15, v14
	v_lshlrev_b32_e32 v11, v16, v11
	v_sub_u32_e32 v15, 29, v15
	v_and_b32_e32 v11, 7, v11
	v_cmp_eq_u16_e32 vcc, 0, v14
	v_cndmask_b32_e32 v11, v12, v11, vcc
	v_cndmask_b32_e32 v12, v14, v15, vcc
	v_lshlrev_b32_e32 v14, 16, v13
	v_mov_b32_e32 v15, 0x3b800000
	v_lshlrev_b32_e32 v11, 20, v11
	v_and_b32_e32 v14, 0x80000000, v14
	v_lshl_add_u32 v12, v12, 23, v15
	v_or3_b32 v12, v14, v12, v11
.LBB6_368:
	s_or_b64 exec, exec, s[6:7]
	s_nop 0
	v_mfma_f32_16x16x4f32 a[0:3], v10, v12, a[0:3]
	s_movk_i32 s4, 0xff
	v_and_b32_sdwa v11, v17, s4 dst_sel:DWORD dst_unused:UNUSED_PAD src0_sel:WORD_1 src1_sel:DWORD
	s_movk_i32 s4, 0x7f
	v_cmp_lt_i16_e32 vcc, s4, v11
	s_mov_b64 s[4:5], 0
                                        ; implicit-def: $sgpr10
	s_and_saveexec_b64 s[6:7], vcc
	s_xor_b64 s[6:7], exec, s[6:7]
	s_cbranch_execnz .LBB6_2417
; %bb.369:
	s_or_saveexec_b64 s[6:7], s[6:7]
	v_mov_b32_e32 v10, s10
	s_xor_b64 exec, exec, s[6:7]
	s_cbranch_execnz .LBB6_2420
.LBB6_370:
	s_or_b64 exec, exec, s[6:7]
	s_and_saveexec_b64 s[6:7], s[4:5]
	s_cbranch_execz .LBB6_372
.LBB6_371:
	v_bfe_u32 v10, v17, 16, 3
	v_ffbh_u32_e32 v14, v10
	v_min_u32_e32 v14, 32, v14
	v_lshrrev_b32_e32 v11, 19, v17
	v_subrev_u32_e32 v15, 28, v14
	v_and_b32_e32 v11, 15, v11
	v_lshlrev_b32_sdwa v15, v15, v17 dst_sel:DWORD dst_unused:UNUSED_PAD src0_sel:DWORD src1_sel:WORD_1
	v_bfe_u32 v12, v17, 19, 4
	v_sub_u32_e32 v14, 29, v14
	v_and_b32_e32 v15, 7, v15
	v_cmp_eq_u16_e32 vcc, 0, v11
	v_cndmask_b32_e32 v10, v10, v15, vcc
	v_cndmask_b32_e32 v11, v12, v14, vcc
	v_lshlrev_b32_e32 v12, 8, v17
	v_mov_b32_e32 v14, 0x3b800000
	v_lshlrev_b32_e32 v10, 20, v10
	v_and_b32_e32 v12, 0x80000000, v12
	v_lshl_add_u32 v11, v11, 23, v14
	v_or3_b32 v10, v12, v11, v10
.LBB6_372:
	s_or_b64 exec, exec, s[6:7]
	s_movk_i32 s4, 0xff
	v_and_b32_sdwa v11, v13, s4 dst_sel:DWORD dst_unused:UNUSED_PAD src0_sel:WORD_1 src1_sel:DWORD
	s_movk_i32 s4, 0x7f
	v_cmp_lt_i16_e32 vcc, s4, v11
	s_mov_b64 s[4:5], 0
                                        ; implicit-def: $sgpr10
	s_and_saveexec_b64 s[6:7], vcc
	s_xor_b64 s[6:7], exec, s[6:7]
	s_cbranch_execnz .LBB6_2421
; %bb.373:
	s_or_saveexec_b64 s[6:7], s[6:7]
	v_mov_b32_e32 v12, s10
	s_xor_b64 exec, exec, s[6:7]
	s_cbranch_execnz .LBB6_2424
.LBB6_374:
	s_or_b64 exec, exec, s[6:7]
	s_and_saveexec_b64 s[6:7], s[4:5]
	s_cbranch_execz .LBB6_376
.LBB6_375:
	v_bfe_u32 v11, v13, 16, 3
	v_ffbh_u32_e32 v15, v11
	v_min_u32_e32 v15, 32, v15
	v_lshrrev_b32_e32 v12, 19, v13
	v_subrev_u32_e32 v16, 28, v15
	v_and_b32_e32 v12, 15, v12
	v_lshlrev_b32_sdwa v16, v16, v13 dst_sel:DWORD dst_unused:UNUSED_PAD src0_sel:DWORD src1_sel:WORD_1
	v_bfe_u32 v14, v13, 19, 4
	v_sub_u32_e32 v15, 29, v15
	v_and_b32_e32 v16, 7, v16
	v_cmp_eq_u16_e32 vcc, 0, v12
	v_cndmask_b32_e32 v11, v11, v16, vcc
	v_cndmask_b32_e32 v12, v14, v15, vcc
	v_lshlrev_b32_e32 v14, 8, v13
	v_mov_b32_e32 v15, 0x3b800000
	v_lshlrev_b32_e32 v11, 20, v11
	v_and_b32_e32 v14, 0x80000000, v14
	v_lshl_add_u32 v12, v12, 23, v15
	v_or3_b32 v12, v14, v12, v11
.LBB6_376:
	s_or_b64 exec, exec, s[6:7]
	s_nop 0
	v_mfma_f32_16x16x4f32 a[0:3], v10, v12, a[0:3]
	s_movk_i32 s4, 0x7f
	v_cmp_gt_i16_sdwa s[6:7], v17, s4 src0_sel:BYTE_3 src1_sel:DWORD
	s_mov_b64 s[4:5], 0
                                        ; implicit-def: $sgpr10
	s_and_saveexec_b64 s[8:9], s[6:7]
	s_xor_b64 s[6:7], exec, s[8:9]
	s_cbranch_execnz .LBB6_2425
; %bb.377:
	s_or_saveexec_b64 s[6:7], s[6:7]
	v_mov_b32_e32 v10, s10
	s_xor_b64 exec, exec, s[6:7]
	s_cbranch_execnz .LBB6_2428
.LBB6_378:
	s_or_b64 exec, exec, s[6:7]
	s_and_saveexec_b64 s[6:7], s[4:5]
	s_cbranch_execz .LBB6_380
.LBB6_379:
	v_bfe_u32 v10, v17, 24, 3
	v_ffbh_u32_e32 v15, v10
	v_min_u32_e32 v15, 32, v15
	v_lshrrev_b32_e32 v12, 27, v17
	v_subrev_u32_e32 v16, 28, v15
	v_and_b32_e32 v12, 15, v12
	v_lshlrev_b32_sdwa v16, v16, v17 dst_sel:DWORD dst_unused:UNUSED_PAD src0_sel:DWORD src1_sel:BYTE_3
	v_bfe_u32 v14, v17, 27, 4
	v_sub_u32_e32 v15, 29, v15
	v_and_b32_e32 v16, 7, v16
	v_cmp_eq_u16_e32 vcc, 0, v12
	v_cndmask_b32_e32 v10, v10, v16, vcc
	v_cndmask_b32_e32 v12, v14, v15, vcc
	v_mov_b32_e32 v14, 0x3b800000
	v_and_b32_e32 v11, 0x80000000, v17
	v_lshlrev_b32_e32 v10, 20, v10
	v_lshl_add_u32 v12, v12, 23, v14
	v_or3_b32 v10, v11, v12, v10
.LBB6_380:
	s_or_b64 exec, exec, s[6:7]
	s_movk_i32 s4, 0x7f
	v_cmp_gt_i16_sdwa s[6:7], v13, s4 src0_sel:BYTE_3 src1_sel:DWORD
	s_mov_b64 s[4:5], 0
                                        ; implicit-def: $sgpr10
	s_and_saveexec_b64 s[8:9], s[6:7]
	s_xor_b64 s[6:7], exec, s[8:9]
	s_cbranch_execnz .LBB6_2429
; %bb.381:
	s_or_saveexec_b64 s[6:7], s[6:7]
	v_mov_b32_e32 v11, s10
	s_xor_b64 exec, exec, s[6:7]
	s_cbranch_execnz .LBB6_2432
.LBB6_382:
	s_or_b64 exec, exec, s[6:7]
	s_and_saveexec_b64 s[6:7], s[4:5]
	s_cbranch_execz .LBB6_384
.LBB6_383:
	v_bfe_u32 v11, v13, 24, 3
	v_ffbh_u32_e32 v16, v11
	v_min_u32_e32 v16, 32, v16
	v_lshrrev_b32_e32 v14, 27, v13
	v_subrev_u32_e32 v17, 28, v16
	v_and_b32_e32 v12, 0x80000000, v13
	v_and_b32_e32 v14, 15, v14
	v_bfe_u32 v15, v13, 27, 4
	v_lshlrev_b32_sdwa v13, v17, v13 dst_sel:DWORD dst_unused:UNUSED_PAD src0_sel:DWORD src1_sel:BYTE_3
	v_sub_u32_e32 v16, 29, v16
	v_and_b32_e32 v13, 7, v13
	v_cmp_eq_u16_e32 vcc, 0, v14
	v_cndmask_b32_e32 v11, v11, v13, vcc
	v_cndmask_b32_e32 v13, v15, v16, vcc
	v_mov_b32_e32 v14, 0x3b800000
	v_lshlrev_b32_e32 v11, 20, v11
	v_lshl_add_u32 v13, v13, 23, v14
	v_or3_b32 v11, v12, v13, v11
.LBB6_384:
	s_or_b64 exec, exec, s[6:7]
	s_nop 0
	v_mfma_f32_16x16x4f32 a[0:3], v10, v11, a[0:3]
	s_movk_i32 s4, 0x7f
	v_cmp_gt_i16_sdwa s[6:7], v6, s4 src0_sel:BYTE_0 src1_sel:DWORD
	s_mov_b64 s[4:5], 0
                                        ; implicit-def: $sgpr10
	s_and_saveexec_b64 s[8:9], s[6:7]
	s_xor_b64 s[6:7], exec, s[8:9]
	s_cbranch_execnz .LBB6_2433
; %bb.385:
	s_or_saveexec_b64 s[6:7], s[6:7]
	v_mov_b32_e32 v10, s10
	s_xor_b64 exec, exec, s[6:7]
	s_cbranch_execnz .LBB6_2436
.LBB6_386:
	s_or_b64 exec, exec, s[6:7]
	s_and_saveexec_b64 s[6:7], s[4:5]
	s_cbranch_execz .LBB6_388
.LBB6_387:
	v_and_b32_e32 v10, 7, v6
	v_ffbh_u32_e32 v12, v10
	v_min_u32_e32 v12, 32, v12
	v_lshrrev_b16_e32 v11, 3, v6
	v_subrev_u32_e32 v13, 28, v12
	v_and_b32_e32 v11, 15, v11
	v_lshlrev_b32_e32 v13, v13, v6
	v_sub_u32_e32 v12, 29, v12
	v_and_b32_e32 v13, 7, v13
	v_cmp_eq_u16_e32 vcc, 0, v11
	v_cndmask_b32_e32 v10, v10, v13, vcc
	v_cndmask_b32_e32 v11, v11, v12, vcc
	v_lshlrev_b32_e32 v12, 24, v6
	v_mov_b32_e32 v13, 0x3b800000
	v_lshlrev_b32_e32 v10, 20, v10
	v_and_b32_e32 v12, 0x80000000, v12
	v_lshl_add_u32 v11, v11, 23, v13
	v_or3_b32 v10, v12, v11, v10
.LBB6_388:
	s_or_b64 exec, exec, s[6:7]
	s_movk_i32 s4, 0x7f
	v_cmp_gt_i16_sdwa s[6:7], v2, s4 src0_sel:BYTE_0 src1_sel:DWORD
	s_mov_b64 s[4:5], 0
                                        ; implicit-def: $sgpr10
	s_and_saveexec_b64 s[8:9], s[6:7]
	s_xor_b64 s[6:7], exec, s[8:9]
	s_cbranch_execnz .LBB6_2437
; %bb.389:
	s_or_saveexec_b64 s[6:7], s[6:7]
	v_mov_b32_e32 v11, s10
	s_xor_b64 exec, exec, s[6:7]
	s_cbranch_execnz .LBB6_2440
.LBB6_390:
	s_or_b64 exec, exec, s[6:7]
	s_and_saveexec_b64 s[6:7], s[4:5]
	s_cbranch_execz .LBB6_392
.LBB6_391:
	v_and_b32_e32 v11, 7, v2
	v_ffbh_u32_e32 v13, v11
	v_min_u32_e32 v13, 32, v13
	v_lshrrev_b16_e32 v12, 3, v2
	v_subrev_u32_e32 v14, 28, v13
	v_and_b32_e32 v12, 15, v12
	v_lshlrev_b32_e32 v14, v14, v2
	v_sub_u32_e32 v13, 29, v13
	v_and_b32_e32 v14, 7, v14
	v_cmp_eq_u16_e32 vcc, 0, v12
	v_cndmask_b32_e32 v11, v11, v14, vcc
	v_cndmask_b32_e32 v12, v12, v13, vcc
	v_lshlrev_b32_e32 v13, 24, v2
	v_mov_b32_e32 v14, 0x3b800000
	v_lshlrev_b32_e32 v11, 20, v11
	v_and_b32_e32 v13, 0x80000000, v13
	v_lshl_add_u32 v12, v12, 23, v14
	v_or3_b32 v11, v13, v12, v11
.LBB6_392:
	s_or_b64 exec, exec, s[6:7]
	s_nop 0
	v_mfma_f32_16x16x4f32 a[0:3], v10, v11, a[0:3]
	v_lshrrev_b32_e32 v11, 8, v6
	s_movk_i32 s4, 0x7f
	v_cmp_gt_i16_sdwa s[6:7], v11, s4 src0_sel:BYTE_0 src1_sel:DWORD
	s_mov_b64 s[4:5], 0
                                        ; implicit-def: $sgpr10
	s_and_saveexec_b64 s[8:9], s[6:7]
	s_xor_b64 s[6:7], exec, s[8:9]
	s_cbranch_execnz .LBB6_2441
; %bb.393:
	s_or_saveexec_b64 s[6:7], s[6:7]
	v_mov_b32_e32 v10, s10
	s_xor_b64 exec, exec, s[6:7]
	s_cbranch_execnz .LBB6_2444
.LBB6_394:
	s_or_b64 exec, exec, s[6:7]
	s_and_saveexec_b64 s[6:7], s[4:5]
	s_cbranch_execz .LBB6_396
.LBB6_395:
	v_bfe_u32 v10, v6, 8, 3
	v_ffbh_u32_e32 v13, v10
	v_min_u32_e32 v13, 32, v13
	v_lshrrev_b16_e32 v12, 3, v11
	v_subrev_u32_e32 v14, 28, v13
	v_and_b32_e32 v12, 15, v12
	v_lshlrev_b32_e32 v11, v14, v11
	v_sub_u32_e32 v13, 29, v13
	v_and_b32_e32 v11, 7, v11
	v_cmp_eq_u16_e32 vcc, 0, v12
	v_cndmask_b32_e32 v10, v10, v11, vcc
	v_cndmask_b32_e32 v11, v12, v13, vcc
	v_lshlrev_b32_e32 v12, 16, v6
	v_mov_b32_e32 v13, 0x3b800000
	v_lshlrev_b32_e32 v10, 20, v10
	v_and_b32_e32 v12, 0x80000000, v12
	v_lshl_add_u32 v11, v11, 23, v13
	v_or3_b32 v10, v12, v11, v10
.LBB6_396:
	s_or_b64 exec, exec, s[6:7]
	v_lshrrev_b32_e32 v11, 8, v2
	s_movk_i32 s4, 0x7f
	v_cmp_gt_i16_sdwa s[6:7], v11, s4 src0_sel:BYTE_0 src1_sel:DWORD
	s_mov_b64 s[4:5], 0
                                        ; implicit-def: $sgpr10
	s_and_saveexec_b64 s[8:9], s[6:7]
	s_xor_b64 s[6:7], exec, s[8:9]
	s_cbranch_execnz .LBB6_2445
; %bb.397:
	s_or_saveexec_b64 s[6:7], s[6:7]
	v_mov_b32_e32 v12, s10
	s_xor_b64 exec, exec, s[6:7]
	s_cbranch_execnz .LBB6_2448
.LBB6_398:
	s_or_b64 exec, exec, s[6:7]
	s_and_saveexec_b64 s[6:7], s[4:5]
	s_cbranch_execz .LBB6_400
.LBB6_399:
	v_bfe_u32 v12, v2, 8, 3
	v_ffbh_u32_e32 v14, v12
	v_min_u32_e32 v14, 32, v14
	v_lshrrev_b16_e32 v13, 3, v11
	v_subrev_u32_e32 v15, 28, v14
	v_and_b32_e32 v13, 15, v13
	v_lshlrev_b32_e32 v11, v15, v11
	v_sub_u32_e32 v14, 29, v14
	v_and_b32_e32 v11, 7, v11
	v_cmp_eq_u16_e32 vcc, 0, v13
	v_cndmask_b32_e32 v11, v12, v11, vcc
	v_cndmask_b32_e32 v12, v13, v14, vcc
	v_lshlrev_b32_e32 v13, 16, v2
	v_mov_b32_e32 v14, 0x3b800000
	v_lshlrev_b32_e32 v11, 20, v11
	v_and_b32_e32 v13, 0x80000000, v13
	v_lshl_add_u32 v12, v12, 23, v14
	v_or3_b32 v12, v13, v12, v11
.LBB6_400:
	s_or_b64 exec, exec, s[6:7]
	s_nop 0
	v_mfma_f32_16x16x4f32 a[0:3], v10, v12, a[0:3]
	s_movk_i32 s4, 0xff
	v_and_b32_sdwa v11, v6, s4 dst_sel:DWORD dst_unused:UNUSED_PAD src0_sel:WORD_1 src1_sel:DWORD
	s_movk_i32 s4, 0x7f
	v_cmp_lt_i16_e32 vcc, s4, v11
	s_mov_b64 s[4:5], 0
                                        ; implicit-def: $sgpr10
	s_and_saveexec_b64 s[6:7], vcc
	s_xor_b64 s[6:7], exec, s[6:7]
	s_cbranch_execnz .LBB6_2449
; %bb.401:
	s_or_saveexec_b64 s[6:7], s[6:7]
	v_mov_b32_e32 v10, s10
	s_xor_b64 exec, exec, s[6:7]
	s_cbranch_execnz .LBB6_2452
.LBB6_402:
	s_or_b64 exec, exec, s[6:7]
	s_and_saveexec_b64 s[6:7], s[4:5]
	s_cbranch_execz .LBB6_404
.LBB6_403:
	v_bfe_u32 v10, v6, 16, 3
	v_ffbh_u32_e32 v13, v10
	v_min_u32_e32 v13, 32, v13
	v_lshrrev_b32_e32 v11, 19, v6
	v_subrev_u32_e32 v14, 28, v13
	v_and_b32_e32 v11, 15, v11
	v_lshlrev_b32_sdwa v14, v14, v6 dst_sel:DWORD dst_unused:UNUSED_PAD src0_sel:DWORD src1_sel:WORD_1
	v_bfe_u32 v12, v6, 19, 4
	v_sub_u32_e32 v13, 29, v13
	v_and_b32_e32 v14, 7, v14
	v_cmp_eq_u16_e32 vcc, 0, v11
	v_cndmask_b32_e32 v10, v10, v14, vcc
	v_cndmask_b32_e32 v11, v12, v13, vcc
	v_lshlrev_b32_e32 v12, 8, v6
	v_mov_b32_e32 v13, 0x3b800000
	v_lshlrev_b32_e32 v10, 20, v10
	v_and_b32_e32 v12, 0x80000000, v12
	v_lshl_add_u32 v11, v11, 23, v13
	v_or3_b32 v10, v12, v11, v10
.LBB6_404:
	s_or_b64 exec, exec, s[6:7]
	s_movk_i32 s4, 0xff
	v_and_b32_sdwa v11, v2, s4 dst_sel:DWORD dst_unused:UNUSED_PAD src0_sel:WORD_1 src1_sel:DWORD
	s_movk_i32 s4, 0x7f
	v_cmp_lt_i16_e32 vcc, s4, v11
	s_mov_b64 s[4:5], 0
                                        ; implicit-def: $sgpr10
	s_and_saveexec_b64 s[6:7], vcc
	s_xor_b64 s[6:7], exec, s[6:7]
	s_cbranch_execnz .LBB6_2453
; %bb.405:
	s_or_saveexec_b64 s[6:7], s[6:7]
	v_mov_b32_e32 v12, s10
	s_xor_b64 exec, exec, s[6:7]
	s_cbranch_execnz .LBB6_2456
.LBB6_406:
	s_or_b64 exec, exec, s[6:7]
	s_and_saveexec_b64 s[6:7], s[4:5]
	s_cbranch_execz .LBB6_408
.LBB6_407:
	v_bfe_u32 v11, v2, 16, 3
	v_ffbh_u32_e32 v14, v11
	v_min_u32_e32 v14, 32, v14
	v_lshrrev_b32_e32 v12, 19, v2
	v_subrev_u32_e32 v15, 28, v14
	v_and_b32_e32 v12, 15, v12
	v_lshlrev_b32_sdwa v15, v15, v2 dst_sel:DWORD dst_unused:UNUSED_PAD src0_sel:DWORD src1_sel:WORD_1
	v_bfe_u32 v13, v2, 19, 4
	v_sub_u32_e32 v14, 29, v14
	v_and_b32_e32 v15, 7, v15
	v_cmp_eq_u16_e32 vcc, 0, v12
	v_cndmask_b32_e32 v11, v11, v15, vcc
	v_cndmask_b32_e32 v12, v13, v14, vcc
	v_lshlrev_b32_e32 v13, 8, v2
	v_mov_b32_e32 v14, 0x3b800000
	v_lshlrev_b32_e32 v11, 20, v11
	v_and_b32_e32 v13, 0x80000000, v13
	v_lshl_add_u32 v12, v12, 23, v14
	v_or3_b32 v12, v13, v12, v11
.LBB6_408:
	s_or_b64 exec, exec, s[6:7]
	s_nop 0
	v_mfma_f32_16x16x4f32 a[0:3], v10, v12, a[0:3]
	s_movk_i32 s4, 0x7f
	v_cmp_gt_i16_sdwa s[6:7], v6, s4 src0_sel:BYTE_3 src1_sel:DWORD
	s_mov_b64 s[4:5], 0
                                        ; implicit-def: $sgpr10
	s_and_saveexec_b64 s[8:9], s[6:7]
	s_xor_b64 s[6:7], exec, s[8:9]
	s_cbranch_execnz .LBB6_2457
; %bb.409:
	s_or_saveexec_b64 s[6:7], s[6:7]
	v_mov_b32_e32 v10, s10
	s_xor_b64 exec, exec, s[6:7]
	s_cbranch_execnz .LBB6_2460
.LBB6_410:
	s_or_b64 exec, exec, s[6:7]
	s_and_saveexec_b64 s[6:7], s[4:5]
	s_cbranch_execz .LBB6_412
.LBB6_411:
	v_bfe_u32 v10, v6, 24, 3
	v_ffbh_u32_e32 v14, v10
	v_min_u32_e32 v14, 32, v14
	v_lshrrev_b32_e32 v12, 27, v6
	v_subrev_u32_e32 v15, 28, v14
	v_and_b32_e32 v11, 0x80000000, v6
	v_and_b32_e32 v12, 15, v12
	v_bfe_u32 v13, v6, 27, 4
	v_lshlrev_b32_sdwa v6, v15, v6 dst_sel:DWORD dst_unused:UNUSED_PAD src0_sel:DWORD src1_sel:BYTE_3
	v_sub_u32_e32 v14, 29, v14
	v_and_b32_e32 v6, 7, v6
	v_cmp_eq_u16_e32 vcc, 0, v12
	v_cndmask_b32_e32 v6, v10, v6, vcc
	v_cndmask_b32_e32 v10, v13, v14, vcc
	v_mov_b32_e32 v12, 0x3b800000
	v_lshlrev_b32_e32 v6, 20, v6
	v_lshl_add_u32 v10, v10, 23, v12
	v_or3_b32 v10, v11, v10, v6
.LBB6_412:
	s_or_b64 exec, exec, s[6:7]
	s_movk_i32 s4, 0x7f
	v_cmp_gt_i16_sdwa s[6:7], v2, s4 src0_sel:BYTE_3 src1_sel:DWORD
	s_mov_b64 s[4:5], 0
                                        ; implicit-def: $sgpr10
	s_and_saveexec_b64 s[8:9], s[6:7]
	s_xor_b64 s[6:7], exec, s[8:9]
	s_cbranch_execnz .LBB6_2461
; %bb.413:
	s_or_saveexec_b64 s[6:7], s[6:7]
	v_mov_b32_e32 v6, s10
	s_xor_b64 exec, exec, s[6:7]
	s_cbranch_execnz .LBB6_2464
.LBB6_414:
	s_or_b64 exec, exec, s[6:7]
	s_and_saveexec_b64 s[6:7], s[4:5]
	s_cbranch_execz .LBB6_416
.LBB6_415:
	v_bfe_u32 v6, v2, 24, 3
	v_ffbh_u32_e32 v14, v6
	v_min_u32_e32 v14, 32, v14
	v_lshrrev_b32_e32 v12, 27, v2
	v_subrev_u32_e32 v15, 28, v14
	v_and_b32_e32 v11, 0x80000000, v2
	v_and_b32_e32 v12, 15, v12
	v_bfe_u32 v13, v2, 27, 4
	v_lshlrev_b32_sdwa v2, v15, v2 dst_sel:DWORD dst_unused:UNUSED_PAD src0_sel:DWORD src1_sel:BYTE_3
	v_sub_u32_e32 v14, 29, v14
	v_and_b32_e32 v2, 7, v2
	v_cmp_eq_u16_e32 vcc, 0, v12
	v_cndmask_b32_e32 v2, v6, v2, vcc
	v_cndmask_b32_e32 v6, v13, v14, vcc
	v_mov_b32_e32 v12, 0x3b800000
	v_lshlrev_b32_e32 v2, 20, v2
	v_lshl_add_u32 v6, v6, 23, v12
	v_or3_b32 v6, v11, v6, v2
.LBB6_416:
	s_or_b64 exec, exec, s[6:7]
	s_nop 0
	v_mfma_f32_16x16x4f32 a[0:3], v10, v6, a[0:3]
	s_movk_i32 s4, 0x7f
	v_cmp_gt_i16_sdwa s[6:7], v7, s4 src0_sel:BYTE_0 src1_sel:DWORD
	s_mov_b64 s[4:5], 0
                                        ; implicit-def: $sgpr10
	s_and_saveexec_b64 s[8:9], s[6:7]
	s_xor_b64 s[6:7], exec, s[8:9]
	s_cbranch_execnz .LBB6_2465
; %bb.417:
	s_or_saveexec_b64 s[6:7], s[6:7]
	v_mov_b32_e32 v2, s10
	s_xor_b64 exec, exec, s[6:7]
	s_cbranch_execnz .LBB6_2468
.LBB6_418:
	s_or_b64 exec, exec, s[6:7]
	s_and_saveexec_b64 s[6:7], s[4:5]
	s_cbranch_execz .LBB6_420
.LBB6_419:
	v_and_b32_e32 v2, 7, v7
	v_ffbh_u32_e32 v10, v2
	v_min_u32_e32 v10, 32, v10
	v_lshrrev_b16_e32 v6, 3, v7
	v_subrev_u32_e32 v11, 28, v10
	v_and_b32_e32 v6, 15, v6
	v_lshlrev_b32_e32 v11, v11, v7
	v_sub_u32_e32 v10, 29, v10
	v_and_b32_e32 v11, 7, v11
	v_cmp_eq_u16_e32 vcc, 0, v6
	v_cndmask_b32_e32 v2, v2, v11, vcc
	v_cndmask_b32_e32 v6, v6, v10, vcc
	v_lshlrev_b32_e32 v10, 24, v7
	v_mov_b32_e32 v11, 0x3b800000
	v_lshlrev_b32_e32 v2, 20, v2
	v_and_b32_e32 v10, 0x80000000, v10
	v_lshl_add_u32 v6, v6, 23, v11
	v_or3_b32 v2, v10, v6, v2
.LBB6_420:
	s_or_b64 exec, exec, s[6:7]
	s_movk_i32 s4, 0x7f
	v_cmp_gt_i16_sdwa s[6:7], v3, s4 src0_sel:BYTE_0 src1_sel:DWORD
	s_mov_b64 s[4:5], 0
                                        ; implicit-def: $sgpr10
	s_and_saveexec_b64 s[8:9], s[6:7]
	s_xor_b64 s[6:7], exec, s[8:9]
	s_cbranch_execnz .LBB6_2469
; %bb.421:
	s_or_saveexec_b64 s[6:7], s[6:7]
	v_mov_b32_e32 v6, s10
	s_xor_b64 exec, exec, s[6:7]
	s_cbranch_execnz .LBB6_2472
.LBB6_422:
	s_or_b64 exec, exec, s[6:7]
	s_and_saveexec_b64 s[6:7], s[4:5]
	s_cbranch_execz .LBB6_424
.LBB6_423:
	v_and_b32_e32 v6, 7, v3
	v_ffbh_u32_e32 v11, v6
	v_min_u32_e32 v11, 32, v11
	v_lshrrev_b16_e32 v10, 3, v3
	v_subrev_u32_e32 v12, 28, v11
	v_and_b32_e32 v10, 15, v10
	v_lshlrev_b32_e32 v12, v12, v3
	v_sub_u32_e32 v11, 29, v11
	v_and_b32_e32 v12, 7, v12
	v_cmp_eq_u16_e32 vcc, 0, v10
	v_cndmask_b32_e32 v6, v6, v12, vcc
	v_cndmask_b32_e32 v10, v10, v11, vcc
	v_lshlrev_b32_e32 v11, 24, v3
	v_mov_b32_e32 v12, 0x3b800000
	v_lshlrev_b32_e32 v6, 20, v6
	v_and_b32_e32 v11, 0x80000000, v11
	v_lshl_add_u32 v10, v10, 23, v12
	v_or3_b32 v6, v11, v10, v6
.LBB6_424:
	s_or_b64 exec, exec, s[6:7]
	s_nop 0
	v_mfma_f32_16x16x4f32 a[0:3], v2, v6, a[0:3]
	v_lshrrev_b32_e32 v6, 8, v7
	s_movk_i32 s4, 0x7f
	v_cmp_gt_i16_sdwa s[6:7], v6, s4 src0_sel:BYTE_0 src1_sel:DWORD
	s_mov_b64 s[4:5], 0
                                        ; implicit-def: $sgpr10
	s_and_saveexec_b64 s[8:9], s[6:7]
	s_xor_b64 s[6:7], exec, s[8:9]
	s_cbranch_execnz .LBB6_2473
; %bb.425:
	s_or_saveexec_b64 s[6:7], s[6:7]
	v_mov_b32_e32 v2, s10
	s_xor_b64 exec, exec, s[6:7]
	s_cbranch_execnz .LBB6_2476
.LBB6_426:
	s_or_b64 exec, exec, s[6:7]
	s_and_saveexec_b64 s[6:7], s[4:5]
	s_cbranch_execz .LBB6_428
.LBB6_427:
	v_bfe_u32 v2, v7, 8, 3
	v_ffbh_u32_e32 v11, v2
	v_min_u32_e32 v11, 32, v11
	v_lshrrev_b16_e32 v10, 3, v6
	v_subrev_u32_e32 v12, 28, v11
	v_and_b32_e32 v10, 15, v10
	v_lshlrev_b32_e32 v6, v12, v6
	v_sub_u32_e32 v11, 29, v11
	v_and_b32_e32 v6, 7, v6
	v_cmp_eq_u16_e32 vcc, 0, v10
	v_cndmask_b32_e32 v2, v2, v6, vcc
	v_cndmask_b32_e32 v6, v10, v11, vcc
	v_lshlrev_b32_e32 v10, 16, v7
	v_mov_b32_e32 v11, 0x3b800000
	v_lshlrev_b32_e32 v2, 20, v2
	v_and_b32_e32 v10, 0x80000000, v10
	v_lshl_add_u32 v6, v6, 23, v11
	v_or3_b32 v2, v10, v6, v2
.LBB6_428:
	s_or_b64 exec, exec, s[6:7]
	v_lshrrev_b32_e32 v6, 8, v3
	s_movk_i32 s4, 0x7f
	v_cmp_gt_i16_sdwa s[6:7], v6, s4 src0_sel:BYTE_0 src1_sel:DWORD
	s_mov_b64 s[4:5], 0
                                        ; implicit-def: $sgpr10
	s_and_saveexec_b64 s[8:9], s[6:7]
	s_xor_b64 s[6:7], exec, s[8:9]
	s_cbranch_execnz .LBB6_2477
; %bb.429:
	s_or_saveexec_b64 s[6:7], s[6:7]
	v_mov_b32_e32 v10, s10
	s_xor_b64 exec, exec, s[6:7]
	s_cbranch_execnz .LBB6_2480
.LBB6_430:
	s_or_b64 exec, exec, s[6:7]
	s_and_saveexec_b64 s[6:7], s[4:5]
	s_cbranch_execz .LBB6_432
.LBB6_431:
	v_bfe_u32 v10, v3, 8, 3
	v_ffbh_u32_e32 v12, v10
	v_min_u32_e32 v12, 32, v12
	v_lshrrev_b16_e32 v11, 3, v6
	v_subrev_u32_e32 v13, 28, v12
	v_and_b32_e32 v11, 15, v11
	v_lshlrev_b32_e32 v6, v13, v6
	v_sub_u32_e32 v12, 29, v12
	v_and_b32_e32 v6, 7, v6
	v_cmp_eq_u16_e32 vcc, 0, v11
	v_cndmask_b32_e32 v6, v10, v6, vcc
	v_cndmask_b32_e32 v10, v11, v12, vcc
	v_lshlrev_b32_e32 v11, 16, v3
	v_mov_b32_e32 v12, 0x3b800000
	v_lshlrev_b32_e32 v6, 20, v6
	v_and_b32_e32 v11, 0x80000000, v11
	v_lshl_add_u32 v10, v10, 23, v12
	v_or3_b32 v10, v11, v10, v6
.LBB6_432:
	s_or_b64 exec, exec, s[6:7]
	s_nop 0
	v_mfma_f32_16x16x4f32 a[0:3], v2, v10, a[0:3]
	s_movk_i32 s4, 0xff
	v_and_b32_sdwa v6, v7, s4 dst_sel:DWORD dst_unused:UNUSED_PAD src0_sel:WORD_1 src1_sel:DWORD
	s_movk_i32 s4, 0x7f
	v_cmp_lt_i16_e32 vcc, s4, v6
	s_mov_b64 s[4:5], 0
                                        ; implicit-def: $sgpr10
	s_and_saveexec_b64 s[6:7], vcc
	s_xor_b64 s[6:7], exec, s[6:7]
	s_cbranch_execnz .LBB6_2481
; %bb.433:
	s_or_saveexec_b64 s[6:7], s[6:7]
	v_mov_b32_e32 v2, s10
	s_xor_b64 exec, exec, s[6:7]
	s_cbranch_execnz .LBB6_2484
.LBB6_434:
	s_or_b64 exec, exec, s[6:7]
	s_and_saveexec_b64 s[6:7], s[4:5]
	s_cbranch_execz .LBB6_436
.LBB6_435:
	v_bfe_u32 v2, v7, 16, 3
	v_ffbh_u32_e32 v11, v2
	v_min_u32_e32 v11, 32, v11
	v_lshrrev_b32_e32 v6, 19, v7
	v_subrev_u32_e32 v12, 28, v11
	v_and_b32_e32 v6, 15, v6
	v_lshlrev_b32_sdwa v12, v12, v7 dst_sel:DWORD dst_unused:UNUSED_PAD src0_sel:DWORD src1_sel:WORD_1
	v_bfe_u32 v10, v7, 19, 4
	v_sub_u32_e32 v11, 29, v11
	v_and_b32_e32 v12, 7, v12
	v_cmp_eq_u16_e32 vcc, 0, v6
	v_cndmask_b32_e32 v2, v2, v12, vcc
	v_cndmask_b32_e32 v6, v10, v11, vcc
	v_lshlrev_b32_e32 v10, 8, v7
	v_mov_b32_e32 v11, 0x3b800000
	v_lshlrev_b32_e32 v2, 20, v2
	v_and_b32_e32 v10, 0x80000000, v10
	v_lshl_add_u32 v6, v6, 23, v11
	v_or3_b32 v2, v10, v6, v2
.LBB6_436:
	s_or_b64 exec, exec, s[6:7]
	s_movk_i32 s4, 0xff
	v_and_b32_sdwa v6, v3, s4 dst_sel:DWORD dst_unused:UNUSED_PAD src0_sel:WORD_1 src1_sel:DWORD
	s_movk_i32 s4, 0x7f
	v_cmp_lt_i16_e32 vcc, s4, v6
	s_mov_b64 s[4:5], 0
                                        ; implicit-def: $sgpr10
	s_and_saveexec_b64 s[6:7], vcc
	s_xor_b64 s[6:7], exec, s[6:7]
	s_cbranch_execnz .LBB6_2485
; %bb.437:
	s_or_saveexec_b64 s[6:7], s[6:7]
	v_mov_b32_e32 v10, s10
	s_xor_b64 exec, exec, s[6:7]
	s_cbranch_execnz .LBB6_2488
.LBB6_438:
	s_or_b64 exec, exec, s[6:7]
	s_and_saveexec_b64 s[6:7], s[4:5]
	s_cbranch_execz .LBB6_440
.LBB6_439:
	v_bfe_u32 v6, v3, 16, 3
	v_ffbh_u32_e32 v12, v6
	v_min_u32_e32 v12, 32, v12
	v_lshrrev_b32_e32 v10, 19, v3
	v_subrev_u32_e32 v13, 28, v12
	v_and_b32_e32 v10, 15, v10
	v_lshlrev_b32_sdwa v13, v13, v3 dst_sel:DWORD dst_unused:UNUSED_PAD src0_sel:DWORD src1_sel:WORD_1
	v_bfe_u32 v11, v3, 19, 4
	v_sub_u32_e32 v12, 29, v12
	v_and_b32_e32 v13, 7, v13
	v_cmp_eq_u16_e32 vcc, 0, v10
	v_cndmask_b32_e32 v6, v6, v13, vcc
	v_cndmask_b32_e32 v10, v11, v12, vcc
	v_lshlrev_b32_e32 v11, 8, v3
	v_mov_b32_e32 v12, 0x3b800000
	v_lshlrev_b32_e32 v6, 20, v6
	v_and_b32_e32 v11, 0x80000000, v11
	v_lshl_add_u32 v10, v10, 23, v12
	v_or3_b32 v10, v11, v10, v6
.LBB6_440:
	s_or_b64 exec, exec, s[6:7]
	s_nop 0
	v_mfma_f32_16x16x4f32 a[0:3], v2, v10, a[0:3]
	s_movk_i32 s4, 0x7f
	v_cmp_gt_i16_sdwa s[6:7], v7, s4 src0_sel:BYTE_3 src1_sel:DWORD
	s_mov_b64 s[4:5], 0
                                        ; implicit-def: $sgpr10
	s_and_saveexec_b64 s[8:9], s[6:7]
	s_xor_b64 s[6:7], exec, s[8:9]
	s_cbranch_execnz .LBB6_2489
; %bb.441:
	s_or_saveexec_b64 s[6:7], s[6:7]
	v_mov_b32_e32 v2, s10
	s_xor_b64 exec, exec, s[6:7]
	s_cbranch_execnz .LBB6_2492
.LBB6_442:
	s_or_b64 exec, exec, s[6:7]
	s_and_saveexec_b64 s[6:7], s[4:5]
	s_cbranch_execz .LBB6_444
.LBB6_443:
	v_bfe_u32 v2, v7, 24, 3
	v_ffbh_u32_e32 v12, v2
	v_min_u32_e32 v12, 32, v12
	v_lshrrev_b32_e32 v10, 27, v7
	v_subrev_u32_e32 v13, 28, v12
	v_and_b32_e32 v6, 0x80000000, v7
	v_and_b32_e32 v10, 15, v10
	v_bfe_u32 v11, v7, 27, 4
	v_lshlrev_b32_sdwa v7, v13, v7 dst_sel:DWORD dst_unused:UNUSED_PAD src0_sel:DWORD src1_sel:BYTE_3
	v_sub_u32_e32 v12, 29, v12
	v_and_b32_e32 v7, 7, v7
	v_cmp_eq_u16_e32 vcc, 0, v10
	v_cndmask_b32_e32 v2, v2, v7, vcc
	v_cndmask_b32_e32 v7, v11, v12, vcc
	v_mov_b32_e32 v10, 0x3b800000
	v_lshlrev_b32_e32 v2, 20, v2
	v_lshl_add_u32 v7, v7, 23, v10
	v_or3_b32 v2, v6, v7, v2
.LBB6_444:
	s_or_b64 exec, exec, s[6:7]
	s_movk_i32 s4, 0x7f
	v_cmp_gt_i16_sdwa s[6:7], v3, s4 src0_sel:BYTE_3 src1_sel:DWORD
	s_mov_b64 s[4:5], 0
                                        ; implicit-def: $sgpr10
	s_and_saveexec_b64 s[8:9], s[6:7]
	s_xor_b64 s[6:7], exec, s[8:9]
	s_cbranch_execnz .LBB6_2493
; %bb.445:
	s_or_saveexec_b64 s[6:7], s[6:7]
	v_mov_b32_e32 v6, s10
	s_xor_b64 exec, exec, s[6:7]
	s_cbranch_execnz .LBB6_2496
.LBB6_446:
	s_or_b64 exec, exec, s[6:7]
	s_and_saveexec_b64 s[6:7], s[4:5]
	s_cbranch_execz .LBB6_448
.LBB6_447:
	v_bfe_u32 v6, v3, 24, 3
	v_ffbh_u32_e32 v12, v6
	v_min_u32_e32 v12, 32, v12
	v_lshrrev_b32_e32 v10, 27, v3
	v_subrev_u32_e32 v13, 28, v12
	v_and_b32_e32 v7, 0x80000000, v3
	v_and_b32_e32 v10, 15, v10
	v_bfe_u32 v11, v3, 27, 4
	v_lshlrev_b32_sdwa v3, v13, v3 dst_sel:DWORD dst_unused:UNUSED_PAD src0_sel:DWORD src1_sel:BYTE_3
	v_sub_u32_e32 v12, 29, v12
	v_and_b32_e32 v3, 7, v3
	v_cmp_eq_u16_e32 vcc, 0, v10
	v_cndmask_b32_e32 v3, v6, v3, vcc
	v_cndmask_b32_e32 v6, v11, v12, vcc
	v_mov_b32_e32 v10, 0x3b800000
	v_lshlrev_b32_e32 v3, 20, v3
	v_lshl_add_u32 v6, v6, 23, v10
	v_or3_b32 v6, v7, v6, v3
.LBB6_448:
	s_or_b64 exec, exec, s[6:7]
	s_nop 0
	v_mfma_f32_16x16x4f32 a[0:3], v2, v6, a[0:3]
	s_movk_i32 s4, 0x7f
	v_cmp_gt_i16_sdwa s[6:7], v8, s4 src0_sel:BYTE_0 src1_sel:DWORD
	s_mov_b64 s[4:5], 0
                                        ; implicit-def: $sgpr10
	s_and_saveexec_b64 s[8:9], s[6:7]
	s_xor_b64 s[6:7], exec, s[8:9]
	s_cbranch_execnz .LBB6_2497
; %bb.449:
	s_or_saveexec_b64 s[6:7], s[6:7]
	v_mov_b32_e32 v2, s10
	s_xor_b64 exec, exec, s[6:7]
	s_cbranch_execnz .LBB6_2500
.LBB6_450:
	s_or_b64 exec, exec, s[6:7]
	s_and_saveexec_b64 s[6:7], s[4:5]
	s_cbranch_execz .LBB6_452
.LBB6_451:
	v_and_b32_e32 v2, 7, v8
	v_ffbh_u32_e32 v6, v2
	v_min_u32_e32 v6, 32, v6
	v_lshrrev_b16_e32 v3, 3, v8
	v_subrev_u32_e32 v7, 28, v6
	v_and_b32_e32 v3, 15, v3
	v_lshlrev_b32_e32 v7, v7, v8
	v_sub_u32_e32 v6, 29, v6
	v_and_b32_e32 v7, 7, v7
	v_cmp_eq_u16_e32 vcc, 0, v3
	v_cndmask_b32_e32 v2, v2, v7, vcc
	v_cndmask_b32_e32 v3, v3, v6, vcc
	v_lshlrev_b32_e32 v6, 24, v8
	v_mov_b32_e32 v7, 0x3b800000
	v_lshlrev_b32_e32 v2, 20, v2
	v_and_b32_e32 v6, 0x80000000, v6
	v_lshl_add_u32 v3, v3, 23, v7
	v_or3_b32 v2, v6, v3, v2
.LBB6_452:
	s_or_b64 exec, exec, s[6:7]
	s_movk_i32 s4, 0x7f
	v_cmp_gt_i16_sdwa s[6:7], v4, s4 src0_sel:BYTE_0 src1_sel:DWORD
	s_mov_b64 s[4:5], 0
                                        ; implicit-def: $sgpr10
	s_and_saveexec_b64 s[8:9], s[6:7]
	s_xor_b64 s[6:7], exec, s[8:9]
	s_cbranch_execnz .LBB6_2501
; %bb.453:
	s_or_saveexec_b64 s[6:7], s[6:7]
	v_mov_b32_e32 v3, s10
	s_xor_b64 exec, exec, s[6:7]
	s_cbranch_execnz .LBB6_2504
.LBB6_454:
	s_or_b64 exec, exec, s[6:7]
	s_and_saveexec_b64 s[6:7], s[4:5]
	s_cbranch_execz .LBB6_456
.LBB6_455:
	v_and_b32_e32 v3, 7, v4
	v_ffbh_u32_e32 v7, v3
	v_min_u32_e32 v7, 32, v7
	v_lshrrev_b16_e32 v6, 3, v4
	v_subrev_u32_e32 v10, 28, v7
	v_and_b32_e32 v6, 15, v6
	v_lshlrev_b32_e32 v10, v10, v4
	v_sub_u32_e32 v7, 29, v7
	v_and_b32_e32 v10, 7, v10
	v_cmp_eq_u16_e32 vcc, 0, v6
	v_cndmask_b32_e32 v3, v3, v10, vcc
	v_cndmask_b32_e32 v6, v6, v7, vcc
	v_lshlrev_b32_e32 v7, 24, v4
	v_mov_b32_e32 v10, 0x3b800000
	v_lshlrev_b32_e32 v3, 20, v3
	v_and_b32_e32 v7, 0x80000000, v7
	v_lshl_add_u32 v6, v6, 23, v10
	v_or3_b32 v3, v7, v6, v3
.LBB6_456:
	s_or_b64 exec, exec, s[6:7]
	s_nop 0
	v_mfma_f32_16x16x4f32 a[0:3], v2, v3, a[0:3]
	v_lshrrev_b32_e32 v3, 8, v8
	s_movk_i32 s4, 0x7f
	v_cmp_gt_i16_sdwa s[6:7], v3, s4 src0_sel:BYTE_0 src1_sel:DWORD
	s_mov_b64 s[4:5], 0
                                        ; implicit-def: $sgpr10
	s_and_saveexec_b64 s[8:9], s[6:7]
	s_xor_b64 s[6:7], exec, s[8:9]
	s_cbranch_execnz .LBB6_2505
; %bb.457:
	s_or_saveexec_b64 s[6:7], s[6:7]
	v_mov_b32_e32 v2, s10
	s_xor_b64 exec, exec, s[6:7]
	s_cbranch_execnz .LBB6_2508
.LBB6_458:
	s_or_b64 exec, exec, s[6:7]
	s_and_saveexec_b64 s[6:7], s[4:5]
	s_cbranch_execz .LBB6_460
.LBB6_459:
	v_bfe_u32 v2, v8, 8, 3
	v_ffbh_u32_e32 v7, v2
	v_min_u32_e32 v7, 32, v7
	v_lshrrev_b16_e32 v6, 3, v3
	v_subrev_u32_e32 v10, 28, v7
	v_and_b32_e32 v6, 15, v6
	v_lshlrev_b32_e32 v3, v10, v3
	v_sub_u32_e32 v7, 29, v7
	v_and_b32_e32 v3, 7, v3
	v_cmp_eq_u16_e32 vcc, 0, v6
	v_cndmask_b32_e32 v2, v2, v3, vcc
	v_cndmask_b32_e32 v3, v6, v7, vcc
	v_lshlrev_b32_e32 v6, 16, v8
	v_mov_b32_e32 v7, 0x3b800000
	v_lshlrev_b32_e32 v2, 20, v2
	v_and_b32_e32 v6, 0x80000000, v6
	v_lshl_add_u32 v3, v3, 23, v7
	v_or3_b32 v2, v6, v3, v2
.LBB6_460:
	s_or_b64 exec, exec, s[6:7]
	v_lshrrev_b32_e32 v3, 8, v4
	s_movk_i32 s4, 0x7f
	v_cmp_gt_i16_sdwa s[6:7], v3, s4 src0_sel:BYTE_0 src1_sel:DWORD
	s_mov_b64 s[4:5], 0
                                        ; implicit-def: $sgpr10
	s_and_saveexec_b64 s[8:9], s[6:7]
	s_xor_b64 s[6:7], exec, s[8:9]
	s_cbranch_execnz .LBB6_2509
; %bb.461:
	s_or_saveexec_b64 s[6:7], s[6:7]
	v_mov_b32_e32 v6, s10
	s_xor_b64 exec, exec, s[6:7]
	s_cbranch_execnz .LBB6_2512
.LBB6_462:
	s_or_b64 exec, exec, s[6:7]
	s_and_saveexec_b64 s[6:7], s[4:5]
	s_cbranch_execz .LBB6_464
.LBB6_463:
	v_bfe_u32 v6, v4, 8, 3
	v_ffbh_u32_e32 v10, v6
	v_min_u32_e32 v10, 32, v10
	v_lshrrev_b16_e32 v7, 3, v3
	v_subrev_u32_e32 v11, 28, v10
	v_and_b32_e32 v7, 15, v7
	v_lshlrev_b32_e32 v3, v11, v3
	v_sub_u32_e32 v10, 29, v10
	v_and_b32_e32 v3, 7, v3
	v_cmp_eq_u16_e32 vcc, 0, v7
	v_cndmask_b32_e32 v3, v6, v3, vcc
	v_cndmask_b32_e32 v6, v7, v10, vcc
	v_lshlrev_b32_e32 v7, 16, v4
	v_mov_b32_e32 v10, 0x3b800000
	v_lshlrev_b32_e32 v3, 20, v3
	v_and_b32_e32 v7, 0x80000000, v7
	v_lshl_add_u32 v6, v6, 23, v10
	v_or3_b32 v6, v7, v6, v3
.LBB6_464:
	s_or_b64 exec, exec, s[6:7]
	s_nop 0
	v_mfma_f32_16x16x4f32 a[0:3], v2, v6, a[0:3]
	s_movk_i32 s4, 0xff
	v_and_b32_sdwa v3, v8, s4 dst_sel:DWORD dst_unused:UNUSED_PAD src0_sel:WORD_1 src1_sel:DWORD
	s_movk_i32 s4, 0x7f
	v_cmp_lt_i16_e32 vcc, s4, v3
	s_mov_b64 s[4:5], 0
                                        ; implicit-def: $sgpr10
	s_and_saveexec_b64 s[6:7], vcc
	s_xor_b64 s[6:7], exec, s[6:7]
	s_cbranch_execnz .LBB6_2513
; %bb.465:
	s_or_saveexec_b64 s[6:7], s[6:7]
	v_mov_b32_e32 v2, s10
	s_xor_b64 exec, exec, s[6:7]
	s_cbranch_execnz .LBB6_2516
.LBB6_466:
	s_or_b64 exec, exec, s[6:7]
	s_and_saveexec_b64 s[6:7], s[4:5]
	s_cbranch_execz .LBB6_468
.LBB6_467:
	v_bfe_u32 v2, v8, 16, 3
	v_ffbh_u32_e32 v7, v2
	v_min_u32_e32 v7, 32, v7
	v_lshrrev_b32_e32 v3, 19, v8
	v_subrev_u32_e32 v10, 28, v7
	v_and_b32_e32 v3, 15, v3
	v_lshlrev_b32_sdwa v10, v10, v8 dst_sel:DWORD dst_unused:UNUSED_PAD src0_sel:DWORD src1_sel:WORD_1
	v_bfe_u32 v6, v8, 19, 4
	v_sub_u32_e32 v7, 29, v7
	v_and_b32_e32 v10, 7, v10
	v_cmp_eq_u16_e32 vcc, 0, v3
	v_cndmask_b32_e32 v2, v2, v10, vcc
	v_cndmask_b32_e32 v3, v6, v7, vcc
	v_lshlrev_b32_e32 v6, 8, v8
	v_mov_b32_e32 v7, 0x3b800000
	v_lshlrev_b32_e32 v2, 20, v2
	v_and_b32_e32 v6, 0x80000000, v6
	v_lshl_add_u32 v3, v3, 23, v7
	v_or3_b32 v2, v6, v3, v2
.LBB6_468:
	s_or_b64 exec, exec, s[6:7]
	s_movk_i32 s4, 0xff
	v_and_b32_sdwa v3, v4, s4 dst_sel:DWORD dst_unused:UNUSED_PAD src0_sel:WORD_1 src1_sel:DWORD
	s_movk_i32 s4, 0x7f
	v_cmp_lt_i16_e32 vcc, s4, v3
	s_mov_b64 s[4:5], 0
                                        ; implicit-def: $sgpr10
	s_and_saveexec_b64 s[6:7], vcc
	s_xor_b64 s[6:7], exec, s[6:7]
	s_cbranch_execnz .LBB6_2517
; %bb.469:
	s_or_saveexec_b64 s[6:7], s[6:7]
	v_mov_b32_e32 v6, s10
	s_xor_b64 exec, exec, s[6:7]
	s_cbranch_execnz .LBB6_2520
.LBB6_470:
	s_or_b64 exec, exec, s[6:7]
	s_and_saveexec_b64 s[6:7], s[4:5]
	s_cbranch_execz .LBB6_472
.LBB6_471:
	v_bfe_u32 v3, v4, 16, 3
	v_ffbh_u32_e32 v10, v3
	v_min_u32_e32 v10, 32, v10
	v_lshrrev_b32_e32 v6, 19, v4
	v_subrev_u32_e32 v11, 28, v10
	v_and_b32_e32 v6, 15, v6
	v_lshlrev_b32_sdwa v11, v11, v4 dst_sel:DWORD dst_unused:UNUSED_PAD src0_sel:DWORD src1_sel:WORD_1
	v_bfe_u32 v7, v4, 19, 4
	v_sub_u32_e32 v10, 29, v10
	v_and_b32_e32 v11, 7, v11
	v_cmp_eq_u16_e32 vcc, 0, v6
	v_cndmask_b32_e32 v3, v3, v11, vcc
	v_cndmask_b32_e32 v6, v7, v10, vcc
	v_lshlrev_b32_e32 v7, 8, v4
	v_mov_b32_e32 v10, 0x3b800000
	v_lshlrev_b32_e32 v3, 20, v3
	v_and_b32_e32 v7, 0x80000000, v7
	v_lshl_add_u32 v6, v6, 23, v10
	v_or3_b32 v6, v7, v6, v3
.LBB6_472:
	s_or_b64 exec, exec, s[6:7]
	s_nop 0
	v_mfma_f32_16x16x4f32 a[0:3], v2, v6, a[0:3]
	s_movk_i32 s4, 0x7f
	v_cmp_gt_i16_sdwa s[6:7], v8, s4 src0_sel:BYTE_3 src1_sel:DWORD
	s_mov_b64 s[4:5], 0
                                        ; implicit-def: $sgpr10
	s_and_saveexec_b64 s[8:9], s[6:7]
	s_xor_b64 s[6:7], exec, s[8:9]
	s_cbranch_execnz .LBB6_2521
; %bb.473:
	s_or_saveexec_b64 s[6:7], s[6:7]
	v_mov_b32_e32 v2, s10
	s_xor_b64 exec, exec, s[6:7]
	s_cbranch_execnz .LBB6_2524
.LBB6_474:
	s_or_b64 exec, exec, s[6:7]
	s_and_saveexec_b64 s[6:7], s[4:5]
	s_cbranch_execz .LBB6_476
.LBB6_475:
	v_bfe_u32 v2, v8, 24, 3
	v_ffbh_u32_e32 v10, v2
	v_min_u32_e32 v10, 32, v10
	v_lshrrev_b32_e32 v6, 27, v8
	v_subrev_u32_e32 v11, 28, v10
	v_and_b32_e32 v3, 0x80000000, v8
	v_and_b32_e32 v6, 15, v6
	v_bfe_u32 v7, v8, 27, 4
	v_lshlrev_b32_sdwa v8, v11, v8 dst_sel:DWORD dst_unused:UNUSED_PAD src0_sel:DWORD src1_sel:BYTE_3
	v_sub_u32_e32 v10, 29, v10
	v_and_b32_e32 v8, 7, v8
	v_cmp_eq_u16_e32 vcc, 0, v6
	v_cndmask_b32_e32 v2, v2, v8, vcc
	v_cndmask_b32_e32 v6, v7, v10, vcc
	v_mov_b32_e32 v7, 0x3b800000
	v_lshlrev_b32_e32 v2, 20, v2
	v_lshl_add_u32 v6, v6, 23, v7
	v_or3_b32 v2, v3, v6, v2
.LBB6_476:
	s_or_b64 exec, exec, s[6:7]
	s_movk_i32 s4, 0x7f
	v_cmp_gt_i16_sdwa s[6:7], v4, s4 src0_sel:BYTE_3 src1_sel:DWORD
	s_mov_b64 s[4:5], 0
                                        ; implicit-def: $sgpr10
	s_and_saveexec_b64 s[8:9], s[6:7]
	s_xor_b64 s[6:7], exec, s[8:9]
	s_cbranch_execnz .LBB6_2525
; %bb.477:
	s_or_saveexec_b64 s[6:7], s[6:7]
	v_mov_b32_e32 v3, s10
	s_xor_b64 exec, exec, s[6:7]
	s_cbranch_execnz .LBB6_2528
.LBB6_478:
	s_or_b64 exec, exec, s[6:7]
	s_and_saveexec_b64 s[6:7], s[4:5]
	s_cbranch_execz .LBB6_480
.LBB6_479:
	v_bfe_u32 v3, v4, 24, 3
	v_ffbh_u32_e32 v10, v3
	v_min_u32_e32 v10, 32, v10
	v_lshrrev_b32_e32 v7, 27, v4
	v_subrev_u32_e32 v11, 28, v10
	v_and_b32_e32 v6, 0x80000000, v4
	v_and_b32_e32 v7, 15, v7
	v_bfe_u32 v8, v4, 27, 4
	v_lshlrev_b32_sdwa v4, v11, v4 dst_sel:DWORD dst_unused:UNUSED_PAD src0_sel:DWORD src1_sel:BYTE_3
	v_sub_u32_e32 v10, 29, v10
	v_and_b32_e32 v4, 7, v4
	v_cmp_eq_u16_e32 vcc, 0, v7
	v_cndmask_b32_e32 v3, v3, v4, vcc
	v_cndmask_b32_e32 v4, v8, v10, vcc
	v_mov_b32_e32 v7, 0x3b800000
	v_lshlrev_b32_e32 v3, 20, v3
	v_lshl_add_u32 v4, v4, 23, v7
	v_or3_b32 v3, v6, v4, v3
.LBB6_480:
	s_or_b64 exec, exec, s[6:7]
	s_nop 0
	v_mfma_f32_16x16x4f32 a[0:3], v2, v3, a[0:3]
	s_movk_i32 s4, 0x7f
	v_cmp_gt_i16_sdwa s[6:7], v9, s4 src0_sel:BYTE_0 src1_sel:DWORD
	s_mov_b64 s[4:5], 0
                                        ; implicit-def: $sgpr10
	s_and_saveexec_b64 s[8:9], s[6:7]
	s_xor_b64 s[6:7], exec, s[8:9]
	s_cbranch_execnz .LBB6_2529
; %bb.481:
	s_or_saveexec_b64 s[6:7], s[6:7]
	v_mov_b32_e32 v2, s10
	s_xor_b64 exec, exec, s[6:7]
	s_cbranch_execnz .LBB6_2532
.LBB6_482:
	s_or_b64 exec, exec, s[6:7]
	s_and_saveexec_b64 s[6:7], s[4:5]
	s_cbranch_execz .LBB6_484
.LBB6_483:
	v_mov_b32_e32 v2, 8
	v_and_b32_e32 v3, 7, v9
	v_lshrrev_b32_sdwa v2, v2, v9 dst_sel:BYTE_1 dst_unused:UNUSED_PAD src0_sel:DWORD src1_sel:DWORD
	v_ffbh_u32_e32 v4, v3
	v_or_b32_sdwa v2, v9, v2 dst_sel:DWORD dst_unused:UNUSED_PAD src0_sel:BYTE_0 src1_sel:DWORD
	v_min_u32_e32 v4, 32, v4
	v_lshrrev_b16_e32 v2, 3, v2
	v_subrev_u32_e32 v6, 28, v4
	v_and_b32_e32 v2, 15, v2
	v_lshlrev_b32_e32 v6, v6, v9
	v_sub_u32_e32 v4, 29, v4
	v_and_b32_e32 v6, 7, v6
	v_cmp_eq_u16_e32 vcc, 0, v2
	v_cndmask_b32_e32 v3, v3, v6, vcc
	v_cndmask_b32_e32 v2, v2, v4, vcc
	v_lshlrev_b32_e32 v4, 24, v9
	v_mov_b32_e32 v6, 0x3b800000
	v_lshlrev_b32_e32 v3, 20, v3
	v_and_b32_e32 v4, 0x80000000, v4
	v_lshl_add_u32 v2, v2, 23, v6
	v_or3_b32 v2, v4, v2, v3
.LBB6_484:
	s_or_b64 exec, exec, s[6:7]
	s_movk_i32 s4, 0x7f
	v_cmp_gt_i16_sdwa s[6:7], v5, s4 src0_sel:BYTE_0 src1_sel:DWORD
	s_mov_b64 s[4:5], 0
                                        ; implicit-def: $sgpr10
	s_and_saveexec_b64 s[8:9], s[6:7]
	s_xor_b64 s[6:7], exec, s[8:9]
	s_cbranch_execnz .LBB6_2533
; %bb.485:
	s_or_saveexec_b64 s[6:7], s[6:7]
	v_mov_b32_e32 v3, s10
	s_xor_b64 exec, exec, s[6:7]
	s_cbranch_execnz .LBB6_2536
.LBB6_486:
	s_or_b64 exec, exec, s[6:7]
	s_and_saveexec_b64 s[6:7], s[4:5]
	s_cbranch_execz .LBB6_488
.LBB6_487:
	v_mov_b32_e32 v3, 8
	v_and_b32_e32 v4, 7, v5
	v_lshrrev_b32_sdwa v3, v3, v5 dst_sel:BYTE_1 dst_unused:UNUSED_PAD src0_sel:DWORD src1_sel:DWORD
	v_ffbh_u32_e32 v6, v4
	v_or_b32_sdwa v3, v5, v3 dst_sel:DWORD dst_unused:UNUSED_PAD src0_sel:BYTE_0 src1_sel:DWORD
	v_min_u32_e32 v6, 32, v6
	v_lshrrev_b16_e32 v3, 3, v3
	v_subrev_u32_e32 v7, 28, v6
	v_and_b32_e32 v3, 15, v3
	v_lshlrev_b32_e32 v7, v7, v5
	v_sub_u32_e32 v6, 29, v6
	v_and_b32_e32 v7, 7, v7
	v_cmp_eq_u16_e32 vcc, 0, v3
	v_cndmask_b32_e32 v4, v4, v7, vcc
	v_cndmask_b32_e32 v3, v3, v6, vcc
	v_lshlrev_b32_e32 v6, 24, v5
	v_mov_b32_e32 v7, 0x3b800000
	v_lshlrev_b32_e32 v4, 20, v4
	v_and_b32_e32 v6, 0x80000000, v6
	v_lshl_add_u32 v3, v3, 23, v7
	v_or3_b32 v3, v6, v3, v4
.LBB6_488:
	s_or_b64 exec, exec, s[6:7]
	s_nop 0
	v_mfma_f32_16x16x4f32 a[0:3], v2, v3, a[0:3]
	v_lshrrev_b32_e32 v3, 8, v9
	s_movk_i32 s4, 0x7f
	v_cmp_gt_i16_sdwa s[6:7], v3, s4 src0_sel:BYTE_0 src1_sel:DWORD
	s_mov_b64 s[4:5], 0
                                        ; implicit-def: $sgpr10
	s_and_saveexec_b64 s[8:9], s[6:7]
	s_xor_b64 s[6:7], exec, s[8:9]
	s_cbranch_execnz .LBB6_2537
; %bb.489:
	s_or_saveexec_b64 s[6:7], s[6:7]
	v_mov_b32_e32 v2, s10
	s_xor_b64 exec, exec, s[6:7]
	s_cbranch_execnz .LBB6_2540
.LBB6_490:
	s_or_b64 exec, exec, s[6:7]
	s_and_saveexec_b64 s[6:7], s[4:5]
	s_cbranch_execz .LBB6_492
.LBB6_491:
	v_bfe_u32 v2, v9, 8, 3
	v_ffbh_u32_e32 v6, v2
	v_min_u32_e32 v6, 32, v6
	v_lshrrev_b16_e32 v4, 3, v3
	v_subrev_u32_e32 v7, 28, v6
	v_and_b32_e32 v4, 15, v4
	v_lshlrev_b32_e32 v3, v7, v3
	v_sub_u32_e32 v6, 29, v6
	v_and_b32_e32 v3, 7, v3
	v_cmp_eq_u16_e32 vcc, 0, v4
	v_cndmask_b32_e32 v2, v2, v3, vcc
	v_cndmask_b32_e32 v3, v4, v6, vcc
	v_lshlrev_b32_e32 v4, 16, v9
	v_mov_b32_e32 v6, 0x3b800000
	v_lshlrev_b32_e32 v2, 20, v2
	v_and_b32_e32 v4, 0x80000000, v4
	v_lshl_add_u32 v3, v3, 23, v6
	v_or3_b32 v2, v4, v3, v2
.LBB6_492:
	s_or_b64 exec, exec, s[6:7]
	v_lshrrev_b32_e32 v3, 8, v5
	s_movk_i32 s4, 0x7f
	v_cmp_gt_i16_sdwa s[6:7], v3, s4 src0_sel:BYTE_0 src1_sel:DWORD
	s_mov_b64 s[4:5], 0
                                        ; implicit-def: $sgpr10
	s_and_saveexec_b64 s[8:9], s[6:7]
	s_xor_b64 s[6:7], exec, s[8:9]
	s_cbranch_execnz .LBB6_2541
; %bb.493:
	s_or_saveexec_b64 s[6:7], s[6:7]
	v_mov_b32_e32 v4, s10
	s_xor_b64 exec, exec, s[6:7]
	s_cbranch_execnz .LBB6_2544
.LBB6_494:
	s_or_b64 exec, exec, s[6:7]
	s_and_saveexec_b64 s[6:7], s[4:5]
	s_cbranch_execz .LBB6_496
.LBB6_495:
	v_bfe_u32 v4, v5, 8, 3
	v_ffbh_u32_e32 v7, v4
	v_min_u32_e32 v7, 32, v7
	v_lshrrev_b16_e32 v6, 3, v3
	v_subrev_u32_e32 v8, 28, v7
	v_and_b32_e32 v6, 15, v6
	v_lshlrev_b32_e32 v3, v8, v3
	v_sub_u32_e32 v7, 29, v7
	v_and_b32_e32 v3, 7, v3
	v_cmp_eq_u16_e32 vcc, 0, v6
	v_cndmask_b32_e32 v3, v4, v3, vcc
	v_cndmask_b32_e32 v4, v6, v7, vcc
	v_lshlrev_b32_e32 v6, 16, v5
	v_mov_b32_e32 v7, 0x3b800000
	v_lshlrev_b32_e32 v3, 20, v3
	v_and_b32_e32 v6, 0x80000000, v6
	v_lshl_add_u32 v4, v4, 23, v7
	v_or3_b32 v4, v6, v4, v3
.LBB6_496:
	s_or_b64 exec, exec, s[6:7]
	s_nop 0
	v_mfma_f32_16x16x4f32 a[0:3], v2, v4, a[0:3]
	s_movk_i32 s4, 0xff
	v_and_b32_sdwa v3, v9, s4 dst_sel:DWORD dst_unused:UNUSED_PAD src0_sel:WORD_1 src1_sel:DWORD
	s_movk_i32 s4, 0x7f
	v_cmp_lt_i16_e32 vcc, s4, v3
	s_mov_b64 s[4:5], 0
                                        ; implicit-def: $sgpr10
	s_and_saveexec_b64 s[6:7], vcc
	s_xor_b64 s[6:7], exec, s[6:7]
	s_cbranch_execnz .LBB6_2545
; %bb.497:
	s_or_saveexec_b64 s[6:7], s[6:7]
	v_mov_b32_e32 v2, s10
	s_xor_b64 exec, exec, s[6:7]
	s_cbranch_execnz .LBB6_2548
.LBB6_498:
	s_or_b64 exec, exec, s[6:7]
	s_and_saveexec_b64 s[6:7], s[4:5]
	s_cbranch_execz .LBB6_500
.LBB6_499:
	v_bfe_u32 v2, v9, 16, 3
	v_ffbh_u32_e32 v6, v2
	v_min_u32_e32 v6, 32, v6
	v_lshrrev_b32_e32 v3, 19, v9
	v_subrev_u32_e32 v7, 28, v6
	v_and_b32_e32 v3, 15, v3
	v_lshlrev_b32_sdwa v7, v7, v9 dst_sel:DWORD dst_unused:UNUSED_PAD src0_sel:DWORD src1_sel:WORD_1
	v_bfe_u32 v4, v9, 19, 4
	v_sub_u32_e32 v6, 29, v6
	v_and_b32_e32 v7, 7, v7
	v_cmp_eq_u16_e32 vcc, 0, v3
	v_cndmask_b32_e32 v2, v2, v7, vcc
	v_cndmask_b32_e32 v3, v4, v6, vcc
	v_lshlrev_b32_e32 v4, 8, v9
	v_mov_b32_e32 v6, 0x3b800000
	v_lshlrev_b32_e32 v2, 20, v2
	v_and_b32_e32 v4, 0x80000000, v4
	v_lshl_add_u32 v3, v3, 23, v6
	v_or3_b32 v2, v4, v3, v2
.LBB6_500:
	s_or_b64 exec, exec, s[6:7]
	s_movk_i32 s4, 0xff
	v_and_b32_sdwa v3, v5, s4 dst_sel:DWORD dst_unused:UNUSED_PAD src0_sel:WORD_1 src1_sel:DWORD
	s_movk_i32 s4, 0x7f
	v_cmp_lt_i16_e32 vcc, s4, v3
	s_mov_b64 s[4:5], 0
                                        ; implicit-def: $sgpr10
	s_and_saveexec_b64 s[6:7], vcc
	s_xor_b64 s[6:7], exec, s[6:7]
	s_cbranch_execnz .LBB6_2549
; %bb.501:
	s_or_saveexec_b64 s[6:7], s[6:7]
	v_mov_b32_e32 v4, s10
	s_xor_b64 exec, exec, s[6:7]
	s_cbranch_execnz .LBB6_2552
.LBB6_502:
	s_or_b64 exec, exec, s[6:7]
	s_and_saveexec_b64 s[6:7], s[4:5]
	s_cbranch_execz .LBB6_504
.LBB6_503:
	v_bfe_u32 v3, v5, 16, 3
	v_ffbh_u32_e32 v7, v3
	v_min_u32_e32 v7, 32, v7
	v_lshrrev_b32_e32 v4, 19, v5
	v_subrev_u32_e32 v8, 28, v7
	v_and_b32_e32 v4, 15, v4
	v_lshlrev_b32_sdwa v8, v8, v5 dst_sel:DWORD dst_unused:UNUSED_PAD src0_sel:DWORD src1_sel:WORD_1
	v_bfe_u32 v6, v5, 19, 4
	v_sub_u32_e32 v7, 29, v7
	v_and_b32_e32 v8, 7, v8
	v_cmp_eq_u16_e32 vcc, 0, v4
	v_cndmask_b32_e32 v3, v3, v8, vcc
	v_cndmask_b32_e32 v4, v6, v7, vcc
	v_lshlrev_b32_e32 v6, 8, v5
	v_mov_b32_e32 v7, 0x3b800000
	v_lshlrev_b32_e32 v3, 20, v3
	v_and_b32_e32 v6, 0x80000000, v6
	v_lshl_add_u32 v4, v4, 23, v7
	v_or3_b32 v4, v6, v4, v3
.LBB6_504:
	s_or_b64 exec, exec, s[6:7]
	s_nop 0
	v_mfma_f32_16x16x4f32 a[0:3], v2, v4, a[0:3]
	s_movk_i32 s4, 0x7f
	v_cmp_gt_i16_sdwa s[6:7], v9, s4 src0_sel:BYTE_3 src1_sel:DWORD
	s_mov_b64 s[4:5], 0
                                        ; implicit-def: $sgpr10
	s_and_saveexec_b64 s[8:9], s[6:7]
	s_xor_b64 s[6:7], exec, s[8:9]
	s_cbranch_execnz .LBB6_2553
; %bb.505:
	s_or_saveexec_b64 s[6:7], s[6:7]
	v_mov_b32_e32 v2, s10
	s_xor_b64 exec, exec, s[6:7]
	s_cbranch_execnz .LBB6_2556
.LBB6_506:
	s_or_b64 exec, exec, s[6:7]
	s_and_saveexec_b64 s[6:7], s[4:5]
	s_cbranch_execz .LBB6_508
.LBB6_507:
	v_bfe_u32 v2, v9, 24, 3
	v_ffbh_u32_e32 v7, v2
	v_min_u32_e32 v7, 32, v7
	v_lshrrev_b32_e32 v4, 27, v9
	v_subrev_u32_e32 v8, 28, v7
	v_and_b32_e32 v4, 15, v4
	v_lshlrev_b32_sdwa v8, v8, v9 dst_sel:DWORD dst_unused:UNUSED_PAD src0_sel:DWORD src1_sel:BYTE_3
	v_bfe_u32 v6, v9, 27, 4
	v_sub_u32_e32 v7, 29, v7
	v_and_b32_e32 v8, 7, v8
	v_cmp_eq_u16_e32 vcc, 0, v4
	v_cndmask_b32_e32 v2, v2, v8, vcc
	v_cndmask_b32_e32 v4, v6, v7, vcc
	v_mov_b32_e32 v6, 0x3b800000
	v_and_b32_e32 v3, 0x80000000, v9
	v_lshlrev_b32_e32 v2, 20, v2
	v_lshl_add_u32 v4, v4, 23, v6
	v_or3_b32 v2, v3, v4, v2
.LBB6_508:
	s_or_b64 exec, exec, s[6:7]
	s_movk_i32 s4, 0x7f
	v_cmp_gt_i16_sdwa s[6:7], v5, s4 src0_sel:BYTE_3 src1_sel:DWORD
	s_mov_b64 s[4:5], 0
                                        ; implicit-def: $sgpr10
	s_and_saveexec_b64 s[8:9], s[6:7]
	s_xor_b64 s[6:7], exec, s[8:9]
	s_cbranch_execnz .LBB6_2557
; %bb.509:
	s_or_saveexec_b64 s[6:7], s[6:7]
	v_mov_b32_e32 v3, s10
	s_xor_b64 exec, exec, s[6:7]
	s_cbranch_execnz .LBB6_2560
.LBB6_510:
	s_or_b64 exec, exec, s[6:7]
	s_and_saveexec_b64 s[6:7], s[4:5]
	s_cbranch_execz .LBB6_512
.LBB6_511:
	v_bfe_u32 v3, v5, 24, 3
	v_ffbh_u32_e32 v8, v3
	v_min_u32_e32 v8, 32, v8
	v_lshrrev_b32_e32 v6, 27, v5
	v_subrev_u32_e32 v9, 28, v8
	v_and_b32_e32 v4, 0x80000000, v5
	v_and_b32_e32 v6, 15, v6
	v_bfe_u32 v7, v5, 27, 4
	v_lshlrev_b32_sdwa v5, v9, v5 dst_sel:DWORD dst_unused:UNUSED_PAD src0_sel:DWORD src1_sel:BYTE_3
	v_sub_u32_e32 v8, 29, v8
	v_and_b32_e32 v5, 7, v5
	v_cmp_eq_u16_e32 vcc, 0, v6
	v_cndmask_b32_e32 v3, v3, v5, vcc
	v_cndmask_b32_e32 v5, v7, v8, vcc
	v_mov_b32_e32 v6, 0x3b800000
	v_lshlrev_b32_e32 v3, 20, v3
	v_lshl_add_u32 v5, v5, 23, v6
	v_or3_b32 v3, v4, v5, v3
.LBB6_512:
	s_or_b64 exec, exec, s[6:7]
	s_nop 0
	v_mfma_f32_16x16x4f32 a[0:3], v2, v3, a[0:3]
	s_movk_i32 s4, 0x7f
                                        ; implicit-def: $sgpr10
	s_nop 7
	s_nop 1
	flat_store_dwordx4 v[18:19], a[0:3] offset:528
	flat_load_dwordx4 v[20:23], v[0:1] offset:16
	s_nop 0
	flat_load_dwordx2 v[18:19], v[0:1] offset:32
	s_waitcnt vmcnt(0) lgkmcnt(0)
	flat_load_dwordx4 v[14:17], v[20:21]
	flat_load_dwordx4 v[6:9], v[20:21] offset:16
	flat_load_dwordx4 v[10:13], v[22:23] offset:64
	flat_load_dwordx4 v[2:5], v[22:23] offset:80
	s_waitcnt vmcnt(0) lgkmcnt(0)
	v_cmp_gt_i16_sdwa s[6:7], v14, s4 src0_sel:BYTE_0 src1_sel:DWORD
	s_mov_b64 s[4:5], 0
	s_and_saveexec_b64 s[8:9], s[6:7]
	s_xor_b64 s[6:7], exec, s[8:9]
	s_cbranch_execnz .LBB6_2561
; %bb.513:
	s_or_saveexec_b64 s[6:7], s[6:7]
	v_mov_b32_e32 v20, s10
	s_xor_b64 exec, exec, s[6:7]
	s_cbranch_execnz .LBB6_2564
.LBB6_514:
	s_or_b64 exec, exec, s[6:7]
	s_and_saveexec_b64 s[6:7], s[4:5]
	s_cbranch_execz .LBB6_516
.LBB6_515:
	v_and_b32_e32 v20, 7, v14
	v_ffbh_u32_e32 v22, v20
	v_min_u32_e32 v22, 32, v22
	v_lshrrev_b16_e32 v21, 3, v14
	v_subrev_u32_e32 v23, 28, v22
	v_and_b32_e32 v21, 15, v21
	v_lshlrev_b32_e32 v23, v23, v14
	v_sub_u32_e32 v22, 29, v22
	v_and_b32_e32 v23, 7, v23
	v_cmp_eq_u16_e32 vcc, 0, v21
	v_cndmask_b32_e32 v20, v20, v23, vcc
	v_cndmask_b32_e32 v21, v21, v22, vcc
	v_lshlrev_b32_e32 v22, 24, v14
	v_mov_b32_e32 v23, 0x3b800000
	v_lshlrev_b32_e32 v20, 20, v20
	v_and_b32_e32 v22, 0x80000000, v22
	v_lshl_add_u32 v21, v21, 23, v23
	v_or3_b32 v20, v22, v21, v20
.LBB6_516:
	s_or_b64 exec, exec, s[6:7]
	s_movk_i32 s4, 0x7f
	v_cmp_gt_i16_sdwa s[6:7], v10, s4 src0_sel:BYTE_0 src1_sel:DWORD
	s_mov_b64 s[4:5], 0
                                        ; implicit-def: $sgpr10
	s_and_saveexec_b64 s[8:9], s[6:7]
	s_xor_b64 s[6:7], exec, s[8:9]
	s_cbranch_execnz .LBB6_2565
; %bb.517:
	s_or_saveexec_b64 s[6:7], s[6:7]
	v_mov_b32_e32 v21, s10
	s_xor_b64 exec, exec, s[6:7]
	s_cbranch_execnz .LBB6_2568
.LBB6_518:
	s_or_b64 exec, exec, s[6:7]
	s_and_saveexec_b64 s[6:7], s[4:5]
	s_cbranch_execz .LBB6_520
.LBB6_519:
	v_and_b32_e32 v21, 7, v10
	v_ffbh_u32_e32 v23, v21
	v_min_u32_e32 v23, 32, v23
	v_lshrrev_b16_e32 v22, 3, v10
	v_subrev_u32_e32 v24, 28, v23
	v_and_b32_e32 v22, 15, v22
	v_lshlrev_b32_e32 v24, v24, v10
	v_sub_u32_e32 v23, 29, v23
	v_and_b32_e32 v24, 7, v24
	v_cmp_eq_u16_e32 vcc, 0, v22
	v_cndmask_b32_e32 v21, v21, v24, vcc
	v_cndmask_b32_e32 v22, v22, v23, vcc
	v_lshlrev_b32_e32 v23, 24, v10
	v_mov_b32_e32 v24, 0x3b800000
	v_lshlrev_b32_e32 v21, 20, v21
	v_and_b32_e32 v23, 0x80000000, v23
	v_lshl_add_u32 v22, v22, 23, v24
	v_or3_b32 v21, v23, v22, v21
.LBB6_520:
	s_or_b64 exec, exec, s[6:7]
	flat_load_dwordx4 a[0:3], v[18:19] offset:544
	s_movk_i32 s4, 0x7f
                                        ; implicit-def: $sgpr10
	s_waitcnt vmcnt(0) lgkmcnt(0)
	v_mfma_f32_16x16x4f32 a[0:3], v20, v21, a[0:3]
	v_lshrrev_b32_e32 v21, 8, v14
	v_cmp_gt_i16_sdwa s[6:7], v21, s4 src0_sel:BYTE_0 src1_sel:DWORD
	s_mov_b64 s[4:5], 0
	s_and_saveexec_b64 s[8:9], s[6:7]
	s_xor_b64 s[6:7], exec, s[8:9]
	s_cbranch_execnz .LBB6_2569
; %bb.521:
	s_or_saveexec_b64 s[6:7], s[6:7]
	v_mov_b32_e32 v20, s10
	s_xor_b64 exec, exec, s[6:7]
	s_cbranch_execnz .LBB6_2572
.LBB6_522:
	s_or_b64 exec, exec, s[6:7]
	s_and_saveexec_b64 s[6:7], s[4:5]
	s_cbranch_execz .LBB6_524
.LBB6_523:
	v_bfe_u32 v20, v14, 8, 3
	v_ffbh_u32_e32 v23, v20
	v_min_u32_e32 v23, 32, v23
	v_lshrrev_b16_e32 v22, 3, v21
	v_subrev_u32_e32 v24, 28, v23
	v_and_b32_e32 v22, 15, v22
	v_lshlrev_b32_e32 v21, v24, v21
	v_sub_u32_e32 v23, 29, v23
	v_and_b32_e32 v21, 7, v21
	v_cmp_eq_u16_e32 vcc, 0, v22
	v_cndmask_b32_e32 v20, v20, v21, vcc
	v_cndmask_b32_e32 v21, v22, v23, vcc
	v_lshlrev_b32_e32 v22, 16, v14
	v_mov_b32_e32 v23, 0x3b800000
	v_lshlrev_b32_e32 v20, 20, v20
	v_and_b32_e32 v22, 0x80000000, v22
	v_lshl_add_u32 v21, v21, 23, v23
	v_or3_b32 v20, v22, v21, v20
.LBB6_524:
	s_or_b64 exec, exec, s[6:7]
	v_lshrrev_b32_e32 v21, 8, v10
	s_movk_i32 s4, 0x7f
	v_cmp_gt_i16_sdwa s[6:7], v21, s4 src0_sel:BYTE_0 src1_sel:DWORD
	s_mov_b64 s[4:5], 0
                                        ; implicit-def: $sgpr10
	s_and_saveexec_b64 s[8:9], s[6:7]
	s_xor_b64 s[6:7], exec, s[8:9]
	s_cbranch_execnz .LBB6_2573
; %bb.525:
	s_or_saveexec_b64 s[6:7], s[6:7]
	v_mov_b32_e32 v22, s10
	s_xor_b64 exec, exec, s[6:7]
	s_cbranch_execnz .LBB6_2576
.LBB6_526:
	s_or_b64 exec, exec, s[6:7]
	s_and_saveexec_b64 s[6:7], s[4:5]
	s_cbranch_execz .LBB6_528
.LBB6_527:
	v_bfe_u32 v22, v10, 8, 3
	v_ffbh_u32_e32 v24, v22
	v_min_u32_e32 v24, 32, v24
	v_lshrrev_b16_e32 v23, 3, v21
	v_subrev_u32_e32 v25, 28, v24
	v_and_b32_e32 v23, 15, v23
	v_lshlrev_b32_e32 v21, v25, v21
	v_sub_u32_e32 v24, 29, v24
	v_and_b32_e32 v21, 7, v21
	v_cmp_eq_u16_e32 vcc, 0, v23
	v_cndmask_b32_e32 v21, v22, v21, vcc
	v_cndmask_b32_e32 v22, v23, v24, vcc
	v_lshlrev_b32_e32 v23, 16, v10
	v_mov_b32_e32 v24, 0x3b800000
	v_lshlrev_b32_e32 v21, 20, v21
	v_and_b32_e32 v23, 0x80000000, v23
	v_lshl_add_u32 v22, v22, 23, v24
	v_or3_b32 v22, v23, v22, v21
.LBB6_528:
	s_or_b64 exec, exec, s[6:7]
	s_nop 0
	v_mfma_f32_16x16x4f32 a[0:3], v20, v22, a[0:3]
	s_movk_i32 s4, 0xff
	v_and_b32_sdwa v21, v14, s4 dst_sel:DWORD dst_unused:UNUSED_PAD src0_sel:WORD_1 src1_sel:DWORD
	s_movk_i32 s4, 0x7f
	v_cmp_lt_i16_e32 vcc, s4, v21
	s_mov_b64 s[4:5], 0
                                        ; implicit-def: $sgpr10
	s_and_saveexec_b64 s[6:7], vcc
	s_xor_b64 s[6:7], exec, s[6:7]
	s_cbranch_execnz .LBB6_2577
; %bb.529:
	s_or_saveexec_b64 s[6:7], s[6:7]
	v_mov_b32_e32 v20, s10
	s_xor_b64 exec, exec, s[6:7]
	s_cbranch_execnz .LBB6_2580
.LBB6_530:
	s_or_b64 exec, exec, s[6:7]
	s_and_saveexec_b64 s[6:7], s[4:5]
	s_cbranch_execz .LBB6_532
.LBB6_531:
	v_bfe_u32 v20, v14, 16, 3
	v_ffbh_u32_e32 v23, v20
	v_min_u32_e32 v23, 32, v23
	v_lshrrev_b32_e32 v21, 19, v14
	v_subrev_u32_e32 v24, 28, v23
	v_and_b32_e32 v21, 15, v21
	v_lshlrev_b32_sdwa v24, v24, v14 dst_sel:DWORD dst_unused:UNUSED_PAD src0_sel:DWORD src1_sel:WORD_1
	v_bfe_u32 v22, v14, 19, 4
	v_sub_u32_e32 v23, 29, v23
	v_and_b32_e32 v24, 7, v24
	v_cmp_eq_u16_e32 vcc, 0, v21
	v_cndmask_b32_e32 v20, v20, v24, vcc
	v_cndmask_b32_e32 v21, v22, v23, vcc
	v_lshlrev_b32_e32 v22, 8, v14
	v_mov_b32_e32 v23, 0x3b800000
	v_lshlrev_b32_e32 v20, 20, v20
	v_and_b32_e32 v22, 0x80000000, v22
	v_lshl_add_u32 v21, v21, 23, v23
	v_or3_b32 v20, v22, v21, v20
.LBB6_532:
	s_or_b64 exec, exec, s[6:7]
	s_movk_i32 s4, 0xff
	v_and_b32_sdwa v21, v10, s4 dst_sel:DWORD dst_unused:UNUSED_PAD src0_sel:WORD_1 src1_sel:DWORD
	s_movk_i32 s4, 0x7f
	v_cmp_lt_i16_e32 vcc, s4, v21
	s_mov_b64 s[4:5], 0
                                        ; implicit-def: $sgpr10
	s_and_saveexec_b64 s[6:7], vcc
	s_xor_b64 s[6:7], exec, s[6:7]
	s_cbranch_execnz .LBB6_2581
; %bb.533:
	s_or_saveexec_b64 s[6:7], s[6:7]
	v_mov_b32_e32 v22, s10
	s_xor_b64 exec, exec, s[6:7]
	s_cbranch_execnz .LBB6_2584
.LBB6_534:
	s_or_b64 exec, exec, s[6:7]
	s_and_saveexec_b64 s[6:7], s[4:5]
	s_cbranch_execz .LBB6_536
.LBB6_535:
	v_bfe_u32 v21, v10, 16, 3
	v_ffbh_u32_e32 v24, v21
	v_min_u32_e32 v24, 32, v24
	v_lshrrev_b32_e32 v22, 19, v10
	v_subrev_u32_e32 v25, 28, v24
	v_and_b32_e32 v22, 15, v22
	v_lshlrev_b32_sdwa v25, v25, v10 dst_sel:DWORD dst_unused:UNUSED_PAD src0_sel:DWORD src1_sel:WORD_1
	v_bfe_u32 v23, v10, 19, 4
	v_sub_u32_e32 v24, 29, v24
	v_and_b32_e32 v25, 7, v25
	v_cmp_eq_u16_e32 vcc, 0, v22
	v_cndmask_b32_e32 v21, v21, v25, vcc
	v_cndmask_b32_e32 v22, v23, v24, vcc
	v_lshlrev_b32_e32 v23, 8, v10
	v_mov_b32_e32 v24, 0x3b800000
	v_lshlrev_b32_e32 v21, 20, v21
	v_and_b32_e32 v23, 0x80000000, v23
	v_lshl_add_u32 v22, v22, 23, v24
	v_or3_b32 v22, v23, v22, v21
.LBB6_536:
	s_or_b64 exec, exec, s[6:7]
	s_nop 0
	v_mfma_f32_16x16x4f32 a[0:3], v20, v22, a[0:3]
	s_movk_i32 s4, 0x7f
	v_cmp_gt_i16_sdwa s[6:7], v14, s4 src0_sel:BYTE_3 src1_sel:DWORD
	s_mov_b64 s[4:5], 0
                                        ; implicit-def: $sgpr10
	s_and_saveexec_b64 s[8:9], s[6:7]
	s_xor_b64 s[6:7], exec, s[8:9]
	s_cbranch_execnz .LBB6_2585
; %bb.537:
	s_or_saveexec_b64 s[6:7], s[6:7]
	v_mov_b32_e32 v20, s10
	s_xor_b64 exec, exec, s[6:7]
	s_cbranch_execnz .LBB6_2588
.LBB6_538:
	s_or_b64 exec, exec, s[6:7]
	s_and_saveexec_b64 s[6:7], s[4:5]
	s_cbranch_execz .LBB6_540
.LBB6_539:
	v_bfe_u32 v20, v14, 24, 3
	v_ffbh_u32_e32 v24, v20
	v_min_u32_e32 v24, 32, v24
	v_lshrrev_b32_e32 v22, 27, v14
	v_subrev_u32_e32 v25, 28, v24
	v_and_b32_e32 v21, 0x80000000, v14
	v_and_b32_e32 v22, 15, v22
	v_bfe_u32 v23, v14, 27, 4
	v_lshlrev_b32_sdwa v14, v25, v14 dst_sel:DWORD dst_unused:UNUSED_PAD src0_sel:DWORD src1_sel:BYTE_3
	v_sub_u32_e32 v24, 29, v24
	v_and_b32_e32 v14, 7, v14
	v_cmp_eq_u16_e32 vcc, 0, v22
	v_cndmask_b32_e32 v14, v20, v14, vcc
	v_cndmask_b32_e32 v20, v23, v24, vcc
	v_mov_b32_e32 v22, 0x3b800000
	v_lshlrev_b32_e32 v14, 20, v14
	v_lshl_add_u32 v20, v20, 23, v22
	v_or3_b32 v20, v21, v20, v14
.LBB6_540:
	s_or_b64 exec, exec, s[6:7]
	s_movk_i32 s4, 0x7f
	v_cmp_gt_i16_sdwa s[6:7], v10, s4 src0_sel:BYTE_3 src1_sel:DWORD
	s_mov_b64 s[4:5], 0
                                        ; implicit-def: $sgpr10
	s_and_saveexec_b64 s[8:9], s[6:7]
	s_xor_b64 s[6:7], exec, s[8:9]
	s_cbranch_execnz .LBB6_2589
; %bb.541:
	s_or_saveexec_b64 s[6:7], s[6:7]
	v_mov_b32_e32 v14, s10
	s_xor_b64 exec, exec, s[6:7]
	s_cbranch_execnz .LBB6_2592
.LBB6_542:
	s_or_b64 exec, exec, s[6:7]
	s_and_saveexec_b64 s[6:7], s[4:5]
	s_cbranch_execz .LBB6_544
.LBB6_543:
	v_bfe_u32 v14, v10, 24, 3
	v_ffbh_u32_e32 v24, v14
	v_min_u32_e32 v24, 32, v24
	v_lshrrev_b32_e32 v22, 27, v10
	v_subrev_u32_e32 v25, 28, v24
	v_and_b32_e32 v21, 0x80000000, v10
	v_and_b32_e32 v22, 15, v22
	v_bfe_u32 v23, v10, 27, 4
	v_lshlrev_b32_sdwa v10, v25, v10 dst_sel:DWORD dst_unused:UNUSED_PAD src0_sel:DWORD src1_sel:BYTE_3
	v_sub_u32_e32 v24, 29, v24
	v_and_b32_e32 v10, 7, v10
	v_cmp_eq_u16_e32 vcc, 0, v22
	v_cndmask_b32_e32 v10, v14, v10, vcc
	v_cndmask_b32_e32 v14, v23, v24, vcc
	v_mov_b32_e32 v22, 0x3b800000
	v_lshlrev_b32_e32 v10, 20, v10
	v_lshl_add_u32 v14, v14, 23, v22
	v_or3_b32 v14, v21, v14, v10
.LBB6_544:
	s_or_b64 exec, exec, s[6:7]
	s_nop 0
	v_mfma_f32_16x16x4f32 a[0:3], v20, v14, a[0:3]
	s_movk_i32 s4, 0x7f
	v_cmp_gt_i16_sdwa s[6:7], v15, s4 src0_sel:BYTE_0 src1_sel:DWORD
	s_mov_b64 s[4:5], 0
                                        ; implicit-def: $sgpr10
	s_and_saveexec_b64 s[8:9], s[6:7]
	s_xor_b64 s[6:7], exec, s[8:9]
	s_cbranch_execnz .LBB6_2593
; %bb.545:
	s_or_saveexec_b64 s[6:7], s[6:7]
	v_mov_b32_e32 v10, s10
	s_xor_b64 exec, exec, s[6:7]
	s_cbranch_execnz .LBB6_2596
.LBB6_546:
	s_or_b64 exec, exec, s[6:7]
	s_and_saveexec_b64 s[6:7], s[4:5]
	s_cbranch_execz .LBB6_548
.LBB6_547:
	v_and_b32_e32 v10, 7, v15
	v_ffbh_u32_e32 v20, v10
	v_min_u32_e32 v20, 32, v20
	v_lshrrev_b16_e32 v14, 3, v15
	v_subrev_u32_e32 v21, 28, v20
	v_and_b32_e32 v14, 15, v14
	v_lshlrev_b32_e32 v21, v21, v15
	v_sub_u32_e32 v20, 29, v20
	v_and_b32_e32 v21, 7, v21
	v_cmp_eq_u16_e32 vcc, 0, v14
	v_cndmask_b32_e32 v10, v10, v21, vcc
	v_cndmask_b32_e32 v14, v14, v20, vcc
	v_lshlrev_b32_e32 v20, 24, v15
	v_mov_b32_e32 v21, 0x3b800000
	v_lshlrev_b32_e32 v10, 20, v10
	v_and_b32_e32 v20, 0x80000000, v20
	v_lshl_add_u32 v14, v14, 23, v21
	v_or3_b32 v10, v20, v14, v10
.LBB6_548:
	s_or_b64 exec, exec, s[6:7]
	s_movk_i32 s4, 0x7f
	v_cmp_gt_i16_sdwa s[6:7], v11, s4 src0_sel:BYTE_0 src1_sel:DWORD
	s_mov_b64 s[4:5], 0
                                        ; implicit-def: $sgpr10
	s_and_saveexec_b64 s[8:9], s[6:7]
	s_xor_b64 s[6:7], exec, s[8:9]
	s_cbranch_execnz .LBB6_2597
; %bb.549:
	s_or_saveexec_b64 s[6:7], s[6:7]
	v_mov_b32_e32 v14, s10
	s_xor_b64 exec, exec, s[6:7]
	s_cbranch_execnz .LBB6_2600
.LBB6_550:
	s_or_b64 exec, exec, s[6:7]
	s_and_saveexec_b64 s[6:7], s[4:5]
	s_cbranch_execz .LBB6_552
.LBB6_551:
	v_and_b32_e32 v14, 7, v11
	v_ffbh_u32_e32 v21, v14
	v_min_u32_e32 v21, 32, v21
	v_lshrrev_b16_e32 v20, 3, v11
	v_subrev_u32_e32 v22, 28, v21
	v_and_b32_e32 v20, 15, v20
	v_lshlrev_b32_e32 v22, v22, v11
	v_sub_u32_e32 v21, 29, v21
	v_and_b32_e32 v22, 7, v22
	v_cmp_eq_u16_e32 vcc, 0, v20
	v_cndmask_b32_e32 v14, v14, v22, vcc
	v_cndmask_b32_e32 v20, v20, v21, vcc
	v_lshlrev_b32_e32 v21, 24, v11
	v_mov_b32_e32 v22, 0x3b800000
	v_lshlrev_b32_e32 v14, 20, v14
	v_and_b32_e32 v21, 0x80000000, v21
	v_lshl_add_u32 v20, v20, 23, v22
	v_or3_b32 v14, v21, v20, v14
.LBB6_552:
	s_or_b64 exec, exec, s[6:7]
	s_nop 0
	v_mfma_f32_16x16x4f32 a[0:3], v10, v14, a[0:3]
	v_lshrrev_b32_e32 v14, 8, v15
	s_movk_i32 s4, 0x7f
	v_cmp_gt_i16_sdwa s[6:7], v14, s4 src0_sel:BYTE_0 src1_sel:DWORD
	s_mov_b64 s[4:5], 0
                                        ; implicit-def: $sgpr10
	s_and_saveexec_b64 s[8:9], s[6:7]
	s_xor_b64 s[6:7], exec, s[8:9]
	s_cbranch_execnz .LBB6_2601
; %bb.553:
	s_or_saveexec_b64 s[6:7], s[6:7]
	v_mov_b32_e32 v10, s10
	s_xor_b64 exec, exec, s[6:7]
	s_cbranch_execnz .LBB6_2604
.LBB6_554:
	s_or_b64 exec, exec, s[6:7]
	s_and_saveexec_b64 s[6:7], s[4:5]
	s_cbranch_execz .LBB6_556
.LBB6_555:
	v_bfe_u32 v10, v15, 8, 3
	v_ffbh_u32_e32 v21, v10
	v_min_u32_e32 v21, 32, v21
	v_lshrrev_b16_e32 v20, 3, v14
	v_subrev_u32_e32 v22, 28, v21
	v_and_b32_e32 v20, 15, v20
	v_lshlrev_b32_e32 v14, v22, v14
	v_sub_u32_e32 v21, 29, v21
	v_and_b32_e32 v14, 7, v14
	v_cmp_eq_u16_e32 vcc, 0, v20
	v_cndmask_b32_e32 v10, v10, v14, vcc
	v_cndmask_b32_e32 v14, v20, v21, vcc
	v_lshlrev_b32_e32 v20, 16, v15
	v_mov_b32_e32 v21, 0x3b800000
	v_lshlrev_b32_e32 v10, 20, v10
	v_and_b32_e32 v20, 0x80000000, v20
	v_lshl_add_u32 v14, v14, 23, v21
	v_or3_b32 v10, v20, v14, v10
.LBB6_556:
	s_or_b64 exec, exec, s[6:7]
	v_lshrrev_b32_e32 v14, 8, v11
	s_movk_i32 s4, 0x7f
	v_cmp_gt_i16_sdwa s[6:7], v14, s4 src0_sel:BYTE_0 src1_sel:DWORD
	s_mov_b64 s[4:5], 0
                                        ; implicit-def: $sgpr10
	s_and_saveexec_b64 s[8:9], s[6:7]
	s_xor_b64 s[6:7], exec, s[8:9]
	s_cbranch_execnz .LBB6_2605
; %bb.557:
	s_or_saveexec_b64 s[6:7], s[6:7]
	v_mov_b32_e32 v20, s10
	s_xor_b64 exec, exec, s[6:7]
	s_cbranch_execnz .LBB6_2608
.LBB6_558:
	s_or_b64 exec, exec, s[6:7]
	s_and_saveexec_b64 s[6:7], s[4:5]
	s_cbranch_execz .LBB6_560
.LBB6_559:
	v_bfe_u32 v20, v11, 8, 3
	v_ffbh_u32_e32 v22, v20
	v_min_u32_e32 v22, 32, v22
	v_lshrrev_b16_e32 v21, 3, v14
	v_subrev_u32_e32 v23, 28, v22
	v_and_b32_e32 v21, 15, v21
	v_lshlrev_b32_e32 v14, v23, v14
	v_sub_u32_e32 v22, 29, v22
	v_and_b32_e32 v14, 7, v14
	v_cmp_eq_u16_e32 vcc, 0, v21
	v_cndmask_b32_e32 v14, v20, v14, vcc
	v_cndmask_b32_e32 v20, v21, v22, vcc
	v_lshlrev_b32_e32 v21, 16, v11
	v_mov_b32_e32 v22, 0x3b800000
	v_lshlrev_b32_e32 v14, 20, v14
	v_and_b32_e32 v21, 0x80000000, v21
	v_lshl_add_u32 v20, v20, 23, v22
	v_or3_b32 v20, v21, v20, v14
.LBB6_560:
	s_or_b64 exec, exec, s[6:7]
	s_nop 0
	v_mfma_f32_16x16x4f32 a[0:3], v10, v20, a[0:3]
	s_movk_i32 s4, 0xff
	v_and_b32_sdwa v14, v15, s4 dst_sel:DWORD dst_unused:UNUSED_PAD src0_sel:WORD_1 src1_sel:DWORD
	s_movk_i32 s4, 0x7f
	v_cmp_lt_i16_e32 vcc, s4, v14
	s_mov_b64 s[4:5], 0
                                        ; implicit-def: $sgpr10
	s_and_saveexec_b64 s[6:7], vcc
	s_xor_b64 s[6:7], exec, s[6:7]
	s_cbranch_execnz .LBB6_2609
; %bb.561:
	s_or_saveexec_b64 s[6:7], s[6:7]
	v_mov_b32_e32 v10, s10
	s_xor_b64 exec, exec, s[6:7]
	s_cbranch_execnz .LBB6_2612
.LBB6_562:
	s_or_b64 exec, exec, s[6:7]
	s_and_saveexec_b64 s[6:7], s[4:5]
	s_cbranch_execz .LBB6_564
.LBB6_563:
	v_bfe_u32 v10, v15, 16, 3
	v_ffbh_u32_e32 v21, v10
	v_min_u32_e32 v21, 32, v21
	v_lshrrev_b32_e32 v14, 19, v15
	v_subrev_u32_e32 v22, 28, v21
	v_and_b32_e32 v14, 15, v14
	v_lshlrev_b32_sdwa v22, v22, v15 dst_sel:DWORD dst_unused:UNUSED_PAD src0_sel:DWORD src1_sel:WORD_1
	v_bfe_u32 v20, v15, 19, 4
	v_sub_u32_e32 v21, 29, v21
	v_and_b32_e32 v22, 7, v22
	v_cmp_eq_u16_e32 vcc, 0, v14
	v_cndmask_b32_e32 v10, v10, v22, vcc
	v_cndmask_b32_e32 v14, v20, v21, vcc
	v_lshlrev_b32_e32 v20, 8, v15
	v_mov_b32_e32 v21, 0x3b800000
	v_lshlrev_b32_e32 v10, 20, v10
	v_and_b32_e32 v20, 0x80000000, v20
	v_lshl_add_u32 v14, v14, 23, v21
	v_or3_b32 v10, v20, v14, v10
.LBB6_564:
	s_or_b64 exec, exec, s[6:7]
	s_movk_i32 s4, 0xff
	v_and_b32_sdwa v14, v11, s4 dst_sel:DWORD dst_unused:UNUSED_PAD src0_sel:WORD_1 src1_sel:DWORD
	s_movk_i32 s4, 0x7f
	v_cmp_lt_i16_e32 vcc, s4, v14
	s_mov_b64 s[4:5], 0
                                        ; implicit-def: $sgpr10
	s_and_saveexec_b64 s[6:7], vcc
	s_xor_b64 s[6:7], exec, s[6:7]
	s_cbranch_execnz .LBB6_2613
; %bb.565:
	s_or_saveexec_b64 s[6:7], s[6:7]
	v_mov_b32_e32 v20, s10
	s_xor_b64 exec, exec, s[6:7]
	s_cbranch_execnz .LBB6_2616
.LBB6_566:
	s_or_b64 exec, exec, s[6:7]
	s_and_saveexec_b64 s[6:7], s[4:5]
	s_cbranch_execz .LBB6_568
.LBB6_567:
	v_bfe_u32 v14, v11, 16, 3
	v_ffbh_u32_e32 v22, v14
	v_min_u32_e32 v22, 32, v22
	v_lshrrev_b32_e32 v20, 19, v11
	v_subrev_u32_e32 v23, 28, v22
	v_and_b32_e32 v20, 15, v20
	v_lshlrev_b32_sdwa v23, v23, v11 dst_sel:DWORD dst_unused:UNUSED_PAD src0_sel:DWORD src1_sel:WORD_1
	v_bfe_u32 v21, v11, 19, 4
	v_sub_u32_e32 v22, 29, v22
	v_and_b32_e32 v23, 7, v23
	v_cmp_eq_u16_e32 vcc, 0, v20
	v_cndmask_b32_e32 v14, v14, v23, vcc
	v_cndmask_b32_e32 v20, v21, v22, vcc
	v_lshlrev_b32_e32 v21, 8, v11
	v_mov_b32_e32 v22, 0x3b800000
	v_lshlrev_b32_e32 v14, 20, v14
	v_and_b32_e32 v21, 0x80000000, v21
	v_lshl_add_u32 v20, v20, 23, v22
	v_or3_b32 v20, v21, v20, v14
.LBB6_568:
	s_or_b64 exec, exec, s[6:7]
	s_nop 0
	v_mfma_f32_16x16x4f32 a[0:3], v10, v20, a[0:3]
	s_movk_i32 s4, 0x7f
	v_cmp_gt_i16_sdwa s[6:7], v15, s4 src0_sel:BYTE_3 src1_sel:DWORD
	s_mov_b64 s[4:5], 0
                                        ; implicit-def: $sgpr10
	s_and_saveexec_b64 s[8:9], s[6:7]
	s_xor_b64 s[6:7], exec, s[8:9]
	s_cbranch_execnz .LBB6_2617
; %bb.569:
	s_or_saveexec_b64 s[6:7], s[6:7]
	v_mov_b32_e32 v10, s10
	s_xor_b64 exec, exec, s[6:7]
	s_cbranch_execnz .LBB6_2620
.LBB6_570:
	s_or_b64 exec, exec, s[6:7]
	s_and_saveexec_b64 s[6:7], s[4:5]
	s_cbranch_execz .LBB6_572
.LBB6_571:
	v_bfe_u32 v10, v15, 24, 3
	v_ffbh_u32_e32 v22, v10
	v_min_u32_e32 v22, 32, v22
	v_lshrrev_b32_e32 v20, 27, v15
	v_subrev_u32_e32 v23, 28, v22
	v_and_b32_e32 v14, 0x80000000, v15
	v_and_b32_e32 v20, 15, v20
	v_bfe_u32 v21, v15, 27, 4
	v_lshlrev_b32_sdwa v15, v23, v15 dst_sel:DWORD dst_unused:UNUSED_PAD src0_sel:DWORD src1_sel:BYTE_3
	v_sub_u32_e32 v22, 29, v22
	v_and_b32_e32 v15, 7, v15
	v_cmp_eq_u16_e32 vcc, 0, v20
	v_cndmask_b32_e32 v10, v10, v15, vcc
	v_cndmask_b32_e32 v15, v21, v22, vcc
	v_mov_b32_e32 v20, 0x3b800000
	v_lshlrev_b32_e32 v10, 20, v10
	v_lshl_add_u32 v15, v15, 23, v20
	v_or3_b32 v10, v14, v15, v10
.LBB6_572:
	s_or_b64 exec, exec, s[6:7]
	s_movk_i32 s4, 0x7f
	v_cmp_gt_i16_sdwa s[6:7], v11, s4 src0_sel:BYTE_3 src1_sel:DWORD
	s_mov_b64 s[4:5], 0
                                        ; implicit-def: $sgpr10
	s_and_saveexec_b64 s[8:9], s[6:7]
	s_xor_b64 s[6:7], exec, s[8:9]
	s_cbranch_execnz .LBB6_2621
; %bb.573:
	s_or_saveexec_b64 s[6:7], s[6:7]
	v_mov_b32_e32 v14, s10
	s_xor_b64 exec, exec, s[6:7]
	s_cbranch_execnz .LBB6_2624
.LBB6_574:
	s_or_b64 exec, exec, s[6:7]
	s_and_saveexec_b64 s[6:7], s[4:5]
	s_cbranch_execz .LBB6_576
.LBB6_575:
	v_bfe_u32 v14, v11, 24, 3
	v_ffbh_u32_e32 v22, v14
	v_min_u32_e32 v22, 32, v22
	v_lshrrev_b32_e32 v20, 27, v11
	v_subrev_u32_e32 v23, 28, v22
	v_and_b32_e32 v15, 0x80000000, v11
	v_and_b32_e32 v20, 15, v20
	v_bfe_u32 v21, v11, 27, 4
	v_lshlrev_b32_sdwa v11, v23, v11 dst_sel:DWORD dst_unused:UNUSED_PAD src0_sel:DWORD src1_sel:BYTE_3
	v_sub_u32_e32 v22, 29, v22
	v_and_b32_e32 v11, 7, v11
	v_cmp_eq_u16_e32 vcc, 0, v20
	v_cndmask_b32_e32 v11, v14, v11, vcc
	v_cndmask_b32_e32 v14, v21, v22, vcc
	v_mov_b32_e32 v20, 0x3b800000
	v_lshlrev_b32_e32 v11, 20, v11
	v_lshl_add_u32 v14, v14, 23, v20
	v_or3_b32 v14, v15, v14, v11
.LBB6_576:
	s_or_b64 exec, exec, s[6:7]
	s_nop 0
	v_mfma_f32_16x16x4f32 a[0:3], v10, v14, a[0:3]
	s_movk_i32 s4, 0x7f
	v_cmp_gt_i16_sdwa s[6:7], v16, s4 src0_sel:BYTE_0 src1_sel:DWORD
	s_mov_b64 s[4:5], 0
                                        ; implicit-def: $sgpr10
	s_and_saveexec_b64 s[8:9], s[6:7]
	s_xor_b64 s[6:7], exec, s[8:9]
	s_cbranch_execnz .LBB6_2625
; %bb.577:
	s_or_saveexec_b64 s[6:7], s[6:7]
	v_mov_b32_e32 v10, s10
	s_xor_b64 exec, exec, s[6:7]
	s_cbranch_execnz .LBB6_2628
.LBB6_578:
	s_or_b64 exec, exec, s[6:7]
	s_and_saveexec_b64 s[6:7], s[4:5]
	s_cbranch_execz .LBB6_580
.LBB6_579:
	v_and_b32_e32 v10, 7, v16
	v_ffbh_u32_e32 v14, v10
	v_min_u32_e32 v14, 32, v14
	v_lshrrev_b16_e32 v11, 3, v16
	v_subrev_u32_e32 v15, 28, v14
	v_and_b32_e32 v11, 15, v11
	v_lshlrev_b32_e32 v15, v15, v16
	v_sub_u32_e32 v14, 29, v14
	v_and_b32_e32 v15, 7, v15
	v_cmp_eq_u16_e32 vcc, 0, v11
	v_cndmask_b32_e32 v10, v10, v15, vcc
	v_cndmask_b32_e32 v11, v11, v14, vcc
	v_lshlrev_b32_e32 v14, 24, v16
	v_mov_b32_e32 v15, 0x3b800000
	v_lshlrev_b32_e32 v10, 20, v10
	v_and_b32_e32 v14, 0x80000000, v14
	v_lshl_add_u32 v11, v11, 23, v15
	v_or3_b32 v10, v14, v11, v10
.LBB6_580:
	s_or_b64 exec, exec, s[6:7]
	s_movk_i32 s4, 0x7f
	v_cmp_gt_i16_sdwa s[6:7], v12, s4 src0_sel:BYTE_0 src1_sel:DWORD
	s_mov_b64 s[4:5], 0
                                        ; implicit-def: $sgpr10
	s_and_saveexec_b64 s[8:9], s[6:7]
	s_xor_b64 s[6:7], exec, s[8:9]
	s_cbranch_execnz .LBB6_2629
; %bb.581:
	s_or_saveexec_b64 s[6:7], s[6:7]
	v_mov_b32_e32 v11, s10
	s_xor_b64 exec, exec, s[6:7]
	s_cbranch_execnz .LBB6_2632
.LBB6_582:
	s_or_b64 exec, exec, s[6:7]
	s_and_saveexec_b64 s[6:7], s[4:5]
	s_cbranch_execz .LBB6_584
.LBB6_583:
	v_and_b32_e32 v11, 7, v12
	v_ffbh_u32_e32 v15, v11
	v_min_u32_e32 v15, 32, v15
	v_lshrrev_b16_e32 v14, 3, v12
	v_subrev_u32_e32 v20, 28, v15
	v_and_b32_e32 v14, 15, v14
	v_lshlrev_b32_e32 v20, v20, v12
	v_sub_u32_e32 v15, 29, v15
	v_and_b32_e32 v20, 7, v20
	v_cmp_eq_u16_e32 vcc, 0, v14
	v_cndmask_b32_e32 v11, v11, v20, vcc
	v_cndmask_b32_e32 v14, v14, v15, vcc
	v_lshlrev_b32_e32 v15, 24, v12
	v_mov_b32_e32 v20, 0x3b800000
	v_lshlrev_b32_e32 v11, 20, v11
	v_and_b32_e32 v15, 0x80000000, v15
	v_lshl_add_u32 v14, v14, 23, v20
	v_or3_b32 v11, v15, v14, v11
.LBB6_584:
	s_or_b64 exec, exec, s[6:7]
	s_nop 0
	v_mfma_f32_16x16x4f32 a[0:3], v10, v11, a[0:3]
	v_lshrrev_b32_e32 v11, 8, v16
	s_movk_i32 s4, 0x7f
	v_cmp_gt_i16_sdwa s[6:7], v11, s4 src0_sel:BYTE_0 src1_sel:DWORD
	s_mov_b64 s[4:5], 0
                                        ; implicit-def: $sgpr10
	s_and_saveexec_b64 s[8:9], s[6:7]
	s_xor_b64 s[6:7], exec, s[8:9]
	s_cbranch_execnz .LBB6_2633
; %bb.585:
	s_or_saveexec_b64 s[6:7], s[6:7]
	v_mov_b32_e32 v10, s10
	s_xor_b64 exec, exec, s[6:7]
	s_cbranch_execnz .LBB6_2636
.LBB6_586:
	s_or_b64 exec, exec, s[6:7]
	s_and_saveexec_b64 s[6:7], s[4:5]
	s_cbranch_execz .LBB6_588
.LBB6_587:
	v_bfe_u32 v10, v16, 8, 3
	v_ffbh_u32_e32 v15, v10
	v_min_u32_e32 v15, 32, v15
	v_lshrrev_b16_e32 v14, 3, v11
	v_subrev_u32_e32 v20, 28, v15
	v_and_b32_e32 v14, 15, v14
	v_lshlrev_b32_e32 v11, v20, v11
	v_sub_u32_e32 v15, 29, v15
	v_and_b32_e32 v11, 7, v11
	v_cmp_eq_u16_e32 vcc, 0, v14
	v_cndmask_b32_e32 v10, v10, v11, vcc
	v_cndmask_b32_e32 v11, v14, v15, vcc
	v_lshlrev_b32_e32 v14, 16, v16
	v_mov_b32_e32 v15, 0x3b800000
	v_lshlrev_b32_e32 v10, 20, v10
	v_and_b32_e32 v14, 0x80000000, v14
	v_lshl_add_u32 v11, v11, 23, v15
	v_or3_b32 v10, v14, v11, v10
.LBB6_588:
	s_or_b64 exec, exec, s[6:7]
	v_lshrrev_b32_e32 v11, 8, v12
	s_movk_i32 s4, 0x7f
	v_cmp_gt_i16_sdwa s[6:7], v11, s4 src0_sel:BYTE_0 src1_sel:DWORD
	s_mov_b64 s[4:5], 0
                                        ; implicit-def: $sgpr10
	s_and_saveexec_b64 s[8:9], s[6:7]
	s_xor_b64 s[6:7], exec, s[8:9]
	s_cbranch_execnz .LBB6_2637
; %bb.589:
	s_or_saveexec_b64 s[6:7], s[6:7]
	v_mov_b32_e32 v14, s10
	s_xor_b64 exec, exec, s[6:7]
	s_cbranch_execnz .LBB6_2640
.LBB6_590:
	s_or_b64 exec, exec, s[6:7]
	s_and_saveexec_b64 s[6:7], s[4:5]
	s_cbranch_execz .LBB6_592
.LBB6_591:
	v_bfe_u32 v14, v12, 8, 3
	v_ffbh_u32_e32 v20, v14
	v_min_u32_e32 v20, 32, v20
	v_lshrrev_b16_e32 v15, 3, v11
	v_subrev_u32_e32 v21, 28, v20
	v_and_b32_e32 v15, 15, v15
	v_lshlrev_b32_e32 v11, v21, v11
	v_sub_u32_e32 v20, 29, v20
	v_and_b32_e32 v11, 7, v11
	v_cmp_eq_u16_e32 vcc, 0, v15
	v_cndmask_b32_e32 v11, v14, v11, vcc
	v_cndmask_b32_e32 v14, v15, v20, vcc
	v_lshlrev_b32_e32 v15, 16, v12
	v_mov_b32_e32 v20, 0x3b800000
	v_lshlrev_b32_e32 v11, 20, v11
	v_and_b32_e32 v15, 0x80000000, v15
	v_lshl_add_u32 v14, v14, 23, v20
	v_or3_b32 v14, v15, v14, v11
.LBB6_592:
	s_or_b64 exec, exec, s[6:7]
	s_nop 0
	v_mfma_f32_16x16x4f32 a[0:3], v10, v14, a[0:3]
	s_movk_i32 s4, 0xff
	v_and_b32_sdwa v11, v16, s4 dst_sel:DWORD dst_unused:UNUSED_PAD src0_sel:WORD_1 src1_sel:DWORD
	s_movk_i32 s4, 0x7f
	v_cmp_lt_i16_e32 vcc, s4, v11
	s_mov_b64 s[4:5], 0
                                        ; implicit-def: $sgpr10
	s_and_saveexec_b64 s[6:7], vcc
	s_xor_b64 s[6:7], exec, s[6:7]
	s_cbranch_execnz .LBB6_2641
; %bb.593:
	s_or_saveexec_b64 s[6:7], s[6:7]
	v_mov_b32_e32 v10, s10
	s_xor_b64 exec, exec, s[6:7]
	s_cbranch_execnz .LBB6_2644
.LBB6_594:
	s_or_b64 exec, exec, s[6:7]
	s_and_saveexec_b64 s[6:7], s[4:5]
	s_cbranch_execz .LBB6_596
.LBB6_595:
	v_bfe_u32 v10, v16, 16, 3
	v_ffbh_u32_e32 v15, v10
	v_min_u32_e32 v15, 32, v15
	v_lshrrev_b32_e32 v11, 19, v16
	v_subrev_u32_e32 v20, 28, v15
	v_and_b32_e32 v11, 15, v11
	v_lshlrev_b32_sdwa v20, v20, v16 dst_sel:DWORD dst_unused:UNUSED_PAD src0_sel:DWORD src1_sel:WORD_1
	v_bfe_u32 v14, v16, 19, 4
	v_sub_u32_e32 v15, 29, v15
	v_and_b32_e32 v20, 7, v20
	v_cmp_eq_u16_e32 vcc, 0, v11
	v_cndmask_b32_e32 v10, v10, v20, vcc
	v_cndmask_b32_e32 v11, v14, v15, vcc
	v_lshlrev_b32_e32 v14, 8, v16
	v_mov_b32_e32 v15, 0x3b800000
	v_lshlrev_b32_e32 v10, 20, v10
	v_and_b32_e32 v14, 0x80000000, v14
	v_lshl_add_u32 v11, v11, 23, v15
	v_or3_b32 v10, v14, v11, v10
.LBB6_596:
	s_or_b64 exec, exec, s[6:7]
	s_movk_i32 s4, 0xff
	v_and_b32_sdwa v11, v12, s4 dst_sel:DWORD dst_unused:UNUSED_PAD src0_sel:WORD_1 src1_sel:DWORD
	s_movk_i32 s4, 0x7f
	v_cmp_lt_i16_e32 vcc, s4, v11
	s_mov_b64 s[4:5], 0
                                        ; implicit-def: $sgpr10
	s_and_saveexec_b64 s[6:7], vcc
	s_xor_b64 s[6:7], exec, s[6:7]
	s_cbranch_execnz .LBB6_2645
; %bb.597:
	s_or_saveexec_b64 s[6:7], s[6:7]
	v_mov_b32_e32 v14, s10
	s_xor_b64 exec, exec, s[6:7]
	s_cbranch_execnz .LBB6_2648
.LBB6_598:
	s_or_b64 exec, exec, s[6:7]
	s_and_saveexec_b64 s[6:7], s[4:5]
	s_cbranch_execz .LBB6_600
.LBB6_599:
	v_bfe_u32 v11, v12, 16, 3
	v_ffbh_u32_e32 v20, v11
	v_min_u32_e32 v20, 32, v20
	v_lshrrev_b32_e32 v14, 19, v12
	v_subrev_u32_e32 v21, 28, v20
	v_and_b32_e32 v14, 15, v14
	v_lshlrev_b32_sdwa v21, v21, v12 dst_sel:DWORD dst_unused:UNUSED_PAD src0_sel:DWORD src1_sel:WORD_1
	v_bfe_u32 v15, v12, 19, 4
	v_sub_u32_e32 v20, 29, v20
	v_and_b32_e32 v21, 7, v21
	v_cmp_eq_u16_e32 vcc, 0, v14
	v_cndmask_b32_e32 v11, v11, v21, vcc
	v_cndmask_b32_e32 v14, v15, v20, vcc
	v_lshlrev_b32_e32 v15, 8, v12
	v_mov_b32_e32 v20, 0x3b800000
	v_lshlrev_b32_e32 v11, 20, v11
	v_and_b32_e32 v15, 0x80000000, v15
	v_lshl_add_u32 v14, v14, 23, v20
	v_or3_b32 v14, v15, v14, v11
.LBB6_600:
	s_or_b64 exec, exec, s[6:7]
	s_nop 0
	v_mfma_f32_16x16x4f32 a[0:3], v10, v14, a[0:3]
	s_movk_i32 s4, 0x7f
	v_cmp_gt_i16_sdwa s[6:7], v16, s4 src0_sel:BYTE_3 src1_sel:DWORD
	s_mov_b64 s[4:5], 0
                                        ; implicit-def: $sgpr10
	s_and_saveexec_b64 s[8:9], s[6:7]
	s_xor_b64 s[6:7], exec, s[8:9]
	s_cbranch_execnz .LBB6_2649
; %bb.601:
	s_or_saveexec_b64 s[6:7], s[6:7]
	v_mov_b32_e32 v10, s10
	s_xor_b64 exec, exec, s[6:7]
	s_cbranch_execnz .LBB6_2652
.LBB6_602:
	s_or_b64 exec, exec, s[6:7]
	s_and_saveexec_b64 s[6:7], s[4:5]
	s_cbranch_execz .LBB6_604
.LBB6_603:
	v_bfe_u32 v10, v16, 24, 3
	v_ffbh_u32_e32 v20, v10
	v_min_u32_e32 v20, 32, v20
	v_lshrrev_b32_e32 v14, 27, v16
	v_subrev_u32_e32 v21, 28, v20
	v_and_b32_e32 v11, 0x80000000, v16
	v_and_b32_e32 v14, 15, v14
	v_bfe_u32 v15, v16, 27, 4
	v_lshlrev_b32_sdwa v16, v21, v16 dst_sel:DWORD dst_unused:UNUSED_PAD src0_sel:DWORD src1_sel:BYTE_3
	v_sub_u32_e32 v20, 29, v20
	v_and_b32_e32 v16, 7, v16
	v_cmp_eq_u16_e32 vcc, 0, v14
	v_cndmask_b32_e32 v10, v10, v16, vcc
	v_cndmask_b32_e32 v14, v15, v20, vcc
	v_mov_b32_e32 v15, 0x3b800000
	v_lshlrev_b32_e32 v10, 20, v10
	v_lshl_add_u32 v14, v14, 23, v15
	v_or3_b32 v10, v11, v14, v10
.LBB6_604:
	s_or_b64 exec, exec, s[6:7]
	s_movk_i32 s4, 0x7f
	v_cmp_gt_i16_sdwa s[6:7], v12, s4 src0_sel:BYTE_3 src1_sel:DWORD
	s_mov_b64 s[4:5], 0
                                        ; implicit-def: $sgpr10
	s_and_saveexec_b64 s[8:9], s[6:7]
	s_xor_b64 s[6:7], exec, s[8:9]
	s_cbranch_execnz .LBB6_2653
; %bb.605:
	s_or_saveexec_b64 s[6:7], s[6:7]
	v_mov_b32_e32 v11, s10
	s_xor_b64 exec, exec, s[6:7]
	s_cbranch_execnz .LBB6_2656
.LBB6_606:
	s_or_b64 exec, exec, s[6:7]
	s_and_saveexec_b64 s[6:7], s[4:5]
	s_cbranch_execz .LBB6_608
.LBB6_607:
	v_bfe_u32 v11, v12, 24, 3
	v_ffbh_u32_e32 v20, v11
	v_min_u32_e32 v20, 32, v20
	v_lshrrev_b32_e32 v15, 27, v12
	v_subrev_u32_e32 v21, 28, v20
	v_and_b32_e32 v14, 0x80000000, v12
	v_and_b32_e32 v15, 15, v15
	v_bfe_u32 v16, v12, 27, 4
	v_lshlrev_b32_sdwa v12, v21, v12 dst_sel:DWORD dst_unused:UNUSED_PAD src0_sel:DWORD src1_sel:BYTE_3
	v_sub_u32_e32 v20, 29, v20
	v_and_b32_e32 v12, 7, v12
	v_cmp_eq_u16_e32 vcc, 0, v15
	v_cndmask_b32_e32 v11, v11, v12, vcc
	v_cndmask_b32_e32 v12, v16, v20, vcc
	v_mov_b32_e32 v15, 0x3b800000
	v_lshlrev_b32_e32 v11, 20, v11
	v_lshl_add_u32 v12, v12, 23, v15
	v_or3_b32 v11, v14, v12, v11
.LBB6_608:
	s_or_b64 exec, exec, s[6:7]
	s_nop 0
	v_mfma_f32_16x16x4f32 a[0:3], v10, v11, a[0:3]
	s_movk_i32 s4, 0x7f
	v_cmp_gt_i16_sdwa s[6:7], v17, s4 src0_sel:BYTE_0 src1_sel:DWORD
	s_mov_b64 s[4:5], 0
                                        ; implicit-def: $sgpr10
	s_and_saveexec_b64 s[8:9], s[6:7]
	s_xor_b64 s[6:7], exec, s[8:9]
	s_cbranch_execnz .LBB6_2657
; %bb.609:
	s_or_saveexec_b64 s[6:7], s[6:7]
	v_mov_b32_e32 v10, s10
	s_xor_b64 exec, exec, s[6:7]
	s_cbranch_execnz .LBB6_2660
.LBB6_610:
	s_or_b64 exec, exec, s[6:7]
	s_and_saveexec_b64 s[6:7], s[4:5]
	s_cbranch_execz .LBB6_612
.LBB6_611:
	v_and_b32_e32 v10, 7, v17
	v_ffbh_u32_e32 v12, v10
	v_min_u32_e32 v12, 32, v12
	v_lshrrev_b16_e32 v11, 3, v17
	v_subrev_u32_e32 v14, 28, v12
	v_and_b32_e32 v11, 15, v11
	v_lshlrev_b32_e32 v14, v14, v17
	v_sub_u32_e32 v12, 29, v12
	v_and_b32_e32 v14, 7, v14
	v_cmp_eq_u16_e32 vcc, 0, v11
	v_cndmask_b32_e32 v10, v10, v14, vcc
	v_cndmask_b32_e32 v11, v11, v12, vcc
	v_lshlrev_b32_e32 v12, 24, v17
	v_mov_b32_e32 v14, 0x3b800000
	v_lshlrev_b32_e32 v10, 20, v10
	v_and_b32_e32 v12, 0x80000000, v12
	v_lshl_add_u32 v11, v11, 23, v14
	v_or3_b32 v10, v12, v11, v10
.LBB6_612:
	s_or_b64 exec, exec, s[6:7]
	s_movk_i32 s4, 0x7f
	v_cmp_gt_i16_sdwa s[6:7], v13, s4 src0_sel:BYTE_0 src1_sel:DWORD
	s_mov_b64 s[4:5], 0
                                        ; implicit-def: $sgpr10
	s_and_saveexec_b64 s[8:9], s[6:7]
	s_xor_b64 s[6:7], exec, s[8:9]
	s_cbranch_execnz .LBB6_2661
; %bb.613:
	s_or_saveexec_b64 s[6:7], s[6:7]
	v_mov_b32_e32 v11, s10
	s_xor_b64 exec, exec, s[6:7]
	s_cbranch_execnz .LBB6_2664
.LBB6_614:
	s_or_b64 exec, exec, s[6:7]
	s_and_saveexec_b64 s[6:7], s[4:5]
	s_cbranch_execz .LBB6_616
.LBB6_615:
	v_and_b32_e32 v11, 7, v13
	v_ffbh_u32_e32 v14, v11
	v_min_u32_e32 v14, 32, v14
	v_lshrrev_b16_e32 v12, 3, v13
	v_subrev_u32_e32 v15, 28, v14
	v_and_b32_e32 v12, 15, v12
	v_lshlrev_b32_e32 v15, v15, v13
	v_sub_u32_e32 v14, 29, v14
	v_and_b32_e32 v15, 7, v15
	v_cmp_eq_u16_e32 vcc, 0, v12
	v_cndmask_b32_e32 v11, v11, v15, vcc
	v_cndmask_b32_e32 v12, v12, v14, vcc
	v_lshlrev_b32_e32 v14, 24, v13
	v_mov_b32_e32 v15, 0x3b800000
	v_lshlrev_b32_e32 v11, 20, v11
	v_and_b32_e32 v14, 0x80000000, v14
	v_lshl_add_u32 v12, v12, 23, v15
	v_or3_b32 v11, v14, v12, v11
.LBB6_616:
	s_or_b64 exec, exec, s[6:7]
	s_nop 0
	v_mfma_f32_16x16x4f32 a[0:3], v10, v11, a[0:3]
	v_lshrrev_b32_e32 v11, 8, v17
	s_movk_i32 s4, 0x7f
	v_cmp_gt_i16_sdwa s[6:7], v11, s4 src0_sel:BYTE_0 src1_sel:DWORD
	s_mov_b64 s[4:5], 0
                                        ; implicit-def: $sgpr10
	s_and_saveexec_b64 s[8:9], s[6:7]
	s_xor_b64 s[6:7], exec, s[8:9]
	s_cbranch_execnz .LBB6_2665
; %bb.617:
	s_or_saveexec_b64 s[6:7], s[6:7]
	v_mov_b32_e32 v10, s10
	s_xor_b64 exec, exec, s[6:7]
	s_cbranch_execnz .LBB6_2668
.LBB6_618:
	s_or_b64 exec, exec, s[6:7]
	s_and_saveexec_b64 s[6:7], s[4:5]
	s_cbranch_execz .LBB6_620
.LBB6_619:
	v_bfe_u32 v10, v17, 8, 3
	v_ffbh_u32_e32 v14, v10
	v_min_u32_e32 v14, 32, v14
	v_lshrrev_b16_e32 v12, 3, v11
	v_subrev_u32_e32 v15, 28, v14
	v_and_b32_e32 v12, 15, v12
	v_lshlrev_b32_e32 v11, v15, v11
	v_sub_u32_e32 v14, 29, v14
	v_and_b32_e32 v11, 7, v11
	v_cmp_eq_u16_e32 vcc, 0, v12
	v_cndmask_b32_e32 v10, v10, v11, vcc
	v_cndmask_b32_e32 v11, v12, v14, vcc
	v_lshlrev_b32_e32 v12, 16, v17
	v_mov_b32_e32 v14, 0x3b800000
	v_lshlrev_b32_e32 v10, 20, v10
	v_and_b32_e32 v12, 0x80000000, v12
	v_lshl_add_u32 v11, v11, 23, v14
	v_or3_b32 v10, v12, v11, v10
.LBB6_620:
	s_or_b64 exec, exec, s[6:7]
	v_lshrrev_b32_e32 v11, 8, v13
	s_movk_i32 s4, 0x7f
	v_cmp_gt_i16_sdwa s[6:7], v11, s4 src0_sel:BYTE_0 src1_sel:DWORD
	s_mov_b64 s[4:5], 0
                                        ; implicit-def: $sgpr10
	s_and_saveexec_b64 s[8:9], s[6:7]
	s_xor_b64 s[6:7], exec, s[8:9]
	s_cbranch_execnz .LBB6_2669
; %bb.621:
	s_or_saveexec_b64 s[6:7], s[6:7]
	v_mov_b32_e32 v12, s10
	s_xor_b64 exec, exec, s[6:7]
	s_cbranch_execnz .LBB6_2672
.LBB6_622:
	s_or_b64 exec, exec, s[6:7]
	s_and_saveexec_b64 s[6:7], s[4:5]
	s_cbranch_execz .LBB6_624
.LBB6_623:
	v_bfe_u32 v12, v13, 8, 3
	v_ffbh_u32_e32 v15, v12
	v_min_u32_e32 v15, 32, v15
	v_lshrrev_b16_e32 v14, 3, v11
	v_subrev_u32_e32 v16, 28, v15
	v_and_b32_e32 v14, 15, v14
	v_lshlrev_b32_e32 v11, v16, v11
	v_sub_u32_e32 v15, 29, v15
	v_and_b32_e32 v11, 7, v11
	v_cmp_eq_u16_e32 vcc, 0, v14
	v_cndmask_b32_e32 v11, v12, v11, vcc
	v_cndmask_b32_e32 v12, v14, v15, vcc
	v_lshlrev_b32_e32 v14, 16, v13
	v_mov_b32_e32 v15, 0x3b800000
	v_lshlrev_b32_e32 v11, 20, v11
	v_and_b32_e32 v14, 0x80000000, v14
	v_lshl_add_u32 v12, v12, 23, v15
	v_or3_b32 v12, v14, v12, v11
.LBB6_624:
	s_or_b64 exec, exec, s[6:7]
	s_nop 0
	v_mfma_f32_16x16x4f32 a[0:3], v10, v12, a[0:3]
	s_movk_i32 s4, 0xff
	v_and_b32_sdwa v11, v17, s4 dst_sel:DWORD dst_unused:UNUSED_PAD src0_sel:WORD_1 src1_sel:DWORD
	s_movk_i32 s4, 0x7f
	v_cmp_lt_i16_e32 vcc, s4, v11
	s_mov_b64 s[4:5], 0
                                        ; implicit-def: $sgpr10
	s_and_saveexec_b64 s[6:7], vcc
	s_xor_b64 s[6:7], exec, s[6:7]
	s_cbranch_execnz .LBB6_2673
; %bb.625:
	s_or_saveexec_b64 s[6:7], s[6:7]
	v_mov_b32_e32 v10, s10
	s_xor_b64 exec, exec, s[6:7]
	s_cbranch_execnz .LBB6_2676
.LBB6_626:
	s_or_b64 exec, exec, s[6:7]
	s_and_saveexec_b64 s[6:7], s[4:5]
	s_cbranch_execz .LBB6_628
.LBB6_627:
	v_bfe_u32 v10, v17, 16, 3
	v_ffbh_u32_e32 v14, v10
	v_min_u32_e32 v14, 32, v14
	v_lshrrev_b32_e32 v11, 19, v17
	v_subrev_u32_e32 v15, 28, v14
	v_and_b32_e32 v11, 15, v11
	v_lshlrev_b32_sdwa v15, v15, v17 dst_sel:DWORD dst_unused:UNUSED_PAD src0_sel:DWORD src1_sel:WORD_1
	v_bfe_u32 v12, v17, 19, 4
	v_sub_u32_e32 v14, 29, v14
	v_and_b32_e32 v15, 7, v15
	v_cmp_eq_u16_e32 vcc, 0, v11
	v_cndmask_b32_e32 v10, v10, v15, vcc
	v_cndmask_b32_e32 v11, v12, v14, vcc
	v_lshlrev_b32_e32 v12, 8, v17
	v_mov_b32_e32 v14, 0x3b800000
	v_lshlrev_b32_e32 v10, 20, v10
	v_and_b32_e32 v12, 0x80000000, v12
	v_lshl_add_u32 v11, v11, 23, v14
	v_or3_b32 v10, v12, v11, v10
.LBB6_628:
	s_or_b64 exec, exec, s[6:7]
	s_movk_i32 s4, 0xff
	v_and_b32_sdwa v11, v13, s4 dst_sel:DWORD dst_unused:UNUSED_PAD src0_sel:WORD_1 src1_sel:DWORD
	s_movk_i32 s4, 0x7f
	v_cmp_lt_i16_e32 vcc, s4, v11
	s_mov_b64 s[4:5], 0
                                        ; implicit-def: $sgpr10
	s_and_saveexec_b64 s[6:7], vcc
	s_xor_b64 s[6:7], exec, s[6:7]
	s_cbranch_execnz .LBB6_2677
; %bb.629:
	s_or_saveexec_b64 s[6:7], s[6:7]
	v_mov_b32_e32 v12, s10
	s_xor_b64 exec, exec, s[6:7]
	s_cbranch_execnz .LBB6_2680
.LBB6_630:
	s_or_b64 exec, exec, s[6:7]
	s_and_saveexec_b64 s[6:7], s[4:5]
	s_cbranch_execz .LBB6_632
.LBB6_631:
	v_bfe_u32 v11, v13, 16, 3
	v_ffbh_u32_e32 v15, v11
	v_min_u32_e32 v15, 32, v15
	v_lshrrev_b32_e32 v12, 19, v13
	v_subrev_u32_e32 v16, 28, v15
	v_and_b32_e32 v12, 15, v12
	v_lshlrev_b32_sdwa v16, v16, v13 dst_sel:DWORD dst_unused:UNUSED_PAD src0_sel:DWORD src1_sel:WORD_1
	v_bfe_u32 v14, v13, 19, 4
	v_sub_u32_e32 v15, 29, v15
	v_and_b32_e32 v16, 7, v16
	v_cmp_eq_u16_e32 vcc, 0, v12
	v_cndmask_b32_e32 v11, v11, v16, vcc
	v_cndmask_b32_e32 v12, v14, v15, vcc
	v_lshlrev_b32_e32 v14, 8, v13
	v_mov_b32_e32 v15, 0x3b800000
	v_lshlrev_b32_e32 v11, 20, v11
	v_and_b32_e32 v14, 0x80000000, v14
	v_lshl_add_u32 v12, v12, 23, v15
	v_or3_b32 v12, v14, v12, v11
.LBB6_632:
	s_or_b64 exec, exec, s[6:7]
	s_nop 0
	v_mfma_f32_16x16x4f32 a[0:3], v10, v12, a[0:3]
	s_movk_i32 s4, 0x7f
	v_cmp_gt_i16_sdwa s[6:7], v17, s4 src0_sel:BYTE_3 src1_sel:DWORD
	s_mov_b64 s[4:5], 0
                                        ; implicit-def: $sgpr10
	s_and_saveexec_b64 s[8:9], s[6:7]
	s_xor_b64 s[6:7], exec, s[8:9]
	s_cbranch_execnz .LBB6_2681
; %bb.633:
	s_or_saveexec_b64 s[6:7], s[6:7]
	v_mov_b32_e32 v10, s10
	s_xor_b64 exec, exec, s[6:7]
	s_cbranch_execnz .LBB6_2684
.LBB6_634:
	s_or_b64 exec, exec, s[6:7]
	s_and_saveexec_b64 s[6:7], s[4:5]
	s_cbranch_execz .LBB6_636
.LBB6_635:
	v_bfe_u32 v10, v17, 24, 3
	v_ffbh_u32_e32 v15, v10
	v_min_u32_e32 v15, 32, v15
	v_lshrrev_b32_e32 v12, 27, v17
	v_subrev_u32_e32 v16, 28, v15
	v_and_b32_e32 v12, 15, v12
	v_lshlrev_b32_sdwa v16, v16, v17 dst_sel:DWORD dst_unused:UNUSED_PAD src0_sel:DWORD src1_sel:BYTE_3
	v_bfe_u32 v14, v17, 27, 4
	v_sub_u32_e32 v15, 29, v15
	v_and_b32_e32 v16, 7, v16
	v_cmp_eq_u16_e32 vcc, 0, v12
	v_cndmask_b32_e32 v10, v10, v16, vcc
	v_cndmask_b32_e32 v12, v14, v15, vcc
	v_mov_b32_e32 v14, 0x3b800000
	v_and_b32_e32 v11, 0x80000000, v17
	v_lshlrev_b32_e32 v10, 20, v10
	v_lshl_add_u32 v12, v12, 23, v14
	v_or3_b32 v10, v11, v12, v10
.LBB6_636:
	s_or_b64 exec, exec, s[6:7]
	s_movk_i32 s4, 0x7f
	v_cmp_gt_i16_sdwa s[6:7], v13, s4 src0_sel:BYTE_3 src1_sel:DWORD
	s_mov_b64 s[4:5], 0
                                        ; implicit-def: $sgpr10
	s_and_saveexec_b64 s[8:9], s[6:7]
	s_xor_b64 s[6:7], exec, s[8:9]
	s_cbranch_execnz .LBB6_2685
; %bb.637:
	s_or_saveexec_b64 s[6:7], s[6:7]
	v_mov_b32_e32 v11, s10
	s_xor_b64 exec, exec, s[6:7]
	s_cbranch_execnz .LBB6_2688
.LBB6_638:
	s_or_b64 exec, exec, s[6:7]
	s_and_saveexec_b64 s[6:7], s[4:5]
	s_cbranch_execz .LBB6_640
.LBB6_639:
	v_bfe_u32 v11, v13, 24, 3
	v_ffbh_u32_e32 v16, v11
	v_min_u32_e32 v16, 32, v16
	v_lshrrev_b32_e32 v14, 27, v13
	v_subrev_u32_e32 v17, 28, v16
	v_and_b32_e32 v12, 0x80000000, v13
	v_and_b32_e32 v14, 15, v14
	v_bfe_u32 v15, v13, 27, 4
	v_lshlrev_b32_sdwa v13, v17, v13 dst_sel:DWORD dst_unused:UNUSED_PAD src0_sel:DWORD src1_sel:BYTE_3
	v_sub_u32_e32 v16, 29, v16
	v_and_b32_e32 v13, 7, v13
	v_cmp_eq_u16_e32 vcc, 0, v14
	v_cndmask_b32_e32 v11, v11, v13, vcc
	v_cndmask_b32_e32 v13, v15, v16, vcc
	v_mov_b32_e32 v14, 0x3b800000
	v_lshlrev_b32_e32 v11, 20, v11
	v_lshl_add_u32 v13, v13, 23, v14
	v_or3_b32 v11, v12, v13, v11
.LBB6_640:
	s_or_b64 exec, exec, s[6:7]
	s_nop 0
	v_mfma_f32_16x16x4f32 a[0:3], v10, v11, a[0:3]
	s_movk_i32 s4, 0x7f
	v_cmp_gt_i16_sdwa s[6:7], v6, s4 src0_sel:BYTE_0 src1_sel:DWORD
	s_mov_b64 s[4:5], 0
                                        ; implicit-def: $sgpr10
	s_and_saveexec_b64 s[8:9], s[6:7]
	s_xor_b64 s[6:7], exec, s[8:9]
	s_cbranch_execnz .LBB6_2689
; %bb.641:
	s_or_saveexec_b64 s[6:7], s[6:7]
	v_mov_b32_e32 v10, s10
	s_xor_b64 exec, exec, s[6:7]
	s_cbranch_execnz .LBB6_2692
.LBB6_642:
	s_or_b64 exec, exec, s[6:7]
	s_and_saveexec_b64 s[6:7], s[4:5]
	s_cbranch_execz .LBB6_644
.LBB6_643:
	v_and_b32_e32 v10, 7, v6
	v_ffbh_u32_e32 v12, v10
	v_min_u32_e32 v12, 32, v12
	v_lshrrev_b16_e32 v11, 3, v6
	v_subrev_u32_e32 v13, 28, v12
	v_and_b32_e32 v11, 15, v11
	v_lshlrev_b32_e32 v13, v13, v6
	v_sub_u32_e32 v12, 29, v12
	v_and_b32_e32 v13, 7, v13
	v_cmp_eq_u16_e32 vcc, 0, v11
	v_cndmask_b32_e32 v10, v10, v13, vcc
	v_cndmask_b32_e32 v11, v11, v12, vcc
	v_lshlrev_b32_e32 v12, 24, v6
	v_mov_b32_e32 v13, 0x3b800000
	v_lshlrev_b32_e32 v10, 20, v10
	v_and_b32_e32 v12, 0x80000000, v12
	v_lshl_add_u32 v11, v11, 23, v13
	v_or3_b32 v10, v12, v11, v10
.LBB6_644:
	s_or_b64 exec, exec, s[6:7]
	s_movk_i32 s4, 0x7f
	v_cmp_gt_i16_sdwa s[6:7], v2, s4 src0_sel:BYTE_0 src1_sel:DWORD
	s_mov_b64 s[4:5], 0
                                        ; implicit-def: $sgpr10
	s_and_saveexec_b64 s[8:9], s[6:7]
	s_xor_b64 s[6:7], exec, s[8:9]
	s_cbranch_execnz .LBB6_2693
; %bb.645:
	s_or_saveexec_b64 s[6:7], s[6:7]
	v_mov_b32_e32 v11, s10
	s_xor_b64 exec, exec, s[6:7]
	s_cbranch_execnz .LBB6_2696
.LBB6_646:
	s_or_b64 exec, exec, s[6:7]
	s_and_saveexec_b64 s[6:7], s[4:5]
	s_cbranch_execz .LBB6_648
.LBB6_647:
	v_and_b32_e32 v11, 7, v2
	v_ffbh_u32_e32 v13, v11
	v_min_u32_e32 v13, 32, v13
	v_lshrrev_b16_e32 v12, 3, v2
	v_subrev_u32_e32 v14, 28, v13
	v_and_b32_e32 v12, 15, v12
	v_lshlrev_b32_e32 v14, v14, v2
	v_sub_u32_e32 v13, 29, v13
	v_and_b32_e32 v14, 7, v14
	v_cmp_eq_u16_e32 vcc, 0, v12
	v_cndmask_b32_e32 v11, v11, v14, vcc
	v_cndmask_b32_e32 v12, v12, v13, vcc
	v_lshlrev_b32_e32 v13, 24, v2
	v_mov_b32_e32 v14, 0x3b800000
	v_lshlrev_b32_e32 v11, 20, v11
	v_and_b32_e32 v13, 0x80000000, v13
	v_lshl_add_u32 v12, v12, 23, v14
	v_or3_b32 v11, v13, v12, v11
.LBB6_648:
	s_or_b64 exec, exec, s[6:7]
	s_nop 0
	v_mfma_f32_16x16x4f32 a[0:3], v10, v11, a[0:3]
	v_lshrrev_b32_e32 v11, 8, v6
	s_movk_i32 s4, 0x7f
	v_cmp_gt_i16_sdwa s[6:7], v11, s4 src0_sel:BYTE_0 src1_sel:DWORD
	s_mov_b64 s[4:5], 0
                                        ; implicit-def: $sgpr10
	s_and_saveexec_b64 s[8:9], s[6:7]
	s_xor_b64 s[6:7], exec, s[8:9]
	s_cbranch_execnz .LBB6_2697
; %bb.649:
	s_or_saveexec_b64 s[6:7], s[6:7]
	v_mov_b32_e32 v10, s10
	s_xor_b64 exec, exec, s[6:7]
	s_cbranch_execnz .LBB6_2700
.LBB6_650:
	s_or_b64 exec, exec, s[6:7]
	s_and_saveexec_b64 s[6:7], s[4:5]
	s_cbranch_execz .LBB6_652
.LBB6_651:
	v_bfe_u32 v10, v6, 8, 3
	v_ffbh_u32_e32 v13, v10
	v_min_u32_e32 v13, 32, v13
	v_lshrrev_b16_e32 v12, 3, v11
	v_subrev_u32_e32 v14, 28, v13
	v_and_b32_e32 v12, 15, v12
	v_lshlrev_b32_e32 v11, v14, v11
	v_sub_u32_e32 v13, 29, v13
	v_and_b32_e32 v11, 7, v11
	v_cmp_eq_u16_e32 vcc, 0, v12
	v_cndmask_b32_e32 v10, v10, v11, vcc
	v_cndmask_b32_e32 v11, v12, v13, vcc
	v_lshlrev_b32_e32 v12, 16, v6
	v_mov_b32_e32 v13, 0x3b800000
	v_lshlrev_b32_e32 v10, 20, v10
	v_and_b32_e32 v12, 0x80000000, v12
	v_lshl_add_u32 v11, v11, 23, v13
	v_or3_b32 v10, v12, v11, v10
.LBB6_652:
	s_or_b64 exec, exec, s[6:7]
	v_lshrrev_b32_e32 v11, 8, v2
	s_movk_i32 s4, 0x7f
	v_cmp_gt_i16_sdwa s[6:7], v11, s4 src0_sel:BYTE_0 src1_sel:DWORD
	s_mov_b64 s[4:5], 0
                                        ; implicit-def: $sgpr10
	s_and_saveexec_b64 s[8:9], s[6:7]
	s_xor_b64 s[6:7], exec, s[8:9]
	s_cbranch_execnz .LBB6_2701
; %bb.653:
	s_or_saveexec_b64 s[6:7], s[6:7]
	v_mov_b32_e32 v12, s10
	s_xor_b64 exec, exec, s[6:7]
	s_cbranch_execnz .LBB6_2704
.LBB6_654:
	s_or_b64 exec, exec, s[6:7]
	s_and_saveexec_b64 s[6:7], s[4:5]
	s_cbranch_execz .LBB6_656
.LBB6_655:
	v_bfe_u32 v12, v2, 8, 3
	v_ffbh_u32_e32 v14, v12
	v_min_u32_e32 v14, 32, v14
	v_lshrrev_b16_e32 v13, 3, v11
	v_subrev_u32_e32 v15, 28, v14
	v_and_b32_e32 v13, 15, v13
	v_lshlrev_b32_e32 v11, v15, v11
	v_sub_u32_e32 v14, 29, v14
	v_and_b32_e32 v11, 7, v11
	v_cmp_eq_u16_e32 vcc, 0, v13
	v_cndmask_b32_e32 v11, v12, v11, vcc
	v_cndmask_b32_e32 v12, v13, v14, vcc
	v_lshlrev_b32_e32 v13, 16, v2
	v_mov_b32_e32 v14, 0x3b800000
	v_lshlrev_b32_e32 v11, 20, v11
	v_and_b32_e32 v13, 0x80000000, v13
	v_lshl_add_u32 v12, v12, 23, v14
	v_or3_b32 v12, v13, v12, v11
.LBB6_656:
	s_or_b64 exec, exec, s[6:7]
	s_nop 0
	v_mfma_f32_16x16x4f32 a[0:3], v10, v12, a[0:3]
	s_movk_i32 s4, 0xff
	v_and_b32_sdwa v11, v6, s4 dst_sel:DWORD dst_unused:UNUSED_PAD src0_sel:WORD_1 src1_sel:DWORD
	s_movk_i32 s4, 0x7f
	v_cmp_lt_i16_e32 vcc, s4, v11
	s_mov_b64 s[4:5], 0
                                        ; implicit-def: $sgpr10
	s_and_saveexec_b64 s[6:7], vcc
	s_xor_b64 s[6:7], exec, s[6:7]
	s_cbranch_execnz .LBB6_2705
; %bb.657:
	s_or_saveexec_b64 s[6:7], s[6:7]
	v_mov_b32_e32 v10, s10
	s_xor_b64 exec, exec, s[6:7]
	s_cbranch_execnz .LBB6_2708
.LBB6_658:
	s_or_b64 exec, exec, s[6:7]
	s_and_saveexec_b64 s[6:7], s[4:5]
	s_cbranch_execz .LBB6_660
.LBB6_659:
	v_bfe_u32 v10, v6, 16, 3
	v_ffbh_u32_e32 v13, v10
	v_min_u32_e32 v13, 32, v13
	v_lshrrev_b32_e32 v11, 19, v6
	v_subrev_u32_e32 v14, 28, v13
	v_and_b32_e32 v11, 15, v11
	v_lshlrev_b32_sdwa v14, v14, v6 dst_sel:DWORD dst_unused:UNUSED_PAD src0_sel:DWORD src1_sel:WORD_1
	v_bfe_u32 v12, v6, 19, 4
	v_sub_u32_e32 v13, 29, v13
	v_and_b32_e32 v14, 7, v14
	v_cmp_eq_u16_e32 vcc, 0, v11
	v_cndmask_b32_e32 v10, v10, v14, vcc
	v_cndmask_b32_e32 v11, v12, v13, vcc
	v_lshlrev_b32_e32 v12, 8, v6
	v_mov_b32_e32 v13, 0x3b800000
	v_lshlrev_b32_e32 v10, 20, v10
	v_and_b32_e32 v12, 0x80000000, v12
	v_lshl_add_u32 v11, v11, 23, v13
	v_or3_b32 v10, v12, v11, v10
.LBB6_660:
	s_or_b64 exec, exec, s[6:7]
	s_movk_i32 s4, 0xff
	v_and_b32_sdwa v11, v2, s4 dst_sel:DWORD dst_unused:UNUSED_PAD src0_sel:WORD_1 src1_sel:DWORD
	s_movk_i32 s4, 0x7f
	v_cmp_lt_i16_e32 vcc, s4, v11
	s_mov_b64 s[4:5], 0
                                        ; implicit-def: $sgpr10
	s_and_saveexec_b64 s[6:7], vcc
	s_xor_b64 s[6:7], exec, s[6:7]
	s_cbranch_execnz .LBB6_2709
; %bb.661:
	s_or_saveexec_b64 s[6:7], s[6:7]
	v_mov_b32_e32 v12, s10
	s_xor_b64 exec, exec, s[6:7]
	s_cbranch_execnz .LBB6_2712
.LBB6_662:
	s_or_b64 exec, exec, s[6:7]
	s_and_saveexec_b64 s[6:7], s[4:5]
	s_cbranch_execz .LBB6_664
.LBB6_663:
	v_bfe_u32 v11, v2, 16, 3
	v_ffbh_u32_e32 v14, v11
	v_min_u32_e32 v14, 32, v14
	v_lshrrev_b32_e32 v12, 19, v2
	v_subrev_u32_e32 v15, 28, v14
	v_and_b32_e32 v12, 15, v12
	v_lshlrev_b32_sdwa v15, v15, v2 dst_sel:DWORD dst_unused:UNUSED_PAD src0_sel:DWORD src1_sel:WORD_1
	v_bfe_u32 v13, v2, 19, 4
	v_sub_u32_e32 v14, 29, v14
	v_and_b32_e32 v15, 7, v15
	v_cmp_eq_u16_e32 vcc, 0, v12
	v_cndmask_b32_e32 v11, v11, v15, vcc
	v_cndmask_b32_e32 v12, v13, v14, vcc
	v_lshlrev_b32_e32 v13, 8, v2
	v_mov_b32_e32 v14, 0x3b800000
	v_lshlrev_b32_e32 v11, 20, v11
	v_and_b32_e32 v13, 0x80000000, v13
	v_lshl_add_u32 v12, v12, 23, v14
	v_or3_b32 v12, v13, v12, v11
.LBB6_664:
	s_or_b64 exec, exec, s[6:7]
	s_nop 0
	v_mfma_f32_16x16x4f32 a[0:3], v10, v12, a[0:3]
	s_movk_i32 s4, 0x7f
	v_cmp_gt_i16_sdwa s[6:7], v6, s4 src0_sel:BYTE_3 src1_sel:DWORD
	s_mov_b64 s[4:5], 0
                                        ; implicit-def: $sgpr10
	s_and_saveexec_b64 s[8:9], s[6:7]
	s_xor_b64 s[6:7], exec, s[8:9]
	s_cbranch_execnz .LBB6_2713
; %bb.665:
	s_or_saveexec_b64 s[6:7], s[6:7]
	v_mov_b32_e32 v10, s10
	s_xor_b64 exec, exec, s[6:7]
	s_cbranch_execnz .LBB6_2716
.LBB6_666:
	s_or_b64 exec, exec, s[6:7]
	s_and_saveexec_b64 s[6:7], s[4:5]
	s_cbranch_execz .LBB6_668
.LBB6_667:
	v_bfe_u32 v10, v6, 24, 3
	v_ffbh_u32_e32 v14, v10
	v_min_u32_e32 v14, 32, v14
	v_lshrrev_b32_e32 v12, 27, v6
	v_subrev_u32_e32 v15, 28, v14
	v_and_b32_e32 v11, 0x80000000, v6
	v_and_b32_e32 v12, 15, v12
	v_bfe_u32 v13, v6, 27, 4
	v_lshlrev_b32_sdwa v6, v15, v6 dst_sel:DWORD dst_unused:UNUSED_PAD src0_sel:DWORD src1_sel:BYTE_3
	v_sub_u32_e32 v14, 29, v14
	v_and_b32_e32 v6, 7, v6
	v_cmp_eq_u16_e32 vcc, 0, v12
	v_cndmask_b32_e32 v6, v10, v6, vcc
	v_cndmask_b32_e32 v10, v13, v14, vcc
	v_mov_b32_e32 v12, 0x3b800000
	v_lshlrev_b32_e32 v6, 20, v6
	v_lshl_add_u32 v10, v10, 23, v12
	v_or3_b32 v10, v11, v10, v6
.LBB6_668:
	s_or_b64 exec, exec, s[6:7]
	s_movk_i32 s4, 0x7f
	v_cmp_gt_i16_sdwa s[6:7], v2, s4 src0_sel:BYTE_3 src1_sel:DWORD
	s_mov_b64 s[4:5], 0
                                        ; implicit-def: $sgpr10
	s_and_saveexec_b64 s[8:9], s[6:7]
	s_xor_b64 s[6:7], exec, s[8:9]
	s_cbranch_execnz .LBB6_2717
; %bb.669:
	s_or_saveexec_b64 s[6:7], s[6:7]
	v_mov_b32_e32 v6, s10
	s_xor_b64 exec, exec, s[6:7]
	s_cbranch_execnz .LBB6_2720
.LBB6_670:
	s_or_b64 exec, exec, s[6:7]
	s_and_saveexec_b64 s[6:7], s[4:5]
	s_cbranch_execz .LBB6_672
.LBB6_671:
	v_bfe_u32 v6, v2, 24, 3
	v_ffbh_u32_e32 v14, v6
	v_min_u32_e32 v14, 32, v14
	v_lshrrev_b32_e32 v12, 27, v2
	v_subrev_u32_e32 v15, 28, v14
	v_and_b32_e32 v11, 0x80000000, v2
	v_and_b32_e32 v12, 15, v12
	v_bfe_u32 v13, v2, 27, 4
	v_lshlrev_b32_sdwa v2, v15, v2 dst_sel:DWORD dst_unused:UNUSED_PAD src0_sel:DWORD src1_sel:BYTE_3
	v_sub_u32_e32 v14, 29, v14
	v_and_b32_e32 v2, 7, v2
	v_cmp_eq_u16_e32 vcc, 0, v12
	v_cndmask_b32_e32 v2, v6, v2, vcc
	v_cndmask_b32_e32 v6, v13, v14, vcc
	v_mov_b32_e32 v12, 0x3b800000
	v_lshlrev_b32_e32 v2, 20, v2
	v_lshl_add_u32 v6, v6, 23, v12
	v_or3_b32 v6, v11, v6, v2
.LBB6_672:
	s_or_b64 exec, exec, s[6:7]
	s_nop 0
	v_mfma_f32_16x16x4f32 a[0:3], v10, v6, a[0:3]
	s_movk_i32 s4, 0x7f
	v_cmp_gt_i16_sdwa s[6:7], v7, s4 src0_sel:BYTE_0 src1_sel:DWORD
	s_mov_b64 s[4:5], 0
                                        ; implicit-def: $sgpr10
	s_and_saveexec_b64 s[8:9], s[6:7]
	s_xor_b64 s[6:7], exec, s[8:9]
	s_cbranch_execnz .LBB6_2721
; %bb.673:
	s_or_saveexec_b64 s[6:7], s[6:7]
	v_mov_b32_e32 v2, s10
	s_xor_b64 exec, exec, s[6:7]
	s_cbranch_execnz .LBB6_2724
.LBB6_674:
	s_or_b64 exec, exec, s[6:7]
	s_and_saveexec_b64 s[6:7], s[4:5]
	s_cbranch_execz .LBB6_676
.LBB6_675:
	v_and_b32_e32 v2, 7, v7
	v_ffbh_u32_e32 v10, v2
	v_min_u32_e32 v10, 32, v10
	v_lshrrev_b16_e32 v6, 3, v7
	v_subrev_u32_e32 v11, 28, v10
	v_and_b32_e32 v6, 15, v6
	v_lshlrev_b32_e32 v11, v11, v7
	v_sub_u32_e32 v10, 29, v10
	v_and_b32_e32 v11, 7, v11
	v_cmp_eq_u16_e32 vcc, 0, v6
	v_cndmask_b32_e32 v2, v2, v11, vcc
	v_cndmask_b32_e32 v6, v6, v10, vcc
	v_lshlrev_b32_e32 v10, 24, v7
	v_mov_b32_e32 v11, 0x3b800000
	v_lshlrev_b32_e32 v2, 20, v2
	v_and_b32_e32 v10, 0x80000000, v10
	v_lshl_add_u32 v6, v6, 23, v11
	v_or3_b32 v2, v10, v6, v2
.LBB6_676:
	s_or_b64 exec, exec, s[6:7]
	s_movk_i32 s4, 0x7f
	v_cmp_gt_i16_sdwa s[6:7], v3, s4 src0_sel:BYTE_0 src1_sel:DWORD
	s_mov_b64 s[4:5], 0
                                        ; implicit-def: $sgpr10
	s_and_saveexec_b64 s[8:9], s[6:7]
	s_xor_b64 s[6:7], exec, s[8:9]
	s_cbranch_execnz .LBB6_2725
; %bb.677:
	s_or_saveexec_b64 s[6:7], s[6:7]
	v_mov_b32_e32 v6, s10
	s_xor_b64 exec, exec, s[6:7]
	s_cbranch_execnz .LBB6_2728
.LBB6_678:
	s_or_b64 exec, exec, s[6:7]
	s_and_saveexec_b64 s[6:7], s[4:5]
	s_cbranch_execz .LBB6_680
.LBB6_679:
	v_and_b32_e32 v6, 7, v3
	v_ffbh_u32_e32 v11, v6
	v_min_u32_e32 v11, 32, v11
	v_lshrrev_b16_e32 v10, 3, v3
	v_subrev_u32_e32 v12, 28, v11
	v_and_b32_e32 v10, 15, v10
	v_lshlrev_b32_e32 v12, v12, v3
	v_sub_u32_e32 v11, 29, v11
	v_and_b32_e32 v12, 7, v12
	v_cmp_eq_u16_e32 vcc, 0, v10
	v_cndmask_b32_e32 v6, v6, v12, vcc
	v_cndmask_b32_e32 v10, v10, v11, vcc
	v_lshlrev_b32_e32 v11, 24, v3
	v_mov_b32_e32 v12, 0x3b800000
	v_lshlrev_b32_e32 v6, 20, v6
	v_and_b32_e32 v11, 0x80000000, v11
	v_lshl_add_u32 v10, v10, 23, v12
	v_or3_b32 v6, v11, v10, v6
.LBB6_680:
	s_or_b64 exec, exec, s[6:7]
	s_nop 0
	v_mfma_f32_16x16x4f32 a[0:3], v2, v6, a[0:3]
	v_lshrrev_b32_e32 v6, 8, v7
	s_movk_i32 s4, 0x7f
	v_cmp_gt_i16_sdwa s[6:7], v6, s4 src0_sel:BYTE_0 src1_sel:DWORD
	s_mov_b64 s[4:5], 0
                                        ; implicit-def: $sgpr10
	s_and_saveexec_b64 s[8:9], s[6:7]
	s_xor_b64 s[6:7], exec, s[8:9]
	s_cbranch_execnz .LBB6_2729
; %bb.681:
	s_or_saveexec_b64 s[6:7], s[6:7]
	v_mov_b32_e32 v2, s10
	s_xor_b64 exec, exec, s[6:7]
	s_cbranch_execnz .LBB6_2732
.LBB6_682:
	s_or_b64 exec, exec, s[6:7]
	s_and_saveexec_b64 s[6:7], s[4:5]
	s_cbranch_execz .LBB6_684
.LBB6_683:
	v_bfe_u32 v2, v7, 8, 3
	v_ffbh_u32_e32 v11, v2
	v_min_u32_e32 v11, 32, v11
	v_lshrrev_b16_e32 v10, 3, v6
	v_subrev_u32_e32 v12, 28, v11
	v_and_b32_e32 v10, 15, v10
	v_lshlrev_b32_e32 v6, v12, v6
	v_sub_u32_e32 v11, 29, v11
	v_and_b32_e32 v6, 7, v6
	v_cmp_eq_u16_e32 vcc, 0, v10
	v_cndmask_b32_e32 v2, v2, v6, vcc
	v_cndmask_b32_e32 v6, v10, v11, vcc
	v_lshlrev_b32_e32 v10, 16, v7
	v_mov_b32_e32 v11, 0x3b800000
	v_lshlrev_b32_e32 v2, 20, v2
	v_and_b32_e32 v10, 0x80000000, v10
	v_lshl_add_u32 v6, v6, 23, v11
	v_or3_b32 v2, v10, v6, v2
.LBB6_684:
	s_or_b64 exec, exec, s[6:7]
	v_lshrrev_b32_e32 v6, 8, v3
	s_movk_i32 s4, 0x7f
	v_cmp_gt_i16_sdwa s[6:7], v6, s4 src0_sel:BYTE_0 src1_sel:DWORD
	s_mov_b64 s[4:5], 0
                                        ; implicit-def: $sgpr10
	s_and_saveexec_b64 s[8:9], s[6:7]
	s_xor_b64 s[6:7], exec, s[8:9]
	s_cbranch_execnz .LBB6_2733
; %bb.685:
	s_or_saveexec_b64 s[6:7], s[6:7]
	v_mov_b32_e32 v10, s10
	s_xor_b64 exec, exec, s[6:7]
	s_cbranch_execnz .LBB6_2736
.LBB6_686:
	s_or_b64 exec, exec, s[6:7]
	s_and_saveexec_b64 s[6:7], s[4:5]
	s_cbranch_execz .LBB6_688
.LBB6_687:
	v_bfe_u32 v10, v3, 8, 3
	v_ffbh_u32_e32 v12, v10
	v_min_u32_e32 v12, 32, v12
	v_lshrrev_b16_e32 v11, 3, v6
	v_subrev_u32_e32 v13, 28, v12
	v_and_b32_e32 v11, 15, v11
	v_lshlrev_b32_e32 v6, v13, v6
	v_sub_u32_e32 v12, 29, v12
	v_and_b32_e32 v6, 7, v6
	v_cmp_eq_u16_e32 vcc, 0, v11
	v_cndmask_b32_e32 v6, v10, v6, vcc
	v_cndmask_b32_e32 v10, v11, v12, vcc
	v_lshlrev_b32_e32 v11, 16, v3
	v_mov_b32_e32 v12, 0x3b800000
	v_lshlrev_b32_e32 v6, 20, v6
	v_and_b32_e32 v11, 0x80000000, v11
	v_lshl_add_u32 v10, v10, 23, v12
	v_or3_b32 v10, v11, v10, v6
.LBB6_688:
	s_or_b64 exec, exec, s[6:7]
	s_nop 0
	v_mfma_f32_16x16x4f32 a[0:3], v2, v10, a[0:3]
	s_movk_i32 s4, 0xff
	v_and_b32_sdwa v6, v7, s4 dst_sel:DWORD dst_unused:UNUSED_PAD src0_sel:WORD_1 src1_sel:DWORD
	s_movk_i32 s4, 0x7f
	v_cmp_lt_i16_e32 vcc, s4, v6
	s_mov_b64 s[4:5], 0
                                        ; implicit-def: $sgpr10
	s_and_saveexec_b64 s[6:7], vcc
	s_xor_b64 s[6:7], exec, s[6:7]
	s_cbranch_execnz .LBB6_2737
; %bb.689:
	s_or_saveexec_b64 s[6:7], s[6:7]
	v_mov_b32_e32 v2, s10
	s_xor_b64 exec, exec, s[6:7]
	s_cbranch_execnz .LBB6_2740
.LBB6_690:
	s_or_b64 exec, exec, s[6:7]
	s_and_saveexec_b64 s[6:7], s[4:5]
	s_cbranch_execz .LBB6_692
.LBB6_691:
	v_bfe_u32 v2, v7, 16, 3
	v_ffbh_u32_e32 v11, v2
	v_min_u32_e32 v11, 32, v11
	v_lshrrev_b32_e32 v6, 19, v7
	v_subrev_u32_e32 v12, 28, v11
	v_and_b32_e32 v6, 15, v6
	v_lshlrev_b32_sdwa v12, v12, v7 dst_sel:DWORD dst_unused:UNUSED_PAD src0_sel:DWORD src1_sel:WORD_1
	v_bfe_u32 v10, v7, 19, 4
	v_sub_u32_e32 v11, 29, v11
	v_and_b32_e32 v12, 7, v12
	v_cmp_eq_u16_e32 vcc, 0, v6
	v_cndmask_b32_e32 v2, v2, v12, vcc
	v_cndmask_b32_e32 v6, v10, v11, vcc
	v_lshlrev_b32_e32 v10, 8, v7
	v_mov_b32_e32 v11, 0x3b800000
	v_lshlrev_b32_e32 v2, 20, v2
	v_and_b32_e32 v10, 0x80000000, v10
	v_lshl_add_u32 v6, v6, 23, v11
	v_or3_b32 v2, v10, v6, v2
.LBB6_692:
	s_or_b64 exec, exec, s[6:7]
	s_movk_i32 s4, 0xff
	v_and_b32_sdwa v6, v3, s4 dst_sel:DWORD dst_unused:UNUSED_PAD src0_sel:WORD_1 src1_sel:DWORD
	s_movk_i32 s4, 0x7f
	v_cmp_lt_i16_e32 vcc, s4, v6
	s_mov_b64 s[4:5], 0
                                        ; implicit-def: $sgpr10
	s_and_saveexec_b64 s[6:7], vcc
	s_xor_b64 s[6:7], exec, s[6:7]
	s_cbranch_execnz .LBB6_2741
; %bb.693:
	s_or_saveexec_b64 s[6:7], s[6:7]
	v_mov_b32_e32 v10, s10
	s_xor_b64 exec, exec, s[6:7]
	s_cbranch_execnz .LBB6_2744
.LBB6_694:
	s_or_b64 exec, exec, s[6:7]
	s_and_saveexec_b64 s[6:7], s[4:5]
	s_cbranch_execz .LBB6_696
.LBB6_695:
	v_bfe_u32 v6, v3, 16, 3
	v_ffbh_u32_e32 v12, v6
	v_min_u32_e32 v12, 32, v12
	v_lshrrev_b32_e32 v10, 19, v3
	v_subrev_u32_e32 v13, 28, v12
	v_and_b32_e32 v10, 15, v10
	v_lshlrev_b32_sdwa v13, v13, v3 dst_sel:DWORD dst_unused:UNUSED_PAD src0_sel:DWORD src1_sel:WORD_1
	v_bfe_u32 v11, v3, 19, 4
	v_sub_u32_e32 v12, 29, v12
	v_and_b32_e32 v13, 7, v13
	v_cmp_eq_u16_e32 vcc, 0, v10
	v_cndmask_b32_e32 v6, v6, v13, vcc
	v_cndmask_b32_e32 v10, v11, v12, vcc
	v_lshlrev_b32_e32 v11, 8, v3
	v_mov_b32_e32 v12, 0x3b800000
	v_lshlrev_b32_e32 v6, 20, v6
	v_and_b32_e32 v11, 0x80000000, v11
	v_lshl_add_u32 v10, v10, 23, v12
	v_or3_b32 v10, v11, v10, v6
.LBB6_696:
	s_or_b64 exec, exec, s[6:7]
	s_nop 0
	v_mfma_f32_16x16x4f32 a[0:3], v2, v10, a[0:3]
	s_movk_i32 s4, 0x7f
	v_cmp_gt_i16_sdwa s[6:7], v7, s4 src0_sel:BYTE_3 src1_sel:DWORD
	s_mov_b64 s[4:5], 0
                                        ; implicit-def: $sgpr10
	s_and_saveexec_b64 s[8:9], s[6:7]
	s_xor_b64 s[6:7], exec, s[8:9]
	s_cbranch_execnz .LBB6_2745
; %bb.697:
	s_or_saveexec_b64 s[6:7], s[6:7]
	v_mov_b32_e32 v2, s10
	s_xor_b64 exec, exec, s[6:7]
	s_cbranch_execnz .LBB6_2748
.LBB6_698:
	s_or_b64 exec, exec, s[6:7]
	s_and_saveexec_b64 s[6:7], s[4:5]
	s_cbranch_execz .LBB6_700
.LBB6_699:
	v_bfe_u32 v2, v7, 24, 3
	v_ffbh_u32_e32 v12, v2
	v_min_u32_e32 v12, 32, v12
	v_lshrrev_b32_e32 v10, 27, v7
	v_subrev_u32_e32 v13, 28, v12
	v_and_b32_e32 v6, 0x80000000, v7
	v_and_b32_e32 v10, 15, v10
	v_bfe_u32 v11, v7, 27, 4
	v_lshlrev_b32_sdwa v7, v13, v7 dst_sel:DWORD dst_unused:UNUSED_PAD src0_sel:DWORD src1_sel:BYTE_3
	v_sub_u32_e32 v12, 29, v12
	v_and_b32_e32 v7, 7, v7
	v_cmp_eq_u16_e32 vcc, 0, v10
	v_cndmask_b32_e32 v2, v2, v7, vcc
	v_cndmask_b32_e32 v7, v11, v12, vcc
	v_mov_b32_e32 v10, 0x3b800000
	v_lshlrev_b32_e32 v2, 20, v2
	v_lshl_add_u32 v7, v7, 23, v10
	v_or3_b32 v2, v6, v7, v2
.LBB6_700:
	s_or_b64 exec, exec, s[6:7]
	s_movk_i32 s4, 0x7f
	v_cmp_gt_i16_sdwa s[6:7], v3, s4 src0_sel:BYTE_3 src1_sel:DWORD
	s_mov_b64 s[4:5], 0
                                        ; implicit-def: $sgpr10
	s_and_saveexec_b64 s[8:9], s[6:7]
	s_xor_b64 s[6:7], exec, s[8:9]
	s_cbranch_execnz .LBB6_2749
; %bb.701:
	s_or_saveexec_b64 s[6:7], s[6:7]
	v_mov_b32_e32 v6, s10
	s_xor_b64 exec, exec, s[6:7]
	s_cbranch_execnz .LBB6_2752
.LBB6_702:
	s_or_b64 exec, exec, s[6:7]
	s_and_saveexec_b64 s[6:7], s[4:5]
	s_cbranch_execz .LBB6_704
.LBB6_703:
	v_bfe_u32 v6, v3, 24, 3
	v_ffbh_u32_e32 v12, v6
	v_min_u32_e32 v12, 32, v12
	v_lshrrev_b32_e32 v10, 27, v3
	v_subrev_u32_e32 v13, 28, v12
	v_and_b32_e32 v7, 0x80000000, v3
	v_and_b32_e32 v10, 15, v10
	v_bfe_u32 v11, v3, 27, 4
	v_lshlrev_b32_sdwa v3, v13, v3 dst_sel:DWORD dst_unused:UNUSED_PAD src0_sel:DWORD src1_sel:BYTE_3
	v_sub_u32_e32 v12, 29, v12
	v_and_b32_e32 v3, 7, v3
	v_cmp_eq_u16_e32 vcc, 0, v10
	v_cndmask_b32_e32 v3, v6, v3, vcc
	v_cndmask_b32_e32 v6, v11, v12, vcc
	v_mov_b32_e32 v10, 0x3b800000
	v_lshlrev_b32_e32 v3, 20, v3
	v_lshl_add_u32 v6, v6, 23, v10
	v_or3_b32 v6, v7, v6, v3
.LBB6_704:
	s_or_b64 exec, exec, s[6:7]
	s_nop 0
	v_mfma_f32_16x16x4f32 a[0:3], v2, v6, a[0:3]
	s_movk_i32 s4, 0x7f
	v_cmp_gt_i16_sdwa s[6:7], v8, s4 src0_sel:BYTE_0 src1_sel:DWORD
	s_mov_b64 s[4:5], 0
                                        ; implicit-def: $sgpr10
	s_and_saveexec_b64 s[8:9], s[6:7]
	s_xor_b64 s[6:7], exec, s[8:9]
	s_cbranch_execnz .LBB6_2753
; %bb.705:
	s_or_saveexec_b64 s[6:7], s[6:7]
	v_mov_b32_e32 v2, s10
	s_xor_b64 exec, exec, s[6:7]
	s_cbranch_execnz .LBB6_2756
.LBB6_706:
	s_or_b64 exec, exec, s[6:7]
	s_and_saveexec_b64 s[6:7], s[4:5]
	s_cbranch_execz .LBB6_708
.LBB6_707:
	v_and_b32_e32 v2, 7, v8
	v_ffbh_u32_e32 v6, v2
	v_min_u32_e32 v6, 32, v6
	v_lshrrev_b16_e32 v3, 3, v8
	v_subrev_u32_e32 v7, 28, v6
	v_and_b32_e32 v3, 15, v3
	v_lshlrev_b32_e32 v7, v7, v8
	v_sub_u32_e32 v6, 29, v6
	v_and_b32_e32 v7, 7, v7
	v_cmp_eq_u16_e32 vcc, 0, v3
	v_cndmask_b32_e32 v2, v2, v7, vcc
	v_cndmask_b32_e32 v3, v3, v6, vcc
	v_lshlrev_b32_e32 v6, 24, v8
	v_mov_b32_e32 v7, 0x3b800000
	v_lshlrev_b32_e32 v2, 20, v2
	v_and_b32_e32 v6, 0x80000000, v6
	v_lshl_add_u32 v3, v3, 23, v7
	v_or3_b32 v2, v6, v3, v2
.LBB6_708:
	s_or_b64 exec, exec, s[6:7]
	s_movk_i32 s4, 0x7f
	v_cmp_gt_i16_sdwa s[6:7], v4, s4 src0_sel:BYTE_0 src1_sel:DWORD
	s_mov_b64 s[4:5], 0
                                        ; implicit-def: $sgpr10
	s_and_saveexec_b64 s[8:9], s[6:7]
	s_xor_b64 s[6:7], exec, s[8:9]
	s_cbranch_execnz .LBB6_2757
; %bb.709:
	s_or_saveexec_b64 s[6:7], s[6:7]
	v_mov_b32_e32 v3, s10
	s_xor_b64 exec, exec, s[6:7]
	s_cbranch_execnz .LBB6_2760
.LBB6_710:
	s_or_b64 exec, exec, s[6:7]
	s_and_saveexec_b64 s[6:7], s[4:5]
	s_cbranch_execz .LBB6_712
.LBB6_711:
	v_and_b32_e32 v3, 7, v4
	v_ffbh_u32_e32 v7, v3
	v_min_u32_e32 v7, 32, v7
	v_lshrrev_b16_e32 v6, 3, v4
	v_subrev_u32_e32 v10, 28, v7
	v_and_b32_e32 v6, 15, v6
	v_lshlrev_b32_e32 v10, v10, v4
	v_sub_u32_e32 v7, 29, v7
	v_and_b32_e32 v10, 7, v10
	v_cmp_eq_u16_e32 vcc, 0, v6
	v_cndmask_b32_e32 v3, v3, v10, vcc
	v_cndmask_b32_e32 v6, v6, v7, vcc
	v_lshlrev_b32_e32 v7, 24, v4
	v_mov_b32_e32 v10, 0x3b800000
	v_lshlrev_b32_e32 v3, 20, v3
	v_and_b32_e32 v7, 0x80000000, v7
	v_lshl_add_u32 v6, v6, 23, v10
	v_or3_b32 v3, v7, v6, v3
.LBB6_712:
	s_or_b64 exec, exec, s[6:7]
	s_nop 0
	v_mfma_f32_16x16x4f32 a[0:3], v2, v3, a[0:3]
	v_lshrrev_b32_e32 v3, 8, v8
	s_movk_i32 s4, 0x7f
	v_cmp_gt_i16_sdwa s[6:7], v3, s4 src0_sel:BYTE_0 src1_sel:DWORD
	s_mov_b64 s[4:5], 0
                                        ; implicit-def: $sgpr10
	s_and_saveexec_b64 s[8:9], s[6:7]
	s_xor_b64 s[6:7], exec, s[8:9]
	s_cbranch_execnz .LBB6_2761
; %bb.713:
	s_or_saveexec_b64 s[6:7], s[6:7]
	v_mov_b32_e32 v2, s10
	s_xor_b64 exec, exec, s[6:7]
	s_cbranch_execnz .LBB6_2764
.LBB6_714:
	s_or_b64 exec, exec, s[6:7]
	s_and_saveexec_b64 s[6:7], s[4:5]
	s_cbranch_execz .LBB6_716
.LBB6_715:
	v_bfe_u32 v2, v8, 8, 3
	v_ffbh_u32_e32 v7, v2
	v_min_u32_e32 v7, 32, v7
	v_lshrrev_b16_e32 v6, 3, v3
	v_subrev_u32_e32 v10, 28, v7
	v_and_b32_e32 v6, 15, v6
	v_lshlrev_b32_e32 v3, v10, v3
	v_sub_u32_e32 v7, 29, v7
	v_and_b32_e32 v3, 7, v3
	v_cmp_eq_u16_e32 vcc, 0, v6
	v_cndmask_b32_e32 v2, v2, v3, vcc
	v_cndmask_b32_e32 v3, v6, v7, vcc
	v_lshlrev_b32_e32 v6, 16, v8
	v_mov_b32_e32 v7, 0x3b800000
	v_lshlrev_b32_e32 v2, 20, v2
	v_and_b32_e32 v6, 0x80000000, v6
	v_lshl_add_u32 v3, v3, 23, v7
	v_or3_b32 v2, v6, v3, v2
.LBB6_716:
	s_or_b64 exec, exec, s[6:7]
	v_lshrrev_b32_e32 v3, 8, v4
	s_movk_i32 s4, 0x7f
	v_cmp_gt_i16_sdwa s[6:7], v3, s4 src0_sel:BYTE_0 src1_sel:DWORD
	s_mov_b64 s[4:5], 0
                                        ; implicit-def: $sgpr10
	s_and_saveexec_b64 s[8:9], s[6:7]
	s_xor_b64 s[6:7], exec, s[8:9]
	s_cbranch_execnz .LBB6_2765
; %bb.717:
	s_or_saveexec_b64 s[6:7], s[6:7]
	v_mov_b32_e32 v6, s10
	s_xor_b64 exec, exec, s[6:7]
	s_cbranch_execnz .LBB6_2768
.LBB6_718:
	s_or_b64 exec, exec, s[6:7]
	s_and_saveexec_b64 s[6:7], s[4:5]
	s_cbranch_execz .LBB6_720
.LBB6_719:
	v_bfe_u32 v6, v4, 8, 3
	v_ffbh_u32_e32 v10, v6
	v_min_u32_e32 v10, 32, v10
	v_lshrrev_b16_e32 v7, 3, v3
	v_subrev_u32_e32 v11, 28, v10
	v_and_b32_e32 v7, 15, v7
	v_lshlrev_b32_e32 v3, v11, v3
	v_sub_u32_e32 v10, 29, v10
	v_and_b32_e32 v3, 7, v3
	v_cmp_eq_u16_e32 vcc, 0, v7
	v_cndmask_b32_e32 v3, v6, v3, vcc
	v_cndmask_b32_e32 v6, v7, v10, vcc
	v_lshlrev_b32_e32 v7, 16, v4
	v_mov_b32_e32 v10, 0x3b800000
	v_lshlrev_b32_e32 v3, 20, v3
	v_and_b32_e32 v7, 0x80000000, v7
	v_lshl_add_u32 v6, v6, 23, v10
	v_or3_b32 v6, v7, v6, v3
.LBB6_720:
	s_or_b64 exec, exec, s[6:7]
	s_nop 0
	v_mfma_f32_16x16x4f32 a[0:3], v2, v6, a[0:3]
	s_movk_i32 s4, 0xff
	v_and_b32_sdwa v3, v8, s4 dst_sel:DWORD dst_unused:UNUSED_PAD src0_sel:WORD_1 src1_sel:DWORD
	s_movk_i32 s4, 0x7f
	v_cmp_lt_i16_e32 vcc, s4, v3
	s_mov_b64 s[4:5], 0
                                        ; implicit-def: $sgpr10
	s_and_saveexec_b64 s[6:7], vcc
	s_xor_b64 s[6:7], exec, s[6:7]
	s_cbranch_execnz .LBB6_2769
; %bb.721:
	s_or_saveexec_b64 s[6:7], s[6:7]
	v_mov_b32_e32 v2, s10
	s_xor_b64 exec, exec, s[6:7]
	s_cbranch_execnz .LBB6_2772
.LBB6_722:
	s_or_b64 exec, exec, s[6:7]
	s_and_saveexec_b64 s[6:7], s[4:5]
	s_cbranch_execz .LBB6_724
.LBB6_723:
	v_bfe_u32 v2, v8, 16, 3
	v_ffbh_u32_e32 v7, v2
	v_min_u32_e32 v7, 32, v7
	v_lshrrev_b32_e32 v3, 19, v8
	v_subrev_u32_e32 v10, 28, v7
	v_and_b32_e32 v3, 15, v3
	v_lshlrev_b32_sdwa v10, v10, v8 dst_sel:DWORD dst_unused:UNUSED_PAD src0_sel:DWORD src1_sel:WORD_1
	v_bfe_u32 v6, v8, 19, 4
	v_sub_u32_e32 v7, 29, v7
	v_and_b32_e32 v10, 7, v10
	v_cmp_eq_u16_e32 vcc, 0, v3
	v_cndmask_b32_e32 v2, v2, v10, vcc
	v_cndmask_b32_e32 v3, v6, v7, vcc
	v_lshlrev_b32_e32 v6, 8, v8
	v_mov_b32_e32 v7, 0x3b800000
	v_lshlrev_b32_e32 v2, 20, v2
	v_and_b32_e32 v6, 0x80000000, v6
	v_lshl_add_u32 v3, v3, 23, v7
	v_or3_b32 v2, v6, v3, v2
.LBB6_724:
	s_or_b64 exec, exec, s[6:7]
	s_movk_i32 s4, 0xff
	v_and_b32_sdwa v3, v4, s4 dst_sel:DWORD dst_unused:UNUSED_PAD src0_sel:WORD_1 src1_sel:DWORD
	s_movk_i32 s4, 0x7f
	v_cmp_lt_i16_e32 vcc, s4, v3
	s_mov_b64 s[4:5], 0
                                        ; implicit-def: $sgpr10
	s_and_saveexec_b64 s[6:7], vcc
	s_xor_b64 s[6:7], exec, s[6:7]
	s_cbranch_execnz .LBB6_2773
; %bb.725:
	s_or_saveexec_b64 s[6:7], s[6:7]
	v_mov_b32_e32 v6, s10
	s_xor_b64 exec, exec, s[6:7]
	s_cbranch_execnz .LBB6_2776
.LBB6_726:
	s_or_b64 exec, exec, s[6:7]
	s_and_saveexec_b64 s[6:7], s[4:5]
	s_cbranch_execz .LBB6_728
.LBB6_727:
	v_bfe_u32 v3, v4, 16, 3
	v_ffbh_u32_e32 v10, v3
	v_min_u32_e32 v10, 32, v10
	v_lshrrev_b32_e32 v6, 19, v4
	v_subrev_u32_e32 v11, 28, v10
	v_and_b32_e32 v6, 15, v6
	v_lshlrev_b32_sdwa v11, v11, v4 dst_sel:DWORD dst_unused:UNUSED_PAD src0_sel:DWORD src1_sel:WORD_1
	v_bfe_u32 v7, v4, 19, 4
	v_sub_u32_e32 v10, 29, v10
	v_and_b32_e32 v11, 7, v11
	v_cmp_eq_u16_e32 vcc, 0, v6
	v_cndmask_b32_e32 v3, v3, v11, vcc
	v_cndmask_b32_e32 v6, v7, v10, vcc
	v_lshlrev_b32_e32 v7, 8, v4
	v_mov_b32_e32 v10, 0x3b800000
	v_lshlrev_b32_e32 v3, 20, v3
	v_and_b32_e32 v7, 0x80000000, v7
	v_lshl_add_u32 v6, v6, 23, v10
	v_or3_b32 v6, v7, v6, v3
.LBB6_728:
	s_or_b64 exec, exec, s[6:7]
	s_nop 0
	v_mfma_f32_16x16x4f32 a[0:3], v2, v6, a[0:3]
	s_movk_i32 s4, 0x7f
	v_cmp_gt_i16_sdwa s[6:7], v8, s4 src0_sel:BYTE_3 src1_sel:DWORD
	s_mov_b64 s[4:5], 0
                                        ; implicit-def: $sgpr10
	s_and_saveexec_b64 s[8:9], s[6:7]
	s_xor_b64 s[6:7], exec, s[8:9]
	s_cbranch_execnz .LBB6_2777
; %bb.729:
	s_or_saveexec_b64 s[6:7], s[6:7]
	v_mov_b32_e32 v2, s10
	s_xor_b64 exec, exec, s[6:7]
	s_cbranch_execnz .LBB6_2780
.LBB6_730:
	s_or_b64 exec, exec, s[6:7]
	s_and_saveexec_b64 s[6:7], s[4:5]
	s_cbranch_execz .LBB6_732
.LBB6_731:
	v_bfe_u32 v2, v8, 24, 3
	v_ffbh_u32_e32 v10, v2
	v_min_u32_e32 v10, 32, v10
	v_lshrrev_b32_e32 v6, 27, v8
	v_subrev_u32_e32 v11, 28, v10
	v_and_b32_e32 v3, 0x80000000, v8
	v_and_b32_e32 v6, 15, v6
	v_bfe_u32 v7, v8, 27, 4
	v_lshlrev_b32_sdwa v8, v11, v8 dst_sel:DWORD dst_unused:UNUSED_PAD src0_sel:DWORD src1_sel:BYTE_3
	v_sub_u32_e32 v10, 29, v10
	v_and_b32_e32 v8, 7, v8
	v_cmp_eq_u16_e32 vcc, 0, v6
	v_cndmask_b32_e32 v2, v2, v8, vcc
	v_cndmask_b32_e32 v6, v7, v10, vcc
	v_mov_b32_e32 v7, 0x3b800000
	v_lshlrev_b32_e32 v2, 20, v2
	v_lshl_add_u32 v6, v6, 23, v7
	v_or3_b32 v2, v3, v6, v2
.LBB6_732:
	s_or_b64 exec, exec, s[6:7]
	s_movk_i32 s4, 0x7f
	v_cmp_gt_i16_sdwa s[6:7], v4, s4 src0_sel:BYTE_3 src1_sel:DWORD
	s_mov_b64 s[4:5], 0
                                        ; implicit-def: $sgpr10
	s_and_saveexec_b64 s[8:9], s[6:7]
	s_xor_b64 s[6:7], exec, s[8:9]
	s_cbranch_execnz .LBB6_2781
; %bb.733:
	s_or_saveexec_b64 s[6:7], s[6:7]
	v_mov_b32_e32 v3, s10
	s_xor_b64 exec, exec, s[6:7]
	s_cbranch_execnz .LBB6_2784
.LBB6_734:
	s_or_b64 exec, exec, s[6:7]
	s_and_saveexec_b64 s[6:7], s[4:5]
	s_cbranch_execz .LBB6_736
.LBB6_735:
	v_bfe_u32 v3, v4, 24, 3
	v_ffbh_u32_e32 v10, v3
	v_min_u32_e32 v10, 32, v10
	v_lshrrev_b32_e32 v7, 27, v4
	v_subrev_u32_e32 v11, 28, v10
	v_and_b32_e32 v6, 0x80000000, v4
	v_and_b32_e32 v7, 15, v7
	v_bfe_u32 v8, v4, 27, 4
	v_lshlrev_b32_sdwa v4, v11, v4 dst_sel:DWORD dst_unused:UNUSED_PAD src0_sel:DWORD src1_sel:BYTE_3
	v_sub_u32_e32 v10, 29, v10
	v_and_b32_e32 v4, 7, v4
	v_cmp_eq_u16_e32 vcc, 0, v7
	v_cndmask_b32_e32 v3, v3, v4, vcc
	v_cndmask_b32_e32 v4, v8, v10, vcc
	v_mov_b32_e32 v7, 0x3b800000
	v_lshlrev_b32_e32 v3, 20, v3
	v_lshl_add_u32 v4, v4, 23, v7
	v_or3_b32 v3, v6, v4, v3
.LBB6_736:
	s_or_b64 exec, exec, s[6:7]
	s_nop 0
	v_mfma_f32_16x16x4f32 a[0:3], v2, v3, a[0:3]
	s_movk_i32 s4, 0x7f
	v_cmp_gt_i16_sdwa s[6:7], v9, s4 src0_sel:BYTE_0 src1_sel:DWORD
	s_mov_b64 s[4:5], 0
                                        ; implicit-def: $sgpr10
	s_and_saveexec_b64 s[8:9], s[6:7]
	s_xor_b64 s[6:7], exec, s[8:9]
	s_cbranch_execnz .LBB6_2785
; %bb.737:
	s_or_saveexec_b64 s[6:7], s[6:7]
	v_mov_b32_e32 v2, s10
	s_xor_b64 exec, exec, s[6:7]
	s_cbranch_execnz .LBB6_2788
.LBB6_738:
	s_or_b64 exec, exec, s[6:7]
	s_and_saveexec_b64 s[6:7], s[4:5]
	s_cbranch_execz .LBB6_740
.LBB6_739:
	v_mov_b32_e32 v2, 8
	v_and_b32_e32 v3, 7, v9
	v_lshrrev_b32_sdwa v2, v2, v9 dst_sel:BYTE_1 dst_unused:UNUSED_PAD src0_sel:DWORD src1_sel:DWORD
	v_ffbh_u32_e32 v4, v3
	v_or_b32_sdwa v2, v9, v2 dst_sel:DWORD dst_unused:UNUSED_PAD src0_sel:BYTE_0 src1_sel:DWORD
	v_min_u32_e32 v4, 32, v4
	v_lshrrev_b16_e32 v2, 3, v2
	v_subrev_u32_e32 v6, 28, v4
	v_and_b32_e32 v2, 15, v2
	v_lshlrev_b32_e32 v6, v6, v9
	v_sub_u32_e32 v4, 29, v4
	v_and_b32_e32 v6, 7, v6
	v_cmp_eq_u16_e32 vcc, 0, v2
	v_cndmask_b32_e32 v3, v3, v6, vcc
	v_cndmask_b32_e32 v2, v2, v4, vcc
	v_lshlrev_b32_e32 v4, 24, v9
	v_mov_b32_e32 v6, 0x3b800000
	v_lshlrev_b32_e32 v3, 20, v3
	v_and_b32_e32 v4, 0x80000000, v4
	v_lshl_add_u32 v2, v2, 23, v6
	v_or3_b32 v2, v4, v2, v3
.LBB6_740:
	s_or_b64 exec, exec, s[6:7]
	s_movk_i32 s4, 0x7f
	v_cmp_gt_i16_sdwa s[6:7], v5, s4 src0_sel:BYTE_0 src1_sel:DWORD
	s_mov_b64 s[4:5], 0
                                        ; implicit-def: $sgpr10
	s_and_saveexec_b64 s[8:9], s[6:7]
	s_xor_b64 s[6:7], exec, s[8:9]
	s_cbranch_execnz .LBB6_2789
; %bb.741:
	s_or_saveexec_b64 s[6:7], s[6:7]
	v_mov_b32_e32 v3, s10
	s_xor_b64 exec, exec, s[6:7]
	s_cbranch_execnz .LBB6_2792
.LBB6_742:
	s_or_b64 exec, exec, s[6:7]
	s_and_saveexec_b64 s[6:7], s[4:5]
	s_cbranch_execz .LBB6_744
.LBB6_743:
	v_mov_b32_e32 v3, 8
	v_and_b32_e32 v4, 7, v5
	v_lshrrev_b32_sdwa v3, v3, v5 dst_sel:BYTE_1 dst_unused:UNUSED_PAD src0_sel:DWORD src1_sel:DWORD
	v_ffbh_u32_e32 v6, v4
	v_or_b32_sdwa v3, v5, v3 dst_sel:DWORD dst_unused:UNUSED_PAD src0_sel:BYTE_0 src1_sel:DWORD
	v_min_u32_e32 v6, 32, v6
	v_lshrrev_b16_e32 v3, 3, v3
	v_subrev_u32_e32 v7, 28, v6
	v_and_b32_e32 v3, 15, v3
	v_lshlrev_b32_e32 v7, v7, v5
	v_sub_u32_e32 v6, 29, v6
	v_and_b32_e32 v7, 7, v7
	v_cmp_eq_u16_e32 vcc, 0, v3
	v_cndmask_b32_e32 v4, v4, v7, vcc
	v_cndmask_b32_e32 v3, v3, v6, vcc
	v_lshlrev_b32_e32 v6, 24, v5
	v_mov_b32_e32 v7, 0x3b800000
	v_lshlrev_b32_e32 v4, 20, v4
	v_and_b32_e32 v6, 0x80000000, v6
	v_lshl_add_u32 v3, v3, 23, v7
	v_or3_b32 v3, v6, v3, v4
.LBB6_744:
	s_or_b64 exec, exec, s[6:7]
	s_nop 0
	v_mfma_f32_16x16x4f32 a[0:3], v2, v3, a[0:3]
	v_lshrrev_b32_e32 v3, 8, v9
	s_movk_i32 s4, 0x7f
	v_cmp_gt_i16_sdwa s[6:7], v3, s4 src0_sel:BYTE_0 src1_sel:DWORD
	s_mov_b64 s[4:5], 0
                                        ; implicit-def: $sgpr10
	s_and_saveexec_b64 s[8:9], s[6:7]
	s_xor_b64 s[6:7], exec, s[8:9]
	s_cbranch_execnz .LBB6_2793
; %bb.745:
	s_or_saveexec_b64 s[6:7], s[6:7]
	v_mov_b32_e32 v2, s10
	s_xor_b64 exec, exec, s[6:7]
	s_cbranch_execnz .LBB6_2796
.LBB6_746:
	s_or_b64 exec, exec, s[6:7]
	s_and_saveexec_b64 s[6:7], s[4:5]
	s_cbranch_execz .LBB6_748
.LBB6_747:
	v_bfe_u32 v2, v9, 8, 3
	v_ffbh_u32_e32 v6, v2
	v_min_u32_e32 v6, 32, v6
	v_lshrrev_b16_e32 v4, 3, v3
	v_subrev_u32_e32 v7, 28, v6
	v_and_b32_e32 v4, 15, v4
	v_lshlrev_b32_e32 v3, v7, v3
	v_sub_u32_e32 v6, 29, v6
	v_and_b32_e32 v3, 7, v3
	v_cmp_eq_u16_e32 vcc, 0, v4
	v_cndmask_b32_e32 v2, v2, v3, vcc
	v_cndmask_b32_e32 v3, v4, v6, vcc
	v_lshlrev_b32_e32 v4, 16, v9
	v_mov_b32_e32 v6, 0x3b800000
	v_lshlrev_b32_e32 v2, 20, v2
	v_and_b32_e32 v4, 0x80000000, v4
	v_lshl_add_u32 v3, v3, 23, v6
	v_or3_b32 v2, v4, v3, v2
.LBB6_748:
	s_or_b64 exec, exec, s[6:7]
	v_lshrrev_b32_e32 v3, 8, v5
	s_movk_i32 s4, 0x7f
	v_cmp_gt_i16_sdwa s[6:7], v3, s4 src0_sel:BYTE_0 src1_sel:DWORD
	s_mov_b64 s[4:5], 0
                                        ; implicit-def: $sgpr10
	s_and_saveexec_b64 s[8:9], s[6:7]
	s_xor_b64 s[6:7], exec, s[8:9]
	s_cbranch_execnz .LBB6_2797
; %bb.749:
	s_or_saveexec_b64 s[6:7], s[6:7]
	v_mov_b32_e32 v4, s10
	s_xor_b64 exec, exec, s[6:7]
	s_cbranch_execnz .LBB6_2800
.LBB6_750:
	s_or_b64 exec, exec, s[6:7]
	s_and_saveexec_b64 s[6:7], s[4:5]
	s_cbranch_execz .LBB6_752
.LBB6_751:
	v_bfe_u32 v4, v5, 8, 3
	v_ffbh_u32_e32 v7, v4
	v_min_u32_e32 v7, 32, v7
	v_lshrrev_b16_e32 v6, 3, v3
	v_subrev_u32_e32 v8, 28, v7
	v_and_b32_e32 v6, 15, v6
	v_lshlrev_b32_e32 v3, v8, v3
	v_sub_u32_e32 v7, 29, v7
	v_and_b32_e32 v3, 7, v3
	v_cmp_eq_u16_e32 vcc, 0, v6
	v_cndmask_b32_e32 v3, v4, v3, vcc
	v_cndmask_b32_e32 v4, v6, v7, vcc
	v_lshlrev_b32_e32 v6, 16, v5
	v_mov_b32_e32 v7, 0x3b800000
	v_lshlrev_b32_e32 v3, 20, v3
	v_and_b32_e32 v6, 0x80000000, v6
	v_lshl_add_u32 v4, v4, 23, v7
	v_or3_b32 v4, v6, v4, v3
.LBB6_752:
	s_or_b64 exec, exec, s[6:7]
	s_nop 0
	v_mfma_f32_16x16x4f32 a[0:3], v2, v4, a[0:3]
	s_movk_i32 s4, 0xff
	v_and_b32_sdwa v3, v9, s4 dst_sel:DWORD dst_unused:UNUSED_PAD src0_sel:WORD_1 src1_sel:DWORD
	s_movk_i32 s4, 0x7f
	v_cmp_lt_i16_e32 vcc, s4, v3
	s_mov_b64 s[4:5], 0
                                        ; implicit-def: $sgpr10
	s_and_saveexec_b64 s[6:7], vcc
	s_xor_b64 s[6:7], exec, s[6:7]
	s_cbranch_execnz .LBB6_2801
; %bb.753:
	s_or_saveexec_b64 s[6:7], s[6:7]
	v_mov_b32_e32 v2, s10
	s_xor_b64 exec, exec, s[6:7]
	s_cbranch_execnz .LBB6_2804
.LBB6_754:
	s_or_b64 exec, exec, s[6:7]
	s_and_saveexec_b64 s[6:7], s[4:5]
	s_cbranch_execz .LBB6_756
.LBB6_755:
	v_bfe_u32 v2, v9, 16, 3
	v_ffbh_u32_e32 v6, v2
	v_min_u32_e32 v6, 32, v6
	v_lshrrev_b32_e32 v3, 19, v9
	v_subrev_u32_e32 v7, 28, v6
	v_and_b32_e32 v3, 15, v3
	v_lshlrev_b32_sdwa v7, v7, v9 dst_sel:DWORD dst_unused:UNUSED_PAD src0_sel:DWORD src1_sel:WORD_1
	v_bfe_u32 v4, v9, 19, 4
	v_sub_u32_e32 v6, 29, v6
	v_and_b32_e32 v7, 7, v7
	v_cmp_eq_u16_e32 vcc, 0, v3
	v_cndmask_b32_e32 v2, v2, v7, vcc
	v_cndmask_b32_e32 v3, v4, v6, vcc
	v_lshlrev_b32_e32 v4, 8, v9
	v_mov_b32_e32 v6, 0x3b800000
	v_lshlrev_b32_e32 v2, 20, v2
	v_and_b32_e32 v4, 0x80000000, v4
	v_lshl_add_u32 v3, v3, 23, v6
	v_or3_b32 v2, v4, v3, v2
.LBB6_756:
	s_or_b64 exec, exec, s[6:7]
	s_movk_i32 s4, 0xff
	v_and_b32_sdwa v3, v5, s4 dst_sel:DWORD dst_unused:UNUSED_PAD src0_sel:WORD_1 src1_sel:DWORD
	s_movk_i32 s4, 0x7f
	v_cmp_lt_i16_e32 vcc, s4, v3
	s_mov_b64 s[4:5], 0
                                        ; implicit-def: $sgpr10
	s_and_saveexec_b64 s[6:7], vcc
	s_xor_b64 s[6:7], exec, s[6:7]
	s_cbranch_execnz .LBB6_2805
; %bb.757:
	s_or_saveexec_b64 s[6:7], s[6:7]
	v_mov_b32_e32 v4, s10
	s_xor_b64 exec, exec, s[6:7]
	s_cbranch_execnz .LBB6_2808
.LBB6_758:
	s_or_b64 exec, exec, s[6:7]
	s_and_saveexec_b64 s[6:7], s[4:5]
	s_cbranch_execz .LBB6_760
.LBB6_759:
	v_bfe_u32 v3, v5, 16, 3
	v_ffbh_u32_e32 v7, v3
	v_min_u32_e32 v7, 32, v7
	v_lshrrev_b32_e32 v4, 19, v5
	v_subrev_u32_e32 v8, 28, v7
	v_and_b32_e32 v4, 15, v4
	v_lshlrev_b32_sdwa v8, v8, v5 dst_sel:DWORD dst_unused:UNUSED_PAD src0_sel:DWORD src1_sel:WORD_1
	v_bfe_u32 v6, v5, 19, 4
	v_sub_u32_e32 v7, 29, v7
	v_and_b32_e32 v8, 7, v8
	v_cmp_eq_u16_e32 vcc, 0, v4
	v_cndmask_b32_e32 v3, v3, v8, vcc
	v_cndmask_b32_e32 v4, v6, v7, vcc
	v_lshlrev_b32_e32 v6, 8, v5
	v_mov_b32_e32 v7, 0x3b800000
	v_lshlrev_b32_e32 v3, 20, v3
	v_and_b32_e32 v6, 0x80000000, v6
	v_lshl_add_u32 v4, v4, 23, v7
	v_or3_b32 v4, v6, v4, v3
.LBB6_760:
	s_or_b64 exec, exec, s[6:7]
	s_nop 0
	v_mfma_f32_16x16x4f32 a[0:3], v2, v4, a[0:3]
	s_movk_i32 s4, 0x7f
	v_cmp_gt_i16_sdwa s[6:7], v9, s4 src0_sel:BYTE_3 src1_sel:DWORD
	s_mov_b64 s[4:5], 0
                                        ; implicit-def: $sgpr10
	s_and_saveexec_b64 s[8:9], s[6:7]
	s_xor_b64 s[6:7], exec, s[8:9]
	s_cbranch_execnz .LBB6_2809
; %bb.761:
	s_or_saveexec_b64 s[6:7], s[6:7]
	v_mov_b32_e32 v2, s10
	s_xor_b64 exec, exec, s[6:7]
	s_cbranch_execnz .LBB6_2812
.LBB6_762:
	s_or_b64 exec, exec, s[6:7]
	s_and_saveexec_b64 s[6:7], s[4:5]
	s_cbranch_execz .LBB6_764
.LBB6_763:
	v_bfe_u32 v2, v9, 24, 3
	v_ffbh_u32_e32 v7, v2
	v_min_u32_e32 v7, 32, v7
	v_lshrrev_b32_e32 v4, 27, v9
	v_subrev_u32_e32 v8, 28, v7
	v_and_b32_e32 v4, 15, v4
	v_lshlrev_b32_sdwa v8, v8, v9 dst_sel:DWORD dst_unused:UNUSED_PAD src0_sel:DWORD src1_sel:BYTE_3
	v_bfe_u32 v6, v9, 27, 4
	v_sub_u32_e32 v7, 29, v7
	v_and_b32_e32 v8, 7, v8
	v_cmp_eq_u16_e32 vcc, 0, v4
	v_cndmask_b32_e32 v2, v2, v8, vcc
	v_cndmask_b32_e32 v4, v6, v7, vcc
	v_mov_b32_e32 v6, 0x3b800000
	v_and_b32_e32 v3, 0x80000000, v9
	v_lshlrev_b32_e32 v2, 20, v2
	v_lshl_add_u32 v4, v4, 23, v6
	v_or3_b32 v2, v3, v4, v2
.LBB6_764:
	s_or_b64 exec, exec, s[6:7]
	s_movk_i32 s4, 0x7f
	v_cmp_gt_i16_sdwa s[6:7], v5, s4 src0_sel:BYTE_3 src1_sel:DWORD
	s_mov_b64 s[4:5], 0
                                        ; implicit-def: $sgpr10
	s_and_saveexec_b64 s[8:9], s[6:7]
	s_xor_b64 s[6:7], exec, s[8:9]
	s_cbranch_execnz .LBB6_2813
; %bb.765:
	s_or_saveexec_b64 s[6:7], s[6:7]
	v_mov_b32_e32 v3, s10
	s_xor_b64 exec, exec, s[6:7]
	s_cbranch_execnz .LBB6_2816
.LBB6_766:
	s_or_b64 exec, exec, s[6:7]
	s_and_saveexec_b64 s[6:7], s[4:5]
	s_cbranch_execz .LBB6_768
.LBB6_767:
	v_bfe_u32 v3, v5, 24, 3
	v_ffbh_u32_e32 v8, v3
	v_min_u32_e32 v8, 32, v8
	v_lshrrev_b32_e32 v6, 27, v5
	v_subrev_u32_e32 v9, 28, v8
	v_and_b32_e32 v4, 0x80000000, v5
	v_and_b32_e32 v6, 15, v6
	v_bfe_u32 v7, v5, 27, 4
	v_lshlrev_b32_sdwa v5, v9, v5 dst_sel:DWORD dst_unused:UNUSED_PAD src0_sel:DWORD src1_sel:BYTE_3
	v_sub_u32_e32 v8, 29, v8
	v_and_b32_e32 v5, 7, v5
	v_cmp_eq_u16_e32 vcc, 0, v6
	v_cndmask_b32_e32 v3, v3, v5, vcc
	v_cndmask_b32_e32 v5, v7, v8, vcc
	v_mov_b32_e32 v6, 0x3b800000
	v_lshlrev_b32_e32 v3, 20, v3
	v_lshl_add_u32 v5, v5, 23, v6
	v_or3_b32 v3, v4, v5, v3
.LBB6_768:
	s_or_b64 exec, exec, s[6:7]
	s_nop 0
	v_mfma_f32_16x16x4f32 a[0:3], v2, v3, a[0:3]
	s_movk_i32 s4, 0x7f
                                        ; implicit-def: $sgpr10
	s_nop 7
	s_nop 1
	flat_store_dwordx4 v[18:19], a[0:3] offset:544
	flat_load_dwordx4 v[20:23], v[0:1] offset:16
	s_nop 0
	flat_load_dwordx2 v[18:19], v[0:1] offset:32
	s_waitcnt vmcnt(0) lgkmcnt(0)
	flat_load_dwordx4 v[14:17], v[20:21]
	flat_load_dwordx4 v[6:9], v[20:21] offset:16
	flat_load_dwordx4 v[10:13], v[22:23] offset:96
	;; [unrolled: 1-line block ×3, first 2 shown]
	s_waitcnt vmcnt(0) lgkmcnt(0)
	v_cmp_gt_i16_sdwa s[6:7], v14, s4 src0_sel:BYTE_0 src1_sel:DWORD
	s_mov_b64 s[4:5], 0
	s_and_saveexec_b64 s[8:9], s[6:7]
	s_xor_b64 s[6:7], exec, s[8:9]
	s_cbranch_execnz .LBB6_2817
; %bb.769:
	s_or_saveexec_b64 s[6:7], s[6:7]
	v_mov_b32_e32 v20, s10
	s_xor_b64 exec, exec, s[6:7]
	s_cbranch_execnz .LBB6_2820
.LBB6_770:
	s_or_b64 exec, exec, s[6:7]
	s_and_saveexec_b64 s[6:7], s[4:5]
	s_cbranch_execz .LBB6_772
.LBB6_771:
	v_and_b32_e32 v20, 7, v14
	v_ffbh_u32_e32 v22, v20
	v_min_u32_e32 v22, 32, v22
	v_lshrrev_b16_e32 v21, 3, v14
	v_subrev_u32_e32 v23, 28, v22
	v_and_b32_e32 v21, 15, v21
	v_lshlrev_b32_e32 v23, v23, v14
	v_sub_u32_e32 v22, 29, v22
	v_and_b32_e32 v23, 7, v23
	v_cmp_eq_u16_e32 vcc, 0, v21
	v_cndmask_b32_e32 v20, v20, v23, vcc
	v_cndmask_b32_e32 v21, v21, v22, vcc
	v_lshlrev_b32_e32 v22, 24, v14
	v_mov_b32_e32 v23, 0x3b800000
	v_lshlrev_b32_e32 v20, 20, v20
	v_and_b32_e32 v22, 0x80000000, v22
	v_lshl_add_u32 v21, v21, 23, v23
	v_or3_b32 v20, v22, v21, v20
.LBB6_772:
	s_or_b64 exec, exec, s[6:7]
	s_movk_i32 s4, 0x7f
	v_cmp_gt_i16_sdwa s[6:7], v10, s4 src0_sel:BYTE_0 src1_sel:DWORD
	s_mov_b64 s[4:5], 0
                                        ; implicit-def: $sgpr10
	s_and_saveexec_b64 s[8:9], s[6:7]
	s_xor_b64 s[6:7], exec, s[8:9]
	s_cbranch_execnz .LBB6_2821
; %bb.773:
	s_or_saveexec_b64 s[6:7], s[6:7]
	v_mov_b32_e32 v21, s10
	s_xor_b64 exec, exec, s[6:7]
	s_cbranch_execnz .LBB6_2824
.LBB6_774:
	s_or_b64 exec, exec, s[6:7]
	s_and_saveexec_b64 s[6:7], s[4:5]
	s_cbranch_execz .LBB6_776
.LBB6_775:
	v_and_b32_e32 v21, 7, v10
	v_ffbh_u32_e32 v23, v21
	v_min_u32_e32 v23, 32, v23
	v_lshrrev_b16_e32 v22, 3, v10
	v_subrev_u32_e32 v24, 28, v23
	v_and_b32_e32 v22, 15, v22
	v_lshlrev_b32_e32 v24, v24, v10
	v_sub_u32_e32 v23, 29, v23
	v_and_b32_e32 v24, 7, v24
	v_cmp_eq_u16_e32 vcc, 0, v22
	v_cndmask_b32_e32 v21, v21, v24, vcc
	v_cndmask_b32_e32 v22, v22, v23, vcc
	v_lshlrev_b32_e32 v23, 24, v10
	v_mov_b32_e32 v24, 0x3b800000
	v_lshlrev_b32_e32 v21, 20, v21
	v_and_b32_e32 v23, 0x80000000, v23
	v_lshl_add_u32 v22, v22, 23, v24
	v_or3_b32 v21, v23, v22, v21
.LBB6_776:
	s_or_b64 exec, exec, s[6:7]
	flat_load_dwordx4 a[0:3], v[18:19] offset:560
	s_movk_i32 s4, 0x7f
                                        ; implicit-def: $sgpr10
	s_waitcnt vmcnt(0) lgkmcnt(0)
	v_mfma_f32_16x16x4f32 a[0:3], v20, v21, a[0:3]
	v_lshrrev_b32_e32 v21, 8, v14
	v_cmp_gt_i16_sdwa s[6:7], v21, s4 src0_sel:BYTE_0 src1_sel:DWORD
	s_mov_b64 s[4:5], 0
	s_and_saveexec_b64 s[8:9], s[6:7]
	s_xor_b64 s[6:7], exec, s[8:9]
	s_cbranch_execnz .LBB6_2825
; %bb.777:
	s_or_saveexec_b64 s[6:7], s[6:7]
	v_mov_b32_e32 v20, s10
	s_xor_b64 exec, exec, s[6:7]
	s_cbranch_execnz .LBB6_2828
.LBB6_778:
	s_or_b64 exec, exec, s[6:7]
	s_and_saveexec_b64 s[6:7], s[4:5]
	s_cbranch_execz .LBB6_780
.LBB6_779:
	v_bfe_u32 v20, v14, 8, 3
	v_ffbh_u32_e32 v23, v20
	v_min_u32_e32 v23, 32, v23
	v_lshrrev_b16_e32 v22, 3, v21
	v_subrev_u32_e32 v24, 28, v23
	v_and_b32_e32 v22, 15, v22
	v_lshlrev_b32_e32 v21, v24, v21
	v_sub_u32_e32 v23, 29, v23
	v_and_b32_e32 v21, 7, v21
	v_cmp_eq_u16_e32 vcc, 0, v22
	v_cndmask_b32_e32 v20, v20, v21, vcc
	v_cndmask_b32_e32 v21, v22, v23, vcc
	v_lshlrev_b32_e32 v22, 16, v14
	v_mov_b32_e32 v23, 0x3b800000
	v_lshlrev_b32_e32 v20, 20, v20
	v_and_b32_e32 v22, 0x80000000, v22
	v_lshl_add_u32 v21, v21, 23, v23
	v_or3_b32 v20, v22, v21, v20
.LBB6_780:
	s_or_b64 exec, exec, s[6:7]
	v_lshrrev_b32_e32 v21, 8, v10
	s_movk_i32 s4, 0x7f
	v_cmp_gt_i16_sdwa s[6:7], v21, s4 src0_sel:BYTE_0 src1_sel:DWORD
	s_mov_b64 s[4:5], 0
                                        ; implicit-def: $sgpr10
	s_and_saveexec_b64 s[8:9], s[6:7]
	s_xor_b64 s[6:7], exec, s[8:9]
	s_cbranch_execnz .LBB6_2829
; %bb.781:
	s_or_saveexec_b64 s[6:7], s[6:7]
	v_mov_b32_e32 v22, s10
	s_xor_b64 exec, exec, s[6:7]
	s_cbranch_execnz .LBB6_2832
.LBB6_782:
	s_or_b64 exec, exec, s[6:7]
	s_and_saveexec_b64 s[6:7], s[4:5]
	s_cbranch_execz .LBB6_784
.LBB6_783:
	v_bfe_u32 v22, v10, 8, 3
	v_ffbh_u32_e32 v24, v22
	v_min_u32_e32 v24, 32, v24
	v_lshrrev_b16_e32 v23, 3, v21
	v_subrev_u32_e32 v25, 28, v24
	v_and_b32_e32 v23, 15, v23
	v_lshlrev_b32_e32 v21, v25, v21
	v_sub_u32_e32 v24, 29, v24
	v_and_b32_e32 v21, 7, v21
	v_cmp_eq_u16_e32 vcc, 0, v23
	v_cndmask_b32_e32 v21, v22, v21, vcc
	v_cndmask_b32_e32 v22, v23, v24, vcc
	v_lshlrev_b32_e32 v23, 16, v10
	v_mov_b32_e32 v24, 0x3b800000
	v_lshlrev_b32_e32 v21, 20, v21
	v_and_b32_e32 v23, 0x80000000, v23
	v_lshl_add_u32 v22, v22, 23, v24
	v_or3_b32 v22, v23, v22, v21
.LBB6_784:
	s_or_b64 exec, exec, s[6:7]
	s_nop 0
	v_mfma_f32_16x16x4f32 a[0:3], v20, v22, a[0:3]
	s_movk_i32 s4, 0xff
	v_and_b32_sdwa v21, v14, s4 dst_sel:DWORD dst_unused:UNUSED_PAD src0_sel:WORD_1 src1_sel:DWORD
	s_movk_i32 s4, 0x7f
	v_cmp_lt_i16_e32 vcc, s4, v21
	s_mov_b64 s[4:5], 0
                                        ; implicit-def: $sgpr10
	s_and_saveexec_b64 s[6:7], vcc
	s_xor_b64 s[6:7], exec, s[6:7]
	s_cbranch_execnz .LBB6_2833
; %bb.785:
	s_or_saveexec_b64 s[6:7], s[6:7]
	v_mov_b32_e32 v20, s10
	s_xor_b64 exec, exec, s[6:7]
	s_cbranch_execnz .LBB6_2836
.LBB6_786:
	s_or_b64 exec, exec, s[6:7]
	s_and_saveexec_b64 s[6:7], s[4:5]
	s_cbranch_execz .LBB6_788
.LBB6_787:
	v_bfe_u32 v20, v14, 16, 3
	v_ffbh_u32_e32 v23, v20
	v_min_u32_e32 v23, 32, v23
	v_lshrrev_b32_e32 v21, 19, v14
	v_subrev_u32_e32 v24, 28, v23
	v_and_b32_e32 v21, 15, v21
	v_lshlrev_b32_sdwa v24, v24, v14 dst_sel:DWORD dst_unused:UNUSED_PAD src0_sel:DWORD src1_sel:WORD_1
	v_bfe_u32 v22, v14, 19, 4
	v_sub_u32_e32 v23, 29, v23
	v_and_b32_e32 v24, 7, v24
	v_cmp_eq_u16_e32 vcc, 0, v21
	v_cndmask_b32_e32 v20, v20, v24, vcc
	v_cndmask_b32_e32 v21, v22, v23, vcc
	v_lshlrev_b32_e32 v22, 8, v14
	v_mov_b32_e32 v23, 0x3b800000
	v_lshlrev_b32_e32 v20, 20, v20
	v_and_b32_e32 v22, 0x80000000, v22
	v_lshl_add_u32 v21, v21, 23, v23
	v_or3_b32 v20, v22, v21, v20
.LBB6_788:
	s_or_b64 exec, exec, s[6:7]
	s_movk_i32 s4, 0xff
	v_and_b32_sdwa v21, v10, s4 dst_sel:DWORD dst_unused:UNUSED_PAD src0_sel:WORD_1 src1_sel:DWORD
	s_movk_i32 s4, 0x7f
	v_cmp_lt_i16_e32 vcc, s4, v21
	s_mov_b64 s[4:5], 0
                                        ; implicit-def: $sgpr10
	s_and_saveexec_b64 s[6:7], vcc
	s_xor_b64 s[6:7], exec, s[6:7]
	s_cbranch_execnz .LBB6_2837
; %bb.789:
	s_or_saveexec_b64 s[6:7], s[6:7]
	v_mov_b32_e32 v22, s10
	s_xor_b64 exec, exec, s[6:7]
	s_cbranch_execnz .LBB6_2840
.LBB6_790:
	s_or_b64 exec, exec, s[6:7]
	s_and_saveexec_b64 s[6:7], s[4:5]
	s_cbranch_execz .LBB6_792
.LBB6_791:
	v_bfe_u32 v21, v10, 16, 3
	v_ffbh_u32_e32 v24, v21
	v_min_u32_e32 v24, 32, v24
	v_lshrrev_b32_e32 v22, 19, v10
	v_subrev_u32_e32 v25, 28, v24
	v_and_b32_e32 v22, 15, v22
	v_lshlrev_b32_sdwa v25, v25, v10 dst_sel:DWORD dst_unused:UNUSED_PAD src0_sel:DWORD src1_sel:WORD_1
	v_bfe_u32 v23, v10, 19, 4
	v_sub_u32_e32 v24, 29, v24
	v_and_b32_e32 v25, 7, v25
	v_cmp_eq_u16_e32 vcc, 0, v22
	v_cndmask_b32_e32 v21, v21, v25, vcc
	v_cndmask_b32_e32 v22, v23, v24, vcc
	v_lshlrev_b32_e32 v23, 8, v10
	v_mov_b32_e32 v24, 0x3b800000
	v_lshlrev_b32_e32 v21, 20, v21
	v_and_b32_e32 v23, 0x80000000, v23
	v_lshl_add_u32 v22, v22, 23, v24
	v_or3_b32 v22, v23, v22, v21
.LBB6_792:
	s_or_b64 exec, exec, s[6:7]
	s_nop 0
	v_mfma_f32_16x16x4f32 a[0:3], v20, v22, a[0:3]
	s_movk_i32 s4, 0x7f
	v_cmp_gt_i16_sdwa s[6:7], v14, s4 src0_sel:BYTE_3 src1_sel:DWORD
	s_mov_b64 s[4:5], 0
                                        ; implicit-def: $sgpr10
	s_and_saveexec_b64 s[8:9], s[6:7]
	s_xor_b64 s[6:7], exec, s[8:9]
	s_cbranch_execnz .LBB6_2841
; %bb.793:
	s_or_saveexec_b64 s[6:7], s[6:7]
	v_mov_b32_e32 v20, s10
	s_xor_b64 exec, exec, s[6:7]
	s_cbranch_execnz .LBB6_2844
.LBB6_794:
	s_or_b64 exec, exec, s[6:7]
	s_and_saveexec_b64 s[6:7], s[4:5]
	s_cbranch_execz .LBB6_796
.LBB6_795:
	v_bfe_u32 v20, v14, 24, 3
	v_ffbh_u32_e32 v24, v20
	v_min_u32_e32 v24, 32, v24
	v_lshrrev_b32_e32 v22, 27, v14
	v_subrev_u32_e32 v25, 28, v24
	v_and_b32_e32 v21, 0x80000000, v14
	v_and_b32_e32 v22, 15, v22
	v_bfe_u32 v23, v14, 27, 4
	v_lshlrev_b32_sdwa v14, v25, v14 dst_sel:DWORD dst_unused:UNUSED_PAD src0_sel:DWORD src1_sel:BYTE_3
	v_sub_u32_e32 v24, 29, v24
	v_and_b32_e32 v14, 7, v14
	v_cmp_eq_u16_e32 vcc, 0, v22
	v_cndmask_b32_e32 v14, v20, v14, vcc
	v_cndmask_b32_e32 v20, v23, v24, vcc
	v_mov_b32_e32 v22, 0x3b800000
	v_lshlrev_b32_e32 v14, 20, v14
	v_lshl_add_u32 v20, v20, 23, v22
	v_or3_b32 v20, v21, v20, v14
.LBB6_796:
	s_or_b64 exec, exec, s[6:7]
	s_movk_i32 s4, 0x7f
	v_cmp_gt_i16_sdwa s[6:7], v10, s4 src0_sel:BYTE_3 src1_sel:DWORD
	s_mov_b64 s[4:5], 0
                                        ; implicit-def: $sgpr10
	s_and_saveexec_b64 s[8:9], s[6:7]
	s_xor_b64 s[6:7], exec, s[8:9]
	s_cbranch_execnz .LBB6_2845
; %bb.797:
	s_or_saveexec_b64 s[6:7], s[6:7]
	v_mov_b32_e32 v14, s10
	s_xor_b64 exec, exec, s[6:7]
	s_cbranch_execnz .LBB6_2848
.LBB6_798:
	s_or_b64 exec, exec, s[6:7]
	s_and_saveexec_b64 s[6:7], s[4:5]
	s_cbranch_execz .LBB6_800
.LBB6_799:
	v_bfe_u32 v14, v10, 24, 3
	v_ffbh_u32_e32 v24, v14
	v_min_u32_e32 v24, 32, v24
	v_lshrrev_b32_e32 v22, 27, v10
	v_subrev_u32_e32 v25, 28, v24
	v_and_b32_e32 v21, 0x80000000, v10
	v_and_b32_e32 v22, 15, v22
	v_bfe_u32 v23, v10, 27, 4
	v_lshlrev_b32_sdwa v10, v25, v10 dst_sel:DWORD dst_unused:UNUSED_PAD src0_sel:DWORD src1_sel:BYTE_3
	v_sub_u32_e32 v24, 29, v24
	v_and_b32_e32 v10, 7, v10
	v_cmp_eq_u16_e32 vcc, 0, v22
	v_cndmask_b32_e32 v10, v14, v10, vcc
	v_cndmask_b32_e32 v14, v23, v24, vcc
	v_mov_b32_e32 v22, 0x3b800000
	v_lshlrev_b32_e32 v10, 20, v10
	v_lshl_add_u32 v14, v14, 23, v22
	v_or3_b32 v14, v21, v14, v10
.LBB6_800:
	s_or_b64 exec, exec, s[6:7]
	s_nop 0
	v_mfma_f32_16x16x4f32 a[0:3], v20, v14, a[0:3]
	s_movk_i32 s4, 0x7f
	v_cmp_gt_i16_sdwa s[6:7], v15, s4 src0_sel:BYTE_0 src1_sel:DWORD
	s_mov_b64 s[4:5], 0
                                        ; implicit-def: $sgpr10
	s_and_saveexec_b64 s[8:9], s[6:7]
	s_xor_b64 s[6:7], exec, s[8:9]
	s_cbranch_execnz .LBB6_2849
; %bb.801:
	s_or_saveexec_b64 s[6:7], s[6:7]
	v_mov_b32_e32 v10, s10
	s_xor_b64 exec, exec, s[6:7]
	s_cbranch_execnz .LBB6_2852
.LBB6_802:
	s_or_b64 exec, exec, s[6:7]
	s_and_saveexec_b64 s[6:7], s[4:5]
	s_cbranch_execz .LBB6_804
.LBB6_803:
	v_and_b32_e32 v10, 7, v15
	v_ffbh_u32_e32 v20, v10
	v_min_u32_e32 v20, 32, v20
	v_lshrrev_b16_e32 v14, 3, v15
	v_subrev_u32_e32 v21, 28, v20
	v_and_b32_e32 v14, 15, v14
	v_lshlrev_b32_e32 v21, v21, v15
	v_sub_u32_e32 v20, 29, v20
	v_and_b32_e32 v21, 7, v21
	v_cmp_eq_u16_e32 vcc, 0, v14
	v_cndmask_b32_e32 v10, v10, v21, vcc
	v_cndmask_b32_e32 v14, v14, v20, vcc
	v_lshlrev_b32_e32 v20, 24, v15
	v_mov_b32_e32 v21, 0x3b800000
	v_lshlrev_b32_e32 v10, 20, v10
	v_and_b32_e32 v20, 0x80000000, v20
	v_lshl_add_u32 v14, v14, 23, v21
	v_or3_b32 v10, v20, v14, v10
.LBB6_804:
	s_or_b64 exec, exec, s[6:7]
	s_movk_i32 s4, 0x7f
	v_cmp_gt_i16_sdwa s[6:7], v11, s4 src0_sel:BYTE_0 src1_sel:DWORD
	s_mov_b64 s[4:5], 0
                                        ; implicit-def: $sgpr10
	s_and_saveexec_b64 s[8:9], s[6:7]
	s_xor_b64 s[6:7], exec, s[8:9]
	s_cbranch_execnz .LBB6_2853
; %bb.805:
	s_or_saveexec_b64 s[6:7], s[6:7]
	v_mov_b32_e32 v14, s10
	s_xor_b64 exec, exec, s[6:7]
	s_cbranch_execnz .LBB6_2856
.LBB6_806:
	s_or_b64 exec, exec, s[6:7]
	s_and_saveexec_b64 s[6:7], s[4:5]
	s_cbranch_execz .LBB6_808
.LBB6_807:
	v_and_b32_e32 v14, 7, v11
	v_ffbh_u32_e32 v21, v14
	v_min_u32_e32 v21, 32, v21
	v_lshrrev_b16_e32 v20, 3, v11
	v_subrev_u32_e32 v22, 28, v21
	v_and_b32_e32 v20, 15, v20
	v_lshlrev_b32_e32 v22, v22, v11
	v_sub_u32_e32 v21, 29, v21
	v_and_b32_e32 v22, 7, v22
	v_cmp_eq_u16_e32 vcc, 0, v20
	v_cndmask_b32_e32 v14, v14, v22, vcc
	v_cndmask_b32_e32 v20, v20, v21, vcc
	v_lshlrev_b32_e32 v21, 24, v11
	v_mov_b32_e32 v22, 0x3b800000
	v_lshlrev_b32_e32 v14, 20, v14
	v_and_b32_e32 v21, 0x80000000, v21
	v_lshl_add_u32 v20, v20, 23, v22
	v_or3_b32 v14, v21, v20, v14
.LBB6_808:
	s_or_b64 exec, exec, s[6:7]
	s_nop 0
	v_mfma_f32_16x16x4f32 a[0:3], v10, v14, a[0:3]
	v_lshrrev_b32_e32 v14, 8, v15
	s_movk_i32 s4, 0x7f
	v_cmp_gt_i16_sdwa s[6:7], v14, s4 src0_sel:BYTE_0 src1_sel:DWORD
	s_mov_b64 s[4:5], 0
                                        ; implicit-def: $sgpr10
	s_and_saveexec_b64 s[8:9], s[6:7]
	s_xor_b64 s[6:7], exec, s[8:9]
	s_cbranch_execnz .LBB6_2857
; %bb.809:
	s_or_saveexec_b64 s[6:7], s[6:7]
	v_mov_b32_e32 v10, s10
	s_xor_b64 exec, exec, s[6:7]
	s_cbranch_execnz .LBB6_2860
.LBB6_810:
	s_or_b64 exec, exec, s[6:7]
	s_and_saveexec_b64 s[6:7], s[4:5]
	s_cbranch_execz .LBB6_812
.LBB6_811:
	v_bfe_u32 v10, v15, 8, 3
	v_ffbh_u32_e32 v21, v10
	v_min_u32_e32 v21, 32, v21
	v_lshrrev_b16_e32 v20, 3, v14
	v_subrev_u32_e32 v22, 28, v21
	v_and_b32_e32 v20, 15, v20
	v_lshlrev_b32_e32 v14, v22, v14
	v_sub_u32_e32 v21, 29, v21
	v_and_b32_e32 v14, 7, v14
	v_cmp_eq_u16_e32 vcc, 0, v20
	v_cndmask_b32_e32 v10, v10, v14, vcc
	v_cndmask_b32_e32 v14, v20, v21, vcc
	v_lshlrev_b32_e32 v20, 16, v15
	v_mov_b32_e32 v21, 0x3b800000
	v_lshlrev_b32_e32 v10, 20, v10
	v_and_b32_e32 v20, 0x80000000, v20
	v_lshl_add_u32 v14, v14, 23, v21
	v_or3_b32 v10, v20, v14, v10
.LBB6_812:
	s_or_b64 exec, exec, s[6:7]
	v_lshrrev_b32_e32 v14, 8, v11
	s_movk_i32 s4, 0x7f
	v_cmp_gt_i16_sdwa s[6:7], v14, s4 src0_sel:BYTE_0 src1_sel:DWORD
	s_mov_b64 s[4:5], 0
                                        ; implicit-def: $sgpr10
	s_and_saveexec_b64 s[8:9], s[6:7]
	s_xor_b64 s[6:7], exec, s[8:9]
	s_cbranch_execnz .LBB6_2861
; %bb.813:
	s_or_saveexec_b64 s[6:7], s[6:7]
	v_mov_b32_e32 v20, s10
	s_xor_b64 exec, exec, s[6:7]
	s_cbranch_execnz .LBB6_2864
.LBB6_814:
	s_or_b64 exec, exec, s[6:7]
	s_and_saveexec_b64 s[6:7], s[4:5]
	s_cbranch_execz .LBB6_816
.LBB6_815:
	v_bfe_u32 v20, v11, 8, 3
	v_ffbh_u32_e32 v22, v20
	v_min_u32_e32 v22, 32, v22
	v_lshrrev_b16_e32 v21, 3, v14
	v_subrev_u32_e32 v23, 28, v22
	v_and_b32_e32 v21, 15, v21
	v_lshlrev_b32_e32 v14, v23, v14
	v_sub_u32_e32 v22, 29, v22
	v_and_b32_e32 v14, 7, v14
	v_cmp_eq_u16_e32 vcc, 0, v21
	v_cndmask_b32_e32 v14, v20, v14, vcc
	v_cndmask_b32_e32 v20, v21, v22, vcc
	v_lshlrev_b32_e32 v21, 16, v11
	v_mov_b32_e32 v22, 0x3b800000
	v_lshlrev_b32_e32 v14, 20, v14
	v_and_b32_e32 v21, 0x80000000, v21
	v_lshl_add_u32 v20, v20, 23, v22
	v_or3_b32 v20, v21, v20, v14
.LBB6_816:
	s_or_b64 exec, exec, s[6:7]
	s_nop 0
	v_mfma_f32_16x16x4f32 a[0:3], v10, v20, a[0:3]
	s_movk_i32 s4, 0xff
	v_and_b32_sdwa v14, v15, s4 dst_sel:DWORD dst_unused:UNUSED_PAD src0_sel:WORD_1 src1_sel:DWORD
	s_movk_i32 s4, 0x7f
	v_cmp_lt_i16_e32 vcc, s4, v14
	s_mov_b64 s[4:5], 0
                                        ; implicit-def: $sgpr10
	s_and_saveexec_b64 s[6:7], vcc
	s_xor_b64 s[6:7], exec, s[6:7]
	s_cbranch_execnz .LBB6_2865
; %bb.817:
	s_or_saveexec_b64 s[6:7], s[6:7]
	v_mov_b32_e32 v10, s10
	s_xor_b64 exec, exec, s[6:7]
	s_cbranch_execnz .LBB6_2868
.LBB6_818:
	s_or_b64 exec, exec, s[6:7]
	s_and_saveexec_b64 s[6:7], s[4:5]
	s_cbranch_execz .LBB6_820
.LBB6_819:
	v_bfe_u32 v10, v15, 16, 3
	v_ffbh_u32_e32 v21, v10
	v_min_u32_e32 v21, 32, v21
	v_lshrrev_b32_e32 v14, 19, v15
	v_subrev_u32_e32 v22, 28, v21
	v_and_b32_e32 v14, 15, v14
	v_lshlrev_b32_sdwa v22, v22, v15 dst_sel:DWORD dst_unused:UNUSED_PAD src0_sel:DWORD src1_sel:WORD_1
	v_bfe_u32 v20, v15, 19, 4
	v_sub_u32_e32 v21, 29, v21
	v_and_b32_e32 v22, 7, v22
	v_cmp_eq_u16_e32 vcc, 0, v14
	v_cndmask_b32_e32 v10, v10, v22, vcc
	v_cndmask_b32_e32 v14, v20, v21, vcc
	v_lshlrev_b32_e32 v20, 8, v15
	v_mov_b32_e32 v21, 0x3b800000
	v_lshlrev_b32_e32 v10, 20, v10
	v_and_b32_e32 v20, 0x80000000, v20
	v_lshl_add_u32 v14, v14, 23, v21
	v_or3_b32 v10, v20, v14, v10
.LBB6_820:
	s_or_b64 exec, exec, s[6:7]
	s_movk_i32 s4, 0xff
	v_and_b32_sdwa v14, v11, s4 dst_sel:DWORD dst_unused:UNUSED_PAD src0_sel:WORD_1 src1_sel:DWORD
	s_movk_i32 s4, 0x7f
	v_cmp_lt_i16_e32 vcc, s4, v14
	s_mov_b64 s[4:5], 0
                                        ; implicit-def: $sgpr10
	s_and_saveexec_b64 s[6:7], vcc
	s_xor_b64 s[6:7], exec, s[6:7]
	s_cbranch_execnz .LBB6_2869
; %bb.821:
	s_or_saveexec_b64 s[6:7], s[6:7]
	v_mov_b32_e32 v20, s10
	s_xor_b64 exec, exec, s[6:7]
	s_cbranch_execnz .LBB6_2872
.LBB6_822:
	s_or_b64 exec, exec, s[6:7]
	s_and_saveexec_b64 s[6:7], s[4:5]
	s_cbranch_execz .LBB6_824
.LBB6_823:
	v_bfe_u32 v14, v11, 16, 3
	v_ffbh_u32_e32 v22, v14
	v_min_u32_e32 v22, 32, v22
	v_lshrrev_b32_e32 v20, 19, v11
	v_subrev_u32_e32 v23, 28, v22
	v_and_b32_e32 v20, 15, v20
	v_lshlrev_b32_sdwa v23, v23, v11 dst_sel:DWORD dst_unused:UNUSED_PAD src0_sel:DWORD src1_sel:WORD_1
	v_bfe_u32 v21, v11, 19, 4
	v_sub_u32_e32 v22, 29, v22
	v_and_b32_e32 v23, 7, v23
	v_cmp_eq_u16_e32 vcc, 0, v20
	v_cndmask_b32_e32 v14, v14, v23, vcc
	v_cndmask_b32_e32 v20, v21, v22, vcc
	v_lshlrev_b32_e32 v21, 8, v11
	v_mov_b32_e32 v22, 0x3b800000
	v_lshlrev_b32_e32 v14, 20, v14
	v_and_b32_e32 v21, 0x80000000, v21
	v_lshl_add_u32 v20, v20, 23, v22
	v_or3_b32 v20, v21, v20, v14
.LBB6_824:
	s_or_b64 exec, exec, s[6:7]
	s_nop 0
	v_mfma_f32_16x16x4f32 a[0:3], v10, v20, a[0:3]
	s_movk_i32 s4, 0x7f
	v_cmp_gt_i16_sdwa s[6:7], v15, s4 src0_sel:BYTE_3 src1_sel:DWORD
	s_mov_b64 s[4:5], 0
                                        ; implicit-def: $sgpr10
	s_and_saveexec_b64 s[8:9], s[6:7]
	s_xor_b64 s[6:7], exec, s[8:9]
	s_cbranch_execnz .LBB6_2873
; %bb.825:
	s_or_saveexec_b64 s[6:7], s[6:7]
	v_mov_b32_e32 v10, s10
	s_xor_b64 exec, exec, s[6:7]
	s_cbranch_execnz .LBB6_2876
.LBB6_826:
	s_or_b64 exec, exec, s[6:7]
	s_and_saveexec_b64 s[6:7], s[4:5]
	s_cbranch_execz .LBB6_828
.LBB6_827:
	v_bfe_u32 v10, v15, 24, 3
	v_ffbh_u32_e32 v22, v10
	v_min_u32_e32 v22, 32, v22
	v_lshrrev_b32_e32 v20, 27, v15
	v_subrev_u32_e32 v23, 28, v22
	v_and_b32_e32 v14, 0x80000000, v15
	v_and_b32_e32 v20, 15, v20
	v_bfe_u32 v21, v15, 27, 4
	v_lshlrev_b32_sdwa v15, v23, v15 dst_sel:DWORD dst_unused:UNUSED_PAD src0_sel:DWORD src1_sel:BYTE_3
	v_sub_u32_e32 v22, 29, v22
	v_and_b32_e32 v15, 7, v15
	v_cmp_eq_u16_e32 vcc, 0, v20
	v_cndmask_b32_e32 v10, v10, v15, vcc
	v_cndmask_b32_e32 v15, v21, v22, vcc
	v_mov_b32_e32 v20, 0x3b800000
	v_lshlrev_b32_e32 v10, 20, v10
	v_lshl_add_u32 v15, v15, 23, v20
	v_or3_b32 v10, v14, v15, v10
.LBB6_828:
	s_or_b64 exec, exec, s[6:7]
	s_movk_i32 s4, 0x7f
	v_cmp_gt_i16_sdwa s[6:7], v11, s4 src0_sel:BYTE_3 src1_sel:DWORD
	s_mov_b64 s[4:5], 0
                                        ; implicit-def: $sgpr10
	s_and_saveexec_b64 s[8:9], s[6:7]
	s_xor_b64 s[6:7], exec, s[8:9]
	s_cbranch_execnz .LBB6_2877
; %bb.829:
	s_or_saveexec_b64 s[6:7], s[6:7]
	v_mov_b32_e32 v14, s10
	s_xor_b64 exec, exec, s[6:7]
	s_cbranch_execnz .LBB6_2880
.LBB6_830:
	s_or_b64 exec, exec, s[6:7]
	s_and_saveexec_b64 s[6:7], s[4:5]
	s_cbranch_execz .LBB6_832
.LBB6_831:
	v_bfe_u32 v14, v11, 24, 3
	v_ffbh_u32_e32 v22, v14
	v_min_u32_e32 v22, 32, v22
	v_lshrrev_b32_e32 v20, 27, v11
	v_subrev_u32_e32 v23, 28, v22
	v_and_b32_e32 v15, 0x80000000, v11
	v_and_b32_e32 v20, 15, v20
	v_bfe_u32 v21, v11, 27, 4
	v_lshlrev_b32_sdwa v11, v23, v11 dst_sel:DWORD dst_unused:UNUSED_PAD src0_sel:DWORD src1_sel:BYTE_3
	v_sub_u32_e32 v22, 29, v22
	v_and_b32_e32 v11, 7, v11
	v_cmp_eq_u16_e32 vcc, 0, v20
	v_cndmask_b32_e32 v11, v14, v11, vcc
	v_cndmask_b32_e32 v14, v21, v22, vcc
	v_mov_b32_e32 v20, 0x3b800000
	v_lshlrev_b32_e32 v11, 20, v11
	v_lshl_add_u32 v14, v14, 23, v20
	v_or3_b32 v14, v15, v14, v11
.LBB6_832:
	s_or_b64 exec, exec, s[6:7]
	s_nop 0
	v_mfma_f32_16x16x4f32 a[0:3], v10, v14, a[0:3]
	s_movk_i32 s4, 0x7f
	v_cmp_gt_i16_sdwa s[6:7], v16, s4 src0_sel:BYTE_0 src1_sel:DWORD
	s_mov_b64 s[4:5], 0
                                        ; implicit-def: $sgpr10
	s_and_saveexec_b64 s[8:9], s[6:7]
	s_xor_b64 s[6:7], exec, s[8:9]
	s_cbranch_execnz .LBB6_2881
; %bb.833:
	s_or_saveexec_b64 s[6:7], s[6:7]
	v_mov_b32_e32 v10, s10
	s_xor_b64 exec, exec, s[6:7]
	s_cbranch_execnz .LBB6_2884
.LBB6_834:
	s_or_b64 exec, exec, s[6:7]
	s_and_saveexec_b64 s[6:7], s[4:5]
	s_cbranch_execz .LBB6_836
.LBB6_835:
	v_and_b32_e32 v10, 7, v16
	v_ffbh_u32_e32 v14, v10
	v_min_u32_e32 v14, 32, v14
	v_lshrrev_b16_e32 v11, 3, v16
	v_subrev_u32_e32 v15, 28, v14
	v_and_b32_e32 v11, 15, v11
	v_lshlrev_b32_e32 v15, v15, v16
	v_sub_u32_e32 v14, 29, v14
	v_and_b32_e32 v15, 7, v15
	v_cmp_eq_u16_e32 vcc, 0, v11
	v_cndmask_b32_e32 v10, v10, v15, vcc
	v_cndmask_b32_e32 v11, v11, v14, vcc
	v_lshlrev_b32_e32 v14, 24, v16
	v_mov_b32_e32 v15, 0x3b800000
	v_lshlrev_b32_e32 v10, 20, v10
	v_and_b32_e32 v14, 0x80000000, v14
	v_lshl_add_u32 v11, v11, 23, v15
	v_or3_b32 v10, v14, v11, v10
.LBB6_836:
	s_or_b64 exec, exec, s[6:7]
	s_movk_i32 s4, 0x7f
	v_cmp_gt_i16_sdwa s[6:7], v12, s4 src0_sel:BYTE_0 src1_sel:DWORD
	s_mov_b64 s[4:5], 0
                                        ; implicit-def: $sgpr10
	s_and_saveexec_b64 s[8:9], s[6:7]
	s_xor_b64 s[6:7], exec, s[8:9]
	s_cbranch_execnz .LBB6_2885
; %bb.837:
	s_or_saveexec_b64 s[6:7], s[6:7]
	v_mov_b32_e32 v11, s10
	s_xor_b64 exec, exec, s[6:7]
	s_cbranch_execnz .LBB6_2888
.LBB6_838:
	s_or_b64 exec, exec, s[6:7]
	s_and_saveexec_b64 s[6:7], s[4:5]
	s_cbranch_execz .LBB6_840
.LBB6_839:
	v_and_b32_e32 v11, 7, v12
	v_ffbh_u32_e32 v15, v11
	v_min_u32_e32 v15, 32, v15
	v_lshrrev_b16_e32 v14, 3, v12
	v_subrev_u32_e32 v20, 28, v15
	v_and_b32_e32 v14, 15, v14
	v_lshlrev_b32_e32 v20, v20, v12
	v_sub_u32_e32 v15, 29, v15
	v_and_b32_e32 v20, 7, v20
	v_cmp_eq_u16_e32 vcc, 0, v14
	v_cndmask_b32_e32 v11, v11, v20, vcc
	v_cndmask_b32_e32 v14, v14, v15, vcc
	v_lshlrev_b32_e32 v15, 24, v12
	v_mov_b32_e32 v20, 0x3b800000
	v_lshlrev_b32_e32 v11, 20, v11
	v_and_b32_e32 v15, 0x80000000, v15
	v_lshl_add_u32 v14, v14, 23, v20
	v_or3_b32 v11, v15, v14, v11
.LBB6_840:
	s_or_b64 exec, exec, s[6:7]
	s_nop 0
	v_mfma_f32_16x16x4f32 a[0:3], v10, v11, a[0:3]
	v_lshrrev_b32_e32 v11, 8, v16
	s_movk_i32 s4, 0x7f
	v_cmp_gt_i16_sdwa s[6:7], v11, s4 src0_sel:BYTE_0 src1_sel:DWORD
	s_mov_b64 s[4:5], 0
                                        ; implicit-def: $sgpr10
	s_and_saveexec_b64 s[8:9], s[6:7]
	s_xor_b64 s[6:7], exec, s[8:9]
	s_cbranch_execnz .LBB6_2889
; %bb.841:
	s_or_saveexec_b64 s[6:7], s[6:7]
	v_mov_b32_e32 v10, s10
	s_xor_b64 exec, exec, s[6:7]
	s_cbranch_execnz .LBB6_2892
.LBB6_842:
	s_or_b64 exec, exec, s[6:7]
	s_and_saveexec_b64 s[6:7], s[4:5]
	s_cbranch_execz .LBB6_844
.LBB6_843:
	v_bfe_u32 v10, v16, 8, 3
	v_ffbh_u32_e32 v15, v10
	v_min_u32_e32 v15, 32, v15
	v_lshrrev_b16_e32 v14, 3, v11
	v_subrev_u32_e32 v20, 28, v15
	v_and_b32_e32 v14, 15, v14
	v_lshlrev_b32_e32 v11, v20, v11
	v_sub_u32_e32 v15, 29, v15
	v_and_b32_e32 v11, 7, v11
	v_cmp_eq_u16_e32 vcc, 0, v14
	v_cndmask_b32_e32 v10, v10, v11, vcc
	v_cndmask_b32_e32 v11, v14, v15, vcc
	v_lshlrev_b32_e32 v14, 16, v16
	v_mov_b32_e32 v15, 0x3b800000
	v_lshlrev_b32_e32 v10, 20, v10
	v_and_b32_e32 v14, 0x80000000, v14
	v_lshl_add_u32 v11, v11, 23, v15
	v_or3_b32 v10, v14, v11, v10
.LBB6_844:
	s_or_b64 exec, exec, s[6:7]
	v_lshrrev_b32_e32 v11, 8, v12
	s_movk_i32 s4, 0x7f
	v_cmp_gt_i16_sdwa s[6:7], v11, s4 src0_sel:BYTE_0 src1_sel:DWORD
	s_mov_b64 s[4:5], 0
                                        ; implicit-def: $sgpr10
	s_and_saveexec_b64 s[8:9], s[6:7]
	s_xor_b64 s[6:7], exec, s[8:9]
	s_cbranch_execnz .LBB6_2893
; %bb.845:
	s_or_saveexec_b64 s[6:7], s[6:7]
	v_mov_b32_e32 v14, s10
	s_xor_b64 exec, exec, s[6:7]
	s_cbranch_execnz .LBB6_2896
.LBB6_846:
	s_or_b64 exec, exec, s[6:7]
	s_and_saveexec_b64 s[6:7], s[4:5]
	s_cbranch_execz .LBB6_848
.LBB6_847:
	v_bfe_u32 v14, v12, 8, 3
	v_ffbh_u32_e32 v20, v14
	v_min_u32_e32 v20, 32, v20
	v_lshrrev_b16_e32 v15, 3, v11
	v_subrev_u32_e32 v21, 28, v20
	v_and_b32_e32 v15, 15, v15
	v_lshlrev_b32_e32 v11, v21, v11
	v_sub_u32_e32 v20, 29, v20
	v_and_b32_e32 v11, 7, v11
	v_cmp_eq_u16_e32 vcc, 0, v15
	v_cndmask_b32_e32 v11, v14, v11, vcc
	v_cndmask_b32_e32 v14, v15, v20, vcc
	v_lshlrev_b32_e32 v15, 16, v12
	v_mov_b32_e32 v20, 0x3b800000
	v_lshlrev_b32_e32 v11, 20, v11
	v_and_b32_e32 v15, 0x80000000, v15
	v_lshl_add_u32 v14, v14, 23, v20
	v_or3_b32 v14, v15, v14, v11
.LBB6_848:
	s_or_b64 exec, exec, s[6:7]
	s_nop 0
	v_mfma_f32_16x16x4f32 a[0:3], v10, v14, a[0:3]
	s_movk_i32 s4, 0xff
	v_and_b32_sdwa v11, v16, s4 dst_sel:DWORD dst_unused:UNUSED_PAD src0_sel:WORD_1 src1_sel:DWORD
	s_movk_i32 s4, 0x7f
	v_cmp_lt_i16_e32 vcc, s4, v11
	s_mov_b64 s[4:5], 0
                                        ; implicit-def: $sgpr10
	s_and_saveexec_b64 s[6:7], vcc
	s_xor_b64 s[6:7], exec, s[6:7]
	s_cbranch_execnz .LBB6_2897
; %bb.849:
	s_or_saveexec_b64 s[6:7], s[6:7]
	v_mov_b32_e32 v10, s10
	s_xor_b64 exec, exec, s[6:7]
	s_cbranch_execnz .LBB6_2900
.LBB6_850:
	s_or_b64 exec, exec, s[6:7]
	s_and_saveexec_b64 s[6:7], s[4:5]
	s_cbranch_execz .LBB6_852
.LBB6_851:
	v_bfe_u32 v10, v16, 16, 3
	v_ffbh_u32_e32 v15, v10
	v_min_u32_e32 v15, 32, v15
	v_lshrrev_b32_e32 v11, 19, v16
	v_subrev_u32_e32 v20, 28, v15
	v_and_b32_e32 v11, 15, v11
	v_lshlrev_b32_sdwa v20, v20, v16 dst_sel:DWORD dst_unused:UNUSED_PAD src0_sel:DWORD src1_sel:WORD_1
	v_bfe_u32 v14, v16, 19, 4
	v_sub_u32_e32 v15, 29, v15
	v_and_b32_e32 v20, 7, v20
	v_cmp_eq_u16_e32 vcc, 0, v11
	v_cndmask_b32_e32 v10, v10, v20, vcc
	v_cndmask_b32_e32 v11, v14, v15, vcc
	v_lshlrev_b32_e32 v14, 8, v16
	v_mov_b32_e32 v15, 0x3b800000
	v_lshlrev_b32_e32 v10, 20, v10
	v_and_b32_e32 v14, 0x80000000, v14
	v_lshl_add_u32 v11, v11, 23, v15
	v_or3_b32 v10, v14, v11, v10
.LBB6_852:
	s_or_b64 exec, exec, s[6:7]
	s_movk_i32 s4, 0xff
	v_and_b32_sdwa v11, v12, s4 dst_sel:DWORD dst_unused:UNUSED_PAD src0_sel:WORD_1 src1_sel:DWORD
	s_movk_i32 s4, 0x7f
	v_cmp_lt_i16_e32 vcc, s4, v11
	s_mov_b64 s[4:5], 0
                                        ; implicit-def: $sgpr10
	s_and_saveexec_b64 s[6:7], vcc
	s_xor_b64 s[6:7], exec, s[6:7]
	s_cbranch_execnz .LBB6_2901
; %bb.853:
	s_or_saveexec_b64 s[6:7], s[6:7]
	v_mov_b32_e32 v14, s10
	s_xor_b64 exec, exec, s[6:7]
	s_cbranch_execnz .LBB6_2904
.LBB6_854:
	s_or_b64 exec, exec, s[6:7]
	s_and_saveexec_b64 s[6:7], s[4:5]
	s_cbranch_execz .LBB6_856
.LBB6_855:
	v_bfe_u32 v11, v12, 16, 3
	v_ffbh_u32_e32 v20, v11
	v_min_u32_e32 v20, 32, v20
	v_lshrrev_b32_e32 v14, 19, v12
	v_subrev_u32_e32 v21, 28, v20
	v_and_b32_e32 v14, 15, v14
	v_lshlrev_b32_sdwa v21, v21, v12 dst_sel:DWORD dst_unused:UNUSED_PAD src0_sel:DWORD src1_sel:WORD_1
	v_bfe_u32 v15, v12, 19, 4
	v_sub_u32_e32 v20, 29, v20
	v_and_b32_e32 v21, 7, v21
	v_cmp_eq_u16_e32 vcc, 0, v14
	v_cndmask_b32_e32 v11, v11, v21, vcc
	v_cndmask_b32_e32 v14, v15, v20, vcc
	v_lshlrev_b32_e32 v15, 8, v12
	v_mov_b32_e32 v20, 0x3b800000
	v_lshlrev_b32_e32 v11, 20, v11
	v_and_b32_e32 v15, 0x80000000, v15
	v_lshl_add_u32 v14, v14, 23, v20
	v_or3_b32 v14, v15, v14, v11
.LBB6_856:
	s_or_b64 exec, exec, s[6:7]
	s_nop 0
	v_mfma_f32_16x16x4f32 a[0:3], v10, v14, a[0:3]
	s_movk_i32 s4, 0x7f
	v_cmp_gt_i16_sdwa s[6:7], v16, s4 src0_sel:BYTE_3 src1_sel:DWORD
	s_mov_b64 s[4:5], 0
                                        ; implicit-def: $sgpr10
	s_and_saveexec_b64 s[8:9], s[6:7]
	s_xor_b64 s[6:7], exec, s[8:9]
	s_cbranch_execnz .LBB6_2905
; %bb.857:
	s_or_saveexec_b64 s[6:7], s[6:7]
	v_mov_b32_e32 v10, s10
	s_xor_b64 exec, exec, s[6:7]
	s_cbranch_execnz .LBB6_2908
.LBB6_858:
	s_or_b64 exec, exec, s[6:7]
	s_and_saveexec_b64 s[6:7], s[4:5]
	s_cbranch_execz .LBB6_860
.LBB6_859:
	v_bfe_u32 v10, v16, 24, 3
	v_ffbh_u32_e32 v20, v10
	v_min_u32_e32 v20, 32, v20
	v_lshrrev_b32_e32 v14, 27, v16
	v_subrev_u32_e32 v21, 28, v20
	v_and_b32_e32 v11, 0x80000000, v16
	v_and_b32_e32 v14, 15, v14
	v_bfe_u32 v15, v16, 27, 4
	v_lshlrev_b32_sdwa v16, v21, v16 dst_sel:DWORD dst_unused:UNUSED_PAD src0_sel:DWORD src1_sel:BYTE_3
	v_sub_u32_e32 v20, 29, v20
	v_and_b32_e32 v16, 7, v16
	v_cmp_eq_u16_e32 vcc, 0, v14
	v_cndmask_b32_e32 v10, v10, v16, vcc
	v_cndmask_b32_e32 v14, v15, v20, vcc
	v_mov_b32_e32 v15, 0x3b800000
	v_lshlrev_b32_e32 v10, 20, v10
	v_lshl_add_u32 v14, v14, 23, v15
	v_or3_b32 v10, v11, v14, v10
.LBB6_860:
	s_or_b64 exec, exec, s[6:7]
	s_movk_i32 s4, 0x7f
	v_cmp_gt_i16_sdwa s[6:7], v12, s4 src0_sel:BYTE_3 src1_sel:DWORD
	s_mov_b64 s[4:5], 0
                                        ; implicit-def: $sgpr10
	s_and_saveexec_b64 s[8:9], s[6:7]
	s_xor_b64 s[6:7], exec, s[8:9]
	s_cbranch_execnz .LBB6_2909
; %bb.861:
	s_or_saveexec_b64 s[6:7], s[6:7]
	v_mov_b32_e32 v11, s10
	s_xor_b64 exec, exec, s[6:7]
	s_cbranch_execnz .LBB6_2912
.LBB6_862:
	s_or_b64 exec, exec, s[6:7]
	s_and_saveexec_b64 s[6:7], s[4:5]
	s_cbranch_execz .LBB6_864
.LBB6_863:
	v_bfe_u32 v11, v12, 24, 3
	v_ffbh_u32_e32 v20, v11
	v_min_u32_e32 v20, 32, v20
	v_lshrrev_b32_e32 v15, 27, v12
	v_subrev_u32_e32 v21, 28, v20
	v_and_b32_e32 v14, 0x80000000, v12
	v_and_b32_e32 v15, 15, v15
	v_bfe_u32 v16, v12, 27, 4
	v_lshlrev_b32_sdwa v12, v21, v12 dst_sel:DWORD dst_unused:UNUSED_PAD src0_sel:DWORD src1_sel:BYTE_3
	v_sub_u32_e32 v20, 29, v20
	v_and_b32_e32 v12, 7, v12
	v_cmp_eq_u16_e32 vcc, 0, v15
	v_cndmask_b32_e32 v11, v11, v12, vcc
	v_cndmask_b32_e32 v12, v16, v20, vcc
	v_mov_b32_e32 v15, 0x3b800000
	v_lshlrev_b32_e32 v11, 20, v11
	v_lshl_add_u32 v12, v12, 23, v15
	v_or3_b32 v11, v14, v12, v11
.LBB6_864:
	s_or_b64 exec, exec, s[6:7]
	s_nop 0
	v_mfma_f32_16x16x4f32 a[0:3], v10, v11, a[0:3]
	s_movk_i32 s4, 0x7f
	v_cmp_gt_i16_sdwa s[6:7], v17, s4 src0_sel:BYTE_0 src1_sel:DWORD
	s_mov_b64 s[4:5], 0
                                        ; implicit-def: $sgpr10
	s_and_saveexec_b64 s[8:9], s[6:7]
	s_xor_b64 s[6:7], exec, s[8:9]
	s_cbranch_execnz .LBB6_2913
; %bb.865:
	s_or_saveexec_b64 s[6:7], s[6:7]
	v_mov_b32_e32 v10, s10
	s_xor_b64 exec, exec, s[6:7]
	s_cbranch_execnz .LBB6_2916
.LBB6_866:
	s_or_b64 exec, exec, s[6:7]
	s_and_saveexec_b64 s[6:7], s[4:5]
	s_cbranch_execz .LBB6_868
.LBB6_867:
	v_and_b32_e32 v10, 7, v17
	v_ffbh_u32_e32 v12, v10
	v_min_u32_e32 v12, 32, v12
	v_lshrrev_b16_e32 v11, 3, v17
	v_subrev_u32_e32 v14, 28, v12
	v_and_b32_e32 v11, 15, v11
	v_lshlrev_b32_e32 v14, v14, v17
	v_sub_u32_e32 v12, 29, v12
	v_and_b32_e32 v14, 7, v14
	v_cmp_eq_u16_e32 vcc, 0, v11
	v_cndmask_b32_e32 v10, v10, v14, vcc
	v_cndmask_b32_e32 v11, v11, v12, vcc
	v_lshlrev_b32_e32 v12, 24, v17
	v_mov_b32_e32 v14, 0x3b800000
	v_lshlrev_b32_e32 v10, 20, v10
	v_and_b32_e32 v12, 0x80000000, v12
	v_lshl_add_u32 v11, v11, 23, v14
	v_or3_b32 v10, v12, v11, v10
.LBB6_868:
	s_or_b64 exec, exec, s[6:7]
	s_movk_i32 s4, 0x7f
	v_cmp_gt_i16_sdwa s[6:7], v13, s4 src0_sel:BYTE_0 src1_sel:DWORD
	s_mov_b64 s[4:5], 0
                                        ; implicit-def: $sgpr10
	s_and_saveexec_b64 s[8:9], s[6:7]
	s_xor_b64 s[6:7], exec, s[8:9]
	s_cbranch_execnz .LBB6_2917
; %bb.869:
	s_or_saveexec_b64 s[6:7], s[6:7]
	v_mov_b32_e32 v11, s10
	s_xor_b64 exec, exec, s[6:7]
	s_cbranch_execnz .LBB6_2920
.LBB6_870:
	s_or_b64 exec, exec, s[6:7]
	s_and_saveexec_b64 s[6:7], s[4:5]
	s_cbranch_execz .LBB6_872
.LBB6_871:
	v_and_b32_e32 v11, 7, v13
	v_ffbh_u32_e32 v14, v11
	v_min_u32_e32 v14, 32, v14
	v_lshrrev_b16_e32 v12, 3, v13
	v_subrev_u32_e32 v15, 28, v14
	v_and_b32_e32 v12, 15, v12
	v_lshlrev_b32_e32 v15, v15, v13
	v_sub_u32_e32 v14, 29, v14
	v_and_b32_e32 v15, 7, v15
	v_cmp_eq_u16_e32 vcc, 0, v12
	v_cndmask_b32_e32 v11, v11, v15, vcc
	v_cndmask_b32_e32 v12, v12, v14, vcc
	v_lshlrev_b32_e32 v14, 24, v13
	v_mov_b32_e32 v15, 0x3b800000
	v_lshlrev_b32_e32 v11, 20, v11
	v_and_b32_e32 v14, 0x80000000, v14
	v_lshl_add_u32 v12, v12, 23, v15
	v_or3_b32 v11, v14, v12, v11
.LBB6_872:
	s_or_b64 exec, exec, s[6:7]
	s_nop 0
	v_mfma_f32_16x16x4f32 a[0:3], v10, v11, a[0:3]
	v_lshrrev_b32_e32 v11, 8, v17
	s_movk_i32 s4, 0x7f
	v_cmp_gt_i16_sdwa s[6:7], v11, s4 src0_sel:BYTE_0 src1_sel:DWORD
	s_mov_b64 s[4:5], 0
                                        ; implicit-def: $sgpr10
	s_and_saveexec_b64 s[8:9], s[6:7]
	s_xor_b64 s[6:7], exec, s[8:9]
	s_cbranch_execnz .LBB6_2921
; %bb.873:
	s_or_saveexec_b64 s[6:7], s[6:7]
	v_mov_b32_e32 v10, s10
	s_xor_b64 exec, exec, s[6:7]
	s_cbranch_execnz .LBB6_2924
.LBB6_874:
	s_or_b64 exec, exec, s[6:7]
	s_and_saveexec_b64 s[6:7], s[4:5]
	s_cbranch_execz .LBB6_876
.LBB6_875:
	v_bfe_u32 v10, v17, 8, 3
	v_ffbh_u32_e32 v14, v10
	v_min_u32_e32 v14, 32, v14
	v_lshrrev_b16_e32 v12, 3, v11
	v_subrev_u32_e32 v15, 28, v14
	v_and_b32_e32 v12, 15, v12
	v_lshlrev_b32_e32 v11, v15, v11
	v_sub_u32_e32 v14, 29, v14
	v_and_b32_e32 v11, 7, v11
	v_cmp_eq_u16_e32 vcc, 0, v12
	v_cndmask_b32_e32 v10, v10, v11, vcc
	v_cndmask_b32_e32 v11, v12, v14, vcc
	v_lshlrev_b32_e32 v12, 16, v17
	v_mov_b32_e32 v14, 0x3b800000
	v_lshlrev_b32_e32 v10, 20, v10
	v_and_b32_e32 v12, 0x80000000, v12
	v_lshl_add_u32 v11, v11, 23, v14
	v_or3_b32 v10, v12, v11, v10
.LBB6_876:
	s_or_b64 exec, exec, s[6:7]
	v_lshrrev_b32_e32 v11, 8, v13
	s_movk_i32 s4, 0x7f
	v_cmp_gt_i16_sdwa s[6:7], v11, s4 src0_sel:BYTE_0 src1_sel:DWORD
	s_mov_b64 s[4:5], 0
                                        ; implicit-def: $sgpr10
	s_and_saveexec_b64 s[8:9], s[6:7]
	s_xor_b64 s[6:7], exec, s[8:9]
	s_cbranch_execnz .LBB6_2925
; %bb.877:
	s_or_saveexec_b64 s[6:7], s[6:7]
	v_mov_b32_e32 v12, s10
	s_xor_b64 exec, exec, s[6:7]
	s_cbranch_execnz .LBB6_2928
.LBB6_878:
	s_or_b64 exec, exec, s[6:7]
	s_and_saveexec_b64 s[6:7], s[4:5]
	s_cbranch_execz .LBB6_880
.LBB6_879:
	v_bfe_u32 v12, v13, 8, 3
	v_ffbh_u32_e32 v15, v12
	v_min_u32_e32 v15, 32, v15
	v_lshrrev_b16_e32 v14, 3, v11
	v_subrev_u32_e32 v16, 28, v15
	v_and_b32_e32 v14, 15, v14
	v_lshlrev_b32_e32 v11, v16, v11
	v_sub_u32_e32 v15, 29, v15
	v_and_b32_e32 v11, 7, v11
	v_cmp_eq_u16_e32 vcc, 0, v14
	v_cndmask_b32_e32 v11, v12, v11, vcc
	v_cndmask_b32_e32 v12, v14, v15, vcc
	v_lshlrev_b32_e32 v14, 16, v13
	v_mov_b32_e32 v15, 0x3b800000
	v_lshlrev_b32_e32 v11, 20, v11
	v_and_b32_e32 v14, 0x80000000, v14
	v_lshl_add_u32 v12, v12, 23, v15
	v_or3_b32 v12, v14, v12, v11
.LBB6_880:
	s_or_b64 exec, exec, s[6:7]
	s_nop 0
	v_mfma_f32_16x16x4f32 a[0:3], v10, v12, a[0:3]
	s_movk_i32 s4, 0xff
	v_and_b32_sdwa v11, v17, s4 dst_sel:DWORD dst_unused:UNUSED_PAD src0_sel:WORD_1 src1_sel:DWORD
	s_movk_i32 s4, 0x7f
	v_cmp_lt_i16_e32 vcc, s4, v11
	s_mov_b64 s[4:5], 0
                                        ; implicit-def: $sgpr10
	s_and_saveexec_b64 s[6:7], vcc
	s_xor_b64 s[6:7], exec, s[6:7]
	s_cbranch_execnz .LBB6_2929
; %bb.881:
	s_or_saveexec_b64 s[6:7], s[6:7]
	v_mov_b32_e32 v10, s10
	s_xor_b64 exec, exec, s[6:7]
	s_cbranch_execnz .LBB6_2932
.LBB6_882:
	s_or_b64 exec, exec, s[6:7]
	s_and_saveexec_b64 s[6:7], s[4:5]
	s_cbranch_execz .LBB6_884
.LBB6_883:
	v_bfe_u32 v10, v17, 16, 3
	v_ffbh_u32_e32 v14, v10
	v_min_u32_e32 v14, 32, v14
	v_lshrrev_b32_e32 v11, 19, v17
	v_subrev_u32_e32 v15, 28, v14
	v_and_b32_e32 v11, 15, v11
	v_lshlrev_b32_sdwa v15, v15, v17 dst_sel:DWORD dst_unused:UNUSED_PAD src0_sel:DWORD src1_sel:WORD_1
	v_bfe_u32 v12, v17, 19, 4
	v_sub_u32_e32 v14, 29, v14
	v_and_b32_e32 v15, 7, v15
	v_cmp_eq_u16_e32 vcc, 0, v11
	v_cndmask_b32_e32 v10, v10, v15, vcc
	v_cndmask_b32_e32 v11, v12, v14, vcc
	v_lshlrev_b32_e32 v12, 8, v17
	v_mov_b32_e32 v14, 0x3b800000
	v_lshlrev_b32_e32 v10, 20, v10
	v_and_b32_e32 v12, 0x80000000, v12
	v_lshl_add_u32 v11, v11, 23, v14
	v_or3_b32 v10, v12, v11, v10
.LBB6_884:
	s_or_b64 exec, exec, s[6:7]
	s_movk_i32 s4, 0xff
	v_and_b32_sdwa v11, v13, s4 dst_sel:DWORD dst_unused:UNUSED_PAD src0_sel:WORD_1 src1_sel:DWORD
	s_movk_i32 s4, 0x7f
	v_cmp_lt_i16_e32 vcc, s4, v11
	s_mov_b64 s[4:5], 0
                                        ; implicit-def: $sgpr10
	s_and_saveexec_b64 s[6:7], vcc
	s_xor_b64 s[6:7], exec, s[6:7]
	s_cbranch_execnz .LBB6_2933
; %bb.885:
	s_or_saveexec_b64 s[6:7], s[6:7]
	v_mov_b32_e32 v12, s10
	s_xor_b64 exec, exec, s[6:7]
	s_cbranch_execnz .LBB6_2936
.LBB6_886:
	s_or_b64 exec, exec, s[6:7]
	s_and_saveexec_b64 s[6:7], s[4:5]
	s_cbranch_execz .LBB6_888
.LBB6_887:
	v_bfe_u32 v11, v13, 16, 3
	v_ffbh_u32_e32 v15, v11
	v_min_u32_e32 v15, 32, v15
	v_lshrrev_b32_e32 v12, 19, v13
	v_subrev_u32_e32 v16, 28, v15
	v_and_b32_e32 v12, 15, v12
	v_lshlrev_b32_sdwa v16, v16, v13 dst_sel:DWORD dst_unused:UNUSED_PAD src0_sel:DWORD src1_sel:WORD_1
	v_bfe_u32 v14, v13, 19, 4
	v_sub_u32_e32 v15, 29, v15
	v_and_b32_e32 v16, 7, v16
	v_cmp_eq_u16_e32 vcc, 0, v12
	v_cndmask_b32_e32 v11, v11, v16, vcc
	v_cndmask_b32_e32 v12, v14, v15, vcc
	v_lshlrev_b32_e32 v14, 8, v13
	v_mov_b32_e32 v15, 0x3b800000
	v_lshlrev_b32_e32 v11, 20, v11
	v_and_b32_e32 v14, 0x80000000, v14
	v_lshl_add_u32 v12, v12, 23, v15
	v_or3_b32 v12, v14, v12, v11
.LBB6_888:
	s_or_b64 exec, exec, s[6:7]
	s_nop 0
	v_mfma_f32_16x16x4f32 a[0:3], v10, v12, a[0:3]
	s_movk_i32 s4, 0x7f
	v_cmp_gt_i16_sdwa s[6:7], v17, s4 src0_sel:BYTE_3 src1_sel:DWORD
	s_mov_b64 s[4:5], 0
                                        ; implicit-def: $sgpr10
	s_and_saveexec_b64 s[8:9], s[6:7]
	s_xor_b64 s[6:7], exec, s[8:9]
	s_cbranch_execnz .LBB6_2937
; %bb.889:
	s_or_saveexec_b64 s[6:7], s[6:7]
	v_mov_b32_e32 v10, s10
	s_xor_b64 exec, exec, s[6:7]
	s_cbranch_execnz .LBB6_2940
.LBB6_890:
	s_or_b64 exec, exec, s[6:7]
	s_and_saveexec_b64 s[6:7], s[4:5]
	s_cbranch_execz .LBB6_892
.LBB6_891:
	v_bfe_u32 v10, v17, 24, 3
	v_ffbh_u32_e32 v15, v10
	v_min_u32_e32 v15, 32, v15
	v_lshrrev_b32_e32 v12, 27, v17
	v_subrev_u32_e32 v16, 28, v15
	v_and_b32_e32 v12, 15, v12
	v_lshlrev_b32_sdwa v16, v16, v17 dst_sel:DWORD dst_unused:UNUSED_PAD src0_sel:DWORD src1_sel:BYTE_3
	v_bfe_u32 v14, v17, 27, 4
	v_sub_u32_e32 v15, 29, v15
	v_and_b32_e32 v16, 7, v16
	v_cmp_eq_u16_e32 vcc, 0, v12
	v_cndmask_b32_e32 v10, v10, v16, vcc
	v_cndmask_b32_e32 v12, v14, v15, vcc
	v_mov_b32_e32 v14, 0x3b800000
	v_and_b32_e32 v11, 0x80000000, v17
	v_lshlrev_b32_e32 v10, 20, v10
	v_lshl_add_u32 v12, v12, 23, v14
	v_or3_b32 v10, v11, v12, v10
.LBB6_892:
	s_or_b64 exec, exec, s[6:7]
	s_movk_i32 s4, 0x7f
	v_cmp_gt_i16_sdwa s[6:7], v13, s4 src0_sel:BYTE_3 src1_sel:DWORD
	s_mov_b64 s[4:5], 0
                                        ; implicit-def: $sgpr10
	s_and_saveexec_b64 s[8:9], s[6:7]
	s_xor_b64 s[6:7], exec, s[8:9]
	s_cbranch_execnz .LBB6_2941
; %bb.893:
	s_or_saveexec_b64 s[6:7], s[6:7]
	v_mov_b32_e32 v11, s10
	s_xor_b64 exec, exec, s[6:7]
	s_cbranch_execnz .LBB6_2944
.LBB6_894:
	s_or_b64 exec, exec, s[6:7]
	s_and_saveexec_b64 s[6:7], s[4:5]
	s_cbranch_execz .LBB6_896
.LBB6_895:
	v_bfe_u32 v11, v13, 24, 3
	v_ffbh_u32_e32 v16, v11
	v_min_u32_e32 v16, 32, v16
	v_lshrrev_b32_e32 v14, 27, v13
	v_subrev_u32_e32 v17, 28, v16
	v_and_b32_e32 v12, 0x80000000, v13
	v_and_b32_e32 v14, 15, v14
	v_bfe_u32 v15, v13, 27, 4
	v_lshlrev_b32_sdwa v13, v17, v13 dst_sel:DWORD dst_unused:UNUSED_PAD src0_sel:DWORD src1_sel:BYTE_3
	v_sub_u32_e32 v16, 29, v16
	v_and_b32_e32 v13, 7, v13
	v_cmp_eq_u16_e32 vcc, 0, v14
	v_cndmask_b32_e32 v11, v11, v13, vcc
	v_cndmask_b32_e32 v13, v15, v16, vcc
	v_mov_b32_e32 v14, 0x3b800000
	v_lshlrev_b32_e32 v11, 20, v11
	v_lshl_add_u32 v13, v13, 23, v14
	v_or3_b32 v11, v12, v13, v11
.LBB6_896:
	s_or_b64 exec, exec, s[6:7]
	s_nop 0
	v_mfma_f32_16x16x4f32 a[0:3], v10, v11, a[0:3]
	s_movk_i32 s4, 0x7f
	v_cmp_gt_i16_sdwa s[6:7], v6, s4 src0_sel:BYTE_0 src1_sel:DWORD
	s_mov_b64 s[4:5], 0
                                        ; implicit-def: $sgpr10
	s_and_saveexec_b64 s[8:9], s[6:7]
	s_xor_b64 s[6:7], exec, s[8:9]
	s_cbranch_execnz .LBB6_2945
; %bb.897:
	s_or_saveexec_b64 s[6:7], s[6:7]
	v_mov_b32_e32 v10, s10
	s_xor_b64 exec, exec, s[6:7]
	s_cbranch_execnz .LBB6_2948
.LBB6_898:
	s_or_b64 exec, exec, s[6:7]
	s_and_saveexec_b64 s[6:7], s[4:5]
	s_cbranch_execz .LBB6_900
.LBB6_899:
	v_and_b32_e32 v10, 7, v6
	v_ffbh_u32_e32 v12, v10
	v_min_u32_e32 v12, 32, v12
	v_lshrrev_b16_e32 v11, 3, v6
	v_subrev_u32_e32 v13, 28, v12
	v_and_b32_e32 v11, 15, v11
	v_lshlrev_b32_e32 v13, v13, v6
	v_sub_u32_e32 v12, 29, v12
	v_and_b32_e32 v13, 7, v13
	v_cmp_eq_u16_e32 vcc, 0, v11
	v_cndmask_b32_e32 v10, v10, v13, vcc
	v_cndmask_b32_e32 v11, v11, v12, vcc
	v_lshlrev_b32_e32 v12, 24, v6
	v_mov_b32_e32 v13, 0x3b800000
	v_lshlrev_b32_e32 v10, 20, v10
	v_and_b32_e32 v12, 0x80000000, v12
	v_lshl_add_u32 v11, v11, 23, v13
	v_or3_b32 v10, v12, v11, v10
.LBB6_900:
	s_or_b64 exec, exec, s[6:7]
	s_movk_i32 s4, 0x7f
	v_cmp_gt_i16_sdwa s[6:7], v2, s4 src0_sel:BYTE_0 src1_sel:DWORD
	s_mov_b64 s[4:5], 0
                                        ; implicit-def: $sgpr10
	s_and_saveexec_b64 s[8:9], s[6:7]
	s_xor_b64 s[6:7], exec, s[8:9]
	s_cbranch_execnz .LBB6_2949
; %bb.901:
	s_or_saveexec_b64 s[6:7], s[6:7]
	v_mov_b32_e32 v11, s10
	s_xor_b64 exec, exec, s[6:7]
	s_cbranch_execnz .LBB6_2952
.LBB6_902:
	s_or_b64 exec, exec, s[6:7]
	s_and_saveexec_b64 s[6:7], s[4:5]
	s_cbranch_execz .LBB6_904
.LBB6_903:
	v_and_b32_e32 v11, 7, v2
	v_ffbh_u32_e32 v13, v11
	v_min_u32_e32 v13, 32, v13
	v_lshrrev_b16_e32 v12, 3, v2
	v_subrev_u32_e32 v14, 28, v13
	v_and_b32_e32 v12, 15, v12
	v_lshlrev_b32_e32 v14, v14, v2
	v_sub_u32_e32 v13, 29, v13
	v_and_b32_e32 v14, 7, v14
	v_cmp_eq_u16_e32 vcc, 0, v12
	v_cndmask_b32_e32 v11, v11, v14, vcc
	v_cndmask_b32_e32 v12, v12, v13, vcc
	v_lshlrev_b32_e32 v13, 24, v2
	v_mov_b32_e32 v14, 0x3b800000
	v_lshlrev_b32_e32 v11, 20, v11
	v_and_b32_e32 v13, 0x80000000, v13
	v_lshl_add_u32 v12, v12, 23, v14
	v_or3_b32 v11, v13, v12, v11
.LBB6_904:
	s_or_b64 exec, exec, s[6:7]
	s_nop 0
	v_mfma_f32_16x16x4f32 a[0:3], v10, v11, a[0:3]
	v_lshrrev_b32_e32 v11, 8, v6
	s_movk_i32 s4, 0x7f
	v_cmp_gt_i16_sdwa s[6:7], v11, s4 src0_sel:BYTE_0 src1_sel:DWORD
	s_mov_b64 s[4:5], 0
                                        ; implicit-def: $sgpr10
	s_and_saveexec_b64 s[8:9], s[6:7]
	s_xor_b64 s[6:7], exec, s[8:9]
	s_cbranch_execnz .LBB6_2953
; %bb.905:
	s_or_saveexec_b64 s[6:7], s[6:7]
	v_mov_b32_e32 v10, s10
	s_xor_b64 exec, exec, s[6:7]
	s_cbranch_execnz .LBB6_2956
.LBB6_906:
	s_or_b64 exec, exec, s[6:7]
	s_and_saveexec_b64 s[6:7], s[4:5]
	s_cbranch_execz .LBB6_908
.LBB6_907:
	v_bfe_u32 v10, v6, 8, 3
	v_ffbh_u32_e32 v13, v10
	v_min_u32_e32 v13, 32, v13
	v_lshrrev_b16_e32 v12, 3, v11
	v_subrev_u32_e32 v14, 28, v13
	v_and_b32_e32 v12, 15, v12
	v_lshlrev_b32_e32 v11, v14, v11
	v_sub_u32_e32 v13, 29, v13
	v_and_b32_e32 v11, 7, v11
	v_cmp_eq_u16_e32 vcc, 0, v12
	v_cndmask_b32_e32 v10, v10, v11, vcc
	v_cndmask_b32_e32 v11, v12, v13, vcc
	v_lshlrev_b32_e32 v12, 16, v6
	v_mov_b32_e32 v13, 0x3b800000
	v_lshlrev_b32_e32 v10, 20, v10
	v_and_b32_e32 v12, 0x80000000, v12
	v_lshl_add_u32 v11, v11, 23, v13
	v_or3_b32 v10, v12, v11, v10
.LBB6_908:
	s_or_b64 exec, exec, s[6:7]
	v_lshrrev_b32_e32 v11, 8, v2
	s_movk_i32 s4, 0x7f
	v_cmp_gt_i16_sdwa s[6:7], v11, s4 src0_sel:BYTE_0 src1_sel:DWORD
	s_mov_b64 s[4:5], 0
                                        ; implicit-def: $sgpr10
	s_and_saveexec_b64 s[8:9], s[6:7]
	s_xor_b64 s[6:7], exec, s[8:9]
	s_cbranch_execnz .LBB6_2957
; %bb.909:
	s_or_saveexec_b64 s[6:7], s[6:7]
	v_mov_b32_e32 v12, s10
	s_xor_b64 exec, exec, s[6:7]
	s_cbranch_execnz .LBB6_2960
.LBB6_910:
	s_or_b64 exec, exec, s[6:7]
	s_and_saveexec_b64 s[6:7], s[4:5]
	s_cbranch_execz .LBB6_912
.LBB6_911:
	v_bfe_u32 v12, v2, 8, 3
	v_ffbh_u32_e32 v14, v12
	v_min_u32_e32 v14, 32, v14
	v_lshrrev_b16_e32 v13, 3, v11
	v_subrev_u32_e32 v15, 28, v14
	v_and_b32_e32 v13, 15, v13
	v_lshlrev_b32_e32 v11, v15, v11
	v_sub_u32_e32 v14, 29, v14
	v_and_b32_e32 v11, 7, v11
	v_cmp_eq_u16_e32 vcc, 0, v13
	v_cndmask_b32_e32 v11, v12, v11, vcc
	v_cndmask_b32_e32 v12, v13, v14, vcc
	v_lshlrev_b32_e32 v13, 16, v2
	v_mov_b32_e32 v14, 0x3b800000
	v_lshlrev_b32_e32 v11, 20, v11
	v_and_b32_e32 v13, 0x80000000, v13
	v_lshl_add_u32 v12, v12, 23, v14
	v_or3_b32 v12, v13, v12, v11
.LBB6_912:
	s_or_b64 exec, exec, s[6:7]
	s_nop 0
	v_mfma_f32_16x16x4f32 a[0:3], v10, v12, a[0:3]
	s_movk_i32 s4, 0xff
	v_and_b32_sdwa v11, v6, s4 dst_sel:DWORD dst_unused:UNUSED_PAD src0_sel:WORD_1 src1_sel:DWORD
	s_movk_i32 s4, 0x7f
	v_cmp_lt_i16_e32 vcc, s4, v11
	s_mov_b64 s[4:5], 0
                                        ; implicit-def: $sgpr10
	s_and_saveexec_b64 s[6:7], vcc
	s_xor_b64 s[6:7], exec, s[6:7]
	s_cbranch_execnz .LBB6_2961
; %bb.913:
	s_or_saveexec_b64 s[6:7], s[6:7]
	v_mov_b32_e32 v10, s10
	s_xor_b64 exec, exec, s[6:7]
	s_cbranch_execnz .LBB6_2964
.LBB6_914:
	s_or_b64 exec, exec, s[6:7]
	s_and_saveexec_b64 s[6:7], s[4:5]
	s_cbranch_execz .LBB6_916
.LBB6_915:
	v_bfe_u32 v10, v6, 16, 3
	v_ffbh_u32_e32 v13, v10
	v_min_u32_e32 v13, 32, v13
	v_lshrrev_b32_e32 v11, 19, v6
	v_subrev_u32_e32 v14, 28, v13
	v_and_b32_e32 v11, 15, v11
	v_lshlrev_b32_sdwa v14, v14, v6 dst_sel:DWORD dst_unused:UNUSED_PAD src0_sel:DWORD src1_sel:WORD_1
	v_bfe_u32 v12, v6, 19, 4
	v_sub_u32_e32 v13, 29, v13
	v_and_b32_e32 v14, 7, v14
	v_cmp_eq_u16_e32 vcc, 0, v11
	v_cndmask_b32_e32 v10, v10, v14, vcc
	v_cndmask_b32_e32 v11, v12, v13, vcc
	v_lshlrev_b32_e32 v12, 8, v6
	v_mov_b32_e32 v13, 0x3b800000
	v_lshlrev_b32_e32 v10, 20, v10
	v_and_b32_e32 v12, 0x80000000, v12
	v_lshl_add_u32 v11, v11, 23, v13
	v_or3_b32 v10, v12, v11, v10
.LBB6_916:
	s_or_b64 exec, exec, s[6:7]
	s_movk_i32 s4, 0xff
	v_and_b32_sdwa v11, v2, s4 dst_sel:DWORD dst_unused:UNUSED_PAD src0_sel:WORD_1 src1_sel:DWORD
	s_movk_i32 s4, 0x7f
	v_cmp_lt_i16_e32 vcc, s4, v11
	s_mov_b64 s[4:5], 0
                                        ; implicit-def: $sgpr10
	s_and_saveexec_b64 s[6:7], vcc
	s_xor_b64 s[6:7], exec, s[6:7]
	s_cbranch_execnz .LBB6_2965
; %bb.917:
	s_or_saveexec_b64 s[6:7], s[6:7]
	v_mov_b32_e32 v12, s10
	s_xor_b64 exec, exec, s[6:7]
	s_cbranch_execnz .LBB6_2968
.LBB6_918:
	s_or_b64 exec, exec, s[6:7]
	s_and_saveexec_b64 s[6:7], s[4:5]
	s_cbranch_execz .LBB6_920
.LBB6_919:
	v_bfe_u32 v11, v2, 16, 3
	v_ffbh_u32_e32 v14, v11
	v_min_u32_e32 v14, 32, v14
	v_lshrrev_b32_e32 v12, 19, v2
	v_subrev_u32_e32 v15, 28, v14
	v_and_b32_e32 v12, 15, v12
	v_lshlrev_b32_sdwa v15, v15, v2 dst_sel:DWORD dst_unused:UNUSED_PAD src0_sel:DWORD src1_sel:WORD_1
	v_bfe_u32 v13, v2, 19, 4
	v_sub_u32_e32 v14, 29, v14
	v_and_b32_e32 v15, 7, v15
	v_cmp_eq_u16_e32 vcc, 0, v12
	v_cndmask_b32_e32 v11, v11, v15, vcc
	v_cndmask_b32_e32 v12, v13, v14, vcc
	v_lshlrev_b32_e32 v13, 8, v2
	v_mov_b32_e32 v14, 0x3b800000
	v_lshlrev_b32_e32 v11, 20, v11
	v_and_b32_e32 v13, 0x80000000, v13
	v_lshl_add_u32 v12, v12, 23, v14
	v_or3_b32 v12, v13, v12, v11
.LBB6_920:
	s_or_b64 exec, exec, s[6:7]
	s_nop 0
	v_mfma_f32_16x16x4f32 a[0:3], v10, v12, a[0:3]
	s_movk_i32 s4, 0x7f
	v_cmp_gt_i16_sdwa s[6:7], v6, s4 src0_sel:BYTE_3 src1_sel:DWORD
	s_mov_b64 s[4:5], 0
                                        ; implicit-def: $sgpr10
	s_and_saveexec_b64 s[8:9], s[6:7]
	s_xor_b64 s[6:7], exec, s[8:9]
	s_cbranch_execnz .LBB6_2969
; %bb.921:
	s_or_saveexec_b64 s[6:7], s[6:7]
	v_mov_b32_e32 v10, s10
	s_xor_b64 exec, exec, s[6:7]
	s_cbranch_execnz .LBB6_2972
.LBB6_922:
	s_or_b64 exec, exec, s[6:7]
	s_and_saveexec_b64 s[6:7], s[4:5]
	s_cbranch_execz .LBB6_924
.LBB6_923:
	v_bfe_u32 v10, v6, 24, 3
	v_ffbh_u32_e32 v14, v10
	v_min_u32_e32 v14, 32, v14
	v_lshrrev_b32_e32 v12, 27, v6
	v_subrev_u32_e32 v15, 28, v14
	v_and_b32_e32 v11, 0x80000000, v6
	v_and_b32_e32 v12, 15, v12
	v_bfe_u32 v13, v6, 27, 4
	v_lshlrev_b32_sdwa v6, v15, v6 dst_sel:DWORD dst_unused:UNUSED_PAD src0_sel:DWORD src1_sel:BYTE_3
	v_sub_u32_e32 v14, 29, v14
	v_and_b32_e32 v6, 7, v6
	v_cmp_eq_u16_e32 vcc, 0, v12
	v_cndmask_b32_e32 v6, v10, v6, vcc
	v_cndmask_b32_e32 v10, v13, v14, vcc
	v_mov_b32_e32 v12, 0x3b800000
	v_lshlrev_b32_e32 v6, 20, v6
	v_lshl_add_u32 v10, v10, 23, v12
	v_or3_b32 v10, v11, v10, v6
.LBB6_924:
	s_or_b64 exec, exec, s[6:7]
	s_movk_i32 s4, 0x7f
	v_cmp_gt_i16_sdwa s[6:7], v2, s4 src0_sel:BYTE_3 src1_sel:DWORD
	s_mov_b64 s[4:5], 0
                                        ; implicit-def: $sgpr10
	s_and_saveexec_b64 s[8:9], s[6:7]
	s_xor_b64 s[6:7], exec, s[8:9]
	s_cbranch_execnz .LBB6_2973
; %bb.925:
	s_or_saveexec_b64 s[6:7], s[6:7]
	v_mov_b32_e32 v6, s10
	s_xor_b64 exec, exec, s[6:7]
	s_cbranch_execnz .LBB6_2976
.LBB6_926:
	s_or_b64 exec, exec, s[6:7]
	s_and_saveexec_b64 s[6:7], s[4:5]
	s_cbranch_execz .LBB6_928
.LBB6_927:
	v_bfe_u32 v6, v2, 24, 3
	v_ffbh_u32_e32 v14, v6
	v_min_u32_e32 v14, 32, v14
	v_lshrrev_b32_e32 v12, 27, v2
	v_subrev_u32_e32 v15, 28, v14
	v_and_b32_e32 v11, 0x80000000, v2
	v_and_b32_e32 v12, 15, v12
	v_bfe_u32 v13, v2, 27, 4
	v_lshlrev_b32_sdwa v2, v15, v2 dst_sel:DWORD dst_unused:UNUSED_PAD src0_sel:DWORD src1_sel:BYTE_3
	v_sub_u32_e32 v14, 29, v14
	v_and_b32_e32 v2, 7, v2
	v_cmp_eq_u16_e32 vcc, 0, v12
	v_cndmask_b32_e32 v2, v6, v2, vcc
	v_cndmask_b32_e32 v6, v13, v14, vcc
	v_mov_b32_e32 v12, 0x3b800000
	v_lshlrev_b32_e32 v2, 20, v2
	v_lshl_add_u32 v6, v6, 23, v12
	v_or3_b32 v6, v11, v6, v2
.LBB6_928:
	s_or_b64 exec, exec, s[6:7]
	s_nop 0
	v_mfma_f32_16x16x4f32 a[0:3], v10, v6, a[0:3]
	s_movk_i32 s4, 0x7f
	v_cmp_gt_i16_sdwa s[6:7], v7, s4 src0_sel:BYTE_0 src1_sel:DWORD
	s_mov_b64 s[4:5], 0
                                        ; implicit-def: $sgpr10
	s_and_saveexec_b64 s[8:9], s[6:7]
	s_xor_b64 s[6:7], exec, s[8:9]
	s_cbranch_execnz .LBB6_2977
; %bb.929:
	s_or_saveexec_b64 s[6:7], s[6:7]
	v_mov_b32_e32 v2, s10
	s_xor_b64 exec, exec, s[6:7]
	s_cbranch_execnz .LBB6_2980
.LBB6_930:
	s_or_b64 exec, exec, s[6:7]
	s_and_saveexec_b64 s[6:7], s[4:5]
	s_cbranch_execz .LBB6_932
.LBB6_931:
	v_and_b32_e32 v2, 7, v7
	v_ffbh_u32_e32 v10, v2
	v_min_u32_e32 v10, 32, v10
	v_lshrrev_b16_e32 v6, 3, v7
	v_subrev_u32_e32 v11, 28, v10
	v_and_b32_e32 v6, 15, v6
	v_lshlrev_b32_e32 v11, v11, v7
	v_sub_u32_e32 v10, 29, v10
	v_and_b32_e32 v11, 7, v11
	v_cmp_eq_u16_e32 vcc, 0, v6
	v_cndmask_b32_e32 v2, v2, v11, vcc
	v_cndmask_b32_e32 v6, v6, v10, vcc
	v_lshlrev_b32_e32 v10, 24, v7
	v_mov_b32_e32 v11, 0x3b800000
	v_lshlrev_b32_e32 v2, 20, v2
	v_and_b32_e32 v10, 0x80000000, v10
	v_lshl_add_u32 v6, v6, 23, v11
	v_or3_b32 v2, v10, v6, v2
.LBB6_932:
	s_or_b64 exec, exec, s[6:7]
	s_movk_i32 s4, 0x7f
	v_cmp_gt_i16_sdwa s[6:7], v3, s4 src0_sel:BYTE_0 src1_sel:DWORD
	s_mov_b64 s[4:5], 0
                                        ; implicit-def: $sgpr10
	s_and_saveexec_b64 s[8:9], s[6:7]
	s_xor_b64 s[6:7], exec, s[8:9]
	s_cbranch_execnz .LBB6_2981
; %bb.933:
	s_or_saveexec_b64 s[6:7], s[6:7]
	v_mov_b32_e32 v6, s10
	s_xor_b64 exec, exec, s[6:7]
	s_cbranch_execnz .LBB6_2984
.LBB6_934:
	s_or_b64 exec, exec, s[6:7]
	s_and_saveexec_b64 s[6:7], s[4:5]
	s_cbranch_execz .LBB6_936
.LBB6_935:
	v_and_b32_e32 v6, 7, v3
	v_ffbh_u32_e32 v11, v6
	v_min_u32_e32 v11, 32, v11
	v_lshrrev_b16_e32 v10, 3, v3
	v_subrev_u32_e32 v12, 28, v11
	v_and_b32_e32 v10, 15, v10
	v_lshlrev_b32_e32 v12, v12, v3
	v_sub_u32_e32 v11, 29, v11
	v_and_b32_e32 v12, 7, v12
	v_cmp_eq_u16_e32 vcc, 0, v10
	v_cndmask_b32_e32 v6, v6, v12, vcc
	v_cndmask_b32_e32 v10, v10, v11, vcc
	v_lshlrev_b32_e32 v11, 24, v3
	v_mov_b32_e32 v12, 0x3b800000
	v_lshlrev_b32_e32 v6, 20, v6
	v_and_b32_e32 v11, 0x80000000, v11
	v_lshl_add_u32 v10, v10, 23, v12
	v_or3_b32 v6, v11, v10, v6
.LBB6_936:
	s_or_b64 exec, exec, s[6:7]
	s_nop 0
	v_mfma_f32_16x16x4f32 a[0:3], v2, v6, a[0:3]
	v_lshrrev_b32_e32 v6, 8, v7
	s_movk_i32 s4, 0x7f
	v_cmp_gt_i16_sdwa s[6:7], v6, s4 src0_sel:BYTE_0 src1_sel:DWORD
	s_mov_b64 s[4:5], 0
                                        ; implicit-def: $sgpr10
	s_and_saveexec_b64 s[8:9], s[6:7]
	s_xor_b64 s[6:7], exec, s[8:9]
	s_cbranch_execnz .LBB6_2985
; %bb.937:
	s_or_saveexec_b64 s[6:7], s[6:7]
	v_mov_b32_e32 v2, s10
	s_xor_b64 exec, exec, s[6:7]
	s_cbranch_execnz .LBB6_2988
.LBB6_938:
	s_or_b64 exec, exec, s[6:7]
	s_and_saveexec_b64 s[6:7], s[4:5]
	s_cbranch_execz .LBB6_940
.LBB6_939:
	v_bfe_u32 v2, v7, 8, 3
	v_ffbh_u32_e32 v11, v2
	v_min_u32_e32 v11, 32, v11
	v_lshrrev_b16_e32 v10, 3, v6
	v_subrev_u32_e32 v12, 28, v11
	v_and_b32_e32 v10, 15, v10
	v_lshlrev_b32_e32 v6, v12, v6
	v_sub_u32_e32 v11, 29, v11
	v_and_b32_e32 v6, 7, v6
	v_cmp_eq_u16_e32 vcc, 0, v10
	v_cndmask_b32_e32 v2, v2, v6, vcc
	v_cndmask_b32_e32 v6, v10, v11, vcc
	v_lshlrev_b32_e32 v10, 16, v7
	v_mov_b32_e32 v11, 0x3b800000
	v_lshlrev_b32_e32 v2, 20, v2
	v_and_b32_e32 v10, 0x80000000, v10
	v_lshl_add_u32 v6, v6, 23, v11
	v_or3_b32 v2, v10, v6, v2
.LBB6_940:
	s_or_b64 exec, exec, s[6:7]
	v_lshrrev_b32_e32 v6, 8, v3
	s_movk_i32 s4, 0x7f
	v_cmp_gt_i16_sdwa s[6:7], v6, s4 src0_sel:BYTE_0 src1_sel:DWORD
	s_mov_b64 s[4:5], 0
                                        ; implicit-def: $sgpr10
	s_and_saveexec_b64 s[8:9], s[6:7]
	s_xor_b64 s[6:7], exec, s[8:9]
	s_cbranch_execnz .LBB6_2989
; %bb.941:
	s_or_saveexec_b64 s[6:7], s[6:7]
	v_mov_b32_e32 v10, s10
	s_xor_b64 exec, exec, s[6:7]
	s_cbranch_execnz .LBB6_2992
.LBB6_942:
	s_or_b64 exec, exec, s[6:7]
	s_and_saveexec_b64 s[6:7], s[4:5]
	s_cbranch_execz .LBB6_944
.LBB6_943:
	v_bfe_u32 v10, v3, 8, 3
	v_ffbh_u32_e32 v12, v10
	v_min_u32_e32 v12, 32, v12
	v_lshrrev_b16_e32 v11, 3, v6
	v_subrev_u32_e32 v13, 28, v12
	v_and_b32_e32 v11, 15, v11
	v_lshlrev_b32_e32 v6, v13, v6
	v_sub_u32_e32 v12, 29, v12
	v_and_b32_e32 v6, 7, v6
	v_cmp_eq_u16_e32 vcc, 0, v11
	v_cndmask_b32_e32 v6, v10, v6, vcc
	v_cndmask_b32_e32 v10, v11, v12, vcc
	v_lshlrev_b32_e32 v11, 16, v3
	v_mov_b32_e32 v12, 0x3b800000
	v_lshlrev_b32_e32 v6, 20, v6
	v_and_b32_e32 v11, 0x80000000, v11
	v_lshl_add_u32 v10, v10, 23, v12
	v_or3_b32 v10, v11, v10, v6
.LBB6_944:
	s_or_b64 exec, exec, s[6:7]
	s_nop 0
	v_mfma_f32_16x16x4f32 a[0:3], v2, v10, a[0:3]
	s_movk_i32 s4, 0xff
	v_and_b32_sdwa v6, v7, s4 dst_sel:DWORD dst_unused:UNUSED_PAD src0_sel:WORD_1 src1_sel:DWORD
	s_movk_i32 s4, 0x7f
	v_cmp_lt_i16_e32 vcc, s4, v6
	s_mov_b64 s[4:5], 0
                                        ; implicit-def: $sgpr10
	s_and_saveexec_b64 s[6:7], vcc
	s_xor_b64 s[6:7], exec, s[6:7]
	s_cbranch_execnz .LBB6_2993
; %bb.945:
	s_or_saveexec_b64 s[6:7], s[6:7]
	v_mov_b32_e32 v2, s10
	s_xor_b64 exec, exec, s[6:7]
	s_cbranch_execnz .LBB6_2996
.LBB6_946:
	s_or_b64 exec, exec, s[6:7]
	s_and_saveexec_b64 s[6:7], s[4:5]
	s_cbranch_execz .LBB6_948
.LBB6_947:
	v_bfe_u32 v2, v7, 16, 3
	v_ffbh_u32_e32 v11, v2
	v_min_u32_e32 v11, 32, v11
	v_lshrrev_b32_e32 v6, 19, v7
	v_subrev_u32_e32 v12, 28, v11
	v_and_b32_e32 v6, 15, v6
	v_lshlrev_b32_sdwa v12, v12, v7 dst_sel:DWORD dst_unused:UNUSED_PAD src0_sel:DWORD src1_sel:WORD_1
	v_bfe_u32 v10, v7, 19, 4
	v_sub_u32_e32 v11, 29, v11
	v_and_b32_e32 v12, 7, v12
	v_cmp_eq_u16_e32 vcc, 0, v6
	v_cndmask_b32_e32 v2, v2, v12, vcc
	v_cndmask_b32_e32 v6, v10, v11, vcc
	v_lshlrev_b32_e32 v10, 8, v7
	v_mov_b32_e32 v11, 0x3b800000
	v_lshlrev_b32_e32 v2, 20, v2
	v_and_b32_e32 v10, 0x80000000, v10
	v_lshl_add_u32 v6, v6, 23, v11
	v_or3_b32 v2, v10, v6, v2
.LBB6_948:
	s_or_b64 exec, exec, s[6:7]
	s_movk_i32 s4, 0xff
	v_and_b32_sdwa v6, v3, s4 dst_sel:DWORD dst_unused:UNUSED_PAD src0_sel:WORD_1 src1_sel:DWORD
	s_movk_i32 s4, 0x7f
	v_cmp_lt_i16_e32 vcc, s4, v6
	s_mov_b64 s[4:5], 0
                                        ; implicit-def: $sgpr10
	s_and_saveexec_b64 s[6:7], vcc
	s_xor_b64 s[6:7], exec, s[6:7]
	s_cbranch_execnz .LBB6_2997
; %bb.949:
	s_or_saveexec_b64 s[6:7], s[6:7]
	v_mov_b32_e32 v10, s10
	s_xor_b64 exec, exec, s[6:7]
	s_cbranch_execnz .LBB6_3000
.LBB6_950:
	s_or_b64 exec, exec, s[6:7]
	s_and_saveexec_b64 s[6:7], s[4:5]
	s_cbranch_execz .LBB6_952
.LBB6_951:
	v_bfe_u32 v6, v3, 16, 3
	v_ffbh_u32_e32 v12, v6
	v_min_u32_e32 v12, 32, v12
	v_lshrrev_b32_e32 v10, 19, v3
	v_subrev_u32_e32 v13, 28, v12
	v_and_b32_e32 v10, 15, v10
	v_lshlrev_b32_sdwa v13, v13, v3 dst_sel:DWORD dst_unused:UNUSED_PAD src0_sel:DWORD src1_sel:WORD_1
	v_bfe_u32 v11, v3, 19, 4
	v_sub_u32_e32 v12, 29, v12
	v_and_b32_e32 v13, 7, v13
	v_cmp_eq_u16_e32 vcc, 0, v10
	v_cndmask_b32_e32 v6, v6, v13, vcc
	v_cndmask_b32_e32 v10, v11, v12, vcc
	v_lshlrev_b32_e32 v11, 8, v3
	v_mov_b32_e32 v12, 0x3b800000
	v_lshlrev_b32_e32 v6, 20, v6
	v_and_b32_e32 v11, 0x80000000, v11
	v_lshl_add_u32 v10, v10, 23, v12
	v_or3_b32 v10, v11, v10, v6
.LBB6_952:
	s_or_b64 exec, exec, s[6:7]
	s_nop 0
	v_mfma_f32_16x16x4f32 a[0:3], v2, v10, a[0:3]
	s_movk_i32 s4, 0x7f
	v_cmp_gt_i16_sdwa s[6:7], v7, s4 src0_sel:BYTE_3 src1_sel:DWORD
	s_mov_b64 s[4:5], 0
                                        ; implicit-def: $sgpr10
	s_and_saveexec_b64 s[8:9], s[6:7]
	s_xor_b64 s[6:7], exec, s[8:9]
	s_cbranch_execnz .LBB6_3001
; %bb.953:
	s_or_saveexec_b64 s[6:7], s[6:7]
	v_mov_b32_e32 v2, s10
	s_xor_b64 exec, exec, s[6:7]
	s_cbranch_execnz .LBB6_3004
.LBB6_954:
	s_or_b64 exec, exec, s[6:7]
	s_and_saveexec_b64 s[6:7], s[4:5]
	s_cbranch_execz .LBB6_956
.LBB6_955:
	v_bfe_u32 v2, v7, 24, 3
	v_ffbh_u32_e32 v12, v2
	v_min_u32_e32 v12, 32, v12
	v_lshrrev_b32_e32 v10, 27, v7
	v_subrev_u32_e32 v13, 28, v12
	v_and_b32_e32 v6, 0x80000000, v7
	v_and_b32_e32 v10, 15, v10
	v_bfe_u32 v11, v7, 27, 4
	v_lshlrev_b32_sdwa v7, v13, v7 dst_sel:DWORD dst_unused:UNUSED_PAD src0_sel:DWORD src1_sel:BYTE_3
	v_sub_u32_e32 v12, 29, v12
	v_and_b32_e32 v7, 7, v7
	v_cmp_eq_u16_e32 vcc, 0, v10
	v_cndmask_b32_e32 v2, v2, v7, vcc
	v_cndmask_b32_e32 v7, v11, v12, vcc
	v_mov_b32_e32 v10, 0x3b800000
	v_lshlrev_b32_e32 v2, 20, v2
	v_lshl_add_u32 v7, v7, 23, v10
	v_or3_b32 v2, v6, v7, v2
.LBB6_956:
	s_or_b64 exec, exec, s[6:7]
	s_movk_i32 s4, 0x7f
	v_cmp_gt_i16_sdwa s[6:7], v3, s4 src0_sel:BYTE_3 src1_sel:DWORD
	s_mov_b64 s[4:5], 0
                                        ; implicit-def: $sgpr10
	s_and_saveexec_b64 s[8:9], s[6:7]
	s_xor_b64 s[6:7], exec, s[8:9]
	s_cbranch_execnz .LBB6_3005
; %bb.957:
	s_or_saveexec_b64 s[6:7], s[6:7]
	v_mov_b32_e32 v6, s10
	s_xor_b64 exec, exec, s[6:7]
	s_cbranch_execnz .LBB6_3008
.LBB6_958:
	s_or_b64 exec, exec, s[6:7]
	s_and_saveexec_b64 s[6:7], s[4:5]
	s_cbranch_execz .LBB6_960
.LBB6_959:
	v_bfe_u32 v6, v3, 24, 3
	v_ffbh_u32_e32 v12, v6
	v_min_u32_e32 v12, 32, v12
	v_lshrrev_b32_e32 v10, 27, v3
	v_subrev_u32_e32 v13, 28, v12
	v_and_b32_e32 v7, 0x80000000, v3
	v_and_b32_e32 v10, 15, v10
	v_bfe_u32 v11, v3, 27, 4
	v_lshlrev_b32_sdwa v3, v13, v3 dst_sel:DWORD dst_unused:UNUSED_PAD src0_sel:DWORD src1_sel:BYTE_3
	v_sub_u32_e32 v12, 29, v12
	v_and_b32_e32 v3, 7, v3
	v_cmp_eq_u16_e32 vcc, 0, v10
	v_cndmask_b32_e32 v3, v6, v3, vcc
	v_cndmask_b32_e32 v6, v11, v12, vcc
	v_mov_b32_e32 v10, 0x3b800000
	v_lshlrev_b32_e32 v3, 20, v3
	v_lshl_add_u32 v6, v6, 23, v10
	v_or3_b32 v6, v7, v6, v3
.LBB6_960:
	s_or_b64 exec, exec, s[6:7]
	s_nop 0
	v_mfma_f32_16x16x4f32 a[0:3], v2, v6, a[0:3]
	s_movk_i32 s4, 0x7f
	v_cmp_gt_i16_sdwa s[6:7], v8, s4 src0_sel:BYTE_0 src1_sel:DWORD
	s_mov_b64 s[4:5], 0
                                        ; implicit-def: $sgpr10
	s_and_saveexec_b64 s[8:9], s[6:7]
	s_xor_b64 s[6:7], exec, s[8:9]
	s_cbranch_execnz .LBB6_3009
; %bb.961:
	s_or_saveexec_b64 s[6:7], s[6:7]
	v_mov_b32_e32 v2, s10
	s_xor_b64 exec, exec, s[6:7]
	s_cbranch_execnz .LBB6_3012
.LBB6_962:
	s_or_b64 exec, exec, s[6:7]
	s_and_saveexec_b64 s[6:7], s[4:5]
	s_cbranch_execz .LBB6_964
.LBB6_963:
	v_and_b32_e32 v2, 7, v8
	v_ffbh_u32_e32 v6, v2
	v_min_u32_e32 v6, 32, v6
	v_lshrrev_b16_e32 v3, 3, v8
	v_subrev_u32_e32 v7, 28, v6
	v_and_b32_e32 v3, 15, v3
	v_lshlrev_b32_e32 v7, v7, v8
	v_sub_u32_e32 v6, 29, v6
	v_and_b32_e32 v7, 7, v7
	v_cmp_eq_u16_e32 vcc, 0, v3
	v_cndmask_b32_e32 v2, v2, v7, vcc
	v_cndmask_b32_e32 v3, v3, v6, vcc
	v_lshlrev_b32_e32 v6, 24, v8
	v_mov_b32_e32 v7, 0x3b800000
	v_lshlrev_b32_e32 v2, 20, v2
	v_and_b32_e32 v6, 0x80000000, v6
	v_lshl_add_u32 v3, v3, 23, v7
	v_or3_b32 v2, v6, v3, v2
.LBB6_964:
	s_or_b64 exec, exec, s[6:7]
	s_movk_i32 s4, 0x7f
	v_cmp_gt_i16_sdwa s[6:7], v4, s4 src0_sel:BYTE_0 src1_sel:DWORD
	s_mov_b64 s[4:5], 0
                                        ; implicit-def: $sgpr10
	s_and_saveexec_b64 s[8:9], s[6:7]
	s_xor_b64 s[6:7], exec, s[8:9]
	s_cbranch_execnz .LBB6_3013
; %bb.965:
	s_or_saveexec_b64 s[6:7], s[6:7]
	v_mov_b32_e32 v3, s10
	s_xor_b64 exec, exec, s[6:7]
	s_cbranch_execnz .LBB6_3016
.LBB6_966:
	s_or_b64 exec, exec, s[6:7]
	s_and_saveexec_b64 s[6:7], s[4:5]
	s_cbranch_execz .LBB6_968
.LBB6_967:
	v_and_b32_e32 v3, 7, v4
	v_ffbh_u32_e32 v7, v3
	v_min_u32_e32 v7, 32, v7
	v_lshrrev_b16_e32 v6, 3, v4
	v_subrev_u32_e32 v10, 28, v7
	v_and_b32_e32 v6, 15, v6
	v_lshlrev_b32_e32 v10, v10, v4
	v_sub_u32_e32 v7, 29, v7
	v_and_b32_e32 v10, 7, v10
	v_cmp_eq_u16_e32 vcc, 0, v6
	v_cndmask_b32_e32 v3, v3, v10, vcc
	v_cndmask_b32_e32 v6, v6, v7, vcc
	v_lshlrev_b32_e32 v7, 24, v4
	v_mov_b32_e32 v10, 0x3b800000
	v_lshlrev_b32_e32 v3, 20, v3
	v_and_b32_e32 v7, 0x80000000, v7
	v_lshl_add_u32 v6, v6, 23, v10
	v_or3_b32 v3, v7, v6, v3
.LBB6_968:
	s_or_b64 exec, exec, s[6:7]
	s_nop 0
	v_mfma_f32_16x16x4f32 a[0:3], v2, v3, a[0:3]
	v_lshrrev_b32_e32 v3, 8, v8
	s_movk_i32 s4, 0x7f
	v_cmp_gt_i16_sdwa s[6:7], v3, s4 src0_sel:BYTE_0 src1_sel:DWORD
	s_mov_b64 s[4:5], 0
                                        ; implicit-def: $sgpr10
	s_and_saveexec_b64 s[8:9], s[6:7]
	s_xor_b64 s[6:7], exec, s[8:9]
	s_cbranch_execnz .LBB6_3017
; %bb.969:
	s_or_saveexec_b64 s[6:7], s[6:7]
	v_mov_b32_e32 v2, s10
	s_xor_b64 exec, exec, s[6:7]
	s_cbranch_execnz .LBB6_3020
.LBB6_970:
	s_or_b64 exec, exec, s[6:7]
	s_and_saveexec_b64 s[6:7], s[4:5]
	s_cbranch_execz .LBB6_972
.LBB6_971:
	v_bfe_u32 v2, v8, 8, 3
	v_ffbh_u32_e32 v7, v2
	v_min_u32_e32 v7, 32, v7
	v_lshrrev_b16_e32 v6, 3, v3
	v_subrev_u32_e32 v10, 28, v7
	v_and_b32_e32 v6, 15, v6
	v_lshlrev_b32_e32 v3, v10, v3
	v_sub_u32_e32 v7, 29, v7
	v_and_b32_e32 v3, 7, v3
	v_cmp_eq_u16_e32 vcc, 0, v6
	v_cndmask_b32_e32 v2, v2, v3, vcc
	v_cndmask_b32_e32 v3, v6, v7, vcc
	v_lshlrev_b32_e32 v6, 16, v8
	v_mov_b32_e32 v7, 0x3b800000
	v_lshlrev_b32_e32 v2, 20, v2
	v_and_b32_e32 v6, 0x80000000, v6
	v_lshl_add_u32 v3, v3, 23, v7
	v_or3_b32 v2, v6, v3, v2
.LBB6_972:
	s_or_b64 exec, exec, s[6:7]
	v_lshrrev_b32_e32 v3, 8, v4
	s_movk_i32 s4, 0x7f
	v_cmp_gt_i16_sdwa s[6:7], v3, s4 src0_sel:BYTE_0 src1_sel:DWORD
	s_mov_b64 s[4:5], 0
                                        ; implicit-def: $sgpr10
	s_and_saveexec_b64 s[8:9], s[6:7]
	s_xor_b64 s[6:7], exec, s[8:9]
	s_cbranch_execnz .LBB6_3021
; %bb.973:
	s_or_saveexec_b64 s[6:7], s[6:7]
	v_mov_b32_e32 v6, s10
	s_xor_b64 exec, exec, s[6:7]
	s_cbranch_execnz .LBB6_3024
.LBB6_974:
	s_or_b64 exec, exec, s[6:7]
	s_and_saveexec_b64 s[6:7], s[4:5]
	s_cbranch_execz .LBB6_976
.LBB6_975:
	v_bfe_u32 v6, v4, 8, 3
	v_ffbh_u32_e32 v10, v6
	v_min_u32_e32 v10, 32, v10
	v_lshrrev_b16_e32 v7, 3, v3
	v_subrev_u32_e32 v11, 28, v10
	v_and_b32_e32 v7, 15, v7
	v_lshlrev_b32_e32 v3, v11, v3
	v_sub_u32_e32 v10, 29, v10
	v_and_b32_e32 v3, 7, v3
	v_cmp_eq_u16_e32 vcc, 0, v7
	v_cndmask_b32_e32 v3, v6, v3, vcc
	v_cndmask_b32_e32 v6, v7, v10, vcc
	v_lshlrev_b32_e32 v7, 16, v4
	v_mov_b32_e32 v10, 0x3b800000
	v_lshlrev_b32_e32 v3, 20, v3
	v_and_b32_e32 v7, 0x80000000, v7
	v_lshl_add_u32 v6, v6, 23, v10
	v_or3_b32 v6, v7, v6, v3
.LBB6_976:
	s_or_b64 exec, exec, s[6:7]
	s_nop 0
	v_mfma_f32_16x16x4f32 a[0:3], v2, v6, a[0:3]
	s_movk_i32 s4, 0xff
	v_and_b32_sdwa v3, v8, s4 dst_sel:DWORD dst_unused:UNUSED_PAD src0_sel:WORD_1 src1_sel:DWORD
	s_movk_i32 s4, 0x7f
	v_cmp_lt_i16_e32 vcc, s4, v3
	s_mov_b64 s[4:5], 0
                                        ; implicit-def: $sgpr10
	s_and_saveexec_b64 s[6:7], vcc
	s_xor_b64 s[6:7], exec, s[6:7]
	s_cbranch_execnz .LBB6_3025
; %bb.977:
	s_or_saveexec_b64 s[6:7], s[6:7]
	v_mov_b32_e32 v2, s10
	s_xor_b64 exec, exec, s[6:7]
	s_cbranch_execnz .LBB6_3028
.LBB6_978:
	s_or_b64 exec, exec, s[6:7]
	s_and_saveexec_b64 s[6:7], s[4:5]
	s_cbranch_execz .LBB6_980
.LBB6_979:
	v_bfe_u32 v2, v8, 16, 3
	v_ffbh_u32_e32 v7, v2
	v_min_u32_e32 v7, 32, v7
	v_lshrrev_b32_e32 v3, 19, v8
	v_subrev_u32_e32 v10, 28, v7
	v_and_b32_e32 v3, 15, v3
	v_lshlrev_b32_sdwa v10, v10, v8 dst_sel:DWORD dst_unused:UNUSED_PAD src0_sel:DWORD src1_sel:WORD_1
	v_bfe_u32 v6, v8, 19, 4
	v_sub_u32_e32 v7, 29, v7
	v_and_b32_e32 v10, 7, v10
	v_cmp_eq_u16_e32 vcc, 0, v3
	v_cndmask_b32_e32 v2, v2, v10, vcc
	v_cndmask_b32_e32 v3, v6, v7, vcc
	v_lshlrev_b32_e32 v6, 8, v8
	v_mov_b32_e32 v7, 0x3b800000
	v_lshlrev_b32_e32 v2, 20, v2
	v_and_b32_e32 v6, 0x80000000, v6
	v_lshl_add_u32 v3, v3, 23, v7
	v_or3_b32 v2, v6, v3, v2
.LBB6_980:
	s_or_b64 exec, exec, s[6:7]
	s_movk_i32 s4, 0xff
	v_and_b32_sdwa v3, v4, s4 dst_sel:DWORD dst_unused:UNUSED_PAD src0_sel:WORD_1 src1_sel:DWORD
	s_movk_i32 s4, 0x7f
	v_cmp_lt_i16_e32 vcc, s4, v3
	s_mov_b64 s[4:5], 0
                                        ; implicit-def: $sgpr10
	s_and_saveexec_b64 s[6:7], vcc
	s_xor_b64 s[6:7], exec, s[6:7]
	s_cbranch_execnz .LBB6_3029
; %bb.981:
	s_or_saveexec_b64 s[6:7], s[6:7]
	v_mov_b32_e32 v6, s10
	s_xor_b64 exec, exec, s[6:7]
	s_cbranch_execnz .LBB6_3032
.LBB6_982:
	s_or_b64 exec, exec, s[6:7]
	s_and_saveexec_b64 s[6:7], s[4:5]
	s_cbranch_execz .LBB6_984
.LBB6_983:
	v_bfe_u32 v3, v4, 16, 3
	v_ffbh_u32_e32 v10, v3
	v_min_u32_e32 v10, 32, v10
	v_lshrrev_b32_e32 v6, 19, v4
	v_subrev_u32_e32 v11, 28, v10
	v_and_b32_e32 v6, 15, v6
	v_lshlrev_b32_sdwa v11, v11, v4 dst_sel:DWORD dst_unused:UNUSED_PAD src0_sel:DWORD src1_sel:WORD_1
	v_bfe_u32 v7, v4, 19, 4
	v_sub_u32_e32 v10, 29, v10
	v_and_b32_e32 v11, 7, v11
	v_cmp_eq_u16_e32 vcc, 0, v6
	v_cndmask_b32_e32 v3, v3, v11, vcc
	v_cndmask_b32_e32 v6, v7, v10, vcc
	v_lshlrev_b32_e32 v7, 8, v4
	v_mov_b32_e32 v10, 0x3b800000
	v_lshlrev_b32_e32 v3, 20, v3
	v_and_b32_e32 v7, 0x80000000, v7
	v_lshl_add_u32 v6, v6, 23, v10
	v_or3_b32 v6, v7, v6, v3
.LBB6_984:
	s_or_b64 exec, exec, s[6:7]
	s_nop 0
	v_mfma_f32_16x16x4f32 a[0:3], v2, v6, a[0:3]
	s_movk_i32 s4, 0x7f
	v_cmp_gt_i16_sdwa s[6:7], v8, s4 src0_sel:BYTE_3 src1_sel:DWORD
	s_mov_b64 s[4:5], 0
                                        ; implicit-def: $sgpr10
	s_and_saveexec_b64 s[8:9], s[6:7]
	s_xor_b64 s[6:7], exec, s[8:9]
	s_cbranch_execnz .LBB6_3033
; %bb.985:
	s_or_saveexec_b64 s[6:7], s[6:7]
	v_mov_b32_e32 v2, s10
	s_xor_b64 exec, exec, s[6:7]
	s_cbranch_execnz .LBB6_3036
.LBB6_986:
	s_or_b64 exec, exec, s[6:7]
	s_and_saveexec_b64 s[6:7], s[4:5]
	s_cbranch_execz .LBB6_988
.LBB6_987:
	v_bfe_u32 v2, v8, 24, 3
	v_ffbh_u32_e32 v10, v2
	v_min_u32_e32 v10, 32, v10
	v_lshrrev_b32_e32 v6, 27, v8
	v_subrev_u32_e32 v11, 28, v10
	v_and_b32_e32 v3, 0x80000000, v8
	v_and_b32_e32 v6, 15, v6
	v_bfe_u32 v7, v8, 27, 4
	v_lshlrev_b32_sdwa v8, v11, v8 dst_sel:DWORD dst_unused:UNUSED_PAD src0_sel:DWORD src1_sel:BYTE_3
	v_sub_u32_e32 v10, 29, v10
	v_and_b32_e32 v8, 7, v8
	v_cmp_eq_u16_e32 vcc, 0, v6
	v_cndmask_b32_e32 v2, v2, v8, vcc
	v_cndmask_b32_e32 v6, v7, v10, vcc
	v_mov_b32_e32 v7, 0x3b800000
	v_lshlrev_b32_e32 v2, 20, v2
	v_lshl_add_u32 v6, v6, 23, v7
	v_or3_b32 v2, v3, v6, v2
.LBB6_988:
	s_or_b64 exec, exec, s[6:7]
	s_movk_i32 s4, 0x7f
	v_cmp_gt_i16_sdwa s[6:7], v4, s4 src0_sel:BYTE_3 src1_sel:DWORD
	s_mov_b64 s[4:5], 0
                                        ; implicit-def: $sgpr10
	s_and_saveexec_b64 s[8:9], s[6:7]
	s_xor_b64 s[6:7], exec, s[8:9]
	s_cbranch_execnz .LBB6_3037
; %bb.989:
	s_or_saveexec_b64 s[6:7], s[6:7]
	v_mov_b32_e32 v3, s10
	s_xor_b64 exec, exec, s[6:7]
	s_cbranch_execnz .LBB6_3040
.LBB6_990:
	s_or_b64 exec, exec, s[6:7]
	s_and_saveexec_b64 s[6:7], s[4:5]
	s_cbranch_execz .LBB6_992
.LBB6_991:
	v_bfe_u32 v3, v4, 24, 3
	v_ffbh_u32_e32 v10, v3
	v_min_u32_e32 v10, 32, v10
	v_lshrrev_b32_e32 v7, 27, v4
	v_subrev_u32_e32 v11, 28, v10
	v_and_b32_e32 v6, 0x80000000, v4
	v_and_b32_e32 v7, 15, v7
	v_bfe_u32 v8, v4, 27, 4
	v_lshlrev_b32_sdwa v4, v11, v4 dst_sel:DWORD dst_unused:UNUSED_PAD src0_sel:DWORD src1_sel:BYTE_3
	v_sub_u32_e32 v10, 29, v10
	v_and_b32_e32 v4, 7, v4
	v_cmp_eq_u16_e32 vcc, 0, v7
	v_cndmask_b32_e32 v3, v3, v4, vcc
	v_cndmask_b32_e32 v4, v8, v10, vcc
	v_mov_b32_e32 v7, 0x3b800000
	v_lshlrev_b32_e32 v3, 20, v3
	v_lshl_add_u32 v4, v4, 23, v7
	v_or3_b32 v3, v6, v4, v3
.LBB6_992:
	s_or_b64 exec, exec, s[6:7]
	s_nop 0
	v_mfma_f32_16x16x4f32 a[0:3], v2, v3, a[0:3]
	s_movk_i32 s4, 0x7f
	v_cmp_gt_i16_sdwa s[6:7], v9, s4 src0_sel:BYTE_0 src1_sel:DWORD
	s_mov_b64 s[4:5], 0
                                        ; implicit-def: $sgpr10
	s_and_saveexec_b64 s[8:9], s[6:7]
	s_xor_b64 s[6:7], exec, s[8:9]
	s_cbranch_execnz .LBB6_3041
; %bb.993:
	s_or_saveexec_b64 s[6:7], s[6:7]
	v_mov_b32_e32 v2, s10
	s_xor_b64 exec, exec, s[6:7]
	s_cbranch_execnz .LBB6_3044
.LBB6_994:
	s_or_b64 exec, exec, s[6:7]
	s_and_saveexec_b64 s[6:7], s[4:5]
	s_cbranch_execz .LBB6_996
.LBB6_995:
	v_mov_b32_e32 v2, 8
	v_and_b32_e32 v3, 7, v9
	v_lshrrev_b32_sdwa v2, v2, v9 dst_sel:BYTE_1 dst_unused:UNUSED_PAD src0_sel:DWORD src1_sel:DWORD
	v_ffbh_u32_e32 v4, v3
	v_or_b32_sdwa v2, v9, v2 dst_sel:DWORD dst_unused:UNUSED_PAD src0_sel:BYTE_0 src1_sel:DWORD
	v_min_u32_e32 v4, 32, v4
	v_lshrrev_b16_e32 v2, 3, v2
	v_subrev_u32_e32 v6, 28, v4
	v_and_b32_e32 v2, 15, v2
	v_lshlrev_b32_e32 v6, v6, v9
	v_sub_u32_e32 v4, 29, v4
	v_and_b32_e32 v6, 7, v6
	v_cmp_eq_u16_e32 vcc, 0, v2
	v_cndmask_b32_e32 v3, v3, v6, vcc
	v_cndmask_b32_e32 v2, v2, v4, vcc
	v_lshlrev_b32_e32 v4, 24, v9
	v_mov_b32_e32 v6, 0x3b800000
	v_lshlrev_b32_e32 v3, 20, v3
	v_and_b32_e32 v4, 0x80000000, v4
	v_lshl_add_u32 v2, v2, 23, v6
	v_or3_b32 v2, v4, v2, v3
.LBB6_996:
	s_or_b64 exec, exec, s[6:7]
	s_movk_i32 s4, 0x7f
	v_cmp_gt_i16_sdwa s[6:7], v5, s4 src0_sel:BYTE_0 src1_sel:DWORD
	s_mov_b64 s[4:5], 0
                                        ; implicit-def: $sgpr10
	s_and_saveexec_b64 s[8:9], s[6:7]
	s_xor_b64 s[6:7], exec, s[8:9]
	s_cbranch_execnz .LBB6_3045
; %bb.997:
	s_or_saveexec_b64 s[6:7], s[6:7]
	v_mov_b32_e32 v3, s10
	s_xor_b64 exec, exec, s[6:7]
	s_cbranch_execnz .LBB6_3048
.LBB6_998:
	s_or_b64 exec, exec, s[6:7]
	s_and_saveexec_b64 s[6:7], s[4:5]
	s_cbranch_execz .LBB6_1000
.LBB6_999:
	v_mov_b32_e32 v3, 8
	v_and_b32_e32 v4, 7, v5
	v_lshrrev_b32_sdwa v3, v3, v5 dst_sel:BYTE_1 dst_unused:UNUSED_PAD src0_sel:DWORD src1_sel:DWORD
	v_ffbh_u32_e32 v6, v4
	v_or_b32_sdwa v3, v5, v3 dst_sel:DWORD dst_unused:UNUSED_PAD src0_sel:BYTE_0 src1_sel:DWORD
	v_min_u32_e32 v6, 32, v6
	v_lshrrev_b16_e32 v3, 3, v3
	v_subrev_u32_e32 v7, 28, v6
	v_and_b32_e32 v3, 15, v3
	v_lshlrev_b32_e32 v7, v7, v5
	v_sub_u32_e32 v6, 29, v6
	v_and_b32_e32 v7, 7, v7
	v_cmp_eq_u16_e32 vcc, 0, v3
	v_cndmask_b32_e32 v4, v4, v7, vcc
	v_cndmask_b32_e32 v3, v3, v6, vcc
	v_lshlrev_b32_e32 v6, 24, v5
	v_mov_b32_e32 v7, 0x3b800000
	v_lshlrev_b32_e32 v4, 20, v4
	v_and_b32_e32 v6, 0x80000000, v6
	v_lshl_add_u32 v3, v3, 23, v7
	v_or3_b32 v3, v6, v3, v4
.LBB6_1000:
	s_or_b64 exec, exec, s[6:7]
	s_nop 0
	v_mfma_f32_16x16x4f32 a[0:3], v2, v3, a[0:3]
	v_lshrrev_b32_e32 v3, 8, v9
	s_movk_i32 s4, 0x7f
	v_cmp_gt_i16_sdwa s[6:7], v3, s4 src0_sel:BYTE_0 src1_sel:DWORD
	s_mov_b64 s[4:5], 0
                                        ; implicit-def: $sgpr10
	s_and_saveexec_b64 s[8:9], s[6:7]
	s_xor_b64 s[6:7], exec, s[8:9]
	s_cbranch_execnz .LBB6_3049
; %bb.1001:
	s_or_saveexec_b64 s[6:7], s[6:7]
	v_mov_b32_e32 v2, s10
	s_xor_b64 exec, exec, s[6:7]
	s_cbranch_execnz .LBB6_3052
.LBB6_1002:
	s_or_b64 exec, exec, s[6:7]
	s_and_saveexec_b64 s[6:7], s[4:5]
	s_cbranch_execz .LBB6_1004
.LBB6_1003:
	v_bfe_u32 v2, v9, 8, 3
	v_ffbh_u32_e32 v6, v2
	v_min_u32_e32 v6, 32, v6
	v_lshrrev_b16_e32 v4, 3, v3
	v_subrev_u32_e32 v7, 28, v6
	v_and_b32_e32 v4, 15, v4
	v_lshlrev_b32_e32 v3, v7, v3
	v_sub_u32_e32 v6, 29, v6
	v_and_b32_e32 v3, 7, v3
	v_cmp_eq_u16_e32 vcc, 0, v4
	v_cndmask_b32_e32 v2, v2, v3, vcc
	v_cndmask_b32_e32 v3, v4, v6, vcc
	v_lshlrev_b32_e32 v4, 16, v9
	v_mov_b32_e32 v6, 0x3b800000
	v_lshlrev_b32_e32 v2, 20, v2
	v_and_b32_e32 v4, 0x80000000, v4
	v_lshl_add_u32 v3, v3, 23, v6
	v_or3_b32 v2, v4, v3, v2
.LBB6_1004:
	s_or_b64 exec, exec, s[6:7]
	v_lshrrev_b32_e32 v3, 8, v5
	s_movk_i32 s4, 0x7f
	v_cmp_gt_i16_sdwa s[6:7], v3, s4 src0_sel:BYTE_0 src1_sel:DWORD
	s_mov_b64 s[4:5], 0
                                        ; implicit-def: $sgpr10
	s_and_saveexec_b64 s[8:9], s[6:7]
	s_xor_b64 s[6:7], exec, s[8:9]
	s_cbranch_execnz .LBB6_3053
; %bb.1005:
	s_or_saveexec_b64 s[6:7], s[6:7]
	v_mov_b32_e32 v4, s10
	s_xor_b64 exec, exec, s[6:7]
	s_cbranch_execnz .LBB6_3056
.LBB6_1006:
	s_or_b64 exec, exec, s[6:7]
	s_and_saveexec_b64 s[6:7], s[4:5]
	s_cbranch_execz .LBB6_1008
.LBB6_1007:
	v_bfe_u32 v4, v5, 8, 3
	v_ffbh_u32_e32 v7, v4
	v_min_u32_e32 v7, 32, v7
	v_lshrrev_b16_e32 v6, 3, v3
	v_subrev_u32_e32 v8, 28, v7
	v_and_b32_e32 v6, 15, v6
	v_lshlrev_b32_e32 v3, v8, v3
	v_sub_u32_e32 v7, 29, v7
	v_and_b32_e32 v3, 7, v3
	v_cmp_eq_u16_e32 vcc, 0, v6
	v_cndmask_b32_e32 v3, v4, v3, vcc
	v_cndmask_b32_e32 v4, v6, v7, vcc
	v_lshlrev_b32_e32 v6, 16, v5
	v_mov_b32_e32 v7, 0x3b800000
	v_lshlrev_b32_e32 v3, 20, v3
	v_and_b32_e32 v6, 0x80000000, v6
	v_lshl_add_u32 v4, v4, 23, v7
	v_or3_b32 v4, v6, v4, v3
.LBB6_1008:
	s_or_b64 exec, exec, s[6:7]
	s_nop 0
	v_mfma_f32_16x16x4f32 a[0:3], v2, v4, a[0:3]
	s_movk_i32 s4, 0xff
	v_and_b32_sdwa v3, v9, s4 dst_sel:DWORD dst_unused:UNUSED_PAD src0_sel:WORD_1 src1_sel:DWORD
	s_movk_i32 s4, 0x7f
	v_cmp_lt_i16_e32 vcc, s4, v3
	s_mov_b64 s[4:5], 0
                                        ; implicit-def: $sgpr10
	s_and_saveexec_b64 s[6:7], vcc
	s_xor_b64 s[6:7], exec, s[6:7]
	s_cbranch_execnz .LBB6_3057
; %bb.1009:
	s_or_saveexec_b64 s[6:7], s[6:7]
	v_mov_b32_e32 v2, s10
	s_xor_b64 exec, exec, s[6:7]
	s_cbranch_execnz .LBB6_3060
.LBB6_1010:
	s_or_b64 exec, exec, s[6:7]
	s_and_saveexec_b64 s[6:7], s[4:5]
	s_cbranch_execz .LBB6_1012
.LBB6_1011:
	v_bfe_u32 v2, v9, 16, 3
	v_ffbh_u32_e32 v6, v2
	v_min_u32_e32 v6, 32, v6
	v_lshrrev_b32_e32 v3, 19, v9
	v_subrev_u32_e32 v7, 28, v6
	v_and_b32_e32 v3, 15, v3
	v_lshlrev_b32_sdwa v7, v7, v9 dst_sel:DWORD dst_unused:UNUSED_PAD src0_sel:DWORD src1_sel:WORD_1
	v_bfe_u32 v4, v9, 19, 4
	v_sub_u32_e32 v6, 29, v6
	v_and_b32_e32 v7, 7, v7
	v_cmp_eq_u16_e32 vcc, 0, v3
	v_cndmask_b32_e32 v2, v2, v7, vcc
	v_cndmask_b32_e32 v3, v4, v6, vcc
	v_lshlrev_b32_e32 v4, 8, v9
	v_mov_b32_e32 v6, 0x3b800000
	v_lshlrev_b32_e32 v2, 20, v2
	v_and_b32_e32 v4, 0x80000000, v4
	v_lshl_add_u32 v3, v3, 23, v6
	v_or3_b32 v2, v4, v3, v2
.LBB6_1012:
	s_or_b64 exec, exec, s[6:7]
	s_movk_i32 s4, 0xff
	v_and_b32_sdwa v3, v5, s4 dst_sel:DWORD dst_unused:UNUSED_PAD src0_sel:WORD_1 src1_sel:DWORD
	s_movk_i32 s4, 0x7f
	v_cmp_lt_i16_e32 vcc, s4, v3
	s_mov_b64 s[4:5], 0
                                        ; implicit-def: $sgpr10
	s_and_saveexec_b64 s[6:7], vcc
	s_xor_b64 s[6:7], exec, s[6:7]
	s_cbranch_execnz .LBB6_3061
; %bb.1013:
	s_or_saveexec_b64 s[6:7], s[6:7]
	v_mov_b32_e32 v4, s10
	s_xor_b64 exec, exec, s[6:7]
	s_cbranch_execnz .LBB6_3064
.LBB6_1014:
	s_or_b64 exec, exec, s[6:7]
	s_and_saveexec_b64 s[6:7], s[4:5]
	s_cbranch_execz .LBB6_1016
.LBB6_1015:
	v_bfe_u32 v3, v5, 16, 3
	v_ffbh_u32_e32 v7, v3
	v_min_u32_e32 v7, 32, v7
	v_lshrrev_b32_e32 v4, 19, v5
	v_subrev_u32_e32 v8, 28, v7
	v_and_b32_e32 v4, 15, v4
	v_lshlrev_b32_sdwa v8, v8, v5 dst_sel:DWORD dst_unused:UNUSED_PAD src0_sel:DWORD src1_sel:WORD_1
	v_bfe_u32 v6, v5, 19, 4
	v_sub_u32_e32 v7, 29, v7
	v_and_b32_e32 v8, 7, v8
	v_cmp_eq_u16_e32 vcc, 0, v4
	v_cndmask_b32_e32 v3, v3, v8, vcc
	v_cndmask_b32_e32 v4, v6, v7, vcc
	v_lshlrev_b32_e32 v6, 8, v5
	v_mov_b32_e32 v7, 0x3b800000
	v_lshlrev_b32_e32 v3, 20, v3
	v_and_b32_e32 v6, 0x80000000, v6
	v_lshl_add_u32 v4, v4, 23, v7
	v_or3_b32 v4, v6, v4, v3
.LBB6_1016:
	s_or_b64 exec, exec, s[6:7]
	s_nop 0
	v_mfma_f32_16x16x4f32 a[0:3], v2, v4, a[0:3]
	s_movk_i32 s4, 0x7f
	v_cmp_gt_i16_sdwa s[6:7], v9, s4 src0_sel:BYTE_3 src1_sel:DWORD
	s_mov_b64 s[4:5], 0
                                        ; implicit-def: $sgpr10
	s_and_saveexec_b64 s[8:9], s[6:7]
	s_xor_b64 s[6:7], exec, s[8:9]
	s_cbranch_execnz .LBB6_3065
; %bb.1017:
	s_or_saveexec_b64 s[6:7], s[6:7]
	v_mov_b32_e32 v2, s10
	s_xor_b64 exec, exec, s[6:7]
	s_cbranch_execnz .LBB6_3068
.LBB6_1018:
	s_or_b64 exec, exec, s[6:7]
	s_and_saveexec_b64 s[6:7], s[4:5]
	s_cbranch_execz .LBB6_1020
.LBB6_1019:
	v_bfe_u32 v2, v9, 24, 3
	v_ffbh_u32_e32 v7, v2
	v_min_u32_e32 v7, 32, v7
	v_lshrrev_b32_e32 v4, 27, v9
	v_subrev_u32_e32 v8, 28, v7
	v_and_b32_e32 v4, 15, v4
	v_lshlrev_b32_sdwa v8, v8, v9 dst_sel:DWORD dst_unused:UNUSED_PAD src0_sel:DWORD src1_sel:BYTE_3
	v_bfe_u32 v6, v9, 27, 4
	v_sub_u32_e32 v7, 29, v7
	v_and_b32_e32 v8, 7, v8
	v_cmp_eq_u16_e32 vcc, 0, v4
	v_cndmask_b32_e32 v2, v2, v8, vcc
	v_cndmask_b32_e32 v4, v6, v7, vcc
	v_mov_b32_e32 v6, 0x3b800000
	v_and_b32_e32 v3, 0x80000000, v9
	v_lshlrev_b32_e32 v2, 20, v2
	v_lshl_add_u32 v4, v4, 23, v6
	v_or3_b32 v2, v3, v4, v2
.LBB6_1020:
	s_or_b64 exec, exec, s[6:7]
	s_movk_i32 s4, 0x7f
	v_cmp_gt_i16_sdwa s[6:7], v5, s4 src0_sel:BYTE_3 src1_sel:DWORD
	s_mov_b64 s[4:5], 0
                                        ; implicit-def: $sgpr10
	s_and_saveexec_b64 s[8:9], s[6:7]
	s_xor_b64 s[6:7], exec, s[8:9]
	s_cbranch_execnz .LBB6_3069
; %bb.1021:
	s_or_saveexec_b64 s[6:7], s[6:7]
	v_mov_b32_e32 v3, s10
	s_xor_b64 exec, exec, s[6:7]
	s_cbranch_execnz .LBB6_3072
.LBB6_1022:
	s_or_b64 exec, exec, s[6:7]
	s_and_saveexec_b64 s[6:7], s[4:5]
	s_cbranch_execz .LBB6_1024
.LBB6_1023:
	v_bfe_u32 v3, v5, 24, 3
	v_ffbh_u32_e32 v8, v3
	v_min_u32_e32 v8, 32, v8
	v_lshrrev_b32_e32 v6, 27, v5
	v_subrev_u32_e32 v9, 28, v8
	v_and_b32_e32 v4, 0x80000000, v5
	v_and_b32_e32 v6, 15, v6
	v_bfe_u32 v7, v5, 27, 4
	v_lshlrev_b32_sdwa v5, v9, v5 dst_sel:DWORD dst_unused:UNUSED_PAD src0_sel:DWORD src1_sel:BYTE_3
	v_sub_u32_e32 v8, 29, v8
	v_and_b32_e32 v5, 7, v5
	v_cmp_eq_u16_e32 vcc, 0, v6
	v_cndmask_b32_e32 v3, v3, v5, vcc
	v_cndmask_b32_e32 v5, v7, v8, vcc
	v_mov_b32_e32 v6, 0x3b800000
	v_lshlrev_b32_e32 v3, 20, v3
	v_lshl_add_u32 v5, v5, 23, v6
	v_or3_b32 v3, v4, v5, v3
.LBB6_1024:
	s_or_b64 exec, exec, s[6:7]
	s_nop 0
	v_mfma_f32_16x16x4f32 a[0:3], v2, v3, a[0:3]
	s_movk_i32 s4, 0x7f
                                        ; implicit-def: $sgpr10
	s_nop 7
	s_nop 1
	flat_store_dwordx4 v[18:19], a[0:3] offset:560
	flat_load_dwordx4 v[20:23], v[0:1] offset:16
	s_nop 0
	flat_load_dwordx2 v[18:19], v[0:1] offset:32
	s_waitcnt vmcnt(0) lgkmcnt(0)
	flat_load_dwordx4 v[14:17], v[20:21]
	flat_load_dwordx4 v[6:9], v[20:21] offset:16
	flat_load_dwordx4 v[10:13], v[22:23] offset:128
	;; [unrolled: 1-line block ×3, first 2 shown]
	s_waitcnt vmcnt(0) lgkmcnt(0)
	v_cmp_gt_i16_sdwa s[6:7], v14, s4 src0_sel:BYTE_0 src1_sel:DWORD
	s_mov_b64 s[4:5], 0
	s_and_saveexec_b64 s[8:9], s[6:7]
	s_xor_b64 s[6:7], exec, s[8:9]
	s_cbranch_execnz .LBB6_3073
; %bb.1025:
	s_or_saveexec_b64 s[6:7], s[6:7]
	v_mov_b32_e32 v20, s10
	s_xor_b64 exec, exec, s[6:7]
	s_cbranch_execnz .LBB6_3076
.LBB6_1026:
	s_or_b64 exec, exec, s[6:7]
	s_and_saveexec_b64 s[6:7], s[4:5]
	s_cbranch_execz .LBB6_1028
.LBB6_1027:
	v_and_b32_e32 v20, 7, v14
	v_ffbh_u32_e32 v22, v20
	v_min_u32_e32 v22, 32, v22
	v_lshrrev_b16_e32 v21, 3, v14
	v_subrev_u32_e32 v23, 28, v22
	v_and_b32_e32 v21, 15, v21
	v_lshlrev_b32_e32 v23, v23, v14
	v_sub_u32_e32 v22, 29, v22
	v_and_b32_e32 v23, 7, v23
	v_cmp_eq_u16_e32 vcc, 0, v21
	v_cndmask_b32_e32 v20, v20, v23, vcc
	v_cndmask_b32_e32 v21, v21, v22, vcc
	v_lshlrev_b32_e32 v22, 24, v14
	v_mov_b32_e32 v23, 0x3b800000
	v_lshlrev_b32_e32 v20, 20, v20
	v_and_b32_e32 v22, 0x80000000, v22
	v_lshl_add_u32 v21, v21, 23, v23
	v_or3_b32 v20, v22, v21, v20
.LBB6_1028:
	s_or_b64 exec, exec, s[6:7]
	s_movk_i32 s4, 0x7f
	v_cmp_gt_i16_sdwa s[6:7], v10, s4 src0_sel:BYTE_0 src1_sel:DWORD
	s_mov_b64 s[4:5], 0
                                        ; implicit-def: $sgpr10
	s_and_saveexec_b64 s[8:9], s[6:7]
	s_xor_b64 s[6:7], exec, s[8:9]
	s_cbranch_execnz .LBB6_3077
; %bb.1029:
	s_or_saveexec_b64 s[6:7], s[6:7]
	v_mov_b32_e32 v21, s10
	s_xor_b64 exec, exec, s[6:7]
	s_cbranch_execnz .LBB6_3080
.LBB6_1030:
	s_or_b64 exec, exec, s[6:7]
	s_and_saveexec_b64 s[6:7], s[4:5]
	s_cbranch_execz .LBB6_1032
.LBB6_1031:
	v_and_b32_e32 v21, 7, v10
	v_ffbh_u32_e32 v23, v21
	v_min_u32_e32 v23, 32, v23
	v_lshrrev_b16_e32 v22, 3, v10
	v_subrev_u32_e32 v24, 28, v23
	v_and_b32_e32 v22, 15, v22
	v_lshlrev_b32_e32 v24, v24, v10
	v_sub_u32_e32 v23, 29, v23
	v_and_b32_e32 v24, 7, v24
	v_cmp_eq_u16_e32 vcc, 0, v22
	v_cndmask_b32_e32 v21, v21, v24, vcc
	v_cndmask_b32_e32 v22, v22, v23, vcc
	v_lshlrev_b32_e32 v23, 24, v10
	v_mov_b32_e32 v24, 0x3b800000
	v_lshlrev_b32_e32 v21, 20, v21
	v_and_b32_e32 v23, 0x80000000, v23
	v_lshl_add_u32 v22, v22, 23, v24
	v_or3_b32 v21, v23, v22, v21
.LBB6_1032:
	s_or_b64 exec, exec, s[6:7]
	flat_load_dwordx4 a[0:3], v[18:19] offset:576
	s_movk_i32 s4, 0x7f
                                        ; implicit-def: $sgpr10
	s_waitcnt vmcnt(0) lgkmcnt(0)
	v_mfma_f32_16x16x4f32 a[0:3], v20, v21, a[0:3]
	v_lshrrev_b32_e32 v21, 8, v14
	v_cmp_gt_i16_sdwa s[6:7], v21, s4 src0_sel:BYTE_0 src1_sel:DWORD
	s_mov_b64 s[4:5], 0
	s_and_saveexec_b64 s[8:9], s[6:7]
	s_xor_b64 s[6:7], exec, s[8:9]
	s_cbranch_execnz .LBB6_3081
; %bb.1033:
	s_or_saveexec_b64 s[6:7], s[6:7]
	v_mov_b32_e32 v20, s10
	s_xor_b64 exec, exec, s[6:7]
	s_cbranch_execnz .LBB6_3084
.LBB6_1034:
	s_or_b64 exec, exec, s[6:7]
	s_and_saveexec_b64 s[6:7], s[4:5]
	s_cbranch_execz .LBB6_1036
.LBB6_1035:
	v_bfe_u32 v20, v14, 8, 3
	v_ffbh_u32_e32 v23, v20
	v_min_u32_e32 v23, 32, v23
	v_lshrrev_b16_e32 v22, 3, v21
	v_subrev_u32_e32 v24, 28, v23
	v_and_b32_e32 v22, 15, v22
	v_lshlrev_b32_e32 v21, v24, v21
	v_sub_u32_e32 v23, 29, v23
	v_and_b32_e32 v21, 7, v21
	v_cmp_eq_u16_e32 vcc, 0, v22
	v_cndmask_b32_e32 v20, v20, v21, vcc
	v_cndmask_b32_e32 v21, v22, v23, vcc
	v_lshlrev_b32_e32 v22, 16, v14
	v_mov_b32_e32 v23, 0x3b800000
	v_lshlrev_b32_e32 v20, 20, v20
	v_and_b32_e32 v22, 0x80000000, v22
	v_lshl_add_u32 v21, v21, 23, v23
	v_or3_b32 v20, v22, v21, v20
.LBB6_1036:
	s_or_b64 exec, exec, s[6:7]
	v_lshrrev_b32_e32 v21, 8, v10
	s_movk_i32 s4, 0x7f
	v_cmp_gt_i16_sdwa s[6:7], v21, s4 src0_sel:BYTE_0 src1_sel:DWORD
	s_mov_b64 s[4:5], 0
                                        ; implicit-def: $sgpr10
	s_and_saveexec_b64 s[8:9], s[6:7]
	s_xor_b64 s[6:7], exec, s[8:9]
	s_cbranch_execnz .LBB6_3085
; %bb.1037:
	s_or_saveexec_b64 s[6:7], s[6:7]
	v_mov_b32_e32 v22, s10
	s_xor_b64 exec, exec, s[6:7]
	s_cbranch_execnz .LBB6_3088
.LBB6_1038:
	s_or_b64 exec, exec, s[6:7]
	s_and_saveexec_b64 s[6:7], s[4:5]
	s_cbranch_execz .LBB6_1040
.LBB6_1039:
	v_bfe_u32 v22, v10, 8, 3
	v_ffbh_u32_e32 v24, v22
	v_min_u32_e32 v24, 32, v24
	v_lshrrev_b16_e32 v23, 3, v21
	v_subrev_u32_e32 v25, 28, v24
	v_and_b32_e32 v23, 15, v23
	v_lshlrev_b32_e32 v21, v25, v21
	v_sub_u32_e32 v24, 29, v24
	v_and_b32_e32 v21, 7, v21
	v_cmp_eq_u16_e32 vcc, 0, v23
	v_cndmask_b32_e32 v21, v22, v21, vcc
	v_cndmask_b32_e32 v22, v23, v24, vcc
	v_lshlrev_b32_e32 v23, 16, v10
	v_mov_b32_e32 v24, 0x3b800000
	v_lshlrev_b32_e32 v21, 20, v21
	v_and_b32_e32 v23, 0x80000000, v23
	v_lshl_add_u32 v22, v22, 23, v24
	v_or3_b32 v22, v23, v22, v21
.LBB6_1040:
	s_or_b64 exec, exec, s[6:7]
	s_nop 0
	v_mfma_f32_16x16x4f32 a[0:3], v20, v22, a[0:3]
	s_movk_i32 s4, 0xff
	v_and_b32_sdwa v21, v14, s4 dst_sel:DWORD dst_unused:UNUSED_PAD src0_sel:WORD_1 src1_sel:DWORD
	s_movk_i32 s4, 0x7f
	v_cmp_lt_i16_e32 vcc, s4, v21
	s_mov_b64 s[4:5], 0
                                        ; implicit-def: $sgpr10
	s_and_saveexec_b64 s[6:7], vcc
	s_xor_b64 s[6:7], exec, s[6:7]
	s_cbranch_execnz .LBB6_3089
; %bb.1041:
	s_or_saveexec_b64 s[6:7], s[6:7]
	v_mov_b32_e32 v20, s10
	s_xor_b64 exec, exec, s[6:7]
	s_cbranch_execnz .LBB6_3092
.LBB6_1042:
	s_or_b64 exec, exec, s[6:7]
	s_and_saveexec_b64 s[6:7], s[4:5]
	s_cbranch_execz .LBB6_1044
.LBB6_1043:
	v_bfe_u32 v20, v14, 16, 3
	v_ffbh_u32_e32 v23, v20
	v_min_u32_e32 v23, 32, v23
	v_lshrrev_b32_e32 v21, 19, v14
	v_subrev_u32_e32 v24, 28, v23
	v_and_b32_e32 v21, 15, v21
	v_lshlrev_b32_sdwa v24, v24, v14 dst_sel:DWORD dst_unused:UNUSED_PAD src0_sel:DWORD src1_sel:WORD_1
	v_bfe_u32 v22, v14, 19, 4
	v_sub_u32_e32 v23, 29, v23
	v_and_b32_e32 v24, 7, v24
	v_cmp_eq_u16_e32 vcc, 0, v21
	v_cndmask_b32_e32 v20, v20, v24, vcc
	v_cndmask_b32_e32 v21, v22, v23, vcc
	v_lshlrev_b32_e32 v22, 8, v14
	v_mov_b32_e32 v23, 0x3b800000
	v_lshlrev_b32_e32 v20, 20, v20
	v_and_b32_e32 v22, 0x80000000, v22
	v_lshl_add_u32 v21, v21, 23, v23
	v_or3_b32 v20, v22, v21, v20
.LBB6_1044:
	s_or_b64 exec, exec, s[6:7]
	s_movk_i32 s4, 0xff
	v_and_b32_sdwa v21, v10, s4 dst_sel:DWORD dst_unused:UNUSED_PAD src0_sel:WORD_1 src1_sel:DWORD
	s_movk_i32 s4, 0x7f
	v_cmp_lt_i16_e32 vcc, s4, v21
	s_mov_b64 s[4:5], 0
                                        ; implicit-def: $sgpr10
	s_and_saveexec_b64 s[6:7], vcc
	s_xor_b64 s[6:7], exec, s[6:7]
	s_cbranch_execnz .LBB6_3093
; %bb.1045:
	s_or_saveexec_b64 s[6:7], s[6:7]
	v_mov_b32_e32 v22, s10
	s_xor_b64 exec, exec, s[6:7]
	s_cbranch_execnz .LBB6_3096
.LBB6_1046:
	s_or_b64 exec, exec, s[6:7]
	s_and_saveexec_b64 s[6:7], s[4:5]
	s_cbranch_execz .LBB6_1048
.LBB6_1047:
	v_bfe_u32 v21, v10, 16, 3
	v_ffbh_u32_e32 v24, v21
	v_min_u32_e32 v24, 32, v24
	v_lshrrev_b32_e32 v22, 19, v10
	v_subrev_u32_e32 v25, 28, v24
	v_and_b32_e32 v22, 15, v22
	v_lshlrev_b32_sdwa v25, v25, v10 dst_sel:DWORD dst_unused:UNUSED_PAD src0_sel:DWORD src1_sel:WORD_1
	v_bfe_u32 v23, v10, 19, 4
	v_sub_u32_e32 v24, 29, v24
	v_and_b32_e32 v25, 7, v25
	v_cmp_eq_u16_e32 vcc, 0, v22
	v_cndmask_b32_e32 v21, v21, v25, vcc
	v_cndmask_b32_e32 v22, v23, v24, vcc
	v_lshlrev_b32_e32 v23, 8, v10
	v_mov_b32_e32 v24, 0x3b800000
	v_lshlrev_b32_e32 v21, 20, v21
	v_and_b32_e32 v23, 0x80000000, v23
	v_lshl_add_u32 v22, v22, 23, v24
	v_or3_b32 v22, v23, v22, v21
.LBB6_1048:
	s_or_b64 exec, exec, s[6:7]
	s_nop 0
	v_mfma_f32_16x16x4f32 a[0:3], v20, v22, a[0:3]
	s_movk_i32 s4, 0x7f
	v_cmp_gt_i16_sdwa s[6:7], v14, s4 src0_sel:BYTE_3 src1_sel:DWORD
	s_mov_b64 s[4:5], 0
                                        ; implicit-def: $sgpr10
	s_and_saveexec_b64 s[8:9], s[6:7]
	s_xor_b64 s[6:7], exec, s[8:9]
	s_cbranch_execnz .LBB6_3097
; %bb.1049:
	s_or_saveexec_b64 s[6:7], s[6:7]
	v_mov_b32_e32 v20, s10
	s_xor_b64 exec, exec, s[6:7]
	s_cbranch_execnz .LBB6_3100
.LBB6_1050:
	s_or_b64 exec, exec, s[6:7]
	s_and_saveexec_b64 s[6:7], s[4:5]
	s_cbranch_execz .LBB6_1052
.LBB6_1051:
	v_bfe_u32 v20, v14, 24, 3
	v_ffbh_u32_e32 v24, v20
	v_min_u32_e32 v24, 32, v24
	v_lshrrev_b32_e32 v22, 27, v14
	v_subrev_u32_e32 v25, 28, v24
	v_and_b32_e32 v21, 0x80000000, v14
	v_and_b32_e32 v22, 15, v22
	v_bfe_u32 v23, v14, 27, 4
	v_lshlrev_b32_sdwa v14, v25, v14 dst_sel:DWORD dst_unused:UNUSED_PAD src0_sel:DWORD src1_sel:BYTE_3
	v_sub_u32_e32 v24, 29, v24
	v_and_b32_e32 v14, 7, v14
	v_cmp_eq_u16_e32 vcc, 0, v22
	v_cndmask_b32_e32 v14, v20, v14, vcc
	v_cndmask_b32_e32 v20, v23, v24, vcc
	v_mov_b32_e32 v22, 0x3b800000
	v_lshlrev_b32_e32 v14, 20, v14
	v_lshl_add_u32 v20, v20, 23, v22
	v_or3_b32 v20, v21, v20, v14
.LBB6_1052:
	s_or_b64 exec, exec, s[6:7]
	s_movk_i32 s4, 0x7f
	v_cmp_gt_i16_sdwa s[6:7], v10, s4 src0_sel:BYTE_3 src1_sel:DWORD
	s_mov_b64 s[4:5], 0
                                        ; implicit-def: $sgpr10
	s_and_saveexec_b64 s[8:9], s[6:7]
	s_xor_b64 s[6:7], exec, s[8:9]
	s_cbranch_execnz .LBB6_3101
; %bb.1053:
	s_or_saveexec_b64 s[6:7], s[6:7]
	v_mov_b32_e32 v14, s10
	s_xor_b64 exec, exec, s[6:7]
	s_cbranch_execnz .LBB6_3104
.LBB6_1054:
	s_or_b64 exec, exec, s[6:7]
	s_and_saveexec_b64 s[6:7], s[4:5]
	s_cbranch_execz .LBB6_1056
.LBB6_1055:
	v_bfe_u32 v14, v10, 24, 3
	v_ffbh_u32_e32 v24, v14
	v_min_u32_e32 v24, 32, v24
	v_lshrrev_b32_e32 v22, 27, v10
	v_subrev_u32_e32 v25, 28, v24
	v_and_b32_e32 v21, 0x80000000, v10
	v_and_b32_e32 v22, 15, v22
	v_bfe_u32 v23, v10, 27, 4
	v_lshlrev_b32_sdwa v10, v25, v10 dst_sel:DWORD dst_unused:UNUSED_PAD src0_sel:DWORD src1_sel:BYTE_3
	v_sub_u32_e32 v24, 29, v24
	v_and_b32_e32 v10, 7, v10
	v_cmp_eq_u16_e32 vcc, 0, v22
	v_cndmask_b32_e32 v10, v14, v10, vcc
	v_cndmask_b32_e32 v14, v23, v24, vcc
	v_mov_b32_e32 v22, 0x3b800000
	v_lshlrev_b32_e32 v10, 20, v10
	v_lshl_add_u32 v14, v14, 23, v22
	v_or3_b32 v14, v21, v14, v10
.LBB6_1056:
	s_or_b64 exec, exec, s[6:7]
	s_nop 0
	v_mfma_f32_16x16x4f32 a[0:3], v20, v14, a[0:3]
	s_movk_i32 s4, 0x7f
	v_cmp_gt_i16_sdwa s[6:7], v15, s4 src0_sel:BYTE_0 src1_sel:DWORD
	s_mov_b64 s[4:5], 0
                                        ; implicit-def: $sgpr10
	s_and_saveexec_b64 s[8:9], s[6:7]
	s_xor_b64 s[6:7], exec, s[8:9]
	s_cbranch_execnz .LBB6_3105
; %bb.1057:
	s_or_saveexec_b64 s[6:7], s[6:7]
	v_mov_b32_e32 v10, s10
	s_xor_b64 exec, exec, s[6:7]
	s_cbranch_execnz .LBB6_3108
.LBB6_1058:
	s_or_b64 exec, exec, s[6:7]
	s_and_saveexec_b64 s[6:7], s[4:5]
	s_cbranch_execz .LBB6_1060
.LBB6_1059:
	v_and_b32_e32 v10, 7, v15
	v_ffbh_u32_e32 v20, v10
	v_min_u32_e32 v20, 32, v20
	v_lshrrev_b16_e32 v14, 3, v15
	v_subrev_u32_e32 v21, 28, v20
	v_and_b32_e32 v14, 15, v14
	v_lshlrev_b32_e32 v21, v21, v15
	v_sub_u32_e32 v20, 29, v20
	v_and_b32_e32 v21, 7, v21
	v_cmp_eq_u16_e32 vcc, 0, v14
	v_cndmask_b32_e32 v10, v10, v21, vcc
	v_cndmask_b32_e32 v14, v14, v20, vcc
	v_lshlrev_b32_e32 v20, 24, v15
	v_mov_b32_e32 v21, 0x3b800000
	v_lshlrev_b32_e32 v10, 20, v10
	v_and_b32_e32 v20, 0x80000000, v20
	v_lshl_add_u32 v14, v14, 23, v21
	v_or3_b32 v10, v20, v14, v10
.LBB6_1060:
	s_or_b64 exec, exec, s[6:7]
	s_movk_i32 s4, 0x7f
	v_cmp_gt_i16_sdwa s[6:7], v11, s4 src0_sel:BYTE_0 src1_sel:DWORD
	s_mov_b64 s[4:5], 0
                                        ; implicit-def: $sgpr10
	s_and_saveexec_b64 s[8:9], s[6:7]
	s_xor_b64 s[6:7], exec, s[8:9]
	s_cbranch_execnz .LBB6_3109
; %bb.1061:
	s_or_saveexec_b64 s[6:7], s[6:7]
	v_mov_b32_e32 v14, s10
	s_xor_b64 exec, exec, s[6:7]
	s_cbranch_execnz .LBB6_3112
.LBB6_1062:
	s_or_b64 exec, exec, s[6:7]
	s_and_saveexec_b64 s[6:7], s[4:5]
	s_cbranch_execz .LBB6_1064
.LBB6_1063:
	v_and_b32_e32 v14, 7, v11
	v_ffbh_u32_e32 v21, v14
	v_min_u32_e32 v21, 32, v21
	v_lshrrev_b16_e32 v20, 3, v11
	v_subrev_u32_e32 v22, 28, v21
	v_and_b32_e32 v20, 15, v20
	v_lshlrev_b32_e32 v22, v22, v11
	v_sub_u32_e32 v21, 29, v21
	v_and_b32_e32 v22, 7, v22
	v_cmp_eq_u16_e32 vcc, 0, v20
	v_cndmask_b32_e32 v14, v14, v22, vcc
	v_cndmask_b32_e32 v20, v20, v21, vcc
	v_lshlrev_b32_e32 v21, 24, v11
	v_mov_b32_e32 v22, 0x3b800000
	v_lshlrev_b32_e32 v14, 20, v14
	v_and_b32_e32 v21, 0x80000000, v21
	v_lshl_add_u32 v20, v20, 23, v22
	v_or3_b32 v14, v21, v20, v14
.LBB6_1064:
	s_or_b64 exec, exec, s[6:7]
	s_nop 0
	v_mfma_f32_16x16x4f32 a[0:3], v10, v14, a[0:3]
	v_lshrrev_b32_e32 v14, 8, v15
	s_movk_i32 s4, 0x7f
	v_cmp_gt_i16_sdwa s[6:7], v14, s4 src0_sel:BYTE_0 src1_sel:DWORD
	s_mov_b64 s[4:5], 0
                                        ; implicit-def: $sgpr10
	s_and_saveexec_b64 s[8:9], s[6:7]
	s_xor_b64 s[6:7], exec, s[8:9]
	s_cbranch_execnz .LBB6_3113
; %bb.1065:
	s_or_saveexec_b64 s[6:7], s[6:7]
	v_mov_b32_e32 v10, s10
	s_xor_b64 exec, exec, s[6:7]
	s_cbranch_execnz .LBB6_3116
.LBB6_1066:
	s_or_b64 exec, exec, s[6:7]
	s_and_saveexec_b64 s[6:7], s[4:5]
	s_cbranch_execz .LBB6_1068
.LBB6_1067:
	v_bfe_u32 v10, v15, 8, 3
	v_ffbh_u32_e32 v21, v10
	v_min_u32_e32 v21, 32, v21
	v_lshrrev_b16_e32 v20, 3, v14
	v_subrev_u32_e32 v22, 28, v21
	v_and_b32_e32 v20, 15, v20
	v_lshlrev_b32_e32 v14, v22, v14
	v_sub_u32_e32 v21, 29, v21
	v_and_b32_e32 v14, 7, v14
	v_cmp_eq_u16_e32 vcc, 0, v20
	v_cndmask_b32_e32 v10, v10, v14, vcc
	v_cndmask_b32_e32 v14, v20, v21, vcc
	v_lshlrev_b32_e32 v20, 16, v15
	v_mov_b32_e32 v21, 0x3b800000
	v_lshlrev_b32_e32 v10, 20, v10
	v_and_b32_e32 v20, 0x80000000, v20
	v_lshl_add_u32 v14, v14, 23, v21
	v_or3_b32 v10, v20, v14, v10
.LBB6_1068:
	s_or_b64 exec, exec, s[6:7]
	v_lshrrev_b32_e32 v14, 8, v11
	s_movk_i32 s4, 0x7f
	v_cmp_gt_i16_sdwa s[6:7], v14, s4 src0_sel:BYTE_0 src1_sel:DWORD
	s_mov_b64 s[4:5], 0
                                        ; implicit-def: $sgpr10
	s_and_saveexec_b64 s[8:9], s[6:7]
	s_xor_b64 s[6:7], exec, s[8:9]
	s_cbranch_execnz .LBB6_3117
; %bb.1069:
	s_or_saveexec_b64 s[6:7], s[6:7]
	v_mov_b32_e32 v20, s10
	s_xor_b64 exec, exec, s[6:7]
	s_cbranch_execnz .LBB6_3120
.LBB6_1070:
	s_or_b64 exec, exec, s[6:7]
	s_and_saveexec_b64 s[6:7], s[4:5]
	s_cbranch_execz .LBB6_1072
.LBB6_1071:
	v_bfe_u32 v20, v11, 8, 3
	v_ffbh_u32_e32 v22, v20
	v_min_u32_e32 v22, 32, v22
	v_lshrrev_b16_e32 v21, 3, v14
	v_subrev_u32_e32 v23, 28, v22
	v_and_b32_e32 v21, 15, v21
	v_lshlrev_b32_e32 v14, v23, v14
	v_sub_u32_e32 v22, 29, v22
	v_and_b32_e32 v14, 7, v14
	v_cmp_eq_u16_e32 vcc, 0, v21
	v_cndmask_b32_e32 v14, v20, v14, vcc
	v_cndmask_b32_e32 v20, v21, v22, vcc
	v_lshlrev_b32_e32 v21, 16, v11
	v_mov_b32_e32 v22, 0x3b800000
	v_lshlrev_b32_e32 v14, 20, v14
	v_and_b32_e32 v21, 0x80000000, v21
	v_lshl_add_u32 v20, v20, 23, v22
	v_or3_b32 v20, v21, v20, v14
.LBB6_1072:
	s_or_b64 exec, exec, s[6:7]
	s_nop 0
	v_mfma_f32_16x16x4f32 a[0:3], v10, v20, a[0:3]
	s_movk_i32 s4, 0xff
	v_and_b32_sdwa v14, v15, s4 dst_sel:DWORD dst_unused:UNUSED_PAD src0_sel:WORD_1 src1_sel:DWORD
	s_movk_i32 s4, 0x7f
	v_cmp_lt_i16_e32 vcc, s4, v14
	s_mov_b64 s[4:5], 0
                                        ; implicit-def: $sgpr10
	s_and_saveexec_b64 s[6:7], vcc
	s_xor_b64 s[6:7], exec, s[6:7]
	s_cbranch_execnz .LBB6_3121
; %bb.1073:
	s_or_saveexec_b64 s[6:7], s[6:7]
	v_mov_b32_e32 v10, s10
	s_xor_b64 exec, exec, s[6:7]
	s_cbranch_execnz .LBB6_3124
.LBB6_1074:
	s_or_b64 exec, exec, s[6:7]
	s_and_saveexec_b64 s[6:7], s[4:5]
	s_cbranch_execz .LBB6_1076
.LBB6_1075:
	v_bfe_u32 v10, v15, 16, 3
	v_ffbh_u32_e32 v21, v10
	v_min_u32_e32 v21, 32, v21
	v_lshrrev_b32_e32 v14, 19, v15
	v_subrev_u32_e32 v22, 28, v21
	v_and_b32_e32 v14, 15, v14
	v_lshlrev_b32_sdwa v22, v22, v15 dst_sel:DWORD dst_unused:UNUSED_PAD src0_sel:DWORD src1_sel:WORD_1
	v_bfe_u32 v20, v15, 19, 4
	v_sub_u32_e32 v21, 29, v21
	v_and_b32_e32 v22, 7, v22
	v_cmp_eq_u16_e32 vcc, 0, v14
	v_cndmask_b32_e32 v10, v10, v22, vcc
	v_cndmask_b32_e32 v14, v20, v21, vcc
	v_lshlrev_b32_e32 v20, 8, v15
	v_mov_b32_e32 v21, 0x3b800000
	v_lshlrev_b32_e32 v10, 20, v10
	v_and_b32_e32 v20, 0x80000000, v20
	v_lshl_add_u32 v14, v14, 23, v21
	v_or3_b32 v10, v20, v14, v10
.LBB6_1076:
	s_or_b64 exec, exec, s[6:7]
	s_movk_i32 s4, 0xff
	v_and_b32_sdwa v14, v11, s4 dst_sel:DWORD dst_unused:UNUSED_PAD src0_sel:WORD_1 src1_sel:DWORD
	s_movk_i32 s4, 0x7f
	v_cmp_lt_i16_e32 vcc, s4, v14
	s_mov_b64 s[4:5], 0
                                        ; implicit-def: $sgpr10
	s_and_saveexec_b64 s[6:7], vcc
	s_xor_b64 s[6:7], exec, s[6:7]
	s_cbranch_execnz .LBB6_3125
; %bb.1077:
	s_or_saveexec_b64 s[6:7], s[6:7]
	v_mov_b32_e32 v20, s10
	s_xor_b64 exec, exec, s[6:7]
	s_cbranch_execnz .LBB6_3128
.LBB6_1078:
	s_or_b64 exec, exec, s[6:7]
	s_and_saveexec_b64 s[6:7], s[4:5]
	s_cbranch_execz .LBB6_1080
.LBB6_1079:
	v_bfe_u32 v14, v11, 16, 3
	v_ffbh_u32_e32 v22, v14
	v_min_u32_e32 v22, 32, v22
	v_lshrrev_b32_e32 v20, 19, v11
	v_subrev_u32_e32 v23, 28, v22
	v_and_b32_e32 v20, 15, v20
	v_lshlrev_b32_sdwa v23, v23, v11 dst_sel:DWORD dst_unused:UNUSED_PAD src0_sel:DWORD src1_sel:WORD_1
	v_bfe_u32 v21, v11, 19, 4
	v_sub_u32_e32 v22, 29, v22
	v_and_b32_e32 v23, 7, v23
	v_cmp_eq_u16_e32 vcc, 0, v20
	v_cndmask_b32_e32 v14, v14, v23, vcc
	v_cndmask_b32_e32 v20, v21, v22, vcc
	v_lshlrev_b32_e32 v21, 8, v11
	v_mov_b32_e32 v22, 0x3b800000
	v_lshlrev_b32_e32 v14, 20, v14
	v_and_b32_e32 v21, 0x80000000, v21
	v_lshl_add_u32 v20, v20, 23, v22
	v_or3_b32 v20, v21, v20, v14
.LBB6_1080:
	s_or_b64 exec, exec, s[6:7]
	s_nop 0
	v_mfma_f32_16x16x4f32 a[0:3], v10, v20, a[0:3]
	s_movk_i32 s4, 0x7f
	v_cmp_gt_i16_sdwa s[6:7], v15, s4 src0_sel:BYTE_3 src1_sel:DWORD
	s_mov_b64 s[4:5], 0
                                        ; implicit-def: $sgpr10
	s_and_saveexec_b64 s[8:9], s[6:7]
	s_xor_b64 s[6:7], exec, s[8:9]
	s_cbranch_execnz .LBB6_3129
; %bb.1081:
	s_or_saveexec_b64 s[6:7], s[6:7]
	v_mov_b32_e32 v10, s10
	s_xor_b64 exec, exec, s[6:7]
	s_cbranch_execnz .LBB6_3132
.LBB6_1082:
	s_or_b64 exec, exec, s[6:7]
	s_and_saveexec_b64 s[6:7], s[4:5]
	s_cbranch_execz .LBB6_1084
.LBB6_1083:
	v_bfe_u32 v10, v15, 24, 3
	v_ffbh_u32_e32 v22, v10
	v_min_u32_e32 v22, 32, v22
	v_lshrrev_b32_e32 v20, 27, v15
	v_subrev_u32_e32 v23, 28, v22
	v_and_b32_e32 v14, 0x80000000, v15
	v_and_b32_e32 v20, 15, v20
	v_bfe_u32 v21, v15, 27, 4
	v_lshlrev_b32_sdwa v15, v23, v15 dst_sel:DWORD dst_unused:UNUSED_PAD src0_sel:DWORD src1_sel:BYTE_3
	v_sub_u32_e32 v22, 29, v22
	v_and_b32_e32 v15, 7, v15
	v_cmp_eq_u16_e32 vcc, 0, v20
	v_cndmask_b32_e32 v10, v10, v15, vcc
	v_cndmask_b32_e32 v15, v21, v22, vcc
	v_mov_b32_e32 v20, 0x3b800000
	v_lshlrev_b32_e32 v10, 20, v10
	v_lshl_add_u32 v15, v15, 23, v20
	v_or3_b32 v10, v14, v15, v10
.LBB6_1084:
	s_or_b64 exec, exec, s[6:7]
	s_movk_i32 s4, 0x7f
	v_cmp_gt_i16_sdwa s[6:7], v11, s4 src0_sel:BYTE_3 src1_sel:DWORD
	s_mov_b64 s[4:5], 0
                                        ; implicit-def: $sgpr10
	s_and_saveexec_b64 s[8:9], s[6:7]
	s_xor_b64 s[6:7], exec, s[8:9]
	s_cbranch_execnz .LBB6_3133
; %bb.1085:
	s_or_saveexec_b64 s[6:7], s[6:7]
	v_mov_b32_e32 v14, s10
	s_xor_b64 exec, exec, s[6:7]
	s_cbranch_execnz .LBB6_3136
.LBB6_1086:
	s_or_b64 exec, exec, s[6:7]
	s_and_saveexec_b64 s[6:7], s[4:5]
	s_cbranch_execz .LBB6_1088
.LBB6_1087:
	v_bfe_u32 v14, v11, 24, 3
	v_ffbh_u32_e32 v22, v14
	v_min_u32_e32 v22, 32, v22
	v_lshrrev_b32_e32 v20, 27, v11
	v_subrev_u32_e32 v23, 28, v22
	v_and_b32_e32 v15, 0x80000000, v11
	v_and_b32_e32 v20, 15, v20
	v_bfe_u32 v21, v11, 27, 4
	v_lshlrev_b32_sdwa v11, v23, v11 dst_sel:DWORD dst_unused:UNUSED_PAD src0_sel:DWORD src1_sel:BYTE_3
	v_sub_u32_e32 v22, 29, v22
	v_and_b32_e32 v11, 7, v11
	v_cmp_eq_u16_e32 vcc, 0, v20
	v_cndmask_b32_e32 v11, v14, v11, vcc
	v_cndmask_b32_e32 v14, v21, v22, vcc
	v_mov_b32_e32 v20, 0x3b800000
	v_lshlrev_b32_e32 v11, 20, v11
	v_lshl_add_u32 v14, v14, 23, v20
	v_or3_b32 v14, v15, v14, v11
.LBB6_1088:
	s_or_b64 exec, exec, s[6:7]
	s_nop 0
	v_mfma_f32_16x16x4f32 a[0:3], v10, v14, a[0:3]
	s_movk_i32 s4, 0x7f
	v_cmp_gt_i16_sdwa s[6:7], v16, s4 src0_sel:BYTE_0 src1_sel:DWORD
	s_mov_b64 s[4:5], 0
                                        ; implicit-def: $sgpr10
	s_and_saveexec_b64 s[8:9], s[6:7]
	s_xor_b64 s[6:7], exec, s[8:9]
	s_cbranch_execnz .LBB6_3137
; %bb.1089:
	s_or_saveexec_b64 s[6:7], s[6:7]
	v_mov_b32_e32 v10, s10
	s_xor_b64 exec, exec, s[6:7]
	s_cbranch_execnz .LBB6_3140
.LBB6_1090:
	s_or_b64 exec, exec, s[6:7]
	s_and_saveexec_b64 s[6:7], s[4:5]
	s_cbranch_execz .LBB6_1092
.LBB6_1091:
	v_and_b32_e32 v10, 7, v16
	v_ffbh_u32_e32 v14, v10
	v_min_u32_e32 v14, 32, v14
	v_lshrrev_b16_e32 v11, 3, v16
	v_subrev_u32_e32 v15, 28, v14
	v_and_b32_e32 v11, 15, v11
	v_lshlrev_b32_e32 v15, v15, v16
	v_sub_u32_e32 v14, 29, v14
	v_and_b32_e32 v15, 7, v15
	v_cmp_eq_u16_e32 vcc, 0, v11
	v_cndmask_b32_e32 v10, v10, v15, vcc
	v_cndmask_b32_e32 v11, v11, v14, vcc
	v_lshlrev_b32_e32 v14, 24, v16
	v_mov_b32_e32 v15, 0x3b800000
	v_lshlrev_b32_e32 v10, 20, v10
	v_and_b32_e32 v14, 0x80000000, v14
	v_lshl_add_u32 v11, v11, 23, v15
	v_or3_b32 v10, v14, v11, v10
.LBB6_1092:
	s_or_b64 exec, exec, s[6:7]
	s_movk_i32 s4, 0x7f
	v_cmp_gt_i16_sdwa s[6:7], v12, s4 src0_sel:BYTE_0 src1_sel:DWORD
	s_mov_b64 s[4:5], 0
                                        ; implicit-def: $sgpr10
	s_and_saveexec_b64 s[8:9], s[6:7]
	s_xor_b64 s[6:7], exec, s[8:9]
	s_cbranch_execnz .LBB6_3141
; %bb.1093:
	s_or_saveexec_b64 s[6:7], s[6:7]
	v_mov_b32_e32 v11, s10
	s_xor_b64 exec, exec, s[6:7]
	s_cbranch_execnz .LBB6_3144
.LBB6_1094:
	s_or_b64 exec, exec, s[6:7]
	s_and_saveexec_b64 s[6:7], s[4:5]
	s_cbranch_execz .LBB6_1096
.LBB6_1095:
	v_and_b32_e32 v11, 7, v12
	v_ffbh_u32_e32 v15, v11
	v_min_u32_e32 v15, 32, v15
	v_lshrrev_b16_e32 v14, 3, v12
	v_subrev_u32_e32 v20, 28, v15
	v_and_b32_e32 v14, 15, v14
	v_lshlrev_b32_e32 v20, v20, v12
	v_sub_u32_e32 v15, 29, v15
	v_and_b32_e32 v20, 7, v20
	v_cmp_eq_u16_e32 vcc, 0, v14
	v_cndmask_b32_e32 v11, v11, v20, vcc
	v_cndmask_b32_e32 v14, v14, v15, vcc
	v_lshlrev_b32_e32 v15, 24, v12
	v_mov_b32_e32 v20, 0x3b800000
	v_lshlrev_b32_e32 v11, 20, v11
	v_and_b32_e32 v15, 0x80000000, v15
	v_lshl_add_u32 v14, v14, 23, v20
	v_or3_b32 v11, v15, v14, v11
.LBB6_1096:
	s_or_b64 exec, exec, s[6:7]
	s_nop 0
	v_mfma_f32_16x16x4f32 a[0:3], v10, v11, a[0:3]
	v_lshrrev_b32_e32 v11, 8, v16
	s_movk_i32 s4, 0x7f
	v_cmp_gt_i16_sdwa s[6:7], v11, s4 src0_sel:BYTE_0 src1_sel:DWORD
	s_mov_b64 s[4:5], 0
                                        ; implicit-def: $sgpr10
	s_and_saveexec_b64 s[8:9], s[6:7]
	s_xor_b64 s[6:7], exec, s[8:9]
	s_cbranch_execnz .LBB6_3145
; %bb.1097:
	s_or_saveexec_b64 s[6:7], s[6:7]
	v_mov_b32_e32 v10, s10
	s_xor_b64 exec, exec, s[6:7]
	s_cbranch_execnz .LBB6_3148
.LBB6_1098:
	s_or_b64 exec, exec, s[6:7]
	s_and_saveexec_b64 s[6:7], s[4:5]
	s_cbranch_execz .LBB6_1100
.LBB6_1099:
	v_bfe_u32 v10, v16, 8, 3
	v_ffbh_u32_e32 v15, v10
	v_min_u32_e32 v15, 32, v15
	v_lshrrev_b16_e32 v14, 3, v11
	v_subrev_u32_e32 v20, 28, v15
	v_and_b32_e32 v14, 15, v14
	v_lshlrev_b32_e32 v11, v20, v11
	v_sub_u32_e32 v15, 29, v15
	v_and_b32_e32 v11, 7, v11
	v_cmp_eq_u16_e32 vcc, 0, v14
	v_cndmask_b32_e32 v10, v10, v11, vcc
	v_cndmask_b32_e32 v11, v14, v15, vcc
	v_lshlrev_b32_e32 v14, 16, v16
	v_mov_b32_e32 v15, 0x3b800000
	v_lshlrev_b32_e32 v10, 20, v10
	v_and_b32_e32 v14, 0x80000000, v14
	v_lshl_add_u32 v11, v11, 23, v15
	v_or3_b32 v10, v14, v11, v10
.LBB6_1100:
	s_or_b64 exec, exec, s[6:7]
	v_lshrrev_b32_e32 v11, 8, v12
	s_movk_i32 s4, 0x7f
	v_cmp_gt_i16_sdwa s[6:7], v11, s4 src0_sel:BYTE_0 src1_sel:DWORD
	s_mov_b64 s[4:5], 0
                                        ; implicit-def: $sgpr10
	s_and_saveexec_b64 s[8:9], s[6:7]
	s_xor_b64 s[6:7], exec, s[8:9]
	s_cbranch_execnz .LBB6_3149
; %bb.1101:
	s_or_saveexec_b64 s[6:7], s[6:7]
	v_mov_b32_e32 v14, s10
	s_xor_b64 exec, exec, s[6:7]
	s_cbranch_execnz .LBB6_3152
.LBB6_1102:
	s_or_b64 exec, exec, s[6:7]
	s_and_saveexec_b64 s[6:7], s[4:5]
	s_cbranch_execz .LBB6_1104
.LBB6_1103:
	v_bfe_u32 v14, v12, 8, 3
	v_ffbh_u32_e32 v20, v14
	v_min_u32_e32 v20, 32, v20
	v_lshrrev_b16_e32 v15, 3, v11
	v_subrev_u32_e32 v21, 28, v20
	v_and_b32_e32 v15, 15, v15
	v_lshlrev_b32_e32 v11, v21, v11
	v_sub_u32_e32 v20, 29, v20
	v_and_b32_e32 v11, 7, v11
	v_cmp_eq_u16_e32 vcc, 0, v15
	v_cndmask_b32_e32 v11, v14, v11, vcc
	v_cndmask_b32_e32 v14, v15, v20, vcc
	v_lshlrev_b32_e32 v15, 16, v12
	v_mov_b32_e32 v20, 0x3b800000
	v_lshlrev_b32_e32 v11, 20, v11
	v_and_b32_e32 v15, 0x80000000, v15
	v_lshl_add_u32 v14, v14, 23, v20
	v_or3_b32 v14, v15, v14, v11
.LBB6_1104:
	s_or_b64 exec, exec, s[6:7]
	s_nop 0
	v_mfma_f32_16x16x4f32 a[0:3], v10, v14, a[0:3]
	s_movk_i32 s4, 0xff
	v_and_b32_sdwa v11, v16, s4 dst_sel:DWORD dst_unused:UNUSED_PAD src0_sel:WORD_1 src1_sel:DWORD
	s_movk_i32 s4, 0x7f
	v_cmp_lt_i16_e32 vcc, s4, v11
	s_mov_b64 s[4:5], 0
                                        ; implicit-def: $sgpr10
	s_and_saveexec_b64 s[6:7], vcc
	s_xor_b64 s[6:7], exec, s[6:7]
	s_cbranch_execnz .LBB6_3153
; %bb.1105:
	s_or_saveexec_b64 s[6:7], s[6:7]
	v_mov_b32_e32 v10, s10
	s_xor_b64 exec, exec, s[6:7]
	s_cbranch_execnz .LBB6_3156
.LBB6_1106:
	s_or_b64 exec, exec, s[6:7]
	s_and_saveexec_b64 s[6:7], s[4:5]
	s_cbranch_execz .LBB6_1108
.LBB6_1107:
	v_bfe_u32 v10, v16, 16, 3
	v_ffbh_u32_e32 v15, v10
	v_min_u32_e32 v15, 32, v15
	v_lshrrev_b32_e32 v11, 19, v16
	v_subrev_u32_e32 v20, 28, v15
	v_and_b32_e32 v11, 15, v11
	v_lshlrev_b32_sdwa v20, v20, v16 dst_sel:DWORD dst_unused:UNUSED_PAD src0_sel:DWORD src1_sel:WORD_1
	v_bfe_u32 v14, v16, 19, 4
	v_sub_u32_e32 v15, 29, v15
	v_and_b32_e32 v20, 7, v20
	v_cmp_eq_u16_e32 vcc, 0, v11
	v_cndmask_b32_e32 v10, v10, v20, vcc
	v_cndmask_b32_e32 v11, v14, v15, vcc
	v_lshlrev_b32_e32 v14, 8, v16
	v_mov_b32_e32 v15, 0x3b800000
	v_lshlrev_b32_e32 v10, 20, v10
	v_and_b32_e32 v14, 0x80000000, v14
	v_lshl_add_u32 v11, v11, 23, v15
	v_or3_b32 v10, v14, v11, v10
.LBB6_1108:
	s_or_b64 exec, exec, s[6:7]
	s_movk_i32 s4, 0xff
	v_and_b32_sdwa v11, v12, s4 dst_sel:DWORD dst_unused:UNUSED_PAD src0_sel:WORD_1 src1_sel:DWORD
	s_movk_i32 s4, 0x7f
	v_cmp_lt_i16_e32 vcc, s4, v11
	s_mov_b64 s[4:5], 0
                                        ; implicit-def: $sgpr10
	s_and_saveexec_b64 s[6:7], vcc
	s_xor_b64 s[6:7], exec, s[6:7]
	s_cbranch_execnz .LBB6_3157
; %bb.1109:
	s_or_saveexec_b64 s[6:7], s[6:7]
	v_mov_b32_e32 v14, s10
	s_xor_b64 exec, exec, s[6:7]
	s_cbranch_execnz .LBB6_3160
.LBB6_1110:
	s_or_b64 exec, exec, s[6:7]
	s_and_saveexec_b64 s[6:7], s[4:5]
	s_cbranch_execz .LBB6_1112
.LBB6_1111:
	v_bfe_u32 v11, v12, 16, 3
	v_ffbh_u32_e32 v20, v11
	v_min_u32_e32 v20, 32, v20
	v_lshrrev_b32_e32 v14, 19, v12
	v_subrev_u32_e32 v21, 28, v20
	v_and_b32_e32 v14, 15, v14
	v_lshlrev_b32_sdwa v21, v21, v12 dst_sel:DWORD dst_unused:UNUSED_PAD src0_sel:DWORD src1_sel:WORD_1
	v_bfe_u32 v15, v12, 19, 4
	v_sub_u32_e32 v20, 29, v20
	v_and_b32_e32 v21, 7, v21
	v_cmp_eq_u16_e32 vcc, 0, v14
	v_cndmask_b32_e32 v11, v11, v21, vcc
	v_cndmask_b32_e32 v14, v15, v20, vcc
	v_lshlrev_b32_e32 v15, 8, v12
	v_mov_b32_e32 v20, 0x3b800000
	v_lshlrev_b32_e32 v11, 20, v11
	v_and_b32_e32 v15, 0x80000000, v15
	v_lshl_add_u32 v14, v14, 23, v20
	v_or3_b32 v14, v15, v14, v11
.LBB6_1112:
	s_or_b64 exec, exec, s[6:7]
	s_nop 0
	v_mfma_f32_16x16x4f32 a[0:3], v10, v14, a[0:3]
	s_movk_i32 s4, 0x7f
	v_cmp_gt_i16_sdwa s[6:7], v16, s4 src0_sel:BYTE_3 src1_sel:DWORD
	s_mov_b64 s[4:5], 0
                                        ; implicit-def: $sgpr10
	s_and_saveexec_b64 s[8:9], s[6:7]
	s_xor_b64 s[6:7], exec, s[8:9]
	s_cbranch_execnz .LBB6_3161
; %bb.1113:
	s_or_saveexec_b64 s[6:7], s[6:7]
	v_mov_b32_e32 v10, s10
	s_xor_b64 exec, exec, s[6:7]
	s_cbranch_execnz .LBB6_3164
.LBB6_1114:
	s_or_b64 exec, exec, s[6:7]
	s_and_saveexec_b64 s[6:7], s[4:5]
	s_cbranch_execz .LBB6_1116
.LBB6_1115:
	v_bfe_u32 v10, v16, 24, 3
	v_ffbh_u32_e32 v20, v10
	v_min_u32_e32 v20, 32, v20
	v_lshrrev_b32_e32 v14, 27, v16
	v_subrev_u32_e32 v21, 28, v20
	v_and_b32_e32 v11, 0x80000000, v16
	v_and_b32_e32 v14, 15, v14
	v_bfe_u32 v15, v16, 27, 4
	v_lshlrev_b32_sdwa v16, v21, v16 dst_sel:DWORD dst_unused:UNUSED_PAD src0_sel:DWORD src1_sel:BYTE_3
	v_sub_u32_e32 v20, 29, v20
	v_and_b32_e32 v16, 7, v16
	v_cmp_eq_u16_e32 vcc, 0, v14
	v_cndmask_b32_e32 v10, v10, v16, vcc
	v_cndmask_b32_e32 v14, v15, v20, vcc
	v_mov_b32_e32 v15, 0x3b800000
	v_lshlrev_b32_e32 v10, 20, v10
	v_lshl_add_u32 v14, v14, 23, v15
	v_or3_b32 v10, v11, v14, v10
.LBB6_1116:
	s_or_b64 exec, exec, s[6:7]
	s_movk_i32 s4, 0x7f
	v_cmp_gt_i16_sdwa s[6:7], v12, s4 src0_sel:BYTE_3 src1_sel:DWORD
	s_mov_b64 s[4:5], 0
                                        ; implicit-def: $sgpr10
	s_and_saveexec_b64 s[8:9], s[6:7]
	s_xor_b64 s[6:7], exec, s[8:9]
	s_cbranch_execnz .LBB6_3165
; %bb.1117:
	s_or_saveexec_b64 s[6:7], s[6:7]
	v_mov_b32_e32 v11, s10
	s_xor_b64 exec, exec, s[6:7]
	s_cbranch_execnz .LBB6_3168
.LBB6_1118:
	s_or_b64 exec, exec, s[6:7]
	s_and_saveexec_b64 s[6:7], s[4:5]
	s_cbranch_execz .LBB6_1120
.LBB6_1119:
	v_bfe_u32 v11, v12, 24, 3
	v_ffbh_u32_e32 v20, v11
	v_min_u32_e32 v20, 32, v20
	v_lshrrev_b32_e32 v15, 27, v12
	v_subrev_u32_e32 v21, 28, v20
	v_and_b32_e32 v14, 0x80000000, v12
	v_and_b32_e32 v15, 15, v15
	v_bfe_u32 v16, v12, 27, 4
	v_lshlrev_b32_sdwa v12, v21, v12 dst_sel:DWORD dst_unused:UNUSED_PAD src0_sel:DWORD src1_sel:BYTE_3
	v_sub_u32_e32 v20, 29, v20
	v_and_b32_e32 v12, 7, v12
	v_cmp_eq_u16_e32 vcc, 0, v15
	v_cndmask_b32_e32 v11, v11, v12, vcc
	v_cndmask_b32_e32 v12, v16, v20, vcc
	v_mov_b32_e32 v15, 0x3b800000
	v_lshlrev_b32_e32 v11, 20, v11
	v_lshl_add_u32 v12, v12, 23, v15
	v_or3_b32 v11, v14, v12, v11
.LBB6_1120:
	s_or_b64 exec, exec, s[6:7]
	s_nop 0
	v_mfma_f32_16x16x4f32 a[0:3], v10, v11, a[0:3]
	s_movk_i32 s4, 0x7f
	v_cmp_gt_i16_sdwa s[6:7], v17, s4 src0_sel:BYTE_0 src1_sel:DWORD
	s_mov_b64 s[4:5], 0
                                        ; implicit-def: $sgpr10
	s_and_saveexec_b64 s[8:9], s[6:7]
	s_xor_b64 s[6:7], exec, s[8:9]
	s_cbranch_execnz .LBB6_3169
; %bb.1121:
	s_or_saveexec_b64 s[6:7], s[6:7]
	v_mov_b32_e32 v10, s10
	s_xor_b64 exec, exec, s[6:7]
	s_cbranch_execnz .LBB6_3172
.LBB6_1122:
	s_or_b64 exec, exec, s[6:7]
	s_and_saveexec_b64 s[6:7], s[4:5]
	s_cbranch_execz .LBB6_1124
.LBB6_1123:
	v_and_b32_e32 v10, 7, v17
	v_ffbh_u32_e32 v12, v10
	v_min_u32_e32 v12, 32, v12
	v_lshrrev_b16_e32 v11, 3, v17
	v_subrev_u32_e32 v14, 28, v12
	v_and_b32_e32 v11, 15, v11
	v_lshlrev_b32_e32 v14, v14, v17
	v_sub_u32_e32 v12, 29, v12
	v_and_b32_e32 v14, 7, v14
	v_cmp_eq_u16_e32 vcc, 0, v11
	v_cndmask_b32_e32 v10, v10, v14, vcc
	v_cndmask_b32_e32 v11, v11, v12, vcc
	v_lshlrev_b32_e32 v12, 24, v17
	v_mov_b32_e32 v14, 0x3b800000
	v_lshlrev_b32_e32 v10, 20, v10
	v_and_b32_e32 v12, 0x80000000, v12
	v_lshl_add_u32 v11, v11, 23, v14
	v_or3_b32 v10, v12, v11, v10
.LBB6_1124:
	s_or_b64 exec, exec, s[6:7]
	s_movk_i32 s4, 0x7f
	v_cmp_gt_i16_sdwa s[6:7], v13, s4 src0_sel:BYTE_0 src1_sel:DWORD
	s_mov_b64 s[4:5], 0
                                        ; implicit-def: $sgpr10
	s_and_saveexec_b64 s[8:9], s[6:7]
	s_xor_b64 s[6:7], exec, s[8:9]
	s_cbranch_execnz .LBB6_3173
; %bb.1125:
	s_or_saveexec_b64 s[6:7], s[6:7]
	v_mov_b32_e32 v11, s10
	s_xor_b64 exec, exec, s[6:7]
	s_cbranch_execnz .LBB6_3176
.LBB6_1126:
	s_or_b64 exec, exec, s[6:7]
	s_and_saveexec_b64 s[6:7], s[4:5]
	s_cbranch_execz .LBB6_1128
.LBB6_1127:
	v_and_b32_e32 v11, 7, v13
	v_ffbh_u32_e32 v14, v11
	v_min_u32_e32 v14, 32, v14
	v_lshrrev_b16_e32 v12, 3, v13
	v_subrev_u32_e32 v15, 28, v14
	v_and_b32_e32 v12, 15, v12
	v_lshlrev_b32_e32 v15, v15, v13
	v_sub_u32_e32 v14, 29, v14
	v_and_b32_e32 v15, 7, v15
	v_cmp_eq_u16_e32 vcc, 0, v12
	v_cndmask_b32_e32 v11, v11, v15, vcc
	v_cndmask_b32_e32 v12, v12, v14, vcc
	v_lshlrev_b32_e32 v14, 24, v13
	v_mov_b32_e32 v15, 0x3b800000
	v_lshlrev_b32_e32 v11, 20, v11
	v_and_b32_e32 v14, 0x80000000, v14
	v_lshl_add_u32 v12, v12, 23, v15
	v_or3_b32 v11, v14, v12, v11
.LBB6_1128:
	s_or_b64 exec, exec, s[6:7]
	s_nop 0
	v_mfma_f32_16x16x4f32 a[0:3], v10, v11, a[0:3]
	v_lshrrev_b32_e32 v11, 8, v17
	s_movk_i32 s4, 0x7f
	v_cmp_gt_i16_sdwa s[6:7], v11, s4 src0_sel:BYTE_0 src1_sel:DWORD
	s_mov_b64 s[4:5], 0
                                        ; implicit-def: $sgpr10
	s_and_saveexec_b64 s[8:9], s[6:7]
	s_xor_b64 s[6:7], exec, s[8:9]
	s_cbranch_execnz .LBB6_3177
; %bb.1129:
	s_or_saveexec_b64 s[6:7], s[6:7]
	v_mov_b32_e32 v10, s10
	s_xor_b64 exec, exec, s[6:7]
	s_cbranch_execnz .LBB6_3180
.LBB6_1130:
	s_or_b64 exec, exec, s[6:7]
	s_and_saveexec_b64 s[6:7], s[4:5]
	s_cbranch_execz .LBB6_1132
.LBB6_1131:
	v_bfe_u32 v10, v17, 8, 3
	v_ffbh_u32_e32 v14, v10
	v_min_u32_e32 v14, 32, v14
	v_lshrrev_b16_e32 v12, 3, v11
	v_subrev_u32_e32 v15, 28, v14
	v_and_b32_e32 v12, 15, v12
	v_lshlrev_b32_e32 v11, v15, v11
	v_sub_u32_e32 v14, 29, v14
	v_and_b32_e32 v11, 7, v11
	v_cmp_eq_u16_e32 vcc, 0, v12
	v_cndmask_b32_e32 v10, v10, v11, vcc
	v_cndmask_b32_e32 v11, v12, v14, vcc
	v_lshlrev_b32_e32 v12, 16, v17
	v_mov_b32_e32 v14, 0x3b800000
	v_lshlrev_b32_e32 v10, 20, v10
	v_and_b32_e32 v12, 0x80000000, v12
	v_lshl_add_u32 v11, v11, 23, v14
	v_or3_b32 v10, v12, v11, v10
.LBB6_1132:
	s_or_b64 exec, exec, s[6:7]
	v_lshrrev_b32_e32 v11, 8, v13
	s_movk_i32 s4, 0x7f
	v_cmp_gt_i16_sdwa s[6:7], v11, s4 src0_sel:BYTE_0 src1_sel:DWORD
	s_mov_b64 s[4:5], 0
                                        ; implicit-def: $sgpr10
	s_and_saveexec_b64 s[8:9], s[6:7]
	s_xor_b64 s[6:7], exec, s[8:9]
	s_cbranch_execnz .LBB6_3181
; %bb.1133:
	s_or_saveexec_b64 s[6:7], s[6:7]
	v_mov_b32_e32 v12, s10
	s_xor_b64 exec, exec, s[6:7]
	s_cbranch_execnz .LBB6_3184
.LBB6_1134:
	s_or_b64 exec, exec, s[6:7]
	s_and_saveexec_b64 s[6:7], s[4:5]
	s_cbranch_execz .LBB6_1136
.LBB6_1135:
	v_bfe_u32 v12, v13, 8, 3
	v_ffbh_u32_e32 v15, v12
	v_min_u32_e32 v15, 32, v15
	v_lshrrev_b16_e32 v14, 3, v11
	v_subrev_u32_e32 v16, 28, v15
	v_and_b32_e32 v14, 15, v14
	v_lshlrev_b32_e32 v11, v16, v11
	v_sub_u32_e32 v15, 29, v15
	v_and_b32_e32 v11, 7, v11
	v_cmp_eq_u16_e32 vcc, 0, v14
	v_cndmask_b32_e32 v11, v12, v11, vcc
	v_cndmask_b32_e32 v12, v14, v15, vcc
	v_lshlrev_b32_e32 v14, 16, v13
	v_mov_b32_e32 v15, 0x3b800000
	v_lshlrev_b32_e32 v11, 20, v11
	v_and_b32_e32 v14, 0x80000000, v14
	v_lshl_add_u32 v12, v12, 23, v15
	v_or3_b32 v12, v14, v12, v11
.LBB6_1136:
	s_or_b64 exec, exec, s[6:7]
	s_nop 0
	v_mfma_f32_16x16x4f32 a[0:3], v10, v12, a[0:3]
	s_movk_i32 s4, 0xff
	v_and_b32_sdwa v11, v17, s4 dst_sel:DWORD dst_unused:UNUSED_PAD src0_sel:WORD_1 src1_sel:DWORD
	s_movk_i32 s4, 0x7f
	v_cmp_lt_i16_e32 vcc, s4, v11
	s_mov_b64 s[4:5], 0
                                        ; implicit-def: $sgpr10
	s_and_saveexec_b64 s[6:7], vcc
	s_xor_b64 s[6:7], exec, s[6:7]
	s_cbranch_execnz .LBB6_3185
; %bb.1137:
	s_or_saveexec_b64 s[6:7], s[6:7]
	v_mov_b32_e32 v10, s10
	s_xor_b64 exec, exec, s[6:7]
	s_cbranch_execnz .LBB6_3188
.LBB6_1138:
	s_or_b64 exec, exec, s[6:7]
	s_and_saveexec_b64 s[6:7], s[4:5]
	s_cbranch_execz .LBB6_1140
.LBB6_1139:
	v_bfe_u32 v10, v17, 16, 3
	v_ffbh_u32_e32 v14, v10
	v_min_u32_e32 v14, 32, v14
	v_lshrrev_b32_e32 v11, 19, v17
	v_subrev_u32_e32 v15, 28, v14
	v_and_b32_e32 v11, 15, v11
	v_lshlrev_b32_sdwa v15, v15, v17 dst_sel:DWORD dst_unused:UNUSED_PAD src0_sel:DWORD src1_sel:WORD_1
	v_bfe_u32 v12, v17, 19, 4
	v_sub_u32_e32 v14, 29, v14
	v_and_b32_e32 v15, 7, v15
	v_cmp_eq_u16_e32 vcc, 0, v11
	v_cndmask_b32_e32 v10, v10, v15, vcc
	v_cndmask_b32_e32 v11, v12, v14, vcc
	v_lshlrev_b32_e32 v12, 8, v17
	v_mov_b32_e32 v14, 0x3b800000
	v_lshlrev_b32_e32 v10, 20, v10
	v_and_b32_e32 v12, 0x80000000, v12
	v_lshl_add_u32 v11, v11, 23, v14
	v_or3_b32 v10, v12, v11, v10
.LBB6_1140:
	s_or_b64 exec, exec, s[6:7]
	s_movk_i32 s4, 0xff
	v_and_b32_sdwa v11, v13, s4 dst_sel:DWORD dst_unused:UNUSED_PAD src0_sel:WORD_1 src1_sel:DWORD
	s_movk_i32 s4, 0x7f
	v_cmp_lt_i16_e32 vcc, s4, v11
	s_mov_b64 s[4:5], 0
                                        ; implicit-def: $sgpr10
	s_and_saveexec_b64 s[6:7], vcc
	s_xor_b64 s[6:7], exec, s[6:7]
	s_cbranch_execnz .LBB6_3189
; %bb.1141:
	s_or_saveexec_b64 s[6:7], s[6:7]
	v_mov_b32_e32 v12, s10
	s_xor_b64 exec, exec, s[6:7]
	s_cbranch_execnz .LBB6_3192
.LBB6_1142:
	s_or_b64 exec, exec, s[6:7]
	s_and_saveexec_b64 s[6:7], s[4:5]
	s_cbranch_execz .LBB6_1144
.LBB6_1143:
	v_bfe_u32 v11, v13, 16, 3
	v_ffbh_u32_e32 v15, v11
	v_min_u32_e32 v15, 32, v15
	v_lshrrev_b32_e32 v12, 19, v13
	v_subrev_u32_e32 v16, 28, v15
	v_and_b32_e32 v12, 15, v12
	v_lshlrev_b32_sdwa v16, v16, v13 dst_sel:DWORD dst_unused:UNUSED_PAD src0_sel:DWORD src1_sel:WORD_1
	v_bfe_u32 v14, v13, 19, 4
	v_sub_u32_e32 v15, 29, v15
	v_and_b32_e32 v16, 7, v16
	v_cmp_eq_u16_e32 vcc, 0, v12
	v_cndmask_b32_e32 v11, v11, v16, vcc
	v_cndmask_b32_e32 v12, v14, v15, vcc
	v_lshlrev_b32_e32 v14, 8, v13
	v_mov_b32_e32 v15, 0x3b800000
	v_lshlrev_b32_e32 v11, 20, v11
	v_and_b32_e32 v14, 0x80000000, v14
	v_lshl_add_u32 v12, v12, 23, v15
	v_or3_b32 v12, v14, v12, v11
.LBB6_1144:
	s_or_b64 exec, exec, s[6:7]
	s_nop 0
	v_mfma_f32_16x16x4f32 a[0:3], v10, v12, a[0:3]
	s_movk_i32 s4, 0x7f
	v_cmp_gt_i16_sdwa s[6:7], v17, s4 src0_sel:BYTE_3 src1_sel:DWORD
	s_mov_b64 s[4:5], 0
                                        ; implicit-def: $sgpr10
	s_and_saveexec_b64 s[8:9], s[6:7]
	s_xor_b64 s[6:7], exec, s[8:9]
	s_cbranch_execnz .LBB6_3193
; %bb.1145:
	s_or_saveexec_b64 s[6:7], s[6:7]
	v_mov_b32_e32 v10, s10
	s_xor_b64 exec, exec, s[6:7]
	s_cbranch_execnz .LBB6_3196
.LBB6_1146:
	s_or_b64 exec, exec, s[6:7]
	s_and_saveexec_b64 s[6:7], s[4:5]
	s_cbranch_execz .LBB6_1148
.LBB6_1147:
	v_bfe_u32 v10, v17, 24, 3
	v_ffbh_u32_e32 v15, v10
	v_min_u32_e32 v15, 32, v15
	v_lshrrev_b32_e32 v12, 27, v17
	v_subrev_u32_e32 v16, 28, v15
	v_and_b32_e32 v12, 15, v12
	v_lshlrev_b32_sdwa v16, v16, v17 dst_sel:DWORD dst_unused:UNUSED_PAD src0_sel:DWORD src1_sel:BYTE_3
	v_bfe_u32 v14, v17, 27, 4
	v_sub_u32_e32 v15, 29, v15
	v_and_b32_e32 v16, 7, v16
	v_cmp_eq_u16_e32 vcc, 0, v12
	v_cndmask_b32_e32 v10, v10, v16, vcc
	v_cndmask_b32_e32 v12, v14, v15, vcc
	v_mov_b32_e32 v14, 0x3b800000
	v_and_b32_e32 v11, 0x80000000, v17
	v_lshlrev_b32_e32 v10, 20, v10
	v_lshl_add_u32 v12, v12, 23, v14
	v_or3_b32 v10, v11, v12, v10
.LBB6_1148:
	s_or_b64 exec, exec, s[6:7]
	s_movk_i32 s4, 0x7f
	v_cmp_gt_i16_sdwa s[6:7], v13, s4 src0_sel:BYTE_3 src1_sel:DWORD
	s_mov_b64 s[4:5], 0
                                        ; implicit-def: $sgpr10
	s_and_saveexec_b64 s[8:9], s[6:7]
	s_xor_b64 s[6:7], exec, s[8:9]
	s_cbranch_execnz .LBB6_3197
; %bb.1149:
	s_or_saveexec_b64 s[6:7], s[6:7]
	v_mov_b32_e32 v11, s10
	s_xor_b64 exec, exec, s[6:7]
	s_cbranch_execnz .LBB6_3200
.LBB6_1150:
	s_or_b64 exec, exec, s[6:7]
	s_and_saveexec_b64 s[6:7], s[4:5]
	s_cbranch_execz .LBB6_1152
.LBB6_1151:
	v_bfe_u32 v11, v13, 24, 3
	v_ffbh_u32_e32 v16, v11
	v_min_u32_e32 v16, 32, v16
	v_lshrrev_b32_e32 v14, 27, v13
	v_subrev_u32_e32 v17, 28, v16
	v_and_b32_e32 v12, 0x80000000, v13
	v_and_b32_e32 v14, 15, v14
	v_bfe_u32 v15, v13, 27, 4
	v_lshlrev_b32_sdwa v13, v17, v13 dst_sel:DWORD dst_unused:UNUSED_PAD src0_sel:DWORD src1_sel:BYTE_3
	v_sub_u32_e32 v16, 29, v16
	v_and_b32_e32 v13, 7, v13
	v_cmp_eq_u16_e32 vcc, 0, v14
	v_cndmask_b32_e32 v11, v11, v13, vcc
	v_cndmask_b32_e32 v13, v15, v16, vcc
	v_mov_b32_e32 v14, 0x3b800000
	v_lshlrev_b32_e32 v11, 20, v11
	v_lshl_add_u32 v13, v13, 23, v14
	v_or3_b32 v11, v12, v13, v11
.LBB6_1152:
	s_or_b64 exec, exec, s[6:7]
	s_nop 0
	v_mfma_f32_16x16x4f32 a[0:3], v10, v11, a[0:3]
	s_movk_i32 s4, 0x7f
	v_cmp_gt_i16_sdwa s[6:7], v6, s4 src0_sel:BYTE_0 src1_sel:DWORD
	s_mov_b64 s[4:5], 0
                                        ; implicit-def: $sgpr10
	s_and_saveexec_b64 s[8:9], s[6:7]
	s_xor_b64 s[6:7], exec, s[8:9]
	s_cbranch_execnz .LBB6_3201
; %bb.1153:
	s_or_saveexec_b64 s[6:7], s[6:7]
	v_mov_b32_e32 v10, s10
	s_xor_b64 exec, exec, s[6:7]
	s_cbranch_execnz .LBB6_3204
.LBB6_1154:
	s_or_b64 exec, exec, s[6:7]
	s_and_saveexec_b64 s[6:7], s[4:5]
	s_cbranch_execz .LBB6_1156
.LBB6_1155:
	v_and_b32_e32 v10, 7, v6
	v_ffbh_u32_e32 v12, v10
	v_min_u32_e32 v12, 32, v12
	v_lshrrev_b16_e32 v11, 3, v6
	v_subrev_u32_e32 v13, 28, v12
	v_and_b32_e32 v11, 15, v11
	v_lshlrev_b32_e32 v13, v13, v6
	v_sub_u32_e32 v12, 29, v12
	v_and_b32_e32 v13, 7, v13
	v_cmp_eq_u16_e32 vcc, 0, v11
	v_cndmask_b32_e32 v10, v10, v13, vcc
	v_cndmask_b32_e32 v11, v11, v12, vcc
	v_lshlrev_b32_e32 v12, 24, v6
	v_mov_b32_e32 v13, 0x3b800000
	v_lshlrev_b32_e32 v10, 20, v10
	v_and_b32_e32 v12, 0x80000000, v12
	v_lshl_add_u32 v11, v11, 23, v13
	v_or3_b32 v10, v12, v11, v10
.LBB6_1156:
	s_or_b64 exec, exec, s[6:7]
	s_movk_i32 s4, 0x7f
	v_cmp_gt_i16_sdwa s[6:7], v2, s4 src0_sel:BYTE_0 src1_sel:DWORD
	s_mov_b64 s[4:5], 0
                                        ; implicit-def: $sgpr10
	s_and_saveexec_b64 s[8:9], s[6:7]
	s_xor_b64 s[6:7], exec, s[8:9]
	s_cbranch_execnz .LBB6_3205
; %bb.1157:
	s_or_saveexec_b64 s[6:7], s[6:7]
	v_mov_b32_e32 v11, s10
	s_xor_b64 exec, exec, s[6:7]
	s_cbranch_execnz .LBB6_3208
.LBB6_1158:
	s_or_b64 exec, exec, s[6:7]
	s_and_saveexec_b64 s[6:7], s[4:5]
	s_cbranch_execz .LBB6_1160
.LBB6_1159:
	v_and_b32_e32 v11, 7, v2
	v_ffbh_u32_e32 v13, v11
	v_min_u32_e32 v13, 32, v13
	v_lshrrev_b16_e32 v12, 3, v2
	v_subrev_u32_e32 v14, 28, v13
	v_and_b32_e32 v12, 15, v12
	v_lshlrev_b32_e32 v14, v14, v2
	v_sub_u32_e32 v13, 29, v13
	v_and_b32_e32 v14, 7, v14
	v_cmp_eq_u16_e32 vcc, 0, v12
	v_cndmask_b32_e32 v11, v11, v14, vcc
	v_cndmask_b32_e32 v12, v12, v13, vcc
	v_lshlrev_b32_e32 v13, 24, v2
	v_mov_b32_e32 v14, 0x3b800000
	v_lshlrev_b32_e32 v11, 20, v11
	v_and_b32_e32 v13, 0x80000000, v13
	v_lshl_add_u32 v12, v12, 23, v14
	v_or3_b32 v11, v13, v12, v11
.LBB6_1160:
	s_or_b64 exec, exec, s[6:7]
	s_nop 0
	v_mfma_f32_16x16x4f32 a[0:3], v10, v11, a[0:3]
	v_lshrrev_b32_e32 v11, 8, v6
	s_movk_i32 s4, 0x7f
	v_cmp_gt_i16_sdwa s[6:7], v11, s4 src0_sel:BYTE_0 src1_sel:DWORD
	s_mov_b64 s[4:5], 0
                                        ; implicit-def: $sgpr10
	s_and_saveexec_b64 s[8:9], s[6:7]
	s_xor_b64 s[6:7], exec, s[8:9]
	s_cbranch_execnz .LBB6_3209
; %bb.1161:
	s_or_saveexec_b64 s[6:7], s[6:7]
	v_mov_b32_e32 v10, s10
	s_xor_b64 exec, exec, s[6:7]
	s_cbranch_execnz .LBB6_3212
.LBB6_1162:
	s_or_b64 exec, exec, s[6:7]
	s_and_saveexec_b64 s[6:7], s[4:5]
	s_cbranch_execz .LBB6_1164
.LBB6_1163:
	v_bfe_u32 v10, v6, 8, 3
	v_ffbh_u32_e32 v13, v10
	v_min_u32_e32 v13, 32, v13
	v_lshrrev_b16_e32 v12, 3, v11
	v_subrev_u32_e32 v14, 28, v13
	v_and_b32_e32 v12, 15, v12
	v_lshlrev_b32_e32 v11, v14, v11
	v_sub_u32_e32 v13, 29, v13
	v_and_b32_e32 v11, 7, v11
	v_cmp_eq_u16_e32 vcc, 0, v12
	v_cndmask_b32_e32 v10, v10, v11, vcc
	v_cndmask_b32_e32 v11, v12, v13, vcc
	v_lshlrev_b32_e32 v12, 16, v6
	v_mov_b32_e32 v13, 0x3b800000
	v_lshlrev_b32_e32 v10, 20, v10
	v_and_b32_e32 v12, 0x80000000, v12
	v_lshl_add_u32 v11, v11, 23, v13
	v_or3_b32 v10, v12, v11, v10
.LBB6_1164:
	s_or_b64 exec, exec, s[6:7]
	v_lshrrev_b32_e32 v11, 8, v2
	s_movk_i32 s4, 0x7f
	v_cmp_gt_i16_sdwa s[6:7], v11, s4 src0_sel:BYTE_0 src1_sel:DWORD
	s_mov_b64 s[4:5], 0
                                        ; implicit-def: $sgpr10
	s_and_saveexec_b64 s[8:9], s[6:7]
	s_xor_b64 s[6:7], exec, s[8:9]
	s_cbranch_execnz .LBB6_3213
; %bb.1165:
	s_or_saveexec_b64 s[6:7], s[6:7]
	v_mov_b32_e32 v12, s10
	s_xor_b64 exec, exec, s[6:7]
	s_cbranch_execnz .LBB6_3216
.LBB6_1166:
	s_or_b64 exec, exec, s[6:7]
	s_and_saveexec_b64 s[6:7], s[4:5]
	s_cbranch_execz .LBB6_1168
.LBB6_1167:
	v_bfe_u32 v12, v2, 8, 3
	v_ffbh_u32_e32 v14, v12
	v_min_u32_e32 v14, 32, v14
	v_lshrrev_b16_e32 v13, 3, v11
	v_subrev_u32_e32 v15, 28, v14
	v_and_b32_e32 v13, 15, v13
	v_lshlrev_b32_e32 v11, v15, v11
	v_sub_u32_e32 v14, 29, v14
	v_and_b32_e32 v11, 7, v11
	v_cmp_eq_u16_e32 vcc, 0, v13
	v_cndmask_b32_e32 v11, v12, v11, vcc
	v_cndmask_b32_e32 v12, v13, v14, vcc
	v_lshlrev_b32_e32 v13, 16, v2
	v_mov_b32_e32 v14, 0x3b800000
	v_lshlrev_b32_e32 v11, 20, v11
	v_and_b32_e32 v13, 0x80000000, v13
	v_lshl_add_u32 v12, v12, 23, v14
	v_or3_b32 v12, v13, v12, v11
.LBB6_1168:
	s_or_b64 exec, exec, s[6:7]
	s_nop 0
	v_mfma_f32_16x16x4f32 a[0:3], v10, v12, a[0:3]
	s_movk_i32 s4, 0xff
	v_and_b32_sdwa v11, v6, s4 dst_sel:DWORD dst_unused:UNUSED_PAD src0_sel:WORD_1 src1_sel:DWORD
	s_movk_i32 s4, 0x7f
	v_cmp_lt_i16_e32 vcc, s4, v11
	s_mov_b64 s[4:5], 0
                                        ; implicit-def: $sgpr10
	s_and_saveexec_b64 s[6:7], vcc
	s_xor_b64 s[6:7], exec, s[6:7]
	s_cbranch_execnz .LBB6_3217
; %bb.1169:
	s_or_saveexec_b64 s[6:7], s[6:7]
	v_mov_b32_e32 v10, s10
	s_xor_b64 exec, exec, s[6:7]
	s_cbranch_execnz .LBB6_3220
.LBB6_1170:
	s_or_b64 exec, exec, s[6:7]
	s_and_saveexec_b64 s[6:7], s[4:5]
	s_cbranch_execz .LBB6_1172
.LBB6_1171:
	v_bfe_u32 v10, v6, 16, 3
	v_ffbh_u32_e32 v13, v10
	v_min_u32_e32 v13, 32, v13
	v_lshrrev_b32_e32 v11, 19, v6
	v_subrev_u32_e32 v14, 28, v13
	v_and_b32_e32 v11, 15, v11
	v_lshlrev_b32_sdwa v14, v14, v6 dst_sel:DWORD dst_unused:UNUSED_PAD src0_sel:DWORD src1_sel:WORD_1
	v_bfe_u32 v12, v6, 19, 4
	v_sub_u32_e32 v13, 29, v13
	v_and_b32_e32 v14, 7, v14
	v_cmp_eq_u16_e32 vcc, 0, v11
	v_cndmask_b32_e32 v10, v10, v14, vcc
	v_cndmask_b32_e32 v11, v12, v13, vcc
	v_lshlrev_b32_e32 v12, 8, v6
	v_mov_b32_e32 v13, 0x3b800000
	v_lshlrev_b32_e32 v10, 20, v10
	v_and_b32_e32 v12, 0x80000000, v12
	v_lshl_add_u32 v11, v11, 23, v13
	v_or3_b32 v10, v12, v11, v10
.LBB6_1172:
	s_or_b64 exec, exec, s[6:7]
	s_movk_i32 s4, 0xff
	v_and_b32_sdwa v11, v2, s4 dst_sel:DWORD dst_unused:UNUSED_PAD src0_sel:WORD_1 src1_sel:DWORD
	s_movk_i32 s4, 0x7f
	v_cmp_lt_i16_e32 vcc, s4, v11
	s_mov_b64 s[4:5], 0
                                        ; implicit-def: $sgpr10
	s_and_saveexec_b64 s[6:7], vcc
	s_xor_b64 s[6:7], exec, s[6:7]
	s_cbranch_execnz .LBB6_3221
; %bb.1173:
	s_or_saveexec_b64 s[6:7], s[6:7]
	v_mov_b32_e32 v12, s10
	s_xor_b64 exec, exec, s[6:7]
	s_cbranch_execnz .LBB6_3224
.LBB6_1174:
	s_or_b64 exec, exec, s[6:7]
	s_and_saveexec_b64 s[6:7], s[4:5]
	s_cbranch_execz .LBB6_1176
.LBB6_1175:
	v_bfe_u32 v11, v2, 16, 3
	v_ffbh_u32_e32 v14, v11
	v_min_u32_e32 v14, 32, v14
	v_lshrrev_b32_e32 v12, 19, v2
	v_subrev_u32_e32 v15, 28, v14
	v_and_b32_e32 v12, 15, v12
	v_lshlrev_b32_sdwa v15, v15, v2 dst_sel:DWORD dst_unused:UNUSED_PAD src0_sel:DWORD src1_sel:WORD_1
	v_bfe_u32 v13, v2, 19, 4
	v_sub_u32_e32 v14, 29, v14
	v_and_b32_e32 v15, 7, v15
	v_cmp_eq_u16_e32 vcc, 0, v12
	v_cndmask_b32_e32 v11, v11, v15, vcc
	v_cndmask_b32_e32 v12, v13, v14, vcc
	v_lshlrev_b32_e32 v13, 8, v2
	v_mov_b32_e32 v14, 0x3b800000
	v_lshlrev_b32_e32 v11, 20, v11
	v_and_b32_e32 v13, 0x80000000, v13
	v_lshl_add_u32 v12, v12, 23, v14
	v_or3_b32 v12, v13, v12, v11
.LBB6_1176:
	s_or_b64 exec, exec, s[6:7]
	s_nop 0
	v_mfma_f32_16x16x4f32 a[0:3], v10, v12, a[0:3]
	s_movk_i32 s4, 0x7f
	v_cmp_gt_i16_sdwa s[6:7], v6, s4 src0_sel:BYTE_3 src1_sel:DWORD
	s_mov_b64 s[4:5], 0
                                        ; implicit-def: $sgpr10
	s_and_saveexec_b64 s[8:9], s[6:7]
	s_xor_b64 s[6:7], exec, s[8:9]
	s_cbranch_execnz .LBB6_3225
; %bb.1177:
	s_or_saveexec_b64 s[6:7], s[6:7]
	v_mov_b32_e32 v10, s10
	s_xor_b64 exec, exec, s[6:7]
	s_cbranch_execnz .LBB6_3228
.LBB6_1178:
	s_or_b64 exec, exec, s[6:7]
	s_and_saveexec_b64 s[6:7], s[4:5]
	s_cbranch_execz .LBB6_1180
.LBB6_1179:
	v_bfe_u32 v10, v6, 24, 3
	v_ffbh_u32_e32 v14, v10
	v_min_u32_e32 v14, 32, v14
	v_lshrrev_b32_e32 v12, 27, v6
	v_subrev_u32_e32 v15, 28, v14
	v_and_b32_e32 v11, 0x80000000, v6
	v_and_b32_e32 v12, 15, v12
	v_bfe_u32 v13, v6, 27, 4
	v_lshlrev_b32_sdwa v6, v15, v6 dst_sel:DWORD dst_unused:UNUSED_PAD src0_sel:DWORD src1_sel:BYTE_3
	v_sub_u32_e32 v14, 29, v14
	v_and_b32_e32 v6, 7, v6
	v_cmp_eq_u16_e32 vcc, 0, v12
	v_cndmask_b32_e32 v6, v10, v6, vcc
	v_cndmask_b32_e32 v10, v13, v14, vcc
	v_mov_b32_e32 v12, 0x3b800000
	v_lshlrev_b32_e32 v6, 20, v6
	v_lshl_add_u32 v10, v10, 23, v12
	v_or3_b32 v10, v11, v10, v6
.LBB6_1180:
	s_or_b64 exec, exec, s[6:7]
	s_movk_i32 s4, 0x7f
	v_cmp_gt_i16_sdwa s[6:7], v2, s4 src0_sel:BYTE_3 src1_sel:DWORD
	s_mov_b64 s[4:5], 0
                                        ; implicit-def: $sgpr10
	s_and_saveexec_b64 s[8:9], s[6:7]
	s_xor_b64 s[6:7], exec, s[8:9]
	s_cbranch_execnz .LBB6_3229
; %bb.1181:
	s_or_saveexec_b64 s[6:7], s[6:7]
	v_mov_b32_e32 v6, s10
	s_xor_b64 exec, exec, s[6:7]
	s_cbranch_execnz .LBB6_3232
.LBB6_1182:
	s_or_b64 exec, exec, s[6:7]
	s_and_saveexec_b64 s[6:7], s[4:5]
	s_cbranch_execz .LBB6_1184
.LBB6_1183:
	v_bfe_u32 v6, v2, 24, 3
	v_ffbh_u32_e32 v14, v6
	v_min_u32_e32 v14, 32, v14
	v_lshrrev_b32_e32 v12, 27, v2
	v_subrev_u32_e32 v15, 28, v14
	v_and_b32_e32 v11, 0x80000000, v2
	v_and_b32_e32 v12, 15, v12
	v_bfe_u32 v13, v2, 27, 4
	v_lshlrev_b32_sdwa v2, v15, v2 dst_sel:DWORD dst_unused:UNUSED_PAD src0_sel:DWORD src1_sel:BYTE_3
	v_sub_u32_e32 v14, 29, v14
	v_and_b32_e32 v2, 7, v2
	v_cmp_eq_u16_e32 vcc, 0, v12
	v_cndmask_b32_e32 v2, v6, v2, vcc
	v_cndmask_b32_e32 v6, v13, v14, vcc
	v_mov_b32_e32 v12, 0x3b800000
	v_lshlrev_b32_e32 v2, 20, v2
	v_lshl_add_u32 v6, v6, 23, v12
	v_or3_b32 v6, v11, v6, v2
.LBB6_1184:
	s_or_b64 exec, exec, s[6:7]
	s_nop 0
	v_mfma_f32_16x16x4f32 a[0:3], v10, v6, a[0:3]
	s_movk_i32 s4, 0x7f
	v_cmp_gt_i16_sdwa s[6:7], v7, s4 src0_sel:BYTE_0 src1_sel:DWORD
	s_mov_b64 s[4:5], 0
                                        ; implicit-def: $sgpr10
	s_and_saveexec_b64 s[8:9], s[6:7]
	s_xor_b64 s[6:7], exec, s[8:9]
	s_cbranch_execnz .LBB6_3233
; %bb.1185:
	s_or_saveexec_b64 s[6:7], s[6:7]
	v_mov_b32_e32 v2, s10
	s_xor_b64 exec, exec, s[6:7]
	s_cbranch_execnz .LBB6_3236
.LBB6_1186:
	s_or_b64 exec, exec, s[6:7]
	s_and_saveexec_b64 s[6:7], s[4:5]
	s_cbranch_execz .LBB6_1188
.LBB6_1187:
	v_and_b32_e32 v2, 7, v7
	v_ffbh_u32_e32 v10, v2
	v_min_u32_e32 v10, 32, v10
	v_lshrrev_b16_e32 v6, 3, v7
	v_subrev_u32_e32 v11, 28, v10
	v_and_b32_e32 v6, 15, v6
	v_lshlrev_b32_e32 v11, v11, v7
	v_sub_u32_e32 v10, 29, v10
	v_and_b32_e32 v11, 7, v11
	v_cmp_eq_u16_e32 vcc, 0, v6
	v_cndmask_b32_e32 v2, v2, v11, vcc
	v_cndmask_b32_e32 v6, v6, v10, vcc
	v_lshlrev_b32_e32 v10, 24, v7
	v_mov_b32_e32 v11, 0x3b800000
	v_lshlrev_b32_e32 v2, 20, v2
	v_and_b32_e32 v10, 0x80000000, v10
	v_lshl_add_u32 v6, v6, 23, v11
	v_or3_b32 v2, v10, v6, v2
.LBB6_1188:
	s_or_b64 exec, exec, s[6:7]
	s_movk_i32 s4, 0x7f
	v_cmp_gt_i16_sdwa s[6:7], v3, s4 src0_sel:BYTE_0 src1_sel:DWORD
	s_mov_b64 s[4:5], 0
                                        ; implicit-def: $sgpr10
	s_and_saveexec_b64 s[8:9], s[6:7]
	s_xor_b64 s[6:7], exec, s[8:9]
	s_cbranch_execnz .LBB6_3237
; %bb.1189:
	s_or_saveexec_b64 s[6:7], s[6:7]
	v_mov_b32_e32 v6, s10
	s_xor_b64 exec, exec, s[6:7]
	s_cbranch_execnz .LBB6_3240
.LBB6_1190:
	s_or_b64 exec, exec, s[6:7]
	s_and_saveexec_b64 s[6:7], s[4:5]
	s_cbranch_execz .LBB6_1192
.LBB6_1191:
	v_and_b32_e32 v6, 7, v3
	v_ffbh_u32_e32 v11, v6
	v_min_u32_e32 v11, 32, v11
	v_lshrrev_b16_e32 v10, 3, v3
	v_subrev_u32_e32 v12, 28, v11
	v_and_b32_e32 v10, 15, v10
	v_lshlrev_b32_e32 v12, v12, v3
	v_sub_u32_e32 v11, 29, v11
	v_and_b32_e32 v12, 7, v12
	v_cmp_eq_u16_e32 vcc, 0, v10
	v_cndmask_b32_e32 v6, v6, v12, vcc
	v_cndmask_b32_e32 v10, v10, v11, vcc
	v_lshlrev_b32_e32 v11, 24, v3
	v_mov_b32_e32 v12, 0x3b800000
	v_lshlrev_b32_e32 v6, 20, v6
	v_and_b32_e32 v11, 0x80000000, v11
	v_lshl_add_u32 v10, v10, 23, v12
	v_or3_b32 v6, v11, v10, v6
.LBB6_1192:
	s_or_b64 exec, exec, s[6:7]
	s_nop 0
	v_mfma_f32_16x16x4f32 a[0:3], v2, v6, a[0:3]
	v_lshrrev_b32_e32 v6, 8, v7
	s_movk_i32 s4, 0x7f
	v_cmp_gt_i16_sdwa s[6:7], v6, s4 src0_sel:BYTE_0 src1_sel:DWORD
	s_mov_b64 s[4:5], 0
                                        ; implicit-def: $sgpr10
	s_and_saveexec_b64 s[8:9], s[6:7]
	s_xor_b64 s[6:7], exec, s[8:9]
	s_cbranch_execnz .LBB6_3241
; %bb.1193:
	s_or_saveexec_b64 s[6:7], s[6:7]
	v_mov_b32_e32 v2, s10
	s_xor_b64 exec, exec, s[6:7]
	s_cbranch_execnz .LBB6_3244
.LBB6_1194:
	s_or_b64 exec, exec, s[6:7]
	s_and_saveexec_b64 s[6:7], s[4:5]
	s_cbranch_execz .LBB6_1196
.LBB6_1195:
	v_bfe_u32 v2, v7, 8, 3
	v_ffbh_u32_e32 v11, v2
	v_min_u32_e32 v11, 32, v11
	v_lshrrev_b16_e32 v10, 3, v6
	v_subrev_u32_e32 v12, 28, v11
	v_and_b32_e32 v10, 15, v10
	v_lshlrev_b32_e32 v6, v12, v6
	v_sub_u32_e32 v11, 29, v11
	v_and_b32_e32 v6, 7, v6
	v_cmp_eq_u16_e32 vcc, 0, v10
	v_cndmask_b32_e32 v2, v2, v6, vcc
	v_cndmask_b32_e32 v6, v10, v11, vcc
	v_lshlrev_b32_e32 v10, 16, v7
	v_mov_b32_e32 v11, 0x3b800000
	v_lshlrev_b32_e32 v2, 20, v2
	v_and_b32_e32 v10, 0x80000000, v10
	v_lshl_add_u32 v6, v6, 23, v11
	v_or3_b32 v2, v10, v6, v2
.LBB6_1196:
	s_or_b64 exec, exec, s[6:7]
	v_lshrrev_b32_e32 v6, 8, v3
	s_movk_i32 s4, 0x7f
	v_cmp_gt_i16_sdwa s[6:7], v6, s4 src0_sel:BYTE_0 src1_sel:DWORD
	s_mov_b64 s[4:5], 0
                                        ; implicit-def: $sgpr10
	s_and_saveexec_b64 s[8:9], s[6:7]
	s_xor_b64 s[6:7], exec, s[8:9]
	s_cbranch_execnz .LBB6_3245
; %bb.1197:
	s_or_saveexec_b64 s[6:7], s[6:7]
	v_mov_b32_e32 v10, s10
	s_xor_b64 exec, exec, s[6:7]
	s_cbranch_execnz .LBB6_3248
.LBB6_1198:
	s_or_b64 exec, exec, s[6:7]
	s_and_saveexec_b64 s[6:7], s[4:5]
	s_cbranch_execz .LBB6_1200
.LBB6_1199:
	v_bfe_u32 v10, v3, 8, 3
	v_ffbh_u32_e32 v12, v10
	v_min_u32_e32 v12, 32, v12
	v_lshrrev_b16_e32 v11, 3, v6
	v_subrev_u32_e32 v13, 28, v12
	v_and_b32_e32 v11, 15, v11
	v_lshlrev_b32_e32 v6, v13, v6
	v_sub_u32_e32 v12, 29, v12
	v_and_b32_e32 v6, 7, v6
	v_cmp_eq_u16_e32 vcc, 0, v11
	v_cndmask_b32_e32 v6, v10, v6, vcc
	v_cndmask_b32_e32 v10, v11, v12, vcc
	v_lshlrev_b32_e32 v11, 16, v3
	v_mov_b32_e32 v12, 0x3b800000
	v_lshlrev_b32_e32 v6, 20, v6
	v_and_b32_e32 v11, 0x80000000, v11
	v_lshl_add_u32 v10, v10, 23, v12
	v_or3_b32 v10, v11, v10, v6
.LBB6_1200:
	s_or_b64 exec, exec, s[6:7]
	s_nop 0
	v_mfma_f32_16x16x4f32 a[0:3], v2, v10, a[0:3]
	s_movk_i32 s4, 0xff
	v_and_b32_sdwa v6, v7, s4 dst_sel:DWORD dst_unused:UNUSED_PAD src0_sel:WORD_1 src1_sel:DWORD
	s_movk_i32 s4, 0x7f
	v_cmp_lt_i16_e32 vcc, s4, v6
	s_mov_b64 s[4:5], 0
                                        ; implicit-def: $sgpr10
	s_and_saveexec_b64 s[6:7], vcc
	s_xor_b64 s[6:7], exec, s[6:7]
	s_cbranch_execnz .LBB6_3249
; %bb.1201:
	s_or_saveexec_b64 s[6:7], s[6:7]
	v_mov_b32_e32 v2, s10
	s_xor_b64 exec, exec, s[6:7]
	s_cbranch_execnz .LBB6_3252
.LBB6_1202:
	s_or_b64 exec, exec, s[6:7]
	s_and_saveexec_b64 s[6:7], s[4:5]
	s_cbranch_execz .LBB6_1204
.LBB6_1203:
	v_bfe_u32 v2, v7, 16, 3
	v_ffbh_u32_e32 v11, v2
	v_min_u32_e32 v11, 32, v11
	v_lshrrev_b32_e32 v6, 19, v7
	v_subrev_u32_e32 v12, 28, v11
	v_and_b32_e32 v6, 15, v6
	v_lshlrev_b32_sdwa v12, v12, v7 dst_sel:DWORD dst_unused:UNUSED_PAD src0_sel:DWORD src1_sel:WORD_1
	v_bfe_u32 v10, v7, 19, 4
	v_sub_u32_e32 v11, 29, v11
	v_and_b32_e32 v12, 7, v12
	v_cmp_eq_u16_e32 vcc, 0, v6
	v_cndmask_b32_e32 v2, v2, v12, vcc
	v_cndmask_b32_e32 v6, v10, v11, vcc
	v_lshlrev_b32_e32 v10, 8, v7
	v_mov_b32_e32 v11, 0x3b800000
	v_lshlrev_b32_e32 v2, 20, v2
	v_and_b32_e32 v10, 0x80000000, v10
	v_lshl_add_u32 v6, v6, 23, v11
	v_or3_b32 v2, v10, v6, v2
.LBB6_1204:
	s_or_b64 exec, exec, s[6:7]
	s_movk_i32 s4, 0xff
	v_and_b32_sdwa v6, v3, s4 dst_sel:DWORD dst_unused:UNUSED_PAD src0_sel:WORD_1 src1_sel:DWORD
	s_movk_i32 s4, 0x7f
	v_cmp_lt_i16_e32 vcc, s4, v6
	s_mov_b64 s[4:5], 0
                                        ; implicit-def: $sgpr10
	s_and_saveexec_b64 s[6:7], vcc
	s_xor_b64 s[6:7], exec, s[6:7]
	s_cbranch_execnz .LBB6_3253
; %bb.1205:
	s_or_saveexec_b64 s[6:7], s[6:7]
	v_mov_b32_e32 v10, s10
	s_xor_b64 exec, exec, s[6:7]
	s_cbranch_execnz .LBB6_3256
.LBB6_1206:
	s_or_b64 exec, exec, s[6:7]
	s_and_saveexec_b64 s[6:7], s[4:5]
	s_cbranch_execz .LBB6_1208
.LBB6_1207:
	v_bfe_u32 v6, v3, 16, 3
	v_ffbh_u32_e32 v12, v6
	v_min_u32_e32 v12, 32, v12
	v_lshrrev_b32_e32 v10, 19, v3
	v_subrev_u32_e32 v13, 28, v12
	v_and_b32_e32 v10, 15, v10
	v_lshlrev_b32_sdwa v13, v13, v3 dst_sel:DWORD dst_unused:UNUSED_PAD src0_sel:DWORD src1_sel:WORD_1
	v_bfe_u32 v11, v3, 19, 4
	v_sub_u32_e32 v12, 29, v12
	v_and_b32_e32 v13, 7, v13
	v_cmp_eq_u16_e32 vcc, 0, v10
	v_cndmask_b32_e32 v6, v6, v13, vcc
	v_cndmask_b32_e32 v10, v11, v12, vcc
	v_lshlrev_b32_e32 v11, 8, v3
	v_mov_b32_e32 v12, 0x3b800000
	v_lshlrev_b32_e32 v6, 20, v6
	v_and_b32_e32 v11, 0x80000000, v11
	v_lshl_add_u32 v10, v10, 23, v12
	v_or3_b32 v10, v11, v10, v6
.LBB6_1208:
	s_or_b64 exec, exec, s[6:7]
	s_nop 0
	v_mfma_f32_16x16x4f32 a[0:3], v2, v10, a[0:3]
	s_movk_i32 s4, 0x7f
	v_cmp_gt_i16_sdwa s[6:7], v7, s4 src0_sel:BYTE_3 src1_sel:DWORD
	s_mov_b64 s[4:5], 0
                                        ; implicit-def: $sgpr10
	s_and_saveexec_b64 s[8:9], s[6:7]
	s_xor_b64 s[6:7], exec, s[8:9]
	s_cbranch_execnz .LBB6_3257
; %bb.1209:
	s_or_saveexec_b64 s[6:7], s[6:7]
	v_mov_b32_e32 v2, s10
	s_xor_b64 exec, exec, s[6:7]
	s_cbranch_execnz .LBB6_3260
.LBB6_1210:
	s_or_b64 exec, exec, s[6:7]
	s_and_saveexec_b64 s[6:7], s[4:5]
	s_cbranch_execz .LBB6_1212
.LBB6_1211:
	v_bfe_u32 v2, v7, 24, 3
	v_ffbh_u32_e32 v12, v2
	v_min_u32_e32 v12, 32, v12
	v_lshrrev_b32_e32 v10, 27, v7
	v_subrev_u32_e32 v13, 28, v12
	v_and_b32_e32 v6, 0x80000000, v7
	v_and_b32_e32 v10, 15, v10
	v_bfe_u32 v11, v7, 27, 4
	v_lshlrev_b32_sdwa v7, v13, v7 dst_sel:DWORD dst_unused:UNUSED_PAD src0_sel:DWORD src1_sel:BYTE_3
	v_sub_u32_e32 v12, 29, v12
	v_and_b32_e32 v7, 7, v7
	v_cmp_eq_u16_e32 vcc, 0, v10
	v_cndmask_b32_e32 v2, v2, v7, vcc
	v_cndmask_b32_e32 v7, v11, v12, vcc
	v_mov_b32_e32 v10, 0x3b800000
	v_lshlrev_b32_e32 v2, 20, v2
	v_lshl_add_u32 v7, v7, 23, v10
	v_or3_b32 v2, v6, v7, v2
.LBB6_1212:
	s_or_b64 exec, exec, s[6:7]
	s_movk_i32 s4, 0x7f
	v_cmp_gt_i16_sdwa s[6:7], v3, s4 src0_sel:BYTE_3 src1_sel:DWORD
	s_mov_b64 s[4:5], 0
                                        ; implicit-def: $sgpr10
	s_and_saveexec_b64 s[8:9], s[6:7]
	s_xor_b64 s[6:7], exec, s[8:9]
	s_cbranch_execnz .LBB6_3261
; %bb.1213:
	s_or_saveexec_b64 s[6:7], s[6:7]
	v_mov_b32_e32 v6, s10
	s_xor_b64 exec, exec, s[6:7]
	s_cbranch_execnz .LBB6_3264
.LBB6_1214:
	s_or_b64 exec, exec, s[6:7]
	s_and_saveexec_b64 s[6:7], s[4:5]
	s_cbranch_execz .LBB6_1216
.LBB6_1215:
	v_bfe_u32 v6, v3, 24, 3
	v_ffbh_u32_e32 v12, v6
	v_min_u32_e32 v12, 32, v12
	v_lshrrev_b32_e32 v10, 27, v3
	v_subrev_u32_e32 v13, 28, v12
	v_and_b32_e32 v7, 0x80000000, v3
	v_and_b32_e32 v10, 15, v10
	v_bfe_u32 v11, v3, 27, 4
	v_lshlrev_b32_sdwa v3, v13, v3 dst_sel:DWORD dst_unused:UNUSED_PAD src0_sel:DWORD src1_sel:BYTE_3
	v_sub_u32_e32 v12, 29, v12
	v_and_b32_e32 v3, 7, v3
	v_cmp_eq_u16_e32 vcc, 0, v10
	v_cndmask_b32_e32 v3, v6, v3, vcc
	v_cndmask_b32_e32 v6, v11, v12, vcc
	v_mov_b32_e32 v10, 0x3b800000
	v_lshlrev_b32_e32 v3, 20, v3
	v_lshl_add_u32 v6, v6, 23, v10
	v_or3_b32 v6, v7, v6, v3
.LBB6_1216:
	s_or_b64 exec, exec, s[6:7]
	s_nop 0
	v_mfma_f32_16x16x4f32 a[0:3], v2, v6, a[0:3]
	s_movk_i32 s4, 0x7f
	v_cmp_gt_i16_sdwa s[6:7], v8, s4 src0_sel:BYTE_0 src1_sel:DWORD
	s_mov_b64 s[4:5], 0
                                        ; implicit-def: $sgpr10
	s_and_saveexec_b64 s[8:9], s[6:7]
	s_xor_b64 s[6:7], exec, s[8:9]
	s_cbranch_execnz .LBB6_3265
; %bb.1217:
	s_or_saveexec_b64 s[6:7], s[6:7]
	v_mov_b32_e32 v2, s10
	s_xor_b64 exec, exec, s[6:7]
	s_cbranch_execnz .LBB6_3268
.LBB6_1218:
	s_or_b64 exec, exec, s[6:7]
	s_and_saveexec_b64 s[6:7], s[4:5]
	s_cbranch_execz .LBB6_1220
.LBB6_1219:
	v_and_b32_e32 v2, 7, v8
	v_ffbh_u32_e32 v6, v2
	v_min_u32_e32 v6, 32, v6
	v_lshrrev_b16_e32 v3, 3, v8
	v_subrev_u32_e32 v7, 28, v6
	v_and_b32_e32 v3, 15, v3
	v_lshlrev_b32_e32 v7, v7, v8
	v_sub_u32_e32 v6, 29, v6
	v_and_b32_e32 v7, 7, v7
	v_cmp_eq_u16_e32 vcc, 0, v3
	v_cndmask_b32_e32 v2, v2, v7, vcc
	v_cndmask_b32_e32 v3, v3, v6, vcc
	v_lshlrev_b32_e32 v6, 24, v8
	v_mov_b32_e32 v7, 0x3b800000
	v_lshlrev_b32_e32 v2, 20, v2
	v_and_b32_e32 v6, 0x80000000, v6
	v_lshl_add_u32 v3, v3, 23, v7
	v_or3_b32 v2, v6, v3, v2
.LBB6_1220:
	s_or_b64 exec, exec, s[6:7]
	s_movk_i32 s4, 0x7f
	v_cmp_gt_i16_sdwa s[6:7], v4, s4 src0_sel:BYTE_0 src1_sel:DWORD
	s_mov_b64 s[4:5], 0
                                        ; implicit-def: $sgpr10
	s_and_saveexec_b64 s[8:9], s[6:7]
	s_xor_b64 s[6:7], exec, s[8:9]
	s_cbranch_execnz .LBB6_3269
; %bb.1221:
	s_or_saveexec_b64 s[6:7], s[6:7]
	v_mov_b32_e32 v3, s10
	s_xor_b64 exec, exec, s[6:7]
	s_cbranch_execnz .LBB6_3272
.LBB6_1222:
	s_or_b64 exec, exec, s[6:7]
	s_and_saveexec_b64 s[6:7], s[4:5]
	s_cbranch_execz .LBB6_1224
.LBB6_1223:
	v_and_b32_e32 v3, 7, v4
	v_ffbh_u32_e32 v7, v3
	v_min_u32_e32 v7, 32, v7
	v_lshrrev_b16_e32 v6, 3, v4
	v_subrev_u32_e32 v10, 28, v7
	v_and_b32_e32 v6, 15, v6
	v_lshlrev_b32_e32 v10, v10, v4
	v_sub_u32_e32 v7, 29, v7
	v_and_b32_e32 v10, 7, v10
	v_cmp_eq_u16_e32 vcc, 0, v6
	v_cndmask_b32_e32 v3, v3, v10, vcc
	v_cndmask_b32_e32 v6, v6, v7, vcc
	v_lshlrev_b32_e32 v7, 24, v4
	v_mov_b32_e32 v10, 0x3b800000
	v_lshlrev_b32_e32 v3, 20, v3
	v_and_b32_e32 v7, 0x80000000, v7
	v_lshl_add_u32 v6, v6, 23, v10
	v_or3_b32 v3, v7, v6, v3
.LBB6_1224:
	s_or_b64 exec, exec, s[6:7]
	s_nop 0
	v_mfma_f32_16x16x4f32 a[0:3], v2, v3, a[0:3]
	v_lshrrev_b32_e32 v3, 8, v8
	s_movk_i32 s4, 0x7f
	v_cmp_gt_i16_sdwa s[6:7], v3, s4 src0_sel:BYTE_0 src1_sel:DWORD
	s_mov_b64 s[4:5], 0
                                        ; implicit-def: $sgpr10
	s_and_saveexec_b64 s[8:9], s[6:7]
	s_xor_b64 s[6:7], exec, s[8:9]
	s_cbranch_execnz .LBB6_3273
; %bb.1225:
	s_or_saveexec_b64 s[6:7], s[6:7]
	v_mov_b32_e32 v2, s10
	s_xor_b64 exec, exec, s[6:7]
	s_cbranch_execnz .LBB6_3276
.LBB6_1226:
	s_or_b64 exec, exec, s[6:7]
	s_and_saveexec_b64 s[6:7], s[4:5]
	s_cbranch_execz .LBB6_1228
.LBB6_1227:
	v_bfe_u32 v2, v8, 8, 3
	v_ffbh_u32_e32 v7, v2
	v_min_u32_e32 v7, 32, v7
	v_lshrrev_b16_e32 v6, 3, v3
	v_subrev_u32_e32 v10, 28, v7
	v_and_b32_e32 v6, 15, v6
	v_lshlrev_b32_e32 v3, v10, v3
	v_sub_u32_e32 v7, 29, v7
	v_and_b32_e32 v3, 7, v3
	v_cmp_eq_u16_e32 vcc, 0, v6
	v_cndmask_b32_e32 v2, v2, v3, vcc
	v_cndmask_b32_e32 v3, v6, v7, vcc
	v_lshlrev_b32_e32 v6, 16, v8
	v_mov_b32_e32 v7, 0x3b800000
	v_lshlrev_b32_e32 v2, 20, v2
	v_and_b32_e32 v6, 0x80000000, v6
	v_lshl_add_u32 v3, v3, 23, v7
	v_or3_b32 v2, v6, v3, v2
.LBB6_1228:
	s_or_b64 exec, exec, s[6:7]
	v_lshrrev_b32_e32 v3, 8, v4
	s_movk_i32 s4, 0x7f
	v_cmp_gt_i16_sdwa s[6:7], v3, s4 src0_sel:BYTE_0 src1_sel:DWORD
	s_mov_b64 s[4:5], 0
                                        ; implicit-def: $sgpr10
	s_and_saveexec_b64 s[8:9], s[6:7]
	s_xor_b64 s[6:7], exec, s[8:9]
	s_cbranch_execnz .LBB6_3277
; %bb.1229:
	s_or_saveexec_b64 s[6:7], s[6:7]
	v_mov_b32_e32 v6, s10
	s_xor_b64 exec, exec, s[6:7]
	s_cbranch_execnz .LBB6_3280
.LBB6_1230:
	s_or_b64 exec, exec, s[6:7]
	s_and_saveexec_b64 s[6:7], s[4:5]
	s_cbranch_execz .LBB6_1232
.LBB6_1231:
	v_bfe_u32 v6, v4, 8, 3
	v_ffbh_u32_e32 v10, v6
	v_min_u32_e32 v10, 32, v10
	v_lshrrev_b16_e32 v7, 3, v3
	v_subrev_u32_e32 v11, 28, v10
	v_and_b32_e32 v7, 15, v7
	v_lshlrev_b32_e32 v3, v11, v3
	v_sub_u32_e32 v10, 29, v10
	v_and_b32_e32 v3, 7, v3
	v_cmp_eq_u16_e32 vcc, 0, v7
	v_cndmask_b32_e32 v3, v6, v3, vcc
	v_cndmask_b32_e32 v6, v7, v10, vcc
	v_lshlrev_b32_e32 v7, 16, v4
	v_mov_b32_e32 v10, 0x3b800000
	v_lshlrev_b32_e32 v3, 20, v3
	v_and_b32_e32 v7, 0x80000000, v7
	v_lshl_add_u32 v6, v6, 23, v10
	v_or3_b32 v6, v7, v6, v3
.LBB6_1232:
	s_or_b64 exec, exec, s[6:7]
	s_nop 0
	v_mfma_f32_16x16x4f32 a[0:3], v2, v6, a[0:3]
	s_movk_i32 s4, 0xff
	v_and_b32_sdwa v3, v8, s4 dst_sel:DWORD dst_unused:UNUSED_PAD src0_sel:WORD_1 src1_sel:DWORD
	s_movk_i32 s4, 0x7f
	v_cmp_lt_i16_e32 vcc, s4, v3
	s_mov_b64 s[4:5], 0
                                        ; implicit-def: $sgpr10
	s_and_saveexec_b64 s[6:7], vcc
	s_xor_b64 s[6:7], exec, s[6:7]
	s_cbranch_execnz .LBB6_3281
; %bb.1233:
	s_or_saveexec_b64 s[6:7], s[6:7]
	v_mov_b32_e32 v2, s10
	s_xor_b64 exec, exec, s[6:7]
	s_cbranch_execnz .LBB6_3284
.LBB6_1234:
	s_or_b64 exec, exec, s[6:7]
	s_and_saveexec_b64 s[6:7], s[4:5]
	s_cbranch_execz .LBB6_1236
.LBB6_1235:
	v_bfe_u32 v2, v8, 16, 3
	v_ffbh_u32_e32 v7, v2
	v_min_u32_e32 v7, 32, v7
	v_lshrrev_b32_e32 v3, 19, v8
	v_subrev_u32_e32 v10, 28, v7
	v_and_b32_e32 v3, 15, v3
	v_lshlrev_b32_sdwa v10, v10, v8 dst_sel:DWORD dst_unused:UNUSED_PAD src0_sel:DWORD src1_sel:WORD_1
	v_bfe_u32 v6, v8, 19, 4
	v_sub_u32_e32 v7, 29, v7
	v_and_b32_e32 v10, 7, v10
	v_cmp_eq_u16_e32 vcc, 0, v3
	v_cndmask_b32_e32 v2, v2, v10, vcc
	v_cndmask_b32_e32 v3, v6, v7, vcc
	v_lshlrev_b32_e32 v6, 8, v8
	v_mov_b32_e32 v7, 0x3b800000
	v_lshlrev_b32_e32 v2, 20, v2
	v_and_b32_e32 v6, 0x80000000, v6
	v_lshl_add_u32 v3, v3, 23, v7
	v_or3_b32 v2, v6, v3, v2
.LBB6_1236:
	s_or_b64 exec, exec, s[6:7]
	s_movk_i32 s4, 0xff
	v_and_b32_sdwa v3, v4, s4 dst_sel:DWORD dst_unused:UNUSED_PAD src0_sel:WORD_1 src1_sel:DWORD
	s_movk_i32 s4, 0x7f
	v_cmp_lt_i16_e32 vcc, s4, v3
	s_mov_b64 s[4:5], 0
                                        ; implicit-def: $sgpr10
	s_and_saveexec_b64 s[6:7], vcc
	s_xor_b64 s[6:7], exec, s[6:7]
	s_cbranch_execnz .LBB6_3285
; %bb.1237:
	s_or_saveexec_b64 s[6:7], s[6:7]
	v_mov_b32_e32 v6, s10
	s_xor_b64 exec, exec, s[6:7]
	s_cbranch_execnz .LBB6_3288
.LBB6_1238:
	s_or_b64 exec, exec, s[6:7]
	s_and_saveexec_b64 s[6:7], s[4:5]
	s_cbranch_execz .LBB6_1240
.LBB6_1239:
	v_bfe_u32 v3, v4, 16, 3
	v_ffbh_u32_e32 v10, v3
	v_min_u32_e32 v10, 32, v10
	v_lshrrev_b32_e32 v6, 19, v4
	v_subrev_u32_e32 v11, 28, v10
	v_and_b32_e32 v6, 15, v6
	v_lshlrev_b32_sdwa v11, v11, v4 dst_sel:DWORD dst_unused:UNUSED_PAD src0_sel:DWORD src1_sel:WORD_1
	v_bfe_u32 v7, v4, 19, 4
	v_sub_u32_e32 v10, 29, v10
	v_and_b32_e32 v11, 7, v11
	v_cmp_eq_u16_e32 vcc, 0, v6
	v_cndmask_b32_e32 v3, v3, v11, vcc
	v_cndmask_b32_e32 v6, v7, v10, vcc
	v_lshlrev_b32_e32 v7, 8, v4
	v_mov_b32_e32 v10, 0x3b800000
	v_lshlrev_b32_e32 v3, 20, v3
	v_and_b32_e32 v7, 0x80000000, v7
	v_lshl_add_u32 v6, v6, 23, v10
	v_or3_b32 v6, v7, v6, v3
.LBB6_1240:
	s_or_b64 exec, exec, s[6:7]
	s_nop 0
	v_mfma_f32_16x16x4f32 a[0:3], v2, v6, a[0:3]
	s_movk_i32 s4, 0x7f
	v_cmp_gt_i16_sdwa s[6:7], v8, s4 src0_sel:BYTE_3 src1_sel:DWORD
	s_mov_b64 s[4:5], 0
                                        ; implicit-def: $sgpr10
	s_and_saveexec_b64 s[8:9], s[6:7]
	s_xor_b64 s[6:7], exec, s[8:9]
	s_cbranch_execnz .LBB6_3289
; %bb.1241:
	s_or_saveexec_b64 s[6:7], s[6:7]
	v_mov_b32_e32 v2, s10
	s_xor_b64 exec, exec, s[6:7]
	s_cbranch_execnz .LBB6_3292
.LBB6_1242:
	s_or_b64 exec, exec, s[6:7]
	s_and_saveexec_b64 s[6:7], s[4:5]
	s_cbranch_execz .LBB6_1244
.LBB6_1243:
	v_bfe_u32 v2, v8, 24, 3
	v_ffbh_u32_e32 v10, v2
	v_min_u32_e32 v10, 32, v10
	v_lshrrev_b32_e32 v6, 27, v8
	v_subrev_u32_e32 v11, 28, v10
	v_and_b32_e32 v3, 0x80000000, v8
	v_and_b32_e32 v6, 15, v6
	v_bfe_u32 v7, v8, 27, 4
	v_lshlrev_b32_sdwa v8, v11, v8 dst_sel:DWORD dst_unused:UNUSED_PAD src0_sel:DWORD src1_sel:BYTE_3
	v_sub_u32_e32 v10, 29, v10
	v_and_b32_e32 v8, 7, v8
	v_cmp_eq_u16_e32 vcc, 0, v6
	v_cndmask_b32_e32 v2, v2, v8, vcc
	v_cndmask_b32_e32 v6, v7, v10, vcc
	v_mov_b32_e32 v7, 0x3b800000
	v_lshlrev_b32_e32 v2, 20, v2
	v_lshl_add_u32 v6, v6, 23, v7
	v_or3_b32 v2, v3, v6, v2
.LBB6_1244:
	s_or_b64 exec, exec, s[6:7]
	s_movk_i32 s4, 0x7f
	v_cmp_gt_i16_sdwa s[6:7], v4, s4 src0_sel:BYTE_3 src1_sel:DWORD
	s_mov_b64 s[4:5], 0
                                        ; implicit-def: $sgpr10
	s_and_saveexec_b64 s[8:9], s[6:7]
	s_xor_b64 s[6:7], exec, s[8:9]
	s_cbranch_execnz .LBB6_3293
; %bb.1245:
	s_or_saveexec_b64 s[6:7], s[6:7]
	v_mov_b32_e32 v3, s10
	s_xor_b64 exec, exec, s[6:7]
	s_cbranch_execnz .LBB6_3296
.LBB6_1246:
	s_or_b64 exec, exec, s[6:7]
	s_and_saveexec_b64 s[6:7], s[4:5]
	s_cbranch_execz .LBB6_1248
.LBB6_1247:
	v_bfe_u32 v3, v4, 24, 3
	v_ffbh_u32_e32 v10, v3
	v_min_u32_e32 v10, 32, v10
	v_lshrrev_b32_e32 v7, 27, v4
	v_subrev_u32_e32 v11, 28, v10
	v_and_b32_e32 v6, 0x80000000, v4
	v_and_b32_e32 v7, 15, v7
	v_bfe_u32 v8, v4, 27, 4
	v_lshlrev_b32_sdwa v4, v11, v4 dst_sel:DWORD dst_unused:UNUSED_PAD src0_sel:DWORD src1_sel:BYTE_3
	v_sub_u32_e32 v10, 29, v10
	v_and_b32_e32 v4, 7, v4
	v_cmp_eq_u16_e32 vcc, 0, v7
	v_cndmask_b32_e32 v3, v3, v4, vcc
	v_cndmask_b32_e32 v4, v8, v10, vcc
	v_mov_b32_e32 v7, 0x3b800000
	v_lshlrev_b32_e32 v3, 20, v3
	v_lshl_add_u32 v4, v4, 23, v7
	v_or3_b32 v3, v6, v4, v3
.LBB6_1248:
	s_or_b64 exec, exec, s[6:7]
	s_nop 0
	v_mfma_f32_16x16x4f32 a[0:3], v2, v3, a[0:3]
	s_movk_i32 s4, 0x7f
	v_cmp_gt_i16_sdwa s[6:7], v9, s4 src0_sel:BYTE_0 src1_sel:DWORD
	s_mov_b64 s[4:5], 0
                                        ; implicit-def: $sgpr10
	s_and_saveexec_b64 s[8:9], s[6:7]
	s_xor_b64 s[6:7], exec, s[8:9]
	s_cbranch_execnz .LBB6_3297
; %bb.1249:
	s_or_saveexec_b64 s[6:7], s[6:7]
	v_mov_b32_e32 v2, s10
	s_xor_b64 exec, exec, s[6:7]
	s_cbranch_execnz .LBB6_3300
.LBB6_1250:
	s_or_b64 exec, exec, s[6:7]
	s_and_saveexec_b64 s[6:7], s[4:5]
	s_cbranch_execz .LBB6_1252
.LBB6_1251:
	v_mov_b32_e32 v2, 8
	v_and_b32_e32 v3, 7, v9
	v_lshrrev_b32_sdwa v2, v2, v9 dst_sel:BYTE_1 dst_unused:UNUSED_PAD src0_sel:DWORD src1_sel:DWORD
	v_ffbh_u32_e32 v4, v3
	v_or_b32_sdwa v2, v9, v2 dst_sel:DWORD dst_unused:UNUSED_PAD src0_sel:BYTE_0 src1_sel:DWORD
	v_min_u32_e32 v4, 32, v4
	v_lshrrev_b16_e32 v2, 3, v2
	v_subrev_u32_e32 v6, 28, v4
	v_and_b32_e32 v2, 15, v2
	v_lshlrev_b32_e32 v6, v6, v9
	v_sub_u32_e32 v4, 29, v4
	v_and_b32_e32 v6, 7, v6
	v_cmp_eq_u16_e32 vcc, 0, v2
	v_cndmask_b32_e32 v3, v3, v6, vcc
	v_cndmask_b32_e32 v2, v2, v4, vcc
	v_lshlrev_b32_e32 v4, 24, v9
	v_mov_b32_e32 v6, 0x3b800000
	v_lshlrev_b32_e32 v3, 20, v3
	v_and_b32_e32 v4, 0x80000000, v4
	v_lshl_add_u32 v2, v2, 23, v6
	v_or3_b32 v2, v4, v2, v3
.LBB6_1252:
	s_or_b64 exec, exec, s[6:7]
	s_movk_i32 s4, 0x7f
	v_cmp_gt_i16_sdwa s[6:7], v5, s4 src0_sel:BYTE_0 src1_sel:DWORD
	s_mov_b64 s[4:5], 0
                                        ; implicit-def: $sgpr10
	s_and_saveexec_b64 s[8:9], s[6:7]
	s_xor_b64 s[6:7], exec, s[8:9]
	s_cbranch_execnz .LBB6_3301
; %bb.1253:
	s_or_saveexec_b64 s[6:7], s[6:7]
	v_mov_b32_e32 v3, s10
	s_xor_b64 exec, exec, s[6:7]
	s_cbranch_execnz .LBB6_3304
.LBB6_1254:
	s_or_b64 exec, exec, s[6:7]
	s_and_saveexec_b64 s[6:7], s[4:5]
	s_cbranch_execz .LBB6_1256
.LBB6_1255:
	v_mov_b32_e32 v3, 8
	v_and_b32_e32 v4, 7, v5
	v_lshrrev_b32_sdwa v3, v3, v5 dst_sel:BYTE_1 dst_unused:UNUSED_PAD src0_sel:DWORD src1_sel:DWORD
	v_ffbh_u32_e32 v6, v4
	v_or_b32_sdwa v3, v5, v3 dst_sel:DWORD dst_unused:UNUSED_PAD src0_sel:BYTE_0 src1_sel:DWORD
	v_min_u32_e32 v6, 32, v6
	v_lshrrev_b16_e32 v3, 3, v3
	v_subrev_u32_e32 v7, 28, v6
	v_and_b32_e32 v3, 15, v3
	v_lshlrev_b32_e32 v7, v7, v5
	v_sub_u32_e32 v6, 29, v6
	v_and_b32_e32 v7, 7, v7
	v_cmp_eq_u16_e32 vcc, 0, v3
	v_cndmask_b32_e32 v4, v4, v7, vcc
	v_cndmask_b32_e32 v3, v3, v6, vcc
	v_lshlrev_b32_e32 v6, 24, v5
	v_mov_b32_e32 v7, 0x3b800000
	v_lshlrev_b32_e32 v4, 20, v4
	v_and_b32_e32 v6, 0x80000000, v6
	v_lshl_add_u32 v3, v3, 23, v7
	v_or3_b32 v3, v6, v3, v4
.LBB6_1256:
	s_or_b64 exec, exec, s[6:7]
	s_nop 0
	v_mfma_f32_16x16x4f32 a[0:3], v2, v3, a[0:3]
	v_lshrrev_b32_e32 v3, 8, v9
	s_movk_i32 s4, 0x7f
	v_cmp_gt_i16_sdwa s[6:7], v3, s4 src0_sel:BYTE_0 src1_sel:DWORD
	s_mov_b64 s[4:5], 0
                                        ; implicit-def: $sgpr10
	s_and_saveexec_b64 s[8:9], s[6:7]
	s_xor_b64 s[6:7], exec, s[8:9]
	s_cbranch_execnz .LBB6_3305
; %bb.1257:
	s_or_saveexec_b64 s[6:7], s[6:7]
	v_mov_b32_e32 v2, s10
	s_xor_b64 exec, exec, s[6:7]
	s_cbranch_execnz .LBB6_3308
.LBB6_1258:
	s_or_b64 exec, exec, s[6:7]
	s_and_saveexec_b64 s[6:7], s[4:5]
	s_cbranch_execz .LBB6_1260
.LBB6_1259:
	v_bfe_u32 v2, v9, 8, 3
	v_ffbh_u32_e32 v6, v2
	v_min_u32_e32 v6, 32, v6
	v_lshrrev_b16_e32 v4, 3, v3
	v_subrev_u32_e32 v7, 28, v6
	v_and_b32_e32 v4, 15, v4
	v_lshlrev_b32_e32 v3, v7, v3
	v_sub_u32_e32 v6, 29, v6
	v_and_b32_e32 v3, 7, v3
	v_cmp_eq_u16_e32 vcc, 0, v4
	v_cndmask_b32_e32 v2, v2, v3, vcc
	v_cndmask_b32_e32 v3, v4, v6, vcc
	v_lshlrev_b32_e32 v4, 16, v9
	v_mov_b32_e32 v6, 0x3b800000
	v_lshlrev_b32_e32 v2, 20, v2
	v_and_b32_e32 v4, 0x80000000, v4
	v_lshl_add_u32 v3, v3, 23, v6
	v_or3_b32 v2, v4, v3, v2
.LBB6_1260:
	s_or_b64 exec, exec, s[6:7]
	v_lshrrev_b32_e32 v3, 8, v5
	s_movk_i32 s4, 0x7f
	v_cmp_gt_i16_sdwa s[6:7], v3, s4 src0_sel:BYTE_0 src1_sel:DWORD
	s_mov_b64 s[4:5], 0
                                        ; implicit-def: $sgpr10
	s_and_saveexec_b64 s[8:9], s[6:7]
	s_xor_b64 s[6:7], exec, s[8:9]
	s_cbranch_execnz .LBB6_3309
; %bb.1261:
	s_or_saveexec_b64 s[6:7], s[6:7]
	v_mov_b32_e32 v4, s10
	s_xor_b64 exec, exec, s[6:7]
	s_cbranch_execnz .LBB6_3312
.LBB6_1262:
	s_or_b64 exec, exec, s[6:7]
	s_and_saveexec_b64 s[6:7], s[4:5]
	s_cbranch_execz .LBB6_1264
.LBB6_1263:
	v_bfe_u32 v4, v5, 8, 3
	v_ffbh_u32_e32 v7, v4
	v_min_u32_e32 v7, 32, v7
	v_lshrrev_b16_e32 v6, 3, v3
	v_subrev_u32_e32 v8, 28, v7
	v_and_b32_e32 v6, 15, v6
	v_lshlrev_b32_e32 v3, v8, v3
	v_sub_u32_e32 v7, 29, v7
	v_and_b32_e32 v3, 7, v3
	v_cmp_eq_u16_e32 vcc, 0, v6
	v_cndmask_b32_e32 v3, v4, v3, vcc
	v_cndmask_b32_e32 v4, v6, v7, vcc
	v_lshlrev_b32_e32 v6, 16, v5
	v_mov_b32_e32 v7, 0x3b800000
	v_lshlrev_b32_e32 v3, 20, v3
	v_and_b32_e32 v6, 0x80000000, v6
	v_lshl_add_u32 v4, v4, 23, v7
	v_or3_b32 v4, v6, v4, v3
.LBB6_1264:
	s_or_b64 exec, exec, s[6:7]
	s_nop 0
	v_mfma_f32_16x16x4f32 a[0:3], v2, v4, a[0:3]
	s_movk_i32 s4, 0xff
	v_and_b32_sdwa v3, v9, s4 dst_sel:DWORD dst_unused:UNUSED_PAD src0_sel:WORD_1 src1_sel:DWORD
	s_movk_i32 s4, 0x7f
	v_cmp_lt_i16_e32 vcc, s4, v3
	s_mov_b64 s[4:5], 0
                                        ; implicit-def: $sgpr10
	s_and_saveexec_b64 s[6:7], vcc
	s_xor_b64 s[6:7], exec, s[6:7]
	s_cbranch_execnz .LBB6_3313
; %bb.1265:
	s_or_saveexec_b64 s[6:7], s[6:7]
	v_mov_b32_e32 v2, s10
	s_xor_b64 exec, exec, s[6:7]
	s_cbranch_execnz .LBB6_3316
.LBB6_1266:
	s_or_b64 exec, exec, s[6:7]
	s_and_saveexec_b64 s[6:7], s[4:5]
	s_cbranch_execz .LBB6_1268
.LBB6_1267:
	v_bfe_u32 v2, v9, 16, 3
	v_ffbh_u32_e32 v6, v2
	v_min_u32_e32 v6, 32, v6
	v_lshrrev_b32_e32 v3, 19, v9
	v_subrev_u32_e32 v7, 28, v6
	v_and_b32_e32 v3, 15, v3
	v_lshlrev_b32_sdwa v7, v7, v9 dst_sel:DWORD dst_unused:UNUSED_PAD src0_sel:DWORD src1_sel:WORD_1
	v_bfe_u32 v4, v9, 19, 4
	v_sub_u32_e32 v6, 29, v6
	v_and_b32_e32 v7, 7, v7
	v_cmp_eq_u16_e32 vcc, 0, v3
	v_cndmask_b32_e32 v2, v2, v7, vcc
	v_cndmask_b32_e32 v3, v4, v6, vcc
	v_lshlrev_b32_e32 v4, 8, v9
	v_mov_b32_e32 v6, 0x3b800000
	v_lshlrev_b32_e32 v2, 20, v2
	v_and_b32_e32 v4, 0x80000000, v4
	v_lshl_add_u32 v3, v3, 23, v6
	v_or3_b32 v2, v4, v3, v2
.LBB6_1268:
	s_or_b64 exec, exec, s[6:7]
	s_movk_i32 s4, 0xff
	v_and_b32_sdwa v3, v5, s4 dst_sel:DWORD dst_unused:UNUSED_PAD src0_sel:WORD_1 src1_sel:DWORD
	s_movk_i32 s4, 0x7f
	v_cmp_lt_i16_e32 vcc, s4, v3
	s_mov_b64 s[4:5], 0
                                        ; implicit-def: $sgpr10
	s_and_saveexec_b64 s[6:7], vcc
	s_xor_b64 s[6:7], exec, s[6:7]
	s_cbranch_execnz .LBB6_3317
; %bb.1269:
	s_or_saveexec_b64 s[6:7], s[6:7]
	v_mov_b32_e32 v4, s10
	s_xor_b64 exec, exec, s[6:7]
	s_cbranch_execnz .LBB6_3320
.LBB6_1270:
	s_or_b64 exec, exec, s[6:7]
	s_and_saveexec_b64 s[6:7], s[4:5]
	s_cbranch_execz .LBB6_1272
.LBB6_1271:
	v_bfe_u32 v3, v5, 16, 3
	v_ffbh_u32_e32 v7, v3
	v_min_u32_e32 v7, 32, v7
	v_lshrrev_b32_e32 v4, 19, v5
	v_subrev_u32_e32 v8, 28, v7
	v_and_b32_e32 v4, 15, v4
	v_lshlrev_b32_sdwa v8, v8, v5 dst_sel:DWORD dst_unused:UNUSED_PAD src0_sel:DWORD src1_sel:WORD_1
	v_bfe_u32 v6, v5, 19, 4
	v_sub_u32_e32 v7, 29, v7
	v_and_b32_e32 v8, 7, v8
	v_cmp_eq_u16_e32 vcc, 0, v4
	v_cndmask_b32_e32 v3, v3, v8, vcc
	v_cndmask_b32_e32 v4, v6, v7, vcc
	v_lshlrev_b32_e32 v6, 8, v5
	v_mov_b32_e32 v7, 0x3b800000
	v_lshlrev_b32_e32 v3, 20, v3
	v_and_b32_e32 v6, 0x80000000, v6
	v_lshl_add_u32 v4, v4, 23, v7
	v_or3_b32 v4, v6, v4, v3
.LBB6_1272:
	s_or_b64 exec, exec, s[6:7]
	s_nop 0
	v_mfma_f32_16x16x4f32 a[0:3], v2, v4, a[0:3]
	s_movk_i32 s4, 0x7f
	v_cmp_gt_i16_sdwa s[6:7], v9, s4 src0_sel:BYTE_3 src1_sel:DWORD
	s_mov_b64 s[4:5], 0
                                        ; implicit-def: $sgpr10
	s_and_saveexec_b64 s[8:9], s[6:7]
	s_xor_b64 s[6:7], exec, s[8:9]
	s_cbranch_execnz .LBB6_3321
; %bb.1273:
	s_or_saveexec_b64 s[6:7], s[6:7]
	v_mov_b32_e32 v2, s10
	s_xor_b64 exec, exec, s[6:7]
	s_cbranch_execnz .LBB6_3324
.LBB6_1274:
	s_or_b64 exec, exec, s[6:7]
	s_and_saveexec_b64 s[6:7], s[4:5]
	s_cbranch_execz .LBB6_1276
.LBB6_1275:
	v_bfe_u32 v2, v9, 24, 3
	v_ffbh_u32_e32 v7, v2
	v_min_u32_e32 v7, 32, v7
	v_lshrrev_b32_e32 v4, 27, v9
	v_subrev_u32_e32 v8, 28, v7
	v_and_b32_e32 v4, 15, v4
	v_lshlrev_b32_sdwa v8, v8, v9 dst_sel:DWORD dst_unused:UNUSED_PAD src0_sel:DWORD src1_sel:BYTE_3
	v_bfe_u32 v6, v9, 27, 4
	v_sub_u32_e32 v7, 29, v7
	v_and_b32_e32 v8, 7, v8
	v_cmp_eq_u16_e32 vcc, 0, v4
	v_cndmask_b32_e32 v2, v2, v8, vcc
	v_cndmask_b32_e32 v4, v6, v7, vcc
	v_mov_b32_e32 v6, 0x3b800000
	v_and_b32_e32 v3, 0x80000000, v9
	v_lshlrev_b32_e32 v2, 20, v2
	v_lshl_add_u32 v4, v4, 23, v6
	v_or3_b32 v2, v3, v4, v2
.LBB6_1276:
	s_or_b64 exec, exec, s[6:7]
	s_movk_i32 s4, 0x7f
	v_cmp_gt_i16_sdwa s[6:7], v5, s4 src0_sel:BYTE_3 src1_sel:DWORD
	s_mov_b64 s[4:5], 0
                                        ; implicit-def: $sgpr10
	s_and_saveexec_b64 s[8:9], s[6:7]
	s_xor_b64 s[6:7], exec, s[8:9]
	s_cbranch_execnz .LBB6_3325
; %bb.1277:
	s_or_saveexec_b64 s[6:7], s[6:7]
	v_mov_b32_e32 v3, s10
	s_xor_b64 exec, exec, s[6:7]
	s_cbranch_execnz .LBB6_3328
.LBB6_1278:
	s_or_b64 exec, exec, s[6:7]
	s_and_saveexec_b64 s[6:7], s[4:5]
	s_cbranch_execz .LBB6_1280
.LBB6_1279:
	v_bfe_u32 v3, v5, 24, 3
	v_ffbh_u32_e32 v8, v3
	v_min_u32_e32 v8, 32, v8
	v_lshrrev_b32_e32 v6, 27, v5
	v_subrev_u32_e32 v9, 28, v8
	v_and_b32_e32 v4, 0x80000000, v5
	v_and_b32_e32 v6, 15, v6
	v_bfe_u32 v7, v5, 27, 4
	v_lshlrev_b32_sdwa v5, v9, v5 dst_sel:DWORD dst_unused:UNUSED_PAD src0_sel:DWORD src1_sel:BYTE_3
	v_sub_u32_e32 v8, 29, v8
	v_and_b32_e32 v5, 7, v5
	v_cmp_eq_u16_e32 vcc, 0, v6
	v_cndmask_b32_e32 v3, v3, v5, vcc
	v_cndmask_b32_e32 v5, v7, v8, vcc
	v_mov_b32_e32 v6, 0x3b800000
	v_lshlrev_b32_e32 v3, 20, v3
	v_lshl_add_u32 v5, v5, 23, v6
	v_or3_b32 v3, v4, v5, v3
.LBB6_1280:
	s_or_b64 exec, exec, s[6:7]
	s_nop 0
	v_mfma_f32_16x16x4f32 a[0:3], v2, v3, a[0:3]
	s_movk_i32 s4, 0x7f
                                        ; implicit-def: $sgpr10
	s_nop 7
	s_nop 1
	flat_store_dwordx4 v[18:19], a[0:3] offset:576
	flat_load_dwordx4 v[20:23], v[0:1] offset:16
	s_nop 0
	flat_load_dwordx2 v[18:19], v[0:1] offset:32
	s_waitcnt vmcnt(0) lgkmcnt(0)
	flat_load_dwordx4 v[14:17], v[20:21]
	flat_load_dwordx4 v[6:9], v[20:21] offset:16
	flat_load_dwordx4 v[10:13], v[22:23] offset:160
	;; [unrolled: 1-line block ×3, first 2 shown]
	s_waitcnt vmcnt(0) lgkmcnt(0)
	v_cmp_gt_i16_sdwa s[6:7], v14, s4 src0_sel:BYTE_0 src1_sel:DWORD
	s_mov_b64 s[4:5], 0
	s_and_saveexec_b64 s[8:9], s[6:7]
	s_xor_b64 s[6:7], exec, s[8:9]
	s_cbranch_execnz .LBB6_3329
; %bb.1281:
	s_or_saveexec_b64 s[6:7], s[6:7]
	v_mov_b32_e32 v20, s10
	s_xor_b64 exec, exec, s[6:7]
	s_cbranch_execnz .LBB6_3332
.LBB6_1282:
	s_or_b64 exec, exec, s[6:7]
	s_and_saveexec_b64 s[6:7], s[4:5]
	s_cbranch_execz .LBB6_1284
.LBB6_1283:
	v_and_b32_e32 v20, 7, v14
	v_ffbh_u32_e32 v22, v20
	v_min_u32_e32 v22, 32, v22
	v_lshrrev_b16_e32 v21, 3, v14
	v_subrev_u32_e32 v23, 28, v22
	v_and_b32_e32 v21, 15, v21
	v_lshlrev_b32_e32 v23, v23, v14
	v_sub_u32_e32 v22, 29, v22
	v_and_b32_e32 v23, 7, v23
	v_cmp_eq_u16_e32 vcc, 0, v21
	v_cndmask_b32_e32 v20, v20, v23, vcc
	v_cndmask_b32_e32 v21, v21, v22, vcc
	v_lshlrev_b32_e32 v22, 24, v14
	v_mov_b32_e32 v23, 0x3b800000
	v_lshlrev_b32_e32 v20, 20, v20
	v_and_b32_e32 v22, 0x80000000, v22
	v_lshl_add_u32 v21, v21, 23, v23
	v_or3_b32 v20, v22, v21, v20
.LBB6_1284:
	s_or_b64 exec, exec, s[6:7]
	s_movk_i32 s4, 0x7f
	v_cmp_gt_i16_sdwa s[6:7], v10, s4 src0_sel:BYTE_0 src1_sel:DWORD
	s_mov_b64 s[4:5], 0
                                        ; implicit-def: $sgpr10
	s_and_saveexec_b64 s[8:9], s[6:7]
	s_xor_b64 s[6:7], exec, s[8:9]
	s_cbranch_execnz .LBB6_3333
; %bb.1285:
	s_or_saveexec_b64 s[6:7], s[6:7]
	v_mov_b32_e32 v21, s10
	s_xor_b64 exec, exec, s[6:7]
	s_cbranch_execnz .LBB6_3336
.LBB6_1286:
	s_or_b64 exec, exec, s[6:7]
	s_and_saveexec_b64 s[6:7], s[4:5]
	s_cbranch_execz .LBB6_1288
.LBB6_1287:
	v_and_b32_e32 v21, 7, v10
	v_ffbh_u32_e32 v23, v21
	v_min_u32_e32 v23, 32, v23
	v_lshrrev_b16_e32 v22, 3, v10
	v_subrev_u32_e32 v24, 28, v23
	v_and_b32_e32 v22, 15, v22
	v_lshlrev_b32_e32 v24, v24, v10
	v_sub_u32_e32 v23, 29, v23
	v_and_b32_e32 v24, 7, v24
	v_cmp_eq_u16_e32 vcc, 0, v22
	v_cndmask_b32_e32 v21, v21, v24, vcc
	v_cndmask_b32_e32 v22, v22, v23, vcc
	v_lshlrev_b32_e32 v23, 24, v10
	v_mov_b32_e32 v24, 0x3b800000
	v_lshlrev_b32_e32 v21, 20, v21
	v_and_b32_e32 v23, 0x80000000, v23
	v_lshl_add_u32 v22, v22, 23, v24
	v_or3_b32 v21, v23, v22, v21
.LBB6_1288:
	s_or_b64 exec, exec, s[6:7]
	flat_load_dwordx4 a[0:3], v[18:19] offset:592
	s_movk_i32 s4, 0x7f
                                        ; implicit-def: $sgpr10
	s_waitcnt vmcnt(0) lgkmcnt(0)
	v_mfma_f32_16x16x4f32 a[0:3], v20, v21, a[0:3]
	v_lshrrev_b32_e32 v21, 8, v14
	v_cmp_gt_i16_sdwa s[6:7], v21, s4 src0_sel:BYTE_0 src1_sel:DWORD
	s_mov_b64 s[4:5], 0
	s_and_saveexec_b64 s[8:9], s[6:7]
	s_xor_b64 s[6:7], exec, s[8:9]
	s_cbranch_execnz .LBB6_3337
; %bb.1289:
	s_or_saveexec_b64 s[6:7], s[6:7]
	v_mov_b32_e32 v20, s10
	s_xor_b64 exec, exec, s[6:7]
	s_cbranch_execnz .LBB6_3340
.LBB6_1290:
	s_or_b64 exec, exec, s[6:7]
	s_and_saveexec_b64 s[6:7], s[4:5]
	s_cbranch_execz .LBB6_1292
.LBB6_1291:
	v_bfe_u32 v20, v14, 8, 3
	v_ffbh_u32_e32 v23, v20
	v_min_u32_e32 v23, 32, v23
	v_lshrrev_b16_e32 v22, 3, v21
	v_subrev_u32_e32 v24, 28, v23
	v_and_b32_e32 v22, 15, v22
	v_lshlrev_b32_e32 v21, v24, v21
	v_sub_u32_e32 v23, 29, v23
	v_and_b32_e32 v21, 7, v21
	v_cmp_eq_u16_e32 vcc, 0, v22
	v_cndmask_b32_e32 v20, v20, v21, vcc
	v_cndmask_b32_e32 v21, v22, v23, vcc
	v_lshlrev_b32_e32 v22, 16, v14
	v_mov_b32_e32 v23, 0x3b800000
	v_lshlrev_b32_e32 v20, 20, v20
	v_and_b32_e32 v22, 0x80000000, v22
	v_lshl_add_u32 v21, v21, 23, v23
	v_or3_b32 v20, v22, v21, v20
.LBB6_1292:
	s_or_b64 exec, exec, s[6:7]
	v_lshrrev_b32_e32 v21, 8, v10
	s_movk_i32 s4, 0x7f
	v_cmp_gt_i16_sdwa s[6:7], v21, s4 src0_sel:BYTE_0 src1_sel:DWORD
	s_mov_b64 s[4:5], 0
                                        ; implicit-def: $sgpr10
	s_and_saveexec_b64 s[8:9], s[6:7]
	s_xor_b64 s[6:7], exec, s[8:9]
	s_cbranch_execnz .LBB6_3341
; %bb.1293:
	s_or_saveexec_b64 s[6:7], s[6:7]
	v_mov_b32_e32 v22, s10
	s_xor_b64 exec, exec, s[6:7]
	s_cbranch_execnz .LBB6_3344
.LBB6_1294:
	s_or_b64 exec, exec, s[6:7]
	s_and_saveexec_b64 s[6:7], s[4:5]
	s_cbranch_execz .LBB6_1296
.LBB6_1295:
	v_bfe_u32 v22, v10, 8, 3
	v_ffbh_u32_e32 v24, v22
	v_min_u32_e32 v24, 32, v24
	v_lshrrev_b16_e32 v23, 3, v21
	v_subrev_u32_e32 v25, 28, v24
	v_and_b32_e32 v23, 15, v23
	v_lshlrev_b32_e32 v21, v25, v21
	v_sub_u32_e32 v24, 29, v24
	v_and_b32_e32 v21, 7, v21
	v_cmp_eq_u16_e32 vcc, 0, v23
	v_cndmask_b32_e32 v21, v22, v21, vcc
	v_cndmask_b32_e32 v22, v23, v24, vcc
	v_lshlrev_b32_e32 v23, 16, v10
	v_mov_b32_e32 v24, 0x3b800000
	v_lshlrev_b32_e32 v21, 20, v21
	v_and_b32_e32 v23, 0x80000000, v23
	v_lshl_add_u32 v22, v22, 23, v24
	v_or3_b32 v22, v23, v22, v21
.LBB6_1296:
	s_or_b64 exec, exec, s[6:7]
	s_nop 0
	v_mfma_f32_16x16x4f32 a[0:3], v20, v22, a[0:3]
	s_movk_i32 s4, 0xff
	v_and_b32_sdwa v21, v14, s4 dst_sel:DWORD dst_unused:UNUSED_PAD src0_sel:WORD_1 src1_sel:DWORD
	s_movk_i32 s4, 0x7f
	v_cmp_lt_i16_e32 vcc, s4, v21
	s_mov_b64 s[4:5], 0
                                        ; implicit-def: $sgpr10
	s_and_saveexec_b64 s[6:7], vcc
	s_xor_b64 s[6:7], exec, s[6:7]
	s_cbranch_execnz .LBB6_3345
; %bb.1297:
	s_or_saveexec_b64 s[6:7], s[6:7]
	v_mov_b32_e32 v20, s10
	s_xor_b64 exec, exec, s[6:7]
	s_cbranch_execnz .LBB6_3348
.LBB6_1298:
	s_or_b64 exec, exec, s[6:7]
	s_and_saveexec_b64 s[6:7], s[4:5]
	s_cbranch_execz .LBB6_1300
.LBB6_1299:
	v_bfe_u32 v20, v14, 16, 3
	v_ffbh_u32_e32 v23, v20
	v_min_u32_e32 v23, 32, v23
	v_lshrrev_b32_e32 v21, 19, v14
	v_subrev_u32_e32 v24, 28, v23
	v_and_b32_e32 v21, 15, v21
	v_lshlrev_b32_sdwa v24, v24, v14 dst_sel:DWORD dst_unused:UNUSED_PAD src0_sel:DWORD src1_sel:WORD_1
	v_bfe_u32 v22, v14, 19, 4
	v_sub_u32_e32 v23, 29, v23
	v_and_b32_e32 v24, 7, v24
	v_cmp_eq_u16_e32 vcc, 0, v21
	v_cndmask_b32_e32 v20, v20, v24, vcc
	v_cndmask_b32_e32 v21, v22, v23, vcc
	v_lshlrev_b32_e32 v22, 8, v14
	v_mov_b32_e32 v23, 0x3b800000
	v_lshlrev_b32_e32 v20, 20, v20
	v_and_b32_e32 v22, 0x80000000, v22
	v_lshl_add_u32 v21, v21, 23, v23
	v_or3_b32 v20, v22, v21, v20
.LBB6_1300:
	s_or_b64 exec, exec, s[6:7]
	s_movk_i32 s4, 0xff
	v_and_b32_sdwa v21, v10, s4 dst_sel:DWORD dst_unused:UNUSED_PAD src0_sel:WORD_1 src1_sel:DWORD
	s_movk_i32 s4, 0x7f
	v_cmp_lt_i16_e32 vcc, s4, v21
	s_mov_b64 s[4:5], 0
                                        ; implicit-def: $sgpr10
	s_and_saveexec_b64 s[6:7], vcc
	s_xor_b64 s[6:7], exec, s[6:7]
	s_cbranch_execnz .LBB6_3349
; %bb.1301:
	s_or_saveexec_b64 s[6:7], s[6:7]
	v_mov_b32_e32 v22, s10
	s_xor_b64 exec, exec, s[6:7]
	s_cbranch_execnz .LBB6_3352
.LBB6_1302:
	s_or_b64 exec, exec, s[6:7]
	s_and_saveexec_b64 s[6:7], s[4:5]
	s_cbranch_execz .LBB6_1304
.LBB6_1303:
	v_bfe_u32 v21, v10, 16, 3
	v_ffbh_u32_e32 v24, v21
	v_min_u32_e32 v24, 32, v24
	v_lshrrev_b32_e32 v22, 19, v10
	v_subrev_u32_e32 v25, 28, v24
	v_and_b32_e32 v22, 15, v22
	v_lshlrev_b32_sdwa v25, v25, v10 dst_sel:DWORD dst_unused:UNUSED_PAD src0_sel:DWORD src1_sel:WORD_1
	v_bfe_u32 v23, v10, 19, 4
	v_sub_u32_e32 v24, 29, v24
	v_and_b32_e32 v25, 7, v25
	v_cmp_eq_u16_e32 vcc, 0, v22
	v_cndmask_b32_e32 v21, v21, v25, vcc
	v_cndmask_b32_e32 v22, v23, v24, vcc
	v_lshlrev_b32_e32 v23, 8, v10
	v_mov_b32_e32 v24, 0x3b800000
	v_lshlrev_b32_e32 v21, 20, v21
	v_and_b32_e32 v23, 0x80000000, v23
	v_lshl_add_u32 v22, v22, 23, v24
	v_or3_b32 v22, v23, v22, v21
.LBB6_1304:
	s_or_b64 exec, exec, s[6:7]
	s_nop 0
	v_mfma_f32_16x16x4f32 a[0:3], v20, v22, a[0:3]
	s_movk_i32 s4, 0x7f
	v_cmp_gt_i16_sdwa s[6:7], v14, s4 src0_sel:BYTE_3 src1_sel:DWORD
	s_mov_b64 s[4:5], 0
                                        ; implicit-def: $sgpr10
	s_and_saveexec_b64 s[8:9], s[6:7]
	s_xor_b64 s[6:7], exec, s[8:9]
	s_cbranch_execnz .LBB6_3353
; %bb.1305:
	s_or_saveexec_b64 s[6:7], s[6:7]
	v_mov_b32_e32 v20, s10
	s_xor_b64 exec, exec, s[6:7]
	s_cbranch_execnz .LBB6_3356
.LBB6_1306:
	s_or_b64 exec, exec, s[6:7]
	s_and_saveexec_b64 s[6:7], s[4:5]
	s_cbranch_execz .LBB6_1308
.LBB6_1307:
	v_bfe_u32 v20, v14, 24, 3
	v_ffbh_u32_e32 v24, v20
	v_min_u32_e32 v24, 32, v24
	v_lshrrev_b32_e32 v22, 27, v14
	v_subrev_u32_e32 v25, 28, v24
	v_and_b32_e32 v21, 0x80000000, v14
	v_and_b32_e32 v22, 15, v22
	v_bfe_u32 v23, v14, 27, 4
	v_lshlrev_b32_sdwa v14, v25, v14 dst_sel:DWORD dst_unused:UNUSED_PAD src0_sel:DWORD src1_sel:BYTE_3
	v_sub_u32_e32 v24, 29, v24
	v_and_b32_e32 v14, 7, v14
	v_cmp_eq_u16_e32 vcc, 0, v22
	v_cndmask_b32_e32 v14, v20, v14, vcc
	v_cndmask_b32_e32 v20, v23, v24, vcc
	v_mov_b32_e32 v22, 0x3b800000
	v_lshlrev_b32_e32 v14, 20, v14
	v_lshl_add_u32 v20, v20, 23, v22
	v_or3_b32 v20, v21, v20, v14
.LBB6_1308:
	s_or_b64 exec, exec, s[6:7]
	s_movk_i32 s4, 0x7f
	v_cmp_gt_i16_sdwa s[6:7], v10, s4 src0_sel:BYTE_3 src1_sel:DWORD
	s_mov_b64 s[4:5], 0
                                        ; implicit-def: $sgpr10
	s_and_saveexec_b64 s[8:9], s[6:7]
	s_xor_b64 s[6:7], exec, s[8:9]
	s_cbranch_execnz .LBB6_3357
; %bb.1309:
	s_or_saveexec_b64 s[6:7], s[6:7]
	v_mov_b32_e32 v14, s10
	s_xor_b64 exec, exec, s[6:7]
	s_cbranch_execnz .LBB6_3360
.LBB6_1310:
	s_or_b64 exec, exec, s[6:7]
	s_and_saveexec_b64 s[6:7], s[4:5]
	s_cbranch_execz .LBB6_1312
.LBB6_1311:
	v_bfe_u32 v14, v10, 24, 3
	v_ffbh_u32_e32 v24, v14
	v_min_u32_e32 v24, 32, v24
	v_lshrrev_b32_e32 v22, 27, v10
	v_subrev_u32_e32 v25, 28, v24
	v_and_b32_e32 v21, 0x80000000, v10
	v_and_b32_e32 v22, 15, v22
	v_bfe_u32 v23, v10, 27, 4
	v_lshlrev_b32_sdwa v10, v25, v10 dst_sel:DWORD dst_unused:UNUSED_PAD src0_sel:DWORD src1_sel:BYTE_3
	v_sub_u32_e32 v24, 29, v24
	v_and_b32_e32 v10, 7, v10
	v_cmp_eq_u16_e32 vcc, 0, v22
	v_cndmask_b32_e32 v10, v14, v10, vcc
	v_cndmask_b32_e32 v14, v23, v24, vcc
	v_mov_b32_e32 v22, 0x3b800000
	v_lshlrev_b32_e32 v10, 20, v10
	v_lshl_add_u32 v14, v14, 23, v22
	v_or3_b32 v14, v21, v14, v10
.LBB6_1312:
	s_or_b64 exec, exec, s[6:7]
	s_nop 0
	v_mfma_f32_16x16x4f32 a[0:3], v20, v14, a[0:3]
	s_movk_i32 s4, 0x7f
	v_cmp_gt_i16_sdwa s[6:7], v15, s4 src0_sel:BYTE_0 src1_sel:DWORD
	s_mov_b64 s[4:5], 0
                                        ; implicit-def: $sgpr10
	s_and_saveexec_b64 s[8:9], s[6:7]
	s_xor_b64 s[6:7], exec, s[8:9]
	s_cbranch_execnz .LBB6_3361
; %bb.1313:
	s_or_saveexec_b64 s[6:7], s[6:7]
	v_mov_b32_e32 v10, s10
	s_xor_b64 exec, exec, s[6:7]
	s_cbranch_execnz .LBB6_3364
.LBB6_1314:
	s_or_b64 exec, exec, s[6:7]
	s_and_saveexec_b64 s[6:7], s[4:5]
	s_cbranch_execz .LBB6_1316
.LBB6_1315:
	v_and_b32_e32 v10, 7, v15
	v_ffbh_u32_e32 v20, v10
	v_min_u32_e32 v20, 32, v20
	v_lshrrev_b16_e32 v14, 3, v15
	v_subrev_u32_e32 v21, 28, v20
	v_and_b32_e32 v14, 15, v14
	v_lshlrev_b32_e32 v21, v21, v15
	v_sub_u32_e32 v20, 29, v20
	v_and_b32_e32 v21, 7, v21
	v_cmp_eq_u16_e32 vcc, 0, v14
	v_cndmask_b32_e32 v10, v10, v21, vcc
	v_cndmask_b32_e32 v14, v14, v20, vcc
	v_lshlrev_b32_e32 v20, 24, v15
	v_mov_b32_e32 v21, 0x3b800000
	v_lshlrev_b32_e32 v10, 20, v10
	v_and_b32_e32 v20, 0x80000000, v20
	v_lshl_add_u32 v14, v14, 23, v21
	v_or3_b32 v10, v20, v14, v10
.LBB6_1316:
	s_or_b64 exec, exec, s[6:7]
	s_movk_i32 s4, 0x7f
	v_cmp_gt_i16_sdwa s[6:7], v11, s4 src0_sel:BYTE_0 src1_sel:DWORD
	s_mov_b64 s[4:5], 0
                                        ; implicit-def: $sgpr10
	s_and_saveexec_b64 s[8:9], s[6:7]
	s_xor_b64 s[6:7], exec, s[8:9]
	s_cbranch_execnz .LBB6_3365
; %bb.1317:
	s_or_saveexec_b64 s[6:7], s[6:7]
	v_mov_b32_e32 v14, s10
	s_xor_b64 exec, exec, s[6:7]
	s_cbranch_execnz .LBB6_3368
.LBB6_1318:
	s_or_b64 exec, exec, s[6:7]
	s_and_saveexec_b64 s[6:7], s[4:5]
	s_cbranch_execz .LBB6_1320
.LBB6_1319:
	v_and_b32_e32 v14, 7, v11
	v_ffbh_u32_e32 v21, v14
	v_min_u32_e32 v21, 32, v21
	v_lshrrev_b16_e32 v20, 3, v11
	v_subrev_u32_e32 v22, 28, v21
	v_and_b32_e32 v20, 15, v20
	v_lshlrev_b32_e32 v22, v22, v11
	v_sub_u32_e32 v21, 29, v21
	v_and_b32_e32 v22, 7, v22
	v_cmp_eq_u16_e32 vcc, 0, v20
	v_cndmask_b32_e32 v14, v14, v22, vcc
	v_cndmask_b32_e32 v20, v20, v21, vcc
	v_lshlrev_b32_e32 v21, 24, v11
	v_mov_b32_e32 v22, 0x3b800000
	v_lshlrev_b32_e32 v14, 20, v14
	v_and_b32_e32 v21, 0x80000000, v21
	v_lshl_add_u32 v20, v20, 23, v22
	v_or3_b32 v14, v21, v20, v14
.LBB6_1320:
	s_or_b64 exec, exec, s[6:7]
	s_nop 0
	v_mfma_f32_16x16x4f32 a[0:3], v10, v14, a[0:3]
	v_lshrrev_b32_e32 v14, 8, v15
	s_movk_i32 s4, 0x7f
	v_cmp_gt_i16_sdwa s[6:7], v14, s4 src0_sel:BYTE_0 src1_sel:DWORD
	s_mov_b64 s[4:5], 0
                                        ; implicit-def: $sgpr10
	s_and_saveexec_b64 s[8:9], s[6:7]
	s_xor_b64 s[6:7], exec, s[8:9]
	s_cbranch_execnz .LBB6_3369
; %bb.1321:
	s_or_saveexec_b64 s[6:7], s[6:7]
	v_mov_b32_e32 v10, s10
	s_xor_b64 exec, exec, s[6:7]
	s_cbranch_execnz .LBB6_3372
.LBB6_1322:
	s_or_b64 exec, exec, s[6:7]
	s_and_saveexec_b64 s[6:7], s[4:5]
	s_cbranch_execz .LBB6_1324
.LBB6_1323:
	v_bfe_u32 v10, v15, 8, 3
	v_ffbh_u32_e32 v21, v10
	v_min_u32_e32 v21, 32, v21
	v_lshrrev_b16_e32 v20, 3, v14
	v_subrev_u32_e32 v22, 28, v21
	v_and_b32_e32 v20, 15, v20
	v_lshlrev_b32_e32 v14, v22, v14
	v_sub_u32_e32 v21, 29, v21
	v_and_b32_e32 v14, 7, v14
	v_cmp_eq_u16_e32 vcc, 0, v20
	v_cndmask_b32_e32 v10, v10, v14, vcc
	v_cndmask_b32_e32 v14, v20, v21, vcc
	v_lshlrev_b32_e32 v20, 16, v15
	v_mov_b32_e32 v21, 0x3b800000
	v_lshlrev_b32_e32 v10, 20, v10
	v_and_b32_e32 v20, 0x80000000, v20
	v_lshl_add_u32 v14, v14, 23, v21
	v_or3_b32 v10, v20, v14, v10
.LBB6_1324:
	s_or_b64 exec, exec, s[6:7]
	v_lshrrev_b32_e32 v14, 8, v11
	s_movk_i32 s4, 0x7f
	v_cmp_gt_i16_sdwa s[6:7], v14, s4 src0_sel:BYTE_0 src1_sel:DWORD
	s_mov_b64 s[4:5], 0
                                        ; implicit-def: $sgpr10
	s_and_saveexec_b64 s[8:9], s[6:7]
	s_xor_b64 s[6:7], exec, s[8:9]
	s_cbranch_execnz .LBB6_3373
; %bb.1325:
	s_or_saveexec_b64 s[6:7], s[6:7]
	v_mov_b32_e32 v20, s10
	s_xor_b64 exec, exec, s[6:7]
	s_cbranch_execnz .LBB6_3376
.LBB6_1326:
	s_or_b64 exec, exec, s[6:7]
	s_and_saveexec_b64 s[6:7], s[4:5]
	s_cbranch_execz .LBB6_1328
.LBB6_1327:
	v_bfe_u32 v20, v11, 8, 3
	v_ffbh_u32_e32 v22, v20
	v_min_u32_e32 v22, 32, v22
	v_lshrrev_b16_e32 v21, 3, v14
	v_subrev_u32_e32 v23, 28, v22
	v_and_b32_e32 v21, 15, v21
	v_lshlrev_b32_e32 v14, v23, v14
	v_sub_u32_e32 v22, 29, v22
	v_and_b32_e32 v14, 7, v14
	v_cmp_eq_u16_e32 vcc, 0, v21
	v_cndmask_b32_e32 v14, v20, v14, vcc
	v_cndmask_b32_e32 v20, v21, v22, vcc
	v_lshlrev_b32_e32 v21, 16, v11
	v_mov_b32_e32 v22, 0x3b800000
	v_lshlrev_b32_e32 v14, 20, v14
	v_and_b32_e32 v21, 0x80000000, v21
	v_lshl_add_u32 v20, v20, 23, v22
	v_or3_b32 v20, v21, v20, v14
.LBB6_1328:
	s_or_b64 exec, exec, s[6:7]
	s_nop 0
	v_mfma_f32_16x16x4f32 a[0:3], v10, v20, a[0:3]
	s_movk_i32 s4, 0xff
	v_and_b32_sdwa v14, v15, s4 dst_sel:DWORD dst_unused:UNUSED_PAD src0_sel:WORD_1 src1_sel:DWORD
	s_movk_i32 s4, 0x7f
	v_cmp_lt_i16_e32 vcc, s4, v14
	s_mov_b64 s[4:5], 0
                                        ; implicit-def: $sgpr10
	s_and_saveexec_b64 s[6:7], vcc
	s_xor_b64 s[6:7], exec, s[6:7]
	s_cbranch_execnz .LBB6_3377
; %bb.1329:
	s_or_saveexec_b64 s[6:7], s[6:7]
	v_mov_b32_e32 v10, s10
	s_xor_b64 exec, exec, s[6:7]
	s_cbranch_execnz .LBB6_3380
.LBB6_1330:
	s_or_b64 exec, exec, s[6:7]
	s_and_saveexec_b64 s[6:7], s[4:5]
	s_cbranch_execz .LBB6_1332
.LBB6_1331:
	v_bfe_u32 v10, v15, 16, 3
	v_ffbh_u32_e32 v21, v10
	v_min_u32_e32 v21, 32, v21
	v_lshrrev_b32_e32 v14, 19, v15
	v_subrev_u32_e32 v22, 28, v21
	v_and_b32_e32 v14, 15, v14
	v_lshlrev_b32_sdwa v22, v22, v15 dst_sel:DWORD dst_unused:UNUSED_PAD src0_sel:DWORD src1_sel:WORD_1
	v_bfe_u32 v20, v15, 19, 4
	v_sub_u32_e32 v21, 29, v21
	v_and_b32_e32 v22, 7, v22
	v_cmp_eq_u16_e32 vcc, 0, v14
	v_cndmask_b32_e32 v10, v10, v22, vcc
	v_cndmask_b32_e32 v14, v20, v21, vcc
	v_lshlrev_b32_e32 v20, 8, v15
	v_mov_b32_e32 v21, 0x3b800000
	v_lshlrev_b32_e32 v10, 20, v10
	v_and_b32_e32 v20, 0x80000000, v20
	v_lshl_add_u32 v14, v14, 23, v21
	v_or3_b32 v10, v20, v14, v10
.LBB6_1332:
	s_or_b64 exec, exec, s[6:7]
	s_movk_i32 s4, 0xff
	v_and_b32_sdwa v14, v11, s4 dst_sel:DWORD dst_unused:UNUSED_PAD src0_sel:WORD_1 src1_sel:DWORD
	s_movk_i32 s4, 0x7f
	v_cmp_lt_i16_e32 vcc, s4, v14
	s_mov_b64 s[4:5], 0
                                        ; implicit-def: $sgpr10
	s_and_saveexec_b64 s[6:7], vcc
	s_xor_b64 s[6:7], exec, s[6:7]
	s_cbranch_execnz .LBB6_3381
; %bb.1333:
	s_or_saveexec_b64 s[6:7], s[6:7]
	v_mov_b32_e32 v20, s10
	s_xor_b64 exec, exec, s[6:7]
	s_cbranch_execnz .LBB6_3384
.LBB6_1334:
	s_or_b64 exec, exec, s[6:7]
	s_and_saveexec_b64 s[6:7], s[4:5]
	s_cbranch_execz .LBB6_1336
.LBB6_1335:
	v_bfe_u32 v14, v11, 16, 3
	v_ffbh_u32_e32 v22, v14
	v_min_u32_e32 v22, 32, v22
	v_lshrrev_b32_e32 v20, 19, v11
	v_subrev_u32_e32 v23, 28, v22
	v_and_b32_e32 v20, 15, v20
	v_lshlrev_b32_sdwa v23, v23, v11 dst_sel:DWORD dst_unused:UNUSED_PAD src0_sel:DWORD src1_sel:WORD_1
	v_bfe_u32 v21, v11, 19, 4
	v_sub_u32_e32 v22, 29, v22
	v_and_b32_e32 v23, 7, v23
	v_cmp_eq_u16_e32 vcc, 0, v20
	v_cndmask_b32_e32 v14, v14, v23, vcc
	v_cndmask_b32_e32 v20, v21, v22, vcc
	v_lshlrev_b32_e32 v21, 8, v11
	v_mov_b32_e32 v22, 0x3b800000
	v_lshlrev_b32_e32 v14, 20, v14
	v_and_b32_e32 v21, 0x80000000, v21
	v_lshl_add_u32 v20, v20, 23, v22
	v_or3_b32 v20, v21, v20, v14
.LBB6_1336:
	s_or_b64 exec, exec, s[6:7]
	s_nop 0
	v_mfma_f32_16x16x4f32 a[0:3], v10, v20, a[0:3]
	s_movk_i32 s4, 0x7f
	v_cmp_gt_i16_sdwa s[6:7], v15, s4 src0_sel:BYTE_3 src1_sel:DWORD
	s_mov_b64 s[4:5], 0
                                        ; implicit-def: $sgpr10
	s_and_saveexec_b64 s[8:9], s[6:7]
	s_xor_b64 s[6:7], exec, s[8:9]
	s_cbranch_execnz .LBB6_3385
; %bb.1337:
	s_or_saveexec_b64 s[6:7], s[6:7]
	v_mov_b32_e32 v10, s10
	s_xor_b64 exec, exec, s[6:7]
	s_cbranch_execnz .LBB6_3388
.LBB6_1338:
	s_or_b64 exec, exec, s[6:7]
	s_and_saveexec_b64 s[6:7], s[4:5]
	s_cbranch_execz .LBB6_1340
.LBB6_1339:
	v_bfe_u32 v10, v15, 24, 3
	v_ffbh_u32_e32 v22, v10
	v_min_u32_e32 v22, 32, v22
	v_lshrrev_b32_e32 v20, 27, v15
	v_subrev_u32_e32 v23, 28, v22
	v_and_b32_e32 v14, 0x80000000, v15
	v_and_b32_e32 v20, 15, v20
	v_bfe_u32 v21, v15, 27, 4
	v_lshlrev_b32_sdwa v15, v23, v15 dst_sel:DWORD dst_unused:UNUSED_PAD src0_sel:DWORD src1_sel:BYTE_3
	v_sub_u32_e32 v22, 29, v22
	v_and_b32_e32 v15, 7, v15
	v_cmp_eq_u16_e32 vcc, 0, v20
	v_cndmask_b32_e32 v10, v10, v15, vcc
	v_cndmask_b32_e32 v15, v21, v22, vcc
	v_mov_b32_e32 v20, 0x3b800000
	v_lshlrev_b32_e32 v10, 20, v10
	v_lshl_add_u32 v15, v15, 23, v20
	v_or3_b32 v10, v14, v15, v10
.LBB6_1340:
	s_or_b64 exec, exec, s[6:7]
	s_movk_i32 s4, 0x7f
	v_cmp_gt_i16_sdwa s[6:7], v11, s4 src0_sel:BYTE_3 src1_sel:DWORD
	s_mov_b64 s[4:5], 0
                                        ; implicit-def: $sgpr10
	s_and_saveexec_b64 s[8:9], s[6:7]
	s_xor_b64 s[6:7], exec, s[8:9]
	s_cbranch_execnz .LBB6_3389
; %bb.1341:
	s_or_saveexec_b64 s[6:7], s[6:7]
	v_mov_b32_e32 v14, s10
	s_xor_b64 exec, exec, s[6:7]
	s_cbranch_execnz .LBB6_3392
.LBB6_1342:
	s_or_b64 exec, exec, s[6:7]
	s_and_saveexec_b64 s[6:7], s[4:5]
	s_cbranch_execz .LBB6_1344
.LBB6_1343:
	v_bfe_u32 v14, v11, 24, 3
	v_ffbh_u32_e32 v22, v14
	v_min_u32_e32 v22, 32, v22
	v_lshrrev_b32_e32 v20, 27, v11
	v_subrev_u32_e32 v23, 28, v22
	v_and_b32_e32 v15, 0x80000000, v11
	v_and_b32_e32 v20, 15, v20
	v_bfe_u32 v21, v11, 27, 4
	v_lshlrev_b32_sdwa v11, v23, v11 dst_sel:DWORD dst_unused:UNUSED_PAD src0_sel:DWORD src1_sel:BYTE_3
	v_sub_u32_e32 v22, 29, v22
	v_and_b32_e32 v11, 7, v11
	v_cmp_eq_u16_e32 vcc, 0, v20
	v_cndmask_b32_e32 v11, v14, v11, vcc
	v_cndmask_b32_e32 v14, v21, v22, vcc
	v_mov_b32_e32 v20, 0x3b800000
	v_lshlrev_b32_e32 v11, 20, v11
	v_lshl_add_u32 v14, v14, 23, v20
	v_or3_b32 v14, v15, v14, v11
.LBB6_1344:
	s_or_b64 exec, exec, s[6:7]
	s_nop 0
	v_mfma_f32_16x16x4f32 a[0:3], v10, v14, a[0:3]
	s_movk_i32 s4, 0x7f
	v_cmp_gt_i16_sdwa s[6:7], v16, s4 src0_sel:BYTE_0 src1_sel:DWORD
	s_mov_b64 s[4:5], 0
                                        ; implicit-def: $sgpr10
	s_and_saveexec_b64 s[8:9], s[6:7]
	s_xor_b64 s[6:7], exec, s[8:9]
	s_cbranch_execnz .LBB6_3393
; %bb.1345:
	s_or_saveexec_b64 s[6:7], s[6:7]
	v_mov_b32_e32 v10, s10
	s_xor_b64 exec, exec, s[6:7]
	s_cbranch_execnz .LBB6_3396
.LBB6_1346:
	s_or_b64 exec, exec, s[6:7]
	s_and_saveexec_b64 s[6:7], s[4:5]
	s_cbranch_execz .LBB6_1348
.LBB6_1347:
	v_and_b32_e32 v10, 7, v16
	v_ffbh_u32_e32 v14, v10
	v_min_u32_e32 v14, 32, v14
	v_lshrrev_b16_e32 v11, 3, v16
	v_subrev_u32_e32 v15, 28, v14
	v_and_b32_e32 v11, 15, v11
	v_lshlrev_b32_e32 v15, v15, v16
	v_sub_u32_e32 v14, 29, v14
	v_and_b32_e32 v15, 7, v15
	v_cmp_eq_u16_e32 vcc, 0, v11
	v_cndmask_b32_e32 v10, v10, v15, vcc
	v_cndmask_b32_e32 v11, v11, v14, vcc
	v_lshlrev_b32_e32 v14, 24, v16
	v_mov_b32_e32 v15, 0x3b800000
	v_lshlrev_b32_e32 v10, 20, v10
	v_and_b32_e32 v14, 0x80000000, v14
	v_lshl_add_u32 v11, v11, 23, v15
	v_or3_b32 v10, v14, v11, v10
.LBB6_1348:
	s_or_b64 exec, exec, s[6:7]
	s_movk_i32 s4, 0x7f
	v_cmp_gt_i16_sdwa s[6:7], v12, s4 src0_sel:BYTE_0 src1_sel:DWORD
	s_mov_b64 s[4:5], 0
                                        ; implicit-def: $sgpr10
	s_and_saveexec_b64 s[8:9], s[6:7]
	s_xor_b64 s[6:7], exec, s[8:9]
	s_cbranch_execnz .LBB6_3397
; %bb.1349:
	s_or_saveexec_b64 s[6:7], s[6:7]
	v_mov_b32_e32 v11, s10
	s_xor_b64 exec, exec, s[6:7]
	s_cbranch_execnz .LBB6_3400
.LBB6_1350:
	s_or_b64 exec, exec, s[6:7]
	s_and_saveexec_b64 s[6:7], s[4:5]
	s_cbranch_execz .LBB6_1352
.LBB6_1351:
	v_and_b32_e32 v11, 7, v12
	v_ffbh_u32_e32 v15, v11
	v_min_u32_e32 v15, 32, v15
	v_lshrrev_b16_e32 v14, 3, v12
	v_subrev_u32_e32 v20, 28, v15
	v_and_b32_e32 v14, 15, v14
	v_lshlrev_b32_e32 v20, v20, v12
	v_sub_u32_e32 v15, 29, v15
	v_and_b32_e32 v20, 7, v20
	v_cmp_eq_u16_e32 vcc, 0, v14
	v_cndmask_b32_e32 v11, v11, v20, vcc
	v_cndmask_b32_e32 v14, v14, v15, vcc
	v_lshlrev_b32_e32 v15, 24, v12
	v_mov_b32_e32 v20, 0x3b800000
	v_lshlrev_b32_e32 v11, 20, v11
	v_and_b32_e32 v15, 0x80000000, v15
	v_lshl_add_u32 v14, v14, 23, v20
	v_or3_b32 v11, v15, v14, v11
.LBB6_1352:
	s_or_b64 exec, exec, s[6:7]
	s_nop 0
	v_mfma_f32_16x16x4f32 a[0:3], v10, v11, a[0:3]
	v_lshrrev_b32_e32 v11, 8, v16
	s_movk_i32 s4, 0x7f
	v_cmp_gt_i16_sdwa s[6:7], v11, s4 src0_sel:BYTE_0 src1_sel:DWORD
	s_mov_b64 s[4:5], 0
                                        ; implicit-def: $sgpr10
	s_and_saveexec_b64 s[8:9], s[6:7]
	s_xor_b64 s[6:7], exec, s[8:9]
	s_cbranch_execnz .LBB6_3401
; %bb.1353:
	s_or_saveexec_b64 s[6:7], s[6:7]
	v_mov_b32_e32 v10, s10
	s_xor_b64 exec, exec, s[6:7]
	s_cbranch_execnz .LBB6_3404
.LBB6_1354:
	s_or_b64 exec, exec, s[6:7]
	s_and_saveexec_b64 s[6:7], s[4:5]
	s_cbranch_execz .LBB6_1356
.LBB6_1355:
	v_bfe_u32 v10, v16, 8, 3
	v_ffbh_u32_e32 v15, v10
	v_min_u32_e32 v15, 32, v15
	v_lshrrev_b16_e32 v14, 3, v11
	v_subrev_u32_e32 v20, 28, v15
	v_and_b32_e32 v14, 15, v14
	v_lshlrev_b32_e32 v11, v20, v11
	v_sub_u32_e32 v15, 29, v15
	v_and_b32_e32 v11, 7, v11
	v_cmp_eq_u16_e32 vcc, 0, v14
	v_cndmask_b32_e32 v10, v10, v11, vcc
	v_cndmask_b32_e32 v11, v14, v15, vcc
	v_lshlrev_b32_e32 v14, 16, v16
	v_mov_b32_e32 v15, 0x3b800000
	v_lshlrev_b32_e32 v10, 20, v10
	v_and_b32_e32 v14, 0x80000000, v14
	v_lshl_add_u32 v11, v11, 23, v15
	v_or3_b32 v10, v14, v11, v10
.LBB6_1356:
	s_or_b64 exec, exec, s[6:7]
	v_lshrrev_b32_e32 v11, 8, v12
	s_movk_i32 s4, 0x7f
	v_cmp_gt_i16_sdwa s[6:7], v11, s4 src0_sel:BYTE_0 src1_sel:DWORD
	s_mov_b64 s[4:5], 0
                                        ; implicit-def: $sgpr10
	s_and_saveexec_b64 s[8:9], s[6:7]
	s_xor_b64 s[6:7], exec, s[8:9]
	s_cbranch_execnz .LBB6_3405
; %bb.1357:
	s_or_saveexec_b64 s[6:7], s[6:7]
	v_mov_b32_e32 v14, s10
	s_xor_b64 exec, exec, s[6:7]
	s_cbranch_execnz .LBB6_3408
.LBB6_1358:
	s_or_b64 exec, exec, s[6:7]
	s_and_saveexec_b64 s[6:7], s[4:5]
	s_cbranch_execz .LBB6_1360
.LBB6_1359:
	v_bfe_u32 v14, v12, 8, 3
	v_ffbh_u32_e32 v20, v14
	v_min_u32_e32 v20, 32, v20
	v_lshrrev_b16_e32 v15, 3, v11
	v_subrev_u32_e32 v21, 28, v20
	v_and_b32_e32 v15, 15, v15
	v_lshlrev_b32_e32 v11, v21, v11
	v_sub_u32_e32 v20, 29, v20
	v_and_b32_e32 v11, 7, v11
	v_cmp_eq_u16_e32 vcc, 0, v15
	v_cndmask_b32_e32 v11, v14, v11, vcc
	v_cndmask_b32_e32 v14, v15, v20, vcc
	v_lshlrev_b32_e32 v15, 16, v12
	v_mov_b32_e32 v20, 0x3b800000
	v_lshlrev_b32_e32 v11, 20, v11
	v_and_b32_e32 v15, 0x80000000, v15
	v_lshl_add_u32 v14, v14, 23, v20
	v_or3_b32 v14, v15, v14, v11
.LBB6_1360:
	s_or_b64 exec, exec, s[6:7]
	s_nop 0
	v_mfma_f32_16x16x4f32 a[0:3], v10, v14, a[0:3]
	s_movk_i32 s4, 0xff
	v_and_b32_sdwa v11, v16, s4 dst_sel:DWORD dst_unused:UNUSED_PAD src0_sel:WORD_1 src1_sel:DWORD
	s_movk_i32 s4, 0x7f
	v_cmp_lt_i16_e32 vcc, s4, v11
	s_mov_b64 s[4:5], 0
                                        ; implicit-def: $sgpr10
	s_and_saveexec_b64 s[6:7], vcc
	s_xor_b64 s[6:7], exec, s[6:7]
	s_cbranch_execnz .LBB6_3409
; %bb.1361:
	s_or_saveexec_b64 s[6:7], s[6:7]
	v_mov_b32_e32 v10, s10
	s_xor_b64 exec, exec, s[6:7]
	s_cbranch_execnz .LBB6_3412
.LBB6_1362:
	s_or_b64 exec, exec, s[6:7]
	s_and_saveexec_b64 s[6:7], s[4:5]
	s_cbranch_execz .LBB6_1364
.LBB6_1363:
	v_bfe_u32 v10, v16, 16, 3
	v_ffbh_u32_e32 v15, v10
	v_min_u32_e32 v15, 32, v15
	v_lshrrev_b32_e32 v11, 19, v16
	v_subrev_u32_e32 v20, 28, v15
	v_and_b32_e32 v11, 15, v11
	v_lshlrev_b32_sdwa v20, v20, v16 dst_sel:DWORD dst_unused:UNUSED_PAD src0_sel:DWORD src1_sel:WORD_1
	v_bfe_u32 v14, v16, 19, 4
	v_sub_u32_e32 v15, 29, v15
	v_and_b32_e32 v20, 7, v20
	v_cmp_eq_u16_e32 vcc, 0, v11
	v_cndmask_b32_e32 v10, v10, v20, vcc
	v_cndmask_b32_e32 v11, v14, v15, vcc
	v_lshlrev_b32_e32 v14, 8, v16
	v_mov_b32_e32 v15, 0x3b800000
	v_lshlrev_b32_e32 v10, 20, v10
	v_and_b32_e32 v14, 0x80000000, v14
	v_lshl_add_u32 v11, v11, 23, v15
	v_or3_b32 v10, v14, v11, v10
.LBB6_1364:
	s_or_b64 exec, exec, s[6:7]
	s_movk_i32 s4, 0xff
	v_and_b32_sdwa v11, v12, s4 dst_sel:DWORD dst_unused:UNUSED_PAD src0_sel:WORD_1 src1_sel:DWORD
	s_movk_i32 s4, 0x7f
	v_cmp_lt_i16_e32 vcc, s4, v11
	s_mov_b64 s[4:5], 0
                                        ; implicit-def: $sgpr10
	s_and_saveexec_b64 s[6:7], vcc
	s_xor_b64 s[6:7], exec, s[6:7]
	s_cbranch_execnz .LBB6_3413
; %bb.1365:
	s_or_saveexec_b64 s[6:7], s[6:7]
	v_mov_b32_e32 v14, s10
	s_xor_b64 exec, exec, s[6:7]
	s_cbranch_execnz .LBB6_3416
.LBB6_1366:
	s_or_b64 exec, exec, s[6:7]
	s_and_saveexec_b64 s[6:7], s[4:5]
	s_cbranch_execz .LBB6_1368
.LBB6_1367:
	v_bfe_u32 v11, v12, 16, 3
	v_ffbh_u32_e32 v20, v11
	v_min_u32_e32 v20, 32, v20
	v_lshrrev_b32_e32 v14, 19, v12
	v_subrev_u32_e32 v21, 28, v20
	v_and_b32_e32 v14, 15, v14
	v_lshlrev_b32_sdwa v21, v21, v12 dst_sel:DWORD dst_unused:UNUSED_PAD src0_sel:DWORD src1_sel:WORD_1
	v_bfe_u32 v15, v12, 19, 4
	v_sub_u32_e32 v20, 29, v20
	v_and_b32_e32 v21, 7, v21
	v_cmp_eq_u16_e32 vcc, 0, v14
	v_cndmask_b32_e32 v11, v11, v21, vcc
	v_cndmask_b32_e32 v14, v15, v20, vcc
	v_lshlrev_b32_e32 v15, 8, v12
	v_mov_b32_e32 v20, 0x3b800000
	v_lshlrev_b32_e32 v11, 20, v11
	v_and_b32_e32 v15, 0x80000000, v15
	v_lshl_add_u32 v14, v14, 23, v20
	v_or3_b32 v14, v15, v14, v11
.LBB6_1368:
	s_or_b64 exec, exec, s[6:7]
	s_nop 0
	v_mfma_f32_16x16x4f32 a[0:3], v10, v14, a[0:3]
	s_movk_i32 s4, 0x7f
	v_cmp_gt_i16_sdwa s[6:7], v16, s4 src0_sel:BYTE_3 src1_sel:DWORD
	s_mov_b64 s[4:5], 0
                                        ; implicit-def: $sgpr10
	s_and_saveexec_b64 s[8:9], s[6:7]
	s_xor_b64 s[6:7], exec, s[8:9]
	s_cbranch_execnz .LBB6_3417
; %bb.1369:
	s_or_saveexec_b64 s[6:7], s[6:7]
	v_mov_b32_e32 v10, s10
	s_xor_b64 exec, exec, s[6:7]
	s_cbranch_execnz .LBB6_3420
.LBB6_1370:
	s_or_b64 exec, exec, s[6:7]
	s_and_saveexec_b64 s[6:7], s[4:5]
	s_cbranch_execz .LBB6_1372
.LBB6_1371:
	v_bfe_u32 v10, v16, 24, 3
	v_ffbh_u32_e32 v20, v10
	v_min_u32_e32 v20, 32, v20
	v_lshrrev_b32_e32 v14, 27, v16
	v_subrev_u32_e32 v21, 28, v20
	v_and_b32_e32 v11, 0x80000000, v16
	v_and_b32_e32 v14, 15, v14
	v_bfe_u32 v15, v16, 27, 4
	v_lshlrev_b32_sdwa v16, v21, v16 dst_sel:DWORD dst_unused:UNUSED_PAD src0_sel:DWORD src1_sel:BYTE_3
	v_sub_u32_e32 v20, 29, v20
	v_and_b32_e32 v16, 7, v16
	v_cmp_eq_u16_e32 vcc, 0, v14
	v_cndmask_b32_e32 v10, v10, v16, vcc
	v_cndmask_b32_e32 v14, v15, v20, vcc
	v_mov_b32_e32 v15, 0x3b800000
	v_lshlrev_b32_e32 v10, 20, v10
	v_lshl_add_u32 v14, v14, 23, v15
	v_or3_b32 v10, v11, v14, v10
.LBB6_1372:
	s_or_b64 exec, exec, s[6:7]
	s_movk_i32 s4, 0x7f
	v_cmp_gt_i16_sdwa s[6:7], v12, s4 src0_sel:BYTE_3 src1_sel:DWORD
	s_mov_b64 s[4:5], 0
                                        ; implicit-def: $sgpr10
	s_and_saveexec_b64 s[8:9], s[6:7]
	s_xor_b64 s[6:7], exec, s[8:9]
	s_cbranch_execnz .LBB6_3421
; %bb.1373:
	s_or_saveexec_b64 s[6:7], s[6:7]
	v_mov_b32_e32 v11, s10
	s_xor_b64 exec, exec, s[6:7]
	s_cbranch_execnz .LBB6_3424
.LBB6_1374:
	s_or_b64 exec, exec, s[6:7]
	s_and_saveexec_b64 s[6:7], s[4:5]
	s_cbranch_execz .LBB6_1376
.LBB6_1375:
	v_bfe_u32 v11, v12, 24, 3
	v_ffbh_u32_e32 v20, v11
	v_min_u32_e32 v20, 32, v20
	v_lshrrev_b32_e32 v15, 27, v12
	v_subrev_u32_e32 v21, 28, v20
	v_and_b32_e32 v14, 0x80000000, v12
	v_and_b32_e32 v15, 15, v15
	v_bfe_u32 v16, v12, 27, 4
	v_lshlrev_b32_sdwa v12, v21, v12 dst_sel:DWORD dst_unused:UNUSED_PAD src0_sel:DWORD src1_sel:BYTE_3
	v_sub_u32_e32 v20, 29, v20
	v_and_b32_e32 v12, 7, v12
	v_cmp_eq_u16_e32 vcc, 0, v15
	v_cndmask_b32_e32 v11, v11, v12, vcc
	v_cndmask_b32_e32 v12, v16, v20, vcc
	v_mov_b32_e32 v15, 0x3b800000
	v_lshlrev_b32_e32 v11, 20, v11
	v_lshl_add_u32 v12, v12, 23, v15
	v_or3_b32 v11, v14, v12, v11
.LBB6_1376:
	s_or_b64 exec, exec, s[6:7]
	s_nop 0
	v_mfma_f32_16x16x4f32 a[0:3], v10, v11, a[0:3]
	s_movk_i32 s4, 0x7f
	v_cmp_gt_i16_sdwa s[6:7], v17, s4 src0_sel:BYTE_0 src1_sel:DWORD
	s_mov_b64 s[4:5], 0
                                        ; implicit-def: $sgpr10
	s_and_saveexec_b64 s[8:9], s[6:7]
	s_xor_b64 s[6:7], exec, s[8:9]
	s_cbranch_execnz .LBB6_3425
; %bb.1377:
	s_or_saveexec_b64 s[6:7], s[6:7]
	v_mov_b32_e32 v10, s10
	s_xor_b64 exec, exec, s[6:7]
	s_cbranch_execnz .LBB6_3428
.LBB6_1378:
	s_or_b64 exec, exec, s[6:7]
	s_and_saveexec_b64 s[6:7], s[4:5]
	s_cbranch_execz .LBB6_1380
.LBB6_1379:
	v_and_b32_e32 v10, 7, v17
	v_ffbh_u32_e32 v12, v10
	v_min_u32_e32 v12, 32, v12
	v_lshrrev_b16_e32 v11, 3, v17
	v_subrev_u32_e32 v14, 28, v12
	v_and_b32_e32 v11, 15, v11
	v_lshlrev_b32_e32 v14, v14, v17
	v_sub_u32_e32 v12, 29, v12
	v_and_b32_e32 v14, 7, v14
	v_cmp_eq_u16_e32 vcc, 0, v11
	v_cndmask_b32_e32 v10, v10, v14, vcc
	v_cndmask_b32_e32 v11, v11, v12, vcc
	v_lshlrev_b32_e32 v12, 24, v17
	v_mov_b32_e32 v14, 0x3b800000
	v_lshlrev_b32_e32 v10, 20, v10
	v_and_b32_e32 v12, 0x80000000, v12
	v_lshl_add_u32 v11, v11, 23, v14
	v_or3_b32 v10, v12, v11, v10
.LBB6_1380:
	s_or_b64 exec, exec, s[6:7]
	s_movk_i32 s4, 0x7f
	v_cmp_gt_i16_sdwa s[6:7], v13, s4 src0_sel:BYTE_0 src1_sel:DWORD
	s_mov_b64 s[4:5], 0
                                        ; implicit-def: $sgpr10
	s_and_saveexec_b64 s[8:9], s[6:7]
	s_xor_b64 s[6:7], exec, s[8:9]
	s_cbranch_execnz .LBB6_3429
; %bb.1381:
	s_or_saveexec_b64 s[6:7], s[6:7]
	v_mov_b32_e32 v11, s10
	s_xor_b64 exec, exec, s[6:7]
	s_cbranch_execnz .LBB6_3432
.LBB6_1382:
	s_or_b64 exec, exec, s[6:7]
	s_and_saveexec_b64 s[6:7], s[4:5]
	s_cbranch_execz .LBB6_1384
.LBB6_1383:
	v_and_b32_e32 v11, 7, v13
	v_ffbh_u32_e32 v14, v11
	v_min_u32_e32 v14, 32, v14
	v_lshrrev_b16_e32 v12, 3, v13
	v_subrev_u32_e32 v15, 28, v14
	v_and_b32_e32 v12, 15, v12
	v_lshlrev_b32_e32 v15, v15, v13
	v_sub_u32_e32 v14, 29, v14
	v_and_b32_e32 v15, 7, v15
	v_cmp_eq_u16_e32 vcc, 0, v12
	v_cndmask_b32_e32 v11, v11, v15, vcc
	v_cndmask_b32_e32 v12, v12, v14, vcc
	v_lshlrev_b32_e32 v14, 24, v13
	v_mov_b32_e32 v15, 0x3b800000
	v_lshlrev_b32_e32 v11, 20, v11
	v_and_b32_e32 v14, 0x80000000, v14
	v_lshl_add_u32 v12, v12, 23, v15
	v_or3_b32 v11, v14, v12, v11
.LBB6_1384:
	s_or_b64 exec, exec, s[6:7]
	s_nop 0
	v_mfma_f32_16x16x4f32 a[0:3], v10, v11, a[0:3]
	v_lshrrev_b32_e32 v11, 8, v17
	s_movk_i32 s4, 0x7f
	v_cmp_gt_i16_sdwa s[6:7], v11, s4 src0_sel:BYTE_0 src1_sel:DWORD
	s_mov_b64 s[4:5], 0
                                        ; implicit-def: $sgpr10
	s_and_saveexec_b64 s[8:9], s[6:7]
	s_xor_b64 s[6:7], exec, s[8:9]
	s_cbranch_execnz .LBB6_3433
; %bb.1385:
	s_or_saveexec_b64 s[6:7], s[6:7]
	v_mov_b32_e32 v10, s10
	s_xor_b64 exec, exec, s[6:7]
	s_cbranch_execnz .LBB6_3436
.LBB6_1386:
	s_or_b64 exec, exec, s[6:7]
	s_and_saveexec_b64 s[6:7], s[4:5]
	s_cbranch_execz .LBB6_1388
.LBB6_1387:
	v_bfe_u32 v10, v17, 8, 3
	v_ffbh_u32_e32 v14, v10
	v_min_u32_e32 v14, 32, v14
	v_lshrrev_b16_e32 v12, 3, v11
	v_subrev_u32_e32 v15, 28, v14
	v_and_b32_e32 v12, 15, v12
	v_lshlrev_b32_e32 v11, v15, v11
	v_sub_u32_e32 v14, 29, v14
	v_and_b32_e32 v11, 7, v11
	v_cmp_eq_u16_e32 vcc, 0, v12
	v_cndmask_b32_e32 v10, v10, v11, vcc
	v_cndmask_b32_e32 v11, v12, v14, vcc
	v_lshlrev_b32_e32 v12, 16, v17
	v_mov_b32_e32 v14, 0x3b800000
	v_lshlrev_b32_e32 v10, 20, v10
	v_and_b32_e32 v12, 0x80000000, v12
	v_lshl_add_u32 v11, v11, 23, v14
	v_or3_b32 v10, v12, v11, v10
.LBB6_1388:
	s_or_b64 exec, exec, s[6:7]
	v_lshrrev_b32_e32 v11, 8, v13
	s_movk_i32 s4, 0x7f
	v_cmp_gt_i16_sdwa s[6:7], v11, s4 src0_sel:BYTE_0 src1_sel:DWORD
	s_mov_b64 s[4:5], 0
                                        ; implicit-def: $sgpr10
	s_and_saveexec_b64 s[8:9], s[6:7]
	s_xor_b64 s[6:7], exec, s[8:9]
	s_cbranch_execnz .LBB6_3437
; %bb.1389:
	s_or_saveexec_b64 s[6:7], s[6:7]
	v_mov_b32_e32 v12, s10
	s_xor_b64 exec, exec, s[6:7]
	s_cbranch_execnz .LBB6_3440
.LBB6_1390:
	s_or_b64 exec, exec, s[6:7]
	s_and_saveexec_b64 s[6:7], s[4:5]
	s_cbranch_execz .LBB6_1392
.LBB6_1391:
	v_bfe_u32 v12, v13, 8, 3
	v_ffbh_u32_e32 v15, v12
	v_min_u32_e32 v15, 32, v15
	v_lshrrev_b16_e32 v14, 3, v11
	v_subrev_u32_e32 v16, 28, v15
	v_and_b32_e32 v14, 15, v14
	v_lshlrev_b32_e32 v11, v16, v11
	v_sub_u32_e32 v15, 29, v15
	v_and_b32_e32 v11, 7, v11
	v_cmp_eq_u16_e32 vcc, 0, v14
	v_cndmask_b32_e32 v11, v12, v11, vcc
	v_cndmask_b32_e32 v12, v14, v15, vcc
	v_lshlrev_b32_e32 v14, 16, v13
	v_mov_b32_e32 v15, 0x3b800000
	v_lshlrev_b32_e32 v11, 20, v11
	v_and_b32_e32 v14, 0x80000000, v14
	v_lshl_add_u32 v12, v12, 23, v15
	v_or3_b32 v12, v14, v12, v11
.LBB6_1392:
	s_or_b64 exec, exec, s[6:7]
	s_nop 0
	v_mfma_f32_16x16x4f32 a[0:3], v10, v12, a[0:3]
	s_movk_i32 s4, 0xff
	v_and_b32_sdwa v11, v17, s4 dst_sel:DWORD dst_unused:UNUSED_PAD src0_sel:WORD_1 src1_sel:DWORD
	s_movk_i32 s4, 0x7f
	v_cmp_lt_i16_e32 vcc, s4, v11
	s_mov_b64 s[4:5], 0
                                        ; implicit-def: $sgpr10
	s_and_saveexec_b64 s[6:7], vcc
	s_xor_b64 s[6:7], exec, s[6:7]
	s_cbranch_execnz .LBB6_3441
; %bb.1393:
	s_or_saveexec_b64 s[6:7], s[6:7]
	v_mov_b32_e32 v10, s10
	s_xor_b64 exec, exec, s[6:7]
	s_cbranch_execnz .LBB6_3444
.LBB6_1394:
	s_or_b64 exec, exec, s[6:7]
	s_and_saveexec_b64 s[6:7], s[4:5]
	s_cbranch_execz .LBB6_1396
.LBB6_1395:
	v_bfe_u32 v10, v17, 16, 3
	v_ffbh_u32_e32 v14, v10
	v_min_u32_e32 v14, 32, v14
	v_lshrrev_b32_e32 v11, 19, v17
	v_subrev_u32_e32 v15, 28, v14
	v_and_b32_e32 v11, 15, v11
	v_lshlrev_b32_sdwa v15, v15, v17 dst_sel:DWORD dst_unused:UNUSED_PAD src0_sel:DWORD src1_sel:WORD_1
	v_bfe_u32 v12, v17, 19, 4
	v_sub_u32_e32 v14, 29, v14
	v_and_b32_e32 v15, 7, v15
	v_cmp_eq_u16_e32 vcc, 0, v11
	v_cndmask_b32_e32 v10, v10, v15, vcc
	v_cndmask_b32_e32 v11, v12, v14, vcc
	v_lshlrev_b32_e32 v12, 8, v17
	v_mov_b32_e32 v14, 0x3b800000
	v_lshlrev_b32_e32 v10, 20, v10
	v_and_b32_e32 v12, 0x80000000, v12
	v_lshl_add_u32 v11, v11, 23, v14
	v_or3_b32 v10, v12, v11, v10
.LBB6_1396:
	s_or_b64 exec, exec, s[6:7]
	s_movk_i32 s4, 0xff
	v_and_b32_sdwa v11, v13, s4 dst_sel:DWORD dst_unused:UNUSED_PAD src0_sel:WORD_1 src1_sel:DWORD
	s_movk_i32 s4, 0x7f
	v_cmp_lt_i16_e32 vcc, s4, v11
	s_mov_b64 s[4:5], 0
                                        ; implicit-def: $sgpr10
	s_and_saveexec_b64 s[6:7], vcc
	s_xor_b64 s[6:7], exec, s[6:7]
	s_cbranch_execnz .LBB6_3445
; %bb.1397:
	s_or_saveexec_b64 s[6:7], s[6:7]
	v_mov_b32_e32 v12, s10
	s_xor_b64 exec, exec, s[6:7]
	s_cbranch_execnz .LBB6_3448
.LBB6_1398:
	s_or_b64 exec, exec, s[6:7]
	s_and_saveexec_b64 s[6:7], s[4:5]
	s_cbranch_execz .LBB6_1400
.LBB6_1399:
	v_bfe_u32 v11, v13, 16, 3
	v_ffbh_u32_e32 v15, v11
	v_min_u32_e32 v15, 32, v15
	v_lshrrev_b32_e32 v12, 19, v13
	v_subrev_u32_e32 v16, 28, v15
	v_and_b32_e32 v12, 15, v12
	v_lshlrev_b32_sdwa v16, v16, v13 dst_sel:DWORD dst_unused:UNUSED_PAD src0_sel:DWORD src1_sel:WORD_1
	v_bfe_u32 v14, v13, 19, 4
	v_sub_u32_e32 v15, 29, v15
	v_and_b32_e32 v16, 7, v16
	v_cmp_eq_u16_e32 vcc, 0, v12
	v_cndmask_b32_e32 v11, v11, v16, vcc
	v_cndmask_b32_e32 v12, v14, v15, vcc
	v_lshlrev_b32_e32 v14, 8, v13
	v_mov_b32_e32 v15, 0x3b800000
	v_lshlrev_b32_e32 v11, 20, v11
	v_and_b32_e32 v14, 0x80000000, v14
	v_lshl_add_u32 v12, v12, 23, v15
	v_or3_b32 v12, v14, v12, v11
.LBB6_1400:
	s_or_b64 exec, exec, s[6:7]
	s_nop 0
	v_mfma_f32_16x16x4f32 a[0:3], v10, v12, a[0:3]
	s_movk_i32 s4, 0x7f
	v_cmp_gt_i16_sdwa s[6:7], v17, s4 src0_sel:BYTE_3 src1_sel:DWORD
	s_mov_b64 s[4:5], 0
                                        ; implicit-def: $sgpr10
	s_and_saveexec_b64 s[8:9], s[6:7]
	s_xor_b64 s[6:7], exec, s[8:9]
	s_cbranch_execnz .LBB6_3449
; %bb.1401:
	s_or_saveexec_b64 s[6:7], s[6:7]
	v_mov_b32_e32 v10, s10
	s_xor_b64 exec, exec, s[6:7]
	s_cbranch_execnz .LBB6_3452
.LBB6_1402:
	s_or_b64 exec, exec, s[6:7]
	s_and_saveexec_b64 s[6:7], s[4:5]
	s_cbranch_execz .LBB6_1404
.LBB6_1403:
	v_bfe_u32 v10, v17, 24, 3
	v_ffbh_u32_e32 v15, v10
	v_min_u32_e32 v15, 32, v15
	v_lshrrev_b32_e32 v12, 27, v17
	v_subrev_u32_e32 v16, 28, v15
	v_and_b32_e32 v12, 15, v12
	v_lshlrev_b32_sdwa v16, v16, v17 dst_sel:DWORD dst_unused:UNUSED_PAD src0_sel:DWORD src1_sel:BYTE_3
	v_bfe_u32 v14, v17, 27, 4
	v_sub_u32_e32 v15, 29, v15
	v_and_b32_e32 v16, 7, v16
	v_cmp_eq_u16_e32 vcc, 0, v12
	v_cndmask_b32_e32 v10, v10, v16, vcc
	v_cndmask_b32_e32 v12, v14, v15, vcc
	v_mov_b32_e32 v14, 0x3b800000
	v_and_b32_e32 v11, 0x80000000, v17
	v_lshlrev_b32_e32 v10, 20, v10
	v_lshl_add_u32 v12, v12, 23, v14
	v_or3_b32 v10, v11, v12, v10
.LBB6_1404:
	s_or_b64 exec, exec, s[6:7]
	s_movk_i32 s4, 0x7f
	v_cmp_gt_i16_sdwa s[6:7], v13, s4 src0_sel:BYTE_3 src1_sel:DWORD
	s_mov_b64 s[4:5], 0
                                        ; implicit-def: $sgpr10
	s_and_saveexec_b64 s[8:9], s[6:7]
	s_xor_b64 s[6:7], exec, s[8:9]
	s_cbranch_execnz .LBB6_3453
; %bb.1405:
	s_or_saveexec_b64 s[6:7], s[6:7]
	v_mov_b32_e32 v11, s10
	s_xor_b64 exec, exec, s[6:7]
	s_cbranch_execnz .LBB6_3456
.LBB6_1406:
	s_or_b64 exec, exec, s[6:7]
	s_and_saveexec_b64 s[6:7], s[4:5]
	s_cbranch_execz .LBB6_1408
.LBB6_1407:
	v_bfe_u32 v11, v13, 24, 3
	v_ffbh_u32_e32 v16, v11
	v_min_u32_e32 v16, 32, v16
	v_lshrrev_b32_e32 v14, 27, v13
	v_subrev_u32_e32 v17, 28, v16
	v_and_b32_e32 v12, 0x80000000, v13
	v_and_b32_e32 v14, 15, v14
	v_bfe_u32 v15, v13, 27, 4
	v_lshlrev_b32_sdwa v13, v17, v13 dst_sel:DWORD dst_unused:UNUSED_PAD src0_sel:DWORD src1_sel:BYTE_3
	v_sub_u32_e32 v16, 29, v16
	v_and_b32_e32 v13, 7, v13
	v_cmp_eq_u16_e32 vcc, 0, v14
	v_cndmask_b32_e32 v11, v11, v13, vcc
	v_cndmask_b32_e32 v13, v15, v16, vcc
	v_mov_b32_e32 v14, 0x3b800000
	v_lshlrev_b32_e32 v11, 20, v11
	v_lshl_add_u32 v13, v13, 23, v14
	v_or3_b32 v11, v12, v13, v11
.LBB6_1408:
	s_or_b64 exec, exec, s[6:7]
	s_nop 0
	v_mfma_f32_16x16x4f32 a[0:3], v10, v11, a[0:3]
	s_movk_i32 s4, 0x7f
	v_cmp_gt_i16_sdwa s[6:7], v6, s4 src0_sel:BYTE_0 src1_sel:DWORD
	s_mov_b64 s[4:5], 0
                                        ; implicit-def: $sgpr10
	s_and_saveexec_b64 s[8:9], s[6:7]
	s_xor_b64 s[6:7], exec, s[8:9]
	s_cbranch_execnz .LBB6_3457
; %bb.1409:
	s_or_saveexec_b64 s[6:7], s[6:7]
	v_mov_b32_e32 v10, s10
	s_xor_b64 exec, exec, s[6:7]
	s_cbranch_execnz .LBB6_3460
.LBB6_1410:
	s_or_b64 exec, exec, s[6:7]
	s_and_saveexec_b64 s[6:7], s[4:5]
	s_cbranch_execz .LBB6_1412
.LBB6_1411:
	v_and_b32_e32 v10, 7, v6
	v_ffbh_u32_e32 v12, v10
	v_min_u32_e32 v12, 32, v12
	v_lshrrev_b16_e32 v11, 3, v6
	v_subrev_u32_e32 v13, 28, v12
	v_and_b32_e32 v11, 15, v11
	v_lshlrev_b32_e32 v13, v13, v6
	v_sub_u32_e32 v12, 29, v12
	v_and_b32_e32 v13, 7, v13
	v_cmp_eq_u16_e32 vcc, 0, v11
	v_cndmask_b32_e32 v10, v10, v13, vcc
	v_cndmask_b32_e32 v11, v11, v12, vcc
	v_lshlrev_b32_e32 v12, 24, v6
	v_mov_b32_e32 v13, 0x3b800000
	v_lshlrev_b32_e32 v10, 20, v10
	v_and_b32_e32 v12, 0x80000000, v12
	v_lshl_add_u32 v11, v11, 23, v13
	v_or3_b32 v10, v12, v11, v10
.LBB6_1412:
	s_or_b64 exec, exec, s[6:7]
	s_movk_i32 s4, 0x7f
	v_cmp_gt_i16_sdwa s[6:7], v2, s4 src0_sel:BYTE_0 src1_sel:DWORD
	s_mov_b64 s[4:5], 0
                                        ; implicit-def: $sgpr10
	s_and_saveexec_b64 s[8:9], s[6:7]
	s_xor_b64 s[6:7], exec, s[8:9]
	s_cbranch_execnz .LBB6_3461
; %bb.1413:
	s_or_saveexec_b64 s[6:7], s[6:7]
	v_mov_b32_e32 v11, s10
	s_xor_b64 exec, exec, s[6:7]
	s_cbranch_execnz .LBB6_3464
.LBB6_1414:
	s_or_b64 exec, exec, s[6:7]
	s_and_saveexec_b64 s[6:7], s[4:5]
	s_cbranch_execz .LBB6_1416
.LBB6_1415:
	v_and_b32_e32 v11, 7, v2
	v_ffbh_u32_e32 v13, v11
	v_min_u32_e32 v13, 32, v13
	v_lshrrev_b16_e32 v12, 3, v2
	v_subrev_u32_e32 v14, 28, v13
	v_and_b32_e32 v12, 15, v12
	v_lshlrev_b32_e32 v14, v14, v2
	v_sub_u32_e32 v13, 29, v13
	v_and_b32_e32 v14, 7, v14
	v_cmp_eq_u16_e32 vcc, 0, v12
	v_cndmask_b32_e32 v11, v11, v14, vcc
	v_cndmask_b32_e32 v12, v12, v13, vcc
	v_lshlrev_b32_e32 v13, 24, v2
	v_mov_b32_e32 v14, 0x3b800000
	v_lshlrev_b32_e32 v11, 20, v11
	v_and_b32_e32 v13, 0x80000000, v13
	v_lshl_add_u32 v12, v12, 23, v14
	v_or3_b32 v11, v13, v12, v11
.LBB6_1416:
	s_or_b64 exec, exec, s[6:7]
	s_nop 0
	v_mfma_f32_16x16x4f32 a[0:3], v10, v11, a[0:3]
	v_lshrrev_b32_e32 v11, 8, v6
	s_movk_i32 s4, 0x7f
	v_cmp_gt_i16_sdwa s[6:7], v11, s4 src0_sel:BYTE_0 src1_sel:DWORD
	s_mov_b64 s[4:5], 0
                                        ; implicit-def: $sgpr10
	s_and_saveexec_b64 s[8:9], s[6:7]
	s_xor_b64 s[6:7], exec, s[8:9]
	s_cbranch_execnz .LBB6_3465
; %bb.1417:
	s_or_saveexec_b64 s[6:7], s[6:7]
	v_mov_b32_e32 v10, s10
	s_xor_b64 exec, exec, s[6:7]
	s_cbranch_execnz .LBB6_3468
.LBB6_1418:
	s_or_b64 exec, exec, s[6:7]
	s_and_saveexec_b64 s[6:7], s[4:5]
	s_cbranch_execz .LBB6_1420
.LBB6_1419:
	v_bfe_u32 v10, v6, 8, 3
	v_ffbh_u32_e32 v13, v10
	v_min_u32_e32 v13, 32, v13
	v_lshrrev_b16_e32 v12, 3, v11
	v_subrev_u32_e32 v14, 28, v13
	v_and_b32_e32 v12, 15, v12
	v_lshlrev_b32_e32 v11, v14, v11
	v_sub_u32_e32 v13, 29, v13
	v_and_b32_e32 v11, 7, v11
	v_cmp_eq_u16_e32 vcc, 0, v12
	v_cndmask_b32_e32 v10, v10, v11, vcc
	v_cndmask_b32_e32 v11, v12, v13, vcc
	v_lshlrev_b32_e32 v12, 16, v6
	v_mov_b32_e32 v13, 0x3b800000
	v_lshlrev_b32_e32 v10, 20, v10
	v_and_b32_e32 v12, 0x80000000, v12
	v_lshl_add_u32 v11, v11, 23, v13
	v_or3_b32 v10, v12, v11, v10
.LBB6_1420:
	s_or_b64 exec, exec, s[6:7]
	v_lshrrev_b32_e32 v11, 8, v2
	s_movk_i32 s4, 0x7f
	v_cmp_gt_i16_sdwa s[6:7], v11, s4 src0_sel:BYTE_0 src1_sel:DWORD
	s_mov_b64 s[4:5], 0
                                        ; implicit-def: $sgpr10
	s_and_saveexec_b64 s[8:9], s[6:7]
	s_xor_b64 s[6:7], exec, s[8:9]
	s_cbranch_execnz .LBB6_3469
; %bb.1421:
	s_or_saveexec_b64 s[6:7], s[6:7]
	v_mov_b32_e32 v12, s10
	s_xor_b64 exec, exec, s[6:7]
	s_cbranch_execnz .LBB6_3472
.LBB6_1422:
	s_or_b64 exec, exec, s[6:7]
	s_and_saveexec_b64 s[6:7], s[4:5]
	s_cbranch_execz .LBB6_1424
.LBB6_1423:
	v_bfe_u32 v12, v2, 8, 3
	v_ffbh_u32_e32 v14, v12
	v_min_u32_e32 v14, 32, v14
	v_lshrrev_b16_e32 v13, 3, v11
	v_subrev_u32_e32 v15, 28, v14
	v_and_b32_e32 v13, 15, v13
	v_lshlrev_b32_e32 v11, v15, v11
	v_sub_u32_e32 v14, 29, v14
	v_and_b32_e32 v11, 7, v11
	v_cmp_eq_u16_e32 vcc, 0, v13
	v_cndmask_b32_e32 v11, v12, v11, vcc
	v_cndmask_b32_e32 v12, v13, v14, vcc
	v_lshlrev_b32_e32 v13, 16, v2
	v_mov_b32_e32 v14, 0x3b800000
	v_lshlrev_b32_e32 v11, 20, v11
	v_and_b32_e32 v13, 0x80000000, v13
	v_lshl_add_u32 v12, v12, 23, v14
	v_or3_b32 v12, v13, v12, v11
.LBB6_1424:
	s_or_b64 exec, exec, s[6:7]
	s_nop 0
	v_mfma_f32_16x16x4f32 a[0:3], v10, v12, a[0:3]
	s_movk_i32 s4, 0xff
	v_and_b32_sdwa v11, v6, s4 dst_sel:DWORD dst_unused:UNUSED_PAD src0_sel:WORD_1 src1_sel:DWORD
	s_movk_i32 s4, 0x7f
	v_cmp_lt_i16_e32 vcc, s4, v11
	s_mov_b64 s[4:5], 0
                                        ; implicit-def: $sgpr10
	s_and_saveexec_b64 s[6:7], vcc
	s_xor_b64 s[6:7], exec, s[6:7]
	s_cbranch_execnz .LBB6_3473
; %bb.1425:
	s_or_saveexec_b64 s[6:7], s[6:7]
	v_mov_b32_e32 v10, s10
	s_xor_b64 exec, exec, s[6:7]
	s_cbranch_execnz .LBB6_3476
.LBB6_1426:
	s_or_b64 exec, exec, s[6:7]
	s_and_saveexec_b64 s[6:7], s[4:5]
	s_cbranch_execz .LBB6_1428
.LBB6_1427:
	v_bfe_u32 v10, v6, 16, 3
	v_ffbh_u32_e32 v13, v10
	v_min_u32_e32 v13, 32, v13
	v_lshrrev_b32_e32 v11, 19, v6
	v_subrev_u32_e32 v14, 28, v13
	v_and_b32_e32 v11, 15, v11
	v_lshlrev_b32_sdwa v14, v14, v6 dst_sel:DWORD dst_unused:UNUSED_PAD src0_sel:DWORD src1_sel:WORD_1
	v_bfe_u32 v12, v6, 19, 4
	v_sub_u32_e32 v13, 29, v13
	v_and_b32_e32 v14, 7, v14
	v_cmp_eq_u16_e32 vcc, 0, v11
	v_cndmask_b32_e32 v10, v10, v14, vcc
	v_cndmask_b32_e32 v11, v12, v13, vcc
	v_lshlrev_b32_e32 v12, 8, v6
	v_mov_b32_e32 v13, 0x3b800000
	v_lshlrev_b32_e32 v10, 20, v10
	v_and_b32_e32 v12, 0x80000000, v12
	v_lshl_add_u32 v11, v11, 23, v13
	v_or3_b32 v10, v12, v11, v10
.LBB6_1428:
	s_or_b64 exec, exec, s[6:7]
	s_movk_i32 s4, 0xff
	v_and_b32_sdwa v11, v2, s4 dst_sel:DWORD dst_unused:UNUSED_PAD src0_sel:WORD_1 src1_sel:DWORD
	s_movk_i32 s4, 0x7f
	v_cmp_lt_i16_e32 vcc, s4, v11
	s_mov_b64 s[4:5], 0
                                        ; implicit-def: $sgpr10
	s_and_saveexec_b64 s[6:7], vcc
	s_xor_b64 s[6:7], exec, s[6:7]
	s_cbranch_execnz .LBB6_3477
; %bb.1429:
	s_or_saveexec_b64 s[6:7], s[6:7]
	v_mov_b32_e32 v12, s10
	s_xor_b64 exec, exec, s[6:7]
	s_cbranch_execnz .LBB6_3480
.LBB6_1430:
	s_or_b64 exec, exec, s[6:7]
	s_and_saveexec_b64 s[6:7], s[4:5]
	s_cbranch_execz .LBB6_1432
.LBB6_1431:
	v_bfe_u32 v11, v2, 16, 3
	v_ffbh_u32_e32 v14, v11
	v_min_u32_e32 v14, 32, v14
	v_lshrrev_b32_e32 v12, 19, v2
	v_subrev_u32_e32 v15, 28, v14
	v_and_b32_e32 v12, 15, v12
	v_lshlrev_b32_sdwa v15, v15, v2 dst_sel:DWORD dst_unused:UNUSED_PAD src0_sel:DWORD src1_sel:WORD_1
	v_bfe_u32 v13, v2, 19, 4
	v_sub_u32_e32 v14, 29, v14
	v_and_b32_e32 v15, 7, v15
	v_cmp_eq_u16_e32 vcc, 0, v12
	v_cndmask_b32_e32 v11, v11, v15, vcc
	v_cndmask_b32_e32 v12, v13, v14, vcc
	v_lshlrev_b32_e32 v13, 8, v2
	v_mov_b32_e32 v14, 0x3b800000
	v_lshlrev_b32_e32 v11, 20, v11
	v_and_b32_e32 v13, 0x80000000, v13
	v_lshl_add_u32 v12, v12, 23, v14
	v_or3_b32 v12, v13, v12, v11
.LBB6_1432:
	s_or_b64 exec, exec, s[6:7]
	s_nop 0
	v_mfma_f32_16x16x4f32 a[0:3], v10, v12, a[0:3]
	s_movk_i32 s4, 0x7f
	v_cmp_gt_i16_sdwa s[6:7], v6, s4 src0_sel:BYTE_3 src1_sel:DWORD
	s_mov_b64 s[4:5], 0
                                        ; implicit-def: $sgpr10
	s_and_saveexec_b64 s[8:9], s[6:7]
	s_xor_b64 s[6:7], exec, s[8:9]
	s_cbranch_execnz .LBB6_3481
; %bb.1433:
	s_or_saveexec_b64 s[6:7], s[6:7]
	v_mov_b32_e32 v10, s10
	s_xor_b64 exec, exec, s[6:7]
	s_cbranch_execnz .LBB6_3484
.LBB6_1434:
	s_or_b64 exec, exec, s[6:7]
	s_and_saveexec_b64 s[6:7], s[4:5]
	s_cbranch_execz .LBB6_1436
.LBB6_1435:
	v_bfe_u32 v10, v6, 24, 3
	v_ffbh_u32_e32 v14, v10
	v_min_u32_e32 v14, 32, v14
	v_lshrrev_b32_e32 v12, 27, v6
	v_subrev_u32_e32 v15, 28, v14
	v_and_b32_e32 v11, 0x80000000, v6
	v_and_b32_e32 v12, 15, v12
	v_bfe_u32 v13, v6, 27, 4
	v_lshlrev_b32_sdwa v6, v15, v6 dst_sel:DWORD dst_unused:UNUSED_PAD src0_sel:DWORD src1_sel:BYTE_3
	v_sub_u32_e32 v14, 29, v14
	v_and_b32_e32 v6, 7, v6
	v_cmp_eq_u16_e32 vcc, 0, v12
	v_cndmask_b32_e32 v6, v10, v6, vcc
	v_cndmask_b32_e32 v10, v13, v14, vcc
	v_mov_b32_e32 v12, 0x3b800000
	v_lshlrev_b32_e32 v6, 20, v6
	v_lshl_add_u32 v10, v10, 23, v12
	v_or3_b32 v10, v11, v10, v6
.LBB6_1436:
	s_or_b64 exec, exec, s[6:7]
	s_movk_i32 s4, 0x7f
	v_cmp_gt_i16_sdwa s[6:7], v2, s4 src0_sel:BYTE_3 src1_sel:DWORD
	s_mov_b64 s[4:5], 0
                                        ; implicit-def: $sgpr10
	s_and_saveexec_b64 s[8:9], s[6:7]
	s_xor_b64 s[6:7], exec, s[8:9]
	s_cbranch_execnz .LBB6_3485
; %bb.1437:
	s_or_saveexec_b64 s[6:7], s[6:7]
	v_mov_b32_e32 v6, s10
	s_xor_b64 exec, exec, s[6:7]
	s_cbranch_execnz .LBB6_3488
.LBB6_1438:
	s_or_b64 exec, exec, s[6:7]
	s_and_saveexec_b64 s[6:7], s[4:5]
	s_cbranch_execz .LBB6_1440
.LBB6_1439:
	v_bfe_u32 v6, v2, 24, 3
	v_ffbh_u32_e32 v14, v6
	v_min_u32_e32 v14, 32, v14
	v_lshrrev_b32_e32 v12, 27, v2
	v_subrev_u32_e32 v15, 28, v14
	v_and_b32_e32 v11, 0x80000000, v2
	v_and_b32_e32 v12, 15, v12
	v_bfe_u32 v13, v2, 27, 4
	v_lshlrev_b32_sdwa v2, v15, v2 dst_sel:DWORD dst_unused:UNUSED_PAD src0_sel:DWORD src1_sel:BYTE_3
	v_sub_u32_e32 v14, 29, v14
	v_and_b32_e32 v2, 7, v2
	v_cmp_eq_u16_e32 vcc, 0, v12
	v_cndmask_b32_e32 v2, v6, v2, vcc
	v_cndmask_b32_e32 v6, v13, v14, vcc
	v_mov_b32_e32 v12, 0x3b800000
	v_lshlrev_b32_e32 v2, 20, v2
	v_lshl_add_u32 v6, v6, 23, v12
	v_or3_b32 v6, v11, v6, v2
.LBB6_1440:
	s_or_b64 exec, exec, s[6:7]
	s_nop 0
	v_mfma_f32_16x16x4f32 a[0:3], v10, v6, a[0:3]
	s_movk_i32 s4, 0x7f
	v_cmp_gt_i16_sdwa s[6:7], v7, s4 src0_sel:BYTE_0 src1_sel:DWORD
	s_mov_b64 s[4:5], 0
                                        ; implicit-def: $sgpr10
	s_and_saveexec_b64 s[8:9], s[6:7]
	s_xor_b64 s[6:7], exec, s[8:9]
	s_cbranch_execnz .LBB6_3489
; %bb.1441:
	s_or_saveexec_b64 s[6:7], s[6:7]
	v_mov_b32_e32 v2, s10
	s_xor_b64 exec, exec, s[6:7]
	s_cbranch_execnz .LBB6_3492
.LBB6_1442:
	s_or_b64 exec, exec, s[6:7]
	s_and_saveexec_b64 s[6:7], s[4:5]
	s_cbranch_execz .LBB6_1444
.LBB6_1443:
	v_and_b32_e32 v2, 7, v7
	v_ffbh_u32_e32 v10, v2
	v_min_u32_e32 v10, 32, v10
	v_lshrrev_b16_e32 v6, 3, v7
	v_subrev_u32_e32 v11, 28, v10
	v_and_b32_e32 v6, 15, v6
	v_lshlrev_b32_e32 v11, v11, v7
	v_sub_u32_e32 v10, 29, v10
	v_and_b32_e32 v11, 7, v11
	v_cmp_eq_u16_e32 vcc, 0, v6
	v_cndmask_b32_e32 v2, v2, v11, vcc
	v_cndmask_b32_e32 v6, v6, v10, vcc
	v_lshlrev_b32_e32 v10, 24, v7
	v_mov_b32_e32 v11, 0x3b800000
	v_lshlrev_b32_e32 v2, 20, v2
	v_and_b32_e32 v10, 0x80000000, v10
	v_lshl_add_u32 v6, v6, 23, v11
	v_or3_b32 v2, v10, v6, v2
.LBB6_1444:
	s_or_b64 exec, exec, s[6:7]
	s_movk_i32 s4, 0x7f
	v_cmp_gt_i16_sdwa s[6:7], v3, s4 src0_sel:BYTE_0 src1_sel:DWORD
	s_mov_b64 s[4:5], 0
                                        ; implicit-def: $sgpr10
	s_and_saveexec_b64 s[8:9], s[6:7]
	s_xor_b64 s[6:7], exec, s[8:9]
	s_cbranch_execnz .LBB6_3493
; %bb.1445:
	s_or_saveexec_b64 s[6:7], s[6:7]
	v_mov_b32_e32 v6, s10
	s_xor_b64 exec, exec, s[6:7]
	s_cbranch_execnz .LBB6_3496
.LBB6_1446:
	s_or_b64 exec, exec, s[6:7]
	s_and_saveexec_b64 s[6:7], s[4:5]
	s_cbranch_execz .LBB6_1448
.LBB6_1447:
	v_and_b32_e32 v6, 7, v3
	v_ffbh_u32_e32 v11, v6
	v_min_u32_e32 v11, 32, v11
	v_lshrrev_b16_e32 v10, 3, v3
	v_subrev_u32_e32 v12, 28, v11
	v_and_b32_e32 v10, 15, v10
	v_lshlrev_b32_e32 v12, v12, v3
	v_sub_u32_e32 v11, 29, v11
	v_and_b32_e32 v12, 7, v12
	v_cmp_eq_u16_e32 vcc, 0, v10
	v_cndmask_b32_e32 v6, v6, v12, vcc
	v_cndmask_b32_e32 v10, v10, v11, vcc
	v_lshlrev_b32_e32 v11, 24, v3
	v_mov_b32_e32 v12, 0x3b800000
	v_lshlrev_b32_e32 v6, 20, v6
	v_and_b32_e32 v11, 0x80000000, v11
	v_lshl_add_u32 v10, v10, 23, v12
	v_or3_b32 v6, v11, v10, v6
.LBB6_1448:
	s_or_b64 exec, exec, s[6:7]
	s_nop 0
	v_mfma_f32_16x16x4f32 a[0:3], v2, v6, a[0:3]
	v_lshrrev_b32_e32 v6, 8, v7
	s_movk_i32 s4, 0x7f
	v_cmp_gt_i16_sdwa s[6:7], v6, s4 src0_sel:BYTE_0 src1_sel:DWORD
	s_mov_b64 s[4:5], 0
                                        ; implicit-def: $sgpr10
	s_and_saveexec_b64 s[8:9], s[6:7]
	s_xor_b64 s[6:7], exec, s[8:9]
	s_cbranch_execnz .LBB6_3497
; %bb.1449:
	s_or_saveexec_b64 s[6:7], s[6:7]
	v_mov_b32_e32 v2, s10
	s_xor_b64 exec, exec, s[6:7]
	s_cbranch_execnz .LBB6_3500
.LBB6_1450:
	s_or_b64 exec, exec, s[6:7]
	s_and_saveexec_b64 s[6:7], s[4:5]
	s_cbranch_execz .LBB6_1452
.LBB6_1451:
	v_bfe_u32 v2, v7, 8, 3
	v_ffbh_u32_e32 v11, v2
	v_min_u32_e32 v11, 32, v11
	v_lshrrev_b16_e32 v10, 3, v6
	v_subrev_u32_e32 v12, 28, v11
	v_and_b32_e32 v10, 15, v10
	v_lshlrev_b32_e32 v6, v12, v6
	v_sub_u32_e32 v11, 29, v11
	v_and_b32_e32 v6, 7, v6
	v_cmp_eq_u16_e32 vcc, 0, v10
	v_cndmask_b32_e32 v2, v2, v6, vcc
	v_cndmask_b32_e32 v6, v10, v11, vcc
	v_lshlrev_b32_e32 v10, 16, v7
	v_mov_b32_e32 v11, 0x3b800000
	v_lshlrev_b32_e32 v2, 20, v2
	v_and_b32_e32 v10, 0x80000000, v10
	v_lshl_add_u32 v6, v6, 23, v11
	v_or3_b32 v2, v10, v6, v2
.LBB6_1452:
	s_or_b64 exec, exec, s[6:7]
	v_lshrrev_b32_e32 v6, 8, v3
	s_movk_i32 s4, 0x7f
	v_cmp_gt_i16_sdwa s[6:7], v6, s4 src0_sel:BYTE_0 src1_sel:DWORD
	s_mov_b64 s[4:5], 0
                                        ; implicit-def: $sgpr10
	s_and_saveexec_b64 s[8:9], s[6:7]
	s_xor_b64 s[6:7], exec, s[8:9]
	s_cbranch_execnz .LBB6_3501
; %bb.1453:
	s_or_saveexec_b64 s[6:7], s[6:7]
	v_mov_b32_e32 v10, s10
	s_xor_b64 exec, exec, s[6:7]
	s_cbranch_execnz .LBB6_3504
.LBB6_1454:
	s_or_b64 exec, exec, s[6:7]
	s_and_saveexec_b64 s[6:7], s[4:5]
	s_cbranch_execz .LBB6_1456
.LBB6_1455:
	v_bfe_u32 v10, v3, 8, 3
	v_ffbh_u32_e32 v12, v10
	v_min_u32_e32 v12, 32, v12
	v_lshrrev_b16_e32 v11, 3, v6
	v_subrev_u32_e32 v13, 28, v12
	v_and_b32_e32 v11, 15, v11
	v_lshlrev_b32_e32 v6, v13, v6
	v_sub_u32_e32 v12, 29, v12
	v_and_b32_e32 v6, 7, v6
	v_cmp_eq_u16_e32 vcc, 0, v11
	v_cndmask_b32_e32 v6, v10, v6, vcc
	v_cndmask_b32_e32 v10, v11, v12, vcc
	v_lshlrev_b32_e32 v11, 16, v3
	v_mov_b32_e32 v12, 0x3b800000
	v_lshlrev_b32_e32 v6, 20, v6
	v_and_b32_e32 v11, 0x80000000, v11
	v_lshl_add_u32 v10, v10, 23, v12
	v_or3_b32 v10, v11, v10, v6
.LBB6_1456:
	s_or_b64 exec, exec, s[6:7]
	s_nop 0
	v_mfma_f32_16x16x4f32 a[0:3], v2, v10, a[0:3]
	s_movk_i32 s4, 0xff
	v_and_b32_sdwa v6, v7, s4 dst_sel:DWORD dst_unused:UNUSED_PAD src0_sel:WORD_1 src1_sel:DWORD
	s_movk_i32 s4, 0x7f
	v_cmp_lt_i16_e32 vcc, s4, v6
	s_mov_b64 s[4:5], 0
                                        ; implicit-def: $sgpr10
	s_and_saveexec_b64 s[6:7], vcc
	s_xor_b64 s[6:7], exec, s[6:7]
	s_cbranch_execnz .LBB6_3505
; %bb.1457:
	s_or_saveexec_b64 s[6:7], s[6:7]
	v_mov_b32_e32 v2, s10
	s_xor_b64 exec, exec, s[6:7]
	s_cbranch_execnz .LBB6_3508
.LBB6_1458:
	s_or_b64 exec, exec, s[6:7]
	s_and_saveexec_b64 s[6:7], s[4:5]
	s_cbranch_execz .LBB6_1460
.LBB6_1459:
	v_bfe_u32 v2, v7, 16, 3
	v_ffbh_u32_e32 v11, v2
	v_min_u32_e32 v11, 32, v11
	v_lshrrev_b32_e32 v6, 19, v7
	v_subrev_u32_e32 v12, 28, v11
	v_and_b32_e32 v6, 15, v6
	v_lshlrev_b32_sdwa v12, v12, v7 dst_sel:DWORD dst_unused:UNUSED_PAD src0_sel:DWORD src1_sel:WORD_1
	v_bfe_u32 v10, v7, 19, 4
	v_sub_u32_e32 v11, 29, v11
	v_and_b32_e32 v12, 7, v12
	v_cmp_eq_u16_e32 vcc, 0, v6
	v_cndmask_b32_e32 v2, v2, v12, vcc
	v_cndmask_b32_e32 v6, v10, v11, vcc
	v_lshlrev_b32_e32 v10, 8, v7
	v_mov_b32_e32 v11, 0x3b800000
	v_lshlrev_b32_e32 v2, 20, v2
	v_and_b32_e32 v10, 0x80000000, v10
	v_lshl_add_u32 v6, v6, 23, v11
	v_or3_b32 v2, v10, v6, v2
.LBB6_1460:
	s_or_b64 exec, exec, s[6:7]
	s_movk_i32 s4, 0xff
	v_and_b32_sdwa v6, v3, s4 dst_sel:DWORD dst_unused:UNUSED_PAD src0_sel:WORD_1 src1_sel:DWORD
	s_movk_i32 s4, 0x7f
	v_cmp_lt_i16_e32 vcc, s4, v6
	s_mov_b64 s[4:5], 0
                                        ; implicit-def: $sgpr10
	s_and_saveexec_b64 s[6:7], vcc
	s_xor_b64 s[6:7], exec, s[6:7]
	s_cbranch_execnz .LBB6_3509
; %bb.1461:
	s_or_saveexec_b64 s[6:7], s[6:7]
	v_mov_b32_e32 v10, s10
	s_xor_b64 exec, exec, s[6:7]
	s_cbranch_execnz .LBB6_3512
.LBB6_1462:
	s_or_b64 exec, exec, s[6:7]
	s_and_saveexec_b64 s[6:7], s[4:5]
	s_cbranch_execz .LBB6_1464
.LBB6_1463:
	v_bfe_u32 v6, v3, 16, 3
	v_ffbh_u32_e32 v12, v6
	v_min_u32_e32 v12, 32, v12
	v_lshrrev_b32_e32 v10, 19, v3
	v_subrev_u32_e32 v13, 28, v12
	v_and_b32_e32 v10, 15, v10
	v_lshlrev_b32_sdwa v13, v13, v3 dst_sel:DWORD dst_unused:UNUSED_PAD src0_sel:DWORD src1_sel:WORD_1
	v_bfe_u32 v11, v3, 19, 4
	v_sub_u32_e32 v12, 29, v12
	v_and_b32_e32 v13, 7, v13
	v_cmp_eq_u16_e32 vcc, 0, v10
	v_cndmask_b32_e32 v6, v6, v13, vcc
	v_cndmask_b32_e32 v10, v11, v12, vcc
	v_lshlrev_b32_e32 v11, 8, v3
	v_mov_b32_e32 v12, 0x3b800000
	v_lshlrev_b32_e32 v6, 20, v6
	v_and_b32_e32 v11, 0x80000000, v11
	v_lshl_add_u32 v10, v10, 23, v12
	v_or3_b32 v10, v11, v10, v6
.LBB6_1464:
	s_or_b64 exec, exec, s[6:7]
	s_nop 0
	v_mfma_f32_16x16x4f32 a[0:3], v2, v10, a[0:3]
	s_movk_i32 s4, 0x7f
	v_cmp_gt_i16_sdwa s[6:7], v7, s4 src0_sel:BYTE_3 src1_sel:DWORD
	s_mov_b64 s[4:5], 0
                                        ; implicit-def: $sgpr10
	s_and_saveexec_b64 s[8:9], s[6:7]
	s_xor_b64 s[6:7], exec, s[8:9]
	s_cbranch_execnz .LBB6_3513
; %bb.1465:
	s_or_saveexec_b64 s[6:7], s[6:7]
	v_mov_b32_e32 v2, s10
	s_xor_b64 exec, exec, s[6:7]
	s_cbranch_execnz .LBB6_3516
.LBB6_1466:
	s_or_b64 exec, exec, s[6:7]
	s_and_saveexec_b64 s[6:7], s[4:5]
	s_cbranch_execz .LBB6_1468
.LBB6_1467:
	v_bfe_u32 v2, v7, 24, 3
	v_ffbh_u32_e32 v12, v2
	v_min_u32_e32 v12, 32, v12
	v_lshrrev_b32_e32 v10, 27, v7
	v_subrev_u32_e32 v13, 28, v12
	v_and_b32_e32 v6, 0x80000000, v7
	v_and_b32_e32 v10, 15, v10
	v_bfe_u32 v11, v7, 27, 4
	v_lshlrev_b32_sdwa v7, v13, v7 dst_sel:DWORD dst_unused:UNUSED_PAD src0_sel:DWORD src1_sel:BYTE_3
	v_sub_u32_e32 v12, 29, v12
	v_and_b32_e32 v7, 7, v7
	v_cmp_eq_u16_e32 vcc, 0, v10
	v_cndmask_b32_e32 v2, v2, v7, vcc
	v_cndmask_b32_e32 v7, v11, v12, vcc
	v_mov_b32_e32 v10, 0x3b800000
	v_lshlrev_b32_e32 v2, 20, v2
	v_lshl_add_u32 v7, v7, 23, v10
	v_or3_b32 v2, v6, v7, v2
.LBB6_1468:
	s_or_b64 exec, exec, s[6:7]
	s_movk_i32 s4, 0x7f
	v_cmp_gt_i16_sdwa s[6:7], v3, s4 src0_sel:BYTE_3 src1_sel:DWORD
	s_mov_b64 s[4:5], 0
                                        ; implicit-def: $sgpr10
	s_and_saveexec_b64 s[8:9], s[6:7]
	s_xor_b64 s[6:7], exec, s[8:9]
	s_cbranch_execnz .LBB6_3517
; %bb.1469:
	s_or_saveexec_b64 s[6:7], s[6:7]
	v_mov_b32_e32 v6, s10
	s_xor_b64 exec, exec, s[6:7]
	s_cbranch_execnz .LBB6_3520
.LBB6_1470:
	s_or_b64 exec, exec, s[6:7]
	s_and_saveexec_b64 s[6:7], s[4:5]
	s_cbranch_execz .LBB6_1472
.LBB6_1471:
	v_bfe_u32 v6, v3, 24, 3
	v_ffbh_u32_e32 v12, v6
	v_min_u32_e32 v12, 32, v12
	v_lshrrev_b32_e32 v10, 27, v3
	v_subrev_u32_e32 v13, 28, v12
	v_and_b32_e32 v7, 0x80000000, v3
	v_and_b32_e32 v10, 15, v10
	v_bfe_u32 v11, v3, 27, 4
	v_lshlrev_b32_sdwa v3, v13, v3 dst_sel:DWORD dst_unused:UNUSED_PAD src0_sel:DWORD src1_sel:BYTE_3
	v_sub_u32_e32 v12, 29, v12
	v_and_b32_e32 v3, 7, v3
	v_cmp_eq_u16_e32 vcc, 0, v10
	v_cndmask_b32_e32 v3, v6, v3, vcc
	v_cndmask_b32_e32 v6, v11, v12, vcc
	v_mov_b32_e32 v10, 0x3b800000
	v_lshlrev_b32_e32 v3, 20, v3
	v_lshl_add_u32 v6, v6, 23, v10
	v_or3_b32 v6, v7, v6, v3
.LBB6_1472:
	s_or_b64 exec, exec, s[6:7]
	s_nop 0
	v_mfma_f32_16x16x4f32 a[0:3], v2, v6, a[0:3]
	s_movk_i32 s4, 0x7f
	v_cmp_gt_i16_sdwa s[6:7], v8, s4 src0_sel:BYTE_0 src1_sel:DWORD
	s_mov_b64 s[4:5], 0
                                        ; implicit-def: $sgpr10
	s_and_saveexec_b64 s[8:9], s[6:7]
	s_xor_b64 s[6:7], exec, s[8:9]
	s_cbranch_execnz .LBB6_3521
; %bb.1473:
	s_or_saveexec_b64 s[6:7], s[6:7]
	v_mov_b32_e32 v2, s10
	s_xor_b64 exec, exec, s[6:7]
	s_cbranch_execnz .LBB6_3524
.LBB6_1474:
	s_or_b64 exec, exec, s[6:7]
	s_and_saveexec_b64 s[6:7], s[4:5]
	s_cbranch_execz .LBB6_1476
.LBB6_1475:
	v_and_b32_e32 v2, 7, v8
	v_ffbh_u32_e32 v6, v2
	v_min_u32_e32 v6, 32, v6
	v_lshrrev_b16_e32 v3, 3, v8
	v_subrev_u32_e32 v7, 28, v6
	v_and_b32_e32 v3, 15, v3
	v_lshlrev_b32_e32 v7, v7, v8
	v_sub_u32_e32 v6, 29, v6
	v_and_b32_e32 v7, 7, v7
	v_cmp_eq_u16_e32 vcc, 0, v3
	v_cndmask_b32_e32 v2, v2, v7, vcc
	v_cndmask_b32_e32 v3, v3, v6, vcc
	v_lshlrev_b32_e32 v6, 24, v8
	v_mov_b32_e32 v7, 0x3b800000
	v_lshlrev_b32_e32 v2, 20, v2
	v_and_b32_e32 v6, 0x80000000, v6
	v_lshl_add_u32 v3, v3, 23, v7
	v_or3_b32 v2, v6, v3, v2
.LBB6_1476:
	s_or_b64 exec, exec, s[6:7]
	s_movk_i32 s4, 0x7f
	v_cmp_gt_i16_sdwa s[6:7], v4, s4 src0_sel:BYTE_0 src1_sel:DWORD
	s_mov_b64 s[4:5], 0
                                        ; implicit-def: $sgpr10
	s_and_saveexec_b64 s[8:9], s[6:7]
	s_xor_b64 s[6:7], exec, s[8:9]
	s_cbranch_execnz .LBB6_3525
; %bb.1477:
	s_or_saveexec_b64 s[6:7], s[6:7]
	v_mov_b32_e32 v3, s10
	s_xor_b64 exec, exec, s[6:7]
	s_cbranch_execnz .LBB6_3528
.LBB6_1478:
	s_or_b64 exec, exec, s[6:7]
	s_and_saveexec_b64 s[6:7], s[4:5]
	s_cbranch_execz .LBB6_1480
.LBB6_1479:
	v_and_b32_e32 v3, 7, v4
	v_ffbh_u32_e32 v7, v3
	v_min_u32_e32 v7, 32, v7
	v_lshrrev_b16_e32 v6, 3, v4
	v_subrev_u32_e32 v10, 28, v7
	v_and_b32_e32 v6, 15, v6
	v_lshlrev_b32_e32 v10, v10, v4
	v_sub_u32_e32 v7, 29, v7
	v_and_b32_e32 v10, 7, v10
	v_cmp_eq_u16_e32 vcc, 0, v6
	v_cndmask_b32_e32 v3, v3, v10, vcc
	v_cndmask_b32_e32 v6, v6, v7, vcc
	v_lshlrev_b32_e32 v7, 24, v4
	v_mov_b32_e32 v10, 0x3b800000
	v_lshlrev_b32_e32 v3, 20, v3
	v_and_b32_e32 v7, 0x80000000, v7
	v_lshl_add_u32 v6, v6, 23, v10
	v_or3_b32 v3, v7, v6, v3
.LBB6_1480:
	s_or_b64 exec, exec, s[6:7]
	s_nop 0
	v_mfma_f32_16x16x4f32 a[0:3], v2, v3, a[0:3]
	v_lshrrev_b32_e32 v3, 8, v8
	s_movk_i32 s4, 0x7f
	v_cmp_gt_i16_sdwa s[6:7], v3, s4 src0_sel:BYTE_0 src1_sel:DWORD
	s_mov_b64 s[4:5], 0
                                        ; implicit-def: $sgpr10
	s_and_saveexec_b64 s[8:9], s[6:7]
	s_xor_b64 s[6:7], exec, s[8:9]
	s_cbranch_execnz .LBB6_3529
; %bb.1481:
	s_or_saveexec_b64 s[6:7], s[6:7]
	v_mov_b32_e32 v2, s10
	s_xor_b64 exec, exec, s[6:7]
	s_cbranch_execnz .LBB6_3532
.LBB6_1482:
	s_or_b64 exec, exec, s[6:7]
	s_and_saveexec_b64 s[6:7], s[4:5]
	s_cbranch_execz .LBB6_1484
.LBB6_1483:
	v_bfe_u32 v2, v8, 8, 3
	v_ffbh_u32_e32 v7, v2
	v_min_u32_e32 v7, 32, v7
	v_lshrrev_b16_e32 v6, 3, v3
	v_subrev_u32_e32 v10, 28, v7
	v_and_b32_e32 v6, 15, v6
	v_lshlrev_b32_e32 v3, v10, v3
	v_sub_u32_e32 v7, 29, v7
	v_and_b32_e32 v3, 7, v3
	v_cmp_eq_u16_e32 vcc, 0, v6
	v_cndmask_b32_e32 v2, v2, v3, vcc
	v_cndmask_b32_e32 v3, v6, v7, vcc
	v_lshlrev_b32_e32 v6, 16, v8
	v_mov_b32_e32 v7, 0x3b800000
	v_lshlrev_b32_e32 v2, 20, v2
	v_and_b32_e32 v6, 0x80000000, v6
	v_lshl_add_u32 v3, v3, 23, v7
	v_or3_b32 v2, v6, v3, v2
.LBB6_1484:
	s_or_b64 exec, exec, s[6:7]
	v_lshrrev_b32_e32 v3, 8, v4
	s_movk_i32 s4, 0x7f
	v_cmp_gt_i16_sdwa s[6:7], v3, s4 src0_sel:BYTE_0 src1_sel:DWORD
	s_mov_b64 s[4:5], 0
                                        ; implicit-def: $sgpr10
	s_and_saveexec_b64 s[8:9], s[6:7]
	s_xor_b64 s[6:7], exec, s[8:9]
	s_cbranch_execnz .LBB6_3533
; %bb.1485:
	s_or_saveexec_b64 s[6:7], s[6:7]
	v_mov_b32_e32 v6, s10
	s_xor_b64 exec, exec, s[6:7]
	s_cbranch_execnz .LBB6_3536
.LBB6_1486:
	s_or_b64 exec, exec, s[6:7]
	s_and_saveexec_b64 s[6:7], s[4:5]
	s_cbranch_execz .LBB6_1488
.LBB6_1487:
	v_bfe_u32 v6, v4, 8, 3
	v_ffbh_u32_e32 v10, v6
	v_min_u32_e32 v10, 32, v10
	v_lshrrev_b16_e32 v7, 3, v3
	v_subrev_u32_e32 v11, 28, v10
	v_and_b32_e32 v7, 15, v7
	v_lshlrev_b32_e32 v3, v11, v3
	v_sub_u32_e32 v10, 29, v10
	v_and_b32_e32 v3, 7, v3
	v_cmp_eq_u16_e32 vcc, 0, v7
	v_cndmask_b32_e32 v3, v6, v3, vcc
	v_cndmask_b32_e32 v6, v7, v10, vcc
	v_lshlrev_b32_e32 v7, 16, v4
	v_mov_b32_e32 v10, 0x3b800000
	v_lshlrev_b32_e32 v3, 20, v3
	v_and_b32_e32 v7, 0x80000000, v7
	v_lshl_add_u32 v6, v6, 23, v10
	v_or3_b32 v6, v7, v6, v3
.LBB6_1488:
	s_or_b64 exec, exec, s[6:7]
	s_nop 0
	v_mfma_f32_16x16x4f32 a[0:3], v2, v6, a[0:3]
	s_movk_i32 s4, 0xff
	v_and_b32_sdwa v3, v8, s4 dst_sel:DWORD dst_unused:UNUSED_PAD src0_sel:WORD_1 src1_sel:DWORD
	s_movk_i32 s4, 0x7f
	v_cmp_lt_i16_e32 vcc, s4, v3
	s_mov_b64 s[4:5], 0
                                        ; implicit-def: $sgpr10
	s_and_saveexec_b64 s[6:7], vcc
	s_xor_b64 s[6:7], exec, s[6:7]
	s_cbranch_execnz .LBB6_3537
; %bb.1489:
	s_or_saveexec_b64 s[6:7], s[6:7]
	v_mov_b32_e32 v2, s10
	s_xor_b64 exec, exec, s[6:7]
	s_cbranch_execnz .LBB6_3540
.LBB6_1490:
	s_or_b64 exec, exec, s[6:7]
	s_and_saveexec_b64 s[6:7], s[4:5]
	s_cbranch_execz .LBB6_1492
.LBB6_1491:
	v_bfe_u32 v2, v8, 16, 3
	v_ffbh_u32_e32 v7, v2
	v_min_u32_e32 v7, 32, v7
	v_lshrrev_b32_e32 v3, 19, v8
	v_subrev_u32_e32 v10, 28, v7
	v_and_b32_e32 v3, 15, v3
	v_lshlrev_b32_sdwa v10, v10, v8 dst_sel:DWORD dst_unused:UNUSED_PAD src0_sel:DWORD src1_sel:WORD_1
	v_bfe_u32 v6, v8, 19, 4
	v_sub_u32_e32 v7, 29, v7
	v_and_b32_e32 v10, 7, v10
	v_cmp_eq_u16_e32 vcc, 0, v3
	v_cndmask_b32_e32 v2, v2, v10, vcc
	v_cndmask_b32_e32 v3, v6, v7, vcc
	v_lshlrev_b32_e32 v6, 8, v8
	v_mov_b32_e32 v7, 0x3b800000
	v_lshlrev_b32_e32 v2, 20, v2
	v_and_b32_e32 v6, 0x80000000, v6
	v_lshl_add_u32 v3, v3, 23, v7
	v_or3_b32 v2, v6, v3, v2
.LBB6_1492:
	s_or_b64 exec, exec, s[6:7]
	s_movk_i32 s4, 0xff
	v_and_b32_sdwa v3, v4, s4 dst_sel:DWORD dst_unused:UNUSED_PAD src0_sel:WORD_1 src1_sel:DWORD
	s_movk_i32 s4, 0x7f
	v_cmp_lt_i16_e32 vcc, s4, v3
	s_mov_b64 s[4:5], 0
                                        ; implicit-def: $sgpr10
	s_and_saveexec_b64 s[6:7], vcc
	s_xor_b64 s[6:7], exec, s[6:7]
	s_cbranch_execnz .LBB6_3541
; %bb.1493:
	s_or_saveexec_b64 s[6:7], s[6:7]
	v_mov_b32_e32 v6, s10
	s_xor_b64 exec, exec, s[6:7]
	s_cbranch_execnz .LBB6_3544
.LBB6_1494:
	s_or_b64 exec, exec, s[6:7]
	s_and_saveexec_b64 s[6:7], s[4:5]
	s_cbranch_execz .LBB6_1496
.LBB6_1495:
	v_bfe_u32 v3, v4, 16, 3
	v_ffbh_u32_e32 v10, v3
	v_min_u32_e32 v10, 32, v10
	v_lshrrev_b32_e32 v6, 19, v4
	v_subrev_u32_e32 v11, 28, v10
	v_and_b32_e32 v6, 15, v6
	v_lshlrev_b32_sdwa v11, v11, v4 dst_sel:DWORD dst_unused:UNUSED_PAD src0_sel:DWORD src1_sel:WORD_1
	v_bfe_u32 v7, v4, 19, 4
	v_sub_u32_e32 v10, 29, v10
	v_and_b32_e32 v11, 7, v11
	v_cmp_eq_u16_e32 vcc, 0, v6
	v_cndmask_b32_e32 v3, v3, v11, vcc
	v_cndmask_b32_e32 v6, v7, v10, vcc
	v_lshlrev_b32_e32 v7, 8, v4
	v_mov_b32_e32 v10, 0x3b800000
	v_lshlrev_b32_e32 v3, 20, v3
	v_and_b32_e32 v7, 0x80000000, v7
	v_lshl_add_u32 v6, v6, 23, v10
	v_or3_b32 v6, v7, v6, v3
.LBB6_1496:
	s_or_b64 exec, exec, s[6:7]
	s_nop 0
	v_mfma_f32_16x16x4f32 a[0:3], v2, v6, a[0:3]
	s_movk_i32 s4, 0x7f
	v_cmp_gt_i16_sdwa s[6:7], v8, s4 src0_sel:BYTE_3 src1_sel:DWORD
	s_mov_b64 s[4:5], 0
                                        ; implicit-def: $sgpr10
	s_and_saveexec_b64 s[8:9], s[6:7]
	s_xor_b64 s[6:7], exec, s[8:9]
	s_cbranch_execnz .LBB6_3545
; %bb.1497:
	s_or_saveexec_b64 s[6:7], s[6:7]
	v_mov_b32_e32 v2, s10
	s_xor_b64 exec, exec, s[6:7]
	s_cbranch_execnz .LBB6_3548
.LBB6_1498:
	s_or_b64 exec, exec, s[6:7]
	s_and_saveexec_b64 s[6:7], s[4:5]
	s_cbranch_execz .LBB6_1500
.LBB6_1499:
	v_bfe_u32 v2, v8, 24, 3
	v_ffbh_u32_e32 v10, v2
	v_min_u32_e32 v10, 32, v10
	v_lshrrev_b32_e32 v6, 27, v8
	v_subrev_u32_e32 v11, 28, v10
	v_and_b32_e32 v3, 0x80000000, v8
	v_and_b32_e32 v6, 15, v6
	v_bfe_u32 v7, v8, 27, 4
	v_lshlrev_b32_sdwa v8, v11, v8 dst_sel:DWORD dst_unused:UNUSED_PAD src0_sel:DWORD src1_sel:BYTE_3
	v_sub_u32_e32 v10, 29, v10
	v_and_b32_e32 v8, 7, v8
	v_cmp_eq_u16_e32 vcc, 0, v6
	v_cndmask_b32_e32 v2, v2, v8, vcc
	v_cndmask_b32_e32 v6, v7, v10, vcc
	v_mov_b32_e32 v7, 0x3b800000
	v_lshlrev_b32_e32 v2, 20, v2
	v_lshl_add_u32 v6, v6, 23, v7
	v_or3_b32 v2, v3, v6, v2
.LBB6_1500:
	s_or_b64 exec, exec, s[6:7]
	s_movk_i32 s4, 0x7f
	v_cmp_gt_i16_sdwa s[6:7], v4, s4 src0_sel:BYTE_3 src1_sel:DWORD
	s_mov_b64 s[4:5], 0
                                        ; implicit-def: $sgpr10
	s_and_saveexec_b64 s[8:9], s[6:7]
	s_xor_b64 s[6:7], exec, s[8:9]
	s_cbranch_execnz .LBB6_3549
; %bb.1501:
	s_or_saveexec_b64 s[6:7], s[6:7]
	v_mov_b32_e32 v3, s10
	s_xor_b64 exec, exec, s[6:7]
	s_cbranch_execnz .LBB6_3552
.LBB6_1502:
	s_or_b64 exec, exec, s[6:7]
	s_and_saveexec_b64 s[6:7], s[4:5]
	s_cbranch_execz .LBB6_1504
.LBB6_1503:
	v_bfe_u32 v3, v4, 24, 3
	v_ffbh_u32_e32 v10, v3
	v_min_u32_e32 v10, 32, v10
	v_lshrrev_b32_e32 v7, 27, v4
	v_subrev_u32_e32 v11, 28, v10
	v_and_b32_e32 v6, 0x80000000, v4
	v_and_b32_e32 v7, 15, v7
	v_bfe_u32 v8, v4, 27, 4
	v_lshlrev_b32_sdwa v4, v11, v4 dst_sel:DWORD dst_unused:UNUSED_PAD src0_sel:DWORD src1_sel:BYTE_3
	v_sub_u32_e32 v10, 29, v10
	v_and_b32_e32 v4, 7, v4
	v_cmp_eq_u16_e32 vcc, 0, v7
	v_cndmask_b32_e32 v3, v3, v4, vcc
	v_cndmask_b32_e32 v4, v8, v10, vcc
	v_mov_b32_e32 v7, 0x3b800000
	v_lshlrev_b32_e32 v3, 20, v3
	v_lshl_add_u32 v4, v4, 23, v7
	v_or3_b32 v3, v6, v4, v3
.LBB6_1504:
	s_or_b64 exec, exec, s[6:7]
	s_nop 0
	v_mfma_f32_16x16x4f32 a[0:3], v2, v3, a[0:3]
	s_movk_i32 s4, 0x7f
	v_cmp_gt_i16_sdwa s[6:7], v9, s4 src0_sel:BYTE_0 src1_sel:DWORD
	s_mov_b64 s[4:5], 0
                                        ; implicit-def: $sgpr10
	s_and_saveexec_b64 s[8:9], s[6:7]
	s_xor_b64 s[6:7], exec, s[8:9]
	s_cbranch_execnz .LBB6_3553
; %bb.1505:
	s_or_saveexec_b64 s[6:7], s[6:7]
	v_mov_b32_e32 v2, s10
	s_xor_b64 exec, exec, s[6:7]
	s_cbranch_execnz .LBB6_3556
.LBB6_1506:
	s_or_b64 exec, exec, s[6:7]
	s_and_saveexec_b64 s[6:7], s[4:5]
	s_cbranch_execz .LBB6_1508
.LBB6_1507:
	v_mov_b32_e32 v2, 8
	v_and_b32_e32 v3, 7, v9
	v_lshrrev_b32_sdwa v2, v2, v9 dst_sel:BYTE_1 dst_unused:UNUSED_PAD src0_sel:DWORD src1_sel:DWORD
	v_ffbh_u32_e32 v4, v3
	v_or_b32_sdwa v2, v9, v2 dst_sel:DWORD dst_unused:UNUSED_PAD src0_sel:BYTE_0 src1_sel:DWORD
	v_min_u32_e32 v4, 32, v4
	v_lshrrev_b16_e32 v2, 3, v2
	v_subrev_u32_e32 v6, 28, v4
	v_and_b32_e32 v2, 15, v2
	v_lshlrev_b32_e32 v6, v6, v9
	v_sub_u32_e32 v4, 29, v4
	v_and_b32_e32 v6, 7, v6
	v_cmp_eq_u16_e32 vcc, 0, v2
	v_cndmask_b32_e32 v3, v3, v6, vcc
	v_cndmask_b32_e32 v2, v2, v4, vcc
	v_lshlrev_b32_e32 v4, 24, v9
	v_mov_b32_e32 v6, 0x3b800000
	v_lshlrev_b32_e32 v3, 20, v3
	v_and_b32_e32 v4, 0x80000000, v4
	v_lshl_add_u32 v2, v2, 23, v6
	v_or3_b32 v2, v4, v2, v3
.LBB6_1508:
	s_or_b64 exec, exec, s[6:7]
	s_movk_i32 s4, 0x7f
	v_cmp_gt_i16_sdwa s[6:7], v5, s4 src0_sel:BYTE_0 src1_sel:DWORD
	s_mov_b64 s[4:5], 0
                                        ; implicit-def: $sgpr10
	s_and_saveexec_b64 s[8:9], s[6:7]
	s_xor_b64 s[6:7], exec, s[8:9]
	s_cbranch_execnz .LBB6_3557
; %bb.1509:
	s_or_saveexec_b64 s[6:7], s[6:7]
	v_mov_b32_e32 v3, s10
	s_xor_b64 exec, exec, s[6:7]
	s_cbranch_execnz .LBB6_3560
.LBB6_1510:
	s_or_b64 exec, exec, s[6:7]
	s_and_saveexec_b64 s[6:7], s[4:5]
	s_cbranch_execz .LBB6_1512
.LBB6_1511:
	v_mov_b32_e32 v3, 8
	v_and_b32_e32 v4, 7, v5
	v_lshrrev_b32_sdwa v3, v3, v5 dst_sel:BYTE_1 dst_unused:UNUSED_PAD src0_sel:DWORD src1_sel:DWORD
	v_ffbh_u32_e32 v6, v4
	v_or_b32_sdwa v3, v5, v3 dst_sel:DWORD dst_unused:UNUSED_PAD src0_sel:BYTE_0 src1_sel:DWORD
	v_min_u32_e32 v6, 32, v6
	v_lshrrev_b16_e32 v3, 3, v3
	v_subrev_u32_e32 v7, 28, v6
	v_and_b32_e32 v3, 15, v3
	v_lshlrev_b32_e32 v7, v7, v5
	v_sub_u32_e32 v6, 29, v6
	v_and_b32_e32 v7, 7, v7
	v_cmp_eq_u16_e32 vcc, 0, v3
	v_cndmask_b32_e32 v4, v4, v7, vcc
	v_cndmask_b32_e32 v3, v3, v6, vcc
	v_lshlrev_b32_e32 v6, 24, v5
	v_mov_b32_e32 v7, 0x3b800000
	v_lshlrev_b32_e32 v4, 20, v4
	v_and_b32_e32 v6, 0x80000000, v6
	v_lshl_add_u32 v3, v3, 23, v7
	v_or3_b32 v3, v6, v3, v4
.LBB6_1512:
	s_or_b64 exec, exec, s[6:7]
	s_nop 0
	v_mfma_f32_16x16x4f32 a[0:3], v2, v3, a[0:3]
	v_lshrrev_b32_e32 v3, 8, v9
	s_movk_i32 s4, 0x7f
	v_cmp_gt_i16_sdwa s[6:7], v3, s4 src0_sel:BYTE_0 src1_sel:DWORD
	s_mov_b64 s[4:5], 0
                                        ; implicit-def: $sgpr10
	s_and_saveexec_b64 s[8:9], s[6:7]
	s_xor_b64 s[6:7], exec, s[8:9]
	s_cbranch_execnz .LBB6_3561
; %bb.1513:
	s_or_saveexec_b64 s[6:7], s[6:7]
	v_mov_b32_e32 v2, s10
	s_xor_b64 exec, exec, s[6:7]
	s_cbranch_execnz .LBB6_3564
.LBB6_1514:
	s_or_b64 exec, exec, s[6:7]
	s_and_saveexec_b64 s[6:7], s[4:5]
	s_cbranch_execz .LBB6_1516
.LBB6_1515:
	v_bfe_u32 v2, v9, 8, 3
	v_ffbh_u32_e32 v6, v2
	v_min_u32_e32 v6, 32, v6
	v_lshrrev_b16_e32 v4, 3, v3
	v_subrev_u32_e32 v7, 28, v6
	v_and_b32_e32 v4, 15, v4
	v_lshlrev_b32_e32 v3, v7, v3
	v_sub_u32_e32 v6, 29, v6
	v_and_b32_e32 v3, 7, v3
	v_cmp_eq_u16_e32 vcc, 0, v4
	v_cndmask_b32_e32 v2, v2, v3, vcc
	v_cndmask_b32_e32 v3, v4, v6, vcc
	v_lshlrev_b32_e32 v4, 16, v9
	v_mov_b32_e32 v6, 0x3b800000
	v_lshlrev_b32_e32 v2, 20, v2
	v_and_b32_e32 v4, 0x80000000, v4
	v_lshl_add_u32 v3, v3, 23, v6
	v_or3_b32 v2, v4, v3, v2
.LBB6_1516:
	s_or_b64 exec, exec, s[6:7]
	v_lshrrev_b32_e32 v3, 8, v5
	s_movk_i32 s4, 0x7f
	v_cmp_gt_i16_sdwa s[6:7], v3, s4 src0_sel:BYTE_0 src1_sel:DWORD
	s_mov_b64 s[4:5], 0
                                        ; implicit-def: $sgpr10
	s_and_saveexec_b64 s[8:9], s[6:7]
	s_xor_b64 s[6:7], exec, s[8:9]
	s_cbranch_execnz .LBB6_3565
; %bb.1517:
	s_or_saveexec_b64 s[6:7], s[6:7]
	v_mov_b32_e32 v4, s10
	s_xor_b64 exec, exec, s[6:7]
	s_cbranch_execnz .LBB6_3568
.LBB6_1518:
	s_or_b64 exec, exec, s[6:7]
	s_and_saveexec_b64 s[6:7], s[4:5]
	s_cbranch_execz .LBB6_1520
.LBB6_1519:
	v_bfe_u32 v4, v5, 8, 3
	v_ffbh_u32_e32 v7, v4
	v_min_u32_e32 v7, 32, v7
	v_lshrrev_b16_e32 v6, 3, v3
	v_subrev_u32_e32 v8, 28, v7
	v_and_b32_e32 v6, 15, v6
	v_lshlrev_b32_e32 v3, v8, v3
	v_sub_u32_e32 v7, 29, v7
	v_and_b32_e32 v3, 7, v3
	v_cmp_eq_u16_e32 vcc, 0, v6
	v_cndmask_b32_e32 v3, v4, v3, vcc
	v_cndmask_b32_e32 v4, v6, v7, vcc
	v_lshlrev_b32_e32 v6, 16, v5
	v_mov_b32_e32 v7, 0x3b800000
	v_lshlrev_b32_e32 v3, 20, v3
	v_and_b32_e32 v6, 0x80000000, v6
	v_lshl_add_u32 v4, v4, 23, v7
	v_or3_b32 v4, v6, v4, v3
.LBB6_1520:
	s_or_b64 exec, exec, s[6:7]
	s_nop 0
	v_mfma_f32_16x16x4f32 a[0:3], v2, v4, a[0:3]
	s_movk_i32 s4, 0xff
	v_and_b32_sdwa v3, v9, s4 dst_sel:DWORD dst_unused:UNUSED_PAD src0_sel:WORD_1 src1_sel:DWORD
	s_movk_i32 s4, 0x7f
	v_cmp_lt_i16_e32 vcc, s4, v3
	s_mov_b64 s[4:5], 0
                                        ; implicit-def: $sgpr10
	s_and_saveexec_b64 s[6:7], vcc
	s_xor_b64 s[6:7], exec, s[6:7]
	s_cbranch_execnz .LBB6_3569
; %bb.1521:
	s_or_saveexec_b64 s[6:7], s[6:7]
	v_mov_b32_e32 v2, s10
	s_xor_b64 exec, exec, s[6:7]
	s_cbranch_execnz .LBB6_3572
.LBB6_1522:
	s_or_b64 exec, exec, s[6:7]
	s_and_saveexec_b64 s[6:7], s[4:5]
	s_cbranch_execz .LBB6_1524
.LBB6_1523:
	v_bfe_u32 v2, v9, 16, 3
	v_ffbh_u32_e32 v6, v2
	v_min_u32_e32 v6, 32, v6
	v_lshrrev_b32_e32 v3, 19, v9
	v_subrev_u32_e32 v7, 28, v6
	v_and_b32_e32 v3, 15, v3
	v_lshlrev_b32_sdwa v7, v7, v9 dst_sel:DWORD dst_unused:UNUSED_PAD src0_sel:DWORD src1_sel:WORD_1
	v_bfe_u32 v4, v9, 19, 4
	v_sub_u32_e32 v6, 29, v6
	v_and_b32_e32 v7, 7, v7
	v_cmp_eq_u16_e32 vcc, 0, v3
	v_cndmask_b32_e32 v2, v2, v7, vcc
	v_cndmask_b32_e32 v3, v4, v6, vcc
	v_lshlrev_b32_e32 v4, 8, v9
	v_mov_b32_e32 v6, 0x3b800000
	v_lshlrev_b32_e32 v2, 20, v2
	v_and_b32_e32 v4, 0x80000000, v4
	v_lshl_add_u32 v3, v3, 23, v6
	v_or3_b32 v2, v4, v3, v2
.LBB6_1524:
	s_or_b64 exec, exec, s[6:7]
	s_movk_i32 s4, 0xff
	v_and_b32_sdwa v3, v5, s4 dst_sel:DWORD dst_unused:UNUSED_PAD src0_sel:WORD_1 src1_sel:DWORD
	s_movk_i32 s4, 0x7f
	v_cmp_lt_i16_e32 vcc, s4, v3
	s_mov_b64 s[4:5], 0
                                        ; implicit-def: $sgpr10
	s_and_saveexec_b64 s[6:7], vcc
	s_xor_b64 s[6:7], exec, s[6:7]
	s_cbranch_execnz .LBB6_3573
; %bb.1525:
	s_or_saveexec_b64 s[6:7], s[6:7]
	v_mov_b32_e32 v4, s10
	s_xor_b64 exec, exec, s[6:7]
	s_cbranch_execnz .LBB6_3576
.LBB6_1526:
	s_or_b64 exec, exec, s[6:7]
	s_and_saveexec_b64 s[6:7], s[4:5]
	s_cbranch_execz .LBB6_1528
.LBB6_1527:
	v_bfe_u32 v3, v5, 16, 3
	v_ffbh_u32_e32 v7, v3
	v_min_u32_e32 v7, 32, v7
	v_lshrrev_b32_e32 v4, 19, v5
	v_subrev_u32_e32 v8, 28, v7
	v_and_b32_e32 v4, 15, v4
	v_lshlrev_b32_sdwa v8, v8, v5 dst_sel:DWORD dst_unused:UNUSED_PAD src0_sel:DWORD src1_sel:WORD_1
	v_bfe_u32 v6, v5, 19, 4
	v_sub_u32_e32 v7, 29, v7
	v_and_b32_e32 v8, 7, v8
	v_cmp_eq_u16_e32 vcc, 0, v4
	v_cndmask_b32_e32 v3, v3, v8, vcc
	v_cndmask_b32_e32 v4, v6, v7, vcc
	v_lshlrev_b32_e32 v6, 8, v5
	v_mov_b32_e32 v7, 0x3b800000
	v_lshlrev_b32_e32 v3, 20, v3
	v_and_b32_e32 v6, 0x80000000, v6
	v_lshl_add_u32 v4, v4, 23, v7
	v_or3_b32 v4, v6, v4, v3
.LBB6_1528:
	s_or_b64 exec, exec, s[6:7]
	s_nop 0
	v_mfma_f32_16x16x4f32 a[0:3], v2, v4, a[0:3]
	s_movk_i32 s4, 0x7f
	v_cmp_gt_i16_sdwa s[6:7], v9, s4 src0_sel:BYTE_3 src1_sel:DWORD
	s_mov_b64 s[4:5], 0
                                        ; implicit-def: $sgpr10
	s_and_saveexec_b64 s[8:9], s[6:7]
	s_xor_b64 s[6:7], exec, s[8:9]
	s_cbranch_execnz .LBB6_3577
; %bb.1529:
	s_or_saveexec_b64 s[6:7], s[6:7]
	v_mov_b32_e32 v2, s10
	s_xor_b64 exec, exec, s[6:7]
	s_cbranch_execnz .LBB6_3580
.LBB6_1530:
	s_or_b64 exec, exec, s[6:7]
	s_and_saveexec_b64 s[6:7], s[4:5]
	s_cbranch_execz .LBB6_1532
.LBB6_1531:
	v_bfe_u32 v2, v9, 24, 3
	v_ffbh_u32_e32 v7, v2
	v_min_u32_e32 v7, 32, v7
	v_lshrrev_b32_e32 v4, 27, v9
	v_subrev_u32_e32 v8, 28, v7
	v_and_b32_e32 v4, 15, v4
	v_lshlrev_b32_sdwa v8, v8, v9 dst_sel:DWORD dst_unused:UNUSED_PAD src0_sel:DWORD src1_sel:BYTE_3
	v_bfe_u32 v6, v9, 27, 4
	v_sub_u32_e32 v7, 29, v7
	v_and_b32_e32 v8, 7, v8
	v_cmp_eq_u16_e32 vcc, 0, v4
	v_cndmask_b32_e32 v2, v2, v8, vcc
	v_cndmask_b32_e32 v4, v6, v7, vcc
	v_mov_b32_e32 v6, 0x3b800000
	v_and_b32_e32 v3, 0x80000000, v9
	v_lshlrev_b32_e32 v2, 20, v2
	v_lshl_add_u32 v4, v4, 23, v6
	v_or3_b32 v2, v3, v4, v2
.LBB6_1532:
	s_or_b64 exec, exec, s[6:7]
	s_movk_i32 s4, 0x7f
	v_cmp_gt_i16_sdwa s[6:7], v5, s4 src0_sel:BYTE_3 src1_sel:DWORD
	s_mov_b64 s[4:5], 0
                                        ; implicit-def: $sgpr10
	s_and_saveexec_b64 s[8:9], s[6:7]
	s_xor_b64 s[6:7], exec, s[8:9]
	s_cbranch_execnz .LBB6_3581
; %bb.1533:
	s_or_saveexec_b64 s[6:7], s[6:7]
	v_mov_b32_e32 v3, s10
	s_xor_b64 exec, exec, s[6:7]
	s_cbranch_execnz .LBB6_3584
.LBB6_1534:
	s_or_b64 exec, exec, s[6:7]
	s_and_saveexec_b64 s[6:7], s[4:5]
	s_cbranch_execz .LBB6_1536
.LBB6_1535:
	v_bfe_u32 v3, v5, 24, 3
	v_ffbh_u32_e32 v8, v3
	v_min_u32_e32 v8, 32, v8
	v_lshrrev_b32_e32 v6, 27, v5
	v_subrev_u32_e32 v9, 28, v8
	v_and_b32_e32 v4, 0x80000000, v5
	v_and_b32_e32 v6, 15, v6
	v_bfe_u32 v7, v5, 27, 4
	v_lshlrev_b32_sdwa v5, v9, v5 dst_sel:DWORD dst_unused:UNUSED_PAD src0_sel:DWORD src1_sel:BYTE_3
	v_sub_u32_e32 v8, 29, v8
	v_and_b32_e32 v5, 7, v5
	v_cmp_eq_u16_e32 vcc, 0, v6
	v_cndmask_b32_e32 v3, v3, v5, vcc
	v_cndmask_b32_e32 v5, v7, v8, vcc
	v_mov_b32_e32 v6, 0x3b800000
	v_lshlrev_b32_e32 v3, 20, v3
	v_lshl_add_u32 v5, v5, 23, v6
	v_or3_b32 v3, v4, v5, v3
.LBB6_1536:
	s_or_b64 exec, exec, s[6:7]
	s_nop 0
	v_mfma_f32_16x16x4f32 a[0:3], v2, v3, a[0:3]
	s_movk_i32 s4, 0x7f
                                        ; implicit-def: $sgpr10
	s_nop 7
	s_nop 1
	flat_store_dwordx4 v[18:19], a[0:3] offset:592
	flat_load_dwordx4 v[20:23], v[0:1] offset:16
	s_nop 0
	flat_load_dwordx2 v[18:19], v[0:1] offset:32
	s_waitcnt vmcnt(0) lgkmcnt(0)
	flat_load_dwordx4 v[14:17], v[20:21]
	flat_load_dwordx4 v[6:9], v[20:21] offset:16
	flat_load_dwordx4 v[10:13], v[22:23] offset:192
	flat_load_dwordx4 v[2:5], v[22:23] offset:208
	s_waitcnt vmcnt(0) lgkmcnt(0)
	v_cmp_gt_i16_sdwa s[6:7], v14, s4 src0_sel:BYTE_0 src1_sel:DWORD
	s_mov_b64 s[4:5], 0
	s_and_saveexec_b64 s[8:9], s[6:7]
	s_xor_b64 s[6:7], exec, s[8:9]
	s_cbranch_execnz .LBB6_3585
; %bb.1537:
	s_or_saveexec_b64 s[6:7], s[6:7]
	v_mov_b32_e32 v20, s10
	s_xor_b64 exec, exec, s[6:7]
	s_cbranch_execnz .LBB6_3588
.LBB6_1538:
	s_or_b64 exec, exec, s[6:7]
	s_and_saveexec_b64 s[6:7], s[4:5]
	s_cbranch_execz .LBB6_1540
.LBB6_1539:
	v_and_b32_e32 v20, 7, v14
	v_ffbh_u32_e32 v22, v20
	v_min_u32_e32 v22, 32, v22
	v_lshrrev_b16_e32 v21, 3, v14
	v_subrev_u32_e32 v23, 28, v22
	v_and_b32_e32 v21, 15, v21
	v_lshlrev_b32_e32 v23, v23, v14
	v_sub_u32_e32 v22, 29, v22
	v_and_b32_e32 v23, 7, v23
	v_cmp_eq_u16_e32 vcc, 0, v21
	v_cndmask_b32_e32 v20, v20, v23, vcc
	v_cndmask_b32_e32 v21, v21, v22, vcc
	v_lshlrev_b32_e32 v22, 24, v14
	v_mov_b32_e32 v23, 0x3b800000
	v_lshlrev_b32_e32 v20, 20, v20
	v_and_b32_e32 v22, 0x80000000, v22
	v_lshl_add_u32 v21, v21, 23, v23
	v_or3_b32 v20, v22, v21, v20
.LBB6_1540:
	s_or_b64 exec, exec, s[6:7]
	s_movk_i32 s4, 0x7f
	v_cmp_gt_i16_sdwa s[6:7], v10, s4 src0_sel:BYTE_0 src1_sel:DWORD
	s_mov_b64 s[4:5], 0
                                        ; implicit-def: $sgpr10
	s_and_saveexec_b64 s[8:9], s[6:7]
	s_xor_b64 s[6:7], exec, s[8:9]
	s_cbranch_execnz .LBB6_3589
; %bb.1541:
	s_or_saveexec_b64 s[6:7], s[6:7]
	v_mov_b32_e32 v21, s10
	s_xor_b64 exec, exec, s[6:7]
	s_cbranch_execnz .LBB6_3592
.LBB6_1542:
	s_or_b64 exec, exec, s[6:7]
	s_and_saveexec_b64 s[6:7], s[4:5]
	s_cbranch_execz .LBB6_1544
.LBB6_1543:
	v_and_b32_e32 v21, 7, v10
	v_ffbh_u32_e32 v23, v21
	v_min_u32_e32 v23, 32, v23
	v_lshrrev_b16_e32 v22, 3, v10
	v_subrev_u32_e32 v24, 28, v23
	v_and_b32_e32 v22, 15, v22
	v_lshlrev_b32_e32 v24, v24, v10
	v_sub_u32_e32 v23, 29, v23
	v_and_b32_e32 v24, 7, v24
	v_cmp_eq_u16_e32 vcc, 0, v22
	v_cndmask_b32_e32 v21, v21, v24, vcc
	v_cndmask_b32_e32 v22, v22, v23, vcc
	v_lshlrev_b32_e32 v23, 24, v10
	v_mov_b32_e32 v24, 0x3b800000
	v_lshlrev_b32_e32 v21, 20, v21
	v_and_b32_e32 v23, 0x80000000, v23
	v_lshl_add_u32 v22, v22, 23, v24
	v_or3_b32 v21, v23, v22, v21
.LBB6_1544:
	s_or_b64 exec, exec, s[6:7]
	flat_load_dwordx4 a[0:3], v[18:19] offset:608
	s_movk_i32 s4, 0x7f
                                        ; implicit-def: $sgpr10
	s_waitcnt vmcnt(0) lgkmcnt(0)
	v_mfma_f32_16x16x4f32 a[0:3], v20, v21, a[0:3]
	v_lshrrev_b32_e32 v21, 8, v14
	v_cmp_gt_i16_sdwa s[6:7], v21, s4 src0_sel:BYTE_0 src1_sel:DWORD
	s_mov_b64 s[4:5], 0
	s_and_saveexec_b64 s[8:9], s[6:7]
	s_xor_b64 s[6:7], exec, s[8:9]
	s_cbranch_execnz .LBB6_3593
; %bb.1545:
	s_or_saveexec_b64 s[6:7], s[6:7]
	v_mov_b32_e32 v20, s10
	s_xor_b64 exec, exec, s[6:7]
	s_cbranch_execnz .LBB6_3596
.LBB6_1546:
	s_or_b64 exec, exec, s[6:7]
	s_and_saveexec_b64 s[6:7], s[4:5]
	s_cbranch_execz .LBB6_1548
.LBB6_1547:
	v_bfe_u32 v20, v14, 8, 3
	v_ffbh_u32_e32 v23, v20
	v_min_u32_e32 v23, 32, v23
	v_lshrrev_b16_e32 v22, 3, v21
	v_subrev_u32_e32 v24, 28, v23
	v_and_b32_e32 v22, 15, v22
	v_lshlrev_b32_e32 v21, v24, v21
	v_sub_u32_e32 v23, 29, v23
	v_and_b32_e32 v21, 7, v21
	v_cmp_eq_u16_e32 vcc, 0, v22
	v_cndmask_b32_e32 v20, v20, v21, vcc
	v_cndmask_b32_e32 v21, v22, v23, vcc
	v_lshlrev_b32_e32 v22, 16, v14
	v_mov_b32_e32 v23, 0x3b800000
	v_lshlrev_b32_e32 v20, 20, v20
	v_and_b32_e32 v22, 0x80000000, v22
	v_lshl_add_u32 v21, v21, 23, v23
	v_or3_b32 v20, v22, v21, v20
.LBB6_1548:
	s_or_b64 exec, exec, s[6:7]
	v_lshrrev_b32_e32 v21, 8, v10
	s_movk_i32 s4, 0x7f
	v_cmp_gt_i16_sdwa s[6:7], v21, s4 src0_sel:BYTE_0 src1_sel:DWORD
	s_mov_b64 s[4:5], 0
                                        ; implicit-def: $sgpr10
	s_and_saveexec_b64 s[8:9], s[6:7]
	s_xor_b64 s[6:7], exec, s[8:9]
	s_cbranch_execnz .LBB6_3597
; %bb.1549:
	s_or_saveexec_b64 s[6:7], s[6:7]
	v_mov_b32_e32 v22, s10
	s_xor_b64 exec, exec, s[6:7]
	s_cbranch_execnz .LBB6_3600
.LBB6_1550:
	s_or_b64 exec, exec, s[6:7]
	s_and_saveexec_b64 s[6:7], s[4:5]
	s_cbranch_execz .LBB6_1552
.LBB6_1551:
	v_bfe_u32 v22, v10, 8, 3
	v_ffbh_u32_e32 v24, v22
	v_min_u32_e32 v24, 32, v24
	v_lshrrev_b16_e32 v23, 3, v21
	v_subrev_u32_e32 v25, 28, v24
	v_and_b32_e32 v23, 15, v23
	v_lshlrev_b32_e32 v21, v25, v21
	v_sub_u32_e32 v24, 29, v24
	v_and_b32_e32 v21, 7, v21
	v_cmp_eq_u16_e32 vcc, 0, v23
	v_cndmask_b32_e32 v21, v22, v21, vcc
	v_cndmask_b32_e32 v22, v23, v24, vcc
	v_lshlrev_b32_e32 v23, 16, v10
	v_mov_b32_e32 v24, 0x3b800000
	v_lshlrev_b32_e32 v21, 20, v21
	v_and_b32_e32 v23, 0x80000000, v23
	v_lshl_add_u32 v22, v22, 23, v24
	v_or3_b32 v22, v23, v22, v21
.LBB6_1552:
	s_or_b64 exec, exec, s[6:7]
	s_nop 0
	v_mfma_f32_16x16x4f32 a[0:3], v20, v22, a[0:3]
	s_movk_i32 s4, 0xff
	v_and_b32_sdwa v21, v14, s4 dst_sel:DWORD dst_unused:UNUSED_PAD src0_sel:WORD_1 src1_sel:DWORD
	s_movk_i32 s4, 0x7f
	v_cmp_lt_i16_e32 vcc, s4, v21
	s_mov_b64 s[4:5], 0
                                        ; implicit-def: $sgpr10
	s_and_saveexec_b64 s[6:7], vcc
	s_xor_b64 s[6:7], exec, s[6:7]
	s_cbranch_execnz .LBB6_3601
; %bb.1553:
	s_or_saveexec_b64 s[6:7], s[6:7]
	v_mov_b32_e32 v20, s10
	s_xor_b64 exec, exec, s[6:7]
	s_cbranch_execnz .LBB6_3604
.LBB6_1554:
	s_or_b64 exec, exec, s[6:7]
	s_and_saveexec_b64 s[6:7], s[4:5]
	s_cbranch_execz .LBB6_1556
.LBB6_1555:
	v_bfe_u32 v20, v14, 16, 3
	v_ffbh_u32_e32 v23, v20
	v_min_u32_e32 v23, 32, v23
	v_lshrrev_b32_e32 v21, 19, v14
	v_subrev_u32_e32 v24, 28, v23
	v_and_b32_e32 v21, 15, v21
	v_lshlrev_b32_sdwa v24, v24, v14 dst_sel:DWORD dst_unused:UNUSED_PAD src0_sel:DWORD src1_sel:WORD_1
	v_bfe_u32 v22, v14, 19, 4
	v_sub_u32_e32 v23, 29, v23
	v_and_b32_e32 v24, 7, v24
	v_cmp_eq_u16_e32 vcc, 0, v21
	v_cndmask_b32_e32 v20, v20, v24, vcc
	v_cndmask_b32_e32 v21, v22, v23, vcc
	v_lshlrev_b32_e32 v22, 8, v14
	v_mov_b32_e32 v23, 0x3b800000
	v_lshlrev_b32_e32 v20, 20, v20
	v_and_b32_e32 v22, 0x80000000, v22
	v_lshl_add_u32 v21, v21, 23, v23
	v_or3_b32 v20, v22, v21, v20
.LBB6_1556:
	s_or_b64 exec, exec, s[6:7]
	s_movk_i32 s4, 0xff
	v_and_b32_sdwa v21, v10, s4 dst_sel:DWORD dst_unused:UNUSED_PAD src0_sel:WORD_1 src1_sel:DWORD
	s_movk_i32 s4, 0x7f
	v_cmp_lt_i16_e32 vcc, s4, v21
	s_mov_b64 s[4:5], 0
                                        ; implicit-def: $sgpr10
	s_and_saveexec_b64 s[6:7], vcc
	s_xor_b64 s[6:7], exec, s[6:7]
	s_cbranch_execnz .LBB6_3605
; %bb.1557:
	s_or_saveexec_b64 s[6:7], s[6:7]
	v_mov_b32_e32 v22, s10
	s_xor_b64 exec, exec, s[6:7]
	s_cbranch_execnz .LBB6_3608
.LBB6_1558:
	s_or_b64 exec, exec, s[6:7]
	s_and_saveexec_b64 s[6:7], s[4:5]
	s_cbranch_execz .LBB6_1560
.LBB6_1559:
	v_bfe_u32 v21, v10, 16, 3
	v_ffbh_u32_e32 v24, v21
	v_min_u32_e32 v24, 32, v24
	v_lshrrev_b32_e32 v22, 19, v10
	v_subrev_u32_e32 v25, 28, v24
	v_and_b32_e32 v22, 15, v22
	v_lshlrev_b32_sdwa v25, v25, v10 dst_sel:DWORD dst_unused:UNUSED_PAD src0_sel:DWORD src1_sel:WORD_1
	v_bfe_u32 v23, v10, 19, 4
	v_sub_u32_e32 v24, 29, v24
	v_and_b32_e32 v25, 7, v25
	v_cmp_eq_u16_e32 vcc, 0, v22
	v_cndmask_b32_e32 v21, v21, v25, vcc
	v_cndmask_b32_e32 v22, v23, v24, vcc
	v_lshlrev_b32_e32 v23, 8, v10
	v_mov_b32_e32 v24, 0x3b800000
	v_lshlrev_b32_e32 v21, 20, v21
	v_and_b32_e32 v23, 0x80000000, v23
	v_lshl_add_u32 v22, v22, 23, v24
	v_or3_b32 v22, v23, v22, v21
.LBB6_1560:
	s_or_b64 exec, exec, s[6:7]
	s_nop 0
	v_mfma_f32_16x16x4f32 a[0:3], v20, v22, a[0:3]
	s_movk_i32 s4, 0x7f
	v_cmp_gt_i16_sdwa s[6:7], v14, s4 src0_sel:BYTE_3 src1_sel:DWORD
	s_mov_b64 s[4:5], 0
                                        ; implicit-def: $sgpr10
	s_and_saveexec_b64 s[8:9], s[6:7]
	s_xor_b64 s[6:7], exec, s[8:9]
	s_cbranch_execnz .LBB6_3609
; %bb.1561:
	s_or_saveexec_b64 s[6:7], s[6:7]
	v_mov_b32_e32 v20, s10
	s_xor_b64 exec, exec, s[6:7]
	s_cbranch_execnz .LBB6_3612
.LBB6_1562:
	s_or_b64 exec, exec, s[6:7]
	s_and_saveexec_b64 s[6:7], s[4:5]
	s_cbranch_execz .LBB6_1564
.LBB6_1563:
	v_bfe_u32 v20, v14, 24, 3
	v_ffbh_u32_e32 v24, v20
	v_min_u32_e32 v24, 32, v24
	v_lshrrev_b32_e32 v22, 27, v14
	v_subrev_u32_e32 v25, 28, v24
	v_and_b32_e32 v21, 0x80000000, v14
	v_and_b32_e32 v22, 15, v22
	v_bfe_u32 v23, v14, 27, 4
	v_lshlrev_b32_sdwa v14, v25, v14 dst_sel:DWORD dst_unused:UNUSED_PAD src0_sel:DWORD src1_sel:BYTE_3
	v_sub_u32_e32 v24, 29, v24
	v_and_b32_e32 v14, 7, v14
	v_cmp_eq_u16_e32 vcc, 0, v22
	v_cndmask_b32_e32 v14, v20, v14, vcc
	v_cndmask_b32_e32 v20, v23, v24, vcc
	v_mov_b32_e32 v22, 0x3b800000
	v_lshlrev_b32_e32 v14, 20, v14
	v_lshl_add_u32 v20, v20, 23, v22
	v_or3_b32 v20, v21, v20, v14
.LBB6_1564:
	s_or_b64 exec, exec, s[6:7]
	s_movk_i32 s4, 0x7f
	v_cmp_gt_i16_sdwa s[6:7], v10, s4 src0_sel:BYTE_3 src1_sel:DWORD
	s_mov_b64 s[4:5], 0
                                        ; implicit-def: $sgpr10
	s_and_saveexec_b64 s[8:9], s[6:7]
	s_xor_b64 s[6:7], exec, s[8:9]
	s_cbranch_execnz .LBB6_3613
; %bb.1565:
	s_or_saveexec_b64 s[6:7], s[6:7]
	v_mov_b32_e32 v14, s10
	s_xor_b64 exec, exec, s[6:7]
	s_cbranch_execnz .LBB6_3616
.LBB6_1566:
	s_or_b64 exec, exec, s[6:7]
	s_and_saveexec_b64 s[6:7], s[4:5]
	s_cbranch_execz .LBB6_1568
.LBB6_1567:
	v_bfe_u32 v14, v10, 24, 3
	v_ffbh_u32_e32 v24, v14
	v_min_u32_e32 v24, 32, v24
	v_lshrrev_b32_e32 v22, 27, v10
	v_subrev_u32_e32 v25, 28, v24
	v_and_b32_e32 v21, 0x80000000, v10
	v_and_b32_e32 v22, 15, v22
	v_bfe_u32 v23, v10, 27, 4
	v_lshlrev_b32_sdwa v10, v25, v10 dst_sel:DWORD dst_unused:UNUSED_PAD src0_sel:DWORD src1_sel:BYTE_3
	v_sub_u32_e32 v24, 29, v24
	v_and_b32_e32 v10, 7, v10
	v_cmp_eq_u16_e32 vcc, 0, v22
	v_cndmask_b32_e32 v10, v14, v10, vcc
	v_cndmask_b32_e32 v14, v23, v24, vcc
	v_mov_b32_e32 v22, 0x3b800000
	v_lshlrev_b32_e32 v10, 20, v10
	v_lshl_add_u32 v14, v14, 23, v22
	v_or3_b32 v14, v21, v14, v10
.LBB6_1568:
	s_or_b64 exec, exec, s[6:7]
	s_nop 0
	v_mfma_f32_16x16x4f32 a[0:3], v20, v14, a[0:3]
	s_movk_i32 s4, 0x7f
	v_cmp_gt_i16_sdwa s[6:7], v15, s4 src0_sel:BYTE_0 src1_sel:DWORD
	s_mov_b64 s[4:5], 0
                                        ; implicit-def: $sgpr10
	s_and_saveexec_b64 s[8:9], s[6:7]
	s_xor_b64 s[6:7], exec, s[8:9]
	s_cbranch_execnz .LBB6_3617
; %bb.1569:
	s_or_saveexec_b64 s[6:7], s[6:7]
	v_mov_b32_e32 v10, s10
	s_xor_b64 exec, exec, s[6:7]
	s_cbranch_execnz .LBB6_3620
.LBB6_1570:
	s_or_b64 exec, exec, s[6:7]
	s_and_saveexec_b64 s[6:7], s[4:5]
	s_cbranch_execz .LBB6_1572
.LBB6_1571:
	v_and_b32_e32 v10, 7, v15
	v_ffbh_u32_e32 v20, v10
	v_min_u32_e32 v20, 32, v20
	v_lshrrev_b16_e32 v14, 3, v15
	v_subrev_u32_e32 v21, 28, v20
	v_and_b32_e32 v14, 15, v14
	v_lshlrev_b32_e32 v21, v21, v15
	v_sub_u32_e32 v20, 29, v20
	v_and_b32_e32 v21, 7, v21
	v_cmp_eq_u16_e32 vcc, 0, v14
	v_cndmask_b32_e32 v10, v10, v21, vcc
	v_cndmask_b32_e32 v14, v14, v20, vcc
	v_lshlrev_b32_e32 v20, 24, v15
	v_mov_b32_e32 v21, 0x3b800000
	v_lshlrev_b32_e32 v10, 20, v10
	v_and_b32_e32 v20, 0x80000000, v20
	v_lshl_add_u32 v14, v14, 23, v21
	v_or3_b32 v10, v20, v14, v10
.LBB6_1572:
	s_or_b64 exec, exec, s[6:7]
	s_movk_i32 s4, 0x7f
	v_cmp_gt_i16_sdwa s[6:7], v11, s4 src0_sel:BYTE_0 src1_sel:DWORD
	s_mov_b64 s[4:5], 0
                                        ; implicit-def: $sgpr10
	s_and_saveexec_b64 s[8:9], s[6:7]
	s_xor_b64 s[6:7], exec, s[8:9]
	s_cbranch_execnz .LBB6_3621
; %bb.1573:
	s_or_saveexec_b64 s[6:7], s[6:7]
	v_mov_b32_e32 v14, s10
	s_xor_b64 exec, exec, s[6:7]
	s_cbranch_execnz .LBB6_3624
.LBB6_1574:
	s_or_b64 exec, exec, s[6:7]
	s_and_saveexec_b64 s[6:7], s[4:5]
	s_cbranch_execz .LBB6_1576
.LBB6_1575:
	v_and_b32_e32 v14, 7, v11
	v_ffbh_u32_e32 v21, v14
	v_min_u32_e32 v21, 32, v21
	v_lshrrev_b16_e32 v20, 3, v11
	v_subrev_u32_e32 v22, 28, v21
	v_and_b32_e32 v20, 15, v20
	v_lshlrev_b32_e32 v22, v22, v11
	v_sub_u32_e32 v21, 29, v21
	v_and_b32_e32 v22, 7, v22
	v_cmp_eq_u16_e32 vcc, 0, v20
	v_cndmask_b32_e32 v14, v14, v22, vcc
	v_cndmask_b32_e32 v20, v20, v21, vcc
	v_lshlrev_b32_e32 v21, 24, v11
	v_mov_b32_e32 v22, 0x3b800000
	v_lshlrev_b32_e32 v14, 20, v14
	v_and_b32_e32 v21, 0x80000000, v21
	v_lshl_add_u32 v20, v20, 23, v22
	v_or3_b32 v14, v21, v20, v14
.LBB6_1576:
	s_or_b64 exec, exec, s[6:7]
	s_nop 0
	v_mfma_f32_16x16x4f32 a[0:3], v10, v14, a[0:3]
	v_lshrrev_b32_e32 v14, 8, v15
	s_movk_i32 s4, 0x7f
	v_cmp_gt_i16_sdwa s[6:7], v14, s4 src0_sel:BYTE_0 src1_sel:DWORD
	s_mov_b64 s[4:5], 0
                                        ; implicit-def: $sgpr10
	s_and_saveexec_b64 s[8:9], s[6:7]
	s_xor_b64 s[6:7], exec, s[8:9]
	s_cbranch_execnz .LBB6_3625
; %bb.1577:
	s_or_saveexec_b64 s[6:7], s[6:7]
	v_mov_b32_e32 v10, s10
	s_xor_b64 exec, exec, s[6:7]
	s_cbranch_execnz .LBB6_3628
.LBB6_1578:
	s_or_b64 exec, exec, s[6:7]
	s_and_saveexec_b64 s[6:7], s[4:5]
	s_cbranch_execz .LBB6_1580
.LBB6_1579:
	v_bfe_u32 v10, v15, 8, 3
	v_ffbh_u32_e32 v21, v10
	v_min_u32_e32 v21, 32, v21
	v_lshrrev_b16_e32 v20, 3, v14
	v_subrev_u32_e32 v22, 28, v21
	v_and_b32_e32 v20, 15, v20
	v_lshlrev_b32_e32 v14, v22, v14
	v_sub_u32_e32 v21, 29, v21
	v_and_b32_e32 v14, 7, v14
	v_cmp_eq_u16_e32 vcc, 0, v20
	v_cndmask_b32_e32 v10, v10, v14, vcc
	v_cndmask_b32_e32 v14, v20, v21, vcc
	v_lshlrev_b32_e32 v20, 16, v15
	v_mov_b32_e32 v21, 0x3b800000
	v_lshlrev_b32_e32 v10, 20, v10
	v_and_b32_e32 v20, 0x80000000, v20
	v_lshl_add_u32 v14, v14, 23, v21
	v_or3_b32 v10, v20, v14, v10
.LBB6_1580:
	s_or_b64 exec, exec, s[6:7]
	v_lshrrev_b32_e32 v14, 8, v11
	s_movk_i32 s4, 0x7f
	v_cmp_gt_i16_sdwa s[6:7], v14, s4 src0_sel:BYTE_0 src1_sel:DWORD
	s_mov_b64 s[4:5], 0
                                        ; implicit-def: $sgpr10
	s_and_saveexec_b64 s[8:9], s[6:7]
	s_xor_b64 s[6:7], exec, s[8:9]
	s_cbranch_execnz .LBB6_3629
; %bb.1581:
	s_or_saveexec_b64 s[6:7], s[6:7]
	v_mov_b32_e32 v20, s10
	s_xor_b64 exec, exec, s[6:7]
	s_cbranch_execnz .LBB6_3632
.LBB6_1582:
	s_or_b64 exec, exec, s[6:7]
	s_and_saveexec_b64 s[6:7], s[4:5]
	s_cbranch_execz .LBB6_1584
.LBB6_1583:
	v_bfe_u32 v20, v11, 8, 3
	v_ffbh_u32_e32 v22, v20
	v_min_u32_e32 v22, 32, v22
	v_lshrrev_b16_e32 v21, 3, v14
	v_subrev_u32_e32 v23, 28, v22
	v_and_b32_e32 v21, 15, v21
	v_lshlrev_b32_e32 v14, v23, v14
	v_sub_u32_e32 v22, 29, v22
	v_and_b32_e32 v14, 7, v14
	v_cmp_eq_u16_e32 vcc, 0, v21
	v_cndmask_b32_e32 v14, v20, v14, vcc
	v_cndmask_b32_e32 v20, v21, v22, vcc
	v_lshlrev_b32_e32 v21, 16, v11
	v_mov_b32_e32 v22, 0x3b800000
	v_lshlrev_b32_e32 v14, 20, v14
	v_and_b32_e32 v21, 0x80000000, v21
	v_lshl_add_u32 v20, v20, 23, v22
	v_or3_b32 v20, v21, v20, v14
.LBB6_1584:
	s_or_b64 exec, exec, s[6:7]
	s_nop 0
	v_mfma_f32_16x16x4f32 a[0:3], v10, v20, a[0:3]
	s_movk_i32 s4, 0xff
	v_and_b32_sdwa v14, v15, s4 dst_sel:DWORD dst_unused:UNUSED_PAD src0_sel:WORD_1 src1_sel:DWORD
	s_movk_i32 s4, 0x7f
	v_cmp_lt_i16_e32 vcc, s4, v14
	s_mov_b64 s[4:5], 0
                                        ; implicit-def: $sgpr10
	s_and_saveexec_b64 s[6:7], vcc
	s_xor_b64 s[6:7], exec, s[6:7]
	s_cbranch_execnz .LBB6_3633
; %bb.1585:
	s_or_saveexec_b64 s[6:7], s[6:7]
	v_mov_b32_e32 v10, s10
	s_xor_b64 exec, exec, s[6:7]
	s_cbranch_execnz .LBB6_3636
.LBB6_1586:
	s_or_b64 exec, exec, s[6:7]
	s_and_saveexec_b64 s[6:7], s[4:5]
	s_cbranch_execz .LBB6_1588
.LBB6_1587:
	v_bfe_u32 v10, v15, 16, 3
	v_ffbh_u32_e32 v21, v10
	v_min_u32_e32 v21, 32, v21
	v_lshrrev_b32_e32 v14, 19, v15
	v_subrev_u32_e32 v22, 28, v21
	v_and_b32_e32 v14, 15, v14
	v_lshlrev_b32_sdwa v22, v22, v15 dst_sel:DWORD dst_unused:UNUSED_PAD src0_sel:DWORD src1_sel:WORD_1
	v_bfe_u32 v20, v15, 19, 4
	v_sub_u32_e32 v21, 29, v21
	v_and_b32_e32 v22, 7, v22
	v_cmp_eq_u16_e32 vcc, 0, v14
	v_cndmask_b32_e32 v10, v10, v22, vcc
	v_cndmask_b32_e32 v14, v20, v21, vcc
	v_lshlrev_b32_e32 v20, 8, v15
	v_mov_b32_e32 v21, 0x3b800000
	v_lshlrev_b32_e32 v10, 20, v10
	v_and_b32_e32 v20, 0x80000000, v20
	v_lshl_add_u32 v14, v14, 23, v21
	v_or3_b32 v10, v20, v14, v10
.LBB6_1588:
	s_or_b64 exec, exec, s[6:7]
	s_movk_i32 s4, 0xff
	v_and_b32_sdwa v14, v11, s4 dst_sel:DWORD dst_unused:UNUSED_PAD src0_sel:WORD_1 src1_sel:DWORD
	s_movk_i32 s4, 0x7f
	v_cmp_lt_i16_e32 vcc, s4, v14
	s_mov_b64 s[4:5], 0
                                        ; implicit-def: $sgpr10
	s_and_saveexec_b64 s[6:7], vcc
	s_xor_b64 s[6:7], exec, s[6:7]
	s_cbranch_execnz .LBB6_3637
; %bb.1589:
	s_or_saveexec_b64 s[6:7], s[6:7]
	v_mov_b32_e32 v20, s10
	s_xor_b64 exec, exec, s[6:7]
	s_cbranch_execnz .LBB6_3640
.LBB6_1590:
	s_or_b64 exec, exec, s[6:7]
	s_and_saveexec_b64 s[6:7], s[4:5]
	s_cbranch_execz .LBB6_1592
.LBB6_1591:
	v_bfe_u32 v14, v11, 16, 3
	v_ffbh_u32_e32 v22, v14
	v_min_u32_e32 v22, 32, v22
	v_lshrrev_b32_e32 v20, 19, v11
	v_subrev_u32_e32 v23, 28, v22
	v_and_b32_e32 v20, 15, v20
	v_lshlrev_b32_sdwa v23, v23, v11 dst_sel:DWORD dst_unused:UNUSED_PAD src0_sel:DWORD src1_sel:WORD_1
	v_bfe_u32 v21, v11, 19, 4
	v_sub_u32_e32 v22, 29, v22
	v_and_b32_e32 v23, 7, v23
	v_cmp_eq_u16_e32 vcc, 0, v20
	v_cndmask_b32_e32 v14, v14, v23, vcc
	v_cndmask_b32_e32 v20, v21, v22, vcc
	v_lshlrev_b32_e32 v21, 8, v11
	v_mov_b32_e32 v22, 0x3b800000
	v_lshlrev_b32_e32 v14, 20, v14
	v_and_b32_e32 v21, 0x80000000, v21
	v_lshl_add_u32 v20, v20, 23, v22
	v_or3_b32 v20, v21, v20, v14
.LBB6_1592:
	s_or_b64 exec, exec, s[6:7]
	s_nop 0
	v_mfma_f32_16x16x4f32 a[0:3], v10, v20, a[0:3]
	s_movk_i32 s4, 0x7f
	v_cmp_gt_i16_sdwa s[6:7], v15, s4 src0_sel:BYTE_3 src1_sel:DWORD
	s_mov_b64 s[4:5], 0
                                        ; implicit-def: $sgpr10
	s_and_saveexec_b64 s[8:9], s[6:7]
	s_xor_b64 s[6:7], exec, s[8:9]
	s_cbranch_execnz .LBB6_3641
; %bb.1593:
	s_or_saveexec_b64 s[6:7], s[6:7]
	v_mov_b32_e32 v10, s10
	s_xor_b64 exec, exec, s[6:7]
	s_cbranch_execnz .LBB6_3644
.LBB6_1594:
	s_or_b64 exec, exec, s[6:7]
	s_and_saveexec_b64 s[6:7], s[4:5]
	s_cbranch_execz .LBB6_1596
.LBB6_1595:
	v_bfe_u32 v10, v15, 24, 3
	v_ffbh_u32_e32 v22, v10
	v_min_u32_e32 v22, 32, v22
	v_lshrrev_b32_e32 v20, 27, v15
	v_subrev_u32_e32 v23, 28, v22
	v_and_b32_e32 v14, 0x80000000, v15
	v_and_b32_e32 v20, 15, v20
	v_bfe_u32 v21, v15, 27, 4
	v_lshlrev_b32_sdwa v15, v23, v15 dst_sel:DWORD dst_unused:UNUSED_PAD src0_sel:DWORD src1_sel:BYTE_3
	v_sub_u32_e32 v22, 29, v22
	v_and_b32_e32 v15, 7, v15
	v_cmp_eq_u16_e32 vcc, 0, v20
	v_cndmask_b32_e32 v10, v10, v15, vcc
	v_cndmask_b32_e32 v15, v21, v22, vcc
	v_mov_b32_e32 v20, 0x3b800000
	v_lshlrev_b32_e32 v10, 20, v10
	v_lshl_add_u32 v15, v15, 23, v20
	v_or3_b32 v10, v14, v15, v10
.LBB6_1596:
	s_or_b64 exec, exec, s[6:7]
	s_movk_i32 s4, 0x7f
	v_cmp_gt_i16_sdwa s[6:7], v11, s4 src0_sel:BYTE_3 src1_sel:DWORD
	s_mov_b64 s[4:5], 0
                                        ; implicit-def: $sgpr10
	s_and_saveexec_b64 s[8:9], s[6:7]
	s_xor_b64 s[6:7], exec, s[8:9]
	s_cbranch_execnz .LBB6_3645
; %bb.1597:
	s_or_saveexec_b64 s[6:7], s[6:7]
	v_mov_b32_e32 v14, s10
	s_xor_b64 exec, exec, s[6:7]
	s_cbranch_execnz .LBB6_3648
.LBB6_1598:
	s_or_b64 exec, exec, s[6:7]
	s_and_saveexec_b64 s[6:7], s[4:5]
	s_cbranch_execz .LBB6_1600
.LBB6_1599:
	v_bfe_u32 v14, v11, 24, 3
	v_ffbh_u32_e32 v22, v14
	v_min_u32_e32 v22, 32, v22
	v_lshrrev_b32_e32 v20, 27, v11
	v_subrev_u32_e32 v23, 28, v22
	v_and_b32_e32 v15, 0x80000000, v11
	v_and_b32_e32 v20, 15, v20
	v_bfe_u32 v21, v11, 27, 4
	v_lshlrev_b32_sdwa v11, v23, v11 dst_sel:DWORD dst_unused:UNUSED_PAD src0_sel:DWORD src1_sel:BYTE_3
	v_sub_u32_e32 v22, 29, v22
	v_and_b32_e32 v11, 7, v11
	v_cmp_eq_u16_e32 vcc, 0, v20
	v_cndmask_b32_e32 v11, v14, v11, vcc
	v_cndmask_b32_e32 v14, v21, v22, vcc
	v_mov_b32_e32 v20, 0x3b800000
	v_lshlrev_b32_e32 v11, 20, v11
	v_lshl_add_u32 v14, v14, 23, v20
	v_or3_b32 v14, v15, v14, v11
.LBB6_1600:
	s_or_b64 exec, exec, s[6:7]
	s_nop 0
	v_mfma_f32_16x16x4f32 a[0:3], v10, v14, a[0:3]
	s_movk_i32 s4, 0x7f
	v_cmp_gt_i16_sdwa s[6:7], v16, s4 src0_sel:BYTE_0 src1_sel:DWORD
	s_mov_b64 s[4:5], 0
                                        ; implicit-def: $sgpr10
	s_and_saveexec_b64 s[8:9], s[6:7]
	s_xor_b64 s[6:7], exec, s[8:9]
	s_cbranch_execnz .LBB6_3649
; %bb.1601:
	s_or_saveexec_b64 s[6:7], s[6:7]
	v_mov_b32_e32 v10, s10
	s_xor_b64 exec, exec, s[6:7]
	s_cbranch_execnz .LBB6_3652
.LBB6_1602:
	s_or_b64 exec, exec, s[6:7]
	s_and_saveexec_b64 s[6:7], s[4:5]
	s_cbranch_execz .LBB6_1604
.LBB6_1603:
	v_and_b32_e32 v10, 7, v16
	v_ffbh_u32_e32 v14, v10
	v_min_u32_e32 v14, 32, v14
	v_lshrrev_b16_e32 v11, 3, v16
	v_subrev_u32_e32 v15, 28, v14
	v_and_b32_e32 v11, 15, v11
	v_lshlrev_b32_e32 v15, v15, v16
	v_sub_u32_e32 v14, 29, v14
	v_and_b32_e32 v15, 7, v15
	v_cmp_eq_u16_e32 vcc, 0, v11
	v_cndmask_b32_e32 v10, v10, v15, vcc
	v_cndmask_b32_e32 v11, v11, v14, vcc
	v_lshlrev_b32_e32 v14, 24, v16
	v_mov_b32_e32 v15, 0x3b800000
	v_lshlrev_b32_e32 v10, 20, v10
	v_and_b32_e32 v14, 0x80000000, v14
	v_lshl_add_u32 v11, v11, 23, v15
	v_or3_b32 v10, v14, v11, v10
.LBB6_1604:
	s_or_b64 exec, exec, s[6:7]
	s_movk_i32 s4, 0x7f
	v_cmp_gt_i16_sdwa s[6:7], v12, s4 src0_sel:BYTE_0 src1_sel:DWORD
	s_mov_b64 s[4:5], 0
                                        ; implicit-def: $sgpr10
	s_and_saveexec_b64 s[8:9], s[6:7]
	s_xor_b64 s[6:7], exec, s[8:9]
	s_cbranch_execnz .LBB6_3653
; %bb.1605:
	s_or_saveexec_b64 s[6:7], s[6:7]
	v_mov_b32_e32 v11, s10
	s_xor_b64 exec, exec, s[6:7]
	s_cbranch_execnz .LBB6_3656
.LBB6_1606:
	s_or_b64 exec, exec, s[6:7]
	s_and_saveexec_b64 s[6:7], s[4:5]
	s_cbranch_execz .LBB6_1608
.LBB6_1607:
	v_and_b32_e32 v11, 7, v12
	v_ffbh_u32_e32 v15, v11
	v_min_u32_e32 v15, 32, v15
	v_lshrrev_b16_e32 v14, 3, v12
	v_subrev_u32_e32 v20, 28, v15
	v_and_b32_e32 v14, 15, v14
	v_lshlrev_b32_e32 v20, v20, v12
	v_sub_u32_e32 v15, 29, v15
	v_and_b32_e32 v20, 7, v20
	v_cmp_eq_u16_e32 vcc, 0, v14
	v_cndmask_b32_e32 v11, v11, v20, vcc
	v_cndmask_b32_e32 v14, v14, v15, vcc
	v_lshlrev_b32_e32 v15, 24, v12
	v_mov_b32_e32 v20, 0x3b800000
	v_lshlrev_b32_e32 v11, 20, v11
	v_and_b32_e32 v15, 0x80000000, v15
	v_lshl_add_u32 v14, v14, 23, v20
	v_or3_b32 v11, v15, v14, v11
.LBB6_1608:
	s_or_b64 exec, exec, s[6:7]
	s_nop 0
	v_mfma_f32_16x16x4f32 a[0:3], v10, v11, a[0:3]
	v_lshrrev_b32_e32 v11, 8, v16
	s_movk_i32 s4, 0x7f
	v_cmp_gt_i16_sdwa s[6:7], v11, s4 src0_sel:BYTE_0 src1_sel:DWORD
	s_mov_b64 s[4:5], 0
                                        ; implicit-def: $sgpr10
	s_and_saveexec_b64 s[8:9], s[6:7]
	s_xor_b64 s[6:7], exec, s[8:9]
	s_cbranch_execnz .LBB6_3657
; %bb.1609:
	s_or_saveexec_b64 s[6:7], s[6:7]
	v_mov_b32_e32 v10, s10
	s_xor_b64 exec, exec, s[6:7]
	s_cbranch_execnz .LBB6_3660
.LBB6_1610:
	s_or_b64 exec, exec, s[6:7]
	s_and_saveexec_b64 s[6:7], s[4:5]
	s_cbranch_execz .LBB6_1612
.LBB6_1611:
	v_bfe_u32 v10, v16, 8, 3
	v_ffbh_u32_e32 v15, v10
	v_min_u32_e32 v15, 32, v15
	v_lshrrev_b16_e32 v14, 3, v11
	v_subrev_u32_e32 v20, 28, v15
	v_and_b32_e32 v14, 15, v14
	v_lshlrev_b32_e32 v11, v20, v11
	v_sub_u32_e32 v15, 29, v15
	v_and_b32_e32 v11, 7, v11
	v_cmp_eq_u16_e32 vcc, 0, v14
	v_cndmask_b32_e32 v10, v10, v11, vcc
	v_cndmask_b32_e32 v11, v14, v15, vcc
	v_lshlrev_b32_e32 v14, 16, v16
	v_mov_b32_e32 v15, 0x3b800000
	v_lshlrev_b32_e32 v10, 20, v10
	v_and_b32_e32 v14, 0x80000000, v14
	v_lshl_add_u32 v11, v11, 23, v15
	v_or3_b32 v10, v14, v11, v10
.LBB6_1612:
	s_or_b64 exec, exec, s[6:7]
	v_lshrrev_b32_e32 v11, 8, v12
	s_movk_i32 s4, 0x7f
	v_cmp_gt_i16_sdwa s[6:7], v11, s4 src0_sel:BYTE_0 src1_sel:DWORD
	s_mov_b64 s[4:5], 0
                                        ; implicit-def: $sgpr10
	s_and_saveexec_b64 s[8:9], s[6:7]
	s_xor_b64 s[6:7], exec, s[8:9]
	s_cbranch_execnz .LBB6_3661
; %bb.1613:
	s_or_saveexec_b64 s[6:7], s[6:7]
	v_mov_b32_e32 v14, s10
	s_xor_b64 exec, exec, s[6:7]
	s_cbranch_execnz .LBB6_3664
.LBB6_1614:
	s_or_b64 exec, exec, s[6:7]
	s_and_saveexec_b64 s[6:7], s[4:5]
	s_cbranch_execz .LBB6_1616
.LBB6_1615:
	v_bfe_u32 v14, v12, 8, 3
	v_ffbh_u32_e32 v20, v14
	v_min_u32_e32 v20, 32, v20
	v_lshrrev_b16_e32 v15, 3, v11
	v_subrev_u32_e32 v21, 28, v20
	v_and_b32_e32 v15, 15, v15
	v_lshlrev_b32_e32 v11, v21, v11
	v_sub_u32_e32 v20, 29, v20
	v_and_b32_e32 v11, 7, v11
	v_cmp_eq_u16_e32 vcc, 0, v15
	v_cndmask_b32_e32 v11, v14, v11, vcc
	v_cndmask_b32_e32 v14, v15, v20, vcc
	v_lshlrev_b32_e32 v15, 16, v12
	v_mov_b32_e32 v20, 0x3b800000
	v_lshlrev_b32_e32 v11, 20, v11
	v_and_b32_e32 v15, 0x80000000, v15
	v_lshl_add_u32 v14, v14, 23, v20
	v_or3_b32 v14, v15, v14, v11
.LBB6_1616:
	s_or_b64 exec, exec, s[6:7]
	s_nop 0
	v_mfma_f32_16x16x4f32 a[0:3], v10, v14, a[0:3]
	s_movk_i32 s4, 0xff
	v_and_b32_sdwa v11, v16, s4 dst_sel:DWORD dst_unused:UNUSED_PAD src0_sel:WORD_1 src1_sel:DWORD
	s_movk_i32 s4, 0x7f
	v_cmp_lt_i16_e32 vcc, s4, v11
	s_mov_b64 s[4:5], 0
                                        ; implicit-def: $sgpr10
	s_and_saveexec_b64 s[6:7], vcc
	s_xor_b64 s[6:7], exec, s[6:7]
	s_cbranch_execnz .LBB6_3665
; %bb.1617:
	s_or_saveexec_b64 s[6:7], s[6:7]
	v_mov_b32_e32 v10, s10
	s_xor_b64 exec, exec, s[6:7]
	s_cbranch_execnz .LBB6_3668
.LBB6_1618:
	s_or_b64 exec, exec, s[6:7]
	s_and_saveexec_b64 s[6:7], s[4:5]
	s_cbranch_execz .LBB6_1620
.LBB6_1619:
	v_bfe_u32 v10, v16, 16, 3
	v_ffbh_u32_e32 v15, v10
	v_min_u32_e32 v15, 32, v15
	v_lshrrev_b32_e32 v11, 19, v16
	v_subrev_u32_e32 v20, 28, v15
	v_and_b32_e32 v11, 15, v11
	v_lshlrev_b32_sdwa v20, v20, v16 dst_sel:DWORD dst_unused:UNUSED_PAD src0_sel:DWORD src1_sel:WORD_1
	v_bfe_u32 v14, v16, 19, 4
	v_sub_u32_e32 v15, 29, v15
	v_and_b32_e32 v20, 7, v20
	v_cmp_eq_u16_e32 vcc, 0, v11
	v_cndmask_b32_e32 v10, v10, v20, vcc
	v_cndmask_b32_e32 v11, v14, v15, vcc
	v_lshlrev_b32_e32 v14, 8, v16
	v_mov_b32_e32 v15, 0x3b800000
	v_lshlrev_b32_e32 v10, 20, v10
	v_and_b32_e32 v14, 0x80000000, v14
	v_lshl_add_u32 v11, v11, 23, v15
	v_or3_b32 v10, v14, v11, v10
.LBB6_1620:
	s_or_b64 exec, exec, s[6:7]
	s_movk_i32 s4, 0xff
	v_and_b32_sdwa v11, v12, s4 dst_sel:DWORD dst_unused:UNUSED_PAD src0_sel:WORD_1 src1_sel:DWORD
	s_movk_i32 s4, 0x7f
	v_cmp_lt_i16_e32 vcc, s4, v11
	s_mov_b64 s[4:5], 0
                                        ; implicit-def: $sgpr10
	s_and_saveexec_b64 s[6:7], vcc
	s_xor_b64 s[6:7], exec, s[6:7]
	s_cbranch_execnz .LBB6_3669
; %bb.1621:
	s_or_saveexec_b64 s[6:7], s[6:7]
	v_mov_b32_e32 v14, s10
	s_xor_b64 exec, exec, s[6:7]
	s_cbranch_execnz .LBB6_3672
.LBB6_1622:
	s_or_b64 exec, exec, s[6:7]
	s_and_saveexec_b64 s[6:7], s[4:5]
	s_cbranch_execz .LBB6_1624
.LBB6_1623:
	v_bfe_u32 v11, v12, 16, 3
	v_ffbh_u32_e32 v20, v11
	v_min_u32_e32 v20, 32, v20
	v_lshrrev_b32_e32 v14, 19, v12
	v_subrev_u32_e32 v21, 28, v20
	v_and_b32_e32 v14, 15, v14
	v_lshlrev_b32_sdwa v21, v21, v12 dst_sel:DWORD dst_unused:UNUSED_PAD src0_sel:DWORD src1_sel:WORD_1
	v_bfe_u32 v15, v12, 19, 4
	v_sub_u32_e32 v20, 29, v20
	v_and_b32_e32 v21, 7, v21
	v_cmp_eq_u16_e32 vcc, 0, v14
	v_cndmask_b32_e32 v11, v11, v21, vcc
	v_cndmask_b32_e32 v14, v15, v20, vcc
	v_lshlrev_b32_e32 v15, 8, v12
	v_mov_b32_e32 v20, 0x3b800000
	v_lshlrev_b32_e32 v11, 20, v11
	v_and_b32_e32 v15, 0x80000000, v15
	v_lshl_add_u32 v14, v14, 23, v20
	v_or3_b32 v14, v15, v14, v11
.LBB6_1624:
	s_or_b64 exec, exec, s[6:7]
	s_nop 0
	v_mfma_f32_16x16x4f32 a[0:3], v10, v14, a[0:3]
	s_movk_i32 s4, 0x7f
	v_cmp_gt_i16_sdwa s[6:7], v16, s4 src0_sel:BYTE_3 src1_sel:DWORD
	s_mov_b64 s[4:5], 0
                                        ; implicit-def: $sgpr10
	s_and_saveexec_b64 s[8:9], s[6:7]
	s_xor_b64 s[6:7], exec, s[8:9]
	s_cbranch_execnz .LBB6_3673
; %bb.1625:
	s_or_saveexec_b64 s[6:7], s[6:7]
	v_mov_b32_e32 v10, s10
	s_xor_b64 exec, exec, s[6:7]
	s_cbranch_execnz .LBB6_3676
.LBB6_1626:
	s_or_b64 exec, exec, s[6:7]
	s_and_saveexec_b64 s[6:7], s[4:5]
	s_cbranch_execz .LBB6_1628
.LBB6_1627:
	v_bfe_u32 v10, v16, 24, 3
	v_ffbh_u32_e32 v20, v10
	v_min_u32_e32 v20, 32, v20
	v_lshrrev_b32_e32 v14, 27, v16
	v_subrev_u32_e32 v21, 28, v20
	v_and_b32_e32 v11, 0x80000000, v16
	v_and_b32_e32 v14, 15, v14
	v_bfe_u32 v15, v16, 27, 4
	v_lshlrev_b32_sdwa v16, v21, v16 dst_sel:DWORD dst_unused:UNUSED_PAD src0_sel:DWORD src1_sel:BYTE_3
	v_sub_u32_e32 v20, 29, v20
	v_and_b32_e32 v16, 7, v16
	v_cmp_eq_u16_e32 vcc, 0, v14
	v_cndmask_b32_e32 v10, v10, v16, vcc
	v_cndmask_b32_e32 v14, v15, v20, vcc
	v_mov_b32_e32 v15, 0x3b800000
	v_lshlrev_b32_e32 v10, 20, v10
	v_lshl_add_u32 v14, v14, 23, v15
	v_or3_b32 v10, v11, v14, v10
.LBB6_1628:
	s_or_b64 exec, exec, s[6:7]
	s_movk_i32 s4, 0x7f
	v_cmp_gt_i16_sdwa s[6:7], v12, s4 src0_sel:BYTE_3 src1_sel:DWORD
	s_mov_b64 s[4:5], 0
                                        ; implicit-def: $sgpr10
	s_and_saveexec_b64 s[8:9], s[6:7]
	s_xor_b64 s[6:7], exec, s[8:9]
	s_cbranch_execnz .LBB6_3677
; %bb.1629:
	s_or_saveexec_b64 s[6:7], s[6:7]
	v_mov_b32_e32 v11, s10
	s_xor_b64 exec, exec, s[6:7]
	s_cbranch_execnz .LBB6_3680
.LBB6_1630:
	s_or_b64 exec, exec, s[6:7]
	s_and_saveexec_b64 s[6:7], s[4:5]
	s_cbranch_execz .LBB6_1632
.LBB6_1631:
	v_bfe_u32 v11, v12, 24, 3
	v_ffbh_u32_e32 v20, v11
	v_min_u32_e32 v20, 32, v20
	v_lshrrev_b32_e32 v15, 27, v12
	v_subrev_u32_e32 v21, 28, v20
	v_and_b32_e32 v14, 0x80000000, v12
	v_and_b32_e32 v15, 15, v15
	v_bfe_u32 v16, v12, 27, 4
	v_lshlrev_b32_sdwa v12, v21, v12 dst_sel:DWORD dst_unused:UNUSED_PAD src0_sel:DWORD src1_sel:BYTE_3
	v_sub_u32_e32 v20, 29, v20
	v_and_b32_e32 v12, 7, v12
	v_cmp_eq_u16_e32 vcc, 0, v15
	v_cndmask_b32_e32 v11, v11, v12, vcc
	v_cndmask_b32_e32 v12, v16, v20, vcc
	v_mov_b32_e32 v15, 0x3b800000
	v_lshlrev_b32_e32 v11, 20, v11
	v_lshl_add_u32 v12, v12, 23, v15
	v_or3_b32 v11, v14, v12, v11
.LBB6_1632:
	s_or_b64 exec, exec, s[6:7]
	s_nop 0
	v_mfma_f32_16x16x4f32 a[0:3], v10, v11, a[0:3]
	s_movk_i32 s4, 0x7f
	v_cmp_gt_i16_sdwa s[6:7], v17, s4 src0_sel:BYTE_0 src1_sel:DWORD
	s_mov_b64 s[4:5], 0
                                        ; implicit-def: $sgpr10
	s_and_saveexec_b64 s[8:9], s[6:7]
	s_xor_b64 s[6:7], exec, s[8:9]
	s_cbranch_execnz .LBB6_3681
; %bb.1633:
	s_or_saveexec_b64 s[6:7], s[6:7]
	v_mov_b32_e32 v10, s10
	s_xor_b64 exec, exec, s[6:7]
	s_cbranch_execnz .LBB6_3684
.LBB6_1634:
	s_or_b64 exec, exec, s[6:7]
	s_and_saveexec_b64 s[6:7], s[4:5]
	s_cbranch_execz .LBB6_1636
.LBB6_1635:
	v_and_b32_e32 v10, 7, v17
	v_ffbh_u32_e32 v12, v10
	v_min_u32_e32 v12, 32, v12
	v_lshrrev_b16_e32 v11, 3, v17
	v_subrev_u32_e32 v14, 28, v12
	v_and_b32_e32 v11, 15, v11
	v_lshlrev_b32_e32 v14, v14, v17
	v_sub_u32_e32 v12, 29, v12
	v_and_b32_e32 v14, 7, v14
	v_cmp_eq_u16_e32 vcc, 0, v11
	v_cndmask_b32_e32 v10, v10, v14, vcc
	v_cndmask_b32_e32 v11, v11, v12, vcc
	v_lshlrev_b32_e32 v12, 24, v17
	v_mov_b32_e32 v14, 0x3b800000
	v_lshlrev_b32_e32 v10, 20, v10
	v_and_b32_e32 v12, 0x80000000, v12
	v_lshl_add_u32 v11, v11, 23, v14
	v_or3_b32 v10, v12, v11, v10
.LBB6_1636:
	s_or_b64 exec, exec, s[6:7]
	s_movk_i32 s4, 0x7f
	v_cmp_gt_i16_sdwa s[6:7], v13, s4 src0_sel:BYTE_0 src1_sel:DWORD
	s_mov_b64 s[4:5], 0
                                        ; implicit-def: $sgpr10
	s_and_saveexec_b64 s[8:9], s[6:7]
	s_xor_b64 s[6:7], exec, s[8:9]
	s_cbranch_execnz .LBB6_3685
; %bb.1637:
	s_or_saveexec_b64 s[6:7], s[6:7]
	v_mov_b32_e32 v11, s10
	s_xor_b64 exec, exec, s[6:7]
	s_cbranch_execnz .LBB6_3688
.LBB6_1638:
	s_or_b64 exec, exec, s[6:7]
	s_and_saveexec_b64 s[6:7], s[4:5]
	s_cbranch_execz .LBB6_1640
.LBB6_1639:
	v_and_b32_e32 v11, 7, v13
	v_ffbh_u32_e32 v14, v11
	v_min_u32_e32 v14, 32, v14
	v_lshrrev_b16_e32 v12, 3, v13
	v_subrev_u32_e32 v15, 28, v14
	v_and_b32_e32 v12, 15, v12
	v_lshlrev_b32_e32 v15, v15, v13
	v_sub_u32_e32 v14, 29, v14
	v_and_b32_e32 v15, 7, v15
	v_cmp_eq_u16_e32 vcc, 0, v12
	v_cndmask_b32_e32 v11, v11, v15, vcc
	v_cndmask_b32_e32 v12, v12, v14, vcc
	v_lshlrev_b32_e32 v14, 24, v13
	v_mov_b32_e32 v15, 0x3b800000
	v_lshlrev_b32_e32 v11, 20, v11
	v_and_b32_e32 v14, 0x80000000, v14
	v_lshl_add_u32 v12, v12, 23, v15
	v_or3_b32 v11, v14, v12, v11
.LBB6_1640:
	s_or_b64 exec, exec, s[6:7]
	s_nop 0
	v_mfma_f32_16x16x4f32 a[0:3], v10, v11, a[0:3]
	v_lshrrev_b32_e32 v11, 8, v17
	s_movk_i32 s4, 0x7f
	v_cmp_gt_i16_sdwa s[6:7], v11, s4 src0_sel:BYTE_0 src1_sel:DWORD
	s_mov_b64 s[4:5], 0
                                        ; implicit-def: $sgpr10
	s_and_saveexec_b64 s[8:9], s[6:7]
	s_xor_b64 s[6:7], exec, s[8:9]
	s_cbranch_execnz .LBB6_3689
; %bb.1641:
	s_or_saveexec_b64 s[6:7], s[6:7]
	v_mov_b32_e32 v10, s10
	s_xor_b64 exec, exec, s[6:7]
	s_cbranch_execnz .LBB6_3692
.LBB6_1642:
	s_or_b64 exec, exec, s[6:7]
	s_and_saveexec_b64 s[6:7], s[4:5]
	s_cbranch_execz .LBB6_1644
.LBB6_1643:
	v_bfe_u32 v10, v17, 8, 3
	v_ffbh_u32_e32 v14, v10
	v_min_u32_e32 v14, 32, v14
	v_lshrrev_b16_e32 v12, 3, v11
	v_subrev_u32_e32 v15, 28, v14
	v_and_b32_e32 v12, 15, v12
	v_lshlrev_b32_e32 v11, v15, v11
	v_sub_u32_e32 v14, 29, v14
	v_and_b32_e32 v11, 7, v11
	v_cmp_eq_u16_e32 vcc, 0, v12
	v_cndmask_b32_e32 v10, v10, v11, vcc
	v_cndmask_b32_e32 v11, v12, v14, vcc
	v_lshlrev_b32_e32 v12, 16, v17
	v_mov_b32_e32 v14, 0x3b800000
	v_lshlrev_b32_e32 v10, 20, v10
	v_and_b32_e32 v12, 0x80000000, v12
	v_lshl_add_u32 v11, v11, 23, v14
	v_or3_b32 v10, v12, v11, v10
.LBB6_1644:
	s_or_b64 exec, exec, s[6:7]
	v_lshrrev_b32_e32 v11, 8, v13
	s_movk_i32 s4, 0x7f
	v_cmp_gt_i16_sdwa s[6:7], v11, s4 src0_sel:BYTE_0 src1_sel:DWORD
	s_mov_b64 s[4:5], 0
                                        ; implicit-def: $sgpr10
	s_and_saveexec_b64 s[8:9], s[6:7]
	s_xor_b64 s[6:7], exec, s[8:9]
	s_cbranch_execnz .LBB6_3693
; %bb.1645:
	s_or_saveexec_b64 s[6:7], s[6:7]
	v_mov_b32_e32 v12, s10
	s_xor_b64 exec, exec, s[6:7]
	s_cbranch_execnz .LBB6_3696
.LBB6_1646:
	s_or_b64 exec, exec, s[6:7]
	s_and_saveexec_b64 s[6:7], s[4:5]
	s_cbranch_execz .LBB6_1648
.LBB6_1647:
	v_bfe_u32 v12, v13, 8, 3
	v_ffbh_u32_e32 v15, v12
	v_min_u32_e32 v15, 32, v15
	v_lshrrev_b16_e32 v14, 3, v11
	v_subrev_u32_e32 v16, 28, v15
	v_and_b32_e32 v14, 15, v14
	v_lshlrev_b32_e32 v11, v16, v11
	v_sub_u32_e32 v15, 29, v15
	v_and_b32_e32 v11, 7, v11
	v_cmp_eq_u16_e32 vcc, 0, v14
	v_cndmask_b32_e32 v11, v12, v11, vcc
	v_cndmask_b32_e32 v12, v14, v15, vcc
	v_lshlrev_b32_e32 v14, 16, v13
	v_mov_b32_e32 v15, 0x3b800000
	v_lshlrev_b32_e32 v11, 20, v11
	v_and_b32_e32 v14, 0x80000000, v14
	v_lshl_add_u32 v12, v12, 23, v15
	v_or3_b32 v12, v14, v12, v11
.LBB6_1648:
	s_or_b64 exec, exec, s[6:7]
	s_nop 0
	v_mfma_f32_16x16x4f32 a[0:3], v10, v12, a[0:3]
	s_movk_i32 s4, 0xff
	v_and_b32_sdwa v11, v17, s4 dst_sel:DWORD dst_unused:UNUSED_PAD src0_sel:WORD_1 src1_sel:DWORD
	s_movk_i32 s4, 0x7f
	v_cmp_lt_i16_e32 vcc, s4, v11
	s_mov_b64 s[4:5], 0
                                        ; implicit-def: $sgpr10
	s_and_saveexec_b64 s[6:7], vcc
	s_xor_b64 s[6:7], exec, s[6:7]
	s_cbranch_execnz .LBB6_3697
; %bb.1649:
	s_or_saveexec_b64 s[6:7], s[6:7]
	v_mov_b32_e32 v10, s10
	s_xor_b64 exec, exec, s[6:7]
	s_cbranch_execnz .LBB6_3700
.LBB6_1650:
	s_or_b64 exec, exec, s[6:7]
	s_and_saveexec_b64 s[6:7], s[4:5]
	s_cbranch_execz .LBB6_1652
.LBB6_1651:
	v_bfe_u32 v10, v17, 16, 3
	v_ffbh_u32_e32 v14, v10
	v_min_u32_e32 v14, 32, v14
	v_lshrrev_b32_e32 v11, 19, v17
	v_subrev_u32_e32 v15, 28, v14
	v_and_b32_e32 v11, 15, v11
	v_lshlrev_b32_sdwa v15, v15, v17 dst_sel:DWORD dst_unused:UNUSED_PAD src0_sel:DWORD src1_sel:WORD_1
	v_bfe_u32 v12, v17, 19, 4
	v_sub_u32_e32 v14, 29, v14
	v_and_b32_e32 v15, 7, v15
	v_cmp_eq_u16_e32 vcc, 0, v11
	v_cndmask_b32_e32 v10, v10, v15, vcc
	v_cndmask_b32_e32 v11, v12, v14, vcc
	v_lshlrev_b32_e32 v12, 8, v17
	v_mov_b32_e32 v14, 0x3b800000
	v_lshlrev_b32_e32 v10, 20, v10
	v_and_b32_e32 v12, 0x80000000, v12
	v_lshl_add_u32 v11, v11, 23, v14
	v_or3_b32 v10, v12, v11, v10
.LBB6_1652:
	s_or_b64 exec, exec, s[6:7]
	s_movk_i32 s4, 0xff
	v_and_b32_sdwa v11, v13, s4 dst_sel:DWORD dst_unused:UNUSED_PAD src0_sel:WORD_1 src1_sel:DWORD
	s_movk_i32 s4, 0x7f
	v_cmp_lt_i16_e32 vcc, s4, v11
	s_mov_b64 s[4:5], 0
                                        ; implicit-def: $sgpr10
	s_and_saveexec_b64 s[6:7], vcc
	s_xor_b64 s[6:7], exec, s[6:7]
	s_cbranch_execnz .LBB6_3701
; %bb.1653:
	s_or_saveexec_b64 s[6:7], s[6:7]
	v_mov_b32_e32 v12, s10
	s_xor_b64 exec, exec, s[6:7]
	s_cbranch_execnz .LBB6_3704
.LBB6_1654:
	s_or_b64 exec, exec, s[6:7]
	s_and_saveexec_b64 s[6:7], s[4:5]
	s_cbranch_execz .LBB6_1656
.LBB6_1655:
	v_bfe_u32 v11, v13, 16, 3
	v_ffbh_u32_e32 v15, v11
	v_min_u32_e32 v15, 32, v15
	v_lshrrev_b32_e32 v12, 19, v13
	v_subrev_u32_e32 v16, 28, v15
	v_and_b32_e32 v12, 15, v12
	v_lshlrev_b32_sdwa v16, v16, v13 dst_sel:DWORD dst_unused:UNUSED_PAD src0_sel:DWORD src1_sel:WORD_1
	v_bfe_u32 v14, v13, 19, 4
	v_sub_u32_e32 v15, 29, v15
	v_and_b32_e32 v16, 7, v16
	v_cmp_eq_u16_e32 vcc, 0, v12
	v_cndmask_b32_e32 v11, v11, v16, vcc
	v_cndmask_b32_e32 v12, v14, v15, vcc
	v_lshlrev_b32_e32 v14, 8, v13
	v_mov_b32_e32 v15, 0x3b800000
	v_lshlrev_b32_e32 v11, 20, v11
	v_and_b32_e32 v14, 0x80000000, v14
	v_lshl_add_u32 v12, v12, 23, v15
	v_or3_b32 v12, v14, v12, v11
.LBB6_1656:
	s_or_b64 exec, exec, s[6:7]
	s_nop 0
	v_mfma_f32_16x16x4f32 a[0:3], v10, v12, a[0:3]
	s_movk_i32 s4, 0x7f
	v_cmp_gt_i16_sdwa s[6:7], v17, s4 src0_sel:BYTE_3 src1_sel:DWORD
	s_mov_b64 s[4:5], 0
                                        ; implicit-def: $sgpr10
	s_and_saveexec_b64 s[8:9], s[6:7]
	s_xor_b64 s[6:7], exec, s[8:9]
	s_cbranch_execnz .LBB6_3705
; %bb.1657:
	s_or_saveexec_b64 s[6:7], s[6:7]
	v_mov_b32_e32 v10, s10
	s_xor_b64 exec, exec, s[6:7]
	s_cbranch_execnz .LBB6_3708
.LBB6_1658:
	s_or_b64 exec, exec, s[6:7]
	s_and_saveexec_b64 s[6:7], s[4:5]
	s_cbranch_execz .LBB6_1660
.LBB6_1659:
	v_bfe_u32 v10, v17, 24, 3
	v_ffbh_u32_e32 v15, v10
	v_min_u32_e32 v15, 32, v15
	v_lshrrev_b32_e32 v12, 27, v17
	v_subrev_u32_e32 v16, 28, v15
	v_and_b32_e32 v12, 15, v12
	v_lshlrev_b32_sdwa v16, v16, v17 dst_sel:DWORD dst_unused:UNUSED_PAD src0_sel:DWORD src1_sel:BYTE_3
	v_bfe_u32 v14, v17, 27, 4
	v_sub_u32_e32 v15, 29, v15
	v_and_b32_e32 v16, 7, v16
	v_cmp_eq_u16_e32 vcc, 0, v12
	v_cndmask_b32_e32 v10, v10, v16, vcc
	v_cndmask_b32_e32 v12, v14, v15, vcc
	v_mov_b32_e32 v14, 0x3b800000
	v_and_b32_e32 v11, 0x80000000, v17
	v_lshlrev_b32_e32 v10, 20, v10
	v_lshl_add_u32 v12, v12, 23, v14
	v_or3_b32 v10, v11, v12, v10
.LBB6_1660:
	s_or_b64 exec, exec, s[6:7]
	s_movk_i32 s4, 0x7f
	v_cmp_gt_i16_sdwa s[6:7], v13, s4 src0_sel:BYTE_3 src1_sel:DWORD
	s_mov_b64 s[4:5], 0
                                        ; implicit-def: $sgpr10
	s_and_saveexec_b64 s[8:9], s[6:7]
	s_xor_b64 s[6:7], exec, s[8:9]
	s_cbranch_execnz .LBB6_3709
; %bb.1661:
	s_or_saveexec_b64 s[6:7], s[6:7]
	v_mov_b32_e32 v11, s10
	s_xor_b64 exec, exec, s[6:7]
	s_cbranch_execnz .LBB6_3712
.LBB6_1662:
	s_or_b64 exec, exec, s[6:7]
	s_and_saveexec_b64 s[6:7], s[4:5]
	s_cbranch_execz .LBB6_1664
.LBB6_1663:
	v_bfe_u32 v11, v13, 24, 3
	v_ffbh_u32_e32 v16, v11
	v_min_u32_e32 v16, 32, v16
	v_lshrrev_b32_e32 v14, 27, v13
	v_subrev_u32_e32 v17, 28, v16
	v_and_b32_e32 v12, 0x80000000, v13
	v_and_b32_e32 v14, 15, v14
	v_bfe_u32 v15, v13, 27, 4
	v_lshlrev_b32_sdwa v13, v17, v13 dst_sel:DWORD dst_unused:UNUSED_PAD src0_sel:DWORD src1_sel:BYTE_3
	v_sub_u32_e32 v16, 29, v16
	v_and_b32_e32 v13, 7, v13
	v_cmp_eq_u16_e32 vcc, 0, v14
	v_cndmask_b32_e32 v11, v11, v13, vcc
	v_cndmask_b32_e32 v13, v15, v16, vcc
	v_mov_b32_e32 v14, 0x3b800000
	v_lshlrev_b32_e32 v11, 20, v11
	v_lshl_add_u32 v13, v13, 23, v14
	v_or3_b32 v11, v12, v13, v11
.LBB6_1664:
	s_or_b64 exec, exec, s[6:7]
	s_nop 0
	v_mfma_f32_16x16x4f32 a[0:3], v10, v11, a[0:3]
	s_movk_i32 s4, 0x7f
	v_cmp_gt_i16_sdwa s[6:7], v6, s4 src0_sel:BYTE_0 src1_sel:DWORD
	s_mov_b64 s[4:5], 0
                                        ; implicit-def: $sgpr10
	s_and_saveexec_b64 s[8:9], s[6:7]
	s_xor_b64 s[6:7], exec, s[8:9]
	s_cbranch_execnz .LBB6_3713
; %bb.1665:
	s_or_saveexec_b64 s[6:7], s[6:7]
	v_mov_b32_e32 v10, s10
	s_xor_b64 exec, exec, s[6:7]
	s_cbranch_execnz .LBB6_3716
.LBB6_1666:
	s_or_b64 exec, exec, s[6:7]
	s_and_saveexec_b64 s[6:7], s[4:5]
	s_cbranch_execz .LBB6_1668
.LBB6_1667:
	v_and_b32_e32 v10, 7, v6
	v_ffbh_u32_e32 v12, v10
	v_min_u32_e32 v12, 32, v12
	v_lshrrev_b16_e32 v11, 3, v6
	v_subrev_u32_e32 v13, 28, v12
	v_and_b32_e32 v11, 15, v11
	v_lshlrev_b32_e32 v13, v13, v6
	v_sub_u32_e32 v12, 29, v12
	v_and_b32_e32 v13, 7, v13
	v_cmp_eq_u16_e32 vcc, 0, v11
	v_cndmask_b32_e32 v10, v10, v13, vcc
	v_cndmask_b32_e32 v11, v11, v12, vcc
	v_lshlrev_b32_e32 v12, 24, v6
	v_mov_b32_e32 v13, 0x3b800000
	v_lshlrev_b32_e32 v10, 20, v10
	v_and_b32_e32 v12, 0x80000000, v12
	v_lshl_add_u32 v11, v11, 23, v13
	v_or3_b32 v10, v12, v11, v10
.LBB6_1668:
	s_or_b64 exec, exec, s[6:7]
	s_movk_i32 s4, 0x7f
	v_cmp_gt_i16_sdwa s[6:7], v2, s4 src0_sel:BYTE_0 src1_sel:DWORD
	s_mov_b64 s[4:5], 0
                                        ; implicit-def: $sgpr10
	s_and_saveexec_b64 s[8:9], s[6:7]
	s_xor_b64 s[6:7], exec, s[8:9]
	s_cbranch_execnz .LBB6_3717
; %bb.1669:
	s_or_saveexec_b64 s[6:7], s[6:7]
	v_mov_b32_e32 v11, s10
	s_xor_b64 exec, exec, s[6:7]
	s_cbranch_execnz .LBB6_3720
.LBB6_1670:
	s_or_b64 exec, exec, s[6:7]
	s_and_saveexec_b64 s[6:7], s[4:5]
	s_cbranch_execz .LBB6_1672
.LBB6_1671:
	v_and_b32_e32 v11, 7, v2
	v_ffbh_u32_e32 v13, v11
	v_min_u32_e32 v13, 32, v13
	v_lshrrev_b16_e32 v12, 3, v2
	v_subrev_u32_e32 v14, 28, v13
	v_and_b32_e32 v12, 15, v12
	v_lshlrev_b32_e32 v14, v14, v2
	v_sub_u32_e32 v13, 29, v13
	v_and_b32_e32 v14, 7, v14
	v_cmp_eq_u16_e32 vcc, 0, v12
	v_cndmask_b32_e32 v11, v11, v14, vcc
	v_cndmask_b32_e32 v12, v12, v13, vcc
	v_lshlrev_b32_e32 v13, 24, v2
	v_mov_b32_e32 v14, 0x3b800000
	v_lshlrev_b32_e32 v11, 20, v11
	v_and_b32_e32 v13, 0x80000000, v13
	v_lshl_add_u32 v12, v12, 23, v14
	v_or3_b32 v11, v13, v12, v11
.LBB6_1672:
	s_or_b64 exec, exec, s[6:7]
	s_nop 0
	v_mfma_f32_16x16x4f32 a[0:3], v10, v11, a[0:3]
	v_lshrrev_b32_e32 v11, 8, v6
	s_movk_i32 s4, 0x7f
	v_cmp_gt_i16_sdwa s[6:7], v11, s4 src0_sel:BYTE_0 src1_sel:DWORD
	s_mov_b64 s[4:5], 0
                                        ; implicit-def: $sgpr10
	s_and_saveexec_b64 s[8:9], s[6:7]
	s_xor_b64 s[6:7], exec, s[8:9]
	s_cbranch_execnz .LBB6_3721
; %bb.1673:
	s_or_saveexec_b64 s[6:7], s[6:7]
	v_mov_b32_e32 v10, s10
	s_xor_b64 exec, exec, s[6:7]
	s_cbranch_execnz .LBB6_3724
.LBB6_1674:
	s_or_b64 exec, exec, s[6:7]
	s_and_saveexec_b64 s[6:7], s[4:5]
	s_cbranch_execz .LBB6_1676
.LBB6_1675:
	v_bfe_u32 v10, v6, 8, 3
	v_ffbh_u32_e32 v13, v10
	v_min_u32_e32 v13, 32, v13
	v_lshrrev_b16_e32 v12, 3, v11
	v_subrev_u32_e32 v14, 28, v13
	v_and_b32_e32 v12, 15, v12
	v_lshlrev_b32_e32 v11, v14, v11
	v_sub_u32_e32 v13, 29, v13
	v_and_b32_e32 v11, 7, v11
	v_cmp_eq_u16_e32 vcc, 0, v12
	v_cndmask_b32_e32 v10, v10, v11, vcc
	v_cndmask_b32_e32 v11, v12, v13, vcc
	v_lshlrev_b32_e32 v12, 16, v6
	v_mov_b32_e32 v13, 0x3b800000
	v_lshlrev_b32_e32 v10, 20, v10
	v_and_b32_e32 v12, 0x80000000, v12
	v_lshl_add_u32 v11, v11, 23, v13
	v_or3_b32 v10, v12, v11, v10
.LBB6_1676:
	s_or_b64 exec, exec, s[6:7]
	v_lshrrev_b32_e32 v11, 8, v2
	s_movk_i32 s4, 0x7f
	v_cmp_gt_i16_sdwa s[6:7], v11, s4 src0_sel:BYTE_0 src1_sel:DWORD
	s_mov_b64 s[4:5], 0
                                        ; implicit-def: $sgpr10
	s_and_saveexec_b64 s[8:9], s[6:7]
	s_xor_b64 s[6:7], exec, s[8:9]
	s_cbranch_execnz .LBB6_3725
; %bb.1677:
	s_or_saveexec_b64 s[6:7], s[6:7]
	v_mov_b32_e32 v12, s10
	s_xor_b64 exec, exec, s[6:7]
	s_cbranch_execnz .LBB6_3728
.LBB6_1678:
	s_or_b64 exec, exec, s[6:7]
	s_and_saveexec_b64 s[6:7], s[4:5]
	s_cbranch_execz .LBB6_1680
.LBB6_1679:
	v_bfe_u32 v12, v2, 8, 3
	v_ffbh_u32_e32 v14, v12
	v_min_u32_e32 v14, 32, v14
	v_lshrrev_b16_e32 v13, 3, v11
	v_subrev_u32_e32 v15, 28, v14
	v_and_b32_e32 v13, 15, v13
	v_lshlrev_b32_e32 v11, v15, v11
	v_sub_u32_e32 v14, 29, v14
	v_and_b32_e32 v11, 7, v11
	v_cmp_eq_u16_e32 vcc, 0, v13
	v_cndmask_b32_e32 v11, v12, v11, vcc
	v_cndmask_b32_e32 v12, v13, v14, vcc
	v_lshlrev_b32_e32 v13, 16, v2
	v_mov_b32_e32 v14, 0x3b800000
	v_lshlrev_b32_e32 v11, 20, v11
	v_and_b32_e32 v13, 0x80000000, v13
	v_lshl_add_u32 v12, v12, 23, v14
	v_or3_b32 v12, v13, v12, v11
.LBB6_1680:
	s_or_b64 exec, exec, s[6:7]
	s_nop 0
	v_mfma_f32_16x16x4f32 a[0:3], v10, v12, a[0:3]
	s_movk_i32 s4, 0xff
	v_and_b32_sdwa v11, v6, s4 dst_sel:DWORD dst_unused:UNUSED_PAD src0_sel:WORD_1 src1_sel:DWORD
	s_movk_i32 s4, 0x7f
	v_cmp_lt_i16_e32 vcc, s4, v11
	s_mov_b64 s[4:5], 0
                                        ; implicit-def: $sgpr10
	s_and_saveexec_b64 s[6:7], vcc
	s_xor_b64 s[6:7], exec, s[6:7]
	s_cbranch_execnz .LBB6_3729
; %bb.1681:
	s_or_saveexec_b64 s[6:7], s[6:7]
	v_mov_b32_e32 v10, s10
	s_xor_b64 exec, exec, s[6:7]
	s_cbranch_execnz .LBB6_3732
.LBB6_1682:
	s_or_b64 exec, exec, s[6:7]
	s_and_saveexec_b64 s[6:7], s[4:5]
	s_cbranch_execz .LBB6_1684
.LBB6_1683:
	v_bfe_u32 v10, v6, 16, 3
	v_ffbh_u32_e32 v13, v10
	v_min_u32_e32 v13, 32, v13
	v_lshrrev_b32_e32 v11, 19, v6
	v_subrev_u32_e32 v14, 28, v13
	v_and_b32_e32 v11, 15, v11
	v_lshlrev_b32_sdwa v14, v14, v6 dst_sel:DWORD dst_unused:UNUSED_PAD src0_sel:DWORD src1_sel:WORD_1
	v_bfe_u32 v12, v6, 19, 4
	v_sub_u32_e32 v13, 29, v13
	v_and_b32_e32 v14, 7, v14
	v_cmp_eq_u16_e32 vcc, 0, v11
	v_cndmask_b32_e32 v10, v10, v14, vcc
	v_cndmask_b32_e32 v11, v12, v13, vcc
	v_lshlrev_b32_e32 v12, 8, v6
	v_mov_b32_e32 v13, 0x3b800000
	v_lshlrev_b32_e32 v10, 20, v10
	v_and_b32_e32 v12, 0x80000000, v12
	v_lshl_add_u32 v11, v11, 23, v13
	v_or3_b32 v10, v12, v11, v10
.LBB6_1684:
	s_or_b64 exec, exec, s[6:7]
	s_movk_i32 s4, 0xff
	v_and_b32_sdwa v11, v2, s4 dst_sel:DWORD dst_unused:UNUSED_PAD src0_sel:WORD_1 src1_sel:DWORD
	s_movk_i32 s4, 0x7f
	v_cmp_lt_i16_e32 vcc, s4, v11
	s_mov_b64 s[4:5], 0
                                        ; implicit-def: $sgpr10
	s_and_saveexec_b64 s[6:7], vcc
	s_xor_b64 s[6:7], exec, s[6:7]
	s_cbranch_execnz .LBB6_3733
; %bb.1685:
	s_or_saveexec_b64 s[6:7], s[6:7]
	v_mov_b32_e32 v12, s10
	s_xor_b64 exec, exec, s[6:7]
	s_cbranch_execnz .LBB6_3736
.LBB6_1686:
	s_or_b64 exec, exec, s[6:7]
	s_and_saveexec_b64 s[6:7], s[4:5]
	s_cbranch_execz .LBB6_1688
.LBB6_1687:
	v_bfe_u32 v11, v2, 16, 3
	v_ffbh_u32_e32 v14, v11
	v_min_u32_e32 v14, 32, v14
	v_lshrrev_b32_e32 v12, 19, v2
	v_subrev_u32_e32 v15, 28, v14
	v_and_b32_e32 v12, 15, v12
	v_lshlrev_b32_sdwa v15, v15, v2 dst_sel:DWORD dst_unused:UNUSED_PAD src0_sel:DWORD src1_sel:WORD_1
	v_bfe_u32 v13, v2, 19, 4
	v_sub_u32_e32 v14, 29, v14
	v_and_b32_e32 v15, 7, v15
	v_cmp_eq_u16_e32 vcc, 0, v12
	v_cndmask_b32_e32 v11, v11, v15, vcc
	v_cndmask_b32_e32 v12, v13, v14, vcc
	v_lshlrev_b32_e32 v13, 8, v2
	v_mov_b32_e32 v14, 0x3b800000
	v_lshlrev_b32_e32 v11, 20, v11
	v_and_b32_e32 v13, 0x80000000, v13
	v_lshl_add_u32 v12, v12, 23, v14
	v_or3_b32 v12, v13, v12, v11
.LBB6_1688:
	s_or_b64 exec, exec, s[6:7]
	s_nop 0
	v_mfma_f32_16x16x4f32 a[0:3], v10, v12, a[0:3]
	s_movk_i32 s4, 0x7f
	v_cmp_gt_i16_sdwa s[6:7], v6, s4 src0_sel:BYTE_3 src1_sel:DWORD
	s_mov_b64 s[4:5], 0
                                        ; implicit-def: $sgpr10
	s_and_saveexec_b64 s[8:9], s[6:7]
	s_xor_b64 s[6:7], exec, s[8:9]
	s_cbranch_execnz .LBB6_3737
; %bb.1689:
	s_or_saveexec_b64 s[6:7], s[6:7]
	v_mov_b32_e32 v10, s10
	s_xor_b64 exec, exec, s[6:7]
	s_cbranch_execnz .LBB6_3740
.LBB6_1690:
	s_or_b64 exec, exec, s[6:7]
	s_and_saveexec_b64 s[6:7], s[4:5]
	s_cbranch_execz .LBB6_1692
.LBB6_1691:
	v_bfe_u32 v10, v6, 24, 3
	v_ffbh_u32_e32 v14, v10
	v_min_u32_e32 v14, 32, v14
	v_lshrrev_b32_e32 v12, 27, v6
	v_subrev_u32_e32 v15, 28, v14
	v_and_b32_e32 v11, 0x80000000, v6
	v_and_b32_e32 v12, 15, v12
	v_bfe_u32 v13, v6, 27, 4
	v_lshlrev_b32_sdwa v6, v15, v6 dst_sel:DWORD dst_unused:UNUSED_PAD src0_sel:DWORD src1_sel:BYTE_3
	v_sub_u32_e32 v14, 29, v14
	v_and_b32_e32 v6, 7, v6
	v_cmp_eq_u16_e32 vcc, 0, v12
	v_cndmask_b32_e32 v6, v10, v6, vcc
	v_cndmask_b32_e32 v10, v13, v14, vcc
	v_mov_b32_e32 v12, 0x3b800000
	v_lshlrev_b32_e32 v6, 20, v6
	v_lshl_add_u32 v10, v10, 23, v12
	v_or3_b32 v10, v11, v10, v6
.LBB6_1692:
	s_or_b64 exec, exec, s[6:7]
	s_movk_i32 s4, 0x7f
	v_cmp_gt_i16_sdwa s[6:7], v2, s4 src0_sel:BYTE_3 src1_sel:DWORD
	s_mov_b64 s[4:5], 0
                                        ; implicit-def: $sgpr10
	s_and_saveexec_b64 s[8:9], s[6:7]
	s_xor_b64 s[6:7], exec, s[8:9]
	s_cbranch_execnz .LBB6_3741
; %bb.1693:
	s_or_saveexec_b64 s[6:7], s[6:7]
	v_mov_b32_e32 v6, s10
	s_xor_b64 exec, exec, s[6:7]
	s_cbranch_execnz .LBB6_3744
.LBB6_1694:
	s_or_b64 exec, exec, s[6:7]
	s_and_saveexec_b64 s[6:7], s[4:5]
	s_cbranch_execz .LBB6_1696
.LBB6_1695:
	v_bfe_u32 v6, v2, 24, 3
	v_ffbh_u32_e32 v14, v6
	v_min_u32_e32 v14, 32, v14
	v_lshrrev_b32_e32 v12, 27, v2
	v_subrev_u32_e32 v15, 28, v14
	v_and_b32_e32 v11, 0x80000000, v2
	v_and_b32_e32 v12, 15, v12
	v_bfe_u32 v13, v2, 27, 4
	v_lshlrev_b32_sdwa v2, v15, v2 dst_sel:DWORD dst_unused:UNUSED_PAD src0_sel:DWORD src1_sel:BYTE_3
	v_sub_u32_e32 v14, 29, v14
	v_and_b32_e32 v2, 7, v2
	v_cmp_eq_u16_e32 vcc, 0, v12
	v_cndmask_b32_e32 v2, v6, v2, vcc
	v_cndmask_b32_e32 v6, v13, v14, vcc
	v_mov_b32_e32 v12, 0x3b800000
	v_lshlrev_b32_e32 v2, 20, v2
	v_lshl_add_u32 v6, v6, 23, v12
	v_or3_b32 v6, v11, v6, v2
.LBB6_1696:
	s_or_b64 exec, exec, s[6:7]
	s_nop 0
	v_mfma_f32_16x16x4f32 a[0:3], v10, v6, a[0:3]
	s_movk_i32 s4, 0x7f
	v_cmp_gt_i16_sdwa s[6:7], v7, s4 src0_sel:BYTE_0 src1_sel:DWORD
	s_mov_b64 s[4:5], 0
                                        ; implicit-def: $sgpr10
	s_and_saveexec_b64 s[8:9], s[6:7]
	s_xor_b64 s[6:7], exec, s[8:9]
	s_cbranch_execnz .LBB6_3745
; %bb.1697:
	s_or_saveexec_b64 s[6:7], s[6:7]
	v_mov_b32_e32 v2, s10
	s_xor_b64 exec, exec, s[6:7]
	s_cbranch_execnz .LBB6_3748
.LBB6_1698:
	s_or_b64 exec, exec, s[6:7]
	s_and_saveexec_b64 s[6:7], s[4:5]
	s_cbranch_execz .LBB6_1700
.LBB6_1699:
	v_and_b32_e32 v2, 7, v7
	v_ffbh_u32_e32 v10, v2
	v_min_u32_e32 v10, 32, v10
	v_lshrrev_b16_e32 v6, 3, v7
	v_subrev_u32_e32 v11, 28, v10
	v_and_b32_e32 v6, 15, v6
	v_lshlrev_b32_e32 v11, v11, v7
	v_sub_u32_e32 v10, 29, v10
	v_and_b32_e32 v11, 7, v11
	v_cmp_eq_u16_e32 vcc, 0, v6
	v_cndmask_b32_e32 v2, v2, v11, vcc
	v_cndmask_b32_e32 v6, v6, v10, vcc
	v_lshlrev_b32_e32 v10, 24, v7
	v_mov_b32_e32 v11, 0x3b800000
	v_lshlrev_b32_e32 v2, 20, v2
	v_and_b32_e32 v10, 0x80000000, v10
	v_lshl_add_u32 v6, v6, 23, v11
	v_or3_b32 v2, v10, v6, v2
.LBB6_1700:
	s_or_b64 exec, exec, s[6:7]
	s_movk_i32 s4, 0x7f
	v_cmp_gt_i16_sdwa s[6:7], v3, s4 src0_sel:BYTE_0 src1_sel:DWORD
	s_mov_b64 s[4:5], 0
                                        ; implicit-def: $sgpr10
	s_and_saveexec_b64 s[8:9], s[6:7]
	s_xor_b64 s[6:7], exec, s[8:9]
	s_cbranch_execnz .LBB6_3749
; %bb.1701:
	s_or_saveexec_b64 s[6:7], s[6:7]
	v_mov_b32_e32 v6, s10
	s_xor_b64 exec, exec, s[6:7]
	s_cbranch_execnz .LBB6_3752
.LBB6_1702:
	s_or_b64 exec, exec, s[6:7]
	s_and_saveexec_b64 s[6:7], s[4:5]
	s_cbranch_execz .LBB6_1704
.LBB6_1703:
	v_and_b32_e32 v6, 7, v3
	v_ffbh_u32_e32 v11, v6
	v_min_u32_e32 v11, 32, v11
	v_lshrrev_b16_e32 v10, 3, v3
	v_subrev_u32_e32 v12, 28, v11
	v_and_b32_e32 v10, 15, v10
	v_lshlrev_b32_e32 v12, v12, v3
	v_sub_u32_e32 v11, 29, v11
	v_and_b32_e32 v12, 7, v12
	v_cmp_eq_u16_e32 vcc, 0, v10
	v_cndmask_b32_e32 v6, v6, v12, vcc
	v_cndmask_b32_e32 v10, v10, v11, vcc
	v_lshlrev_b32_e32 v11, 24, v3
	v_mov_b32_e32 v12, 0x3b800000
	v_lshlrev_b32_e32 v6, 20, v6
	v_and_b32_e32 v11, 0x80000000, v11
	v_lshl_add_u32 v10, v10, 23, v12
	v_or3_b32 v6, v11, v10, v6
.LBB6_1704:
	s_or_b64 exec, exec, s[6:7]
	s_nop 0
	v_mfma_f32_16x16x4f32 a[0:3], v2, v6, a[0:3]
	v_lshrrev_b32_e32 v6, 8, v7
	s_movk_i32 s4, 0x7f
	v_cmp_gt_i16_sdwa s[6:7], v6, s4 src0_sel:BYTE_0 src1_sel:DWORD
	s_mov_b64 s[4:5], 0
                                        ; implicit-def: $sgpr10
	s_and_saveexec_b64 s[8:9], s[6:7]
	s_xor_b64 s[6:7], exec, s[8:9]
	s_cbranch_execnz .LBB6_3753
; %bb.1705:
	s_or_saveexec_b64 s[6:7], s[6:7]
	v_mov_b32_e32 v2, s10
	s_xor_b64 exec, exec, s[6:7]
	s_cbranch_execnz .LBB6_3756
.LBB6_1706:
	s_or_b64 exec, exec, s[6:7]
	s_and_saveexec_b64 s[6:7], s[4:5]
	s_cbranch_execz .LBB6_1708
.LBB6_1707:
	v_bfe_u32 v2, v7, 8, 3
	v_ffbh_u32_e32 v11, v2
	v_min_u32_e32 v11, 32, v11
	v_lshrrev_b16_e32 v10, 3, v6
	v_subrev_u32_e32 v12, 28, v11
	v_and_b32_e32 v10, 15, v10
	v_lshlrev_b32_e32 v6, v12, v6
	v_sub_u32_e32 v11, 29, v11
	v_and_b32_e32 v6, 7, v6
	v_cmp_eq_u16_e32 vcc, 0, v10
	v_cndmask_b32_e32 v2, v2, v6, vcc
	v_cndmask_b32_e32 v6, v10, v11, vcc
	v_lshlrev_b32_e32 v10, 16, v7
	v_mov_b32_e32 v11, 0x3b800000
	v_lshlrev_b32_e32 v2, 20, v2
	v_and_b32_e32 v10, 0x80000000, v10
	v_lshl_add_u32 v6, v6, 23, v11
	v_or3_b32 v2, v10, v6, v2
.LBB6_1708:
	s_or_b64 exec, exec, s[6:7]
	v_lshrrev_b32_e32 v6, 8, v3
	s_movk_i32 s4, 0x7f
	v_cmp_gt_i16_sdwa s[6:7], v6, s4 src0_sel:BYTE_0 src1_sel:DWORD
	s_mov_b64 s[4:5], 0
                                        ; implicit-def: $sgpr10
	s_and_saveexec_b64 s[8:9], s[6:7]
	s_xor_b64 s[6:7], exec, s[8:9]
	s_cbranch_execnz .LBB6_3757
; %bb.1709:
	s_or_saveexec_b64 s[6:7], s[6:7]
	v_mov_b32_e32 v10, s10
	s_xor_b64 exec, exec, s[6:7]
	s_cbranch_execnz .LBB6_3760
.LBB6_1710:
	s_or_b64 exec, exec, s[6:7]
	s_and_saveexec_b64 s[6:7], s[4:5]
	s_cbranch_execz .LBB6_1712
.LBB6_1711:
	v_bfe_u32 v10, v3, 8, 3
	v_ffbh_u32_e32 v12, v10
	v_min_u32_e32 v12, 32, v12
	v_lshrrev_b16_e32 v11, 3, v6
	v_subrev_u32_e32 v13, 28, v12
	v_and_b32_e32 v11, 15, v11
	v_lshlrev_b32_e32 v6, v13, v6
	v_sub_u32_e32 v12, 29, v12
	v_and_b32_e32 v6, 7, v6
	v_cmp_eq_u16_e32 vcc, 0, v11
	v_cndmask_b32_e32 v6, v10, v6, vcc
	v_cndmask_b32_e32 v10, v11, v12, vcc
	v_lshlrev_b32_e32 v11, 16, v3
	v_mov_b32_e32 v12, 0x3b800000
	v_lshlrev_b32_e32 v6, 20, v6
	v_and_b32_e32 v11, 0x80000000, v11
	v_lshl_add_u32 v10, v10, 23, v12
	v_or3_b32 v10, v11, v10, v6
.LBB6_1712:
	s_or_b64 exec, exec, s[6:7]
	s_nop 0
	v_mfma_f32_16x16x4f32 a[0:3], v2, v10, a[0:3]
	s_movk_i32 s4, 0xff
	v_and_b32_sdwa v6, v7, s4 dst_sel:DWORD dst_unused:UNUSED_PAD src0_sel:WORD_1 src1_sel:DWORD
	s_movk_i32 s4, 0x7f
	v_cmp_lt_i16_e32 vcc, s4, v6
	s_mov_b64 s[4:5], 0
                                        ; implicit-def: $sgpr10
	s_and_saveexec_b64 s[6:7], vcc
	s_xor_b64 s[6:7], exec, s[6:7]
	s_cbranch_execnz .LBB6_3761
; %bb.1713:
	s_or_saveexec_b64 s[6:7], s[6:7]
	v_mov_b32_e32 v2, s10
	s_xor_b64 exec, exec, s[6:7]
	s_cbranch_execnz .LBB6_3764
.LBB6_1714:
	s_or_b64 exec, exec, s[6:7]
	s_and_saveexec_b64 s[6:7], s[4:5]
	s_cbranch_execz .LBB6_1716
.LBB6_1715:
	v_bfe_u32 v2, v7, 16, 3
	v_ffbh_u32_e32 v11, v2
	v_min_u32_e32 v11, 32, v11
	v_lshrrev_b32_e32 v6, 19, v7
	v_subrev_u32_e32 v12, 28, v11
	v_and_b32_e32 v6, 15, v6
	v_lshlrev_b32_sdwa v12, v12, v7 dst_sel:DWORD dst_unused:UNUSED_PAD src0_sel:DWORD src1_sel:WORD_1
	v_bfe_u32 v10, v7, 19, 4
	v_sub_u32_e32 v11, 29, v11
	v_and_b32_e32 v12, 7, v12
	v_cmp_eq_u16_e32 vcc, 0, v6
	v_cndmask_b32_e32 v2, v2, v12, vcc
	v_cndmask_b32_e32 v6, v10, v11, vcc
	v_lshlrev_b32_e32 v10, 8, v7
	v_mov_b32_e32 v11, 0x3b800000
	v_lshlrev_b32_e32 v2, 20, v2
	v_and_b32_e32 v10, 0x80000000, v10
	v_lshl_add_u32 v6, v6, 23, v11
	v_or3_b32 v2, v10, v6, v2
.LBB6_1716:
	s_or_b64 exec, exec, s[6:7]
	s_movk_i32 s4, 0xff
	v_and_b32_sdwa v6, v3, s4 dst_sel:DWORD dst_unused:UNUSED_PAD src0_sel:WORD_1 src1_sel:DWORD
	s_movk_i32 s4, 0x7f
	v_cmp_lt_i16_e32 vcc, s4, v6
	s_mov_b64 s[4:5], 0
                                        ; implicit-def: $sgpr10
	s_and_saveexec_b64 s[6:7], vcc
	s_xor_b64 s[6:7], exec, s[6:7]
	s_cbranch_execnz .LBB6_3765
; %bb.1717:
	s_or_saveexec_b64 s[6:7], s[6:7]
	v_mov_b32_e32 v10, s10
	s_xor_b64 exec, exec, s[6:7]
	s_cbranch_execnz .LBB6_3768
.LBB6_1718:
	s_or_b64 exec, exec, s[6:7]
	s_and_saveexec_b64 s[6:7], s[4:5]
	s_cbranch_execz .LBB6_1720
.LBB6_1719:
	v_bfe_u32 v6, v3, 16, 3
	v_ffbh_u32_e32 v12, v6
	v_min_u32_e32 v12, 32, v12
	v_lshrrev_b32_e32 v10, 19, v3
	v_subrev_u32_e32 v13, 28, v12
	v_and_b32_e32 v10, 15, v10
	v_lshlrev_b32_sdwa v13, v13, v3 dst_sel:DWORD dst_unused:UNUSED_PAD src0_sel:DWORD src1_sel:WORD_1
	v_bfe_u32 v11, v3, 19, 4
	v_sub_u32_e32 v12, 29, v12
	v_and_b32_e32 v13, 7, v13
	v_cmp_eq_u16_e32 vcc, 0, v10
	v_cndmask_b32_e32 v6, v6, v13, vcc
	v_cndmask_b32_e32 v10, v11, v12, vcc
	v_lshlrev_b32_e32 v11, 8, v3
	v_mov_b32_e32 v12, 0x3b800000
	v_lshlrev_b32_e32 v6, 20, v6
	v_and_b32_e32 v11, 0x80000000, v11
	v_lshl_add_u32 v10, v10, 23, v12
	v_or3_b32 v10, v11, v10, v6
.LBB6_1720:
	s_or_b64 exec, exec, s[6:7]
	s_nop 0
	v_mfma_f32_16x16x4f32 a[0:3], v2, v10, a[0:3]
	s_movk_i32 s4, 0x7f
	v_cmp_gt_i16_sdwa s[6:7], v7, s4 src0_sel:BYTE_3 src1_sel:DWORD
	s_mov_b64 s[4:5], 0
                                        ; implicit-def: $sgpr10
	s_and_saveexec_b64 s[8:9], s[6:7]
	s_xor_b64 s[6:7], exec, s[8:9]
	s_cbranch_execnz .LBB6_3769
; %bb.1721:
	s_or_saveexec_b64 s[6:7], s[6:7]
	v_mov_b32_e32 v2, s10
	s_xor_b64 exec, exec, s[6:7]
	s_cbranch_execnz .LBB6_3772
.LBB6_1722:
	s_or_b64 exec, exec, s[6:7]
	s_and_saveexec_b64 s[6:7], s[4:5]
	s_cbranch_execz .LBB6_1724
.LBB6_1723:
	v_bfe_u32 v2, v7, 24, 3
	v_ffbh_u32_e32 v12, v2
	v_min_u32_e32 v12, 32, v12
	v_lshrrev_b32_e32 v10, 27, v7
	v_subrev_u32_e32 v13, 28, v12
	v_and_b32_e32 v6, 0x80000000, v7
	v_and_b32_e32 v10, 15, v10
	v_bfe_u32 v11, v7, 27, 4
	v_lshlrev_b32_sdwa v7, v13, v7 dst_sel:DWORD dst_unused:UNUSED_PAD src0_sel:DWORD src1_sel:BYTE_3
	v_sub_u32_e32 v12, 29, v12
	v_and_b32_e32 v7, 7, v7
	v_cmp_eq_u16_e32 vcc, 0, v10
	v_cndmask_b32_e32 v2, v2, v7, vcc
	v_cndmask_b32_e32 v7, v11, v12, vcc
	v_mov_b32_e32 v10, 0x3b800000
	v_lshlrev_b32_e32 v2, 20, v2
	v_lshl_add_u32 v7, v7, 23, v10
	v_or3_b32 v2, v6, v7, v2
.LBB6_1724:
	s_or_b64 exec, exec, s[6:7]
	s_movk_i32 s4, 0x7f
	v_cmp_gt_i16_sdwa s[6:7], v3, s4 src0_sel:BYTE_3 src1_sel:DWORD
	s_mov_b64 s[4:5], 0
                                        ; implicit-def: $sgpr10
	s_and_saveexec_b64 s[8:9], s[6:7]
	s_xor_b64 s[6:7], exec, s[8:9]
	s_cbranch_execnz .LBB6_3773
; %bb.1725:
	s_or_saveexec_b64 s[6:7], s[6:7]
	v_mov_b32_e32 v6, s10
	s_xor_b64 exec, exec, s[6:7]
	s_cbranch_execnz .LBB6_3776
.LBB6_1726:
	s_or_b64 exec, exec, s[6:7]
	s_and_saveexec_b64 s[6:7], s[4:5]
	s_cbranch_execz .LBB6_1728
.LBB6_1727:
	v_bfe_u32 v6, v3, 24, 3
	v_ffbh_u32_e32 v12, v6
	v_min_u32_e32 v12, 32, v12
	v_lshrrev_b32_e32 v10, 27, v3
	v_subrev_u32_e32 v13, 28, v12
	v_and_b32_e32 v7, 0x80000000, v3
	v_and_b32_e32 v10, 15, v10
	v_bfe_u32 v11, v3, 27, 4
	v_lshlrev_b32_sdwa v3, v13, v3 dst_sel:DWORD dst_unused:UNUSED_PAD src0_sel:DWORD src1_sel:BYTE_3
	v_sub_u32_e32 v12, 29, v12
	v_and_b32_e32 v3, 7, v3
	v_cmp_eq_u16_e32 vcc, 0, v10
	v_cndmask_b32_e32 v3, v6, v3, vcc
	v_cndmask_b32_e32 v6, v11, v12, vcc
	v_mov_b32_e32 v10, 0x3b800000
	v_lshlrev_b32_e32 v3, 20, v3
	v_lshl_add_u32 v6, v6, 23, v10
	v_or3_b32 v6, v7, v6, v3
.LBB6_1728:
	s_or_b64 exec, exec, s[6:7]
	s_nop 0
	v_mfma_f32_16x16x4f32 a[0:3], v2, v6, a[0:3]
	s_movk_i32 s4, 0x7f
	v_cmp_gt_i16_sdwa s[6:7], v8, s4 src0_sel:BYTE_0 src1_sel:DWORD
	s_mov_b64 s[4:5], 0
                                        ; implicit-def: $sgpr10
	s_and_saveexec_b64 s[8:9], s[6:7]
	s_xor_b64 s[6:7], exec, s[8:9]
	s_cbranch_execnz .LBB6_3777
; %bb.1729:
	s_or_saveexec_b64 s[6:7], s[6:7]
	v_mov_b32_e32 v2, s10
	s_xor_b64 exec, exec, s[6:7]
	s_cbranch_execnz .LBB6_3780
.LBB6_1730:
	s_or_b64 exec, exec, s[6:7]
	s_and_saveexec_b64 s[6:7], s[4:5]
	s_cbranch_execz .LBB6_1732
.LBB6_1731:
	v_and_b32_e32 v2, 7, v8
	v_ffbh_u32_e32 v6, v2
	v_min_u32_e32 v6, 32, v6
	v_lshrrev_b16_e32 v3, 3, v8
	v_subrev_u32_e32 v7, 28, v6
	v_and_b32_e32 v3, 15, v3
	v_lshlrev_b32_e32 v7, v7, v8
	v_sub_u32_e32 v6, 29, v6
	v_and_b32_e32 v7, 7, v7
	v_cmp_eq_u16_e32 vcc, 0, v3
	v_cndmask_b32_e32 v2, v2, v7, vcc
	v_cndmask_b32_e32 v3, v3, v6, vcc
	v_lshlrev_b32_e32 v6, 24, v8
	v_mov_b32_e32 v7, 0x3b800000
	v_lshlrev_b32_e32 v2, 20, v2
	v_and_b32_e32 v6, 0x80000000, v6
	v_lshl_add_u32 v3, v3, 23, v7
	v_or3_b32 v2, v6, v3, v2
.LBB6_1732:
	s_or_b64 exec, exec, s[6:7]
	s_movk_i32 s4, 0x7f
	v_cmp_gt_i16_sdwa s[6:7], v4, s4 src0_sel:BYTE_0 src1_sel:DWORD
	s_mov_b64 s[4:5], 0
                                        ; implicit-def: $sgpr10
	s_and_saveexec_b64 s[8:9], s[6:7]
	s_xor_b64 s[6:7], exec, s[8:9]
	s_cbranch_execnz .LBB6_3781
; %bb.1733:
	s_or_saveexec_b64 s[6:7], s[6:7]
	v_mov_b32_e32 v3, s10
	s_xor_b64 exec, exec, s[6:7]
	s_cbranch_execnz .LBB6_3784
.LBB6_1734:
	s_or_b64 exec, exec, s[6:7]
	s_and_saveexec_b64 s[6:7], s[4:5]
	s_cbranch_execz .LBB6_1736
.LBB6_1735:
	v_and_b32_e32 v3, 7, v4
	v_ffbh_u32_e32 v7, v3
	v_min_u32_e32 v7, 32, v7
	v_lshrrev_b16_e32 v6, 3, v4
	v_subrev_u32_e32 v10, 28, v7
	v_and_b32_e32 v6, 15, v6
	v_lshlrev_b32_e32 v10, v10, v4
	v_sub_u32_e32 v7, 29, v7
	v_and_b32_e32 v10, 7, v10
	v_cmp_eq_u16_e32 vcc, 0, v6
	v_cndmask_b32_e32 v3, v3, v10, vcc
	v_cndmask_b32_e32 v6, v6, v7, vcc
	v_lshlrev_b32_e32 v7, 24, v4
	v_mov_b32_e32 v10, 0x3b800000
	v_lshlrev_b32_e32 v3, 20, v3
	v_and_b32_e32 v7, 0x80000000, v7
	v_lshl_add_u32 v6, v6, 23, v10
	v_or3_b32 v3, v7, v6, v3
.LBB6_1736:
	s_or_b64 exec, exec, s[6:7]
	s_nop 0
	v_mfma_f32_16x16x4f32 a[0:3], v2, v3, a[0:3]
	v_lshrrev_b32_e32 v3, 8, v8
	s_movk_i32 s4, 0x7f
	v_cmp_gt_i16_sdwa s[6:7], v3, s4 src0_sel:BYTE_0 src1_sel:DWORD
	s_mov_b64 s[4:5], 0
                                        ; implicit-def: $sgpr10
	s_and_saveexec_b64 s[8:9], s[6:7]
	s_xor_b64 s[6:7], exec, s[8:9]
	s_cbranch_execnz .LBB6_3785
; %bb.1737:
	s_or_saveexec_b64 s[6:7], s[6:7]
	v_mov_b32_e32 v2, s10
	s_xor_b64 exec, exec, s[6:7]
	s_cbranch_execnz .LBB6_3788
.LBB6_1738:
	s_or_b64 exec, exec, s[6:7]
	s_and_saveexec_b64 s[6:7], s[4:5]
	s_cbranch_execz .LBB6_1740
.LBB6_1739:
	v_bfe_u32 v2, v8, 8, 3
	v_ffbh_u32_e32 v7, v2
	v_min_u32_e32 v7, 32, v7
	v_lshrrev_b16_e32 v6, 3, v3
	v_subrev_u32_e32 v10, 28, v7
	v_and_b32_e32 v6, 15, v6
	v_lshlrev_b32_e32 v3, v10, v3
	v_sub_u32_e32 v7, 29, v7
	v_and_b32_e32 v3, 7, v3
	v_cmp_eq_u16_e32 vcc, 0, v6
	v_cndmask_b32_e32 v2, v2, v3, vcc
	v_cndmask_b32_e32 v3, v6, v7, vcc
	v_lshlrev_b32_e32 v6, 16, v8
	v_mov_b32_e32 v7, 0x3b800000
	v_lshlrev_b32_e32 v2, 20, v2
	v_and_b32_e32 v6, 0x80000000, v6
	v_lshl_add_u32 v3, v3, 23, v7
	v_or3_b32 v2, v6, v3, v2
.LBB6_1740:
	s_or_b64 exec, exec, s[6:7]
	v_lshrrev_b32_e32 v3, 8, v4
	s_movk_i32 s4, 0x7f
	v_cmp_gt_i16_sdwa s[6:7], v3, s4 src0_sel:BYTE_0 src1_sel:DWORD
	s_mov_b64 s[4:5], 0
                                        ; implicit-def: $sgpr10
	s_and_saveexec_b64 s[8:9], s[6:7]
	s_xor_b64 s[6:7], exec, s[8:9]
	s_cbranch_execnz .LBB6_3789
; %bb.1741:
	s_or_saveexec_b64 s[6:7], s[6:7]
	v_mov_b32_e32 v6, s10
	s_xor_b64 exec, exec, s[6:7]
	s_cbranch_execnz .LBB6_3792
.LBB6_1742:
	s_or_b64 exec, exec, s[6:7]
	s_and_saveexec_b64 s[6:7], s[4:5]
	s_cbranch_execz .LBB6_1744
.LBB6_1743:
	v_bfe_u32 v6, v4, 8, 3
	v_ffbh_u32_e32 v10, v6
	v_min_u32_e32 v10, 32, v10
	v_lshrrev_b16_e32 v7, 3, v3
	v_subrev_u32_e32 v11, 28, v10
	v_and_b32_e32 v7, 15, v7
	v_lshlrev_b32_e32 v3, v11, v3
	v_sub_u32_e32 v10, 29, v10
	v_and_b32_e32 v3, 7, v3
	v_cmp_eq_u16_e32 vcc, 0, v7
	v_cndmask_b32_e32 v3, v6, v3, vcc
	v_cndmask_b32_e32 v6, v7, v10, vcc
	v_lshlrev_b32_e32 v7, 16, v4
	v_mov_b32_e32 v10, 0x3b800000
	v_lshlrev_b32_e32 v3, 20, v3
	v_and_b32_e32 v7, 0x80000000, v7
	v_lshl_add_u32 v6, v6, 23, v10
	v_or3_b32 v6, v7, v6, v3
.LBB6_1744:
	s_or_b64 exec, exec, s[6:7]
	s_nop 0
	v_mfma_f32_16x16x4f32 a[0:3], v2, v6, a[0:3]
	s_movk_i32 s4, 0xff
	v_and_b32_sdwa v3, v8, s4 dst_sel:DWORD dst_unused:UNUSED_PAD src0_sel:WORD_1 src1_sel:DWORD
	s_movk_i32 s4, 0x7f
	v_cmp_lt_i16_e32 vcc, s4, v3
	s_mov_b64 s[4:5], 0
                                        ; implicit-def: $sgpr10
	s_and_saveexec_b64 s[6:7], vcc
	s_xor_b64 s[6:7], exec, s[6:7]
	s_cbranch_execnz .LBB6_3793
; %bb.1745:
	s_or_saveexec_b64 s[6:7], s[6:7]
	v_mov_b32_e32 v2, s10
	s_xor_b64 exec, exec, s[6:7]
	s_cbranch_execnz .LBB6_3796
.LBB6_1746:
	s_or_b64 exec, exec, s[6:7]
	s_and_saveexec_b64 s[6:7], s[4:5]
	s_cbranch_execz .LBB6_1748
.LBB6_1747:
	v_bfe_u32 v2, v8, 16, 3
	v_ffbh_u32_e32 v7, v2
	v_min_u32_e32 v7, 32, v7
	v_lshrrev_b32_e32 v3, 19, v8
	v_subrev_u32_e32 v10, 28, v7
	v_and_b32_e32 v3, 15, v3
	v_lshlrev_b32_sdwa v10, v10, v8 dst_sel:DWORD dst_unused:UNUSED_PAD src0_sel:DWORD src1_sel:WORD_1
	v_bfe_u32 v6, v8, 19, 4
	v_sub_u32_e32 v7, 29, v7
	v_and_b32_e32 v10, 7, v10
	v_cmp_eq_u16_e32 vcc, 0, v3
	v_cndmask_b32_e32 v2, v2, v10, vcc
	v_cndmask_b32_e32 v3, v6, v7, vcc
	v_lshlrev_b32_e32 v6, 8, v8
	v_mov_b32_e32 v7, 0x3b800000
	v_lshlrev_b32_e32 v2, 20, v2
	v_and_b32_e32 v6, 0x80000000, v6
	v_lshl_add_u32 v3, v3, 23, v7
	v_or3_b32 v2, v6, v3, v2
.LBB6_1748:
	s_or_b64 exec, exec, s[6:7]
	s_movk_i32 s4, 0xff
	v_and_b32_sdwa v3, v4, s4 dst_sel:DWORD dst_unused:UNUSED_PAD src0_sel:WORD_1 src1_sel:DWORD
	s_movk_i32 s4, 0x7f
	v_cmp_lt_i16_e32 vcc, s4, v3
	s_mov_b64 s[4:5], 0
                                        ; implicit-def: $sgpr10
	s_and_saveexec_b64 s[6:7], vcc
	s_xor_b64 s[6:7], exec, s[6:7]
	s_cbranch_execnz .LBB6_3797
; %bb.1749:
	s_or_saveexec_b64 s[6:7], s[6:7]
	v_mov_b32_e32 v6, s10
	s_xor_b64 exec, exec, s[6:7]
	s_cbranch_execnz .LBB6_3800
.LBB6_1750:
	s_or_b64 exec, exec, s[6:7]
	s_and_saveexec_b64 s[6:7], s[4:5]
	s_cbranch_execz .LBB6_1752
.LBB6_1751:
	v_bfe_u32 v3, v4, 16, 3
	v_ffbh_u32_e32 v10, v3
	v_min_u32_e32 v10, 32, v10
	v_lshrrev_b32_e32 v6, 19, v4
	v_subrev_u32_e32 v11, 28, v10
	v_and_b32_e32 v6, 15, v6
	v_lshlrev_b32_sdwa v11, v11, v4 dst_sel:DWORD dst_unused:UNUSED_PAD src0_sel:DWORD src1_sel:WORD_1
	v_bfe_u32 v7, v4, 19, 4
	v_sub_u32_e32 v10, 29, v10
	v_and_b32_e32 v11, 7, v11
	v_cmp_eq_u16_e32 vcc, 0, v6
	v_cndmask_b32_e32 v3, v3, v11, vcc
	v_cndmask_b32_e32 v6, v7, v10, vcc
	v_lshlrev_b32_e32 v7, 8, v4
	v_mov_b32_e32 v10, 0x3b800000
	v_lshlrev_b32_e32 v3, 20, v3
	v_and_b32_e32 v7, 0x80000000, v7
	v_lshl_add_u32 v6, v6, 23, v10
	v_or3_b32 v6, v7, v6, v3
.LBB6_1752:
	s_or_b64 exec, exec, s[6:7]
	s_nop 0
	v_mfma_f32_16x16x4f32 a[0:3], v2, v6, a[0:3]
	s_movk_i32 s4, 0x7f
	v_cmp_gt_i16_sdwa s[6:7], v8, s4 src0_sel:BYTE_3 src1_sel:DWORD
	s_mov_b64 s[4:5], 0
                                        ; implicit-def: $sgpr10
	s_and_saveexec_b64 s[8:9], s[6:7]
	s_xor_b64 s[6:7], exec, s[8:9]
	s_cbranch_execnz .LBB6_3801
; %bb.1753:
	s_or_saveexec_b64 s[6:7], s[6:7]
	v_mov_b32_e32 v2, s10
	s_xor_b64 exec, exec, s[6:7]
	s_cbranch_execnz .LBB6_3804
.LBB6_1754:
	s_or_b64 exec, exec, s[6:7]
	s_and_saveexec_b64 s[6:7], s[4:5]
	s_cbranch_execz .LBB6_1756
.LBB6_1755:
	v_bfe_u32 v2, v8, 24, 3
	v_ffbh_u32_e32 v10, v2
	v_min_u32_e32 v10, 32, v10
	v_lshrrev_b32_e32 v6, 27, v8
	v_subrev_u32_e32 v11, 28, v10
	v_and_b32_e32 v3, 0x80000000, v8
	v_and_b32_e32 v6, 15, v6
	v_bfe_u32 v7, v8, 27, 4
	v_lshlrev_b32_sdwa v8, v11, v8 dst_sel:DWORD dst_unused:UNUSED_PAD src0_sel:DWORD src1_sel:BYTE_3
	v_sub_u32_e32 v10, 29, v10
	v_and_b32_e32 v8, 7, v8
	v_cmp_eq_u16_e32 vcc, 0, v6
	v_cndmask_b32_e32 v2, v2, v8, vcc
	v_cndmask_b32_e32 v6, v7, v10, vcc
	v_mov_b32_e32 v7, 0x3b800000
	v_lshlrev_b32_e32 v2, 20, v2
	v_lshl_add_u32 v6, v6, 23, v7
	v_or3_b32 v2, v3, v6, v2
.LBB6_1756:
	s_or_b64 exec, exec, s[6:7]
	s_movk_i32 s4, 0x7f
	v_cmp_gt_i16_sdwa s[6:7], v4, s4 src0_sel:BYTE_3 src1_sel:DWORD
	s_mov_b64 s[4:5], 0
                                        ; implicit-def: $sgpr10
	s_and_saveexec_b64 s[8:9], s[6:7]
	s_xor_b64 s[6:7], exec, s[8:9]
	s_cbranch_execnz .LBB6_3805
; %bb.1757:
	s_or_saveexec_b64 s[6:7], s[6:7]
	v_mov_b32_e32 v3, s10
	s_xor_b64 exec, exec, s[6:7]
	s_cbranch_execnz .LBB6_3808
.LBB6_1758:
	s_or_b64 exec, exec, s[6:7]
	s_and_saveexec_b64 s[6:7], s[4:5]
	s_cbranch_execz .LBB6_1760
.LBB6_1759:
	v_bfe_u32 v3, v4, 24, 3
	v_ffbh_u32_e32 v10, v3
	v_min_u32_e32 v10, 32, v10
	v_lshrrev_b32_e32 v7, 27, v4
	v_subrev_u32_e32 v11, 28, v10
	v_and_b32_e32 v6, 0x80000000, v4
	v_and_b32_e32 v7, 15, v7
	v_bfe_u32 v8, v4, 27, 4
	v_lshlrev_b32_sdwa v4, v11, v4 dst_sel:DWORD dst_unused:UNUSED_PAD src0_sel:DWORD src1_sel:BYTE_3
	v_sub_u32_e32 v10, 29, v10
	v_and_b32_e32 v4, 7, v4
	v_cmp_eq_u16_e32 vcc, 0, v7
	v_cndmask_b32_e32 v3, v3, v4, vcc
	v_cndmask_b32_e32 v4, v8, v10, vcc
	v_mov_b32_e32 v7, 0x3b800000
	v_lshlrev_b32_e32 v3, 20, v3
	v_lshl_add_u32 v4, v4, 23, v7
	v_or3_b32 v3, v6, v4, v3
.LBB6_1760:
	s_or_b64 exec, exec, s[6:7]
	s_nop 0
	v_mfma_f32_16x16x4f32 a[0:3], v2, v3, a[0:3]
	s_movk_i32 s4, 0x7f
	v_cmp_gt_i16_sdwa s[6:7], v9, s4 src0_sel:BYTE_0 src1_sel:DWORD
	s_mov_b64 s[4:5], 0
                                        ; implicit-def: $sgpr10
	s_and_saveexec_b64 s[8:9], s[6:7]
	s_xor_b64 s[6:7], exec, s[8:9]
	s_cbranch_execnz .LBB6_3809
; %bb.1761:
	s_or_saveexec_b64 s[6:7], s[6:7]
	v_mov_b32_e32 v2, s10
	s_xor_b64 exec, exec, s[6:7]
	s_cbranch_execnz .LBB6_3812
.LBB6_1762:
	s_or_b64 exec, exec, s[6:7]
	s_and_saveexec_b64 s[6:7], s[4:5]
	s_cbranch_execz .LBB6_1764
.LBB6_1763:
	v_mov_b32_e32 v2, 8
	v_and_b32_e32 v3, 7, v9
	v_lshrrev_b32_sdwa v2, v2, v9 dst_sel:BYTE_1 dst_unused:UNUSED_PAD src0_sel:DWORD src1_sel:DWORD
	v_ffbh_u32_e32 v4, v3
	v_or_b32_sdwa v2, v9, v2 dst_sel:DWORD dst_unused:UNUSED_PAD src0_sel:BYTE_0 src1_sel:DWORD
	v_min_u32_e32 v4, 32, v4
	v_lshrrev_b16_e32 v2, 3, v2
	v_subrev_u32_e32 v6, 28, v4
	v_and_b32_e32 v2, 15, v2
	v_lshlrev_b32_e32 v6, v6, v9
	v_sub_u32_e32 v4, 29, v4
	v_and_b32_e32 v6, 7, v6
	v_cmp_eq_u16_e32 vcc, 0, v2
	v_cndmask_b32_e32 v3, v3, v6, vcc
	v_cndmask_b32_e32 v2, v2, v4, vcc
	v_lshlrev_b32_e32 v4, 24, v9
	v_mov_b32_e32 v6, 0x3b800000
	v_lshlrev_b32_e32 v3, 20, v3
	v_and_b32_e32 v4, 0x80000000, v4
	v_lshl_add_u32 v2, v2, 23, v6
	v_or3_b32 v2, v4, v2, v3
.LBB6_1764:
	s_or_b64 exec, exec, s[6:7]
	s_movk_i32 s4, 0x7f
	v_cmp_gt_i16_sdwa s[6:7], v5, s4 src0_sel:BYTE_0 src1_sel:DWORD
	s_mov_b64 s[4:5], 0
                                        ; implicit-def: $sgpr10
	s_and_saveexec_b64 s[8:9], s[6:7]
	s_xor_b64 s[6:7], exec, s[8:9]
	s_cbranch_execnz .LBB6_3813
; %bb.1765:
	s_or_saveexec_b64 s[6:7], s[6:7]
	v_mov_b32_e32 v3, s10
	s_xor_b64 exec, exec, s[6:7]
	s_cbranch_execnz .LBB6_3816
.LBB6_1766:
	s_or_b64 exec, exec, s[6:7]
	s_and_saveexec_b64 s[6:7], s[4:5]
	s_cbranch_execz .LBB6_1768
.LBB6_1767:
	v_mov_b32_e32 v3, 8
	v_and_b32_e32 v4, 7, v5
	v_lshrrev_b32_sdwa v3, v3, v5 dst_sel:BYTE_1 dst_unused:UNUSED_PAD src0_sel:DWORD src1_sel:DWORD
	v_ffbh_u32_e32 v6, v4
	v_or_b32_sdwa v3, v5, v3 dst_sel:DWORD dst_unused:UNUSED_PAD src0_sel:BYTE_0 src1_sel:DWORD
	v_min_u32_e32 v6, 32, v6
	v_lshrrev_b16_e32 v3, 3, v3
	v_subrev_u32_e32 v7, 28, v6
	v_and_b32_e32 v3, 15, v3
	v_lshlrev_b32_e32 v7, v7, v5
	v_sub_u32_e32 v6, 29, v6
	v_and_b32_e32 v7, 7, v7
	v_cmp_eq_u16_e32 vcc, 0, v3
	v_cndmask_b32_e32 v4, v4, v7, vcc
	v_cndmask_b32_e32 v3, v3, v6, vcc
	v_lshlrev_b32_e32 v6, 24, v5
	v_mov_b32_e32 v7, 0x3b800000
	v_lshlrev_b32_e32 v4, 20, v4
	v_and_b32_e32 v6, 0x80000000, v6
	v_lshl_add_u32 v3, v3, 23, v7
	v_or3_b32 v3, v6, v3, v4
.LBB6_1768:
	s_or_b64 exec, exec, s[6:7]
	s_nop 0
	v_mfma_f32_16x16x4f32 a[0:3], v2, v3, a[0:3]
	v_lshrrev_b32_e32 v3, 8, v9
	s_movk_i32 s4, 0x7f
	v_cmp_gt_i16_sdwa s[6:7], v3, s4 src0_sel:BYTE_0 src1_sel:DWORD
	s_mov_b64 s[4:5], 0
                                        ; implicit-def: $sgpr10
	s_and_saveexec_b64 s[8:9], s[6:7]
	s_xor_b64 s[6:7], exec, s[8:9]
	s_cbranch_execnz .LBB6_3817
; %bb.1769:
	s_or_saveexec_b64 s[6:7], s[6:7]
	v_mov_b32_e32 v2, s10
	s_xor_b64 exec, exec, s[6:7]
	s_cbranch_execnz .LBB6_3820
.LBB6_1770:
	s_or_b64 exec, exec, s[6:7]
	s_and_saveexec_b64 s[6:7], s[4:5]
	s_cbranch_execz .LBB6_1772
.LBB6_1771:
	v_bfe_u32 v2, v9, 8, 3
	v_ffbh_u32_e32 v6, v2
	v_min_u32_e32 v6, 32, v6
	v_lshrrev_b16_e32 v4, 3, v3
	v_subrev_u32_e32 v7, 28, v6
	v_and_b32_e32 v4, 15, v4
	v_lshlrev_b32_e32 v3, v7, v3
	v_sub_u32_e32 v6, 29, v6
	v_and_b32_e32 v3, 7, v3
	v_cmp_eq_u16_e32 vcc, 0, v4
	v_cndmask_b32_e32 v2, v2, v3, vcc
	v_cndmask_b32_e32 v3, v4, v6, vcc
	v_lshlrev_b32_e32 v4, 16, v9
	v_mov_b32_e32 v6, 0x3b800000
	v_lshlrev_b32_e32 v2, 20, v2
	v_and_b32_e32 v4, 0x80000000, v4
	v_lshl_add_u32 v3, v3, 23, v6
	v_or3_b32 v2, v4, v3, v2
.LBB6_1772:
	s_or_b64 exec, exec, s[6:7]
	v_lshrrev_b32_e32 v3, 8, v5
	s_movk_i32 s4, 0x7f
	v_cmp_gt_i16_sdwa s[6:7], v3, s4 src0_sel:BYTE_0 src1_sel:DWORD
	s_mov_b64 s[4:5], 0
                                        ; implicit-def: $sgpr10
	s_and_saveexec_b64 s[8:9], s[6:7]
	s_xor_b64 s[6:7], exec, s[8:9]
	s_cbranch_execnz .LBB6_3821
; %bb.1773:
	s_or_saveexec_b64 s[6:7], s[6:7]
	v_mov_b32_e32 v4, s10
	s_xor_b64 exec, exec, s[6:7]
	s_cbranch_execnz .LBB6_3824
.LBB6_1774:
	s_or_b64 exec, exec, s[6:7]
	s_and_saveexec_b64 s[6:7], s[4:5]
	s_cbranch_execz .LBB6_1776
.LBB6_1775:
	v_bfe_u32 v4, v5, 8, 3
	v_ffbh_u32_e32 v7, v4
	v_min_u32_e32 v7, 32, v7
	v_lshrrev_b16_e32 v6, 3, v3
	v_subrev_u32_e32 v8, 28, v7
	v_and_b32_e32 v6, 15, v6
	v_lshlrev_b32_e32 v3, v8, v3
	v_sub_u32_e32 v7, 29, v7
	v_and_b32_e32 v3, 7, v3
	v_cmp_eq_u16_e32 vcc, 0, v6
	v_cndmask_b32_e32 v3, v4, v3, vcc
	v_cndmask_b32_e32 v4, v6, v7, vcc
	v_lshlrev_b32_e32 v6, 16, v5
	v_mov_b32_e32 v7, 0x3b800000
	v_lshlrev_b32_e32 v3, 20, v3
	v_and_b32_e32 v6, 0x80000000, v6
	v_lshl_add_u32 v4, v4, 23, v7
	v_or3_b32 v4, v6, v4, v3
.LBB6_1776:
	s_or_b64 exec, exec, s[6:7]
	s_nop 0
	v_mfma_f32_16x16x4f32 a[0:3], v2, v4, a[0:3]
	s_movk_i32 s4, 0xff
	v_and_b32_sdwa v3, v9, s4 dst_sel:DWORD dst_unused:UNUSED_PAD src0_sel:WORD_1 src1_sel:DWORD
	s_movk_i32 s4, 0x7f
	v_cmp_lt_i16_e32 vcc, s4, v3
	s_mov_b64 s[4:5], 0
                                        ; implicit-def: $sgpr10
	s_and_saveexec_b64 s[6:7], vcc
	s_xor_b64 s[6:7], exec, s[6:7]
	s_cbranch_execnz .LBB6_3825
; %bb.1777:
	s_or_saveexec_b64 s[6:7], s[6:7]
	v_mov_b32_e32 v2, s10
	s_xor_b64 exec, exec, s[6:7]
	s_cbranch_execnz .LBB6_3828
.LBB6_1778:
	s_or_b64 exec, exec, s[6:7]
	s_and_saveexec_b64 s[6:7], s[4:5]
	s_cbranch_execz .LBB6_1780
.LBB6_1779:
	v_bfe_u32 v2, v9, 16, 3
	v_ffbh_u32_e32 v6, v2
	v_min_u32_e32 v6, 32, v6
	v_lshrrev_b32_e32 v3, 19, v9
	v_subrev_u32_e32 v7, 28, v6
	v_and_b32_e32 v3, 15, v3
	v_lshlrev_b32_sdwa v7, v7, v9 dst_sel:DWORD dst_unused:UNUSED_PAD src0_sel:DWORD src1_sel:WORD_1
	v_bfe_u32 v4, v9, 19, 4
	v_sub_u32_e32 v6, 29, v6
	v_and_b32_e32 v7, 7, v7
	v_cmp_eq_u16_e32 vcc, 0, v3
	v_cndmask_b32_e32 v2, v2, v7, vcc
	v_cndmask_b32_e32 v3, v4, v6, vcc
	v_lshlrev_b32_e32 v4, 8, v9
	v_mov_b32_e32 v6, 0x3b800000
	v_lshlrev_b32_e32 v2, 20, v2
	v_and_b32_e32 v4, 0x80000000, v4
	v_lshl_add_u32 v3, v3, 23, v6
	v_or3_b32 v2, v4, v3, v2
.LBB6_1780:
	s_or_b64 exec, exec, s[6:7]
	s_movk_i32 s4, 0xff
	v_and_b32_sdwa v3, v5, s4 dst_sel:DWORD dst_unused:UNUSED_PAD src0_sel:WORD_1 src1_sel:DWORD
	s_movk_i32 s4, 0x7f
	v_cmp_lt_i16_e32 vcc, s4, v3
	s_mov_b64 s[4:5], 0
                                        ; implicit-def: $sgpr10
	s_and_saveexec_b64 s[6:7], vcc
	s_xor_b64 s[6:7], exec, s[6:7]
	s_cbranch_execnz .LBB6_3829
; %bb.1781:
	s_or_saveexec_b64 s[6:7], s[6:7]
	v_mov_b32_e32 v4, s10
	s_xor_b64 exec, exec, s[6:7]
	s_cbranch_execnz .LBB6_3832
.LBB6_1782:
	s_or_b64 exec, exec, s[6:7]
	s_and_saveexec_b64 s[6:7], s[4:5]
	s_cbranch_execz .LBB6_1784
.LBB6_1783:
	v_bfe_u32 v3, v5, 16, 3
	v_ffbh_u32_e32 v7, v3
	v_min_u32_e32 v7, 32, v7
	v_lshrrev_b32_e32 v4, 19, v5
	v_subrev_u32_e32 v8, 28, v7
	v_and_b32_e32 v4, 15, v4
	v_lshlrev_b32_sdwa v8, v8, v5 dst_sel:DWORD dst_unused:UNUSED_PAD src0_sel:DWORD src1_sel:WORD_1
	v_bfe_u32 v6, v5, 19, 4
	v_sub_u32_e32 v7, 29, v7
	v_and_b32_e32 v8, 7, v8
	v_cmp_eq_u16_e32 vcc, 0, v4
	v_cndmask_b32_e32 v3, v3, v8, vcc
	v_cndmask_b32_e32 v4, v6, v7, vcc
	v_lshlrev_b32_e32 v6, 8, v5
	v_mov_b32_e32 v7, 0x3b800000
	v_lshlrev_b32_e32 v3, 20, v3
	v_and_b32_e32 v6, 0x80000000, v6
	v_lshl_add_u32 v4, v4, 23, v7
	v_or3_b32 v4, v6, v4, v3
.LBB6_1784:
	s_or_b64 exec, exec, s[6:7]
	s_nop 0
	v_mfma_f32_16x16x4f32 a[0:3], v2, v4, a[0:3]
	s_movk_i32 s4, 0x7f
	v_cmp_gt_i16_sdwa s[6:7], v9, s4 src0_sel:BYTE_3 src1_sel:DWORD
	s_mov_b64 s[4:5], 0
                                        ; implicit-def: $sgpr10
	s_and_saveexec_b64 s[8:9], s[6:7]
	s_xor_b64 s[6:7], exec, s[8:9]
	s_cbranch_execnz .LBB6_3833
; %bb.1785:
	s_or_saveexec_b64 s[6:7], s[6:7]
	v_mov_b32_e32 v2, s10
	s_xor_b64 exec, exec, s[6:7]
	s_cbranch_execnz .LBB6_3836
.LBB6_1786:
	s_or_b64 exec, exec, s[6:7]
	s_and_saveexec_b64 s[6:7], s[4:5]
	s_cbranch_execz .LBB6_1788
.LBB6_1787:
	v_bfe_u32 v2, v9, 24, 3
	v_ffbh_u32_e32 v7, v2
	v_min_u32_e32 v7, 32, v7
	v_lshrrev_b32_e32 v4, 27, v9
	v_subrev_u32_e32 v8, 28, v7
	v_and_b32_e32 v4, 15, v4
	v_lshlrev_b32_sdwa v8, v8, v9 dst_sel:DWORD dst_unused:UNUSED_PAD src0_sel:DWORD src1_sel:BYTE_3
	v_bfe_u32 v6, v9, 27, 4
	v_sub_u32_e32 v7, 29, v7
	v_and_b32_e32 v8, 7, v8
	v_cmp_eq_u16_e32 vcc, 0, v4
	v_cndmask_b32_e32 v2, v2, v8, vcc
	v_cndmask_b32_e32 v4, v6, v7, vcc
	v_mov_b32_e32 v6, 0x3b800000
	v_and_b32_e32 v3, 0x80000000, v9
	v_lshlrev_b32_e32 v2, 20, v2
	v_lshl_add_u32 v4, v4, 23, v6
	v_or3_b32 v2, v3, v4, v2
.LBB6_1788:
	s_or_b64 exec, exec, s[6:7]
	s_movk_i32 s4, 0x7f
	v_cmp_gt_i16_sdwa s[6:7], v5, s4 src0_sel:BYTE_3 src1_sel:DWORD
	s_mov_b64 s[4:5], 0
                                        ; implicit-def: $sgpr10
	s_and_saveexec_b64 s[8:9], s[6:7]
	s_xor_b64 s[6:7], exec, s[8:9]
	s_cbranch_execnz .LBB6_3837
; %bb.1789:
	s_or_saveexec_b64 s[6:7], s[6:7]
	v_mov_b32_e32 v3, s10
	s_xor_b64 exec, exec, s[6:7]
	s_cbranch_execnz .LBB6_3840
.LBB6_1790:
	s_or_b64 exec, exec, s[6:7]
	s_and_saveexec_b64 s[6:7], s[4:5]
	s_cbranch_execz .LBB6_1792
.LBB6_1791:
	v_bfe_u32 v3, v5, 24, 3
	v_ffbh_u32_e32 v8, v3
	v_min_u32_e32 v8, 32, v8
	v_lshrrev_b32_e32 v6, 27, v5
	v_subrev_u32_e32 v9, 28, v8
	v_and_b32_e32 v4, 0x80000000, v5
	v_and_b32_e32 v6, 15, v6
	v_bfe_u32 v7, v5, 27, 4
	v_lshlrev_b32_sdwa v5, v9, v5 dst_sel:DWORD dst_unused:UNUSED_PAD src0_sel:DWORD src1_sel:BYTE_3
	v_sub_u32_e32 v8, 29, v8
	v_and_b32_e32 v5, 7, v5
	v_cmp_eq_u16_e32 vcc, 0, v6
	v_cndmask_b32_e32 v3, v3, v5, vcc
	v_cndmask_b32_e32 v5, v7, v8, vcc
	v_mov_b32_e32 v6, 0x3b800000
	v_lshlrev_b32_e32 v3, 20, v3
	v_lshl_add_u32 v5, v5, 23, v6
	v_or3_b32 v3, v4, v5, v3
.LBB6_1792:
	s_or_b64 exec, exec, s[6:7]
	s_nop 0
	v_mfma_f32_16x16x4f32 a[0:3], v2, v3, a[0:3]
	s_movk_i32 s4, 0x7f
                                        ; implicit-def: $sgpr10
	s_nop 7
	s_nop 1
	flat_store_dwordx4 v[18:19], a[0:3] offset:608
	flat_load_dwordx4 v[18:21], v[0:1] offset:16
	s_nop 0
	flat_load_dwordx2 v[16:17], v[0:1] offset:32
	s_waitcnt vmcnt(0) lgkmcnt(0)
	flat_load_dwordx4 v[12:15], v[18:19]
	flat_load_dwordx4 v[4:7], v[18:19] offset:16
	flat_load_dwordx4 v[8:11], v[20:21] offset:224
	;; [unrolled: 1-line block ×3, first 2 shown]
	s_waitcnt vmcnt(0) lgkmcnt(0)
	v_cmp_gt_i16_sdwa s[6:7], v12, s4 src0_sel:BYTE_0 src1_sel:DWORD
	s_mov_b64 s[4:5], 0
	s_and_saveexec_b64 s[8:9], s[6:7]
	s_xor_b64 s[6:7], exec, s[8:9]
	s_cbranch_execnz .LBB6_3841
; %bb.1793:
	s_or_saveexec_b64 s[6:7], s[6:7]
	v_mov_b32_e32 v18, s10
	s_xor_b64 exec, exec, s[6:7]
	s_cbranch_execnz .LBB6_3844
.LBB6_1794:
	s_or_b64 exec, exec, s[6:7]
	s_and_saveexec_b64 s[6:7], s[4:5]
	s_cbranch_execz .LBB6_1796
.LBB6_1795:
	v_and_b32_e32 v18, 7, v12
	v_ffbh_u32_e32 v20, v18
	v_min_u32_e32 v20, 32, v20
	v_lshrrev_b16_e32 v19, 3, v12
	v_subrev_u32_e32 v21, 28, v20
	v_and_b32_e32 v19, 15, v19
	v_lshlrev_b32_e32 v21, v21, v12
	v_sub_u32_e32 v20, 29, v20
	v_and_b32_e32 v21, 7, v21
	v_cmp_eq_u16_e32 vcc, 0, v19
	v_cndmask_b32_e32 v18, v18, v21, vcc
	v_cndmask_b32_e32 v19, v19, v20, vcc
	v_lshlrev_b32_e32 v20, 24, v12
	v_mov_b32_e32 v21, 0x3b800000
	v_lshlrev_b32_e32 v18, 20, v18
	v_and_b32_e32 v20, 0x80000000, v20
	v_lshl_add_u32 v19, v19, 23, v21
	v_or3_b32 v18, v20, v19, v18
.LBB6_1796:
	s_or_b64 exec, exec, s[6:7]
	s_movk_i32 s4, 0x7f
	v_cmp_gt_i16_sdwa s[6:7], v8, s4 src0_sel:BYTE_0 src1_sel:DWORD
	s_mov_b64 s[4:5], 0
                                        ; implicit-def: $sgpr10
	s_and_saveexec_b64 s[8:9], s[6:7]
	s_xor_b64 s[6:7], exec, s[8:9]
	s_cbranch_execnz .LBB6_3845
; %bb.1797:
	s_or_saveexec_b64 s[6:7], s[6:7]
	v_mov_b32_e32 v19, s10
	s_xor_b64 exec, exec, s[6:7]
	s_cbranch_execnz .LBB6_3848
.LBB6_1798:
	s_or_b64 exec, exec, s[6:7]
	s_and_saveexec_b64 s[6:7], s[4:5]
	s_cbranch_execz .LBB6_1800
.LBB6_1799:
	v_and_b32_e32 v19, 7, v8
	v_ffbh_u32_e32 v21, v19
	v_min_u32_e32 v21, 32, v21
	v_lshrrev_b16_e32 v20, 3, v8
	v_subrev_u32_e32 v22, 28, v21
	v_and_b32_e32 v20, 15, v20
	v_lshlrev_b32_e32 v22, v22, v8
	v_sub_u32_e32 v21, 29, v21
	v_and_b32_e32 v22, 7, v22
	v_cmp_eq_u16_e32 vcc, 0, v20
	v_cndmask_b32_e32 v19, v19, v22, vcc
	v_cndmask_b32_e32 v20, v20, v21, vcc
	v_lshlrev_b32_e32 v21, 24, v8
	v_mov_b32_e32 v22, 0x3b800000
	v_lshlrev_b32_e32 v19, 20, v19
	v_and_b32_e32 v21, 0x80000000, v21
	v_lshl_add_u32 v20, v20, 23, v22
	v_or3_b32 v19, v21, v20, v19
.LBB6_1800:
	s_or_b64 exec, exec, s[6:7]
	flat_load_dwordx4 a[0:3], v[16:17] offset:624
	s_movk_i32 s4, 0x7f
                                        ; implicit-def: $sgpr10
	s_waitcnt vmcnt(0) lgkmcnt(0)
	v_mfma_f32_16x16x4f32 a[0:3], v18, v19, a[0:3]
	v_lshrrev_b32_e32 v19, 8, v12
	v_cmp_gt_i16_sdwa s[6:7], v19, s4 src0_sel:BYTE_0 src1_sel:DWORD
	s_mov_b64 s[4:5], 0
	s_and_saveexec_b64 s[8:9], s[6:7]
	s_xor_b64 s[6:7], exec, s[8:9]
	s_cbranch_execnz .LBB6_3849
; %bb.1801:
	s_or_saveexec_b64 s[6:7], s[6:7]
	v_mov_b32_e32 v18, s10
	s_xor_b64 exec, exec, s[6:7]
	s_cbranch_execnz .LBB6_3852
.LBB6_1802:
	s_or_b64 exec, exec, s[6:7]
	s_and_saveexec_b64 s[6:7], s[4:5]
	s_cbranch_execz .LBB6_1804
.LBB6_1803:
	v_bfe_u32 v18, v12, 8, 3
	v_ffbh_u32_e32 v21, v18
	v_min_u32_e32 v21, 32, v21
	v_lshrrev_b16_e32 v20, 3, v19
	v_subrev_u32_e32 v22, 28, v21
	v_and_b32_e32 v20, 15, v20
	v_lshlrev_b32_e32 v19, v22, v19
	v_sub_u32_e32 v21, 29, v21
	v_and_b32_e32 v19, 7, v19
	v_cmp_eq_u16_e32 vcc, 0, v20
	v_cndmask_b32_e32 v18, v18, v19, vcc
	v_cndmask_b32_e32 v19, v20, v21, vcc
	v_lshlrev_b32_e32 v20, 16, v12
	v_mov_b32_e32 v21, 0x3b800000
	v_lshlrev_b32_e32 v18, 20, v18
	v_and_b32_e32 v20, 0x80000000, v20
	v_lshl_add_u32 v19, v19, 23, v21
	v_or3_b32 v18, v20, v19, v18
.LBB6_1804:
	s_or_b64 exec, exec, s[6:7]
	v_lshrrev_b32_e32 v19, 8, v8
	s_movk_i32 s4, 0x7f
	v_cmp_gt_i16_sdwa s[6:7], v19, s4 src0_sel:BYTE_0 src1_sel:DWORD
	s_mov_b64 s[4:5], 0
                                        ; implicit-def: $sgpr10
	s_and_saveexec_b64 s[8:9], s[6:7]
	s_xor_b64 s[6:7], exec, s[8:9]
	s_cbranch_execnz .LBB6_3853
; %bb.1805:
	s_or_saveexec_b64 s[6:7], s[6:7]
	v_mov_b32_e32 v20, s10
	s_xor_b64 exec, exec, s[6:7]
	s_cbranch_execnz .LBB6_3856
.LBB6_1806:
	s_or_b64 exec, exec, s[6:7]
	s_and_saveexec_b64 s[6:7], s[4:5]
	s_cbranch_execz .LBB6_1808
.LBB6_1807:
	v_bfe_u32 v20, v8, 8, 3
	v_ffbh_u32_e32 v22, v20
	v_min_u32_e32 v22, 32, v22
	v_lshrrev_b16_e32 v21, 3, v19
	v_subrev_u32_e32 v23, 28, v22
	v_and_b32_e32 v21, 15, v21
	v_lshlrev_b32_e32 v19, v23, v19
	v_sub_u32_e32 v22, 29, v22
	v_and_b32_e32 v19, 7, v19
	v_cmp_eq_u16_e32 vcc, 0, v21
	v_cndmask_b32_e32 v19, v20, v19, vcc
	v_cndmask_b32_e32 v20, v21, v22, vcc
	v_lshlrev_b32_e32 v21, 16, v8
	v_mov_b32_e32 v22, 0x3b800000
	v_lshlrev_b32_e32 v19, 20, v19
	v_and_b32_e32 v21, 0x80000000, v21
	v_lshl_add_u32 v20, v20, 23, v22
	v_or3_b32 v20, v21, v20, v19
.LBB6_1808:
	s_or_b64 exec, exec, s[6:7]
	s_nop 0
	v_mfma_f32_16x16x4f32 a[0:3], v18, v20, a[0:3]
	s_movk_i32 s4, 0xff
	v_and_b32_sdwa v19, v12, s4 dst_sel:DWORD dst_unused:UNUSED_PAD src0_sel:WORD_1 src1_sel:DWORD
	s_movk_i32 s4, 0x7f
	v_cmp_lt_i16_e32 vcc, s4, v19
	s_mov_b64 s[4:5], 0
                                        ; implicit-def: $sgpr10
	s_and_saveexec_b64 s[6:7], vcc
	s_xor_b64 s[6:7], exec, s[6:7]
	s_cbranch_execnz .LBB6_3857
; %bb.1809:
	s_or_saveexec_b64 s[6:7], s[6:7]
	v_mov_b32_e32 v18, s10
	s_xor_b64 exec, exec, s[6:7]
	s_cbranch_execnz .LBB6_3860
.LBB6_1810:
	s_or_b64 exec, exec, s[6:7]
	s_and_saveexec_b64 s[6:7], s[4:5]
	s_cbranch_execz .LBB6_1812
.LBB6_1811:
	v_bfe_u32 v18, v12, 16, 3
	v_ffbh_u32_e32 v21, v18
	v_min_u32_e32 v21, 32, v21
	v_lshrrev_b32_e32 v19, 19, v12
	v_subrev_u32_e32 v22, 28, v21
	v_and_b32_e32 v19, 15, v19
	v_lshlrev_b32_sdwa v22, v22, v12 dst_sel:DWORD dst_unused:UNUSED_PAD src0_sel:DWORD src1_sel:WORD_1
	v_bfe_u32 v20, v12, 19, 4
	v_sub_u32_e32 v21, 29, v21
	v_and_b32_e32 v22, 7, v22
	v_cmp_eq_u16_e32 vcc, 0, v19
	v_cndmask_b32_e32 v18, v18, v22, vcc
	v_cndmask_b32_e32 v19, v20, v21, vcc
	v_lshlrev_b32_e32 v20, 8, v12
	v_mov_b32_e32 v21, 0x3b800000
	v_lshlrev_b32_e32 v18, 20, v18
	v_and_b32_e32 v20, 0x80000000, v20
	v_lshl_add_u32 v19, v19, 23, v21
	v_or3_b32 v18, v20, v19, v18
.LBB6_1812:
	s_or_b64 exec, exec, s[6:7]
	s_movk_i32 s4, 0xff
	v_and_b32_sdwa v19, v8, s4 dst_sel:DWORD dst_unused:UNUSED_PAD src0_sel:WORD_1 src1_sel:DWORD
	s_movk_i32 s4, 0x7f
	v_cmp_lt_i16_e32 vcc, s4, v19
	s_mov_b64 s[4:5], 0
                                        ; implicit-def: $sgpr10
	s_and_saveexec_b64 s[6:7], vcc
	s_xor_b64 s[6:7], exec, s[6:7]
	s_cbranch_execnz .LBB6_3861
; %bb.1813:
	s_or_saveexec_b64 s[6:7], s[6:7]
	v_mov_b32_e32 v20, s10
	s_xor_b64 exec, exec, s[6:7]
	s_cbranch_execnz .LBB6_3864
.LBB6_1814:
	s_or_b64 exec, exec, s[6:7]
	s_and_saveexec_b64 s[6:7], s[4:5]
	s_cbranch_execz .LBB6_1816
.LBB6_1815:
	v_bfe_u32 v19, v8, 16, 3
	v_ffbh_u32_e32 v22, v19
	v_min_u32_e32 v22, 32, v22
	v_lshrrev_b32_e32 v20, 19, v8
	v_subrev_u32_e32 v23, 28, v22
	v_and_b32_e32 v20, 15, v20
	v_lshlrev_b32_sdwa v23, v23, v8 dst_sel:DWORD dst_unused:UNUSED_PAD src0_sel:DWORD src1_sel:WORD_1
	v_bfe_u32 v21, v8, 19, 4
	v_sub_u32_e32 v22, 29, v22
	v_and_b32_e32 v23, 7, v23
	v_cmp_eq_u16_e32 vcc, 0, v20
	v_cndmask_b32_e32 v19, v19, v23, vcc
	v_cndmask_b32_e32 v20, v21, v22, vcc
	v_lshlrev_b32_e32 v21, 8, v8
	v_mov_b32_e32 v22, 0x3b800000
	v_lshlrev_b32_e32 v19, 20, v19
	v_and_b32_e32 v21, 0x80000000, v21
	v_lshl_add_u32 v20, v20, 23, v22
	v_or3_b32 v20, v21, v20, v19
.LBB6_1816:
	s_or_b64 exec, exec, s[6:7]
	s_nop 0
	v_mfma_f32_16x16x4f32 a[0:3], v18, v20, a[0:3]
	s_movk_i32 s4, 0x7f
	v_cmp_gt_i16_sdwa s[6:7], v12, s4 src0_sel:BYTE_3 src1_sel:DWORD
	s_mov_b64 s[4:5], 0
                                        ; implicit-def: $sgpr10
	s_and_saveexec_b64 s[8:9], s[6:7]
	s_xor_b64 s[6:7], exec, s[8:9]
	s_cbranch_execnz .LBB6_3865
; %bb.1817:
	s_or_saveexec_b64 s[6:7], s[6:7]
	v_mov_b32_e32 v18, s10
	s_xor_b64 exec, exec, s[6:7]
	s_cbranch_execnz .LBB6_3868
.LBB6_1818:
	s_or_b64 exec, exec, s[6:7]
	s_and_saveexec_b64 s[6:7], s[4:5]
	s_cbranch_execz .LBB6_1820
.LBB6_1819:
	v_bfe_u32 v18, v12, 24, 3
	v_ffbh_u32_e32 v22, v18
	v_min_u32_e32 v22, 32, v22
	v_lshrrev_b32_e32 v20, 27, v12
	v_subrev_u32_e32 v23, 28, v22
	v_and_b32_e32 v19, 0x80000000, v12
	v_and_b32_e32 v20, 15, v20
	v_bfe_u32 v21, v12, 27, 4
	v_lshlrev_b32_sdwa v12, v23, v12 dst_sel:DWORD dst_unused:UNUSED_PAD src0_sel:DWORD src1_sel:BYTE_3
	v_sub_u32_e32 v22, 29, v22
	v_and_b32_e32 v12, 7, v12
	v_cmp_eq_u16_e32 vcc, 0, v20
	v_cndmask_b32_e32 v12, v18, v12, vcc
	v_cndmask_b32_e32 v18, v21, v22, vcc
	v_mov_b32_e32 v20, 0x3b800000
	v_lshlrev_b32_e32 v12, 20, v12
	v_lshl_add_u32 v18, v18, 23, v20
	v_or3_b32 v18, v19, v18, v12
.LBB6_1820:
	s_or_b64 exec, exec, s[6:7]
	s_movk_i32 s4, 0x7f
	v_cmp_gt_i16_sdwa s[6:7], v8, s4 src0_sel:BYTE_3 src1_sel:DWORD
	s_mov_b64 s[4:5], 0
                                        ; implicit-def: $sgpr10
	s_and_saveexec_b64 s[8:9], s[6:7]
	s_xor_b64 s[6:7], exec, s[8:9]
	s_cbranch_execnz .LBB6_3869
; %bb.1821:
	s_or_saveexec_b64 s[6:7], s[6:7]
	v_mov_b32_e32 v12, s10
	s_xor_b64 exec, exec, s[6:7]
	s_cbranch_execnz .LBB6_3872
.LBB6_1822:
	s_or_b64 exec, exec, s[6:7]
	s_and_saveexec_b64 s[6:7], s[4:5]
	s_cbranch_execz .LBB6_1824
.LBB6_1823:
	v_bfe_u32 v12, v8, 24, 3
	v_ffbh_u32_e32 v22, v12
	v_min_u32_e32 v22, 32, v22
	v_lshrrev_b32_e32 v20, 27, v8
	v_subrev_u32_e32 v23, 28, v22
	v_and_b32_e32 v19, 0x80000000, v8
	v_and_b32_e32 v20, 15, v20
	v_bfe_u32 v21, v8, 27, 4
	v_lshlrev_b32_sdwa v8, v23, v8 dst_sel:DWORD dst_unused:UNUSED_PAD src0_sel:DWORD src1_sel:BYTE_3
	v_sub_u32_e32 v22, 29, v22
	v_and_b32_e32 v8, 7, v8
	v_cmp_eq_u16_e32 vcc, 0, v20
	v_cndmask_b32_e32 v8, v12, v8, vcc
	v_cndmask_b32_e32 v12, v21, v22, vcc
	v_mov_b32_e32 v20, 0x3b800000
	v_lshlrev_b32_e32 v8, 20, v8
	v_lshl_add_u32 v12, v12, 23, v20
	v_or3_b32 v12, v19, v12, v8
.LBB6_1824:
	s_or_b64 exec, exec, s[6:7]
	s_nop 0
	v_mfma_f32_16x16x4f32 a[0:3], v18, v12, a[0:3]
	s_movk_i32 s4, 0x7f
	v_cmp_gt_i16_sdwa s[6:7], v13, s4 src0_sel:BYTE_0 src1_sel:DWORD
	s_mov_b64 s[4:5], 0
                                        ; implicit-def: $sgpr10
	s_and_saveexec_b64 s[8:9], s[6:7]
	s_xor_b64 s[6:7], exec, s[8:9]
	s_cbranch_execnz .LBB6_3873
; %bb.1825:
	s_or_saveexec_b64 s[6:7], s[6:7]
	v_mov_b32_e32 v8, s10
	s_xor_b64 exec, exec, s[6:7]
	s_cbranch_execnz .LBB6_3876
.LBB6_1826:
	s_or_b64 exec, exec, s[6:7]
	s_and_saveexec_b64 s[6:7], s[4:5]
	s_cbranch_execz .LBB6_1828
.LBB6_1827:
	v_and_b32_e32 v8, 7, v13
	v_ffbh_u32_e32 v18, v8
	v_min_u32_e32 v18, 32, v18
	v_lshrrev_b16_e32 v12, 3, v13
	v_subrev_u32_e32 v19, 28, v18
	v_and_b32_e32 v12, 15, v12
	v_lshlrev_b32_e32 v19, v19, v13
	v_sub_u32_e32 v18, 29, v18
	v_and_b32_e32 v19, 7, v19
	v_cmp_eq_u16_e32 vcc, 0, v12
	v_cndmask_b32_e32 v8, v8, v19, vcc
	v_cndmask_b32_e32 v12, v12, v18, vcc
	v_lshlrev_b32_e32 v18, 24, v13
	v_mov_b32_e32 v19, 0x3b800000
	v_lshlrev_b32_e32 v8, 20, v8
	v_and_b32_e32 v18, 0x80000000, v18
	v_lshl_add_u32 v12, v12, 23, v19
	v_or3_b32 v8, v18, v12, v8
.LBB6_1828:
	s_or_b64 exec, exec, s[6:7]
	s_movk_i32 s4, 0x7f
	v_cmp_gt_i16_sdwa s[6:7], v9, s4 src0_sel:BYTE_0 src1_sel:DWORD
	s_mov_b64 s[4:5], 0
                                        ; implicit-def: $sgpr10
	s_and_saveexec_b64 s[8:9], s[6:7]
	s_xor_b64 s[6:7], exec, s[8:9]
	s_cbranch_execnz .LBB6_3877
; %bb.1829:
	s_or_saveexec_b64 s[6:7], s[6:7]
	v_mov_b32_e32 v12, s10
	s_xor_b64 exec, exec, s[6:7]
	s_cbranch_execnz .LBB6_3880
.LBB6_1830:
	s_or_b64 exec, exec, s[6:7]
	s_and_saveexec_b64 s[6:7], s[4:5]
	s_cbranch_execz .LBB6_1832
.LBB6_1831:
	v_and_b32_e32 v12, 7, v9
	v_ffbh_u32_e32 v19, v12
	v_min_u32_e32 v19, 32, v19
	v_lshrrev_b16_e32 v18, 3, v9
	v_subrev_u32_e32 v20, 28, v19
	v_and_b32_e32 v18, 15, v18
	v_lshlrev_b32_e32 v20, v20, v9
	v_sub_u32_e32 v19, 29, v19
	v_and_b32_e32 v20, 7, v20
	v_cmp_eq_u16_e32 vcc, 0, v18
	v_cndmask_b32_e32 v12, v12, v20, vcc
	v_cndmask_b32_e32 v18, v18, v19, vcc
	v_lshlrev_b32_e32 v19, 24, v9
	v_mov_b32_e32 v20, 0x3b800000
	v_lshlrev_b32_e32 v12, 20, v12
	v_and_b32_e32 v19, 0x80000000, v19
	v_lshl_add_u32 v18, v18, 23, v20
	v_or3_b32 v12, v19, v18, v12
.LBB6_1832:
	s_or_b64 exec, exec, s[6:7]
	s_nop 0
	v_mfma_f32_16x16x4f32 a[0:3], v8, v12, a[0:3]
	v_lshrrev_b32_e32 v12, 8, v13
	s_movk_i32 s4, 0x7f
	v_cmp_gt_i16_sdwa s[6:7], v12, s4 src0_sel:BYTE_0 src1_sel:DWORD
	s_mov_b64 s[4:5], 0
                                        ; implicit-def: $sgpr10
	s_and_saveexec_b64 s[8:9], s[6:7]
	s_xor_b64 s[6:7], exec, s[8:9]
	s_cbranch_execnz .LBB6_3881
; %bb.1833:
	s_or_saveexec_b64 s[6:7], s[6:7]
	v_mov_b32_e32 v8, s10
	s_xor_b64 exec, exec, s[6:7]
	s_cbranch_execnz .LBB6_3884
.LBB6_1834:
	s_or_b64 exec, exec, s[6:7]
	s_and_saveexec_b64 s[6:7], s[4:5]
	s_cbranch_execz .LBB6_1836
.LBB6_1835:
	v_bfe_u32 v8, v13, 8, 3
	v_ffbh_u32_e32 v19, v8
	v_min_u32_e32 v19, 32, v19
	v_lshrrev_b16_e32 v18, 3, v12
	v_subrev_u32_e32 v20, 28, v19
	v_and_b32_e32 v18, 15, v18
	v_lshlrev_b32_e32 v12, v20, v12
	v_sub_u32_e32 v19, 29, v19
	v_and_b32_e32 v12, 7, v12
	v_cmp_eq_u16_e32 vcc, 0, v18
	v_cndmask_b32_e32 v8, v8, v12, vcc
	v_cndmask_b32_e32 v12, v18, v19, vcc
	v_lshlrev_b32_e32 v18, 16, v13
	v_mov_b32_e32 v19, 0x3b800000
	v_lshlrev_b32_e32 v8, 20, v8
	v_and_b32_e32 v18, 0x80000000, v18
	v_lshl_add_u32 v12, v12, 23, v19
	v_or3_b32 v8, v18, v12, v8
.LBB6_1836:
	s_or_b64 exec, exec, s[6:7]
	v_lshrrev_b32_e32 v12, 8, v9
	s_movk_i32 s4, 0x7f
	v_cmp_gt_i16_sdwa s[6:7], v12, s4 src0_sel:BYTE_0 src1_sel:DWORD
	s_mov_b64 s[4:5], 0
                                        ; implicit-def: $sgpr10
	s_and_saveexec_b64 s[8:9], s[6:7]
	s_xor_b64 s[6:7], exec, s[8:9]
	s_cbranch_execnz .LBB6_3885
; %bb.1837:
	s_or_saveexec_b64 s[6:7], s[6:7]
	v_mov_b32_e32 v18, s10
	s_xor_b64 exec, exec, s[6:7]
	s_cbranch_execnz .LBB6_3888
.LBB6_1838:
	s_or_b64 exec, exec, s[6:7]
	s_and_saveexec_b64 s[6:7], s[4:5]
	s_cbranch_execz .LBB6_1840
.LBB6_1839:
	v_bfe_u32 v18, v9, 8, 3
	v_ffbh_u32_e32 v20, v18
	v_min_u32_e32 v20, 32, v20
	v_lshrrev_b16_e32 v19, 3, v12
	v_subrev_u32_e32 v21, 28, v20
	v_and_b32_e32 v19, 15, v19
	v_lshlrev_b32_e32 v12, v21, v12
	v_sub_u32_e32 v20, 29, v20
	v_and_b32_e32 v12, 7, v12
	v_cmp_eq_u16_e32 vcc, 0, v19
	v_cndmask_b32_e32 v12, v18, v12, vcc
	v_cndmask_b32_e32 v18, v19, v20, vcc
	v_lshlrev_b32_e32 v19, 16, v9
	v_mov_b32_e32 v20, 0x3b800000
	v_lshlrev_b32_e32 v12, 20, v12
	v_and_b32_e32 v19, 0x80000000, v19
	v_lshl_add_u32 v18, v18, 23, v20
	v_or3_b32 v18, v19, v18, v12
.LBB6_1840:
	s_or_b64 exec, exec, s[6:7]
	s_nop 0
	v_mfma_f32_16x16x4f32 a[0:3], v8, v18, a[0:3]
	s_movk_i32 s4, 0xff
	v_and_b32_sdwa v12, v13, s4 dst_sel:DWORD dst_unused:UNUSED_PAD src0_sel:WORD_1 src1_sel:DWORD
	s_movk_i32 s4, 0x7f
	v_cmp_lt_i16_e32 vcc, s4, v12
	s_mov_b64 s[4:5], 0
                                        ; implicit-def: $sgpr10
	s_and_saveexec_b64 s[6:7], vcc
	s_xor_b64 s[6:7], exec, s[6:7]
	s_cbranch_execnz .LBB6_3889
; %bb.1841:
	s_or_saveexec_b64 s[6:7], s[6:7]
	v_mov_b32_e32 v8, s10
	s_xor_b64 exec, exec, s[6:7]
	s_cbranch_execnz .LBB6_3892
.LBB6_1842:
	s_or_b64 exec, exec, s[6:7]
	s_and_saveexec_b64 s[6:7], s[4:5]
	s_cbranch_execz .LBB6_1844
.LBB6_1843:
	v_bfe_u32 v8, v13, 16, 3
	v_ffbh_u32_e32 v19, v8
	v_min_u32_e32 v19, 32, v19
	v_lshrrev_b32_e32 v12, 19, v13
	v_subrev_u32_e32 v20, 28, v19
	v_and_b32_e32 v12, 15, v12
	v_lshlrev_b32_sdwa v20, v20, v13 dst_sel:DWORD dst_unused:UNUSED_PAD src0_sel:DWORD src1_sel:WORD_1
	v_bfe_u32 v18, v13, 19, 4
	v_sub_u32_e32 v19, 29, v19
	v_and_b32_e32 v20, 7, v20
	v_cmp_eq_u16_e32 vcc, 0, v12
	v_cndmask_b32_e32 v8, v8, v20, vcc
	v_cndmask_b32_e32 v12, v18, v19, vcc
	v_lshlrev_b32_e32 v18, 8, v13
	v_mov_b32_e32 v19, 0x3b800000
	v_lshlrev_b32_e32 v8, 20, v8
	v_and_b32_e32 v18, 0x80000000, v18
	v_lshl_add_u32 v12, v12, 23, v19
	v_or3_b32 v8, v18, v12, v8
.LBB6_1844:
	s_or_b64 exec, exec, s[6:7]
	s_movk_i32 s4, 0xff
	v_and_b32_sdwa v12, v9, s4 dst_sel:DWORD dst_unused:UNUSED_PAD src0_sel:WORD_1 src1_sel:DWORD
	s_movk_i32 s4, 0x7f
	v_cmp_lt_i16_e32 vcc, s4, v12
	s_mov_b64 s[4:5], 0
                                        ; implicit-def: $sgpr10
	s_and_saveexec_b64 s[6:7], vcc
	s_xor_b64 s[6:7], exec, s[6:7]
	s_cbranch_execnz .LBB6_3893
; %bb.1845:
	s_or_saveexec_b64 s[6:7], s[6:7]
	v_mov_b32_e32 v18, s10
	s_xor_b64 exec, exec, s[6:7]
	s_cbranch_execnz .LBB6_3896
.LBB6_1846:
	s_or_b64 exec, exec, s[6:7]
	s_and_saveexec_b64 s[6:7], s[4:5]
	s_cbranch_execz .LBB6_1848
.LBB6_1847:
	v_bfe_u32 v12, v9, 16, 3
	v_ffbh_u32_e32 v20, v12
	v_min_u32_e32 v20, 32, v20
	v_lshrrev_b32_e32 v18, 19, v9
	v_subrev_u32_e32 v21, 28, v20
	v_and_b32_e32 v18, 15, v18
	v_lshlrev_b32_sdwa v21, v21, v9 dst_sel:DWORD dst_unused:UNUSED_PAD src0_sel:DWORD src1_sel:WORD_1
	v_bfe_u32 v19, v9, 19, 4
	v_sub_u32_e32 v20, 29, v20
	v_and_b32_e32 v21, 7, v21
	v_cmp_eq_u16_e32 vcc, 0, v18
	v_cndmask_b32_e32 v12, v12, v21, vcc
	v_cndmask_b32_e32 v18, v19, v20, vcc
	v_lshlrev_b32_e32 v19, 8, v9
	v_mov_b32_e32 v20, 0x3b800000
	v_lshlrev_b32_e32 v12, 20, v12
	v_and_b32_e32 v19, 0x80000000, v19
	v_lshl_add_u32 v18, v18, 23, v20
	v_or3_b32 v18, v19, v18, v12
.LBB6_1848:
	s_or_b64 exec, exec, s[6:7]
	s_nop 0
	v_mfma_f32_16x16x4f32 a[0:3], v8, v18, a[0:3]
	s_movk_i32 s4, 0x7f
	v_cmp_gt_i16_sdwa s[6:7], v13, s4 src0_sel:BYTE_3 src1_sel:DWORD
	s_mov_b64 s[4:5], 0
                                        ; implicit-def: $sgpr10
	s_and_saveexec_b64 s[8:9], s[6:7]
	s_xor_b64 s[6:7], exec, s[8:9]
	s_cbranch_execnz .LBB6_3897
; %bb.1849:
	s_or_saveexec_b64 s[6:7], s[6:7]
	v_mov_b32_e32 v8, s10
	s_xor_b64 exec, exec, s[6:7]
	s_cbranch_execnz .LBB6_3900
.LBB6_1850:
	s_or_b64 exec, exec, s[6:7]
	s_and_saveexec_b64 s[6:7], s[4:5]
	s_cbranch_execz .LBB6_1852
.LBB6_1851:
	v_bfe_u32 v8, v13, 24, 3
	v_ffbh_u32_e32 v20, v8
	v_min_u32_e32 v20, 32, v20
	v_lshrrev_b32_e32 v18, 27, v13
	v_subrev_u32_e32 v21, 28, v20
	v_and_b32_e32 v12, 0x80000000, v13
	v_and_b32_e32 v18, 15, v18
	v_bfe_u32 v19, v13, 27, 4
	v_lshlrev_b32_sdwa v13, v21, v13 dst_sel:DWORD dst_unused:UNUSED_PAD src0_sel:DWORD src1_sel:BYTE_3
	v_sub_u32_e32 v20, 29, v20
	v_and_b32_e32 v13, 7, v13
	v_cmp_eq_u16_e32 vcc, 0, v18
	v_cndmask_b32_e32 v8, v8, v13, vcc
	v_cndmask_b32_e32 v13, v19, v20, vcc
	v_mov_b32_e32 v18, 0x3b800000
	v_lshlrev_b32_e32 v8, 20, v8
	v_lshl_add_u32 v13, v13, 23, v18
	v_or3_b32 v8, v12, v13, v8
.LBB6_1852:
	s_or_b64 exec, exec, s[6:7]
	s_movk_i32 s4, 0x7f
	v_cmp_gt_i16_sdwa s[6:7], v9, s4 src0_sel:BYTE_3 src1_sel:DWORD
	s_mov_b64 s[4:5], 0
                                        ; implicit-def: $sgpr10
	s_and_saveexec_b64 s[8:9], s[6:7]
	s_xor_b64 s[6:7], exec, s[8:9]
	s_cbranch_execnz .LBB6_3901
; %bb.1853:
	s_or_saveexec_b64 s[6:7], s[6:7]
	v_mov_b32_e32 v12, s10
	s_xor_b64 exec, exec, s[6:7]
	s_cbranch_execnz .LBB6_3904
.LBB6_1854:
	s_or_b64 exec, exec, s[6:7]
	s_and_saveexec_b64 s[6:7], s[4:5]
	s_cbranch_execz .LBB6_1856
.LBB6_1855:
	v_bfe_u32 v12, v9, 24, 3
	v_ffbh_u32_e32 v20, v12
	v_min_u32_e32 v20, 32, v20
	v_lshrrev_b32_e32 v18, 27, v9
	v_subrev_u32_e32 v21, 28, v20
	v_and_b32_e32 v13, 0x80000000, v9
	v_and_b32_e32 v18, 15, v18
	v_bfe_u32 v19, v9, 27, 4
	v_lshlrev_b32_sdwa v9, v21, v9 dst_sel:DWORD dst_unused:UNUSED_PAD src0_sel:DWORD src1_sel:BYTE_3
	v_sub_u32_e32 v20, 29, v20
	v_and_b32_e32 v9, 7, v9
	v_cmp_eq_u16_e32 vcc, 0, v18
	v_cndmask_b32_e32 v9, v12, v9, vcc
	v_cndmask_b32_e32 v12, v19, v20, vcc
	v_mov_b32_e32 v18, 0x3b800000
	v_lshlrev_b32_e32 v9, 20, v9
	v_lshl_add_u32 v12, v12, 23, v18
	v_or3_b32 v12, v13, v12, v9
.LBB6_1856:
	s_or_b64 exec, exec, s[6:7]
	s_nop 0
	v_mfma_f32_16x16x4f32 a[0:3], v8, v12, a[0:3]
	s_movk_i32 s4, 0x7f
	v_cmp_gt_i16_sdwa s[6:7], v14, s4 src0_sel:BYTE_0 src1_sel:DWORD
	s_mov_b64 s[4:5], 0
                                        ; implicit-def: $sgpr10
	s_and_saveexec_b64 s[8:9], s[6:7]
	s_xor_b64 s[6:7], exec, s[8:9]
	s_cbranch_execnz .LBB6_3905
; %bb.1857:
	s_or_saveexec_b64 s[6:7], s[6:7]
	v_mov_b32_e32 v8, s10
	s_xor_b64 exec, exec, s[6:7]
	s_cbranch_execnz .LBB6_3908
.LBB6_1858:
	s_or_b64 exec, exec, s[6:7]
	s_and_saveexec_b64 s[6:7], s[4:5]
	s_cbranch_execz .LBB6_1860
.LBB6_1859:
	v_and_b32_e32 v8, 7, v14
	v_ffbh_u32_e32 v12, v8
	v_min_u32_e32 v12, 32, v12
	v_lshrrev_b16_e32 v9, 3, v14
	v_subrev_u32_e32 v13, 28, v12
	v_and_b32_e32 v9, 15, v9
	v_lshlrev_b32_e32 v13, v13, v14
	v_sub_u32_e32 v12, 29, v12
	v_and_b32_e32 v13, 7, v13
	v_cmp_eq_u16_e32 vcc, 0, v9
	v_cndmask_b32_e32 v8, v8, v13, vcc
	v_cndmask_b32_e32 v9, v9, v12, vcc
	v_lshlrev_b32_e32 v12, 24, v14
	v_mov_b32_e32 v13, 0x3b800000
	v_lshlrev_b32_e32 v8, 20, v8
	v_and_b32_e32 v12, 0x80000000, v12
	v_lshl_add_u32 v9, v9, 23, v13
	v_or3_b32 v8, v12, v9, v8
.LBB6_1860:
	s_or_b64 exec, exec, s[6:7]
	s_movk_i32 s4, 0x7f
	v_cmp_gt_i16_sdwa s[6:7], v10, s4 src0_sel:BYTE_0 src1_sel:DWORD
	s_mov_b64 s[4:5], 0
                                        ; implicit-def: $sgpr10
	s_and_saveexec_b64 s[8:9], s[6:7]
	s_xor_b64 s[6:7], exec, s[8:9]
	s_cbranch_execnz .LBB6_3909
; %bb.1861:
	s_or_saveexec_b64 s[6:7], s[6:7]
	v_mov_b32_e32 v9, s10
	s_xor_b64 exec, exec, s[6:7]
	s_cbranch_execnz .LBB6_3912
.LBB6_1862:
	s_or_b64 exec, exec, s[6:7]
	s_and_saveexec_b64 s[6:7], s[4:5]
	s_cbranch_execz .LBB6_1864
.LBB6_1863:
	v_and_b32_e32 v9, 7, v10
	v_ffbh_u32_e32 v13, v9
	v_min_u32_e32 v13, 32, v13
	v_lshrrev_b16_e32 v12, 3, v10
	v_subrev_u32_e32 v18, 28, v13
	v_and_b32_e32 v12, 15, v12
	v_lshlrev_b32_e32 v18, v18, v10
	v_sub_u32_e32 v13, 29, v13
	v_and_b32_e32 v18, 7, v18
	v_cmp_eq_u16_e32 vcc, 0, v12
	v_cndmask_b32_e32 v9, v9, v18, vcc
	v_cndmask_b32_e32 v12, v12, v13, vcc
	v_lshlrev_b32_e32 v13, 24, v10
	v_mov_b32_e32 v18, 0x3b800000
	v_lshlrev_b32_e32 v9, 20, v9
	v_and_b32_e32 v13, 0x80000000, v13
	v_lshl_add_u32 v12, v12, 23, v18
	v_or3_b32 v9, v13, v12, v9
.LBB6_1864:
	s_or_b64 exec, exec, s[6:7]
	s_nop 0
	v_mfma_f32_16x16x4f32 a[0:3], v8, v9, a[0:3]
	v_lshrrev_b32_e32 v9, 8, v14
	s_movk_i32 s4, 0x7f
	v_cmp_gt_i16_sdwa s[6:7], v9, s4 src0_sel:BYTE_0 src1_sel:DWORD
	s_mov_b64 s[4:5], 0
                                        ; implicit-def: $sgpr10
	s_and_saveexec_b64 s[8:9], s[6:7]
	s_xor_b64 s[6:7], exec, s[8:9]
	s_cbranch_execnz .LBB6_3913
; %bb.1865:
	s_or_saveexec_b64 s[6:7], s[6:7]
	v_mov_b32_e32 v8, s10
	s_xor_b64 exec, exec, s[6:7]
	s_cbranch_execnz .LBB6_3916
.LBB6_1866:
	s_or_b64 exec, exec, s[6:7]
	s_and_saveexec_b64 s[6:7], s[4:5]
	s_cbranch_execz .LBB6_1868
.LBB6_1867:
	v_bfe_u32 v8, v14, 8, 3
	v_ffbh_u32_e32 v13, v8
	v_min_u32_e32 v13, 32, v13
	v_lshrrev_b16_e32 v12, 3, v9
	v_subrev_u32_e32 v18, 28, v13
	v_and_b32_e32 v12, 15, v12
	v_lshlrev_b32_e32 v9, v18, v9
	v_sub_u32_e32 v13, 29, v13
	v_and_b32_e32 v9, 7, v9
	v_cmp_eq_u16_e32 vcc, 0, v12
	v_cndmask_b32_e32 v8, v8, v9, vcc
	v_cndmask_b32_e32 v9, v12, v13, vcc
	v_lshlrev_b32_e32 v12, 16, v14
	v_mov_b32_e32 v13, 0x3b800000
	v_lshlrev_b32_e32 v8, 20, v8
	v_and_b32_e32 v12, 0x80000000, v12
	v_lshl_add_u32 v9, v9, 23, v13
	v_or3_b32 v8, v12, v9, v8
.LBB6_1868:
	s_or_b64 exec, exec, s[6:7]
	v_lshrrev_b32_e32 v9, 8, v10
	s_movk_i32 s4, 0x7f
	v_cmp_gt_i16_sdwa s[6:7], v9, s4 src0_sel:BYTE_0 src1_sel:DWORD
	s_mov_b64 s[4:5], 0
                                        ; implicit-def: $sgpr10
	s_and_saveexec_b64 s[8:9], s[6:7]
	s_xor_b64 s[6:7], exec, s[8:9]
	s_cbranch_execnz .LBB6_3917
; %bb.1869:
	s_or_saveexec_b64 s[6:7], s[6:7]
	v_mov_b32_e32 v12, s10
	s_xor_b64 exec, exec, s[6:7]
	s_cbranch_execnz .LBB6_3920
.LBB6_1870:
	s_or_b64 exec, exec, s[6:7]
	s_and_saveexec_b64 s[6:7], s[4:5]
	s_cbranch_execz .LBB6_1872
.LBB6_1871:
	v_bfe_u32 v12, v10, 8, 3
	v_ffbh_u32_e32 v18, v12
	v_min_u32_e32 v18, 32, v18
	v_lshrrev_b16_e32 v13, 3, v9
	v_subrev_u32_e32 v19, 28, v18
	v_and_b32_e32 v13, 15, v13
	v_lshlrev_b32_e32 v9, v19, v9
	v_sub_u32_e32 v18, 29, v18
	v_and_b32_e32 v9, 7, v9
	v_cmp_eq_u16_e32 vcc, 0, v13
	v_cndmask_b32_e32 v9, v12, v9, vcc
	v_cndmask_b32_e32 v12, v13, v18, vcc
	v_lshlrev_b32_e32 v13, 16, v10
	v_mov_b32_e32 v18, 0x3b800000
	v_lshlrev_b32_e32 v9, 20, v9
	v_and_b32_e32 v13, 0x80000000, v13
	v_lshl_add_u32 v12, v12, 23, v18
	v_or3_b32 v12, v13, v12, v9
.LBB6_1872:
	s_or_b64 exec, exec, s[6:7]
	s_nop 0
	v_mfma_f32_16x16x4f32 a[0:3], v8, v12, a[0:3]
	s_movk_i32 s4, 0xff
	v_and_b32_sdwa v9, v14, s4 dst_sel:DWORD dst_unused:UNUSED_PAD src0_sel:WORD_1 src1_sel:DWORD
	s_movk_i32 s4, 0x7f
	v_cmp_lt_i16_e32 vcc, s4, v9
	s_mov_b64 s[4:5], 0
                                        ; implicit-def: $sgpr10
	s_and_saveexec_b64 s[6:7], vcc
	s_xor_b64 s[6:7], exec, s[6:7]
	s_cbranch_execnz .LBB6_3921
; %bb.1873:
	s_or_saveexec_b64 s[6:7], s[6:7]
	v_mov_b32_e32 v8, s10
	s_xor_b64 exec, exec, s[6:7]
	s_cbranch_execnz .LBB6_3924
.LBB6_1874:
	s_or_b64 exec, exec, s[6:7]
	s_and_saveexec_b64 s[6:7], s[4:5]
	s_cbranch_execz .LBB6_1876
.LBB6_1875:
	v_bfe_u32 v8, v14, 16, 3
	v_ffbh_u32_e32 v13, v8
	v_min_u32_e32 v13, 32, v13
	v_lshrrev_b32_e32 v9, 19, v14
	v_subrev_u32_e32 v18, 28, v13
	v_and_b32_e32 v9, 15, v9
	v_lshlrev_b32_sdwa v18, v18, v14 dst_sel:DWORD dst_unused:UNUSED_PAD src0_sel:DWORD src1_sel:WORD_1
	v_bfe_u32 v12, v14, 19, 4
	v_sub_u32_e32 v13, 29, v13
	v_and_b32_e32 v18, 7, v18
	v_cmp_eq_u16_e32 vcc, 0, v9
	v_cndmask_b32_e32 v8, v8, v18, vcc
	v_cndmask_b32_e32 v9, v12, v13, vcc
	v_lshlrev_b32_e32 v12, 8, v14
	v_mov_b32_e32 v13, 0x3b800000
	v_lshlrev_b32_e32 v8, 20, v8
	v_and_b32_e32 v12, 0x80000000, v12
	v_lshl_add_u32 v9, v9, 23, v13
	v_or3_b32 v8, v12, v9, v8
.LBB6_1876:
	s_or_b64 exec, exec, s[6:7]
	s_movk_i32 s4, 0xff
	v_and_b32_sdwa v9, v10, s4 dst_sel:DWORD dst_unused:UNUSED_PAD src0_sel:WORD_1 src1_sel:DWORD
	s_movk_i32 s4, 0x7f
	v_cmp_lt_i16_e32 vcc, s4, v9
	s_mov_b64 s[4:5], 0
                                        ; implicit-def: $sgpr10
	s_and_saveexec_b64 s[6:7], vcc
	s_xor_b64 s[6:7], exec, s[6:7]
	s_cbranch_execnz .LBB6_3925
; %bb.1877:
	s_or_saveexec_b64 s[6:7], s[6:7]
	v_mov_b32_e32 v12, s10
	s_xor_b64 exec, exec, s[6:7]
	s_cbranch_execnz .LBB6_3928
.LBB6_1878:
	s_or_b64 exec, exec, s[6:7]
	s_and_saveexec_b64 s[6:7], s[4:5]
	s_cbranch_execz .LBB6_1880
.LBB6_1879:
	v_bfe_u32 v9, v10, 16, 3
	v_ffbh_u32_e32 v18, v9
	v_min_u32_e32 v18, 32, v18
	v_lshrrev_b32_e32 v12, 19, v10
	v_subrev_u32_e32 v19, 28, v18
	v_and_b32_e32 v12, 15, v12
	v_lshlrev_b32_sdwa v19, v19, v10 dst_sel:DWORD dst_unused:UNUSED_PAD src0_sel:DWORD src1_sel:WORD_1
	v_bfe_u32 v13, v10, 19, 4
	v_sub_u32_e32 v18, 29, v18
	v_and_b32_e32 v19, 7, v19
	v_cmp_eq_u16_e32 vcc, 0, v12
	v_cndmask_b32_e32 v9, v9, v19, vcc
	v_cndmask_b32_e32 v12, v13, v18, vcc
	v_lshlrev_b32_e32 v13, 8, v10
	v_mov_b32_e32 v18, 0x3b800000
	v_lshlrev_b32_e32 v9, 20, v9
	v_and_b32_e32 v13, 0x80000000, v13
	v_lshl_add_u32 v12, v12, 23, v18
	v_or3_b32 v12, v13, v12, v9
.LBB6_1880:
	s_or_b64 exec, exec, s[6:7]
	s_nop 0
	v_mfma_f32_16x16x4f32 a[0:3], v8, v12, a[0:3]
	s_movk_i32 s4, 0x7f
	v_cmp_gt_i16_sdwa s[6:7], v14, s4 src0_sel:BYTE_3 src1_sel:DWORD
	s_mov_b64 s[4:5], 0
                                        ; implicit-def: $sgpr10
	s_and_saveexec_b64 s[8:9], s[6:7]
	s_xor_b64 s[6:7], exec, s[8:9]
	s_cbranch_execnz .LBB6_3929
; %bb.1881:
	s_or_saveexec_b64 s[6:7], s[6:7]
	v_mov_b32_e32 v8, s10
	s_xor_b64 exec, exec, s[6:7]
	s_cbranch_execnz .LBB6_3932
.LBB6_1882:
	s_or_b64 exec, exec, s[6:7]
	s_and_saveexec_b64 s[6:7], s[4:5]
	s_cbranch_execz .LBB6_1884
.LBB6_1883:
	v_bfe_u32 v8, v14, 24, 3
	v_ffbh_u32_e32 v18, v8
	v_min_u32_e32 v18, 32, v18
	v_lshrrev_b32_e32 v12, 27, v14
	v_subrev_u32_e32 v19, 28, v18
	v_and_b32_e32 v9, 0x80000000, v14
	v_and_b32_e32 v12, 15, v12
	v_bfe_u32 v13, v14, 27, 4
	v_lshlrev_b32_sdwa v14, v19, v14 dst_sel:DWORD dst_unused:UNUSED_PAD src0_sel:DWORD src1_sel:BYTE_3
	v_sub_u32_e32 v18, 29, v18
	v_and_b32_e32 v14, 7, v14
	v_cmp_eq_u16_e32 vcc, 0, v12
	v_cndmask_b32_e32 v8, v8, v14, vcc
	v_cndmask_b32_e32 v12, v13, v18, vcc
	v_mov_b32_e32 v13, 0x3b800000
	v_lshlrev_b32_e32 v8, 20, v8
	v_lshl_add_u32 v12, v12, 23, v13
	v_or3_b32 v8, v9, v12, v8
.LBB6_1884:
	s_or_b64 exec, exec, s[6:7]
	s_movk_i32 s4, 0x7f
	v_cmp_gt_i16_sdwa s[6:7], v10, s4 src0_sel:BYTE_3 src1_sel:DWORD
	s_mov_b64 s[4:5], 0
                                        ; implicit-def: $sgpr10
	s_and_saveexec_b64 s[8:9], s[6:7]
	s_xor_b64 s[6:7], exec, s[8:9]
	s_cbranch_execnz .LBB6_3933
; %bb.1885:
	s_or_saveexec_b64 s[6:7], s[6:7]
	v_mov_b32_e32 v9, s10
	s_xor_b64 exec, exec, s[6:7]
	s_cbranch_execnz .LBB6_3936
.LBB6_1886:
	s_or_b64 exec, exec, s[6:7]
	s_and_saveexec_b64 s[6:7], s[4:5]
	s_cbranch_execz .LBB6_1888
.LBB6_1887:
	v_bfe_u32 v9, v10, 24, 3
	v_ffbh_u32_e32 v18, v9
	v_min_u32_e32 v18, 32, v18
	v_lshrrev_b32_e32 v13, 27, v10
	v_subrev_u32_e32 v19, 28, v18
	v_and_b32_e32 v12, 0x80000000, v10
	v_and_b32_e32 v13, 15, v13
	v_bfe_u32 v14, v10, 27, 4
	v_lshlrev_b32_sdwa v10, v19, v10 dst_sel:DWORD dst_unused:UNUSED_PAD src0_sel:DWORD src1_sel:BYTE_3
	v_sub_u32_e32 v18, 29, v18
	v_and_b32_e32 v10, 7, v10
	v_cmp_eq_u16_e32 vcc, 0, v13
	v_cndmask_b32_e32 v9, v9, v10, vcc
	v_cndmask_b32_e32 v10, v14, v18, vcc
	v_mov_b32_e32 v13, 0x3b800000
	v_lshlrev_b32_e32 v9, 20, v9
	v_lshl_add_u32 v10, v10, 23, v13
	v_or3_b32 v9, v12, v10, v9
.LBB6_1888:
	s_or_b64 exec, exec, s[6:7]
	s_nop 0
	v_mfma_f32_16x16x4f32 a[0:3], v8, v9, a[0:3]
	s_movk_i32 s4, 0x7f
	v_cmp_gt_i16_sdwa s[6:7], v15, s4 src0_sel:BYTE_0 src1_sel:DWORD
	s_mov_b64 s[4:5], 0
                                        ; implicit-def: $sgpr10
	s_and_saveexec_b64 s[8:9], s[6:7]
	s_xor_b64 s[6:7], exec, s[8:9]
	s_cbranch_execnz .LBB6_3937
; %bb.1889:
	s_or_saveexec_b64 s[6:7], s[6:7]
	v_mov_b32_e32 v8, s10
	s_xor_b64 exec, exec, s[6:7]
	s_cbranch_execnz .LBB6_3940
.LBB6_1890:
	s_or_b64 exec, exec, s[6:7]
	s_and_saveexec_b64 s[6:7], s[4:5]
	s_cbranch_execz .LBB6_1892
.LBB6_1891:
	v_and_b32_e32 v8, 7, v15
	v_ffbh_u32_e32 v10, v8
	v_min_u32_e32 v10, 32, v10
	v_lshrrev_b16_e32 v9, 3, v15
	v_subrev_u32_e32 v12, 28, v10
	v_and_b32_e32 v9, 15, v9
	v_lshlrev_b32_e32 v12, v12, v15
	v_sub_u32_e32 v10, 29, v10
	v_and_b32_e32 v12, 7, v12
	v_cmp_eq_u16_e32 vcc, 0, v9
	v_cndmask_b32_e32 v8, v8, v12, vcc
	v_cndmask_b32_e32 v9, v9, v10, vcc
	v_lshlrev_b32_e32 v10, 24, v15
	v_mov_b32_e32 v12, 0x3b800000
	v_lshlrev_b32_e32 v8, 20, v8
	v_and_b32_e32 v10, 0x80000000, v10
	v_lshl_add_u32 v9, v9, 23, v12
	v_or3_b32 v8, v10, v9, v8
.LBB6_1892:
	s_or_b64 exec, exec, s[6:7]
	s_movk_i32 s4, 0x7f
	v_cmp_gt_i16_sdwa s[6:7], v11, s4 src0_sel:BYTE_0 src1_sel:DWORD
	s_mov_b64 s[4:5], 0
                                        ; implicit-def: $sgpr10
	s_and_saveexec_b64 s[8:9], s[6:7]
	s_xor_b64 s[6:7], exec, s[8:9]
	s_cbranch_execnz .LBB6_3941
; %bb.1893:
	s_or_saveexec_b64 s[6:7], s[6:7]
	v_mov_b32_e32 v9, s10
	s_xor_b64 exec, exec, s[6:7]
	s_cbranch_execnz .LBB6_3944
.LBB6_1894:
	s_or_b64 exec, exec, s[6:7]
	s_and_saveexec_b64 s[6:7], s[4:5]
	s_cbranch_execz .LBB6_1896
.LBB6_1895:
	v_and_b32_e32 v9, 7, v11
	v_ffbh_u32_e32 v12, v9
	v_min_u32_e32 v12, 32, v12
	v_lshrrev_b16_e32 v10, 3, v11
	v_subrev_u32_e32 v13, 28, v12
	v_and_b32_e32 v10, 15, v10
	v_lshlrev_b32_e32 v13, v13, v11
	v_sub_u32_e32 v12, 29, v12
	v_and_b32_e32 v13, 7, v13
	v_cmp_eq_u16_e32 vcc, 0, v10
	v_cndmask_b32_e32 v9, v9, v13, vcc
	v_cndmask_b32_e32 v10, v10, v12, vcc
	v_lshlrev_b32_e32 v12, 24, v11
	v_mov_b32_e32 v13, 0x3b800000
	v_lshlrev_b32_e32 v9, 20, v9
	v_and_b32_e32 v12, 0x80000000, v12
	v_lshl_add_u32 v10, v10, 23, v13
	v_or3_b32 v9, v12, v10, v9
.LBB6_1896:
	s_or_b64 exec, exec, s[6:7]
	s_nop 0
	v_mfma_f32_16x16x4f32 a[0:3], v8, v9, a[0:3]
	v_lshrrev_b32_e32 v9, 8, v15
	s_movk_i32 s4, 0x7f
	v_cmp_gt_i16_sdwa s[6:7], v9, s4 src0_sel:BYTE_0 src1_sel:DWORD
	s_mov_b64 s[4:5], 0
                                        ; implicit-def: $sgpr10
	s_and_saveexec_b64 s[8:9], s[6:7]
	s_xor_b64 s[6:7], exec, s[8:9]
	s_cbranch_execnz .LBB6_3945
; %bb.1897:
	s_or_saveexec_b64 s[6:7], s[6:7]
	v_mov_b32_e32 v8, s10
	s_xor_b64 exec, exec, s[6:7]
	s_cbranch_execnz .LBB6_3948
.LBB6_1898:
	s_or_b64 exec, exec, s[6:7]
	s_and_saveexec_b64 s[6:7], s[4:5]
	s_cbranch_execz .LBB6_1900
.LBB6_1899:
	v_bfe_u32 v8, v15, 8, 3
	v_ffbh_u32_e32 v12, v8
	v_min_u32_e32 v12, 32, v12
	v_lshrrev_b16_e32 v10, 3, v9
	v_subrev_u32_e32 v13, 28, v12
	v_and_b32_e32 v10, 15, v10
	v_lshlrev_b32_e32 v9, v13, v9
	v_sub_u32_e32 v12, 29, v12
	v_and_b32_e32 v9, 7, v9
	v_cmp_eq_u16_e32 vcc, 0, v10
	v_cndmask_b32_e32 v8, v8, v9, vcc
	v_cndmask_b32_e32 v9, v10, v12, vcc
	v_lshlrev_b32_e32 v10, 16, v15
	v_mov_b32_e32 v12, 0x3b800000
	v_lshlrev_b32_e32 v8, 20, v8
	v_and_b32_e32 v10, 0x80000000, v10
	v_lshl_add_u32 v9, v9, 23, v12
	v_or3_b32 v8, v10, v9, v8
.LBB6_1900:
	s_or_b64 exec, exec, s[6:7]
	v_lshrrev_b32_e32 v9, 8, v11
	s_movk_i32 s4, 0x7f
	v_cmp_gt_i16_sdwa s[6:7], v9, s4 src0_sel:BYTE_0 src1_sel:DWORD
	s_mov_b64 s[4:5], 0
                                        ; implicit-def: $sgpr10
	s_and_saveexec_b64 s[8:9], s[6:7]
	s_xor_b64 s[6:7], exec, s[8:9]
	s_cbranch_execnz .LBB6_3949
; %bb.1901:
	s_or_saveexec_b64 s[6:7], s[6:7]
	v_mov_b32_e32 v10, s10
	s_xor_b64 exec, exec, s[6:7]
	s_cbranch_execnz .LBB6_3952
.LBB6_1902:
	s_or_b64 exec, exec, s[6:7]
	s_and_saveexec_b64 s[6:7], s[4:5]
	s_cbranch_execz .LBB6_1904
.LBB6_1903:
	v_bfe_u32 v10, v11, 8, 3
	v_ffbh_u32_e32 v13, v10
	v_min_u32_e32 v13, 32, v13
	v_lshrrev_b16_e32 v12, 3, v9
	v_subrev_u32_e32 v14, 28, v13
	v_and_b32_e32 v12, 15, v12
	v_lshlrev_b32_e32 v9, v14, v9
	v_sub_u32_e32 v13, 29, v13
	v_and_b32_e32 v9, 7, v9
	v_cmp_eq_u16_e32 vcc, 0, v12
	v_cndmask_b32_e32 v9, v10, v9, vcc
	v_cndmask_b32_e32 v10, v12, v13, vcc
	v_lshlrev_b32_e32 v12, 16, v11
	v_mov_b32_e32 v13, 0x3b800000
	v_lshlrev_b32_e32 v9, 20, v9
	v_and_b32_e32 v12, 0x80000000, v12
	v_lshl_add_u32 v10, v10, 23, v13
	v_or3_b32 v10, v12, v10, v9
.LBB6_1904:
	s_or_b64 exec, exec, s[6:7]
	s_nop 0
	v_mfma_f32_16x16x4f32 a[0:3], v8, v10, a[0:3]
	s_movk_i32 s4, 0xff
	v_and_b32_sdwa v9, v15, s4 dst_sel:DWORD dst_unused:UNUSED_PAD src0_sel:WORD_1 src1_sel:DWORD
	s_movk_i32 s4, 0x7f
	v_cmp_lt_i16_e32 vcc, s4, v9
	s_mov_b64 s[4:5], 0
                                        ; implicit-def: $sgpr10
	s_and_saveexec_b64 s[6:7], vcc
	s_xor_b64 s[6:7], exec, s[6:7]
	s_cbranch_execnz .LBB6_3953
; %bb.1905:
	s_or_saveexec_b64 s[6:7], s[6:7]
	v_mov_b32_e32 v8, s10
	s_xor_b64 exec, exec, s[6:7]
	s_cbranch_execnz .LBB6_3956
.LBB6_1906:
	s_or_b64 exec, exec, s[6:7]
	s_and_saveexec_b64 s[6:7], s[4:5]
	s_cbranch_execz .LBB6_1908
.LBB6_1907:
	v_bfe_u32 v8, v15, 16, 3
	v_ffbh_u32_e32 v12, v8
	v_min_u32_e32 v12, 32, v12
	v_lshrrev_b32_e32 v9, 19, v15
	v_subrev_u32_e32 v13, 28, v12
	v_and_b32_e32 v9, 15, v9
	v_lshlrev_b32_sdwa v13, v13, v15 dst_sel:DWORD dst_unused:UNUSED_PAD src0_sel:DWORD src1_sel:WORD_1
	v_bfe_u32 v10, v15, 19, 4
	v_sub_u32_e32 v12, 29, v12
	v_and_b32_e32 v13, 7, v13
	v_cmp_eq_u16_e32 vcc, 0, v9
	v_cndmask_b32_e32 v8, v8, v13, vcc
	v_cndmask_b32_e32 v9, v10, v12, vcc
	v_lshlrev_b32_e32 v10, 8, v15
	v_mov_b32_e32 v12, 0x3b800000
	v_lshlrev_b32_e32 v8, 20, v8
	v_and_b32_e32 v10, 0x80000000, v10
	v_lshl_add_u32 v9, v9, 23, v12
	v_or3_b32 v8, v10, v9, v8
.LBB6_1908:
	s_or_b64 exec, exec, s[6:7]
	s_movk_i32 s4, 0xff
	v_and_b32_sdwa v9, v11, s4 dst_sel:DWORD dst_unused:UNUSED_PAD src0_sel:WORD_1 src1_sel:DWORD
	s_movk_i32 s4, 0x7f
	v_cmp_lt_i16_e32 vcc, s4, v9
	s_mov_b64 s[4:5], 0
                                        ; implicit-def: $sgpr10
	s_and_saveexec_b64 s[6:7], vcc
	s_xor_b64 s[6:7], exec, s[6:7]
	s_cbranch_execnz .LBB6_3957
; %bb.1909:
	s_or_saveexec_b64 s[6:7], s[6:7]
	v_mov_b32_e32 v10, s10
	s_xor_b64 exec, exec, s[6:7]
	s_cbranch_execnz .LBB6_3960
.LBB6_1910:
	s_or_b64 exec, exec, s[6:7]
	s_and_saveexec_b64 s[6:7], s[4:5]
	s_cbranch_execz .LBB6_1912
.LBB6_1911:
	v_bfe_u32 v9, v11, 16, 3
	v_ffbh_u32_e32 v13, v9
	v_min_u32_e32 v13, 32, v13
	v_lshrrev_b32_e32 v10, 19, v11
	v_subrev_u32_e32 v14, 28, v13
	v_and_b32_e32 v10, 15, v10
	v_lshlrev_b32_sdwa v14, v14, v11 dst_sel:DWORD dst_unused:UNUSED_PAD src0_sel:DWORD src1_sel:WORD_1
	v_bfe_u32 v12, v11, 19, 4
	v_sub_u32_e32 v13, 29, v13
	v_and_b32_e32 v14, 7, v14
	v_cmp_eq_u16_e32 vcc, 0, v10
	v_cndmask_b32_e32 v9, v9, v14, vcc
	v_cndmask_b32_e32 v10, v12, v13, vcc
	v_lshlrev_b32_e32 v12, 8, v11
	v_mov_b32_e32 v13, 0x3b800000
	v_lshlrev_b32_e32 v9, 20, v9
	v_and_b32_e32 v12, 0x80000000, v12
	v_lshl_add_u32 v10, v10, 23, v13
	v_or3_b32 v10, v12, v10, v9
.LBB6_1912:
	s_or_b64 exec, exec, s[6:7]
	s_nop 0
	v_mfma_f32_16x16x4f32 a[0:3], v8, v10, a[0:3]
	s_movk_i32 s4, 0x7f
	v_cmp_gt_i16_sdwa s[6:7], v15, s4 src0_sel:BYTE_3 src1_sel:DWORD
	s_mov_b64 s[4:5], 0
                                        ; implicit-def: $sgpr10
	s_and_saveexec_b64 s[8:9], s[6:7]
	s_xor_b64 s[6:7], exec, s[8:9]
	s_cbranch_execnz .LBB6_3961
; %bb.1913:
	s_or_saveexec_b64 s[6:7], s[6:7]
	v_mov_b32_e32 v8, s10
	s_xor_b64 exec, exec, s[6:7]
	s_cbranch_execnz .LBB6_3964
.LBB6_1914:
	s_or_b64 exec, exec, s[6:7]
	s_and_saveexec_b64 s[6:7], s[4:5]
	s_cbranch_execz .LBB6_1916
.LBB6_1915:
	v_bfe_u32 v8, v15, 24, 3
	v_ffbh_u32_e32 v13, v8
	v_min_u32_e32 v13, 32, v13
	v_lshrrev_b32_e32 v10, 27, v15
	v_subrev_u32_e32 v14, 28, v13
	v_and_b32_e32 v10, 15, v10
	v_lshlrev_b32_sdwa v14, v14, v15 dst_sel:DWORD dst_unused:UNUSED_PAD src0_sel:DWORD src1_sel:BYTE_3
	v_bfe_u32 v12, v15, 27, 4
	v_sub_u32_e32 v13, 29, v13
	v_and_b32_e32 v14, 7, v14
	v_cmp_eq_u16_e32 vcc, 0, v10
	v_cndmask_b32_e32 v8, v8, v14, vcc
	v_cndmask_b32_e32 v10, v12, v13, vcc
	v_mov_b32_e32 v12, 0x3b800000
	v_and_b32_e32 v9, 0x80000000, v15
	v_lshlrev_b32_e32 v8, 20, v8
	v_lshl_add_u32 v10, v10, 23, v12
	v_or3_b32 v8, v9, v10, v8
.LBB6_1916:
	s_or_b64 exec, exec, s[6:7]
	s_movk_i32 s4, 0x7f
	v_cmp_gt_i16_sdwa s[6:7], v11, s4 src0_sel:BYTE_3 src1_sel:DWORD
	s_mov_b64 s[4:5], 0
                                        ; implicit-def: $sgpr10
	s_and_saveexec_b64 s[8:9], s[6:7]
	s_xor_b64 s[6:7], exec, s[8:9]
	s_cbranch_execnz .LBB6_3965
; %bb.1917:
	s_or_saveexec_b64 s[6:7], s[6:7]
	v_mov_b32_e32 v9, s10
	s_xor_b64 exec, exec, s[6:7]
	s_cbranch_execnz .LBB6_3968
.LBB6_1918:
	s_or_b64 exec, exec, s[6:7]
	s_and_saveexec_b64 s[6:7], s[4:5]
	s_cbranch_execz .LBB6_1920
.LBB6_1919:
	v_bfe_u32 v9, v11, 24, 3
	v_ffbh_u32_e32 v14, v9
	v_min_u32_e32 v14, 32, v14
	v_lshrrev_b32_e32 v12, 27, v11
	v_subrev_u32_e32 v15, 28, v14
	v_and_b32_e32 v10, 0x80000000, v11
	v_and_b32_e32 v12, 15, v12
	v_bfe_u32 v13, v11, 27, 4
	v_lshlrev_b32_sdwa v11, v15, v11 dst_sel:DWORD dst_unused:UNUSED_PAD src0_sel:DWORD src1_sel:BYTE_3
	v_sub_u32_e32 v14, 29, v14
	v_and_b32_e32 v11, 7, v11
	v_cmp_eq_u16_e32 vcc, 0, v12
	v_cndmask_b32_e32 v9, v9, v11, vcc
	v_cndmask_b32_e32 v11, v13, v14, vcc
	v_mov_b32_e32 v12, 0x3b800000
	v_lshlrev_b32_e32 v9, 20, v9
	v_lshl_add_u32 v11, v11, 23, v12
	v_or3_b32 v9, v10, v11, v9
.LBB6_1920:
	s_or_b64 exec, exec, s[6:7]
	s_nop 0
	v_mfma_f32_16x16x4f32 a[0:3], v8, v9, a[0:3]
	s_movk_i32 s4, 0x7f
	v_cmp_gt_i16_sdwa s[6:7], v4, s4 src0_sel:BYTE_0 src1_sel:DWORD
	s_mov_b64 s[4:5], 0
                                        ; implicit-def: $sgpr10
	s_and_saveexec_b64 s[8:9], s[6:7]
	s_xor_b64 s[6:7], exec, s[8:9]
	s_cbranch_execnz .LBB6_3969
; %bb.1921:
	s_or_saveexec_b64 s[6:7], s[6:7]
	v_mov_b32_e32 v8, s10
	s_xor_b64 exec, exec, s[6:7]
	s_cbranch_execnz .LBB6_3972
.LBB6_1922:
	s_or_b64 exec, exec, s[6:7]
	s_and_saveexec_b64 s[6:7], s[4:5]
	s_cbranch_execz .LBB6_1924
.LBB6_1923:
	v_and_b32_e32 v8, 7, v4
	v_ffbh_u32_e32 v10, v8
	v_min_u32_e32 v10, 32, v10
	v_lshrrev_b16_e32 v9, 3, v4
	v_subrev_u32_e32 v11, 28, v10
	v_and_b32_e32 v9, 15, v9
	v_lshlrev_b32_e32 v11, v11, v4
	v_sub_u32_e32 v10, 29, v10
	v_and_b32_e32 v11, 7, v11
	v_cmp_eq_u16_e32 vcc, 0, v9
	v_cndmask_b32_e32 v8, v8, v11, vcc
	v_cndmask_b32_e32 v9, v9, v10, vcc
	v_lshlrev_b32_e32 v10, 24, v4
	v_mov_b32_e32 v11, 0x3b800000
	v_lshlrev_b32_e32 v8, 20, v8
	v_and_b32_e32 v10, 0x80000000, v10
	v_lshl_add_u32 v9, v9, 23, v11
	v_or3_b32 v8, v10, v9, v8
.LBB6_1924:
	s_or_b64 exec, exec, s[6:7]
	s_movk_i32 s4, 0x7f
	v_cmp_gt_i16_sdwa s[6:7], v0, s4 src0_sel:BYTE_0 src1_sel:DWORD
	s_mov_b64 s[4:5], 0
                                        ; implicit-def: $sgpr10
	s_and_saveexec_b64 s[8:9], s[6:7]
	s_xor_b64 s[6:7], exec, s[8:9]
	s_cbranch_execnz .LBB6_3973
; %bb.1925:
	s_or_saveexec_b64 s[6:7], s[6:7]
	v_mov_b32_e32 v9, s10
	s_xor_b64 exec, exec, s[6:7]
	s_cbranch_execnz .LBB6_3976
.LBB6_1926:
	s_or_b64 exec, exec, s[6:7]
	s_and_saveexec_b64 s[6:7], s[4:5]
	s_cbranch_execz .LBB6_1928
.LBB6_1927:
	v_and_b32_e32 v9, 7, v0
	v_ffbh_u32_e32 v11, v9
	v_min_u32_e32 v11, 32, v11
	v_lshrrev_b16_e32 v10, 3, v0
	v_subrev_u32_e32 v12, 28, v11
	v_and_b32_e32 v10, 15, v10
	v_lshlrev_b32_e32 v12, v12, v0
	v_sub_u32_e32 v11, 29, v11
	v_and_b32_e32 v12, 7, v12
	v_cmp_eq_u16_e32 vcc, 0, v10
	v_cndmask_b32_e32 v9, v9, v12, vcc
	v_cndmask_b32_e32 v10, v10, v11, vcc
	v_lshlrev_b32_e32 v11, 24, v0
	v_mov_b32_e32 v12, 0x3b800000
	v_lshlrev_b32_e32 v9, 20, v9
	v_and_b32_e32 v11, 0x80000000, v11
	v_lshl_add_u32 v10, v10, 23, v12
	v_or3_b32 v9, v11, v10, v9
.LBB6_1928:
	s_or_b64 exec, exec, s[6:7]
	s_nop 0
	v_mfma_f32_16x16x4f32 a[0:3], v8, v9, a[0:3]
	v_lshrrev_b32_e32 v9, 8, v4
	s_movk_i32 s4, 0x7f
	v_cmp_gt_i16_sdwa s[6:7], v9, s4 src0_sel:BYTE_0 src1_sel:DWORD
	s_mov_b64 s[4:5], 0
                                        ; implicit-def: $sgpr10
	s_and_saveexec_b64 s[8:9], s[6:7]
	s_xor_b64 s[6:7], exec, s[8:9]
	s_cbranch_execnz .LBB6_3977
; %bb.1929:
	s_or_saveexec_b64 s[6:7], s[6:7]
	v_mov_b32_e32 v8, s10
	s_xor_b64 exec, exec, s[6:7]
	s_cbranch_execnz .LBB6_3980
.LBB6_1930:
	s_or_b64 exec, exec, s[6:7]
	s_and_saveexec_b64 s[6:7], s[4:5]
	s_cbranch_execz .LBB6_1932
.LBB6_1931:
	v_bfe_u32 v8, v4, 8, 3
	v_ffbh_u32_e32 v11, v8
	v_min_u32_e32 v11, 32, v11
	v_lshrrev_b16_e32 v10, 3, v9
	v_subrev_u32_e32 v12, 28, v11
	v_and_b32_e32 v10, 15, v10
	v_lshlrev_b32_e32 v9, v12, v9
	v_sub_u32_e32 v11, 29, v11
	v_and_b32_e32 v9, 7, v9
	v_cmp_eq_u16_e32 vcc, 0, v10
	v_cndmask_b32_e32 v8, v8, v9, vcc
	v_cndmask_b32_e32 v9, v10, v11, vcc
	v_lshlrev_b32_e32 v10, 16, v4
	v_mov_b32_e32 v11, 0x3b800000
	v_lshlrev_b32_e32 v8, 20, v8
	v_and_b32_e32 v10, 0x80000000, v10
	v_lshl_add_u32 v9, v9, 23, v11
	v_or3_b32 v8, v10, v9, v8
.LBB6_1932:
	s_or_b64 exec, exec, s[6:7]
	v_lshrrev_b32_e32 v9, 8, v0
	s_movk_i32 s4, 0x7f
	v_cmp_gt_i16_sdwa s[6:7], v9, s4 src0_sel:BYTE_0 src1_sel:DWORD
	s_mov_b64 s[4:5], 0
                                        ; implicit-def: $sgpr10
	s_and_saveexec_b64 s[8:9], s[6:7]
	s_xor_b64 s[6:7], exec, s[8:9]
	s_cbranch_execnz .LBB6_3981
; %bb.1933:
	s_or_saveexec_b64 s[6:7], s[6:7]
	v_mov_b32_e32 v10, s10
	s_xor_b64 exec, exec, s[6:7]
	s_cbranch_execnz .LBB6_3984
.LBB6_1934:
	s_or_b64 exec, exec, s[6:7]
	s_and_saveexec_b64 s[6:7], s[4:5]
	s_cbranch_execz .LBB6_1936
.LBB6_1935:
	v_bfe_u32 v10, v0, 8, 3
	v_ffbh_u32_e32 v12, v10
	v_min_u32_e32 v12, 32, v12
	v_lshrrev_b16_e32 v11, 3, v9
	v_subrev_u32_e32 v13, 28, v12
	v_and_b32_e32 v11, 15, v11
	v_lshlrev_b32_e32 v9, v13, v9
	v_sub_u32_e32 v12, 29, v12
	v_and_b32_e32 v9, 7, v9
	v_cmp_eq_u16_e32 vcc, 0, v11
	v_cndmask_b32_e32 v9, v10, v9, vcc
	v_cndmask_b32_e32 v10, v11, v12, vcc
	v_lshlrev_b32_e32 v11, 16, v0
	v_mov_b32_e32 v12, 0x3b800000
	v_lshlrev_b32_e32 v9, 20, v9
	v_and_b32_e32 v11, 0x80000000, v11
	v_lshl_add_u32 v10, v10, 23, v12
	v_or3_b32 v10, v11, v10, v9
.LBB6_1936:
	s_or_b64 exec, exec, s[6:7]
	s_nop 0
	v_mfma_f32_16x16x4f32 a[0:3], v8, v10, a[0:3]
	s_movk_i32 s4, 0xff
	v_and_b32_sdwa v9, v4, s4 dst_sel:DWORD dst_unused:UNUSED_PAD src0_sel:WORD_1 src1_sel:DWORD
	s_movk_i32 s4, 0x7f
	v_cmp_lt_i16_e32 vcc, s4, v9
	s_mov_b64 s[4:5], 0
                                        ; implicit-def: $sgpr10
	s_and_saveexec_b64 s[6:7], vcc
	s_xor_b64 s[6:7], exec, s[6:7]
	s_cbranch_execnz .LBB6_3985
; %bb.1937:
	s_or_saveexec_b64 s[6:7], s[6:7]
	v_mov_b32_e32 v8, s10
	s_xor_b64 exec, exec, s[6:7]
	s_cbranch_execnz .LBB6_3988
.LBB6_1938:
	s_or_b64 exec, exec, s[6:7]
	s_and_saveexec_b64 s[6:7], s[4:5]
	s_cbranch_execz .LBB6_1940
.LBB6_1939:
	v_bfe_u32 v8, v4, 16, 3
	v_ffbh_u32_e32 v11, v8
	v_min_u32_e32 v11, 32, v11
	v_lshrrev_b32_e32 v9, 19, v4
	v_subrev_u32_e32 v12, 28, v11
	v_and_b32_e32 v9, 15, v9
	v_lshlrev_b32_sdwa v12, v12, v4 dst_sel:DWORD dst_unused:UNUSED_PAD src0_sel:DWORD src1_sel:WORD_1
	v_bfe_u32 v10, v4, 19, 4
	v_sub_u32_e32 v11, 29, v11
	v_and_b32_e32 v12, 7, v12
	v_cmp_eq_u16_e32 vcc, 0, v9
	v_cndmask_b32_e32 v8, v8, v12, vcc
	v_cndmask_b32_e32 v9, v10, v11, vcc
	v_lshlrev_b32_e32 v10, 8, v4
	v_mov_b32_e32 v11, 0x3b800000
	v_lshlrev_b32_e32 v8, 20, v8
	v_and_b32_e32 v10, 0x80000000, v10
	v_lshl_add_u32 v9, v9, 23, v11
	v_or3_b32 v8, v10, v9, v8
.LBB6_1940:
	s_or_b64 exec, exec, s[6:7]
	s_movk_i32 s4, 0xff
	v_and_b32_sdwa v9, v0, s4 dst_sel:DWORD dst_unused:UNUSED_PAD src0_sel:WORD_1 src1_sel:DWORD
	s_movk_i32 s4, 0x7f
	v_cmp_lt_i16_e32 vcc, s4, v9
	s_mov_b64 s[4:5], 0
                                        ; implicit-def: $sgpr10
	s_and_saveexec_b64 s[6:7], vcc
	s_xor_b64 s[6:7], exec, s[6:7]
	s_cbranch_execnz .LBB6_3989
; %bb.1941:
	s_or_saveexec_b64 s[6:7], s[6:7]
	v_mov_b32_e32 v10, s10
	s_xor_b64 exec, exec, s[6:7]
	s_cbranch_execnz .LBB6_3992
.LBB6_1942:
	s_or_b64 exec, exec, s[6:7]
	s_and_saveexec_b64 s[6:7], s[4:5]
	s_cbranch_execz .LBB6_1944
.LBB6_1943:
	v_bfe_u32 v9, v0, 16, 3
	v_ffbh_u32_e32 v12, v9
	v_min_u32_e32 v12, 32, v12
	v_lshrrev_b32_e32 v10, 19, v0
	v_subrev_u32_e32 v13, 28, v12
	v_and_b32_e32 v10, 15, v10
	v_lshlrev_b32_sdwa v13, v13, v0 dst_sel:DWORD dst_unused:UNUSED_PAD src0_sel:DWORD src1_sel:WORD_1
	v_bfe_u32 v11, v0, 19, 4
	v_sub_u32_e32 v12, 29, v12
	v_and_b32_e32 v13, 7, v13
	v_cmp_eq_u16_e32 vcc, 0, v10
	v_cndmask_b32_e32 v9, v9, v13, vcc
	v_cndmask_b32_e32 v10, v11, v12, vcc
	v_lshlrev_b32_e32 v11, 8, v0
	v_mov_b32_e32 v12, 0x3b800000
	v_lshlrev_b32_e32 v9, 20, v9
	v_and_b32_e32 v11, 0x80000000, v11
	v_lshl_add_u32 v10, v10, 23, v12
	v_or3_b32 v10, v11, v10, v9
.LBB6_1944:
	s_or_b64 exec, exec, s[6:7]
	s_nop 0
	v_mfma_f32_16x16x4f32 a[0:3], v8, v10, a[0:3]
	s_movk_i32 s4, 0x7f
	v_cmp_gt_i16_sdwa s[6:7], v4, s4 src0_sel:BYTE_3 src1_sel:DWORD
	s_mov_b64 s[4:5], 0
                                        ; implicit-def: $sgpr10
	s_and_saveexec_b64 s[8:9], s[6:7]
	s_xor_b64 s[6:7], exec, s[8:9]
	s_cbranch_execnz .LBB6_3993
; %bb.1945:
	s_or_saveexec_b64 s[6:7], s[6:7]
	v_mov_b32_e32 v8, s10
	s_xor_b64 exec, exec, s[6:7]
	s_cbranch_execnz .LBB6_3996
.LBB6_1946:
	s_or_b64 exec, exec, s[6:7]
	s_and_saveexec_b64 s[6:7], s[4:5]
	s_cbranch_execz .LBB6_1948
.LBB6_1947:
	v_bfe_u32 v8, v4, 24, 3
	v_ffbh_u32_e32 v12, v8
	v_min_u32_e32 v12, 32, v12
	v_lshrrev_b32_e32 v10, 27, v4
	v_subrev_u32_e32 v13, 28, v12
	v_and_b32_e32 v9, 0x80000000, v4
	v_and_b32_e32 v10, 15, v10
	v_bfe_u32 v11, v4, 27, 4
	v_lshlrev_b32_sdwa v4, v13, v4 dst_sel:DWORD dst_unused:UNUSED_PAD src0_sel:DWORD src1_sel:BYTE_3
	v_sub_u32_e32 v12, 29, v12
	v_and_b32_e32 v4, 7, v4
	v_cmp_eq_u16_e32 vcc, 0, v10
	v_cndmask_b32_e32 v4, v8, v4, vcc
	v_cndmask_b32_e32 v8, v11, v12, vcc
	v_mov_b32_e32 v10, 0x3b800000
	v_lshlrev_b32_e32 v4, 20, v4
	v_lshl_add_u32 v8, v8, 23, v10
	v_or3_b32 v8, v9, v8, v4
.LBB6_1948:
	s_or_b64 exec, exec, s[6:7]
	s_movk_i32 s4, 0x7f
	v_cmp_gt_i16_sdwa s[6:7], v0, s4 src0_sel:BYTE_3 src1_sel:DWORD
	s_mov_b64 s[4:5], 0
                                        ; implicit-def: $sgpr10
	s_and_saveexec_b64 s[8:9], s[6:7]
	s_xor_b64 s[6:7], exec, s[8:9]
	s_cbranch_execnz .LBB6_3997
; %bb.1949:
	s_or_saveexec_b64 s[6:7], s[6:7]
	v_mov_b32_e32 v4, s10
	s_xor_b64 exec, exec, s[6:7]
	s_cbranch_execnz .LBB6_4000
.LBB6_1950:
	s_or_b64 exec, exec, s[6:7]
	s_and_saveexec_b64 s[6:7], s[4:5]
	s_cbranch_execz .LBB6_1952
.LBB6_1951:
	v_bfe_u32 v4, v0, 24, 3
	v_ffbh_u32_e32 v12, v4
	v_min_u32_e32 v12, 32, v12
	v_lshrrev_b32_e32 v10, 27, v0
	v_subrev_u32_e32 v13, 28, v12
	v_and_b32_e32 v9, 0x80000000, v0
	v_and_b32_e32 v10, 15, v10
	v_bfe_u32 v11, v0, 27, 4
	v_lshlrev_b32_sdwa v0, v13, v0 dst_sel:DWORD dst_unused:UNUSED_PAD src0_sel:DWORD src1_sel:BYTE_3
	v_sub_u32_e32 v12, 29, v12
	v_and_b32_e32 v0, 7, v0
	v_cmp_eq_u16_e32 vcc, 0, v10
	v_cndmask_b32_e32 v0, v4, v0, vcc
	v_cndmask_b32_e32 v4, v11, v12, vcc
	v_mov_b32_e32 v10, 0x3b800000
	v_lshlrev_b32_e32 v0, 20, v0
	v_lshl_add_u32 v4, v4, 23, v10
	v_or3_b32 v4, v9, v4, v0
.LBB6_1952:
	s_or_b64 exec, exec, s[6:7]
	s_nop 0
	v_mfma_f32_16x16x4f32 a[0:3], v8, v4, a[0:3]
	s_movk_i32 s4, 0x7f
	v_cmp_gt_i16_sdwa s[6:7], v5, s4 src0_sel:BYTE_0 src1_sel:DWORD
	s_mov_b64 s[4:5], 0
                                        ; implicit-def: $sgpr10
	s_and_saveexec_b64 s[8:9], s[6:7]
	s_xor_b64 s[6:7], exec, s[8:9]
	s_cbranch_execnz .LBB6_4001
; %bb.1953:
	s_or_saveexec_b64 s[6:7], s[6:7]
	v_mov_b32_e32 v0, s10
	s_xor_b64 exec, exec, s[6:7]
	s_cbranch_execnz .LBB6_4004
.LBB6_1954:
	s_or_b64 exec, exec, s[6:7]
	s_and_saveexec_b64 s[6:7], s[4:5]
	s_cbranch_execz .LBB6_1956
.LBB6_1955:
	v_and_b32_e32 v0, 7, v5
	v_ffbh_u32_e32 v8, v0
	v_min_u32_e32 v8, 32, v8
	v_lshrrev_b16_e32 v4, 3, v5
	v_subrev_u32_e32 v9, 28, v8
	v_and_b32_e32 v4, 15, v4
	v_lshlrev_b32_e32 v9, v9, v5
	v_sub_u32_e32 v8, 29, v8
	v_and_b32_e32 v9, 7, v9
	v_cmp_eq_u16_e32 vcc, 0, v4
	v_cndmask_b32_e32 v0, v0, v9, vcc
	v_cndmask_b32_e32 v4, v4, v8, vcc
	v_lshlrev_b32_e32 v8, 24, v5
	v_mov_b32_e32 v9, 0x3b800000
	v_lshlrev_b32_e32 v0, 20, v0
	v_and_b32_e32 v8, 0x80000000, v8
	v_lshl_add_u32 v4, v4, 23, v9
	v_or3_b32 v0, v8, v4, v0
.LBB6_1956:
	s_or_b64 exec, exec, s[6:7]
	s_movk_i32 s4, 0x7f
	v_cmp_gt_i16_sdwa s[6:7], v1, s4 src0_sel:BYTE_0 src1_sel:DWORD
	s_mov_b64 s[4:5], 0
                                        ; implicit-def: $sgpr10
	s_and_saveexec_b64 s[8:9], s[6:7]
	s_xor_b64 s[6:7], exec, s[8:9]
	s_cbranch_execnz .LBB6_4005
; %bb.1957:
	s_or_saveexec_b64 s[6:7], s[6:7]
	v_mov_b32_e32 v4, s10
	s_xor_b64 exec, exec, s[6:7]
	s_cbranch_execnz .LBB6_4008
.LBB6_1958:
	s_or_b64 exec, exec, s[6:7]
	s_and_saveexec_b64 s[6:7], s[4:5]
	s_cbranch_execz .LBB6_1960
.LBB6_1959:
	v_and_b32_e32 v4, 7, v1
	v_ffbh_u32_e32 v9, v4
	v_min_u32_e32 v9, 32, v9
	v_lshrrev_b16_e32 v8, 3, v1
	v_subrev_u32_e32 v10, 28, v9
	v_and_b32_e32 v8, 15, v8
	v_lshlrev_b32_e32 v10, v10, v1
	v_sub_u32_e32 v9, 29, v9
	v_and_b32_e32 v10, 7, v10
	v_cmp_eq_u16_e32 vcc, 0, v8
	v_cndmask_b32_e32 v4, v4, v10, vcc
	v_cndmask_b32_e32 v8, v8, v9, vcc
	v_lshlrev_b32_e32 v9, 24, v1
	v_mov_b32_e32 v10, 0x3b800000
	v_lshlrev_b32_e32 v4, 20, v4
	v_and_b32_e32 v9, 0x80000000, v9
	v_lshl_add_u32 v8, v8, 23, v10
	v_or3_b32 v4, v9, v8, v4
.LBB6_1960:
	s_or_b64 exec, exec, s[6:7]
	s_nop 0
	v_mfma_f32_16x16x4f32 a[0:3], v0, v4, a[0:3]
	v_lshrrev_b32_e32 v4, 8, v5
	s_movk_i32 s4, 0x7f
	v_cmp_gt_i16_sdwa s[6:7], v4, s4 src0_sel:BYTE_0 src1_sel:DWORD
	s_mov_b64 s[4:5], 0
                                        ; implicit-def: $sgpr10
	s_and_saveexec_b64 s[8:9], s[6:7]
	s_xor_b64 s[6:7], exec, s[8:9]
	s_cbranch_execnz .LBB6_4009
; %bb.1961:
	s_or_saveexec_b64 s[6:7], s[6:7]
	v_mov_b32_e32 v0, s10
	s_xor_b64 exec, exec, s[6:7]
	s_cbranch_execnz .LBB6_4012
.LBB6_1962:
	s_or_b64 exec, exec, s[6:7]
	s_and_saveexec_b64 s[6:7], s[4:5]
	s_cbranch_execz .LBB6_1964
.LBB6_1963:
	v_bfe_u32 v0, v5, 8, 3
	v_ffbh_u32_e32 v9, v0
	v_min_u32_e32 v9, 32, v9
	v_lshrrev_b16_e32 v8, 3, v4
	v_subrev_u32_e32 v10, 28, v9
	v_and_b32_e32 v8, 15, v8
	v_lshlrev_b32_e32 v4, v10, v4
	v_sub_u32_e32 v9, 29, v9
	v_and_b32_e32 v4, 7, v4
	v_cmp_eq_u16_e32 vcc, 0, v8
	v_cndmask_b32_e32 v0, v0, v4, vcc
	v_cndmask_b32_e32 v4, v8, v9, vcc
	v_lshlrev_b32_e32 v8, 16, v5
	v_mov_b32_e32 v9, 0x3b800000
	v_lshlrev_b32_e32 v0, 20, v0
	v_and_b32_e32 v8, 0x80000000, v8
	v_lshl_add_u32 v4, v4, 23, v9
	v_or3_b32 v0, v8, v4, v0
.LBB6_1964:
	s_or_b64 exec, exec, s[6:7]
	v_lshrrev_b32_e32 v4, 8, v1
	s_movk_i32 s4, 0x7f
	v_cmp_gt_i16_sdwa s[6:7], v4, s4 src0_sel:BYTE_0 src1_sel:DWORD
	s_mov_b64 s[4:5], 0
                                        ; implicit-def: $sgpr10
	s_and_saveexec_b64 s[8:9], s[6:7]
	s_xor_b64 s[6:7], exec, s[8:9]
	s_cbranch_execnz .LBB6_4013
; %bb.1965:
	s_or_saveexec_b64 s[6:7], s[6:7]
	v_mov_b32_e32 v8, s10
	s_xor_b64 exec, exec, s[6:7]
	s_cbranch_execnz .LBB6_4016
.LBB6_1966:
	s_or_b64 exec, exec, s[6:7]
	s_and_saveexec_b64 s[6:7], s[4:5]
	s_cbranch_execz .LBB6_1968
.LBB6_1967:
	v_bfe_u32 v8, v1, 8, 3
	v_ffbh_u32_e32 v10, v8
	v_min_u32_e32 v10, 32, v10
	v_lshrrev_b16_e32 v9, 3, v4
	v_subrev_u32_e32 v11, 28, v10
	v_and_b32_e32 v9, 15, v9
	v_lshlrev_b32_e32 v4, v11, v4
	v_sub_u32_e32 v10, 29, v10
	v_and_b32_e32 v4, 7, v4
	v_cmp_eq_u16_e32 vcc, 0, v9
	v_cndmask_b32_e32 v4, v8, v4, vcc
	v_cndmask_b32_e32 v8, v9, v10, vcc
	v_lshlrev_b32_e32 v9, 16, v1
	v_mov_b32_e32 v10, 0x3b800000
	v_lshlrev_b32_e32 v4, 20, v4
	v_and_b32_e32 v9, 0x80000000, v9
	v_lshl_add_u32 v8, v8, 23, v10
	v_or3_b32 v8, v9, v8, v4
.LBB6_1968:
	s_or_b64 exec, exec, s[6:7]
	s_nop 0
	v_mfma_f32_16x16x4f32 a[0:3], v0, v8, a[0:3]
	s_movk_i32 s4, 0xff
	v_and_b32_sdwa v4, v5, s4 dst_sel:DWORD dst_unused:UNUSED_PAD src0_sel:WORD_1 src1_sel:DWORD
	s_movk_i32 s4, 0x7f
	v_cmp_lt_i16_e32 vcc, s4, v4
	s_mov_b64 s[4:5], 0
                                        ; implicit-def: $sgpr10
	s_and_saveexec_b64 s[6:7], vcc
	s_xor_b64 s[6:7], exec, s[6:7]
	s_cbranch_execnz .LBB6_4017
; %bb.1969:
	s_or_saveexec_b64 s[6:7], s[6:7]
	v_mov_b32_e32 v0, s10
	s_xor_b64 exec, exec, s[6:7]
	s_cbranch_execnz .LBB6_4020
.LBB6_1970:
	s_or_b64 exec, exec, s[6:7]
	s_and_saveexec_b64 s[6:7], s[4:5]
	s_cbranch_execz .LBB6_1972
.LBB6_1971:
	v_bfe_u32 v0, v5, 16, 3
	v_ffbh_u32_e32 v9, v0
	v_min_u32_e32 v9, 32, v9
	v_lshrrev_b32_e32 v4, 19, v5
	v_subrev_u32_e32 v10, 28, v9
	v_and_b32_e32 v4, 15, v4
	v_lshlrev_b32_sdwa v10, v10, v5 dst_sel:DWORD dst_unused:UNUSED_PAD src0_sel:DWORD src1_sel:WORD_1
	v_bfe_u32 v8, v5, 19, 4
	v_sub_u32_e32 v9, 29, v9
	v_and_b32_e32 v10, 7, v10
	v_cmp_eq_u16_e32 vcc, 0, v4
	v_cndmask_b32_e32 v0, v0, v10, vcc
	v_cndmask_b32_e32 v4, v8, v9, vcc
	v_lshlrev_b32_e32 v8, 8, v5
	v_mov_b32_e32 v9, 0x3b800000
	v_lshlrev_b32_e32 v0, 20, v0
	v_and_b32_e32 v8, 0x80000000, v8
	v_lshl_add_u32 v4, v4, 23, v9
	v_or3_b32 v0, v8, v4, v0
.LBB6_1972:
	s_or_b64 exec, exec, s[6:7]
	s_movk_i32 s4, 0xff
	v_and_b32_sdwa v4, v1, s4 dst_sel:DWORD dst_unused:UNUSED_PAD src0_sel:WORD_1 src1_sel:DWORD
	s_movk_i32 s4, 0x7f
	v_cmp_lt_i16_e32 vcc, s4, v4
	s_mov_b64 s[4:5], 0
                                        ; implicit-def: $sgpr10
	s_and_saveexec_b64 s[6:7], vcc
	s_xor_b64 s[6:7], exec, s[6:7]
	s_cbranch_execnz .LBB6_4021
; %bb.1973:
	s_or_saveexec_b64 s[6:7], s[6:7]
	v_mov_b32_e32 v8, s10
	s_xor_b64 exec, exec, s[6:7]
	s_cbranch_execnz .LBB6_4024
.LBB6_1974:
	s_or_b64 exec, exec, s[6:7]
	s_and_saveexec_b64 s[6:7], s[4:5]
	s_cbranch_execz .LBB6_1976
.LBB6_1975:
	v_bfe_u32 v4, v1, 16, 3
	v_ffbh_u32_e32 v10, v4
	v_min_u32_e32 v10, 32, v10
	v_lshrrev_b32_e32 v8, 19, v1
	v_subrev_u32_e32 v11, 28, v10
	v_and_b32_e32 v8, 15, v8
	v_lshlrev_b32_sdwa v11, v11, v1 dst_sel:DWORD dst_unused:UNUSED_PAD src0_sel:DWORD src1_sel:WORD_1
	v_bfe_u32 v9, v1, 19, 4
	v_sub_u32_e32 v10, 29, v10
	v_and_b32_e32 v11, 7, v11
	v_cmp_eq_u16_e32 vcc, 0, v8
	v_cndmask_b32_e32 v4, v4, v11, vcc
	v_cndmask_b32_e32 v8, v9, v10, vcc
	v_lshlrev_b32_e32 v9, 8, v1
	v_mov_b32_e32 v10, 0x3b800000
	v_lshlrev_b32_e32 v4, 20, v4
	v_and_b32_e32 v9, 0x80000000, v9
	v_lshl_add_u32 v8, v8, 23, v10
	v_or3_b32 v8, v9, v8, v4
.LBB6_1976:
	s_or_b64 exec, exec, s[6:7]
	s_nop 0
	v_mfma_f32_16x16x4f32 a[0:3], v0, v8, a[0:3]
	s_movk_i32 s4, 0x7f
	v_cmp_gt_i16_sdwa s[6:7], v5, s4 src0_sel:BYTE_3 src1_sel:DWORD
	s_mov_b64 s[4:5], 0
                                        ; implicit-def: $sgpr10
	s_and_saveexec_b64 s[8:9], s[6:7]
	s_xor_b64 s[6:7], exec, s[8:9]
	s_cbranch_execnz .LBB6_4025
; %bb.1977:
	s_or_saveexec_b64 s[6:7], s[6:7]
	v_mov_b32_e32 v0, s10
	s_xor_b64 exec, exec, s[6:7]
	s_cbranch_execnz .LBB6_4028
.LBB6_1978:
	s_or_b64 exec, exec, s[6:7]
	s_and_saveexec_b64 s[6:7], s[4:5]
	s_cbranch_execz .LBB6_1980
.LBB6_1979:
	v_bfe_u32 v0, v5, 24, 3
	v_ffbh_u32_e32 v10, v0
	v_min_u32_e32 v10, 32, v10
	v_lshrrev_b32_e32 v8, 27, v5
	v_subrev_u32_e32 v11, 28, v10
	v_and_b32_e32 v4, 0x80000000, v5
	v_and_b32_e32 v8, 15, v8
	v_bfe_u32 v9, v5, 27, 4
	v_lshlrev_b32_sdwa v5, v11, v5 dst_sel:DWORD dst_unused:UNUSED_PAD src0_sel:DWORD src1_sel:BYTE_3
	v_sub_u32_e32 v10, 29, v10
	v_and_b32_e32 v5, 7, v5
	v_cmp_eq_u16_e32 vcc, 0, v8
	v_cndmask_b32_e32 v0, v0, v5, vcc
	v_cndmask_b32_e32 v5, v9, v10, vcc
	v_mov_b32_e32 v8, 0x3b800000
	v_lshlrev_b32_e32 v0, 20, v0
	v_lshl_add_u32 v5, v5, 23, v8
	v_or3_b32 v0, v4, v5, v0
.LBB6_1980:
	s_or_b64 exec, exec, s[6:7]
	s_movk_i32 s4, 0x7f
	v_cmp_gt_i16_sdwa s[6:7], v1, s4 src0_sel:BYTE_3 src1_sel:DWORD
	s_mov_b64 s[4:5], 0
                                        ; implicit-def: $sgpr10
	s_and_saveexec_b64 s[8:9], s[6:7]
	s_xor_b64 s[6:7], exec, s[8:9]
	s_cbranch_execnz .LBB6_4029
; %bb.1981:
	s_or_saveexec_b64 s[6:7], s[6:7]
	v_mov_b32_e32 v4, s10
	s_xor_b64 exec, exec, s[6:7]
	s_cbranch_execnz .LBB6_4032
.LBB6_1982:
	s_or_b64 exec, exec, s[6:7]
	s_and_saveexec_b64 s[6:7], s[4:5]
	s_cbranch_execz .LBB6_1984
.LBB6_1983:
	v_bfe_u32 v4, v1, 24, 3
	v_ffbh_u32_e32 v10, v4
	v_min_u32_e32 v10, 32, v10
	v_lshrrev_b32_e32 v8, 27, v1
	v_subrev_u32_e32 v11, 28, v10
	v_and_b32_e32 v5, 0x80000000, v1
	v_and_b32_e32 v8, 15, v8
	v_bfe_u32 v9, v1, 27, 4
	v_lshlrev_b32_sdwa v1, v11, v1 dst_sel:DWORD dst_unused:UNUSED_PAD src0_sel:DWORD src1_sel:BYTE_3
	v_sub_u32_e32 v10, 29, v10
	v_and_b32_e32 v1, 7, v1
	v_cmp_eq_u16_e32 vcc, 0, v8
	v_cndmask_b32_e32 v1, v4, v1, vcc
	v_cndmask_b32_e32 v4, v9, v10, vcc
	v_mov_b32_e32 v8, 0x3b800000
	v_lshlrev_b32_e32 v1, 20, v1
	v_lshl_add_u32 v4, v4, 23, v8
	v_or3_b32 v4, v5, v4, v1
.LBB6_1984:
	s_or_b64 exec, exec, s[6:7]
	s_nop 0
	v_mfma_f32_16x16x4f32 a[0:3], v0, v4, a[0:3]
	s_movk_i32 s4, 0x7f
	v_cmp_gt_i16_sdwa s[6:7], v6, s4 src0_sel:BYTE_0 src1_sel:DWORD
	s_mov_b64 s[4:5], 0
                                        ; implicit-def: $sgpr10
	s_and_saveexec_b64 s[8:9], s[6:7]
	s_xor_b64 s[6:7], exec, s[8:9]
	s_cbranch_execnz .LBB6_4033
; %bb.1985:
	s_or_saveexec_b64 s[6:7], s[6:7]
	v_mov_b32_e32 v0, s10
	s_xor_b64 exec, exec, s[6:7]
	s_cbranch_execnz .LBB6_4036
.LBB6_1986:
	s_or_b64 exec, exec, s[6:7]
	s_and_saveexec_b64 s[6:7], s[4:5]
	s_cbranch_execz .LBB6_1988
.LBB6_1987:
	v_and_b32_e32 v0, 7, v6
	v_ffbh_u32_e32 v4, v0
	v_min_u32_e32 v4, 32, v4
	v_lshrrev_b16_e32 v1, 3, v6
	v_subrev_u32_e32 v5, 28, v4
	v_and_b32_e32 v1, 15, v1
	v_lshlrev_b32_e32 v5, v5, v6
	v_sub_u32_e32 v4, 29, v4
	v_and_b32_e32 v5, 7, v5
	v_cmp_eq_u16_e32 vcc, 0, v1
	v_cndmask_b32_e32 v0, v0, v5, vcc
	v_cndmask_b32_e32 v1, v1, v4, vcc
	v_lshlrev_b32_e32 v4, 24, v6
	v_mov_b32_e32 v5, 0x3b800000
	v_lshlrev_b32_e32 v0, 20, v0
	v_and_b32_e32 v4, 0x80000000, v4
	v_lshl_add_u32 v1, v1, 23, v5
	v_or3_b32 v0, v4, v1, v0
.LBB6_1988:
	s_or_b64 exec, exec, s[6:7]
	s_movk_i32 s4, 0x7f
	v_cmp_gt_i16_sdwa s[6:7], v2, s4 src0_sel:BYTE_0 src1_sel:DWORD
	s_mov_b64 s[4:5], 0
                                        ; implicit-def: $sgpr10
	s_and_saveexec_b64 s[8:9], s[6:7]
	s_xor_b64 s[6:7], exec, s[8:9]
	s_cbranch_execnz .LBB6_4037
; %bb.1989:
	s_or_saveexec_b64 s[6:7], s[6:7]
	v_mov_b32_e32 v1, s10
	s_xor_b64 exec, exec, s[6:7]
	s_cbranch_execnz .LBB6_4040
.LBB6_1990:
	s_or_b64 exec, exec, s[6:7]
	s_and_saveexec_b64 s[6:7], s[4:5]
	s_cbranch_execz .LBB6_1992
.LBB6_1991:
	v_and_b32_e32 v1, 7, v2
	v_ffbh_u32_e32 v5, v1
	v_min_u32_e32 v5, 32, v5
	v_lshrrev_b16_e32 v4, 3, v2
	v_subrev_u32_e32 v8, 28, v5
	v_and_b32_e32 v4, 15, v4
	v_lshlrev_b32_e32 v8, v8, v2
	v_sub_u32_e32 v5, 29, v5
	v_and_b32_e32 v8, 7, v8
	v_cmp_eq_u16_e32 vcc, 0, v4
	v_cndmask_b32_e32 v1, v1, v8, vcc
	v_cndmask_b32_e32 v4, v4, v5, vcc
	v_lshlrev_b32_e32 v5, 24, v2
	v_mov_b32_e32 v8, 0x3b800000
	v_lshlrev_b32_e32 v1, 20, v1
	v_and_b32_e32 v5, 0x80000000, v5
	v_lshl_add_u32 v4, v4, 23, v8
	v_or3_b32 v1, v5, v4, v1
.LBB6_1992:
	s_or_b64 exec, exec, s[6:7]
	s_nop 0
	v_mfma_f32_16x16x4f32 a[0:3], v0, v1, a[0:3]
	v_lshrrev_b32_e32 v1, 8, v6
	s_movk_i32 s4, 0x7f
	v_cmp_gt_i16_sdwa s[6:7], v1, s4 src0_sel:BYTE_0 src1_sel:DWORD
	s_mov_b64 s[4:5], 0
                                        ; implicit-def: $sgpr10
	s_and_saveexec_b64 s[8:9], s[6:7]
	s_xor_b64 s[6:7], exec, s[8:9]
	s_cbranch_execnz .LBB6_4041
; %bb.1993:
	s_or_saveexec_b64 s[6:7], s[6:7]
	v_mov_b32_e32 v0, s10
	s_xor_b64 exec, exec, s[6:7]
	s_cbranch_execnz .LBB6_4044
.LBB6_1994:
	s_or_b64 exec, exec, s[6:7]
	s_and_saveexec_b64 s[6:7], s[4:5]
	s_cbranch_execz .LBB6_1996
.LBB6_1995:
	v_bfe_u32 v0, v6, 8, 3
	v_ffbh_u32_e32 v5, v0
	v_min_u32_e32 v5, 32, v5
	v_lshrrev_b16_e32 v4, 3, v1
	v_subrev_u32_e32 v8, 28, v5
	v_and_b32_e32 v4, 15, v4
	v_lshlrev_b32_e32 v1, v8, v1
	v_sub_u32_e32 v5, 29, v5
	v_and_b32_e32 v1, 7, v1
	v_cmp_eq_u16_e32 vcc, 0, v4
	v_cndmask_b32_e32 v0, v0, v1, vcc
	v_cndmask_b32_e32 v1, v4, v5, vcc
	v_lshlrev_b32_e32 v4, 16, v6
	v_mov_b32_e32 v5, 0x3b800000
	v_lshlrev_b32_e32 v0, 20, v0
	v_and_b32_e32 v4, 0x80000000, v4
	v_lshl_add_u32 v1, v1, 23, v5
	v_or3_b32 v0, v4, v1, v0
.LBB6_1996:
	s_or_b64 exec, exec, s[6:7]
	v_lshrrev_b32_e32 v1, 8, v2
	s_movk_i32 s4, 0x7f
	v_cmp_gt_i16_sdwa s[6:7], v1, s4 src0_sel:BYTE_0 src1_sel:DWORD
	s_mov_b64 s[4:5], 0
                                        ; implicit-def: $sgpr10
	s_and_saveexec_b64 s[8:9], s[6:7]
	s_xor_b64 s[6:7], exec, s[8:9]
	s_cbranch_execnz .LBB6_4045
; %bb.1997:
	s_or_saveexec_b64 s[6:7], s[6:7]
	v_mov_b32_e32 v4, s10
	s_xor_b64 exec, exec, s[6:7]
	s_cbranch_execnz .LBB6_4048
.LBB6_1998:
	s_or_b64 exec, exec, s[6:7]
	s_and_saveexec_b64 s[6:7], s[4:5]
	s_cbranch_execz .LBB6_2000
.LBB6_1999:
	v_bfe_u32 v4, v2, 8, 3
	v_ffbh_u32_e32 v8, v4
	v_min_u32_e32 v8, 32, v8
	v_lshrrev_b16_e32 v5, 3, v1
	v_subrev_u32_e32 v9, 28, v8
	v_and_b32_e32 v5, 15, v5
	v_lshlrev_b32_e32 v1, v9, v1
	v_sub_u32_e32 v8, 29, v8
	v_and_b32_e32 v1, 7, v1
	v_cmp_eq_u16_e32 vcc, 0, v5
	v_cndmask_b32_e32 v1, v4, v1, vcc
	v_cndmask_b32_e32 v4, v5, v8, vcc
	v_lshlrev_b32_e32 v5, 16, v2
	v_mov_b32_e32 v8, 0x3b800000
	v_lshlrev_b32_e32 v1, 20, v1
	v_and_b32_e32 v5, 0x80000000, v5
	v_lshl_add_u32 v4, v4, 23, v8
	v_or3_b32 v4, v5, v4, v1
.LBB6_2000:
	s_or_b64 exec, exec, s[6:7]
	s_nop 0
	v_mfma_f32_16x16x4f32 a[0:3], v0, v4, a[0:3]
	s_movk_i32 s4, 0xff
	v_and_b32_sdwa v1, v6, s4 dst_sel:DWORD dst_unused:UNUSED_PAD src0_sel:WORD_1 src1_sel:DWORD
	s_movk_i32 s4, 0x7f
	v_cmp_lt_i16_e32 vcc, s4, v1
	s_mov_b64 s[4:5], 0
                                        ; implicit-def: $sgpr10
	s_and_saveexec_b64 s[6:7], vcc
	s_xor_b64 s[6:7], exec, s[6:7]
	s_cbranch_execnz .LBB6_4049
; %bb.2001:
	s_or_saveexec_b64 s[6:7], s[6:7]
	v_mov_b32_e32 v0, s10
	s_xor_b64 exec, exec, s[6:7]
	s_cbranch_execnz .LBB6_4052
.LBB6_2002:
	s_or_b64 exec, exec, s[6:7]
	s_and_saveexec_b64 s[6:7], s[4:5]
	s_cbranch_execz .LBB6_2004
.LBB6_2003:
	v_bfe_u32 v0, v6, 16, 3
	v_ffbh_u32_e32 v5, v0
	v_min_u32_e32 v5, 32, v5
	v_lshrrev_b32_e32 v1, 19, v6
	v_subrev_u32_e32 v8, 28, v5
	v_and_b32_e32 v1, 15, v1
	v_lshlrev_b32_sdwa v8, v8, v6 dst_sel:DWORD dst_unused:UNUSED_PAD src0_sel:DWORD src1_sel:WORD_1
	v_bfe_u32 v4, v6, 19, 4
	v_sub_u32_e32 v5, 29, v5
	v_and_b32_e32 v8, 7, v8
	v_cmp_eq_u16_e32 vcc, 0, v1
	v_cndmask_b32_e32 v0, v0, v8, vcc
	v_cndmask_b32_e32 v1, v4, v5, vcc
	v_lshlrev_b32_e32 v4, 8, v6
	v_mov_b32_e32 v5, 0x3b800000
	v_lshlrev_b32_e32 v0, 20, v0
	v_and_b32_e32 v4, 0x80000000, v4
	v_lshl_add_u32 v1, v1, 23, v5
	v_or3_b32 v0, v4, v1, v0
.LBB6_2004:
	s_or_b64 exec, exec, s[6:7]
	s_movk_i32 s4, 0xff
	v_and_b32_sdwa v1, v2, s4 dst_sel:DWORD dst_unused:UNUSED_PAD src0_sel:WORD_1 src1_sel:DWORD
	s_movk_i32 s4, 0x7f
	v_cmp_lt_i16_e32 vcc, s4, v1
	s_mov_b64 s[4:5], 0
                                        ; implicit-def: $sgpr10
	s_and_saveexec_b64 s[6:7], vcc
	s_xor_b64 s[6:7], exec, s[6:7]
	s_cbranch_execnz .LBB6_4053
; %bb.2005:
	s_or_saveexec_b64 s[6:7], s[6:7]
	v_mov_b32_e32 v4, s10
	s_xor_b64 exec, exec, s[6:7]
	s_cbranch_execnz .LBB6_4056
.LBB6_2006:
	s_or_b64 exec, exec, s[6:7]
	s_and_saveexec_b64 s[6:7], s[4:5]
	s_cbranch_execz .LBB6_2008
.LBB6_2007:
	v_bfe_u32 v1, v2, 16, 3
	v_ffbh_u32_e32 v8, v1
	v_min_u32_e32 v8, 32, v8
	v_lshrrev_b32_e32 v4, 19, v2
	v_subrev_u32_e32 v9, 28, v8
	v_and_b32_e32 v4, 15, v4
	v_lshlrev_b32_sdwa v9, v9, v2 dst_sel:DWORD dst_unused:UNUSED_PAD src0_sel:DWORD src1_sel:WORD_1
	v_bfe_u32 v5, v2, 19, 4
	v_sub_u32_e32 v8, 29, v8
	v_and_b32_e32 v9, 7, v9
	v_cmp_eq_u16_e32 vcc, 0, v4
	v_cndmask_b32_e32 v1, v1, v9, vcc
	v_cndmask_b32_e32 v4, v5, v8, vcc
	v_lshlrev_b32_e32 v5, 8, v2
	v_mov_b32_e32 v8, 0x3b800000
	v_lshlrev_b32_e32 v1, 20, v1
	v_and_b32_e32 v5, 0x80000000, v5
	v_lshl_add_u32 v4, v4, 23, v8
	v_or3_b32 v4, v5, v4, v1
.LBB6_2008:
	s_or_b64 exec, exec, s[6:7]
	s_nop 0
	v_mfma_f32_16x16x4f32 a[0:3], v0, v4, a[0:3]
	s_movk_i32 s4, 0x7f
	v_cmp_gt_i16_sdwa s[6:7], v6, s4 src0_sel:BYTE_3 src1_sel:DWORD
	s_mov_b64 s[4:5], 0
                                        ; implicit-def: $sgpr10
	s_and_saveexec_b64 s[8:9], s[6:7]
	s_xor_b64 s[6:7], exec, s[8:9]
	s_cbranch_execnz .LBB6_4057
; %bb.2009:
	s_or_saveexec_b64 s[6:7], s[6:7]
	v_mov_b32_e32 v0, s10
	s_xor_b64 exec, exec, s[6:7]
	s_cbranch_execnz .LBB6_4060
.LBB6_2010:
	s_or_b64 exec, exec, s[6:7]
	s_and_saveexec_b64 s[6:7], s[4:5]
	s_cbranch_execz .LBB6_2012
.LBB6_2011:
	v_bfe_u32 v0, v6, 24, 3
	v_ffbh_u32_e32 v8, v0
	v_min_u32_e32 v8, 32, v8
	v_lshrrev_b32_e32 v4, 27, v6
	v_subrev_u32_e32 v9, 28, v8
	v_and_b32_e32 v1, 0x80000000, v6
	v_and_b32_e32 v4, 15, v4
	v_bfe_u32 v5, v6, 27, 4
	v_lshlrev_b32_sdwa v6, v9, v6 dst_sel:DWORD dst_unused:UNUSED_PAD src0_sel:DWORD src1_sel:BYTE_3
	v_sub_u32_e32 v8, 29, v8
	v_and_b32_e32 v6, 7, v6
	v_cmp_eq_u16_e32 vcc, 0, v4
	v_cndmask_b32_e32 v0, v0, v6, vcc
	v_cndmask_b32_e32 v4, v5, v8, vcc
	v_mov_b32_e32 v5, 0x3b800000
	v_lshlrev_b32_e32 v0, 20, v0
	v_lshl_add_u32 v4, v4, 23, v5
	v_or3_b32 v0, v1, v4, v0
.LBB6_2012:
	s_or_b64 exec, exec, s[6:7]
	s_movk_i32 s4, 0x7f
	v_cmp_gt_i16_sdwa s[6:7], v2, s4 src0_sel:BYTE_3 src1_sel:DWORD
	s_mov_b64 s[4:5], 0
                                        ; implicit-def: $sgpr10
	s_and_saveexec_b64 s[8:9], s[6:7]
	s_xor_b64 s[6:7], exec, s[8:9]
	s_cbranch_execnz .LBB6_4061
; %bb.2013:
	s_or_saveexec_b64 s[6:7], s[6:7]
	v_mov_b32_e32 v1, s10
	s_xor_b64 exec, exec, s[6:7]
	s_cbranch_execnz .LBB6_4064
.LBB6_2014:
	s_or_b64 exec, exec, s[6:7]
	s_and_saveexec_b64 s[6:7], s[4:5]
	s_cbranch_execz .LBB6_2016
.LBB6_2015:
	v_bfe_u32 v1, v2, 24, 3
	v_ffbh_u32_e32 v8, v1
	v_min_u32_e32 v8, 32, v8
	v_lshrrev_b32_e32 v5, 27, v2
	v_subrev_u32_e32 v9, 28, v8
	v_and_b32_e32 v4, 0x80000000, v2
	v_and_b32_e32 v5, 15, v5
	v_bfe_u32 v6, v2, 27, 4
	v_lshlrev_b32_sdwa v2, v9, v2 dst_sel:DWORD dst_unused:UNUSED_PAD src0_sel:DWORD src1_sel:BYTE_3
	v_sub_u32_e32 v8, 29, v8
	v_and_b32_e32 v2, 7, v2
	v_cmp_eq_u16_e32 vcc, 0, v5
	v_cndmask_b32_e32 v1, v1, v2, vcc
	v_cndmask_b32_e32 v2, v6, v8, vcc
	v_mov_b32_e32 v5, 0x3b800000
	v_lshlrev_b32_e32 v1, 20, v1
	v_lshl_add_u32 v2, v2, 23, v5
	v_or3_b32 v1, v4, v2, v1
.LBB6_2016:
	s_or_b64 exec, exec, s[6:7]
	s_nop 0
	v_mfma_f32_16x16x4f32 a[0:3], v0, v1, a[0:3]
	s_movk_i32 s4, 0x7f
	v_cmp_gt_i16_sdwa s[6:7], v7, s4 src0_sel:BYTE_0 src1_sel:DWORD
	s_mov_b64 s[4:5], 0
                                        ; implicit-def: $sgpr10
	s_and_saveexec_b64 s[8:9], s[6:7]
	s_xor_b64 s[6:7], exec, s[8:9]
	s_cbranch_execnz .LBB6_4065
; %bb.2017:
	s_or_saveexec_b64 s[6:7], s[6:7]
	v_mov_b32_e32 v0, s10
	s_xor_b64 exec, exec, s[6:7]
	s_cbranch_execnz .LBB6_4068
.LBB6_2018:
	s_or_b64 exec, exec, s[6:7]
	s_and_saveexec_b64 s[6:7], s[4:5]
	s_cbranch_execz .LBB6_2020
.LBB6_2019:
	v_mov_b32_e32 v0, 8
	v_and_b32_e32 v1, 7, v7
	v_lshrrev_b32_sdwa v0, v0, v7 dst_sel:BYTE_1 dst_unused:UNUSED_PAD src0_sel:DWORD src1_sel:DWORD
	v_ffbh_u32_e32 v2, v1
	v_or_b32_sdwa v0, v7, v0 dst_sel:DWORD dst_unused:UNUSED_PAD src0_sel:BYTE_0 src1_sel:DWORD
	v_min_u32_e32 v2, 32, v2
	v_lshrrev_b16_e32 v0, 3, v0
	v_subrev_u32_e32 v4, 28, v2
	v_and_b32_e32 v0, 15, v0
	v_lshlrev_b32_e32 v4, v4, v7
	v_sub_u32_e32 v2, 29, v2
	v_and_b32_e32 v4, 7, v4
	v_cmp_eq_u16_e32 vcc, 0, v0
	v_cndmask_b32_e32 v1, v1, v4, vcc
	v_cndmask_b32_e32 v0, v0, v2, vcc
	v_lshlrev_b32_e32 v2, 24, v7
	v_mov_b32_e32 v4, 0x3b800000
	v_lshlrev_b32_e32 v1, 20, v1
	v_and_b32_e32 v2, 0x80000000, v2
	v_lshl_add_u32 v0, v0, 23, v4
	v_or3_b32 v0, v2, v0, v1
.LBB6_2020:
	s_or_b64 exec, exec, s[6:7]
	s_movk_i32 s4, 0x7f
	v_cmp_gt_i16_sdwa s[6:7], v3, s4 src0_sel:BYTE_0 src1_sel:DWORD
	s_mov_b64 s[4:5], 0
                                        ; implicit-def: $sgpr10
	s_and_saveexec_b64 s[8:9], s[6:7]
	s_xor_b64 s[6:7], exec, s[8:9]
	s_cbranch_execnz .LBB6_4069
; %bb.2021:
	s_or_saveexec_b64 s[6:7], s[6:7]
	v_mov_b32_e32 v1, s10
	s_xor_b64 exec, exec, s[6:7]
	s_cbranch_execnz .LBB6_4072
.LBB6_2022:
	s_or_b64 exec, exec, s[6:7]
	s_and_saveexec_b64 s[6:7], s[4:5]
	s_cbranch_execz .LBB6_2024
.LBB6_2023:
	v_mov_b32_e32 v1, 8
	v_and_b32_e32 v2, 7, v3
	v_lshrrev_b32_sdwa v1, v1, v3 dst_sel:BYTE_1 dst_unused:UNUSED_PAD src0_sel:DWORD src1_sel:DWORD
	v_ffbh_u32_e32 v4, v2
	v_or_b32_sdwa v1, v3, v1 dst_sel:DWORD dst_unused:UNUSED_PAD src0_sel:BYTE_0 src1_sel:DWORD
	v_min_u32_e32 v4, 32, v4
	v_lshrrev_b16_e32 v1, 3, v1
	v_subrev_u32_e32 v5, 28, v4
	v_and_b32_e32 v1, 15, v1
	v_lshlrev_b32_e32 v5, v5, v3
	v_sub_u32_e32 v4, 29, v4
	v_and_b32_e32 v5, 7, v5
	v_cmp_eq_u16_e32 vcc, 0, v1
	v_cndmask_b32_e32 v2, v2, v5, vcc
	v_cndmask_b32_e32 v1, v1, v4, vcc
	v_lshlrev_b32_e32 v4, 24, v3
	v_mov_b32_e32 v5, 0x3b800000
	v_lshlrev_b32_e32 v2, 20, v2
	v_and_b32_e32 v4, 0x80000000, v4
	v_lshl_add_u32 v1, v1, 23, v5
	v_or3_b32 v1, v4, v1, v2
.LBB6_2024:
	s_or_b64 exec, exec, s[6:7]
	s_nop 0
	v_mfma_f32_16x16x4f32 a[0:3], v0, v1, a[0:3]
	v_lshrrev_b32_e32 v1, 8, v7
	s_movk_i32 s4, 0x7f
	v_cmp_gt_i16_sdwa s[6:7], v1, s4 src0_sel:BYTE_0 src1_sel:DWORD
	s_mov_b64 s[4:5], 0
                                        ; implicit-def: $sgpr10
	s_and_saveexec_b64 s[8:9], s[6:7]
	s_xor_b64 s[6:7], exec, s[8:9]
	s_cbranch_execnz .LBB6_4073
; %bb.2025:
	s_or_saveexec_b64 s[6:7], s[6:7]
	v_mov_b32_e32 v0, s10
	s_xor_b64 exec, exec, s[6:7]
	s_cbranch_execnz .LBB6_4076
.LBB6_2026:
	s_or_b64 exec, exec, s[6:7]
	s_and_saveexec_b64 s[6:7], s[4:5]
	s_cbranch_execz .LBB6_2028
.LBB6_2027:
	v_bfe_u32 v0, v7, 8, 3
	v_ffbh_u32_e32 v4, v0
	v_min_u32_e32 v4, 32, v4
	v_lshrrev_b16_e32 v2, 3, v1
	v_subrev_u32_e32 v5, 28, v4
	v_and_b32_e32 v2, 15, v2
	v_lshlrev_b32_e32 v1, v5, v1
	v_sub_u32_e32 v4, 29, v4
	v_and_b32_e32 v1, 7, v1
	v_cmp_eq_u16_e32 vcc, 0, v2
	v_cndmask_b32_e32 v0, v0, v1, vcc
	v_cndmask_b32_e32 v1, v2, v4, vcc
	v_lshlrev_b32_e32 v2, 16, v7
	v_mov_b32_e32 v4, 0x3b800000
	v_lshlrev_b32_e32 v0, 20, v0
	v_and_b32_e32 v2, 0x80000000, v2
	v_lshl_add_u32 v1, v1, 23, v4
	v_or3_b32 v0, v2, v1, v0
.LBB6_2028:
	s_or_b64 exec, exec, s[6:7]
	v_lshrrev_b32_e32 v1, 8, v3
	s_movk_i32 s4, 0x7f
	v_cmp_gt_i16_sdwa s[6:7], v1, s4 src0_sel:BYTE_0 src1_sel:DWORD
	s_mov_b64 s[4:5], 0
                                        ; implicit-def: $sgpr10
	s_and_saveexec_b64 s[8:9], s[6:7]
	s_xor_b64 s[6:7], exec, s[8:9]
	s_cbranch_execnz .LBB6_4077
; %bb.2029:
	s_or_saveexec_b64 s[6:7], s[6:7]
	v_mov_b32_e32 v2, s10
	s_xor_b64 exec, exec, s[6:7]
	s_cbranch_execnz .LBB6_4080
.LBB6_2030:
	s_or_b64 exec, exec, s[6:7]
	s_and_saveexec_b64 s[6:7], s[4:5]
	s_cbranch_execz .LBB6_2032
.LBB6_2031:
	v_bfe_u32 v2, v3, 8, 3
	v_ffbh_u32_e32 v5, v2
	v_min_u32_e32 v5, 32, v5
	v_lshrrev_b16_e32 v4, 3, v1
	v_subrev_u32_e32 v6, 28, v5
	v_and_b32_e32 v4, 15, v4
	v_lshlrev_b32_e32 v1, v6, v1
	v_sub_u32_e32 v5, 29, v5
	v_and_b32_e32 v1, 7, v1
	v_cmp_eq_u16_e32 vcc, 0, v4
	v_cndmask_b32_e32 v1, v2, v1, vcc
	v_cndmask_b32_e32 v2, v4, v5, vcc
	v_lshlrev_b32_e32 v4, 16, v3
	v_mov_b32_e32 v5, 0x3b800000
	v_lshlrev_b32_e32 v1, 20, v1
	v_and_b32_e32 v4, 0x80000000, v4
	v_lshl_add_u32 v2, v2, 23, v5
	v_or3_b32 v2, v4, v2, v1
.LBB6_2032:
	s_or_b64 exec, exec, s[6:7]
	s_nop 0
	v_mfma_f32_16x16x4f32 a[0:3], v0, v2, a[0:3]
	s_movk_i32 s4, 0xff
	v_and_b32_sdwa v1, v7, s4 dst_sel:DWORD dst_unused:UNUSED_PAD src0_sel:WORD_1 src1_sel:DWORD
	s_movk_i32 s4, 0x7f
	v_cmp_lt_i16_e32 vcc, s4, v1
	s_mov_b64 s[4:5], 0
                                        ; implicit-def: $sgpr10
	s_and_saveexec_b64 s[6:7], vcc
	s_xor_b64 s[6:7], exec, s[6:7]
	s_cbranch_execnz .LBB6_4081
; %bb.2033:
	s_or_saveexec_b64 s[6:7], s[6:7]
	v_mov_b32_e32 v0, s10
	s_xor_b64 exec, exec, s[6:7]
	s_cbranch_execnz .LBB6_4084
.LBB6_2034:
	s_or_b64 exec, exec, s[6:7]
	s_and_saveexec_b64 s[6:7], s[4:5]
	s_cbranch_execz .LBB6_2036
.LBB6_2035:
	v_bfe_u32 v0, v7, 16, 3
	v_ffbh_u32_e32 v4, v0
	v_min_u32_e32 v4, 32, v4
	v_lshrrev_b32_e32 v1, 19, v7
	v_subrev_u32_e32 v5, 28, v4
	v_and_b32_e32 v1, 15, v1
	v_lshlrev_b32_sdwa v5, v5, v7 dst_sel:DWORD dst_unused:UNUSED_PAD src0_sel:DWORD src1_sel:WORD_1
	v_bfe_u32 v2, v7, 19, 4
	v_sub_u32_e32 v4, 29, v4
	v_and_b32_e32 v5, 7, v5
	v_cmp_eq_u16_e32 vcc, 0, v1
	v_cndmask_b32_e32 v0, v0, v5, vcc
	v_cndmask_b32_e32 v1, v2, v4, vcc
	v_lshlrev_b32_e32 v2, 8, v7
	v_mov_b32_e32 v4, 0x3b800000
	v_lshlrev_b32_e32 v0, 20, v0
	v_and_b32_e32 v2, 0x80000000, v2
	v_lshl_add_u32 v1, v1, 23, v4
	v_or3_b32 v0, v2, v1, v0
.LBB6_2036:
	s_or_b64 exec, exec, s[6:7]
	s_movk_i32 s4, 0xff
	v_and_b32_sdwa v1, v3, s4 dst_sel:DWORD dst_unused:UNUSED_PAD src0_sel:WORD_1 src1_sel:DWORD
	s_movk_i32 s4, 0x7f
	v_cmp_lt_i16_e32 vcc, s4, v1
	s_mov_b64 s[4:5], 0
                                        ; implicit-def: $sgpr10
	s_and_saveexec_b64 s[6:7], vcc
	s_xor_b64 s[6:7], exec, s[6:7]
	s_cbranch_execnz .LBB6_4085
; %bb.2037:
	s_or_saveexec_b64 s[6:7], s[6:7]
	v_mov_b32_e32 v2, s10
	s_xor_b64 exec, exec, s[6:7]
	s_cbranch_execnz .LBB6_4088
.LBB6_2038:
	s_or_b64 exec, exec, s[6:7]
	s_and_saveexec_b64 s[6:7], s[4:5]
	s_cbranch_execz .LBB6_2040
.LBB6_2039:
	v_bfe_u32 v1, v3, 16, 3
	v_ffbh_u32_e32 v5, v1
	v_min_u32_e32 v5, 32, v5
	v_lshrrev_b32_e32 v2, 19, v3
	v_subrev_u32_e32 v6, 28, v5
	v_and_b32_e32 v2, 15, v2
	v_lshlrev_b32_sdwa v6, v6, v3 dst_sel:DWORD dst_unused:UNUSED_PAD src0_sel:DWORD src1_sel:WORD_1
	v_bfe_u32 v4, v3, 19, 4
	v_sub_u32_e32 v5, 29, v5
	v_and_b32_e32 v6, 7, v6
	v_cmp_eq_u16_e32 vcc, 0, v2
	v_cndmask_b32_e32 v1, v1, v6, vcc
	v_cndmask_b32_e32 v2, v4, v5, vcc
	v_lshlrev_b32_e32 v4, 8, v3
	v_mov_b32_e32 v5, 0x3b800000
	v_lshlrev_b32_e32 v1, 20, v1
	v_and_b32_e32 v4, 0x80000000, v4
	v_lshl_add_u32 v2, v2, 23, v5
	v_or3_b32 v2, v4, v2, v1
.LBB6_2040:
	s_or_b64 exec, exec, s[6:7]
	s_nop 0
	v_mfma_f32_16x16x4f32 a[0:3], v0, v2, a[0:3]
	s_movk_i32 s4, 0x7f
	v_cmp_gt_i16_sdwa s[6:7], v7, s4 src0_sel:BYTE_3 src1_sel:DWORD
	s_mov_b64 s[4:5], 0
                                        ; implicit-def: $sgpr10
	s_and_saveexec_b64 s[8:9], s[6:7]
	s_xor_b64 s[6:7], exec, s[8:9]
	s_cbranch_execnz .LBB6_4089
; %bb.2041:
	s_or_saveexec_b64 s[6:7], s[6:7]
	v_mov_b32_e32 v0, s10
	s_xor_b64 exec, exec, s[6:7]
	s_cbranch_execnz .LBB6_4092
.LBB6_2042:
	s_or_b64 exec, exec, s[6:7]
	s_and_saveexec_b64 s[6:7], s[4:5]
	s_cbranch_execz .LBB6_2044
.LBB6_2043:
	v_bfe_u32 v0, v7, 24, 3
	v_ffbh_u32_e32 v5, v0
	v_min_u32_e32 v5, 32, v5
	v_lshrrev_b32_e32 v2, 27, v7
	v_subrev_u32_e32 v6, 28, v5
	v_and_b32_e32 v2, 15, v2
	v_lshlrev_b32_sdwa v6, v6, v7 dst_sel:DWORD dst_unused:UNUSED_PAD src0_sel:DWORD src1_sel:BYTE_3
	v_bfe_u32 v4, v7, 27, 4
	v_sub_u32_e32 v5, 29, v5
	v_and_b32_e32 v6, 7, v6
	v_cmp_eq_u16_e32 vcc, 0, v2
	v_cndmask_b32_e32 v0, v0, v6, vcc
	v_cndmask_b32_e32 v2, v4, v5, vcc
	v_mov_b32_e32 v4, 0x3b800000
	v_and_b32_e32 v1, 0x80000000, v7
	v_lshlrev_b32_e32 v0, 20, v0
	v_lshl_add_u32 v2, v2, 23, v4
	v_or3_b32 v0, v1, v2, v0
.LBB6_2044:
	s_or_b64 exec, exec, s[6:7]
	s_movk_i32 s4, 0x7f
	v_cmp_gt_i16_sdwa s[6:7], v3, s4 src0_sel:BYTE_3 src1_sel:DWORD
	s_mov_b64 s[4:5], 0
                                        ; implicit-def: $sgpr10
	s_and_saveexec_b64 s[8:9], s[6:7]
	s_xor_b64 s[6:7], exec, s[8:9]
	s_cbranch_execnz .LBB6_4093
; %bb.2045:
	s_or_saveexec_b64 s[6:7], s[6:7]
	v_mov_b32_e32 v1, s10
	s_xor_b64 exec, exec, s[6:7]
	s_cbranch_execnz .LBB6_4096
.LBB6_2046:
	s_or_b64 exec, exec, s[6:7]
	s_and_saveexec_b64 s[6:7], s[4:5]
	s_cbranch_execz .LBB6_2048
.LBB6_2047:
	v_bfe_u32 v1, v3, 24, 3
	v_ffbh_u32_e32 v6, v1
	v_min_u32_e32 v6, 32, v6
	v_lshrrev_b32_e32 v4, 27, v3
	v_subrev_u32_e32 v7, 28, v6
	v_and_b32_e32 v2, 0x80000000, v3
	v_and_b32_e32 v4, 15, v4
	v_bfe_u32 v5, v3, 27, 4
	v_lshlrev_b32_sdwa v3, v7, v3 dst_sel:DWORD dst_unused:UNUSED_PAD src0_sel:DWORD src1_sel:BYTE_3
	v_sub_u32_e32 v6, 29, v6
	v_and_b32_e32 v3, 7, v3
	v_cmp_eq_u16_e32 vcc, 0, v4
	v_cndmask_b32_e32 v1, v1, v3, vcc
	v_cndmask_b32_e32 v3, v5, v6, vcc
	v_mov_b32_e32 v4, 0x3b800000
	v_lshlrev_b32_e32 v1, 20, v1
	v_lshl_add_u32 v3, v3, 23, v4
	v_or3_b32 v1, v2, v3, v1
.LBB6_2048:
	s_or_b64 exec, exec, s[6:7]
	s_nop 0
	v_mfma_f32_16x16x4f32 a[0:3], v0, v1, a[0:3]
	s_nop 7
	s_nop 2
	flat_store_dwordx4 v[16:17], a[0:3] offset:624
	s_waitcnt vmcnt(0) lgkmcnt(0)
	s_setpc_b64 s[30:31]
.LBB6_2049:
	s_movk_i32 s4, 0x80
	v_cmp_eq_u16_sdwa s[12:13], v14, s4 src0_sel:BYTE_0 src1_sel:DWORD
	s_mov_b64 s[4:5], -1
                                        ; implicit-def: $sgpr10
	s_and_saveexec_b64 s[8:9], s[12:13]
; %bb.2050:
	s_mov_b32 s10, 0x7f800001
	s_xor_b64 s[4:5], exec, -1
; %bb.2051:
	s_or_b64 exec, exec, s[8:9]
	s_and_b64 s[4:5], s[4:5], exec
	s_or_saveexec_b64 s[6:7], s[6:7]
	v_mov_b32_e32 v20, s10
	s_xor_b64 exec, exec, s[6:7]
	s_cbranch_execz .LBB6_2
.LBB6_2052:
	v_mov_b32_e32 v20, 0
	v_cmp_ne_u16_sdwa s[8:9], v14, v20 src0_sel:BYTE_0 src1_sel:DWORD
	s_andn2_b64 s[4:5], s[4:5], exec
	s_and_b64 s[8:9], s[8:9], exec
	s_or_b64 s[4:5], s[4:5], s[8:9]
	s_or_b64 exec, exec, s[6:7]
	s_and_saveexec_b64 s[6:7], s[4:5]
	s_cbranch_execnz .LBB6_3
	s_branch .LBB6_4
.LBB6_2053:
	s_movk_i32 s4, 0x80
	v_cmp_eq_u16_sdwa s[12:13], v10, s4 src0_sel:BYTE_0 src1_sel:DWORD
	s_mov_b64 s[4:5], -1
                                        ; implicit-def: $sgpr10
	s_and_saveexec_b64 s[8:9], s[12:13]
; %bb.2054:
	s_mov_b32 s10, 0x7f800001
	s_xor_b64 s[4:5], exec, -1
; %bb.2055:
	s_or_b64 exec, exec, s[8:9]
	s_and_b64 s[4:5], s[4:5], exec
	s_or_saveexec_b64 s[6:7], s[6:7]
	v_mov_b32_e32 v21, s10
	s_xor_b64 exec, exec, s[6:7]
	s_cbranch_execz .LBB6_6
.LBB6_2056:
	v_mov_b32_e32 v21, 0
	v_cmp_ne_u16_sdwa s[8:9], v10, v21 src0_sel:BYTE_0 src1_sel:DWORD
	s_andn2_b64 s[4:5], s[4:5], exec
	s_and_b64 s[8:9], s[8:9], exec
	s_or_b64 s[4:5], s[4:5], s[8:9]
	s_or_b64 exec, exec, s[6:7]
	s_and_saveexec_b64 s[6:7], s[4:5]
	s_cbranch_execnz .LBB6_7
	s_branch .LBB6_8
.LBB6_2057:
	s_movk_i32 s4, 0x80
	v_cmp_eq_u16_sdwa s[12:13], v21, s4 src0_sel:BYTE_0 src1_sel:DWORD
	s_mov_b64 s[4:5], -1
                                        ; implicit-def: $sgpr10
	s_and_saveexec_b64 s[8:9], s[12:13]
; %bb.2058:
	s_mov_b32 s10, 0x7f800001
	s_xor_b64 s[4:5], exec, -1
; %bb.2059:
	s_or_b64 exec, exec, s[8:9]
	s_and_b64 s[4:5], s[4:5], exec
	s_or_saveexec_b64 s[6:7], s[6:7]
	v_mov_b32_e32 v20, s10
	s_xor_b64 exec, exec, s[6:7]
	s_cbranch_execz .LBB6_10
.LBB6_2060:
	v_mov_b32_e32 v20, 0
	v_cmp_ne_u16_sdwa s[8:9], v21, v20 src0_sel:BYTE_0 src1_sel:DWORD
	s_andn2_b64 s[4:5], s[4:5], exec
	s_and_b64 s[8:9], s[8:9], exec
	s_or_b64 s[4:5], s[4:5], s[8:9]
	s_or_b64 exec, exec, s[6:7]
	s_and_saveexec_b64 s[6:7], s[4:5]
	s_cbranch_execnz .LBB6_11
	s_branch .LBB6_12
.LBB6_2061:
	s_movk_i32 s4, 0x80
	v_cmp_eq_u16_sdwa s[12:13], v21, s4 src0_sel:BYTE_0 src1_sel:DWORD
	s_mov_b64 s[4:5], -1
                                        ; implicit-def: $sgpr10
	s_and_saveexec_b64 s[8:9], s[12:13]
; %bb.2062:
	s_mov_b32 s10, 0x7f800001
	s_xor_b64 s[4:5], exec, -1
; %bb.2063:
	s_or_b64 exec, exec, s[8:9]
	s_and_b64 s[4:5], s[4:5], exec
	s_or_saveexec_b64 s[6:7], s[6:7]
	v_mov_b32_e32 v22, s10
	s_xor_b64 exec, exec, s[6:7]
	s_cbranch_execz .LBB6_14
.LBB6_2064:
	v_mov_b32_e32 v22, 0
	v_cmp_ne_u16_sdwa s[8:9], v21, v22 src0_sel:BYTE_0 src1_sel:DWORD
	s_andn2_b64 s[4:5], s[4:5], exec
	s_and_b64 s[8:9], s[8:9], exec
	s_or_b64 s[4:5], s[4:5], s[8:9]
	s_or_b64 exec, exec, s[6:7]
	s_and_saveexec_b64 s[6:7], s[4:5]
	s_cbranch_execnz .LBB6_15
	s_branch .LBB6_16
.LBB6_2065:
	s_movk_i32 s4, 0x80
	v_cmp_eq_u16_e32 vcc, s4, v21
	s_mov_b64 s[4:5], -1
                                        ; implicit-def: $sgpr10
	s_and_saveexec_b64 s[8:9], vcc
; %bb.2066:
	s_mov_b32 s10, 0x7f800001
	s_xor_b64 s[4:5], exec, -1
; %bb.2067:
	s_or_b64 exec, exec, s[8:9]
	s_and_b64 s[4:5], s[4:5], exec
                                        ; implicit-def: $vgpr21
	s_or_saveexec_b64 s[6:7], s[6:7]
	v_mov_b32_e32 v20, s10
	s_xor_b64 exec, exec, s[6:7]
	s_cbranch_execz .LBB6_18
.LBB6_2068:
	v_cmp_ne_u16_e32 vcc, 0, v21
	s_andn2_b64 s[4:5], s[4:5], exec
	s_and_b64 s[8:9], vcc, exec
	v_mov_b32_e32 v20, 0
	s_or_b64 s[4:5], s[4:5], s[8:9]
	s_or_b64 exec, exec, s[6:7]
	s_and_saveexec_b64 s[6:7], s[4:5]
	s_cbranch_execnz .LBB6_19
	s_branch .LBB6_20
.LBB6_2069:
	s_movk_i32 s4, 0x80
	v_cmp_eq_u16_e32 vcc, s4, v21
	s_mov_b64 s[4:5], -1
                                        ; implicit-def: $sgpr10
	s_and_saveexec_b64 s[8:9], vcc
; %bb.2070:
	s_mov_b32 s10, 0x7f800001
	s_xor_b64 s[4:5], exec, -1
; %bb.2071:
	s_or_b64 exec, exec, s[8:9]
	s_and_b64 s[4:5], s[4:5], exec
                                        ; implicit-def: $vgpr21
	s_or_saveexec_b64 s[6:7], s[6:7]
	v_mov_b32_e32 v22, s10
	s_xor_b64 exec, exec, s[6:7]
	s_cbranch_execz .LBB6_22
.LBB6_2072:
	v_cmp_ne_u16_e32 vcc, 0, v21
	s_andn2_b64 s[4:5], s[4:5], exec
	s_and_b64 s[8:9], vcc, exec
	v_mov_b32_e32 v22, 0
	s_or_b64 s[4:5], s[4:5], s[8:9]
	s_or_b64 exec, exec, s[6:7]
	s_and_saveexec_b64 s[6:7], s[4:5]
	s_cbranch_execnz .LBB6_23
	s_branch .LBB6_24
.LBB6_2073:
	s_movk_i32 s4, 0x80
	v_cmp_eq_u16_sdwa s[12:13], v14, s4 src0_sel:BYTE_3 src1_sel:DWORD
	s_mov_b64 s[4:5], -1
                                        ; implicit-def: $sgpr10
	s_and_saveexec_b64 s[8:9], s[12:13]
; %bb.2074:
	s_mov_b32 s10, 0x7f800001
	s_xor_b64 s[4:5], exec, -1
; %bb.2075:
	s_or_b64 exec, exec, s[8:9]
	s_and_b64 s[4:5], s[4:5], exec
	s_or_saveexec_b64 s[6:7], s[6:7]
	v_mov_b32_e32 v20, s10
	s_xor_b64 exec, exec, s[6:7]
	s_cbranch_execz .LBB6_26
.LBB6_2076:
	v_mov_b32_e32 v20, 0
	v_cmp_ne_u16_sdwa s[8:9], v14, v20 src0_sel:BYTE_3 src1_sel:DWORD
	s_andn2_b64 s[4:5], s[4:5], exec
	s_and_b64 s[8:9], s[8:9], exec
	s_or_b64 s[4:5], s[4:5], s[8:9]
	s_or_b64 exec, exec, s[6:7]
	s_and_saveexec_b64 s[6:7], s[4:5]
	s_cbranch_execnz .LBB6_27
	s_branch .LBB6_28
.LBB6_2077:
	s_movk_i32 s4, 0x80
	v_cmp_eq_u16_sdwa s[12:13], v10, s4 src0_sel:BYTE_3 src1_sel:DWORD
	s_mov_b64 s[4:5], -1
                                        ; implicit-def: $sgpr10
	s_and_saveexec_b64 s[8:9], s[12:13]
; %bb.2078:
	s_mov_b32 s10, 0x7f800001
	s_xor_b64 s[4:5], exec, -1
; %bb.2079:
	s_or_b64 exec, exec, s[8:9]
	s_and_b64 s[4:5], s[4:5], exec
	s_or_saveexec_b64 s[6:7], s[6:7]
	v_mov_b32_e32 v14, s10
	s_xor_b64 exec, exec, s[6:7]
	s_cbranch_execz .LBB6_30
.LBB6_2080:
	v_mov_b32_e32 v14, 0
	v_cmp_ne_u16_sdwa s[8:9], v10, v14 src0_sel:BYTE_3 src1_sel:DWORD
	s_andn2_b64 s[4:5], s[4:5], exec
	s_and_b64 s[8:9], s[8:9], exec
	s_or_b64 s[4:5], s[4:5], s[8:9]
	s_or_b64 exec, exec, s[6:7]
	s_and_saveexec_b64 s[6:7], s[4:5]
	s_cbranch_execnz .LBB6_31
	s_branch .LBB6_32
.LBB6_2081:
	s_movk_i32 s4, 0x80
	v_cmp_eq_u16_sdwa s[12:13], v15, s4 src0_sel:BYTE_0 src1_sel:DWORD
	s_mov_b64 s[4:5], -1
                                        ; implicit-def: $sgpr10
	s_and_saveexec_b64 s[8:9], s[12:13]
; %bb.2082:
	s_mov_b32 s10, 0x7f800001
	s_xor_b64 s[4:5], exec, -1
; %bb.2083:
	s_or_b64 exec, exec, s[8:9]
	s_and_b64 s[4:5], s[4:5], exec
	s_or_saveexec_b64 s[6:7], s[6:7]
	v_mov_b32_e32 v10, s10
	s_xor_b64 exec, exec, s[6:7]
	s_cbranch_execz .LBB6_34
.LBB6_2084:
	v_mov_b32_e32 v10, 0
	v_cmp_ne_u16_sdwa s[8:9], v15, v10 src0_sel:BYTE_0 src1_sel:DWORD
	s_andn2_b64 s[4:5], s[4:5], exec
	s_and_b64 s[8:9], s[8:9], exec
	s_or_b64 s[4:5], s[4:5], s[8:9]
	s_or_b64 exec, exec, s[6:7]
	s_and_saveexec_b64 s[6:7], s[4:5]
	s_cbranch_execnz .LBB6_35
	s_branch .LBB6_36
.LBB6_2085:
	s_movk_i32 s4, 0x80
	v_cmp_eq_u16_sdwa s[12:13], v11, s4 src0_sel:BYTE_0 src1_sel:DWORD
	s_mov_b64 s[4:5], -1
                                        ; implicit-def: $sgpr10
	s_and_saveexec_b64 s[8:9], s[12:13]
; %bb.2086:
	s_mov_b32 s10, 0x7f800001
	s_xor_b64 s[4:5], exec, -1
; %bb.2087:
	s_or_b64 exec, exec, s[8:9]
	s_and_b64 s[4:5], s[4:5], exec
	s_or_saveexec_b64 s[6:7], s[6:7]
	v_mov_b32_e32 v14, s10
	s_xor_b64 exec, exec, s[6:7]
	s_cbranch_execz .LBB6_38
.LBB6_2088:
	v_mov_b32_e32 v14, 0
	v_cmp_ne_u16_sdwa s[8:9], v11, v14 src0_sel:BYTE_0 src1_sel:DWORD
	s_andn2_b64 s[4:5], s[4:5], exec
	s_and_b64 s[8:9], s[8:9], exec
	s_or_b64 s[4:5], s[4:5], s[8:9]
	s_or_b64 exec, exec, s[6:7]
	s_and_saveexec_b64 s[6:7], s[4:5]
	s_cbranch_execnz .LBB6_39
	s_branch .LBB6_40
.LBB6_2089:
	s_movk_i32 s4, 0x80
	v_cmp_eq_u16_sdwa s[12:13], v14, s4 src0_sel:BYTE_0 src1_sel:DWORD
	s_mov_b64 s[4:5], -1
                                        ; implicit-def: $sgpr10
	s_and_saveexec_b64 s[8:9], s[12:13]
; %bb.2090:
	s_mov_b32 s10, 0x7f800001
	s_xor_b64 s[4:5], exec, -1
; %bb.2091:
	s_or_b64 exec, exec, s[8:9]
	s_and_b64 s[4:5], s[4:5], exec
	s_or_saveexec_b64 s[6:7], s[6:7]
	v_mov_b32_e32 v10, s10
	s_xor_b64 exec, exec, s[6:7]
	s_cbranch_execz .LBB6_42
.LBB6_2092:
	v_mov_b32_e32 v10, 0
	v_cmp_ne_u16_sdwa s[8:9], v14, v10 src0_sel:BYTE_0 src1_sel:DWORD
	s_andn2_b64 s[4:5], s[4:5], exec
	s_and_b64 s[8:9], s[8:9], exec
	s_or_b64 s[4:5], s[4:5], s[8:9]
	s_or_b64 exec, exec, s[6:7]
	s_and_saveexec_b64 s[6:7], s[4:5]
	s_cbranch_execnz .LBB6_43
	s_branch .LBB6_44
.LBB6_2093:
	s_movk_i32 s4, 0x80
	v_cmp_eq_u16_sdwa s[12:13], v14, s4 src0_sel:BYTE_0 src1_sel:DWORD
	s_mov_b64 s[4:5], -1
                                        ; implicit-def: $sgpr10
	s_and_saveexec_b64 s[8:9], s[12:13]
; %bb.2094:
	s_mov_b32 s10, 0x7f800001
	s_xor_b64 s[4:5], exec, -1
; %bb.2095:
	s_or_b64 exec, exec, s[8:9]
	s_and_b64 s[4:5], s[4:5], exec
	s_or_saveexec_b64 s[6:7], s[6:7]
	v_mov_b32_e32 v20, s10
	s_xor_b64 exec, exec, s[6:7]
	s_cbranch_execz .LBB6_46
.LBB6_2096:
	v_mov_b32_e32 v20, 0
	v_cmp_ne_u16_sdwa s[8:9], v14, v20 src0_sel:BYTE_0 src1_sel:DWORD
	s_andn2_b64 s[4:5], s[4:5], exec
	s_and_b64 s[8:9], s[8:9], exec
	s_or_b64 s[4:5], s[4:5], s[8:9]
	s_or_b64 exec, exec, s[6:7]
	s_and_saveexec_b64 s[6:7], s[4:5]
	s_cbranch_execnz .LBB6_47
	s_branch .LBB6_48
.LBB6_2097:
	s_movk_i32 s4, 0x80
	v_cmp_eq_u16_e32 vcc, s4, v14
	s_mov_b64 s[4:5], -1
                                        ; implicit-def: $sgpr10
	s_and_saveexec_b64 s[8:9], vcc
; %bb.2098:
	s_mov_b32 s10, 0x7f800001
	s_xor_b64 s[4:5], exec, -1
; %bb.2099:
	s_or_b64 exec, exec, s[8:9]
	s_and_b64 s[4:5], s[4:5], exec
                                        ; implicit-def: $vgpr14
	s_or_saveexec_b64 s[6:7], s[6:7]
	v_mov_b32_e32 v10, s10
	s_xor_b64 exec, exec, s[6:7]
	s_cbranch_execz .LBB6_50
.LBB6_2100:
	v_cmp_ne_u16_e32 vcc, 0, v14
	s_andn2_b64 s[4:5], s[4:5], exec
	s_and_b64 s[8:9], vcc, exec
	v_mov_b32_e32 v10, 0
	s_or_b64 s[4:5], s[4:5], s[8:9]
	s_or_b64 exec, exec, s[6:7]
	s_and_saveexec_b64 s[6:7], s[4:5]
	s_cbranch_execnz .LBB6_51
	s_branch .LBB6_52
.LBB6_2101:
	s_movk_i32 s4, 0x80
	v_cmp_eq_u16_e32 vcc, s4, v14
	s_mov_b64 s[4:5], -1
                                        ; implicit-def: $sgpr10
	s_and_saveexec_b64 s[8:9], vcc
; %bb.2102:
	s_mov_b32 s10, 0x7f800001
	s_xor_b64 s[4:5], exec, -1
; %bb.2103:
	s_or_b64 exec, exec, s[8:9]
	s_and_b64 s[4:5], s[4:5], exec
                                        ; implicit-def: $vgpr14
	s_or_saveexec_b64 s[6:7], s[6:7]
	v_mov_b32_e32 v20, s10
	s_xor_b64 exec, exec, s[6:7]
	s_cbranch_execz .LBB6_54
.LBB6_2104:
	v_cmp_ne_u16_e32 vcc, 0, v14
	s_andn2_b64 s[4:5], s[4:5], exec
	s_and_b64 s[8:9], vcc, exec
	v_mov_b32_e32 v20, 0
	s_or_b64 s[4:5], s[4:5], s[8:9]
	s_or_b64 exec, exec, s[6:7]
	s_and_saveexec_b64 s[6:7], s[4:5]
	s_cbranch_execnz .LBB6_55
	s_branch .LBB6_56
.LBB6_2105:
	s_movk_i32 s4, 0x80
	v_cmp_eq_u16_sdwa s[12:13], v15, s4 src0_sel:BYTE_3 src1_sel:DWORD
	s_mov_b64 s[4:5], -1
                                        ; implicit-def: $sgpr10
	s_and_saveexec_b64 s[8:9], s[12:13]
; %bb.2106:
	s_mov_b32 s10, 0x7f800001
	s_xor_b64 s[4:5], exec, -1
; %bb.2107:
	s_or_b64 exec, exec, s[8:9]
	s_and_b64 s[4:5], s[4:5], exec
	s_or_saveexec_b64 s[6:7], s[6:7]
	v_mov_b32_e32 v10, s10
	s_xor_b64 exec, exec, s[6:7]
	s_cbranch_execz .LBB6_58
.LBB6_2108:
	v_mov_b32_e32 v10, 0
	v_cmp_ne_u16_sdwa s[8:9], v15, v10 src0_sel:BYTE_3 src1_sel:DWORD
	s_andn2_b64 s[4:5], s[4:5], exec
	s_and_b64 s[8:9], s[8:9], exec
	s_or_b64 s[4:5], s[4:5], s[8:9]
	s_or_b64 exec, exec, s[6:7]
	s_and_saveexec_b64 s[6:7], s[4:5]
	s_cbranch_execnz .LBB6_59
	s_branch .LBB6_60
.LBB6_2109:
	s_movk_i32 s4, 0x80
	v_cmp_eq_u16_sdwa s[12:13], v11, s4 src0_sel:BYTE_3 src1_sel:DWORD
	s_mov_b64 s[4:5], -1
                                        ; implicit-def: $sgpr10
	s_and_saveexec_b64 s[8:9], s[12:13]
; %bb.2110:
	s_mov_b32 s10, 0x7f800001
	s_xor_b64 s[4:5], exec, -1
; %bb.2111:
	s_or_b64 exec, exec, s[8:9]
	s_and_b64 s[4:5], s[4:5], exec
	s_or_saveexec_b64 s[6:7], s[6:7]
	v_mov_b32_e32 v14, s10
	s_xor_b64 exec, exec, s[6:7]
	s_cbranch_execz .LBB6_62
.LBB6_2112:
	v_mov_b32_e32 v14, 0
	v_cmp_ne_u16_sdwa s[8:9], v11, v14 src0_sel:BYTE_3 src1_sel:DWORD
	s_andn2_b64 s[4:5], s[4:5], exec
	s_and_b64 s[8:9], s[8:9], exec
	s_or_b64 s[4:5], s[4:5], s[8:9]
	s_or_b64 exec, exec, s[6:7]
	s_and_saveexec_b64 s[6:7], s[4:5]
	s_cbranch_execnz .LBB6_63
	s_branch .LBB6_64
.LBB6_2113:
	s_movk_i32 s4, 0x80
	v_cmp_eq_u16_sdwa s[12:13], v16, s4 src0_sel:BYTE_0 src1_sel:DWORD
	s_mov_b64 s[4:5], -1
                                        ; implicit-def: $sgpr10
	s_and_saveexec_b64 s[8:9], s[12:13]
; %bb.2114:
	s_mov_b32 s10, 0x7f800001
	s_xor_b64 s[4:5], exec, -1
; %bb.2115:
	s_or_b64 exec, exec, s[8:9]
	s_and_b64 s[4:5], s[4:5], exec
	s_or_saveexec_b64 s[6:7], s[6:7]
	v_mov_b32_e32 v10, s10
	s_xor_b64 exec, exec, s[6:7]
	s_cbranch_execz .LBB6_66
.LBB6_2116:
	v_mov_b32_e32 v10, 0
	v_cmp_ne_u16_sdwa s[8:9], v16, v10 src0_sel:BYTE_0 src1_sel:DWORD
	s_andn2_b64 s[4:5], s[4:5], exec
	s_and_b64 s[8:9], s[8:9], exec
	s_or_b64 s[4:5], s[4:5], s[8:9]
	s_or_b64 exec, exec, s[6:7]
	s_and_saveexec_b64 s[6:7], s[4:5]
	s_cbranch_execnz .LBB6_67
	s_branch .LBB6_68
.LBB6_2117:
	s_movk_i32 s4, 0x80
	v_cmp_eq_u16_sdwa s[12:13], v12, s4 src0_sel:BYTE_0 src1_sel:DWORD
	s_mov_b64 s[4:5], -1
                                        ; implicit-def: $sgpr10
	s_and_saveexec_b64 s[8:9], s[12:13]
; %bb.2118:
	s_mov_b32 s10, 0x7f800001
	s_xor_b64 s[4:5], exec, -1
; %bb.2119:
	s_or_b64 exec, exec, s[8:9]
	s_and_b64 s[4:5], s[4:5], exec
	s_or_saveexec_b64 s[6:7], s[6:7]
	v_mov_b32_e32 v11, s10
	s_xor_b64 exec, exec, s[6:7]
	s_cbranch_execz .LBB6_70
.LBB6_2120:
	v_mov_b32_e32 v11, 0
	v_cmp_ne_u16_sdwa s[8:9], v12, v11 src0_sel:BYTE_0 src1_sel:DWORD
	s_andn2_b64 s[4:5], s[4:5], exec
	s_and_b64 s[8:9], s[8:9], exec
	s_or_b64 s[4:5], s[4:5], s[8:9]
	s_or_b64 exec, exec, s[6:7]
	s_and_saveexec_b64 s[6:7], s[4:5]
	s_cbranch_execnz .LBB6_71
	s_branch .LBB6_72
.LBB6_2121:
	s_movk_i32 s4, 0x80
	v_cmp_eq_u16_sdwa s[12:13], v11, s4 src0_sel:BYTE_0 src1_sel:DWORD
	s_mov_b64 s[4:5], -1
                                        ; implicit-def: $sgpr10
	s_and_saveexec_b64 s[8:9], s[12:13]
; %bb.2122:
	s_mov_b32 s10, 0x7f800001
	s_xor_b64 s[4:5], exec, -1
; %bb.2123:
	s_or_b64 exec, exec, s[8:9]
	s_and_b64 s[4:5], s[4:5], exec
	s_or_saveexec_b64 s[6:7], s[6:7]
	v_mov_b32_e32 v10, s10
	s_xor_b64 exec, exec, s[6:7]
	s_cbranch_execz .LBB6_74
.LBB6_2124:
	v_mov_b32_e32 v10, 0
	v_cmp_ne_u16_sdwa s[8:9], v11, v10 src0_sel:BYTE_0 src1_sel:DWORD
	s_andn2_b64 s[4:5], s[4:5], exec
	s_and_b64 s[8:9], s[8:9], exec
	s_or_b64 s[4:5], s[4:5], s[8:9]
	s_or_b64 exec, exec, s[6:7]
	s_and_saveexec_b64 s[6:7], s[4:5]
	s_cbranch_execnz .LBB6_75
	s_branch .LBB6_76
.LBB6_2125:
	s_movk_i32 s4, 0x80
	v_cmp_eq_u16_sdwa s[12:13], v11, s4 src0_sel:BYTE_0 src1_sel:DWORD
	s_mov_b64 s[4:5], -1
                                        ; implicit-def: $sgpr10
	s_and_saveexec_b64 s[8:9], s[12:13]
; %bb.2126:
	s_mov_b32 s10, 0x7f800001
	s_xor_b64 s[4:5], exec, -1
; %bb.2127:
	s_or_b64 exec, exec, s[8:9]
	s_and_b64 s[4:5], s[4:5], exec
	s_or_saveexec_b64 s[6:7], s[6:7]
	v_mov_b32_e32 v14, s10
	s_xor_b64 exec, exec, s[6:7]
	s_cbranch_execz .LBB6_78
.LBB6_2128:
	v_mov_b32_e32 v14, 0
	v_cmp_ne_u16_sdwa s[8:9], v11, v14 src0_sel:BYTE_0 src1_sel:DWORD
	s_andn2_b64 s[4:5], s[4:5], exec
	s_and_b64 s[8:9], s[8:9], exec
	s_or_b64 s[4:5], s[4:5], s[8:9]
	s_or_b64 exec, exec, s[6:7]
	s_and_saveexec_b64 s[6:7], s[4:5]
	s_cbranch_execnz .LBB6_79
	s_branch .LBB6_80
.LBB6_2129:
	s_movk_i32 s4, 0x80
	v_cmp_eq_u16_e32 vcc, s4, v11
	s_mov_b64 s[4:5], -1
                                        ; implicit-def: $sgpr10
	s_and_saveexec_b64 s[8:9], vcc
; %bb.2130:
	s_mov_b32 s10, 0x7f800001
	s_xor_b64 s[4:5], exec, -1
; %bb.2131:
	s_or_b64 exec, exec, s[8:9]
	s_and_b64 s[4:5], s[4:5], exec
                                        ; implicit-def: $vgpr11
	s_or_saveexec_b64 s[6:7], s[6:7]
	v_mov_b32_e32 v10, s10
	s_xor_b64 exec, exec, s[6:7]
	s_cbranch_execz .LBB6_82
.LBB6_2132:
	v_cmp_ne_u16_e32 vcc, 0, v11
	s_andn2_b64 s[4:5], s[4:5], exec
	s_and_b64 s[8:9], vcc, exec
	v_mov_b32_e32 v10, 0
	s_or_b64 s[4:5], s[4:5], s[8:9]
	s_or_b64 exec, exec, s[6:7]
	s_and_saveexec_b64 s[6:7], s[4:5]
	s_cbranch_execnz .LBB6_83
	s_branch .LBB6_84
.LBB6_2133:
	s_movk_i32 s4, 0x80
	v_cmp_eq_u16_e32 vcc, s4, v11
	s_mov_b64 s[4:5], -1
                                        ; implicit-def: $sgpr10
	s_and_saveexec_b64 s[8:9], vcc
; %bb.2134:
	s_mov_b32 s10, 0x7f800001
	s_xor_b64 s[4:5], exec, -1
; %bb.2135:
	s_or_b64 exec, exec, s[8:9]
	s_and_b64 s[4:5], s[4:5], exec
                                        ; implicit-def: $vgpr11
	s_or_saveexec_b64 s[6:7], s[6:7]
	v_mov_b32_e32 v14, s10
	s_xor_b64 exec, exec, s[6:7]
	s_cbranch_execz .LBB6_86
.LBB6_2136:
	v_cmp_ne_u16_e32 vcc, 0, v11
	s_andn2_b64 s[4:5], s[4:5], exec
	s_and_b64 s[8:9], vcc, exec
	v_mov_b32_e32 v14, 0
	s_or_b64 s[4:5], s[4:5], s[8:9]
	s_or_b64 exec, exec, s[6:7]
	s_and_saveexec_b64 s[6:7], s[4:5]
	s_cbranch_execnz .LBB6_87
	s_branch .LBB6_88
.LBB6_2137:
	s_movk_i32 s4, 0x80
	v_cmp_eq_u16_sdwa s[12:13], v16, s4 src0_sel:BYTE_3 src1_sel:DWORD
	s_mov_b64 s[4:5], -1
                                        ; implicit-def: $sgpr10
	s_and_saveexec_b64 s[8:9], s[12:13]
; %bb.2138:
	s_mov_b32 s10, 0x7f800001
	s_xor_b64 s[4:5], exec, -1
; %bb.2139:
	s_or_b64 exec, exec, s[8:9]
	s_and_b64 s[4:5], s[4:5], exec
	s_or_saveexec_b64 s[6:7], s[6:7]
	v_mov_b32_e32 v10, s10
	s_xor_b64 exec, exec, s[6:7]
	s_cbranch_execz .LBB6_90
.LBB6_2140:
	v_mov_b32_e32 v10, 0
	v_cmp_ne_u16_sdwa s[8:9], v16, v10 src0_sel:BYTE_3 src1_sel:DWORD
	s_andn2_b64 s[4:5], s[4:5], exec
	s_and_b64 s[8:9], s[8:9], exec
	s_or_b64 s[4:5], s[4:5], s[8:9]
	s_or_b64 exec, exec, s[6:7]
	s_and_saveexec_b64 s[6:7], s[4:5]
	s_cbranch_execnz .LBB6_91
	s_branch .LBB6_92
.LBB6_2141:
	s_movk_i32 s4, 0x80
	v_cmp_eq_u16_sdwa s[12:13], v12, s4 src0_sel:BYTE_3 src1_sel:DWORD
	s_mov_b64 s[4:5], -1
                                        ; implicit-def: $sgpr10
	s_and_saveexec_b64 s[8:9], s[12:13]
; %bb.2142:
	s_mov_b32 s10, 0x7f800001
	s_xor_b64 s[4:5], exec, -1
; %bb.2143:
	s_or_b64 exec, exec, s[8:9]
	s_and_b64 s[4:5], s[4:5], exec
	s_or_saveexec_b64 s[6:7], s[6:7]
	v_mov_b32_e32 v11, s10
	s_xor_b64 exec, exec, s[6:7]
	s_cbranch_execz .LBB6_94
.LBB6_2144:
	v_mov_b32_e32 v11, 0
	v_cmp_ne_u16_sdwa s[8:9], v12, v11 src0_sel:BYTE_3 src1_sel:DWORD
	s_andn2_b64 s[4:5], s[4:5], exec
	s_and_b64 s[8:9], s[8:9], exec
	s_or_b64 s[4:5], s[4:5], s[8:9]
	s_or_b64 exec, exec, s[6:7]
	s_and_saveexec_b64 s[6:7], s[4:5]
	s_cbranch_execnz .LBB6_95
	s_branch .LBB6_96
.LBB6_2145:
	s_movk_i32 s4, 0x80
	v_cmp_eq_u16_sdwa s[12:13], v17, s4 src0_sel:BYTE_0 src1_sel:DWORD
	s_mov_b64 s[4:5], -1
                                        ; implicit-def: $sgpr10
	s_and_saveexec_b64 s[8:9], s[12:13]
; %bb.2146:
	s_mov_b32 s10, 0x7f800001
	s_xor_b64 s[4:5], exec, -1
; %bb.2147:
	s_or_b64 exec, exec, s[8:9]
	s_and_b64 s[4:5], s[4:5], exec
	s_or_saveexec_b64 s[6:7], s[6:7]
	v_mov_b32_e32 v10, s10
	s_xor_b64 exec, exec, s[6:7]
	s_cbranch_execz .LBB6_98
.LBB6_2148:
	v_mov_b32_e32 v10, 0
	v_cmp_ne_u16_sdwa s[8:9], v17, v10 src0_sel:BYTE_0 src1_sel:DWORD
	s_andn2_b64 s[4:5], s[4:5], exec
	s_and_b64 s[8:9], s[8:9], exec
	s_or_b64 s[4:5], s[4:5], s[8:9]
	s_or_b64 exec, exec, s[6:7]
	s_and_saveexec_b64 s[6:7], s[4:5]
	s_cbranch_execnz .LBB6_99
	s_branch .LBB6_100
.LBB6_2149:
	s_movk_i32 s4, 0x80
	v_cmp_eq_u16_sdwa s[12:13], v13, s4 src0_sel:BYTE_0 src1_sel:DWORD
	s_mov_b64 s[4:5], -1
                                        ; implicit-def: $sgpr10
	s_and_saveexec_b64 s[8:9], s[12:13]
; %bb.2150:
	s_mov_b32 s10, 0x7f800001
	s_xor_b64 s[4:5], exec, -1
; %bb.2151:
	s_or_b64 exec, exec, s[8:9]
	s_and_b64 s[4:5], s[4:5], exec
	s_or_saveexec_b64 s[6:7], s[6:7]
	v_mov_b32_e32 v11, s10
	s_xor_b64 exec, exec, s[6:7]
	s_cbranch_execz .LBB6_102
.LBB6_2152:
	v_mov_b32_e32 v11, 0
	v_cmp_ne_u16_sdwa s[8:9], v13, v11 src0_sel:BYTE_0 src1_sel:DWORD
	s_andn2_b64 s[4:5], s[4:5], exec
	s_and_b64 s[8:9], s[8:9], exec
	s_or_b64 s[4:5], s[4:5], s[8:9]
	s_or_b64 exec, exec, s[6:7]
	s_and_saveexec_b64 s[6:7], s[4:5]
	s_cbranch_execnz .LBB6_103
	s_branch .LBB6_104
.LBB6_2153:
	s_movk_i32 s4, 0x80
	v_cmp_eq_u16_sdwa s[12:13], v11, s4 src0_sel:BYTE_0 src1_sel:DWORD
	s_mov_b64 s[4:5], -1
                                        ; implicit-def: $sgpr10
	s_and_saveexec_b64 s[8:9], s[12:13]
; %bb.2154:
	s_mov_b32 s10, 0x7f800001
	s_xor_b64 s[4:5], exec, -1
; %bb.2155:
	s_or_b64 exec, exec, s[8:9]
	s_and_b64 s[4:5], s[4:5], exec
	s_or_saveexec_b64 s[6:7], s[6:7]
	v_mov_b32_e32 v10, s10
	s_xor_b64 exec, exec, s[6:7]
	s_cbranch_execz .LBB6_106
.LBB6_2156:
	v_mov_b32_e32 v10, 0
	v_cmp_ne_u16_sdwa s[8:9], v11, v10 src0_sel:BYTE_0 src1_sel:DWORD
	s_andn2_b64 s[4:5], s[4:5], exec
	s_and_b64 s[8:9], s[8:9], exec
	s_or_b64 s[4:5], s[4:5], s[8:9]
	s_or_b64 exec, exec, s[6:7]
	s_and_saveexec_b64 s[6:7], s[4:5]
	s_cbranch_execnz .LBB6_107
	s_branch .LBB6_108
.LBB6_2157:
	s_movk_i32 s4, 0x80
	v_cmp_eq_u16_sdwa s[12:13], v11, s4 src0_sel:BYTE_0 src1_sel:DWORD
	s_mov_b64 s[4:5], -1
                                        ; implicit-def: $sgpr10
	s_and_saveexec_b64 s[8:9], s[12:13]
; %bb.2158:
	s_mov_b32 s10, 0x7f800001
	s_xor_b64 s[4:5], exec, -1
; %bb.2159:
	s_or_b64 exec, exec, s[8:9]
	s_and_b64 s[4:5], s[4:5], exec
	s_or_saveexec_b64 s[6:7], s[6:7]
	v_mov_b32_e32 v12, s10
	s_xor_b64 exec, exec, s[6:7]
	s_cbranch_execz .LBB6_110
.LBB6_2160:
	v_mov_b32_e32 v12, 0
	v_cmp_ne_u16_sdwa s[8:9], v11, v12 src0_sel:BYTE_0 src1_sel:DWORD
	s_andn2_b64 s[4:5], s[4:5], exec
	s_and_b64 s[8:9], s[8:9], exec
	s_or_b64 s[4:5], s[4:5], s[8:9]
	s_or_b64 exec, exec, s[6:7]
	s_and_saveexec_b64 s[6:7], s[4:5]
	s_cbranch_execnz .LBB6_111
	s_branch .LBB6_112
.LBB6_2161:
	s_movk_i32 s4, 0x80
	v_cmp_eq_u16_e32 vcc, s4, v11
	s_mov_b64 s[4:5], -1
                                        ; implicit-def: $sgpr10
	s_and_saveexec_b64 s[8:9], vcc
; %bb.2162:
	s_mov_b32 s10, 0x7f800001
	s_xor_b64 s[4:5], exec, -1
; %bb.2163:
	s_or_b64 exec, exec, s[8:9]
	s_and_b64 s[4:5], s[4:5], exec
                                        ; implicit-def: $vgpr11
	s_or_saveexec_b64 s[6:7], s[6:7]
	v_mov_b32_e32 v10, s10
	s_xor_b64 exec, exec, s[6:7]
	s_cbranch_execz .LBB6_114
.LBB6_2164:
	v_cmp_ne_u16_e32 vcc, 0, v11
	s_andn2_b64 s[4:5], s[4:5], exec
	s_and_b64 s[8:9], vcc, exec
	v_mov_b32_e32 v10, 0
	s_or_b64 s[4:5], s[4:5], s[8:9]
	s_or_b64 exec, exec, s[6:7]
	s_and_saveexec_b64 s[6:7], s[4:5]
	s_cbranch_execnz .LBB6_115
	s_branch .LBB6_116
.LBB6_2165:
	s_movk_i32 s4, 0x80
	v_cmp_eq_u16_e32 vcc, s4, v11
	s_mov_b64 s[4:5], -1
                                        ; implicit-def: $sgpr10
	s_and_saveexec_b64 s[8:9], vcc
; %bb.2166:
	s_mov_b32 s10, 0x7f800001
	s_xor_b64 s[4:5], exec, -1
; %bb.2167:
	s_or_b64 exec, exec, s[8:9]
	s_and_b64 s[4:5], s[4:5], exec
                                        ; implicit-def: $vgpr11
	s_or_saveexec_b64 s[6:7], s[6:7]
	v_mov_b32_e32 v12, s10
	s_xor_b64 exec, exec, s[6:7]
	s_cbranch_execz .LBB6_118
.LBB6_2168:
	v_cmp_ne_u16_e32 vcc, 0, v11
	s_andn2_b64 s[4:5], s[4:5], exec
	s_and_b64 s[8:9], vcc, exec
	v_mov_b32_e32 v12, 0
	s_or_b64 s[4:5], s[4:5], s[8:9]
	s_or_b64 exec, exec, s[6:7]
	s_and_saveexec_b64 s[6:7], s[4:5]
	s_cbranch_execnz .LBB6_119
	s_branch .LBB6_120
.LBB6_2169:
	s_movk_i32 s4, 0x80
	v_cmp_eq_u16_sdwa s[12:13], v17, s4 src0_sel:BYTE_3 src1_sel:DWORD
	s_mov_b64 s[4:5], -1
                                        ; implicit-def: $sgpr10
	s_and_saveexec_b64 s[8:9], s[12:13]
; %bb.2170:
	s_mov_b32 s10, 0x7f800001
	s_xor_b64 s[4:5], exec, -1
; %bb.2171:
	s_or_b64 exec, exec, s[8:9]
	s_and_b64 s[4:5], s[4:5], exec
	s_or_saveexec_b64 s[6:7], s[6:7]
	v_mov_b32_e32 v10, s10
	s_xor_b64 exec, exec, s[6:7]
	s_cbranch_execz .LBB6_122
.LBB6_2172:
	v_mov_b32_e32 v10, 0
	v_cmp_ne_u16_sdwa s[8:9], v17, v10 src0_sel:BYTE_3 src1_sel:DWORD
	s_andn2_b64 s[4:5], s[4:5], exec
	s_and_b64 s[8:9], s[8:9], exec
	s_or_b64 s[4:5], s[4:5], s[8:9]
	s_or_b64 exec, exec, s[6:7]
	s_and_saveexec_b64 s[6:7], s[4:5]
	s_cbranch_execnz .LBB6_123
	s_branch .LBB6_124
.LBB6_2173:
	s_movk_i32 s4, 0x80
	v_cmp_eq_u16_sdwa s[12:13], v13, s4 src0_sel:BYTE_3 src1_sel:DWORD
	s_mov_b64 s[4:5], -1
                                        ; implicit-def: $sgpr10
	s_and_saveexec_b64 s[8:9], s[12:13]
; %bb.2174:
	s_mov_b32 s10, 0x7f800001
	s_xor_b64 s[4:5], exec, -1
; %bb.2175:
	s_or_b64 exec, exec, s[8:9]
	s_and_b64 s[4:5], s[4:5], exec
	s_or_saveexec_b64 s[6:7], s[6:7]
	v_mov_b32_e32 v11, s10
	s_xor_b64 exec, exec, s[6:7]
	s_cbranch_execz .LBB6_126
.LBB6_2176:
	v_mov_b32_e32 v11, 0
	v_cmp_ne_u16_sdwa s[8:9], v13, v11 src0_sel:BYTE_3 src1_sel:DWORD
	s_andn2_b64 s[4:5], s[4:5], exec
	s_and_b64 s[8:9], s[8:9], exec
	s_or_b64 s[4:5], s[4:5], s[8:9]
	s_or_b64 exec, exec, s[6:7]
	s_and_saveexec_b64 s[6:7], s[4:5]
	s_cbranch_execnz .LBB6_127
	s_branch .LBB6_128
.LBB6_2177:
	s_movk_i32 s4, 0x80
	v_cmp_eq_u16_sdwa s[12:13], v6, s4 src0_sel:BYTE_0 src1_sel:DWORD
	s_mov_b64 s[4:5], -1
                                        ; implicit-def: $sgpr10
	s_and_saveexec_b64 s[8:9], s[12:13]
; %bb.2178:
	s_mov_b32 s10, 0x7f800001
	s_xor_b64 s[4:5], exec, -1
; %bb.2179:
	s_or_b64 exec, exec, s[8:9]
	s_and_b64 s[4:5], s[4:5], exec
	s_or_saveexec_b64 s[6:7], s[6:7]
	v_mov_b32_e32 v10, s10
	s_xor_b64 exec, exec, s[6:7]
	s_cbranch_execz .LBB6_130
.LBB6_2180:
	v_mov_b32_e32 v10, 0
	v_cmp_ne_u16_sdwa s[8:9], v6, v10 src0_sel:BYTE_0 src1_sel:DWORD
	s_andn2_b64 s[4:5], s[4:5], exec
	s_and_b64 s[8:9], s[8:9], exec
	s_or_b64 s[4:5], s[4:5], s[8:9]
	s_or_b64 exec, exec, s[6:7]
	s_and_saveexec_b64 s[6:7], s[4:5]
	s_cbranch_execnz .LBB6_131
	s_branch .LBB6_132
.LBB6_2181:
	s_movk_i32 s4, 0x80
	v_cmp_eq_u16_sdwa s[12:13], v2, s4 src0_sel:BYTE_0 src1_sel:DWORD
	s_mov_b64 s[4:5], -1
                                        ; implicit-def: $sgpr10
	s_and_saveexec_b64 s[8:9], s[12:13]
; %bb.2182:
	s_mov_b32 s10, 0x7f800001
	s_xor_b64 s[4:5], exec, -1
; %bb.2183:
	s_or_b64 exec, exec, s[8:9]
	s_and_b64 s[4:5], s[4:5], exec
	s_or_saveexec_b64 s[6:7], s[6:7]
	v_mov_b32_e32 v11, s10
	s_xor_b64 exec, exec, s[6:7]
	s_cbranch_execz .LBB6_134
.LBB6_2184:
	v_mov_b32_e32 v11, 0
	v_cmp_ne_u16_sdwa s[8:9], v2, v11 src0_sel:BYTE_0 src1_sel:DWORD
	s_andn2_b64 s[4:5], s[4:5], exec
	s_and_b64 s[8:9], s[8:9], exec
	s_or_b64 s[4:5], s[4:5], s[8:9]
	s_or_b64 exec, exec, s[6:7]
	s_and_saveexec_b64 s[6:7], s[4:5]
	s_cbranch_execnz .LBB6_135
	s_branch .LBB6_136
.LBB6_2185:
	s_movk_i32 s4, 0x80
	v_cmp_eq_u16_sdwa s[12:13], v11, s4 src0_sel:BYTE_0 src1_sel:DWORD
	s_mov_b64 s[4:5], -1
                                        ; implicit-def: $sgpr10
	s_and_saveexec_b64 s[8:9], s[12:13]
; %bb.2186:
	s_mov_b32 s10, 0x7f800001
	s_xor_b64 s[4:5], exec, -1
; %bb.2187:
	s_or_b64 exec, exec, s[8:9]
	s_and_b64 s[4:5], s[4:5], exec
	s_or_saveexec_b64 s[6:7], s[6:7]
	v_mov_b32_e32 v10, s10
	s_xor_b64 exec, exec, s[6:7]
	s_cbranch_execz .LBB6_138
.LBB6_2188:
	v_mov_b32_e32 v10, 0
	v_cmp_ne_u16_sdwa s[8:9], v11, v10 src0_sel:BYTE_0 src1_sel:DWORD
	s_andn2_b64 s[4:5], s[4:5], exec
	s_and_b64 s[8:9], s[8:9], exec
	s_or_b64 s[4:5], s[4:5], s[8:9]
	s_or_b64 exec, exec, s[6:7]
	s_and_saveexec_b64 s[6:7], s[4:5]
	s_cbranch_execnz .LBB6_139
	s_branch .LBB6_140
.LBB6_2189:
	s_movk_i32 s4, 0x80
	v_cmp_eq_u16_sdwa s[12:13], v11, s4 src0_sel:BYTE_0 src1_sel:DWORD
	s_mov_b64 s[4:5], -1
                                        ; implicit-def: $sgpr10
	s_and_saveexec_b64 s[8:9], s[12:13]
; %bb.2190:
	s_mov_b32 s10, 0x7f800001
	s_xor_b64 s[4:5], exec, -1
; %bb.2191:
	s_or_b64 exec, exec, s[8:9]
	s_and_b64 s[4:5], s[4:5], exec
	s_or_saveexec_b64 s[6:7], s[6:7]
	v_mov_b32_e32 v12, s10
	s_xor_b64 exec, exec, s[6:7]
	s_cbranch_execz .LBB6_142
.LBB6_2192:
	v_mov_b32_e32 v12, 0
	v_cmp_ne_u16_sdwa s[8:9], v11, v12 src0_sel:BYTE_0 src1_sel:DWORD
	s_andn2_b64 s[4:5], s[4:5], exec
	s_and_b64 s[8:9], s[8:9], exec
	s_or_b64 s[4:5], s[4:5], s[8:9]
	s_or_b64 exec, exec, s[6:7]
	s_and_saveexec_b64 s[6:7], s[4:5]
	s_cbranch_execnz .LBB6_143
	s_branch .LBB6_144
.LBB6_2193:
	s_movk_i32 s4, 0x80
	v_cmp_eq_u16_e32 vcc, s4, v11
	s_mov_b64 s[4:5], -1
                                        ; implicit-def: $sgpr10
	s_and_saveexec_b64 s[8:9], vcc
; %bb.2194:
	s_mov_b32 s10, 0x7f800001
	s_xor_b64 s[4:5], exec, -1
; %bb.2195:
	s_or_b64 exec, exec, s[8:9]
	s_and_b64 s[4:5], s[4:5], exec
                                        ; implicit-def: $vgpr11
	s_or_saveexec_b64 s[6:7], s[6:7]
	v_mov_b32_e32 v10, s10
	s_xor_b64 exec, exec, s[6:7]
	s_cbranch_execz .LBB6_146
.LBB6_2196:
	v_cmp_ne_u16_e32 vcc, 0, v11
	s_andn2_b64 s[4:5], s[4:5], exec
	s_and_b64 s[8:9], vcc, exec
	v_mov_b32_e32 v10, 0
	s_or_b64 s[4:5], s[4:5], s[8:9]
	s_or_b64 exec, exec, s[6:7]
	s_and_saveexec_b64 s[6:7], s[4:5]
	s_cbranch_execnz .LBB6_147
	s_branch .LBB6_148
.LBB6_2197:
	s_movk_i32 s4, 0x80
	v_cmp_eq_u16_e32 vcc, s4, v11
	s_mov_b64 s[4:5], -1
                                        ; implicit-def: $sgpr10
	s_and_saveexec_b64 s[8:9], vcc
; %bb.2198:
	s_mov_b32 s10, 0x7f800001
	s_xor_b64 s[4:5], exec, -1
; %bb.2199:
	s_or_b64 exec, exec, s[8:9]
	s_and_b64 s[4:5], s[4:5], exec
                                        ; implicit-def: $vgpr11
	s_or_saveexec_b64 s[6:7], s[6:7]
	v_mov_b32_e32 v12, s10
	s_xor_b64 exec, exec, s[6:7]
	s_cbranch_execz .LBB6_150
.LBB6_2200:
	v_cmp_ne_u16_e32 vcc, 0, v11
	s_andn2_b64 s[4:5], s[4:5], exec
	s_and_b64 s[8:9], vcc, exec
	v_mov_b32_e32 v12, 0
	s_or_b64 s[4:5], s[4:5], s[8:9]
	s_or_b64 exec, exec, s[6:7]
	s_and_saveexec_b64 s[6:7], s[4:5]
	s_cbranch_execnz .LBB6_151
	s_branch .LBB6_152
.LBB6_2201:
	s_movk_i32 s4, 0x80
	v_cmp_eq_u16_sdwa s[12:13], v6, s4 src0_sel:BYTE_3 src1_sel:DWORD
	s_mov_b64 s[4:5], -1
                                        ; implicit-def: $sgpr10
	s_and_saveexec_b64 s[8:9], s[12:13]
; %bb.2202:
	s_mov_b32 s10, 0x7f800001
	s_xor_b64 s[4:5], exec, -1
; %bb.2203:
	s_or_b64 exec, exec, s[8:9]
	s_and_b64 s[4:5], s[4:5], exec
	s_or_saveexec_b64 s[6:7], s[6:7]
	v_mov_b32_e32 v10, s10
	s_xor_b64 exec, exec, s[6:7]
	s_cbranch_execz .LBB6_154
.LBB6_2204:
	v_mov_b32_e32 v10, 0
	v_cmp_ne_u16_sdwa s[8:9], v6, v10 src0_sel:BYTE_3 src1_sel:DWORD
	s_andn2_b64 s[4:5], s[4:5], exec
	s_and_b64 s[8:9], s[8:9], exec
	s_or_b64 s[4:5], s[4:5], s[8:9]
	s_or_b64 exec, exec, s[6:7]
	s_and_saveexec_b64 s[6:7], s[4:5]
	s_cbranch_execnz .LBB6_155
	s_branch .LBB6_156
.LBB6_2205:
	s_movk_i32 s4, 0x80
	v_cmp_eq_u16_sdwa s[12:13], v2, s4 src0_sel:BYTE_3 src1_sel:DWORD
	s_mov_b64 s[4:5], -1
                                        ; implicit-def: $sgpr10
	s_and_saveexec_b64 s[8:9], s[12:13]
; %bb.2206:
	s_mov_b32 s10, 0x7f800001
	s_xor_b64 s[4:5], exec, -1
; %bb.2207:
	s_or_b64 exec, exec, s[8:9]
	s_and_b64 s[4:5], s[4:5], exec
	s_or_saveexec_b64 s[6:7], s[6:7]
	v_mov_b32_e32 v6, s10
	s_xor_b64 exec, exec, s[6:7]
	s_cbranch_execz .LBB6_158
.LBB6_2208:
	v_mov_b32_e32 v6, 0
	v_cmp_ne_u16_sdwa s[8:9], v2, v6 src0_sel:BYTE_3 src1_sel:DWORD
	s_andn2_b64 s[4:5], s[4:5], exec
	s_and_b64 s[8:9], s[8:9], exec
	s_or_b64 s[4:5], s[4:5], s[8:9]
	s_or_b64 exec, exec, s[6:7]
	s_and_saveexec_b64 s[6:7], s[4:5]
	s_cbranch_execnz .LBB6_159
	s_branch .LBB6_160
.LBB6_2209:
	s_movk_i32 s4, 0x80
	v_cmp_eq_u16_sdwa s[12:13], v7, s4 src0_sel:BYTE_0 src1_sel:DWORD
	s_mov_b64 s[4:5], -1
                                        ; implicit-def: $sgpr10
	s_and_saveexec_b64 s[8:9], s[12:13]
; %bb.2210:
	s_mov_b32 s10, 0x7f800001
	s_xor_b64 s[4:5], exec, -1
; %bb.2211:
	s_or_b64 exec, exec, s[8:9]
	s_and_b64 s[4:5], s[4:5], exec
	s_or_saveexec_b64 s[6:7], s[6:7]
	v_mov_b32_e32 v2, s10
	s_xor_b64 exec, exec, s[6:7]
	s_cbranch_execz .LBB6_162
.LBB6_2212:
	v_mov_b32_e32 v2, 0
	v_cmp_ne_u16_sdwa s[8:9], v7, v2 src0_sel:BYTE_0 src1_sel:DWORD
	s_andn2_b64 s[4:5], s[4:5], exec
	s_and_b64 s[8:9], s[8:9], exec
	s_or_b64 s[4:5], s[4:5], s[8:9]
	s_or_b64 exec, exec, s[6:7]
	s_and_saveexec_b64 s[6:7], s[4:5]
	s_cbranch_execnz .LBB6_163
	s_branch .LBB6_164
.LBB6_2213:
	s_movk_i32 s4, 0x80
	v_cmp_eq_u16_sdwa s[12:13], v3, s4 src0_sel:BYTE_0 src1_sel:DWORD
	s_mov_b64 s[4:5], -1
                                        ; implicit-def: $sgpr10
	s_and_saveexec_b64 s[8:9], s[12:13]
; %bb.2214:
	s_mov_b32 s10, 0x7f800001
	s_xor_b64 s[4:5], exec, -1
; %bb.2215:
	s_or_b64 exec, exec, s[8:9]
	s_and_b64 s[4:5], s[4:5], exec
	s_or_saveexec_b64 s[6:7], s[6:7]
	v_mov_b32_e32 v6, s10
	s_xor_b64 exec, exec, s[6:7]
	s_cbranch_execz .LBB6_166
.LBB6_2216:
	v_mov_b32_e32 v6, 0
	v_cmp_ne_u16_sdwa s[8:9], v3, v6 src0_sel:BYTE_0 src1_sel:DWORD
	s_andn2_b64 s[4:5], s[4:5], exec
	s_and_b64 s[8:9], s[8:9], exec
	s_or_b64 s[4:5], s[4:5], s[8:9]
	s_or_b64 exec, exec, s[6:7]
	s_and_saveexec_b64 s[6:7], s[4:5]
	s_cbranch_execnz .LBB6_167
	s_branch .LBB6_168
.LBB6_2217:
	s_movk_i32 s4, 0x80
	v_cmp_eq_u16_sdwa s[12:13], v6, s4 src0_sel:BYTE_0 src1_sel:DWORD
	s_mov_b64 s[4:5], -1
                                        ; implicit-def: $sgpr10
	s_and_saveexec_b64 s[8:9], s[12:13]
; %bb.2218:
	s_mov_b32 s10, 0x7f800001
	s_xor_b64 s[4:5], exec, -1
; %bb.2219:
	s_or_b64 exec, exec, s[8:9]
	s_and_b64 s[4:5], s[4:5], exec
	s_or_saveexec_b64 s[6:7], s[6:7]
	v_mov_b32_e32 v2, s10
	s_xor_b64 exec, exec, s[6:7]
	s_cbranch_execz .LBB6_170
.LBB6_2220:
	v_mov_b32_e32 v2, 0
	v_cmp_ne_u16_sdwa s[8:9], v6, v2 src0_sel:BYTE_0 src1_sel:DWORD
	s_andn2_b64 s[4:5], s[4:5], exec
	s_and_b64 s[8:9], s[8:9], exec
	s_or_b64 s[4:5], s[4:5], s[8:9]
	s_or_b64 exec, exec, s[6:7]
	s_and_saveexec_b64 s[6:7], s[4:5]
	s_cbranch_execnz .LBB6_171
	s_branch .LBB6_172
.LBB6_2221:
	s_movk_i32 s4, 0x80
	v_cmp_eq_u16_sdwa s[12:13], v6, s4 src0_sel:BYTE_0 src1_sel:DWORD
	s_mov_b64 s[4:5], -1
                                        ; implicit-def: $sgpr10
	s_and_saveexec_b64 s[8:9], s[12:13]
; %bb.2222:
	s_mov_b32 s10, 0x7f800001
	s_xor_b64 s[4:5], exec, -1
; %bb.2223:
	s_or_b64 exec, exec, s[8:9]
	s_and_b64 s[4:5], s[4:5], exec
	s_or_saveexec_b64 s[6:7], s[6:7]
	v_mov_b32_e32 v10, s10
	s_xor_b64 exec, exec, s[6:7]
	s_cbranch_execz .LBB6_174
.LBB6_2224:
	v_mov_b32_e32 v10, 0
	v_cmp_ne_u16_sdwa s[8:9], v6, v10 src0_sel:BYTE_0 src1_sel:DWORD
	s_andn2_b64 s[4:5], s[4:5], exec
	s_and_b64 s[8:9], s[8:9], exec
	s_or_b64 s[4:5], s[4:5], s[8:9]
	s_or_b64 exec, exec, s[6:7]
	s_and_saveexec_b64 s[6:7], s[4:5]
	s_cbranch_execnz .LBB6_175
	s_branch .LBB6_176
.LBB6_2225:
	s_movk_i32 s4, 0x80
	v_cmp_eq_u16_e32 vcc, s4, v6
	s_mov_b64 s[4:5], -1
                                        ; implicit-def: $sgpr10
	s_and_saveexec_b64 s[8:9], vcc
; %bb.2226:
	s_mov_b32 s10, 0x7f800001
	s_xor_b64 s[4:5], exec, -1
; %bb.2227:
	s_or_b64 exec, exec, s[8:9]
	s_and_b64 s[4:5], s[4:5], exec
                                        ; implicit-def: $vgpr6
	s_or_saveexec_b64 s[6:7], s[6:7]
	v_mov_b32_e32 v2, s10
	s_xor_b64 exec, exec, s[6:7]
	s_cbranch_execz .LBB6_178
.LBB6_2228:
	v_cmp_ne_u16_e32 vcc, 0, v6
	s_andn2_b64 s[4:5], s[4:5], exec
	s_and_b64 s[8:9], vcc, exec
	v_mov_b32_e32 v2, 0
	s_or_b64 s[4:5], s[4:5], s[8:9]
	s_or_b64 exec, exec, s[6:7]
	s_and_saveexec_b64 s[6:7], s[4:5]
	s_cbranch_execnz .LBB6_179
	s_branch .LBB6_180
.LBB6_2229:
	s_movk_i32 s4, 0x80
	v_cmp_eq_u16_e32 vcc, s4, v6
	s_mov_b64 s[4:5], -1
                                        ; implicit-def: $sgpr10
	s_and_saveexec_b64 s[8:9], vcc
; %bb.2230:
	s_mov_b32 s10, 0x7f800001
	s_xor_b64 s[4:5], exec, -1
; %bb.2231:
	s_or_b64 exec, exec, s[8:9]
	s_and_b64 s[4:5], s[4:5], exec
                                        ; implicit-def: $vgpr6
	s_or_saveexec_b64 s[6:7], s[6:7]
	v_mov_b32_e32 v10, s10
	s_xor_b64 exec, exec, s[6:7]
	s_cbranch_execz .LBB6_182
.LBB6_2232:
	v_cmp_ne_u16_e32 vcc, 0, v6
	s_andn2_b64 s[4:5], s[4:5], exec
	s_and_b64 s[8:9], vcc, exec
	v_mov_b32_e32 v10, 0
	s_or_b64 s[4:5], s[4:5], s[8:9]
	s_or_b64 exec, exec, s[6:7]
	s_and_saveexec_b64 s[6:7], s[4:5]
	s_cbranch_execnz .LBB6_183
	s_branch .LBB6_184
.LBB6_2233:
	s_movk_i32 s4, 0x80
	v_cmp_eq_u16_sdwa s[12:13], v7, s4 src0_sel:BYTE_3 src1_sel:DWORD
	s_mov_b64 s[4:5], -1
                                        ; implicit-def: $sgpr10
	s_and_saveexec_b64 s[8:9], s[12:13]
; %bb.2234:
	s_mov_b32 s10, 0x7f800001
	s_xor_b64 s[4:5], exec, -1
; %bb.2235:
	s_or_b64 exec, exec, s[8:9]
	s_and_b64 s[4:5], s[4:5], exec
	s_or_saveexec_b64 s[6:7], s[6:7]
	v_mov_b32_e32 v2, s10
	s_xor_b64 exec, exec, s[6:7]
	s_cbranch_execz .LBB6_186
.LBB6_2236:
	v_mov_b32_e32 v2, 0
	v_cmp_ne_u16_sdwa s[8:9], v7, v2 src0_sel:BYTE_3 src1_sel:DWORD
	s_andn2_b64 s[4:5], s[4:5], exec
	s_and_b64 s[8:9], s[8:9], exec
	s_or_b64 s[4:5], s[4:5], s[8:9]
	s_or_b64 exec, exec, s[6:7]
	s_and_saveexec_b64 s[6:7], s[4:5]
	s_cbranch_execnz .LBB6_187
	s_branch .LBB6_188
.LBB6_2237:
	s_movk_i32 s4, 0x80
	v_cmp_eq_u16_sdwa s[12:13], v3, s4 src0_sel:BYTE_3 src1_sel:DWORD
	s_mov_b64 s[4:5], -1
                                        ; implicit-def: $sgpr10
	s_and_saveexec_b64 s[8:9], s[12:13]
; %bb.2238:
	s_mov_b32 s10, 0x7f800001
	s_xor_b64 s[4:5], exec, -1
; %bb.2239:
	s_or_b64 exec, exec, s[8:9]
	s_and_b64 s[4:5], s[4:5], exec
	s_or_saveexec_b64 s[6:7], s[6:7]
	v_mov_b32_e32 v6, s10
	s_xor_b64 exec, exec, s[6:7]
	s_cbranch_execz .LBB6_190
.LBB6_2240:
	v_mov_b32_e32 v6, 0
	v_cmp_ne_u16_sdwa s[8:9], v3, v6 src0_sel:BYTE_3 src1_sel:DWORD
	s_andn2_b64 s[4:5], s[4:5], exec
	s_and_b64 s[8:9], s[8:9], exec
	s_or_b64 s[4:5], s[4:5], s[8:9]
	s_or_b64 exec, exec, s[6:7]
	s_and_saveexec_b64 s[6:7], s[4:5]
	s_cbranch_execnz .LBB6_191
	s_branch .LBB6_192
.LBB6_2241:
	s_movk_i32 s4, 0x80
	v_cmp_eq_u16_sdwa s[12:13], v8, s4 src0_sel:BYTE_0 src1_sel:DWORD
	s_mov_b64 s[4:5], -1
                                        ; implicit-def: $sgpr10
	s_and_saveexec_b64 s[8:9], s[12:13]
; %bb.2242:
	s_mov_b32 s10, 0x7f800001
	s_xor_b64 s[4:5], exec, -1
; %bb.2243:
	s_or_b64 exec, exec, s[8:9]
	s_and_b64 s[4:5], s[4:5], exec
	s_or_saveexec_b64 s[6:7], s[6:7]
	v_mov_b32_e32 v2, s10
	s_xor_b64 exec, exec, s[6:7]
	s_cbranch_execz .LBB6_194
.LBB6_2244:
	v_mov_b32_e32 v2, 0
	v_cmp_ne_u16_sdwa s[8:9], v8, v2 src0_sel:BYTE_0 src1_sel:DWORD
	s_andn2_b64 s[4:5], s[4:5], exec
	s_and_b64 s[8:9], s[8:9], exec
	s_or_b64 s[4:5], s[4:5], s[8:9]
	s_or_b64 exec, exec, s[6:7]
	s_and_saveexec_b64 s[6:7], s[4:5]
	s_cbranch_execnz .LBB6_195
	s_branch .LBB6_196
.LBB6_2245:
	s_movk_i32 s4, 0x80
	v_cmp_eq_u16_sdwa s[12:13], v4, s4 src0_sel:BYTE_0 src1_sel:DWORD
	s_mov_b64 s[4:5], -1
                                        ; implicit-def: $sgpr10
	s_and_saveexec_b64 s[8:9], s[12:13]
; %bb.2246:
	s_mov_b32 s10, 0x7f800001
	s_xor_b64 s[4:5], exec, -1
; %bb.2247:
	s_or_b64 exec, exec, s[8:9]
	s_and_b64 s[4:5], s[4:5], exec
	s_or_saveexec_b64 s[6:7], s[6:7]
	v_mov_b32_e32 v3, s10
	s_xor_b64 exec, exec, s[6:7]
	s_cbranch_execz .LBB6_198
.LBB6_2248:
	v_mov_b32_e32 v3, 0
	v_cmp_ne_u16_sdwa s[8:9], v4, v3 src0_sel:BYTE_0 src1_sel:DWORD
	s_andn2_b64 s[4:5], s[4:5], exec
	s_and_b64 s[8:9], s[8:9], exec
	s_or_b64 s[4:5], s[4:5], s[8:9]
	s_or_b64 exec, exec, s[6:7]
	s_and_saveexec_b64 s[6:7], s[4:5]
	s_cbranch_execnz .LBB6_199
	s_branch .LBB6_200
.LBB6_2249:
	s_movk_i32 s4, 0x80
	v_cmp_eq_u16_sdwa s[12:13], v3, s4 src0_sel:BYTE_0 src1_sel:DWORD
	s_mov_b64 s[4:5], -1
                                        ; implicit-def: $sgpr10
	s_and_saveexec_b64 s[8:9], s[12:13]
; %bb.2250:
	s_mov_b32 s10, 0x7f800001
	s_xor_b64 s[4:5], exec, -1
; %bb.2251:
	s_or_b64 exec, exec, s[8:9]
	s_and_b64 s[4:5], s[4:5], exec
	s_or_saveexec_b64 s[6:7], s[6:7]
	v_mov_b32_e32 v2, s10
	s_xor_b64 exec, exec, s[6:7]
	s_cbranch_execz .LBB6_202
.LBB6_2252:
	v_mov_b32_e32 v2, 0
	v_cmp_ne_u16_sdwa s[8:9], v3, v2 src0_sel:BYTE_0 src1_sel:DWORD
	s_andn2_b64 s[4:5], s[4:5], exec
	s_and_b64 s[8:9], s[8:9], exec
	s_or_b64 s[4:5], s[4:5], s[8:9]
	s_or_b64 exec, exec, s[6:7]
	s_and_saveexec_b64 s[6:7], s[4:5]
	s_cbranch_execnz .LBB6_203
	s_branch .LBB6_204
.LBB6_2253:
	s_movk_i32 s4, 0x80
	v_cmp_eq_u16_sdwa s[12:13], v3, s4 src0_sel:BYTE_0 src1_sel:DWORD
	s_mov_b64 s[4:5], -1
                                        ; implicit-def: $sgpr10
	s_and_saveexec_b64 s[8:9], s[12:13]
; %bb.2254:
	s_mov_b32 s10, 0x7f800001
	s_xor_b64 s[4:5], exec, -1
; %bb.2255:
	s_or_b64 exec, exec, s[8:9]
	s_and_b64 s[4:5], s[4:5], exec
	s_or_saveexec_b64 s[6:7], s[6:7]
	v_mov_b32_e32 v6, s10
	s_xor_b64 exec, exec, s[6:7]
	s_cbranch_execz .LBB6_206
.LBB6_2256:
	v_mov_b32_e32 v6, 0
	v_cmp_ne_u16_sdwa s[8:9], v3, v6 src0_sel:BYTE_0 src1_sel:DWORD
	s_andn2_b64 s[4:5], s[4:5], exec
	s_and_b64 s[8:9], s[8:9], exec
	s_or_b64 s[4:5], s[4:5], s[8:9]
	s_or_b64 exec, exec, s[6:7]
	s_and_saveexec_b64 s[6:7], s[4:5]
	s_cbranch_execnz .LBB6_207
	s_branch .LBB6_208
.LBB6_2257:
	s_movk_i32 s4, 0x80
	v_cmp_eq_u16_e32 vcc, s4, v3
	s_mov_b64 s[4:5], -1
                                        ; implicit-def: $sgpr10
	s_and_saveexec_b64 s[8:9], vcc
; %bb.2258:
	s_mov_b32 s10, 0x7f800001
	s_xor_b64 s[4:5], exec, -1
; %bb.2259:
	s_or_b64 exec, exec, s[8:9]
	s_and_b64 s[4:5], s[4:5], exec
                                        ; implicit-def: $vgpr3
	s_or_saveexec_b64 s[6:7], s[6:7]
	v_mov_b32_e32 v2, s10
	s_xor_b64 exec, exec, s[6:7]
	s_cbranch_execz .LBB6_210
.LBB6_2260:
	v_cmp_ne_u16_e32 vcc, 0, v3
	s_andn2_b64 s[4:5], s[4:5], exec
	s_and_b64 s[8:9], vcc, exec
	v_mov_b32_e32 v2, 0
	s_or_b64 s[4:5], s[4:5], s[8:9]
	s_or_b64 exec, exec, s[6:7]
	s_and_saveexec_b64 s[6:7], s[4:5]
	s_cbranch_execnz .LBB6_211
	s_branch .LBB6_212
.LBB6_2261:
	s_movk_i32 s4, 0x80
	v_cmp_eq_u16_e32 vcc, s4, v3
	s_mov_b64 s[4:5], -1
                                        ; implicit-def: $sgpr10
	s_and_saveexec_b64 s[8:9], vcc
; %bb.2262:
	s_mov_b32 s10, 0x7f800001
	s_xor_b64 s[4:5], exec, -1
; %bb.2263:
	s_or_b64 exec, exec, s[8:9]
	s_and_b64 s[4:5], s[4:5], exec
                                        ; implicit-def: $vgpr3
	s_or_saveexec_b64 s[6:7], s[6:7]
	v_mov_b32_e32 v6, s10
	s_xor_b64 exec, exec, s[6:7]
	s_cbranch_execz .LBB6_214
.LBB6_2264:
	v_cmp_ne_u16_e32 vcc, 0, v3
	s_andn2_b64 s[4:5], s[4:5], exec
	s_and_b64 s[8:9], vcc, exec
	v_mov_b32_e32 v6, 0
	s_or_b64 s[4:5], s[4:5], s[8:9]
	s_or_b64 exec, exec, s[6:7]
	s_and_saveexec_b64 s[6:7], s[4:5]
	s_cbranch_execnz .LBB6_215
	s_branch .LBB6_216
.LBB6_2265:
	s_movk_i32 s4, 0x80
	v_cmp_eq_u16_sdwa s[12:13], v8, s4 src0_sel:BYTE_3 src1_sel:DWORD
	s_mov_b64 s[4:5], -1
                                        ; implicit-def: $sgpr10
	s_and_saveexec_b64 s[8:9], s[12:13]
; %bb.2266:
	s_mov_b32 s10, 0x7f800001
	s_xor_b64 s[4:5], exec, -1
; %bb.2267:
	s_or_b64 exec, exec, s[8:9]
	s_and_b64 s[4:5], s[4:5], exec
	s_or_saveexec_b64 s[6:7], s[6:7]
	v_mov_b32_e32 v2, s10
	s_xor_b64 exec, exec, s[6:7]
	s_cbranch_execz .LBB6_218
.LBB6_2268:
	v_mov_b32_e32 v2, 0
	v_cmp_ne_u16_sdwa s[8:9], v8, v2 src0_sel:BYTE_3 src1_sel:DWORD
	s_andn2_b64 s[4:5], s[4:5], exec
	s_and_b64 s[8:9], s[8:9], exec
	s_or_b64 s[4:5], s[4:5], s[8:9]
	s_or_b64 exec, exec, s[6:7]
	s_and_saveexec_b64 s[6:7], s[4:5]
	s_cbranch_execnz .LBB6_219
	s_branch .LBB6_220
.LBB6_2269:
	s_movk_i32 s4, 0x80
	v_cmp_eq_u16_sdwa s[12:13], v4, s4 src0_sel:BYTE_3 src1_sel:DWORD
	s_mov_b64 s[4:5], -1
                                        ; implicit-def: $sgpr10
	s_and_saveexec_b64 s[8:9], s[12:13]
; %bb.2270:
	s_mov_b32 s10, 0x7f800001
	s_xor_b64 s[4:5], exec, -1
; %bb.2271:
	s_or_b64 exec, exec, s[8:9]
	s_and_b64 s[4:5], s[4:5], exec
	s_or_saveexec_b64 s[6:7], s[6:7]
	v_mov_b32_e32 v3, s10
	s_xor_b64 exec, exec, s[6:7]
	s_cbranch_execz .LBB6_222
.LBB6_2272:
	v_mov_b32_e32 v3, 0
	v_cmp_ne_u16_sdwa s[8:9], v4, v3 src0_sel:BYTE_3 src1_sel:DWORD
	s_andn2_b64 s[4:5], s[4:5], exec
	s_and_b64 s[8:9], s[8:9], exec
	s_or_b64 s[4:5], s[4:5], s[8:9]
	s_or_b64 exec, exec, s[6:7]
	s_and_saveexec_b64 s[6:7], s[4:5]
	s_cbranch_execnz .LBB6_223
	s_branch .LBB6_224
.LBB6_2273:
	s_movk_i32 s4, 0x80
	v_cmp_eq_u16_sdwa s[12:13], v9, s4 src0_sel:BYTE_0 src1_sel:DWORD
	s_mov_b64 s[4:5], -1
                                        ; implicit-def: $sgpr10
	s_and_saveexec_b64 s[8:9], s[12:13]
; %bb.2274:
	s_mov_b32 s10, 0x7f800001
	s_xor_b64 s[4:5], exec, -1
; %bb.2275:
	s_or_b64 exec, exec, s[8:9]
	s_and_b64 s[4:5], s[4:5], exec
	s_or_saveexec_b64 s[6:7], s[6:7]
	v_mov_b32_e32 v2, s10
	s_xor_b64 exec, exec, s[6:7]
	s_cbranch_execz .LBB6_226
.LBB6_2276:
	v_mov_b32_e32 v2, 0
	v_cmp_ne_u16_sdwa s[8:9], v9, v2 src0_sel:BYTE_0 src1_sel:DWORD
	s_andn2_b64 s[4:5], s[4:5], exec
	s_and_b64 s[8:9], s[8:9], exec
	s_or_b64 s[4:5], s[4:5], s[8:9]
	s_or_b64 exec, exec, s[6:7]
	s_and_saveexec_b64 s[6:7], s[4:5]
	s_cbranch_execnz .LBB6_227
	s_branch .LBB6_228
.LBB6_2277:
	s_movk_i32 s4, 0x80
	v_cmp_eq_u16_sdwa s[12:13], v5, s4 src0_sel:BYTE_0 src1_sel:DWORD
	s_mov_b64 s[4:5], -1
                                        ; implicit-def: $sgpr10
	s_and_saveexec_b64 s[8:9], s[12:13]
; %bb.2278:
	s_mov_b32 s10, 0x7f800001
	s_xor_b64 s[4:5], exec, -1
; %bb.2279:
	s_or_b64 exec, exec, s[8:9]
	s_and_b64 s[4:5], s[4:5], exec
	s_or_saveexec_b64 s[6:7], s[6:7]
	v_mov_b32_e32 v3, s10
	s_xor_b64 exec, exec, s[6:7]
	s_cbranch_execz .LBB6_230
.LBB6_2280:
	v_mov_b32_e32 v3, 0
	v_cmp_ne_u16_sdwa s[8:9], v5, v3 src0_sel:BYTE_0 src1_sel:DWORD
	s_andn2_b64 s[4:5], s[4:5], exec
	s_and_b64 s[8:9], s[8:9], exec
	s_or_b64 s[4:5], s[4:5], s[8:9]
	s_or_b64 exec, exec, s[6:7]
	s_and_saveexec_b64 s[6:7], s[4:5]
	s_cbranch_execnz .LBB6_231
	s_branch .LBB6_232
.LBB6_2281:
	s_movk_i32 s4, 0x80
	v_cmp_eq_u16_sdwa s[12:13], v3, s4 src0_sel:BYTE_0 src1_sel:DWORD
	s_mov_b64 s[4:5], -1
                                        ; implicit-def: $sgpr10
	s_and_saveexec_b64 s[8:9], s[12:13]
; %bb.2282:
	s_mov_b32 s10, 0x7f800001
	s_xor_b64 s[4:5], exec, -1
; %bb.2283:
	s_or_b64 exec, exec, s[8:9]
	s_and_b64 s[4:5], s[4:5], exec
	s_or_saveexec_b64 s[6:7], s[6:7]
	v_mov_b32_e32 v2, s10
	s_xor_b64 exec, exec, s[6:7]
	s_cbranch_execz .LBB6_234
.LBB6_2284:
	v_mov_b32_e32 v2, 0
	v_cmp_ne_u16_sdwa s[8:9], v3, v2 src0_sel:BYTE_0 src1_sel:DWORD
	s_andn2_b64 s[4:5], s[4:5], exec
	s_and_b64 s[8:9], s[8:9], exec
	s_or_b64 s[4:5], s[4:5], s[8:9]
	s_or_b64 exec, exec, s[6:7]
	s_and_saveexec_b64 s[6:7], s[4:5]
	s_cbranch_execnz .LBB6_235
	s_branch .LBB6_236
.LBB6_2285:
	s_movk_i32 s4, 0x80
	v_cmp_eq_u16_sdwa s[12:13], v3, s4 src0_sel:BYTE_0 src1_sel:DWORD
	s_mov_b64 s[4:5], -1
                                        ; implicit-def: $sgpr10
	s_and_saveexec_b64 s[8:9], s[12:13]
; %bb.2286:
	s_mov_b32 s10, 0x7f800001
	s_xor_b64 s[4:5], exec, -1
; %bb.2287:
	s_or_b64 exec, exec, s[8:9]
	s_and_b64 s[4:5], s[4:5], exec
	s_or_saveexec_b64 s[6:7], s[6:7]
	v_mov_b32_e32 v4, s10
	s_xor_b64 exec, exec, s[6:7]
	s_cbranch_execz .LBB6_238
.LBB6_2288:
	v_mov_b32_e32 v4, 0
	v_cmp_ne_u16_sdwa s[8:9], v3, v4 src0_sel:BYTE_0 src1_sel:DWORD
	s_andn2_b64 s[4:5], s[4:5], exec
	s_and_b64 s[8:9], s[8:9], exec
	s_or_b64 s[4:5], s[4:5], s[8:9]
	s_or_b64 exec, exec, s[6:7]
	s_and_saveexec_b64 s[6:7], s[4:5]
	s_cbranch_execnz .LBB6_239
	s_branch .LBB6_240
.LBB6_2289:
	s_movk_i32 s4, 0x80
	v_cmp_eq_u16_e32 vcc, s4, v3
	s_mov_b64 s[4:5], -1
                                        ; implicit-def: $sgpr10
	s_and_saveexec_b64 s[8:9], vcc
; %bb.2290:
	s_mov_b32 s10, 0x7f800001
	s_xor_b64 s[4:5], exec, -1
; %bb.2291:
	s_or_b64 exec, exec, s[8:9]
	s_and_b64 s[4:5], s[4:5], exec
                                        ; implicit-def: $vgpr3
	s_or_saveexec_b64 s[6:7], s[6:7]
	v_mov_b32_e32 v2, s10
	s_xor_b64 exec, exec, s[6:7]
	s_cbranch_execz .LBB6_242
.LBB6_2292:
	v_cmp_ne_u16_e32 vcc, 0, v3
	s_andn2_b64 s[4:5], s[4:5], exec
	s_and_b64 s[8:9], vcc, exec
	v_mov_b32_e32 v2, 0
	s_or_b64 s[4:5], s[4:5], s[8:9]
	s_or_b64 exec, exec, s[6:7]
	s_and_saveexec_b64 s[6:7], s[4:5]
	s_cbranch_execnz .LBB6_243
	s_branch .LBB6_244
.LBB6_2293:
	s_movk_i32 s4, 0x80
	v_cmp_eq_u16_e32 vcc, s4, v3
	s_mov_b64 s[4:5], -1
                                        ; implicit-def: $sgpr10
	s_and_saveexec_b64 s[8:9], vcc
; %bb.2294:
	s_mov_b32 s10, 0x7f800001
	s_xor_b64 s[4:5], exec, -1
; %bb.2295:
	s_or_b64 exec, exec, s[8:9]
	s_and_b64 s[4:5], s[4:5], exec
                                        ; implicit-def: $vgpr3
	s_or_saveexec_b64 s[6:7], s[6:7]
	v_mov_b32_e32 v4, s10
	s_xor_b64 exec, exec, s[6:7]
	s_cbranch_execz .LBB6_246
.LBB6_2296:
	v_cmp_ne_u16_e32 vcc, 0, v3
	s_andn2_b64 s[4:5], s[4:5], exec
	s_and_b64 s[8:9], vcc, exec
	v_mov_b32_e32 v4, 0
	s_or_b64 s[4:5], s[4:5], s[8:9]
	s_or_b64 exec, exec, s[6:7]
	s_and_saveexec_b64 s[6:7], s[4:5]
	s_cbranch_execnz .LBB6_247
	s_branch .LBB6_248
.LBB6_2297:
	s_movk_i32 s4, 0x80
	v_cmp_eq_u16_sdwa s[12:13], v9, s4 src0_sel:BYTE_3 src1_sel:DWORD
	s_mov_b64 s[4:5], -1
                                        ; implicit-def: $sgpr10
	s_and_saveexec_b64 s[8:9], s[12:13]
; %bb.2298:
	s_mov_b32 s10, 0x7f800001
	s_xor_b64 s[4:5], exec, -1
; %bb.2299:
	s_or_b64 exec, exec, s[8:9]
	s_and_b64 s[4:5], s[4:5], exec
	s_or_saveexec_b64 s[6:7], s[6:7]
	v_mov_b32_e32 v2, s10
	s_xor_b64 exec, exec, s[6:7]
	s_cbranch_execz .LBB6_250
.LBB6_2300:
	v_mov_b32_e32 v2, 0
	v_cmp_ne_u16_sdwa s[8:9], v9, v2 src0_sel:BYTE_3 src1_sel:DWORD
	s_andn2_b64 s[4:5], s[4:5], exec
	s_and_b64 s[8:9], s[8:9], exec
	s_or_b64 s[4:5], s[4:5], s[8:9]
	s_or_b64 exec, exec, s[6:7]
	s_and_saveexec_b64 s[6:7], s[4:5]
	s_cbranch_execnz .LBB6_251
	s_branch .LBB6_252
.LBB6_2301:
	s_movk_i32 s4, 0x80
	v_cmp_eq_u16_sdwa s[12:13], v5, s4 src0_sel:BYTE_3 src1_sel:DWORD
	s_mov_b64 s[4:5], -1
                                        ; implicit-def: $sgpr10
	s_and_saveexec_b64 s[8:9], s[12:13]
; %bb.2302:
	s_mov_b32 s10, 0x7f800001
	s_xor_b64 s[4:5], exec, -1
; %bb.2303:
	s_or_b64 exec, exec, s[8:9]
	s_and_b64 s[4:5], s[4:5], exec
	s_or_saveexec_b64 s[6:7], s[6:7]
	v_mov_b32_e32 v3, s10
	s_xor_b64 exec, exec, s[6:7]
	s_cbranch_execz .LBB6_254
.LBB6_2304:
	v_mov_b32_e32 v3, 0
	v_cmp_ne_u16_sdwa s[8:9], v5, v3 src0_sel:BYTE_3 src1_sel:DWORD
	s_andn2_b64 s[4:5], s[4:5], exec
	s_and_b64 s[8:9], s[8:9], exec
	s_or_b64 s[4:5], s[4:5], s[8:9]
	s_or_b64 exec, exec, s[6:7]
	s_and_saveexec_b64 s[6:7], s[4:5]
	s_cbranch_execnz .LBB6_255
	s_branch .LBB6_256
.LBB6_2305:
	s_movk_i32 s4, 0x80
	v_cmp_eq_u16_sdwa s[12:13], v14, s4 src0_sel:BYTE_0 src1_sel:DWORD
	s_mov_b64 s[4:5], -1
                                        ; implicit-def: $sgpr10
	s_and_saveexec_b64 s[8:9], s[12:13]
; %bb.2306:
	s_mov_b32 s10, 0x7f800001
	s_xor_b64 s[4:5], exec, -1
; %bb.2307:
	s_or_b64 exec, exec, s[8:9]
	s_and_b64 s[4:5], s[4:5], exec
	s_or_saveexec_b64 s[6:7], s[6:7]
	v_mov_b32_e32 v20, s10
	s_xor_b64 exec, exec, s[6:7]
	s_cbranch_execz .LBB6_258
.LBB6_2308:
	v_mov_b32_e32 v20, 0
	v_cmp_ne_u16_sdwa s[8:9], v14, v20 src0_sel:BYTE_0 src1_sel:DWORD
	s_andn2_b64 s[4:5], s[4:5], exec
	s_and_b64 s[8:9], s[8:9], exec
	s_or_b64 s[4:5], s[4:5], s[8:9]
	s_or_b64 exec, exec, s[6:7]
	s_and_saveexec_b64 s[6:7], s[4:5]
	s_cbranch_execnz .LBB6_259
	s_branch .LBB6_260
.LBB6_2309:
	s_movk_i32 s4, 0x80
	v_cmp_eq_u16_sdwa s[12:13], v10, s4 src0_sel:BYTE_0 src1_sel:DWORD
	s_mov_b64 s[4:5], -1
                                        ; implicit-def: $sgpr10
	s_and_saveexec_b64 s[8:9], s[12:13]
; %bb.2310:
	s_mov_b32 s10, 0x7f800001
	s_xor_b64 s[4:5], exec, -1
; %bb.2311:
	s_or_b64 exec, exec, s[8:9]
	s_and_b64 s[4:5], s[4:5], exec
	s_or_saveexec_b64 s[6:7], s[6:7]
	v_mov_b32_e32 v21, s10
	s_xor_b64 exec, exec, s[6:7]
	s_cbranch_execz .LBB6_262
.LBB6_2312:
	v_mov_b32_e32 v21, 0
	v_cmp_ne_u16_sdwa s[8:9], v10, v21 src0_sel:BYTE_0 src1_sel:DWORD
	s_andn2_b64 s[4:5], s[4:5], exec
	s_and_b64 s[8:9], s[8:9], exec
	s_or_b64 s[4:5], s[4:5], s[8:9]
	s_or_b64 exec, exec, s[6:7]
	s_and_saveexec_b64 s[6:7], s[4:5]
	s_cbranch_execnz .LBB6_263
	s_branch .LBB6_264
.LBB6_2313:
	s_movk_i32 s4, 0x80
	v_cmp_eq_u16_sdwa s[12:13], v21, s4 src0_sel:BYTE_0 src1_sel:DWORD
	s_mov_b64 s[4:5], -1
                                        ; implicit-def: $sgpr10
	s_and_saveexec_b64 s[8:9], s[12:13]
; %bb.2314:
	s_mov_b32 s10, 0x7f800001
	s_xor_b64 s[4:5], exec, -1
; %bb.2315:
	s_or_b64 exec, exec, s[8:9]
	s_and_b64 s[4:5], s[4:5], exec
	s_or_saveexec_b64 s[6:7], s[6:7]
	v_mov_b32_e32 v20, s10
	s_xor_b64 exec, exec, s[6:7]
	s_cbranch_execz .LBB6_266
.LBB6_2316:
	v_mov_b32_e32 v20, 0
	v_cmp_ne_u16_sdwa s[8:9], v21, v20 src0_sel:BYTE_0 src1_sel:DWORD
	s_andn2_b64 s[4:5], s[4:5], exec
	s_and_b64 s[8:9], s[8:9], exec
	s_or_b64 s[4:5], s[4:5], s[8:9]
	s_or_b64 exec, exec, s[6:7]
	s_and_saveexec_b64 s[6:7], s[4:5]
	s_cbranch_execnz .LBB6_267
	s_branch .LBB6_268
.LBB6_2317:
	s_movk_i32 s4, 0x80
	v_cmp_eq_u16_sdwa s[12:13], v21, s4 src0_sel:BYTE_0 src1_sel:DWORD
	s_mov_b64 s[4:5], -1
                                        ; implicit-def: $sgpr10
	s_and_saveexec_b64 s[8:9], s[12:13]
; %bb.2318:
	s_mov_b32 s10, 0x7f800001
	s_xor_b64 s[4:5], exec, -1
; %bb.2319:
	s_or_b64 exec, exec, s[8:9]
	s_and_b64 s[4:5], s[4:5], exec
	s_or_saveexec_b64 s[6:7], s[6:7]
	v_mov_b32_e32 v22, s10
	s_xor_b64 exec, exec, s[6:7]
	s_cbranch_execz .LBB6_270
.LBB6_2320:
	v_mov_b32_e32 v22, 0
	v_cmp_ne_u16_sdwa s[8:9], v21, v22 src0_sel:BYTE_0 src1_sel:DWORD
	s_andn2_b64 s[4:5], s[4:5], exec
	s_and_b64 s[8:9], s[8:9], exec
	s_or_b64 s[4:5], s[4:5], s[8:9]
	s_or_b64 exec, exec, s[6:7]
	s_and_saveexec_b64 s[6:7], s[4:5]
	s_cbranch_execnz .LBB6_271
	s_branch .LBB6_272
.LBB6_2321:
	s_movk_i32 s4, 0x80
	v_cmp_eq_u16_e32 vcc, s4, v21
	s_mov_b64 s[4:5], -1
                                        ; implicit-def: $sgpr10
	s_and_saveexec_b64 s[8:9], vcc
; %bb.2322:
	s_mov_b32 s10, 0x7f800001
	s_xor_b64 s[4:5], exec, -1
; %bb.2323:
	s_or_b64 exec, exec, s[8:9]
	s_and_b64 s[4:5], s[4:5], exec
                                        ; implicit-def: $vgpr21
	s_or_saveexec_b64 s[6:7], s[6:7]
	v_mov_b32_e32 v20, s10
	s_xor_b64 exec, exec, s[6:7]
	s_cbranch_execz .LBB6_274
.LBB6_2324:
	v_cmp_ne_u16_e32 vcc, 0, v21
	s_andn2_b64 s[4:5], s[4:5], exec
	s_and_b64 s[8:9], vcc, exec
	v_mov_b32_e32 v20, 0
	s_or_b64 s[4:5], s[4:5], s[8:9]
	s_or_b64 exec, exec, s[6:7]
	s_and_saveexec_b64 s[6:7], s[4:5]
	s_cbranch_execnz .LBB6_275
	s_branch .LBB6_276
.LBB6_2325:
	s_movk_i32 s4, 0x80
	v_cmp_eq_u16_e32 vcc, s4, v21
	s_mov_b64 s[4:5], -1
                                        ; implicit-def: $sgpr10
	s_and_saveexec_b64 s[8:9], vcc
; %bb.2326:
	s_mov_b32 s10, 0x7f800001
	s_xor_b64 s[4:5], exec, -1
; %bb.2327:
	s_or_b64 exec, exec, s[8:9]
	s_and_b64 s[4:5], s[4:5], exec
                                        ; implicit-def: $vgpr21
	s_or_saveexec_b64 s[6:7], s[6:7]
	v_mov_b32_e32 v22, s10
	s_xor_b64 exec, exec, s[6:7]
	s_cbranch_execz .LBB6_278
.LBB6_2328:
	v_cmp_ne_u16_e32 vcc, 0, v21
	s_andn2_b64 s[4:5], s[4:5], exec
	s_and_b64 s[8:9], vcc, exec
	v_mov_b32_e32 v22, 0
	s_or_b64 s[4:5], s[4:5], s[8:9]
	s_or_b64 exec, exec, s[6:7]
	s_and_saveexec_b64 s[6:7], s[4:5]
	s_cbranch_execnz .LBB6_279
	s_branch .LBB6_280
.LBB6_2329:
	s_movk_i32 s4, 0x80
	v_cmp_eq_u16_sdwa s[12:13], v14, s4 src0_sel:BYTE_3 src1_sel:DWORD
	s_mov_b64 s[4:5], -1
                                        ; implicit-def: $sgpr10
	s_and_saveexec_b64 s[8:9], s[12:13]
; %bb.2330:
	s_mov_b32 s10, 0x7f800001
	s_xor_b64 s[4:5], exec, -1
; %bb.2331:
	s_or_b64 exec, exec, s[8:9]
	s_and_b64 s[4:5], s[4:5], exec
	s_or_saveexec_b64 s[6:7], s[6:7]
	v_mov_b32_e32 v20, s10
	s_xor_b64 exec, exec, s[6:7]
	s_cbranch_execz .LBB6_282
.LBB6_2332:
	v_mov_b32_e32 v20, 0
	v_cmp_ne_u16_sdwa s[8:9], v14, v20 src0_sel:BYTE_3 src1_sel:DWORD
	s_andn2_b64 s[4:5], s[4:5], exec
	s_and_b64 s[8:9], s[8:9], exec
	s_or_b64 s[4:5], s[4:5], s[8:9]
	s_or_b64 exec, exec, s[6:7]
	s_and_saveexec_b64 s[6:7], s[4:5]
	s_cbranch_execnz .LBB6_283
	s_branch .LBB6_284
.LBB6_2333:
	s_movk_i32 s4, 0x80
	v_cmp_eq_u16_sdwa s[12:13], v10, s4 src0_sel:BYTE_3 src1_sel:DWORD
	s_mov_b64 s[4:5], -1
                                        ; implicit-def: $sgpr10
	s_and_saveexec_b64 s[8:9], s[12:13]
; %bb.2334:
	s_mov_b32 s10, 0x7f800001
	s_xor_b64 s[4:5], exec, -1
; %bb.2335:
	s_or_b64 exec, exec, s[8:9]
	s_and_b64 s[4:5], s[4:5], exec
	s_or_saveexec_b64 s[6:7], s[6:7]
	v_mov_b32_e32 v14, s10
	s_xor_b64 exec, exec, s[6:7]
	s_cbranch_execz .LBB6_286
.LBB6_2336:
	v_mov_b32_e32 v14, 0
	v_cmp_ne_u16_sdwa s[8:9], v10, v14 src0_sel:BYTE_3 src1_sel:DWORD
	s_andn2_b64 s[4:5], s[4:5], exec
	s_and_b64 s[8:9], s[8:9], exec
	s_or_b64 s[4:5], s[4:5], s[8:9]
	s_or_b64 exec, exec, s[6:7]
	s_and_saveexec_b64 s[6:7], s[4:5]
	s_cbranch_execnz .LBB6_287
	s_branch .LBB6_288
.LBB6_2337:
	s_movk_i32 s4, 0x80
	v_cmp_eq_u16_sdwa s[12:13], v15, s4 src0_sel:BYTE_0 src1_sel:DWORD
	s_mov_b64 s[4:5], -1
                                        ; implicit-def: $sgpr10
	s_and_saveexec_b64 s[8:9], s[12:13]
; %bb.2338:
	s_mov_b32 s10, 0x7f800001
	s_xor_b64 s[4:5], exec, -1
; %bb.2339:
	s_or_b64 exec, exec, s[8:9]
	s_and_b64 s[4:5], s[4:5], exec
	s_or_saveexec_b64 s[6:7], s[6:7]
	v_mov_b32_e32 v10, s10
	s_xor_b64 exec, exec, s[6:7]
	s_cbranch_execz .LBB6_290
.LBB6_2340:
	v_mov_b32_e32 v10, 0
	v_cmp_ne_u16_sdwa s[8:9], v15, v10 src0_sel:BYTE_0 src1_sel:DWORD
	s_andn2_b64 s[4:5], s[4:5], exec
	s_and_b64 s[8:9], s[8:9], exec
	s_or_b64 s[4:5], s[4:5], s[8:9]
	s_or_b64 exec, exec, s[6:7]
	s_and_saveexec_b64 s[6:7], s[4:5]
	s_cbranch_execnz .LBB6_291
	s_branch .LBB6_292
.LBB6_2341:
	s_movk_i32 s4, 0x80
	v_cmp_eq_u16_sdwa s[12:13], v11, s4 src0_sel:BYTE_0 src1_sel:DWORD
	s_mov_b64 s[4:5], -1
                                        ; implicit-def: $sgpr10
	s_and_saveexec_b64 s[8:9], s[12:13]
; %bb.2342:
	s_mov_b32 s10, 0x7f800001
	s_xor_b64 s[4:5], exec, -1
; %bb.2343:
	s_or_b64 exec, exec, s[8:9]
	s_and_b64 s[4:5], s[4:5], exec
	s_or_saveexec_b64 s[6:7], s[6:7]
	v_mov_b32_e32 v14, s10
	s_xor_b64 exec, exec, s[6:7]
	s_cbranch_execz .LBB6_294
.LBB6_2344:
	v_mov_b32_e32 v14, 0
	v_cmp_ne_u16_sdwa s[8:9], v11, v14 src0_sel:BYTE_0 src1_sel:DWORD
	s_andn2_b64 s[4:5], s[4:5], exec
	s_and_b64 s[8:9], s[8:9], exec
	s_or_b64 s[4:5], s[4:5], s[8:9]
	s_or_b64 exec, exec, s[6:7]
	s_and_saveexec_b64 s[6:7], s[4:5]
	s_cbranch_execnz .LBB6_295
	s_branch .LBB6_296
.LBB6_2345:
	s_movk_i32 s4, 0x80
	v_cmp_eq_u16_sdwa s[12:13], v14, s4 src0_sel:BYTE_0 src1_sel:DWORD
	s_mov_b64 s[4:5], -1
                                        ; implicit-def: $sgpr10
	s_and_saveexec_b64 s[8:9], s[12:13]
; %bb.2346:
	s_mov_b32 s10, 0x7f800001
	s_xor_b64 s[4:5], exec, -1
; %bb.2347:
	s_or_b64 exec, exec, s[8:9]
	s_and_b64 s[4:5], s[4:5], exec
	s_or_saveexec_b64 s[6:7], s[6:7]
	v_mov_b32_e32 v10, s10
	s_xor_b64 exec, exec, s[6:7]
	s_cbranch_execz .LBB6_298
.LBB6_2348:
	v_mov_b32_e32 v10, 0
	v_cmp_ne_u16_sdwa s[8:9], v14, v10 src0_sel:BYTE_0 src1_sel:DWORD
	s_andn2_b64 s[4:5], s[4:5], exec
	s_and_b64 s[8:9], s[8:9], exec
	s_or_b64 s[4:5], s[4:5], s[8:9]
	s_or_b64 exec, exec, s[6:7]
	s_and_saveexec_b64 s[6:7], s[4:5]
	s_cbranch_execnz .LBB6_299
	s_branch .LBB6_300
.LBB6_2349:
	s_movk_i32 s4, 0x80
	v_cmp_eq_u16_sdwa s[12:13], v14, s4 src0_sel:BYTE_0 src1_sel:DWORD
	s_mov_b64 s[4:5], -1
                                        ; implicit-def: $sgpr10
	s_and_saveexec_b64 s[8:9], s[12:13]
; %bb.2350:
	s_mov_b32 s10, 0x7f800001
	s_xor_b64 s[4:5], exec, -1
; %bb.2351:
	s_or_b64 exec, exec, s[8:9]
	s_and_b64 s[4:5], s[4:5], exec
	s_or_saveexec_b64 s[6:7], s[6:7]
	v_mov_b32_e32 v20, s10
	s_xor_b64 exec, exec, s[6:7]
	s_cbranch_execz .LBB6_302
.LBB6_2352:
	v_mov_b32_e32 v20, 0
	v_cmp_ne_u16_sdwa s[8:9], v14, v20 src0_sel:BYTE_0 src1_sel:DWORD
	s_andn2_b64 s[4:5], s[4:5], exec
	s_and_b64 s[8:9], s[8:9], exec
	s_or_b64 s[4:5], s[4:5], s[8:9]
	s_or_b64 exec, exec, s[6:7]
	s_and_saveexec_b64 s[6:7], s[4:5]
	s_cbranch_execnz .LBB6_303
	s_branch .LBB6_304
.LBB6_2353:
	s_movk_i32 s4, 0x80
	v_cmp_eq_u16_e32 vcc, s4, v14
	s_mov_b64 s[4:5], -1
                                        ; implicit-def: $sgpr10
	s_and_saveexec_b64 s[8:9], vcc
; %bb.2354:
	s_mov_b32 s10, 0x7f800001
	s_xor_b64 s[4:5], exec, -1
; %bb.2355:
	s_or_b64 exec, exec, s[8:9]
	s_and_b64 s[4:5], s[4:5], exec
                                        ; implicit-def: $vgpr14
	s_or_saveexec_b64 s[6:7], s[6:7]
	v_mov_b32_e32 v10, s10
	s_xor_b64 exec, exec, s[6:7]
	s_cbranch_execz .LBB6_306
.LBB6_2356:
	v_cmp_ne_u16_e32 vcc, 0, v14
	s_andn2_b64 s[4:5], s[4:5], exec
	s_and_b64 s[8:9], vcc, exec
	v_mov_b32_e32 v10, 0
	s_or_b64 s[4:5], s[4:5], s[8:9]
	s_or_b64 exec, exec, s[6:7]
	s_and_saveexec_b64 s[6:7], s[4:5]
	s_cbranch_execnz .LBB6_307
	s_branch .LBB6_308
.LBB6_2357:
	s_movk_i32 s4, 0x80
	v_cmp_eq_u16_e32 vcc, s4, v14
	s_mov_b64 s[4:5], -1
                                        ; implicit-def: $sgpr10
	s_and_saveexec_b64 s[8:9], vcc
; %bb.2358:
	s_mov_b32 s10, 0x7f800001
	s_xor_b64 s[4:5], exec, -1
; %bb.2359:
	s_or_b64 exec, exec, s[8:9]
	s_and_b64 s[4:5], s[4:5], exec
                                        ; implicit-def: $vgpr14
	s_or_saveexec_b64 s[6:7], s[6:7]
	v_mov_b32_e32 v20, s10
	s_xor_b64 exec, exec, s[6:7]
	s_cbranch_execz .LBB6_310
.LBB6_2360:
	v_cmp_ne_u16_e32 vcc, 0, v14
	s_andn2_b64 s[4:5], s[4:5], exec
	s_and_b64 s[8:9], vcc, exec
	v_mov_b32_e32 v20, 0
	s_or_b64 s[4:5], s[4:5], s[8:9]
	s_or_b64 exec, exec, s[6:7]
	s_and_saveexec_b64 s[6:7], s[4:5]
	s_cbranch_execnz .LBB6_311
	s_branch .LBB6_312
.LBB6_2361:
	s_movk_i32 s4, 0x80
	v_cmp_eq_u16_sdwa s[12:13], v15, s4 src0_sel:BYTE_3 src1_sel:DWORD
	s_mov_b64 s[4:5], -1
                                        ; implicit-def: $sgpr10
	s_and_saveexec_b64 s[8:9], s[12:13]
; %bb.2362:
	s_mov_b32 s10, 0x7f800001
	s_xor_b64 s[4:5], exec, -1
; %bb.2363:
	s_or_b64 exec, exec, s[8:9]
	s_and_b64 s[4:5], s[4:5], exec
	s_or_saveexec_b64 s[6:7], s[6:7]
	v_mov_b32_e32 v10, s10
	s_xor_b64 exec, exec, s[6:7]
	s_cbranch_execz .LBB6_314
.LBB6_2364:
	v_mov_b32_e32 v10, 0
	v_cmp_ne_u16_sdwa s[8:9], v15, v10 src0_sel:BYTE_3 src1_sel:DWORD
	s_andn2_b64 s[4:5], s[4:5], exec
	s_and_b64 s[8:9], s[8:9], exec
	s_or_b64 s[4:5], s[4:5], s[8:9]
	s_or_b64 exec, exec, s[6:7]
	s_and_saveexec_b64 s[6:7], s[4:5]
	s_cbranch_execnz .LBB6_315
	s_branch .LBB6_316
.LBB6_2365:
	s_movk_i32 s4, 0x80
	v_cmp_eq_u16_sdwa s[12:13], v11, s4 src0_sel:BYTE_3 src1_sel:DWORD
	s_mov_b64 s[4:5], -1
                                        ; implicit-def: $sgpr10
	s_and_saveexec_b64 s[8:9], s[12:13]
; %bb.2366:
	s_mov_b32 s10, 0x7f800001
	s_xor_b64 s[4:5], exec, -1
; %bb.2367:
	s_or_b64 exec, exec, s[8:9]
	s_and_b64 s[4:5], s[4:5], exec
	s_or_saveexec_b64 s[6:7], s[6:7]
	v_mov_b32_e32 v14, s10
	s_xor_b64 exec, exec, s[6:7]
	s_cbranch_execz .LBB6_318
.LBB6_2368:
	v_mov_b32_e32 v14, 0
	v_cmp_ne_u16_sdwa s[8:9], v11, v14 src0_sel:BYTE_3 src1_sel:DWORD
	s_andn2_b64 s[4:5], s[4:5], exec
	s_and_b64 s[8:9], s[8:9], exec
	s_or_b64 s[4:5], s[4:5], s[8:9]
	s_or_b64 exec, exec, s[6:7]
	s_and_saveexec_b64 s[6:7], s[4:5]
	s_cbranch_execnz .LBB6_319
	s_branch .LBB6_320
.LBB6_2369:
	s_movk_i32 s4, 0x80
	v_cmp_eq_u16_sdwa s[12:13], v16, s4 src0_sel:BYTE_0 src1_sel:DWORD
	s_mov_b64 s[4:5], -1
                                        ; implicit-def: $sgpr10
	s_and_saveexec_b64 s[8:9], s[12:13]
; %bb.2370:
	s_mov_b32 s10, 0x7f800001
	s_xor_b64 s[4:5], exec, -1
; %bb.2371:
	s_or_b64 exec, exec, s[8:9]
	s_and_b64 s[4:5], s[4:5], exec
	s_or_saveexec_b64 s[6:7], s[6:7]
	v_mov_b32_e32 v10, s10
	s_xor_b64 exec, exec, s[6:7]
	s_cbranch_execz .LBB6_322
.LBB6_2372:
	v_mov_b32_e32 v10, 0
	v_cmp_ne_u16_sdwa s[8:9], v16, v10 src0_sel:BYTE_0 src1_sel:DWORD
	s_andn2_b64 s[4:5], s[4:5], exec
	s_and_b64 s[8:9], s[8:9], exec
	s_or_b64 s[4:5], s[4:5], s[8:9]
	s_or_b64 exec, exec, s[6:7]
	s_and_saveexec_b64 s[6:7], s[4:5]
	s_cbranch_execnz .LBB6_323
	s_branch .LBB6_324
.LBB6_2373:
	s_movk_i32 s4, 0x80
	v_cmp_eq_u16_sdwa s[12:13], v12, s4 src0_sel:BYTE_0 src1_sel:DWORD
	s_mov_b64 s[4:5], -1
                                        ; implicit-def: $sgpr10
	s_and_saveexec_b64 s[8:9], s[12:13]
; %bb.2374:
	s_mov_b32 s10, 0x7f800001
	s_xor_b64 s[4:5], exec, -1
; %bb.2375:
	s_or_b64 exec, exec, s[8:9]
	s_and_b64 s[4:5], s[4:5], exec
	s_or_saveexec_b64 s[6:7], s[6:7]
	v_mov_b32_e32 v11, s10
	s_xor_b64 exec, exec, s[6:7]
	s_cbranch_execz .LBB6_326
.LBB6_2376:
	v_mov_b32_e32 v11, 0
	v_cmp_ne_u16_sdwa s[8:9], v12, v11 src0_sel:BYTE_0 src1_sel:DWORD
	s_andn2_b64 s[4:5], s[4:5], exec
	s_and_b64 s[8:9], s[8:9], exec
	s_or_b64 s[4:5], s[4:5], s[8:9]
	s_or_b64 exec, exec, s[6:7]
	s_and_saveexec_b64 s[6:7], s[4:5]
	s_cbranch_execnz .LBB6_327
	s_branch .LBB6_328
.LBB6_2377:
	s_movk_i32 s4, 0x80
	v_cmp_eq_u16_sdwa s[12:13], v11, s4 src0_sel:BYTE_0 src1_sel:DWORD
	s_mov_b64 s[4:5], -1
                                        ; implicit-def: $sgpr10
	s_and_saveexec_b64 s[8:9], s[12:13]
; %bb.2378:
	s_mov_b32 s10, 0x7f800001
	s_xor_b64 s[4:5], exec, -1
; %bb.2379:
	s_or_b64 exec, exec, s[8:9]
	s_and_b64 s[4:5], s[4:5], exec
	s_or_saveexec_b64 s[6:7], s[6:7]
	v_mov_b32_e32 v10, s10
	s_xor_b64 exec, exec, s[6:7]
	s_cbranch_execz .LBB6_330
.LBB6_2380:
	v_mov_b32_e32 v10, 0
	v_cmp_ne_u16_sdwa s[8:9], v11, v10 src0_sel:BYTE_0 src1_sel:DWORD
	s_andn2_b64 s[4:5], s[4:5], exec
	s_and_b64 s[8:9], s[8:9], exec
	s_or_b64 s[4:5], s[4:5], s[8:9]
	s_or_b64 exec, exec, s[6:7]
	s_and_saveexec_b64 s[6:7], s[4:5]
	s_cbranch_execnz .LBB6_331
	s_branch .LBB6_332
.LBB6_2381:
	s_movk_i32 s4, 0x80
	v_cmp_eq_u16_sdwa s[12:13], v11, s4 src0_sel:BYTE_0 src1_sel:DWORD
	s_mov_b64 s[4:5], -1
                                        ; implicit-def: $sgpr10
	s_and_saveexec_b64 s[8:9], s[12:13]
; %bb.2382:
	s_mov_b32 s10, 0x7f800001
	s_xor_b64 s[4:5], exec, -1
; %bb.2383:
	s_or_b64 exec, exec, s[8:9]
	s_and_b64 s[4:5], s[4:5], exec
	s_or_saveexec_b64 s[6:7], s[6:7]
	v_mov_b32_e32 v14, s10
	s_xor_b64 exec, exec, s[6:7]
	s_cbranch_execz .LBB6_334
.LBB6_2384:
	v_mov_b32_e32 v14, 0
	v_cmp_ne_u16_sdwa s[8:9], v11, v14 src0_sel:BYTE_0 src1_sel:DWORD
	s_andn2_b64 s[4:5], s[4:5], exec
	s_and_b64 s[8:9], s[8:9], exec
	s_or_b64 s[4:5], s[4:5], s[8:9]
	s_or_b64 exec, exec, s[6:7]
	s_and_saveexec_b64 s[6:7], s[4:5]
	s_cbranch_execnz .LBB6_335
	s_branch .LBB6_336
.LBB6_2385:
	s_movk_i32 s4, 0x80
	v_cmp_eq_u16_e32 vcc, s4, v11
	s_mov_b64 s[4:5], -1
                                        ; implicit-def: $sgpr10
	s_and_saveexec_b64 s[8:9], vcc
; %bb.2386:
	s_mov_b32 s10, 0x7f800001
	s_xor_b64 s[4:5], exec, -1
; %bb.2387:
	s_or_b64 exec, exec, s[8:9]
	s_and_b64 s[4:5], s[4:5], exec
                                        ; implicit-def: $vgpr11
	s_or_saveexec_b64 s[6:7], s[6:7]
	v_mov_b32_e32 v10, s10
	s_xor_b64 exec, exec, s[6:7]
	s_cbranch_execz .LBB6_338
.LBB6_2388:
	v_cmp_ne_u16_e32 vcc, 0, v11
	s_andn2_b64 s[4:5], s[4:5], exec
	s_and_b64 s[8:9], vcc, exec
	v_mov_b32_e32 v10, 0
	s_or_b64 s[4:5], s[4:5], s[8:9]
	s_or_b64 exec, exec, s[6:7]
	s_and_saveexec_b64 s[6:7], s[4:5]
	s_cbranch_execnz .LBB6_339
	s_branch .LBB6_340
.LBB6_2389:
	s_movk_i32 s4, 0x80
	v_cmp_eq_u16_e32 vcc, s4, v11
	s_mov_b64 s[4:5], -1
                                        ; implicit-def: $sgpr10
	s_and_saveexec_b64 s[8:9], vcc
; %bb.2390:
	s_mov_b32 s10, 0x7f800001
	s_xor_b64 s[4:5], exec, -1
; %bb.2391:
	s_or_b64 exec, exec, s[8:9]
	s_and_b64 s[4:5], s[4:5], exec
                                        ; implicit-def: $vgpr11
	s_or_saveexec_b64 s[6:7], s[6:7]
	v_mov_b32_e32 v14, s10
	s_xor_b64 exec, exec, s[6:7]
	s_cbranch_execz .LBB6_342
.LBB6_2392:
	v_cmp_ne_u16_e32 vcc, 0, v11
	s_andn2_b64 s[4:5], s[4:5], exec
	s_and_b64 s[8:9], vcc, exec
	v_mov_b32_e32 v14, 0
	s_or_b64 s[4:5], s[4:5], s[8:9]
	s_or_b64 exec, exec, s[6:7]
	s_and_saveexec_b64 s[6:7], s[4:5]
	s_cbranch_execnz .LBB6_343
	s_branch .LBB6_344
.LBB6_2393:
	s_movk_i32 s4, 0x80
	v_cmp_eq_u16_sdwa s[12:13], v16, s4 src0_sel:BYTE_3 src1_sel:DWORD
	s_mov_b64 s[4:5], -1
                                        ; implicit-def: $sgpr10
	s_and_saveexec_b64 s[8:9], s[12:13]
; %bb.2394:
	s_mov_b32 s10, 0x7f800001
	s_xor_b64 s[4:5], exec, -1
; %bb.2395:
	s_or_b64 exec, exec, s[8:9]
	s_and_b64 s[4:5], s[4:5], exec
	s_or_saveexec_b64 s[6:7], s[6:7]
	v_mov_b32_e32 v10, s10
	s_xor_b64 exec, exec, s[6:7]
	s_cbranch_execz .LBB6_346
.LBB6_2396:
	v_mov_b32_e32 v10, 0
	v_cmp_ne_u16_sdwa s[8:9], v16, v10 src0_sel:BYTE_3 src1_sel:DWORD
	s_andn2_b64 s[4:5], s[4:5], exec
	s_and_b64 s[8:9], s[8:9], exec
	s_or_b64 s[4:5], s[4:5], s[8:9]
	s_or_b64 exec, exec, s[6:7]
	s_and_saveexec_b64 s[6:7], s[4:5]
	s_cbranch_execnz .LBB6_347
	s_branch .LBB6_348
.LBB6_2397:
	s_movk_i32 s4, 0x80
	v_cmp_eq_u16_sdwa s[12:13], v12, s4 src0_sel:BYTE_3 src1_sel:DWORD
	s_mov_b64 s[4:5], -1
                                        ; implicit-def: $sgpr10
	s_and_saveexec_b64 s[8:9], s[12:13]
; %bb.2398:
	s_mov_b32 s10, 0x7f800001
	s_xor_b64 s[4:5], exec, -1
; %bb.2399:
	s_or_b64 exec, exec, s[8:9]
	s_and_b64 s[4:5], s[4:5], exec
	s_or_saveexec_b64 s[6:7], s[6:7]
	v_mov_b32_e32 v11, s10
	s_xor_b64 exec, exec, s[6:7]
	s_cbranch_execz .LBB6_350
.LBB6_2400:
	v_mov_b32_e32 v11, 0
	v_cmp_ne_u16_sdwa s[8:9], v12, v11 src0_sel:BYTE_3 src1_sel:DWORD
	s_andn2_b64 s[4:5], s[4:5], exec
	s_and_b64 s[8:9], s[8:9], exec
	s_or_b64 s[4:5], s[4:5], s[8:9]
	s_or_b64 exec, exec, s[6:7]
	s_and_saveexec_b64 s[6:7], s[4:5]
	s_cbranch_execnz .LBB6_351
	s_branch .LBB6_352
.LBB6_2401:
	s_movk_i32 s4, 0x80
	v_cmp_eq_u16_sdwa s[12:13], v17, s4 src0_sel:BYTE_0 src1_sel:DWORD
	s_mov_b64 s[4:5], -1
                                        ; implicit-def: $sgpr10
	s_and_saveexec_b64 s[8:9], s[12:13]
; %bb.2402:
	s_mov_b32 s10, 0x7f800001
	s_xor_b64 s[4:5], exec, -1
; %bb.2403:
	s_or_b64 exec, exec, s[8:9]
	s_and_b64 s[4:5], s[4:5], exec
	s_or_saveexec_b64 s[6:7], s[6:7]
	v_mov_b32_e32 v10, s10
	s_xor_b64 exec, exec, s[6:7]
	s_cbranch_execz .LBB6_354
.LBB6_2404:
	v_mov_b32_e32 v10, 0
	v_cmp_ne_u16_sdwa s[8:9], v17, v10 src0_sel:BYTE_0 src1_sel:DWORD
	s_andn2_b64 s[4:5], s[4:5], exec
	s_and_b64 s[8:9], s[8:9], exec
	s_or_b64 s[4:5], s[4:5], s[8:9]
	s_or_b64 exec, exec, s[6:7]
	s_and_saveexec_b64 s[6:7], s[4:5]
	s_cbranch_execnz .LBB6_355
	s_branch .LBB6_356
.LBB6_2405:
	s_movk_i32 s4, 0x80
	v_cmp_eq_u16_sdwa s[12:13], v13, s4 src0_sel:BYTE_0 src1_sel:DWORD
	s_mov_b64 s[4:5], -1
                                        ; implicit-def: $sgpr10
	s_and_saveexec_b64 s[8:9], s[12:13]
; %bb.2406:
	s_mov_b32 s10, 0x7f800001
	s_xor_b64 s[4:5], exec, -1
; %bb.2407:
	s_or_b64 exec, exec, s[8:9]
	s_and_b64 s[4:5], s[4:5], exec
	s_or_saveexec_b64 s[6:7], s[6:7]
	v_mov_b32_e32 v11, s10
	s_xor_b64 exec, exec, s[6:7]
	s_cbranch_execz .LBB6_358
.LBB6_2408:
	v_mov_b32_e32 v11, 0
	v_cmp_ne_u16_sdwa s[8:9], v13, v11 src0_sel:BYTE_0 src1_sel:DWORD
	s_andn2_b64 s[4:5], s[4:5], exec
	s_and_b64 s[8:9], s[8:9], exec
	s_or_b64 s[4:5], s[4:5], s[8:9]
	s_or_b64 exec, exec, s[6:7]
	s_and_saveexec_b64 s[6:7], s[4:5]
	s_cbranch_execnz .LBB6_359
	s_branch .LBB6_360
.LBB6_2409:
	s_movk_i32 s4, 0x80
	v_cmp_eq_u16_sdwa s[12:13], v11, s4 src0_sel:BYTE_0 src1_sel:DWORD
	s_mov_b64 s[4:5], -1
                                        ; implicit-def: $sgpr10
	s_and_saveexec_b64 s[8:9], s[12:13]
; %bb.2410:
	s_mov_b32 s10, 0x7f800001
	s_xor_b64 s[4:5], exec, -1
; %bb.2411:
	s_or_b64 exec, exec, s[8:9]
	s_and_b64 s[4:5], s[4:5], exec
	s_or_saveexec_b64 s[6:7], s[6:7]
	v_mov_b32_e32 v10, s10
	s_xor_b64 exec, exec, s[6:7]
	s_cbranch_execz .LBB6_362
.LBB6_2412:
	v_mov_b32_e32 v10, 0
	v_cmp_ne_u16_sdwa s[8:9], v11, v10 src0_sel:BYTE_0 src1_sel:DWORD
	s_andn2_b64 s[4:5], s[4:5], exec
	s_and_b64 s[8:9], s[8:9], exec
	s_or_b64 s[4:5], s[4:5], s[8:9]
	s_or_b64 exec, exec, s[6:7]
	s_and_saveexec_b64 s[6:7], s[4:5]
	s_cbranch_execnz .LBB6_363
	s_branch .LBB6_364
.LBB6_2413:
	s_movk_i32 s4, 0x80
	v_cmp_eq_u16_sdwa s[12:13], v11, s4 src0_sel:BYTE_0 src1_sel:DWORD
	s_mov_b64 s[4:5], -1
                                        ; implicit-def: $sgpr10
	s_and_saveexec_b64 s[8:9], s[12:13]
; %bb.2414:
	s_mov_b32 s10, 0x7f800001
	s_xor_b64 s[4:5], exec, -1
; %bb.2415:
	s_or_b64 exec, exec, s[8:9]
	s_and_b64 s[4:5], s[4:5], exec
	s_or_saveexec_b64 s[6:7], s[6:7]
	v_mov_b32_e32 v12, s10
	s_xor_b64 exec, exec, s[6:7]
	s_cbranch_execz .LBB6_366
.LBB6_2416:
	v_mov_b32_e32 v12, 0
	v_cmp_ne_u16_sdwa s[8:9], v11, v12 src0_sel:BYTE_0 src1_sel:DWORD
	s_andn2_b64 s[4:5], s[4:5], exec
	s_and_b64 s[8:9], s[8:9], exec
	s_or_b64 s[4:5], s[4:5], s[8:9]
	s_or_b64 exec, exec, s[6:7]
	s_and_saveexec_b64 s[6:7], s[4:5]
	s_cbranch_execnz .LBB6_367
	s_branch .LBB6_368
.LBB6_2417:
	s_movk_i32 s4, 0x80
	v_cmp_eq_u16_e32 vcc, s4, v11
	s_mov_b64 s[4:5], -1
                                        ; implicit-def: $sgpr10
	s_and_saveexec_b64 s[8:9], vcc
; %bb.2418:
	s_mov_b32 s10, 0x7f800001
	s_xor_b64 s[4:5], exec, -1
; %bb.2419:
	s_or_b64 exec, exec, s[8:9]
	s_and_b64 s[4:5], s[4:5], exec
                                        ; implicit-def: $vgpr11
	s_or_saveexec_b64 s[6:7], s[6:7]
	v_mov_b32_e32 v10, s10
	s_xor_b64 exec, exec, s[6:7]
	s_cbranch_execz .LBB6_370
.LBB6_2420:
	v_cmp_ne_u16_e32 vcc, 0, v11
	s_andn2_b64 s[4:5], s[4:5], exec
	s_and_b64 s[8:9], vcc, exec
	v_mov_b32_e32 v10, 0
	s_or_b64 s[4:5], s[4:5], s[8:9]
	s_or_b64 exec, exec, s[6:7]
	s_and_saveexec_b64 s[6:7], s[4:5]
	s_cbranch_execnz .LBB6_371
	s_branch .LBB6_372
.LBB6_2421:
	s_movk_i32 s4, 0x80
	v_cmp_eq_u16_e32 vcc, s4, v11
	s_mov_b64 s[4:5], -1
                                        ; implicit-def: $sgpr10
	s_and_saveexec_b64 s[8:9], vcc
; %bb.2422:
	s_mov_b32 s10, 0x7f800001
	s_xor_b64 s[4:5], exec, -1
; %bb.2423:
	s_or_b64 exec, exec, s[8:9]
	s_and_b64 s[4:5], s[4:5], exec
                                        ; implicit-def: $vgpr11
	s_or_saveexec_b64 s[6:7], s[6:7]
	v_mov_b32_e32 v12, s10
	s_xor_b64 exec, exec, s[6:7]
	s_cbranch_execz .LBB6_374
.LBB6_2424:
	v_cmp_ne_u16_e32 vcc, 0, v11
	s_andn2_b64 s[4:5], s[4:5], exec
	s_and_b64 s[8:9], vcc, exec
	v_mov_b32_e32 v12, 0
	s_or_b64 s[4:5], s[4:5], s[8:9]
	s_or_b64 exec, exec, s[6:7]
	s_and_saveexec_b64 s[6:7], s[4:5]
	s_cbranch_execnz .LBB6_375
	s_branch .LBB6_376
.LBB6_2425:
	s_movk_i32 s4, 0x80
	v_cmp_eq_u16_sdwa s[12:13], v17, s4 src0_sel:BYTE_3 src1_sel:DWORD
	s_mov_b64 s[4:5], -1
                                        ; implicit-def: $sgpr10
	s_and_saveexec_b64 s[8:9], s[12:13]
; %bb.2426:
	s_mov_b32 s10, 0x7f800001
	s_xor_b64 s[4:5], exec, -1
; %bb.2427:
	s_or_b64 exec, exec, s[8:9]
	s_and_b64 s[4:5], s[4:5], exec
	s_or_saveexec_b64 s[6:7], s[6:7]
	v_mov_b32_e32 v10, s10
	s_xor_b64 exec, exec, s[6:7]
	s_cbranch_execz .LBB6_378
.LBB6_2428:
	v_mov_b32_e32 v10, 0
	v_cmp_ne_u16_sdwa s[8:9], v17, v10 src0_sel:BYTE_3 src1_sel:DWORD
	s_andn2_b64 s[4:5], s[4:5], exec
	s_and_b64 s[8:9], s[8:9], exec
	s_or_b64 s[4:5], s[4:5], s[8:9]
	s_or_b64 exec, exec, s[6:7]
	s_and_saveexec_b64 s[6:7], s[4:5]
	s_cbranch_execnz .LBB6_379
	s_branch .LBB6_380
.LBB6_2429:
	s_movk_i32 s4, 0x80
	v_cmp_eq_u16_sdwa s[12:13], v13, s4 src0_sel:BYTE_3 src1_sel:DWORD
	s_mov_b64 s[4:5], -1
                                        ; implicit-def: $sgpr10
	s_and_saveexec_b64 s[8:9], s[12:13]
; %bb.2430:
	s_mov_b32 s10, 0x7f800001
	s_xor_b64 s[4:5], exec, -1
; %bb.2431:
	s_or_b64 exec, exec, s[8:9]
	s_and_b64 s[4:5], s[4:5], exec
	s_or_saveexec_b64 s[6:7], s[6:7]
	v_mov_b32_e32 v11, s10
	s_xor_b64 exec, exec, s[6:7]
	s_cbranch_execz .LBB6_382
.LBB6_2432:
	v_mov_b32_e32 v11, 0
	v_cmp_ne_u16_sdwa s[8:9], v13, v11 src0_sel:BYTE_3 src1_sel:DWORD
	s_andn2_b64 s[4:5], s[4:5], exec
	s_and_b64 s[8:9], s[8:9], exec
	s_or_b64 s[4:5], s[4:5], s[8:9]
	s_or_b64 exec, exec, s[6:7]
	s_and_saveexec_b64 s[6:7], s[4:5]
	s_cbranch_execnz .LBB6_383
	s_branch .LBB6_384
.LBB6_2433:
	s_movk_i32 s4, 0x80
	v_cmp_eq_u16_sdwa s[12:13], v6, s4 src0_sel:BYTE_0 src1_sel:DWORD
	s_mov_b64 s[4:5], -1
                                        ; implicit-def: $sgpr10
	s_and_saveexec_b64 s[8:9], s[12:13]
; %bb.2434:
	s_mov_b32 s10, 0x7f800001
	s_xor_b64 s[4:5], exec, -1
; %bb.2435:
	s_or_b64 exec, exec, s[8:9]
	s_and_b64 s[4:5], s[4:5], exec
	s_or_saveexec_b64 s[6:7], s[6:7]
	v_mov_b32_e32 v10, s10
	s_xor_b64 exec, exec, s[6:7]
	s_cbranch_execz .LBB6_386
.LBB6_2436:
	v_mov_b32_e32 v10, 0
	v_cmp_ne_u16_sdwa s[8:9], v6, v10 src0_sel:BYTE_0 src1_sel:DWORD
	s_andn2_b64 s[4:5], s[4:5], exec
	s_and_b64 s[8:9], s[8:9], exec
	s_or_b64 s[4:5], s[4:5], s[8:9]
	s_or_b64 exec, exec, s[6:7]
	s_and_saveexec_b64 s[6:7], s[4:5]
	s_cbranch_execnz .LBB6_387
	s_branch .LBB6_388
.LBB6_2437:
	s_movk_i32 s4, 0x80
	v_cmp_eq_u16_sdwa s[12:13], v2, s4 src0_sel:BYTE_0 src1_sel:DWORD
	s_mov_b64 s[4:5], -1
                                        ; implicit-def: $sgpr10
	s_and_saveexec_b64 s[8:9], s[12:13]
; %bb.2438:
	s_mov_b32 s10, 0x7f800001
	s_xor_b64 s[4:5], exec, -1
; %bb.2439:
	s_or_b64 exec, exec, s[8:9]
	s_and_b64 s[4:5], s[4:5], exec
	s_or_saveexec_b64 s[6:7], s[6:7]
	v_mov_b32_e32 v11, s10
	s_xor_b64 exec, exec, s[6:7]
	s_cbranch_execz .LBB6_390
.LBB6_2440:
	v_mov_b32_e32 v11, 0
	v_cmp_ne_u16_sdwa s[8:9], v2, v11 src0_sel:BYTE_0 src1_sel:DWORD
	s_andn2_b64 s[4:5], s[4:5], exec
	s_and_b64 s[8:9], s[8:9], exec
	s_or_b64 s[4:5], s[4:5], s[8:9]
	s_or_b64 exec, exec, s[6:7]
	s_and_saveexec_b64 s[6:7], s[4:5]
	s_cbranch_execnz .LBB6_391
	s_branch .LBB6_392
.LBB6_2441:
	s_movk_i32 s4, 0x80
	v_cmp_eq_u16_sdwa s[12:13], v11, s4 src0_sel:BYTE_0 src1_sel:DWORD
	s_mov_b64 s[4:5], -1
                                        ; implicit-def: $sgpr10
	s_and_saveexec_b64 s[8:9], s[12:13]
; %bb.2442:
	s_mov_b32 s10, 0x7f800001
	s_xor_b64 s[4:5], exec, -1
; %bb.2443:
	s_or_b64 exec, exec, s[8:9]
	s_and_b64 s[4:5], s[4:5], exec
	s_or_saveexec_b64 s[6:7], s[6:7]
	v_mov_b32_e32 v10, s10
	s_xor_b64 exec, exec, s[6:7]
	s_cbranch_execz .LBB6_394
.LBB6_2444:
	v_mov_b32_e32 v10, 0
	v_cmp_ne_u16_sdwa s[8:9], v11, v10 src0_sel:BYTE_0 src1_sel:DWORD
	s_andn2_b64 s[4:5], s[4:5], exec
	s_and_b64 s[8:9], s[8:9], exec
	s_or_b64 s[4:5], s[4:5], s[8:9]
	s_or_b64 exec, exec, s[6:7]
	s_and_saveexec_b64 s[6:7], s[4:5]
	s_cbranch_execnz .LBB6_395
	s_branch .LBB6_396
.LBB6_2445:
	s_movk_i32 s4, 0x80
	v_cmp_eq_u16_sdwa s[12:13], v11, s4 src0_sel:BYTE_0 src1_sel:DWORD
	s_mov_b64 s[4:5], -1
                                        ; implicit-def: $sgpr10
	s_and_saveexec_b64 s[8:9], s[12:13]
; %bb.2446:
	s_mov_b32 s10, 0x7f800001
	s_xor_b64 s[4:5], exec, -1
; %bb.2447:
	s_or_b64 exec, exec, s[8:9]
	s_and_b64 s[4:5], s[4:5], exec
	s_or_saveexec_b64 s[6:7], s[6:7]
	v_mov_b32_e32 v12, s10
	s_xor_b64 exec, exec, s[6:7]
	s_cbranch_execz .LBB6_398
.LBB6_2448:
	v_mov_b32_e32 v12, 0
	v_cmp_ne_u16_sdwa s[8:9], v11, v12 src0_sel:BYTE_0 src1_sel:DWORD
	s_andn2_b64 s[4:5], s[4:5], exec
	s_and_b64 s[8:9], s[8:9], exec
	s_or_b64 s[4:5], s[4:5], s[8:9]
	s_or_b64 exec, exec, s[6:7]
	s_and_saveexec_b64 s[6:7], s[4:5]
	s_cbranch_execnz .LBB6_399
	s_branch .LBB6_400
.LBB6_2449:
	s_movk_i32 s4, 0x80
	v_cmp_eq_u16_e32 vcc, s4, v11
	s_mov_b64 s[4:5], -1
                                        ; implicit-def: $sgpr10
	s_and_saveexec_b64 s[8:9], vcc
; %bb.2450:
	s_mov_b32 s10, 0x7f800001
	s_xor_b64 s[4:5], exec, -1
; %bb.2451:
	s_or_b64 exec, exec, s[8:9]
	s_and_b64 s[4:5], s[4:5], exec
                                        ; implicit-def: $vgpr11
	s_or_saveexec_b64 s[6:7], s[6:7]
	v_mov_b32_e32 v10, s10
	s_xor_b64 exec, exec, s[6:7]
	s_cbranch_execz .LBB6_402
.LBB6_2452:
	v_cmp_ne_u16_e32 vcc, 0, v11
	s_andn2_b64 s[4:5], s[4:5], exec
	s_and_b64 s[8:9], vcc, exec
	v_mov_b32_e32 v10, 0
	s_or_b64 s[4:5], s[4:5], s[8:9]
	s_or_b64 exec, exec, s[6:7]
	s_and_saveexec_b64 s[6:7], s[4:5]
	s_cbranch_execnz .LBB6_403
	s_branch .LBB6_404
.LBB6_2453:
	s_movk_i32 s4, 0x80
	v_cmp_eq_u16_e32 vcc, s4, v11
	s_mov_b64 s[4:5], -1
                                        ; implicit-def: $sgpr10
	s_and_saveexec_b64 s[8:9], vcc
; %bb.2454:
	s_mov_b32 s10, 0x7f800001
	s_xor_b64 s[4:5], exec, -1
; %bb.2455:
	s_or_b64 exec, exec, s[8:9]
	s_and_b64 s[4:5], s[4:5], exec
                                        ; implicit-def: $vgpr11
	s_or_saveexec_b64 s[6:7], s[6:7]
	v_mov_b32_e32 v12, s10
	s_xor_b64 exec, exec, s[6:7]
	s_cbranch_execz .LBB6_406
.LBB6_2456:
	v_cmp_ne_u16_e32 vcc, 0, v11
	s_andn2_b64 s[4:5], s[4:5], exec
	s_and_b64 s[8:9], vcc, exec
	v_mov_b32_e32 v12, 0
	s_or_b64 s[4:5], s[4:5], s[8:9]
	s_or_b64 exec, exec, s[6:7]
	s_and_saveexec_b64 s[6:7], s[4:5]
	s_cbranch_execnz .LBB6_407
	s_branch .LBB6_408
.LBB6_2457:
	s_movk_i32 s4, 0x80
	v_cmp_eq_u16_sdwa s[12:13], v6, s4 src0_sel:BYTE_3 src1_sel:DWORD
	s_mov_b64 s[4:5], -1
                                        ; implicit-def: $sgpr10
	s_and_saveexec_b64 s[8:9], s[12:13]
; %bb.2458:
	s_mov_b32 s10, 0x7f800001
	s_xor_b64 s[4:5], exec, -1
; %bb.2459:
	s_or_b64 exec, exec, s[8:9]
	s_and_b64 s[4:5], s[4:5], exec
	s_or_saveexec_b64 s[6:7], s[6:7]
	v_mov_b32_e32 v10, s10
	s_xor_b64 exec, exec, s[6:7]
	s_cbranch_execz .LBB6_410
.LBB6_2460:
	v_mov_b32_e32 v10, 0
	v_cmp_ne_u16_sdwa s[8:9], v6, v10 src0_sel:BYTE_3 src1_sel:DWORD
	s_andn2_b64 s[4:5], s[4:5], exec
	s_and_b64 s[8:9], s[8:9], exec
	s_or_b64 s[4:5], s[4:5], s[8:9]
	s_or_b64 exec, exec, s[6:7]
	s_and_saveexec_b64 s[6:7], s[4:5]
	s_cbranch_execnz .LBB6_411
	s_branch .LBB6_412
.LBB6_2461:
	s_movk_i32 s4, 0x80
	v_cmp_eq_u16_sdwa s[12:13], v2, s4 src0_sel:BYTE_3 src1_sel:DWORD
	s_mov_b64 s[4:5], -1
                                        ; implicit-def: $sgpr10
	s_and_saveexec_b64 s[8:9], s[12:13]
; %bb.2462:
	s_mov_b32 s10, 0x7f800001
	s_xor_b64 s[4:5], exec, -1
; %bb.2463:
	s_or_b64 exec, exec, s[8:9]
	s_and_b64 s[4:5], s[4:5], exec
	s_or_saveexec_b64 s[6:7], s[6:7]
	v_mov_b32_e32 v6, s10
	s_xor_b64 exec, exec, s[6:7]
	s_cbranch_execz .LBB6_414
.LBB6_2464:
	v_mov_b32_e32 v6, 0
	v_cmp_ne_u16_sdwa s[8:9], v2, v6 src0_sel:BYTE_3 src1_sel:DWORD
	s_andn2_b64 s[4:5], s[4:5], exec
	s_and_b64 s[8:9], s[8:9], exec
	s_or_b64 s[4:5], s[4:5], s[8:9]
	s_or_b64 exec, exec, s[6:7]
	s_and_saveexec_b64 s[6:7], s[4:5]
	s_cbranch_execnz .LBB6_415
	s_branch .LBB6_416
.LBB6_2465:
	s_movk_i32 s4, 0x80
	v_cmp_eq_u16_sdwa s[12:13], v7, s4 src0_sel:BYTE_0 src1_sel:DWORD
	s_mov_b64 s[4:5], -1
                                        ; implicit-def: $sgpr10
	s_and_saveexec_b64 s[8:9], s[12:13]
; %bb.2466:
	s_mov_b32 s10, 0x7f800001
	s_xor_b64 s[4:5], exec, -1
; %bb.2467:
	s_or_b64 exec, exec, s[8:9]
	s_and_b64 s[4:5], s[4:5], exec
	s_or_saveexec_b64 s[6:7], s[6:7]
	v_mov_b32_e32 v2, s10
	s_xor_b64 exec, exec, s[6:7]
	s_cbranch_execz .LBB6_418
.LBB6_2468:
	v_mov_b32_e32 v2, 0
	v_cmp_ne_u16_sdwa s[8:9], v7, v2 src0_sel:BYTE_0 src1_sel:DWORD
	s_andn2_b64 s[4:5], s[4:5], exec
	s_and_b64 s[8:9], s[8:9], exec
	s_or_b64 s[4:5], s[4:5], s[8:9]
	s_or_b64 exec, exec, s[6:7]
	s_and_saveexec_b64 s[6:7], s[4:5]
	s_cbranch_execnz .LBB6_419
	s_branch .LBB6_420
.LBB6_2469:
	s_movk_i32 s4, 0x80
	v_cmp_eq_u16_sdwa s[12:13], v3, s4 src0_sel:BYTE_0 src1_sel:DWORD
	s_mov_b64 s[4:5], -1
                                        ; implicit-def: $sgpr10
	s_and_saveexec_b64 s[8:9], s[12:13]
; %bb.2470:
	s_mov_b32 s10, 0x7f800001
	s_xor_b64 s[4:5], exec, -1
; %bb.2471:
	s_or_b64 exec, exec, s[8:9]
	s_and_b64 s[4:5], s[4:5], exec
	s_or_saveexec_b64 s[6:7], s[6:7]
	v_mov_b32_e32 v6, s10
	s_xor_b64 exec, exec, s[6:7]
	s_cbranch_execz .LBB6_422
.LBB6_2472:
	v_mov_b32_e32 v6, 0
	v_cmp_ne_u16_sdwa s[8:9], v3, v6 src0_sel:BYTE_0 src1_sel:DWORD
	s_andn2_b64 s[4:5], s[4:5], exec
	s_and_b64 s[8:9], s[8:9], exec
	s_or_b64 s[4:5], s[4:5], s[8:9]
	s_or_b64 exec, exec, s[6:7]
	s_and_saveexec_b64 s[6:7], s[4:5]
	s_cbranch_execnz .LBB6_423
	s_branch .LBB6_424
.LBB6_2473:
	s_movk_i32 s4, 0x80
	v_cmp_eq_u16_sdwa s[12:13], v6, s4 src0_sel:BYTE_0 src1_sel:DWORD
	s_mov_b64 s[4:5], -1
                                        ; implicit-def: $sgpr10
	s_and_saveexec_b64 s[8:9], s[12:13]
; %bb.2474:
	s_mov_b32 s10, 0x7f800001
	s_xor_b64 s[4:5], exec, -1
; %bb.2475:
	s_or_b64 exec, exec, s[8:9]
	s_and_b64 s[4:5], s[4:5], exec
	s_or_saveexec_b64 s[6:7], s[6:7]
	v_mov_b32_e32 v2, s10
	s_xor_b64 exec, exec, s[6:7]
	s_cbranch_execz .LBB6_426
.LBB6_2476:
	v_mov_b32_e32 v2, 0
	v_cmp_ne_u16_sdwa s[8:9], v6, v2 src0_sel:BYTE_0 src1_sel:DWORD
	s_andn2_b64 s[4:5], s[4:5], exec
	s_and_b64 s[8:9], s[8:9], exec
	s_or_b64 s[4:5], s[4:5], s[8:9]
	s_or_b64 exec, exec, s[6:7]
	s_and_saveexec_b64 s[6:7], s[4:5]
	s_cbranch_execnz .LBB6_427
	s_branch .LBB6_428
.LBB6_2477:
	s_movk_i32 s4, 0x80
	v_cmp_eq_u16_sdwa s[12:13], v6, s4 src0_sel:BYTE_0 src1_sel:DWORD
	s_mov_b64 s[4:5], -1
                                        ; implicit-def: $sgpr10
	s_and_saveexec_b64 s[8:9], s[12:13]
; %bb.2478:
	s_mov_b32 s10, 0x7f800001
	s_xor_b64 s[4:5], exec, -1
; %bb.2479:
	s_or_b64 exec, exec, s[8:9]
	s_and_b64 s[4:5], s[4:5], exec
	s_or_saveexec_b64 s[6:7], s[6:7]
	v_mov_b32_e32 v10, s10
	s_xor_b64 exec, exec, s[6:7]
	s_cbranch_execz .LBB6_430
.LBB6_2480:
	v_mov_b32_e32 v10, 0
	v_cmp_ne_u16_sdwa s[8:9], v6, v10 src0_sel:BYTE_0 src1_sel:DWORD
	s_andn2_b64 s[4:5], s[4:5], exec
	s_and_b64 s[8:9], s[8:9], exec
	s_or_b64 s[4:5], s[4:5], s[8:9]
	s_or_b64 exec, exec, s[6:7]
	s_and_saveexec_b64 s[6:7], s[4:5]
	s_cbranch_execnz .LBB6_431
	s_branch .LBB6_432
.LBB6_2481:
	s_movk_i32 s4, 0x80
	v_cmp_eq_u16_e32 vcc, s4, v6
	s_mov_b64 s[4:5], -1
                                        ; implicit-def: $sgpr10
	s_and_saveexec_b64 s[8:9], vcc
; %bb.2482:
	s_mov_b32 s10, 0x7f800001
	s_xor_b64 s[4:5], exec, -1
; %bb.2483:
	s_or_b64 exec, exec, s[8:9]
	s_and_b64 s[4:5], s[4:5], exec
                                        ; implicit-def: $vgpr6
	s_or_saveexec_b64 s[6:7], s[6:7]
	v_mov_b32_e32 v2, s10
	s_xor_b64 exec, exec, s[6:7]
	s_cbranch_execz .LBB6_434
.LBB6_2484:
	v_cmp_ne_u16_e32 vcc, 0, v6
	s_andn2_b64 s[4:5], s[4:5], exec
	s_and_b64 s[8:9], vcc, exec
	v_mov_b32_e32 v2, 0
	s_or_b64 s[4:5], s[4:5], s[8:9]
	s_or_b64 exec, exec, s[6:7]
	s_and_saveexec_b64 s[6:7], s[4:5]
	s_cbranch_execnz .LBB6_435
	s_branch .LBB6_436
.LBB6_2485:
	s_movk_i32 s4, 0x80
	v_cmp_eq_u16_e32 vcc, s4, v6
	s_mov_b64 s[4:5], -1
                                        ; implicit-def: $sgpr10
	s_and_saveexec_b64 s[8:9], vcc
; %bb.2486:
	s_mov_b32 s10, 0x7f800001
	s_xor_b64 s[4:5], exec, -1
; %bb.2487:
	s_or_b64 exec, exec, s[8:9]
	s_and_b64 s[4:5], s[4:5], exec
                                        ; implicit-def: $vgpr6
	s_or_saveexec_b64 s[6:7], s[6:7]
	v_mov_b32_e32 v10, s10
	s_xor_b64 exec, exec, s[6:7]
	s_cbranch_execz .LBB6_438
.LBB6_2488:
	v_cmp_ne_u16_e32 vcc, 0, v6
	s_andn2_b64 s[4:5], s[4:5], exec
	s_and_b64 s[8:9], vcc, exec
	v_mov_b32_e32 v10, 0
	s_or_b64 s[4:5], s[4:5], s[8:9]
	s_or_b64 exec, exec, s[6:7]
	s_and_saveexec_b64 s[6:7], s[4:5]
	s_cbranch_execnz .LBB6_439
	s_branch .LBB6_440
.LBB6_2489:
	s_movk_i32 s4, 0x80
	v_cmp_eq_u16_sdwa s[12:13], v7, s4 src0_sel:BYTE_3 src1_sel:DWORD
	s_mov_b64 s[4:5], -1
                                        ; implicit-def: $sgpr10
	s_and_saveexec_b64 s[8:9], s[12:13]
; %bb.2490:
	s_mov_b32 s10, 0x7f800001
	s_xor_b64 s[4:5], exec, -1
; %bb.2491:
	s_or_b64 exec, exec, s[8:9]
	s_and_b64 s[4:5], s[4:5], exec
	s_or_saveexec_b64 s[6:7], s[6:7]
	v_mov_b32_e32 v2, s10
	s_xor_b64 exec, exec, s[6:7]
	s_cbranch_execz .LBB6_442
.LBB6_2492:
	v_mov_b32_e32 v2, 0
	v_cmp_ne_u16_sdwa s[8:9], v7, v2 src0_sel:BYTE_3 src1_sel:DWORD
	s_andn2_b64 s[4:5], s[4:5], exec
	s_and_b64 s[8:9], s[8:9], exec
	s_or_b64 s[4:5], s[4:5], s[8:9]
	s_or_b64 exec, exec, s[6:7]
	s_and_saveexec_b64 s[6:7], s[4:5]
	s_cbranch_execnz .LBB6_443
	s_branch .LBB6_444
.LBB6_2493:
	s_movk_i32 s4, 0x80
	v_cmp_eq_u16_sdwa s[12:13], v3, s4 src0_sel:BYTE_3 src1_sel:DWORD
	s_mov_b64 s[4:5], -1
                                        ; implicit-def: $sgpr10
	s_and_saveexec_b64 s[8:9], s[12:13]
; %bb.2494:
	s_mov_b32 s10, 0x7f800001
	s_xor_b64 s[4:5], exec, -1
; %bb.2495:
	s_or_b64 exec, exec, s[8:9]
	s_and_b64 s[4:5], s[4:5], exec
	s_or_saveexec_b64 s[6:7], s[6:7]
	v_mov_b32_e32 v6, s10
	s_xor_b64 exec, exec, s[6:7]
	s_cbranch_execz .LBB6_446
.LBB6_2496:
	v_mov_b32_e32 v6, 0
	v_cmp_ne_u16_sdwa s[8:9], v3, v6 src0_sel:BYTE_3 src1_sel:DWORD
	s_andn2_b64 s[4:5], s[4:5], exec
	s_and_b64 s[8:9], s[8:9], exec
	s_or_b64 s[4:5], s[4:5], s[8:9]
	s_or_b64 exec, exec, s[6:7]
	s_and_saveexec_b64 s[6:7], s[4:5]
	s_cbranch_execnz .LBB6_447
	s_branch .LBB6_448
.LBB6_2497:
	s_movk_i32 s4, 0x80
	v_cmp_eq_u16_sdwa s[12:13], v8, s4 src0_sel:BYTE_0 src1_sel:DWORD
	s_mov_b64 s[4:5], -1
                                        ; implicit-def: $sgpr10
	s_and_saveexec_b64 s[8:9], s[12:13]
; %bb.2498:
	s_mov_b32 s10, 0x7f800001
	s_xor_b64 s[4:5], exec, -1
; %bb.2499:
	s_or_b64 exec, exec, s[8:9]
	s_and_b64 s[4:5], s[4:5], exec
	s_or_saveexec_b64 s[6:7], s[6:7]
	v_mov_b32_e32 v2, s10
	s_xor_b64 exec, exec, s[6:7]
	s_cbranch_execz .LBB6_450
.LBB6_2500:
	v_mov_b32_e32 v2, 0
	v_cmp_ne_u16_sdwa s[8:9], v8, v2 src0_sel:BYTE_0 src1_sel:DWORD
	s_andn2_b64 s[4:5], s[4:5], exec
	s_and_b64 s[8:9], s[8:9], exec
	s_or_b64 s[4:5], s[4:5], s[8:9]
	s_or_b64 exec, exec, s[6:7]
	s_and_saveexec_b64 s[6:7], s[4:5]
	s_cbranch_execnz .LBB6_451
	s_branch .LBB6_452
.LBB6_2501:
	s_movk_i32 s4, 0x80
	v_cmp_eq_u16_sdwa s[12:13], v4, s4 src0_sel:BYTE_0 src1_sel:DWORD
	s_mov_b64 s[4:5], -1
                                        ; implicit-def: $sgpr10
	s_and_saveexec_b64 s[8:9], s[12:13]
; %bb.2502:
	s_mov_b32 s10, 0x7f800001
	s_xor_b64 s[4:5], exec, -1
; %bb.2503:
	s_or_b64 exec, exec, s[8:9]
	s_and_b64 s[4:5], s[4:5], exec
	s_or_saveexec_b64 s[6:7], s[6:7]
	v_mov_b32_e32 v3, s10
	s_xor_b64 exec, exec, s[6:7]
	s_cbranch_execz .LBB6_454
.LBB6_2504:
	v_mov_b32_e32 v3, 0
	v_cmp_ne_u16_sdwa s[8:9], v4, v3 src0_sel:BYTE_0 src1_sel:DWORD
	s_andn2_b64 s[4:5], s[4:5], exec
	s_and_b64 s[8:9], s[8:9], exec
	s_or_b64 s[4:5], s[4:5], s[8:9]
	s_or_b64 exec, exec, s[6:7]
	s_and_saveexec_b64 s[6:7], s[4:5]
	s_cbranch_execnz .LBB6_455
	s_branch .LBB6_456
.LBB6_2505:
	s_movk_i32 s4, 0x80
	v_cmp_eq_u16_sdwa s[12:13], v3, s4 src0_sel:BYTE_0 src1_sel:DWORD
	s_mov_b64 s[4:5], -1
                                        ; implicit-def: $sgpr10
	s_and_saveexec_b64 s[8:9], s[12:13]
; %bb.2506:
	s_mov_b32 s10, 0x7f800001
	s_xor_b64 s[4:5], exec, -1
; %bb.2507:
	s_or_b64 exec, exec, s[8:9]
	s_and_b64 s[4:5], s[4:5], exec
	s_or_saveexec_b64 s[6:7], s[6:7]
	v_mov_b32_e32 v2, s10
	s_xor_b64 exec, exec, s[6:7]
	s_cbranch_execz .LBB6_458
.LBB6_2508:
	v_mov_b32_e32 v2, 0
	v_cmp_ne_u16_sdwa s[8:9], v3, v2 src0_sel:BYTE_0 src1_sel:DWORD
	s_andn2_b64 s[4:5], s[4:5], exec
	s_and_b64 s[8:9], s[8:9], exec
	s_or_b64 s[4:5], s[4:5], s[8:9]
	s_or_b64 exec, exec, s[6:7]
	s_and_saveexec_b64 s[6:7], s[4:5]
	s_cbranch_execnz .LBB6_459
	s_branch .LBB6_460
.LBB6_2509:
	s_movk_i32 s4, 0x80
	v_cmp_eq_u16_sdwa s[12:13], v3, s4 src0_sel:BYTE_0 src1_sel:DWORD
	s_mov_b64 s[4:5], -1
                                        ; implicit-def: $sgpr10
	s_and_saveexec_b64 s[8:9], s[12:13]
; %bb.2510:
	s_mov_b32 s10, 0x7f800001
	s_xor_b64 s[4:5], exec, -1
; %bb.2511:
	s_or_b64 exec, exec, s[8:9]
	s_and_b64 s[4:5], s[4:5], exec
	s_or_saveexec_b64 s[6:7], s[6:7]
	v_mov_b32_e32 v6, s10
	s_xor_b64 exec, exec, s[6:7]
	s_cbranch_execz .LBB6_462
.LBB6_2512:
	v_mov_b32_e32 v6, 0
	v_cmp_ne_u16_sdwa s[8:9], v3, v6 src0_sel:BYTE_0 src1_sel:DWORD
	s_andn2_b64 s[4:5], s[4:5], exec
	s_and_b64 s[8:9], s[8:9], exec
	s_or_b64 s[4:5], s[4:5], s[8:9]
	s_or_b64 exec, exec, s[6:7]
	s_and_saveexec_b64 s[6:7], s[4:5]
	s_cbranch_execnz .LBB6_463
	s_branch .LBB6_464
.LBB6_2513:
	s_movk_i32 s4, 0x80
	v_cmp_eq_u16_e32 vcc, s4, v3
	s_mov_b64 s[4:5], -1
                                        ; implicit-def: $sgpr10
	s_and_saveexec_b64 s[8:9], vcc
; %bb.2514:
	s_mov_b32 s10, 0x7f800001
	s_xor_b64 s[4:5], exec, -1
; %bb.2515:
	s_or_b64 exec, exec, s[8:9]
	s_and_b64 s[4:5], s[4:5], exec
                                        ; implicit-def: $vgpr3
	s_or_saveexec_b64 s[6:7], s[6:7]
	v_mov_b32_e32 v2, s10
	s_xor_b64 exec, exec, s[6:7]
	s_cbranch_execz .LBB6_466
.LBB6_2516:
	v_cmp_ne_u16_e32 vcc, 0, v3
	s_andn2_b64 s[4:5], s[4:5], exec
	s_and_b64 s[8:9], vcc, exec
	v_mov_b32_e32 v2, 0
	s_or_b64 s[4:5], s[4:5], s[8:9]
	s_or_b64 exec, exec, s[6:7]
	s_and_saveexec_b64 s[6:7], s[4:5]
	s_cbranch_execnz .LBB6_467
	s_branch .LBB6_468
.LBB6_2517:
	s_movk_i32 s4, 0x80
	v_cmp_eq_u16_e32 vcc, s4, v3
	s_mov_b64 s[4:5], -1
                                        ; implicit-def: $sgpr10
	s_and_saveexec_b64 s[8:9], vcc
; %bb.2518:
	s_mov_b32 s10, 0x7f800001
	s_xor_b64 s[4:5], exec, -1
; %bb.2519:
	s_or_b64 exec, exec, s[8:9]
	s_and_b64 s[4:5], s[4:5], exec
                                        ; implicit-def: $vgpr3
	s_or_saveexec_b64 s[6:7], s[6:7]
	v_mov_b32_e32 v6, s10
	s_xor_b64 exec, exec, s[6:7]
	s_cbranch_execz .LBB6_470
.LBB6_2520:
	v_cmp_ne_u16_e32 vcc, 0, v3
	s_andn2_b64 s[4:5], s[4:5], exec
	s_and_b64 s[8:9], vcc, exec
	v_mov_b32_e32 v6, 0
	s_or_b64 s[4:5], s[4:5], s[8:9]
	s_or_b64 exec, exec, s[6:7]
	s_and_saveexec_b64 s[6:7], s[4:5]
	s_cbranch_execnz .LBB6_471
	s_branch .LBB6_472
.LBB6_2521:
	s_movk_i32 s4, 0x80
	v_cmp_eq_u16_sdwa s[12:13], v8, s4 src0_sel:BYTE_3 src1_sel:DWORD
	s_mov_b64 s[4:5], -1
                                        ; implicit-def: $sgpr10
	s_and_saveexec_b64 s[8:9], s[12:13]
; %bb.2522:
	s_mov_b32 s10, 0x7f800001
	s_xor_b64 s[4:5], exec, -1
; %bb.2523:
	s_or_b64 exec, exec, s[8:9]
	s_and_b64 s[4:5], s[4:5], exec
	s_or_saveexec_b64 s[6:7], s[6:7]
	v_mov_b32_e32 v2, s10
	s_xor_b64 exec, exec, s[6:7]
	s_cbranch_execz .LBB6_474
.LBB6_2524:
	v_mov_b32_e32 v2, 0
	v_cmp_ne_u16_sdwa s[8:9], v8, v2 src0_sel:BYTE_3 src1_sel:DWORD
	s_andn2_b64 s[4:5], s[4:5], exec
	s_and_b64 s[8:9], s[8:9], exec
	s_or_b64 s[4:5], s[4:5], s[8:9]
	s_or_b64 exec, exec, s[6:7]
	s_and_saveexec_b64 s[6:7], s[4:5]
	s_cbranch_execnz .LBB6_475
	s_branch .LBB6_476
.LBB6_2525:
	s_movk_i32 s4, 0x80
	v_cmp_eq_u16_sdwa s[12:13], v4, s4 src0_sel:BYTE_3 src1_sel:DWORD
	s_mov_b64 s[4:5], -1
                                        ; implicit-def: $sgpr10
	s_and_saveexec_b64 s[8:9], s[12:13]
; %bb.2526:
	s_mov_b32 s10, 0x7f800001
	s_xor_b64 s[4:5], exec, -1
; %bb.2527:
	s_or_b64 exec, exec, s[8:9]
	s_and_b64 s[4:5], s[4:5], exec
	s_or_saveexec_b64 s[6:7], s[6:7]
	v_mov_b32_e32 v3, s10
	s_xor_b64 exec, exec, s[6:7]
	s_cbranch_execz .LBB6_478
.LBB6_2528:
	v_mov_b32_e32 v3, 0
	v_cmp_ne_u16_sdwa s[8:9], v4, v3 src0_sel:BYTE_3 src1_sel:DWORD
	s_andn2_b64 s[4:5], s[4:5], exec
	s_and_b64 s[8:9], s[8:9], exec
	s_or_b64 s[4:5], s[4:5], s[8:9]
	s_or_b64 exec, exec, s[6:7]
	s_and_saveexec_b64 s[6:7], s[4:5]
	s_cbranch_execnz .LBB6_479
	s_branch .LBB6_480
.LBB6_2529:
	s_movk_i32 s4, 0x80
	v_cmp_eq_u16_sdwa s[12:13], v9, s4 src0_sel:BYTE_0 src1_sel:DWORD
	s_mov_b64 s[4:5], -1
                                        ; implicit-def: $sgpr10
	s_and_saveexec_b64 s[8:9], s[12:13]
; %bb.2530:
	s_mov_b32 s10, 0x7f800001
	s_xor_b64 s[4:5], exec, -1
; %bb.2531:
	s_or_b64 exec, exec, s[8:9]
	s_and_b64 s[4:5], s[4:5], exec
	s_or_saveexec_b64 s[6:7], s[6:7]
	v_mov_b32_e32 v2, s10
	s_xor_b64 exec, exec, s[6:7]
	s_cbranch_execz .LBB6_482
.LBB6_2532:
	v_mov_b32_e32 v2, 0
	v_cmp_ne_u16_sdwa s[8:9], v9, v2 src0_sel:BYTE_0 src1_sel:DWORD
	s_andn2_b64 s[4:5], s[4:5], exec
	s_and_b64 s[8:9], s[8:9], exec
	s_or_b64 s[4:5], s[4:5], s[8:9]
	s_or_b64 exec, exec, s[6:7]
	s_and_saveexec_b64 s[6:7], s[4:5]
	s_cbranch_execnz .LBB6_483
	s_branch .LBB6_484
.LBB6_2533:
	s_movk_i32 s4, 0x80
	v_cmp_eq_u16_sdwa s[12:13], v5, s4 src0_sel:BYTE_0 src1_sel:DWORD
	s_mov_b64 s[4:5], -1
                                        ; implicit-def: $sgpr10
	s_and_saveexec_b64 s[8:9], s[12:13]
; %bb.2534:
	s_mov_b32 s10, 0x7f800001
	s_xor_b64 s[4:5], exec, -1
; %bb.2535:
	s_or_b64 exec, exec, s[8:9]
	s_and_b64 s[4:5], s[4:5], exec
	s_or_saveexec_b64 s[6:7], s[6:7]
	v_mov_b32_e32 v3, s10
	s_xor_b64 exec, exec, s[6:7]
	s_cbranch_execz .LBB6_486
.LBB6_2536:
	v_mov_b32_e32 v3, 0
	v_cmp_ne_u16_sdwa s[8:9], v5, v3 src0_sel:BYTE_0 src1_sel:DWORD
	s_andn2_b64 s[4:5], s[4:5], exec
	s_and_b64 s[8:9], s[8:9], exec
	s_or_b64 s[4:5], s[4:5], s[8:9]
	s_or_b64 exec, exec, s[6:7]
	s_and_saveexec_b64 s[6:7], s[4:5]
	s_cbranch_execnz .LBB6_487
	s_branch .LBB6_488
.LBB6_2537:
	s_movk_i32 s4, 0x80
	v_cmp_eq_u16_sdwa s[12:13], v3, s4 src0_sel:BYTE_0 src1_sel:DWORD
	s_mov_b64 s[4:5], -1
                                        ; implicit-def: $sgpr10
	s_and_saveexec_b64 s[8:9], s[12:13]
; %bb.2538:
	s_mov_b32 s10, 0x7f800001
	s_xor_b64 s[4:5], exec, -1
; %bb.2539:
	s_or_b64 exec, exec, s[8:9]
	s_and_b64 s[4:5], s[4:5], exec
	s_or_saveexec_b64 s[6:7], s[6:7]
	v_mov_b32_e32 v2, s10
	s_xor_b64 exec, exec, s[6:7]
	s_cbranch_execz .LBB6_490
.LBB6_2540:
	v_mov_b32_e32 v2, 0
	v_cmp_ne_u16_sdwa s[8:9], v3, v2 src0_sel:BYTE_0 src1_sel:DWORD
	s_andn2_b64 s[4:5], s[4:5], exec
	s_and_b64 s[8:9], s[8:9], exec
	s_or_b64 s[4:5], s[4:5], s[8:9]
	s_or_b64 exec, exec, s[6:7]
	s_and_saveexec_b64 s[6:7], s[4:5]
	s_cbranch_execnz .LBB6_491
	s_branch .LBB6_492
.LBB6_2541:
	s_movk_i32 s4, 0x80
	v_cmp_eq_u16_sdwa s[12:13], v3, s4 src0_sel:BYTE_0 src1_sel:DWORD
	s_mov_b64 s[4:5], -1
                                        ; implicit-def: $sgpr10
	s_and_saveexec_b64 s[8:9], s[12:13]
; %bb.2542:
	s_mov_b32 s10, 0x7f800001
	s_xor_b64 s[4:5], exec, -1
; %bb.2543:
	s_or_b64 exec, exec, s[8:9]
	s_and_b64 s[4:5], s[4:5], exec
	s_or_saveexec_b64 s[6:7], s[6:7]
	v_mov_b32_e32 v4, s10
	s_xor_b64 exec, exec, s[6:7]
	s_cbranch_execz .LBB6_494
.LBB6_2544:
	v_mov_b32_e32 v4, 0
	v_cmp_ne_u16_sdwa s[8:9], v3, v4 src0_sel:BYTE_0 src1_sel:DWORD
	s_andn2_b64 s[4:5], s[4:5], exec
	s_and_b64 s[8:9], s[8:9], exec
	s_or_b64 s[4:5], s[4:5], s[8:9]
	s_or_b64 exec, exec, s[6:7]
	s_and_saveexec_b64 s[6:7], s[4:5]
	s_cbranch_execnz .LBB6_495
	s_branch .LBB6_496
.LBB6_2545:
	s_movk_i32 s4, 0x80
	v_cmp_eq_u16_e32 vcc, s4, v3
	s_mov_b64 s[4:5], -1
                                        ; implicit-def: $sgpr10
	s_and_saveexec_b64 s[8:9], vcc
; %bb.2546:
	s_mov_b32 s10, 0x7f800001
	s_xor_b64 s[4:5], exec, -1
; %bb.2547:
	s_or_b64 exec, exec, s[8:9]
	s_and_b64 s[4:5], s[4:5], exec
                                        ; implicit-def: $vgpr3
	s_or_saveexec_b64 s[6:7], s[6:7]
	v_mov_b32_e32 v2, s10
	s_xor_b64 exec, exec, s[6:7]
	s_cbranch_execz .LBB6_498
.LBB6_2548:
	v_cmp_ne_u16_e32 vcc, 0, v3
	s_andn2_b64 s[4:5], s[4:5], exec
	s_and_b64 s[8:9], vcc, exec
	v_mov_b32_e32 v2, 0
	s_or_b64 s[4:5], s[4:5], s[8:9]
	s_or_b64 exec, exec, s[6:7]
	s_and_saveexec_b64 s[6:7], s[4:5]
	s_cbranch_execnz .LBB6_499
	s_branch .LBB6_500
.LBB6_2549:
	s_movk_i32 s4, 0x80
	v_cmp_eq_u16_e32 vcc, s4, v3
	s_mov_b64 s[4:5], -1
                                        ; implicit-def: $sgpr10
	s_and_saveexec_b64 s[8:9], vcc
; %bb.2550:
	s_mov_b32 s10, 0x7f800001
	s_xor_b64 s[4:5], exec, -1
; %bb.2551:
	s_or_b64 exec, exec, s[8:9]
	s_and_b64 s[4:5], s[4:5], exec
                                        ; implicit-def: $vgpr3
	s_or_saveexec_b64 s[6:7], s[6:7]
	v_mov_b32_e32 v4, s10
	s_xor_b64 exec, exec, s[6:7]
	s_cbranch_execz .LBB6_502
.LBB6_2552:
	v_cmp_ne_u16_e32 vcc, 0, v3
	s_andn2_b64 s[4:5], s[4:5], exec
	s_and_b64 s[8:9], vcc, exec
	v_mov_b32_e32 v4, 0
	s_or_b64 s[4:5], s[4:5], s[8:9]
	s_or_b64 exec, exec, s[6:7]
	s_and_saveexec_b64 s[6:7], s[4:5]
	s_cbranch_execnz .LBB6_503
	s_branch .LBB6_504
.LBB6_2553:
	s_movk_i32 s4, 0x80
	v_cmp_eq_u16_sdwa s[12:13], v9, s4 src0_sel:BYTE_3 src1_sel:DWORD
	s_mov_b64 s[4:5], -1
                                        ; implicit-def: $sgpr10
	s_and_saveexec_b64 s[8:9], s[12:13]
; %bb.2554:
	s_mov_b32 s10, 0x7f800001
	s_xor_b64 s[4:5], exec, -1
; %bb.2555:
	s_or_b64 exec, exec, s[8:9]
	s_and_b64 s[4:5], s[4:5], exec
	s_or_saveexec_b64 s[6:7], s[6:7]
	v_mov_b32_e32 v2, s10
	s_xor_b64 exec, exec, s[6:7]
	s_cbranch_execz .LBB6_506
.LBB6_2556:
	v_mov_b32_e32 v2, 0
	v_cmp_ne_u16_sdwa s[8:9], v9, v2 src0_sel:BYTE_3 src1_sel:DWORD
	s_andn2_b64 s[4:5], s[4:5], exec
	s_and_b64 s[8:9], s[8:9], exec
	s_or_b64 s[4:5], s[4:5], s[8:9]
	s_or_b64 exec, exec, s[6:7]
	s_and_saveexec_b64 s[6:7], s[4:5]
	s_cbranch_execnz .LBB6_507
	s_branch .LBB6_508
.LBB6_2557:
	s_movk_i32 s4, 0x80
	v_cmp_eq_u16_sdwa s[12:13], v5, s4 src0_sel:BYTE_3 src1_sel:DWORD
	s_mov_b64 s[4:5], -1
                                        ; implicit-def: $sgpr10
	s_and_saveexec_b64 s[8:9], s[12:13]
; %bb.2558:
	s_mov_b32 s10, 0x7f800001
	s_xor_b64 s[4:5], exec, -1
; %bb.2559:
	s_or_b64 exec, exec, s[8:9]
	s_and_b64 s[4:5], s[4:5], exec
	s_or_saveexec_b64 s[6:7], s[6:7]
	v_mov_b32_e32 v3, s10
	s_xor_b64 exec, exec, s[6:7]
	s_cbranch_execz .LBB6_510
.LBB6_2560:
	v_mov_b32_e32 v3, 0
	v_cmp_ne_u16_sdwa s[8:9], v5, v3 src0_sel:BYTE_3 src1_sel:DWORD
	s_andn2_b64 s[4:5], s[4:5], exec
	s_and_b64 s[8:9], s[8:9], exec
	s_or_b64 s[4:5], s[4:5], s[8:9]
	s_or_b64 exec, exec, s[6:7]
	s_and_saveexec_b64 s[6:7], s[4:5]
	s_cbranch_execnz .LBB6_511
	s_branch .LBB6_512
.LBB6_2561:
	s_movk_i32 s4, 0x80
	v_cmp_eq_u16_sdwa s[12:13], v14, s4 src0_sel:BYTE_0 src1_sel:DWORD
	s_mov_b64 s[4:5], -1
                                        ; implicit-def: $sgpr10
	s_and_saveexec_b64 s[8:9], s[12:13]
; %bb.2562:
	s_mov_b32 s10, 0x7f800001
	s_xor_b64 s[4:5], exec, -1
; %bb.2563:
	s_or_b64 exec, exec, s[8:9]
	s_and_b64 s[4:5], s[4:5], exec
	s_or_saveexec_b64 s[6:7], s[6:7]
	v_mov_b32_e32 v20, s10
	s_xor_b64 exec, exec, s[6:7]
	s_cbranch_execz .LBB6_514
.LBB6_2564:
	v_mov_b32_e32 v20, 0
	v_cmp_ne_u16_sdwa s[8:9], v14, v20 src0_sel:BYTE_0 src1_sel:DWORD
	s_andn2_b64 s[4:5], s[4:5], exec
	s_and_b64 s[8:9], s[8:9], exec
	s_or_b64 s[4:5], s[4:5], s[8:9]
	s_or_b64 exec, exec, s[6:7]
	s_and_saveexec_b64 s[6:7], s[4:5]
	s_cbranch_execnz .LBB6_515
	s_branch .LBB6_516
.LBB6_2565:
	s_movk_i32 s4, 0x80
	v_cmp_eq_u16_sdwa s[12:13], v10, s4 src0_sel:BYTE_0 src1_sel:DWORD
	s_mov_b64 s[4:5], -1
                                        ; implicit-def: $sgpr10
	s_and_saveexec_b64 s[8:9], s[12:13]
; %bb.2566:
	s_mov_b32 s10, 0x7f800001
	s_xor_b64 s[4:5], exec, -1
; %bb.2567:
	s_or_b64 exec, exec, s[8:9]
	s_and_b64 s[4:5], s[4:5], exec
	s_or_saveexec_b64 s[6:7], s[6:7]
	v_mov_b32_e32 v21, s10
	s_xor_b64 exec, exec, s[6:7]
	s_cbranch_execz .LBB6_518
.LBB6_2568:
	v_mov_b32_e32 v21, 0
	v_cmp_ne_u16_sdwa s[8:9], v10, v21 src0_sel:BYTE_0 src1_sel:DWORD
	s_andn2_b64 s[4:5], s[4:5], exec
	s_and_b64 s[8:9], s[8:9], exec
	s_or_b64 s[4:5], s[4:5], s[8:9]
	s_or_b64 exec, exec, s[6:7]
	s_and_saveexec_b64 s[6:7], s[4:5]
	s_cbranch_execnz .LBB6_519
	s_branch .LBB6_520
.LBB6_2569:
	s_movk_i32 s4, 0x80
	v_cmp_eq_u16_sdwa s[12:13], v21, s4 src0_sel:BYTE_0 src1_sel:DWORD
	s_mov_b64 s[4:5], -1
                                        ; implicit-def: $sgpr10
	s_and_saveexec_b64 s[8:9], s[12:13]
; %bb.2570:
	s_mov_b32 s10, 0x7f800001
	s_xor_b64 s[4:5], exec, -1
; %bb.2571:
	s_or_b64 exec, exec, s[8:9]
	s_and_b64 s[4:5], s[4:5], exec
	s_or_saveexec_b64 s[6:7], s[6:7]
	v_mov_b32_e32 v20, s10
	s_xor_b64 exec, exec, s[6:7]
	s_cbranch_execz .LBB6_522
.LBB6_2572:
	v_mov_b32_e32 v20, 0
	v_cmp_ne_u16_sdwa s[8:9], v21, v20 src0_sel:BYTE_0 src1_sel:DWORD
	s_andn2_b64 s[4:5], s[4:5], exec
	s_and_b64 s[8:9], s[8:9], exec
	s_or_b64 s[4:5], s[4:5], s[8:9]
	s_or_b64 exec, exec, s[6:7]
	s_and_saveexec_b64 s[6:7], s[4:5]
	s_cbranch_execnz .LBB6_523
	s_branch .LBB6_524
.LBB6_2573:
	s_movk_i32 s4, 0x80
	v_cmp_eq_u16_sdwa s[12:13], v21, s4 src0_sel:BYTE_0 src1_sel:DWORD
	s_mov_b64 s[4:5], -1
                                        ; implicit-def: $sgpr10
	s_and_saveexec_b64 s[8:9], s[12:13]
; %bb.2574:
	s_mov_b32 s10, 0x7f800001
	s_xor_b64 s[4:5], exec, -1
; %bb.2575:
	s_or_b64 exec, exec, s[8:9]
	s_and_b64 s[4:5], s[4:5], exec
	s_or_saveexec_b64 s[6:7], s[6:7]
	v_mov_b32_e32 v22, s10
	s_xor_b64 exec, exec, s[6:7]
	s_cbranch_execz .LBB6_526
.LBB6_2576:
	v_mov_b32_e32 v22, 0
	v_cmp_ne_u16_sdwa s[8:9], v21, v22 src0_sel:BYTE_0 src1_sel:DWORD
	s_andn2_b64 s[4:5], s[4:5], exec
	s_and_b64 s[8:9], s[8:9], exec
	s_or_b64 s[4:5], s[4:5], s[8:9]
	s_or_b64 exec, exec, s[6:7]
	s_and_saveexec_b64 s[6:7], s[4:5]
	s_cbranch_execnz .LBB6_527
	s_branch .LBB6_528
.LBB6_2577:
	s_movk_i32 s4, 0x80
	v_cmp_eq_u16_e32 vcc, s4, v21
	s_mov_b64 s[4:5], -1
                                        ; implicit-def: $sgpr10
	s_and_saveexec_b64 s[8:9], vcc
; %bb.2578:
	s_mov_b32 s10, 0x7f800001
	s_xor_b64 s[4:5], exec, -1
; %bb.2579:
	s_or_b64 exec, exec, s[8:9]
	s_and_b64 s[4:5], s[4:5], exec
                                        ; implicit-def: $vgpr21
	s_or_saveexec_b64 s[6:7], s[6:7]
	v_mov_b32_e32 v20, s10
	s_xor_b64 exec, exec, s[6:7]
	s_cbranch_execz .LBB6_530
.LBB6_2580:
	v_cmp_ne_u16_e32 vcc, 0, v21
	s_andn2_b64 s[4:5], s[4:5], exec
	s_and_b64 s[8:9], vcc, exec
	v_mov_b32_e32 v20, 0
	s_or_b64 s[4:5], s[4:5], s[8:9]
	s_or_b64 exec, exec, s[6:7]
	s_and_saveexec_b64 s[6:7], s[4:5]
	s_cbranch_execnz .LBB6_531
	s_branch .LBB6_532
.LBB6_2581:
	s_movk_i32 s4, 0x80
	v_cmp_eq_u16_e32 vcc, s4, v21
	s_mov_b64 s[4:5], -1
                                        ; implicit-def: $sgpr10
	s_and_saveexec_b64 s[8:9], vcc
; %bb.2582:
	s_mov_b32 s10, 0x7f800001
	s_xor_b64 s[4:5], exec, -1
; %bb.2583:
	s_or_b64 exec, exec, s[8:9]
	s_and_b64 s[4:5], s[4:5], exec
                                        ; implicit-def: $vgpr21
	s_or_saveexec_b64 s[6:7], s[6:7]
	v_mov_b32_e32 v22, s10
	s_xor_b64 exec, exec, s[6:7]
	s_cbranch_execz .LBB6_534
.LBB6_2584:
	v_cmp_ne_u16_e32 vcc, 0, v21
	s_andn2_b64 s[4:5], s[4:5], exec
	s_and_b64 s[8:9], vcc, exec
	v_mov_b32_e32 v22, 0
	s_or_b64 s[4:5], s[4:5], s[8:9]
	s_or_b64 exec, exec, s[6:7]
	s_and_saveexec_b64 s[6:7], s[4:5]
	s_cbranch_execnz .LBB6_535
	s_branch .LBB6_536
.LBB6_2585:
	s_movk_i32 s4, 0x80
	v_cmp_eq_u16_sdwa s[12:13], v14, s4 src0_sel:BYTE_3 src1_sel:DWORD
	s_mov_b64 s[4:5], -1
                                        ; implicit-def: $sgpr10
	s_and_saveexec_b64 s[8:9], s[12:13]
; %bb.2586:
	s_mov_b32 s10, 0x7f800001
	s_xor_b64 s[4:5], exec, -1
; %bb.2587:
	s_or_b64 exec, exec, s[8:9]
	s_and_b64 s[4:5], s[4:5], exec
	s_or_saveexec_b64 s[6:7], s[6:7]
	v_mov_b32_e32 v20, s10
	s_xor_b64 exec, exec, s[6:7]
	s_cbranch_execz .LBB6_538
.LBB6_2588:
	v_mov_b32_e32 v20, 0
	v_cmp_ne_u16_sdwa s[8:9], v14, v20 src0_sel:BYTE_3 src1_sel:DWORD
	s_andn2_b64 s[4:5], s[4:5], exec
	s_and_b64 s[8:9], s[8:9], exec
	s_or_b64 s[4:5], s[4:5], s[8:9]
	s_or_b64 exec, exec, s[6:7]
	s_and_saveexec_b64 s[6:7], s[4:5]
	s_cbranch_execnz .LBB6_539
	s_branch .LBB6_540
.LBB6_2589:
	s_movk_i32 s4, 0x80
	v_cmp_eq_u16_sdwa s[12:13], v10, s4 src0_sel:BYTE_3 src1_sel:DWORD
	s_mov_b64 s[4:5], -1
                                        ; implicit-def: $sgpr10
	s_and_saveexec_b64 s[8:9], s[12:13]
; %bb.2590:
	s_mov_b32 s10, 0x7f800001
	s_xor_b64 s[4:5], exec, -1
; %bb.2591:
	s_or_b64 exec, exec, s[8:9]
	s_and_b64 s[4:5], s[4:5], exec
	s_or_saveexec_b64 s[6:7], s[6:7]
	v_mov_b32_e32 v14, s10
	s_xor_b64 exec, exec, s[6:7]
	s_cbranch_execz .LBB6_542
.LBB6_2592:
	v_mov_b32_e32 v14, 0
	v_cmp_ne_u16_sdwa s[8:9], v10, v14 src0_sel:BYTE_3 src1_sel:DWORD
	s_andn2_b64 s[4:5], s[4:5], exec
	s_and_b64 s[8:9], s[8:9], exec
	s_or_b64 s[4:5], s[4:5], s[8:9]
	s_or_b64 exec, exec, s[6:7]
	s_and_saveexec_b64 s[6:7], s[4:5]
	s_cbranch_execnz .LBB6_543
	s_branch .LBB6_544
.LBB6_2593:
	s_movk_i32 s4, 0x80
	v_cmp_eq_u16_sdwa s[12:13], v15, s4 src0_sel:BYTE_0 src1_sel:DWORD
	s_mov_b64 s[4:5], -1
                                        ; implicit-def: $sgpr10
	s_and_saveexec_b64 s[8:9], s[12:13]
; %bb.2594:
	s_mov_b32 s10, 0x7f800001
	s_xor_b64 s[4:5], exec, -1
; %bb.2595:
	s_or_b64 exec, exec, s[8:9]
	s_and_b64 s[4:5], s[4:5], exec
	s_or_saveexec_b64 s[6:7], s[6:7]
	v_mov_b32_e32 v10, s10
	s_xor_b64 exec, exec, s[6:7]
	s_cbranch_execz .LBB6_546
.LBB6_2596:
	v_mov_b32_e32 v10, 0
	v_cmp_ne_u16_sdwa s[8:9], v15, v10 src0_sel:BYTE_0 src1_sel:DWORD
	s_andn2_b64 s[4:5], s[4:5], exec
	s_and_b64 s[8:9], s[8:9], exec
	s_or_b64 s[4:5], s[4:5], s[8:9]
	s_or_b64 exec, exec, s[6:7]
	s_and_saveexec_b64 s[6:7], s[4:5]
	s_cbranch_execnz .LBB6_547
	s_branch .LBB6_548
.LBB6_2597:
	s_movk_i32 s4, 0x80
	v_cmp_eq_u16_sdwa s[12:13], v11, s4 src0_sel:BYTE_0 src1_sel:DWORD
	s_mov_b64 s[4:5], -1
                                        ; implicit-def: $sgpr10
	s_and_saveexec_b64 s[8:9], s[12:13]
; %bb.2598:
	s_mov_b32 s10, 0x7f800001
	s_xor_b64 s[4:5], exec, -1
; %bb.2599:
	s_or_b64 exec, exec, s[8:9]
	s_and_b64 s[4:5], s[4:5], exec
	s_or_saveexec_b64 s[6:7], s[6:7]
	v_mov_b32_e32 v14, s10
	s_xor_b64 exec, exec, s[6:7]
	s_cbranch_execz .LBB6_550
.LBB6_2600:
	v_mov_b32_e32 v14, 0
	v_cmp_ne_u16_sdwa s[8:9], v11, v14 src0_sel:BYTE_0 src1_sel:DWORD
	s_andn2_b64 s[4:5], s[4:5], exec
	s_and_b64 s[8:9], s[8:9], exec
	s_or_b64 s[4:5], s[4:5], s[8:9]
	s_or_b64 exec, exec, s[6:7]
	s_and_saveexec_b64 s[6:7], s[4:5]
	s_cbranch_execnz .LBB6_551
	s_branch .LBB6_552
.LBB6_2601:
	s_movk_i32 s4, 0x80
	v_cmp_eq_u16_sdwa s[12:13], v14, s4 src0_sel:BYTE_0 src1_sel:DWORD
	s_mov_b64 s[4:5], -1
                                        ; implicit-def: $sgpr10
	s_and_saveexec_b64 s[8:9], s[12:13]
; %bb.2602:
	s_mov_b32 s10, 0x7f800001
	s_xor_b64 s[4:5], exec, -1
; %bb.2603:
	s_or_b64 exec, exec, s[8:9]
	s_and_b64 s[4:5], s[4:5], exec
	s_or_saveexec_b64 s[6:7], s[6:7]
	v_mov_b32_e32 v10, s10
	s_xor_b64 exec, exec, s[6:7]
	s_cbranch_execz .LBB6_554
.LBB6_2604:
	v_mov_b32_e32 v10, 0
	v_cmp_ne_u16_sdwa s[8:9], v14, v10 src0_sel:BYTE_0 src1_sel:DWORD
	s_andn2_b64 s[4:5], s[4:5], exec
	s_and_b64 s[8:9], s[8:9], exec
	s_or_b64 s[4:5], s[4:5], s[8:9]
	s_or_b64 exec, exec, s[6:7]
	s_and_saveexec_b64 s[6:7], s[4:5]
	s_cbranch_execnz .LBB6_555
	s_branch .LBB6_556
.LBB6_2605:
	s_movk_i32 s4, 0x80
	v_cmp_eq_u16_sdwa s[12:13], v14, s4 src0_sel:BYTE_0 src1_sel:DWORD
	s_mov_b64 s[4:5], -1
                                        ; implicit-def: $sgpr10
	s_and_saveexec_b64 s[8:9], s[12:13]
; %bb.2606:
	s_mov_b32 s10, 0x7f800001
	s_xor_b64 s[4:5], exec, -1
; %bb.2607:
	s_or_b64 exec, exec, s[8:9]
	s_and_b64 s[4:5], s[4:5], exec
	s_or_saveexec_b64 s[6:7], s[6:7]
	v_mov_b32_e32 v20, s10
	s_xor_b64 exec, exec, s[6:7]
	s_cbranch_execz .LBB6_558
.LBB6_2608:
	v_mov_b32_e32 v20, 0
	v_cmp_ne_u16_sdwa s[8:9], v14, v20 src0_sel:BYTE_0 src1_sel:DWORD
	s_andn2_b64 s[4:5], s[4:5], exec
	s_and_b64 s[8:9], s[8:9], exec
	s_or_b64 s[4:5], s[4:5], s[8:9]
	s_or_b64 exec, exec, s[6:7]
	s_and_saveexec_b64 s[6:7], s[4:5]
	s_cbranch_execnz .LBB6_559
	s_branch .LBB6_560
.LBB6_2609:
	s_movk_i32 s4, 0x80
	v_cmp_eq_u16_e32 vcc, s4, v14
	s_mov_b64 s[4:5], -1
                                        ; implicit-def: $sgpr10
	s_and_saveexec_b64 s[8:9], vcc
; %bb.2610:
	s_mov_b32 s10, 0x7f800001
	s_xor_b64 s[4:5], exec, -1
; %bb.2611:
	s_or_b64 exec, exec, s[8:9]
	s_and_b64 s[4:5], s[4:5], exec
                                        ; implicit-def: $vgpr14
	s_or_saveexec_b64 s[6:7], s[6:7]
	v_mov_b32_e32 v10, s10
	s_xor_b64 exec, exec, s[6:7]
	s_cbranch_execz .LBB6_562
.LBB6_2612:
	v_cmp_ne_u16_e32 vcc, 0, v14
	s_andn2_b64 s[4:5], s[4:5], exec
	s_and_b64 s[8:9], vcc, exec
	v_mov_b32_e32 v10, 0
	s_or_b64 s[4:5], s[4:5], s[8:9]
	s_or_b64 exec, exec, s[6:7]
	s_and_saveexec_b64 s[6:7], s[4:5]
	s_cbranch_execnz .LBB6_563
	s_branch .LBB6_564
.LBB6_2613:
	s_movk_i32 s4, 0x80
	v_cmp_eq_u16_e32 vcc, s4, v14
	s_mov_b64 s[4:5], -1
                                        ; implicit-def: $sgpr10
	s_and_saveexec_b64 s[8:9], vcc
; %bb.2614:
	s_mov_b32 s10, 0x7f800001
	s_xor_b64 s[4:5], exec, -1
; %bb.2615:
	s_or_b64 exec, exec, s[8:9]
	s_and_b64 s[4:5], s[4:5], exec
                                        ; implicit-def: $vgpr14
	s_or_saveexec_b64 s[6:7], s[6:7]
	v_mov_b32_e32 v20, s10
	s_xor_b64 exec, exec, s[6:7]
	s_cbranch_execz .LBB6_566
.LBB6_2616:
	v_cmp_ne_u16_e32 vcc, 0, v14
	s_andn2_b64 s[4:5], s[4:5], exec
	s_and_b64 s[8:9], vcc, exec
	v_mov_b32_e32 v20, 0
	s_or_b64 s[4:5], s[4:5], s[8:9]
	s_or_b64 exec, exec, s[6:7]
	s_and_saveexec_b64 s[6:7], s[4:5]
	s_cbranch_execnz .LBB6_567
	s_branch .LBB6_568
.LBB6_2617:
	s_movk_i32 s4, 0x80
	v_cmp_eq_u16_sdwa s[12:13], v15, s4 src0_sel:BYTE_3 src1_sel:DWORD
	s_mov_b64 s[4:5], -1
                                        ; implicit-def: $sgpr10
	s_and_saveexec_b64 s[8:9], s[12:13]
; %bb.2618:
	s_mov_b32 s10, 0x7f800001
	s_xor_b64 s[4:5], exec, -1
; %bb.2619:
	s_or_b64 exec, exec, s[8:9]
	s_and_b64 s[4:5], s[4:5], exec
	s_or_saveexec_b64 s[6:7], s[6:7]
	v_mov_b32_e32 v10, s10
	s_xor_b64 exec, exec, s[6:7]
	s_cbranch_execz .LBB6_570
.LBB6_2620:
	v_mov_b32_e32 v10, 0
	v_cmp_ne_u16_sdwa s[8:9], v15, v10 src0_sel:BYTE_3 src1_sel:DWORD
	s_andn2_b64 s[4:5], s[4:5], exec
	s_and_b64 s[8:9], s[8:9], exec
	s_or_b64 s[4:5], s[4:5], s[8:9]
	s_or_b64 exec, exec, s[6:7]
	s_and_saveexec_b64 s[6:7], s[4:5]
	s_cbranch_execnz .LBB6_571
	s_branch .LBB6_572
.LBB6_2621:
	s_movk_i32 s4, 0x80
	v_cmp_eq_u16_sdwa s[12:13], v11, s4 src0_sel:BYTE_3 src1_sel:DWORD
	s_mov_b64 s[4:5], -1
                                        ; implicit-def: $sgpr10
	s_and_saveexec_b64 s[8:9], s[12:13]
; %bb.2622:
	s_mov_b32 s10, 0x7f800001
	s_xor_b64 s[4:5], exec, -1
; %bb.2623:
	s_or_b64 exec, exec, s[8:9]
	s_and_b64 s[4:5], s[4:5], exec
	s_or_saveexec_b64 s[6:7], s[6:7]
	v_mov_b32_e32 v14, s10
	s_xor_b64 exec, exec, s[6:7]
	s_cbranch_execz .LBB6_574
.LBB6_2624:
	v_mov_b32_e32 v14, 0
	v_cmp_ne_u16_sdwa s[8:9], v11, v14 src0_sel:BYTE_3 src1_sel:DWORD
	s_andn2_b64 s[4:5], s[4:5], exec
	s_and_b64 s[8:9], s[8:9], exec
	s_or_b64 s[4:5], s[4:5], s[8:9]
	s_or_b64 exec, exec, s[6:7]
	s_and_saveexec_b64 s[6:7], s[4:5]
	s_cbranch_execnz .LBB6_575
	s_branch .LBB6_576
.LBB6_2625:
	s_movk_i32 s4, 0x80
	v_cmp_eq_u16_sdwa s[12:13], v16, s4 src0_sel:BYTE_0 src1_sel:DWORD
	s_mov_b64 s[4:5], -1
                                        ; implicit-def: $sgpr10
	s_and_saveexec_b64 s[8:9], s[12:13]
; %bb.2626:
	s_mov_b32 s10, 0x7f800001
	s_xor_b64 s[4:5], exec, -1
; %bb.2627:
	s_or_b64 exec, exec, s[8:9]
	s_and_b64 s[4:5], s[4:5], exec
	s_or_saveexec_b64 s[6:7], s[6:7]
	v_mov_b32_e32 v10, s10
	s_xor_b64 exec, exec, s[6:7]
	s_cbranch_execz .LBB6_578
.LBB6_2628:
	v_mov_b32_e32 v10, 0
	v_cmp_ne_u16_sdwa s[8:9], v16, v10 src0_sel:BYTE_0 src1_sel:DWORD
	s_andn2_b64 s[4:5], s[4:5], exec
	s_and_b64 s[8:9], s[8:9], exec
	s_or_b64 s[4:5], s[4:5], s[8:9]
	s_or_b64 exec, exec, s[6:7]
	s_and_saveexec_b64 s[6:7], s[4:5]
	s_cbranch_execnz .LBB6_579
	s_branch .LBB6_580
.LBB6_2629:
	s_movk_i32 s4, 0x80
	v_cmp_eq_u16_sdwa s[12:13], v12, s4 src0_sel:BYTE_0 src1_sel:DWORD
	s_mov_b64 s[4:5], -1
                                        ; implicit-def: $sgpr10
	s_and_saveexec_b64 s[8:9], s[12:13]
; %bb.2630:
	s_mov_b32 s10, 0x7f800001
	s_xor_b64 s[4:5], exec, -1
; %bb.2631:
	s_or_b64 exec, exec, s[8:9]
	s_and_b64 s[4:5], s[4:5], exec
	s_or_saveexec_b64 s[6:7], s[6:7]
	v_mov_b32_e32 v11, s10
	s_xor_b64 exec, exec, s[6:7]
	s_cbranch_execz .LBB6_582
.LBB6_2632:
	v_mov_b32_e32 v11, 0
	v_cmp_ne_u16_sdwa s[8:9], v12, v11 src0_sel:BYTE_0 src1_sel:DWORD
	s_andn2_b64 s[4:5], s[4:5], exec
	s_and_b64 s[8:9], s[8:9], exec
	s_or_b64 s[4:5], s[4:5], s[8:9]
	s_or_b64 exec, exec, s[6:7]
	s_and_saveexec_b64 s[6:7], s[4:5]
	s_cbranch_execnz .LBB6_583
	s_branch .LBB6_584
.LBB6_2633:
	s_movk_i32 s4, 0x80
	v_cmp_eq_u16_sdwa s[12:13], v11, s4 src0_sel:BYTE_0 src1_sel:DWORD
	s_mov_b64 s[4:5], -1
                                        ; implicit-def: $sgpr10
	s_and_saveexec_b64 s[8:9], s[12:13]
; %bb.2634:
	s_mov_b32 s10, 0x7f800001
	s_xor_b64 s[4:5], exec, -1
; %bb.2635:
	s_or_b64 exec, exec, s[8:9]
	s_and_b64 s[4:5], s[4:5], exec
	s_or_saveexec_b64 s[6:7], s[6:7]
	v_mov_b32_e32 v10, s10
	s_xor_b64 exec, exec, s[6:7]
	s_cbranch_execz .LBB6_586
.LBB6_2636:
	v_mov_b32_e32 v10, 0
	v_cmp_ne_u16_sdwa s[8:9], v11, v10 src0_sel:BYTE_0 src1_sel:DWORD
	s_andn2_b64 s[4:5], s[4:5], exec
	s_and_b64 s[8:9], s[8:9], exec
	s_or_b64 s[4:5], s[4:5], s[8:9]
	s_or_b64 exec, exec, s[6:7]
	s_and_saveexec_b64 s[6:7], s[4:5]
	s_cbranch_execnz .LBB6_587
	s_branch .LBB6_588
.LBB6_2637:
	s_movk_i32 s4, 0x80
	v_cmp_eq_u16_sdwa s[12:13], v11, s4 src0_sel:BYTE_0 src1_sel:DWORD
	s_mov_b64 s[4:5], -1
                                        ; implicit-def: $sgpr10
	s_and_saveexec_b64 s[8:9], s[12:13]
; %bb.2638:
	s_mov_b32 s10, 0x7f800001
	s_xor_b64 s[4:5], exec, -1
; %bb.2639:
	s_or_b64 exec, exec, s[8:9]
	s_and_b64 s[4:5], s[4:5], exec
	s_or_saveexec_b64 s[6:7], s[6:7]
	v_mov_b32_e32 v14, s10
	s_xor_b64 exec, exec, s[6:7]
	s_cbranch_execz .LBB6_590
.LBB6_2640:
	v_mov_b32_e32 v14, 0
	v_cmp_ne_u16_sdwa s[8:9], v11, v14 src0_sel:BYTE_0 src1_sel:DWORD
	s_andn2_b64 s[4:5], s[4:5], exec
	s_and_b64 s[8:9], s[8:9], exec
	s_or_b64 s[4:5], s[4:5], s[8:9]
	s_or_b64 exec, exec, s[6:7]
	s_and_saveexec_b64 s[6:7], s[4:5]
	s_cbranch_execnz .LBB6_591
	s_branch .LBB6_592
.LBB6_2641:
	s_movk_i32 s4, 0x80
	v_cmp_eq_u16_e32 vcc, s4, v11
	s_mov_b64 s[4:5], -1
                                        ; implicit-def: $sgpr10
	s_and_saveexec_b64 s[8:9], vcc
; %bb.2642:
	s_mov_b32 s10, 0x7f800001
	s_xor_b64 s[4:5], exec, -1
; %bb.2643:
	s_or_b64 exec, exec, s[8:9]
	s_and_b64 s[4:5], s[4:5], exec
                                        ; implicit-def: $vgpr11
	s_or_saveexec_b64 s[6:7], s[6:7]
	v_mov_b32_e32 v10, s10
	s_xor_b64 exec, exec, s[6:7]
	s_cbranch_execz .LBB6_594
.LBB6_2644:
	v_cmp_ne_u16_e32 vcc, 0, v11
	s_andn2_b64 s[4:5], s[4:5], exec
	s_and_b64 s[8:9], vcc, exec
	v_mov_b32_e32 v10, 0
	s_or_b64 s[4:5], s[4:5], s[8:9]
	s_or_b64 exec, exec, s[6:7]
	s_and_saveexec_b64 s[6:7], s[4:5]
	s_cbranch_execnz .LBB6_595
	s_branch .LBB6_596
.LBB6_2645:
	s_movk_i32 s4, 0x80
	v_cmp_eq_u16_e32 vcc, s4, v11
	s_mov_b64 s[4:5], -1
                                        ; implicit-def: $sgpr10
	s_and_saveexec_b64 s[8:9], vcc
; %bb.2646:
	s_mov_b32 s10, 0x7f800001
	s_xor_b64 s[4:5], exec, -1
; %bb.2647:
	s_or_b64 exec, exec, s[8:9]
	s_and_b64 s[4:5], s[4:5], exec
                                        ; implicit-def: $vgpr11
	s_or_saveexec_b64 s[6:7], s[6:7]
	v_mov_b32_e32 v14, s10
	s_xor_b64 exec, exec, s[6:7]
	s_cbranch_execz .LBB6_598
.LBB6_2648:
	v_cmp_ne_u16_e32 vcc, 0, v11
	s_andn2_b64 s[4:5], s[4:5], exec
	s_and_b64 s[8:9], vcc, exec
	v_mov_b32_e32 v14, 0
	s_or_b64 s[4:5], s[4:5], s[8:9]
	s_or_b64 exec, exec, s[6:7]
	s_and_saveexec_b64 s[6:7], s[4:5]
	s_cbranch_execnz .LBB6_599
	s_branch .LBB6_600
.LBB6_2649:
	s_movk_i32 s4, 0x80
	v_cmp_eq_u16_sdwa s[12:13], v16, s4 src0_sel:BYTE_3 src1_sel:DWORD
	s_mov_b64 s[4:5], -1
                                        ; implicit-def: $sgpr10
	s_and_saveexec_b64 s[8:9], s[12:13]
; %bb.2650:
	s_mov_b32 s10, 0x7f800001
	s_xor_b64 s[4:5], exec, -1
; %bb.2651:
	s_or_b64 exec, exec, s[8:9]
	s_and_b64 s[4:5], s[4:5], exec
	s_or_saveexec_b64 s[6:7], s[6:7]
	v_mov_b32_e32 v10, s10
	s_xor_b64 exec, exec, s[6:7]
	s_cbranch_execz .LBB6_602
.LBB6_2652:
	v_mov_b32_e32 v10, 0
	v_cmp_ne_u16_sdwa s[8:9], v16, v10 src0_sel:BYTE_3 src1_sel:DWORD
	s_andn2_b64 s[4:5], s[4:5], exec
	s_and_b64 s[8:9], s[8:9], exec
	s_or_b64 s[4:5], s[4:5], s[8:9]
	s_or_b64 exec, exec, s[6:7]
	s_and_saveexec_b64 s[6:7], s[4:5]
	s_cbranch_execnz .LBB6_603
	s_branch .LBB6_604
.LBB6_2653:
	s_movk_i32 s4, 0x80
	v_cmp_eq_u16_sdwa s[12:13], v12, s4 src0_sel:BYTE_3 src1_sel:DWORD
	s_mov_b64 s[4:5], -1
                                        ; implicit-def: $sgpr10
	s_and_saveexec_b64 s[8:9], s[12:13]
; %bb.2654:
	s_mov_b32 s10, 0x7f800001
	s_xor_b64 s[4:5], exec, -1
; %bb.2655:
	s_or_b64 exec, exec, s[8:9]
	s_and_b64 s[4:5], s[4:5], exec
	s_or_saveexec_b64 s[6:7], s[6:7]
	v_mov_b32_e32 v11, s10
	s_xor_b64 exec, exec, s[6:7]
	s_cbranch_execz .LBB6_606
.LBB6_2656:
	v_mov_b32_e32 v11, 0
	v_cmp_ne_u16_sdwa s[8:9], v12, v11 src0_sel:BYTE_3 src1_sel:DWORD
	s_andn2_b64 s[4:5], s[4:5], exec
	s_and_b64 s[8:9], s[8:9], exec
	s_or_b64 s[4:5], s[4:5], s[8:9]
	s_or_b64 exec, exec, s[6:7]
	s_and_saveexec_b64 s[6:7], s[4:5]
	s_cbranch_execnz .LBB6_607
	s_branch .LBB6_608
.LBB6_2657:
	s_movk_i32 s4, 0x80
	v_cmp_eq_u16_sdwa s[12:13], v17, s4 src0_sel:BYTE_0 src1_sel:DWORD
	s_mov_b64 s[4:5], -1
                                        ; implicit-def: $sgpr10
	s_and_saveexec_b64 s[8:9], s[12:13]
; %bb.2658:
	s_mov_b32 s10, 0x7f800001
	s_xor_b64 s[4:5], exec, -1
; %bb.2659:
	s_or_b64 exec, exec, s[8:9]
	s_and_b64 s[4:5], s[4:5], exec
	s_or_saveexec_b64 s[6:7], s[6:7]
	v_mov_b32_e32 v10, s10
	s_xor_b64 exec, exec, s[6:7]
	s_cbranch_execz .LBB6_610
.LBB6_2660:
	v_mov_b32_e32 v10, 0
	v_cmp_ne_u16_sdwa s[8:9], v17, v10 src0_sel:BYTE_0 src1_sel:DWORD
	s_andn2_b64 s[4:5], s[4:5], exec
	s_and_b64 s[8:9], s[8:9], exec
	s_or_b64 s[4:5], s[4:5], s[8:9]
	s_or_b64 exec, exec, s[6:7]
	s_and_saveexec_b64 s[6:7], s[4:5]
	s_cbranch_execnz .LBB6_611
	s_branch .LBB6_612
.LBB6_2661:
	s_movk_i32 s4, 0x80
	v_cmp_eq_u16_sdwa s[12:13], v13, s4 src0_sel:BYTE_0 src1_sel:DWORD
	s_mov_b64 s[4:5], -1
                                        ; implicit-def: $sgpr10
	s_and_saveexec_b64 s[8:9], s[12:13]
; %bb.2662:
	s_mov_b32 s10, 0x7f800001
	s_xor_b64 s[4:5], exec, -1
; %bb.2663:
	s_or_b64 exec, exec, s[8:9]
	s_and_b64 s[4:5], s[4:5], exec
	s_or_saveexec_b64 s[6:7], s[6:7]
	v_mov_b32_e32 v11, s10
	s_xor_b64 exec, exec, s[6:7]
	s_cbranch_execz .LBB6_614
.LBB6_2664:
	v_mov_b32_e32 v11, 0
	v_cmp_ne_u16_sdwa s[8:9], v13, v11 src0_sel:BYTE_0 src1_sel:DWORD
	s_andn2_b64 s[4:5], s[4:5], exec
	s_and_b64 s[8:9], s[8:9], exec
	s_or_b64 s[4:5], s[4:5], s[8:9]
	s_or_b64 exec, exec, s[6:7]
	s_and_saveexec_b64 s[6:7], s[4:5]
	s_cbranch_execnz .LBB6_615
	s_branch .LBB6_616
.LBB6_2665:
	s_movk_i32 s4, 0x80
	v_cmp_eq_u16_sdwa s[12:13], v11, s4 src0_sel:BYTE_0 src1_sel:DWORD
	s_mov_b64 s[4:5], -1
                                        ; implicit-def: $sgpr10
	s_and_saveexec_b64 s[8:9], s[12:13]
; %bb.2666:
	s_mov_b32 s10, 0x7f800001
	s_xor_b64 s[4:5], exec, -1
; %bb.2667:
	s_or_b64 exec, exec, s[8:9]
	s_and_b64 s[4:5], s[4:5], exec
	s_or_saveexec_b64 s[6:7], s[6:7]
	v_mov_b32_e32 v10, s10
	s_xor_b64 exec, exec, s[6:7]
	s_cbranch_execz .LBB6_618
.LBB6_2668:
	v_mov_b32_e32 v10, 0
	v_cmp_ne_u16_sdwa s[8:9], v11, v10 src0_sel:BYTE_0 src1_sel:DWORD
	s_andn2_b64 s[4:5], s[4:5], exec
	s_and_b64 s[8:9], s[8:9], exec
	s_or_b64 s[4:5], s[4:5], s[8:9]
	s_or_b64 exec, exec, s[6:7]
	s_and_saveexec_b64 s[6:7], s[4:5]
	s_cbranch_execnz .LBB6_619
	s_branch .LBB6_620
.LBB6_2669:
	s_movk_i32 s4, 0x80
	v_cmp_eq_u16_sdwa s[12:13], v11, s4 src0_sel:BYTE_0 src1_sel:DWORD
	s_mov_b64 s[4:5], -1
                                        ; implicit-def: $sgpr10
	s_and_saveexec_b64 s[8:9], s[12:13]
; %bb.2670:
	s_mov_b32 s10, 0x7f800001
	s_xor_b64 s[4:5], exec, -1
; %bb.2671:
	s_or_b64 exec, exec, s[8:9]
	s_and_b64 s[4:5], s[4:5], exec
	s_or_saveexec_b64 s[6:7], s[6:7]
	v_mov_b32_e32 v12, s10
	s_xor_b64 exec, exec, s[6:7]
	s_cbranch_execz .LBB6_622
.LBB6_2672:
	v_mov_b32_e32 v12, 0
	v_cmp_ne_u16_sdwa s[8:9], v11, v12 src0_sel:BYTE_0 src1_sel:DWORD
	s_andn2_b64 s[4:5], s[4:5], exec
	s_and_b64 s[8:9], s[8:9], exec
	s_or_b64 s[4:5], s[4:5], s[8:9]
	s_or_b64 exec, exec, s[6:7]
	s_and_saveexec_b64 s[6:7], s[4:5]
	s_cbranch_execnz .LBB6_623
	s_branch .LBB6_624
.LBB6_2673:
	s_movk_i32 s4, 0x80
	v_cmp_eq_u16_e32 vcc, s4, v11
	s_mov_b64 s[4:5], -1
                                        ; implicit-def: $sgpr10
	s_and_saveexec_b64 s[8:9], vcc
; %bb.2674:
	s_mov_b32 s10, 0x7f800001
	s_xor_b64 s[4:5], exec, -1
; %bb.2675:
	s_or_b64 exec, exec, s[8:9]
	s_and_b64 s[4:5], s[4:5], exec
                                        ; implicit-def: $vgpr11
	s_or_saveexec_b64 s[6:7], s[6:7]
	v_mov_b32_e32 v10, s10
	s_xor_b64 exec, exec, s[6:7]
	s_cbranch_execz .LBB6_626
.LBB6_2676:
	v_cmp_ne_u16_e32 vcc, 0, v11
	s_andn2_b64 s[4:5], s[4:5], exec
	s_and_b64 s[8:9], vcc, exec
	v_mov_b32_e32 v10, 0
	s_or_b64 s[4:5], s[4:5], s[8:9]
	s_or_b64 exec, exec, s[6:7]
	s_and_saveexec_b64 s[6:7], s[4:5]
	s_cbranch_execnz .LBB6_627
	s_branch .LBB6_628
.LBB6_2677:
	s_movk_i32 s4, 0x80
	v_cmp_eq_u16_e32 vcc, s4, v11
	s_mov_b64 s[4:5], -1
                                        ; implicit-def: $sgpr10
	s_and_saveexec_b64 s[8:9], vcc
; %bb.2678:
	s_mov_b32 s10, 0x7f800001
	s_xor_b64 s[4:5], exec, -1
; %bb.2679:
	s_or_b64 exec, exec, s[8:9]
	s_and_b64 s[4:5], s[4:5], exec
                                        ; implicit-def: $vgpr11
	s_or_saveexec_b64 s[6:7], s[6:7]
	v_mov_b32_e32 v12, s10
	s_xor_b64 exec, exec, s[6:7]
	s_cbranch_execz .LBB6_630
.LBB6_2680:
	v_cmp_ne_u16_e32 vcc, 0, v11
	s_andn2_b64 s[4:5], s[4:5], exec
	s_and_b64 s[8:9], vcc, exec
	v_mov_b32_e32 v12, 0
	s_or_b64 s[4:5], s[4:5], s[8:9]
	s_or_b64 exec, exec, s[6:7]
	s_and_saveexec_b64 s[6:7], s[4:5]
	s_cbranch_execnz .LBB6_631
	s_branch .LBB6_632
.LBB6_2681:
	s_movk_i32 s4, 0x80
	v_cmp_eq_u16_sdwa s[12:13], v17, s4 src0_sel:BYTE_3 src1_sel:DWORD
	s_mov_b64 s[4:5], -1
                                        ; implicit-def: $sgpr10
	s_and_saveexec_b64 s[8:9], s[12:13]
; %bb.2682:
	s_mov_b32 s10, 0x7f800001
	s_xor_b64 s[4:5], exec, -1
; %bb.2683:
	s_or_b64 exec, exec, s[8:9]
	s_and_b64 s[4:5], s[4:5], exec
	s_or_saveexec_b64 s[6:7], s[6:7]
	v_mov_b32_e32 v10, s10
	s_xor_b64 exec, exec, s[6:7]
	s_cbranch_execz .LBB6_634
.LBB6_2684:
	v_mov_b32_e32 v10, 0
	v_cmp_ne_u16_sdwa s[8:9], v17, v10 src0_sel:BYTE_3 src1_sel:DWORD
	s_andn2_b64 s[4:5], s[4:5], exec
	s_and_b64 s[8:9], s[8:9], exec
	s_or_b64 s[4:5], s[4:5], s[8:9]
	s_or_b64 exec, exec, s[6:7]
	s_and_saveexec_b64 s[6:7], s[4:5]
	s_cbranch_execnz .LBB6_635
	s_branch .LBB6_636
.LBB6_2685:
	s_movk_i32 s4, 0x80
	v_cmp_eq_u16_sdwa s[12:13], v13, s4 src0_sel:BYTE_3 src1_sel:DWORD
	s_mov_b64 s[4:5], -1
                                        ; implicit-def: $sgpr10
	s_and_saveexec_b64 s[8:9], s[12:13]
; %bb.2686:
	s_mov_b32 s10, 0x7f800001
	s_xor_b64 s[4:5], exec, -1
; %bb.2687:
	s_or_b64 exec, exec, s[8:9]
	s_and_b64 s[4:5], s[4:5], exec
	s_or_saveexec_b64 s[6:7], s[6:7]
	v_mov_b32_e32 v11, s10
	s_xor_b64 exec, exec, s[6:7]
	s_cbranch_execz .LBB6_638
.LBB6_2688:
	v_mov_b32_e32 v11, 0
	v_cmp_ne_u16_sdwa s[8:9], v13, v11 src0_sel:BYTE_3 src1_sel:DWORD
	s_andn2_b64 s[4:5], s[4:5], exec
	s_and_b64 s[8:9], s[8:9], exec
	s_or_b64 s[4:5], s[4:5], s[8:9]
	s_or_b64 exec, exec, s[6:7]
	s_and_saveexec_b64 s[6:7], s[4:5]
	s_cbranch_execnz .LBB6_639
	s_branch .LBB6_640
.LBB6_2689:
	s_movk_i32 s4, 0x80
	v_cmp_eq_u16_sdwa s[12:13], v6, s4 src0_sel:BYTE_0 src1_sel:DWORD
	s_mov_b64 s[4:5], -1
                                        ; implicit-def: $sgpr10
	s_and_saveexec_b64 s[8:9], s[12:13]
; %bb.2690:
	s_mov_b32 s10, 0x7f800001
	s_xor_b64 s[4:5], exec, -1
; %bb.2691:
	s_or_b64 exec, exec, s[8:9]
	s_and_b64 s[4:5], s[4:5], exec
	s_or_saveexec_b64 s[6:7], s[6:7]
	v_mov_b32_e32 v10, s10
	s_xor_b64 exec, exec, s[6:7]
	s_cbranch_execz .LBB6_642
.LBB6_2692:
	v_mov_b32_e32 v10, 0
	v_cmp_ne_u16_sdwa s[8:9], v6, v10 src0_sel:BYTE_0 src1_sel:DWORD
	s_andn2_b64 s[4:5], s[4:5], exec
	s_and_b64 s[8:9], s[8:9], exec
	s_or_b64 s[4:5], s[4:5], s[8:9]
	s_or_b64 exec, exec, s[6:7]
	s_and_saveexec_b64 s[6:7], s[4:5]
	s_cbranch_execnz .LBB6_643
	s_branch .LBB6_644
.LBB6_2693:
	s_movk_i32 s4, 0x80
	v_cmp_eq_u16_sdwa s[12:13], v2, s4 src0_sel:BYTE_0 src1_sel:DWORD
	s_mov_b64 s[4:5], -1
                                        ; implicit-def: $sgpr10
	s_and_saveexec_b64 s[8:9], s[12:13]
; %bb.2694:
	s_mov_b32 s10, 0x7f800001
	s_xor_b64 s[4:5], exec, -1
; %bb.2695:
	s_or_b64 exec, exec, s[8:9]
	s_and_b64 s[4:5], s[4:5], exec
	s_or_saveexec_b64 s[6:7], s[6:7]
	v_mov_b32_e32 v11, s10
	s_xor_b64 exec, exec, s[6:7]
	s_cbranch_execz .LBB6_646
.LBB6_2696:
	v_mov_b32_e32 v11, 0
	v_cmp_ne_u16_sdwa s[8:9], v2, v11 src0_sel:BYTE_0 src1_sel:DWORD
	s_andn2_b64 s[4:5], s[4:5], exec
	s_and_b64 s[8:9], s[8:9], exec
	s_or_b64 s[4:5], s[4:5], s[8:9]
	s_or_b64 exec, exec, s[6:7]
	s_and_saveexec_b64 s[6:7], s[4:5]
	s_cbranch_execnz .LBB6_647
	s_branch .LBB6_648
.LBB6_2697:
	s_movk_i32 s4, 0x80
	v_cmp_eq_u16_sdwa s[12:13], v11, s4 src0_sel:BYTE_0 src1_sel:DWORD
	s_mov_b64 s[4:5], -1
                                        ; implicit-def: $sgpr10
	s_and_saveexec_b64 s[8:9], s[12:13]
; %bb.2698:
	s_mov_b32 s10, 0x7f800001
	s_xor_b64 s[4:5], exec, -1
; %bb.2699:
	s_or_b64 exec, exec, s[8:9]
	s_and_b64 s[4:5], s[4:5], exec
	s_or_saveexec_b64 s[6:7], s[6:7]
	v_mov_b32_e32 v10, s10
	s_xor_b64 exec, exec, s[6:7]
	s_cbranch_execz .LBB6_650
.LBB6_2700:
	v_mov_b32_e32 v10, 0
	v_cmp_ne_u16_sdwa s[8:9], v11, v10 src0_sel:BYTE_0 src1_sel:DWORD
	s_andn2_b64 s[4:5], s[4:5], exec
	s_and_b64 s[8:9], s[8:9], exec
	s_or_b64 s[4:5], s[4:5], s[8:9]
	s_or_b64 exec, exec, s[6:7]
	s_and_saveexec_b64 s[6:7], s[4:5]
	s_cbranch_execnz .LBB6_651
	s_branch .LBB6_652
.LBB6_2701:
	s_movk_i32 s4, 0x80
	v_cmp_eq_u16_sdwa s[12:13], v11, s4 src0_sel:BYTE_0 src1_sel:DWORD
	s_mov_b64 s[4:5], -1
                                        ; implicit-def: $sgpr10
	s_and_saveexec_b64 s[8:9], s[12:13]
; %bb.2702:
	s_mov_b32 s10, 0x7f800001
	s_xor_b64 s[4:5], exec, -1
; %bb.2703:
	s_or_b64 exec, exec, s[8:9]
	s_and_b64 s[4:5], s[4:5], exec
	s_or_saveexec_b64 s[6:7], s[6:7]
	v_mov_b32_e32 v12, s10
	s_xor_b64 exec, exec, s[6:7]
	s_cbranch_execz .LBB6_654
.LBB6_2704:
	v_mov_b32_e32 v12, 0
	v_cmp_ne_u16_sdwa s[8:9], v11, v12 src0_sel:BYTE_0 src1_sel:DWORD
	s_andn2_b64 s[4:5], s[4:5], exec
	s_and_b64 s[8:9], s[8:9], exec
	s_or_b64 s[4:5], s[4:5], s[8:9]
	s_or_b64 exec, exec, s[6:7]
	s_and_saveexec_b64 s[6:7], s[4:5]
	s_cbranch_execnz .LBB6_655
	s_branch .LBB6_656
.LBB6_2705:
	s_movk_i32 s4, 0x80
	v_cmp_eq_u16_e32 vcc, s4, v11
	s_mov_b64 s[4:5], -1
                                        ; implicit-def: $sgpr10
	s_and_saveexec_b64 s[8:9], vcc
; %bb.2706:
	s_mov_b32 s10, 0x7f800001
	s_xor_b64 s[4:5], exec, -1
; %bb.2707:
	s_or_b64 exec, exec, s[8:9]
	s_and_b64 s[4:5], s[4:5], exec
                                        ; implicit-def: $vgpr11
	s_or_saveexec_b64 s[6:7], s[6:7]
	v_mov_b32_e32 v10, s10
	s_xor_b64 exec, exec, s[6:7]
	s_cbranch_execz .LBB6_658
.LBB6_2708:
	v_cmp_ne_u16_e32 vcc, 0, v11
	s_andn2_b64 s[4:5], s[4:5], exec
	s_and_b64 s[8:9], vcc, exec
	v_mov_b32_e32 v10, 0
	s_or_b64 s[4:5], s[4:5], s[8:9]
	s_or_b64 exec, exec, s[6:7]
	s_and_saveexec_b64 s[6:7], s[4:5]
	s_cbranch_execnz .LBB6_659
	s_branch .LBB6_660
.LBB6_2709:
	s_movk_i32 s4, 0x80
	v_cmp_eq_u16_e32 vcc, s4, v11
	s_mov_b64 s[4:5], -1
                                        ; implicit-def: $sgpr10
	s_and_saveexec_b64 s[8:9], vcc
; %bb.2710:
	s_mov_b32 s10, 0x7f800001
	s_xor_b64 s[4:5], exec, -1
; %bb.2711:
	s_or_b64 exec, exec, s[8:9]
	s_and_b64 s[4:5], s[4:5], exec
                                        ; implicit-def: $vgpr11
	s_or_saveexec_b64 s[6:7], s[6:7]
	v_mov_b32_e32 v12, s10
	s_xor_b64 exec, exec, s[6:7]
	s_cbranch_execz .LBB6_662
.LBB6_2712:
	v_cmp_ne_u16_e32 vcc, 0, v11
	s_andn2_b64 s[4:5], s[4:5], exec
	s_and_b64 s[8:9], vcc, exec
	v_mov_b32_e32 v12, 0
	s_or_b64 s[4:5], s[4:5], s[8:9]
	s_or_b64 exec, exec, s[6:7]
	s_and_saveexec_b64 s[6:7], s[4:5]
	s_cbranch_execnz .LBB6_663
	s_branch .LBB6_664
.LBB6_2713:
	s_movk_i32 s4, 0x80
	v_cmp_eq_u16_sdwa s[12:13], v6, s4 src0_sel:BYTE_3 src1_sel:DWORD
	s_mov_b64 s[4:5], -1
                                        ; implicit-def: $sgpr10
	s_and_saveexec_b64 s[8:9], s[12:13]
; %bb.2714:
	s_mov_b32 s10, 0x7f800001
	s_xor_b64 s[4:5], exec, -1
; %bb.2715:
	s_or_b64 exec, exec, s[8:9]
	s_and_b64 s[4:5], s[4:5], exec
	s_or_saveexec_b64 s[6:7], s[6:7]
	v_mov_b32_e32 v10, s10
	s_xor_b64 exec, exec, s[6:7]
	s_cbranch_execz .LBB6_666
.LBB6_2716:
	v_mov_b32_e32 v10, 0
	v_cmp_ne_u16_sdwa s[8:9], v6, v10 src0_sel:BYTE_3 src1_sel:DWORD
	s_andn2_b64 s[4:5], s[4:5], exec
	s_and_b64 s[8:9], s[8:9], exec
	s_or_b64 s[4:5], s[4:5], s[8:9]
	s_or_b64 exec, exec, s[6:7]
	s_and_saveexec_b64 s[6:7], s[4:5]
	s_cbranch_execnz .LBB6_667
	s_branch .LBB6_668
.LBB6_2717:
	s_movk_i32 s4, 0x80
	v_cmp_eq_u16_sdwa s[12:13], v2, s4 src0_sel:BYTE_3 src1_sel:DWORD
	s_mov_b64 s[4:5], -1
                                        ; implicit-def: $sgpr10
	s_and_saveexec_b64 s[8:9], s[12:13]
; %bb.2718:
	s_mov_b32 s10, 0x7f800001
	s_xor_b64 s[4:5], exec, -1
; %bb.2719:
	s_or_b64 exec, exec, s[8:9]
	s_and_b64 s[4:5], s[4:5], exec
	s_or_saveexec_b64 s[6:7], s[6:7]
	v_mov_b32_e32 v6, s10
	s_xor_b64 exec, exec, s[6:7]
	s_cbranch_execz .LBB6_670
.LBB6_2720:
	v_mov_b32_e32 v6, 0
	v_cmp_ne_u16_sdwa s[8:9], v2, v6 src0_sel:BYTE_3 src1_sel:DWORD
	s_andn2_b64 s[4:5], s[4:5], exec
	s_and_b64 s[8:9], s[8:9], exec
	s_or_b64 s[4:5], s[4:5], s[8:9]
	s_or_b64 exec, exec, s[6:7]
	s_and_saveexec_b64 s[6:7], s[4:5]
	s_cbranch_execnz .LBB6_671
	s_branch .LBB6_672
.LBB6_2721:
	s_movk_i32 s4, 0x80
	v_cmp_eq_u16_sdwa s[12:13], v7, s4 src0_sel:BYTE_0 src1_sel:DWORD
	s_mov_b64 s[4:5], -1
                                        ; implicit-def: $sgpr10
	s_and_saveexec_b64 s[8:9], s[12:13]
; %bb.2722:
	s_mov_b32 s10, 0x7f800001
	s_xor_b64 s[4:5], exec, -1
; %bb.2723:
	s_or_b64 exec, exec, s[8:9]
	s_and_b64 s[4:5], s[4:5], exec
	s_or_saveexec_b64 s[6:7], s[6:7]
	v_mov_b32_e32 v2, s10
	s_xor_b64 exec, exec, s[6:7]
	s_cbranch_execz .LBB6_674
.LBB6_2724:
	v_mov_b32_e32 v2, 0
	v_cmp_ne_u16_sdwa s[8:9], v7, v2 src0_sel:BYTE_0 src1_sel:DWORD
	s_andn2_b64 s[4:5], s[4:5], exec
	s_and_b64 s[8:9], s[8:9], exec
	s_or_b64 s[4:5], s[4:5], s[8:9]
	s_or_b64 exec, exec, s[6:7]
	s_and_saveexec_b64 s[6:7], s[4:5]
	s_cbranch_execnz .LBB6_675
	s_branch .LBB6_676
.LBB6_2725:
	s_movk_i32 s4, 0x80
	v_cmp_eq_u16_sdwa s[12:13], v3, s4 src0_sel:BYTE_0 src1_sel:DWORD
	s_mov_b64 s[4:5], -1
                                        ; implicit-def: $sgpr10
	s_and_saveexec_b64 s[8:9], s[12:13]
; %bb.2726:
	s_mov_b32 s10, 0x7f800001
	s_xor_b64 s[4:5], exec, -1
; %bb.2727:
	s_or_b64 exec, exec, s[8:9]
	s_and_b64 s[4:5], s[4:5], exec
	s_or_saveexec_b64 s[6:7], s[6:7]
	v_mov_b32_e32 v6, s10
	s_xor_b64 exec, exec, s[6:7]
	s_cbranch_execz .LBB6_678
.LBB6_2728:
	v_mov_b32_e32 v6, 0
	v_cmp_ne_u16_sdwa s[8:9], v3, v6 src0_sel:BYTE_0 src1_sel:DWORD
	s_andn2_b64 s[4:5], s[4:5], exec
	s_and_b64 s[8:9], s[8:9], exec
	s_or_b64 s[4:5], s[4:5], s[8:9]
	s_or_b64 exec, exec, s[6:7]
	s_and_saveexec_b64 s[6:7], s[4:5]
	s_cbranch_execnz .LBB6_679
	s_branch .LBB6_680
.LBB6_2729:
	s_movk_i32 s4, 0x80
	v_cmp_eq_u16_sdwa s[12:13], v6, s4 src0_sel:BYTE_0 src1_sel:DWORD
	s_mov_b64 s[4:5], -1
                                        ; implicit-def: $sgpr10
	s_and_saveexec_b64 s[8:9], s[12:13]
; %bb.2730:
	s_mov_b32 s10, 0x7f800001
	s_xor_b64 s[4:5], exec, -1
; %bb.2731:
	s_or_b64 exec, exec, s[8:9]
	s_and_b64 s[4:5], s[4:5], exec
	s_or_saveexec_b64 s[6:7], s[6:7]
	v_mov_b32_e32 v2, s10
	s_xor_b64 exec, exec, s[6:7]
	s_cbranch_execz .LBB6_682
.LBB6_2732:
	v_mov_b32_e32 v2, 0
	v_cmp_ne_u16_sdwa s[8:9], v6, v2 src0_sel:BYTE_0 src1_sel:DWORD
	s_andn2_b64 s[4:5], s[4:5], exec
	s_and_b64 s[8:9], s[8:9], exec
	s_or_b64 s[4:5], s[4:5], s[8:9]
	s_or_b64 exec, exec, s[6:7]
	s_and_saveexec_b64 s[6:7], s[4:5]
	s_cbranch_execnz .LBB6_683
	s_branch .LBB6_684
.LBB6_2733:
	s_movk_i32 s4, 0x80
	v_cmp_eq_u16_sdwa s[12:13], v6, s4 src0_sel:BYTE_0 src1_sel:DWORD
	s_mov_b64 s[4:5], -1
                                        ; implicit-def: $sgpr10
	s_and_saveexec_b64 s[8:9], s[12:13]
; %bb.2734:
	s_mov_b32 s10, 0x7f800001
	s_xor_b64 s[4:5], exec, -1
; %bb.2735:
	s_or_b64 exec, exec, s[8:9]
	s_and_b64 s[4:5], s[4:5], exec
	s_or_saveexec_b64 s[6:7], s[6:7]
	v_mov_b32_e32 v10, s10
	s_xor_b64 exec, exec, s[6:7]
	s_cbranch_execz .LBB6_686
.LBB6_2736:
	v_mov_b32_e32 v10, 0
	v_cmp_ne_u16_sdwa s[8:9], v6, v10 src0_sel:BYTE_0 src1_sel:DWORD
	s_andn2_b64 s[4:5], s[4:5], exec
	s_and_b64 s[8:9], s[8:9], exec
	s_or_b64 s[4:5], s[4:5], s[8:9]
	s_or_b64 exec, exec, s[6:7]
	s_and_saveexec_b64 s[6:7], s[4:5]
	s_cbranch_execnz .LBB6_687
	s_branch .LBB6_688
.LBB6_2737:
	s_movk_i32 s4, 0x80
	v_cmp_eq_u16_e32 vcc, s4, v6
	s_mov_b64 s[4:5], -1
                                        ; implicit-def: $sgpr10
	s_and_saveexec_b64 s[8:9], vcc
; %bb.2738:
	s_mov_b32 s10, 0x7f800001
	s_xor_b64 s[4:5], exec, -1
; %bb.2739:
	s_or_b64 exec, exec, s[8:9]
	s_and_b64 s[4:5], s[4:5], exec
                                        ; implicit-def: $vgpr6
	s_or_saveexec_b64 s[6:7], s[6:7]
	v_mov_b32_e32 v2, s10
	s_xor_b64 exec, exec, s[6:7]
	s_cbranch_execz .LBB6_690
.LBB6_2740:
	v_cmp_ne_u16_e32 vcc, 0, v6
	s_andn2_b64 s[4:5], s[4:5], exec
	s_and_b64 s[8:9], vcc, exec
	v_mov_b32_e32 v2, 0
	s_or_b64 s[4:5], s[4:5], s[8:9]
	s_or_b64 exec, exec, s[6:7]
	s_and_saveexec_b64 s[6:7], s[4:5]
	s_cbranch_execnz .LBB6_691
	s_branch .LBB6_692
.LBB6_2741:
	s_movk_i32 s4, 0x80
	v_cmp_eq_u16_e32 vcc, s4, v6
	s_mov_b64 s[4:5], -1
                                        ; implicit-def: $sgpr10
	s_and_saveexec_b64 s[8:9], vcc
; %bb.2742:
	s_mov_b32 s10, 0x7f800001
	s_xor_b64 s[4:5], exec, -1
; %bb.2743:
	s_or_b64 exec, exec, s[8:9]
	s_and_b64 s[4:5], s[4:5], exec
                                        ; implicit-def: $vgpr6
	s_or_saveexec_b64 s[6:7], s[6:7]
	v_mov_b32_e32 v10, s10
	s_xor_b64 exec, exec, s[6:7]
	s_cbranch_execz .LBB6_694
.LBB6_2744:
	v_cmp_ne_u16_e32 vcc, 0, v6
	s_andn2_b64 s[4:5], s[4:5], exec
	s_and_b64 s[8:9], vcc, exec
	v_mov_b32_e32 v10, 0
	s_or_b64 s[4:5], s[4:5], s[8:9]
	s_or_b64 exec, exec, s[6:7]
	s_and_saveexec_b64 s[6:7], s[4:5]
	s_cbranch_execnz .LBB6_695
	s_branch .LBB6_696
.LBB6_2745:
	s_movk_i32 s4, 0x80
	v_cmp_eq_u16_sdwa s[12:13], v7, s4 src0_sel:BYTE_3 src1_sel:DWORD
	s_mov_b64 s[4:5], -1
                                        ; implicit-def: $sgpr10
	s_and_saveexec_b64 s[8:9], s[12:13]
; %bb.2746:
	s_mov_b32 s10, 0x7f800001
	s_xor_b64 s[4:5], exec, -1
; %bb.2747:
	s_or_b64 exec, exec, s[8:9]
	s_and_b64 s[4:5], s[4:5], exec
	s_or_saveexec_b64 s[6:7], s[6:7]
	v_mov_b32_e32 v2, s10
	s_xor_b64 exec, exec, s[6:7]
	s_cbranch_execz .LBB6_698
.LBB6_2748:
	v_mov_b32_e32 v2, 0
	v_cmp_ne_u16_sdwa s[8:9], v7, v2 src0_sel:BYTE_3 src1_sel:DWORD
	s_andn2_b64 s[4:5], s[4:5], exec
	s_and_b64 s[8:9], s[8:9], exec
	s_or_b64 s[4:5], s[4:5], s[8:9]
	s_or_b64 exec, exec, s[6:7]
	s_and_saveexec_b64 s[6:7], s[4:5]
	s_cbranch_execnz .LBB6_699
	s_branch .LBB6_700
.LBB6_2749:
	s_movk_i32 s4, 0x80
	v_cmp_eq_u16_sdwa s[12:13], v3, s4 src0_sel:BYTE_3 src1_sel:DWORD
	s_mov_b64 s[4:5], -1
                                        ; implicit-def: $sgpr10
	s_and_saveexec_b64 s[8:9], s[12:13]
; %bb.2750:
	s_mov_b32 s10, 0x7f800001
	s_xor_b64 s[4:5], exec, -1
; %bb.2751:
	s_or_b64 exec, exec, s[8:9]
	s_and_b64 s[4:5], s[4:5], exec
	s_or_saveexec_b64 s[6:7], s[6:7]
	v_mov_b32_e32 v6, s10
	s_xor_b64 exec, exec, s[6:7]
	s_cbranch_execz .LBB6_702
.LBB6_2752:
	v_mov_b32_e32 v6, 0
	v_cmp_ne_u16_sdwa s[8:9], v3, v6 src0_sel:BYTE_3 src1_sel:DWORD
	s_andn2_b64 s[4:5], s[4:5], exec
	s_and_b64 s[8:9], s[8:9], exec
	s_or_b64 s[4:5], s[4:5], s[8:9]
	s_or_b64 exec, exec, s[6:7]
	s_and_saveexec_b64 s[6:7], s[4:5]
	s_cbranch_execnz .LBB6_703
	s_branch .LBB6_704
.LBB6_2753:
	s_movk_i32 s4, 0x80
	v_cmp_eq_u16_sdwa s[12:13], v8, s4 src0_sel:BYTE_0 src1_sel:DWORD
	s_mov_b64 s[4:5], -1
                                        ; implicit-def: $sgpr10
	s_and_saveexec_b64 s[8:9], s[12:13]
; %bb.2754:
	s_mov_b32 s10, 0x7f800001
	s_xor_b64 s[4:5], exec, -1
; %bb.2755:
	s_or_b64 exec, exec, s[8:9]
	s_and_b64 s[4:5], s[4:5], exec
	s_or_saveexec_b64 s[6:7], s[6:7]
	v_mov_b32_e32 v2, s10
	s_xor_b64 exec, exec, s[6:7]
	s_cbranch_execz .LBB6_706
.LBB6_2756:
	v_mov_b32_e32 v2, 0
	v_cmp_ne_u16_sdwa s[8:9], v8, v2 src0_sel:BYTE_0 src1_sel:DWORD
	s_andn2_b64 s[4:5], s[4:5], exec
	s_and_b64 s[8:9], s[8:9], exec
	s_or_b64 s[4:5], s[4:5], s[8:9]
	s_or_b64 exec, exec, s[6:7]
	s_and_saveexec_b64 s[6:7], s[4:5]
	s_cbranch_execnz .LBB6_707
	s_branch .LBB6_708
.LBB6_2757:
	s_movk_i32 s4, 0x80
	v_cmp_eq_u16_sdwa s[12:13], v4, s4 src0_sel:BYTE_0 src1_sel:DWORD
	s_mov_b64 s[4:5], -1
                                        ; implicit-def: $sgpr10
	s_and_saveexec_b64 s[8:9], s[12:13]
; %bb.2758:
	s_mov_b32 s10, 0x7f800001
	s_xor_b64 s[4:5], exec, -1
; %bb.2759:
	s_or_b64 exec, exec, s[8:9]
	s_and_b64 s[4:5], s[4:5], exec
	s_or_saveexec_b64 s[6:7], s[6:7]
	v_mov_b32_e32 v3, s10
	s_xor_b64 exec, exec, s[6:7]
	s_cbranch_execz .LBB6_710
.LBB6_2760:
	v_mov_b32_e32 v3, 0
	v_cmp_ne_u16_sdwa s[8:9], v4, v3 src0_sel:BYTE_0 src1_sel:DWORD
	s_andn2_b64 s[4:5], s[4:5], exec
	s_and_b64 s[8:9], s[8:9], exec
	s_or_b64 s[4:5], s[4:5], s[8:9]
	s_or_b64 exec, exec, s[6:7]
	s_and_saveexec_b64 s[6:7], s[4:5]
	s_cbranch_execnz .LBB6_711
	s_branch .LBB6_712
.LBB6_2761:
	s_movk_i32 s4, 0x80
	v_cmp_eq_u16_sdwa s[12:13], v3, s4 src0_sel:BYTE_0 src1_sel:DWORD
	s_mov_b64 s[4:5], -1
                                        ; implicit-def: $sgpr10
	s_and_saveexec_b64 s[8:9], s[12:13]
; %bb.2762:
	s_mov_b32 s10, 0x7f800001
	s_xor_b64 s[4:5], exec, -1
; %bb.2763:
	s_or_b64 exec, exec, s[8:9]
	s_and_b64 s[4:5], s[4:5], exec
	s_or_saveexec_b64 s[6:7], s[6:7]
	v_mov_b32_e32 v2, s10
	s_xor_b64 exec, exec, s[6:7]
	s_cbranch_execz .LBB6_714
.LBB6_2764:
	v_mov_b32_e32 v2, 0
	v_cmp_ne_u16_sdwa s[8:9], v3, v2 src0_sel:BYTE_0 src1_sel:DWORD
	s_andn2_b64 s[4:5], s[4:5], exec
	s_and_b64 s[8:9], s[8:9], exec
	s_or_b64 s[4:5], s[4:5], s[8:9]
	s_or_b64 exec, exec, s[6:7]
	s_and_saveexec_b64 s[6:7], s[4:5]
	s_cbranch_execnz .LBB6_715
	s_branch .LBB6_716
.LBB6_2765:
	s_movk_i32 s4, 0x80
	v_cmp_eq_u16_sdwa s[12:13], v3, s4 src0_sel:BYTE_0 src1_sel:DWORD
	s_mov_b64 s[4:5], -1
                                        ; implicit-def: $sgpr10
	s_and_saveexec_b64 s[8:9], s[12:13]
; %bb.2766:
	s_mov_b32 s10, 0x7f800001
	s_xor_b64 s[4:5], exec, -1
; %bb.2767:
	s_or_b64 exec, exec, s[8:9]
	s_and_b64 s[4:5], s[4:5], exec
	s_or_saveexec_b64 s[6:7], s[6:7]
	v_mov_b32_e32 v6, s10
	s_xor_b64 exec, exec, s[6:7]
	s_cbranch_execz .LBB6_718
.LBB6_2768:
	v_mov_b32_e32 v6, 0
	v_cmp_ne_u16_sdwa s[8:9], v3, v6 src0_sel:BYTE_0 src1_sel:DWORD
	s_andn2_b64 s[4:5], s[4:5], exec
	s_and_b64 s[8:9], s[8:9], exec
	s_or_b64 s[4:5], s[4:5], s[8:9]
	s_or_b64 exec, exec, s[6:7]
	s_and_saveexec_b64 s[6:7], s[4:5]
	s_cbranch_execnz .LBB6_719
	s_branch .LBB6_720
.LBB6_2769:
	s_movk_i32 s4, 0x80
	v_cmp_eq_u16_e32 vcc, s4, v3
	s_mov_b64 s[4:5], -1
                                        ; implicit-def: $sgpr10
	s_and_saveexec_b64 s[8:9], vcc
; %bb.2770:
	s_mov_b32 s10, 0x7f800001
	s_xor_b64 s[4:5], exec, -1
; %bb.2771:
	s_or_b64 exec, exec, s[8:9]
	s_and_b64 s[4:5], s[4:5], exec
                                        ; implicit-def: $vgpr3
	s_or_saveexec_b64 s[6:7], s[6:7]
	v_mov_b32_e32 v2, s10
	s_xor_b64 exec, exec, s[6:7]
	s_cbranch_execz .LBB6_722
.LBB6_2772:
	v_cmp_ne_u16_e32 vcc, 0, v3
	s_andn2_b64 s[4:5], s[4:5], exec
	s_and_b64 s[8:9], vcc, exec
	v_mov_b32_e32 v2, 0
	s_or_b64 s[4:5], s[4:5], s[8:9]
	s_or_b64 exec, exec, s[6:7]
	s_and_saveexec_b64 s[6:7], s[4:5]
	s_cbranch_execnz .LBB6_723
	s_branch .LBB6_724
.LBB6_2773:
	s_movk_i32 s4, 0x80
	v_cmp_eq_u16_e32 vcc, s4, v3
	s_mov_b64 s[4:5], -1
                                        ; implicit-def: $sgpr10
	s_and_saveexec_b64 s[8:9], vcc
; %bb.2774:
	s_mov_b32 s10, 0x7f800001
	s_xor_b64 s[4:5], exec, -1
; %bb.2775:
	s_or_b64 exec, exec, s[8:9]
	s_and_b64 s[4:5], s[4:5], exec
                                        ; implicit-def: $vgpr3
	s_or_saveexec_b64 s[6:7], s[6:7]
	v_mov_b32_e32 v6, s10
	s_xor_b64 exec, exec, s[6:7]
	s_cbranch_execz .LBB6_726
.LBB6_2776:
	v_cmp_ne_u16_e32 vcc, 0, v3
	s_andn2_b64 s[4:5], s[4:5], exec
	s_and_b64 s[8:9], vcc, exec
	v_mov_b32_e32 v6, 0
	s_or_b64 s[4:5], s[4:5], s[8:9]
	s_or_b64 exec, exec, s[6:7]
	s_and_saveexec_b64 s[6:7], s[4:5]
	s_cbranch_execnz .LBB6_727
	s_branch .LBB6_728
.LBB6_2777:
	s_movk_i32 s4, 0x80
	v_cmp_eq_u16_sdwa s[12:13], v8, s4 src0_sel:BYTE_3 src1_sel:DWORD
	s_mov_b64 s[4:5], -1
                                        ; implicit-def: $sgpr10
	s_and_saveexec_b64 s[8:9], s[12:13]
; %bb.2778:
	s_mov_b32 s10, 0x7f800001
	s_xor_b64 s[4:5], exec, -1
; %bb.2779:
	s_or_b64 exec, exec, s[8:9]
	s_and_b64 s[4:5], s[4:5], exec
	s_or_saveexec_b64 s[6:7], s[6:7]
	v_mov_b32_e32 v2, s10
	s_xor_b64 exec, exec, s[6:7]
	s_cbranch_execz .LBB6_730
.LBB6_2780:
	v_mov_b32_e32 v2, 0
	v_cmp_ne_u16_sdwa s[8:9], v8, v2 src0_sel:BYTE_3 src1_sel:DWORD
	s_andn2_b64 s[4:5], s[4:5], exec
	s_and_b64 s[8:9], s[8:9], exec
	s_or_b64 s[4:5], s[4:5], s[8:9]
	s_or_b64 exec, exec, s[6:7]
	s_and_saveexec_b64 s[6:7], s[4:5]
	s_cbranch_execnz .LBB6_731
	s_branch .LBB6_732
.LBB6_2781:
	s_movk_i32 s4, 0x80
	v_cmp_eq_u16_sdwa s[12:13], v4, s4 src0_sel:BYTE_3 src1_sel:DWORD
	s_mov_b64 s[4:5], -1
                                        ; implicit-def: $sgpr10
	s_and_saveexec_b64 s[8:9], s[12:13]
; %bb.2782:
	s_mov_b32 s10, 0x7f800001
	s_xor_b64 s[4:5], exec, -1
; %bb.2783:
	s_or_b64 exec, exec, s[8:9]
	s_and_b64 s[4:5], s[4:5], exec
	s_or_saveexec_b64 s[6:7], s[6:7]
	v_mov_b32_e32 v3, s10
	s_xor_b64 exec, exec, s[6:7]
	s_cbranch_execz .LBB6_734
.LBB6_2784:
	v_mov_b32_e32 v3, 0
	v_cmp_ne_u16_sdwa s[8:9], v4, v3 src0_sel:BYTE_3 src1_sel:DWORD
	s_andn2_b64 s[4:5], s[4:5], exec
	s_and_b64 s[8:9], s[8:9], exec
	s_or_b64 s[4:5], s[4:5], s[8:9]
	s_or_b64 exec, exec, s[6:7]
	s_and_saveexec_b64 s[6:7], s[4:5]
	s_cbranch_execnz .LBB6_735
	s_branch .LBB6_736
.LBB6_2785:
	s_movk_i32 s4, 0x80
	v_cmp_eq_u16_sdwa s[12:13], v9, s4 src0_sel:BYTE_0 src1_sel:DWORD
	s_mov_b64 s[4:5], -1
                                        ; implicit-def: $sgpr10
	s_and_saveexec_b64 s[8:9], s[12:13]
; %bb.2786:
	s_mov_b32 s10, 0x7f800001
	s_xor_b64 s[4:5], exec, -1
; %bb.2787:
	s_or_b64 exec, exec, s[8:9]
	s_and_b64 s[4:5], s[4:5], exec
	s_or_saveexec_b64 s[6:7], s[6:7]
	v_mov_b32_e32 v2, s10
	s_xor_b64 exec, exec, s[6:7]
	s_cbranch_execz .LBB6_738
.LBB6_2788:
	v_mov_b32_e32 v2, 0
	v_cmp_ne_u16_sdwa s[8:9], v9, v2 src0_sel:BYTE_0 src1_sel:DWORD
	s_andn2_b64 s[4:5], s[4:5], exec
	s_and_b64 s[8:9], s[8:9], exec
	s_or_b64 s[4:5], s[4:5], s[8:9]
	s_or_b64 exec, exec, s[6:7]
	s_and_saveexec_b64 s[6:7], s[4:5]
	s_cbranch_execnz .LBB6_739
	s_branch .LBB6_740
.LBB6_2789:
	s_movk_i32 s4, 0x80
	v_cmp_eq_u16_sdwa s[12:13], v5, s4 src0_sel:BYTE_0 src1_sel:DWORD
	s_mov_b64 s[4:5], -1
                                        ; implicit-def: $sgpr10
	s_and_saveexec_b64 s[8:9], s[12:13]
; %bb.2790:
	s_mov_b32 s10, 0x7f800001
	s_xor_b64 s[4:5], exec, -1
; %bb.2791:
	s_or_b64 exec, exec, s[8:9]
	s_and_b64 s[4:5], s[4:5], exec
	s_or_saveexec_b64 s[6:7], s[6:7]
	v_mov_b32_e32 v3, s10
	s_xor_b64 exec, exec, s[6:7]
	s_cbranch_execz .LBB6_742
.LBB6_2792:
	v_mov_b32_e32 v3, 0
	v_cmp_ne_u16_sdwa s[8:9], v5, v3 src0_sel:BYTE_0 src1_sel:DWORD
	s_andn2_b64 s[4:5], s[4:5], exec
	s_and_b64 s[8:9], s[8:9], exec
	s_or_b64 s[4:5], s[4:5], s[8:9]
	s_or_b64 exec, exec, s[6:7]
	s_and_saveexec_b64 s[6:7], s[4:5]
	s_cbranch_execnz .LBB6_743
	s_branch .LBB6_744
.LBB6_2793:
	s_movk_i32 s4, 0x80
	v_cmp_eq_u16_sdwa s[12:13], v3, s4 src0_sel:BYTE_0 src1_sel:DWORD
	s_mov_b64 s[4:5], -1
                                        ; implicit-def: $sgpr10
	s_and_saveexec_b64 s[8:9], s[12:13]
; %bb.2794:
	s_mov_b32 s10, 0x7f800001
	s_xor_b64 s[4:5], exec, -1
; %bb.2795:
	s_or_b64 exec, exec, s[8:9]
	s_and_b64 s[4:5], s[4:5], exec
	s_or_saveexec_b64 s[6:7], s[6:7]
	v_mov_b32_e32 v2, s10
	s_xor_b64 exec, exec, s[6:7]
	s_cbranch_execz .LBB6_746
.LBB6_2796:
	v_mov_b32_e32 v2, 0
	v_cmp_ne_u16_sdwa s[8:9], v3, v2 src0_sel:BYTE_0 src1_sel:DWORD
	s_andn2_b64 s[4:5], s[4:5], exec
	s_and_b64 s[8:9], s[8:9], exec
	s_or_b64 s[4:5], s[4:5], s[8:9]
	s_or_b64 exec, exec, s[6:7]
	s_and_saveexec_b64 s[6:7], s[4:5]
	s_cbranch_execnz .LBB6_747
	s_branch .LBB6_748
.LBB6_2797:
	s_movk_i32 s4, 0x80
	v_cmp_eq_u16_sdwa s[12:13], v3, s4 src0_sel:BYTE_0 src1_sel:DWORD
	s_mov_b64 s[4:5], -1
                                        ; implicit-def: $sgpr10
	s_and_saveexec_b64 s[8:9], s[12:13]
; %bb.2798:
	s_mov_b32 s10, 0x7f800001
	s_xor_b64 s[4:5], exec, -1
; %bb.2799:
	s_or_b64 exec, exec, s[8:9]
	s_and_b64 s[4:5], s[4:5], exec
	s_or_saveexec_b64 s[6:7], s[6:7]
	v_mov_b32_e32 v4, s10
	s_xor_b64 exec, exec, s[6:7]
	s_cbranch_execz .LBB6_750
.LBB6_2800:
	v_mov_b32_e32 v4, 0
	v_cmp_ne_u16_sdwa s[8:9], v3, v4 src0_sel:BYTE_0 src1_sel:DWORD
	s_andn2_b64 s[4:5], s[4:5], exec
	s_and_b64 s[8:9], s[8:9], exec
	s_or_b64 s[4:5], s[4:5], s[8:9]
	s_or_b64 exec, exec, s[6:7]
	s_and_saveexec_b64 s[6:7], s[4:5]
	s_cbranch_execnz .LBB6_751
	s_branch .LBB6_752
.LBB6_2801:
	s_movk_i32 s4, 0x80
	v_cmp_eq_u16_e32 vcc, s4, v3
	s_mov_b64 s[4:5], -1
                                        ; implicit-def: $sgpr10
	s_and_saveexec_b64 s[8:9], vcc
; %bb.2802:
	s_mov_b32 s10, 0x7f800001
	s_xor_b64 s[4:5], exec, -1
; %bb.2803:
	s_or_b64 exec, exec, s[8:9]
	s_and_b64 s[4:5], s[4:5], exec
                                        ; implicit-def: $vgpr3
	s_or_saveexec_b64 s[6:7], s[6:7]
	v_mov_b32_e32 v2, s10
	s_xor_b64 exec, exec, s[6:7]
	s_cbranch_execz .LBB6_754
.LBB6_2804:
	v_cmp_ne_u16_e32 vcc, 0, v3
	s_andn2_b64 s[4:5], s[4:5], exec
	s_and_b64 s[8:9], vcc, exec
	v_mov_b32_e32 v2, 0
	s_or_b64 s[4:5], s[4:5], s[8:9]
	s_or_b64 exec, exec, s[6:7]
	s_and_saveexec_b64 s[6:7], s[4:5]
	s_cbranch_execnz .LBB6_755
	s_branch .LBB6_756
.LBB6_2805:
	s_movk_i32 s4, 0x80
	v_cmp_eq_u16_e32 vcc, s4, v3
	s_mov_b64 s[4:5], -1
                                        ; implicit-def: $sgpr10
	s_and_saveexec_b64 s[8:9], vcc
; %bb.2806:
	s_mov_b32 s10, 0x7f800001
	s_xor_b64 s[4:5], exec, -1
; %bb.2807:
	s_or_b64 exec, exec, s[8:9]
	s_and_b64 s[4:5], s[4:5], exec
                                        ; implicit-def: $vgpr3
	s_or_saveexec_b64 s[6:7], s[6:7]
	v_mov_b32_e32 v4, s10
	s_xor_b64 exec, exec, s[6:7]
	s_cbranch_execz .LBB6_758
.LBB6_2808:
	v_cmp_ne_u16_e32 vcc, 0, v3
	s_andn2_b64 s[4:5], s[4:5], exec
	s_and_b64 s[8:9], vcc, exec
	v_mov_b32_e32 v4, 0
	s_or_b64 s[4:5], s[4:5], s[8:9]
	s_or_b64 exec, exec, s[6:7]
	s_and_saveexec_b64 s[6:7], s[4:5]
	s_cbranch_execnz .LBB6_759
	s_branch .LBB6_760
.LBB6_2809:
	s_movk_i32 s4, 0x80
	v_cmp_eq_u16_sdwa s[12:13], v9, s4 src0_sel:BYTE_3 src1_sel:DWORD
	s_mov_b64 s[4:5], -1
                                        ; implicit-def: $sgpr10
	s_and_saveexec_b64 s[8:9], s[12:13]
; %bb.2810:
	s_mov_b32 s10, 0x7f800001
	s_xor_b64 s[4:5], exec, -1
; %bb.2811:
	s_or_b64 exec, exec, s[8:9]
	s_and_b64 s[4:5], s[4:5], exec
	s_or_saveexec_b64 s[6:7], s[6:7]
	v_mov_b32_e32 v2, s10
	s_xor_b64 exec, exec, s[6:7]
	s_cbranch_execz .LBB6_762
.LBB6_2812:
	v_mov_b32_e32 v2, 0
	v_cmp_ne_u16_sdwa s[8:9], v9, v2 src0_sel:BYTE_3 src1_sel:DWORD
	s_andn2_b64 s[4:5], s[4:5], exec
	s_and_b64 s[8:9], s[8:9], exec
	s_or_b64 s[4:5], s[4:5], s[8:9]
	s_or_b64 exec, exec, s[6:7]
	s_and_saveexec_b64 s[6:7], s[4:5]
	s_cbranch_execnz .LBB6_763
	s_branch .LBB6_764
.LBB6_2813:
	s_movk_i32 s4, 0x80
	v_cmp_eq_u16_sdwa s[12:13], v5, s4 src0_sel:BYTE_3 src1_sel:DWORD
	s_mov_b64 s[4:5], -1
                                        ; implicit-def: $sgpr10
	s_and_saveexec_b64 s[8:9], s[12:13]
; %bb.2814:
	s_mov_b32 s10, 0x7f800001
	s_xor_b64 s[4:5], exec, -1
; %bb.2815:
	s_or_b64 exec, exec, s[8:9]
	s_and_b64 s[4:5], s[4:5], exec
	s_or_saveexec_b64 s[6:7], s[6:7]
	v_mov_b32_e32 v3, s10
	s_xor_b64 exec, exec, s[6:7]
	s_cbranch_execz .LBB6_766
.LBB6_2816:
	v_mov_b32_e32 v3, 0
	v_cmp_ne_u16_sdwa s[8:9], v5, v3 src0_sel:BYTE_3 src1_sel:DWORD
	s_andn2_b64 s[4:5], s[4:5], exec
	s_and_b64 s[8:9], s[8:9], exec
	s_or_b64 s[4:5], s[4:5], s[8:9]
	s_or_b64 exec, exec, s[6:7]
	s_and_saveexec_b64 s[6:7], s[4:5]
	s_cbranch_execnz .LBB6_767
	s_branch .LBB6_768
.LBB6_2817:
	s_movk_i32 s4, 0x80
	v_cmp_eq_u16_sdwa s[12:13], v14, s4 src0_sel:BYTE_0 src1_sel:DWORD
	s_mov_b64 s[4:5], -1
                                        ; implicit-def: $sgpr10
	s_and_saveexec_b64 s[8:9], s[12:13]
; %bb.2818:
	s_mov_b32 s10, 0x7f800001
	s_xor_b64 s[4:5], exec, -1
; %bb.2819:
	s_or_b64 exec, exec, s[8:9]
	s_and_b64 s[4:5], s[4:5], exec
	s_or_saveexec_b64 s[6:7], s[6:7]
	v_mov_b32_e32 v20, s10
	s_xor_b64 exec, exec, s[6:7]
	s_cbranch_execz .LBB6_770
.LBB6_2820:
	v_mov_b32_e32 v20, 0
	v_cmp_ne_u16_sdwa s[8:9], v14, v20 src0_sel:BYTE_0 src1_sel:DWORD
	s_andn2_b64 s[4:5], s[4:5], exec
	s_and_b64 s[8:9], s[8:9], exec
	s_or_b64 s[4:5], s[4:5], s[8:9]
	s_or_b64 exec, exec, s[6:7]
	s_and_saveexec_b64 s[6:7], s[4:5]
	s_cbranch_execnz .LBB6_771
	s_branch .LBB6_772
.LBB6_2821:
	s_movk_i32 s4, 0x80
	v_cmp_eq_u16_sdwa s[12:13], v10, s4 src0_sel:BYTE_0 src1_sel:DWORD
	s_mov_b64 s[4:5], -1
                                        ; implicit-def: $sgpr10
	s_and_saveexec_b64 s[8:9], s[12:13]
; %bb.2822:
	s_mov_b32 s10, 0x7f800001
	s_xor_b64 s[4:5], exec, -1
; %bb.2823:
	s_or_b64 exec, exec, s[8:9]
	s_and_b64 s[4:5], s[4:5], exec
	s_or_saveexec_b64 s[6:7], s[6:7]
	v_mov_b32_e32 v21, s10
	s_xor_b64 exec, exec, s[6:7]
	s_cbranch_execz .LBB6_774
.LBB6_2824:
	v_mov_b32_e32 v21, 0
	v_cmp_ne_u16_sdwa s[8:9], v10, v21 src0_sel:BYTE_0 src1_sel:DWORD
	s_andn2_b64 s[4:5], s[4:5], exec
	s_and_b64 s[8:9], s[8:9], exec
	s_or_b64 s[4:5], s[4:5], s[8:9]
	s_or_b64 exec, exec, s[6:7]
	s_and_saveexec_b64 s[6:7], s[4:5]
	s_cbranch_execnz .LBB6_775
	s_branch .LBB6_776
.LBB6_2825:
	s_movk_i32 s4, 0x80
	v_cmp_eq_u16_sdwa s[12:13], v21, s4 src0_sel:BYTE_0 src1_sel:DWORD
	s_mov_b64 s[4:5], -1
                                        ; implicit-def: $sgpr10
	s_and_saveexec_b64 s[8:9], s[12:13]
; %bb.2826:
	s_mov_b32 s10, 0x7f800001
	s_xor_b64 s[4:5], exec, -1
; %bb.2827:
	s_or_b64 exec, exec, s[8:9]
	s_and_b64 s[4:5], s[4:5], exec
	s_or_saveexec_b64 s[6:7], s[6:7]
	v_mov_b32_e32 v20, s10
	s_xor_b64 exec, exec, s[6:7]
	s_cbranch_execz .LBB6_778
.LBB6_2828:
	v_mov_b32_e32 v20, 0
	v_cmp_ne_u16_sdwa s[8:9], v21, v20 src0_sel:BYTE_0 src1_sel:DWORD
	s_andn2_b64 s[4:5], s[4:5], exec
	s_and_b64 s[8:9], s[8:9], exec
	s_or_b64 s[4:5], s[4:5], s[8:9]
	s_or_b64 exec, exec, s[6:7]
	s_and_saveexec_b64 s[6:7], s[4:5]
	s_cbranch_execnz .LBB6_779
	s_branch .LBB6_780
.LBB6_2829:
	s_movk_i32 s4, 0x80
	v_cmp_eq_u16_sdwa s[12:13], v21, s4 src0_sel:BYTE_0 src1_sel:DWORD
	s_mov_b64 s[4:5], -1
                                        ; implicit-def: $sgpr10
	s_and_saveexec_b64 s[8:9], s[12:13]
; %bb.2830:
	s_mov_b32 s10, 0x7f800001
	s_xor_b64 s[4:5], exec, -1
; %bb.2831:
	s_or_b64 exec, exec, s[8:9]
	s_and_b64 s[4:5], s[4:5], exec
	s_or_saveexec_b64 s[6:7], s[6:7]
	v_mov_b32_e32 v22, s10
	s_xor_b64 exec, exec, s[6:7]
	s_cbranch_execz .LBB6_782
.LBB6_2832:
	v_mov_b32_e32 v22, 0
	v_cmp_ne_u16_sdwa s[8:9], v21, v22 src0_sel:BYTE_0 src1_sel:DWORD
	s_andn2_b64 s[4:5], s[4:5], exec
	s_and_b64 s[8:9], s[8:9], exec
	s_or_b64 s[4:5], s[4:5], s[8:9]
	s_or_b64 exec, exec, s[6:7]
	s_and_saveexec_b64 s[6:7], s[4:5]
	s_cbranch_execnz .LBB6_783
	s_branch .LBB6_784
.LBB6_2833:
	s_movk_i32 s4, 0x80
	v_cmp_eq_u16_e32 vcc, s4, v21
	s_mov_b64 s[4:5], -1
                                        ; implicit-def: $sgpr10
	s_and_saveexec_b64 s[8:9], vcc
; %bb.2834:
	s_mov_b32 s10, 0x7f800001
	s_xor_b64 s[4:5], exec, -1
; %bb.2835:
	s_or_b64 exec, exec, s[8:9]
	s_and_b64 s[4:5], s[4:5], exec
                                        ; implicit-def: $vgpr21
	s_or_saveexec_b64 s[6:7], s[6:7]
	v_mov_b32_e32 v20, s10
	s_xor_b64 exec, exec, s[6:7]
	s_cbranch_execz .LBB6_786
.LBB6_2836:
	v_cmp_ne_u16_e32 vcc, 0, v21
	s_andn2_b64 s[4:5], s[4:5], exec
	s_and_b64 s[8:9], vcc, exec
	v_mov_b32_e32 v20, 0
	s_or_b64 s[4:5], s[4:5], s[8:9]
	s_or_b64 exec, exec, s[6:7]
	s_and_saveexec_b64 s[6:7], s[4:5]
	s_cbranch_execnz .LBB6_787
	s_branch .LBB6_788
.LBB6_2837:
	s_movk_i32 s4, 0x80
	v_cmp_eq_u16_e32 vcc, s4, v21
	s_mov_b64 s[4:5], -1
                                        ; implicit-def: $sgpr10
	s_and_saveexec_b64 s[8:9], vcc
; %bb.2838:
	s_mov_b32 s10, 0x7f800001
	s_xor_b64 s[4:5], exec, -1
; %bb.2839:
	s_or_b64 exec, exec, s[8:9]
	s_and_b64 s[4:5], s[4:5], exec
                                        ; implicit-def: $vgpr21
	s_or_saveexec_b64 s[6:7], s[6:7]
	v_mov_b32_e32 v22, s10
	s_xor_b64 exec, exec, s[6:7]
	s_cbranch_execz .LBB6_790
.LBB6_2840:
	v_cmp_ne_u16_e32 vcc, 0, v21
	s_andn2_b64 s[4:5], s[4:5], exec
	s_and_b64 s[8:9], vcc, exec
	v_mov_b32_e32 v22, 0
	s_or_b64 s[4:5], s[4:5], s[8:9]
	s_or_b64 exec, exec, s[6:7]
	s_and_saveexec_b64 s[6:7], s[4:5]
	s_cbranch_execnz .LBB6_791
	s_branch .LBB6_792
.LBB6_2841:
	s_movk_i32 s4, 0x80
	v_cmp_eq_u16_sdwa s[12:13], v14, s4 src0_sel:BYTE_3 src1_sel:DWORD
	s_mov_b64 s[4:5], -1
                                        ; implicit-def: $sgpr10
	s_and_saveexec_b64 s[8:9], s[12:13]
; %bb.2842:
	s_mov_b32 s10, 0x7f800001
	s_xor_b64 s[4:5], exec, -1
; %bb.2843:
	s_or_b64 exec, exec, s[8:9]
	s_and_b64 s[4:5], s[4:5], exec
	s_or_saveexec_b64 s[6:7], s[6:7]
	v_mov_b32_e32 v20, s10
	s_xor_b64 exec, exec, s[6:7]
	s_cbranch_execz .LBB6_794
.LBB6_2844:
	v_mov_b32_e32 v20, 0
	v_cmp_ne_u16_sdwa s[8:9], v14, v20 src0_sel:BYTE_3 src1_sel:DWORD
	s_andn2_b64 s[4:5], s[4:5], exec
	s_and_b64 s[8:9], s[8:9], exec
	s_or_b64 s[4:5], s[4:5], s[8:9]
	s_or_b64 exec, exec, s[6:7]
	s_and_saveexec_b64 s[6:7], s[4:5]
	s_cbranch_execnz .LBB6_795
	s_branch .LBB6_796
.LBB6_2845:
	s_movk_i32 s4, 0x80
	v_cmp_eq_u16_sdwa s[12:13], v10, s4 src0_sel:BYTE_3 src1_sel:DWORD
	s_mov_b64 s[4:5], -1
                                        ; implicit-def: $sgpr10
	s_and_saveexec_b64 s[8:9], s[12:13]
; %bb.2846:
	s_mov_b32 s10, 0x7f800001
	s_xor_b64 s[4:5], exec, -1
; %bb.2847:
	s_or_b64 exec, exec, s[8:9]
	s_and_b64 s[4:5], s[4:5], exec
	s_or_saveexec_b64 s[6:7], s[6:7]
	v_mov_b32_e32 v14, s10
	s_xor_b64 exec, exec, s[6:7]
	s_cbranch_execz .LBB6_798
.LBB6_2848:
	v_mov_b32_e32 v14, 0
	v_cmp_ne_u16_sdwa s[8:9], v10, v14 src0_sel:BYTE_3 src1_sel:DWORD
	s_andn2_b64 s[4:5], s[4:5], exec
	s_and_b64 s[8:9], s[8:9], exec
	s_or_b64 s[4:5], s[4:5], s[8:9]
	s_or_b64 exec, exec, s[6:7]
	s_and_saveexec_b64 s[6:7], s[4:5]
	s_cbranch_execnz .LBB6_799
	s_branch .LBB6_800
.LBB6_2849:
	s_movk_i32 s4, 0x80
	v_cmp_eq_u16_sdwa s[12:13], v15, s4 src0_sel:BYTE_0 src1_sel:DWORD
	s_mov_b64 s[4:5], -1
                                        ; implicit-def: $sgpr10
	s_and_saveexec_b64 s[8:9], s[12:13]
; %bb.2850:
	s_mov_b32 s10, 0x7f800001
	s_xor_b64 s[4:5], exec, -1
; %bb.2851:
	s_or_b64 exec, exec, s[8:9]
	s_and_b64 s[4:5], s[4:5], exec
	s_or_saveexec_b64 s[6:7], s[6:7]
	v_mov_b32_e32 v10, s10
	s_xor_b64 exec, exec, s[6:7]
	s_cbranch_execz .LBB6_802
.LBB6_2852:
	v_mov_b32_e32 v10, 0
	v_cmp_ne_u16_sdwa s[8:9], v15, v10 src0_sel:BYTE_0 src1_sel:DWORD
	s_andn2_b64 s[4:5], s[4:5], exec
	s_and_b64 s[8:9], s[8:9], exec
	s_or_b64 s[4:5], s[4:5], s[8:9]
	s_or_b64 exec, exec, s[6:7]
	s_and_saveexec_b64 s[6:7], s[4:5]
	s_cbranch_execnz .LBB6_803
	s_branch .LBB6_804
.LBB6_2853:
	s_movk_i32 s4, 0x80
	v_cmp_eq_u16_sdwa s[12:13], v11, s4 src0_sel:BYTE_0 src1_sel:DWORD
	s_mov_b64 s[4:5], -1
                                        ; implicit-def: $sgpr10
	s_and_saveexec_b64 s[8:9], s[12:13]
; %bb.2854:
	s_mov_b32 s10, 0x7f800001
	s_xor_b64 s[4:5], exec, -1
; %bb.2855:
	s_or_b64 exec, exec, s[8:9]
	s_and_b64 s[4:5], s[4:5], exec
	s_or_saveexec_b64 s[6:7], s[6:7]
	v_mov_b32_e32 v14, s10
	s_xor_b64 exec, exec, s[6:7]
	s_cbranch_execz .LBB6_806
.LBB6_2856:
	v_mov_b32_e32 v14, 0
	v_cmp_ne_u16_sdwa s[8:9], v11, v14 src0_sel:BYTE_0 src1_sel:DWORD
	s_andn2_b64 s[4:5], s[4:5], exec
	s_and_b64 s[8:9], s[8:9], exec
	s_or_b64 s[4:5], s[4:5], s[8:9]
	s_or_b64 exec, exec, s[6:7]
	s_and_saveexec_b64 s[6:7], s[4:5]
	s_cbranch_execnz .LBB6_807
	s_branch .LBB6_808
.LBB6_2857:
	s_movk_i32 s4, 0x80
	v_cmp_eq_u16_sdwa s[12:13], v14, s4 src0_sel:BYTE_0 src1_sel:DWORD
	s_mov_b64 s[4:5], -1
                                        ; implicit-def: $sgpr10
	s_and_saveexec_b64 s[8:9], s[12:13]
; %bb.2858:
	s_mov_b32 s10, 0x7f800001
	s_xor_b64 s[4:5], exec, -1
; %bb.2859:
	s_or_b64 exec, exec, s[8:9]
	s_and_b64 s[4:5], s[4:5], exec
	s_or_saveexec_b64 s[6:7], s[6:7]
	v_mov_b32_e32 v10, s10
	s_xor_b64 exec, exec, s[6:7]
	s_cbranch_execz .LBB6_810
.LBB6_2860:
	v_mov_b32_e32 v10, 0
	v_cmp_ne_u16_sdwa s[8:9], v14, v10 src0_sel:BYTE_0 src1_sel:DWORD
	s_andn2_b64 s[4:5], s[4:5], exec
	s_and_b64 s[8:9], s[8:9], exec
	s_or_b64 s[4:5], s[4:5], s[8:9]
	s_or_b64 exec, exec, s[6:7]
	s_and_saveexec_b64 s[6:7], s[4:5]
	s_cbranch_execnz .LBB6_811
	s_branch .LBB6_812
.LBB6_2861:
	s_movk_i32 s4, 0x80
	v_cmp_eq_u16_sdwa s[12:13], v14, s4 src0_sel:BYTE_0 src1_sel:DWORD
	s_mov_b64 s[4:5], -1
                                        ; implicit-def: $sgpr10
	s_and_saveexec_b64 s[8:9], s[12:13]
; %bb.2862:
	s_mov_b32 s10, 0x7f800001
	s_xor_b64 s[4:5], exec, -1
; %bb.2863:
	s_or_b64 exec, exec, s[8:9]
	s_and_b64 s[4:5], s[4:5], exec
	s_or_saveexec_b64 s[6:7], s[6:7]
	v_mov_b32_e32 v20, s10
	s_xor_b64 exec, exec, s[6:7]
	s_cbranch_execz .LBB6_814
.LBB6_2864:
	v_mov_b32_e32 v20, 0
	v_cmp_ne_u16_sdwa s[8:9], v14, v20 src0_sel:BYTE_0 src1_sel:DWORD
	s_andn2_b64 s[4:5], s[4:5], exec
	s_and_b64 s[8:9], s[8:9], exec
	s_or_b64 s[4:5], s[4:5], s[8:9]
	s_or_b64 exec, exec, s[6:7]
	s_and_saveexec_b64 s[6:7], s[4:5]
	s_cbranch_execnz .LBB6_815
	s_branch .LBB6_816
.LBB6_2865:
	s_movk_i32 s4, 0x80
	v_cmp_eq_u16_e32 vcc, s4, v14
	s_mov_b64 s[4:5], -1
                                        ; implicit-def: $sgpr10
	s_and_saveexec_b64 s[8:9], vcc
; %bb.2866:
	s_mov_b32 s10, 0x7f800001
	s_xor_b64 s[4:5], exec, -1
; %bb.2867:
	s_or_b64 exec, exec, s[8:9]
	s_and_b64 s[4:5], s[4:5], exec
                                        ; implicit-def: $vgpr14
	s_or_saveexec_b64 s[6:7], s[6:7]
	v_mov_b32_e32 v10, s10
	s_xor_b64 exec, exec, s[6:7]
	s_cbranch_execz .LBB6_818
.LBB6_2868:
	v_cmp_ne_u16_e32 vcc, 0, v14
	s_andn2_b64 s[4:5], s[4:5], exec
	s_and_b64 s[8:9], vcc, exec
	v_mov_b32_e32 v10, 0
	s_or_b64 s[4:5], s[4:5], s[8:9]
	s_or_b64 exec, exec, s[6:7]
	s_and_saveexec_b64 s[6:7], s[4:5]
	s_cbranch_execnz .LBB6_819
	s_branch .LBB6_820
.LBB6_2869:
	s_movk_i32 s4, 0x80
	v_cmp_eq_u16_e32 vcc, s4, v14
	s_mov_b64 s[4:5], -1
                                        ; implicit-def: $sgpr10
	s_and_saveexec_b64 s[8:9], vcc
; %bb.2870:
	s_mov_b32 s10, 0x7f800001
	s_xor_b64 s[4:5], exec, -1
; %bb.2871:
	s_or_b64 exec, exec, s[8:9]
	s_and_b64 s[4:5], s[4:5], exec
                                        ; implicit-def: $vgpr14
	s_or_saveexec_b64 s[6:7], s[6:7]
	v_mov_b32_e32 v20, s10
	s_xor_b64 exec, exec, s[6:7]
	s_cbranch_execz .LBB6_822
.LBB6_2872:
	v_cmp_ne_u16_e32 vcc, 0, v14
	s_andn2_b64 s[4:5], s[4:5], exec
	s_and_b64 s[8:9], vcc, exec
	v_mov_b32_e32 v20, 0
	s_or_b64 s[4:5], s[4:5], s[8:9]
	s_or_b64 exec, exec, s[6:7]
	s_and_saveexec_b64 s[6:7], s[4:5]
	s_cbranch_execnz .LBB6_823
	s_branch .LBB6_824
.LBB6_2873:
	s_movk_i32 s4, 0x80
	v_cmp_eq_u16_sdwa s[12:13], v15, s4 src0_sel:BYTE_3 src1_sel:DWORD
	s_mov_b64 s[4:5], -1
                                        ; implicit-def: $sgpr10
	s_and_saveexec_b64 s[8:9], s[12:13]
; %bb.2874:
	s_mov_b32 s10, 0x7f800001
	s_xor_b64 s[4:5], exec, -1
; %bb.2875:
	s_or_b64 exec, exec, s[8:9]
	s_and_b64 s[4:5], s[4:5], exec
	s_or_saveexec_b64 s[6:7], s[6:7]
	v_mov_b32_e32 v10, s10
	s_xor_b64 exec, exec, s[6:7]
	s_cbranch_execz .LBB6_826
.LBB6_2876:
	v_mov_b32_e32 v10, 0
	v_cmp_ne_u16_sdwa s[8:9], v15, v10 src0_sel:BYTE_3 src1_sel:DWORD
	s_andn2_b64 s[4:5], s[4:5], exec
	s_and_b64 s[8:9], s[8:9], exec
	s_or_b64 s[4:5], s[4:5], s[8:9]
	s_or_b64 exec, exec, s[6:7]
	s_and_saveexec_b64 s[6:7], s[4:5]
	s_cbranch_execnz .LBB6_827
	s_branch .LBB6_828
.LBB6_2877:
	s_movk_i32 s4, 0x80
	v_cmp_eq_u16_sdwa s[12:13], v11, s4 src0_sel:BYTE_3 src1_sel:DWORD
	s_mov_b64 s[4:5], -1
                                        ; implicit-def: $sgpr10
	s_and_saveexec_b64 s[8:9], s[12:13]
; %bb.2878:
	s_mov_b32 s10, 0x7f800001
	s_xor_b64 s[4:5], exec, -1
; %bb.2879:
	s_or_b64 exec, exec, s[8:9]
	s_and_b64 s[4:5], s[4:5], exec
	s_or_saveexec_b64 s[6:7], s[6:7]
	v_mov_b32_e32 v14, s10
	s_xor_b64 exec, exec, s[6:7]
	s_cbranch_execz .LBB6_830
.LBB6_2880:
	v_mov_b32_e32 v14, 0
	v_cmp_ne_u16_sdwa s[8:9], v11, v14 src0_sel:BYTE_3 src1_sel:DWORD
	s_andn2_b64 s[4:5], s[4:5], exec
	s_and_b64 s[8:9], s[8:9], exec
	s_or_b64 s[4:5], s[4:5], s[8:9]
	s_or_b64 exec, exec, s[6:7]
	s_and_saveexec_b64 s[6:7], s[4:5]
	s_cbranch_execnz .LBB6_831
	s_branch .LBB6_832
.LBB6_2881:
	s_movk_i32 s4, 0x80
	v_cmp_eq_u16_sdwa s[12:13], v16, s4 src0_sel:BYTE_0 src1_sel:DWORD
	s_mov_b64 s[4:5], -1
                                        ; implicit-def: $sgpr10
	s_and_saveexec_b64 s[8:9], s[12:13]
; %bb.2882:
	s_mov_b32 s10, 0x7f800001
	s_xor_b64 s[4:5], exec, -1
; %bb.2883:
	s_or_b64 exec, exec, s[8:9]
	s_and_b64 s[4:5], s[4:5], exec
	s_or_saveexec_b64 s[6:7], s[6:7]
	v_mov_b32_e32 v10, s10
	s_xor_b64 exec, exec, s[6:7]
	s_cbranch_execz .LBB6_834
.LBB6_2884:
	v_mov_b32_e32 v10, 0
	v_cmp_ne_u16_sdwa s[8:9], v16, v10 src0_sel:BYTE_0 src1_sel:DWORD
	s_andn2_b64 s[4:5], s[4:5], exec
	s_and_b64 s[8:9], s[8:9], exec
	s_or_b64 s[4:5], s[4:5], s[8:9]
	s_or_b64 exec, exec, s[6:7]
	s_and_saveexec_b64 s[6:7], s[4:5]
	s_cbranch_execnz .LBB6_835
	s_branch .LBB6_836
.LBB6_2885:
	s_movk_i32 s4, 0x80
	v_cmp_eq_u16_sdwa s[12:13], v12, s4 src0_sel:BYTE_0 src1_sel:DWORD
	s_mov_b64 s[4:5], -1
                                        ; implicit-def: $sgpr10
	s_and_saveexec_b64 s[8:9], s[12:13]
; %bb.2886:
	s_mov_b32 s10, 0x7f800001
	s_xor_b64 s[4:5], exec, -1
; %bb.2887:
	s_or_b64 exec, exec, s[8:9]
	s_and_b64 s[4:5], s[4:5], exec
	s_or_saveexec_b64 s[6:7], s[6:7]
	v_mov_b32_e32 v11, s10
	s_xor_b64 exec, exec, s[6:7]
	s_cbranch_execz .LBB6_838
.LBB6_2888:
	v_mov_b32_e32 v11, 0
	v_cmp_ne_u16_sdwa s[8:9], v12, v11 src0_sel:BYTE_0 src1_sel:DWORD
	s_andn2_b64 s[4:5], s[4:5], exec
	s_and_b64 s[8:9], s[8:9], exec
	s_or_b64 s[4:5], s[4:5], s[8:9]
	s_or_b64 exec, exec, s[6:7]
	s_and_saveexec_b64 s[6:7], s[4:5]
	s_cbranch_execnz .LBB6_839
	s_branch .LBB6_840
.LBB6_2889:
	s_movk_i32 s4, 0x80
	v_cmp_eq_u16_sdwa s[12:13], v11, s4 src0_sel:BYTE_0 src1_sel:DWORD
	s_mov_b64 s[4:5], -1
                                        ; implicit-def: $sgpr10
	s_and_saveexec_b64 s[8:9], s[12:13]
; %bb.2890:
	s_mov_b32 s10, 0x7f800001
	s_xor_b64 s[4:5], exec, -1
; %bb.2891:
	s_or_b64 exec, exec, s[8:9]
	s_and_b64 s[4:5], s[4:5], exec
	s_or_saveexec_b64 s[6:7], s[6:7]
	v_mov_b32_e32 v10, s10
	s_xor_b64 exec, exec, s[6:7]
	s_cbranch_execz .LBB6_842
.LBB6_2892:
	v_mov_b32_e32 v10, 0
	v_cmp_ne_u16_sdwa s[8:9], v11, v10 src0_sel:BYTE_0 src1_sel:DWORD
	s_andn2_b64 s[4:5], s[4:5], exec
	s_and_b64 s[8:9], s[8:9], exec
	s_or_b64 s[4:5], s[4:5], s[8:9]
	s_or_b64 exec, exec, s[6:7]
	s_and_saveexec_b64 s[6:7], s[4:5]
	s_cbranch_execnz .LBB6_843
	s_branch .LBB6_844
.LBB6_2893:
	s_movk_i32 s4, 0x80
	v_cmp_eq_u16_sdwa s[12:13], v11, s4 src0_sel:BYTE_0 src1_sel:DWORD
	s_mov_b64 s[4:5], -1
                                        ; implicit-def: $sgpr10
	s_and_saveexec_b64 s[8:9], s[12:13]
; %bb.2894:
	s_mov_b32 s10, 0x7f800001
	s_xor_b64 s[4:5], exec, -1
; %bb.2895:
	s_or_b64 exec, exec, s[8:9]
	s_and_b64 s[4:5], s[4:5], exec
	s_or_saveexec_b64 s[6:7], s[6:7]
	v_mov_b32_e32 v14, s10
	s_xor_b64 exec, exec, s[6:7]
	s_cbranch_execz .LBB6_846
.LBB6_2896:
	v_mov_b32_e32 v14, 0
	v_cmp_ne_u16_sdwa s[8:9], v11, v14 src0_sel:BYTE_0 src1_sel:DWORD
	s_andn2_b64 s[4:5], s[4:5], exec
	s_and_b64 s[8:9], s[8:9], exec
	s_or_b64 s[4:5], s[4:5], s[8:9]
	s_or_b64 exec, exec, s[6:7]
	s_and_saveexec_b64 s[6:7], s[4:5]
	s_cbranch_execnz .LBB6_847
	s_branch .LBB6_848
.LBB6_2897:
	s_movk_i32 s4, 0x80
	v_cmp_eq_u16_e32 vcc, s4, v11
	s_mov_b64 s[4:5], -1
                                        ; implicit-def: $sgpr10
	s_and_saveexec_b64 s[8:9], vcc
; %bb.2898:
	s_mov_b32 s10, 0x7f800001
	s_xor_b64 s[4:5], exec, -1
; %bb.2899:
	s_or_b64 exec, exec, s[8:9]
	s_and_b64 s[4:5], s[4:5], exec
                                        ; implicit-def: $vgpr11
	s_or_saveexec_b64 s[6:7], s[6:7]
	v_mov_b32_e32 v10, s10
	s_xor_b64 exec, exec, s[6:7]
	s_cbranch_execz .LBB6_850
.LBB6_2900:
	v_cmp_ne_u16_e32 vcc, 0, v11
	s_andn2_b64 s[4:5], s[4:5], exec
	s_and_b64 s[8:9], vcc, exec
	v_mov_b32_e32 v10, 0
	s_or_b64 s[4:5], s[4:5], s[8:9]
	s_or_b64 exec, exec, s[6:7]
	s_and_saveexec_b64 s[6:7], s[4:5]
	s_cbranch_execnz .LBB6_851
	s_branch .LBB6_852
.LBB6_2901:
	s_movk_i32 s4, 0x80
	v_cmp_eq_u16_e32 vcc, s4, v11
	s_mov_b64 s[4:5], -1
                                        ; implicit-def: $sgpr10
	s_and_saveexec_b64 s[8:9], vcc
; %bb.2902:
	s_mov_b32 s10, 0x7f800001
	s_xor_b64 s[4:5], exec, -1
; %bb.2903:
	s_or_b64 exec, exec, s[8:9]
	s_and_b64 s[4:5], s[4:5], exec
                                        ; implicit-def: $vgpr11
	s_or_saveexec_b64 s[6:7], s[6:7]
	v_mov_b32_e32 v14, s10
	s_xor_b64 exec, exec, s[6:7]
	s_cbranch_execz .LBB6_854
.LBB6_2904:
	v_cmp_ne_u16_e32 vcc, 0, v11
	s_andn2_b64 s[4:5], s[4:5], exec
	s_and_b64 s[8:9], vcc, exec
	v_mov_b32_e32 v14, 0
	s_or_b64 s[4:5], s[4:5], s[8:9]
	s_or_b64 exec, exec, s[6:7]
	s_and_saveexec_b64 s[6:7], s[4:5]
	s_cbranch_execnz .LBB6_855
	s_branch .LBB6_856
.LBB6_2905:
	s_movk_i32 s4, 0x80
	v_cmp_eq_u16_sdwa s[12:13], v16, s4 src0_sel:BYTE_3 src1_sel:DWORD
	s_mov_b64 s[4:5], -1
                                        ; implicit-def: $sgpr10
	s_and_saveexec_b64 s[8:9], s[12:13]
; %bb.2906:
	s_mov_b32 s10, 0x7f800001
	s_xor_b64 s[4:5], exec, -1
; %bb.2907:
	s_or_b64 exec, exec, s[8:9]
	s_and_b64 s[4:5], s[4:5], exec
	s_or_saveexec_b64 s[6:7], s[6:7]
	v_mov_b32_e32 v10, s10
	s_xor_b64 exec, exec, s[6:7]
	s_cbranch_execz .LBB6_858
.LBB6_2908:
	v_mov_b32_e32 v10, 0
	v_cmp_ne_u16_sdwa s[8:9], v16, v10 src0_sel:BYTE_3 src1_sel:DWORD
	s_andn2_b64 s[4:5], s[4:5], exec
	s_and_b64 s[8:9], s[8:9], exec
	s_or_b64 s[4:5], s[4:5], s[8:9]
	s_or_b64 exec, exec, s[6:7]
	s_and_saveexec_b64 s[6:7], s[4:5]
	s_cbranch_execnz .LBB6_859
	s_branch .LBB6_860
.LBB6_2909:
	s_movk_i32 s4, 0x80
	v_cmp_eq_u16_sdwa s[12:13], v12, s4 src0_sel:BYTE_3 src1_sel:DWORD
	s_mov_b64 s[4:5], -1
                                        ; implicit-def: $sgpr10
	s_and_saveexec_b64 s[8:9], s[12:13]
; %bb.2910:
	s_mov_b32 s10, 0x7f800001
	s_xor_b64 s[4:5], exec, -1
; %bb.2911:
	s_or_b64 exec, exec, s[8:9]
	s_and_b64 s[4:5], s[4:5], exec
	s_or_saveexec_b64 s[6:7], s[6:7]
	v_mov_b32_e32 v11, s10
	s_xor_b64 exec, exec, s[6:7]
	s_cbranch_execz .LBB6_862
.LBB6_2912:
	v_mov_b32_e32 v11, 0
	v_cmp_ne_u16_sdwa s[8:9], v12, v11 src0_sel:BYTE_3 src1_sel:DWORD
	s_andn2_b64 s[4:5], s[4:5], exec
	s_and_b64 s[8:9], s[8:9], exec
	s_or_b64 s[4:5], s[4:5], s[8:9]
	s_or_b64 exec, exec, s[6:7]
	s_and_saveexec_b64 s[6:7], s[4:5]
	s_cbranch_execnz .LBB6_863
	s_branch .LBB6_864
.LBB6_2913:
	s_movk_i32 s4, 0x80
	v_cmp_eq_u16_sdwa s[12:13], v17, s4 src0_sel:BYTE_0 src1_sel:DWORD
	s_mov_b64 s[4:5], -1
                                        ; implicit-def: $sgpr10
	s_and_saveexec_b64 s[8:9], s[12:13]
; %bb.2914:
	s_mov_b32 s10, 0x7f800001
	s_xor_b64 s[4:5], exec, -1
; %bb.2915:
	s_or_b64 exec, exec, s[8:9]
	s_and_b64 s[4:5], s[4:5], exec
	s_or_saveexec_b64 s[6:7], s[6:7]
	v_mov_b32_e32 v10, s10
	s_xor_b64 exec, exec, s[6:7]
	s_cbranch_execz .LBB6_866
.LBB6_2916:
	v_mov_b32_e32 v10, 0
	v_cmp_ne_u16_sdwa s[8:9], v17, v10 src0_sel:BYTE_0 src1_sel:DWORD
	s_andn2_b64 s[4:5], s[4:5], exec
	s_and_b64 s[8:9], s[8:9], exec
	s_or_b64 s[4:5], s[4:5], s[8:9]
	s_or_b64 exec, exec, s[6:7]
	s_and_saveexec_b64 s[6:7], s[4:5]
	s_cbranch_execnz .LBB6_867
	s_branch .LBB6_868
.LBB6_2917:
	s_movk_i32 s4, 0x80
	v_cmp_eq_u16_sdwa s[12:13], v13, s4 src0_sel:BYTE_0 src1_sel:DWORD
	s_mov_b64 s[4:5], -1
                                        ; implicit-def: $sgpr10
	s_and_saveexec_b64 s[8:9], s[12:13]
; %bb.2918:
	s_mov_b32 s10, 0x7f800001
	s_xor_b64 s[4:5], exec, -1
; %bb.2919:
	s_or_b64 exec, exec, s[8:9]
	s_and_b64 s[4:5], s[4:5], exec
	s_or_saveexec_b64 s[6:7], s[6:7]
	v_mov_b32_e32 v11, s10
	s_xor_b64 exec, exec, s[6:7]
	s_cbranch_execz .LBB6_870
.LBB6_2920:
	v_mov_b32_e32 v11, 0
	v_cmp_ne_u16_sdwa s[8:9], v13, v11 src0_sel:BYTE_0 src1_sel:DWORD
	s_andn2_b64 s[4:5], s[4:5], exec
	s_and_b64 s[8:9], s[8:9], exec
	s_or_b64 s[4:5], s[4:5], s[8:9]
	s_or_b64 exec, exec, s[6:7]
	s_and_saveexec_b64 s[6:7], s[4:5]
	s_cbranch_execnz .LBB6_871
	s_branch .LBB6_872
.LBB6_2921:
	s_movk_i32 s4, 0x80
	v_cmp_eq_u16_sdwa s[12:13], v11, s4 src0_sel:BYTE_0 src1_sel:DWORD
	s_mov_b64 s[4:5], -1
                                        ; implicit-def: $sgpr10
	s_and_saveexec_b64 s[8:9], s[12:13]
; %bb.2922:
	s_mov_b32 s10, 0x7f800001
	s_xor_b64 s[4:5], exec, -1
; %bb.2923:
	s_or_b64 exec, exec, s[8:9]
	s_and_b64 s[4:5], s[4:5], exec
	s_or_saveexec_b64 s[6:7], s[6:7]
	v_mov_b32_e32 v10, s10
	s_xor_b64 exec, exec, s[6:7]
	s_cbranch_execz .LBB6_874
.LBB6_2924:
	v_mov_b32_e32 v10, 0
	v_cmp_ne_u16_sdwa s[8:9], v11, v10 src0_sel:BYTE_0 src1_sel:DWORD
	s_andn2_b64 s[4:5], s[4:5], exec
	s_and_b64 s[8:9], s[8:9], exec
	s_or_b64 s[4:5], s[4:5], s[8:9]
	s_or_b64 exec, exec, s[6:7]
	s_and_saveexec_b64 s[6:7], s[4:5]
	s_cbranch_execnz .LBB6_875
	s_branch .LBB6_876
.LBB6_2925:
	s_movk_i32 s4, 0x80
	v_cmp_eq_u16_sdwa s[12:13], v11, s4 src0_sel:BYTE_0 src1_sel:DWORD
	s_mov_b64 s[4:5], -1
                                        ; implicit-def: $sgpr10
	s_and_saveexec_b64 s[8:9], s[12:13]
; %bb.2926:
	s_mov_b32 s10, 0x7f800001
	s_xor_b64 s[4:5], exec, -1
; %bb.2927:
	s_or_b64 exec, exec, s[8:9]
	s_and_b64 s[4:5], s[4:5], exec
	s_or_saveexec_b64 s[6:7], s[6:7]
	v_mov_b32_e32 v12, s10
	s_xor_b64 exec, exec, s[6:7]
	s_cbranch_execz .LBB6_878
.LBB6_2928:
	v_mov_b32_e32 v12, 0
	v_cmp_ne_u16_sdwa s[8:9], v11, v12 src0_sel:BYTE_0 src1_sel:DWORD
	s_andn2_b64 s[4:5], s[4:5], exec
	s_and_b64 s[8:9], s[8:9], exec
	s_or_b64 s[4:5], s[4:5], s[8:9]
	s_or_b64 exec, exec, s[6:7]
	s_and_saveexec_b64 s[6:7], s[4:5]
	s_cbranch_execnz .LBB6_879
	s_branch .LBB6_880
.LBB6_2929:
	s_movk_i32 s4, 0x80
	v_cmp_eq_u16_e32 vcc, s4, v11
	s_mov_b64 s[4:5], -1
                                        ; implicit-def: $sgpr10
	s_and_saveexec_b64 s[8:9], vcc
; %bb.2930:
	s_mov_b32 s10, 0x7f800001
	s_xor_b64 s[4:5], exec, -1
; %bb.2931:
	s_or_b64 exec, exec, s[8:9]
	s_and_b64 s[4:5], s[4:5], exec
                                        ; implicit-def: $vgpr11
	s_or_saveexec_b64 s[6:7], s[6:7]
	v_mov_b32_e32 v10, s10
	s_xor_b64 exec, exec, s[6:7]
	s_cbranch_execz .LBB6_882
.LBB6_2932:
	v_cmp_ne_u16_e32 vcc, 0, v11
	s_andn2_b64 s[4:5], s[4:5], exec
	s_and_b64 s[8:9], vcc, exec
	v_mov_b32_e32 v10, 0
	s_or_b64 s[4:5], s[4:5], s[8:9]
	s_or_b64 exec, exec, s[6:7]
	s_and_saveexec_b64 s[6:7], s[4:5]
	s_cbranch_execnz .LBB6_883
	s_branch .LBB6_884
.LBB6_2933:
	s_movk_i32 s4, 0x80
	v_cmp_eq_u16_e32 vcc, s4, v11
	s_mov_b64 s[4:5], -1
                                        ; implicit-def: $sgpr10
	s_and_saveexec_b64 s[8:9], vcc
; %bb.2934:
	s_mov_b32 s10, 0x7f800001
	s_xor_b64 s[4:5], exec, -1
; %bb.2935:
	s_or_b64 exec, exec, s[8:9]
	s_and_b64 s[4:5], s[4:5], exec
                                        ; implicit-def: $vgpr11
	s_or_saveexec_b64 s[6:7], s[6:7]
	v_mov_b32_e32 v12, s10
	s_xor_b64 exec, exec, s[6:7]
	s_cbranch_execz .LBB6_886
.LBB6_2936:
	v_cmp_ne_u16_e32 vcc, 0, v11
	s_andn2_b64 s[4:5], s[4:5], exec
	s_and_b64 s[8:9], vcc, exec
	v_mov_b32_e32 v12, 0
	s_or_b64 s[4:5], s[4:5], s[8:9]
	s_or_b64 exec, exec, s[6:7]
	s_and_saveexec_b64 s[6:7], s[4:5]
	s_cbranch_execnz .LBB6_887
	s_branch .LBB6_888
.LBB6_2937:
	s_movk_i32 s4, 0x80
	v_cmp_eq_u16_sdwa s[12:13], v17, s4 src0_sel:BYTE_3 src1_sel:DWORD
	s_mov_b64 s[4:5], -1
                                        ; implicit-def: $sgpr10
	s_and_saveexec_b64 s[8:9], s[12:13]
; %bb.2938:
	s_mov_b32 s10, 0x7f800001
	s_xor_b64 s[4:5], exec, -1
; %bb.2939:
	s_or_b64 exec, exec, s[8:9]
	s_and_b64 s[4:5], s[4:5], exec
	s_or_saveexec_b64 s[6:7], s[6:7]
	v_mov_b32_e32 v10, s10
	s_xor_b64 exec, exec, s[6:7]
	s_cbranch_execz .LBB6_890
.LBB6_2940:
	v_mov_b32_e32 v10, 0
	v_cmp_ne_u16_sdwa s[8:9], v17, v10 src0_sel:BYTE_3 src1_sel:DWORD
	s_andn2_b64 s[4:5], s[4:5], exec
	s_and_b64 s[8:9], s[8:9], exec
	s_or_b64 s[4:5], s[4:5], s[8:9]
	s_or_b64 exec, exec, s[6:7]
	s_and_saveexec_b64 s[6:7], s[4:5]
	s_cbranch_execnz .LBB6_891
	s_branch .LBB6_892
.LBB6_2941:
	s_movk_i32 s4, 0x80
	v_cmp_eq_u16_sdwa s[12:13], v13, s4 src0_sel:BYTE_3 src1_sel:DWORD
	s_mov_b64 s[4:5], -1
                                        ; implicit-def: $sgpr10
	s_and_saveexec_b64 s[8:9], s[12:13]
; %bb.2942:
	s_mov_b32 s10, 0x7f800001
	s_xor_b64 s[4:5], exec, -1
; %bb.2943:
	s_or_b64 exec, exec, s[8:9]
	s_and_b64 s[4:5], s[4:5], exec
	s_or_saveexec_b64 s[6:7], s[6:7]
	v_mov_b32_e32 v11, s10
	s_xor_b64 exec, exec, s[6:7]
	s_cbranch_execz .LBB6_894
.LBB6_2944:
	v_mov_b32_e32 v11, 0
	v_cmp_ne_u16_sdwa s[8:9], v13, v11 src0_sel:BYTE_3 src1_sel:DWORD
	s_andn2_b64 s[4:5], s[4:5], exec
	s_and_b64 s[8:9], s[8:9], exec
	s_or_b64 s[4:5], s[4:5], s[8:9]
	s_or_b64 exec, exec, s[6:7]
	s_and_saveexec_b64 s[6:7], s[4:5]
	s_cbranch_execnz .LBB6_895
	s_branch .LBB6_896
.LBB6_2945:
	s_movk_i32 s4, 0x80
	v_cmp_eq_u16_sdwa s[12:13], v6, s4 src0_sel:BYTE_0 src1_sel:DWORD
	s_mov_b64 s[4:5], -1
                                        ; implicit-def: $sgpr10
	s_and_saveexec_b64 s[8:9], s[12:13]
; %bb.2946:
	s_mov_b32 s10, 0x7f800001
	s_xor_b64 s[4:5], exec, -1
; %bb.2947:
	s_or_b64 exec, exec, s[8:9]
	s_and_b64 s[4:5], s[4:5], exec
	s_or_saveexec_b64 s[6:7], s[6:7]
	v_mov_b32_e32 v10, s10
	s_xor_b64 exec, exec, s[6:7]
	s_cbranch_execz .LBB6_898
.LBB6_2948:
	v_mov_b32_e32 v10, 0
	v_cmp_ne_u16_sdwa s[8:9], v6, v10 src0_sel:BYTE_0 src1_sel:DWORD
	s_andn2_b64 s[4:5], s[4:5], exec
	s_and_b64 s[8:9], s[8:9], exec
	s_or_b64 s[4:5], s[4:5], s[8:9]
	s_or_b64 exec, exec, s[6:7]
	s_and_saveexec_b64 s[6:7], s[4:5]
	s_cbranch_execnz .LBB6_899
	s_branch .LBB6_900
.LBB6_2949:
	s_movk_i32 s4, 0x80
	v_cmp_eq_u16_sdwa s[12:13], v2, s4 src0_sel:BYTE_0 src1_sel:DWORD
	s_mov_b64 s[4:5], -1
                                        ; implicit-def: $sgpr10
	s_and_saveexec_b64 s[8:9], s[12:13]
; %bb.2950:
	s_mov_b32 s10, 0x7f800001
	s_xor_b64 s[4:5], exec, -1
; %bb.2951:
	s_or_b64 exec, exec, s[8:9]
	s_and_b64 s[4:5], s[4:5], exec
	s_or_saveexec_b64 s[6:7], s[6:7]
	v_mov_b32_e32 v11, s10
	s_xor_b64 exec, exec, s[6:7]
	s_cbranch_execz .LBB6_902
.LBB6_2952:
	v_mov_b32_e32 v11, 0
	v_cmp_ne_u16_sdwa s[8:9], v2, v11 src0_sel:BYTE_0 src1_sel:DWORD
	s_andn2_b64 s[4:5], s[4:5], exec
	s_and_b64 s[8:9], s[8:9], exec
	s_or_b64 s[4:5], s[4:5], s[8:9]
	s_or_b64 exec, exec, s[6:7]
	s_and_saveexec_b64 s[6:7], s[4:5]
	s_cbranch_execnz .LBB6_903
	s_branch .LBB6_904
.LBB6_2953:
	s_movk_i32 s4, 0x80
	v_cmp_eq_u16_sdwa s[12:13], v11, s4 src0_sel:BYTE_0 src1_sel:DWORD
	s_mov_b64 s[4:5], -1
                                        ; implicit-def: $sgpr10
	s_and_saveexec_b64 s[8:9], s[12:13]
; %bb.2954:
	s_mov_b32 s10, 0x7f800001
	s_xor_b64 s[4:5], exec, -1
; %bb.2955:
	s_or_b64 exec, exec, s[8:9]
	s_and_b64 s[4:5], s[4:5], exec
	s_or_saveexec_b64 s[6:7], s[6:7]
	v_mov_b32_e32 v10, s10
	s_xor_b64 exec, exec, s[6:7]
	s_cbranch_execz .LBB6_906
.LBB6_2956:
	v_mov_b32_e32 v10, 0
	v_cmp_ne_u16_sdwa s[8:9], v11, v10 src0_sel:BYTE_0 src1_sel:DWORD
	s_andn2_b64 s[4:5], s[4:5], exec
	s_and_b64 s[8:9], s[8:9], exec
	s_or_b64 s[4:5], s[4:5], s[8:9]
	s_or_b64 exec, exec, s[6:7]
	s_and_saveexec_b64 s[6:7], s[4:5]
	s_cbranch_execnz .LBB6_907
	s_branch .LBB6_908
.LBB6_2957:
	s_movk_i32 s4, 0x80
	v_cmp_eq_u16_sdwa s[12:13], v11, s4 src0_sel:BYTE_0 src1_sel:DWORD
	s_mov_b64 s[4:5], -1
                                        ; implicit-def: $sgpr10
	s_and_saveexec_b64 s[8:9], s[12:13]
; %bb.2958:
	s_mov_b32 s10, 0x7f800001
	s_xor_b64 s[4:5], exec, -1
; %bb.2959:
	s_or_b64 exec, exec, s[8:9]
	s_and_b64 s[4:5], s[4:5], exec
	s_or_saveexec_b64 s[6:7], s[6:7]
	v_mov_b32_e32 v12, s10
	s_xor_b64 exec, exec, s[6:7]
	s_cbranch_execz .LBB6_910
.LBB6_2960:
	v_mov_b32_e32 v12, 0
	v_cmp_ne_u16_sdwa s[8:9], v11, v12 src0_sel:BYTE_0 src1_sel:DWORD
	s_andn2_b64 s[4:5], s[4:5], exec
	s_and_b64 s[8:9], s[8:9], exec
	s_or_b64 s[4:5], s[4:5], s[8:9]
	s_or_b64 exec, exec, s[6:7]
	s_and_saveexec_b64 s[6:7], s[4:5]
	s_cbranch_execnz .LBB6_911
	s_branch .LBB6_912
.LBB6_2961:
	s_movk_i32 s4, 0x80
	v_cmp_eq_u16_e32 vcc, s4, v11
	s_mov_b64 s[4:5], -1
                                        ; implicit-def: $sgpr10
	s_and_saveexec_b64 s[8:9], vcc
; %bb.2962:
	s_mov_b32 s10, 0x7f800001
	s_xor_b64 s[4:5], exec, -1
; %bb.2963:
	s_or_b64 exec, exec, s[8:9]
	s_and_b64 s[4:5], s[4:5], exec
                                        ; implicit-def: $vgpr11
	s_or_saveexec_b64 s[6:7], s[6:7]
	v_mov_b32_e32 v10, s10
	s_xor_b64 exec, exec, s[6:7]
	s_cbranch_execz .LBB6_914
.LBB6_2964:
	v_cmp_ne_u16_e32 vcc, 0, v11
	s_andn2_b64 s[4:5], s[4:5], exec
	s_and_b64 s[8:9], vcc, exec
	v_mov_b32_e32 v10, 0
	s_or_b64 s[4:5], s[4:5], s[8:9]
	s_or_b64 exec, exec, s[6:7]
	s_and_saveexec_b64 s[6:7], s[4:5]
	s_cbranch_execnz .LBB6_915
	s_branch .LBB6_916
.LBB6_2965:
	s_movk_i32 s4, 0x80
	v_cmp_eq_u16_e32 vcc, s4, v11
	s_mov_b64 s[4:5], -1
                                        ; implicit-def: $sgpr10
	s_and_saveexec_b64 s[8:9], vcc
; %bb.2966:
	s_mov_b32 s10, 0x7f800001
	s_xor_b64 s[4:5], exec, -1
; %bb.2967:
	s_or_b64 exec, exec, s[8:9]
	s_and_b64 s[4:5], s[4:5], exec
                                        ; implicit-def: $vgpr11
	s_or_saveexec_b64 s[6:7], s[6:7]
	v_mov_b32_e32 v12, s10
	s_xor_b64 exec, exec, s[6:7]
	s_cbranch_execz .LBB6_918
.LBB6_2968:
	v_cmp_ne_u16_e32 vcc, 0, v11
	s_andn2_b64 s[4:5], s[4:5], exec
	s_and_b64 s[8:9], vcc, exec
	v_mov_b32_e32 v12, 0
	s_or_b64 s[4:5], s[4:5], s[8:9]
	s_or_b64 exec, exec, s[6:7]
	s_and_saveexec_b64 s[6:7], s[4:5]
	s_cbranch_execnz .LBB6_919
	s_branch .LBB6_920
.LBB6_2969:
	s_movk_i32 s4, 0x80
	v_cmp_eq_u16_sdwa s[12:13], v6, s4 src0_sel:BYTE_3 src1_sel:DWORD
	s_mov_b64 s[4:5], -1
                                        ; implicit-def: $sgpr10
	s_and_saveexec_b64 s[8:9], s[12:13]
; %bb.2970:
	s_mov_b32 s10, 0x7f800001
	s_xor_b64 s[4:5], exec, -1
; %bb.2971:
	s_or_b64 exec, exec, s[8:9]
	s_and_b64 s[4:5], s[4:5], exec
	s_or_saveexec_b64 s[6:7], s[6:7]
	v_mov_b32_e32 v10, s10
	s_xor_b64 exec, exec, s[6:7]
	s_cbranch_execz .LBB6_922
.LBB6_2972:
	v_mov_b32_e32 v10, 0
	v_cmp_ne_u16_sdwa s[8:9], v6, v10 src0_sel:BYTE_3 src1_sel:DWORD
	s_andn2_b64 s[4:5], s[4:5], exec
	s_and_b64 s[8:9], s[8:9], exec
	s_or_b64 s[4:5], s[4:5], s[8:9]
	s_or_b64 exec, exec, s[6:7]
	s_and_saveexec_b64 s[6:7], s[4:5]
	s_cbranch_execnz .LBB6_923
	s_branch .LBB6_924
.LBB6_2973:
	s_movk_i32 s4, 0x80
	v_cmp_eq_u16_sdwa s[12:13], v2, s4 src0_sel:BYTE_3 src1_sel:DWORD
	s_mov_b64 s[4:5], -1
                                        ; implicit-def: $sgpr10
	s_and_saveexec_b64 s[8:9], s[12:13]
; %bb.2974:
	s_mov_b32 s10, 0x7f800001
	s_xor_b64 s[4:5], exec, -1
; %bb.2975:
	s_or_b64 exec, exec, s[8:9]
	s_and_b64 s[4:5], s[4:5], exec
	s_or_saveexec_b64 s[6:7], s[6:7]
	v_mov_b32_e32 v6, s10
	s_xor_b64 exec, exec, s[6:7]
	s_cbranch_execz .LBB6_926
.LBB6_2976:
	v_mov_b32_e32 v6, 0
	v_cmp_ne_u16_sdwa s[8:9], v2, v6 src0_sel:BYTE_3 src1_sel:DWORD
	s_andn2_b64 s[4:5], s[4:5], exec
	s_and_b64 s[8:9], s[8:9], exec
	s_or_b64 s[4:5], s[4:5], s[8:9]
	s_or_b64 exec, exec, s[6:7]
	s_and_saveexec_b64 s[6:7], s[4:5]
	s_cbranch_execnz .LBB6_927
	s_branch .LBB6_928
.LBB6_2977:
	s_movk_i32 s4, 0x80
	v_cmp_eq_u16_sdwa s[12:13], v7, s4 src0_sel:BYTE_0 src1_sel:DWORD
	s_mov_b64 s[4:5], -1
                                        ; implicit-def: $sgpr10
	s_and_saveexec_b64 s[8:9], s[12:13]
; %bb.2978:
	s_mov_b32 s10, 0x7f800001
	s_xor_b64 s[4:5], exec, -1
; %bb.2979:
	s_or_b64 exec, exec, s[8:9]
	s_and_b64 s[4:5], s[4:5], exec
	s_or_saveexec_b64 s[6:7], s[6:7]
	v_mov_b32_e32 v2, s10
	s_xor_b64 exec, exec, s[6:7]
	s_cbranch_execz .LBB6_930
.LBB6_2980:
	v_mov_b32_e32 v2, 0
	v_cmp_ne_u16_sdwa s[8:9], v7, v2 src0_sel:BYTE_0 src1_sel:DWORD
	s_andn2_b64 s[4:5], s[4:5], exec
	s_and_b64 s[8:9], s[8:9], exec
	s_or_b64 s[4:5], s[4:5], s[8:9]
	s_or_b64 exec, exec, s[6:7]
	s_and_saveexec_b64 s[6:7], s[4:5]
	s_cbranch_execnz .LBB6_931
	s_branch .LBB6_932
.LBB6_2981:
	s_movk_i32 s4, 0x80
	v_cmp_eq_u16_sdwa s[12:13], v3, s4 src0_sel:BYTE_0 src1_sel:DWORD
	s_mov_b64 s[4:5], -1
                                        ; implicit-def: $sgpr10
	s_and_saveexec_b64 s[8:9], s[12:13]
; %bb.2982:
	s_mov_b32 s10, 0x7f800001
	s_xor_b64 s[4:5], exec, -1
; %bb.2983:
	s_or_b64 exec, exec, s[8:9]
	s_and_b64 s[4:5], s[4:5], exec
	s_or_saveexec_b64 s[6:7], s[6:7]
	v_mov_b32_e32 v6, s10
	s_xor_b64 exec, exec, s[6:7]
	s_cbranch_execz .LBB6_934
.LBB6_2984:
	v_mov_b32_e32 v6, 0
	v_cmp_ne_u16_sdwa s[8:9], v3, v6 src0_sel:BYTE_0 src1_sel:DWORD
	s_andn2_b64 s[4:5], s[4:5], exec
	s_and_b64 s[8:9], s[8:9], exec
	s_or_b64 s[4:5], s[4:5], s[8:9]
	s_or_b64 exec, exec, s[6:7]
	s_and_saveexec_b64 s[6:7], s[4:5]
	s_cbranch_execnz .LBB6_935
	s_branch .LBB6_936
.LBB6_2985:
	s_movk_i32 s4, 0x80
	v_cmp_eq_u16_sdwa s[12:13], v6, s4 src0_sel:BYTE_0 src1_sel:DWORD
	s_mov_b64 s[4:5], -1
                                        ; implicit-def: $sgpr10
	s_and_saveexec_b64 s[8:9], s[12:13]
; %bb.2986:
	s_mov_b32 s10, 0x7f800001
	s_xor_b64 s[4:5], exec, -1
; %bb.2987:
	s_or_b64 exec, exec, s[8:9]
	s_and_b64 s[4:5], s[4:5], exec
	s_or_saveexec_b64 s[6:7], s[6:7]
	v_mov_b32_e32 v2, s10
	s_xor_b64 exec, exec, s[6:7]
	s_cbranch_execz .LBB6_938
.LBB6_2988:
	v_mov_b32_e32 v2, 0
	v_cmp_ne_u16_sdwa s[8:9], v6, v2 src0_sel:BYTE_0 src1_sel:DWORD
	s_andn2_b64 s[4:5], s[4:5], exec
	s_and_b64 s[8:9], s[8:9], exec
	s_or_b64 s[4:5], s[4:5], s[8:9]
	s_or_b64 exec, exec, s[6:7]
	s_and_saveexec_b64 s[6:7], s[4:5]
	s_cbranch_execnz .LBB6_939
	s_branch .LBB6_940
.LBB6_2989:
	s_movk_i32 s4, 0x80
	v_cmp_eq_u16_sdwa s[12:13], v6, s4 src0_sel:BYTE_0 src1_sel:DWORD
	s_mov_b64 s[4:5], -1
                                        ; implicit-def: $sgpr10
	s_and_saveexec_b64 s[8:9], s[12:13]
; %bb.2990:
	s_mov_b32 s10, 0x7f800001
	s_xor_b64 s[4:5], exec, -1
; %bb.2991:
	s_or_b64 exec, exec, s[8:9]
	s_and_b64 s[4:5], s[4:5], exec
	s_or_saveexec_b64 s[6:7], s[6:7]
	v_mov_b32_e32 v10, s10
	s_xor_b64 exec, exec, s[6:7]
	s_cbranch_execz .LBB6_942
.LBB6_2992:
	v_mov_b32_e32 v10, 0
	v_cmp_ne_u16_sdwa s[8:9], v6, v10 src0_sel:BYTE_0 src1_sel:DWORD
	s_andn2_b64 s[4:5], s[4:5], exec
	s_and_b64 s[8:9], s[8:9], exec
	s_or_b64 s[4:5], s[4:5], s[8:9]
	s_or_b64 exec, exec, s[6:7]
	s_and_saveexec_b64 s[6:7], s[4:5]
	s_cbranch_execnz .LBB6_943
	s_branch .LBB6_944
.LBB6_2993:
	s_movk_i32 s4, 0x80
	v_cmp_eq_u16_e32 vcc, s4, v6
	s_mov_b64 s[4:5], -1
                                        ; implicit-def: $sgpr10
	s_and_saveexec_b64 s[8:9], vcc
; %bb.2994:
	s_mov_b32 s10, 0x7f800001
	s_xor_b64 s[4:5], exec, -1
; %bb.2995:
	s_or_b64 exec, exec, s[8:9]
	s_and_b64 s[4:5], s[4:5], exec
                                        ; implicit-def: $vgpr6
	s_or_saveexec_b64 s[6:7], s[6:7]
	v_mov_b32_e32 v2, s10
	s_xor_b64 exec, exec, s[6:7]
	s_cbranch_execz .LBB6_946
.LBB6_2996:
	v_cmp_ne_u16_e32 vcc, 0, v6
	s_andn2_b64 s[4:5], s[4:5], exec
	s_and_b64 s[8:9], vcc, exec
	v_mov_b32_e32 v2, 0
	s_or_b64 s[4:5], s[4:5], s[8:9]
	s_or_b64 exec, exec, s[6:7]
	s_and_saveexec_b64 s[6:7], s[4:5]
	s_cbranch_execnz .LBB6_947
	s_branch .LBB6_948
.LBB6_2997:
	s_movk_i32 s4, 0x80
	v_cmp_eq_u16_e32 vcc, s4, v6
	s_mov_b64 s[4:5], -1
                                        ; implicit-def: $sgpr10
	s_and_saveexec_b64 s[8:9], vcc
; %bb.2998:
	s_mov_b32 s10, 0x7f800001
	s_xor_b64 s[4:5], exec, -1
; %bb.2999:
	s_or_b64 exec, exec, s[8:9]
	s_and_b64 s[4:5], s[4:5], exec
                                        ; implicit-def: $vgpr6
	s_or_saveexec_b64 s[6:7], s[6:7]
	v_mov_b32_e32 v10, s10
	s_xor_b64 exec, exec, s[6:7]
	s_cbranch_execz .LBB6_950
.LBB6_3000:
	v_cmp_ne_u16_e32 vcc, 0, v6
	s_andn2_b64 s[4:5], s[4:5], exec
	s_and_b64 s[8:9], vcc, exec
	v_mov_b32_e32 v10, 0
	s_or_b64 s[4:5], s[4:5], s[8:9]
	s_or_b64 exec, exec, s[6:7]
	s_and_saveexec_b64 s[6:7], s[4:5]
	s_cbranch_execnz .LBB6_951
	s_branch .LBB6_952
.LBB6_3001:
	s_movk_i32 s4, 0x80
	v_cmp_eq_u16_sdwa s[12:13], v7, s4 src0_sel:BYTE_3 src1_sel:DWORD
	s_mov_b64 s[4:5], -1
                                        ; implicit-def: $sgpr10
	s_and_saveexec_b64 s[8:9], s[12:13]
; %bb.3002:
	s_mov_b32 s10, 0x7f800001
	s_xor_b64 s[4:5], exec, -1
; %bb.3003:
	s_or_b64 exec, exec, s[8:9]
	s_and_b64 s[4:5], s[4:5], exec
	s_or_saveexec_b64 s[6:7], s[6:7]
	v_mov_b32_e32 v2, s10
	s_xor_b64 exec, exec, s[6:7]
	s_cbranch_execz .LBB6_954
.LBB6_3004:
	v_mov_b32_e32 v2, 0
	v_cmp_ne_u16_sdwa s[8:9], v7, v2 src0_sel:BYTE_3 src1_sel:DWORD
	s_andn2_b64 s[4:5], s[4:5], exec
	s_and_b64 s[8:9], s[8:9], exec
	s_or_b64 s[4:5], s[4:5], s[8:9]
	s_or_b64 exec, exec, s[6:7]
	s_and_saveexec_b64 s[6:7], s[4:5]
	s_cbranch_execnz .LBB6_955
	s_branch .LBB6_956
.LBB6_3005:
	s_movk_i32 s4, 0x80
	v_cmp_eq_u16_sdwa s[12:13], v3, s4 src0_sel:BYTE_3 src1_sel:DWORD
	s_mov_b64 s[4:5], -1
                                        ; implicit-def: $sgpr10
	s_and_saveexec_b64 s[8:9], s[12:13]
; %bb.3006:
	s_mov_b32 s10, 0x7f800001
	s_xor_b64 s[4:5], exec, -1
; %bb.3007:
	s_or_b64 exec, exec, s[8:9]
	s_and_b64 s[4:5], s[4:5], exec
	s_or_saveexec_b64 s[6:7], s[6:7]
	v_mov_b32_e32 v6, s10
	s_xor_b64 exec, exec, s[6:7]
	s_cbranch_execz .LBB6_958
.LBB6_3008:
	v_mov_b32_e32 v6, 0
	v_cmp_ne_u16_sdwa s[8:9], v3, v6 src0_sel:BYTE_3 src1_sel:DWORD
	s_andn2_b64 s[4:5], s[4:5], exec
	s_and_b64 s[8:9], s[8:9], exec
	s_or_b64 s[4:5], s[4:5], s[8:9]
	s_or_b64 exec, exec, s[6:7]
	s_and_saveexec_b64 s[6:7], s[4:5]
	s_cbranch_execnz .LBB6_959
	s_branch .LBB6_960
.LBB6_3009:
	s_movk_i32 s4, 0x80
	v_cmp_eq_u16_sdwa s[12:13], v8, s4 src0_sel:BYTE_0 src1_sel:DWORD
	s_mov_b64 s[4:5], -1
                                        ; implicit-def: $sgpr10
	s_and_saveexec_b64 s[8:9], s[12:13]
; %bb.3010:
	s_mov_b32 s10, 0x7f800001
	s_xor_b64 s[4:5], exec, -1
; %bb.3011:
	s_or_b64 exec, exec, s[8:9]
	s_and_b64 s[4:5], s[4:5], exec
	s_or_saveexec_b64 s[6:7], s[6:7]
	v_mov_b32_e32 v2, s10
	s_xor_b64 exec, exec, s[6:7]
	s_cbranch_execz .LBB6_962
.LBB6_3012:
	v_mov_b32_e32 v2, 0
	v_cmp_ne_u16_sdwa s[8:9], v8, v2 src0_sel:BYTE_0 src1_sel:DWORD
	s_andn2_b64 s[4:5], s[4:5], exec
	s_and_b64 s[8:9], s[8:9], exec
	s_or_b64 s[4:5], s[4:5], s[8:9]
	s_or_b64 exec, exec, s[6:7]
	s_and_saveexec_b64 s[6:7], s[4:5]
	s_cbranch_execnz .LBB6_963
	s_branch .LBB6_964
.LBB6_3013:
	s_movk_i32 s4, 0x80
	v_cmp_eq_u16_sdwa s[12:13], v4, s4 src0_sel:BYTE_0 src1_sel:DWORD
	s_mov_b64 s[4:5], -1
                                        ; implicit-def: $sgpr10
	s_and_saveexec_b64 s[8:9], s[12:13]
; %bb.3014:
	s_mov_b32 s10, 0x7f800001
	s_xor_b64 s[4:5], exec, -1
; %bb.3015:
	s_or_b64 exec, exec, s[8:9]
	s_and_b64 s[4:5], s[4:5], exec
	s_or_saveexec_b64 s[6:7], s[6:7]
	v_mov_b32_e32 v3, s10
	s_xor_b64 exec, exec, s[6:7]
	s_cbranch_execz .LBB6_966
.LBB6_3016:
	v_mov_b32_e32 v3, 0
	v_cmp_ne_u16_sdwa s[8:9], v4, v3 src0_sel:BYTE_0 src1_sel:DWORD
	s_andn2_b64 s[4:5], s[4:5], exec
	s_and_b64 s[8:9], s[8:9], exec
	s_or_b64 s[4:5], s[4:5], s[8:9]
	s_or_b64 exec, exec, s[6:7]
	s_and_saveexec_b64 s[6:7], s[4:5]
	s_cbranch_execnz .LBB6_967
	s_branch .LBB6_968
.LBB6_3017:
	s_movk_i32 s4, 0x80
	v_cmp_eq_u16_sdwa s[12:13], v3, s4 src0_sel:BYTE_0 src1_sel:DWORD
	s_mov_b64 s[4:5], -1
                                        ; implicit-def: $sgpr10
	s_and_saveexec_b64 s[8:9], s[12:13]
; %bb.3018:
	s_mov_b32 s10, 0x7f800001
	s_xor_b64 s[4:5], exec, -1
; %bb.3019:
	s_or_b64 exec, exec, s[8:9]
	s_and_b64 s[4:5], s[4:5], exec
	s_or_saveexec_b64 s[6:7], s[6:7]
	v_mov_b32_e32 v2, s10
	s_xor_b64 exec, exec, s[6:7]
	s_cbranch_execz .LBB6_970
.LBB6_3020:
	v_mov_b32_e32 v2, 0
	v_cmp_ne_u16_sdwa s[8:9], v3, v2 src0_sel:BYTE_0 src1_sel:DWORD
	s_andn2_b64 s[4:5], s[4:5], exec
	s_and_b64 s[8:9], s[8:9], exec
	s_or_b64 s[4:5], s[4:5], s[8:9]
	s_or_b64 exec, exec, s[6:7]
	s_and_saveexec_b64 s[6:7], s[4:5]
	s_cbranch_execnz .LBB6_971
	s_branch .LBB6_972
.LBB6_3021:
	s_movk_i32 s4, 0x80
	v_cmp_eq_u16_sdwa s[12:13], v3, s4 src0_sel:BYTE_0 src1_sel:DWORD
	s_mov_b64 s[4:5], -1
                                        ; implicit-def: $sgpr10
	s_and_saveexec_b64 s[8:9], s[12:13]
; %bb.3022:
	s_mov_b32 s10, 0x7f800001
	s_xor_b64 s[4:5], exec, -1
; %bb.3023:
	s_or_b64 exec, exec, s[8:9]
	s_and_b64 s[4:5], s[4:5], exec
	s_or_saveexec_b64 s[6:7], s[6:7]
	v_mov_b32_e32 v6, s10
	s_xor_b64 exec, exec, s[6:7]
	s_cbranch_execz .LBB6_974
.LBB6_3024:
	v_mov_b32_e32 v6, 0
	v_cmp_ne_u16_sdwa s[8:9], v3, v6 src0_sel:BYTE_0 src1_sel:DWORD
	s_andn2_b64 s[4:5], s[4:5], exec
	s_and_b64 s[8:9], s[8:9], exec
	s_or_b64 s[4:5], s[4:5], s[8:9]
	s_or_b64 exec, exec, s[6:7]
	s_and_saveexec_b64 s[6:7], s[4:5]
	s_cbranch_execnz .LBB6_975
	s_branch .LBB6_976
.LBB6_3025:
	s_movk_i32 s4, 0x80
	v_cmp_eq_u16_e32 vcc, s4, v3
	s_mov_b64 s[4:5], -1
                                        ; implicit-def: $sgpr10
	s_and_saveexec_b64 s[8:9], vcc
; %bb.3026:
	s_mov_b32 s10, 0x7f800001
	s_xor_b64 s[4:5], exec, -1
; %bb.3027:
	s_or_b64 exec, exec, s[8:9]
	s_and_b64 s[4:5], s[4:5], exec
                                        ; implicit-def: $vgpr3
	s_or_saveexec_b64 s[6:7], s[6:7]
	v_mov_b32_e32 v2, s10
	s_xor_b64 exec, exec, s[6:7]
	s_cbranch_execz .LBB6_978
.LBB6_3028:
	v_cmp_ne_u16_e32 vcc, 0, v3
	s_andn2_b64 s[4:5], s[4:5], exec
	s_and_b64 s[8:9], vcc, exec
	v_mov_b32_e32 v2, 0
	s_or_b64 s[4:5], s[4:5], s[8:9]
	s_or_b64 exec, exec, s[6:7]
	s_and_saveexec_b64 s[6:7], s[4:5]
	s_cbranch_execnz .LBB6_979
	s_branch .LBB6_980
.LBB6_3029:
	s_movk_i32 s4, 0x80
	v_cmp_eq_u16_e32 vcc, s4, v3
	s_mov_b64 s[4:5], -1
                                        ; implicit-def: $sgpr10
	s_and_saveexec_b64 s[8:9], vcc
; %bb.3030:
	s_mov_b32 s10, 0x7f800001
	s_xor_b64 s[4:5], exec, -1
; %bb.3031:
	s_or_b64 exec, exec, s[8:9]
	s_and_b64 s[4:5], s[4:5], exec
                                        ; implicit-def: $vgpr3
	s_or_saveexec_b64 s[6:7], s[6:7]
	v_mov_b32_e32 v6, s10
	s_xor_b64 exec, exec, s[6:7]
	s_cbranch_execz .LBB6_982
.LBB6_3032:
	v_cmp_ne_u16_e32 vcc, 0, v3
	s_andn2_b64 s[4:5], s[4:5], exec
	s_and_b64 s[8:9], vcc, exec
	v_mov_b32_e32 v6, 0
	s_or_b64 s[4:5], s[4:5], s[8:9]
	s_or_b64 exec, exec, s[6:7]
	s_and_saveexec_b64 s[6:7], s[4:5]
	s_cbranch_execnz .LBB6_983
	s_branch .LBB6_984
.LBB6_3033:
	s_movk_i32 s4, 0x80
	v_cmp_eq_u16_sdwa s[12:13], v8, s4 src0_sel:BYTE_3 src1_sel:DWORD
	s_mov_b64 s[4:5], -1
                                        ; implicit-def: $sgpr10
	s_and_saveexec_b64 s[8:9], s[12:13]
; %bb.3034:
	s_mov_b32 s10, 0x7f800001
	s_xor_b64 s[4:5], exec, -1
; %bb.3035:
	s_or_b64 exec, exec, s[8:9]
	s_and_b64 s[4:5], s[4:5], exec
	s_or_saveexec_b64 s[6:7], s[6:7]
	v_mov_b32_e32 v2, s10
	s_xor_b64 exec, exec, s[6:7]
	s_cbranch_execz .LBB6_986
.LBB6_3036:
	v_mov_b32_e32 v2, 0
	v_cmp_ne_u16_sdwa s[8:9], v8, v2 src0_sel:BYTE_3 src1_sel:DWORD
	s_andn2_b64 s[4:5], s[4:5], exec
	s_and_b64 s[8:9], s[8:9], exec
	s_or_b64 s[4:5], s[4:5], s[8:9]
	s_or_b64 exec, exec, s[6:7]
	s_and_saveexec_b64 s[6:7], s[4:5]
	s_cbranch_execnz .LBB6_987
	s_branch .LBB6_988
.LBB6_3037:
	s_movk_i32 s4, 0x80
	v_cmp_eq_u16_sdwa s[12:13], v4, s4 src0_sel:BYTE_3 src1_sel:DWORD
	s_mov_b64 s[4:5], -1
                                        ; implicit-def: $sgpr10
	s_and_saveexec_b64 s[8:9], s[12:13]
; %bb.3038:
	s_mov_b32 s10, 0x7f800001
	s_xor_b64 s[4:5], exec, -1
; %bb.3039:
	s_or_b64 exec, exec, s[8:9]
	s_and_b64 s[4:5], s[4:5], exec
	s_or_saveexec_b64 s[6:7], s[6:7]
	v_mov_b32_e32 v3, s10
	s_xor_b64 exec, exec, s[6:7]
	s_cbranch_execz .LBB6_990
.LBB6_3040:
	v_mov_b32_e32 v3, 0
	v_cmp_ne_u16_sdwa s[8:9], v4, v3 src0_sel:BYTE_3 src1_sel:DWORD
	s_andn2_b64 s[4:5], s[4:5], exec
	s_and_b64 s[8:9], s[8:9], exec
	s_or_b64 s[4:5], s[4:5], s[8:9]
	s_or_b64 exec, exec, s[6:7]
	s_and_saveexec_b64 s[6:7], s[4:5]
	s_cbranch_execnz .LBB6_991
	s_branch .LBB6_992
.LBB6_3041:
	s_movk_i32 s4, 0x80
	v_cmp_eq_u16_sdwa s[12:13], v9, s4 src0_sel:BYTE_0 src1_sel:DWORD
	s_mov_b64 s[4:5], -1
                                        ; implicit-def: $sgpr10
	s_and_saveexec_b64 s[8:9], s[12:13]
; %bb.3042:
	s_mov_b32 s10, 0x7f800001
	s_xor_b64 s[4:5], exec, -1
; %bb.3043:
	s_or_b64 exec, exec, s[8:9]
	s_and_b64 s[4:5], s[4:5], exec
	s_or_saveexec_b64 s[6:7], s[6:7]
	v_mov_b32_e32 v2, s10
	s_xor_b64 exec, exec, s[6:7]
	s_cbranch_execz .LBB6_994
.LBB6_3044:
	v_mov_b32_e32 v2, 0
	v_cmp_ne_u16_sdwa s[8:9], v9, v2 src0_sel:BYTE_0 src1_sel:DWORD
	s_andn2_b64 s[4:5], s[4:5], exec
	s_and_b64 s[8:9], s[8:9], exec
	s_or_b64 s[4:5], s[4:5], s[8:9]
	s_or_b64 exec, exec, s[6:7]
	s_and_saveexec_b64 s[6:7], s[4:5]
	s_cbranch_execnz .LBB6_995
	s_branch .LBB6_996
.LBB6_3045:
	s_movk_i32 s4, 0x80
	v_cmp_eq_u16_sdwa s[12:13], v5, s4 src0_sel:BYTE_0 src1_sel:DWORD
	s_mov_b64 s[4:5], -1
                                        ; implicit-def: $sgpr10
	s_and_saveexec_b64 s[8:9], s[12:13]
; %bb.3046:
	s_mov_b32 s10, 0x7f800001
	s_xor_b64 s[4:5], exec, -1
; %bb.3047:
	s_or_b64 exec, exec, s[8:9]
	s_and_b64 s[4:5], s[4:5], exec
	s_or_saveexec_b64 s[6:7], s[6:7]
	v_mov_b32_e32 v3, s10
	s_xor_b64 exec, exec, s[6:7]
	s_cbranch_execz .LBB6_998
.LBB6_3048:
	v_mov_b32_e32 v3, 0
	v_cmp_ne_u16_sdwa s[8:9], v5, v3 src0_sel:BYTE_0 src1_sel:DWORD
	s_andn2_b64 s[4:5], s[4:5], exec
	s_and_b64 s[8:9], s[8:9], exec
	s_or_b64 s[4:5], s[4:5], s[8:9]
	s_or_b64 exec, exec, s[6:7]
	s_and_saveexec_b64 s[6:7], s[4:5]
	s_cbranch_execnz .LBB6_999
	s_branch .LBB6_1000
.LBB6_3049:
	s_movk_i32 s4, 0x80
	v_cmp_eq_u16_sdwa s[12:13], v3, s4 src0_sel:BYTE_0 src1_sel:DWORD
	s_mov_b64 s[4:5], -1
                                        ; implicit-def: $sgpr10
	s_and_saveexec_b64 s[8:9], s[12:13]
; %bb.3050:
	s_mov_b32 s10, 0x7f800001
	s_xor_b64 s[4:5], exec, -1
; %bb.3051:
	s_or_b64 exec, exec, s[8:9]
	s_and_b64 s[4:5], s[4:5], exec
	s_or_saveexec_b64 s[6:7], s[6:7]
	v_mov_b32_e32 v2, s10
	s_xor_b64 exec, exec, s[6:7]
	s_cbranch_execz .LBB6_1002
.LBB6_3052:
	v_mov_b32_e32 v2, 0
	v_cmp_ne_u16_sdwa s[8:9], v3, v2 src0_sel:BYTE_0 src1_sel:DWORD
	s_andn2_b64 s[4:5], s[4:5], exec
	s_and_b64 s[8:9], s[8:9], exec
	s_or_b64 s[4:5], s[4:5], s[8:9]
	s_or_b64 exec, exec, s[6:7]
	s_and_saveexec_b64 s[6:7], s[4:5]
	s_cbranch_execnz .LBB6_1003
	s_branch .LBB6_1004
.LBB6_3053:
	s_movk_i32 s4, 0x80
	v_cmp_eq_u16_sdwa s[12:13], v3, s4 src0_sel:BYTE_0 src1_sel:DWORD
	s_mov_b64 s[4:5], -1
                                        ; implicit-def: $sgpr10
	s_and_saveexec_b64 s[8:9], s[12:13]
; %bb.3054:
	s_mov_b32 s10, 0x7f800001
	s_xor_b64 s[4:5], exec, -1
; %bb.3055:
	s_or_b64 exec, exec, s[8:9]
	s_and_b64 s[4:5], s[4:5], exec
	s_or_saveexec_b64 s[6:7], s[6:7]
	v_mov_b32_e32 v4, s10
	s_xor_b64 exec, exec, s[6:7]
	s_cbranch_execz .LBB6_1006
.LBB6_3056:
	v_mov_b32_e32 v4, 0
	v_cmp_ne_u16_sdwa s[8:9], v3, v4 src0_sel:BYTE_0 src1_sel:DWORD
	s_andn2_b64 s[4:5], s[4:5], exec
	s_and_b64 s[8:9], s[8:9], exec
	s_or_b64 s[4:5], s[4:5], s[8:9]
	s_or_b64 exec, exec, s[6:7]
	s_and_saveexec_b64 s[6:7], s[4:5]
	s_cbranch_execnz .LBB6_1007
	s_branch .LBB6_1008
.LBB6_3057:
	s_movk_i32 s4, 0x80
	v_cmp_eq_u16_e32 vcc, s4, v3
	s_mov_b64 s[4:5], -1
                                        ; implicit-def: $sgpr10
	s_and_saveexec_b64 s[8:9], vcc
; %bb.3058:
	s_mov_b32 s10, 0x7f800001
	s_xor_b64 s[4:5], exec, -1
; %bb.3059:
	s_or_b64 exec, exec, s[8:9]
	s_and_b64 s[4:5], s[4:5], exec
                                        ; implicit-def: $vgpr3
	s_or_saveexec_b64 s[6:7], s[6:7]
	v_mov_b32_e32 v2, s10
	s_xor_b64 exec, exec, s[6:7]
	s_cbranch_execz .LBB6_1010
.LBB6_3060:
	v_cmp_ne_u16_e32 vcc, 0, v3
	s_andn2_b64 s[4:5], s[4:5], exec
	s_and_b64 s[8:9], vcc, exec
	v_mov_b32_e32 v2, 0
	s_or_b64 s[4:5], s[4:5], s[8:9]
	s_or_b64 exec, exec, s[6:7]
	s_and_saveexec_b64 s[6:7], s[4:5]
	s_cbranch_execnz .LBB6_1011
	s_branch .LBB6_1012
.LBB6_3061:
	s_movk_i32 s4, 0x80
	v_cmp_eq_u16_e32 vcc, s4, v3
	s_mov_b64 s[4:5], -1
                                        ; implicit-def: $sgpr10
	s_and_saveexec_b64 s[8:9], vcc
; %bb.3062:
	s_mov_b32 s10, 0x7f800001
	s_xor_b64 s[4:5], exec, -1
; %bb.3063:
	s_or_b64 exec, exec, s[8:9]
	s_and_b64 s[4:5], s[4:5], exec
                                        ; implicit-def: $vgpr3
	s_or_saveexec_b64 s[6:7], s[6:7]
	v_mov_b32_e32 v4, s10
	s_xor_b64 exec, exec, s[6:7]
	s_cbranch_execz .LBB6_1014
.LBB6_3064:
	v_cmp_ne_u16_e32 vcc, 0, v3
	s_andn2_b64 s[4:5], s[4:5], exec
	s_and_b64 s[8:9], vcc, exec
	v_mov_b32_e32 v4, 0
	s_or_b64 s[4:5], s[4:5], s[8:9]
	s_or_b64 exec, exec, s[6:7]
	s_and_saveexec_b64 s[6:7], s[4:5]
	s_cbranch_execnz .LBB6_1015
	s_branch .LBB6_1016
.LBB6_3065:
	s_movk_i32 s4, 0x80
	v_cmp_eq_u16_sdwa s[12:13], v9, s4 src0_sel:BYTE_3 src1_sel:DWORD
	s_mov_b64 s[4:5], -1
                                        ; implicit-def: $sgpr10
	s_and_saveexec_b64 s[8:9], s[12:13]
; %bb.3066:
	s_mov_b32 s10, 0x7f800001
	s_xor_b64 s[4:5], exec, -1
; %bb.3067:
	s_or_b64 exec, exec, s[8:9]
	s_and_b64 s[4:5], s[4:5], exec
	s_or_saveexec_b64 s[6:7], s[6:7]
	v_mov_b32_e32 v2, s10
	s_xor_b64 exec, exec, s[6:7]
	s_cbranch_execz .LBB6_1018
.LBB6_3068:
	v_mov_b32_e32 v2, 0
	v_cmp_ne_u16_sdwa s[8:9], v9, v2 src0_sel:BYTE_3 src1_sel:DWORD
	s_andn2_b64 s[4:5], s[4:5], exec
	s_and_b64 s[8:9], s[8:9], exec
	s_or_b64 s[4:5], s[4:5], s[8:9]
	s_or_b64 exec, exec, s[6:7]
	s_and_saveexec_b64 s[6:7], s[4:5]
	s_cbranch_execnz .LBB6_1019
	s_branch .LBB6_1020
.LBB6_3069:
	s_movk_i32 s4, 0x80
	v_cmp_eq_u16_sdwa s[12:13], v5, s4 src0_sel:BYTE_3 src1_sel:DWORD
	s_mov_b64 s[4:5], -1
                                        ; implicit-def: $sgpr10
	s_and_saveexec_b64 s[8:9], s[12:13]
; %bb.3070:
	s_mov_b32 s10, 0x7f800001
	s_xor_b64 s[4:5], exec, -1
; %bb.3071:
	s_or_b64 exec, exec, s[8:9]
	s_and_b64 s[4:5], s[4:5], exec
	s_or_saveexec_b64 s[6:7], s[6:7]
	v_mov_b32_e32 v3, s10
	s_xor_b64 exec, exec, s[6:7]
	s_cbranch_execz .LBB6_1022
.LBB6_3072:
	v_mov_b32_e32 v3, 0
	v_cmp_ne_u16_sdwa s[8:9], v5, v3 src0_sel:BYTE_3 src1_sel:DWORD
	s_andn2_b64 s[4:5], s[4:5], exec
	s_and_b64 s[8:9], s[8:9], exec
	s_or_b64 s[4:5], s[4:5], s[8:9]
	s_or_b64 exec, exec, s[6:7]
	s_and_saveexec_b64 s[6:7], s[4:5]
	s_cbranch_execnz .LBB6_1023
	s_branch .LBB6_1024
.LBB6_3073:
	s_movk_i32 s4, 0x80
	v_cmp_eq_u16_sdwa s[12:13], v14, s4 src0_sel:BYTE_0 src1_sel:DWORD
	s_mov_b64 s[4:5], -1
                                        ; implicit-def: $sgpr10
	s_and_saveexec_b64 s[8:9], s[12:13]
; %bb.3074:
	s_mov_b32 s10, 0x7f800001
	s_xor_b64 s[4:5], exec, -1
; %bb.3075:
	s_or_b64 exec, exec, s[8:9]
	s_and_b64 s[4:5], s[4:5], exec
	s_or_saveexec_b64 s[6:7], s[6:7]
	v_mov_b32_e32 v20, s10
	s_xor_b64 exec, exec, s[6:7]
	s_cbranch_execz .LBB6_1026
.LBB6_3076:
	v_mov_b32_e32 v20, 0
	v_cmp_ne_u16_sdwa s[8:9], v14, v20 src0_sel:BYTE_0 src1_sel:DWORD
	s_andn2_b64 s[4:5], s[4:5], exec
	s_and_b64 s[8:9], s[8:9], exec
	s_or_b64 s[4:5], s[4:5], s[8:9]
	s_or_b64 exec, exec, s[6:7]
	s_and_saveexec_b64 s[6:7], s[4:5]
	s_cbranch_execnz .LBB6_1027
	s_branch .LBB6_1028
.LBB6_3077:
	s_movk_i32 s4, 0x80
	v_cmp_eq_u16_sdwa s[12:13], v10, s4 src0_sel:BYTE_0 src1_sel:DWORD
	s_mov_b64 s[4:5], -1
                                        ; implicit-def: $sgpr10
	s_and_saveexec_b64 s[8:9], s[12:13]
; %bb.3078:
	s_mov_b32 s10, 0x7f800001
	s_xor_b64 s[4:5], exec, -1
; %bb.3079:
	s_or_b64 exec, exec, s[8:9]
	s_and_b64 s[4:5], s[4:5], exec
	s_or_saveexec_b64 s[6:7], s[6:7]
	v_mov_b32_e32 v21, s10
	s_xor_b64 exec, exec, s[6:7]
	s_cbranch_execz .LBB6_1030
.LBB6_3080:
	v_mov_b32_e32 v21, 0
	v_cmp_ne_u16_sdwa s[8:9], v10, v21 src0_sel:BYTE_0 src1_sel:DWORD
	s_andn2_b64 s[4:5], s[4:5], exec
	s_and_b64 s[8:9], s[8:9], exec
	s_or_b64 s[4:5], s[4:5], s[8:9]
	s_or_b64 exec, exec, s[6:7]
	s_and_saveexec_b64 s[6:7], s[4:5]
	s_cbranch_execnz .LBB6_1031
	s_branch .LBB6_1032
.LBB6_3081:
	s_movk_i32 s4, 0x80
	v_cmp_eq_u16_sdwa s[12:13], v21, s4 src0_sel:BYTE_0 src1_sel:DWORD
	s_mov_b64 s[4:5], -1
                                        ; implicit-def: $sgpr10
	s_and_saveexec_b64 s[8:9], s[12:13]
; %bb.3082:
	s_mov_b32 s10, 0x7f800001
	s_xor_b64 s[4:5], exec, -1
; %bb.3083:
	s_or_b64 exec, exec, s[8:9]
	s_and_b64 s[4:5], s[4:5], exec
	s_or_saveexec_b64 s[6:7], s[6:7]
	v_mov_b32_e32 v20, s10
	s_xor_b64 exec, exec, s[6:7]
	s_cbranch_execz .LBB6_1034
.LBB6_3084:
	v_mov_b32_e32 v20, 0
	v_cmp_ne_u16_sdwa s[8:9], v21, v20 src0_sel:BYTE_0 src1_sel:DWORD
	s_andn2_b64 s[4:5], s[4:5], exec
	s_and_b64 s[8:9], s[8:9], exec
	s_or_b64 s[4:5], s[4:5], s[8:9]
	s_or_b64 exec, exec, s[6:7]
	s_and_saveexec_b64 s[6:7], s[4:5]
	s_cbranch_execnz .LBB6_1035
	s_branch .LBB6_1036
.LBB6_3085:
	s_movk_i32 s4, 0x80
	v_cmp_eq_u16_sdwa s[12:13], v21, s4 src0_sel:BYTE_0 src1_sel:DWORD
	s_mov_b64 s[4:5], -1
                                        ; implicit-def: $sgpr10
	s_and_saveexec_b64 s[8:9], s[12:13]
; %bb.3086:
	s_mov_b32 s10, 0x7f800001
	s_xor_b64 s[4:5], exec, -1
; %bb.3087:
	s_or_b64 exec, exec, s[8:9]
	s_and_b64 s[4:5], s[4:5], exec
	s_or_saveexec_b64 s[6:7], s[6:7]
	v_mov_b32_e32 v22, s10
	s_xor_b64 exec, exec, s[6:7]
	s_cbranch_execz .LBB6_1038
.LBB6_3088:
	v_mov_b32_e32 v22, 0
	v_cmp_ne_u16_sdwa s[8:9], v21, v22 src0_sel:BYTE_0 src1_sel:DWORD
	s_andn2_b64 s[4:5], s[4:5], exec
	s_and_b64 s[8:9], s[8:9], exec
	s_or_b64 s[4:5], s[4:5], s[8:9]
	s_or_b64 exec, exec, s[6:7]
	s_and_saveexec_b64 s[6:7], s[4:5]
	s_cbranch_execnz .LBB6_1039
	s_branch .LBB6_1040
.LBB6_3089:
	s_movk_i32 s4, 0x80
	v_cmp_eq_u16_e32 vcc, s4, v21
	s_mov_b64 s[4:5], -1
                                        ; implicit-def: $sgpr10
	s_and_saveexec_b64 s[8:9], vcc
; %bb.3090:
	s_mov_b32 s10, 0x7f800001
	s_xor_b64 s[4:5], exec, -1
; %bb.3091:
	s_or_b64 exec, exec, s[8:9]
	s_and_b64 s[4:5], s[4:5], exec
                                        ; implicit-def: $vgpr21
	s_or_saveexec_b64 s[6:7], s[6:7]
	v_mov_b32_e32 v20, s10
	s_xor_b64 exec, exec, s[6:7]
	s_cbranch_execz .LBB6_1042
.LBB6_3092:
	v_cmp_ne_u16_e32 vcc, 0, v21
	s_andn2_b64 s[4:5], s[4:5], exec
	s_and_b64 s[8:9], vcc, exec
	v_mov_b32_e32 v20, 0
	s_or_b64 s[4:5], s[4:5], s[8:9]
	s_or_b64 exec, exec, s[6:7]
	s_and_saveexec_b64 s[6:7], s[4:5]
	s_cbranch_execnz .LBB6_1043
	s_branch .LBB6_1044
.LBB6_3093:
	s_movk_i32 s4, 0x80
	v_cmp_eq_u16_e32 vcc, s4, v21
	s_mov_b64 s[4:5], -1
                                        ; implicit-def: $sgpr10
	s_and_saveexec_b64 s[8:9], vcc
; %bb.3094:
	s_mov_b32 s10, 0x7f800001
	s_xor_b64 s[4:5], exec, -1
; %bb.3095:
	s_or_b64 exec, exec, s[8:9]
	s_and_b64 s[4:5], s[4:5], exec
                                        ; implicit-def: $vgpr21
	s_or_saveexec_b64 s[6:7], s[6:7]
	v_mov_b32_e32 v22, s10
	s_xor_b64 exec, exec, s[6:7]
	s_cbranch_execz .LBB6_1046
.LBB6_3096:
	v_cmp_ne_u16_e32 vcc, 0, v21
	s_andn2_b64 s[4:5], s[4:5], exec
	s_and_b64 s[8:9], vcc, exec
	v_mov_b32_e32 v22, 0
	s_or_b64 s[4:5], s[4:5], s[8:9]
	s_or_b64 exec, exec, s[6:7]
	s_and_saveexec_b64 s[6:7], s[4:5]
	s_cbranch_execnz .LBB6_1047
	s_branch .LBB6_1048
.LBB6_3097:
	s_movk_i32 s4, 0x80
	v_cmp_eq_u16_sdwa s[12:13], v14, s4 src0_sel:BYTE_3 src1_sel:DWORD
	s_mov_b64 s[4:5], -1
                                        ; implicit-def: $sgpr10
	s_and_saveexec_b64 s[8:9], s[12:13]
; %bb.3098:
	s_mov_b32 s10, 0x7f800001
	s_xor_b64 s[4:5], exec, -1
; %bb.3099:
	s_or_b64 exec, exec, s[8:9]
	s_and_b64 s[4:5], s[4:5], exec
	s_or_saveexec_b64 s[6:7], s[6:7]
	v_mov_b32_e32 v20, s10
	s_xor_b64 exec, exec, s[6:7]
	s_cbranch_execz .LBB6_1050
.LBB6_3100:
	v_mov_b32_e32 v20, 0
	v_cmp_ne_u16_sdwa s[8:9], v14, v20 src0_sel:BYTE_3 src1_sel:DWORD
	s_andn2_b64 s[4:5], s[4:5], exec
	s_and_b64 s[8:9], s[8:9], exec
	s_or_b64 s[4:5], s[4:5], s[8:9]
	s_or_b64 exec, exec, s[6:7]
	s_and_saveexec_b64 s[6:7], s[4:5]
	s_cbranch_execnz .LBB6_1051
	s_branch .LBB6_1052
.LBB6_3101:
	s_movk_i32 s4, 0x80
	v_cmp_eq_u16_sdwa s[12:13], v10, s4 src0_sel:BYTE_3 src1_sel:DWORD
	s_mov_b64 s[4:5], -1
                                        ; implicit-def: $sgpr10
	s_and_saveexec_b64 s[8:9], s[12:13]
; %bb.3102:
	s_mov_b32 s10, 0x7f800001
	s_xor_b64 s[4:5], exec, -1
; %bb.3103:
	s_or_b64 exec, exec, s[8:9]
	s_and_b64 s[4:5], s[4:5], exec
	s_or_saveexec_b64 s[6:7], s[6:7]
	v_mov_b32_e32 v14, s10
	s_xor_b64 exec, exec, s[6:7]
	s_cbranch_execz .LBB6_1054
.LBB6_3104:
	v_mov_b32_e32 v14, 0
	v_cmp_ne_u16_sdwa s[8:9], v10, v14 src0_sel:BYTE_3 src1_sel:DWORD
	s_andn2_b64 s[4:5], s[4:5], exec
	s_and_b64 s[8:9], s[8:9], exec
	s_or_b64 s[4:5], s[4:5], s[8:9]
	s_or_b64 exec, exec, s[6:7]
	s_and_saveexec_b64 s[6:7], s[4:5]
	s_cbranch_execnz .LBB6_1055
	s_branch .LBB6_1056
.LBB6_3105:
	s_movk_i32 s4, 0x80
	v_cmp_eq_u16_sdwa s[12:13], v15, s4 src0_sel:BYTE_0 src1_sel:DWORD
	s_mov_b64 s[4:5], -1
                                        ; implicit-def: $sgpr10
	s_and_saveexec_b64 s[8:9], s[12:13]
; %bb.3106:
	s_mov_b32 s10, 0x7f800001
	s_xor_b64 s[4:5], exec, -1
; %bb.3107:
	s_or_b64 exec, exec, s[8:9]
	s_and_b64 s[4:5], s[4:5], exec
	s_or_saveexec_b64 s[6:7], s[6:7]
	v_mov_b32_e32 v10, s10
	s_xor_b64 exec, exec, s[6:7]
	s_cbranch_execz .LBB6_1058
.LBB6_3108:
	v_mov_b32_e32 v10, 0
	v_cmp_ne_u16_sdwa s[8:9], v15, v10 src0_sel:BYTE_0 src1_sel:DWORD
	s_andn2_b64 s[4:5], s[4:5], exec
	s_and_b64 s[8:9], s[8:9], exec
	s_or_b64 s[4:5], s[4:5], s[8:9]
	s_or_b64 exec, exec, s[6:7]
	s_and_saveexec_b64 s[6:7], s[4:5]
	s_cbranch_execnz .LBB6_1059
	s_branch .LBB6_1060
.LBB6_3109:
	s_movk_i32 s4, 0x80
	v_cmp_eq_u16_sdwa s[12:13], v11, s4 src0_sel:BYTE_0 src1_sel:DWORD
	s_mov_b64 s[4:5], -1
                                        ; implicit-def: $sgpr10
	s_and_saveexec_b64 s[8:9], s[12:13]
; %bb.3110:
	s_mov_b32 s10, 0x7f800001
	s_xor_b64 s[4:5], exec, -1
; %bb.3111:
	s_or_b64 exec, exec, s[8:9]
	s_and_b64 s[4:5], s[4:5], exec
	s_or_saveexec_b64 s[6:7], s[6:7]
	v_mov_b32_e32 v14, s10
	s_xor_b64 exec, exec, s[6:7]
	s_cbranch_execz .LBB6_1062
.LBB6_3112:
	v_mov_b32_e32 v14, 0
	v_cmp_ne_u16_sdwa s[8:9], v11, v14 src0_sel:BYTE_0 src1_sel:DWORD
	s_andn2_b64 s[4:5], s[4:5], exec
	s_and_b64 s[8:9], s[8:9], exec
	s_or_b64 s[4:5], s[4:5], s[8:9]
	s_or_b64 exec, exec, s[6:7]
	s_and_saveexec_b64 s[6:7], s[4:5]
	s_cbranch_execnz .LBB6_1063
	s_branch .LBB6_1064
.LBB6_3113:
	s_movk_i32 s4, 0x80
	v_cmp_eq_u16_sdwa s[12:13], v14, s4 src0_sel:BYTE_0 src1_sel:DWORD
	s_mov_b64 s[4:5], -1
                                        ; implicit-def: $sgpr10
	s_and_saveexec_b64 s[8:9], s[12:13]
; %bb.3114:
	s_mov_b32 s10, 0x7f800001
	s_xor_b64 s[4:5], exec, -1
; %bb.3115:
	s_or_b64 exec, exec, s[8:9]
	s_and_b64 s[4:5], s[4:5], exec
	s_or_saveexec_b64 s[6:7], s[6:7]
	v_mov_b32_e32 v10, s10
	s_xor_b64 exec, exec, s[6:7]
	s_cbranch_execz .LBB6_1066
.LBB6_3116:
	v_mov_b32_e32 v10, 0
	v_cmp_ne_u16_sdwa s[8:9], v14, v10 src0_sel:BYTE_0 src1_sel:DWORD
	s_andn2_b64 s[4:5], s[4:5], exec
	s_and_b64 s[8:9], s[8:9], exec
	s_or_b64 s[4:5], s[4:5], s[8:9]
	s_or_b64 exec, exec, s[6:7]
	s_and_saveexec_b64 s[6:7], s[4:5]
	s_cbranch_execnz .LBB6_1067
	s_branch .LBB6_1068
.LBB6_3117:
	s_movk_i32 s4, 0x80
	v_cmp_eq_u16_sdwa s[12:13], v14, s4 src0_sel:BYTE_0 src1_sel:DWORD
	s_mov_b64 s[4:5], -1
                                        ; implicit-def: $sgpr10
	s_and_saveexec_b64 s[8:9], s[12:13]
; %bb.3118:
	s_mov_b32 s10, 0x7f800001
	s_xor_b64 s[4:5], exec, -1
; %bb.3119:
	s_or_b64 exec, exec, s[8:9]
	s_and_b64 s[4:5], s[4:5], exec
	s_or_saveexec_b64 s[6:7], s[6:7]
	v_mov_b32_e32 v20, s10
	s_xor_b64 exec, exec, s[6:7]
	s_cbranch_execz .LBB6_1070
.LBB6_3120:
	v_mov_b32_e32 v20, 0
	v_cmp_ne_u16_sdwa s[8:9], v14, v20 src0_sel:BYTE_0 src1_sel:DWORD
	s_andn2_b64 s[4:5], s[4:5], exec
	s_and_b64 s[8:9], s[8:9], exec
	s_or_b64 s[4:5], s[4:5], s[8:9]
	s_or_b64 exec, exec, s[6:7]
	s_and_saveexec_b64 s[6:7], s[4:5]
	s_cbranch_execnz .LBB6_1071
	s_branch .LBB6_1072
.LBB6_3121:
	s_movk_i32 s4, 0x80
	v_cmp_eq_u16_e32 vcc, s4, v14
	s_mov_b64 s[4:5], -1
                                        ; implicit-def: $sgpr10
	s_and_saveexec_b64 s[8:9], vcc
; %bb.3122:
	s_mov_b32 s10, 0x7f800001
	s_xor_b64 s[4:5], exec, -1
; %bb.3123:
	s_or_b64 exec, exec, s[8:9]
	s_and_b64 s[4:5], s[4:5], exec
                                        ; implicit-def: $vgpr14
	s_or_saveexec_b64 s[6:7], s[6:7]
	v_mov_b32_e32 v10, s10
	s_xor_b64 exec, exec, s[6:7]
	s_cbranch_execz .LBB6_1074
.LBB6_3124:
	v_cmp_ne_u16_e32 vcc, 0, v14
	s_andn2_b64 s[4:5], s[4:5], exec
	s_and_b64 s[8:9], vcc, exec
	v_mov_b32_e32 v10, 0
	s_or_b64 s[4:5], s[4:5], s[8:9]
	s_or_b64 exec, exec, s[6:7]
	s_and_saveexec_b64 s[6:7], s[4:5]
	s_cbranch_execnz .LBB6_1075
	s_branch .LBB6_1076
.LBB6_3125:
	s_movk_i32 s4, 0x80
	v_cmp_eq_u16_e32 vcc, s4, v14
	s_mov_b64 s[4:5], -1
                                        ; implicit-def: $sgpr10
	s_and_saveexec_b64 s[8:9], vcc
; %bb.3126:
	s_mov_b32 s10, 0x7f800001
	s_xor_b64 s[4:5], exec, -1
; %bb.3127:
	s_or_b64 exec, exec, s[8:9]
	s_and_b64 s[4:5], s[4:5], exec
                                        ; implicit-def: $vgpr14
	s_or_saveexec_b64 s[6:7], s[6:7]
	v_mov_b32_e32 v20, s10
	s_xor_b64 exec, exec, s[6:7]
	s_cbranch_execz .LBB6_1078
.LBB6_3128:
	v_cmp_ne_u16_e32 vcc, 0, v14
	s_andn2_b64 s[4:5], s[4:5], exec
	s_and_b64 s[8:9], vcc, exec
	v_mov_b32_e32 v20, 0
	s_or_b64 s[4:5], s[4:5], s[8:9]
	s_or_b64 exec, exec, s[6:7]
	s_and_saveexec_b64 s[6:7], s[4:5]
	s_cbranch_execnz .LBB6_1079
	s_branch .LBB6_1080
.LBB6_3129:
	s_movk_i32 s4, 0x80
	v_cmp_eq_u16_sdwa s[12:13], v15, s4 src0_sel:BYTE_3 src1_sel:DWORD
	s_mov_b64 s[4:5], -1
                                        ; implicit-def: $sgpr10
	s_and_saveexec_b64 s[8:9], s[12:13]
; %bb.3130:
	s_mov_b32 s10, 0x7f800001
	s_xor_b64 s[4:5], exec, -1
; %bb.3131:
	s_or_b64 exec, exec, s[8:9]
	s_and_b64 s[4:5], s[4:5], exec
	s_or_saveexec_b64 s[6:7], s[6:7]
	v_mov_b32_e32 v10, s10
	s_xor_b64 exec, exec, s[6:7]
	s_cbranch_execz .LBB6_1082
.LBB6_3132:
	v_mov_b32_e32 v10, 0
	v_cmp_ne_u16_sdwa s[8:9], v15, v10 src0_sel:BYTE_3 src1_sel:DWORD
	s_andn2_b64 s[4:5], s[4:5], exec
	s_and_b64 s[8:9], s[8:9], exec
	s_or_b64 s[4:5], s[4:5], s[8:9]
	s_or_b64 exec, exec, s[6:7]
	s_and_saveexec_b64 s[6:7], s[4:5]
	s_cbranch_execnz .LBB6_1083
	s_branch .LBB6_1084
.LBB6_3133:
	s_movk_i32 s4, 0x80
	v_cmp_eq_u16_sdwa s[12:13], v11, s4 src0_sel:BYTE_3 src1_sel:DWORD
	s_mov_b64 s[4:5], -1
                                        ; implicit-def: $sgpr10
	s_and_saveexec_b64 s[8:9], s[12:13]
; %bb.3134:
	s_mov_b32 s10, 0x7f800001
	s_xor_b64 s[4:5], exec, -1
; %bb.3135:
	s_or_b64 exec, exec, s[8:9]
	s_and_b64 s[4:5], s[4:5], exec
	s_or_saveexec_b64 s[6:7], s[6:7]
	v_mov_b32_e32 v14, s10
	s_xor_b64 exec, exec, s[6:7]
	s_cbranch_execz .LBB6_1086
.LBB6_3136:
	v_mov_b32_e32 v14, 0
	v_cmp_ne_u16_sdwa s[8:9], v11, v14 src0_sel:BYTE_3 src1_sel:DWORD
	s_andn2_b64 s[4:5], s[4:5], exec
	s_and_b64 s[8:9], s[8:9], exec
	s_or_b64 s[4:5], s[4:5], s[8:9]
	s_or_b64 exec, exec, s[6:7]
	s_and_saveexec_b64 s[6:7], s[4:5]
	s_cbranch_execnz .LBB6_1087
	s_branch .LBB6_1088
.LBB6_3137:
	s_movk_i32 s4, 0x80
	v_cmp_eq_u16_sdwa s[12:13], v16, s4 src0_sel:BYTE_0 src1_sel:DWORD
	s_mov_b64 s[4:5], -1
                                        ; implicit-def: $sgpr10
	s_and_saveexec_b64 s[8:9], s[12:13]
; %bb.3138:
	s_mov_b32 s10, 0x7f800001
	s_xor_b64 s[4:5], exec, -1
; %bb.3139:
	s_or_b64 exec, exec, s[8:9]
	s_and_b64 s[4:5], s[4:5], exec
	s_or_saveexec_b64 s[6:7], s[6:7]
	v_mov_b32_e32 v10, s10
	s_xor_b64 exec, exec, s[6:7]
	s_cbranch_execz .LBB6_1090
.LBB6_3140:
	v_mov_b32_e32 v10, 0
	v_cmp_ne_u16_sdwa s[8:9], v16, v10 src0_sel:BYTE_0 src1_sel:DWORD
	s_andn2_b64 s[4:5], s[4:5], exec
	s_and_b64 s[8:9], s[8:9], exec
	s_or_b64 s[4:5], s[4:5], s[8:9]
	s_or_b64 exec, exec, s[6:7]
	s_and_saveexec_b64 s[6:7], s[4:5]
	s_cbranch_execnz .LBB6_1091
	s_branch .LBB6_1092
.LBB6_3141:
	s_movk_i32 s4, 0x80
	v_cmp_eq_u16_sdwa s[12:13], v12, s4 src0_sel:BYTE_0 src1_sel:DWORD
	s_mov_b64 s[4:5], -1
                                        ; implicit-def: $sgpr10
	s_and_saveexec_b64 s[8:9], s[12:13]
; %bb.3142:
	s_mov_b32 s10, 0x7f800001
	s_xor_b64 s[4:5], exec, -1
; %bb.3143:
	s_or_b64 exec, exec, s[8:9]
	s_and_b64 s[4:5], s[4:5], exec
	s_or_saveexec_b64 s[6:7], s[6:7]
	v_mov_b32_e32 v11, s10
	s_xor_b64 exec, exec, s[6:7]
	s_cbranch_execz .LBB6_1094
.LBB6_3144:
	v_mov_b32_e32 v11, 0
	v_cmp_ne_u16_sdwa s[8:9], v12, v11 src0_sel:BYTE_0 src1_sel:DWORD
	s_andn2_b64 s[4:5], s[4:5], exec
	s_and_b64 s[8:9], s[8:9], exec
	s_or_b64 s[4:5], s[4:5], s[8:9]
	s_or_b64 exec, exec, s[6:7]
	s_and_saveexec_b64 s[6:7], s[4:5]
	s_cbranch_execnz .LBB6_1095
	s_branch .LBB6_1096
.LBB6_3145:
	s_movk_i32 s4, 0x80
	v_cmp_eq_u16_sdwa s[12:13], v11, s4 src0_sel:BYTE_0 src1_sel:DWORD
	s_mov_b64 s[4:5], -1
                                        ; implicit-def: $sgpr10
	s_and_saveexec_b64 s[8:9], s[12:13]
; %bb.3146:
	s_mov_b32 s10, 0x7f800001
	s_xor_b64 s[4:5], exec, -1
; %bb.3147:
	s_or_b64 exec, exec, s[8:9]
	s_and_b64 s[4:5], s[4:5], exec
	s_or_saveexec_b64 s[6:7], s[6:7]
	v_mov_b32_e32 v10, s10
	s_xor_b64 exec, exec, s[6:7]
	s_cbranch_execz .LBB6_1098
.LBB6_3148:
	v_mov_b32_e32 v10, 0
	v_cmp_ne_u16_sdwa s[8:9], v11, v10 src0_sel:BYTE_0 src1_sel:DWORD
	s_andn2_b64 s[4:5], s[4:5], exec
	s_and_b64 s[8:9], s[8:9], exec
	s_or_b64 s[4:5], s[4:5], s[8:9]
	s_or_b64 exec, exec, s[6:7]
	s_and_saveexec_b64 s[6:7], s[4:5]
	s_cbranch_execnz .LBB6_1099
	s_branch .LBB6_1100
.LBB6_3149:
	s_movk_i32 s4, 0x80
	v_cmp_eq_u16_sdwa s[12:13], v11, s4 src0_sel:BYTE_0 src1_sel:DWORD
	s_mov_b64 s[4:5], -1
                                        ; implicit-def: $sgpr10
	s_and_saveexec_b64 s[8:9], s[12:13]
; %bb.3150:
	s_mov_b32 s10, 0x7f800001
	s_xor_b64 s[4:5], exec, -1
; %bb.3151:
	s_or_b64 exec, exec, s[8:9]
	s_and_b64 s[4:5], s[4:5], exec
	s_or_saveexec_b64 s[6:7], s[6:7]
	v_mov_b32_e32 v14, s10
	s_xor_b64 exec, exec, s[6:7]
	s_cbranch_execz .LBB6_1102
.LBB6_3152:
	v_mov_b32_e32 v14, 0
	v_cmp_ne_u16_sdwa s[8:9], v11, v14 src0_sel:BYTE_0 src1_sel:DWORD
	s_andn2_b64 s[4:5], s[4:5], exec
	s_and_b64 s[8:9], s[8:9], exec
	s_or_b64 s[4:5], s[4:5], s[8:9]
	s_or_b64 exec, exec, s[6:7]
	s_and_saveexec_b64 s[6:7], s[4:5]
	s_cbranch_execnz .LBB6_1103
	s_branch .LBB6_1104
.LBB6_3153:
	s_movk_i32 s4, 0x80
	v_cmp_eq_u16_e32 vcc, s4, v11
	s_mov_b64 s[4:5], -1
                                        ; implicit-def: $sgpr10
	s_and_saveexec_b64 s[8:9], vcc
; %bb.3154:
	s_mov_b32 s10, 0x7f800001
	s_xor_b64 s[4:5], exec, -1
; %bb.3155:
	s_or_b64 exec, exec, s[8:9]
	s_and_b64 s[4:5], s[4:5], exec
                                        ; implicit-def: $vgpr11
	s_or_saveexec_b64 s[6:7], s[6:7]
	v_mov_b32_e32 v10, s10
	s_xor_b64 exec, exec, s[6:7]
	s_cbranch_execz .LBB6_1106
.LBB6_3156:
	v_cmp_ne_u16_e32 vcc, 0, v11
	s_andn2_b64 s[4:5], s[4:5], exec
	s_and_b64 s[8:9], vcc, exec
	v_mov_b32_e32 v10, 0
	s_or_b64 s[4:5], s[4:5], s[8:9]
	s_or_b64 exec, exec, s[6:7]
	s_and_saveexec_b64 s[6:7], s[4:5]
	s_cbranch_execnz .LBB6_1107
	s_branch .LBB6_1108
.LBB6_3157:
	s_movk_i32 s4, 0x80
	v_cmp_eq_u16_e32 vcc, s4, v11
	s_mov_b64 s[4:5], -1
                                        ; implicit-def: $sgpr10
	s_and_saveexec_b64 s[8:9], vcc
; %bb.3158:
	s_mov_b32 s10, 0x7f800001
	s_xor_b64 s[4:5], exec, -1
; %bb.3159:
	s_or_b64 exec, exec, s[8:9]
	s_and_b64 s[4:5], s[4:5], exec
                                        ; implicit-def: $vgpr11
	s_or_saveexec_b64 s[6:7], s[6:7]
	v_mov_b32_e32 v14, s10
	s_xor_b64 exec, exec, s[6:7]
	s_cbranch_execz .LBB6_1110
.LBB6_3160:
	v_cmp_ne_u16_e32 vcc, 0, v11
	s_andn2_b64 s[4:5], s[4:5], exec
	s_and_b64 s[8:9], vcc, exec
	v_mov_b32_e32 v14, 0
	s_or_b64 s[4:5], s[4:5], s[8:9]
	s_or_b64 exec, exec, s[6:7]
	s_and_saveexec_b64 s[6:7], s[4:5]
	s_cbranch_execnz .LBB6_1111
	s_branch .LBB6_1112
.LBB6_3161:
	s_movk_i32 s4, 0x80
	v_cmp_eq_u16_sdwa s[12:13], v16, s4 src0_sel:BYTE_3 src1_sel:DWORD
	s_mov_b64 s[4:5], -1
                                        ; implicit-def: $sgpr10
	s_and_saveexec_b64 s[8:9], s[12:13]
; %bb.3162:
	s_mov_b32 s10, 0x7f800001
	s_xor_b64 s[4:5], exec, -1
; %bb.3163:
	s_or_b64 exec, exec, s[8:9]
	s_and_b64 s[4:5], s[4:5], exec
	s_or_saveexec_b64 s[6:7], s[6:7]
	v_mov_b32_e32 v10, s10
	s_xor_b64 exec, exec, s[6:7]
	s_cbranch_execz .LBB6_1114
.LBB6_3164:
	v_mov_b32_e32 v10, 0
	v_cmp_ne_u16_sdwa s[8:9], v16, v10 src0_sel:BYTE_3 src1_sel:DWORD
	s_andn2_b64 s[4:5], s[4:5], exec
	s_and_b64 s[8:9], s[8:9], exec
	s_or_b64 s[4:5], s[4:5], s[8:9]
	s_or_b64 exec, exec, s[6:7]
	s_and_saveexec_b64 s[6:7], s[4:5]
	s_cbranch_execnz .LBB6_1115
	s_branch .LBB6_1116
.LBB6_3165:
	s_movk_i32 s4, 0x80
	v_cmp_eq_u16_sdwa s[12:13], v12, s4 src0_sel:BYTE_3 src1_sel:DWORD
	s_mov_b64 s[4:5], -1
                                        ; implicit-def: $sgpr10
	s_and_saveexec_b64 s[8:9], s[12:13]
; %bb.3166:
	s_mov_b32 s10, 0x7f800001
	s_xor_b64 s[4:5], exec, -1
; %bb.3167:
	s_or_b64 exec, exec, s[8:9]
	s_and_b64 s[4:5], s[4:5], exec
	s_or_saveexec_b64 s[6:7], s[6:7]
	v_mov_b32_e32 v11, s10
	s_xor_b64 exec, exec, s[6:7]
	s_cbranch_execz .LBB6_1118
.LBB6_3168:
	v_mov_b32_e32 v11, 0
	v_cmp_ne_u16_sdwa s[8:9], v12, v11 src0_sel:BYTE_3 src1_sel:DWORD
	s_andn2_b64 s[4:5], s[4:5], exec
	s_and_b64 s[8:9], s[8:9], exec
	s_or_b64 s[4:5], s[4:5], s[8:9]
	s_or_b64 exec, exec, s[6:7]
	s_and_saveexec_b64 s[6:7], s[4:5]
	s_cbranch_execnz .LBB6_1119
	s_branch .LBB6_1120
.LBB6_3169:
	s_movk_i32 s4, 0x80
	v_cmp_eq_u16_sdwa s[12:13], v17, s4 src0_sel:BYTE_0 src1_sel:DWORD
	s_mov_b64 s[4:5], -1
                                        ; implicit-def: $sgpr10
	s_and_saveexec_b64 s[8:9], s[12:13]
; %bb.3170:
	s_mov_b32 s10, 0x7f800001
	s_xor_b64 s[4:5], exec, -1
; %bb.3171:
	s_or_b64 exec, exec, s[8:9]
	s_and_b64 s[4:5], s[4:5], exec
	s_or_saveexec_b64 s[6:7], s[6:7]
	v_mov_b32_e32 v10, s10
	s_xor_b64 exec, exec, s[6:7]
	s_cbranch_execz .LBB6_1122
.LBB6_3172:
	v_mov_b32_e32 v10, 0
	v_cmp_ne_u16_sdwa s[8:9], v17, v10 src0_sel:BYTE_0 src1_sel:DWORD
	s_andn2_b64 s[4:5], s[4:5], exec
	s_and_b64 s[8:9], s[8:9], exec
	s_or_b64 s[4:5], s[4:5], s[8:9]
	s_or_b64 exec, exec, s[6:7]
	s_and_saveexec_b64 s[6:7], s[4:5]
	s_cbranch_execnz .LBB6_1123
	s_branch .LBB6_1124
.LBB6_3173:
	s_movk_i32 s4, 0x80
	v_cmp_eq_u16_sdwa s[12:13], v13, s4 src0_sel:BYTE_0 src1_sel:DWORD
	s_mov_b64 s[4:5], -1
                                        ; implicit-def: $sgpr10
	s_and_saveexec_b64 s[8:9], s[12:13]
; %bb.3174:
	s_mov_b32 s10, 0x7f800001
	s_xor_b64 s[4:5], exec, -1
; %bb.3175:
	s_or_b64 exec, exec, s[8:9]
	s_and_b64 s[4:5], s[4:5], exec
	s_or_saveexec_b64 s[6:7], s[6:7]
	v_mov_b32_e32 v11, s10
	s_xor_b64 exec, exec, s[6:7]
	s_cbranch_execz .LBB6_1126
.LBB6_3176:
	v_mov_b32_e32 v11, 0
	v_cmp_ne_u16_sdwa s[8:9], v13, v11 src0_sel:BYTE_0 src1_sel:DWORD
	s_andn2_b64 s[4:5], s[4:5], exec
	s_and_b64 s[8:9], s[8:9], exec
	s_or_b64 s[4:5], s[4:5], s[8:9]
	s_or_b64 exec, exec, s[6:7]
	s_and_saveexec_b64 s[6:7], s[4:5]
	s_cbranch_execnz .LBB6_1127
	s_branch .LBB6_1128
.LBB6_3177:
	s_movk_i32 s4, 0x80
	v_cmp_eq_u16_sdwa s[12:13], v11, s4 src0_sel:BYTE_0 src1_sel:DWORD
	s_mov_b64 s[4:5], -1
                                        ; implicit-def: $sgpr10
	s_and_saveexec_b64 s[8:9], s[12:13]
; %bb.3178:
	s_mov_b32 s10, 0x7f800001
	s_xor_b64 s[4:5], exec, -1
; %bb.3179:
	s_or_b64 exec, exec, s[8:9]
	s_and_b64 s[4:5], s[4:5], exec
	s_or_saveexec_b64 s[6:7], s[6:7]
	v_mov_b32_e32 v10, s10
	s_xor_b64 exec, exec, s[6:7]
	s_cbranch_execz .LBB6_1130
.LBB6_3180:
	v_mov_b32_e32 v10, 0
	v_cmp_ne_u16_sdwa s[8:9], v11, v10 src0_sel:BYTE_0 src1_sel:DWORD
	s_andn2_b64 s[4:5], s[4:5], exec
	s_and_b64 s[8:9], s[8:9], exec
	s_or_b64 s[4:5], s[4:5], s[8:9]
	s_or_b64 exec, exec, s[6:7]
	s_and_saveexec_b64 s[6:7], s[4:5]
	s_cbranch_execnz .LBB6_1131
	s_branch .LBB6_1132
.LBB6_3181:
	s_movk_i32 s4, 0x80
	v_cmp_eq_u16_sdwa s[12:13], v11, s4 src0_sel:BYTE_0 src1_sel:DWORD
	s_mov_b64 s[4:5], -1
                                        ; implicit-def: $sgpr10
	s_and_saveexec_b64 s[8:9], s[12:13]
; %bb.3182:
	s_mov_b32 s10, 0x7f800001
	s_xor_b64 s[4:5], exec, -1
; %bb.3183:
	s_or_b64 exec, exec, s[8:9]
	s_and_b64 s[4:5], s[4:5], exec
	s_or_saveexec_b64 s[6:7], s[6:7]
	v_mov_b32_e32 v12, s10
	s_xor_b64 exec, exec, s[6:7]
	s_cbranch_execz .LBB6_1134
.LBB6_3184:
	v_mov_b32_e32 v12, 0
	v_cmp_ne_u16_sdwa s[8:9], v11, v12 src0_sel:BYTE_0 src1_sel:DWORD
	s_andn2_b64 s[4:5], s[4:5], exec
	s_and_b64 s[8:9], s[8:9], exec
	s_or_b64 s[4:5], s[4:5], s[8:9]
	s_or_b64 exec, exec, s[6:7]
	s_and_saveexec_b64 s[6:7], s[4:5]
	s_cbranch_execnz .LBB6_1135
	s_branch .LBB6_1136
.LBB6_3185:
	s_movk_i32 s4, 0x80
	v_cmp_eq_u16_e32 vcc, s4, v11
	s_mov_b64 s[4:5], -1
                                        ; implicit-def: $sgpr10
	s_and_saveexec_b64 s[8:9], vcc
; %bb.3186:
	s_mov_b32 s10, 0x7f800001
	s_xor_b64 s[4:5], exec, -1
; %bb.3187:
	s_or_b64 exec, exec, s[8:9]
	s_and_b64 s[4:5], s[4:5], exec
                                        ; implicit-def: $vgpr11
	s_or_saveexec_b64 s[6:7], s[6:7]
	v_mov_b32_e32 v10, s10
	s_xor_b64 exec, exec, s[6:7]
	s_cbranch_execz .LBB6_1138
.LBB6_3188:
	v_cmp_ne_u16_e32 vcc, 0, v11
	s_andn2_b64 s[4:5], s[4:5], exec
	s_and_b64 s[8:9], vcc, exec
	v_mov_b32_e32 v10, 0
	s_or_b64 s[4:5], s[4:5], s[8:9]
	s_or_b64 exec, exec, s[6:7]
	s_and_saveexec_b64 s[6:7], s[4:5]
	s_cbranch_execnz .LBB6_1139
	s_branch .LBB6_1140
.LBB6_3189:
	s_movk_i32 s4, 0x80
	v_cmp_eq_u16_e32 vcc, s4, v11
	s_mov_b64 s[4:5], -1
                                        ; implicit-def: $sgpr10
	s_and_saveexec_b64 s[8:9], vcc
; %bb.3190:
	s_mov_b32 s10, 0x7f800001
	s_xor_b64 s[4:5], exec, -1
; %bb.3191:
	s_or_b64 exec, exec, s[8:9]
	s_and_b64 s[4:5], s[4:5], exec
                                        ; implicit-def: $vgpr11
	s_or_saveexec_b64 s[6:7], s[6:7]
	v_mov_b32_e32 v12, s10
	s_xor_b64 exec, exec, s[6:7]
	s_cbranch_execz .LBB6_1142
.LBB6_3192:
	v_cmp_ne_u16_e32 vcc, 0, v11
	s_andn2_b64 s[4:5], s[4:5], exec
	s_and_b64 s[8:9], vcc, exec
	v_mov_b32_e32 v12, 0
	s_or_b64 s[4:5], s[4:5], s[8:9]
	s_or_b64 exec, exec, s[6:7]
	s_and_saveexec_b64 s[6:7], s[4:5]
	s_cbranch_execnz .LBB6_1143
	s_branch .LBB6_1144
.LBB6_3193:
	s_movk_i32 s4, 0x80
	v_cmp_eq_u16_sdwa s[12:13], v17, s4 src0_sel:BYTE_3 src1_sel:DWORD
	s_mov_b64 s[4:5], -1
                                        ; implicit-def: $sgpr10
	s_and_saveexec_b64 s[8:9], s[12:13]
; %bb.3194:
	s_mov_b32 s10, 0x7f800001
	s_xor_b64 s[4:5], exec, -1
; %bb.3195:
	s_or_b64 exec, exec, s[8:9]
	s_and_b64 s[4:5], s[4:5], exec
	s_or_saveexec_b64 s[6:7], s[6:7]
	v_mov_b32_e32 v10, s10
	s_xor_b64 exec, exec, s[6:7]
	s_cbranch_execz .LBB6_1146
.LBB6_3196:
	v_mov_b32_e32 v10, 0
	v_cmp_ne_u16_sdwa s[8:9], v17, v10 src0_sel:BYTE_3 src1_sel:DWORD
	s_andn2_b64 s[4:5], s[4:5], exec
	s_and_b64 s[8:9], s[8:9], exec
	s_or_b64 s[4:5], s[4:5], s[8:9]
	s_or_b64 exec, exec, s[6:7]
	s_and_saveexec_b64 s[6:7], s[4:5]
	s_cbranch_execnz .LBB6_1147
	s_branch .LBB6_1148
.LBB6_3197:
	s_movk_i32 s4, 0x80
	v_cmp_eq_u16_sdwa s[12:13], v13, s4 src0_sel:BYTE_3 src1_sel:DWORD
	s_mov_b64 s[4:5], -1
                                        ; implicit-def: $sgpr10
	s_and_saveexec_b64 s[8:9], s[12:13]
; %bb.3198:
	s_mov_b32 s10, 0x7f800001
	s_xor_b64 s[4:5], exec, -1
; %bb.3199:
	s_or_b64 exec, exec, s[8:9]
	s_and_b64 s[4:5], s[4:5], exec
	s_or_saveexec_b64 s[6:7], s[6:7]
	v_mov_b32_e32 v11, s10
	s_xor_b64 exec, exec, s[6:7]
	s_cbranch_execz .LBB6_1150
.LBB6_3200:
	v_mov_b32_e32 v11, 0
	v_cmp_ne_u16_sdwa s[8:9], v13, v11 src0_sel:BYTE_3 src1_sel:DWORD
	s_andn2_b64 s[4:5], s[4:5], exec
	s_and_b64 s[8:9], s[8:9], exec
	s_or_b64 s[4:5], s[4:5], s[8:9]
	s_or_b64 exec, exec, s[6:7]
	s_and_saveexec_b64 s[6:7], s[4:5]
	s_cbranch_execnz .LBB6_1151
	s_branch .LBB6_1152
.LBB6_3201:
	s_movk_i32 s4, 0x80
	v_cmp_eq_u16_sdwa s[12:13], v6, s4 src0_sel:BYTE_0 src1_sel:DWORD
	s_mov_b64 s[4:5], -1
                                        ; implicit-def: $sgpr10
	s_and_saveexec_b64 s[8:9], s[12:13]
; %bb.3202:
	s_mov_b32 s10, 0x7f800001
	s_xor_b64 s[4:5], exec, -1
; %bb.3203:
	s_or_b64 exec, exec, s[8:9]
	s_and_b64 s[4:5], s[4:5], exec
	s_or_saveexec_b64 s[6:7], s[6:7]
	v_mov_b32_e32 v10, s10
	s_xor_b64 exec, exec, s[6:7]
	s_cbranch_execz .LBB6_1154
.LBB6_3204:
	v_mov_b32_e32 v10, 0
	v_cmp_ne_u16_sdwa s[8:9], v6, v10 src0_sel:BYTE_0 src1_sel:DWORD
	s_andn2_b64 s[4:5], s[4:5], exec
	s_and_b64 s[8:9], s[8:9], exec
	s_or_b64 s[4:5], s[4:5], s[8:9]
	s_or_b64 exec, exec, s[6:7]
	s_and_saveexec_b64 s[6:7], s[4:5]
	s_cbranch_execnz .LBB6_1155
	s_branch .LBB6_1156
.LBB6_3205:
	s_movk_i32 s4, 0x80
	v_cmp_eq_u16_sdwa s[12:13], v2, s4 src0_sel:BYTE_0 src1_sel:DWORD
	s_mov_b64 s[4:5], -1
                                        ; implicit-def: $sgpr10
	s_and_saveexec_b64 s[8:9], s[12:13]
; %bb.3206:
	s_mov_b32 s10, 0x7f800001
	s_xor_b64 s[4:5], exec, -1
; %bb.3207:
	s_or_b64 exec, exec, s[8:9]
	s_and_b64 s[4:5], s[4:5], exec
	s_or_saveexec_b64 s[6:7], s[6:7]
	v_mov_b32_e32 v11, s10
	s_xor_b64 exec, exec, s[6:7]
	s_cbranch_execz .LBB6_1158
.LBB6_3208:
	v_mov_b32_e32 v11, 0
	v_cmp_ne_u16_sdwa s[8:9], v2, v11 src0_sel:BYTE_0 src1_sel:DWORD
	s_andn2_b64 s[4:5], s[4:5], exec
	s_and_b64 s[8:9], s[8:9], exec
	s_or_b64 s[4:5], s[4:5], s[8:9]
	s_or_b64 exec, exec, s[6:7]
	s_and_saveexec_b64 s[6:7], s[4:5]
	s_cbranch_execnz .LBB6_1159
	s_branch .LBB6_1160
.LBB6_3209:
	s_movk_i32 s4, 0x80
	v_cmp_eq_u16_sdwa s[12:13], v11, s4 src0_sel:BYTE_0 src1_sel:DWORD
	s_mov_b64 s[4:5], -1
                                        ; implicit-def: $sgpr10
	s_and_saveexec_b64 s[8:9], s[12:13]
; %bb.3210:
	s_mov_b32 s10, 0x7f800001
	s_xor_b64 s[4:5], exec, -1
; %bb.3211:
	s_or_b64 exec, exec, s[8:9]
	s_and_b64 s[4:5], s[4:5], exec
	s_or_saveexec_b64 s[6:7], s[6:7]
	v_mov_b32_e32 v10, s10
	s_xor_b64 exec, exec, s[6:7]
	s_cbranch_execz .LBB6_1162
.LBB6_3212:
	v_mov_b32_e32 v10, 0
	v_cmp_ne_u16_sdwa s[8:9], v11, v10 src0_sel:BYTE_0 src1_sel:DWORD
	s_andn2_b64 s[4:5], s[4:5], exec
	s_and_b64 s[8:9], s[8:9], exec
	s_or_b64 s[4:5], s[4:5], s[8:9]
	s_or_b64 exec, exec, s[6:7]
	s_and_saveexec_b64 s[6:7], s[4:5]
	s_cbranch_execnz .LBB6_1163
	s_branch .LBB6_1164
.LBB6_3213:
	s_movk_i32 s4, 0x80
	v_cmp_eq_u16_sdwa s[12:13], v11, s4 src0_sel:BYTE_0 src1_sel:DWORD
	s_mov_b64 s[4:5], -1
                                        ; implicit-def: $sgpr10
	s_and_saveexec_b64 s[8:9], s[12:13]
; %bb.3214:
	s_mov_b32 s10, 0x7f800001
	s_xor_b64 s[4:5], exec, -1
; %bb.3215:
	s_or_b64 exec, exec, s[8:9]
	s_and_b64 s[4:5], s[4:5], exec
	s_or_saveexec_b64 s[6:7], s[6:7]
	v_mov_b32_e32 v12, s10
	s_xor_b64 exec, exec, s[6:7]
	s_cbranch_execz .LBB6_1166
.LBB6_3216:
	v_mov_b32_e32 v12, 0
	v_cmp_ne_u16_sdwa s[8:9], v11, v12 src0_sel:BYTE_0 src1_sel:DWORD
	s_andn2_b64 s[4:5], s[4:5], exec
	s_and_b64 s[8:9], s[8:9], exec
	s_or_b64 s[4:5], s[4:5], s[8:9]
	s_or_b64 exec, exec, s[6:7]
	s_and_saveexec_b64 s[6:7], s[4:5]
	s_cbranch_execnz .LBB6_1167
	s_branch .LBB6_1168
.LBB6_3217:
	s_movk_i32 s4, 0x80
	v_cmp_eq_u16_e32 vcc, s4, v11
	s_mov_b64 s[4:5], -1
                                        ; implicit-def: $sgpr10
	s_and_saveexec_b64 s[8:9], vcc
; %bb.3218:
	s_mov_b32 s10, 0x7f800001
	s_xor_b64 s[4:5], exec, -1
; %bb.3219:
	s_or_b64 exec, exec, s[8:9]
	s_and_b64 s[4:5], s[4:5], exec
                                        ; implicit-def: $vgpr11
	s_or_saveexec_b64 s[6:7], s[6:7]
	v_mov_b32_e32 v10, s10
	s_xor_b64 exec, exec, s[6:7]
	s_cbranch_execz .LBB6_1170
.LBB6_3220:
	v_cmp_ne_u16_e32 vcc, 0, v11
	s_andn2_b64 s[4:5], s[4:5], exec
	s_and_b64 s[8:9], vcc, exec
	v_mov_b32_e32 v10, 0
	s_or_b64 s[4:5], s[4:5], s[8:9]
	s_or_b64 exec, exec, s[6:7]
	s_and_saveexec_b64 s[6:7], s[4:5]
	s_cbranch_execnz .LBB6_1171
	s_branch .LBB6_1172
.LBB6_3221:
	s_movk_i32 s4, 0x80
	v_cmp_eq_u16_e32 vcc, s4, v11
	s_mov_b64 s[4:5], -1
                                        ; implicit-def: $sgpr10
	s_and_saveexec_b64 s[8:9], vcc
; %bb.3222:
	s_mov_b32 s10, 0x7f800001
	s_xor_b64 s[4:5], exec, -1
; %bb.3223:
	s_or_b64 exec, exec, s[8:9]
	s_and_b64 s[4:5], s[4:5], exec
                                        ; implicit-def: $vgpr11
	s_or_saveexec_b64 s[6:7], s[6:7]
	v_mov_b32_e32 v12, s10
	s_xor_b64 exec, exec, s[6:7]
	s_cbranch_execz .LBB6_1174
.LBB6_3224:
	v_cmp_ne_u16_e32 vcc, 0, v11
	s_andn2_b64 s[4:5], s[4:5], exec
	s_and_b64 s[8:9], vcc, exec
	v_mov_b32_e32 v12, 0
	s_or_b64 s[4:5], s[4:5], s[8:9]
	s_or_b64 exec, exec, s[6:7]
	s_and_saveexec_b64 s[6:7], s[4:5]
	s_cbranch_execnz .LBB6_1175
	s_branch .LBB6_1176
.LBB6_3225:
	s_movk_i32 s4, 0x80
	v_cmp_eq_u16_sdwa s[12:13], v6, s4 src0_sel:BYTE_3 src1_sel:DWORD
	s_mov_b64 s[4:5], -1
                                        ; implicit-def: $sgpr10
	s_and_saveexec_b64 s[8:9], s[12:13]
; %bb.3226:
	s_mov_b32 s10, 0x7f800001
	s_xor_b64 s[4:5], exec, -1
; %bb.3227:
	s_or_b64 exec, exec, s[8:9]
	s_and_b64 s[4:5], s[4:5], exec
	s_or_saveexec_b64 s[6:7], s[6:7]
	v_mov_b32_e32 v10, s10
	s_xor_b64 exec, exec, s[6:7]
	s_cbranch_execz .LBB6_1178
.LBB6_3228:
	v_mov_b32_e32 v10, 0
	v_cmp_ne_u16_sdwa s[8:9], v6, v10 src0_sel:BYTE_3 src1_sel:DWORD
	s_andn2_b64 s[4:5], s[4:5], exec
	s_and_b64 s[8:9], s[8:9], exec
	s_or_b64 s[4:5], s[4:5], s[8:9]
	s_or_b64 exec, exec, s[6:7]
	s_and_saveexec_b64 s[6:7], s[4:5]
	s_cbranch_execnz .LBB6_1179
	s_branch .LBB6_1180
.LBB6_3229:
	s_movk_i32 s4, 0x80
	v_cmp_eq_u16_sdwa s[12:13], v2, s4 src0_sel:BYTE_3 src1_sel:DWORD
	s_mov_b64 s[4:5], -1
                                        ; implicit-def: $sgpr10
	s_and_saveexec_b64 s[8:9], s[12:13]
; %bb.3230:
	s_mov_b32 s10, 0x7f800001
	s_xor_b64 s[4:5], exec, -1
; %bb.3231:
	s_or_b64 exec, exec, s[8:9]
	s_and_b64 s[4:5], s[4:5], exec
	s_or_saveexec_b64 s[6:7], s[6:7]
	v_mov_b32_e32 v6, s10
	s_xor_b64 exec, exec, s[6:7]
	s_cbranch_execz .LBB6_1182
.LBB6_3232:
	v_mov_b32_e32 v6, 0
	v_cmp_ne_u16_sdwa s[8:9], v2, v6 src0_sel:BYTE_3 src1_sel:DWORD
	s_andn2_b64 s[4:5], s[4:5], exec
	s_and_b64 s[8:9], s[8:9], exec
	s_or_b64 s[4:5], s[4:5], s[8:9]
	s_or_b64 exec, exec, s[6:7]
	s_and_saveexec_b64 s[6:7], s[4:5]
	s_cbranch_execnz .LBB6_1183
	s_branch .LBB6_1184
.LBB6_3233:
	s_movk_i32 s4, 0x80
	v_cmp_eq_u16_sdwa s[12:13], v7, s4 src0_sel:BYTE_0 src1_sel:DWORD
	s_mov_b64 s[4:5], -1
                                        ; implicit-def: $sgpr10
	s_and_saveexec_b64 s[8:9], s[12:13]
; %bb.3234:
	s_mov_b32 s10, 0x7f800001
	s_xor_b64 s[4:5], exec, -1
; %bb.3235:
	s_or_b64 exec, exec, s[8:9]
	s_and_b64 s[4:5], s[4:5], exec
	s_or_saveexec_b64 s[6:7], s[6:7]
	v_mov_b32_e32 v2, s10
	s_xor_b64 exec, exec, s[6:7]
	s_cbranch_execz .LBB6_1186
.LBB6_3236:
	v_mov_b32_e32 v2, 0
	v_cmp_ne_u16_sdwa s[8:9], v7, v2 src0_sel:BYTE_0 src1_sel:DWORD
	s_andn2_b64 s[4:5], s[4:5], exec
	s_and_b64 s[8:9], s[8:9], exec
	s_or_b64 s[4:5], s[4:5], s[8:9]
	s_or_b64 exec, exec, s[6:7]
	s_and_saveexec_b64 s[6:7], s[4:5]
	s_cbranch_execnz .LBB6_1187
	s_branch .LBB6_1188
.LBB6_3237:
	s_movk_i32 s4, 0x80
	v_cmp_eq_u16_sdwa s[12:13], v3, s4 src0_sel:BYTE_0 src1_sel:DWORD
	s_mov_b64 s[4:5], -1
                                        ; implicit-def: $sgpr10
	s_and_saveexec_b64 s[8:9], s[12:13]
; %bb.3238:
	s_mov_b32 s10, 0x7f800001
	s_xor_b64 s[4:5], exec, -1
; %bb.3239:
	s_or_b64 exec, exec, s[8:9]
	s_and_b64 s[4:5], s[4:5], exec
	s_or_saveexec_b64 s[6:7], s[6:7]
	v_mov_b32_e32 v6, s10
	s_xor_b64 exec, exec, s[6:7]
	s_cbranch_execz .LBB6_1190
.LBB6_3240:
	v_mov_b32_e32 v6, 0
	v_cmp_ne_u16_sdwa s[8:9], v3, v6 src0_sel:BYTE_0 src1_sel:DWORD
	s_andn2_b64 s[4:5], s[4:5], exec
	s_and_b64 s[8:9], s[8:9], exec
	s_or_b64 s[4:5], s[4:5], s[8:9]
	s_or_b64 exec, exec, s[6:7]
	s_and_saveexec_b64 s[6:7], s[4:5]
	s_cbranch_execnz .LBB6_1191
	s_branch .LBB6_1192
.LBB6_3241:
	s_movk_i32 s4, 0x80
	v_cmp_eq_u16_sdwa s[12:13], v6, s4 src0_sel:BYTE_0 src1_sel:DWORD
	s_mov_b64 s[4:5], -1
                                        ; implicit-def: $sgpr10
	s_and_saveexec_b64 s[8:9], s[12:13]
; %bb.3242:
	s_mov_b32 s10, 0x7f800001
	s_xor_b64 s[4:5], exec, -1
; %bb.3243:
	s_or_b64 exec, exec, s[8:9]
	s_and_b64 s[4:5], s[4:5], exec
	s_or_saveexec_b64 s[6:7], s[6:7]
	v_mov_b32_e32 v2, s10
	s_xor_b64 exec, exec, s[6:7]
	s_cbranch_execz .LBB6_1194
.LBB6_3244:
	v_mov_b32_e32 v2, 0
	v_cmp_ne_u16_sdwa s[8:9], v6, v2 src0_sel:BYTE_0 src1_sel:DWORD
	s_andn2_b64 s[4:5], s[4:5], exec
	s_and_b64 s[8:9], s[8:9], exec
	s_or_b64 s[4:5], s[4:5], s[8:9]
	s_or_b64 exec, exec, s[6:7]
	s_and_saveexec_b64 s[6:7], s[4:5]
	s_cbranch_execnz .LBB6_1195
	s_branch .LBB6_1196
.LBB6_3245:
	s_movk_i32 s4, 0x80
	v_cmp_eq_u16_sdwa s[12:13], v6, s4 src0_sel:BYTE_0 src1_sel:DWORD
	s_mov_b64 s[4:5], -1
                                        ; implicit-def: $sgpr10
	s_and_saveexec_b64 s[8:9], s[12:13]
; %bb.3246:
	s_mov_b32 s10, 0x7f800001
	s_xor_b64 s[4:5], exec, -1
; %bb.3247:
	s_or_b64 exec, exec, s[8:9]
	s_and_b64 s[4:5], s[4:5], exec
	s_or_saveexec_b64 s[6:7], s[6:7]
	v_mov_b32_e32 v10, s10
	s_xor_b64 exec, exec, s[6:7]
	s_cbranch_execz .LBB6_1198
.LBB6_3248:
	v_mov_b32_e32 v10, 0
	v_cmp_ne_u16_sdwa s[8:9], v6, v10 src0_sel:BYTE_0 src1_sel:DWORD
	s_andn2_b64 s[4:5], s[4:5], exec
	s_and_b64 s[8:9], s[8:9], exec
	s_or_b64 s[4:5], s[4:5], s[8:9]
	s_or_b64 exec, exec, s[6:7]
	s_and_saveexec_b64 s[6:7], s[4:5]
	s_cbranch_execnz .LBB6_1199
	s_branch .LBB6_1200
.LBB6_3249:
	s_movk_i32 s4, 0x80
	v_cmp_eq_u16_e32 vcc, s4, v6
	s_mov_b64 s[4:5], -1
                                        ; implicit-def: $sgpr10
	s_and_saveexec_b64 s[8:9], vcc
; %bb.3250:
	s_mov_b32 s10, 0x7f800001
	s_xor_b64 s[4:5], exec, -1
; %bb.3251:
	s_or_b64 exec, exec, s[8:9]
	s_and_b64 s[4:5], s[4:5], exec
                                        ; implicit-def: $vgpr6
	s_or_saveexec_b64 s[6:7], s[6:7]
	v_mov_b32_e32 v2, s10
	s_xor_b64 exec, exec, s[6:7]
	s_cbranch_execz .LBB6_1202
.LBB6_3252:
	v_cmp_ne_u16_e32 vcc, 0, v6
	s_andn2_b64 s[4:5], s[4:5], exec
	s_and_b64 s[8:9], vcc, exec
	v_mov_b32_e32 v2, 0
	s_or_b64 s[4:5], s[4:5], s[8:9]
	s_or_b64 exec, exec, s[6:7]
	s_and_saveexec_b64 s[6:7], s[4:5]
	s_cbranch_execnz .LBB6_1203
	s_branch .LBB6_1204
.LBB6_3253:
	s_movk_i32 s4, 0x80
	v_cmp_eq_u16_e32 vcc, s4, v6
	s_mov_b64 s[4:5], -1
                                        ; implicit-def: $sgpr10
	s_and_saveexec_b64 s[8:9], vcc
; %bb.3254:
	s_mov_b32 s10, 0x7f800001
	s_xor_b64 s[4:5], exec, -1
; %bb.3255:
	s_or_b64 exec, exec, s[8:9]
	s_and_b64 s[4:5], s[4:5], exec
                                        ; implicit-def: $vgpr6
	s_or_saveexec_b64 s[6:7], s[6:7]
	v_mov_b32_e32 v10, s10
	s_xor_b64 exec, exec, s[6:7]
	s_cbranch_execz .LBB6_1206
.LBB6_3256:
	v_cmp_ne_u16_e32 vcc, 0, v6
	s_andn2_b64 s[4:5], s[4:5], exec
	s_and_b64 s[8:9], vcc, exec
	v_mov_b32_e32 v10, 0
	s_or_b64 s[4:5], s[4:5], s[8:9]
	s_or_b64 exec, exec, s[6:7]
	s_and_saveexec_b64 s[6:7], s[4:5]
	s_cbranch_execnz .LBB6_1207
	s_branch .LBB6_1208
.LBB6_3257:
	s_movk_i32 s4, 0x80
	v_cmp_eq_u16_sdwa s[12:13], v7, s4 src0_sel:BYTE_3 src1_sel:DWORD
	s_mov_b64 s[4:5], -1
                                        ; implicit-def: $sgpr10
	s_and_saveexec_b64 s[8:9], s[12:13]
; %bb.3258:
	s_mov_b32 s10, 0x7f800001
	s_xor_b64 s[4:5], exec, -1
; %bb.3259:
	s_or_b64 exec, exec, s[8:9]
	s_and_b64 s[4:5], s[4:5], exec
	s_or_saveexec_b64 s[6:7], s[6:7]
	v_mov_b32_e32 v2, s10
	s_xor_b64 exec, exec, s[6:7]
	s_cbranch_execz .LBB6_1210
.LBB6_3260:
	v_mov_b32_e32 v2, 0
	v_cmp_ne_u16_sdwa s[8:9], v7, v2 src0_sel:BYTE_3 src1_sel:DWORD
	s_andn2_b64 s[4:5], s[4:5], exec
	s_and_b64 s[8:9], s[8:9], exec
	s_or_b64 s[4:5], s[4:5], s[8:9]
	s_or_b64 exec, exec, s[6:7]
	s_and_saveexec_b64 s[6:7], s[4:5]
	s_cbranch_execnz .LBB6_1211
	s_branch .LBB6_1212
.LBB6_3261:
	s_movk_i32 s4, 0x80
	v_cmp_eq_u16_sdwa s[12:13], v3, s4 src0_sel:BYTE_3 src1_sel:DWORD
	s_mov_b64 s[4:5], -1
                                        ; implicit-def: $sgpr10
	s_and_saveexec_b64 s[8:9], s[12:13]
; %bb.3262:
	s_mov_b32 s10, 0x7f800001
	s_xor_b64 s[4:5], exec, -1
; %bb.3263:
	s_or_b64 exec, exec, s[8:9]
	s_and_b64 s[4:5], s[4:5], exec
	s_or_saveexec_b64 s[6:7], s[6:7]
	v_mov_b32_e32 v6, s10
	s_xor_b64 exec, exec, s[6:7]
	s_cbranch_execz .LBB6_1214
.LBB6_3264:
	v_mov_b32_e32 v6, 0
	v_cmp_ne_u16_sdwa s[8:9], v3, v6 src0_sel:BYTE_3 src1_sel:DWORD
	s_andn2_b64 s[4:5], s[4:5], exec
	s_and_b64 s[8:9], s[8:9], exec
	s_or_b64 s[4:5], s[4:5], s[8:9]
	s_or_b64 exec, exec, s[6:7]
	s_and_saveexec_b64 s[6:7], s[4:5]
	s_cbranch_execnz .LBB6_1215
	s_branch .LBB6_1216
.LBB6_3265:
	s_movk_i32 s4, 0x80
	v_cmp_eq_u16_sdwa s[12:13], v8, s4 src0_sel:BYTE_0 src1_sel:DWORD
	s_mov_b64 s[4:5], -1
                                        ; implicit-def: $sgpr10
	s_and_saveexec_b64 s[8:9], s[12:13]
; %bb.3266:
	s_mov_b32 s10, 0x7f800001
	s_xor_b64 s[4:5], exec, -1
; %bb.3267:
	s_or_b64 exec, exec, s[8:9]
	s_and_b64 s[4:5], s[4:5], exec
	s_or_saveexec_b64 s[6:7], s[6:7]
	v_mov_b32_e32 v2, s10
	s_xor_b64 exec, exec, s[6:7]
	s_cbranch_execz .LBB6_1218
.LBB6_3268:
	v_mov_b32_e32 v2, 0
	v_cmp_ne_u16_sdwa s[8:9], v8, v2 src0_sel:BYTE_0 src1_sel:DWORD
	s_andn2_b64 s[4:5], s[4:5], exec
	s_and_b64 s[8:9], s[8:9], exec
	s_or_b64 s[4:5], s[4:5], s[8:9]
	s_or_b64 exec, exec, s[6:7]
	s_and_saveexec_b64 s[6:7], s[4:5]
	s_cbranch_execnz .LBB6_1219
	s_branch .LBB6_1220
.LBB6_3269:
	s_movk_i32 s4, 0x80
	v_cmp_eq_u16_sdwa s[12:13], v4, s4 src0_sel:BYTE_0 src1_sel:DWORD
	s_mov_b64 s[4:5], -1
                                        ; implicit-def: $sgpr10
	s_and_saveexec_b64 s[8:9], s[12:13]
; %bb.3270:
	s_mov_b32 s10, 0x7f800001
	s_xor_b64 s[4:5], exec, -1
; %bb.3271:
	s_or_b64 exec, exec, s[8:9]
	s_and_b64 s[4:5], s[4:5], exec
	s_or_saveexec_b64 s[6:7], s[6:7]
	v_mov_b32_e32 v3, s10
	s_xor_b64 exec, exec, s[6:7]
	s_cbranch_execz .LBB6_1222
.LBB6_3272:
	v_mov_b32_e32 v3, 0
	v_cmp_ne_u16_sdwa s[8:9], v4, v3 src0_sel:BYTE_0 src1_sel:DWORD
	s_andn2_b64 s[4:5], s[4:5], exec
	s_and_b64 s[8:9], s[8:9], exec
	s_or_b64 s[4:5], s[4:5], s[8:9]
	s_or_b64 exec, exec, s[6:7]
	s_and_saveexec_b64 s[6:7], s[4:5]
	s_cbranch_execnz .LBB6_1223
	s_branch .LBB6_1224
.LBB6_3273:
	s_movk_i32 s4, 0x80
	v_cmp_eq_u16_sdwa s[12:13], v3, s4 src0_sel:BYTE_0 src1_sel:DWORD
	s_mov_b64 s[4:5], -1
                                        ; implicit-def: $sgpr10
	s_and_saveexec_b64 s[8:9], s[12:13]
; %bb.3274:
	s_mov_b32 s10, 0x7f800001
	s_xor_b64 s[4:5], exec, -1
; %bb.3275:
	s_or_b64 exec, exec, s[8:9]
	s_and_b64 s[4:5], s[4:5], exec
	s_or_saveexec_b64 s[6:7], s[6:7]
	v_mov_b32_e32 v2, s10
	s_xor_b64 exec, exec, s[6:7]
	s_cbranch_execz .LBB6_1226
.LBB6_3276:
	v_mov_b32_e32 v2, 0
	v_cmp_ne_u16_sdwa s[8:9], v3, v2 src0_sel:BYTE_0 src1_sel:DWORD
	s_andn2_b64 s[4:5], s[4:5], exec
	s_and_b64 s[8:9], s[8:9], exec
	s_or_b64 s[4:5], s[4:5], s[8:9]
	s_or_b64 exec, exec, s[6:7]
	s_and_saveexec_b64 s[6:7], s[4:5]
	s_cbranch_execnz .LBB6_1227
	s_branch .LBB6_1228
.LBB6_3277:
	s_movk_i32 s4, 0x80
	v_cmp_eq_u16_sdwa s[12:13], v3, s4 src0_sel:BYTE_0 src1_sel:DWORD
	s_mov_b64 s[4:5], -1
                                        ; implicit-def: $sgpr10
	s_and_saveexec_b64 s[8:9], s[12:13]
; %bb.3278:
	s_mov_b32 s10, 0x7f800001
	s_xor_b64 s[4:5], exec, -1
; %bb.3279:
	s_or_b64 exec, exec, s[8:9]
	s_and_b64 s[4:5], s[4:5], exec
	s_or_saveexec_b64 s[6:7], s[6:7]
	v_mov_b32_e32 v6, s10
	s_xor_b64 exec, exec, s[6:7]
	s_cbranch_execz .LBB6_1230
.LBB6_3280:
	v_mov_b32_e32 v6, 0
	v_cmp_ne_u16_sdwa s[8:9], v3, v6 src0_sel:BYTE_0 src1_sel:DWORD
	s_andn2_b64 s[4:5], s[4:5], exec
	s_and_b64 s[8:9], s[8:9], exec
	s_or_b64 s[4:5], s[4:5], s[8:9]
	s_or_b64 exec, exec, s[6:7]
	s_and_saveexec_b64 s[6:7], s[4:5]
	s_cbranch_execnz .LBB6_1231
	s_branch .LBB6_1232
.LBB6_3281:
	s_movk_i32 s4, 0x80
	v_cmp_eq_u16_e32 vcc, s4, v3
	s_mov_b64 s[4:5], -1
                                        ; implicit-def: $sgpr10
	s_and_saveexec_b64 s[8:9], vcc
; %bb.3282:
	s_mov_b32 s10, 0x7f800001
	s_xor_b64 s[4:5], exec, -1
; %bb.3283:
	s_or_b64 exec, exec, s[8:9]
	s_and_b64 s[4:5], s[4:5], exec
                                        ; implicit-def: $vgpr3
	s_or_saveexec_b64 s[6:7], s[6:7]
	v_mov_b32_e32 v2, s10
	s_xor_b64 exec, exec, s[6:7]
	s_cbranch_execz .LBB6_1234
.LBB6_3284:
	v_cmp_ne_u16_e32 vcc, 0, v3
	s_andn2_b64 s[4:5], s[4:5], exec
	s_and_b64 s[8:9], vcc, exec
	v_mov_b32_e32 v2, 0
	s_or_b64 s[4:5], s[4:5], s[8:9]
	s_or_b64 exec, exec, s[6:7]
	s_and_saveexec_b64 s[6:7], s[4:5]
	s_cbranch_execnz .LBB6_1235
	s_branch .LBB6_1236
.LBB6_3285:
	s_movk_i32 s4, 0x80
	v_cmp_eq_u16_e32 vcc, s4, v3
	s_mov_b64 s[4:5], -1
                                        ; implicit-def: $sgpr10
	s_and_saveexec_b64 s[8:9], vcc
; %bb.3286:
	s_mov_b32 s10, 0x7f800001
	s_xor_b64 s[4:5], exec, -1
; %bb.3287:
	s_or_b64 exec, exec, s[8:9]
	s_and_b64 s[4:5], s[4:5], exec
                                        ; implicit-def: $vgpr3
	s_or_saveexec_b64 s[6:7], s[6:7]
	v_mov_b32_e32 v6, s10
	s_xor_b64 exec, exec, s[6:7]
	s_cbranch_execz .LBB6_1238
.LBB6_3288:
	v_cmp_ne_u16_e32 vcc, 0, v3
	s_andn2_b64 s[4:5], s[4:5], exec
	s_and_b64 s[8:9], vcc, exec
	v_mov_b32_e32 v6, 0
	s_or_b64 s[4:5], s[4:5], s[8:9]
	s_or_b64 exec, exec, s[6:7]
	s_and_saveexec_b64 s[6:7], s[4:5]
	s_cbranch_execnz .LBB6_1239
	s_branch .LBB6_1240
.LBB6_3289:
	s_movk_i32 s4, 0x80
	v_cmp_eq_u16_sdwa s[12:13], v8, s4 src0_sel:BYTE_3 src1_sel:DWORD
	s_mov_b64 s[4:5], -1
                                        ; implicit-def: $sgpr10
	s_and_saveexec_b64 s[8:9], s[12:13]
; %bb.3290:
	s_mov_b32 s10, 0x7f800001
	s_xor_b64 s[4:5], exec, -1
; %bb.3291:
	s_or_b64 exec, exec, s[8:9]
	s_and_b64 s[4:5], s[4:5], exec
	s_or_saveexec_b64 s[6:7], s[6:7]
	v_mov_b32_e32 v2, s10
	s_xor_b64 exec, exec, s[6:7]
	s_cbranch_execz .LBB6_1242
.LBB6_3292:
	v_mov_b32_e32 v2, 0
	v_cmp_ne_u16_sdwa s[8:9], v8, v2 src0_sel:BYTE_3 src1_sel:DWORD
	s_andn2_b64 s[4:5], s[4:5], exec
	s_and_b64 s[8:9], s[8:9], exec
	s_or_b64 s[4:5], s[4:5], s[8:9]
	s_or_b64 exec, exec, s[6:7]
	s_and_saveexec_b64 s[6:7], s[4:5]
	s_cbranch_execnz .LBB6_1243
	s_branch .LBB6_1244
.LBB6_3293:
	s_movk_i32 s4, 0x80
	v_cmp_eq_u16_sdwa s[12:13], v4, s4 src0_sel:BYTE_3 src1_sel:DWORD
	s_mov_b64 s[4:5], -1
                                        ; implicit-def: $sgpr10
	s_and_saveexec_b64 s[8:9], s[12:13]
; %bb.3294:
	s_mov_b32 s10, 0x7f800001
	s_xor_b64 s[4:5], exec, -1
; %bb.3295:
	s_or_b64 exec, exec, s[8:9]
	s_and_b64 s[4:5], s[4:5], exec
	s_or_saveexec_b64 s[6:7], s[6:7]
	v_mov_b32_e32 v3, s10
	s_xor_b64 exec, exec, s[6:7]
	s_cbranch_execz .LBB6_1246
.LBB6_3296:
	v_mov_b32_e32 v3, 0
	v_cmp_ne_u16_sdwa s[8:9], v4, v3 src0_sel:BYTE_3 src1_sel:DWORD
	s_andn2_b64 s[4:5], s[4:5], exec
	s_and_b64 s[8:9], s[8:9], exec
	s_or_b64 s[4:5], s[4:5], s[8:9]
	s_or_b64 exec, exec, s[6:7]
	s_and_saveexec_b64 s[6:7], s[4:5]
	s_cbranch_execnz .LBB6_1247
	s_branch .LBB6_1248
.LBB6_3297:
	s_movk_i32 s4, 0x80
	v_cmp_eq_u16_sdwa s[12:13], v9, s4 src0_sel:BYTE_0 src1_sel:DWORD
	s_mov_b64 s[4:5], -1
                                        ; implicit-def: $sgpr10
	s_and_saveexec_b64 s[8:9], s[12:13]
; %bb.3298:
	s_mov_b32 s10, 0x7f800001
	s_xor_b64 s[4:5], exec, -1
; %bb.3299:
	s_or_b64 exec, exec, s[8:9]
	s_and_b64 s[4:5], s[4:5], exec
	s_or_saveexec_b64 s[6:7], s[6:7]
	v_mov_b32_e32 v2, s10
	s_xor_b64 exec, exec, s[6:7]
	s_cbranch_execz .LBB6_1250
.LBB6_3300:
	v_mov_b32_e32 v2, 0
	v_cmp_ne_u16_sdwa s[8:9], v9, v2 src0_sel:BYTE_0 src1_sel:DWORD
	s_andn2_b64 s[4:5], s[4:5], exec
	s_and_b64 s[8:9], s[8:9], exec
	s_or_b64 s[4:5], s[4:5], s[8:9]
	s_or_b64 exec, exec, s[6:7]
	s_and_saveexec_b64 s[6:7], s[4:5]
	s_cbranch_execnz .LBB6_1251
	s_branch .LBB6_1252
.LBB6_3301:
	s_movk_i32 s4, 0x80
	v_cmp_eq_u16_sdwa s[12:13], v5, s4 src0_sel:BYTE_0 src1_sel:DWORD
	s_mov_b64 s[4:5], -1
                                        ; implicit-def: $sgpr10
	s_and_saveexec_b64 s[8:9], s[12:13]
; %bb.3302:
	s_mov_b32 s10, 0x7f800001
	s_xor_b64 s[4:5], exec, -1
; %bb.3303:
	s_or_b64 exec, exec, s[8:9]
	s_and_b64 s[4:5], s[4:5], exec
	s_or_saveexec_b64 s[6:7], s[6:7]
	v_mov_b32_e32 v3, s10
	s_xor_b64 exec, exec, s[6:7]
	s_cbranch_execz .LBB6_1254
.LBB6_3304:
	v_mov_b32_e32 v3, 0
	v_cmp_ne_u16_sdwa s[8:9], v5, v3 src0_sel:BYTE_0 src1_sel:DWORD
	s_andn2_b64 s[4:5], s[4:5], exec
	s_and_b64 s[8:9], s[8:9], exec
	s_or_b64 s[4:5], s[4:5], s[8:9]
	s_or_b64 exec, exec, s[6:7]
	s_and_saveexec_b64 s[6:7], s[4:5]
	s_cbranch_execnz .LBB6_1255
	s_branch .LBB6_1256
.LBB6_3305:
	s_movk_i32 s4, 0x80
	v_cmp_eq_u16_sdwa s[12:13], v3, s4 src0_sel:BYTE_0 src1_sel:DWORD
	s_mov_b64 s[4:5], -1
                                        ; implicit-def: $sgpr10
	s_and_saveexec_b64 s[8:9], s[12:13]
; %bb.3306:
	s_mov_b32 s10, 0x7f800001
	s_xor_b64 s[4:5], exec, -1
; %bb.3307:
	s_or_b64 exec, exec, s[8:9]
	s_and_b64 s[4:5], s[4:5], exec
	s_or_saveexec_b64 s[6:7], s[6:7]
	v_mov_b32_e32 v2, s10
	s_xor_b64 exec, exec, s[6:7]
	s_cbranch_execz .LBB6_1258
.LBB6_3308:
	v_mov_b32_e32 v2, 0
	v_cmp_ne_u16_sdwa s[8:9], v3, v2 src0_sel:BYTE_0 src1_sel:DWORD
	s_andn2_b64 s[4:5], s[4:5], exec
	s_and_b64 s[8:9], s[8:9], exec
	s_or_b64 s[4:5], s[4:5], s[8:9]
	s_or_b64 exec, exec, s[6:7]
	s_and_saveexec_b64 s[6:7], s[4:5]
	s_cbranch_execnz .LBB6_1259
	s_branch .LBB6_1260
.LBB6_3309:
	s_movk_i32 s4, 0x80
	v_cmp_eq_u16_sdwa s[12:13], v3, s4 src0_sel:BYTE_0 src1_sel:DWORD
	s_mov_b64 s[4:5], -1
                                        ; implicit-def: $sgpr10
	s_and_saveexec_b64 s[8:9], s[12:13]
; %bb.3310:
	s_mov_b32 s10, 0x7f800001
	s_xor_b64 s[4:5], exec, -1
; %bb.3311:
	s_or_b64 exec, exec, s[8:9]
	s_and_b64 s[4:5], s[4:5], exec
	s_or_saveexec_b64 s[6:7], s[6:7]
	v_mov_b32_e32 v4, s10
	s_xor_b64 exec, exec, s[6:7]
	s_cbranch_execz .LBB6_1262
.LBB6_3312:
	v_mov_b32_e32 v4, 0
	v_cmp_ne_u16_sdwa s[8:9], v3, v4 src0_sel:BYTE_0 src1_sel:DWORD
	s_andn2_b64 s[4:5], s[4:5], exec
	s_and_b64 s[8:9], s[8:9], exec
	s_or_b64 s[4:5], s[4:5], s[8:9]
	s_or_b64 exec, exec, s[6:7]
	s_and_saveexec_b64 s[6:7], s[4:5]
	s_cbranch_execnz .LBB6_1263
	s_branch .LBB6_1264
.LBB6_3313:
	s_movk_i32 s4, 0x80
	v_cmp_eq_u16_e32 vcc, s4, v3
	s_mov_b64 s[4:5], -1
                                        ; implicit-def: $sgpr10
	s_and_saveexec_b64 s[8:9], vcc
; %bb.3314:
	s_mov_b32 s10, 0x7f800001
	s_xor_b64 s[4:5], exec, -1
; %bb.3315:
	s_or_b64 exec, exec, s[8:9]
	s_and_b64 s[4:5], s[4:5], exec
                                        ; implicit-def: $vgpr3
	s_or_saveexec_b64 s[6:7], s[6:7]
	v_mov_b32_e32 v2, s10
	s_xor_b64 exec, exec, s[6:7]
	s_cbranch_execz .LBB6_1266
.LBB6_3316:
	v_cmp_ne_u16_e32 vcc, 0, v3
	s_andn2_b64 s[4:5], s[4:5], exec
	s_and_b64 s[8:9], vcc, exec
	v_mov_b32_e32 v2, 0
	s_or_b64 s[4:5], s[4:5], s[8:9]
	s_or_b64 exec, exec, s[6:7]
	s_and_saveexec_b64 s[6:7], s[4:5]
	s_cbranch_execnz .LBB6_1267
	s_branch .LBB6_1268
.LBB6_3317:
	s_movk_i32 s4, 0x80
	v_cmp_eq_u16_e32 vcc, s4, v3
	s_mov_b64 s[4:5], -1
                                        ; implicit-def: $sgpr10
	s_and_saveexec_b64 s[8:9], vcc
; %bb.3318:
	s_mov_b32 s10, 0x7f800001
	s_xor_b64 s[4:5], exec, -1
; %bb.3319:
	s_or_b64 exec, exec, s[8:9]
	s_and_b64 s[4:5], s[4:5], exec
                                        ; implicit-def: $vgpr3
	s_or_saveexec_b64 s[6:7], s[6:7]
	v_mov_b32_e32 v4, s10
	s_xor_b64 exec, exec, s[6:7]
	s_cbranch_execz .LBB6_1270
.LBB6_3320:
	v_cmp_ne_u16_e32 vcc, 0, v3
	s_andn2_b64 s[4:5], s[4:5], exec
	s_and_b64 s[8:9], vcc, exec
	v_mov_b32_e32 v4, 0
	s_or_b64 s[4:5], s[4:5], s[8:9]
	s_or_b64 exec, exec, s[6:7]
	s_and_saveexec_b64 s[6:7], s[4:5]
	s_cbranch_execnz .LBB6_1271
	s_branch .LBB6_1272
.LBB6_3321:
	s_movk_i32 s4, 0x80
	v_cmp_eq_u16_sdwa s[12:13], v9, s4 src0_sel:BYTE_3 src1_sel:DWORD
	s_mov_b64 s[4:5], -1
                                        ; implicit-def: $sgpr10
	s_and_saveexec_b64 s[8:9], s[12:13]
; %bb.3322:
	s_mov_b32 s10, 0x7f800001
	s_xor_b64 s[4:5], exec, -1
; %bb.3323:
	s_or_b64 exec, exec, s[8:9]
	s_and_b64 s[4:5], s[4:5], exec
	s_or_saveexec_b64 s[6:7], s[6:7]
	v_mov_b32_e32 v2, s10
	s_xor_b64 exec, exec, s[6:7]
	s_cbranch_execz .LBB6_1274
.LBB6_3324:
	v_mov_b32_e32 v2, 0
	v_cmp_ne_u16_sdwa s[8:9], v9, v2 src0_sel:BYTE_3 src1_sel:DWORD
	s_andn2_b64 s[4:5], s[4:5], exec
	s_and_b64 s[8:9], s[8:9], exec
	s_or_b64 s[4:5], s[4:5], s[8:9]
	s_or_b64 exec, exec, s[6:7]
	s_and_saveexec_b64 s[6:7], s[4:5]
	s_cbranch_execnz .LBB6_1275
	s_branch .LBB6_1276
.LBB6_3325:
	s_movk_i32 s4, 0x80
	v_cmp_eq_u16_sdwa s[12:13], v5, s4 src0_sel:BYTE_3 src1_sel:DWORD
	s_mov_b64 s[4:5], -1
                                        ; implicit-def: $sgpr10
	s_and_saveexec_b64 s[8:9], s[12:13]
; %bb.3326:
	s_mov_b32 s10, 0x7f800001
	s_xor_b64 s[4:5], exec, -1
; %bb.3327:
	s_or_b64 exec, exec, s[8:9]
	s_and_b64 s[4:5], s[4:5], exec
	s_or_saveexec_b64 s[6:7], s[6:7]
	v_mov_b32_e32 v3, s10
	s_xor_b64 exec, exec, s[6:7]
	s_cbranch_execz .LBB6_1278
.LBB6_3328:
	v_mov_b32_e32 v3, 0
	v_cmp_ne_u16_sdwa s[8:9], v5, v3 src0_sel:BYTE_3 src1_sel:DWORD
	s_andn2_b64 s[4:5], s[4:5], exec
	s_and_b64 s[8:9], s[8:9], exec
	s_or_b64 s[4:5], s[4:5], s[8:9]
	s_or_b64 exec, exec, s[6:7]
	s_and_saveexec_b64 s[6:7], s[4:5]
	s_cbranch_execnz .LBB6_1279
	s_branch .LBB6_1280
.LBB6_3329:
	s_movk_i32 s4, 0x80
	v_cmp_eq_u16_sdwa s[12:13], v14, s4 src0_sel:BYTE_0 src1_sel:DWORD
	s_mov_b64 s[4:5], -1
                                        ; implicit-def: $sgpr10
	s_and_saveexec_b64 s[8:9], s[12:13]
; %bb.3330:
	s_mov_b32 s10, 0x7f800001
	s_xor_b64 s[4:5], exec, -1
; %bb.3331:
	s_or_b64 exec, exec, s[8:9]
	s_and_b64 s[4:5], s[4:5], exec
	s_or_saveexec_b64 s[6:7], s[6:7]
	v_mov_b32_e32 v20, s10
	s_xor_b64 exec, exec, s[6:7]
	s_cbranch_execz .LBB6_1282
.LBB6_3332:
	v_mov_b32_e32 v20, 0
	v_cmp_ne_u16_sdwa s[8:9], v14, v20 src0_sel:BYTE_0 src1_sel:DWORD
	s_andn2_b64 s[4:5], s[4:5], exec
	s_and_b64 s[8:9], s[8:9], exec
	s_or_b64 s[4:5], s[4:5], s[8:9]
	s_or_b64 exec, exec, s[6:7]
	s_and_saveexec_b64 s[6:7], s[4:5]
	s_cbranch_execnz .LBB6_1283
	s_branch .LBB6_1284
.LBB6_3333:
	s_movk_i32 s4, 0x80
	v_cmp_eq_u16_sdwa s[12:13], v10, s4 src0_sel:BYTE_0 src1_sel:DWORD
	s_mov_b64 s[4:5], -1
                                        ; implicit-def: $sgpr10
	s_and_saveexec_b64 s[8:9], s[12:13]
; %bb.3334:
	s_mov_b32 s10, 0x7f800001
	s_xor_b64 s[4:5], exec, -1
; %bb.3335:
	s_or_b64 exec, exec, s[8:9]
	s_and_b64 s[4:5], s[4:5], exec
	s_or_saveexec_b64 s[6:7], s[6:7]
	v_mov_b32_e32 v21, s10
	s_xor_b64 exec, exec, s[6:7]
	s_cbranch_execz .LBB6_1286
.LBB6_3336:
	v_mov_b32_e32 v21, 0
	v_cmp_ne_u16_sdwa s[8:9], v10, v21 src0_sel:BYTE_0 src1_sel:DWORD
	s_andn2_b64 s[4:5], s[4:5], exec
	s_and_b64 s[8:9], s[8:9], exec
	s_or_b64 s[4:5], s[4:5], s[8:9]
	s_or_b64 exec, exec, s[6:7]
	s_and_saveexec_b64 s[6:7], s[4:5]
	s_cbranch_execnz .LBB6_1287
	s_branch .LBB6_1288
.LBB6_3337:
	s_movk_i32 s4, 0x80
	v_cmp_eq_u16_sdwa s[12:13], v21, s4 src0_sel:BYTE_0 src1_sel:DWORD
	s_mov_b64 s[4:5], -1
                                        ; implicit-def: $sgpr10
	s_and_saveexec_b64 s[8:9], s[12:13]
; %bb.3338:
	s_mov_b32 s10, 0x7f800001
	s_xor_b64 s[4:5], exec, -1
; %bb.3339:
	s_or_b64 exec, exec, s[8:9]
	s_and_b64 s[4:5], s[4:5], exec
	s_or_saveexec_b64 s[6:7], s[6:7]
	v_mov_b32_e32 v20, s10
	s_xor_b64 exec, exec, s[6:7]
	s_cbranch_execz .LBB6_1290
.LBB6_3340:
	v_mov_b32_e32 v20, 0
	v_cmp_ne_u16_sdwa s[8:9], v21, v20 src0_sel:BYTE_0 src1_sel:DWORD
	s_andn2_b64 s[4:5], s[4:5], exec
	s_and_b64 s[8:9], s[8:9], exec
	s_or_b64 s[4:5], s[4:5], s[8:9]
	s_or_b64 exec, exec, s[6:7]
	s_and_saveexec_b64 s[6:7], s[4:5]
	s_cbranch_execnz .LBB6_1291
	s_branch .LBB6_1292
.LBB6_3341:
	s_movk_i32 s4, 0x80
	v_cmp_eq_u16_sdwa s[12:13], v21, s4 src0_sel:BYTE_0 src1_sel:DWORD
	s_mov_b64 s[4:5], -1
                                        ; implicit-def: $sgpr10
	s_and_saveexec_b64 s[8:9], s[12:13]
; %bb.3342:
	s_mov_b32 s10, 0x7f800001
	s_xor_b64 s[4:5], exec, -1
; %bb.3343:
	s_or_b64 exec, exec, s[8:9]
	s_and_b64 s[4:5], s[4:5], exec
	s_or_saveexec_b64 s[6:7], s[6:7]
	v_mov_b32_e32 v22, s10
	s_xor_b64 exec, exec, s[6:7]
	s_cbranch_execz .LBB6_1294
.LBB6_3344:
	v_mov_b32_e32 v22, 0
	v_cmp_ne_u16_sdwa s[8:9], v21, v22 src0_sel:BYTE_0 src1_sel:DWORD
	s_andn2_b64 s[4:5], s[4:5], exec
	s_and_b64 s[8:9], s[8:9], exec
	s_or_b64 s[4:5], s[4:5], s[8:9]
	s_or_b64 exec, exec, s[6:7]
	s_and_saveexec_b64 s[6:7], s[4:5]
	s_cbranch_execnz .LBB6_1295
	s_branch .LBB6_1296
.LBB6_3345:
	s_movk_i32 s4, 0x80
	v_cmp_eq_u16_e32 vcc, s4, v21
	s_mov_b64 s[4:5], -1
                                        ; implicit-def: $sgpr10
	s_and_saveexec_b64 s[8:9], vcc
; %bb.3346:
	s_mov_b32 s10, 0x7f800001
	s_xor_b64 s[4:5], exec, -1
; %bb.3347:
	s_or_b64 exec, exec, s[8:9]
	s_and_b64 s[4:5], s[4:5], exec
                                        ; implicit-def: $vgpr21
	s_or_saveexec_b64 s[6:7], s[6:7]
	v_mov_b32_e32 v20, s10
	s_xor_b64 exec, exec, s[6:7]
	s_cbranch_execz .LBB6_1298
.LBB6_3348:
	v_cmp_ne_u16_e32 vcc, 0, v21
	s_andn2_b64 s[4:5], s[4:5], exec
	s_and_b64 s[8:9], vcc, exec
	v_mov_b32_e32 v20, 0
	s_or_b64 s[4:5], s[4:5], s[8:9]
	s_or_b64 exec, exec, s[6:7]
	s_and_saveexec_b64 s[6:7], s[4:5]
	s_cbranch_execnz .LBB6_1299
	s_branch .LBB6_1300
.LBB6_3349:
	s_movk_i32 s4, 0x80
	v_cmp_eq_u16_e32 vcc, s4, v21
	s_mov_b64 s[4:5], -1
                                        ; implicit-def: $sgpr10
	s_and_saveexec_b64 s[8:9], vcc
; %bb.3350:
	s_mov_b32 s10, 0x7f800001
	s_xor_b64 s[4:5], exec, -1
; %bb.3351:
	s_or_b64 exec, exec, s[8:9]
	s_and_b64 s[4:5], s[4:5], exec
                                        ; implicit-def: $vgpr21
	s_or_saveexec_b64 s[6:7], s[6:7]
	v_mov_b32_e32 v22, s10
	s_xor_b64 exec, exec, s[6:7]
	s_cbranch_execz .LBB6_1302
.LBB6_3352:
	v_cmp_ne_u16_e32 vcc, 0, v21
	s_andn2_b64 s[4:5], s[4:5], exec
	s_and_b64 s[8:9], vcc, exec
	v_mov_b32_e32 v22, 0
	s_or_b64 s[4:5], s[4:5], s[8:9]
	s_or_b64 exec, exec, s[6:7]
	s_and_saveexec_b64 s[6:7], s[4:5]
	s_cbranch_execnz .LBB6_1303
	s_branch .LBB6_1304
.LBB6_3353:
	s_movk_i32 s4, 0x80
	v_cmp_eq_u16_sdwa s[12:13], v14, s4 src0_sel:BYTE_3 src1_sel:DWORD
	s_mov_b64 s[4:5], -1
                                        ; implicit-def: $sgpr10
	s_and_saveexec_b64 s[8:9], s[12:13]
; %bb.3354:
	s_mov_b32 s10, 0x7f800001
	s_xor_b64 s[4:5], exec, -1
; %bb.3355:
	s_or_b64 exec, exec, s[8:9]
	s_and_b64 s[4:5], s[4:5], exec
	s_or_saveexec_b64 s[6:7], s[6:7]
	v_mov_b32_e32 v20, s10
	s_xor_b64 exec, exec, s[6:7]
	s_cbranch_execz .LBB6_1306
.LBB6_3356:
	v_mov_b32_e32 v20, 0
	v_cmp_ne_u16_sdwa s[8:9], v14, v20 src0_sel:BYTE_3 src1_sel:DWORD
	s_andn2_b64 s[4:5], s[4:5], exec
	s_and_b64 s[8:9], s[8:9], exec
	s_or_b64 s[4:5], s[4:5], s[8:9]
	s_or_b64 exec, exec, s[6:7]
	s_and_saveexec_b64 s[6:7], s[4:5]
	s_cbranch_execnz .LBB6_1307
	s_branch .LBB6_1308
.LBB6_3357:
	s_movk_i32 s4, 0x80
	v_cmp_eq_u16_sdwa s[12:13], v10, s4 src0_sel:BYTE_3 src1_sel:DWORD
	s_mov_b64 s[4:5], -1
                                        ; implicit-def: $sgpr10
	s_and_saveexec_b64 s[8:9], s[12:13]
; %bb.3358:
	s_mov_b32 s10, 0x7f800001
	s_xor_b64 s[4:5], exec, -1
; %bb.3359:
	s_or_b64 exec, exec, s[8:9]
	s_and_b64 s[4:5], s[4:5], exec
	s_or_saveexec_b64 s[6:7], s[6:7]
	v_mov_b32_e32 v14, s10
	s_xor_b64 exec, exec, s[6:7]
	s_cbranch_execz .LBB6_1310
.LBB6_3360:
	v_mov_b32_e32 v14, 0
	v_cmp_ne_u16_sdwa s[8:9], v10, v14 src0_sel:BYTE_3 src1_sel:DWORD
	s_andn2_b64 s[4:5], s[4:5], exec
	s_and_b64 s[8:9], s[8:9], exec
	s_or_b64 s[4:5], s[4:5], s[8:9]
	s_or_b64 exec, exec, s[6:7]
	s_and_saveexec_b64 s[6:7], s[4:5]
	s_cbranch_execnz .LBB6_1311
	s_branch .LBB6_1312
.LBB6_3361:
	s_movk_i32 s4, 0x80
	v_cmp_eq_u16_sdwa s[12:13], v15, s4 src0_sel:BYTE_0 src1_sel:DWORD
	s_mov_b64 s[4:5], -1
                                        ; implicit-def: $sgpr10
	s_and_saveexec_b64 s[8:9], s[12:13]
; %bb.3362:
	s_mov_b32 s10, 0x7f800001
	s_xor_b64 s[4:5], exec, -1
; %bb.3363:
	s_or_b64 exec, exec, s[8:9]
	s_and_b64 s[4:5], s[4:5], exec
	s_or_saveexec_b64 s[6:7], s[6:7]
	v_mov_b32_e32 v10, s10
	s_xor_b64 exec, exec, s[6:7]
	s_cbranch_execz .LBB6_1314
.LBB6_3364:
	v_mov_b32_e32 v10, 0
	v_cmp_ne_u16_sdwa s[8:9], v15, v10 src0_sel:BYTE_0 src1_sel:DWORD
	s_andn2_b64 s[4:5], s[4:5], exec
	s_and_b64 s[8:9], s[8:9], exec
	s_or_b64 s[4:5], s[4:5], s[8:9]
	s_or_b64 exec, exec, s[6:7]
	s_and_saveexec_b64 s[6:7], s[4:5]
	s_cbranch_execnz .LBB6_1315
	s_branch .LBB6_1316
.LBB6_3365:
	s_movk_i32 s4, 0x80
	v_cmp_eq_u16_sdwa s[12:13], v11, s4 src0_sel:BYTE_0 src1_sel:DWORD
	s_mov_b64 s[4:5], -1
                                        ; implicit-def: $sgpr10
	s_and_saveexec_b64 s[8:9], s[12:13]
; %bb.3366:
	s_mov_b32 s10, 0x7f800001
	s_xor_b64 s[4:5], exec, -1
; %bb.3367:
	s_or_b64 exec, exec, s[8:9]
	s_and_b64 s[4:5], s[4:5], exec
	s_or_saveexec_b64 s[6:7], s[6:7]
	v_mov_b32_e32 v14, s10
	s_xor_b64 exec, exec, s[6:7]
	s_cbranch_execz .LBB6_1318
.LBB6_3368:
	v_mov_b32_e32 v14, 0
	v_cmp_ne_u16_sdwa s[8:9], v11, v14 src0_sel:BYTE_0 src1_sel:DWORD
	s_andn2_b64 s[4:5], s[4:5], exec
	s_and_b64 s[8:9], s[8:9], exec
	s_or_b64 s[4:5], s[4:5], s[8:9]
	s_or_b64 exec, exec, s[6:7]
	s_and_saveexec_b64 s[6:7], s[4:5]
	s_cbranch_execnz .LBB6_1319
	s_branch .LBB6_1320
.LBB6_3369:
	s_movk_i32 s4, 0x80
	v_cmp_eq_u16_sdwa s[12:13], v14, s4 src0_sel:BYTE_0 src1_sel:DWORD
	s_mov_b64 s[4:5], -1
                                        ; implicit-def: $sgpr10
	s_and_saveexec_b64 s[8:9], s[12:13]
; %bb.3370:
	s_mov_b32 s10, 0x7f800001
	s_xor_b64 s[4:5], exec, -1
; %bb.3371:
	s_or_b64 exec, exec, s[8:9]
	s_and_b64 s[4:5], s[4:5], exec
	s_or_saveexec_b64 s[6:7], s[6:7]
	v_mov_b32_e32 v10, s10
	s_xor_b64 exec, exec, s[6:7]
	s_cbranch_execz .LBB6_1322
.LBB6_3372:
	v_mov_b32_e32 v10, 0
	v_cmp_ne_u16_sdwa s[8:9], v14, v10 src0_sel:BYTE_0 src1_sel:DWORD
	s_andn2_b64 s[4:5], s[4:5], exec
	s_and_b64 s[8:9], s[8:9], exec
	s_or_b64 s[4:5], s[4:5], s[8:9]
	s_or_b64 exec, exec, s[6:7]
	s_and_saveexec_b64 s[6:7], s[4:5]
	s_cbranch_execnz .LBB6_1323
	s_branch .LBB6_1324
.LBB6_3373:
	s_movk_i32 s4, 0x80
	v_cmp_eq_u16_sdwa s[12:13], v14, s4 src0_sel:BYTE_0 src1_sel:DWORD
	s_mov_b64 s[4:5], -1
                                        ; implicit-def: $sgpr10
	s_and_saveexec_b64 s[8:9], s[12:13]
; %bb.3374:
	s_mov_b32 s10, 0x7f800001
	s_xor_b64 s[4:5], exec, -1
; %bb.3375:
	s_or_b64 exec, exec, s[8:9]
	s_and_b64 s[4:5], s[4:5], exec
	s_or_saveexec_b64 s[6:7], s[6:7]
	v_mov_b32_e32 v20, s10
	s_xor_b64 exec, exec, s[6:7]
	s_cbranch_execz .LBB6_1326
.LBB6_3376:
	v_mov_b32_e32 v20, 0
	v_cmp_ne_u16_sdwa s[8:9], v14, v20 src0_sel:BYTE_0 src1_sel:DWORD
	s_andn2_b64 s[4:5], s[4:5], exec
	s_and_b64 s[8:9], s[8:9], exec
	s_or_b64 s[4:5], s[4:5], s[8:9]
	s_or_b64 exec, exec, s[6:7]
	s_and_saveexec_b64 s[6:7], s[4:5]
	s_cbranch_execnz .LBB6_1327
	s_branch .LBB6_1328
.LBB6_3377:
	s_movk_i32 s4, 0x80
	v_cmp_eq_u16_e32 vcc, s4, v14
	s_mov_b64 s[4:5], -1
                                        ; implicit-def: $sgpr10
	s_and_saveexec_b64 s[8:9], vcc
; %bb.3378:
	s_mov_b32 s10, 0x7f800001
	s_xor_b64 s[4:5], exec, -1
; %bb.3379:
	s_or_b64 exec, exec, s[8:9]
	s_and_b64 s[4:5], s[4:5], exec
                                        ; implicit-def: $vgpr14
	s_or_saveexec_b64 s[6:7], s[6:7]
	v_mov_b32_e32 v10, s10
	s_xor_b64 exec, exec, s[6:7]
	s_cbranch_execz .LBB6_1330
.LBB6_3380:
	v_cmp_ne_u16_e32 vcc, 0, v14
	s_andn2_b64 s[4:5], s[4:5], exec
	s_and_b64 s[8:9], vcc, exec
	v_mov_b32_e32 v10, 0
	s_or_b64 s[4:5], s[4:5], s[8:9]
	s_or_b64 exec, exec, s[6:7]
	s_and_saveexec_b64 s[6:7], s[4:5]
	s_cbranch_execnz .LBB6_1331
	s_branch .LBB6_1332
.LBB6_3381:
	s_movk_i32 s4, 0x80
	v_cmp_eq_u16_e32 vcc, s4, v14
	s_mov_b64 s[4:5], -1
                                        ; implicit-def: $sgpr10
	s_and_saveexec_b64 s[8:9], vcc
; %bb.3382:
	s_mov_b32 s10, 0x7f800001
	s_xor_b64 s[4:5], exec, -1
; %bb.3383:
	s_or_b64 exec, exec, s[8:9]
	s_and_b64 s[4:5], s[4:5], exec
                                        ; implicit-def: $vgpr14
	s_or_saveexec_b64 s[6:7], s[6:7]
	v_mov_b32_e32 v20, s10
	s_xor_b64 exec, exec, s[6:7]
	s_cbranch_execz .LBB6_1334
.LBB6_3384:
	v_cmp_ne_u16_e32 vcc, 0, v14
	s_andn2_b64 s[4:5], s[4:5], exec
	s_and_b64 s[8:9], vcc, exec
	v_mov_b32_e32 v20, 0
	s_or_b64 s[4:5], s[4:5], s[8:9]
	s_or_b64 exec, exec, s[6:7]
	s_and_saveexec_b64 s[6:7], s[4:5]
	s_cbranch_execnz .LBB6_1335
	s_branch .LBB6_1336
.LBB6_3385:
	s_movk_i32 s4, 0x80
	v_cmp_eq_u16_sdwa s[12:13], v15, s4 src0_sel:BYTE_3 src1_sel:DWORD
	s_mov_b64 s[4:5], -1
                                        ; implicit-def: $sgpr10
	s_and_saveexec_b64 s[8:9], s[12:13]
; %bb.3386:
	s_mov_b32 s10, 0x7f800001
	s_xor_b64 s[4:5], exec, -1
; %bb.3387:
	s_or_b64 exec, exec, s[8:9]
	s_and_b64 s[4:5], s[4:5], exec
	s_or_saveexec_b64 s[6:7], s[6:7]
	v_mov_b32_e32 v10, s10
	s_xor_b64 exec, exec, s[6:7]
	s_cbranch_execz .LBB6_1338
.LBB6_3388:
	v_mov_b32_e32 v10, 0
	v_cmp_ne_u16_sdwa s[8:9], v15, v10 src0_sel:BYTE_3 src1_sel:DWORD
	s_andn2_b64 s[4:5], s[4:5], exec
	s_and_b64 s[8:9], s[8:9], exec
	s_or_b64 s[4:5], s[4:5], s[8:9]
	s_or_b64 exec, exec, s[6:7]
	s_and_saveexec_b64 s[6:7], s[4:5]
	s_cbranch_execnz .LBB6_1339
	s_branch .LBB6_1340
.LBB6_3389:
	s_movk_i32 s4, 0x80
	v_cmp_eq_u16_sdwa s[12:13], v11, s4 src0_sel:BYTE_3 src1_sel:DWORD
	s_mov_b64 s[4:5], -1
                                        ; implicit-def: $sgpr10
	s_and_saveexec_b64 s[8:9], s[12:13]
; %bb.3390:
	s_mov_b32 s10, 0x7f800001
	s_xor_b64 s[4:5], exec, -1
; %bb.3391:
	s_or_b64 exec, exec, s[8:9]
	s_and_b64 s[4:5], s[4:5], exec
	s_or_saveexec_b64 s[6:7], s[6:7]
	v_mov_b32_e32 v14, s10
	s_xor_b64 exec, exec, s[6:7]
	s_cbranch_execz .LBB6_1342
.LBB6_3392:
	v_mov_b32_e32 v14, 0
	v_cmp_ne_u16_sdwa s[8:9], v11, v14 src0_sel:BYTE_3 src1_sel:DWORD
	s_andn2_b64 s[4:5], s[4:5], exec
	s_and_b64 s[8:9], s[8:9], exec
	s_or_b64 s[4:5], s[4:5], s[8:9]
	s_or_b64 exec, exec, s[6:7]
	s_and_saveexec_b64 s[6:7], s[4:5]
	s_cbranch_execnz .LBB6_1343
	s_branch .LBB6_1344
.LBB6_3393:
	s_movk_i32 s4, 0x80
	v_cmp_eq_u16_sdwa s[12:13], v16, s4 src0_sel:BYTE_0 src1_sel:DWORD
	s_mov_b64 s[4:5], -1
                                        ; implicit-def: $sgpr10
	s_and_saveexec_b64 s[8:9], s[12:13]
; %bb.3394:
	s_mov_b32 s10, 0x7f800001
	s_xor_b64 s[4:5], exec, -1
; %bb.3395:
	s_or_b64 exec, exec, s[8:9]
	s_and_b64 s[4:5], s[4:5], exec
	s_or_saveexec_b64 s[6:7], s[6:7]
	v_mov_b32_e32 v10, s10
	s_xor_b64 exec, exec, s[6:7]
	s_cbranch_execz .LBB6_1346
.LBB6_3396:
	v_mov_b32_e32 v10, 0
	v_cmp_ne_u16_sdwa s[8:9], v16, v10 src0_sel:BYTE_0 src1_sel:DWORD
	s_andn2_b64 s[4:5], s[4:5], exec
	s_and_b64 s[8:9], s[8:9], exec
	s_or_b64 s[4:5], s[4:5], s[8:9]
	s_or_b64 exec, exec, s[6:7]
	s_and_saveexec_b64 s[6:7], s[4:5]
	s_cbranch_execnz .LBB6_1347
	s_branch .LBB6_1348
.LBB6_3397:
	s_movk_i32 s4, 0x80
	v_cmp_eq_u16_sdwa s[12:13], v12, s4 src0_sel:BYTE_0 src1_sel:DWORD
	s_mov_b64 s[4:5], -1
                                        ; implicit-def: $sgpr10
	s_and_saveexec_b64 s[8:9], s[12:13]
; %bb.3398:
	s_mov_b32 s10, 0x7f800001
	s_xor_b64 s[4:5], exec, -1
; %bb.3399:
	s_or_b64 exec, exec, s[8:9]
	s_and_b64 s[4:5], s[4:5], exec
	s_or_saveexec_b64 s[6:7], s[6:7]
	v_mov_b32_e32 v11, s10
	s_xor_b64 exec, exec, s[6:7]
	s_cbranch_execz .LBB6_1350
.LBB6_3400:
	v_mov_b32_e32 v11, 0
	v_cmp_ne_u16_sdwa s[8:9], v12, v11 src0_sel:BYTE_0 src1_sel:DWORD
	s_andn2_b64 s[4:5], s[4:5], exec
	s_and_b64 s[8:9], s[8:9], exec
	s_or_b64 s[4:5], s[4:5], s[8:9]
	s_or_b64 exec, exec, s[6:7]
	s_and_saveexec_b64 s[6:7], s[4:5]
	s_cbranch_execnz .LBB6_1351
	s_branch .LBB6_1352
.LBB6_3401:
	s_movk_i32 s4, 0x80
	v_cmp_eq_u16_sdwa s[12:13], v11, s4 src0_sel:BYTE_0 src1_sel:DWORD
	s_mov_b64 s[4:5], -1
                                        ; implicit-def: $sgpr10
	s_and_saveexec_b64 s[8:9], s[12:13]
; %bb.3402:
	s_mov_b32 s10, 0x7f800001
	s_xor_b64 s[4:5], exec, -1
; %bb.3403:
	s_or_b64 exec, exec, s[8:9]
	s_and_b64 s[4:5], s[4:5], exec
	s_or_saveexec_b64 s[6:7], s[6:7]
	v_mov_b32_e32 v10, s10
	s_xor_b64 exec, exec, s[6:7]
	s_cbranch_execz .LBB6_1354
.LBB6_3404:
	v_mov_b32_e32 v10, 0
	v_cmp_ne_u16_sdwa s[8:9], v11, v10 src0_sel:BYTE_0 src1_sel:DWORD
	s_andn2_b64 s[4:5], s[4:5], exec
	s_and_b64 s[8:9], s[8:9], exec
	s_or_b64 s[4:5], s[4:5], s[8:9]
	s_or_b64 exec, exec, s[6:7]
	s_and_saveexec_b64 s[6:7], s[4:5]
	s_cbranch_execnz .LBB6_1355
	s_branch .LBB6_1356
.LBB6_3405:
	s_movk_i32 s4, 0x80
	v_cmp_eq_u16_sdwa s[12:13], v11, s4 src0_sel:BYTE_0 src1_sel:DWORD
	s_mov_b64 s[4:5], -1
                                        ; implicit-def: $sgpr10
	s_and_saveexec_b64 s[8:9], s[12:13]
; %bb.3406:
	s_mov_b32 s10, 0x7f800001
	s_xor_b64 s[4:5], exec, -1
; %bb.3407:
	s_or_b64 exec, exec, s[8:9]
	s_and_b64 s[4:5], s[4:5], exec
	s_or_saveexec_b64 s[6:7], s[6:7]
	v_mov_b32_e32 v14, s10
	s_xor_b64 exec, exec, s[6:7]
	s_cbranch_execz .LBB6_1358
.LBB6_3408:
	v_mov_b32_e32 v14, 0
	v_cmp_ne_u16_sdwa s[8:9], v11, v14 src0_sel:BYTE_0 src1_sel:DWORD
	s_andn2_b64 s[4:5], s[4:5], exec
	s_and_b64 s[8:9], s[8:9], exec
	s_or_b64 s[4:5], s[4:5], s[8:9]
	s_or_b64 exec, exec, s[6:7]
	s_and_saveexec_b64 s[6:7], s[4:5]
	s_cbranch_execnz .LBB6_1359
	s_branch .LBB6_1360
.LBB6_3409:
	s_movk_i32 s4, 0x80
	v_cmp_eq_u16_e32 vcc, s4, v11
	s_mov_b64 s[4:5], -1
                                        ; implicit-def: $sgpr10
	s_and_saveexec_b64 s[8:9], vcc
; %bb.3410:
	s_mov_b32 s10, 0x7f800001
	s_xor_b64 s[4:5], exec, -1
; %bb.3411:
	s_or_b64 exec, exec, s[8:9]
	s_and_b64 s[4:5], s[4:5], exec
                                        ; implicit-def: $vgpr11
	s_or_saveexec_b64 s[6:7], s[6:7]
	v_mov_b32_e32 v10, s10
	s_xor_b64 exec, exec, s[6:7]
	s_cbranch_execz .LBB6_1362
.LBB6_3412:
	v_cmp_ne_u16_e32 vcc, 0, v11
	s_andn2_b64 s[4:5], s[4:5], exec
	s_and_b64 s[8:9], vcc, exec
	v_mov_b32_e32 v10, 0
	s_or_b64 s[4:5], s[4:5], s[8:9]
	s_or_b64 exec, exec, s[6:7]
	s_and_saveexec_b64 s[6:7], s[4:5]
	s_cbranch_execnz .LBB6_1363
	s_branch .LBB6_1364
.LBB6_3413:
	s_movk_i32 s4, 0x80
	v_cmp_eq_u16_e32 vcc, s4, v11
	s_mov_b64 s[4:5], -1
                                        ; implicit-def: $sgpr10
	s_and_saveexec_b64 s[8:9], vcc
; %bb.3414:
	s_mov_b32 s10, 0x7f800001
	s_xor_b64 s[4:5], exec, -1
; %bb.3415:
	s_or_b64 exec, exec, s[8:9]
	s_and_b64 s[4:5], s[4:5], exec
                                        ; implicit-def: $vgpr11
	s_or_saveexec_b64 s[6:7], s[6:7]
	v_mov_b32_e32 v14, s10
	s_xor_b64 exec, exec, s[6:7]
	s_cbranch_execz .LBB6_1366
.LBB6_3416:
	v_cmp_ne_u16_e32 vcc, 0, v11
	s_andn2_b64 s[4:5], s[4:5], exec
	s_and_b64 s[8:9], vcc, exec
	v_mov_b32_e32 v14, 0
	s_or_b64 s[4:5], s[4:5], s[8:9]
	s_or_b64 exec, exec, s[6:7]
	s_and_saveexec_b64 s[6:7], s[4:5]
	s_cbranch_execnz .LBB6_1367
	s_branch .LBB6_1368
.LBB6_3417:
	s_movk_i32 s4, 0x80
	v_cmp_eq_u16_sdwa s[12:13], v16, s4 src0_sel:BYTE_3 src1_sel:DWORD
	s_mov_b64 s[4:5], -1
                                        ; implicit-def: $sgpr10
	s_and_saveexec_b64 s[8:9], s[12:13]
; %bb.3418:
	s_mov_b32 s10, 0x7f800001
	s_xor_b64 s[4:5], exec, -1
; %bb.3419:
	s_or_b64 exec, exec, s[8:9]
	s_and_b64 s[4:5], s[4:5], exec
	s_or_saveexec_b64 s[6:7], s[6:7]
	v_mov_b32_e32 v10, s10
	s_xor_b64 exec, exec, s[6:7]
	s_cbranch_execz .LBB6_1370
.LBB6_3420:
	v_mov_b32_e32 v10, 0
	v_cmp_ne_u16_sdwa s[8:9], v16, v10 src0_sel:BYTE_3 src1_sel:DWORD
	s_andn2_b64 s[4:5], s[4:5], exec
	s_and_b64 s[8:9], s[8:9], exec
	s_or_b64 s[4:5], s[4:5], s[8:9]
	s_or_b64 exec, exec, s[6:7]
	s_and_saveexec_b64 s[6:7], s[4:5]
	s_cbranch_execnz .LBB6_1371
	s_branch .LBB6_1372
.LBB6_3421:
	s_movk_i32 s4, 0x80
	v_cmp_eq_u16_sdwa s[12:13], v12, s4 src0_sel:BYTE_3 src1_sel:DWORD
	s_mov_b64 s[4:5], -1
                                        ; implicit-def: $sgpr10
	s_and_saveexec_b64 s[8:9], s[12:13]
; %bb.3422:
	s_mov_b32 s10, 0x7f800001
	s_xor_b64 s[4:5], exec, -1
; %bb.3423:
	s_or_b64 exec, exec, s[8:9]
	s_and_b64 s[4:5], s[4:5], exec
	s_or_saveexec_b64 s[6:7], s[6:7]
	v_mov_b32_e32 v11, s10
	s_xor_b64 exec, exec, s[6:7]
	s_cbranch_execz .LBB6_1374
.LBB6_3424:
	v_mov_b32_e32 v11, 0
	v_cmp_ne_u16_sdwa s[8:9], v12, v11 src0_sel:BYTE_3 src1_sel:DWORD
	s_andn2_b64 s[4:5], s[4:5], exec
	s_and_b64 s[8:9], s[8:9], exec
	s_or_b64 s[4:5], s[4:5], s[8:9]
	s_or_b64 exec, exec, s[6:7]
	s_and_saveexec_b64 s[6:7], s[4:5]
	s_cbranch_execnz .LBB6_1375
	s_branch .LBB6_1376
.LBB6_3425:
	s_movk_i32 s4, 0x80
	v_cmp_eq_u16_sdwa s[12:13], v17, s4 src0_sel:BYTE_0 src1_sel:DWORD
	s_mov_b64 s[4:5], -1
                                        ; implicit-def: $sgpr10
	s_and_saveexec_b64 s[8:9], s[12:13]
; %bb.3426:
	s_mov_b32 s10, 0x7f800001
	s_xor_b64 s[4:5], exec, -1
; %bb.3427:
	s_or_b64 exec, exec, s[8:9]
	s_and_b64 s[4:5], s[4:5], exec
	s_or_saveexec_b64 s[6:7], s[6:7]
	v_mov_b32_e32 v10, s10
	s_xor_b64 exec, exec, s[6:7]
	s_cbranch_execz .LBB6_1378
.LBB6_3428:
	v_mov_b32_e32 v10, 0
	v_cmp_ne_u16_sdwa s[8:9], v17, v10 src0_sel:BYTE_0 src1_sel:DWORD
	s_andn2_b64 s[4:5], s[4:5], exec
	s_and_b64 s[8:9], s[8:9], exec
	s_or_b64 s[4:5], s[4:5], s[8:9]
	s_or_b64 exec, exec, s[6:7]
	s_and_saveexec_b64 s[6:7], s[4:5]
	s_cbranch_execnz .LBB6_1379
	s_branch .LBB6_1380
.LBB6_3429:
	s_movk_i32 s4, 0x80
	v_cmp_eq_u16_sdwa s[12:13], v13, s4 src0_sel:BYTE_0 src1_sel:DWORD
	s_mov_b64 s[4:5], -1
                                        ; implicit-def: $sgpr10
	s_and_saveexec_b64 s[8:9], s[12:13]
; %bb.3430:
	s_mov_b32 s10, 0x7f800001
	s_xor_b64 s[4:5], exec, -1
; %bb.3431:
	s_or_b64 exec, exec, s[8:9]
	s_and_b64 s[4:5], s[4:5], exec
	s_or_saveexec_b64 s[6:7], s[6:7]
	v_mov_b32_e32 v11, s10
	s_xor_b64 exec, exec, s[6:7]
	s_cbranch_execz .LBB6_1382
.LBB6_3432:
	v_mov_b32_e32 v11, 0
	v_cmp_ne_u16_sdwa s[8:9], v13, v11 src0_sel:BYTE_0 src1_sel:DWORD
	s_andn2_b64 s[4:5], s[4:5], exec
	s_and_b64 s[8:9], s[8:9], exec
	s_or_b64 s[4:5], s[4:5], s[8:9]
	s_or_b64 exec, exec, s[6:7]
	s_and_saveexec_b64 s[6:7], s[4:5]
	s_cbranch_execnz .LBB6_1383
	s_branch .LBB6_1384
.LBB6_3433:
	s_movk_i32 s4, 0x80
	v_cmp_eq_u16_sdwa s[12:13], v11, s4 src0_sel:BYTE_0 src1_sel:DWORD
	s_mov_b64 s[4:5], -1
                                        ; implicit-def: $sgpr10
	s_and_saveexec_b64 s[8:9], s[12:13]
; %bb.3434:
	s_mov_b32 s10, 0x7f800001
	s_xor_b64 s[4:5], exec, -1
; %bb.3435:
	s_or_b64 exec, exec, s[8:9]
	s_and_b64 s[4:5], s[4:5], exec
	s_or_saveexec_b64 s[6:7], s[6:7]
	v_mov_b32_e32 v10, s10
	s_xor_b64 exec, exec, s[6:7]
	s_cbranch_execz .LBB6_1386
.LBB6_3436:
	v_mov_b32_e32 v10, 0
	v_cmp_ne_u16_sdwa s[8:9], v11, v10 src0_sel:BYTE_0 src1_sel:DWORD
	s_andn2_b64 s[4:5], s[4:5], exec
	s_and_b64 s[8:9], s[8:9], exec
	s_or_b64 s[4:5], s[4:5], s[8:9]
	s_or_b64 exec, exec, s[6:7]
	s_and_saveexec_b64 s[6:7], s[4:5]
	s_cbranch_execnz .LBB6_1387
	s_branch .LBB6_1388
.LBB6_3437:
	s_movk_i32 s4, 0x80
	v_cmp_eq_u16_sdwa s[12:13], v11, s4 src0_sel:BYTE_0 src1_sel:DWORD
	s_mov_b64 s[4:5], -1
                                        ; implicit-def: $sgpr10
	s_and_saveexec_b64 s[8:9], s[12:13]
; %bb.3438:
	s_mov_b32 s10, 0x7f800001
	s_xor_b64 s[4:5], exec, -1
; %bb.3439:
	s_or_b64 exec, exec, s[8:9]
	s_and_b64 s[4:5], s[4:5], exec
	s_or_saveexec_b64 s[6:7], s[6:7]
	v_mov_b32_e32 v12, s10
	s_xor_b64 exec, exec, s[6:7]
	s_cbranch_execz .LBB6_1390
.LBB6_3440:
	v_mov_b32_e32 v12, 0
	v_cmp_ne_u16_sdwa s[8:9], v11, v12 src0_sel:BYTE_0 src1_sel:DWORD
	s_andn2_b64 s[4:5], s[4:5], exec
	s_and_b64 s[8:9], s[8:9], exec
	s_or_b64 s[4:5], s[4:5], s[8:9]
	s_or_b64 exec, exec, s[6:7]
	s_and_saveexec_b64 s[6:7], s[4:5]
	s_cbranch_execnz .LBB6_1391
	s_branch .LBB6_1392
.LBB6_3441:
	s_movk_i32 s4, 0x80
	v_cmp_eq_u16_e32 vcc, s4, v11
	s_mov_b64 s[4:5], -1
                                        ; implicit-def: $sgpr10
	s_and_saveexec_b64 s[8:9], vcc
; %bb.3442:
	s_mov_b32 s10, 0x7f800001
	s_xor_b64 s[4:5], exec, -1
; %bb.3443:
	s_or_b64 exec, exec, s[8:9]
	s_and_b64 s[4:5], s[4:5], exec
                                        ; implicit-def: $vgpr11
	s_or_saveexec_b64 s[6:7], s[6:7]
	v_mov_b32_e32 v10, s10
	s_xor_b64 exec, exec, s[6:7]
	s_cbranch_execz .LBB6_1394
.LBB6_3444:
	v_cmp_ne_u16_e32 vcc, 0, v11
	s_andn2_b64 s[4:5], s[4:5], exec
	s_and_b64 s[8:9], vcc, exec
	v_mov_b32_e32 v10, 0
	s_or_b64 s[4:5], s[4:5], s[8:9]
	s_or_b64 exec, exec, s[6:7]
	s_and_saveexec_b64 s[6:7], s[4:5]
	s_cbranch_execnz .LBB6_1395
	s_branch .LBB6_1396
.LBB6_3445:
	s_movk_i32 s4, 0x80
	v_cmp_eq_u16_e32 vcc, s4, v11
	s_mov_b64 s[4:5], -1
                                        ; implicit-def: $sgpr10
	s_and_saveexec_b64 s[8:9], vcc
; %bb.3446:
	s_mov_b32 s10, 0x7f800001
	s_xor_b64 s[4:5], exec, -1
; %bb.3447:
	s_or_b64 exec, exec, s[8:9]
	s_and_b64 s[4:5], s[4:5], exec
                                        ; implicit-def: $vgpr11
	s_or_saveexec_b64 s[6:7], s[6:7]
	v_mov_b32_e32 v12, s10
	s_xor_b64 exec, exec, s[6:7]
	s_cbranch_execz .LBB6_1398
.LBB6_3448:
	v_cmp_ne_u16_e32 vcc, 0, v11
	s_andn2_b64 s[4:5], s[4:5], exec
	s_and_b64 s[8:9], vcc, exec
	v_mov_b32_e32 v12, 0
	s_or_b64 s[4:5], s[4:5], s[8:9]
	s_or_b64 exec, exec, s[6:7]
	s_and_saveexec_b64 s[6:7], s[4:5]
	s_cbranch_execnz .LBB6_1399
	s_branch .LBB6_1400
.LBB6_3449:
	s_movk_i32 s4, 0x80
	v_cmp_eq_u16_sdwa s[12:13], v17, s4 src0_sel:BYTE_3 src1_sel:DWORD
	s_mov_b64 s[4:5], -1
                                        ; implicit-def: $sgpr10
	s_and_saveexec_b64 s[8:9], s[12:13]
; %bb.3450:
	s_mov_b32 s10, 0x7f800001
	s_xor_b64 s[4:5], exec, -1
; %bb.3451:
	s_or_b64 exec, exec, s[8:9]
	s_and_b64 s[4:5], s[4:5], exec
	s_or_saveexec_b64 s[6:7], s[6:7]
	v_mov_b32_e32 v10, s10
	s_xor_b64 exec, exec, s[6:7]
	s_cbranch_execz .LBB6_1402
.LBB6_3452:
	v_mov_b32_e32 v10, 0
	v_cmp_ne_u16_sdwa s[8:9], v17, v10 src0_sel:BYTE_3 src1_sel:DWORD
	s_andn2_b64 s[4:5], s[4:5], exec
	s_and_b64 s[8:9], s[8:9], exec
	s_or_b64 s[4:5], s[4:5], s[8:9]
	s_or_b64 exec, exec, s[6:7]
	s_and_saveexec_b64 s[6:7], s[4:5]
	s_cbranch_execnz .LBB6_1403
	s_branch .LBB6_1404
.LBB6_3453:
	s_movk_i32 s4, 0x80
	v_cmp_eq_u16_sdwa s[12:13], v13, s4 src0_sel:BYTE_3 src1_sel:DWORD
	s_mov_b64 s[4:5], -1
                                        ; implicit-def: $sgpr10
	s_and_saveexec_b64 s[8:9], s[12:13]
; %bb.3454:
	s_mov_b32 s10, 0x7f800001
	s_xor_b64 s[4:5], exec, -1
; %bb.3455:
	s_or_b64 exec, exec, s[8:9]
	s_and_b64 s[4:5], s[4:5], exec
	s_or_saveexec_b64 s[6:7], s[6:7]
	v_mov_b32_e32 v11, s10
	s_xor_b64 exec, exec, s[6:7]
	s_cbranch_execz .LBB6_1406
.LBB6_3456:
	v_mov_b32_e32 v11, 0
	v_cmp_ne_u16_sdwa s[8:9], v13, v11 src0_sel:BYTE_3 src1_sel:DWORD
	s_andn2_b64 s[4:5], s[4:5], exec
	s_and_b64 s[8:9], s[8:9], exec
	s_or_b64 s[4:5], s[4:5], s[8:9]
	s_or_b64 exec, exec, s[6:7]
	s_and_saveexec_b64 s[6:7], s[4:5]
	s_cbranch_execnz .LBB6_1407
	s_branch .LBB6_1408
.LBB6_3457:
	s_movk_i32 s4, 0x80
	v_cmp_eq_u16_sdwa s[12:13], v6, s4 src0_sel:BYTE_0 src1_sel:DWORD
	s_mov_b64 s[4:5], -1
                                        ; implicit-def: $sgpr10
	s_and_saveexec_b64 s[8:9], s[12:13]
; %bb.3458:
	s_mov_b32 s10, 0x7f800001
	s_xor_b64 s[4:5], exec, -1
; %bb.3459:
	s_or_b64 exec, exec, s[8:9]
	s_and_b64 s[4:5], s[4:5], exec
	s_or_saveexec_b64 s[6:7], s[6:7]
	v_mov_b32_e32 v10, s10
	s_xor_b64 exec, exec, s[6:7]
	s_cbranch_execz .LBB6_1410
.LBB6_3460:
	v_mov_b32_e32 v10, 0
	v_cmp_ne_u16_sdwa s[8:9], v6, v10 src0_sel:BYTE_0 src1_sel:DWORD
	s_andn2_b64 s[4:5], s[4:5], exec
	s_and_b64 s[8:9], s[8:9], exec
	s_or_b64 s[4:5], s[4:5], s[8:9]
	s_or_b64 exec, exec, s[6:7]
	s_and_saveexec_b64 s[6:7], s[4:5]
	s_cbranch_execnz .LBB6_1411
	s_branch .LBB6_1412
.LBB6_3461:
	s_movk_i32 s4, 0x80
	v_cmp_eq_u16_sdwa s[12:13], v2, s4 src0_sel:BYTE_0 src1_sel:DWORD
	s_mov_b64 s[4:5], -1
                                        ; implicit-def: $sgpr10
	s_and_saveexec_b64 s[8:9], s[12:13]
; %bb.3462:
	s_mov_b32 s10, 0x7f800001
	s_xor_b64 s[4:5], exec, -1
; %bb.3463:
	s_or_b64 exec, exec, s[8:9]
	s_and_b64 s[4:5], s[4:5], exec
	s_or_saveexec_b64 s[6:7], s[6:7]
	v_mov_b32_e32 v11, s10
	s_xor_b64 exec, exec, s[6:7]
	s_cbranch_execz .LBB6_1414
.LBB6_3464:
	v_mov_b32_e32 v11, 0
	v_cmp_ne_u16_sdwa s[8:9], v2, v11 src0_sel:BYTE_0 src1_sel:DWORD
	s_andn2_b64 s[4:5], s[4:5], exec
	s_and_b64 s[8:9], s[8:9], exec
	s_or_b64 s[4:5], s[4:5], s[8:9]
	s_or_b64 exec, exec, s[6:7]
	s_and_saveexec_b64 s[6:7], s[4:5]
	s_cbranch_execnz .LBB6_1415
	s_branch .LBB6_1416
.LBB6_3465:
	s_movk_i32 s4, 0x80
	v_cmp_eq_u16_sdwa s[12:13], v11, s4 src0_sel:BYTE_0 src1_sel:DWORD
	s_mov_b64 s[4:5], -1
                                        ; implicit-def: $sgpr10
	s_and_saveexec_b64 s[8:9], s[12:13]
; %bb.3466:
	s_mov_b32 s10, 0x7f800001
	s_xor_b64 s[4:5], exec, -1
; %bb.3467:
	s_or_b64 exec, exec, s[8:9]
	s_and_b64 s[4:5], s[4:5], exec
	s_or_saveexec_b64 s[6:7], s[6:7]
	v_mov_b32_e32 v10, s10
	s_xor_b64 exec, exec, s[6:7]
	s_cbranch_execz .LBB6_1418
.LBB6_3468:
	v_mov_b32_e32 v10, 0
	v_cmp_ne_u16_sdwa s[8:9], v11, v10 src0_sel:BYTE_0 src1_sel:DWORD
	s_andn2_b64 s[4:5], s[4:5], exec
	s_and_b64 s[8:9], s[8:9], exec
	s_or_b64 s[4:5], s[4:5], s[8:9]
	s_or_b64 exec, exec, s[6:7]
	s_and_saveexec_b64 s[6:7], s[4:5]
	s_cbranch_execnz .LBB6_1419
	s_branch .LBB6_1420
.LBB6_3469:
	s_movk_i32 s4, 0x80
	v_cmp_eq_u16_sdwa s[12:13], v11, s4 src0_sel:BYTE_0 src1_sel:DWORD
	s_mov_b64 s[4:5], -1
                                        ; implicit-def: $sgpr10
	s_and_saveexec_b64 s[8:9], s[12:13]
; %bb.3470:
	s_mov_b32 s10, 0x7f800001
	s_xor_b64 s[4:5], exec, -1
; %bb.3471:
	s_or_b64 exec, exec, s[8:9]
	s_and_b64 s[4:5], s[4:5], exec
	s_or_saveexec_b64 s[6:7], s[6:7]
	v_mov_b32_e32 v12, s10
	s_xor_b64 exec, exec, s[6:7]
	s_cbranch_execz .LBB6_1422
.LBB6_3472:
	v_mov_b32_e32 v12, 0
	v_cmp_ne_u16_sdwa s[8:9], v11, v12 src0_sel:BYTE_0 src1_sel:DWORD
	s_andn2_b64 s[4:5], s[4:5], exec
	s_and_b64 s[8:9], s[8:9], exec
	s_or_b64 s[4:5], s[4:5], s[8:9]
	s_or_b64 exec, exec, s[6:7]
	s_and_saveexec_b64 s[6:7], s[4:5]
	s_cbranch_execnz .LBB6_1423
	s_branch .LBB6_1424
.LBB6_3473:
	s_movk_i32 s4, 0x80
	v_cmp_eq_u16_e32 vcc, s4, v11
	s_mov_b64 s[4:5], -1
                                        ; implicit-def: $sgpr10
	s_and_saveexec_b64 s[8:9], vcc
; %bb.3474:
	s_mov_b32 s10, 0x7f800001
	s_xor_b64 s[4:5], exec, -1
; %bb.3475:
	s_or_b64 exec, exec, s[8:9]
	s_and_b64 s[4:5], s[4:5], exec
                                        ; implicit-def: $vgpr11
	s_or_saveexec_b64 s[6:7], s[6:7]
	v_mov_b32_e32 v10, s10
	s_xor_b64 exec, exec, s[6:7]
	s_cbranch_execz .LBB6_1426
.LBB6_3476:
	v_cmp_ne_u16_e32 vcc, 0, v11
	s_andn2_b64 s[4:5], s[4:5], exec
	s_and_b64 s[8:9], vcc, exec
	v_mov_b32_e32 v10, 0
	s_or_b64 s[4:5], s[4:5], s[8:9]
	s_or_b64 exec, exec, s[6:7]
	s_and_saveexec_b64 s[6:7], s[4:5]
	s_cbranch_execnz .LBB6_1427
	s_branch .LBB6_1428
.LBB6_3477:
	s_movk_i32 s4, 0x80
	v_cmp_eq_u16_e32 vcc, s4, v11
	s_mov_b64 s[4:5], -1
                                        ; implicit-def: $sgpr10
	s_and_saveexec_b64 s[8:9], vcc
; %bb.3478:
	s_mov_b32 s10, 0x7f800001
	s_xor_b64 s[4:5], exec, -1
; %bb.3479:
	s_or_b64 exec, exec, s[8:9]
	s_and_b64 s[4:5], s[4:5], exec
                                        ; implicit-def: $vgpr11
	s_or_saveexec_b64 s[6:7], s[6:7]
	v_mov_b32_e32 v12, s10
	s_xor_b64 exec, exec, s[6:7]
	s_cbranch_execz .LBB6_1430
.LBB6_3480:
	v_cmp_ne_u16_e32 vcc, 0, v11
	s_andn2_b64 s[4:5], s[4:5], exec
	s_and_b64 s[8:9], vcc, exec
	v_mov_b32_e32 v12, 0
	s_or_b64 s[4:5], s[4:5], s[8:9]
	s_or_b64 exec, exec, s[6:7]
	s_and_saveexec_b64 s[6:7], s[4:5]
	s_cbranch_execnz .LBB6_1431
	s_branch .LBB6_1432
.LBB6_3481:
	s_movk_i32 s4, 0x80
	v_cmp_eq_u16_sdwa s[12:13], v6, s4 src0_sel:BYTE_3 src1_sel:DWORD
	s_mov_b64 s[4:5], -1
                                        ; implicit-def: $sgpr10
	s_and_saveexec_b64 s[8:9], s[12:13]
; %bb.3482:
	s_mov_b32 s10, 0x7f800001
	s_xor_b64 s[4:5], exec, -1
; %bb.3483:
	s_or_b64 exec, exec, s[8:9]
	s_and_b64 s[4:5], s[4:5], exec
	s_or_saveexec_b64 s[6:7], s[6:7]
	v_mov_b32_e32 v10, s10
	s_xor_b64 exec, exec, s[6:7]
	s_cbranch_execz .LBB6_1434
.LBB6_3484:
	v_mov_b32_e32 v10, 0
	v_cmp_ne_u16_sdwa s[8:9], v6, v10 src0_sel:BYTE_3 src1_sel:DWORD
	s_andn2_b64 s[4:5], s[4:5], exec
	s_and_b64 s[8:9], s[8:9], exec
	s_or_b64 s[4:5], s[4:5], s[8:9]
	s_or_b64 exec, exec, s[6:7]
	s_and_saveexec_b64 s[6:7], s[4:5]
	s_cbranch_execnz .LBB6_1435
	s_branch .LBB6_1436
.LBB6_3485:
	s_movk_i32 s4, 0x80
	v_cmp_eq_u16_sdwa s[12:13], v2, s4 src0_sel:BYTE_3 src1_sel:DWORD
	s_mov_b64 s[4:5], -1
                                        ; implicit-def: $sgpr10
	s_and_saveexec_b64 s[8:9], s[12:13]
; %bb.3486:
	s_mov_b32 s10, 0x7f800001
	s_xor_b64 s[4:5], exec, -1
; %bb.3487:
	s_or_b64 exec, exec, s[8:9]
	s_and_b64 s[4:5], s[4:5], exec
	s_or_saveexec_b64 s[6:7], s[6:7]
	v_mov_b32_e32 v6, s10
	s_xor_b64 exec, exec, s[6:7]
	s_cbranch_execz .LBB6_1438
.LBB6_3488:
	v_mov_b32_e32 v6, 0
	v_cmp_ne_u16_sdwa s[8:9], v2, v6 src0_sel:BYTE_3 src1_sel:DWORD
	s_andn2_b64 s[4:5], s[4:5], exec
	s_and_b64 s[8:9], s[8:9], exec
	s_or_b64 s[4:5], s[4:5], s[8:9]
	s_or_b64 exec, exec, s[6:7]
	s_and_saveexec_b64 s[6:7], s[4:5]
	s_cbranch_execnz .LBB6_1439
	s_branch .LBB6_1440
.LBB6_3489:
	s_movk_i32 s4, 0x80
	v_cmp_eq_u16_sdwa s[12:13], v7, s4 src0_sel:BYTE_0 src1_sel:DWORD
	s_mov_b64 s[4:5], -1
                                        ; implicit-def: $sgpr10
	s_and_saveexec_b64 s[8:9], s[12:13]
; %bb.3490:
	s_mov_b32 s10, 0x7f800001
	s_xor_b64 s[4:5], exec, -1
; %bb.3491:
	s_or_b64 exec, exec, s[8:9]
	s_and_b64 s[4:5], s[4:5], exec
	s_or_saveexec_b64 s[6:7], s[6:7]
	v_mov_b32_e32 v2, s10
	s_xor_b64 exec, exec, s[6:7]
	s_cbranch_execz .LBB6_1442
.LBB6_3492:
	v_mov_b32_e32 v2, 0
	v_cmp_ne_u16_sdwa s[8:9], v7, v2 src0_sel:BYTE_0 src1_sel:DWORD
	s_andn2_b64 s[4:5], s[4:5], exec
	s_and_b64 s[8:9], s[8:9], exec
	s_or_b64 s[4:5], s[4:5], s[8:9]
	s_or_b64 exec, exec, s[6:7]
	s_and_saveexec_b64 s[6:7], s[4:5]
	s_cbranch_execnz .LBB6_1443
	s_branch .LBB6_1444
.LBB6_3493:
	s_movk_i32 s4, 0x80
	v_cmp_eq_u16_sdwa s[12:13], v3, s4 src0_sel:BYTE_0 src1_sel:DWORD
	s_mov_b64 s[4:5], -1
                                        ; implicit-def: $sgpr10
	s_and_saveexec_b64 s[8:9], s[12:13]
; %bb.3494:
	s_mov_b32 s10, 0x7f800001
	s_xor_b64 s[4:5], exec, -1
; %bb.3495:
	s_or_b64 exec, exec, s[8:9]
	s_and_b64 s[4:5], s[4:5], exec
	s_or_saveexec_b64 s[6:7], s[6:7]
	v_mov_b32_e32 v6, s10
	s_xor_b64 exec, exec, s[6:7]
	s_cbranch_execz .LBB6_1446
.LBB6_3496:
	v_mov_b32_e32 v6, 0
	v_cmp_ne_u16_sdwa s[8:9], v3, v6 src0_sel:BYTE_0 src1_sel:DWORD
	s_andn2_b64 s[4:5], s[4:5], exec
	s_and_b64 s[8:9], s[8:9], exec
	s_or_b64 s[4:5], s[4:5], s[8:9]
	s_or_b64 exec, exec, s[6:7]
	s_and_saveexec_b64 s[6:7], s[4:5]
	s_cbranch_execnz .LBB6_1447
	s_branch .LBB6_1448
.LBB6_3497:
	s_movk_i32 s4, 0x80
	v_cmp_eq_u16_sdwa s[12:13], v6, s4 src0_sel:BYTE_0 src1_sel:DWORD
	s_mov_b64 s[4:5], -1
                                        ; implicit-def: $sgpr10
	s_and_saveexec_b64 s[8:9], s[12:13]
; %bb.3498:
	s_mov_b32 s10, 0x7f800001
	s_xor_b64 s[4:5], exec, -1
; %bb.3499:
	s_or_b64 exec, exec, s[8:9]
	s_and_b64 s[4:5], s[4:5], exec
	s_or_saveexec_b64 s[6:7], s[6:7]
	v_mov_b32_e32 v2, s10
	s_xor_b64 exec, exec, s[6:7]
	s_cbranch_execz .LBB6_1450
.LBB6_3500:
	v_mov_b32_e32 v2, 0
	v_cmp_ne_u16_sdwa s[8:9], v6, v2 src0_sel:BYTE_0 src1_sel:DWORD
	s_andn2_b64 s[4:5], s[4:5], exec
	s_and_b64 s[8:9], s[8:9], exec
	s_or_b64 s[4:5], s[4:5], s[8:9]
	s_or_b64 exec, exec, s[6:7]
	s_and_saveexec_b64 s[6:7], s[4:5]
	s_cbranch_execnz .LBB6_1451
	s_branch .LBB6_1452
.LBB6_3501:
	s_movk_i32 s4, 0x80
	v_cmp_eq_u16_sdwa s[12:13], v6, s4 src0_sel:BYTE_0 src1_sel:DWORD
	s_mov_b64 s[4:5], -1
                                        ; implicit-def: $sgpr10
	s_and_saveexec_b64 s[8:9], s[12:13]
; %bb.3502:
	s_mov_b32 s10, 0x7f800001
	s_xor_b64 s[4:5], exec, -1
; %bb.3503:
	s_or_b64 exec, exec, s[8:9]
	s_and_b64 s[4:5], s[4:5], exec
	s_or_saveexec_b64 s[6:7], s[6:7]
	v_mov_b32_e32 v10, s10
	s_xor_b64 exec, exec, s[6:7]
	s_cbranch_execz .LBB6_1454
.LBB6_3504:
	v_mov_b32_e32 v10, 0
	v_cmp_ne_u16_sdwa s[8:9], v6, v10 src0_sel:BYTE_0 src1_sel:DWORD
	s_andn2_b64 s[4:5], s[4:5], exec
	s_and_b64 s[8:9], s[8:9], exec
	s_or_b64 s[4:5], s[4:5], s[8:9]
	s_or_b64 exec, exec, s[6:7]
	s_and_saveexec_b64 s[6:7], s[4:5]
	s_cbranch_execnz .LBB6_1455
	s_branch .LBB6_1456
.LBB6_3505:
	s_movk_i32 s4, 0x80
	v_cmp_eq_u16_e32 vcc, s4, v6
	s_mov_b64 s[4:5], -1
                                        ; implicit-def: $sgpr10
	s_and_saveexec_b64 s[8:9], vcc
; %bb.3506:
	s_mov_b32 s10, 0x7f800001
	s_xor_b64 s[4:5], exec, -1
; %bb.3507:
	s_or_b64 exec, exec, s[8:9]
	s_and_b64 s[4:5], s[4:5], exec
                                        ; implicit-def: $vgpr6
	s_or_saveexec_b64 s[6:7], s[6:7]
	v_mov_b32_e32 v2, s10
	s_xor_b64 exec, exec, s[6:7]
	s_cbranch_execz .LBB6_1458
.LBB6_3508:
	v_cmp_ne_u16_e32 vcc, 0, v6
	s_andn2_b64 s[4:5], s[4:5], exec
	s_and_b64 s[8:9], vcc, exec
	v_mov_b32_e32 v2, 0
	s_or_b64 s[4:5], s[4:5], s[8:9]
	s_or_b64 exec, exec, s[6:7]
	s_and_saveexec_b64 s[6:7], s[4:5]
	s_cbranch_execnz .LBB6_1459
	s_branch .LBB6_1460
.LBB6_3509:
	s_movk_i32 s4, 0x80
	v_cmp_eq_u16_e32 vcc, s4, v6
	s_mov_b64 s[4:5], -1
                                        ; implicit-def: $sgpr10
	s_and_saveexec_b64 s[8:9], vcc
; %bb.3510:
	s_mov_b32 s10, 0x7f800001
	s_xor_b64 s[4:5], exec, -1
; %bb.3511:
	s_or_b64 exec, exec, s[8:9]
	s_and_b64 s[4:5], s[4:5], exec
                                        ; implicit-def: $vgpr6
	s_or_saveexec_b64 s[6:7], s[6:7]
	v_mov_b32_e32 v10, s10
	s_xor_b64 exec, exec, s[6:7]
	s_cbranch_execz .LBB6_1462
.LBB6_3512:
	v_cmp_ne_u16_e32 vcc, 0, v6
	s_andn2_b64 s[4:5], s[4:5], exec
	s_and_b64 s[8:9], vcc, exec
	v_mov_b32_e32 v10, 0
	s_or_b64 s[4:5], s[4:5], s[8:9]
	s_or_b64 exec, exec, s[6:7]
	s_and_saveexec_b64 s[6:7], s[4:5]
	s_cbranch_execnz .LBB6_1463
	s_branch .LBB6_1464
.LBB6_3513:
	s_movk_i32 s4, 0x80
	v_cmp_eq_u16_sdwa s[12:13], v7, s4 src0_sel:BYTE_3 src1_sel:DWORD
	s_mov_b64 s[4:5], -1
                                        ; implicit-def: $sgpr10
	s_and_saveexec_b64 s[8:9], s[12:13]
; %bb.3514:
	s_mov_b32 s10, 0x7f800001
	s_xor_b64 s[4:5], exec, -1
; %bb.3515:
	s_or_b64 exec, exec, s[8:9]
	s_and_b64 s[4:5], s[4:5], exec
	s_or_saveexec_b64 s[6:7], s[6:7]
	v_mov_b32_e32 v2, s10
	s_xor_b64 exec, exec, s[6:7]
	s_cbranch_execz .LBB6_1466
.LBB6_3516:
	v_mov_b32_e32 v2, 0
	v_cmp_ne_u16_sdwa s[8:9], v7, v2 src0_sel:BYTE_3 src1_sel:DWORD
	s_andn2_b64 s[4:5], s[4:5], exec
	s_and_b64 s[8:9], s[8:9], exec
	s_or_b64 s[4:5], s[4:5], s[8:9]
	s_or_b64 exec, exec, s[6:7]
	s_and_saveexec_b64 s[6:7], s[4:5]
	s_cbranch_execnz .LBB6_1467
	s_branch .LBB6_1468
.LBB6_3517:
	s_movk_i32 s4, 0x80
	v_cmp_eq_u16_sdwa s[12:13], v3, s4 src0_sel:BYTE_3 src1_sel:DWORD
	s_mov_b64 s[4:5], -1
                                        ; implicit-def: $sgpr10
	s_and_saveexec_b64 s[8:9], s[12:13]
; %bb.3518:
	s_mov_b32 s10, 0x7f800001
	s_xor_b64 s[4:5], exec, -1
; %bb.3519:
	s_or_b64 exec, exec, s[8:9]
	s_and_b64 s[4:5], s[4:5], exec
	s_or_saveexec_b64 s[6:7], s[6:7]
	v_mov_b32_e32 v6, s10
	s_xor_b64 exec, exec, s[6:7]
	s_cbranch_execz .LBB6_1470
.LBB6_3520:
	v_mov_b32_e32 v6, 0
	v_cmp_ne_u16_sdwa s[8:9], v3, v6 src0_sel:BYTE_3 src1_sel:DWORD
	s_andn2_b64 s[4:5], s[4:5], exec
	s_and_b64 s[8:9], s[8:9], exec
	s_or_b64 s[4:5], s[4:5], s[8:9]
	s_or_b64 exec, exec, s[6:7]
	s_and_saveexec_b64 s[6:7], s[4:5]
	s_cbranch_execnz .LBB6_1471
	s_branch .LBB6_1472
.LBB6_3521:
	s_movk_i32 s4, 0x80
	v_cmp_eq_u16_sdwa s[12:13], v8, s4 src0_sel:BYTE_0 src1_sel:DWORD
	s_mov_b64 s[4:5], -1
                                        ; implicit-def: $sgpr10
	s_and_saveexec_b64 s[8:9], s[12:13]
; %bb.3522:
	s_mov_b32 s10, 0x7f800001
	s_xor_b64 s[4:5], exec, -1
; %bb.3523:
	s_or_b64 exec, exec, s[8:9]
	s_and_b64 s[4:5], s[4:5], exec
	s_or_saveexec_b64 s[6:7], s[6:7]
	v_mov_b32_e32 v2, s10
	s_xor_b64 exec, exec, s[6:7]
	s_cbranch_execz .LBB6_1474
.LBB6_3524:
	v_mov_b32_e32 v2, 0
	v_cmp_ne_u16_sdwa s[8:9], v8, v2 src0_sel:BYTE_0 src1_sel:DWORD
	s_andn2_b64 s[4:5], s[4:5], exec
	s_and_b64 s[8:9], s[8:9], exec
	s_or_b64 s[4:5], s[4:5], s[8:9]
	s_or_b64 exec, exec, s[6:7]
	s_and_saveexec_b64 s[6:7], s[4:5]
	s_cbranch_execnz .LBB6_1475
	s_branch .LBB6_1476
.LBB6_3525:
	s_movk_i32 s4, 0x80
	v_cmp_eq_u16_sdwa s[12:13], v4, s4 src0_sel:BYTE_0 src1_sel:DWORD
	s_mov_b64 s[4:5], -1
                                        ; implicit-def: $sgpr10
	s_and_saveexec_b64 s[8:9], s[12:13]
; %bb.3526:
	s_mov_b32 s10, 0x7f800001
	s_xor_b64 s[4:5], exec, -1
; %bb.3527:
	s_or_b64 exec, exec, s[8:9]
	s_and_b64 s[4:5], s[4:5], exec
	s_or_saveexec_b64 s[6:7], s[6:7]
	v_mov_b32_e32 v3, s10
	s_xor_b64 exec, exec, s[6:7]
	s_cbranch_execz .LBB6_1478
.LBB6_3528:
	v_mov_b32_e32 v3, 0
	v_cmp_ne_u16_sdwa s[8:9], v4, v3 src0_sel:BYTE_0 src1_sel:DWORD
	s_andn2_b64 s[4:5], s[4:5], exec
	s_and_b64 s[8:9], s[8:9], exec
	s_or_b64 s[4:5], s[4:5], s[8:9]
	s_or_b64 exec, exec, s[6:7]
	s_and_saveexec_b64 s[6:7], s[4:5]
	s_cbranch_execnz .LBB6_1479
	s_branch .LBB6_1480
.LBB6_3529:
	s_movk_i32 s4, 0x80
	v_cmp_eq_u16_sdwa s[12:13], v3, s4 src0_sel:BYTE_0 src1_sel:DWORD
	s_mov_b64 s[4:5], -1
                                        ; implicit-def: $sgpr10
	s_and_saveexec_b64 s[8:9], s[12:13]
; %bb.3530:
	s_mov_b32 s10, 0x7f800001
	s_xor_b64 s[4:5], exec, -1
; %bb.3531:
	s_or_b64 exec, exec, s[8:9]
	s_and_b64 s[4:5], s[4:5], exec
	s_or_saveexec_b64 s[6:7], s[6:7]
	v_mov_b32_e32 v2, s10
	s_xor_b64 exec, exec, s[6:7]
	s_cbranch_execz .LBB6_1482
.LBB6_3532:
	v_mov_b32_e32 v2, 0
	v_cmp_ne_u16_sdwa s[8:9], v3, v2 src0_sel:BYTE_0 src1_sel:DWORD
	s_andn2_b64 s[4:5], s[4:5], exec
	s_and_b64 s[8:9], s[8:9], exec
	s_or_b64 s[4:5], s[4:5], s[8:9]
	s_or_b64 exec, exec, s[6:7]
	s_and_saveexec_b64 s[6:7], s[4:5]
	s_cbranch_execnz .LBB6_1483
	s_branch .LBB6_1484
.LBB6_3533:
	s_movk_i32 s4, 0x80
	v_cmp_eq_u16_sdwa s[12:13], v3, s4 src0_sel:BYTE_0 src1_sel:DWORD
	s_mov_b64 s[4:5], -1
                                        ; implicit-def: $sgpr10
	s_and_saveexec_b64 s[8:9], s[12:13]
; %bb.3534:
	s_mov_b32 s10, 0x7f800001
	s_xor_b64 s[4:5], exec, -1
; %bb.3535:
	s_or_b64 exec, exec, s[8:9]
	s_and_b64 s[4:5], s[4:5], exec
	s_or_saveexec_b64 s[6:7], s[6:7]
	v_mov_b32_e32 v6, s10
	s_xor_b64 exec, exec, s[6:7]
	s_cbranch_execz .LBB6_1486
.LBB6_3536:
	v_mov_b32_e32 v6, 0
	v_cmp_ne_u16_sdwa s[8:9], v3, v6 src0_sel:BYTE_0 src1_sel:DWORD
	s_andn2_b64 s[4:5], s[4:5], exec
	s_and_b64 s[8:9], s[8:9], exec
	s_or_b64 s[4:5], s[4:5], s[8:9]
	s_or_b64 exec, exec, s[6:7]
	s_and_saveexec_b64 s[6:7], s[4:5]
	s_cbranch_execnz .LBB6_1487
	s_branch .LBB6_1488
.LBB6_3537:
	s_movk_i32 s4, 0x80
	v_cmp_eq_u16_e32 vcc, s4, v3
	s_mov_b64 s[4:5], -1
                                        ; implicit-def: $sgpr10
	s_and_saveexec_b64 s[8:9], vcc
; %bb.3538:
	s_mov_b32 s10, 0x7f800001
	s_xor_b64 s[4:5], exec, -1
; %bb.3539:
	s_or_b64 exec, exec, s[8:9]
	s_and_b64 s[4:5], s[4:5], exec
                                        ; implicit-def: $vgpr3
	s_or_saveexec_b64 s[6:7], s[6:7]
	v_mov_b32_e32 v2, s10
	s_xor_b64 exec, exec, s[6:7]
	s_cbranch_execz .LBB6_1490
.LBB6_3540:
	v_cmp_ne_u16_e32 vcc, 0, v3
	s_andn2_b64 s[4:5], s[4:5], exec
	s_and_b64 s[8:9], vcc, exec
	v_mov_b32_e32 v2, 0
	s_or_b64 s[4:5], s[4:5], s[8:9]
	s_or_b64 exec, exec, s[6:7]
	s_and_saveexec_b64 s[6:7], s[4:5]
	s_cbranch_execnz .LBB6_1491
	s_branch .LBB6_1492
.LBB6_3541:
	s_movk_i32 s4, 0x80
	v_cmp_eq_u16_e32 vcc, s4, v3
	s_mov_b64 s[4:5], -1
                                        ; implicit-def: $sgpr10
	s_and_saveexec_b64 s[8:9], vcc
; %bb.3542:
	s_mov_b32 s10, 0x7f800001
	s_xor_b64 s[4:5], exec, -1
; %bb.3543:
	s_or_b64 exec, exec, s[8:9]
	s_and_b64 s[4:5], s[4:5], exec
                                        ; implicit-def: $vgpr3
	s_or_saveexec_b64 s[6:7], s[6:7]
	v_mov_b32_e32 v6, s10
	s_xor_b64 exec, exec, s[6:7]
	s_cbranch_execz .LBB6_1494
.LBB6_3544:
	v_cmp_ne_u16_e32 vcc, 0, v3
	s_andn2_b64 s[4:5], s[4:5], exec
	s_and_b64 s[8:9], vcc, exec
	v_mov_b32_e32 v6, 0
	s_or_b64 s[4:5], s[4:5], s[8:9]
	s_or_b64 exec, exec, s[6:7]
	s_and_saveexec_b64 s[6:7], s[4:5]
	s_cbranch_execnz .LBB6_1495
	s_branch .LBB6_1496
.LBB6_3545:
	s_movk_i32 s4, 0x80
	v_cmp_eq_u16_sdwa s[12:13], v8, s4 src0_sel:BYTE_3 src1_sel:DWORD
	s_mov_b64 s[4:5], -1
                                        ; implicit-def: $sgpr10
	s_and_saveexec_b64 s[8:9], s[12:13]
; %bb.3546:
	s_mov_b32 s10, 0x7f800001
	s_xor_b64 s[4:5], exec, -1
; %bb.3547:
	s_or_b64 exec, exec, s[8:9]
	s_and_b64 s[4:5], s[4:5], exec
	s_or_saveexec_b64 s[6:7], s[6:7]
	v_mov_b32_e32 v2, s10
	s_xor_b64 exec, exec, s[6:7]
	s_cbranch_execz .LBB6_1498
.LBB6_3548:
	v_mov_b32_e32 v2, 0
	v_cmp_ne_u16_sdwa s[8:9], v8, v2 src0_sel:BYTE_3 src1_sel:DWORD
	s_andn2_b64 s[4:5], s[4:5], exec
	s_and_b64 s[8:9], s[8:9], exec
	s_or_b64 s[4:5], s[4:5], s[8:9]
	s_or_b64 exec, exec, s[6:7]
	s_and_saveexec_b64 s[6:7], s[4:5]
	s_cbranch_execnz .LBB6_1499
	s_branch .LBB6_1500
.LBB6_3549:
	s_movk_i32 s4, 0x80
	v_cmp_eq_u16_sdwa s[12:13], v4, s4 src0_sel:BYTE_3 src1_sel:DWORD
	s_mov_b64 s[4:5], -1
                                        ; implicit-def: $sgpr10
	s_and_saveexec_b64 s[8:9], s[12:13]
; %bb.3550:
	s_mov_b32 s10, 0x7f800001
	s_xor_b64 s[4:5], exec, -1
; %bb.3551:
	s_or_b64 exec, exec, s[8:9]
	s_and_b64 s[4:5], s[4:5], exec
	s_or_saveexec_b64 s[6:7], s[6:7]
	v_mov_b32_e32 v3, s10
	s_xor_b64 exec, exec, s[6:7]
	s_cbranch_execz .LBB6_1502
.LBB6_3552:
	v_mov_b32_e32 v3, 0
	v_cmp_ne_u16_sdwa s[8:9], v4, v3 src0_sel:BYTE_3 src1_sel:DWORD
	s_andn2_b64 s[4:5], s[4:5], exec
	s_and_b64 s[8:9], s[8:9], exec
	s_or_b64 s[4:5], s[4:5], s[8:9]
	s_or_b64 exec, exec, s[6:7]
	s_and_saveexec_b64 s[6:7], s[4:5]
	s_cbranch_execnz .LBB6_1503
	s_branch .LBB6_1504
.LBB6_3553:
	s_movk_i32 s4, 0x80
	v_cmp_eq_u16_sdwa s[12:13], v9, s4 src0_sel:BYTE_0 src1_sel:DWORD
	s_mov_b64 s[4:5], -1
                                        ; implicit-def: $sgpr10
	s_and_saveexec_b64 s[8:9], s[12:13]
; %bb.3554:
	s_mov_b32 s10, 0x7f800001
	s_xor_b64 s[4:5], exec, -1
; %bb.3555:
	s_or_b64 exec, exec, s[8:9]
	s_and_b64 s[4:5], s[4:5], exec
	s_or_saveexec_b64 s[6:7], s[6:7]
	v_mov_b32_e32 v2, s10
	s_xor_b64 exec, exec, s[6:7]
	s_cbranch_execz .LBB6_1506
.LBB6_3556:
	v_mov_b32_e32 v2, 0
	v_cmp_ne_u16_sdwa s[8:9], v9, v2 src0_sel:BYTE_0 src1_sel:DWORD
	s_andn2_b64 s[4:5], s[4:5], exec
	s_and_b64 s[8:9], s[8:9], exec
	s_or_b64 s[4:5], s[4:5], s[8:9]
	s_or_b64 exec, exec, s[6:7]
	s_and_saveexec_b64 s[6:7], s[4:5]
	s_cbranch_execnz .LBB6_1507
	s_branch .LBB6_1508
.LBB6_3557:
	s_movk_i32 s4, 0x80
	v_cmp_eq_u16_sdwa s[12:13], v5, s4 src0_sel:BYTE_0 src1_sel:DWORD
	s_mov_b64 s[4:5], -1
                                        ; implicit-def: $sgpr10
	s_and_saveexec_b64 s[8:9], s[12:13]
; %bb.3558:
	s_mov_b32 s10, 0x7f800001
	s_xor_b64 s[4:5], exec, -1
; %bb.3559:
	s_or_b64 exec, exec, s[8:9]
	s_and_b64 s[4:5], s[4:5], exec
	s_or_saveexec_b64 s[6:7], s[6:7]
	v_mov_b32_e32 v3, s10
	s_xor_b64 exec, exec, s[6:7]
	s_cbranch_execz .LBB6_1510
.LBB6_3560:
	v_mov_b32_e32 v3, 0
	v_cmp_ne_u16_sdwa s[8:9], v5, v3 src0_sel:BYTE_0 src1_sel:DWORD
	s_andn2_b64 s[4:5], s[4:5], exec
	s_and_b64 s[8:9], s[8:9], exec
	s_or_b64 s[4:5], s[4:5], s[8:9]
	s_or_b64 exec, exec, s[6:7]
	s_and_saveexec_b64 s[6:7], s[4:5]
	s_cbranch_execnz .LBB6_1511
	s_branch .LBB6_1512
.LBB6_3561:
	s_movk_i32 s4, 0x80
	v_cmp_eq_u16_sdwa s[12:13], v3, s4 src0_sel:BYTE_0 src1_sel:DWORD
	s_mov_b64 s[4:5], -1
                                        ; implicit-def: $sgpr10
	s_and_saveexec_b64 s[8:9], s[12:13]
; %bb.3562:
	s_mov_b32 s10, 0x7f800001
	s_xor_b64 s[4:5], exec, -1
; %bb.3563:
	s_or_b64 exec, exec, s[8:9]
	s_and_b64 s[4:5], s[4:5], exec
	s_or_saveexec_b64 s[6:7], s[6:7]
	v_mov_b32_e32 v2, s10
	s_xor_b64 exec, exec, s[6:7]
	s_cbranch_execz .LBB6_1514
.LBB6_3564:
	v_mov_b32_e32 v2, 0
	v_cmp_ne_u16_sdwa s[8:9], v3, v2 src0_sel:BYTE_0 src1_sel:DWORD
	s_andn2_b64 s[4:5], s[4:5], exec
	s_and_b64 s[8:9], s[8:9], exec
	s_or_b64 s[4:5], s[4:5], s[8:9]
	s_or_b64 exec, exec, s[6:7]
	s_and_saveexec_b64 s[6:7], s[4:5]
	s_cbranch_execnz .LBB6_1515
	s_branch .LBB6_1516
.LBB6_3565:
	s_movk_i32 s4, 0x80
	v_cmp_eq_u16_sdwa s[12:13], v3, s4 src0_sel:BYTE_0 src1_sel:DWORD
	s_mov_b64 s[4:5], -1
                                        ; implicit-def: $sgpr10
	s_and_saveexec_b64 s[8:9], s[12:13]
; %bb.3566:
	s_mov_b32 s10, 0x7f800001
	s_xor_b64 s[4:5], exec, -1
; %bb.3567:
	s_or_b64 exec, exec, s[8:9]
	s_and_b64 s[4:5], s[4:5], exec
	s_or_saveexec_b64 s[6:7], s[6:7]
	v_mov_b32_e32 v4, s10
	s_xor_b64 exec, exec, s[6:7]
	s_cbranch_execz .LBB6_1518
.LBB6_3568:
	v_mov_b32_e32 v4, 0
	v_cmp_ne_u16_sdwa s[8:9], v3, v4 src0_sel:BYTE_0 src1_sel:DWORD
	s_andn2_b64 s[4:5], s[4:5], exec
	s_and_b64 s[8:9], s[8:9], exec
	s_or_b64 s[4:5], s[4:5], s[8:9]
	s_or_b64 exec, exec, s[6:7]
	s_and_saveexec_b64 s[6:7], s[4:5]
	s_cbranch_execnz .LBB6_1519
	s_branch .LBB6_1520
.LBB6_3569:
	s_movk_i32 s4, 0x80
	v_cmp_eq_u16_e32 vcc, s4, v3
	s_mov_b64 s[4:5], -1
                                        ; implicit-def: $sgpr10
	s_and_saveexec_b64 s[8:9], vcc
; %bb.3570:
	s_mov_b32 s10, 0x7f800001
	s_xor_b64 s[4:5], exec, -1
; %bb.3571:
	s_or_b64 exec, exec, s[8:9]
	s_and_b64 s[4:5], s[4:5], exec
                                        ; implicit-def: $vgpr3
	s_or_saveexec_b64 s[6:7], s[6:7]
	v_mov_b32_e32 v2, s10
	s_xor_b64 exec, exec, s[6:7]
	s_cbranch_execz .LBB6_1522
.LBB6_3572:
	v_cmp_ne_u16_e32 vcc, 0, v3
	s_andn2_b64 s[4:5], s[4:5], exec
	s_and_b64 s[8:9], vcc, exec
	v_mov_b32_e32 v2, 0
	s_or_b64 s[4:5], s[4:5], s[8:9]
	s_or_b64 exec, exec, s[6:7]
	s_and_saveexec_b64 s[6:7], s[4:5]
	s_cbranch_execnz .LBB6_1523
	s_branch .LBB6_1524
.LBB6_3573:
	s_movk_i32 s4, 0x80
	v_cmp_eq_u16_e32 vcc, s4, v3
	s_mov_b64 s[4:5], -1
                                        ; implicit-def: $sgpr10
	s_and_saveexec_b64 s[8:9], vcc
; %bb.3574:
	s_mov_b32 s10, 0x7f800001
	s_xor_b64 s[4:5], exec, -1
; %bb.3575:
	s_or_b64 exec, exec, s[8:9]
	s_and_b64 s[4:5], s[4:5], exec
                                        ; implicit-def: $vgpr3
	s_or_saveexec_b64 s[6:7], s[6:7]
	v_mov_b32_e32 v4, s10
	s_xor_b64 exec, exec, s[6:7]
	s_cbranch_execz .LBB6_1526
.LBB6_3576:
	v_cmp_ne_u16_e32 vcc, 0, v3
	s_andn2_b64 s[4:5], s[4:5], exec
	s_and_b64 s[8:9], vcc, exec
	v_mov_b32_e32 v4, 0
	s_or_b64 s[4:5], s[4:5], s[8:9]
	s_or_b64 exec, exec, s[6:7]
	s_and_saveexec_b64 s[6:7], s[4:5]
	s_cbranch_execnz .LBB6_1527
	s_branch .LBB6_1528
.LBB6_3577:
	s_movk_i32 s4, 0x80
	v_cmp_eq_u16_sdwa s[12:13], v9, s4 src0_sel:BYTE_3 src1_sel:DWORD
	s_mov_b64 s[4:5], -1
                                        ; implicit-def: $sgpr10
	s_and_saveexec_b64 s[8:9], s[12:13]
; %bb.3578:
	s_mov_b32 s10, 0x7f800001
	s_xor_b64 s[4:5], exec, -1
; %bb.3579:
	s_or_b64 exec, exec, s[8:9]
	s_and_b64 s[4:5], s[4:5], exec
	s_or_saveexec_b64 s[6:7], s[6:7]
	v_mov_b32_e32 v2, s10
	s_xor_b64 exec, exec, s[6:7]
	s_cbranch_execz .LBB6_1530
.LBB6_3580:
	v_mov_b32_e32 v2, 0
	v_cmp_ne_u16_sdwa s[8:9], v9, v2 src0_sel:BYTE_3 src1_sel:DWORD
	s_andn2_b64 s[4:5], s[4:5], exec
	s_and_b64 s[8:9], s[8:9], exec
	s_or_b64 s[4:5], s[4:5], s[8:9]
	s_or_b64 exec, exec, s[6:7]
	s_and_saveexec_b64 s[6:7], s[4:5]
	s_cbranch_execnz .LBB6_1531
	s_branch .LBB6_1532
.LBB6_3581:
	s_movk_i32 s4, 0x80
	v_cmp_eq_u16_sdwa s[12:13], v5, s4 src0_sel:BYTE_3 src1_sel:DWORD
	s_mov_b64 s[4:5], -1
                                        ; implicit-def: $sgpr10
	s_and_saveexec_b64 s[8:9], s[12:13]
; %bb.3582:
	s_mov_b32 s10, 0x7f800001
	s_xor_b64 s[4:5], exec, -1
; %bb.3583:
	s_or_b64 exec, exec, s[8:9]
	s_and_b64 s[4:5], s[4:5], exec
	s_or_saveexec_b64 s[6:7], s[6:7]
	v_mov_b32_e32 v3, s10
	s_xor_b64 exec, exec, s[6:7]
	s_cbranch_execz .LBB6_1534
.LBB6_3584:
	v_mov_b32_e32 v3, 0
	v_cmp_ne_u16_sdwa s[8:9], v5, v3 src0_sel:BYTE_3 src1_sel:DWORD
	s_andn2_b64 s[4:5], s[4:5], exec
	s_and_b64 s[8:9], s[8:9], exec
	s_or_b64 s[4:5], s[4:5], s[8:9]
	s_or_b64 exec, exec, s[6:7]
	s_and_saveexec_b64 s[6:7], s[4:5]
	s_cbranch_execnz .LBB6_1535
	s_branch .LBB6_1536
.LBB6_3585:
	s_movk_i32 s4, 0x80
	v_cmp_eq_u16_sdwa s[12:13], v14, s4 src0_sel:BYTE_0 src1_sel:DWORD
	s_mov_b64 s[4:5], -1
                                        ; implicit-def: $sgpr10
	s_and_saveexec_b64 s[8:9], s[12:13]
; %bb.3586:
	s_mov_b32 s10, 0x7f800001
	s_xor_b64 s[4:5], exec, -1
; %bb.3587:
	s_or_b64 exec, exec, s[8:9]
	s_and_b64 s[4:5], s[4:5], exec
	s_or_saveexec_b64 s[6:7], s[6:7]
	v_mov_b32_e32 v20, s10
	s_xor_b64 exec, exec, s[6:7]
	s_cbranch_execz .LBB6_1538
.LBB6_3588:
	v_mov_b32_e32 v20, 0
	v_cmp_ne_u16_sdwa s[8:9], v14, v20 src0_sel:BYTE_0 src1_sel:DWORD
	s_andn2_b64 s[4:5], s[4:5], exec
	s_and_b64 s[8:9], s[8:9], exec
	s_or_b64 s[4:5], s[4:5], s[8:9]
	s_or_b64 exec, exec, s[6:7]
	s_and_saveexec_b64 s[6:7], s[4:5]
	s_cbranch_execnz .LBB6_1539
	s_branch .LBB6_1540
.LBB6_3589:
	s_movk_i32 s4, 0x80
	v_cmp_eq_u16_sdwa s[12:13], v10, s4 src0_sel:BYTE_0 src1_sel:DWORD
	s_mov_b64 s[4:5], -1
                                        ; implicit-def: $sgpr10
	s_and_saveexec_b64 s[8:9], s[12:13]
; %bb.3590:
	s_mov_b32 s10, 0x7f800001
	s_xor_b64 s[4:5], exec, -1
; %bb.3591:
	s_or_b64 exec, exec, s[8:9]
	s_and_b64 s[4:5], s[4:5], exec
	s_or_saveexec_b64 s[6:7], s[6:7]
	v_mov_b32_e32 v21, s10
	s_xor_b64 exec, exec, s[6:7]
	s_cbranch_execz .LBB6_1542
.LBB6_3592:
	v_mov_b32_e32 v21, 0
	v_cmp_ne_u16_sdwa s[8:9], v10, v21 src0_sel:BYTE_0 src1_sel:DWORD
	s_andn2_b64 s[4:5], s[4:5], exec
	s_and_b64 s[8:9], s[8:9], exec
	s_or_b64 s[4:5], s[4:5], s[8:9]
	s_or_b64 exec, exec, s[6:7]
	s_and_saveexec_b64 s[6:7], s[4:5]
	s_cbranch_execnz .LBB6_1543
	s_branch .LBB6_1544
.LBB6_3593:
	s_movk_i32 s4, 0x80
	v_cmp_eq_u16_sdwa s[12:13], v21, s4 src0_sel:BYTE_0 src1_sel:DWORD
	s_mov_b64 s[4:5], -1
                                        ; implicit-def: $sgpr10
	s_and_saveexec_b64 s[8:9], s[12:13]
; %bb.3594:
	s_mov_b32 s10, 0x7f800001
	s_xor_b64 s[4:5], exec, -1
; %bb.3595:
	s_or_b64 exec, exec, s[8:9]
	s_and_b64 s[4:5], s[4:5], exec
	s_or_saveexec_b64 s[6:7], s[6:7]
	v_mov_b32_e32 v20, s10
	s_xor_b64 exec, exec, s[6:7]
	s_cbranch_execz .LBB6_1546
.LBB6_3596:
	v_mov_b32_e32 v20, 0
	v_cmp_ne_u16_sdwa s[8:9], v21, v20 src0_sel:BYTE_0 src1_sel:DWORD
	s_andn2_b64 s[4:5], s[4:5], exec
	s_and_b64 s[8:9], s[8:9], exec
	s_or_b64 s[4:5], s[4:5], s[8:9]
	s_or_b64 exec, exec, s[6:7]
	s_and_saveexec_b64 s[6:7], s[4:5]
	s_cbranch_execnz .LBB6_1547
	s_branch .LBB6_1548
.LBB6_3597:
	s_movk_i32 s4, 0x80
	v_cmp_eq_u16_sdwa s[12:13], v21, s4 src0_sel:BYTE_0 src1_sel:DWORD
	s_mov_b64 s[4:5], -1
                                        ; implicit-def: $sgpr10
	s_and_saveexec_b64 s[8:9], s[12:13]
; %bb.3598:
	s_mov_b32 s10, 0x7f800001
	s_xor_b64 s[4:5], exec, -1
; %bb.3599:
	s_or_b64 exec, exec, s[8:9]
	s_and_b64 s[4:5], s[4:5], exec
	s_or_saveexec_b64 s[6:7], s[6:7]
	v_mov_b32_e32 v22, s10
	s_xor_b64 exec, exec, s[6:7]
	s_cbranch_execz .LBB6_1550
.LBB6_3600:
	v_mov_b32_e32 v22, 0
	v_cmp_ne_u16_sdwa s[8:9], v21, v22 src0_sel:BYTE_0 src1_sel:DWORD
	s_andn2_b64 s[4:5], s[4:5], exec
	s_and_b64 s[8:9], s[8:9], exec
	s_or_b64 s[4:5], s[4:5], s[8:9]
	s_or_b64 exec, exec, s[6:7]
	s_and_saveexec_b64 s[6:7], s[4:5]
	s_cbranch_execnz .LBB6_1551
	s_branch .LBB6_1552
.LBB6_3601:
	s_movk_i32 s4, 0x80
	v_cmp_eq_u16_e32 vcc, s4, v21
	s_mov_b64 s[4:5], -1
                                        ; implicit-def: $sgpr10
	s_and_saveexec_b64 s[8:9], vcc
; %bb.3602:
	s_mov_b32 s10, 0x7f800001
	s_xor_b64 s[4:5], exec, -1
; %bb.3603:
	s_or_b64 exec, exec, s[8:9]
	s_and_b64 s[4:5], s[4:5], exec
                                        ; implicit-def: $vgpr21
	s_or_saveexec_b64 s[6:7], s[6:7]
	v_mov_b32_e32 v20, s10
	s_xor_b64 exec, exec, s[6:7]
	s_cbranch_execz .LBB6_1554
.LBB6_3604:
	v_cmp_ne_u16_e32 vcc, 0, v21
	s_andn2_b64 s[4:5], s[4:5], exec
	s_and_b64 s[8:9], vcc, exec
	v_mov_b32_e32 v20, 0
	s_or_b64 s[4:5], s[4:5], s[8:9]
	s_or_b64 exec, exec, s[6:7]
	s_and_saveexec_b64 s[6:7], s[4:5]
	s_cbranch_execnz .LBB6_1555
	s_branch .LBB6_1556
.LBB6_3605:
	s_movk_i32 s4, 0x80
	v_cmp_eq_u16_e32 vcc, s4, v21
	s_mov_b64 s[4:5], -1
                                        ; implicit-def: $sgpr10
	s_and_saveexec_b64 s[8:9], vcc
; %bb.3606:
	s_mov_b32 s10, 0x7f800001
	s_xor_b64 s[4:5], exec, -1
; %bb.3607:
	s_or_b64 exec, exec, s[8:9]
	s_and_b64 s[4:5], s[4:5], exec
                                        ; implicit-def: $vgpr21
	s_or_saveexec_b64 s[6:7], s[6:7]
	v_mov_b32_e32 v22, s10
	s_xor_b64 exec, exec, s[6:7]
	s_cbranch_execz .LBB6_1558
.LBB6_3608:
	v_cmp_ne_u16_e32 vcc, 0, v21
	s_andn2_b64 s[4:5], s[4:5], exec
	s_and_b64 s[8:9], vcc, exec
	v_mov_b32_e32 v22, 0
	s_or_b64 s[4:5], s[4:5], s[8:9]
	s_or_b64 exec, exec, s[6:7]
	s_and_saveexec_b64 s[6:7], s[4:5]
	s_cbranch_execnz .LBB6_1559
	s_branch .LBB6_1560
.LBB6_3609:
	s_movk_i32 s4, 0x80
	v_cmp_eq_u16_sdwa s[12:13], v14, s4 src0_sel:BYTE_3 src1_sel:DWORD
	s_mov_b64 s[4:5], -1
                                        ; implicit-def: $sgpr10
	s_and_saveexec_b64 s[8:9], s[12:13]
; %bb.3610:
	s_mov_b32 s10, 0x7f800001
	s_xor_b64 s[4:5], exec, -1
; %bb.3611:
	s_or_b64 exec, exec, s[8:9]
	s_and_b64 s[4:5], s[4:5], exec
	s_or_saveexec_b64 s[6:7], s[6:7]
	v_mov_b32_e32 v20, s10
	s_xor_b64 exec, exec, s[6:7]
	s_cbranch_execz .LBB6_1562
.LBB6_3612:
	v_mov_b32_e32 v20, 0
	v_cmp_ne_u16_sdwa s[8:9], v14, v20 src0_sel:BYTE_3 src1_sel:DWORD
	s_andn2_b64 s[4:5], s[4:5], exec
	s_and_b64 s[8:9], s[8:9], exec
	s_or_b64 s[4:5], s[4:5], s[8:9]
	s_or_b64 exec, exec, s[6:7]
	s_and_saveexec_b64 s[6:7], s[4:5]
	s_cbranch_execnz .LBB6_1563
	s_branch .LBB6_1564
.LBB6_3613:
	s_movk_i32 s4, 0x80
	v_cmp_eq_u16_sdwa s[12:13], v10, s4 src0_sel:BYTE_3 src1_sel:DWORD
	s_mov_b64 s[4:5], -1
                                        ; implicit-def: $sgpr10
	s_and_saveexec_b64 s[8:9], s[12:13]
; %bb.3614:
	s_mov_b32 s10, 0x7f800001
	s_xor_b64 s[4:5], exec, -1
; %bb.3615:
	s_or_b64 exec, exec, s[8:9]
	s_and_b64 s[4:5], s[4:5], exec
	s_or_saveexec_b64 s[6:7], s[6:7]
	v_mov_b32_e32 v14, s10
	s_xor_b64 exec, exec, s[6:7]
	s_cbranch_execz .LBB6_1566
.LBB6_3616:
	v_mov_b32_e32 v14, 0
	v_cmp_ne_u16_sdwa s[8:9], v10, v14 src0_sel:BYTE_3 src1_sel:DWORD
	s_andn2_b64 s[4:5], s[4:5], exec
	s_and_b64 s[8:9], s[8:9], exec
	s_or_b64 s[4:5], s[4:5], s[8:9]
	s_or_b64 exec, exec, s[6:7]
	s_and_saveexec_b64 s[6:7], s[4:5]
	s_cbranch_execnz .LBB6_1567
	s_branch .LBB6_1568
.LBB6_3617:
	s_movk_i32 s4, 0x80
	v_cmp_eq_u16_sdwa s[12:13], v15, s4 src0_sel:BYTE_0 src1_sel:DWORD
	s_mov_b64 s[4:5], -1
                                        ; implicit-def: $sgpr10
	s_and_saveexec_b64 s[8:9], s[12:13]
; %bb.3618:
	s_mov_b32 s10, 0x7f800001
	s_xor_b64 s[4:5], exec, -1
; %bb.3619:
	s_or_b64 exec, exec, s[8:9]
	s_and_b64 s[4:5], s[4:5], exec
	s_or_saveexec_b64 s[6:7], s[6:7]
	v_mov_b32_e32 v10, s10
	s_xor_b64 exec, exec, s[6:7]
	s_cbranch_execz .LBB6_1570
.LBB6_3620:
	v_mov_b32_e32 v10, 0
	v_cmp_ne_u16_sdwa s[8:9], v15, v10 src0_sel:BYTE_0 src1_sel:DWORD
	s_andn2_b64 s[4:5], s[4:5], exec
	s_and_b64 s[8:9], s[8:9], exec
	s_or_b64 s[4:5], s[4:5], s[8:9]
	s_or_b64 exec, exec, s[6:7]
	s_and_saveexec_b64 s[6:7], s[4:5]
	s_cbranch_execnz .LBB6_1571
	s_branch .LBB6_1572
.LBB6_3621:
	s_movk_i32 s4, 0x80
	v_cmp_eq_u16_sdwa s[12:13], v11, s4 src0_sel:BYTE_0 src1_sel:DWORD
	s_mov_b64 s[4:5], -1
                                        ; implicit-def: $sgpr10
	s_and_saveexec_b64 s[8:9], s[12:13]
; %bb.3622:
	s_mov_b32 s10, 0x7f800001
	s_xor_b64 s[4:5], exec, -1
; %bb.3623:
	s_or_b64 exec, exec, s[8:9]
	s_and_b64 s[4:5], s[4:5], exec
	s_or_saveexec_b64 s[6:7], s[6:7]
	v_mov_b32_e32 v14, s10
	s_xor_b64 exec, exec, s[6:7]
	s_cbranch_execz .LBB6_1574
.LBB6_3624:
	v_mov_b32_e32 v14, 0
	v_cmp_ne_u16_sdwa s[8:9], v11, v14 src0_sel:BYTE_0 src1_sel:DWORD
	s_andn2_b64 s[4:5], s[4:5], exec
	s_and_b64 s[8:9], s[8:9], exec
	s_or_b64 s[4:5], s[4:5], s[8:9]
	s_or_b64 exec, exec, s[6:7]
	s_and_saveexec_b64 s[6:7], s[4:5]
	s_cbranch_execnz .LBB6_1575
	s_branch .LBB6_1576
.LBB6_3625:
	s_movk_i32 s4, 0x80
	v_cmp_eq_u16_sdwa s[12:13], v14, s4 src0_sel:BYTE_0 src1_sel:DWORD
	s_mov_b64 s[4:5], -1
                                        ; implicit-def: $sgpr10
	s_and_saveexec_b64 s[8:9], s[12:13]
; %bb.3626:
	s_mov_b32 s10, 0x7f800001
	s_xor_b64 s[4:5], exec, -1
; %bb.3627:
	s_or_b64 exec, exec, s[8:9]
	s_and_b64 s[4:5], s[4:5], exec
	s_or_saveexec_b64 s[6:7], s[6:7]
	v_mov_b32_e32 v10, s10
	s_xor_b64 exec, exec, s[6:7]
	s_cbranch_execz .LBB6_1578
.LBB6_3628:
	v_mov_b32_e32 v10, 0
	v_cmp_ne_u16_sdwa s[8:9], v14, v10 src0_sel:BYTE_0 src1_sel:DWORD
	s_andn2_b64 s[4:5], s[4:5], exec
	s_and_b64 s[8:9], s[8:9], exec
	s_or_b64 s[4:5], s[4:5], s[8:9]
	s_or_b64 exec, exec, s[6:7]
	s_and_saveexec_b64 s[6:7], s[4:5]
	s_cbranch_execnz .LBB6_1579
	s_branch .LBB6_1580
.LBB6_3629:
	s_movk_i32 s4, 0x80
	v_cmp_eq_u16_sdwa s[12:13], v14, s4 src0_sel:BYTE_0 src1_sel:DWORD
	s_mov_b64 s[4:5], -1
                                        ; implicit-def: $sgpr10
	s_and_saveexec_b64 s[8:9], s[12:13]
; %bb.3630:
	s_mov_b32 s10, 0x7f800001
	s_xor_b64 s[4:5], exec, -1
; %bb.3631:
	s_or_b64 exec, exec, s[8:9]
	s_and_b64 s[4:5], s[4:5], exec
	s_or_saveexec_b64 s[6:7], s[6:7]
	v_mov_b32_e32 v20, s10
	s_xor_b64 exec, exec, s[6:7]
	s_cbranch_execz .LBB6_1582
.LBB6_3632:
	v_mov_b32_e32 v20, 0
	v_cmp_ne_u16_sdwa s[8:9], v14, v20 src0_sel:BYTE_0 src1_sel:DWORD
	s_andn2_b64 s[4:5], s[4:5], exec
	s_and_b64 s[8:9], s[8:9], exec
	s_or_b64 s[4:5], s[4:5], s[8:9]
	s_or_b64 exec, exec, s[6:7]
	s_and_saveexec_b64 s[6:7], s[4:5]
	s_cbranch_execnz .LBB6_1583
	s_branch .LBB6_1584
.LBB6_3633:
	s_movk_i32 s4, 0x80
	v_cmp_eq_u16_e32 vcc, s4, v14
	s_mov_b64 s[4:5], -1
                                        ; implicit-def: $sgpr10
	s_and_saveexec_b64 s[8:9], vcc
; %bb.3634:
	s_mov_b32 s10, 0x7f800001
	s_xor_b64 s[4:5], exec, -1
; %bb.3635:
	s_or_b64 exec, exec, s[8:9]
	s_and_b64 s[4:5], s[4:5], exec
                                        ; implicit-def: $vgpr14
	s_or_saveexec_b64 s[6:7], s[6:7]
	v_mov_b32_e32 v10, s10
	s_xor_b64 exec, exec, s[6:7]
	s_cbranch_execz .LBB6_1586
.LBB6_3636:
	v_cmp_ne_u16_e32 vcc, 0, v14
	s_andn2_b64 s[4:5], s[4:5], exec
	s_and_b64 s[8:9], vcc, exec
	v_mov_b32_e32 v10, 0
	s_or_b64 s[4:5], s[4:5], s[8:9]
	s_or_b64 exec, exec, s[6:7]
	s_and_saveexec_b64 s[6:7], s[4:5]
	s_cbranch_execnz .LBB6_1587
	s_branch .LBB6_1588
.LBB6_3637:
	s_movk_i32 s4, 0x80
	v_cmp_eq_u16_e32 vcc, s4, v14
	s_mov_b64 s[4:5], -1
                                        ; implicit-def: $sgpr10
	s_and_saveexec_b64 s[8:9], vcc
; %bb.3638:
	s_mov_b32 s10, 0x7f800001
	s_xor_b64 s[4:5], exec, -1
; %bb.3639:
	s_or_b64 exec, exec, s[8:9]
	s_and_b64 s[4:5], s[4:5], exec
                                        ; implicit-def: $vgpr14
	s_or_saveexec_b64 s[6:7], s[6:7]
	v_mov_b32_e32 v20, s10
	s_xor_b64 exec, exec, s[6:7]
	s_cbranch_execz .LBB6_1590
.LBB6_3640:
	v_cmp_ne_u16_e32 vcc, 0, v14
	s_andn2_b64 s[4:5], s[4:5], exec
	s_and_b64 s[8:9], vcc, exec
	v_mov_b32_e32 v20, 0
	s_or_b64 s[4:5], s[4:5], s[8:9]
	s_or_b64 exec, exec, s[6:7]
	s_and_saveexec_b64 s[6:7], s[4:5]
	s_cbranch_execnz .LBB6_1591
	s_branch .LBB6_1592
.LBB6_3641:
	s_movk_i32 s4, 0x80
	v_cmp_eq_u16_sdwa s[12:13], v15, s4 src0_sel:BYTE_3 src1_sel:DWORD
	s_mov_b64 s[4:5], -1
                                        ; implicit-def: $sgpr10
	s_and_saveexec_b64 s[8:9], s[12:13]
; %bb.3642:
	s_mov_b32 s10, 0x7f800001
	s_xor_b64 s[4:5], exec, -1
; %bb.3643:
	s_or_b64 exec, exec, s[8:9]
	s_and_b64 s[4:5], s[4:5], exec
	s_or_saveexec_b64 s[6:7], s[6:7]
	v_mov_b32_e32 v10, s10
	s_xor_b64 exec, exec, s[6:7]
	s_cbranch_execz .LBB6_1594
.LBB6_3644:
	v_mov_b32_e32 v10, 0
	v_cmp_ne_u16_sdwa s[8:9], v15, v10 src0_sel:BYTE_3 src1_sel:DWORD
	s_andn2_b64 s[4:5], s[4:5], exec
	s_and_b64 s[8:9], s[8:9], exec
	s_or_b64 s[4:5], s[4:5], s[8:9]
	s_or_b64 exec, exec, s[6:7]
	s_and_saveexec_b64 s[6:7], s[4:5]
	s_cbranch_execnz .LBB6_1595
	s_branch .LBB6_1596
.LBB6_3645:
	s_movk_i32 s4, 0x80
	v_cmp_eq_u16_sdwa s[12:13], v11, s4 src0_sel:BYTE_3 src1_sel:DWORD
	s_mov_b64 s[4:5], -1
                                        ; implicit-def: $sgpr10
	s_and_saveexec_b64 s[8:9], s[12:13]
; %bb.3646:
	s_mov_b32 s10, 0x7f800001
	s_xor_b64 s[4:5], exec, -1
; %bb.3647:
	s_or_b64 exec, exec, s[8:9]
	s_and_b64 s[4:5], s[4:5], exec
	s_or_saveexec_b64 s[6:7], s[6:7]
	v_mov_b32_e32 v14, s10
	s_xor_b64 exec, exec, s[6:7]
	s_cbranch_execz .LBB6_1598
.LBB6_3648:
	v_mov_b32_e32 v14, 0
	v_cmp_ne_u16_sdwa s[8:9], v11, v14 src0_sel:BYTE_3 src1_sel:DWORD
	s_andn2_b64 s[4:5], s[4:5], exec
	s_and_b64 s[8:9], s[8:9], exec
	s_or_b64 s[4:5], s[4:5], s[8:9]
	s_or_b64 exec, exec, s[6:7]
	s_and_saveexec_b64 s[6:7], s[4:5]
	s_cbranch_execnz .LBB6_1599
	s_branch .LBB6_1600
.LBB6_3649:
	s_movk_i32 s4, 0x80
	v_cmp_eq_u16_sdwa s[12:13], v16, s4 src0_sel:BYTE_0 src1_sel:DWORD
	s_mov_b64 s[4:5], -1
                                        ; implicit-def: $sgpr10
	s_and_saveexec_b64 s[8:9], s[12:13]
; %bb.3650:
	s_mov_b32 s10, 0x7f800001
	s_xor_b64 s[4:5], exec, -1
; %bb.3651:
	s_or_b64 exec, exec, s[8:9]
	s_and_b64 s[4:5], s[4:5], exec
	s_or_saveexec_b64 s[6:7], s[6:7]
	v_mov_b32_e32 v10, s10
	s_xor_b64 exec, exec, s[6:7]
	s_cbranch_execz .LBB6_1602
.LBB6_3652:
	v_mov_b32_e32 v10, 0
	v_cmp_ne_u16_sdwa s[8:9], v16, v10 src0_sel:BYTE_0 src1_sel:DWORD
	s_andn2_b64 s[4:5], s[4:5], exec
	s_and_b64 s[8:9], s[8:9], exec
	s_or_b64 s[4:5], s[4:5], s[8:9]
	s_or_b64 exec, exec, s[6:7]
	s_and_saveexec_b64 s[6:7], s[4:5]
	s_cbranch_execnz .LBB6_1603
	s_branch .LBB6_1604
.LBB6_3653:
	s_movk_i32 s4, 0x80
	v_cmp_eq_u16_sdwa s[12:13], v12, s4 src0_sel:BYTE_0 src1_sel:DWORD
	s_mov_b64 s[4:5], -1
                                        ; implicit-def: $sgpr10
	s_and_saveexec_b64 s[8:9], s[12:13]
; %bb.3654:
	s_mov_b32 s10, 0x7f800001
	s_xor_b64 s[4:5], exec, -1
; %bb.3655:
	s_or_b64 exec, exec, s[8:9]
	s_and_b64 s[4:5], s[4:5], exec
	s_or_saveexec_b64 s[6:7], s[6:7]
	v_mov_b32_e32 v11, s10
	s_xor_b64 exec, exec, s[6:7]
	s_cbranch_execz .LBB6_1606
.LBB6_3656:
	v_mov_b32_e32 v11, 0
	v_cmp_ne_u16_sdwa s[8:9], v12, v11 src0_sel:BYTE_0 src1_sel:DWORD
	s_andn2_b64 s[4:5], s[4:5], exec
	s_and_b64 s[8:9], s[8:9], exec
	s_or_b64 s[4:5], s[4:5], s[8:9]
	s_or_b64 exec, exec, s[6:7]
	s_and_saveexec_b64 s[6:7], s[4:5]
	s_cbranch_execnz .LBB6_1607
	s_branch .LBB6_1608
.LBB6_3657:
	s_movk_i32 s4, 0x80
	v_cmp_eq_u16_sdwa s[12:13], v11, s4 src0_sel:BYTE_0 src1_sel:DWORD
	s_mov_b64 s[4:5], -1
                                        ; implicit-def: $sgpr10
	s_and_saveexec_b64 s[8:9], s[12:13]
; %bb.3658:
	s_mov_b32 s10, 0x7f800001
	s_xor_b64 s[4:5], exec, -1
; %bb.3659:
	s_or_b64 exec, exec, s[8:9]
	s_and_b64 s[4:5], s[4:5], exec
	s_or_saveexec_b64 s[6:7], s[6:7]
	v_mov_b32_e32 v10, s10
	s_xor_b64 exec, exec, s[6:7]
	s_cbranch_execz .LBB6_1610
.LBB6_3660:
	v_mov_b32_e32 v10, 0
	v_cmp_ne_u16_sdwa s[8:9], v11, v10 src0_sel:BYTE_0 src1_sel:DWORD
	s_andn2_b64 s[4:5], s[4:5], exec
	s_and_b64 s[8:9], s[8:9], exec
	s_or_b64 s[4:5], s[4:5], s[8:9]
	s_or_b64 exec, exec, s[6:7]
	s_and_saveexec_b64 s[6:7], s[4:5]
	s_cbranch_execnz .LBB6_1611
	s_branch .LBB6_1612
.LBB6_3661:
	s_movk_i32 s4, 0x80
	v_cmp_eq_u16_sdwa s[12:13], v11, s4 src0_sel:BYTE_0 src1_sel:DWORD
	s_mov_b64 s[4:5], -1
                                        ; implicit-def: $sgpr10
	s_and_saveexec_b64 s[8:9], s[12:13]
; %bb.3662:
	s_mov_b32 s10, 0x7f800001
	s_xor_b64 s[4:5], exec, -1
; %bb.3663:
	s_or_b64 exec, exec, s[8:9]
	s_and_b64 s[4:5], s[4:5], exec
	s_or_saveexec_b64 s[6:7], s[6:7]
	v_mov_b32_e32 v14, s10
	s_xor_b64 exec, exec, s[6:7]
	s_cbranch_execz .LBB6_1614
.LBB6_3664:
	v_mov_b32_e32 v14, 0
	v_cmp_ne_u16_sdwa s[8:9], v11, v14 src0_sel:BYTE_0 src1_sel:DWORD
	s_andn2_b64 s[4:5], s[4:5], exec
	s_and_b64 s[8:9], s[8:9], exec
	s_or_b64 s[4:5], s[4:5], s[8:9]
	s_or_b64 exec, exec, s[6:7]
	s_and_saveexec_b64 s[6:7], s[4:5]
	s_cbranch_execnz .LBB6_1615
	s_branch .LBB6_1616
.LBB6_3665:
	s_movk_i32 s4, 0x80
	v_cmp_eq_u16_e32 vcc, s4, v11
	s_mov_b64 s[4:5], -1
                                        ; implicit-def: $sgpr10
	s_and_saveexec_b64 s[8:9], vcc
; %bb.3666:
	s_mov_b32 s10, 0x7f800001
	s_xor_b64 s[4:5], exec, -1
; %bb.3667:
	s_or_b64 exec, exec, s[8:9]
	s_and_b64 s[4:5], s[4:5], exec
                                        ; implicit-def: $vgpr11
	s_or_saveexec_b64 s[6:7], s[6:7]
	v_mov_b32_e32 v10, s10
	s_xor_b64 exec, exec, s[6:7]
	s_cbranch_execz .LBB6_1618
.LBB6_3668:
	v_cmp_ne_u16_e32 vcc, 0, v11
	s_andn2_b64 s[4:5], s[4:5], exec
	s_and_b64 s[8:9], vcc, exec
	v_mov_b32_e32 v10, 0
	s_or_b64 s[4:5], s[4:5], s[8:9]
	s_or_b64 exec, exec, s[6:7]
	s_and_saveexec_b64 s[6:7], s[4:5]
	s_cbranch_execnz .LBB6_1619
	s_branch .LBB6_1620
.LBB6_3669:
	s_movk_i32 s4, 0x80
	v_cmp_eq_u16_e32 vcc, s4, v11
	s_mov_b64 s[4:5], -1
                                        ; implicit-def: $sgpr10
	s_and_saveexec_b64 s[8:9], vcc
; %bb.3670:
	s_mov_b32 s10, 0x7f800001
	s_xor_b64 s[4:5], exec, -1
; %bb.3671:
	s_or_b64 exec, exec, s[8:9]
	s_and_b64 s[4:5], s[4:5], exec
                                        ; implicit-def: $vgpr11
	s_or_saveexec_b64 s[6:7], s[6:7]
	v_mov_b32_e32 v14, s10
	s_xor_b64 exec, exec, s[6:7]
	s_cbranch_execz .LBB6_1622
.LBB6_3672:
	v_cmp_ne_u16_e32 vcc, 0, v11
	s_andn2_b64 s[4:5], s[4:5], exec
	s_and_b64 s[8:9], vcc, exec
	v_mov_b32_e32 v14, 0
	s_or_b64 s[4:5], s[4:5], s[8:9]
	s_or_b64 exec, exec, s[6:7]
	s_and_saveexec_b64 s[6:7], s[4:5]
	s_cbranch_execnz .LBB6_1623
	s_branch .LBB6_1624
.LBB6_3673:
	s_movk_i32 s4, 0x80
	v_cmp_eq_u16_sdwa s[12:13], v16, s4 src0_sel:BYTE_3 src1_sel:DWORD
	s_mov_b64 s[4:5], -1
                                        ; implicit-def: $sgpr10
	s_and_saveexec_b64 s[8:9], s[12:13]
; %bb.3674:
	s_mov_b32 s10, 0x7f800001
	s_xor_b64 s[4:5], exec, -1
; %bb.3675:
	s_or_b64 exec, exec, s[8:9]
	s_and_b64 s[4:5], s[4:5], exec
	s_or_saveexec_b64 s[6:7], s[6:7]
	v_mov_b32_e32 v10, s10
	s_xor_b64 exec, exec, s[6:7]
	s_cbranch_execz .LBB6_1626
.LBB6_3676:
	v_mov_b32_e32 v10, 0
	v_cmp_ne_u16_sdwa s[8:9], v16, v10 src0_sel:BYTE_3 src1_sel:DWORD
	s_andn2_b64 s[4:5], s[4:5], exec
	s_and_b64 s[8:9], s[8:9], exec
	s_or_b64 s[4:5], s[4:5], s[8:9]
	s_or_b64 exec, exec, s[6:7]
	s_and_saveexec_b64 s[6:7], s[4:5]
	s_cbranch_execnz .LBB6_1627
	s_branch .LBB6_1628
.LBB6_3677:
	s_movk_i32 s4, 0x80
	v_cmp_eq_u16_sdwa s[12:13], v12, s4 src0_sel:BYTE_3 src1_sel:DWORD
	s_mov_b64 s[4:5], -1
                                        ; implicit-def: $sgpr10
	s_and_saveexec_b64 s[8:9], s[12:13]
; %bb.3678:
	s_mov_b32 s10, 0x7f800001
	s_xor_b64 s[4:5], exec, -1
; %bb.3679:
	s_or_b64 exec, exec, s[8:9]
	s_and_b64 s[4:5], s[4:5], exec
	s_or_saveexec_b64 s[6:7], s[6:7]
	v_mov_b32_e32 v11, s10
	s_xor_b64 exec, exec, s[6:7]
	s_cbranch_execz .LBB6_1630
.LBB6_3680:
	v_mov_b32_e32 v11, 0
	v_cmp_ne_u16_sdwa s[8:9], v12, v11 src0_sel:BYTE_3 src1_sel:DWORD
	s_andn2_b64 s[4:5], s[4:5], exec
	s_and_b64 s[8:9], s[8:9], exec
	s_or_b64 s[4:5], s[4:5], s[8:9]
	s_or_b64 exec, exec, s[6:7]
	s_and_saveexec_b64 s[6:7], s[4:5]
	s_cbranch_execnz .LBB6_1631
	s_branch .LBB6_1632
.LBB6_3681:
	s_movk_i32 s4, 0x80
	v_cmp_eq_u16_sdwa s[12:13], v17, s4 src0_sel:BYTE_0 src1_sel:DWORD
	s_mov_b64 s[4:5], -1
                                        ; implicit-def: $sgpr10
	s_and_saveexec_b64 s[8:9], s[12:13]
; %bb.3682:
	s_mov_b32 s10, 0x7f800001
	s_xor_b64 s[4:5], exec, -1
; %bb.3683:
	s_or_b64 exec, exec, s[8:9]
	s_and_b64 s[4:5], s[4:5], exec
	s_or_saveexec_b64 s[6:7], s[6:7]
	v_mov_b32_e32 v10, s10
	s_xor_b64 exec, exec, s[6:7]
	s_cbranch_execz .LBB6_1634
.LBB6_3684:
	v_mov_b32_e32 v10, 0
	v_cmp_ne_u16_sdwa s[8:9], v17, v10 src0_sel:BYTE_0 src1_sel:DWORD
	s_andn2_b64 s[4:5], s[4:5], exec
	s_and_b64 s[8:9], s[8:9], exec
	s_or_b64 s[4:5], s[4:5], s[8:9]
	s_or_b64 exec, exec, s[6:7]
	s_and_saveexec_b64 s[6:7], s[4:5]
	s_cbranch_execnz .LBB6_1635
	s_branch .LBB6_1636
.LBB6_3685:
	s_movk_i32 s4, 0x80
	v_cmp_eq_u16_sdwa s[12:13], v13, s4 src0_sel:BYTE_0 src1_sel:DWORD
	s_mov_b64 s[4:5], -1
                                        ; implicit-def: $sgpr10
	s_and_saveexec_b64 s[8:9], s[12:13]
; %bb.3686:
	s_mov_b32 s10, 0x7f800001
	s_xor_b64 s[4:5], exec, -1
; %bb.3687:
	s_or_b64 exec, exec, s[8:9]
	s_and_b64 s[4:5], s[4:5], exec
	s_or_saveexec_b64 s[6:7], s[6:7]
	v_mov_b32_e32 v11, s10
	s_xor_b64 exec, exec, s[6:7]
	s_cbranch_execz .LBB6_1638
.LBB6_3688:
	v_mov_b32_e32 v11, 0
	v_cmp_ne_u16_sdwa s[8:9], v13, v11 src0_sel:BYTE_0 src1_sel:DWORD
	s_andn2_b64 s[4:5], s[4:5], exec
	s_and_b64 s[8:9], s[8:9], exec
	s_or_b64 s[4:5], s[4:5], s[8:9]
	s_or_b64 exec, exec, s[6:7]
	s_and_saveexec_b64 s[6:7], s[4:5]
	s_cbranch_execnz .LBB6_1639
	s_branch .LBB6_1640
.LBB6_3689:
	s_movk_i32 s4, 0x80
	v_cmp_eq_u16_sdwa s[12:13], v11, s4 src0_sel:BYTE_0 src1_sel:DWORD
	s_mov_b64 s[4:5], -1
                                        ; implicit-def: $sgpr10
	s_and_saveexec_b64 s[8:9], s[12:13]
; %bb.3690:
	s_mov_b32 s10, 0x7f800001
	s_xor_b64 s[4:5], exec, -1
; %bb.3691:
	s_or_b64 exec, exec, s[8:9]
	s_and_b64 s[4:5], s[4:5], exec
	s_or_saveexec_b64 s[6:7], s[6:7]
	v_mov_b32_e32 v10, s10
	s_xor_b64 exec, exec, s[6:7]
	s_cbranch_execz .LBB6_1642
.LBB6_3692:
	v_mov_b32_e32 v10, 0
	v_cmp_ne_u16_sdwa s[8:9], v11, v10 src0_sel:BYTE_0 src1_sel:DWORD
	s_andn2_b64 s[4:5], s[4:5], exec
	s_and_b64 s[8:9], s[8:9], exec
	s_or_b64 s[4:5], s[4:5], s[8:9]
	s_or_b64 exec, exec, s[6:7]
	s_and_saveexec_b64 s[6:7], s[4:5]
	s_cbranch_execnz .LBB6_1643
	s_branch .LBB6_1644
.LBB6_3693:
	s_movk_i32 s4, 0x80
	v_cmp_eq_u16_sdwa s[12:13], v11, s4 src0_sel:BYTE_0 src1_sel:DWORD
	s_mov_b64 s[4:5], -1
                                        ; implicit-def: $sgpr10
	s_and_saveexec_b64 s[8:9], s[12:13]
; %bb.3694:
	s_mov_b32 s10, 0x7f800001
	s_xor_b64 s[4:5], exec, -1
; %bb.3695:
	s_or_b64 exec, exec, s[8:9]
	s_and_b64 s[4:5], s[4:5], exec
	s_or_saveexec_b64 s[6:7], s[6:7]
	v_mov_b32_e32 v12, s10
	s_xor_b64 exec, exec, s[6:7]
	s_cbranch_execz .LBB6_1646
.LBB6_3696:
	v_mov_b32_e32 v12, 0
	v_cmp_ne_u16_sdwa s[8:9], v11, v12 src0_sel:BYTE_0 src1_sel:DWORD
	s_andn2_b64 s[4:5], s[4:5], exec
	s_and_b64 s[8:9], s[8:9], exec
	s_or_b64 s[4:5], s[4:5], s[8:9]
	s_or_b64 exec, exec, s[6:7]
	s_and_saveexec_b64 s[6:7], s[4:5]
	s_cbranch_execnz .LBB6_1647
	s_branch .LBB6_1648
.LBB6_3697:
	s_movk_i32 s4, 0x80
	v_cmp_eq_u16_e32 vcc, s4, v11
	s_mov_b64 s[4:5], -1
                                        ; implicit-def: $sgpr10
	s_and_saveexec_b64 s[8:9], vcc
; %bb.3698:
	s_mov_b32 s10, 0x7f800001
	s_xor_b64 s[4:5], exec, -1
; %bb.3699:
	s_or_b64 exec, exec, s[8:9]
	s_and_b64 s[4:5], s[4:5], exec
                                        ; implicit-def: $vgpr11
	s_or_saveexec_b64 s[6:7], s[6:7]
	v_mov_b32_e32 v10, s10
	s_xor_b64 exec, exec, s[6:7]
	s_cbranch_execz .LBB6_1650
.LBB6_3700:
	v_cmp_ne_u16_e32 vcc, 0, v11
	s_andn2_b64 s[4:5], s[4:5], exec
	s_and_b64 s[8:9], vcc, exec
	v_mov_b32_e32 v10, 0
	s_or_b64 s[4:5], s[4:5], s[8:9]
	s_or_b64 exec, exec, s[6:7]
	s_and_saveexec_b64 s[6:7], s[4:5]
	s_cbranch_execnz .LBB6_1651
	s_branch .LBB6_1652
.LBB6_3701:
	s_movk_i32 s4, 0x80
	v_cmp_eq_u16_e32 vcc, s4, v11
	s_mov_b64 s[4:5], -1
                                        ; implicit-def: $sgpr10
	s_and_saveexec_b64 s[8:9], vcc
; %bb.3702:
	s_mov_b32 s10, 0x7f800001
	s_xor_b64 s[4:5], exec, -1
; %bb.3703:
	s_or_b64 exec, exec, s[8:9]
	s_and_b64 s[4:5], s[4:5], exec
                                        ; implicit-def: $vgpr11
	s_or_saveexec_b64 s[6:7], s[6:7]
	v_mov_b32_e32 v12, s10
	s_xor_b64 exec, exec, s[6:7]
	s_cbranch_execz .LBB6_1654
.LBB6_3704:
	v_cmp_ne_u16_e32 vcc, 0, v11
	s_andn2_b64 s[4:5], s[4:5], exec
	s_and_b64 s[8:9], vcc, exec
	v_mov_b32_e32 v12, 0
	s_or_b64 s[4:5], s[4:5], s[8:9]
	s_or_b64 exec, exec, s[6:7]
	s_and_saveexec_b64 s[6:7], s[4:5]
	s_cbranch_execnz .LBB6_1655
	s_branch .LBB6_1656
.LBB6_3705:
	s_movk_i32 s4, 0x80
	v_cmp_eq_u16_sdwa s[12:13], v17, s4 src0_sel:BYTE_3 src1_sel:DWORD
	s_mov_b64 s[4:5], -1
                                        ; implicit-def: $sgpr10
	s_and_saveexec_b64 s[8:9], s[12:13]
; %bb.3706:
	s_mov_b32 s10, 0x7f800001
	s_xor_b64 s[4:5], exec, -1
; %bb.3707:
	s_or_b64 exec, exec, s[8:9]
	s_and_b64 s[4:5], s[4:5], exec
	s_or_saveexec_b64 s[6:7], s[6:7]
	v_mov_b32_e32 v10, s10
	s_xor_b64 exec, exec, s[6:7]
	s_cbranch_execz .LBB6_1658
.LBB6_3708:
	v_mov_b32_e32 v10, 0
	v_cmp_ne_u16_sdwa s[8:9], v17, v10 src0_sel:BYTE_3 src1_sel:DWORD
	s_andn2_b64 s[4:5], s[4:5], exec
	s_and_b64 s[8:9], s[8:9], exec
	s_or_b64 s[4:5], s[4:5], s[8:9]
	s_or_b64 exec, exec, s[6:7]
	s_and_saveexec_b64 s[6:7], s[4:5]
	s_cbranch_execnz .LBB6_1659
	s_branch .LBB6_1660
.LBB6_3709:
	s_movk_i32 s4, 0x80
	v_cmp_eq_u16_sdwa s[12:13], v13, s4 src0_sel:BYTE_3 src1_sel:DWORD
	s_mov_b64 s[4:5], -1
                                        ; implicit-def: $sgpr10
	s_and_saveexec_b64 s[8:9], s[12:13]
; %bb.3710:
	s_mov_b32 s10, 0x7f800001
	s_xor_b64 s[4:5], exec, -1
; %bb.3711:
	s_or_b64 exec, exec, s[8:9]
	s_and_b64 s[4:5], s[4:5], exec
	s_or_saveexec_b64 s[6:7], s[6:7]
	v_mov_b32_e32 v11, s10
	s_xor_b64 exec, exec, s[6:7]
	s_cbranch_execz .LBB6_1662
.LBB6_3712:
	v_mov_b32_e32 v11, 0
	v_cmp_ne_u16_sdwa s[8:9], v13, v11 src0_sel:BYTE_3 src1_sel:DWORD
	s_andn2_b64 s[4:5], s[4:5], exec
	s_and_b64 s[8:9], s[8:9], exec
	s_or_b64 s[4:5], s[4:5], s[8:9]
	s_or_b64 exec, exec, s[6:7]
	s_and_saveexec_b64 s[6:7], s[4:5]
	s_cbranch_execnz .LBB6_1663
	s_branch .LBB6_1664
.LBB6_3713:
	s_movk_i32 s4, 0x80
	v_cmp_eq_u16_sdwa s[12:13], v6, s4 src0_sel:BYTE_0 src1_sel:DWORD
	s_mov_b64 s[4:5], -1
                                        ; implicit-def: $sgpr10
	s_and_saveexec_b64 s[8:9], s[12:13]
; %bb.3714:
	s_mov_b32 s10, 0x7f800001
	s_xor_b64 s[4:5], exec, -1
; %bb.3715:
	s_or_b64 exec, exec, s[8:9]
	s_and_b64 s[4:5], s[4:5], exec
	s_or_saveexec_b64 s[6:7], s[6:7]
	v_mov_b32_e32 v10, s10
	s_xor_b64 exec, exec, s[6:7]
	s_cbranch_execz .LBB6_1666
.LBB6_3716:
	v_mov_b32_e32 v10, 0
	v_cmp_ne_u16_sdwa s[8:9], v6, v10 src0_sel:BYTE_0 src1_sel:DWORD
	s_andn2_b64 s[4:5], s[4:5], exec
	s_and_b64 s[8:9], s[8:9], exec
	s_or_b64 s[4:5], s[4:5], s[8:9]
	s_or_b64 exec, exec, s[6:7]
	s_and_saveexec_b64 s[6:7], s[4:5]
	s_cbranch_execnz .LBB6_1667
	s_branch .LBB6_1668
.LBB6_3717:
	s_movk_i32 s4, 0x80
	v_cmp_eq_u16_sdwa s[12:13], v2, s4 src0_sel:BYTE_0 src1_sel:DWORD
	s_mov_b64 s[4:5], -1
                                        ; implicit-def: $sgpr10
	s_and_saveexec_b64 s[8:9], s[12:13]
; %bb.3718:
	s_mov_b32 s10, 0x7f800001
	s_xor_b64 s[4:5], exec, -1
; %bb.3719:
	s_or_b64 exec, exec, s[8:9]
	s_and_b64 s[4:5], s[4:5], exec
	s_or_saveexec_b64 s[6:7], s[6:7]
	v_mov_b32_e32 v11, s10
	s_xor_b64 exec, exec, s[6:7]
	s_cbranch_execz .LBB6_1670
.LBB6_3720:
	v_mov_b32_e32 v11, 0
	v_cmp_ne_u16_sdwa s[8:9], v2, v11 src0_sel:BYTE_0 src1_sel:DWORD
	s_andn2_b64 s[4:5], s[4:5], exec
	s_and_b64 s[8:9], s[8:9], exec
	s_or_b64 s[4:5], s[4:5], s[8:9]
	s_or_b64 exec, exec, s[6:7]
	s_and_saveexec_b64 s[6:7], s[4:5]
	s_cbranch_execnz .LBB6_1671
	s_branch .LBB6_1672
.LBB6_3721:
	s_movk_i32 s4, 0x80
	v_cmp_eq_u16_sdwa s[12:13], v11, s4 src0_sel:BYTE_0 src1_sel:DWORD
	s_mov_b64 s[4:5], -1
                                        ; implicit-def: $sgpr10
	s_and_saveexec_b64 s[8:9], s[12:13]
; %bb.3722:
	s_mov_b32 s10, 0x7f800001
	s_xor_b64 s[4:5], exec, -1
; %bb.3723:
	s_or_b64 exec, exec, s[8:9]
	s_and_b64 s[4:5], s[4:5], exec
	s_or_saveexec_b64 s[6:7], s[6:7]
	v_mov_b32_e32 v10, s10
	s_xor_b64 exec, exec, s[6:7]
	s_cbranch_execz .LBB6_1674
.LBB6_3724:
	v_mov_b32_e32 v10, 0
	v_cmp_ne_u16_sdwa s[8:9], v11, v10 src0_sel:BYTE_0 src1_sel:DWORD
	s_andn2_b64 s[4:5], s[4:5], exec
	s_and_b64 s[8:9], s[8:9], exec
	s_or_b64 s[4:5], s[4:5], s[8:9]
	s_or_b64 exec, exec, s[6:7]
	s_and_saveexec_b64 s[6:7], s[4:5]
	s_cbranch_execnz .LBB6_1675
	s_branch .LBB6_1676
.LBB6_3725:
	s_movk_i32 s4, 0x80
	v_cmp_eq_u16_sdwa s[12:13], v11, s4 src0_sel:BYTE_0 src1_sel:DWORD
	s_mov_b64 s[4:5], -1
                                        ; implicit-def: $sgpr10
	s_and_saveexec_b64 s[8:9], s[12:13]
; %bb.3726:
	s_mov_b32 s10, 0x7f800001
	s_xor_b64 s[4:5], exec, -1
; %bb.3727:
	s_or_b64 exec, exec, s[8:9]
	s_and_b64 s[4:5], s[4:5], exec
	s_or_saveexec_b64 s[6:7], s[6:7]
	v_mov_b32_e32 v12, s10
	s_xor_b64 exec, exec, s[6:7]
	s_cbranch_execz .LBB6_1678
.LBB6_3728:
	v_mov_b32_e32 v12, 0
	v_cmp_ne_u16_sdwa s[8:9], v11, v12 src0_sel:BYTE_0 src1_sel:DWORD
	s_andn2_b64 s[4:5], s[4:5], exec
	s_and_b64 s[8:9], s[8:9], exec
	s_or_b64 s[4:5], s[4:5], s[8:9]
	s_or_b64 exec, exec, s[6:7]
	s_and_saveexec_b64 s[6:7], s[4:5]
	s_cbranch_execnz .LBB6_1679
	s_branch .LBB6_1680
.LBB6_3729:
	s_movk_i32 s4, 0x80
	v_cmp_eq_u16_e32 vcc, s4, v11
	s_mov_b64 s[4:5], -1
                                        ; implicit-def: $sgpr10
	s_and_saveexec_b64 s[8:9], vcc
; %bb.3730:
	s_mov_b32 s10, 0x7f800001
	s_xor_b64 s[4:5], exec, -1
; %bb.3731:
	s_or_b64 exec, exec, s[8:9]
	s_and_b64 s[4:5], s[4:5], exec
                                        ; implicit-def: $vgpr11
	s_or_saveexec_b64 s[6:7], s[6:7]
	v_mov_b32_e32 v10, s10
	s_xor_b64 exec, exec, s[6:7]
	s_cbranch_execz .LBB6_1682
.LBB6_3732:
	v_cmp_ne_u16_e32 vcc, 0, v11
	s_andn2_b64 s[4:5], s[4:5], exec
	s_and_b64 s[8:9], vcc, exec
	v_mov_b32_e32 v10, 0
	s_or_b64 s[4:5], s[4:5], s[8:9]
	s_or_b64 exec, exec, s[6:7]
	s_and_saveexec_b64 s[6:7], s[4:5]
	s_cbranch_execnz .LBB6_1683
	s_branch .LBB6_1684
.LBB6_3733:
	s_movk_i32 s4, 0x80
	v_cmp_eq_u16_e32 vcc, s4, v11
	s_mov_b64 s[4:5], -1
                                        ; implicit-def: $sgpr10
	s_and_saveexec_b64 s[8:9], vcc
; %bb.3734:
	s_mov_b32 s10, 0x7f800001
	s_xor_b64 s[4:5], exec, -1
; %bb.3735:
	s_or_b64 exec, exec, s[8:9]
	s_and_b64 s[4:5], s[4:5], exec
                                        ; implicit-def: $vgpr11
	s_or_saveexec_b64 s[6:7], s[6:7]
	v_mov_b32_e32 v12, s10
	s_xor_b64 exec, exec, s[6:7]
	s_cbranch_execz .LBB6_1686
.LBB6_3736:
	v_cmp_ne_u16_e32 vcc, 0, v11
	s_andn2_b64 s[4:5], s[4:5], exec
	s_and_b64 s[8:9], vcc, exec
	v_mov_b32_e32 v12, 0
	s_or_b64 s[4:5], s[4:5], s[8:9]
	s_or_b64 exec, exec, s[6:7]
	s_and_saveexec_b64 s[6:7], s[4:5]
	s_cbranch_execnz .LBB6_1687
	s_branch .LBB6_1688
.LBB6_3737:
	s_movk_i32 s4, 0x80
	v_cmp_eq_u16_sdwa s[12:13], v6, s4 src0_sel:BYTE_3 src1_sel:DWORD
	s_mov_b64 s[4:5], -1
                                        ; implicit-def: $sgpr10
	s_and_saveexec_b64 s[8:9], s[12:13]
; %bb.3738:
	s_mov_b32 s10, 0x7f800001
	s_xor_b64 s[4:5], exec, -1
; %bb.3739:
	s_or_b64 exec, exec, s[8:9]
	s_and_b64 s[4:5], s[4:5], exec
	s_or_saveexec_b64 s[6:7], s[6:7]
	v_mov_b32_e32 v10, s10
	s_xor_b64 exec, exec, s[6:7]
	s_cbranch_execz .LBB6_1690
.LBB6_3740:
	v_mov_b32_e32 v10, 0
	v_cmp_ne_u16_sdwa s[8:9], v6, v10 src0_sel:BYTE_3 src1_sel:DWORD
	s_andn2_b64 s[4:5], s[4:5], exec
	s_and_b64 s[8:9], s[8:9], exec
	s_or_b64 s[4:5], s[4:5], s[8:9]
	s_or_b64 exec, exec, s[6:7]
	s_and_saveexec_b64 s[6:7], s[4:5]
	s_cbranch_execnz .LBB6_1691
	s_branch .LBB6_1692
.LBB6_3741:
	s_movk_i32 s4, 0x80
	v_cmp_eq_u16_sdwa s[12:13], v2, s4 src0_sel:BYTE_3 src1_sel:DWORD
	s_mov_b64 s[4:5], -1
                                        ; implicit-def: $sgpr10
	s_and_saveexec_b64 s[8:9], s[12:13]
; %bb.3742:
	s_mov_b32 s10, 0x7f800001
	s_xor_b64 s[4:5], exec, -1
; %bb.3743:
	s_or_b64 exec, exec, s[8:9]
	s_and_b64 s[4:5], s[4:5], exec
	s_or_saveexec_b64 s[6:7], s[6:7]
	v_mov_b32_e32 v6, s10
	s_xor_b64 exec, exec, s[6:7]
	s_cbranch_execz .LBB6_1694
.LBB6_3744:
	v_mov_b32_e32 v6, 0
	v_cmp_ne_u16_sdwa s[8:9], v2, v6 src0_sel:BYTE_3 src1_sel:DWORD
	s_andn2_b64 s[4:5], s[4:5], exec
	s_and_b64 s[8:9], s[8:9], exec
	s_or_b64 s[4:5], s[4:5], s[8:9]
	s_or_b64 exec, exec, s[6:7]
	s_and_saveexec_b64 s[6:7], s[4:5]
	s_cbranch_execnz .LBB6_1695
	s_branch .LBB6_1696
.LBB6_3745:
	s_movk_i32 s4, 0x80
	v_cmp_eq_u16_sdwa s[12:13], v7, s4 src0_sel:BYTE_0 src1_sel:DWORD
	s_mov_b64 s[4:5], -1
                                        ; implicit-def: $sgpr10
	s_and_saveexec_b64 s[8:9], s[12:13]
; %bb.3746:
	s_mov_b32 s10, 0x7f800001
	s_xor_b64 s[4:5], exec, -1
; %bb.3747:
	s_or_b64 exec, exec, s[8:9]
	s_and_b64 s[4:5], s[4:5], exec
	s_or_saveexec_b64 s[6:7], s[6:7]
	v_mov_b32_e32 v2, s10
	s_xor_b64 exec, exec, s[6:7]
	s_cbranch_execz .LBB6_1698
.LBB6_3748:
	v_mov_b32_e32 v2, 0
	v_cmp_ne_u16_sdwa s[8:9], v7, v2 src0_sel:BYTE_0 src1_sel:DWORD
	s_andn2_b64 s[4:5], s[4:5], exec
	s_and_b64 s[8:9], s[8:9], exec
	s_or_b64 s[4:5], s[4:5], s[8:9]
	s_or_b64 exec, exec, s[6:7]
	s_and_saveexec_b64 s[6:7], s[4:5]
	s_cbranch_execnz .LBB6_1699
	s_branch .LBB6_1700
.LBB6_3749:
	s_movk_i32 s4, 0x80
	v_cmp_eq_u16_sdwa s[12:13], v3, s4 src0_sel:BYTE_0 src1_sel:DWORD
	s_mov_b64 s[4:5], -1
                                        ; implicit-def: $sgpr10
	s_and_saveexec_b64 s[8:9], s[12:13]
; %bb.3750:
	s_mov_b32 s10, 0x7f800001
	s_xor_b64 s[4:5], exec, -1
; %bb.3751:
	s_or_b64 exec, exec, s[8:9]
	s_and_b64 s[4:5], s[4:5], exec
	s_or_saveexec_b64 s[6:7], s[6:7]
	v_mov_b32_e32 v6, s10
	s_xor_b64 exec, exec, s[6:7]
	s_cbranch_execz .LBB6_1702
.LBB6_3752:
	v_mov_b32_e32 v6, 0
	v_cmp_ne_u16_sdwa s[8:9], v3, v6 src0_sel:BYTE_0 src1_sel:DWORD
	s_andn2_b64 s[4:5], s[4:5], exec
	s_and_b64 s[8:9], s[8:9], exec
	s_or_b64 s[4:5], s[4:5], s[8:9]
	s_or_b64 exec, exec, s[6:7]
	s_and_saveexec_b64 s[6:7], s[4:5]
	s_cbranch_execnz .LBB6_1703
	s_branch .LBB6_1704
.LBB6_3753:
	s_movk_i32 s4, 0x80
	v_cmp_eq_u16_sdwa s[12:13], v6, s4 src0_sel:BYTE_0 src1_sel:DWORD
	s_mov_b64 s[4:5], -1
                                        ; implicit-def: $sgpr10
	s_and_saveexec_b64 s[8:9], s[12:13]
; %bb.3754:
	s_mov_b32 s10, 0x7f800001
	s_xor_b64 s[4:5], exec, -1
; %bb.3755:
	s_or_b64 exec, exec, s[8:9]
	s_and_b64 s[4:5], s[4:5], exec
	s_or_saveexec_b64 s[6:7], s[6:7]
	v_mov_b32_e32 v2, s10
	s_xor_b64 exec, exec, s[6:7]
	s_cbranch_execz .LBB6_1706
.LBB6_3756:
	v_mov_b32_e32 v2, 0
	v_cmp_ne_u16_sdwa s[8:9], v6, v2 src0_sel:BYTE_0 src1_sel:DWORD
	s_andn2_b64 s[4:5], s[4:5], exec
	s_and_b64 s[8:9], s[8:9], exec
	s_or_b64 s[4:5], s[4:5], s[8:9]
	s_or_b64 exec, exec, s[6:7]
	s_and_saveexec_b64 s[6:7], s[4:5]
	s_cbranch_execnz .LBB6_1707
	s_branch .LBB6_1708
.LBB6_3757:
	s_movk_i32 s4, 0x80
	v_cmp_eq_u16_sdwa s[12:13], v6, s4 src0_sel:BYTE_0 src1_sel:DWORD
	s_mov_b64 s[4:5], -1
                                        ; implicit-def: $sgpr10
	s_and_saveexec_b64 s[8:9], s[12:13]
; %bb.3758:
	s_mov_b32 s10, 0x7f800001
	s_xor_b64 s[4:5], exec, -1
; %bb.3759:
	s_or_b64 exec, exec, s[8:9]
	s_and_b64 s[4:5], s[4:5], exec
	s_or_saveexec_b64 s[6:7], s[6:7]
	v_mov_b32_e32 v10, s10
	s_xor_b64 exec, exec, s[6:7]
	s_cbranch_execz .LBB6_1710
.LBB6_3760:
	v_mov_b32_e32 v10, 0
	v_cmp_ne_u16_sdwa s[8:9], v6, v10 src0_sel:BYTE_0 src1_sel:DWORD
	s_andn2_b64 s[4:5], s[4:5], exec
	s_and_b64 s[8:9], s[8:9], exec
	s_or_b64 s[4:5], s[4:5], s[8:9]
	s_or_b64 exec, exec, s[6:7]
	s_and_saveexec_b64 s[6:7], s[4:5]
	s_cbranch_execnz .LBB6_1711
	s_branch .LBB6_1712
.LBB6_3761:
	s_movk_i32 s4, 0x80
	v_cmp_eq_u16_e32 vcc, s4, v6
	s_mov_b64 s[4:5], -1
                                        ; implicit-def: $sgpr10
	s_and_saveexec_b64 s[8:9], vcc
; %bb.3762:
	s_mov_b32 s10, 0x7f800001
	s_xor_b64 s[4:5], exec, -1
; %bb.3763:
	s_or_b64 exec, exec, s[8:9]
	s_and_b64 s[4:5], s[4:5], exec
                                        ; implicit-def: $vgpr6
	s_or_saveexec_b64 s[6:7], s[6:7]
	v_mov_b32_e32 v2, s10
	s_xor_b64 exec, exec, s[6:7]
	s_cbranch_execz .LBB6_1714
.LBB6_3764:
	v_cmp_ne_u16_e32 vcc, 0, v6
	s_andn2_b64 s[4:5], s[4:5], exec
	s_and_b64 s[8:9], vcc, exec
	v_mov_b32_e32 v2, 0
	s_or_b64 s[4:5], s[4:5], s[8:9]
	s_or_b64 exec, exec, s[6:7]
	s_and_saveexec_b64 s[6:7], s[4:5]
	s_cbranch_execnz .LBB6_1715
	s_branch .LBB6_1716
.LBB6_3765:
	s_movk_i32 s4, 0x80
	v_cmp_eq_u16_e32 vcc, s4, v6
	s_mov_b64 s[4:5], -1
                                        ; implicit-def: $sgpr10
	s_and_saveexec_b64 s[8:9], vcc
; %bb.3766:
	s_mov_b32 s10, 0x7f800001
	s_xor_b64 s[4:5], exec, -1
; %bb.3767:
	s_or_b64 exec, exec, s[8:9]
	s_and_b64 s[4:5], s[4:5], exec
                                        ; implicit-def: $vgpr6
	s_or_saveexec_b64 s[6:7], s[6:7]
	v_mov_b32_e32 v10, s10
	s_xor_b64 exec, exec, s[6:7]
	s_cbranch_execz .LBB6_1718
.LBB6_3768:
	v_cmp_ne_u16_e32 vcc, 0, v6
	s_andn2_b64 s[4:5], s[4:5], exec
	s_and_b64 s[8:9], vcc, exec
	v_mov_b32_e32 v10, 0
	s_or_b64 s[4:5], s[4:5], s[8:9]
	s_or_b64 exec, exec, s[6:7]
	s_and_saveexec_b64 s[6:7], s[4:5]
	s_cbranch_execnz .LBB6_1719
	s_branch .LBB6_1720
.LBB6_3769:
	s_movk_i32 s4, 0x80
	v_cmp_eq_u16_sdwa s[12:13], v7, s4 src0_sel:BYTE_3 src1_sel:DWORD
	s_mov_b64 s[4:5], -1
                                        ; implicit-def: $sgpr10
	s_and_saveexec_b64 s[8:9], s[12:13]
; %bb.3770:
	s_mov_b32 s10, 0x7f800001
	s_xor_b64 s[4:5], exec, -1
; %bb.3771:
	s_or_b64 exec, exec, s[8:9]
	s_and_b64 s[4:5], s[4:5], exec
	s_or_saveexec_b64 s[6:7], s[6:7]
	v_mov_b32_e32 v2, s10
	s_xor_b64 exec, exec, s[6:7]
	s_cbranch_execz .LBB6_1722
.LBB6_3772:
	v_mov_b32_e32 v2, 0
	v_cmp_ne_u16_sdwa s[8:9], v7, v2 src0_sel:BYTE_3 src1_sel:DWORD
	s_andn2_b64 s[4:5], s[4:5], exec
	s_and_b64 s[8:9], s[8:9], exec
	s_or_b64 s[4:5], s[4:5], s[8:9]
	s_or_b64 exec, exec, s[6:7]
	s_and_saveexec_b64 s[6:7], s[4:5]
	s_cbranch_execnz .LBB6_1723
	s_branch .LBB6_1724
.LBB6_3773:
	s_movk_i32 s4, 0x80
	v_cmp_eq_u16_sdwa s[12:13], v3, s4 src0_sel:BYTE_3 src1_sel:DWORD
	s_mov_b64 s[4:5], -1
                                        ; implicit-def: $sgpr10
	s_and_saveexec_b64 s[8:9], s[12:13]
; %bb.3774:
	s_mov_b32 s10, 0x7f800001
	s_xor_b64 s[4:5], exec, -1
; %bb.3775:
	s_or_b64 exec, exec, s[8:9]
	s_and_b64 s[4:5], s[4:5], exec
	s_or_saveexec_b64 s[6:7], s[6:7]
	v_mov_b32_e32 v6, s10
	s_xor_b64 exec, exec, s[6:7]
	s_cbranch_execz .LBB6_1726
.LBB6_3776:
	v_mov_b32_e32 v6, 0
	v_cmp_ne_u16_sdwa s[8:9], v3, v6 src0_sel:BYTE_3 src1_sel:DWORD
	s_andn2_b64 s[4:5], s[4:5], exec
	s_and_b64 s[8:9], s[8:9], exec
	s_or_b64 s[4:5], s[4:5], s[8:9]
	s_or_b64 exec, exec, s[6:7]
	s_and_saveexec_b64 s[6:7], s[4:5]
	s_cbranch_execnz .LBB6_1727
	s_branch .LBB6_1728
.LBB6_3777:
	s_movk_i32 s4, 0x80
	v_cmp_eq_u16_sdwa s[12:13], v8, s4 src0_sel:BYTE_0 src1_sel:DWORD
	s_mov_b64 s[4:5], -1
                                        ; implicit-def: $sgpr10
	s_and_saveexec_b64 s[8:9], s[12:13]
; %bb.3778:
	s_mov_b32 s10, 0x7f800001
	s_xor_b64 s[4:5], exec, -1
; %bb.3779:
	s_or_b64 exec, exec, s[8:9]
	s_and_b64 s[4:5], s[4:5], exec
	s_or_saveexec_b64 s[6:7], s[6:7]
	v_mov_b32_e32 v2, s10
	s_xor_b64 exec, exec, s[6:7]
	s_cbranch_execz .LBB6_1730
.LBB6_3780:
	v_mov_b32_e32 v2, 0
	v_cmp_ne_u16_sdwa s[8:9], v8, v2 src0_sel:BYTE_0 src1_sel:DWORD
	s_andn2_b64 s[4:5], s[4:5], exec
	s_and_b64 s[8:9], s[8:9], exec
	s_or_b64 s[4:5], s[4:5], s[8:9]
	s_or_b64 exec, exec, s[6:7]
	s_and_saveexec_b64 s[6:7], s[4:5]
	s_cbranch_execnz .LBB6_1731
	s_branch .LBB6_1732
.LBB6_3781:
	s_movk_i32 s4, 0x80
	v_cmp_eq_u16_sdwa s[12:13], v4, s4 src0_sel:BYTE_0 src1_sel:DWORD
	s_mov_b64 s[4:5], -1
                                        ; implicit-def: $sgpr10
	s_and_saveexec_b64 s[8:9], s[12:13]
; %bb.3782:
	s_mov_b32 s10, 0x7f800001
	s_xor_b64 s[4:5], exec, -1
; %bb.3783:
	s_or_b64 exec, exec, s[8:9]
	s_and_b64 s[4:5], s[4:5], exec
	s_or_saveexec_b64 s[6:7], s[6:7]
	v_mov_b32_e32 v3, s10
	s_xor_b64 exec, exec, s[6:7]
	s_cbranch_execz .LBB6_1734
.LBB6_3784:
	v_mov_b32_e32 v3, 0
	v_cmp_ne_u16_sdwa s[8:9], v4, v3 src0_sel:BYTE_0 src1_sel:DWORD
	s_andn2_b64 s[4:5], s[4:5], exec
	s_and_b64 s[8:9], s[8:9], exec
	s_or_b64 s[4:5], s[4:5], s[8:9]
	s_or_b64 exec, exec, s[6:7]
	s_and_saveexec_b64 s[6:7], s[4:5]
	s_cbranch_execnz .LBB6_1735
	s_branch .LBB6_1736
.LBB6_3785:
	s_movk_i32 s4, 0x80
	v_cmp_eq_u16_sdwa s[12:13], v3, s4 src0_sel:BYTE_0 src1_sel:DWORD
	s_mov_b64 s[4:5], -1
                                        ; implicit-def: $sgpr10
	s_and_saveexec_b64 s[8:9], s[12:13]
; %bb.3786:
	s_mov_b32 s10, 0x7f800001
	s_xor_b64 s[4:5], exec, -1
; %bb.3787:
	s_or_b64 exec, exec, s[8:9]
	s_and_b64 s[4:5], s[4:5], exec
	s_or_saveexec_b64 s[6:7], s[6:7]
	v_mov_b32_e32 v2, s10
	s_xor_b64 exec, exec, s[6:7]
	s_cbranch_execz .LBB6_1738
.LBB6_3788:
	v_mov_b32_e32 v2, 0
	v_cmp_ne_u16_sdwa s[8:9], v3, v2 src0_sel:BYTE_0 src1_sel:DWORD
	s_andn2_b64 s[4:5], s[4:5], exec
	s_and_b64 s[8:9], s[8:9], exec
	s_or_b64 s[4:5], s[4:5], s[8:9]
	s_or_b64 exec, exec, s[6:7]
	s_and_saveexec_b64 s[6:7], s[4:5]
	s_cbranch_execnz .LBB6_1739
	s_branch .LBB6_1740
.LBB6_3789:
	s_movk_i32 s4, 0x80
	v_cmp_eq_u16_sdwa s[12:13], v3, s4 src0_sel:BYTE_0 src1_sel:DWORD
	s_mov_b64 s[4:5], -1
                                        ; implicit-def: $sgpr10
	s_and_saveexec_b64 s[8:9], s[12:13]
; %bb.3790:
	s_mov_b32 s10, 0x7f800001
	s_xor_b64 s[4:5], exec, -1
; %bb.3791:
	s_or_b64 exec, exec, s[8:9]
	s_and_b64 s[4:5], s[4:5], exec
	s_or_saveexec_b64 s[6:7], s[6:7]
	v_mov_b32_e32 v6, s10
	s_xor_b64 exec, exec, s[6:7]
	s_cbranch_execz .LBB6_1742
.LBB6_3792:
	v_mov_b32_e32 v6, 0
	v_cmp_ne_u16_sdwa s[8:9], v3, v6 src0_sel:BYTE_0 src1_sel:DWORD
	s_andn2_b64 s[4:5], s[4:5], exec
	s_and_b64 s[8:9], s[8:9], exec
	s_or_b64 s[4:5], s[4:5], s[8:9]
	s_or_b64 exec, exec, s[6:7]
	s_and_saveexec_b64 s[6:7], s[4:5]
	s_cbranch_execnz .LBB6_1743
	s_branch .LBB6_1744
.LBB6_3793:
	s_movk_i32 s4, 0x80
	v_cmp_eq_u16_e32 vcc, s4, v3
	s_mov_b64 s[4:5], -1
                                        ; implicit-def: $sgpr10
	s_and_saveexec_b64 s[8:9], vcc
; %bb.3794:
	s_mov_b32 s10, 0x7f800001
	s_xor_b64 s[4:5], exec, -1
; %bb.3795:
	s_or_b64 exec, exec, s[8:9]
	s_and_b64 s[4:5], s[4:5], exec
                                        ; implicit-def: $vgpr3
	s_or_saveexec_b64 s[6:7], s[6:7]
	v_mov_b32_e32 v2, s10
	s_xor_b64 exec, exec, s[6:7]
	s_cbranch_execz .LBB6_1746
.LBB6_3796:
	v_cmp_ne_u16_e32 vcc, 0, v3
	s_andn2_b64 s[4:5], s[4:5], exec
	s_and_b64 s[8:9], vcc, exec
	v_mov_b32_e32 v2, 0
	s_or_b64 s[4:5], s[4:5], s[8:9]
	s_or_b64 exec, exec, s[6:7]
	s_and_saveexec_b64 s[6:7], s[4:5]
	s_cbranch_execnz .LBB6_1747
	s_branch .LBB6_1748
.LBB6_3797:
	s_movk_i32 s4, 0x80
	v_cmp_eq_u16_e32 vcc, s4, v3
	s_mov_b64 s[4:5], -1
                                        ; implicit-def: $sgpr10
	s_and_saveexec_b64 s[8:9], vcc
; %bb.3798:
	s_mov_b32 s10, 0x7f800001
	s_xor_b64 s[4:5], exec, -1
; %bb.3799:
	s_or_b64 exec, exec, s[8:9]
	s_and_b64 s[4:5], s[4:5], exec
                                        ; implicit-def: $vgpr3
	s_or_saveexec_b64 s[6:7], s[6:7]
	v_mov_b32_e32 v6, s10
	s_xor_b64 exec, exec, s[6:7]
	s_cbranch_execz .LBB6_1750
.LBB6_3800:
	v_cmp_ne_u16_e32 vcc, 0, v3
	s_andn2_b64 s[4:5], s[4:5], exec
	s_and_b64 s[8:9], vcc, exec
	v_mov_b32_e32 v6, 0
	s_or_b64 s[4:5], s[4:5], s[8:9]
	s_or_b64 exec, exec, s[6:7]
	s_and_saveexec_b64 s[6:7], s[4:5]
	s_cbranch_execnz .LBB6_1751
	s_branch .LBB6_1752
.LBB6_3801:
	s_movk_i32 s4, 0x80
	v_cmp_eq_u16_sdwa s[12:13], v8, s4 src0_sel:BYTE_3 src1_sel:DWORD
	s_mov_b64 s[4:5], -1
                                        ; implicit-def: $sgpr10
	s_and_saveexec_b64 s[8:9], s[12:13]
; %bb.3802:
	s_mov_b32 s10, 0x7f800001
	s_xor_b64 s[4:5], exec, -1
; %bb.3803:
	s_or_b64 exec, exec, s[8:9]
	s_and_b64 s[4:5], s[4:5], exec
	s_or_saveexec_b64 s[6:7], s[6:7]
	v_mov_b32_e32 v2, s10
	s_xor_b64 exec, exec, s[6:7]
	s_cbranch_execz .LBB6_1754
.LBB6_3804:
	v_mov_b32_e32 v2, 0
	v_cmp_ne_u16_sdwa s[8:9], v8, v2 src0_sel:BYTE_3 src1_sel:DWORD
	s_andn2_b64 s[4:5], s[4:5], exec
	s_and_b64 s[8:9], s[8:9], exec
	s_or_b64 s[4:5], s[4:5], s[8:9]
	s_or_b64 exec, exec, s[6:7]
	s_and_saveexec_b64 s[6:7], s[4:5]
	s_cbranch_execnz .LBB6_1755
	s_branch .LBB6_1756
.LBB6_3805:
	s_movk_i32 s4, 0x80
	v_cmp_eq_u16_sdwa s[12:13], v4, s4 src0_sel:BYTE_3 src1_sel:DWORD
	s_mov_b64 s[4:5], -1
                                        ; implicit-def: $sgpr10
	s_and_saveexec_b64 s[8:9], s[12:13]
; %bb.3806:
	s_mov_b32 s10, 0x7f800001
	s_xor_b64 s[4:5], exec, -1
; %bb.3807:
	s_or_b64 exec, exec, s[8:9]
	s_and_b64 s[4:5], s[4:5], exec
	s_or_saveexec_b64 s[6:7], s[6:7]
	v_mov_b32_e32 v3, s10
	s_xor_b64 exec, exec, s[6:7]
	s_cbranch_execz .LBB6_1758
.LBB6_3808:
	v_mov_b32_e32 v3, 0
	v_cmp_ne_u16_sdwa s[8:9], v4, v3 src0_sel:BYTE_3 src1_sel:DWORD
	s_andn2_b64 s[4:5], s[4:5], exec
	s_and_b64 s[8:9], s[8:9], exec
	s_or_b64 s[4:5], s[4:5], s[8:9]
	s_or_b64 exec, exec, s[6:7]
	s_and_saveexec_b64 s[6:7], s[4:5]
	s_cbranch_execnz .LBB6_1759
	s_branch .LBB6_1760
.LBB6_3809:
	s_movk_i32 s4, 0x80
	v_cmp_eq_u16_sdwa s[12:13], v9, s4 src0_sel:BYTE_0 src1_sel:DWORD
	s_mov_b64 s[4:5], -1
                                        ; implicit-def: $sgpr10
	s_and_saveexec_b64 s[8:9], s[12:13]
; %bb.3810:
	s_mov_b32 s10, 0x7f800001
	s_xor_b64 s[4:5], exec, -1
; %bb.3811:
	s_or_b64 exec, exec, s[8:9]
	s_and_b64 s[4:5], s[4:5], exec
	s_or_saveexec_b64 s[6:7], s[6:7]
	v_mov_b32_e32 v2, s10
	s_xor_b64 exec, exec, s[6:7]
	s_cbranch_execz .LBB6_1762
.LBB6_3812:
	v_mov_b32_e32 v2, 0
	v_cmp_ne_u16_sdwa s[8:9], v9, v2 src0_sel:BYTE_0 src1_sel:DWORD
	s_andn2_b64 s[4:5], s[4:5], exec
	s_and_b64 s[8:9], s[8:9], exec
	s_or_b64 s[4:5], s[4:5], s[8:9]
	s_or_b64 exec, exec, s[6:7]
	s_and_saveexec_b64 s[6:7], s[4:5]
	s_cbranch_execnz .LBB6_1763
	s_branch .LBB6_1764
.LBB6_3813:
	s_movk_i32 s4, 0x80
	v_cmp_eq_u16_sdwa s[12:13], v5, s4 src0_sel:BYTE_0 src1_sel:DWORD
	s_mov_b64 s[4:5], -1
                                        ; implicit-def: $sgpr10
	s_and_saveexec_b64 s[8:9], s[12:13]
; %bb.3814:
	s_mov_b32 s10, 0x7f800001
	s_xor_b64 s[4:5], exec, -1
; %bb.3815:
	s_or_b64 exec, exec, s[8:9]
	s_and_b64 s[4:5], s[4:5], exec
	s_or_saveexec_b64 s[6:7], s[6:7]
	v_mov_b32_e32 v3, s10
	s_xor_b64 exec, exec, s[6:7]
	s_cbranch_execz .LBB6_1766
.LBB6_3816:
	v_mov_b32_e32 v3, 0
	v_cmp_ne_u16_sdwa s[8:9], v5, v3 src0_sel:BYTE_0 src1_sel:DWORD
	s_andn2_b64 s[4:5], s[4:5], exec
	s_and_b64 s[8:9], s[8:9], exec
	s_or_b64 s[4:5], s[4:5], s[8:9]
	s_or_b64 exec, exec, s[6:7]
	s_and_saveexec_b64 s[6:7], s[4:5]
	s_cbranch_execnz .LBB6_1767
	s_branch .LBB6_1768
.LBB6_3817:
	s_movk_i32 s4, 0x80
	v_cmp_eq_u16_sdwa s[12:13], v3, s4 src0_sel:BYTE_0 src1_sel:DWORD
	s_mov_b64 s[4:5], -1
                                        ; implicit-def: $sgpr10
	s_and_saveexec_b64 s[8:9], s[12:13]
; %bb.3818:
	s_mov_b32 s10, 0x7f800001
	s_xor_b64 s[4:5], exec, -1
; %bb.3819:
	s_or_b64 exec, exec, s[8:9]
	s_and_b64 s[4:5], s[4:5], exec
	s_or_saveexec_b64 s[6:7], s[6:7]
	v_mov_b32_e32 v2, s10
	s_xor_b64 exec, exec, s[6:7]
	s_cbranch_execz .LBB6_1770
.LBB6_3820:
	v_mov_b32_e32 v2, 0
	v_cmp_ne_u16_sdwa s[8:9], v3, v2 src0_sel:BYTE_0 src1_sel:DWORD
	s_andn2_b64 s[4:5], s[4:5], exec
	s_and_b64 s[8:9], s[8:9], exec
	s_or_b64 s[4:5], s[4:5], s[8:9]
	s_or_b64 exec, exec, s[6:7]
	s_and_saveexec_b64 s[6:7], s[4:5]
	s_cbranch_execnz .LBB6_1771
	s_branch .LBB6_1772
.LBB6_3821:
	s_movk_i32 s4, 0x80
	v_cmp_eq_u16_sdwa s[12:13], v3, s4 src0_sel:BYTE_0 src1_sel:DWORD
	s_mov_b64 s[4:5], -1
                                        ; implicit-def: $sgpr10
	s_and_saveexec_b64 s[8:9], s[12:13]
; %bb.3822:
	s_mov_b32 s10, 0x7f800001
	s_xor_b64 s[4:5], exec, -1
; %bb.3823:
	s_or_b64 exec, exec, s[8:9]
	s_and_b64 s[4:5], s[4:5], exec
	s_or_saveexec_b64 s[6:7], s[6:7]
	v_mov_b32_e32 v4, s10
	s_xor_b64 exec, exec, s[6:7]
	s_cbranch_execz .LBB6_1774
.LBB6_3824:
	v_mov_b32_e32 v4, 0
	v_cmp_ne_u16_sdwa s[8:9], v3, v4 src0_sel:BYTE_0 src1_sel:DWORD
	s_andn2_b64 s[4:5], s[4:5], exec
	s_and_b64 s[8:9], s[8:9], exec
	s_or_b64 s[4:5], s[4:5], s[8:9]
	s_or_b64 exec, exec, s[6:7]
	s_and_saveexec_b64 s[6:7], s[4:5]
	s_cbranch_execnz .LBB6_1775
	s_branch .LBB6_1776
.LBB6_3825:
	s_movk_i32 s4, 0x80
	v_cmp_eq_u16_e32 vcc, s4, v3
	s_mov_b64 s[4:5], -1
                                        ; implicit-def: $sgpr10
	s_and_saveexec_b64 s[8:9], vcc
; %bb.3826:
	s_mov_b32 s10, 0x7f800001
	s_xor_b64 s[4:5], exec, -1
; %bb.3827:
	s_or_b64 exec, exec, s[8:9]
	s_and_b64 s[4:5], s[4:5], exec
                                        ; implicit-def: $vgpr3
	s_or_saveexec_b64 s[6:7], s[6:7]
	v_mov_b32_e32 v2, s10
	s_xor_b64 exec, exec, s[6:7]
	s_cbranch_execz .LBB6_1778
.LBB6_3828:
	v_cmp_ne_u16_e32 vcc, 0, v3
	s_andn2_b64 s[4:5], s[4:5], exec
	s_and_b64 s[8:9], vcc, exec
	v_mov_b32_e32 v2, 0
	s_or_b64 s[4:5], s[4:5], s[8:9]
	s_or_b64 exec, exec, s[6:7]
	s_and_saveexec_b64 s[6:7], s[4:5]
	s_cbranch_execnz .LBB6_1779
	s_branch .LBB6_1780
.LBB6_3829:
	s_movk_i32 s4, 0x80
	v_cmp_eq_u16_e32 vcc, s4, v3
	s_mov_b64 s[4:5], -1
                                        ; implicit-def: $sgpr10
	s_and_saveexec_b64 s[8:9], vcc
; %bb.3830:
	s_mov_b32 s10, 0x7f800001
	s_xor_b64 s[4:5], exec, -1
; %bb.3831:
	s_or_b64 exec, exec, s[8:9]
	s_and_b64 s[4:5], s[4:5], exec
                                        ; implicit-def: $vgpr3
	s_or_saveexec_b64 s[6:7], s[6:7]
	v_mov_b32_e32 v4, s10
	s_xor_b64 exec, exec, s[6:7]
	s_cbranch_execz .LBB6_1782
.LBB6_3832:
	v_cmp_ne_u16_e32 vcc, 0, v3
	s_andn2_b64 s[4:5], s[4:5], exec
	s_and_b64 s[8:9], vcc, exec
	v_mov_b32_e32 v4, 0
	s_or_b64 s[4:5], s[4:5], s[8:9]
	s_or_b64 exec, exec, s[6:7]
	s_and_saveexec_b64 s[6:7], s[4:5]
	s_cbranch_execnz .LBB6_1783
	s_branch .LBB6_1784
.LBB6_3833:
	s_movk_i32 s4, 0x80
	v_cmp_eq_u16_sdwa s[12:13], v9, s4 src0_sel:BYTE_3 src1_sel:DWORD
	s_mov_b64 s[4:5], -1
                                        ; implicit-def: $sgpr10
	s_and_saveexec_b64 s[8:9], s[12:13]
; %bb.3834:
	s_mov_b32 s10, 0x7f800001
	s_xor_b64 s[4:5], exec, -1
; %bb.3835:
	s_or_b64 exec, exec, s[8:9]
	s_and_b64 s[4:5], s[4:5], exec
	s_or_saveexec_b64 s[6:7], s[6:7]
	v_mov_b32_e32 v2, s10
	s_xor_b64 exec, exec, s[6:7]
	s_cbranch_execz .LBB6_1786
.LBB6_3836:
	v_mov_b32_e32 v2, 0
	v_cmp_ne_u16_sdwa s[8:9], v9, v2 src0_sel:BYTE_3 src1_sel:DWORD
	s_andn2_b64 s[4:5], s[4:5], exec
	s_and_b64 s[8:9], s[8:9], exec
	s_or_b64 s[4:5], s[4:5], s[8:9]
	s_or_b64 exec, exec, s[6:7]
	s_and_saveexec_b64 s[6:7], s[4:5]
	s_cbranch_execnz .LBB6_1787
	s_branch .LBB6_1788
.LBB6_3837:
	s_movk_i32 s4, 0x80
	v_cmp_eq_u16_sdwa s[12:13], v5, s4 src0_sel:BYTE_3 src1_sel:DWORD
	s_mov_b64 s[4:5], -1
                                        ; implicit-def: $sgpr10
	s_and_saveexec_b64 s[8:9], s[12:13]
; %bb.3838:
	s_mov_b32 s10, 0x7f800001
	s_xor_b64 s[4:5], exec, -1
; %bb.3839:
	s_or_b64 exec, exec, s[8:9]
	s_and_b64 s[4:5], s[4:5], exec
	s_or_saveexec_b64 s[6:7], s[6:7]
	v_mov_b32_e32 v3, s10
	s_xor_b64 exec, exec, s[6:7]
	s_cbranch_execz .LBB6_1790
.LBB6_3840:
	v_mov_b32_e32 v3, 0
	v_cmp_ne_u16_sdwa s[8:9], v5, v3 src0_sel:BYTE_3 src1_sel:DWORD
	s_andn2_b64 s[4:5], s[4:5], exec
	s_and_b64 s[8:9], s[8:9], exec
	s_or_b64 s[4:5], s[4:5], s[8:9]
	s_or_b64 exec, exec, s[6:7]
	s_and_saveexec_b64 s[6:7], s[4:5]
	s_cbranch_execnz .LBB6_1791
	s_branch .LBB6_1792
.LBB6_3841:
	s_movk_i32 s4, 0x80
	v_cmp_eq_u16_sdwa s[12:13], v12, s4 src0_sel:BYTE_0 src1_sel:DWORD
	s_mov_b64 s[4:5], -1
                                        ; implicit-def: $sgpr10
	s_and_saveexec_b64 s[8:9], s[12:13]
; %bb.3842:
	s_mov_b32 s10, 0x7f800001
	s_xor_b64 s[4:5], exec, -1
; %bb.3843:
	s_or_b64 exec, exec, s[8:9]
	s_and_b64 s[4:5], s[4:5], exec
	s_or_saveexec_b64 s[6:7], s[6:7]
	v_mov_b32_e32 v18, s10
	s_xor_b64 exec, exec, s[6:7]
	s_cbranch_execz .LBB6_1794
.LBB6_3844:
	v_mov_b32_e32 v18, 0
	v_cmp_ne_u16_sdwa s[8:9], v12, v18 src0_sel:BYTE_0 src1_sel:DWORD
	s_andn2_b64 s[4:5], s[4:5], exec
	s_and_b64 s[8:9], s[8:9], exec
	s_or_b64 s[4:5], s[4:5], s[8:9]
	s_or_b64 exec, exec, s[6:7]
	s_and_saveexec_b64 s[6:7], s[4:5]
	s_cbranch_execnz .LBB6_1795
	s_branch .LBB6_1796
.LBB6_3845:
	s_movk_i32 s4, 0x80
	v_cmp_eq_u16_sdwa s[12:13], v8, s4 src0_sel:BYTE_0 src1_sel:DWORD
	s_mov_b64 s[4:5], -1
                                        ; implicit-def: $sgpr10
	s_and_saveexec_b64 s[8:9], s[12:13]
; %bb.3846:
	s_mov_b32 s10, 0x7f800001
	s_xor_b64 s[4:5], exec, -1
; %bb.3847:
	s_or_b64 exec, exec, s[8:9]
	s_and_b64 s[4:5], s[4:5], exec
	s_or_saveexec_b64 s[6:7], s[6:7]
	v_mov_b32_e32 v19, s10
	s_xor_b64 exec, exec, s[6:7]
	s_cbranch_execz .LBB6_1798
.LBB6_3848:
	v_mov_b32_e32 v19, 0
	v_cmp_ne_u16_sdwa s[8:9], v8, v19 src0_sel:BYTE_0 src1_sel:DWORD
	s_andn2_b64 s[4:5], s[4:5], exec
	s_and_b64 s[8:9], s[8:9], exec
	s_or_b64 s[4:5], s[4:5], s[8:9]
	s_or_b64 exec, exec, s[6:7]
	s_and_saveexec_b64 s[6:7], s[4:5]
	s_cbranch_execnz .LBB6_1799
	s_branch .LBB6_1800
.LBB6_3849:
	s_movk_i32 s4, 0x80
	v_cmp_eq_u16_sdwa s[12:13], v19, s4 src0_sel:BYTE_0 src1_sel:DWORD
	s_mov_b64 s[4:5], -1
                                        ; implicit-def: $sgpr10
	s_and_saveexec_b64 s[8:9], s[12:13]
; %bb.3850:
	s_mov_b32 s10, 0x7f800001
	s_xor_b64 s[4:5], exec, -1
; %bb.3851:
	s_or_b64 exec, exec, s[8:9]
	s_and_b64 s[4:5], s[4:5], exec
	s_or_saveexec_b64 s[6:7], s[6:7]
	v_mov_b32_e32 v18, s10
	s_xor_b64 exec, exec, s[6:7]
	s_cbranch_execz .LBB6_1802
.LBB6_3852:
	v_mov_b32_e32 v18, 0
	v_cmp_ne_u16_sdwa s[8:9], v19, v18 src0_sel:BYTE_0 src1_sel:DWORD
	s_andn2_b64 s[4:5], s[4:5], exec
	s_and_b64 s[8:9], s[8:9], exec
	s_or_b64 s[4:5], s[4:5], s[8:9]
	s_or_b64 exec, exec, s[6:7]
	s_and_saveexec_b64 s[6:7], s[4:5]
	s_cbranch_execnz .LBB6_1803
	s_branch .LBB6_1804
.LBB6_3853:
	s_movk_i32 s4, 0x80
	v_cmp_eq_u16_sdwa s[12:13], v19, s4 src0_sel:BYTE_0 src1_sel:DWORD
	s_mov_b64 s[4:5], -1
                                        ; implicit-def: $sgpr10
	s_and_saveexec_b64 s[8:9], s[12:13]
; %bb.3854:
	s_mov_b32 s10, 0x7f800001
	s_xor_b64 s[4:5], exec, -1
; %bb.3855:
	s_or_b64 exec, exec, s[8:9]
	s_and_b64 s[4:5], s[4:5], exec
	s_or_saveexec_b64 s[6:7], s[6:7]
	v_mov_b32_e32 v20, s10
	s_xor_b64 exec, exec, s[6:7]
	s_cbranch_execz .LBB6_1806
.LBB6_3856:
	v_mov_b32_e32 v20, 0
	v_cmp_ne_u16_sdwa s[8:9], v19, v20 src0_sel:BYTE_0 src1_sel:DWORD
	s_andn2_b64 s[4:5], s[4:5], exec
	s_and_b64 s[8:9], s[8:9], exec
	s_or_b64 s[4:5], s[4:5], s[8:9]
	s_or_b64 exec, exec, s[6:7]
	s_and_saveexec_b64 s[6:7], s[4:5]
	s_cbranch_execnz .LBB6_1807
	s_branch .LBB6_1808
.LBB6_3857:
	s_movk_i32 s4, 0x80
	v_cmp_eq_u16_e32 vcc, s4, v19
	s_mov_b64 s[4:5], -1
                                        ; implicit-def: $sgpr10
	s_and_saveexec_b64 s[8:9], vcc
; %bb.3858:
	s_mov_b32 s10, 0x7f800001
	s_xor_b64 s[4:5], exec, -1
; %bb.3859:
	s_or_b64 exec, exec, s[8:9]
	s_and_b64 s[4:5], s[4:5], exec
                                        ; implicit-def: $vgpr19
	s_or_saveexec_b64 s[6:7], s[6:7]
	v_mov_b32_e32 v18, s10
	s_xor_b64 exec, exec, s[6:7]
	s_cbranch_execz .LBB6_1810
.LBB6_3860:
	v_cmp_ne_u16_e32 vcc, 0, v19
	s_andn2_b64 s[4:5], s[4:5], exec
	s_and_b64 s[8:9], vcc, exec
	v_mov_b32_e32 v18, 0
	s_or_b64 s[4:5], s[4:5], s[8:9]
	s_or_b64 exec, exec, s[6:7]
	s_and_saveexec_b64 s[6:7], s[4:5]
	s_cbranch_execnz .LBB6_1811
	s_branch .LBB6_1812
.LBB6_3861:
	s_movk_i32 s4, 0x80
	v_cmp_eq_u16_e32 vcc, s4, v19
	s_mov_b64 s[4:5], -1
                                        ; implicit-def: $sgpr10
	s_and_saveexec_b64 s[8:9], vcc
; %bb.3862:
	s_mov_b32 s10, 0x7f800001
	s_xor_b64 s[4:5], exec, -1
; %bb.3863:
	s_or_b64 exec, exec, s[8:9]
	s_and_b64 s[4:5], s[4:5], exec
                                        ; implicit-def: $vgpr19
	s_or_saveexec_b64 s[6:7], s[6:7]
	v_mov_b32_e32 v20, s10
	s_xor_b64 exec, exec, s[6:7]
	s_cbranch_execz .LBB6_1814
.LBB6_3864:
	v_cmp_ne_u16_e32 vcc, 0, v19
	s_andn2_b64 s[4:5], s[4:5], exec
	s_and_b64 s[8:9], vcc, exec
	v_mov_b32_e32 v20, 0
	s_or_b64 s[4:5], s[4:5], s[8:9]
	s_or_b64 exec, exec, s[6:7]
	s_and_saveexec_b64 s[6:7], s[4:5]
	s_cbranch_execnz .LBB6_1815
	s_branch .LBB6_1816
.LBB6_3865:
	s_movk_i32 s4, 0x80
	v_cmp_eq_u16_sdwa s[12:13], v12, s4 src0_sel:BYTE_3 src1_sel:DWORD
	s_mov_b64 s[4:5], -1
                                        ; implicit-def: $sgpr10
	s_and_saveexec_b64 s[8:9], s[12:13]
; %bb.3866:
	s_mov_b32 s10, 0x7f800001
	s_xor_b64 s[4:5], exec, -1
; %bb.3867:
	s_or_b64 exec, exec, s[8:9]
	s_and_b64 s[4:5], s[4:5], exec
	s_or_saveexec_b64 s[6:7], s[6:7]
	v_mov_b32_e32 v18, s10
	s_xor_b64 exec, exec, s[6:7]
	s_cbranch_execz .LBB6_1818
.LBB6_3868:
	v_mov_b32_e32 v18, 0
	v_cmp_ne_u16_sdwa s[8:9], v12, v18 src0_sel:BYTE_3 src1_sel:DWORD
	s_andn2_b64 s[4:5], s[4:5], exec
	s_and_b64 s[8:9], s[8:9], exec
	s_or_b64 s[4:5], s[4:5], s[8:9]
	s_or_b64 exec, exec, s[6:7]
	s_and_saveexec_b64 s[6:7], s[4:5]
	s_cbranch_execnz .LBB6_1819
	s_branch .LBB6_1820
.LBB6_3869:
	s_movk_i32 s4, 0x80
	v_cmp_eq_u16_sdwa s[12:13], v8, s4 src0_sel:BYTE_3 src1_sel:DWORD
	s_mov_b64 s[4:5], -1
                                        ; implicit-def: $sgpr10
	s_and_saveexec_b64 s[8:9], s[12:13]
; %bb.3870:
	s_mov_b32 s10, 0x7f800001
	s_xor_b64 s[4:5], exec, -1
; %bb.3871:
	s_or_b64 exec, exec, s[8:9]
	s_and_b64 s[4:5], s[4:5], exec
	s_or_saveexec_b64 s[6:7], s[6:7]
	v_mov_b32_e32 v12, s10
	s_xor_b64 exec, exec, s[6:7]
	s_cbranch_execz .LBB6_1822
.LBB6_3872:
	v_mov_b32_e32 v12, 0
	v_cmp_ne_u16_sdwa s[8:9], v8, v12 src0_sel:BYTE_3 src1_sel:DWORD
	s_andn2_b64 s[4:5], s[4:5], exec
	s_and_b64 s[8:9], s[8:9], exec
	s_or_b64 s[4:5], s[4:5], s[8:9]
	s_or_b64 exec, exec, s[6:7]
	s_and_saveexec_b64 s[6:7], s[4:5]
	s_cbranch_execnz .LBB6_1823
	s_branch .LBB6_1824
.LBB6_3873:
	s_movk_i32 s4, 0x80
	v_cmp_eq_u16_sdwa s[12:13], v13, s4 src0_sel:BYTE_0 src1_sel:DWORD
	s_mov_b64 s[4:5], -1
                                        ; implicit-def: $sgpr10
	s_and_saveexec_b64 s[8:9], s[12:13]
; %bb.3874:
	s_mov_b32 s10, 0x7f800001
	s_xor_b64 s[4:5], exec, -1
; %bb.3875:
	s_or_b64 exec, exec, s[8:9]
	s_and_b64 s[4:5], s[4:5], exec
	s_or_saveexec_b64 s[6:7], s[6:7]
	v_mov_b32_e32 v8, s10
	s_xor_b64 exec, exec, s[6:7]
	s_cbranch_execz .LBB6_1826
.LBB6_3876:
	v_mov_b32_e32 v8, 0
	v_cmp_ne_u16_sdwa s[8:9], v13, v8 src0_sel:BYTE_0 src1_sel:DWORD
	s_andn2_b64 s[4:5], s[4:5], exec
	s_and_b64 s[8:9], s[8:9], exec
	s_or_b64 s[4:5], s[4:5], s[8:9]
	s_or_b64 exec, exec, s[6:7]
	s_and_saveexec_b64 s[6:7], s[4:5]
	s_cbranch_execnz .LBB6_1827
	s_branch .LBB6_1828
.LBB6_3877:
	s_movk_i32 s4, 0x80
	v_cmp_eq_u16_sdwa s[12:13], v9, s4 src0_sel:BYTE_0 src1_sel:DWORD
	s_mov_b64 s[4:5], -1
                                        ; implicit-def: $sgpr10
	s_and_saveexec_b64 s[8:9], s[12:13]
; %bb.3878:
	s_mov_b32 s10, 0x7f800001
	s_xor_b64 s[4:5], exec, -1
; %bb.3879:
	s_or_b64 exec, exec, s[8:9]
	s_and_b64 s[4:5], s[4:5], exec
	s_or_saveexec_b64 s[6:7], s[6:7]
	v_mov_b32_e32 v12, s10
	s_xor_b64 exec, exec, s[6:7]
	s_cbranch_execz .LBB6_1830
.LBB6_3880:
	v_mov_b32_e32 v12, 0
	v_cmp_ne_u16_sdwa s[8:9], v9, v12 src0_sel:BYTE_0 src1_sel:DWORD
	s_andn2_b64 s[4:5], s[4:5], exec
	s_and_b64 s[8:9], s[8:9], exec
	s_or_b64 s[4:5], s[4:5], s[8:9]
	s_or_b64 exec, exec, s[6:7]
	s_and_saveexec_b64 s[6:7], s[4:5]
	s_cbranch_execnz .LBB6_1831
	s_branch .LBB6_1832
.LBB6_3881:
	s_movk_i32 s4, 0x80
	v_cmp_eq_u16_sdwa s[12:13], v12, s4 src0_sel:BYTE_0 src1_sel:DWORD
	s_mov_b64 s[4:5], -1
                                        ; implicit-def: $sgpr10
	s_and_saveexec_b64 s[8:9], s[12:13]
; %bb.3882:
	s_mov_b32 s10, 0x7f800001
	s_xor_b64 s[4:5], exec, -1
; %bb.3883:
	s_or_b64 exec, exec, s[8:9]
	s_and_b64 s[4:5], s[4:5], exec
	s_or_saveexec_b64 s[6:7], s[6:7]
	v_mov_b32_e32 v8, s10
	s_xor_b64 exec, exec, s[6:7]
	s_cbranch_execz .LBB6_1834
.LBB6_3884:
	v_mov_b32_e32 v8, 0
	v_cmp_ne_u16_sdwa s[8:9], v12, v8 src0_sel:BYTE_0 src1_sel:DWORD
	s_andn2_b64 s[4:5], s[4:5], exec
	s_and_b64 s[8:9], s[8:9], exec
	s_or_b64 s[4:5], s[4:5], s[8:9]
	s_or_b64 exec, exec, s[6:7]
	s_and_saveexec_b64 s[6:7], s[4:5]
	s_cbranch_execnz .LBB6_1835
	s_branch .LBB6_1836
.LBB6_3885:
	s_movk_i32 s4, 0x80
	v_cmp_eq_u16_sdwa s[12:13], v12, s4 src0_sel:BYTE_0 src1_sel:DWORD
	s_mov_b64 s[4:5], -1
                                        ; implicit-def: $sgpr10
	s_and_saveexec_b64 s[8:9], s[12:13]
; %bb.3886:
	s_mov_b32 s10, 0x7f800001
	s_xor_b64 s[4:5], exec, -1
; %bb.3887:
	s_or_b64 exec, exec, s[8:9]
	s_and_b64 s[4:5], s[4:5], exec
	s_or_saveexec_b64 s[6:7], s[6:7]
	v_mov_b32_e32 v18, s10
	s_xor_b64 exec, exec, s[6:7]
	s_cbranch_execz .LBB6_1838
.LBB6_3888:
	v_mov_b32_e32 v18, 0
	v_cmp_ne_u16_sdwa s[8:9], v12, v18 src0_sel:BYTE_0 src1_sel:DWORD
	s_andn2_b64 s[4:5], s[4:5], exec
	s_and_b64 s[8:9], s[8:9], exec
	s_or_b64 s[4:5], s[4:5], s[8:9]
	s_or_b64 exec, exec, s[6:7]
	s_and_saveexec_b64 s[6:7], s[4:5]
	s_cbranch_execnz .LBB6_1839
	s_branch .LBB6_1840
.LBB6_3889:
	s_movk_i32 s4, 0x80
	v_cmp_eq_u16_e32 vcc, s4, v12
	s_mov_b64 s[4:5], -1
                                        ; implicit-def: $sgpr10
	s_and_saveexec_b64 s[8:9], vcc
; %bb.3890:
	s_mov_b32 s10, 0x7f800001
	s_xor_b64 s[4:5], exec, -1
; %bb.3891:
	s_or_b64 exec, exec, s[8:9]
	s_and_b64 s[4:5], s[4:5], exec
                                        ; implicit-def: $vgpr12
	s_or_saveexec_b64 s[6:7], s[6:7]
	v_mov_b32_e32 v8, s10
	s_xor_b64 exec, exec, s[6:7]
	s_cbranch_execz .LBB6_1842
.LBB6_3892:
	v_cmp_ne_u16_e32 vcc, 0, v12
	s_andn2_b64 s[4:5], s[4:5], exec
	s_and_b64 s[8:9], vcc, exec
	v_mov_b32_e32 v8, 0
	s_or_b64 s[4:5], s[4:5], s[8:9]
	s_or_b64 exec, exec, s[6:7]
	s_and_saveexec_b64 s[6:7], s[4:5]
	s_cbranch_execnz .LBB6_1843
	s_branch .LBB6_1844
.LBB6_3893:
	s_movk_i32 s4, 0x80
	v_cmp_eq_u16_e32 vcc, s4, v12
	s_mov_b64 s[4:5], -1
                                        ; implicit-def: $sgpr10
	s_and_saveexec_b64 s[8:9], vcc
; %bb.3894:
	s_mov_b32 s10, 0x7f800001
	s_xor_b64 s[4:5], exec, -1
; %bb.3895:
	s_or_b64 exec, exec, s[8:9]
	s_and_b64 s[4:5], s[4:5], exec
                                        ; implicit-def: $vgpr12
	s_or_saveexec_b64 s[6:7], s[6:7]
	v_mov_b32_e32 v18, s10
	s_xor_b64 exec, exec, s[6:7]
	s_cbranch_execz .LBB6_1846
.LBB6_3896:
	v_cmp_ne_u16_e32 vcc, 0, v12
	s_andn2_b64 s[4:5], s[4:5], exec
	s_and_b64 s[8:9], vcc, exec
	v_mov_b32_e32 v18, 0
	s_or_b64 s[4:5], s[4:5], s[8:9]
	s_or_b64 exec, exec, s[6:7]
	s_and_saveexec_b64 s[6:7], s[4:5]
	s_cbranch_execnz .LBB6_1847
	s_branch .LBB6_1848
.LBB6_3897:
	s_movk_i32 s4, 0x80
	v_cmp_eq_u16_sdwa s[12:13], v13, s4 src0_sel:BYTE_3 src1_sel:DWORD
	s_mov_b64 s[4:5], -1
                                        ; implicit-def: $sgpr10
	s_and_saveexec_b64 s[8:9], s[12:13]
; %bb.3898:
	s_mov_b32 s10, 0x7f800001
	s_xor_b64 s[4:5], exec, -1
; %bb.3899:
	s_or_b64 exec, exec, s[8:9]
	s_and_b64 s[4:5], s[4:5], exec
	s_or_saveexec_b64 s[6:7], s[6:7]
	v_mov_b32_e32 v8, s10
	s_xor_b64 exec, exec, s[6:7]
	s_cbranch_execz .LBB6_1850
.LBB6_3900:
	v_mov_b32_e32 v8, 0
	v_cmp_ne_u16_sdwa s[8:9], v13, v8 src0_sel:BYTE_3 src1_sel:DWORD
	s_andn2_b64 s[4:5], s[4:5], exec
	s_and_b64 s[8:9], s[8:9], exec
	s_or_b64 s[4:5], s[4:5], s[8:9]
	s_or_b64 exec, exec, s[6:7]
	s_and_saveexec_b64 s[6:7], s[4:5]
	s_cbranch_execnz .LBB6_1851
	s_branch .LBB6_1852
.LBB6_3901:
	s_movk_i32 s4, 0x80
	v_cmp_eq_u16_sdwa s[12:13], v9, s4 src0_sel:BYTE_3 src1_sel:DWORD
	s_mov_b64 s[4:5], -1
                                        ; implicit-def: $sgpr10
	s_and_saveexec_b64 s[8:9], s[12:13]
; %bb.3902:
	s_mov_b32 s10, 0x7f800001
	s_xor_b64 s[4:5], exec, -1
; %bb.3903:
	s_or_b64 exec, exec, s[8:9]
	s_and_b64 s[4:5], s[4:5], exec
	s_or_saveexec_b64 s[6:7], s[6:7]
	v_mov_b32_e32 v12, s10
	s_xor_b64 exec, exec, s[6:7]
	s_cbranch_execz .LBB6_1854
.LBB6_3904:
	v_mov_b32_e32 v12, 0
	v_cmp_ne_u16_sdwa s[8:9], v9, v12 src0_sel:BYTE_3 src1_sel:DWORD
	s_andn2_b64 s[4:5], s[4:5], exec
	s_and_b64 s[8:9], s[8:9], exec
	s_or_b64 s[4:5], s[4:5], s[8:9]
	s_or_b64 exec, exec, s[6:7]
	s_and_saveexec_b64 s[6:7], s[4:5]
	s_cbranch_execnz .LBB6_1855
	s_branch .LBB6_1856
.LBB6_3905:
	s_movk_i32 s4, 0x80
	v_cmp_eq_u16_sdwa s[12:13], v14, s4 src0_sel:BYTE_0 src1_sel:DWORD
	s_mov_b64 s[4:5], -1
                                        ; implicit-def: $sgpr10
	s_and_saveexec_b64 s[8:9], s[12:13]
; %bb.3906:
	s_mov_b32 s10, 0x7f800001
	s_xor_b64 s[4:5], exec, -1
; %bb.3907:
	s_or_b64 exec, exec, s[8:9]
	s_and_b64 s[4:5], s[4:5], exec
	s_or_saveexec_b64 s[6:7], s[6:7]
	v_mov_b32_e32 v8, s10
	s_xor_b64 exec, exec, s[6:7]
	s_cbranch_execz .LBB6_1858
.LBB6_3908:
	v_mov_b32_e32 v8, 0
	v_cmp_ne_u16_sdwa s[8:9], v14, v8 src0_sel:BYTE_0 src1_sel:DWORD
	s_andn2_b64 s[4:5], s[4:5], exec
	s_and_b64 s[8:9], s[8:9], exec
	s_or_b64 s[4:5], s[4:5], s[8:9]
	s_or_b64 exec, exec, s[6:7]
	s_and_saveexec_b64 s[6:7], s[4:5]
	s_cbranch_execnz .LBB6_1859
	s_branch .LBB6_1860
.LBB6_3909:
	s_movk_i32 s4, 0x80
	v_cmp_eq_u16_sdwa s[12:13], v10, s4 src0_sel:BYTE_0 src1_sel:DWORD
	s_mov_b64 s[4:5], -1
                                        ; implicit-def: $sgpr10
	s_and_saveexec_b64 s[8:9], s[12:13]
; %bb.3910:
	s_mov_b32 s10, 0x7f800001
	s_xor_b64 s[4:5], exec, -1
; %bb.3911:
	s_or_b64 exec, exec, s[8:9]
	s_and_b64 s[4:5], s[4:5], exec
	s_or_saveexec_b64 s[6:7], s[6:7]
	v_mov_b32_e32 v9, s10
	s_xor_b64 exec, exec, s[6:7]
	s_cbranch_execz .LBB6_1862
.LBB6_3912:
	v_mov_b32_e32 v9, 0
	v_cmp_ne_u16_sdwa s[8:9], v10, v9 src0_sel:BYTE_0 src1_sel:DWORD
	s_andn2_b64 s[4:5], s[4:5], exec
	s_and_b64 s[8:9], s[8:9], exec
	s_or_b64 s[4:5], s[4:5], s[8:9]
	s_or_b64 exec, exec, s[6:7]
	s_and_saveexec_b64 s[6:7], s[4:5]
	s_cbranch_execnz .LBB6_1863
	s_branch .LBB6_1864
.LBB6_3913:
	s_movk_i32 s4, 0x80
	v_cmp_eq_u16_sdwa s[12:13], v9, s4 src0_sel:BYTE_0 src1_sel:DWORD
	s_mov_b64 s[4:5], -1
                                        ; implicit-def: $sgpr10
	s_and_saveexec_b64 s[8:9], s[12:13]
; %bb.3914:
	s_mov_b32 s10, 0x7f800001
	s_xor_b64 s[4:5], exec, -1
; %bb.3915:
	s_or_b64 exec, exec, s[8:9]
	s_and_b64 s[4:5], s[4:5], exec
	s_or_saveexec_b64 s[6:7], s[6:7]
	v_mov_b32_e32 v8, s10
	s_xor_b64 exec, exec, s[6:7]
	s_cbranch_execz .LBB6_1866
.LBB6_3916:
	v_mov_b32_e32 v8, 0
	v_cmp_ne_u16_sdwa s[8:9], v9, v8 src0_sel:BYTE_0 src1_sel:DWORD
	s_andn2_b64 s[4:5], s[4:5], exec
	s_and_b64 s[8:9], s[8:9], exec
	s_or_b64 s[4:5], s[4:5], s[8:9]
	s_or_b64 exec, exec, s[6:7]
	s_and_saveexec_b64 s[6:7], s[4:5]
	s_cbranch_execnz .LBB6_1867
	s_branch .LBB6_1868
.LBB6_3917:
	s_movk_i32 s4, 0x80
	v_cmp_eq_u16_sdwa s[12:13], v9, s4 src0_sel:BYTE_0 src1_sel:DWORD
	s_mov_b64 s[4:5], -1
                                        ; implicit-def: $sgpr10
	s_and_saveexec_b64 s[8:9], s[12:13]
; %bb.3918:
	s_mov_b32 s10, 0x7f800001
	s_xor_b64 s[4:5], exec, -1
; %bb.3919:
	s_or_b64 exec, exec, s[8:9]
	s_and_b64 s[4:5], s[4:5], exec
	s_or_saveexec_b64 s[6:7], s[6:7]
	v_mov_b32_e32 v12, s10
	s_xor_b64 exec, exec, s[6:7]
	s_cbranch_execz .LBB6_1870
.LBB6_3920:
	v_mov_b32_e32 v12, 0
	v_cmp_ne_u16_sdwa s[8:9], v9, v12 src0_sel:BYTE_0 src1_sel:DWORD
	s_andn2_b64 s[4:5], s[4:5], exec
	s_and_b64 s[8:9], s[8:9], exec
	s_or_b64 s[4:5], s[4:5], s[8:9]
	s_or_b64 exec, exec, s[6:7]
	s_and_saveexec_b64 s[6:7], s[4:5]
	s_cbranch_execnz .LBB6_1871
	s_branch .LBB6_1872
.LBB6_3921:
	s_movk_i32 s4, 0x80
	v_cmp_eq_u16_e32 vcc, s4, v9
	s_mov_b64 s[4:5], -1
                                        ; implicit-def: $sgpr10
	s_and_saveexec_b64 s[8:9], vcc
; %bb.3922:
	s_mov_b32 s10, 0x7f800001
	s_xor_b64 s[4:5], exec, -1
; %bb.3923:
	s_or_b64 exec, exec, s[8:9]
	s_and_b64 s[4:5], s[4:5], exec
                                        ; implicit-def: $vgpr9
	s_or_saveexec_b64 s[6:7], s[6:7]
	v_mov_b32_e32 v8, s10
	s_xor_b64 exec, exec, s[6:7]
	s_cbranch_execz .LBB6_1874
.LBB6_3924:
	v_cmp_ne_u16_e32 vcc, 0, v9
	s_andn2_b64 s[4:5], s[4:5], exec
	s_and_b64 s[8:9], vcc, exec
	v_mov_b32_e32 v8, 0
	s_or_b64 s[4:5], s[4:5], s[8:9]
	s_or_b64 exec, exec, s[6:7]
	s_and_saveexec_b64 s[6:7], s[4:5]
	s_cbranch_execnz .LBB6_1875
	s_branch .LBB6_1876
.LBB6_3925:
	s_movk_i32 s4, 0x80
	v_cmp_eq_u16_e32 vcc, s4, v9
	s_mov_b64 s[4:5], -1
                                        ; implicit-def: $sgpr10
	s_and_saveexec_b64 s[8:9], vcc
; %bb.3926:
	s_mov_b32 s10, 0x7f800001
	s_xor_b64 s[4:5], exec, -1
; %bb.3927:
	s_or_b64 exec, exec, s[8:9]
	s_and_b64 s[4:5], s[4:5], exec
                                        ; implicit-def: $vgpr9
	s_or_saveexec_b64 s[6:7], s[6:7]
	v_mov_b32_e32 v12, s10
	s_xor_b64 exec, exec, s[6:7]
	s_cbranch_execz .LBB6_1878
.LBB6_3928:
	v_cmp_ne_u16_e32 vcc, 0, v9
	s_andn2_b64 s[4:5], s[4:5], exec
	s_and_b64 s[8:9], vcc, exec
	v_mov_b32_e32 v12, 0
	s_or_b64 s[4:5], s[4:5], s[8:9]
	s_or_b64 exec, exec, s[6:7]
	s_and_saveexec_b64 s[6:7], s[4:5]
	s_cbranch_execnz .LBB6_1879
	s_branch .LBB6_1880
.LBB6_3929:
	s_movk_i32 s4, 0x80
	v_cmp_eq_u16_sdwa s[12:13], v14, s4 src0_sel:BYTE_3 src1_sel:DWORD
	s_mov_b64 s[4:5], -1
                                        ; implicit-def: $sgpr10
	s_and_saveexec_b64 s[8:9], s[12:13]
; %bb.3930:
	s_mov_b32 s10, 0x7f800001
	s_xor_b64 s[4:5], exec, -1
; %bb.3931:
	s_or_b64 exec, exec, s[8:9]
	s_and_b64 s[4:5], s[4:5], exec
	s_or_saveexec_b64 s[6:7], s[6:7]
	v_mov_b32_e32 v8, s10
	s_xor_b64 exec, exec, s[6:7]
	s_cbranch_execz .LBB6_1882
.LBB6_3932:
	v_mov_b32_e32 v8, 0
	v_cmp_ne_u16_sdwa s[8:9], v14, v8 src0_sel:BYTE_3 src1_sel:DWORD
	s_andn2_b64 s[4:5], s[4:5], exec
	s_and_b64 s[8:9], s[8:9], exec
	s_or_b64 s[4:5], s[4:5], s[8:9]
	s_or_b64 exec, exec, s[6:7]
	s_and_saveexec_b64 s[6:7], s[4:5]
	s_cbranch_execnz .LBB6_1883
	s_branch .LBB6_1884
.LBB6_3933:
	s_movk_i32 s4, 0x80
	v_cmp_eq_u16_sdwa s[12:13], v10, s4 src0_sel:BYTE_3 src1_sel:DWORD
	s_mov_b64 s[4:5], -1
                                        ; implicit-def: $sgpr10
	s_and_saveexec_b64 s[8:9], s[12:13]
; %bb.3934:
	s_mov_b32 s10, 0x7f800001
	s_xor_b64 s[4:5], exec, -1
; %bb.3935:
	s_or_b64 exec, exec, s[8:9]
	s_and_b64 s[4:5], s[4:5], exec
	s_or_saveexec_b64 s[6:7], s[6:7]
	v_mov_b32_e32 v9, s10
	s_xor_b64 exec, exec, s[6:7]
	s_cbranch_execz .LBB6_1886
.LBB6_3936:
	v_mov_b32_e32 v9, 0
	v_cmp_ne_u16_sdwa s[8:9], v10, v9 src0_sel:BYTE_3 src1_sel:DWORD
	s_andn2_b64 s[4:5], s[4:5], exec
	s_and_b64 s[8:9], s[8:9], exec
	s_or_b64 s[4:5], s[4:5], s[8:9]
	s_or_b64 exec, exec, s[6:7]
	s_and_saveexec_b64 s[6:7], s[4:5]
	s_cbranch_execnz .LBB6_1887
	s_branch .LBB6_1888
.LBB6_3937:
	s_movk_i32 s4, 0x80
	v_cmp_eq_u16_sdwa s[12:13], v15, s4 src0_sel:BYTE_0 src1_sel:DWORD
	s_mov_b64 s[4:5], -1
                                        ; implicit-def: $sgpr10
	s_and_saveexec_b64 s[8:9], s[12:13]
; %bb.3938:
	s_mov_b32 s10, 0x7f800001
	s_xor_b64 s[4:5], exec, -1
; %bb.3939:
	s_or_b64 exec, exec, s[8:9]
	s_and_b64 s[4:5], s[4:5], exec
	s_or_saveexec_b64 s[6:7], s[6:7]
	v_mov_b32_e32 v8, s10
	s_xor_b64 exec, exec, s[6:7]
	s_cbranch_execz .LBB6_1890
.LBB6_3940:
	v_mov_b32_e32 v8, 0
	v_cmp_ne_u16_sdwa s[8:9], v15, v8 src0_sel:BYTE_0 src1_sel:DWORD
	s_andn2_b64 s[4:5], s[4:5], exec
	s_and_b64 s[8:9], s[8:9], exec
	s_or_b64 s[4:5], s[4:5], s[8:9]
	s_or_b64 exec, exec, s[6:7]
	s_and_saveexec_b64 s[6:7], s[4:5]
	s_cbranch_execnz .LBB6_1891
	s_branch .LBB6_1892
.LBB6_3941:
	s_movk_i32 s4, 0x80
	v_cmp_eq_u16_sdwa s[12:13], v11, s4 src0_sel:BYTE_0 src1_sel:DWORD
	s_mov_b64 s[4:5], -1
                                        ; implicit-def: $sgpr10
	s_and_saveexec_b64 s[8:9], s[12:13]
; %bb.3942:
	s_mov_b32 s10, 0x7f800001
	s_xor_b64 s[4:5], exec, -1
; %bb.3943:
	s_or_b64 exec, exec, s[8:9]
	s_and_b64 s[4:5], s[4:5], exec
	s_or_saveexec_b64 s[6:7], s[6:7]
	v_mov_b32_e32 v9, s10
	s_xor_b64 exec, exec, s[6:7]
	s_cbranch_execz .LBB6_1894
.LBB6_3944:
	v_mov_b32_e32 v9, 0
	v_cmp_ne_u16_sdwa s[8:9], v11, v9 src0_sel:BYTE_0 src1_sel:DWORD
	s_andn2_b64 s[4:5], s[4:5], exec
	s_and_b64 s[8:9], s[8:9], exec
	s_or_b64 s[4:5], s[4:5], s[8:9]
	s_or_b64 exec, exec, s[6:7]
	s_and_saveexec_b64 s[6:7], s[4:5]
	s_cbranch_execnz .LBB6_1895
	s_branch .LBB6_1896
.LBB6_3945:
	s_movk_i32 s4, 0x80
	v_cmp_eq_u16_sdwa s[12:13], v9, s4 src0_sel:BYTE_0 src1_sel:DWORD
	s_mov_b64 s[4:5], -1
                                        ; implicit-def: $sgpr10
	s_and_saveexec_b64 s[8:9], s[12:13]
; %bb.3946:
	s_mov_b32 s10, 0x7f800001
	s_xor_b64 s[4:5], exec, -1
; %bb.3947:
	s_or_b64 exec, exec, s[8:9]
	s_and_b64 s[4:5], s[4:5], exec
	s_or_saveexec_b64 s[6:7], s[6:7]
	v_mov_b32_e32 v8, s10
	s_xor_b64 exec, exec, s[6:7]
	s_cbranch_execz .LBB6_1898
.LBB6_3948:
	v_mov_b32_e32 v8, 0
	v_cmp_ne_u16_sdwa s[8:9], v9, v8 src0_sel:BYTE_0 src1_sel:DWORD
	s_andn2_b64 s[4:5], s[4:5], exec
	s_and_b64 s[8:9], s[8:9], exec
	s_or_b64 s[4:5], s[4:5], s[8:9]
	s_or_b64 exec, exec, s[6:7]
	s_and_saveexec_b64 s[6:7], s[4:5]
	s_cbranch_execnz .LBB6_1899
	s_branch .LBB6_1900
.LBB6_3949:
	s_movk_i32 s4, 0x80
	v_cmp_eq_u16_sdwa s[12:13], v9, s4 src0_sel:BYTE_0 src1_sel:DWORD
	s_mov_b64 s[4:5], -1
                                        ; implicit-def: $sgpr10
	s_and_saveexec_b64 s[8:9], s[12:13]
; %bb.3950:
	s_mov_b32 s10, 0x7f800001
	s_xor_b64 s[4:5], exec, -1
; %bb.3951:
	s_or_b64 exec, exec, s[8:9]
	s_and_b64 s[4:5], s[4:5], exec
	s_or_saveexec_b64 s[6:7], s[6:7]
	v_mov_b32_e32 v10, s10
	s_xor_b64 exec, exec, s[6:7]
	s_cbranch_execz .LBB6_1902
.LBB6_3952:
	v_mov_b32_e32 v10, 0
	v_cmp_ne_u16_sdwa s[8:9], v9, v10 src0_sel:BYTE_0 src1_sel:DWORD
	s_andn2_b64 s[4:5], s[4:5], exec
	s_and_b64 s[8:9], s[8:9], exec
	s_or_b64 s[4:5], s[4:5], s[8:9]
	s_or_b64 exec, exec, s[6:7]
	s_and_saveexec_b64 s[6:7], s[4:5]
	s_cbranch_execnz .LBB6_1903
	s_branch .LBB6_1904
.LBB6_3953:
	s_movk_i32 s4, 0x80
	v_cmp_eq_u16_e32 vcc, s4, v9
	s_mov_b64 s[4:5], -1
                                        ; implicit-def: $sgpr10
	s_and_saveexec_b64 s[8:9], vcc
; %bb.3954:
	s_mov_b32 s10, 0x7f800001
	s_xor_b64 s[4:5], exec, -1
; %bb.3955:
	s_or_b64 exec, exec, s[8:9]
	s_and_b64 s[4:5], s[4:5], exec
                                        ; implicit-def: $vgpr9
	s_or_saveexec_b64 s[6:7], s[6:7]
	v_mov_b32_e32 v8, s10
	s_xor_b64 exec, exec, s[6:7]
	s_cbranch_execz .LBB6_1906
.LBB6_3956:
	v_cmp_ne_u16_e32 vcc, 0, v9
	s_andn2_b64 s[4:5], s[4:5], exec
	s_and_b64 s[8:9], vcc, exec
	v_mov_b32_e32 v8, 0
	s_or_b64 s[4:5], s[4:5], s[8:9]
	s_or_b64 exec, exec, s[6:7]
	s_and_saveexec_b64 s[6:7], s[4:5]
	s_cbranch_execnz .LBB6_1907
	s_branch .LBB6_1908
.LBB6_3957:
	s_movk_i32 s4, 0x80
	v_cmp_eq_u16_e32 vcc, s4, v9
	s_mov_b64 s[4:5], -1
                                        ; implicit-def: $sgpr10
	s_and_saveexec_b64 s[8:9], vcc
; %bb.3958:
	s_mov_b32 s10, 0x7f800001
	s_xor_b64 s[4:5], exec, -1
; %bb.3959:
	s_or_b64 exec, exec, s[8:9]
	s_and_b64 s[4:5], s[4:5], exec
                                        ; implicit-def: $vgpr9
	s_or_saveexec_b64 s[6:7], s[6:7]
	v_mov_b32_e32 v10, s10
	s_xor_b64 exec, exec, s[6:7]
	s_cbranch_execz .LBB6_1910
.LBB6_3960:
	v_cmp_ne_u16_e32 vcc, 0, v9
	s_andn2_b64 s[4:5], s[4:5], exec
	s_and_b64 s[8:9], vcc, exec
	v_mov_b32_e32 v10, 0
	s_or_b64 s[4:5], s[4:5], s[8:9]
	s_or_b64 exec, exec, s[6:7]
	s_and_saveexec_b64 s[6:7], s[4:5]
	s_cbranch_execnz .LBB6_1911
	s_branch .LBB6_1912
.LBB6_3961:
	s_movk_i32 s4, 0x80
	v_cmp_eq_u16_sdwa s[12:13], v15, s4 src0_sel:BYTE_3 src1_sel:DWORD
	s_mov_b64 s[4:5], -1
                                        ; implicit-def: $sgpr10
	s_and_saveexec_b64 s[8:9], s[12:13]
; %bb.3962:
	s_mov_b32 s10, 0x7f800001
	s_xor_b64 s[4:5], exec, -1
; %bb.3963:
	s_or_b64 exec, exec, s[8:9]
	s_and_b64 s[4:5], s[4:5], exec
	s_or_saveexec_b64 s[6:7], s[6:7]
	v_mov_b32_e32 v8, s10
	s_xor_b64 exec, exec, s[6:7]
	s_cbranch_execz .LBB6_1914
.LBB6_3964:
	v_mov_b32_e32 v8, 0
	v_cmp_ne_u16_sdwa s[8:9], v15, v8 src0_sel:BYTE_3 src1_sel:DWORD
	s_andn2_b64 s[4:5], s[4:5], exec
	s_and_b64 s[8:9], s[8:9], exec
	s_or_b64 s[4:5], s[4:5], s[8:9]
	s_or_b64 exec, exec, s[6:7]
	s_and_saveexec_b64 s[6:7], s[4:5]
	s_cbranch_execnz .LBB6_1915
	s_branch .LBB6_1916
.LBB6_3965:
	s_movk_i32 s4, 0x80
	v_cmp_eq_u16_sdwa s[12:13], v11, s4 src0_sel:BYTE_3 src1_sel:DWORD
	s_mov_b64 s[4:5], -1
                                        ; implicit-def: $sgpr10
	s_and_saveexec_b64 s[8:9], s[12:13]
; %bb.3966:
	s_mov_b32 s10, 0x7f800001
	s_xor_b64 s[4:5], exec, -1
; %bb.3967:
	s_or_b64 exec, exec, s[8:9]
	s_and_b64 s[4:5], s[4:5], exec
	s_or_saveexec_b64 s[6:7], s[6:7]
	v_mov_b32_e32 v9, s10
	s_xor_b64 exec, exec, s[6:7]
	s_cbranch_execz .LBB6_1918
.LBB6_3968:
	v_mov_b32_e32 v9, 0
	v_cmp_ne_u16_sdwa s[8:9], v11, v9 src0_sel:BYTE_3 src1_sel:DWORD
	s_andn2_b64 s[4:5], s[4:5], exec
	s_and_b64 s[8:9], s[8:9], exec
	s_or_b64 s[4:5], s[4:5], s[8:9]
	s_or_b64 exec, exec, s[6:7]
	s_and_saveexec_b64 s[6:7], s[4:5]
	s_cbranch_execnz .LBB6_1919
	s_branch .LBB6_1920
.LBB6_3969:
	s_movk_i32 s4, 0x80
	v_cmp_eq_u16_sdwa s[12:13], v4, s4 src0_sel:BYTE_0 src1_sel:DWORD
	s_mov_b64 s[4:5], -1
                                        ; implicit-def: $sgpr10
	s_and_saveexec_b64 s[8:9], s[12:13]
; %bb.3970:
	s_mov_b32 s10, 0x7f800001
	s_xor_b64 s[4:5], exec, -1
; %bb.3971:
	s_or_b64 exec, exec, s[8:9]
	s_and_b64 s[4:5], s[4:5], exec
	s_or_saveexec_b64 s[6:7], s[6:7]
	v_mov_b32_e32 v8, s10
	s_xor_b64 exec, exec, s[6:7]
	s_cbranch_execz .LBB6_1922
.LBB6_3972:
	v_mov_b32_e32 v8, 0
	v_cmp_ne_u16_sdwa s[8:9], v4, v8 src0_sel:BYTE_0 src1_sel:DWORD
	s_andn2_b64 s[4:5], s[4:5], exec
	s_and_b64 s[8:9], s[8:9], exec
	s_or_b64 s[4:5], s[4:5], s[8:9]
	s_or_b64 exec, exec, s[6:7]
	s_and_saveexec_b64 s[6:7], s[4:5]
	s_cbranch_execnz .LBB6_1923
	s_branch .LBB6_1924
.LBB6_3973:
	s_movk_i32 s4, 0x80
	v_cmp_eq_u16_sdwa s[12:13], v0, s4 src0_sel:BYTE_0 src1_sel:DWORD
	s_mov_b64 s[4:5], -1
                                        ; implicit-def: $sgpr10
	s_and_saveexec_b64 s[8:9], s[12:13]
; %bb.3974:
	s_mov_b32 s10, 0x7f800001
	s_xor_b64 s[4:5], exec, -1
; %bb.3975:
	s_or_b64 exec, exec, s[8:9]
	s_and_b64 s[4:5], s[4:5], exec
	s_or_saveexec_b64 s[6:7], s[6:7]
	v_mov_b32_e32 v9, s10
	s_xor_b64 exec, exec, s[6:7]
	s_cbranch_execz .LBB6_1926
.LBB6_3976:
	v_mov_b32_e32 v9, 0
	v_cmp_ne_u16_sdwa s[8:9], v0, v9 src0_sel:BYTE_0 src1_sel:DWORD
	s_andn2_b64 s[4:5], s[4:5], exec
	s_and_b64 s[8:9], s[8:9], exec
	s_or_b64 s[4:5], s[4:5], s[8:9]
	s_or_b64 exec, exec, s[6:7]
	s_and_saveexec_b64 s[6:7], s[4:5]
	s_cbranch_execnz .LBB6_1927
	s_branch .LBB6_1928
.LBB6_3977:
	s_movk_i32 s4, 0x80
	v_cmp_eq_u16_sdwa s[12:13], v9, s4 src0_sel:BYTE_0 src1_sel:DWORD
	s_mov_b64 s[4:5], -1
                                        ; implicit-def: $sgpr10
	s_and_saveexec_b64 s[8:9], s[12:13]
; %bb.3978:
	s_mov_b32 s10, 0x7f800001
	s_xor_b64 s[4:5], exec, -1
; %bb.3979:
	s_or_b64 exec, exec, s[8:9]
	s_and_b64 s[4:5], s[4:5], exec
	s_or_saveexec_b64 s[6:7], s[6:7]
	v_mov_b32_e32 v8, s10
	s_xor_b64 exec, exec, s[6:7]
	s_cbranch_execz .LBB6_1930
.LBB6_3980:
	v_mov_b32_e32 v8, 0
	v_cmp_ne_u16_sdwa s[8:9], v9, v8 src0_sel:BYTE_0 src1_sel:DWORD
	s_andn2_b64 s[4:5], s[4:5], exec
	s_and_b64 s[8:9], s[8:9], exec
	s_or_b64 s[4:5], s[4:5], s[8:9]
	s_or_b64 exec, exec, s[6:7]
	s_and_saveexec_b64 s[6:7], s[4:5]
	s_cbranch_execnz .LBB6_1931
	s_branch .LBB6_1932
.LBB6_3981:
	s_movk_i32 s4, 0x80
	v_cmp_eq_u16_sdwa s[12:13], v9, s4 src0_sel:BYTE_0 src1_sel:DWORD
	s_mov_b64 s[4:5], -1
                                        ; implicit-def: $sgpr10
	s_and_saveexec_b64 s[8:9], s[12:13]
; %bb.3982:
	s_mov_b32 s10, 0x7f800001
	s_xor_b64 s[4:5], exec, -1
; %bb.3983:
	s_or_b64 exec, exec, s[8:9]
	s_and_b64 s[4:5], s[4:5], exec
	s_or_saveexec_b64 s[6:7], s[6:7]
	v_mov_b32_e32 v10, s10
	s_xor_b64 exec, exec, s[6:7]
	s_cbranch_execz .LBB6_1934
.LBB6_3984:
	v_mov_b32_e32 v10, 0
	v_cmp_ne_u16_sdwa s[8:9], v9, v10 src0_sel:BYTE_0 src1_sel:DWORD
	s_andn2_b64 s[4:5], s[4:5], exec
	s_and_b64 s[8:9], s[8:9], exec
	s_or_b64 s[4:5], s[4:5], s[8:9]
	s_or_b64 exec, exec, s[6:7]
	s_and_saveexec_b64 s[6:7], s[4:5]
	s_cbranch_execnz .LBB6_1935
	s_branch .LBB6_1936
.LBB6_3985:
	s_movk_i32 s4, 0x80
	v_cmp_eq_u16_e32 vcc, s4, v9
	s_mov_b64 s[4:5], -1
                                        ; implicit-def: $sgpr10
	s_and_saveexec_b64 s[8:9], vcc
; %bb.3986:
	s_mov_b32 s10, 0x7f800001
	s_xor_b64 s[4:5], exec, -1
; %bb.3987:
	s_or_b64 exec, exec, s[8:9]
	s_and_b64 s[4:5], s[4:5], exec
                                        ; implicit-def: $vgpr9
	s_or_saveexec_b64 s[6:7], s[6:7]
	v_mov_b32_e32 v8, s10
	s_xor_b64 exec, exec, s[6:7]
	s_cbranch_execz .LBB6_1938
.LBB6_3988:
	v_cmp_ne_u16_e32 vcc, 0, v9
	s_andn2_b64 s[4:5], s[4:5], exec
	s_and_b64 s[8:9], vcc, exec
	v_mov_b32_e32 v8, 0
	s_or_b64 s[4:5], s[4:5], s[8:9]
	s_or_b64 exec, exec, s[6:7]
	s_and_saveexec_b64 s[6:7], s[4:5]
	s_cbranch_execnz .LBB6_1939
	s_branch .LBB6_1940
.LBB6_3989:
	s_movk_i32 s4, 0x80
	v_cmp_eq_u16_e32 vcc, s4, v9
	s_mov_b64 s[4:5], -1
                                        ; implicit-def: $sgpr10
	s_and_saveexec_b64 s[8:9], vcc
; %bb.3990:
	s_mov_b32 s10, 0x7f800001
	s_xor_b64 s[4:5], exec, -1
; %bb.3991:
	s_or_b64 exec, exec, s[8:9]
	s_and_b64 s[4:5], s[4:5], exec
                                        ; implicit-def: $vgpr9
	s_or_saveexec_b64 s[6:7], s[6:7]
	v_mov_b32_e32 v10, s10
	s_xor_b64 exec, exec, s[6:7]
	s_cbranch_execz .LBB6_1942
.LBB6_3992:
	v_cmp_ne_u16_e32 vcc, 0, v9
	s_andn2_b64 s[4:5], s[4:5], exec
	s_and_b64 s[8:9], vcc, exec
	v_mov_b32_e32 v10, 0
	s_or_b64 s[4:5], s[4:5], s[8:9]
	s_or_b64 exec, exec, s[6:7]
	s_and_saveexec_b64 s[6:7], s[4:5]
	s_cbranch_execnz .LBB6_1943
	s_branch .LBB6_1944
.LBB6_3993:
	s_movk_i32 s4, 0x80
	v_cmp_eq_u16_sdwa s[12:13], v4, s4 src0_sel:BYTE_3 src1_sel:DWORD
	s_mov_b64 s[4:5], -1
                                        ; implicit-def: $sgpr10
	s_and_saveexec_b64 s[8:9], s[12:13]
; %bb.3994:
	s_mov_b32 s10, 0x7f800001
	s_xor_b64 s[4:5], exec, -1
; %bb.3995:
	s_or_b64 exec, exec, s[8:9]
	s_and_b64 s[4:5], s[4:5], exec
	s_or_saveexec_b64 s[6:7], s[6:7]
	v_mov_b32_e32 v8, s10
	s_xor_b64 exec, exec, s[6:7]
	s_cbranch_execz .LBB6_1946
.LBB6_3996:
	v_mov_b32_e32 v8, 0
	v_cmp_ne_u16_sdwa s[8:9], v4, v8 src0_sel:BYTE_3 src1_sel:DWORD
	s_andn2_b64 s[4:5], s[4:5], exec
	s_and_b64 s[8:9], s[8:9], exec
	s_or_b64 s[4:5], s[4:5], s[8:9]
	s_or_b64 exec, exec, s[6:7]
	s_and_saveexec_b64 s[6:7], s[4:5]
	s_cbranch_execnz .LBB6_1947
	s_branch .LBB6_1948
.LBB6_3997:
	s_movk_i32 s4, 0x80
	v_cmp_eq_u16_sdwa s[12:13], v0, s4 src0_sel:BYTE_3 src1_sel:DWORD
	s_mov_b64 s[4:5], -1
                                        ; implicit-def: $sgpr10
	s_and_saveexec_b64 s[8:9], s[12:13]
; %bb.3998:
	s_mov_b32 s10, 0x7f800001
	s_xor_b64 s[4:5], exec, -1
; %bb.3999:
	s_or_b64 exec, exec, s[8:9]
	s_and_b64 s[4:5], s[4:5], exec
	s_or_saveexec_b64 s[6:7], s[6:7]
	v_mov_b32_e32 v4, s10
	s_xor_b64 exec, exec, s[6:7]
	s_cbranch_execz .LBB6_1950
.LBB6_4000:
	v_mov_b32_e32 v4, 0
	v_cmp_ne_u16_sdwa s[8:9], v0, v4 src0_sel:BYTE_3 src1_sel:DWORD
	s_andn2_b64 s[4:5], s[4:5], exec
	s_and_b64 s[8:9], s[8:9], exec
	s_or_b64 s[4:5], s[4:5], s[8:9]
	s_or_b64 exec, exec, s[6:7]
	s_and_saveexec_b64 s[6:7], s[4:5]
	s_cbranch_execnz .LBB6_1951
	s_branch .LBB6_1952
.LBB6_4001:
	s_movk_i32 s4, 0x80
	v_cmp_eq_u16_sdwa s[12:13], v5, s4 src0_sel:BYTE_0 src1_sel:DWORD
	s_mov_b64 s[4:5], -1
                                        ; implicit-def: $sgpr10
	s_and_saveexec_b64 s[8:9], s[12:13]
; %bb.4002:
	s_mov_b32 s10, 0x7f800001
	s_xor_b64 s[4:5], exec, -1
; %bb.4003:
	s_or_b64 exec, exec, s[8:9]
	s_and_b64 s[4:5], s[4:5], exec
	s_or_saveexec_b64 s[6:7], s[6:7]
	v_mov_b32_e32 v0, s10
	s_xor_b64 exec, exec, s[6:7]
	s_cbranch_execz .LBB6_1954
.LBB6_4004:
	v_mov_b32_e32 v0, 0
	v_cmp_ne_u16_sdwa s[8:9], v5, v0 src0_sel:BYTE_0 src1_sel:DWORD
	s_andn2_b64 s[4:5], s[4:5], exec
	s_and_b64 s[8:9], s[8:9], exec
	s_or_b64 s[4:5], s[4:5], s[8:9]
	s_or_b64 exec, exec, s[6:7]
	s_and_saveexec_b64 s[6:7], s[4:5]
	s_cbranch_execnz .LBB6_1955
	s_branch .LBB6_1956
.LBB6_4005:
	s_movk_i32 s4, 0x80
	v_cmp_eq_u16_sdwa s[12:13], v1, s4 src0_sel:BYTE_0 src1_sel:DWORD
	s_mov_b64 s[4:5], -1
                                        ; implicit-def: $sgpr10
	s_and_saveexec_b64 s[8:9], s[12:13]
; %bb.4006:
	s_mov_b32 s10, 0x7f800001
	s_xor_b64 s[4:5], exec, -1
; %bb.4007:
	s_or_b64 exec, exec, s[8:9]
	s_and_b64 s[4:5], s[4:5], exec
	s_or_saveexec_b64 s[6:7], s[6:7]
	v_mov_b32_e32 v4, s10
	s_xor_b64 exec, exec, s[6:7]
	s_cbranch_execz .LBB6_1958
.LBB6_4008:
	v_mov_b32_e32 v4, 0
	v_cmp_ne_u16_sdwa s[8:9], v1, v4 src0_sel:BYTE_0 src1_sel:DWORD
	s_andn2_b64 s[4:5], s[4:5], exec
	s_and_b64 s[8:9], s[8:9], exec
	s_or_b64 s[4:5], s[4:5], s[8:9]
	s_or_b64 exec, exec, s[6:7]
	s_and_saveexec_b64 s[6:7], s[4:5]
	s_cbranch_execnz .LBB6_1959
	s_branch .LBB6_1960
.LBB6_4009:
	s_movk_i32 s4, 0x80
	v_cmp_eq_u16_sdwa s[12:13], v4, s4 src0_sel:BYTE_0 src1_sel:DWORD
	s_mov_b64 s[4:5], -1
                                        ; implicit-def: $sgpr10
	s_and_saveexec_b64 s[8:9], s[12:13]
; %bb.4010:
	s_mov_b32 s10, 0x7f800001
	s_xor_b64 s[4:5], exec, -1
; %bb.4011:
	s_or_b64 exec, exec, s[8:9]
	s_and_b64 s[4:5], s[4:5], exec
	s_or_saveexec_b64 s[6:7], s[6:7]
	v_mov_b32_e32 v0, s10
	s_xor_b64 exec, exec, s[6:7]
	s_cbranch_execz .LBB6_1962
.LBB6_4012:
	v_mov_b32_e32 v0, 0
	v_cmp_ne_u16_sdwa s[8:9], v4, v0 src0_sel:BYTE_0 src1_sel:DWORD
	s_andn2_b64 s[4:5], s[4:5], exec
	s_and_b64 s[8:9], s[8:9], exec
	s_or_b64 s[4:5], s[4:5], s[8:9]
	s_or_b64 exec, exec, s[6:7]
	s_and_saveexec_b64 s[6:7], s[4:5]
	s_cbranch_execnz .LBB6_1963
	s_branch .LBB6_1964
.LBB6_4013:
	s_movk_i32 s4, 0x80
	v_cmp_eq_u16_sdwa s[12:13], v4, s4 src0_sel:BYTE_0 src1_sel:DWORD
	s_mov_b64 s[4:5], -1
                                        ; implicit-def: $sgpr10
	s_and_saveexec_b64 s[8:9], s[12:13]
; %bb.4014:
	s_mov_b32 s10, 0x7f800001
	s_xor_b64 s[4:5], exec, -1
; %bb.4015:
	s_or_b64 exec, exec, s[8:9]
	s_and_b64 s[4:5], s[4:5], exec
	s_or_saveexec_b64 s[6:7], s[6:7]
	v_mov_b32_e32 v8, s10
	s_xor_b64 exec, exec, s[6:7]
	s_cbranch_execz .LBB6_1966
.LBB6_4016:
	v_mov_b32_e32 v8, 0
	v_cmp_ne_u16_sdwa s[8:9], v4, v8 src0_sel:BYTE_0 src1_sel:DWORD
	s_andn2_b64 s[4:5], s[4:5], exec
	s_and_b64 s[8:9], s[8:9], exec
	s_or_b64 s[4:5], s[4:5], s[8:9]
	s_or_b64 exec, exec, s[6:7]
	s_and_saveexec_b64 s[6:7], s[4:5]
	s_cbranch_execnz .LBB6_1967
	s_branch .LBB6_1968
.LBB6_4017:
	s_movk_i32 s4, 0x80
	v_cmp_eq_u16_e32 vcc, s4, v4
	s_mov_b64 s[4:5], -1
                                        ; implicit-def: $sgpr10
	s_and_saveexec_b64 s[8:9], vcc
; %bb.4018:
	s_mov_b32 s10, 0x7f800001
	s_xor_b64 s[4:5], exec, -1
; %bb.4019:
	s_or_b64 exec, exec, s[8:9]
	s_and_b64 s[4:5], s[4:5], exec
                                        ; implicit-def: $vgpr4
	s_or_saveexec_b64 s[6:7], s[6:7]
	v_mov_b32_e32 v0, s10
	s_xor_b64 exec, exec, s[6:7]
	s_cbranch_execz .LBB6_1970
.LBB6_4020:
	v_cmp_ne_u16_e32 vcc, 0, v4
	s_andn2_b64 s[4:5], s[4:5], exec
	s_and_b64 s[8:9], vcc, exec
	v_mov_b32_e32 v0, 0
	s_or_b64 s[4:5], s[4:5], s[8:9]
	s_or_b64 exec, exec, s[6:7]
	s_and_saveexec_b64 s[6:7], s[4:5]
	s_cbranch_execnz .LBB6_1971
	s_branch .LBB6_1972
.LBB6_4021:
	s_movk_i32 s4, 0x80
	v_cmp_eq_u16_e32 vcc, s4, v4
	s_mov_b64 s[4:5], -1
                                        ; implicit-def: $sgpr10
	s_and_saveexec_b64 s[8:9], vcc
; %bb.4022:
	s_mov_b32 s10, 0x7f800001
	s_xor_b64 s[4:5], exec, -1
; %bb.4023:
	s_or_b64 exec, exec, s[8:9]
	s_and_b64 s[4:5], s[4:5], exec
                                        ; implicit-def: $vgpr4
	s_or_saveexec_b64 s[6:7], s[6:7]
	v_mov_b32_e32 v8, s10
	s_xor_b64 exec, exec, s[6:7]
	s_cbranch_execz .LBB6_1974
.LBB6_4024:
	v_cmp_ne_u16_e32 vcc, 0, v4
	s_andn2_b64 s[4:5], s[4:5], exec
	s_and_b64 s[8:9], vcc, exec
	v_mov_b32_e32 v8, 0
	s_or_b64 s[4:5], s[4:5], s[8:9]
	s_or_b64 exec, exec, s[6:7]
	s_and_saveexec_b64 s[6:7], s[4:5]
	s_cbranch_execnz .LBB6_1975
	s_branch .LBB6_1976
.LBB6_4025:
	s_movk_i32 s4, 0x80
	v_cmp_eq_u16_sdwa s[12:13], v5, s4 src0_sel:BYTE_3 src1_sel:DWORD
	s_mov_b64 s[4:5], -1
                                        ; implicit-def: $sgpr10
	s_and_saveexec_b64 s[8:9], s[12:13]
; %bb.4026:
	s_mov_b32 s10, 0x7f800001
	s_xor_b64 s[4:5], exec, -1
; %bb.4027:
	s_or_b64 exec, exec, s[8:9]
	s_and_b64 s[4:5], s[4:5], exec
	s_or_saveexec_b64 s[6:7], s[6:7]
	v_mov_b32_e32 v0, s10
	s_xor_b64 exec, exec, s[6:7]
	s_cbranch_execz .LBB6_1978
.LBB6_4028:
	v_mov_b32_e32 v0, 0
	v_cmp_ne_u16_sdwa s[8:9], v5, v0 src0_sel:BYTE_3 src1_sel:DWORD
	s_andn2_b64 s[4:5], s[4:5], exec
	s_and_b64 s[8:9], s[8:9], exec
	s_or_b64 s[4:5], s[4:5], s[8:9]
	s_or_b64 exec, exec, s[6:7]
	s_and_saveexec_b64 s[6:7], s[4:5]
	s_cbranch_execnz .LBB6_1979
	s_branch .LBB6_1980
.LBB6_4029:
	s_movk_i32 s4, 0x80
	v_cmp_eq_u16_sdwa s[12:13], v1, s4 src0_sel:BYTE_3 src1_sel:DWORD
	s_mov_b64 s[4:5], -1
                                        ; implicit-def: $sgpr10
	s_and_saveexec_b64 s[8:9], s[12:13]
; %bb.4030:
	s_mov_b32 s10, 0x7f800001
	s_xor_b64 s[4:5], exec, -1
; %bb.4031:
	s_or_b64 exec, exec, s[8:9]
	s_and_b64 s[4:5], s[4:5], exec
	s_or_saveexec_b64 s[6:7], s[6:7]
	v_mov_b32_e32 v4, s10
	s_xor_b64 exec, exec, s[6:7]
	s_cbranch_execz .LBB6_1982
.LBB6_4032:
	v_mov_b32_e32 v4, 0
	v_cmp_ne_u16_sdwa s[8:9], v1, v4 src0_sel:BYTE_3 src1_sel:DWORD
	s_andn2_b64 s[4:5], s[4:5], exec
	s_and_b64 s[8:9], s[8:9], exec
	s_or_b64 s[4:5], s[4:5], s[8:9]
	s_or_b64 exec, exec, s[6:7]
	s_and_saveexec_b64 s[6:7], s[4:5]
	s_cbranch_execnz .LBB6_1983
	s_branch .LBB6_1984
.LBB6_4033:
	s_movk_i32 s4, 0x80
	v_cmp_eq_u16_sdwa s[12:13], v6, s4 src0_sel:BYTE_0 src1_sel:DWORD
	s_mov_b64 s[4:5], -1
                                        ; implicit-def: $sgpr10
	s_and_saveexec_b64 s[8:9], s[12:13]
; %bb.4034:
	s_mov_b32 s10, 0x7f800001
	s_xor_b64 s[4:5], exec, -1
; %bb.4035:
	s_or_b64 exec, exec, s[8:9]
	s_and_b64 s[4:5], s[4:5], exec
	s_or_saveexec_b64 s[6:7], s[6:7]
	v_mov_b32_e32 v0, s10
	s_xor_b64 exec, exec, s[6:7]
	s_cbranch_execz .LBB6_1986
.LBB6_4036:
	v_mov_b32_e32 v0, 0
	v_cmp_ne_u16_sdwa s[8:9], v6, v0 src0_sel:BYTE_0 src1_sel:DWORD
	s_andn2_b64 s[4:5], s[4:5], exec
	s_and_b64 s[8:9], s[8:9], exec
	s_or_b64 s[4:5], s[4:5], s[8:9]
	s_or_b64 exec, exec, s[6:7]
	s_and_saveexec_b64 s[6:7], s[4:5]
	s_cbranch_execnz .LBB6_1987
	s_branch .LBB6_1988
.LBB6_4037:
	s_movk_i32 s4, 0x80
	v_cmp_eq_u16_sdwa s[12:13], v2, s4 src0_sel:BYTE_0 src1_sel:DWORD
	s_mov_b64 s[4:5], -1
                                        ; implicit-def: $sgpr10
	s_and_saveexec_b64 s[8:9], s[12:13]
; %bb.4038:
	s_mov_b32 s10, 0x7f800001
	s_xor_b64 s[4:5], exec, -1
; %bb.4039:
	s_or_b64 exec, exec, s[8:9]
	s_and_b64 s[4:5], s[4:5], exec
	s_or_saveexec_b64 s[6:7], s[6:7]
	v_mov_b32_e32 v1, s10
	s_xor_b64 exec, exec, s[6:7]
	s_cbranch_execz .LBB6_1990
.LBB6_4040:
	v_mov_b32_e32 v1, 0
	v_cmp_ne_u16_sdwa s[8:9], v2, v1 src0_sel:BYTE_0 src1_sel:DWORD
	s_andn2_b64 s[4:5], s[4:5], exec
	s_and_b64 s[8:9], s[8:9], exec
	s_or_b64 s[4:5], s[4:5], s[8:9]
	s_or_b64 exec, exec, s[6:7]
	s_and_saveexec_b64 s[6:7], s[4:5]
	s_cbranch_execnz .LBB6_1991
	s_branch .LBB6_1992
.LBB6_4041:
	s_movk_i32 s4, 0x80
	v_cmp_eq_u16_sdwa s[12:13], v1, s4 src0_sel:BYTE_0 src1_sel:DWORD
	s_mov_b64 s[4:5], -1
                                        ; implicit-def: $sgpr10
	s_and_saveexec_b64 s[8:9], s[12:13]
; %bb.4042:
	s_mov_b32 s10, 0x7f800001
	s_xor_b64 s[4:5], exec, -1
; %bb.4043:
	s_or_b64 exec, exec, s[8:9]
	s_and_b64 s[4:5], s[4:5], exec
	s_or_saveexec_b64 s[6:7], s[6:7]
	v_mov_b32_e32 v0, s10
	s_xor_b64 exec, exec, s[6:7]
	s_cbranch_execz .LBB6_1994
.LBB6_4044:
	v_mov_b32_e32 v0, 0
	v_cmp_ne_u16_sdwa s[8:9], v1, v0 src0_sel:BYTE_0 src1_sel:DWORD
	s_andn2_b64 s[4:5], s[4:5], exec
	s_and_b64 s[8:9], s[8:9], exec
	s_or_b64 s[4:5], s[4:5], s[8:9]
	s_or_b64 exec, exec, s[6:7]
	s_and_saveexec_b64 s[6:7], s[4:5]
	s_cbranch_execnz .LBB6_1995
	s_branch .LBB6_1996
.LBB6_4045:
	s_movk_i32 s4, 0x80
	v_cmp_eq_u16_sdwa s[12:13], v1, s4 src0_sel:BYTE_0 src1_sel:DWORD
	s_mov_b64 s[4:5], -1
                                        ; implicit-def: $sgpr10
	s_and_saveexec_b64 s[8:9], s[12:13]
; %bb.4046:
	s_mov_b32 s10, 0x7f800001
	s_xor_b64 s[4:5], exec, -1
; %bb.4047:
	s_or_b64 exec, exec, s[8:9]
	s_and_b64 s[4:5], s[4:5], exec
	s_or_saveexec_b64 s[6:7], s[6:7]
	v_mov_b32_e32 v4, s10
	s_xor_b64 exec, exec, s[6:7]
	s_cbranch_execz .LBB6_1998
.LBB6_4048:
	v_mov_b32_e32 v4, 0
	v_cmp_ne_u16_sdwa s[8:9], v1, v4 src0_sel:BYTE_0 src1_sel:DWORD
	s_andn2_b64 s[4:5], s[4:5], exec
	s_and_b64 s[8:9], s[8:9], exec
	s_or_b64 s[4:5], s[4:5], s[8:9]
	s_or_b64 exec, exec, s[6:7]
	s_and_saveexec_b64 s[6:7], s[4:5]
	s_cbranch_execnz .LBB6_1999
	s_branch .LBB6_2000
.LBB6_4049:
	s_movk_i32 s4, 0x80
	v_cmp_eq_u16_e32 vcc, s4, v1
	s_mov_b64 s[4:5], -1
                                        ; implicit-def: $sgpr10
	s_and_saveexec_b64 s[8:9], vcc
; %bb.4050:
	s_mov_b32 s10, 0x7f800001
	s_xor_b64 s[4:5], exec, -1
; %bb.4051:
	s_or_b64 exec, exec, s[8:9]
	s_and_b64 s[4:5], s[4:5], exec
                                        ; implicit-def: $vgpr1
	s_or_saveexec_b64 s[6:7], s[6:7]
	v_mov_b32_e32 v0, s10
	s_xor_b64 exec, exec, s[6:7]
	s_cbranch_execz .LBB6_2002
.LBB6_4052:
	v_cmp_ne_u16_e32 vcc, 0, v1
	s_andn2_b64 s[4:5], s[4:5], exec
	s_and_b64 s[8:9], vcc, exec
	v_mov_b32_e32 v0, 0
	s_or_b64 s[4:5], s[4:5], s[8:9]
	s_or_b64 exec, exec, s[6:7]
	s_and_saveexec_b64 s[6:7], s[4:5]
	s_cbranch_execnz .LBB6_2003
	s_branch .LBB6_2004
.LBB6_4053:
	s_movk_i32 s4, 0x80
	v_cmp_eq_u16_e32 vcc, s4, v1
	s_mov_b64 s[4:5], -1
                                        ; implicit-def: $sgpr10
	s_and_saveexec_b64 s[8:9], vcc
; %bb.4054:
	s_mov_b32 s10, 0x7f800001
	s_xor_b64 s[4:5], exec, -1
; %bb.4055:
	s_or_b64 exec, exec, s[8:9]
	s_and_b64 s[4:5], s[4:5], exec
                                        ; implicit-def: $vgpr1
	s_or_saveexec_b64 s[6:7], s[6:7]
	v_mov_b32_e32 v4, s10
	s_xor_b64 exec, exec, s[6:7]
	s_cbranch_execz .LBB6_2006
.LBB6_4056:
	v_cmp_ne_u16_e32 vcc, 0, v1
	s_andn2_b64 s[4:5], s[4:5], exec
	s_and_b64 s[8:9], vcc, exec
	v_mov_b32_e32 v4, 0
	s_or_b64 s[4:5], s[4:5], s[8:9]
	s_or_b64 exec, exec, s[6:7]
	s_and_saveexec_b64 s[6:7], s[4:5]
	s_cbranch_execnz .LBB6_2007
	s_branch .LBB6_2008
.LBB6_4057:
	s_movk_i32 s4, 0x80
	v_cmp_eq_u16_sdwa s[12:13], v6, s4 src0_sel:BYTE_3 src1_sel:DWORD
	s_mov_b64 s[4:5], -1
                                        ; implicit-def: $sgpr10
	s_and_saveexec_b64 s[8:9], s[12:13]
; %bb.4058:
	s_mov_b32 s10, 0x7f800001
	s_xor_b64 s[4:5], exec, -1
; %bb.4059:
	s_or_b64 exec, exec, s[8:9]
	s_and_b64 s[4:5], s[4:5], exec
	s_or_saveexec_b64 s[6:7], s[6:7]
	v_mov_b32_e32 v0, s10
	s_xor_b64 exec, exec, s[6:7]
	s_cbranch_execz .LBB6_2010
.LBB6_4060:
	v_mov_b32_e32 v0, 0
	v_cmp_ne_u16_sdwa s[8:9], v6, v0 src0_sel:BYTE_3 src1_sel:DWORD
	s_andn2_b64 s[4:5], s[4:5], exec
	s_and_b64 s[8:9], s[8:9], exec
	s_or_b64 s[4:5], s[4:5], s[8:9]
	s_or_b64 exec, exec, s[6:7]
	s_and_saveexec_b64 s[6:7], s[4:5]
	s_cbranch_execnz .LBB6_2011
	s_branch .LBB6_2012
.LBB6_4061:
	s_movk_i32 s4, 0x80
	v_cmp_eq_u16_sdwa s[12:13], v2, s4 src0_sel:BYTE_3 src1_sel:DWORD
	s_mov_b64 s[4:5], -1
                                        ; implicit-def: $sgpr10
	s_and_saveexec_b64 s[8:9], s[12:13]
; %bb.4062:
	s_mov_b32 s10, 0x7f800001
	s_xor_b64 s[4:5], exec, -1
; %bb.4063:
	s_or_b64 exec, exec, s[8:9]
	s_and_b64 s[4:5], s[4:5], exec
	s_or_saveexec_b64 s[6:7], s[6:7]
	v_mov_b32_e32 v1, s10
	s_xor_b64 exec, exec, s[6:7]
	s_cbranch_execz .LBB6_2014
.LBB6_4064:
	v_mov_b32_e32 v1, 0
	v_cmp_ne_u16_sdwa s[8:9], v2, v1 src0_sel:BYTE_3 src1_sel:DWORD
	s_andn2_b64 s[4:5], s[4:5], exec
	s_and_b64 s[8:9], s[8:9], exec
	s_or_b64 s[4:5], s[4:5], s[8:9]
	s_or_b64 exec, exec, s[6:7]
	s_and_saveexec_b64 s[6:7], s[4:5]
	s_cbranch_execnz .LBB6_2015
	s_branch .LBB6_2016
.LBB6_4065:
	s_movk_i32 s4, 0x80
	v_cmp_eq_u16_sdwa s[12:13], v7, s4 src0_sel:BYTE_0 src1_sel:DWORD
	s_mov_b64 s[4:5], -1
                                        ; implicit-def: $sgpr10
	s_and_saveexec_b64 s[8:9], s[12:13]
; %bb.4066:
	s_mov_b32 s10, 0x7f800001
	s_xor_b64 s[4:5], exec, -1
; %bb.4067:
	s_or_b64 exec, exec, s[8:9]
	s_and_b64 s[4:5], s[4:5], exec
	s_or_saveexec_b64 s[6:7], s[6:7]
	v_mov_b32_e32 v0, s10
	s_xor_b64 exec, exec, s[6:7]
	s_cbranch_execz .LBB6_2018
.LBB6_4068:
	v_mov_b32_e32 v0, 0
	v_cmp_ne_u16_sdwa s[8:9], v7, v0 src0_sel:BYTE_0 src1_sel:DWORD
	s_andn2_b64 s[4:5], s[4:5], exec
	s_and_b64 s[8:9], s[8:9], exec
	s_or_b64 s[4:5], s[4:5], s[8:9]
	s_or_b64 exec, exec, s[6:7]
	s_and_saveexec_b64 s[6:7], s[4:5]
	s_cbranch_execnz .LBB6_2019
	s_branch .LBB6_2020
.LBB6_4069:
	s_movk_i32 s4, 0x80
	v_cmp_eq_u16_sdwa s[12:13], v3, s4 src0_sel:BYTE_0 src1_sel:DWORD
	s_mov_b64 s[4:5], -1
                                        ; implicit-def: $sgpr10
	s_and_saveexec_b64 s[8:9], s[12:13]
; %bb.4070:
	s_mov_b32 s10, 0x7f800001
	s_xor_b64 s[4:5], exec, -1
; %bb.4071:
	s_or_b64 exec, exec, s[8:9]
	s_and_b64 s[4:5], s[4:5], exec
	s_or_saveexec_b64 s[6:7], s[6:7]
	v_mov_b32_e32 v1, s10
	s_xor_b64 exec, exec, s[6:7]
	s_cbranch_execz .LBB6_2022
.LBB6_4072:
	v_mov_b32_e32 v1, 0
	v_cmp_ne_u16_sdwa s[8:9], v3, v1 src0_sel:BYTE_0 src1_sel:DWORD
	s_andn2_b64 s[4:5], s[4:5], exec
	s_and_b64 s[8:9], s[8:9], exec
	s_or_b64 s[4:5], s[4:5], s[8:9]
	s_or_b64 exec, exec, s[6:7]
	s_and_saveexec_b64 s[6:7], s[4:5]
	s_cbranch_execnz .LBB6_2023
	s_branch .LBB6_2024
.LBB6_4073:
	s_movk_i32 s4, 0x80
	v_cmp_eq_u16_sdwa s[12:13], v1, s4 src0_sel:BYTE_0 src1_sel:DWORD
	s_mov_b64 s[4:5], -1
                                        ; implicit-def: $sgpr10
	s_and_saveexec_b64 s[8:9], s[12:13]
; %bb.4074:
	s_mov_b32 s10, 0x7f800001
	s_xor_b64 s[4:5], exec, -1
; %bb.4075:
	s_or_b64 exec, exec, s[8:9]
	s_and_b64 s[4:5], s[4:5], exec
	s_or_saveexec_b64 s[6:7], s[6:7]
	v_mov_b32_e32 v0, s10
	s_xor_b64 exec, exec, s[6:7]
	s_cbranch_execz .LBB6_2026
.LBB6_4076:
	v_mov_b32_e32 v0, 0
	v_cmp_ne_u16_sdwa s[8:9], v1, v0 src0_sel:BYTE_0 src1_sel:DWORD
	s_andn2_b64 s[4:5], s[4:5], exec
	s_and_b64 s[8:9], s[8:9], exec
	s_or_b64 s[4:5], s[4:5], s[8:9]
	s_or_b64 exec, exec, s[6:7]
	s_and_saveexec_b64 s[6:7], s[4:5]
	s_cbranch_execnz .LBB6_2027
	s_branch .LBB6_2028
.LBB6_4077:
	s_movk_i32 s4, 0x80
	v_cmp_eq_u16_sdwa s[12:13], v1, s4 src0_sel:BYTE_0 src1_sel:DWORD
	s_mov_b64 s[4:5], -1
                                        ; implicit-def: $sgpr10
	s_and_saveexec_b64 s[8:9], s[12:13]
; %bb.4078:
	s_mov_b32 s10, 0x7f800001
	s_xor_b64 s[4:5], exec, -1
; %bb.4079:
	s_or_b64 exec, exec, s[8:9]
	s_and_b64 s[4:5], s[4:5], exec
	s_or_saveexec_b64 s[6:7], s[6:7]
	v_mov_b32_e32 v2, s10
	s_xor_b64 exec, exec, s[6:7]
	s_cbranch_execz .LBB6_2030
.LBB6_4080:
	v_mov_b32_e32 v2, 0
	v_cmp_ne_u16_sdwa s[8:9], v1, v2 src0_sel:BYTE_0 src1_sel:DWORD
	s_andn2_b64 s[4:5], s[4:5], exec
	s_and_b64 s[8:9], s[8:9], exec
	s_or_b64 s[4:5], s[4:5], s[8:9]
	s_or_b64 exec, exec, s[6:7]
	s_and_saveexec_b64 s[6:7], s[4:5]
	s_cbranch_execnz .LBB6_2031
	s_branch .LBB6_2032
.LBB6_4081:
	s_movk_i32 s4, 0x80
	v_cmp_eq_u16_e32 vcc, s4, v1
	s_mov_b64 s[4:5], -1
                                        ; implicit-def: $sgpr10
	s_and_saveexec_b64 s[8:9], vcc
; %bb.4082:
	s_mov_b32 s10, 0x7f800001
	s_xor_b64 s[4:5], exec, -1
; %bb.4083:
	s_or_b64 exec, exec, s[8:9]
	s_and_b64 s[4:5], s[4:5], exec
                                        ; implicit-def: $vgpr1
	s_or_saveexec_b64 s[6:7], s[6:7]
	v_mov_b32_e32 v0, s10
	s_xor_b64 exec, exec, s[6:7]
	s_cbranch_execz .LBB6_2034
.LBB6_4084:
	v_cmp_ne_u16_e32 vcc, 0, v1
	s_andn2_b64 s[4:5], s[4:5], exec
	s_and_b64 s[8:9], vcc, exec
	v_mov_b32_e32 v0, 0
	s_or_b64 s[4:5], s[4:5], s[8:9]
	s_or_b64 exec, exec, s[6:7]
	s_and_saveexec_b64 s[6:7], s[4:5]
	s_cbranch_execnz .LBB6_2035
	s_branch .LBB6_2036
.LBB6_4085:
	s_movk_i32 s4, 0x80
	v_cmp_eq_u16_e32 vcc, s4, v1
	s_mov_b64 s[4:5], -1
                                        ; implicit-def: $sgpr10
	s_and_saveexec_b64 s[8:9], vcc
; %bb.4086:
	s_mov_b32 s10, 0x7f800001
	s_xor_b64 s[4:5], exec, -1
; %bb.4087:
	s_or_b64 exec, exec, s[8:9]
	s_and_b64 s[4:5], s[4:5], exec
                                        ; implicit-def: $vgpr1
	s_or_saveexec_b64 s[6:7], s[6:7]
	v_mov_b32_e32 v2, s10
	s_xor_b64 exec, exec, s[6:7]
	s_cbranch_execz .LBB6_2038
.LBB6_4088:
	v_cmp_ne_u16_e32 vcc, 0, v1
	s_andn2_b64 s[4:5], s[4:5], exec
	s_and_b64 s[8:9], vcc, exec
	v_mov_b32_e32 v2, 0
	s_or_b64 s[4:5], s[4:5], s[8:9]
	s_or_b64 exec, exec, s[6:7]
	s_and_saveexec_b64 s[6:7], s[4:5]
	s_cbranch_execnz .LBB6_2039
	s_branch .LBB6_2040
.LBB6_4089:
	s_movk_i32 s4, 0x80
	v_cmp_eq_u16_sdwa s[12:13], v7, s4 src0_sel:BYTE_3 src1_sel:DWORD
	s_mov_b64 s[4:5], -1
                                        ; implicit-def: $sgpr10
	s_and_saveexec_b64 s[8:9], s[12:13]
; %bb.4090:
	s_mov_b32 s10, 0x7f800001
	s_xor_b64 s[4:5], exec, -1
; %bb.4091:
	s_or_b64 exec, exec, s[8:9]
	s_and_b64 s[4:5], s[4:5], exec
	s_or_saveexec_b64 s[6:7], s[6:7]
	v_mov_b32_e32 v0, s10
	s_xor_b64 exec, exec, s[6:7]
	s_cbranch_execz .LBB6_2042
.LBB6_4092:
	v_mov_b32_e32 v0, 0
	v_cmp_ne_u16_sdwa s[8:9], v7, v0 src0_sel:BYTE_3 src1_sel:DWORD
	s_andn2_b64 s[4:5], s[4:5], exec
	s_and_b64 s[8:9], s[8:9], exec
	s_or_b64 s[4:5], s[4:5], s[8:9]
	s_or_b64 exec, exec, s[6:7]
	s_and_saveexec_b64 s[6:7], s[4:5]
	s_cbranch_execnz .LBB6_2043
	s_branch .LBB6_2044
.LBB6_4093:
	s_movk_i32 s4, 0x80
	v_cmp_eq_u16_sdwa s[12:13], v3, s4 src0_sel:BYTE_3 src1_sel:DWORD
	s_mov_b64 s[4:5], -1
                                        ; implicit-def: $sgpr10
	s_and_saveexec_b64 s[8:9], s[12:13]
; %bb.4094:
	s_mov_b32 s10, 0x7f800001
	s_xor_b64 s[4:5], exec, -1
; %bb.4095:
	s_or_b64 exec, exec, s[8:9]
	s_and_b64 s[4:5], s[4:5], exec
	s_or_saveexec_b64 s[6:7], s[6:7]
	v_mov_b32_e32 v1, s10
	s_xor_b64 exec, exec, s[6:7]
	s_cbranch_execz .LBB6_2046
.LBB6_4096:
	v_mov_b32_e32 v1, 0
	v_cmp_ne_u16_sdwa s[8:9], v3, v1 src0_sel:BYTE_3 src1_sel:DWORD
	s_andn2_b64 s[4:5], s[4:5], exec
	s_and_b64 s[8:9], s[8:9], exec
	s_or_b64 s[4:5], s[4:5], s[8:9]
	s_or_b64 exec, exec, s[6:7]
	s_and_saveexec_b64 s[6:7], s[4:5]
	s_cbranch_execnz .LBB6_2047
	s_branch .LBB6_2048
.Lfunc_end6:
	.size	_ZNK2ck6detail7applierIiJLi0ELi1ELi2ELi3ELi4ELi5ELi6ELi7EEEclIZNKS_11static_fordINS_8SequenceIJLi1ELi8EEEENS5_IJLi0ELi1EEEEEclIZZZNKS_52BlockwiseGemmXdlops_pipeline_bpreshuffle_bdequant_v3ILNS_26BlockGemmPipelineSchedulerE0ELi256ENS_9f8_fnuz_tENS_7pk_i4_tESC_fNS_16TensorDescriptorINS_5TupleIJNS_5EmbedINSF_IJNS_17integral_constantIiLi8EEENSH_IiLi256EEENSH_IiLi16EEEEEENSF_IJSK_NSH_IiLi128EEENSH_IiLi1EEEEEELb0EEENS_3XorINSF_IJSJ_SI_EEELb1EEENS_11PassThroughISK_EENS_7UnMergeINSF_IJSI_SN_EEELb0EEENST_ISJ_EESU_NST_ISI_EENS_21Merge_v3_division_modINSF_IJSJ_SN_EEEEESU_EEENSF_IJNS5_IJLi0EEEENS5_IJLi2ELi1EEEENS5_IJLi3EEEENS5_IJLi5EEEENS5_IJLi4EEEENS5_IJLi6EEEENS5_IJLi7EEEENS5_IJLi9ELi8EEEENS5_IJLi10EEEEEEENSF_IJNS5_IJLi1ELi2ELi3EEEENS5_IJLi4ELi5EEEES19_NS5_IJLi7ELi8EEEENS5_IJLi9EEEES1C_NS5_IJLi11EEEENS5_IJLi12EEEENS5_IJLi13EEEEEEENS5_IJLi11ELi12ELi13EEEENSH_IlLl32768EEEEENSE_INSF_IJNSV_INSF_IJSI_SN_SN_NSH_IiLi32EEEEEELb0EEEEEENSF_IJS14_EEENSF_IJNS5_IJLi1ELi2ELi3ELi4EEEEEEES1U_NSH_IlLl256EEEEENSE_INSF_IJSP_SS_SU_SX_SY_SU_SZ_S12_SU_NS10_INSF_IJSI_SK_EEEEENSV_INSF_IJSI_NSH_IiLi2EEESK_EEELb0EEEEEENSF_IJS14_S15_S16_S17_S18_S19_S1A_S1B_S1C_NS5_IJLi11ELi13EEEES1J_EEENSF_IJS1E_S1F_S19_S1G_S1H_S1C_S1I_S1J_S1K_NS5_IJLi14EEEENS5_IJLi15ELi16ELi17EEEEEEENS5_IJLi15ELi16ELi17ELi14EEEES1N_EENSE_INSF_IJS1R_NS10_ISW_EES22_EEENSF_IJS14_NS5_IJLi1ELi3EEEENS5_IJLi2EEEEEEENSF_IJS1U_S17_NS5_IJLi6ELi7ELi8EEEEEEENS5_IJLi6ELi7ELi8ELi5EEEES1W_EELi16ELi32ELi256ELi256ELi128ELi16ELi16ELi8ELi8ELi32ELb0EE3RunILb1ELNS_10TailNumberE0ENSE_INSF_IJNSG_INSF_IJiiEEENSF_IJiSN_EEELb0EEENSV_IS2N_Lb0EEENST_IiEEEEENSF_IJS14_S2E_NS5_IJLi1EEEEEEENSF_IJNS5_IJLi1ELi2EEEENS5_IJLi3ELi4EEEES17_EEENS5_IJLi3ELi5ELi4EEEElEES1O_NS_35ThreadGroupTensorSliceTransfer_v4r1INS_15ThisThreadBlockILi256EEENS_16tensor_operation12element_wise11PassThroughES35_LNS_25InMemoryDataOperationEnumE0ENS5_IJLi8ELi256ELi16EEEENS5_IJLi8ELi32ELi1EEEENS5_IJLi1ELi0ELi2EEEESC_SC_RKS2Z_KS1O_S39_NS5_IJLi0ELi1ELi2EEEELi2ELi2ELi16ELi16ELi1ELi1ELb0ELb1ELi2EiEENS_13DynamicBufferILNS_16AddressSpaceEnumE1EKSC_lLb1ELNS_22AmdBufferCoherenceEnumE0EiEENSF_IJNS3F_ILS3G_2ESC_S1N_Lb1ELS3I_0EiEES3K_EEENSF_IJiiiEEENSE_INSF_IJNSG_INSF_IJiiiiEEENSF_IJiiiSN_EEELb0EEEEEES1T_S1V_S1U_lEENS_32ThreadwiseTensorSliceTransfer_v2ISD_SD_RKS3R_KS1X_NS5_IJLi8ELi1ELi1ELi32EEEENS5_IJLi1ELi2ELi0ELi3EEEELi3ELi32ELi0ELb1ELb0ELb0EEENS3F_ILS3G_1EKSD_lLb1ELS3I_0EiEENSF_IJNS_12StaticBufferILS3G_4ESD_Li256ELb1EEES42_EEES3N_NS_25StaticBufferTupleOfVectorILS3G_4EfLi64ELi4ELb1ELb0EEEEEvRKT1_RKT2_RT3_RKT4_RT5_RKT6_RKT7_RT8_RKT9_RT10_RKT11_RT12_iENKUlT_T0_E_clINSH_IiLi0EEESN_EEDaS51_S52_ENKUlS51_E_clINSH_IiLi4EEEEEDaS51_EUlS51_E_EEvS51_EUlS51_E_EEvS51_, .Lfunc_end6-_ZNK2ck6detail7applierIiJLi0ELi1ELi2ELi3ELi4ELi5ELi6ELi7EEEclIZNKS_11static_fordINS_8SequenceIJLi1ELi8EEEENS5_IJLi0ELi1EEEEEclIZZZNKS_52BlockwiseGemmXdlops_pipeline_bpreshuffle_bdequant_v3ILNS_26BlockGemmPipelineSchedulerE0ELi256ENS_9f8_fnuz_tENS_7pk_i4_tESC_fNS_16TensorDescriptorINS_5TupleIJNS_5EmbedINSF_IJNS_17integral_constantIiLi8EEENSH_IiLi256EEENSH_IiLi16EEEEEENSF_IJSK_NSH_IiLi128EEENSH_IiLi1EEEEEELb0EEENS_3XorINSF_IJSJ_SI_EEELb1EEENS_11PassThroughISK_EENS_7UnMergeINSF_IJSI_SN_EEELb0EEENST_ISJ_EESU_NST_ISI_EENS_21Merge_v3_division_modINSF_IJSJ_SN_EEEEESU_EEENSF_IJNS5_IJLi0EEEENS5_IJLi2ELi1EEEENS5_IJLi3EEEENS5_IJLi5EEEENS5_IJLi4EEEENS5_IJLi6EEEENS5_IJLi7EEEENS5_IJLi9ELi8EEEENS5_IJLi10EEEEEEENSF_IJNS5_IJLi1ELi2ELi3EEEENS5_IJLi4ELi5EEEES19_NS5_IJLi7ELi8EEEENS5_IJLi9EEEES1C_NS5_IJLi11EEEENS5_IJLi12EEEENS5_IJLi13EEEEEEENS5_IJLi11ELi12ELi13EEEENSH_IlLl32768EEEEENSE_INSF_IJNSV_INSF_IJSI_SN_SN_NSH_IiLi32EEEEEELb0EEEEEENSF_IJS14_EEENSF_IJNS5_IJLi1ELi2ELi3ELi4EEEEEEES1U_NSH_IlLl256EEEEENSE_INSF_IJSP_SS_SU_SX_SY_SU_SZ_S12_SU_NS10_INSF_IJSI_SK_EEEEENSV_INSF_IJSI_NSH_IiLi2EEESK_EEELb0EEEEEENSF_IJS14_S15_S16_S17_S18_S19_S1A_S1B_S1C_NS5_IJLi11ELi13EEEES1J_EEENSF_IJS1E_S1F_S19_S1G_S1H_S1C_S1I_S1J_S1K_NS5_IJLi14EEEENS5_IJLi15ELi16ELi17EEEEEEENS5_IJLi15ELi16ELi17ELi14EEEES1N_EENSE_INSF_IJS1R_NS10_ISW_EES22_EEENSF_IJS14_NS5_IJLi1ELi3EEEENS5_IJLi2EEEEEEENSF_IJS1U_S17_NS5_IJLi6ELi7ELi8EEEEEEENS5_IJLi6ELi7ELi8ELi5EEEES1W_EELi16ELi32ELi256ELi256ELi128ELi16ELi16ELi8ELi8ELi32ELb0EE3RunILb1ELNS_10TailNumberE0ENSE_INSF_IJNSG_INSF_IJiiEEENSF_IJiSN_EEELb0EEENSV_IS2N_Lb0EEENST_IiEEEEENSF_IJS14_S2E_NS5_IJLi1EEEEEEENSF_IJNS5_IJLi1ELi2EEEENS5_IJLi3ELi4EEEES17_EEENS5_IJLi3ELi5ELi4EEEElEES1O_NS_35ThreadGroupTensorSliceTransfer_v4r1INS_15ThisThreadBlockILi256EEENS_16tensor_operation12element_wise11PassThroughES35_LNS_25InMemoryDataOperationEnumE0ENS5_IJLi8ELi256ELi16EEEENS5_IJLi8ELi32ELi1EEEENS5_IJLi1ELi0ELi2EEEESC_SC_RKS2Z_KS1O_S39_NS5_IJLi0ELi1ELi2EEEELi2ELi2ELi16ELi16ELi1ELi1ELb0ELb1ELi2EiEENS_13DynamicBufferILNS_16AddressSpaceEnumE1EKSC_lLb1ELNS_22AmdBufferCoherenceEnumE0EiEENSF_IJNS3F_ILS3G_2ESC_S1N_Lb1ELS3I_0EiEES3K_EEENSF_IJiiiEEENSE_INSF_IJNSG_INSF_IJiiiiEEENSF_IJiiiSN_EEELb0EEEEEES1T_S1V_S1U_lEENS_32ThreadwiseTensorSliceTransfer_v2ISD_SD_RKS3R_KS1X_NS5_IJLi8ELi1ELi1ELi32EEEENS5_IJLi1ELi2ELi0ELi3EEEELi3ELi32ELi0ELb1ELb0ELb0EEENS3F_ILS3G_1EKSD_lLb1ELS3I_0EiEENSF_IJNS_12StaticBufferILS3G_4ESD_Li256ELb1EEES42_EEES3N_NS_25StaticBufferTupleOfVectorILS3G_4EfLi64ELi4ELb1ELb0EEEEEvRKT1_RKT2_RT3_RKT4_RT5_RKT6_RKT7_RT8_RKT9_RT10_RKT11_RT12_iENKUlT_T0_E_clINSH_IiLi0EEESN_EEDaS51_S52_ENKUlS51_E_clINSH_IiLi4EEEEEDaS51_EUlS51_E_EEvS51_EUlS51_E_EEvS51_
                                        ; -- End function
	.section	.AMDGPU.csdata,"",@progbits
; Function info:
; codeLenInByte = 133608
; NumSgprs: 36
; NumVgprs: 26
; NumAgprs: 4
; TotalNumVgprs: 32
; ScratchSize: 0
; MemoryBound: 1
	.text
	.p2align	2                               ; -- Begin function _ZNK2ck6detail7applierIiJLi0ELi1ELi2ELi3ELi4ELi5ELi6ELi7EEEclIZNKS_11static_fordINS_8SequenceIJLi1ELi8EEEENS5_IJLi0ELi1EEEEEclIZZZNKS_52BlockwiseGemmXdlops_pipeline_bpreshuffle_bdequant_v3ILNS_26BlockGemmPipelineSchedulerE0ELi256ENS_9f8_fnuz_tENS_7pk_i4_tESC_fNS_16TensorDescriptorINS_5TupleIJNS_5EmbedINSF_IJNS_17integral_constantIiLi8EEENSH_IiLi256EEENSH_IiLi16EEEEEENSF_IJSK_NSH_IiLi128EEENSH_IiLi1EEEEEELb0EEENS_3XorINSF_IJSJ_SI_EEELb1EEENS_11PassThroughISK_EENS_7UnMergeINSF_IJSI_SN_EEELb0EEENST_ISJ_EESU_NST_ISI_EENS_21Merge_v3_division_modINSF_IJSJ_SN_EEEEESU_EEENSF_IJNS5_IJLi0EEEENS5_IJLi2ELi1EEEENS5_IJLi3EEEENS5_IJLi5EEEENS5_IJLi4EEEENS5_IJLi6EEEENS5_IJLi7EEEENS5_IJLi9ELi8EEEENS5_IJLi10EEEEEEENSF_IJNS5_IJLi1ELi2ELi3EEEENS5_IJLi4ELi5EEEES19_NS5_IJLi7ELi8EEEENS5_IJLi9EEEES1C_NS5_IJLi11EEEENS5_IJLi12EEEENS5_IJLi13EEEEEEENS5_IJLi11ELi12ELi13EEEENSH_IlLl32768EEEEENSE_INSF_IJNSV_INSF_IJSI_SN_SN_NSH_IiLi32EEEEEELb0EEEEEENSF_IJS14_EEENSF_IJNS5_IJLi1ELi2ELi3ELi4EEEEEEES1U_NSH_IlLl256EEEEENSE_INSF_IJSP_SS_SU_SX_SY_SU_SZ_S12_SU_NS10_INSF_IJSI_SK_EEEEENSV_INSF_IJSI_NSH_IiLi2EEESK_EEELb0EEEEEENSF_IJS14_S15_S16_S17_S18_S19_S1A_S1B_S1C_NS5_IJLi11ELi13EEEES1J_EEENSF_IJS1E_S1F_S19_S1G_S1H_S1C_S1I_S1J_S1K_NS5_IJLi14EEEENS5_IJLi15ELi16ELi17EEEEEEENS5_IJLi15ELi16ELi17ELi14EEEES1N_EENSE_INSF_IJS1R_NS10_ISW_EES22_EEENSF_IJS14_NS5_IJLi1ELi3EEEENS5_IJLi2EEEEEEENSF_IJS1U_S17_NS5_IJLi6ELi7ELi8EEEEEEENS5_IJLi6ELi7ELi8ELi5EEEES1W_EELi16ELi32ELi256ELi256ELi128ELi16ELi16ELi8ELi8ELi32ELb0EE3RunILb1ELNS_10TailNumberE0ENSE_INSF_IJNSG_INSF_IJiiEEENSF_IJiSN_EEELb0EEENSV_IS2N_Lb0EEENST_IiEEEEENSF_IJS14_S2E_NS5_IJLi1EEEEEEENSF_IJNS5_IJLi1ELi2EEEENS5_IJLi3ELi4EEEES17_EEENS5_IJLi3ELi5ELi4EEEElEES1O_NS_35ThreadGroupTensorSliceTransfer_v4r1INS_15ThisThreadBlockILi256EEENS_16tensor_operation12element_wise11PassThroughES35_LNS_25InMemoryDataOperationEnumE0ENS5_IJLi8ELi256ELi16EEEENS5_IJLi8ELi32ELi1EEEENS5_IJLi1ELi0ELi2EEEESC_SC_RKS2Z_KS1O_S39_NS5_IJLi0ELi1ELi2EEEELi2ELi2ELi16ELi16ELi1ELi1ELb0ELb1ELi2EiEENS_13DynamicBufferILNS_16AddressSpaceEnumE1EKSC_lLb1ELNS_22AmdBufferCoherenceEnumE0EiEENSF_IJNS3F_ILS3G_2ESC_S1N_Lb1ELS3I_0EiEES3K_EEENSF_IJiiiEEENSE_INSF_IJNSG_INSF_IJiiiiEEENSF_IJiiiSN_EEELb0EEEEEES1T_S1V_S1U_lEENS_32ThreadwiseTensorSliceTransfer_v2ISD_SD_RKS3R_KS1X_NS5_IJLi8ELi1ELi1ELi32EEEENS5_IJLi1ELi2ELi0ELi3EEEELi3ELi32ELi0ELb1ELb0ELb0EEENS3F_ILS3G_1EKSD_lLb1ELS3I_0EiEENSF_IJNS_12StaticBufferILS3G_4ESD_Li256ELb1EEES42_EEES3N_NS_25StaticBufferTupleOfVectorILS3G_4EfLi64ELi4ELb1ELb0EEEEEvRKT1_RKT2_RT3_RKT4_RT5_RKT6_RKT7_RT8_RKT9_RT10_RKT11_RT12_iENKUlT_T0_E_clINSH_IiLi0EEESN_EEDaS51_S52_ENKUlS51_E_clINSH_IiLi5EEEEEDaS51_EUlS51_E_EEvS51_EUlS51_E_EEvS51_
	.type	_ZNK2ck6detail7applierIiJLi0ELi1ELi2ELi3ELi4ELi5ELi6ELi7EEEclIZNKS_11static_fordINS_8SequenceIJLi1ELi8EEEENS5_IJLi0ELi1EEEEEclIZZZNKS_52BlockwiseGemmXdlops_pipeline_bpreshuffle_bdequant_v3ILNS_26BlockGemmPipelineSchedulerE0ELi256ENS_9f8_fnuz_tENS_7pk_i4_tESC_fNS_16TensorDescriptorINS_5TupleIJNS_5EmbedINSF_IJNS_17integral_constantIiLi8EEENSH_IiLi256EEENSH_IiLi16EEEEEENSF_IJSK_NSH_IiLi128EEENSH_IiLi1EEEEEELb0EEENS_3XorINSF_IJSJ_SI_EEELb1EEENS_11PassThroughISK_EENS_7UnMergeINSF_IJSI_SN_EEELb0EEENST_ISJ_EESU_NST_ISI_EENS_21Merge_v3_division_modINSF_IJSJ_SN_EEEEESU_EEENSF_IJNS5_IJLi0EEEENS5_IJLi2ELi1EEEENS5_IJLi3EEEENS5_IJLi5EEEENS5_IJLi4EEEENS5_IJLi6EEEENS5_IJLi7EEEENS5_IJLi9ELi8EEEENS5_IJLi10EEEEEEENSF_IJNS5_IJLi1ELi2ELi3EEEENS5_IJLi4ELi5EEEES19_NS5_IJLi7ELi8EEEENS5_IJLi9EEEES1C_NS5_IJLi11EEEENS5_IJLi12EEEENS5_IJLi13EEEEEEENS5_IJLi11ELi12ELi13EEEENSH_IlLl32768EEEEENSE_INSF_IJNSV_INSF_IJSI_SN_SN_NSH_IiLi32EEEEEELb0EEEEEENSF_IJS14_EEENSF_IJNS5_IJLi1ELi2ELi3ELi4EEEEEEES1U_NSH_IlLl256EEEEENSE_INSF_IJSP_SS_SU_SX_SY_SU_SZ_S12_SU_NS10_INSF_IJSI_SK_EEEEENSV_INSF_IJSI_NSH_IiLi2EEESK_EEELb0EEEEEENSF_IJS14_S15_S16_S17_S18_S19_S1A_S1B_S1C_NS5_IJLi11ELi13EEEES1J_EEENSF_IJS1E_S1F_S19_S1G_S1H_S1C_S1I_S1J_S1K_NS5_IJLi14EEEENS5_IJLi15ELi16ELi17EEEEEEENS5_IJLi15ELi16ELi17ELi14EEEES1N_EENSE_INSF_IJS1R_NS10_ISW_EES22_EEENSF_IJS14_NS5_IJLi1ELi3EEEENS5_IJLi2EEEEEEENSF_IJS1U_S17_NS5_IJLi6ELi7ELi8EEEEEEENS5_IJLi6ELi7ELi8ELi5EEEES1W_EELi16ELi32ELi256ELi256ELi128ELi16ELi16ELi8ELi8ELi32ELb0EE3RunILb1ELNS_10TailNumberE0ENSE_INSF_IJNSG_INSF_IJiiEEENSF_IJiSN_EEELb0EEENSV_IS2N_Lb0EEENST_IiEEEEENSF_IJS14_S2E_NS5_IJLi1EEEEEEENSF_IJNS5_IJLi1ELi2EEEENS5_IJLi3ELi4EEEES17_EEENS5_IJLi3ELi5ELi4EEEElEES1O_NS_35ThreadGroupTensorSliceTransfer_v4r1INS_15ThisThreadBlockILi256EEENS_16tensor_operation12element_wise11PassThroughES35_LNS_25InMemoryDataOperationEnumE0ENS5_IJLi8ELi256ELi16EEEENS5_IJLi8ELi32ELi1EEEENS5_IJLi1ELi0ELi2EEEESC_SC_RKS2Z_KS1O_S39_NS5_IJLi0ELi1ELi2EEEELi2ELi2ELi16ELi16ELi1ELi1ELb0ELb1ELi2EiEENS_13DynamicBufferILNS_16AddressSpaceEnumE1EKSC_lLb1ELNS_22AmdBufferCoherenceEnumE0EiEENSF_IJNS3F_ILS3G_2ESC_S1N_Lb1ELS3I_0EiEES3K_EEENSF_IJiiiEEENSE_INSF_IJNSG_INSF_IJiiiiEEENSF_IJiiiSN_EEELb0EEEEEES1T_S1V_S1U_lEENS_32ThreadwiseTensorSliceTransfer_v2ISD_SD_RKS3R_KS1X_NS5_IJLi8ELi1ELi1ELi32EEEENS5_IJLi1ELi2ELi0ELi3EEEELi3ELi32ELi0ELb1ELb0ELb0EEENS3F_ILS3G_1EKSD_lLb1ELS3I_0EiEENSF_IJNS_12StaticBufferILS3G_4ESD_Li256ELb1EEES42_EEES3N_NS_25StaticBufferTupleOfVectorILS3G_4EfLi64ELi4ELb1ELb0EEEEEvRKT1_RKT2_RT3_RKT4_RT5_RKT6_RKT7_RT8_RKT9_RT10_RKT11_RT12_iENKUlT_T0_E_clINSH_IiLi0EEESN_EEDaS51_S52_ENKUlS51_E_clINSH_IiLi5EEEEEDaS51_EUlS51_E_EEvS51_EUlS51_E_EEvS51_,@function
_ZNK2ck6detail7applierIiJLi0ELi1ELi2ELi3ELi4ELi5ELi6ELi7EEEclIZNKS_11static_fordINS_8SequenceIJLi1ELi8EEEENS5_IJLi0ELi1EEEEEclIZZZNKS_52BlockwiseGemmXdlops_pipeline_bpreshuffle_bdequant_v3ILNS_26BlockGemmPipelineSchedulerE0ELi256ENS_9f8_fnuz_tENS_7pk_i4_tESC_fNS_16TensorDescriptorINS_5TupleIJNS_5EmbedINSF_IJNS_17integral_constantIiLi8EEENSH_IiLi256EEENSH_IiLi16EEEEEENSF_IJSK_NSH_IiLi128EEENSH_IiLi1EEEEEELb0EEENS_3XorINSF_IJSJ_SI_EEELb1EEENS_11PassThroughISK_EENS_7UnMergeINSF_IJSI_SN_EEELb0EEENST_ISJ_EESU_NST_ISI_EENS_21Merge_v3_division_modINSF_IJSJ_SN_EEEEESU_EEENSF_IJNS5_IJLi0EEEENS5_IJLi2ELi1EEEENS5_IJLi3EEEENS5_IJLi5EEEENS5_IJLi4EEEENS5_IJLi6EEEENS5_IJLi7EEEENS5_IJLi9ELi8EEEENS5_IJLi10EEEEEEENSF_IJNS5_IJLi1ELi2ELi3EEEENS5_IJLi4ELi5EEEES19_NS5_IJLi7ELi8EEEENS5_IJLi9EEEES1C_NS5_IJLi11EEEENS5_IJLi12EEEENS5_IJLi13EEEEEEENS5_IJLi11ELi12ELi13EEEENSH_IlLl32768EEEEENSE_INSF_IJNSV_INSF_IJSI_SN_SN_NSH_IiLi32EEEEEELb0EEEEEENSF_IJS14_EEENSF_IJNS5_IJLi1ELi2ELi3ELi4EEEEEEES1U_NSH_IlLl256EEEEENSE_INSF_IJSP_SS_SU_SX_SY_SU_SZ_S12_SU_NS10_INSF_IJSI_SK_EEEEENSV_INSF_IJSI_NSH_IiLi2EEESK_EEELb0EEEEEENSF_IJS14_S15_S16_S17_S18_S19_S1A_S1B_S1C_NS5_IJLi11ELi13EEEES1J_EEENSF_IJS1E_S1F_S19_S1G_S1H_S1C_S1I_S1J_S1K_NS5_IJLi14EEEENS5_IJLi15ELi16ELi17EEEEEEENS5_IJLi15ELi16ELi17ELi14EEEES1N_EENSE_INSF_IJS1R_NS10_ISW_EES22_EEENSF_IJS14_NS5_IJLi1ELi3EEEENS5_IJLi2EEEEEEENSF_IJS1U_S17_NS5_IJLi6ELi7ELi8EEEEEEENS5_IJLi6ELi7ELi8ELi5EEEES1W_EELi16ELi32ELi256ELi256ELi128ELi16ELi16ELi8ELi8ELi32ELb0EE3RunILb1ELNS_10TailNumberE0ENSE_INSF_IJNSG_INSF_IJiiEEENSF_IJiSN_EEELb0EEENSV_IS2N_Lb0EEENST_IiEEEEENSF_IJS14_S2E_NS5_IJLi1EEEEEEENSF_IJNS5_IJLi1ELi2EEEENS5_IJLi3ELi4EEEES17_EEENS5_IJLi3ELi5ELi4EEEElEES1O_NS_35ThreadGroupTensorSliceTransfer_v4r1INS_15ThisThreadBlockILi256EEENS_16tensor_operation12element_wise11PassThroughES35_LNS_25InMemoryDataOperationEnumE0ENS5_IJLi8ELi256ELi16EEEENS5_IJLi8ELi32ELi1EEEENS5_IJLi1ELi0ELi2EEEESC_SC_RKS2Z_KS1O_S39_NS5_IJLi0ELi1ELi2EEEELi2ELi2ELi16ELi16ELi1ELi1ELb0ELb1ELi2EiEENS_13DynamicBufferILNS_16AddressSpaceEnumE1EKSC_lLb1ELNS_22AmdBufferCoherenceEnumE0EiEENSF_IJNS3F_ILS3G_2ESC_S1N_Lb1ELS3I_0EiEES3K_EEENSF_IJiiiEEENSE_INSF_IJNSG_INSF_IJiiiiEEENSF_IJiiiSN_EEELb0EEEEEES1T_S1V_S1U_lEENS_32ThreadwiseTensorSliceTransfer_v2ISD_SD_RKS3R_KS1X_NS5_IJLi8ELi1ELi1ELi32EEEENS5_IJLi1ELi2ELi0ELi3EEEELi3ELi32ELi0ELb1ELb0ELb0EEENS3F_ILS3G_1EKSD_lLb1ELS3I_0EiEENSF_IJNS_12StaticBufferILS3G_4ESD_Li256ELb1EEES42_EEES3N_NS_25StaticBufferTupleOfVectorILS3G_4EfLi64ELi4ELb1ELb0EEEEEvRKT1_RKT2_RT3_RKT4_RT5_RKT6_RKT7_RT8_RKT9_RT10_RKT11_RT12_iENKUlT_T0_E_clINSH_IiLi0EEESN_EEDaS51_S52_ENKUlS51_E_clINSH_IiLi5EEEEEDaS51_EUlS51_E_EEvS51_EUlS51_E_EEvS51_: ; @_ZNK2ck6detail7applierIiJLi0ELi1ELi2ELi3ELi4ELi5ELi6ELi7EEEclIZNKS_11static_fordINS_8SequenceIJLi1ELi8EEEENS5_IJLi0ELi1EEEEEclIZZZNKS_52BlockwiseGemmXdlops_pipeline_bpreshuffle_bdequant_v3ILNS_26BlockGemmPipelineSchedulerE0ELi256ENS_9f8_fnuz_tENS_7pk_i4_tESC_fNS_16TensorDescriptorINS_5TupleIJNS_5EmbedINSF_IJNS_17integral_constantIiLi8EEENSH_IiLi256EEENSH_IiLi16EEEEEENSF_IJSK_NSH_IiLi128EEENSH_IiLi1EEEEEELb0EEENS_3XorINSF_IJSJ_SI_EEELb1EEENS_11PassThroughISK_EENS_7UnMergeINSF_IJSI_SN_EEELb0EEENST_ISJ_EESU_NST_ISI_EENS_21Merge_v3_division_modINSF_IJSJ_SN_EEEEESU_EEENSF_IJNS5_IJLi0EEEENS5_IJLi2ELi1EEEENS5_IJLi3EEEENS5_IJLi5EEEENS5_IJLi4EEEENS5_IJLi6EEEENS5_IJLi7EEEENS5_IJLi9ELi8EEEENS5_IJLi10EEEEEEENSF_IJNS5_IJLi1ELi2ELi3EEEENS5_IJLi4ELi5EEEES19_NS5_IJLi7ELi8EEEENS5_IJLi9EEEES1C_NS5_IJLi11EEEENS5_IJLi12EEEENS5_IJLi13EEEEEEENS5_IJLi11ELi12ELi13EEEENSH_IlLl32768EEEEENSE_INSF_IJNSV_INSF_IJSI_SN_SN_NSH_IiLi32EEEEEELb0EEEEEENSF_IJS14_EEENSF_IJNS5_IJLi1ELi2ELi3ELi4EEEEEEES1U_NSH_IlLl256EEEEENSE_INSF_IJSP_SS_SU_SX_SY_SU_SZ_S12_SU_NS10_INSF_IJSI_SK_EEEEENSV_INSF_IJSI_NSH_IiLi2EEESK_EEELb0EEEEEENSF_IJS14_S15_S16_S17_S18_S19_S1A_S1B_S1C_NS5_IJLi11ELi13EEEES1J_EEENSF_IJS1E_S1F_S19_S1G_S1H_S1C_S1I_S1J_S1K_NS5_IJLi14EEEENS5_IJLi15ELi16ELi17EEEEEEENS5_IJLi15ELi16ELi17ELi14EEEES1N_EENSE_INSF_IJS1R_NS10_ISW_EES22_EEENSF_IJS14_NS5_IJLi1ELi3EEEENS5_IJLi2EEEEEEENSF_IJS1U_S17_NS5_IJLi6ELi7ELi8EEEEEEENS5_IJLi6ELi7ELi8ELi5EEEES1W_EELi16ELi32ELi256ELi256ELi128ELi16ELi16ELi8ELi8ELi32ELb0EE3RunILb1ELNS_10TailNumberE0ENSE_INSF_IJNSG_INSF_IJiiEEENSF_IJiSN_EEELb0EEENSV_IS2N_Lb0EEENST_IiEEEEENSF_IJS14_S2E_NS5_IJLi1EEEEEEENSF_IJNS5_IJLi1ELi2EEEENS5_IJLi3ELi4EEEES17_EEENS5_IJLi3ELi5ELi4EEEElEES1O_NS_35ThreadGroupTensorSliceTransfer_v4r1INS_15ThisThreadBlockILi256EEENS_16tensor_operation12element_wise11PassThroughES35_LNS_25InMemoryDataOperationEnumE0ENS5_IJLi8ELi256ELi16EEEENS5_IJLi8ELi32ELi1EEEENS5_IJLi1ELi0ELi2EEEESC_SC_RKS2Z_KS1O_S39_NS5_IJLi0ELi1ELi2EEEELi2ELi2ELi16ELi16ELi1ELi1ELb0ELb1ELi2EiEENS_13DynamicBufferILNS_16AddressSpaceEnumE1EKSC_lLb1ELNS_22AmdBufferCoherenceEnumE0EiEENSF_IJNS3F_ILS3G_2ESC_S1N_Lb1ELS3I_0EiEES3K_EEENSF_IJiiiEEENSE_INSF_IJNSG_INSF_IJiiiiEEENSF_IJiiiSN_EEELb0EEEEEES1T_S1V_S1U_lEENS_32ThreadwiseTensorSliceTransfer_v2ISD_SD_RKS3R_KS1X_NS5_IJLi8ELi1ELi1ELi32EEEENS5_IJLi1ELi2ELi0ELi3EEEELi3ELi32ELi0ELb1ELb0ELb0EEENS3F_ILS3G_1EKSD_lLb1ELS3I_0EiEENSF_IJNS_12StaticBufferILS3G_4ESD_Li256ELb1EEES42_EEES3N_NS_25StaticBufferTupleOfVectorILS3G_4EfLi64ELi4ELb1ELb0EEEEEvRKT1_RKT2_RT3_RKT4_RT5_RKT6_RKT7_RT8_RKT9_RT10_RKT11_RT12_iENKUlT_T0_E_clINSH_IiLi0EEESN_EEDaS51_S52_ENKUlS51_E_clINSH_IiLi5EEEEEDaS51_EUlS51_E_EEvS51_EUlS51_E_EEvS51_
; %bb.0:
	s_waitcnt vmcnt(0) expcnt(0) lgkmcnt(0)
	flat_load_dwordx4 v[20:23], v[0:1] offset:16
	flat_load_dwordx2 v[18:19], v[0:1] offset:32
	s_movk_i32 s4, 0x7f
                                        ; implicit-def: $sgpr10
	s_waitcnt vmcnt(0) lgkmcnt(0)
	flat_load_dwordx4 v[14:17], v[20:21] offset:32
	flat_load_dwordx4 v[6:9], v[20:21] offset:48
	flat_load_dwordx4 v[10:13], v[22:23]
	flat_load_dwordx4 v[2:5], v[22:23] offset:16
	s_waitcnt vmcnt(0) lgkmcnt(0)
	v_cmp_gt_i16_sdwa s[6:7], v14, s4 src0_sel:BYTE_0 src1_sel:DWORD
	s_mov_b64 s[4:5], 0
	s_and_saveexec_b64 s[8:9], s[6:7]
	s_xor_b64 s[6:7], exec, s[8:9]
	s_cbranch_execnz .LBB7_2049
; %bb.1:
	s_or_saveexec_b64 s[6:7], s[6:7]
	v_mov_b32_e32 v20, s10
	s_xor_b64 exec, exec, s[6:7]
	s_cbranch_execnz .LBB7_2052
.LBB7_2:
	s_or_b64 exec, exec, s[6:7]
	s_and_saveexec_b64 s[6:7], s[4:5]
	s_cbranch_execz .LBB7_4
.LBB7_3:
	v_and_b32_e32 v20, 7, v14
	v_ffbh_u32_e32 v22, v20
	v_min_u32_e32 v22, 32, v22
	v_lshrrev_b16_e32 v21, 3, v14
	v_subrev_u32_e32 v23, 28, v22
	v_and_b32_e32 v21, 15, v21
	v_lshlrev_b32_e32 v23, v23, v14
	v_sub_u32_e32 v22, 29, v22
	v_and_b32_e32 v23, 7, v23
	v_cmp_eq_u16_e32 vcc, 0, v21
	v_cndmask_b32_e32 v20, v20, v23, vcc
	v_cndmask_b32_e32 v21, v21, v22, vcc
	v_lshlrev_b32_e32 v22, 24, v14
	v_mov_b32_e32 v23, 0x3b800000
	v_lshlrev_b32_e32 v20, 20, v20
	v_and_b32_e32 v22, 0x80000000, v22
	v_lshl_add_u32 v21, v21, 23, v23
	v_or3_b32 v20, v22, v21, v20
.LBB7_4:
	s_or_b64 exec, exec, s[6:7]
	s_movk_i32 s4, 0x7f
	v_cmp_gt_i16_sdwa s[6:7], v10, s4 src0_sel:BYTE_0 src1_sel:DWORD
	s_mov_b64 s[4:5], 0
                                        ; implicit-def: $sgpr10
	s_and_saveexec_b64 s[8:9], s[6:7]
	s_xor_b64 s[6:7], exec, s[8:9]
	s_cbranch_execnz .LBB7_2053
; %bb.5:
	s_or_saveexec_b64 s[6:7], s[6:7]
	v_mov_b32_e32 v21, s10
	s_xor_b64 exec, exec, s[6:7]
	s_cbranch_execnz .LBB7_2056
.LBB7_6:
	s_or_b64 exec, exec, s[6:7]
	s_and_saveexec_b64 s[6:7], s[4:5]
	s_cbranch_execz .LBB7_8
.LBB7_7:
	v_and_b32_e32 v21, 7, v10
	v_ffbh_u32_e32 v23, v21
	v_min_u32_e32 v23, 32, v23
	v_lshrrev_b16_e32 v22, 3, v10
	v_subrev_u32_e32 v24, 28, v23
	v_and_b32_e32 v22, 15, v22
	v_lshlrev_b32_e32 v24, v24, v10
	v_sub_u32_e32 v23, 29, v23
	v_and_b32_e32 v24, 7, v24
	v_cmp_eq_u16_e32 vcc, 0, v22
	v_cndmask_b32_e32 v21, v21, v24, vcc
	v_cndmask_b32_e32 v22, v22, v23, vcc
	v_lshlrev_b32_e32 v23, 24, v10
	v_mov_b32_e32 v24, 0x3b800000
	v_lshlrev_b32_e32 v21, 20, v21
	v_and_b32_e32 v23, 0x80000000, v23
	v_lshl_add_u32 v22, v22, 23, v24
	v_or3_b32 v21, v23, v22, v21
.LBB7_8:
	s_or_b64 exec, exec, s[6:7]
	flat_load_dwordx4 a[0:3], v[18:19] offset:640
	s_movk_i32 s4, 0x7f
                                        ; implicit-def: $sgpr10
	s_waitcnt vmcnt(0) lgkmcnt(0)
	v_mfma_f32_16x16x4f32 a[0:3], v20, v21, a[0:3]
	v_lshrrev_b32_e32 v21, 8, v14
	v_cmp_gt_i16_sdwa s[6:7], v21, s4 src0_sel:BYTE_0 src1_sel:DWORD
	s_mov_b64 s[4:5], 0
	s_and_saveexec_b64 s[8:9], s[6:7]
	s_xor_b64 s[6:7], exec, s[8:9]
	s_cbranch_execnz .LBB7_2057
; %bb.9:
	s_or_saveexec_b64 s[6:7], s[6:7]
	v_mov_b32_e32 v20, s10
	s_xor_b64 exec, exec, s[6:7]
	s_cbranch_execnz .LBB7_2060
.LBB7_10:
	s_or_b64 exec, exec, s[6:7]
	s_and_saveexec_b64 s[6:7], s[4:5]
	s_cbranch_execz .LBB7_12
.LBB7_11:
	v_bfe_u32 v20, v14, 8, 3
	v_ffbh_u32_e32 v23, v20
	v_min_u32_e32 v23, 32, v23
	v_lshrrev_b16_e32 v22, 3, v21
	v_subrev_u32_e32 v24, 28, v23
	v_and_b32_e32 v22, 15, v22
	v_lshlrev_b32_e32 v21, v24, v21
	v_sub_u32_e32 v23, 29, v23
	v_and_b32_e32 v21, 7, v21
	v_cmp_eq_u16_e32 vcc, 0, v22
	v_cndmask_b32_e32 v20, v20, v21, vcc
	v_cndmask_b32_e32 v21, v22, v23, vcc
	v_lshlrev_b32_e32 v22, 16, v14
	v_mov_b32_e32 v23, 0x3b800000
	v_lshlrev_b32_e32 v20, 20, v20
	v_and_b32_e32 v22, 0x80000000, v22
	v_lshl_add_u32 v21, v21, 23, v23
	v_or3_b32 v20, v22, v21, v20
.LBB7_12:
	s_or_b64 exec, exec, s[6:7]
	v_lshrrev_b32_e32 v21, 8, v10
	s_movk_i32 s4, 0x7f
	v_cmp_gt_i16_sdwa s[6:7], v21, s4 src0_sel:BYTE_0 src1_sel:DWORD
	s_mov_b64 s[4:5], 0
                                        ; implicit-def: $sgpr10
	s_and_saveexec_b64 s[8:9], s[6:7]
	s_xor_b64 s[6:7], exec, s[8:9]
	s_cbranch_execnz .LBB7_2061
; %bb.13:
	s_or_saveexec_b64 s[6:7], s[6:7]
	v_mov_b32_e32 v22, s10
	s_xor_b64 exec, exec, s[6:7]
	s_cbranch_execnz .LBB7_2064
.LBB7_14:
	s_or_b64 exec, exec, s[6:7]
	s_and_saveexec_b64 s[6:7], s[4:5]
	s_cbranch_execz .LBB7_16
.LBB7_15:
	v_bfe_u32 v22, v10, 8, 3
	v_ffbh_u32_e32 v24, v22
	v_min_u32_e32 v24, 32, v24
	v_lshrrev_b16_e32 v23, 3, v21
	v_subrev_u32_e32 v25, 28, v24
	v_and_b32_e32 v23, 15, v23
	v_lshlrev_b32_e32 v21, v25, v21
	v_sub_u32_e32 v24, 29, v24
	v_and_b32_e32 v21, 7, v21
	v_cmp_eq_u16_e32 vcc, 0, v23
	v_cndmask_b32_e32 v21, v22, v21, vcc
	v_cndmask_b32_e32 v22, v23, v24, vcc
	v_lshlrev_b32_e32 v23, 16, v10
	v_mov_b32_e32 v24, 0x3b800000
	v_lshlrev_b32_e32 v21, 20, v21
	v_and_b32_e32 v23, 0x80000000, v23
	v_lshl_add_u32 v22, v22, 23, v24
	v_or3_b32 v22, v23, v22, v21
.LBB7_16:
	s_or_b64 exec, exec, s[6:7]
	s_nop 0
	v_mfma_f32_16x16x4f32 a[0:3], v20, v22, a[0:3]
	s_movk_i32 s4, 0xff
	v_and_b32_sdwa v21, v14, s4 dst_sel:DWORD dst_unused:UNUSED_PAD src0_sel:WORD_1 src1_sel:DWORD
	s_movk_i32 s4, 0x7f
	v_cmp_lt_i16_e32 vcc, s4, v21
	s_mov_b64 s[4:5], 0
                                        ; implicit-def: $sgpr10
	s_and_saveexec_b64 s[6:7], vcc
	s_xor_b64 s[6:7], exec, s[6:7]
	s_cbranch_execnz .LBB7_2065
; %bb.17:
	s_or_saveexec_b64 s[6:7], s[6:7]
	v_mov_b32_e32 v20, s10
	s_xor_b64 exec, exec, s[6:7]
	s_cbranch_execnz .LBB7_2068
.LBB7_18:
	s_or_b64 exec, exec, s[6:7]
	s_and_saveexec_b64 s[6:7], s[4:5]
	s_cbranch_execz .LBB7_20
.LBB7_19:
	v_bfe_u32 v20, v14, 16, 3
	v_ffbh_u32_e32 v23, v20
	v_min_u32_e32 v23, 32, v23
	v_lshrrev_b32_e32 v21, 19, v14
	v_subrev_u32_e32 v24, 28, v23
	v_and_b32_e32 v21, 15, v21
	v_lshlrev_b32_sdwa v24, v24, v14 dst_sel:DWORD dst_unused:UNUSED_PAD src0_sel:DWORD src1_sel:WORD_1
	v_bfe_u32 v22, v14, 19, 4
	v_sub_u32_e32 v23, 29, v23
	v_and_b32_e32 v24, 7, v24
	v_cmp_eq_u16_e32 vcc, 0, v21
	v_cndmask_b32_e32 v20, v20, v24, vcc
	v_cndmask_b32_e32 v21, v22, v23, vcc
	v_lshlrev_b32_e32 v22, 8, v14
	v_mov_b32_e32 v23, 0x3b800000
	v_lshlrev_b32_e32 v20, 20, v20
	v_and_b32_e32 v22, 0x80000000, v22
	v_lshl_add_u32 v21, v21, 23, v23
	v_or3_b32 v20, v22, v21, v20
.LBB7_20:
	s_or_b64 exec, exec, s[6:7]
	s_movk_i32 s4, 0xff
	v_and_b32_sdwa v21, v10, s4 dst_sel:DWORD dst_unused:UNUSED_PAD src0_sel:WORD_1 src1_sel:DWORD
	s_movk_i32 s4, 0x7f
	v_cmp_lt_i16_e32 vcc, s4, v21
	s_mov_b64 s[4:5], 0
                                        ; implicit-def: $sgpr10
	s_and_saveexec_b64 s[6:7], vcc
	s_xor_b64 s[6:7], exec, s[6:7]
	s_cbranch_execnz .LBB7_2069
; %bb.21:
	s_or_saveexec_b64 s[6:7], s[6:7]
	v_mov_b32_e32 v22, s10
	s_xor_b64 exec, exec, s[6:7]
	s_cbranch_execnz .LBB7_2072
.LBB7_22:
	s_or_b64 exec, exec, s[6:7]
	s_and_saveexec_b64 s[6:7], s[4:5]
	s_cbranch_execz .LBB7_24
.LBB7_23:
	v_bfe_u32 v21, v10, 16, 3
	v_ffbh_u32_e32 v24, v21
	v_min_u32_e32 v24, 32, v24
	v_lshrrev_b32_e32 v22, 19, v10
	v_subrev_u32_e32 v25, 28, v24
	v_and_b32_e32 v22, 15, v22
	v_lshlrev_b32_sdwa v25, v25, v10 dst_sel:DWORD dst_unused:UNUSED_PAD src0_sel:DWORD src1_sel:WORD_1
	v_bfe_u32 v23, v10, 19, 4
	v_sub_u32_e32 v24, 29, v24
	v_and_b32_e32 v25, 7, v25
	v_cmp_eq_u16_e32 vcc, 0, v22
	v_cndmask_b32_e32 v21, v21, v25, vcc
	v_cndmask_b32_e32 v22, v23, v24, vcc
	v_lshlrev_b32_e32 v23, 8, v10
	v_mov_b32_e32 v24, 0x3b800000
	v_lshlrev_b32_e32 v21, 20, v21
	v_and_b32_e32 v23, 0x80000000, v23
	v_lshl_add_u32 v22, v22, 23, v24
	v_or3_b32 v22, v23, v22, v21
.LBB7_24:
	s_or_b64 exec, exec, s[6:7]
	s_nop 0
	v_mfma_f32_16x16x4f32 a[0:3], v20, v22, a[0:3]
	s_movk_i32 s4, 0x7f
	v_cmp_gt_i16_sdwa s[6:7], v14, s4 src0_sel:BYTE_3 src1_sel:DWORD
	s_mov_b64 s[4:5], 0
                                        ; implicit-def: $sgpr10
	s_and_saveexec_b64 s[8:9], s[6:7]
	s_xor_b64 s[6:7], exec, s[8:9]
	s_cbranch_execnz .LBB7_2073
; %bb.25:
	s_or_saveexec_b64 s[6:7], s[6:7]
	v_mov_b32_e32 v20, s10
	s_xor_b64 exec, exec, s[6:7]
	s_cbranch_execnz .LBB7_2076
.LBB7_26:
	s_or_b64 exec, exec, s[6:7]
	s_and_saveexec_b64 s[6:7], s[4:5]
	s_cbranch_execz .LBB7_28
.LBB7_27:
	v_bfe_u32 v20, v14, 24, 3
	v_ffbh_u32_e32 v24, v20
	v_min_u32_e32 v24, 32, v24
	v_lshrrev_b32_e32 v22, 27, v14
	v_subrev_u32_e32 v25, 28, v24
	v_and_b32_e32 v21, 0x80000000, v14
	v_and_b32_e32 v22, 15, v22
	v_bfe_u32 v23, v14, 27, 4
	v_lshlrev_b32_sdwa v14, v25, v14 dst_sel:DWORD dst_unused:UNUSED_PAD src0_sel:DWORD src1_sel:BYTE_3
	v_sub_u32_e32 v24, 29, v24
	v_and_b32_e32 v14, 7, v14
	v_cmp_eq_u16_e32 vcc, 0, v22
	v_cndmask_b32_e32 v14, v20, v14, vcc
	v_cndmask_b32_e32 v20, v23, v24, vcc
	v_mov_b32_e32 v22, 0x3b800000
	v_lshlrev_b32_e32 v14, 20, v14
	v_lshl_add_u32 v20, v20, 23, v22
	v_or3_b32 v20, v21, v20, v14
.LBB7_28:
	s_or_b64 exec, exec, s[6:7]
	s_movk_i32 s4, 0x7f
	v_cmp_gt_i16_sdwa s[6:7], v10, s4 src0_sel:BYTE_3 src1_sel:DWORD
	s_mov_b64 s[4:5], 0
                                        ; implicit-def: $sgpr10
	s_and_saveexec_b64 s[8:9], s[6:7]
	s_xor_b64 s[6:7], exec, s[8:9]
	s_cbranch_execnz .LBB7_2077
; %bb.29:
	s_or_saveexec_b64 s[6:7], s[6:7]
	v_mov_b32_e32 v14, s10
	s_xor_b64 exec, exec, s[6:7]
	s_cbranch_execnz .LBB7_2080
.LBB7_30:
	s_or_b64 exec, exec, s[6:7]
	s_and_saveexec_b64 s[6:7], s[4:5]
	s_cbranch_execz .LBB7_32
.LBB7_31:
	v_bfe_u32 v14, v10, 24, 3
	v_ffbh_u32_e32 v24, v14
	v_min_u32_e32 v24, 32, v24
	v_lshrrev_b32_e32 v22, 27, v10
	v_subrev_u32_e32 v25, 28, v24
	v_and_b32_e32 v21, 0x80000000, v10
	v_and_b32_e32 v22, 15, v22
	v_bfe_u32 v23, v10, 27, 4
	v_lshlrev_b32_sdwa v10, v25, v10 dst_sel:DWORD dst_unused:UNUSED_PAD src0_sel:DWORD src1_sel:BYTE_3
	v_sub_u32_e32 v24, 29, v24
	v_and_b32_e32 v10, 7, v10
	v_cmp_eq_u16_e32 vcc, 0, v22
	v_cndmask_b32_e32 v10, v14, v10, vcc
	v_cndmask_b32_e32 v14, v23, v24, vcc
	v_mov_b32_e32 v22, 0x3b800000
	v_lshlrev_b32_e32 v10, 20, v10
	v_lshl_add_u32 v14, v14, 23, v22
	v_or3_b32 v14, v21, v14, v10
.LBB7_32:
	s_or_b64 exec, exec, s[6:7]
	s_nop 0
	v_mfma_f32_16x16x4f32 a[0:3], v20, v14, a[0:3]
	s_movk_i32 s4, 0x7f
	v_cmp_gt_i16_sdwa s[6:7], v15, s4 src0_sel:BYTE_0 src1_sel:DWORD
	s_mov_b64 s[4:5], 0
                                        ; implicit-def: $sgpr10
	s_and_saveexec_b64 s[8:9], s[6:7]
	s_xor_b64 s[6:7], exec, s[8:9]
	s_cbranch_execnz .LBB7_2081
; %bb.33:
	s_or_saveexec_b64 s[6:7], s[6:7]
	v_mov_b32_e32 v10, s10
	s_xor_b64 exec, exec, s[6:7]
	s_cbranch_execnz .LBB7_2084
.LBB7_34:
	s_or_b64 exec, exec, s[6:7]
	s_and_saveexec_b64 s[6:7], s[4:5]
	s_cbranch_execz .LBB7_36
.LBB7_35:
	v_and_b32_e32 v10, 7, v15
	v_ffbh_u32_e32 v20, v10
	v_min_u32_e32 v20, 32, v20
	v_lshrrev_b16_e32 v14, 3, v15
	v_subrev_u32_e32 v21, 28, v20
	v_and_b32_e32 v14, 15, v14
	v_lshlrev_b32_e32 v21, v21, v15
	v_sub_u32_e32 v20, 29, v20
	v_and_b32_e32 v21, 7, v21
	v_cmp_eq_u16_e32 vcc, 0, v14
	v_cndmask_b32_e32 v10, v10, v21, vcc
	v_cndmask_b32_e32 v14, v14, v20, vcc
	v_lshlrev_b32_e32 v20, 24, v15
	v_mov_b32_e32 v21, 0x3b800000
	v_lshlrev_b32_e32 v10, 20, v10
	v_and_b32_e32 v20, 0x80000000, v20
	v_lshl_add_u32 v14, v14, 23, v21
	v_or3_b32 v10, v20, v14, v10
.LBB7_36:
	s_or_b64 exec, exec, s[6:7]
	s_movk_i32 s4, 0x7f
	v_cmp_gt_i16_sdwa s[6:7], v11, s4 src0_sel:BYTE_0 src1_sel:DWORD
	s_mov_b64 s[4:5], 0
                                        ; implicit-def: $sgpr10
	s_and_saveexec_b64 s[8:9], s[6:7]
	s_xor_b64 s[6:7], exec, s[8:9]
	s_cbranch_execnz .LBB7_2085
; %bb.37:
	s_or_saveexec_b64 s[6:7], s[6:7]
	v_mov_b32_e32 v14, s10
	s_xor_b64 exec, exec, s[6:7]
	s_cbranch_execnz .LBB7_2088
.LBB7_38:
	s_or_b64 exec, exec, s[6:7]
	s_and_saveexec_b64 s[6:7], s[4:5]
	s_cbranch_execz .LBB7_40
.LBB7_39:
	v_and_b32_e32 v14, 7, v11
	v_ffbh_u32_e32 v21, v14
	v_min_u32_e32 v21, 32, v21
	v_lshrrev_b16_e32 v20, 3, v11
	v_subrev_u32_e32 v22, 28, v21
	v_and_b32_e32 v20, 15, v20
	v_lshlrev_b32_e32 v22, v22, v11
	v_sub_u32_e32 v21, 29, v21
	v_and_b32_e32 v22, 7, v22
	v_cmp_eq_u16_e32 vcc, 0, v20
	v_cndmask_b32_e32 v14, v14, v22, vcc
	v_cndmask_b32_e32 v20, v20, v21, vcc
	v_lshlrev_b32_e32 v21, 24, v11
	v_mov_b32_e32 v22, 0x3b800000
	v_lshlrev_b32_e32 v14, 20, v14
	v_and_b32_e32 v21, 0x80000000, v21
	v_lshl_add_u32 v20, v20, 23, v22
	v_or3_b32 v14, v21, v20, v14
.LBB7_40:
	s_or_b64 exec, exec, s[6:7]
	s_nop 0
	v_mfma_f32_16x16x4f32 a[0:3], v10, v14, a[0:3]
	v_lshrrev_b32_e32 v14, 8, v15
	s_movk_i32 s4, 0x7f
	v_cmp_gt_i16_sdwa s[6:7], v14, s4 src0_sel:BYTE_0 src1_sel:DWORD
	s_mov_b64 s[4:5], 0
                                        ; implicit-def: $sgpr10
	s_and_saveexec_b64 s[8:9], s[6:7]
	s_xor_b64 s[6:7], exec, s[8:9]
	s_cbranch_execnz .LBB7_2089
; %bb.41:
	s_or_saveexec_b64 s[6:7], s[6:7]
	v_mov_b32_e32 v10, s10
	s_xor_b64 exec, exec, s[6:7]
	s_cbranch_execnz .LBB7_2092
.LBB7_42:
	s_or_b64 exec, exec, s[6:7]
	s_and_saveexec_b64 s[6:7], s[4:5]
	s_cbranch_execz .LBB7_44
.LBB7_43:
	v_bfe_u32 v10, v15, 8, 3
	v_ffbh_u32_e32 v21, v10
	v_min_u32_e32 v21, 32, v21
	v_lshrrev_b16_e32 v20, 3, v14
	v_subrev_u32_e32 v22, 28, v21
	v_and_b32_e32 v20, 15, v20
	v_lshlrev_b32_e32 v14, v22, v14
	v_sub_u32_e32 v21, 29, v21
	v_and_b32_e32 v14, 7, v14
	v_cmp_eq_u16_e32 vcc, 0, v20
	v_cndmask_b32_e32 v10, v10, v14, vcc
	v_cndmask_b32_e32 v14, v20, v21, vcc
	v_lshlrev_b32_e32 v20, 16, v15
	v_mov_b32_e32 v21, 0x3b800000
	v_lshlrev_b32_e32 v10, 20, v10
	v_and_b32_e32 v20, 0x80000000, v20
	v_lshl_add_u32 v14, v14, 23, v21
	v_or3_b32 v10, v20, v14, v10
.LBB7_44:
	s_or_b64 exec, exec, s[6:7]
	v_lshrrev_b32_e32 v14, 8, v11
	s_movk_i32 s4, 0x7f
	v_cmp_gt_i16_sdwa s[6:7], v14, s4 src0_sel:BYTE_0 src1_sel:DWORD
	s_mov_b64 s[4:5], 0
                                        ; implicit-def: $sgpr10
	s_and_saveexec_b64 s[8:9], s[6:7]
	s_xor_b64 s[6:7], exec, s[8:9]
	s_cbranch_execnz .LBB7_2093
; %bb.45:
	s_or_saveexec_b64 s[6:7], s[6:7]
	v_mov_b32_e32 v20, s10
	s_xor_b64 exec, exec, s[6:7]
	s_cbranch_execnz .LBB7_2096
.LBB7_46:
	s_or_b64 exec, exec, s[6:7]
	s_and_saveexec_b64 s[6:7], s[4:5]
	s_cbranch_execz .LBB7_48
.LBB7_47:
	v_bfe_u32 v20, v11, 8, 3
	v_ffbh_u32_e32 v22, v20
	v_min_u32_e32 v22, 32, v22
	v_lshrrev_b16_e32 v21, 3, v14
	v_subrev_u32_e32 v23, 28, v22
	v_and_b32_e32 v21, 15, v21
	v_lshlrev_b32_e32 v14, v23, v14
	v_sub_u32_e32 v22, 29, v22
	v_and_b32_e32 v14, 7, v14
	v_cmp_eq_u16_e32 vcc, 0, v21
	v_cndmask_b32_e32 v14, v20, v14, vcc
	v_cndmask_b32_e32 v20, v21, v22, vcc
	v_lshlrev_b32_e32 v21, 16, v11
	v_mov_b32_e32 v22, 0x3b800000
	v_lshlrev_b32_e32 v14, 20, v14
	v_and_b32_e32 v21, 0x80000000, v21
	v_lshl_add_u32 v20, v20, 23, v22
	v_or3_b32 v20, v21, v20, v14
.LBB7_48:
	s_or_b64 exec, exec, s[6:7]
	s_nop 0
	v_mfma_f32_16x16x4f32 a[0:3], v10, v20, a[0:3]
	s_movk_i32 s4, 0xff
	v_and_b32_sdwa v14, v15, s4 dst_sel:DWORD dst_unused:UNUSED_PAD src0_sel:WORD_1 src1_sel:DWORD
	s_movk_i32 s4, 0x7f
	v_cmp_lt_i16_e32 vcc, s4, v14
	s_mov_b64 s[4:5], 0
                                        ; implicit-def: $sgpr10
	s_and_saveexec_b64 s[6:7], vcc
	s_xor_b64 s[6:7], exec, s[6:7]
	s_cbranch_execnz .LBB7_2097
; %bb.49:
	s_or_saveexec_b64 s[6:7], s[6:7]
	v_mov_b32_e32 v10, s10
	s_xor_b64 exec, exec, s[6:7]
	s_cbranch_execnz .LBB7_2100
.LBB7_50:
	s_or_b64 exec, exec, s[6:7]
	s_and_saveexec_b64 s[6:7], s[4:5]
	s_cbranch_execz .LBB7_52
.LBB7_51:
	v_bfe_u32 v10, v15, 16, 3
	v_ffbh_u32_e32 v21, v10
	v_min_u32_e32 v21, 32, v21
	v_lshrrev_b32_e32 v14, 19, v15
	v_subrev_u32_e32 v22, 28, v21
	v_and_b32_e32 v14, 15, v14
	v_lshlrev_b32_sdwa v22, v22, v15 dst_sel:DWORD dst_unused:UNUSED_PAD src0_sel:DWORD src1_sel:WORD_1
	v_bfe_u32 v20, v15, 19, 4
	v_sub_u32_e32 v21, 29, v21
	v_and_b32_e32 v22, 7, v22
	v_cmp_eq_u16_e32 vcc, 0, v14
	v_cndmask_b32_e32 v10, v10, v22, vcc
	v_cndmask_b32_e32 v14, v20, v21, vcc
	v_lshlrev_b32_e32 v20, 8, v15
	v_mov_b32_e32 v21, 0x3b800000
	v_lshlrev_b32_e32 v10, 20, v10
	v_and_b32_e32 v20, 0x80000000, v20
	v_lshl_add_u32 v14, v14, 23, v21
	v_or3_b32 v10, v20, v14, v10
.LBB7_52:
	s_or_b64 exec, exec, s[6:7]
	s_movk_i32 s4, 0xff
	v_and_b32_sdwa v14, v11, s4 dst_sel:DWORD dst_unused:UNUSED_PAD src0_sel:WORD_1 src1_sel:DWORD
	s_movk_i32 s4, 0x7f
	v_cmp_lt_i16_e32 vcc, s4, v14
	s_mov_b64 s[4:5], 0
                                        ; implicit-def: $sgpr10
	s_and_saveexec_b64 s[6:7], vcc
	s_xor_b64 s[6:7], exec, s[6:7]
	s_cbranch_execnz .LBB7_2101
; %bb.53:
	s_or_saveexec_b64 s[6:7], s[6:7]
	v_mov_b32_e32 v20, s10
	s_xor_b64 exec, exec, s[6:7]
	s_cbranch_execnz .LBB7_2104
.LBB7_54:
	s_or_b64 exec, exec, s[6:7]
	s_and_saveexec_b64 s[6:7], s[4:5]
	s_cbranch_execz .LBB7_56
.LBB7_55:
	v_bfe_u32 v14, v11, 16, 3
	v_ffbh_u32_e32 v22, v14
	v_min_u32_e32 v22, 32, v22
	v_lshrrev_b32_e32 v20, 19, v11
	v_subrev_u32_e32 v23, 28, v22
	v_and_b32_e32 v20, 15, v20
	v_lshlrev_b32_sdwa v23, v23, v11 dst_sel:DWORD dst_unused:UNUSED_PAD src0_sel:DWORD src1_sel:WORD_1
	v_bfe_u32 v21, v11, 19, 4
	v_sub_u32_e32 v22, 29, v22
	v_and_b32_e32 v23, 7, v23
	v_cmp_eq_u16_e32 vcc, 0, v20
	v_cndmask_b32_e32 v14, v14, v23, vcc
	v_cndmask_b32_e32 v20, v21, v22, vcc
	v_lshlrev_b32_e32 v21, 8, v11
	v_mov_b32_e32 v22, 0x3b800000
	v_lshlrev_b32_e32 v14, 20, v14
	v_and_b32_e32 v21, 0x80000000, v21
	v_lshl_add_u32 v20, v20, 23, v22
	v_or3_b32 v20, v21, v20, v14
.LBB7_56:
	s_or_b64 exec, exec, s[6:7]
	s_nop 0
	v_mfma_f32_16x16x4f32 a[0:3], v10, v20, a[0:3]
	s_movk_i32 s4, 0x7f
	v_cmp_gt_i16_sdwa s[6:7], v15, s4 src0_sel:BYTE_3 src1_sel:DWORD
	s_mov_b64 s[4:5], 0
                                        ; implicit-def: $sgpr10
	s_and_saveexec_b64 s[8:9], s[6:7]
	s_xor_b64 s[6:7], exec, s[8:9]
	s_cbranch_execnz .LBB7_2105
; %bb.57:
	s_or_saveexec_b64 s[6:7], s[6:7]
	v_mov_b32_e32 v10, s10
	s_xor_b64 exec, exec, s[6:7]
	s_cbranch_execnz .LBB7_2108
.LBB7_58:
	s_or_b64 exec, exec, s[6:7]
	s_and_saveexec_b64 s[6:7], s[4:5]
	s_cbranch_execz .LBB7_60
.LBB7_59:
	v_bfe_u32 v10, v15, 24, 3
	v_ffbh_u32_e32 v22, v10
	v_min_u32_e32 v22, 32, v22
	v_lshrrev_b32_e32 v20, 27, v15
	v_subrev_u32_e32 v23, 28, v22
	v_and_b32_e32 v14, 0x80000000, v15
	v_and_b32_e32 v20, 15, v20
	v_bfe_u32 v21, v15, 27, 4
	v_lshlrev_b32_sdwa v15, v23, v15 dst_sel:DWORD dst_unused:UNUSED_PAD src0_sel:DWORD src1_sel:BYTE_3
	v_sub_u32_e32 v22, 29, v22
	v_and_b32_e32 v15, 7, v15
	v_cmp_eq_u16_e32 vcc, 0, v20
	v_cndmask_b32_e32 v10, v10, v15, vcc
	v_cndmask_b32_e32 v15, v21, v22, vcc
	v_mov_b32_e32 v20, 0x3b800000
	v_lshlrev_b32_e32 v10, 20, v10
	v_lshl_add_u32 v15, v15, 23, v20
	v_or3_b32 v10, v14, v15, v10
.LBB7_60:
	s_or_b64 exec, exec, s[6:7]
	s_movk_i32 s4, 0x7f
	v_cmp_gt_i16_sdwa s[6:7], v11, s4 src0_sel:BYTE_3 src1_sel:DWORD
	s_mov_b64 s[4:5], 0
                                        ; implicit-def: $sgpr10
	s_and_saveexec_b64 s[8:9], s[6:7]
	s_xor_b64 s[6:7], exec, s[8:9]
	s_cbranch_execnz .LBB7_2109
; %bb.61:
	s_or_saveexec_b64 s[6:7], s[6:7]
	v_mov_b32_e32 v14, s10
	s_xor_b64 exec, exec, s[6:7]
	s_cbranch_execnz .LBB7_2112
.LBB7_62:
	s_or_b64 exec, exec, s[6:7]
	s_and_saveexec_b64 s[6:7], s[4:5]
	s_cbranch_execz .LBB7_64
.LBB7_63:
	v_bfe_u32 v14, v11, 24, 3
	v_ffbh_u32_e32 v22, v14
	v_min_u32_e32 v22, 32, v22
	v_lshrrev_b32_e32 v20, 27, v11
	v_subrev_u32_e32 v23, 28, v22
	v_and_b32_e32 v15, 0x80000000, v11
	v_and_b32_e32 v20, 15, v20
	v_bfe_u32 v21, v11, 27, 4
	v_lshlrev_b32_sdwa v11, v23, v11 dst_sel:DWORD dst_unused:UNUSED_PAD src0_sel:DWORD src1_sel:BYTE_3
	v_sub_u32_e32 v22, 29, v22
	v_and_b32_e32 v11, 7, v11
	v_cmp_eq_u16_e32 vcc, 0, v20
	v_cndmask_b32_e32 v11, v14, v11, vcc
	v_cndmask_b32_e32 v14, v21, v22, vcc
	v_mov_b32_e32 v20, 0x3b800000
	v_lshlrev_b32_e32 v11, 20, v11
	v_lshl_add_u32 v14, v14, 23, v20
	v_or3_b32 v14, v15, v14, v11
.LBB7_64:
	s_or_b64 exec, exec, s[6:7]
	s_nop 0
	v_mfma_f32_16x16x4f32 a[0:3], v10, v14, a[0:3]
	s_movk_i32 s4, 0x7f
	v_cmp_gt_i16_sdwa s[6:7], v16, s4 src0_sel:BYTE_0 src1_sel:DWORD
	s_mov_b64 s[4:5], 0
                                        ; implicit-def: $sgpr10
	s_and_saveexec_b64 s[8:9], s[6:7]
	s_xor_b64 s[6:7], exec, s[8:9]
	s_cbranch_execnz .LBB7_2113
; %bb.65:
	s_or_saveexec_b64 s[6:7], s[6:7]
	v_mov_b32_e32 v10, s10
	s_xor_b64 exec, exec, s[6:7]
	s_cbranch_execnz .LBB7_2116
.LBB7_66:
	s_or_b64 exec, exec, s[6:7]
	s_and_saveexec_b64 s[6:7], s[4:5]
	s_cbranch_execz .LBB7_68
.LBB7_67:
	v_and_b32_e32 v10, 7, v16
	v_ffbh_u32_e32 v14, v10
	v_min_u32_e32 v14, 32, v14
	v_lshrrev_b16_e32 v11, 3, v16
	v_subrev_u32_e32 v15, 28, v14
	v_and_b32_e32 v11, 15, v11
	v_lshlrev_b32_e32 v15, v15, v16
	v_sub_u32_e32 v14, 29, v14
	v_and_b32_e32 v15, 7, v15
	v_cmp_eq_u16_e32 vcc, 0, v11
	v_cndmask_b32_e32 v10, v10, v15, vcc
	v_cndmask_b32_e32 v11, v11, v14, vcc
	v_lshlrev_b32_e32 v14, 24, v16
	v_mov_b32_e32 v15, 0x3b800000
	v_lshlrev_b32_e32 v10, 20, v10
	v_and_b32_e32 v14, 0x80000000, v14
	v_lshl_add_u32 v11, v11, 23, v15
	v_or3_b32 v10, v14, v11, v10
.LBB7_68:
	s_or_b64 exec, exec, s[6:7]
	s_movk_i32 s4, 0x7f
	v_cmp_gt_i16_sdwa s[6:7], v12, s4 src0_sel:BYTE_0 src1_sel:DWORD
	s_mov_b64 s[4:5], 0
                                        ; implicit-def: $sgpr10
	s_and_saveexec_b64 s[8:9], s[6:7]
	s_xor_b64 s[6:7], exec, s[8:9]
	s_cbranch_execnz .LBB7_2117
; %bb.69:
	s_or_saveexec_b64 s[6:7], s[6:7]
	v_mov_b32_e32 v11, s10
	s_xor_b64 exec, exec, s[6:7]
	s_cbranch_execnz .LBB7_2120
.LBB7_70:
	s_or_b64 exec, exec, s[6:7]
	s_and_saveexec_b64 s[6:7], s[4:5]
	s_cbranch_execz .LBB7_72
.LBB7_71:
	v_and_b32_e32 v11, 7, v12
	v_ffbh_u32_e32 v15, v11
	v_min_u32_e32 v15, 32, v15
	v_lshrrev_b16_e32 v14, 3, v12
	v_subrev_u32_e32 v20, 28, v15
	v_and_b32_e32 v14, 15, v14
	v_lshlrev_b32_e32 v20, v20, v12
	v_sub_u32_e32 v15, 29, v15
	v_and_b32_e32 v20, 7, v20
	v_cmp_eq_u16_e32 vcc, 0, v14
	v_cndmask_b32_e32 v11, v11, v20, vcc
	v_cndmask_b32_e32 v14, v14, v15, vcc
	v_lshlrev_b32_e32 v15, 24, v12
	v_mov_b32_e32 v20, 0x3b800000
	v_lshlrev_b32_e32 v11, 20, v11
	v_and_b32_e32 v15, 0x80000000, v15
	v_lshl_add_u32 v14, v14, 23, v20
	v_or3_b32 v11, v15, v14, v11
.LBB7_72:
	s_or_b64 exec, exec, s[6:7]
	s_nop 0
	v_mfma_f32_16x16x4f32 a[0:3], v10, v11, a[0:3]
	v_lshrrev_b32_e32 v11, 8, v16
	s_movk_i32 s4, 0x7f
	v_cmp_gt_i16_sdwa s[6:7], v11, s4 src0_sel:BYTE_0 src1_sel:DWORD
	s_mov_b64 s[4:5], 0
                                        ; implicit-def: $sgpr10
	s_and_saveexec_b64 s[8:9], s[6:7]
	s_xor_b64 s[6:7], exec, s[8:9]
	s_cbranch_execnz .LBB7_2121
; %bb.73:
	s_or_saveexec_b64 s[6:7], s[6:7]
	v_mov_b32_e32 v10, s10
	s_xor_b64 exec, exec, s[6:7]
	s_cbranch_execnz .LBB7_2124
.LBB7_74:
	s_or_b64 exec, exec, s[6:7]
	s_and_saveexec_b64 s[6:7], s[4:5]
	s_cbranch_execz .LBB7_76
.LBB7_75:
	v_bfe_u32 v10, v16, 8, 3
	v_ffbh_u32_e32 v15, v10
	v_min_u32_e32 v15, 32, v15
	v_lshrrev_b16_e32 v14, 3, v11
	v_subrev_u32_e32 v20, 28, v15
	v_and_b32_e32 v14, 15, v14
	v_lshlrev_b32_e32 v11, v20, v11
	v_sub_u32_e32 v15, 29, v15
	v_and_b32_e32 v11, 7, v11
	v_cmp_eq_u16_e32 vcc, 0, v14
	v_cndmask_b32_e32 v10, v10, v11, vcc
	v_cndmask_b32_e32 v11, v14, v15, vcc
	v_lshlrev_b32_e32 v14, 16, v16
	v_mov_b32_e32 v15, 0x3b800000
	v_lshlrev_b32_e32 v10, 20, v10
	v_and_b32_e32 v14, 0x80000000, v14
	v_lshl_add_u32 v11, v11, 23, v15
	v_or3_b32 v10, v14, v11, v10
.LBB7_76:
	s_or_b64 exec, exec, s[6:7]
	v_lshrrev_b32_e32 v11, 8, v12
	s_movk_i32 s4, 0x7f
	v_cmp_gt_i16_sdwa s[6:7], v11, s4 src0_sel:BYTE_0 src1_sel:DWORD
	s_mov_b64 s[4:5], 0
                                        ; implicit-def: $sgpr10
	s_and_saveexec_b64 s[8:9], s[6:7]
	s_xor_b64 s[6:7], exec, s[8:9]
	s_cbranch_execnz .LBB7_2125
; %bb.77:
	s_or_saveexec_b64 s[6:7], s[6:7]
	v_mov_b32_e32 v14, s10
	s_xor_b64 exec, exec, s[6:7]
	s_cbranch_execnz .LBB7_2128
.LBB7_78:
	s_or_b64 exec, exec, s[6:7]
	s_and_saveexec_b64 s[6:7], s[4:5]
	s_cbranch_execz .LBB7_80
.LBB7_79:
	v_bfe_u32 v14, v12, 8, 3
	v_ffbh_u32_e32 v20, v14
	v_min_u32_e32 v20, 32, v20
	v_lshrrev_b16_e32 v15, 3, v11
	v_subrev_u32_e32 v21, 28, v20
	v_and_b32_e32 v15, 15, v15
	v_lshlrev_b32_e32 v11, v21, v11
	v_sub_u32_e32 v20, 29, v20
	v_and_b32_e32 v11, 7, v11
	v_cmp_eq_u16_e32 vcc, 0, v15
	v_cndmask_b32_e32 v11, v14, v11, vcc
	v_cndmask_b32_e32 v14, v15, v20, vcc
	v_lshlrev_b32_e32 v15, 16, v12
	v_mov_b32_e32 v20, 0x3b800000
	v_lshlrev_b32_e32 v11, 20, v11
	v_and_b32_e32 v15, 0x80000000, v15
	v_lshl_add_u32 v14, v14, 23, v20
	v_or3_b32 v14, v15, v14, v11
.LBB7_80:
	s_or_b64 exec, exec, s[6:7]
	s_nop 0
	v_mfma_f32_16x16x4f32 a[0:3], v10, v14, a[0:3]
	s_movk_i32 s4, 0xff
	v_and_b32_sdwa v11, v16, s4 dst_sel:DWORD dst_unused:UNUSED_PAD src0_sel:WORD_1 src1_sel:DWORD
	s_movk_i32 s4, 0x7f
	v_cmp_lt_i16_e32 vcc, s4, v11
	s_mov_b64 s[4:5], 0
                                        ; implicit-def: $sgpr10
	s_and_saveexec_b64 s[6:7], vcc
	s_xor_b64 s[6:7], exec, s[6:7]
	s_cbranch_execnz .LBB7_2129
; %bb.81:
	s_or_saveexec_b64 s[6:7], s[6:7]
	v_mov_b32_e32 v10, s10
	s_xor_b64 exec, exec, s[6:7]
	s_cbranch_execnz .LBB7_2132
.LBB7_82:
	s_or_b64 exec, exec, s[6:7]
	s_and_saveexec_b64 s[6:7], s[4:5]
	s_cbranch_execz .LBB7_84
.LBB7_83:
	v_bfe_u32 v10, v16, 16, 3
	v_ffbh_u32_e32 v15, v10
	v_min_u32_e32 v15, 32, v15
	v_lshrrev_b32_e32 v11, 19, v16
	v_subrev_u32_e32 v20, 28, v15
	v_and_b32_e32 v11, 15, v11
	v_lshlrev_b32_sdwa v20, v20, v16 dst_sel:DWORD dst_unused:UNUSED_PAD src0_sel:DWORD src1_sel:WORD_1
	v_bfe_u32 v14, v16, 19, 4
	v_sub_u32_e32 v15, 29, v15
	v_and_b32_e32 v20, 7, v20
	v_cmp_eq_u16_e32 vcc, 0, v11
	v_cndmask_b32_e32 v10, v10, v20, vcc
	v_cndmask_b32_e32 v11, v14, v15, vcc
	v_lshlrev_b32_e32 v14, 8, v16
	v_mov_b32_e32 v15, 0x3b800000
	v_lshlrev_b32_e32 v10, 20, v10
	v_and_b32_e32 v14, 0x80000000, v14
	v_lshl_add_u32 v11, v11, 23, v15
	v_or3_b32 v10, v14, v11, v10
.LBB7_84:
	s_or_b64 exec, exec, s[6:7]
	s_movk_i32 s4, 0xff
	v_and_b32_sdwa v11, v12, s4 dst_sel:DWORD dst_unused:UNUSED_PAD src0_sel:WORD_1 src1_sel:DWORD
	s_movk_i32 s4, 0x7f
	v_cmp_lt_i16_e32 vcc, s4, v11
	s_mov_b64 s[4:5], 0
                                        ; implicit-def: $sgpr10
	s_and_saveexec_b64 s[6:7], vcc
	s_xor_b64 s[6:7], exec, s[6:7]
	s_cbranch_execnz .LBB7_2133
; %bb.85:
	s_or_saveexec_b64 s[6:7], s[6:7]
	v_mov_b32_e32 v14, s10
	s_xor_b64 exec, exec, s[6:7]
	s_cbranch_execnz .LBB7_2136
.LBB7_86:
	s_or_b64 exec, exec, s[6:7]
	s_and_saveexec_b64 s[6:7], s[4:5]
	s_cbranch_execz .LBB7_88
.LBB7_87:
	v_bfe_u32 v11, v12, 16, 3
	v_ffbh_u32_e32 v20, v11
	v_min_u32_e32 v20, 32, v20
	v_lshrrev_b32_e32 v14, 19, v12
	v_subrev_u32_e32 v21, 28, v20
	v_and_b32_e32 v14, 15, v14
	v_lshlrev_b32_sdwa v21, v21, v12 dst_sel:DWORD dst_unused:UNUSED_PAD src0_sel:DWORD src1_sel:WORD_1
	v_bfe_u32 v15, v12, 19, 4
	v_sub_u32_e32 v20, 29, v20
	v_and_b32_e32 v21, 7, v21
	v_cmp_eq_u16_e32 vcc, 0, v14
	v_cndmask_b32_e32 v11, v11, v21, vcc
	v_cndmask_b32_e32 v14, v15, v20, vcc
	v_lshlrev_b32_e32 v15, 8, v12
	v_mov_b32_e32 v20, 0x3b800000
	v_lshlrev_b32_e32 v11, 20, v11
	v_and_b32_e32 v15, 0x80000000, v15
	v_lshl_add_u32 v14, v14, 23, v20
	v_or3_b32 v14, v15, v14, v11
.LBB7_88:
	s_or_b64 exec, exec, s[6:7]
	s_nop 0
	v_mfma_f32_16x16x4f32 a[0:3], v10, v14, a[0:3]
	s_movk_i32 s4, 0x7f
	v_cmp_gt_i16_sdwa s[6:7], v16, s4 src0_sel:BYTE_3 src1_sel:DWORD
	s_mov_b64 s[4:5], 0
                                        ; implicit-def: $sgpr10
	s_and_saveexec_b64 s[8:9], s[6:7]
	s_xor_b64 s[6:7], exec, s[8:9]
	s_cbranch_execnz .LBB7_2137
; %bb.89:
	s_or_saveexec_b64 s[6:7], s[6:7]
	v_mov_b32_e32 v10, s10
	s_xor_b64 exec, exec, s[6:7]
	s_cbranch_execnz .LBB7_2140
.LBB7_90:
	s_or_b64 exec, exec, s[6:7]
	s_and_saveexec_b64 s[6:7], s[4:5]
	s_cbranch_execz .LBB7_92
.LBB7_91:
	v_bfe_u32 v10, v16, 24, 3
	v_ffbh_u32_e32 v20, v10
	v_min_u32_e32 v20, 32, v20
	v_lshrrev_b32_e32 v14, 27, v16
	v_subrev_u32_e32 v21, 28, v20
	v_and_b32_e32 v11, 0x80000000, v16
	v_and_b32_e32 v14, 15, v14
	v_bfe_u32 v15, v16, 27, 4
	v_lshlrev_b32_sdwa v16, v21, v16 dst_sel:DWORD dst_unused:UNUSED_PAD src0_sel:DWORD src1_sel:BYTE_3
	v_sub_u32_e32 v20, 29, v20
	v_and_b32_e32 v16, 7, v16
	v_cmp_eq_u16_e32 vcc, 0, v14
	v_cndmask_b32_e32 v10, v10, v16, vcc
	v_cndmask_b32_e32 v14, v15, v20, vcc
	v_mov_b32_e32 v15, 0x3b800000
	v_lshlrev_b32_e32 v10, 20, v10
	v_lshl_add_u32 v14, v14, 23, v15
	v_or3_b32 v10, v11, v14, v10
.LBB7_92:
	s_or_b64 exec, exec, s[6:7]
	s_movk_i32 s4, 0x7f
	v_cmp_gt_i16_sdwa s[6:7], v12, s4 src0_sel:BYTE_3 src1_sel:DWORD
	s_mov_b64 s[4:5], 0
                                        ; implicit-def: $sgpr10
	s_and_saveexec_b64 s[8:9], s[6:7]
	s_xor_b64 s[6:7], exec, s[8:9]
	s_cbranch_execnz .LBB7_2141
; %bb.93:
	s_or_saveexec_b64 s[6:7], s[6:7]
	v_mov_b32_e32 v11, s10
	s_xor_b64 exec, exec, s[6:7]
	s_cbranch_execnz .LBB7_2144
.LBB7_94:
	s_or_b64 exec, exec, s[6:7]
	s_and_saveexec_b64 s[6:7], s[4:5]
	s_cbranch_execz .LBB7_96
.LBB7_95:
	v_bfe_u32 v11, v12, 24, 3
	v_ffbh_u32_e32 v20, v11
	v_min_u32_e32 v20, 32, v20
	v_lshrrev_b32_e32 v15, 27, v12
	v_subrev_u32_e32 v21, 28, v20
	v_and_b32_e32 v14, 0x80000000, v12
	v_and_b32_e32 v15, 15, v15
	v_bfe_u32 v16, v12, 27, 4
	v_lshlrev_b32_sdwa v12, v21, v12 dst_sel:DWORD dst_unused:UNUSED_PAD src0_sel:DWORD src1_sel:BYTE_3
	v_sub_u32_e32 v20, 29, v20
	v_and_b32_e32 v12, 7, v12
	v_cmp_eq_u16_e32 vcc, 0, v15
	v_cndmask_b32_e32 v11, v11, v12, vcc
	v_cndmask_b32_e32 v12, v16, v20, vcc
	v_mov_b32_e32 v15, 0x3b800000
	v_lshlrev_b32_e32 v11, 20, v11
	v_lshl_add_u32 v12, v12, 23, v15
	v_or3_b32 v11, v14, v12, v11
.LBB7_96:
	s_or_b64 exec, exec, s[6:7]
	s_nop 0
	v_mfma_f32_16x16x4f32 a[0:3], v10, v11, a[0:3]
	s_movk_i32 s4, 0x7f
	v_cmp_gt_i16_sdwa s[6:7], v17, s4 src0_sel:BYTE_0 src1_sel:DWORD
	s_mov_b64 s[4:5], 0
                                        ; implicit-def: $sgpr10
	s_and_saveexec_b64 s[8:9], s[6:7]
	s_xor_b64 s[6:7], exec, s[8:9]
	s_cbranch_execnz .LBB7_2145
; %bb.97:
	s_or_saveexec_b64 s[6:7], s[6:7]
	v_mov_b32_e32 v10, s10
	s_xor_b64 exec, exec, s[6:7]
	s_cbranch_execnz .LBB7_2148
.LBB7_98:
	s_or_b64 exec, exec, s[6:7]
	s_and_saveexec_b64 s[6:7], s[4:5]
	s_cbranch_execz .LBB7_100
.LBB7_99:
	v_and_b32_e32 v10, 7, v17
	v_ffbh_u32_e32 v12, v10
	v_min_u32_e32 v12, 32, v12
	v_lshrrev_b16_e32 v11, 3, v17
	v_subrev_u32_e32 v14, 28, v12
	v_and_b32_e32 v11, 15, v11
	v_lshlrev_b32_e32 v14, v14, v17
	v_sub_u32_e32 v12, 29, v12
	v_and_b32_e32 v14, 7, v14
	v_cmp_eq_u16_e32 vcc, 0, v11
	v_cndmask_b32_e32 v10, v10, v14, vcc
	v_cndmask_b32_e32 v11, v11, v12, vcc
	v_lshlrev_b32_e32 v12, 24, v17
	v_mov_b32_e32 v14, 0x3b800000
	v_lshlrev_b32_e32 v10, 20, v10
	v_and_b32_e32 v12, 0x80000000, v12
	v_lshl_add_u32 v11, v11, 23, v14
	v_or3_b32 v10, v12, v11, v10
.LBB7_100:
	s_or_b64 exec, exec, s[6:7]
	s_movk_i32 s4, 0x7f
	v_cmp_gt_i16_sdwa s[6:7], v13, s4 src0_sel:BYTE_0 src1_sel:DWORD
	s_mov_b64 s[4:5], 0
                                        ; implicit-def: $sgpr10
	s_and_saveexec_b64 s[8:9], s[6:7]
	s_xor_b64 s[6:7], exec, s[8:9]
	s_cbranch_execnz .LBB7_2149
; %bb.101:
	s_or_saveexec_b64 s[6:7], s[6:7]
	v_mov_b32_e32 v11, s10
	s_xor_b64 exec, exec, s[6:7]
	s_cbranch_execnz .LBB7_2152
.LBB7_102:
	s_or_b64 exec, exec, s[6:7]
	s_and_saveexec_b64 s[6:7], s[4:5]
	s_cbranch_execz .LBB7_104
.LBB7_103:
	v_and_b32_e32 v11, 7, v13
	v_ffbh_u32_e32 v14, v11
	v_min_u32_e32 v14, 32, v14
	v_lshrrev_b16_e32 v12, 3, v13
	v_subrev_u32_e32 v15, 28, v14
	v_and_b32_e32 v12, 15, v12
	v_lshlrev_b32_e32 v15, v15, v13
	v_sub_u32_e32 v14, 29, v14
	v_and_b32_e32 v15, 7, v15
	v_cmp_eq_u16_e32 vcc, 0, v12
	v_cndmask_b32_e32 v11, v11, v15, vcc
	v_cndmask_b32_e32 v12, v12, v14, vcc
	v_lshlrev_b32_e32 v14, 24, v13
	v_mov_b32_e32 v15, 0x3b800000
	v_lshlrev_b32_e32 v11, 20, v11
	v_and_b32_e32 v14, 0x80000000, v14
	v_lshl_add_u32 v12, v12, 23, v15
	v_or3_b32 v11, v14, v12, v11
.LBB7_104:
	s_or_b64 exec, exec, s[6:7]
	s_nop 0
	v_mfma_f32_16x16x4f32 a[0:3], v10, v11, a[0:3]
	v_lshrrev_b32_e32 v11, 8, v17
	s_movk_i32 s4, 0x7f
	v_cmp_gt_i16_sdwa s[6:7], v11, s4 src0_sel:BYTE_0 src1_sel:DWORD
	s_mov_b64 s[4:5], 0
                                        ; implicit-def: $sgpr10
	s_and_saveexec_b64 s[8:9], s[6:7]
	s_xor_b64 s[6:7], exec, s[8:9]
	s_cbranch_execnz .LBB7_2153
; %bb.105:
	s_or_saveexec_b64 s[6:7], s[6:7]
	v_mov_b32_e32 v10, s10
	s_xor_b64 exec, exec, s[6:7]
	s_cbranch_execnz .LBB7_2156
.LBB7_106:
	s_or_b64 exec, exec, s[6:7]
	s_and_saveexec_b64 s[6:7], s[4:5]
	s_cbranch_execz .LBB7_108
.LBB7_107:
	v_bfe_u32 v10, v17, 8, 3
	v_ffbh_u32_e32 v14, v10
	v_min_u32_e32 v14, 32, v14
	v_lshrrev_b16_e32 v12, 3, v11
	v_subrev_u32_e32 v15, 28, v14
	v_and_b32_e32 v12, 15, v12
	v_lshlrev_b32_e32 v11, v15, v11
	v_sub_u32_e32 v14, 29, v14
	v_and_b32_e32 v11, 7, v11
	v_cmp_eq_u16_e32 vcc, 0, v12
	v_cndmask_b32_e32 v10, v10, v11, vcc
	v_cndmask_b32_e32 v11, v12, v14, vcc
	v_lshlrev_b32_e32 v12, 16, v17
	v_mov_b32_e32 v14, 0x3b800000
	v_lshlrev_b32_e32 v10, 20, v10
	v_and_b32_e32 v12, 0x80000000, v12
	v_lshl_add_u32 v11, v11, 23, v14
	v_or3_b32 v10, v12, v11, v10
.LBB7_108:
	s_or_b64 exec, exec, s[6:7]
	v_lshrrev_b32_e32 v11, 8, v13
	s_movk_i32 s4, 0x7f
	v_cmp_gt_i16_sdwa s[6:7], v11, s4 src0_sel:BYTE_0 src1_sel:DWORD
	s_mov_b64 s[4:5], 0
                                        ; implicit-def: $sgpr10
	s_and_saveexec_b64 s[8:9], s[6:7]
	s_xor_b64 s[6:7], exec, s[8:9]
	s_cbranch_execnz .LBB7_2157
; %bb.109:
	s_or_saveexec_b64 s[6:7], s[6:7]
	v_mov_b32_e32 v12, s10
	s_xor_b64 exec, exec, s[6:7]
	s_cbranch_execnz .LBB7_2160
.LBB7_110:
	s_or_b64 exec, exec, s[6:7]
	s_and_saveexec_b64 s[6:7], s[4:5]
	s_cbranch_execz .LBB7_112
.LBB7_111:
	v_bfe_u32 v12, v13, 8, 3
	v_ffbh_u32_e32 v15, v12
	v_min_u32_e32 v15, 32, v15
	v_lshrrev_b16_e32 v14, 3, v11
	v_subrev_u32_e32 v16, 28, v15
	v_and_b32_e32 v14, 15, v14
	v_lshlrev_b32_e32 v11, v16, v11
	v_sub_u32_e32 v15, 29, v15
	v_and_b32_e32 v11, 7, v11
	v_cmp_eq_u16_e32 vcc, 0, v14
	v_cndmask_b32_e32 v11, v12, v11, vcc
	v_cndmask_b32_e32 v12, v14, v15, vcc
	v_lshlrev_b32_e32 v14, 16, v13
	v_mov_b32_e32 v15, 0x3b800000
	v_lshlrev_b32_e32 v11, 20, v11
	v_and_b32_e32 v14, 0x80000000, v14
	v_lshl_add_u32 v12, v12, 23, v15
	v_or3_b32 v12, v14, v12, v11
.LBB7_112:
	s_or_b64 exec, exec, s[6:7]
	s_nop 0
	v_mfma_f32_16x16x4f32 a[0:3], v10, v12, a[0:3]
	s_movk_i32 s4, 0xff
	v_and_b32_sdwa v11, v17, s4 dst_sel:DWORD dst_unused:UNUSED_PAD src0_sel:WORD_1 src1_sel:DWORD
	s_movk_i32 s4, 0x7f
	v_cmp_lt_i16_e32 vcc, s4, v11
	s_mov_b64 s[4:5], 0
                                        ; implicit-def: $sgpr10
	s_and_saveexec_b64 s[6:7], vcc
	s_xor_b64 s[6:7], exec, s[6:7]
	s_cbranch_execnz .LBB7_2161
; %bb.113:
	s_or_saveexec_b64 s[6:7], s[6:7]
	v_mov_b32_e32 v10, s10
	s_xor_b64 exec, exec, s[6:7]
	s_cbranch_execnz .LBB7_2164
.LBB7_114:
	s_or_b64 exec, exec, s[6:7]
	s_and_saveexec_b64 s[6:7], s[4:5]
	s_cbranch_execz .LBB7_116
.LBB7_115:
	v_bfe_u32 v10, v17, 16, 3
	v_ffbh_u32_e32 v14, v10
	v_min_u32_e32 v14, 32, v14
	v_lshrrev_b32_e32 v11, 19, v17
	v_subrev_u32_e32 v15, 28, v14
	v_and_b32_e32 v11, 15, v11
	v_lshlrev_b32_sdwa v15, v15, v17 dst_sel:DWORD dst_unused:UNUSED_PAD src0_sel:DWORD src1_sel:WORD_1
	v_bfe_u32 v12, v17, 19, 4
	v_sub_u32_e32 v14, 29, v14
	v_and_b32_e32 v15, 7, v15
	v_cmp_eq_u16_e32 vcc, 0, v11
	v_cndmask_b32_e32 v10, v10, v15, vcc
	v_cndmask_b32_e32 v11, v12, v14, vcc
	v_lshlrev_b32_e32 v12, 8, v17
	v_mov_b32_e32 v14, 0x3b800000
	v_lshlrev_b32_e32 v10, 20, v10
	v_and_b32_e32 v12, 0x80000000, v12
	v_lshl_add_u32 v11, v11, 23, v14
	v_or3_b32 v10, v12, v11, v10
.LBB7_116:
	s_or_b64 exec, exec, s[6:7]
	s_movk_i32 s4, 0xff
	v_and_b32_sdwa v11, v13, s4 dst_sel:DWORD dst_unused:UNUSED_PAD src0_sel:WORD_1 src1_sel:DWORD
	s_movk_i32 s4, 0x7f
	v_cmp_lt_i16_e32 vcc, s4, v11
	s_mov_b64 s[4:5], 0
                                        ; implicit-def: $sgpr10
	s_and_saveexec_b64 s[6:7], vcc
	s_xor_b64 s[6:7], exec, s[6:7]
	s_cbranch_execnz .LBB7_2165
; %bb.117:
	s_or_saveexec_b64 s[6:7], s[6:7]
	v_mov_b32_e32 v12, s10
	s_xor_b64 exec, exec, s[6:7]
	s_cbranch_execnz .LBB7_2168
.LBB7_118:
	s_or_b64 exec, exec, s[6:7]
	s_and_saveexec_b64 s[6:7], s[4:5]
	s_cbranch_execz .LBB7_120
.LBB7_119:
	v_bfe_u32 v11, v13, 16, 3
	v_ffbh_u32_e32 v15, v11
	v_min_u32_e32 v15, 32, v15
	v_lshrrev_b32_e32 v12, 19, v13
	v_subrev_u32_e32 v16, 28, v15
	v_and_b32_e32 v12, 15, v12
	v_lshlrev_b32_sdwa v16, v16, v13 dst_sel:DWORD dst_unused:UNUSED_PAD src0_sel:DWORD src1_sel:WORD_1
	v_bfe_u32 v14, v13, 19, 4
	v_sub_u32_e32 v15, 29, v15
	v_and_b32_e32 v16, 7, v16
	v_cmp_eq_u16_e32 vcc, 0, v12
	v_cndmask_b32_e32 v11, v11, v16, vcc
	v_cndmask_b32_e32 v12, v14, v15, vcc
	v_lshlrev_b32_e32 v14, 8, v13
	v_mov_b32_e32 v15, 0x3b800000
	v_lshlrev_b32_e32 v11, 20, v11
	v_and_b32_e32 v14, 0x80000000, v14
	v_lshl_add_u32 v12, v12, 23, v15
	v_or3_b32 v12, v14, v12, v11
.LBB7_120:
	s_or_b64 exec, exec, s[6:7]
	s_nop 0
	v_mfma_f32_16x16x4f32 a[0:3], v10, v12, a[0:3]
	s_movk_i32 s4, 0x7f
	v_cmp_gt_i16_sdwa s[6:7], v17, s4 src0_sel:BYTE_3 src1_sel:DWORD
	s_mov_b64 s[4:5], 0
                                        ; implicit-def: $sgpr10
	s_and_saveexec_b64 s[8:9], s[6:7]
	s_xor_b64 s[6:7], exec, s[8:9]
	s_cbranch_execnz .LBB7_2169
; %bb.121:
	s_or_saveexec_b64 s[6:7], s[6:7]
	v_mov_b32_e32 v10, s10
	s_xor_b64 exec, exec, s[6:7]
	s_cbranch_execnz .LBB7_2172
.LBB7_122:
	s_or_b64 exec, exec, s[6:7]
	s_and_saveexec_b64 s[6:7], s[4:5]
	s_cbranch_execz .LBB7_124
.LBB7_123:
	v_bfe_u32 v10, v17, 24, 3
	v_ffbh_u32_e32 v15, v10
	v_min_u32_e32 v15, 32, v15
	v_lshrrev_b32_e32 v12, 27, v17
	v_subrev_u32_e32 v16, 28, v15
	v_and_b32_e32 v12, 15, v12
	v_lshlrev_b32_sdwa v16, v16, v17 dst_sel:DWORD dst_unused:UNUSED_PAD src0_sel:DWORD src1_sel:BYTE_3
	v_bfe_u32 v14, v17, 27, 4
	v_sub_u32_e32 v15, 29, v15
	v_and_b32_e32 v16, 7, v16
	v_cmp_eq_u16_e32 vcc, 0, v12
	v_cndmask_b32_e32 v10, v10, v16, vcc
	v_cndmask_b32_e32 v12, v14, v15, vcc
	v_mov_b32_e32 v14, 0x3b800000
	v_and_b32_e32 v11, 0x80000000, v17
	v_lshlrev_b32_e32 v10, 20, v10
	v_lshl_add_u32 v12, v12, 23, v14
	v_or3_b32 v10, v11, v12, v10
.LBB7_124:
	s_or_b64 exec, exec, s[6:7]
	s_movk_i32 s4, 0x7f
	v_cmp_gt_i16_sdwa s[6:7], v13, s4 src0_sel:BYTE_3 src1_sel:DWORD
	s_mov_b64 s[4:5], 0
                                        ; implicit-def: $sgpr10
	s_and_saveexec_b64 s[8:9], s[6:7]
	s_xor_b64 s[6:7], exec, s[8:9]
	s_cbranch_execnz .LBB7_2173
; %bb.125:
	s_or_saveexec_b64 s[6:7], s[6:7]
	v_mov_b32_e32 v11, s10
	s_xor_b64 exec, exec, s[6:7]
	s_cbranch_execnz .LBB7_2176
.LBB7_126:
	s_or_b64 exec, exec, s[6:7]
	s_and_saveexec_b64 s[6:7], s[4:5]
	s_cbranch_execz .LBB7_128
.LBB7_127:
	v_bfe_u32 v11, v13, 24, 3
	v_ffbh_u32_e32 v16, v11
	v_min_u32_e32 v16, 32, v16
	v_lshrrev_b32_e32 v14, 27, v13
	v_subrev_u32_e32 v17, 28, v16
	v_and_b32_e32 v12, 0x80000000, v13
	v_and_b32_e32 v14, 15, v14
	v_bfe_u32 v15, v13, 27, 4
	v_lshlrev_b32_sdwa v13, v17, v13 dst_sel:DWORD dst_unused:UNUSED_PAD src0_sel:DWORD src1_sel:BYTE_3
	v_sub_u32_e32 v16, 29, v16
	v_and_b32_e32 v13, 7, v13
	v_cmp_eq_u16_e32 vcc, 0, v14
	v_cndmask_b32_e32 v11, v11, v13, vcc
	v_cndmask_b32_e32 v13, v15, v16, vcc
	v_mov_b32_e32 v14, 0x3b800000
	v_lshlrev_b32_e32 v11, 20, v11
	v_lshl_add_u32 v13, v13, 23, v14
	v_or3_b32 v11, v12, v13, v11
.LBB7_128:
	s_or_b64 exec, exec, s[6:7]
	s_nop 0
	v_mfma_f32_16x16x4f32 a[0:3], v10, v11, a[0:3]
	s_movk_i32 s4, 0x7f
	v_cmp_gt_i16_sdwa s[6:7], v6, s4 src0_sel:BYTE_0 src1_sel:DWORD
	s_mov_b64 s[4:5], 0
                                        ; implicit-def: $sgpr10
	s_and_saveexec_b64 s[8:9], s[6:7]
	s_xor_b64 s[6:7], exec, s[8:9]
	s_cbranch_execnz .LBB7_2177
; %bb.129:
	s_or_saveexec_b64 s[6:7], s[6:7]
	v_mov_b32_e32 v10, s10
	s_xor_b64 exec, exec, s[6:7]
	s_cbranch_execnz .LBB7_2180
.LBB7_130:
	s_or_b64 exec, exec, s[6:7]
	s_and_saveexec_b64 s[6:7], s[4:5]
	s_cbranch_execz .LBB7_132
.LBB7_131:
	v_and_b32_e32 v10, 7, v6
	v_ffbh_u32_e32 v12, v10
	v_min_u32_e32 v12, 32, v12
	v_lshrrev_b16_e32 v11, 3, v6
	v_subrev_u32_e32 v13, 28, v12
	v_and_b32_e32 v11, 15, v11
	v_lshlrev_b32_e32 v13, v13, v6
	v_sub_u32_e32 v12, 29, v12
	v_and_b32_e32 v13, 7, v13
	v_cmp_eq_u16_e32 vcc, 0, v11
	v_cndmask_b32_e32 v10, v10, v13, vcc
	v_cndmask_b32_e32 v11, v11, v12, vcc
	v_lshlrev_b32_e32 v12, 24, v6
	v_mov_b32_e32 v13, 0x3b800000
	v_lshlrev_b32_e32 v10, 20, v10
	v_and_b32_e32 v12, 0x80000000, v12
	v_lshl_add_u32 v11, v11, 23, v13
	v_or3_b32 v10, v12, v11, v10
.LBB7_132:
	s_or_b64 exec, exec, s[6:7]
	s_movk_i32 s4, 0x7f
	v_cmp_gt_i16_sdwa s[6:7], v2, s4 src0_sel:BYTE_0 src1_sel:DWORD
	s_mov_b64 s[4:5], 0
                                        ; implicit-def: $sgpr10
	s_and_saveexec_b64 s[8:9], s[6:7]
	s_xor_b64 s[6:7], exec, s[8:9]
	s_cbranch_execnz .LBB7_2181
; %bb.133:
	s_or_saveexec_b64 s[6:7], s[6:7]
	v_mov_b32_e32 v11, s10
	s_xor_b64 exec, exec, s[6:7]
	s_cbranch_execnz .LBB7_2184
.LBB7_134:
	s_or_b64 exec, exec, s[6:7]
	s_and_saveexec_b64 s[6:7], s[4:5]
	s_cbranch_execz .LBB7_136
.LBB7_135:
	v_and_b32_e32 v11, 7, v2
	v_ffbh_u32_e32 v13, v11
	v_min_u32_e32 v13, 32, v13
	v_lshrrev_b16_e32 v12, 3, v2
	v_subrev_u32_e32 v14, 28, v13
	v_and_b32_e32 v12, 15, v12
	v_lshlrev_b32_e32 v14, v14, v2
	v_sub_u32_e32 v13, 29, v13
	v_and_b32_e32 v14, 7, v14
	v_cmp_eq_u16_e32 vcc, 0, v12
	v_cndmask_b32_e32 v11, v11, v14, vcc
	v_cndmask_b32_e32 v12, v12, v13, vcc
	v_lshlrev_b32_e32 v13, 24, v2
	v_mov_b32_e32 v14, 0x3b800000
	v_lshlrev_b32_e32 v11, 20, v11
	v_and_b32_e32 v13, 0x80000000, v13
	v_lshl_add_u32 v12, v12, 23, v14
	v_or3_b32 v11, v13, v12, v11
.LBB7_136:
	s_or_b64 exec, exec, s[6:7]
	s_nop 0
	v_mfma_f32_16x16x4f32 a[0:3], v10, v11, a[0:3]
	v_lshrrev_b32_e32 v11, 8, v6
	s_movk_i32 s4, 0x7f
	v_cmp_gt_i16_sdwa s[6:7], v11, s4 src0_sel:BYTE_0 src1_sel:DWORD
	s_mov_b64 s[4:5], 0
                                        ; implicit-def: $sgpr10
	s_and_saveexec_b64 s[8:9], s[6:7]
	s_xor_b64 s[6:7], exec, s[8:9]
	s_cbranch_execnz .LBB7_2185
; %bb.137:
	s_or_saveexec_b64 s[6:7], s[6:7]
	v_mov_b32_e32 v10, s10
	s_xor_b64 exec, exec, s[6:7]
	s_cbranch_execnz .LBB7_2188
.LBB7_138:
	s_or_b64 exec, exec, s[6:7]
	s_and_saveexec_b64 s[6:7], s[4:5]
	s_cbranch_execz .LBB7_140
.LBB7_139:
	v_bfe_u32 v10, v6, 8, 3
	v_ffbh_u32_e32 v13, v10
	v_min_u32_e32 v13, 32, v13
	v_lshrrev_b16_e32 v12, 3, v11
	v_subrev_u32_e32 v14, 28, v13
	v_and_b32_e32 v12, 15, v12
	v_lshlrev_b32_e32 v11, v14, v11
	v_sub_u32_e32 v13, 29, v13
	v_and_b32_e32 v11, 7, v11
	v_cmp_eq_u16_e32 vcc, 0, v12
	v_cndmask_b32_e32 v10, v10, v11, vcc
	v_cndmask_b32_e32 v11, v12, v13, vcc
	v_lshlrev_b32_e32 v12, 16, v6
	v_mov_b32_e32 v13, 0x3b800000
	v_lshlrev_b32_e32 v10, 20, v10
	v_and_b32_e32 v12, 0x80000000, v12
	v_lshl_add_u32 v11, v11, 23, v13
	v_or3_b32 v10, v12, v11, v10
.LBB7_140:
	s_or_b64 exec, exec, s[6:7]
	v_lshrrev_b32_e32 v11, 8, v2
	s_movk_i32 s4, 0x7f
	v_cmp_gt_i16_sdwa s[6:7], v11, s4 src0_sel:BYTE_0 src1_sel:DWORD
	s_mov_b64 s[4:5], 0
                                        ; implicit-def: $sgpr10
	s_and_saveexec_b64 s[8:9], s[6:7]
	s_xor_b64 s[6:7], exec, s[8:9]
	s_cbranch_execnz .LBB7_2189
; %bb.141:
	s_or_saveexec_b64 s[6:7], s[6:7]
	v_mov_b32_e32 v12, s10
	s_xor_b64 exec, exec, s[6:7]
	s_cbranch_execnz .LBB7_2192
.LBB7_142:
	s_or_b64 exec, exec, s[6:7]
	s_and_saveexec_b64 s[6:7], s[4:5]
	s_cbranch_execz .LBB7_144
.LBB7_143:
	v_bfe_u32 v12, v2, 8, 3
	v_ffbh_u32_e32 v14, v12
	v_min_u32_e32 v14, 32, v14
	v_lshrrev_b16_e32 v13, 3, v11
	v_subrev_u32_e32 v15, 28, v14
	v_and_b32_e32 v13, 15, v13
	v_lshlrev_b32_e32 v11, v15, v11
	v_sub_u32_e32 v14, 29, v14
	v_and_b32_e32 v11, 7, v11
	v_cmp_eq_u16_e32 vcc, 0, v13
	v_cndmask_b32_e32 v11, v12, v11, vcc
	v_cndmask_b32_e32 v12, v13, v14, vcc
	v_lshlrev_b32_e32 v13, 16, v2
	v_mov_b32_e32 v14, 0x3b800000
	v_lshlrev_b32_e32 v11, 20, v11
	v_and_b32_e32 v13, 0x80000000, v13
	v_lshl_add_u32 v12, v12, 23, v14
	v_or3_b32 v12, v13, v12, v11
.LBB7_144:
	s_or_b64 exec, exec, s[6:7]
	s_nop 0
	v_mfma_f32_16x16x4f32 a[0:3], v10, v12, a[0:3]
	s_movk_i32 s4, 0xff
	v_and_b32_sdwa v11, v6, s4 dst_sel:DWORD dst_unused:UNUSED_PAD src0_sel:WORD_1 src1_sel:DWORD
	s_movk_i32 s4, 0x7f
	v_cmp_lt_i16_e32 vcc, s4, v11
	s_mov_b64 s[4:5], 0
                                        ; implicit-def: $sgpr10
	s_and_saveexec_b64 s[6:7], vcc
	s_xor_b64 s[6:7], exec, s[6:7]
	s_cbranch_execnz .LBB7_2193
; %bb.145:
	s_or_saveexec_b64 s[6:7], s[6:7]
	v_mov_b32_e32 v10, s10
	s_xor_b64 exec, exec, s[6:7]
	s_cbranch_execnz .LBB7_2196
.LBB7_146:
	s_or_b64 exec, exec, s[6:7]
	s_and_saveexec_b64 s[6:7], s[4:5]
	s_cbranch_execz .LBB7_148
.LBB7_147:
	v_bfe_u32 v10, v6, 16, 3
	v_ffbh_u32_e32 v13, v10
	v_min_u32_e32 v13, 32, v13
	v_lshrrev_b32_e32 v11, 19, v6
	v_subrev_u32_e32 v14, 28, v13
	v_and_b32_e32 v11, 15, v11
	v_lshlrev_b32_sdwa v14, v14, v6 dst_sel:DWORD dst_unused:UNUSED_PAD src0_sel:DWORD src1_sel:WORD_1
	v_bfe_u32 v12, v6, 19, 4
	v_sub_u32_e32 v13, 29, v13
	v_and_b32_e32 v14, 7, v14
	v_cmp_eq_u16_e32 vcc, 0, v11
	v_cndmask_b32_e32 v10, v10, v14, vcc
	v_cndmask_b32_e32 v11, v12, v13, vcc
	v_lshlrev_b32_e32 v12, 8, v6
	v_mov_b32_e32 v13, 0x3b800000
	v_lshlrev_b32_e32 v10, 20, v10
	v_and_b32_e32 v12, 0x80000000, v12
	v_lshl_add_u32 v11, v11, 23, v13
	v_or3_b32 v10, v12, v11, v10
.LBB7_148:
	s_or_b64 exec, exec, s[6:7]
	s_movk_i32 s4, 0xff
	v_and_b32_sdwa v11, v2, s4 dst_sel:DWORD dst_unused:UNUSED_PAD src0_sel:WORD_1 src1_sel:DWORD
	s_movk_i32 s4, 0x7f
	v_cmp_lt_i16_e32 vcc, s4, v11
	s_mov_b64 s[4:5], 0
                                        ; implicit-def: $sgpr10
	s_and_saveexec_b64 s[6:7], vcc
	s_xor_b64 s[6:7], exec, s[6:7]
	s_cbranch_execnz .LBB7_2197
; %bb.149:
	s_or_saveexec_b64 s[6:7], s[6:7]
	v_mov_b32_e32 v12, s10
	s_xor_b64 exec, exec, s[6:7]
	s_cbranch_execnz .LBB7_2200
.LBB7_150:
	s_or_b64 exec, exec, s[6:7]
	s_and_saveexec_b64 s[6:7], s[4:5]
	s_cbranch_execz .LBB7_152
.LBB7_151:
	v_bfe_u32 v11, v2, 16, 3
	v_ffbh_u32_e32 v14, v11
	v_min_u32_e32 v14, 32, v14
	v_lshrrev_b32_e32 v12, 19, v2
	v_subrev_u32_e32 v15, 28, v14
	v_and_b32_e32 v12, 15, v12
	v_lshlrev_b32_sdwa v15, v15, v2 dst_sel:DWORD dst_unused:UNUSED_PAD src0_sel:DWORD src1_sel:WORD_1
	v_bfe_u32 v13, v2, 19, 4
	v_sub_u32_e32 v14, 29, v14
	v_and_b32_e32 v15, 7, v15
	v_cmp_eq_u16_e32 vcc, 0, v12
	v_cndmask_b32_e32 v11, v11, v15, vcc
	v_cndmask_b32_e32 v12, v13, v14, vcc
	v_lshlrev_b32_e32 v13, 8, v2
	v_mov_b32_e32 v14, 0x3b800000
	v_lshlrev_b32_e32 v11, 20, v11
	v_and_b32_e32 v13, 0x80000000, v13
	v_lshl_add_u32 v12, v12, 23, v14
	v_or3_b32 v12, v13, v12, v11
.LBB7_152:
	s_or_b64 exec, exec, s[6:7]
	s_nop 0
	v_mfma_f32_16x16x4f32 a[0:3], v10, v12, a[0:3]
	s_movk_i32 s4, 0x7f
	v_cmp_gt_i16_sdwa s[6:7], v6, s4 src0_sel:BYTE_3 src1_sel:DWORD
	s_mov_b64 s[4:5], 0
                                        ; implicit-def: $sgpr10
	s_and_saveexec_b64 s[8:9], s[6:7]
	s_xor_b64 s[6:7], exec, s[8:9]
	s_cbranch_execnz .LBB7_2201
; %bb.153:
	s_or_saveexec_b64 s[6:7], s[6:7]
	v_mov_b32_e32 v10, s10
	s_xor_b64 exec, exec, s[6:7]
	s_cbranch_execnz .LBB7_2204
.LBB7_154:
	s_or_b64 exec, exec, s[6:7]
	s_and_saveexec_b64 s[6:7], s[4:5]
	s_cbranch_execz .LBB7_156
.LBB7_155:
	v_bfe_u32 v10, v6, 24, 3
	v_ffbh_u32_e32 v14, v10
	v_min_u32_e32 v14, 32, v14
	v_lshrrev_b32_e32 v12, 27, v6
	v_subrev_u32_e32 v15, 28, v14
	v_and_b32_e32 v11, 0x80000000, v6
	v_and_b32_e32 v12, 15, v12
	v_bfe_u32 v13, v6, 27, 4
	v_lshlrev_b32_sdwa v6, v15, v6 dst_sel:DWORD dst_unused:UNUSED_PAD src0_sel:DWORD src1_sel:BYTE_3
	v_sub_u32_e32 v14, 29, v14
	v_and_b32_e32 v6, 7, v6
	v_cmp_eq_u16_e32 vcc, 0, v12
	v_cndmask_b32_e32 v6, v10, v6, vcc
	v_cndmask_b32_e32 v10, v13, v14, vcc
	v_mov_b32_e32 v12, 0x3b800000
	v_lshlrev_b32_e32 v6, 20, v6
	v_lshl_add_u32 v10, v10, 23, v12
	v_or3_b32 v10, v11, v10, v6
.LBB7_156:
	s_or_b64 exec, exec, s[6:7]
	s_movk_i32 s4, 0x7f
	v_cmp_gt_i16_sdwa s[6:7], v2, s4 src0_sel:BYTE_3 src1_sel:DWORD
	s_mov_b64 s[4:5], 0
                                        ; implicit-def: $sgpr10
	s_and_saveexec_b64 s[8:9], s[6:7]
	s_xor_b64 s[6:7], exec, s[8:9]
	s_cbranch_execnz .LBB7_2205
; %bb.157:
	s_or_saveexec_b64 s[6:7], s[6:7]
	v_mov_b32_e32 v6, s10
	s_xor_b64 exec, exec, s[6:7]
	s_cbranch_execnz .LBB7_2208
.LBB7_158:
	s_or_b64 exec, exec, s[6:7]
	s_and_saveexec_b64 s[6:7], s[4:5]
	s_cbranch_execz .LBB7_160
.LBB7_159:
	v_bfe_u32 v6, v2, 24, 3
	v_ffbh_u32_e32 v14, v6
	v_min_u32_e32 v14, 32, v14
	v_lshrrev_b32_e32 v12, 27, v2
	v_subrev_u32_e32 v15, 28, v14
	v_and_b32_e32 v11, 0x80000000, v2
	v_and_b32_e32 v12, 15, v12
	v_bfe_u32 v13, v2, 27, 4
	v_lshlrev_b32_sdwa v2, v15, v2 dst_sel:DWORD dst_unused:UNUSED_PAD src0_sel:DWORD src1_sel:BYTE_3
	v_sub_u32_e32 v14, 29, v14
	v_and_b32_e32 v2, 7, v2
	v_cmp_eq_u16_e32 vcc, 0, v12
	v_cndmask_b32_e32 v2, v6, v2, vcc
	v_cndmask_b32_e32 v6, v13, v14, vcc
	v_mov_b32_e32 v12, 0x3b800000
	v_lshlrev_b32_e32 v2, 20, v2
	v_lshl_add_u32 v6, v6, 23, v12
	v_or3_b32 v6, v11, v6, v2
.LBB7_160:
	s_or_b64 exec, exec, s[6:7]
	s_nop 0
	v_mfma_f32_16x16x4f32 a[0:3], v10, v6, a[0:3]
	s_movk_i32 s4, 0x7f
	v_cmp_gt_i16_sdwa s[6:7], v7, s4 src0_sel:BYTE_0 src1_sel:DWORD
	s_mov_b64 s[4:5], 0
                                        ; implicit-def: $sgpr10
	s_and_saveexec_b64 s[8:9], s[6:7]
	s_xor_b64 s[6:7], exec, s[8:9]
	s_cbranch_execnz .LBB7_2209
; %bb.161:
	s_or_saveexec_b64 s[6:7], s[6:7]
	v_mov_b32_e32 v2, s10
	s_xor_b64 exec, exec, s[6:7]
	s_cbranch_execnz .LBB7_2212
.LBB7_162:
	s_or_b64 exec, exec, s[6:7]
	s_and_saveexec_b64 s[6:7], s[4:5]
	s_cbranch_execz .LBB7_164
.LBB7_163:
	v_and_b32_e32 v2, 7, v7
	v_ffbh_u32_e32 v10, v2
	v_min_u32_e32 v10, 32, v10
	v_lshrrev_b16_e32 v6, 3, v7
	v_subrev_u32_e32 v11, 28, v10
	v_and_b32_e32 v6, 15, v6
	v_lshlrev_b32_e32 v11, v11, v7
	v_sub_u32_e32 v10, 29, v10
	v_and_b32_e32 v11, 7, v11
	v_cmp_eq_u16_e32 vcc, 0, v6
	v_cndmask_b32_e32 v2, v2, v11, vcc
	v_cndmask_b32_e32 v6, v6, v10, vcc
	v_lshlrev_b32_e32 v10, 24, v7
	v_mov_b32_e32 v11, 0x3b800000
	v_lshlrev_b32_e32 v2, 20, v2
	v_and_b32_e32 v10, 0x80000000, v10
	v_lshl_add_u32 v6, v6, 23, v11
	v_or3_b32 v2, v10, v6, v2
.LBB7_164:
	s_or_b64 exec, exec, s[6:7]
	s_movk_i32 s4, 0x7f
	v_cmp_gt_i16_sdwa s[6:7], v3, s4 src0_sel:BYTE_0 src1_sel:DWORD
	s_mov_b64 s[4:5], 0
                                        ; implicit-def: $sgpr10
	s_and_saveexec_b64 s[8:9], s[6:7]
	s_xor_b64 s[6:7], exec, s[8:9]
	s_cbranch_execnz .LBB7_2213
; %bb.165:
	s_or_saveexec_b64 s[6:7], s[6:7]
	v_mov_b32_e32 v6, s10
	s_xor_b64 exec, exec, s[6:7]
	s_cbranch_execnz .LBB7_2216
.LBB7_166:
	s_or_b64 exec, exec, s[6:7]
	s_and_saveexec_b64 s[6:7], s[4:5]
	s_cbranch_execz .LBB7_168
.LBB7_167:
	v_and_b32_e32 v6, 7, v3
	v_ffbh_u32_e32 v11, v6
	v_min_u32_e32 v11, 32, v11
	v_lshrrev_b16_e32 v10, 3, v3
	v_subrev_u32_e32 v12, 28, v11
	v_and_b32_e32 v10, 15, v10
	v_lshlrev_b32_e32 v12, v12, v3
	v_sub_u32_e32 v11, 29, v11
	v_and_b32_e32 v12, 7, v12
	v_cmp_eq_u16_e32 vcc, 0, v10
	v_cndmask_b32_e32 v6, v6, v12, vcc
	v_cndmask_b32_e32 v10, v10, v11, vcc
	v_lshlrev_b32_e32 v11, 24, v3
	v_mov_b32_e32 v12, 0x3b800000
	v_lshlrev_b32_e32 v6, 20, v6
	v_and_b32_e32 v11, 0x80000000, v11
	v_lshl_add_u32 v10, v10, 23, v12
	v_or3_b32 v6, v11, v10, v6
.LBB7_168:
	s_or_b64 exec, exec, s[6:7]
	s_nop 0
	v_mfma_f32_16x16x4f32 a[0:3], v2, v6, a[0:3]
	v_lshrrev_b32_e32 v6, 8, v7
	s_movk_i32 s4, 0x7f
	v_cmp_gt_i16_sdwa s[6:7], v6, s4 src0_sel:BYTE_0 src1_sel:DWORD
	s_mov_b64 s[4:5], 0
                                        ; implicit-def: $sgpr10
	s_and_saveexec_b64 s[8:9], s[6:7]
	s_xor_b64 s[6:7], exec, s[8:9]
	s_cbranch_execnz .LBB7_2217
; %bb.169:
	s_or_saveexec_b64 s[6:7], s[6:7]
	v_mov_b32_e32 v2, s10
	s_xor_b64 exec, exec, s[6:7]
	s_cbranch_execnz .LBB7_2220
.LBB7_170:
	s_or_b64 exec, exec, s[6:7]
	s_and_saveexec_b64 s[6:7], s[4:5]
	s_cbranch_execz .LBB7_172
.LBB7_171:
	v_bfe_u32 v2, v7, 8, 3
	v_ffbh_u32_e32 v11, v2
	v_min_u32_e32 v11, 32, v11
	v_lshrrev_b16_e32 v10, 3, v6
	v_subrev_u32_e32 v12, 28, v11
	v_and_b32_e32 v10, 15, v10
	v_lshlrev_b32_e32 v6, v12, v6
	v_sub_u32_e32 v11, 29, v11
	v_and_b32_e32 v6, 7, v6
	v_cmp_eq_u16_e32 vcc, 0, v10
	v_cndmask_b32_e32 v2, v2, v6, vcc
	v_cndmask_b32_e32 v6, v10, v11, vcc
	v_lshlrev_b32_e32 v10, 16, v7
	v_mov_b32_e32 v11, 0x3b800000
	v_lshlrev_b32_e32 v2, 20, v2
	v_and_b32_e32 v10, 0x80000000, v10
	v_lshl_add_u32 v6, v6, 23, v11
	v_or3_b32 v2, v10, v6, v2
.LBB7_172:
	s_or_b64 exec, exec, s[6:7]
	v_lshrrev_b32_e32 v6, 8, v3
	s_movk_i32 s4, 0x7f
	v_cmp_gt_i16_sdwa s[6:7], v6, s4 src0_sel:BYTE_0 src1_sel:DWORD
	s_mov_b64 s[4:5], 0
                                        ; implicit-def: $sgpr10
	s_and_saveexec_b64 s[8:9], s[6:7]
	s_xor_b64 s[6:7], exec, s[8:9]
	s_cbranch_execnz .LBB7_2221
; %bb.173:
	s_or_saveexec_b64 s[6:7], s[6:7]
	v_mov_b32_e32 v10, s10
	s_xor_b64 exec, exec, s[6:7]
	s_cbranch_execnz .LBB7_2224
.LBB7_174:
	s_or_b64 exec, exec, s[6:7]
	s_and_saveexec_b64 s[6:7], s[4:5]
	s_cbranch_execz .LBB7_176
.LBB7_175:
	v_bfe_u32 v10, v3, 8, 3
	v_ffbh_u32_e32 v12, v10
	v_min_u32_e32 v12, 32, v12
	v_lshrrev_b16_e32 v11, 3, v6
	v_subrev_u32_e32 v13, 28, v12
	v_and_b32_e32 v11, 15, v11
	v_lshlrev_b32_e32 v6, v13, v6
	v_sub_u32_e32 v12, 29, v12
	v_and_b32_e32 v6, 7, v6
	v_cmp_eq_u16_e32 vcc, 0, v11
	v_cndmask_b32_e32 v6, v10, v6, vcc
	v_cndmask_b32_e32 v10, v11, v12, vcc
	v_lshlrev_b32_e32 v11, 16, v3
	v_mov_b32_e32 v12, 0x3b800000
	v_lshlrev_b32_e32 v6, 20, v6
	v_and_b32_e32 v11, 0x80000000, v11
	v_lshl_add_u32 v10, v10, 23, v12
	v_or3_b32 v10, v11, v10, v6
.LBB7_176:
	s_or_b64 exec, exec, s[6:7]
	s_nop 0
	v_mfma_f32_16x16x4f32 a[0:3], v2, v10, a[0:3]
	s_movk_i32 s4, 0xff
	v_and_b32_sdwa v6, v7, s4 dst_sel:DWORD dst_unused:UNUSED_PAD src0_sel:WORD_1 src1_sel:DWORD
	s_movk_i32 s4, 0x7f
	v_cmp_lt_i16_e32 vcc, s4, v6
	s_mov_b64 s[4:5], 0
                                        ; implicit-def: $sgpr10
	s_and_saveexec_b64 s[6:7], vcc
	s_xor_b64 s[6:7], exec, s[6:7]
	s_cbranch_execnz .LBB7_2225
; %bb.177:
	s_or_saveexec_b64 s[6:7], s[6:7]
	v_mov_b32_e32 v2, s10
	s_xor_b64 exec, exec, s[6:7]
	s_cbranch_execnz .LBB7_2228
.LBB7_178:
	s_or_b64 exec, exec, s[6:7]
	s_and_saveexec_b64 s[6:7], s[4:5]
	s_cbranch_execz .LBB7_180
.LBB7_179:
	v_bfe_u32 v2, v7, 16, 3
	v_ffbh_u32_e32 v11, v2
	v_min_u32_e32 v11, 32, v11
	v_lshrrev_b32_e32 v6, 19, v7
	v_subrev_u32_e32 v12, 28, v11
	v_and_b32_e32 v6, 15, v6
	v_lshlrev_b32_sdwa v12, v12, v7 dst_sel:DWORD dst_unused:UNUSED_PAD src0_sel:DWORD src1_sel:WORD_1
	v_bfe_u32 v10, v7, 19, 4
	v_sub_u32_e32 v11, 29, v11
	v_and_b32_e32 v12, 7, v12
	v_cmp_eq_u16_e32 vcc, 0, v6
	v_cndmask_b32_e32 v2, v2, v12, vcc
	v_cndmask_b32_e32 v6, v10, v11, vcc
	v_lshlrev_b32_e32 v10, 8, v7
	v_mov_b32_e32 v11, 0x3b800000
	v_lshlrev_b32_e32 v2, 20, v2
	v_and_b32_e32 v10, 0x80000000, v10
	v_lshl_add_u32 v6, v6, 23, v11
	v_or3_b32 v2, v10, v6, v2
.LBB7_180:
	s_or_b64 exec, exec, s[6:7]
	s_movk_i32 s4, 0xff
	v_and_b32_sdwa v6, v3, s4 dst_sel:DWORD dst_unused:UNUSED_PAD src0_sel:WORD_1 src1_sel:DWORD
	s_movk_i32 s4, 0x7f
	v_cmp_lt_i16_e32 vcc, s4, v6
	s_mov_b64 s[4:5], 0
                                        ; implicit-def: $sgpr10
	s_and_saveexec_b64 s[6:7], vcc
	s_xor_b64 s[6:7], exec, s[6:7]
	s_cbranch_execnz .LBB7_2229
; %bb.181:
	s_or_saveexec_b64 s[6:7], s[6:7]
	v_mov_b32_e32 v10, s10
	s_xor_b64 exec, exec, s[6:7]
	s_cbranch_execnz .LBB7_2232
.LBB7_182:
	s_or_b64 exec, exec, s[6:7]
	s_and_saveexec_b64 s[6:7], s[4:5]
	s_cbranch_execz .LBB7_184
.LBB7_183:
	v_bfe_u32 v6, v3, 16, 3
	v_ffbh_u32_e32 v12, v6
	v_min_u32_e32 v12, 32, v12
	v_lshrrev_b32_e32 v10, 19, v3
	v_subrev_u32_e32 v13, 28, v12
	v_and_b32_e32 v10, 15, v10
	v_lshlrev_b32_sdwa v13, v13, v3 dst_sel:DWORD dst_unused:UNUSED_PAD src0_sel:DWORD src1_sel:WORD_1
	v_bfe_u32 v11, v3, 19, 4
	v_sub_u32_e32 v12, 29, v12
	v_and_b32_e32 v13, 7, v13
	v_cmp_eq_u16_e32 vcc, 0, v10
	v_cndmask_b32_e32 v6, v6, v13, vcc
	v_cndmask_b32_e32 v10, v11, v12, vcc
	v_lshlrev_b32_e32 v11, 8, v3
	v_mov_b32_e32 v12, 0x3b800000
	v_lshlrev_b32_e32 v6, 20, v6
	v_and_b32_e32 v11, 0x80000000, v11
	v_lshl_add_u32 v10, v10, 23, v12
	v_or3_b32 v10, v11, v10, v6
.LBB7_184:
	s_or_b64 exec, exec, s[6:7]
	s_nop 0
	v_mfma_f32_16x16x4f32 a[0:3], v2, v10, a[0:3]
	s_movk_i32 s4, 0x7f
	v_cmp_gt_i16_sdwa s[6:7], v7, s4 src0_sel:BYTE_3 src1_sel:DWORD
	s_mov_b64 s[4:5], 0
                                        ; implicit-def: $sgpr10
	s_and_saveexec_b64 s[8:9], s[6:7]
	s_xor_b64 s[6:7], exec, s[8:9]
	s_cbranch_execnz .LBB7_2233
; %bb.185:
	s_or_saveexec_b64 s[6:7], s[6:7]
	v_mov_b32_e32 v2, s10
	s_xor_b64 exec, exec, s[6:7]
	s_cbranch_execnz .LBB7_2236
.LBB7_186:
	s_or_b64 exec, exec, s[6:7]
	s_and_saveexec_b64 s[6:7], s[4:5]
	s_cbranch_execz .LBB7_188
.LBB7_187:
	v_bfe_u32 v2, v7, 24, 3
	v_ffbh_u32_e32 v12, v2
	v_min_u32_e32 v12, 32, v12
	v_lshrrev_b32_e32 v10, 27, v7
	v_subrev_u32_e32 v13, 28, v12
	v_and_b32_e32 v6, 0x80000000, v7
	v_and_b32_e32 v10, 15, v10
	v_bfe_u32 v11, v7, 27, 4
	v_lshlrev_b32_sdwa v7, v13, v7 dst_sel:DWORD dst_unused:UNUSED_PAD src0_sel:DWORD src1_sel:BYTE_3
	v_sub_u32_e32 v12, 29, v12
	v_and_b32_e32 v7, 7, v7
	v_cmp_eq_u16_e32 vcc, 0, v10
	v_cndmask_b32_e32 v2, v2, v7, vcc
	v_cndmask_b32_e32 v7, v11, v12, vcc
	v_mov_b32_e32 v10, 0x3b800000
	v_lshlrev_b32_e32 v2, 20, v2
	v_lshl_add_u32 v7, v7, 23, v10
	v_or3_b32 v2, v6, v7, v2
.LBB7_188:
	s_or_b64 exec, exec, s[6:7]
	s_movk_i32 s4, 0x7f
	v_cmp_gt_i16_sdwa s[6:7], v3, s4 src0_sel:BYTE_3 src1_sel:DWORD
	s_mov_b64 s[4:5], 0
                                        ; implicit-def: $sgpr10
	s_and_saveexec_b64 s[8:9], s[6:7]
	s_xor_b64 s[6:7], exec, s[8:9]
	s_cbranch_execnz .LBB7_2237
; %bb.189:
	s_or_saveexec_b64 s[6:7], s[6:7]
	v_mov_b32_e32 v6, s10
	s_xor_b64 exec, exec, s[6:7]
	s_cbranch_execnz .LBB7_2240
.LBB7_190:
	s_or_b64 exec, exec, s[6:7]
	s_and_saveexec_b64 s[6:7], s[4:5]
	s_cbranch_execz .LBB7_192
.LBB7_191:
	v_bfe_u32 v6, v3, 24, 3
	v_ffbh_u32_e32 v12, v6
	v_min_u32_e32 v12, 32, v12
	v_lshrrev_b32_e32 v10, 27, v3
	v_subrev_u32_e32 v13, 28, v12
	v_and_b32_e32 v7, 0x80000000, v3
	v_and_b32_e32 v10, 15, v10
	v_bfe_u32 v11, v3, 27, 4
	v_lshlrev_b32_sdwa v3, v13, v3 dst_sel:DWORD dst_unused:UNUSED_PAD src0_sel:DWORD src1_sel:BYTE_3
	v_sub_u32_e32 v12, 29, v12
	v_and_b32_e32 v3, 7, v3
	v_cmp_eq_u16_e32 vcc, 0, v10
	v_cndmask_b32_e32 v3, v6, v3, vcc
	v_cndmask_b32_e32 v6, v11, v12, vcc
	v_mov_b32_e32 v10, 0x3b800000
	v_lshlrev_b32_e32 v3, 20, v3
	v_lshl_add_u32 v6, v6, 23, v10
	v_or3_b32 v6, v7, v6, v3
.LBB7_192:
	s_or_b64 exec, exec, s[6:7]
	s_nop 0
	v_mfma_f32_16x16x4f32 a[0:3], v2, v6, a[0:3]
	s_movk_i32 s4, 0x7f
	v_cmp_gt_i16_sdwa s[6:7], v8, s4 src0_sel:BYTE_0 src1_sel:DWORD
	s_mov_b64 s[4:5], 0
                                        ; implicit-def: $sgpr10
	s_and_saveexec_b64 s[8:9], s[6:7]
	s_xor_b64 s[6:7], exec, s[8:9]
	s_cbranch_execnz .LBB7_2241
; %bb.193:
	s_or_saveexec_b64 s[6:7], s[6:7]
	v_mov_b32_e32 v2, s10
	s_xor_b64 exec, exec, s[6:7]
	s_cbranch_execnz .LBB7_2244
.LBB7_194:
	s_or_b64 exec, exec, s[6:7]
	s_and_saveexec_b64 s[6:7], s[4:5]
	s_cbranch_execz .LBB7_196
.LBB7_195:
	v_and_b32_e32 v2, 7, v8
	v_ffbh_u32_e32 v6, v2
	v_min_u32_e32 v6, 32, v6
	v_lshrrev_b16_e32 v3, 3, v8
	v_subrev_u32_e32 v7, 28, v6
	v_and_b32_e32 v3, 15, v3
	v_lshlrev_b32_e32 v7, v7, v8
	v_sub_u32_e32 v6, 29, v6
	v_and_b32_e32 v7, 7, v7
	v_cmp_eq_u16_e32 vcc, 0, v3
	v_cndmask_b32_e32 v2, v2, v7, vcc
	v_cndmask_b32_e32 v3, v3, v6, vcc
	v_lshlrev_b32_e32 v6, 24, v8
	v_mov_b32_e32 v7, 0x3b800000
	v_lshlrev_b32_e32 v2, 20, v2
	v_and_b32_e32 v6, 0x80000000, v6
	v_lshl_add_u32 v3, v3, 23, v7
	v_or3_b32 v2, v6, v3, v2
.LBB7_196:
	s_or_b64 exec, exec, s[6:7]
	s_movk_i32 s4, 0x7f
	v_cmp_gt_i16_sdwa s[6:7], v4, s4 src0_sel:BYTE_0 src1_sel:DWORD
	s_mov_b64 s[4:5], 0
                                        ; implicit-def: $sgpr10
	s_and_saveexec_b64 s[8:9], s[6:7]
	s_xor_b64 s[6:7], exec, s[8:9]
	s_cbranch_execnz .LBB7_2245
; %bb.197:
	s_or_saveexec_b64 s[6:7], s[6:7]
	v_mov_b32_e32 v3, s10
	s_xor_b64 exec, exec, s[6:7]
	s_cbranch_execnz .LBB7_2248
.LBB7_198:
	s_or_b64 exec, exec, s[6:7]
	s_and_saveexec_b64 s[6:7], s[4:5]
	s_cbranch_execz .LBB7_200
.LBB7_199:
	v_and_b32_e32 v3, 7, v4
	v_ffbh_u32_e32 v7, v3
	v_min_u32_e32 v7, 32, v7
	v_lshrrev_b16_e32 v6, 3, v4
	v_subrev_u32_e32 v10, 28, v7
	v_and_b32_e32 v6, 15, v6
	v_lshlrev_b32_e32 v10, v10, v4
	v_sub_u32_e32 v7, 29, v7
	v_and_b32_e32 v10, 7, v10
	v_cmp_eq_u16_e32 vcc, 0, v6
	v_cndmask_b32_e32 v3, v3, v10, vcc
	v_cndmask_b32_e32 v6, v6, v7, vcc
	v_lshlrev_b32_e32 v7, 24, v4
	v_mov_b32_e32 v10, 0x3b800000
	v_lshlrev_b32_e32 v3, 20, v3
	v_and_b32_e32 v7, 0x80000000, v7
	v_lshl_add_u32 v6, v6, 23, v10
	v_or3_b32 v3, v7, v6, v3
.LBB7_200:
	s_or_b64 exec, exec, s[6:7]
	s_nop 0
	v_mfma_f32_16x16x4f32 a[0:3], v2, v3, a[0:3]
	v_lshrrev_b32_e32 v3, 8, v8
	s_movk_i32 s4, 0x7f
	v_cmp_gt_i16_sdwa s[6:7], v3, s4 src0_sel:BYTE_0 src1_sel:DWORD
	s_mov_b64 s[4:5], 0
                                        ; implicit-def: $sgpr10
	s_and_saveexec_b64 s[8:9], s[6:7]
	s_xor_b64 s[6:7], exec, s[8:9]
	s_cbranch_execnz .LBB7_2249
; %bb.201:
	s_or_saveexec_b64 s[6:7], s[6:7]
	v_mov_b32_e32 v2, s10
	s_xor_b64 exec, exec, s[6:7]
	s_cbranch_execnz .LBB7_2252
.LBB7_202:
	s_or_b64 exec, exec, s[6:7]
	s_and_saveexec_b64 s[6:7], s[4:5]
	s_cbranch_execz .LBB7_204
.LBB7_203:
	v_bfe_u32 v2, v8, 8, 3
	v_ffbh_u32_e32 v7, v2
	v_min_u32_e32 v7, 32, v7
	v_lshrrev_b16_e32 v6, 3, v3
	v_subrev_u32_e32 v10, 28, v7
	v_and_b32_e32 v6, 15, v6
	v_lshlrev_b32_e32 v3, v10, v3
	v_sub_u32_e32 v7, 29, v7
	v_and_b32_e32 v3, 7, v3
	v_cmp_eq_u16_e32 vcc, 0, v6
	v_cndmask_b32_e32 v2, v2, v3, vcc
	v_cndmask_b32_e32 v3, v6, v7, vcc
	v_lshlrev_b32_e32 v6, 16, v8
	v_mov_b32_e32 v7, 0x3b800000
	v_lshlrev_b32_e32 v2, 20, v2
	v_and_b32_e32 v6, 0x80000000, v6
	v_lshl_add_u32 v3, v3, 23, v7
	v_or3_b32 v2, v6, v3, v2
.LBB7_204:
	s_or_b64 exec, exec, s[6:7]
	v_lshrrev_b32_e32 v3, 8, v4
	s_movk_i32 s4, 0x7f
	v_cmp_gt_i16_sdwa s[6:7], v3, s4 src0_sel:BYTE_0 src1_sel:DWORD
	s_mov_b64 s[4:5], 0
                                        ; implicit-def: $sgpr10
	s_and_saveexec_b64 s[8:9], s[6:7]
	s_xor_b64 s[6:7], exec, s[8:9]
	s_cbranch_execnz .LBB7_2253
; %bb.205:
	s_or_saveexec_b64 s[6:7], s[6:7]
	v_mov_b32_e32 v6, s10
	s_xor_b64 exec, exec, s[6:7]
	s_cbranch_execnz .LBB7_2256
.LBB7_206:
	s_or_b64 exec, exec, s[6:7]
	s_and_saveexec_b64 s[6:7], s[4:5]
	s_cbranch_execz .LBB7_208
.LBB7_207:
	v_bfe_u32 v6, v4, 8, 3
	v_ffbh_u32_e32 v10, v6
	v_min_u32_e32 v10, 32, v10
	v_lshrrev_b16_e32 v7, 3, v3
	v_subrev_u32_e32 v11, 28, v10
	v_and_b32_e32 v7, 15, v7
	v_lshlrev_b32_e32 v3, v11, v3
	v_sub_u32_e32 v10, 29, v10
	v_and_b32_e32 v3, 7, v3
	v_cmp_eq_u16_e32 vcc, 0, v7
	v_cndmask_b32_e32 v3, v6, v3, vcc
	v_cndmask_b32_e32 v6, v7, v10, vcc
	v_lshlrev_b32_e32 v7, 16, v4
	v_mov_b32_e32 v10, 0x3b800000
	v_lshlrev_b32_e32 v3, 20, v3
	v_and_b32_e32 v7, 0x80000000, v7
	v_lshl_add_u32 v6, v6, 23, v10
	v_or3_b32 v6, v7, v6, v3
.LBB7_208:
	s_or_b64 exec, exec, s[6:7]
	s_nop 0
	v_mfma_f32_16x16x4f32 a[0:3], v2, v6, a[0:3]
	s_movk_i32 s4, 0xff
	v_and_b32_sdwa v3, v8, s4 dst_sel:DWORD dst_unused:UNUSED_PAD src0_sel:WORD_1 src1_sel:DWORD
	s_movk_i32 s4, 0x7f
	v_cmp_lt_i16_e32 vcc, s4, v3
	s_mov_b64 s[4:5], 0
                                        ; implicit-def: $sgpr10
	s_and_saveexec_b64 s[6:7], vcc
	s_xor_b64 s[6:7], exec, s[6:7]
	s_cbranch_execnz .LBB7_2257
; %bb.209:
	s_or_saveexec_b64 s[6:7], s[6:7]
	v_mov_b32_e32 v2, s10
	s_xor_b64 exec, exec, s[6:7]
	s_cbranch_execnz .LBB7_2260
.LBB7_210:
	s_or_b64 exec, exec, s[6:7]
	s_and_saveexec_b64 s[6:7], s[4:5]
	s_cbranch_execz .LBB7_212
.LBB7_211:
	v_bfe_u32 v2, v8, 16, 3
	v_ffbh_u32_e32 v7, v2
	v_min_u32_e32 v7, 32, v7
	v_lshrrev_b32_e32 v3, 19, v8
	v_subrev_u32_e32 v10, 28, v7
	v_and_b32_e32 v3, 15, v3
	v_lshlrev_b32_sdwa v10, v10, v8 dst_sel:DWORD dst_unused:UNUSED_PAD src0_sel:DWORD src1_sel:WORD_1
	v_bfe_u32 v6, v8, 19, 4
	v_sub_u32_e32 v7, 29, v7
	v_and_b32_e32 v10, 7, v10
	v_cmp_eq_u16_e32 vcc, 0, v3
	v_cndmask_b32_e32 v2, v2, v10, vcc
	v_cndmask_b32_e32 v3, v6, v7, vcc
	v_lshlrev_b32_e32 v6, 8, v8
	v_mov_b32_e32 v7, 0x3b800000
	v_lshlrev_b32_e32 v2, 20, v2
	v_and_b32_e32 v6, 0x80000000, v6
	v_lshl_add_u32 v3, v3, 23, v7
	v_or3_b32 v2, v6, v3, v2
.LBB7_212:
	s_or_b64 exec, exec, s[6:7]
	s_movk_i32 s4, 0xff
	v_and_b32_sdwa v3, v4, s4 dst_sel:DWORD dst_unused:UNUSED_PAD src0_sel:WORD_1 src1_sel:DWORD
	s_movk_i32 s4, 0x7f
	v_cmp_lt_i16_e32 vcc, s4, v3
	s_mov_b64 s[4:5], 0
                                        ; implicit-def: $sgpr10
	s_and_saveexec_b64 s[6:7], vcc
	s_xor_b64 s[6:7], exec, s[6:7]
	s_cbranch_execnz .LBB7_2261
; %bb.213:
	s_or_saveexec_b64 s[6:7], s[6:7]
	v_mov_b32_e32 v6, s10
	s_xor_b64 exec, exec, s[6:7]
	s_cbranch_execnz .LBB7_2264
.LBB7_214:
	s_or_b64 exec, exec, s[6:7]
	s_and_saveexec_b64 s[6:7], s[4:5]
	s_cbranch_execz .LBB7_216
.LBB7_215:
	v_bfe_u32 v3, v4, 16, 3
	v_ffbh_u32_e32 v10, v3
	v_min_u32_e32 v10, 32, v10
	v_lshrrev_b32_e32 v6, 19, v4
	v_subrev_u32_e32 v11, 28, v10
	v_and_b32_e32 v6, 15, v6
	v_lshlrev_b32_sdwa v11, v11, v4 dst_sel:DWORD dst_unused:UNUSED_PAD src0_sel:DWORD src1_sel:WORD_1
	v_bfe_u32 v7, v4, 19, 4
	v_sub_u32_e32 v10, 29, v10
	v_and_b32_e32 v11, 7, v11
	v_cmp_eq_u16_e32 vcc, 0, v6
	v_cndmask_b32_e32 v3, v3, v11, vcc
	v_cndmask_b32_e32 v6, v7, v10, vcc
	v_lshlrev_b32_e32 v7, 8, v4
	v_mov_b32_e32 v10, 0x3b800000
	v_lshlrev_b32_e32 v3, 20, v3
	v_and_b32_e32 v7, 0x80000000, v7
	v_lshl_add_u32 v6, v6, 23, v10
	v_or3_b32 v6, v7, v6, v3
.LBB7_216:
	s_or_b64 exec, exec, s[6:7]
	s_nop 0
	v_mfma_f32_16x16x4f32 a[0:3], v2, v6, a[0:3]
	s_movk_i32 s4, 0x7f
	v_cmp_gt_i16_sdwa s[6:7], v8, s4 src0_sel:BYTE_3 src1_sel:DWORD
	s_mov_b64 s[4:5], 0
                                        ; implicit-def: $sgpr10
	s_and_saveexec_b64 s[8:9], s[6:7]
	s_xor_b64 s[6:7], exec, s[8:9]
	s_cbranch_execnz .LBB7_2265
; %bb.217:
	s_or_saveexec_b64 s[6:7], s[6:7]
	v_mov_b32_e32 v2, s10
	s_xor_b64 exec, exec, s[6:7]
	s_cbranch_execnz .LBB7_2268
.LBB7_218:
	s_or_b64 exec, exec, s[6:7]
	s_and_saveexec_b64 s[6:7], s[4:5]
	s_cbranch_execz .LBB7_220
.LBB7_219:
	v_bfe_u32 v2, v8, 24, 3
	v_ffbh_u32_e32 v10, v2
	v_min_u32_e32 v10, 32, v10
	v_lshrrev_b32_e32 v6, 27, v8
	v_subrev_u32_e32 v11, 28, v10
	v_and_b32_e32 v3, 0x80000000, v8
	v_and_b32_e32 v6, 15, v6
	v_bfe_u32 v7, v8, 27, 4
	v_lshlrev_b32_sdwa v8, v11, v8 dst_sel:DWORD dst_unused:UNUSED_PAD src0_sel:DWORD src1_sel:BYTE_3
	v_sub_u32_e32 v10, 29, v10
	v_and_b32_e32 v8, 7, v8
	v_cmp_eq_u16_e32 vcc, 0, v6
	v_cndmask_b32_e32 v2, v2, v8, vcc
	v_cndmask_b32_e32 v6, v7, v10, vcc
	v_mov_b32_e32 v7, 0x3b800000
	v_lshlrev_b32_e32 v2, 20, v2
	v_lshl_add_u32 v6, v6, 23, v7
	v_or3_b32 v2, v3, v6, v2
.LBB7_220:
	s_or_b64 exec, exec, s[6:7]
	s_movk_i32 s4, 0x7f
	v_cmp_gt_i16_sdwa s[6:7], v4, s4 src0_sel:BYTE_3 src1_sel:DWORD
	s_mov_b64 s[4:5], 0
                                        ; implicit-def: $sgpr10
	s_and_saveexec_b64 s[8:9], s[6:7]
	s_xor_b64 s[6:7], exec, s[8:9]
	s_cbranch_execnz .LBB7_2269
; %bb.221:
	s_or_saveexec_b64 s[6:7], s[6:7]
	v_mov_b32_e32 v3, s10
	s_xor_b64 exec, exec, s[6:7]
	s_cbranch_execnz .LBB7_2272
.LBB7_222:
	s_or_b64 exec, exec, s[6:7]
	s_and_saveexec_b64 s[6:7], s[4:5]
	s_cbranch_execz .LBB7_224
.LBB7_223:
	v_bfe_u32 v3, v4, 24, 3
	v_ffbh_u32_e32 v10, v3
	v_min_u32_e32 v10, 32, v10
	v_lshrrev_b32_e32 v7, 27, v4
	v_subrev_u32_e32 v11, 28, v10
	v_and_b32_e32 v6, 0x80000000, v4
	v_and_b32_e32 v7, 15, v7
	v_bfe_u32 v8, v4, 27, 4
	v_lshlrev_b32_sdwa v4, v11, v4 dst_sel:DWORD dst_unused:UNUSED_PAD src0_sel:DWORD src1_sel:BYTE_3
	v_sub_u32_e32 v10, 29, v10
	v_and_b32_e32 v4, 7, v4
	v_cmp_eq_u16_e32 vcc, 0, v7
	v_cndmask_b32_e32 v3, v3, v4, vcc
	v_cndmask_b32_e32 v4, v8, v10, vcc
	v_mov_b32_e32 v7, 0x3b800000
	v_lshlrev_b32_e32 v3, 20, v3
	v_lshl_add_u32 v4, v4, 23, v7
	v_or3_b32 v3, v6, v4, v3
.LBB7_224:
	s_or_b64 exec, exec, s[6:7]
	s_nop 0
	v_mfma_f32_16x16x4f32 a[0:3], v2, v3, a[0:3]
	s_movk_i32 s4, 0x7f
	v_cmp_gt_i16_sdwa s[6:7], v9, s4 src0_sel:BYTE_0 src1_sel:DWORD
	s_mov_b64 s[4:5], 0
                                        ; implicit-def: $sgpr10
	s_and_saveexec_b64 s[8:9], s[6:7]
	s_xor_b64 s[6:7], exec, s[8:9]
	s_cbranch_execnz .LBB7_2273
; %bb.225:
	s_or_saveexec_b64 s[6:7], s[6:7]
	v_mov_b32_e32 v2, s10
	s_xor_b64 exec, exec, s[6:7]
	s_cbranch_execnz .LBB7_2276
.LBB7_226:
	s_or_b64 exec, exec, s[6:7]
	s_and_saveexec_b64 s[6:7], s[4:5]
	s_cbranch_execz .LBB7_228
.LBB7_227:
	v_mov_b32_e32 v2, 8
	v_and_b32_e32 v3, 7, v9
	v_lshrrev_b32_sdwa v2, v2, v9 dst_sel:BYTE_1 dst_unused:UNUSED_PAD src0_sel:DWORD src1_sel:DWORD
	v_ffbh_u32_e32 v4, v3
	v_or_b32_sdwa v2, v9, v2 dst_sel:DWORD dst_unused:UNUSED_PAD src0_sel:BYTE_0 src1_sel:DWORD
	v_min_u32_e32 v4, 32, v4
	v_lshrrev_b16_e32 v2, 3, v2
	v_subrev_u32_e32 v6, 28, v4
	v_and_b32_e32 v2, 15, v2
	v_lshlrev_b32_e32 v6, v6, v9
	v_sub_u32_e32 v4, 29, v4
	v_and_b32_e32 v6, 7, v6
	v_cmp_eq_u16_e32 vcc, 0, v2
	v_cndmask_b32_e32 v3, v3, v6, vcc
	v_cndmask_b32_e32 v2, v2, v4, vcc
	v_lshlrev_b32_e32 v4, 24, v9
	v_mov_b32_e32 v6, 0x3b800000
	v_lshlrev_b32_e32 v3, 20, v3
	v_and_b32_e32 v4, 0x80000000, v4
	v_lshl_add_u32 v2, v2, 23, v6
	v_or3_b32 v2, v4, v2, v3
.LBB7_228:
	s_or_b64 exec, exec, s[6:7]
	s_movk_i32 s4, 0x7f
	v_cmp_gt_i16_sdwa s[6:7], v5, s4 src0_sel:BYTE_0 src1_sel:DWORD
	s_mov_b64 s[4:5], 0
                                        ; implicit-def: $sgpr10
	s_and_saveexec_b64 s[8:9], s[6:7]
	s_xor_b64 s[6:7], exec, s[8:9]
	s_cbranch_execnz .LBB7_2277
; %bb.229:
	s_or_saveexec_b64 s[6:7], s[6:7]
	v_mov_b32_e32 v3, s10
	s_xor_b64 exec, exec, s[6:7]
	s_cbranch_execnz .LBB7_2280
.LBB7_230:
	s_or_b64 exec, exec, s[6:7]
	s_and_saveexec_b64 s[6:7], s[4:5]
	s_cbranch_execz .LBB7_232
.LBB7_231:
	v_mov_b32_e32 v3, 8
	v_and_b32_e32 v4, 7, v5
	v_lshrrev_b32_sdwa v3, v3, v5 dst_sel:BYTE_1 dst_unused:UNUSED_PAD src0_sel:DWORD src1_sel:DWORD
	v_ffbh_u32_e32 v6, v4
	v_or_b32_sdwa v3, v5, v3 dst_sel:DWORD dst_unused:UNUSED_PAD src0_sel:BYTE_0 src1_sel:DWORD
	v_min_u32_e32 v6, 32, v6
	v_lshrrev_b16_e32 v3, 3, v3
	v_subrev_u32_e32 v7, 28, v6
	v_and_b32_e32 v3, 15, v3
	v_lshlrev_b32_e32 v7, v7, v5
	v_sub_u32_e32 v6, 29, v6
	v_and_b32_e32 v7, 7, v7
	v_cmp_eq_u16_e32 vcc, 0, v3
	v_cndmask_b32_e32 v4, v4, v7, vcc
	v_cndmask_b32_e32 v3, v3, v6, vcc
	v_lshlrev_b32_e32 v6, 24, v5
	v_mov_b32_e32 v7, 0x3b800000
	v_lshlrev_b32_e32 v4, 20, v4
	v_and_b32_e32 v6, 0x80000000, v6
	v_lshl_add_u32 v3, v3, 23, v7
	v_or3_b32 v3, v6, v3, v4
.LBB7_232:
	s_or_b64 exec, exec, s[6:7]
	s_nop 0
	v_mfma_f32_16x16x4f32 a[0:3], v2, v3, a[0:3]
	v_lshrrev_b32_e32 v3, 8, v9
	s_movk_i32 s4, 0x7f
	v_cmp_gt_i16_sdwa s[6:7], v3, s4 src0_sel:BYTE_0 src1_sel:DWORD
	s_mov_b64 s[4:5], 0
                                        ; implicit-def: $sgpr10
	s_and_saveexec_b64 s[8:9], s[6:7]
	s_xor_b64 s[6:7], exec, s[8:9]
	s_cbranch_execnz .LBB7_2281
; %bb.233:
	s_or_saveexec_b64 s[6:7], s[6:7]
	v_mov_b32_e32 v2, s10
	s_xor_b64 exec, exec, s[6:7]
	s_cbranch_execnz .LBB7_2284
.LBB7_234:
	s_or_b64 exec, exec, s[6:7]
	s_and_saveexec_b64 s[6:7], s[4:5]
	s_cbranch_execz .LBB7_236
.LBB7_235:
	v_bfe_u32 v2, v9, 8, 3
	v_ffbh_u32_e32 v6, v2
	v_min_u32_e32 v6, 32, v6
	v_lshrrev_b16_e32 v4, 3, v3
	v_subrev_u32_e32 v7, 28, v6
	v_and_b32_e32 v4, 15, v4
	v_lshlrev_b32_e32 v3, v7, v3
	v_sub_u32_e32 v6, 29, v6
	v_and_b32_e32 v3, 7, v3
	v_cmp_eq_u16_e32 vcc, 0, v4
	v_cndmask_b32_e32 v2, v2, v3, vcc
	v_cndmask_b32_e32 v3, v4, v6, vcc
	v_lshlrev_b32_e32 v4, 16, v9
	v_mov_b32_e32 v6, 0x3b800000
	v_lshlrev_b32_e32 v2, 20, v2
	v_and_b32_e32 v4, 0x80000000, v4
	v_lshl_add_u32 v3, v3, 23, v6
	v_or3_b32 v2, v4, v3, v2
.LBB7_236:
	s_or_b64 exec, exec, s[6:7]
	v_lshrrev_b32_e32 v3, 8, v5
	s_movk_i32 s4, 0x7f
	v_cmp_gt_i16_sdwa s[6:7], v3, s4 src0_sel:BYTE_0 src1_sel:DWORD
	s_mov_b64 s[4:5], 0
                                        ; implicit-def: $sgpr10
	s_and_saveexec_b64 s[8:9], s[6:7]
	s_xor_b64 s[6:7], exec, s[8:9]
	s_cbranch_execnz .LBB7_2285
; %bb.237:
	s_or_saveexec_b64 s[6:7], s[6:7]
	v_mov_b32_e32 v4, s10
	s_xor_b64 exec, exec, s[6:7]
	s_cbranch_execnz .LBB7_2288
.LBB7_238:
	s_or_b64 exec, exec, s[6:7]
	s_and_saveexec_b64 s[6:7], s[4:5]
	s_cbranch_execz .LBB7_240
.LBB7_239:
	v_bfe_u32 v4, v5, 8, 3
	v_ffbh_u32_e32 v7, v4
	v_min_u32_e32 v7, 32, v7
	v_lshrrev_b16_e32 v6, 3, v3
	v_subrev_u32_e32 v8, 28, v7
	v_and_b32_e32 v6, 15, v6
	v_lshlrev_b32_e32 v3, v8, v3
	v_sub_u32_e32 v7, 29, v7
	v_and_b32_e32 v3, 7, v3
	v_cmp_eq_u16_e32 vcc, 0, v6
	v_cndmask_b32_e32 v3, v4, v3, vcc
	v_cndmask_b32_e32 v4, v6, v7, vcc
	v_lshlrev_b32_e32 v6, 16, v5
	v_mov_b32_e32 v7, 0x3b800000
	v_lshlrev_b32_e32 v3, 20, v3
	v_and_b32_e32 v6, 0x80000000, v6
	v_lshl_add_u32 v4, v4, 23, v7
	v_or3_b32 v4, v6, v4, v3
.LBB7_240:
	s_or_b64 exec, exec, s[6:7]
	s_nop 0
	v_mfma_f32_16x16x4f32 a[0:3], v2, v4, a[0:3]
	s_movk_i32 s4, 0xff
	v_and_b32_sdwa v3, v9, s4 dst_sel:DWORD dst_unused:UNUSED_PAD src0_sel:WORD_1 src1_sel:DWORD
	s_movk_i32 s4, 0x7f
	v_cmp_lt_i16_e32 vcc, s4, v3
	s_mov_b64 s[4:5], 0
                                        ; implicit-def: $sgpr10
	s_and_saveexec_b64 s[6:7], vcc
	s_xor_b64 s[6:7], exec, s[6:7]
	s_cbranch_execnz .LBB7_2289
; %bb.241:
	s_or_saveexec_b64 s[6:7], s[6:7]
	v_mov_b32_e32 v2, s10
	s_xor_b64 exec, exec, s[6:7]
	s_cbranch_execnz .LBB7_2292
.LBB7_242:
	s_or_b64 exec, exec, s[6:7]
	s_and_saveexec_b64 s[6:7], s[4:5]
	s_cbranch_execz .LBB7_244
.LBB7_243:
	v_bfe_u32 v2, v9, 16, 3
	v_ffbh_u32_e32 v6, v2
	v_min_u32_e32 v6, 32, v6
	v_lshrrev_b32_e32 v3, 19, v9
	v_subrev_u32_e32 v7, 28, v6
	v_and_b32_e32 v3, 15, v3
	v_lshlrev_b32_sdwa v7, v7, v9 dst_sel:DWORD dst_unused:UNUSED_PAD src0_sel:DWORD src1_sel:WORD_1
	v_bfe_u32 v4, v9, 19, 4
	v_sub_u32_e32 v6, 29, v6
	v_and_b32_e32 v7, 7, v7
	v_cmp_eq_u16_e32 vcc, 0, v3
	v_cndmask_b32_e32 v2, v2, v7, vcc
	v_cndmask_b32_e32 v3, v4, v6, vcc
	v_lshlrev_b32_e32 v4, 8, v9
	v_mov_b32_e32 v6, 0x3b800000
	v_lshlrev_b32_e32 v2, 20, v2
	v_and_b32_e32 v4, 0x80000000, v4
	v_lshl_add_u32 v3, v3, 23, v6
	v_or3_b32 v2, v4, v3, v2
.LBB7_244:
	s_or_b64 exec, exec, s[6:7]
	s_movk_i32 s4, 0xff
	v_and_b32_sdwa v3, v5, s4 dst_sel:DWORD dst_unused:UNUSED_PAD src0_sel:WORD_1 src1_sel:DWORD
	s_movk_i32 s4, 0x7f
	v_cmp_lt_i16_e32 vcc, s4, v3
	s_mov_b64 s[4:5], 0
                                        ; implicit-def: $sgpr10
	s_and_saveexec_b64 s[6:7], vcc
	s_xor_b64 s[6:7], exec, s[6:7]
	s_cbranch_execnz .LBB7_2293
; %bb.245:
	s_or_saveexec_b64 s[6:7], s[6:7]
	v_mov_b32_e32 v4, s10
	s_xor_b64 exec, exec, s[6:7]
	s_cbranch_execnz .LBB7_2296
.LBB7_246:
	s_or_b64 exec, exec, s[6:7]
	s_and_saveexec_b64 s[6:7], s[4:5]
	s_cbranch_execz .LBB7_248
.LBB7_247:
	v_bfe_u32 v3, v5, 16, 3
	v_ffbh_u32_e32 v7, v3
	v_min_u32_e32 v7, 32, v7
	v_lshrrev_b32_e32 v4, 19, v5
	v_subrev_u32_e32 v8, 28, v7
	v_and_b32_e32 v4, 15, v4
	v_lshlrev_b32_sdwa v8, v8, v5 dst_sel:DWORD dst_unused:UNUSED_PAD src0_sel:DWORD src1_sel:WORD_1
	v_bfe_u32 v6, v5, 19, 4
	v_sub_u32_e32 v7, 29, v7
	v_and_b32_e32 v8, 7, v8
	v_cmp_eq_u16_e32 vcc, 0, v4
	v_cndmask_b32_e32 v3, v3, v8, vcc
	v_cndmask_b32_e32 v4, v6, v7, vcc
	v_lshlrev_b32_e32 v6, 8, v5
	v_mov_b32_e32 v7, 0x3b800000
	v_lshlrev_b32_e32 v3, 20, v3
	v_and_b32_e32 v6, 0x80000000, v6
	v_lshl_add_u32 v4, v4, 23, v7
	v_or3_b32 v4, v6, v4, v3
.LBB7_248:
	s_or_b64 exec, exec, s[6:7]
	s_nop 0
	v_mfma_f32_16x16x4f32 a[0:3], v2, v4, a[0:3]
	s_movk_i32 s4, 0x7f
	v_cmp_gt_i16_sdwa s[6:7], v9, s4 src0_sel:BYTE_3 src1_sel:DWORD
	s_mov_b64 s[4:5], 0
                                        ; implicit-def: $sgpr10
	s_and_saveexec_b64 s[8:9], s[6:7]
	s_xor_b64 s[6:7], exec, s[8:9]
	s_cbranch_execnz .LBB7_2297
; %bb.249:
	s_or_saveexec_b64 s[6:7], s[6:7]
	v_mov_b32_e32 v2, s10
	s_xor_b64 exec, exec, s[6:7]
	s_cbranch_execnz .LBB7_2300
.LBB7_250:
	s_or_b64 exec, exec, s[6:7]
	s_and_saveexec_b64 s[6:7], s[4:5]
	s_cbranch_execz .LBB7_252
.LBB7_251:
	v_bfe_u32 v2, v9, 24, 3
	v_ffbh_u32_e32 v7, v2
	v_min_u32_e32 v7, 32, v7
	v_lshrrev_b32_e32 v4, 27, v9
	v_subrev_u32_e32 v8, 28, v7
	v_and_b32_e32 v4, 15, v4
	v_lshlrev_b32_sdwa v8, v8, v9 dst_sel:DWORD dst_unused:UNUSED_PAD src0_sel:DWORD src1_sel:BYTE_3
	v_bfe_u32 v6, v9, 27, 4
	v_sub_u32_e32 v7, 29, v7
	v_and_b32_e32 v8, 7, v8
	v_cmp_eq_u16_e32 vcc, 0, v4
	v_cndmask_b32_e32 v2, v2, v8, vcc
	v_cndmask_b32_e32 v4, v6, v7, vcc
	v_mov_b32_e32 v6, 0x3b800000
	v_and_b32_e32 v3, 0x80000000, v9
	v_lshlrev_b32_e32 v2, 20, v2
	v_lshl_add_u32 v4, v4, 23, v6
	v_or3_b32 v2, v3, v4, v2
.LBB7_252:
	s_or_b64 exec, exec, s[6:7]
	s_movk_i32 s4, 0x7f
	v_cmp_gt_i16_sdwa s[6:7], v5, s4 src0_sel:BYTE_3 src1_sel:DWORD
	s_mov_b64 s[4:5], 0
                                        ; implicit-def: $sgpr10
	s_and_saveexec_b64 s[8:9], s[6:7]
	s_xor_b64 s[6:7], exec, s[8:9]
	s_cbranch_execnz .LBB7_2301
; %bb.253:
	s_or_saveexec_b64 s[6:7], s[6:7]
	v_mov_b32_e32 v3, s10
	s_xor_b64 exec, exec, s[6:7]
	s_cbranch_execnz .LBB7_2304
.LBB7_254:
	s_or_b64 exec, exec, s[6:7]
	s_and_saveexec_b64 s[6:7], s[4:5]
	s_cbranch_execz .LBB7_256
.LBB7_255:
	v_bfe_u32 v3, v5, 24, 3
	v_ffbh_u32_e32 v8, v3
	v_min_u32_e32 v8, 32, v8
	v_lshrrev_b32_e32 v6, 27, v5
	v_subrev_u32_e32 v9, 28, v8
	v_and_b32_e32 v4, 0x80000000, v5
	v_and_b32_e32 v6, 15, v6
	v_bfe_u32 v7, v5, 27, 4
	v_lshlrev_b32_sdwa v5, v9, v5 dst_sel:DWORD dst_unused:UNUSED_PAD src0_sel:DWORD src1_sel:BYTE_3
	v_sub_u32_e32 v8, 29, v8
	v_and_b32_e32 v5, 7, v5
	v_cmp_eq_u16_e32 vcc, 0, v6
	v_cndmask_b32_e32 v3, v3, v5, vcc
	v_cndmask_b32_e32 v5, v7, v8, vcc
	v_mov_b32_e32 v6, 0x3b800000
	v_lshlrev_b32_e32 v3, 20, v3
	v_lshl_add_u32 v5, v5, 23, v6
	v_or3_b32 v3, v4, v5, v3
.LBB7_256:
	s_or_b64 exec, exec, s[6:7]
	s_nop 0
	v_mfma_f32_16x16x4f32 a[0:3], v2, v3, a[0:3]
	s_movk_i32 s4, 0x7f
                                        ; implicit-def: $sgpr10
	s_nop 7
	s_nop 1
	flat_store_dwordx4 v[18:19], a[0:3] offset:640
	flat_load_dwordx4 v[20:23], v[0:1] offset:16
	s_nop 0
	flat_load_dwordx2 v[18:19], v[0:1] offset:32
	s_waitcnt vmcnt(0) lgkmcnt(0)
	flat_load_dwordx4 v[14:17], v[20:21] offset:32
	flat_load_dwordx4 v[10:13], v[22:23] offset:32
	;; [unrolled: 1-line block ×4, first 2 shown]
	s_waitcnt vmcnt(0) lgkmcnt(0)
	v_cmp_gt_i16_sdwa s[6:7], v14, s4 src0_sel:BYTE_0 src1_sel:DWORD
	s_mov_b64 s[4:5], 0
	s_and_saveexec_b64 s[8:9], s[6:7]
	s_xor_b64 s[6:7], exec, s[8:9]
	s_cbranch_execnz .LBB7_2305
; %bb.257:
	s_or_saveexec_b64 s[6:7], s[6:7]
	v_mov_b32_e32 v20, s10
	s_xor_b64 exec, exec, s[6:7]
	s_cbranch_execnz .LBB7_2308
.LBB7_258:
	s_or_b64 exec, exec, s[6:7]
	s_and_saveexec_b64 s[6:7], s[4:5]
	s_cbranch_execz .LBB7_260
.LBB7_259:
	v_and_b32_e32 v20, 7, v14
	v_ffbh_u32_e32 v22, v20
	v_min_u32_e32 v22, 32, v22
	v_lshrrev_b16_e32 v21, 3, v14
	v_subrev_u32_e32 v23, 28, v22
	v_and_b32_e32 v21, 15, v21
	v_lshlrev_b32_e32 v23, v23, v14
	v_sub_u32_e32 v22, 29, v22
	v_and_b32_e32 v23, 7, v23
	v_cmp_eq_u16_e32 vcc, 0, v21
	v_cndmask_b32_e32 v20, v20, v23, vcc
	v_cndmask_b32_e32 v21, v21, v22, vcc
	v_lshlrev_b32_e32 v22, 24, v14
	v_mov_b32_e32 v23, 0x3b800000
	v_lshlrev_b32_e32 v20, 20, v20
	v_and_b32_e32 v22, 0x80000000, v22
	v_lshl_add_u32 v21, v21, 23, v23
	v_or3_b32 v20, v22, v21, v20
.LBB7_260:
	s_or_b64 exec, exec, s[6:7]
	s_movk_i32 s4, 0x7f
	v_cmp_gt_i16_sdwa s[6:7], v10, s4 src0_sel:BYTE_0 src1_sel:DWORD
	s_mov_b64 s[4:5], 0
                                        ; implicit-def: $sgpr10
	s_and_saveexec_b64 s[8:9], s[6:7]
	s_xor_b64 s[6:7], exec, s[8:9]
	s_cbranch_execnz .LBB7_2309
; %bb.261:
	s_or_saveexec_b64 s[6:7], s[6:7]
	v_mov_b32_e32 v21, s10
	s_xor_b64 exec, exec, s[6:7]
	s_cbranch_execnz .LBB7_2312
.LBB7_262:
	s_or_b64 exec, exec, s[6:7]
	s_and_saveexec_b64 s[6:7], s[4:5]
	s_cbranch_execz .LBB7_264
.LBB7_263:
	v_and_b32_e32 v21, 7, v10
	v_ffbh_u32_e32 v23, v21
	v_min_u32_e32 v23, 32, v23
	v_lshrrev_b16_e32 v22, 3, v10
	v_subrev_u32_e32 v24, 28, v23
	v_and_b32_e32 v22, 15, v22
	v_lshlrev_b32_e32 v24, v24, v10
	v_sub_u32_e32 v23, 29, v23
	v_and_b32_e32 v24, 7, v24
	v_cmp_eq_u16_e32 vcc, 0, v22
	v_cndmask_b32_e32 v21, v21, v24, vcc
	v_cndmask_b32_e32 v22, v22, v23, vcc
	v_lshlrev_b32_e32 v23, 24, v10
	v_mov_b32_e32 v24, 0x3b800000
	v_lshlrev_b32_e32 v21, 20, v21
	v_and_b32_e32 v23, 0x80000000, v23
	v_lshl_add_u32 v22, v22, 23, v24
	v_or3_b32 v21, v23, v22, v21
.LBB7_264:
	s_or_b64 exec, exec, s[6:7]
	flat_load_dwordx4 a[0:3], v[18:19] offset:656
	s_movk_i32 s4, 0x7f
                                        ; implicit-def: $sgpr10
	s_waitcnt vmcnt(0) lgkmcnt(0)
	v_mfma_f32_16x16x4f32 a[0:3], v20, v21, a[0:3]
	v_lshrrev_b32_e32 v21, 8, v14
	v_cmp_gt_i16_sdwa s[6:7], v21, s4 src0_sel:BYTE_0 src1_sel:DWORD
	s_mov_b64 s[4:5], 0
	s_and_saveexec_b64 s[8:9], s[6:7]
	s_xor_b64 s[6:7], exec, s[8:9]
	s_cbranch_execnz .LBB7_2313
; %bb.265:
	s_or_saveexec_b64 s[6:7], s[6:7]
	v_mov_b32_e32 v20, s10
	s_xor_b64 exec, exec, s[6:7]
	s_cbranch_execnz .LBB7_2316
.LBB7_266:
	s_or_b64 exec, exec, s[6:7]
	s_and_saveexec_b64 s[6:7], s[4:5]
	s_cbranch_execz .LBB7_268
.LBB7_267:
	v_bfe_u32 v20, v14, 8, 3
	v_ffbh_u32_e32 v23, v20
	v_min_u32_e32 v23, 32, v23
	v_lshrrev_b16_e32 v22, 3, v21
	v_subrev_u32_e32 v24, 28, v23
	v_and_b32_e32 v22, 15, v22
	v_lshlrev_b32_e32 v21, v24, v21
	v_sub_u32_e32 v23, 29, v23
	v_and_b32_e32 v21, 7, v21
	v_cmp_eq_u16_e32 vcc, 0, v22
	v_cndmask_b32_e32 v20, v20, v21, vcc
	v_cndmask_b32_e32 v21, v22, v23, vcc
	v_lshlrev_b32_e32 v22, 16, v14
	v_mov_b32_e32 v23, 0x3b800000
	v_lshlrev_b32_e32 v20, 20, v20
	v_and_b32_e32 v22, 0x80000000, v22
	v_lshl_add_u32 v21, v21, 23, v23
	v_or3_b32 v20, v22, v21, v20
.LBB7_268:
	s_or_b64 exec, exec, s[6:7]
	v_lshrrev_b32_e32 v21, 8, v10
	s_movk_i32 s4, 0x7f
	v_cmp_gt_i16_sdwa s[6:7], v21, s4 src0_sel:BYTE_0 src1_sel:DWORD
	s_mov_b64 s[4:5], 0
                                        ; implicit-def: $sgpr10
	s_and_saveexec_b64 s[8:9], s[6:7]
	s_xor_b64 s[6:7], exec, s[8:9]
	s_cbranch_execnz .LBB7_2317
; %bb.269:
	s_or_saveexec_b64 s[6:7], s[6:7]
	v_mov_b32_e32 v22, s10
	s_xor_b64 exec, exec, s[6:7]
	s_cbranch_execnz .LBB7_2320
.LBB7_270:
	s_or_b64 exec, exec, s[6:7]
	s_and_saveexec_b64 s[6:7], s[4:5]
	s_cbranch_execz .LBB7_272
.LBB7_271:
	v_bfe_u32 v22, v10, 8, 3
	v_ffbh_u32_e32 v24, v22
	v_min_u32_e32 v24, 32, v24
	v_lshrrev_b16_e32 v23, 3, v21
	v_subrev_u32_e32 v25, 28, v24
	v_and_b32_e32 v23, 15, v23
	v_lshlrev_b32_e32 v21, v25, v21
	v_sub_u32_e32 v24, 29, v24
	v_and_b32_e32 v21, 7, v21
	v_cmp_eq_u16_e32 vcc, 0, v23
	v_cndmask_b32_e32 v21, v22, v21, vcc
	v_cndmask_b32_e32 v22, v23, v24, vcc
	v_lshlrev_b32_e32 v23, 16, v10
	v_mov_b32_e32 v24, 0x3b800000
	v_lshlrev_b32_e32 v21, 20, v21
	v_and_b32_e32 v23, 0x80000000, v23
	v_lshl_add_u32 v22, v22, 23, v24
	v_or3_b32 v22, v23, v22, v21
.LBB7_272:
	s_or_b64 exec, exec, s[6:7]
	s_nop 0
	v_mfma_f32_16x16x4f32 a[0:3], v20, v22, a[0:3]
	s_movk_i32 s4, 0xff
	v_and_b32_sdwa v21, v14, s4 dst_sel:DWORD dst_unused:UNUSED_PAD src0_sel:WORD_1 src1_sel:DWORD
	s_movk_i32 s4, 0x7f
	v_cmp_lt_i16_e32 vcc, s4, v21
	s_mov_b64 s[4:5], 0
                                        ; implicit-def: $sgpr10
	s_and_saveexec_b64 s[6:7], vcc
	s_xor_b64 s[6:7], exec, s[6:7]
	s_cbranch_execnz .LBB7_2321
; %bb.273:
	s_or_saveexec_b64 s[6:7], s[6:7]
	v_mov_b32_e32 v20, s10
	s_xor_b64 exec, exec, s[6:7]
	s_cbranch_execnz .LBB7_2324
.LBB7_274:
	s_or_b64 exec, exec, s[6:7]
	s_and_saveexec_b64 s[6:7], s[4:5]
	s_cbranch_execz .LBB7_276
.LBB7_275:
	v_bfe_u32 v20, v14, 16, 3
	v_ffbh_u32_e32 v23, v20
	v_min_u32_e32 v23, 32, v23
	v_lshrrev_b32_e32 v21, 19, v14
	v_subrev_u32_e32 v24, 28, v23
	v_and_b32_e32 v21, 15, v21
	v_lshlrev_b32_sdwa v24, v24, v14 dst_sel:DWORD dst_unused:UNUSED_PAD src0_sel:DWORD src1_sel:WORD_1
	v_bfe_u32 v22, v14, 19, 4
	v_sub_u32_e32 v23, 29, v23
	v_and_b32_e32 v24, 7, v24
	v_cmp_eq_u16_e32 vcc, 0, v21
	v_cndmask_b32_e32 v20, v20, v24, vcc
	v_cndmask_b32_e32 v21, v22, v23, vcc
	v_lshlrev_b32_e32 v22, 8, v14
	v_mov_b32_e32 v23, 0x3b800000
	v_lshlrev_b32_e32 v20, 20, v20
	v_and_b32_e32 v22, 0x80000000, v22
	v_lshl_add_u32 v21, v21, 23, v23
	v_or3_b32 v20, v22, v21, v20
.LBB7_276:
	s_or_b64 exec, exec, s[6:7]
	s_movk_i32 s4, 0xff
	v_and_b32_sdwa v21, v10, s4 dst_sel:DWORD dst_unused:UNUSED_PAD src0_sel:WORD_1 src1_sel:DWORD
	s_movk_i32 s4, 0x7f
	v_cmp_lt_i16_e32 vcc, s4, v21
	s_mov_b64 s[4:5], 0
                                        ; implicit-def: $sgpr10
	s_and_saveexec_b64 s[6:7], vcc
	s_xor_b64 s[6:7], exec, s[6:7]
	s_cbranch_execnz .LBB7_2325
; %bb.277:
	s_or_saveexec_b64 s[6:7], s[6:7]
	v_mov_b32_e32 v22, s10
	s_xor_b64 exec, exec, s[6:7]
	s_cbranch_execnz .LBB7_2328
.LBB7_278:
	s_or_b64 exec, exec, s[6:7]
	s_and_saveexec_b64 s[6:7], s[4:5]
	s_cbranch_execz .LBB7_280
.LBB7_279:
	v_bfe_u32 v21, v10, 16, 3
	v_ffbh_u32_e32 v24, v21
	v_min_u32_e32 v24, 32, v24
	v_lshrrev_b32_e32 v22, 19, v10
	v_subrev_u32_e32 v25, 28, v24
	v_and_b32_e32 v22, 15, v22
	v_lshlrev_b32_sdwa v25, v25, v10 dst_sel:DWORD dst_unused:UNUSED_PAD src0_sel:DWORD src1_sel:WORD_1
	v_bfe_u32 v23, v10, 19, 4
	v_sub_u32_e32 v24, 29, v24
	v_and_b32_e32 v25, 7, v25
	v_cmp_eq_u16_e32 vcc, 0, v22
	v_cndmask_b32_e32 v21, v21, v25, vcc
	v_cndmask_b32_e32 v22, v23, v24, vcc
	v_lshlrev_b32_e32 v23, 8, v10
	v_mov_b32_e32 v24, 0x3b800000
	v_lshlrev_b32_e32 v21, 20, v21
	v_and_b32_e32 v23, 0x80000000, v23
	v_lshl_add_u32 v22, v22, 23, v24
	v_or3_b32 v22, v23, v22, v21
.LBB7_280:
	s_or_b64 exec, exec, s[6:7]
	s_nop 0
	v_mfma_f32_16x16x4f32 a[0:3], v20, v22, a[0:3]
	s_movk_i32 s4, 0x7f
	v_cmp_gt_i16_sdwa s[6:7], v14, s4 src0_sel:BYTE_3 src1_sel:DWORD
	s_mov_b64 s[4:5], 0
                                        ; implicit-def: $sgpr10
	s_and_saveexec_b64 s[8:9], s[6:7]
	s_xor_b64 s[6:7], exec, s[8:9]
	s_cbranch_execnz .LBB7_2329
; %bb.281:
	s_or_saveexec_b64 s[6:7], s[6:7]
	v_mov_b32_e32 v20, s10
	s_xor_b64 exec, exec, s[6:7]
	s_cbranch_execnz .LBB7_2332
.LBB7_282:
	s_or_b64 exec, exec, s[6:7]
	s_and_saveexec_b64 s[6:7], s[4:5]
	s_cbranch_execz .LBB7_284
.LBB7_283:
	v_bfe_u32 v20, v14, 24, 3
	v_ffbh_u32_e32 v24, v20
	v_min_u32_e32 v24, 32, v24
	v_lshrrev_b32_e32 v22, 27, v14
	v_subrev_u32_e32 v25, 28, v24
	v_and_b32_e32 v21, 0x80000000, v14
	v_and_b32_e32 v22, 15, v22
	v_bfe_u32 v23, v14, 27, 4
	v_lshlrev_b32_sdwa v14, v25, v14 dst_sel:DWORD dst_unused:UNUSED_PAD src0_sel:DWORD src1_sel:BYTE_3
	v_sub_u32_e32 v24, 29, v24
	v_and_b32_e32 v14, 7, v14
	v_cmp_eq_u16_e32 vcc, 0, v22
	v_cndmask_b32_e32 v14, v20, v14, vcc
	v_cndmask_b32_e32 v20, v23, v24, vcc
	v_mov_b32_e32 v22, 0x3b800000
	v_lshlrev_b32_e32 v14, 20, v14
	v_lshl_add_u32 v20, v20, 23, v22
	v_or3_b32 v20, v21, v20, v14
.LBB7_284:
	s_or_b64 exec, exec, s[6:7]
	s_movk_i32 s4, 0x7f
	v_cmp_gt_i16_sdwa s[6:7], v10, s4 src0_sel:BYTE_3 src1_sel:DWORD
	s_mov_b64 s[4:5], 0
                                        ; implicit-def: $sgpr10
	s_and_saveexec_b64 s[8:9], s[6:7]
	s_xor_b64 s[6:7], exec, s[8:9]
	s_cbranch_execnz .LBB7_2333
; %bb.285:
	s_or_saveexec_b64 s[6:7], s[6:7]
	v_mov_b32_e32 v14, s10
	s_xor_b64 exec, exec, s[6:7]
	s_cbranch_execnz .LBB7_2336
.LBB7_286:
	s_or_b64 exec, exec, s[6:7]
	s_and_saveexec_b64 s[6:7], s[4:5]
	s_cbranch_execz .LBB7_288
.LBB7_287:
	v_bfe_u32 v14, v10, 24, 3
	v_ffbh_u32_e32 v24, v14
	v_min_u32_e32 v24, 32, v24
	v_lshrrev_b32_e32 v22, 27, v10
	v_subrev_u32_e32 v25, 28, v24
	v_and_b32_e32 v21, 0x80000000, v10
	v_and_b32_e32 v22, 15, v22
	v_bfe_u32 v23, v10, 27, 4
	v_lshlrev_b32_sdwa v10, v25, v10 dst_sel:DWORD dst_unused:UNUSED_PAD src0_sel:DWORD src1_sel:BYTE_3
	v_sub_u32_e32 v24, 29, v24
	v_and_b32_e32 v10, 7, v10
	v_cmp_eq_u16_e32 vcc, 0, v22
	v_cndmask_b32_e32 v10, v14, v10, vcc
	v_cndmask_b32_e32 v14, v23, v24, vcc
	v_mov_b32_e32 v22, 0x3b800000
	v_lshlrev_b32_e32 v10, 20, v10
	v_lshl_add_u32 v14, v14, 23, v22
	v_or3_b32 v14, v21, v14, v10
.LBB7_288:
	s_or_b64 exec, exec, s[6:7]
	s_nop 0
	v_mfma_f32_16x16x4f32 a[0:3], v20, v14, a[0:3]
	s_movk_i32 s4, 0x7f
	v_cmp_gt_i16_sdwa s[6:7], v15, s4 src0_sel:BYTE_0 src1_sel:DWORD
	s_mov_b64 s[4:5], 0
                                        ; implicit-def: $sgpr10
	s_and_saveexec_b64 s[8:9], s[6:7]
	s_xor_b64 s[6:7], exec, s[8:9]
	s_cbranch_execnz .LBB7_2337
; %bb.289:
	s_or_saveexec_b64 s[6:7], s[6:7]
	v_mov_b32_e32 v10, s10
	s_xor_b64 exec, exec, s[6:7]
	s_cbranch_execnz .LBB7_2340
.LBB7_290:
	s_or_b64 exec, exec, s[6:7]
	s_and_saveexec_b64 s[6:7], s[4:5]
	s_cbranch_execz .LBB7_292
.LBB7_291:
	v_and_b32_e32 v10, 7, v15
	v_ffbh_u32_e32 v20, v10
	v_min_u32_e32 v20, 32, v20
	v_lshrrev_b16_e32 v14, 3, v15
	v_subrev_u32_e32 v21, 28, v20
	v_and_b32_e32 v14, 15, v14
	v_lshlrev_b32_e32 v21, v21, v15
	v_sub_u32_e32 v20, 29, v20
	v_and_b32_e32 v21, 7, v21
	v_cmp_eq_u16_e32 vcc, 0, v14
	v_cndmask_b32_e32 v10, v10, v21, vcc
	v_cndmask_b32_e32 v14, v14, v20, vcc
	v_lshlrev_b32_e32 v20, 24, v15
	v_mov_b32_e32 v21, 0x3b800000
	v_lshlrev_b32_e32 v10, 20, v10
	v_and_b32_e32 v20, 0x80000000, v20
	v_lshl_add_u32 v14, v14, 23, v21
	v_or3_b32 v10, v20, v14, v10
.LBB7_292:
	s_or_b64 exec, exec, s[6:7]
	s_movk_i32 s4, 0x7f
	v_cmp_gt_i16_sdwa s[6:7], v11, s4 src0_sel:BYTE_0 src1_sel:DWORD
	s_mov_b64 s[4:5], 0
                                        ; implicit-def: $sgpr10
	s_and_saveexec_b64 s[8:9], s[6:7]
	s_xor_b64 s[6:7], exec, s[8:9]
	s_cbranch_execnz .LBB7_2341
; %bb.293:
	s_or_saveexec_b64 s[6:7], s[6:7]
	v_mov_b32_e32 v14, s10
	s_xor_b64 exec, exec, s[6:7]
	s_cbranch_execnz .LBB7_2344
.LBB7_294:
	s_or_b64 exec, exec, s[6:7]
	s_and_saveexec_b64 s[6:7], s[4:5]
	s_cbranch_execz .LBB7_296
.LBB7_295:
	v_and_b32_e32 v14, 7, v11
	v_ffbh_u32_e32 v21, v14
	v_min_u32_e32 v21, 32, v21
	v_lshrrev_b16_e32 v20, 3, v11
	v_subrev_u32_e32 v22, 28, v21
	v_and_b32_e32 v20, 15, v20
	v_lshlrev_b32_e32 v22, v22, v11
	v_sub_u32_e32 v21, 29, v21
	v_and_b32_e32 v22, 7, v22
	v_cmp_eq_u16_e32 vcc, 0, v20
	v_cndmask_b32_e32 v14, v14, v22, vcc
	v_cndmask_b32_e32 v20, v20, v21, vcc
	v_lshlrev_b32_e32 v21, 24, v11
	v_mov_b32_e32 v22, 0x3b800000
	v_lshlrev_b32_e32 v14, 20, v14
	v_and_b32_e32 v21, 0x80000000, v21
	v_lshl_add_u32 v20, v20, 23, v22
	v_or3_b32 v14, v21, v20, v14
.LBB7_296:
	s_or_b64 exec, exec, s[6:7]
	s_nop 0
	v_mfma_f32_16x16x4f32 a[0:3], v10, v14, a[0:3]
	v_lshrrev_b32_e32 v14, 8, v15
	s_movk_i32 s4, 0x7f
	v_cmp_gt_i16_sdwa s[6:7], v14, s4 src0_sel:BYTE_0 src1_sel:DWORD
	s_mov_b64 s[4:5], 0
                                        ; implicit-def: $sgpr10
	s_and_saveexec_b64 s[8:9], s[6:7]
	s_xor_b64 s[6:7], exec, s[8:9]
	s_cbranch_execnz .LBB7_2345
; %bb.297:
	s_or_saveexec_b64 s[6:7], s[6:7]
	v_mov_b32_e32 v10, s10
	s_xor_b64 exec, exec, s[6:7]
	s_cbranch_execnz .LBB7_2348
.LBB7_298:
	s_or_b64 exec, exec, s[6:7]
	s_and_saveexec_b64 s[6:7], s[4:5]
	s_cbranch_execz .LBB7_300
.LBB7_299:
	v_bfe_u32 v10, v15, 8, 3
	v_ffbh_u32_e32 v21, v10
	v_min_u32_e32 v21, 32, v21
	v_lshrrev_b16_e32 v20, 3, v14
	v_subrev_u32_e32 v22, 28, v21
	v_and_b32_e32 v20, 15, v20
	v_lshlrev_b32_e32 v14, v22, v14
	v_sub_u32_e32 v21, 29, v21
	v_and_b32_e32 v14, 7, v14
	v_cmp_eq_u16_e32 vcc, 0, v20
	v_cndmask_b32_e32 v10, v10, v14, vcc
	v_cndmask_b32_e32 v14, v20, v21, vcc
	v_lshlrev_b32_e32 v20, 16, v15
	v_mov_b32_e32 v21, 0x3b800000
	v_lshlrev_b32_e32 v10, 20, v10
	v_and_b32_e32 v20, 0x80000000, v20
	v_lshl_add_u32 v14, v14, 23, v21
	v_or3_b32 v10, v20, v14, v10
.LBB7_300:
	s_or_b64 exec, exec, s[6:7]
	v_lshrrev_b32_e32 v14, 8, v11
	s_movk_i32 s4, 0x7f
	v_cmp_gt_i16_sdwa s[6:7], v14, s4 src0_sel:BYTE_0 src1_sel:DWORD
	s_mov_b64 s[4:5], 0
                                        ; implicit-def: $sgpr10
	s_and_saveexec_b64 s[8:9], s[6:7]
	s_xor_b64 s[6:7], exec, s[8:9]
	s_cbranch_execnz .LBB7_2349
; %bb.301:
	s_or_saveexec_b64 s[6:7], s[6:7]
	v_mov_b32_e32 v20, s10
	s_xor_b64 exec, exec, s[6:7]
	s_cbranch_execnz .LBB7_2352
.LBB7_302:
	s_or_b64 exec, exec, s[6:7]
	s_and_saveexec_b64 s[6:7], s[4:5]
	s_cbranch_execz .LBB7_304
.LBB7_303:
	v_bfe_u32 v20, v11, 8, 3
	v_ffbh_u32_e32 v22, v20
	v_min_u32_e32 v22, 32, v22
	v_lshrrev_b16_e32 v21, 3, v14
	v_subrev_u32_e32 v23, 28, v22
	v_and_b32_e32 v21, 15, v21
	v_lshlrev_b32_e32 v14, v23, v14
	v_sub_u32_e32 v22, 29, v22
	v_and_b32_e32 v14, 7, v14
	v_cmp_eq_u16_e32 vcc, 0, v21
	v_cndmask_b32_e32 v14, v20, v14, vcc
	v_cndmask_b32_e32 v20, v21, v22, vcc
	v_lshlrev_b32_e32 v21, 16, v11
	v_mov_b32_e32 v22, 0x3b800000
	v_lshlrev_b32_e32 v14, 20, v14
	v_and_b32_e32 v21, 0x80000000, v21
	v_lshl_add_u32 v20, v20, 23, v22
	v_or3_b32 v20, v21, v20, v14
.LBB7_304:
	s_or_b64 exec, exec, s[6:7]
	s_nop 0
	v_mfma_f32_16x16x4f32 a[0:3], v10, v20, a[0:3]
	s_movk_i32 s4, 0xff
	v_and_b32_sdwa v14, v15, s4 dst_sel:DWORD dst_unused:UNUSED_PAD src0_sel:WORD_1 src1_sel:DWORD
	s_movk_i32 s4, 0x7f
	v_cmp_lt_i16_e32 vcc, s4, v14
	s_mov_b64 s[4:5], 0
                                        ; implicit-def: $sgpr10
	s_and_saveexec_b64 s[6:7], vcc
	s_xor_b64 s[6:7], exec, s[6:7]
	s_cbranch_execnz .LBB7_2353
; %bb.305:
	s_or_saveexec_b64 s[6:7], s[6:7]
	v_mov_b32_e32 v10, s10
	s_xor_b64 exec, exec, s[6:7]
	s_cbranch_execnz .LBB7_2356
.LBB7_306:
	s_or_b64 exec, exec, s[6:7]
	s_and_saveexec_b64 s[6:7], s[4:5]
	s_cbranch_execz .LBB7_308
.LBB7_307:
	v_bfe_u32 v10, v15, 16, 3
	v_ffbh_u32_e32 v21, v10
	v_min_u32_e32 v21, 32, v21
	v_lshrrev_b32_e32 v14, 19, v15
	v_subrev_u32_e32 v22, 28, v21
	v_and_b32_e32 v14, 15, v14
	v_lshlrev_b32_sdwa v22, v22, v15 dst_sel:DWORD dst_unused:UNUSED_PAD src0_sel:DWORD src1_sel:WORD_1
	v_bfe_u32 v20, v15, 19, 4
	v_sub_u32_e32 v21, 29, v21
	v_and_b32_e32 v22, 7, v22
	v_cmp_eq_u16_e32 vcc, 0, v14
	v_cndmask_b32_e32 v10, v10, v22, vcc
	v_cndmask_b32_e32 v14, v20, v21, vcc
	v_lshlrev_b32_e32 v20, 8, v15
	v_mov_b32_e32 v21, 0x3b800000
	v_lshlrev_b32_e32 v10, 20, v10
	v_and_b32_e32 v20, 0x80000000, v20
	v_lshl_add_u32 v14, v14, 23, v21
	v_or3_b32 v10, v20, v14, v10
.LBB7_308:
	s_or_b64 exec, exec, s[6:7]
	s_movk_i32 s4, 0xff
	v_and_b32_sdwa v14, v11, s4 dst_sel:DWORD dst_unused:UNUSED_PAD src0_sel:WORD_1 src1_sel:DWORD
	s_movk_i32 s4, 0x7f
	v_cmp_lt_i16_e32 vcc, s4, v14
	s_mov_b64 s[4:5], 0
                                        ; implicit-def: $sgpr10
	s_and_saveexec_b64 s[6:7], vcc
	s_xor_b64 s[6:7], exec, s[6:7]
	s_cbranch_execnz .LBB7_2357
; %bb.309:
	s_or_saveexec_b64 s[6:7], s[6:7]
	v_mov_b32_e32 v20, s10
	s_xor_b64 exec, exec, s[6:7]
	s_cbranch_execnz .LBB7_2360
.LBB7_310:
	s_or_b64 exec, exec, s[6:7]
	s_and_saveexec_b64 s[6:7], s[4:5]
	s_cbranch_execz .LBB7_312
.LBB7_311:
	v_bfe_u32 v14, v11, 16, 3
	v_ffbh_u32_e32 v22, v14
	v_min_u32_e32 v22, 32, v22
	v_lshrrev_b32_e32 v20, 19, v11
	v_subrev_u32_e32 v23, 28, v22
	v_and_b32_e32 v20, 15, v20
	v_lshlrev_b32_sdwa v23, v23, v11 dst_sel:DWORD dst_unused:UNUSED_PAD src0_sel:DWORD src1_sel:WORD_1
	v_bfe_u32 v21, v11, 19, 4
	v_sub_u32_e32 v22, 29, v22
	v_and_b32_e32 v23, 7, v23
	v_cmp_eq_u16_e32 vcc, 0, v20
	v_cndmask_b32_e32 v14, v14, v23, vcc
	v_cndmask_b32_e32 v20, v21, v22, vcc
	v_lshlrev_b32_e32 v21, 8, v11
	v_mov_b32_e32 v22, 0x3b800000
	v_lshlrev_b32_e32 v14, 20, v14
	v_and_b32_e32 v21, 0x80000000, v21
	v_lshl_add_u32 v20, v20, 23, v22
	v_or3_b32 v20, v21, v20, v14
.LBB7_312:
	s_or_b64 exec, exec, s[6:7]
	s_nop 0
	v_mfma_f32_16x16x4f32 a[0:3], v10, v20, a[0:3]
	s_movk_i32 s4, 0x7f
	v_cmp_gt_i16_sdwa s[6:7], v15, s4 src0_sel:BYTE_3 src1_sel:DWORD
	s_mov_b64 s[4:5], 0
                                        ; implicit-def: $sgpr10
	s_and_saveexec_b64 s[8:9], s[6:7]
	s_xor_b64 s[6:7], exec, s[8:9]
	s_cbranch_execnz .LBB7_2361
; %bb.313:
	s_or_saveexec_b64 s[6:7], s[6:7]
	v_mov_b32_e32 v10, s10
	s_xor_b64 exec, exec, s[6:7]
	s_cbranch_execnz .LBB7_2364
.LBB7_314:
	s_or_b64 exec, exec, s[6:7]
	s_and_saveexec_b64 s[6:7], s[4:5]
	s_cbranch_execz .LBB7_316
.LBB7_315:
	v_bfe_u32 v10, v15, 24, 3
	v_ffbh_u32_e32 v22, v10
	v_min_u32_e32 v22, 32, v22
	v_lshrrev_b32_e32 v20, 27, v15
	v_subrev_u32_e32 v23, 28, v22
	v_and_b32_e32 v14, 0x80000000, v15
	v_and_b32_e32 v20, 15, v20
	v_bfe_u32 v21, v15, 27, 4
	v_lshlrev_b32_sdwa v15, v23, v15 dst_sel:DWORD dst_unused:UNUSED_PAD src0_sel:DWORD src1_sel:BYTE_3
	v_sub_u32_e32 v22, 29, v22
	v_and_b32_e32 v15, 7, v15
	v_cmp_eq_u16_e32 vcc, 0, v20
	v_cndmask_b32_e32 v10, v10, v15, vcc
	v_cndmask_b32_e32 v15, v21, v22, vcc
	v_mov_b32_e32 v20, 0x3b800000
	v_lshlrev_b32_e32 v10, 20, v10
	v_lshl_add_u32 v15, v15, 23, v20
	v_or3_b32 v10, v14, v15, v10
.LBB7_316:
	s_or_b64 exec, exec, s[6:7]
	s_movk_i32 s4, 0x7f
	v_cmp_gt_i16_sdwa s[6:7], v11, s4 src0_sel:BYTE_3 src1_sel:DWORD
	s_mov_b64 s[4:5], 0
                                        ; implicit-def: $sgpr10
	s_and_saveexec_b64 s[8:9], s[6:7]
	s_xor_b64 s[6:7], exec, s[8:9]
	s_cbranch_execnz .LBB7_2365
; %bb.317:
	s_or_saveexec_b64 s[6:7], s[6:7]
	v_mov_b32_e32 v14, s10
	s_xor_b64 exec, exec, s[6:7]
	s_cbranch_execnz .LBB7_2368
.LBB7_318:
	s_or_b64 exec, exec, s[6:7]
	s_and_saveexec_b64 s[6:7], s[4:5]
	s_cbranch_execz .LBB7_320
.LBB7_319:
	v_bfe_u32 v14, v11, 24, 3
	v_ffbh_u32_e32 v22, v14
	v_min_u32_e32 v22, 32, v22
	v_lshrrev_b32_e32 v20, 27, v11
	v_subrev_u32_e32 v23, 28, v22
	v_and_b32_e32 v15, 0x80000000, v11
	v_and_b32_e32 v20, 15, v20
	v_bfe_u32 v21, v11, 27, 4
	v_lshlrev_b32_sdwa v11, v23, v11 dst_sel:DWORD dst_unused:UNUSED_PAD src0_sel:DWORD src1_sel:BYTE_3
	v_sub_u32_e32 v22, 29, v22
	v_and_b32_e32 v11, 7, v11
	v_cmp_eq_u16_e32 vcc, 0, v20
	v_cndmask_b32_e32 v11, v14, v11, vcc
	v_cndmask_b32_e32 v14, v21, v22, vcc
	v_mov_b32_e32 v20, 0x3b800000
	v_lshlrev_b32_e32 v11, 20, v11
	v_lshl_add_u32 v14, v14, 23, v20
	v_or3_b32 v14, v15, v14, v11
.LBB7_320:
	s_or_b64 exec, exec, s[6:7]
	s_nop 0
	v_mfma_f32_16x16x4f32 a[0:3], v10, v14, a[0:3]
	s_movk_i32 s4, 0x7f
	v_cmp_gt_i16_sdwa s[6:7], v16, s4 src0_sel:BYTE_0 src1_sel:DWORD
	s_mov_b64 s[4:5], 0
                                        ; implicit-def: $sgpr10
	s_and_saveexec_b64 s[8:9], s[6:7]
	s_xor_b64 s[6:7], exec, s[8:9]
	s_cbranch_execnz .LBB7_2369
; %bb.321:
	s_or_saveexec_b64 s[6:7], s[6:7]
	v_mov_b32_e32 v10, s10
	s_xor_b64 exec, exec, s[6:7]
	s_cbranch_execnz .LBB7_2372
.LBB7_322:
	s_or_b64 exec, exec, s[6:7]
	s_and_saveexec_b64 s[6:7], s[4:5]
	s_cbranch_execz .LBB7_324
.LBB7_323:
	v_and_b32_e32 v10, 7, v16
	v_ffbh_u32_e32 v14, v10
	v_min_u32_e32 v14, 32, v14
	v_lshrrev_b16_e32 v11, 3, v16
	v_subrev_u32_e32 v15, 28, v14
	v_and_b32_e32 v11, 15, v11
	v_lshlrev_b32_e32 v15, v15, v16
	v_sub_u32_e32 v14, 29, v14
	v_and_b32_e32 v15, 7, v15
	v_cmp_eq_u16_e32 vcc, 0, v11
	v_cndmask_b32_e32 v10, v10, v15, vcc
	v_cndmask_b32_e32 v11, v11, v14, vcc
	v_lshlrev_b32_e32 v14, 24, v16
	v_mov_b32_e32 v15, 0x3b800000
	v_lshlrev_b32_e32 v10, 20, v10
	v_and_b32_e32 v14, 0x80000000, v14
	v_lshl_add_u32 v11, v11, 23, v15
	v_or3_b32 v10, v14, v11, v10
.LBB7_324:
	s_or_b64 exec, exec, s[6:7]
	s_movk_i32 s4, 0x7f
	v_cmp_gt_i16_sdwa s[6:7], v12, s4 src0_sel:BYTE_0 src1_sel:DWORD
	s_mov_b64 s[4:5], 0
                                        ; implicit-def: $sgpr10
	s_and_saveexec_b64 s[8:9], s[6:7]
	s_xor_b64 s[6:7], exec, s[8:9]
	s_cbranch_execnz .LBB7_2373
; %bb.325:
	s_or_saveexec_b64 s[6:7], s[6:7]
	v_mov_b32_e32 v11, s10
	s_xor_b64 exec, exec, s[6:7]
	s_cbranch_execnz .LBB7_2376
.LBB7_326:
	s_or_b64 exec, exec, s[6:7]
	s_and_saveexec_b64 s[6:7], s[4:5]
	s_cbranch_execz .LBB7_328
.LBB7_327:
	v_and_b32_e32 v11, 7, v12
	v_ffbh_u32_e32 v15, v11
	v_min_u32_e32 v15, 32, v15
	v_lshrrev_b16_e32 v14, 3, v12
	v_subrev_u32_e32 v20, 28, v15
	v_and_b32_e32 v14, 15, v14
	v_lshlrev_b32_e32 v20, v20, v12
	v_sub_u32_e32 v15, 29, v15
	v_and_b32_e32 v20, 7, v20
	v_cmp_eq_u16_e32 vcc, 0, v14
	v_cndmask_b32_e32 v11, v11, v20, vcc
	v_cndmask_b32_e32 v14, v14, v15, vcc
	v_lshlrev_b32_e32 v15, 24, v12
	v_mov_b32_e32 v20, 0x3b800000
	v_lshlrev_b32_e32 v11, 20, v11
	v_and_b32_e32 v15, 0x80000000, v15
	v_lshl_add_u32 v14, v14, 23, v20
	v_or3_b32 v11, v15, v14, v11
.LBB7_328:
	s_or_b64 exec, exec, s[6:7]
	s_nop 0
	v_mfma_f32_16x16x4f32 a[0:3], v10, v11, a[0:3]
	v_lshrrev_b32_e32 v11, 8, v16
	s_movk_i32 s4, 0x7f
	v_cmp_gt_i16_sdwa s[6:7], v11, s4 src0_sel:BYTE_0 src1_sel:DWORD
	s_mov_b64 s[4:5], 0
                                        ; implicit-def: $sgpr10
	s_and_saveexec_b64 s[8:9], s[6:7]
	s_xor_b64 s[6:7], exec, s[8:9]
	s_cbranch_execnz .LBB7_2377
; %bb.329:
	s_or_saveexec_b64 s[6:7], s[6:7]
	v_mov_b32_e32 v10, s10
	s_xor_b64 exec, exec, s[6:7]
	s_cbranch_execnz .LBB7_2380
.LBB7_330:
	s_or_b64 exec, exec, s[6:7]
	s_and_saveexec_b64 s[6:7], s[4:5]
	s_cbranch_execz .LBB7_332
.LBB7_331:
	v_bfe_u32 v10, v16, 8, 3
	v_ffbh_u32_e32 v15, v10
	v_min_u32_e32 v15, 32, v15
	v_lshrrev_b16_e32 v14, 3, v11
	v_subrev_u32_e32 v20, 28, v15
	v_and_b32_e32 v14, 15, v14
	v_lshlrev_b32_e32 v11, v20, v11
	v_sub_u32_e32 v15, 29, v15
	v_and_b32_e32 v11, 7, v11
	v_cmp_eq_u16_e32 vcc, 0, v14
	v_cndmask_b32_e32 v10, v10, v11, vcc
	v_cndmask_b32_e32 v11, v14, v15, vcc
	v_lshlrev_b32_e32 v14, 16, v16
	v_mov_b32_e32 v15, 0x3b800000
	v_lshlrev_b32_e32 v10, 20, v10
	v_and_b32_e32 v14, 0x80000000, v14
	v_lshl_add_u32 v11, v11, 23, v15
	v_or3_b32 v10, v14, v11, v10
.LBB7_332:
	s_or_b64 exec, exec, s[6:7]
	v_lshrrev_b32_e32 v11, 8, v12
	s_movk_i32 s4, 0x7f
	v_cmp_gt_i16_sdwa s[6:7], v11, s4 src0_sel:BYTE_0 src1_sel:DWORD
	s_mov_b64 s[4:5], 0
                                        ; implicit-def: $sgpr10
	s_and_saveexec_b64 s[8:9], s[6:7]
	s_xor_b64 s[6:7], exec, s[8:9]
	s_cbranch_execnz .LBB7_2381
; %bb.333:
	s_or_saveexec_b64 s[6:7], s[6:7]
	v_mov_b32_e32 v14, s10
	s_xor_b64 exec, exec, s[6:7]
	s_cbranch_execnz .LBB7_2384
.LBB7_334:
	s_or_b64 exec, exec, s[6:7]
	s_and_saveexec_b64 s[6:7], s[4:5]
	s_cbranch_execz .LBB7_336
.LBB7_335:
	v_bfe_u32 v14, v12, 8, 3
	v_ffbh_u32_e32 v20, v14
	v_min_u32_e32 v20, 32, v20
	v_lshrrev_b16_e32 v15, 3, v11
	v_subrev_u32_e32 v21, 28, v20
	v_and_b32_e32 v15, 15, v15
	v_lshlrev_b32_e32 v11, v21, v11
	v_sub_u32_e32 v20, 29, v20
	v_and_b32_e32 v11, 7, v11
	v_cmp_eq_u16_e32 vcc, 0, v15
	v_cndmask_b32_e32 v11, v14, v11, vcc
	v_cndmask_b32_e32 v14, v15, v20, vcc
	v_lshlrev_b32_e32 v15, 16, v12
	v_mov_b32_e32 v20, 0x3b800000
	v_lshlrev_b32_e32 v11, 20, v11
	v_and_b32_e32 v15, 0x80000000, v15
	v_lshl_add_u32 v14, v14, 23, v20
	v_or3_b32 v14, v15, v14, v11
.LBB7_336:
	s_or_b64 exec, exec, s[6:7]
	s_nop 0
	v_mfma_f32_16x16x4f32 a[0:3], v10, v14, a[0:3]
	s_movk_i32 s4, 0xff
	v_and_b32_sdwa v11, v16, s4 dst_sel:DWORD dst_unused:UNUSED_PAD src0_sel:WORD_1 src1_sel:DWORD
	s_movk_i32 s4, 0x7f
	v_cmp_lt_i16_e32 vcc, s4, v11
	s_mov_b64 s[4:5], 0
                                        ; implicit-def: $sgpr10
	s_and_saveexec_b64 s[6:7], vcc
	s_xor_b64 s[6:7], exec, s[6:7]
	s_cbranch_execnz .LBB7_2385
; %bb.337:
	s_or_saveexec_b64 s[6:7], s[6:7]
	v_mov_b32_e32 v10, s10
	s_xor_b64 exec, exec, s[6:7]
	s_cbranch_execnz .LBB7_2388
.LBB7_338:
	s_or_b64 exec, exec, s[6:7]
	s_and_saveexec_b64 s[6:7], s[4:5]
	s_cbranch_execz .LBB7_340
.LBB7_339:
	v_bfe_u32 v10, v16, 16, 3
	v_ffbh_u32_e32 v15, v10
	v_min_u32_e32 v15, 32, v15
	v_lshrrev_b32_e32 v11, 19, v16
	v_subrev_u32_e32 v20, 28, v15
	v_and_b32_e32 v11, 15, v11
	v_lshlrev_b32_sdwa v20, v20, v16 dst_sel:DWORD dst_unused:UNUSED_PAD src0_sel:DWORD src1_sel:WORD_1
	v_bfe_u32 v14, v16, 19, 4
	v_sub_u32_e32 v15, 29, v15
	v_and_b32_e32 v20, 7, v20
	v_cmp_eq_u16_e32 vcc, 0, v11
	v_cndmask_b32_e32 v10, v10, v20, vcc
	v_cndmask_b32_e32 v11, v14, v15, vcc
	v_lshlrev_b32_e32 v14, 8, v16
	v_mov_b32_e32 v15, 0x3b800000
	v_lshlrev_b32_e32 v10, 20, v10
	v_and_b32_e32 v14, 0x80000000, v14
	v_lshl_add_u32 v11, v11, 23, v15
	v_or3_b32 v10, v14, v11, v10
.LBB7_340:
	s_or_b64 exec, exec, s[6:7]
	s_movk_i32 s4, 0xff
	v_and_b32_sdwa v11, v12, s4 dst_sel:DWORD dst_unused:UNUSED_PAD src0_sel:WORD_1 src1_sel:DWORD
	s_movk_i32 s4, 0x7f
	v_cmp_lt_i16_e32 vcc, s4, v11
	s_mov_b64 s[4:5], 0
                                        ; implicit-def: $sgpr10
	s_and_saveexec_b64 s[6:7], vcc
	s_xor_b64 s[6:7], exec, s[6:7]
	s_cbranch_execnz .LBB7_2389
; %bb.341:
	s_or_saveexec_b64 s[6:7], s[6:7]
	v_mov_b32_e32 v14, s10
	s_xor_b64 exec, exec, s[6:7]
	s_cbranch_execnz .LBB7_2392
.LBB7_342:
	s_or_b64 exec, exec, s[6:7]
	s_and_saveexec_b64 s[6:7], s[4:5]
	s_cbranch_execz .LBB7_344
.LBB7_343:
	v_bfe_u32 v11, v12, 16, 3
	v_ffbh_u32_e32 v20, v11
	v_min_u32_e32 v20, 32, v20
	v_lshrrev_b32_e32 v14, 19, v12
	v_subrev_u32_e32 v21, 28, v20
	v_and_b32_e32 v14, 15, v14
	v_lshlrev_b32_sdwa v21, v21, v12 dst_sel:DWORD dst_unused:UNUSED_PAD src0_sel:DWORD src1_sel:WORD_1
	v_bfe_u32 v15, v12, 19, 4
	v_sub_u32_e32 v20, 29, v20
	v_and_b32_e32 v21, 7, v21
	v_cmp_eq_u16_e32 vcc, 0, v14
	v_cndmask_b32_e32 v11, v11, v21, vcc
	v_cndmask_b32_e32 v14, v15, v20, vcc
	v_lshlrev_b32_e32 v15, 8, v12
	v_mov_b32_e32 v20, 0x3b800000
	v_lshlrev_b32_e32 v11, 20, v11
	v_and_b32_e32 v15, 0x80000000, v15
	v_lshl_add_u32 v14, v14, 23, v20
	v_or3_b32 v14, v15, v14, v11
.LBB7_344:
	s_or_b64 exec, exec, s[6:7]
	s_nop 0
	v_mfma_f32_16x16x4f32 a[0:3], v10, v14, a[0:3]
	s_movk_i32 s4, 0x7f
	v_cmp_gt_i16_sdwa s[6:7], v16, s4 src0_sel:BYTE_3 src1_sel:DWORD
	s_mov_b64 s[4:5], 0
                                        ; implicit-def: $sgpr10
	s_and_saveexec_b64 s[8:9], s[6:7]
	s_xor_b64 s[6:7], exec, s[8:9]
	s_cbranch_execnz .LBB7_2393
; %bb.345:
	s_or_saveexec_b64 s[6:7], s[6:7]
	v_mov_b32_e32 v10, s10
	s_xor_b64 exec, exec, s[6:7]
	s_cbranch_execnz .LBB7_2396
.LBB7_346:
	s_or_b64 exec, exec, s[6:7]
	s_and_saveexec_b64 s[6:7], s[4:5]
	s_cbranch_execz .LBB7_348
.LBB7_347:
	v_bfe_u32 v10, v16, 24, 3
	v_ffbh_u32_e32 v20, v10
	v_min_u32_e32 v20, 32, v20
	v_lshrrev_b32_e32 v14, 27, v16
	v_subrev_u32_e32 v21, 28, v20
	v_and_b32_e32 v11, 0x80000000, v16
	v_and_b32_e32 v14, 15, v14
	v_bfe_u32 v15, v16, 27, 4
	v_lshlrev_b32_sdwa v16, v21, v16 dst_sel:DWORD dst_unused:UNUSED_PAD src0_sel:DWORD src1_sel:BYTE_3
	v_sub_u32_e32 v20, 29, v20
	v_and_b32_e32 v16, 7, v16
	v_cmp_eq_u16_e32 vcc, 0, v14
	v_cndmask_b32_e32 v10, v10, v16, vcc
	v_cndmask_b32_e32 v14, v15, v20, vcc
	v_mov_b32_e32 v15, 0x3b800000
	v_lshlrev_b32_e32 v10, 20, v10
	v_lshl_add_u32 v14, v14, 23, v15
	v_or3_b32 v10, v11, v14, v10
.LBB7_348:
	s_or_b64 exec, exec, s[6:7]
	s_movk_i32 s4, 0x7f
	v_cmp_gt_i16_sdwa s[6:7], v12, s4 src0_sel:BYTE_3 src1_sel:DWORD
	s_mov_b64 s[4:5], 0
                                        ; implicit-def: $sgpr10
	s_and_saveexec_b64 s[8:9], s[6:7]
	s_xor_b64 s[6:7], exec, s[8:9]
	s_cbranch_execnz .LBB7_2397
; %bb.349:
	s_or_saveexec_b64 s[6:7], s[6:7]
	v_mov_b32_e32 v11, s10
	s_xor_b64 exec, exec, s[6:7]
	s_cbranch_execnz .LBB7_2400
.LBB7_350:
	s_or_b64 exec, exec, s[6:7]
	s_and_saveexec_b64 s[6:7], s[4:5]
	s_cbranch_execz .LBB7_352
.LBB7_351:
	v_bfe_u32 v11, v12, 24, 3
	v_ffbh_u32_e32 v20, v11
	v_min_u32_e32 v20, 32, v20
	v_lshrrev_b32_e32 v15, 27, v12
	v_subrev_u32_e32 v21, 28, v20
	v_and_b32_e32 v14, 0x80000000, v12
	v_and_b32_e32 v15, 15, v15
	v_bfe_u32 v16, v12, 27, 4
	v_lshlrev_b32_sdwa v12, v21, v12 dst_sel:DWORD dst_unused:UNUSED_PAD src0_sel:DWORD src1_sel:BYTE_3
	v_sub_u32_e32 v20, 29, v20
	v_and_b32_e32 v12, 7, v12
	v_cmp_eq_u16_e32 vcc, 0, v15
	v_cndmask_b32_e32 v11, v11, v12, vcc
	v_cndmask_b32_e32 v12, v16, v20, vcc
	v_mov_b32_e32 v15, 0x3b800000
	v_lshlrev_b32_e32 v11, 20, v11
	v_lshl_add_u32 v12, v12, 23, v15
	v_or3_b32 v11, v14, v12, v11
.LBB7_352:
	s_or_b64 exec, exec, s[6:7]
	s_nop 0
	v_mfma_f32_16x16x4f32 a[0:3], v10, v11, a[0:3]
	s_movk_i32 s4, 0x7f
	v_cmp_gt_i16_sdwa s[6:7], v17, s4 src0_sel:BYTE_0 src1_sel:DWORD
	s_mov_b64 s[4:5], 0
                                        ; implicit-def: $sgpr10
	s_and_saveexec_b64 s[8:9], s[6:7]
	s_xor_b64 s[6:7], exec, s[8:9]
	s_cbranch_execnz .LBB7_2401
; %bb.353:
	s_or_saveexec_b64 s[6:7], s[6:7]
	v_mov_b32_e32 v10, s10
	s_xor_b64 exec, exec, s[6:7]
	s_cbranch_execnz .LBB7_2404
.LBB7_354:
	s_or_b64 exec, exec, s[6:7]
	s_and_saveexec_b64 s[6:7], s[4:5]
	s_cbranch_execz .LBB7_356
.LBB7_355:
	v_and_b32_e32 v10, 7, v17
	v_ffbh_u32_e32 v12, v10
	v_min_u32_e32 v12, 32, v12
	v_lshrrev_b16_e32 v11, 3, v17
	v_subrev_u32_e32 v14, 28, v12
	v_and_b32_e32 v11, 15, v11
	v_lshlrev_b32_e32 v14, v14, v17
	v_sub_u32_e32 v12, 29, v12
	v_and_b32_e32 v14, 7, v14
	v_cmp_eq_u16_e32 vcc, 0, v11
	v_cndmask_b32_e32 v10, v10, v14, vcc
	v_cndmask_b32_e32 v11, v11, v12, vcc
	v_lshlrev_b32_e32 v12, 24, v17
	v_mov_b32_e32 v14, 0x3b800000
	v_lshlrev_b32_e32 v10, 20, v10
	v_and_b32_e32 v12, 0x80000000, v12
	v_lshl_add_u32 v11, v11, 23, v14
	v_or3_b32 v10, v12, v11, v10
.LBB7_356:
	s_or_b64 exec, exec, s[6:7]
	s_movk_i32 s4, 0x7f
	v_cmp_gt_i16_sdwa s[6:7], v13, s4 src0_sel:BYTE_0 src1_sel:DWORD
	s_mov_b64 s[4:5], 0
                                        ; implicit-def: $sgpr10
	s_and_saveexec_b64 s[8:9], s[6:7]
	s_xor_b64 s[6:7], exec, s[8:9]
	s_cbranch_execnz .LBB7_2405
; %bb.357:
	s_or_saveexec_b64 s[6:7], s[6:7]
	v_mov_b32_e32 v11, s10
	s_xor_b64 exec, exec, s[6:7]
	s_cbranch_execnz .LBB7_2408
.LBB7_358:
	s_or_b64 exec, exec, s[6:7]
	s_and_saveexec_b64 s[6:7], s[4:5]
	s_cbranch_execz .LBB7_360
.LBB7_359:
	v_and_b32_e32 v11, 7, v13
	v_ffbh_u32_e32 v14, v11
	v_min_u32_e32 v14, 32, v14
	v_lshrrev_b16_e32 v12, 3, v13
	v_subrev_u32_e32 v15, 28, v14
	v_and_b32_e32 v12, 15, v12
	v_lshlrev_b32_e32 v15, v15, v13
	v_sub_u32_e32 v14, 29, v14
	v_and_b32_e32 v15, 7, v15
	v_cmp_eq_u16_e32 vcc, 0, v12
	v_cndmask_b32_e32 v11, v11, v15, vcc
	v_cndmask_b32_e32 v12, v12, v14, vcc
	v_lshlrev_b32_e32 v14, 24, v13
	v_mov_b32_e32 v15, 0x3b800000
	v_lshlrev_b32_e32 v11, 20, v11
	v_and_b32_e32 v14, 0x80000000, v14
	v_lshl_add_u32 v12, v12, 23, v15
	v_or3_b32 v11, v14, v12, v11
.LBB7_360:
	s_or_b64 exec, exec, s[6:7]
	s_nop 0
	v_mfma_f32_16x16x4f32 a[0:3], v10, v11, a[0:3]
	v_lshrrev_b32_e32 v11, 8, v17
	s_movk_i32 s4, 0x7f
	v_cmp_gt_i16_sdwa s[6:7], v11, s4 src0_sel:BYTE_0 src1_sel:DWORD
	s_mov_b64 s[4:5], 0
                                        ; implicit-def: $sgpr10
	s_and_saveexec_b64 s[8:9], s[6:7]
	s_xor_b64 s[6:7], exec, s[8:9]
	s_cbranch_execnz .LBB7_2409
; %bb.361:
	s_or_saveexec_b64 s[6:7], s[6:7]
	v_mov_b32_e32 v10, s10
	s_xor_b64 exec, exec, s[6:7]
	s_cbranch_execnz .LBB7_2412
.LBB7_362:
	s_or_b64 exec, exec, s[6:7]
	s_and_saveexec_b64 s[6:7], s[4:5]
	s_cbranch_execz .LBB7_364
.LBB7_363:
	v_bfe_u32 v10, v17, 8, 3
	v_ffbh_u32_e32 v14, v10
	v_min_u32_e32 v14, 32, v14
	v_lshrrev_b16_e32 v12, 3, v11
	v_subrev_u32_e32 v15, 28, v14
	v_and_b32_e32 v12, 15, v12
	v_lshlrev_b32_e32 v11, v15, v11
	v_sub_u32_e32 v14, 29, v14
	v_and_b32_e32 v11, 7, v11
	v_cmp_eq_u16_e32 vcc, 0, v12
	v_cndmask_b32_e32 v10, v10, v11, vcc
	v_cndmask_b32_e32 v11, v12, v14, vcc
	v_lshlrev_b32_e32 v12, 16, v17
	v_mov_b32_e32 v14, 0x3b800000
	v_lshlrev_b32_e32 v10, 20, v10
	v_and_b32_e32 v12, 0x80000000, v12
	v_lshl_add_u32 v11, v11, 23, v14
	v_or3_b32 v10, v12, v11, v10
.LBB7_364:
	s_or_b64 exec, exec, s[6:7]
	v_lshrrev_b32_e32 v11, 8, v13
	s_movk_i32 s4, 0x7f
	v_cmp_gt_i16_sdwa s[6:7], v11, s4 src0_sel:BYTE_0 src1_sel:DWORD
	s_mov_b64 s[4:5], 0
                                        ; implicit-def: $sgpr10
	s_and_saveexec_b64 s[8:9], s[6:7]
	s_xor_b64 s[6:7], exec, s[8:9]
	s_cbranch_execnz .LBB7_2413
; %bb.365:
	s_or_saveexec_b64 s[6:7], s[6:7]
	v_mov_b32_e32 v12, s10
	s_xor_b64 exec, exec, s[6:7]
	s_cbranch_execnz .LBB7_2416
.LBB7_366:
	s_or_b64 exec, exec, s[6:7]
	s_and_saveexec_b64 s[6:7], s[4:5]
	s_cbranch_execz .LBB7_368
.LBB7_367:
	v_bfe_u32 v12, v13, 8, 3
	v_ffbh_u32_e32 v15, v12
	v_min_u32_e32 v15, 32, v15
	v_lshrrev_b16_e32 v14, 3, v11
	v_subrev_u32_e32 v16, 28, v15
	v_and_b32_e32 v14, 15, v14
	v_lshlrev_b32_e32 v11, v16, v11
	v_sub_u32_e32 v15, 29, v15
	v_and_b32_e32 v11, 7, v11
	v_cmp_eq_u16_e32 vcc, 0, v14
	v_cndmask_b32_e32 v11, v12, v11, vcc
	v_cndmask_b32_e32 v12, v14, v15, vcc
	v_lshlrev_b32_e32 v14, 16, v13
	v_mov_b32_e32 v15, 0x3b800000
	v_lshlrev_b32_e32 v11, 20, v11
	v_and_b32_e32 v14, 0x80000000, v14
	v_lshl_add_u32 v12, v12, 23, v15
	v_or3_b32 v12, v14, v12, v11
.LBB7_368:
	s_or_b64 exec, exec, s[6:7]
	s_nop 0
	v_mfma_f32_16x16x4f32 a[0:3], v10, v12, a[0:3]
	s_movk_i32 s4, 0xff
	v_and_b32_sdwa v11, v17, s4 dst_sel:DWORD dst_unused:UNUSED_PAD src0_sel:WORD_1 src1_sel:DWORD
	s_movk_i32 s4, 0x7f
	v_cmp_lt_i16_e32 vcc, s4, v11
	s_mov_b64 s[4:5], 0
                                        ; implicit-def: $sgpr10
	s_and_saveexec_b64 s[6:7], vcc
	s_xor_b64 s[6:7], exec, s[6:7]
	s_cbranch_execnz .LBB7_2417
; %bb.369:
	s_or_saveexec_b64 s[6:7], s[6:7]
	v_mov_b32_e32 v10, s10
	s_xor_b64 exec, exec, s[6:7]
	s_cbranch_execnz .LBB7_2420
.LBB7_370:
	s_or_b64 exec, exec, s[6:7]
	s_and_saveexec_b64 s[6:7], s[4:5]
	s_cbranch_execz .LBB7_372
.LBB7_371:
	v_bfe_u32 v10, v17, 16, 3
	v_ffbh_u32_e32 v14, v10
	v_min_u32_e32 v14, 32, v14
	v_lshrrev_b32_e32 v11, 19, v17
	v_subrev_u32_e32 v15, 28, v14
	v_and_b32_e32 v11, 15, v11
	v_lshlrev_b32_sdwa v15, v15, v17 dst_sel:DWORD dst_unused:UNUSED_PAD src0_sel:DWORD src1_sel:WORD_1
	v_bfe_u32 v12, v17, 19, 4
	v_sub_u32_e32 v14, 29, v14
	v_and_b32_e32 v15, 7, v15
	v_cmp_eq_u16_e32 vcc, 0, v11
	v_cndmask_b32_e32 v10, v10, v15, vcc
	v_cndmask_b32_e32 v11, v12, v14, vcc
	v_lshlrev_b32_e32 v12, 8, v17
	v_mov_b32_e32 v14, 0x3b800000
	v_lshlrev_b32_e32 v10, 20, v10
	v_and_b32_e32 v12, 0x80000000, v12
	v_lshl_add_u32 v11, v11, 23, v14
	v_or3_b32 v10, v12, v11, v10
.LBB7_372:
	s_or_b64 exec, exec, s[6:7]
	s_movk_i32 s4, 0xff
	v_and_b32_sdwa v11, v13, s4 dst_sel:DWORD dst_unused:UNUSED_PAD src0_sel:WORD_1 src1_sel:DWORD
	s_movk_i32 s4, 0x7f
	v_cmp_lt_i16_e32 vcc, s4, v11
	s_mov_b64 s[4:5], 0
                                        ; implicit-def: $sgpr10
	s_and_saveexec_b64 s[6:7], vcc
	s_xor_b64 s[6:7], exec, s[6:7]
	s_cbranch_execnz .LBB7_2421
; %bb.373:
	s_or_saveexec_b64 s[6:7], s[6:7]
	v_mov_b32_e32 v12, s10
	s_xor_b64 exec, exec, s[6:7]
	s_cbranch_execnz .LBB7_2424
.LBB7_374:
	s_or_b64 exec, exec, s[6:7]
	s_and_saveexec_b64 s[6:7], s[4:5]
	s_cbranch_execz .LBB7_376
.LBB7_375:
	v_bfe_u32 v11, v13, 16, 3
	v_ffbh_u32_e32 v15, v11
	v_min_u32_e32 v15, 32, v15
	v_lshrrev_b32_e32 v12, 19, v13
	v_subrev_u32_e32 v16, 28, v15
	v_and_b32_e32 v12, 15, v12
	v_lshlrev_b32_sdwa v16, v16, v13 dst_sel:DWORD dst_unused:UNUSED_PAD src0_sel:DWORD src1_sel:WORD_1
	v_bfe_u32 v14, v13, 19, 4
	v_sub_u32_e32 v15, 29, v15
	v_and_b32_e32 v16, 7, v16
	v_cmp_eq_u16_e32 vcc, 0, v12
	v_cndmask_b32_e32 v11, v11, v16, vcc
	v_cndmask_b32_e32 v12, v14, v15, vcc
	v_lshlrev_b32_e32 v14, 8, v13
	v_mov_b32_e32 v15, 0x3b800000
	v_lshlrev_b32_e32 v11, 20, v11
	v_and_b32_e32 v14, 0x80000000, v14
	v_lshl_add_u32 v12, v12, 23, v15
	v_or3_b32 v12, v14, v12, v11
.LBB7_376:
	s_or_b64 exec, exec, s[6:7]
	s_nop 0
	v_mfma_f32_16x16x4f32 a[0:3], v10, v12, a[0:3]
	s_movk_i32 s4, 0x7f
	v_cmp_gt_i16_sdwa s[6:7], v17, s4 src0_sel:BYTE_3 src1_sel:DWORD
	s_mov_b64 s[4:5], 0
                                        ; implicit-def: $sgpr10
	s_and_saveexec_b64 s[8:9], s[6:7]
	s_xor_b64 s[6:7], exec, s[8:9]
	s_cbranch_execnz .LBB7_2425
; %bb.377:
	s_or_saveexec_b64 s[6:7], s[6:7]
	v_mov_b32_e32 v10, s10
	s_xor_b64 exec, exec, s[6:7]
	s_cbranch_execnz .LBB7_2428
.LBB7_378:
	s_or_b64 exec, exec, s[6:7]
	s_and_saveexec_b64 s[6:7], s[4:5]
	s_cbranch_execz .LBB7_380
.LBB7_379:
	v_bfe_u32 v10, v17, 24, 3
	v_ffbh_u32_e32 v15, v10
	v_min_u32_e32 v15, 32, v15
	v_lshrrev_b32_e32 v12, 27, v17
	v_subrev_u32_e32 v16, 28, v15
	v_and_b32_e32 v12, 15, v12
	v_lshlrev_b32_sdwa v16, v16, v17 dst_sel:DWORD dst_unused:UNUSED_PAD src0_sel:DWORD src1_sel:BYTE_3
	v_bfe_u32 v14, v17, 27, 4
	v_sub_u32_e32 v15, 29, v15
	v_and_b32_e32 v16, 7, v16
	v_cmp_eq_u16_e32 vcc, 0, v12
	v_cndmask_b32_e32 v10, v10, v16, vcc
	v_cndmask_b32_e32 v12, v14, v15, vcc
	v_mov_b32_e32 v14, 0x3b800000
	v_and_b32_e32 v11, 0x80000000, v17
	v_lshlrev_b32_e32 v10, 20, v10
	v_lshl_add_u32 v12, v12, 23, v14
	v_or3_b32 v10, v11, v12, v10
.LBB7_380:
	s_or_b64 exec, exec, s[6:7]
	s_movk_i32 s4, 0x7f
	v_cmp_gt_i16_sdwa s[6:7], v13, s4 src0_sel:BYTE_3 src1_sel:DWORD
	s_mov_b64 s[4:5], 0
                                        ; implicit-def: $sgpr10
	s_and_saveexec_b64 s[8:9], s[6:7]
	s_xor_b64 s[6:7], exec, s[8:9]
	s_cbranch_execnz .LBB7_2429
; %bb.381:
	s_or_saveexec_b64 s[6:7], s[6:7]
	v_mov_b32_e32 v11, s10
	s_xor_b64 exec, exec, s[6:7]
	s_cbranch_execnz .LBB7_2432
.LBB7_382:
	s_or_b64 exec, exec, s[6:7]
	s_and_saveexec_b64 s[6:7], s[4:5]
	s_cbranch_execz .LBB7_384
.LBB7_383:
	v_bfe_u32 v11, v13, 24, 3
	v_ffbh_u32_e32 v16, v11
	v_min_u32_e32 v16, 32, v16
	v_lshrrev_b32_e32 v14, 27, v13
	v_subrev_u32_e32 v17, 28, v16
	v_and_b32_e32 v12, 0x80000000, v13
	v_and_b32_e32 v14, 15, v14
	v_bfe_u32 v15, v13, 27, 4
	v_lshlrev_b32_sdwa v13, v17, v13 dst_sel:DWORD dst_unused:UNUSED_PAD src0_sel:DWORD src1_sel:BYTE_3
	v_sub_u32_e32 v16, 29, v16
	v_and_b32_e32 v13, 7, v13
	v_cmp_eq_u16_e32 vcc, 0, v14
	v_cndmask_b32_e32 v11, v11, v13, vcc
	v_cndmask_b32_e32 v13, v15, v16, vcc
	v_mov_b32_e32 v14, 0x3b800000
	v_lshlrev_b32_e32 v11, 20, v11
	v_lshl_add_u32 v13, v13, 23, v14
	v_or3_b32 v11, v12, v13, v11
.LBB7_384:
	s_or_b64 exec, exec, s[6:7]
	s_nop 0
	v_mfma_f32_16x16x4f32 a[0:3], v10, v11, a[0:3]
	s_movk_i32 s4, 0x7f
	v_cmp_gt_i16_sdwa s[6:7], v6, s4 src0_sel:BYTE_0 src1_sel:DWORD
	s_mov_b64 s[4:5], 0
                                        ; implicit-def: $sgpr10
	s_and_saveexec_b64 s[8:9], s[6:7]
	s_xor_b64 s[6:7], exec, s[8:9]
	s_cbranch_execnz .LBB7_2433
; %bb.385:
	s_or_saveexec_b64 s[6:7], s[6:7]
	v_mov_b32_e32 v10, s10
	s_xor_b64 exec, exec, s[6:7]
	s_cbranch_execnz .LBB7_2436
.LBB7_386:
	s_or_b64 exec, exec, s[6:7]
	s_and_saveexec_b64 s[6:7], s[4:5]
	s_cbranch_execz .LBB7_388
.LBB7_387:
	v_and_b32_e32 v10, 7, v6
	v_ffbh_u32_e32 v12, v10
	v_min_u32_e32 v12, 32, v12
	v_lshrrev_b16_e32 v11, 3, v6
	v_subrev_u32_e32 v13, 28, v12
	v_and_b32_e32 v11, 15, v11
	v_lshlrev_b32_e32 v13, v13, v6
	v_sub_u32_e32 v12, 29, v12
	v_and_b32_e32 v13, 7, v13
	v_cmp_eq_u16_e32 vcc, 0, v11
	v_cndmask_b32_e32 v10, v10, v13, vcc
	v_cndmask_b32_e32 v11, v11, v12, vcc
	v_lshlrev_b32_e32 v12, 24, v6
	v_mov_b32_e32 v13, 0x3b800000
	v_lshlrev_b32_e32 v10, 20, v10
	v_and_b32_e32 v12, 0x80000000, v12
	v_lshl_add_u32 v11, v11, 23, v13
	v_or3_b32 v10, v12, v11, v10
.LBB7_388:
	s_or_b64 exec, exec, s[6:7]
	s_movk_i32 s4, 0x7f
	v_cmp_gt_i16_sdwa s[6:7], v2, s4 src0_sel:BYTE_0 src1_sel:DWORD
	s_mov_b64 s[4:5], 0
                                        ; implicit-def: $sgpr10
	s_and_saveexec_b64 s[8:9], s[6:7]
	s_xor_b64 s[6:7], exec, s[8:9]
	s_cbranch_execnz .LBB7_2437
; %bb.389:
	s_or_saveexec_b64 s[6:7], s[6:7]
	v_mov_b32_e32 v11, s10
	s_xor_b64 exec, exec, s[6:7]
	s_cbranch_execnz .LBB7_2440
.LBB7_390:
	s_or_b64 exec, exec, s[6:7]
	s_and_saveexec_b64 s[6:7], s[4:5]
	s_cbranch_execz .LBB7_392
.LBB7_391:
	v_and_b32_e32 v11, 7, v2
	v_ffbh_u32_e32 v13, v11
	v_min_u32_e32 v13, 32, v13
	v_lshrrev_b16_e32 v12, 3, v2
	v_subrev_u32_e32 v14, 28, v13
	v_and_b32_e32 v12, 15, v12
	v_lshlrev_b32_e32 v14, v14, v2
	v_sub_u32_e32 v13, 29, v13
	v_and_b32_e32 v14, 7, v14
	v_cmp_eq_u16_e32 vcc, 0, v12
	v_cndmask_b32_e32 v11, v11, v14, vcc
	v_cndmask_b32_e32 v12, v12, v13, vcc
	v_lshlrev_b32_e32 v13, 24, v2
	v_mov_b32_e32 v14, 0x3b800000
	v_lshlrev_b32_e32 v11, 20, v11
	v_and_b32_e32 v13, 0x80000000, v13
	v_lshl_add_u32 v12, v12, 23, v14
	v_or3_b32 v11, v13, v12, v11
.LBB7_392:
	s_or_b64 exec, exec, s[6:7]
	s_nop 0
	v_mfma_f32_16x16x4f32 a[0:3], v10, v11, a[0:3]
	v_lshrrev_b32_e32 v11, 8, v6
	s_movk_i32 s4, 0x7f
	v_cmp_gt_i16_sdwa s[6:7], v11, s4 src0_sel:BYTE_0 src1_sel:DWORD
	s_mov_b64 s[4:5], 0
                                        ; implicit-def: $sgpr10
	s_and_saveexec_b64 s[8:9], s[6:7]
	s_xor_b64 s[6:7], exec, s[8:9]
	s_cbranch_execnz .LBB7_2441
; %bb.393:
	s_or_saveexec_b64 s[6:7], s[6:7]
	v_mov_b32_e32 v10, s10
	s_xor_b64 exec, exec, s[6:7]
	s_cbranch_execnz .LBB7_2444
.LBB7_394:
	s_or_b64 exec, exec, s[6:7]
	s_and_saveexec_b64 s[6:7], s[4:5]
	s_cbranch_execz .LBB7_396
.LBB7_395:
	v_bfe_u32 v10, v6, 8, 3
	v_ffbh_u32_e32 v13, v10
	v_min_u32_e32 v13, 32, v13
	v_lshrrev_b16_e32 v12, 3, v11
	v_subrev_u32_e32 v14, 28, v13
	v_and_b32_e32 v12, 15, v12
	v_lshlrev_b32_e32 v11, v14, v11
	v_sub_u32_e32 v13, 29, v13
	v_and_b32_e32 v11, 7, v11
	v_cmp_eq_u16_e32 vcc, 0, v12
	v_cndmask_b32_e32 v10, v10, v11, vcc
	v_cndmask_b32_e32 v11, v12, v13, vcc
	v_lshlrev_b32_e32 v12, 16, v6
	v_mov_b32_e32 v13, 0x3b800000
	v_lshlrev_b32_e32 v10, 20, v10
	v_and_b32_e32 v12, 0x80000000, v12
	v_lshl_add_u32 v11, v11, 23, v13
	v_or3_b32 v10, v12, v11, v10
.LBB7_396:
	s_or_b64 exec, exec, s[6:7]
	v_lshrrev_b32_e32 v11, 8, v2
	s_movk_i32 s4, 0x7f
	v_cmp_gt_i16_sdwa s[6:7], v11, s4 src0_sel:BYTE_0 src1_sel:DWORD
	s_mov_b64 s[4:5], 0
                                        ; implicit-def: $sgpr10
	s_and_saveexec_b64 s[8:9], s[6:7]
	s_xor_b64 s[6:7], exec, s[8:9]
	s_cbranch_execnz .LBB7_2445
; %bb.397:
	s_or_saveexec_b64 s[6:7], s[6:7]
	v_mov_b32_e32 v12, s10
	s_xor_b64 exec, exec, s[6:7]
	s_cbranch_execnz .LBB7_2448
.LBB7_398:
	s_or_b64 exec, exec, s[6:7]
	s_and_saveexec_b64 s[6:7], s[4:5]
	s_cbranch_execz .LBB7_400
.LBB7_399:
	v_bfe_u32 v12, v2, 8, 3
	v_ffbh_u32_e32 v14, v12
	v_min_u32_e32 v14, 32, v14
	v_lshrrev_b16_e32 v13, 3, v11
	v_subrev_u32_e32 v15, 28, v14
	v_and_b32_e32 v13, 15, v13
	v_lshlrev_b32_e32 v11, v15, v11
	v_sub_u32_e32 v14, 29, v14
	v_and_b32_e32 v11, 7, v11
	v_cmp_eq_u16_e32 vcc, 0, v13
	v_cndmask_b32_e32 v11, v12, v11, vcc
	v_cndmask_b32_e32 v12, v13, v14, vcc
	v_lshlrev_b32_e32 v13, 16, v2
	v_mov_b32_e32 v14, 0x3b800000
	v_lshlrev_b32_e32 v11, 20, v11
	v_and_b32_e32 v13, 0x80000000, v13
	v_lshl_add_u32 v12, v12, 23, v14
	v_or3_b32 v12, v13, v12, v11
.LBB7_400:
	s_or_b64 exec, exec, s[6:7]
	s_nop 0
	v_mfma_f32_16x16x4f32 a[0:3], v10, v12, a[0:3]
	s_movk_i32 s4, 0xff
	v_and_b32_sdwa v11, v6, s4 dst_sel:DWORD dst_unused:UNUSED_PAD src0_sel:WORD_1 src1_sel:DWORD
	s_movk_i32 s4, 0x7f
	v_cmp_lt_i16_e32 vcc, s4, v11
	s_mov_b64 s[4:5], 0
                                        ; implicit-def: $sgpr10
	s_and_saveexec_b64 s[6:7], vcc
	s_xor_b64 s[6:7], exec, s[6:7]
	s_cbranch_execnz .LBB7_2449
; %bb.401:
	s_or_saveexec_b64 s[6:7], s[6:7]
	v_mov_b32_e32 v10, s10
	s_xor_b64 exec, exec, s[6:7]
	s_cbranch_execnz .LBB7_2452
.LBB7_402:
	s_or_b64 exec, exec, s[6:7]
	s_and_saveexec_b64 s[6:7], s[4:5]
	s_cbranch_execz .LBB7_404
.LBB7_403:
	v_bfe_u32 v10, v6, 16, 3
	v_ffbh_u32_e32 v13, v10
	v_min_u32_e32 v13, 32, v13
	v_lshrrev_b32_e32 v11, 19, v6
	v_subrev_u32_e32 v14, 28, v13
	v_and_b32_e32 v11, 15, v11
	v_lshlrev_b32_sdwa v14, v14, v6 dst_sel:DWORD dst_unused:UNUSED_PAD src0_sel:DWORD src1_sel:WORD_1
	v_bfe_u32 v12, v6, 19, 4
	v_sub_u32_e32 v13, 29, v13
	v_and_b32_e32 v14, 7, v14
	v_cmp_eq_u16_e32 vcc, 0, v11
	v_cndmask_b32_e32 v10, v10, v14, vcc
	v_cndmask_b32_e32 v11, v12, v13, vcc
	v_lshlrev_b32_e32 v12, 8, v6
	v_mov_b32_e32 v13, 0x3b800000
	v_lshlrev_b32_e32 v10, 20, v10
	v_and_b32_e32 v12, 0x80000000, v12
	v_lshl_add_u32 v11, v11, 23, v13
	v_or3_b32 v10, v12, v11, v10
.LBB7_404:
	s_or_b64 exec, exec, s[6:7]
	s_movk_i32 s4, 0xff
	v_and_b32_sdwa v11, v2, s4 dst_sel:DWORD dst_unused:UNUSED_PAD src0_sel:WORD_1 src1_sel:DWORD
	s_movk_i32 s4, 0x7f
	v_cmp_lt_i16_e32 vcc, s4, v11
	s_mov_b64 s[4:5], 0
                                        ; implicit-def: $sgpr10
	s_and_saveexec_b64 s[6:7], vcc
	s_xor_b64 s[6:7], exec, s[6:7]
	s_cbranch_execnz .LBB7_2453
; %bb.405:
	s_or_saveexec_b64 s[6:7], s[6:7]
	v_mov_b32_e32 v12, s10
	s_xor_b64 exec, exec, s[6:7]
	s_cbranch_execnz .LBB7_2456
.LBB7_406:
	s_or_b64 exec, exec, s[6:7]
	s_and_saveexec_b64 s[6:7], s[4:5]
	s_cbranch_execz .LBB7_408
.LBB7_407:
	v_bfe_u32 v11, v2, 16, 3
	v_ffbh_u32_e32 v14, v11
	v_min_u32_e32 v14, 32, v14
	v_lshrrev_b32_e32 v12, 19, v2
	v_subrev_u32_e32 v15, 28, v14
	v_and_b32_e32 v12, 15, v12
	v_lshlrev_b32_sdwa v15, v15, v2 dst_sel:DWORD dst_unused:UNUSED_PAD src0_sel:DWORD src1_sel:WORD_1
	v_bfe_u32 v13, v2, 19, 4
	v_sub_u32_e32 v14, 29, v14
	v_and_b32_e32 v15, 7, v15
	v_cmp_eq_u16_e32 vcc, 0, v12
	v_cndmask_b32_e32 v11, v11, v15, vcc
	v_cndmask_b32_e32 v12, v13, v14, vcc
	v_lshlrev_b32_e32 v13, 8, v2
	v_mov_b32_e32 v14, 0x3b800000
	v_lshlrev_b32_e32 v11, 20, v11
	v_and_b32_e32 v13, 0x80000000, v13
	v_lshl_add_u32 v12, v12, 23, v14
	v_or3_b32 v12, v13, v12, v11
.LBB7_408:
	s_or_b64 exec, exec, s[6:7]
	s_nop 0
	v_mfma_f32_16x16x4f32 a[0:3], v10, v12, a[0:3]
	s_movk_i32 s4, 0x7f
	v_cmp_gt_i16_sdwa s[6:7], v6, s4 src0_sel:BYTE_3 src1_sel:DWORD
	s_mov_b64 s[4:5], 0
                                        ; implicit-def: $sgpr10
	s_and_saveexec_b64 s[8:9], s[6:7]
	s_xor_b64 s[6:7], exec, s[8:9]
	s_cbranch_execnz .LBB7_2457
; %bb.409:
	s_or_saveexec_b64 s[6:7], s[6:7]
	v_mov_b32_e32 v10, s10
	s_xor_b64 exec, exec, s[6:7]
	s_cbranch_execnz .LBB7_2460
.LBB7_410:
	s_or_b64 exec, exec, s[6:7]
	s_and_saveexec_b64 s[6:7], s[4:5]
	s_cbranch_execz .LBB7_412
.LBB7_411:
	v_bfe_u32 v10, v6, 24, 3
	v_ffbh_u32_e32 v14, v10
	v_min_u32_e32 v14, 32, v14
	v_lshrrev_b32_e32 v12, 27, v6
	v_subrev_u32_e32 v15, 28, v14
	v_and_b32_e32 v11, 0x80000000, v6
	v_and_b32_e32 v12, 15, v12
	v_bfe_u32 v13, v6, 27, 4
	v_lshlrev_b32_sdwa v6, v15, v6 dst_sel:DWORD dst_unused:UNUSED_PAD src0_sel:DWORD src1_sel:BYTE_3
	v_sub_u32_e32 v14, 29, v14
	v_and_b32_e32 v6, 7, v6
	v_cmp_eq_u16_e32 vcc, 0, v12
	v_cndmask_b32_e32 v6, v10, v6, vcc
	v_cndmask_b32_e32 v10, v13, v14, vcc
	v_mov_b32_e32 v12, 0x3b800000
	v_lshlrev_b32_e32 v6, 20, v6
	v_lshl_add_u32 v10, v10, 23, v12
	v_or3_b32 v10, v11, v10, v6
.LBB7_412:
	s_or_b64 exec, exec, s[6:7]
	s_movk_i32 s4, 0x7f
	v_cmp_gt_i16_sdwa s[6:7], v2, s4 src0_sel:BYTE_3 src1_sel:DWORD
	s_mov_b64 s[4:5], 0
                                        ; implicit-def: $sgpr10
	s_and_saveexec_b64 s[8:9], s[6:7]
	s_xor_b64 s[6:7], exec, s[8:9]
	s_cbranch_execnz .LBB7_2461
; %bb.413:
	s_or_saveexec_b64 s[6:7], s[6:7]
	v_mov_b32_e32 v6, s10
	s_xor_b64 exec, exec, s[6:7]
	s_cbranch_execnz .LBB7_2464
.LBB7_414:
	s_or_b64 exec, exec, s[6:7]
	s_and_saveexec_b64 s[6:7], s[4:5]
	s_cbranch_execz .LBB7_416
.LBB7_415:
	v_bfe_u32 v6, v2, 24, 3
	v_ffbh_u32_e32 v14, v6
	v_min_u32_e32 v14, 32, v14
	v_lshrrev_b32_e32 v12, 27, v2
	v_subrev_u32_e32 v15, 28, v14
	v_and_b32_e32 v11, 0x80000000, v2
	v_and_b32_e32 v12, 15, v12
	v_bfe_u32 v13, v2, 27, 4
	v_lshlrev_b32_sdwa v2, v15, v2 dst_sel:DWORD dst_unused:UNUSED_PAD src0_sel:DWORD src1_sel:BYTE_3
	v_sub_u32_e32 v14, 29, v14
	v_and_b32_e32 v2, 7, v2
	v_cmp_eq_u16_e32 vcc, 0, v12
	v_cndmask_b32_e32 v2, v6, v2, vcc
	v_cndmask_b32_e32 v6, v13, v14, vcc
	v_mov_b32_e32 v12, 0x3b800000
	v_lshlrev_b32_e32 v2, 20, v2
	v_lshl_add_u32 v6, v6, 23, v12
	v_or3_b32 v6, v11, v6, v2
.LBB7_416:
	s_or_b64 exec, exec, s[6:7]
	s_nop 0
	v_mfma_f32_16x16x4f32 a[0:3], v10, v6, a[0:3]
	s_movk_i32 s4, 0x7f
	v_cmp_gt_i16_sdwa s[6:7], v7, s4 src0_sel:BYTE_0 src1_sel:DWORD
	s_mov_b64 s[4:5], 0
                                        ; implicit-def: $sgpr10
	s_and_saveexec_b64 s[8:9], s[6:7]
	s_xor_b64 s[6:7], exec, s[8:9]
	s_cbranch_execnz .LBB7_2465
; %bb.417:
	s_or_saveexec_b64 s[6:7], s[6:7]
	v_mov_b32_e32 v2, s10
	s_xor_b64 exec, exec, s[6:7]
	s_cbranch_execnz .LBB7_2468
.LBB7_418:
	s_or_b64 exec, exec, s[6:7]
	s_and_saveexec_b64 s[6:7], s[4:5]
	s_cbranch_execz .LBB7_420
.LBB7_419:
	v_and_b32_e32 v2, 7, v7
	v_ffbh_u32_e32 v10, v2
	v_min_u32_e32 v10, 32, v10
	v_lshrrev_b16_e32 v6, 3, v7
	v_subrev_u32_e32 v11, 28, v10
	v_and_b32_e32 v6, 15, v6
	v_lshlrev_b32_e32 v11, v11, v7
	v_sub_u32_e32 v10, 29, v10
	v_and_b32_e32 v11, 7, v11
	v_cmp_eq_u16_e32 vcc, 0, v6
	v_cndmask_b32_e32 v2, v2, v11, vcc
	v_cndmask_b32_e32 v6, v6, v10, vcc
	v_lshlrev_b32_e32 v10, 24, v7
	v_mov_b32_e32 v11, 0x3b800000
	v_lshlrev_b32_e32 v2, 20, v2
	v_and_b32_e32 v10, 0x80000000, v10
	v_lshl_add_u32 v6, v6, 23, v11
	v_or3_b32 v2, v10, v6, v2
.LBB7_420:
	s_or_b64 exec, exec, s[6:7]
	s_movk_i32 s4, 0x7f
	v_cmp_gt_i16_sdwa s[6:7], v3, s4 src0_sel:BYTE_0 src1_sel:DWORD
	s_mov_b64 s[4:5], 0
                                        ; implicit-def: $sgpr10
	s_and_saveexec_b64 s[8:9], s[6:7]
	s_xor_b64 s[6:7], exec, s[8:9]
	s_cbranch_execnz .LBB7_2469
; %bb.421:
	s_or_saveexec_b64 s[6:7], s[6:7]
	v_mov_b32_e32 v6, s10
	s_xor_b64 exec, exec, s[6:7]
	s_cbranch_execnz .LBB7_2472
.LBB7_422:
	s_or_b64 exec, exec, s[6:7]
	s_and_saveexec_b64 s[6:7], s[4:5]
	s_cbranch_execz .LBB7_424
.LBB7_423:
	v_and_b32_e32 v6, 7, v3
	v_ffbh_u32_e32 v11, v6
	v_min_u32_e32 v11, 32, v11
	v_lshrrev_b16_e32 v10, 3, v3
	v_subrev_u32_e32 v12, 28, v11
	v_and_b32_e32 v10, 15, v10
	v_lshlrev_b32_e32 v12, v12, v3
	v_sub_u32_e32 v11, 29, v11
	v_and_b32_e32 v12, 7, v12
	v_cmp_eq_u16_e32 vcc, 0, v10
	v_cndmask_b32_e32 v6, v6, v12, vcc
	v_cndmask_b32_e32 v10, v10, v11, vcc
	v_lshlrev_b32_e32 v11, 24, v3
	v_mov_b32_e32 v12, 0x3b800000
	v_lshlrev_b32_e32 v6, 20, v6
	v_and_b32_e32 v11, 0x80000000, v11
	v_lshl_add_u32 v10, v10, 23, v12
	v_or3_b32 v6, v11, v10, v6
.LBB7_424:
	s_or_b64 exec, exec, s[6:7]
	s_nop 0
	v_mfma_f32_16x16x4f32 a[0:3], v2, v6, a[0:3]
	v_lshrrev_b32_e32 v6, 8, v7
	s_movk_i32 s4, 0x7f
	v_cmp_gt_i16_sdwa s[6:7], v6, s4 src0_sel:BYTE_0 src1_sel:DWORD
	s_mov_b64 s[4:5], 0
                                        ; implicit-def: $sgpr10
	s_and_saveexec_b64 s[8:9], s[6:7]
	s_xor_b64 s[6:7], exec, s[8:9]
	s_cbranch_execnz .LBB7_2473
; %bb.425:
	s_or_saveexec_b64 s[6:7], s[6:7]
	v_mov_b32_e32 v2, s10
	s_xor_b64 exec, exec, s[6:7]
	s_cbranch_execnz .LBB7_2476
.LBB7_426:
	s_or_b64 exec, exec, s[6:7]
	s_and_saveexec_b64 s[6:7], s[4:5]
	s_cbranch_execz .LBB7_428
.LBB7_427:
	v_bfe_u32 v2, v7, 8, 3
	v_ffbh_u32_e32 v11, v2
	v_min_u32_e32 v11, 32, v11
	v_lshrrev_b16_e32 v10, 3, v6
	v_subrev_u32_e32 v12, 28, v11
	v_and_b32_e32 v10, 15, v10
	v_lshlrev_b32_e32 v6, v12, v6
	v_sub_u32_e32 v11, 29, v11
	v_and_b32_e32 v6, 7, v6
	v_cmp_eq_u16_e32 vcc, 0, v10
	v_cndmask_b32_e32 v2, v2, v6, vcc
	v_cndmask_b32_e32 v6, v10, v11, vcc
	v_lshlrev_b32_e32 v10, 16, v7
	v_mov_b32_e32 v11, 0x3b800000
	v_lshlrev_b32_e32 v2, 20, v2
	v_and_b32_e32 v10, 0x80000000, v10
	v_lshl_add_u32 v6, v6, 23, v11
	v_or3_b32 v2, v10, v6, v2
.LBB7_428:
	s_or_b64 exec, exec, s[6:7]
	v_lshrrev_b32_e32 v6, 8, v3
	s_movk_i32 s4, 0x7f
	v_cmp_gt_i16_sdwa s[6:7], v6, s4 src0_sel:BYTE_0 src1_sel:DWORD
	s_mov_b64 s[4:5], 0
                                        ; implicit-def: $sgpr10
	s_and_saveexec_b64 s[8:9], s[6:7]
	s_xor_b64 s[6:7], exec, s[8:9]
	s_cbranch_execnz .LBB7_2477
; %bb.429:
	s_or_saveexec_b64 s[6:7], s[6:7]
	v_mov_b32_e32 v10, s10
	s_xor_b64 exec, exec, s[6:7]
	s_cbranch_execnz .LBB7_2480
.LBB7_430:
	s_or_b64 exec, exec, s[6:7]
	s_and_saveexec_b64 s[6:7], s[4:5]
	s_cbranch_execz .LBB7_432
.LBB7_431:
	v_bfe_u32 v10, v3, 8, 3
	v_ffbh_u32_e32 v12, v10
	v_min_u32_e32 v12, 32, v12
	v_lshrrev_b16_e32 v11, 3, v6
	v_subrev_u32_e32 v13, 28, v12
	v_and_b32_e32 v11, 15, v11
	v_lshlrev_b32_e32 v6, v13, v6
	v_sub_u32_e32 v12, 29, v12
	v_and_b32_e32 v6, 7, v6
	v_cmp_eq_u16_e32 vcc, 0, v11
	v_cndmask_b32_e32 v6, v10, v6, vcc
	v_cndmask_b32_e32 v10, v11, v12, vcc
	v_lshlrev_b32_e32 v11, 16, v3
	v_mov_b32_e32 v12, 0x3b800000
	v_lshlrev_b32_e32 v6, 20, v6
	v_and_b32_e32 v11, 0x80000000, v11
	v_lshl_add_u32 v10, v10, 23, v12
	v_or3_b32 v10, v11, v10, v6
.LBB7_432:
	s_or_b64 exec, exec, s[6:7]
	s_nop 0
	v_mfma_f32_16x16x4f32 a[0:3], v2, v10, a[0:3]
	s_movk_i32 s4, 0xff
	v_and_b32_sdwa v6, v7, s4 dst_sel:DWORD dst_unused:UNUSED_PAD src0_sel:WORD_1 src1_sel:DWORD
	s_movk_i32 s4, 0x7f
	v_cmp_lt_i16_e32 vcc, s4, v6
	s_mov_b64 s[4:5], 0
                                        ; implicit-def: $sgpr10
	s_and_saveexec_b64 s[6:7], vcc
	s_xor_b64 s[6:7], exec, s[6:7]
	s_cbranch_execnz .LBB7_2481
; %bb.433:
	s_or_saveexec_b64 s[6:7], s[6:7]
	v_mov_b32_e32 v2, s10
	s_xor_b64 exec, exec, s[6:7]
	s_cbranch_execnz .LBB7_2484
.LBB7_434:
	s_or_b64 exec, exec, s[6:7]
	s_and_saveexec_b64 s[6:7], s[4:5]
	s_cbranch_execz .LBB7_436
.LBB7_435:
	v_bfe_u32 v2, v7, 16, 3
	v_ffbh_u32_e32 v11, v2
	v_min_u32_e32 v11, 32, v11
	v_lshrrev_b32_e32 v6, 19, v7
	v_subrev_u32_e32 v12, 28, v11
	v_and_b32_e32 v6, 15, v6
	v_lshlrev_b32_sdwa v12, v12, v7 dst_sel:DWORD dst_unused:UNUSED_PAD src0_sel:DWORD src1_sel:WORD_1
	v_bfe_u32 v10, v7, 19, 4
	v_sub_u32_e32 v11, 29, v11
	v_and_b32_e32 v12, 7, v12
	v_cmp_eq_u16_e32 vcc, 0, v6
	v_cndmask_b32_e32 v2, v2, v12, vcc
	v_cndmask_b32_e32 v6, v10, v11, vcc
	v_lshlrev_b32_e32 v10, 8, v7
	v_mov_b32_e32 v11, 0x3b800000
	v_lshlrev_b32_e32 v2, 20, v2
	v_and_b32_e32 v10, 0x80000000, v10
	v_lshl_add_u32 v6, v6, 23, v11
	v_or3_b32 v2, v10, v6, v2
.LBB7_436:
	s_or_b64 exec, exec, s[6:7]
	s_movk_i32 s4, 0xff
	v_and_b32_sdwa v6, v3, s4 dst_sel:DWORD dst_unused:UNUSED_PAD src0_sel:WORD_1 src1_sel:DWORD
	s_movk_i32 s4, 0x7f
	v_cmp_lt_i16_e32 vcc, s4, v6
	s_mov_b64 s[4:5], 0
                                        ; implicit-def: $sgpr10
	s_and_saveexec_b64 s[6:7], vcc
	s_xor_b64 s[6:7], exec, s[6:7]
	s_cbranch_execnz .LBB7_2485
; %bb.437:
	s_or_saveexec_b64 s[6:7], s[6:7]
	v_mov_b32_e32 v10, s10
	s_xor_b64 exec, exec, s[6:7]
	s_cbranch_execnz .LBB7_2488
.LBB7_438:
	s_or_b64 exec, exec, s[6:7]
	s_and_saveexec_b64 s[6:7], s[4:5]
	s_cbranch_execz .LBB7_440
.LBB7_439:
	v_bfe_u32 v6, v3, 16, 3
	v_ffbh_u32_e32 v12, v6
	v_min_u32_e32 v12, 32, v12
	v_lshrrev_b32_e32 v10, 19, v3
	v_subrev_u32_e32 v13, 28, v12
	v_and_b32_e32 v10, 15, v10
	v_lshlrev_b32_sdwa v13, v13, v3 dst_sel:DWORD dst_unused:UNUSED_PAD src0_sel:DWORD src1_sel:WORD_1
	v_bfe_u32 v11, v3, 19, 4
	v_sub_u32_e32 v12, 29, v12
	v_and_b32_e32 v13, 7, v13
	v_cmp_eq_u16_e32 vcc, 0, v10
	v_cndmask_b32_e32 v6, v6, v13, vcc
	v_cndmask_b32_e32 v10, v11, v12, vcc
	v_lshlrev_b32_e32 v11, 8, v3
	v_mov_b32_e32 v12, 0x3b800000
	v_lshlrev_b32_e32 v6, 20, v6
	v_and_b32_e32 v11, 0x80000000, v11
	v_lshl_add_u32 v10, v10, 23, v12
	v_or3_b32 v10, v11, v10, v6
.LBB7_440:
	s_or_b64 exec, exec, s[6:7]
	s_nop 0
	v_mfma_f32_16x16x4f32 a[0:3], v2, v10, a[0:3]
	s_movk_i32 s4, 0x7f
	v_cmp_gt_i16_sdwa s[6:7], v7, s4 src0_sel:BYTE_3 src1_sel:DWORD
	s_mov_b64 s[4:5], 0
                                        ; implicit-def: $sgpr10
	s_and_saveexec_b64 s[8:9], s[6:7]
	s_xor_b64 s[6:7], exec, s[8:9]
	s_cbranch_execnz .LBB7_2489
; %bb.441:
	s_or_saveexec_b64 s[6:7], s[6:7]
	v_mov_b32_e32 v2, s10
	s_xor_b64 exec, exec, s[6:7]
	s_cbranch_execnz .LBB7_2492
.LBB7_442:
	s_or_b64 exec, exec, s[6:7]
	s_and_saveexec_b64 s[6:7], s[4:5]
	s_cbranch_execz .LBB7_444
.LBB7_443:
	v_bfe_u32 v2, v7, 24, 3
	v_ffbh_u32_e32 v12, v2
	v_min_u32_e32 v12, 32, v12
	v_lshrrev_b32_e32 v10, 27, v7
	v_subrev_u32_e32 v13, 28, v12
	v_and_b32_e32 v6, 0x80000000, v7
	v_and_b32_e32 v10, 15, v10
	v_bfe_u32 v11, v7, 27, 4
	v_lshlrev_b32_sdwa v7, v13, v7 dst_sel:DWORD dst_unused:UNUSED_PAD src0_sel:DWORD src1_sel:BYTE_3
	v_sub_u32_e32 v12, 29, v12
	v_and_b32_e32 v7, 7, v7
	v_cmp_eq_u16_e32 vcc, 0, v10
	v_cndmask_b32_e32 v2, v2, v7, vcc
	v_cndmask_b32_e32 v7, v11, v12, vcc
	v_mov_b32_e32 v10, 0x3b800000
	v_lshlrev_b32_e32 v2, 20, v2
	v_lshl_add_u32 v7, v7, 23, v10
	v_or3_b32 v2, v6, v7, v2
.LBB7_444:
	s_or_b64 exec, exec, s[6:7]
	s_movk_i32 s4, 0x7f
	v_cmp_gt_i16_sdwa s[6:7], v3, s4 src0_sel:BYTE_3 src1_sel:DWORD
	s_mov_b64 s[4:5], 0
                                        ; implicit-def: $sgpr10
	s_and_saveexec_b64 s[8:9], s[6:7]
	s_xor_b64 s[6:7], exec, s[8:9]
	s_cbranch_execnz .LBB7_2493
; %bb.445:
	s_or_saveexec_b64 s[6:7], s[6:7]
	v_mov_b32_e32 v6, s10
	s_xor_b64 exec, exec, s[6:7]
	s_cbranch_execnz .LBB7_2496
.LBB7_446:
	s_or_b64 exec, exec, s[6:7]
	s_and_saveexec_b64 s[6:7], s[4:5]
	s_cbranch_execz .LBB7_448
.LBB7_447:
	v_bfe_u32 v6, v3, 24, 3
	v_ffbh_u32_e32 v12, v6
	v_min_u32_e32 v12, 32, v12
	v_lshrrev_b32_e32 v10, 27, v3
	v_subrev_u32_e32 v13, 28, v12
	v_and_b32_e32 v7, 0x80000000, v3
	v_and_b32_e32 v10, 15, v10
	v_bfe_u32 v11, v3, 27, 4
	v_lshlrev_b32_sdwa v3, v13, v3 dst_sel:DWORD dst_unused:UNUSED_PAD src0_sel:DWORD src1_sel:BYTE_3
	v_sub_u32_e32 v12, 29, v12
	v_and_b32_e32 v3, 7, v3
	v_cmp_eq_u16_e32 vcc, 0, v10
	v_cndmask_b32_e32 v3, v6, v3, vcc
	v_cndmask_b32_e32 v6, v11, v12, vcc
	v_mov_b32_e32 v10, 0x3b800000
	v_lshlrev_b32_e32 v3, 20, v3
	v_lshl_add_u32 v6, v6, 23, v10
	v_or3_b32 v6, v7, v6, v3
.LBB7_448:
	s_or_b64 exec, exec, s[6:7]
	s_nop 0
	v_mfma_f32_16x16x4f32 a[0:3], v2, v6, a[0:3]
	s_movk_i32 s4, 0x7f
	v_cmp_gt_i16_sdwa s[6:7], v8, s4 src0_sel:BYTE_0 src1_sel:DWORD
	s_mov_b64 s[4:5], 0
                                        ; implicit-def: $sgpr10
	s_and_saveexec_b64 s[8:9], s[6:7]
	s_xor_b64 s[6:7], exec, s[8:9]
	s_cbranch_execnz .LBB7_2497
; %bb.449:
	s_or_saveexec_b64 s[6:7], s[6:7]
	v_mov_b32_e32 v2, s10
	s_xor_b64 exec, exec, s[6:7]
	s_cbranch_execnz .LBB7_2500
.LBB7_450:
	s_or_b64 exec, exec, s[6:7]
	s_and_saveexec_b64 s[6:7], s[4:5]
	s_cbranch_execz .LBB7_452
.LBB7_451:
	v_and_b32_e32 v2, 7, v8
	v_ffbh_u32_e32 v6, v2
	v_min_u32_e32 v6, 32, v6
	v_lshrrev_b16_e32 v3, 3, v8
	v_subrev_u32_e32 v7, 28, v6
	v_and_b32_e32 v3, 15, v3
	v_lshlrev_b32_e32 v7, v7, v8
	v_sub_u32_e32 v6, 29, v6
	v_and_b32_e32 v7, 7, v7
	v_cmp_eq_u16_e32 vcc, 0, v3
	v_cndmask_b32_e32 v2, v2, v7, vcc
	v_cndmask_b32_e32 v3, v3, v6, vcc
	v_lshlrev_b32_e32 v6, 24, v8
	v_mov_b32_e32 v7, 0x3b800000
	v_lshlrev_b32_e32 v2, 20, v2
	v_and_b32_e32 v6, 0x80000000, v6
	v_lshl_add_u32 v3, v3, 23, v7
	v_or3_b32 v2, v6, v3, v2
.LBB7_452:
	s_or_b64 exec, exec, s[6:7]
	s_movk_i32 s4, 0x7f
	v_cmp_gt_i16_sdwa s[6:7], v4, s4 src0_sel:BYTE_0 src1_sel:DWORD
	s_mov_b64 s[4:5], 0
                                        ; implicit-def: $sgpr10
	s_and_saveexec_b64 s[8:9], s[6:7]
	s_xor_b64 s[6:7], exec, s[8:9]
	s_cbranch_execnz .LBB7_2501
; %bb.453:
	s_or_saveexec_b64 s[6:7], s[6:7]
	v_mov_b32_e32 v3, s10
	s_xor_b64 exec, exec, s[6:7]
	s_cbranch_execnz .LBB7_2504
.LBB7_454:
	s_or_b64 exec, exec, s[6:7]
	s_and_saveexec_b64 s[6:7], s[4:5]
	s_cbranch_execz .LBB7_456
.LBB7_455:
	v_and_b32_e32 v3, 7, v4
	v_ffbh_u32_e32 v7, v3
	v_min_u32_e32 v7, 32, v7
	v_lshrrev_b16_e32 v6, 3, v4
	v_subrev_u32_e32 v10, 28, v7
	v_and_b32_e32 v6, 15, v6
	v_lshlrev_b32_e32 v10, v10, v4
	v_sub_u32_e32 v7, 29, v7
	v_and_b32_e32 v10, 7, v10
	v_cmp_eq_u16_e32 vcc, 0, v6
	v_cndmask_b32_e32 v3, v3, v10, vcc
	v_cndmask_b32_e32 v6, v6, v7, vcc
	v_lshlrev_b32_e32 v7, 24, v4
	v_mov_b32_e32 v10, 0x3b800000
	v_lshlrev_b32_e32 v3, 20, v3
	v_and_b32_e32 v7, 0x80000000, v7
	v_lshl_add_u32 v6, v6, 23, v10
	v_or3_b32 v3, v7, v6, v3
.LBB7_456:
	s_or_b64 exec, exec, s[6:7]
	s_nop 0
	v_mfma_f32_16x16x4f32 a[0:3], v2, v3, a[0:3]
	v_lshrrev_b32_e32 v3, 8, v8
	s_movk_i32 s4, 0x7f
	v_cmp_gt_i16_sdwa s[6:7], v3, s4 src0_sel:BYTE_0 src1_sel:DWORD
	s_mov_b64 s[4:5], 0
                                        ; implicit-def: $sgpr10
	s_and_saveexec_b64 s[8:9], s[6:7]
	s_xor_b64 s[6:7], exec, s[8:9]
	s_cbranch_execnz .LBB7_2505
; %bb.457:
	s_or_saveexec_b64 s[6:7], s[6:7]
	v_mov_b32_e32 v2, s10
	s_xor_b64 exec, exec, s[6:7]
	s_cbranch_execnz .LBB7_2508
.LBB7_458:
	s_or_b64 exec, exec, s[6:7]
	s_and_saveexec_b64 s[6:7], s[4:5]
	s_cbranch_execz .LBB7_460
.LBB7_459:
	v_bfe_u32 v2, v8, 8, 3
	v_ffbh_u32_e32 v7, v2
	v_min_u32_e32 v7, 32, v7
	v_lshrrev_b16_e32 v6, 3, v3
	v_subrev_u32_e32 v10, 28, v7
	v_and_b32_e32 v6, 15, v6
	v_lshlrev_b32_e32 v3, v10, v3
	v_sub_u32_e32 v7, 29, v7
	v_and_b32_e32 v3, 7, v3
	v_cmp_eq_u16_e32 vcc, 0, v6
	v_cndmask_b32_e32 v2, v2, v3, vcc
	v_cndmask_b32_e32 v3, v6, v7, vcc
	v_lshlrev_b32_e32 v6, 16, v8
	v_mov_b32_e32 v7, 0x3b800000
	v_lshlrev_b32_e32 v2, 20, v2
	v_and_b32_e32 v6, 0x80000000, v6
	v_lshl_add_u32 v3, v3, 23, v7
	v_or3_b32 v2, v6, v3, v2
.LBB7_460:
	s_or_b64 exec, exec, s[6:7]
	v_lshrrev_b32_e32 v3, 8, v4
	s_movk_i32 s4, 0x7f
	v_cmp_gt_i16_sdwa s[6:7], v3, s4 src0_sel:BYTE_0 src1_sel:DWORD
	s_mov_b64 s[4:5], 0
                                        ; implicit-def: $sgpr10
	s_and_saveexec_b64 s[8:9], s[6:7]
	s_xor_b64 s[6:7], exec, s[8:9]
	s_cbranch_execnz .LBB7_2509
; %bb.461:
	s_or_saveexec_b64 s[6:7], s[6:7]
	v_mov_b32_e32 v6, s10
	s_xor_b64 exec, exec, s[6:7]
	s_cbranch_execnz .LBB7_2512
.LBB7_462:
	s_or_b64 exec, exec, s[6:7]
	s_and_saveexec_b64 s[6:7], s[4:5]
	s_cbranch_execz .LBB7_464
.LBB7_463:
	v_bfe_u32 v6, v4, 8, 3
	v_ffbh_u32_e32 v10, v6
	v_min_u32_e32 v10, 32, v10
	v_lshrrev_b16_e32 v7, 3, v3
	v_subrev_u32_e32 v11, 28, v10
	v_and_b32_e32 v7, 15, v7
	v_lshlrev_b32_e32 v3, v11, v3
	v_sub_u32_e32 v10, 29, v10
	v_and_b32_e32 v3, 7, v3
	v_cmp_eq_u16_e32 vcc, 0, v7
	v_cndmask_b32_e32 v3, v6, v3, vcc
	v_cndmask_b32_e32 v6, v7, v10, vcc
	v_lshlrev_b32_e32 v7, 16, v4
	v_mov_b32_e32 v10, 0x3b800000
	v_lshlrev_b32_e32 v3, 20, v3
	v_and_b32_e32 v7, 0x80000000, v7
	v_lshl_add_u32 v6, v6, 23, v10
	v_or3_b32 v6, v7, v6, v3
.LBB7_464:
	s_or_b64 exec, exec, s[6:7]
	s_nop 0
	v_mfma_f32_16x16x4f32 a[0:3], v2, v6, a[0:3]
	s_movk_i32 s4, 0xff
	v_and_b32_sdwa v3, v8, s4 dst_sel:DWORD dst_unused:UNUSED_PAD src0_sel:WORD_1 src1_sel:DWORD
	s_movk_i32 s4, 0x7f
	v_cmp_lt_i16_e32 vcc, s4, v3
	s_mov_b64 s[4:5], 0
                                        ; implicit-def: $sgpr10
	s_and_saveexec_b64 s[6:7], vcc
	s_xor_b64 s[6:7], exec, s[6:7]
	s_cbranch_execnz .LBB7_2513
; %bb.465:
	s_or_saveexec_b64 s[6:7], s[6:7]
	v_mov_b32_e32 v2, s10
	s_xor_b64 exec, exec, s[6:7]
	s_cbranch_execnz .LBB7_2516
.LBB7_466:
	s_or_b64 exec, exec, s[6:7]
	s_and_saveexec_b64 s[6:7], s[4:5]
	s_cbranch_execz .LBB7_468
.LBB7_467:
	v_bfe_u32 v2, v8, 16, 3
	v_ffbh_u32_e32 v7, v2
	v_min_u32_e32 v7, 32, v7
	v_lshrrev_b32_e32 v3, 19, v8
	v_subrev_u32_e32 v10, 28, v7
	v_and_b32_e32 v3, 15, v3
	v_lshlrev_b32_sdwa v10, v10, v8 dst_sel:DWORD dst_unused:UNUSED_PAD src0_sel:DWORD src1_sel:WORD_1
	v_bfe_u32 v6, v8, 19, 4
	v_sub_u32_e32 v7, 29, v7
	v_and_b32_e32 v10, 7, v10
	v_cmp_eq_u16_e32 vcc, 0, v3
	v_cndmask_b32_e32 v2, v2, v10, vcc
	v_cndmask_b32_e32 v3, v6, v7, vcc
	v_lshlrev_b32_e32 v6, 8, v8
	v_mov_b32_e32 v7, 0x3b800000
	v_lshlrev_b32_e32 v2, 20, v2
	v_and_b32_e32 v6, 0x80000000, v6
	v_lshl_add_u32 v3, v3, 23, v7
	v_or3_b32 v2, v6, v3, v2
.LBB7_468:
	s_or_b64 exec, exec, s[6:7]
	s_movk_i32 s4, 0xff
	v_and_b32_sdwa v3, v4, s4 dst_sel:DWORD dst_unused:UNUSED_PAD src0_sel:WORD_1 src1_sel:DWORD
	s_movk_i32 s4, 0x7f
	v_cmp_lt_i16_e32 vcc, s4, v3
	s_mov_b64 s[4:5], 0
                                        ; implicit-def: $sgpr10
	s_and_saveexec_b64 s[6:7], vcc
	s_xor_b64 s[6:7], exec, s[6:7]
	s_cbranch_execnz .LBB7_2517
; %bb.469:
	s_or_saveexec_b64 s[6:7], s[6:7]
	v_mov_b32_e32 v6, s10
	s_xor_b64 exec, exec, s[6:7]
	s_cbranch_execnz .LBB7_2520
.LBB7_470:
	s_or_b64 exec, exec, s[6:7]
	s_and_saveexec_b64 s[6:7], s[4:5]
	s_cbranch_execz .LBB7_472
.LBB7_471:
	v_bfe_u32 v3, v4, 16, 3
	v_ffbh_u32_e32 v10, v3
	v_min_u32_e32 v10, 32, v10
	v_lshrrev_b32_e32 v6, 19, v4
	v_subrev_u32_e32 v11, 28, v10
	v_and_b32_e32 v6, 15, v6
	v_lshlrev_b32_sdwa v11, v11, v4 dst_sel:DWORD dst_unused:UNUSED_PAD src0_sel:DWORD src1_sel:WORD_1
	v_bfe_u32 v7, v4, 19, 4
	v_sub_u32_e32 v10, 29, v10
	v_and_b32_e32 v11, 7, v11
	v_cmp_eq_u16_e32 vcc, 0, v6
	v_cndmask_b32_e32 v3, v3, v11, vcc
	v_cndmask_b32_e32 v6, v7, v10, vcc
	v_lshlrev_b32_e32 v7, 8, v4
	v_mov_b32_e32 v10, 0x3b800000
	v_lshlrev_b32_e32 v3, 20, v3
	v_and_b32_e32 v7, 0x80000000, v7
	v_lshl_add_u32 v6, v6, 23, v10
	v_or3_b32 v6, v7, v6, v3
.LBB7_472:
	s_or_b64 exec, exec, s[6:7]
	s_nop 0
	v_mfma_f32_16x16x4f32 a[0:3], v2, v6, a[0:3]
	s_movk_i32 s4, 0x7f
	v_cmp_gt_i16_sdwa s[6:7], v8, s4 src0_sel:BYTE_3 src1_sel:DWORD
	s_mov_b64 s[4:5], 0
                                        ; implicit-def: $sgpr10
	s_and_saveexec_b64 s[8:9], s[6:7]
	s_xor_b64 s[6:7], exec, s[8:9]
	s_cbranch_execnz .LBB7_2521
; %bb.473:
	s_or_saveexec_b64 s[6:7], s[6:7]
	v_mov_b32_e32 v2, s10
	s_xor_b64 exec, exec, s[6:7]
	s_cbranch_execnz .LBB7_2524
.LBB7_474:
	s_or_b64 exec, exec, s[6:7]
	s_and_saveexec_b64 s[6:7], s[4:5]
	s_cbranch_execz .LBB7_476
.LBB7_475:
	v_bfe_u32 v2, v8, 24, 3
	v_ffbh_u32_e32 v10, v2
	v_min_u32_e32 v10, 32, v10
	v_lshrrev_b32_e32 v6, 27, v8
	v_subrev_u32_e32 v11, 28, v10
	v_and_b32_e32 v3, 0x80000000, v8
	v_and_b32_e32 v6, 15, v6
	v_bfe_u32 v7, v8, 27, 4
	v_lshlrev_b32_sdwa v8, v11, v8 dst_sel:DWORD dst_unused:UNUSED_PAD src0_sel:DWORD src1_sel:BYTE_3
	v_sub_u32_e32 v10, 29, v10
	v_and_b32_e32 v8, 7, v8
	v_cmp_eq_u16_e32 vcc, 0, v6
	v_cndmask_b32_e32 v2, v2, v8, vcc
	v_cndmask_b32_e32 v6, v7, v10, vcc
	v_mov_b32_e32 v7, 0x3b800000
	v_lshlrev_b32_e32 v2, 20, v2
	v_lshl_add_u32 v6, v6, 23, v7
	v_or3_b32 v2, v3, v6, v2
.LBB7_476:
	s_or_b64 exec, exec, s[6:7]
	s_movk_i32 s4, 0x7f
	v_cmp_gt_i16_sdwa s[6:7], v4, s4 src0_sel:BYTE_3 src1_sel:DWORD
	s_mov_b64 s[4:5], 0
                                        ; implicit-def: $sgpr10
	s_and_saveexec_b64 s[8:9], s[6:7]
	s_xor_b64 s[6:7], exec, s[8:9]
	s_cbranch_execnz .LBB7_2525
; %bb.477:
	s_or_saveexec_b64 s[6:7], s[6:7]
	v_mov_b32_e32 v3, s10
	s_xor_b64 exec, exec, s[6:7]
	s_cbranch_execnz .LBB7_2528
.LBB7_478:
	s_or_b64 exec, exec, s[6:7]
	s_and_saveexec_b64 s[6:7], s[4:5]
	s_cbranch_execz .LBB7_480
.LBB7_479:
	v_bfe_u32 v3, v4, 24, 3
	v_ffbh_u32_e32 v10, v3
	v_min_u32_e32 v10, 32, v10
	v_lshrrev_b32_e32 v7, 27, v4
	v_subrev_u32_e32 v11, 28, v10
	v_and_b32_e32 v6, 0x80000000, v4
	v_and_b32_e32 v7, 15, v7
	v_bfe_u32 v8, v4, 27, 4
	v_lshlrev_b32_sdwa v4, v11, v4 dst_sel:DWORD dst_unused:UNUSED_PAD src0_sel:DWORD src1_sel:BYTE_3
	v_sub_u32_e32 v10, 29, v10
	v_and_b32_e32 v4, 7, v4
	v_cmp_eq_u16_e32 vcc, 0, v7
	v_cndmask_b32_e32 v3, v3, v4, vcc
	v_cndmask_b32_e32 v4, v8, v10, vcc
	v_mov_b32_e32 v7, 0x3b800000
	v_lshlrev_b32_e32 v3, 20, v3
	v_lshl_add_u32 v4, v4, 23, v7
	v_or3_b32 v3, v6, v4, v3
.LBB7_480:
	s_or_b64 exec, exec, s[6:7]
	s_nop 0
	v_mfma_f32_16x16x4f32 a[0:3], v2, v3, a[0:3]
	s_movk_i32 s4, 0x7f
	v_cmp_gt_i16_sdwa s[6:7], v9, s4 src0_sel:BYTE_0 src1_sel:DWORD
	s_mov_b64 s[4:5], 0
                                        ; implicit-def: $sgpr10
	s_and_saveexec_b64 s[8:9], s[6:7]
	s_xor_b64 s[6:7], exec, s[8:9]
	s_cbranch_execnz .LBB7_2529
; %bb.481:
	s_or_saveexec_b64 s[6:7], s[6:7]
	v_mov_b32_e32 v2, s10
	s_xor_b64 exec, exec, s[6:7]
	s_cbranch_execnz .LBB7_2532
.LBB7_482:
	s_or_b64 exec, exec, s[6:7]
	s_and_saveexec_b64 s[6:7], s[4:5]
	s_cbranch_execz .LBB7_484
.LBB7_483:
	v_mov_b32_e32 v2, 8
	v_and_b32_e32 v3, 7, v9
	v_lshrrev_b32_sdwa v2, v2, v9 dst_sel:BYTE_1 dst_unused:UNUSED_PAD src0_sel:DWORD src1_sel:DWORD
	v_ffbh_u32_e32 v4, v3
	v_or_b32_sdwa v2, v9, v2 dst_sel:DWORD dst_unused:UNUSED_PAD src0_sel:BYTE_0 src1_sel:DWORD
	v_min_u32_e32 v4, 32, v4
	v_lshrrev_b16_e32 v2, 3, v2
	v_subrev_u32_e32 v6, 28, v4
	v_and_b32_e32 v2, 15, v2
	v_lshlrev_b32_e32 v6, v6, v9
	v_sub_u32_e32 v4, 29, v4
	v_and_b32_e32 v6, 7, v6
	v_cmp_eq_u16_e32 vcc, 0, v2
	v_cndmask_b32_e32 v3, v3, v6, vcc
	v_cndmask_b32_e32 v2, v2, v4, vcc
	v_lshlrev_b32_e32 v4, 24, v9
	v_mov_b32_e32 v6, 0x3b800000
	v_lshlrev_b32_e32 v3, 20, v3
	v_and_b32_e32 v4, 0x80000000, v4
	v_lshl_add_u32 v2, v2, 23, v6
	v_or3_b32 v2, v4, v2, v3
.LBB7_484:
	s_or_b64 exec, exec, s[6:7]
	s_movk_i32 s4, 0x7f
	v_cmp_gt_i16_sdwa s[6:7], v5, s4 src0_sel:BYTE_0 src1_sel:DWORD
	s_mov_b64 s[4:5], 0
                                        ; implicit-def: $sgpr10
	s_and_saveexec_b64 s[8:9], s[6:7]
	s_xor_b64 s[6:7], exec, s[8:9]
	s_cbranch_execnz .LBB7_2533
; %bb.485:
	s_or_saveexec_b64 s[6:7], s[6:7]
	v_mov_b32_e32 v3, s10
	s_xor_b64 exec, exec, s[6:7]
	s_cbranch_execnz .LBB7_2536
.LBB7_486:
	s_or_b64 exec, exec, s[6:7]
	s_and_saveexec_b64 s[6:7], s[4:5]
	s_cbranch_execz .LBB7_488
.LBB7_487:
	v_mov_b32_e32 v3, 8
	v_and_b32_e32 v4, 7, v5
	v_lshrrev_b32_sdwa v3, v3, v5 dst_sel:BYTE_1 dst_unused:UNUSED_PAD src0_sel:DWORD src1_sel:DWORD
	v_ffbh_u32_e32 v6, v4
	v_or_b32_sdwa v3, v5, v3 dst_sel:DWORD dst_unused:UNUSED_PAD src0_sel:BYTE_0 src1_sel:DWORD
	v_min_u32_e32 v6, 32, v6
	v_lshrrev_b16_e32 v3, 3, v3
	v_subrev_u32_e32 v7, 28, v6
	v_and_b32_e32 v3, 15, v3
	v_lshlrev_b32_e32 v7, v7, v5
	v_sub_u32_e32 v6, 29, v6
	v_and_b32_e32 v7, 7, v7
	v_cmp_eq_u16_e32 vcc, 0, v3
	v_cndmask_b32_e32 v4, v4, v7, vcc
	v_cndmask_b32_e32 v3, v3, v6, vcc
	v_lshlrev_b32_e32 v6, 24, v5
	v_mov_b32_e32 v7, 0x3b800000
	v_lshlrev_b32_e32 v4, 20, v4
	v_and_b32_e32 v6, 0x80000000, v6
	v_lshl_add_u32 v3, v3, 23, v7
	v_or3_b32 v3, v6, v3, v4
.LBB7_488:
	s_or_b64 exec, exec, s[6:7]
	s_nop 0
	v_mfma_f32_16x16x4f32 a[0:3], v2, v3, a[0:3]
	v_lshrrev_b32_e32 v3, 8, v9
	s_movk_i32 s4, 0x7f
	v_cmp_gt_i16_sdwa s[6:7], v3, s4 src0_sel:BYTE_0 src1_sel:DWORD
	s_mov_b64 s[4:5], 0
                                        ; implicit-def: $sgpr10
	s_and_saveexec_b64 s[8:9], s[6:7]
	s_xor_b64 s[6:7], exec, s[8:9]
	s_cbranch_execnz .LBB7_2537
; %bb.489:
	s_or_saveexec_b64 s[6:7], s[6:7]
	v_mov_b32_e32 v2, s10
	s_xor_b64 exec, exec, s[6:7]
	s_cbranch_execnz .LBB7_2540
.LBB7_490:
	s_or_b64 exec, exec, s[6:7]
	s_and_saveexec_b64 s[6:7], s[4:5]
	s_cbranch_execz .LBB7_492
.LBB7_491:
	v_bfe_u32 v2, v9, 8, 3
	v_ffbh_u32_e32 v6, v2
	v_min_u32_e32 v6, 32, v6
	v_lshrrev_b16_e32 v4, 3, v3
	v_subrev_u32_e32 v7, 28, v6
	v_and_b32_e32 v4, 15, v4
	v_lshlrev_b32_e32 v3, v7, v3
	v_sub_u32_e32 v6, 29, v6
	v_and_b32_e32 v3, 7, v3
	v_cmp_eq_u16_e32 vcc, 0, v4
	v_cndmask_b32_e32 v2, v2, v3, vcc
	v_cndmask_b32_e32 v3, v4, v6, vcc
	v_lshlrev_b32_e32 v4, 16, v9
	v_mov_b32_e32 v6, 0x3b800000
	v_lshlrev_b32_e32 v2, 20, v2
	v_and_b32_e32 v4, 0x80000000, v4
	v_lshl_add_u32 v3, v3, 23, v6
	v_or3_b32 v2, v4, v3, v2
.LBB7_492:
	s_or_b64 exec, exec, s[6:7]
	v_lshrrev_b32_e32 v3, 8, v5
	s_movk_i32 s4, 0x7f
	v_cmp_gt_i16_sdwa s[6:7], v3, s4 src0_sel:BYTE_0 src1_sel:DWORD
	s_mov_b64 s[4:5], 0
                                        ; implicit-def: $sgpr10
	s_and_saveexec_b64 s[8:9], s[6:7]
	s_xor_b64 s[6:7], exec, s[8:9]
	s_cbranch_execnz .LBB7_2541
; %bb.493:
	s_or_saveexec_b64 s[6:7], s[6:7]
	v_mov_b32_e32 v4, s10
	s_xor_b64 exec, exec, s[6:7]
	s_cbranch_execnz .LBB7_2544
.LBB7_494:
	s_or_b64 exec, exec, s[6:7]
	s_and_saveexec_b64 s[6:7], s[4:5]
	s_cbranch_execz .LBB7_496
.LBB7_495:
	v_bfe_u32 v4, v5, 8, 3
	v_ffbh_u32_e32 v7, v4
	v_min_u32_e32 v7, 32, v7
	v_lshrrev_b16_e32 v6, 3, v3
	v_subrev_u32_e32 v8, 28, v7
	v_and_b32_e32 v6, 15, v6
	v_lshlrev_b32_e32 v3, v8, v3
	v_sub_u32_e32 v7, 29, v7
	v_and_b32_e32 v3, 7, v3
	v_cmp_eq_u16_e32 vcc, 0, v6
	v_cndmask_b32_e32 v3, v4, v3, vcc
	v_cndmask_b32_e32 v4, v6, v7, vcc
	v_lshlrev_b32_e32 v6, 16, v5
	v_mov_b32_e32 v7, 0x3b800000
	v_lshlrev_b32_e32 v3, 20, v3
	v_and_b32_e32 v6, 0x80000000, v6
	v_lshl_add_u32 v4, v4, 23, v7
	v_or3_b32 v4, v6, v4, v3
.LBB7_496:
	s_or_b64 exec, exec, s[6:7]
	s_nop 0
	v_mfma_f32_16x16x4f32 a[0:3], v2, v4, a[0:3]
	s_movk_i32 s4, 0xff
	v_and_b32_sdwa v3, v9, s4 dst_sel:DWORD dst_unused:UNUSED_PAD src0_sel:WORD_1 src1_sel:DWORD
	s_movk_i32 s4, 0x7f
	v_cmp_lt_i16_e32 vcc, s4, v3
	s_mov_b64 s[4:5], 0
                                        ; implicit-def: $sgpr10
	s_and_saveexec_b64 s[6:7], vcc
	s_xor_b64 s[6:7], exec, s[6:7]
	s_cbranch_execnz .LBB7_2545
; %bb.497:
	s_or_saveexec_b64 s[6:7], s[6:7]
	v_mov_b32_e32 v2, s10
	s_xor_b64 exec, exec, s[6:7]
	s_cbranch_execnz .LBB7_2548
.LBB7_498:
	s_or_b64 exec, exec, s[6:7]
	s_and_saveexec_b64 s[6:7], s[4:5]
	s_cbranch_execz .LBB7_500
.LBB7_499:
	v_bfe_u32 v2, v9, 16, 3
	v_ffbh_u32_e32 v6, v2
	v_min_u32_e32 v6, 32, v6
	v_lshrrev_b32_e32 v3, 19, v9
	v_subrev_u32_e32 v7, 28, v6
	v_and_b32_e32 v3, 15, v3
	v_lshlrev_b32_sdwa v7, v7, v9 dst_sel:DWORD dst_unused:UNUSED_PAD src0_sel:DWORD src1_sel:WORD_1
	v_bfe_u32 v4, v9, 19, 4
	v_sub_u32_e32 v6, 29, v6
	v_and_b32_e32 v7, 7, v7
	v_cmp_eq_u16_e32 vcc, 0, v3
	v_cndmask_b32_e32 v2, v2, v7, vcc
	v_cndmask_b32_e32 v3, v4, v6, vcc
	v_lshlrev_b32_e32 v4, 8, v9
	v_mov_b32_e32 v6, 0x3b800000
	v_lshlrev_b32_e32 v2, 20, v2
	v_and_b32_e32 v4, 0x80000000, v4
	v_lshl_add_u32 v3, v3, 23, v6
	v_or3_b32 v2, v4, v3, v2
.LBB7_500:
	s_or_b64 exec, exec, s[6:7]
	s_movk_i32 s4, 0xff
	v_and_b32_sdwa v3, v5, s4 dst_sel:DWORD dst_unused:UNUSED_PAD src0_sel:WORD_1 src1_sel:DWORD
	s_movk_i32 s4, 0x7f
	v_cmp_lt_i16_e32 vcc, s4, v3
	s_mov_b64 s[4:5], 0
                                        ; implicit-def: $sgpr10
	s_and_saveexec_b64 s[6:7], vcc
	s_xor_b64 s[6:7], exec, s[6:7]
	s_cbranch_execnz .LBB7_2549
; %bb.501:
	s_or_saveexec_b64 s[6:7], s[6:7]
	v_mov_b32_e32 v4, s10
	s_xor_b64 exec, exec, s[6:7]
	s_cbranch_execnz .LBB7_2552
.LBB7_502:
	s_or_b64 exec, exec, s[6:7]
	s_and_saveexec_b64 s[6:7], s[4:5]
	s_cbranch_execz .LBB7_504
.LBB7_503:
	v_bfe_u32 v3, v5, 16, 3
	v_ffbh_u32_e32 v7, v3
	v_min_u32_e32 v7, 32, v7
	v_lshrrev_b32_e32 v4, 19, v5
	v_subrev_u32_e32 v8, 28, v7
	v_and_b32_e32 v4, 15, v4
	v_lshlrev_b32_sdwa v8, v8, v5 dst_sel:DWORD dst_unused:UNUSED_PAD src0_sel:DWORD src1_sel:WORD_1
	v_bfe_u32 v6, v5, 19, 4
	v_sub_u32_e32 v7, 29, v7
	v_and_b32_e32 v8, 7, v8
	v_cmp_eq_u16_e32 vcc, 0, v4
	v_cndmask_b32_e32 v3, v3, v8, vcc
	v_cndmask_b32_e32 v4, v6, v7, vcc
	v_lshlrev_b32_e32 v6, 8, v5
	v_mov_b32_e32 v7, 0x3b800000
	v_lshlrev_b32_e32 v3, 20, v3
	v_and_b32_e32 v6, 0x80000000, v6
	v_lshl_add_u32 v4, v4, 23, v7
	v_or3_b32 v4, v6, v4, v3
.LBB7_504:
	s_or_b64 exec, exec, s[6:7]
	s_nop 0
	v_mfma_f32_16x16x4f32 a[0:3], v2, v4, a[0:3]
	s_movk_i32 s4, 0x7f
	v_cmp_gt_i16_sdwa s[6:7], v9, s4 src0_sel:BYTE_3 src1_sel:DWORD
	s_mov_b64 s[4:5], 0
                                        ; implicit-def: $sgpr10
	s_and_saveexec_b64 s[8:9], s[6:7]
	s_xor_b64 s[6:7], exec, s[8:9]
	s_cbranch_execnz .LBB7_2553
; %bb.505:
	s_or_saveexec_b64 s[6:7], s[6:7]
	v_mov_b32_e32 v2, s10
	s_xor_b64 exec, exec, s[6:7]
	s_cbranch_execnz .LBB7_2556
.LBB7_506:
	s_or_b64 exec, exec, s[6:7]
	s_and_saveexec_b64 s[6:7], s[4:5]
	s_cbranch_execz .LBB7_508
.LBB7_507:
	v_bfe_u32 v2, v9, 24, 3
	v_ffbh_u32_e32 v7, v2
	v_min_u32_e32 v7, 32, v7
	v_lshrrev_b32_e32 v4, 27, v9
	v_subrev_u32_e32 v8, 28, v7
	v_and_b32_e32 v4, 15, v4
	v_lshlrev_b32_sdwa v8, v8, v9 dst_sel:DWORD dst_unused:UNUSED_PAD src0_sel:DWORD src1_sel:BYTE_3
	v_bfe_u32 v6, v9, 27, 4
	v_sub_u32_e32 v7, 29, v7
	v_and_b32_e32 v8, 7, v8
	v_cmp_eq_u16_e32 vcc, 0, v4
	v_cndmask_b32_e32 v2, v2, v8, vcc
	v_cndmask_b32_e32 v4, v6, v7, vcc
	v_mov_b32_e32 v6, 0x3b800000
	v_and_b32_e32 v3, 0x80000000, v9
	v_lshlrev_b32_e32 v2, 20, v2
	v_lshl_add_u32 v4, v4, 23, v6
	v_or3_b32 v2, v3, v4, v2
.LBB7_508:
	s_or_b64 exec, exec, s[6:7]
	s_movk_i32 s4, 0x7f
	v_cmp_gt_i16_sdwa s[6:7], v5, s4 src0_sel:BYTE_3 src1_sel:DWORD
	s_mov_b64 s[4:5], 0
                                        ; implicit-def: $sgpr10
	s_and_saveexec_b64 s[8:9], s[6:7]
	s_xor_b64 s[6:7], exec, s[8:9]
	s_cbranch_execnz .LBB7_2557
; %bb.509:
	s_or_saveexec_b64 s[6:7], s[6:7]
	v_mov_b32_e32 v3, s10
	s_xor_b64 exec, exec, s[6:7]
	s_cbranch_execnz .LBB7_2560
.LBB7_510:
	s_or_b64 exec, exec, s[6:7]
	s_and_saveexec_b64 s[6:7], s[4:5]
	s_cbranch_execz .LBB7_512
.LBB7_511:
	v_bfe_u32 v3, v5, 24, 3
	v_ffbh_u32_e32 v8, v3
	v_min_u32_e32 v8, 32, v8
	v_lshrrev_b32_e32 v6, 27, v5
	v_subrev_u32_e32 v9, 28, v8
	v_and_b32_e32 v4, 0x80000000, v5
	v_and_b32_e32 v6, 15, v6
	v_bfe_u32 v7, v5, 27, 4
	v_lshlrev_b32_sdwa v5, v9, v5 dst_sel:DWORD dst_unused:UNUSED_PAD src0_sel:DWORD src1_sel:BYTE_3
	v_sub_u32_e32 v8, 29, v8
	v_and_b32_e32 v5, 7, v5
	v_cmp_eq_u16_e32 vcc, 0, v6
	v_cndmask_b32_e32 v3, v3, v5, vcc
	v_cndmask_b32_e32 v5, v7, v8, vcc
	v_mov_b32_e32 v6, 0x3b800000
	v_lshlrev_b32_e32 v3, 20, v3
	v_lshl_add_u32 v5, v5, 23, v6
	v_or3_b32 v3, v4, v5, v3
.LBB7_512:
	s_or_b64 exec, exec, s[6:7]
	s_nop 0
	v_mfma_f32_16x16x4f32 a[0:3], v2, v3, a[0:3]
	s_movk_i32 s4, 0x7f
                                        ; implicit-def: $sgpr10
	s_nop 7
	s_nop 1
	flat_store_dwordx4 v[18:19], a[0:3] offset:656
	flat_load_dwordx4 v[20:23], v[0:1] offset:16
	s_nop 0
	flat_load_dwordx2 v[18:19], v[0:1] offset:32
	s_waitcnt vmcnt(0) lgkmcnt(0)
	flat_load_dwordx4 v[14:17], v[20:21] offset:32
	flat_load_dwordx4 v[6:9], v[20:21] offset:48
	;; [unrolled: 1-line block ×4, first 2 shown]
	s_waitcnt vmcnt(0) lgkmcnt(0)
	v_cmp_gt_i16_sdwa s[6:7], v14, s4 src0_sel:BYTE_0 src1_sel:DWORD
	s_mov_b64 s[4:5], 0
	s_and_saveexec_b64 s[8:9], s[6:7]
	s_xor_b64 s[6:7], exec, s[8:9]
	s_cbranch_execnz .LBB7_2561
; %bb.513:
	s_or_saveexec_b64 s[6:7], s[6:7]
	v_mov_b32_e32 v20, s10
	s_xor_b64 exec, exec, s[6:7]
	s_cbranch_execnz .LBB7_2564
.LBB7_514:
	s_or_b64 exec, exec, s[6:7]
	s_and_saveexec_b64 s[6:7], s[4:5]
	s_cbranch_execz .LBB7_516
.LBB7_515:
	v_and_b32_e32 v20, 7, v14
	v_ffbh_u32_e32 v22, v20
	v_min_u32_e32 v22, 32, v22
	v_lshrrev_b16_e32 v21, 3, v14
	v_subrev_u32_e32 v23, 28, v22
	v_and_b32_e32 v21, 15, v21
	v_lshlrev_b32_e32 v23, v23, v14
	v_sub_u32_e32 v22, 29, v22
	v_and_b32_e32 v23, 7, v23
	v_cmp_eq_u16_e32 vcc, 0, v21
	v_cndmask_b32_e32 v20, v20, v23, vcc
	v_cndmask_b32_e32 v21, v21, v22, vcc
	v_lshlrev_b32_e32 v22, 24, v14
	v_mov_b32_e32 v23, 0x3b800000
	v_lshlrev_b32_e32 v20, 20, v20
	v_and_b32_e32 v22, 0x80000000, v22
	v_lshl_add_u32 v21, v21, 23, v23
	v_or3_b32 v20, v22, v21, v20
.LBB7_516:
	s_or_b64 exec, exec, s[6:7]
	s_movk_i32 s4, 0x7f
	v_cmp_gt_i16_sdwa s[6:7], v10, s4 src0_sel:BYTE_0 src1_sel:DWORD
	s_mov_b64 s[4:5], 0
                                        ; implicit-def: $sgpr10
	s_and_saveexec_b64 s[8:9], s[6:7]
	s_xor_b64 s[6:7], exec, s[8:9]
	s_cbranch_execnz .LBB7_2565
; %bb.517:
	s_or_saveexec_b64 s[6:7], s[6:7]
	v_mov_b32_e32 v21, s10
	s_xor_b64 exec, exec, s[6:7]
	s_cbranch_execnz .LBB7_2568
.LBB7_518:
	s_or_b64 exec, exec, s[6:7]
	s_and_saveexec_b64 s[6:7], s[4:5]
	s_cbranch_execz .LBB7_520
.LBB7_519:
	v_and_b32_e32 v21, 7, v10
	v_ffbh_u32_e32 v23, v21
	v_min_u32_e32 v23, 32, v23
	v_lshrrev_b16_e32 v22, 3, v10
	v_subrev_u32_e32 v24, 28, v23
	v_and_b32_e32 v22, 15, v22
	v_lshlrev_b32_e32 v24, v24, v10
	v_sub_u32_e32 v23, 29, v23
	v_and_b32_e32 v24, 7, v24
	v_cmp_eq_u16_e32 vcc, 0, v22
	v_cndmask_b32_e32 v21, v21, v24, vcc
	v_cndmask_b32_e32 v22, v22, v23, vcc
	v_lshlrev_b32_e32 v23, 24, v10
	v_mov_b32_e32 v24, 0x3b800000
	v_lshlrev_b32_e32 v21, 20, v21
	v_and_b32_e32 v23, 0x80000000, v23
	v_lshl_add_u32 v22, v22, 23, v24
	v_or3_b32 v21, v23, v22, v21
.LBB7_520:
	s_or_b64 exec, exec, s[6:7]
	flat_load_dwordx4 a[0:3], v[18:19] offset:672
	s_movk_i32 s4, 0x7f
                                        ; implicit-def: $sgpr10
	s_waitcnt vmcnt(0) lgkmcnt(0)
	v_mfma_f32_16x16x4f32 a[0:3], v20, v21, a[0:3]
	v_lshrrev_b32_e32 v21, 8, v14
	v_cmp_gt_i16_sdwa s[6:7], v21, s4 src0_sel:BYTE_0 src1_sel:DWORD
	s_mov_b64 s[4:5], 0
	s_and_saveexec_b64 s[8:9], s[6:7]
	s_xor_b64 s[6:7], exec, s[8:9]
	s_cbranch_execnz .LBB7_2569
; %bb.521:
	s_or_saveexec_b64 s[6:7], s[6:7]
	v_mov_b32_e32 v20, s10
	s_xor_b64 exec, exec, s[6:7]
	s_cbranch_execnz .LBB7_2572
.LBB7_522:
	s_or_b64 exec, exec, s[6:7]
	s_and_saveexec_b64 s[6:7], s[4:5]
	s_cbranch_execz .LBB7_524
.LBB7_523:
	v_bfe_u32 v20, v14, 8, 3
	v_ffbh_u32_e32 v23, v20
	v_min_u32_e32 v23, 32, v23
	v_lshrrev_b16_e32 v22, 3, v21
	v_subrev_u32_e32 v24, 28, v23
	v_and_b32_e32 v22, 15, v22
	v_lshlrev_b32_e32 v21, v24, v21
	v_sub_u32_e32 v23, 29, v23
	v_and_b32_e32 v21, 7, v21
	v_cmp_eq_u16_e32 vcc, 0, v22
	v_cndmask_b32_e32 v20, v20, v21, vcc
	v_cndmask_b32_e32 v21, v22, v23, vcc
	v_lshlrev_b32_e32 v22, 16, v14
	v_mov_b32_e32 v23, 0x3b800000
	v_lshlrev_b32_e32 v20, 20, v20
	v_and_b32_e32 v22, 0x80000000, v22
	v_lshl_add_u32 v21, v21, 23, v23
	v_or3_b32 v20, v22, v21, v20
.LBB7_524:
	s_or_b64 exec, exec, s[6:7]
	v_lshrrev_b32_e32 v21, 8, v10
	s_movk_i32 s4, 0x7f
	v_cmp_gt_i16_sdwa s[6:7], v21, s4 src0_sel:BYTE_0 src1_sel:DWORD
	s_mov_b64 s[4:5], 0
                                        ; implicit-def: $sgpr10
	s_and_saveexec_b64 s[8:9], s[6:7]
	s_xor_b64 s[6:7], exec, s[8:9]
	s_cbranch_execnz .LBB7_2573
; %bb.525:
	s_or_saveexec_b64 s[6:7], s[6:7]
	v_mov_b32_e32 v22, s10
	s_xor_b64 exec, exec, s[6:7]
	s_cbranch_execnz .LBB7_2576
.LBB7_526:
	s_or_b64 exec, exec, s[6:7]
	s_and_saveexec_b64 s[6:7], s[4:5]
	s_cbranch_execz .LBB7_528
.LBB7_527:
	v_bfe_u32 v22, v10, 8, 3
	v_ffbh_u32_e32 v24, v22
	v_min_u32_e32 v24, 32, v24
	v_lshrrev_b16_e32 v23, 3, v21
	v_subrev_u32_e32 v25, 28, v24
	v_and_b32_e32 v23, 15, v23
	v_lshlrev_b32_e32 v21, v25, v21
	v_sub_u32_e32 v24, 29, v24
	v_and_b32_e32 v21, 7, v21
	v_cmp_eq_u16_e32 vcc, 0, v23
	v_cndmask_b32_e32 v21, v22, v21, vcc
	v_cndmask_b32_e32 v22, v23, v24, vcc
	v_lshlrev_b32_e32 v23, 16, v10
	v_mov_b32_e32 v24, 0x3b800000
	v_lshlrev_b32_e32 v21, 20, v21
	v_and_b32_e32 v23, 0x80000000, v23
	v_lshl_add_u32 v22, v22, 23, v24
	v_or3_b32 v22, v23, v22, v21
.LBB7_528:
	s_or_b64 exec, exec, s[6:7]
	s_nop 0
	v_mfma_f32_16x16x4f32 a[0:3], v20, v22, a[0:3]
	s_movk_i32 s4, 0xff
	v_and_b32_sdwa v21, v14, s4 dst_sel:DWORD dst_unused:UNUSED_PAD src0_sel:WORD_1 src1_sel:DWORD
	s_movk_i32 s4, 0x7f
	v_cmp_lt_i16_e32 vcc, s4, v21
	s_mov_b64 s[4:5], 0
                                        ; implicit-def: $sgpr10
	s_and_saveexec_b64 s[6:7], vcc
	s_xor_b64 s[6:7], exec, s[6:7]
	s_cbranch_execnz .LBB7_2577
; %bb.529:
	s_or_saveexec_b64 s[6:7], s[6:7]
	v_mov_b32_e32 v20, s10
	s_xor_b64 exec, exec, s[6:7]
	s_cbranch_execnz .LBB7_2580
.LBB7_530:
	s_or_b64 exec, exec, s[6:7]
	s_and_saveexec_b64 s[6:7], s[4:5]
	s_cbranch_execz .LBB7_532
.LBB7_531:
	v_bfe_u32 v20, v14, 16, 3
	v_ffbh_u32_e32 v23, v20
	v_min_u32_e32 v23, 32, v23
	v_lshrrev_b32_e32 v21, 19, v14
	v_subrev_u32_e32 v24, 28, v23
	v_and_b32_e32 v21, 15, v21
	v_lshlrev_b32_sdwa v24, v24, v14 dst_sel:DWORD dst_unused:UNUSED_PAD src0_sel:DWORD src1_sel:WORD_1
	v_bfe_u32 v22, v14, 19, 4
	v_sub_u32_e32 v23, 29, v23
	v_and_b32_e32 v24, 7, v24
	v_cmp_eq_u16_e32 vcc, 0, v21
	v_cndmask_b32_e32 v20, v20, v24, vcc
	v_cndmask_b32_e32 v21, v22, v23, vcc
	v_lshlrev_b32_e32 v22, 8, v14
	v_mov_b32_e32 v23, 0x3b800000
	v_lshlrev_b32_e32 v20, 20, v20
	v_and_b32_e32 v22, 0x80000000, v22
	v_lshl_add_u32 v21, v21, 23, v23
	v_or3_b32 v20, v22, v21, v20
.LBB7_532:
	s_or_b64 exec, exec, s[6:7]
	s_movk_i32 s4, 0xff
	v_and_b32_sdwa v21, v10, s4 dst_sel:DWORD dst_unused:UNUSED_PAD src0_sel:WORD_1 src1_sel:DWORD
	s_movk_i32 s4, 0x7f
	v_cmp_lt_i16_e32 vcc, s4, v21
	s_mov_b64 s[4:5], 0
                                        ; implicit-def: $sgpr10
	s_and_saveexec_b64 s[6:7], vcc
	s_xor_b64 s[6:7], exec, s[6:7]
	s_cbranch_execnz .LBB7_2581
; %bb.533:
	s_or_saveexec_b64 s[6:7], s[6:7]
	v_mov_b32_e32 v22, s10
	s_xor_b64 exec, exec, s[6:7]
	s_cbranch_execnz .LBB7_2584
.LBB7_534:
	s_or_b64 exec, exec, s[6:7]
	s_and_saveexec_b64 s[6:7], s[4:5]
	s_cbranch_execz .LBB7_536
.LBB7_535:
	v_bfe_u32 v21, v10, 16, 3
	v_ffbh_u32_e32 v24, v21
	v_min_u32_e32 v24, 32, v24
	v_lshrrev_b32_e32 v22, 19, v10
	v_subrev_u32_e32 v25, 28, v24
	v_and_b32_e32 v22, 15, v22
	v_lshlrev_b32_sdwa v25, v25, v10 dst_sel:DWORD dst_unused:UNUSED_PAD src0_sel:DWORD src1_sel:WORD_1
	v_bfe_u32 v23, v10, 19, 4
	v_sub_u32_e32 v24, 29, v24
	v_and_b32_e32 v25, 7, v25
	v_cmp_eq_u16_e32 vcc, 0, v22
	v_cndmask_b32_e32 v21, v21, v25, vcc
	v_cndmask_b32_e32 v22, v23, v24, vcc
	v_lshlrev_b32_e32 v23, 8, v10
	v_mov_b32_e32 v24, 0x3b800000
	v_lshlrev_b32_e32 v21, 20, v21
	v_and_b32_e32 v23, 0x80000000, v23
	v_lshl_add_u32 v22, v22, 23, v24
	v_or3_b32 v22, v23, v22, v21
.LBB7_536:
	s_or_b64 exec, exec, s[6:7]
	s_nop 0
	v_mfma_f32_16x16x4f32 a[0:3], v20, v22, a[0:3]
	s_movk_i32 s4, 0x7f
	v_cmp_gt_i16_sdwa s[6:7], v14, s4 src0_sel:BYTE_3 src1_sel:DWORD
	s_mov_b64 s[4:5], 0
                                        ; implicit-def: $sgpr10
	s_and_saveexec_b64 s[8:9], s[6:7]
	s_xor_b64 s[6:7], exec, s[8:9]
	s_cbranch_execnz .LBB7_2585
; %bb.537:
	s_or_saveexec_b64 s[6:7], s[6:7]
	v_mov_b32_e32 v20, s10
	s_xor_b64 exec, exec, s[6:7]
	s_cbranch_execnz .LBB7_2588
.LBB7_538:
	s_or_b64 exec, exec, s[6:7]
	s_and_saveexec_b64 s[6:7], s[4:5]
	s_cbranch_execz .LBB7_540
.LBB7_539:
	v_bfe_u32 v20, v14, 24, 3
	v_ffbh_u32_e32 v24, v20
	v_min_u32_e32 v24, 32, v24
	v_lshrrev_b32_e32 v22, 27, v14
	v_subrev_u32_e32 v25, 28, v24
	v_and_b32_e32 v21, 0x80000000, v14
	v_and_b32_e32 v22, 15, v22
	v_bfe_u32 v23, v14, 27, 4
	v_lshlrev_b32_sdwa v14, v25, v14 dst_sel:DWORD dst_unused:UNUSED_PAD src0_sel:DWORD src1_sel:BYTE_3
	v_sub_u32_e32 v24, 29, v24
	v_and_b32_e32 v14, 7, v14
	v_cmp_eq_u16_e32 vcc, 0, v22
	v_cndmask_b32_e32 v14, v20, v14, vcc
	v_cndmask_b32_e32 v20, v23, v24, vcc
	v_mov_b32_e32 v22, 0x3b800000
	v_lshlrev_b32_e32 v14, 20, v14
	v_lshl_add_u32 v20, v20, 23, v22
	v_or3_b32 v20, v21, v20, v14
.LBB7_540:
	s_or_b64 exec, exec, s[6:7]
	s_movk_i32 s4, 0x7f
	v_cmp_gt_i16_sdwa s[6:7], v10, s4 src0_sel:BYTE_3 src1_sel:DWORD
	s_mov_b64 s[4:5], 0
                                        ; implicit-def: $sgpr10
	s_and_saveexec_b64 s[8:9], s[6:7]
	s_xor_b64 s[6:7], exec, s[8:9]
	s_cbranch_execnz .LBB7_2589
; %bb.541:
	s_or_saveexec_b64 s[6:7], s[6:7]
	v_mov_b32_e32 v14, s10
	s_xor_b64 exec, exec, s[6:7]
	s_cbranch_execnz .LBB7_2592
.LBB7_542:
	s_or_b64 exec, exec, s[6:7]
	s_and_saveexec_b64 s[6:7], s[4:5]
	s_cbranch_execz .LBB7_544
.LBB7_543:
	v_bfe_u32 v14, v10, 24, 3
	v_ffbh_u32_e32 v24, v14
	v_min_u32_e32 v24, 32, v24
	v_lshrrev_b32_e32 v22, 27, v10
	v_subrev_u32_e32 v25, 28, v24
	v_and_b32_e32 v21, 0x80000000, v10
	v_and_b32_e32 v22, 15, v22
	v_bfe_u32 v23, v10, 27, 4
	v_lshlrev_b32_sdwa v10, v25, v10 dst_sel:DWORD dst_unused:UNUSED_PAD src0_sel:DWORD src1_sel:BYTE_3
	v_sub_u32_e32 v24, 29, v24
	v_and_b32_e32 v10, 7, v10
	v_cmp_eq_u16_e32 vcc, 0, v22
	v_cndmask_b32_e32 v10, v14, v10, vcc
	v_cndmask_b32_e32 v14, v23, v24, vcc
	v_mov_b32_e32 v22, 0x3b800000
	v_lshlrev_b32_e32 v10, 20, v10
	v_lshl_add_u32 v14, v14, 23, v22
	v_or3_b32 v14, v21, v14, v10
.LBB7_544:
	s_or_b64 exec, exec, s[6:7]
	s_nop 0
	v_mfma_f32_16x16x4f32 a[0:3], v20, v14, a[0:3]
	s_movk_i32 s4, 0x7f
	v_cmp_gt_i16_sdwa s[6:7], v15, s4 src0_sel:BYTE_0 src1_sel:DWORD
	s_mov_b64 s[4:5], 0
                                        ; implicit-def: $sgpr10
	s_and_saveexec_b64 s[8:9], s[6:7]
	s_xor_b64 s[6:7], exec, s[8:9]
	s_cbranch_execnz .LBB7_2593
; %bb.545:
	s_or_saveexec_b64 s[6:7], s[6:7]
	v_mov_b32_e32 v10, s10
	s_xor_b64 exec, exec, s[6:7]
	s_cbranch_execnz .LBB7_2596
.LBB7_546:
	s_or_b64 exec, exec, s[6:7]
	s_and_saveexec_b64 s[6:7], s[4:5]
	s_cbranch_execz .LBB7_548
.LBB7_547:
	v_and_b32_e32 v10, 7, v15
	v_ffbh_u32_e32 v20, v10
	v_min_u32_e32 v20, 32, v20
	v_lshrrev_b16_e32 v14, 3, v15
	v_subrev_u32_e32 v21, 28, v20
	v_and_b32_e32 v14, 15, v14
	v_lshlrev_b32_e32 v21, v21, v15
	v_sub_u32_e32 v20, 29, v20
	v_and_b32_e32 v21, 7, v21
	v_cmp_eq_u16_e32 vcc, 0, v14
	v_cndmask_b32_e32 v10, v10, v21, vcc
	v_cndmask_b32_e32 v14, v14, v20, vcc
	v_lshlrev_b32_e32 v20, 24, v15
	v_mov_b32_e32 v21, 0x3b800000
	v_lshlrev_b32_e32 v10, 20, v10
	v_and_b32_e32 v20, 0x80000000, v20
	v_lshl_add_u32 v14, v14, 23, v21
	v_or3_b32 v10, v20, v14, v10
.LBB7_548:
	s_or_b64 exec, exec, s[6:7]
	s_movk_i32 s4, 0x7f
	v_cmp_gt_i16_sdwa s[6:7], v11, s4 src0_sel:BYTE_0 src1_sel:DWORD
	s_mov_b64 s[4:5], 0
                                        ; implicit-def: $sgpr10
	s_and_saveexec_b64 s[8:9], s[6:7]
	s_xor_b64 s[6:7], exec, s[8:9]
	s_cbranch_execnz .LBB7_2597
; %bb.549:
	s_or_saveexec_b64 s[6:7], s[6:7]
	v_mov_b32_e32 v14, s10
	s_xor_b64 exec, exec, s[6:7]
	s_cbranch_execnz .LBB7_2600
.LBB7_550:
	s_or_b64 exec, exec, s[6:7]
	s_and_saveexec_b64 s[6:7], s[4:5]
	s_cbranch_execz .LBB7_552
.LBB7_551:
	v_and_b32_e32 v14, 7, v11
	v_ffbh_u32_e32 v21, v14
	v_min_u32_e32 v21, 32, v21
	v_lshrrev_b16_e32 v20, 3, v11
	v_subrev_u32_e32 v22, 28, v21
	v_and_b32_e32 v20, 15, v20
	v_lshlrev_b32_e32 v22, v22, v11
	v_sub_u32_e32 v21, 29, v21
	v_and_b32_e32 v22, 7, v22
	v_cmp_eq_u16_e32 vcc, 0, v20
	v_cndmask_b32_e32 v14, v14, v22, vcc
	v_cndmask_b32_e32 v20, v20, v21, vcc
	v_lshlrev_b32_e32 v21, 24, v11
	v_mov_b32_e32 v22, 0x3b800000
	v_lshlrev_b32_e32 v14, 20, v14
	v_and_b32_e32 v21, 0x80000000, v21
	v_lshl_add_u32 v20, v20, 23, v22
	v_or3_b32 v14, v21, v20, v14
.LBB7_552:
	s_or_b64 exec, exec, s[6:7]
	s_nop 0
	v_mfma_f32_16x16x4f32 a[0:3], v10, v14, a[0:3]
	v_lshrrev_b32_e32 v14, 8, v15
	s_movk_i32 s4, 0x7f
	v_cmp_gt_i16_sdwa s[6:7], v14, s4 src0_sel:BYTE_0 src1_sel:DWORD
	s_mov_b64 s[4:5], 0
                                        ; implicit-def: $sgpr10
	s_and_saveexec_b64 s[8:9], s[6:7]
	s_xor_b64 s[6:7], exec, s[8:9]
	s_cbranch_execnz .LBB7_2601
; %bb.553:
	s_or_saveexec_b64 s[6:7], s[6:7]
	v_mov_b32_e32 v10, s10
	s_xor_b64 exec, exec, s[6:7]
	s_cbranch_execnz .LBB7_2604
.LBB7_554:
	s_or_b64 exec, exec, s[6:7]
	s_and_saveexec_b64 s[6:7], s[4:5]
	s_cbranch_execz .LBB7_556
.LBB7_555:
	v_bfe_u32 v10, v15, 8, 3
	v_ffbh_u32_e32 v21, v10
	v_min_u32_e32 v21, 32, v21
	v_lshrrev_b16_e32 v20, 3, v14
	v_subrev_u32_e32 v22, 28, v21
	v_and_b32_e32 v20, 15, v20
	v_lshlrev_b32_e32 v14, v22, v14
	v_sub_u32_e32 v21, 29, v21
	v_and_b32_e32 v14, 7, v14
	v_cmp_eq_u16_e32 vcc, 0, v20
	v_cndmask_b32_e32 v10, v10, v14, vcc
	v_cndmask_b32_e32 v14, v20, v21, vcc
	v_lshlrev_b32_e32 v20, 16, v15
	v_mov_b32_e32 v21, 0x3b800000
	v_lshlrev_b32_e32 v10, 20, v10
	v_and_b32_e32 v20, 0x80000000, v20
	v_lshl_add_u32 v14, v14, 23, v21
	v_or3_b32 v10, v20, v14, v10
.LBB7_556:
	s_or_b64 exec, exec, s[6:7]
	v_lshrrev_b32_e32 v14, 8, v11
	s_movk_i32 s4, 0x7f
	v_cmp_gt_i16_sdwa s[6:7], v14, s4 src0_sel:BYTE_0 src1_sel:DWORD
	s_mov_b64 s[4:5], 0
                                        ; implicit-def: $sgpr10
	s_and_saveexec_b64 s[8:9], s[6:7]
	s_xor_b64 s[6:7], exec, s[8:9]
	s_cbranch_execnz .LBB7_2605
; %bb.557:
	s_or_saveexec_b64 s[6:7], s[6:7]
	v_mov_b32_e32 v20, s10
	s_xor_b64 exec, exec, s[6:7]
	s_cbranch_execnz .LBB7_2608
.LBB7_558:
	s_or_b64 exec, exec, s[6:7]
	s_and_saveexec_b64 s[6:7], s[4:5]
	s_cbranch_execz .LBB7_560
.LBB7_559:
	v_bfe_u32 v20, v11, 8, 3
	v_ffbh_u32_e32 v22, v20
	v_min_u32_e32 v22, 32, v22
	v_lshrrev_b16_e32 v21, 3, v14
	v_subrev_u32_e32 v23, 28, v22
	v_and_b32_e32 v21, 15, v21
	v_lshlrev_b32_e32 v14, v23, v14
	v_sub_u32_e32 v22, 29, v22
	v_and_b32_e32 v14, 7, v14
	v_cmp_eq_u16_e32 vcc, 0, v21
	v_cndmask_b32_e32 v14, v20, v14, vcc
	v_cndmask_b32_e32 v20, v21, v22, vcc
	v_lshlrev_b32_e32 v21, 16, v11
	v_mov_b32_e32 v22, 0x3b800000
	v_lshlrev_b32_e32 v14, 20, v14
	v_and_b32_e32 v21, 0x80000000, v21
	v_lshl_add_u32 v20, v20, 23, v22
	v_or3_b32 v20, v21, v20, v14
.LBB7_560:
	s_or_b64 exec, exec, s[6:7]
	s_nop 0
	v_mfma_f32_16x16x4f32 a[0:3], v10, v20, a[0:3]
	s_movk_i32 s4, 0xff
	v_and_b32_sdwa v14, v15, s4 dst_sel:DWORD dst_unused:UNUSED_PAD src0_sel:WORD_1 src1_sel:DWORD
	s_movk_i32 s4, 0x7f
	v_cmp_lt_i16_e32 vcc, s4, v14
	s_mov_b64 s[4:5], 0
                                        ; implicit-def: $sgpr10
	s_and_saveexec_b64 s[6:7], vcc
	s_xor_b64 s[6:7], exec, s[6:7]
	s_cbranch_execnz .LBB7_2609
; %bb.561:
	s_or_saveexec_b64 s[6:7], s[6:7]
	v_mov_b32_e32 v10, s10
	s_xor_b64 exec, exec, s[6:7]
	s_cbranch_execnz .LBB7_2612
.LBB7_562:
	s_or_b64 exec, exec, s[6:7]
	s_and_saveexec_b64 s[6:7], s[4:5]
	s_cbranch_execz .LBB7_564
.LBB7_563:
	v_bfe_u32 v10, v15, 16, 3
	v_ffbh_u32_e32 v21, v10
	v_min_u32_e32 v21, 32, v21
	v_lshrrev_b32_e32 v14, 19, v15
	v_subrev_u32_e32 v22, 28, v21
	v_and_b32_e32 v14, 15, v14
	v_lshlrev_b32_sdwa v22, v22, v15 dst_sel:DWORD dst_unused:UNUSED_PAD src0_sel:DWORD src1_sel:WORD_1
	v_bfe_u32 v20, v15, 19, 4
	v_sub_u32_e32 v21, 29, v21
	v_and_b32_e32 v22, 7, v22
	v_cmp_eq_u16_e32 vcc, 0, v14
	v_cndmask_b32_e32 v10, v10, v22, vcc
	v_cndmask_b32_e32 v14, v20, v21, vcc
	v_lshlrev_b32_e32 v20, 8, v15
	v_mov_b32_e32 v21, 0x3b800000
	v_lshlrev_b32_e32 v10, 20, v10
	v_and_b32_e32 v20, 0x80000000, v20
	v_lshl_add_u32 v14, v14, 23, v21
	v_or3_b32 v10, v20, v14, v10
.LBB7_564:
	s_or_b64 exec, exec, s[6:7]
	s_movk_i32 s4, 0xff
	v_and_b32_sdwa v14, v11, s4 dst_sel:DWORD dst_unused:UNUSED_PAD src0_sel:WORD_1 src1_sel:DWORD
	s_movk_i32 s4, 0x7f
	v_cmp_lt_i16_e32 vcc, s4, v14
	s_mov_b64 s[4:5], 0
                                        ; implicit-def: $sgpr10
	s_and_saveexec_b64 s[6:7], vcc
	s_xor_b64 s[6:7], exec, s[6:7]
	s_cbranch_execnz .LBB7_2613
; %bb.565:
	s_or_saveexec_b64 s[6:7], s[6:7]
	v_mov_b32_e32 v20, s10
	s_xor_b64 exec, exec, s[6:7]
	s_cbranch_execnz .LBB7_2616
.LBB7_566:
	s_or_b64 exec, exec, s[6:7]
	s_and_saveexec_b64 s[6:7], s[4:5]
	s_cbranch_execz .LBB7_568
.LBB7_567:
	v_bfe_u32 v14, v11, 16, 3
	v_ffbh_u32_e32 v22, v14
	v_min_u32_e32 v22, 32, v22
	v_lshrrev_b32_e32 v20, 19, v11
	v_subrev_u32_e32 v23, 28, v22
	v_and_b32_e32 v20, 15, v20
	v_lshlrev_b32_sdwa v23, v23, v11 dst_sel:DWORD dst_unused:UNUSED_PAD src0_sel:DWORD src1_sel:WORD_1
	v_bfe_u32 v21, v11, 19, 4
	v_sub_u32_e32 v22, 29, v22
	v_and_b32_e32 v23, 7, v23
	v_cmp_eq_u16_e32 vcc, 0, v20
	v_cndmask_b32_e32 v14, v14, v23, vcc
	v_cndmask_b32_e32 v20, v21, v22, vcc
	v_lshlrev_b32_e32 v21, 8, v11
	v_mov_b32_e32 v22, 0x3b800000
	v_lshlrev_b32_e32 v14, 20, v14
	v_and_b32_e32 v21, 0x80000000, v21
	v_lshl_add_u32 v20, v20, 23, v22
	v_or3_b32 v20, v21, v20, v14
.LBB7_568:
	s_or_b64 exec, exec, s[6:7]
	s_nop 0
	v_mfma_f32_16x16x4f32 a[0:3], v10, v20, a[0:3]
	s_movk_i32 s4, 0x7f
	v_cmp_gt_i16_sdwa s[6:7], v15, s4 src0_sel:BYTE_3 src1_sel:DWORD
	s_mov_b64 s[4:5], 0
                                        ; implicit-def: $sgpr10
	s_and_saveexec_b64 s[8:9], s[6:7]
	s_xor_b64 s[6:7], exec, s[8:9]
	s_cbranch_execnz .LBB7_2617
; %bb.569:
	s_or_saveexec_b64 s[6:7], s[6:7]
	v_mov_b32_e32 v10, s10
	s_xor_b64 exec, exec, s[6:7]
	s_cbranch_execnz .LBB7_2620
.LBB7_570:
	s_or_b64 exec, exec, s[6:7]
	s_and_saveexec_b64 s[6:7], s[4:5]
	s_cbranch_execz .LBB7_572
.LBB7_571:
	v_bfe_u32 v10, v15, 24, 3
	v_ffbh_u32_e32 v22, v10
	v_min_u32_e32 v22, 32, v22
	v_lshrrev_b32_e32 v20, 27, v15
	v_subrev_u32_e32 v23, 28, v22
	v_and_b32_e32 v14, 0x80000000, v15
	v_and_b32_e32 v20, 15, v20
	v_bfe_u32 v21, v15, 27, 4
	v_lshlrev_b32_sdwa v15, v23, v15 dst_sel:DWORD dst_unused:UNUSED_PAD src0_sel:DWORD src1_sel:BYTE_3
	v_sub_u32_e32 v22, 29, v22
	v_and_b32_e32 v15, 7, v15
	v_cmp_eq_u16_e32 vcc, 0, v20
	v_cndmask_b32_e32 v10, v10, v15, vcc
	v_cndmask_b32_e32 v15, v21, v22, vcc
	v_mov_b32_e32 v20, 0x3b800000
	v_lshlrev_b32_e32 v10, 20, v10
	v_lshl_add_u32 v15, v15, 23, v20
	v_or3_b32 v10, v14, v15, v10
.LBB7_572:
	s_or_b64 exec, exec, s[6:7]
	s_movk_i32 s4, 0x7f
	v_cmp_gt_i16_sdwa s[6:7], v11, s4 src0_sel:BYTE_3 src1_sel:DWORD
	s_mov_b64 s[4:5], 0
                                        ; implicit-def: $sgpr10
	s_and_saveexec_b64 s[8:9], s[6:7]
	s_xor_b64 s[6:7], exec, s[8:9]
	s_cbranch_execnz .LBB7_2621
; %bb.573:
	s_or_saveexec_b64 s[6:7], s[6:7]
	v_mov_b32_e32 v14, s10
	s_xor_b64 exec, exec, s[6:7]
	s_cbranch_execnz .LBB7_2624
.LBB7_574:
	s_or_b64 exec, exec, s[6:7]
	s_and_saveexec_b64 s[6:7], s[4:5]
	s_cbranch_execz .LBB7_576
.LBB7_575:
	v_bfe_u32 v14, v11, 24, 3
	v_ffbh_u32_e32 v22, v14
	v_min_u32_e32 v22, 32, v22
	v_lshrrev_b32_e32 v20, 27, v11
	v_subrev_u32_e32 v23, 28, v22
	v_and_b32_e32 v15, 0x80000000, v11
	v_and_b32_e32 v20, 15, v20
	v_bfe_u32 v21, v11, 27, 4
	v_lshlrev_b32_sdwa v11, v23, v11 dst_sel:DWORD dst_unused:UNUSED_PAD src0_sel:DWORD src1_sel:BYTE_3
	v_sub_u32_e32 v22, 29, v22
	v_and_b32_e32 v11, 7, v11
	v_cmp_eq_u16_e32 vcc, 0, v20
	v_cndmask_b32_e32 v11, v14, v11, vcc
	v_cndmask_b32_e32 v14, v21, v22, vcc
	v_mov_b32_e32 v20, 0x3b800000
	v_lshlrev_b32_e32 v11, 20, v11
	v_lshl_add_u32 v14, v14, 23, v20
	v_or3_b32 v14, v15, v14, v11
.LBB7_576:
	s_or_b64 exec, exec, s[6:7]
	s_nop 0
	v_mfma_f32_16x16x4f32 a[0:3], v10, v14, a[0:3]
	s_movk_i32 s4, 0x7f
	v_cmp_gt_i16_sdwa s[6:7], v16, s4 src0_sel:BYTE_0 src1_sel:DWORD
	s_mov_b64 s[4:5], 0
                                        ; implicit-def: $sgpr10
	s_and_saveexec_b64 s[8:9], s[6:7]
	s_xor_b64 s[6:7], exec, s[8:9]
	s_cbranch_execnz .LBB7_2625
; %bb.577:
	s_or_saveexec_b64 s[6:7], s[6:7]
	v_mov_b32_e32 v10, s10
	s_xor_b64 exec, exec, s[6:7]
	s_cbranch_execnz .LBB7_2628
.LBB7_578:
	s_or_b64 exec, exec, s[6:7]
	s_and_saveexec_b64 s[6:7], s[4:5]
	s_cbranch_execz .LBB7_580
.LBB7_579:
	v_and_b32_e32 v10, 7, v16
	v_ffbh_u32_e32 v14, v10
	v_min_u32_e32 v14, 32, v14
	v_lshrrev_b16_e32 v11, 3, v16
	v_subrev_u32_e32 v15, 28, v14
	v_and_b32_e32 v11, 15, v11
	v_lshlrev_b32_e32 v15, v15, v16
	v_sub_u32_e32 v14, 29, v14
	v_and_b32_e32 v15, 7, v15
	v_cmp_eq_u16_e32 vcc, 0, v11
	v_cndmask_b32_e32 v10, v10, v15, vcc
	v_cndmask_b32_e32 v11, v11, v14, vcc
	v_lshlrev_b32_e32 v14, 24, v16
	v_mov_b32_e32 v15, 0x3b800000
	v_lshlrev_b32_e32 v10, 20, v10
	v_and_b32_e32 v14, 0x80000000, v14
	v_lshl_add_u32 v11, v11, 23, v15
	v_or3_b32 v10, v14, v11, v10
.LBB7_580:
	s_or_b64 exec, exec, s[6:7]
	s_movk_i32 s4, 0x7f
	v_cmp_gt_i16_sdwa s[6:7], v12, s4 src0_sel:BYTE_0 src1_sel:DWORD
	s_mov_b64 s[4:5], 0
                                        ; implicit-def: $sgpr10
	s_and_saveexec_b64 s[8:9], s[6:7]
	s_xor_b64 s[6:7], exec, s[8:9]
	s_cbranch_execnz .LBB7_2629
; %bb.581:
	s_or_saveexec_b64 s[6:7], s[6:7]
	v_mov_b32_e32 v11, s10
	s_xor_b64 exec, exec, s[6:7]
	s_cbranch_execnz .LBB7_2632
.LBB7_582:
	s_or_b64 exec, exec, s[6:7]
	s_and_saveexec_b64 s[6:7], s[4:5]
	s_cbranch_execz .LBB7_584
.LBB7_583:
	v_and_b32_e32 v11, 7, v12
	v_ffbh_u32_e32 v15, v11
	v_min_u32_e32 v15, 32, v15
	v_lshrrev_b16_e32 v14, 3, v12
	v_subrev_u32_e32 v20, 28, v15
	v_and_b32_e32 v14, 15, v14
	v_lshlrev_b32_e32 v20, v20, v12
	v_sub_u32_e32 v15, 29, v15
	v_and_b32_e32 v20, 7, v20
	v_cmp_eq_u16_e32 vcc, 0, v14
	v_cndmask_b32_e32 v11, v11, v20, vcc
	v_cndmask_b32_e32 v14, v14, v15, vcc
	v_lshlrev_b32_e32 v15, 24, v12
	v_mov_b32_e32 v20, 0x3b800000
	v_lshlrev_b32_e32 v11, 20, v11
	v_and_b32_e32 v15, 0x80000000, v15
	v_lshl_add_u32 v14, v14, 23, v20
	v_or3_b32 v11, v15, v14, v11
.LBB7_584:
	s_or_b64 exec, exec, s[6:7]
	s_nop 0
	v_mfma_f32_16x16x4f32 a[0:3], v10, v11, a[0:3]
	v_lshrrev_b32_e32 v11, 8, v16
	s_movk_i32 s4, 0x7f
	v_cmp_gt_i16_sdwa s[6:7], v11, s4 src0_sel:BYTE_0 src1_sel:DWORD
	s_mov_b64 s[4:5], 0
                                        ; implicit-def: $sgpr10
	s_and_saveexec_b64 s[8:9], s[6:7]
	s_xor_b64 s[6:7], exec, s[8:9]
	s_cbranch_execnz .LBB7_2633
; %bb.585:
	s_or_saveexec_b64 s[6:7], s[6:7]
	v_mov_b32_e32 v10, s10
	s_xor_b64 exec, exec, s[6:7]
	s_cbranch_execnz .LBB7_2636
.LBB7_586:
	s_or_b64 exec, exec, s[6:7]
	s_and_saveexec_b64 s[6:7], s[4:5]
	s_cbranch_execz .LBB7_588
.LBB7_587:
	v_bfe_u32 v10, v16, 8, 3
	v_ffbh_u32_e32 v15, v10
	v_min_u32_e32 v15, 32, v15
	v_lshrrev_b16_e32 v14, 3, v11
	v_subrev_u32_e32 v20, 28, v15
	v_and_b32_e32 v14, 15, v14
	v_lshlrev_b32_e32 v11, v20, v11
	v_sub_u32_e32 v15, 29, v15
	v_and_b32_e32 v11, 7, v11
	v_cmp_eq_u16_e32 vcc, 0, v14
	v_cndmask_b32_e32 v10, v10, v11, vcc
	v_cndmask_b32_e32 v11, v14, v15, vcc
	v_lshlrev_b32_e32 v14, 16, v16
	v_mov_b32_e32 v15, 0x3b800000
	v_lshlrev_b32_e32 v10, 20, v10
	v_and_b32_e32 v14, 0x80000000, v14
	v_lshl_add_u32 v11, v11, 23, v15
	v_or3_b32 v10, v14, v11, v10
.LBB7_588:
	s_or_b64 exec, exec, s[6:7]
	v_lshrrev_b32_e32 v11, 8, v12
	s_movk_i32 s4, 0x7f
	v_cmp_gt_i16_sdwa s[6:7], v11, s4 src0_sel:BYTE_0 src1_sel:DWORD
	s_mov_b64 s[4:5], 0
                                        ; implicit-def: $sgpr10
	s_and_saveexec_b64 s[8:9], s[6:7]
	s_xor_b64 s[6:7], exec, s[8:9]
	s_cbranch_execnz .LBB7_2637
; %bb.589:
	s_or_saveexec_b64 s[6:7], s[6:7]
	v_mov_b32_e32 v14, s10
	s_xor_b64 exec, exec, s[6:7]
	s_cbranch_execnz .LBB7_2640
.LBB7_590:
	s_or_b64 exec, exec, s[6:7]
	s_and_saveexec_b64 s[6:7], s[4:5]
	s_cbranch_execz .LBB7_592
.LBB7_591:
	v_bfe_u32 v14, v12, 8, 3
	v_ffbh_u32_e32 v20, v14
	v_min_u32_e32 v20, 32, v20
	v_lshrrev_b16_e32 v15, 3, v11
	v_subrev_u32_e32 v21, 28, v20
	v_and_b32_e32 v15, 15, v15
	v_lshlrev_b32_e32 v11, v21, v11
	v_sub_u32_e32 v20, 29, v20
	v_and_b32_e32 v11, 7, v11
	v_cmp_eq_u16_e32 vcc, 0, v15
	v_cndmask_b32_e32 v11, v14, v11, vcc
	v_cndmask_b32_e32 v14, v15, v20, vcc
	v_lshlrev_b32_e32 v15, 16, v12
	v_mov_b32_e32 v20, 0x3b800000
	v_lshlrev_b32_e32 v11, 20, v11
	v_and_b32_e32 v15, 0x80000000, v15
	v_lshl_add_u32 v14, v14, 23, v20
	v_or3_b32 v14, v15, v14, v11
.LBB7_592:
	s_or_b64 exec, exec, s[6:7]
	s_nop 0
	v_mfma_f32_16x16x4f32 a[0:3], v10, v14, a[0:3]
	s_movk_i32 s4, 0xff
	v_and_b32_sdwa v11, v16, s4 dst_sel:DWORD dst_unused:UNUSED_PAD src0_sel:WORD_1 src1_sel:DWORD
	s_movk_i32 s4, 0x7f
	v_cmp_lt_i16_e32 vcc, s4, v11
	s_mov_b64 s[4:5], 0
                                        ; implicit-def: $sgpr10
	s_and_saveexec_b64 s[6:7], vcc
	s_xor_b64 s[6:7], exec, s[6:7]
	s_cbranch_execnz .LBB7_2641
; %bb.593:
	s_or_saveexec_b64 s[6:7], s[6:7]
	v_mov_b32_e32 v10, s10
	s_xor_b64 exec, exec, s[6:7]
	s_cbranch_execnz .LBB7_2644
.LBB7_594:
	s_or_b64 exec, exec, s[6:7]
	s_and_saveexec_b64 s[6:7], s[4:5]
	s_cbranch_execz .LBB7_596
.LBB7_595:
	v_bfe_u32 v10, v16, 16, 3
	v_ffbh_u32_e32 v15, v10
	v_min_u32_e32 v15, 32, v15
	v_lshrrev_b32_e32 v11, 19, v16
	v_subrev_u32_e32 v20, 28, v15
	v_and_b32_e32 v11, 15, v11
	v_lshlrev_b32_sdwa v20, v20, v16 dst_sel:DWORD dst_unused:UNUSED_PAD src0_sel:DWORD src1_sel:WORD_1
	v_bfe_u32 v14, v16, 19, 4
	v_sub_u32_e32 v15, 29, v15
	v_and_b32_e32 v20, 7, v20
	v_cmp_eq_u16_e32 vcc, 0, v11
	v_cndmask_b32_e32 v10, v10, v20, vcc
	v_cndmask_b32_e32 v11, v14, v15, vcc
	v_lshlrev_b32_e32 v14, 8, v16
	v_mov_b32_e32 v15, 0x3b800000
	v_lshlrev_b32_e32 v10, 20, v10
	v_and_b32_e32 v14, 0x80000000, v14
	v_lshl_add_u32 v11, v11, 23, v15
	v_or3_b32 v10, v14, v11, v10
.LBB7_596:
	s_or_b64 exec, exec, s[6:7]
	s_movk_i32 s4, 0xff
	v_and_b32_sdwa v11, v12, s4 dst_sel:DWORD dst_unused:UNUSED_PAD src0_sel:WORD_1 src1_sel:DWORD
	s_movk_i32 s4, 0x7f
	v_cmp_lt_i16_e32 vcc, s4, v11
	s_mov_b64 s[4:5], 0
                                        ; implicit-def: $sgpr10
	s_and_saveexec_b64 s[6:7], vcc
	s_xor_b64 s[6:7], exec, s[6:7]
	s_cbranch_execnz .LBB7_2645
; %bb.597:
	s_or_saveexec_b64 s[6:7], s[6:7]
	v_mov_b32_e32 v14, s10
	s_xor_b64 exec, exec, s[6:7]
	s_cbranch_execnz .LBB7_2648
.LBB7_598:
	s_or_b64 exec, exec, s[6:7]
	s_and_saveexec_b64 s[6:7], s[4:5]
	s_cbranch_execz .LBB7_600
.LBB7_599:
	v_bfe_u32 v11, v12, 16, 3
	v_ffbh_u32_e32 v20, v11
	v_min_u32_e32 v20, 32, v20
	v_lshrrev_b32_e32 v14, 19, v12
	v_subrev_u32_e32 v21, 28, v20
	v_and_b32_e32 v14, 15, v14
	v_lshlrev_b32_sdwa v21, v21, v12 dst_sel:DWORD dst_unused:UNUSED_PAD src0_sel:DWORD src1_sel:WORD_1
	v_bfe_u32 v15, v12, 19, 4
	v_sub_u32_e32 v20, 29, v20
	v_and_b32_e32 v21, 7, v21
	v_cmp_eq_u16_e32 vcc, 0, v14
	v_cndmask_b32_e32 v11, v11, v21, vcc
	v_cndmask_b32_e32 v14, v15, v20, vcc
	v_lshlrev_b32_e32 v15, 8, v12
	v_mov_b32_e32 v20, 0x3b800000
	v_lshlrev_b32_e32 v11, 20, v11
	v_and_b32_e32 v15, 0x80000000, v15
	v_lshl_add_u32 v14, v14, 23, v20
	v_or3_b32 v14, v15, v14, v11
.LBB7_600:
	s_or_b64 exec, exec, s[6:7]
	s_nop 0
	v_mfma_f32_16x16x4f32 a[0:3], v10, v14, a[0:3]
	s_movk_i32 s4, 0x7f
	v_cmp_gt_i16_sdwa s[6:7], v16, s4 src0_sel:BYTE_3 src1_sel:DWORD
	s_mov_b64 s[4:5], 0
                                        ; implicit-def: $sgpr10
	s_and_saveexec_b64 s[8:9], s[6:7]
	s_xor_b64 s[6:7], exec, s[8:9]
	s_cbranch_execnz .LBB7_2649
; %bb.601:
	s_or_saveexec_b64 s[6:7], s[6:7]
	v_mov_b32_e32 v10, s10
	s_xor_b64 exec, exec, s[6:7]
	s_cbranch_execnz .LBB7_2652
.LBB7_602:
	s_or_b64 exec, exec, s[6:7]
	s_and_saveexec_b64 s[6:7], s[4:5]
	s_cbranch_execz .LBB7_604
.LBB7_603:
	v_bfe_u32 v10, v16, 24, 3
	v_ffbh_u32_e32 v20, v10
	v_min_u32_e32 v20, 32, v20
	v_lshrrev_b32_e32 v14, 27, v16
	v_subrev_u32_e32 v21, 28, v20
	v_and_b32_e32 v11, 0x80000000, v16
	v_and_b32_e32 v14, 15, v14
	v_bfe_u32 v15, v16, 27, 4
	v_lshlrev_b32_sdwa v16, v21, v16 dst_sel:DWORD dst_unused:UNUSED_PAD src0_sel:DWORD src1_sel:BYTE_3
	v_sub_u32_e32 v20, 29, v20
	v_and_b32_e32 v16, 7, v16
	v_cmp_eq_u16_e32 vcc, 0, v14
	v_cndmask_b32_e32 v10, v10, v16, vcc
	v_cndmask_b32_e32 v14, v15, v20, vcc
	v_mov_b32_e32 v15, 0x3b800000
	v_lshlrev_b32_e32 v10, 20, v10
	v_lshl_add_u32 v14, v14, 23, v15
	v_or3_b32 v10, v11, v14, v10
.LBB7_604:
	s_or_b64 exec, exec, s[6:7]
	s_movk_i32 s4, 0x7f
	v_cmp_gt_i16_sdwa s[6:7], v12, s4 src0_sel:BYTE_3 src1_sel:DWORD
	s_mov_b64 s[4:5], 0
                                        ; implicit-def: $sgpr10
	s_and_saveexec_b64 s[8:9], s[6:7]
	s_xor_b64 s[6:7], exec, s[8:9]
	s_cbranch_execnz .LBB7_2653
; %bb.605:
	s_or_saveexec_b64 s[6:7], s[6:7]
	v_mov_b32_e32 v11, s10
	s_xor_b64 exec, exec, s[6:7]
	s_cbranch_execnz .LBB7_2656
.LBB7_606:
	s_or_b64 exec, exec, s[6:7]
	s_and_saveexec_b64 s[6:7], s[4:5]
	s_cbranch_execz .LBB7_608
.LBB7_607:
	v_bfe_u32 v11, v12, 24, 3
	v_ffbh_u32_e32 v20, v11
	v_min_u32_e32 v20, 32, v20
	v_lshrrev_b32_e32 v15, 27, v12
	v_subrev_u32_e32 v21, 28, v20
	v_and_b32_e32 v14, 0x80000000, v12
	v_and_b32_e32 v15, 15, v15
	v_bfe_u32 v16, v12, 27, 4
	v_lshlrev_b32_sdwa v12, v21, v12 dst_sel:DWORD dst_unused:UNUSED_PAD src0_sel:DWORD src1_sel:BYTE_3
	v_sub_u32_e32 v20, 29, v20
	v_and_b32_e32 v12, 7, v12
	v_cmp_eq_u16_e32 vcc, 0, v15
	v_cndmask_b32_e32 v11, v11, v12, vcc
	v_cndmask_b32_e32 v12, v16, v20, vcc
	v_mov_b32_e32 v15, 0x3b800000
	v_lshlrev_b32_e32 v11, 20, v11
	v_lshl_add_u32 v12, v12, 23, v15
	v_or3_b32 v11, v14, v12, v11
.LBB7_608:
	s_or_b64 exec, exec, s[6:7]
	s_nop 0
	v_mfma_f32_16x16x4f32 a[0:3], v10, v11, a[0:3]
	s_movk_i32 s4, 0x7f
	v_cmp_gt_i16_sdwa s[6:7], v17, s4 src0_sel:BYTE_0 src1_sel:DWORD
	s_mov_b64 s[4:5], 0
                                        ; implicit-def: $sgpr10
	s_and_saveexec_b64 s[8:9], s[6:7]
	s_xor_b64 s[6:7], exec, s[8:9]
	s_cbranch_execnz .LBB7_2657
; %bb.609:
	s_or_saveexec_b64 s[6:7], s[6:7]
	v_mov_b32_e32 v10, s10
	s_xor_b64 exec, exec, s[6:7]
	s_cbranch_execnz .LBB7_2660
.LBB7_610:
	s_or_b64 exec, exec, s[6:7]
	s_and_saveexec_b64 s[6:7], s[4:5]
	s_cbranch_execz .LBB7_612
.LBB7_611:
	v_and_b32_e32 v10, 7, v17
	v_ffbh_u32_e32 v12, v10
	v_min_u32_e32 v12, 32, v12
	v_lshrrev_b16_e32 v11, 3, v17
	v_subrev_u32_e32 v14, 28, v12
	v_and_b32_e32 v11, 15, v11
	v_lshlrev_b32_e32 v14, v14, v17
	v_sub_u32_e32 v12, 29, v12
	v_and_b32_e32 v14, 7, v14
	v_cmp_eq_u16_e32 vcc, 0, v11
	v_cndmask_b32_e32 v10, v10, v14, vcc
	v_cndmask_b32_e32 v11, v11, v12, vcc
	v_lshlrev_b32_e32 v12, 24, v17
	v_mov_b32_e32 v14, 0x3b800000
	v_lshlrev_b32_e32 v10, 20, v10
	v_and_b32_e32 v12, 0x80000000, v12
	v_lshl_add_u32 v11, v11, 23, v14
	v_or3_b32 v10, v12, v11, v10
.LBB7_612:
	s_or_b64 exec, exec, s[6:7]
	s_movk_i32 s4, 0x7f
	v_cmp_gt_i16_sdwa s[6:7], v13, s4 src0_sel:BYTE_0 src1_sel:DWORD
	s_mov_b64 s[4:5], 0
                                        ; implicit-def: $sgpr10
	s_and_saveexec_b64 s[8:9], s[6:7]
	s_xor_b64 s[6:7], exec, s[8:9]
	s_cbranch_execnz .LBB7_2661
; %bb.613:
	s_or_saveexec_b64 s[6:7], s[6:7]
	v_mov_b32_e32 v11, s10
	s_xor_b64 exec, exec, s[6:7]
	s_cbranch_execnz .LBB7_2664
.LBB7_614:
	s_or_b64 exec, exec, s[6:7]
	s_and_saveexec_b64 s[6:7], s[4:5]
	s_cbranch_execz .LBB7_616
.LBB7_615:
	v_and_b32_e32 v11, 7, v13
	v_ffbh_u32_e32 v14, v11
	v_min_u32_e32 v14, 32, v14
	v_lshrrev_b16_e32 v12, 3, v13
	v_subrev_u32_e32 v15, 28, v14
	v_and_b32_e32 v12, 15, v12
	v_lshlrev_b32_e32 v15, v15, v13
	v_sub_u32_e32 v14, 29, v14
	v_and_b32_e32 v15, 7, v15
	v_cmp_eq_u16_e32 vcc, 0, v12
	v_cndmask_b32_e32 v11, v11, v15, vcc
	v_cndmask_b32_e32 v12, v12, v14, vcc
	v_lshlrev_b32_e32 v14, 24, v13
	v_mov_b32_e32 v15, 0x3b800000
	v_lshlrev_b32_e32 v11, 20, v11
	v_and_b32_e32 v14, 0x80000000, v14
	v_lshl_add_u32 v12, v12, 23, v15
	v_or3_b32 v11, v14, v12, v11
.LBB7_616:
	s_or_b64 exec, exec, s[6:7]
	s_nop 0
	v_mfma_f32_16x16x4f32 a[0:3], v10, v11, a[0:3]
	v_lshrrev_b32_e32 v11, 8, v17
	s_movk_i32 s4, 0x7f
	v_cmp_gt_i16_sdwa s[6:7], v11, s4 src0_sel:BYTE_0 src1_sel:DWORD
	s_mov_b64 s[4:5], 0
                                        ; implicit-def: $sgpr10
	s_and_saveexec_b64 s[8:9], s[6:7]
	s_xor_b64 s[6:7], exec, s[8:9]
	s_cbranch_execnz .LBB7_2665
; %bb.617:
	s_or_saveexec_b64 s[6:7], s[6:7]
	v_mov_b32_e32 v10, s10
	s_xor_b64 exec, exec, s[6:7]
	s_cbranch_execnz .LBB7_2668
.LBB7_618:
	s_or_b64 exec, exec, s[6:7]
	s_and_saveexec_b64 s[6:7], s[4:5]
	s_cbranch_execz .LBB7_620
.LBB7_619:
	v_bfe_u32 v10, v17, 8, 3
	v_ffbh_u32_e32 v14, v10
	v_min_u32_e32 v14, 32, v14
	v_lshrrev_b16_e32 v12, 3, v11
	v_subrev_u32_e32 v15, 28, v14
	v_and_b32_e32 v12, 15, v12
	v_lshlrev_b32_e32 v11, v15, v11
	v_sub_u32_e32 v14, 29, v14
	v_and_b32_e32 v11, 7, v11
	v_cmp_eq_u16_e32 vcc, 0, v12
	v_cndmask_b32_e32 v10, v10, v11, vcc
	v_cndmask_b32_e32 v11, v12, v14, vcc
	v_lshlrev_b32_e32 v12, 16, v17
	v_mov_b32_e32 v14, 0x3b800000
	v_lshlrev_b32_e32 v10, 20, v10
	v_and_b32_e32 v12, 0x80000000, v12
	v_lshl_add_u32 v11, v11, 23, v14
	v_or3_b32 v10, v12, v11, v10
.LBB7_620:
	s_or_b64 exec, exec, s[6:7]
	v_lshrrev_b32_e32 v11, 8, v13
	s_movk_i32 s4, 0x7f
	v_cmp_gt_i16_sdwa s[6:7], v11, s4 src0_sel:BYTE_0 src1_sel:DWORD
	s_mov_b64 s[4:5], 0
                                        ; implicit-def: $sgpr10
	s_and_saveexec_b64 s[8:9], s[6:7]
	s_xor_b64 s[6:7], exec, s[8:9]
	s_cbranch_execnz .LBB7_2669
; %bb.621:
	s_or_saveexec_b64 s[6:7], s[6:7]
	v_mov_b32_e32 v12, s10
	s_xor_b64 exec, exec, s[6:7]
	s_cbranch_execnz .LBB7_2672
.LBB7_622:
	s_or_b64 exec, exec, s[6:7]
	s_and_saveexec_b64 s[6:7], s[4:5]
	s_cbranch_execz .LBB7_624
.LBB7_623:
	v_bfe_u32 v12, v13, 8, 3
	v_ffbh_u32_e32 v15, v12
	v_min_u32_e32 v15, 32, v15
	v_lshrrev_b16_e32 v14, 3, v11
	v_subrev_u32_e32 v16, 28, v15
	v_and_b32_e32 v14, 15, v14
	v_lshlrev_b32_e32 v11, v16, v11
	v_sub_u32_e32 v15, 29, v15
	v_and_b32_e32 v11, 7, v11
	v_cmp_eq_u16_e32 vcc, 0, v14
	v_cndmask_b32_e32 v11, v12, v11, vcc
	v_cndmask_b32_e32 v12, v14, v15, vcc
	v_lshlrev_b32_e32 v14, 16, v13
	v_mov_b32_e32 v15, 0x3b800000
	v_lshlrev_b32_e32 v11, 20, v11
	v_and_b32_e32 v14, 0x80000000, v14
	v_lshl_add_u32 v12, v12, 23, v15
	v_or3_b32 v12, v14, v12, v11
.LBB7_624:
	s_or_b64 exec, exec, s[6:7]
	s_nop 0
	v_mfma_f32_16x16x4f32 a[0:3], v10, v12, a[0:3]
	s_movk_i32 s4, 0xff
	v_and_b32_sdwa v11, v17, s4 dst_sel:DWORD dst_unused:UNUSED_PAD src0_sel:WORD_1 src1_sel:DWORD
	s_movk_i32 s4, 0x7f
	v_cmp_lt_i16_e32 vcc, s4, v11
	s_mov_b64 s[4:5], 0
                                        ; implicit-def: $sgpr10
	s_and_saveexec_b64 s[6:7], vcc
	s_xor_b64 s[6:7], exec, s[6:7]
	s_cbranch_execnz .LBB7_2673
; %bb.625:
	s_or_saveexec_b64 s[6:7], s[6:7]
	v_mov_b32_e32 v10, s10
	s_xor_b64 exec, exec, s[6:7]
	s_cbranch_execnz .LBB7_2676
.LBB7_626:
	s_or_b64 exec, exec, s[6:7]
	s_and_saveexec_b64 s[6:7], s[4:5]
	s_cbranch_execz .LBB7_628
.LBB7_627:
	v_bfe_u32 v10, v17, 16, 3
	v_ffbh_u32_e32 v14, v10
	v_min_u32_e32 v14, 32, v14
	v_lshrrev_b32_e32 v11, 19, v17
	v_subrev_u32_e32 v15, 28, v14
	v_and_b32_e32 v11, 15, v11
	v_lshlrev_b32_sdwa v15, v15, v17 dst_sel:DWORD dst_unused:UNUSED_PAD src0_sel:DWORD src1_sel:WORD_1
	v_bfe_u32 v12, v17, 19, 4
	v_sub_u32_e32 v14, 29, v14
	v_and_b32_e32 v15, 7, v15
	v_cmp_eq_u16_e32 vcc, 0, v11
	v_cndmask_b32_e32 v10, v10, v15, vcc
	v_cndmask_b32_e32 v11, v12, v14, vcc
	v_lshlrev_b32_e32 v12, 8, v17
	v_mov_b32_e32 v14, 0x3b800000
	v_lshlrev_b32_e32 v10, 20, v10
	v_and_b32_e32 v12, 0x80000000, v12
	v_lshl_add_u32 v11, v11, 23, v14
	v_or3_b32 v10, v12, v11, v10
.LBB7_628:
	s_or_b64 exec, exec, s[6:7]
	s_movk_i32 s4, 0xff
	v_and_b32_sdwa v11, v13, s4 dst_sel:DWORD dst_unused:UNUSED_PAD src0_sel:WORD_1 src1_sel:DWORD
	s_movk_i32 s4, 0x7f
	v_cmp_lt_i16_e32 vcc, s4, v11
	s_mov_b64 s[4:5], 0
                                        ; implicit-def: $sgpr10
	s_and_saveexec_b64 s[6:7], vcc
	s_xor_b64 s[6:7], exec, s[6:7]
	s_cbranch_execnz .LBB7_2677
; %bb.629:
	s_or_saveexec_b64 s[6:7], s[6:7]
	v_mov_b32_e32 v12, s10
	s_xor_b64 exec, exec, s[6:7]
	s_cbranch_execnz .LBB7_2680
.LBB7_630:
	s_or_b64 exec, exec, s[6:7]
	s_and_saveexec_b64 s[6:7], s[4:5]
	s_cbranch_execz .LBB7_632
.LBB7_631:
	v_bfe_u32 v11, v13, 16, 3
	v_ffbh_u32_e32 v15, v11
	v_min_u32_e32 v15, 32, v15
	v_lshrrev_b32_e32 v12, 19, v13
	v_subrev_u32_e32 v16, 28, v15
	v_and_b32_e32 v12, 15, v12
	v_lshlrev_b32_sdwa v16, v16, v13 dst_sel:DWORD dst_unused:UNUSED_PAD src0_sel:DWORD src1_sel:WORD_1
	v_bfe_u32 v14, v13, 19, 4
	v_sub_u32_e32 v15, 29, v15
	v_and_b32_e32 v16, 7, v16
	v_cmp_eq_u16_e32 vcc, 0, v12
	v_cndmask_b32_e32 v11, v11, v16, vcc
	v_cndmask_b32_e32 v12, v14, v15, vcc
	v_lshlrev_b32_e32 v14, 8, v13
	v_mov_b32_e32 v15, 0x3b800000
	v_lshlrev_b32_e32 v11, 20, v11
	v_and_b32_e32 v14, 0x80000000, v14
	v_lshl_add_u32 v12, v12, 23, v15
	v_or3_b32 v12, v14, v12, v11
.LBB7_632:
	s_or_b64 exec, exec, s[6:7]
	s_nop 0
	v_mfma_f32_16x16x4f32 a[0:3], v10, v12, a[0:3]
	s_movk_i32 s4, 0x7f
	v_cmp_gt_i16_sdwa s[6:7], v17, s4 src0_sel:BYTE_3 src1_sel:DWORD
	s_mov_b64 s[4:5], 0
                                        ; implicit-def: $sgpr10
	s_and_saveexec_b64 s[8:9], s[6:7]
	s_xor_b64 s[6:7], exec, s[8:9]
	s_cbranch_execnz .LBB7_2681
; %bb.633:
	s_or_saveexec_b64 s[6:7], s[6:7]
	v_mov_b32_e32 v10, s10
	s_xor_b64 exec, exec, s[6:7]
	s_cbranch_execnz .LBB7_2684
.LBB7_634:
	s_or_b64 exec, exec, s[6:7]
	s_and_saveexec_b64 s[6:7], s[4:5]
	s_cbranch_execz .LBB7_636
.LBB7_635:
	v_bfe_u32 v10, v17, 24, 3
	v_ffbh_u32_e32 v15, v10
	v_min_u32_e32 v15, 32, v15
	v_lshrrev_b32_e32 v12, 27, v17
	v_subrev_u32_e32 v16, 28, v15
	v_and_b32_e32 v12, 15, v12
	v_lshlrev_b32_sdwa v16, v16, v17 dst_sel:DWORD dst_unused:UNUSED_PAD src0_sel:DWORD src1_sel:BYTE_3
	v_bfe_u32 v14, v17, 27, 4
	v_sub_u32_e32 v15, 29, v15
	v_and_b32_e32 v16, 7, v16
	v_cmp_eq_u16_e32 vcc, 0, v12
	v_cndmask_b32_e32 v10, v10, v16, vcc
	v_cndmask_b32_e32 v12, v14, v15, vcc
	v_mov_b32_e32 v14, 0x3b800000
	v_and_b32_e32 v11, 0x80000000, v17
	v_lshlrev_b32_e32 v10, 20, v10
	v_lshl_add_u32 v12, v12, 23, v14
	v_or3_b32 v10, v11, v12, v10
.LBB7_636:
	s_or_b64 exec, exec, s[6:7]
	s_movk_i32 s4, 0x7f
	v_cmp_gt_i16_sdwa s[6:7], v13, s4 src0_sel:BYTE_3 src1_sel:DWORD
	s_mov_b64 s[4:5], 0
                                        ; implicit-def: $sgpr10
	s_and_saveexec_b64 s[8:9], s[6:7]
	s_xor_b64 s[6:7], exec, s[8:9]
	s_cbranch_execnz .LBB7_2685
; %bb.637:
	s_or_saveexec_b64 s[6:7], s[6:7]
	v_mov_b32_e32 v11, s10
	s_xor_b64 exec, exec, s[6:7]
	s_cbranch_execnz .LBB7_2688
.LBB7_638:
	s_or_b64 exec, exec, s[6:7]
	s_and_saveexec_b64 s[6:7], s[4:5]
	s_cbranch_execz .LBB7_640
.LBB7_639:
	v_bfe_u32 v11, v13, 24, 3
	v_ffbh_u32_e32 v16, v11
	v_min_u32_e32 v16, 32, v16
	v_lshrrev_b32_e32 v14, 27, v13
	v_subrev_u32_e32 v17, 28, v16
	v_and_b32_e32 v12, 0x80000000, v13
	v_and_b32_e32 v14, 15, v14
	v_bfe_u32 v15, v13, 27, 4
	v_lshlrev_b32_sdwa v13, v17, v13 dst_sel:DWORD dst_unused:UNUSED_PAD src0_sel:DWORD src1_sel:BYTE_3
	v_sub_u32_e32 v16, 29, v16
	v_and_b32_e32 v13, 7, v13
	v_cmp_eq_u16_e32 vcc, 0, v14
	v_cndmask_b32_e32 v11, v11, v13, vcc
	v_cndmask_b32_e32 v13, v15, v16, vcc
	v_mov_b32_e32 v14, 0x3b800000
	v_lshlrev_b32_e32 v11, 20, v11
	v_lshl_add_u32 v13, v13, 23, v14
	v_or3_b32 v11, v12, v13, v11
.LBB7_640:
	s_or_b64 exec, exec, s[6:7]
	s_nop 0
	v_mfma_f32_16x16x4f32 a[0:3], v10, v11, a[0:3]
	s_movk_i32 s4, 0x7f
	v_cmp_gt_i16_sdwa s[6:7], v6, s4 src0_sel:BYTE_0 src1_sel:DWORD
	s_mov_b64 s[4:5], 0
                                        ; implicit-def: $sgpr10
	s_and_saveexec_b64 s[8:9], s[6:7]
	s_xor_b64 s[6:7], exec, s[8:9]
	s_cbranch_execnz .LBB7_2689
; %bb.641:
	s_or_saveexec_b64 s[6:7], s[6:7]
	v_mov_b32_e32 v10, s10
	s_xor_b64 exec, exec, s[6:7]
	s_cbranch_execnz .LBB7_2692
.LBB7_642:
	s_or_b64 exec, exec, s[6:7]
	s_and_saveexec_b64 s[6:7], s[4:5]
	s_cbranch_execz .LBB7_644
.LBB7_643:
	v_and_b32_e32 v10, 7, v6
	v_ffbh_u32_e32 v12, v10
	v_min_u32_e32 v12, 32, v12
	v_lshrrev_b16_e32 v11, 3, v6
	v_subrev_u32_e32 v13, 28, v12
	v_and_b32_e32 v11, 15, v11
	v_lshlrev_b32_e32 v13, v13, v6
	v_sub_u32_e32 v12, 29, v12
	v_and_b32_e32 v13, 7, v13
	v_cmp_eq_u16_e32 vcc, 0, v11
	v_cndmask_b32_e32 v10, v10, v13, vcc
	v_cndmask_b32_e32 v11, v11, v12, vcc
	v_lshlrev_b32_e32 v12, 24, v6
	v_mov_b32_e32 v13, 0x3b800000
	v_lshlrev_b32_e32 v10, 20, v10
	v_and_b32_e32 v12, 0x80000000, v12
	v_lshl_add_u32 v11, v11, 23, v13
	v_or3_b32 v10, v12, v11, v10
.LBB7_644:
	s_or_b64 exec, exec, s[6:7]
	s_movk_i32 s4, 0x7f
	v_cmp_gt_i16_sdwa s[6:7], v2, s4 src0_sel:BYTE_0 src1_sel:DWORD
	s_mov_b64 s[4:5], 0
                                        ; implicit-def: $sgpr10
	s_and_saveexec_b64 s[8:9], s[6:7]
	s_xor_b64 s[6:7], exec, s[8:9]
	s_cbranch_execnz .LBB7_2693
; %bb.645:
	s_or_saveexec_b64 s[6:7], s[6:7]
	v_mov_b32_e32 v11, s10
	s_xor_b64 exec, exec, s[6:7]
	s_cbranch_execnz .LBB7_2696
.LBB7_646:
	s_or_b64 exec, exec, s[6:7]
	s_and_saveexec_b64 s[6:7], s[4:5]
	s_cbranch_execz .LBB7_648
.LBB7_647:
	v_and_b32_e32 v11, 7, v2
	v_ffbh_u32_e32 v13, v11
	v_min_u32_e32 v13, 32, v13
	v_lshrrev_b16_e32 v12, 3, v2
	v_subrev_u32_e32 v14, 28, v13
	v_and_b32_e32 v12, 15, v12
	v_lshlrev_b32_e32 v14, v14, v2
	v_sub_u32_e32 v13, 29, v13
	v_and_b32_e32 v14, 7, v14
	v_cmp_eq_u16_e32 vcc, 0, v12
	v_cndmask_b32_e32 v11, v11, v14, vcc
	v_cndmask_b32_e32 v12, v12, v13, vcc
	v_lshlrev_b32_e32 v13, 24, v2
	v_mov_b32_e32 v14, 0x3b800000
	v_lshlrev_b32_e32 v11, 20, v11
	v_and_b32_e32 v13, 0x80000000, v13
	v_lshl_add_u32 v12, v12, 23, v14
	v_or3_b32 v11, v13, v12, v11
.LBB7_648:
	s_or_b64 exec, exec, s[6:7]
	s_nop 0
	v_mfma_f32_16x16x4f32 a[0:3], v10, v11, a[0:3]
	v_lshrrev_b32_e32 v11, 8, v6
	s_movk_i32 s4, 0x7f
	v_cmp_gt_i16_sdwa s[6:7], v11, s4 src0_sel:BYTE_0 src1_sel:DWORD
	s_mov_b64 s[4:5], 0
                                        ; implicit-def: $sgpr10
	s_and_saveexec_b64 s[8:9], s[6:7]
	s_xor_b64 s[6:7], exec, s[8:9]
	s_cbranch_execnz .LBB7_2697
; %bb.649:
	s_or_saveexec_b64 s[6:7], s[6:7]
	v_mov_b32_e32 v10, s10
	s_xor_b64 exec, exec, s[6:7]
	s_cbranch_execnz .LBB7_2700
.LBB7_650:
	s_or_b64 exec, exec, s[6:7]
	s_and_saveexec_b64 s[6:7], s[4:5]
	s_cbranch_execz .LBB7_652
.LBB7_651:
	v_bfe_u32 v10, v6, 8, 3
	v_ffbh_u32_e32 v13, v10
	v_min_u32_e32 v13, 32, v13
	v_lshrrev_b16_e32 v12, 3, v11
	v_subrev_u32_e32 v14, 28, v13
	v_and_b32_e32 v12, 15, v12
	v_lshlrev_b32_e32 v11, v14, v11
	v_sub_u32_e32 v13, 29, v13
	v_and_b32_e32 v11, 7, v11
	v_cmp_eq_u16_e32 vcc, 0, v12
	v_cndmask_b32_e32 v10, v10, v11, vcc
	v_cndmask_b32_e32 v11, v12, v13, vcc
	v_lshlrev_b32_e32 v12, 16, v6
	v_mov_b32_e32 v13, 0x3b800000
	v_lshlrev_b32_e32 v10, 20, v10
	v_and_b32_e32 v12, 0x80000000, v12
	v_lshl_add_u32 v11, v11, 23, v13
	v_or3_b32 v10, v12, v11, v10
.LBB7_652:
	s_or_b64 exec, exec, s[6:7]
	v_lshrrev_b32_e32 v11, 8, v2
	s_movk_i32 s4, 0x7f
	v_cmp_gt_i16_sdwa s[6:7], v11, s4 src0_sel:BYTE_0 src1_sel:DWORD
	s_mov_b64 s[4:5], 0
                                        ; implicit-def: $sgpr10
	s_and_saveexec_b64 s[8:9], s[6:7]
	s_xor_b64 s[6:7], exec, s[8:9]
	s_cbranch_execnz .LBB7_2701
; %bb.653:
	s_or_saveexec_b64 s[6:7], s[6:7]
	v_mov_b32_e32 v12, s10
	s_xor_b64 exec, exec, s[6:7]
	s_cbranch_execnz .LBB7_2704
.LBB7_654:
	s_or_b64 exec, exec, s[6:7]
	s_and_saveexec_b64 s[6:7], s[4:5]
	s_cbranch_execz .LBB7_656
.LBB7_655:
	v_bfe_u32 v12, v2, 8, 3
	v_ffbh_u32_e32 v14, v12
	v_min_u32_e32 v14, 32, v14
	v_lshrrev_b16_e32 v13, 3, v11
	v_subrev_u32_e32 v15, 28, v14
	v_and_b32_e32 v13, 15, v13
	v_lshlrev_b32_e32 v11, v15, v11
	v_sub_u32_e32 v14, 29, v14
	v_and_b32_e32 v11, 7, v11
	v_cmp_eq_u16_e32 vcc, 0, v13
	v_cndmask_b32_e32 v11, v12, v11, vcc
	v_cndmask_b32_e32 v12, v13, v14, vcc
	v_lshlrev_b32_e32 v13, 16, v2
	v_mov_b32_e32 v14, 0x3b800000
	v_lshlrev_b32_e32 v11, 20, v11
	v_and_b32_e32 v13, 0x80000000, v13
	v_lshl_add_u32 v12, v12, 23, v14
	v_or3_b32 v12, v13, v12, v11
.LBB7_656:
	s_or_b64 exec, exec, s[6:7]
	s_nop 0
	v_mfma_f32_16x16x4f32 a[0:3], v10, v12, a[0:3]
	s_movk_i32 s4, 0xff
	v_and_b32_sdwa v11, v6, s4 dst_sel:DWORD dst_unused:UNUSED_PAD src0_sel:WORD_1 src1_sel:DWORD
	s_movk_i32 s4, 0x7f
	v_cmp_lt_i16_e32 vcc, s4, v11
	s_mov_b64 s[4:5], 0
                                        ; implicit-def: $sgpr10
	s_and_saveexec_b64 s[6:7], vcc
	s_xor_b64 s[6:7], exec, s[6:7]
	s_cbranch_execnz .LBB7_2705
; %bb.657:
	s_or_saveexec_b64 s[6:7], s[6:7]
	v_mov_b32_e32 v10, s10
	s_xor_b64 exec, exec, s[6:7]
	s_cbranch_execnz .LBB7_2708
.LBB7_658:
	s_or_b64 exec, exec, s[6:7]
	s_and_saveexec_b64 s[6:7], s[4:5]
	s_cbranch_execz .LBB7_660
.LBB7_659:
	v_bfe_u32 v10, v6, 16, 3
	v_ffbh_u32_e32 v13, v10
	v_min_u32_e32 v13, 32, v13
	v_lshrrev_b32_e32 v11, 19, v6
	v_subrev_u32_e32 v14, 28, v13
	v_and_b32_e32 v11, 15, v11
	v_lshlrev_b32_sdwa v14, v14, v6 dst_sel:DWORD dst_unused:UNUSED_PAD src0_sel:DWORD src1_sel:WORD_1
	v_bfe_u32 v12, v6, 19, 4
	v_sub_u32_e32 v13, 29, v13
	v_and_b32_e32 v14, 7, v14
	v_cmp_eq_u16_e32 vcc, 0, v11
	v_cndmask_b32_e32 v10, v10, v14, vcc
	v_cndmask_b32_e32 v11, v12, v13, vcc
	v_lshlrev_b32_e32 v12, 8, v6
	v_mov_b32_e32 v13, 0x3b800000
	v_lshlrev_b32_e32 v10, 20, v10
	v_and_b32_e32 v12, 0x80000000, v12
	v_lshl_add_u32 v11, v11, 23, v13
	v_or3_b32 v10, v12, v11, v10
.LBB7_660:
	s_or_b64 exec, exec, s[6:7]
	s_movk_i32 s4, 0xff
	v_and_b32_sdwa v11, v2, s4 dst_sel:DWORD dst_unused:UNUSED_PAD src0_sel:WORD_1 src1_sel:DWORD
	s_movk_i32 s4, 0x7f
	v_cmp_lt_i16_e32 vcc, s4, v11
	s_mov_b64 s[4:5], 0
                                        ; implicit-def: $sgpr10
	s_and_saveexec_b64 s[6:7], vcc
	s_xor_b64 s[6:7], exec, s[6:7]
	s_cbranch_execnz .LBB7_2709
; %bb.661:
	s_or_saveexec_b64 s[6:7], s[6:7]
	v_mov_b32_e32 v12, s10
	s_xor_b64 exec, exec, s[6:7]
	s_cbranch_execnz .LBB7_2712
.LBB7_662:
	s_or_b64 exec, exec, s[6:7]
	s_and_saveexec_b64 s[6:7], s[4:5]
	s_cbranch_execz .LBB7_664
.LBB7_663:
	v_bfe_u32 v11, v2, 16, 3
	v_ffbh_u32_e32 v14, v11
	v_min_u32_e32 v14, 32, v14
	v_lshrrev_b32_e32 v12, 19, v2
	v_subrev_u32_e32 v15, 28, v14
	v_and_b32_e32 v12, 15, v12
	v_lshlrev_b32_sdwa v15, v15, v2 dst_sel:DWORD dst_unused:UNUSED_PAD src0_sel:DWORD src1_sel:WORD_1
	v_bfe_u32 v13, v2, 19, 4
	v_sub_u32_e32 v14, 29, v14
	v_and_b32_e32 v15, 7, v15
	v_cmp_eq_u16_e32 vcc, 0, v12
	v_cndmask_b32_e32 v11, v11, v15, vcc
	v_cndmask_b32_e32 v12, v13, v14, vcc
	v_lshlrev_b32_e32 v13, 8, v2
	v_mov_b32_e32 v14, 0x3b800000
	v_lshlrev_b32_e32 v11, 20, v11
	v_and_b32_e32 v13, 0x80000000, v13
	v_lshl_add_u32 v12, v12, 23, v14
	v_or3_b32 v12, v13, v12, v11
.LBB7_664:
	s_or_b64 exec, exec, s[6:7]
	s_nop 0
	v_mfma_f32_16x16x4f32 a[0:3], v10, v12, a[0:3]
	s_movk_i32 s4, 0x7f
	v_cmp_gt_i16_sdwa s[6:7], v6, s4 src0_sel:BYTE_3 src1_sel:DWORD
	s_mov_b64 s[4:5], 0
                                        ; implicit-def: $sgpr10
	s_and_saveexec_b64 s[8:9], s[6:7]
	s_xor_b64 s[6:7], exec, s[8:9]
	s_cbranch_execnz .LBB7_2713
; %bb.665:
	s_or_saveexec_b64 s[6:7], s[6:7]
	v_mov_b32_e32 v10, s10
	s_xor_b64 exec, exec, s[6:7]
	s_cbranch_execnz .LBB7_2716
.LBB7_666:
	s_or_b64 exec, exec, s[6:7]
	s_and_saveexec_b64 s[6:7], s[4:5]
	s_cbranch_execz .LBB7_668
.LBB7_667:
	v_bfe_u32 v10, v6, 24, 3
	v_ffbh_u32_e32 v14, v10
	v_min_u32_e32 v14, 32, v14
	v_lshrrev_b32_e32 v12, 27, v6
	v_subrev_u32_e32 v15, 28, v14
	v_and_b32_e32 v11, 0x80000000, v6
	v_and_b32_e32 v12, 15, v12
	v_bfe_u32 v13, v6, 27, 4
	v_lshlrev_b32_sdwa v6, v15, v6 dst_sel:DWORD dst_unused:UNUSED_PAD src0_sel:DWORD src1_sel:BYTE_3
	v_sub_u32_e32 v14, 29, v14
	v_and_b32_e32 v6, 7, v6
	v_cmp_eq_u16_e32 vcc, 0, v12
	v_cndmask_b32_e32 v6, v10, v6, vcc
	v_cndmask_b32_e32 v10, v13, v14, vcc
	v_mov_b32_e32 v12, 0x3b800000
	v_lshlrev_b32_e32 v6, 20, v6
	v_lshl_add_u32 v10, v10, 23, v12
	v_or3_b32 v10, v11, v10, v6
.LBB7_668:
	s_or_b64 exec, exec, s[6:7]
	s_movk_i32 s4, 0x7f
	v_cmp_gt_i16_sdwa s[6:7], v2, s4 src0_sel:BYTE_3 src1_sel:DWORD
	s_mov_b64 s[4:5], 0
                                        ; implicit-def: $sgpr10
	s_and_saveexec_b64 s[8:9], s[6:7]
	s_xor_b64 s[6:7], exec, s[8:9]
	s_cbranch_execnz .LBB7_2717
; %bb.669:
	s_or_saveexec_b64 s[6:7], s[6:7]
	v_mov_b32_e32 v6, s10
	s_xor_b64 exec, exec, s[6:7]
	s_cbranch_execnz .LBB7_2720
.LBB7_670:
	s_or_b64 exec, exec, s[6:7]
	s_and_saveexec_b64 s[6:7], s[4:5]
	s_cbranch_execz .LBB7_672
.LBB7_671:
	v_bfe_u32 v6, v2, 24, 3
	v_ffbh_u32_e32 v14, v6
	v_min_u32_e32 v14, 32, v14
	v_lshrrev_b32_e32 v12, 27, v2
	v_subrev_u32_e32 v15, 28, v14
	v_and_b32_e32 v11, 0x80000000, v2
	v_and_b32_e32 v12, 15, v12
	v_bfe_u32 v13, v2, 27, 4
	v_lshlrev_b32_sdwa v2, v15, v2 dst_sel:DWORD dst_unused:UNUSED_PAD src0_sel:DWORD src1_sel:BYTE_3
	v_sub_u32_e32 v14, 29, v14
	v_and_b32_e32 v2, 7, v2
	v_cmp_eq_u16_e32 vcc, 0, v12
	v_cndmask_b32_e32 v2, v6, v2, vcc
	v_cndmask_b32_e32 v6, v13, v14, vcc
	v_mov_b32_e32 v12, 0x3b800000
	v_lshlrev_b32_e32 v2, 20, v2
	v_lshl_add_u32 v6, v6, 23, v12
	v_or3_b32 v6, v11, v6, v2
.LBB7_672:
	s_or_b64 exec, exec, s[6:7]
	s_nop 0
	v_mfma_f32_16x16x4f32 a[0:3], v10, v6, a[0:3]
	s_movk_i32 s4, 0x7f
	v_cmp_gt_i16_sdwa s[6:7], v7, s4 src0_sel:BYTE_0 src1_sel:DWORD
	s_mov_b64 s[4:5], 0
                                        ; implicit-def: $sgpr10
	s_and_saveexec_b64 s[8:9], s[6:7]
	s_xor_b64 s[6:7], exec, s[8:9]
	s_cbranch_execnz .LBB7_2721
; %bb.673:
	s_or_saveexec_b64 s[6:7], s[6:7]
	v_mov_b32_e32 v2, s10
	s_xor_b64 exec, exec, s[6:7]
	s_cbranch_execnz .LBB7_2724
.LBB7_674:
	s_or_b64 exec, exec, s[6:7]
	s_and_saveexec_b64 s[6:7], s[4:5]
	s_cbranch_execz .LBB7_676
.LBB7_675:
	v_and_b32_e32 v2, 7, v7
	v_ffbh_u32_e32 v10, v2
	v_min_u32_e32 v10, 32, v10
	v_lshrrev_b16_e32 v6, 3, v7
	v_subrev_u32_e32 v11, 28, v10
	v_and_b32_e32 v6, 15, v6
	v_lshlrev_b32_e32 v11, v11, v7
	v_sub_u32_e32 v10, 29, v10
	v_and_b32_e32 v11, 7, v11
	v_cmp_eq_u16_e32 vcc, 0, v6
	v_cndmask_b32_e32 v2, v2, v11, vcc
	v_cndmask_b32_e32 v6, v6, v10, vcc
	v_lshlrev_b32_e32 v10, 24, v7
	v_mov_b32_e32 v11, 0x3b800000
	v_lshlrev_b32_e32 v2, 20, v2
	v_and_b32_e32 v10, 0x80000000, v10
	v_lshl_add_u32 v6, v6, 23, v11
	v_or3_b32 v2, v10, v6, v2
.LBB7_676:
	s_or_b64 exec, exec, s[6:7]
	s_movk_i32 s4, 0x7f
	v_cmp_gt_i16_sdwa s[6:7], v3, s4 src0_sel:BYTE_0 src1_sel:DWORD
	s_mov_b64 s[4:5], 0
                                        ; implicit-def: $sgpr10
	s_and_saveexec_b64 s[8:9], s[6:7]
	s_xor_b64 s[6:7], exec, s[8:9]
	s_cbranch_execnz .LBB7_2725
; %bb.677:
	s_or_saveexec_b64 s[6:7], s[6:7]
	v_mov_b32_e32 v6, s10
	s_xor_b64 exec, exec, s[6:7]
	s_cbranch_execnz .LBB7_2728
.LBB7_678:
	s_or_b64 exec, exec, s[6:7]
	s_and_saveexec_b64 s[6:7], s[4:5]
	s_cbranch_execz .LBB7_680
.LBB7_679:
	v_and_b32_e32 v6, 7, v3
	v_ffbh_u32_e32 v11, v6
	v_min_u32_e32 v11, 32, v11
	v_lshrrev_b16_e32 v10, 3, v3
	v_subrev_u32_e32 v12, 28, v11
	v_and_b32_e32 v10, 15, v10
	v_lshlrev_b32_e32 v12, v12, v3
	v_sub_u32_e32 v11, 29, v11
	v_and_b32_e32 v12, 7, v12
	v_cmp_eq_u16_e32 vcc, 0, v10
	v_cndmask_b32_e32 v6, v6, v12, vcc
	v_cndmask_b32_e32 v10, v10, v11, vcc
	v_lshlrev_b32_e32 v11, 24, v3
	v_mov_b32_e32 v12, 0x3b800000
	v_lshlrev_b32_e32 v6, 20, v6
	v_and_b32_e32 v11, 0x80000000, v11
	v_lshl_add_u32 v10, v10, 23, v12
	v_or3_b32 v6, v11, v10, v6
.LBB7_680:
	s_or_b64 exec, exec, s[6:7]
	s_nop 0
	v_mfma_f32_16x16x4f32 a[0:3], v2, v6, a[0:3]
	v_lshrrev_b32_e32 v6, 8, v7
	s_movk_i32 s4, 0x7f
	v_cmp_gt_i16_sdwa s[6:7], v6, s4 src0_sel:BYTE_0 src1_sel:DWORD
	s_mov_b64 s[4:5], 0
                                        ; implicit-def: $sgpr10
	s_and_saveexec_b64 s[8:9], s[6:7]
	s_xor_b64 s[6:7], exec, s[8:9]
	s_cbranch_execnz .LBB7_2729
; %bb.681:
	s_or_saveexec_b64 s[6:7], s[6:7]
	v_mov_b32_e32 v2, s10
	s_xor_b64 exec, exec, s[6:7]
	s_cbranch_execnz .LBB7_2732
.LBB7_682:
	s_or_b64 exec, exec, s[6:7]
	s_and_saveexec_b64 s[6:7], s[4:5]
	s_cbranch_execz .LBB7_684
.LBB7_683:
	v_bfe_u32 v2, v7, 8, 3
	v_ffbh_u32_e32 v11, v2
	v_min_u32_e32 v11, 32, v11
	v_lshrrev_b16_e32 v10, 3, v6
	v_subrev_u32_e32 v12, 28, v11
	v_and_b32_e32 v10, 15, v10
	v_lshlrev_b32_e32 v6, v12, v6
	v_sub_u32_e32 v11, 29, v11
	v_and_b32_e32 v6, 7, v6
	v_cmp_eq_u16_e32 vcc, 0, v10
	v_cndmask_b32_e32 v2, v2, v6, vcc
	v_cndmask_b32_e32 v6, v10, v11, vcc
	v_lshlrev_b32_e32 v10, 16, v7
	v_mov_b32_e32 v11, 0x3b800000
	v_lshlrev_b32_e32 v2, 20, v2
	v_and_b32_e32 v10, 0x80000000, v10
	v_lshl_add_u32 v6, v6, 23, v11
	v_or3_b32 v2, v10, v6, v2
.LBB7_684:
	s_or_b64 exec, exec, s[6:7]
	v_lshrrev_b32_e32 v6, 8, v3
	s_movk_i32 s4, 0x7f
	v_cmp_gt_i16_sdwa s[6:7], v6, s4 src0_sel:BYTE_0 src1_sel:DWORD
	s_mov_b64 s[4:5], 0
                                        ; implicit-def: $sgpr10
	s_and_saveexec_b64 s[8:9], s[6:7]
	s_xor_b64 s[6:7], exec, s[8:9]
	s_cbranch_execnz .LBB7_2733
; %bb.685:
	s_or_saveexec_b64 s[6:7], s[6:7]
	v_mov_b32_e32 v10, s10
	s_xor_b64 exec, exec, s[6:7]
	s_cbranch_execnz .LBB7_2736
.LBB7_686:
	s_or_b64 exec, exec, s[6:7]
	s_and_saveexec_b64 s[6:7], s[4:5]
	s_cbranch_execz .LBB7_688
.LBB7_687:
	v_bfe_u32 v10, v3, 8, 3
	v_ffbh_u32_e32 v12, v10
	v_min_u32_e32 v12, 32, v12
	v_lshrrev_b16_e32 v11, 3, v6
	v_subrev_u32_e32 v13, 28, v12
	v_and_b32_e32 v11, 15, v11
	v_lshlrev_b32_e32 v6, v13, v6
	v_sub_u32_e32 v12, 29, v12
	v_and_b32_e32 v6, 7, v6
	v_cmp_eq_u16_e32 vcc, 0, v11
	v_cndmask_b32_e32 v6, v10, v6, vcc
	v_cndmask_b32_e32 v10, v11, v12, vcc
	v_lshlrev_b32_e32 v11, 16, v3
	v_mov_b32_e32 v12, 0x3b800000
	v_lshlrev_b32_e32 v6, 20, v6
	v_and_b32_e32 v11, 0x80000000, v11
	v_lshl_add_u32 v10, v10, 23, v12
	v_or3_b32 v10, v11, v10, v6
.LBB7_688:
	s_or_b64 exec, exec, s[6:7]
	s_nop 0
	v_mfma_f32_16x16x4f32 a[0:3], v2, v10, a[0:3]
	s_movk_i32 s4, 0xff
	v_and_b32_sdwa v6, v7, s4 dst_sel:DWORD dst_unused:UNUSED_PAD src0_sel:WORD_1 src1_sel:DWORD
	s_movk_i32 s4, 0x7f
	v_cmp_lt_i16_e32 vcc, s4, v6
	s_mov_b64 s[4:5], 0
                                        ; implicit-def: $sgpr10
	s_and_saveexec_b64 s[6:7], vcc
	s_xor_b64 s[6:7], exec, s[6:7]
	s_cbranch_execnz .LBB7_2737
; %bb.689:
	s_or_saveexec_b64 s[6:7], s[6:7]
	v_mov_b32_e32 v2, s10
	s_xor_b64 exec, exec, s[6:7]
	s_cbranch_execnz .LBB7_2740
.LBB7_690:
	s_or_b64 exec, exec, s[6:7]
	s_and_saveexec_b64 s[6:7], s[4:5]
	s_cbranch_execz .LBB7_692
.LBB7_691:
	v_bfe_u32 v2, v7, 16, 3
	v_ffbh_u32_e32 v11, v2
	v_min_u32_e32 v11, 32, v11
	v_lshrrev_b32_e32 v6, 19, v7
	v_subrev_u32_e32 v12, 28, v11
	v_and_b32_e32 v6, 15, v6
	v_lshlrev_b32_sdwa v12, v12, v7 dst_sel:DWORD dst_unused:UNUSED_PAD src0_sel:DWORD src1_sel:WORD_1
	v_bfe_u32 v10, v7, 19, 4
	v_sub_u32_e32 v11, 29, v11
	v_and_b32_e32 v12, 7, v12
	v_cmp_eq_u16_e32 vcc, 0, v6
	v_cndmask_b32_e32 v2, v2, v12, vcc
	v_cndmask_b32_e32 v6, v10, v11, vcc
	v_lshlrev_b32_e32 v10, 8, v7
	v_mov_b32_e32 v11, 0x3b800000
	v_lshlrev_b32_e32 v2, 20, v2
	v_and_b32_e32 v10, 0x80000000, v10
	v_lshl_add_u32 v6, v6, 23, v11
	v_or3_b32 v2, v10, v6, v2
.LBB7_692:
	s_or_b64 exec, exec, s[6:7]
	s_movk_i32 s4, 0xff
	v_and_b32_sdwa v6, v3, s4 dst_sel:DWORD dst_unused:UNUSED_PAD src0_sel:WORD_1 src1_sel:DWORD
	s_movk_i32 s4, 0x7f
	v_cmp_lt_i16_e32 vcc, s4, v6
	s_mov_b64 s[4:5], 0
                                        ; implicit-def: $sgpr10
	s_and_saveexec_b64 s[6:7], vcc
	s_xor_b64 s[6:7], exec, s[6:7]
	s_cbranch_execnz .LBB7_2741
; %bb.693:
	s_or_saveexec_b64 s[6:7], s[6:7]
	v_mov_b32_e32 v10, s10
	s_xor_b64 exec, exec, s[6:7]
	s_cbranch_execnz .LBB7_2744
.LBB7_694:
	s_or_b64 exec, exec, s[6:7]
	s_and_saveexec_b64 s[6:7], s[4:5]
	s_cbranch_execz .LBB7_696
.LBB7_695:
	v_bfe_u32 v6, v3, 16, 3
	v_ffbh_u32_e32 v12, v6
	v_min_u32_e32 v12, 32, v12
	v_lshrrev_b32_e32 v10, 19, v3
	v_subrev_u32_e32 v13, 28, v12
	v_and_b32_e32 v10, 15, v10
	v_lshlrev_b32_sdwa v13, v13, v3 dst_sel:DWORD dst_unused:UNUSED_PAD src0_sel:DWORD src1_sel:WORD_1
	v_bfe_u32 v11, v3, 19, 4
	v_sub_u32_e32 v12, 29, v12
	v_and_b32_e32 v13, 7, v13
	v_cmp_eq_u16_e32 vcc, 0, v10
	v_cndmask_b32_e32 v6, v6, v13, vcc
	v_cndmask_b32_e32 v10, v11, v12, vcc
	v_lshlrev_b32_e32 v11, 8, v3
	v_mov_b32_e32 v12, 0x3b800000
	v_lshlrev_b32_e32 v6, 20, v6
	v_and_b32_e32 v11, 0x80000000, v11
	v_lshl_add_u32 v10, v10, 23, v12
	v_or3_b32 v10, v11, v10, v6
.LBB7_696:
	s_or_b64 exec, exec, s[6:7]
	s_nop 0
	v_mfma_f32_16x16x4f32 a[0:3], v2, v10, a[0:3]
	s_movk_i32 s4, 0x7f
	v_cmp_gt_i16_sdwa s[6:7], v7, s4 src0_sel:BYTE_3 src1_sel:DWORD
	s_mov_b64 s[4:5], 0
                                        ; implicit-def: $sgpr10
	s_and_saveexec_b64 s[8:9], s[6:7]
	s_xor_b64 s[6:7], exec, s[8:9]
	s_cbranch_execnz .LBB7_2745
; %bb.697:
	s_or_saveexec_b64 s[6:7], s[6:7]
	v_mov_b32_e32 v2, s10
	s_xor_b64 exec, exec, s[6:7]
	s_cbranch_execnz .LBB7_2748
.LBB7_698:
	s_or_b64 exec, exec, s[6:7]
	s_and_saveexec_b64 s[6:7], s[4:5]
	s_cbranch_execz .LBB7_700
.LBB7_699:
	v_bfe_u32 v2, v7, 24, 3
	v_ffbh_u32_e32 v12, v2
	v_min_u32_e32 v12, 32, v12
	v_lshrrev_b32_e32 v10, 27, v7
	v_subrev_u32_e32 v13, 28, v12
	v_and_b32_e32 v6, 0x80000000, v7
	v_and_b32_e32 v10, 15, v10
	v_bfe_u32 v11, v7, 27, 4
	v_lshlrev_b32_sdwa v7, v13, v7 dst_sel:DWORD dst_unused:UNUSED_PAD src0_sel:DWORD src1_sel:BYTE_3
	v_sub_u32_e32 v12, 29, v12
	v_and_b32_e32 v7, 7, v7
	v_cmp_eq_u16_e32 vcc, 0, v10
	v_cndmask_b32_e32 v2, v2, v7, vcc
	v_cndmask_b32_e32 v7, v11, v12, vcc
	v_mov_b32_e32 v10, 0x3b800000
	v_lshlrev_b32_e32 v2, 20, v2
	v_lshl_add_u32 v7, v7, 23, v10
	v_or3_b32 v2, v6, v7, v2
.LBB7_700:
	s_or_b64 exec, exec, s[6:7]
	s_movk_i32 s4, 0x7f
	v_cmp_gt_i16_sdwa s[6:7], v3, s4 src0_sel:BYTE_3 src1_sel:DWORD
	s_mov_b64 s[4:5], 0
                                        ; implicit-def: $sgpr10
	s_and_saveexec_b64 s[8:9], s[6:7]
	s_xor_b64 s[6:7], exec, s[8:9]
	s_cbranch_execnz .LBB7_2749
; %bb.701:
	s_or_saveexec_b64 s[6:7], s[6:7]
	v_mov_b32_e32 v6, s10
	s_xor_b64 exec, exec, s[6:7]
	s_cbranch_execnz .LBB7_2752
.LBB7_702:
	s_or_b64 exec, exec, s[6:7]
	s_and_saveexec_b64 s[6:7], s[4:5]
	s_cbranch_execz .LBB7_704
.LBB7_703:
	v_bfe_u32 v6, v3, 24, 3
	v_ffbh_u32_e32 v12, v6
	v_min_u32_e32 v12, 32, v12
	v_lshrrev_b32_e32 v10, 27, v3
	v_subrev_u32_e32 v13, 28, v12
	v_and_b32_e32 v7, 0x80000000, v3
	v_and_b32_e32 v10, 15, v10
	v_bfe_u32 v11, v3, 27, 4
	v_lshlrev_b32_sdwa v3, v13, v3 dst_sel:DWORD dst_unused:UNUSED_PAD src0_sel:DWORD src1_sel:BYTE_3
	v_sub_u32_e32 v12, 29, v12
	v_and_b32_e32 v3, 7, v3
	v_cmp_eq_u16_e32 vcc, 0, v10
	v_cndmask_b32_e32 v3, v6, v3, vcc
	v_cndmask_b32_e32 v6, v11, v12, vcc
	v_mov_b32_e32 v10, 0x3b800000
	v_lshlrev_b32_e32 v3, 20, v3
	v_lshl_add_u32 v6, v6, 23, v10
	v_or3_b32 v6, v7, v6, v3
.LBB7_704:
	s_or_b64 exec, exec, s[6:7]
	s_nop 0
	v_mfma_f32_16x16x4f32 a[0:3], v2, v6, a[0:3]
	s_movk_i32 s4, 0x7f
	v_cmp_gt_i16_sdwa s[6:7], v8, s4 src0_sel:BYTE_0 src1_sel:DWORD
	s_mov_b64 s[4:5], 0
                                        ; implicit-def: $sgpr10
	s_and_saveexec_b64 s[8:9], s[6:7]
	s_xor_b64 s[6:7], exec, s[8:9]
	s_cbranch_execnz .LBB7_2753
; %bb.705:
	s_or_saveexec_b64 s[6:7], s[6:7]
	v_mov_b32_e32 v2, s10
	s_xor_b64 exec, exec, s[6:7]
	s_cbranch_execnz .LBB7_2756
.LBB7_706:
	s_or_b64 exec, exec, s[6:7]
	s_and_saveexec_b64 s[6:7], s[4:5]
	s_cbranch_execz .LBB7_708
.LBB7_707:
	v_and_b32_e32 v2, 7, v8
	v_ffbh_u32_e32 v6, v2
	v_min_u32_e32 v6, 32, v6
	v_lshrrev_b16_e32 v3, 3, v8
	v_subrev_u32_e32 v7, 28, v6
	v_and_b32_e32 v3, 15, v3
	v_lshlrev_b32_e32 v7, v7, v8
	v_sub_u32_e32 v6, 29, v6
	v_and_b32_e32 v7, 7, v7
	v_cmp_eq_u16_e32 vcc, 0, v3
	v_cndmask_b32_e32 v2, v2, v7, vcc
	v_cndmask_b32_e32 v3, v3, v6, vcc
	v_lshlrev_b32_e32 v6, 24, v8
	v_mov_b32_e32 v7, 0x3b800000
	v_lshlrev_b32_e32 v2, 20, v2
	v_and_b32_e32 v6, 0x80000000, v6
	v_lshl_add_u32 v3, v3, 23, v7
	v_or3_b32 v2, v6, v3, v2
.LBB7_708:
	s_or_b64 exec, exec, s[6:7]
	s_movk_i32 s4, 0x7f
	v_cmp_gt_i16_sdwa s[6:7], v4, s4 src0_sel:BYTE_0 src1_sel:DWORD
	s_mov_b64 s[4:5], 0
                                        ; implicit-def: $sgpr10
	s_and_saveexec_b64 s[8:9], s[6:7]
	s_xor_b64 s[6:7], exec, s[8:9]
	s_cbranch_execnz .LBB7_2757
; %bb.709:
	s_or_saveexec_b64 s[6:7], s[6:7]
	v_mov_b32_e32 v3, s10
	s_xor_b64 exec, exec, s[6:7]
	s_cbranch_execnz .LBB7_2760
.LBB7_710:
	s_or_b64 exec, exec, s[6:7]
	s_and_saveexec_b64 s[6:7], s[4:5]
	s_cbranch_execz .LBB7_712
.LBB7_711:
	v_and_b32_e32 v3, 7, v4
	v_ffbh_u32_e32 v7, v3
	v_min_u32_e32 v7, 32, v7
	v_lshrrev_b16_e32 v6, 3, v4
	v_subrev_u32_e32 v10, 28, v7
	v_and_b32_e32 v6, 15, v6
	v_lshlrev_b32_e32 v10, v10, v4
	v_sub_u32_e32 v7, 29, v7
	v_and_b32_e32 v10, 7, v10
	v_cmp_eq_u16_e32 vcc, 0, v6
	v_cndmask_b32_e32 v3, v3, v10, vcc
	v_cndmask_b32_e32 v6, v6, v7, vcc
	v_lshlrev_b32_e32 v7, 24, v4
	v_mov_b32_e32 v10, 0x3b800000
	v_lshlrev_b32_e32 v3, 20, v3
	v_and_b32_e32 v7, 0x80000000, v7
	v_lshl_add_u32 v6, v6, 23, v10
	v_or3_b32 v3, v7, v6, v3
.LBB7_712:
	s_or_b64 exec, exec, s[6:7]
	s_nop 0
	v_mfma_f32_16x16x4f32 a[0:3], v2, v3, a[0:3]
	v_lshrrev_b32_e32 v3, 8, v8
	s_movk_i32 s4, 0x7f
	v_cmp_gt_i16_sdwa s[6:7], v3, s4 src0_sel:BYTE_0 src1_sel:DWORD
	s_mov_b64 s[4:5], 0
                                        ; implicit-def: $sgpr10
	s_and_saveexec_b64 s[8:9], s[6:7]
	s_xor_b64 s[6:7], exec, s[8:9]
	s_cbranch_execnz .LBB7_2761
; %bb.713:
	s_or_saveexec_b64 s[6:7], s[6:7]
	v_mov_b32_e32 v2, s10
	s_xor_b64 exec, exec, s[6:7]
	s_cbranch_execnz .LBB7_2764
.LBB7_714:
	s_or_b64 exec, exec, s[6:7]
	s_and_saveexec_b64 s[6:7], s[4:5]
	s_cbranch_execz .LBB7_716
.LBB7_715:
	v_bfe_u32 v2, v8, 8, 3
	v_ffbh_u32_e32 v7, v2
	v_min_u32_e32 v7, 32, v7
	v_lshrrev_b16_e32 v6, 3, v3
	v_subrev_u32_e32 v10, 28, v7
	v_and_b32_e32 v6, 15, v6
	v_lshlrev_b32_e32 v3, v10, v3
	v_sub_u32_e32 v7, 29, v7
	v_and_b32_e32 v3, 7, v3
	v_cmp_eq_u16_e32 vcc, 0, v6
	v_cndmask_b32_e32 v2, v2, v3, vcc
	v_cndmask_b32_e32 v3, v6, v7, vcc
	v_lshlrev_b32_e32 v6, 16, v8
	v_mov_b32_e32 v7, 0x3b800000
	v_lshlrev_b32_e32 v2, 20, v2
	v_and_b32_e32 v6, 0x80000000, v6
	v_lshl_add_u32 v3, v3, 23, v7
	v_or3_b32 v2, v6, v3, v2
.LBB7_716:
	s_or_b64 exec, exec, s[6:7]
	v_lshrrev_b32_e32 v3, 8, v4
	s_movk_i32 s4, 0x7f
	v_cmp_gt_i16_sdwa s[6:7], v3, s4 src0_sel:BYTE_0 src1_sel:DWORD
	s_mov_b64 s[4:5], 0
                                        ; implicit-def: $sgpr10
	s_and_saveexec_b64 s[8:9], s[6:7]
	s_xor_b64 s[6:7], exec, s[8:9]
	s_cbranch_execnz .LBB7_2765
; %bb.717:
	s_or_saveexec_b64 s[6:7], s[6:7]
	v_mov_b32_e32 v6, s10
	s_xor_b64 exec, exec, s[6:7]
	s_cbranch_execnz .LBB7_2768
.LBB7_718:
	s_or_b64 exec, exec, s[6:7]
	s_and_saveexec_b64 s[6:7], s[4:5]
	s_cbranch_execz .LBB7_720
.LBB7_719:
	v_bfe_u32 v6, v4, 8, 3
	v_ffbh_u32_e32 v10, v6
	v_min_u32_e32 v10, 32, v10
	v_lshrrev_b16_e32 v7, 3, v3
	v_subrev_u32_e32 v11, 28, v10
	v_and_b32_e32 v7, 15, v7
	v_lshlrev_b32_e32 v3, v11, v3
	v_sub_u32_e32 v10, 29, v10
	v_and_b32_e32 v3, 7, v3
	v_cmp_eq_u16_e32 vcc, 0, v7
	v_cndmask_b32_e32 v3, v6, v3, vcc
	v_cndmask_b32_e32 v6, v7, v10, vcc
	v_lshlrev_b32_e32 v7, 16, v4
	v_mov_b32_e32 v10, 0x3b800000
	v_lshlrev_b32_e32 v3, 20, v3
	v_and_b32_e32 v7, 0x80000000, v7
	v_lshl_add_u32 v6, v6, 23, v10
	v_or3_b32 v6, v7, v6, v3
.LBB7_720:
	s_or_b64 exec, exec, s[6:7]
	s_nop 0
	v_mfma_f32_16x16x4f32 a[0:3], v2, v6, a[0:3]
	s_movk_i32 s4, 0xff
	v_and_b32_sdwa v3, v8, s4 dst_sel:DWORD dst_unused:UNUSED_PAD src0_sel:WORD_1 src1_sel:DWORD
	s_movk_i32 s4, 0x7f
	v_cmp_lt_i16_e32 vcc, s4, v3
	s_mov_b64 s[4:5], 0
                                        ; implicit-def: $sgpr10
	s_and_saveexec_b64 s[6:7], vcc
	s_xor_b64 s[6:7], exec, s[6:7]
	s_cbranch_execnz .LBB7_2769
; %bb.721:
	s_or_saveexec_b64 s[6:7], s[6:7]
	v_mov_b32_e32 v2, s10
	s_xor_b64 exec, exec, s[6:7]
	s_cbranch_execnz .LBB7_2772
.LBB7_722:
	s_or_b64 exec, exec, s[6:7]
	s_and_saveexec_b64 s[6:7], s[4:5]
	s_cbranch_execz .LBB7_724
.LBB7_723:
	v_bfe_u32 v2, v8, 16, 3
	v_ffbh_u32_e32 v7, v2
	v_min_u32_e32 v7, 32, v7
	v_lshrrev_b32_e32 v3, 19, v8
	v_subrev_u32_e32 v10, 28, v7
	v_and_b32_e32 v3, 15, v3
	v_lshlrev_b32_sdwa v10, v10, v8 dst_sel:DWORD dst_unused:UNUSED_PAD src0_sel:DWORD src1_sel:WORD_1
	v_bfe_u32 v6, v8, 19, 4
	v_sub_u32_e32 v7, 29, v7
	v_and_b32_e32 v10, 7, v10
	v_cmp_eq_u16_e32 vcc, 0, v3
	v_cndmask_b32_e32 v2, v2, v10, vcc
	v_cndmask_b32_e32 v3, v6, v7, vcc
	v_lshlrev_b32_e32 v6, 8, v8
	v_mov_b32_e32 v7, 0x3b800000
	v_lshlrev_b32_e32 v2, 20, v2
	v_and_b32_e32 v6, 0x80000000, v6
	v_lshl_add_u32 v3, v3, 23, v7
	v_or3_b32 v2, v6, v3, v2
.LBB7_724:
	s_or_b64 exec, exec, s[6:7]
	s_movk_i32 s4, 0xff
	v_and_b32_sdwa v3, v4, s4 dst_sel:DWORD dst_unused:UNUSED_PAD src0_sel:WORD_1 src1_sel:DWORD
	s_movk_i32 s4, 0x7f
	v_cmp_lt_i16_e32 vcc, s4, v3
	s_mov_b64 s[4:5], 0
                                        ; implicit-def: $sgpr10
	s_and_saveexec_b64 s[6:7], vcc
	s_xor_b64 s[6:7], exec, s[6:7]
	s_cbranch_execnz .LBB7_2773
; %bb.725:
	s_or_saveexec_b64 s[6:7], s[6:7]
	v_mov_b32_e32 v6, s10
	s_xor_b64 exec, exec, s[6:7]
	s_cbranch_execnz .LBB7_2776
.LBB7_726:
	s_or_b64 exec, exec, s[6:7]
	s_and_saveexec_b64 s[6:7], s[4:5]
	s_cbranch_execz .LBB7_728
.LBB7_727:
	v_bfe_u32 v3, v4, 16, 3
	v_ffbh_u32_e32 v10, v3
	v_min_u32_e32 v10, 32, v10
	v_lshrrev_b32_e32 v6, 19, v4
	v_subrev_u32_e32 v11, 28, v10
	v_and_b32_e32 v6, 15, v6
	v_lshlrev_b32_sdwa v11, v11, v4 dst_sel:DWORD dst_unused:UNUSED_PAD src0_sel:DWORD src1_sel:WORD_1
	v_bfe_u32 v7, v4, 19, 4
	v_sub_u32_e32 v10, 29, v10
	v_and_b32_e32 v11, 7, v11
	v_cmp_eq_u16_e32 vcc, 0, v6
	v_cndmask_b32_e32 v3, v3, v11, vcc
	v_cndmask_b32_e32 v6, v7, v10, vcc
	v_lshlrev_b32_e32 v7, 8, v4
	v_mov_b32_e32 v10, 0x3b800000
	v_lshlrev_b32_e32 v3, 20, v3
	v_and_b32_e32 v7, 0x80000000, v7
	v_lshl_add_u32 v6, v6, 23, v10
	v_or3_b32 v6, v7, v6, v3
.LBB7_728:
	s_or_b64 exec, exec, s[6:7]
	s_nop 0
	v_mfma_f32_16x16x4f32 a[0:3], v2, v6, a[0:3]
	s_movk_i32 s4, 0x7f
	v_cmp_gt_i16_sdwa s[6:7], v8, s4 src0_sel:BYTE_3 src1_sel:DWORD
	s_mov_b64 s[4:5], 0
                                        ; implicit-def: $sgpr10
	s_and_saveexec_b64 s[8:9], s[6:7]
	s_xor_b64 s[6:7], exec, s[8:9]
	s_cbranch_execnz .LBB7_2777
; %bb.729:
	s_or_saveexec_b64 s[6:7], s[6:7]
	v_mov_b32_e32 v2, s10
	s_xor_b64 exec, exec, s[6:7]
	s_cbranch_execnz .LBB7_2780
.LBB7_730:
	s_or_b64 exec, exec, s[6:7]
	s_and_saveexec_b64 s[6:7], s[4:5]
	s_cbranch_execz .LBB7_732
.LBB7_731:
	v_bfe_u32 v2, v8, 24, 3
	v_ffbh_u32_e32 v10, v2
	v_min_u32_e32 v10, 32, v10
	v_lshrrev_b32_e32 v6, 27, v8
	v_subrev_u32_e32 v11, 28, v10
	v_and_b32_e32 v3, 0x80000000, v8
	v_and_b32_e32 v6, 15, v6
	v_bfe_u32 v7, v8, 27, 4
	v_lshlrev_b32_sdwa v8, v11, v8 dst_sel:DWORD dst_unused:UNUSED_PAD src0_sel:DWORD src1_sel:BYTE_3
	v_sub_u32_e32 v10, 29, v10
	v_and_b32_e32 v8, 7, v8
	v_cmp_eq_u16_e32 vcc, 0, v6
	v_cndmask_b32_e32 v2, v2, v8, vcc
	v_cndmask_b32_e32 v6, v7, v10, vcc
	v_mov_b32_e32 v7, 0x3b800000
	v_lshlrev_b32_e32 v2, 20, v2
	v_lshl_add_u32 v6, v6, 23, v7
	v_or3_b32 v2, v3, v6, v2
.LBB7_732:
	s_or_b64 exec, exec, s[6:7]
	s_movk_i32 s4, 0x7f
	v_cmp_gt_i16_sdwa s[6:7], v4, s4 src0_sel:BYTE_3 src1_sel:DWORD
	s_mov_b64 s[4:5], 0
                                        ; implicit-def: $sgpr10
	s_and_saveexec_b64 s[8:9], s[6:7]
	s_xor_b64 s[6:7], exec, s[8:9]
	s_cbranch_execnz .LBB7_2781
; %bb.733:
	s_or_saveexec_b64 s[6:7], s[6:7]
	v_mov_b32_e32 v3, s10
	s_xor_b64 exec, exec, s[6:7]
	s_cbranch_execnz .LBB7_2784
.LBB7_734:
	s_or_b64 exec, exec, s[6:7]
	s_and_saveexec_b64 s[6:7], s[4:5]
	s_cbranch_execz .LBB7_736
.LBB7_735:
	v_bfe_u32 v3, v4, 24, 3
	v_ffbh_u32_e32 v10, v3
	v_min_u32_e32 v10, 32, v10
	v_lshrrev_b32_e32 v7, 27, v4
	v_subrev_u32_e32 v11, 28, v10
	v_and_b32_e32 v6, 0x80000000, v4
	v_and_b32_e32 v7, 15, v7
	v_bfe_u32 v8, v4, 27, 4
	v_lshlrev_b32_sdwa v4, v11, v4 dst_sel:DWORD dst_unused:UNUSED_PAD src0_sel:DWORD src1_sel:BYTE_3
	v_sub_u32_e32 v10, 29, v10
	v_and_b32_e32 v4, 7, v4
	v_cmp_eq_u16_e32 vcc, 0, v7
	v_cndmask_b32_e32 v3, v3, v4, vcc
	v_cndmask_b32_e32 v4, v8, v10, vcc
	v_mov_b32_e32 v7, 0x3b800000
	v_lshlrev_b32_e32 v3, 20, v3
	v_lshl_add_u32 v4, v4, 23, v7
	v_or3_b32 v3, v6, v4, v3
.LBB7_736:
	s_or_b64 exec, exec, s[6:7]
	s_nop 0
	v_mfma_f32_16x16x4f32 a[0:3], v2, v3, a[0:3]
	s_movk_i32 s4, 0x7f
	v_cmp_gt_i16_sdwa s[6:7], v9, s4 src0_sel:BYTE_0 src1_sel:DWORD
	s_mov_b64 s[4:5], 0
                                        ; implicit-def: $sgpr10
	s_and_saveexec_b64 s[8:9], s[6:7]
	s_xor_b64 s[6:7], exec, s[8:9]
	s_cbranch_execnz .LBB7_2785
; %bb.737:
	s_or_saveexec_b64 s[6:7], s[6:7]
	v_mov_b32_e32 v2, s10
	s_xor_b64 exec, exec, s[6:7]
	s_cbranch_execnz .LBB7_2788
.LBB7_738:
	s_or_b64 exec, exec, s[6:7]
	s_and_saveexec_b64 s[6:7], s[4:5]
	s_cbranch_execz .LBB7_740
.LBB7_739:
	v_mov_b32_e32 v2, 8
	v_and_b32_e32 v3, 7, v9
	v_lshrrev_b32_sdwa v2, v2, v9 dst_sel:BYTE_1 dst_unused:UNUSED_PAD src0_sel:DWORD src1_sel:DWORD
	v_ffbh_u32_e32 v4, v3
	v_or_b32_sdwa v2, v9, v2 dst_sel:DWORD dst_unused:UNUSED_PAD src0_sel:BYTE_0 src1_sel:DWORD
	v_min_u32_e32 v4, 32, v4
	v_lshrrev_b16_e32 v2, 3, v2
	v_subrev_u32_e32 v6, 28, v4
	v_and_b32_e32 v2, 15, v2
	v_lshlrev_b32_e32 v6, v6, v9
	v_sub_u32_e32 v4, 29, v4
	v_and_b32_e32 v6, 7, v6
	v_cmp_eq_u16_e32 vcc, 0, v2
	v_cndmask_b32_e32 v3, v3, v6, vcc
	v_cndmask_b32_e32 v2, v2, v4, vcc
	v_lshlrev_b32_e32 v4, 24, v9
	v_mov_b32_e32 v6, 0x3b800000
	v_lshlrev_b32_e32 v3, 20, v3
	v_and_b32_e32 v4, 0x80000000, v4
	v_lshl_add_u32 v2, v2, 23, v6
	v_or3_b32 v2, v4, v2, v3
.LBB7_740:
	s_or_b64 exec, exec, s[6:7]
	s_movk_i32 s4, 0x7f
	v_cmp_gt_i16_sdwa s[6:7], v5, s4 src0_sel:BYTE_0 src1_sel:DWORD
	s_mov_b64 s[4:5], 0
                                        ; implicit-def: $sgpr10
	s_and_saveexec_b64 s[8:9], s[6:7]
	s_xor_b64 s[6:7], exec, s[8:9]
	s_cbranch_execnz .LBB7_2789
; %bb.741:
	s_or_saveexec_b64 s[6:7], s[6:7]
	v_mov_b32_e32 v3, s10
	s_xor_b64 exec, exec, s[6:7]
	s_cbranch_execnz .LBB7_2792
.LBB7_742:
	s_or_b64 exec, exec, s[6:7]
	s_and_saveexec_b64 s[6:7], s[4:5]
	s_cbranch_execz .LBB7_744
.LBB7_743:
	v_mov_b32_e32 v3, 8
	v_and_b32_e32 v4, 7, v5
	v_lshrrev_b32_sdwa v3, v3, v5 dst_sel:BYTE_1 dst_unused:UNUSED_PAD src0_sel:DWORD src1_sel:DWORD
	v_ffbh_u32_e32 v6, v4
	v_or_b32_sdwa v3, v5, v3 dst_sel:DWORD dst_unused:UNUSED_PAD src0_sel:BYTE_0 src1_sel:DWORD
	v_min_u32_e32 v6, 32, v6
	v_lshrrev_b16_e32 v3, 3, v3
	v_subrev_u32_e32 v7, 28, v6
	v_and_b32_e32 v3, 15, v3
	v_lshlrev_b32_e32 v7, v7, v5
	v_sub_u32_e32 v6, 29, v6
	v_and_b32_e32 v7, 7, v7
	v_cmp_eq_u16_e32 vcc, 0, v3
	v_cndmask_b32_e32 v4, v4, v7, vcc
	v_cndmask_b32_e32 v3, v3, v6, vcc
	v_lshlrev_b32_e32 v6, 24, v5
	v_mov_b32_e32 v7, 0x3b800000
	v_lshlrev_b32_e32 v4, 20, v4
	v_and_b32_e32 v6, 0x80000000, v6
	v_lshl_add_u32 v3, v3, 23, v7
	v_or3_b32 v3, v6, v3, v4
.LBB7_744:
	s_or_b64 exec, exec, s[6:7]
	s_nop 0
	v_mfma_f32_16x16x4f32 a[0:3], v2, v3, a[0:3]
	v_lshrrev_b32_e32 v3, 8, v9
	s_movk_i32 s4, 0x7f
	v_cmp_gt_i16_sdwa s[6:7], v3, s4 src0_sel:BYTE_0 src1_sel:DWORD
	s_mov_b64 s[4:5], 0
                                        ; implicit-def: $sgpr10
	s_and_saveexec_b64 s[8:9], s[6:7]
	s_xor_b64 s[6:7], exec, s[8:9]
	s_cbranch_execnz .LBB7_2793
; %bb.745:
	s_or_saveexec_b64 s[6:7], s[6:7]
	v_mov_b32_e32 v2, s10
	s_xor_b64 exec, exec, s[6:7]
	s_cbranch_execnz .LBB7_2796
.LBB7_746:
	s_or_b64 exec, exec, s[6:7]
	s_and_saveexec_b64 s[6:7], s[4:5]
	s_cbranch_execz .LBB7_748
.LBB7_747:
	v_bfe_u32 v2, v9, 8, 3
	v_ffbh_u32_e32 v6, v2
	v_min_u32_e32 v6, 32, v6
	v_lshrrev_b16_e32 v4, 3, v3
	v_subrev_u32_e32 v7, 28, v6
	v_and_b32_e32 v4, 15, v4
	v_lshlrev_b32_e32 v3, v7, v3
	v_sub_u32_e32 v6, 29, v6
	v_and_b32_e32 v3, 7, v3
	v_cmp_eq_u16_e32 vcc, 0, v4
	v_cndmask_b32_e32 v2, v2, v3, vcc
	v_cndmask_b32_e32 v3, v4, v6, vcc
	v_lshlrev_b32_e32 v4, 16, v9
	v_mov_b32_e32 v6, 0x3b800000
	v_lshlrev_b32_e32 v2, 20, v2
	v_and_b32_e32 v4, 0x80000000, v4
	v_lshl_add_u32 v3, v3, 23, v6
	v_or3_b32 v2, v4, v3, v2
.LBB7_748:
	s_or_b64 exec, exec, s[6:7]
	v_lshrrev_b32_e32 v3, 8, v5
	s_movk_i32 s4, 0x7f
	v_cmp_gt_i16_sdwa s[6:7], v3, s4 src0_sel:BYTE_0 src1_sel:DWORD
	s_mov_b64 s[4:5], 0
                                        ; implicit-def: $sgpr10
	s_and_saveexec_b64 s[8:9], s[6:7]
	s_xor_b64 s[6:7], exec, s[8:9]
	s_cbranch_execnz .LBB7_2797
; %bb.749:
	s_or_saveexec_b64 s[6:7], s[6:7]
	v_mov_b32_e32 v4, s10
	s_xor_b64 exec, exec, s[6:7]
	s_cbranch_execnz .LBB7_2800
.LBB7_750:
	s_or_b64 exec, exec, s[6:7]
	s_and_saveexec_b64 s[6:7], s[4:5]
	s_cbranch_execz .LBB7_752
.LBB7_751:
	v_bfe_u32 v4, v5, 8, 3
	v_ffbh_u32_e32 v7, v4
	v_min_u32_e32 v7, 32, v7
	v_lshrrev_b16_e32 v6, 3, v3
	v_subrev_u32_e32 v8, 28, v7
	v_and_b32_e32 v6, 15, v6
	v_lshlrev_b32_e32 v3, v8, v3
	v_sub_u32_e32 v7, 29, v7
	v_and_b32_e32 v3, 7, v3
	v_cmp_eq_u16_e32 vcc, 0, v6
	v_cndmask_b32_e32 v3, v4, v3, vcc
	v_cndmask_b32_e32 v4, v6, v7, vcc
	v_lshlrev_b32_e32 v6, 16, v5
	v_mov_b32_e32 v7, 0x3b800000
	v_lshlrev_b32_e32 v3, 20, v3
	v_and_b32_e32 v6, 0x80000000, v6
	v_lshl_add_u32 v4, v4, 23, v7
	v_or3_b32 v4, v6, v4, v3
.LBB7_752:
	s_or_b64 exec, exec, s[6:7]
	s_nop 0
	v_mfma_f32_16x16x4f32 a[0:3], v2, v4, a[0:3]
	s_movk_i32 s4, 0xff
	v_and_b32_sdwa v3, v9, s4 dst_sel:DWORD dst_unused:UNUSED_PAD src0_sel:WORD_1 src1_sel:DWORD
	s_movk_i32 s4, 0x7f
	v_cmp_lt_i16_e32 vcc, s4, v3
	s_mov_b64 s[4:5], 0
                                        ; implicit-def: $sgpr10
	s_and_saveexec_b64 s[6:7], vcc
	s_xor_b64 s[6:7], exec, s[6:7]
	s_cbranch_execnz .LBB7_2801
; %bb.753:
	s_or_saveexec_b64 s[6:7], s[6:7]
	v_mov_b32_e32 v2, s10
	s_xor_b64 exec, exec, s[6:7]
	s_cbranch_execnz .LBB7_2804
.LBB7_754:
	s_or_b64 exec, exec, s[6:7]
	s_and_saveexec_b64 s[6:7], s[4:5]
	s_cbranch_execz .LBB7_756
.LBB7_755:
	v_bfe_u32 v2, v9, 16, 3
	v_ffbh_u32_e32 v6, v2
	v_min_u32_e32 v6, 32, v6
	v_lshrrev_b32_e32 v3, 19, v9
	v_subrev_u32_e32 v7, 28, v6
	v_and_b32_e32 v3, 15, v3
	v_lshlrev_b32_sdwa v7, v7, v9 dst_sel:DWORD dst_unused:UNUSED_PAD src0_sel:DWORD src1_sel:WORD_1
	v_bfe_u32 v4, v9, 19, 4
	v_sub_u32_e32 v6, 29, v6
	v_and_b32_e32 v7, 7, v7
	v_cmp_eq_u16_e32 vcc, 0, v3
	v_cndmask_b32_e32 v2, v2, v7, vcc
	v_cndmask_b32_e32 v3, v4, v6, vcc
	v_lshlrev_b32_e32 v4, 8, v9
	v_mov_b32_e32 v6, 0x3b800000
	v_lshlrev_b32_e32 v2, 20, v2
	v_and_b32_e32 v4, 0x80000000, v4
	v_lshl_add_u32 v3, v3, 23, v6
	v_or3_b32 v2, v4, v3, v2
.LBB7_756:
	s_or_b64 exec, exec, s[6:7]
	s_movk_i32 s4, 0xff
	v_and_b32_sdwa v3, v5, s4 dst_sel:DWORD dst_unused:UNUSED_PAD src0_sel:WORD_1 src1_sel:DWORD
	s_movk_i32 s4, 0x7f
	v_cmp_lt_i16_e32 vcc, s4, v3
	s_mov_b64 s[4:5], 0
                                        ; implicit-def: $sgpr10
	s_and_saveexec_b64 s[6:7], vcc
	s_xor_b64 s[6:7], exec, s[6:7]
	s_cbranch_execnz .LBB7_2805
; %bb.757:
	s_or_saveexec_b64 s[6:7], s[6:7]
	v_mov_b32_e32 v4, s10
	s_xor_b64 exec, exec, s[6:7]
	s_cbranch_execnz .LBB7_2808
.LBB7_758:
	s_or_b64 exec, exec, s[6:7]
	s_and_saveexec_b64 s[6:7], s[4:5]
	s_cbranch_execz .LBB7_760
.LBB7_759:
	v_bfe_u32 v3, v5, 16, 3
	v_ffbh_u32_e32 v7, v3
	v_min_u32_e32 v7, 32, v7
	v_lshrrev_b32_e32 v4, 19, v5
	v_subrev_u32_e32 v8, 28, v7
	v_and_b32_e32 v4, 15, v4
	v_lshlrev_b32_sdwa v8, v8, v5 dst_sel:DWORD dst_unused:UNUSED_PAD src0_sel:DWORD src1_sel:WORD_1
	v_bfe_u32 v6, v5, 19, 4
	v_sub_u32_e32 v7, 29, v7
	v_and_b32_e32 v8, 7, v8
	v_cmp_eq_u16_e32 vcc, 0, v4
	v_cndmask_b32_e32 v3, v3, v8, vcc
	v_cndmask_b32_e32 v4, v6, v7, vcc
	v_lshlrev_b32_e32 v6, 8, v5
	v_mov_b32_e32 v7, 0x3b800000
	v_lshlrev_b32_e32 v3, 20, v3
	v_and_b32_e32 v6, 0x80000000, v6
	v_lshl_add_u32 v4, v4, 23, v7
	v_or3_b32 v4, v6, v4, v3
.LBB7_760:
	s_or_b64 exec, exec, s[6:7]
	s_nop 0
	v_mfma_f32_16x16x4f32 a[0:3], v2, v4, a[0:3]
	s_movk_i32 s4, 0x7f
	v_cmp_gt_i16_sdwa s[6:7], v9, s4 src0_sel:BYTE_3 src1_sel:DWORD
	s_mov_b64 s[4:5], 0
                                        ; implicit-def: $sgpr10
	s_and_saveexec_b64 s[8:9], s[6:7]
	s_xor_b64 s[6:7], exec, s[8:9]
	s_cbranch_execnz .LBB7_2809
; %bb.761:
	s_or_saveexec_b64 s[6:7], s[6:7]
	v_mov_b32_e32 v2, s10
	s_xor_b64 exec, exec, s[6:7]
	s_cbranch_execnz .LBB7_2812
.LBB7_762:
	s_or_b64 exec, exec, s[6:7]
	s_and_saveexec_b64 s[6:7], s[4:5]
	s_cbranch_execz .LBB7_764
.LBB7_763:
	v_bfe_u32 v2, v9, 24, 3
	v_ffbh_u32_e32 v7, v2
	v_min_u32_e32 v7, 32, v7
	v_lshrrev_b32_e32 v4, 27, v9
	v_subrev_u32_e32 v8, 28, v7
	v_and_b32_e32 v4, 15, v4
	v_lshlrev_b32_sdwa v8, v8, v9 dst_sel:DWORD dst_unused:UNUSED_PAD src0_sel:DWORD src1_sel:BYTE_3
	v_bfe_u32 v6, v9, 27, 4
	v_sub_u32_e32 v7, 29, v7
	v_and_b32_e32 v8, 7, v8
	v_cmp_eq_u16_e32 vcc, 0, v4
	v_cndmask_b32_e32 v2, v2, v8, vcc
	v_cndmask_b32_e32 v4, v6, v7, vcc
	v_mov_b32_e32 v6, 0x3b800000
	v_and_b32_e32 v3, 0x80000000, v9
	v_lshlrev_b32_e32 v2, 20, v2
	v_lshl_add_u32 v4, v4, 23, v6
	v_or3_b32 v2, v3, v4, v2
.LBB7_764:
	s_or_b64 exec, exec, s[6:7]
	s_movk_i32 s4, 0x7f
	v_cmp_gt_i16_sdwa s[6:7], v5, s4 src0_sel:BYTE_3 src1_sel:DWORD
	s_mov_b64 s[4:5], 0
                                        ; implicit-def: $sgpr10
	s_and_saveexec_b64 s[8:9], s[6:7]
	s_xor_b64 s[6:7], exec, s[8:9]
	s_cbranch_execnz .LBB7_2813
; %bb.765:
	s_or_saveexec_b64 s[6:7], s[6:7]
	v_mov_b32_e32 v3, s10
	s_xor_b64 exec, exec, s[6:7]
	s_cbranch_execnz .LBB7_2816
.LBB7_766:
	s_or_b64 exec, exec, s[6:7]
	s_and_saveexec_b64 s[6:7], s[4:5]
	s_cbranch_execz .LBB7_768
.LBB7_767:
	v_bfe_u32 v3, v5, 24, 3
	v_ffbh_u32_e32 v8, v3
	v_min_u32_e32 v8, 32, v8
	v_lshrrev_b32_e32 v6, 27, v5
	v_subrev_u32_e32 v9, 28, v8
	v_and_b32_e32 v4, 0x80000000, v5
	v_and_b32_e32 v6, 15, v6
	v_bfe_u32 v7, v5, 27, 4
	v_lshlrev_b32_sdwa v5, v9, v5 dst_sel:DWORD dst_unused:UNUSED_PAD src0_sel:DWORD src1_sel:BYTE_3
	v_sub_u32_e32 v8, 29, v8
	v_and_b32_e32 v5, 7, v5
	v_cmp_eq_u16_e32 vcc, 0, v6
	v_cndmask_b32_e32 v3, v3, v5, vcc
	v_cndmask_b32_e32 v5, v7, v8, vcc
	v_mov_b32_e32 v6, 0x3b800000
	v_lshlrev_b32_e32 v3, 20, v3
	v_lshl_add_u32 v5, v5, 23, v6
	v_or3_b32 v3, v4, v5, v3
.LBB7_768:
	s_or_b64 exec, exec, s[6:7]
	s_nop 0
	v_mfma_f32_16x16x4f32 a[0:3], v2, v3, a[0:3]
	s_movk_i32 s4, 0x7f
                                        ; implicit-def: $sgpr10
	s_nop 7
	s_nop 1
	flat_store_dwordx4 v[18:19], a[0:3] offset:672
	flat_load_dwordx4 v[20:23], v[0:1] offset:16
	s_nop 0
	flat_load_dwordx2 v[18:19], v[0:1] offset:32
	s_waitcnt vmcnt(0) lgkmcnt(0)
	flat_load_dwordx4 v[14:17], v[20:21] offset:32
	flat_load_dwordx4 v[6:9], v[20:21] offset:48
	;; [unrolled: 1-line block ×4, first 2 shown]
	s_waitcnt vmcnt(0) lgkmcnt(0)
	v_cmp_gt_i16_sdwa s[6:7], v14, s4 src0_sel:BYTE_0 src1_sel:DWORD
	s_mov_b64 s[4:5], 0
	s_and_saveexec_b64 s[8:9], s[6:7]
	s_xor_b64 s[6:7], exec, s[8:9]
	s_cbranch_execnz .LBB7_2817
; %bb.769:
	s_or_saveexec_b64 s[6:7], s[6:7]
	v_mov_b32_e32 v20, s10
	s_xor_b64 exec, exec, s[6:7]
	s_cbranch_execnz .LBB7_2820
.LBB7_770:
	s_or_b64 exec, exec, s[6:7]
	s_and_saveexec_b64 s[6:7], s[4:5]
	s_cbranch_execz .LBB7_772
.LBB7_771:
	v_and_b32_e32 v20, 7, v14
	v_ffbh_u32_e32 v22, v20
	v_min_u32_e32 v22, 32, v22
	v_lshrrev_b16_e32 v21, 3, v14
	v_subrev_u32_e32 v23, 28, v22
	v_and_b32_e32 v21, 15, v21
	v_lshlrev_b32_e32 v23, v23, v14
	v_sub_u32_e32 v22, 29, v22
	v_and_b32_e32 v23, 7, v23
	v_cmp_eq_u16_e32 vcc, 0, v21
	v_cndmask_b32_e32 v20, v20, v23, vcc
	v_cndmask_b32_e32 v21, v21, v22, vcc
	v_lshlrev_b32_e32 v22, 24, v14
	v_mov_b32_e32 v23, 0x3b800000
	v_lshlrev_b32_e32 v20, 20, v20
	v_and_b32_e32 v22, 0x80000000, v22
	v_lshl_add_u32 v21, v21, 23, v23
	v_or3_b32 v20, v22, v21, v20
.LBB7_772:
	s_or_b64 exec, exec, s[6:7]
	s_movk_i32 s4, 0x7f
	v_cmp_gt_i16_sdwa s[6:7], v10, s4 src0_sel:BYTE_0 src1_sel:DWORD
	s_mov_b64 s[4:5], 0
                                        ; implicit-def: $sgpr10
	s_and_saveexec_b64 s[8:9], s[6:7]
	s_xor_b64 s[6:7], exec, s[8:9]
	s_cbranch_execnz .LBB7_2821
; %bb.773:
	s_or_saveexec_b64 s[6:7], s[6:7]
	v_mov_b32_e32 v21, s10
	s_xor_b64 exec, exec, s[6:7]
	s_cbranch_execnz .LBB7_2824
.LBB7_774:
	s_or_b64 exec, exec, s[6:7]
	s_and_saveexec_b64 s[6:7], s[4:5]
	s_cbranch_execz .LBB7_776
.LBB7_775:
	v_and_b32_e32 v21, 7, v10
	v_ffbh_u32_e32 v23, v21
	v_min_u32_e32 v23, 32, v23
	v_lshrrev_b16_e32 v22, 3, v10
	v_subrev_u32_e32 v24, 28, v23
	v_and_b32_e32 v22, 15, v22
	v_lshlrev_b32_e32 v24, v24, v10
	v_sub_u32_e32 v23, 29, v23
	v_and_b32_e32 v24, 7, v24
	v_cmp_eq_u16_e32 vcc, 0, v22
	v_cndmask_b32_e32 v21, v21, v24, vcc
	v_cndmask_b32_e32 v22, v22, v23, vcc
	v_lshlrev_b32_e32 v23, 24, v10
	v_mov_b32_e32 v24, 0x3b800000
	v_lshlrev_b32_e32 v21, 20, v21
	v_and_b32_e32 v23, 0x80000000, v23
	v_lshl_add_u32 v22, v22, 23, v24
	v_or3_b32 v21, v23, v22, v21
.LBB7_776:
	s_or_b64 exec, exec, s[6:7]
	flat_load_dwordx4 a[0:3], v[18:19] offset:688
	s_movk_i32 s4, 0x7f
                                        ; implicit-def: $sgpr10
	s_waitcnt vmcnt(0) lgkmcnt(0)
	v_mfma_f32_16x16x4f32 a[0:3], v20, v21, a[0:3]
	v_lshrrev_b32_e32 v21, 8, v14
	v_cmp_gt_i16_sdwa s[6:7], v21, s4 src0_sel:BYTE_0 src1_sel:DWORD
	s_mov_b64 s[4:5], 0
	s_and_saveexec_b64 s[8:9], s[6:7]
	s_xor_b64 s[6:7], exec, s[8:9]
	s_cbranch_execnz .LBB7_2825
; %bb.777:
	s_or_saveexec_b64 s[6:7], s[6:7]
	v_mov_b32_e32 v20, s10
	s_xor_b64 exec, exec, s[6:7]
	s_cbranch_execnz .LBB7_2828
.LBB7_778:
	s_or_b64 exec, exec, s[6:7]
	s_and_saveexec_b64 s[6:7], s[4:5]
	s_cbranch_execz .LBB7_780
.LBB7_779:
	v_bfe_u32 v20, v14, 8, 3
	v_ffbh_u32_e32 v23, v20
	v_min_u32_e32 v23, 32, v23
	v_lshrrev_b16_e32 v22, 3, v21
	v_subrev_u32_e32 v24, 28, v23
	v_and_b32_e32 v22, 15, v22
	v_lshlrev_b32_e32 v21, v24, v21
	v_sub_u32_e32 v23, 29, v23
	v_and_b32_e32 v21, 7, v21
	v_cmp_eq_u16_e32 vcc, 0, v22
	v_cndmask_b32_e32 v20, v20, v21, vcc
	v_cndmask_b32_e32 v21, v22, v23, vcc
	v_lshlrev_b32_e32 v22, 16, v14
	v_mov_b32_e32 v23, 0x3b800000
	v_lshlrev_b32_e32 v20, 20, v20
	v_and_b32_e32 v22, 0x80000000, v22
	v_lshl_add_u32 v21, v21, 23, v23
	v_or3_b32 v20, v22, v21, v20
.LBB7_780:
	s_or_b64 exec, exec, s[6:7]
	v_lshrrev_b32_e32 v21, 8, v10
	s_movk_i32 s4, 0x7f
	v_cmp_gt_i16_sdwa s[6:7], v21, s4 src0_sel:BYTE_0 src1_sel:DWORD
	s_mov_b64 s[4:5], 0
                                        ; implicit-def: $sgpr10
	s_and_saveexec_b64 s[8:9], s[6:7]
	s_xor_b64 s[6:7], exec, s[8:9]
	s_cbranch_execnz .LBB7_2829
; %bb.781:
	s_or_saveexec_b64 s[6:7], s[6:7]
	v_mov_b32_e32 v22, s10
	s_xor_b64 exec, exec, s[6:7]
	s_cbranch_execnz .LBB7_2832
.LBB7_782:
	s_or_b64 exec, exec, s[6:7]
	s_and_saveexec_b64 s[6:7], s[4:5]
	s_cbranch_execz .LBB7_784
.LBB7_783:
	v_bfe_u32 v22, v10, 8, 3
	v_ffbh_u32_e32 v24, v22
	v_min_u32_e32 v24, 32, v24
	v_lshrrev_b16_e32 v23, 3, v21
	v_subrev_u32_e32 v25, 28, v24
	v_and_b32_e32 v23, 15, v23
	v_lshlrev_b32_e32 v21, v25, v21
	v_sub_u32_e32 v24, 29, v24
	v_and_b32_e32 v21, 7, v21
	v_cmp_eq_u16_e32 vcc, 0, v23
	v_cndmask_b32_e32 v21, v22, v21, vcc
	v_cndmask_b32_e32 v22, v23, v24, vcc
	v_lshlrev_b32_e32 v23, 16, v10
	v_mov_b32_e32 v24, 0x3b800000
	v_lshlrev_b32_e32 v21, 20, v21
	v_and_b32_e32 v23, 0x80000000, v23
	v_lshl_add_u32 v22, v22, 23, v24
	v_or3_b32 v22, v23, v22, v21
.LBB7_784:
	s_or_b64 exec, exec, s[6:7]
	s_nop 0
	v_mfma_f32_16x16x4f32 a[0:3], v20, v22, a[0:3]
	s_movk_i32 s4, 0xff
	v_and_b32_sdwa v21, v14, s4 dst_sel:DWORD dst_unused:UNUSED_PAD src0_sel:WORD_1 src1_sel:DWORD
	s_movk_i32 s4, 0x7f
	v_cmp_lt_i16_e32 vcc, s4, v21
	s_mov_b64 s[4:5], 0
                                        ; implicit-def: $sgpr10
	s_and_saveexec_b64 s[6:7], vcc
	s_xor_b64 s[6:7], exec, s[6:7]
	s_cbranch_execnz .LBB7_2833
; %bb.785:
	s_or_saveexec_b64 s[6:7], s[6:7]
	v_mov_b32_e32 v20, s10
	s_xor_b64 exec, exec, s[6:7]
	s_cbranch_execnz .LBB7_2836
.LBB7_786:
	s_or_b64 exec, exec, s[6:7]
	s_and_saveexec_b64 s[6:7], s[4:5]
	s_cbranch_execz .LBB7_788
.LBB7_787:
	v_bfe_u32 v20, v14, 16, 3
	v_ffbh_u32_e32 v23, v20
	v_min_u32_e32 v23, 32, v23
	v_lshrrev_b32_e32 v21, 19, v14
	v_subrev_u32_e32 v24, 28, v23
	v_and_b32_e32 v21, 15, v21
	v_lshlrev_b32_sdwa v24, v24, v14 dst_sel:DWORD dst_unused:UNUSED_PAD src0_sel:DWORD src1_sel:WORD_1
	v_bfe_u32 v22, v14, 19, 4
	v_sub_u32_e32 v23, 29, v23
	v_and_b32_e32 v24, 7, v24
	v_cmp_eq_u16_e32 vcc, 0, v21
	v_cndmask_b32_e32 v20, v20, v24, vcc
	v_cndmask_b32_e32 v21, v22, v23, vcc
	v_lshlrev_b32_e32 v22, 8, v14
	v_mov_b32_e32 v23, 0x3b800000
	v_lshlrev_b32_e32 v20, 20, v20
	v_and_b32_e32 v22, 0x80000000, v22
	v_lshl_add_u32 v21, v21, 23, v23
	v_or3_b32 v20, v22, v21, v20
.LBB7_788:
	s_or_b64 exec, exec, s[6:7]
	s_movk_i32 s4, 0xff
	v_and_b32_sdwa v21, v10, s4 dst_sel:DWORD dst_unused:UNUSED_PAD src0_sel:WORD_1 src1_sel:DWORD
	s_movk_i32 s4, 0x7f
	v_cmp_lt_i16_e32 vcc, s4, v21
	s_mov_b64 s[4:5], 0
                                        ; implicit-def: $sgpr10
	s_and_saveexec_b64 s[6:7], vcc
	s_xor_b64 s[6:7], exec, s[6:7]
	s_cbranch_execnz .LBB7_2837
; %bb.789:
	s_or_saveexec_b64 s[6:7], s[6:7]
	v_mov_b32_e32 v22, s10
	s_xor_b64 exec, exec, s[6:7]
	s_cbranch_execnz .LBB7_2840
.LBB7_790:
	s_or_b64 exec, exec, s[6:7]
	s_and_saveexec_b64 s[6:7], s[4:5]
	s_cbranch_execz .LBB7_792
.LBB7_791:
	v_bfe_u32 v21, v10, 16, 3
	v_ffbh_u32_e32 v24, v21
	v_min_u32_e32 v24, 32, v24
	v_lshrrev_b32_e32 v22, 19, v10
	v_subrev_u32_e32 v25, 28, v24
	v_and_b32_e32 v22, 15, v22
	v_lshlrev_b32_sdwa v25, v25, v10 dst_sel:DWORD dst_unused:UNUSED_PAD src0_sel:DWORD src1_sel:WORD_1
	v_bfe_u32 v23, v10, 19, 4
	v_sub_u32_e32 v24, 29, v24
	v_and_b32_e32 v25, 7, v25
	v_cmp_eq_u16_e32 vcc, 0, v22
	v_cndmask_b32_e32 v21, v21, v25, vcc
	v_cndmask_b32_e32 v22, v23, v24, vcc
	v_lshlrev_b32_e32 v23, 8, v10
	v_mov_b32_e32 v24, 0x3b800000
	v_lshlrev_b32_e32 v21, 20, v21
	v_and_b32_e32 v23, 0x80000000, v23
	v_lshl_add_u32 v22, v22, 23, v24
	v_or3_b32 v22, v23, v22, v21
.LBB7_792:
	s_or_b64 exec, exec, s[6:7]
	s_nop 0
	v_mfma_f32_16x16x4f32 a[0:3], v20, v22, a[0:3]
	s_movk_i32 s4, 0x7f
	v_cmp_gt_i16_sdwa s[6:7], v14, s4 src0_sel:BYTE_3 src1_sel:DWORD
	s_mov_b64 s[4:5], 0
                                        ; implicit-def: $sgpr10
	s_and_saveexec_b64 s[8:9], s[6:7]
	s_xor_b64 s[6:7], exec, s[8:9]
	s_cbranch_execnz .LBB7_2841
; %bb.793:
	s_or_saveexec_b64 s[6:7], s[6:7]
	v_mov_b32_e32 v20, s10
	s_xor_b64 exec, exec, s[6:7]
	s_cbranch_execnz .LBB7_2844
.LBB7_794:
	s_or_b64 exec, exec, s[6:7]
	s_and_saveexec_b64 s[6:7], s[4:5]
	s_cbranch_execz .LBB7_796
.LBB7_795:
	v_bfe_u32 v20, v14, 24, 3
	v_ffbh_u32_e32 v24, v20
	v_min_u32_e32 v24, 32, v24
	v_lshrrev_b32_e32 v22, 27, v14
	v_subrev_u32_e32 v25, 28, v24
	v_and_b32_e32 v21, 0x80000000, v14
	v_and_b32_e32 v22, 15, v22
	v_bfe_u32 v23, v14, 27, 4
	v_lshlrev_b32_sdwa v14, v25, v14 dst_sel:DWORD dst_unused:UNUSED_PAD src0_sel:DWORD src1_sel:BYTE_3
	v_sub_u32_e32 v24, 29, v24
	v_and_b32_e32 v14, 7, v14
	v_cmp_eq_u16_e32 vcc, 0, v22
	v_cndmask_b32_e32 v14, v20, v14, vcc
	v_cndmask_b32_e32 v20, v23, v24, vcc
	v_mov_b32_e32 v22, 0x3b800000
	v_lshlrev_b32_e32 v14, 20, v14
	v_lshl_add_u32 v20, v20, 23, v22
	v_or3_b32 v20, v21, v20, v14
.LBB7_796:
	s_or_b64 exec, exec, s[6:7]
	s_movk_i32 s4, 0x7f
	v_cmp_gt_i16_sdwa s[6:7], v10, s4 src0_sel:BYTE_3 src1_sel:DWORD
	s_mov_b64 s[4:5], 0
                                        ; implicit-def: $sgpr10
	s_and_saveexec_b64 s[8:9], s[6:7]
	s_xor_b64 s[6:7], exec, s[8:9]
	s_cbranch_execnz .LBB7_2845
; %bb.797:
	s_or_saveexec_b64 s[6:7], s[6:7]
	v_mov_b32_e32 v14, s10
	s_xor_b64 exec, exec, s[6:7]
	s_cbranch_execnz .LBB7_2848
.LBB7_798:
	s_or_b64 exec, exec, s[6:7]
	s_and_saveexec_b64 s[6:7], s[4:5]
	s_cbranch_execz .LBB7_800
.LBB7_799:
	v_bfe_u32 v14, v10, 24, 3
	v_ffbh_u32_e32 v24, v14
	v_min_u32_e32 v24, 32, v24
	v_lshrrev_b32_e32 v22, 27, v10
	v_subrev_u32_e32 v25, 28, v24
	v_and_b32_e32 v21, 0x80000000, v10
	v_and_b32_e32 v22, 15, v22
	v_bfe_u32 v23, v10, 27, 4
	v_lshlrev_b32_sdwa v10, v25, v10 dst_sel:DWORD dst_unused:UNUSED_PAD src0_sel:DWORD src1_sel:BYTE_3
	v_sub_u32_e32 v24, 29, v24
	v_and_b32_e32 v10, 7, v10
	v_cmp_eq_u16_e32 vcc, 0, v22
	v_cndmask_b32_e32 v10, v14, v10, vcc
	v_cndmask_b32_e32 v14, v23, v24, vcc
	v_mov_b32_e32 v22, 0x3b800000
	v_lshlrev_b32_e32 v10, 20, v10
	v_lshl_add_u32 v14, v14, 23, v22
	v_or3_b32 v14, v21, v14, v10
.LBB7_800:
	s_or_b64 exec, exec, s[6:7]
	s_nop 0
	v_mfma_f32_16x16x4f32 a[0:3], v20, v14, a[0:3]
	s_movk_i32 s4, 0x7f
	v_cmp_gt_i16_sdwa s[6:7], v15, s4 src0_sel:BYTE_0 src1_sel:DWORD
	s_mov_b64 s[4:5], 0
                                        ; implicit-def: $sgpr10
	s_and_saveexec_b64 s[8:9], s[6:7]
	s_xor_b64 s[6:7], exec, s[8:9]
	s_cbranch_execnz .LBB7_2849
; %bb.801:
	s_or_saveexec_b64 s[6:7], s[6:7]
	v_mov_b32_e32 v10, s10
	s_xor_b64 exec, exec, s[6:7]
	s_cbranch_execnz .LBB7_2852
.LBB7_802:
	s_or_b64 exec, exec, s[6:7]
	s_and_saveexec_b64 s[6:7], s[4:5]
	s_cbranch_execz .LBB7_804
.LBB7_803:
	v_and_b32_e32 v10, 7, v15
	v_ffbh_u32_e32 v20, v10
	v_min_u32_e32 v20, 32, v20
	v_lshrrev_b16_e32 v14, 3, v15
	v_subrev_u32_e32 v21, 28, v20
	v_and_b32_e32 v14, 15, v14
	v_lshlrev_b32_e32 v21, v21, v15
	v_sub_u32_e32 v20, 29, v20
	v_and_b32_e32 v21, 7, v21
	v_cmp_eq_u16_e32 vcc, 0, v14
	v_cndmask_b32_e32 v10, v10, v21, vcc
	v_cndmask_b32_e32 v14, v14, v20, vcc
	v_lshlrev_b32_e32 v20, 24, v15
	v_mov_b32_e32 v21, 0x3b800000
	v_lshlrev_b32_e32 v10, 20, v10
	v_and_b32_e32 v20, 0x80000000, v20
	v_lshl_add_u32 v14, v14, 23, v21
	v_or3_b32 v10, v20, v14, v10
.LBB7_804:
	s_or_b64 exec, exec, s[6:7]
	s_movk_i32 s4, 0x7f
	v_cmp_gt_i16_sdwa s[6:7], v11, s4 src0_sel:BYTE_0 src1_sel:DWORD
	s_mov_b64 s[4:5], 0
                                        ; implicit-def: $sgpr10
	s_and_saveexec_b64 s[8:9], s[6:7]
	s_xor_b64 s[6:7], exec, s[8:9]
	s_cbranch_execnz .LBB7_2853
; %bb.805:
	s_or_saveexec_b64 s[6:7], s[6:7]
	v_mov_b32_e32 v14, s10
	s_xor_b64 exec, exec, s[6:7]
	s_cbranch_execnz .LBB7_2856
.LBB7_806:
	s_or_b64 exec, exec, s[6:7]
	s_and_saveexec_b64 s[6:7], s[4:5]
	s_cbranch_execz .LBB7_808
.LBB7_807:
	v_and_b32_e32 v14, 7, v11
	v_ffbh_u32_e32 v21, v14
	v_min_u32_e32 v21, 32, v21
	v_lshrrev_b16_e32 v20, 3, v11
	v_subrev_u32_e32 v22, 28, v21
	v_and_b32_e32 v20, 15, v20
	v_lshlrev_b32_e32 v22, v22, v11
	v_sub_u32_e32 v21, 29, v21
	v_and_b32_e32 v22, 7, v22
	v_cmp_eq_u16_e32 vcc, 0, v20
	v_cndmask_b32_e32 v14, v14, v22, vcc
	v_cndmask_b32_e32 v20, v20, v21, vcc
	v_lshlrev_b32_e32 v21, 24, v11
	v_mov_b32_e32 v22, 0x3b800000
	v_lshlrev_b32_e32 v14, 20, v14
	v_and_b32_e32 v21, 0x80000000, v21
	v_lshl_add_u32 v20, v20, 23, v22
	v_or3_b32 v14, v21, v20, v14
.LBB7_808:
	s_or_b64 exec, exec, s[6:7]
	s_nop 0
	v_mfma_f32_16x16x4f32 a[0:3], v10, v14, a[0:3]
	v_lshrrev_b32_e32 v14, 8, v15
	s_movk_i32 s4, 0x7f
	v_cmp_gt_i16_sdwa s[6:7], v14, s4 src0_sel:BYTE_0 src1_sel:DWORD
	s_mov_b64 s[4:5], 0
                                        ; implicit-def: $sgpr10
	s_and_saveexec_b64 s[8:9], s[6:7]
	s_xor_b64 s[6:7], exec, s[8:9]
	s_cbranch_execnz .LBB7_2857
; %bb.809:
	s_or_saveexec_b64 s[6:7], s[6:7]
	v_mov_b32_e32 v10, s10
	s_xor_b64 exec, exec, s[6:7]
	s_cbranch_execnz .LBB7_2860
.LBB7_810:
	s_or_b64 exec, exec, s[6:7]
	s_and_saveexec_b64 s[6:7], s[4:5]
	s_cbranch_execz .LBB7_812
.LBB7_811:
	v_bfe_u32 v10, v15, 8, 3
	v_ffbh_u32_e32 v21, v10
	v_min_u32_e32 v21, 32, v21
	v_lshrrev_b16_e32 v20, 3, v14
	v_subrev_u32_e32 v22, 28, v21
	v_and_b32_e32 v20, 15, v20
	v_lshlrev_b32_e32 v14, v22, v14
	v_sub_u32_e32 v21, 29, v21
	v_and_b32_e32 v14, 7, v14
	v_cmp_eq_u16_e32 vcc, 0, v20
	v_cndmask_b32_e32 v10, v10, v14, vcc
	v_cndmask_b32_e32 v14, v20, v21, vcc
	v_lshlrev_b32_e32 v20, 16, v15
	v_mov_b32_e32 v21, 0x3b800000
	v_lshlrev_b32_e32 v10, 20, v10
	v_and_b32_e32 v20, 0x80000000, v20
	v_lshl_add_u32 v14, v14, 23, v21
	v_or3_b32 v10, v20, v14, v10
.LBB7_812:
	s_or_b64 exec, exec, s[6:7]
	v_lshrrev_b32_e32 v14, 8, v11
	s_movk_i32 s4, 0x7f
	v_cmp_gt_i16_sdwa s[6:7], v14, s4 src0_sel:BYTE_0 src1_sel:DWORD
	s_mov_b64 s[4:5], 0
                                        ; implicit-def: $sgpr10
	s_and_saveexec_b64 s[8:9], s[6:7]
	s_xor_b64 s[6:7], exec, s[8:9]
	s_cbranch_execnz .LBB7_2861
; %bb.813:
	s_or_saveexec_b64 s[6:7], s[6:7]
	v_mov_b32_e32 v20, s10
	s_xor_b64 exec, exec, s[6:7]
	s_cbranch_execnz .LBB7_2864
.LBB7_814:
	s_or_b64 exec, exec, s[6:7]
	s_and_saveexec_b64 s[6:7], s[4:5]
	s_cbranch_execz .LBB7_816
.LBB7_815:
	v_bfe_u32 v20, v11, 8, 3
	v_ffbh_u32_e32 v22, v20
	v_min_u32_e32 v22, 32, v22
	v_lshrrev_b16_e32 v21, 3, v14
	v_subrev_u32_e32 v23, 28, v22
	v_and_b32_e32 v21, 15, v21
	v_lshlrev_b32_e32 v14, v23, v14
	v_sub_u32_e32 v22, 29, v22
	v_and_b32_e32 v14, 7, v14
	v_cmp_eq_u16_e32 vcc, 0, v21
	v_cndmask_b32_e32 v14, v20, v14, vcc
	v_cndmask_b32_e32 v20, v21, v22, vcc
	v_lshlrev_b32_e32 v21, 16, v11
	v_mov_b32_e32 v22, 0x3b800000
	v_lshlrev_b32_e32 v14, 20, v14
	v_and_b32_e32 v21, 0x80000000, v21
	v_lshl_add_u32 v20, v20, 23, v22
	v_or3_b32 v20, v21, v20, v14
.LBB7_816:
	s_or_b64 exec, exec, s[6:7]
	s_nop 0
	v_mfma_f32_16x16x4f32 a[0:3], v10, v20, a[0:3]
	s_movk_i32 s4, 0xff
	v_and_b32_sdwa v14, v15, s4 dst_sel:DWORD dst_unused:UNUSED_PAD src0_sel:WORD_1 src1_sel:DWORD
	s_movk_i32 s4, 0x7f
	v_cmp_lt_i16_e32 vcc, s4, v14
	s_mov_b64 s[4:5], 0
                                        ; implicit-def: $sgpr10
	s_and_saveexec_b64 s[6:7], vcc
	s_xor_b64 s[6:7], exec, s[6:7]
	s_cbranch_execnz .LBB7_2865
; %bb.817:
	s_or_saveexec_b64 s[6:7], s[6:7]
	v_mov_b32_e32 v10, s10
	s_xor_b64 exec, exec, s[6:7]
	s_cbranch_execnz .LBB7_2868
.LBB7_818:
	s_or_b64 exec, exec, s[6:7]
	s_and_saveexec_b64 s[6:7], s[4:5]
	s_cbranch_execz .LBB7_820
.LBB7_819:
	v_bfe_u32 v10, v15, 16, 3
	v_ffbh_u32_e32 v21, v10
	v_min_u32_e32 v21, 32, v21
	v_lshrrev_b32_e32 v14, 19, v15
	v_subrev_u32_e32 v22, 28, v21
	v_and_b32_e32 v14, 15, v14
	v_lshlrev_b32_sdwa v22, v22, v15 dst_sel:DWORD dst_unused:UNUSED_PAD src0_sel:DWORD src1_sel:WORD_1
	v_bfe_u32 v20, v15, 19, 4
	v_sub_u32_e32 v21, 29, v21
	v_and_b32_e32 v22, 7, v22
	v_cmp_eq_u16_e32 vcc, 0, v14
	v_cndmask_b32_e32 v10, v10, v22, vcc
	v_cndmask_b32_e32 v14, v20, v21, vcc
	v_lshlrev_b32_e32 v20, 8, v15
	v_mov_b32_e32 v21, 0x3b800000
	v_lshlrev_b32_e32 v10, 20, v10
	v_and_b32_e32 v20, 0x80000000, v20
	v_lshl_add_u32 v14, v14, 23, v21
	v_or3_b32 v10, v20, v14, v10
.LBB7_820:
	s_or_b64 exec, exec, s[6:7]
	s_movk_i32 s4, 0xff
	v_and_b32_sdwa v14, v11, s4 dst_sel:DWORD dst_unused:UNUSED_PAD src0_sel:WORD_1 src1_sel:DWORD
	s_movk_i32 s4, 0x7f
	v_cmp_lt_i16_e32 vcc, s4, v14
	s_mov_b64 s[4:5], 0
                                        ; implicit-def: $sgpr10
	s_and_saveexec_b64 s[6:7], vcc
	s_xor_b64 s[6:7], exec, s[6:7]
	s_cbranch_execnz .LBB7_2869
; %bb.821:
	s_or_saveexec_b64 s[6:7], s[6:7]
	v_mov_b32_e32 v20, s10
	s_xor_b64 exec, exec, s[6:7]
	s_cbranch_execnz .LBB7_2872
.LBB7_822:
	s_or_b64 exec, exec, s[6:7]
	s_and_saveexec_b64 s[6:7], s[4:5]
	s_cbranch_execz .LBB7_824
.LBB7_823:
	v_bfe_u32 v14, v11, 16, 3
	v_ffbh_u32_e32 v22, v14
	v_min_u32_e32 v22, 32, v22
	v_lshrrev_b32_e32 v20, 19, v11
	v_subrev_u32_e32 v23, 28, v22
	v_and_b32_e32 v20, 15, v20
	v_lshlrev_b32_sdwa v23, v23, v11 dst_sel:DWORD dst_unused:UNUSED_PAD src0_sel:DWORD src1_sel:WORD_1
	v_bfe_u32 v21, v11, 19, 4
	v_sub_u32_e32 v22, 29, v22
	v_and_b32_e32 v23, 7, v23
	v_cmp_eq_u16_e32 vcc, 0, v20
	v_cndmask_b32_e32 v14, v14, v23, vcc
	v_cndmask_b32_e32 v20, v21, v22, vcc
	v_lshlrev_b32_e32 v21, 8, v11
	v_mov_b32_e32 v22, 0x3b800000
	v_lshlrev_b32_e32 v14, 20, v14
	v_and_b32_e32 v21, 0x80000000, v21
	v_lshl_add_u32 v20, v20, 23, v22
	v_or3_b32 v20, v21, v20, v14
.LBB7_824:
	s_or_b64 exec, exec, s[6:7]
	s_nop 0
	v_mfma_f32_16x16x4f32 a[0:3], v10, v20, a[0:3]
	s_movk_i32 s4, 0x7f
	v_cmp_gt_i16_sdwa s[6:7], v15, s4 src0_sel:BYTE_3 src1_sel:DWORD
	s_mov_b64 s[4:5], 0
                                        ; implicit-def: $sgpr10
	s_and_saveexec_b64 s[8:9], s[6:7]
	s_xor_b64 s[6:7], exec, s[8:9]
	s_cbranch_execnz .LBB7_2873
; %bb.825:
	s_or_saveexec_b64 s[6:7], s[6:7]
	v_mov_b32_e32 v10, s10
	s_xor_b64 exec, exec, s[6:7]
	s_cbranch_execnz .LBB7_2876
.LBB7_826:
	s_or_b64 exec, exec, s[6:7]
	s_and_saveexec_b64 s[6:7], s[4:5]
	s_cbranch_execz .LBB7_828
.LBB7_827:
	v_bfe_u32 v10, v15, 24, 3
	v_ffbh_u32_e32 v22, v10
	v_min_u32_e32 v22, 32, v22
	v_lshrrev_b32_e32 v20, 27, v15
	v_subrev_u32_e32 v23, 28, v22
	v_and_b32_e32 v14, 0x80000000, v15
	v_and_b32_e32 v20, 15, v20
	v_bfe_u32 v21, v15, 27, 4
	v_lshlrev_b32_sdwa v15, v23, v15 dst_sel:DWORD dst_unused:UNUSED_PAD src0_sel:DWORD src1_sel:BYTE_3
	v_sub_u32_e32 v22, 29, v22
	v_and_b32_e32 v15, 7, v15
	v_cmp_eq_u16_e32 vcc, 0, v20
	v_cndmask_b32_e32 v10, v10, v15, vcc
	v_cndmask_b32_e32 v15, v21, v22, vcc
	v_mov_b32_e32 v20, 0x3b800000
	v_lshlrev_b32_e32 v10, 20, v10
	v_lshl_add_u32 v15, v15, 23, v20
	v_or3_b32 v10, v14, v15, v10
.LBB7_828:
	s_or_b64 exec, exec, s[6:7]
	s_movk_i32 s4, 0x7f
	v_cmp_gt_i16_sdwa s[6:7], v11, s4 src0_sel:BYTE_3 src1_sel:DWORD
	s_mov_b64 s[4:5], 0
                                        ; implicit-def: $sgpr10
	s_and_saveexec_b64 s[8:9], s[6:7]
	s_xor_b64 s[6:7], exec, s[8:9]
	s_cbranch_execnz .LBB7_2877
; %bb.829:
	s_or_saveexec_b64 s[6:7], s[6:7]
	v_mov_b32_e32 v14, s10
	s_xor_b64 exec, exec, s[6:7]
	s_cbranch_execnz .LBB7_2880
.LBB7_830:
	s_or_b64 exec, exec, s[6:7]
	s_and_saveexec_b64 s[6:7], s[4:5]
	s_cbranch_execz .LBB7_832
.LBB7_831:
	v_bfe_u32 v14, v11, 24, 3
	v_ffbh_u32_e32 v22, v14
	v_min_u32_e32 v22, 32, v22
	v_lshrrev_b32_e32 v20, 27, v11
	v_subrev_u32_e32 v23, 28, v22
	v_and_b32_e32 v15, 0x80000000, v11
	v_and_b32_e32 v20, 15, v20
	v_bfe_u32 v21, v11, 27, 4
	v_lshlrev_b32_sdwa v11, v23, v11 dst_sel:DWORD dst_unused:UNUSED_PAD src0_sel:DWORD src1_sel:BYTE_3
	v_sub_u32_e32 v22, 29, v22
	v_and_b32_e32 v11, 7, v11
	v_cmp_eq_u16_e32 vcc, 0, v20
	v_cndmask_b32_e32 v11, v14, v11, vcc
	v_cndmask_b32_e32 v14, v21, v22, vcc
	v_mov_b32_e32 v20, 0x3b800000
	v_lshlrev_b32_e32 v11, 20, v11
	v_lshl_add_u32 v14, v14, 23, v20
	v_or3_b32 v14, v15, v14, v11
.LBB7_832:
	s_or_b64 exec, exec, s[6:7]
	s_nop 0
	v_mfma_f32_16x16x4f32 a[0:3], v10, v14, a[0:3]
	s_movk_i32 s4, 0x7f
	v_cmp_gt_i16_sdwa s[6:7], v16, s4 src0_sel:BYTE_0 src1_sel:DWORD
	s_mov_b64 s[4:5], 0
                                        ; implicit-def: $sgpr10
	s_and_saveexec_b64 s[8:9], s[6:7]
	s_xor_b64 s[6:7], exec, s[8:9]
	s_cbranch_execnz .LBB7_2881
; %bb.833:
	s_or_saveexec_b64 s[6:7], s[6:7]
	v_mov_b32_e32 v10, s10
	s_xor_b64 exec, exec, s[6:7]
	s_cbranch_execnz .LBB7_2884
.LBB7_834:
	s_or_b64 exec, exec, s[6:7]
	s_and_saveexec_b64 s[6:7], s[4:5]
	s_cbranch_execz .LBB7_836
.LBB7_835:
	v_and_b32_e32 v10, 7, v16
	v_ffbh_u32_e32 v14, v10
	v_min_u32_e32 v14, 32, v14
	v_lshrrev_b16_e32 v11, 3, v16
	v_subrev_u32_e32 v15, 28, v14
	v_and_b32_e32 v11, 15, v11
	v_lshlrev_b32_e32 v15, v15, v16
	v_sub_u32_e32 v14, 29, v14
	v_and_b32_e32 v15, 7, v15
	v_cmp_eq_u16_e32 vcc, 0, v11
	v_cndmask_b32_e32 v10, v10, v15, vcc
	v_cndmask_b32_e32 v11, v11, v14, vcc
	v_lshlrev_b32_e32 v14, 24, v16
	v_mov_b32_e32 v15, 0x3b800000
	v_lshlrev_b32_e32 v10, 20, v10
	v_and_b32_e32 v14, 0x80000000, v14
	v_lshl_add_u32 v11, v11, 23, v15
	v_or3_b32 v10, v14, v11, v10
.LBB7_836:
	s_or_b64 exec, exec, s[6:7]
	s_movk_i32 s4, 0x7f
	v_cmp_gt_i16_sdwa s[6:7], v12, s4 src0_sel:BYTE_0 src1_sel:DWORD
	s_mov_b64 s[4:5], 0
                                        ; implicit-def: $sgpr10
	s_and_saveexec_b64 s[8:9], s[6:7]
	s_xor_b64 s[6:7], exec, s[8:9]
	s_cbranch_execnz .LBB7_2885
; %bb.837:
	s_or_saveexec_b64 s[6:7], s[6:7]
	v_mov_b32_e32 v11, s10
	s_xor_b64 exec, exec, s[6:7]
	s_cbranch_execnz .LBB7_2888
.LBB7_838:
	s_or_b64 exec, exec, s[6:7]
	s_and_saveexec_b64 s[6:7], s[4:5]
	s_cbranch_execz .LBB7_840
.LBB7_839:
	v_and_b32_e32 v11, 7, v12
	v_ffbh_u32_e32 v15, v11
	v_min_u32_e32 v15, 32, v15
	v_lshrrev_b16_e32 v14, 3, v12
	v_subrev_u32_e32 v20, 28, v15
	v_and_b32_e32 v14, 15, v14
	v_lshlrev_b32_e32 v20, v20, v12
	v_sub_u32_e32 v15, 29, v15
	v_and_b32_e32 v20, 7, v20
	v_cmp_eq_u16_e32 vcc, 0, v14
	v_cndmask_b32_e32 v11, v11, v20, vcc
	v_cndmask_b32_e32 v14, v14, v15, vcc
	v_lshlrev_b32_e32 v15, 24, v12
	v_mov_b32_e32 v20, 0x3b800000
	v_lshlrev_b32_e32 v11, 20, v11
	v_and_b32_e32 v15, 0x80000000, v15
	v_lshl_add_u32 v14, v14, 23, v20
	v_or3_b32 v11, v15, v14, v11
.LBB7_840:
	s_or_b64 exec, exec, s[6:7]
	s_nop 0
	v_mfma_f32_16x16x4f32 a[0:3], v10, v11, a[0:3]
	v_lshrrev_b32_e32 v11, 8, v16
	s_movk_i32 s4, 0x7f
	v_cmp_gt_i16_sdwa s[6:7], v11, s4 src0_sel:BYTE_0 src1_sel:DWORD
	s_mov_b64 s[4:5], 0
                                        ; implicit-def: $sgpr10
	s_and_saveexec_b64 s[8:9], s[6:7]
	s_xor_b64 s[6:7], exec, s[8:9]
	s_cbranch_execnz .LBB7_2889
; %bb.841:
	s_or_saveexec_b64 s[6:7], s[6:7]
	v_mov_b32_e32 v10, s10
	s_xor_b64 exec, exec, s[6:7]
	s_cbranch_execnz .LBB7_2892
.LBB7_842:
	s_or_b64 exec, exec, s[6:7]
	s_and_saveexec_b64 s[6:7], s[4:5]
	s_cbranch_execz .LBB7_844
.LBB7_843:
	v_bfe_u32 v10, v16, 8, 3
	v_ffbh_u32_e32 v15, v10
	v_min_u32_e32 v15, 32, v15
	v_lshrrev_b16_e32 v14, 3, v11
	v_subrev_u32_e32 v20, 28, v15
	v_and_b32_e32 v14, 15, v14
	v_lshlrev_b32_e32 v11, v20, v11
	v_sub_u32_e32 v15, 29, v15
	v_and_b32_e32 v11, 7, v11
	v_cmp_eq_u16_e32 vcc, 0, v14
	v_cndmask_b32_e32 v10, v10, v11, vcc
	v_cndmask_b32_e32 v11, v14, v15, vcc
	v_lshlrev_b32_e32 v14, 16, v16
	v_mov_b32_e32 v15, 0x3b800000
	v_lshlrev_b32_e32 v10, 20, v10
	v_and_b32_e32 v14, 0x80000000, v14
	v_lshl_add_u32 v11, v11, 23, v15
	v_or3_b32 v10, v14, v11, v10
.LBB7_844:
	s_or_b64 exec, exec, s[6:7]
	v_lshrrev_b32_e32 v11, 8, v12
	s_movk_i32 s4, 0x7f
	v_cmp_gt_i16_sdwa s[6:7], v11, s4 src0_sel:BYTE_0 src1_sel:DWORD
	s_mov_b64 s[4:5], 0
                                        ; implicit-def: $sgpr10
	s_and_saveexec_b64 s[8:9], s[6:7]
	s_xor_b64 s[6:7], exec, s[8:9]
	s_cbranch_execnz .LBB7_2893
; %bb.845:
	s_or_saveexec_b64 s[6:7], s[6:7]
	v_mov_b32_e32 v14, s10
	s_xor_b64 exec, exec, s[6:7]
	s_cbranch_execnz .LBB7_2896
.LBB7_846:
	s_or_b64 exec, exec, s[6:7]
	s_and_saveexec_b64 s[6:7], s[4:5]
	s_cbranch_execz .LBB7_848
.LBB7_847:
	v_bfe_u32 v14, v12, 8, 3
	v_ffbh_u32_e32 v20, v14
	v_min_u32_e32 v20, 32, v20
	v_lshrrev_b16_e32 v15, 3, v11
	v_subrev_u32_e32 v21, 28, v20
	v_and_b32_e32 v15, 15, v15
	v_lshlrev_b32_e32 v11, v21, v11
	v_sub_u32_e32 v20, 29, v20
	v_and_b32_e32 v11, 7, v11
	v_cmp_eq_u16_e32 vcc, 0, v15
	v_cndmask_b32_e32 v11, v14, v11, vcc
	v_cndmask_b32_e32 v14, v15, v20, vcc
	v_lshlrev_b32_e32 v15, 16, v12
	v_mov_b32_e32 v20, 0x3b800000
	v_lshlrev_b32_e32 v11, 20, v11
	v_and_b32_e32 v15, 0x80000000, v15
	v_lshl_add_u32 v14, v14, 23, v20
	v_or3_b32 v14, v15, v14, v11
.LBB7_848:
	s_or_b64 exec, exec, s[6:7]
	s_nop 0
	v_mfma_f32_16x16x4f32 a[0:3], v10, v14, a[0:3]
	s_movk_i32 s4, 0xff
	v_and_b32_sdwa v11, v16, s4 dst_sel:DWORD dst_unused:UNUSED_PAD src0_sel:WORD_1 src1_sel:DWORD
	s_movk_i32 s4, 0x7f
	v_cmp_lt_i16_e32 vcc, s4, v11
	s_mov_b64 s[4:5], 0
                                        ; implicit-def: $sgpr10
	s_and_saveexec_b64 s[6:7], vcc
	s_xor_b64 s[6:7], exec, s[6:7]
	s_cbranch_execnz .LBB7_2897
; %bb.849:
	s_or_saveexec_b64 s[6:7], s[6:7]
	v_mov_b32_e32 v10, s10
	s_xor_b64 exec, exec, s[6:7]
	s_cbranch_execnz .LBB7_2900
.LBB7_850:
	s_or_b64 exec, exec, s[6:7]
	s_and_saveexec_b64 s[6:7], s[4:5]
	s_cbranch_execz .LBB7_852
.LBB7_851:
	v_bfe_u32 v10, v16, 16, 3
	v_ffbh_u32_e32 v15, v10
	v_min_u32_e32 v15, 32, v15
	v_lshrrev_b32_e32 v11, 19, v16
	v_subrev_u32_e32 v20, 28, v15
	v_and_b32_e32 v11, 15, v11
	v_lshlrev_b32_sdwa v20, v20, v16 dst_sel:DWORD dst_unused:UNUSED_PAD src0_sel:DWORD src1_sel:WORD_1
	v_bfe_u32 v14, v16, 19, 4
	v_sub_u32_e32 v15, 29, v15
	v_and_b32_e32 v20, 7, v20
	v_cmp_eq_u16_e32 vcc, 0, v11
	v_cndmask_b32_e32 v10, v10, v20, vcc
	v_cndmask_b32_e32 v11, v14, v15, vcc
	v_lshlrev_b32_e32 v14, 8, v16
	v_mov_b32_e32 v15, 0x3b800000
	v_lshlrev_b32_e32 v10, 20, v10
	v_and_b32_e32 v14, 0x80000000, v14
	v_lshl_add_u32 v11, v11, 23, v15
	v_or3_b32 v10, v14, v11, v10
.LBB7_852:
	s_or_b64 exec, exec, s[6:7]
	s_movk_i32 s4, 0xff
	v_and_b32_sdwa v11, v12, s4 dst_sel:DWORD dst_unused:UNUSED_PAD src0_sel:WORD_1 src1_sel:DWORD
	s_movk_i32 s4, 0x7f
	v_cmp_lt_i16_e32 vcc, s4, v11
	s_mov_b64 s[4:5], 0
                                        ; implicit-def: $sgpr10
	s_and_saveexec_b64 s[6:7], vcc
	s_xor_b64 s[6:7], exec, s[6:7]
	s_cbranch_execnz .LBB7_2901
; %bb.853:
	s_or_saveexec_b64 s[6:7], s[6:7]
	v_mov_b32_e32 v14, s10
	s_xor_b64 exec, exec, s[6:7]
	s_cbranch_execnz .LBB7_2904
.LBB7_854:
	s_or_b64 exec, exec, s[6:7]
	s_and_saveexec_b64 s[6:7], s[4:5]
	s_cbranch_execz .LBB7_856
.LBB7_855:
	v_bfe_u32 v11, v12, 16, 3
	v_ffbh_u32_e32 v20, v11
	v_min_u32_e32 v20, 32, v20
	v_lshrrev_b32_e32 v14, 19, v12
	v_subrev_u32_e32 v21, 28, v20
	v_and_b32_e32 v14, 15, v14
	v_lshlrev_b32_sdwa v21, v21, v12 dst_sel:DWORD dst_unused:UNUSED_PAD src0_sel:DWORD src1_sel:WORD_1
	v_bfe_u32 v15, v12, 19, 4
	v_sub_u32_e32 v20, 29, v20
	v_and_b32_e32 v21, 7, v21
	v_cmp_eq_u16_e32 vcc, 0, v14
	v_cndmask_b32_e32 v11, v11, v21, vcc
	v_cndmask_b32_e32 v14, v15, v20, vcc
	v_lshlrev_b32_e32 v15, 8, v12
	v_mov_b32_e32 v20, 0x3b800000
	v_lshlrev_b32_e32 v11, 20, v11
	v_and_b32_e32 v15, 0x80000000, v15
	v_lshl_add_u32 v14, v14, 23, v20
	v_or3_b32 v14, v15, v14, v11
.LBB7_856:
	s_or_b64 exec, exec, s[6:7]
	s_nop 0
	v_mfma_f32_16x16x4f32 a[0:3], v10, v14, a[0:3]
	s_movk_i32 s4, 0x7f
	v_cmp_gt_i16_sdwa s[6:7], v16, s4 src0_sel:BYTE_3 src1_sel:DWORD
	s_mov_b64 s[4:5], 0
                                        ; implicit-def: $sgpr10
	s_and_saveexec_b64 s[8:9], s[6:7]
	s_xor_b64 s[6:7], exec, s[8:9]
	s_cbranch_execnz .LBB7_2905
; %bb.857:
	s_or_saveexec_b64 s[6:7], s[6:7]
	v_mov_b32_e32 v10, s10
	s_xor_b64 exec, exec, s[6:7]
	s_cbranch_execnz .LBB7_2908
.LBB7_858:
	s_or_b64 exec, exec, s[6:7]
	s_and_saveexec_b64 s[6:7], s[4:5]
	s_cbranch_execz .LBB7_860
.LBB7_859:
	v_bfe_u32 v10, v16, 24, 3
	v_ffbh_u32_e32 v20, v10
	v_min_u32_e32 v20, 32, v20
	v_lshrrev_b32_e32 v14, 27, v16
	v_subrev_u32_e32 v21, 28, v20
	v_and_b32_e32 v11, 0x80000000, v16
	v_and_b32_e32 v14, 15, v14
	v_bfe_u32 v15, v16, 27, 4
	v_lshlrev_b32_sdwa v16, v21, v16 dst_sel:DWORD dst_unused:UNUSED_PAD src0_sel:DWORD src1_sel:BYTE_3
	v_sub_u32_e32 v20, 29, v20
	v_and_b32_e32 v16, 7, v16
	v_cmp_eq_u16_e32 vcc, 0, v14
	v_cndmask_b32_e32 v10, v10, v16, vcc
	v_cndmask_b32_e32 v14, v15, v20, vcc
	v_mov_b32_e32 v15, 0x3b800000
	v_lshlrev_b32_e32 v10, 20, v10
	v_lshl_add_u32 v14, v14, 23, v15
	v_or3_b32 v10, v11, v14, v10
.LBB7_860:
	s_or_b64 exec, exec, s[6:7]
	s_movk_i32 s4, 0x7f
	v_cmp_gt_i16_sdwa s[6:7], v12, s4 src0_sel:BYTE_3 src1_sel:DWORD
	s_mov_b64 s[4:5], 0
                                        ; implicit-def: $sgpr10
	s_and_saveexec_b64 s[8:9], s[6:7]
	s_xor_b64 s[6:7], exec, s[8:9]
	s_cbranch_execnz .LBB7_2909
; %bb.861:
	s_or_saveexec_b64 s[6:7], s[6:7]
	v_mov_b32_e32 v11, s10
	s_xor_b64 exec, exec, s[6:7]
	s_cbranch_execnz .LBB7_2912
.LBB7_862:
	s_or_b64 exec, exec, s[6:7]
	s_and_saveexec_b64 s[6:7], s[4:5]
	s_cbranch_execz .LBB7_864
.LBB7_863:
	v_bfe_u32 v11, v12, 24, 3
	v_ffbh_u32_e32 v20, v11
	v_min_u32_e32 v20, 32, v20
	v_lshrrev_b32_e32 v15, 27, v12
	v_subrev_u32_e32 v21, 28, v20
	v_and_b32_e32 v14, 0x80000000, v12
	v_and_b32_e32 v15, 15, v15
	v_bfe_u32 v16, v12, 27, 4
	v_lshlrev_b32_sdwa v12, v21, v12 dst_sel:DWORD dst_unused:UNUSED_PAD src0_sel:DWORD src1_sel:BYTE_3
	v_sub_u32_e32 v20, 29, v20
	v_and_b32_e32 v12, 7, v12
	v_cmp_eq_u16_e32 vcc, 0, v15
	v_cndmask_b32_e32 v11, v11, v12, vcc
	v_cndmask_b32_e32 v12, v16, v20, vcc
	v_mov_b32_e32 v15, 0x3b800000
	v_lshlrev_b32_e32 v11, 20, v11
	v_lshl_add_u32 v12, v12, 23, v15
	v_or3_b32 v11, v14, v12, v11
.LBB7_864:
	s_or_b64 exec, exec, s[6:7]
	s_nop 0
	v_mfma_f32_16x16x4f32 a[0:3], v10, v11, a[0:3]
	s_movk_i32 s4, 0x7f
	v_cmp_gt_i16_sdwa s[6:7], v17, s4 src0_sel:BYTE_0 src1_sel:DWORD
	s_mov_b64 s[4:5], 0
                                        ; implicit-def: $sgpr10
	s_and_saveexec_b64 s[8:9], s[6:7]
	s_xor_b64 s[6:7], exec, s[8:9]
	s_cbranch_execnz .LBB7_2913
; %bb.865:
	s_or_saveexec_b64 s[6:7], s[6:7]
	v_mov_b32_e32 v10, s10
	s_xor_b64 exec, exec, s[6:7]
	s_cbranch_execnz .LBB7_2916
.LBB7_866:
	s_or_b64 exec, exec, s[6:7]
	s_and_saveexec_b64 s[6:7], s[4:5]
	s_cbranch_execz .LBB7_868
.LBB7_867:
	v_and_b32_e32 v10, 7, v17
	v_ffbh_u32_e32 v12, v10
	v_min_u32_e32 v12, 32, v12
	v_lshrrev_b16_e32 v11, 3, v17
	v_subrev_u32_e32 v14, 28, v12
	v_and_b32_e32 v11, 15, v11
	v_lshlrev_b32_e32 v14, v14, v17
	v_sub_u32_e32 v12, 29, v12
	v_and_b32_e32 v14, 7, v14
	v_cmp_eq_u16_e32 vcc, 0, v11
	v_cndmask_b32_e32 v10, v10, v14, vcc
	v_cndmask_b32_e32 v11, v11, v12, vcc
	v_lshlrev_b32_e32 v12, 24, v17
	v_mov_b32_e32 v14, 0x3b800000
	v_lshlrev_b32_e32 v10, 20, v10
	v_and_b32_e32 v12, 0x80000000, v12
	v_lshl_add_u32 v11, v11, 23, v14
	v_or3_b32 v10, v12, v11, v10
.LBB7_868:
	s_or_b64 exec, exec, s[6:7]
	s_movk_i32 s4, 0x7f
	v_cmp_gt_i16_sdwa s[6:7], v13, s4 src0_sel:BYTE_0 src1_sel:DWORD
	s_mov_b64 s[4:5], 0
                                        ; implicit-def: $sgpr10
	s_and_saveexec_b64 s[8:9], s[6:7]
	s_xor_b64 s[6:7], exec, s[8:9]
	s_cbranch_execnz .LBB7_2917
; %bb.869:
	s_or_saveexec_b64 s[6:7], s[6:7]
	v_mov_b32_e32 v11, s10
	s_xor_b64 exec, exec, s[6:7]
	s_cbranch_execnz .LBB7_2920
.LBB7_870:
	s_or_b64 exec, exec, s[6:7]
	s_and_saveexec_b64 s[6:7], s[4:5]
	s_cbranch_execz .LBB7_872
.LBB7_871:
	v_and_b32_e32 v11, 7, v13
	v_ffbh_u32_e32 v14, v11
	v_min_u32_e32 v14, 32, v14
	v_lshrrev_b16_e32 v12, 3, v13
	v_subrev_u32_e32 v15, 28, v14
	v_and_b32_e32 v12, 15, v12
	v_lshlrev_b32_e32 v15, v15, v13
	v_sub_u32_e32 v14, 29, v14
	v_and_b32_e32 v15, 7, v15
	v_cmp_eq_u16_e32 vcc, 0, v12
	v_cndmask_b32_e32 v11, v11, v15, vcc
	v_cndmask_b32_e32 v12, v12, v14, vcc
	v_lshlrev_b32_e32 v14, 24, v13
	v_mov_b32_e32 v15, 0x3b800000
	v_lshlrev_b32_e32 v11, 20, v11
	v_and_b32_e32 v14, 0x80000000, v14
	v_lshl_add_u32 v12, v12, 23, v15
	v_or3_b32 v11, v14, v12, v11
.LBB7_872:
	s_or_b64 exec, exec, s[6:7]
	s_nop 0
	v_mfma_f32_16x16x4f32 a[0:3], v10, v11, a[0:3]
	v_lshrrev_b32_e32 v11, 8, v17
	s_movk_i32 s4, 0x7f
	v_cmp_gt_i16_sdwa s[6:7], v11, s4 src0_sel:BYTE_0 src1_sel:DWORD
	s_mov_b64 s[4:5], 0
                                        ; implicit-def: $sgpr10
	s_and_saveexec_b64 s[8:9], s[6:7]
	s_xor_b64 s[6:7], exec, s[8:9]
	s_cbranch_execnz .LBB7_2921
; %bb.873:
	s_or_saveexec_b64 s[6:7], s[6:7]
	v_mov_b32_e32 v10, s10
	s_xor_b64 exec, exec, s[6:7]
	s_cbranch_execnz .LBB7_2924
.LBB7_874:
	s_or_b64 exec, exec, s[6:7]
	s_and_saveexec_b64 s[6:7], s[4:5]
	s_cbranch_execz .LBB7_876
.LBB7_875:
	v_bfe_u32 v10, v17, 8, 3
	v_ffbh_u32_e32 v14, v10
	v_min_u32_e32 v14, 32, v14
	v_lshrrev_b16_e32 v12, 3, v11
	v_subrev_u32_e32 v15, 28, v14
	v_and_b32_e32 v12, 15, v12
	v_lshlrev_b32_e32 v11, v15, v11
	v_sub_u32_e32 v14, 29, v14
	v_and_b32_e32 v11, 7, v11
	v_cmp_eq_u16_e32 vcc, 0, v12
	v_cndmask_b32_e32 v10, v10, v11, vcc
	v_cndmask_b32_e32 v11, v12, v14, vcc
	v_lshlrev_b32_e32 v12, 16, v17
	v_mov_b32_e32 v14, 0x3b800000
	v_lshlrev_b32_e32 v10, 20, v10
	v_and_b32_e32 v12, 0x80000000, v12
	v_lshl_add_u32 v11, v11, 23, v14
	v_or3_b32 v10, v12, v11, v10
.LBB7_876:
	s_or_b64 exec, exec, s[6:7]
	v_lshrrev_b32_e32 v11, 8, v13
	s_movk_i32 s4, 0x7f
	v_cmp_gt_i16_sdwa s[6:7], v11, s4 src0_sel:BYTE_0 src1_sel:DWORD
	s_mov_b64 s[4:5], 0
                                        ; implicit-def: $sgpr10
	s_and_saveexec_b64 s[8:9], s[6:7]
	s_xor_b64 s[6:7], exec, s[8:9]
	s_cbranch_execnz .LBB7_2925
; %bb.877:
	s_or_saveexec_b64 s[6:7], s[6:7]
	v_mov_b32_e32 v12, s10
	s_xor_b64 exec, exec, s[6:7]
	s_cbranch_execnz .LBB7_2928
.LBB7_878:
	s_or_b64 exec, exec, s[6:7]
	s_and_saveexec_b64 s[6:7], s[4:5]
	s_cbranch_execz .LBB7_880
.LBB7_879:
	v_bfe_u32 v12, v13, 8, 3
	v_ffbh_u32_e32 v15, v12
	v_min_u32_e32 v15, 32, v15
	v_lshrrev_b16_e32 v14, 3, v11
	v_subrev_u32_e32 v16, 28, v15
	v_and_b32_e32 v14, 15, v14
	v_lshlrev_b32_e32 v11, v16, v11
	v_sub_u32_e32 v15, 29, v15
	v_and_b32_e32 v11, 7, v11
	v_cmp_eq_u16_e32 vcc, 0, v14
	v_cndmask_b32_e32 v11, v12, v11, vcc
	v_cndmask_b32_e32 v12, v14, v15, vcc
	v_lshlrev_b32_e32 v14, 16, v13
	v_mov_b32_e32 v15, 0x3b800000
	v_lshlrev_b32_e32 v11, 20, v11
	v_and_b32_e32 v14, 0x80000000, v14
	v_lshl_add_u32 v12, v12, 23, v15
	v_or3_b32 v12, v14, v12, v11
.LBB7_880:
	s_or_b64 exec, exec, s[6:7]
	s_nop 0
	v_mfma_f32_16x16x4f32 a[0:3], v10, v12, a[0:3]
	s_movk_i32 s4, 0xff
	v_and_b32_sdwa v11, v17, s4 dst_sel:DWORD dst_unused:UNUSED_PAD src0_sel:WORD_1 src1_sel:DWORD
	s_movk_i32 s4, 0x7f
	v_cmp_lt_i16_e32 vcc, s4, v11
	s_mov_b64 s[4:5], 0
                                        ; implicit-def: $sgpr10
	s_and_saveexec_b64 s[6:7], vcc
	s_xor_b64 s[6:7], exec, s[6:7]
	s_cbranch_execnz .LBB7_2929
; %bb.881:
	s_or_saveexec_b64 s[6:7], s[6:7]
	v_mov_b32_e32 v10, s10
	s_xor_b64 exec, exec, s[6:7]
	s_cbranch_execnz .LBB7_2932
.LBB7_882:
	s_or_b64 exec, exec, s[6:7]
	s_and_saveexec_b64 s[6:7], s[4:5]
	s_cbranch_execz .LBB7_884
.LBB7_883:
	v_bfe_u32 v10, v17, 16, 3
	v_ffbh_u32_e32 v14, v10
	v_min_u32_e32 v14, 32, v14
	v_lshrrev_b32_e32 v11, 19, v17
	v_subrev_u32_e32 v15, 28, v14
	v_and_b32_e32 v11, 15, v11
	v_lshlrev_b32_sdwa v15, v15, v17 dst_sel:DWORD dst_unused:UNUSED_PAD src0_sel:DWORD src1_sel:WORD_1
	v_bfe_u32 v12, v17, 19, 4
	v_sub_u32_e32 v14, 29, v14
	v_and_b32_e32 v15, 7, v15
	v_cmp_eq_u16_e32 vcc, 0, v11
	v_cndmask_b32_e32 v10, v10, v15, vcc
	v_cndmask_b32_e32 v11, v12, v14, vcc
	v_lshlrev_b32_e32 v12, 8, v17
	v_mov_b32_e32 v14, 0x3b800000
	v_lshlrev_b32_e32 v10, 20, v10
	v_and_b32_e32 v12, 0x80000000, v12
	v_lshl_add_u32 v11, v11, 23, v14
	v_or3_b32 v10, v12, v11, v10
.LBB7_884:
	s_or_b64 exec, exec, s[6:7]
	s_movk_i32 s4, 0xff
	v_and_b32_sdwa v11, v13, s4 dst_sel:DWORD dst_unused:UNUSED_PAD src0_sel:WORD_1 src1_sel:DWORD
	s_movk_i32 s4, 0x7f
	v_cmp_lt_i16_e32 vcc, s4, v11
	s_mov_b64 s[4:5], 0
                                        ; implicit-def: $sgpr10
	s_and_saveexec_b64 s[6:7], vcc
	s_xor_b64 s[6:7], exec, s[6:7]
	s_cbranch_execnz .LBB7_2933
; %bb.885:
	s_or_saveexec_b64 s[6:7], s[6:7]
	v_mov_b32_e32 v12, s10
	s_xor_b64 exec, exec, s[6:7]
	s_cbranch_execnz .LBB7_2936
.LBB7_886:
	s_or_b64 exec, exec, s[6:7]
	s_and_saveexec_b64 s[6:7], s[4:5]
	s_cbranch_execz .LBB7_888
.LBB7_887:
	v_bfe_u32 v11, v13, 16, 3
	v_ffbh_u32_e32 v15, v11
	v_min_u32_e32 v15, 32, v15
	v_lshrrev_b32_e32 v12, 19, v13
	v_subrev_u32_e32 v16, 28, v15
	v_and_b32_e32 v12, 15, v12
	v_lshlrev_b32_sdwa v16, v16, v13 dst_sel:DWORD dst_unused:UNUSED_PAD src0_sel:DWORD src1_sel:WORD_1
	v_bfe_u32 v14, v13, 19, 4
	v_sub_u32_e32 v15, 29, v15
	v_and_b32_e32 v16, 7, v16
	v_cmp_eq_u16_e32 vcc, 0, v12
	v_cndmask_b32_e32 v11, v11, v16, vcc
	v_cndmask_b32_e32 v12, v14, v15, vcc
	v_lshlrev_b32_e32 v14, 8, v13
	v_mov_b32_e32 v15, 0x3b800000
	v_lshlrev_b32_e32 v11, 20, v11
	v_and_b32_e32 v14, 0x80000000, v14
	v_lshl_add_u32 v12, v12, 23, v15
	v_or3_b32 v12, v14, v12, v11
.LBB7_888:
	s_or_b64 exec, exec, s[6:7]
	s_nop 0
	v_mfma_f32_16x16x4f32 a[0:3], v10, v12, a[0:3]
	s_movk_i32 s4, 0x7f
	v_cmp_gt_i16_sdwa s[6:7], v17, s4 src0_sel:BYTE_3 src1_sel:DWORD
	s_mov_b64 s[4:5], 0
                                        ; implicit-def: $sgpr10
	s_and_saveexec_b64 s[8:9], s[6:7]
	s_xor_b64 s[6:7], exec, s[8:9]
	s_cbranch_execnz .LBB7_2937
; %bb.889:
	s_or_saveexec_b64 s[6:7], s[6:7]
	v_mov_b32_e32 v10, s10
	s_xor_b64 exec, exec, s[6:7]
	s_cbranch_execnz .LBB7_2940
.LBB7_890:
	s_or_b64 exec, exec, s[6:7]
	s_and_saveexec_b64 s[6:7], s[4:5]
	s_cbranch_execz .LBB7_892
.LBB7_891:
	v_bfe_u32 v10, v17, 24, 3
	v_ffbh_u32_e32 v15, v10
	v_min_u32_e32 v15, 32, v15
	v_lshrrev_b32_e32 v12, 27, v17
	v_subrev_u32_e32 v16, 28, v15
	v_and_b32_e32 v12, 15, v12
	v_lshlrev_b32_sdwa v16, v16, v17 dst_sel:DWORD dst_unused:UNUSED_PAD src0_sel:DWORD src1_sel:BYTE_3
	v_bfe_u32 v14, v17, 27, 4
	v_sub_u32_e32 v15, 29, v15
	v_and_b32_e32 v16, 7, v16
	v_cmp_eq_u16_e32 vcc, 0, v12
	v_cndmask_b32_e32 v10, v10, v16, vcc
	v_cndmask_b32_e32 v12, v14, v15, vcc
	v_mov_b32_e32 v14, 0x3b800000
	v_and_b32_e32 v11, 0x80000000, v17
	v_lshlrev_b32_e32 v10, 20, v10
	v_lshl_add_u32 v12, v12, 23, v14
	v_or3_b32 v10, v11, v12, v10
.LBB7_892:
	s_or_b64 exec, exec, s[6:7]
	s_movk_i32 s4, 0x7f
	v_cmp_gt_i16_sdwa s[6:7], v13, s4 src0_sel:BYTE_3 src1_sel:DWORD
	s_mov_b64 s[4:5], 0
                                        ; implicit-def: $sgpr10
	s_and_saveexec_b64 s[8:9], s[6:7]
	s_xor_b64 s[6:7], exec, s[8:9]
	s_cbranch_execnz .LBB7_2941
; %bb.893:
	s_or_saveexec_b64 s[6:7], s[6:7]
	v_mov_b32_e32 v11, s10
	s_xor_b64 exec, exec, s[6:7]
	s_cbranch_execnz .LBB7_2944
.LBB7_894:
	s_or_b64 exec, exec, s[6:7]
	s_and_saveexec_b64 s[6:7], s[4:5]
	s_cbranch_execz .LBB7_896
.LBB7_895:
	v_bfe_u32 v11, v13, 24, 3
	v_ffbh_u32_e32 v16, v11
	v_min_u32_e32 v16, 32, v16
	v_lshrrev_b32_e32 v14, 27, v13
	v_subrev_u32_e32 v17, 28, v16
	v_and_b32_e32 v12, 0x80000000, v13
	v_and_b32_e32 v14, 15, v14
	v_bfe_u32 v15, v13, 27, 4
	v_lshlrev_b32_sdwa v13, v17, v13 dst_sel:DWORD dst_unused:UNUSED_PAD src0_sel:DWORD src1_sel:BYTE_3
	v_sub_u32_e32 v16, 29, v16
	v_and_b32_e32 v13, 7, v13
	v_cmp_eq_u16_e32 vcc, 0, v14
	v_cndmask_b32_e32 v11, v11, v13, vcc
	v_cndmask_b32_e32 v13, v15, v16, vcc
	v_mov_b32_e32 v14, 0x3b800000
	v_lshlrev_b32_e32 v11, 20, v11
	v_lshl_add_u32 v13, v13, 23, v14
	v_or3_b32 v11, v12, v13, v11
.LBB7_896:
	s_or_b64 exec, exec, s[6:7]
	s_nop 0
	v_mfma_f32_16x16x4f32 a[0:3], v10, v11, a[0:3]
	s_movk_i32 s4, 0x7f
	v_cmp_gt_i16_sdwa s[6:7], v6, s4 src0_sel:BYTE_0 src1_sel:DWORD
	s_mov_b64 s[4:5], 0
                                        ; implicit-def: $sgpr10
	s_and_saveexec_b64 s[8:9], s[6:7]
	s_xor_b64 s[6:7], exec, s[8:9]
	s_cbranch_execnz .LBB7_2945
; %bb.897:
	s_or_saveexec_b64 s[6:7], s[6:7]
	v_mov_b32_e32 v10, s10
	s_xor_b64 exec, exec, s[6:7]
	s_cbranch_execnz .LBB7_2948
.LBB7_898:
	s_or_b64 exec, exec, s[6:7]
	s_and_saveexec_b64 s[6:7], s[4:5]
	s_cbranch_execz .LBB7_900
.LBB7_899:
	v_and_b32_e32 v10, 7, v6
	v_ffbh_u32_e32 v12, v10
	v_min_u32_e32 v12, 32, v12
	v_lshrrev_b16_e32 v11, 3, v6
	v_subrev_u32_e32 v13, 28, v12
	v_and_b32_e32 v11, 15, v11
	v_lshlrev_b32_e32 v13, v13, v6
	v_sub_u32_e32 v12, 29, v12
	v_and_b32_e32 v13, 7, v13
	v_cmp_eq_u16_e32 vcc, 0, v11
	v_cndmask_b32_e32 v10, v10, v13, vcc
	v_cndmask_b32_e32 v11, v11, v12, vcc
	v_lshlrev_b32_e32 v12, 24, v6
	v_mov_b32_e32 v13, 0x3b800000
	v_lshlrev_b32_e32 v10, 20, v10
	v_and_b32_e32 v12, 0x80000000, v12
	v_lshl_add_u32 v11, v11, 23, v13
	v_or3_b32 v10, v12, v11, v10
.LBB7_900:
	s_or_b64 exec, exec, s[6:7]
	s_movk_i32 s4, 0x7f
	v_cmp_gt_i16_sdwa s[6:7], v2, s4 src0_sel:BYTE_0 src1_sel:DWORD
	s_mov_b64 s[4:5], 0
                                        ; implicit-def: $sgpr10
	s_and_saveexec_b64 s[8:9], s[6:7]
	s_xor_b64 s[6:7], exec, s[8:9]
	s_cbranch_execnz .LBB7_2949
; %bb.901:
	s_or_saveexec_b64 s[6:7], s[6:7]
	v_mov_b32_e32 v11, s10
	s_xor_b64 exec, exec, s[6:7]
	s_cbranch_execnz .LBB7_2952
.LBB7_902:
	s_or_b64 exec, exec, s[6:7]
	s_and_saveexec_b64 s[6:7], s[4:5]
	s_cbranch_execz .LBB7_904
.LBB7_903:
	v_and_b32_e32 v11, 7, v2
	v_ffbh_u32_e32 v13, v11
	v_min_u32_e32 v13, 32, v13
	v_lshrrev_b16_e32 v12, 3, v2
	v_subrev_u32_e32 v14, 28, v13
	v_and_b32_e32 v12, 15, v12
	v_lshlrev_b32_e32 v14, v14, v2
	v_sub_u32_e32 v13, 29, v13
	v_and_b32_e32 v14, 7, v14
	v_cmp_eq_u16_e32 vcc, 0, v12
	v_cndmask_b32_e32 v11, v11, v14, vcc
	v_cndmask_b32_e32 v12, v12, v13, vcc
	v_lshlrev_b32_e32 v13, 24, v2
	v_mov_b32_e32 v14, 0x3b800000
	v_lshlrev_b32_e32 v11, 20, v11
	v_and_b32_e32 v13, 0x80000000, v13
	v_lshl_add_u32 v12, v12, 23, v14
	v_or3_b32 v11, v13, v12, v11
.LBB7_904:
	s_or_b64 exec, exec, s[6:7]
	s_nop 0
	v_mfma_f32_16x16x4f32 a[0:3], v10, v11, a[0:3]
	v_lshrrev_b32_e32 v11, 8, v6
	s_movk_i32 s4, 0x7f
	v_cmp_gt_i16_sdwa s[6:7], v11, s4 src0_sel:BYTE_0 src1_sel:DWORD
	s_mov_b64 s[4:5], 0
                                        ; implicit-def: $sgpr10
	s_and_saveexec_b64 s[8:9], s[6:7]
	s_xor_b64 s[6:7], exec, s[8:9]
	s_cbranch_execnz .LBB7_2953
; %bb.905:
	s_or_saveexec_b64 s[6:7], s[6:7]
	v_mov_b32_e32 v10, s10
	s_xor_b64 exec, exec, s[6:7]
	s_cbranch_execnz .LBB7_2956
.LBB7_906:
	s_or_b64 exec, exec, s[6:7]
	s_and_saveexec_b64 s[6:7], s[4:5]
	s_cbranch_execz .LBB7_908
.LBB7_907:
	v_bfe_u32 v10, v6, 8, 3
	v_ffbh_u32_e32 v13, v10
	v_min_u32_e32 v13, 32, v13
	v_lshrrev_b16_e32 v12, 3, v11
	v_subrev_u32_e32 v14, 28, v13
	v_and_b32_e32 v12, 15, v12
	v_lshlrev_b32_e32 v11, v14, v11
	v_sub_u32_e32 v13, 29, v13
	v_and_b32_e32 v11, 7, v11
	v_cmp_eq_u16_e32 vcc, 0, v12
	v_cndmask_b32_e32 v10, v10, v11, vcc
	v_cndmask_b32_e32 v11, v12, v13, vcc
	v_lshlrev_b32_e32 v12, 16, v6
	v_mov_b32_e32 v13, 0x3b800000
	v_lshlrev_b32_e32 v10, 20, v10
	v_and_b32_e32 v12, 0x80000000, v12
	v_lshl_add_u32 v11, v11, 23, v13
	v_or3_b32 v10, v12, v11, v10
.LBB7_908:
	s_or_b64 exec, exec, s[6:7]
	v_lshrrev_b32_e32 v11, 8, v2
	s_movk_i32 s4, 0x7f
	v_cmp_gt_i16_sdwa s[6:7], v11, s4 src0_sel:BYTE_0 src1_sel:DWORD
	s_mov_b64 s[4:5], 0
                                        ; implicit-def: $sgpr10
	s_and_saveexec_b64 s[8:9], s[6:7]
	s_xor_b64 s[6:7], exec, s[8:9]
	s_cbranch_execnz .LBB7_2957
; %bb.909:
	s_or_saveexec_b64 s[6:7], s[6:7]
	v_mov_b32_e32 v12, s10
	s_xor_b64 exec, exec, s[6:7]
	s_cbranch_execnz .LBB7_2960
.LBB7_910:
	s_or_b64 exec, exec, s[6:7]
	s_and_saveexec_b64 s[6:7], s[4:5]
	s_cbranch_execz .LBB7_912
.LBB7_911:
	v_bfe_u32 v12, v2, 8, 3
	v_ffbh_u32_e32 v14, v12
	v_min_u32_e32 v14, 32, v14
	v_lshrrev_b16_e32 v13, 3, v11
	v_subrev_u32_e32 v15, 28, v14
	v_and_b32_e32 v13, 15, v13
	v_lshlrev_b32_e32 v11, v15, v11
	v_sub_u32_e32 v14, 29, v14
	v_and_b32_e32 v11, 7, v11
	v_cmp_eq_u16_e32 vcc, 0, v13
	v_cndmask_b32_e32 v11, v12, v11, vcc
	v_cndmask_b32_e32 v12, v13, v14, vcc
	v_lshlrev_b32_e32 v13, 16, v2
	v_mov_b32_e32 v14, 0x3b800000
	v_lshlrev_b32_e32 v11, 20, v11
	v_and_b32_e32 v13, 0x80000000, v13
	v_lshl_add_u32 v12, v12, 23, v14
	v_or3_b32 v12, v13, v12, v11
.LBB7_912:
	s_or_b64 exec, exec, s[6:7]
	s_nop 0
	v_mfma_f32_16x16x4f32 a[0:3], v10, v12, a[0:3]
	s_movk_i32 s4, 0xff
	v_and_b32_sdwa v11, v6, s4 dst_sel:DWORD dst_unused:UNUSED_PAD src0_sel:WORD_1 src1_sel:DWORD
	s_movk_i32 s4, 0x7f
	v_cmp_lt_i16_e32 vcc, s4, v11
	s_mov_b64 s[4:5], 0
                                        ; implicit-def: $sgpr10
	s_and_saveexec_b64 s[6:7], vcc
	s_xor_b64 s[6:7], exec, s[6:7]
	s_cbranch_execnz .LBB7_2961
; %bb.913:
	s_or_saveexec_b64 s[6:7], s[6:7]
	v_mov_b32_e32 v10, s10
	s_xor_b64 exec, exec, s[6:7]
	s_cbranch_execnz .LBB7_2964
.LBB7_914:
	s_or_b64 exec, exec, s[6:7]
	s_and_saveexec_b64 s[6:7], s[4:5]
	s_cbranch_execz .LBB7_916
.LBB7_915:
	v_bfe_u32 v10, v6, 16, 3
	v_ffbh_u32_e32 v13, v10
	v_min_u32_e32 v13, 32, v13
	v_lshrrev_b32_e32 v11, 19, v6
	v_subrev_u32_e32 v14, 28, v13
	v_and_b32_e32 v11, 15, v11
	v_lshlrev_b32_sdwa v14, v14, v6 dst_sel:DWORD dst_unused:UNUSED_PAD src0_sel:DWORD src1_sel:WORD_1
	v_bfe_u32 v12, v6, 19, 4
	v_sub_u32_e32 v13, 29, v13
	v_and_b32_e32 v14, 7, v14
	v_cmp_eq_u16_e32 vcc, 0, v11
	v_cndmask_b32_e32 v10, v10, v14, vcc
	v_cndmask_b32_e32 v11, v12, v13, vcc
	v_lshlrev_b32_e32 v12, 8, v6
	v_mov_b32_e32 v13, 0x3b800000
	v_lshlrev_b32_e32 v10, 20, v10
	v_and_b32_e32 v12, 0x80000000, v12
	v_lshl_add_u32 v11, v11, 23, v13
	v_or3_b32 v10, v12, v11, v10
.LBB7_916:
	s_or_b64 exec, exec, s[6:7]
	s_movk_i32 s4, 0xff
	v_and_b32_sdwa v11, v2, s4 dst_sel:DWORD dst_unused:UNUSED_PAD src0_sel:WORD_1 src1_sel:DWORD
	s_movk_i32 s4, 0x7f
	v_cmp_lt_i16_e32 vcc, s4, v11
	s_mov_b64 s[4:5], 0
                                        ; implicit-def: $sgpr10
	s_and_saveexec_b64 s[6:7], vcc
	s_xor_b64 s[6:7], exec, s[6:7]
	s_cbranch_execnz .LBB7_2965
; %bb.917:
	s_or_saveexec_b64 s[6:7], s[6:7]
	v_mov_b32_e32 v12, s10
	s_xor_b64 exec, exec, s[6:7]
	s_cbranch_execnz .LBB7_2968
.LBB7_918:
	s_or_b64 exec, exec, s[6:7]
	s_and_saveexec_b64 s[6:7], s[4:5]
	s_cbranch_execz .LBB7_920
.LBB7_919:
	v_bfe_u32 v11, v2, 16, 3
	v_ffbh_u32_e32 v14, v11
	v_min_u32_e32 v14, 32, v14
	v_lshrrev_b32_e32 v12, 19, v2
	v_subrev_u32_e32 v15, 28, v14
	v_and_b32_e32 v12, 15, v12
	v_lshlrev_b32_sdwa v15, v15, v2 dst_sel:DWORD dst_unused:UNUSED_PAD src0_sel:DWORD src1_sel:WORD_1
	v_bfe_u32 v13, v2, 19, 4
	v_sub_u32_e32 v14, 29, v14
	v_and_b32_e32 v15, 7, v15
	v_cmp_eq_u16_e32 vcc, 0, v12
	v_cndmask_b32_e32 v11, v11, v15, vcc
	v_cndmask_b32_e32 v12, v13, v14, vcc
	v_lshlrev_b32_e32 v13, 8, v2
	v_mov_b32_e32 v14, 0x3b800000
	v_lshlrev_b32_e32 v11, 20, v11
	v_and_b32_e32 v13, 0x80000000, v13
	v_lshl_add_u32 v12, v12, 23, v14
	v_or3_b32 v12, v13, v12, v11
.LBB7_920:
	s_or_b64 exec, exec, s[6:7]
	s_nop 0
	v_mfma_f32_16x16x4f32 a[0:3], v10, v12, a[0:3]
	s_movk_i32 s4, 0x7f
	v_cmp_gt_i16_sdwa s[6:7], v6, s4 src0_sel:BYTE_3 src1_sel:DWORD
	s_mov_b64 s[4:5], 0
                                        ; implicit-def: $sgpr10
	s_and_saveexec_b64 s[8:9], s[6:7]
	s_xor_b64 s[6:7], exec, s[8:9]
	s_cbranch_execnz .LBB7_2969
; %bb.921:
	s_or_saveexec_b64 s[6:7], s[6:7]
	v_mov_b32_e32 v10, s10
	s_xor_b64 exec, exec, s[6:7]
	s_cbranch_execnz .LBB7_2972
.LBB7_922:
	s_or_b64 exec, exec, s[6:7]
	s_and_saveexec_b64 s[6:7], s[4:5]
	s_cbranch_execz .LBB7_924
.LBB7_923:
	v_bfe_u32 v10, v6, 24, 3
	v_ffbh_u32_e32 v14, v10
	v_min_u32_e32 v14, 32, v14
	v_lshrrev_b32_e32 v12, 27, v6
	v_subrev_u32_e32 v15, 28, v14
	v_and_b32_e32 v11, 0x80000000, v6
	v_and_b32_e32 v12, 15, v12
	v_bfe_u32 v13, v6, 27, 4
	v_lshlrev_b32_sdwa v6, v15, v6 dst_sel:DWORD dst_unused:UNUSED_PAD src0_sel:DWORD src1_sel:BYTE_3
	v_sub_u32_e32 v14, 29, v14
	v_and_b32_e32 v6, 7, v6
	v_cmp_eq_u16_e32 vcc, 0, v12
	v_cndmask_b32_e32 v6, v10, v6, vcc
	v_cndmask_b32_e32 v10, v13, v14, vcc
	v_mov_b32_e32 v12, 0x3b800000
	v_lshlrev_b32_e32 v6, 20, v6
	v_lshl_add_u32 v10, v10, 23, v12
	v_or3_b32 v10, v11, v10, v6
.LBB7_924:
	s_or_b64 exec, exec, s[6:7]
	s_movk_i32 s4, 0x7f
	v_cmp_gt_i16_sdwa s[6:7], v2, s4 src0_sel:BYTE_3 src1_sel:DWORD
	s_mov_b64 s[4:5], 0
                                        ; implicit-def: $sgpr10
	s_and_saveexec_b64 s[8:9], s[6:7]
	s_xor_b64 s[6:7], exec, s[8:9]
	s_cbranch_execnz .LBB7_2973
; %bb.925:
	s_or_saveexec_b64 s[6:7], s[6:7]
	v_mov_b32_e32 v6, s10
	s_xor_b64 exec, exec, s[6:7]
	s_cbranch_execnz .LBB7_2976
.LBB7_926:
	s_or_b64 exec, exec, s[6:7]
	s_and_saveexec_b64 s[6:7], s[4:5]
	s_cbranch_execz .LBB7_928
.LBB7_927:
	v_bfe_u32 v6, v2, 24, 3
	v_ffbh_u32_e32 v14, v6
	v_min_u32_e32 v14, 32, v14
	v_lshrrev_b32_e32 v12, 27, v2
	v_subrev_u32_e32 v15, 28, v14
	v_and_b32_e32 v11, 0x80000000, v2
	v_and_b32_e32 v12, 15, v12
	v_bfe_u32 v13, v2, 27, 4
	v_lshlrev_b32_sdwa v2, v15, v2 dst_sel:DWORD dst_unused:UNUSED_PAD src0_sel:DWORD src1_sel:BYTE_3
	v_sub_u32_e32 v14, 29, v14
	v_and_b32_e32 v2, 7, v2
	v_cmp_eq_u16_e32 vcc, 0, v12
	v_cndmask_b32_e32 v2, v6, v2, vcc
	v_cndmask_b32_e32 v6, v13, v14, vcc
	v_mov_b32_e32 v12, 0x3b800000
	v_lshlrev_b32_e32 v2, 20, v2
	v_lshl_add_u32 v6, v6, 23, v12
	v_or3_b32 v6, v11, v6, v2
.LBB7_928:
	s_or_b64 exec, exec, s[6:7]
	s_nop 0
	v_mfma_f32_16x16x4f32 a[0:3], v10, v6, a[0:3]
	s_movk_i32 s4, 0x7f
	v_cmp_gt_i16_sdwa s[6:7], v7, s4 src0_sel:BYTE_0 src1_sel:DWORD
	s_mov_b64 s[4:5], 0
                                        ; implicit-def: $sgpr10
	s_and_saveexec_b64 s[8:9], s[6:7]
	s_xor_b64 s[6:7], exec, s[8:9]
	s_cbranch_execnz .LBB7_2977
; %bb.929:
	s_or_saveexec_b64 s[6:7], s[6:7]
	v_mov_b32_e32 v2, s10
	s_xor_b64 exec, exec, s[6:7]
	s_cbranch_execnz .LBB7_2980
.LBB7_930:
	s_or_b64 exec, exec, s[6:7]
	s_and_saveexec_b64 s[6:7], s[4:5]
	s_cbranch_execz .LBB7_932
.LBB7_931:
	v_and_b32_e32 v2, 7, v7
	v_ffbh_u32_e32 v10, v2
	v_min_u32_e32 v10, 32, v10
	v_lshrrev_b16_e32 v6, 3, v7
	v_subrev_u32_e32 v11, 28, v10
	v_and_b32_e32 v6, 15, v6
	v_lshlrev_b32_e32 v11, v11, v7
	v_sub_u32_e32 v10, 29, v10
	v_and_b32_e32 v11, 7, v11
	v_cmp_eq_u16_e32 vcc, 0, v6
	v_cndmask_b32_e32 v2, v2, v11, vcc
	v_cndmask_b32_e32 v6, v6, v10, vcc
	v_lshlrev_b32_e32 v10, 24, v7
	v_mov_b32_e32 v11, 0x3b800000
	v_lshlrev_b32_e32 v2, 20, v2
	v_and_b32_e32 v10, 0x80000000, v10
	v_lshl_add_u32 v6, v6, 23, v11
	v_or3_b32 v2, v10, v6, v2
.LBB7_932:
	s_or_b64 exec, exec, s[6:7]
	s_movk_i32 s4, 0x7f
	v_cmp_gt_i16_sdwa s[6:7], v3, s4 src0_sel:BYTE_0 src1_sel:DWORD
	s_mov_b64 s[4:5], 0
                                        ; implicit-def: $sgpr10
	s_and_saveexec_b64 s[8:9], s[6:7]
	s_xor_b64 s[6:7], exec, s[8:9]
	s_cbranch_execnz .LBB7_2981
; %bb.933:
	s_or_saveexec_b64 s[6:7], s[6:7]
	v_mov_b32_e32 v6, s10
	s_xor_b64 exec, exec, s[6:7]
	s_cbranch_execnz .LBB7_2984
.LBB7_934:
	s_or_b64 exec, exec, s[6:7]
	s_and_saveexec_b64 s[6:7], s[4:5]
	s_cbranch_execz .LBB7_936
.LBB7_935:
	v_and_b32_e32 v6, 7, v3
	v_ffbh_u32_e32 v11, v6
	v_min_u32_e32 v11, 32, v11
	v_lshrrev_b16_e32 v10, 3, v3
	v_subrev_u32_e32 v12, 28, v11
	v_and_b32_e32 v10, 15, v10
	v_lshlrev_b32_e32 v12, v12, v3
	v_sub_u32_e32 v11, 29, v11
	v_and_b32_e32 v12, 7, v12
	v_cmp_eq_u16_e32 vcc, 0, v10
	v_cndmask_b32_e32 v6, v6, v12, vcc
	v_cndmask_b32_e32 v10, v10, v11, vcc
	v_lshlrev_b32_e32 v11, 24, v3
	v_mov_b32_e32 v12, 0x3b800000
	v_lshlrev_b32_e32 v6, 20, v6
	v_and_b32_e32 v11, 0x80000000, v11
	v_lshl_add_u32 v10, v10, 23, v12
	v_or3_b32 v6, v11, v10, v6
.LBB7_936:
	s_or_b64 exec, exec, s[6:7]
	s_nop 0
	v_mfma_f32_16x16x4f32 a[0:3], v2, v6, a[0:3]
	v_lshrrev_b32_e32 v6, 8, v7
	s_movk_i32 s4, 0x7f
	v_cmp_gt_i16_sdwa s[6:7], v6, s4 src0_sel:BYTE_0 src1_sel:DWORD
	s_mov_b64 s[4:5], 0
                                        ; implicit-def: $sgpr10
	s_and_saveexec_b64 s[8:9], s[6:7]
	s_xor_b64 s[6:7], exec, s[8:9]
	s_cbranch_execnz .LBB7_2985
; %bb.937:
	s_or_saveexec_b64 s[6:7], s[6:7]
	v_mov_b32_e32 v2, s10
	s_xor_b64 exec, exec, s[6:7]
	s_cbranch_execnz .LBB7_2988
.LBB7_938:
	s_or_b64 exec, exec, s[6:7]
	s_and_saveexec_b64 s[6:7], s[4:5]
	s_cbranch_execz .LBB7_940
.LBB7_939:
	v_bfe_u32 v2, v7, 8, 3
	v_ffbh_u32_e32 v11, v2
	v_min_u32_e32 v11, 32, v11
	v_lshrrev_b16_e32 v10, 3, v6
	v_subrev_u32_e32 v12, 28, v11
	v_and_b32_e32 v10, 15, v10
	v_lshlrev_b32_e32 v6, v12, v6
	v_sub_u32_e32 v11, 29, v11
	v_and_b32_e32 v6, 7, v6
	v_cmp_eq_u16_e32 vcc, 0, v10
	v_cndmask_b32_e32 v2, v2, v6, vcc
	v_cndmask_b32_e32 v6, v10, v11, vcc
	v_lshlrev_b32_e32 v10, 16, v7
	v_mov_b32_e32 v11, 0x3b800000
	v_lshlrev_b32_e32 v2, 20, v2
	v_and_b32_e32 v10, 0x80000000, v10
	v_lshl_add_u32 v6, v6, 23, v11
	v_or3_b32 v2, v10, v6, v2
.LBB7_940:
	s_or_b64 exec, exec, s[6:7]
	v_lshrrev_b32_e32 v6, 8, v3
	s_movk_i32 s4, 0x7f
	v_cmp_gt_i16_sdwa s[6:7], v6, s4 src0_sel:BYTE_0 src1_sel:DWORD
	s_mov_b64 s[4:5], 0
                                        ; implicit-def: $sgpr10
	s_and_saveexec_b64 s[8:9], s[6:7]
	s_xor_b64 s[6:7], exec, s[8:9]
	s_cbranch_execnz .LBB7_2989
; %bb.941:
	s_or_saveexec_b64 s[6:7], s[6:7]
	v_mov_b32_e32 v10, s10
	s_xor_b64 exec, exec, s[6:7]
	s_cbranch_execnz .LBB7_2992
.LBB7_942:
	s_or_b64 exec, exec, s[6:7]
	s_and_saveexec_b64 s[6:7], s[4:5]
	s_cbranch_execz .LBB7_944
.LBB7_943:
	v_bfe_u32 v10, v3, 8, 3
	v_ffbh_u32_e32 v12, v10
	v_min_u32_e32 v12, 32, v12
	v_lshrrev_b16_e32 v11, 3, v6
	v_subrev_u32_e32 v13, 28, v12
	v_and_b32_e32 v11, 15, v11
	v_lshlrev_b32_e32 v6, v13, v6
	v_sub_u32_e32 v12, 29, v12
	v_and_b32_e32 v6, 7, v6
	v_cmp_eq_u16_e32 vcc, 0, v11
	v_cndmask_b32_e32 v6, v10, v6, vcc
	v_cndmask_b32_e32 v10, v11, v12, vcc
	v_lshlrev_b32_e32 v11, 16, v3
	v_mov_b32_e32 v12, 0x3b800000
	v_lshlrev_b32_e32 v6, 20, v6
	v_and_b32_e32 v11, 0x80000000, v11
	v_lshl_add_u32 v10, v10, 23, v12
	v_or3_b32 v10, v11, v10, v6
.LBB7_944:
	s_or_b64 exec, exec, s[6:7]
	s_nop 0
	v_mfma_f32_16x16x4f32 a[0:3], v2, v10, a[0:3]
	s_movk_i32 s4, 0xff
	v_and_b32_sdwa v6, v7, s4 dst_sel:DWORD dst_unused:UNUSED_PAD src0_sel:WORD_1 src1_sel:DWORD
	s_movk_i32 s4, 0x7f
	v_cmp_lt_i16_e32 vcc, s4, v6
	s_mov_b64 s[4:5], 0
                                        ; implicit-def: $sgpr10
	s_and_saveexec_b64 s[6:7], vcc
	s_xor_b64 s[6:7], exec, s[6:7]
	s_cbranch_execnz .LBB7_2993
; %bb.945:
	s_or_saveexec_b64 s[6:7], s[6:7]
	v_mov_b32_e32 v2, s10
	s_xor_b64 exec, exec, s[6:7]
	s_cbranch_execnz .LBB7_2996
.LBB7_946:
	s_or_b64 exec, exec, s[6:7]
	s_and_saveexec_b64 s[6:7], s[4:5]
	s_cbranch_execz .LBB7_948
.LBB7_947:
	v_bfe_u32 v2, v7, 16, 3
	v_ffbh_u32_e32 v11, v2
	v_min_u32_e32 v11, 32, v11
	v_lshrrev_b32_e32 v6, 19, v7
	v_subrev_u32_e32 v12, 28, v11
	v_and_b32_e32 v6, 15, v6
	v_lshlrev_b32_sdwa v12, v12, v7 dst_sel:DWORD dst_unused:UNUSED_PAD src0_sel:DWORD src1_sel:WORD_1
	v_bfe_u32 v10, v7, 19, 4
	v_sub_u32_e32 v11, 29, v11
	v_and_b32_e32 v12, 7, v12
	v_cmp_eq_u16_e32 vcc, 0, v6
	v_cndmask_b32_e32 v2, v2, v12, vcc
	v_cndmask_b32_e32 v6, v10, v11, vcc
	v_lshlrev_b32_e32 v10, 8, v7
	v_mov_b32_e32 v11, 0x3b800000
	v_lshlrev_b32_e32 v2, 20, v2
	v_and_b32_e32 v10, 0x80000000, v10
	v_lshl_add_u32 v6, v6, 23, v11
	v_or3_b32 v2, v10, v6, v2
.LBB7_948:
	s_or_b64 exec, exec, s[6:7]
	s_movk_i32 s4, 0xff
	v_and_b32_sdwa v6, v3, s4 dst_sel:DWORD dst_unused:UNUSED_PAD src0_sel:WORD_1 src1_sel:DWORD
	s_movk_i32 s4, 0x7f
	v_cmp_lt_i16_e32 vcc, s4, v6
	s_mov_b64 s[4:5], 0
                                        ; implicit-def: $sgpr10
	s_and_saveexec_b64 s[6:7], vcc
	s_xor_b64 s[6:7], exec, s[6:7]
	s_cbranch_execnz .LBB7_2997
; %bb.949:
	s_or_saveexec_b64 s[6:7], s[6:7]
	v_mov_b32_e32 v10, s10
	s_xor_b64 exec, exec, s[6:7]
	s_cbranch_execnz .LBB7_3000
.LBB7_950:
	s_or_b64 exec, exec, s[6:7]
	s_and_saveexec_b64 s[6:7], s[4:5]
	s_cbranch_execz .LBB7_952
.LBB7_951:
	v_bfe_u32 v6, v3, 16, 3
	v_ffbh_u32_e32 v12, v6
	v_min_u32_e32 v12, 32, v12
	v_lshrrev_b32_e32 v10, 19, v3
	v_subrev_u32_e32 v13, 28, v12
	v_and_b32_e32 v10, 15, v10
	v_lshlrev_b32_sdwa v13, v13, v3 dst_sel:DWORD dst_unused:UNUSED_PAD src0_sel:DWORD src1_sel:WORD_1
	v_bfe_u32 v11, v3, 19, 4
	v_sub_u32_e32 v12, 29, v12
	v_and_b32_e32 v13, 7, v13
	v_cmp_eq_u16_e32 vcc, 0, v10
	v_cndmask_b32_e32 v6, v6, v13, vcc
	v_cndmask_b32_e32 v10, v11, v12, vcc
	v_lshlrev_b32_e32 v11, 8, v3
	v_mov_b32_e32 v12, 0x3b800000
	v_lshlrev_b32_e32 v6, 20, v6
	v_and_b32_e32 v11, 0x80000000, v11
	v_lshl_add_u32 v10, v10, 23, v12
	v_or3_b32 v10, v11, v10, v6
.LBB7_952:
	s_or_b64 exec, exec, s[6:7]
	s_nop 0
	v_mfma_f32_16x16x4f32 a[0:3], v2, v10, a[0:3]
	s_movk_i32 s4, 0x7f
	v_cmp_gt_i16_sdwa s[6:7], v7, s4 src0_sel:BYTE_3 src1_sel:DWORD
	s_mov_b64 s[4:5], 0
                                        ; implicit-def: $sgpr10
	s_and_saveexec_b64 s[8:9], s[6:7]
	s_xor_b64 s[6:7], exec, s[8:9]
	s_cbranch_execnz .LBB7_3001
; %bb.953:
	s_or_saveexec_b64 s[6:7], s[6:7]
	v_mov_b32_e32 v2, s10
	s_xor_b64 exec, exec, s[6:7]
	s_cbranch_execnz .LBB7_3004
.LBB7_954:
	s_or_b64 exec, exec, s[6:7]
	s_and_saveexec_b64 s[6:7], s[4:5]
	s_cbranch_execz .LBB7_956
.LBB7_955:
	v_bfe_u32 v2, v7, 24, 3
	v_ffbh_u32_e32 v12, v2
	v_min_u32_e32 v12, 32, v12
	v_lshrrev_b32_e32 v10, 27, v7
	v_subrev_u32_e32 v13, 28, v12
	v_and_b32_e32 v6, 0x80000000, v7
	v_and_b32_e32 v10, 15, v10
	v_bfe_u32 v11, v7, 27, 4
	v_lshlrev_b32_sdwa v7, v13, v7 dst_sel:DWORD dst_unused:UNUSED_PAD src0_sel:DWORD src1_sel:BYTE_3
	v_sub_u32_e32 v12, 29, v12
	v_and_b32_e32 v7, 7, v7
	v_cmp_eq_u16_e32 vcc, 0, v10
	v_cndmask_b32_e32 v2, v2, v7, vcc
	v_cndmask_b32_e32 v7, v11, v12, vcc
	v_mov_b32_e32 v10, 0x3b800000
	v_lshlrev_b32_e32 v2, 20, v2
	v_lshl_add_u32 v7, v7, 23, v10
	v_or3_b32 v2, v6, v7, v2
.LBB7_956:
	s_or_b64 exec, exec, s[6:7]
	s_movk_i32 s4, 0x7f
	v_cmp_gt_i16_sdwa s[6:7], v3, s4 src0_sel:BYTE_3 src1_sel:DWORD
	s_mov_b64 s[4:5], 0
                                        ; implicit-def: $sgpr10
	s_and_saveexec_b64 s[8:9], s[6:7]
	s_xor_b64 s[6:7], exec, s[8:9]
	s_cbranch_execnz .LBB7_3005
; %bb.957:
	s_or_saveexec_b64 s[6:7], s[6:7]
	v_mov_b32_e32 v6, s10
	s_xor_b64 exec, exec, s[6:7]
	s_cbranch_execnz .LBB7_3008
.LBB7_958:
	s_or_b64 exec, exec, s[6:7]
	s_and_saveexec_b64 s[6:7], s[4:5]
	s_cbranch_execz .LBB7_960
.LBB7_959:
	v_bfe_u32 v6, v3, 24, 3
	v_ffbh_u32_e32 v12, v6
	v_min_u32_e32 v12, 32, v12
	v_lshrrev_b32_e32 v10, 27, v3
	v_subrev_u32_e32 v13, 28, v12
	v_and_b32_e32 v7, 0x80000000, v3
	v_and_b32_e32 v10, 15, v10
	v_bfe_u32 v11, v3, 27, 4
	v_lshlrev_b32_sdwa v3, v13, v3 dst_sel:DWORD dst_unused:UNUSED_PAD src0_sel:DWORD src1_sel:BYTE_3
	v_sub_u32_e32 v12, 29, v12
	v_and_b32_e32 v3, 7, v3
	v_cmp_eq_u16_e32 vcc, 0, v10
	v_cndmask_b32_e32 v3, v6, v3, vcc
	v_cndmask_b32_e32 v6, v11, v12, vcc
	v_mov_b32_e32 v10, 0x3b800000
	v_lshlrev_b32_e32 v3, 20, v3
	v_lshl_add_u32 v6, v6, 23, v10
	v_or3_b32 v6, v7, v6, v3
.LBB7_960:
	s_or_b64 exec, exec, s[6:7]
	s_nop 0
	v_mfma_f32_16x16x4f32 a[0:3], v2, v6, a[0:3]
	s_movk_i32 s4, 0x7f
	v_cmp_gt_i16_sdwa s[6:7], v8, s4 src0_sel:BYTE_0 src1_sel:DWORD
	s_mov_b64 s[4:5], 0
                                        ; implicit-def: $sgpr10
	s_and_saveexec_b64 s[8:9], s[6:7]
	s_xor_b64 s[6:7], exec, s[8:9]
	s_cbranch_execnz .LBB7_3009
; %bb.961:
	s_or_saveexec_b64 s[6:7], s[6:7]
	v_mov_b32_e32 v2, s10
	s_xor_b64 exec, exec, s[6:7]
	s_cbranch_execnz .LBB7_3012
.LBB7_962:
	s_or_b64 exec, exec, s[6:7]
	s_and_saveexec_b64 s[6:7], s[4:5]
	s_cbranch_execz .LBB7_964
.LBB7_963:
	v_and_b32_e32 v2, 7, v8
	v_ffbh_u32_e32 v6, v2
	v_min_u32_e32 v6, 32, v6
	v_lshrrev_b16_e32 v3, 3, v8
	v_subrev_u32_e32 v7, 28, v6
	v_and_b32_e32 v3, 15, v3
	v_lshlrev_b32_e32 v7, v7, v8
	v_sub_u32_e32 v6, 29, v6
	v_and_b32_e32 v7, 7, v7
	v_cmp_eq_u16_e32 vcc, 0, v3
	v_cndmask_b32_e32 v2, v2, v7, vcc
	v_cndmask_b32_e32 v3, v3, v6, vcc
	v_lshlrev_b32_e32 v6, 24, v8
	v_mov_b32_e32 v7, 0x3b800000
	v_lshlrev_b32_e32 v2, 20, v2
	v_and_b32_e32 v6, 0x80000000, v6
	v_lshl_add_u32 v3, v3, 23, v7
	v_or3_b32 v2, v6, v3, v2
.LBB7_964:
	s_or_b64 exec, exec, s[6:7]
	s_movk_i32 s4, 0x7f
	v_cmp_gt_i16_sdwa s[6:7], v4, s4 src0_sel:BYTE_0 src1_sel:DWORD
	s_mov_b64 s[4:5], 0
                                        ; implicit-def: $sgpr10
	s_and_saveexec_b64 s[8:9], s[6:7]
	s_xor_b64 s[6:7], exec, s[8:9]
	s_cbranch_execnz .LBB7_3013
; %bb.965:
	s_or_saveexec_b64 s[6:7], s[6:7]
	v_mov_b32_e32 v3, s10
	s_xor_b64 exec, exec, s[6:7]
	s_cbranch_execnz .LBB7_3016
.LBB7_966:
	s_or_b64 exec, exec, s[6:7]
	s_and_saveexec_b64 s[6:7], s[4:5]
	s_cbranch_execz .LBB7_968
.LBB7_967:
	v_and_b32_e32 v3, 7, v4
	v_ffbh_u32_e32 v7, v3
	v_min_u32_e32 v7, 32, v7
	v_lshrrev_b16_e32 v6, 3, v4
	v_subrev_u32_e32 v10, 28, v7
	v_and_b32_e32 v6, 15, v6
	v_lshlrev_b32_e32 v10, v10, v4
	v_sub_u32_e32 v7, 29, v7
	v_and_b32_e32 v10, 7, v10
	v_cmp_eq_u16_e32 vcc, 0, v6
	v_cndmask_b32_e32 v3, v3, v10, vcc
	v_cndmask_b32_e32 v6, v6, v7, vcc
	v_lshlrev_b32_e32 v7, 24, v4
	v_mov_b32_e32 v10, 0x3b800000
	v_lshlrev_b32_e32 v3, 20, v3
	v_and_b32_e32 v7, 0x80000000, v7
	v_lshl_add_u32 v6, v6, 23, v10
	v_or3_b32 v3, v7, v6, v3
.LBB7_968:
	s_or_b64 exec, exec, s[6:7]
	s_nop 0
	v_mfma_f32_16x16x4f32 a[0:3], v2, v3, a[0:3]
	v_lshrrev_b32_e32 v3, 8, v8
	s_movk_i32 s4, 0x7f
	v_cmp_gt_i16_sdwa s[6:7], v3, s4 src0_sel:BYTE_0 src1_sel:DWORD
	s_mov_b64 s[4:5], 0
                                        ; implicit-def: $sgpr10
	s_and_saveexec_b64 s[8:9], s[6:7]
	s_xor_b64 s[6:7], exec, s[8:9]
	s_cbranch_execnz .LBB7_3017
; %bb.969:
	s_or_saveexec_b64 s[6:7], s[6:7]
	v_mov_b32_e32 v2, s10
	s_xor_b64 exec, exec, s[6:7]
	s_cbranch_execnz .LBB7_3020
.LBB7_970:
	s_or_b64 exec, exec, s[6:7]
	s_and_saveexec_b64 s[6:7], s[4:5]
	s_cbranch_execz .LBB7_972
.LBB7_971:
	v_bfe_u32 v2, v8, 8, 3
	v_ffbh_u32_e32 v7, v2
	v_min_u32_e32 v7, 32, v7
	v_lshrrev_b16_e32 v6, 3, v3
	v_subrev_u32_e32 v10, 28, v7
	v_and_b32_e32 v6, 15, v6
	v_lshlrev_b32_e32 v3, v10, v3
	v_sub_u32_e32 v7, 29, v7
	v_and_b32_e32 v3, 7, v3
	v_cmp_eq_u16_e32 vcc, 0, v6
	v_cndmask_b32_e32 v2, v2, v3, vcc
	v_cndmask_b32_e32 v3, v6, v7, vcc
	v_lshlrev_b32_e32 v6, 16, v8
	v_mov_b32_e32 v7, 0x3b800000
	v_lshlrev_b32_e32 v2, 20, v2
	v_and_b32_e32 v6, 0x80000000, v6
	v_lshl_add_u32 v3, v3, 23, v7
	v_or3_b32 v2, v6, v3, v2
.LBB7_972:
	s_or_b64 exec, exec, s[6:7]
	v_lshrrev_b32_e32 v3, 8, v4
	s_movk_i32 s4, 0x7f
	v_cmp_gt_i16_sdwa s[6:7], v3, s4 src0_sel:BYTE_0 src1_sel:DWORD
	s_mov_b64 s[4:5], 0
                                        ; implicit-def: $sgpr10
	s_and_saveexec_b64 s[8:9], s[6:7]
	s_xor_b64 s[6:7], exec, s[8:9]
	s_cbranch_execnz .LBB7_3021
; %bb.973:
	s_or_saveexec_b64 s[6:7], s[6:7]
	v_mov_b32_e32 v6, s10
	s_xor_b64 exec, exec, s[6:7]
	s_cbranch_execnz .LBB7_3024
.LBB7_974:
	s_or_b64 exec, exec, s[6:7]
	s_and_saveexec_b64 s[6:7], s[4:5]
	s_cbranch_execz .LBB7_976
.LBB7_975:
	v_bfe_u32 v6, v4, 8, 3
	v_ffbh_u32_e32 v10, v6
	v_min_u32_e32 v10, 32, v10
	v_lshrrev_b16_e32 v7, 3, v3
	v_subrev_u32_e32 v11, 28, v10
	v_and_b32_e32 v7, 15, v7
	v_lshlrev_b32_e32 v3, v11, v3
	v_sub_u32_e32 v10, 29, v10
	v_and_b32_e32 v3, 7, v3
	v_cmp_eq_u16_e32 vcc, 0, v7
	v_cndmask_b32_e32 v3, v6, v3, vcc
	v_cndmask_b32_e32 v6, v7, v10, vcc
	v_lshlrev_b32_e32 v7, 16, v4
	v_mov_b32_e32 v10, 0x3b800000
	v_lshlrev_b32_e32 v3, 20, v3
	v_and_b32_e32 v7, 0x80000000, v7
	v_lshl_add_u32 v6, v6, 23, v10
	v_or3_b32 v6, v7, v6, v3
.LBB7_976:
	s_or_b64 exec, exec, s[6:7]
	s_nop 0
	v_mfma_f32_16x16x4f32 a[0:3], v2, v6, a[0:3]
	s_movk_i32 s4, 0xff
	v_and_b32_sdwa v3, v8, s4 dst_sel:DWORD dst_unused:UNUSED_PAD src0_sel:WORD_1 src1_sel:DWORD
	s_movk_i32 s4, 0x7f
	v_cmp_lt_i16_e32 vcc, s4, v3
	s_mov_b64 s[4:5], 0
                                        ; implicit-def: $sgpr10
	s_and_saveexec_b64 s[6:7], vcc
	s_xor_b64 s[6:7], exec, s[6:7]
	s_cbranch_execnz .LBB7_3025
; %bb.977:
	s_or_saveexec_b64 s[6:7], s[6:7]
	v_mov_b32_e32 v2, s10
	s_xor_b64 exec, exec, s[6:7]
	s_cbranch_execnz .LBB7_3028
.LBB7_978:
	s_or_b64 exec, exec, s[6:7]
	s_and_saveexec_b64 s[6:7], s[4:5]
	s_cbranch_execz .LBB7_980
.LBB7_979:
	v_bfe_u32 v2, v8, 16, 3
	v_ffbh_u32_e32 v7, v2
	v_min_u32_e32 v7, 32, v7
	v_lshrrev_b32_e32 v3, 19, v8
	v_subrev_u32_e32 v10, 28, v7
	v_and_b32_e32 v3, 15, v3
	v_lshlrev_b32_sdwa v10, v10, v8 dst_sel:DWORD dst_unused:UNUSED_PAD src0_sel:DWORD src1_sel:WORD_1
	v_bfe_u32 v6, v8, 19, 4
	v_sub_u32_e32 v7, 29, v7
	v_and_b32_e32 v10, 7, v10
	v_cmp_eq_u16_e32 vcc, 0, v3
	v_cndmask_b32_e32 v2, v2, v10, vcc
	v_cndmask_b32_e32 v3, v6, v7, vcc
	v_lshlrev_b32_e32 v6, 8, v8
	v_mov_b32_e32 v7, 0x3b800000
	v_lshlrev_b32_e32 v2, 20, v2
	v_and_b32_e32 v6, 0x80000000, v6
	v_lshl_add_u32 v3, v3, 23, v7
	v_or3_b32 v2, v6, v3, v2
.LBB7_980:
	s_or_b64 exec, exec, s[6:7]
	s_movk_i32 s4, 0xff
	v_and_b32_sdwa v3, v4, s4 dst_sel:DWORD dst_unused:UNUSED_PAD src0_sel:WORD_1 src1_sel:DWORD
	s_movk_i32 s4, 0x7f
	v_cmp_lt_i16_e32 vcc, s4, v3
	s_mov_b64 s[4:5], 0
                                        ; implicit-def: $sgpr10
	s_and_saveexec_b64 s[6:7], vcc
	s_xor_b64 s[6:7], exec, s[6:7]
	s_cbranch_execnz .LBB7_3029
; %bb.981:
	s_or_saveexec_b64 s[6:7], s[6:7]
	v_mov_b32_e32 v6, s10
	s_xor_b64 exec, exec, s[6:7]
	s_cbranch_execnz .LBB7_3032
.LBB7_982:
	s_or_b64 exec, exec, s[6:7]
	s_and_saveexec_b64 s[6:7], s[4:5]
	s_cbranch_execz .LBB7_984
.LBB7_983:
	v_bfe_u32 v3, v4, 16, 3
	v_ffbh_u32_e32 v10, v3
	v_min_u32_e32 v10, 32, v10
	v_lshrrev_b32_e32 v6, 19, v4
	v_subrev_u32_e32 v11, 28, v10
	v_and_b32_e32 v6, 15, v6
	v_lshlrev_b32_sdwa v11, v11, v4 dst_sel:DWORD dst_unused:UNUSED_PAD src0_sel:DWORD src1_sel:WORD_1
	v_bfe_u32 v7, v4, 19, 4
	v_sub_u32_e32 v10, 29, v10
	v_and_b32_e32 v11, 7, v11
	v_cmp_eq_u16_e32 vcc, 0, v6
	v_cndmask_b32_e32 v3, v3, v11, vcc
	v_cndmask_b32_e32 v6, v7, v10, vcc
	v_lshlrev_b32_e32 v7, 8, v4
	v_mov_b32_e32 v10, 0x3b800000
	v_lshlrev_b32_e32 v3, 20, v3
	v_and_b32_e32 v7, 0x80000000, v7
	v_lshl_add_u32 v6, v6, 23, v10
	v_or3_b32 v6, v7, v6, v3
.LBB7_984:
	s_or_b64 exec, exec, s[6:7]
	s_nop 0
	v_mfma_f32_16x16x4f32 a[0:3], v2, v6, a[0:3]
	s_movk_i32 s4, 0x7f
	v_cmp_gt_i16_sdwa s[6:7], v8, s4 src0_sel:BYTE_3 src1_sel:DWORD
	s_mov_b64 s[4:5], 0
                                        ; implicit-def: $sgpr10
	s_and_saveexec_b64 s[8:9], s[6:7]
	s_xor_b64 s[6:7], exec, s[8:9]
	s_cbranch_execnz .LBB7_3033
; %bb.985:
	s_or_saveexec_b64 s[6:7], s[6:7]
	v_mov_b32_e32 v2, s10
	s_xor_b64 exec, exec, s[6:7]
	s_cbranch_execnz .LBB7_3036
.LBB7_986:
	s_or_b64 exec, exec, s[6:7]
	s_and_saveexec_b64 s[6:7], s[4:5]
	s_cbranch_execz .LBB7_988
.LBB7_987:
	v_bfe_u32 v2, v8, 24, 3
	v_ffbh_u32_e32 v10, v2
	v_min_u32_e32 v10, 32, v10
	v_lshrrev_b32_e32 v6, 27, v8
	v_subrev_u32_e32 v11, 28, v10
	v_and_b32_e32 v3, 0x80000000, v8
	v_and_b32_e32 v6, 15, v6
	v_bfe_u32 v7, v8, 27, 4
	v_lshlrev_b32_sdwa v8, v11, v8 dst_sel:DWORD dst_unused:UNUSED_PAD src0_sel:DWORD src1_sel:BYTE_3
	v_sub_u32_e32 v10, 29, v10
	v_and_b32_e32 v8, 7, v8
	v_cmp_eq_u16_e32 vcc, 0, v6
	v_cndmask_b32_e32 v2, v2, v8, vcc
	v_cndmask_b32_e32 v6, v7, v10, vcc
	v_mov_b32_e32 v7, 0x3b800000
	v_lshlrev_b32_e32 v2, 20, v2
	v_lshl_add_u32 v6, v6, 23, v7
	v_or3_b32 v2, v3, v6, v2
.LBB7_988:
	s_or_b64 exec, exec, s[6:7]
	s_movk_i32 s4, 0x7f
	v_cmp_gt_i16_sdwa s[6:7], v4, s4 src0_sel:BYTE_3 src1_sel:DWORD
	s_mov_b64 s[4:5], 0
                                        ; implicit-def: $sgpr10
	s_and_saveexec_b64 s[8:9], s[6:7]
	s_xor_b64 s[6:7], exec, s[8:9]
	s_cbranch_execnz .LBB7_3037
; %bb.989:
	s_or_saveexec_b64 s[6:7], s[6:7]
	v_mov_b32_e32 v3, s10
	s_xor_b64 exec, exec, s[6:7]
	s_cbranch_execnz .LBB7_3040
.LBB7_990:
	s_or_b64 exec, exec, s[6:7]
	s_and_saveexec_b64 s[6:7], s[4:5]
	s_cbranch_execz .LBB7_992
.LBB7_991:
	v_bfe_u32 v3, v4, 24, 3
	v_ffbh_u32_e32 v10, v3
	v_min_u32_e32 v10, 32, v10
	v_lshrrev_b32_e32 v7, 27, v4
	v_subrev_u32_e32 v11, 28, v10
	v_and_b32_e32 v6, 0x80000000, v4
	v_and_b32_e32 v7, 15, v7
	v_bfe_u32 v8, v4, 27, 4
	v_lshlrev_b32_sdwa v4, v11, v4 dst_sel:DWORD dst_unused:UNUSED_PAD src0_sel:DWORD src1_sel:BYTE_3
	v_sub_u32_e32 v10, 29, v10
	v_and_b32_e32 v4, 7, v4
	v_cmp_eq_u16_e32 vcc, 0, v7
	v_cndmask_b32_e32 v3, v3, v4, vcc
	v_cndmask_b32_e32 v4, v8, v10, vcc
	v_mov_b32_e32 v7, 0x3b800000
	v_lshlrev_b32_e32 v3, 20, v3
	v_lshl_add_u32 v4, v4, 23, v7
	v_or3_b32 v3, v6, v4, v3
.LBB7_992:
	s_or_b64 exec, exec, s[6:7]
	s_nop 0
	v_mfma_f32_16x16x4f32 a[0:3], v2, v3, a[0:3]
	s_movk_i32 s4, 0x7f
	v_cmp_gt_i16_sdwa s[6:7], v9, s4 src0_sel:BYTE_0 src1_sel:DWORD
	s_mov_b64 s[4:5], 0
                                        ; implicit-def: $sgpr10
	s_and_saveexec_b64 s[8:9], s[6:7]
	s_xor_b64 s[6:7], exec, s[8:9]
	s_cbranch_execnz .LBB7_3041
; %bb.993:
	s_or_saveexec_b64 s[6:7], s[6:7]
	v_mov_b32_e32 v2, s10
	s_xor_b64 exec, exec, s[6:7]
	s_cbranch_execnz .LBB7_3044
.LBB7_994:
	s_or_b64 exec, exec, s[6:7]
	s_and_saveexec_b64 s[6:7], s[4:5]
	s_cbranch_execz .LBB7_996
.LBB7_995:
	v_mov_b32_e32 v2, 8
	v_and_b32_e32 v3, 7, v9
	v_lshrrev_b32_sdwa v2, v2, v9 dst_sel:BYTE_1 dst_unused:UNUSED_PAD src0_sel:DWORD src1_sel:DWORD
	v_ffbh_u32_e32 v4, v3
	v_or_b32_sdwa v2, v9, v2 dst_sel:DWORD dst_unused:UNUSED_PAD src0_sel:BYTE_0 src1_sel:DWORD
	v_min_u32_e32 v4, 32, v4
	v_lshrrev_b16_e32 v2, 3, v2
	v_subrev_u32_e32 v6, 28, v4
	v_and_b32_e32 v2, 15, v2
	v_lshlrev_b32_e32 v6, v6, v9
	v_sub_u32_e32 v4, 29, v4
	v_and_b32_e32 v6, 7, v6
	v_cmp_eq_u16_e32 vcc, 0, v2
	v_cndmask_b32_e32 v3, v3, v6, vcc
	v_cndmask_b32_e32 v2, v2, v4, vcc
	v_lshlrev_b32_e32 v4, 24, v9
	v_mov_b32_e32 v6, 0x3b800000
	v_lshlrev_b32_e32 v3, 20, v3
	v_and_b32_e32 v4, 0x80000000, v4
	v_lshl_add_u32 v2, v2, 23, v6
	v_or3_b32 v2, v4, v2, v3
.LBB7_996:
	s_or_b64 exec, exec, s[6:7]
	s_movk_i32 s4, 0x7f
	v_cmp_gt_i16_sdwa s[6:7], v5, s4 src0_sel:BYTE_0 src1_sel:DWORD
	s_mov_b64 s[4:5], 0
                                        ; implicit-def: $sgpr10
	s_and_saveexec_b64 s[8:9], s[6:7]
	s_xor_b64 s[6:7], exec, s[8:9]
	s_cbranch_execnz .LBB7_3045
; %bb.997:
	s_or_saveexec_b64 s[6:7], s[6:7]
	v_mov_b32_e32 v3, s10
	s_xor_b64 exec, exec, s[6:7]
	s_cbranch_execnz .LBB7_3048
.LBB7_998:
	s_or_b64 exec, exec, s[6:7]
	s_and_saveexec_b64 s[6:7], s[4:5]
	s_cbranch_execz .LBB7_1000
.LBB7_999:
	v_mov_b32_e32 v3, 8
	v_and_b32_e32 v4, 7, v5
	v_lshrrev_b32_sdwa v3, v3, v5 dst_sel:BYTE_1 dst_unused:UNUSED_PAD src0_sel:DWORD src1_sel:DWORD
	v_ffbh_u32_e32 v6, v4
	v_or_b32_sdwa v3, v5, v3 dst_sel:DWORD dst_unused:UNUSED_PAD src0_sel:BYTE_0 src1_sel:DWORD
	v_min_u32_e32 v6, 32, v6
	v_lshrrev_b16_e32 v3, 3, v3
	v_subrev_u32_e32 v7, 28, v6
	v_and_b32_e32 v3, 15, v3
	v_lshlrev_b32_e32 v7, v7, v5
	v_sub_u32_e32 v6, 29, v6
	v_and_b32_e32 v7, 7, v7
	v_cmp_eq_u16_e32 vcc, 0, v3
	v_cndmask_b32_e32 v4, v4, v7, vcc
	v_cndmask_b32_e32 v3, v3, v6, vcc
	v_lshlrev_b32_e32 v6, 24, v5
	v_mov_b32_e32 v7, 0x3b800000
	v_lshlrev_b32_e32 v4, 20, v4
	v_and_b32_e32 v6, 0x80000000, v6
	v_lshl_add_u32 v3, v3, 23, v7
	v_or3_b32 v3, v6, v3, v4
.LBB7_1000:
	s_or_b64 exec, exec, s[6:7]
	s_nop 0
	v_mfma_f32_16x16x4f32 a[0:3], v2, v3, a[0:3]
	v_lshrrev_b32_e32 v3, 8, v9
	s_movk_i32 s4, 0x7f
	v_cmp_gt_i16_sdwa s[6:7], v3, s4 src0_sel:BYTE_0 src1_sel:DWORD
	s_mov_b64 s[4:5], 0
                                        ; implicit-def: $sgpr10
	s_and_saveexec_b64 s[8:9], s[6:7]
	s_xor_b64 s[6:7], exec, s[8:9]
	s_cbranch_execnz .LBB7_3049
; %bb.1001:
	s_or_saveexec_b64 s[6:7], s[6:7]
	v_mov_b32_e32 v2, s10
	s_xor_b64 exec, exec, s[6:7]
	s_cbranch_execnz .LBB7_3052
.LBB7_1002:
	s_or_b64 exec, exec, s[6:7]
	s_and_saveexec_b64 s[6:7], s[4:5]
	s_cbranch_execz .LBB7_1004
.LBB7_1003:
	v_bfe_u32 v2, v9, 8, 3
	v_ffbh_u32_e32 v6, v2
	v_min_u32_e32 v6, 32, v6
	v_lshrrev_b16_e32 v4, 3, v3
	v_subrev_u32_e32 v7, 28, v6
	v_and_b32_e32 v4, 15, v4
	v_lshlrev_b32_e32 v3, v7, v3
	v_sub_u32_e32 v6, 29, v6
	v_and_b32_e32 v3, 7, v3
	v_cmp_eq_u16_e32 vcc, 0, v4
	v_cndmask_b32_e32 v2, v2, v3, vcc
	v_cndmask_b32_e32 v3, v4, v6, vcc
	v_lshlrev_b32_e32 v4, 16, v9
	v_mov_b32_e32 v6, 0x3b800000
	v_lshlrev_b32_e32 v2, 20, v2
	v_and_b32_e32 v4, 0x80000000, v4
	v_lshl_add_u32 v3, v3, 23, v6
	v_or3_b32 v2, v4, v3, v2
.LBB7_1004:
	s_or_b64 exec, exec, s[6:7]
	v_lshrrev_b32_e32 v3, 8, v5
	s_movk_i32 s4, 0x7f
	v_cmp_gt_i16_sdwa s[6:7], v3, s4 src0_sel:BYTE_0 src1_sel:DWORD
	s_mov_b64 s[4:5], 0
                                        ; implicit-def: $sgpr10
	s_and_saveexec_b64 s[8:9], s[6:7]
	s_xor_b64 s[6:7], exec, s[8:9]
	s_cbranch_execnz .LBB7_3053
; %bb.1005:
	s_or_saveexec_b64 s[6:7], s[6:7]
	v_mov_b32_e32 v4, s10
	s_xor_b64 exec, exec, s[6:7]
	s_cbranch_execnz .LBB7_3056
.LBB7_1006:
	s_or_b64 exec, exec, s[6:7]
	s_and_saveexec_b64 s[6:7], s[4:5]
	s_cbranch_execz .LBB7_1008
.LBB7_1007:
	v_bfe_u32 v4, v5, 8, 3
	v_ffbh_u32_e32 v7, v4
	v_min_u32_e32 v7, 32, v7
	v_lshrrev_b16_e32 v6, 3, v3
	v_subrev_u32_e32 v8, 28, v7
	v_and_b32_e32 v6, 15, v6
	v_lshlrev_b32_e32 v3, v8, v3
	v_sub_u32_e32 v7, 29, v7
	v_and_b32_e32 v3, 7, v3
	v_cmp_eq_u16_e32 vcc, 0, v6
	v_cndmask_b32_e32 v3, v4, v3, vcc
	v_cndmask_b32_e32 v4, v6, v7, vcc
	v_lshlrev_b32_e32 v6, 16, v5
	v_mov_b32_e32 v7, 0x3b800000
	v_lshlrev_b32_e32 v3, 20, v3
	v_and_b32_e32 v6, 0x80000000, v6
	v_lshl_add_u32 v4, v4, 23, v7
	v_or3_b32 v4, v6, v4, v3
.LBB7_1008:
	s_or_b64 exec, exec, s[6:7]
	s_nop 0
	v_mfma_f32_16x16x4f32 a[0:3], v2, v4, a[0:3]
	s_movk_i32 s4, 0xff
	v_and_b32_sdwa v3, v9, s4 dst_sel:DWORD dst_unused:UNUSED_PAD src0_sel:WORD_1 src1_sel:DWORD
	s_movk_i32 s4, 0x7f
	v_cmp_lt_i16_e32 vcc, s4, v3
	s_mov_b64 s[4:5], 0
                                        ; implicit-def: $sgpr10
	s_and_saveexec_b64 s[6:7], vcc
	s_xor_b64 s[6:7], exec, s[6:7]
	s_cbranch_execnz .LBB7_3057
; %bb.1009:
	s_or_saveexec_b64 s[6:7], s[6:7]
	v_mov_b32_e32 v2, s10
	s_xor_b64 exec, exec, s[6:7]
	s_cbranch_execnz .LBB7_3060
.LBB7_1010:
	s_or_b64 exec, exec, s[6:7]
	s_and_saveexec_b64 s[6:7], s[4:5]
	s_cbranch_execz .LBB7_1012
.LBB7_1011:
	v_bfe_u32 v2, v9, 16, 3
	v_ffbh_u32_e32 v6, v2
	v_min_u32_e32 v6, 32, v6
	v_lshrrev_b32_e32 v3, 19, v9
	v_subrev_u32_e32 v7, 28, v6
	v_and_b32_e32 v3, 15, v3
	v_lshlrev_b32_sdwa v7, v7, v9 dst_sel:DWORD dst_unused:UNUSED_PAD src0_sel:DWORD src1_sel:WORD_1
	v_bfe_u32 v4, v9, 19, 4
	v_sub_u32_e32 v6, 29, v6
	v_and_b32_e32 v7, 7, v7
	v_cmp_eq_u16_e32 vcc, 0, v3
	v_cndmask_b32_e32 v2, v2, v7, vcc
	v_cndmask_b32_e32 v3, v4, v6, vcc
	v_lshlrev_b32_e32 v4, 8, v9
	v_mov_b32_e32 v6, 0x3b800000
	v_lshlrev_b32_e32 v2, 20, v2
	v_and_b32_e32 v4, 0x80000000, v4
	v_lshl_add_u32 v3, v3, 23, v6
	v_or3_b32 v2, v4, v3, v2
.LBB7_1012:
	s_or_b64 exec, exec, s[6:7]
	s_movk_i32 s4, 0xff
	v_and_b32_sdwa v3, v5, s4 dst_sel:DWORD dst_unused:UNUSED_PAD src0_sel:WORD_1 src1_sel:DWORD
	s_movk_i32 s4, 0x7f
	v_cmp_lt_i16_e32 vcc, s4, v3
	s_mov_b64 s[4:5], 0
                                        ; implicit-def: $sgpr10
	s_and_saveexec_b64 s[6:7], vcc
	s_xor_b64 s[6:7], exec, s[6:7]
	s_cbranch_execnz .LBB7_3061
; %bb.1013:
	s_or_saveexec_b64 s[6:7], s[6:7]
	v_mov_b32_e32 v4, s10
	s_xor_b64 exec, exec, s[6:7]
	s_cbranch_execnz .LBB7_3064
.LBB7_1014:
	s_or_b64 exec, exec, s[6:7]
	s_and_saveexec_b64 s[6:7], s[4:5]
	s_cbranch_execz .LBB7_1016
.LBB7_1015:
	v_bfe_u32 v3, v5, 16, 3
	v_ffbh_u32_e32 v7, v3
	v_min_u32_e32 v7, 32, v7
	v_lshrrev_b32_e32 v4, 19, v5
	v_subrev_u32_e32 v8, 28, v7
	v_and_b32_e32 v4, 15, v4
	v_lshlrev_b32_sdwa v8, v8, v5 dst_sel:DWORD dst_unused:UNUSED_PAD src0_sel:DWORD src1_sel:WORD_1
	v_bfe_u32 v6, v5, 19, 4
	v_sub_u32_e32 v7, 29, v7
	v_and_b32_e32 v8, 7, v8
	v_cmp_eq_u16_e32 vcc, 0, v4
	v_cndmask_b32_e32 v3, v3, v8, vcc
	v_cndmask_b32_e32 v4, v6, v7, vcc
	v_lshlrev_b32_e32 v6, 8, v5
	v_mov_b32_e32 v7, 0x3b800000
	v_lshlrev_b32_e32 v3, 20, v3
	v_and_b32_e32 v6, 0x80000000, v6
	v_lshl_add_u32 v4, v4, 23, v7
	v_or3_b32 v4, v6, v4, v3
.LBB7_1016:
	s_or_b64 exec, exec, s[6:7]
	s_nop 0
	v_mfma_f32_16x16x4f32 a[0:3], v2, v4, a[0:3]
	s_movk_i32 s4, 0x7f
	v_cmp_gt_i16_sdwa s[6:7], v9, s4 src0_sel:BYTE_3 src1_sel:DWORD
	s_mov_b64 s[4:5], 0
                                        ; implicit-def: $sgpr10
	s_and_saveexec_b64 s[8:9], s[6:7]
	s_xor_b64 s[6:7], exec, s[8:9]
	s_cbranch_execnz .LBB7_3065
; %bb.1017:
	s_or_saveexec_b64 s[6:7], s[6:7]
	v_mov_b32_e32 v2, s10
	s_xor_b64 exec, exec, s[6:7]
	s_cbranch_execnz .LBB7_3068
.LBB7_1018:
	s_or_b64 exec, exec, s[6:7]
	s_and_saveexec_b64 s[6:7], s[4:5]
	s_cbranch_execz .LBB7_1020
.LBB7_1019:
	v_bfe_u32 v2, v9, 24, 3
	v_ffbh_u32_e32 v7, v2
	v_min_u32_e32 v7, 32, v7
	v_lshrrev_b32_e32 v4, 27, v9
	v_subrev_u32_e32 v8, 28, v7
	v_and_b32_e32 v4, 15, v4
	v_lshlrev_b32_sdwa v8, v8, v9 dst_sel:DWORD dst_unused:UNUSED_PAD src0_sel:DWORD src1_sel:BYTE_3
	v_bfe_u32 v6, v9, 27, 4
	v_sub_u32_e32 v7, 29, v7
	v_and_b32_e32 v8, 7, v8
	v_cmp_eq_u16_e32 vcc, 0, v4
	v_cndmask_b32_e32 v2, v2, v8, vcc
	v_cndmask_b32_e32 v4, v6, v7, vcc
	v_mov_b32_e32 v6, 0x3b800000
	v_and_b32_e32 v3, 0x80000000, v9
	v_lshlrev_b32_e32 v2, 20, v2
	v_lshl_add_u32 v4, v4, 23, v6
	v_or3_b32 v2, v3, v4, v2
.LBB7_1020:
	s_or_b64 exec, exec, s[6:7]
	s_movk_i32 s4, 0x7f
	v_cmp_gt_i16_sdwa s[6:7], v5, s4 src0_sel:BYTE_3 src1_sel:DWORD
	s_mov_b64 s[4:5], 0
                                        ; implicit-def: $sgpr10
	s_and_saveexec_b64 s[8:9], s[6:7]
	s_xor_b64 s[6:7], exec, s[8:9]
	s_cbranch_execnz .LBB7_3069
; %bb.1021:
	s_or_saveexec_b64 s[6:7], s[6:7]
	v_mov_b32_e32 v3, s10
	s_xor_b64 exec, exec, s[6:7]
	s_cbranch_execnz .LBB7_3072
.LBB7_1022:
	s_or_b64 exec, exec, s[6:7]
	s_and_saveexec_b64 s[6:7], s[4:5]
	s_cbranch_execz .LBB7_1024
.LBB7_1023:
	v_bfe_u32 v3, v5, 24, 3
	v_ffbh_u32_e32 v8, v3
	v_min_u32_e32 v8, 32, v8
	v_lshrrev_b32_e32 v6, 27, v5
	v_subrev_u32_e32 v9, 28, v8
	v_and_b32_e32 v4, 0x80000000, v5
	v_and_b32_e32 v6, 15, v6
	v_bfe_u32 v7, v5, 27, 4
	v_lshlrev_b32_sdwa v5, v9, v5 dst_sel:DWORD dst_unused:UNUSED_PAD src0_sel:DWORD src1_sel:BYTE_3
	v_sub_u32_e32 v8, 29, v8
	v_and_b32_e32 v5, 7, v5
	v_cmp_eq_u16_e32 vcc, 0, v6
	v_cndmask_b32_e32 v3, v3, v5, vcc
	v_cndmask_b32_e32 v5, v7, v8, vcc
	v_mov_b32_e32 v6, 0x3b800000
	v_lshlrev_b32_e32 v3, 20, v3
	v_lshl_add_u32 v5, v5, 23, v6
	v_or3_b32 v3, v4, v5, v3
.LBB7_1024:
	s_or_b64 exec, exec, s[6:7]
	s_nop 0
	v_mfma_f32_16x16x4f32 a[0:3], v2, v3, a[0:3]
	s_movk_i32 s4, 0x7f
                                        ; implicit-def: $sgpr10
	s_nop 7
	s_nop 1
	flat_store_dwordx4 v[18:19], a[0:3] offset:688
	flat_load_dwordx4 v[20:23], v[0:1] offset:16
	s_nop 0
	flat_load_dwordx2 v[18:19], v[0:1] offset:32
	s_waitcnt vmcnt(0) lgkmcnt(0)
	flat_load_dwordx4 v[14:17], v[20:21] offset:32
	flat_load_dwordx4 v[6:9], v[20:21] offset:48
	;; [unrolled: 1-line block ×4, first 2 shown]
	s_waitcnt vmcnt(0) lgkmcnt(0)
	v_cmp_gt_i16_sdwa s[6:7], v14, s4 src0_sel:BYTE_0 src1_sel:DWORD
	s_mov_b64 s[4:5], 0
	s_and_saveexec_b64 s[8:9], s[6:7]
	s_xor_b64 s[6:7], exec, s[8:9]
	s_cbranch_execnz .LBB7_3073
; %bb.1025:
	s_or_saveexec_b64 s[6:7], s[6:7]
	v_mov_b32_e32 v20, s10
	s_xor_b64 exec, exec, s[6:7]
	s_cbranch_execnz .LBB7_3076
.LBB7_1026:
	s_or_b64 exec, exec, s[6:7]
	s_and_saveexec_b64 s[6:7], s[4:5]
	s_cbranch_execz .LBB7_1028
.LBB7_1027:
	v_and_b32_e32 v20, 7, v14
	v_ffbh_u32_e32 v22, v20
	v_min_u32_e32 v22, 32, v22
	v_lshrrev_b16_e32 v21, 3, v14
	v_subrev_u32_e32 v23, 28, v22
	v_and_b32_e32 v21, 15, v21
	v_lshlrev_b32_e32 v23, v23, v14
	v_sub_u32_e32 v22, 29, v22
	v_and_b32_e32 v23, 7, v23
	v_cmp_eq_u16_e32 vcc, 0, v21
	v_cndmask_b32_e32 v20, v20, v23, vcc
	v_cndmask_b32_e32 v21, v21, v22, vcc
	v_lshlrev_b32_e32 v22, 24, v14
	v_mov_b32_e32 v23, 0x3b800000
	v_lshlrev_b32_e32 v20, 20, v20
	v_and_b32_e32 v22, 0x80000000, v22
	v_lshl_add_u32 v21, v21, 23, v23
	v_or3_b32 v20, v22, v21, v20
.LBB7_1028:
	s_or_b64 exec, exec, s[6:7]
	s_movk_i32 s4, 0x7f
	v_cmp_gt_i16_sdwa s[6:7], v10, s4 src0_sel:BYTE_0 src1_sel:DWORD
	s_mov_b64 s[4:5], 0
                                        ; implicit-def: $sgpr10
	s_and_saveexec_b64 s[8:9], s[6:7]
	s_xor_b64 s[6:7], exec, s[8:9]
	s_cbranch_execnz .LBB7_3077
; %bb.1029:
	s_or_saveexec_b64 s[6:7], s[6:7]
	v_mov_b32_e32 v21, s10
	s_xor_b64 exec, exec, s[6:7]
	s_cbranch_execnz .LBB7_3080
.LBB7_1030:
	s_or_b64 exec, exec, s[6:7]
	s_and_saveexec_b64 s[6:7], s[4:5]
	s_cbranch_execz .LBB7_1032
.LBB7_1031:
	v_and_b32_e32 v21, 7, v10
	v_ffbh_u32_e32 v23, v21
	v_min_u32_e32 v23, 32, v23
	v_lshrrev_b16_e32 v22, 3, v10
	v_subrev_u32_e32 v24, 28, v23
	v_and_b32_e32 v22, 15, v22
	v_lshlrev_b32_e32 v24, v24, v10
	v_sub_u32_e32 v23, 29, v23
	v_and_b32_e32 v24, 7, v24
	v_cmp_eq_u16_e32 vcc, 0, v22
	v_cndmask_b32_e32 v21, v21, v24, vcc
	v_cndmask_b32_e32 v22, v22, v23, vcc
	v_lshlrev_b32_e32 v23, 24, v10
	v_mov_b32_e32 v24, 0x3b800000
	v_lshlrev_b32_e32 v21, 20, v21
	v_and_b32_e32 v23, 0x80000000, v23
	v_lshl_add_u32 v22, v22, 23, v24
	v_or3_b32 v21, v23, v22, v21
.LBB7_1032:
	s_or_b64 exec, exec, s[6:7]
	flat_load_dwordx4 a[0:3], v[18:19] offset:704
	s_movk_i32 s4, 0x7f
                                        ; implicit-def: $sgpr10
	s_waitcnt vmcnt(0) lgkmcnt(0)
	v_mfma_f32_16x16x4f32 a[0:3], v20, v21, a[0:3]
	v_lshrrev_b32_e32 v21, 8, v14
	v_cmp_gt_i16_sdwa s[6:7], v21, s4 src0_sel:BYTE_0 src1_sel:DWORD
	s_mov_b64 s[4:5], 0
	s_and_saveexec_b64 s[8:9], s[6:7]
	s_xor_b64 s[6:7], exec, s[8:9]
	s_cbranch_execnz .LBB7_3081
; %bb.1033:
	s_or_saveexec_b64 s[6:7], s[6:7]
	v_mov_b32_e32 v20, s10
	s_xor_b64 exec, exec, s[6:7]
	s_cbranch_execnz .LBB7_3084
.LBB7_1034:
	s_or_b64 exec, exec, s[6:7]
	s_and_saveexec_b64 s[6:7], s[4:5]
	s_cbranch_execz .LBB7_1036
.LBB7_1035:
	v_bfe_u32 v20, v14, 8, 3
	v_ffbh_u32_e32 v23, v20
	v_min_u32_e32 v23, 32, v23
	v_lshrrev_b16_e32 v22, 3, v21
	v_subrev_u32_e32 v24, 28, v23
	v_and_b32_e32 v22, 15, v22
	v_lshlrev_b32_e32 v21, v24, v21
	v_sub_u32_e32 v23, 29, v23
	v_and_b32_e32 v21, 7, v21
	v_cmp_eq_u16_e32 vcc, 0, v22
	v_cndmask_b32_e32 v20, v20, v21, vcc
	v_cndmask_b32_e32 v21, v22, v23, vcc
	v_lshlrev_b32_e32 v22, 16, v14
	v_mov_b32_e32 v23, 0x3b800000
	v_lshlrev_b32_e32 v20, 20, v20
	v_and_b32_e32 v22, 0x80000000, v22
	v_lshl_add_u32 v21, v21, 23, v23
	v_or3_b32 v20, v22, v21, v20
.LBB7_1036:
	s_or_b64 exec, exec, s[6:7]
	v_lshrrev_b32_e32 v21, 8, v10
	s_movk_i32 s4, 0x7f
	v_cmp_gt_i16_sdwa s[6:7], v21, s4 src0_sel:BYTE_0 src1_sel:DWORD
	s_mov_b64 s[4:5], 0
                                        ; implicit-def: $sgpr10
	s_and_saveexec_b64 s[8:9], s[6:7]
	s_xor_b64 s[6:7], exec, s[8:9]
	s_cbranch_execnz .LBB7_3085
; %bb.1037:
	s_or_saveexec_b64 s[6:7], s[6:7]
	v_mov_b32_e32 v22, s10
	s_xor_b64 exec, exec, s[6:7]
	s_cbranch_execnz .LBB7_3088
.LBB7_1038:
	s_or_b64 exec, exec, s[6:7]
	s_and_saveexec_b64 s[6:7], s[4:5]
	s_cbranch_execz .LBB7_1040
.LBB7_1039:
	v_bfe_u32 v22, v10, 8, 3
	v_ffbh_u32_e32 v24, v22
	v_min_u32_e32 v24, 32, v24
	v_lshrrev_b16_e32 v23, 3, v21
	v_subrev_u32_e32 v25, 28, v24
	v_and_b32_e32 v23, 15, v23
	v_lshlrev_b32_e32 v21, v25, v21
	v_sub_u32_e32 v24, 29, v24
	v_and_b32_e32 v21, 7, v21
	v_cmp_eq_u16_e32 vcc, 0, v23
	v_cndmask_b32_e32 v21, v22, v21, vcc
	v_cndmask_b32_e32 v22, v23, v24, vcc
	v_lshlrev_b32_e32 v23, 16, v10
	v_mov_b32_e32 v24, 0x3b800000
	v_lshlrev_b32_e32 v21, 20, v21
	v_and_b32_e32 v23, 0x80000000, v23
	v_lshl_add_u32 v22, v22, 23, v24
	v_or3_b32 v22, v23, v22, v21
.LBB7_1040:
	s_or_b64 exec, exec, s[6:7]
	s_nop 0
	v_mfma_f32_16x16x4f32 a[0:3], v20, v22, a[0:3]
	s_movk_i32 s4, 0xff
	v_and_b32_sdwa v21, v14, s4 dst_sel:DWORD dst_unused:UNUSED_PAD src0_sel:WORD_1 src1_sel:DWORD
	s_movk_i32 s4, 0x7f
	v_cmp_lt_i16_e32 vcc, s4, v21
	s_mov_b64 s[4:5], 0
                                        ; implicit-def: $sgpr10
	s_and_saveexec_b64 s[6:7], vcc
	s_xor_b64 s[6:7], exec, s[6:7]
	s_cbranch_execnz .LBB7_3089
; %bb.1041:
	s_or_saveexec_b64 s[6:7], s[6:7]
	v_mov_b32_e32 v20, s10
	s_xor_b64 exec, exec, s[6:7]
	s_cbranch_execnz .LBB7_3092
.LBB7_1042:
	s_or_b64 exec, exec, s[6:7]
	s_and_saveexec_b64 s[6:7], s[4:5]
	s_cbranch_execz .LBB7_1044
.LBB7_1043:
	v_bfe_u32 v20, v14, 16, 3
	v_ffbh_u32_e32 v23, v20
	v_min_u32_e32 v23, 32, v23
	v_lshrrev_b32_e32 v21, 19, v14
	v_subrev_u32_e32 v24, 28, v23
	v_and_b32_e32 v21, 15, v21
	v_lshlrev_b32_sdwa v24, v24, v14 dst_sel:DWORD dst_unused:UNUSED_PAD src0_sel:DWORD src1_sel:WORD_1
	v_bfe_u32 v22, v14, 19, 4
	v_sub_u32_e32 v23, 29, v23
	v_and_b32_e32 v24, 7, v24
	v_cmp_eq_u16_e32 vcc, 0, v21
	v_cndmask_b32_e32 v20, v20, v24, vcc
	v_cndmask_b32_e32 v21, v22, v23, vcc
	v_lshlrev_b32_e32 v22, 8, v14
	v_mov_b32_e32 v23, 0x3b800000
	v_lshlrev_b32_e32 v20, 20, v20
	v_and_b32_e32 v22, 0x80000000, v22
	v_lshl_add_u32 v21, v21, 23, v23
	v_or3_b32 v20, v22, v21, v20
.LBB7_1044:
	s_or_b64 exec, exec, s[6:7]
	s_movk_i32 s4, 0xff
	v_and_b32_sdwa v21, v10, s4 dst_sel:DWORD dst_unused:UNUSED_PAD src0_sel:WORD_1 src1_sel:DWORD
	s_movk_i32 s4, 0x7f
	v_cmp_lt_i16_e32 vcc, s4, v21
	s_mov_b64 s[4:5], 0
                                        ; implicit-def: $sgpr10
	s_and_saveexec_b64 s[6:7], vcc
	s_xor_b64 s[6:7], exec, s[6:7]
	s_cbranch_execnz .LBB7_3093
; %bb.1045:
	s_or_saveexec_b64 s[6:7], s[6:7]
	v_mov_b32_e32 v22, s10
	s_xor_b64 exec, exec, s[6:7]
	s_cbranch_execnz .LBB7_3096
.LBB7_1046:
	s_or_b64 exec, exec, s[6:7]
	s_and_saveexec_b64 s[6:7], s[4:5]
	s_cbranch_execz .LBB7_1048
.LBB7_1047:
	v_bfe_u32 v21, v10, 16, 3
	v_ffbh_u32_e32 v24, v21
	v_min_u32_e32 v24, 32, v24
	v_lshrrev_b32_e32 v22, 19, v10
	v_subrev_u32_e32 v25, 28, v24
	v_and_b32_e32 v22, 15, v22
	v_lshlrev_b32_sdwa v25, v25, v10 dst_sel:DWORD dst_unused:UNUSED_PAD src0_sel:DWORD src1_sel:WORD_1
	v_bfe_u32 v23, v10, 19, 4
	v_sub_u32_e32 v24, 29, v24
	v_and_b32_e32 v25, 7, v25
	v_cmp_eq_u16_e32 vcc, 0, v22
	v_cndmask_b32_e32 v21, v21, v25, vcc
	v_cndmask_b32_e32 v22, v23, v24, vcc
	v_lshlrev_b32_e32 v23, 8, v10
	v_mov_b32_e32 v24, 0x3b800000
	v_lshlrev_b32_e32 v21, 20, v21
	v_and_b32_e32 v23, 0x80000000, v23
	v_lshl_add_u32 v22, v22, 23, v24
	v_or3_b32 v22, v23, v22, v21
.LBB7_1048:
	s_or_b64 exec, exec, s[6:7]
	s_nop 0
	v_mfma_f32_16x16x4f32 a[0:3], v20, v22, a[0:3]
	s_movk_i32 s4, 0x7f
	v_cmp_gt_i16_sdwa s[6:7], v14, s4 src0_sel:BYTE_3 src1_sel:DWORD
	s_mov_b64 s[4:5], 0
                                        ; implicit-def: $sgpr10
	s_and_saveexec_b64 s[8:9], s[6:7]
	s_xor_b64 s[6:7], exec, s[8:9]
	s_cbranch_execnz .LBB7_3097
; %bb.1049:
	s_or_saveexec_b64 s[6:7], s[6:7]
	v_mov_b32_e32 v20, s10
	s_xor_b64 exec, exec, s[6:7]
	s_cbranch_execnz .LBB7_3100
.LBB7_1050:
	s_or_b64 exec, exec, s[6:7]
	s_and_saveexec_b64 s[6:7], s[4:5]
	s_cbranch_execz .LBB7_1052
.LBB7_1051:
	v_bfe_u32 v20, v14, 24, 3
	v_ffbh_u32_e32 v24, v20
	v_min_u32_e32 v24, 32, v24
	v_lshrrev_b32_e32 v22, 27, v14
	v_subrev_u32_e32 v25, 28, v24
	v_and_b32_e32 v21, 0x80000000, v14
	v_and_b32_e32 v22, 15, v22
	v_bfe_u32 v23, v14, 27, 4
	v_lshlrev_b32_sdwa v14, v25, v14 dst_sel:DWORD dst_unused:UNUSED_PAD src0_sel:DWORD src1_sel:BYTE_3
	v_sub_u32_e32 v24, 29, v24
	v_and_b32_e32 v14, 7, v14
	v_cmp_eq_u16_e32 vcc, 0, v22
	v_cndmask_b32_e32 v14, v20, v14, vcc
	v_cndmask_b32_e32 v20, v23, v24, vcc
	v_mov_b32_e32 v22, 0x3b800000
	v_lshlrev_b32_e32 v14, 20, v14
	v_lshl_add_u32 v20, v20, 23, v22
	v_or3_b32 v20, v21, v20, v14
.LBB7_1052:
	s_or_b64 exec, exec, s[6:7]
	s_movk_i32 s4, 0x7f
	v_cmp_gt_i16_sdwa s[6:7], v10, s4 src0_sel:BYTE_3 src1_sel:DWORD
	s_mov_b64 s[4:5], 0
                                        ; implicit-def: $sgpr10
	s_and_saveexec_b64 s[8:9], s[6:7]
	s_xor_b64 s[6:7], exec, s[8:9]
	s_cbranch_execnz .LBB7_3101
; %bb.1053:
	s_or_saveexec_b64 s[6:7], s[6:7]
	v_mov_b32_e32 v14, s10
	s_xor_b64 exec, exec, s[6:7]
	s_cbranch_execnz .LBB7_3104
.LBB7_1054:
	s_or_b64 exec, exec, s[6:7]
	s_and_saveexec_b64 s[6:7], s[4:5]
	s_cbranch_execz .LBB7_1056
.LBB7_1055:
	v_bfe_u32 v14, v10, 24, 3
	v_ffbh_u32_e32 v24, v14
	v_min_u32_e32 v24, 32, v24
	v_lshrrev_b32_e32 v22, 27, v10
	v_subrev_u32_e32 v25, 28, v24
	v_and_b32_e32 v21, 0x80000000, v10
	v_and_b32_e32 v22, 15, v22
	v_bfe_u32 v23, v10, 27, 4
	v_lshlrev_b32_sdwa v10, v25, v10 dst_sel:DWORD dst_unused:UNUSED_PAD src0_sel:DWORD src1_sel:BYTE_3
	v_sub_u32_e32 v24, 29, v24
	v_and_b32_e32 v10, 7, v10
	v_cmp_eq_u16_e32 vcc, 0, v22
	v_cndmask_b32_e32 v10, v14, v10, vcc
	v_cndmask_b32_e32 v14, v23, v24, vcc
	v_mov_b32_e32 v22, 0x3b800000
	v_lshlrev_b32_e32 v10, 20, v10
	v_lshl_add_u32 v14, v14, 23, v22
	v_or3_b32 v14, v21, v14, v10
.LBB7_1056:
	s_or_b64 exec, exec, s[6:7]
	s_nop 0
	v_mfma_f32_16x16x4f32 a[0:3], v20, v14, a[0:3]
	s_movk_i32 s4, 0x7f
	v_cmp_gt_i16_sdwa s[6:7], v15, s4 src0_sel:BYTE_0 src1_sel:DWORD
	s_mov_b64 s[4:5], 0
                                        ; implicit-def: $sgpr10
	s_and_saveexec_b64 s[8:9], s[6:7]
	s_xor_b64 s[6:7], exec, s[8:9]
	s_cbranch_execnz .LBB7_3105
; %bb.1057:
	s_or_saveexec_b64 s[6:7], s[6:7]
	v_mov_b32_e32 v10, s10
	s_xor_b64 exec, exec, s[6:7]
	s_cbranch_execnz .LBB7_3108
.LBB7_1058:
	s_or_b64 exec, exec, s[6:7]
	s_and_saveexec_b64 s[6:7], s[4:5]
	s_cbranch_execz .LBB7_1060
.LBB7_1059:
	v_and_b32_e32 v10, 7, v15
	v_ffbh_u32_e32 v20, v10
	v_min_u32_e32 v20, 32, v20
	v_lshrrev_b16_e32 v14, 3, v15
	v_subrev_u32_e32 v21, 28, v20
	v_and_b32_e32 v14, 15, v14
	v_lshlrev_b32_e32 v21, v21, v15
	v_sub_u32_e32 v20, 29, v20
	v_and_b32_e32 v21, 7, v21
	v_cmp_eq_u16_e32 vcc, 0, v14
	v_cndmask_b32_e32 v10, v10, v21, vcc
	v_cndmask_b32_e32 v14, v14, v20, vcc
	v_lshlrev_b32_e32 v20, 24, v15
	v_mov_b32_e32 v21, 0x3b800000
	v_lshlrev_b32_e32 v10, 20, v10
	v_and_b32_e32 v20, 0x80000000, v20
	v_lshl_add_u32 v14, v14, 23, v21
	v_or3_b32 v10, v20, v14, v10
.LBB7_1060:
	s_or_b64 exec, exec, s[6:7]
	s_movk_i32 s4, 0x7f
	v_cmp_gt_i16_sdwa s[6:7], v11, s4 src0_sel:BYTE_0 src1_sel:DWORD
	s_mov_b64 s[4:5], 0
                                        ; implicit-def: $sgpr10
	s_and_saveexec_b64 s[8:9], s[6:7]
	s_xor_b64 s[6:7], exec, s[8:9]
	s_cbranch_execnz .LBB7_3109
; %bb.1061:
	s_or_saveexec_b64 s[6:7], s[6:7]
	v_mov_b32_e32 v14, s10
	s_xor_b64 exec, exec, s[6:7]
	s_cbranch_execnz .LBB7_3112
.LBB7_1062:
	s_or_b64 exec, exec, s[6:7]
	s_and_saveexec_b64 s[6:7], s[4:5]
	s_cbranch_execz .LBB7_1064
.LBB7_1063:
	v_and_b32_e32 v14, 7, v11
	v_ffbh_u32_e32 v21, v14
	v_min_u32_e32 v21, 32, v21
	v_lshrrev_b16_e32 v20, 3, v11
	v_subrev_u32_e32 v22, 28, v21
	v_and_b32_e32 v20, 15, v20
	v_lshlrev_b32_e32 v22, v22, v11
	v_sub_u32_e32 v21, 29, v21
	v_and_b32_e32 v22, 7, v22
	v_cmp_eq_u16_e32 vcc, 0, v20
	v_cndmask_b32_e32 v14, v14, v22, vcc
	v_cndmask_b32_e32 v20, v20, v21, vcc
	v_lshlrev_b32_e32 v21, 24, v11
	v_mov_b32_e32 v22, 0x3b800000
	v_lshlrev_b32_e32 v14, 20, v14
	v_and_b32_e32 v21, 0x80000000, v21
	v_lshl_add_u32 v20, v20, 23, v22
	v_or3_b32 v14, v21, v20, v14
.LBB7_1064:
	s_or_b64 exec, exec, s[6:7]
	s_nop 0
	v_mfma_f32_16x16x4f32 a[0:3], v10, v14, a[0:3]
	v_lshrrev_b32_e32 v14, 8, v15
	s_movk_i32 s4, 0x7f
	v_cmp_gt_i16_sdwa s[6:7], v14, s4 src0_sel:BYTE_0 src1_sel:DWORD
	s_mov_b64 s[4:5], 0
                                        ; implicit-def: $sgpr10
	s_and_saveexec_b64 s[8:9], s[6:7]
	s_xor_b64 s[6:7], exec, s[8:9]
	s_cbranch_execnz .LBB7_3113
; %bb.1065:
	s_or_saveexec_b64 s[6:7], s[6:7]
	v_mov_b32_e32 v10, s10
	s_xor_b64 exec, exec, s[6:7]
	s_cbranch_execnz .LBB7_3116
.LBB7_1066:
	s_or_b64 exec, exec, s[6:7]
	s_and_saveexec_b64 s[6:7], s[4:5]
	s_cbranch_execz .LBB7_1068
.LBB7_1067:
	v_bfe_u32 v10, v15, 8, 3
	v_ffbh_u32_e32 v21, v10
	v_min_u32_e32 v21, 32, v21
	v_lshrrev_b16_e32 v20, 3, v14
	v_subrev_u32_e32 v22, 28, v21
	v_and_b32_e32 v20, 15, v20
	v_lshlrev_b32_e32 v14, v22, v14
	v_sub_u32_e32 v21, 29, v21
	v_and_b32_e32 v14, 7, v14
	v_cmp_eq_u16_e32 vcc, 0, v20
	v_cndmask_b32_e32 v10, v10, v14, vcc
	v_cndmask_b32_e32 v14, v20, v21, vcc
	v_lshlrev_b32_e32 v20, 16, v15
	v_mov_b32_e32 v21, 0x3b800000
	v_lshlrev_b32_e32 v10, 20, v10
	v_and_b32_e32 v20, 0x80000000, v20
	v_lshl_add_u32 v14, v14, 23, v21
	v_or3_b32 v10, v20, v14, v10
.LBB7_1068:
	s_or_b64 exec, exec, s[6:7]
	v_lshrrev_b32_e32 v14, 8, v11
	s_movk_i32 s4, 0x7f
	v_cmp_gt_i16_sdwa s[6:7], v14, s4 src0_sel:BYTE_0 src1_sel:DWORD
	s_mov_b64 s[4:5], 0
                                        ; implicit-def: $sgpr10
	s_and_saveexec_b64 s[8:9], s[6:7]
	s_xor_b64 s[6:7], exec, s[8:9]
	s_cbranch_execnz .LBB7_3117
; %bb.1069:
	s_or_saveexec_b64 s[6:7], s[6:7]
	v_mov_b32_e32 v20, s10
	s_xor_b64 exec, exec, s[6:7]
	s_cbranch_execnz .LBB7_3120
.LBB7_1070:
	s_or_b64 exec, exec, s[6:7]
	s_and_saveexec_b64 s[6:7], s[4:5]
	s_cbranch_execz .LBB7_1072
.LBB7_1071:
	v_bfe_u32 v20, v11, 8, 3
	v_ffbh_u32_e32 v22, v20
	v_min_u32_e32 v22, 32, v22
	v_lshrrev_b16_e32 v21, 3, v14
	v_subrev_u32_e32 v23, 28, v22
	v_and_b32_e32 v21, 15, v21
	v_lshlrev_b32_e32 v14, v23, v14
	v_sub_u32_e32 v22, 29, v22
	v_and_b32_e32 v14, 7, v14
	v_cmp_eq_u16_e32 vcc, 0, v21
	v_cndmask_b32_e32 v14, v20, v14, vcc
	v_cndmask_b32_e32 v20, v21, v22, vcc
	v_lshlrev_b32_e32 v21, 16, v11
	v_mov_b32_e32 v22, 0x3b800000
	v_lshlrev_b32_e32 v14, 20, v14
	v_and_b32_e32 v21, 0x80000000, v21
	v_lshl_add_u32 v20, v20, 23, v22
	v_or3_b32 v20, v21, v20, v14
.LBB7_1072:
	s_or_b64 exec, exec, s[6:7]
	s_nop 0
	v_mfma_f32_16x16x4f32 a[0:3], v10, v20, a[0:3]
	s_movk_i32 s4, 0xff
	v_and_b32_sdwa v14, v15, s4 dst_sel:DWORD dst_unused:UNUSED_PAD src0_sel:WORD_1 src1_sel:DWORD
	s_movk_i32 s4, 0x7f
	v_cmp_lt_i16_e32 vcc, s4, v14
	s_mov_b64 s[4:5], 0
                                        ; implicit-def: $sgpr10
	s_and_saveexec_b64 s[6:7], vcc
	s_xor_b64 s[6:7], exec, s[6:7]
	s_cbranch_execnz .LBB7_3121
; %bb.1073:
	s_or_saveexec_b64 s[6:7], s[6:7]
	v_mov_b32_e32 v10, s10
	s_xor_b64 exec, exec, s[6:7]
	s_cbranch_execnz .LBB7_3124
.LBB7_1074:
	s_or_b64 exec, exec, s[6:7]
	s_and_saveexec_b64 s[6:7], s[4:5]
	s_cbranch_execz .LBB7_1076
.LBB7_1075:
	v_bfe_u32 v10, v15, 16, 3
	v_ffbh_u32_e32 v21, v10
	v_min_u32_e32 v21, 32, v21
	v_lshrrev_b32_e32 v14, 19, v15
	v_subrev_u32_e32 v22, 28, v21
	v_and_b32_e32 v14, 15, v14
	v_lshlrev_b32_sdwa v22, v22, v15 dst_sel:DWORD dst_unused:UNUSED_PAD src0_sel:DWORD src1_sel:WORD_1
	v_bfe_u32 v20, v15, 19, 4
	v_sub_u32_e32 v21, 29, v21
	v_and_b32_e32 v22, 7, v22
	v_cmp_eq_u16_e32 vcc, 0, v14
	v_cndmask_b32_e32 v10, v10, v22, vcc
	v_cndmask_b32_e32 v14, v20, v21, vcc
	v_lshlrev_b32_e32 v20, 8, v15
	v_mov_b32_e32 v21, 0x3b800000
	v_lshlrev_b32_e32 v10, 20, v10
	v_and_b32_e32 v20, 0x80000000, v20
	v_lshl_add_u32 v14, v14, 23, v21
	v_or3_b32 v10, v20, v14, v10
.LBB7_1076:
	s_or_b64 exec, exec, s[6:7]
	s_movk_i32 s4, 0xff
	v_and_b32_sdwa v14, v11, s4 dst_sel:DWORD dst_unused:UNUSED_PAD src0_sel:WORD_1 src1_sel:DWORD
	s_movk_i32 s4, 0x7f
	v_cmp_lt_i16_e32 vcc, s4, v14
	s_mov_b64 s[4:5], 0
                                        ; implicit-def: $sgpr10
	s_and_saveexec_b64 s[6:7], vcc
	s_xor_b64 s[6:7], exec, s[6:7]
	s_cbranch_execnz .LBB7_3125
; %bb.1077:
	s_or_saveexec_b64 s[6:7], s[6:7]
	v_mov_b32_e32 v20, s10
	s_xor_b64 exec, exec, s[6:7]
	s_cbranch_execnz .LBB7_3128
.LBB7_1078:
	s_or_b64 exec, exec, s[6:7]
	s_and_saveexec_b64 s[6:7], s[4:5]
	s_cbranch_execz .LBB7_1080
.LBB7_1079:
	v_bfe_u32 v14, v11, 16, 3
	v_ffbh_u32_e32 v22, v14
	v_min_u32_e32 v22, 32, v22
	v_lshrrev_b32_e32 v20, 19, v11
	v_subrev_u32_e32 v23, 28, v22
	v_and_b32_e32 v20, 15, v20
	v_lshlrev_b32_sdwa v23, v23, v11 dst_sel:DWORD dst_unused:UNUSED_PAD src0_sel:DWORD src1_sel:WORD_1
	v_bfe_u32 v21, v11, 19, 4
	v_sub_u32_e32 v22, 29, v22
	v_and_b32_e32 v23, 7, v23
	v_cmp_eq_u16_e32 vcc, 0, v20
	v_cndmask_b32_e32 v14, v14, v23, vcc
	v_cndmask_b32_e32 v20, v21, v22, vcc
	v_lshlrev_b32_e32 v21, 8, v11
	v_mov_b32_e32 v22, 0x3b800000
	v_lshlrev_b32_e32 v14, 20, v14
	v_and_b32_e32 v21, 0x80000000, v21
	v_lshl_add_u32 v20, v20, 23, v22
	v_or3_b32 v20, v21, v20, v14
.LBB7_1080:
	s_or_b64 exec, exec, s[6:7]
	s_nop 0
	v_mfma_f32_16x16x4f32 a[0:3], v10, v20, a[0:3]
	s_movk_i32 s4, 0x7f
	v_cmp_gt_i16_sdwa s[6:7], v15, s4 src0_sel:BYTE_3 src1_sel:DWORD
	s_mov_b64 s[4:5], 0
                                        ; implicit-def: $sgpr10
	s_and_saveexec_b64 s[8:9], s[6:7]
	s_xor_b64 s[6:7], exec, s[8:9]
	s_cbranch_execnz .LBB7_3129
; %bb.1081:
	s_or_saveexec_b64 s[6:7], s[6:7]
	v_mov_b32_e32 v10, s10
	s_xor_b64 exec, exec, s[6:7]
	s_cbranch_execnz .LBB7_3132
.LBB7_1082:
	s_or_b64 exec, exec, s[6:7]
	s_and_saveexec_b64 s[6:7], s[4:5]
	s_cbranch_execz .LBB7_1084
.LBB7_1083:
	v_bfe_u32 v10, v15, 24, 3
	v_ffbh_u32_e32 v22, v10
	v_min_u32_e32 v22, 32, v22
	v_lshrrev_b32_e32 v20, 27, v15
	v_subrev_u32_e32 v23, 28, v22
	v_and_b32_e32 v14, 0x80000000, v15
	v_and_b32_e32 v20, 15, v20
	v_bfe_u32 v21, v15, 27, 4
	v_lshlrev_b32_sdwa v15, v23, v15 dst_sel:DWORD dst_unused:UNUSED_PAD src0_sel:DWORD src1_sel:BYTE_3
	v_sub_u32_e32 v22, 29, v22
	v_and_b32_e32 v15, 7, v15
	v_cmp_eq_u16_e32 vcc, 0, v20
	v_cndmask_b32_e32 v10, v10, v15, vcc
	v_cndmask_b32_e32 v15, v21, v22, vcc
	v_mov_b32_e32 v20, 0x3b800000
	v_lshlrev_b32_e32 v10, 20, v10
	v_lshl_add_u32 v15, v15, 23, v20
	v_or3_b32 v10, v14, v15, v10
.LBB7_1084:
	s_or_b64 exec, exec, s[6:7]
	s_movk_i32 s4, 0x7f
	v_cmp_gt_i16_sdwa s[6:7], v11, s4 src0_sel:BYTE_3 src1_sel:DWORD
	s_mov_b64 s[4:5], 0
                                        ; implicit-def: $sgpr10
	s_and_saveexec_b64 s[8:9], s[6:7]
	s_xor_b64 s[6:7], exec, s[8:9]
	s_cbranch_execnz .LBB7_3133
; %bb.1085:
	s_or_saveexec_b64 s[6:7], s[6:7]
	v_mov_b32_e32 v14, s10
	s_xor_b64 exec, exec, s[6:7]
	s_cbranch_execnz .LBB7_3136
.LBB7_1086:
	s_or_b64 exec, exec, s[6:7]
	s_and_saveexec_b64 s[6:7], s[4:5]
	s_cbranch_execz .LBB7_1088
.LBB7_1087:
	v_bfe_u32 v14, v11, 24, 3
	v_ffbh_u32_e32 v22, v14
	v_min_u32_e32 v22, 32, v22
	v_lshrrev_b32_e32 v20, 27, v11
	v_subrev_u32_e32 v23, 28, v22
	v_and_b32_e32 v15, 0x80000000, v11
	v_and_b32_e32 v20, 15, v20
	v_bfe_u32 v21, v11, 27, 4
	v_lshlrev_b32_sdwa v11, v23, v11 dst_sel:DWORD dst_unused:UNUSED_PAD src0_sel:DWORD src1_sel:BYTE_3
	v_sub_u32_e32 v22, 29, v22
	v_and_b32_e32 v11, 7, v11
	v_cmp_eq_u16_e32 vcc, 0, v20
	v_cndmask_b32_e32 v11, v14, v11, vcc
	v_cndmask_b32_e32 v14, v21, v22, vcc
	v_mov_b32_e32 v20, 0x3b800000
	v_lshlrev_b32_e32 v11, 20, v11
	v_lshl_add_u32 v14, v14, 23, v20
	v_or3_b32 v14, v15, v14, v11
.LBB7_1088:
	s_or_b64 exec, exec, s[6:7]
	s_nop 0
	v_mfma_f32_16x16x4f32 a[0:3], v10, v14, a[0:3]
	s_movk_i32 s4, 0x7f
	v_cmp_gt_i16_sdwa s[6:7], v16, s4 src0_sel:BYTE_0 src1_sel:DWORD
	s_mov_b64 s[4:5], 0
                                        ; implicit-def: $sgpr10
	s_and_saveexec_b64 s[8:9], s[6:7]
	s_xor_b64 s[6:7], exec, s[8:9]
	s_cbranch_execnz .LBB7_3137
; %bb.1089:
	s_or_saveexec_b64 s[6:7], s[6:7]
	v_mov_b32_e32 v10, s10
	s_xor_b64 exec, exec, s[6:7]
	s_cbranch_execnz .LBB7_3140
.LBB7_1090:
	s_or_b64 exec, exec, s[6:7]
	s_and_saveexec_b64 s[6:7], s[4:5]
	s_cbranch_execz .LBB7_1092
.LBB7_1091:
	v_and_b32_e32 v10, 7, v16
	v_ffbh_u32_e32 v14, v10
	v_min_u32_e32 v14, 32, v14
	v_lshrrev_b16_e32 v11, 3, v16
	v_subrev_u32_e32 v15, 28, v14
	v_and_b32_e32 v11, 15, v11
	v_lshlrev_b32_e32 v15, v15, v16
	v_sub_u32_e32 v14, 29, v14
	v_and_b32_e32 v15, 7, v15
	v_cmp_eq_u16_e32 vcc, 0, v11
	v_cndmask_b32_e32 v10, v10, v15, vcc
	v_cndmask_b32_e32 v11, v11, v14, vcc
	v_lshlrev_b32_e32 v14, 24, v16
	v_mov_b32_e32 v15, 0x3b800000
	v_lshlrev_b32_e32 v10, 20, v10
	v_and_b32_e32 v14, 0x80000000, v14
	v_lshl_add_u32 v11, v11, 23, v15
	v_or3_b32 v10, v14, v11, v10
.LBB7_1092:
	s_or_b64 exec, exec, s[6:7]
	s_movk_i32 s4, 0x7f
	v_cmp_gt_i16_sdwa s[6:7], v12, s4 src0_sel:BYTE_0 src1_sel:DWORD
	s_mov_b64 s[4:5], 0
                                        ; implicit-def: $sgpr10
	s_and_saveexec_b64 s[8:9], s[6:7]
	s_xor_b64 s[6:7], exec, s[8:9]
	s_cbranch_execnz .LBB7_3141
; %bb.1093:
	s_or_saveexec_b64 s[6:7], s[6:7]
	v_mov_b32_e32 v11, s10
	s_xor_b64 exec, exec, s[6:7]
	s_cbranch_execnz .LBB7_3144
.LBB7_1094:
	s_or_b64 exec, exec, s[6:7]
	s_and_saveexec_b64 s[6:7], s[4:5]
	s_cbranch_execz .LBB7_1096
.LBB7_1095:
	v_and_b32_e32 v11, 7, v12
	v_ffbh_u32_e32 v15, v11
	v_min_u32_e32 v15, 32, v15
	v_lshrrev_b16_e32 v14, 3, v12
	v_subrev_u32_e32 v20, 28, v15
	v_and_b32_e32 v14, 15, v14
	v_lshlrev_b32_e32 v20, v20, v12
	v_sub_u32_e32 v15, 29, v15
	v_and_b32_e32 v20, 7, v20
	v_cmp_eq_u16_e32 vcc, 0, v14
	v_cndmask_b32_e32 v11, v11, v20, vcc
	v_cndmask_b32_e32 v14, v14, v15, vcc
	v_lshlrev_b32_e32 v15, 24, v12
	v_mov_b32_e32 v20, 0x3b800000
	v_lshlrev_b32_e32 v11, 20, v11
	v_and_b32_e32 v15, 0x80000000, v15
	v_lshl_add_u32 v14, v14, 23, v20
	v_or3_b32 v11, v15, v14, v11
.LBB7_1096:
	s_or_b64 exec, exec, s[6:7]
	s_nop 0
	v_mfma_f32_16x16x4f32 a[0:3], v10, v11, a[0:3]
	v_lshrrev_b32_e32 v11, 8, v16
	s_movk_i32 s4, 0x7f
	v_cmp_gt_i16_sdwa s[6:7], v11, s4 src0_sel:BYTE_0 src1_sel:DWORD
	s_mov_b64 s[4:5], 0
                                        ; implicit-def: $sgpr10
	s_and_saveexec_b64 s[8:9], s[6:7]
	s_xor_b64 s[6:7], exec, s[8:9]
	s_cbranch_execnz .LBB7_3145
; %bb.1097:
	s_or_saveexec_b64 s[6:7], s[6:7]
	v_mov_b32_e32 v10, s10
	s_xor_b64 exec, exec, s[6:7]
	s_cbranch_execnz .LBB7_3148
.LBB7_1098:
	s_or_b64 exec, exec, s[6:7]
	s_and_saveexec_b64 s[6:7], s[4:5]
	s_cbranch_execz .LBB7_1100
.LBB7_1099:
	v_bfe_u32 v10, v16, 8, 3
	v_ffbh_u32_e32 v15, v10
	v_min_u32_e32 v15, 32, v15
	v_lshrrev_b16_e32 v14, 3, v11
	v_subrev_u32_e32 v20, 28, v15
	v_and_b32_e32 v14, 15, v14
	v_lshlrev_b32_e32 v11, v20, v11
	v_sub_u32_e32 v15, 29, v15
	v_and_b32_e32 v11, 7, v11
	v_cmp_eq_u16_e32 vcc, 0, v14
	v_cndmask_b32_e32 v10, v10, v11, vcc
	v_cndmask_b32_e32 v11, v14, v15, vcc
	v_lshlrev_b32_e32 v14, 16, v16
	v_mov_b32_e32 v15, 0x3b800000
	v_lshlrev_b32_e32 v10, 20, v10
	v_and_b32_e32 v14, 0x80000000, v14
	v_lshl_add_u32 v11, v11, 23, v15
	v_or3_b32 v10, v14, v11, v10
.LBB7_1100:
	s_or_b64 exec, exec, s[6:7]
	v_lshrrev_b32_e32 v11, 8, v12
	s_movk_i32 s4, 0x7f
	v_cmp_gt_i16_sdwa s[6:7], v11, s4 src0_sel:BYTE_0 src1_sel:DWORD
	s_mov_b64 s[4:5], 0
                                        ; implicit-def: $sgpr10
	s_and_saveexec_b64 s[8:9], s[6:7]
	s_xor_b64 s[6:7], exec, s[8:9]
	s_cbranch_execnz .LBB7_3149
; %bb.1101:
	s_or_saveexec_b64 s[6:7], s[6:7]
	v_mov_b32_e32 v14, s10
	s_xor_b64 exec, exec, s[6:7]
	s_cbranch_execnz .LBB7_3152
.LBB7_1102:
	s_or_b64 exec, exec, s[6:7]
	s_and_saveexec_b64 s[6:7], s[4:5]
	s_cbranch_execz .LBB7_1104
.LBB7_1103:
	v_bfe_u32 v14, v12, 8, 3
	v_ffbh_u32_e32 v20, v14
	v_min_u32_e32 v20, 32, v20
	v_lshrrev_b16_e32 v15, 3, v11
	v_subrev_u32_e32 v21, 28, v20
	v_and_b32_e32 v15, 15, v15
	v_lshlrev_b32_e32 v11, v21, v11
	v_sub_u32_e32 v20, 29, v20
	v_and_b32_e32 v11, 7, v11
	v_cmp_eq_u16_e32 vcc, 0, v15
	v_cndmask_b32_e32 v11, v14, v11, vcc
	v_cndmask_b32_e32 v14, v15, v20, vcc
	v_lshlrev_b32_e32 v15, 16, v12
	v_mov_b32_e32 v20, 0x3b800000
	v_lshlrev_b32_e32 v11, 20, v11
	v_and_b32_e32 v15, 0x80000000, v15
	v_lshl_add_u32 v14, v14, 23, v20
	v_or3_b32 v14, v15, v14, v11
.LBB7_1104:
	s_or_b64 exec, exec, s[6:7]
	s_nop 0
	v_mfma_f32_16x16x4f32 a[0:3], v10, v14, a[0:3]
	s_movk_i32 s4, 0xff
	v_and_b32_sdwa v11, v16, s4 dst_sel:DWORD dst_unused:UNUSED_PAD src0_sel:WORD_1 src1_sel:DWORD
	s_movk_i32 s4, 0x7f
	v_cmp_lt_i16_e32 vcc, s4, v11
	s_mov_b64 s[4:5], 0
                                        ; implicit-def: $sgpr10
	s_and_saveexec_b64 s[6:7], vcc
	s_xor_b64 s[6:7], exec, s[6:7]
	s_cbranch_execnz .LBB7_3153
; %bb.1105:
	s_or_saveexec_b64 s[6:7], s[6:7]
	v_mov_b32_e32 v10, s10
	s_xor_b64 exec, exec, s[6:7]
	s_cbranch_execnz .LBB7_3156
.LBB7_1106:
	s_or_b64 exec, exec, s[6:7]
	s_and_saveexec_b64 s[6:7], s[4:5]
	s_cbranch_execz .LBB7_1108
.LBB7_1107:
	v_bfe_u32 v10, v16, 16, 3
	v_ffbh_u32_e32 v15, v10
	v_min_u32_e32 v15, 32, v15
	v_lshrrev_b32_e32 v11, 19, v16
	v_subrev_u32_e32 v20, 28, v15
	v_and_b32_e32 v11, 15, v11
	v_lshlrev_b32_sdwa v20, v20, v16 dst_sel:DWORD dst_unused:UNUSED_PAD src0_sel:DWORD src1_sel:WORD_1
	v_bfe_u32 v14, v16, 19, 4
	v_sub_u32_e32 v15, 29, v15
	v_and_b32_e32 v20, 7, v20
	v_cmp_eq_u16_e32 vcc, 0, v11
	v_cndmask_b32_e32 v10, v10, v20, vcc
	v_cndmask_b32_e32 v11, v14, v15, vcc
	v_lshlrev_b32_e32 v14, 8, v16
	v_mov_b32_e32 v15, 0x3b800000
	v_lshlrev_b32_e32 v10, 20, v10
	v_and_b32_e32 v14, 0x80000000, v14
	v_lshl_add_u32 v11, v11, 23, v15
	v_or3_b32 v10, v14, v11, v10
.LBB7_1108:
	s_or_b64 exec, exec, s[6:7]
	s_movk_i32 s4, 0xff
	v_and_b32_sdwa v11, v12, s4 dst_sel:DWORD dst_unused:UNUSED_PAD src0_sel:WORD_1 src1_sel:DWORD
	s_movk_i32 s4, 0x7f
	v_cmp_lt_i16_e32 vcc, s4, v11
	s_mov_b64 s[4:5], 0
                                        ; implicit-def: $sgpr10
	s_and_saveexec_b64 s[6:7], vcc
	s_xor_b64 s[6:7], exec, s[6:7]
	s_cbranch_execnz .LBB7_3157
; %bb.1109:
	s_or_saveexec_b64 s[6:7], s[6:7]
	v_mov_b32_e32 v14, s10
	s_xor_b64 exec, exec, s[6:7]
	s_cbranch_execnz .LBB7_3160
.LBB7_1110:
	s_or_b64 exec, exec, s[6:7]
	s_and_saveexec_b64 s[6:7], s[4:5]
	s_cbranch_execz .LBB7_1112
.LBB7_1111:
	v_bfe_u32 v11, v12, 16, 3
	v_ffbh_u32_e32 v20, v11
	v_min_u32_e32 v20, 32, v20
	v_lshrrev_b32_e32 v14, 19, v12
	v_subrev_u32_e32 v21, 28, v20
	v_and_b32_e32 v14, 15, v14
	v_lshlrev_b32_sdwa v21, v21, v12 dst_sel:DWORD dst_unused:UNUSED_PAD src0_sel:DWORD src1_sel:WORD_1
	v_bfe_u32 v15, v12, 19, 4
	v_sub_u32_e32 v20, 29, v20
	v_and_b32_e32 v21, 7, v21
	v_cmp_eq_u16_e32 vcc, 0, v14
	v_cndmask_b32_e32 v11, v11, v21, vcc
	v_cndmask_b32_e32 v14, v15, v20, vcc
	v_lshlrev_b32_e32 v15, 8, v12
	v_mov_b32_e32 v20, 0x3b800000
	v_lshlrev_b32_e32 v11, 20, v11
	v_and_b32_e32 v15, 0x80000000, v15
	v_lshl_add_u32 v14, v14, 23, v20
	v_or3_b32 v14, v15, v14, v11
.LBB7_1112:
	s_or_b64 exec, exec, s[6:7]
	s_nop 0
	v_mfma_f32_16x16x4f32 a[0:3], v10, v14, a[0:3]
	s_movk_i32 s4, 0x7f
	v_cmp_gt_i16_sdwa s[6:7], v16, s4 src0_sel:BYTE_3 src1_sel:DWORD
	s_mov_b64 s[4:5], 0
                                        ; implicit-def: $sgpr10
	s_and_saveexec_b64 s[8:9], s[6:7]
	s_xor_b64 s[6:7], exec, s[8:9]
	s_cbranch_execnz .LBB7_3161
; %bb.1113:
	s_or_saveexec_b64 s[6:7], s[6:7]
	v_mov_b32_e32 v10, s10
	s_xor_b64 exec, exec, s[6:7]
	s_cbranch_execnz .LBB7_3164
.LBB7_1114:
	s_or_b64 exec, exec, s[6:7]
	s_and_saveexec_b64 s[6:7], s[4:5]
	s_cbranch_execz .LBB7_1116
.LBB7_1115:
	v_bfe_u32 v10, v16, 24, 3
	v_ffbh_u32_e32 v20, v10
	v_min_u32_e32 v20, 32, v20
	v_lshrrev_b32_e32 v14, 27, v16
	v_subrev_u32_e32 v21, 28, v20
	v_and_b32_e32 v11, 0x80000000, v16
	v_and_b32_e32 v14, 15, v14
	v_bfe_u32 v15, v16, 27, 4
	v_lshlrev_b32_sdwa v16, v21, v16 dst_sel:DWORD dst_unused:UNUSED_PAD src0_sel:DWORD src1_sel:BYTE_3
	v_sub_u32_e32 v20, 29, v20
	v_and_b32_e32 v16, 7, v16
	v_cmp_eq_u16_e32 vcc, 0, v14
	v_cndmask_b32_e32 v10, v10, v16, vcc
	v_cndmask_b32_e32 v14, v15, v20, vcc
	v_mov_b32_e32 v15, 0x3b800000
	v_lshlrev_b32_e32 v10, 20, v10
	v_lshl_add_u32 v14, v14, 23, v15
	v_or3_b32 v10, v11, v14, v10
.LBB7_1116:
	s_or_b64 exec, exec, s[6:7]
	s_movk_i32 s4, 0x7f
	v_cmp_gt_i16_sdwa s[6:7], v12, s4 src0_sel:BYTE_3 src1_sel:DWORD
	s_mov_b64 s[4:5], 0
                                        ; implicit-def: $sgpr10
	s_and_saveexec_b64 s[8:9], s[6:7]
	s_xor_b64 s[6:7], exec, s[8:9]
	s_cbranch_execnz .LBB7_3165
; %bb.1117:
	s_or_saveexec_b64 s[6:7], s[6:7]
	v_mov_b32_e32 v11, s10
	s_xor_b64 exec, exec, s[6:7]
	s_cbranch_execnz .LBB7_3168
.LBB7_1118:
	s_or_b64 exec, exec, s[6:7]
	s_and_saveexec_b64 s[6:7], s[4:5]
	s_cbranch_execz .LBB7_1120
.LBB7_1119:
	v_bfe_u32 v11, v12, 24, 3
	v_ffbh_u32_e32 v20, v11
	v_min_u32_e32 v20, 32, v20
	v_lshrrev_b32_e32 v15, 27, v12
	v_subrev_u32_e32 v21, 28, v20
	v_and_b32_e32 v14, 0x80000000, v12
	v_and_b32_e32 v15, 15, v15
	v_bfe_u32 v16, v12, 27, 4
	v_lshlrev_b32_sdwa v12, v21, v12 dst_sel:DWORD dst_unused:UNUSED_PAD src0_sel:DWORD src1_sel:BYTE_3
	v_sub_u32_e32 v20, 29, v20
	v_and_b32_e32 v12, 7, v12
	v_cmp_eq_u16_e32 vcc, 0, v15
	v_cndmask_b32_e32 v11, v11, v12, vcc
	v_cndmask_b32_e32 v12, v16, v20, vcc
	v_mov_b32_e32 v15, 0x3b800000
	v_lshlrev_b32_e32 v11, 20, v11
	v_lshl_add_u32 v12, v12, 23, v15
	v_or3_b32 v11, v14, v12, v11
.LBB7_1120:
	s_or_b64 exec, exec, s[6:7]
	s_nop 0
	v_mfma_f32_16x16x4f32 a[0:3], v10, v11, a[0:3]
	s_movk_i32 s4, 0x7f
	v_cmp_gt_i16_sdwa s[6:7], v17, s4 src0_sel:BYTE_0 src1_sel:DWORD
	s_mov_b64 s[4:5], 0
                                        ; implicit-def: $sgpr10
	s_and_saveexec_b64 s[8:9], s[6:7]
	s_xor_b64 s[6:7], exec, s[8:9]
	s_cbranch_execnz .LBB7_3169
; %bb.1121:
	s_or_saveexec_b64 s[6:7], s[6:7]
	v_mov_b32_e32 v10, s10
	s_xor_b64 exec, exec, s[6:7]
	s_cbranch_execnz .LBB7_3172
.LBB7_1122:
	s_or_b64 exec, exec, s[6:7]
	s_and_saveexec_b64 s[6:7], s[4:5]
	s_cbranch_execz .LBB7_1124
.LBB7_1123:
	v_and_b32_e32 v10, 7, v17
	v_ffbh_u32_e32 v12, v10
	v_min_u32_e32 v12, 32, v12
	v_lshrrev_b16_e32 v11, 3, v17
	v_subrev_u32_e32 v14, 28, v12
	v_and_b32_e32 v11, 15, v11
	v_lshlrev_b32_e32 v14, v14, v17
	v_sub_u32_e32 v12, 29, v12
	v_and_b32_e32 v14, 7, v14
	v_cmp_eq_u16_e32 vcc, 0, v11
	v_cndmask_b32_e32 v10, v10, v14, vcc
	v_cndmask_b32_e32 v11, v11, v12, vcc
	v_lshlrev_b32_e32 v12, 24, v17
	v_mov_b32_e32 v14, 0x3b800000
	v_lshlrev_b32_e32 v10, 20, v10
	v_and_b32_e32 v12, 0x80000000, v12
	v_lshl_add_u32 v11, v11, 23, v14
	v_or3_b32 v10, v12, v11, v10
.LBB7_1124:
	s_or_b64 exec, exec, s[6:7]
	s_movk_i32 s4, 0x7f
	v_cmp_gt_i16_sdwa s[6:7], v13, s4 src0_sel:BYTE_0 src1_sel:DWORD
	s_mov_b64 s[4:5], 0
                                        ; implicit-def: $sgpr10
	s_and_saveexec_b64 s[8:9], s[6:7]
	s_xor_b64 s[6:7], exec, s[8:9]
	s_cbranch_execnz .LBB7_3173
; %bb.1125:
	s_or_saveexec_b64 s[6:7], s[6:7]
	v_mov_b32_e32 v11, s10
	s_xor_b64 exec, exec, s[6:7]
	s_cbranch_execnz .LBB7_3176
.LBB7_1126:
	s_or_b64 exec, exec, s[6:7]
	s_and_saveexec_b64 s[6:7], s[4:5]
	s_cbranch_execz .LBB7_1128
.LBB7_1127:
	v_and_b32_e32 v11, 7, v13
	v_ffbh_u32_e32 v14, v11
	v_min_u32_e32 v14, 32, v14
	v_lshrrev_b16_e32 v12, 3, v13
	v_subrev_u32_e32 v15, 28, v14
	v_and_b32_e32 v12, 15, v12
	v_lshlrev_b32_e32 v15, v15, v13
	v_sub_u32_e32 v14, 29, v14
	v_and_b32_e32 v15, 7, v15
	v_cmp_eq_u16_e32 vcc, 0, v12
	v_cndmask_b32_e32 v11, v11, v15, vcc
	v_cndmask_b32_e32 v12, v12, v14, vcc
	v_lshlrev_b32_e32 v14, 24, v13
	v_mov_b32_e32 v15, 0x3b800000
	v_lshlrev_b32_e32 v11, 20, v11
	v_and_b32_e32 v14, 0x80000000, v14
	v_lshl_add_u32 v12, v12, 23, v15
	v_or3_b32 v11, v14, v12, v11
.LBB7_1128:
	s_or_b64 exec, exec, s[6:7]
	s_nop 0
	v_mfma_f32_16x16x4f32 a[0:3], v10, v11, a[0:3]
	v_lshrrev_b32_e32 v11, 8, v17
	s_movk_i32 s4, 0x7f
	v_cmp_gt_i16_sdwa s[6:7], v11, s4 src0_sel:BYTE_0 src1_sel:DWORD
	s_mov_b64 s[4:5], 0
                                        ; implicit-def: $sgpr10
	s_and_saveexec_b64 s[8:9], s[6:7]
	s_xor_b64 s[6:7], exec, s[8:9]
	s_cbranch_execnz .LBB7_3177
; %bb.1129:
	s_or_saveexec_b64 s[6:7], s[6:7]
	v_mov_b32_e32 v10, s10
	s_xor_b64 exec, exec, s[6:7]
	s_cbranch_execnz .LBB7_3180
.LBB7_1130:
	s_or_b64 exec, exec, s[6:7]
	s_and_saveexec_b64 s[6:7], s[4:5]
	s_cbranch_execz .LBB7_1132
.LBB7_1131:
	v_bfe_u32 v10, v17, 8, 3
	v_ffbh_u32_e32 v14, v10
	v_min_u32_e32 v14, 32, v14
	v_lshrrev_b16_e32 v12, 3, v11
	v_subrev_u32_e32 v15, 28, v14
	v_and_b32_e32 v12, 15, v12
	v_lshlrev_b32_e32 v11, v15, v11
	v_sub_u32_e32 v14, 29, v14
	v_and_b32_e32 v11, 7, v11
	v_cmp_eq_u16_e32 vcc, 0, v12
	v_cndmask_b32_e32 v10, v10, v11, vcc
	v_cndmask_b32_e32 v11, v12, v14, vcc
	v_lshlrev_b32_e32 v12, 16, v17
	v_mov_b32_e32 v14, 0x3b800000
	v_lshlrev_b32_e32 v10, 20, v10
	v_and_b32_e32 v12, 0x80000000, v12
	v_lshl_add_u32 v11, v11, 23, v14
	v_or3_b32 v10, v12, v11, v10
.LBB7_1132:
	s_or_b64 exec, exec, s[6:7]
	v_lshrrev_b32_e32 v11, 8, v13
	s_movk_i32 s4, 0x7f
	v_cmp_gt_i16_sdwa s[6:7], v11, s4 src0_sel:BYTE_0 src1_sel:DWORD
	s_mov_b64 s[4:5], 0
                                        ; implicit-def: $sgpr10
	s_and_saveexec_b64 s[8:9], s[6:7]
	s_xor_b64 s[6:7], exec, s[8:9]
	s_cbranch_execnz .LBB7_3181
; %bb.1133:
	s_or_saveexec_b64 s[6:7], s[6:7]
	v_mov_b32_e32 v12, s10
	s_xor_b64 exec, exec, s[6:7]
	s_cbranch_execnz .LBB7_3184
.LBB7_1134:
	s_or_b64 exec, exec, s[6:7]
	s_and_saveexec_b64 s[6:7], s[4:5]
	s_cbranch_execz .LBB7_1136
.LBB7_1135:
	v_bfe_u32 v12, v13, 8, 3
	v_ffbh_u32_e32 v15, v12
	v_min_u32_e32 v15, 32, v15
	v_lshrrev_b16_e32 v14, 3, v11
	v_subrev_u32_e32 v16, 28, v15
	v_and_b32_e32 v14, 15, v14
	v_lshlrev_b32_e32 v11, v16, v11
	v_sub_u32_e32 v15, 29, v15
	v_and_b32_e32 v11, 7, v11
	v_cmp_eq_u16_e32 vcc, 0, v14
	v_cndmask_b32_e32 v11, v12, v11, vcc
	v_cndmask_b32_e32 v12, v14, v15, vcc
	v_lshlrev_b32_e32 v14, 16, v13
	v_mov_b32_e32 v15, 0x3b800000
	v_lshlrev_b32_e32 v11, 20, v11
	v_and_b32_e32 v14, 0x80000000, v14
	v_lshl_add_u32 v12, v12, 23, v15
	v_or3_b32 v12, v14, v12, v11
.LBB7_1136:
	s_or_b64 exec, exec, s[6:7]
	s_nop 0
	v_mfma_f32_16x16x4f32 a[0:3], v10, v12, a[0:3]
	s_movk_i32 s4, 0xff
	v_and_b32_sdwa v11, v17, s4 dst_sel:DWORD dst_unused:UNUSED_PAD src0_sel:WORD_1 src1_sel:DWORD
	s_movk_i32 s4, 0x7f
	v_cmp_lt_i16_e32 vcc, s4, v11
	s_mov_b64 s[4:5], 0
                                        ; implicit-def: $sgpr10
	s_and_saveexec_b64 s[6:7], vcc
	s_xor_b64 s[6:7], exec, s[6:7]
	s_cbranch_execnz .LBB7_3185
; %bb.1137:
	s_or_saveexec_b64 s[6:7], s[6:7]
	v_mov_b32_e32 v10, s10
	s_xor_b64 exec, exec, s[6:7]
	s_cbranch_execnz .LBB7_3188
.LBB7_1138:
	s_or_b64 exec, exec, s[6:7]
	s_and_saveexec_b64 s[6:7], s[4:5]
	s_cbranch_execz .LBB7_1140
.LBB7_1139:
	v_bfe_u32 v10, v17, 16, 3
	v_ffbh_u32_e32 v14, v10
	v_min_u32_e32 v14, 32, v14
	v_lshrrev_b32_e32 v11, 19, v17
	v_subrev_u32_e32 v15, 28, v14
	v_and_b32_e32 v11, 15, v11
	v_lshlrev_b32_sdwa v15, v15, v17 dst_sel:DWORD dst_unused:UNUSED_PAD src0_sel:DWORD src1_sel:WORD_1
	v_bfe_u32 v12, v17, 19, 4
	v_sub_u32_e32 v14, 29, v14
	v_and_b32_e32 v15, 7, v15
	v_cmp_eq_u16_e32 vcc, 0, v11
	v_cndmask_b32_e32 v10, v10, v15, vcc
	v_cndmask_b32_e32 v11, v12, v14, vcc
	v_lshlrev_b32_e32 v12, 8, v17
	v_mov_b32_e32 v14, 0x3b800000
	v_lshlrev_b32_e32 v10, 20, v10
	v_and_b32_e32 v12, 0x80000000, v12
	v_lshl_add_u32 v11, v11, 23, v14
	v_or3_b32 v10, v12, v11, v10
.LBB7_1140:
	s_or_b64 exec, exec, s[6:7]
	s_movk_i32 s4, 0xff
	v_and_b32_sdwa v11, v13, s4 dst_sel:DWORD dst_unused:UNUSED_PAD src0_sel:WORD_1 src1_sel:DWORD
	s_movk_i32 s4, 0x7f
	v_cmp_lt_i16_e32 vcc, s4, v11
	s_mov_b64 s[4:5], 0
                                        ; implicit-def: $sgpr10
	s_and_saveexec_b64 s[6:7], vcc
	s_xor_b64 s[6:7], exec, s[6:7]
	s_cbranch_execnz .LBB7_3189
; %bb.1141:
	s_or_saveexec_b64 s[6:7], s[6:7]
	v_mov_b32_e32 v12, s10
	s_xor_b64 exec, exec, s[6:7]
	s_cbranch_execnz .LBB7_3192
.LBB7_1142:
	s_or_b64 exec, exec, s[6:7]
	s_and_saveexec_b64 s[6:7], s[4:5]
	s_cbranch_execz .LBB7_1144
.LBB7_1143:
	v_bfe_u32 v11, v13, 16, 3
	v_ffbh_u32_e32 v15, v11
	v_min_u32_e32 v15, 32, v15
	v_lshrrev_b32_e32 v12, 19, v13
	v_subrev_u32_e32 v16, 28, v15
	v_and_b32_e32 v12, 15, v12
	v_lshlrev_b32_sdwa v16, v16, v13 dst_sel:DWORD dst_unused:UNUSED_PAD src0_sel:DWORD src1_sel:WORD_1
	v_bfe_u32 v14, v13, 19, 4
	v_sub_u32_e32 v15, 29, v15
	v_and_b32_e32 v16, 7, v16
	v_cmp_eq_u16_e32 vcc, 0, v12
	v_cndmask_b32_e32 v11, v11, v16, vcc
	v_cndmask_b32_e32 v12, v14, v15, vcc
	v_lshlrev_b32_e32 v14, 8, v13
	v_mov_b32_e32 v15, 0x3b800000
	v_lshlrev_b32_e32 v11, 20, v11
	v_and_b32_e32 v14, 0x80000000, v14
	v_lshl_add_u32 v12, v12, 23, v15
	v_or3_b32 v12, v14, v12, v11
.LBB7_1144:
	s_or_b64 exec, exec, s[6:7]
	s_nop 0
	v_mfma_f32_16x16x4f32 a[0:3], v10, v12, a[0:3]
	s_movk_i32 s4, 0x7f
	v_cmp_gt_i16_sdwa s[6:7], v17, s4 src0_sel:BYTE_3 src1_sel:DWORD
	s_mov_b64 s[4:5], 0
                                        ; implicit-def: $sgpr10
	s_and_saveexec_b64 s[8:9], s[6:7]
	s_xor_b64 s[6:7], exec, s[8:9]
	s_cbranch_execnz .LBB7_3193
; %bb.1145:
	s_or_saveexec_b64 s[6:7], s[6:7]
	v_mov_b32_e32 v10, s10
	s_xor_b64 exec, exec, s[6:7]
	s_cbranch_execnz .LBB7_3196
.LBB7_1146:
	s_or_b64 exec, exec, s[6:7]
	s_and_saveexec_b64 s[6:7], s[4:5]
	s_cbranch_execz .LBB7_1148
.LBB7_1147:
	v_bfe_u32 v10, v17, 24, 3
	v_ffbh_u32_e32 v15, v10
	v_min_u32_e32 v15, 32, v15
	v_lshrrev_b32_e32 v12, 27, v17
	v_subrev_u32_e32 v16, 28, v15
	v_and_b32_e32 v12, 15, v12
	v_lshlrev_b32_sdwa v16, v16, v17 dst_sel:DWORD dst_unused:UNUSED_PAD src0_sel:DWORD src1_sel:BYTE_3
	v_bfe_u32 v14, v17, 27, 4
	v_sub_u32_e32 v15, 29, v15
	v_and_b32_e32 v16, 7, v16
	v_cmp_eq_u16_e32 vcc, 0, v12
	v_cndmask_b32_e32 v10, v10, v16, vcc
	v_cndmask_b32_e32 v12, v14, v15, vcc
	v_mov_b32_e32 v14, 0x3b800000
	v_and_b32_e32 v11, 0x80000000, v17
	v_lshlrev_b32_e32 v10, 20, v10
	v_lshl_add_u32 v12, v12, 23, v14
	v_or3_b32 v10, v11, v12, v10
.LBB7_1148:
	s_or_b64 exec, exec, s[6:7]
	s_movk_i32 s4, 0x7f
	v_cmp_gt_i16_sdwa s[6:7], v13, s4 src0_sel:BYTE_3 src1_sel:DWORD
	s_mov_b64 s[4:5], 0
                                        ; implicit-def: $sgpr10
	s_and_saveexec_b64 s[8:9], s[6:7]
	s_xor_b64 s[6:7], exec, s[8:9]
	s_cbranch_execnz .LBB7_3197
; %bb.1149:
	s_or_saveexec_b64 s[6:7], s[6:7]
	v_mov_b32_e32 v11, s10
	s_xor_b64 exec, exec, s[6:7]
	s_cbranch_execnz .LBB7_3200
.LBB7_1150:
	s_or_b64 exec, exec, s[6:7]
	s_and_saveexec_b64 s[6:7], s[4:5]
	s_cbranch_execz .LBB7_1152
.LBB7_1151:
	v_bfe_u32 v11, v13, 24, 3
	v_ffbh_u32_e32 v16, v11
	v_min_u32_e32 v16, 32, v16
	v_lshrrev_b32_e32 v14, 27, v13
	v_subrev_u32_e32 v17, 28, v16
	v_and_b32_e32 v12, 0x80000000, v13
	v_and_b32_e32 v14, 15, v14
	v_bfe_u32 v15, v13, 27, 4
	v_lshlrev_b32_sdwa v13, v17, v13 dst_sel:DWORD dst_unused:UNUSED_PAD src0_sel:DWORD src1_sel:BYTE_3
	v_sub_u32_e32 v16, 29, v16
	v_and_b32_e32 v13, 7, v13
	v_cmp_eq_u16_e32 vcc, 0, v14
	v_cndmask_b32_e32 v11, v11, v13, vcc
	v_cndmask_b32_e32 v13, v15, v16, vcc
	v_mov_b32_e32 v14, 0x3b800000
	v_lshlrev_b32_e32 v11, 20, v11
	v_lshl_add_u32 v13, v13, 23, v14
	v_or3_b32 v11, v12, v13, v11
.LBB7_1152:
	s_or_b64 exec, exec, s[6:7]
	s_nop 0
	v_mfma_f32_16x16x4f32 a[0:3], v10, v11, a[0:3]
	s_movk_i32 s4, 0x7f
	v_cmp_gt_i16_sdwa s[6:7], v6, s4 src0_sel:BYTE_0 src1_sel:DWORD
	s_mov_b64 s[4:5], 0
                                        ; implicit-def: $sgpr10
	s_and_saveexec_b64 s[8:9], s[6:7]
	s_xor_b64 s[6:7], exec, s[8:9]
	s_cbranch_execnz .LBB7_3201
; %bb.1153:
	s_or_saveexec_b64 s[6:7], s[6:7]
	v_mov_b32_e32 v10, s10
	s_xor_b64 exec, exec, s[6:7]
	s_cbranch_execnz .LBB7_3204
.LBB7_1154:
	s_or_b64 exec, exec, s[6:7]
	s_and_saveexec_b64 s[6:7], s[4:5]
	s_cbranch_execz .LBB7_1156
.LBB7_1155:
	v_and_b32_e32 v10, 7, v6
	v_ffbh_u32_e32 v12, v10
	v_min_u32_e32 v12, 32, v12
	v_lshrrev_b16_e32 v11, 3, v6
	v_subrev_u32_e32 v13, 28, v12
	v_and_b32_e32 v11, 15, v11
	v_lshlrev_b32_e32 v13, v13, v6
	v_sub_u32_e32 v12, 29, v12
	v_and_b32_e32 v13, 7, v13
	v_cmp_eq_u16_e32 vcc, 0, v11
	v_cndmask_b32_e32 v10, v10, v13, vcc
	v_cndmask_b32_e32 v11, v11, v12, vcc
	v_lshlrev_b32_e32 v12, 24, v6
	v_mov_b32_e32 v13, 0x3b800000
	v_lshlrev_b32_e32 v10, 20, v10
	v_and_b32_e32 v12, 0x80000000, v12
	v_lshl_add_u32 v11, v11, 23, v13
	v_or3_b32 v10, v12, v11, v10
.LBB7_1156:
	s_or_b64 exec, exec, s[6:7]
	s_movk_i32 s4, 0x7f
	v_cmp_gt_i16_sdwa s[6:7], v2, s4 src0_sel:BYTE_0 src1_sel:DWORD
	s_mov_b64 s[4:5], 0
                                        ; implicit-def: $sgpr10
	s_and_saveexec_b64 s[8:9], s[6:7]
	s_xor_b64 s[6:7], exec, s[8:9]
	s_cbranch_execnz .LBB7_3205
; %bb.1157:
	s_or_saveexec_b64 s[6:7], s[6:7]
	v_mov_b32_e32 v11, s10
	s_xor_b64 exec, exec, s[6:7]
	s_cbranch_execnz .LBB7_3208
.LBB7_1158:
	s_or_b64 exec, exec, s[6:7]
	s_and_saveexec_b64 s[6:7], s[4:5]
	s_cbranch_execz .LBB7_1160
.LBB7_1159:
	v_and_b32_e32 v11, 7, v2
	v_ffbh_u32_e32 v13, v11
	v_min_u32_e32 v13, 32, v13
	v_lshrrev_b16_e32 v12, 3, v2
	v_subrev_u32_e32 v14, 28, v13
	v_and_b32_e32 v12, 15, v12
	v_lshlrev_b32_e32 v14, v14, v2
	v_sub_u32_e32 v13, 29, v13
	v_and_b32_e32 v14, 7, v14
	v_cmp_eq_u16_e32 vcc, 0, v12
	v_cndmask_b32_e32 v11, v11, v14, vcc
	v_cndmask_b32_e32 v12, v12, v13, vcc
	v_lshlrev_b32_e32 v13, 24, v2
	v_mov_b32_e32 v14, 0x3b800000
	v_lshlrev_b32_e32 v11, 20, v11
	v_and_b32_e32 v13, 0x80000000, v13
	v_lshl_add_u32 v12, v12, 23, v14
	v_or3_b32 v11, v13, v12, v11
.LBB7_1160:
	s_or_b64 exec, exec, s[6:7]
	s_nop 0
	v_mfma_f32_16x16x4f32 a[0:3], v10, v11, a[0:3]
	v_lshrrev_b32_e32 v11, 8, v6
	s_movk_i32 s4, 0x7f
	v_cmp_gt_i16_sdwa s[6:7], v11, s4 src0_sel:BYTE_0 src1_sel:DWORD
	s_mov_b64 s[4:5], 0
                                        ; implicit-def: $sgpr10
	s_and_saveexec_b64 s[8:9], s[6:7]
	s_xor_b64 s[6:7], exec, s[8:9]
	s_cbranch_execnz .LBB7_3209
; %bb.1161:
	s_or_saveexec_b64 s[6:7], s[6:7]
	v_mov_b32_e32 v10, s10
	s_xor_b64 exec, exec, s[6:7]
	s_cbranch_execnz .LBB7_3212
.LBB7_1162:
	s_or_b64 exec, exec, s[6:7]
	s_and_saveexec_b64 s[6:7], s[4:5]
	s_cbranch_execz .LBB7_1164
.LBB7_1163:
	v_bfe_u32 v10, v6, 8, 3
	v_ffbh_u32_e32 v13, v10
	v_min_u32_e32 v13, 32, v13
	v_lshrrev_b16_e32 v12, 3, v11
	v_subrev_u32_e32 v14, 28, v13
	v_and_b32_e32 v12, 15, v12
	v_lshlrev_b32_e32 v11, v14, v11
	v_sub_u32_e32 v13, 29, v13
	v_and_b32_e32 v11, 7, v11
	v_cmp_eq_u16_e32 vcc, 0, v12
	v_cndmask_b32_e32 v10, v10, v11, vcc
	v_cndmask_b32_e32 v11, v12, v13, vcc
	v_lshlrev_b32_e32 v12, 16, v6
	v_mov_b32_e32 v13, 0x3b800000
	v_lshlrev_b32_e32 v10, 20, v10
	v_and_b32_e32 v12, 0x80000000, v12
	v_lshl_add_u32 v11, v11, 23, v13
	v_or3_b32 v10, v12, v11, v10
.LBB7_1164:
	s_or_b64 exec, exec, s[6:7]
	v_lshrrev_b32_e32 v11, 8, v2
	s_movk_i32 s4, 0x7f
	v_cmp_gt_i16_sdwa s[6:7], v11, s4 src0_sel:BYTE_0 src1_sel:DWORD
	s_mov_b64 s[4:5], 0
                                        ; implicit-def: $sgpr10
	s_and_saveexec_b64 s[8:9], s[6:7]
	s_xor_b64 s[6:7], exec, s[8:9]
	s_cbranch_execnz .LBB7_3213
; %bb.1165:
	s_or_saveexec_b64 s[6:7], s[6:7]
	v_mov_b32_e32 v12, s10
	s_xor_b64 exec, exec, s[6:7]
	s_cbranch_execnz .LBB7_3216
.LBB7_1166:
	s_or_b64 exec, exec, s[6:7]
	s_and_saveexec_b64 s[6:7], s[4:5]
	s_cbranch_execz .LBB7_1168
.LBB7_1167:
	v_bfe_u32 v12, v2, 8, 3
	v_ffbh_u32_e32 v14, v12
	v_min_u32_e32 v14, 32, v14
	v_lshrrev_b16_e32 v13, 3, v11
	v_subrev_u32_e32 v15, 28, v14
	v_and_b32_e32 v13, 15, v13
	v_lshlrev_b32_e32 v11, v15, v11
	v_sub_u32_e32 v14, 29, v14
	v_and_b32_e32 v11, 7, v11
	v_cmp_eq_u16_e32 vcc, 0, v13
	v_cndmask_b32_e32 v11, v12, v11, vcc
	v_cndmask_b32_e32 v12, v13, v14, vcc
	v_lshlrev_b32_e32 v13, 16, v2
	v_mov_b32_e32 v14, 0x3b800000
	v_lshlrev_b32_e32 v11, 20, v11
	v_and_b32_e32 v13, 0x80000000, v13
	v_lshl_add_u32 v12, v12, 23, v14
	v_or3_b32 v12, v13, v12, v11
.LBB7_1168:
	s_or_b64 exec, exec, s[6:7]
	s_nop 0
	v_mfma_f32_16x16x4f32 a[0:3], v10, v12, a[0:3]
	s_movk_i32 s4, 0xff
	v_and_b32_sdwa v11, v6, s4 dst_sel:DWORD dst_unused:UNUSED_PAD src0_sel:WORD_1 src1_sel:DWORD
	s_movk_i32 s4, 0x7f
	v_cmp_lt_i16_e32 vcc, s4, v11
	s_mov_b64 s[4:5], 0
                                        ; implicit-def: $sgpr10
	s_and_saveexec_b64 s[6:7], vcc
	s_xor_b64 s[6:7], exec, s[6:7]
	s_cbranch_execnz .LBB7_3217
; %bb.1169:
	s_or_saveexec_b64 s[6:7], s[6:7]
	v_mov_b32_e32 v10, s10
	s_xor_b64 exec, exec, s[6:7]
	s_cbranch_execnz .LBB7_3220
.LBB7_1170:
	s_or_b64 exec, exec, s[6:7]
	s_and_saveexec_b64 s[6:7], s[4:5]
	s_cbranch_execz .LBB7_1172
.LBB7_1171:
	v_bfe_u32 v10, v6, 16, 3
	v_ffbh_u32_e32 v13, v10
	v_min_u32_e32 v13, 32, v13
	v_lshrrev_b32_e32 v11, 19, v6
	v_subrev_u32_e32 v14, 28, v13
	v_and_b32_e32 v11, 15, v11
	v_lshlrev_b32_sdwa v14, v14, v6 dst_sel:DWORD dst_unused:UNUSED_PAD src0_sel:DWORD src1_sel:WORD_1
	v_bfe_u32 v12, v6, 19, 4
	v_sub_u32_e32 v13, 29, v13
	v_and_b32_e32 v14, 7, v14
	v_cmp_eq_u16_e32 vcc, 0, v11
	v_cndmask_b32_e32 v10, v10, v14, vcc
	v_cndmask_b32_e32 v11, v12, v13, vcc
	v_lshlrev_b32_e32 v12, 8, v6
	v_mov_b32_e32 v13, 0x3b800000
	v_lshlrev_b32_e32 v10, 20, v10
	v_and_b32_e32 v12, 0x80000000, v12
	v_lshl_add_u32 v11, v11, 23, v13
	v_or3_b32 v10, v12, v11, v10
.LBB7_1172:
	s_or_b64 exec, exec, s[6:7]
	s_movk_i32 s4, 0xff
	v_and_b32_sdwa v11, v2, s4 dst_sel:DWORD dst_unused:UNUSED_PAD src0_sel:WORD_1 src1_sel:DWORD
	s_movk_i32 s4, 0x7f
	v_cmp_lt_i16_e32 vcc, s4, v11
	s_mov_b64 s[4:5], 0
                                        ; implicit-def: $sgpr10
	s_and_saveexec_b64 s[6:7], vcc
	s_xor_b64 s[6:7], exec, s[6:7]
	s_cbranch_execnz .LBB7_3221
; %bb.1173:
	s_or_saveexec_b64 s[6:7], s[6:7]
	v_mov_b32_e32 v12, s10
	s_xor_b64 exec, exec, s[6:7]
	s_cbranch_execnz .LBB7_3224
.LBB7_1174:
	s_or_b64 exec, exec, s[6:7]
	s_and_saveexec_b64 s[6:7], s[4:5]
	s_cbranch_execz .LBB7_1176
.LBB7_1175:
	v_bfe_u32 v11, v2, 16, 3
	v_ffbh_u32_e32 v14, v11
	v_min_u32_e32 v14, 32, v14
	v_lshrrev_b32_e32 v12, 19, v2
	v_subrev_u32_e32 v15, 28, v14
	v_and_b32_e32 v12, 15, v12
	v_lshlrev_b32_sdwa v15, v15, v2 dst_sel:DWORD dst_unused:UNUSED_PAD src0_sel:DWORD src1_sel:WORD_1
	v_bfe_u32 v13, v2, 19, 4
	v_sub_u32_e32 v14, 29, v14
	v_and_b32_e32 v15, 7, v15
	v_cmp_eq_u16_e32 vcc, 0, v12
	v_cndmask_b32_e32 v11, v11, v15, vcc
	v_cndmask_b32_e32 v12, v13, v14, vcc
	v_lshlrev_b32_e32 v13, 8, v2
	v_mov_b32_e32 v14, 0x3b800000
	v_lshlrev_b32_e32 v11, 20, v11
	v_and_b32_e32 v13, 0x80000000, v13
	v_lshl_add_u32 v12, v12, 23, v14
	v_or3_b32 v12, v13, v12, v11
.LBB7_1176:
	s_or_b64 exec, exec, s[6:7]
	s_nop 0
	v_mfma_f32_16x16x4f32 a[0:3], v10, v12, a[0:3]
	s_movk_i32 s4, 0x7f
	v_cmp_gt_i16_sdwa s[6:7], v6, s4 src0_sel:BYTE_3 src1_sel:DWORD
	s_mov_b64 s[4:5], 0
                                        ; implicit-def: $sgpr10
	s_and_saveexec_b64 s[8:9], s[6:7]
	s_xor_b64 s[6:7], exec, s[8:9]
	s_cbranch_execnz .LBB7_3225
; %bb.1177:
	s_or_saveexec_b64 s[6:7], s[6:7]
	v_mov_b32_e32 v10, s10
	s_xor_b64 exec, exec, s[6:7]
	s_cbranch_execnz .LBB7_3228
.LBB7_1178:
	s_or_b64 exec, exec, s[6:7]
	s_and_saveexec_b64 s[6:7], s[4:5]
	s_cbranch_execz .LBB7_1180
.LBB7_1179:
	v_bfe_u32 v10, v6, 24, 3
	v_ffbh_u32_e32 v14, v10
	v_min_u32_e32 v14, 32, v14
	v_lshrrev_b32_e32 v12, 27, v6
	v_subrev_u32_e32 v15, 28, v14
	v_and_b32_e32 v11, 0x80000000, v6
	v_and_b32_e32 v12, 15, v12
	v_bfe_u32 v13, v6, 27, 4
	v_lshlrev_b32_sdwa v6, v15, v6 dst_sel:DWORD dst_unused:UNUSED_PAD src0_sel:DWORD src1_sel:BYTE_3
	v_sub_u32_e32 v14, 29, v14
	v_and_b32_e32 v6, 7, v6
	v_cmp_eq_u16_e32 vcc, 0, v12
	v_cndmask_b32_e32 v6, v10, v6, vcc
	v_cndmask_b32_e32 v10, v13, v14, vcc
	v_mov_b32_e32 v12, 0x3b800000
	v_lshlrev_b32_e32 v6, 20, v6
	v_lshl_add_u32 v10, v10, 23, v12
	v_or3_b32 v10, v11, v10, v6
.LBB7_1180:
	s_or_b64 exec, exec, s[6:7]
	s_movk_i32 s4, 0x7f
	v_cmp_gt_i16_sdwa s[6:7], v2, s4 src0_sel:BYTE_3 src1_sel:DWORD
	s_mov_b64 s[4:5], 0
                                        ; implicit-def: $sgpr10
	s_and_saveexec_b64 s[8:9], s[6:7]
	s_xor_b64 s[6:7], exec, s[8:9]
	s_cbranch_execnz .LBB7_3229
; %bb.1181:
	s_or_saveexec_b64 s[6:7], s[6:7]
	v_mov_b32_e32 v6, s10
	s_xor_b64 exec, exec, s[6:7]
	s_cbranch_execnz .LBB7_3232
.LBB7_1182:
	s_or_b64 exec, exec, s[6:7]
	s_and_saveexec_b64 s[6:7], s[4:5]
	s_cbranch_execz .LBB7_1184
.LBB7_1183:
	v_bfe_u32 v6, v2, 24, 3
	v_ffbh_u32_e32 v14, v6
	v_min_u32_e32 v14, 32, v14
	v_lshrrev_b32_e32 v12, 27, v2
	v_subrev_u32_e32 v15, 28, v14
	v_and_b32_e32 v11, 0x80000000, v2
	v_and_b32_e32 v12, 15, v12
	v_bfe_u32 v13, v2, 27, 4
	v_lshlrev_b32_sdwa v2, v15, v2 dst_sel:DWORD dst_unused:UNUSED_PAD src0_sel:DWORD src1_sel:BYTE_3
	v_sub_u32_e32 v14, 29, v14
	v_and_b32_e32 v2, 7, v2
	v_cmp_eq_u16_e32 vcc, 0, v12
	v_cndmask_b32_e32 v2, v6, v2, vcc
	v_cndmask_b32_e32 v6, v13, v14, vcc
	v_mov_b32_e32 v12, 0x3b800000
	v_lshlrev_b32_e32 v2, 20, v2
	v_lshl_add_u32 v6, v6, 23, v12
	v_or3_b32 v6, v11, v6, v2
.LBB7_1184:
	s_or_b64 exec, exec, s[6:7]
	s_nop 0
	v_mfma_f32_16x16x4f32 a[0:3], v10, v6, a[0:3]
	s_movk_i32 s4, 0x7f
	v_cmp_gt_i16_sdwa s[6:7], v7, s4 src0_sel:BYTE_0 src1_sel:DWORD
	s_mov_b64 s[4:5], 0
                                        ; implicit-def: $sgpr10
	s_and_saveexec_b64 s[8:9], s[6:7]
	s_xor_b64 s[6:7], exec, s[8:9]
	s_cbranch_execnz .LBB7_3233
; %bb.1185:
	s_or_saveexec_b64 s[6:7], s[6:7]
	v_mov_b32_e32 v2, s10
	s_xor_b64 exec, exec, s[6:7]
	s_cbranch_execnz .LBB7_3236
.LBB7_1186:
	s_or_b64 exec, exec, s[6:7]
	s_and_saveexec_b64 s[6:7], s[4:5]
	s_cbranch_execz .LBB7_1188
.LBB7_1187:
	v_and_b32_e32 v2, 7, v7
	v_ffbh_u32_e32 v10, v2
	v_min_u32_e32 v10, 32, v10
	v_lshrrev_b16_e32 v6, 3, v7
	v_subrev_u32_e32 v11, 28, v10
	v_and_b32_e32 v6, 15, v6
	v_lshlrev_b32_e32 v11, v11, v7
	v_sub_u32_e32 v10, 29, v10
	v_and_b32_e32 v11, 7, v11
	v_cmp_eq_u16_e32 vcc, 0, v6
	v_cndmask_b32_e32 v2, v2, v11, vcc
	v_cndmask_b32_e32 v6, v6, v10, vcc
	v_lshlrev_b32_e32 v10, 24, v7
	v_mov_b32_e32 v11, 0x3b800000
	v_lshlrev_b32_e32 v2, 20, v2
	v_and_b32_e32 v10, 0x80000000, v10
	v_lshl_add_u32 v6, v6, 23, v11
	v_or3_b32 v2, v10, v6, v2
.LBB7_1188:
	s_or_b64 exec, exec, s[6:7]
	s_movk_i32 s4, 0x7f
	v_cmp_gt_i16_sdwa s[6:7], v3, s4 src0_sel:BYTE_0 src1_sel:DWORD
	s_mov_b64 s[4:5], 0
                                        ; implicit-def: $sgpr10
	s_and_saveexec_b64 s[8:9], s[6:7]
	s_xor_b64 s[6:7], exec, s[8:9]
	s_cbranch_execnz .LBB7_3237
; %bb.1189:
	s_or_saveexec_b64 s[6:7], s[6:7]
	v_mov_b32_e32 v6, s10
	s_xor_b64 exec, exec, s[6:7]
	s_cbranch_execnz .LBB7_3240
.LBB7_1190:
	s_or_b64 exec, exec, s[6:7]
	s_and_saveexec_b64 s[6:7], s[4:5]
	s_cbranch_execz .LBB7_1192
.LBB7_1191:
	v_and_b32_e32 v6, 7, v3
	v_ffbh_u32_e32 v11, v6
	v_min_u32_e32 v11, 32, v11
	v_lshrrev_b16_e32 v10, 3, v3
	v_subrev_u32_e32 v12, 28, v11
	v_and_b32_e32 v10, 15, v10
	v_lshlrev_b32_e32 v12, v12, v3
	v_sub_u32_e32 v11, 29, v11
	v_and_b32_e32 v12, 7, v12
	v_cmp_eq_u16_e32 vcc, 0, v10
	v_cndmask_b32_e32 v6, v6, v12, vcc
	v_cndmask_b32_e32 v10, v10, v11, vcc
	v_lshlrev_b32_e32 v11, 24, v3
	v_mov_b32_e32 v12, 0x3b800000
	v_lshlrev_b32_e32 v6, 20, v6
	v_and_b32_e32 v11, 0x80000000, v11
	v_lshl_add_u32 v10, v10, 23, v12
	v_or3_b32 v6, v11, v10, v6
.LBB7_1192:
	s_or_b64 exec, exec, s[6:7]
	s_nop 0
	v_mfma_f32_16x16x4f32 a[0:3], v2, v6, a[0:3]
	v_lshrrev_b32_e32 v6, 8, v7
	s_movk_i32 s4, 0x7f
	v_cmp_gt_i16_sdwa s[6:7], v6, s4 src0_sel:BYTE_0 src1_sel:DWORD
	s_mov_b64 s[4:5], 0
                                        ; implicit-def: $sgpr10
	s_and_saveexec_b64 s[8:9], s[6:7]
	s_xor_b64 s[6:7], exec, s[8:9]
	s_cbranch_execnz .LBB7_3241
; %bb.1193:
	s_or_saveexec_b64 s[6:7], s[6:7]
	v_mov_b32_e32 v2, s10
	s_xor_b64 exec, exec, s[6:7]
	s_cbranch_execnz .LBB7_3244
.LBB7_1194:
	s_or_b64 exec, exec, s[6:7]
	s_and_saveexec_b64 s[6:7], s[4:5]
	s_cbranch_execz .LBB7_1196
.LBB7_1195:
	v_bfe_u32 v2, v7, 8, 3
	v_ffbh_u32_e32 v11, v2
	v_min_u32_e32 v11, 32, v11
	v_lshrrev_b16_e32 v10, 3, v6
	v_subrev_u32_e32 v12, 28, v11
	v_and_b32_e32 v10, 15, v10
	v_lshlrev_b32_e32 v6, v12, v6
	v_sub_u32_e32 v11, 29, v11
	v_and_b32_e32 v6, 7, v6
	v_cmp_eq_u16_e32 vcc, 0, v10
	v_cndmask_b32_e32 v2, v2, v6, vcc
	v_cndmask_b32_e32 v6, v10, v11, vcc
	v_lshlrev_b32_e32 v10, 16, v7
	v_mov_b32_e32 v11, 0x3b800000
	v_lshlrev_b32_e32 v2, 20, v2
	v_and_b32_e32 v10, 0x80000000, v10
	v_lshl_add_u32 v6, v6, 23, v11
	v_or3_b32 v2, v10, v6, v2
.LBB7_1196:
	s_or_b64 exec, exec, s[6:7]
	v_lshrrev_b32_e32 v6, 8, v3
	s_movk_i32 s4, 0x7f
	v_cmp_gt_i16_sdwa s[6:7], v6, s4 src0_sel:BYTE_0 src1_sel:DWORD
	s_mov_b64 s[4:5], 0
                                        ; implicit-def: $sgpr10
	s_and_saveexec_b64 s[8:9], s[6:7]
	s_xor_b64 s[6:7], exec, s[8:9]
	s_cbranch_execnz .LBB7_3245
; %bb.1197:
	s_or_saveexec_b64 s[6:7], s[6:7]
	v_mov_b32_e32 v10, s10
	s_xor_b64 exec, exec, s[6:7]
	s_cbranch_execnz .LBB7_3248
.LBB7_1198:
	s_or_b64 exec, exec, s[6:7]
	s_and_saveexec_b64 s[6:7], s[4:5]
	s_cbranch_execz .LBB7_1200
.LBB7_1199:
	v_bfe_u32 v10, v3, 8, 3
	v_ffbh_u32_e32 v12, v10
	v_min_u32_e32 v12, 32, v12
	v_lshrrev_b16_e32 v11, 3, v6
	v_subrev_u32_e32 v13, 28, v12
	v_and_b32_e32 v11, 15, v11
	v_lshlrev_b32_e32 v6, v13, v6
	v_sub_u32_e32 v12, 29, v12
	v_and_b32_e32 v6, 7, v6
	v_cmp_eq_u16_e32 vcc, 0, v11
	v_cndmask_b32_e32 v6, v10, v6, vcc
	v_cndmask_b32_e32 v10, v11, v12, vcc
	v_lshlrev_b32_e32 v11, 16, v3
	v_mov_b32_e32 v12, 0x3b800000
	v_lshlrev_b32_e32 v6, 20, v6
	v_and_b32_e32 v11, 0x80000000, v11
	v_lshl_add_u32 v10, v10, 23, v12
	v_or3_b32 v10, v11, v10, v6
.LBB7_1200:
	s_or_b64 exec, exec, s[6:7]
	s_nop 0
	v_mfma_f32_16x16x4f32 a[0:3], v2, v10, a[0:3]
	s_movk_i32 s4, 0xff
	v_and_b32_sdwa v6, v7, s4 dst_sel:DWORD dst_unused:UNUSED_PAD src0_sel:WORD_1 src1_sel:DWORD
	s_movk_i32 s4, 0x7f
	v_cmp_lt_i16_e32 vcc, s4, v6
	s_mov_b64 s[4:5], 0
                                        ; implicit-def: $sgpr10
	s_and_saveexec_b64 s[6:7], vcc
	s_xor_b64 s[6:7], exec, s[6:7]
	s_cbranch_execnz .LBB7_3249
; %bb.1201:
	s_or_saveexec_b64 s[6:7], s[6:7]
	v_mov_b32_e32 v2, s10
	s_xor_b64 exec, exec, s[6:7]
	s_cbranch_execnz .LBB7_3252
.LBB7_1202:
	s_or_b64 exec, exec, s[6:7]
	s_and_saveexec_b64 s[6:7], s[4:5]
	s_cbranch_execz .LBB7_1204
.LBB7_1203:
	v_bfe_u32 v2, v7, 16, 3
	v_ffbh_u32_e32 v11, v2
	v_min_u32_e32 v11, 32, v11
	v_lshrrev_b32_e32 v6, 19, v7
	v_subrev_u32_e32 v12, 28, v11
	v_and_b32_e32 v6, 15, v6
	v_lshlrev_b32_sdwa v12, v12, v7 dst_sel:DWORD dst_unused:UNUSED_PAD src0_sel:DWORD src1_sel:WORD_1
	v_bfe_u32 v10, v7, 19, 4
	v_sub_u32_e32 v11, 29, v11
	v_and_b32_e32 v12, 7, v12
	v_cmp_eq_u16_e32 vcc, 0, v6
	v_cndmask_b32_e32 v2, v2, v12, vcc
	v_cndmask_b32_e32 v6, v10, v11, vcc
	v_lshlrev_b32_e32 v10, 8, v7
	v_mov_b32_e32 v11, 0x3b800000
	v_lshlrev_b32_e32 v2, 20, v2
	v_and_b32_e32 v10, 0x80000000, v10
	v_lshl_add_u32 v6, v6, 23, v11
	v_or3_b32 v2, v10, v6, v2
.LBB7_1204:
	s_or_b64 exec, exec, s[6:7]
	s_movk_i32 s4, 0xff
	v_and_b32_sdwa v6, v3, s4 dst_sel:DWORD dst_unused:UNUSED_PAD src0_sel:WORD_1 src1_sel:DWORD
	s_movk_i32 s4, 0x7f
	v_cmp_lt_i16_e32 vcc, s4, v6
	s_mov_b64 s[4:5], 0
                                        ; implicit-def: $sgpr10
	s_and_saveexec_b64 s[6:7], vcc
	s_xor_b64 s[6:7], exec, s[6:7]
	s_cbranch_execnz .LBB7_3253
; %bb.1205:
	s_or_saveexec_b64 s[6:7], s[6:7]
	v_mov_b32_e32 v10, s10
	s_xor_b64 exec, exec, s[6:7]
	s_cbranch_execnz .LBB7_3256
.LBB7_1206:
	s_or_b64 exec, exec, s[6:7]
	s_and_saveexec_b64 s[6:7], s[4:5]
	s_cbranch_execz .LBB7_1208
.LBB7_1207:
	v_bfe_u32 v6, v3, 16, 3
	v_ffbh_u32_e32 v12, v6
	v_min_u32_e32 v12, 32, v12
	v_lshrrev_b32_e32 v10, 19, v3
	v_subrev_u32_e32 v13, 28, v12
	v_and_b32_e32 v10, 15, v10
	v_lshlrev_b32_sdwa v13, v13, v3 dst_sel:DWORD dst_unused:UNUSED_PAD src0_sel:DWORD src1_sel:WORD_1
	v_bfe_u32 v11, v3, 19, 4
	v_sub_u32_e32 v12, 29, v12
	v_and_b32_e32 v13, 7, v13
	v_cmp_eq_u16_e32 vcc, 0, v10
	v_cndmask_b32_e32 v6, v6, v13, vcc
	v_cndmask_b32_e32 v10, v11, v12, vcc
	v_lshlrev_b32_e32 v11, 8, v3
	v_mov_b32_e32 v12, 0x3b800000
	v_lshlrev_b32_e32 v6, 20, v6
	v_and_b32_e32 v11, 0x80000000, v11
	v_lshl_add_u32 v10, v10, 23, v12
	v_or3_b32 v10, v11, v10, v6
.LBB7_1208:
	s_or_b64 exec, exec, s[6:7]
	s_nop 0
	v_mfma_f32_16x16x4f32 a[0:3], v2, v10, a[0:3]
	s_movk_i32 s4, 0x7f
	v_cmp_gt_i16_sdwa s[6:7], v7, s4 src0_sel:BYTE_3 src1_sel:DWORD
	s_mov_b64 s[4:5], 0
                                        ; implicit-def: $sgpr10
	s_and_saveexec_b64 s[8:9], s[6:7]
	s_xor_b64 s[6:7], exec, s[8:9]
	s_cbranch_execnz .LBB7_3257
; %bb.1209:
	s_or_saveexec_b64 s[6:7], s[6:7]
	v_mov_b32_e32 v2, s10
	s_xor_b64 exec, exec, s[6:7]
	s_cbranch_execnz .LBB7_3260
.LBB7_1210:
	s_or_b64 exec, exec, s[6:7]
	s_and_saveexec_b64 s[6:7], s[4:5]
	s_cbranch_execz .LBB7_1212
.LBB7_1211:
	v_bfe_u32 v2, v7, 24, 3
	v_ffbh_u32_e32 v12, v2
	v_min_u32_e32 v12, 32, v12
	v_lshrrev_b32_e32 v10, 27, v7
	v_subrev_u32_e32 v13, 28, v12
	v_and_b32_e32 v6, 0x80000000, v7
	v_and_b32_e32 v10, 15, v10
	v_bfe_u32 v11, v7, 27, 4
	v_lshlrev_b32_sdwa v7, v13, v7 dst_sel:DWORD dst_unused:UNUSED_PAD src0_sel:DWORD src1_sel:BYTE_3
	v_sub_u32_e32 v12, 29, v12
	v_and_b32_e32 v7, 7, v7
	v_cmp_eq_u16_e32 vcc, 0, v10
	v_cndmask_b32_e32 v2, v2, v7, vcc
	v_cndmask_b32_e32 v7, v11, v12, vcc
	v_mov_b32_e32 v10, 0x3b800000
	v_lshlrev_b32_e32 v2, 20, v2
	v_lshl_add_u32 v7, v7, 23, v10
	v_or3_b32 v2, v6, v7, v2
.LBB7_1212:
	s_or_b64 exec, exec, s[6:7]
	s_movk_i32 s4, 0x7f
	v_cmp_gt_i16_sdwa s[6:7], v3, s4 src0_sel:BYTE_3 src1_sel:DWORD
	s_mov_b64 s[4:5], 0
                                        ; implicit-def: $sgpr10
	s_and_saveexec_b64 s[8:9], s[6:7]
	s_xor_b64 s[6:7], exec, s[8:9]
	s_cbranch_execnz .LBB7_3261
; %bb.1213:
	s_or_saveexec_b64 s[6:7], s[6:7]
	v_mov_b32_e32 v6, s10
	s_xor_b64 exec, exec, s[6:7]
	s_cbranch_execnz .LBB7_3264
.LBB7_1214:
	s_or_b64 exec, exec, s[6:7]
	s_and_saveexec_b64 s[6:7], s[4:5]
	s_cbranch_execz .LBB7_1216
.LBB7_1215:
	v_bfe_u32 v6, v3, 24, 3
	v_ffbh_u32_e32 v12, v6
	v_min_u32_e32 v12, 32, v12
	v_lshrrev_b32_e32 v10, 27, v3
	v_subrev_u32_e32 v13, 28, v12
	v_and_b32_e32 v7, 0x80000000, v3
	v_and_b32_e32 v10, 15, v10
	v_bfe_u32 v11, v3, 27, 4
	v_lshlrev_b32_sdwa v3, v13, v3 dst_sel:DWORD dst_unused:UNUSED_PAD src0_sel:DWORD src1_sel:BYTE_3
	v_sub_u32_e32 v12, 29, v12
	v_and_b32_e32 v3, 7, v3
	v_cmp_eq_u16_e32 vcc, 0, v10
	v_cndmask_b32_e32 v3, v6, v3, vcc
	v_cndmask_b32_e32 v6, v11, v12, vcc
	v_mov_b32_e32 v10, 0x3b800000
	v_lshlrev_b32_e32 v3, 20, v3
	v_lshl_add_u32 v6, v6, 23, v10
	v_or3_b32 v6, v7, v6, v3
.LBB7_1216:
	s_or_b64 exec, exec, s[6:7]
	s_nop 0
	v_mfma_f32_16x16x4f32 a[0:3], v2, v6, a[0:3]
	s_movk_i32 s4, 0x7f
	v_cmp_gt_i16_sdwa s[6:7], v8, s4 src0_sel:BYTE_0 src1_sel:DWORD
	s_mov_b64 s[4:5], 0
                                        ; implicit-def: $sgpr10
	s_and_saveexec_b64 s[8:9], s[6:7]
	s_xor_b64 s[6:7], exec, s[8:9]
	s_cbranch_execnz .LBB7_3265
; %bb.1217:
	s_or_saveexec_b64 s[6:7], s[6:7]
	v_mov_b32_e32 v2, s10
	s_xor_b64 exec, exec, s[6:7]
	s_cbranch_execnz .LBB7_3268
.LBB7_1218:
	s_or_b64 exec, exec, s[6:7]
	s_and_saveexec_b64 s[6:7], s[4:5]
	s_cbranch_execz .LBB7_1220
.LBB7_1219:
	v_and_b32_e32 v2, 7, v8
	v_ffbh_u32_e32 v6, v2
	v_min_u32_e32 v6, 32, v6
	v_lshrrev_b16_e32 v3, 3, v8
	v_subrev_u32_e32 v7, 28, v6
	v_and_b32_e32 v3, 15, v3
	v_lshlrev_b32_e32 v7, v7, v8
	v_sub_u32_e32 v6, 29, v6
	v_and_b32_e32 v7, 7, v7
	v_cmp_eq_u16_e32 vcc, 0, v3
	v_cndmask_b32_e32 v2, v2, v7, vcc
	v_cndmask_b32_e32 v3, v3, v6, vcc
	v_lshlrev_b32_e32 v6, 24, v8
	v_mov_b32_e32 v7, 0x3b800000
	v_lshlrev_b32_e32 v2, 20, v2
	v_and_b32_e32 v6, 0x80000000, v6
	v_lshl_add_u32 v3, v3, 23, v7
	v_or3_b32 v2, v6, v3, v2
.LBB7_1220:
	s_or_b64 exec, exec, s[6:7]
	s_movk_i32 s4, 0x7f
	v_cmp_gt_i16_sdwa s[6:7], v4, s4 src0_sel:BYTE_0 src1_sel:DWORD
	s_mov_b64 s[4:5], 0
                                        ; implicit-def: $sgpr10
	s_and_saveexec_b64 s[8:9], s[6:7]
	s_xor_b64 s[6:7], exec, s[8:9]
	s_cbranch_execnz .LBB7_3269
; %bb.1221:
	s_or_saveexec_b64 s[6:7], s[6:7]
	v_mov_b32_e32 v3, s10
	s_xor_b64 exec, exec, s[6:7]
	s_cbranch_execnz .LBB7_3272
.LBB7_1222:
	s_or_b64 exec, exec, s[6:7]
	s_and_saveexec_b64 s[6:7], s[4:5]
	s_cbranch_execz .LBB7_1224
.LBB7_1223:
	v_and_b32_e32 v3, 7, v4
	v_ffbh_u32_e32 v7, v3
	v_min_u32_e32 v7, 32, v7
	v_lshrrev_b16_e32 v6, 3, v4
	v_subrev_u32_e32 v10, 28, v7
	v_and_b32_e32 v6, 15, v6
	v_lshlrev_b32_e32 v10, v10, v4
	v_sub_u32_e32 v7, 29, v7
	v_and_b32_e32 v10, 7, v10
	v_cmp_eq_u16_e32 vcc, 0, v6
	v_cndmask_b32_e32 v3, v3, v10, vcc
	v_cndmask_b32_e32 v6, v6, v7, vcc
	v_lshlrev_b32_e32 v7, 24, v4
	v_mov_b32_e32 v10, 0x3b800000
	v_lshlrev_b32_e32 v3, 20, v3
	v_and_b32_e32 v7, 0x80000000, v7
	v_lshl_add_u32 v6, v6, 23, v10
	v_or3_b32 v3, v7, v6, v3
.LBB7_1224:
	s_or_b64 exec, exec, s[6:7]
	s_nop 0
	v_mfma_f32_16x16x4f32 a[0:3], v2, v3, a[0:3]
	v_lshrrev_b32_e32 v3, 8, v8
	s_movk_i32 s4, 0x7f
	v_cmp_gt_i16_sdwa s[6:7], v3, s4 src0_sel:BYTE_0 src1_sel:DWORD
	s_mov_b64 s[4:5], 0
                                        ; implicit-def: $sgpr10
	s_and_saveexec_b64 s[8:9], s[6:7]
	s_xor_b64 s[6:7], exec, s[8:9]
	s_cbranch_execnz .LBB7_3273
; %bb.1225:
	s_or_saveexec_b64 s[6:7], s[6:7]
	v_mov_b32_e32 v2, s10
	s_xor_b64 exec, exec, s[6:7]
	s_cbranch_execnz .LBB7_3276
.LBB7_1226:
	s_or_b64 exec, exec, s[6:7]
	s_and_saveexec_b64 s[6:7], s[4:5]
	s_cbranch_execz .LBB7_1228
.LBB7_1227:
	v_bfe_u32 v2, v8, 8, 3
	v_ffbh_u32_e32 v7, v2
	v_min_u32_e32 v7, 32, v7
	v_lshrrev_b16_e32 v6, 3, v3
	v_subrev_u32_e32 v10, 28, v7
	v_and_b32_e32 v6, 15, v6
	v_lshlrev_b32_e32 v3, v10, v3
	v_sub_u32_e32 v7, 29, v7
	v_and_b32_e32 v3, 7, v3
	v_cmp_eq_u16_e32 vcc, 0, v6
	v_cndmask_b32_e32 v2, v2, v3, vcc
	v_cndmask_b32_e32 v3, v6, v7, vcc
	v_lshlrev_b32_e32 v6, 16, v8
	v_mov_b32_e32 v7, 0x3b800000
	v_lshlrev_b32_e32 v2, 20, v2
	v_and_b32_e32 v6, 0x80000000, v6
	v_lshl_add_u32 v3, v3, 23, v7
	v_or3_b32 v2, v6, v3, v2
.LBB7_1228:
	s_or_b64 exec, exec, s[6:7]
	v_lshrrev_b32_e32 v3, 8, v4
	s_movk_i32 s4, 0x7f
	v_cmp_gt_i16_sdwa s[6:7], v3, s4 src0_sel:BYTE_0 src1_sel:DWORD
	s_mov_b64 s[4:5], 0
                                        ; implicit-def: $sgpr10
	s_and_saveexec_b64 s[8:9], s[6:7]
	s_xor_b64 s[6:7], exec, s[8:9]
	s_cbranch_execnz .LBB7_3277
; %bb.1229:
	s_or_saveexec_b64 s[6:7], s[6:7]
	v_mov_b32_e32 v6, s10
	s_xor_b64 exec, exec, s[6:7]
	s_cbranch_execnz .LBB7_3280
.LBB7_1230:
	s_or_b64 exec, exec, s[6:7]
	s_and_saveexec_b64 s[6:7], s[4:5]
	s_cbranch_execz .LBB7_1232
.LBB7_1231:
	v_bfe_u32 v6, v4, 8, 3
	v_ffbh_u32_e32 v10, v6
	v_min_u32_e32 v10, 32, v10
	v_lshrrev_b16_e32 v7, 3, v3
	v_subrev_u32_e32 v11, 28, v10
	v_and_b32_e32 v7, 15, v7
	v_lshlrev_b32_e32 v3, v11, v3
	v_sub_u32_e32 v10, 29, v10
	v_and_b32_e32 v3, 7, v3
	v_cmp_eq_u16_e32 vcc, 0, v7
	v_cndmask_b32_e32 v3, v6, v3, vcc
	v_cndmask_b32_e32 v6, v7, v10, vcc
	v_lshlrev_b32_e32 v7, 16, v4
	v_mov_b32_e32 v10, 0x3b800000
	v_lshlrev_b32_e32 v3, 20, v3
	v_and_b32_e32 v7, 0x80000000, v7
	v_lshl_add_u32 v6, v6, 23, v10
	v_or3_b32 v6, v7, v6, v3
.LBB7_1232:
	s_or_b64 exec, exec, s[6:7]
	s_nop 0
	v_mfma_f32_16x16x4f32 a[0:3], v2, v6, a[0:3]
	s_movk_i32 s4, 0xff
	v_and_b32_sdwa v3, v8, s4 dst_sel:DWORD dst_unused:UNUSED_PAD src0_sel:WORD_1 src1_sel:DWORD
	s_movk_i32 s4, 0x7f
	v_cmp_lt_i16_e32 vcc, s4, v3
	s_mov_b64 s[4:5], 0
                                        ; implicit-def: $sgpr10
	s_and_saveexec_b64 s[6:7], vcc
	s_xor_b64 s[6:7], exec, s[6:7]
	s_cbranch_execnz .LBB7_3281
; %bb.1233:
	s_or_saveexec_b64 s[6:7], s[6:7]
	v_mov_b32_e32 v2, s10
	s_xor_b64 exec, exec, s[6:7]
	s_cbranch_execnz .LBB7_3284
.LBB7_1234:
	s_or_b64 exec, exec, s[6:7]
	s_and_saveexec_b64 s[6:7], s[4:5]
	s_cbranch_execz .LBB7_1236
.LBB7_1235:
	v_bfe_u32 v2, v8, 16, 3
	v_ffbh_u32_e32 v7, v2
	v_min_u32_e32 v7, 32, v7
	v_lshrrev_b32_e32 v3, 19, v8
	v_subrev_u32_e32 v10, 28, v7
	v_and_b32_e32 v3, 15, v3
	v_lshlrev_b32_sdwa v10, v10, v8 dst_sel:DWORD dst_unused:UNUSED_PAD src0_sel:DWORD src1_sel:WORD_1
	v_bfe_u32 v6, v8, 19, 4
	v_sub_u32_e32 v7, 29, v7
	v_and_b32_e32 v10, 7, v10
	v_cmp_eq_u16_e32 vcc, 0, v3
	v_cndmask_b32_e32 v2, v2, v10, vcc
	v_cndmask_b32_e32 v3, v6, v7, vcc
	v_lshlrev_b32_e32 v6, 8, v8
	v_mov_b32_e32 v7, 0x3b800000
	v_lshlrev_b32_e32 v2, 20, v2
	v_and_b32_e32 v6, 0x80000000, v6
	v_lshl_add_u32 v3, v3, 23, v7
	v_or3_b32 v2, v6, v3, v2
.LBB7_1236:
	s_or_b64 exec, exec, s[6:7]
	s_movk_i32 s4, 0xff
	v_and_b32_sdwa v3, v4, s4 dst_sel:DWORD dst_unused:UNUSED_PAD src0_sel:WORD_1 src1_sel:DWORD
	s_movk_i32 s4, 0x7f
	v_cmp_lt_i16_e32 vcc, s4, v3
	s_mov_b64 s[4:5], 0
                                        ; implicit-def: $sgpr10
	s_and_saveexec_b64 s[6:7], vcc
	s_xor_b64 s[6:7], exec, s[6:7]
	s_cbranch_execnz .LBB7_3285
; %bb.1237:
	s_or_saveexec_b64 s[6:7], s[6:7]
	v_mov_b32_e32 v6, s10
	s_xor_b64 exec, exec, s[6:7]
	s_cbranch_execnz .LBB7_3288
.LBB7_1238:
	s_or_b64 exec, exec, s[6:7]
	s_and_saveexec_b64 s[6:7], s[4:5]
	s_cbranch_execz .LBB7_1240
.LBB7_1239:
	v_bfe_u32 v3, v4, 16, 3
	v_ffbh_u32_e32 v10, v3
	v_min_u32_e32 v10, 32, v10
	v_lshrrev_b32_e32 v6, 19, v4
	v_subrev_u32_e32 v11, 28, v10
	v_and_b32_e32 v6, 15, v6
	v_lshlrev_b32_sdwa v11, v11, v4 dst_sel:DWORD dst_unused:UNUSED_PAD src0_sel:DWORD src1_sel:WORD_1
	v_bfe_u32 v7, v4, 19, 4
	v_sub_u32_e32 v10, 29, v10
	v_and_b32_e32 v11, 7, v11
	v_cmp_eq_u16_e32 vcc, 0, v6
	v_cndmask_b32_e32 v3, v3, v11, vcc
	v_cndmask_b32_e32 v6, v7, v10, vcc
	v_lshlrev_b32_e32 v7, 8, v4
	v_mov_b32_e32 v10, 0x3b800000
	v_lshlrev_b32_e32 v3, 20, v3
	v_and_b32_e32 v7, 0x80000000, v7
	v_lshl_add_u32 v6, v6, 23, v10
	v_or3_b32 v6, v7, v6, v3
.LBB7_1240:
	s_or_b64 exec, exec, s[6:7]
	s_nop 0
	v_mfma_f32_16x16x4f32 a[0:3], v2, v6, a[0:3]
	s_movk_i32 s4, 0x7f
	v_cmp_gt_i16_sdwa s[6:7], v8, s4 src0_sel:BYTE_3 src1_sel:DWORD
	s_mov_b64 s[4:5], 0
                                        ; implicit-def: $sgpr10
	s_and_saveexec_b64 s[8:9], s[6:7]
	s_xor_b64 s[6:7], exec, s[8:9]
	s_cbranch_execnz .LBB7_3289
; %bb.1241:
	s_or_saveexec_b64 s[6:7], s[6:7]
	v_mov_b32_e32 v2, s10
	s_xor_b64 exec, exec, s[6:7]
	s_cbranch_execnz .LBB7_3292
.LBB7_1242:
	s_or_b64 exec, exec, s[6:7]
	s_and_saveexec_b64 s[6:7], s[4:5]
	s_cbranch_execz .LBB7_1244
.LBB7_1243:
	v_bfe_u32 v2, v8, 24, 3
	v_ffbh_u32_e32 v10, v2
	v_min_u32_e32 v10, 32, v10
	v_lshrrev_b32_e32 v6, 27, v8
	v_subrev_u32_e32 v11, 28, v10
	v_and_b32_e32 v3, 0x80000000, v8
	v_and_b32_e32 v6, 15, v6
	v_bfe_u32 v7, v8, 27, 4
	v_lshlrev_b32_sdwa v8, v11, v8 dst_sel:DWORD dst_unused:UNUSED_PAD src0_sel:DWORD src1_sel:BYTE_3
	v_sub_u32_e32 v10, 29, v10
	v_and_b32_e32 v8, 7, v8
	v_cmp_eq_u16_e32 vcc, 0, v6
	v_cndmask_b32_e32 v2, v2, v8, vcc
	v_cndmask_b32_e32 v6, v7, v10, vcc
	v_mov_b32_e32 v7, 0x3b800000
	v_lshlrev_b32_e32 v2, 20, v2
	v_lshl_add_u32 v6, v6, 23, v7
	v_or3_b32 v2, v3, v6, v2
.LBB7_1244:
	s_or_b64 exec, exec, s[6:7]
	s_movk_i32 s4, 0x7f
	v_cmp_gt_i16_sdwa s[6:7], v4, s4 src0_sel:BYTE_3 src1_sel:DWORD
	s_mov_b64 s[4:5], 0
                                        ; implicit-def: $sgpr10
	s_and_saveexec_b64 s[8:9], s[6:7]
	s_xor_b64 s[6:7], exec, s[8:9]
	s_cbranch_execnz .LBB7_3293
; %bb.1245:
	s_or_saveexec_b64 s[6:7], s[6:7]
	v_mov_b32_e32 v3, s10
	s_xor_b64 exec, exec, s[6:7]
	s_cbranch_execnz .LBB7_3296
.LBB7_1246:
	s_or_b64 exec, exec, s[6:7]
	s_and_saveexec_b64 s[6:7], s[4:5]
	s_cbranch_execz .LBB7_1248
.LBB7_1247:
	v_bfe_u32 v3, v4, 24, 3
	v_ffbh_u32_e32 v10, v3
	v_min_u32_e32 v10, 32, v10
	v_lshrrev_b32_e32 v7, 27, v4
	v_subrev_u32_e32 v11, 28, v10
	v_and_b32_e32 v6, 0x80000000, v4
	v_and_b32_e32 v7, 15, v7
	v_bfe_u32 v8, v4, 27, 4
	v_lshlrev_b32_sdwa v4, v11, v4 dst_sel:DWORD dst_unused:UNUSED_PAD src0_sel:DWORD src1_sel:BYTE_3
	v_sub_u32_e32 v10, 29, v10
	v_and_b32_e32 v4, 7, v4
	v_cmp_eq_u16_e32 vcc, 0, v7
	v_cndmask_b32_e32 v3, v3, v4, vcc
	v_cndmask_b32_e32 v4, v8, v10, vcc
	v_mov_b32_e32 v7, 0x3b800000
	v_lshlrev_b32_e32 v3, 20, v3
	v_lshl_add_u32 v4, v4, 23, v7
	v_or3_b32 v3, v6, v4, v3
.LBB7_1248:
	s_or_b64 exec, exec, s[6:7]
	s_nop 0
	v_mfma_f32_16x16x4f32 a[0:3], v2, v3, a[0:3]
	s_movk_i32 s4, 0x7f
	v_cmp_gt_i16_sdwa s[6:7], v9, s4 src0_sel:BYTE_0 src1_sel:DWORD
	s_mov_b64 s[4:5], 0
                                        ; implicit-def: $sgpr10
	s_and_saveexec_b64 s[8:9], s[6:7]
	s_xor_b64 s[6:7], exec, s[8:9]
	s_cbranch_execnz .LBB7_3297
; %bb.1249:
	s_or_saveexec_b64 s[6:7], s[6:7]
	v_mov_b32_e32 v2, s10
	s_xor_b64 exec, exec, s[6:7]
	s_cbranch_execnz .LBB7_3300
.LBB7_1250:
	s_or_b64 exec, exec, s[6:7]
	s_and_saveexec_b64 s[6:7], s[4:5]
	s_cbranch_execz .LBB7_1252
.LBB7_1251:
	v_mov_b32_e32 v2, 8
	v_and_b32_e32 v3, 7, v9
	v_lshrrev_b32_sdwa v2, v2, v9 dst_sel:BYTE_1 dst_unused:UNUSED_PAD src0_sel:DWORD src1_sel:DWORD
	v_ffbh_u32_e32 v4, v3
	v_or_b32_sdwa v2, v9, v2 dst_sel:DWORD dst_unused:UNUSED_PAD src0_sel:BYTE_0 src1_sel:DWORD
	v_min_u32_e32 v4, 32, v4
	v_lshrrev_b16_e32 v2, 3, v2
	v_subrev_u32_e32 v6, 28, v4
	v_and_b32_e32 v2, 15, v2
	v_lshlrev_b32_e32 v6, v6, v9
	v_sub_u32_e32 v4, 29, v4
	v_and_b32_e32 v6, 7, v6
	v_cmp_eq_u16_e32 vcc, 0, v2
	v_cndmask_b32_e32 v3, v3, v6, vcc
	v_cndmask_b32_e32 v2, v2, v4, vcc
	v_lshlrev_b32_e32 v4, 24, v9
	v_mov_b32_e32 v6, 0x3b800000
	v_lshlrev_b32_e32 v3, 20, v3
	v_and_b32_e32 v4, 0x80000000, v4
	v_lshl_add_u32 v2, v2, 23, v6
	v_or3_b32 v2, v4, v2, v3
.LBB7_1252:
	s_or_b64 exec, exec, s[6:7]
	s_movk_i32 s4, 0x7f
	v_cmp_gt_i16_sdwa s[6:7], v5, s4 src0_sel:BYTE_0 src1_sel:DWORD
	s_mov_b64 s[4:5], 0
                                        ; implicit-def: $sgpr10
	s_and_saveexec_b64 s[8:9], s[6:7]
	s_xor_b64 s[6:7], exec, s[8:9]
	s_cbranch_execnz .LBB7_3301
; %bb.1253:
	s_or_saveexec_b64 s[6:7], s[6:7]
	v_mov_b32_e32 v3, s10
	s_xor_b64 exec, exec, s[6:7]
	s_cbranch_execnz .LBB7_3304
.LBB7_1254:
	s_or_b64 exec, exec, s[6:7]
	s_and_saveexec_b64 s[6:7], s[4:5]
	s_cbranch_execz .LBB7_1256
.LBB7_1255:
	v_mov_b32_e32 v3, 8
	v_and_b32_e32 v4, 7, v5
	v_lshrrev_b32_sdwa v3, v3, v5 dst_sel:BYTE_1 dst_unused:UNUSED_PAD src0_sel:DWORD src1_sel:DWORD
	v_ffbh_u32_e32 v6, v4
	v_or_b32_sdwa v3, v5, v3 dst_sel:DWORD dst_unused:UNUSED_PAD src0_sel:BYTE_0 src1_sel:DWORD
	v_min_u32_e32 v6, 32, v6
	v_lshrrev_b16_e32 v3, 3, v3
	v_subrev_u32_e32 v7, 28, v6
	v_and_b32_e32 v3, 15, v3
	v_lshlrev_b32_e32 v7, v7, v5
	v_sub_u32_e32 v6, 29, v6
	v_and_b32_e32 v7, 7, v7
	v_cmp_eq_u16_e32 vcc, 0, v3
	v_cndmask_b32_e32 v4, v4, v7, vcc
	v_cndmask_b32_e32 v3, v3, v6, vcc
	v_lshlrev_b32_e32 v6, 24, v5
	v_mov_b32_e32 v7, 0x3b800000
	v_lshlrev_b32_e32 v4, 20, v4
	v_and_b32_e32 v6, 0x80000000, v6
	v_lshl_add_u32 v3, v3, 23, v7
	v_or3_b32 v3, v6, v3, v4
.LBB7_1256:
	s_or_b64 exec, exec, s[6:7]
	s_nop 0
	v_mfma_f32_16x16x4f32 a[0:3], v2, v3, a[0:3]
	v_lshrrev_b32_e32 v3, 8, v9
	s_movk_i32 s4, 0x7f
	v_cmp_gt_i16_sdwa s[6:7], v3, s4 src0_sel:BYTE_0 src1_sel:DWORD
	s_mov_b64 s[4:5], 0
                                        ; implicit-def: $sgpr10
	s_and_saveexec_b64 s[8:9], s[6:7]
	s_xor_b64 s[6:7], exec, s[8:9]
	s_cbranch_execnz .LBB7_3305
; %bb.1257:
	s_or_saveexec_b64 s[6:7], s[6:7]
	v_mov_b32_e32 v2, s10
	s_xor_b64 exec, exec, s[6:7]
	s_cbranch_execnz .LBB7_3308
.LBB7_1258:
	s_or_b64 exec, exec, s[6:7]
	s_and_saveexec_b64 s[6:7], s[4:5]
	s_cbranch_execz .LBB7_1260
.LBB7_1259:
	v_bfe_u32 v2, v9, 8, 3
	v_ffbh_u32_e32 v6, v2
	v_min_u32_e32 v6, 32, v6
	v_lshrrev_b16_e32 v4, 3, v3
	v_subrev_u32_e32 v7, 28, v6
	v_and_b32_e32 v4, 15, v4
	v_lshlrev_b32_e32 v3, v7, v3
	v_sub_u32_e32 v6, 29, v6
	v_and_b32_e32 v3, 7, v3
	v_cmp_eq_u16_e32 vcc, 0, v4
	v_cndmask_b32_e32 v2, v2, v3, vcc
	v_cndmask_b32_e32 v3, v4, v6, vcc
	v_lshlrev_b32_e32 v4, 16, v9
	v_mov_b32_e32 v6, 0x3b800000
	v_lshlrev_b32_e32 v2, 20, v2
	v_and_b32_e32 v4, 0x80000000, v4
	v_lshl_add_u32 v3, v3, 23, v6
	v_or3_b32 v2, v4, v3, v2
.LBB7_1260:
	s_or_b64 exec, exec, s[6:7]
	v_lshrrev_b32_e32 v3, 8, v5
	s_movk_i32 s4, 0x7f
	v_cmp_gt_i16_sdwa s[6:7], v3, s4 src0_sel:BYTE_0 src1_sel:DWORD
	s_mov_b64 s[4:5], 0
                                        ; implicit-def: $sgpr10
	s_and_saveexec_b64 s[8:9], s[6:7]
	s_xor_b64 s[6:7], exec, s[8:9]
	s_cbranch_execnz .LBB7_3309
; %bb.1261:
	s_or_saveexec_b64 s[6:7], s[6:7]
	v_mov_b32_e32 v4, s10
	s_xor_b64 exec, exec, s[6:7]
	s_cbranch_execnz .LBB7_3312
.LBB7_1262:
	s_or_b64 exec, exec, s[6:7]
	s_and_saveexec_b64 s[6:7], s[4:5]
	s_cbranch_execz .LBB7_1264
.LBB7_1263:
	v_bfe_u32 v4, v5, 8, 3
	v_ffbh_u32_e32 v7, v4
	v_min_u32_e32 v7, 32, v7
	v_lshrrev_b16_e32 v6, 3, v3
	v_subrev_u32_e32 v8, 28, v7
	v_and_b32_e32 v6, 15, v6
	v_lshlrev_b32_e32 v3, v8, v3
	v_sub_u32_e32 v7, 29, v7
	v_and_b32_e32 v3, 7, v3
	v_cmp_eq_u16_e32 vcc, 0, v6
	v_cndmask_b32_e32 v3, v4, v3, vcc
	v_cndmask_b32_e32 v4, v6, v7, vcc
	v_lshlrev_b32_e32 v6, 16, v5
	v_mov_b32_e32 v7, 0x3b800000
	v_lshlrev_b32_e32 v3, 20, v3
	v_and_b32_e32 v6, 0x80000000, v6
	v_lshl_add_u32 v4, v4, 23, v7
	v_or3_b32 v4, v6, v4, v3
.LBB7_1264:
	s_or_b64 exec, exec, s[6:7]
	s_nop 0
	v_mfma_f32_16x16x4f32 a[0:3], v2, v4, a[0:3]
	s_movk_i32 s4, 0xff
	v_and_b32_sdwa v3, v9, s4 dst_sel:DWORD dst_unused:UNUSED_PAD src0_sel:WORD_1 src1_sel:DWORD
	s_movk_i32 s4, 0x7f
	v_cmp_lt_i16_e32 vcc, s4, v3
	s_mov_b64 s[4:5], 0
                                        ; implicit-def: $sgpr10
	s_and_saveexec_b64 s[6:7], vcc
	s_xor_b64 s[6:7], exec, s[6:7]
	s_cbranch_execnz .LBB7_3313
; %bb.1265:
	s_or_saveexec_b64 s[6:7], s[6:7]
	v_mov_b32_e32 v2, s10
	s_xor_b64 exec, exec, s[6:7]
	s_cbranch_execnz .LBB7_3316
.LBB7_1266:
	s_or_b64 exec, exec, s[6:7]
	s_and_saveexec_b64 s[6:7], s[4:5]
	s_cbranch_execz .LBB7_1268
.LBB7_1267:
	v_bfe_u32 v2, v9, 16, 3
	v_ffbh_u32_e32 v6, v2
	v_min_u32_e32 v6, 32, v6
	v_lshrrev_b32_e32 v3, 19, v9
	v_subrev_u32_e32 v7, 28, v6
	v_and_b32_e32 v3, 15, v3
	v_lshlrev_b32_sdwa v7, v7, v9 dst_sel:DWORD dst_unused:UNUSED_PAD src0_sel:DWORD src1_sel:WORD_1
	v_bfe_u32 v4, v9, 19, 4
	v_sub_u32_e32 v6, 29, v6
	v_and_b32_e32 v7, 7, v7
	v_cmp_eq_u16_e32 vcc, 0, v3
	v_cndmask_b32_e32 v2, v2, v7, vcc
	v_cndmask_b32_e32 v3, v4, v6, vcc
	v_lshlrev_b32_e32 v4, 8, v9
	v_mov_b32_e32 v6, 0x3b800000
	v_lshlrev_b32_e32 v2, 20, v2
	v_and_b32_e32 v4, 0x80000000, v4
	v_lshl_add_u32 v3, v3, 23, v6
	v_or3_b32 v2, v4, v3, v2
.LBB7_1268:
	s_or_b64 exec, exec, s[6:7]
	s_movk_i32 s4, 0xff
	v_and_b32_sdwa v3, v5, s4 dst_sel:DWORD dst_unused:UNUSED_PAD src0_sel:WORD_1 src1_sel:DWORD
	s_movk_i32 s4, 0x7f
	v_cmp_lt_i16_e32 vcc, s4, v3
	s_mov_b64 s[4:5], 0
                                        ; implicit-def: $sgpr10
	s_and_saveexec_b64 s[6:7], vcc
	s_xor_b64 s[6:7], exec, s[6:7]
	s_cbranch_execnz .LBB7_3317
; %bb.1269:
	s_or_saveexec_b64 s[6:7], s[6:7]
	v_mov_b32_e32 v4, s10
	s_xor_b64 exec, exec, s[6:7]
	s_cbranch_execnz .LBB7_3320
.LBB7_1270:
	s_or_b64 exec, exec, s[6:7]
	s_and_saveexec_b64 s[6:7], s[4:5]
	s_cbranch_execz .LBB7_1272
.LBB7_1271:
	v_bfe_u32 v3, v5, 16, 3
	v_ffbh_u32_e32 v7, v3
	v_min_u32_e32 v7, 32, v7
	v_lshrrev_b32_e32 v4, 19, v5
	v_subrev_u32_e32 v8, 28, v7
	v_and_b32_e32 v4, 15, v4
	v_lshlrev_b32_sdwa v8, v8, v5 dst_sel:DWORD dst_unused:UNUSED_PAD src0_sel:DWORD src1_sel:WORD_1
	v_bfe_u32 v6, v5, 19, 4
	v_sub_u32_e32 v7, 29, v7
	v_and_b32_e32 v8, 7, v8
	v_cmp_eq_u16_e32 vcc, 0, v4
	v_cndmask_b32_e32 v3, v3, v8, vcc
	v_cndmask_b32_e32 v4, v6, v7, vcc
	v_lshlrev_b32_e32 v6, 8, v5
	v_mov_b32_e32 v7, 0x3b800000
	v_lshlrev_b32_e32 v3, 20, v3
	v_and_b32_e32 v6, 0x80000000, v6
	v_lshl_add_u32 v4, v4, 23, v7
	v_or3_b32 v4, v6, v4, v3
.LBB7_1272:
	s_or_b64 exec, exec, s[6:7]
	s_nop 0
	v_mfma_f32_16x16x4f32 a[0:3], v2, v4, a[0:3]
	s_movk_i32 s4, 0x7f
	v_cmp_gt_i16_sdwa s[6:7], v9, s4 src0_sel:BYTE_3 src1_sel:DWORD
	s_mov_b64 s[4:5], 0
                                        ; implicit-def: $sgpr10
	s_and_saveexec_b64 s[8:9], s[6:7]
	s_xor_b64 s[6:7], exec, s[8:9]
	s_cbranch_execnz .LBB7_3321
; %bb.1273:
	s_or_saveexec_b64 s[6:7], s[6:7]
	v_mov_b32_e32 v2, s10
	s_xor_b64 exec, exec, s[6:7]
	s_cbranch_execnz .LBB7_3324
.LBB7_1274:
	s_or_b64 exec, exec, s[6:7]
	s_and_saveexec_b64 s[6:7], s[4:5]
	s_cbranch_execz .LBB7_1276
.LBB7_1275:
	v_bfe_u32 v2, v9, 24, 3
	v_ffbh_u32_e32 v7, v2
	v_min_u32_e32 v7, 32, v7
	v_lshrrev_b32_e32 v4, 27, v9
	v_subrev_u32_e32 v8, 28, v7
	v_and_b32_e32 v4, 15, v4
	v_lshlrev_b32_sdwa v8, v8, v9 dst_sel:DWORD dst_unused:UNUSED_PAD src0_sel:DWORD src1_sel:BYTE_3
	v_bfe_u32 v6, v9, 27, 4
	v_sub_u32_e32 v7, 29, v7
	v_and_b32_e32 v8, 7, v8
	v_cmp_eq_u16_e32 vcc, 0, v4
	v_cndmask_b32_e32 v2, v2, v8, vcc
	v_cndmask_b32_e32 v4, v6, v7, vcc
	v_mov_b32_e32 v6, 0x3b800000
	v_and_b32_e32 v3, 0x80000000, v9
	v_lshlrev_b32_e32 v2, 20, v2
	v_lshl_add_u32 v4, v4, 23, v6
	v_or3_b32 v2, v3, v4, v2
.LBB7_1276:
	s_or_b64 exec, exec, s[6:7]
	s_movk_i32 s4, 0x7f
	v_cmp_gt_i16_sdwa s[6:7], v5, s4 src0_sel:BYTE_3 src1_sel:DWORD
	s_mov_b64 s[4:5], 0
                                        ; implicit-def: $sgpr10
	s_and_saveexec_b64 s[8:9], s[6:7]
	s_xor_b64 s[6:7], exec, s[8:9]
	s_cbranch_execnz .LBB7_3325
; %bb.1277:
	s_or_saveexec_b64 s[6:7], s[6:7]
	v_mov_b32_e32 v3, s10
	s_xor_b64 exec, exec, s[6:7]
	s_cbranch_execnz .LBB7_3328
.LBB7_1278:
	s_or_b64 exec, exec, s[6:7]
	s_and_saveexec_b64 s[6:7], s[4:5]
	s_cbranch_execz .LBB7_1280
.LBB7_1279:
	v_bfe_u32 v3, v5, 24, 3
	v_ffbh_u32_e32 v8, v3
	v_min_u32_e32 v8, 32, v8
	v_lshrrev_b32_e32 v6, 27, v5
	v_subrev_u32_e32 v9, 28, v8
	v_and_b32_e32 v4, 0x80000000, v5
	v_and_b32_e32 v6, 15, v6
	v_bfe_u32 v7, v5, 27, 4
	v_lshlrev_b32_sdwa v5, v9, v5 dst_sel:DWORD dst_unused:UNUSED_PAD src0_sel:DWORD src1_sel:BYTE_3
	v_sub_u32_e32 v8, 29, v8
	v_and_b32_e32 v5, 7, v5
	v_cmp_eq_u16_e32 vcc, 0, v6
	v_cndmask_b32_e32 v3, v3, v5, vcc
	v_cndmask_b32_e32 v5, v7, v8, vcc
	v_mov_b32_e32 v6, 0x3b800000
	v_lshlrev_b32_e32 v3, 20, v3
	v_lshl_add_u32 v5, v5, 23, v6
	v_or3_b32 v3, v4, v5, v3
.LBB7_1280:
	s_or_b64 exec, exec, s[6:7]
	s_nop 0
	v_mfma_f32_16x16x4f32 a[0:3], v2, v3, a[0:3]
	s_movk_i32 s4, 0x7f
                                        ; implicit-def: $sgpr10
	s_nop 7
	s_nop 1
	flat_store_dwordx4 v[18:19], a[0:3] offset:704
	flat_load_dwordx4 v[20:23], v[0:1] offset:16
	s_nop 0
	flat_load_dwordx2 v[18:19], v[0:1] offset:32
	s_waitcnt vmcnt(0) lgkmcnt(0)
	flat_load_dwordx4 v[14:17], v[20:21] offset:32
	flat_load_dwordx4 v[6:9], v[20:21] offset:48
	;; [unrolled: 1-line block ×4, first 2 shown]
	s_waitcnt vmcnt(0) lgkmcnt(0)
	v_cmp_gt_i16_sdwa s[6:7], v14, s4 src0_sel:BYTE_0 src1_sel:DWORD
	s_mov_b64 s[4:5], 0
	s_and_saveexec_b64 s[8:9], s[6:7]
	s_xor_b64 s[6:7], exec, s[8:9]
	s_cbranch_execnz .LBB7_3329
; %bb.1281:
	s_or_saveexec_b64 s[6:7], s[6:7]
	v_mov_b32_e32 v20, s10
	s_xor_b64 exec, exec, s[6:7]
	s_cbranch_execnz .LBB7_3332
.LBB7_1282:
	s_or_b64 exec, exec, s[6:7]
	s_and_saveexec_b64 s[6:7], s[4:5]
	s_cbranch_execz .LBB7_1284
.LBB7_1283:
	v_and_b32_e32 v20, 7, v14
	v_ffbh_u32_e32 v22, v20
	v_min_u32_e32 v22, 32, v22
	v_lshrrev_b16_e32 v21, 3, v14
	v_subrev_u32_e32 v23, 28, v22
	v_and_b32_e32 v21, 15, v21
	v_lshlrev_b32_e32 v23, v23, v14
	v_sub_u32_e32 v22, 29, v22
	v_and_b32_e32 v23, 7, v23
	v_cmp_eq_u16_e32 vcc, 0, v21
	v_cndmask_b32_e32 v20, v20, v23, vcc
	v_cndmask_b32_e32 v21, v21, v22, vcc
	v_lshlrev_b32_e32 v22, 24, v14
	v_mov_b32_e32 v23, 0x3b800000
	v_lshlrev_b32_e32 v20, 20, v20
	v_and_b32_e32 v22, 0x80000000, v22
	v_lshl_add_u32 v21, v21, 23, v23
	v_or3_b32 v20, v22, v21, v20
.LBB7_1284:
	s_or_b64 exec, exec, s[6:7]
	s_movk_i32 s4, 0x7f
	v_cmp_gt_i16_sdwa s[6:7], v10, s4 src0_sel:BYTE_0 src1_sel:DWORD
	s_mov_b64 s[4:5], 0
                                        ; implicit-def: $sgpr10
	s_and_saveexec_b64 s[8:9], s[6:7]
	s_xor_b64 s[6:7], exec, s[8:9]
	s_cbranch_execnz .LBB7_3333
; %bb.1285:
	s_or_saveexec_b64 s[6:7], s[6:7]
	v_mov_b32_e32 v21, s10
	s_xor_b64 exec, exec, s[6:7]
	s_cbranch_execnz .LBB7_3336
.LBB7_1286:
	s_or_b64 exec, exec, s[6:7]
	s_and_saveexec_b64 s[6:7], s[4:5]
	s_cbranch_execz .LBB7_1288
.LBB7_1287:
	v_and_b32_e32 v21, 7, v10
	v_ffbh_u32_e32 v23, v21
	v_min_u32_e32 v23, 32, v23
	v_lshrrev_b16_e32 v22, 3, v10
	v_subrev_u32_e32 v24, 28, v23
	v_and_b32_e32 v22, 15, v22
	v_lshlrev_b32_e32 v24, v24, v10
	v_sub_u32_e32 v23, 29, v23
	v_and_b32_e32 v24, 7, v24
	v_cmp_eq_u16_e32 vcc, 0, v22
	v_cndmask_b32_e32 v21, v21, v24, vcc
	v_cndmask_b32_e32 v22, v22, v23, vcc
	v_lshlrev_b32_e32 v23, 24, v10
	v_mov_b32_e32 v24, 0x3b800000
	v_lshlrev_b32_e32 v21, 20, v21
	v_and_b32_e32 v23, 0x80000000, v23
	v_lshl_add_u32 v22, v22, 23, v24
	v_or3_b32 v21, v23, v22, v21
.LBB7_1288:
	s_or_b64 exec, exec, s[6:7]
	flat_load_dwordx4 a[0:3], v[18:19] offset:720
	s_movk_i32 s4, 0x7f
                                        ; implicit-def: $sgpr10
	s_waitcnt vmcnt(0) lgkmcnt(0)
	v_mfma_f32_16x16x4f32 a[0:3], v20, v21, a[0:3]
	v_lshrrev_b32_e32 v21, 8, v14
	v_cmp_gt_i16_sdwa s[6:7], v21, s4 src0_sel:BYTE_0 src1_sel:DWORD
	s_mov_b64 s[4:5], 0
	s_and_saveexec_b64 s[8:9], s[6:7]
	s_xor_b64 s[6:7], exec, s[8:9]
	s_cbranch_execnz .LBB7_3337
; %bb.1289:
	s_or_saveexec_b64 s[6:7], s[6:7]
	v_mov_b32_e32 v20, s10
	s_xor_b64 exec, exec, s[6:7]
	s_cbranch_execnz .LBB7_3340
.LBB7_1290:
	s_or_b64 exec, exec, s[6:7]
	s_and_saveexec_b64 s[6:7], s[4:5]
	s_cbranch_execz .LBB7_1292
.LBB7_1291:
	v_bfe_u32 v20, v14, 8, 3
	v_ffbh_u32_e32 v23, v20
	v_min_u32_e32 v23, 32, v23
	v_lshrrev_b16_e32 v22, 3, v21
	v_subrev_u32_e32 v24, 28, v23
	v_and_b32_e32 v22, 15, v22
	v_lshlrev_b32_e32 v21, v24, v21
	v_sub_u32_e32 v23, 29, v23
	v_and_b32_e32 v21, 7, v21
	v_cmp_eq_u16_e32 vcc, 0, v22
	v_cndmask_b32_e32 v20, v20, v21, vcc
	v_cndmask_b32_e32 v21, v22, v23, vcc
	v_lshlrev_b32_e32 v22, 16, v14
	v_mov_b32_e32 v23, 0x3b800000
	v_lshlrev_b32_e32 v20, 20, v20
	v_and_b32_e32 v22, 0x80000000, v22
	v_lshl_add_u32 v21, v21, 23, v23
	v_or3_b32 v20, v22, v21, v20
.LBB7_1292:
	s_or_b64 exec, exec, s[6:7]
	v_lshrrev_b32_e32 v21, 8, v10
	s_movk_i32 s4, 0x7f
	v_cmp_gt_i16_sdwa s[6:7], v21, s4 src0_sel:BYTE_0 src1_sel:DWORD
	s_mov_b64 s[4:5], 0
                                        ; implicit-def: $sgpr10
	s_and_saveexec_b64 s[8:9], s[6:7]
	s_xor_b64 s[6:7], exec, s[8:9]
	s_cbranch_execnz .LBB7_3341
; %bb.1293:
	s_or_saveexec_b64 s[6:7], s[6:7]
	v_mov_b32_e32 v22, s10
	s_xor_b64 exec, exec, s[6:7]
	s_cbranch_execnz .LBB7_3344
.LBB7_1294:
	s_or_b64 exec, exec, s[6:7]
	s_and_saveexec_b64 s[6:7], s[4:5]
	s_cbranch_execz .LBB7_1296
.LBB7_1295:
	v_bfe_u32 v22, v10, 8, 3
	v_ffbh_u32_e32 v24, v22
	v_min_u32_e32 v24, 32, v24
	v_lshrrev_b16_e32 v23, 3, v21
	v_subrev_u32_e32 v25, 28, v24
	v_and_b32_e32 v23, 15, v23
	v_lshlrev_b32_e32 v21, v25, v21
	v_sub_u32_e32 v24, 29, v24
	v_and_b32_e32 v21, 7, v21
	v_cmp_eq_u16_e32 vcc, 0, v23
	v_cndmask_b32_e32 v21, v22, v21, vcc
	v_cndmask_b32_e32 v22, v23, v24, vcc
	v_lshlrev_b32_e32 v23, 16, v10
	v_mov_b32_e32 v24, 0x3b800000
	v_lshlrev_b32_e32 v21, 20, v21
	v_and_b32_e32 v23, 0x80000000, v23
	v_lshl_add_u32 v22, v22, 23, v24
	v_or3_b32 v22, v23, v22, v21
.LBB7_1296:
	s_or_b64 exec, exec, s[6:7]
	s_nop 0
	v_mfma_f32_16x16x4f32 a[0:3], v20, v22, a[0:3]
	s_movk_i32 s4, 0xff
	v_and_b32_sdwa v21, v14, s4 dst_sel:DWORD dst_unused:UNUSED_PAD src0_sel:WORD_1 src1_sel:DWORD
	s_movk_i32 s4, 0x7f
	v_cmp_lt_i16_e32 vcc, s4, v21
	s_mov_b64 s[4:5], 0
                                        ; implicit-def: $sgpr10
	s_and_saveexec_b64 s[6:7], vcc
	s_xor_b64 s[6:7], exec, s[6:7]
	s_cbranch_execnz .LBB7_3345
; %bb.1297:
	s_or_saveexec_b64 s[6:7], s[6:7]
	v_mov_b32_e32 v20, s10
	s_xor_b64 exec, exec, s[6:7]
	s_cbranch_execnz .LBB7_3348
.LBB7_1298:
	s_or_b64 exec, exec, s[6:7]
	s_and_saveexec_b64 s[6:7], s[4:5]
	s_cbranch_execz .LBB7_1300
.LBB7_1299:
	v_bfe_u32 v20, v14, 16, 3
	v_ffbh_u32_e32 v23, v20
	v_min_u32_e32 v23, 32, v23
	v_lshrrev_b32_e32 v21, 19, v14
	v_subrev_u32_e32 v24, 28, v23
	v_and_b32_e32 v21, 15, v21
	v_lshlrev_b32_sdwa v24, v24, v14 dst_sel:DWORD dst_unused:UNUSED_PAD src0_sel:DWORD src1_sel:WORD_1
	v_bfe_u32 v22, v14, 19, 4
	v_sub_u32_e32 v23, 29, v23
	v_and_b32_e32 v24, 7, v24
	v_cmp_eq_u16_e32 vcc, 0, v21
	v_cndmask_b32_e32 v20, v20, v24, vcc
	v_cndmask_b32_e32 v21, v22, v23, vcc
	v_lshlrev_b32_e32 v22, 8, v14
	v_mov_b32_e32 v23, 0x3b800000
	v_lshlrev_b32_e32 v20, 20, v20
	v_and_b32_e32 v22, 0x80000000, v22
	v_lshl_add_u32 v21, v21, 23, v23
	v_or3_b32 v20, v22, v21, v20
.LBB7_1300:
	s_or_b64 exec, exec, s[6:7]
	s_movk_i32 s4, 0xff
	v_and_b32_sdwa v21, v10, s4 dst_sel:DWORD dst_unused:UNUSED_PAD src0_sel:WORD_1 src1_sel:DWORD
	s_movk_i32 s4, 0x7f
	v_cmp_lt_i16_e32 vcc, s4, v21
	s_mov_b64 s[4:5], 0
                                        ; implicit-def: $sgpr10
	s_and_saveexec_b64 s[6:7], vcc
	s_xor_b64 s[6:7], exec, s[6:7]
	s_cbranch_execnz .LBB7_3349
; %bb.1301:
	s_or_saveexec_b64 s[6:7], s[6:7]
	v_mov_b32_e32 v22, s10
	s_xor_b64 exec, exec, s[6:7]
	s_cbranch_execnz .LBB7_3352
.LBB7_1302:
	s_or_b64 exec, exec, s[6:7]
	s_and_saveexec_b64 s[6:7], s[4:5]
	s_cbranch_execz .LBB7_1304
.LBB7_1303:
	v_bfe_u32 v21, v10, 16, 3
	v_ffbh_u32_e32 v24, v21
	v_min_u32_e32 v24, 32, v24
	v_lshrrev_b32_e32 v22, 19, v10
	v_subrev_u32_e32 v25, 28, v24
	v_and_b32_e32 v22, 15, v22
	v_lshlrev_b32_sdwa v25, v25, v10 dst_sel:DWORD dst_unused:UNUSED_PAD src0_sel:DWORD src1_sel:WORD_1
	v_bfe_u32 v23, v10, 19, 4
	v_sub_u32_e32 v24, 29, v24
	v_and_b32_e32 v25, 7, v25
	v_cmp_eq_u16_e32 vcc, 0, v22
	v_cndmask_b32_e32 v21, v21, v25, vcc
	v_cndmask_b32_e32 v22, v23, v24, vcc
	v_lshlrev_b32_e32 v23, 8, v10
	v_mov_b32_e32 v24, 0x3b800000
	v_lshlrev_b32_e32 v21, 20, v21
	v_and_b32_e32 v23, 0x80000000, v23
	v_lshl_add_u32 v22, v22, 23, v24
	v_or3_b32 v22, v23, v22, v21
.LBB7_1304:
	s_or_b64 exec, exec, s[6:7]
	s_nop 0
	v_mfma_f32_16x16x4f32 a[0:3], v20, v22, a[0:3]
	s_movk_i32 s4, 0x7f
	v_cmp_gt_i16_sdwa s[6:7], v14, s4 src0_sel:BYTE_3 src1_sel:DWORD
	s_mov_b64 s[4:5], 0
                                        ; implicit-def: $sgpr10
	s_and_saveexec_b64 s[8:9], s[6:7]
	s_xor_b64 s[6:7], exec, s[8:9]
	s_cbranch_execnz .LBB7_3353
; %bb.1305:
	s_or_saveexec_b64 s[6:7], s[6:7]
	v_mov_b32_e32 v20, s10
	s_xor_b64 exec, exec, s[6:7]
	s_cbranch_execnz .LBB7_3356
.LBB7_1306:
	s_or_b64 exec, exec, s[6:7]
	s_and_saveexec_b64 s[6:7], s[4:5]
	s_cbranch_execz .LBB7_1308
.LBB7_1307:
	v_bfe_u32 v20, v14, 24, 3
	v_ffbh_u32_e32 v24, v20
	v_min_u32_e32 v24, 32, v24
	v_lshrrev_b32_e32 v22, 27, v14
	v_subrev_u32_e32 v25, 28, v24
	v_and_b32_e32 v21, 0x80000000, v14
	v_and_b32_e32 v22, 15, v22
	v_bfe_u32 v23, v14, 27, 4
	v_lshlrev_b32_sdwa v14, v25, v14 dst_sel:DWORD dst_unused:UNUSED_PAD src0_sel:DWORD src1_sel:BYTE_3
	v_sub_u32_e32 v24, 29, v24
	v_and_b32_e32 v14, 7, v14
	v_cmp_eq_u16_e32 vcc, 0, v22
	v_cndmask_b32_e32 v14, v20, v14, vcc
	v_cndmask_b32_e32 v20, v23, v24, vcc
	v_mov_b32_e32 v22, 0x3b800000
	v_lshlrev_b32_e32 v14, 20, v14
	v_lshl_add_u32 v20, v20, 23, v22
	v_or3_b32 v20, v21, v20, v14
.LBB7_1308:
	s_or_b64 exec, exec, s[6:7]
	s_movk_i32 s4, 0x7f
	v_cmp_gt_i16_sdwa s[6:7], v10, s4 src0_sel:BYTE_3 src1_sel:DWORD
	s_mov_b64 s[4:5], 0
                                        ; implicit-def: $sgpr10
	s_and_saveexec_b64 s[8:9], s[6:7]
	s_xor_b64 s[6:7], exec, s[8:9]
	s_cbranch_execnz .LBB7_3357
; %bb.1309:
	s_or_saveexec_b64 s[6:7], s[6:7]
	v_mov_b32_e32 v14, s10
	s_xor_b64 exec, exec, s[6:7]
	s_cbranch_execnz .LBB7_3360
.LBB7_1310:
	s_or_b64 exec, exec, s[6:7]
	s_and_saveexec_b64 s[6:7], s[4:5]
	s_cbranch_execz .LBB7_1312
.LBB7_1311:
	v_bfe_u32 v14, v10, 24, 3
	v_ffbh_u32_e32 v24, v14
	v_min_u32_e32 v24, 32, v24
	v_lshrrev_b32_e32 v22, 27, v10
	v_subrev_u32_e32 v25, 28, v24
	v_and_b32_e32 v21, 0x80000000, v10
	v_and_b32_e32 v22, 15, v22
	v_bfe_u32 v23, v10, 27, 4
	v_lshlrev_b32_sdwa v10, v25, v10 dst_sel:DWORD dst_unused:UNUSED_PAD src0_sel:DWORD src1_sel:BYTE_3
	v_sub_u32_e32 v24, 29, v24
	v_and_b32_e32 v10, 7, v10
	v_cmp_eq_u16_e32 vcc, 0, v22
	v_cndmask_b32_e32 v10, v14, v10, vcc
	v_cndmask_b32_e32 v14, v23, v24, vcc
	v_mov_b32_e32 v22, 0x3b800000
	v_lshlrev_b32_e32 v10, 20, v10
	v_lshl_add_u32 v14, v14, 23, v22
	v_or3_b32 v14, v21, v14, v10
.LBB7_1312:
	s_or_b64 exec, exec, s[6:7]
	s_nop 0
	v_mfma_f32_16x16x4f32 a[0:3], v20, v14, a[0:3]
	s_movk_i32 s4, 0x7f
	v_cmp_gt_i16_sdwa s[6:7], v15, s4 src0_sel:BYTE_0 src1_sel:DWORD
	s_mov_b64 s[4:5], 0
                                        ; implicit-def: $sgpr10
	s_and_saveexec_b64 s[8:9], s[6:7]
	s_xor_b64 s[6:7], exec, s[8:9]
	s_cbranch_execnz .LBB7_3361
; %bb.1313:
	s_or_saveexec_b64 s[6:7], s[6:7]
	v_mov_b32_e32 v10, s10
	s_xor_b64 exec, exec, s[6:7]
	s_cbranch_execnz .LBB7_3364
.LBB7_1314:
	s_or_b64 exec, exec, s[6:7]
	s_and_saveexec_b64 s[6:7], s[4:5]
	s_cbranch_execz .LBB7_1316
.LBB7_1315:
	v_and_b32_e32 v10, 7, v15
	v_ffbh_u32_e32 v20, v10
	v_min_u32_e32 v20, 32, v20
	v_lshrrev_b16_e32 v14, 3, v15
	v_subrev_u32_e32 v21, 28, v20
	v_and_b32_e32 v14, 15, v14
	v_lshlrev_b32_e32 v21, v21, v15
	v_sub_u32_e32 v20, 29, v20
	v_and_b32_e32 v21, 7, v21
	v_cmp_eq_u16_e32 vcc, 0, v14
	v_cndmask_b32_e32 v10, v10, v21, vcc
	v_cndmask_b32_e32 v14, v14, v20, vcc
	v_lshlrev_b32_e32 v20, 24, v15
	v_mov_b32_e32 v21, 0x3b800000
	v_lshlrev_b32_e32 v10, 20, v10
	v_and_b32_e32 v20, 0x80000000, v20
	v_lshl_add_u32 v14, v14, 23, v21
	v_or3_b32 v10, v20, v14, v10
.LBB7_1316:
	s_or_b64 exec, exec, s[6:7]
	s_movk_i32 s4, 0x7f
	v_cmp_gt_i16_sdwa s[6:7], v11, s4 src0_sel:BYTE_0 src1_sel:DWORD
	s_mov_b64 s[4:5], 0
                                        ; implicit-def: $sgpr10
	s_and_saveexec_b64 s[8:9], s[6:7]
	s_xor_b64 s[6:7], exec, s[8:9]
	s_cbranch_execnz .LBB7_3365
; %bb.1317:
	s_or_saveexec_b64 s[6:7], s[6:7]
	v_mov_b32_e32 v14, s10
	s_xor_b64 exec, exec, s[6:7]
	s_cbranch_execnz .LBB7_3368
.LBB7_1318:
	s_or_b64 exec, exec, s[6:7]
	s_and_saveexec_b64 s[6:7], s[4:5]
	s_cbranch_execz .LBB7_1320
.LBB7_1319:
	v_and_b32_e32 v14, 7, v11
	v_ffbh_u32_e32 v21, v14
	v_min_u32_e32 v21, 32, v21
	v_lshrrev_b16_e32 v20, 3, v11
	v_subrev_u32_e32 v22, 28, v21
	v_and_b32_e32 v20, 15, v20
	v_lshlrev_b32_e32 v22, v22, v11
	v_sub_u32_e32 v21, 29, v21
	v_and_b32_e32 v22, 7, v22
	v_cmp_eq_u16_e32 vcc, 0, v20
	v_cndmask_b32_e32 v14, v14, v22, vcc
	v_cndmask_b32_e32 v20, v20, v21, vcc
	v_lshlrev_b32_e32 v21, 24, v11
	v_mov_b32_e32 v22, 0x3b800000
	v_lshlrev_b32_e32 v14, 20, v14
	v_and_b32_e32 v21, 0x80000000, v21
	v_lshl_add_u32 v20, v20, 23, v22
	v_or3_b32 v14, v21, v20, v14
.LBB7_1320:
	s_or_b64 exec, exec, s[6:7]
	s_nop 0
	v_mfma_f32_16x16x4f32 a[0:3], v10, v14, a[0:3]
	v_lshrrev_b32_e32 v14, 8, v15
	s_movk_i32 s4, 0x7f
	v_cmp_gt_i16_sdwa s[6:7], v14, s4 src0_sel:BYTE_0 src1_sel:DWORD
	s_mov_b64 s[4:5], 0
                                        ; implicit-def: $sgpr10
	s_and_saveexec_b64 s[8:9], s[6:7]
	s_xor_b64 s[6:7], exec, s[8:9]
	s_cbranch_execnz .LBB7_3369
; %bb.1321:
	s_or_saveexec_b64 s[6:7], s[6:7]
	v_mov_b32_e32 v10, s10
	s_xor_b64 exec, exec, s[6:7]
	s_cbranch_execnz .LBB7_3372
.LBB7_1322:
	s_or_b64 exec, exec, s[6:7]
	s_and_saveexec_b64 s[6:7], s[4:5]
	s_cbranch_execz .LBB7_1324
.LBB7_1323:
	v_bfe_u32 v10, v15, 8, 3
	v_ffbh_u32_e32 v21, v10
	v_min_u32_e32 v21, 32, v21
	v_lshrrev_b16_e32 v20, 3, v14
	v_subrev_u32_e32 v22, 28, v21
	v_and_b32_e32 v20, 15, v20
	v_lshlrev_b32_e32 v14, v22, v14
	v_sub_u32_e32 v21, 29, v21
	v_and_b32_e32 v14, 7, v14
	v_cmp_eq_u16_e32 vcc, 0, v20
	v_cndmask_b32_e32 v10, v10, v14, vcc
	v_cndmask_b32_e32 v14, v20, v21, vcc
	v_lshlrev_b32_e32 v20, 16, v15
	v_mov_b32_e32 v21, 0x3b800000
	v_lshlrev_b32_e32 v10, 20, v10
	v_and_b32_e32 v20, 0x80000000, v20
	v_lshl_add_u32 v14, v14, 23, v21
	v_or3_b32 v10, v20, v14, v10
.LBB7_1324:
	s_or_b64 exec, exec, s[6:7]
	v_lshrrev_b32_e32 v14, 8, v11
	s_movk_i32 s4, 0x7f
	v_cmp_gt_i16_sdwa s[6:7], v14, s4 src0_sel:BYTE_0 src1_sel:DWORD
	s_mov_b64 s[4:5], 0
                                        ; implicit-def: $sgpr10
	s_and_saveexec_b64 s[8:9], s[6:7]
	s_xor_b64 s[6:7], exec, s[8:9]
	s_cbranch_execnz .LBB7_3373
; %bb.1325:
	s_or_saveexec_b64 s[6:7], s[6:7]
	v_mov_b32_e32 v20, s10
	s_xor_b64 exec, exec, s[6:7]
	s_cbranch_execnz .LBB7_3376
.LBB7_1326:
	s_or_b64 exec, exec, s[6:7]
	s_and_saveexec_b64 s[6:7], s[4:5]
	s_cbranch_execz .LBB7_1328
.LBB7_1327:
	v_bfe_u32 v20, v11, 8, 3
	v_ffbh_u32_e32 v22, v20
	v_min_u32_e32 v22, 32, v22
	v_lshrrev_b16_e32 v21, 3, v14
	v_subrev_u32_e32 v23, 28, v22
	v_and_b32_e32 v21, 15, v21
	v_lshlrev_b32_e32 v14, v23, v14
	v_sub_u32_e32 v22, 29, v22
	v_and_b32_e32 v14, 7, v14
	v_cmp_eq_u16_e32 vcc, 0, v21
	v_cndmask_b32_e32 v14, v20, v14, vcc
	v_cndmask_b32_e32 v20, v21, v22, vcc
	v_lshlrev_b32_e32 v21, 16, v11
	v_mov_b32_e32 v22, 0x3b800000
	v_lshlrev_b32_e32 v14, 20, v14
	v_and_b32_e32 v21, 0x80000000, v21
	v_lshl_add_u32 v20, v20, 23, v22
	v_or3_b32 v20, v21, v20, v14
.LBB7_1328:
	s_or_b64 exec, exec, s[6:7]
	s_nop 0
	v_mfma_f32_16x16x4f32 a[0:3], v10, v20, a[0:3]
	s_movk_i32 s4, 0xff
	v_and_b32_sdwa v14, v15, s4 dst_sel:DWORD dst_unused:UNUSED_PAD src0_sel:WORD_1 src1_sel:DWORD
	s_movk_i32 s4, 0x7f
	v_cmp_lt_i16_e32 vcc, s4, v14
	s_mov_b64 s[4:5], 0
                                        ; implicit-def: $sgpr10
	s_and_saveexec_b64 s[6:7], vcc
	s_xor_b64 s[6:7], exec, s[6:7]
	s_cbranch_execnz .LBB7_3377
; %bb.1329:
	s_or_saveexec_b64 s[6:7], s[6:7]
	v_mov_b32_e32 v10, s10
	s_xor_b64 exec, exec, s[6:7]
	s_cbranch_execnz .LBB7_3380
.LBB7_1330:
	s_or_b64 exec, exec, s[6:7]
	s_and_saveexec_b64 s[6:7], s[4:5]
	s_cbranch_execz .LBB7_1332
.LBB7_1331:
	v_bfe_u32 v10, v15, 16, 3
	v_ffbh_u32_e32 v21, v10
	v_min_u32_e32 v21, 32, v21
	v_lshrrev_b32_e32 v14, 19, v15
	v_subrev_u32_e32 v22, 28, v21
	v_and_b32_e32 v14, 15, v14
	v_lshlrev_b32_sdwa v22, v22, v15 dst_sel:DWORD dst_unused:UNUSED_PAD src0_sel:DWORD src1_sel:WORD_1
	v_bfe_u32 v20, v15, 19, 4
	v_sub_u32_e32 v21, 29, v21
	v_and_b32_e32 v22, 7, v22
	v_cmp_eq_u16_e32 vcc, 0, v14
	v_cndmask_b32_e32 v10, v10, v22, vcc
	v_cndmask_b32_e32 v14, v20, v21, vcc
	v_lshlrev_b32_e32 v20, 8, v15
	v_mov_b32_e32 v21, 0x3b800000
	v_lshlrev_b32_e32 v10, 20, v10
	v_and_b32_e32 v20, 0x80000000, v20
	v_lshl_add_u32 v14, v14, 23, v21
	v_or3_b32 v10, v20, v14, v10
.LBB7_1332:
	s_or_b64 exec, exec, s[6:7]
	s_movk_i32 s4, 0xff
	v_and_b32_sdwa v14, v11, s4 dst_sel:DWORD dst_unused:UNUSED_PAD src0_sel:WORD_1 src1_sel:DWORD
	s_movk_i32 s4, 0x7f
	v_cmp_lt_i16_e32 vcc, s4, v14
	s_mov_b64 s[4:5], 0
                                        ; implicit-def: $sgpr10
	s_and_saveexec_b64 s[6:7], vcc
	s_xor_b64 s[6:7], exec, s[6:7]
	s_cbranch_execnz .LBB7_3381
; %bb.1333:
	s_or_saveexec_b64 s[6:7], s[6:7]
	v_mov_b32_e32 v20, s10
	s_xor_b64 exec, exec, s[6:7]
	s_cbranch_execnz .LBB7_3384
.LBB7_1334:
	s_or_b64 exec, exec, s[6:7]
	s_and_saveexec_b64 s[6:7], s[4:5]
	s_cbranch_execz .LBB7_1336
.LBB7_1335:
	v_bfe_u32 v14, v11, 16, 3
	v_ffbh_u32_e32 v22, v14
	v_min_u32_e32 v22, 32, v22
	v_lshrrev_b32_e32 v20, 19, v11
	v_subrev_u32_e32 v23, 28, v22
	v_and_b32_e32 v20, 15, v20
	v_lshlrev_b32_sdwa v23, v23, v11 dst_sel:DWORD dst_unused:UNUSED_PAD src0_sel:DWORD src1_sel:WORD_1
	v_bfe_u32 v21, v11, 19, 4
	v_sub_u32_e32 v22, 29, v22
	v_and_b32_e32 v23, 7, v23
	v_cmp_eq_u16_e32 vcc, 0, v20
	v_cndmask_b32_e32 v14, v14, v23, vcc
	v_cndmask_b32_e32 v20, v21, v22, vcc
	v_lshlrev_b32_e32 v21, 8, v11
	v_mov_b32_e32 v22, 0x3b800000
	v_lshlrev_b32_e32 v14, 20, v14
	v_and_b32_e32 v21, 0x80000000, v21
	v_lshl_add_u32 v20, v20, 23, v22
	v_or3_b32 v20, v21, v20, v14
.LBB7_1336:
	s_or_b64 exec, exec, s[6:7]
	s_nop 0
	v_mfma_f32_16x16x4f32 a[0:3], v10, v20, a[0:3]
	s_movk_i32 s4, 0x7f
	v_cmp_gt_i16_sdwa s[6:7], v15, s4 src0_sel:BYTE_3 src1_sel:DWORD
	s_mov_b64 s[4:5], 0
                                        ; implicit-def: $sgpr10
	s_and_saveexec_b64 s[8:9], s[6:7]
	s_xor_b64 s[6:7], exec, s[8:9]
	s_cbranch_execnz .LBB7_3385
; %bb.1337:
	s_or_saveexec_b64 s[6:7], s[6:7]
	v_mov_b32_e32 v10, s10
	s_xor_b64 exec, exec, s[6:7]
	s_cbranch_execnz .LBB7_3388
.LBB7_1338:
	s_or_b64 exec, exec, s[6:7]
	s_and_saveexec_b64 s[6:7], s[4:5]
	s_cbranch_execz .LBB7_1340
.LBB7_1339:
	v_bfe_u32 v10, v15, 24, 3
	v_ffbh_u32_e32 v22, v10
	v_min_u32_e32 v22, 32, v22
	v_lshrrev_b32_e32 v20, 27, v15
	v_subrev_u32_e32 v23, 28, v22
	v_and_b32_e32 v14, 0x80000000, v15
	v_and_b32_e32 v20, 15, v20
	v_bfe_u32 v21, v15, 27, 4
	v_lshlrev_b32_sdwa v15, v23, v15 dst_sel:DWORD dst_unused:UNUSED_PAD src0_sel:DWORD src1_sel:BYTE_3
	v_sub_u32_e32 v22, 29, v22
	v_and_b32_e32 v15, 7, v15
	v_cmp_eq_u16_e32 vcc, 0, v20
	v_cndmask_b32_e32 v10, v10, v15, vcc
	v_cndmask_b32_e32 v15, v21, v22, vcc
	v_mov_b32_e32 v20, 0x3b800000
	v_lshlrev_b32_e32 v10, 20, v10
	v_lshl_add_u32 v15, v15, 23, v20
	v_or3_b32 v10, v14, v15, v10
.LBB7_1340:
	s_or_b64 exec, exec, s[6:7]
	s_movk_i32 s4, 0x7f
	v_cmp_gt_i16_sdwa s[6:7], v11, s4 src0_sel:BYTE_3 src1_sel:DWORD
	s_mov_b64 s[4:5], 0
                                        ; implicit-def: $sgpr10
	s_and_saveexec_b64 s[8:9], s[6:7]
	s_xor_b64 s[6:7], exec, s[8:9]
	s_cbranch_execnz .LBB7_3389
; %bb.1341:
	s_or_saveexec_b64 s[6:7], s[6:7]
	v_mov_b32_e32 v14, s10
	s_xor_b64 exec, exec, s[6:7]
	s_cbranch_execnz .LBB7_3392
.LBB7_1342:
	s_or_b64 exec, exec, s[6:7]
	s_and_saveexec_b64 s[6:7], s[4:5]
	s_cbranch_execz .LBB7_1344
.LBB7_1343:
	v_bfe_u32 v14, v11, 24, 3
	v_ffbh_u32_e32 v22, v14
	v_min_u32_e32 v22, 32, v22
	v_lshrrev_b32_e32 v20, 27, v11
	v_subrev_u32_e32 v23, 28, v22
	v_and_b32_e32 v15, 0x80000000, v11
	v_and_b32_e32 v20, 15, v20
	v_bfe_u32 v21, v11, 27, 4
	v_lshlrev_b32_sdwa v11, v23, v11 dst_sel:DWORD dst_unused:UNUSED_PAD src0_sel:DWORD src1_sel:BYTE_3
	v_sub_u32_e32 v22, 29, v22
	v_and_b32_e32 v11, 7, v11
	v_cmp_eq_u16_e32 vcc, 0, v20
	v_cndmask_b32_e32 v11, v14, v11, vcc
	v_cndmask_b32_e32 v14, v21, v22, vcc
	v_mov_b32_e32 v20, 0x3b800000
	v_lshlrev_b32_e32 v11, 20, v11
	v_lshl_add_u32 v14, v14, 23, v20
	v_or3_b32 v14, v15, v14, v11
.LBB7_1344:
	s_or_b64 exec, exec, s[6:7]
	s_nop 0
	v_mfma_f32_16x16x4f32 a[0:3], v10, v14, a[0:3]
	s_movk_i32 s4, 0x7f
	v_cmp_gt_i16_sdwa s[6:7], v16, s4 src0_sel:BYTE_0 src1_sel:DWORD
	s_mov_b64 s[4:5], 0
                                        ; implicit-def: $sgpr10
	s_and_saveexec_b64 s[8:9], s[6:7]
	s_xor_b64 s[6:7], exec, s[8:9]
	s_cbranch_execnz .LBB7_3393
; %bb.1345:
	s_or_saveexec_b64 s[6:7], s[6:7]
	v_mov_b32_e32 v10, s10
	s_xor_b64 exec, exec, s[6:7]
	s_cbranch_execnz .LBB7_3396
.LBB7_1346:
	s_or_b64 exec, exec, s[6:7]
	s_and_saveexec_b64 s[6:7], s[4:5]
	s_cbranch_execz .LBB7_1348
.LBB7_1347:
	v_and_b32_e32 v10, 7, v16
	v_ffbh_u32_e32 v14, v10
	v_min_u32_e32 v14, 32, v14
	v_lshrrev_b16_e32 v11, 3, v16
	v_subrev_u32_e32 v15, 28, v14
	v_and_b32_e32 v11, 15, v11
	v_lshlrev_b32_e32 v15, v15, v16
	v_sub_u32_e32 v14, 29, v14
	v_and_b32_e32 v15, 7, v15
	v_cmp_eq_u16_e32 vcc, 0, v11
	v_cndmask_b32_e32 v10, v10, v15, vcc
	v_cndmask_b32_e32 v11, v11, v14, vcc
	v_lshlrev_b32_e32 v14, 24, v16
	v_mov_b32_e32 v15, 0x3b800000
	v_lshlrev_b32_e32 v10, 20, v10
	v_and_b32_e32 v14, 0x80000000, v14
	v_lshl_add_u32 v11, v11, 23, v15
	v_or3_b32 v10, v14, v11, v10
.LBB7_1348:
	s_or_b64 exec, exec, s[6:7]
	s_movk_i32 s4, 0x7f
	v_cmp_gt_i16_sdwa s[6:7], v12, s4 src0_sel:BYTE_0 src1_sel:DWORD
	s_mov_b64 s[4:5], 0
                                        ; implicit-def: $sgpr10
	s_and_saveexec_b64 s[8:9], s[6:7]
	s_xor_b64 s[6:7], exec, s[8:9]
	s_cbranch_execnz .LBB7_3397
; %bb.1349:
	s_or_saveexec_b64 s[6:7], s[6:7]
	v_mov_b32_e32 v11, s10
	s_xor_b64 exec, exec, s[6:7]
	s_cbranch_execnz .LBB7_3400
.LBB7_1350:
	s_or_b64 exec, exec, s[6:7]
	s_and_saveexec_b64 s[6:7], s[4:5]
	s_cbranch_execz .LBB7_1352
.LBB7_1351:
	v_and_b32_e32 v11, 7, v12
	v_ffbh_u32_e32 v15, v11
	v_min_u32_e32 v15, 32, v15
	v_lshrrev_b16_e32 v14, 3, v12
	v_subrev_u32_e32 v20, 28, v15
	v_and_b32_e32 v14, 15, v14
	v_lshlrev_b32_e32 v20, v20, v12
	v_sub_u32_e32 v15, 29, v15
	v_and_b32_e32 v20, 7, v20
	v_cmp_eq_u16_e32 vcc, 0, v14
	v_cndmask_b32_e32 v11, v11, v20, vcc
	v_cndmask_b32_e32 v14, v14, v15, vcc
	v_lshlrev_b32_e32 v15, 24, v12
	v_mov_b32_e32 v20, 0x3b800000
	v_lshlrev_b32_e32 v11, 20, v11
	v_and_b32_e32 v15, 0x80000000, v15
	v_lshl_add_u32 v14, v14, 23, v20
	v_or3_b32 v11, v15, v14, v11
.LBB7_1352:
	s_or_b64 exec, exec, s[6:7]
	s_nop 0
	v_mfma_f32_16x16x4f32 a[0:3], v10, v11, a[0:3]
	v_lshrrev_b32_e32 v11, 8, v16
	s_movk_i32 s4, 0x7f
	v_cmp_gt_i16_sdwa s[6:7], v11, s4 src0_sel:BYTE_0 src1_sel:DWORD
	s_mov_b64 s[4:5], 0
                                        ; implicit-def: $sgpr10
	s_and_saveexec_b64 s[8:9], s[6:7]
	s_xor_b64 s[6:7], exec, s[8:9]
	s_cbranch_execnz .LBB7_3401
; %bb.1353:
	s_or_saveexec_b64 s[6:7], s[6:7]
	v_mov_b32_e32 v10, s10
	s_xor_b64 exec, exec, s[6:7]
	s_cbranch_execnz .LBB7_3404
.LBB7_1354:
	s_or_b64 exec, exec, s[6:7]
	s_and_saveexec_b64 s[6:7], s[4:5]
	s_cbranch_execz .LBB7_1356
.LBB7_1355:
	v_bfe_u32 v10, v16, 8, 3
	v_ffbh_u32_e32 v15, v10
	v_min_u32_e32 v15, 32, v15
	v_lshrrev_b16_e32 v14, 3, v11
	v_subrev_u32_e32 v20, 28, v15
	v_and_b32_e32 v14, 15, v14
	v_lshlrev_b32_e32 v11, v20, v11
	v_sub_u32_e32 v15, 29, v15
	v_and_b32_e32 v11, 7, v11
	v_cmp_eq_u16_e32 vcc, 0, v14
	v_cndmask_b32_e32 v10, v10, v11, vcc
	v_cndmask_b32_e32 v11, v14, v15, vcc
	v_lshlrev_b32_e32 v14, 16, v16
	v_mov_b32_e32 v15, 0x3b800000
	v_lshlrev_b32_e32 v10, 20, v10
	v_and_b32_e32 v14, 0x80000000, v14
	v_lshl_add_u32 v11, v11, 23, v15
	v_or3_b32 v10, v14, v11, v10
.LBB7_1356:
	s_or_b64 exec, exec, s[6:7]
	v_lshrrev_b32_e32 v11, 8, v12
	s_movk_i32 s4, 0x7f
	v_cmp_gt_i16_sdwa s[6:7], v11, s4 src0_sel:BYTE_0 src1_sel:DWORD
	s_mov_b64 s[4:5], 0
                                        ; implicit-def: $sgpr10
	s_and_saveexec_b64 s[8:9], s[6:7]
	s_xor_b64 s[6:7], exec, s[8:9]
	s_cbranch_execnz .LBB7_3405
; %bb.1357:
	s_or_saveexec_b64 s[6:7], s[6:7]
	v_mov_b32_e32 v14, s10
	s_xor_b64 exec, exec, s[6:7]
	s_cbranch_execnz .LBB7_3408
.LBB7_1358:
	s_or_b64 exec, exec, s[6:7]
	s_and_saveexec_b64 s[6:7], s[4:5]
	s_cbranch_execz .LBB7_1360
.LBB7_1359:
	v_bfe_u32 v14, v12, 8, 3
	v_ffbh_u32_e32 v20, v14
	v_min_u32_e32 v20, 32, v20
	v_lshrrev_b16_e32 v15, 3, v11
	v_subrev_u32_e32 v21, 28, v20
	v_and_b32_e32 v15, 15, v15
	v_lshlrev_b32_e32 v11, v21, v11
	v_sub_u32_e32 v20, 29, v20
	v_and_b32_e32 v11, 7, v11
	v_cmp_eq_u16_e32 vcc, 0, v15
	v_cndmask_b32_e32 v11, v14, v11, vcc
	v_cndmask_b32_e32 v14, v15, v20, vcc
	v_lshlrev_b32_e32 v15, 16, v12
	v_mov_b32_e32 v20, 0x3b800000
	v_lshlrev_b32_e32 v11, 20, v11
	v_and_b32_e32 v15, 0x80000000, v15
	v_lshl_add_u32 v14, v14, 23, v20
	v_or3_b32 v14, v15, v14, v11
.LBB7_1360:
	s_or_b64 exec, exec, s[6:7]
	s_nop 0
	v_mfma_f32_16x16x4f32 a[0:3], v10, v14, a[0:3]
	s_movk_i32 s4, 0xff
	v_and_b32_sdwa v11, v16, s4 dst_sel:DWORD dst_unused:UNUSED_PAD src0_sel:WORD_1 src1_sel:DWORD
	s_movk_i32 s4, 0x7f
	v_cmp_lt_i16_e32 vcc, s4, v11
	s_mov_b64 s[4:5], 0
                                        ; implicit-def: $sgpr10
	s_and_saveexec_b64 s[6:7], vcc
	s_xor_b64 s[6:7], exec, s[6:7]
	s_cbranch_execnz .LBB7_3409
; %bb.1361:
	s_or_saveexec_b64 s[6:7], s[6:7]
	v_mov_b32_e32 v10, s10
	s_xor_b64 exec, exec, s[6:7]
	s_cbranch_execnz .LBB7_3412
.LBB7_1362:
	s_or_b64 exec, exec, s[6:7]
	s_and_saveexec_b64 s[6:7], s[4:5]
	s_cbranch_execz .LBB7_1364
.LBB7_1363:
	v_bfe_u32 v10, v16, 16, 3
	v_ffbh_u32_e32 v15, v10
	v_min_u32_e32 v15, 32, v15
	v_lshrrev_b32_e32 v11, 19, v16
	v_subrev_u32_e32 v20, 28, v15
	v_and_b32_e32 v11, 15, v11
	v_lshlrev_b32_sdwa v20, v20, v16 dst_sel:DWORD dst_unused:UNUSED_PAD src0_sel:DWORD src1_sel:WORD_1
	v_bfe_u32 v14, v16, 19, 4
	v_sub_u32_e32 v15, 29, v15
	v_and_b32_e32 v20, 7, v20
	v_cmp_eq_u16_e32 vcc, 0, v11
	v_cndmask_b32_e32 v10, v10, v20, vcc
	v_cndmask_b32_e32 v11, v14, v15, vcc
	v_lshlrev_b32_e32 v14, 8, v16
	v_mov_b32_e32 v15, 0x3b800000
	v_lshlrev_b32_e32 v10, 20, v10
	v_and_b32_e32 v14, 0x80000000, v14
	v_lshl_add_u32 v11, v11, 23, v15
	v_or3_b32 v10, v14, v11, v10
.LBB7_1364:
	s_or_b64 exec, exec, s[6:7]
	s_movk_i32 s4, 0xff
	v_and_b32_sdwa v11, v12, s4 dst_sel:DWORD dst_unused:UNUSED_PAD src0_sel:WORD_1 src1_sel:DWORD
	s_movk_i32 s4, 0x7f
	v_cmp_lt_i16_e32 vcc, s4, v11
	s_mov_b64 s[4:5], 0
                                        ; implicit-def: $sgpr10
	s_and_saveexec_b64 s[6:7], vcc
	s_xor_b64 s[6:7], exec, s[6:7]
	s_cbranch_execnz .LBB7_3413
; %bb.1365:
	s_or_saveexec_b64 s[6:7], s[6:7]
	v_mov_b32_e32 v14, s10
	s_xor_b64 exec, exec, s[6:7]
	s_cbranch_execnz .LBB7_3416
.LBB7_1366:
	s_or_b64 exec, exec, s[6:7]
	s_and_saveexec_b64 s[6:7], s[4:5]
	s_cbranch_execz .LBB7_1368
.LBB7_1367:
	v_bfe_u32 v11, v12, 16, 3
	v_ffbh_u32_e32 v20, v11
	v_min_u32_e32 v20, 32, v20
	v_lshrrev_b32_e32 v14, 19, v12
	v_subrev_u32_e32 v21, 28, v20
	v_and_b32_e32 v14, 15, v14
	v_lshlrev_b32_sdwa v21, v21, v12 dst_sel:DWORD dst_unused:UNUSED_PAD src0_sel:DWORD src1_sel:WORD_1
	v_bfe_u32 v15, v12, 19, 4
	v_sub_u32_e32 v20, 29, v20
	v_and_b32_e32 v21, 7, v21
	v_cmp_eq_u16_e32 vcc, 0, v14
	v_cndmask_b32_e32 v11, v11, v21, vcc
	v_cndmask_b32_e32 v14, v15, v20, vcc
	v_lshlrev_b32_e32 v15, 8, v12
	v_mov_b32_e32 v20, 0x3b800000
	v_lshlrev_b32_e32 v11, 20, v11
	v_and_b32_e32 v15, 0x80000000, v15
	v_lshl_add_u32 v14, v14, 23, v20
	v_or3_b32 v14, v15, v14, v11
.LBB7_1368:
	s_or_b64 exec, exec, s[6:7]
	s_nop 0
	v_mfma_f32_16x16x4f32 a[0:3], v10, v14, a[0:3]
	s_movk_i32 s4, 0x7f
	v_cmp_gt_i16_sdwa s[6:7], v16, s4 src0_sel:BYTE_3 src1_sel:DWORD
	s_mov_b64 s[4:5], 0
                                        ; implicit-def: $sgpr10
	s_and_saveexec_b64 s[8:9], s[6:7]
	s_xor_b64 s[6:7], exec, s[8:9]
	s_cbranch_execnz .LBB7_3417
; %bb.1369:
	s_or_saveexec_b64 s[6:7], s[6:7]
	v_mov_b32_e32 v10, s10
	s_xor_b64 exec, exec, s[6:7]
	s_cbranch_execnz .LBB7_3420
.LBB7_1370:
	s_or_b64 exec, exec, s[6:7]
	s_and_saveexec_b64 s[6:7], s[4:5]
	s_cbranch_execz .LBB7_1372
.LBB7_1371:
	v_bfe_u32 v10, v16, 24, 3
	v_ffbh_u32_e32 v20, v10
	v_min_u32_e32 v20, 32, v20
	v_lshrrev_b32_e32 v14, 27, v16
	v_subrev_u32_e32 v21, 28, v20
	v_and_b32_e32 v11, 0x80000000, v16
	v_and_b32_e32 v14, 15, v14
	v_bfe_u32 v15, v16, 27, 4
	v_lshlrev_b32_sdwa v16, v21, v16 dst_sel:DWORD dst_unused:UNUSED_PAD src0_sel:DWORD src1_sel:BYTE_3
	v_sub_u32_e32 v20, 29, v20
	v_and_b32_e32 v16, 7, v16
	v_cmp_eq_u16_e32 vcc, 0, v14
	v_cndmask_b32_e32 v10, v10, v16, vcc
	v_cndmask_b32_e32 v14, v15, v20, vcc
	v_mov_b32_e32 v15, 0x3b800000
	v_lshlrev_b32_e32 v10, 20, v10
	v_lshl_add_u32 v14, v14, 23, v15
	v_or3_b32 v10, v11, v14, v10
.LBB7_1372:
	s_or_b64 exec, exec, s[6:7]
	s_movk_i32 s4, 0x7f
	v_cmp_gt_i16_sdwa s[6:7], v12, s4 src0_sel:BYTE_3 src1_sel:DWORD
	s_mov_b64 s[4:5], 0
                                        ; implicit-def: $sgpr10
	s_and_saveexec_b64 s[8:9], s[6:7]
	s_xor_b64 s[6:7], exec, s[8:9]
	s_cbranch_execnz .LBB7_3421
; %bb.1373:
	s_or_saveexec_b64 s[6:7], s[6:7]
	v_mov_b32_e32 v11, s10
	s_xor_b64 exec, exec, s[6:7]
	s_cbranch_execnz .LBB7_3424
.LBB7_1374:
	s_or_b64 exec, exec, s[6:7]
	s_and_saveexec_b64 s[6:7], s[4:5]
	s_cbranch_execz .LBB7_1376
.LBB7_1375:
	v_bfe_u32 v11, v12, 24, 3
	v_ffbh_u32_e32 v20, v11
	v_min_u32_e32 v20, 32, v20
	v_lshrrev_b32_e32 v15, 27, v12
	v_subrev_u32_e32 v21, 28, v20
	v_and_b32_e32 v14, 0x80000000, v12
	v_and_b32_e32 v15, 15, v15
	v_bfe_u32 v16, v12, 27, 4
	v_lshlrev_b32_sdwa v12, v21, v12 dst_sel:DWORD dst_unused:UNUSED_PAD src0_sel:DWORD src1_sel:BYTE_3
	v_sub_u32_e32 v20, 29, v20
	v_and_b32_e32 v12, 7, v12
	v_cmp_eq_u16_e32 vcc, 0, v15
	v_cndmask_b32_e32 v11, v11, v12, vcc
	v_cndmask_b32_e32 v12, v16, v20, vcc
	v_mov_b32_e32 v15, 0x3b800000
	v_lshlrev_b32_e32 v11, 20, v11
	v_lshl_add_u32 v12, v12, 23, v15
	v_or3_b32 v11, v14, v12, v11
.LBB7_1376:
	s_or_b64 exec, exec, s[6:7]
	s_nop 0
	v_mfma_f32_16x16x4f32 a[0:3], v10, v11, a[0:3]
	s_movk_i32 s4, 0x7f
	v_cmp_gt_i16_sdwa s[6:7], v17, s4 src0_sel:BYTE_0 src1_sel:DWORD
	s_mov_b64 s[4:5], 0
                                        ; implicit-def: $sgpr10
	s_and_saveexec_b64 s[8:9], s[6:7]
	s_xor_b64 s[6:7], exec, s[8:9]
	s_cbranch_execnz .LBB7_3425
; %bb.1377:
	s_or_saveexec_b64 s[6:7], s[6:7]
	v_mov_b32_e32 v10, s10
	s_xor_b64 exec, exec, s[6:7]
	s_cbranch_execnz .LBB7_3428
.LBB7_1378:
	s_or_b64 exec, exec, s[6:7]
	s_and_saveexec_b64 s[6:7], s[4:5]
	s_cbranch_execz .LBB7_1380
.LBB7_1379:
	v_and_b32_e32 v10, 7, v17
	v_ffbh_u32_e32 v12, v10
	v_min_u32_e32 v12, 32, v12
	v_lshrrev_b16_e32 v11, 3, v17
	v_subrev_u32_e32 v14, 28, v12
	v_and_b32_e32 v11, 15, v11
	v_lshlrev_b32_e32 v14, v14, v17
	v_sub_u32_e32 v12, 29, v12
	v_and_b32_e32 v14, 7, v14
	v_cmp_eq_u16_e32 vcc, 0, v11
	v_cndmask_b32_e32 v10, v10, v14, vcc
	v_cndmask_b32_e32 v11, v11, v12, vcc
	v_lshlrev_b32_e32 v12, 24, v17
	v_mov_b32_e32 v14, 0x3b800000
	v_lshlrev_b32_e32 v10, 20, v10
	v_and_b32_e32 v12, 0x80000000, v12
	v_lshl_add_u32 v11, v11, 23, v14
	v_or3_b32 v10, v12, v11, v10
.LBB7_1380:
	s_or_b64 exec, exec, s[6:7]
	s_movk_i32 s4, 0x7f
	v_cmp_gt_i16_sdwa s[6:7], v13, s4 src0_sel:BYTE_0 src1_sel:DWORD
	s_mov_b64 s[4:5], 0
                                        ; implicit-def: $sgpr10
	s_and_saveexec_b64 s[8:9], s[6:7]
	s_xor_b64 s[6:7], exec, s[8:9]
	s_cbranch_execnz .LBB7_3429
; %bb.1381:
	s_or_saveexec_b64 s[6:7], s[6:7]
	v_mov_b32_e32 v11, s10
	s_xor_b64 exec, exec, s[6:7]
	s_cbranch_execnz .LBB7_3432
.LBB7_1382:
	s_or_b64 exec, exec, s[6:7]
	s_and_saveexec_b64 s[6:7], s[4:5]
	s_cbranch_execz .LBB7_1384
.LBB7_1383:
	v_and_b32_e32 v11, 7, v13
	v_ffbh_u32_e32 v14, v11
	v_min_u32_e32 v14, 32, v14
	v_lshrrev_b16_e32 v12, 3, v13
	v_subrev_u32_e32 v15, 28, v14
	v_and_b32_e32 v12, 15, v12
	v_lshlrev_b32_e32 v15, v15, v13
	v_sub_u32_e32 v14, 29, v14
	v_and_b32_e32 v15, 7, v15
	v_cmp_eq_u16_e32 vcc, 0, v12
	v_cndmask_b32_e32 v11, v11, v15, vcc
	v_cndmask_b32_e32 v12, v12, v14, vcc
	v_lshlrev_b32_e32 v14, 24, v13
	v_mov_b32_e32 v15, 0x3b800000
	v_lshlrev_b32_e32 v11, 20, v11
	v_and_b32_e32 v14, 0x80000000, v14
	v_lshl_add_u32 v12, v12, 23, v15
	v_or3_b32 v11, v14, v12, v11
.LBB7_1384:
	s_or_b64 exec, exec, s[6:7]
	s_nop 0
	v_mfma_f32_16x16x4f32 a[0:3], v10, v11, a[0:3]
	v_lshrrev_b32_e32 v11, 8, v17
	s_movk_i32 s4, 0x7f
	v_cmp_gt_i16_sdwa s[6:7], v11, s4 src0_sel:BYTE_0 src1_sel:DWORD
	s_mov_b64 s[4:5], 0
                                        ; implicit-def: $sgpr10
	s_and_saveexec_b64 s[8:9], s[6:7]
	s_xor_b64 s[6:7], exec, s[8:9]
	s_cbranch_execnz .LBB7_3433
; %bb.1385:
	s_or_saveexec_b64 s[6:7], s[6:7]
	v_mov_b32_e32 v10, s10
	s_xor_b64 exec, exec, s[6:7]
	s_cbranch_execnz .LBB7_3436
.LBB7_1386:
	s_or_b64 exec, exec, s[6:7]
	s_and_saveexec_b64 s[6:7], s[4:5]
	s_cbranch_execz .LBB7_1388
.LBB7_1387:
	v_bfe_u32 v10, v17, 8, 3
	v_ffbh_u32_e32 v14, v10
	v_min_u32_e32 v14, 32, v14
	v_lshrrev_b16_e32 v12, 3, v11
	v_subrev_u32_e32 v15, 28, v14
	v_and_b32_e32 v12, 15, v12
	v_lshlrev_b32_e32 v11, v15, v11
	v_sub_u32_e32 v14, 29, v14
	v_and_b32_e32 v11, 7, v11
	v_cmp_eq_u16_e32 vcc, 0, v12
	v_cndmask_b32_e32 v10, v10, v11, vcc
	v_cndmask_b32_e32 v11, v12, v14, vcc
	v_lshlrev_b32_e32 v12, 16, v17
	v_mov_b32_e32 v14, 0x3b800000
	v_lshlrev_b32_e32 v10, 20, v10
	v_and_b32_e32 v12, 0x80000000, v12
	v_lshl_add_u32 v11, v11, 23, v14
	v_or3_b32 v10, v12, v11, v10
.LBB7_1388:
	s_or_b64 exec, exec, s[6:7]
	v_lshrrev_b32_e32 v11, 8, v13
	s_movk_i32 s4, 0x7f
	v_cmp_gt_i16_sdwa s[6:7], v11, s4 src0_sel:BYTE_0 src1_sel:DWORD
	s_mov_b64 s[4:5], 0
                                        ; implicit-def: $sgpr10
	s_and_saveexec_b64 s[8:9], s[6:7]
	s_xor_b64 s[6:7], exec, s[8:9]
	s_cbranch_execnz .LBB7_3437
; %bb.1389:
	s_or_saveexec_b64 s[6:7], s[6:7]
	v_mov_b32_e32 v12, s10
	s_xor_b64 exec, exec, s[6:7]
	s_cbranch_execnz .LBB7_3440
.LBB7_1390:
	s_or_b64 exec, exec, s[6:7]
	s_and_saveexec_b64 s[6:7], s[4:5]
	s_cbranch_execz .LBB7_1392
.LBB7_1391:
	v_bfe_u32 v12, v13, 8, 3
	v_ffbh_u32_e32 v15, v12
	v_min_u32_e32 v15, 32, v15
	v_lshrrev_b16_e32 v14, 3, v11
	v_subrev_u32_e32 v16, 28, v15
	v_and_b32_e32 v14, 15, v14
	v_lshlrev_b32_e32 v11, v16, v11
	v_sub_u32_e32 v15, 29, v15
	v_and_b32_e32 v11, 7, v11
	v_cmp_eq_u16_e32 vcc, 0, v14
	v_cndmask_b32_e32 v11, v12, v11, vcc
	v_cndmask_b32_e32 v12, v14, v15, vcc
	v_lshlrev_b32_e32 v14, 16, v13
	v_mov_b32_e32 v15, 0x3b800000
	v_lshlrev_b32_e32 v11, 20, v11
	v_and_b32_e32 v14, 0x80000000, v14
	v_lshl_add_u32 v12, v12, 23, v15
	v_or3_b32 v12, v14, v12, v11
.LBB7_1392:
	s_or_b64 exec, exec, s[6:7]
	s_nop 0
	v_mfma_f32_16x16x4f32 a[0:3], v10, v12, a[0:3]
	s_movk_i32 s4, 0xff
	v_and_b32_sdwa v11, v17, s4 dst_sel:DWORD dst_unused:UNUSED_PAD src0_sel:WORD_1 src1_sel:DWORD
	s_movk_i32 s4, 0x7f
	v_cmp_lt_i16_e32 vcc, s4, v11
	s_mov_b64 s[4:5], 0
                                        ; implicit-def: $sgpr10
	s_and_saveexec_b64 s[6:7], vcc
	s_xor_b64 s[6:7], exec, s[6:7]
	s_cbranch_execnz .LBB7_3441
; %bb.1393:
	s_or_saveexec_b64 s[6:7], s[6:7]
	v_mov_b32_e32 v10, s10
	s_xor_b64 exec, exec, s[6:7]
	s_cbranch_execnz .LBB7_3444
.LBB7_1394:
	s_or_b64 exec, exec, s[6:7]
	s_and_saveexec_b64 s[6:7], s[4:5]
	s_cbranch_execz .LBB7_1396
.LBB7_1395:
	v_bfe_u32 v10, v17, 16, 3
	v_ffbh_u32_e32 v14, v10
	v_min_u32_e32 v14, 32, v14
	v_lshrrev_b32_e32 v11, 19, v17
	v_subrev_u32_e32 v15, 28, v14
	v_and_b32_e32 v11, 15, v11
	v_lshlrev_b32_sdwa v15, v15, v17 dst_sel:DWORD dst_unused:UNUSED_PAD src0_sel:DWORD src1_sel:WORD_1
	v_bfe_u32 v12, v17, 19, 4
	v_sub_u32_e32 v14, 29, v14
	v_and_b32_e32 v15, 7, v15
	v_cmp_eq_u16_e32 vcc, 0, v11
	v_cndmask_b32_e32 v10, v10, v15, vcc
	v_cndmask_b32_e32 v11, v12, v14, vcc
	v_lshlrev_b32_e32 v12, 8, v17
	v_mov_b32_e32 v14, 0x3b800000
	v_lshlrev_b32_e32 v10, 20, v10
	v_and_b32_e32 v12, 0x80000000, v12
	v_lshl_add_u32 v11, v11, 23, v14
	v_or3_b32 v10, v12, v11, v10
.LBB7_1396:
	s_or_b64 exec, exec, s[6:7]
	s_movk_i32 s4, 0xff
	v_and_b32_sdwa v11, v13, s4 dst_sel:DWORD dst_unused:UNUSED_PAD src0_sel:WORD_1 src1_sel:DWORD
	s_movk_i32 s4, 0x7f
	v_cmp_lt_i16_e32 vcc, s4, v11
	s_mov_b64 s[4:5], 0
                                        ; implicit-def: $sgpr10
	s_and_saveexec_b64 s[6:7], vcc
	s_xor_b64 s[6:7], exec, s[6:7]
	s_cbranch_execnz .LBB7_3445
; %bb.1397:
	s_or_saveexec_b64 s[6:7], s[6:7]
	v_mov_b32_e32 v12, s10
	s_xor_b64 exec, exec, s[6:7]
	s_cbranch_execnz .LBB7_3448
.LBB7_1398:
	s_or_b64 exec, exec, s[6:7]
	s_and_saveexec_b64 s[6:7], s[4:5]
	s_cbranch_execz .LBB7_1400
.LBB7_1399:
	v_bfe_u32 v11, v13, 16, 3
	v_ffbh_u32_e32 v15, v11
	v_min_u32_e32 v15, 32, v15
	v_lshrrev_b32_e32 v12, 19, v13
	v_subrev_u32_e32 v16, 28, v15
	v_and_b32_e32 v12, 15, v12
	v_lshlrev_b32_sdwa v16, v16, v13 dst_sel:DWORD dst_unused:UNUSED_PAD src0_sel:DWORD src1_sel:WORD_1
	v_bfe_u32 v14, v13, 19, 4
	v_sub_u32_e32 v15, 29, v15
	v_and_b32_e32 v16, 7, v16
	v_cmp_eq_u16_e32 vcc, 0, v12
	v_cndmask_b32_e32 v11, v11, v16, vcc
	v_cndmask_b32_e32 v12, v14, v15, vcc
	v_lshlrev_b32_e32 v14, 8, v13
	v_mov_b32_e32 v15, 0x3b800000
	v_lshlrev_b32_e32 v11, 20, v11
	v_and_b32_e32 v14, 0x80000000, v14
	v_lshl_add_u32 v12, v12, 23, v15
	v_or3_b32 v12, v14, v12, v11
.LBB7_1400:
	s_or_b64 exec, exec, s[6:7]
	s_nop 0
	v_mfma_f32_16x16x4f32 a[0:3], v10, v12, a[0:3]
	s_movk_i32 s4, 0x7f
	v_cmp_gt_i16_sdwa s[6:7], v17, s4 src0_sel:BYTE_3 src1_sel:DWORD
	s_mov_b64 s[4:5], 0
                                        ; implicit-def: $sgpr10
	s_and_saveexec_b64 s[8:9], s[6:7]
	s_xor_b64 s[6:7], exec, s[8:9]
	s_cbranch_execnz .LBB7_3449
; %bb.1401:
	s_or_saveexec_b64 s[6:7], s[6:7]
	v_mov_b32_e32 v10, s10
	s_xor_b64 exec, exec, s[6:7]
	s_cbranch_execnz .LBB7_3452
.LBB7_1402:
	s_or_b64 exec, exec, s[6:7]
	s_and_saveexec_b64 s[6:7], s[4:5]
	s_cbranch_execz .LBB7_1404
.LBB7_1403:
	v_bfe_u32 v10, v17, 24, 3
	v_ffbh_u32_e32 v15, v10
	v_min_u32_e32 v15, 32, v15
	v_lshrrev_b32_e32 v12, 27, v17
	v_subrev_u32_e32 v16, 28, v15
	v_and_b32_e32 v12, 15, v12
	v_lshlrev_b32_sdwa v16, v16, v17 dst_sel:DWORD dst_unused:UNUSED_PAD src0_sel:DWORD src1_sel:BYTE_3
	v_bfe_u32 v14, v17, 27, 4
	v_sub_u32_e32 v15, 29, v15
	v_and_b32_e32 v16, 7, v16
	v_cmp_eq_u16_e32 vcc, 0, v12
	v_cndmask_b32_e32 v10, v10, v16, vcc
	v_cndmask_b32_e32 v12, v14, v15, vcc
	v_mov_b32_e32 v14, 0x3b800000
	v_and_b32_e32 v11, 0x80000000, v17
	v_lshlrev_b32_e32 v10, 20, v10
	v_lshl_add_u32 v12, v12, 23, v14
	v_or3_b32 v10, v11, v12, v10
.LBB7_1404:
	s_or_b64 exec, exec, s[6:7]
	s_movk_i32 s4, 0x7f
	v_cmp_gt_i16_sdwa s[6:7], v13, s4 src0_sel:BYTE_3 src1_sel:DWORD
	s_mov_b64 s[4:5], 0
                                        ; implicit-def: $sgpr10
	s_and_saveexec_b64 s[8:9], s[6:7]
	s_xor_b64 s[6:7], exec, s[8:9]
	s_cbranch_execnz .LBB7_3453
; %bb.1405:
	s_or_saveexec_b64 s[6:7], s[6:7]
	v_mov_b32_e32 v11, s10
	s_xor_b64 exec, exec, s[6:7]
	s_cbranch_execnz .LBB7_3456
.LBB7_1406:
	s_or_b64 exec, exec, s[6:7]
	s_and_saveexec_b64 s[6:7], s[4:5]
	s_cbranch_execz .LBB7_1408
.LBB7_1407:
	v_bfe_u32 v11, v13, 24, 3
	v_ffbh_u32_e32 v16, v11
	v_min_u32_e32 v16, 32, v16
	v_lshrrev_b32_e32 v14, 27, v13
	v_subrev_u32_e32 v17, 28, v16
	v_and_b32_e32 v12, 0x80000000, v13
	v_and_b32_e32 v14, 15, v14
	v_bfe_u32 v15, v13, 27, 4
	v_lshlrev_b32_sdwa v13, v17, v13 dst_sel:DWORD dst_unused:UNUSED_PAD src0_sel:DWORD src1_sel:BYTE_3
	v_sub_u32_e32 v16, 29, v16
	v_and_b32_e32 v13, 7, v13
	v_cmp_eq_u16_e32 vcc, 0, v14
	v_cndmask_b32_e32 v11, v11, v13, vcc
	v_cndmask_b32_e32 v13, v15, v16, vcc
	v_mov_b32_e32 v14, 0x3b800000
	v_lshlrev_b32_e32 v11, 20, v11
	v_lshl_add_u32 v13, v13, 23, v14
	v_or3_b32 v11, v12, v13, v11
.LBB7_1408:
	s_or_b64 exec, exec, s[6:7]
	s_nop 0
	v_mfma_f32_16x16x4f32 a[0:3], v10, v11, a[0:3]
	s_movk_i32 s4, 0x7f
	v_cmp_gt_i16_sdwa s[6:7], v6, s4 src0_sel:BYTE_0 src1_sel:DWORD
	s_mov_b64 s[4:5], 0
                                        ; implicit-def: $sgpr10
	s_and_saveexec_b64 s[8:9], s[6:7]
	s_xor_b64 s[6:7], exec, s[8:9]
	s_cbranch_execnz .LBB7_3457
; %bb.1409:
	s_or_saveexec_b64 s[6:7], s[6:7]
	v_mov_b32_e32 v10, s10
	s_xor_b64 exec, exec, s[6:7]
	s_cbranch_execnz .LBB7_3460
.LBB7_1410:
	s_or_b64 exec, exec, s[6:7]
	s_and_saveexec_b64 s[6:7], s[4:5]
	s_cbranch_execz .LBB7_1412
.LBB7_1411:
	v_and_b32_e32 v10, 7, v6
	v_ffbh_u32_e32 v12, v10
	v_min_u32_e32 v12, 32, v12
	v_lshrrev_b16_e32 v11, 3, v6
	v_subrev_u32_e32 v13, 28, v12
	v_and_b32_e32 v11, 15, v11
	v_lshlrev_b32_e32 v13, v13, v6
	v_sub_u32_e32 v12, 29, v12
	v_and_b32_e32 v13, 7, v13
	v_cmp_eq_u16_e32 vcc, 0, v11
	v_cndmask_b32_e32 v10, v10, v13, vcc
	v_cndmask_b32_e32 v11, v11, v12, vcc
	v_lshlrev_b32_e32 v12, 24, v6
	v_mov_b32_e32 v13, 0x3b800000
	v_lshlrev_b32_e32 v10, 20, v10
	v_and_b32_e32 v12, 0x80000000, v12
	v_lshl_add_u32 v11, v11, 23, v13
	v_or3_b32 v10, v12, v11, v10
.LBB7_1412:
	s_or_b64 exec, exec, s[6:7]
	s_movk_i32 s4, 0x7f
	v_cmp_gt_i16_sdwa s[6:7], v2, s4 src0_sel:BYTE_0 src1_sel:DWORD
	s_mov_b64 s[4:5], 0
                                        ; implicit-def: $sgpr10
	s_and_saveexec_b64 s[8:9], s[6:7]
	s_xor_b64 s[6:7], exec, s[8:9]
	s_cbranch_execnz .LBB7_3461
; %bb.1413:
	s_or_saveexec_b64 s[6:7], s[6:7]
	v_mov_b32_e32 v11, s10
	s_xor_b64 exec, exec, s[6:7]
	s_cbranch_execnz .LBB7_3464
.LBB7_1414:
	s_or_b64 exec, exec, s[6:7]
	s_and_saveexec_b64 s[6:7], s[4:5]
	s_cbranch_execz .LBB7_1416
.LBB7_1415:
	v_and_b32_e32 v11, 7, v2
	v_ffbh_u32_e32 v13, v11
	v_min_u32_e32 v13, 32, v13
	v_lshrrev_b16_e32 v12, 3, v2
	v_subrev_u32_e32 v14, 28, v13
	v_and_b32_e32 v12, 15, v12
	v_lshlrev_b32_e32 v14, v14, v2
	v_sub_u32_e32 v13, 29, v13
	v_and_b32_e32 v14, 7, v14
	v_cmp_eq_u16_e32 vcc, 0, v12
	v_cndmask_b32_e32 v11, v11, v14, vcc
	v_cndmask_b32_e32 v12, v12, v13, vcc
	v_lshlrev_b32_e32 v13, 24, v2
	v_mov_b32_e32 v14, 0x3b800000
	v_lshlrev_b32_e32 v11, 20, v11
	v_and_b32_e32 v13, 0x80000000, v13
	v_lshl_add_u32 v12, v12, 23, v14
	v_or3_b32 v11, v13, v12, v11
.LBB7_1416:
	s_or_b64 exec, exec, s[6:7]
	s_nop 0
	v_mfma_f32_16x16x4f32 a[0:3], v10, v11, a[0:3]
	v_lshrrev_b32_e32 v11, 8, v6
	s_movk_i32 s4, 0x7f
	v_cmp_gt_i16_sdwa s[6:7], v11, s4 src0_sel:BYTE_0 src1_sel:DWORD
	s_mov_b64 s[4:5], 0
                                        ; implicit-def: $sgpr10
	s_and_saveexec_b64 s[8:9], s[6:7]
	s_xor_b64 s[6:7], exec, s[8:9]
	s_cbranch_execnz .LBB7_3465
; %bb.1417:
	s_or_saveexec_b64 s[6:7], s[6:7]
	v_mov_b32_e32 v10, s10
	s_xor_b64 exec, exec, s[6:7]
	s_cbranch_execnz .LBB7_3468
.LBB7_1418:
	s_or_b64 exec, exec, s[6:7]
	s_and_saveexec_b64 s[6:7], s[4:5]
	s_cbranch_execz .LBB7_1420
.LBB7_1419:
	v_bfe_u32 v10, v6, 8, 3
	v_ffbh_u32_e32 v13, v10
	v_min_u32_e32 v13, 32, v13
	v_lshrrev_b16_e32 v12, 3, v11
	v_subrev_u32_e32 v14, 28, v13
	v_and_b32_e32 v12, 15, v12
	v_lshlrev_b32_e32 v11, v14, v11
	v_sub_u32_e32 v13, 29, v13
	v_and_b32_e32 v11, 7, v11
	v_cmp_eq_u16_e32 vcc, 0, v12
	v_cndmask_b32_e32 v10, v10, v11, vcc
	v_cndmask_b32_e32 v11, v12, v13, vcc
	v_lshlrev_b32_e32 v12, 16, v6
	v_mov_b32_e32 v13, 0x3b800000
	v_lshlrev_b32_e32 v10, 20, v10
	v_and_b32_e32 v12, 0x80000000, v12
	v_lshl_add_u32 v11, v11, 23, v13
	v_or3_b32 v10, v12, v11, v10
.LBB7_1420:
	s_or_b64 exec, exec, s[6:7]
	v_lshrrev_b32_e32 v11, 8, v2
	s_movk_i32 s4, 0x7f
	v_cmp_gt_i16_sdwa s[6:7], v11, s4 src0_sel:BYTE_0 src1_sel:DWORD
	s_mov_b64 s[4:5], 0
                                        ; implicit-def: $sgpr10
	s_and_saveexec_b64 s[8:9], s[6:7]
	s_xor_b64 s[6:7], exec, s[8:9]
	s_cbranch_execnz .LBB7_3469
; %bb.1421:
	s_or_saveexec_b64 s[6:7], s[6:7]
	v_mov_b32_e32 v12, s10
	s_xor_b64 exec, exec, s[6:7]
	s_cbranch_execnz .LBB7_3472
.LBB7_1422:
	s_or_b64 exec, exec, s[6:7]
	s_and_saveexec_b64 s[6:7], s[4:5]
	s_cbranch_execz .LBB7_1424
.LBB7_1423:
	v_bfe_u32 v12, v2, 8, 3
	v_ffbh_u32_e32 v14, v12
	v_min_u32_e32 v14, 32, v14
	v_lshrrev_b16_e32 v13, 3, v11
	v_subrev_u32_e32 v15, 28, v14
	v_and_b32_e32 v13, 15, v13
	v_lshlrev_b32_e32 v11, v15, v11
	v_sub_u32_e32 v14, 29, v14
	v_and_b32_e32 v11, 7, v11
	v_cmp_eq_u16_e32 vcc, 0, v13
	v_cndmask_b32_e32 v11, v12, v11, vcc
	v_cndmask_b32_e32 v12, v13, v14, vcc
	v_lshlrev_b32_e32 v13, 16, v2
	v_mov_b32_e32 v14, 0x3b800000
	v_lshlrev_b32_e32 v11, 20, v11
	v_and_b32_e32 v13, 0x80000000, v13
	v_lshl_add_u32 v12, v12, 23, v14
	v_or3_b32 v12, v13, v12, v11
.LBB7_1424:
	s_or_b64 exec, exec, s[6:7]
	s_nop 0
	v_mfma_f32_16x16x4f32 a[0:3], v10, v12, a[0:3]
	s_movk_i32 s4, 0xff
	v_and_b32_sdwa v11, v6, s4 dst_sel:DWORD dst_unused:UNUSED_PAD src0_sel:WORD_1 src1_sel:DWORD
	s_movk_i32 s4, 0x7f
	v_cmp_lt_i16_e32 vcc, s4, v11
	s_mov_b64 s[4:5], 0
                                        ; implicit-def: $sgpr10
	s_and_saveexec_b64 s[6:7], vcc
	s_xor_b64 s[6:7], exec, s[6:7]
	s_cbranch_execnz .LBB7_3473
; %bb.1425:
	s_or_saveexec_b64 s[6:7], s[6:7]
	v_mov_b32_e32 v10, s10
	s_xor_b64 exec, exec, s[6:7]
	s_cbranch_execnz .LBB7_3476
.LBB7_1426:
	s_or_b64 exec, exec, s[6:7]
	s_and_saveexec_b64 s[6:7], s[4:5]
	s_cbranch_execz .LBB7_1428
.LBB7_1427:
	v_bfe_u32 v10, v6, 16, 3
	v_ffbh_u32_e32 v13, v10
	v_min_u32_e32 v13, 32, v13
	v_lshrrev_b32_e32 v11, 19, v6
	v_subrev_u32_e32 v14, 28, v13
	v_and_b32_e32 v11, 15, v11
	v_lshlrev_b32_sdwa v14, v14, v6 dst_sel:DWORD dst_unused:UNUSED_PAD src0_sel:DWORD src1_sel:WORD_1
	v_bfe_u32 v12, v6, 19, 4
	v_sub_u32_e32 v13, 29, v13
	v_and_b32_e32 v14, 7, v14
	v_cmp_eq_u16_e32 vcc, 0, v11
	v_cndmask_b32_e32 v10, v10, v14, vcc
	v_cndmask_b32_e32 v11, v12, v13, vcc
	v_lshlrev_b32_e32 v12, 8, v6
	v_mov_b32_e32 v13, 0x3b800000
	v_lshlrev_b32_e32 v10, 20, v10
	v_and_b32_e32 v12, 0x80000000, v12
	v_lshl_add_u32 v11, v11, 23, v13
	v_or3_b32 v10, v12, v11, v10
.LBB7_1428:
	s_or_b64 exec, exec, s[6:7]
	s_movk_i32 s4, 0xff
	v_and_b32_sdwa v11, v2, s4 dst_sel:DWORD dst_unused:UNUSED_PAD src0_sel:WORD_1 src1_sel:DWORD
	s_movk_i32 s4, 0x7f
	v_cmp_lt_i16_e32 vcc, s4, v11
	s_mov_b64 s[4:5], 0
                                        ; implicit-def: $sgpr10
	s_and_saveexec_b64 s[6:7], vcc
	s_xor_b64 s[6:7], exec, s[6:7]
	s_cbranch_execnz .LBB7_3477
; %bb.1429:
	s_or_saveexec_b64 s[6:7], s[6:7]
	v_mov_b32_e32 v12, s10
	s_xor_b64 exec, exec, s[6:7]
	s_cbranch_execnz .LBB7_3480
.LBB7_1430:
	s_or_b64 exec, exec, s[6:7]
	s_and_saveexec_b64 s[6:7], s[4:5]
	s_cbranch_execz .LBB7_1432
.LBB7_1431:
	v_bfe_u32 v11, v2, 16, 3
	v_ffbh_u32_e32 v14, v11
	v_min_u32_e32 v14, 32, v14
	v_lshrrev_b32_e32 v12, 19, v2
	v_subrev_u32_e32 v15, 28, v14
	v_and_b32_e32 v12, 15, v12
	v_lshlrev_b32_sdwa v15, v15, v2 dst_sel:DWORD dst_unused:UNUSED_PAD src0_sel:DWORD src1_sel:WORD_1
	v_bfe_u32 v13, v2, 19, 4
	v_sub_u32_e32 v14, 29, v14
	v_and_b32_e32 v15, 7, v15
	v_cmp_eq_u16_e32 vcc, 0, v12
	v_cndmask_b32_e32 v11, v11, v15, vcc
	v_cndmask_b32_e32 v12, v13, v14, vcc
	v_lshlrev_b32_e32 v13, 8, v2
	v_mov_b32_e32 v14, 0x3b800000
	v_lshlrev_b32_e32 v11, 20, v11
	v_and_b32_e32 v13, 0x80000000, v13
	v_lshl_add_u32 v12, v12, 23, v14
	v_or3_b32 v12, v13, v12, v11
.LBB7_1432:
	s_or_b64 exec, exec, s[6:7]
	s_nop 0
	v_mfma_f32_16x16x4f32 a[0:3], v10, v12, a[0:3]
	s_movk_i32 s4, 0x7f
	v_cmp_gt_i16_sdwa s[6:7], v6, s4 src0_sel:BYTE_3 src1_sel:DWORD
	s_mov_b64 s[4:5], 0
                                        ; implicit-def: $sgpr10
	s_and_saveexec_b64 s[8:9], s[6:7]
	s_xor_b64 s[6:7], exec, s[8:9]
	s_cbranch_execnz .LBB7_3481
; %bb.1433:
	s_or_saveexec_b64 s[6:7], s[6:7]
	v_mov_b32_e32 v10, s10
	s_xor_b64 exec, exec, s[6:7]
	s_cbranch_execnz .LBB7_3484
.LBB7_1434:
	s_or_b64 exec, exec, s[6:7]
	s_and_saveexec_b64 s[6:7], s[4:5]
	s_cbranch_execz .LBB7_1436
.LBB7_1435:
	v_bfe_u32 v10, v6, 24, 3
	v_ffbh_u32_e32 v14, v10
	v_min_u32_e32 v14, 32, v14
	v_lshrrev_b32_e32 v12, 27, v6
	v_subrev_u32_e32 v15, 28, v14
	v_and_b32_e32 v11, 0x80000000, v6
	v_and_b32_e32 v12, 15, v12
	v_bfe_u32 v13, v6, 27, 4
	v_lshlrev_b32_sdwa v6, v15, v6 dst_sel:DWORD dst_unused:UNUSED_PAD src0_sel:DWORD src1_sel:BYTE_3
	v_sub_u32_e32 v14, 29, v14
	v_and_b32_e32 v6, 7, v6
	v_cmp_eq_u16_e32 vcc, 0, v12
	v_cndmask_b32_e32 v6, v10, v6, vcc
	v_cndmask_b32_e32 v10, v13, v14, vcc
	v_mov_b32_e32 v12, 0x3b800000
	v_lshlrev_b32_e32 v6, 20, v6
	v_lshl_add_u32 v10, v10, 23, v12
	v_or3_b32 v10, v11, v10, v6
.LBB7_1436:
	s_or_b64 exec, exec, s[6:7]
	s_movk_i32 s4, 0x7f
	v_cmp_gt_i16_sdwa s[6:7], v2, s4 src0_sel:BYTE_3 src1_sel:DWORD
	s_mov_b64 s[4:5], 0
                                        ; implicit-def: $sgpr10
	s_and_saveexec_b64 s[8:9], s[6:7]
	s_xor_b64 s[6:7], exec, s[8:9]
	s_cbranch_execnz .LBB7_3485
; %bb.1437:
	s_or_saveexec_b64 s[6:7], s[6:7]
	v_mov_b32_e32 v6, s10
	s_xor_b64 exec, exec, s[6:7]
	s_cbranch_execnz .LBB7_3488
.LBB7_1438:
	s_or_b64 exec, exec, s[6:7]
	s_and_saveexec_b64 s[6:7], s[4:5]
	s_cbranch_execz .LBB7_1440
.LBB7_1439:
	v_bfe_u32 v6, v2, 24, 3
	v_ffbh_u32_e32 v14, v6
	v_min_u32_e32 v14, 32, v14
	v_lshrrev_b32_e32 v12, 27, v2
	v_subrev_u32_e32 v15, 28, v14
	v_and_b32_e32 v11, 0x80000000, v2
	v_and_b32_e32 v12, 15, v12
	v_bfe_u32 v13, v2, 27, 4
	v_lshlrev_b32_sdwa v2, v15, v2 dst_sel:DWORD dst_unused:UNUSED_PAD src0_sel:DWORD src1_sel:BYTE_3
	v_sub_u32_e32 v14, 29, v14
	v_and_b32_e32 v2, 7, v2
	v_cmp_eq_u16_e32 vcc, 0, v12
	v_cndmask_b32_e32 v2, v6, v2, vcc
	v_cndmask_b32_e32 v6, v13, v14, vcc
	v_mov_b32_e32 v12, 0x3b800000
	v_lshlrev_b32_e32 v2, 20, v2
	v_lshl_add_u32 v6, v6, 23, v12
	v_or3_b32 v6, v11, v6, v2
.LBB7_1440:
	s_or_b64 exec, exec, s[6:7]
	s_nop 0
	v_mfma_f32_16x16x4f32 a[0:3], v10, v6, a[0:3]
	s_movk_i32 s4, 0x7f
	v_cmp_gt_i16_sdwa s[6:7], v7, s4 src0_sel:BYTE_0 src1_sel:DWORD
	s_mov_b64 s[4:5], 0
                                        ; implicit-def: $sgpr10
	s_and_saveexec_b64 s[8:9], s[6:7]
	s_xor_b64 s[6:7], exec, s[8:9]
	s_cbranch_execnz .LBB7_3489
; %bb.1441:
	s_or_saveexec_b64 s[6:7], s[6:7]
	v_mov_b32_e32 v2, s10
	s_xor_b64 exec, exec, s[6:7]
	s_cbranch_execnz .LBB7_3492
.LBB7_1442:
	s_or_b64 exec, exec, s[6:7]
	s_and_saveexec_b64 s[6:7], s[4:5]
	s_cbranch_execz .LBB7_1444
.LBB7_1443:
	v_and_b32_e32 v2, 7, v7
	v_ffbh_u32_e32 v10, v2
	v_min_u32_e32 v10, 32, v10
	v_lshrrev_b16_e32 v6, 3, v7
	v_subrev_u32_e32 v11, 28, v10
	v_and_b32_e32 v6, 15, v6
	v_lshlrev_b32_e32 v11, v11, v7
	v_sub_u32_e32 v10, 29, v10
	v_and_b32_e32 v11, 7, v11
	v_cmp_eq_u16_e32 vcc, 0, v6
	v_cndmask_b32_e32 v2, v2, v11, vcc
	v_cndmask_b32_e32 v6, v6, v10, vcc
	v_lshlrev_b32_e32 v10, 24, v7
	v_mov_b32_e32 v11, 0x3b800000
	v_lshlrev_b32_e32 v2, 20, v2
	v_and_b32_e32 v10, 0x80000000, v10
	v_lshl_add_u32 v6, v6, 23, v11
	v_or3_b32 v2, v10, v6, v2
.LBB7_1444:
	s_or_b64 exec, exec, s[6:7]
	s_movk_i32 s4, 0x7f
	v_cmp_gt_i16_sdwa s[6:7], v3, s4 src0_sel:BYTE_0 src1_sel:DWORD
	s_mov_b64 s[4:5], 0
                                        ; implicit-def: $sgpr10
	s_and_saveexec_b64 s[8:9], s[6:7]
	s_xor_b64 s[6:7], exec, s[8:9]
	s_cbranch_execnz .LBB7_3493
; %bb.1445:
	s_or_saveexec_b64 s[6:7], s[6:7]
	v_mov_b32_e32 v6, s10
	s_xor_b64 exec, exec, s[6:7]
	s_cbranch_execnz .LBB7_3496
.LBB7_1446:
	s_or_b64 exec, exec, s[6:7]
	s_and_saveexec_b64 s[6:7], s[4:5]
	s_cbranch_execz .LBB7_1448
.LBB7_1447:
	v_and_b32_e32 v6, 7, v3
	v_ffbh_u32_e32 v11, v6
	v_min_u32_e32 v11, 32, v11
	v_lshrrev_b16_e32 v10, 3, v3
	v_subrev_u32_e32 v12, 28, v11
	v_and_b32_e32 v10, 15, v10
	v_lshlrev_b32_e32 v12, v12, v3
	v_sub_u32_e32 v11, 29, v11
	v_and_b32_e32 v12, 7, v12
	v_cmp_eq_u16_e32 vcc, 0, v10
	v_cndmask_b32_e32 v6, v6, v12, vcc
	v_cndmask_b32_e32 v10, v10, v11, vcc
	v_lshlrev_b32_e32 v11, 24, v3
	v_mov_b32_e32 v12, 0x3b800000
	v_lshlrev_b32_e32 v6, 20, v6
	v_and_b32_e32 v11, 0x80000000, v11
	v_lshl_add_u32 v10, v10, 23, v12
	v_or3_b32 v6, v11, v10, v6
.LBB7_1448:
	s_or_b64 exec, exec, s[6:7]
	s_nop 0
	v_mfma_f32_16x16x4f32 a[0:3], v2, v6, a[0:3]
	v_lshrrev_b32_e32 v6, 8, v7
	s_movk_i32 s4, 0x7f
	v_cmp_gt_i16_sdwa s[6:7], v6, s4 src0_sel:BYTE_0 src1_sel:DWORD
	s_mov_b64 s[4:5], 0
                                        ; implicit-def: $sgpr10
	s_and_saveexec_b64 s[8:9], s[6:7]
	s_xor_b64 s[6:7], exec, s[8:9]
	s_cbranch_execnz .LBB7_3497
; %bb.1449:
	s_or_saveexec_b64 s[6:7], s[6:7]
	v_mov_b32_e32 v2, s10
	s_xor_b64 exec, exec, s[6:7]
	s_cbranch_execnz .LBB7_3500
.LBB7_1450:
	s_or_b64 exec, exec, s[6:7]
	s_and_saveexec_b64 s[6:7], s[4:5]
	s_cbranch_execz .LBB7_1452
.LBB7_1451:
	v_bfe_u32 v2, v7, 8, 3
	v_ffbh_u32_e32 v11, v2
	v_min_u32_e32 v11, 32, v11
	v_lshrrev_b16_e32 v10, 3, v6
	v_subrev_u32_e32 v12, 28, v11
	v_and_b32_e32 v10, 15, v10
	v_lshlrev_b32_e32 v6, v12, v6
	v_sub_u32_e32 v11, 29, v11
	v_and_b32_e32 v6, 7, v6
	v_cmp_eq_u16_e32 vcc, 0, v10
	v_cndmask_b32_e32 v2, v2, v6, vcc
	v_cndmask_b32_e32 v6, v10, v11, vcc
	v_lshlrev_b32_e32 v10, 16, v7
	v_mov_b32_e32 v11, 0x3b800000
	v_lshlrev_b32_e32 v2, 20, v2
	v_and_b32_e32 v10, 0x80000000, v10
	v_lshl_add_u32 v6, v6, 23, v11
	v_or3_b32 v2, v10, v6, v2
.LBB7_1452:
	s_or_b64 exec, exec, s[6:7]
	v_lshrrev_b32_e32 v6, 8, v3
	s_movk_i32 s4, 0x7f
	v_cmp_gt_i16_sdwa s[6:7], v6, s4 src0_sel:BYTE_0 src1_sel:DWORD
	s_mov_b64 s[4:5], 0
                                        ; implicit-def: $sgpr10
	s_and_saveexec_b64 s[8:9], s[6:7]
	s_xor_b64 s[6:7], exec, s[8:9]
	s_cbranch_execnz .LBB7_3501
; %bb.1453:
	s_or_saveexec_b64 s[6:7], s[6:7]
	v_mov_b32_e32 v10, s10
	s_xor_b64 exec, exec, s[6:7]
	s_cbranch_execnz .LBB7_3504
.LBB7_1454:
	s_or_b64 exec, exec, s[6:7]
	s_and_saveexec_b64 s[6:7], s[4:5]
	s_cbranch_execz .LBB7_1456
.LBB7_1455:
	v_bfe_u32 v10, v3, 8, 3
	v_ffbh_u32_e32 v12, v10
	v_min_u32_e32 v12, 32, v12
	v_lshrrev_b16_e32 v11, 3, v6
	v_subrev_u32_e32 v13, 28, v12
	v_and_b32_e32 v11, 15, v11
	v_lshlrev_b32_e32 v6, v13, v6
	v_sub_u32_e32 v12, 29, v12
	v_and_b32_e32 v6, 7, v6
	v_cmp_eq_u16_e32 vcc, 0, v11
	v_cndmask_b32_e32 v6, v10, v6, vcc
	v_cndmask_b32_e32 v10, v11, v12, vcc
	v_lshlrev_b32_e32 v11, 16, v3
	v_mov_b32_e32 v12, 0x3b800000
	v_lshlrev_b32_e32 v6, 20, v6
	v_and_b32_e32 v11, 0x80000000, v11
	v_lshl_add_u32 v10, v10, 23, v12
	v_or3_b32 v10, v11, v10, v6
.LBB7_1456:
	s_or_b64 exec, exec, s[6:7]
	s_nop 0
	v_mfma_f32_16x16x4f32 a[0:3], v2, v10, a[0:3]
	s_movk_i32 s4, 0xff
	v_and_b32_sdwa v6, v7, s4 dst_sel:DWORD dst_unused:UNUSED_PAD src0_sel:WORD_1 src1_sel:DWORD
	s_movk_i32 s4, 0x7f
	v_cmp_lt_i16_e32 vcc, s4, v6
	s_mov_b64 s[4:5], 0
                                        ; implicit-def: $sgpr10
	s_and_saveexec_b64 s[6:7], vcc
	s_xor_b64 s[6:7], exec, s[6:7]
	s_cbranch_execnz .LBB7_3505
; %bb.1457:
	s_or_saveexec_b64 s[6:7], s[6:7]
	v_mov_b32_e32 v2, s10
	s_xor_b64 exec, exec, s[6:7]
	s_cbranch_execnz .LBB7_3508
.LBB7_1458:
	s_or_b64 exec, exec, s[6:7]
	s_and_saveexec_b64 s[6:7], s[4:5]
	s_cbranch_execz .LBB7_1460
.LBB7_1459:
	v_bfe_u32 v2, v7, 16, 3
	v_ffbh_u32_e32 v11, v2
	v_min_u32_e32 v11, 32, v11
	v_lshrrev_b32_e32 v6, 19, v7
	v_subrev_u32_e32 v12, 28, v11
	v_and_b32_e32 v6, 15, v6
	v_lshlrev_b32_sdwa v12, v12, v7 dst_sel:DWORD dst_unused:UNUSED_PAD src0_sel:DWORD src1_sel:WORD_1
	v_bfe_u32 v10, v7, 19, 4
	v_sub_u32_e32 v11, 29, v11
	v_and_b32_e32 v12, 7, v12
	v_cmp_eq_u16_e32 vcc, 0, v6
	v_cndmask_b32_e32 v2, v2, v12, vcc
	v_cndmask_b32_e32 v6, v10, v11, vcc
	v_lshlrev_b32_e32 v10, 8, v7
	v_mov_b32_e32 v11, 0x3b800000
	v_lshlrev_b32_e32 v2, 20, v2
	v_and_b32_e32 v10, 0x80000000, v10
	v_lshl_add_u32 v6, v6, 23, v11
	v_or3_b32 v2, v10, v6, v2
.LBB7_1460:
	s_or_b64 exec, exec, s[6:7]
	s_movk_i32 s4, 0xff
	v_and_b32_sdwa v6, v3, s4 dst_sel:DWORD dst_unused:UNUSED_PAD src0_sel:WORD_1 src1_sel:DWORD
	s_movk_i32 s4, 0x7f
	v_cmp_lt_i16_e32 vcc, s4, v6
	s_mov_b64 s[4:5], 0
                                        ; implicit-def: $sgpr10
	s_and_saveexec_b64 s[6:7], vcc
	s_xor_b64 s[6:7], exec, s[6:7]
	s_cbranch_execnz .LBB7_3509
; %bb.1461:
	s_or_saveexec_b64 s[6:7], s[6:7]
	v_mov_b32_e32 v10, s10
	s_xor_b64 exec, exec, s[6:7]
	s_cbranch_execnz .LBB7_3512
.LBB7_1462:
	s_or_b64 exec, exec, s[6:7]
	s_and_saveexec_b64 s[6:7], s[4:5]
	s_cbranch_execz .LBB7_1464
.LBB7_1463:
	v_bfe_u32 v6, v3, 16, 3
	v_ffbh_u32_e32 v12, v6
	v_min_u32_e32 v12, 32, v12
	v_lshrrev_b32_e32 v10, 19, v3
	v_subrev_u32_e32 v13, 28, v12
	v_and_b32_e32 v10, 15, v10
	v_lshlrev_b32_sdwa v13, v13, v3 dst_sel:DWORD dst_unused:UNUSED_PAD src0_sel:DWORD src1_sel:WORD_1
	v_bfe_u32 v11, v3, 19, 4
	v_sub_u32_e32 v12, 29, v12
	v_and_b32_e32 v13, 7, v13
	v_cmp_eq_u16_e32 vcc, 0, v10
	v_cndmask_b32_e32 v6, v6, v13, vcc
	v_cndmask_b32_e32 v10, v11, v12, vcc
	v_lshlrev_b32_e32 v11, 8, v3
	v_mov_b32_e32 v12, 0x3b800000
	v_lshlrev_b32_e32 v6, 20, v6
	v_and_b32_e32 v11, 0x80000000, v11
	v_lshl_add_u32 v10, v10, 23, v12
	v_or3_b32 v10, v11, v10, v6
.LBB7_1464:
	s_or_b64 exec, exec, s[6:7]
	s_nop 0
	v_mfma_f32_16x16x4f32 a[0:3], v2, v10, a[0:3]
	s_movk_i32 s4, 0x7f
	v_cmp_gt_i16_sdwa s[6:7], v7, s4 src0_sel:BYTE_3 src1_sel:DWORD
	s_mov_b64 s[4:5], 0
                                        ; implicit-def: $sgpr10
	s_and_saveexec_b64 s[8:9], s[6:7]
	s_xor_b64 s[6:7], exec, s[8:9]
	s_cbranch_execnz .LBB7_3513
; %bb.1465:
	s_or_saveexec_b64 s[6:7], s[6:7]
	v_mov_b32_e32 v2, s10
	s_xor_b64 exec, exec, s[6:7]
	s_cbranch_execnz .LBB7_3516
.LBB7_1466:
	s_or_b64 exec, exec, s[6:7]
	s_and_saveexec_b64 s[6:7], s[4:5]
	s_cbranch_execz .LBB7_1468
.LBB7_1467:
	v_bfe_u32 v2, v7, 24, 3
	v_ffbh_u32_e32 v12, v2
	v_min_u32_e32 v12, 32, v12
	v_lshrrev_b32_e32 v10, 27, v7
	v_subrev_u32_e32 v13, 28, v12
	v_and_b32_e32 v6, 0x80000000, v7
	v_and_b32_e32 v10, 15, v10
	v_bfe_u32 v11, v7, 27, 4
	v_lshlrev_b32_sdwa v7, v13, v7 dst_sel:DWORD dst_unused:UNUSED_PAD src0_sel:DWORD src1_sel:BYTE_3
	v_sub_u32_e32 v12, 29, v12
	v_and_b32_e32 v7, 7, v7
	v_cmp_eq_u16_e32 vcc, 0, v10
	v_cndmask_b32_e32 v2, v2, v7, vcc
	v_cndmask_b32_e32 v7, v11, v12, vcc
	v_mov_b32_e32 v10, 0x3b800000
	v_lshlrev_b32_e32 v2, 20, v2
	v_lshl_add_u32 v7, v7, 23, v10
	v_or3_b32 v2, v6, v7, v2
.LBB7_1468:
	s_or_b64 exec, exec, s[6:7]
	s_movk_i32 s4, 0x7f
	v_cmp_gt_i16_sdwa s[6:7], v3, s4 src0_sel:BYTE_3 src1_sel:DWORD
	s_mov_b64 s[4:5], 0
                                        ; implicit-def: $sgpr10
	s_and_saveexec_b64 s[8:9], s[6:7]
	s_xor_b64 s[6:7], exec, s[8:9]
	s_cbranch_execnz .LBB7_3517
; %bb.1469:
	s_or_saveexec_b64 s[6:7], s[6:7]
	v_mov_b32_e32 v6, s10
	s_xor_b64 exec, exec, s[6:7]
	s_cbranch_execnz .LBB7_3520
.LBB7_1470:
	s_or_b64 exec, exec, s[6:7]
	s_and_saveexec_b64 s[6:7], s[4:5]
	s_cbranch_execz .LBB7_1472
.LBB7_1471:
	v_bfe_u32 v6, v3, 24, 3
	v_ffbh_u32_e32 v12, v6
	v_min_u32_e32 v12, 32, v12
	v_lshrrev_b32_e32 v10, 27, v3
	v_subrev_u32_e32 v13, 28, v12
	v_and_b32_e32 v7, 0x80000000, v3
	v_and_b32_e32 v10, 15, v10
	v_bfe_u32 v11, v3, 27, 4
	v_lshlrev_b32_sdwa v3, v13, v3 dst_sel:DWORD dst_unused:UNUSED_PAD src0_sel:DWORD src1_sel:BYTE_3
	v_sub_u32_e32 v12, 29, v12
	v_and_b32_e32 v3, 7, v3
	v_cmp_eq_u16_e32 vcc, 0, v10
	v_cndmask_b32_e32 v3, v6, v3, vcc
	v_cndmask_b32_e32 v6, v11, v12, vcc
	v_mov_b32_e32 v10, 0x3b800000
	v_lshlrev_b32_e32 v3, 20, v3
	v_lshl_add_u32 v6, v6, 23, v10
	v_or3_b32 v6, v7, v6, v3
.LBB7_1472:
	s_or_b64 exec, exec, s[6:7]
	s_nop 0
	v_mfma_f32_16x16x4f32 a[0:3], v2, v6, a[0:3]
	s_movk_i32 s4, 0x7f
	v_cmp_gt_i16_sdwa s[6:7], v8, s4 src0_sel:BYTE_0 src1_sel:DWORD
	s_mov_b64 s[4:5], 0
                                        ; implicit-def: $sgpr10
	s_and_saveexec_b64 s[8:9], s[6:7]
	s_xor_b64 s[6:7], exec, s[8:9]
	s_cbranch_execnz .LBB7_3521
; %bb.1473:
	s_or_saveexec_b64 s[6:7], s[6:7]
	v_mov_b32_e32 v2, s10
	s_xor_b64 exec, exec, s[6:7]
	s_cbranch_execnz .LBB7_3524
.LBB7_1474:
	s_or_b64 exec, exec, s[6:7]
	s_and_saveexec_b64 s[6:7], s[4:5]
	s_cbranch_execz .LBB7_1476
.LBB7_1475:
	v_and_b32_e32 v2, 7, v8
	v_ffbh_u32_e32 v6, v2
	v_min_u32_e32 v6, 32, v6
	v_lshrrev_b16_e32 v3, 3, v8
	v_subrev_u32_e32 v7, 28, v6
	v_and_b32_e32 v3, 15, v3
	v_lshlrev_b32_e32 v7, v7, v8
	v_sub_u32_e32 v6, 29, v6
	v_and_b32_e32 v7, 7, v7
	v_cmp_eq_u16_e32 vcc, 0, v3
	v_cndmask_b32_e32 v2, v2, v7, vcc
	v_cndmask_b32_e32 v3, v3, v6, vcc
	v_lshlrev_b32_e32 v6, 24, v8
	v_mov_b32_e32 v7, 0x3b800000
	v_lshlrev_b32_e32 v2, 20, v2
	v_and_b32_e32 v6, 0x80000000, v6
	v_lshl_add_u32 v3, v3, 23, v7
	v_or3_b32 v2, v6, v3, v2
.LBB7_1476:
	s_or_b64 exec, exec, s[6:7]
	s_movk_i32 s4, 0x7f
	v_cmp_gt_i16_sdwa s[6:7], v4, s4 src0_sel:BYTE_0 src1_sel:DWORD
	s_mov_b64 s[4:5], 0
                                        ; implicit-def: $sgpr10
	s_and_saveexec_b64 s[8:9], s[6:7]
	s_xor_b64 s[6:7], exec, s[8:9]
	s_cbranch_execnz .LBB7_3525
; %bb.1477:
	s_or_saveexec_b64 s[6:7], s[6:7]
	v_mov_b32_e32 v3, s10
	s_xor_b64 exec, exec, s[6:7]
	s_cbranch_execnz .LBB7_3528
.LBB7_1478:
	s_or_b64 exec, exec, s[6:7]
	s_and_saveexec_b64 s[6:7], s[4:5]
	s_cbranch_execz .LBB7_1480
.LBB7_1479:
	v_and_b32_e32 v3, 7, v4
	v_ffbh_u32_e32 v7, v3
	v_min_u32_e32 v7, 32, v7
	v_lshrrev_b16_e32 v6, 3, v4
	v_subrev_u32_e32 v10, 28, v7
	v_and_b32_e32 v6, 15, v6
	v_lshlrev_b32_e32 v10, v10, v4
	v_sub_u32_e32 v7, 29, v7
	v_and_b32_e32 v10, 7, v10
	v_cmp_eq_u16_e32 vcc, 0, v6
	v_cndmask_b32_e32 v3, v3, v10, vcc
	v_cndmask_b32_e32 v6, v6, v7, vcc
	v_lshlrev_b32_e32 v7, 24, v4
	v_mov_b32_e32 v10, 0x3b800000
	v_lshlrev_b32_e32 v3, 20, v3
	v_and_b32_e32 v7, 0x80000000, v7
	v_lshl_add_u32 v6, v6, 23, v10
	v_or3_b32 v3, v7, v6, v3
.LBB7_1480:
	s_or_b64 exec, exec, s[6:7]
	s_nop 0
	v_mfma_f32_16x16x4f32 a[0:3], v2, v3, a[0:3]
	v_lshrrev_b32_e32 v3, 8, v8
	s_movk_i32 s4, 0x7f
	v_cmp_gt_i16_sdwa s[6:7], v3, s4 src0_sel:BYTE_0 src1_sel:DWORD
	s_mov_b64 s[4:5], 0
                                        ; implicit-def: $sgpr10
	s_and_saveexec_b64 s[8:9], s[6:7]
	s_xor_b64 s[6:7], exec, s[8:9]
	s_cbranch_execnz .LBB7_3529
; %bb.1481:
	s_or_saveexec_b64 s[6:7], s[6:7]
	v_mov_b32_e32 v2, s10
	s_xor_b64 exec, exec, s[6:7]
	s_cbranch_execnz .LBB7_3532
.LBB7_1482:
	s_or_b64 exec, exec, s[6:7]
	s_and_saveexec_b64 s[6:7], s[4:5]
	s_cbranch_execz .LBB7_1484
.LBB7_1483:
	v_bfe_u32 v2, v8, 8, 3
	v_ffbh_u32_e32 v7, v2
	v_min_u32_e32 v7, 32, v7
	v_lshrrev_b16_e32 v6, 3, v3
	v_subrev_u32_e32 v10, 28, v7
	v_and_b32_e32 v6, 15, v6
	v_lshlrev_b32_e32 v3, v10, v3
	v_sub_u32_e32 v7, 29, v7
	v_and_b32_e32 v3, 7, v3
	v_cmp_eq_u16_e32 vcc, 0, v6
	v_cndmask_b32_e32 v2, v2, v3, vcc
	v_cndmask_b32_e32 v3, v6, v7, vcc
	v_lshlrev_b32_e32 v6, 16, v8
	v_mov_b32_e32 v7, 0x3b800000
	v_lshlrev_b32_e32 v2, 20, v2
	v_and_b32_e32 v6, 0x80000000, v6
	v_lshl_add_u32 v3, v3, 23, v7
	v_or3_b32 v2, v6, v3, v2
.LBB7_1484:
	s_or_b64 exec, exec, s[6:7]
	v_lshrrev_b32_e32 v3, 8, v4
	s_movk_i32 s4, 0x7f
	v_cmp_gt_i16_sdwa s[6:7], v3, s4 src0_sel:BYTE_0 src1_sel:DWORD
	s_mov_b64 s[4:5], 0
                                        ; implicit-def: $sgpr10
	s_and_saveexec_b64 s[8:9], s[6:7]
	s_xor_b64 s[6:7], exec, s[8:9]
	s_cbranch_execnz .LBB7_3533
; %bb.1485:
	s_or_saveexec_b64 s[6:7], s[6:7]
	v_mov_b32_e32 v6, s10
	s_xor_b64 exec, exec, s[6:7]
	s_cbranch_execnz .LBB7_3536
.LBB7_1486:
	s_or_b64 exec, exec, s[6:7]
	s_and_saveexec_b64 s[6:7], s[4:5]
	s_cbranch_execz .LBB7_1488
.LBB7_1487:
	v_bfe_u32 v6, v4, 8, 3
	v_ffbh_u32_e32 v10, v6
	v_min_u32_e32 v10, 32, v10
	v_lshrrev_b16_e32 v7, 3, v3
	v_subrev_u32_e32 v11, 28, v10
	v_and_b32_e32 v7, 15, v7
	v_lshlrev_b32_e32 v3, v11, v3
	v_sub_u32_e32 v10, 29, v10
	v_and_b32_e32 v3, 7, v3
	v_cmp_eq_u16_e32 vcc, 0, v7
	v_cndmask_b32_e32 v3, v6, v3, vcc
	v_cndmask_b32_e32 v6, v7, v10, vcc
	v_lshlrev_b32_e32 v7, 16, v4
	v_mov_b32_e32 v10, 0x3b800000
	v_lshlrev_b32_e32 v3, 20, v3
	v_and_b32_e32 v7, 0x80000000, v7
	v_lshl_add_u32 v6, v6, 23, v10
	v_or3_b32 v6, v7, v6, v3
.LBB7_1488:
	s_or_b64 exec, exec, s[6:7]
	s_nop 0
	v_mfma_f32_16x16x4f32 a[0:3], v2, v6, a[0:3]
	s_movk_i32 s4, 0xff
	v_and_b32_sdwa v3, v8, s4 dst_sel:DWORD dst_unused:UNUSED_PAD src0_sel:WORD_1 src1_sel:DWORD
	s_movk_i32 s4, 0x7f
	v_cmp_lt_i16_e32 vcc, s4, v3
	s_mov_b64 s[4:5], 0
                                        ; implicit-def: $sgpr10
	s_and_saveexec_b64 s[6:7], vcc
	s_xor_b64 s[6:7], exec, s[6:7]
	s_cbranch_execnz .LBB7_3537
; %bb.1489:
	s_or_saveexec_b64 s[6:7], s[6:7]
	v_mov_b32_e32 v2, s10
	s_xor_b64 exec, exec, s[6:7]
	s_cbranch_execnz .LBB7_3540
.LBB7_1490:
	s_or_b64 exec, exec, s[6:7]
	s_and_saveexec_b64 s[6:7], s[4:5]
	s_cbranch_execz .LBB7_1492
.LBB7_1491:
	v_bfe_u32 v2, v8, 16, 3
	v_ffbh_u32_e32 v7, v2
	v_min_u32_e32 v7, 32, v7
	v_lshrrev_b32_e32 v3, 19, v8
	v_subrev_u32_e32 v10, 28, v7
	v_and_b32_e32 v3, 15, v3
	v_lshlrev_b32_sdwa v10, v10, v8 dst_sel:DWORD dst_unused:UNUSED_PAD src0_sel:DWORD src1_sel:WORD_1
	v_bfe_u32 v6, v8, 19, 4
	v_sub_u32_e32 v7, 29, v7
	v_and_b32_e32 v10, 7, v10
	v_cmp_eq_u16_e32 vcc, 0, v3
	v_cndmask_b32_e32 v2, v2, v10, vcc
	v_cndmask_b32_e32 v3, v6, v7, vcc
	v_lshlrev_b32_e32 v6, 8, v8
	v_mov_b32_e32 v7, 0x3b800000
	v_lshlrev_b32_e32 v2, 20, v2
	v_and_b32_e32 v6, 0x80000000, v6
	v_lshl_add_u32 v3, v3, 23, v7
	v_or3_b32 v2, v6, v3, v2
.LBB7_1492:
	s_or_b64 exec, exec, s[6:7]
	s_movk_i32 s4, 0xff
	v_and_b32_sdwa v3, v4, s4 dst_sel:DWORD dst_unused:UNUSED_PAD src0_sel:WORD_1 src1_sel:DWORD
	s_movk_i32 s4, 0x7f
	v_cmp_lt_i16_e32 vcc, s4, v3
	s_mov_b64 s[4:5], 0
                                        ; implicit-def: $sgpr10
	s_and_saveexec_b64 s[6:7], vcc
	s_xor_b64 s[6:7], exec, s[6:7]
	s_cbranch_execnz .LBB7_3541
; %bb.1493:
	s_or_saveexec_b64 s[6:7], s[6:7]
	v_mov_b32_e32 v6, s10
	s_xor_b64 exec, exec, s[6:7]
	s_cbranch_execnz .LBB7_3544
.LBB7_1494:
	s_or_b64 exec, exec, s[6:7]
	s_and_saveexec_b64 s[6:7], s[4:5]
	s_cbranch_execz .LBB7_1496
.LBB7_1495:
	v_bfe_u32 v3, v4, 16, 3
	v_ffbh_u32_e32 v10, v3
	v_min_u32_e32 v10, 32, v10
	v_lshrrev_b32_e32 v6, 19, v4
	v_subrev_u32_e32 v11, 28, v10
	v_and_b32_e32 v6, 15, v6
	v_lshlrev_b32_sdwa v11, v11, v4 dst_sel:DWORD dst_unused:UNUSED_PAD src0_sel:DWORD src1_sel:WORD_1
	v_bfe_u32 v7, v4, 19, 4
	v_sub_u32_e32 v10, 29, v10
	v_and_b32_e32 v11, 7, v11
	v_cmp_eq_u16_e32 vcc, 0, v6
	v_cndmask_b32_e32 v3, v3, v11, vcc
	v_cndmask_b32_e32 v6, v7, v10, vcc
	v_lshlrev_b32_e32 v7, 8, v4
	v_mov_b32_e32 v10, 0x3b800000
	v_lshlrev_b32_e32 v3, 20, v3
	v_and_b32_e32 v7, 0x80000000, v7
	v_lshl_add_u32 v6, v6, 23, v10
	v_or3_b32 v6, v7, v6, v3
.LBB7_1496:
	s_or_b64 exec, exec, s[6:7]
	s_nop 0
	v_mfma_f32_16x16x4f32 a[0:3], v2, v6, a[0:3]
	s_movk_i32 s4, 0x7f
	v_cmp_gt_i16_sdwa s[6:7], v8, s4 src0_sel:BYTE_3 src1_sel:DWORD
	s_mov_b64 s[4:5], 0
                                        ; implicit-def: $sgpr10
	s_and_saveexec_b64 s[8:9], s[6:7]
	s_xor_b64 s[6:7], exec, s[8:9]
	s_cbranch_execnz .LBB7_3545
; %bb.1497:
	s_or_saveexec_b64 s[6:7], s[6:7]
	v_mov_b32_e32 v2, s10
	s_xor_b64 exec, exec, s[6:7]
	s_cbranch_execnz .LBB7_3548
.LBB7_1498:
	s_or_b64 exec, exec, s[6:7]
	s_and_saveexec_b64 s[6:7], s[4:5]
	s_cbranch_execz .LBB7_1500
.LBB7_1499:
	v_bfe_u32 v2, v8, 24, 3
	v_ffbh_u32_e32 v10, v2
	v_min_u32_e32 v10, 32, v10
	v_lshrrev_b32_e32 v6, 27, v8
	v_subrev_u32_e32 v11, 28, v10
	v_and_b32_e32 v3, 0x80000000, v8
	v_and_b32_e32 v6, 15, v6
	v_bfe_u32 v7, v8, 27, 4
	v_lshlrev_b32_sdwa v8, v11, v8 dst_sel:DWORD dst_unused:UNUSED_PAD src0_sel:DWORD src1_sel:BYTE_3
	v_sub_u32_e32 v10, 29, v10
	v_and_b32_e32 v8, 7, v8
	v_cmp_eq_u16_e32 vcc, 0, v6
	v_cndmask_b32_e32 v2, v2, v8, vcc
	v_cndmask_b32_e32 v6, v7, v10, vcc
	v_mov_b32_e32 v7, 0x3b800000
	v_lshlrev_b32_e32 v2, 20, v2
	v_lshl_add_u32 v6, v6, 23, v7
	v_or3_b32 v2, v3, v6, v2
.LBB7_1500:
	s_or_b64 exec, exec, s[6:7]
	s_movk_i32 s4, 0x7f
	v_cmp_gt_i16_sdwa s[6:7], v4, s4 src0_sel:BYTE_3 src1_sel:DWORD
	s_mov_b64 s[4:5], 0
                                        ; implicit-def: $sgpr10
	s_and_saveexec_b64 s[8:9], s[6:7]
	s_xor_b64 s[6:7], exec, s[8:9]
	s_cbranch_execnz .LBB7_3549
; %bb.1501:
	s_or_saveexec_b64 s[6:7], s[6:7]
	v_mov_b32_e32 v3, s10
	s_xor_b64 exec, exec, s[6:7]
	s_cbranch_execnz .LBB7_3552
.LBB7_1502:
	s_or_b64 exec, exec, s[6:7]
	s_and_saveexec_b64 s[6:7], s[4:5]
	s_cbranch_execz .LBB7_1504
.LBB7_1503:
	v_bfe_u32 v3, v4, 24, 3
	v_ffbh_u32_e32 v10, v3
	v_min_u32_e32 v10, 32, v10
	v_lshrrev_b32_e32 v7, 27, v4
	v_subrev_u32_e32 v11, 28, v10
	v_and_b32_e32 v6, 0x80000000, v4
	v_and_b32_e32 v7, 15, v7
	v_bfe_u32 v8, v4, 27, 4
	v_lshlrev_b32_sdwa v4, v11, v4 dst_sel:DWORD dst_unused:UNUSED_PAD src0_sel:DWORD src1_sel:BYTE_3
	v_sub_u32_e32 v10, 29, v10
	v_and_b32_e32 v4, 7, v4
	v_cmp_eq_u16_e32 vcc, 0, v7
	v_cndmask_b32_e32 v3, v3, v4, vcc
	v_cndmask_b32_e32 v4, v8, v10, vcc
	v_mov_b32_e32 v7, 0x3b800000
	v_lshlrev_b32_e32 v3, 20, v3
	v_lshl_add_u32 v4, v4, 23, v7
	v_or3_b32 v3, v6, v4, v3
.LBB7_1504:
	s_or_b64 exec, exec, s[6:7]
	s_nop 0
	v_mfma_f32_16x16x4f32 a[0:3], v2, v3, a[0:3]
	s_movk_i32 s4, 0x7f
	v_cmp_gt_i16_sdwa s[6:7], v9, s4 src0_sel:BYTE_0 src1_sel:DWORD
	s_mov_b64 s[4:5], 0
                                        ; implicit-def: $sgpr10
	s_and_saveexec_b64 s[8:9], s[6:7]
	s_xor_b64 s[6:7], exec, s[8:9]
	s_cbranch_execnz .LBB7_3553
; %bb.1505:
	s_or_saveexec_b64 s[6:7], s[6:7]
	v_mov_b32_e32 v2, s10
	s_xor_b64 exec, exec, s[6:7]
	s_cbranch_execnz .LBB7_3556
.LBB7_1506:
	s_or_b64 exec, exec, s[6:7]
	s_and_saveexec_b64 s[6:7], s[4:5]
	s_cbranch_execz .LBB7_1508
.LBB7_1507:
	v_mov_b32_e32 v2, 8
	v_and_b32_e32 v3, 7, v9
	v_lshrrev_b32_sdwa v2, v2, v9 dst_sel:BYTE_1 dst_unused:UNUSED_PAD src0_sel:DWORD src1_sel:DWORD
	v_ffbh_u32_e32 v4, v3
	v_or_b32_sdwa v2, v9, v2 dst_sel:DWORD dst_unused:UNUSED_PAD src0_sel:BYTE_0 src1_sel:DWORD
	v_min_u32_e32 v4, 32, v4
	v_lshrrev_b16_e32 v2, 3, v2
	v_subrev_u32_e32 v6, 28, v4
	v_and_b32_e32 v2, 15, v2
	v_lshlrev_b32_e32 v6, v6, v9
	v_sub_u32_e32 v4, 29, v4
	v_and_b32_e32 v6, 7, v6
	v_cmp_eq_u16_e32 vcc, 0, v2
	v_cndmask_b32_e32 v3, v3, v6, vcc
	v_cndmask_b32_e32 v2, v2, v4, vcc
	v_lshlrev_b32_e32 v4, 24, v9
	v_mov_b32_e32 v6, 0x3b800000
	v_lshlrev_b32_e32 v3, 20, v3
	v_and_b32_e32 v4, 0x80000000, v4
	v_lshl_add_u32 v2, v2, 23, v6
	v_or3_b32 v2, v4, v2, v3
.LBB7_1508:
	s_or_b64 exec, exec, s[6:7]
	s_movk_i32 s4, 0x7f
	v_cmp_gt_i16_sdwa s[6:7], v5, s4 src0_sel:BYTE_0 src1_sel:DWORD
	s_mov_b64 s[4:5], 0
                                        ; implicit-def: $sgpr10
	s_and_saveexec_b64 s[8:9], s[6:7]
	s_xor_b64 s[6:7], exec, s[8:9]
	s_cbranch_execnz .LBB7_3557
; %bb.1509:
	s_or_saveexec_b64 s[6:7], s[6:7]
	v_mov_b32_e32 v3, s10
	s_xor_b64 exec, exec, s[6:7]
	s_cbranch_execnz .LBB7_3560
.LBB7_1510:
	s_or_b64 exec, exec, s[6:7]
	s_and_saveexec_b64 s[6:7], s[4:5]
	s_cbranch_execz .LBB7_1512
.LBB7_1511:
	v_mov_b32_e32 v3, 8
	v_and_b32_e32 v4, 7, v5
	v_lshrrev_b32_sdwa v3, v3, v5 dst_sel:BYTE_1 dst_unused:UNUSED_PAD src0_sel:DWORD src1_sel:DWORD
	v_ffbh_u32_e32 v6, v4
	v_or_b32_sdwa v3, v5, v3 dst_sel:DWORD dst_unused:UNUSED_PAD src0_sel:BYTE_0 src1_sel:DWORD
	v_min_u32_e32 v6, 32, v6
	v_lshrrev_b16_e32 v3, 3, v3
	v_subrev_u32_e32 v7, 28, v6
	v_and_b32_e32 v3, 15, v3
	v_lshlrev_b32_e32 v7, v7, v5
	v_sub_u32_e32 v6, 29, v6
	v_and_b32_e32 v7, 7, v7
	v_cmp_eq_u16_e32 vcc, 0, v3
	v_cndmask_b32_e32 v4, v4, v7, vcc
	v_cndmask_b32_e32 v3, v3, v6, vcc
	v_lshlrev_b32_e32 v6, 24, v5
	v_mov_b32_e32 v7, 0x3b800000
	v_lshlrev_b32_e32 v4, 20, v4
	v_and_b32_e32 v6, 0x80000000, v6
	v_lshl_add_u32 v3, v3, 23, v7
	v_or3_b32 v3, v6, v3, v4
.LBB7_1512:
	s_or_b64 exec, exec, s[6:7]
	s_nop 0
	v_mfma_f32_16x16x4f32 a[0:3], v2, v3, a[0:3]
	v_lshrrev_b32_e32 v3, 8, v9
	s_movk_i32 s4, 0x7f
	v_cmp_gt_i16_sdwa s[6:7], v3, s4 src0_sel:BYTE_0 src1_sel:DWORD
	s_mov_b64 s[4:5], 0
                                        ; implicit-def: $sgpr10
	s_and_saveexec_b64 s[8:9], s[6:7]
	s_xor_b64 s[6:7], exec, s[8:9]
	s_cbranch_execnz .LBB7_3561
; %bb.1513:
	s_or_saveexec_b64 s[6:7], s[6:7]
	v_mov_b32_e32 v2, s10
	s_xor_b64 exec, exec, s[6:7]
	s_cbranch_execnz .LBB7_3564
.LBB7_1514:
	s_or_b64 exec, exec, s[6:7]
	s_and_saveexec_b64 s[6:7], s[4:5]
	s_cbranch_execz .LBB7_1516
.LBB7_1515:
	v_bfe_u32 v2, v9, 8, 3
	v_ffbh_u32_e32 v6, v2
	v_min_u32_e32 v6, 32, v6
	v_lshrrev_b16_e32 v4, 3, v3
	v_subrev_u32_e32 v7, 28, v6
	v_and_b32_e32 v4, 15, v4
	v_lshlrev_b32_e32 v3, v7, v3
	v_sub_u32_e32 v6, 29, v6
	v_and_b32_e32 v3, 7, v3
	v_cmp_eq_u16_e32 vcc, 0, v4
	v_cndmask_b32_e32 v2, v2, v3, vcc
	v_cndmask_b32_e32 v3, v4, v6, vcc
	v_lshlrev_b32_e32 v4, 16, v9
	v_mov_b32_e32 v6, 0x3b800000
	v_lshlrev_b32_e32 v2, 20, v2
	v_and_b32_e32 v4, 0x80000000, v4
	v_lshl_add_u32 v3, v3, 23, v6
	v_or3_b32 v2, v4, v3, v2
.LBB7_1516:
	s_or_b64 exec, exec, s[6:7]
	v_lshrrev_b32_e32 v3, 8, v5
	s_movk_i32 s4, 0x7f
	v_cmp_gt_i16_sdwa s[6:7], v3, s4 src0_sel:BYTE_0 src1_sel:DWORD
	s_mov_b64 s[4:5], 0
                                        ; implicit-def: $sgpr10
	s_and_saveexec_b64 s[8:9], s[6:7]
	s_xor_b64 s[6:7], exec, s[8:9]
	s_cbranch_execnz .LBB7_3565
; %bb.1517:
	s_or_saveexec_b64 s[6:7], s[6:7]
	v_mov_b32_e32 v4, s10
	s_xor_b64 exec, exec, s[6:7]
	s_cbranch_execnz .LBB7_3568
.LBB7_1518:
	s_or_b64 exec, exec, s[6:7]
	s_and_saveexec_b64 s[6:7], s[4:5]
	s_cbranch_execz .LBB7_1520
.LBB7_1519:
	v_bfe_u32 v4, v5, 8, 3
	v_ffbh_u32_e32 v7, v4
	v_min_u32_e32 v7, 32, v7
	v_lshrrev_b16_e32 v6, 3, v3
	v_subrev_u32_e32 v8, 28, v7
	v_and_b32_e32 v6, 15, v6
	v_lshlrev_b32_e32 v3, v8, v3
	v_sub_u32_e32 v7, 29, v7
	v_and_b32_e32 v3, 7, v3
	v_cmp_eq_u16_e32 vcc, 0, v6
	v_cndmask_b32_e32 v3, v4, v3, vcc
	v_cndmask_b32_e32 v4, v6, v7, vcc
	v_lshlrev_b32_e32 v6, 16, v5
	v_mov_b32_e32 v7, 0x3b800000
	v_lshlrev_b32_e32 v3, 20, v3
	v_and_b32_e32 v6, 0x80000000, v6
	v_lshl_add_u32 v4, v4, 23, v7
	v_or3_b32 v4, v6, v4, v3
.LBB7_1520:
	s_or_b64 exec, exec, s[6:7]
	s_nop 0
	v_mfma_f32_16x16x4f32 a[0:3], v2, v4, a[0:3]
	s_movk_i32 s4, 0xff
	v_and_b32_sdwa v3, v9, s4 dst_sel:DWORD dst_unused:UNUSED_PAD src0_sel:WORD_1 src1_sel:DWORD
	s_movk_i32 s4, 0x7f
	v_cmp_lt_i16_e32 vcc, s4, v3
	s_mov_b64 s[4:5], 0
                                        ; implicit-def: $sgpr10
	s_and_saveexec_b64 s[6:7], vcc
	s_xor_b64 s[6:7], exec, s[6:7]
	s_cbranch_execnz .LBB7_3569
; %bb.1521:
	s_or_saveexec_b64 s[6:7], s[6:7]
	v_mov_b32_e32 v2, s10
	s_xor_b64 exec, exec, s[6:7]
	s_cbranch_execnz .LBB7_3572
.LBB7_1522:
	s_or_b64 exec, exec, s[6:7]
	s_and_saveexec_b64 s[6:7], s[4:5]
	s_cbranch_execz .LBB7_1524
.LBB7_1523:
	v_bfe_u32 v2, v9, 16, 3
	v_ffbh_u32_e32 v6, v2
	v_min_u32_e32 v6, 32, v6
	v_lshrrev_b32_e32 v3, 19, v9
	v_subrev_u32_e32 v7, 28, v6
	v_and_b32_e32 v3, 15, v3
	v_lshlrev_b32_sdwa v7, v7, v9 dst_sel:DWORD dst_unused:UNUSED_PAD src0_sel:DWORD src1_sel:WORD_1
	v_bfe_u32 v4, v9, 19, 4
	v_sub_u32_e32 v6, 29, v6
	v_and_b32_e32 v7, 7, v7
	v_cmp_eq_u16_e32 vcc, 0, v3
	v_cndmask_b32_e32 v2, v2, v7, vcc
	v_cndmask_b32_e32 v3, v4, v6, vcc
	v_lshlrev_b32_e32 v4, 8, v9
	v_mov_b32_e32 v6, 0x3b800000
	v_lshlrev_b32_e32 v2, 20, v2
	v_and_b32_e32 v4, 0x80000000, v4
	v_lshl_add_u32 v3, v3, 23, v6
	v_or3_b32 v2, v4, v3, v2
.LBB7_1524:
	s_or_b64 exec, exec, s[6:7]
	s_movk_i32 s4, 0xff
	v_and_b32_sdwa v3, v5, s4 dst_sel:DWORD dst_unused:UNUSED_PAD src0_sel:WORD_1 src1_sel:DWORD
	s_movk_i32 s4, 0x7f
	v_cmp_lt_i16_e32 vcc, s4, v3
	s_mov_b64 s[4:5], 0
                                        ; implicit-def: $sgpr10
	s_and_saveexec_b64 s[6:7], vcc
	s_xor_b64 s[6:7], exec, s[6:7]
	s_cbranch_execnz .LBB7_3573
; %bb.1525:
	s_or_saveexec_b64 s[6:7], s[6:7]
	v_mov_b32_e32 v4, s10
	s_xor_b64 exec, exec, s[6:7]
	s_cbranch_execnz .LBB7_3576
.LBB7_1526:
	s_or_b64 exec, exec, s[6:7]
	s_and_saveexec_b64 s[6:7], s[4:5]
	s_cbranch_execz .LBB7_1528
.LBB7_1527:
	v_bfe_u32 v3, v5, 16, 3
	v_ffbh_u32_e32 v7, v3
	v_min_u32_e32 v7, 32, v7
	v_lshrrev_b32_e32 v4, 19, v5
	v_subrev_u32_e32 v8, 28, v7
	v_and_b32_e32 v4, 15, v4
	v_lshlrev_b32_sdwa v8, v8, v5 dst_sel:DWORD dst_unused:UNUSED_PAD src0_sel:DWORD src1_sel:WORD_1
	v_bfe_u32 v6, v5, 19, 4
	v_sub_u32_e32 v7, 29, v7
	v_and_b32_e32 v8, 7, v8
	v_cmp_eq_u16_e32 vcc, 0, v4
	v_cndmask_b32_e32 v3, v3, v8, vcc
	v_cndmask_b32_e32 v4, v6, v7, vcc
	v_lshlrev_b32_e32 v6, 8, v5
	v_mov_b32_e32 v7, 0x3b800000
	v_lshlrev_b32_e32 v3, 20, v3
	v_and_b32_e32 v6, 0x80000000, v6
	v_lshl_add_u32 v4, v4, 23, v7
	v_or3_b32 v4, v6, v4, v3
.LBB7_1528:
	s_or_b64 exec, exec, s[6:7]
	s_nop 0
	v_mfma_f32_16x16x4f32 a[0:3], v2, v4, a[0:3]
	s_movk_i32 s4, 0x7f
	v_cmp_gt_i16_sdwa s[6:7], v9, s4 src0_sel:BYTE_3 src1_sel:DWORD
	s_mov_b64 s[4:5], 0
                                        ; implicit-def: $sgpr10
	s_and_saveexec_b64 s[8:9], s[6:7]
	s_xor_b64 s[6:7], exec, s[8:9]
	s_cbranch_execnz .LBB7_3577
; %bb.1529:
	s_or_saveexec_b64 s[6:7], s[6:7]
	v_mov_b32_e32 v2, s10
	s_xor_b64 exec, exec, s[6:7]
	s_cbranch_execnz .LBB7_3580
.LBB7_1530:
	s_or_b64 exec, exec, s[6:7]
	s_and_saveexec_b64 s[6:7], s[4:5]
	s_cbranch_execz .LBB7_1532
.LBB7_1531:
	v_bfe_u32 v2, v9, 24, 3
	v_ffbh_u32_e32 v7, v2
	v_min_u32_e32 v7, 32, v7
	v_lshrrev_b32_e32 v4, 27, v9
	v_subrev_u32_e32 v8, 28, v7
	v_and_b32_e32 v4, 15, v4
	v_lshlrev_b32_sdwa v8, v8, v9 dst_sel:DWORD dst_unused:UNUSED_PAD src0_sel:DWORD src1_sel:BYTE_3
	v_bfe_u32 v6, v9, 27, 4
	v_sub_u32_e32 v7, 29, v7
	v_and_b32_e32 v8, 7, v8
	v_cmp_eq_u16_e32 vcc, 0, v4
	v_cndmask_b32_e32 v2, v2, v8, vcc
	v_cndmask_b32_e32 v4, v6, v7, vcc
	v_mov_b32_e32 v6, 0x3b800000
	v_and_b32_e32 v3, 0x80000000, v9
	v_lshlrev_b32_e32 v2, 20, v2
	v_lshl_add_u32 v4, v4, 23, v6
	v_or3_b32 v2, v3, v4, v2
.LBB7_1532:
	s_or_b64 exec, exec, s[6:7]
	s_movk_i32 s4, 0x7f
	v_cmp_gt_i16_sdwa s[6:7], v5, s4 src0_sel:BYTE_3 src1_sel:DWORD
	s_mov_b64 s[4:5], 0
                                        ; implicit-def: $sgpr10
	s_and_saveexec_b64 s[8:9], s[6:7]
	s_xor_b64 s[6:7], exec, s[8:9]
	s_cbranch_execnz .LBB7_3581
; %bb.1533:
	s_or_saveexec_b64 s[6:7], s[6:7]
	v_mov_b32_e32 v3, s10
	s_xor_b64 exec, exec, s[6:7]
	s_cbranch_execnz .LBB7_3584
.LBB7_1534:
	s_or_b64 exec, exec, s[6:7]
	s_and_saveexec_b64 s[6:7], s[4:5]
	s_cbranch_execz .LBB7_1536
.LBB7_1535:
	v_bfe_u32 v3, v5, 24, 3
	v_ffbh_u32_e32 v8, v3
	v_min_u32_e32 v8, 32, v8
	v_lshrrev_b32_e32 v6, 27, v5
	v_subrev_u32_e32 v9, 28, v8
	v_and_b32_e32 v4, 0x80000000, v5
	v_and_b32_e32 v6, 15, v6
	v_bfe_u32 v7, v5, 27, 4
	v_lshlrev_b32_sdwa v5, v9, v5 dst_sel:DWORD dst_unused:UNUSED_PAD src0_sel:DWORD src1_sel:BYTE_3
	v_sub_u32_e32 v8, 29, v8
	v_and_b32_e32 v5, 7, v5
	v_cmp_eq_u16_e32 vcc, 0, v6
	v_cndmask_b32_e32 v3, v3, v5, vcc
	v_cndmask_b32_e32 v5, v7, v8, vcc
	v_mov_b32_e32 v6, 0x3b800000
	v_lshlrev_b32_e32 v3, 20, v3
	v_lshl_add_u32 v5, v5, 23, v6
	v_or3_b32 v3, v4, v5, v3
.LBB7_1536:
	s_or_b64 exec, exec, s[6:7]
	s_nop 0
	v_mfma_f32_16x16x4f32 a[0:3], v2, v3, a[0:3]
	s_movk_i32 s4, 0x7f
                                        ; implicit-def: $sgpr10
	s_nop 7
	s_nop 1
	flat_store_dwordx4 v[18:19], a[0:3] offset:720
	flat_load_dwordx4 v[20:23], v[0:1] offset:16
	s_nop 0
	flat_load_dwordx2 v[18:19], v[0:1] offset:32
	s_waitcnt vmcnt(0) lgkmcnt(0)
	flat_load_dwordx4 v[14:17], v[20:21] offset:32
	flat_load_dwordx4 v[6:9], v[20:21] offset:48
	;; [unrolled: 1-line block ×4, first 2 shown]
	s_waitcnt vmcnt(0) lgkmcnt(0)
	v_cmp_gt_i16_sdwa s[6:7], v14, s4 src0_sel:BYTE_0 src1_sel:DWORD
	s_mov_b64 s[4:5], 0
	s_and_saveexec_b64 s[8:9], s[6:7]
	s_xor_b64 s[6:7], exec, s[8:9]
	s_cbranch_execnz .LBB7_3585
; %bb.1537:
	s_or_saveexec_b64 s[6:7], s[6:7]
	v_mov_b32_e32 v20, s10
	s_xor_b64 exec, exec, s[6:7]
	s_cbranch_execnz .LBB7_3588
.LBB7_1538:
	s_or_b64 exec, exec, s[6:7]
	s_and_saveexec_b64 s[6:7], s[4:5]
	s_cbranch_execz .LBB7_1540
.LBB7_1539:
	v_and_b32_e32 v20, 7, v14
	v_ffbh_u32_e32 v22, v20
	v_min_u32_e32 v22, 32, v22
	v_lshrrev_b16_e32 v21, 3, v14
	v_subrev_u32_e32 v23, 28, v22
	v_and_b32_e32 v21, 15, v21
	v_lshlrev_b32_e32 v23, v23, v14
	v_sub_u32_e32 v22, 29, v22
	v_and_b32_e32 v23, 7, v23
	v_cmp_eq_u16_e32 vcc, 0, v21
	v_cndmask_b32_e32 v20, v20, v23, vcc
	v_cndmask_b32_e32 v21, v21, v22, vcc
	v_lshlrev_b32_e32 v22, 24, v14
	v_mov_b32_e32 v23, 0x3b800000
	v_lshlrev_b32_e32 v20, 20, v20
	v_and_b32_e32 v22, 0x80000000, v22
	v_lshl_add_u32 v21, v21, 23, v23
	v_or3_b32 v20, v22, v21, v20
.LBB7_1540:
	s_or_b64 exec, exec, s[6:7]
	s_movk_i32 s4, 0x7f
	v_cmp_gt_i16_sdwa s[6:7], v10, s4 src0_sel:BYTE_0 src1_sel:DWORD
	s_mov_b64 s[4:5], 0
                                        ; implicit-def: $sgpr10
	s_and_saveexec_b64 s[8:9], s[6:7]
	s_xor_b64 s[6:7], exec, s[8:9]
	s_cbranch_execnz .LBB7_3589
; %bb.1541:
	s_or_saveexec_b64 s[6:7], s[6:7]
	v_mov_b32_e32 v21, s10
	s_xor_b64 exec, exec, s[6:7]
	s_cbranch_execnz .LBB7_3592
.LBB7_1542:
	s_or_b64 exec, exec, s[6:7]
	s_and_saveexec_b64 s[6:7], s[4:5]
	s_cbranch_execz .LBB7_1544
.LBB7_1543:
	v_and_b32_e32 v21, 7, v10
	v_ffbh_u32_e32 v23, v21
	v_min_u32_e32 v23, 32, v23
	v_lshrrev_b16_e32 v22, 3, v10
	v_subrev_u32_e32 v24, 28, v23
	v_and_b32_e32 v22, 15, v22
	v_lshlrev_b32_e32 v24, v24, v10
	v_sub_u32_e32 v23, 29, v23
	v_and_b32_e32 v24, 7, v24
	v_cmp_eq_u16_e32 vcc, 0, v22
	v_cndmask_b32_e32 v21, v21, v24, vcc
	v_cndmask_b32_e32 v22, v22, v23, vcc
	v_lshlrev_b32_e32 v23, 24, v10
	v_mov_b32_e32 v24, 0x3b800000
	v_lshlrev_b32_e32 v21, 20, v21
	v_and_b32_e32 v23, 0x80000000, v23
	v_lshl_add_u32 v22, v22, 23, v24
	v_or3_b32 v21, v23, v22, v21
.LBB7_1544:
	s_or_b64 exec, exec, s[6:7]
	flat_load_dwordx4 a[0:3], v[18:19] offset:736
	s_movk_i32 s4, 0x7f
                                        ; implicit-def: $sgpr10
	s_waitcnt vmcnt(0) lgkmcnt(0)
	v_mfma_f32_16x16x4f32 a[0:3], v20, v21, a[0:3]
	v_lshrrev_b32_e32 v21, 8, v14
	v_cmp_gt_i16_sdwa s[6:7], v21, s4 src0_sel:BYTE_0 src1_sel:DWORD
	s_mov_b64 s[4:5], 0
	s_and_saveexec_b64 s[8:9], s[6:7]
	s_xor_b64 s[6:7], exec, s[8:9]
	s_cbranch_execnz .LBB7_3593
; %bb.1545:
	s_or_saveexec_b64 s[6:7], s[6:7]
	v_mov_b32_e32 v20, s10
	s_xor_b64 exec, exec, s[6:7]
	s_cbranch_execnz .LBB7_3596
.LBB7_1546:
	s_or_b64 exec, exec, s[6:7]
	s_and_saveexec_b64 s[6:7], s[4:5]
	s_cbranch_execz .LBB7_1548
.LBB7_1547:
	v_bfe_u32 v20, v14, 8, 3
	v_ffbh_u32_e32 v23, v20
	v_min_u32_e32 v23, 32, v23
	v_lshrrev_b16_e32 v22, 3, v21
	v_subrev_u32_e32 v24, 28, v23
	v_and_b32_e32 v22, 15, v22
	v_lshlrev_b32_e32 v21, v24, v21
	v_sub_u32_e32 v23, 29, v23
	v_and_b32_e32 v21, 7, v21
	v_cmp_eq_u16_e32 vcc, 0, v22
	v_cndmask_b32_e32 v20, v20, v21, vcc
	v_cndmask_b32_e32 v21, v22, v23, vcc
	v_lshlrev_b32_e32 v22, 16, v14
	v_mov_b32_e32 v23, 0x3b800000
	v_lshlrev_b32_e32 v20, 20, v20
	v_and_b32_e32 v22, 0x80000000, v22
	v_lshl_add_u32 v21, v21, 23, v23
	v_or3_b32 v20, v22, v21, v20
.LBB7_1548:
	s_or_b64 exec, exec, s[6:7]
	v_lshrrev_b32_e32 v21, 8, v10
	s_movk_i32 s4, 0x7f
	v_cmp_gt_i16_sdwa s[6:7], v21, s4 src0_sel:BYTE_0 src1_sel:DWORD
	s_mov_b64 s[4:5], 0
                                        ; implicit-def: $sgpr10
	s_and_saveexec_b64 s[8:9], s[6:7]
	s_xor_b64 s[6:7], exec, s[8:9]
	s_cbranch_execnz .LBB7_3597
; %bb.1549:
	s_or_saveexec_b64 s[6:7], s[6:7]
	v_mov_b32_e32 v22, s10
	s_xor_b64 exec, exec, s[6:7]
	s_cbranch_execnz .LBB7_3600
.LBB7_1550:
	s_or_b64 exec, exec, s[6:7]
	s_and_saveexec_b64 s[6:7], s[4:5]
	s_cbranch_execz .LBB7_1552
.LBB7_1551:
	v_bfe_u32 v22, v10, 8, 3
	v_ffbh_u32_e32 v24, v22
	v_min_u32_e32 v24, 32, v24
	v_lshrrev_b16_e32 v23, 3, v21
	v_subrev_u32_e32 v25, 28, v24
	v_and_b32_e32 v23, 15, v23
	v_lshlrev_b32_e32 v21, v25, v21
	v_sub_u32_e32 v24, 29, v24
	v_and_b32_e32 v21, 7, v21
	v_cmp_eq_u16_e32 vcc, 0, v23
	v_cndmask_b32_e32 v21, v22, v21, vcc
	v_cndmask_b32_e32 v22, v23, v24, vcc
	v_lshlrev_b32_e32 v23, 16, v10
	v_mov_b32_e32 v24, 0x3b800000
	v_lshlrev_b32_e32 v21, 20, v21
	v_and_b32_e32 v23, 0x80000000, v23
	v_lshl_add_u32 v22, v22, 23, v24
	v_or3_b32 v22, v23, v22, v21
.LBB7_1552:
	s_or_b64 exec, exec, s[6:7]
	s_nop 0
	v_mfma_f32_16x16x4f32 a[0:3], v20, v22, a[0:3]
	s_movk_i32 s4, 0xff
	v_and_b32_sdwa v21, v14, s4 dst_sel:DWORD dst_unused:UNUSED_PAD src0_sel:WORD_1 src1_sel:DWORD
	s_movk_i32 s4, 0x7f
	v_cmp_lt_i16_e32 vcc, s4, v21
	s_mov_b64 s[4:5], 0
                                        ; implicit-def: $sgpr10
	s_and_saveexec_b64 s[6:7], vcc
	s_xor_b64 s[6:7], exec, s[6:7]
	s_cbranch_execnz .LBB7_3601
; %bb.1553:
	s_or_saveexec_b64 s[6:7], s[6:7]
	v_mov_b32_e32 v20, s10
	s_xor_b64 exec, exec, s[6:7]
	s_cbranch_execnz .LBB7_3604
.LBB7_1554:
	s_or_b64 exec, exec, s[6:7]
	s_and_saveexec_b64 s[6:7], s[4:5]
	s_cbranch_execz .LBB7_1556
.LBB7_1555:
	v_bfe_u32 v20, v14, 16, 3
	v_ffbh_u32_e32 v23, v20
	v_min_u32_e32 v23, 32, v23
	v_lshrrev_b32_e32 v21, 19, v14
	v_subrev_u32_e32 v24, 28, v23
	v_and_b32_e32 v21, 15, v21
	v_lshlrev_b32_sdwa v24, v24, v14 dst_sel:DWORD dst_unused:UNUSED_PAD src0_sel:DWORD src1_sel:WORD_1
	v_bfe_u32 v22, v14, 19, 4
	v_sub_u32_e32 v23, 29, v23
	v_and_b32_e32 v24, 7, v24
	v_cmp_eq_u16_e32 vcc, 0, v21
	v_cndmask_b32_e32 v20, v20, v24, vcc
	v_cndmask_b32_e32 v21, v22, v23, vcc
	v_lshlrev_b32_e32 v22, 8, v14
	v_mov_b32_e32 v23, 0x3b800000
	v_lshlrev_b32_e32 v20, 20, v20
	v_and_b32_e32 v22, 0x80000000, v22
	v_lshl_add_u32 v21, v21, 23, v23
	v_or3_b32 v20, v22, v21, v20
.LBB7_1556:
	s_or_b64 exec, exec, s[6:7]
	s_movk_i32 s4, 0xff
	v_and_b32_sdwa v21, v10, s4 dst_sel:DWORD dst_unused:UNUSED_PAD src0_sel:WORD_1 src1_sel:DWORD
	s_movk_i32 s4, 0x7f
	v_cmp_lt_i16_e32 vcc, s4, v21
	s_mov_b64 s[4:5], 0
                                        ; implicit-def: $sgpr10
	s_and_saveexec_b64 s[6:7], vcc
	s_xor_b64 s[6:7], exec, s[6:7]
	s_cbranch_execnz .LBB7_3605
; %bb.1557:
	s_or_saveexec_b64 s[6:7], s[6:7]
	v_mov_b32_e32 v22, s10
	s_xor_b64 exec, exec, s[6:7]
	s_cbranch_execnz .LBB7_3608
.LBB7_1558:
	s_or_b64 exec, exec, s[6:7]
	s_and_saveexec_b64 s[6:7], s[4:5]
	s_cbranch_execz .LBB7_1560
.LBB7_1559:
	v_bfe_u32 v21, v10, 16, 3
	v_ffbh_u32_e32 v24, v21
	v_min_u32_e32 v24, 32, v24
	v_lshrrev_b32_e32 v22, 19, v10
	v_subrev_u32_e32 v25, 28, v24
	v_and_b32_e32 v22, 15, v22
	v_lshlrev_b32_sdwa v25, v25, v10 dst_sel:DWORD dst_unused:UNUSED_PAD src0_sel:DWORD src1_sel:WORD_1
	v_bfe_u32 v23, v10, 19, 4
	v_sub_u32_e32 v24, 29, v24
	v_and_b32_e32 v25, 7, v25
	v_cmp_eq_u16_e32 vcc, 0, v22
	v_cndmask_b32_e32 v21, v21, v25, vcc
	v_cndmask_b32_e32 v22, v23, v24, vcc
	v_lshlrev_b32_e32 v23, 8, v10
	v_mov_b32_e32 v24, 0x3b800000
	v_lshlrev_b32_e32 v21, 20, v21
	v_and_b32_e32 v23, 0x80000000, v23
	v_lshl_add_u32 v22, v22, 23, v24
	v_or3_b32 v22, v23, v22, v21
.LBB7_1560:
	s_or_b64 exec, exec, s[6:7]
	s_nop 0
	v_mfma_f32_16x16x4f32 a[0:3], v20, v22, a[0:3]
	s_movk_i32 s4, 0x7f
	v_cmp_gt_i16_sdwa s[6:7], v14, s4 src0_sel:BYTE_3 src1_sel:DWORD
	s_mov_b64 s[4:5], 0
                                        ; implicit-def: $sgpr10
	s_and_saveexec_b64 s[8:9], s[6:7]
	s_xor_b64 s[6:7], exec, s[8:9]
	s_cbranch_execnz .LBB7_3609
; %bb.1561:
	s_or_saveexec_b64 s[6:7], s[6:7]
	v_mov_b32_e32 v20, s10
	s_xor_b64 exec, exec, s[6:7]
	s_cbranch_execnz .LBB7_3612
.LBB7_1562:
	s_or_b64 exec, exec, s[6:7]
	s_and_saveexec_b64 s[6:7], s[4:5]
	s_cbranch_execz .LBB7_1564
.LBB7_1563:
	v_bfe_u32 v20, v14, 24, 3
	v_ffbh_u32_e32 v24, v20
	v_min_u32_e32 v24, 32, v24
	v_lshrrev_b32_e32 v22, 27, v14
	v_subrev_u32_e32 v25, 28, v24
	v_and_b32_e32 v21, 0x80000000, v14
	v_and_b32_e32 v22, 15, v22
	v_bfe_u32 v23, v14, 27, 4
	v_lshlrev_b32_sdwa v14, v25, v14 dst_sel:DWORD dst_unused:UNUSED_PAD src0_sel:DWORD src1_sel:BYTE_3
	v_sub_u32_e32 v24, 29, v24
	v_and_b32_e32 v14, 7, v14
	v_cmp_eq_u16_e32 vcc, 0, v22
	v_cndmask_b32_e32 v14, v20, v14, vcc
	v_cndmask_b32_e32 v20, v23, v24, vcc
	v_mov_b32_e32 v22, 0x3b800000
	v_lshlrev_b32_e32 v14, 20, v14
	v_lshl_add_u32 v20, v20, 23, v22
	v_or3_b32 v20, v21, v20, v14
.LBB7_1564:
	s_or_b64 exec, exec, s[6:7]
	s_movk_i32 s4, 0x7f
	v_cmp_gt_i16_sdwa s[6:7], v10, s4 src0_sel:BYTE_3 src1_sel:DWORD
	s_mov_b64 s[4:5], 0
                                        ; implicit-def: $sgpr10
	s_and_saveexec_b64 s[8:9], s[6:7]
	s_xor_b64 s[6:7], exec, s[8:9]
	s_cbranch_execnz .LBB7_3613
; %bb.1565:
	s_or_saveexec_b64 s[6:7], s[6:7]
	v_mov_b32_e32 v14, s10
	s_xor_b64 exec, exec, s[6:7]
	s_cbranch_execnz .LBB7_3616
.LBB7_1566:
	s_or_b64 exec, exec, s[6:7]
	s_and_saveexec_b64 s[6:7], s[4:5]
	s_cbranch_execz .LBB7_1568
.LBB7_1567:
	v_bfe_u32 v14, v10, 24, 3
	v_ffbh_u32_e32 v24, v14
	v_min_u32_e32 v24, 32, v24
	v_lshrrev_b32_e32 v22, 27, v10
	v_subrev_u32_e32 v25, 28, v24
	v_and_b32_e32 v21, 0x80000000, v10
	v_and_b32_e32 v22, 15, v22
	v_bfe_u32 v23, v10, 27, 4
	v_lshlrev_b32_sdwa v10, v25, v10 dst_sel:DWORD dst_unused:UNUSED_PAD src0_sel:DWORD src1_sel:BYTE_3
	v_sub_u32_e32 v24, 29, v24
	v_and_b32_e32 v10, 7, v10
	v_cmp_eq_u16_e32 vcc, 0, v22
	v_cndmask_b32_e32 v10, v14, v10, vcc
	v_cndmask_b32_e32 v14, v23, v24, vcc
	v_mov_b32_e32 v22, 0x3b800000
	v_lshlrev_b32_e32 v10, 20, v10
	v_lshl_add_u32 v14, v14, 23, v22
	v_or3_b32 v14, v21, v14, v10
.LBB7_1568:
	s_or_b64 exec, exec, s[6:7]
	s_nop 0
	v_mfma_f32_16x16x4f32 a[0:3], v20, v14, a[0:3]
	s_movk_i32 s4, 0x7f
	v_cmp_gt_i16_sdwa s[6:7], v15, s4 src0_sel:BYTE_0 src1_sel:DWORD
	s_mov_b64 s[4:5], 0
                                        ; implicit-def: $sgpr10
	s_and_saveexec_b64 s[8:9], s[6:7]
	s_xor_b64 s[6:7], exec, s[8:9]
	s_cbranch_execnz .LBB7_3617
; %bb.1569:
	s_or_saveexec_b64 s[6:7], s[6:7]
	v_mov_b32_e32 v10, s10
	s_xor_b64 exec, exec, s[6:7]
	s_cbranch_execnz .LBB7_3620
.LBB7_1570:
	s_or_b64 exec, exec, s[6:7]
	s_and_saveexec_b64 s[6:7], s[4:5]
	s_cbranch_execz .LBB7_1572
.LBB7_1571:
	v_and_b32_e32 v10, 7, v15
	v_ffbh_u32_e32 v20, v10
	v_min_u32_e32 v20, 32, v20
	v_lshrrev_b16_e32 v14, 3, v15
	v_subrev_u32_e32 v21, 28, v20
	v_and_b32_e32 v14, 15, v14
	v_lshlrev_b32_e32 v21, v21, v15
	v_sub_u32_e32 v20, 29, v20
	v_and_b32_e32 v21, 7, v21
	v_cmp_eq_u16_e32 vcc, 0, v14
	v_cndmask_b32_e32 v10, v10, v21, vcc
	v_cndmask_b32_e32 v14, v14, v20, vcc
	v_lshlrev_b32_e32 v20, 24, v15
	v_mov_b32_e32 v21, 0x3b800000
	v_lshlrev_b32_e32 v10, 20, v10
	v_and_b32_e32 v20, 0x80000000, v20
	v_lshl_add_u32 v14, v14, 23, v21
	v_or3_b32 v10, v20, v14, v10
.LBB7_1572:
	s_or_b64 exec, exec, s[6:7]
	s_movk_i32 s4, 0x7f
	v_cmp_gt_i16_sdwa s[6:7], v11, s4 src0_sel:BYTE_0 src1_sel:DWORD
	s_mov_b64 s[4:5], 0
                                        ; implicit-def: $sgpr10
	s_and_saveexec_b64 s[8:9], s[6:7]
	s_xor_b64 s[6:7], exec, s[8:9]
	s_cbranch_execnz .LBB7_3621
; %bb.1573:
	s_or_saveexec_b64 s[6:7], s[6:7]
	v_mov_b32_e32 v14, s10
	s_xor_b64 exec, exec, s[6:7]
	s_cbranch_execnz .LBB7_3624
.LBB7_1574:
	s_or_b64 exec, exec, s[6:7]
	s_and_saveexec_b64 s[6:7], s[4:5]
	s_cbranch_execz .LBB7_1576
.LBB7_1575:
	v_and_b32_e32 v14, 7, v11
	v_ffbh_u32_e32 v21, v14
	v_min_u32_e32 v21, 32, v21
	v_lshrrev_b16_e32 v20, 3, v11
	v_subrev_u32_e32 v22, 28, v21
	v_and_b32_e32 v20, 15, v20
	v_lshlrev_b32_e32 v22, v22, v11
	v_sub_u32_e32 v21, 29, v21
	v_and_b32_e32 v22, 7, v22
	v_cmp_eq_u16_e32 vcc, 0, v20
	v_cndmask_b32_e32 v14, v14, v22, vcc
	v_cndmask_b32_e32 v20, v20, v21, vcc
	v_lshlrev_b32_e32 v21, 24, v11
	v_mov_b32_e32 v22, 0x3b800000
	v_lshlrev_b32_e32 v14, 20, v14
	v_and_b32_e32 v21, 0x80000000, v21
	v_lshl_add_u32 v20, v20, 23, v22
	v_or3_b32 v14, v21, v20, v14
.LBB7_1576:
	s_or_b64 exec, exec, s[6:7]
	s_nop 0
	v_mfma_f32_16x16x4f32 a[0:3], v10, v14, a[0:3]
	v_lshrrev_b32_e32 v14, 8, v15
	s_movk_i32 s4, 0x7f
	v_cmp_gt_i16_sdwa s[6:7], v14, s4 src0_sel:BYTE_0 src1_sel:DWORD
	s_mov_b64 s[4:5], 0
                                        ; implicit-def: $sgpr10
	s_and_saveexec_b64 s[8:9], s[6:7]
	s_xor_b64 s[6:7], exec, s[8:9]
	s_cbranch_execnz .LBB7_3625
; %bb.1577:
	s_or_saveexec_b64 s[6:7], s[6:7]
	v_mov_b32_e32 v10, s10
	s_xor_b64 exec, exec, s[6:7]
	s_cbranch_execnz .LBB7_3628
.LBB7_1578:
	s_or_b64 exec, exec, s[6:7]
	s_and_saveexec_b64 s[6:7], s[4:5]
	s_cbranch_execz .LBB7_1580
.LBB7_1579:
	v_bfe_u32 v10, v15, 8, 3
	v_ffbh_u32_e32 v21, v10
	v_min_u32_e32 v21, 32, v21
	v_lshrrev_b16_e32 v20, 3, v14
	v_subrev_u32_e32 v22, 28, v21
	v_and_b32_e32 v20, 15, v20
	v_lshlrev_b32_e32 v14, v22, v14
	v_sub_u32_e32 v21, 29, v21
	v_and_b32_e32 v14, 7, v14
	v_cmp_eq_u16_e32 vcc, 0, v20
	v_cndmask_b32_e32 v10, v10, v14, vcc
	v_cndmask_b32_e32 v14, v20, v21, vcc
	v_lshlrev_b32_e32 v20, 16, v15
	v_mov_b32_e32 v21, 0x3b800000
	v_lshlrev_b32_e32 v10, 20, v10
	v_and_b32_e32 v20, 0x80000000, v20
	v_lshl_add_u32 v14, v14, 23, v21
	v_or3_b32 v10, v20, v14, v10
.LBB7_1580:
	s_or_b64 exec, exec, s[6:7]
	v_lshrrev_b32_e32 v14, 8, v11
	s_movk_i32 s4, 0x7f
	v_cmp_gt_i16_sdwa s[6:7], v14, s4 src0_sel:BYTE_0 src1_sel:DWORD
	s_mov_b64 s[4:5], 0
                                        ; implicit-def: $sgpr10
	s_and_saveexec_b64 s[8:9], s[6:7]
	s_xor_b64 s[6:7], exec, s[8:9]
	s_cbranch_execnz .LBB7_3629
; %bb.1581:
	s_or_saveexec_b64 s[6:7], s[6:7]
	v_mov_b32_e32 v20, s10
	s_xor_b64 exec, exec, s[6:7]
	s_cbranch_execnz .LBB7_3632
.LBB7_1582:
	s_or_b64 exec, exec, s[6:7]
	s_and_saveexec_b64 s[6:7], s[4:5]
	s_cbranch_execz .LBB7_1584
.LBB7_1583:
	v_bfe_u32 v20, v11, 8, 3
	v_ffbh_u32_e32 v22, v20
	v_min_u32_e32 v22, 32, v22
	v_lshrrev_b16_e32 v21, 3, v14
	v_subrev_u32_e32 v23, 28, v22
	v_and_b32_e32 v21, 15, v21
	v_lshlrev_b32_e32 v14, v23, v14
	v_sub_u32_e32 v22, 29, v22
	v_and_b32_e32 v14, 7, v14
	v_cmp_eq_u16_e32 vcc, 0, v21
	v_cndmask_b32_e32 v14, v20, v14, vcc
	v_cndmask_b32_e32 v20, v21, v22, vcc
	v_lshlrev_b32_e32 v21, 16, v11
	v_mov_b32_e32 v22, 0x3b800000
	v_lshlrev_b32_e32 v14, 20, v14
	v_and_b32_e32 v21, 0x80000000, v21
	v_lshl_add_u32 v20, v20, 23, v22
	v_or3_b32 v20, v21, v20, v14
.LBB7_1584:
	s_or_b64 exec, exec, s[6:7]
	s_nop 0
	v_mfma_f32_16x16x4f32 a[0:3], v10, v20, a[0:3]
	s_movk_i32 s4, 0xff
	v_and_b32_sdwa v14, v15, s4 dst_sel:DWORD dst_unused:UNUSED_PAD src0_sel:WORD_1 src1_sel:DWORD
	s_movk_i32 s4, 0x7f
	v_cmp_lt_i16_e32 vcc, s4, v14
	s_mov_b64 s[4:5], 0
                                        ; implicit-def: $sgpr10
	s_and_saveexec_b64 s[6:7], vcc
	s_xor_b64 s[6:7], exec, s[6:7]
	s_cbranch_execnz .LBB7_3633
; %bb.1585:
	s_or_saveexec_b64 s[6:7], s[6:7]
	v_mov_b32_e32 v10, s10
	s_xor_b64 exec, exec, s[6:7]
	s_cbranch_execnz .LBB7_3636
.LBB7_1586:
	s_or_b64 exec, exec, s[6:7]
	s_and_saveexec_b64 s[6:7], s[4:5]
	s_cbranch_execz .LBB7_1588
.LBB7_1587:
	v_bfe_u32 v10, v15, 16, 3
	v_ffbh_u32_e32 v21, v10
	v_min_u32_e32 v21, 32, v21
	v_lshrrev_b32_e32 v14, 19, v15
	v_subrev_u32_e32 v22, 28, v21
	v_and_b32_e32 v14, 15, v14
	v_lshlrev_b32_sdwa v22, v22, v15 dst_sel:DWORD dst_unused:UNUSED_PAD src0_sel:DWORD src1_sel:WORD_1
	v_bfe_u32 v20, v15, 19, 4
	v_sub_u32_e32 v21, 29, v21
	v_and_b32_e32 v22, 7, v22
	v_cmp_eq_u16_e32 vcc, 0, v14
	v_cndmask_b32_e32 v10, v10, v22, vcc
	v_cndmask_b32_e32 v14, v20, v21, vcc
	v_lshlrev_b32_e32 v20, 8, v15
	v_mov_b32_e32 v21, 0x3b800000
	v_lshlrev_b32_e32 v10, 20, v10
	v_and_b32_e32 v20, 0x80000000, v20
	v_lshl_add_u32 v14, v14, 23, v21
	v_or3_b32 v10, v20, v14, v10
.LBB7_1588:
	s_or_b64 exec, exec, s[6:7]
	s_movk_i32 s4, 0xff
	v_and_b32_sdwa v14, v11, s4 dst_sel:DWORD dst_unused:UNUSED_PAD src0_sel:WORD_1 src1_sel:DWORD
	s_movk_i32 s4, 0x7f
	v_cmp_lt_i16_e32 vcc, s4, v14
	s_mov_b64 s[4:5], 0
                                        ; implicit-def: $sgpr10
	s_and_saveexec_b64 s[6:7], vcc
	s_xor_b64 s[6:7], exec, s[6:7]
	s_cbranch_execnz .LBB7_3637
; %bb.1589:
	s_or_saveexec_b64 s[6:7], s[6:7]
	v_mov_b32_e32 v20, s10
	s_xor_b64 exec, exec, s[6:7]
	s_cbranch_execnz .LBB7_3640
.LBB7_1590:
	s_or_b64 exec, exec, s[6:7]
	s_and_saveexec_b64 s[6:7], s[4:5]
	s_cbranch_execz .LBB7_1592
.LBB7_1591:
	v_bfe_u32 v14, v11, 16, 3
	v_ffbh_u32_e32 v22, v14
	v_min_u32_e32 v22, 32, v22
	v_lshrrev_b32_e32 v20, 19, v11
	v_subrev_u32_e32 v23, 28, v22
	v_and_b32_e32 v20, 15, v20
	v_lshlrev_b32_sdwa v23, v23, v11 dst_sel:DWORD dst_unused:UNUSED_PAD src0_sel:DWORD src1_sel:WORD_1
	v_bfe_u32 v21, v11, 19, 4
	v_sub_u32_e32 v22, 29, v22
	v_and_b32_e32 v23, 7, v23
	v_cmp_eq_u16_e32 vcc, 0, v20
	v_cndmask_b32_e32 v14, v14, v23, vcc
	v_cndmask_b32_e32 v20, v21, v22, vcc
	v_lshlrev_b32_e32 v21, 8, v11
	v_mov_b32_e32 v22, 0x3b800000
	v_lshlrev_b32_e32 v14, 20, v14
	v_and_b32_e32 v21, 0x80000000, v21
	v_lshl_add_u32 v20, v20, 23, v22
	v_or3_b32 v20, v21, v20, v14
.LBB7_1592:
	s_or_b64 exec, exec, s[6:7]
	s_nop 0
	v_mfma_f32_16x16x4f32 a[0:3], v10, v20, a[0:3]
	s_movk_i32 s4, 0x7f
	v_cmp_gt_i16_sdwa s[6:7], v15, s4 src0_sel:BYTE_3 src1_sel:DWORD
	s_mov_b64 s[4:5], 0
                                        ; implicit-def: $sgpr10
	s_and_saveexec_b64 s[8:9], s[6:7]
	s_xor_b64 s[6:7], exec, s[8:9]
	s_cbranch_execnz .LBB7_3641
; %bb.1593:
	s_or_saveexec_b64 s[6:7], s[6:7]
	v_mov_b32_e32 v10, s10
	s_xor_b64 exec, exec, s[6:7]
	s_cbranch_execnz .LBB7_3644
.LBB7_1594:
	s_or_b64 exec, exec, s[6:7]
	s_and_saveexec_b64 s[6:7], s[4:5]
	s_cbranch_execz .LBB7_1596
.LBB7_1595:
	v_bfe_u32 v10, v15, 24, 3
	v_ffbh_u32_e32 v22, v10
	v_min_u32_e32 v22, 32, v22
	v_lshrrev_b32_e32 v20, 27, v15
	v_subrev_u32_e32 v23, 28, v22
	v_and_b32_e32 v14, 0x80000000, v15
	v_and_b32_e32 v20, 15, v20
	v_bfe_u32 v21, v15, 27, 4
	v_lshlrev_b32_sdwa v15, v23, v15 dst_sel:DWORD dst_unused:UNUSED_PAD src0_sel:DWORD src1_sel:BYTE_3
	v_sub_u32_e32 v22, 29, v22
	v_and_b32_e32 v15, 7, v15
	v_cmp_eq_u16_e32 vcc, 0, v20
	v_cndmask_b32_e32 v10, v10, v15, vcc
	v_cndmask_b32_e32 v15, v21, v22, vcc
	v_mov_b32_e32 v20, 0x3b800000
	v_lshlrev_b32_e32 v10, 20, v10
	v_lshl_add_u32 v15, v15, 23, v20
	v_or3_b32 v10, v14, v15, v10
.LBB7_1596:
	s_or_b64 exec, exec, s[6:7]
	s_movk_i32 s4, 0x7f
	v_cmp_gt_i16_sdwa s[6:7], v11, s4 src0_sel:BYTE_3 src1_sel:DWORD
	s_mov_b64 s[4:5], 0
                                        ; implicit-def: $sgpr10
	s_and_saveexec_b64 s[8:9], s[6:7]
	s_xor_b64 s[6:7], exec, s[8:9]
	s_cbranch_execnz .LBB7_3645
; %bb.1597:
	s_or_saveexec_b64 s[6:7], s[6:7]
	v_mov_b32_e32 v14, s10
	s_xor_b64 exec, exec, s[6:7]
	s_cbranch_execnz .LBB7_3648
.LBB7_1598:
	s_or_b64 exec, exec, s[6:7]
	s_and_saveexec_b64 s[6:7], s[4:5]
	s_cbranch_execz .LBB7_1600
.LBB7_1599:
	v_bfe_u32 v14, v11, 24, 3
	v_ffbh_u32_e32 v22, v14
	v_min_u32_e32 v22, 32, v22
	v_lshrrev_b32_e32 v20, 27, v11
	v_subrev_u32_e32 v23, 28, v22
	v_and_b32_e32 v15, 0x80000000, v11
	v_and_b32_e32 v20, 15, v20
	v_bfe_u32 v21, v11, 27, 4
	v_lshlrev_b32_sdwa v11, v23, v11 dst_sel:DWORD dst_unused:UNUSED_PAD src0_sel:DWORD src1_sel:BYTE_3
	v_sub_u32_e32 v22, 29, v22
	v_and_b32_e32 v11, 7, v11
	v_cmp_eq_u16_e32 vcc, 0, v20
	v_cndmask_b32_e32 v11, v14, v11, vcc
	v_cndmask_b32_e32 v14, v21, v22, vcc
	v_mov_b32_e32 v20, 0x3b800000
	v_lshlrev_b32_e32 v11, 20, v11
	v_lshl_add_u32 v14, v14, 23, v20
	v_or3_b32 v14, v15, v14, v11
.LBB7_1600:
	s_or_b64 exec, exec, s[6:7]
	s_nop 0
	v_mfma_f32_16x16x4f32 a[0:3], v10, v14, a[0:3]
	s_movk_i32 s4, 0x7f
	v_cmp_gt_i16_sdwa s[6:7], v16, s4 src0_sel:BYTE_0 src1_sel:DWORD
	s_mov_b64 s[4:5], 0
                                        ; implicit-def: $sgpr10
	s_and_saveexec_b64 s[8:9], s[6:7]
	s_xor_b64 s[6:7], exec, s[8:9]
	s_cbranch_execnz .LBB7_3649
; %bb.1601:
	s_or_saveexec_b64 s[6:7], s[6:7]
	v_mov_b32_e32 v10, s10
	s_xor_b64 exec, exec, s[6:7]
	s_cbranch_execnz .LBB7_3652
.LBB7_1602:
	s_or_b64 exec, exec, s[6:7]
	s_and_saveexec_b64 s[6:7], s[4:5]
	s_cbranch_execz .LBB7_1604
.LBB7_1603:
	v_and_b32_e32 v10, 7, v16
	v_ffbh_u32_e32 v14, v10
	v_min_u32_e32 v14, 32, v14
	v_lshrrev_b16_e32 v11, 3, v16
	v_subrev_u32_e32 v15, 28, v14
	v_and_b32_e32 v11, 15, v11
	v_lshlrev_b32_e32 v15, v15, v16
	v_sub_u32_e32 v14, 29, v14
	v_and_b32_e32 v15, 7, v15
	v_cmp_eq_u16_e32 vcc, 0, v11
	v_cndmask_b32_e32 v10, v10, v15, vcc
	v_cndmask_b32_e32 v11, v11, v14, vcc
	v_lshlrev_b32_e32 v14, 24, v16
	v_mov_b32_e32 v15, 0x3b800000
	v_lshlrev_b32_e32 v10, 20, v10
	v_and_b32_e32 v14, 0x80000000, v14
	v_lshl_add_u32 v11, v11, 23, v15
	v_or3_b32 v10, v14, v11, v10
.LBB7_1604:
	s_or_b64 exec, exec, s[6:7]
	s_movk_i32 s4, 0x7f
	v_cmp_gt_i16_sdwa s[6:7], v12, s4 src0_sel:BYTE_0 src1_sel:DWORD
	s_mov_b64 s[4:5], 0
                                        ; implicit-def: $sgpr10
	s_and_saveexec_b64 s[8:9], s[6:7]
	s_xor_b64 s[6:7], exec, s[8:9]
	s_cbranch_execnz .LBB7_3653
; %bb.1605:
	s_or_saveexec_b64 s[6:7], s[6:7]
	v_mov_b32_e32 v11, s10
	s_xor_b64 exec, exec, s[6:7]
	s_cbranch_execnz .LBB7_3656
.LBB7_1606:
	s_or_b64 exec, exec, s[6:7]
	s_and_saveexec_b64 s[6:7], s[4:5]
	s_cbranch_execz .LBB7_1608
.LBB7_1607:
	v_and_b32_e32 v11, 7, v12
	v_ffbh_u32_e32 v15, v11
	v_min_u32_e32 v15, 32, v15
	v_lshrrev_b16_e32 v14, 3, v12
	v_subrev_u32_e32 v20, 28, v15
	v_and_b32_e32 v14, 15, v14
	v_lshlrev_b32_e32 v20, v20, v12
	v_sub_u32_e32 v15, 29, v15
	v_and_b32_e32 v20, 7, v20
	v_cmp_eq_u16_e32 vcc, 0, v14
	v_cndmask_b32_e32 v11, v11, v20, vcc
	v_cndmask_b32_e32 v14, v14, v15, vcc
	v_lshlrev_b32_e32 v15, 24, v12
	v_mov_b32_e32 v20, 0x3b800000
	v_lshlrev_b32_e32 v11, 20, v11
	v_and_b32_e32 v15, 0x80000000, v15
	v_lshl_add_u32 v14, v14, 23, v20
	v_or3_b32 v11, v15, v14, v11
.LBB7_1608:
	s_or_b64 exec, exec, s[6:7]
	s_nop 0
	v_mfma_f32_16x16x4f32 a[0:3], v10, v11, a[0:3]
	v_lshrrev_b32_e32 v11, 8, v16
	s_movk_i32 s4, 0x7f
	v_cmp_gt_i16_sdwa s[6:7], v11, s4 src0_sel:BYTE_0 src1_sel:DWORD
	s_mov_b64 s[4:5], 0
                                        ; implicit-def: $sgpr10
	s_and_saveexec_b64 s[8:9], s[6:7]
	s_xor_b64 s[6:7], exec, s[8:9]
	s_cbranch_execnz .LBB7_3657
; %bb.1609:
	s_or_saveexec_b64 s[6:7], s[6:7]
	v_mov_b32_e32 v10, s10
	s_xor_b64 exec, exec, s[6:7]
	s_cbranch_execnz .LBB7_3660
.LBB7_1610:
	s_or_b64 exec, exec, s[6:7]
	s_and_saveexec_b64 s[6:7], s[4:5]
	s_cbranch_execz .LBB7_1612
.LBB7_1611:
	v_bfe_u32 v10, v16, 8, 3
	v_ffbh_u32_e32 v15, v10
	v_min_u32_e32 v15, 32, v15
	v_lshrrev_b16_e32 v14, 3, v11
	v_subrev_u32_e32 v20, 28, v15
	v_and_b32_e32 v14, 15, v14
	v_lshlrev_b32_e32 v11, v20, v11
	v_sub_u32_e32 v15, 29, v15
	v_and_b32_e32 v11, 7, v11
	v_cmp_eq_u16_e32 vcc, 0, v14
	v_cndmask_b32_e32 v10, v10, v11, vcc
	v_cndmask_b32_e32 v11, v14, v15, vcc
	v_lshlrev_b32_e32 v14, 16, v16
	v_mov_b32_e32 v15, 0x3b800000
	v_lshlrev_b32_e32 v10, 20, v10
	v_and_b32_e32 v14, 0x80000000, v14
	v_lshl_add_u32 v11, v11, 23, v15
	v_or3_b32 v10, v14, v11, v10
.LBB7_1612:
	s_or_b64 exec, exec, s[6:7]
	v_lshrrev_b32_e32 v11, 8, v12
	s_movk_i32 s4, 0x7f
	v_cmp_gt_i16_sdwa s[6:7], v11, s4 src0_sel:BYTE_0 src1_sel:DWORD
	s_mov_b64 s[4:5], 0
                                        ; implicit-def: $sgpr10
	s_and_saveexec_b64 s[8:9], s[6:7]
	s_xor_b64 s[6:7], exec, s[8:9]
	s_cbranch_execnz .LBB7_3661
; %bb.1613:
	s_or_saveexec_b64 s[6:7], s[6:7]
	v_mov_b32_e32 v14, s10
	s_xor_b64 exec, exec, s[6:7]
	s_cbranch_execnz .LBB7_3664
.LBB7_1614:
	s_or_b64 exec, exec, s[6:7]
	s_and_saveexec_b64 s[6:7], s[4:5]
	s_cbranch_execz .LBB7_1616
.LBB7_1615:
	v_bfe_u32 v14, v12, 8, 3
	v_ffbh_u32_e32 v20, v14
	v_min_u32_e32 v20, 32, v20
	v_lshrrev_b16_e32 v15, 3, v11
	v_subrev_u32_e32 v21, 28, v20
	v_and_b32_e32 v15, 15, v15
	v_lshlrev_b32_e32 v11, v21, v11
	v_sub_u32_e32 v20, 29, v20
	v_and_b32_e32 v11, 7, v11
	v_cmp_eq_u16_e32 vcc, 0, v15
	v_cndmask_b32_e32 v11, v14, v11, vcc
	v_cndmask_b32_e32 v14, v15, v20, vcc
	v_lshlrev_b32_e32 v15, 16, v12
	v_mov_b32_e32 v20, 0x3b800000
	v_lshlrev_b32_e32 v11, 20, v11
	v_and_b32_e32 v15, 0x80000000, v15
	v_lshl_add_u32 v14, v14, 23, v20
	v_or3_b32 v14, v15, v14, v11
.LBB7_1616:
	s_or_b64 exec, exec, s[6:7]
	s_nop 0
	v_mfma_f32_16x16x4f32 a[0:3], v10, v14, a[0:3]
	s_movk_i32 s4, 0xff
	v_and_b32_sdwa v11, v16, s4 dst_sel:DWORD dst_unused:UNUSED_PAD src0_sel:WORD_1 src1_sel:DWORD
	s_movk_i32 s4, 0x7f
	v_cmp_lt_i16_e32 vcc, s4, v11
	s_mov_b64 s[4:5], 0
                                        ; implicit-def: $sgpr10
	s_and_saveexec_b64 s[6:7], vcc
	s_xor_b64 s[6:7], exec, s[6:7]
	s_cbranch_execnz .LBB7_3665
; %bb.1617:
	s_or_saveexec_b64 s[6:7], s[6:7]
	v_mov_b32_e32 v10, s10
	s_xor_b64 exec, exec, s[6:7]
	s_cbranch_execnz .LBB7_3668
.LBB7_1618:
	s_or_b64 exec, exec, s[6:7]
	s_and_saveexec_b64 s[6:7], s[4:5]
	s_cbranch_execz .LBB7_1620
.LBB7_1619:
	v_bfe_u32 v10, v16, 16, 3
	v_ffbh_u32_e32 v15, v10
	v_min_u32_e32 v15, 32, v15
	v_lshrrev_b32_e32 v11, 19, v16
	v_subrev_u32_e32 v20, 28, v15
	v_and_b32_e32 v11, 15, v11
	v_lshlrev_b32_sdwa v20, v20, v16 dst_sel:DWORD dst_unused:UNUSED_PAD src0_sel:DWORD src1_sel:WORD_1
	v_bfe_u32 v14, v16, 19, 4
	v_sub_u32_e32 v15, 29, v15
	v_and_b32_e32 v20, 7, v20
	v_cmp_eq_u16_e32 vcc, 0, v11
	v_cndmask_b32_e32 v10, v10, v20, vcc
	v_cndmask_b32_e32 v11, v14, v15, vcc
	v_lshlrev_b32_e32 v14, 8, v16
	v_mov_b32_e32 v15, 0x3b800000
	v_lshlrev_b32_e32 v10, 20, v10
	v_and_b32_e32 v14, 0x80000000, v14
	v_lshl_add_u32 v11, v11, 23, v15
	v_or3_b32 v10, v14, v11, v10
.LBB7_1620:
	s_or_b64 exec, exec, s[6:7]
	s_movk_i32 s4, 0xff
	v_and_b32_sdwa v11, v12, s4 dst_sel:DWORD dst_unused:UNUSED_PAD src0_sel:WORD_1 src1_sel:DWORD
	s_movk_i32 s4, 0x7f
	v_cmp_lt_i16_e32 vcc, s4, v11
	s_mov_b64 s[4:5], 0
                                        ; implicit-def: $sgpr10
	s_and_saveexec_b64 s[6:7], vcc
	s_xor_b64 s[6:7], exec, s[6:7]
	s_cbranch_execnz .LBB7_3669
; %bb.1621:
	s_or_saveexec_b64 s[6:7], s[6:7]
	v_mov_b32_e32 v14, s10
	s_xor_b64 exec, exec, s[6:7]
	s_cbranch_execnz .LBB7_3672
.LBB7_1622:
	s_or_b64 exec, exec, s[6:7]
	s_and_saveexec_b64 s[6:7], s[4:5]
	s_cbranch_execz .LBB7_1624
.LBB7_1623:
	v_bfe_u32 v11, v12, 16, 3
	v_ffbh_u32_e32 v20, v11
	v_min_u32_e32 v20, 32, v20
	v_lshrrev_b32_e32 v14, 19, v12
	v_subrev_u32_e32 v21, 28, v20
	v_and_b32_e32 v14, 15, v14
	v_lshlrev_b32_sdwa v21, v21, v12 dst_sel:DWORD dst_unused:UNUSED_PAD src0_sel:DWORD src1_sel:WORD_1
	v_bfe_u32 v15, v12, 19, 4
	v_sub_u32_e32 v20, 29, v20
	v_and_b32_e32 v21, 7, v21
	v_cmp_eq_u16_e32 vcc, 0, v14
	v_cndmask_b32_e32 v11, v11, v21, vcc
	v_cndmask_b32_e32 v14, v15, v20, vcc
	v_lshlrev_b32_e32 v15, 8, v12
	v_mov_b32_e32 v20, 0x3b800000
	v_lshlrev_b32_e32 v11, 20, v11
	v_and_b32_e32 v15, 0x80000000, v15
	v_lshl_add_u32 v14, v14, 23, v20
	v_or3_b32 v14, v15, v14, v11
.LBB7_1624:
	s_or_b64 exec, exec, s[6:7]
	s_nop 0
	v_mfma_f32_16x16x4f32 a[0:3], v10, v14, a[0:3]
	s_movk_i32 s4, 0x7f
	v_cmp_gt_i16_sdwa s[6:7], v16, s4 src0_sel:BYTE_3 src1_sel:DWORD
	s_mov_b64 s[4:5], 0
                                        ; implicit-def: $sgpr10
	s_and_saveexec_b64 s[8:9], s[6:7]
	s_xor_b64 s[6:7], exec, s[8:9]
	s_cbranch_execnz .LBB7_3673
; %bb.1625:
	s_or_saveexec_b64 s[6:7], s[6:7]
	v_mov_b32_e32 v10, s10
	s_xor_b64 exec, exec, s[6:7]
	s_cbranch_execnz .LBB7_3676
.LBB7_1626:
	s_or_b64 exec, exec, s[6:7]
	s_and_saveexec_b64 s[6:7], s[4:5]
	s_cbranch_execz .LBB7_1628
.LBB7_1627:
	v_bfe_u32 v10, v16, 24, 3
	v_ffbh_u32_e32 v20, v10
	v_min_u32_e32 v20, 32, v20
	v_lshrrev_b32_e32 v14, 27, v16
	v_subrev_u32_e32 v21, 28, v20
	v_and_b32_e32 v11, 0x80000000, v16
	v_and_b32_e32 v14, 15, v14
	v_bfe_u32 v15, v16, 27, 4
	v_lshlrev_b32_sdwa v16, v21, v16 dst_sel:DWORD dst_unused:UNUSED_PAD src0_sel:DWORD src1_sel:BYTE_3
	v_sub_u32_e32 v20, 29, v20
	v_and_b32_e32 v16, 7, v16
	v_cmp_eq_u16_e32 vcc, 0, v14
	v_cndmask_b32_e32 v10, v10, v16, vcc
	v_cndmask_b32_e32 v14, v15, v20, vcc
	v_mov_b32_e32 v15, 0x3b800000
	v_lshlrev_b32_e32 v10, 20, v10
	v_lshl_add_u32 v14, v14, 23, v15
	v_or3_b32 v10, v11, v14, v10
.LBB7_1628:
	s_or_b64 exec, exec, s[6:7]
	s_movk_i32 s4, 0x7f
	v_cmp_gt_i16_sdwa s[6:7], v12, s4 src0_sel:BYTE_3 src1_sel:DWORD
	s_mov_b64 s[4:5], 0
                                        ; implicit-def: $sgpr10
	s_and_saveexec_b64 s[8:9], s[6:7]
	s_xor_b64 s[6:7], exec, s[8:9]
	s_cbranch_execnz .LBB7_3677
; %bb.1629:
	s_or_saveexec_b64 s[6:7], s[6:7]
	v_mov_b32_e32 v11, s10
	s_xor_b64 exec, exec, s[6:7]
	s_cbranch_execnz .LBB7_3680
.LBB7_1630:
	s_or_b64 exec, exec, s[6:7]
	s_and_saveexec_b64 s[6:7], s[4:5]
	s_cbranch_execz .LBB7_1632
.LBB7_1631:
	v_bfe_u32 v11, v12, 24, 3
	v_ffbh_u32_e32 v20, v11
	v_min_u32_e32 v20, 32, v20
	v_lshrrev_b32_e32 v15, 27, v12
	v_subrev_u32_e32 v21, 28, v20
	v_and_b32_e32 v14, 0x80000000, v12
	v_and_b32_e32 v15, 15, v15
	v_bfe_u32 v16, v12, 27, 4
	v_lshlrev_b32_sdwa v12, v21, v12 dst_sel:DWORD dst_unused:UNUSED_PAD src0_sel:DWORD src1_sel:BYTE_3
	v_sub_u32_e32 v20, 29, v20
	v_and_b32_e32 v12, 7, v12
	v_cmp_eq_u16_e32 vcc, 0, v15
	v_cndmask_b32_e32 v11, v11, v12, vcc
	v_cndmask_b32_e32 v12, v16, v20, vcc
	v_mov_b32_e32 v15, 0x3b800000
	v_lshlrev_b32_e32 v11, 20, v11
	v_lshl_add_u32 v12, v12, 23, v15
	v_or3_b32 v11, v14, v12, v11
.LBB7_1632:
	s_or_b64 exec, exec, s[6:7]
	s_nop 0
	v_mfma_f32_16x16x4f32 a[0:3], v10, v11, a[0:3]
	s_movk_i32 s4, 0x7f
	v_cmp_gt_i16_sdwa s[6:7], v17, s4 src0_sel:BYTE_0 src1_sel:DWORD
	s_mov_b64 s[4:5], 0
                                        ; implicit-def: $sgpr10
	s_and_saveexec_b64 s[8:9], s[6:7]
	s_xor_b64 s[6:7], exec, s[8:9]
	s_cbranch_execnz .LBB7_3681
; %bb.1633:
	s_or_saveexec_b64 s[6:7], s[6:7]
	v_mov_b32_e32 v10, s10
	s_xor_b64 exec, exec, s[6:7]
	s_cbranch_execnz .LBB7_3684
.LBB7_1634:
	s_or_b64 exec, exec, s[6:7]
	s_and_saveexec_b64 s[6:7], s[4:5]
	s_cbranch_execz .LBB7_1636
.LBB7_1635:
	v_and_b32_e32 v10, 7, v17
	v_ffbh_u32_e32 v12, v10
	v_min_u32_e32 v12, 32, v12
	v_lshrrev_b16_e32 v11, 3, v17
	v_subrev_u32_e32 v14, 28, v12
	v_and_b32_e32 v11, 15, v11
	v_lshlrev_b32_e32 v14, v14, v17
	v_sub_u32_e32 v12, 29, v12
	v_and_b32_e32 v14, 7, v14
	v_cmp_eq_u16_e32 vcc, 0, v11
	v_cndmask_b32_e32 v10, v10, v14, vcc
	v_cndmask_b32_e32 v11, v11, v12, vcc
	v_lshlrev_b32_e32 v12, 24, v17
	v_mov_b32_e32 v14, 0x3b800000
	v_lshlrev_b32_e32 v10, 20, v10
	v_and_b32_e32 v12, 0x80000000, v12
	v_lshl_add_u32 v11, v11, 23, v14
	v_or3_b32 v10, v12, v11, v10
.LBB7_1636:
	s_or_b64 exec, exec, s[6:7]
	s_movk_i32 s4, 0x7f
	v_cmp_gt_i16_sdwa s[6:7], v13, s4 src0_sel:BYTE_0 src1_sel:DWORD
	s_mov_b64 s[4:5], 0
                                        ; implicit-def: $sgpr10
	s_and_saveexec_b64 s[8:9], s[6:7]
	s_xor_b64 s[6:7], exec, s[8:9]
	s_cbranch_execnz .LBB7_3685
; %bb.1637:
	s_or_saveexec_b64 s[6:7], s[6:7]
	v_mov_b32_e32 v11, s10
	s_xor_b64 exec, exec, s[6:7]
	s_cbranch_execnz .LBB7_3688
.LBB7_1638:
	s_or_b64 exec, exec, s[6:7]
	s_and_saveexec_b64 s[6:7], s[4:5]
	s_cbranch_execz .LBB7_1640
.LBB7_1639:
	v_and_b32_e32 v11, 7, v13
	v_ffbh_u32_e32 v14, v11
	v_min_u32_e32 v14, 32, v14
	v_lshrrev_b16_e32 v12, 3, v13
	v_subrev_u32_e32 v15, 28, v14
	v_and_b32_e32 v12, 15, v12
	v_lshlrev_b32_e32 v15, v15, v13
	v_sub_u32_e32 v14, 29, v14
	v_and_b32_e32 v15, 7, v15
	v_cmp_eq_u16_e32 vcc, 0, v12
	v_cndmask_b32_e32 v11, v11, v15, vcc
	v_cndmask_b32_e32 v12, v12, v14, vcc
	v_lshlrev_b32_e32 v14, 24, v13
	v_mov_b32_e32 v15, 0x3b800000
	v_lshlrev_b32_e32 v11, 20, v11
	v_and_b32_e32 v14, 0x80000000, v14
	v_lshl_add_u32 v12, v12, 23, v15
	v_or3_b32 v11, v14, v12, v11
.LBB7_1640:
	s_or_b64 exec, exec, s[6:7]
	s_nop 0
	v_mfma_f32_16x16x4f32 a[0:3], v10, v11, a[0:3]
	v_lshrrev_b32_e32 v11, 8, v17
	s_movk_i32 s4, 0x7f
	v_cmp_gt_i16_sdwa s[6:7], v11, s4 src0_sel:BYTE_0 src1_sel:DWORD
	s_mov_b64 s[4:5], 0
                                        ; implicit-def: $sgpr10
	s_and_saveexec_b64 s[8:9], s[6:7]
	s_xor_b64 s[6:7], exec, s[8:9]
	s_cbranch_execnz .LBB7_3689
; %bb.1641:
	s_or_saveexec_b64 s[6:7], s[6:7]
	v_mov_b32_e32 v10, s10
	s_xor_b64 exec, exec, s[6:7]
	s_cbranch_execnz .LBB7_3692
.LBB7_1642:
	s_or_b64 exec, exec, s[6:7]
	s_and_saveexec_b64 s[6:7], s[4:5]
	s_cbranch_execz .LBB7_1644
.LBB7_1643:
	v_bfe_u32 v10, v17, 8, 3
	v_ffbh_u32_e32 v14, v10
	v_min_u32_e32 v14, 32, v14
	v_lshrrev_b16_e32 v12, 3, v11
	v_subrev_u32_e32 v15, 28, v14
	v_and_b32_e32 v12, 15, v12
	v_lshlrev_b32_e32 v11, v15, v11
	v_sub_u32_e32 v14, 29, v14
	v_and_b32_e32 v11, 7, v11
	v_cmp_eq_u16_e32 vcc, 0, v12
	v_cndmask_b32_e32 v10, v10, v11, vcc
	v_cndmask_b32_e32 v11, v12, v14, vcc
	v_lshlrev_b32_e32 v12, 16, v17
	v_mov_b32_e32 v14, 0x3b800000
	v_lshlrev_b32_e32 v10, 20, v10
	v_and_b32_e32 v12, 0x80000000, v12
	v_lshl_add_u32 v11, v11, 23, v14
	v_or3_b32 v10, v12, v11, v10
.LBB7_1644:
	s_or_b64 exec, exec, s[6:7]
	v_lshrrev_b32_e32 v11, 8, v13
	s_movk_i32 s4, 0x7f
	v_cmp_gt_i16_sdwa s[6:7], v11, s4 src0_sel:BYTE_0 src1_sel:DWORD
	s_mov_b64 s[4:5], 0
                                        ; implicit-def: $sgpr10
	s_and_saveexec_b64 s[8:9], s[6:7]
	s_xor_b64 s[6:7], exec, s[8:9]
	s_cbranch_execnz .LBB7_3693
; %bb.1645:
	s_or_saveexec_b64 s[6:7], s[6:7]
	v_mov_b32_e32 v12, s10
	s_xor_b64 exec, exec, s[6:7]
	s_cbranch_execnz .LBB7_3696
.LBB7_1646:
	s_or_b64 exec, exec, s[6:7]
	s_and_saveexec_b64 s[6:7], s[4:5]
	s_cbranch_execz .LBB7_1648
.LBB7_1647:
	v_bfe_u32 v12, v13, 8, 3
	v_ffbh_u32_e32 v15, v12
	v_min_u32_e32 v15, 32, v15
	v_lshrrev_b16_e32 v14, 3, v11
	v_subrev_u32_e32 v16, 28, v15
	v_and_b32_e32 v14, 15, v14
	v_lshlrev_b32_e32 v11, v16, v11
	v_sub_u32_e32 v15, 29, v15
	v_and_b32_e32 v11, 7, v11
	v_cmp_eq_u16_e32 vcc, 0, v14
	v_cndmask_b32_e32 v11, v12, v11, vcc
	v_cndmask_b32_e32 v12, v14, v15, vcc
	v_lshlrev_b32_e32 v14, 16, v13
	v_mov_b32_e32 v15, 0x3b800000
	v_lshlrev_b32_e32 v11, 20, v11
	v_and_b32_e32 v14, 0x80000000, v14
	v_lshl_add_u32 v12, v12, 23, v15
	v_or3_b32 v12, v14, v12, v11
.LBB7_1648:
	s_or_b64 exec, exec, s[6:7]
	s_nop 0
	v_mfma_f32_16x16x4f32 a[0:3], v10, v12, a[0:3]
	s_movk_i32 s4, 0xff
	v_and_b32_sdwa v11, v17, s4 dst_sel:DWORD dst_unused:UNUSED_PAD src0_sel:WORD_1 src1_sel:DWORD
	s_movk_i32 s4, 0x7f
	v_cmp_lt_i16_e32 vcc, s4, v11
	s_mov_b64 s[4:5], 0
                                        ; implicit-def: $sgpr10
	s_and_saveexec_b64 s[6:7], vcc
	s_xor_b64 s[6:7], exec, s[6:7]
	s_cbranch_execnz .LBB7_3697
; %bb.1649:
	s_or_saveexec_b64 s[6:7], s[6:7]
	v_mov_b32_e32 v10, s10
	s_xor_b64 exec, exec, s[6:7]
	s_cbranch_execnz .LBB7_3700
.LBB7_1650:
	s_or_b64 exec, exec, s[6:7]
	s_and_saveexec_b64 s[6:7], s[4:5]
	s_cbranch_execz .LBB7_1652
.LBB7_1651:
	v_bfe_u32 v10, v17, 16, 3
	v_ffbh_u32_e32 v14, v10
	v_min_u32_e32 v14, 32, v14
	v_lshrrev_b32_e32 v11, 19, v17
	v_subrev_u32_e32 v15, 28, v14
	v_and_b32_e32 v11, 15, v11
	v_lshlrev_b32_sdwa v15, v15, v17 dst_sel:DWORD dst_unused:UNUSED_PAD src0_sel:DWORD src1_sel:WORD_1
	v_bfe_u32 v12, v17, 19, 4
	v_sub_u32_e32 v14, 29, v14
	v_and_b32_e32 v15, 7, v15
	v_cmp_eq_u16_e32 vcc, 0, v11
	v_cndmask_b32_e32 v10, v10, v15, vcc
	v_cndmask_b32_e32 v11, v12, v14, vcc
	v_lshlrev_b32_e32 v12, 8, v17
	v_mov_b32_e32 v14, 0x3b800000
	v_lshlrev_b32_e32 v10, 20, v10
	v_and_b32_e32 v12, 0x80000000, v12
	v_lshl_add_u32 v11, v11, 23, v14
	v_or3_b32 v10, v12, v11, v10
.LBB7_1652:
	s_or_b64 exec, exec, s[6:7]
	s_movk_i32 s4, 0xff
	v_and_b32_sdwa v11, v13, s4 dst_sel:DWORD dst_unused:UNUSED_PAD src0_sel:WORD_1 src1_sel:DWORD
	s_movk_i32 s4, 0x7f
	v_cmp_lt_i16_e32 vcc, s4, v11
	s_mov_b64 s[4:5], 0
                                        ; implicit-def: $sgpr10
	s_and_saveexec_b64 s[6:7], vcc
	s_xor_b64 s[6:7], exec, s[6:7]
	s_cbranch_execnz .LBB7_3701
; %bb.1653:
	s_or_saveexec_b64 s[6:7], s[6:7]
	v_mov_b32_e32 v12, s10
	s_xor_b64 exec, exec, s[6:7]
	s_cbranch_execnz .LBB7_3704
.LBB7_1654:
	s_or_b64 exec, exec, s[6:7]
	s_and_saveexec_b64 s[6:7], s[4:5]
	s_cbranch_execz .LBB7_1656
.LBB7_1655:
	v_bfe_u32 v11, v13, 16, 3
	v_ffbh_u32_e32 v15, v11
	v_min_u32_e32 v15, 32, v15
	v_lshrrev_b32_e32 v12, 19, v13
	v_subrev_u32_e32 v16, 28, v15
	v_and_b32_e32 v12, 15, v12
	v_lshlrev_b32_sdwa v16, v16, v13 dst_sel:DWORD dst_unused:UNUSED_PAD src0_sel:DWORD src1_sel:WORD_1
	v_bfe_u32 v14, v13, 19, 4
	v_sub_u32_e32 v15, 29, v15
	v_and_b32_e32 v16, 7, v16
	v_cmp_eq_u16_e32 vcc, 0, v12
	v_cndmask_b32_e32 v11, v11, v16, vcc
	v_cndmask_b32_e32 v12, v14, v15, vcc
	v_lshlrev_b32_e32 v14, 8, v13
	v_mov_b32_e32 v15, 0x3b800000
	v_lshlrev_b32_e32 v11, 20, v11
	v_and_b32_e32 v14, 0x80000000, v14
	v_lshl_add_u32 v12, v12, 23, v15
	v_or3_b32 v12, v14, v12, v11
.LBB7_1656:
	s_or_b64 exec, exec, s[6:7]
	s_nop 0
	v_mfma_f32_16x16x4f32 a[0:3], v10, v12, a[0:3]
	s_movk_i32 s4, 0x7f
	v_cmp_gt_i16_sdwa s[6:7], v17, s4 src0_sel:BYTE_3 src1_sel:DWORD
	s_mov_b64 s[4:5], 0
                                        ; implicit-def: $sgpr10
	s_and_saveexec_b64 s[8:9], s[6:7]
	s_xor_b64 s[6:7], exec, s[8:9]
	s_cbranch_execnz .LBB7_3705
; %bb.1657:
	s_or_saveexec_b64 s[6:7], s[6:7]
	v_mov_b32_e32 v10, s10
	s_xor_b64 exec, exec, s[6:7]
	s_cbranch_execnz .LBB7_3708
.LBB7_1658:
	s_or_b64 exec, exec, s[6:7]
	s_and_saveexec_b64 s[6:7], s[4:5]
	s_cbranch_execz .LBB7_1660
.LBB7_1659:
	v_bfe_u32 v10, v17, 24, 3
	v_ffbh_u32_e32 v15, v10
	v_min_u32_e32 v15, 32, v15
	v_lshrrev_b32_e32 v12, 27, v17
	v_subrev_u32_e32 v16, 28, v15
	v_and_b32_e32 v12, 15, v12
	v_lshlrev_b32_sdwa v16, v16, v17 dst_sel:DWORD dst_unused:UNUSED_PAD src0_sel:DWORD src1_sel:BYTE_3
	v_bfe_u32 v14, v17, 27, 4
	v_sub_u32_e32 v15, 29, v15
	v_and_b32_e32 v16, 7, v16
	v_cmp_eq_u16_e32 vcc, 0, v12
	v_cndmask_b32_e32 v10, v10, v16, vcc
	v_cndmask_b32_e32 v12, v14, v15, vcc
	v_mov_b32_e32 v14, 0x3b800000
	v_and_b32_e32 v11, 0x80000000, v17
	v_lshlrev_b32_e32 v10, 20, v10
	v_lshl_add_u32 v12, v12, 23, v14
	v_or3_b32 v10, v11, v12, v10
.LBB7_1660:
	s_or_b64 exec, exec, s[6:7]
	s_movk_i32 s4, 0x7f
	v_cmp_gt_i16_sdwa s[6:7], v13, s4 src0_sel:BYTE_3 src1_sel:DWORD
	s_mov_b64 s[4:5], 0
                                        ; implicit-def: $sgpr10
	s_and_saveexec_b64 s[8:9], s[6:7]
	s_xor_b64 s[6:7], exec, s[8:9]
	s_cbranch_execnz .LBB7_3709
; %bb.1661:
	s_or_saveexec_b64 s[6:7], s[6:7]
	v_mov_b32_e32 v11, s10
	s_xor_b64 exec, exec, s[6:7]
	s_cbranch_execnz .LBB7_3712
.LBB7_1662:
	s_or_b64 exec, exec, s[6:7]
	s_and_saveexec_b64 s[6:7], s[4:5]
	s_cbranch_execz .LBB7_1664
.LBB7_1663:
	v_bfe_u32 v11, v13, 24, 3
	v_ffbh_u32_e32 v16, v11
	v_min_u32_e32 v16, 32, v16
	v_lshrrev_b32_e32 v14, 27, v13
	v_subrev_u32_e32 v17, 28, v16
	v_and_b32_e32 v12, 0x80000000, v13
	v_and_b32_e32 v14, 15, v14
	v_bfe_u32 v15, v13, 27, 4
	v_lshlrev_b32_sdwa v13, v17, v13 dst_sel:DWORD dst_unused:UNUSED_PAD src0_sel:DWORD src1_sel:BYTE_3
	v_sub_u32_e32 v16, 29, v16
	v_and_b32_e32 v13, 7, v13
	v_cmp_eq_u16_e32 vcc, 0, v14
	v_cndmask_b32_e32 v11, v11, v13, vcc
	v_cndmask_b32_e32 v13, v15, v16, vcc
	v_mov_b32_e32 v14, 0x3b800000
	v_lshlrev_b32_e32 v11, 20, v11
	v_lshl_add_u32 v13, v13, 23, v14
	v_or3_b32 v11, v12, v13, v11
.LBB7_1664:
	s_or_b64 exec, exec, s[6:7]
	s_nop 0
	v_mfma_f32_16x16x4f32 a[0:3], v10, v11, a[0:3]
	s_movk_i32 s4, 0x7f
	v_cmp_gt_i16_sdwa s[6:7], v6, s4 src0_sel:BYTE_0 src1_sel:DWORD
	s_mov_b64 s[4:5], 0
                                        ; implicit-def: $sgpr10
	s_and_saveexec_b64 s[8:9], s[6:7]
	s_xor_b64 s[6:7], exec, s[8:9]
	s_cbranch_execnz .LBB7_3713
; %bb.1665:
	s_or_saveexec_b64 s[6:7], s[6:7]
	v_mov_b32_e32 v10, s10
	s_xor_b64 exec, exec, s[6:7]
	s_cbranch_execnz .LBB7_3716
.LBB7_1666:
	s_or_b64 exec, exec, s[6:7]
	s_and_saveexec_b64 s[6:7], s[4:5]
	s_cbranch_execz .LBB7_1668
.LBB7_1667:
	v_and_b32_e32 v10, 7, v6
	v_ffbh_u32_e32 v12, v10
	v_min_u32_e32 v12, 32, v12
	v_lshrrev_b16_e32 v11, 3, v6
	v_subrev_u32_e32 v13, 28, v12
	v_and_b32_e32 v11, 15, v11
	v_lshlrev_b32_e32 v13, v13, v6
	v_sub_u32_e32 v12, 29, v12
	v_and_b32_e32 v13, 7, v13
	v_cmp_eq_u16_e32 vcc, 0, v11
	v_cndmask_b32_e32 v10, v10, v13, vcc
	v_cndmask_b32_e32 v11, v11, v12, vcc
	v_lshlrev_b32_e32 v12, 24, v6
	v_mov_b32_e32 v13, 0x3b800000
	v_lshlrev_b32_e32 v10, 20, v10
	v_and_b32_e32 v12, 0x80000000, v12
	v_lshl_add_u32 v11, v11, 23, v13
	v_or3_b32 v10, v12, v11, v10
.LBB7_1668:
	s_or_b64 exec, exec, s[6:7]
	s_movk_i32 s4, 0x7f
	v_cmp_gt_i16_sdwa s[6:7], v2, s4 src0_sel:BYTE_0 src1_sel:DWORD
	s_mov_b64 s[4:5], 0
                                        ; implicit-def: $sgpr10
	s_and_saveexec_b64 s[8:9], s[6:7]
	s_xor_b64 s[6:7], exec, s[8:9]
	s_cbranch_execnz .LBB7_3717
; %bb.1669:
	s_or_saveexec_b64 s[6:7], s[6:7]
	v_mov_b32_e32 v11, s10
	s_xor_b64 exec, exec, s[6:7]
	s_cbranch_execnz .LBB7_3720
.LBB7_1670:
	s_or_b64 exec, exec, s[6:7]
	s_and_saveexec_b64 s[6:7], s[4:5]
	s_cbranch_execz .LBB7_1672
.LBB7_1671:
	v_and_b32_e32 v11, 7, v2
	v_ffbh_u32_e32 v13, v11
	v_min_u32_e32 v13, 32, v13
	v_lshrrev_b16_e32 v12, 3, v2
	v_subrev_u32_e32 v14, 28, v13
	v_and_b32_e32 v12, 15, v12
	v_lshlrev_b32_e32 v14, v14, v2
	v_sub_u32_e32 v13, 29, v13
	v_and_b32_e32 v14, 7, v14
	v_cmp_eq_u16_e32 vcc, 0, v12
	v_cndmask_b32_e32 v11, v11, v14, vcc
	v_cndmask_b32_e32 v12, v12, v13, vcc
	v_lshlrev_b32_e32 v13, 24, v2
	v_mov_b32_e32 v14, 0x3b800000
	v_lshlrev_b32_e32 v11, 20, v11
	v_and_b32_e32 v13, 0x80000000, v13
	v_lshl_add_u32 v12, v12, 23, v14
	v_or3_b32 v11, v13, v12, v11
.LBB7_1672:
	s_or_b64 exec, exec, s[6:7]
	s_nop 0
	v_mfma_f32_16x16x4f32 a[0:3], v10, v11, a[0:3]
	v_lshrrev_b32_e32 v11, 8, v6
	s_movk_i32 s4, 0x7f
	v_cmp_gt_i16_sdwa s[6:7], v11, s4 src0_sel:BYTE_0 src1_sel:DWORD
	s_mov_b64 s[4:5], 0
                                        ; implicit-def: $sgpr10
	s_and_saveexec_b64 s[8:9], s[6:7]
	s_xor_b64 s[6:7], exec, s[8:9]
	s_cbranch_execnz .LBB7_3721
; %bb.1673:
	s_or_saveexec_b64 s[6:7], s[6:7]
	v_mov_b32_e32 v10, s10
	s_xor_b64 exec, exec, s[6:7]
	s_cbranch_execnz .LBB7_3724
.LBB7_1674:
	s_or_b64 exec, exec, s[6:7]
	s_and_saveexec_b64 s[6:7], s[4:5]
	s_cbranch_execz .LBB7_1676
.LBB7_1675:
	v_bfe_u32 v10, v6, 8, 3
	v_ffbh_u32_e32 v13, v10
	v_min_u32_e32 v13, 32, v13
	v_lshrrev_b16_e32 v12, 3, v11
	v_subrev_u32_e32 v14, 28, v13
	v_and_b32_e32 v12, 15, v12
	v_lshlrev_b32_e32 v11, v14, v11
	v_sub_u32_e32 v13, 29, v13
	v_and_b32_e32 v11, 7, v11
	v_cmp_eq_u16_e32 vcc, 0, v12
	v_cndmask_b32_e32 v10, v10, v11, vcc
	v_cndmask_b32_e32 v11, v12, v13, vcc
	v_lshlrev_b32_e32 v12, 16, v6
	v_mov_b32_e32 v13, 0x3b800000
	v_lshlrev_b32_e32 v10, 20, v10
	v_and_b32_e32 v12, 0x80000000, v12
	v_lshl_add_u32 v11, v11, 23, v13
	v_or3_b32 v10, v12, v11, v10
.LBB7_1676:
	s_or_b64 exec, exec, s[6:7]
	v_lshrrev_b32_e32 v11, 8, v2
	s_movk_i32 s4, 0x7f
	v_cmp_gt_i16_sdwa s[6:7], v11, s4 src0_sel:BYTE_0 src1_sel:DWORD
	s_mov_b64 s[4:5], 0
                                        ; implicit-def: $sgpr10
	s_and_saveexec_b64 s[8:9], s[6:7]
	s_xor_b64 s[6:7], exec, s[8:9]
	s_cbranch_execnz .LBB7_3725
; %bb.1677:
	s_or_saveexec_b64 s[6:7], s[6:7]
	v_mov_b32_e32 v12, s10
	s_xor_b64 exec, exec, s[6:7]
	s_cbranch_execnz .LBB7_3728
.LBB7_1678:
	s_or_b64 exec, exec, s[6:7]
	s_and_saveexec_b64 s[6:7], s[4:5]
	s_cbranch_execz .LBB7_1680
.LBB7_1679:
	v_bfe_u32 v12, v2, 8, 3
	v_ffbh_u32_e32 v14, v12
	v_min_u32_e32 v14, 32, v14
	v_lshrrev_b16_e32 v13, 3, v11
	v_subrev_u32_e32 v15, 28, v14
	v_and_b32_e32 v13, 15, v13
	v_lshlrev_b32_e32 v11, v15, v11
	v_sub_u32_e32 v14, 29, v14
	v_and_b32_e32 v11, 7, v11
	v_cmp_eq_u16_e32 vcc, 0, v13
	v_cndmask_b32_e32 v11, v12, v11, vcc
	v_cndmask_b32_e32 v12, v13, v14, vcc
	v_lshlrev_b32_e32 v13, 16, v2
	v_mov_b32_e32 v14, 0x3b800000
	v_lshlrev_b32_e32 v11, 20, v11
	v_and_b32_e32 v13, 0x80000000, v13
	v_lshl_add_u32 v12, v12, 23, v14
	v_or3_b32 v12, v13, v12, v11
.LBB7_1680:
	s_or_b64 exec, exec, s[6:7]
	s_nop 0
	v_mfma_f32_16x16x4f32 a[0:3], v10, v12, a[0:3]
	s_movk_i32 s4, 0xff
	v_and_b32_sdwa v11, v6, s4 dst_sel:DWORD dst_unused:UNUSED_PAD src0_sel:WORD_1 src1_sel:DWORD
	s_movk_i32 s4, 0x7f
	v_cmp_lt_i16_e32 vcc, s4, v11
	s_mov_b64 s[4:5], 0
                                        ; implicit-def: $sgpr10
	s_and_saveexec_b64 s[6:7], vcc
	s_xor_b64 s[6:7], exec, s[6:7]
	s_cbranch_execnz .LBB7_3729
; %bb.1681:
	s_or_saveexec_b64 s[6:7], s[6:7]
	v_mov_b32_e32 v10, s10
	s_xor_b64 exec, exec, s[6:7]
	s_cbranch_execnz .LBB7_3732
.LBB7_1682:
	s_or_b64 exec, exec, s[6:7]
	s_and_saveexec_b64 s[6:7], s[4:5]
	s_cbranch_execz .LBB7_1684
.LBB7_1683:
	v_bfe_u32 v10, v6, 16, 3
	v_ffbh_u32_e32 v13, v10
	v_min_u32_e32 v13, 32, v13
	v_lshrrev_b32_e32 v11, 19, v6
	v_subrev_u32_e32 v14, 28, v13
	v_and_b32_e32 v11, 15, v11
	v_lshlrev_b32_sdwa v14, v14, v6 dst_sel:DWORD dst_unused:UNUSED_PAD src0_sel:DWORD src1_sel:WORD_1
	v_bfe_u32 v12, v6, 19, 4
	v_sub_u32_e32 v13, 29, v13
	v_and_b32_e32 v14, 7, v14
	v_cmp_eq_u16_e32 vcc, 0, v11
	v_cndmask_b32_e32 v10, v10, v14, vcc
	v_cndmask_b32_e32 v11, v12, v13, vcc
	v_lshlrev_b32_e32 v12, 8, v6
	v_mov_b32_e32 v13, 0x3b800000
	v_lshlrev_b32_e32 v10, 20, v10
	v_and_b32_e32 v12, 0x80000000, v12
	v_lshl_add_u32 v11, v11, 23, v13
	v_or3_b32 v10, v12, v11, v10
.LBB7_1684:
	s_or_b64 exec, exec, s[6:7]
	s_movk_i32 s4, 0xff
	v_and_b32_sdwa v11, v2, s4 dst_sel:DWORD dst_unused:UNUSED_PAD src0_sel:WORD_1 src1_sel:DWORD
	s_movk_i32 s4, 0x7f
	v_cmp_lt_i16_e32 vcc, s4, v11
	s_mov_b64 s[4:5], 0
                                        ; implicit-def: $sgpr10
	s_and_saveexec_b64 s[6:7], vcc
	s_xor_b64 s[6:7], exec, s[6:7]
	s_cbranch_execnz .LBB7_3733
; %bb.1685:
	s_or_saveexec_b64 s[6:7], s[6:7]
	v_mov_b32_e32 v12, s10
	s_xor_b64 exec, exec, s[6:7]
	s_cbranch_execnz .LBB7_3736
.LBB7_1686:
	s_or_b64 exec, exec, s[6:7]
	s_and_saveexec_b64 s[6:7], s[4:5]
	s_cbranch_execz .LBB7_1688
.LBB7_1687:
	v_bfe_u32 v11, v2, 16, 3
	v_ffbh_u32_e32 v14, v11
	v_min_u32_e32 v14, 32, v14
	v_lshrrev_b32_e32 v12, 19, v2
	v_subrev_u32_e32 v15, 28, v14
	v_and_b32_e32 v12, 15, v12
	v_lshlrev_b32_sdwa v15, v15, v2 dst_sel:DWORD dst_unused:UNUSED_PAD src0_sel:DWORD src1_sel:WORD_1
	v_bfe_u32 v13, v2, 19, 4
	v_sub_u32_e32 v14, 29, v14
	v_and_b32_e32 v15, 7, v15
	v_cmp_eq_u16_e32 vcc, 0, v12
	v_cndmask_b32_e32 v11, v11, v15, vcc
	v_cndmask_b32_e32 v12, v13, v14, vcc
	v_lshlrev_b32_e32 v13, 8, v2
	v_mov_b32_e32 v14, 0x3b800000
	v_lshlrev_b32_e32 v11, 20, v11
	v_and_b32_e32 v13, 0x80000000, v13
	v_lshl_add_u32 v12, v12, 23, v14
	v_or3_b32 v12, v13, v12, v11
.LBB7_1688:
	s_or_b64 exec, exec, s[6:7]
	s_nop 0
	v_mfma_f32_16x16x4f32 a[0:3], v10, v12, a[0:3]
	s_movk_i32 s4, 0x7f
	v_cmp_gt_i16_sdwa s[6:7], v6, s4 src0_sel:BYTE_3 src1_sel:DWORD
	s_mov_b64 s[4:5], 0
                                        ; implicit-def: $sgpr10
	s_and_saveexec_b64 s[8:9], s[6:7]
	s_xor_b64 s[6:7], exec, s[8:9]
	s_cbranch_execnz .LBB7_3737
; %bb.1689:
	s_or_saveexec_b64 s[6:7], s[6:7]
	v_mov_b32_e32 v10, s10
	s_xor_b64 exec, exec, s[6:7]
	s_cbranch_execnz .LBB7_3740
.LBB7_1690:
	s_or_b64 exec, exec, s[6:7]
	s_and_saveexec_b64 s[6:7], s[4:5]
	s_cbranch_execz .LBB7_1692
.LBB7_1691:
	v_bfe_u32 v10, v6, 24, 3
	v_ffbh_u32_e32 v14, v10
	v_min_u32_e32 v14, 32, v14
	v_lshrrev_b32_e32 v12, 27, v6
	v_subrev_u32_e32 v15, 28, v14
	v_and_b32_e32 v11, 0x80000000, v6
	v_and_b32_e32 v12, 15, v12
	v_bfe_u32 v13, v6, 27, 4
	v_lshlrev_b32_sdwa v6, v15, v6 dst_sel:DWORD dst_unused:UNUSED_PAD src0_sel:DWORD src1_sel:BYTE_3
	v_sub_u32_e32 v14, 29, v14
	v_and_b32_e32 v6, 7, v6
	v_cmp_eq_u16_e32 vcc, 0, v12
	v_cndmask_b32_e32 v6, v10, v6, vcc
	v_cndmask_b32_e32 v10, v13, v14, vcc
	v_mov_b32_e32 v12, 0x3b800000
	v_lshlrev_b32_e32 v6, 20, v6
	v_lshl_add_u32 v10, v10, 23, v12
	v_or3_b32 v10, v11, v10, v6
.LBB7_1692:
	s_or_b64 exec, exec, s[6:7]
	s_movk_i32 s4, 0x7f
	v_cmp_gt_i16_sdwa s[6:7], v2, s4 src0_sel:BYTE_3 src1_sel:DWORD
	s_mov_b64 s[4:5], 0
                                        ; implicit-def: $sgpr10
	s_and_saveexec_b64 s[8:9], s[6:7]
	s_xor_b64 s[6:7], exec, s[8:9]
	s_cbranch_execnz .LBB7_3741
; %bb.1693:
	s_or_saveexec_b64 s[6:7], s[6:7]
	v_mov_b32_e32 v6, s10
	s_xor_b64 exec, exec, s[6:7]
	s_cbranch_execnz .LBB7_3744
.LBB7_1694:
	s_or_b64 exec, exec, s[6:7]
	s_and_saveexec_b64 s[6:7], s[4:5]
	s_cbranch_execz .LBB7_1696
.LBB7_1695:
	v_bfe_u32 v6, v2, 24, 3
	v_ffbh_u32_e32 v14, v6
	v_min_u32_e32 v14, 32, v14
	v_lshrrev_b32_e32 v12, 27, v2
	v_subrev_u32_e32 v15, 28, v14
	v_and_b32_e32 v11, 0x80000000, v2
	v_and_b32_e32 v12, 15, v12
	v_bfe_u32 v13, v2, 27, 4
	v_lshlrev_b32_sdwa v2, v15, v2 dst_sel:DWORD dst_unused:UNUSED_PAD src0_sel:DWORD src1_sel:BYTE_3
	v_sub_u32_e32 v14, 29, v14
	v_and_b32_e32 v2, 7, v2
	v_cmp_eq_u16_e32 vcc, 0, v12
	v_cndmask_b32_e32 v2, v6, v2, vcc
	v_cndmask_b32_e32 v6, v13, v14, vcc
	v_mov_b32_e32 v12, 0x3b800000
	v_lshlrev_b32_e32 v2, 20, v2
	v_lshl_add_u32 v6, v6, 23, v12
	v_or3_b32 v6, v11, v6, v2
.LBB7_1696:
	s_or_b64 exec, exec, s[6:7]
	s_nop 0
	v_mfma_f32_16x16x4f32 a[0:3], v10, v6, a[0:3]
	s_movk_i32 s4, 0x7f
	v_cmp_gt_i16_sdwa s[6:7], v7, s4 src0_sel:BYTE_0 src1_sel:DWORD
	s_mov_b64 s[4:5], 0
                                        ; implicit-def: $sgpr10
	s_and_saveexec_b64 s[8:9], s[6:7]
	s_xor_b64 s[6:7], exec, s[8:9]
	s_cbranch_execnz .LBB7_3745
; %bb.1697:
	s_or_saveexec_b64 s[6:7], s[6:7]
	v_mov_b32_e32 v2, s10
	s_xor_b64 exec, exec, s[6:7]
	s_cbranch_execnz .LBB7_3748
.LBB7_1698:
	s_or_b64 exec, exec, s[6:7]
	s_and_saveexec_b64 s[6:7], s[4:5]
	s_cbranch_execz .LBB7_1700
.LBB7_1699:
	v_and_b32_e32 v2, 7, v7
	v_ffbh_u32_e32 v10, v2
	v_min_u32_e32 v10, 32, v10
	v_lshrrev_b16_e32 v6, 3, v7
	v_subrev_u32_e32 v11, 28, v10
	v_and_b32_e32 v6, 15, v6
	v_lshlrev_b32_e32 v11, v11, v7
	v_sub_u32_e32 v10, 29, v10
	v_and_b32_e32 v11, 7, v11
	v_cmp_eq_u16_e32 vcc, 0, v6
	v_cndmask_b32_e32 v2, v2, v11, vcc
	v_cndmask_b32_e32 v6, v6, v10, vcc
	v_lshlrev_b32_e32 v10, 24, v7
	v_mov_b32_e32 v11, 0x3b800000
	v_lshlrev_b32_e32 v2, 20, v2
	v_and_b32_e32 v10, 0x80000000, v10
	v_lshl_add_u32 v6, v6, 23, v11
	v_or3_b32 v2, v10, v6, v2
.LBB7_1700:
	s_or_b64 exec, exec, s[6:7]
	s_movk_i32 s4, 0x7f
	v_cmp_gt_i16_sdwa s[6:7], v3, s4 src0_sel:BYTE_0 src1_sel:DWORD
	s_mov_b64 s[4:5], 0
                                        ; implicit-def: $sgpr10
	s_and_saveexec_b64 s[8:9], s[6:7]
	s_xor_b64 s[6:7], exec, s[8:9]
	s_cbranch_execnz .LBB7_3749
; %bb.1701:
	s_or_saveexec_b64 s[6:7], s[6:7]
	v_mov_b32_e32 v6, s10
	s_xor_b64 exec, exec, s[6:7]
	s_cbranch_execnz .LBB7_3752
.LBB7_1702:
	s_or_b64 exec, exec, s[6:7]
	s_and_saveexec_b64 s[6:7], s[4:5]
	s_cbranch_execz .LBB7_1704
.LBB7_1703:
	v_and_b32_e32 v6, 7, v3
	v_ffbh_u32_e32 v11, v6
	v_min_u32_e32 v11, 32, v11
	v_lshrrev_b16_e32 v10, 3, v3
	v_subrev_u32_e32 v12, 28, v11
	v_and_b32_e32 v10, 15, v10
	v_lshlrev_b32_e32 v12, v12, v3
	v_sub_u32_e32 v11, 29, v11
	v_and_b32_e32 v12, 7, v12
	v_cmp_eq_u16_e32 vcc, 0, v10
	v_cndmask_b32_e32 v6, v6, v12, vcc
	v_cndmask_b32_e32 v10, v10, v11, vcc
	v_lshlrev_b32_e32 v11, 24, v3
	v_mov_b32_e32 v12, 0x3b800000
	v_lshlrev_b32_e32 v6, 20, v6
	v_and_b32_e32 v11, 0x80000000, v11
	v_lshl_add_u32 v10, v10, 23, v12
	v_or3_b32 v6, v11, v10, v6
.LBB7_1704:
	s_or_b64 exec, exec, s[6:7]
	s_nop 0
	v_mfma_f32_16x16x4f32 a[0:3], v2, v6, a[0:3]
	v_lshrrev_b32_e32 v6, 8, v7
	s_movk_i32 s4, 0x7f
	v_cmp_gt_i16_sdwa s[6:7], v6, s4 src0_sel:BYTE_0 src1_sel:DWORD
	s_mov_b64 s[4:5], 0
                                        ; implicit-def: $sgpr10
	s_and_saveexec_b64 s[8:9], s[6:7]
	s_xor_b64 s[6:7], exec, s[8:9]
	s_cbranch_execnz .LBB7_3753
; %bb.1705:
	s_or_saveexec_b64 s[6:7], s[6:7]
	v_mov_b32_e32 v2, s10
	s_xor_b64 exec, exec, s[6:7]
	s_cbranch_execnz .LBB7_3756
.LBB7_1706:
	s_or_b64 exec, exec, s[6:7]
	s_and_saveexec_b64 s[6:7], s[4:5]
	s_cbranch_execz .LBB7_1708
.LBB7_1707:
	v_bfe_u32 v2, v7, 8, 3
	v_ffbh_u32_e32 v11, v2
	v_min_u32_e32 v11, 32, v11
	v_lshrrev_b16_e32 v10, 3, v6
	v_subrev_u32_e32 v12, 28, v11
	v_and_b32_e32 v10, 15, v10
	v_lshlrev_b32_e32 v6, v12, v6
	v_sub_u32_e32 v11, 29, v11
	v_and_b32_e32 v6, 7, v6
	v_cmp_eq_u16_e32 vcc, 0, v10
	v_cndmask_b32_e32 v2, v2, v6, vcc
	v_cndmask_b32_e32 v6, v10, v11, vcc
	v_lshlrev_b32_e32 v10, 16, v7
	v_mov_b32_e32 v11, 0x3b800000
	v_lshlrev_b32_e32 v2, 20, v2
	v_and_b32_e32 v10, 0x80000000, v10
	v_lshl_add_u32 v6, v6, 23, v11
	v_or3_b32 v2, v10, v6, v2
.LBB7_1708:
	s_or_b64 exec, exec, s[6:7]
	v_lshrrev_b32_e32 v6, 8, v3
	s_movk_i32 s4, 0x7f
	v_cmp_gt_i16_sdwa s[6:7], v6, s4 src0_sel:BYTE_0 src1_sel:DWORD
	s_mov_b64 s[4:5], 0
                                        ; implicit-def: $sgpr10
	s_and_saveexec_b64 s[8:9], s[6:7]
	s_xor_b64 s[6:7], exec, s[8:9]
	s_cbranch_execnz .LBB7_3757
; %bb.1709:
	s_or_saveexec_b64 s[6:7], s[6:7]
	v_mov_b32_e32 v10, s10
	s_xor_b64 exec, exec, s[6:7]
	s_cbranch_execnz .LBB7_3760
.LBB7_1710:
	s_or_b64 exec, exec, s[6:7]
	s_and_saveexec_b64 s[6:7], s[4:5]
	s_cbranch_execz .LBB7_1712
.LBB7_1711:
	v_bfe_u32 v10, v3, 8, 3
	v_ffbh_u32_e32 v12, v10
	v_min_u32_e32 v12, 32, v12
	v_lshrrev_b16_e32 v11, 3, v6
	v_subrev_u32_e32 v13, 28, v12
	v_and_b32_e32 v11, 15, v11
	v_lshlrev_b32_e32 v6, v13, v6
	v_sub_u32_e32 v12, 29, v12
	v_and_b32_e32 v6, 7, v6
	v_cmp_eq_u16_e32 vcc, 0, v11
	v_cndmask_b32_e32 v6, v10, v6, vcc
	v_cndmask_b32_e32 v10, v11, v12, vcc
	v_lshlrev_b32_e32 v11, 16, v3
	v_mov_b32_e32 v12, 0x3b800000
	v_lshlrev_b32_e32 v6, 20, v6
	v_and_b32_e32 v11, 0x80000000, v11
	v_lshl_add_u32 v10, v10, 23, v12
	v_or3_b32 v10, v11, v10, v6
.LBB7_1712:
	s_or_b64 exec, exec, s[6:7]
	s_nop 0
	v_mfma_f32_16x16x4f32 a[0:3], v2, v10, a[0:3]
	s_movk_i32 s4, 0xff
	v_and_b32_sdwa v6, v7, s4 dst_sel:DWORD dst_unused:UNUSED_PAD src0_sel:WORD_1 src1_sel:DWORD
	s_movk_i32 s4, 0x7f
	v_cmp_lt_i16_e32 vcc, s4, v6
	s_mov_b64 s[4:5], 0
                                        ; implicit-def: $sgpr10
	s_and_saveexec_b64 s[6:7], vcc
	s_xor_b64 s[6:7], exec, s[6:7]
	s_cbranch_execnz .LBB7_3761
; %bb.1713:
	s_or_saveexec_b64 s[6:7], s[6:7]
	v_mov_b32_e32 v2, s10
	s_xor_b64 exec, exec, s[6:7]
	s_cbranch_execnz .LBB7_3764
.LBB7_1714:
	s_or_b64 exec, exec, s[6:7]
	s_and_saveexec_b64 s[6:7], s[4:5]
	s_cbranch_execz .LBB7_1716
.LBB7_1715:
	v_bfe_u32 v2, v7, 16, 3
	v_ffbh_u32_e32 v11, v2
	v_min_u32_e32 v11, 32, v11
	v_lshrrev_b32_e32 v6, 19, v7
	v_subrev_u32_e32 v12, 28, v11
	v_and_b32_e32 v6, 15, v6
	v_lshlrev_b32_sdwa v12, v12, v7 dst_sel:DWORD dst_unused:UNUSED_PAD src0_sel:DWORD src1_sel:WORD_1
	v_bfe_u32 v10, v7, 19, 4
	v_sub_u32_e32 v11, 29, v11
	v_and_b32_e32 v12, 7, v12
	v_cmp_eq_u16_e32 vcc, 0, v6
	v_cndmask_b32_e32 v2, v2, v12, vcc
	v_cndmask_b32_e32 v6, v10, v11, vcc
	v_lshlrev_b32_e32 v10, 8, v7
	v_mov_b32_e32 v11, 0x3b800000
	v_lshlrev_b32_e32 v2, 20, v2
	v_and_b32_e32 v10, 0x80000000, v10
	v_lshl_add_u32 v6, v6, 23, v11
	v_or3_b32 v2, v10, v6, v2
.LBB7_1716:
	s_or_b64 exec, exec, s[6:7]
	s_movk_i32 s4, 0xff
	v_and_b32_sdwa v6, v3, s4 dst_sel:DWORD dst_unused:UNUSED_PAD src0_sel:WORD_1 src1_sel:DWORD
	s_movk_i32 s4, 0x7f
	v_cmp_lt_i16_e32 vcc, s4, v6
	s_mov_b64 s[4:5], 0
                                        ; implicit-def: $sgpr10
	s_and_saveexec_b64 s[6:7], vcc
	s_xor_b64 s[6:7], exec, s[6:7]
	s_cbranch_execnz .LBB7_3765
; %bb.1717:
	s_or_saveexec_b64 s[6:7], s[6:7]
	v_mov_b32_e32 v10, s10
	s_xor_b64 exec, exec, s[6:7]
	s_cbranch_execnz .LBB7_3768
.LBB7_1718:
	s_or_b64 exec, exec, s[6:7]
	s_and_saveexec_b64 s[6:7], s[4:5]
	s_cbranch_execz .LBB7_1720
.LBB7_1719:
	v_bfe_u32 v6, v3, 16, 3
	v_ffbh_u32_e32 v12, v6
	v_min_u32_e32 v12, 32, v12
	v_lshrrev_b32_e32 v10, 19, v3
	v_subrev_u32_e32 v13, 28, v12
	v_and_b32_e32 v10, 15, v10
	v_lshlrev_b32_sdwa v13, v13, v3 dst_sel:DWORD dst_unused:UNUSED_PAD src0_sel:DWORD src1_sel:WORD_1
	v_bfe_u32 v11, v3, 19, 4
	v_sub_u32_e32 v12, 29, v12
	v_and_b32_e32 v13, 7, v13
	v_cmp_eq_u16_e32 vcc, 0, v10
	v_cndmask_b32_e32 v6, v6, v13, vcc
	v_cndmask_b32_e32 v10, v11, v12, vcc
	v_lshlrev_b32_e32 v11, 8, v3
	v_mov_b32_e32 v12, 0x3b800000
	v_lshlrev_b32_e32 v6, 20, v6
	v_and_b32_e32 v11, 0x80000000, v11
	v_lshl_add_u32 v10, v10, 23, v12
	v_or3_b32 v10, v11, v10, v6
.LBB7_1720:
	s_or_b64 exec, exec, s[6:7]
	s_nop 0
	v_mfma_f32_16x16x4f32 a[0:3], v2, v10, a[0:3]
	s_movk_i32 s4, 0x7f
	v_cmp_gt_i16_sdwa s[6:7], v7, s4 src0_sel:BYTE_3 src1_sel:DWORD
	s_mov_b64 s[4:5], 0
                                        ; implicit-def: $sgpr10
	s_and_saveexec_b64 s[8:9], s[6:7]
	s_xor_b64 s[6:7], exec, s[8:9]
	s_cbranch_execnz .LBB7_3769
; %bb.1721:
	s_or_saveexec_b64 s[6:7], s[6:7]
	v_mov_b32_e32 v2, s10
	s_xor_b64 exec, exec, s[6:7]
	s_cbranch_execnz .LBB7_3772
.LBB7_1722:
	s_or_b64 exec, exec, s[6:7]
	s_and_saveexec_b64 s[6:7], s[4:5]
	s_cbranch_execz .LBB7_1724
.LBB7_1723:
	v_bfe_u32 v2, v7, 24, 3
	v_ffbh_u32_e32 v12, v2
	v_min_u32_e32 v12, 32, v12
	v_lshrrev_b32_e32 v10, 27, v7
	v_subrev_u32_e32 v13, 28, v12
	v_and_b32_e32 v6, 0x80000000, v7
	v_and_b32_e32 v10, 15, v10
	v_bfe_u32 v11, v7, 27, 4
	v_lshlrev_b32_sdwa v7, v13, v7 dst_sel:DWORD dst_unused:UNUSED_PAD src0_sel:DWORD src1_sel:BYTE_3
	v_sub_u32_e32 v12, 29, v12
	v_and_b32_e32 v7, 7, v7
	v_cmp_eq_u16_e32 vcc, 0, v10
	v_cndmask_b32_e32 v2, v2, v7, vcc
	v_cndmask_b32_e32 v7, v11, v12, vcc
	v_mov_b32_e32 v10, 0x3b800000
	v_lshlrev_b32_e32 v2, 20, v2
	v_lshl_add_u32 v7, v7, 23, v10
	v_or3_b32 v2, v6, v7, v2
.LBB7_1724:
	s_or_b64 exec, exec, s[6:7]
	s_movk_i32 s4, 0x7f
	v_cmp_gt_i16_sdwa s[6:7], v3, s4 src0_sel:BYTE_3 src1_sel:DWORD
	s_mov_b64 s[4:5], 0
                                        ; implicit-def: $sgpr10
	s_and_saveexec_b64 s[8:9], s[6:7]
	s_xor_b64 s[6:7], exec, s[8:9]
	s_cbranch_execnz .LBB7_3773
; %bb.1725:
	s_or_saveexec_b64 s[6:7], s[6:7]
	v_mov_b32_e32 v6, s10
	s_xor_b64 exec, exec, s[6:7]
	s_cbranch_execnz .LBB7_3776
.LBB7_1726:
	s_or_b64 exec, exec, s[6:7]
	s_and_saveexec_b64 s[6:7], s[4:5]
	s_cbranch_execz .LBB7_1728
.LBB7_1727:
	v_bfe_u32 v6, v3, 24, 3
	v_ffbh_u32_e32 v12, v6
	v_min_u32_e32 v12, 32, v12
	v_lshrrev_b32_e32 v10, 27, v3
	v_subrev_u32_e32 v13, 28, v12
	v_and_b32_e32 v7, 0x80000000, v3
	v_and_b32_e32 v10, 15, v10
	v_bfe_u32 v11, v3, 27, 4
	v_lshlrev_b32_sdwa v3, v13, v3 dst_sel:DWORD dst_unused:UNUSED_PAD src0_sel:DWORD src1_sel:BYTE_3
	v_sub_u32_e32 v12, 29, v12
	v_and_b32_e32 v3, 7, v3
	v_cmp_eq_u16_e32 vcc, 0, v10
	v_cndmask_b32_e32 v3, v6, v3, vcc
	v_cndmask_b32_e32 v6, v11, v12, vcc
	v_mov_b32_e32 v10, 0x3b800000
	v_lshlrev_b32_e32 v3, 20, v3
	v_lshl_add_u32 v6, v6, 23, v10
	v_or3_b32 v6, v7, v6, v3
.LBB7_1728:
	s_or_b64 exec, exec, s[6:7]
	s_nop 0
	v_mfma_f32_16x16x4f32 a[0:3], v2, v6, a[0:3]
	s_movk_i32 s4, 0x7f
	v_cmp_gt_i16_sdwa s[6:7], v8, s4 src0_sel:BYTE_0 src1_sel:DWORD
	s_mov_b64 s[4:5], 0
                                        ; implicit-def: $sgpr10
	s_and_saveexec_b64 s[8:9], s[6:7]
	s_xor_b64 s[6:7], exec, s[8:9]
	s_cbranch_execnz .LBB7_3777
; %bb.1729:
	s_or_saveexec_b64 s[6:7], s[6:7]
	v_mov_b32_e32 v2, s10
	s_xor_b64 exec, exec, s[6:7]
	s_cbranch_execnz .LBB7_3780
.LBB7_1730:
	s_or_b64 exec, exec, s[6:7]
	s_and_saveexec_b64 s[6:7], s[4:5]
	s_cbranch_execz .LBB7_1732
.LBB7_1731:
	v_and_b32_e32 v2, 7, v8
	v_ffbh_u32_e32 v6, v2
	v_min_u32_e32 v6, 32, v6
	v_lshrrev_b16_e32 v3, 3, v8
	v_subrev_u32_e32 v7, 28, v6
	v_and_b32_e32 v3, 15, v3
	v_lshlrev_b32_e32 v7, v7, v8
	v_sub_u32_e32 v6, 29, v6
	v_and_b32_e32 v7, 7, v7
	v_cmp_eq_u16_e32 vcc, 0, v3
	v_cndmask_b32_e32 v2, v2, v7, vcc
	v_cndmask_b32_e32 v3, v3, v6, vcc
	v_lshlrev_b32_e32 v6, 24, v8
	v_mov_b32_e32 v7, 0x3b800000
	v_lshlrev_b32_e32 v2, 20, v2
	v_and_b32_e32 v6, 0x80000000, v6
	v_lshl_add_u32 v3, v3, 23, v7
	v_or3_b32 v2, v6, v3, v2
.LBB7_1732:
	s_or_b64 exec, exec, s[6:7]
	s_movk_i32 s4, 0x7f
	v_cmp_gt_i16_sdwa s[6:7], v4, s4 src0_sel:BYTE_0 src1_sel:DWORD
	s_mov_b64 s[4:5], 0
                                        ; implicit-def: $sgpr10
	s_and_saveexec_b64 s[8:9], s[6:7]
	s_xor_b64 s[6:7], exec, s[8:9]
	s_cbranch_execnz .LBB7_3781
; %bb.1733:
	s_or_saveexec_b64 s[6:7], s[6:7]
	v_mov_b32_e32 v3, s10
	s_xor_b64 exec, exec, s[6:7]
	s_cbranch_execnz .LBB7_3784
.LBB7_1734:
	s_or_b64 exec, exec, s[6:7]
	s_and_saveexec_b64 s[6:7], s[4:5]
	s_cbranch_execz .LBB7_1736
.LBB7_1735:
	v_and_b32_e32 v3, 7, v4
	v_ffbh_u32_e32 v7, v3
	v_min_u32_e32 v7, 32, v7
	v_lshrrev_b16_e32 v6, 3, v4
	v_subrev_u32_e32 v10, 28, v7
	v_and_b32_e32 v6, 15, v6
	v_lshlrev_b32_e32 v10, v10, v4
	v_sub_u32_e32 v7, 29, v7
	v_and_b32_e32 v10, 7, v10
	v_cmp_eq_u16_e32 vcc, 0, v6
	v_cndmask_b32_e32 v3, v3, v10, vcc
	v_cndmask_b32_e32 v6, v6, v7, vcc
	v_lshlrev_b32_e32 v7, 24, v4
	v_mov_b32_e32 v10, 0x3b800000
	v_lshlrev_b32_e32 v3, 20, v3
	v_and_b32_e32 v7, 0x80000000, v7
	v_lshl_add_u32 v6, v6, 23, v10
	v_or3_b32 v3, v7, v6, v3
.LBB7_1736:
	s_or_b64 exec, exec, s[6:7]
	s_nop 0
	v_mfma_f32_16x16x4f32 a[0:3], v2, v3, a[0:3]
	v_lshrrev_b32_e32 v3, 8, v8
	s_movk_i32 s4, 0x7f
	v_cmp_gt_i16_sdwa s[6:7], v3, s4 src0_sel:BYTE_0 src1_sel:DWORD
	s_mov_b64 s[4:5], 0
                                        ; implicit-def: $sgpr10
	s_and_saveexec_b64 s[8:9], s[6:7]
	s_xor_b64 s[6:7], exec, s[8:9]
	s_cbranch_execnz .LBB7_3785
; %bb.1737:
	s_or_saveexec_b64 s[6:7], s[6:7]
	v_mov_b32_e32 v2, s10
	s_xor_b64 exec, exec, s[6:7]
	s_cbranch_execnz .LBB7_3788
.LBB7_1738:
	s_or_b64 exec, exec, s[6:7]
	s_and_saveexec_b64 s[6:7], s[4:5]
	s_cbranch_execz .LBB7_1740
.LBB7_1739:
	v_bfe_u32 v2, v8, 8, 3
	v_ffbh_u32_e32 v7, v2
	v_min_u32_e32 v7, 32, v7
	v_lshrrev_b16_e32 v6, 3, v3
	v_subrev_u32_e32 v10, 28, v7
	v_and_b32_e32 v6, 15, v6
	v_lshlrev_b32_e32 v3, v10, v3
	v_sub_u32_e32 v7, 29, v7
	v_and_b32_e32 v3, 7, v3
	v_cmp_eq_u16_e32 vcc, 0, v6
	v_cndmask_b32_e32 v2, v2, v3, vcc
	v_cndmask_b32_e32 v3, v6, v7, vcc
	v_lshlrev_b32_e32 v6, 16, v8
	v_mov_b32_e32 v7, 0x3b800000
	v_lshlrev_b32_e32 v2, 20, v2
	v_and_b32_e32 v6, 0x80000000, v6
	v_lshl_add_u32 v3, v3, 23, v7
	v_or3_b32 v2, v6, v3, v2
.LBB7_1740:
	s_or_b64 exec, exec, s[6:7]
	v_lshrrev_b32_e32 v3, 8, v4
	s_movk_i32 s4, 0x7f
	v_cmp_gt_i16_sdwa s[6:7], v3, s4 src0_sel:BYTE_0 src1_sel:DWORD
	s_mov_b64 s[4:5], 0
                                        ; implicit-def: $sgpr10
	s_and_saveexec_b64 s[8:9], s[6:7]
	s_xor_b64 s[6:7], exec, s[8:9]
	s_cbranch_execnz .LBB7_3789
; %bb.1741:
	s_or_saveexec_b64 s[6:7], s[6:7]
	v_mov_b32_e32 v6, s10
	s_xor_b64 exec, exec, s[6:7]
	s_cbranch_execnz .LBB7_3792
.LBB7_1742:
	s_or_b64 exec, exec, s[6:7]
	s_and_saveexec_b64 s[6:7], s[4:5]
	s_cbranch_execz .LBB7_1744
.LBB7_1743:
	v_bfe_u32 v6, v4, 8, 3
	v_ffbh_u32_e32 v10, v6
	v_min_u32_e32 v10, 32, v10
	v_lshrrev_b16_e32 v7, 3, v3
	v_subrev_u32_e32 v11, 28, v10
	v_and_b32_e32 v7, 15, v7
	v_lshlrev_b32_e32 v3, v11, v3
	v_sub_u32_e32 v10, 29, v10
	v_and_b32_e32 v3, 7, v3
	v_cmp_eq_u16_e32 vcc, 0, v7
	v_cndmask_b32_e32 v3, v6, v3, vcc
	v_cndmask_b32_e32 v6, v7, v10, vcc
	v_lshlrev_b32_e32 v7, 16, v4
	v_mov_b32_e32 v10, 0x3b800000
	v_lshlrev_b32_e32 v3, 20, v3
	v_and_b32_e32 v7, 0x80000000, v7
	v_lshl_add_u32 v6, v6, 23, v10
	v_or3_b32 v6, v7, v6, v3
.LBB7_1744:
	s_or_b64 exec, exec, s[6:7]
	s_nop 0
	v_mfma_f32_16x16x4f32 a[0:3], v2, v6, a[0:3]
	s_movk_i32 s4, 0xff
	v_and_b32_sdwa v3, v8, s4 dst_sel:DWORD dst_unused:UNUSED_PAD src0_sel:WORD_1 src1_sel:DWORD
	s_movk_i32 s4, 0x7f
	v_cmp_lt_i16_e32 vcc, s4, v3
	s_mov_b64 s[4:5], 0
                                        ; implicit-def: $sgpr10
	s_and_saveexec_b64 s[6:7], vcc
	s_xor_b64 s[6:7], exec, s[6:7]
	s_cbranch_execnz .LBB7_3793
; %bb.1745:
	s_or_saveexec_b64 s[6:7], s[6:7]
	v_mov_b32_e32 v2, s10
	s_xor_b64 exec, exec, s[6:7]
	s_cbranch_execnz .LBB7_3796
.LBB7_1746:
	s_or_b64 exec, exec, s[6:7]
	s_and_saveexec_b64 s[6:7], s[4:5]
	s_cbranch_execz .LBB7_1748
.LBB7_1747:
	v_bfe_u32 v2, v8, 16, 3
	v_ffbh_u32_e32 v7, v2
	v_min_u32_e32 v7, 32, v7
	v_lshrrev_b32_e32 v3, 19, v8
	v_subrev_u32_e32 v10, 28, v7
	v_and_b32_e32 v3, 15, v3
	v_lshlrev_b32_sdwa v10, v10, v8 dst_sel:DWORD dst_unused:UNUSED_PAD src0_sel:DWORD src1_sel:WORD_1
	v_bfe_u32 v6, v8, 19, 4
	v_sub_u32_e32 v7, 29, v7
	v_and_b32_e32 v10, 7, v10
	v_cmp_eq_u16_e32 vcc, 0, v3
	v_cndmask_b32_e32 v2, v2, v10, vcc
	v_cndmask_b32_e32 v3, v6, v7, vcc
	v_lshlrev_b32_e32 v6, 8, v8
	v_mov_b32_e32 v7, 0x3b800000
	v_lshlrev_b32_e32 v2, 20, v2
	v_and_b32_e32 v6, 0x80000000, v6
	v_lshl_add_u32 v3, v3, 23, v7
	v_or3_b32 v2, v6, v3, v2
.LBB7_1748:
	s_or_b64 exec, exec, s[6:7]
	s_movk_i32 s4, 0xff
	v_and_b32_sdwa v3, v4, s4 dst_sel:DWORD dst_unused:UNUSED_PAD src0_sel:WORD_1 src1_sel:DWORD
	s_movk_i32 s4, 0x7f
	v_cmp_lt_i16_e32 vcc, s4, v3
	s_mov_b64 s[4:5], 0
                                        ; implicit-def: $sgpr10
	s_and_saveexec_b64 s[6:7], vcc
	s_xor_b64 s[6:7], exec, s[6:7]
	s_cbranch_execnz .LBB7_3797
; %bb.1749:
	s_or_saveexec_b64 s[6:7], s[6:7]
	v_mov_b32_e32 v6, s10
	s_xor_b64 exec, exec, s[6:7]
	s_cbranch_execnz .LBB7_3800
.LBB7_1750:
	s_or_b64 exec, exec, s[6:7]
	s_and_saveexec_b64 s[6:7], s[4:5]
	s_cbranch_execz .LBB7_1752
.LBB7_1751:
	v_bfe_u32 v3, v4, 16, 3
	v_ffbh_u32_e32 v10, v3
	v_min_u32_e32 v10, 32, v10
	v_lshrrev_b32_e32 v6, 19, v4
	v_subrev_u32_e32 v11, 28, v10
	v_and_b32_e32 v6, 15, v6
	v_lshlrev_b32_sdwa v11, v11, v4 dst_sel:DWORD dst_unused:UNUSED_PAD src0_sel:DWORD src1_sel:WORD_1
	v_bfe_u32 v7, v4, 19, 4
	v_sub_u32_e32 v10, 29, v10
	v_and_b32_e32 v11, 7, v11
	v_cmp_eq_u16_e32 vcc, 0, v6
	v_cndmask_b32_e32 v3, v3, v11, vcc
	v_cndmask_b32_e32 v6, v7, v10, vcc
	v_lshlrev_b32_e32 v7, 8, v4
	v_mov_b32_e32 v10, 0x3b800000
	v_lshlrev_b32_e32 v3, 20, v3
	v_and_b32_e32 v7, 0x80000000, v7
	v_lshl_add_u32 v6, v6, 23, v10
	v_or3_b32 v6, v7, v6, v3
.LBB7_1752:
	s_or_b64 exec, exec, s[6:7]
	s_nop 0
	v_mfma_f32_16x16x4f32 a[0:3], v2, v6, a[0:3]
	s_movk_i32 s4, 0x7f
	v_cmp_gt_i16_sdwa s[6:7], v8, s4 src0_sel:BYTE_3 src1_sel:DWORD
	s_mov_b64 s[4:5], 0
                                        ; implicit-def: $sgpr10
	s_and_saveexec_b64 s[8:9], s[6:7]
	s_xor_b64 s[6:7], exec, s[8:9]
	s_cbranch_execnz .LBB7_3801
; %bb.1753:
	s_or_saveexec_b64 s[6:7], s[6:7]
	v_mov_b32_e32 v2, s10
	s_xor_b64 exec, exec, s[6:7]
	s_cbranch_execnz .LBB7_3804
.LBB7_1754:
	s_or_b64 exec, exec, s[6:7]
	s_and_saveexec_b64 s[6:7], s[4:5]
	s_cbranch_execz .LBB7_1756
.LBB7_1755:
	v_bfe_u32 v2, v8, 24, 3
	v_ffbh_u32_e32 v10, v2
	v_min_u32_e32 v10, 32, v10
	v_lshrrev_b32_e32 v6, 27, v8
	v_subrev_u32_e32 v11, 28, v10
	v_and_b32_e32 v3, 0x80000000, v8
	v_and_b32_e32 v6, 15, v6
	v_bfe_u32 v7, v8, 27, 4
	v_lshlrev_b32_sdwa v8, v11, v8 dst_sel:DWORD dst_unused:UNUSED_PAD src0_sel:DWORD src1_sel:BYTE_3
	v_sub_u32_e32 v10, 29, v10
	v_and_b32_e32 v8, 7, v8
	v_cmp_eq_u16_e32 vcc, 0, v6
	v_cndmask_b32_e32 v2, v2, v8, vcc
	v_cndmask_b32_e32 v6, v7, v10, vcc
	v_mov_b32_e32 v7, 0x3b800000
	v_lshlrev_b32_e32 v2, 20, v2
	v_lshl_add_u32 v6, v6, 23, v7
	v_or3_b32 v2, v3, v6, v2
.LBB7_1756:
	s_or_b64 exec, exec, s[6:7]
	s_movk_i32 s4, 0x7f
	v_cmp_gt_i16_sdwa s[6:7], v4, s4 src0_sel:BYTE_3 src1_sel:DWORD
	s_mov_b64 s[4:5], 0
                                        ; implicit-def: $sgpr10
	s_and_saveexec_b64 s[8:9], s[6:7]
	s_xor_b64 s[6:7], exec, s[8:9]
	s_cbranch_execnz .LBB7_3805
; %bb.1757:
	s_or_saveexec_b64 s[6:7], s[6:7]
	v_mov_b32_e32 v3, s10
	s_xor_b64 exec, exec, s[6:7]
	s_cbranch_execnz .LBB7_3808
.LBB7_1758:
	s_or_b64 exec, exec, s[6:7]
	s_and_saveexec_b64 s[6:7], s[4:5]
	s_cbranch_execz .LBB7_1760
.LBB7_1759:
	v_bfe_u32 v3, v4, 24, 3
	v_ffbh_u32_e32 v10, v3
	v_min_u32_e32 v10, 32, v10
	v_lshrrev_b32_e32 v7, 27, v4
	v_subrev_u32_e32 v11, 28, v10
	v_and_b32_e32 v6, 0x80000000, v4
	v_and_b32_e32 v7, 15, v7
	v_bfe_u32 v8, v4, 27, 4
	v_lshlrev_b32_sdwa v4, v11, v4 dst_sel:DWORD dst_unused:UNUSED_PAD src0_sel:DWORD src1_sel:BYTE_3
	v_sub_u32_e32 v10, 29, v10
	v_and_b32_e32 v4, 7, v4
	v_cmp_eq_u16_e32 vcc, 0, v7
	v_cndmask_b32_e32 v3, v3, v4, vcc
	v_cndmask_b32_e32 v4, v8, v10, vcc
	v_mov_b32_e32 v7, 0x3b800000
	v_lshlrev_b32_e32 v3, 20, v3
	v_lshl_add_u32 v4, v4, 23, v7
	v_or3_b32 v3, v6, v4, v3
.LBB7_1760:
	s_or_b64 exec, exec, s[6:7]
	s_nop 0
	v_mfma_f32_16x16x4f32 a[0:3], v2, v3, a[0:3]
	s_movk_i32 s4, 0x7f
	v_cmp_gt_i16_sdwa s[6:7], v9, s4 src0_sel:BYTE_0 src1_sel:DWORD
	s_mov_b64 s[4:5], 0
                                        ; implicit-def: $sgpr10
	s_and_saveexec_b64 s[8:9], s[6:7]
	s_xor_b64 s[6:7], exec, s[8:9]
	s_cbranch_execnz .LBB7_3809
; %bb.1761:
	s_or_saveexec_b64 s[6:7], s[6:7]
	v_mov_b32_e32 v2, s10
	s_xor_b64 exec, exec, s[6:7]
	s_cbranch_execnz .LBB7_3812
.LBB7_1762:
	s_or_b64 exec, exec, s[6:7]
	s_and_saveexec_b64 s[6:7], s[4:5]
	s_cbranch_execz .LBB7_1764
.LBB7_1763:
	v_mov_b32_e32 v2, 8
	v_and_b32_e32 v3, 7, v9
	v_lshrrev_b32_sdwa v2, v2, v9 dst_sel:BYTE_1 dst_unused:UNUSED_PAD src0_sel:DWORD src1_sel:DWORD
	v_ffbh_u32_e32 v4, v3
	v_or_b32_sdwa v2, v9, v2 dst_sel:DWORD dst_unused:UNUSED_PAD src0_sel:BYTE_0 src1_sel:DWORD
	v_min_u32_e32 v4, 32, v4
	v_lshrrev_b16_e32 v2, 3, v2
	v_subrev_u32_e32 v6, 28, v4
	v_and_b32_e32 v2, 15, v2
	v_lshlrev_b32_e32 v6, v6, v9
	v_sub_u32_e32 v4, 29, v4
	v_and_b32_e32 v6, 7, v6
	v_cmp_eq_u16_e32 vcc, 0, v2
	v_cndmask_b32_e32 v3, v3, v6, vcc
	v_cndmask_b32_e32 v2, v2, v4, vcc
	v_lshlrev_b32_e32 v4, 24, v9
	v_mov_b32_e32 v6, 0x3b800000
	v_lshlrev_b32_e32 v3, 20, v3
	v_and_b32_e32 v4, 0x80000000, v4
	v_lshl_add_u32 v2, v2, 23, v6
	v_or3_b32 v2, v4, v2, v3
.LBB7_1764:
	s_or_b64 exec, exec, s[6:7]
	s_movk_i32 s4, 0x7f
	v_cmp_gt_i16_sdwa s[6:7], v5, s4 src0_sel:BYTE_0 src1_sel:DWORD
	s_mov_b64 s[4:5], 0
                                        ; implicit-def: $sgpr10
	s_and_saveexec_b64 s[8:9], s[6:7]
	s_xor_b64 s[6:7], exec, s[8:9]
	s_cbranch_execnz .LBB7_3813
; %bb.1765:
	s_or_saveexec_b64 s[6:7], s[6:7]
	v_mov_b32_e32 v3, s10
	s_xor_b64 exec, exec, s[6:7]
	s_cbranch_execnz .LBB7_3816
.LBB7_1766:
	s_or_b64 exec, exec, s[6:7]
	s_and_saveexec_b64 s[6:7], s[4:5]
	s_cbranch_execz .LBB7_1768
.LBB7_1767:
	v_mov_b32_e32 v3, 8
	v_and_b32_e32 v4, 7, v5
	v_lshrrev_b32_sdwa v3, v3, v5 dst_sel:BYTE_1 dst_unused:UNUSED_PAD src0_sel:DWORD src1_sel:DWORD
	v_ffbh_u32_e32 v6, v4
	v_or_b32_sdwa v3, v5, v3 dst_sel:DWORD dst_unused:UNUSED_PAD src0_sel:BYTE_0 src1_sel:DWORD
	v_min_u32_e32 v6, 32, v6
	v_lshrrev_b16_e32 v3, 3, v3
	v_subrev_u32_e32 v7, 28, v6
	v_and_b32_e32 v3, 15, v3
	v_lshlrev_b32_e32 v7, v7, v5
	v_sub_u32_e32 v6, 29, v6
	v_and_b32_e32 v7, 7, v7
	v_cmp_eq_u16_e32 vcc, 0, v3
	v_cndmask_b32_e32 v4, v4, v7, vcc
	v_cndmask_b32_e32 v3, v3, v6, vcc
	v_lshlrev_b32_e32 v6, 24, v5
	v_mov_b32_e32 v7, 0x3b800000
	v_lshlrev_b32_e32 v4, 20, v4
	v_and_b32_e32 v6, 0x80000000, v6
	v_lshl_add_u32 v3, v3, 23, v7
	v_or3_b32 v3, v6, v3, v4
.LBB7_1768:
	s_or_b64 exec, exec, s[6:7]
	s_nop 0
	v_mfma_f32_16x16x4f32 a[0:3], v2, v3, a[0:3]
	v_lshrrev_b32_e32 v3, 8, v9
	s_movk_i32 s4, 0x7f
	v_cmp_gt_i16_sdwa s[6:7], v3, s4 src0_sel:BYTE_0 src1_sel:DWORD
	s_mov_b64 s[4:5], 0
                                        ; implicit-def: $sgpr10
	s_and_saveexec_b64 s[8:9], s[6:7]
	s_xor_b64 s[6:7], exec, s[8:9]
	s_cbranch_execnz .LBB7_3817
; %bb.1769:
	s_or_saveexec_b64 s[6:7], s[6:7]
	v_mov_b32_e32 v2, s10
	s_xor_b64 exec, exec, s[6:7]
	s_cbranch_execnz .LBB7_3820
.LBB7_1770:
	s_or_b64 exec, exec, s[6:7]
	s_and_saveexec_b64 s[6:7], s[4:5]
	s_cbranch_execz .LBB7_1772
.LBB7_1771:
	v_bfe_u32 v2, v9, 8, 3
	v_ffbh_u32_e32 v6, v2
	v_min_u32_e32 v6, 32, v6
	v_lshrrev_b16_e32 v4, 3, v3
	v_subrev_u32_e32 v7, 28, v6
	v_and_b32_e32 v4, 15, v4
	v_lshlrev_b32_e32 v3, v7, v3
	v_sub_u32_e32 v6, 29, v6
	v_and_b32_e32 v3, 7, v3
	v_cmp_eq_u16_e32 vcc, 0, v4
	v_cndmask_b32_e32 v2, v2, v3, vcc
	v_cndmask_b32_e32 v3, v4, v6, vcc
	v_lshlrev_b32_e32 v4, 16, v9
	v_mov_b32_e32 v6, 0x3b800000
	v_lshlrev_b32_e32 v2, 20, v2
	v_and_b32_e32 v4, 0x80000000, v4
	v_lshl_add_u32 v3, v3, 23, v6
	v_or3_b32 v2, v4, v3, v2
.LBB7_1772:
	s_or_b64 exec, exec, s[6:7]
	v_lshrrev_b32_e32 v3, 8, v5
	s_movk_i32 s4, 0x7f
	v_cmp_gt_i16_sdwa s[6:7], v3, s4 src0_sel:BYTE_0 src1_sel:DWORD
	s_mov_b64 s[4:5], 0
                                        ; implicit-def: $sgpr10
	s_and_saveexec_b64 s[8:9], s[6:7]
	s_xor_b64 s[6:7], exec, s[8:9]
	s_cbranch_execnz .LBB7_3821
; %bb.1773:
	s_or_saveexec_b64 s[6:7], s[6:7]
	v_mov_b32_e32 v4, s10
	s_xor_b64 exec, exec, s[6:7]
	s_cbranch_execnz .LBB7_3824
.LBB7_1774:
	s_or_b64 exec, exec, s[6:7]
	s_and_saveexec_b64 s[6:7], s[4:5]
	s_cbranch_execz .LBB7_1776
.LBB7_1775:
	v_bfe_u32 v4, v5, 8, 3
	v_ffbh_u32_e32 v7, v4
	v_min_u32_e32 v7, 32, v7
	v_lshrrev_b16_e32 v6, 3, v3
	v_subrev_u32_e32 v8, 28, v7
	v_and_b32_e32 v6, 15, v6
	v_lshlrev_b32_e32 v3, v8, v3
	v_sub_u32_e32 v7, 29, v7
	v_and_b32_e32 v3, 7, v3
	v_cmp_eq_u16_e32 vcc, 0, v6
	v_cndmask_b32_e32 v3, v4, v3, vcc
	v_cndmask_b32_e32 v4, v6, v7, vcc
	v_lshlrev_b32_e32 v6, 16, v5
	v_mov_b32_e32 v7, 0x3b800000
	v_lshlrev_b32_e32 v3, 20, v3
	v_and_b32_e32 v6, 0x80000000, v6
	v_lshl_add_u32 v4, v4, 23, v7
	v_or3_b32 v4, v6, v4, v3
.LBB7_1776:
	s_or_b64 exec, exec, s[6:7]
	s_nop 0
	v_mfma_f32_16x16x4f32 a[0:3], v2, v4, a[0:3]
	s_movk_i32 s4, 0xff
	v_and_b32_sdwa v3, v9, s4 dst_sel:DWORD dst_unused:UNUSED_PAD src0_sel:WORD_1 src1_sel:DWORD
	s_movk_i32 s4, 0x7f
	v_cmp_lt_i16_e32 vcc, s4, v3
	s_mov_b64 s[4:5], 0
                                        ; implicit-def: $sgpr10
	s_and_saveexec_b64 s[6:7], vcc
	s_xor_b64 s[6:7], exec, s[6:7]
	s_cbranch_execnz .LBB7_3825
; %bb.1777:
	s_or_saveexec_b64 s[6:7], s[6:7]
	v_mov_b32_e32 v2, s10
	s_xor_b64 exec, exec, s[6:7]
	s_cbranch_execnz .LBB7_3828
.LBB7_1778:
	s_or_b64 exec, exec, s[6:7]
	s_and_saveexec_b64 s[6:7], s[4:5]
	s_cbranch_execz .LBB7_1780
.LBB7_1779:
	v_bfe_u32 v2, v9, 16, 3
	v_ffbh_u32_e32 v6, v2
	v_min_u32_e32 v6, 32, v6
	v_lshrrev_b32_e32 v3, 19, v9
	v_subrev_u32_e32 v7, 28, v6
	v_and_b32_e32 v3, 15, v3
	v_lshlrev_b32_sdwa v7, v7, v9 dst_sel:DWORD dst_unused:UNUSED_PAD src0_sel:DWORD src1_sel:WORD_1
	v_bfe_u32 v4, v9, 19, 4
	v_sub_u32_e32 v6, 29, v6
	v_and_b32_e32 v7, 7, v7
	v_cmp_eq_u16_e32 vcc, 0, v3
	v_cndmask_b32_e32 v2, v2, v7, vcc
	v_cndmask_b32_e32 v3, v4, v6, vcc
	v_lshlrev_b32_e32 v4, 8, v9
	v_mov_b32_e32 v6, 0x3b800000
	v_lshlrev_b32_e32 v2, 20, v2
	v_and_b32_e32 v4, 0x80000000, v4
	v_lshl_add_u32 v3, v3, 23, v6
	v_or3_b32 v2, v4, v3, v2
.LBB7_1780:
	s_or_b64 exec, exec, s[6:7]
	s_movk_i32 s4, 0xff
	v_and_b32_sdwa v3, v5, s4 dst_sel:DWORD dst_unused:UNUSED_PAD src0_sel:WORD_1 src1_sel:DWORD
	s_movk_i32 s4, 0x7f
	v_cmp_lt_i16_e32 vcc, s4, v3
	s_mov_b64 s[4:5], 0
                                        ; implicit-def: $sgpr10
	s_and_saveexec_b64 s[6:7], vcc
	s_xor_b64 s[6:7], exec, s[6:7]
	s_cbranch_execnz .LBB7_3829
; %bb.1781:
	s_or_saveexec_b64 s[6:7], s[6:7]
	v_mov_b32_e32 v4, s10
	s_xor_b64 exec, exec, s[6:7]
	s_cbranch_execnz .LBB7_3832
.LBB7_1782:
	s_or_b64 exec, exec, s[6:7]
	s_and_saveexec_b64 s[6:7], s[4:5]
	s_cbranch_execz .LBB7_1784
.LBB7_1783:
	v_bfe_u32 v3, v5, 16, 3
	v_ffbh_u32_e32 v7, v3
	v_min_u32_e32 v7, 32, v7
	v_lshrrev_b32_e32 v4, 19, v5
	v_subrev_u32_e32 v8, 28, v7
	v_and_b32_e32 v4, 15, v4
	v_lshlrev_b32_sdwa v8, v8, v5 dst_sel:DWORD dst_unused:UNUSED_PAD src0_sel:DWORD src1_sel:WORD_1
	v_bfe_u32 v6, v5, 19, 4
	v_sub_u32_e32 v7, 29, v7
	v_and_b32_e32 v8, 7, v8
	v_cmp_eq_u16_e32 vcc, 0, v4
	v_cndmask_b32_e32 v3, v3, v8, vcc
	v_cndmask_b32_e32 v4, v6, v7, vcc
	v_lshlrev_b32_e32 v6, 8, v5
	v_mov_b32_e32 v7, 0x3b800000
	v_lshlrev_b32_e32 v3, 20, v3
	v_and_b32_e32 v6, 0x80000000, v6
	v_lshl_add_u32 v4, v4, 23, v7
	v_or3_b32 v4, v6, v4, v3
.LBB7_1784:
	s_or_b64 exec, exec, s[6:7]
	s_nop 0
	v_mfma_f32_16x16x4f32 a[0:3], v2, v4, a[0:3]
	s_movk_i32 s4, 0x7f
	v_cmp_gt_i16_sdwa s[6:7], v9, s4 src0_sel:BYTE_3 src1_sel:DWORD
	s_mov_b64 s[4:5], 0
                                        ; implicit-def: $sgpr10
	s_and_saveexec_b64 s[8:9], s[6:7]
	s_xor_b64 s[6:7], exec, s[8:9]
	s_cbranch_execnz .LBB7_3833
; %bb.1785:
	s_or_saveexec_b64 s[6:7], s[6:7]
	v_mov_b32_e32 v2, s10
	s_xor_b64 exec, exec, s[6:7]
	s_cbranch_execnz .LBB7_3836
.LBB7_1786:
	s_or_b64 exec, exec, s[6:7]
	s_and_saveexec_b64 s[6:7], s[4:5]
	s_cbranch_execz .LBB7_1788
.LBB7_1787:
	v_bfe_u32 v2, v9, 24, 3
	v_ffbh_u32_e32 v7, v2
	v_min_u32_e32 v7, 32, v7
	v_lshrrev_b32_e32 v4, 27, v9
	v_subrev_u32_e32 v8, 28, v7
	v_and_b32_e32 v4, 15, v4
	v_lshlrev_b32_sdwa v8, v8, v9 dst_sel:DWORD dst_unused:UNUSED_PAD src0_sel:DWORD src1_sel:BYTE_3
	v_bfe_u32 v6, v9, 27, 4
	v_sub_u32_e32 v7, 29, v7
	v_and_b32_e32 v8, 7, v8
	v_cmp_eq_u16_e32 vcc, 0, v4
	v_cndmask_b32_e32 v2, v2, v8, vcc
	v_cndmask_b32_e32 v4, v6, v7, vcc
	v_mov_b32_e32 v6, 0x3b800000
	v_and_b32_e32 v3, 0x80000000, v9
	v_lshlrev_b32_e32 v2, 20, v2
	v_lshl_add_u32 v4, v4, 23, v6
	v_or3_b32 v2, v3, v4, v2
.LBB7_1788:
	s_or_b64 exec, exec, s[6:7]
	s_movk_i32 s4, 0x7f
	v_cmp_gt_i16_sdwa s[6:7], v5, s4 src0_sel:BYTE_3 src1_sel:DWORD
	s_mov_b64 s[4:5], 0
                                        ; implicit-def: $sgpr10
	s_and_saveexec_b64 s[8:9], s[6:7]
	s_xor_b64 s[6:7], exec, s[8:9]
	s_cbranch_execnz .LBB7_3837
; %bb.1789:
	s_or_saveexec_b64 s[6:7], s[6:7]
	v_mov_b32_e32 v3, s10
	s_xor_b64 exec, exec, s[6:7]
	s_cbranch_execnz .LBB7_3840
.LBB7_1790:
	s_or_b64 exec, exec, s[6:7]
	s_and_saveexec_b64 s[6:7], s[4:5]
	s_cbranch_execz .LBB7_1792
.LBB7_1791:
	v_bfe_u32 v3, v5, 24, 3
	v_ffbh_u32_e32 v8, v3
	v_min_u32_e32 v8, 32, v8
	v_lshrrev_b32_e32 v6, 27, v5
	v_subrev_u32_e32 v9, 28, v8
	v_and_b32_e32 v4, 0x80000000, v5
	v_and_b32_e32 v6, 15, v6
	v_bfe_u32 v7, v5, 27, 4
	v_lshlrev_b32_sdwa v5, v9, v5 dst_sel:DWORD dst_unused:UNUSED_PAD src0_sel:DWORD src1_sel:BYTE_3
	v_sub_u32_e32 v8, 29, v8
	v_and_b32_e32 v5, 7, v5
	v_cmp_eq_u16_e32 vcc, 0, v6
	v_cndmask_b32_e32 v3, v3, v5, vcc
	v_cndmask_b32_e32 v5, v7, v8, vcc
	v_mov_b32_e32 v6, 0x3b800000
	v_lshlrev_b32_e32 v3, 20, v3
	v_lshl_add_u32 v5, v5, 23, v6
	v_or3_b32 v3, v4, v5, v3
.LBB7_1792:
	s_or_b64 exec, exec, s[6:7]
	s_nop 0
	v_mfma_f32_16x16x4f32 a[0:3], v2, v3, a[0:3]
	s_movk_i32 s4, 0x7f
                                        ; implicit-def: $sgpr10
	s_nop 7
	s_nop 1
	flat_store_dwordx4 v[18:19], a[0:3] offset:736
	flat_load_dwordx4 v[18:21], v[0:1] offset:16
	s_nop 0
	flat_load_dwordx2 v[16:17], v[0:1] offset:32
	s_waitcnt vmcnt(0) lgkmcnt(0)
	flat_load_dwordx4 v[12:15], v[18:19] offset:32
	flat_load_dwordx4 v[4:7], v[18:19] offset:48
	;; [unrolled: 1-line block ×4, first 2 shown]
	s_waitcnt vmcnt(0) lgkmcnt(0)
	v_cmp_gt_i16_sdwa s[6:7], v12, s4 src0_sel:BYTE_0 src1_sel:DWORD
	s_mov_b64 s[4:5], 0
	s_and_saveexec_b64 s[8:9], s[6:7]
	s_xor_b64 s[6:7], exec, s[8:9]
	s_cbranch_execnz .LBB7_3841
; %bb.1793:
	s_or_saveexec_b64 s[6:7], s[6:7]
	v_mov_b32_e32 v18, s10
	s_xor_b64 exec, exec, s[6:7]
	s_cbranch_execnz .LBB7_3844
.LBB7_1794:
	s_or_b64 exec, exec, s[6:7]
	s_and_saveexec_b64 s[6:7], s[4:5]
	s_cbranch_execz .LBB7_1796
.LBB7_1795:
	v_and_b32_e32 v18, 7, v12
	v_ffbh_u32_e32 v20, v18
	v_min_u32_e32 v20, 32, v20
	v_lshrrev_b16_e32 v19, 3, v12
	v_subrev_u32_e32 v21, 28, v20
	v_and_b32_e32 v19, 15, v19
	v_lshlrev_b32_e32 v21, v21, v12
	v_sub_u32_e32 v20, 29, v20
	v_and_b32_e32 v21, 7, v21
	v_cmp_eq_u16_e32 vcc, 0, v19
	v_cndmask_b32_e32 v18, v18, v21, vcc
	v_cndmask_b32_e32 v19, v19, v20, vcc
	v_lshlrev_b32_e32 v20, 24, v12
	v_mov_b32_e32 v21, 0x3b800000
	v_lshlrev_b32_e32 v18, 20, v18
	v_and_b32_e32 v20, 0x80000000, v20
	v_lshl_add_u32 v19, v19, 23, v21
	v_or3_b32 v18, v20, v19, v18
.LBB7_1796:
	s_or_b64 exec, exec, s[6:7]
	s_movk_i32 s4, 0x7f
	v_cmp_gt_i16_sdwa s[6:7], v8, s4 src0_sel:BYTE_0 src1_sel:DWORD
	s_mov_b64 s[4:5], 0
                                        ; implicit-def: $sgpr10
	s_and_saveexec_b64 s[8:9], s[6:7]
	s_xor_b64 s[6:7], exec, s[8:9]
	s_cbranch_execnz .LBB7_3845
; %bb.1797:
	s_or_saveexec_b64 s[6:7], s[6:7]
	v_mov_b32_e32 v19, s10
	s_xor_b64 exec, exec, s[6:7]
	s_cbranch_execnz .LBB7_3848
.LBB7_1798:
	s_or_b64 exec, exec, s[6:7]
	s_and_saveexec_b64 s[6:7], s[4:5]
	s_cbranch_execz .LBB7_1800
.LBB7_1799:
	v_and_b32_e32 v19, 7, v8
	v_ffbh_u32_e32 v21, v19
	v_min_u32_e32 v21, 32, v21
	v_lshrrev_b16_e32 v20, 3, v8
	v_subrev_u32_e32 v22, 28, v21
	v_and_b32_e32 v20, 15, v20
	v_lshlrev_b32_e32 v22, v22, v8
	v_sub_u32_e32 v21, 29, v21
	v_and_b32_e32 v22, 7, v22
	v_cmp_eq_u16_e32 vcc, 0, v20
	v_cndmask_b32_e32 v19, v19, v22, vcc
	v_cndmask_b32_e32 v20, v20, v21, vcc
	v_lshlrev_b32_e32 v21, 24, v8
	v_mov_b32_e32 v22, 0x3b800000
	v_lshlrev_b32_e32 v19, 20, v19
	v_and_b32_e32 v21, 0x80000000, v21
	v_lshl_add_u32 v20, v20, 23, v22
	v_or3_b32 v19, v21, v20, v19
.LBB7_1800:
	s_or_b64 exec, exec, s[6:7]
	flat_load_dwordx4 a[0:3], v[16:17] offset:752
	s_movk_i32 s4, 0x7f
                                        ; implicit-def: $sgpr10
	s_waitcnt vmcnt(0) lgkmcnt(0)
	v_mfma_f32_16x16x4f32 a[0:3], v18, v19, a[0:3]
	v_lshrrev_b32_e32 v19, 8, v12
	v_cmp_gt_i16_sdwa s[6:7], v19, s4 src0_sel:BYTE_0 src1_sel:DWORD
	s_mov_b64 s[4:5], 0
	s_and_saveexec_b64 s[8:9], s[6:7]
	s_xor_b64 s[6:7], exec, s[8:9]
	s_cbranch_execnz .LBB7_3849
; %bb.1801:
	s_or_saveexec_b64 s[6:7], s[6:7]
	v_mov_b32_e32 v18, s10
	s_xor_b64 exec, exec, s[6:7]
	s_cbranch_execnz .LBB7_3852
.LBB7_1802:
	s_or_b64 exec, exec, s[6:7]
	s_and_saveexec_b64 s[6:7], s[4:5]
	s_cbranch_execz .LBB7_1804
.LBB7_1803:
	v_bfe_u32 v18, v12, 8, 3
	v_ffbh_u32_e32 v21, v18
	v_min_u32_e32 v21, 32, v21
	v_lshrrev_b16_e32 v20, 3, v19
	v_subrev_u32_e32 v22, 28, v21
	v_and_b32_e32 v20, 15, v20
	v_lshlrev_b32_e32 v19, v22, v19
	v_sub_u32_e32 v21, 29, v21
	v_and_b32_e32 v19, 7, v19
	v_cmp_eq_u16_e32 vcc, 0, v20
	v_cndmask_b32_e32 v18, v18, v19, vcc
	v_cndmask_b32_e32 v19, v20, v21, vcc
	v_lshlrev_b32_e32 v20, 16, v12
	v_mov_b32_e32 v21, 0x3b800000
	v_lshlrev_b32_e32 v18, 20, v18
	v_and_b32_e32 v20, 0x80000000, v20
	v_lshl_add_u32 v19, v19, 23, v21
	v_or3_b32 v18, v20, v19, v18
.LBB7_1804:
	s_or_b64 exec, exec, s[6:7]
	v_lshrrev_b32_e32 v19, 8, v8
	s_movk_i32 s4, 0x7f
	v_cmp_gt_i16_sdwa s[6:7], v19, s4 src0_sel:BYTE_0 src1_sel:DWORD
	s_mov_b64 s[4:5], 0
                                        ; implicit-def: $sgpr10
	s_and_saveexec_b64 s[8:9], s[6:7]
	s_xor_b64 s[6:7], exec, s[8:9]
	s_cbranch_execnz .LBB7_3853
; %bb.1805:
	s_or_saveexec_b64 s[6:7], s[6:7]
	v_mov_b32_e32 v20, s10
	s_xor_b64 exec, exec, s[6:7]
	s_cbranch_execnz .LBB7_3856
.LBB7_1806:
	s_or_b64 exec, exec, s[6:7]
	s_and_saveexec_b64 s[6:7], s[4:5]
	s_cbranch_execz .LBB7_1808
.LBB7_1807:
	v_bfe_u32 v20, v8, 8, 3
	v_ffbh_u32_e32 v22, v20
	v_min_u32_e32 v22, 32, v22
	v_lshrrev_b16_e32 v21, 3, v19
	v_subrev_u32_e32 v23, 28, v22
	v_and_b32_e32 v21, 15, v21
	v_lshlrev_b32_e32 v19, v23, v19
	v_sub_u32_e32 v22, 29, v22
	v_and_b32_e32 v19, 7, v19
	v_cmp_eq_u16_e32 vcc, 0, v21
	v_cndmask_b32_e32 v19, v20, v19, vcc
	v_cndmask_b32_e32 v20, v21, v22, vcc
	v_lshlrev_b32_e32 v21, 16, v8
	v_mov_b32_e32 v22, 0x3b800000
	v_lshlrev_b32_e32 v19, 20, v19
	v_and_b32_e32 v21, 0x80000000, v21
	v_lshl_add_u32 v20, v20, 23, v22
	v_or3_b32 v20, v21, v20, v19
.LBB7_1808:
	s_or_b64 exec, exec, s[6:7]
	s_nop 0
	v_mfma_f32_16x16x4f32 a[0:3], v18, v20, a[0:3]
	s_movk_i32 s4, 0xff
	v_and_b32_sdwa v19, v12, s4 dst_sel:DWORD dst_unused:UNUSED_PAD src0_sel:WORD_1 src1_sel:DWORD
	s_movk_i32 s4, 0x7f
	v_cmp_lt_i16_e32 vcc, s4, v19
	s_mov_b64 s[4:5], 0
                                        ; implicit-def: $sgpr10
	s_and_saveexec_b64 s[6:7], vcc
	s_xor_b64 s[6:7], exec, s[6:7]
	s_cbranch_execnz .LBB7_3857
; %bb.1809:
	s_or_saveexec_b64 s[6:7], s[6:7]
	v_mov_b32_e32 v18, s10
	s_xor_b64 exec, exec, s[6:7]
	s_cbranch_execnz .LBB7_3860
.LBB7_1810:
	s_or_b64 exec, exec, s[6:7]
	s_and_saveexec_b64 s[6:7], s[4:5]
	s_cbranch_execz .LBB7_1812
.LBB7_1811:
	v_bfe_u32 v18, v12, 16, 3
	v_ffbh_u32_e32 v21, v18
	v_min_u32_e32 v21, 32, v21
	v_lshrrev_b32_e32 v19, 19, v12
	v_subrev_u32_e32 v22, 28, v21
	v_and_b32_e32 v19, 15, v19
	v_lshlrev_b32_sdwa v22, v22, v12 dst_sel:DWORD dst_unused:UNUSED_PAD src0_sel:DWORD src1_sel:WORD_1
	v_bfe_u32 v20, v12, 19, 4
	v_sub_u32_e32 v21, 29, v21
	v_and_b32_e32 v22, 7, v22
	v_cmp_eq_u16_e32 vcc, 0, v19
	v_cndmask_b32_e32 v18, v18, v22, vcc
	v_cndmask_b32_e32 v19, v20, v21, vcc
	v_lshlrev_b32_e32 v20, 8, v12
	v_mov_b32_e32 v21, 0x3b800000
	v_lshlrev_b32_e32 v18, 20, v18
	v_and_b32_e32 v20, 0x80000000, v20
	v_lshl_add_u32 v19, v19, 23, v21
	v_or3_b32 v18, v20, v19, v18
.LBB7_1812:
	s_or_b64 exec, exec, s[6:7]
	s_movk_i32 s4, 0xff
	v_and_b32_sdwa v19, v8, s4 dst_sel:DWORD dst_unused:UNUSED_PAD src0_sel:WORD_1 src1_sel:DWORD
	s_movk_i32 s4, 0x7f
	v_cmp_lt_i16_e32 vcc, s4, v19
	s_mov_b64 s[4:5], 0
                                        ; implicit-def: $sgpr10
	s_and_saveexec_b64 s[6:7], vcc
	s_xor_b64 s[6:7], exec, s[6:7]
	s_cbranch_execnz .LBB7_3861
; %bb.1813:
	s_or_saveexec_b64 s[6:7], s[6:7]
	v_mov_b32_e32 v20, s10
	s_xor_b64 exec, exec, s[6:7]
	s_cbranch_execnz .LBB7_3864
.LBB7_1814:
	s_or_b64 exec, exec, s[6:7]
	s_and_saveexec_b64 s[6:7], s[4:5]
	s_cbranch_execz .LBB7_1816
.LBB7_1815:
	v_bfe_u32 v19, v8, 16, 3
	v_ffbh_u32_e32 v22, v19
	v_min_u32_e32 v22, 32, v22
	v_lshrrev_b32_e32 v20, 19, v8
	v_subrev_u32_e32 v23, 28, v22
	v_and_b32_e32 v20, 15, v20
	v_lshlrev_b32_sdwa v23, v23, v8 dst_sel:DWORD dst_unused:UNUSED_PAD src0_sel:DWORD src1_sel:WORD_1
	v_bfe_u32 v21, v8, 19, 4
	v_sub_u32_e32 v22, 29, v22
	v_and_b32_e32 v23, 7, v23
	v_cmp_eq_u16_e32 vcc, 0, v20
	v_cndmask_b32_e32 v19, v19, v23, vcc
	v_cndmask_b32_e32 v20, v21, v22, vcc
	v_lshlrev_b32_e32 v21, 8, v8
	v_mov_b32_e32 v22, 0x3b800000
	v_lshlrev_b32_e32 v19, 20, v19
	v_and_b32_e32 v21, 0x80000000, v21
	v_lshl_add_u32 v20, v20, 23, v22
	v_or3_b32 v20, v21, v20, v19
.LBB7_1816:
	s_or_b64 exec, exec, s[6:7]
	s_nop 0
	v_mfma_f32_16x16x4f32 a[0:3], v18, v20, a[0:3]
	s_movk_i32 s4, 0x7f
	v_cmp_gt_i16_sdwa s[6:7], v12, s4 src0_sel:BYTE_3 src1_sel:DWORD
	s_mov_b64 s[4:5], 0
                                        ; implicit-def: $sgpr10
	s_and_saveexec_b64 s[8:9], s[6:7]
	s_xor_b64 s[6:7], exec, s[8:9]
	s_cbranch_execnz .LBB7_3865
; %bb.1817:
	s_or_saveexec_b64 s[6:7], s[6:7]
	v_mov_b32_e32 v18, s10
	s_xor_b64 exec, exec, s[6:7]
	s_cbranch_execnz .LBB7_3868
.LBB7_1818:
	s_or_b64 exec, exec, s[6:7]
	s_and_saveexec_b64 s[6:7], s[4:5]
	s_cbranch_execz .LBB7_1820
.LBB7_1819:
	v_bfe_u32 v18, v12, 24, 3
	v_ffbh_u32_e32 v22, v18
	v_min_u32_e32 v22, 32, v22
	v_lshrrev_b32_e32 v20, 27, v12
	v_subrev_u32_e32 v23, 28, v22
	v_and_b32_e32 v19, 0x80000000, v12
	v_and_b32_e32 v20, 15, v20
	v_bfe_u32 v21, v12, 27, 4
	v_lshlrev_b32_sdwa v12, v23, v12 dst_sel:DWORD dst_unused:UNUSED_PAD src0_sel:DWORD src1_sel:BYTE_3
	v_sub_u32_e32 v22, 29, v22
	v_and_b32_e32 v12, 7, v12
	v_cmp_eq_u16_e32 vcc, 0, v20
	v_cndmask_b32_e32 v12, v18, v12, vcc
	v_cndmask_b32_e32 v18, v21, v22, vcc
	v_mov_b32_e32 v20, 0x3b800000
	v_lshlrev_b32_e32 v12, 20, v12
	v_lshl_add_u32 v18, v18, 23, v20
	v_or3_b32 v18, v19, v18, v12
.LBB7_1820:
	s_or_b64 exec, exec, s[6:7]
	s_movk_i32 s4, 0x7f
	v_cmp_gt_i16_sdwa s[6:7], v8, s4 src0_sel:BYTE_3 src1_sel:DWORD
	s_mov_b64 s[4:5], 0
                                        ; implicit-def: $sgpr10
	s_and_saveexec_b64 s[8:9], s[6:7]
	s_xor_b64 s[6:7], exec, s[8:9]
	s_cbranch_execnz .LBB7_3869
; %bb.1821:
	s_or_saveexec_b64 s[6:7], s[6:7]
	v_mov_b32_e32 v12, s10
	s_xor_b64 exec, exec, s[6:7]
	s_cbranch_execnz .LBB7_3872
.LBB7_1822:
	s_or_b64 exec, exec, s[6:7]
	s_and_saveexec_b64 s[6:7], s[4:5]
	s_cbranch_execz .LBB7_1824
.LBB7_1823:
	v_bfe_u32 v12, v8, 24, 3
	v_ffbh_u32_e32 v22, v12
	v_min_u32_e32 v22, 32, v22
	v_lshrrev_b32_e32 v20, 27, v8
	v_subrev_u32_e32 v23, 28, v22
	v_and_b32_e32 v19, 0x80000000, v8
	v_and_b32_e32 v20, 15, v20
	v_bfe_u32 v21, v8, 27, 4
	v_lshlrev_b32_sdwa v8, v23, v8 dst_sel:DWORD dst_unused:UNUSED_PAD src0_sel:DWORD src1_sel:BYTE_3
	v_sub_u32_e32 v22, 29, v22
	v_and_b32_e32 v8, 7, v8
	v_cmp_eq_u16_e32 vcc, 0, v20
	v_cndmask_b32_e32 v8, v12, v8, vcc
	v_cndmask_b32_e32 v12, v21, v22, vcc
	v_mov_b32_e32 v20, 0x3b800000
	v_lshlrev_b32_e32 v8, 20, v8
	v_lshl_add_u32 v12, v12, 23, v20
	v_or3_b32 v12, v19, v12, v8
.LBB7_1824:
	s_or_b64 exec, exec, s[6:7]
	s_nop 0
	v_mfma_f32_16x16x4f32 a[0:3], v18, v12, a[0:3]
	s_movk_i32 s4, 0x7f
	v_cmp_gt_i16_sdwa s[6:7], v13, s4 src0_sel:BYTE_0 src1_sel:DWORD
	s_mov_b64 s[4:5], 0
                                        ; implicit-def: $sgpr10
	s_and_saveexec_b64 s[8:9], s[6:7]
	s_xor_b64 s[6:7], exec, s[8:9]
	s_cbranch_execnz .LBB7_3873
; %bb.1825:
	s_or_saveexec_b64 s[6:7], s[6:7]
	v_mov_b32_e32 v8, s10
	s_xor_b64 exec, exec, s[6:7]
	s_cbranch_execnz .LBB7_3876
.LBB7_1826:
	s_or_b64 exec, exec, s[6:7]
	s_and_saveexec_b64 s[6:7], s[4:5]
	s_cbranch_execz .LBB7_1828
.LBB7_1827:
	v_and_b32_e32 v8, 7, v13
	v_ffbh_u32_e32 v18, v8
	v_min_u32_e32 v18, 32, v18
	v_lshrrev_b16_e32 v12, 3, v13
	v_subrev_u32_e32 v19, 28, v18
	v_and_b32_e32 v12, 15, v12
	v_lshlrev_b32_e32 v19, v19, v13
	v_sub_u32_e32 v18, 29, v18
	v_and_b32_e32 v19, 7, v19
	v_cmp_eq_u16_e32 vcc, 0, v12
	v_cndmask_b32_e32 v8, v8, v19, vcc
	v_cndmask_b32_e32 v12, v12, v18, vcc
	v_lshlrev_b32_e32 v18, 24, v13
	v_mov_b32_e32 v19, 0x3b800000
	v_lshlrev_b32_e32 v8, 20, v8
	v_and_b32_e32 v18, 0x80000000, v18
	v_lshl_add_u32 v12, v12, 23, v19
	v_or3_b32 v8, v18, v12, v8
.LBB7_1828:
	s_or_b64 exec, exec, s[6:7]
	s_movk_i32 s4, 0x7f
	v_cmp_gt_i16_sdwa s[6:7], v9, s4 src0_sel:BYTE_0 src1_sel:DWORD
	s_mov_b64 s[4:5], 0
                                        ; implicit-def: $sgpr10
	s_and_saveexec_b64 s[8:9], s[6:7]
	s_xor_b64 s[6:7], exec, s[8:9]
	s_cbranch_execnz .LBB7_3877
; %bb.1829:
	s_or_saveexec_b64 s[6:7], s[6:7]
	v_mov_b32_e32 v12, s10
	s_xor_b64 exec, exec, s[6:7]
	s_cbranch_execnz .LBB7_3880
.LBB7_1830:
	s_or_b64 exec, exec, s[6:7]
	s_and_saveexec_b64 s[6:7], s[4:5]
	s_cbranch_execz .LBB7_1832
.LBB7_1831:
	v_and_b32_e32 v12, 7, v9
	v_ffbh_u32_e32 v19, v12
	v_min_u32_e32 v19, 32, v19
	v_lshrrev_b16_e32 v18, 3, v9
	v_subrev_u32_e32 v20, 28, v19
	v_and_b32_e32 v18, 15, v18
	v_lshlrev_b32_e32 v20, v20, v9
	v_sub_u32_e32 v19, 29, v19
	v_and_b32_e32 v20, 7, v20
	v_cmp_eq_u16_e32 vcc, 0, v18
	v_cndmask_b32_e32 v12, v12, v20, vcc
	v_cndmask_b32_e32 v18, v18, v19, vcc
	v_lshlrev_b32_e32 v19, 24, v9
	v_mov_b32_e32 v20, 0x3b800000
	v_lshlrev_b32_e32 v12, 20, v12
	v_and_b32_e32 v19, 0x80000000, v19
	v_lshl_add_u32 v18, v18, 23, v20
	v_or3_b32 v12, v19, v18, v12
.LBB7_1832:
	s_or_b64 exec, exec, s[6:7]
	s_nop 0
	v_mfma_f32_16x16x4f32 a[0:3], v8, v12, a[0:3]
	v_lshrrev_b32_e32 v12, 8, v13
	s_movk_i32 s4, 0x7f
	v_cmp_gt_i16_sdwa s[6:7], v12, s4 src0_sel:BYTE_0 src1_sel:DWORD
	s_mov_b64 s[4:5], 0
                                        ; implicit-def: $sgpr10
	s_and_saveexec_b64 s[8:9], s[6:7]
	s_xor_b64 s[6:7], exec, s[8:9]
	s_cbranch_execnz .LBB7_3881
; %bb.1833:
	s_or_saveexec_b64 s[6:7], s[6:7]
	v_mov_b32_e32 v8, s10
	s_xor_b64 exec, exec, s[6:7]
	s_cbranch_execnz .LBB7_3884
.LBB7_1834:
	s_or_b64 exec, exec, s[6:7]
	s_and_saveexec_b64 s[6:7], s[4:5]
	s_cbranch_execz .LBB7_1836
.LBB7_1835:
	v_bfe_u32 v8, v13, 8, 3
	v_ffbh_u32_e32 v19, v8
	v_min_u32_e32 v19, 32, v19
	v_lshrrev_b16_e32 v18, 3, v12
	v_subrev_u32_e32 v20, 28, v19
	v_and_b32_e32 v18, 15, v18
	v_lshlrev_b32_e32 v12, v20, v12
	v_sub_u32_e32 v19, 29, v19
	v_and_b32_e32 v12, 7, v12
	v_cmp_eq_u16_e32 vcc, 0, v18
	v_cndmask_b32_e32 v8, v8, v12, vcc
	v_cndmask_b32_e32 v12, v18, v19, vcc
	v_lshlrev_b32_e32 v18, 16, v13
	v_mov_b32_e32 v19, 0x3b800000
	v_lshlrev_b32_e32 v8, 20, v8
	v_and_b32_e32 v18, 0x80000000, v18
	v_lshl_add_u32 v12, v12, 23, v19
	v_or3_b32 v8, v18, v12, v8
.LBB7_1836:
	s_or_b64 exec, exec, s[6:7]
	v_lshrrev_b32_e32 v12, 8, v9
	s_movk_i32 s4, 0x7f
	v_cmp_gt_i16_sdwa s[6:7], v12, s4 src0_sel:BYTE_0 src1_sel:DWORD
	s_mov_b64 s[4:5], 0
                                        ; implicit-def: $sgpr10
	s_and_saveexec_b64 s[8:9], s[6:7]
	s_xor_b64 s[6:7], exec, s[8:9]
	s_cbranch_execnz .LBB7_3885
; %bb.1837:
	s_or_saveexec_b64 s[6:7], s[6:7]
	v_mov_b32_e32 v18, s10
	s_xor_b64 exec, exec, s[6:7]
	s_cbranch_execnz .LBB7_3888
.LBB7_1838:
	s_or_b64 exec, exec, s[6:7]
	s_and_saveexec_b64 s[6:7], s[4:5]
	s_cbranch_execz .LBB7_1840
.LBB7_1839:
	v_bfe_u32 v18, v9, 8, 3
	v_ffbh_u32_e32 v20, v18
	v_min_u32_e32 v20, 32, v20
	v_lshrrev_b16_e32 v19, 3, v12
	v_subrev_u32_e32 v21, 28, v20
	v_and_b32_e32 v19, 15, v19
	v_lshlrev_b32_e32 v12, v21, v12
	v_sub_u32_e32 v20, 29, v20
	v_and_b32_e32 v12, 7, v12
	v_cmp_eq_u16_e32 vcc, 0, v19
	v_cndmask_b32_e32 v12, v18, v12, vcc
	v_cndmask_b32_e32 v18, v19, v20, vcc
	v_lshlrev_b32_e32 v19, 16, v9
	v_mov_b32_e32 v20, 0x3b800000
	v_lshlrev_b32_e32 v12, 20, v12
	v_and_b32_e32 v19, 0x80000000, v19
	v_lshl_add_u32 v18, v18, 23, v20
	v_or3_b32 v18, v19, v18, v12
.LBB7_1840:
	s_or_b64 exec, exec, s[6:7]
	s_nop 0
	v_mfma_f32_16x16x4f32 a[0:3], v8, v18, a[0:3]
	s_movk_i32 s4, 0xff
	v_and_b32_sdwa v12, v13, s4 dst_sel:DWORD dst_unused:UNUSED_PAD src0_sel:WORD_1 src1_sel:DWORD
	s_movk_i32 s4, 0x7f
	v_cmp_lt_i16_e32 vcc, s4, v12
	s_mov_b64 s[4:5], 0
                                        ; implicit-def: $sgpr10
	s_and_saveexec_b64 s[6:7], vcc
	s_xor_b64 s[6:7], exec, s[6:7]
	s_cbranch_execnz .LBB7_3889
; %bb.1841:
	s_or_saveexec_b64 s[6:7], s[6:7]
	v_mov_b32_e32 v8, s10
	s_xor_b64 exec, exec, s[6:7]
	s_cbranch_execnz .LBB7_3892
.LBB7_1842:
	s_or_b64 exec, exec, s[6:7]
	s_and_saveexec_b64 s[6:7], s[4:5]
	s_cbranch_execz .LBB7_1844
.LBB7_1843:
	v_bfe_u32 v8, v13, 16, 3
	v_ffbh_u32_e32 v19, v8
	v_min_u32_e32 v19, 32, v19
	v_lshrrev_b32_e32 v12, 19, v13
	v_subrev_u32_e32 v20, 28, v19
	v_and_b32_e32 v12, 15, v12
	v_lshlrev_b32_sdwa v20, v20, v13 dst_sel:DWORD dst_unused:UNUSED_PAD src0_sel:DWORD src1_sel:WORD_1
	v_bfe_u32 v18, v13, 19, 4
	v_sub_u32_e32 v19, 29, v19
	v_and_b32_e32 v20, 7, v20
	v_cmp_eq_u16_e32 vcc, 0, v12
	v_cndmask_b32_e32 v8, v8, v20, vcc
	v_cndmask_b32_e32 v12, v18, v19, vcc
	v_lshlrev_b32_e32 v18, 8, v13
	v_mov_b32_e32 v19, 0x3b800000
	v_lshlrev_b32_e32 v8, 20, v8
	v_and_b32_e32 v18, 0x80000000, v18
	v_lshl_add_u32 v12, v12, 23, v19
	v_or3_b32 v8, v18, v12, v8
.LBB7_1844:
	s_or_b64 exec, exec, s[6:7]
	s_movk_i32 s4, 0xff
	v_and_b32_sdwa v12, v9, s4 dst_sel:DWORD dst_unused:UNUSED_PAD src0_sel:WORD_1 src1_sel:DWORD
	s_movk_i32 s4, 0x7f
	v_cmp_lt_i16_e32 vcc, s4, v12
	s_mov_b64 s[4:5], 0
                                        ; implicit-def: $sgpr10
	s_and_saveexec_b64 s[6:7], vcc
	s_xor_b64 s[6:7], exec, s[6:7]
	s_cbranch_execnz .LBB7_3893
; %bb.1845:
	s_or_saveexec_b64 s[6:7], s[6:7]
	v_mov_b32_e32 v18, s10
	s_xor_b64 exec, exec, s[6:7]
	s_cbranch_execnz .LBB7_3896
.LBB7_1846:
	s_or_b64 exec, exec, s[6:7]
	s_and_saveexec_b64 s[6:7], s[4:5]
	s_cbranch_execz .LBB7_1848
.LBB7_1847:
	v_bfe_u32 v12, v9, 16, 3
	v_ffbh_u32_e32 v20, v12
	v_min_u32_e32 v20, 32, v20
	v_lshrrev_b32_e32 v18, 19, v9
	v_subrev_u32_e32 v21, 28, v20
	v_and_b32_e32 v18, 15, v18
	v_lshlrev_b32_sdwa v21, v21, v9 dst_sel:DWORD dst_unused:UNUSED_PAD src0_sel:DWORD src1_sel:WORD_1
	v_bfe_u32 v19, v9, 19, 4
	v_sub_u32_e32 v20, 29, v20
	v_and_b32_e32 v21, 7, v21
	v_cmp_eq_u16_e32 vcc, 0, v18
	v_cndmask_b32_e32 v12, v12, v21, vcc
	v_cndmask_b32_e32 v18, v19, v20, vcc
	v_lshlrev_b32_e32 v19, 8, v9
	v_mov_b32_e32 v20, 0x3b800000
	v_lshlrev_b32_e32 v12, 20, v12
	v_and_b32_e32 v19, 0x80000000, v19
	v_lshl_add_u32 v18, v18, 23, v20
	v_or3_b32 v18, v19, v18, v12
.LBB7_1848:
	s_or_b64 exec, exec, s[6:7]
	s_nop 0
	v_mfma_f32_16x16x4f32 a[0:3], v8, v18, a[0:3]
	s_movk_i32 s4, 0x7f
	v_cmp_gt_i16_sdwa s[6:7], v13, s4 src0_sel:BYTE_3 src1_sel:DWORD
	s_mov_b64 s[4:5], 0
                                        ; implicit-def: $sgpr10
	s_and_saveexec_b64 s[8:9], s[6:7]
	s_xor_b64 s[6:7], exec, s[8:9]
	s_cbranch_execnz .LBB7_3897
; %bb.1849:
	s_or_saveexec_b64 s[6:7], s[6:7]
	v_mov_b32_e32 v8, s10
	s_xor_b64 exec, exec, s[6:7]
	s_cbranch_execnz .LBB7_3900
.LBB7_1850:
	s_or_b64 exec, exec, s[6:7]
	s_and_saveexec_b64 s[6:7], s[4:5]
	s_cbranch_execz .LBB7_1852
.LBB7_1851:
	v_bfe_u32 v8, v13, 24, 3
	v_ffbh_u32_e32 v20, v8
	v_min_u32_e32 v20, 32, v20
	v_lshrrev_b32_e32 v18, 27, v13
	v_subrev_u32_e32 v21, 28, v20
	v_and_b32_e32 v12, 0x80000000, v13
	v_and_b32_e32 v18, 15, v18
	v_bfe_u32 v19, v13, 27, 4
	v_lshlrev_b32_sdwa v13, v21, v13 dst_sel:DWORD dst_unused:UNUSED_PAD src0_sel:DWORD src1_sel:BYTE_3
	v_sub_u32_e32 v20, 29, v20
	v_and_b32_e32 v13, 7, v13
	v_cmp_eq_u16_e32 vcc, 0, v18
	v_cndmask_b32_e32 v8, v8, v13, vcc
	v_cndmask_b32_e32 v13, v19, v20, vcc
	v_mov_b32_e32 v18, 0x3b800000
	v_lshlrev_b32_e32 v8, 20, v8
	v_lshl_add_u32 v13, v13, 23, v18
	v_or3_b32 v8, v12, v13, v8
.LBB7_1852:
	s_or_b64 exec, exec, s[6:7]
	s_movk_i32 s4, 0x7f
	v_cmp_gt_i16_sdwa s[6:7], v9, s4 src0_sel:BYTE_3 src1_sel:DWORD
	s_mov_b64 s[4:5], 0
                                        ; implicit-def: $sgpr10
	s_and_saveexec_b64 s[8:9], s[6:7]
	s_xor_b64 s[6:7], exec, s[8:9]
	s_cbranch_execnz .LBB7_3901
; %bb.1853:
	s_or_saveexec_b64 s[6:7], s[6:7]
	v_mov_b32_e32 v12, s10
	s_xor_b64 exec, exec, s[6:7]
	s_cbranch_execnz .LBB7_3904
.LBB7_1854:
	s_or_b64 exec, exec, s[6:7]
	s_and_saveexec_b64 s[6:7], s[4:5]
	s_cbranch_execz .LBB7_1856
.LBB7_1855:
	v_bfe_u32 v12, v9, 24, 3
	v_ffbh_u32_e32 v20, v12
	v_min_u32_e32 v20, 32, v20
	v_lshrrev_b32_e32 v18, 27, v9
	v_subrev_u32_e32 v21, 28, v20
	v_and_b32_e32 v13, 0x80000000, v9
	v_and_b32_e32 v18, 15, v18
	v_bfe_u32 v19, v9, 27, 4
	v_lshlrev_b32_sdwa v9, v21, v9 dst_sel:DWORD dst_unused:UNUSED_PAD src0_sel:DWORD src1_sel:BYTE_3
	v_sub_u32_e32 v20, 29, v20
	v_and_b32_e32 v9, 7, v9
	v_cmp_eq_u16_e32 vcc, 0, v18
	v_cndmask_b32_e32 v9, v12, v9, vcc
	v_cndmask_b32_e32 v12, v19, v20, vcc
	v_mov_b32_e32 v18, 0x3b800000
	v_lshlrev_b32_e32 v9, 20, v9
	v_lshl_add_u32 v12, v12, 23, v18
	v_or3_b32 v12, v13, v12, v9
.LBB7_1856:
	s_or_b64 exec, exec, s[6:7]
	s_nop 0
	v_mfma_f32_16x16x4f32 a[0:3], v8, v12, a[0:3]
	s_movk_i32 s4, 0x7f
	v_cmp_gt_i16_sdwa s[6:7], v14, s4 src0_sel:BYTE_0 src1_sel:DWORD
	s_mov_b64 s[4:5], 0
                                        ; implicit-def: $sgpr10
	s_and_saveexec_b64 s[8:9], s[6:7]
	s_xor_b64 s[6:7], exec, s[8:9]
	s_cbranch_execnz .LBB7_3905
; %bb.1857:
	s_or_saveexec_b64 s[6:7], s[6:7]
	v_mov_b32_e32 v8, s10
	s_xor_b64 exec, exec, s[6:7]
	s_cbranch_execnz .LBB7_3908
.LBB7_1858:
	s_or_b64 exec, exec, s[6:7]
	s_and_saveexec_b64 s[6:7], s[4:5]
	s_cbranch_execz .LBB7_1860
.LBB7_1859:
	v_and_b32_e32 v8, 7, v14
	v_ffbh_u32_e32 v12, v8
	v_min_u32_e32 v12, 32, v12
	v_lshrrev_b16_e32 v9, 3, v14
	v_subrev_u32_e32 v13, 28, v12
	v_and_b32_e32 v9, 15, v9
	v_lshlrev_b32_e32 v13, v13, v14
	v_sub_u32_e32 v12, 29, v12
	v_and_b32_e32 v13, 7, v13
	v_cmp_eq_u16_e32 vcc, 0, v9
	v_cndmask_b32_e32 v8, v8, v13, vcc
	v_cndmask_b32_e32 v9, v9, v12, vcc
	v_lshlrev_b32_e32 v12, 24, v14
	v_mov_b32_e32 v13, 0x3b800000
	v_lshlrev_b32_e32 v8, 20, v8
	v_and_b32_e32 v12, 0x80000000, v12
	v_lshl_add_u32 v9, v9, 23, v13
	v_or3_b32 v8, v12, v9, v8
.LBB7_1860:
	s_or_b64 exec, exec, s[6:7]
	s_movk_i32 s4, 0x7f
	v_cmp_gt_i16_sdwa s[6:7], v10, s4 src0_sel:BYTE_0 src1_sel:DWORD
	s_mov_b64 s[4:5], 0
                                        ; implicit-def: $sgpr10
	s_and_saveexec_b64 s[8:9], s[6:7]
	s_xor_b64 s[6:7], exec, s[8:9]
	s_cbranch_execnz .LBB7_3909
; %bb.1861:
	s_or_saveexec_b64 s[6:7], s[6:7]
	v_mov_b32_e32 v9, s10
	s_xor_b64 exec, exec, s[6:7]
	s_cbranch_execnz .LBB7_3912
.LBB7_1862:
	s_or_b64 exec, exec, s[6:7]
	s_and_saveexec_b64 s[6:7], s[4:5]
	s_cbranch_execz .LBB7_1864
.LBB7_1863:
	v_and_b32_e32 v9, 7, v10
	v_ffbh_u32_e32 v13, v9
	v_min_u32_e32 v13, 32, v13
	v_lshrrev_b16_e32 v12, 3, v10
	v_subrev_u32_e32 v18, 28, v13
	v_and_b32_e32 v12, 15, v12
	v_lshlrev_b32_e32 v18, v18, v10
	v_sub_u32_e32 v13, 29, v13
	v_and_b32_e32 v18, 7, v18
	v_cmp_eq_u16_e32 vcc, 0, v12
	v_cndmask_b32_e32 v9, v9, v18, vcc
	v_cndmask_b32_e32 v12, v12, v13, vcc
	v_lshlrev_b32_e32 v13, 24, v10
	v_mov_b32_e32 v18, 0x3b800000
	v_lshlrev_b32_e32 v9, 20, v9
	v_and_b32_e32 v13, 0x80000000, v13
	v_lshl_add_u32 v12, v12, 23, v18
	v_or3_b32 v9, v13, v12, v9
.LBB7_1864:
	s_or_b64 exec, exec, s[6:7]
	s_nop 0
	v_mfma_f32_16x16x4f32 a[0:3], v8, v9, a[0:3]
	v_lshrrev_b32_e32 v9, 8, v14
	s_movk_i32 s4, 0x7f
	v_cmp_gt_i16_sdwa s[6:7], v9, s4 src0_sel:BYTE_0 src1_sel:DWORD
	s_mov_b64 s[4:5], 0
                                        ; implicit-def: $sgpr10
	s_and_saveexec_b64 s[8:9], s[6:7]
	s_xor_b64 s[6:7], exec, s[8:9]
	s_cbranch_execnz .LBB7_3913
; %bb.1865:
	s_or_saveexec_b64 s[6:7], s[6:7]
	v_mov_b32_e32 v8, s10
	s_xor_b64 exec, exec, s[6:7]
	s_cbranch_execnz .LBB7_3916
.LBB7_1866:
	s_or_b64 exec, exec, s[6:7]
	s_and_saveexec_b64 s[6:7], s[4:5]
	s_cbranch_execz .LBB7_1868
.LBB7_1867:
	v_bfe_u32 v8, v14, 8, 3
	v_ffbh_u32_e32 v13, v8
	v_min_u32_e32 v13, 32, v13
	v_lshrrev_b16_e32 v12, 3, v9
	v_subrev_u32_e32 v18, 28, v13
	v_and_b32_e32 v12, 15, v12
	v_lshlrev_b32_e32 v9, v18, v9
	v_sub_u32_e32 v13, 29, v13
	v_and_b32_e32 v9, 7, v9
	v_cmp_eq_u16_e32 vcc, 0, v12
	v_cndmask_b32_e32 v8, v8, v9, vcc
	v_cndmask_b32_e32 v9, v12, v13, vcc
	v_lshlrev_b32_e32 v12, 16, v14
	v_mov_b32_e32 v13, 0x3b800000
	v_lshlrev_b32_e32 v8, 20, v8
	v_and_b32_e32 v12, 0x80000000, v12
	v_lshl_add_u32 v9, v9, 23, v13
	v_or3_b32 v8, v12, v9, v8
.LBB7_1868:
	s_or_b64 exec, exec, s[6:7]
	v_lshrrev_b32_e32 v9, 8, v10
	s_movk_i32 s4, 0x7f
	v_cmp_gt_i16_sdwa s[6:7], v9, s4 src0_sel:BYTE_0 src1_sel:DWORD
	s_mov_b64 s[4:5], 0
                                        ; implicit-def: $sgpr10
	s_and_saveexec_b64 s[8:9], s[6:7]
	s_xor_b64 s[6:7], exec, s[8:9]
	s_cbranch_execnz .LBB7_3917
; %bb.1869:
	s_or_saveexec_b64 s[6:7], s[6:7]
	v_mov_b32_e32 v12, s10
	s_xor_b64 exec, exec, s[6:7]
	s_cbranch_execnz .LBB7_3920
.LBB7_1870:
	s_or_b64 exec, exec, s[6:7]
	s_and_saveexec_b64 s[6:7], s[4:5]
	s_cbranch_execz .LBB7_1872
.LBB7_1871:
	v_bfe_u32 v12, v10, 8, 3
	v_ffbh_u32_e32 v18, v12
	v_min_u32_e32 v18, 32, v18
	v_lshrrev_b16_e32 v13, 3, v9
	v_subrev_u32_e32 v19, 28, v18
	v_and_b32_e32 v13, 15, v13
	v_lshlrev_b32_e32 v9, v19, v9
	v_sub_u32_e32 v18, 29, v18
	v_and_b32_e32 v9, 7, v9
	v_cmp_eq_u16_e32 vcc, 0, v13
	v_cndmask_b32_e32 v9, v12, v9, vcc
	v_cndmask_b32_e32 v12, v13, v18, vcc
	v_lshlrev_b32_e32 v13, 16, v10
	v_mov_b32_e32 v18, 0x3b800000
	v_lshlrev_b32_e32 v9, 20, v9
	v_and_b32_e32 v13, 0x80000000, v13
	v_lshl_add_u32 v12, v12, 23, v18
	v_or3_b32 v12, v13, v12, v9
.LBB7_1872:
	s_or_b64 exec, exec, s[6:7]
	s_nop 0
	v_mfma_f32_16x16x4f32 a[0:3], v8, v12, a[0:3]
	s_movk_i32 s4, 0xff
	v_and_b32_sdwa v9, v14, s4 dst_sel:DWORD dst_unused:UNUSED_PAD src0_sel:WORD_1 src1_sel:DWORD
	s_movk_i32 s4, 0x7f
	v_cmp_lt_i16_e32 vcc, s4, v9
	s_mov_b64 s[4:5], 0
                                        ; implicit-def: $sgpr10
	s_and_saveexec_b64 s[6:7], vcc
	s_xor_b64 s[6:7], exec, s[6:7]
	s_cbranch_execnz .LBB7_3921
; %bb.1873:
	s_or_saveexec_b64 s[6:7], s[6:7]
	v_mov_b32_e32 v8, s10
	s_xor_b64 exec, exec, s[6:7]
	s_cbranch_execnz .LBB7_3924
.LBB7_1874:
	s_or_b64 exec, exec, s[6:7]
	s_and_saveexec_b64 s[6:7], s[4:5]
	s_cbranch_execz .LBB7_1876
.LBB7_1875:
	v_bfe_u32 v8, v14, 16, 3
	v_ffbh_u32_e32 v13, v8
	v_min_u32_e32 v13, 32, v13
	v_lshrrev_b32_e32 v9, 19, v14
	v_subrev_u32_e32 v18, 28, v13
	v_and_b32_e32 v9, 15, v9
	v_lshlrev_b32_sdwa v18, v18, v14 dst_sel:DWORD dst_unused:UNUSED_PAD src0_sel:DWORD src1_sel:WORD_1
	v_bfe_u32 v12, v14, 19, 4
	v_sub_u32_e32 v13, 29, v13
	v_and_b32_e32 v18, 7, v18
	v_cmp_eq_u16_e32 vcc, 0, v9
	v_cndmask_b32_e32 v8, v8, v18, vcc
	v_cndmask_b32_e32 v9, v12, v13, vcc
	v_lshlrev_b32_e32 v12, 8, v14
	v_mov_b32_e32 v13, 0x3b800000
	v_lshlrev_b32_e32 v8, 20, v8
	v_and_b32_e32 v12, 0x80000000, v12
	v_lshl_add_u32 v9, v9, 23, v13
	v_or3_b32 v8, v12, v9, v8
.LBB7_1876:
	s_or_b64 exec, exec, s[6:7]
	s_movk_i32 s4, 0xff
	v_and_b32_sdwa v9, v10, s4 dst_sel:DWORD dst_unused:UNUSED_PAD src0_sel:WORD_1 src1_sel:DWORD
	s_movk_i32 s4, 0x7f
	v_cmp_lt_i16_e32 vcc, s4, v9
	s_mov_b64 s[4:5], 0
                                        ; implicit-def: $sgpr10
	s_and_saveexec_b64 s[6:7], vcc
	s_xor_b64 s[6:7], exec, s[6:7]
	s_cbranch_execnz .LBB7_3925
; %bb.1877:
	s_or_saveexec_b64 s[6:7], s[6:7]
	v_mov_b32_e32 v12, s10
	s_xor_b64 exec, exec, s[6:7]
	s_cbranch_execnz .LBB7_3928
.LBB7_1878:
	s_or_b64 exec, exec, s[6:7]
	s_and_saveexec_b64 s[6:7], s[4:5]
	s_cbranch_execz .LBB7_1880
.LBB7_1879:
	v_bfe_u32 v9, v10, 16, 3
	v_ffbh_u32_e32 v18, v9
	v_min_u32_e32 v18, 32, v18
	v_lshrrev_b32_e32 v12, 19, v10
	v_subrev_u32_e32 v19, 28, v18
	v_and_b32_e32 v12, 15, v12
	v_lshlrev_b32_sdwa v19, v19, v10 dst_sel:DWORD dst_unused:UNUSED_PAD src0_sel:DWORD src1_sel:WORD_1
	v_bfe_u32 v13, v10, 19, 4
	v_sub_u32_e32 v18, 29, v18
	v_and_b32_e32 v19, 7, v19
	v_cmp_eq_u16_e32 vcc, 0, v12
	v_cndmask_b32_e32 v9, v9, v19, vcc
	v_cndmask_b32_e32 v12, v13, v18, vcc
	v_lshlrev_b32_e32 v13, 8, v10
	v_mov_b32_e32 v18, 0x3b800000
	v_lshlrev_b32_e32 v9, 20, v9
	v_and_b32_e32 v13, 0x80000000, v13
	v_lshl_add_u32 v12, v12, 23, v18
	v_or3_b32 v12, v13, v12, v9
.LBB7_1880:
	s_or_b64 exec, exec, s[6:7]
	s_nop 0
	v_mfma_f32_16x16x4f32 a[0:3], v8, v12, a[0:3]
	s_movk_i32 s4, 0x7f
	v_cmp_gt_i16_sdwa s[6:7], v14, s4 src0_sel:BYTE_3 src1_sel:DWORD
	s_mov_b64 s[4:5], 0
                                        ; implicit-def: $sgpr10
	s_and_saveexec_b64 s[8:9], s[6:7]
	s_xor_b64 s[6:7], exec, s[8:9]
	s_cbranch_execnz .LBB7_3929
; %bb.1881:
	s_or_saveexec_b64 s[6:7], s[6:7]
	v_mov_b32_e32 v8, s10
	s_xor_b64 exec, exec, s[6:7]
	s_cbranch_execnz .LBB7_3932
.LBB7_1882:
	s_or_b64 exec, exec, s[6:7]
	s_and_saveexec_b64 s[6:7], s[4:5]
	s_cbranch_execz .LBB7_1884
.LBB7_1883:
	v_bfe_u32 v8, v14, 24, 3
	v_ffbh_u32_e32 v18, v8
	v_min_u32_e32 v18, 32, v18
	v_lshrrev_b32_e32 v12, 27, v14
	v_subrev_u32_e32 v19, 28, v18
	v_and_b32_e32 v9, 0x80000000, v14
	v_and_b32_e32 v12, 15, v12
	v_bfe_u32 v13, v14, 27, 4
	v_lshlrev_b32_sdwa v14, v19, v14 dst_sel:DWORD dst_unused:UNUSED_PAD src0_sel:DWORD src1_sel:BYTE_3
	v_sub_u32_e32 v18, 29, v18
	v_and_b32_e32 v14, 7, v14
	v_cmp_eq_u16_e32 vcc, 0, v12
	v_cndmask_b32_e32 v8, v8, v14, vcc
	v_cndmask_b32_e32 v12, v13, v18, vcc
	v_mov_b32_e32 v13, 0x3b800000
	v_lshlrev_b32_e32 v8, 20, v8
	v_lshl_add_u32 v12, v12, 23, v13
	v_or3_b32 v8, v9, v12, v8
.LBB7_1884:
	s_or_b64 exec, exec, s[6:7]
	s_movk_i32 s4, 0x7f
	v_cmp_gt_i16_sdwa s[6:7], v10, s4 src0_sel:BYTE_3 src1_sel:DWORD
	s_mov_b64 s[4:5], 0
                                        ; implicit-def: $sgpr10
	s_and_saveexec_b64 s[8:9], s[6:7]
	s_xor_b64 s[6:7], exec, s[8:9]
	s_cbranch_execnz .LBB7_3933
; %bb.1885:
	s_or_saveexec_b64 s[6:7], s[6:7]
	v_mov_b32_e32 v9, s10
	s_xor_b64 exec, exec, s[6:7]
	s_cbranch_execnz .LBB7_3936
.LBB7_1886:
	s_or_b64 exec, exec, s[6:7]
	s_and_saveexec_b64 s[6:7], s[4:5]
	s_cbranch_execz .LBB7_1888
.LBB7_1887:
	v_bfe_u32 v9, v10, 24, 3
	v_ffbh_u32_e32 v18, v9
	v_min_u32_e32 v18, 32, v18
	v_lshrrev_b32_e32 v13, 27, v10
	v_subrev_u32_e32 v19, 28, v18
	v_and_b32_e32 v12, 0x80000000, v10
	v_and_b32_e32 v13, 15, v13
	v_bfe_u32 v14, v10, 27, 4
	v_lshlrev_b32_sdwa v10, v19, v10 dst_sel:DWORD dst_unused:UNUSED_PAD src0_sel:DWORD src1_sel:BYTE_3
	v_sub_u32_e32 v18, 29, v18
	v_and_b32_e32 v10, 7, v10
	v_cmp_eq_u16_e32 vcc, 0, v13
	v_cndmask_b32_e32 v9, v9, v10, vcc
	v_cndmask_b32_e32 v10, v14, v18, vcc
	v_mov_b32_e32 v13, 0x3b800000
	v_lshlrev_b32_e32 v9, 20, v9
	v_lshl_add_u32 v10, v10, 23, v13
	v_or3_b32 v9, v12, v10, v9
.LBB7_1888:
	s_or_b64 exec, exec, s[6:7]
	s_nop 0
	v_mfma_f32_16x16x4f32 a[0:3], v8, v9, a[0:3]
	s_movk_i32 s4, 0x7f
	v_cmp_gt_i16_sdwa s[6:7], v15, s4 src0_sel:BYTE_0 src1_sel:DWORD
	s_mov_b64 s[4:5], 0
                                        ; implicit-def: $sgpr10
	s_and_saveexec_b64 s[8:9], s[6:7]
	s_xor_b64 s[6:7], exec, s[8:9]
	s_cbranch_execnz .LBB7_3937
; %bb.1889:
	s_or_saveexec_b64 s[6:7], s[6:7]
	v_mov_b32_e32 v8, s10
	s_xor_b64 exec, exec, s[6:7]
	s_cbranch_execnz .LBB7_3940
.LBB7_1890:
	s_or_b64 exec, exec, s[6:7]
	s_and_saveexec_b64 s[6:7], s[4:5]
	s_cbranch_execz .LBB7_1892
.LBB7_1891:
	v_and_b32_e32 v8, 7, v15
	v_ffbh_u32_e32 v10, v8
	v_min_u32_e32 v10, 32, v10
	v_lshrrev_b16_e32 v9, 3, v15
	v_subrev_u32_e32 v12, 28, v10
	v_and_b32_e32 v9, 15, v9
	v_lshlrev_b32_e32 v12, v12, v15
	v_sub_u32_e32 v10, 29, v10
	v_and_b32_e32 v12, 7, v12
	v_cmp_eq_u16_e32 vcc, 0, v9
	v_cndmask_b32_e32 v8, v8, v12, vcc
	v_cndmask_b32_e32 v9, v9, v10, vcc
	v_lshlrev_b32_e32 v10, 24, v15
	v_mov_b32_e32 v12, 0x3b800000
	v_lshlrev_b32_e32 v8, 20, v8
	v_and_b32_e32 v10, 0x80000000, v10
	v_lshl_add_u32 v9, v9, 23, v12
	v_or3_b32 v8, v10, v9, v8
.LBB7_1892:
	s_or_b64 exec, exec, s[6:7]
	s_movk_i32 s4, 0x7f
	v_cmp_gt_i16_sdwa s[6:7], v11, s4 src0_sel:BYTE_0 src1_sel:DWORD
	s_mov_b64 s[4:5], 0
                                        ; implicit-def: $sgpr10
	s_and_saveexec_b64 s[8:9], s[6:7]
	s_xor_b64 s[6:7], exec, s[8:9]
	s_cbranch_execnz .LBB7_3941
; %bb.1893:
	s_or_saveexec_b64 s[6:7], s[6:7]
	v_mov_b32_e32 v9, s10
	s_xor_b64 exec, exec, s[6:7]
	s_cbranch_execnz .LBB7_3944
.LBB7_1894:
	s_or_b64 exec, exec, s[6:7]
	s_and_saveexec_b64 s[6:7], s[4:5]
	s_cbranch_execz .LBB7_1896
.LBB7_1895:
	v_and_b32_e32 v9, 7, v11
	v_ffbh_u32_e32 v12, v9
	v_min_u32_e32 v12, 32, v12
	v_lshrrev_b16_e32 v10, 3, v11
	v_subrev_u32_e32 v13, 28, v12
	v_and_b32_e32 v10, 15, v10
	v_lshlrev_b32_e32 v13, v13, v11
	v_sub_u32_e32 v12, 29, v12
	v_and_b32_e32 v13, 7, v13
	v_cmp_eq_u16_e32 vcc, 0, v10
	v_cndmask_b32_e32 v9, v9, v13, vcc
	v_cndmask_b32_e32 v10, v10, v12, vcc
	v_lshlrev_b32_e32 v12, 24, v11
	v_mov_b32_e32 v13, 0x3b800000
	v_lshlrev_b32_e32 v9, 20, v9
	v_and_b32_e32 v12, 0x80000000, v12
	v_lshl_add_u32 v10, v10, 23, v13
	v_or3_b32 v9, v12, v10, v9
.LBB7_1896:
	s_or_b64 exec, exec, s[6:7]
	s_nop 0
	v_mfma_f32_16x16x4f32 a[0:3], v8, v9, a[0:3]
	v_lshrrev_b32_e32 v9, 8, v15
	s_movk_i32 s4, 0x7f
	v_cmp_gt_i16_sdwa s[6:7], v9, s4 src0_sel:BYTE_0 src1_sel:DWORD
	s_mov_b64 s[4:5], 0
                                        ; implicit-def: $sgpr10
	s_and_saveexec_b64 s[8:9], s[6:7]
	s_xor_b64 s[6:7], exec, s[8:9]
	s_cbranch_execnz .LBB7_3945
; %bb.1897:
	s_or_saveexec_b64 s[6:7], s[6:7]
	v_mov_b32_e32 v8, s10
	s_xor_b64 exec, exec, s[6:7]
	s_cbranch_execnz .LBB7_3948
.LBB7_1898:
	s_or_b64 exec, exec, s[6:7]
	s_and_saveexec_b64 s[6:7], s[4:5]
	s_cbranch_execz .LBB7_1900
.LBB7_1899:
	v_bfe_u32 v8, v15, 8, 3
	v_ffbh_u32_e32 v12, v8
	v_min_u32_e32 v12, 32, v12
	v_lshrrev_b16_e32 v10, 3, v9
	v_subrev_u32_e32 v13, 28, v12
	v_and_b32_e32 v10, 15, v10
	v_lshlrev_b32_e32 v9, v13, v9
	v_sub_u32_e32 v12, 29, v12
	v_and_b32_e32 v9, 7, v9
	v_cmp_eq_u16_e32 vcc, 0, v10
	v_cndmask_b32_e32 v8, v8, v9, vcc
	v_cndmask_b32_e32 v9, v10, v12, vcc
	v_lshlrev_b32_e32 v10, 16, v15
	v_mov_b32_e32 v12, 0x3b800000
	v_lshlrev_b32_e32 v8, 20, v8
	v_and_b32_e32 v10, 0x80000000, v10
	v_lshl_add_u32 v9, v9, 23, v12
	v_or3_b32 v8, v10, v9, v8
.LBB7_1900:
	s_or_b64 exec, exec, s[6:7]
	v_lshrrev_b32_e32 v9, 8, v11
	s_movk_i32 s4, 0x7f
	v_cmp_gt_i16_sdwa s[6:7], v9, s4 src0_sel:BYTE_0 src1_sel:DWORD
	s_mov_b64 s[4:5], 0
                                        ; implicit-def: $sgpr10
	s_and_saveexec_b64 s[8:9], s[6:7]
	s_xor_b64 s[6:7], exec, s[8:9]
	s_cbranch_execnz .LBB7_3949
; %bb.1901:
	s_or_saveexec_b64 s[6:7], s[6:7]
	v_mov_b32_e32 v10, s10
	s_xor_b64 exec, exec, s[6:7]
	s_cbranch_execnz .LBB7_3952
.LBB7_1902:
	s_or_b64 exec, exec, s[6:7]
	s_and_saveexec_b64 s[6:7], s[4:5]
	s_cbranch_execz .LBB7_1904
.LBB7_1903:
	v_bfe_u32 v10, v11, 8, 3
	v_ffbh_u32_e32 v13, v10
	v_min_u32_e32 v13, 32, v13
	v_lshrrev_b16_e32 v12, 3, v9
	v_subrev_u32_e32 v14, 28, v13
	v_and_b32_e32 v12, 15, v12
	v_lshlrev_b32_e32 v9, v14, v9
	v_sub_u32_e32 v13, 29, v13
	v_and_b32_e32 v9, 7, v9
	v_cmp_eq_u16_e32 vcc, 0, v12
	v_cndmask_b32_e32 v9, v10, v9, vcc
	v_cndmask_b32_e32 v10, v12, v13, vcc
	v_lshlrev_b32_e32 v12, 16, v11
	v_mov_b32_e32 v13, 0x3b800000
	v_lshlrev_b32_e32 v9, 20, v9
	v_and_b32_e32 v12, 0x80000000, v12
	v_lshl_add_u32 v10, v10, 23, v13
	v_or3_b32 v10, v12, v10, v9
.LBB7_1904:
	s_or_b64 exec, exec, s[6:7]
	s_nop 0
	v_mfma_f32_16x16x4f32 a[0:3], v8, v10, a[0:3]
	s_movk_i32 s4, 0xff
	v_and_b32_sdwa v9, v15, s4 dst_sel:DWORD dst_unused:UNUSED_PAD src0_sel:WORD_1 src1_sel:DWORD
	s_movk_i32 s4, 0x7f
	v_cmp_lt_i16_e32 vcc, s4, v9
	s_mov_b64 s[4:5], 0
                                        ; implicit-def: $sgpr10
	s_and_saveexec_b64 s[6:7], vcc
	s_xor_b64 s[6:7], exec, s[6:7]
	s_cbranch_execnz .LBB7_3953
; %bb.1905:
	s_or_saveexec_b64 s[6:7], s[6:7]
	v_mov_b32_e32 v8, s10
	s_xor_b64 exec, exec, s[6:7]
	s_cbranch_execnz .LBB7_3956
.LBB7_1906:
	s_or_b64 exec, exec, s[6:7]
	s_and_saveexec_b64 s[6:7], s[4:5]
	s_cbranch_execz .LBB7_1908
.LBB7_1907:
	v_bfe_u32 v8, v15, 16, 3
	v_ffbh_u32_e32 v12, v8
	v_min_u32_e32 v12, 32, v12
	v_lshrrev_b32_e32 v9, 19, v15
	v_subrev_u32_e32 v13, 28, v12
	v_and_b32_e32 v9, 15, v9
	v_lshlrev_b32_sdwa v13, v13, v15 dst_sel:DWORD dst_unused:UNUSED_PAD src0_sel:DWORD src1_sel:WORD_1
	v_bfe_u32 v10, v15, 19, 4
	v_sub_u32_e32 v12, 29, v12
	v_and_b32_e32 v13, 7, v13
	v_cmp_eq_u16_e32 vcc, 0, v9
	v_cndmask_b32_e32 v8, v8, v13, vcc
	v_cndmask_b32_e32 v9, v10, v12, vcc
	v_lshlrev_b32_e32 v10, 8, v15
	v_mov_b32_e32 v12, 0x3b800000
	v_lshlrev_b32_e32 v8, 20, v8
	v_and_b32_e32 v10, 0x80000000, v10
	v_lshl_add_u32 v9, v9, 23, v12
	v_or3_b32 v8, v10, v9, v8
.LBB7_1908:
	s_or_b64 exec, exec, s[6:7]
	s_movk_i32 s4, 0xff
	v_and_b32_sdwa v9, v11, s4 dst_sel:DWORD dst_unused:UNUSED_PAD src0_sel:WORD_1 src1_sel:DWORD
	s_movk_i32 s4, 0x7f
	v_cmp_lt_i16_e32 vcc, s4, v9
	s_mov_b64 s[4:5], 0
                                        ; implicit-def: $sgpr10
	s_and_saveexec_b64 s[6:7], vcc
	s_xor_b64 s[6:7], exec, s[6:7]
	s_cbranch_execnz .LBB7_3957
; %bb.1909:
	s_or_saveexec_b64 s[6:7], s[6:7]
	v_mov_b32_e32 v10, s10
	s_xor_b64 exec, exec, s[6:7]
	s_cbranch_execnz .LBB7_3960
.LBB7_1910:
	s_or_b64 exec, exec, s[6:7]
	s_and_saveexec_b64 s[6:7], s[4:5]
	s_cbranch_execz .LBB7_1912
.LBB7_1911:
	v_bfe_u32 v9, v11, 16, 3
	v_ffbh_u32_e32 v13, v9
	v_min_u32_e32 v13, 32, v13
	v_lshrrev_b32_e32 v10, 19, v11
	v_subrev_u32_e32 v14, 28, v13
	v_and_b32_e32 v10, 15, v10
	v_lshlrev_b32_sdwa v14, v14, v11 dst_sel:DWORD dst_unused:UNUSED_PAD src0_sel:DWORD src1_sel:WORD_1
	v_bfe_u32 v12, v11, 19, 4
	v_sub_u32_e32 v13, 29, v13
	v_and_b32_e32 v14, 7, v14
	v_cmp_eq_u16_e32 vcc, 0, v10
	v_cndmask_b32_e32 v9, v9, v14, vcc
	v_cndmask_b32_e32 v10, v12, v13, vcc
	v_lshlrev_b32_e32 v12, 8, v11
	v_mov_b32_e32 v13, 0x3b800000
	v_lshlrev_b32_e32 v9, 20, v9
	v_and_b32_e32 v12, 0x80000000, v12
	v_lshl_add_u32 v10, v10, 23, v13
	v_or3_b32 v10, v12, v10, v9
.LBB7_1912:
	s_or_b64 exec, exec, s[6:7]
	s_nop 0
	v_mfma_f32_16x16x4f32 a[0:3], v8, v10, a[0:3]
	s_movk_i32 s4, 0x7f
	v_cmp_gt_i16_sdwa s[6:7], v15, s4 src0_sel:BYTE_3 src1_sel:DWORD
	s_mov_b64 s[4:5], 0
                                        ; implicit-def: $sgpr10
	s_and_saveexec_b64 s[8:9], s[6:7]
	s_xor_b64 s[6:7], exec, s[8:9]
	s_cbranch_execnz .LBB7_3961
; %bb.1913:
	s_or_saveexec_b64 s[6:7], s[6:7]
	v_mov_b32_e32 v8, s10
	s_xor_b64 exec, exec, s[6:7]
	s_cbranch_execnz .LBB7_3964
.LBB7_1914:
	s_or_b64 exec, exec, s[6:7]
	s_and_saveexec_b64 s[6:7], s[4:5]
	s_cbranch_execz .LBB7_1916
.LBB7_1915:
	v_bfe_u32 v8, v15, 24, 3
	v_ffbh_u32_e32 v13, v8
	v_min_u32_e32 v13, 32, v13
	v_lshrrev_b32_e32 v10, 27, v15
	v_subrev_u32_e32 v14, 28, v13
	v_and_b32_e32 v10, 15, v10
	v_lshlrev_b32_sdwa v14, v14, v15 dst_sel:DWORD dst_unused:UNUSED_PAD src0_sel:DWORD src1_sel:BYTE_3
	v_bfe_u32 v12, v15, 27, 4
	v_sub_u32_e32 v13, 29, v13
	v_and_b32_e32 v14, 7, v14
	v_cmp_eq_u16_e32 vcc, 0, v10
	v_cndmask_b32_e32 v8, v8, v14, vcc
	v_cndmask_b32_e32 v10, v12, v13, vcc
	v_mov_b32_e32 v12, 0x3b800000
	v_and_b32_e32 v9, 0x80000000, v15
	v_lshlrev_b32_e32 v8, 20, v8
	v_lshl_add_u32 v10, v10, 23, v12
	v_or3_b32 v8, v9, v10, v8
.LBB7_1916:
	s_or_b64 exec, exec, s[6:7]
	s_movk_i32 s4, 0x7f
	v_cmp_gt_i16_sdwa s[6:7], v11, s4 src0_sel:BYTE_3 src1_sel:DWORD
	s_mov_b64 s[4:5], 0
                                        ; implicit-def: $sgpr10
	s_and_saveexec_b64 s[8:9], s[6:7]
	s_xor_b64 s[6:7], exec, s[8:9]
	s_cbranch_execnz .LBB7_3965
; %bb.1917:
	s_or_saveexec_b64 s[6:7], s[6:7]
	v_mov_b32_e32 v9, s10
	s_xor_b64 exec, exec, s[6:7]
	s_cbranch_execnz .LBB7_3968
.LBB7_1918:
	s_or_b64 exec, exec, s[6:7]
	s_and_saveexec_b64 s[6:7], s[4:5]
	s_cbranch_execz .LBB7_1920
.LBB7_1919:
	v_bfe_u32 v9, v11, 24, 3
	v_ffbh_u32_e32 v14, v9
	v_min_u32_e32 v14, 32, v14
	v_lshrrev_b32_e32 v12, 27, v11
	v_subrev_u32_e32 v15, 28, v14
	v_and_b32_e32 v10, 0x80000000, v11
	v_and_b32_e32 v12, 15, v12
	v_bfe_u32 v13, v11, 27, 4
	v_lshlrev_b32_sdwa v11, v15, v11 dst_sel:DWORD dst_unused:UNUSED_PAD src0_sel:DWORD src1_sel:BYTE_3
	v_sub_u32_e32 v14, 29, v14
	v_and_b32_e32 v11, 7, v11
	v_cmp_eq_u16_e32 vcc, 0, v12
	v_cndmask_b32_e32 v9, v9, v11, vcc
	v_cndmask_b32_e32 v11, v13, v14, vcc
	v_mov_b32_e32 v12, 0x3b800000
	v_lshlrev_b32_e32 v9, 20, v9
	v_lshl_add_u32 v11, v11, 23, v12
	v_or3_b32 v9, v10, v11, v9
.LBB7_1920:
	s_or_b64 exec, exec, s[6:7]
	s_nop 0
	v_mfma_f32_16x16x4f32 a[0:3], v8, v9, a[0:3]
	s_movk_i32 s4, 0x7f
	v_cmp_gt_i16_sdwa s[6:7], v4, s4 src0_sel:BYTE_0 src1_sel:DWORD
	s_mov_b64 s[4:5], 0
                                        ; implicit-def: $sgpr10
	s_and_saveexec_b64 s[8:9], s[6:7]
	s_xor_b64 s[6:7], exec, s[8:9]
	s_cbranch_execnz .LBB7_3969
; %bb.1921:
	s_or_saveexec_b64 s[6:7], s[6:7]
	v_mov_b32_e32 v8, s10
	s_xor_b64 exec, exec, s[6:7]
	s_cbranch_execnz .LBB7_3972
.LBB7_1922:
	s_or_b64 exec, exec, s[6:7]
	s_and_saveexec_b64 s[6:7], s[4:5]
	s_cbranch_execz .LBB7_1924
.LBB7_1923:
	v_and_b32_e32 v8, 7, v4
	v_ffbh_u32_e32 v10, v8
	v_min_u32_e32 v10, 32, v10
	v_lshrrev_b16_e32 v9, 3, v4
	v_subrev_u32_e32 v11, 28, v10
	v_and_b32_e32 v9, 15, v9
	v_lshlrev_b32_e32 v11, v11, v4
	v_sub_u32_e32 v10, 29, v10
	v_and_b32_e32 v11, 7, v11
	v_cmp_eq_u16_e32 vcc, 0, v9
	v_cndmask_b32_e32 v8, v8, v11, vcc
	v_cndmask_b32_e32 v9, v9, v10, vcc
	v_lshlrev_b32_e32 v10, 24, v4
	v_mov_b32_e32 v11, 0x3b800000
	v_lshlrev_b32_e32 v8, 20, v8
	v_and_b32_e32 v10, 0x80000000, v10
	v_lshl_add_u32 v9, v9, 23, v11
	v_or3_b32 v8, v10, v9, v8
.LBB7_1924:
	s_or_b64 exec, exec, s[6:7]
	s_movk_i32 s4, 0x7f
	v_cmp_gt_i16_sdwa s[6:7], v0, s4 src0_sel:BYTE_0 src1_sel:DWORD
	s_mov_b64 s[4:5], 0
                                        ; implicit-def: $sgpr10
	s_and_saveexec_b64 s[8:9], s[6:7]
	s_xor_b64 s[6:7], exec, s[8:9]
	s_cbranch_execnz .LBB7_3973
; %bb.1925:
	s_or_saveexec_b64 s[6:7], s[6:7]
	v_mov_b32_e32 v9, s10
	s_xor_b64 exec, exec, s[6:7]
	s_cbranch_execnz .LBB7_3976
.LBB7_1926:
	s_or_b64 exec, exec, s[6:7]
	s_and_saveexec_b64 s[6:7], s[4:5]
	s_cbranch_execz .LBB7_1928
.LBB7_1927:
	v_and_b32_e32 v9, 7, v0
	v_ffbh_u32_e32 v11, v9
	v_min_u32_e32 v11, 32, v11
	v_lshrrev_b16_e32 v10, 3, v0
	v_subrev_u32_e32 v12, 28, v11
	v_and_b32_e32 v10, 15, v10
	v_lshlrev_b32_e32 v12, v12, v0
	v_sub_u32_e32 v11, 29, v11
	v_and_b32_e32 v12, 7, v12
	v_cmp_eq_u16_e32 vcc, 0, v10
	v_cndmask_b32_e32 v9, v9, v12, vcc
	v_cndmask_b32_e32 v10, v10, v11, vcc
	v_lshlrev_b32_e32 v11, 24, v0
	v_mov_b32_e32 v12, 0x3b800000
	v_lshlrev_b32_e32 v9, 20, v9
	v_and_b32_e32 v11, 0x80000000, v11
	v_lshl_add_u32 v10, v10, 23, v12
	v_or3_b32 v9, v11, v10, v9
.LBB7_1928:
	s_or_b64 exec, exec, s[6:7]
	s_nop 0
	v_mfma_f32_16x16x4f32 a[0:3], v8, v9, a[0:3]
	v_lshrrev_b32_e32 v9, 8, v4
	s_movk_i32 s4, 0x7f
	v_cmp_gt_i16_sdwa s[6:7], v9, s4 src0_sel:BYTE_0 src1_sel:DWORD
	s_mov_b64 s[4:5], 0
                                        ; implicit-def: $sgpr10
	s_and_saveexec_b64 s[8:9], s[6:7]
	s_xor_b64 s[6:7], exec, s[8:9]
	s_cbranch_execnz .LBB7_3977
; %bb.1929:
	s_or_saveexec_b64 s[6:7], s[6:7]
	v_mov_b32_e32 v8, s10
	s_xor_b64 exec, exec, s[6:7]
	s_cbranch_execnz .LBB7_3980
.LBB7_1930:
	s_or_b64 exec, exec, s[6:7]
	s_and_saveexec_b64 s[6:7], s[4:5]
	s_cbranch_execz .LBB7_1932
.LBB7_1931:
	v_bfe_u32 v8, v4, 8, 3
	v_ffbh_u32_e32 v11, v8
	v_min_u32_e32 v11, 32, v11
	v_lshrrev_b16_e32 v10, 3, v9
	v_subrev_u32_e32 v12, 28, v11
	v_and_b32_e32 v10, 15, v10
	v_lshlrev_b32_e32 v9, v12, v9
	v_sub_u32_e32 v11, 29, v11
	v_and_b32_e32 v9, 7, v9
	v_cmp_eq_u16_e32 vcc, 0, v10
	v_cndmask_b32_e32 v8, v8, v9, vcc
	v_cndmask_b32_e32 v9, v10, v11, vcc
	v_lshlrev_b32_e32 v10, 16, v4
	v_mov_b32_e32 v11, 0x3b800000
	v_lshlrev_b32_e32 v8, 20, v8
	v_and_b32_e32 v10, 0x80000000, v10
	v_lshl_add_u32 v9, v9, 23, v11
	v_or3_b32 v8, v10, v9, v8
.LBB7_1932:
	s_or_b64 exec, exec, s[6:7]
	v_lshrrev_b32_e32 v9, 8, v0
	s_movk_i32 s4, 0x7f
	v_cmp_gt_i16_sdwa s[6:7], v9, s4 src0_sel:BYTE_0 src1_sel:DWORD
	s_mov_b64 s[4:5], 0
                                        ; implicit-def: $sgpr10
	s_and_saveexec_b64 s[8:9], s[6:7]
	s_xor_b64 s[6:7], exec, s[8:9]
	s_cbranch_execnz .LBB7_3981
; %bb.1933:
	s_or_saveexec_b64 s[6:7], s[6:7]
	v_mov_b32_e32 v10, s10
	s_xor_b64 exec, exec, s[6:7]
	s_cbranch_execnz .LBB7_3984
.LBB7_1934:
	s_or_b64 exec, exec, s[6:7]
	s_and_saveexec_b64 s[6:7], s[4:5]
	s_cbranch_execz .LBB7_1936
.LBB7_1935:
	v_bfe_u32 v10, v0, 8, 3
	v_ffbh_u32_e32 v12, v10
	v_min_u32_e32 v12, 32, v12
	v_lshrrev_b16_e32 v11, 3, v9
	v_subrev_u32_e32 v13, 28, v12
	v_and_b32_e32 v11, 15, v11
	v_lshlrev_b32_e32 v9, v13, v9
	v_sub_u32_e32 v12, 29, v12
	v_and_b32_e32 v9, 7, v9
	v_cmp_eq_u16_e32 vcc, 0, v11
	v_cndmask_b32_e32 v9, v10, v9, vcc
	v_cndmask_b32_e32 v10, v11, v12, vcc
	v_lshlrev_b32_e32 v11, 16, v0
	v_mov_b32_e32 v12, 0x3b800000
	v_lshlrev_b32_e32 v9, 20, v9
	v_and_b32_e32 v11, 0x80000000, v11
	v_lshl_add_u32 v10, v10, 23, v12
	v_or3_b32 v10, v11, v10, v9
.LBB7_1936:
	s_or_b64 exec, exec, s[6:7]
	s_nop 0
	v_mfma_f32_16x16x4f32 a[0:3], v8, v10, a[0:3]
	s_movk_i32 s4, 0xff
	v_and_b32_sdwa v9, v4, s4 dst_sel:DWORD dst_unused:UNUSED_PAD src0_sel:WORD_1 src1_sel:DWORD
	s_movk_i32 s4, 0x7f
	v_cmp_lt_i16_e32 vcc, s4, v9
	s_mov_b64 s[4:5], 0
                                        ; implicit-def: $sgpr10
	s_and_saveexec_b64 s[6:7], vcc
	s_xor_b64 s[6:7], exec, s[6:7]
	s_cbranch_execnz .LBB7_3985
; %bb.1937:
	s_or_saveexec_b64 s[6:7], s[6:7]
	v_mov_b32_e32 v8, s10
	s_xor_b64 exec, exec, s[6:7]
	s_cbranch_execnz .LBB7_3988
.LBB7_1938:
	s_or_b64 exec, exec, s[6:7]
	s_and_saveexec_b64 s[6:7], s[4:5]
	s_cbranch_execz .LBB7_1940
.LBB7_1939:
	v_bfe_u32 v8, v4, 16, 3
	v_ffbh_u32_e32 v11, v8
	v_min_u32_e32 v11, 32, v11
	v_lshrrev_b32_e32 v9, 19, v4
	v_subrev_u32_e32 v12, 28, v11
	v_and_b32_e32 v9, 15, v9
	v_lshlrev_b32_sdwa v12, v12, v4 dst_sel:DWORD dst_unused:UNUSED_PAD src0_sel:DWORD src1_sel:WORD_1
	v_bfe_u32 v10, v4, 19, 4
	v_sub_u32_e32 v11, 29, v11
	v_and_b32_e32 v12, 7, v12
	v_cmp_eq_u16_e32 vcc, 0, v9
	v_cndmask_b32_e32 v8, v8, v12, vcc
	v_cndmask_b32_e32 v9, v10, v11, vcc
	v_lshlrev_b32_e32 v10, 8, v4
	v_mov_b32_e32 v11, 0x3b800000
	v_lshlrev_b32_e32 v8, 20, v8
	v_and_b32_e32 v10, 0x80000000, v10
	v_lshl_add_u32 v9, v9, 23, v11
	v_or3_b32 v8, v10, v9, v8
.LBB7_1940:
	s_or_b64 exec, exec, s[6:7]
	s_movk_i32 s4, 0xff
	v_and_b32_sdwa v9, v0, s4 dst_sel:DWORD dst_unused:UNUSED_PAD src0_sel:WORD_1 src1_sel:DWORD
	s_movk_i32 s4, 0x7f
	v_cmp_lt_i16_e32 vcc, s4, v9
	s_mov_b64 s[4:5], 0
                                        ; implicit-def: $sgpr10
	s_and_saveexec_b64 s[6:7], vcc
	s_xor_b64 s[6:7], exec, s[6:7]
	s_cbranch_execnz .LBB7_3989
; %bb.1941:
	s_or_saveexec_b64 s[6:7], s[6:7]
	v_mov_b32_e32 v10, s10
	s_xor_b64 exec, exec, s[6:7]
	s_cbranch_execnz .LBB7_3992
.LBB7_1942:
	s_or_b64 exec, exec, s[6:7]
	s_and_saveexec_b64 s[6:7], s[4:5]
	s_cbranch_execz .LBB7_1944
.LBB7_1943:
	v_bfe_u32 v9, v0, 16, 3
	v_ffbh_u32_e32 v12, v9
	v_min_u32_e32 v12, 32, v12
	v_lshrrev_b32_e32 v10, 19, v0
	v_subrev_u32_e32 v13, 28, v12
	v_and_b32_e32 v10, 15, v10
	v_lshlrev_b32_sdwa v13, v13, v0 dst_sel:DWORD dst_unused:UNUSED_PAD src0_sel:DWORD src1_sel:WORD_1
	v_bfe_u32 v11, v0, 19, 4
	v_sub_u32_e32 v12, 29, v12
	v_and_b32_e32 v13, 7, v13
	v_cmp_eq_u16_e32 vcc, 0, v10
	v_cndmask_b32_e32 v9, v9, v13, vcc
	v_cndmask_b32_e32 v10, v11, v12, vcc
	v_lshlrev_b32_e32 v11, 8, v0
	v_mov_b32_e32 v12, 0x3b800000
	v_lshlrev_b32_e32 v9, 20, v9
	v_and_b32_e32 v11, 0x80000000, v11
	v_lshl_add_u32 v10, v10, 23, v12
	v_or3_b32 v10, v11, v10, v9
.LBB7_1944:
	s_or_b64 exec, exec, s[6:7]
	s_nop 0
	v_mfma_f32_16x16x4f32 a[0:3], v8, v10, a[0:3]
	s_movk_i32 s4, 0x7f
	v_cmp_gt_i16_sdwa s[6:7], v4, s4 src0_sel:BYTE_3 src1_sel:DWORD
	s_mov_b64 s[4:5], 0
                                        ; implicit-def: $sgpr10
	s_and_saveexec_b64 s[8:9], s[6:7]
	s_xor_b64 s[6:7], exec, s[8:9]
	s_cbranch_execnz .LBB7_3993
; %bb.1945:
	s_or_saveexec_b64 s[6:7], s[6:7]
	v_mov_b32_e32 v8, s10
	s_xor_b64 exec, exec, s[6:7]
	s_cbranch_execnz .LBB7_3996
.LBB7_1946:
	s_or_b64 exec, exec, s[6:7]
	s_and_saveexec_b64 s[6:7], s[4:5]
	s_cbranch_execz .LBB7_1948
.LBB7_1947:
	v_bfe_u32 v8, v4, 24, 3
	v_ffbh_u32_e32 v12, v8
	v_min_u32_e32 v12, 32, v12
	v_lshrrev_b32_e32 v10, 27, v4
	v_subrev_u32_e32 v13, 28, v12
	v_and_b32_e32 v9, 0x80000000, v4
	v_and_b32_e32 v10, 15, v10
	v_bfe_u32 v11, v4, 27, 4
	v_lshlrev_b32_sdwa v4, v13, v4 dst_sel:DWORD dst_unused:UNUSED_PAD src0_sel:DWORD src1_sel:BYTE_3
	v_sub_u32_e32 v12, 29, v12
	v_and_b32_e32 v4, 7, v4
	v_cmp_eq_u16_e32 vcc, 0, v10
	v_cndmask_b32_e32 v4, v8, v4, vcc
	v_cndmask_b32_e32 v8, v11, v12, vcc
	v_mov_b32_e32 v10, 0x3b800000
	v_lshlrev_b32_e32 v4, 20, v4
	v_lshl_add_u32 v8, v8, 23, v10
	v_or3_b32 v8, v9, v8, v4
.LBB7_1948:
	s_or_b64 exec, exec, s[6:7]
	s_movk_i32 s4, 0x7f
	v_cmp_gt_i16_sdwa s[6:7], v0, s4 src0_sel:BYTE_3 src1_sel:DWORD
	s_mov_b64 s[4:5], 0
                                        ; implicit-def: $sgpr10
	s_and_saveexec_b64 s[8:9], s[6:7]
	s_xor_b64 s[6:7], exec, s[8:9]
	s_cbranch_execnz .LBB7_3997
; %bb.1949:
	s_or_saveexec_b64 s[6:7], s[6:7]
	v_mov_b32_e32 v4, s10
	s_xor_b64 exec, exec, s[6:7]
	s_cbranch_execnz .LBB7_4000
.LBB7_1950:
	s_or_b64 exec, exec, s[6:7]
	s_and_saveexec_b64 s[6:7], s[4:5]
	s_cbranch_execz .LBB7_1952
.LBB7_1951:
	v_bfe_u32 v4, v0, 24, 3
	v_ffbh_u32_e32 v12, v4
	v_min_u32_e32 v12, 32, v12
	v_lshrrev_b32_e32 v10, 27, v0
	v_subrev_u32_e32 v13, 28, v12
	v_and_b32_e32 v9, 0x80000000, v0
	v_and_b32_e32 v10, 15, v10
	v_bfe_u32 v11, v0, 27, 4
	v_lshlrev_b32_sdwa v0, v13, v0 dst_sel:DWORD dst_unused:UNUSED_PAD src0_sel:DWORD src1_sel:BYTE_3
	v_sub_u32_e32 v12, 29, v12
	v_and_b32_e32 v0, 7, v0
	v_cmp_eq_u16_e32 vcc, 0, v10
	v_cndmask_b32_e32 v0, v4, v0, vcc
	v_cndmask_b32_e32 v4, v11, v12, vcc
	v_mov_b32_e32 v10, 0x3b800000
	v_lshlrev_b32_e32 v0, 20, v0
	v_lshl_add_u32 v4, v4, 23, v10
	v_or3_b32 v4, v9, v4, v0
.LBB7_1952:
	s_or_b64 exec, exec, s[6:7]
	s_nop 0
	v_mfma_f32_16x16x4f32 a[0:3], v8, v4, a[0:3]
	s_movk_i32 s4, 0x7f
	v_cmp_gt_i16_sdwa s[6:7], v5, s4 src0_sel:BYTE_0 src1_sel:DWORD
	s_mov_b64 s[4:5], 0
                                        ; implicit-def: $sgpr10
	s_and_saveexec_b64 s[8:9], s[6:7]
	s_xor_b64 s[6:7], exec, s[8:9]
	s_cbranch_execnz .LBB7_4001
; %bb.1953:
	s_or_saveexec_b64 s[6:7], s[6:7]
	v_mov_b32_e32 v0, s10
	s_xor_b64 exec, exec, s[6:7]
	s_cbranch_execnz .LBB7_4004
.LBB7_1954:
	s_or_b64 exec, exec, s[6:7]
	s_and_saveexec_b64 s[6:7], s[4:5]
	s_cbranch_execz .LBB7_1956
.LBB7_1955:
	v_and_b32_e32 v0, 7, v5
	v_ffbh_u32_e32 v8, v0
	v_min_u32_e32 v8, 32, v8
	v_lshrrev_b16_e32 v4, 3, v5
	v_subrev_u32_e32 v9, 28, v8
	v_and_b32_e32 v4, 15, v4
	v_lshlrev_b32_e32 v9, v9, v5
	v_sub_u32_e32 v8, 29, v8
	v_and_b32_e32 v9, 7, v9
	v_cmp_eq_u16_e32 vcc, 0, v4
	v_cndmask_b32_e32 v0, v0, v9, vcc
	v_cndmask_b32_e32 v4, v4, v8, vcc
	v_lshlrev_b32_e32 v8, 24, v5
	v_mov_b32_e32 v9, 0x3b800000
	v_lshlrev_b32_e32 v0, 20, v0
	v_and_b32_e32 v8, 0x80000000, v8
	v_lshl_add_u32 v4, v4, 23, v9
	v_or3_b32 v0, v8, v4, v0
.LBB7_1956:
	s_or_b64 exec, exec, s[6:7]
	s_movk_i32 s4, 0x7f
	v_cmp_gt_i16_sdwa s[6:7], v1, s4 src0_sel:BYTE_0 src1_sel:DWORD
	s_mov_b64 s[4:5], 0
                                        ; implicit-def: $sgpr10
	s_and_saveexec_b64 s[8:9], s[6:7]
	s_xor_b64 s[6:7], exec, s[8:9]
	s_cbranch_execnz .LBB7_4005
; %bb.1957:
	s_or_saveexec_b64 s[6:7], s[6:7]
	v_mov_b32_e32 v4, s10
	s_xor_b64 exec, exec, s[6:7]
	s_cbranch_execnz .LBB7_4008
.LBB7_1958:
	s_or_b64 exec, exec, s[6:7]
	s_and_saveexec_b64 s[6:7], s[4:5]
	s_cbranch_execz .LBB7_1960
.LBB7_1959:
	v_and_b32_e32 v4, 7, v1
	v_ffbh_u32_e32 v9, v4
	v_min_u32_e32 v9, 32, v9
	v_lshrrev_b16_e32 v8, 3, v1
	v_subrev_u32_e32 v10, 28, v9
	v_and_b32_e32 v8, 15, v8
	v_lshlrev_b32_e32 v10, v10, v1
	v_sub_u32_e32 v9, 29, v9
	v_and_b32_e32 v10, 7, v10
	v_cmp_eq_u16_e32 vcc, 0, v8
	v_cndmask_b32_e32 v4, v4, v10, vcc
	v_cndmask_b32_e32 v8, v8, v9, vcc
	v_lshlrev_b32_e32 v9, 24, v1
	v_mov_b32_e32 v10, 0x3b800000
	v_lshlrev_b32_e32 v4, 20, v4
	v_and_b32_e32 v9, 0x80000000, v9
	v_lshl_add_u32 v8, v8, 23, v10
	v_or3_b32 v4, v9, v8, v4
.LBB7_1960:
	s_or_b64 exec, exec, s[6:7]
	s_nop 0
	v_mfma_f32_16x16x4f32 a[0:3], v0, v4, a[0:3]
	v_lshrrev_b32_e32 v4, 8, v5
	s_movk_i32 s4, 0x7f
	v_cmp_gt_i16_sdwa s[6:7], v4, s4 src0_sel:BYTE_0 src1_sel:DWORD
	s_mov_b64 s[4:5], 0
                                        ; implicit-def: $sgpr10
	s_and_saveexec_b64 s[8:9], s[6:7]
	s_xor_b64 s[6:7], exec, s[8:9]
	s_cbranch_execnz .LBB7_4009
; %bb.1961:
	s_or_saveexec_b64 s[6:7], s[6:7]
	v_mov_b32_e32 v0, s10
	s_xor_b64 exec, exec, s[6:7]
	s_cbranch_execnz .LBB7_4012
.LBB7_1962:
	s_or_b64 exec, exec, s[6:7]
	s_and_saveexec_b64 s[6:7], s[4:5]
	s_cbranch_execz .LBB7_1964
.LBB7_1963:
	v_bfe_u32 v0, v5, 8, 3
	v_ffbh_u32_e32 v9, v0
	v_min_u32_e32 v9, 32, v9
	v_lshrrev_b16_e32 v8, 3, v4
	v_subrev_u32_e32 v10, 28, v9
	v_and_b32_e32 v8, 15, v8
	v_lshlrev_b32_e32 v4, v10, v4
	v_sub_u32_e32 v9, 29, v9
	v_and_b32_e32 v4, 7, v4
	v_cmp_eq_u16_e32 vcc, 0, v8
	v_cndmask_b32_e32 v0, v0, v4, vcc
	v_cndmask_b32_e32 v4, v8, v9, vcc
	v_lshlrev_b32_e32 v8, 16, v5
	v_mov_b32_e32 v9, 0x3b800000
	v_lshlrev_b32_e32 v0, 20, v0
	v_and_b32_e32 v8, 0x80000000, v8
	v_lshl_add_u32 v4, v4, 23, v9
	v_or3_b32 v0, v8, v4, v0
.LBB7_1964:
	s_or_b64 exec, exec, s[6:7]
	v_lshrrev_b32_e32 v4, 8, v1
	s_movk_i32 s4, 0x7f
	v_cmp_gt_i16_sdwa s[6:7], v4, s4 src0_sel:BYTE_0 src1_sel:DWORD
	s_mov_b64 s[4:5], 0
                                        ; implicit-def: $sgpr10
	s_and_saveexec_b64 s[8:9], s[6:7]
	s_xor_b64 s[6:7], exec, s[8:9]
	s_cbranch_execnz .LBB7_4013
; %bb.1965:
	s_or_saveexec_b64 s[6:7], s[6:7]
	v_mov_b32_e32 v8, s10
	s_xor_b64 exec, exec, s[6:7]
	s_cbranch_execnz .LBB7_4016
.LBB7_1966:
	s_or_b64 exec, exec, s[6:7]
	s_and_saveexec_b64 s[6:7], s[4:5]
	s_cbranch_execz .LBB7_1968
.LBB7_1967:
	v_bfe_u32 v8, v1, 8, 3
	v_ffbh_u32_e32 v10, v8
	v_min_u32_e32 v10, 32, v10
	v_lshrrev_b16_e32 v9, 3, v4
	v_subrev_u32_e32 v11, 28, v10
	v_and_b32_e32 v9, 15, v9
	v_lshlrev_b32_e32 v4, v11, v4
	v_sub_u32_e32 v10, 29, v10
	v_and_b32_e32 v4, 7, v4
	v_cmp_eq_u16_e32 vcc, 0, v9
	v_cndmask_b32_e32 v4, v8, v4, vcc
	v_cndmask_b32_e32 v8, v9, v10, vcc
	v_lshlrev_b32_e32 v9, 16, v1
	v_mov_b32_e32 v10, 0x3b800000
	v_lshlrev_b32_e32 v4, 20, v4
	v_and_b32_e32 v9, 0x80000000, v9
	v_lshl_add_u32 v8, v8, 23, v10
	v_or3_b32 v8, v9, v8, v4
.LBB7_1968:
	s_or_b64 exec, exec, s[6:7]
	s_nop 0
	v_mfma_f32_16x16x4f32 a[0:3], v0, v8, a[0:3]
	s_movk_i32 s4, 0xff
	v_and_b32_sdwa v4, v5, s4 dst_sel:DWORD dst_unused:UNUSED_PAD src0_sel:WORD_1 src1_sel:DWORD
	s_movk_i32 s4, 0x7f
	v_cmp_lt_i16_e32 vcc, s4, v4
	s_mov_b64 s[4:5], 0
                                        ; implicit-def: $sgpr10
	s_and_saveexec_b64 s[6:7], vcc
	s_xor_b64 s[6:7], exec, s[6:7]
	s_cbranch_execnz .LBB7_4017
; %bb.1969:
	s_or_saveexec_b64 s[6:7], s[6:7]
	v_mov_b32_e32 v0, s10
	s_xor_b64 exec, exec, s[6:7]
	s_cbranch_execnz .LBB7_4020
.LBB7_1970:
	s_or_b64 exec, exec, s[6:7]
	s_and_saveexec_b64 s[6:7], s[4:5]
	s_cbranch_execz .LBB7_1972
.LBB7_1971:
	v_bfe_u32 v0, v5, 16, 3
	v_ffbh_u32_e32 v9, v0
	v_min_u32_e32 v9, 32, v9
	v_lshrrev_b32_e32 v4, 19, v5
	v_subrev_u32_e32 v10, 28, v9
	v_and_b32_e32 v4, 15, v4
	v_lshlrev_b32_sdwa v10, v10, v5 dst_sel:DWORD dst_unused:UNUSED_PAD src0_sel:DWORD src1_sel:WORD_1
	v_bfe_u32 v8, v5, 19, 4
	v_sub_u32_e32 v9, 29, v9
	v_and_b32_e32 v10, 7, v10
	v_cmp_eq_u16_e32 vcc, 0, v4
	v_cndmask_b32_e32 v0, v0, v10, vcc
	v_cndmask_b32_e32 v4, v8, v9, vcc
	v_lshlrev_b32_e32 v8, 8, v5
	v_mov_b32_e32 v9, 0x3b800000
	v_lshlrev_b32_e32 v0, 20, v0
	v_and_b32_e32 v8, 0x80000000, v8
	v_lshl_add_u32 v4, v4, 23, v9
	v_or3_b32 v0, v8, v4, v0
.LBB7_1972:
	s_or_b64 exec, exec, s[6:7]
	s_movk_i32 s4, 0xff
	v_and_b32_sdwa v4, v1, s4 dst_sel:DWORD dst_unused:UNUSED_PAD src0_sel:WORD_1 src1_sel:DWORD
	s_movk_i32 s4, 0x7f
	v_cmp_lt_i16_e32 vcc, s4, v4
	s_mov_b64 s[4:5], 0
                                        ; implicit-def: $sgpr10
	s_and_saveexec_b64 s[6:7], vcc
	s_xor_b64 s[6:7], exec, s[6:7]
	s_cbranch_execnz .LBB7_4021
; %bb.1973:
	s_or_saveexec_b64 s[6:7], s[6:7]
	v_mov_b32_e32 v8, s10
	s_xor_b64 exec, exec, s[6:7]
	s_cbranch_execnz .LBB7_4024
.LBB7_1974:
	s_or_b64 exec, exec, s[6:7]
	s_and_saveexec_b64 s[6:7], s[4:5]
	s_cbranch_execz .LBB7_1976
.LBB7_1975:
	v_bfe_u32 v4, v1, 16, 3
	v_ffbh_u32_e32 v10, v4
	v_min_u32_e32 v10, 32, v10
	v_lshrrev_b32_e32 v8, 19, v1
	v_subrev_u32_e32 v11, 28, v10
	v_and_b32_e32 v8, 15, v8
	v_lshlrev_b32_sdwa v11, v11, v1 dst_sel:DWORD dst_unused:UNUSED_PAD src0_sel:DWORD src1_sel:WORD_1
	v_bfe_u32 v9, v1, 19, 4
	v_sub_u32_e32 v10, 29, v10
	v_and_b32_e32 v11, 7, v11
	v_cmp_eq_u16_e32 vcc, 0, v8
	v_cndmask_b32_e32 v4, v4, v11, vcc
	v_cndmask_b32_e32 v8, v9, v10, vcc
	v_lshlrev_b32_e32 v9, 8, v1
	v_mov_b32_e32 v10, 0x3b800000
	v_lshlrev_b32_e32 v4, 20, v4
	v_and_b32_e32 v9, 0x80000000, v9
	v_lshl_add_u32 v8, v8, 23, v10
	v_or3_b32 v8, v9, v8, v4
.LBB7_1976:
	s_or_b64 exec, exec, s[6:7]
	s_nop 0
	v_mfma_f32_16x16x4f32 a[0:3], v0, v8, a[0:3]
	s_movk_i32 s4, 0x7f
	v_cmp_gt_i16_sdwa s[6:7], v5, s4 src0_sel:BYTE_3 src1_sel:DWORD
	s_mov_b64 s[4:5], 0
                                        ; implicit-def: $sgpr10
	s_and_saveexec_b64 s[8:9], s[6:7]
	s_xor_b64 s[6:7], exec, s[8:9]
	s_cbranch_execnz .LBB7_4025
; %bb.1977:
	s_or_saveexec_b64 s[6:7], s[6:7]
	v_mov_b32_e32 v0, s10
	s_xor_b64 exec, exec, s[6:7]
	s_cbranch_execnz .LBB7_4028
.LBB7_1978:
	s_or_b64 exec, exec, s[6:7]
	s_and_saveexec_b64 s[6:7], s[4:5]
	s_cbranch_execz .LBB7_1980
.LBB7_1979:
	v_bfe_u32 v0, v5, 24, 3
	v_ffbh_u32_e32 v10, v0
	v_min_u32_e32 v10, 32, v10
	v_lshrrev_b32_e32 v8, 27, v5
	v_subrev_u32_e32 v11, 28, v10
	v_and_b32_e32 v4, 0x80000000, v5
	v_and_b32_e32 v8, 15, v8
	v_bfe_u32 v9, v5, 27, 4
	v_lshlrev_b32_sdwa v5, v11, v5 dst_sel:DWORD dst_unused:UNUSED_PAD src0_sel:DWORD src1_sel:BYTE_3
	v_sub_u32_e32 v10, 29, v10
	v_and_b32_e32 v5, 7, v5
	v_cmp_eq_u16_e32 vcc, 0, v8
	v_cndmask_b32_e32 v0, v0, v5, vcc
	v_cndmask_b32_e32 v5, v9, v10, vcc
	v_mov_b32_e32 v8, 0x3b800000
	v_lshlrev_b32_e32 v0, 20, v0
	v_lshl_add_u32 v5, v5, 23, v8
	v_or3_b32 v0, v4, v5, v0
.LBB7_1980:
	s_or_b64 exec, exec, s[6:7]
	s_movk_i32 s4, 0x7f
	v_cmp_gt_i16_sdwa s[6:7], v1, s4 src0_sel:BYTE_3 src1_sel:DWORD
	s_mov_b64 s[4:5], 0
                                        ; implicit-def: $sgpr10
	s_and_saveexec_b64 s[8:9], s[6:7]
	s_xor_b64 s[6:7], exec, s[8:9]
	s_cbranch_execnz .LBB7_4029
; %bb.1981:
	s_or_saveexec_b64 s[6:7], s[6:7]
	v_mov_b32_e32 v4, s10
	s_xor_b64 exec, exec, s[6:7]
	s_cbranch_execnz .LBB7_4032
.LBB7_1982:
	s_or_b64 exec, exec, s[6:7]
	s_and_saveexec_b64 s[6:7], s[4:5]
	s_cbranch_execz .LBB7_1984
.LBB7_1983:
	v_bfe_u32 v4, v1, 24, 3
	v_ffbh_u32_e32 v10, v4
	v_min_u32_e32 v10, 32, v10
	v_lshrrev_b32_e32 v8, 27, v1
	v_subrev_u32_e32 v11, 28, v10
	v_and_b32_e32 v5, 0x80000000, v1
	v_and_b32_e32 v8, 15, v8
	v_bfe_u32 v9, v1, 27, 4
	v_lshlrev_b32_sdwa v1, v11, v1 dst_sel:DWORD dst_unused:UNUSED_PAD src0_sel:DWORD src1_sel:BYTE_3
	v_sub_u32_e32 v10, 29, v10
	v_and_b32_e32 v1, 7, v1
	v_cmp_eq_u16_e32 vcc, 0, v8
	v_cndmask_b32_e32 v1, v4, v1, vcc
	v_cndmask_b32_e32 v4, v9, v10, vcc
	v_mov_b32_e32 v8, 0x3b800000
	v_lshlrev_b32_e32 v1, 20, v1
	v_lshl_add_u32 v4, v4, 23, v8
	v_or3_b32 v4, v5, v4, v1
.LBB7_1984:
	s_or_b64 exec, exec, s[6:7]
	s_nop 0
	v_mfma_f32_16x16x4f32 a[0:3], v0, v4, a[0:3]
	s_movk_i32 s4, 0x7f
	v_cmp_gt_i16_sdwa s[6:7], v6, s4 src0_sel:BYTE_0 src1_sel:DWORD
	s_mov_b64 s[4:5], 0
                                        ; implicit-def: $sgpr10
	s_and_saveexec_b64 s[8:9], s[6:7]
	s_xor_b64 s[6:7], exec, s[8:9]
	s_cbranch_execnz .LBB7_4033
; %bb.1985:
	s_or_saveexec_b64 s[6:7], s[6:7]
	v_mov_b32_e32 v0, s10
	s_xor_b64 exec, exec, s[6:7]
	s_cbranch_execnz .LBB7_4036
.LBB7_1986:
	s_or_b64 exec, exec, s[6:7]
	s_and_saveexec_b64 s[6:7], s[4:5]
	s_cbranch_execz .LBB7_1988
.LBB7_1987:
	v_and_b32_e32 v0, 7, v6
	v_ffbh_u32_e32 v4, v0
	v_min_u32_e32 v4, 32, v4
	v_lshrrev_b16_e32 v1, 3, v6
	v_subrev_u32_e32 v5, 28, v4
	v_and_b32_e32 v1, 15, v1
	v_lshlrev_b32_e32 v5, v5, v6
	v_sub_u32_e32 v4, 29, v4
	v_and_b32_e32 v5, 7, v5
	v_cmp_eq_u16_e32 vcc, 0, v1
	v_cndmask_b32_e32 v0, v0, v5, vcc
	v_cndmask_b32_e32 v1, v1, v4, vcc
	v_lshlrev_b32_e32 v4, 24, v6
	v_mov_b32_e32 v5, 0x3b800000
	v_lshlrev_b32_e32 v0, 20, v0
	v_and_b32_e32 v4, 0x80000000, v4
	v_lshl_add_u32 v1, v1, 23, v5
	v_or3_b32 v0, v4, v1, v0
.LBB7_1988:
	s_or_b64 exec, exec, s[6:7]
	s_movk_i32 s4, 0x7f
	v_cmp_gt_i16_sdwa s[6:7], v2, s4 src0_sel:BYTE_0 src1_sel:DWORD
	s_mov_b64 s[4:5], 0
                                        ; implicit-def: $sgpr10
	s_and_saveexec_b64 s[8:9], s[6:7]
	s_xor_b64 s[6:7], exec, s[8:9]
	s_cbranch_execnz .LBB7_4037
; %bb.1989:
	s_or_saveexec_b64 s[6:7], s[6:7]
	v_mov_b32_e32 v1, s10
	s_xor_b64 exec, exec, s[6:7]
	s_cbranch_execnz .LBB7_4040
.LBB7_1990:
	s_or_b64 exec, exec, s[6:7]
	s_and_saveexec_b64 s[6:7], s[4:5]
	s_cbranch_execz .LBB7_1992
.LBB7_1991:
	v_and_b32_e32 v1, 7, v2
	v_ffbh_u32_e32 v5, v1
	v_min_u32_e32 v5, 32, v5
	v_lshrrev_b16_e32 v4, 3, v2
	v_subrev_u32_e32 v8, 28, v5
	v_and_b32_e32 v4, 15, v4
	v_lshlrev_b32_e32 v8, v8, v2
	v_sub_u32_e32 v5, 29, v5
	v_and_b32_e32 v8, 7, v8
	v_cmp_eq_u16_e32 vcc, 0, v4
	v_cndmask_b32_e32 v1, v1, v8, vcc
	v_cndmask_b32_e32 v4, v4, v5, vcc
	v_lshlrev_b32_e32 v5, 24, v2
	v_mov_b32_e32 v8, 0x3b800000
	v_lshlrev_b32_e32 v1, 20, v1
	v_and_b32_e32 v5, 0x80000000, v5
	v_lshl_add_u32 v4, v4, 23, v8
	v_or3_b32 v1, v5, v4, v1
.LBB7_1992:
	s_or_b64 exec, exec, s[6:7]
	s_nop 0
	v_mfma_f32_16x16x4f32 a[0:3], v0, v1, a[0:3]
	v_lshrrev_b32_e32 v1, 8, v6
	s_movk_i32 s4, 0x7f
	v_cmp_gt_i16_sdwa s[6:7], v1, s4 src0_sel:BYTE_0 src1_sel:DWORD
	s_mov_b64 s[4:5], 0
                                        ; implicit-def: $sgpr10
	s_and_saveexec_b64 s[8:9], s[6:7]
	s_xor_b64 s[6:7], exec, s[8:9]
	s_cbranch_execnz .LBB7_4041
; %bb.1993:
	s_or_saveexec_b64 s[6:7], s[6:7]
	v_mov_b32_e32 v0, s10
	s_xor_b64 exec, exec, s[6:7]
	s_cbranch_execnz .LBB7_4044
.LBB7_1994:
	s_or_b64 exec, exec, s[6:7]
	s_and_saveexec_b64 s[6:7], s[4:5]
	s_cbranch_execz .LBB7_1996
.LBB7_1995:
	v_bfe_u32 v0, v6, 8, 3
	v_ffbh_u32_e32 v5, v0
	v_min_u32_e32 v5, 32, v5
	v_lshrrev_b16_e32 v4, 3, v1
	v_subrev_u32_e32 v8, 28, v5
	v_and_b32_e32 v4, 15, v4
	v_lshlrev_b32_e32 v1, v8, v1
	v_sub_u32_e32 v5, 29, v5
	v_and_b32_e32 v1, 7, v1
	v_cmp_eq_u16_e32 vcc, 0, v4
	v_cndmask_b32_e32 v0, v0, v1, vcc
	v_cndmask_b32_e32 v1, v4, v5, vcc
	v_lshlrev_b32_e32 v4, 16, v6
	v_mov_b32_e32 v5, 0x3b800000
	v_lshlrev_b32_e32 v0, 20, v0
	v_and_b32_e32 v4, 0x80000000, v4
	v_lshl_add_u32 v1, v1, 23, v5
	v_or3_b32 v0, v4, v1, v0
.LBB7_1996:
	s_or_b64 exec, exec, s[6:7]
	v_lshrrev_b32_e32 v1, 8, v2
	s_movk_i32 s4, 0x7f
	v_cmp_gt_i16_sdwa s[6:7], v1, s4 src0_sel:BYTE_0 src1_sel:DWORD
	s_mov_b64 s[4:5], 0
                                        ; implicit-def: $sgpr10
	s_and_saveexec_b64 s[8:9], s[6:7]
	s_xor_b64 s[6:7], exec, s[8:9]
	s_cbranch_execnz .LBB7_4045
; %bb.1997:
	s_or_saveexec_b64 s[6:7], s[6:7]
	v_mov_b32_e32 v4, s10
	s_xor_b64 exec, exec, s[6:7]
	s_cbranch_execnz .LBB7_4048
.LBB7_1998:
	s_or_b64 exec, exec, s[6:7]
	s_and_saveexec_b64 s[6:7], s[4:5]
	s_cbranch_execz .LBB7_2000
.LBB7_1999:
	v_bfe_u32 v4, v2, 8, 3
	v_ffbh_u32_e32 v8, v4
	v_min_u32_e32 v8, 32, v8
	v_lshrrev_b16_e32 v5, 3, v1
	v_subrev_u32_e32 v9, 28, v8
	v_and_b32_e32 v5, 15, v5
	v_lshlrev_b32_e32 v1, v9, v1
	v_sub_u32_e32 v8, 29, v8
	v_and_b32_e32 v1, 7, v1
	v_cmp_eq_u16_e32 vcc, 0, v5
	v_cndmask_b32_e32 v1, v4, v1, vcc
	v_cndmask_b32_e32 v4, v5, v8, vcc
	v_lshlrev_b32_e32 v5, 16, v2
	v_mov_b32_e32 v8, 0x3b800000
	v_lshlrev_b32_e32 v1, 20, v1
	v_and_b32_e32 v5, 0x80000000, v5
	v_lshl_add_u32 v4, v4, 23, v8
	v_or3_b32 v4, v5, v4, v1
.LBB7_2000:
	s_or_b64 exec, exec, s[6:7]
	s_nop 0
	v_mfma_f32_16x16x4f32 a[0:3], v0, v4, a[0:3]
	s_movk_i32 s4, 0xff
	v_and_b32_sdwa v1, v6, s4 dst_sel:DWORD dst_unused:UNUSED_PAD src0_sel:WORD_1 src1_sel:DWORD
	s_movk_i32 s4, 0x7f
	v_cmp_lt_i16_e32 vcc, s4, v1
	s_mov_b64 s[4:5], 0
                                        ; implicit-def: $sgpr10
	s_and_saveexec_b64 s[6:7], vcc
	s_xor_b64 s[6:7], exec, s[6:7]
	s_cbranch_execnz .LBB7_4049
; %bb.2001:
	s_or_saveexec_b64 s[6:7], s[6:7]
	v_mov_b32_e32 v0, s10
	s_xor_b64 exec, exec, s[6:7]
	s_cbranch_execnz .LBB7_4052
.LBB7_2002:
	s_or_b64 exec, exec, s[6:7]
	s_and_saveexec_b64 s[6:7], s[4:5]
	s_cbranch_execz .LBB7_2004
.LBB7_2003:
	v_bfe_u32 v0, v6, 16, 3
	v_ffbh_u32_e32 v5, v0
	v_min_u32_e32 v5, 32, v5
	v_lshrrev_b32_e32 v1, 19, v6
	v_subrev_u32_e32 v8, 28, v5
	v_and_b32_e32 v1, 15, v1
	v_lshlrev_b32_sdwa v8, v8, v6 dst_sel:DWORD dst_unused:UNUSED_PAD src0_sel:DWORD src1_sel:WORD_1
	v_bfe_u32 v4, v6, 19, 4
	v_sub_u32_e32 v5, 29, v5
	v_and_b32_e32 v8, 7, v8
	v_cmp_eq_u16_e32 vcc, 0, v1
	v_cndmask_b32_e32 v0, v0, v8, vcc
	v_cndmask_b32_e32 v1, v4, v5, vcc
	v_lshlrev_b32_e32 v4, 8, v6
	v_mov_b32_e32 v5, 0x3b800000
	v_lshlrev_b32_e32 v0, 20, v0
	v_and_b32_e32 v4, 0x80000000, v4
	v_lshl_add_u32 v1, v1, 23, v5
	v_or3_b32 v0, v4, v1, v0
.LBB7_2004:
	s_or_b64 exec, exec, s[6:7]
	s_movk_i32 s4, 0xff
	v_and_b32_sdwa v1, v2, s4 dst_sel:DWORD dst_unused:UNUSED_PAD src0_sel:WORD_1 src1_sel:DWORD
	s_movk_i32 s4, 0x7f
	v_cmp_lt_i16_e32 vcc, s4, v1
	s_mov_b64 s[4:5], 0
                                        ; implicit-def: $sgpr10
	s_and_saveexec_b64 s[6:7], vcc
	s_xor_b64 s[6:7], exec, s[6:7]
	s_cbranch_execnz .LBB7_4053
; %bb.2005:
	s_or_saveexec_b64 s[6:7], s[6:7]
	v_mov_b32_e32 v4, s10
	s_xor_b64 exec, exec, s[6:7]
	s_cbranch_execnz .LBB7_4056
.LBB7_2006:
	s_or_b64 exec, exec, s[6:7]
	s_and_saveexec_b64 s[6:7], s[4:5]
	s_cbranch_execz .LBB7_2008
.LBB7_2007:
	v_bfe_u32 v1, v2, 16, 3
	v_ffbh_u32_e32 v8, v1
	v_min_u32_e32 v8, 32, v8
	v_lshrrev_b32_e32 v4, 19, v2
	v_subrev_u32_e32 v9, 28, v8
	v_and_b32_e32 v4, 15, v4
	v_lshlrev_b32_sdwa v9, v9, v2 dst_sel:DWORD dst_unused:UNUSED_PAD src0_sel:DWORD src1_sel:WORD_1
	v_bfe_u32 v5, v2, 19, 4
	v_sub_u32_e32 v8, 29, v8
	v_and_b32_e32 v9, 7, v9
	v_cmp_eq_u16_e32 vcc, 0, v4
	v_cndmask_b32_e32 v1, v1, v9, vcc
	v_cndmask_b32_e32 v4, v5, v8, vcc
	v_lshlrev_b32_e32 v5, 8, v2
	v_mov_b32_e32 v8, 0x3b800000
	v_lshlrev_b32_e32 v1, 20, v1
	v_and_b32_e32 v5, 0x80000000, v5
	v_lshl_add_u32 v4, v4, 23, v8
	v_or3_b32 v4, v5, v4, v1
.LBB7_2008:
	s_or_b64 exec, exec, s[6:7]
	s_nop 0
	v_mfma_f32_16x16x4f32 a[0:3], v0, v4, a[0:3]
	s_movk_i32 s4, 0x7f
	v_cmp_gt_i16_sdwa s[6:7], v6, s4 src0_sel:BYTE_3 src1_sel:DWORD
	s_mov_b64 s[4:5], 0
                                        ; implicit-def: $sgpr10
	s_and_saveexec_b64 s[8:9], s[6:7]
	s_xor_b64 s[6:7], exec, s[8:9]
	s_cbranch_execnz .LBB7_4057
; %bb.2009:
	s_or_saveexec_b64 s[6:7], s[6:7]
	v_mov_b32_e32 v0, s10
	s_xor_b64 exec, exec, s[6:7]
	s_cbranch_execnz .LBB7_4060
.LBB7_2010:
	s_or_b64 exec, exec, s[6:7]
	s_and_saveexec_b64 s[6:7], s[4:5]
	s_cbranch_execz .LBB7_2012
.LBB7_2011:
	v_bfe_u32 v0, v6, 24, 3
	v_ffbh_u32_e32 v8, v0
	v_min_u32_e32 v8, 32, v8
	v_lshrrev_b32_e32 v4, 27, v6
	v_subrev_u32_e32 v9, 28, v8
	v_and_b32_e32 v1, 0x80000000, v6
	v_and_b32_e32 v4, 15, v4
	v_bfe_u32 v5, v6, 27, 4
	v_lshlrev_b32_sdwa v6, v9, v6 dst_sel:DWORD dst_unused:UNUSED_PAD src0_sel:DWORD src1_sel:BYTE_3
	v_sub_u32_e32 v8, 29, v8
	v_and_b32_e32 v6, 7, v6
	v_cmp_eq_u16_e32 vcc, 0, v4
	v_cndmask_b32_e32 v0, v0, v6, vcc
	v_cndmask_b32_e32 v4, v5, v8, vcc
	v_mov_b32_e32 v5, 0x3b800000
	v_lshlrev_b32_e32 v0, 20, v0
	v_lshl_add_u32 v4, v4, 23, v5
	v_or3_b32 v0, v1, v4, v0
.LBB7_2012:
	s_or_b64 exec, exec, s[6:7]
	s_movk_i32 s4, 0x7f
	v_cmp_gt_i16_sdwa s[6:7], v2, s4 src0_sel:BYTE_3 src1_sel:DWORD
	s_mov_b64 s[4:5], 0
                                        ; implicit-def: $sgpr10
	s_and_saveexec_b64 s[8:9], s[6:7]
	s_xor_b64 s[6:7], exec, s[8:9]
	s_cbranch_execnz .LBB7_4061
; %bb.2013:
	s_or_saveexec_b64 s[6:7], s[6:7]
	v_mov_b32_e32 v1, s10
	s_xor_b64 exec, exec, s[6:7]
	s_cbranch_execnz .LBB7_4064
.LBB7_2014:
	s_or_b64 exec, exec, s[6:7]
	s_and_saveexec_b64 s[6:7], s[4:5]
	s_cbranch_execz .LBB7_2016
.LBB7_2015:
	v_bfe_u32 v1, v2, 24, 3
	v_ffbh_u32_e32 v8, v1
	v_min_u32_e32 v8, 32, v8
	v_lshrrev_b32_e32 v5, 27, v2
	v_subrev_u32_e32 v9, 28, v8
	v_and_b32_e32 v4, 0x80000000, v2
	v_and_b32_e32 v5, 15, v5
	v_bfe_u32 v6, v2, 27, 4
	v_lshlrev_b32_sdwa v2, v9, v2 dst_sel:DWORD dst_unused:UNUSED_PAD src0_sel:DWORD src1_sel:BYTE_3
	v_sub_u32_e32 v8, 29, v8
	v_and_b32_e32 v2, 7, v2
	v_cmp_eq_u16_e32 vcc, 0, v5
	v_cndmask_b32_e32 v1, v1, v2, vcc
	v_cndmask_b32_e32 v2, v6, v8, vcc
	v_mov_b32_e32 v5, 0x3b800000
	v_lshlrev_b32_e32 v1, 20, v1
	v_lshl_add_u32 v2, v2, 23, v5
	v_or3_b32 v1, v4, v2, v1
.LBB7_2016:
	s_or_b64 exec, exec, s[6:7]
	s_nop 0
	v_mfma_f32_16x16x4f32 a[0:3], v0, v1, a[0:3]
	s_movk_i32 s4, 0x7f
	v_cmp_gt_i16_sdwa s[6:7], v7, s4 src0_sel:BYTE_0 src1_sel:DWORD
	s_mov_b64 s[4:5], 0
                                        ; implicit-def: $sgpr10
	s_and_saveexec_b64 s[8:9], s[6:7]
	s_xor_b64 s[6:7], exec, s[8:9]
	s_cbranch_execnz .LBB7_4065
; %bb.2017:
	s_or_saveexec_b64 s[6:7], s[6:7]
	v_mov_b32_e32 v0, s10
	s_xor_b64 exec, exec, s[6:7]
	s_cbranch_execnz .LBB7_4068
.LBB7_2018:
	s_or_b64 exec, exec, s[6:7]
	s_and_saveexec_b64 s[6:7], s[4:5]
	s_cbranch_execz .LBB7_2020
.LBB7_2019:
	v_mov_b32_e32 v0, 8
	v_and_b32_e32 v1, 7, v7
	v_lshrrev_b32_sdwa v0, v0, v7 dst_sel:BYTE_1 dst_unused:UNUSED_PAD src0_sel:DWORD src1_sel:DWORD
	v_ffbh_u32_e32 v2, v1
	v_or_b32_sdwa v0, v7, v0 dst_sel:DWORD dst_unused:UNUSED_PAD src0_sel:BYTE_0 src1_sel:DWORD
	v_min_u32_e32 v2, 32, v2
	v_lshrrev_b16_e32 v0, 3, v0
	v_subrev_u32_e32 v4, 28, v2
	v_and_b32_e32 v0, 15, v0
	v_lshlrev_b32_e32 v4, v4, v7
	v_sub_u32_e32 v2, 29, v2
	v_and_b32_e32 v4, 7, v4
	v_cmp_eq_u16_e32 vcc, 0, v0
	v_cndmask_b32_e32 v1, v1, v4, vcc
	v_cndmask_b32_e32 v0, v0, v2, vcc
	v_lshlrev_b32_e32 v2, 24, v7
	v_mov_b32_e32 v4, 0x3b800000
	v_lshlrev_b32_e32 v1, 20, v1
	v_and_b32_e32 v2, 0x80000000, v2
	v_lshl_add_u32 v0, v0, 23, v4
	v_or3_b32 v0, v2, v0, v1
.LBB7_2020:
	s_or_b64 exec, exec, s[6:7]
	s_movk_i32 s4, 0x7f
	v_cmp_gt_i16_sdwa s[6:7], v3, s4 src0_sel:BYTE_0 src1_sel:DWORD
	s_mov_b64 s[4:5], 0
                                        ; implicit-def: $sgpr10
	s_and_saveexec_b64 s[8:9], s[6:7]
	s_xor_b64 s[6:7], exec, s[8:9]
	s_cbranch_execnz .LBB7_4069
; %bb.2021:
	s_or_saveexec_b64 s[6:7], s[6:7]
	v_mov_b32_e32 v1, s10
	s_xor_b64 exec, exec, s[6:7]
	s_cbranch_execnz .LBB7_4072
.LBB7_2022:
	s_or_b64 exec, exec, s[6:7]
	s_and_saveexec_b64 s[6:7], s[4:5]
	s_cbranch_execz .LBB7_2024
.LBB7_2023:
	v_mov_b32_e32 v1, 8
	v_and_b32_e32 v2, 7, v3
	v_lshrrev_b32_sdwa v1, v1, v3 dst_sel:BYTE_1 dst_unused:UNUSED_PAD src0_sel:DWORD src1_sel:DWORD
	v_ffbh_u32_e32 v4, v2
	v_or_b32_sdwa v1, v3, v1 dst_sel:DWORD dst_unused:UNUSED_PAD src0_sel:BYTE_0 src1_sel:DWORD
	v_min_u32_e32 v4, 32, v4
	v_lshrrev_b16_e32 v1, 3, v1
	v_subrev_u32_e32 v5, 28, v4
	v_and_b32_e32 v1, 15, v1
	v_lshlrev_b32_e32 v5, v5, v3
	v_sub_u32_e32 v4, 29, v4
	v_and_b32_e32 v5, 7, v5
	v_cmp_eq_u16_e32 vcc, 0, v1
	v_cndmask_b32_e32 v2, v2, v5, vcc
	v_cndmask_b32_e32 v1, v1, v4, vcc
	v_lshlrev_b32_e32 v4, 24, v3
	v_mov_b32_e32 v5, 0x3b800000
	v_lshlrev_b32_e32 v2, 20, v2
	v_and_b32_e32 v4, 0x80000000, v4
	v_lshl_add_u32 v1, v1, 23, v5
	v_or3_b32 v1, v4, v1, v2
.LBB7_2024:
	s_or_b64 exec, exec, s[6:7]
	s_nop 0
	v_mfma_f32_16x16x4f32 a[0:3], v0, v1, a[0:3]
	v_lshrrev_b32_e32 v1, 8, v7
	s_movk_i32 s4, 0x7f
	v_cmp_gt_i16_sdwa s[6:7], v1, s4 src0_sel:BYTE_0 src1_sel:DWORD
	s_mov_b64 s[4:5], 0
                                        ; implicit-def: $sgpr10
	s_and_saveexec_b64 s[8:9], s[6:7]
	s_xor_b64 s[6:7], exec, s[8:9]
	s_cbranch_execnz .LBB7_4073
; %bb.2025:
	s_or_saveexec_b64 s[6:7], s[6:7]
	v_mov_b32_e32 v0, s10
	s_xor_b64 exec, exec, s[6:7]
	s_cbranch_execnz .LBB7_4076
.LBB7_2026:
	s_or_b64 exec, exec, s[6:7]
	s_and_saveexec_b64 s[6:7], s[4:5]
	s_cbranch_execz .LBB7_2028
.LBB7_2027:
	v_bfe_u32 v0, v7, 8, 3
	v_ffbh_u32_e32 v4, v0
	v_min_u32_e32 v4, 32, v4
	v_lshrrev_b16_e32 v2, 3, v1
	v_subrev_u32_e32 v5, 28, v4
	v_and_b32_e32 v2, 15, v2
	v_lshlrev_b32_e32 v1, v5, v1
	v_sub_u32_e32 v4, 29, v4
	v_and_b32_e32 v1, 7, v1
	v_cmp_eq_u16_e32 vcc, 0, v2
	v_cndmask_b32_e32 v0, v0, v1, vcc
	v_cndmask_b32_e32 v1, v2, v4, vcc
	v_lshlrev_b32_e32 v2, 16, v7
	v_mov_b32_e32 v4, 0x3b800000
	v_lshlrev_b32_e32 v0, 20, v0
	v_and_b32_e32 v2, 0x80000000, v2
	v_lshl_add_u32 v1, v1, 23, v4
	v_or3_b32 v0, v2, v1, v0
.LBB7_2028:
	s_or_b64 exec, exec, s[6:7]
	v_lshrrev_b32_e32 v1, 8, v3
	s_movk_i32 s4, 0x7f
	v_cmp_gt_i16_sdwa s[6:7], v1, s4 src0_sel:BYTE_0 src1_sel:DWORD
	s_mov_b64 s[4:5], 0
                                        ; implicit-def: $sgpr10
	s_and_saveexec_b64 s[8:9], s[6:7]
	s_xor_b64 s[6:7], exec, s[8:9]
	s_cbranch_execnz .LBB7_4077
; %bb.2029:
	s_or_saveexec_b64 s[6:7], s[6:7]
	v_mov_b32_e32 v2, s10
	s_xor_b64 exec, exec, s[6:7]
	s_cbranch_execnz .LBB7_4080
.LBB7_2030:
	s_or_b64 exec, exec, s[6:7]
	s_and_saveexec_b64 s[6:7], s[4:5]
	s_cbranch_execz .LBB7_2032
.LBB7_2031:
	v_bfe_u32 v2, v3, 8, 3
	v_ffbh_u32_e32 v5, v2
	v_min_u32_e32 v5, 32, v5
	v_lshrrev_b16_e32 v4, 3, v1
	v_subrev_u32_e32 v6, 28, v5
	v_and_b32_e32 v4, 15, v4
	v_lshlrev_b32_e32 v1, v6, v1
	v_sub_u32_e32 v5, 29, v5
	v_and_b32_e32 v1, 7, v1
	v_cmp_eq_u16_e32 vcc, 0, v4
	v_cndmask_b32_e32 v1, v2, v1, vcc
	v_cndmask_b32_e32 v2, v4, v5, vcc
	v_lshlrev_b32_e32 v4, 16, v3
	v_mov_b32_e32 v5, 0x3b800000
	v_lshlrev_b32_e32 v1, 20, v1
	v_and_b32_e32 v4, 0x80000000, v4
	v_lshl_add_u32 v2, v2, 23, v5
	v_or3_b32 v2, v4, v2, v1
.LBB7_2032:
	s_or_b64 exec, exec, s[6:7]
	s_nop 0
	v_mfma_f32_16x16x4f32 a[0:3], v0, v2, a[0:3]
	s_movk_i32 s4, 0xff
	v_and_b32_sdwa v1, v7, s4 dst_sel:DWORD dst_unused:UNUSED_PAD src0_sel:WORD_1 src1_sel:DWORD
	s_movk_i32 s4, 0x7f
	v_cmp_lt_i16_e32 vcc, s4, v1
	s_mov_b64 s[4:5], 0
                                        ; implicit-def: $sgpr10
	s_and_saveexec_b64 s[6:7], vcc
	s_xor_b64 s[6:7], exec, s[6:7]
	s_cbranch_execnz .LBB7_4081
; %bb.2033:
	s_or_saveexec_b64 s[6:7], s[6:7]
	v_mov_b32_e32 v0, s10
	s_xor_b64 exec, exec, s[6:7]
	s_cbranch_execnz .LBB7_4084
.LBB7_2034:
	s_or_b64 exec, exec, s[6:7]
	s_and_saveexec_b64 s[6:7], s[4:5]
	s_cbranch_execz .LBB7_2036
.LBB7_2035:
	v_bfe_u32 v0, v7, 16, 3
	v_ffbh_u32_e32 v4, v0
	v_min_u32_e32 v4, 32, v4
	v_lshrrev_b32_e32 v1, 19, v7
	v_subrev_u32_e32 v5, 28, v4
	v_and_b32_e32 v1, 15, v1
	v_lshlrev_b32_sdwa v5, v5, v7 dst_sel:DWORD dst_unused:UNUSED_PAD src0_sel:DWORD src1_sel:WORD_1
	v_bfe_u32 v2, v7, 19, 4
	v_sub_u32_e32 v4, 29, v4
	v_and_b32_e32 v5, 7, v5
	v_cmp_eq_u16_e32 vcc, 0, v1
	v_cndmask_b32_e32 v0, v0, v5, vcc
	v_cndmask_b32_e32 v1, v2, v4, vcc
	v_lshlrev_b32_e32 v2, 8, v7
	v_mov_b32_e32 v4, 0x3b800000
	v_lshlrev_b32_e32 v0, 20, v0
	v_and_b32_e32 v2, 0x80000000, v2
	v_lshl_add_u32 v1, v1, 23, v4
	v_or3_b32 v0, v2, v1, v0
.LBB7_2036:
	s_or_b64 exec, exec, s[6:7]
	s_movk_i32 s4, 0xff
	v_and_b32_sdwa v1, v3, s4 dst_sel:DWORD dst_unused:UNUSED_PAD src0_sel:WORD_1 src1_sel:DWORD
	s_movk_i32 s4, 0x7f
	v_cmp_lt_i16_e32 vcc, s4, v1
	s_mov_b64 s[4:5], 0
                                        ; implicit-def: $sgpr10
	s_and_saveexec_b64 s[6:7], vcc
	s_xor_b64 s[6:7], exec, s[6:7]
	s_cbranch_execnz .LBB7_4085
; %bb.2037:
	s_or_saveexec_b64 s[6:7], s[6:7]
	v_mov_b32_e32 v2, s10
	s_xor_b64 exec, exec, s[6:7]
	s_cbranch_execnz .LBB7_4088
.LBB7_2038:
	s_or_b64 exec, exec, s[6:7]
	s_and_saveexec_b64 s[6:7], s[4:5]
	s_cbranch_execz .LBB7_2040
.LBB7_2039:
	v_bfe_u32 v1, v3, 16, 3
	v_ffbh_u32_e32 v5, v1
	v_min_u32_e32 v5, 32, v5
	v_lshrrev_b32_e32 v2, 19, v3
	v_subrev_u32_e32 v6, 28, v5
	v_and_b32_e32 v2, 15, v2
	v_lshlrev_b32_sdwa v6, v6, v3 dst_sel:DWORD dst_unused:UNUSED_PAD src0_sel:DWORD src1_sel:WORD_1
	v_bfe_u32 v4, v3, 19, 4
	v_sub_u32_e32 v5, 29, v5
	v_and_b32_e32 v6, 7, v6
	v_cmp_eq_u16_e32 vcc, 0, v2
	v_cndmask_b32_e32 v1, v1, v6, vcc
	v_cndmask_b32_e32 v2, v4, v5, vcc
	v_lshlrev_b32_e32 v4, 8, v3
	v_mov_b32_e32 v5, 0x3b800000
	v_lshlrev_b32_e32 v1, 20, v1
	v_and_b32_e32 v4, 0x80000000, v4
	v_lshl_add_u32 v2, v2, 23, v5
	v_or3_b32 v2, v4, v2, v1
.LBB7_2040:
	s_or_b64 exec, exec, s[6:7]
	s_nop 0
	v_mfma_f32_16x16x4f32 a[0:3], v0, v2, a[0:3]
	s_movk_i32 s4, 0x7f
	v_cmp_gt_i16_sdwa s[6:7], v7, s4 src0_sel:BYTE_3 src1_sel:DWORD
	s_mov_b64 s[4:5], 0
                                        ; implicit-def: $sgpr10
	s_and_saveexec_b64 s[8:9], s[6:7]
	s_xor_b64 s[6:7], exec, s[8:9]
	s_cbranch_execnz .LBB7_4089
; %bb.2041:
	s_or_saveexec_b64 s[6:7], s[6:7]
	v_mov_b32_e32 v0, s10
	s_xor_b64 exec, exec, s[6:7]
	s_cbranch_execnz .LBB7_4092
.LBB7_2042:
	s_or_b64 exec, exec, s[6:7]
	s_and_saveexec_b64 s[6:7], s[4:5]
	s_cbranch_execz .LBB7_2044
.LBB7_2043:
	v_bfe_u32 v0, v7, 24, 3
	v_ffbh_u32_e32 v5, v0
	v_min_u32_e32 v5, 32, v5
	v_lshrrev_b32_e32 v2, 27, v7
	v_subrev_u32_e32 v6, 28, v5
	v_and_b32_e32 v2, 15, v2
	v_lshlrev_b32_sdwa v6, v6, v7 dst_sel:DWORD dst_unused:UNUSED_PAD src0_sel:DWORD src1_sel:BYTE_3
	v_bfe_u32 v4, v7, 27, 4
	v_sub_u32_e32 v5, 29, v5
	v_and_b32_e32 v6, 7, v6
	v_cmp_eq_u16_e32 vcc, 0, v2
	v_cndmask_b32_e32 v0, v0, v6, vcc
	v_cndmask_b32_e32 v2, v4, v5, vcc
	v_mov_b32_e32 v4, 0x3b800000
	v_and_b32_e32 v1, 0x80000000, v7
	v_lshlrev_b32_e32 v0, 20, v0
	v_lshl_add_u32 v2, v2, 23, v4
	v_or3_b32 v0, v1, v2, v0
.LBB7_2044:
	s_or_b64 exec, exec, s[6:7]
	s_movk_i32 s4, 0x7f
	v_cmp_gt_i16_sdwa s[6:7], v3, s4 src0_sel:BYTE_3 src1_sel:DWORD
	s_mov_b64 s[4:5], 0
                                        ; implicit-def: $sgpr10
	s_and_saveexec_b64 s[8:9], s[6:7]
	s_xor_b64 s[6:7], exec, s[8:9]
	s_cbranch_execnz .LBB7_4093
; %bb.2045:
	s_or_saveexec_b64 s[6:7], s[6:7]
	v_mov_b32_e32 v1, s10
	s_xor_b64 exec, exec, s[6:7]
	s_cbranch_execnz .LBB7_4096
.LBB7_2046:
	s_or_b64 exec, exec, s[6:7]
	s_and_saveexec_b64 s[6:7], s[4:5]
	s_cbranch_execz .LBB7_2048
.LBB7_2047:
	v_bfe_u32 v1, v3, 24, 3
	v_ffbh_u32_e32 v6, v1
	v_min_u32_e32 v6, 32, v6
	v_lshrrev_b32_e32 v4, 27, v3
	v_subrev_u32_e32 v7, 28, v6
	v_and_b32_e32 v2, 0x80000000, v3
	v_and_b32_e32 v4, 15, v4
	v_bfe_u32 v5, v3, 27, 4
	v_lshlrev_b32_sdwa v3, v7, v3 dst_sel:DWORD dst_unused:UNUSED_PAD src0_sel:DWORD src1_sel:BYTE_3
	v_sub_u32_e32 v6, 29, v6
	v_and_b32_e32 v3, 7, v3
	v_cmp_eq_u16_e32 vcc, 0, v4
	v_cndmask_b32_e32 v1, v1, v3, vcc
	v_cndmask_b32_e32 v3, v5, v6, vcc
	v_mov_b32_e32 v4, 0x3b800000
	v_lshlrev_b32_e32 v1, 20, v1
	v_lshl_add_u32 v3, v3, 23, v4
	v_or3_b32 v1, v2, v3, v1
.LBB7_2048:
	s_or_b64 exec, exec, s[6:7]
	s_nop 0
	v_mfma_f32_16x16x4f32 a[0:3], v0, v1, a[0:3]
	s_nop 7
	s_nop 2
	flat_store_dwordx4 v[16:17], a[0:3] offset:752
	s_waitcnt vmcnt(0) lgkmcnt(0)
	s_setpc_b64 s[30:31]
.LBB7_2049:
	s_movk_i32 s4, 0x80
	v_cmp_eq_u16_sdwa s[12:13], v14, s4 src0_sel:BYTE_0 src1_sel:DWORD
	s_mov_b64 s[4:5], -1
                                        ; implicit-def: $sgpr10
	s_and_saveexec_b64 s[8:9], s[12:13]
; %bb.2050:
	s_mov_b32 s10, 0x7f800001
	s_xor_b64 s[4:5], exec, -1
; %bb.2051:
	s_or_b64 exec, exec, s[8:9]
	s_and_b64 s[4:5], s[4:5], exec
	s_or_saveexec_b64 s[6:7], s[6:7]
	v_mov_b32_e32 v20, s10
	s_xor_b64 exec, exec, s[6:7]
	s_cbranch_execz .LBB7_2
.LBB7_2052:
	v_mov_b32_e32 v20, 0
	v_cmp_ne_u16_sdwa s[8:9], v14, v20 src0_sel:BYTE_0 src1_sel:DWORD
	s_andn2_b64 s[4:5], s[4:5], exec
	s_and_b64 s[8:9], s[8:9], exec
	s_or_b64 s[4:5], s[4:5], s[8:9]
	s_or_b64 exec, exec, s[6:7]
	s_and_saveexec_b64 s[6:7], s[4:5]
	s_cbranch_execnz .LBB7_3
	s_branch .LBB7_4
.LBB7_2053:
	s_movk_i32 s4, 0x80
	v_cmp_eq_u16_sdwa s[12:13], v10, s4 src0_sel:BYTE_0 src1_sel:DWORD
	s_mov_b64 s[4:5], -1
                                        ; implicit-def: $sgpr10
	s_and_saveexec_b64 s[8:9], s[12:13]
; %bb.2054:
	s_mov_b32 s10, 0x7f800001
	s_xor_b64 s[4:5], exec, -1
; %bb.2055:
	s_or_b64 exec, exec, s[8:9]
	s_and_b64 s[4:5], s[4:5], exec
	s_or_saveexec_b64 s[6:7], s[6:7]
	v_mov_b32_e32 v21, s10
	s_xor_b64 exec, exec, s[6:7]
	s_cbranch_execz .LBB7_6
.LBB7_2056:
	v_mov_b32_e32 v21, 0
	v_cmp_ne_u16_sdwa s[8:9], v10, v21 src0_sel:BYTE_0 src1_sel:DWORD
	s_andn2_b64 s[4:5], s[4:5], exec
	s_and_b64 s[8:9], s[8:9], exec
	s_or_b64 s[4:5], s[4:5], s[8:9]
	s_or_b64 exec, exec, s[6:7]
	s_and_saveexec_b64 s[6:7], s[4:5]
	s_cbranch_execnz .LBB7_7
	s_branch .LBB7_8
.LBB7_2057:
	s_movk_i32 s4, 0x80
	v_cmp_eq_u16_sdwa s[12:13], v21, s4 src0_sel:BYTE_0 src1_sel:DWORD
	s_mov_b64 s[4:5], -1
                                        ; implicit-def: $sgpr10
	s_and_saveexec_b64 s[8:9], s[12:13]
; %bb.2058:
	s_mov_b32 s10, 0x7f800001
	s_xor_b64 s[4:5], exec, -1
; %bb.2059:
	s_or_b64 exec, exec, s[8:9]
	s_and_b64 s[4:5], s[4:5], exec
	s_or_saveexec_b64 s[6:7], s[6:7]
	v_mov_b32_e32 v20, s10
	s_xor_b64 exec, exec, s[6:7]
	s_cbranch_execz .LBB7_10
.LBB7_2060:
	v_mov_b32_e32 v20, 0
	v_cmp_ne_u16_sdwa s[8:9], v21, v20 src0_sel:BYTE_0 src1_sel:DWORD
	s_andn2_b64 s[4:5], s[4:5], exec
	s_and_b64 s[8:9], s[8:9], exec
	s_or_b64 s[4:5], s[4:5], s[8:9]
	s_or_b64 exec, exec, s[6:7]
	s_and_saveexec_b64 s[6:7], s[4:5]
	s_cbranch_execnz .LBB7_11
	s_branch .LBB7_12
.LBB7_2061:
	s_movk_i32 s4, 0x80
	v_cmp_eq_u16_sdwa s[12:13], v21, s4 src0_sel:BYTE_0 src1_sel:DWORD
	s_mov_b64 s[4:5], -1
                                        ; implicit-def: $sgpr10
	s_and_saveexec_b64 s[8:9], s[12:13]
; %bb.2062:
	s_mov_b32 s10, 0x7f800001
	s_xor_b64 s[4:5], exec, -1
; %bb.2063:
	s_or_b64 exec, exec, s[8:9]
	s_and_b64 s[4:5], s[4:5], exec
	s_or_saveexec_b64 s[6:7], s[6:7]
	v_mov_b32_e32 v22, s10
	s_xor_b64 exec, exec, s[6:7]
	s_cbranch_execz .LBB7_14
.LBB7_2064:
	v_mov_b32_e32 v22, 0
	v_cmp_ne_u16_sdwa s[8:9], v21, v22 src0_sel:BYTE_0 src1_sel:DWORD
	s_andn2_b64 s[4:5], s[4:5], exec
	s_and_b64 s[8:9], s[8:9], exec
	s_or_b64 s[4:5], s[4:5], s[8:9]
	s_or_b64 exec, exec, s[6:7]
	s_and_saveexec_b64 s[6:7], s[4:5]
	s_cbranch_execnz .LBB7_15
	s_branch .LBB7_16
.LBB7_2065:
	s_movk_i32 s4, 0x80
	v_cmp_eq_u16_e32 vcc, s4, v21
	s_mov_b64 s[4:5], -1
                                        ; implicit-def: $sgpr10
	s_and_saveexec_b64 s[8:9], vcc
; %bb.2066:
	s_mov_b32 s10, 0x7f800001
	s_xor_b64 s[4:5], exec, -1
; %bb.2067:
	s_or_b64 exec, exec, s[8:9]
	s_and_b64 s[4:5], s[4:5], exec
                                        ; implicit-def: $vgpr21
	s_or_saveexec_b64 s[6:7], s[6:7]
	v_mov_b32_e32 v20, s10
	s_xor_b64 exec, exec, s[6:7]
	s_cbranch_execz .LBB7_18
.LBB7_2068:
	v_cmp_ne_u16_e32 vcc, 0, v21
	s_andn2_b64 s[4:5], s[4:5], exec
	s_and_b64 s[8:9], vcc, exec
	v_mov_b32_e32 v20, 0
	s_or_b64 s[4:5], s[4:5], s[8:9]
	s_or_b64 exec, exec, s[6:7]
	s_and_saveexec_b64 s[6:7], s[4:5]
	s_cbranch_execnz .LBB7_19
	s_branch .LBB7_20
.LBB7_2069:
	s_movk_i32 s4, 0x80
	v_cmp_eq_u16_e32 vcc, s4, v21
	s_mov_b64 s[4:5], -1
                                        ; implicit-def: $sgpr10
	s_and_saveexec_b64 s[8:9], vcc
; %bb.2070:
	s_mov_b32 s10, 0x7f800001
	s_xor_b64 s[4:5], exec, -1
; %bb.2071:
	s_or_b64 exec, exec, s[8:9]
	s_and_b64 s[4:5], s[4:5], exec
                                        ; implicit-def: $vgpr21
	s_or_saveexec_b64 s[6:7], s[6:7]
	v_mov_b32_e32 v22, s10
	s_xor_b64 exec, exec, s[6:7]
	s_cbranch_execz .LBB7_22
.LBB7_2072:
	v_cmp_ne_u16_e32 vcc, 0, v21
	s_andn2_b64 s[4:5], s[4:5], exec
	s_and_b64 s[8:9], vcc, exec
	v_mov_b32_e32 v22, 0
	s_or_b64 s[4:5], s[4:5], s[8:9]
	s_or_b64 exec, exec, s[6:7]
	s_and_saveexec_b64 s[6:7], s[4:5]
	s_cbranch_execnz .LBB7_23
	s_branch .LBB7_24
.LBB7_2073:
	s_movk_i32 s4, 0x80
	v_cmp_eq_u16_sdwa s[12:13], v14, s4 src0_sel:BYTE_3 src1_sel:DWORD
	s_mov_b64 s[4:5], -1
                                        ; implicit-def: $sgpr10
	s_and_saveexec_b64 s[8:9], s[12:13]
; %bb.2074:
	s_mov_b32 s10, 0x7f800001
	s_xor_b64 s[4:5], exec, -1
; %bb.2075:
	s_or_b64 exec, exec, s[8:9]
	s_and_b64 s[4:5], s[4:5], exec
	s_or_saveexec_b64 s[6:7], s[6:7]
	v_mov_b32_e32 v20, s10
	s_xor_b64 exec, exec, s[6:7]
	s_cbranch_execz .LBB7_26
.LBB7_2076:
	v_mov_b32_e32 v20, 0
	v_cmp_ne_u16_sdwa s[8:9], v14, v20 src0_sel:BYTE_3 src1_sel:DWORD
	s_andn2_b64 s[4:5], s[4:5], exec
	s_and_b64 s[8:9], s[8:9], exec
	s_or_b64 s[4:5], s[4:5], s[8:9]
	s_or_b64 exec, exec, s[6:7]
	s_and_saveexec_b64 s[6:7], s[4:5]
	s_cbranch_execnz .LBB7_27
	s_branch .LBB7_28
.LBB7_2077:
	s_movk_i32 s4, 0x80
	v_cmp_eq_u16_sdwa s[12:13], v10, s4 src0_sel:BYTE_3 src1_sel:DWORD
	s_mov_b64 s[4:5], -1
                                        ; implicit-def: $sgpr10
	s_and_saveexec_b64 s[8:9], s[12:13]
; %bb.2078:
	s_mov_b32 s10, 0x7f800001
	s_xor_b64 s[4:5], exec, -1
; %bb.2079:
	s_or_b64 exec, exec, s[8:9]
	s_and_b64 s[4:5], s[4:5], exec
	s_or_saveexec_b64 s[6:7], s[6:7]
	v_mov_b32_e32 v14, s10
	s_xor_b64 exec, exec, s[6:7]
	s_cbranch_execz .LBB7_30
.LBB7_2080:
	v_mov_b32_e32 v14, 0
	v_cmp_ne_u16_sdwa s[8:9], v10, v14 src0_sel:BYTE_3 src1_sel:DWORD
	s_andn2_b64 s[4:5], s[4:5], exec
	s_and_b64 s[8:9], s[8:9], exec
	s_or_b64 s[4:5], s[4:5], s[8:9]
	s_or_b64 exec, exec, s[6:7]
	s_and_saveexec_b64 s[6:7], s[4:5]
	s_cbranch_execnz .LBB7_31
	s_branch .LBB7_32
.LBB7_2081:
	s_movk_i32 s4, 0x80
	v_cmp_eq_u16_sdwa s[12:13], v15, s4 src0_sel:BYTE_0 src1_sel:DWORD
	s_mov_b64 s[4:5], -1
                                        ; implicit-def: $sgpr10
	s_and_saveexec_b64 s[8:9], s[12:13]
; %bb.2082:
	s_mov_b32 s10, 0x7f800001
	s_xor_b64 s[4:5], exec, -1
; %bb.2083:
	s_or_b64 exec, exec, s[8:9]
	s_and_b64 s[4:5], s[4:5], exec
	s_or_saveexec_b64 s[6:7], s[6:7]
	v_mov_b32_e32 v10, s10
	s_xor_b64 exec, exec, s[6:7]
	s_cbranch_execz .LBB7_34
.LBB7_2084:
	v_mov_b32_e32 v10, 0
	v_cmp_ne_u16_sdwa s[8:9], v15, v10 src0_sel:BYTE_0 src1_sel:DWORD
	s_andn2_b64 s[4:5], s[4:5], exec
	s_and_b64 s[8:9], s[8:9], exec
	s_or_b64 s[4:5], s[4:5], s[8:9]
	s_or_b64 exec, exec, s[6:7]
	s_and_saveexec_b64 s[6:7], s[4:5]
	s_cbranch_execnz .LBB7_35
	s_branch .LBB7_36
.LBB7_2085:
	s_movk_i32 s4, 0x80
	v_cmp_eq_u16_sdwa s[12:13], v11, s4 src0_sel:BYTE_0 src1_sel:DWORD
	s_mov_b64 s[4:5], -1
                                        ; implicit-def: $sgpr10
	s_and_saveexec_b64 s[8:9], s[12:13]
; %bb.2086:
	s_mov_b32 s10, 0x7f800001
	s_xor_b64 s[4:5], exec, -1
; %bb.2087:
	s_or_b64 exec, exec, s[8:9]
	s_and_b64 s[4:5], s[4:5], exec
	s_or_saveexec_b64 s[6:7], s[6:7]
	v_mov_b32_e32 v14, s10
	s_xor_b64 exec, exec, s[6:7]
	s_cbranch_execz .LBB7_38
.LBB7_2088:
	v_mov_b32_e32 v14, 0
	v_cmp_ne_u16_sdwa s[8:9], v11, v14 src0_sel:BYTE_0 src1_sel:DWORD
	s_andn2_b64 s[4:5], s[4:5], exec
	s_and_b64 s[8:9], s[8:9], exec
	s_or_b64 s[4:5], s[4:5], s[8:9]
	s_or_b64 exec, exec, s[6:7]
	s_and_saveexec_b64 s[6:7], s[4:5]
	s_cbranch_execnz .LBB7_39
	s_branch .LBB7_40
.LBB7_2089:
	s_movk_i32 s4, 0x80
	v_cmp_eq_u16_sdwa s[12:13], v14, s4 src0_sel:BYTE_0 src1_sel:DWORD
	s_mov_b64 s[4:5], -1
                                        ; implicit-def: $sgpr10
	s_and_saveexec_b64 s[8:9], s[12:13]
; %bb.2090:
	s_mov_b32 s10, 0x7f800001
	s_xor_b64 s[4:5], exec, -1
; %bb.2091:
	s_or_b64 exec, exec, s[8:9]
	s_and_b64 s[4:5], s[4:5], exec
	s_or_saveexec_b64 s[6:7], s[6:7]
	v_mov_b32_e32 v10, s10
	s_xor_b64 exec, exec, s[6:7]
	s_cbranch_execz .LBB7_42
.LBB7_2092:
	v_mov_b32_e32 v10, 0
	v_cmp_ne_u16_sdwa s[8:9], v14, v10 src0_sel:BYTE_0 src1_sel:DWORD
	s_andn2_b64 s[4:5], s[4:5], exec
	s_and_b64 s[8:9], s[8:9], exec
	s_or_b64 s[4:5], s[4:5], s[8:9]
	s_or_b64 exec, exec, s[6:7]
	s_and_saveexec_b64 s[6:7], s[4:5]
	s_cbranch_execnz .LBB7_43
	s_branch .LBB7_44
.LBB7_2093:
	s_movk_i32 s4, 0x80
	v_cmp_eq_u16_sdwa s[12:13], v14, s4 src0_sel:BYTE_0 src1_sel:DWORD
	s_mov_b64 s[4:5], -1
                                        ; implicit-def: $sgpr10
	s_and_saveexec_b64 s[8:9], s[12:13]
; %bb.2094:
	s_mov_b32 s10, 0x7f800001
	s_xor_b64 s[4:5], exec, -1
; %bb.2095:
	s_or_b64 exec, exec, s[8:9]
	s_and_b64 s[4:5], s[4:5], exec
	s_or_saveexec_b64 s[6:7], s[6:7]
	v_mov_b32_e32 v20, s10
	s_xor_b64 exec, exec, s[6:7]
	s_cbranch_execz .LBB7_46
.LBB7_2096:
	v_mov_b32_e32 v20, 0
	v_cmp_ne_u16_sdwa s[8:9], v14, v20 src0_sel:BYTE_0 src1_sel:DWORD
	s_andn2_b64 s[4:5], s[4:5], exec
	s_and_b64 s[8:9], s[8:9], exec
	s_or_b64 s[4:5], s[4:5], s[8:9]
	s_or_b64 exec, exec, s[6:7]
	s_and_saveexec_b64 s[6:7], s[4:5]
	s_cbranch_execnz .LBB7_47
	s_branch .LBB7_48
.LBB7_2097:
	s_movk_i32 s4, 0x80
	v_cmp_eq_u16_e32 vcc, s4, v14
	s_mov_b64 s[4:5], -1
                                        ; implicit-def: $sgpr10
	s_and_saveexec_b64 s[8:9], vcc
; %bb.2098:
	s_mov_b32 s10, 0x7f800001
	s_xor_b64 s[4:5], exec, -1
; %bb.2099:
	s_or_b64 exec, exec, s[8:9]
	s_and_b64 s[4:5], s[4:5], exec
                                        ; implicit-def: $vgpr14
	s_or_saveexec_b64 s[6:7], s[6:7]
	v_mov_b32_e32 v10, s10
	s_xor_b64 exec, exec, s[6:7]
	s_cbranch_execz .LBB7_50
.LBB7_2100:
	v_cmp_ne_u16_e32 vcc, 0, v14
	s_andn2_b64 s[4:5], s[4:5], exec
	s_and_b64 s[8:9], vcc, exec
	v_mov_b32_e32 v10, 0
	s_or_b64 s[4:5], s[4:5], s[8:9]
	s_or_b64 exec, exec, s[6:7]
	s_and_saveexec_b64 s[6:7], s[4:5]
	s_cbranch_execnz .LBB7_51
	s_branch .LBB7_52
.LBB7_2101:
	s_movk_i32 s4, 0x80
	v_cmp_eq_u16_e32 vcc, s4, v14
	s_mov_b64 s[4:5], -1
                                        ; implicit-def: $sgpr10
	s_and_saveexec_b64 s[8:9], vcc
; %bb.2102:
	s_mov_b32 s10, 0x7f800001
	s_xor_b64 s[4:5], exec, -1
; %bb.2103:
	s_or_b64 exec, exec, s[8:9]
	s_and_b64 s[4:5], s[4:5], exec
                                        ; implicit-def: $vgpr14
	s_or_saveexec_b64 s[6:7], s[6:7]
	v_mov_b32_e32 v20, s10
	s_xor_b64 exec, exec, s[6:7]
	s_cbranch_execz .LBB7_54
.LBB7_2104:
	v_cmp_ne_u16_e32 vcc, 0, v14
	s_andn2_b64 s[4:5], s[4:5], exec
	s_and_b64 s[8:9], vcc, exec
	v_mov_b32_e32 v20, 0
	s_or_b64 s[4:5], s[4:5], s[8:9]
	s_or_b64 exec, exec, s[6:7]
	s_and_saveexec_b64 s[6:7], s[4:5]
	s_cbranch_execnz .LBB7_55
	s_branch .LBB7_56
.LBB7_2105:
	s_movk_i32 s4, 0x80
	v_cmp_eq_u16_sdwa s[12:13], v15, s4 src0_sel:BYTE_3 src1_sel:DWORD
	s_mov_b64 s[4:5], -1
                                        ; implicit-def: $sgpr10
	s_and_saveexec_b64 s[8:9], s[12:13]
; %bb.2106:
	s_mov_b32 s10, 0x7f800001
	s_xor_b64 s[4:5], exec, -1
; %bb.2107:
	s_or_b64 exec, exec, s[8:9]
	s_and_b64 s[4:5], s[4:5], exec
	s_or_saveexec_b64 s[6:7], s[6:7]
	v_mov_b32_e32 v10, s10
	s_xor_b64 exec, exec, s[6:7]
	s_cbranch_execz .LBB7_58
.LBB7_2108:
	v_mov_b32_e32 v10, 0
	v_cmp_ne_u16_sdwa s[8:9], v15, v10 src0_sel:BYTE_3 src1_sel:DWORD
	s_andn2_b64 s[4:5], s[4:5], exec
	s_and_b64 s[8:9], s[8:9], exec
	s_or_b64 s[4:5], s[4:5], s[8:9]
	s_or_b64 exec, exec, s[6:7]
	s_and_saveexec_b64 s[6:7], s[4:5]
	s_cbranch_execnz .LBB7_59
	s_branch .LBB7_60
.LBB7_2109:
	s_movk_i32 s4, 0x80
	v_cmp_eq_u16_sdwa s[12:13], v11, s4 src0_sel:BYTE_3 src1_sel:DWORD
	s_mov_b64 s[4:5], -1
                                        ; implicit-def: $sgpr10
	s_and_saveexec_b64 s[8:9], s[12:13]
; %bb.2110:
	s_mov_b32 s10, 0x7f800001
	s_xor_b64 s[4:5], exec, -1
; %bb.2111:
	s_or_b64 exec, exec, s[8:9]
	s_and_b64 s[4:5], s[4:5], exec
	s_or_saveexec_b64 s[6:7], s[6:7]
	v_mov_b32_e32 v14, s10
	s_xor_b64 exec, exec, s[6:7]
	s_cbranch_execz .LBB7_62
.LBB7_2112:
	v_mov_b32_e32 v14, 0
	v_cmp_ne_u16_sdwa s[8:9], v11, v14 src0_sel:BYTE_3 src1_sel:DWORD
	s_andn2_b64 s[4:5], s[4:5], exec
	s_and_b64 s[8:9], s[8:9], exec
	s_or_b64 s[4:5], s[4:5], s[8:9]
	s_or_b64 exec, exec, s[6:7]
	s_and_saveexec_b64 s[6:7], s[4:5]
	s_cbranch_execnz .LBB7_63
	s_branch .LBB7_64
.LBB7_2113:
	s_movk_i32 s4, 0x80
	v_cmp_eq_u16_sdwa s[12:13], v16, s4 src0_sel:BYTE_0 src1_sel:DWORD
	s_mov_b64 s[4:5], -1
                                        ; implicit-def: $sgpr10
	s_and_saveexec_b64 s[8:9], s[12:13]
; %bb.2114:
	s_mov_b32 s10, 0x7f800001
	s_xor_b64 s[4:5], exec, -1
; %bb.2115:
	s_or_b64 exec, exec, s[8:9]
	s_and_b64 s[4:5], s[4:5], exec
	s_or_saveexec_b64 s[6:7], s[6:7]
	v_mov_b32_e32 v10, s10
	s_xor_b64 exec, exec, s[6:7]
	s_cbranch_execz .LBB7_66
.LBB7_2116:
	v_mov_b32_e32 v10, 0
	v_cmp_ne_u16_sdwa s[8:9], v16, v10 src0_sel:BYTE_0 src1_sel:DWORD
	s_andn2_b64 s[4:5], s[4:5], exec
	s_and_b64 s[8:9], s[8:9], exec
	s_or_b64 s[4:5], s[4:5], s[8:9]
	s_or_b64 exec, exec, s[6:7]
	s_and_saveexec_b64 s[6:7], s[4:5]
	s_cbranch_execnz .LBB7_67
	s_branch .LBB7_68
.LBB7_2117:
	s_movk_i32 s4, 0x80
	v_cmp_eq_u16_sdwa s[12:13], v12, s4 src0_sel:BYTE_0 src1_sel:DWORD
	s_mov_b64 s[4:5], -1
                                        ; implicit-def: $sgpr10
	s_and_saveexec_b64 s[8:9], s[12:13]
; %bb.2118:
	s_mov_b32 s10, 0x7f800001
	s_xor_b64 s[4:5], exec, -1
; %bb.2119:
	s_or_b64 exec, exec, s[8:9]
	s_and_b64 s[4:5], s[4:5], exec
	s_or_saveexec_b64 s[6:7], s[6:7]
	v_mov_b32_e32 v11, s10
	s_xor_b64 exec, exec, s[6:7]
	s_cbranch_execz .LBB7_70
.LBB7_2120:
	v_mov_b32_e32 v11, 0
	v_cmp_ne_u16_sdwa s[8:9], v12, v11 src0_sel:BYTE_0 src1_sel:DWORD
	s_andn2_b64 s[4:5], s[4:5], exec
	s_and_b64 s[8:9], s[8:9], exec
	s_or_b64 s[4:5], s[4:5], s[8:9]
	s_or_b64 exec, exec, s[6:7]
	s_and_saveexec_b64 s[6:7], s[4:5]
	s_cbranch_execnz .LBB7_71
	s_branch .LBB7_72
.LBB7_2121:
	s_movk_i32 s4, 0x80
	v_cmp_eq_u16_sdwa s[12:13], v11, s4 src0_sel:BYTE_0 src1_sel:DWORD
	s_mov_b64 s[4:5], -1
                                        ; implicit-def: $sgpr10
	s_and_saveexec_b64 s[8:9], s[12:13]
; %bb.2122:
	s_mov_b32 s10, 0x7f800001
	s_xor_b64 s[4:5], exec, -1
; %bb.2123:
	s_or_b64 exec, exec, s[8:9]
	s_and_b64 s[4:5], s[4:5], exec
	s_or_saveexec_b64 s[6:7], s[6:7]
	v_mov_b32_e32 v10, s10
	s_xor_b64 exec, exec, s[6:7]
	s_cbranch_execz .LBB7_74
.LBB7_2124:
	v_mov_b32_e32 v10, 0
	v_cmp_ne_u16_sdwa s[8:9], v11, v10 src0_sel:BYTE_0 src1_sel:DWORD
	s_andn2_b64 s[4:5], s[4:5], exec
	s_and_b64 s[8:9], s[8:9], exec
	s_or_b64 s[4:5], s[4:5], s[8:9]
	s_or_b64 exec, exec, s[6:7]
	s_and_saveexec_b64 s[6:7], s[4:5]
	s_cbranch_execnz .LBB7_75
	s_branch .LBB7_76
.LBB7_2125:
	s_movk_i32 s4, 0x80
	v_cmp_eq_u16_sdwa s[12:13], v11, s4 src0_sel:BYTE_0 src1_sel:DWORD
	s_mov_b64 s[4:5], -1
                                        ; implicit-def: $sgpr10
	s_and_saveexec_b64 s[8:9], s[12:13]
; %bb.2126:
	s_mov_b32 s10, 0x7f800001
	s_xor_b64 s[4:5], exec, -1
; %bb.2127:
	s_or_b64 exec, exec, s[8:9]
	s_and_b64 s[4:5], s[4:5], exec
	s_or_saveexec_b64 s[6:7], s[6:7]
	v_mov_b32_e32 v14, s10
	s_xor_b64 exec, exec, s[6:7]
	s_cbranch_execz .LBB7_78
.LBB7_2128:
	v_mov_b32_e32 v14, 0
	v_cmp_ne_u16_sdwa s[8:9], v11, v14 src0_sel:BYTE_0 src1_sel:DWORD
	s_andn2_b64 s[4:5], s[4:5], exec
	s_and_b64 s[8:9], s[8:9], exec
	s_or_b64 s[4:5], s[4:5], s[8:9]
	s_or_b64 exec, exec, s[6:7]
	s_and_saveexec_b64 s[6:7], s[4:5]
	s_cbranch_execnz .LBB7_79
	s_branch .LBB7_80
.LBB7_2129:
	s_movk_i32 s4, 0x80
	v_cmp_eq_u16_e32 vcc, s4, v11
	s_mov_b64 s[4:5], -1
                                        ; implicit-def: $sgpr10
	s_and_saveexec_b64 s[8:9], vcc
; %bb.2130:
	s_mov_b32 s10, 0x7f800001
	s_xor_b64 s[4:5], exec, -1
; %bb.2131:
	s_or_b64 exec, exec, s[8:9]
	s_and_b64 s[4:5], s[4:5], exec
                                        ; implicit-def: $vgpr11
	s_or_saveexec_b64 s[6:7], s[6:7]
	v_mov_b32_e32 v10, s10
	s_xor_b64 exec, exec, s[6:7]
	s_cbranch_execz .LBB7_82
.LBB7_2132:
	v_cmp_ne_u16_e32 vcc, 0, v11
	s_andn2_b64 s[4:5], s[4:5], exec
	s_and_b64 s[8:9], vcc, exec
	v_mov_b32_e32 v10, 0
	s_or_b64 s[4:5], s[4:5], s[8:9]
	s_or_b64 exec, exec, s[6:7]
	s_and_saveexec_b64 s[6:7], s[4:5]
	s_cbranch_execnz .LBB7_83
	s_branch .LBB7_84
.LBB7_2133:
	s_movk_i32 s4, 0x80
	v_cmp_eq_u16_e32 vcc, s4, v11
	s_mov_b64 s[4:5], -1
                                        ; implicit-def: $sgpr10
	s_and_saveexec_b64 s[8:9], vcc
; %bb.2134:
	s_mov_b32 s10, 0x7f800001
	s_xor_b64 s[4:5], exec, -1
; %bb.2135:
	s_or_b64 exec, exec, s[8:9]
	s_and_b64 s[4:5], s[4:5], exec
                                        ; implicit-def: $vgpr11
	s_or_saveexec_b64 s[6:7], s[6:7]
	v_mov_b32_e32 v14, s10
	s_xor_b64 exec, exec, s[6:7]
	s_cbranch_execz .LBB7_86
.LBB7_2136:
	v_cmp_ne_u16_e32 vcc, 0, v11
	s_andn2_b64 s[4:5], s[4:5], exec
	s_and_b64 s[8:9], vcc, exec
	v_mov_b32_e32 v14, 0
	s_or_b64 s[4:5], s[4:5], s[8:9]
	s_or_b64 exec, exec, s[6:7]
	s_and_saveexec_b64 s[6:7], s[4:5]
	s_cbranch_execnz .LBB7_87
	s_branch .LBB7_88
.LBB7_2137:
	s_movk_i32 s4, 0x80
	v_cmp_eq_u16_sdwa s[12:13], v16, s4 src0_sel:BYTE_3 src1_sel:DWORD
	s_mov_b64 s[4:5], -1
                                        ; implicit-def: $sgpr10
	s_and_saveexec_b64 s[8:9], s[12:13]
; %bb.2138:
	s_mov_b32 s10, 0x7f800001
	s_xor_b64 s[4:5], exec, -1
; %bb.2139:
	s_or_b64 exec, exec, s[8:9]
	s_and_b64 s[4:5], s[4:5], exec
	s_or_saveexec_b64 s[6:7], s[6:7]
	v_mov_b32_e32 v10, s10
	s_xor_b64 exec, exec, s[6:7]
	s_cbranch_execz .LBB7_90
.LBB7_2140:
	v_mov_b32_e32 v10, 0
	v_cmp_ne_u16_sdwa s[8:9], v16, v10 src0_sel:BYTE_3 src1_sel:DWORD
	s_andn2_b64 s[4:5], s[4:5], exec
	s_and_b64 s[8:9], s[8:9], exec
	s_or_b64 s[4:5], s[4:5], s[8:9]
	s_or_b64 exec, exec, s[6:7]
	s_and_saveexec_b64 s[6:7], s[4:5]
	s_cbranch_execnz .LBB7_91
	s_branch .LBB7_92
.LBB7_2141:
	s_movk_i32 s4, 0x80
	v_cmp_eq_u16_sdwa s[12:13], v12, s4 src0_sel:BYTE_3 src1_sel:DWORD
	s_mov_b64 s[4:5], -1
                                        ; implicit-def: $sgpr10
	s_and_saveexec_b64 s[8:9], s[12:13]
; %bb.2142:
	s_mov_b32 s10, 0x7f800001
	s_xor_b64 s[4:5], exec, -1
; %bb.2143:
	s_or_b64 exec, exec, s[8:9]
	s_and_b64 s[4:5], s[4:5], exec
	s_or_saveexec_b64 s[6:7], s[6:7]
	v_mov_b32_e32 v11, s10
	s_xor_b64 exec, exec, s[6:7]
	s_cbranch_execz .LBB7_94
.LBB7_2144:
	v_mov_b32_e32 v11, 0
	v_cmp_ne_u16_sdwa s[8:9], v12, v11 src0_sel:BYTE_3 src1_sel:DWORD
	s_andn2_b64 s[4:5], s[4:5], exec
	s_and_b64 s[8:9], s[8:9], exec
	s_or_b64 s[4:5], s[4:5], s[8:9]
	s_or_b64 exec, exec, s[6:7]
	s_and_saveexec_b64 s[6:7], s[4:5]
	s_cbranch_execnz .LBB7_95
	s_branch .LBB7_96
.LBB7_2145:
	s_movk_i32 s4, 0x80
	v_cmp_eq_u16_sdwa s[12:13], v17, s4 src0_sel:BYTE_0 src1_sel:DWORD
	s_mov_b64 s[4:5], -1
                                        ; implicit-def: $sgpr10
	s_and_saveexec_b64 s[8:9], s[12:13]
; %bb.2146:
	s_mov_b32 s10, 0x7f800001
	s_xor_b64 s[4:5], exec, -1
; %bb.2147:
	s_or_b64 exec, exec, s[8:9]
	s_and_b64 s[4:5], s[4:5], exec
	s_or_saveexec_b64 s[6:7], s[6:7]
	v_mov_b32_e32 v10, s10
	s_xor_b64 exec, exec, s[6:7]
	s_cbranch_execz .LBB7_98
.LBB7_2148:
	v_mov_b32_e32 v10, 0
	v_cmp_ne_u16_sdwa s[8:9], v17, v10 src0_sel:BYTE_0 src1_sel:DWORD
	s_andn2_b64 s[4:5], s[4:5], exec
	s_and_b64 s[8:9], s[8:9], exec
	s_or_b64 s[4:5], s[4:5], s[8:9]
	s_or_b64 exec, exec, s[6:7]
	s_and_saveexec_b64 s[6:7], s[4:5]
	s_cbranch_execnz .LBB7_99
	s_branch .LBB7_100
.LBB7_2149:
	s_movk_i32 s4, 0x80
	v_cmp_eq_u16_sdwa s[12:13], v13, s4 src0_sel:BYTE_0 src1_sel:DWORD
	s_mov_b64 s[4:5], -1
                                        ; implicit-def: $sgpr10
	s_and_saveexec_b64 s[8:9], s[12:13]
; %bb.2150:
	s_mov_b32 s10, 0x7f800001
	s_xor_b64 s[4:5], exec, -1
; %bb.2151:
	s_or_b64 exec, exec, s[8:9]
	s_and_b64 s[4:5], s[4:5], exec
	s_or_saveexec_b64 s[6:7], s[6:7]
	v_mov_b32_e32 v11, s10
	s_xor_b64 exec, exec, s[6:7]
	s_cbranch_execz .LBB7_102
.LBB7_2152:
	v_mov_b32_e32 v11, 0
	v_cmp_ne_u16_sdwa s[8:9], v13, v11 src0_sel:BYTE_0 src1_sel:DWORD
	s_andn2_b64 s[4:5], s[4:5], exec
	s_and_b64 s[8:9], s[8:9], exec
	s_or_b64 s[4:5], s[4:5], s[8:9]
	s_or_b64 exec, exec, s[6:7]
	s_and_saveexec_b64 s[6:7], s[4:5]
	s_cbranch_execnz .LBB7_103
	s_branch .LBB7_104
.LBB7_2153:
	s_movk_i32 s4, 0x80
	v_cmp_eq_u16_sdwa s[12:13], v11, s4 src0_sel:BYTE_0 src1_sel:DWORD
	s_mov_b64 s[4:5], -1
                                        ; implicit-def: $sgpr10
	s_and_saveexec_b64 s[8:9], s[12:13]
; %bb.2154:
	s_mov_b32 s10, 0x7f800001
	s_xor_b64 s[4:5], exec, -1
; %bb.2155:
	s_or_b64 exec, exec, s[8:9]
	s_and_b64 s[4:5], s[4:5], exec
	s_or_saveexec_b64 s[6:7], s[6:7]
	v_mov_b32_e32 v10, s10
	s_xor_b64 exec, exec, s[6:7]
	s_cbranch_execz .LBB7_106
.LBB7_2156:
	v_mov_b32_e32 v10, 0
	v_cmp_ne_u16_sdwa s[8:9], v11, v10 src0_sel:BYTE_0 src1_sel:DWORD
	s_andn2_b64 s[4:5], s[4:5], exec
	s_and_b64 s[8:9], s[8:9], exec
	s_or_b64 s[4:5], s[4:5], s[8:9]
	s_or_b64 exec, exec, s[6:7]
	s_and_saveexec_b64 s[6:7], s[4:5]
	s_cbranch_execnz .LBB7_107
	s_branch .LBB7_108
.LBB7_2157:
	s_movk_i32 s4, 0x80
	v_cmp_eq_u16_sdwa s[12:13], v11, s4 src0_sel:BYTE_0 src1_sel:DWORD
	s_mov_b64 s[4:5], -1
                                        ; implicit-def: $sgpr10
	s_and_saveexec_b64 s[8:9], s[12:13]
; %bb.2158:
	s_mov_b32 s10, 0x7f800001
	s_xor_b64 s[4:5], exec, -1
; %bb.2159:
	s_or_b64 exec, exec, s[8:9]
	s_and_b64 s[4:5], s[4:5], exec
	s_or_saveexec_b64 s[6:7], s[6:7]
	v_mov_b32_e32 v12, s10
	s_xor_b64 exec, exec, s[6:7]
	s_cbranch_execz .LBB7_110
.LBB7_2160:
	v_mov_b32_e32 v12, 0
	v_cmp_ne_u16_sdwa s[8:9], v11, v12 src0_sel:BYTE_0 src1_sel:DWORD
	s_andn2_b64 s[4:5], s[4:5], exec
	s_and_b64 s[8:9], s[8:9], exec
	s_or_b64 s[4:5], s[4:5], s[8:9]
	s_or_b64 exec, exec, s[6:7]
	s_and_saveexec_b64 s[6:7], s[4:5]
	s_cbranch_execnz .LBB7_111
	s_branch .LBB7_112
.LBB7_2161:
	s_movk_i32 s4, 0x80
	v_cmp_eq_u16_e32 vcc, s4, v11
	s_mov_b64 s[4:5], -1
                                        ; implicit-def: $sgpr10
	s_and_saveexec_b64 s[8:9], vcc
; %bb.2162:
	s_mov_b32 s10, 0x7f800001
	s_xor_b64 s[4:5], exec, -1
; %bb.2163:
	s_or_b64 exec, exec, s[8:9]
	s_and_b64 s[4:5], s[4:5], exec
                                        ; implicit-def: $vgpr11
	s_or_saveexec_b64 s[6:7], s[6:7]
	v_mov_b32_e32 v10, s10
	s_xor_b64 exec, exec, s[6:7]
	s_cbranch_execz .LBB7_114
.LBB7_2164:
	v_cmp_ne_u16_e32 vcc, 0, v11
	s_andn2_b64 s[4:5], s[4:5], exec
	s_and_b64 s[8:9], vcc, exec
	v_mov_b32_e32 v10, 0
	s_or_b64 s[4:5], s[4:5], s[8:9]
	s_or_b64 exec, exec, s[6:7]
	s_and_saveexec_b64 s[6:7], s[4:5]
	s_cbranch_execnz .LBB7_115
	s_branch .LBB7_116
.LBB7_2165:
	s_movk_i32 s4, 0x80
	v_cmp_eq_u16_e32 vcc, s4, v11
	s_mov_b64 s[4:5], -1
                                        ; implicit-def: $sgpr10
	s_and_saveexec_b64 s[8:9], vcc
; %bb.2166:
	s_mov_b32 s10, 0x7f800001
	s_xor_b64 s[4:5], exec, -1
; %bb.2167:
	s_or_b64 exec, exec, s[8:9]
	s_and_b64 s[4:5], s[4:5], exec
                                        ; implicit-def: $vgpr11
	s_or_saveexec_b64 s[6:7], s[6:7]
	v_mov_b32_e32 v12, s10
	s_xor_b64 exec, exec, s[6:7]
	s_cbranch_execz .LBB7_118
.LBB7_2168:
	v_cmp_ne_u16_e32 vcc, 0, v11
	s_andn2_b64 s[4:5], s[4:5], exec
	s_and_b64 s[8:9], vcc, exec
	v_mov_b32_e32 v12, 0
	s_or_b64 s[4:5], s[4:5], s[8:9]
	s_or_b64 exec, exec, s[6:7]
	s_and_saveexec_b64 s[6:7], s[4:5]
	s_cbranch_execnz .LBB7_119
	s_branch .LBB7_120
.LBB7_2169:
	s_movk_i32 s4, 0x80
	v_cmp_eq_u16_sdwa s[12:13], v17, s4 src0_sel:BYTE_3 src1_sel:DWORD
	s_mov_b64 s[4:5], -1
                                        ; implicit-def: $sgpr10
	s_and_saveexec_b64 s[8:9], s[12:13]
; %bb.2170:
	s_mov_b32 s10, 0x7f800001
	s_xor_b64 s[4:5], exec, -1
; %bb.2171:
	s_or_b64 exec, exec, s[8:9]
	s_and_b64 s[4:5], s[4:5], exec
	s_or_saveexec_b64 s[6:7], s[6:7]
	v_mov_b32_e32 v10, s10
	s_xor_b64 exec, exec, s[6:7]
	s_cbranch_execz .LBB7_122
.LBB7_2172:
	v_mov_b32_e32 v10, 0
	v_cmp_ne_u16_sdwa s[8:9], v17, v10 src0_sel:BYTE_3 src1_sel:DWORD
	s_andn2_b64 s[4:5], s[4:5], exec
	s_and_b64 s[8:9], s[8:9], exec
	s_or_b64 s[4:5], s[4:5], s[8:9]
	s_or_b64 exec, exec, s[6:7]
	s_and_saveexec_b64 s[6:7], s[4:5]
	s_cbranch_execnz .LBB7_123
	s_branch .LBB7_124
.LBB7_2173:
	s_movk_i32 s4, 0x80
	v_cmp_eq_u16_sdwa s[12:13], v13, s4 src0_sel:BYTE_3 src1_sel:DWORD
	s_mov_b64 s[4:5], -1
                                        ; implicit-def: $sgpr10
	s_and_saveexec_b64 s[8:9], s[12:13]
; %bb.2174:
	s_mov_b32 s10, 0x7f800001
	s_xor_b64 s[4:5], exec, -1
; %bb.2175:
	s_or_b64 exec, exec, s[8:9]
	s_and_b64 s[4:5], s[4:5], exec
	s_or_saveexec_b64 s[6:7], s[6:7]
	v_mov_b32_e32 v11, s10
	s_xor_b64 exec, exec, s[6:7]
	s_cbranch_execz .LBB7_126
.LBB7_2176:
	v_mov_b32_e32 v11, 0
	v_cmp_ne_u16_sdwa s[8:9], v13, v11 src0_sel:BYTE_3 src1_sel:DWORD
	s_andn2_b64 s[4:5], s[4:5], exec
	s_and_b64 s[8:9], s[8:9], exec
	s_or_b64 s[4:5], s[4:5], s[8:9]
	s_or_b64 exec, exec, s[6:7]
	s_and_saveexec_b64 s[6:7], s[4:5]
	s_cbranch_execnz .LBB7_127
	s_branch .LBB7_128
.LBB7_2177:
	s_movk_i32 s4, 0x80
	v_cmp_eq_u16_sdwa s[12:13], v6, s4 src0_sel:BYTE_0 src1_sel:DWORD
	s_mov_b64 s[4:5], -1
                                        ; implicit-def: $sgpr10
	s_and_saveexec_b64 s[8:9], s[12:13]
; %bb.2178:
	s_mov_b32 s10, 0x7f800001
	s_xor_b64 s[4:5], exec, -1
; %bb.2179:
	s_or_b64 exec, exec, s[8:9]
	s_and_b64 s[4:5], s[4:5], exec
	s_or_saveexec_b64 s[6:7], s[6:7]
	v_mov_b32_e32 v10, s10
	s_xor_b64 exec, exec, s[6:7]
	s_cbranch_execz .LBB7_130
.LBB7_2180:
	v_mov_b32_e32 v10, 0
	v_cmp_ne_u16_sdwa s[8:9], v6, v10 src0_sel:BYTE_0 src1_sel:DWORD
	s_andn2_b64 s[4:5], s[4:5], exec
	s_and_b64 s[8:9], s[8:9], exec
	s_or_b64 s[4:5], s[4:5], s[8:9]
	s_or_b64 exec, exec, s[6:7]
	s_and_saveexec_b64 s[6:7], s[4:5]
	s_cbranch_execnz .LBB7_131
	s_branch .LBB7_132
.LBB7_2181:
	s_movk_i32 s4, 0x80
	v_cmp_eq_u16_sdwa s[12:13], v2, s4 src0_sel:BYTE_0 src1_sel:DWORD
	s_mov_b64 s[4:5], -1
                                        ; implicit-def: $sgpr10
	s_and_saveexec_b64 s[8:9], s[12:13]
; %bb.2182:
	s_mov_b32 s10, 0x7f800001
	s_xor_b64 s[4:5], exec, -1
; %bb.2183:
	s_or_b64 exec, exec, s[8:9]
	s_and_b64 s[4:5], s[4:5], exec
	s_or_saveexec_b64 s[6:7], s[6:7]
	v_mov_b32_e32 v11, s10
	s_xor_b64 exec, exec, s[6:7]
	s_cbranch_execz .LBB7_134
.LBB7_2184:
	v_mov_b32_e32 v11, 0
	v_cmp_ne_u16_sdwa s[8:9], v2, v11 src0_sel:BYTE_0 src1_sel:DWORD
	s_andn2_b64 s[4:5], s[4:5], exec
	s_and_b64 s[8:9], s[8:9], exec
	s_or_b64 s[4:5], s[4:5], s[8:9]
	s_or_b64 exec, exec, s[6:7]
	s_and_saveexec_b64 s[6:7], s[4:5]
	s_cbranch_execnz .LBB7_135
	s_branch .LBB7_136
.LBB7_2185:
	s_movk_i32 s4, 0x80
	v_cmp_eq_u16_sdwa s[12:13], v11, s4 src0_sel:BYTE_0 src1_sel:DWORD
	s_mov_b64 s[4:5], -1
                                        ; implicit-def: $sgpr10
	s_and_saveexec_b64 s[8:9], s[12:13]
; %bb.2186:
	s_mov_b32 s10, 0x7f800001
	s_xor_b64 s[4:5], exec, -1
; %bb.2187:
	s_or_b64 exec, exec, s[8:9]
	s_and_b64 s[4:5], s[4:5], exec
	s_or_saveexec_b64 s[6:7], s[6:7]
	v_mov_b32_e32 v10, s10
	s_xor_b64 exec, exec, s[6:7]
	s_cbranch_execz .LBB7_138
.LBB7_2188:
	v_mov_b32_e32 v10, 0
	v_cmp_ne_u16_sdwa s[8:9], v11, v10 src0_sel:BYTE_0 src1_sel:DWORD
	s_andn2_b64 s[4:5], s[4:5], exec
	s_and_b64 s[8:9], s[8:9], exec
	s_or_b64 s[4:5], s[4:5], s[8:9]
	s_or_b64 exec, exec, s[6:7]
	s_and_saveexec_b64 s[6:7], s[4:5]
	s_cbranch_execnz .LBB7_139
	s_branch .LBB7_140
.LBB7_2189:
	s_movk_i32 s4, 0x80
	v_cmp_eq_u16_sdwa s[12:13], v11, s4 src0_sel:BYTE_0 src1_sel:DWORD
	s_mov_b64 s[4:5], -1
                                        ; implicit-def: $sgpr10
	s_and_saveexec_b64 s[8:9], s[12:13]
; %bb.2190:
	s_mov_b32 s10, 0x7f800001
	s_xor_b64 s[4:5], exec, -1
; %bb.2191:
	s_or_b64 exec, exec, s[8:9]
	s_and_b64 s[4:5], s[4:5], exec
	s_or_saveexec_b64 s[6:7], s[6:7]
	v_mov_b32_e32 v12, s10
	s_xor_b64 exec, exec, s[6:7]
	s_cbranch_execz .LBB7_142
.LBB7_2192:
	v_mov_b32_e32 v12, 0
	v_cmp_ne_u16_sdwa s[8:9], v11, v12 src0_sel:BYTE_0 src1_sel:DWORD
	s_andn2_b64 s[4:5], s[4:5], exec
	s_and_b64 s[8:9], s[8:9], exec
	s_or_b64 s[4:5], s[4:5], s[8:9]
	s_or_b64 exec, exec, s[6:7]
	s_and_saveexec_b64 s[6:7], s[4:5]
	s_cbranch_execnz .LBB7_143
	s_branch .LBB7_144
.LBB7_2193:
	s_movk_i32 s4, 0x80
	v_cmp_eq_u16_e32 vcc, s4, v11
	s_mov_b64 s[4:5], -1
                                        ; implicit-def: $sgpr10
	s_and_saveexec_b64 s[8:9], vcc
; %bb.2194:
	s_mov_b32 s10, 0x7f800001
	s_xor_b64 s[4:5], exec, -1
; %bb.2195:
	s_or_b64 exec, exec, s[8:9]
	s_and_b64 s[4:5], s[4:5], exec
                                        ; implicit-def: $vgpr11
	s_or_saveexec_b64 s[6:7], s[6:7]
	v_mov_b32_e32 v10, s10
	s_xor_b64 exec, exec, s[6:7]
	s_cbranch_execz .LBB7_146
.LBB7_2196:
	v_cmp_ne_u16_e32 vcc, 0, v11
	s_andn2_b64 s[4:5], s[4:5], exec
	s_and_b64 s[8:9], vcc, exec
	v_mov_b32_e32 v10, 0
	s_or_b64 s[4:5], s[4:5], s[8:9]
	s_or_b64 exec, exec, s[6:7]
	s_and_saveexec_b64 s[6:7], s[4:5]
	s_cbranch_execnz .LBB7_147
	s_branch .LBB7_148
.LBB7_2197:
	s_movk_i32 s4, 0x80
	v_cmp_eq_u16_e32 vcc, s4, v11
	s_mov_b64 s[4:5], -1
                                        ; implicit-def: $sgpr10
	s_and_saveexec_b64 s[8:9], vcc
; %bb.2198:
	s_mov_b32 s10, 0x7f800001
	s_xor_b64 s[4:5], exec, -1
; %bb.2199:
	s_or_b64 exec, exec, s[8:9]
	s_and_b64 s[4:5], s[4:5], exec
                                        ; implicit-def: $vgpr11
	s_or_saveexec_b64 s[6:7], s[6:7]
	v_mov_b32_e32 v12, s10
	s_xor_b64 exec, exec, s[6:7]
	s_cbranch_execz .LBB7_150
.LBB7_2200:
	v_cmp_ne_u16_e32 vcc, 0, v11
	s_andn2_b64 s[4:5], s[4:5], exec
	s_and_b64 s[8:9], vcc, exec
	v_mov_b32_e32 v12, 0
	s_or_b64 s[4:5], s[4:5], s[8:9]
	s_or_b64 exec, exec, s[6:7]
	s_and_saveexec_b64 s[6:7], s[4:5]
	s_cbranch_execnz .LBB7_151
	s_branch .LBB7_152
.LBB7_2201:
	s_movk_i32 s4, 0x80
	v_cmp_eq_u16_sdwa s[12:13], v6, s4 src0_sel:BYTE_3 src1_sel:DWORD
	s_mov_b64 s[4:5], -1
                                        ; implicit-def: $sgpr10
	s_and_saveexec_b64 s[8:9], s[12:13]
; %bb.2202:
	s_mov_b32 s10, 0x7f800001
	s_xor_b64 s[4:5], exec, -1
; %bb.2203:
	s_or_b64 exec, exec, s[8:9]
	s_and_b64 s[4:5], s[4:5], exec
	s_or_saveexec_b64 s[6:7], s[6:7]
	v_mov_b32_e32 v10, s10
	s_xor_b64 exec, exec, s[6:7]
	s_cbranch_execz .LBB7_154
.LBB7_2204:
	v_mov_b32_e32 v10, 0
	v_cmp_ne_u16_sdwa s[8:9], v6, v10 src0_sel:BYTE_3 src1_sel:DWORD
	s_andn2_b64 s[4:5], s[4:5], exec
	s_and_b64 s[8:9], s[8:9], exec
	s_or_b64 s[4:5], s[4:5], s[8:9]
	s_or_b64 exec, exec, s[6:7]
	s_and_saveexec_b64 s[6:7], s[4:5]
	s_cbranch_execnz .LBB7_155
	s_branch .LBB7_156
.LBB7_2205:
	s_movk_i32 s4, 0x80
	v_cmp_eq_u16_sdwa s[12:13], v2, s4 src0_sel:BYTE_3 src1_sel:DWORD
	s_mov_b64 s[4:5], -1
                                        ; implicit-def: $sgpr10
	s_and_saveexec_b64 s[8:9], s[12:13]
; %bb.2206:
	s_mov_b32 s10, 0x7f800001
	s_xor_b64 s[4:5], exec, -1
; %bb.2207:
	s_or_b64 exec, exec, s[8:9]
	s_and_b64 s[4:5], s[4:5], exec
	s_or_saveexec_b64 s[6:7], s[6:7]
	v_mov_b32_e32 v6, s10
	s_xor_b64 exec, exec, s[6:7]
	s_cbranch_execz .LBB7_158
.LBB7_2208:
	v_mov_b32_e32 v6, 0
	v_cmp_ne_u16_sdwa s[8:9], v2, v6 src0_sel:BYTE_3 src1_sel:DWORD
	s_andn2_b64 s[4:5], s[4:5], exec
	s_and_b64 s[8:9], s[8:9], exec
	s_or_b64 s[4:5], s[4:5], s[8:9]
	s_or_b64 exec, exec, s[6:7]
	s_and_saveexec_b64 s[6:7], s[4:5]
	s_cbranch_execnz .LBB7_159
	s_branch .LBB7_160
.LBB7_2209:
	s_movk_i32 s4, 0x80
	v_cmp_eq_u16_sdwa s[12:13], v7, s4 src0_sel:BYTE_0 src1_sel:DWORD
	s_mov_b64 s[4:5], -1
                                        ; implicit-def: $sgpr10
	s_and_saveexec_b64 s[8:9], s[12:13]
; %bb.2210:
	s_mov_b32 s10, 0x7f800001
	s_xor_b64 s[4:5], exec, -1
; %bb.2211:
	s_or_b64 exec, exec, s[8:9]
	s_and_b64 s[4:5], s[4:5], exec
	s_or_saveexec_b64 s[6:7], s[6:7]
	v_mov_b32_e32 v2, s10
	s_xor_b64 exec, exec, s[6:7]
	s_cbranch_execz .LBB7_162
.LBB7_2212:
	v_mov_b32_e32 v2, 0
	v_cmp_ne_u16_sdwa s[8:9], v7, v2 src0_sel:BYTE_0 src1_sel:DWORD
	s_andn2_b64 s[4:5], s[4:5], exec
	s_and_b64 s[8:9], s[8:9], exec
	s_or_b64 s[4:5], s[4:5], s[8:9]
	s_or_b64 exec, exec, s[6:7]
	s_and_saveexec_b64 s[6:7], s[4:5]
	s_cbranch_execnz .LBB7_163
	s_branch .LBB7_164
.LBB7_2213:
	s_movk_i32 s4, 0x80
	v_cmp_eq_u16_sdwa s[12:13], v3, s4 src0_sel:BYTE_0 src1_sel:DWORD
	s_mov_b64 s[4:5], -1
                                        ; implicit-def: $sgpr10
	s_and_saveexec_b64 s[8:9], s[12:13]
; %bb.2214:
	s_mov_b32 s10, 0x7f800001
	s_xor_b64 s[4:5], exec, -1
; %bb.2215:
	s_or_b64 exec, exec, s[8:9]
	s_and_b64 s[4:5], s[4:5], exec
	s_or_saveexec_b64 s[6:7], s[6:7]
	v_mov_b32_e32 v6, s10
	s_xor_b64 exec, exec, s[6:7]
	s_cbranch_execz .LBB7_166
.LBB7_2216:
	v_mov_b32_e32 v6, 0
	v_cmp_ne_u16_sdwa s[8:9], v3, v6 src0_sel:BYTE_0 src1_sel:DWORD
	s_andn2_b64 s[4:5], s[4:5], exec
	s_and_b64 s[8:9], s[8:9], exec
	s_or_b64 s[4:5], s[4:5], s[8:9]
	s_or_b64 exec, exec, s[6:7]
	s_and_saveexec_b64 s[6:7], s[4:5]
	s_cbranch_execnz .LBB7_167
	s_branch .LBB7_168
.LBB7_2217:
	s_movk_i32 s4, 0x80
	v_cmp_eq_u16_sdwa s[12:13], v6, s4 src0_sel:BYTE_0 src1_sel:DWORD
	s_mov_b64 s[4:5], -1
                                        ; implicit-def: $sgpr10
	s_and_saveexec_b64 s[8:9], s[12:13]
; %bb.2218:
	s_mov_b32 s10, 0x7f800001
	s_xor_b64 s[4:5], exec, -1
; %bb.2219:
	s_or_b64 exec, exec, s[8:9]
	s_and_b64 s[4:5], s[4:5], exec
	s_or_saveexec_b64 s[6:7], s[6:7]
	v_mov_b32_e32 v2, s10
	s_xor_b64 exec, exec, s[6:7]
	s_cbranch_execz .LBB7_170
.LBB7_2220:
	v_mov_b32_e32 v2, 0
	v_cmp_ne_u16_sdwa s[8:9], v6, v2 src0_sel:BYTE_0 src1_sel:DWORD
	s_andn2_b64 s[4:5], s[4:5], exec
	s_and_b64 s[8:9], s[8:9], exec
	s_or_b64 s[4:5], s[4:5], s[8:9]
	s_or_b64 exec, exec, s[6:7]
	s_and_saveexec_b64 s[6:7], s[4:5]
	s_cbranch_execnz .LBB7_171
	s_branch .LBB7_172
.LBB7_2221:
	s_movk_i32 s4, 0x80
	v_cmp_eq_u16_sdwa s[12:13], v6, s4 src0_sel:BYTE_0 src1_sel:DWORD
	s_mov_b64 s[4:5], -1
                                        ; implicit-def: $sgpr10
	s_and_saveexec_b64 s[8:9], s[12:13]
; %bb.2222:
	s_mov_b32 s10, 0x7f800001
	s_xor_b64 s[4:5], exec, -1
; %bb.2223:
	s_or_b64 exec, exec, s[8:9]
	s_and_b64 s[4:5], s[4:5], exec
	s_or_saveexec_b64 s[6:7], s[6:7]
	v_mov_b32_e32 v10, s10
	s_xor_b64 exec, exec, s[6:7]
	s_cbranch_execz .LBB7_174
.LBB7_2224:
	v_mov_b32_e32 v10, 0
	v_cmp_ne_u16_sdwa s[8:9], v6, v10 src0_sel:BYTE_0 src1_sel:DWORD
	s_andn2_b64 s[4:5], s[4:5], exec
	s_and_b64 s[8:9], s[8:9], exec
	s_or_b64 s[4:5], s[4:5], s[8:9]
	s_or_b64 exec, exec, s[6:7]
	s_and_saveexec_b64 s[6:7], s[4:5]
	s_cbranch_execnz .LBB7_175
	s_branch .LBB7_176
.LBB7_2225:
	s_movk_i32 s4, 0x80
	v_cmp_eq_u16_e32 vcc, s4, v6
	s_mov_b64 s[4:5], -1
                                        ; implicit-def: $sgpr10
	s_and_saveexec_b64 s[8:9], vcc
; %bb.2226:
	s_mov_b32 s10, 0x7f800001
	s_xor_b64 s[4:5], exec, -1
; %bb.2227:
	s_or_b64 exec, exec, s[8:9]
	s_and_b64 s[4:5], s[4:5], exec
                                        ; implicit-def: $vgpr6
	s_or_saveexec_b64 s[6:7], s[6:7]
	v_mov_b32_e32 v2, s10
	s_xor_b64 exec, exec, s[6:7]
	s_cbranch_execz .LBB7_178
.LBB7_2228:
	v_cmp_ne_u16_e32 vcc, 0, v6
	s_andn2_b64 s[4:5], s[4:5], exec
	s_and_b64 s[8:9], vcc, exec
	v_mov_b32_e32 v2, 0
	s_or_b64 s[4:5], s[4:5], s[8:9]
	s_or_b64 exec, exec, s[6:7]
	s_and_saveexec_b64 s[6:7], s[4:5]
	s_cbranch_execnz .LBB7_179
	s_branch .LBB7_180
.LBB7_2229:
	s_movk_i32 s4, 0x80
	v_cmp_eq_u16_e32 vcc, s4, v6
	s_mov_b64 s[4:5], -1
                                        ; implicit-def: $sgpr10
	s_and_saveexec_b64 s[8:9], vcc
; %bb.2230:
	s_mov_b32 s10, 0x7f800001
	s_xor_b64 s[4:5], exec, -1
; %bb.2231:
	s_or_b64 exec, exec, s[8:9]
	s_and_b64 s[4:5], s[4:5], exec
                                        ; implicit-def: $vgpr6
	s_or_saveexec_b64 s[6:7], s[6:7]
	v_mov_b32_e32 v10, s10
	s_xor_b64 exec, exec, s[6:7]
	s_cbranch_execz .LBB7_182
.LBB7_2232:
	v_cmp_ne_u16_e32 vcc, 0, v6
	s_andn2_b64 s[4:5], s[4:5], exec
	s_and_b64 s[8:9], vcc, exec
	v_mov_b32_e32 v10, 0
	s_or_b64 s[4:5], s[4:5], s[8:9]
	s_or_b64 exec, exec, s[6:7]
	s_and_saveexec_b64 s[6:7], s[4:5]
	s_cbranch_execnz .LBB7_183
	s_branch .LBB7_184
.LBB7_2233:
	s_movk_i32 s4, 0x80
	v_cmp_eq_u16_sdwa s[12:13], v7, s4 src0_sel:BYTE_3 src1_sel:DWORD
	s_mov_b64 s[4:5], -1
                                        ; implicit-def: $sgpr10
	s_and_saveexec_b64 s[8:9], s[12:13]
; %bb.2234:
	s_mov_b32 s10, 0x7f800001
	s_xor_b64 s[4:5], exec, -1
; %bb.2235:
	s_or_b64 exec, exec, s[8:9]
	s_and_b64 s[4:5], s[4:5], exec
	s_or_saveexec_b64 s[6:7], s[6:7]
	v_mov_b32_e32 v2, s10
	s_xor_b64 exec, exec, s[6:7]
	s_cbranch_execz .LBB7_186
.LBB7_2236:
	v_mov_b32_e32 v2, 0
	v_cmp_ne_u16_sdwa s[8:9], v7, v2 src0_sel:BYTE_3 src1_sel:DWORD
	s_andn2_b64 s[4:5], s[4:5], exec
	s_and_b64 s[8:9], s[8:9], exec
	s_or_b64 s[4:5], s[4:5], s[8:9]
	s_or_b64 exec, exec, s[6:7]
	s_and_saveexec_b64 s[6:7], s[4:5]
	s_cbranch_execnz .LBB7_187
	s_branch .LBB7_188
.LBB7_2237:
	s_movk_i32 s4, 0x80
	v_cmp_eq_u16_sdwa s[12:13], v3, s4 src0_sel:BYTE_3 src1_sel:DWORD
	s_mov_b64 s[4:5], -1
                                        ; implicit-def: $sgpr10
	s_and_saveexec_b64 s[8:9], s[12:13]
; %bb.2238:
	s_mov_b32 s10, 0x7f800001
	s_xor_b64 s[4:5], exec, -1
; %bb.2239:
	s_or_b64 exec, exec, s[8:9]
	s_and_b64 s[4:5], s[4:5], exec
	s_or_saveexec_b64 s[6:7], s[6:7]
	v_mov_b32_e32 v6, s10
	s_xor_b64 exec, exec, s[6:7]
	s_cbranch_execz .LBB7_190
.LBB7_2240:
	v_mov_b32_e32 v6, 0
	v_cmp_ne_u16_sdwa s[8:9], v3, v6 src0_sel:BYTE_3 src1_sel:DWORD
	s_andn2_b64 s[4:5], s[4:5], exec
	s_and_b64 s[8:9], s[8:9], exec
	s_or_b64 s[4:5], s[4:5], s[8:9]
	s_or_b64 exec, exec, s[6:7]
	s_and_saveexec_b64 s[6:7], s[4:5]
	s_cbranch_execnz .LBB7_191
	s_branch .LBB7_192
.LBB7_2241:
	s_movk_i32 s4, 0x80
	v_cmp_eq_u16_sdwa s[12:13], v8, s4 src0_sel:BYTE_0 src1_sel:DWORD
	s_mov_b64 s[4:5], -1
                                        ; implicit-def: $sgpr10
	s_and_saveexec_b64 s[8:9], s[12:13]
; %bb.2242:
	s_mov_b32 s10, 0x7f800001
	s_xor_b64 s[4:5], exec, -1
; %bb.2243:
	s_or_b64 exec, exec, s[8:9]
	s_and_b64 s[4:5], s[4:5], exec
	s_or_saveexec_b64 s[6:7], s[6:7]
	v_mov_b32_e32 v2, s10
	s_xor_b64 exec, exec, s[6:7]
	s_cbranch_execz .LBB7_194
.LBB7_2244:
	v_mov_b32_e32 v2, 0
	v_cmp_ne_u16_sdwa s[8:9], v8, v2 src0_sel:BYTE_0 src1_sel:DWORD
	s_andn2_b64 s[4:5], s[4:5], exec
	s_and_b64 s[8:9], s[8:9], exec
	s_or_b64 s[4:5], s[4:5], s[8:9]
	s_or_b64 exec, exec, s[6:7]
	s_and_saveexec_b64 s[6:7], s[4:5]
	s_cbranch_execnz .LBB7_195
	s_branch .LBB7_196
.LBB7_2245:
	s_movk_i32 s4, 0x80
	v_cmp_eq_u16_sdwa s[12:13], v4, s4 src0_sel:BYTE_0 src1_sel:DWORD
	s_mov_b64 s[4:5], -1
                                        ; implicit-def: $sgpr10
	s_and_saveexec_b64 s[8:9], s[12:13]
; %bb.2246:
	s_mov_b32 s10, 0x7f800001
	s_xor_b64 s[4:5], exec, -1
; %bb.2247:
	s_or_b64 exec, exec, s[8:9]
	s_and_b64 s[4:5], s[4:5], exec
	s_or_saveexec_b64 s[6:7], s[6:7]
	v_mov_b32_e32 v3, s10
	s_xor_b64 exec, exec, s[6:7]
	s_cbranch_execz .LBB7_198
.LBB7_2248:
	v_mov_b32_e32 v3, 0
	v_cmp_ne_u16_sdwa s[8:9], v4, v3 src0_sel:BYTE_0 src1_sel:DWORD
	s_andn2_b64 s[4:5], s[4:5], exec
	s_and_b64 s[8:9], s[8:9], exec
	s_or_b64 s[4:5], s[4:5], s[8:9]
	s_or_b64 exec, exec, s[6:7]
	s_and_saveexec_b64 s[6:7], s[4:5]
	s_cbranch_execnz .LBB7_199
	s_branch .LBB7_200
.LBB7_2249:
	s_movk_i32 s4, 0x80
	v_cmp_eq_u16_sdwa s[12:13], v3, s4 src0_sel:BYTE_0 src1_sel:DWORD
	s_mov_b64 s[4:5], -1
                                        ; implicit-def: $sgpr10
	s_and_saveexec_b64 s[8:9], s[12:13]
; %bb.2250:
	s_mov_b32 s10, 0x7f800001
	s_xor_b64 s[4:5], exec, -1
; %bb.2251:
	s_or_b64 exec, exec, s[8:9]
	s_and_b64 s[4:5], s[4:5], exec
	s_or_saveexec_b64 s[6:7], s[6:7]
	v_mov_b32_e32 v2, s10
	s_xor_b64 exec, exec, s[6:7]
	s_cbranch_execz .LBB7_202
.LBB7_2252:
	v_mov_b32_e32 v2, 0
	v_cmp_ne_u16_sdwa s[8:9], v3, v2 src0_sel:BYTE_0 src1_sel:DWORD
	s_andn2_b64 s[4:5], s[4:5], exec
	s_and_b64 s[8:9], s[8:9], exec
	s_or_b64 s[4:5], s[4:5], s[8:9]
	s_or_b64 exec, exec, s[6:7]
	s_and_saveexec_b64 s[6:7], s[4:5]
	s_cbranch_execnz .LBB7_203
	s_branch .LBB7_204
.LBB7_2253:
	s_movk_i32 s4, 0x80
	v_cmp_eq_u16_sdwa s[12:13], v3, s4 src0_sel:BYTE_0 src1_sel:DWORD
	s_mov_b64 s[4:5], -1
                                        ; implicit-def: $sgpr10
	s_and_saveexec_b64 s[8:9], s[12:13]
; %bb.2254:
	s_mov_b32 s10, 0x7f800001
	s_xor_b64 s[4:5], exec, -1
; %bb.2255:
	s_or_b64 exec, exec, s[8:9]
	s_and_b64 s[4:5], s[4:5], exec
	s_or_saveexec_b64 s[6:7], s[6:7]
	v_mov_b32_e32 v6, s10
	s_xor_b64 exec, exec, s[6:7]
	s_cbranch_execz .LBB7_206
.LBB7_2256:
	v_mov_b32_e32 v6, 0
	v_cmp_ne_u16_sdwa s[8:9], v3, v6 src0_sel:BYTE_0 src1_sel:DWORD
	s_andn2_b64 s[4:5], s[4:5], exec
	s_and_b64 s[8:9], s[8:9], exec
	s_or_b64 s[4:5], s[4:5], s[8:9]
	s_or_b64 exec, exec, s[6:7]
	s_and_saveexec_b64 s[6:7], s[4:5]
	s_cbranch_execnz .LBB7_207
	s_branch .LBB7_208
.LBB7_2257:
	s_movk_i32 s4, 0x80
	v_cmp_eq_u16_e32 vcc, s4, v3
	s_mov_b64 s[4:5], -1
                                        ; implicit-def: $sgpr10
	s_and_saveexec_b64 s[8:9], vcc
; %bb.2258:
	s_mov_b32 s10, 0x7f800001
	s_xor_b64 s[4:5], exec, -1
; %bb.2259:
	s_or_b64 exec, exec, s[8:9]
	s_and_b64 s[4:5], s[4:5], exec
                                        ; implicit-def: $vgpr3
	s_or_saveexec_b64 s[6:7], s[6:7]
	v_mov_b32_e32 v2, s10
	s_xor_b64 exec, exec, s[6:7]
	s_cbranch_execz .LBB7_210
.LBB7_2260:
	v_cmp_ne_u16_e32 vcc, 0, v3
	s_andn2_b64 s[4:5], s[4:5], exec
	s_and_b64 s[8:9], vcc, exec
	v_mov_b32_e32 v2, 0
	s_or_b64 s[4:5], s[4:5], s[8:9]
	s_or_b64 exec, exec, s[6:7]
	s_and_saveexec_b64 s[6:7], s[4:5]
	s_cbranch_execnz .LBB7_211
	s_branch .LBB7_212
.LBB7_2261:
	s_movk_i32 s4, 0x80
	v_cmp_eq_u16_e32 vcc, s4, v3
	s_mov_b64 s[4:5], -1
                                        ; implicit-def: $sgpr10
	s_and_saveexec_b64 s[8:9], vcc
; %bb.2262:
	s_mov_b32 s10, 0x7f800001
	s_xor_b64 s[4:5], exec, -1
; %bb.2263:
	s_or_b64 exec, exec, s[8:9]
	s_and_b64 s[4:5], s[4:5], exec
                                        ; implicit-def: $vgpr3
	s_or_saveexec_b64 s[6:7], s[6:7]
	v_mov_b32_e32 v6, s10
	s_xor_b64 exec, exec, s[6:7]
	s_cbranch_execz .LBB7_214
.LBB7_2264:
	v_cmp_ne_u16_e32 vcc, 0, v3
	s_andn2_b64 s[4:5], s[4:5], exec
	s_and_b64 s[8:9], vcc, exec
	v_mov_b32_e32 v6, 0
	s_or_b64 s[4:5], s[4:5], s[8:9]
	s_or_b64 exec, exec, s[6:7]
	s_and_saveexec_b64 s[6:7], s[4:5]
	s_cbranch_execnz .LBB7_215
	s_branch .LBB7_216
.LBB7_2265:
	s_movk_i32 s4, 0x80
	v_cmp_eq_u16_sdwa s[12:13], v8, s4 src0_sel:BYTE_3 src1_sel:DWORD
	s_mov_b64 s[4:5], -1
                                        ; implicit-def: $sgpr10
	s_and_saveexec_b64 s[8:9], s[12:13]
; %bb.2266:
	s_mov_b32 s10, 0x7f800001
	s_xor_b64 s[4:5], exec, -1
; %bb.2267:
	s_or_b64 exec, exec, s[8:9]
	s_and_b64 s[4:5], s[4:5], exec
	s_or_saveexec_b64 s[6:7], s[6:7]
	v_mov_b32_e32 v2, s10
	s_xor_b64 exec, exec, s[6:7]
	s_cbranch_execz .LBB7_218
.LBB7_2268:
	v_mov_b32_e32 v2, 0
	v_cmp_ne_u16_sdwa s[8:9], v8, v2 src0_sel:BYTE_3 src1_sel:DWORD
	s_andn2_b64 s[4:5], s[4:5], exec
	s_and_b64 s[8:9], s[8:9], exec
	s_or_b64 s[4:5], s[4:5], s[8:9]
	s_or_b64 exec, exec, s[6:7]
	s_and_saveexec_b64 s[6:7], s[4:5]
	s_cbranch_execnz .LBB7_219
	s_branch .LBB7_220
.LBB7_2269:
	s_movk_i32 s4, 0x80
	v_cmp_eq_u16_sdwa s[12:13], v4, s4 src0_sel:BYTE_3 src1_sel:DWORD
	s_mov_b64 s[4:5], -1
                                        ; implicit-def: $sgpr10
	s_and_saveexec_b64 s[8:9], s[12:13]
; %bb.2270:
	s_mov_b32 s10, 0x7f800001
	s_xor_b64 s[4:5], exec, -1
; %bb.2271:
	s_or_b64 exec, exec, s[8:9]
	s_and_b64 s[4:5], s[4:5], exec
	s_or_saveexec_b64 s[6:7], s[6:7]
	v_mov_b32_e32 v3, s10
	s_xor_b64 exec, exec, s[6:7]
	s_cbranch_execz .LBB7_222
.LBB7_2272:
	v_mov_b32_e32 v3, 0
	v_cmp_ne_u16_sdwa s[8:9], v4, v3 src0_sel:BYTE_3 src1_sel:DWORD
	s_andn2_b64 s[4:5], s[4:5], exec
	s_and_b64 s[8:9], s[8:9], exec
	s_or_b64 s[4:5], s[4:5], s[8:9]
	s_or_b64 exec, exec, s[6:7]
	s_and_saveexec_b64 s[6:7], s[4:5]
	s_cbranch_execnz .LBB7_223
	s_branch .LBB7_224
.LBB7_2273:
	s_movk_i32 s4, 0x80
	v_cmp_eq_u16_sdwa s[12:13], v9, s4 src0_sel:BYTE_0 src1_sel:DWORD
	s_mov_b64 s[4:5], -1
                                        ; implicit-def: $sgpr10
	s_and_saveexec_b64 s[8:9], s[12:13]
; %bb.2274:
	s_mov_b32 s10, 0x7f800001
	s_xor_b64 s[4:5], exec, -1
; %bb.2275:
	s_or_b64 exec, exec, s[8:9]
	s_and_b64 s[4:5], s[4:5], exec
	s_or_saveexec_b64 s[6:7], s[6:7]
	v_mov_b32_e32 v2, s10
	s_xor_b64 exec, exec, s[6:7]
	s_cbranch_execz .LBB7_226
.LBB7_2276:
	v_mov_b32_e32 v2, 0
	v_cmp_ne_u16_sdwa s[8:9], v9, v2 src0_sel:BYTE_0 src1_sel:DWORD
	s_andn2_b64 s[4:5], s[4:5], exec
	s_and_b64 s[8:9], s[8:9], exec
	s_or_b64 s[4:5], s[4:5], s[8:9]
	s_or_b64 exec, exec, s[6:7]
	s_and_saveexec_b64 s[6:7], s[4:5]
	s_cbranch_execnz .LBB7_227
	s_branch .LBB7_228
.LBB7_2277:
	s_movk_i32 s4, 0x80
	v_cmp_eq_u16_sdwa s[12:13], v5, s4 src0_sel:BYTE_0 src1_sel:DWORD
	s_mov_b64 s[4:5], -1
                                        ; implicit-def: $sgpr10
	s_and_saveexec_b64 s[8:9], s[12:13]
; %bb.2278:
	s_mov_b32 s10, 0x7f800001
	s_xor_b64 s[4:5], exec, -1
; %bb.2279:
	s_or_b64 exec, exec, s[8:9]
	s_and_b64 s[4:5], s[4:5], exec
	s_or_saveexec_b64 s[6:7], s[6:7]
	v_mov_b32_e32 v3, s10
	s_xor_b64 exec, exec, s[6:7]
	s_cbranch_execz .LBB7_230
.LBB7_2280:
	v_mov_b32_e32 v3, 0
	v_cmp_ne_u16_sdwa s[8:9], v5, v3 src0_sel:BYTE_0 src1_sel:DWORD
	s_andn2_b64 s[4:5], s[4:5], exec
	s_and_b64 s[8:9], s[8:9], exec
	s_or_b64 s[4:5], s[4:5], s[8:9]
	s_or_b64 exec, exec, s[6:7]
	s_and_saveexec_b64 s[6:7], s[4:5]
	s_cbranch_execnz .LBB7_231
	s_branch .LBB7_232
.LBB7_2281:
	s_movk_i32 s4, 0x80
	v_cmp_eq_u16_sdwa s[12:13], v3, s4 src0_sel:BYTE_0 src1_sel:DWORD
	s_mov_b64 s[4:5], -1
                                        ; implicit-def: $sgpr10
	s_and_saveexec_b64 s[8:9], s[12:13]
; %bb.2282:
	s_mov_b32 s10, 0x7f800001
	s_xor_b64 s[4:5], exec, -1
; %bb.2283:
	s_or_b64 exec, exec, s[8:9]
	s_and_b64 s[4:5], s[4:5], exec
	s_or_saveexec_b64 s[6:7], s[6:7]
	v_mov_b32_e32 v2, s10
	s_xor_b64 exec, exec, s[6:7]
	s_cbranch_execz .LBB7_234
.LBB7_2284:
	v_mov_b32_e32 v2, 0
	v_cmp_ne_u16_sdwa s[8:9], v3, v2 src0_sel:BYTE_0 src1_sel:DWORD
	s_andn2_b64 s[4:5], s[4:5], exec
	s_and_b64 s[8:9], s[8:9], exec
	s_or_b64 s[4:5], s[4:5], s[8:9]
	s_or_b64 exec, exec, s[6:7]
	s_and_saveexec_b64 s[6:7], s[4:5]
	s_cbranch_execnz .LBB7_235
	s_branch .LBB7_236
.LBB7_2285:
	s_movk_i32 s4, 0x80
	v_cmp_eq_u16_sdwa s[12:13], v3, s4 src0_sel:BYTE_0 src1_sel:DWORD
	s_mov_b64 s[4:5], -1
                                        ; implicit-def: $sgpr10
	s_and_saveexec_b64 s[8:9], s[12:13]
; %bb.2286:
	s_mov_b32 s10, 0x7f800001
	s_xor_b64 s[4:5], exec, -1
; %bb.2287:
	s_or_b64 exec, exec, s[8:9]
	s_and_b64 s[4:5], s[4:5], exec
	s_or_saveexec_b64 s[6:7], s[6:7]
	v_mov_b32_e32 v4, s10
	s_xor_b64 exec, exec, s[6:7]
	s_cbranch_execz .LBB7_238
.LBB7_2288:
	v_mov_b32_e32 v4, 0
	v_cmp_ne_u16_sdwa s[8:9], v3, v4 src0_sel:BYTE_0 src1_sel:DWORD
	s_andn2_b64 s[4:5], s[4:5], exec
	s_and_b64 s[8:9], s[8:9], exec
	s_or_b64 s[4:5], s[4:5], s[8:9]
	s_or_b64 exec, exec, s[6:7]
	s_and_saveexec_b64 s[6:7], s[4:5]
	s_cbranch_execnz .LBB7_239
	s_branch .LBB7_240
.LBB7_2289:
	s_movk_i32 s4, 0x80
	v_cmp_eq_u16_e32 vcc, s4, v3
	s_mov_b64 s[4:5], -1
                                        ; implicit-def: $sgpr10
	s_and_saveexec_b64 s[8:9], vcc
; %bb.2290:
	s_mov_b32 s10, 0x7f800001
	s_xor_b64 s[4:5], exec, -1
; %bb.2291:
	s_or_b64 exec, exec, s[8:9]
	s_and_b64 s[4:5], s[4:5], exec
                                        ; implicit-def: $vgpr3
	s_or_saveexec_b64 s[6:7], s[6:7]
	v_mov_b32_e32 v2, s10
	s_xor_b64 exec, exec, s[6:7]
	s_cbranch_execz .LBB7_242
.LBB7_2292:
	v_cmp_ne_u16_e32 vcc, 0, v3
	s_andn2_b64 s[4:5], s[4:5], exec
	s_and_b64 s[8:9], vcc, exec
	v_mov_b32_e32 v2, 0
	s_or_b64 s[4:5], s[4:5], s[8:9]
	s_or_b64 exec, exec, s[6:7]
	s_and_saveexec_b64 s[6:7], s[4:5]
	s_cbranch_execnz .LBB7_243
	s_branch .LBB7_244
.LBB7_2293:
	s_movk_i32 s4, 0x80
	v_cmp_eq_u16_e32 vcc, s4, v3
	s_mov_b64 s[4:5], -1
                                        ; implicit-def: $sgpr10
	s_and_saveexec_b64 s[8:9], vcc
; %bb.2294:
	s_mov_b32 s10, 0x7f800001
	s_xor_b64 s[4:5], exec, -1
; %bb.2295:
	s_or_b64 exec, exec, s[8:9]
	s_and_b64 s[4:5], s[4:5], exec
                                        ; implicit-def: $vgpr3
	s_or_saveexec_b64 s[6:7], s[6:7]
	v_mov_b32_e32 v4, s10
	s_xor_b64 exec, exec, s[6:7]
	s_cbranch_execz .LBB7_246
.LBB7_2296:
	v_cmp_ne_u16_e32 vcc, 0, v3
	s_andn2_b64 s[4:5], s[4:5], exec
	s_and_b64 s[8:9], vcc, exec
	v_mov_b32_e32 v4, 0
	s_or_b64 s[4:5], s[4:5], s[8:9]
	s_or_b64 exec, exec, s[6:7]
	s_and_saveexec_b64 s[6:7], s[4:5]
	s_cbranch_execnz .LBB7_247
	s_branch .LBB7_248
.LBB7_2297:
	s_movk_i32 s4, 0x80
	v_cmp_eq_u16_sdwa s[12:13], v9, s4 src0_sel:BYTE_3 src1_sel:DWORD
	s_mov_b64 s[4:5], -1
                                        ; implicit-def: $sgpr10
	s_and_saveexec_b64 s[8:9], s[12:13]
; %bb.2298:
	s_mov_b32 s10, 0x7f800001
	s_xor_b64 s[4:5], exec, -1
; %bb.2299:
	s_or_b64 exec, exec, s[8:9]
	s_and_b64 s[4:5], s[4:5], exec
	s_or_saveexec_b64 s[6:7], s[6:7]
	v_mov_b32_e32 v2, s10
	s_xor_b64 exec, exec, s[6:7]
	s_cbranch_execz .LBB7_250
.LBB7_2300:
	v_mov_b32_e32 v2, 0
	v_cmp_ne_u16_sdwa s[8:9], v9, v2 src0_sel:BYTE_3 src1_sel:DWORD
	s_andn2_b64 s[4:5], s[4:5], exec
	s_and_b64 s[8:9], s[8:9], exec
	s_or_b64 s[4:5], s[4:5], s[8:9]
	s_or_b64 exec, exec, s[6:7]
	s_and_saveexec_b64 s[6:7], s[4:5]
	s_cbranch_execnz .LBB7_251
	s_branch .LBB7_252
.LBB7_2301:
	s_movk_i32 s4, 0x80
	v_cmp_eq_u16_sdwa s[12:13], v5, s4 src0_sel:BYTE_3 src1_sel:DWORD
	s_mov_b64 s[4:5], -1
                                        ; implicit-def: $sgpr10
	s_and_saveexec_b64 s[8:9], s[12:13]
; %bb.2302:
	s_mov_b32 s10, 0x7f800001
	s_xor_b64 s[4:5], exec, -1
; %bb.2303:
	s_or_b64 exec, exec, s[8:9]
	s_and_b64 s[4:5], s[4:5], exec
	s_or_saveexec_b64 s[6:7], s[6:7]
	v_mov_b32_e32 v3, s10
	s_xor_b64 exec, exec, s[6:7]
	s_cbranch_execz .LBB7_254
.LBB7_2304:
	v_mov_b32_e32 v3, 0
	v_cmp_ne_u16_sdwa s[8:9], v5, v3 src0_sel:BYTE_3 src1_sel:DWORD
	s_andn2_b64 s[4:5], s[4:5], exec
	s_and_b64 s[8:9], s[8:9], exec
	s_or_b64 s[4:5], s[4:5], s[8:9]
	s_or_b64 exec, exec, s[6:7]
	s_and_saveexec_b64 s[6:7], s[4:5]
	s_cbranch_execnz .LBB7_255
	s_branch .LBB7_256
.LBB7_2305:
	s_movk_i32 s4, 0x80
	v_cmp_eq_u16_sdwa s[12:13], v14, s4 src0_sel:BYTE_0 src1_sel:DWORD
	s_mov_b64 s[4:5], -1
                                        ; implicit-def: $sgpr10
	s_and_saveexec_b64 s[8:9], s[12:13]
; %bb.2306:
	s_mov_b32 s10, 0x7f800001
	s_xor_b64 s[4:5], exec, -1
; %bb.2307:
	s_or_b64 exec, exec, s[8:9]
	s_and_b64 s[4:5], s[4:5], exec
	s_or_saveexec_b64 s[6:7], s[6:7]
	v_mov_b32_e32 v20, s10
	s_xor_b64 exec, exec, s[6:7]
	s_cbranch_execz .LBB7_258
.LBB7_2308:
	v_mov_b32_e32 v20, 0
	v_cmp_ne_u16_sdwa s[8:9], v14, v20 src0_sel:BYTE_0 src1_sel:DWORD
	s_andn2_b64 s[4:5], s[4:5], exec
	s_and_b64 s[8:9], s[8:9], exec
	s_or_b64 s[4:5], s[4:5], s[8:9]
	s_or_b64 exec, exec, s[6:7]
	s_and_saveexec_b64 s[6:7], s[4:5]
	s_cbranch_execnz .LBB7_259
	s_branch .LBB7_260
.LBB7_2309:
	s_movk_i32 s4, 0x80
	v_cmp_eq_u16_sdwa s[12:13], v10, s4 src0_sel:BYTE_0 src1_sel:DWORD
	s_mov_b64 s[4:5], -1
                                        ; implicit-def: $sgpr10
	s_and_saveexec_b64 s[8:9], s[12:13]
; %bb.2310:
	s_mov_b32 s10, 0x7f800001
	s_xor_b64 s[4:5], exec, -1
; %bb.2311:
	s_or_b64 exec, exec, s[8:9]
	s_and_b64 s[4:5], s[4:5], exec
	s_or_saveexec_b64 s[6:7], s[6:7]
	v_mov_b32_e32 v21, s10
	s_xor_b64 exec, exec, s[6:7]
	s_cbranch_execz .LBB7_262
.LBB7_2312:
	v_mov_b32_e32 v21, 0
	v_cmp_ne_u16_sdwa s[8:9], v10, v21 src0_sel:BYTE_0 src1_sel:DWORD
	s_andn2_b64 s[4:5], s[4:5], exec
	s_and_b64 s[8:9], s[8:9], exec
	s_or_b64 s[4:5], s[4:5], s[8:9]
	s_or_b64 exec, exec, s[6:7]
	s_and_saveexec_b64 s[6:7], s[4:5]
	s_cbranch_execnz .LBB7_263
	s_branch .LBB7_264
.LBB7_2313:
	s_movk_i32 s4, 0x80
	v_cmp_eq_u16_sdwa s[12:13], v21, s4 src0_sel:BYTE_0 src1_sel:DWORD
	s_mov_b64 s[4:5], -1
                                        ; implicit-def: $sgpr10
	s_and_saveexec_b64 s[8:9], s[12:13]
; %bb.2314:
	s_mov_b32 s10, 0x7f800001
	s_xor_b64 s[4:5], exec, -1
; %bb.2315:
	s_or_b64 exec, exec, s[8:9]
	s_and_b64 s[4:5], s[4:5], exec
	s_or_saveexec_b64 s[6:7], s[6:7]
	v_mov_b32_e32 v20, s10
	s_xor_b64 exec, exec, s[6:7]
	s_cbranch_execz .LBB7_266
.LBB7_2316:
	v_mov_b32_e32 v20, 0
	v_cmp_ne_u16_sdwa s[8:9], v21, v20 src0_sel:BYTE_0 src1_sel:DWORD
	s_andn2_b64 s[4:5], s[4:5], exec
	s_and_b64 s[8:9], s[8:9], exec
	s_or_b64 s[4:5], s[4:5], s[8:9]
	s_or_b64 exec, exec, s[6:7]
	s_and_saveexec_b64 s[6:7], s[4:5]
	s_cbranch_execnz .LBB7_267
	s_branch .LBB7_268
.LBB7_2317:
	s_movk_i32 s4, 0x80
	v_cmp_eq_u16_sdwa s[12:13], v21, s4 src0_sel:BYTE_0 src1_sel:DWORD
	s_mov_b64 s[4:5], -1
                                        ; implicit-def: $sgpr10
	s_and_saveexec_b64 s[8:9], s[12:13]
; %bb.2318:
	s_mov_b32 s10, 0x7f800001
	s_xor_b64 s[4:5], exec, -1
; %bb.2319:
	s_or_b64 exec, exec, s[8:9]
	s_and_b64 s[4:5], s[4:5], exec
	s_or_saveexec_b64 s[6:7], s[6:7]
	v_mov_b32_e32 v22, s10
	s_xor_b64 exec, exec, s[6:7]
	s_cbranch_execz .LBB7_270
.LBB7_2320:
	v_mov_b32_e32 v22, 0
	v_cmp_ne_u16_sdwa s[8:9], v21, v22 src0_sel:BYTE_0 src1_sel:DWORD
	s_andn2_b64 s[4:5], s[4:5], exec
	s_and_b64 s[8:9], s[8:9], exec
	s_or_b64 s[4:5], s[4:5], s[8:9]
	s_or_b64 exec, exec, s[6:7]
	s_and_saveexec_b64 s[6:7], s[4:5]
	s_cbranch_execnz .LBB7_271
	s_branch .LBB7_272
.LBB7_2321:
	s_movk_i32 s4, 0x80
	v_cmp_eq_u16_e32 vcc, s4, v21
	s_mov_b64 s[4:5], -1
                                        ; implicit-def: $sgpr10
	s_and_saveexec_b64 s[8:9], vcc
; %bb.2322:
	s_mov_b32 s10, 0x7f800001
	s_xor_b64 s[4:5], exec, -1
; %bb.2323:
	s_or_b64 exec, exec, s[8:9]
	s_and_b64 s[4:5], s[4:5], exec
                                        ; implicit-def: $vgpr21
	s_or_saveexec_b64 s[6:7], s[6:7]
	v_mov_b32_e32 v20, s10
	s_xor_b64 exec, exec, s[6:7]
	s_cbranch_execz .LBB7_274
.LBB7_2324:
	v_cmp_ne_u16_e32 vcc, 0, v21
	s_andn2_b64 s[4:5], s[4:5], exec
	s_and_b64 s[8:9], vcc, exec
	v_mov_b32_e32 v20, 0
	s_or_b64 s[4:5], s[4:5], s[8:9]
	s_or_b64 exec, exec, s[6:7]
	s_and_saveexec_b64 s[6:7], s[4:5]
	s_cbranch_execnz .LBB7_275
	s_branch .LBB7_276
.LBB7_2325:
	s_movk_i32 s4, 0x80
	v_cmp_eq_u16_e32 vcc, s4, v21
	s_mov_b64 s[4:5], -1
                                        ; implicit-def: $sgpr10
	s_and_saveexec_b64 s[8:9], vcc
; %bb.2326:
	s_mov_b32 s10, 0x7f800001
	s_xor_b64 s[4:5], exec, -1
; %bb.2327:
	s_or_b64 exec, exec, s[8:9]
	s_and_b64 s[4:5], s[4:5], exec
                                        ; implicit-def: $vgpr21
	s_or_saveexec_b64 s[6:7], s[6:7]
	v_mov_b32_e32 v22, s10
	s_xor_b64 exec, exec, s[6:7]
	s_cbranch_execz .LBB7_278
.LBB7_2328:
	v_cmp_ne_u16_e32 vcc, 0, v21
	s_andn2_b64 s[4:5], s[4:5], exec
	s_and_b64 s[8:9], vcc, exec
	v_mov_b32_e32 v22, 0
	s_or_b64 s[4:5], s[4:5], s[8:9]
	s_or_b64 exec, exec, s[6:7]
	s_and_saveexec_b64 s[6:7], s[4:5]
	s_cbranch_execnz .LBB7_279
	s_branch .LBB7_280
.LBB7_2329:
	s_movk_i32 s4, 0x80
	v_cmp_eq_u16_sdwa s[12:13], v14, s4 src0_sel:BYTE_3 src1_sel:DWORD
	s_mov_b64 s[4:5], -1
                                        ; implicit-def: $sgpr10
	s_and_saveexec_b64 s[8:9], s[12:13]
; %bb.2330:
	s_mov_b32 s10, 0x7f800001
	s_xor_b64 s[4:5], exec, -1
; %bb.2331:
	s_or_b64 exec, exec, s[8:9]
	s_and_b64 s[4:5], s[4:5], exec
	s_or_saveexec_b64 s[6:7], s[6:7]
	v_mov_b32_e32 v20, s10
	s_xor_b64 exec, exec, s[6:7]
	s_cbranch_execz .LBB7_282
.LBB7_2332:
	v_mov_b32_e32 v20, 0
	v_cmp_ne_u16_sdwa s[8:9], v14, v20 src0_sel:BYTE_3 src1_sel:DWORD
	s_andn2_b64 s[4:5], s[4:5], exec
	s_and_b64 s[8:9], s[8:9], exec
	s_or_b64 s[4:5], s[4:5], s[8:9]
	s_or_b64 exec, exec, s[6:7]
	s_and_saveexec_b64 s[6:7], s[4:5]
	s_cbranch_execnz .LBB7_283
	s_branch .LBB7_284
.LBB7_2333:
	s_movk_i32 s4, 0x80
	v_cmp_eq_u16_sdwa s[12:13], v10, s4 src0_sel:BYTE_3 src1_sel:DWORD
	s_mov_b64 s[4:5], -1
                                        ; implicit-def: $sgpr10
	s_and_saveexec_b64 s[8:9], s[12:13]
; %bb.2334:
	s_mov_b32 s10, 0x7f800001
	s_xor_b64 s[4:5], exec, -1
; %bb.2335:
	s_or_b64 exec, exec, s[8:9]
	s_and_b64 s[4:5], s[4:5], exec
	s_or_saveexec_b64 s[6:7], s[6:7]
	v_mov_b32_e32 v14, s10
	s_xor_b64 exec, exec, s[6:7]
	s_cbranch_execz .LBB7_286
.LBB7_2336:
	v_mov_b32_e32 v14, 0
	v_cmp_ne_u16_sdwa s[8:9], v10, v14 src0_sel:BYTE_3 src1_sel:DWORD
	s_andn2_b64 s[4:5], s[4:5], exec
	s_and_b64 s[8:9], s[8:9], exec
	s_or_b64 s[4:5], s[4:5], s[8:9]
	s_or_b64 exec, exec, s[6:7]
	s_and_saveexec_b64 s[6:7], s[4:5]
	s_cbranch_execnz .LBB7_287
	s_branch .LBB7_288
.LBB7_2337:
	s_movk_i32 s4, 0x80
	v_cmp_eq_u16_sdwa s[12:13], v15, s4 src0_sel:BYTE_0 src1_sel:DWORD
	s_mov_b64 s[4:5], -1
                                        ; implicit-def: $sgpr10
	s_and_saveexec_b64 s[8:9], s[12:13]
; %bb.2338:
	s_mov_b32 s10, 0x7f800001
	s_xor_b64 s[4:5], exec, -1
; %bb.2339:
	s_or_b64 exec, exec, s[8:9]
	s_and_b64 s[4:5], s[4:5], exec
	s_or_saveexec_b64 s[6:7], s[6:7]
	v_mov_b32_e32 v10, s10
	s_xor_b64 exec, exec, s[6:7]
	s_cbranch_execz .LBB7_290
.LBB7_2340:
	v_mov_b32_e32 v10, 0
	v_cmp_ne_u16_sdwa s[8:9], v15, v10 src0_sel:BYTE_0 src1_sel:DWORD
	s_andn2_b64 s[4:5], s[4:5], exec
	s_and_b64 s[8:9], s[8:9], exec
	s_or_b64 s[4:5], s[4:5], s[8:9]
	s_or_b64 exec, exec, s[6:7]
	s_and_saveexec_b64 s[6:7], s[4:5]
	s_cbranch_execnz .LBB7_291
	s_branch .LBB7_292
.LBB7_2341:
	s_movk_i32 s4, 0x80
	v_cmp_eq_u16_sdwa s[12:13], v11, s4 src0_sel:BYTE_0 src1_sel:DWORD
	s_mov_b64 s[4:5], -1
                                        ; implicit-def: $sgpr10
	s_and_saveexec_b64 s[8:9], s[12:13]
; %bb.2342:
	s_mov_b32 s10, 0x7f800001
	s_xor_b64 s[4:5], exec, -1
; %bb.2343:
	s_or_b64 exec, exec, s[8:9]
	s_and_b64 s[4:5], s[4:5], exec
	s_or_saveexec_b64 s[6:7], s[6:7]
	v_mov_b32_e32 v14, s10
	s_xor_b64 exec, exec, s[6:7]
	s_cbranch_execz .LBB7_294
.LBB7_2344:
	v_mov_b32_e32 v14, 0
	v_cmp_ne_u16_sdwa s[8:9], v11, v14 src0_sel:BYTE_0 src1_sel:DWORD
	s_andn2_b64 s[4:5], s[4:5], exec
	s_and_b64 s[8:9], s[8:9], exec
	s_or_b64 s[4:5], s[4:5], s[8:9]
	s_or_b64 exec, exec, s[6:7]
	s_and_saveexec_b64 s[6:7], s[4:5]
	s_cbranch_execnz .LBB7_295
	s_branch .LBB7_296
.LBB7_2345:
	s_movk_i32 s4, 0x80
	v_cmp_eq_u16_sdwa s[12:13], v14, s4 src0_sel:BYTE_0 src1_sel:DWORD
	s_mov_b64 s[4:5], -1
                                        ; implicit-def: $sgpr10
	s_and_saveexec_b64 s[8:9], s[12:13]
; %bb.2346:
	s_mov_b32 s10, 0x7f800001
	s_xor_b64 s[4:5], exec, -1
; %bb.2347:
	s_or_b64 exec, exec, s[8:9]
	s_and_b64 s[4:5], s[4:5], exec
	s_or_saveexec_b64 s[6:7], s[6:7]
	v_mov_b32_e32 v10, s10
	s_xor_b64 exec, exec, s[6:7]
	s_cbranch_execz .LBB7_298
.LBB7_2348:
	v_mov_b32_e32 v10, 0
	v_cmp_ne_u16_sdwa s[8:9], v14, v10 src0_sel:BYTE_0 src1_sel:DWORD
	s_andn2_b64 s[4:5], s[4:5], exec
	s_and_b64 s[8:9], s[8:9], exec
	s_or_b64 s[4:5], s[4:5], s[8:9]
	s_or_b64 exec, exec, s[6:7]
	s_and_saveexec_b64 s[6:7], s[4:5]
	s_cbranch_execnz .LBB7_299
	s_branch .LBB7_300
.LBB7_2349:
	s_movk_i32 s4, 0x80
	v_cmp_eq_u16_sdwa s[12:13], v14, s4 src0_sel:BYTE_0 src1_sel:DWORD
	s_mov_b64 s[4:5], -1
                                        ; implicit-def: $sgpr10
	s_and_saveexec_b64 s[8:9], s[12:13]
; %bb.2350:
	s_mov_b32 s10, 0x7f800001
	s_xor_b64 s[4:5], exec, -1
; %bb.2351:
	s_or_b64 exec, exec, s[8:9]
	s_and_b64 s[4:5], s[4:5], exec
	s_or_saveexec_b64 s[6:7], s[6:7]
	v_mov_b32_e32 v20, s10
	s_xor_b64 exec, exec, s[6:7]
	s_cbranch_execz .LBB7_302
.LBB7_2352:
	v_mov_b32_e32 v20, 0
	v_cmp_ne_u16_sdwa s[8:9], v14, v20 src0_sel:BYTE_0 src1_sel:DWORD
	s_andn2_b64 s[4:5], s[4:5], exec
	s_and_b64 s[8:9], s[8:9], exec
	s_or_b64 s[4:5], s[4:5], s[8:9]
	s_or_b64 exec, exec, s[6:7]
	s_and_saveexec_b64 s[6:7], s[4:5]
	s_cbranch_execnz .LBB7_303
	s_branch .LBB7_304
.LBB7_2353:
	s_movk_i32 s4, 0x80
	v_cmp_eq_u16_e32 vcc, s4, v14
	s_mov_b64 s[4:5], -1
                                        ; implicit-def: $sgpr10
	s_and_saveexec_b64 s[8:9], vcc
; %bb.2354:
	s_mov_b32 s10, 0x7f800001
	s_xor_b64 s[4:5], exec, -1
; %bb.2355:
	s_or_b64 exec, exec, s[8:9]
	s_and_b64 s[4:5], s[4:5], exec
                                        ; implicit-def: $vgpr14
	s_or_saveexec_b64 s[6:7], s[6:7]
	v_mov_b32_e32 v10, s10
	s_xor_b64 exec, exec, s[6:7]
	s_cbranch_execz .LBB7_306
.LBB7_2356:
	v_cmp_ne_u16_e32 vcc, 0, v14
	s_andn2_b64 s[4:5], s[4:5], exec
	s_and_b64 s[8:9], vcc, exec
	v_mov_b32_e32 v10, 0
	s_or_b64 s[4:5], s[4:5], s[8:9]
	s_or_b64 exec, exec, s[6:7]
	s_and_saveexec_b64 s[6:7], s[4:5]
	s_cbranch_execnz .LBB7_307
	s_branch .LBB7_308
.LBB7_2357:
	s_movk_i32 s4, 0x80
	v_cmp_eq_u16_e32 vcc, s4, v14
	s_mov_b64 s[4:5], -1
                                        ; implicit-def: $sgpr10
	s_and_saveexec_b64 s[8:9], vcc
; %bb.2358:
	s_mov_b32 s10, 0x7f800001
	s_xor_b64 s[4:5], exec, -1
; %bb.2359:
	s_or_b64 exec, exec, s[8:9]
	s_and_b64 s[4:5], s[4:5], exec
                                        ; implicit-def: $vgpr14
	s_or_saveexec_b64 s[6:7], s[6:7]
	v_mov_b32_e32 v20, s10
	s_xor_b64 exec, exec, s[6:7]
	s_cbranch_execz .LBB7_310
.LBB7_2360:
	v_cmp_ne_u16_e32 vcc, 0, v14
	s_andn2_b64 s[4:5], s[4:5], exec
	s_and_b64 s[8:9], vcc, exec
	v_mov_b32_e32 v20, 0
	s_or_b64 s[4:5], s[4:5], s[8:9]
	s_or_b64 exec, exec, s[6:7]
	s_and_saveexec_b64 s[6:7], s[4:5]
	s_cbranch_execnz .LBB7_311
	s_branch .LBB7_312
.LBB7_2361:
	s_movk_i32 s4, 0x80
	v_cmp_eq_u16_sdwa s[12:13], v15, s4 src0_sel:BYTE_3 src1_sel:DWORD
	s_mov_b64 s[4:5], -1
                                        ; implicit-def: $sgpr10
	s_and_saveexec_b64 s[8:9], s[12:13]
; %bb.2362:
	s_mov_b32 s10, 0x7f800001
	s_xor_b64 s[4:5], exec, -1
; %bb.2363:
	s_or_b64 exec, exec, s[8:9]
	s_and_b64 s[4:5], s[4:5], exec
	s_or_saveexec_b64 s[6:7], s[6:7]
	v_mov_b32_e32 v10, s10
	s_xor_b64 exec, exec, s[6:7]
	s_cbranch_execz .LBB7_314
.LBB7_2364:
	v_mov_b32_e32 v10, 0
	v_cmp_ne_u16_sdwa s[8:9], v15, v10 src0_sel:BYTE_3 src1_sel:DWORD
	s_andn2_b64 s[4:5], s[4:5], exec
	s_and_b64 s[8:9], s[8:9], exec
	s_or_b64 s[4:5], s[4:5], s[8:9]
	s_or_b64 exec, exec, s[6:7]
	s_and_saveexec_b64 s[6:7], s[4:5]
	s_cbranch_execnz .LBB7_315
	s_branch .LBB7_316
.LBB7_2365:
	s_movk_i32 s4, 0x80
	v_cmp_eq_u16_sdwa s[12:13], v11, s4 src0_sel:BYTE_3 src1_sel:DWORD
	s_mov_b64 s[4:5], -1
                                        ; implicit-def: $sgpr10
	s_and_saveexec_b64 s[8:9], s[12:13]
; %bb.2366:
	s_mov_b32 s10, 0x7f800001
	s_xor_b64 s[4:5], exec, -1
; %bb.2367:
	s_or_b64 exec, exec, s[8:9]
	s_and_b64 s[4:5], s[4:5], exec
	s_or_saveexec_b64 s[6:7], s[6:7]
	v_mov_b32_e32 v14, s10
	s_xor_b64 exec, exec, s[6:7]
	s_cbranch_execz .LBB7_318
.LBB7_2368:
	v_mov_b32_e32 v14, 0
	v_cmp_ne_u16_sdwa s[8:9], v11, v14 src0_sel:BYTE_3 src1_sel:DWORD
	s_andn2_b64 s[4:5], s[4:5], exec
	s_and_b64 s[8:9], s[8:9], exec
	s_or_b64 s[4:5], s[4:5], s[8:9]
	s_or_b64 exec, exec, s[6:7]
	s_and_saveexec_b64 s[6:7], s[4:5]
	s_cbranch_execnz .LBB7_319
	s_branch .LBB7_320
.LBB7_2369:
	s_movk_i32 s4, 0x80
	v_cmp_eq_u16_sdwa s[12:13], v16, s4 src0_sel:BYTE_0 src1_sel:DWORD
	s_mov_b64 s[4:5], -1
                                        ; implicit-def: $sgpr10
	s_and_saveexec_b64 s[8:9], s[12:13]
; %bb.2370:
	s_mov_b32 s10, 0x7f800001
	s_xor_b64 s[4:5], exec, -1
; %bb.2371:
	s_or_b64 exec, exec, s[8:9]
	s_and_b64 s[4:5], s[4:5], exec
	s_or_saveexec_b64 s[6:7], s[6:7]
	v_mov_b32_e32 v10, s10
	s_xor_b64 exec, exec, s[6:7]
	s_cbranch_execz .LBB7_322
.LBB7_2372:
	v_mov_b32_e32 v10, 0
	v_cmp_ne_u16_sdwa s[8:9], v16, v10 src0_sel:BYTE_0 src1_sel:DWORD
	s_andn2_b64 s[4:5], s[4:5], exec
	s_and_b64 s[8:9], s[8:9], exec
	s_or_b64 s[4:5], s[4:5], s[8:9]
	s_or_b64 exec, exec, s[6:7]
	s_and_saveexec_b64 s[6:7], s[4:5]
	s_cbranch_execnz .LBB7_323
	s_branch .LBB7_324
.LBB7_2373:
	s_movk_i32 s4, 0x80
	v_cmp_eq_u16_sdwa s[12:13], v12, s4 src0_sel:BYTE_0 src1_sel:DWORD
	s_mov_b64 s[4:5], -1
                                        ; implicit-def: $sgpr10
	s_and_saveexec_b64 s[8:9], s[12:13]
; %bb.2374:
	s_mov_b32 s10, 0x7f800001
	s_xor_b64 s[4:5], exec, -1
; %bb.2375:
	s_or_b64 exec, exec, s[8:9]
	s_and_b64 s[4:5], s[4:5], exec
	s_or_saveexec_b64 s[6:7], s[6:7]
	v_mov_b32_e32 v11, s10
	s_xor_b64 exec, exec, s[6:7]
	s_cbranch_execz .LBB7_326
.LBB7_2376:
	v_mov_b32_e32 v11, 0
	v_cmp_ne_u16_sdwa s[8:9], v12, v11 src0_sel:BYTE_0 src1_sel:DWORD
	s_andn2_b64 s[4:5], s[4:5], exec
	s_and_b64 s[8:9], s[8:9], exec
	s_or_b64 s[4:5], s[4:5], s[8:9]
	s_or_b64 exec, exec, s[6:7]
	s_and_saveexec_b64 s[6:7], s[4:5]
	s_cbranch_execnz .LBB7_327
	s_branch .LBB7_328
.LBB7_2377:
	s_movk_i32 s4, 0x80
	v_cmp_eq_u16_sdwa s[12:13], v11, s4 src0_sel:BYTE_0 src1_sel:DWORD
	s_mov_b64 s[4:5], -1
                                        ; implicit-def: $sgpr10
	s_and_saveexec_b64 s[8:9], s[12:13]
; %bb.2378:
	s_mov_b32 s10, 0x7f800001
	s_xor_b64 s[4:5], exec, -1
; %bb.2379:
	s_or_b64 exec, exec, s[8:9]
	s_and_b64 s[4:5], s[4:5], exec
	s_or_saveexec_b64 s[6:7], s[6:7]
	v_mov_b32_e32 v10, s10
	s_xor_b64 exec, exec, s[6:7]
	s_cbranch_execz .LBB7_330
.LBB7_2380:
	v_mov_b32_e32 v10, 0
	v_cmp_ne_u16_sdwa s[8:9], v11, v10 src0_sel:BYTE_0 src1_sel:DWORD
	s_andn2_b64 s[4:5], s[4:5], exec
	s_and_b64 s[8:9], s[8:9], exec
	s_or_b64 s[4:5], s[4:5], s[8:9]
	s_or_b64 exec, exec, s[6:7]
	s_and_saveexec_b64 s[6:7], s[4:5]
	s_cbranch_execnz .LBB7_331
	s_branch .LBB7_332
.LBB7_2381:
	s_movk_i32 s4, 0x80
	v_cmp_eq_u16_sdwa s[12:13], v11, s4 src0_sel:BYTE_0 src1_sel:DWORD
	s_mov_b64 s[4:5], -1
                                        ; implicit-def: $sgpr10
	s_and_saveexec_b64 s[8:9], s[12:13]
; %bb.2382:
	s_mov_b32 s10, 0x7f800001
	s_xor_b64 s[4:5], exec, -1
; %bb.2383:
	s_or_b64 exec, exec, s[8:9]
	s_and_b64 s[4:5], s[4:5], exec
	s_or_saveexec_b64 s[6:7], s[6:7]
	v_mov_b32_e32 v14, s10
	s_xor_b64 exec, exec, s[6:7]
	s_cbranch_execz .LBB7_334
.LBB7_2384:
	v_mov_b32_e32 v14, 0
	v_cmp_ne_u16_sdwa s[8:9], v11, v14 src0_sel:BYTE_0 src1_sel:DWORD
	s_andn2_b64 s[4:5], s[4:5], exec
	s_and_b64 s[8:9], s[8:9], exec
	s_or_b64 s[4:5], s[4:5], s[8:9]
	s_or_b64 exec, exec, s[6:7]
	s_and_saveexec_b64 s[6:7], s[4:5]
	s_cbranch_execnz .LBB7_335
	s_branch .LBB7_336
.LBB7_2385:
	s_movk_i32 s4, 0x80
	v_cmp_eq_u16_e32 vcc, s4, v11
	s_mov_b64 s[4:5], -1
                                        ; implicit-def: $sgpr10
	s_and_saveexec_b64 s[8:9], vcc
; %bb.2386:
	s_mov_b32 s10, 0x7f800001
	s_xor_b64 s[4:5], exec, -1
; %bb.2387:
	s_or_b64 exec, exec, s[8:9]
	s_and_b64 s[4:5], s[4:5], exec
                                        ; implicit-def: $vgpr11
	s_or_saveexec_b64 s[6:7], s[6:7]
	v_mov_b32_e32 v10, s10
	s_xor_b64 exec, exec, s[6:7]
	s_cbranch_execz .LBB7_338
.LBB7_2388:
	v_cmp_ne_u16_e32 vcc, 0, v11
	s_andn2_b64 s[4:5], s[4:5], exec
	s_and_b64 s[8:9], vcc, exec
	v_mov_b32_e32 v10, 0
	s_or_b64 s[4:5], s[4:5], s[8:9]
	s_or_b64 exec, exec, s[6:7]
	s_and_saveexec_b64 s[6:7], s[4:5]
	s_cbranch_execnz .LBB7_339
	s_branch .LBB7_340
.LBB7_2389:
	s_movk_i32 s4, 0x80
	v_cmp_eq_u16_e32 vcc, s4, v11
	s_mov_b64 s[4:5], -1
                                        ; implicit-def: $sgpr10
	s_and_saveexec_b64 s[8:9], vcc
; %bb.2390:
	s_mov_b32 s10, 0x7f800001
	s_xor_b64 s[4:5], exec, -1
; %bb.2391:
	s_or_b64 exec, exec, s[8:9]
	s_and_b64 s[4:5], s[4:5], exec
                                        ; implicit-def: $vgpr11
	s_or_saveexec_b64 s[6:7], s[6:7]
	v_mov_b32_e32 v14, s10
	s_xor_b64 exec, exec, s[6:7]
	s_cbranch_execz .LBB7_342
.LBB7_2392:
	v_cmp_ne_u16_e32 vcc, 0, v11
	s_andn2_b64 s[4:5], s[4:5], exec
	s_and_b64 s[8:9], vcc, exec
	v_mov_b32_e32 v14, 0
	s_or_b64 s[4:5], s[4:5], s[8:9]
	s_or_b64 exec, exec, s[6:7]
	s_and_saveexec_b64 s[6:7], s[4:5]
	s_cbranch_execnz .LBB7_343
	s_branch .LBB7_344
.LBB7_2393:
	s_movk_i32 s4, 0x80
	v_cmp_eq_u16_sdwa s[12:13], v16, s4 src0_sel:BYTE_3 src1_sel:DWORD
	s_mov_b64 s[4:5], -1
                                        ; implicit-def: $sgpr10
	s_and_saveexec_b64 s[8:9], s[12:13]
; %bb.2394:
	s_mov_b32 s10, 0x7f800001
	s_xor_b64 s[4:5], exec, -1
; %bb.2395:
	s_or_b64 exec, exec, s[8:9]
	s_and_b64 s[4:5], s[4:5], exec
	s_or_saveexec_b64 s[6:7], s[6:7]
	v_mov_b32_e32 v10, s10
	s_xor_b64 exec, exec, s[6:7]
	s_cbranch_execz .LBB7_346
.LBB7_2396:
	v_mov_b32_e32 v10, 0
	v_cmp_ne_u16_sdwa s[8:9], v16, v10 src0_sel:BYTE_3 src1_sel:DWORD
	s_andn2_b64 s[4:5], s[4:5], exec
	s_and_b64 s[8:9], s[8:9], exec
	s_or_b64 s[4:5], s[4:5], s[8:9]
	s_or_b64 exec, exec, s[6:7]
	s_and_saveexec_b64 s[6:7], s[4:5]
	s_cbranch_execnz .LBB7_347
	s_branch .LBB7_348
.LBB7_2397:
	s_movk_i32 s4, 0x80
	v_cmp_eq_u16_sdwa s[12:13], v12, s4 src0_sel:BYTE_3 src1_sel:DWORD
	s_mov_b64 s[4:5], -1
                                        ; implicit-def: $sgpr10
	s_and_saveexec_b64 s[8:9], s[12:13]
; %bb.2398:
	s_mov_b32 s10, 0x7f800001
	s_xor_b64 s[4:5], exec, -1
; %bb.2399:
	s_or_b64 exec, exec, s[8:9]
	s_and_b64 s[4:5], s[4:5], exec
	s_or_saveexec_b64 s[6:7], s[6:7]
	v_mov_b32_e32 v11, s10
	s_xor_b64 exec, exec, s[6:7]
	s_cbranch_execz .LBB7_350
.LBB7_2400:
	v_mov_b32_e32 v11, 0
	v_cmp_ne_u16_sdwa s[8:9], v12, v11 src0_sel:BYTE_3 src1_sel:DWORD
	s_andn2_b64 s[4:5], s[4:5], exec
	s_and_b64 s[8:9], s[8:9], exec
	s_or_b64 s[4:5], s[4:5], s[8:9]
	s_or_b64 exec, exec, s[6:7]
	s_and_saveexec_b64 s[6:7], s[4:5]
	s_cbranch_execnz .LBB7_351
	s_branch .LBB7_352
.LBB7_2401:
	s_movk_i32 s4, 0x80
	v_cmp_eq_u16_sdwa s[12:13], v17, s4 src0_sel:BYTE_0 src1_sel:DWORD
	s_mov_b64 s[4:5], -1
                                        ; implicit-def: $sgpr10
	s_and_saveexec_b64 s[8:9], s[12:13]
; %bb.2402:
	s_mov_b32 s10, 0x7f800001
	s_xor_b64 s[4:5], exec, -1
; %bb.2403:
	s_or_b64 exec, exec, s[8:9]
	s_and_b64 s[4:5], s[4:5], exec
	s_or_saveexec_b64 s[6:7], s[6:7]
	v_mov_b32_e32 v10, s10
	s_xor_b64 exec, exec, s[6:7]
	s_cbranch_execz .LBB7_354
.LBB7_2404:
	v_mov_b32_e32 v10, 0
	v_cmp_ne_u16_sdwa s[8:9], v17, v10 src0_sel:BYTE_0 src1_sel:DWORD
	s_andn2_b64 s[4:5], s[4:5], exec
	s_and_b64 s[8:9], s[8:9], exec
	s_or_b64 s[4:5], s[4:5], s[8:9]
	s_or_b64 exec, exec, s[6:7]
	s_and_saveexec_b64 s[6:7], s[4:5]
	s_cbranch_execnz .LBB7_355
	s_branch .LBB7_356
.LBB7_2405:
	s_movk_i32 s4, 0x80
	v_cmp_eq_u16_sdwa s[12:13], v13, s4 src0_sel:BYTE_0 src1_sel:DWORD
	s_mov_b64 s[4:5], -1
                                        ; implicit-def: $sgpr10
	s_and_saveexec_b64 s[8:9], s[12:13]
; %bb.2406:
	s_mov_b32 s10, 0x7f800001
	s_xor_b64 s[4:5], exec, -1
; %bb.2407:
	s_or_b64 exec, exec, s[8:9]
	s_and_b64 s[4:5], s[4:5], exec
	s_or_saveexec_b64 s[6:7], s[6:7]
	v_mov_b32_e32 v11, s10
	s_xor_b64 exec, exec, s[6:7]
	s_cbranch_execz .LBB7_358
.LBB7_2408:
	v_mov_b32_e32 v11, 0
	v_cmp_ne_u16_sdwa s[8:9], v13, v11 src0_sel:BYTE_0 src1_sel:DWORD
	s_andn2_b64 s[4:5], s[4:5], exec
	s_and_b64 s[8:9], s[8:9], exec
	s_or_b64 s[4:5], s[4:5], s[8:9]
	s_or_b64 exec, exec, s[6:7]
	s_and_saveexec_b64 s[6:7], s[4:5]
	s_cbranch_execnz .LBB7_359
	s_branch .LBB7_360
.LBB7_2409:
	s_movk_i32 s4, 0x80
	v_cmp_eq_u16_sdwa s[12:13], v11, s4 src0_sel:BYTE_0 src1_sel:DWORD
	s_mov_b64 s[4:5], -1
                                        ; implicit-def: $sgpr10
	s_and_saveexec_b64 s[8:9], s[12:13]
; %bb.2410:
	s_mov_b32 s10, 0x7f800001
	s_xor_b64 s[4:5], exec, -1
; %bb.2411:
	s_or_b64 exec, exec, s[8:9]
	s_and_b64 s[4:5], s[4:5], exec
	s_or_saveexec_b64 s[6:7], s[6:7]
	v_mov_b32_e32 v10, s10
	s_xor_b64 exec, exec, s[6:7]
	s_cbranch_execz .LBB7_362
.LBB7_2412:
	v_mov_b32_e32 v10, 0
	v_cmp_ne_u16_sdwa s[8:9], v11, v10 src0_sel:BYTE_0 src1_sel:DWORD
	s_andn2_b64 s[4:5], s[4:5], exec
	s_and_b64 s[8:9], s[8:9], exec
	s_or_b64 s[4:5], s[4:5], s[8:9]
	s_or_b64 exec, exec, s[6:7]
	s_and_saveexec_b64 s[6:7], s[4:5]
	s_cbranch_execnz .LBB7_363
	s_branch .LBB7_364
.LBB7_2413:
	s_movk_i32 s4, 0x80
	v_cmp_eq_u16_sdwa s[12:13], v11, s4 src0_sel:BYTE_0 src1_sel:DWORD
	s_mov_b64 s[4:5], -1
                                        ; implicit-def: $sgpr10
	s_and_saveexec_b64 s[8:9], s[12:13]
; %bb.2414:
	s_mov_b32 s10, 0x7f800001
	s_xor_b64 s[4:5], exec, -1
; %bb.2415:
	s_or_b64 exec, exec, s[8:9]
	s_and_b64 s[4:5], s[4:5], exec
	s_or_saveexec_b64 s[6:7], s[6:7]
	v_mov_b32_e32 v12, s10
	s_xor_b64 exec, exec, s[6:7]
	s_cbranch_execz .LBB7_366
.LBB7_2416:
	v_mov_b32_e32 v12, 0
	v_cmp_ne_u16_sdwa s[8:9], v11, v12 src0_sel:BYTE_0 src1_sel:DWORD
	s_andn2_b64 s[4:5], s[4:5], exec
	s_and_b64 s[8:9], s[8:9], exec
	s_or_b64 s[4:5], s[4:5], s[8:9]
	s_or_b64 exec, exec, s[6:7]
	s_and_saveexec_b64 s[6:7], s[4:5]
	s_cbranch_execnz .LBB7_367
	s_branch .LBB7_368
.LBB7_2417:
	s_movk_i32 s4, 0x80
	v_cmp_eq_u16_e32 vcc, s4, v11
	s_mov_b64 s[4:5], -1
                                        ; implicit-def: $sgpr10
	s_and_saveexec_b64 s[8:9], vcc
; %bb.2418:
	s_mov_b32 s10, 0x7f800001
	s_xor_b64 s[4:5], exec, -1
; %bb.2419:
	s_or_b64 exec, exec, s[8:9]
	s_and_b64 s[4:5], s[4:5], exec
                                        ; implicit-def: $vgpr11
	s_or_saveexec_b64 s[6:7], s[6:7]
	v_mov_b32_e32 v10, s10
	s_xor_b64 exec, exec, s[6:7]
	s_cbranch_execz .LBB7_370
.LBB7_2420:
	v_cmp_ne_u16_e32 vcc, 0, v11
	s_andn2_b64 s[4:5], s[4:5], exec
	s_and_b64 s[8:9], vcc, exec
	v_mov_b32_e32 v10, 0
	s_or_b64 s[4:5], s[4:5], s[8:9]
	s_or_b64 exec, exec, s[6:7]
	s_and_saveexec_b64 s[6:7], s[4:5]
	s_cbranch_execnz .LBB7_371
	s_branch .LBB7_372
.LBB7_2421:
	s_movk_i32 s4, 0x80
	v_cmp_eq_u16_e32 vcc, s4, v11
	s_mov_b64 s[4:5], -1
                                        ; implicit-def: $sgpr10
	s_and_saveexec_b64 s[8:9], vcc
; %bb.2422:
	s_mov_b32 s10, 0x7f800001
	s_xor_b64 s[4:5], exec, -1
; %bb.2423:
	s_or_b64 exec, exec, s[8:9]
	s_and_b64 s[4:5], s[4:5], exec
                                        ; implicit-def: $vgpr11
	s_or_saveexec_b64 s[6:7], s[6:7]
	v_mov_b32_e32 v12, s10
	s_xor_b64 exec, exec, s[6:7]
	s_cbranch_execz .LBB7_374
.LBB7_2424:
	v_cmp_ne_u16_e32 vcc, 0, v11
	s_andn2_b64 s[4:5], s[4:5], exec
	s_and_b64 s[8:9], vcc, exec
	v_mov_b32_e32 v12, 0
	s_or_b64 s[4:5], s[4:5], s[8:9]
	s_or_b64 exec, exec, s[6:7]
	s_and_saveexec_b64 s[6:7], s[4:5]
	s_cbranch_execnz .LBB7_375
	s_branch .LBB7_376
.LBB7_2425:
	s_movk_i32 s4, 0x80
	v_cmp_eq_u16_sdwa s[12:13], v17, s4 src0_sel:BYTE_3 src1_sel:DWORD
	s_mov_b64 s[4:5], -1
                                        ; implicit-def: $sgpr10
	s_and_saveexec_b64 s[8:9], s[12:13]
; %bb.2426:
	s_mov_b32 s10, 0x7f800001
	s_xor_b64 s[4:5], exec, -1
; %bb.2427:
	s_or_b64 exec, exec, s[8:9]
	s_and_b64 s[4:5], s[4:5], exec
	s_or_saveexec_b64 s[6:7], s[6:7]
	v_mov_b32_e32 v10, s10
	s_xor_b64 exec, exec, s[6:7]
	s_cbranch_execz .LBB7_378
.LBB7_2428:
	v_mov_b32_e32 v10, 0
	v_cmp_ne_u16_sdwa s[8:9], v17, v10 src0_sel:BYTE_3 src1_sel:DWORD
	s_andn2_b64 s[4:5], s[4:5], exec
	s_and_b64 s[8:9], s[8:9], exec
	s_or_b64 s[4:5], s[4:5], s[8:9]
	s_or_b64 exec, exec, s[6:7]
	s_and_saveexec_b64 s[6:7], s[4:5]
	s_cbranch_execnz .LBB7_379
	s_branch .LBB7_380
.LBB7_2429:
	s_movk_i32 s4, 0x80
	v_cmp_eq_u16_sdwa s[12:13], v13, s4 src0_sel:BYTE_3 src1_sel:DWORD
	s_mov_b64 s[4:5], -1
                                        ; implicit-def: $sgpr10
	s_and_saveexec_b64 s[8:9], s[12:13]
; %bb.2430:
	s_mov_b32 s10, 0x7f800001
	s_xor_b64 s[4:5], exec, -1
; %bb.2431:
	s_or_b64 exec, exec, s[8:9]
	s_and_b64 s[4:5], s[4:5], exec
	s_or_saveexec_b64 s[6:7], s[6:7]
	v_mov_b32_e32 v11, s10
	s_xor_b64 exec, exec, s[6:7]
	s_cbranch_execz .LBB7_382
.LBB7_2432:
	v_mov_b32_e32 v11, 0
	v_cmp_ne_u16_sdwa s[8:9], v13, v11 src0_sel:BYTE_3 src1_sel:DWORD
	s_andn2_b64 s[4:5], s[4:5], exec
	s_and_b64 s[8:9], s[8:9], exec
	s_or_b64 s[4:5], s[4:5], s[8:9]
	s_or_b64 exec, exec, s[6:7]
	s_and_saveexec_b64 s[6:7], s[4:5]
	s_cbranch_execnz .LBB7_383
	s_branch .LBB7_384
.LBB7_2433:
	s_movk_i32 s4, 0x80
	v_cmp_eq_u16_sdwa s[12:13], v6, s4 src0_sel:BYTE_0 src1_sel:DWORD
	s_mov_b64 s[4:5], -1
                                        ; implicit-def: $sgpr10
	s_and_saveexec_b64 s[8:9], s[12:13]
; %bb.2434:
	s_mov_b32 s10, 0x7f800001
	s_xor_b64 s[4:5], exec, -1
; %bb.2435:
	s_or_b64 exec, exec, s[8:9]
	s_and_b64 s[4:5], s[4:5], exec
	s_or_saveexec_b64 s[6:7], s[6:7]
	v_mov_b32_e32 v10, s10
	s_xor_b64 exec, exec, s[6:7]
	s_cbranch_execz .LBB7_386
.LBB7_2436:
	v_mov_b32_e32 v10, 0
	v_cmp_ne_u16_sdwa s[8:9], v6, v10 src0_sel:BYTE_0 src1_sel:DWORD
	s_andn2_b64 s[4:5], s[4:5], exec
	s_and_b64 s[8:9], s[8:9], exec
	s_or_b64 s[4:5], s[4:5], s[8:9]
	s_or_b64 exec, exec, s[6:7]
	s_and_saveexec_b64 s[6:7], s[4:5]
	s_cbranch_execnz .LBB7_387
	s_branch .LBB7_388
.LBB7_2437:
	s_movk_i32 s4, 0x80
	v_cmp_eq_u16_sdwa s[12:13], v2, s4 src0_sel:BYTE_0 src1_sel:DWORD
	s_mov_b64 s[4:5], -1
                                        ; implicit-def: $sgpr10
	s_and_saveexec_b64 s[8:9], s[12:13]
; %bb.2438:
	s_mov_b32 s10, 0x7f800001
	s_xor_b64 s[4:5], exec, -1
; %bb.2439:
	s_or_b64 exec, exec, s[8:9]
	s_and_b64 s[4:5], s[4:5], exec
	s_or_saveexec_b64 s[6:7], s[6:7]
	v_mov_b32_e32 v11, s10
	s_xor_b64 exec, exec, s[6:7]
	s_cbranch_execz .LBB7_390
.LBB7_2440:
	v_mov_b32_e32 v11, 0
	v_cmp_ne_u16_sdwa s[8:9], v2, v11 src0_sel:BYTE_0 src1_sel:DWORD
	s_andn2_b64 s[4:5], s[4:5], exec
	s_and_b64 s[8:9], s[8:9], exec
	s_or_b64 s[4:5], s[4:5], s[8:9]
	s_or_b64 exec, exec, s[6:7]
	s_and_saveexec_b64 s[6:7], s[4:5]
	s_cbranch_execnz .LBB7_391
	s_branch .LBB7_392
.LBB7_2441:
	s_movk_i32 s4, 0x80
	v_cmp_eq_u16_sdwa s[12:13], v11, s4 src0_sel:BYTE_0 src1_sel:DWORD
	s_mov_b64 s[4:5], -1
                                        ; implicit-def: $sgpr10
	s_and_saveexec_b64 s[8:9], s[12:13]
; %bb.2442:
	s_mov_b32 s10, 0x7f800001
	s_xor_b64 s[4:5], exec, -1
; %bb.2443:
	s_or_b64 exec, exec, s[8:9]
	s_and_b64 s[4:5], s[4:5], exec
	s_or_saveexec_b64 s[6:7], s[6:7]
	v_mov_b32_e32 v10, s10
	s_xor_b64 exec, exec, s[6:7]
	s_cbranch_execz .LBB7_394
.LBB7_2444:
	v_mov_b32_e32 v10, 0
	v_cmp_ne_u16_sdwa s[8:9], v11, v10 src0_sel:BYTE_0 src1_sel:DWORD
	s_andn2_b64 s[4:5], s[4:5], exec
	s_and_b64 s[8:9], s[8:9], exec
	s_or_b64 s[4:5], s[4:5], s[8:9]
	s_or_b64 exec, exec, s[6:7]
	s_and_saveexec_b64 s[6:7], s[4:5]
	s_cbranch_execnz .LBB7_395
	s_branch .LBB7_396
.LBB7_2445:
	s_movk_i32 s4, 0x80
	v_cmp_eq_u16_sdwa s[12:13], v11, s4 src0_sel:BYTE_0 src1_sel:DWORD
	s_mov_b64 s[4:5], -1
                                        ; implicit-def: $sgpr10
	s_and_saveexec_b64 s[8:9], s[12:13]
; %bb.2446:
	s_mov_b32 s10, 0x7f800001
	s_xor_b64 s[4:5], exec, -1
; %bb.2447:
	s_or_b64 exec, exec, s[8:9]
	s_and_b64 s[4:5], s[4:5], exec
	s_or_saveexec_b64 s[6:7], s[6:7]
	v_mov_b32_e32 v12, s10
	s_xor_b64 exec, exec, s[6:7]
	s_cbranch_execz .LBB7_398
.LBB7_2448:
	v_mov_b32_e32 v12, 0
	v_cmp_ne_u16_sdwa s[8:9], v11, v12 src0_sel:BYTE_0 src1_sel:DWORD
	s_andn2_b64 s[4:5], s[4:5], exec
	s_and_b64 s[8:9], s[8:9], exec
	s_or_b64 s[4:5], s[4:5], s[8:9]
	s_or_b64 exec, exec, s[6:7]
	s_and_saveexec_b64 s[6:7], s[4:5]
	s_cbranch_execnz .LBB7_399
	s_branch .LBB7_400
.LBB7_2449:
	s_movk_i32 s4, 0x80
	v_cmp_eq_u16_e32 vcc, s4, v11
	s_mov_b64 s[4:5], -1
                                        ; implicit-def: $sgpr10
	s_and_saveexec_b64 s[8:9], vcc
; %bb.2450:
	s_mov_b32 s10, 0x7f800001
	s_xor_b64 s[4:5], exec, -1
; %bb.2451:
	s_or_b64 exec, exec, s[8:9]
	s_and_b64 s[4:5], s[4:5], exec
                                        ; implicit-def: $vgpr11
	s_or_saveexec_b64 s[6:7], s[6:7]
	v_mov_b32_e32 v10, s10
	s_xor_b64 exec, exec, s[6:7]
	s_cbranch_execz .LBB7_402
.LBB7_2452:
	v_cmp_ne_u16_e32 vcc, 0, v11
	s_andn2_b64 s[4:5], s[4:5], exec
	s_and_b64 s[8:9], vcc, exec
	v_mov_b32_e32 v10, 0
	s_or_b64 s[4:5], s[4:5], s[8:9]
	s_or_b64 exec, exec, s[6:7]
	s_and_saveexec_b64 s[6:7], s[4:5]
	s_cbranch_execnz .LBB7_403
	s_branch .LBB7_404
.LBB7_2453:
	s_movk_i32 s4, 0x80
	v_cmp_eq_u16_e32 vcc, s4, v11
	s_mov_b64 s[4:5], -1
                                        ; implicit-def: $sgpr10
	s_and_saveexec_b64 s[8:9], vcc
; %bb.2454:
	s_mov_b32 s10, 0x7f800001
	s_xor_b64 s[4:5], exec, -1
; %bb.2455:
	s_or_b64 exec, exec, s[8:9]
	s_and_b64 s[4:5], s[4:5], exec
                                        ; implicit-def: $vgpr11
	s_or_saveexec_b64 s[6:7], s[6:7]
	v_mov_b32_e32 v12, s10
	s_xor_b64 exec, exec, s[6:7]
	s_cbranch_execz .LBB7_406
.LBB7_2456:
	v_cmp_ne_u16_e32 vcc, 0, v11
	s_andn2_b64 s[4:5], s[4:5], exec
	s_and_b64 s[8:9], vcc, exec
	v_mov_b32_e32 v12, 0
	s_or_b64 s[4:5], s[4:5], s[8:9]
	s_or_b64 exec, exec, s[6:7]
	s_and_saveexec_b64 s[6:7], s[4:5]
	s_cbranch_execnz .LBB7_407
	s_branch .LBB7_408
.LBB7_2457:
	s_movk_i32 s4, 0x80
	v_cmp_eq_u16_sdwa s[12:13], v6, s4 src0_sel:BYTE_3 src1_sel:DWORD
	s_mov_b64 s[4:5], -1
                                        ; implicit-def: $sgpr10
	s_and_saveexec_b64 s[8:9], s[12:13]
; %bb.2458:
	s_mov_b32 s10, 0x7f800001
	s_xor_b64 s[4:5], exec, -1
; %bb.2459:
	s_or_b64 exec, exec, s[8:9]
	s_and_b64 s[4:5], s[4:5], exec
	s_or_saveexec_b64 s[6:7], s[6:7]
	v_mov_b32_e32 v10, s10
	s_xor_b64 exec, exec, s[6:7]
	s_cbranch_execz .LBB7_410
.LBB7_2460:
	v_mov_b32_e32 v10, 0
	v_cmp_ne_u16_sdwa s[8:9], v6, v10 src0_sel:BYTE_3 src1_sel:DWORD
	s_andn2_b64 s[4:5], s[4:5], exec
	s_and_b64 s[8:9], s[8:9], exec
	s_or_b64 s[4:5], s[4:5], s[8:9]
	s_or_b64 exec, exec, s[6:7]
	s_and_saveexec_b64 s[6:7], s[4:5]
	s_cbranch_execnz .LBB7_411
	s_branch .LBB7_412
.LBB7_2461:
	s_movk_i32 s4, 0x80
	v_cmp_eq_u16_sdwa s[12:13], v2, s4 src0_sel:BYTE_3 src1_sel:DWORD
	s_mov_b64 s[4:5], -1
                                        ; implicit-def: $sgpr10
	s_and_saveexec_b64 s[8:9], s[12:13]
; %bb.2462:
	s_mov_b32 s10, 0x7f800001
	s_xor_b64 s[4:5], exec, -1
; %bb.2463:
	s_or_b64 exec, exec, s[8:9]
	s_and_b64 s[4:5], s[4:5], exec
	s_or_saveexec_b64 s[6:7], s[6:7]
	v_mov_b32_e32 v6, s10
	s_xor_b64 exec, exec, s[6:7]
	s_cbranch_execz .LBB7_414
.LBB7_2464:
	v_mov_b32_e32 v6, 0
	v_cmp_ne_u16_sdwa s[8:9], v2, v6 src0_sel:BYTE_3 src1_sel:DWORD
	s_andn2_b64 s[4:5], s[4:5], exec
	s_and_b64 s[8:9], s[8:9], exec
	s_or_b64 s[4:5], s[4:5], s[8:9]
	s_or_b64 exec, exec, s[6:7]
	s_and_saveexec_b64 s[6:7], s[4:5]
	s_cbranch_execnz .LBB7_415
	s_branch .LBB7_416
.LBB7_2465:
	s_movk_i32 s4, 0x80
	v_cmp_eq_u16_sdwa s[12:13], v7, s4 src0_sel:BYTE_0 src1_sel:DWORD
	s_mov_b64 s[4:5], -1
                                        ; implicit-def: $sgpr10
	s_and_saveexec_b64 s[8:9], s[12:13]
; %bb.2466:
	s_mov_b32 s10, 0x7f800001
	s_xor_b64 s[4:5], exec, -1
; %bb.2467:
	s_or_b64 exec, exec, s[8:9]
	s_and_b64 s[4:5], s[4:5], exec
	s_or_saveexec_b64 s[6:7], s[6:7]
	v_mov_b32_e32 v2, s10
	s_xor_b64 exec, exec, s[6:7]
	s_cbranch_execz .LBB7_418
.LBB7_2468:
	v_mov_b32_e32 v2, 0
	v_cmp_ne_u16_sdwa s[8:9], v7, v2 src0_sel:BYTE_0 src1_sel:DWORD
	s_andn2_b64 s[4:5], s[4:5], exec
	s_and_b64 s[8:9], s[8:9], exec
	s_or_b64 s[4:5], s[4:5], s[8:9]
	s_or_b64 exec, exec, s[6:7]
	s_and_saveexec_b64 s[6:7], s[4:5]
	s_cbranch_execnz .LBB7_419
	s_branch .LBB7_420
.LBB7_2469:
	s_movk_i32 s4, 0x80
	v_cmp_eq_u16_sdwa s[12:13], v3, s4 src0_sel:BYTE_0 src1_sel:DWORD
	s_mov_b64 s[4:5], -1
                                        ; implicit-def: $sgpr10
	s_and_saveexec_b64 s[8:9], s[12:13]
; %bb.2470:
	s_mov_b32 s10, 0x7f800001
	s_xor_b64 s[4:5], exec, -1
; %bb.2471:
	s_or_b64 exec, exec, s[8:9]
	s_and_b64 s[4:5], s[4:5], exec
	s_or_saveexec_b64 s[6:7], s[6:7]
	v_mov_b32_e32 v6, s10
	s_xor_b64 exec, exec, s[6:7]
	s_cbranch_execz .LBB7_422
.LBB7_2472:
	v_mov_b32_e32 v6, 0
	v_cmp_ne_u16_sdwa s[8:9], v3, v6 src0_sel:BYTE_0 src1_sel:DWORD
	s_andn2_b64 s[4:5], s[4:5], exec
	s_and_b64 s[8:9], s[8:9], exec
	s_or_b64 s[4:5], s[4:5], s[8:9]
	s_or_b64 exec, exec, s[6:7]
	s_and_saveexec_b64 s[6:7], s[4:5]
	s_cbranch_execnz .LBB7_423
	s_branch .LBB7_424
.LBB7_2473:
	s_movk_i32 s4, 0x80
	v_cmp_eq_u16_sdwa s[12:13], v6, s4 src0_sel:BYTE_0 src1_sel:DWORD
	s_mov_b64 s[4:5], -1
                                        ; implicit-def: $sgpr10
	s_and_saveexec_b64 s[8:9], s[12:13]
; %bb.2474:
	s_mov_b32 s10, 0x7f800001
	s_xor_b64 s[4:5], exec, -1
; %bb.2475:
	s_or_b64 exec, exec, s[8:9]
	s_and_b64 s[4:5], s[4:5], exec
	s_or_saveexec_b64 s[6:7], s[6:7]
	v_mov_b32_e32 v2, s10
	s_xor_b64 exec, exec, s[6:7]
	s_cbranch_execz .LBB7_426
.LBB7_2476:
	v_mov_b32_e32 v2, 0
	v_cmp_ne_u16_sdwa s[8:9], v6, v2 src0_sel:BYTE_0 src1_sel:DWORD
	s_andn2_b64 s[4:5], s[4:5], exec
	s_and_b64 s[8:9], s[8:9], exec
	s_or_b64 s[4:5], s[4:5], s[8:9]
	s_or_b64 exec, exec, s[6:7]
	s_and_saveexec_b64 s[6:7], s[4:5]
	s_cbranch_execnz .LBB7_427
	s_branch .LBB7_428
.LBB7_2477:
	s_movk_i32 s4, 0x80
	v_cmp_eq_u16_sdwa s[12:13], v6, s4 src0_sel:BYTE_0 src1_sel:DWORD
	s_mov_b64 s[4:5], -1
                                        ; implicit-def: $sgpr10
	s_and_saveexec_b64 s[8:9], s[12:13]
; %bb.2478:
	s_mov_b32 s10, 0x7f800001
	s_xor_b64 s[4:5], exec, -1
; %bb.2479:
	s_or_b64 exec, exec, s[8:9]
	s_and_b64 s[4:5], s[4:5], exec
	s_or_saveexec_b64 s[6:7], s[6:7]
	v_mov_b32_e32 v10, s10
	s_xor_b64 exec, exec, s[6:7]
	s_cbranch_execz .LBB7_430
.LBB7_2480:
	v_mov_b32_e32 v10, 0
	v_cmp_ne_u16_sdwa s[8:9], v6, v10 src0_sel:BYTE_0 src1_sel:DWORD
	s_andn2_b64 s[4:5], s[4:5], exec
	s_and_b64 s[8:9], s[8:9], exec
	s_or_b64 s[4:5], s[4:5], s[8:9]
	s_or_b64 exec, exec, s[6:7]
	s_and_saveexec_b64 s[6:7], s[4:5]
	s_cbranch_execnz .LBB7_431
	s_branch .LBB7_432
.LBB7_2481:
	s_movk_i32 s4, 0x80
	v_cmp_eq_u16_e32 vcc, s4, v6
	s_mov_b64 s[4:5], -1
                                        ; implicit-def: $sgpr10
	s_and_saveexec_b64 s[8:9], vcc
; %bb.2482:
	s_mov_b32 s10, 0x7f800001
	s_xor_b64 s[4:5], exec, -1
; %bb.2483:
	s_or_b64 exec, exec, s[8:9]
	s_and_b64 s[4:5], s[4:5], exec
                                        ; implicit-def: $vgpr6
	s_or_saveexec_b64 s[6:7], s[6:7]
	v_mov_b32_e32 v2, s10
	s_xor_b64 exec, exec, s[6:7]
	s_cbranch_execz .LBB7_434
.LBB7_2484:
	v_cmp_ne_u16_e32 vcc, 0, v6
	s_andn2_b64 s[4:5], s[4:5], exec
	s_and_b64 s[8:9], vcc, exec
	v_mov_b32_e32 v2, 0
	s_or_b64 s[4:5], s[4:5], s[8:9]
	s_or_b64 exec, exec, s[6:7]
	s_and_saveexec_b64 s[6:7], s[4:5]
	s_cbranch_execnz .LBB7_435
	s_branch .LBB7_436
.LBB7_2485:
	s_movk_i32 s4, 0x80
	v_cmp_eq_u16_e32 vcc, s4, v6
	s_mov_b64 s[4:5], -1
                                        ; implicit-def: $sgpr10
	s_and_saveexec_b64 s[8:9], vcc
; %bb.2486:
	s_mov_b32 s10, 0x7f800001
	s_xor_b64 s[4:5], exec, -1
; %bb.2487:
	s_or_b64 exec, exec, s[8:9]
	s_and_b64 s[4:5], s[4:5], exec
                                        ; implicit-def: $vgpr6
	s_or_saveexec_b64 s[6:7], s[6:7]
	v_mov_b32_e32 v10, s10
	s_xor_b64 exec, exec, s[6:7]
	s_cbranch_execz .LBB7_438
.LBB7_2488:
	v_cmp_ne_u16_e32 vcc, 0, v6
	s_andn2_b64 s[4:5], s[4:5], exec
	s_and_b64 s[8:9], vcc, exec
	v_mov_b32_e32 v10, 0
	s_or_b64 s[4:5], s[4:5], s[8:9]
	s_or_b64 exec, exec, s[6:7]
	s_and_saveexec_b64 s[6:7], s[4:5]
	s_cbranch_execnz .LBB7_439
	s_branch .LBB7_440
.LBB7_2489:
	s_movk_i32 s4, 0x80
	v_cmp_eq_u16_sdwa s[12:13], v7, s4 src0_sel:BYTE_3 src1_sel:DWORD
	s_mov_b64 s[4:5], -1
                                        ; implicit-def: $sgpr10
	s_and_saveexec_b64 s[8:9], s[12:13]
; %bb.2490:
	s_mov_b32 s10, 0x7f800001
	s_xor_b64 s[4:5], exec, -1
; %bb.2491:
	s_or_b64 exec, exec, s[8:9]
	s_and_b64 s[4:5], s[4:5], exec
	s_or_saveexec_b64 s[6:7], s[6:7]
	v_mov_b32_e32 v2, s10
	s_xor_b64 exec, exec, s[6:7]
	s_cbranch_execz .LBB7_442
.LBB7_2492:
	v_mov_b32_e32 v2, 0
	v_cmp_ne_u16_sdwa s[8:9], v7, v2 src0_sel:BYTE_3 src1_sel:DWORD
	s_andn2_b64 s[4:5], s[4:5], exec
	s_and_b64 s[8:9], s[8:9], exec
	s_or_b64 s[4:5], s[4:5], s[8:9]
	s_or_b64 exec, exec, s[6:7]
	s_and_saveexec_b64 s[6:7], s[4:5]
	s_cbranch_execnz .LBB7_443
	s_branch .LBB7_444
.LBB7_2493:
	s_movk_i32 s4, 0x80
	v_cmp_eq_u16_sdwa s[12:13], v3, s4 src0_sel:BYTE_3 src1_sel:DWORD
	s_mov_b64 s[4:5], -1
                                        ; implicit-def: $sgpr10
	s_and_saveexec_b64 s[8:9], s[12:13]
; %bb.2494:
	s_mov_b32 s10, 0x7f800001
	s_xor_b64 s[4:5], exec, -1
; %bb.2495:
	s_or_b64 exec, exec, s[8:9]
	s_and_b64 s[4:5], s[4:5], exec
	s_or_saveexec_b64 s[6:7], s[6:7]
	v_mov_b32_e32 v6, s10
	s_xor_b64 exec, exec, s[6:7]
	s_cbranch_execz .LBB7_446
.LBB7_2496:
	v_mov_b32_e32 v6, 0
	v_cmp_ne_u16_sdwa s[8:9], v3, v6 src0_sel:BYTE_3 src1_sel:DWORD
	s_andn2_b64 s[4:5], s[4:5], exec
	s_and_b64 s[8:9], s[8:9], exec
	s_or_b64 s[4:5], s[4:5], s[8:9]
	s_or_b64 exec, exec, s[6:7]
	s_and_saveexec_b64 s[6:7], s[4:5]
	s_cbranch_execnz .LBB7_447
	s_branch .LBB7_448
.LBB7_2497:
	s_movk_i32 s4, 0x80
	v_cmp_eq_u16_sdwa s[12:13], v8, s4 src0_sel:BYTE_0 src1_sel:DWORD
	s_mov_b64 s[4:5], -1
                                        ; implicit-def: $sgpr10
	s_and_saveexec_b64 s[8:9], s[12:13]
; %bb.2498:
	s_mov_b32 s10, 0x7f800001
	s_xor_b64 s[4:5], exec, -1
; %bb.2499:
	s_or_b64 exec, exec, s[8:9]
	s_and_b64 s[4:5], s[4:5], exec
	s_or_saveexec_b64 s[6:7], s[6:7]
	v_mov_b32_e32 v2, s10
	s_xor_b64 exec, exec, s[6:7]
	s_cbranch_execz .LBB7_450
.LBB7_2500:
	v_mov_b32_e32 v2, 0
	v_cmp_ne_u16_sdwa s[8:9], v8, v2 src0_sel:BYTE_0 src1_sel:DWORD
	s_andn2_b64 s[4:5], s[4:5], exec
	s_and_b64 s[8:9], s[8:9], exec
	s_or_b64 s[4:5], s[4:5], s[8:9]
	s_or_b64 exec, exec, s[6:7]
	s_and_saveexec_b64 s[6:7], s[4:5]
	s_cbranch_execnz .LBB7_451
	s_branch .LBB7_452
.LBB7_2501:
	s_movk_i32 s4, 0x80
	v_cmp_eq_u16_sdwa s[12:13], v4, s4 src0_sel:BYTE_0 src1_sel:DWORD
	s_mov_b64 s[4:5], -1
                                        ; implicit-def: $sgpr10
	s_and_saveexec_b64 s[8:9], s[12:13]
; %bb.2502:
	s_mov_b32 s10, 0x7f800001
	s_xor_b64 s[4:5], exec, -1
; %bb.2503:
	s_or_b64 exec, exec, s[8:9]
	s_and_b64 s[4:5], s[4:5], exec
	s_or_saveexec_b64 s[6:7], s[6:7]
	v_mov_b32_e32 v3, s10
	s_xor_b64 exec, exec, s[6:7]
	s_cbranch_execz .LBB7_454
.LBB7_2504:
	v_mov_b32_e32 v3, 0
	v_cmp_ne_u16_sdwa s[8:9], v4, v3 src0_sel:BYTE_0 src1_sel:DWORD
	s_andn2_b64 s[4:5], s[4:5], exec
	s_and_b64 s[8:9], s[8:9], exec
	s_or_b64 s[4:5], s[4:5], s[8:9]
	s_or_b64 exec, exec, s[6:7]
	s_and_saveexec_b64 s[6:7], s[4:5]
	s_cbranch_execnz .LBB7_455
	s_branch .LBB7_456
.LBB7_2505:
	s_movk_i32 s4, 0x80
	v_cmp_eq_u16_sdwa s[12:13], v3, s4 src0_sel:BYTE_0 src1_sel:DWORD
	s_mov_b64 s[4:5], -1
                                        ; implicit-def: $sgpr10
	s_and_saveexec_b64 s[8:9], s[12:13]
; %bb.2506:
	s_mov_b32 s10, 0x7f800001
	s_xor_b64 s[4:5], exec, -1
; %bb.2507:
	s_or_b64 exec, exec, s[8:9]
	s_and_b64 s[4:5], s[4:5], exec
	s_or_saveexec_b64 s[6:7], s[6:7]
	v_mov_b32_e32 v2, s10
	s_xor_b64 exec, exec, s[6:7]
	s_cbranch_execz .LBB7_458
.LBB7_2508:
	v_mov_b32_e32 v2, 0
	v_cmp_ne_u16_sdwa s[8:9], v3, v2 src0_sel:BYTE_0 src1_sel:DWORD
	s_andn2_b64 s[4:5], s[4:5], exec
	s_and_b64 s[8:9], s[8:9], exec
	s_or_b64 s[4:5], s[4:5], s[8:9]
	s_or_b64 exec, exec, s[6:7]
	s_and_saveexec_b64 s[6:7], s[4:5]
	s_cbranch_execnz .LBB7_459
	s_branch .LBB7_460
.LBB7_2509:
	s_movk_i32 s4, 0x80
	v_cmp_eq_u16_sdwa s[12:13], v3, s4 src0_sel:BYTE_0 src1_sel:DWORD
	s_mov_b64 s[4:5], -1
                                        ; implicit-def: $sgpr10
	s_and_saveexec_b64 s[8:9], s[12:13]
; %bb.2510:
	s_mov_b32 s10, 0x7f800001
	s_xor_b64 s[4:5], exec, -1
; %bb.2511:
	s_or_b64 exec, exec, s[8:9]
	s_and_b64 s[4:5], s[4:5], exec
	s_or_saveexec_b64 s[6:7], s[6:7]
	v_mov_b32_e32 v6, s10
	s_xor_b64 exec, exec, s[6:7]
	s_cbranch_execz .LBB7_462
.LBB7_2512:
	v_mov_b32_e32 v6, 0
	v_cmp_ne_u16_sdwa s[8:9], v3, v6 src0_sel:BYTE_0 src1_sel:DWORD
	s_andn2_b64 s[4:5], s[4:5], exec
	s_and_b64 s[8:9], s[8:9], exec
	s_or_b64 s[4:5], s[4:5], s[8:9]
	s_or_b64 exec, exec, s[6:7]
	s_and_saveexec_b64 s[6:7], s[4:5]
	s_cbranch_execnz .LBB7_463
	s_branch .LBB7_464
.LBB7_2513:
	s_movk_i32 s4, 0x80
	v_cmp_eq_u16_e32 vcc, s4, v3
	s_mov_b64 s[4:5], -1
                                        ; implicit-def: $sgpr10
	s_and_saveexec_b64 s[8:9], vcc
; %bb.2514:
	s_mov_b32 s10, 0x7f800001
	s_xor_b64 s[4:5], exec, -1
; %bb.2515:
	s_or_b64 exec, exec, s[8:9]
	s_and_b64 s[4:5], s[4:5], exec
                                        ; implicit-def: $vgpr3
	s_or_saveexec_b64 s[6:7], s[6:7]
	v_mov_b32_e32 v2, s10
	s_xor_b64 exec, exec, s[6:7]
	s_cbranch_execz .LBB7_466
.LBB7_2516:
	v_cmp_ne_u16_e32 vcc, 0, v3
	s_andn2_b64 s[4:5], s[4:5], exec
	s_and_b64 s[8:9], vcc, exec
	v_mov_b32_e32 v2, 0
	s_or_b64 s[4:5], s[4:5], s[8:9]
	s_or_b64 exec, exec, s[6:7]
	s_and_saveexec_b64 s[6:7], s[4:5]
	s_cbranch_execnz .LBB7_467
	s_branch .LBB7_468
.LBB7_2517:
	s_movk_i32 s4, 0x80
	v_cmp_eq_u16_e32 vcc, s4, v3
	s_mov_b64 s[4:5], -1
                                        ; implicit-def: $sgpr10
	s_and_saveexec_b64 s[8:9], vcc
; %bb.2518:
	s_mov_b32 s10, 0x7f800001
	s_xor_b64 s[4:5], exec, -1
; %bb.2519:
	s_or_b64 exec, exec, s[8:9]
	s_and_b64 s[4:5], s[4:5], exec
                                        ; implicit-def: $vgpr3
	s_or_saveexec_b64 s[6:7], s[6:7]
	v_mov_b32_e32 v6, s10
	s_xor_b64 exec, exec, s[6:7]
	s_cbranch_execz .LBB7_470
.LBB7_2520:
	v_cmp_ne_u16_e32 vcc, 0, v3
	s_andn2_b64 s[4:5], s[4:5], exec
	s_and_b64 s[8:9], vcc, exec
	v_mov_b32_e32 v6, 0
	s_or_b64 s[4:5], s[4:5], s[8:9]
	s_or_b64 exec, exec, s[6:7]
	s_and_saveexec_b64 s[6:7], s[4:5]
	s_cbranch_execnz .LBB7_471
	s_branch .LBB7_472
.LBB7_2521:
	s_movk_i32 s4, 0x80
	v_cmp_eq_u16_sdwa s[12:13], v8, s4 src0_sel:BYTE_3 src1_sel:DWORD
	s_mov_b64 s[4:5], -1
                                        ; implicit-def: $sgpr10
	s_and_saveexec_b64 s[8:9], s[12:13]
; %bb.2522:
	s_mov_b32 s10, 0x7f800001
	s_xor_b64 s[4:5], exec, -1
; %bb.2523:
	s_or_b64 exec, exec, s[8:9]
	s_and_b64 s[4:5], s[4:5], exec
	s_or_saveexec_b64 s[6:7], s[6:7]
	v_mov_b32_e32 v2, s10
	s_xor_b64 exec, exec, s[6:7]
	s_cbranch_execz .LBB7_474
.LBB7_2524:
	v_mov_b32_e32 v2, 0
	v_cmp_ne_u16_sdwa s[8:9], v8, v2 src0_sel:BYTE_3 src1_sel:DWORD
	s_andn2_b64 s[4:5], s[4:5], exec
	s_and_b64 s[8:9], s[8:9], exec
	s_or_b64 s[4:5], s[4:5], s[8:9]
	s_or_b64 exec, exec, s[6:7]
	s_and_saveexec_b64 s[6:7], s[4:5]
	s_cbranch_execnz .LBB7_475
	s_branch .LBB7_476
.LBB7_2525:
	s_movk_i32 s4, 0x80
	v_cmp_eq_u16_sdwa s[12:13], v4, s4 src0_sel:BYTE_3 src1_sel:DWORD
	s_mov_b64 s[4:5], -1
                                        ; implicit-def: $sgpr10
	s_and_saveexec_b64 s[8:9], s[12:13]
; %bb.2526:
	s_mov_b32 s10, 0x7f800001
	s_xor_b64 s[4:5], exec, -1
; %bb.2527:
	s_or_b64 exec, exec, s[8:9]
	s_and_b64 s[4:5], s[4:5], exec
	s_or_saveexec_b64 s[6:7], s[6:7]
	v_mov_b32_e32 v3, s10
	s_xor_b64 exec, exec, s[6:7]
	s_cbranch_execz .LBB7_478
.LBB7_2528:
	v_mov_b32_e32 v3, 0
	v_cmp_ne_u16_sdwa s[8:9], v4, v3 src0_sel:BYTE_3 src1_sel:DWORD
	s_andn2_b64 s[4:5], s[4:5], exec
	s_and_b64 s[8:9], s[8:9], exec
	s_or_b64 s[4:5], s[4:5], s[8:9]
	s_or_b64 exec, exec, s[6:7]
	s_and_saveexec_b64 s[6:7], s[4:5]
	s_cbranch_execnz .LBB7_479
	s_branch .LBB7_480
.LBB7_2529:
	s_movk_i32 s4, 0x80
	v_cmp_eq_u16_sdwa s[12:13], v9, s4 src0_sel:BYTE_0 src1_sel:DWORD
	s_mov_b64 s[4:5], -1
                                        ; implicit-def: $sgpr10
	s_and_saveexec_b64 s[8:9], s[12:13]
; %bb.2530:
	s_mov_b32 s10, 0x7f800001
	s_xor_b64 s[4:5], exec, -1
; %bb.2531:
	s_or_b64 exec, exec, s[8:9]
	s_and_b64 s[4:5], s[4:5], exec
	s_or_saveexec_b64 s[6:7], s[6:7]
	v_mov_b32_e32 v2, s10
	s_xor_b64 exec, exec, s[6:7]
	s_cbranch_execz .LBB7_482
.LBB7_2532:
	v_mov_b32_e32 v2, 0
	v_cmp_ne_u16_sdwa s[8:9], v9, v2 src0_sel:BYTE_0 src1_sel:DWORD
	s_andn2_b64 s[4:5], s[4:5], exec
	s_and_b64 s[8:9], s[8:9], exec
	s_or_b64 s[4:5], s[4:5], s[8:9]
	s_or_b64 exec, exec, s[6:7]
	s_and_saveexec_b64 s[6:7], s[4:5]
	s_cbranch_execnz .LBB7_483
	s_branch .LBB7_484
.LBB7_2533:
	s_movk_i32 s4, 0x80
	v_cmp_eq_u16_sdwa s[12:13], v5, s4 src0_sel:BYTE_0 src1_sel:DWORD
	s_mov_b64 s[4:5], -1
                                        ; implicit-def: $sgpr10
	s_and_saveexec_b64 s[8:9], s[12:13]
; %bb.2534:
	s_mov_b32 s10, 0x7f800001
	s_xor_b64 s[4:5], exec, -1
; %bb.2535:
	s_or_b64 exec, exec, s[8:9]
	s_and_b64 s[4:5], s[4:5], exec
	s_or_saveexec_b64 s[6:7], s[6:7]
	v_mov_b32_e32 v3, s10
	s_xor_b64 exec, exec, s[6:7]
	s_cbranch_execz .LBB7_486
.LBB7_2536:
	v_mov_b32_e32 v3, 0
	v_cmp_ne_u16_sdwa s[8:9], v5, v3 src0_sel:BYTE_0 src1_sel:DWORD
	s_andn2_b64 s[4:5], s[4:5], exec
	s_and_b64 s[8:9], s[8:9], exec
	s_or_b64 s[4:5], s[4:5], s[8:9]
	s_or_b64 exec, exec, s[6:7]
	s_and_saveexec_b64 s[6:7], s[4:5]
	s_cbranch_execnz .LBB7_487
	s_branch .LBB7_488
.LBB7_2537:
	s_movk_i32 s4, 0x80
	v_cmp_eq_u16_sdwa s[12:13], v3, s4 src0_sel:BYTE_0 src1_sel:DWORD
	s_mov_b64 s[4:5], -1
                                        ; implicit-def: $sgpr10
	s_and_saveexec_b64 s[8:9], s[12:13]
; %bb.2538:
	s_mov_b32 s10, 0x7f800001
	s_xor_b64 s[4:5], exec, -1
; %bb.2539:
	s_or_b64 exec, exec, s[8:9]
	s_and_b64 s[4:5], s[4:5], exec
	s_or_saveexec_b64 s[6:7], s[6:7]
	v_mov_b32_e32 v2, s10
	s_xor_b64 exec, exec, s[6:7]
	s_cbranch_execz .LBB7_490
.LBB7_2540:
	v_mov_b32_e32 v2, 0
	v_cmp_ne_u16_sdwa s[8:9], v3, v2 src0_sel:BYTE_0 src1_sel:DWORD
	s_andn2_b64 s[4:5], s[4:5], exec
	s_and_b64 s[8:9], s[8:9], exec
	s_or_b64 s[4:5], s[4:5], s[8:9]
	s_or_b64 exec, exec, s[6:7]
	s_and_saveexec_b64 s[6:7], s[4:5]
	s_cbranch_execnz .LBB7_491
	s_branch .LBB7_492
.LBB7_2541:
	s_movk_i32 s4, 0x80
	v_cmp_eq_u16_sdwa s[12:13], v3, s4 src0_sel:BYTE_0 src1_sel:DWORD
	s_mov_b64 s[4:5], -1
                                        ; implicit-def: $sgpr10
	s_and_saveexec_b64 s[8:9], s[12:13]
; %bb.2542:
	s_mov_b32 s10, 0x7f800001
	s_xor_b64 s[4:5], exec, -1
; %bb.2543:
	s_or_b64 exec, exec, s[8:9]
	s_and_b64 s[4:5], s[4:5], exec
	s_or_saveexec_b64 s[6:7], s[6:7]
	v_mov_b32_e32 v4, s10
	s_xor_b64 exec, exec, s[6:7]
	s_cbranch_execz .LBB7_494
.LBB7_2544:
	v_mov_b32_e32 v4, 0
	v_cmp_ne_u16_sdwa s[8:9], v3, v4 src0_sel:BYTE_0 src1_sel:DWORD
	s_andn2_b64 s[4:5], s[4:5], exec
	s_and_b64 s[8:9], s[8:9], exec
	s_or_b64 s[4:5], s[4:5], s[8:9]
	s_or_b64 exec, exec, s[6:7]
	s_and_saveexec_b64 s[6:7], s[4:5]
	s_cbranch_execnz .LBB7_495
	s_branch .LBB7_496
.LBB7_2545:
	s_movk_i32 s4, 0x80
	v_cmp_eq_u16_e32 vcc, s4, v3
	s_mov_b64 s[4:5], -1
                                        ; implicit-def: $sgpr10
	s_and_saveexec_b64 s[8:9], vcc
; %bb.2546:
	s_mov_b32 s10, 0x7f800001
	s_xor_b64 s[4:5], exec, -1
; %bb.2547:
	s_or_b64 exec, exec, s[8:9]
	s_and_b64 s[4:5], s[4:5], exec
                                        ; implicit-def: $vgpr3
	s_or_saveexec_b64 s[6:7], s[6:7]
	v_mov_b32_e32 v2, s10
	s_xor_b64 exec, exec, s[6:7]
	s_cbranch_execz .LBB7_498
.LBB7_2548:
	v_cmp_ne_u16_e32 vcc, 0, v3
	s_andn2_b64 s[4:5], s[4:5], exec
	s_and_b64 s[8:9], vcc, exec
	v_mov_b32_e32 v2, 0
	s_or_b64 s[4:5], s[4:5], s[8:9]
	s_or_b64 exec, exec, s[6:7]
	s_and_saveexec_b64 s[6:7], s[4:5]
	s_cbranch_execnz .LBB7_499
	s_branch .LBB7_500
.LBB7_2549:
	s_movk_i32 s4, 0x80
	v_cmp_eq_u16_e32 vcc, s4, v3
	s_mov_b64 s[4:5], -1
                                        ; implicit-def: $sgpr10
	s_and_saveexec_b64 s[8:9], vcc
; %bb.2550:
	s_mov_b32 s10, 0x7f800001
	s_xor_b64 s[4:5], exec, -1
; %bb.2551:
	s_or_b64 exec, exec, s[8:9]
	s_and_b64 s[4:5], s[4:5], exec
                                        ; implicit-def: $vgpr3
	s_or_saveexec_b64 s[6:7], s[6:7]
	v_mov_b32_e32 v4, s10
	s_xor_b64 exec, exec, s[6:7]
	s_cbranch_execz .LBB7_502
.LBB7_2552:
	v_cmp_ne_u16_e32 vcc, 0, v3
	s_andn2_b64 s[4:5], s[4:5], exec
	s_and_b64 s[8:9], vcc, exec
	v_mov_b32_e32 v4, 0
	s_or_b64 s[4:5], s[4:5], s[8:9]
	s_or_b64 exec, exec, s[6:7]
	s_and_saveexec_b64 s[6:7], s[4:5]
	s_cbranch_execnz .LBB7_503
	s_branch .LBB7_504
.LBB7_2553:
	s_movk_i32 s4, 0x80
	v_cmp_eq_u16_sdwa s[12:13], v9, s4 src0_sel:BYTE_3 src1_sel:DWORD
	s_mov_b64 s[4:5], -1
                                        ; implicit-def: $sgpr10
	s_and_saveexec_b64 s[8:9], s[12:13]
; %bb.2554:
	s_mov_b32 s10, 0x7f800001
	s_xor_b64 s[4:5], exec, -1
; %bb.2555:
	s_or_b64 exec, exec, s[8:9]
	s_and_b64 s[4:5], s[4:5], exec
	s_or_saveexec_b64 s[6:7], s[6:7]
	v_mov_b32_e32 v2, s10
	s_xor_b64 exec, exec, s[6:7]
	s_cbranch_execz .LBB7_506
.LBB7_2556:
	v_mov_b32_e32 v2, 0
	v_cmp_ne_u16_sdwa s[8:9], v9, v2 src0_sel:BYTE_3 src1_sel:DWORD
	s_andn2_b64 s[4:5], s[4:5], exec
	s_and_b64 s[8:9], s[8:9], exec
	s_or_b64 s[4:5], s[4:5], s[8:9]
	s_or_b64 exec, exec, s[6:7]
	s_and_saveexec_b64 s[6:7], s[4:5]
	s_cbranch_execnz .LBB7_507
	s_branch .LBB7_508
.LBB7_2557:
	s_movk_i32 s4, 0x80
	v_cmp_eq_u16_sdwa s[12:13], v5, s4 src0_sel:BYTE_3 src1_sel:DWORD
	s_mov_b64 s[4:5], -1
                                        ; implicit-def: $sgpr10
	s_and_saveexec_b64 s[8:9], s[12:13]
; %bb.2558:
	s_mov_b32 s10, 0x7f800001
	s_xor_b64 s[4:5], exec, -1
; %bb.2559:
	s_or_b64 exec, exec, s[8:9]
	s_and_b64 s[4:5], s[4:5], exec
	s_or_saveexec_b64 s[6:7], s[6:7]
	v_mov_b32_e32 v3, s10
	s_xor_b64 exec, exec, s[6:7]
	s_cbranch_execz .LBB7_510
.LBB7_2560:
	v_mov_b32_e32 v3, 0
	v_cmp_ne_u16_sdwa s[8:9], v5, v3 src0_sel:BYTE_3 src1_sel:DWORD
	s_andn2_b64 s[4:5], s[4:5], exec
	s_and_b64 s[8:9], s[8:9], exec
	s_or_b64 s[4:5], s[4:5], s[8:9]
	s_or_b64 exec, exec, s[6:7]
	s_and_saveexec_b64 s[6:7], s[4:5]
	s_cbranch_execnz .LBB7_511
	s_branch .LBB7_512
.LBB7_2561:
	s_movk_i32 s4, 0x80
	v_cmp_eq_u16_sdwa s[12:13], v14, s4 src0_sel:BYTE_0 src1_sel:DWORD
	s_mov_b64 s[4:5], -1
                                        ; implicit-def: $sgpr10
	s_and_saveexec_b64 s[8:9], s[12:13]
; %bb.2562:
	s_mov_b32 s10, 0x7f800001
	s_xor_b64 s[4:5], exec, -1
; %bb.2563:
	s_or_b64 exec, exec, s[8:9]
	s_and_b64 s[4:5], s[4:5], exec
	s_or_saveexec_b64 s[6:7], s[6:7]
	v_mov_b32_e32 v20, s10
	s_xor_b64 exec, exec, s[6:7]
	s_cbranch_execz .LBB7_514
.LBB7_2564:
	v_mov_b32_e32 v20, 0
	v_cmp_ne_u16_sdwa s[8:9], v14, v20 src0_sel:BYTE_0 src1_sel:DWORD
	s_andn2_b64 s[4:5], s[4:5], exec
	s_and_b64 s[8:9], s[8:9], exec
	s_or_b64 s[4:5], s[4:5], s[8:9]
	s_or_b64 exec, exec, s[6:7]
	s_and_saveexec_b64 s[6:7], s[4:5]
	s_cbranch_execnz .LBB7_515
	s_branch .LBB7_516
.LBB7_2565:
	s_movk_i32 s4, 0x80
	v_cmp_eq_u16_sdwa s[12:13], v10, s4 src0_sel:BYTE_0 src1_sel:DWORD
	s_mov_b64 s[4:5], -1
                                        ; implicit-def: $sgpr10
	s_and_saveexec_b64 s[8:9], s[12:13]
; %bb.2566:
	s_mov_b32 s10, 0x7f800001
	s_xor_b64 s[4:5], exec, -1
; %bb.2567:
	s_or_b64 exec, exec, s[8:9]
	s_and_b64 s[4:5], s[4:5], exec
	s_or_saveexec_b64 s[6:7], s[6:7]
	v_mov_b32_e32 v21, s10
	s_xor_b64 exec, exec, s[6:7]
	s_cbranch_execz .LBB7_518
.LBB7_2568:
	v_mov_b32_e32 v21, 0
	v_cmp_ne_u16_sdwa s[8:9], v10, v21 src0_sel:BYTE_0 src1_sel:DWORD
	s_andn2_b64 s[4:5], s[4:5], exec
	s_and_b64 s[8:9], s[8:9], exec
	s_or_b64 s[4:5], s[4:5], s[8:9]
	s_or_b64 exec, exec, s[6:7]
	s_and_saveexec_b64 s[6:7], s[4:5]
	s_cbranch_execnz .LBB7_519
	s_branch .LBB7_520
.LBB7_2569:
	s_movk_i32 s4, 0x80
	v_cmp_eq_u16_sdwa s[12:13], v21, s4 src0_sel:BYTE_0 src1_sel:DWORD
	s_mov_b64 s[4:5], -1
                                        ; implicit-def: $sgpr10
	s_and_saveexec_b64 s[8:9], s[12:13]
; %bb.2570:
	s_mov_b32 s10, 0x7f800001
	s_xor_b64 s[4:5], exec, -1
; %bb.2571:
	s_or_b64 exec, exec, s[8:9]
	s_and_b64 s[4:5], s[4:5], exec
	s_or_saveexec_b64 s[6:7], s[6:7]
	v_mov_b32_e32 v20, s10
	s_xor_b64 exec, exec, s[6:7]
	s_cbranch_execz .LBB7_522
.LBB7_2572:
	v_mov_b32_e32 v20, 0
	v_cmp_ne_u16_sdwa s[8:9], v21, v20 src0_sel:BYTE_0 src1_sel:DWORD
	s_andn2_b64 s[4:5], s[4:5], exec
	s_and_b64 s[8:9], s[8:9], exec
	s_or_b64 s[4:5], s[4:5], s[8:9]
	s_or_b64 exec, exec, s[6:7]
	s_and_saveexec_b64 s[6:7], s[4:5]
	s_cbranch_execnz .LBB7_523
	s_branch .LBB7_524
.LBB7_2573:
	s_movk_i32 s4, 0x80
	v_cmp_eq_u16_sdwa s[12:13], v21, s4 src0_sel:BYTE_0 src1_sel:DWORD
	s_mov_b64 s[4:5], -1
                                        ; implicit-def: $sgpr10
	s_and_saveexec_b64 s[8:9], s[12:13]
; %bb.2574:
	s_mov_b32 s10, 0x7f800001
	s_xor_b64 s[4:5], exec, -1
; %bb.2575:
	s_or_b64 exec, exec, s[8:9]
	s_and_b64 s[4:5], s[4:5], exec
	s_or_saveexec_b64 s[6:7], s[6:7]
	v_mov_b32_e32 v22, s10
	s_xor_b64 exec, exec, s[6:7]
	s_cbranch_execz .LBB7_526
.LBB7_2576:
	v_mov_b32_e32 v22, 0
	v_cmp_ne_u16_sdwa s[8:9], v21, v22 src0_sel:BYTE_0 src1_sel:DWORD
	s_andn2_b64 s[4:5], s[4:5], exec
	s_and_b64 s[8:9], s[8:9], exec
	s_or_b64 s[4:5], s[4:5], s[8:9]
	s_or_b64 exec, exec, s[6:7]
	s_and_saveexec_b64 s[6:7], s[4:5]
	s_cbranch_execnz .LBB7_527
	s_branch .LBB7_528
.LBB7_2577:
	s_movk_i32 s4, 0x80
	v_cmp_eq_u16_e32 vcc, s4, v21
	s_mov_b64 s[4:5], -1
                                        ; implicit-def: $sgpr10
	s_and_saveexec_b64 s[8:9], vcc
; %bb.2578:
	s_mov_b32 s10, 0x7f800001
	s_xor_b64 s[4:5], exec, -1
; %bb.2579:
	s_or_b64 exec, exec, s[8:9]
	s_and_b64 s[4:5], s[4:5], exec
                                        ; implicit-def: $vgpr21
	s_or_saveexec_b64 s[6:7], s[6:7]
	v_mov_b32_e32 v20, s10
	s_xor_b64 exec, exec, s[6:7]
	s_cbranch_execz .LBB7_530
.LBB7_2580:
	v_cmp_ne_u16_e32 vcc, 0, v21
	s_andn2_b64 s[4:5], s[4:5], exec
	s_and_b64 s[8:9], vcc, exec
	v_mov_b32_e32 v20, 0
	s_or_b64 s[4:5], s[4:5], s[8:9]
	s_or_b64 exec, exec, s[6:7]
	s_and_saveexec_b64 s[6:7], s[4:5]
	s_cbranch_execnz .LBB7_531
	s_branch .LBB7_532
.LBB7_2581:
	s_movk_i32 s4, 0x80
	v_cmp_eq_u16_e32 vcc, s4, v21
	s_mov_b64 s[4:5], -1
                                        ; implicit-def: $sgpr10
	s_and_saveexec_b64 s[8:9], vcc
; %bb.2582:
	s_mov_b32 s10, 0x7f800001
	s_xor_b64 s[4:5], exec, -1
; %bb.2583:
	s_or_b64 exec, exec, s[8:9]
	s_and_b64 s[4:5], s[4:5], exec
                                        ; implicit-def: $vgpr21
	s_or_saveexec_b64 s[6:7], s[6:7]
	v_mov_b32_e32 v22, s10
	s_xor_b64 exec, exec, s[6:7]
	s_cbranch_execz .LBB7_534
.LBB7_2584:
	v_cmp_ne_u16_e32 vcc, 0, v21
	s_andn2_b64 s[4:5], s[4:5], exec
	s_and_b64 s[8:9], vcc, exec
	v_mov_b32_e32 v22, 0
	s_or_b64 s[4:5], s[4:5], s[8:9]
	s_or_b64 exec, exec, s[6:7]
	s_and_saveexec_b64 s[6:7], s[4:5]
	s_cbranch_execnz .LBB7_535
	s_branch .LBB7_536
.LBB7_2585:
	s_movk_i32 s4, 0x80
	v_cmp_eq_u16_sdwa s[12:13], v14, s4 src0_sel:BYTE_3 src1_sel:DWORD
	s_mov_b64 s[4:5], -1
                                        ; implicit-def: $sgpr10
	s_and_saveexec_b64 s[8:9], s[12:13]
; %bb.2586:
	s_mov_b32 s10, 0x7f800001
	s_xor_b64 s[4:5], exec, -1
; %bb.2587:
	s_or_b64 exec, exec, s[8:9]
	s_and_b64 s[4:5], s[4:5], exec
	s_or_saveexec_b64 s[6:7], s[6:7]
	v_mov_b32_e32 v20, s10
	s_xor_b64 exec, exec, s[6:7]
	s_cbranch_execz .LBB7_538
.LBB7_2588:
	v_mov_b32_e32 v20, 0
	v_cmp_ne_u16_sdwa s[8:9], v14, v20 src0_sel:BYTE_3 src1_sel:DWORD
	s_andn2_b64 s[4:5], s[4:5], exec
	s_and_b64 s[8:9], s[8:9], exec
	s_or_b64 s[4:5], s[4:5], s[8:9]
	s_or_b64 exec, exec, s[6:7]
	s_and_saveexec_b64 s[6:7], s[4:5]
	s_cbranch_execnz .LBB7_539
	s_branch .LBB7_540
.LBB7_2589:
	s_movk_i32 s4, 0x80
	v_cmp_eq_u16_sdwa s[12:13], v10, s4 src0_sel:BYTE_3 src1_sel:DWORD
	s_mov_b64 s[4:5], -1
                                        ; implicit-def: $sgpr10
	s_and_saveexec_b64 s[8:9], s[12:13]
; %bb.2590:
	s_mov_b32 s10, 0x7f800001
	s_xor_b64 s[4:5], exec, -1
; %bb.2591:
	s_or_b64 exec, exec, s[8:9]
	s_and_b64 s[4:5], s[4:5], exec
	s_or_saveexec_b64 s[6:7], s[6:7]
	v_mov_b32_e32 v14, s10
	s_xor_b64 exec, exec, s[6:7]
	s_cbranch_execz .LBB7_542
.LBB7_2592:
	v_mov_b32_e32 v14, 0
	v_cmp_ne_u16_sdwa s[8:9], v10, v14 src0_sel:BYTE_3 src1_sel:DWORD
	s_andn2_b64 s[4:5], s[4:5], exec
	s_and_b64 s[8:9], s[8:9], exec
	s_or_b64 s[4:5], s[4:5], s[8:9]
	s_or_b64 exec, exec, s[6:7]
	s_and_saveexec_b64 s[6:7], s[4:5]
	s_cbranch_execnz .LBB7_543
	s_branch .LBB7_544
.LBB7_2593:
	s_movk_i32 s4, 0x80
	v_cmp_eq_u16_sdwa s[12:13], v15, s4 src0_sel:BYTE_0 src1_sel:DWORD
	s_mov_b64 s[4:5], -1
                                        ; implicit-def: $sgpr10
	s_and_saveexec_b64 s[8:9], s[12:13]
; %bb.2594:
	s_mov_b32 s10, 0x7f800001
	s_xor_b64 s[4:5], exec, -1
; %bb.2595:
	s_or_b64 exec, exec, s[8:9]
	s_and_b64 s[4:5], s[4:5], exec
	s_or_saveexec_b64 s[6:7], s[6:7]
	v_mov_b32_e32 v10, s10
	s_xor_b64 exec, exec, s[6:7]
	s_cbranch_execz .LBB7_546
.LBB7_2596:
	v_mov_b32_e32 v10, 0
	v_cmp_ne_u16_sdwa s[8:9], v15, v10 src0_sel:BYTE_0 src1_sel:DWORD
	s_andn2_b64 s[4:5], s[4:5], exec
	s_and_b64 s[8:9], s[8:9], exec
	s_or_b64 s[4:5], s[4:5], s[8:9]
	s_or_b64 exec, exec, s[6:7]
	s_and_saveexec_b64 s[6:7], s[4:5]
	s_cbranch_execnz .LBB7_547
	s_branch .LBB7_548
.LBB7_2597:
	s_movk_i32 s4, 0x80
	v_cmp_eq_u16_sdwa s[12:13], v11, s4 src0_sel:BYTE_0 src1_sel:DWORD
	s_mov_b64 s[4:5], -1
                                        ; implicit-def: $sgpr10
	s_and_saveexec_b64 s[8:9], s[12:13]
; %bb.2598:
	s_mov_b32 s10, 0x7f800001
	s_xor_b64 s[4:5], exec, -1
; %bb.2599:
	s_or_b64 exec, exec, s[8:9]
	s_and_b64 s[4:5], s[4:5], exec
	s_or_saveexec_b64 s[6:7], s[6:7]
	v_mov_b32_e32 v14, s10
	s_xor_b64 exec, exec, s[6:7]
	s_cbranch_execz .LBB7_550
.LBB7_2600:
	v_mov_b32_e32 v14, 0
	v_cmp_ne_u16_sdwa s[8:9], v11, v14 src0_sel:BYTE_0 src1_sel:DWORD
	s_andn2_b64 s[4:5], s[4:5], exec
	s_and_b64 s[8:9], s[8:9], exec
	s_or_b64 s[4:5], s[4:5], s[8:9]
	s_or_b64 exec, exec, s[6:7]
	s_and_saveexec_b64 s[6:7], s[4:5]
	s_cbranch_execnz .LBB7_551
	s_branch .LBB7_552
.LBB7_2601:
	s_movk_i32 s4, 0x80
	v_cmp_eq_u16_sdwa s[12:13], v14, s4 src0_sel:BYTE_0 src1_sel:DWORD
	s_mov_b64 s[4:5], -1
                                        ; implicit-def: $sgpr10
	s_and_saveexec_b64 s[8:9], s[12:13]
; %bb.2602:
	s_mov_b32 s10, 0x7f800001
	s_xor_b64 s[4:5], exec, -1
; %bb.2603:
	s_or_b64 exec, exec, s[8:9]
	s_and_b64 s[4:5], s[4:5], exec
	s_or_saveexec_b64 s[6:7], s[6:7]
	v_mov_b32_e32 v10, s10
	s_xor_b64 exec, exec, s[6:7]
	s_cbranch_execz .LBB7_554
.LBB7_2604:
	v_mov_b32_e32 v10, 0
	v_cmp_ne_u16_sdwa s[8:9], v14, v10 src0_sel:BYTE_0 src1_sel:DWORD
	s_andn2_b64 s[4:5], s[4:5], exec
	s_and_b64 s[8:9], s[8:9], exec
	s_or_b64 s[4:5], s[4:5], s[8:9]
	s_or_b64 exec, exec, s[6:7]
	s_and_saveexec_b64 s[6:7], s[4:5]
	s_cbranch_execnz .LBB7_555
	s_branch .LBB7_556
.LBB7_2605:
	s_movk_i32 s4, 0x80
	v_cmp_eq_u16_sdwa s[12:13], v14, s4 src0_sel:BYTE_0 src1_sel:DWORD
	s_mov_b64 s[4:5], -1
                                        ; implicit-def: $sgpr10
	s_and_saveexec_b64 s[8:9], s[12:13]
; %bb.2606:
	s_mov_b32 s10, 0x7f800001
	s_xor_b64 s[4:5], exec, -1
; %bb.2607:
	s_or_b64 exec, exec, s[8:9]
	s_and_b64 s[4:5], s[4:5], exec
	s_or_saveexec_b64 s[6:7], s[6:7]
	v_mov_b32_e32 v20, s10
	s_xor_b64 exec, exec, s[6:7]
	s_cbranch_execz .LBB7_558
.LBB7_2608:
	v_mov_b32_e32 v20, 0
	v_cmp_ne_u16_sdwa s[8:9], v14, v20 src0_sel:BYTE_0 src1_sel:DWORD
	s_andn2_b64 s[4:5], s[4:5], exec
	s_and_b64 s[8:9], s[8:9], exec
	s_or_b64 s[4:5], s[4:5], s[8:9]
	s_or_b64 exec, exec, s[6:7]
	s_and_saveexec_b64 s[6:7], s[4:5]
	s_cbranch_execnz .LBB7_559
	s_branch .LBB7_560
.LBB7_2609:
	s_movk_i32 s4, 0x80
	v_cmp_eq_u16_e32 vcc, s4, v14
	s_mov_b64 s[4:5], -1
                                        ; implicit-def: $sgpr10
	s_and_saveexec_b64 s[8:9], vcc
; %bb.2610:
	s_mov_b32 s10, 0x7f800001
	s_xor_b64 s[4:5], exec, -1
; %bb.2611:
	s_or_b64 exec, exec, s[8:9]
	s_and_b64 s[4:5], s[4:5], exec
                                        ; implicit-def: $vgpr14
	s_or_saveexec_b64 s[6:7], s[6:7]
	v_mov_b32_e32 v10, s10
	s_xor_b64 exec, exec, s[6:7]
	s_cbranch_execz .LBB7_562
.LBB7_2612:
	v_cmp_ne_u16_e32 vcc, 0, v14
	s_andn2_b64 s[4:5], s[4:5], exec
	s_and_b64 s[8:9], vcc, exec
	v_mov_b32_e32 v10, 0
	s_or_b64 s[4:5], s[4:5], s[8:9]
	s_or_b64 exec, exec, s[6:7]
	s_and_saveexec_b64 s[6:7], s[4:5]
	s_cbranch_execnz .LBB7_563
	s_branch .LBB7_564
.LBB7_2613:
	s_movk_i32 s4, 0x80
	v_cmp_eq_u16_e32 vcc, s4, v14
	s_mov_b64 s[4:5], -1
                                        ; implicit-def: $sgpr10
	s_and_saveexec_b64 s[8:9], vcc
; %bb.2614:
	s_mov_b32 s10, 0x7f800001
	s_xor_b64 s[4:5], exec, -1
; %bb.2615:
	s_or_b64 exec, exec, s[8:9]
	s_and_b64 s[4:5], s[4:5], exec
                                        ; implicit-def: $vgpr14
	s_or_saveexec_b64 s[6:7], s[6:7]
	v_mov_b32_e32 v20, s10
	s_xor_b64 exec, exec, s[6:7]
	s_cbranch_execz .LBB7_566
.LBB7_2616:
	v_cmp_ne_u16_e32 vcc, 0, v14
	s_andn2_b64 s[4:5], s[4:5], exec
	s_and_b64 s[8:9], vcc, exec
	v_mov_b32_e32 v20, 0
	s_or_b64 s[4:5], s[4:5], s[8:9]
	s_or_b64 exec, exec, s[6:7]
	s_and_saveexec_b64 s[6:7], s[4:5]
	s_cbranch_execnz .LBB7_567
	s_branch .LBB7_568
.LBB7_2617:
	s_movk_i32 s4, 0x80
	v_cmp_eq_u16_sdwa s[12:13], v15, s4 src0_sel:BYTE_3 src1_sel:DWORD
	s_mov_b64 s[4:5], -1
                                        ; implicit-def: $sgpr10
	s_and_saveexec_b64 s[8:9], s[12:13]
; %bb.2618:
	s_mov_b32 s10, 0x7f800001
	s_xor_b64 s[4:5], exec, -1
; %bb.2619:
	s_or_b64 exec, exec, s[8:9]
	s_and_b64 s[4:5], s[4:5], exec
	s_or_saveexec_b64 s[6:7], s[6:7]
	v_mov_b32_e32 v10, s10
	s_xor_b64 exec, exec, s[6:7]
	s_cbranch_execz .LBB7_570
.LBB7_2620:
	v_mov_b32_e32 v10, 0
	v_cmp_ne_u16_sdwa s[8:9], v15, v10 src0_sel:BYTE_3 src1_sel:DWORD
	s_andn2_b64 s[4:5], s[4:5], exec
	s_and_b64 s[8:9], s[8:9], exec
	s_or_b64 s[4:5], s[4:5], s[8:9]
	s_or_b64 exec, exec, s[6:7]
	s_and_saveexec_b64 s[6:7], s[4:5]
	s_cbranch_execnz .LBB7_571
	s_branch .LBB7_572
.LBB7_2621:
	s_movk_i32 s4, 0x80
	v_cmp_eq_u16_sdwa s[12:13], v11, s4 src0_sel:BYTE_3 src1_sel:DWORD
	s_mov_b64 s[4:5], -1
                                        ; implicit-def: $sgpr10
	s_and_saveexec_b64 s[8:9], s[12:13]
; %bb.2622:
	s_mov_b32 s10, 0x7f800001
	s_xor_b64 s[4:5], exec, -1
; %bb.2623:
	s_or_b64 exec, exec, s[8:9]
	s_and_b64 s[4:5], s[4:5], exec
	s_or_saveexec_b64 s[6:7], s[6:7]
	v_mov_b32_e32 v14, s10
	s_xor_b64 exec, exec, s[6:7]
	s_cbranch_execz .LBB7_574
.LBB7_2624:
	v_mov_b32_e32 v14, 0
	v_cmp_ne_u16_sdwa s[8:9], v11, v14 src0_sel:BYTE_3 src1_sel:DWORD
	s_andn2_b64 s[4:5], s[4:5], exec
	s_and_b64 s[8:9], s[8:9], exec
	s_or_b64 s[4:5], s[4:5], s[8:9]
	s_or_b64 exec, exec, s[6:7]
	s_and_saveexec_b64 s[6:7], s[4:5]
	s_cbranch_execnz .LBB7_575
	s_branch .LBB7_576
.LBB7_2625:
	s_movk_i32 s4, 0x80
	v_cmp_eq_u16_sdwa s[12:13], v16, s4 src0_sel:BYTE_0 src1_sel:DWORD
	s_mov_b64 s[4:5], -1
                                        ; implicit-def: $sgpr10
	s_and_saveexec_b64 s[8:9], s[12:13]
; %bb.2626:
	s_mov_b32 s10, 0x7f800001
	s_xor_b64 s[4:5], exec, -1
; %bb.2627:
	s_or_b64 exec, exec, s[8:9]
	s_and_b64 s[4:5], s[4:5], exec
	s_or_saveexec_b64 s[6:7], s[6:7]
	v_mov_b32_e32 v10, s10
	s_xor_b64 exec, exec, s[6:7]
	s_cbranch_execz .LBB7_578
.LBB7_2628:
	v_mov_b32_e32 v10, 0
	v_cmp_ne_u16_sdwa s[8:9], v16, v10 src0_sel:BYTE_0 src1_sel:DWORD
	s_andn2_b64 s[4:5], s[4:5], exec
	s_and_b64 s[8:9], s[8:9], exec
	s_or_b64 s[4:5], s[4:5], s[8:9]
	s_or_b64 exec, exec, s[6:7]
	s_and_saveexec_b64 s[6:7], s[4:5]
	s_cbranch_execnz .LBB7_579
	s_branch .LBB7_580
.LBB7_2629:
	s_movk_i32 s4, 0x80
	v_cmp_eq_u16_sdwa s[12:13], v12, s4 src0_sel:BYTE_0 src1_sel:DWORD
	s_mov_b64 s[4:5], -1
                                        ; implicit-def: $sgpr10
	s_and_saveexec_b64 s[8:9], s[12:13]
; %bb.2630:
	s_mov_b32 s10, 0x7f800001
	s_xor_b64 s[4:5], exec, -1
; %bb.2631:
	s_or_b64 exec, exec, s[8:9]
	s_and_b64 s[4:5], s[4:5], exec
	s_or_saveexec_b64 s[6:7], s[6:7]
	v_mov_b32_e32 v11, s10
	s_xor_b64 exec, exec, s[6:7]
	s_cbranch_execz .LBB7_582
.LBB7_2632:
	v_mov_b32_e32 v11, 0
	v_cmp_ne_u16_sdwa s[8:9], v12, v11 src0_sel:BYTE_0 src1_sel:DWORD
	s_andn2_b64 s[4:5], s[4:5], exec
	s_and_b64 s[8:9], s[8:9], exec
	s_or_b64 s[4:5], s[4:5], s[8:9]
	s_or_b64 exec, exec, s[6:7]
	s_and_saveexec_b64 s[6:7], s[4:5]
	s_cbranch_execnz .LBB7_583
	s_branch .LBB7_584
.LBB7_2633:
	s_movk_i32 s4, 0x80
	v_cmp_eq_u16_sdwa s[12:13], v11, s4 src0_sel:BYTE_0 src1_sel:DWORD
	s_mov_b64 s[4:5], -1
                                        ; implicit-def: $sgpr10
	s_and_saveexec_b64 s[8:9], s[12:13]
; %bb.2634:
	s_mov_b32 s10, 0x7f800001
	s_xor_b64 s[4:5], exec, -1
; %bb.2635:
	s_or_b64 exec, exec, s[8:9]
	s_and_b64 s[4:5], s[4:5], exec
	s_or_saveexec_b64 s[6:7], s[6:7]
	v_mov_b32_e32 v10, s10
	s_xor_b64 exec, exec, s[6:7]
	s_cbranch_execz .LBB7_586
.LBB7_2636:
	v_mov_b32_e32 v10, 0
	v_cmp_ne_u16_sdwa s[8:9], v11, v10 src0_sel:BYTE_0 src1_sel:DWORD
	s_andn2_b64 s[4:5], s[4:5], exec
	s_and_b64 s[8:9], s[8:9], exec
	s_or_b64 s[4:5], s[4:5], s[8:9]
	s_or_b64 exec, exec, s[6:7]
	s_and_saveexec_b64 s[6:7], s[4:5]
	s_cbranch_execnz .LBB7_587
	s_branch .LBB7_588
.LBB7_2637:
	s_movk_i32 s4, 0x80
	v_cmp_eq_u16_sdwa s[12:13], v11, s4 src0_sel:BYTE_0 src1_sel:DWORD
	s_mov_b64 s[4:5], -1
                                        ; implicit-def: $sgpr10
	s_and_saveexec_b64 s[8:9], s[12:13]
; %bb.2638:
	s_mov_b32 s10, 0x7f800001
	s_xor_b64 s[4:5], exec, -1
; %bb.2639:
	s_or_b64 exec, exec, s[8:9]
	s_and_b64 s[4:5], s[4:5], exec
	s_or_saveexec_b64 s[6:7], s[6:7]
	v_mov_b32_e32 v14, s10
	s_xor_b64 exec, exec, s[6:7]
	s_cbranch_execz .LBB7_590
.LBB7_2640:
	v_mov_b32_e32 v14, 0
	v_cmp_ne_u16_sdwa s[8:9], v11, v14 src0_sel:BYTE_0 src1_sel:DWORD
	s_andn2_b64 s[4:5], s[4:5], exec
	s_and_b64 s[8:9], s[8:9], exec
	s_or_b64 s[4:5], s[4:5], s[8:9]
	s_or_b64 exec, exec, s[6:7]
	s_and_saveexec_b64 s[6:7], s[4:5]
	s_cbranch_execnz .LBB7_591
	s_branch .LBB7_592
.LBB7_2641:
	s_movk_i32 s4, 0x80
	v_cmp_eq_u16_e32 vcc, s4, v11
	s_mov_b64 s[4:5], -1
                                        ; implicit-def: $sgpr10
	s_and_saveexec_b64 s[8:9], vcc
; %bb.2642:
	s_mov_b32 s10, 0x7f800001
	s_xor_b64 s[4:5], exec, -1
; %bb.2643:
	s_or_b64 exec, exec, s[8:9]
	s_and_b64 s[4:5], s[4:5], exec
                                        ; implicit-def: $vgpr11
	s_or_saveexec_b64 s[6:7], s[6:7]
	v_mov_b32_e32 v10, s10
	s_xor_b64 exec, exec, s[6:7]
	s_cbranch_execz .LBB7_594
.LBB7_2644:
	v_cmp_ne_u16_e32 vcc, 0, v11
	s_andn2_b64 s[4:5], s[4:5], exec
	s_and_b64 s[8:9], vcc, exec
	v_mov_b32_e32 v10, 0
	s_or_b64 s[4:5], s[4:5], s[8:9]
	s_or_b64 exec, exec, s[6:7]
	s_and_saveexec_b64 s[6:7], s[4:5]
	s_cbranch_execnz .LBB7_595
	s_branch .LBB7_596
.LBB7_2645:
	s_movk_i32 s4, 0x80
	v_cmp_eq_u16_e32 vcc, s4, v11
	s_mov_b64 s[4:5], -1
                                        ; implicit-def: $sgpr10
	s_and_saveexec_b64 s[8:9], vcc
; %bb.2646:
	s_mov_b32 s10, 0x7f800001
	s_xor_b64 s[4:5], exec, -1
; %bb.2647:
	s_or_b64 exec, exec, s[8:9]
	s_and_b64 s[4:5], s[4:5], exec
                                        ; implicit-def: $vgpr11
	s_or_saveexec_b64 s[6:7], s[6:7]
	v_mov_b32_e32 v14, s10
	s_xor_b64 exec, exec, s[6:7]
	s_cbranch_execz .LBB7_598
.LBB7_2648:
	v_cmp_ne_u16_e32 vcc, 0, v11
	s_andn2_b64 s[4:5], s[4:5], exec
	s_and_b64 s[8:9], vcc, exec
	v_mov_b32_e32 v14, 0
	s_or_b64 s[4:5], s[4:5], s[8:9]
	s_or_b64 exec, exec, s[6:7]
	s_and_saveexec_b64 s[6:7], s[4:5]
	s_cbranch_execnz .LBB7_599
	s_branch .LBB7_600
.LBB7_2649:
	s_movk_i32 s4, 0x80
	v_cmp_eq_u16_sdwa s[12:13], v16, s4 src0_sel:BYTE_3 src1_sel:DWORD
	s_mov_b64 s[4:5], -1
                                        ; implicit-def: $sgpr10
	s_and_saveexec_b64 s[8:9], s[12:13]
; %bb.2650:
	s_mov_b32 s10, 0x7f800001
	s_xor_b64 s[4:5], exec, -1
; %bb.2651:
	s_or_b64 exec, exec, s[8:9]
	s_and_b64 s[4:5], s[4:5], exec
	s_or_saveexec_b64 s[6:7], s[6:7]
	v_mov_b32_e32 v10, s10
	s_xor_b64 exec, exec, s[6:7]
	s_cbranch_execz .LBB7_602
.LBB7_2652:
	v_mov_b32_e32 v10, 0
	v_cmp_ne_u16_sdwa s[8:9], v16, v10 src0_sel:BYTE_3 src1_sel:DWORD
	s_andn2_b64 s[4:5], s[4:5], exec
	s_and_b64 s[8:9], s[8:9], exec
	s_or_b64 s[4:5], s[4:5], s[8:9]
	s_or_b64 exec, exec, s[6:7]
	s_and_saveexec_b64 s[6:7], s[4:5]
	s_cbranch_execnz .LBB7_603
	s_branch .LBB7_604
.LBB7_2653:
	s_movk_i32 s4, 0x80
	v_cmp_eq_u16_sdwa s[12:13], v12, s4 src0_sel:BYTE_3 src1_sel:DWORD
	s_mov_b64 s[4:5], -1
                                        ; implicit-def: $sgpr10
	s_and_saveexec_b64 s[8:9], s[12:13]
; %bb.2654:
	s_mov_b32 s10, 0x7f800001
	s_xor_b64 s[4:5], exec, -1
; %bb.2655:
	s_or_b64 exec, exec, s[8:9]
	s_and_b64 s[4:5], s[4:5], exec
	s_or_saveexec_b64 s[6:7], s[6:7]
	v_mov_b32_e32 v11, s10
	s_xor_b64 exec, exec, s[6:7]
	s_cbranch_execz .LBB7_606
.LBB7_2656:
	v_mov_b32_e32 v11, 0
	v_cmp_ne_u16_sdwa s[8:9], v12, v11 src0_sel:BYTE_3 src1_sel:DWORD
	s_andn2_b64 s[4:5], s[4:5], exec
	s_and_b64 s[8:9], s[8:9], exec
	s_or_b64 s[4:5], s[4:5], s[8:9]
	s_or_b64 exec, exec, s[6:7]
	s_and_saveexec_b64 s[6:7], s[4:5]
	s_cbranch_execnz .LBB7_607
	s_branch .LBB7_608
.LBB7_2657:
	s_movk_i32 s4, 0x80
	v_cmp_eq_u16_sdwa s[12:13], v17, s4 src0_sel:BYTE_0 src1_sel:DWORD
	s_mov_b64 s[4:5], -1
                                        ; implicit-def: $sgpr10
	s_and_saveexec_b64 s[8:9], s[12:13]
; %bb.2658:
	s_mov_b32 s10, 0x7f800001
	s_xor_b64 s[4:5], exec, -1
; %bb.2659:
	s_or_b64 exec, exec, s[8:9]
	s_and_b64 s[4:5], s[4:5], exec
	s_or_saveexec_b64 s[6:7], s[6:7]
	v_mov_b32_e32 v10, s10
	s_xor_b64 exec, exec, s[6:7]
	s_cbranch_execz .LBB7_610
.LBB7_2660:
	v_mov_b32_e32 v10, 0
	v_cmp_ne_u16_sdwa s[8:9], v17, v10 src0_sel:BYTE_0 src1_sel:DWORD
	s_andn2_b64 s[4:5], s[4:5], exec
	s_and_b64 s[8:9], s[8:9], exec
	s_or_b64 s[4:5], s[4:5], s[8:9]
	s_or_b64 exec, exec, s[6:7]
	s_and_saveexec_b64 s[6:7], s[4:5]
	s_cbranch_execnz .LBB7_611
	s_branch .LBB7_612
.LBB7_2661:
	s_movk_i32 s4, 0x80
	v_cmp_eq_u16_sdwa s[12:13], v13, s4 src0_sel:BYTE_0 src1_sel:DWORD
	s_mov_b64 s[4:5], -1
                                        ; implicit-def: $sgpr10
	s_and_saveexec_b64 s[8:9], s[12:13]
; %bb.2662:
	s_mov_b32 s10, 0x7f800001
	s_xor_b64 s[4:5], exec, -1
; %bb.2663:
	s_or_b64 exec, exec, s[8:9]
	s_and_b64 s[4:5], s[4:5], exec
	s_or_saveexec_b64 s[6:7], s[6:7]
	v_mov_b32_e32 v11, s10
	s_xor_b64 exec, exec, s[6:7]
	s_cbranch_execz .LBB7_614
.LBB7_2664:
	v_mov_b32_e32 v11, 0
	v_cmp_ne_u16_sdwa s[8:9], v13, v11 src0_sel:BYTE_0 src1_sel:DWORD
	s_andn2_b64 s[4:5], s[4:5], exec
	s_and_b64 s[8:9], s[8:9], exec
	s_or_b64 s[4:5], s[4:5], s[8:9]
	s_or_b64 exec, exec, s[6:7]
	s_and_saveexec_b64 s[6:7], s[4:5]
	s_cbranch_execnz .LBB7_615
	s_branch .LBB7_616
.LBB7_2665:
	s_movk_i32 s4, 0x80
	v_cmp_eq_u16_sdwa s[12:13], v11, s4 src0_sel:BYTE_0 src1_sel:DWORD
	s_mov_b64 s[4:5], -1
                                        ; implicit-def: $sgpr10
	s_and_saveexec_b64 s[8:9], s[12:13]
; %bb.2666:
	s_mov_b32 s10, 0x7f800001
	s_xor_b64 s[4:5], exec, -1
; %bb.2667:
	s_or_b64 exec, exec, s[8:9]
	s_and_b64 s[4:5], s[4:5], exec
	s_or_saveexec_b64 s[6:7], s[6:7]
	v_mov_b32_e32 v10, s10
	s_xor_b64 exec, exec, s[6:7]
	s_cbranch_execz .LBB7_618
.LBB7_2668:
	v_mov_b32_e32 v10, 0
	v_cmp_ne_u16_sdwa s[8:9], v11, v10 src0_sel:BYTE_0 src1_sel:DWORD
	s_andn2_b64 s[4:5], s[4:5], exec
	s_and_b64 s[8:9], s[8:9], exec
	s_or_b64 s[4:5], s[4:5], s[8:9]
	s_or_b64 exec, exec, s[6:7]
	s_and_saveexec_b64 s[6:7], s[4:5]
	s_cbranch_execnz .LBB7_619
	s_branch .LBB7_620
.LBB7_2669:
	s_movk_i32 s4, 0x80
	v_cmp_eq_u16_sdwa s[12:13], v11, s4 src0_sel:BYTE_0 src1_sel:DWORD
	s_mov_b64 s[4:5], -1
                                        ; implicit-def: $sgpr10
	s_and_saveexec_b64 s[8:9], s[12:13]
; %bb.2670:
	s_mov_b32 s10, 0x7f800001
	s_xor_b64 s[4:5], exec, -1
; %bb.2671:
	s_or_b64 exec, exec, s[8:9]
	s_and_b64 s[4:5], s[4:5], exec
	s_or_saveexec_b64 s[6:7], s[6:7]
	v_mov_b32_e32 v12, s10
	s_xor_b64 exec, exec, s[6:7]
	s_cbranch_execz .LBB7_622
.LBB7_2672:
	v_mov_b32_e32 v12, 0
	v_cmp_ne_u16_sdwa s[8:9], v11, v12 src0_sel:BYTE_0 src1_sel:DWORD
	s_andn2_b64 s[4:5], s[4:5], exec
	s_and_b64 s[8:9], s[8:9], exec
	s_or_b64 s[4:5], s[4:5], s[8:9]
	s_or_b64 exec, exec, s[6:7]
	s_and_saveexec_b64 s[6:7], s[4:5]
	s_cbranch_execnz .LBB7_623
	s_branch .LBB7_624
.LBB7_2673:
	s_movk_i32 s4, 0x80
	v_cmp_eq_u16_e32 vcc, s4, v11
	s_mov_b64 s[4:5], -1
                                        ; implicit-def: $sgpr10
	s_and_saveexec_b64 s[8:9], vcc
; %bb.2674:
	s_mov_b32 s10, 0x7f800001
	s_xor_b64 s[4:5], exec, -1
; %bb.2675:
	s_or_b64 exec, exec, s[8:9]
	s_and_b64 s[4:5], s[4:5], exec
                                        ; implicit-def: $vgpr11
	s_or_saveexec_b64 s[6:7], s[6:7]
	v_mov_b32_e32 v10, s10
	s_xor_b64 exec, exec, s[6:7]
	s_cbranch_execz .LBB7_626
.LBB7_2676:
	v_cmp_ne_u16_e32 vcc, 0, v11
	s_andn2_b64 s[4:5], s[4:5], exec
	s_and_b64 s[8:9], vcc, exec
	v_mov_b32_e32 v10, 0
	s_or_b64 s[4:5], s[4:5], s[8:9]
	s_or_b64 exec, exec, s[6:7]
	s_and_saveexec_b64 s[6:7], s[4:5]
	s_cbranch_execnz .LBB7_627
	s_branch .LBB7_628
.LBB7_2677:
	s_movk_i32 s4, 0x80
	v_cmp_eq_u16_e32 vcc, s4, v11
	s_mov_b64 s[4:5], -1
                                        ; implicit-def: $sgpr10
	s_and_saveexec_b64 s[8:9], vcc
; %bb.2678:
	s_mov_b32 s10, 0x7f800001
	s_xor_b64 s[4:5], exec, -1
; %bb.2679:
	s_or_b64 exec, exec, s[8:9]
	s_and_b64 s[4:5], s[4:5], exec
                                        ; implicit-def: $vgpr11
	s_or_saveexec_b64 s[6:7], s[6:7]
	v_mov_b32_e32 v12, s10
	s_xor_b64 exec, exec, s[6:7]
	s_cbranch_execz .LBB7_630
.LBB7_2680:
	v_cmp_ne_u16_e32 vcc, 0, v11
	s_andn2_b64 s[4:5], s[4:5], exec
	s_and_b64 s[8:9], vcc, exec
	v_mov_b32_e32 v12, 0
	s_or_b64 s[4:5], s[4:5], s[8:9]
	s_or_b64 exec, exec, s[6:7]
	s_and_saveexec_b64 s[6:7], s[4:5]
	s_cbranch_execnz .LBB7_631
	s_branch .LBB7_632
.LBB7_2681:
	s_movk_i32 s4, 0x80
	v_cmp_eq_u16_sdwa s[12:13], v17, s4 src0_sel:BYTE_3 src1_sel:DWORD
	s_mov_b64 s[4:5], -1
                                        ; implicit-def: $sgpr10
	s_and_saveexec_b64 s[8:9], s[12:13]
; %bb.2682:
	s_mov_b32 s10, 0x7f800001
	s_xor_b64 s[4:5], exec, -1
; %bb.2683:
	s_or_b64 exec, exec, s[8:9]
	s_and_b64 s[4:5], s[4:5], exec
	s_or_saveexec_b64 s[6:7], s[6:7]
	v_mov_b32_e32 v10, s10
	s_xor_b64 exec, exec, s[6:7]
	s_cbranch_execz .LBB7_634
.LBB7_2684:
	v_mov_b32_e32 v10, 0
	v_cmp_ne_u16_sdwa s[8:9], v17, v10 src0_sel:BYTE_3 src1_sel:DWORD
	s_andn2_b64 s[4:5], s[4:5], exec
	s_and_b64 s[8:9], s[8:9], exec
	s_or_b64 s[4:5], s[4:5], s[8:9]
	s_or_b64 exec, exec, s[6:7]
	s_and_saveexec_b64 s[6:7], s[4:5]
	s_cbranch_execnz .LBB7_635
	s_branch .LBB7_636
.LBB7_2685:
	s_movk_i32 s4, 0x80
	v_cmp_eq_u16_sdwa s[12:13], v13, s4 src0_sel:BYTE_3 src1_sel:DWORD
	s_mov_b64 s[4:5], -1
                                        ; implicit-def: $sgpr10
	s_and_saveexec_b64 s[8:9], s[12:13]
; %bb.2686:
	s_mov_b32 s10, 0x7f800001
	s_xor_b64 s[4:5], exec, -1
; %bb.2687:
	s_or_b64 exec, exec, s[8:9]
	s_and_b64 s[4:5], s[4:5], exec
	s_or_saveexec_b64 s[6:7], s[6:7]
	v_mov_b32_e32 v11, s10
	s_xor_b64 exec, exec, s[6:7]
	s_cbranch_execz .LBB7_638
.LBB7_2688:
	v_mov_b32_e32 v11, 0
	v_cmp_ne_u16_sdwa s[8:9], v13, v11 src0_sel:BYTE_3 src1_sel:DWORD
	s_andn2_b64 s[4:5], s[4:5], exec
	s_and_b64 s[8:9], s[8:9], exec
	s_or_b64 s[4:5], s[4:5], s[8:9]
	s_or_b64 exec, exec, s[6:7]
	s_and_saveexec_b64 s[6:7], s[4:5]
	s_cbranch_execnz .LBB7_639
	s_branch .LBB7_640
.LBB7_2689:
	s_movk_i32 s4, 0x80
	v_cmp_eq_u16_sdwa s[12:13], v6, s4 src0_sel:BYTE_0 src1_sel:DWORD
	s_mov_b64 s[4:5], -1
                                        ; implicit-def: $sgpr10
	s_and_saveexec_b64 s[8:9], s[12:13]
; %bb.2690:
	s_mov_b32 s10, 0x7f800001
	s_xor_b64 s[4:5], exec, -1
; %bb.2691:
	s_or_b64 exec, exec, s[8:9]
	s_and_b64 s[4:5], s[4:5], exec
	s_or_saveexec_b64 s[6:7], s[6:7]
	v_mov_b32_e32 v10, s10
	s_xor_b64 exec, exec, s[6:7]
	s_cbranch_execz .LBB7_642
.LBB7_2692:
	v_mov_b32_e32 v10, 0
	v_cmp_ne_u16_sdwa s[8:9], v6, v10 src0_sel:BYTE_0 src1_sel:DWORD
	s_andn2_b64 s[4:5], s[4:5], exec
	s_and_b64 s[8:9], s[8:9], exec
	s_or_b64 s[4:5], s[4:5], s[8:9]
	s_or_b64 exec, exec, s[6:7]
	s_and_saveexec_b64 s[6:7], s[4:5]
	s_cbranch_execnz .LBB7_643
	s_branch .LBB7_644
.LBB7_2693:
	s_movk_i32 s4, 0x80
	v_cmp_eq_u16_sdwa s[12:13], v2, s4 src0_sel:BYTE_0 src1_sel:DWORD
	s_mov_b64 s[4:5], -1
                                        ; implicit-def: $sgpr10
	s_and_saveexec_b64 s[8:9], s[12:13]
; %bb.2694:
	s_mov_b32 s10, 0x7f800001
	s_xor_b64 s[4:5], exec, -1
; %bb.2695:
	s_or_b64 exec, exec, s[8:9]
	s_and_b64 s[4:5], s[4:5], exec
	s_or_saveexec_b64 s[6:7], s[6:7]
	v_mov_b32_e32 v11, s10
	s_xor_b64 exec, exec, s[6:7]
	s_cbranch_execz .LBB7_646
.LBB7_2696:
	v_mov_b32_e32 v11, 0
	v_cmp_ne_u16_sdwa s[8:9], v2, v11 src0_sel:BYTE_0 src1_sel:DWORD
	s_andn2_b64 s[4:5], s[4:5], exec
	s_and_b64 s[8:9], s[8:9], exec
	s_or_b64 s[4:5], s[4:5], s[8:9]
	s_or_b64 exec, exec, s[6:7]
	s_and_saveexec_b64 s[6:7], s[4:5]
	s_cbranch_execnz .LBB7_647
	s_branch .LBB7_648
.LBB7_2697:
	s_movk_i32 s4, 0x80
	v_cmp_eq_u16_sdwa s[12:13], v11, s4 src0_sel:BYTE_0 src1_sel:DWORD
	s_mov_b64 s[4:5], -1
                                        ; implicit-def: $sgpr10
	s_and_saveexec_b64 s[8:9], s[12:13]
; %bb.2698:
	s_mov_b32 s10, 0x7f800001
	s_xor_b64 s[4:5], exec, -1
; %bb.2699:
	s_or_b64 exec, exec, s[8:9]
	s_and_b64 s[4:5], s[4:5], exec
	s_or_saveexec_b64 s[6:7], s[6:7]
	v_mov_b32_e32 v10, s10
	s_xor_b64 exec, exec, s[6:7]
	s_cbranch_execz .LBB7_650
.LBB7_2700:
	v_mov_b32_e32 v10, 0
	v_cmp_ne_u16_sdwa s[8:9], v11, v10 src0_sel:BYTE_0 src1_sel:DWORD
	s_andn2_b64 s[4:5], s[4:5], exec
	s_and_b64 s[8:9], s[8:9], exec
	s_or_b64 s[4:5], s[4:5], s[8:9]
	s_or_b64 exec, exec, s[6:7]
	s_and_saveexec_b64 s[6:7], s[4:5]
	s_cbranch_execnz .LBB7_651
	s_branch .LBB7_652
.LBB7_2701:
	s_movk_i32 s4, 0x80
	v_cmp_eq_u16_sdwa s[12:13], v11, s4 src0_sel:BYTE_0 src1_sel:DWORD
	s_mov_b64 s[4:5], -1
                                        ; implicit-def: $sgpr10
	s_and_saveexec_b64 s[8:9], s[12:13]
; %bb.2702:
	s_mov_b32 s10, 0x7f800001
	s_xor_b64 s[4:5], exec, -1
; %bb.2703:
	s_or_b64 exec, exec, s[8:9]
	s_and_b64 s[4:5], s[4:5], exec
	s_or_saveexec_b64 s[6:7], s[6:7]
	v_mov_b32_e32 v12, s10
	s_xor_b64 exec, exec, s[6:7]
	s_cbranch_execz .LBB7_654
.LBB7_2704:
	v_mov_b32_e32 v12, 0
	v_cmp_ne_u16_sdwa s[8:9], v11, v12 src0_sel:BYTE_0 src1_sel:DWORD
	s_andn2_b64 s[4:5], s[4:5], exec
	s_and_b64 s[8:9], s[8:9], exec
	s_or_b64 s[4:5], s[4:5], s[8:9]
	s_or_b64 exec, exec, s[6:7]
	s_and_saveexec_b64 s[6:7], s[4:5]
	s_cbranch_execnz .LBB7_655
	s_branch .LBB7_656
.LBB7_2705:
	s_movk_i32 s4, 0x80
	v_cmp_eq_u16_e32 vcc, s4, v11
	s_mov_b64 s[4:5], -1
                                        ; implicit-def: $sgpr10
	s_and_saveexec_b64 s[8:9], vcc
; %bb.2706:
	s_mov_b32 s10, 0x7f800001
	s_xor_b64 s[4:5], exec, -1
; %bb.2707:
	s_or_b64 exec, exec, s[8:9]
	s_and_b64 s[4:5], s[4:5], exec
                                        ; implicit-def: $vgpr11
	s_or_saveexec_b64 s[6:7], s[6:7]
	v_mov_b32_e32 v10, s10
	s_xor_b64 exec, exec, s[6:7]
	s_cbranch_execz .LBB7_658
.LBB7_2708:
	v_cmp_ne_u16_e32 vcc, 0, v11
	s_andn2_b64 s[4:5], s[4:5], exec
	s_and_b64 s[8:9], vcc, exec
	v_mov_b32_e32 v10, 0
	s_or_b64 s[4:5], s[4:5], s[8:9]
	s_or_b64 exec, exec, s[6:7]
	s_and_saveexec_b64 s[6:7], s[4:5]
	s_cbranch_execnz .LBB7_659
	s_branch .LBB7_660
.LBB7_2709:
	s_movk_i32 s4, 0x80
	v_cmp_eq_u16_e32 vcc, s4, v11
	s_mov_b64 s[4:5], -1
                                        ; implicit-def: $sgpr10
	s_and_saveexec_b64 s[8:9], vcc
; %bb.2710:
	s_mov_b32 s10, 0x7f800001
	s_xor_b64 s[4:5], exec, -1
; %bb.2711:
	s_or_b64 exec, exec, s[8:9]
	s_and_b64 s[4:5], s[4:5], exec
                                        ; implicit-def: $vgpr11
	s_or_saveexec_b64 s[6:7], s[6:7]
	v_mov_b32_e32 v12, s10
	s_xor_b64 exec, exec, s[6:7]
	s_cbranch_execz .LBB7_662
.LBB7_2712:
	v_cmp_ne_u16_e32 vcc, 0, v11
	s_andn2_b64 s[4:5], s[4:5], exec
	s_and_b64 s[8:9], vcc, exec
	v_mov_b32_e32 v12, 0
	s_or_b64 s[4:5], s[4:5], s[8:9]
	s_or_b64 exec, exec, s[6:7]
	s_and_saveexec_b64 s[6:7], s[4:5]
	s_cbranch_execnz .LBB7_663
	s_branch .LBB7_664
.LBB7_2713:
	s_movk_i32 s4, 0x80
	v_cmp_eq_u16_sdwa s[12:13], v6, s4 src0_sel:BYTE_3 src1_sel:DWORD
	s_mov_b64 s[4:5], -1
                                        ; implicit-def: $sgpr10
	s_and_saveexec_b64 s[8:9], s[12:13]
; %bb.2714:
	s_mov_b32 s10, 0x7f800001
	s_xor_b64 s[4:5], exec, -1
; %bb.2715:
	s_or_b64 exec, exec, s[8:9]
	s_and_b64 s[4:5], s[4:5], exec
	s_or_saveexec_b64 s[6:7], s[6:7]
	v_mov_b32_e32 v10, s10
	s_xor_b64 exec, exec, s[6:7]
	s_cbranch_execz .LBB7_666
.LBB7_2716:
	v_mov_b32_e32 v10, 0
	v_cmp_ne_u16_sdwa s[8:9], v6, v10 src0_sel:BYTE_3 src1_sel:DWORD
	s_andn2_b64 s[4:5], s[4:5], exec
	s_and_b64 s[8:9], s[8:9], exec
	s_or_b64 s[4:5], s[4:5], s[8:9]
	s_or_b64 exec, exec, s[6:7]
	s_and_saveexec_b64 s[6:7], s[4:5]
	s_cbranch_execnz .LBB7_667
	s_branch .LBB7_668
.LBB7_2717:
	s_movk_i32 s4, 0x80
	v_cmp_eq_u16_sdwa s[12:13], v2, s4 src0_sel:BYTE_3 src1_sel:DWORD
	s_mov_b64 s[4:5], -1
                                        ; implicit-def: $sgpr10
	s_and_saveexec_b64 s[8:9], s[12:13]
; %bb.2718:
	s_mov_b32 s10, 0x7f800001
	s_xor_b64 s[4:5], exec, -1
; %bb.2719:
	s_or_b64 exec, exec, s[8:9]
	s_and_b64 s[4:5], s[4:5], exec
	s_or_saveexec_b64 s[6:7], s[6:7]
	v_mov_b32_e32 v6, s10
	s_xor_b64 exec, exec, s[6:7]
	s_cbranch_execz .LBB7_670
.LBB7_2720:
	v_mov_b32_e32 v6, 0
	v_cmp_ne_u16_sdwa s[8:9], v2, v6 src0_sel:BYTE_3 src1_sel:DWORD
	s_andn2_b64 s[4:5], s[4:5], exec
	s_and_b64 s[8:9], s[8:9], exec
	s_or_b64 s[4:5], s[4:5], s[8:9]
	s_or_b64 exec, exec, s[6:7]
	s_and_saveexec_b64 s[6:7], s[4:5]
	s_cbranch_execnz .LBB7_671
	s_branch .LBB7_672
.LBB7_2721:
	s_movk_i32 s4, 0x80
	v_cmp_eq_u16_sdwa s[12:13], v7, s4 src0_sel:BYTE_0 src1_sel:DWORD
	s_mov_b64 s[4:5], -1
                                        ; implicit-def: $sgpr10
	s_and_saveexec_b64 s[8:9], s[12:13]
; %bb.2722:
	s_mov_b32 s10, 0x7f800001
	s_xor_b64 s[4:5], exec, -1
; %bb.2723:
	s_or_b64 exec, exec, s[8:9]
	s_and_b64 s[4:5], s[4:5], exec
	s_or_saveexec_b64 s[6:7], s[6:7]
	v_mov_b32_e32 v2, s10
	s_xor_b64 exec, exec, s[6:7]
	s_cbranch_execz .LBB7_674
.LBB7_2724:
	v_mov_b32_e32 v2, 0
	v_cmp_ne_u16_sdwa s[8:9], v7, v2 src0_sel:BYTE_0 src1_sel:DWORD
	s_andn2_b64 s[4:5], s[4:5], exec
	s_and_b64 s[8:9], s[8:9], exec
	s_or_b64 s[4:5], s[4:5], s[8:9]
	s_or_b64 exec, exec, s[6:7]
	s_and_saveexec_b64 s[6:7], s[4:5]
	s_cbranch_execnz .LBB7_675
	s_branch .LBB7_676
.LBB7_2725:
	s_movk_i32 s4, 0x80
	v_cmp_eq_u16_sdwa s[12:13], v3, s4 src0_sel:BYTE_0 src1_sel:DWORD
	s_mov_b64 s[4:5], -1
                                        ; implicit-def: $sgpr10
	s_and_saveexec_b64 s[8:9], s[12:13]
; %bb.2726:
	s_mov_b32 s10, 0x7f800001
	s_xor_b64 s[4:5], exec, -1
; %bb.2727:
	s_or_b64 exec, exec, s[8:9]
	s_and_b64 s[4:5], s[4:5], exec
	s_or_saveexec_b64 s[6:7], s[6:7]
	v_mov_b32_e32 v6, s10
	s_xor_b64 exec, exec, s[6:7]
	s_cbranch_execz .LBB7_678
.LBB7_2728:
	v_mov_b32_e32 v6, 0
	v_cmp_ne_u16_sdwa s[8:9], v3, v6 src0_sel:BYTE_0 src1_sel:DWORD
	s_andn2_b64 s[4:5], s[4:5], exec
	s_and_b64 s[8:9], s[8:9], exec
	s_or_b64 s[4:5], s[4:5], s[8:9]
	s_or_b64 exec, exec, s[6:7]
	s_and_saveexec_b64 s[6:7], s[4:5]
	s_cbranch_execnz .LBB7_679
	s_branch .LBB7_680
.LBB7_2729:
	s_movk_i32 s4, 0x80
	v_cmp_eq_u16_sdwa s[12:13], v6, s4 src0_sel:BYTE_0 src1_sel:DWORD
	s_mov_b64 s[4:5], -1
                                        ; implicit-def: $sgpr10
	s_and_saveexec_b64 s[8:9], s[12:13]
; %bb.2730:
	s_mov_b32 s10, 0x7f800001
	s_xor_b64 s[4:5], exec, -1
; %bb.2731:
	s_or_b64 exec, exec, s[8:9]
	s_and_b64 s[4:5], s[4:5], exec
	s_or_saveexec_b64 s[6:7], s[6:7]
	v_mov_b32_e32 v2, s10
	s_xor_b64 exec, exec, s[6:7]
	s_cbranch_execz .LBB7_682
.LBB7_2732:
	v_mov_b32_e32 v2, 0
	v_cmp_ne_u16_sdwa s[8:9], v6, v2 src0_sel:BYTE_0 src1_sel:DWORD
	s_andn2_b64 s[4:5], s[4:5], exec
	s_and_b64 s[8:9], s[8:9], exec
	s_or_b64 s[4:5], s[4:5], s[8:9]
	s_or_b64 exec, exec, s[6:7]
	s_and_saveexec_b64 s[6:7], s[4:5]
	s_cbranch_execnz .LBB7_683
	s_branch .LBB7_684
.LBB7_2733:
	s_movk_i32 s4, 0x80
	v_cmp_eq_u16_sdwa s[12:13], v6, s4 src0_sel:BYTE_0 src1_sel:DWORD
	s_mov_b64 s[4:5], -1
                                        ; implicit-def: $sgpr10
	s_and_saveexec_b64 s[8:9], s[12:13]
; %bb.2734:
	s_mov_b32 s10, 0x7f800001
	s_xor_b64 s[4:5], exec, -1
; %bb.2735:
	s_or_b64 exec, exec, s[8:9]
	s_and_b64 s[4:5], s[4:5], exec
	s_or_saveexec_b64 s[6:7], s[6:7]
	v_mov_b32_e32 v10, s10
	s_xor_b64 exec, exec, s[6:7]
	s_cbranch_execz .LBB7_686
.LBB7_2736:
	v_mov_b32_e32 v10, 0
	v_cmp_ne_u16_sdwa s[8:9], v6, v10 src0_sel:BYTE_0 src1_sel:DWORD
	s_andn2_b64 s[4:5], s[4:5], exec
	s_and_b64 s[8:9], s[8:9], exec
	s_or_b64 s[4:5], s[4:5], s[8:9]
	s_or_b64 exec, exec, s[6:7]
	s_and_saveexec_b64 s[6:7], s[4:5]
	s_cbranch_execnz .LBB7_687
	s_branch .LBB7_688
.LBB7_2737:
	s_movk_i32 s4, 0x80
	v_cmp_eq_u16_e32 vcc, s4, v6
	s_mov_b64 s[4:5], -1
                                        ; implicit-def: $sgpr10
	s_and_saveexec_b64 s[8:9], vcc
; %bb.2738:
	s_mov_b32 s10, 0x7f800001
	s_xor_b64 s[4:5], exec, -1
; %bb.2739:
	s_or_b64 exec, exec, s[8:9]
	s_and_b64 s[4:5], s[4:5], exec
                                        ; implicit-def: $vgpr6
	s_or_saveexec_b64 s[6:7], s[6:7]
	v_mov_b32_e32 v2, s10
	s_xor_b64 exec, exec, s[6:7]
	s_cbranch_execz .LBB7_690
.LBB7_2740:
	v_cmp_ne_u16_e32 vcc, 0, v6
	s_andn2_b64 s[4:5], s[4:5], exec
	s_and_b64 s[8:9], vcc, exec
	v_mov_b32_e32 v2, 0
	s_or_b64 s[4:5], s[4:5], s[8:9]
	s_or_b64 exec, exec, s[6:7]
	s_and_saveexec_b64 s[6:7], s[4:5]
	s_cbranch_execnz .LBB7_691
	s_branch .LBB7_692
.LBB7_2741:
	s_movk_i32 s4, 0x80
	v_cmp_eq_u16_e32 vcc, s4, v6
	s_mov_b64 s[4:5], -1
                                        ; implicit-def: $sgpr10
	s_and_saveexec_b64 s[8:9], vcc
; %bb.2742:
	s_mov_b32 s10, 0x7f800001
	s_xor_b64 s[4:5], exec, -1
; %bb.2743:
	s_or_b64 exec, exec, s[8:9]
	s_and_b64 s[4:5], s[4:5], exec
                                        ; implicit-def: $vgpr6
	s_or_saveexec_b64 s[6:7], s[6:7]
	v_mov_b32_e32 v10, s10
	s_xor_b64 exec, exec, s[6:7]
	s_cbranch_execz .LBB7_694
.LBB7_2744:
	v_cmp_ne_u16_e32 vcc, 0, v6
	s_andn2_b64 s[4:5], s[4:5], exec
	s_and_b64 s[8:9], vcc, exec
	v_mov_b32_e32 v10, 0
	s_or_b64 s[4:5], s[4:5], s[8:9]
	s_or_b64 exec, exec, s[6:7]
	s_and_saveexec_b64 s[6:7], s[4:5]
	s_cbranch_execnz .LBB7_695
	s_branch .LBB7_696
.LBB7_2745:
	s_movk_i32 s4, 0x80
	v_cmp_eq_u16_sdwa s[12:13], v7, s4 src0_sel:BYTE_3 src1_sel:DWORD
	s_mov_b64 s[4:5], -1
                                        ; implicit-def: $sgpr10
	s_and_saveexec_b64 s[8:9], s[12:13]
; %bb.2746:
	s_mov_b32 s10, 0x7f800001
	s_xor_b64 s[4:5], exec, -1
; %bb.2747:
	s_or_b64 exec, exec, s[8:9]
	s_and_b64 s[4:5], s[4:5], exec
	s_or_saveexec_b64 s[6:7], s[6:7]
	v_mov_b32_e32 v2, s10
	s_xor_b64 exec, exec, s[6:7]
	s_cbranch_execz .LBB7_698
.LBB7_2748:
	v_mov_b32_e32 v2, 0
	v_cmp_ne_u16_sdwa s[8:9], v7, v2 src0_sel:BYTE_3 src1_sel:DWORD
	s_andn2_b64 s[4:5], s[4:5], exec
	s_and_b64 s[8:9], s[8:9], exec
	s_or_b64 s[4:5], s[4:5], s[8:9]
	s_or_b64 exec, exec, s[6:7]
	s_and_saveexec_b64 s[6:7], s[4:5]
	s_cbranch_execnz .LBB7_699
	s_branch .LBB7_700
.LBB7_2749:
	s_movk_i32 s4, 0x80
	v_cmp_eq_u16_sdwa s[12:13], v3, s4 src0_sel:BYTE_3 src1_sel:DWORD
	s_mov_b64 s[4:5], -1
                                        ; implicit-def: $sgpr10
	s_and_saveexec_b64 s[8:9], s[12:13]
; %bb.2750:
	s_mov_b32 s10, 0x7f800001
	s_xor_b64 s[4:5], exec, -1
; %bb.2751:
	s_or_b64 exec, exec, s[8:9]
	s_and_b64 s[4:5], s[4:5], exec
	s_or_saveexec_b64 s[6:7], s[6:7]
	v_mov_b32_e32 v6, s10
	s_xor_b64 exec, exec, s[6:7]
	s_cbranch_execz .LBB7_702
.LBB7_2752:
	v_mov_b32_e32 v6, 0
	v_cmp_ne_u16_sdwa s[8:9], v3, v6 src0_sel:BYTE_3 src1_sel:DWORD
	s_andn2_b64 s[4:5], s[4:5], exec
	s_and_b64 s[8:9], s[8:9], exec
	s_or_b64 s[4:5], s[4:5], s[8:9]
	s_or_b64 exec, exec, s[6:7]
	s_and_saveexec_b64 s[6:7], s[4:5]
	s_cbranch_execnz .LBB7_703
	s_branch .LBB7_704
.LBB7_2753:
	s_movk_i32 s4, 0x80
	v_cmp_eq_u16_sdwa s[12:13], v8, s4 src0_sel:BYTE_0 src1_sel:DWORD
	s_mov_b64 s[4:5], -1
                                        ; implicit-def: $sgpr10
	s_and_saveexec_b64 s[8:9], s[12:13]
; %bb.2754:
	s_mov_b32 s10, 0x7f800001
	s_xor_b64 s[4:5], exec, -1
; %bb.2755:
	s_or_b64 exec, exec, s[8:9]
	s_and_b64 s[4:5], s[4:5], exec
	s_or_saveexec_b64 s[6:7], s[6:7]
	v_mov_b32_e32 v2, s10
	s_xor_b64 exec, exec, s[6:7]
	s_cbranch_execz .LBB7_706
.LBB7_2756:
	v_mov_b32_e32 v2, 0
	v_cmp_ne_u16_sdwa s[8:9], v8, v2 src0_sel:BYTE_0 src1_sel:DWORD
	s_andn2_b64 s[4:5], s[4:5], exec
	s_and_b64 s[8:9], s[8:9], exec
	s_or_b64 s[4:5], s[4:5], s[8:9]
	s_or_b64 exec, exec, s[6:7]
	s_and_saveexec_b64 s[6:7], s[4:5]
	s_cbranch_execnz .LBB7_707
	s_branch .LBB7_708
.LBB7_2757:
	s_movk_i32 s4, 0x80
	v_cmp_eq_u16_sdwa s[12:13], v4, s4 src0_sel:BYTE_0 src1_sel:DWORD
	s_mov_b64 s[4:5], -1
                                        ; implicit-def: $sgpr10
	s_and_saveexec_b64 s[8:9], s[12:13]
; %bb.2758:
	s_mov_b32 s10, 0x7f800001
	s_xor_b64 s[4:5], exec, -1
; %bb.2759:
	s_or_b64 exec, exec, s[8:9]
	s_and_b64 s[4:5], s[4:5], exec
	s_or_saveexec_b64 s[6:7], s[6:7]
	v_mov_b32_e32 v3, s10
	s_xor_b64 exec, exec, s[6:7]
	s_cbranch_execz .LBB7_710
.LBB7_2760:
	v_mov_b32_e32 v3, 0
	v_cmp_ne_u16_sdwa s[8:9], v4, v3 src0_sel:BYTE_0 src1_sel:DWORD
	s_andn2_b64 s[4:5], s[4:5], exec
	s_and_b64 s[8:9], s[8:9], exec
	s_or_b64 s[4:5], s[4:5], s[8:9]
	s_or_b64 exec, exec, s[6:7]
	s_and_saveexec_b64 s[6:7], s[4:5]
	s_cbranch_execnz .LBB7_711
	s_branch .LBB7_712
.LBB7_2761:
	s_movk_i32 s4, 0x80
	v_cmp_eq_u16_sdwa s[12:13], v3, s4 src0_sel:BYTE_0 src1_sel:DWORD
	s_mov_b64 s[4:5], -1
                                        ; implicit-def: $sgpr10
	s_and_saveexec_b64 s[8:9], s[12:13]
; %bb.2762:
	s_mov_b32 s10, 0x7f800001
	s_xor_b64 s[4:5], exec, -1
; %bb.2763:
	s_or_b64 exec, exec, s[8:9]
	s_and_b64 s[4:5], s[4:5], exec
	s_or_saveexec_b64 s[6:7], s[6:7]
	v_mov_b32_e32 v2, s10
	s_xor_b64 exec, exec, s[6:7]
	s_cbranch_execz .LBB7_714
.LBB7_2764:
	v_mov_b32_e32 v2, 0
	v_cmp_ne_u16_sdwa s[8:9], v3, v2 src0_sel:BYTE_0 src1_sel:DWORD
	s_andn2_b64 s[4:5], s[4:5], exec
	s_and_b64 s[8:9], s[8:9], exec
	s_or_b64 s[4:5], s[4:5], s[8:9]
	s_or_b64 exec, exec, s[6:7]
	s_and_saveexec_b64 s[6:7], s[4:5]
	s_cbranch_execnz .LBB7_715
	s_branch .LBB7_716
.LBB7_2765:
	s_movk_i32 s4, 0x80
	v_cmp_eq_u16_sdwa s[12:13], v3, s4 src0_sel:BYTE_0 src1_sel:DWORD
	s_mov_b64 s[4:5], -1
                                        ; implicit-def: $sgpr10
	s_and_saveexec_b64 s[8:9], s[12:13]
; %bb.2766:
	s_mov_b32 s10, 0x7f800001
	s_xor_b64 s[4:5], exec, -1
; %bb.2767:
	s_or_b64 exec, exec, s[8:9]
	s_and_b64 s[4:5], s[4:5], exec
	s_or_saveexec_b64 s[6:7], s[6:7]
	v_mov_b32_e32 v6, s10
	s_xor_b64 exec, exec, s[6:7]
	s_cbranch_execz .LBB7_718
.LBB7_2768:
	v_mov_b32_e32 v6, 0
	v_cmp_ne_u16_sdwa s[8:9], v3, v6 src0_sel:BYTE_0 src1_sel:DWORD
	s_andn2_b64 s[4:5], s[4:5], exec
	s_and_b64 s[8:9], s[8:9], exec
	s_or_b64 s[4:5], s[4:5], s[8:9]
	s_or_b64 exec, exec, s[6:7]
	s_and_saveexec_b64 s[6:7], s[4:5]
	s_cbranch_execnz .LBB7_719
	s_branch .LBB7_720
.LBB7_2769:
	s_movk_i32 s4, 0x80
	v_cmp_eq_u16_e32 vcc, s4, v3
	s_mov_b64 s[4:5], -1
                                        ; implicit-def: $sgpr10
	s_and_saveexec_b64 s[8:9], vcc
; %bb.2770:
	s_mov_b32 s10, 0x7f800001
	s_xor_b64 s[4:5], exec, -1
; %bb.2771:
	s_or_b64 exec, exec, s[8:9]
	s_and_b64 s[4:5], s[4:5], exec
                                        ; implicit-def: $vgpr3
	s_or_saveexec_b64 s[6:7], s[6:7]
	v_mov_b32_e32 v2, s10
	s_xor_b64 exec, exec, s[6:7]
	s_cbranch_execz .LBB7_722
.LBB7_2772:
	v_cmp_ne_u16_e32 vcc, 0, v3
	s_andn2_b64 s[4:5], s[4:5], exec
	s_and_b64 s[8:9], vcc, exec
	v_mov_b32_e32 v2, 0
	s_or_b64 s[4:5], s[4:5], s[8:9]
	s_or_b64 exec, exec, s[6:7]
	s_and_saveexec_b64 s[6:7], s[4:5]
	s_cbranch_execnz .LBB7_723
	s_branch .LBB7_724
.LBB7_2773:
	s_movk_i32 s4, 0x80
	v_cmp_eq_u16_e32 vcc, s4, v3
	s_mov_b64 s[4:5], -1
                                        ; implicit-def: $sgpr10
	s_and_saveexec_b64 s[8:9], vcc
; %bb.2774:
	s_mov_b32 s10, 0x7f800001
	s_xor_b64 s[4:5], exec, -1
; %bb.2775:
	s_or_b64 exec, exec, s[8:9]
	s_and_b64 s[4:5], s[4:5], exec
                                        ; implicit-def: $vgpr3
	s_or_saveexec_b64 s[6:7], s[6:7]
	v_mov_b32_e32 v6, s10
	s_xor_b64 exec, exec, s[6:7]
	s_cbranch_execz .LBB7_726
.LBB7_2776:
	v_cmp_ne_u16_e32 vcc, 0, v3
	s_andn2_b64 s[4:5], s[4:5], exec
	s_and_b64 s[8:9], vcc, exec
	v_mov_b32_e32 v6, 0
	s_or_b64 s[4:5], s[4:5], s[8:9]
	s_or_b64 exec, exec, s[6:7]
	s_and_saveexec_b64 s[6:7], s[4:5]
	s_cbranch_execnz .LBB7_727
	s_branch .LBB7_728
.LBB7_2777:
	s_movk_i32 s4, 0x80
	v_cmp_eq_u16_sdwa s[12:13], v8, s4 src0_sel:BYTE_3 src1_sel:DWORD
	s_mov_b64 s[4:5], -1
                                        ; implicit-def: $sgpr10
	s_and_saveexec_b64 s[8:9], s[12:13]
; %bb.2778:
	s_mov_b32 s10, 0x7f800001
	s_xor_b64 s[4:5], exec, -1
; %bb.2779:
	s_or_b64 exec, exec, s[8:9]
	s_and_b64 s[4:5], s[4:5], exec
	s_or_saveexec_b64 s[6:7], s[6:7]
	v_mov_b32_e32 v2, s10
	s_xor_b64 exec, exec, s[6:7]
	s_cbranch_execz .LBB7_730
.LBB7_2780:
	v_mov_b32_e32 v2, 0
	v_cmp_ne_u16_sdwa s[8:9], v8, v2 src0_sel:BYTE_3 src1_sel:DWORD
	s_andn2_b64 s[4:5], s[4:5], exec
	s_and_b64 s[8:9], s[8:9], exec
	s_or_b64 s[4:5], s[4:5], s[8:9]
	s_or_b64 exec, exec, s[6:7]
	s_and_saveexec_b64 s[6:7], s[4:5]
	s_cbranch_execnz .LBB7_731
	s_branch .LBB7_732
.LBB7_2781:
	s_movk_i32 s4, 0x80
	v_cmp_eq_u16_sdwa s[12:13], v4, s4 src0_sel:BYTE_3 src1_sel:DWORD
	s_mov_b64 s[4:5], -1
                                        ; implicit-def: $sgpr10
	s_and_saveexec_b64 s[8:9], s[12:13]
; %bb.2782:
	s_mov_b32 s10, 0x7f800001
	s_xor_b64 s[4:5], exec, -1
; %bb.2783:
	s_or_b64 exec, exec, s[8:9]
	s_and_b64 s[4:5], s[4:5], exec
	s_or_saveexec_b64 s[6:7], s[6:7]
	v_mov_b32_e32 v3, s10
	s_xor_b64 exec, exec, s[6:7]
	s_cbranch_execz .LBB7_734
.LBB7_2784:
	v_mov_b32_e32 v3, 0
	v_cmp_ne_u16_sdwa s[8:9], v4, v3 src0_sel:BYTE_3 src1_sel:DWORD
	s_andn2_b64 s[4:5], s[4:5], exec
	s_and_b64 s[8:9], s[8:9], exec
	s_or_b64 s[4:5], s[4:5], s[8:9]
	s_or_b64 exec, exec, s[6:7]
	s_and_saveexec_b64 s[6:7], s[4:5]
	s_cbranch_execnz .LBB7_735
	s_branch .LBB7_736
.LBB7_2785:
	s_movk_i32 s4, 0x80
	v_cmp_eq_u16_sdwa s[12:13], v9, s4 src0_sel:BYTE_0 src1_sel:DWORD
	s_mov_b64 s[4:5], -1
                                        ; implicit-def: $sgpr10
	s_and_saveexec_b64 s[8:9], s[12:13]
; %bb.2786:
	s_mov_b32 s10, 0x7f800001
	s_xor_b64 s[4:5], exec, -1
; %bb.2787:
	s_or_b64 exec, exec, s[8:9]
	s_and_b64 s[4:5], s[4:5], exec
	s_or_saveexec_b64 s[6:7], s[6:7]
	v_mov_b32_e32 v2, s10
	s_xor_b64 exec, exec, s[6:7]
	s_cbranch_execz .LBB7_738
.LBB7_2788:
	v_mov_b32_e32 v2, 0
	v_cmp_ne_u16_sdwa s[8:9], v9, v2 src0_sel:BYTE_0 src1_sel:DWORD
	s_andn2_b64 s[4:5], s[4:5], exec
	s_and_b64 s[8:9], s[8:9], exec
	s_or_b64 s[4:5], s[4:5], s[8:9]
	s_or_b64 exec, exec, s[6:7]
	s_and_saveexec_b64 s[6:7], s[4:5]
	s_cbranch_execnz .LBB7_739
	s_branch .LBB7_740
.LBB7_2789:
	s_movk_i32 s4, 0x80
	v_cmp_eq_u16_sdwa s[12:13], v5, s4 src0_sel:BYTE_0 src1_sel:DWORD
	s_mov_b64 s[4:5], -1
                                        ; implicit-def: $sgpr10
	s_and_saveexec_b64 s[8:9], s[12:13]
; %bb.2790:
	s_mov_b32 s10, 0x7f800001
	s_xor_b64 s[4:5], exec, -1
; %bb.2791:
	s_or_b64 exec, exec, s[8:9]
	s_and_b64 s[4:5], s[4:5], exec
	s_or_saveexec_b64 s[6:7], s[6:7]
	v_mov_b32_e32 v3, s10
	s_xor_b64 exec, exec, s[6:7]
	s_cbranch_execz .LBB7_742
.LBB7_2792:
	v_mov_b32_e32 v3, 0
	v_cmp_ne_u16_sdwa s[8:9], v5, v3 src0_sel:BYTE_0 src1_sel:DWORD
	s_andn2_b64 s[4:5], s[4:5], exec
	s_and_b64 s[8:9], s[8:9], exec
	s_or_b64 s[4:5], s[4:5], s[8:9]
	s_or_b64 exec, exec, s[6:7]
	s_and_saveexec_b64 s[6:7], s[4:5]
	s_cbranch_execnz .LBB7_743
	s_branch .LBB7_744
.LBB7_2793:
	s_movk_i32 s4, 0x80
	v_cmp_eq_u16_sdwa s[12:13], v3, s4 src0_sel:BYTE_0 src1_sel:DWORD
	s_mov_b64 s[4:5], -1
                                        ; implicit-def: $sgpr10
	s_and_saveexec_b64 s[8:9], s[12:13]
; %bb.2794:
	s_mov_b32 s10, 0x7f800001
	s_xor_b64 s[4:5], exec, -1
; %bb.2795:
	s_or_b64 exec, exec, s[8:9]
	s_and_b64 s[4:5], s[4:5], exec
	s_or_saveexec_b64 s[6:7], s[6:7]
	v_mov_b32_e32 v2, s10
	s_xor_b64 exec, exec, s[6:7]
	s_cbranch_execz .LBB7_746
.LBB7_2796:
	v_mov_b32_e32 v2, 0
	v_cmp_ne_u16_sdwa s[8:9], v3, v2 src0_sel:BYTE_0 src1_sel:DWORD
	s_andn2_b64 s[4:5], s[4:5], exec
	s_and_b64 s[8:9], s[8:9], exec
	s_or_b64 s[4:5], s[4:5], s[8:9]
	s_or_b64 exec, exec, s[6:7]
	s_and_saveexec_b64 s[6:7], s[4:5]
	s_cbranch_execnz .LBB7_747
	s_branch .LBB7_748
.LBB7_2797:
	s_movk_i32 s4, 0x80
	v_cmp_eq_u16_sdwa s[12:13], v3, s4 src0_sel:BYTE_0 src1_sel:DWORD
	s_mov_b64 s[4:5], -1
                                        ; implicit-def: $sgpr10
	s_and_saveexec_b64 s[8:9], s[12:13]
; %bb.2798:
	s_mov_b32 s10, 0x7f800001
	s_xor_b64 s[4:5], exec, -1
; %bb.2799:
	s_or_b64 exec, exec, s[8:9]
	s_and_b64 s[4:5], s[4:5], exec
	s_or_saveexec_b64 s[6:7], s[6:7]
	v_mov_b32_e32 v4, s10
	s_xor_b64 exec, exec, s[6:7]
	s_cbranch_execz .LBB7_750
.LBB7_2800:
	v_mov_b32_e32 v4, 0
	v_cmp_ne_u16_sdwa s[8:9], v3, v4 src0_sel:BYTE_0 src1_sel:DWORD
	s_andn2_b64 s[4:5], s[4:5], exec
	s_and_b64 s[8:9], s[8:9], exec
	s_or_b64 s[4:5], s[4:5], s[8:9]
	s_or_b64 exec, exec, s[6:7]
	s_and_saveexec_b64 s[6:7], s[4:5]
	s_cbranch_execnz .LBB7_751
	s_branch .LBB7_752
.LBB7_2801:
	s_movk_i32 s4, 0x80
	v_cmp_eq_u16_e32 vcc, s4, v3
	s_mov_b64 s[4:5], -1
                                        ; implicit-def: $sgpr10
	s_and_saveexec_b64 s[8:9], vcc
; %bb.2802:
	s_mov_b32 s10, 0x7f800001
	s_xor_b64 s[4:5], exec, -1
; %bb.2803:
	s_or_b64 exec, exec, s[8:9]
	s_and_b64 s[4:5], s[4:5], exec
                                        ; implicit-def: $vgpr3
	s_or_saveexec_b64 s[6:7], s[6:7]
	v_mov_b32_e32 v2, s10
	s_xor_b64 exec, exec, s[6:7]
	s_cbranch_execz .LBB7_754
.LBB7_2804:
	v_cmp_ne_u16_e32 vcc, 0, v3
	s_andn2_b64 s[4:5], s[4:5], exec
	s_and_b64 s[8:9], vcc, exec
	v_mov_b32_e32 v2, 0
	s_or_b64 s[4:5], s[4:5], s[8:9]
	s_or_b64 exec, exec, s[6:7]
	s_and_saveexec_b64 s[6:7], s[4:5]
	s_cbranch_execnz .LBB7_755
	s_branch .LBB7_756
.LBB7_2805:
	s_movk_i32 s4, 0x80
	v_cmp_eq_u16_e32 vcc, s4, v3
	s_mov_b64 s[4:5], -1
                                        ; implicit-def: $sgpr10
	s_and_saveexec_b64 s[8:9], vcc
; %bb.2806:
	s_mov_b32 s10, 0x7f800001
	s_xor_b64 s[4:5], exec, -1
; %bb.2807:
	s_or_b64 exec, exec, s[8:9]
	s_and_b64 s[4:5], s[4:5], exec
                                        ; implicit-def: $vgpr3
	s_or_saveexec_b64 s[6:7], s[6:7]
	v_mov_b32_e32 v4, s10
	s_xor_b64 exec, exec, s[6:7]
	s_cbranch_execz .LBB7_758
.LBB7_2808:
	v_cmp_ne_u16_e32 vcc, 0, v3
	s_andn2_b64 s[4:5], s[4:5], exec
	s_and_b64 s[8:9], vcc, exec
	v_mov_b32_e32 v4, 0
	s_or_b64 s[4:5], s[4:5], s[8:9]
	s_or_b64 exec, exec, s[6:7]
	s_and_saveexec_b64 s[6:7], s[4:5]
	s_cbranch_execnz .LBB7_759
	s_branch .LBB7_760
.LBB7_2809:
	s_movk_i32 s4, 0x80
	v_cmp_eq_u16_sdwa s[12:13], v9, s4 src0_sel:BYTE_3 src1_sel:DWORD
	s_mov_b64 s[4:5], -1
                                        ; implicit-def: $sgpr10
	s_and_saveexec_b64 s[8:9], s[12:13]
; %bb.2810:
	s_mov_b32 s10, 0x7f800001
	s_xor_b64 s[4:5], exec, -1
; %bb.2811:
	s_or_b64 exec, exec, s[8:9]
	s_and_b64 s[4:5], s[4:5], exec
	s_or_saveexec_b64 s[6:7], s[6:7]
	v_mov_b32_e32 v2, s10
	s_xor_b64 exec, exec, s[6:7]
	s_cbranch_execz .LBB7_762
.LBB7_2812:
	v_mov_b32_e32 v2, 0
	v_cmp_ne_u16_sdwa s[8:9], v9, v2 src0_sel:BYTE_3 src1_sel:DWORD
	s_andn2_b64 s[4:5], s[4:5], exec
	s_and_b64 s[8:9], s[8:9], exec
	s_or_b64 s[4:5], s[4:5], s[8:9]
	s_or_b64 exec, exec, s[6:7]
	s_and_saveexec_b64 s[6:7], s[4:5]
	s_cbranch_execnz .LBB7_763
	s_branch .LBB7_764
.LBB7_2813:
	s_movk_i32 s4, 0x80
	v_cmp_eq_u16_sdwa s[12:13], v5, s4 src0_sel:BYTE_3 src1_sel:DWORD
	s_mov_b64 s[4:5], -1
                                        ; implicit-def: $sgpr10
	s_and_saveexec_b64 s[8:9], s[12:13]
; %bb.2814:
	s_mov_b32 s10, 0x7f800001
	s_xor_b64 s[4:5], exec, -1
; %bb.2815:
	s_or_b64 exec, exec, s[8:9]
	s_and_b64 s[4:5], s[4:5], exec
	s_or_saveexec_b64 s[6:7], s[6:7]
	v_mov_b32_e32 v3, s10
	s_xor_b64 exec, exec, s[6:7]
	s_cbranch_execz .LBB7_766
.LBB7_2816:
	v_mov_b32_e32 v3, 0
	v_cmp_ne_u16_sdwa s[8:9], v5, v3 src0_sel:BYTE_3 src1_sel:DWORD
	s_andn2_b64 s[4:5], s[4:5], exec
	s_and_b64 s[8:9], s[8:9], exec
	s_or_b64 s[4:5], s[4:5], s[8:9]
	s_or_b64 exec, exec, s[6:7]
	s_and_saveexec_b64 s[6:7], s[4:5]
	s_cbranch_execnz .LBB7_767
	s_branch .LBB7_768
.LBB7_2817:
	s_movk_i32 s4, 0x80
	v_cmp_eq_u16_sdwa s[12:13], v14, s4 src0_sel:BYTE_0 src1_sel:DWORD
	s_mov_b64 s[4:5], -1
                                        ; implicit-def: $sgpr10
	s_and_saveexec_b64 s[8:9], s[12:13]
; %bb.2818:
	s_mov_b32 s10, 0x7f800001
	s_xor_b64 s[4:5], exec, -1
; %bb.2819:
	s_or_b64 exec, exec, s[8:9]
	s_and_b64 s[4:5], s[4:5], exec
	s_or_saveexec_b64 s[6:7], s[6:7]
	v_mov_b32_e32 v20, s10
	s_xor_b64 exec, exec, s[6:7]
	s_cbranch_execz .LBB7_770
.LBB7_2820:
	v_mov_b32_e32 v20, 0
	v_cmp_ne_u16_sdwa s[8:9], v14, v20 src0_sel:BYTE_0 src1_sel:DWORD
	s_andn2_b64 s[4:5], s[4:5], exec
	s_and_b64 s[8:9], s[8:9], exec
	s_or_b64 s[4:5], s[4:5], s[8:9]
	s_or_b64 exec, exec, s[6:7]
	s_and_saveexec_b64 s[6:7], s[4:5]
	s_cbranch_execnz .LBB7_771
	s_branch .LBB7_772
.LBB7_2821:
	s_movk_i32 s4, 0x80
	v_cmp_eq_u16_sdwa s[12:13], v10, s4 src0_sel:BYTE_0 src1_sel:DWORD
	s_mov_b64 s[4:5], -1
                                        ; implicit-def: $sgpr10
	s_and_saveexec_b64 s[8:9], s[12:13]
; %bb.2822:
	s_mov_b32 s10, 0x7f800001
	s_xor_b64 s[4:5], exec, -1
; %bb.2823:
	s_or_b64 exec, exec, s[8:9]
	s_and_b64 s[4:5], s[4:5], exec
	s_or_saveexec_b64 s[6:7], s[6:7]
	v_mov_b32_e32 v21, s10
	s_xor_b64 exec, exec, s[6:7]
	s_cbranch_execz .LBB7_774
.LBB7_2824:
	v_mov_b32_e32 v21, 0
	v_cmp_ne_u16_sdwa s[8:9], v10, v21 src0_sel:BYTE_0 src1_sel:DWORD
	s_andn2_b64 s[4:5], s[4:5], exec
	s_and_b64 s[8:9], s[8:9], exec
	s_or_b64 s[4:5], s[4:5], s[8:9]
	s_or_b64 exec, exec, s[6:7]
	s_and_saveexec_b64 s[6:7], s[4:5]
	s_cbranch_execnz .LBB7_775
	s_branch .LBB7_776
.LBB7_2825:
	s_movk_i32 s4, 0x80
	v_cmp_eq_u16_sdwa s[12:13], v21, s4 src0_sel:BYTE_0 src1_sel:DWORD
	s_mov_b64 s[4:5], -1
                                        ; implicit-def: $sgpr10
	s_and_saveexec_b64 s[8:9], s[12:13]
; %bb.2826:
	s_mov_b32 s10, 0x7f800001
	s_xor_b64 s[4:5], exec, -1
; %bb.2827:
	s_or_b64 exec, exec, s[8:9]
	s_and_b64 s[4:5], s[4:5], exec
	s_or_saveexec_b64 s[6:7], s[6:7]
	v_mov_b32_e32 v20, s10
	s_xor_b64 exec, exec, s[6:7]
	s_cbranch_execz .LBB7_778
.LBB7_2828:
	v_mov_b32_e32 v20, 0
	v_cmp_ne_u16_sdwa s[8:9], v21, v20 src0_sel:BYTE_0 src1_sel:DWORD
	s_andn2_b64 s[4:5], s[4:5], exec
	s_and_b64 s[8:9], s[8:9], exec
	s_or_b64 s[4:5], s[4:5], s[8:9]
	s_or_b64 exec, exec, s[6:7]
	s_and_saveexec_b64 s[6:7], s[4:5]
	s_cbranch_execnz .LBB7_779
	s_branch .LBB7_780
.LBB7_2829:
	s_movk_i32 s4, 0x80
	v_cmp_eq_u16_sdwa s[12:13], v21, s4 src0_sel:BYTE_0 src1_sel:DWORD
	s_mov_b64 s[4:5], -1
                                        ; implicit-def: $sgpr10
	s_and_saveexec_b64 s[8:9], s[12:13]
; %bb.2830:
	s_mov_b32 s10, 0x7f800001
	s_xor_b64 s[4:5], exec, -1
; %bb.2831:
	s_or_b64 exec, exec, s[8:9]
	s_and_b64 s[4:5], s[4:5], exec
	s_or_saveexec_b64 s[6:7], s[6:7]
	v_mov_b32_e32 v22, s10
	s_xor_b64 exec, exec, s[6:7]
	s_cbranch_execz .LBB7_782
.LBB7_2832:
	v_mov_b32_e32 v22, 0
	v_cmp_ne_u16_sdwa s[8:9], v21, v22 src0_sel:BYTE_0 src1_sel:DWORD
	s_andn2_b64 s[4:5], s[4:5], exec
	s_and_b64 s[8:9], s[8:9], exec
	s_or_b64 s[4:5], s[4:5], s[8:9]
	s_or_b64 exec, exec, s[6:7]
	s_and_saveexec_b64 s[6:7], s[4:5]
	s_cbranch_execnz .LBB7_783
	s_branch .LBB7_784
.LBB7_2833:
	s_movk_i32 s4, 0x80
	v_cmp_eq_u16_e32 vcc, s4, v21
	s_mov_b64 s[4:5], -1
                                        ; implicit-def: $sgpr10
	s_and_saveexec_b64 s[8:9], vcc
; %bb.2834:
	s_mov_b32 s10, 0x7f800001
	s_xor_b64 s[4:5], exec, -1
; %bb.2835:
	s_or_b64 exec, exec, s[8:9]
	s_and_b64 s[4:5], s[4:5], exec
                                        ; implicit-def: $vgpr21
	s_or_saveexec_b64 s[6:7], s[6:7]
	v_mov_b32_e32 v20, s10
	s_xor_b64 exec, exec, s[6:7]
	s_cbranch_execz .LBB7_786
.LBB7_2836:
	v_cmp_ne_u16_e32 vcc, 0, v21
	s_andn2_b64 s[4:5], s[4:5], exec
	s_and_b64 s[8:9], vcc, exec
	v_mov_b32_e32 v20, 0
	s_or_b64 s[4:5], s[4:5], s[8:9]
	s_or_b64 exec, exec, s[6:7]
	s_and_saveexec_b64 s[6:7], s[4:5]
	s_cbranch_execnz .LBB7_787
	s_branch .LBB7_788
.LBB7_2837:
	s_movk_i32 s4, 0x80
	v_cmp_eq_u16_e32 vcc, s4, v21
	s_mov_b64 s[4:5], -1
                                        ; implicit-def: $sgpr10
	s_and_saveexec_b64 s[8:9], vcc
; %bb.2838:
	s_mov_b32 s10, 0x7f800001
	s_xor_b64 s[4:5], exec, -1
; %bb.2839:
	s_or_b64 exec, exec, s[8:9]
	s_and_b64 s[4:5], s[4:5], exec
                                        ; implicit-def: $vgpr21
	s_or_saveexec_b64 s[6:7], s[6:7]
	v_mov_b32_e32 v22, s10
	s_xor_b64 exec, exec, s[6:7]
	s_cbranch_execz .LBB7_790
.LBB7_2840:
	v_cmp_ne_u16_e32 vcc, 0, v21
	s_andn2_b64 s[4:5], s[4:5], exec
	s_and_b64 s[8:9], vcc, exec
	v_mov_b32_e32 v22, 0
	s_or_b64 s[4:5], s[4:5], s[8:9]
	s_or_b64 exec, exec, s[6:7]
	s_and_saveexec_b64 s[6:7], s[4:5]
	s_cbranch_execnz .LBB7_791
	s_branch .LBB7_792
.LBB7_2841:
	s_movk_i32 s4, 0x80
	v_cmp_eq_u16_sdwa s[12:13], v14, s4 src0_sel:BYTE_3 src1_sel:DWORD
	s_mov_b64 s[4:5], -1
                                        ; implicit-def: $sgpr10
	s_and_saveexec_b64 s[8:9], s[12:13]
; %bb.2842:
	s_mov_b32 s10, 0x7f800001
	s_xor_b64 s[4:5], exec, -1
; %bb.2843:
	s_or_b64 exec, exec, s[8:9]
	s_and_b64 s[4:5], s[4:5], exec
	s_or_saveexec_b64 s[6:7], s[6:7]
	v_mov_b32_e32 v20, s10
	s_xor_b64 exec, exec, s[6:7]
	s_cbranch_execz .LBB7_794
.LBB7_2844:
	v_mov_b32_e32 v20, 0
	v_cmp_ne_u16_sdwa s[8:9], v14, v20 src0_sel:BYTE_3 src1_sel:DWORD
	s_andn2_b64 s[4:5], s[4:5], exec
	s_and_b64 s[8:9], s[8:9], exec
	s_or_b64 s[4:5], s[4:5], s[8:9]
	s_or_b64 exec, exec, s[6:7]
	s_and_saveexec_b64 s[6:7], s[4:5]
	s_cbranch_execnz .LBB7_795
	s_branch .LBB7_796
.LBB7_2845:
	s_movk_i32 s4, 0x80
	v_cmp_eq_u16_sdwa s[12:13], v10, s4 src0_sel:BYTE_3 src1_sel:DWORD
	s_mov_b64 s[4:5], -1
                                        ; implicit-def: $sgpr10
	s_and_saveexec_b64 s[8:9], s[12:13]
; %bb.2846:
	s_mov_b32 s10, 0x7f800001
	s_xor_b64 s[4:5], exec, -1
; %bb.2847:
	s_or_b64 exec, exec, s[8:9]
	s_and_b64 s[4:5], s[4:5], exec
	s_or_saveexec_b64 s[6:7], s[6:7]
	v_mov_b32_e32 v14, s10
	s_xor_b64 exec, exec, s[6:7]
	s_cbranch_execz .LBB7_798
.LBB7_2848:
	v_mov_b32_e32 v14, 0
	v_cmp_ne_u16_sdwa s[8:9], v10, v14 src0_sel:BYTE_3 src1_sel:DWORD
	s_andn2_b64 s[4:5], s[4:5], exec
	s_and_b64 s[8:9], s[8:9], exec
	s_or_b64 s[4:5], s[4:5], s[8:9]
	s_or_b64 exec, exec, s[6:7]
	s_and_saveexec_b64 s[6:7], s[4:5]
	s_cbranch_execnz .LBB7_799
	s_branch .LBB7_800
.LBB7_2849:
	s_movk_i32 s4, 0x80
	v_cmp_eq_u16_sdwa s[12:13], v15, s4 src0_sel:BYTE_0 src1_sel:DWORD
	s_mov_b64 s[4:5], -1
                                        ; implicit-def: $sgpr10
	s_and_saveexec_b64 s[8:9], s[12:13]
; %bb.2850:
	s_mov_b32 s10, 0x7f800001
	s_xor_b64 s[4:5], exec, -1
; %bb.2851:
	s_or_b64 exec, exec, s[8:9]
	s_and_b64 s[4:5], s[4:5], exec
	s_or_saveexec_b64 s[6:7], s[6:7]
	v_mov_b32_e32 v10, s10
	s_xor_b64 exec, exec, s[6:7]
	s_cbranch_execz .LBB7_802
.LBB7_2852:
	v_mov_b32_e32 v10, 0
	v_cmp_ne_u16_sdwa s[8:9], v15, v10 src0_sel:BYTE_0 src1_sel:DWORD
	s_andn2_b64 s[4:5], s[4:5], exec
	s_and_b64 s[8:9], s[8:9], exec
	s_or_b64 s[4:5], s[4:5], s[8:9]
	s_or_b64 exec, exec, s[6:7]
	s_and_saveexec_b64 s[6:7], s[4:5]
	s_cbranch_execnz .LBB7_803
	s_branch .LBB7_804
.LBB7_2853:
	s_movk_i32 s4, 0x80
	v_cmp_eq_u16_sdwa s[12:13], v11, s4 src0_sel:BYTE_0 src1_sel:DWORD
	s_mov_b64 s[4:5], -1
                                        ; implicit-def: $sgpr10
	s_and_saveexec_b64 s[8:9], s[12:13]
; %bb.2854:
	s_mov_b32 s10, 0x7f800001
	s_xor_b64 s[4:5], exec, -1
; %bb.2855:
	s_or_b64 exec, exec, s[8:9]
	s_and_b64 s[4:5], s[4:5], exec
	s_or_saveexec_b64 s[6:7], s[6:7]
	v_mov_b32_e32 v14, s10
	s_xor_b64 exec, exec, s[6:7]
	s_cbranch_execz .LBB7_806
.LBB7_2856:
	v_mov_b32_e32 v14, 0
	v_cmp_ne_u16_sdwa s[8:9], v11, v14 src0_sel:BYTE_0 src1_sel:DWORD
	s_andn2_b64 s[4:5], s[4:5], exec
	s_and_b64 s[8:9], s[8:9], exec
	s_or_b64 s[4:5], s[4:5], s[8:9]
	s_or_b64 exec, exec, s[6:7]
	s_and_saveexec_b64 s[6:7], s[4:5]
	s_cbranch_execnz .LBB7_807
	s_branch .LBB7_808
.LBB7_2857:
	s_movk_i32 s4, 0x80
	v_cmp_eq_u16_sdwa s[12:13], v14, s4 src0_sel:BYTE_0 src1_sel:DWORD
	s_mov_b64 s[4:5], -1
                                        ; implicit-def: $sgpr10
	s_and_saveexec_b64 s[8:9], s[12:13]
; %bb.2858:
	s_mov_b32 s10, 0x7f800001
	s_xor_b64 s[4:5], exec, -1
; %bb.2859:
	s_or_b64 exec, exec, s[8:9]
	s_and_b64 s[4:5], s[4:5], exec
	s_or_saveexec_b64 s[6:7], s[6:7]
	v_mov_b32_e32 v10, s10
	s_xor_b64 exec, exec, s[6:7]
	s_cbranch_execz .LBB7_810
.LBB7_2860:
	v_mov_b32_e32 v10, 0
	v_cmp_ne_u16_sdwa s[8:9], v14, v10 src0_sel:BYTE_0 src1_sel:DWORD
	s_andn2_b64 s[4:5], s[4:5], exec
	s_and_b64 s[8:9], s[8:9], exec
	s_or_b64 s[4:5], s[4:5], s[8:9]
	s_or_b64 exec, exec, s[6:7]
	s_and_saveexec_b64 s[6:7], s[4:5]
	s_cbranch_execnz .LBB7_811
	s_branch .LBB7_812
.LBB7_2861:
	s_movk_i32 s4, 0x80
	v_cmp_eq_u16_sdwa s[12:13], v14, s4 src0_sel:BYTE_0 src1_sel:DWORD
	s_mov_b64 s[4:5], -1
                                        ; implicit-def: $sgpr10
	s_and_saveexec_b64 s[8:9], s[12:13]
; %bb.2862:
	s_mov_b32 s10, 0x7f800001
	s_xor_b64 s[4:5], exec, -1
; %bb.2863:
	s_or_b64 exec, exec, s[8:9]
	s_and_b64 s[4:5], s[4:5], exec
	s_or_saveexec_b64 s[6:7], s[6:7]
	v_mov_b32_e32 v20, s10
	s_xor_b64 exec, exec, s[6:7]
	s_cbranch_execz .LBB7_814
.LBB7_2864:
	v_mov_b32_e32 v20, 0
	v_cmp_ne_u16_sdwa s[8:9], v14, v20 src0_sel:BYTE_0 src1_sel:DWORD
	s_andn2_b64 s[4:5], s[4:5], exec
	s_and_b64 s[8:9], s[8:9], exec
	s_or_b64 s[4:5], s[4:5], s[8:9]
	s_or_b64 exec, exec, s[6:7]
	s_and_saveexec_b64 s[6:7], s[4:5]
	s_cbranch_execnz .LBB7_815
	s_branch .LBB7_816
.LBB7_2865:
	s_movk_i32 s4, 0x80
	v_cmp_eq_u16_e32 vcc, s4, v14
	s_mov_b64 s[4:5], -1
                                        ; implicit-def: $sgpr10
	s_and_saveexec_b64 s[8:9], vcc
; %bb.2866:
	s_mov_b32 s10, 0x7f800001
	s_xor_b64 s[4:5], exec, -1
; %bb.2867:
	s_or_b64 exec, exec, s[8:9]
	s_and_b64 s[4:5], s[4:5], exec
                                        ; implicit-def: $vgpr14
	s_or_saveexec_b64 s[6:7], s[6:7]
	v_mov_b32_e32 v10, s10
	s_xor_b64 exec, exec, s[6:7]
	s_cbranch_execz .LBB7_818
.LBB7_2868:
	v_cmp_ne_u16_e32 vcc, 0, v14
	s_andn2_b64 s[4:5], s[4:5], exec
	s_and_b64 s[8:9], vcc, exec
	v_mov_b32_e32 v10, 0
	s_or_b64 s[4:5], s[4:5], s[8:9]
	s_or_b64 exec, exec, s[6:7]
	s_and_saveexec_b64 s[6:7], s[4:5]
	s_cbranch_execnz .LBB7_819
	s_branch .LBB7_820
.LBB7_2869:
	s_movk_i32 s4, 0x80
	v_cmp_eq_u16_e32 vcc, s4, v14
	s_mov_b64 s[4:5], -1
                                        ; implicit-def: $sgpr10
	s_and_saveexec_b64 s[8:9], vcc
; %bb.2870:
	s_mov_b32 s10, 0x7f800001
	s_xor_b64 s[4:5], exec, -1
; %bb.2871:
	s_or_b64 exec, exec, s[8:9]
	s_and_b64 s[4:5], s[4:5], exec
                                        ; implicit-def: $vgpr14
	s_or_saveexec_b64 s[6:7], s[6:7]
	v_mov_b32_e32 v20, s10
	s_xor_b64 exec, exec, s[6:7]
	s_cbranch_execz .LBB7_822
.LBB7_2872:
	v_cmp_ne_u16_e32 vcc, 0, v14
	s_andn2_b64 s[4:5], s[4:5], exec
	s_and_b64 s[8:9], vcc, exec
	v_mov_b32_e32 v20, 0
	s_or_b64 s[4:5], s[4:5], s[8:9]
	s_or_b64 exec, exec, s[6:7]
	s_and_saveexec_b64 s[6:7], s[4:5]
	s_cbranch_execnz .LBB7_823
	s_branch .LBB7_824
.LBB7_2873:
	s_movk_i32 s4, 0x80
	v_cmp_eq_u16_sdwa s[12:13], v15, s4 src0_sel:BYTE_3 src1_sel:DWORD
	s_mov_b64 s[4:5], -1
                                        ; implicit-def: $sgpr10
	s_and_saveexec_b64 s[8:9], s[12:13]
; %bb.2874:
	s_mov_b32 s10, 0x7f800001
	s_xor_b64 s[4:5], exec, -1
; %bb.2875:
	s_or_b64 exec, exec, s[8:9]
	s_and_b64 s[4:5], s[4:5], exec
	s_or_saveexec_b64 s[6:7], s[6:7]
	v_mov_b32_e32 v10, s10
	s_xor_b64 exec, exec, s[6:7]
	s_cbranch_execz .LBB7_826
.LBB7_2876:
	v_mov_b32_e32 v10, 0
	v_cmp_ne_u16_sdwa s[8:9], v15, v10 src0_sel:BYTE_3 src1_sel:DWORD
	s_andn2_b64 s[4:5], s[4:5], exec
	s_and_b64 s[8:9], s[8:9], exec
	s_or_b64 s[4:5], s[4:5], s[8:9]
	s_or_b64 exec, exec, s[6:7]
	s_and_saveexec_b64 s[6:7], s[4:5]
	s_cbranch_execnz .LBB7_827
	s_branch .LBB7_828
.LBB7_2877:
	s_movk_i32 s4, 0x80
	v_cmp_eq_u16_sdwa s[12:13], v11, s4 src0_sel:BYTE_3 src1_sel:DWORD
	s_mov_b64 s[4:5], -1
                                        ; implicit-def: $sgpr10
	s_and_saveexec_b64 s[8:9], s[12:13]
; %bb.2878:
	s_mov_b32 s10, 0x7f800001
	s_xor_b64 s[4:5], exec, -1
; %bb.2879:
	s_or_b64 exec, exec, s[8:9]
	s_and_b64 s[4:5], s[4:5], exec
	s_or_saveexec_b64 s[6:7], s[6:7]
	v_mov_b32_e32 v14, s10
	s_xor_b64 exec, exec, s[6:7]
	s_cbranch_execz .LBB7_830
.LBB7_2880:
	v_mov_b32_e32 v14, 0
	v_cmp_ne_u16_sdwa s[8:9], v11, v14 src0_sel:BYTE_3 src1_sel:DWORD
	s_andn2_b64 s[4:5], s[4:5], exec
	s_and_b64 s[8:9], s[8:9], exec
	s_or_b64 s[4:5], s[4:5], s[8:9]
	s_or_b64 exec, exec, s[6:7]
	s_and_saveexec_b64 s[6:7], s[4:5]
	s_cbranch_execnz .LBB7_831
	s_branch .LBB7_832
.LBB7_2881:
	s_movk_i32 s4, 0x80
	v_cmp_eq_u16_sdwa s[12:13], v16, s4 src0_sel:BYTE_0 src1_sel:DWORD
	s_mov_b64 s[4:5], -1
                                        ; implicit-def: $sgpr10
	s_and_saveexec_b64 s[8:9], s[12:13]
; %bb.2882:
	s_mov_b32 s10, 0x7f800001
	s_xor_b64 s[4:5], exec, -1
; %bb.2883:
	s_or_b64 exec, exec, s[8:9]
	s_and_b64 s[4:5], s[4:5], exec
	s_or_saveexec_b64 s[6:7], s[6:7]
	v_mov_b32_e32 v10, s10
	s_xor_b64 exec, exec, s[6:7]
	s_cbranch_execz .LBB7_834
.LBB7_2884:
	v_mov_b32_e32 v10, 0
	v_cmp_ne_u16_sdwa s[8:9], v16, v10 src0_sel:BYTE_0 src1_sel:DWORD
	s_andn2_b64 s[4:5], s[4:5], exec
	s_and_b64 s[8:9], s[8:9], exec
	s_or_b64 s[4:5], s[4:5], s[8:9]
	s_or_b64 exec, exec, s[6:7]
	s_and_saveexec_b64 s[6:7], s[4:5]
	s_cbranch_execnz .LBB7_835
	s_branch .LBB7_836
.LBB7_2885:
	s_movk_i32 s4, 0x80
	v_cmp_eq_u16_sdwa s[12:13], v12, s4 src0_sel:BYTE_0 src1_sel:DWORD
	s_mov_b64 s[4:5], -1
                                        ; implicit-def: $sgpr10
	s_and_saveexec_b64 s[8:9], s[12:13]
; %bb.2886:
	s_mov_b32 s10, 0x7f800001
	s_xor_b64 s[4:5], exec, -1
; %bb.2887:
	s_or_b64 exec, exec, s[8:9]
	s_and_b64 s[4:5], s[4:5], exec
	s_or_saveexec_b64 s[6:7], s[6:7]
	v_mov_b32_e32 v11, s10
	s_xor_b64 exec, exec, s[6:7]
	s_cbranch_execz .LBB7_838
.LBB7_2888:
	v_mov_b32_e32 v11, 0
	v_cmp_ne_u16_sdwa s[8:9], v12, v11 src0_sel:BYTE_0 src1_sel:DWORD
	s_andn2_b64 s[4:5], s[4:5], exec
	s_and_b64 s[8:9], s[8:9], exec
	s_or_b64 s[4:5], s[4:5], s[8:9]
	s_or_b64 exec, exec, s[6:7]
	s_and_saveexec_b64 s[6:7], s[4:5]
	s_cbranch_execnz .LBB7_839
	s_branch .LBB7_840
.LBB7_2889:
	s_movk_i32 s4, 0x80
	v_cmp_eq_u16_sdwa s[12:13], v11, s4 src0_sel:BYTE_0 src1_sel:DWORD
	s_mov_b64 s[4:5], -1
                                        ; implicit-def: $sgpr10
	s_and_saveexec_b64 s[8:9], s[12:13]
; %bb.2890:
	s_mov_b32 s10, 0x7f800001
	s_xor_b64 s[4:5], exec, -1
; %bb.2891:
	s_or_b64 exec, exec, s[8:9]
	s_and_b64 s[4:5], s[4:5], exec
	s_or_saveexec_b64 s[6:7], s[6:7]
	v_mov_b32_e32 v10, s10
	s_xor_b64 exec, exec, s[6:7]
	s_cbranch_execz .LBB7_842
.LBB7_2892:
	v_mov_b32_e32 v10, 0
	v_cmp_ne_u16_sdwa s[8:9], v11, v10 src0_sel:BYTE_0 src1_sel:DWORD
	s_andn2_b64 s[4:5], s[4:5], exec
	s_and_b64 s[8:9], s[8:9], exec
	s_or_b64 s[4:5], s[4:5], s[8:9]
	s_or_b64 exec, exec, s[6:7]
	s_and_saveexec_b64 s[6:7], s[4:5]
	s_cbranch_execnz .LBB7_843
	s_branch .LBB7_844
.LBB7_2893:
	s_movk_i32 s4, 0x80
	v_cmp_eq_u16_sdwa s[12:13], v11, s4 src0_sel:BYTE_0 src1_sel:DWORD
	s_mov_b64 s[4:5], -1
                                        ; implicit-def: $sgpr10
	s_and_saveexec_b64 s[8:9], s[12:13]
; %bb.2894:
	s_mov_b32 s10, 0x7f800001
	s_xor_b64 s[4:5], exec, -1
; %bb.2895:
	s_or_b64 exec, exec, s[8:9]
	s_and_b64 s[4:5], s[4:5], exec
	s_or_saveexec_b64 s[6:7], s[6:7]
	v_mov_b32_e32 v14, s10
	s_xor_b64 exec, exec, s[6:7]
	s_cbranch_execz .LBB7_846
.LBB7_2896:
	v_mov_b32_e32 v14, 0
	v_cmp_ne_u16_sdwa s[8:9], v11, v14 src0_sel:BYTE_0 src1_sel:DWORD
	s_andn2_b64 s[4:5], s[4:5], exec
	s_and_b64 s[8:9], s[8:9], exec
	s_or_b64 s[4:5], s[4:5], s[8:9]
	s_or_b64 exec, exec, s[6:7]
	s_and_saveexec_b64 s[6:7], s[4:5]
	s_cbranch_execnz .LBB7_847
	s_branch .LBB7_848
.LBB7_2897:
	s_movk_i32 s4, 0x80
	v_cmp_eq_u16_e32 vcc, s4, v11
	s_mov_b64 s[4:5], -1
                                        ; implicit-def: $sgpr10
	s_and_saveexec_b64 s[8:9], vcc
; %bb.2898:
	s_mov_b32 s10, 0x7f800001
	s_xor_b64 s[4:5], exec, -1
; %bb.2899:
	s_or_b64 exec, exec, s[8:9]
	s_and_b64 s[4:5], s[4:5], exec
                                        ; implicit-def: $vgpr11
	s_or_saveexec_b64 s[6:7], s[6:7]
	v_mov_b32_e32 v10, s10
	s_xor_b64 exec, exec, s[6:7]
	s_cbranch_execz .LBB7_850
.LBB7_2900:
	v_cmp_ne_u16_e32 vcc, 0, v11
	s_andn2_b64 s[4:5], s[4:5], exec
	s_and_b64 s[8:9], vcc, exec
	v_mov_b32_e32 v10, 0
	s_or_b64 s[4:5], s[4:5], s[8:9]
	s_or_b64 exec, exec, s[6:7]
	s_and_saveexec_b64 s[6:7], s[4:5]
	s_cbranch_execnz .LBB7_851
	s_branch .LBB7_852
.LBB7_2901:
	s_movk_i32 s4, 0x80
	v_cmp_eq_u16_e32 vcc, s4, v11
	s_mov_b64 s[4:5], -1
                                        ; implicit-def: $sgpr10
	s_and_saveexec_b64 s[8:9], vcc
; %bb.2902:
	s_mov_b32 s10, 0x7f800001
	s_xor_b64 s[4:5], exec, -1
; %bb.2903:
	s_or_b64 exec, exec, s[8:9]
	s_and_b64 s[4:5], s[4:5], exec
                                        ; implicit-def: $vgpr11
	s_or_saveexec_b64 s[6:7], s[6:7]
	v_mov_b32_e32 v14, s10
	s_xor_b64 exec, exec, s[6:7]
	s_cbranch_execz .LBB7_854
.LBB7_2904:
	v_cmp_ne_u16_e32 vcc, 0, v11
	s_andn2_b64 s[4:5], s[4:5], exec
	s_and_b64 s[8:9], vcc, exec
	v_mov_b32_e32 v14, 0
	s_or_b64 s[4:5], s[4:5], s[8:9]
	s_or_b64 exec, exec, s[6:7]
	s_and_saveexec_b64 s[6:7], s[4:5]
	s_cbranch_execnz .LBB7_855
	s_branch .LBB7_856
.LBB7_2905:
	s_movk_i32 s4, 0x80
	v_cmp_eq_u16_sdwa s[12:13], v16, s4 src0_sel:BYTE_3 src1_sel:DWORD
	s_mov_b64 s[4:5], -1
                                        ; implicit-def: $sgpr10
	s_and_saveexec_b64 s[8:9], s[12:13]
; %bb.2906:
	s_mov_b32 s10, 0x7f800001
	s_xor_b64 s[4:5], exec, -1
; %bb.2907:
	s_or_b64 exec, exec, s[8:9]
	s_and_b64 s[4:5], s[4:5], exec
	s_or_saveexec_b64 s[6:7], s[6:7]
	v_mov_b32_e32 v10, s10
	s_xor_b64 exec, exec, s[6:7]
	s_cbranch_execz .LBB7_858
.LBB7_2908:
	v_mov_b32_e32 v10, 0
	v_cmp_ne_u16_sdwa s[8:9], v16, v10 src0_sel:BYTE_3 src1_sel:DWORD
	s_andn2_b64 s[4:5], s[4:5], exec
	s_and_b64 s[8:9], s[8:9], exec
	s_or_b64 s[4:5], s[4:5], s[8:9]
	s_or_b64 exec, exec, s[6:7]
	s_and_saveexec_b64 s[6:7], s[4:5]
	s_cbranch_execnz .LBB7_859
	s_branch .LBB7_860
.LBB7_2909:
	s_movk_i32 s4, 0x80
	v_cmp_eq_u16_sdwa s[12:13], v12, s4 src0_sel:BYTE_3 src1_sel:DWORD
	s_mov_b64 s[4:5], -1
                                        ; implicit-def: $sgpr10
	s_and_saveexec_b64 s[8:9], s[12:13]
; %bb.2910:
	s_mov_b32 s10, 0x7f800001
	s_xor_b64 s[4:5], exec, -1
; %bb.2911:
	s_or_b64 exec, exec, s[8:9]
	s_and_b64 s[4:5], s[4:5], exec
	s_or_saveexec_b64 s[6:7], s[6:7]
	v_mov_b32_e32 v11, s10
	s_xor_b64 exec, exec, s[6:7]
	s_cbranch_execz .LBB7_862
.LBB7_2912:
	v_mov_b32_e32 v11, 0
	v_cmp_ne_u16_sdwa s[8:9], v12, v11 src0_sel:BYTE_3 src1_sel:DWORD
	s_andn2_b64 s[4:5], s[4:5], exec
	s_and_b64 s[8:9], s[8:9], exec
	s_or_b64 s[4:5], s[4:5], s[8:9]
	s_or_b64 exec, exec, s[6:7]
	s_and_saveexec_b64 s[6:7], s[4:5]
	s_cbranch_execnz .LBB7_863
	s_branch .LBB7_864
.LBB7_2913:
	s_movk_i32 s4, 0x80
	v_cmp_eq_u16_sdwa s[12:13], v17, s4 src0_sel:BYTE_0 src1_sel:DWORD
	s_mov_b64 s[4:5], -1
                                        ; implicit-def: $sgpr10
	s_and_saveexec_b64 s[8:9], s[12:13]
; %bb.2914:
	s_mov_b32 s10, 0x7f800001
	s_xor_b64 s[4:5], exec, -1
; %bb.2915:
	s_or_b64 exec, exec, s[8:9]
	s_and_b64 s[4:5], s[4:5], exec
	s_or_saveexec_b64 s[6:7], s[6:7]
	v_mov_b32_e32 v10, s10
	s_xor_b64 exec, exec, s[6:7]
	s_cbranch_execz .LBB7_866
.LBB7_2916:
	v_mov_b32_e32 v10, 0
	v_cmp_ne_u16_sdwa s[8:9], v17, v10 src0_sel:BYTE_0 src1_sel:DWORD
	s_andn2_b64 s[4:5], s[4:5], exec
	s_and_b64 s[8:9], s[8:9], exec
	s_or_b64 s[4:5], s[4:5], s[8:9]
	s_or_b64 exec, exec, s[6:7]
	s_and_saveexec_b64 s[6:7], s[4:5]
	s_cbranch_execnz .LBB7_867
	s_branch .LBB7_868
.LBB7_2917:
	s_movk_i32 s4, 0x80
	v_cmp_eq_u16_sdwa s[12:13], v13, s4 src0_sel:BYTE_0 src1_sel:DWORD
	s_mov_b64 s[4:5], -1
                                        ; implicit-def: $sgpr10
	s_and_saveexec_b64 s[8:9], s[12:13]
; %bb.2918:
	s_mov_b32 s10, 0x7f800001
	s_xor_b64 s[4:5], exec, -1
; %bb.2919:
	s_or_b64 exec, exec, s[8:9]
	s_and_b64 s[4:5], s[4:5], exec
	s_or_saveexec_b64 s[6:7], s[6:7]
	v_mov_b32_e32 v11, s10
	s_xor_b64 exec, exec, s[6:7]
	s_cbranch_execz .LBB7_870
.LBB7_2920:
	v_mov_b32_e32 v11, 0
	v_cmp_ne_u16_sdwa s[8:9], v13, v11 src0_sel:BYTE_0 src1_sel:DWORD
	s_andn2_b64 s[4:5], s[4:5], exec
	s_and_b64 s[8:9], s[8:9], exec
	s_or_b64 s[4:5], s[4:5], s[8:9]
	s_or_b64 exec, exec, s[6:7]
	s_and_saveexec_b64 s[6:7], s[4:5]
	s_cbranch_execnz .LBB7_871
	s_branch .LBB7_872
.LBB7_2921:
	s_movk_i32 s4, 0x80
	v_cmp_eq_u16_sdwa s[12:13], v11, s4 src0_sel:BYTE_0 src1_sel:DWORD
	s_mov_b64 s[4:5], -1
                                        ; implicit-def: $sgpr10
	s_and_saveexec_b64 s[8:9], s[12:13]
; %bb.2922:
	s_mov_b32 s10, 0x7f800001
	s_xor_b64 s[4:5], exec, -1
; %bb.2923:
	s_or_b64 exec, exec, s[8:9]
	s_and_b64 s[4:5], s[4:5], exec
	s_or_saveexec_b64 s[6:7], s[6:7]
	v_mov_b32_e32 v10, s10
	s_xor_b64 exec, exec, s[6:7]
	s_cbranch_execz .LBB7_874
.LBB7_2924:
	v_mov_b32_e32 v10, 0
	v_cmp_ne_u16_sdwa s[8:9], v11, v10 src0_sel:BYTE_0 src1_sel:DWORD
	s_andn2_b64 s[4:5], s[4:5], exec
	s_and_b64 s[8:9], s[8:9], exec
	s_or_b64 s[4:5], s[4:5], s[8:9]
	s_or_b64 exec, exec, s[6:7]
	s_and_saveexec_b64 s[6:7], s[4:5]
	s_cbranch_execnz .LBB7_875
	s_branch .LBB7_876
.LBB7_2925:
	s_movk_i32 s4, 0x80
	v_cmp_eq_u16_sdwa s[12:13], v11, s4 src0_sel:BYTE_0 src1_sel:DWORD
	s_mov_b64 s[4:5], -1
                                        ; implicit-def: $sgpr10
	s_and_saveexec_b64 s[8:9], s[12:13]
; %bb.2926:
	s_mov_b32 s10, 0x7f800001
	s_xor_b64 s[4:5], exec, -1
; %bb.2927:
	s_or_b64 exec, exec, s[8:9]
	s_and_b64 s[4:5], s[4:5], exec
	s_or_saveexec_b64 s[6:7], s[6:7]
	v_mov_b32_e32 v12, s10
	s_xor_b64 exec, exec, s[6:7]
	s_cbranch_execz .LBB7_878
.LBB7_2928:
	v_mov_b32_e32 v12, 0
	v_cmp_ne_u16_sdwa s[8:9], v11, v12 src0_sel:BYTE_0 src1_sel:DWORD
	s_andn2_b64 s[4:5], s[4:5], exec
	s_and_b64 s[8:9], s[8:9], exec
	s_or_b64 s[4:5], s[4:5], s[8:9]
	s_or_b64 exec, exec, s[6:7]
	s_and_saveexec_b64 s[6:7], s[4:5]
	s_cbranch_execnz .LBB7_879
	s_branch .LBB7_880
.LBB7_2929:
	s_movk_i32 s4, 0x80
	v_cmp_eq_u16_e32 vcc, s4, v11
	s_mov_b64 s[4:5], -1
                                        ; implicit-def: $sgpr10
	s_and_saveexec_b64 s[8:9], vcc
; %bb.2930:
	s_mov_b32 s10, 0x7f800001
	s_xor_b64 s[4:5], exec, -1
; %bb.2931:
	s_or_b64 exec, exec, s[8:9]
	s_and_b64 s[4:5], s[4:5], exec
                                        ; implicit-def: $vgpr11
	s_or_saveexec_b64 s[6:7], s[6:7]
	v_mov_b32_e32 v10, s10
	s_xor_b64 exec, exec, s[6:7]
	s_cbranch_execz .LBB7_882
.LBB7_2932:
	v_cmp_ne_u16_e32 vcc, 0, v11
	s_andn2_b64 s[4:5], s[4:5], exec
	s_and_b64 s[8:9], vcc, exec
	v_mov_b32_e32 v10, 0
	s_or_b64 s[4:5], s[4:5], s[8:9]
	s_or_b64 exec, exec, s[6:7]
	s_and_saveexec_b64 s[6:7], s[4:5]
	s_cbranch_execnz .LBB7_883
	s_branch .LBB7_884
.LBB7_2933:
	s_movk_i32 s4, 0x80
	v_cmp_eq_u16_e32 vcc, s4, v11
	s_mov_b64 s[4:5], -1
                                        ; implicit-def: $sgpr10
	s_and_saveexec_b64 s[8:9], vcc
; %bb.2934:
	s_mov_b32 s10, 0x7f800001
	s_xor_b64 s[4:5], exec, -1
; %bb.2935:
	s_or_b64 exec, exec, s[8:9]
	s_and_b64 s[4:5], s[4:5], exec
                                        ; implicit-def: $vgpr11
	s_or_saveexec_b64 s[6:7], s[6:7]
	v_mov_b32_e32 v12, s10
	s_xor_b64 exec, exec, s[6:7]
	s_cbranch_execz .LBB7_886
.LBB7_2936:
	v_cmp_ne_u16_e32 vcc, 0, v11
	s_andn2_b64 s[4:5], s[4:5], exec
	s_and_b64 s[8:9], vcc, exec
	v_mov_b32_e32 v12, 0
	s_or_b64 s[4:5], s[4:5], s[8:9]
	s_or_b64 exec, exec, s[6:7]
	s_and_saveexec_b64 s[6:7], s[4:5]
	s_cbranch_execnz .LBB7_887
	s_branch .LBB7_888
.LBB7_2937:
	s_movk_i32 s4, 0x80
	v_cmp_eq_u16_sdwa s[12:13], v17, s4 src0_sel:BYTE_3 src1_sel:DWORD
	s_mov_b64 s[4:5], -1
                                        ; implicit-def: $sgpr10
	s_and_saveexec_b64 s[8:9], s[12:13]
; %bb.2938:
	s_mov_b32 s10, 0x7f800001
	s_xor_b64 s[4:5], exec, -1
; %bb.2939:
	s_or_b64 exec, exec, s[8:9]
	s_and_b64 s[4:5], s[4:5], exec
	s_or_saveexec_b64 s[6:7], s[6:7]
	v_mov_b32_e32 v10, s10
	s_xor_b64 exec, exec, s[6:7]
	s_cbranch_execz .LBB7_890
.LBB7_2940:
	v_mov_b32_e32 v10, 0
	v_cmp_ne_u16_sdwa s[8:9], v17, v10 src0_sel:BYTE_3 src1_sel:DWORD
	s_andn2_b64 s[4:5], s[4:5], exec
	s_and_b64 s[8:9], s[8:9], exec
	s_or_b64 s[4:5], s[4:5], s[8:9]
	s_or_b64 exec, exec, s[6:7]
	s_and_saveexec_b64 s[6:7], s[4:5]
	s_cbranch_execnz .LBB7_891
	s_branch .LBB7_892
.LBB7_2941:
	s_movk_i32 s4, 0x80
	v_cmp_eq_u16_sdwa s[12:13], v13, s4 src0_sel:BYTE_3 src1_sel:DWORD
	s_mov_b64 s[4:5], -1
                                        ; implicit-def: $sgpr10
	s_and_saveexec_b64 s[8:9], s[12:13]
; %bb.2942:
	s_mov_b32 s10, 0x7f800001
	s_xor_b64 s[4:5], exec, -1
; %bb.2943:
	s_or_b64 exec, exec, s[8:9]
	s_and_b64 s[4:5], s[4:5], exec
	s_or_saveexec_b64 s[6:7], s[6:7]
	v_mov_b32_e32 v11, s10
	s_xor_b64 exec, exec, s[6:7]
	s_cbranch_execz .LBB7_894
.LBB7_2944:
	v_mov_b32_e32 v11, 0
	v_cmp_ne_u16_sdwa s[8:9], v13, v11 src0_sel:BYTE_3 src1_sel:DWORD
	s_andn2_b64 s[4:5], s[4:5], exec
	s_and_b64 s[8:9], s[8:9], exec
	s_or_b64 s[4:5], s[4:5], s[8:9]
	s_or_b64 exec, exec, s[6:7]
	s_and_saveexec_b64 s[6:7], s[4:5]
	s_cbranch_execnz .LBB7_895
	s_branch .LBB7_896
.LBB7_2945:
	s_movk_i32 s4, 0x80
	v_cmp_eq_u16_sdwa s[12:13], v6, s4 src0_sel:BYTE_0 src1_sel:DWORD
	s_mov_b64 s[4:5], -1
                                        ; implicit-def: $sgpr10
	s_and_saveexec_b64 s[8:9], s[12:13]
; %bb.2946:
	s_mov_b32 s10, 0x7f800001
	s_xor_b64 s[4:5], exec, -1
; %bb.2947:
	s_or_b64 exec, exec, s[8:9]
	s_and_b64 s[4:5], s[4:5], exec
	s_or_saveexec_b64 s[6:7], s[6:7]
	v_mov_b32_e32 v10, s10
	s_xor_b64 exec, exec, s[6:7]
	s_cbranch_execz .LBB7_898
.LBB7_2948:
	v_mov_b32_e32 v10, 0
	v_cmp_ne_u16_sdwa s[8:9], v6, v10 src0_sel:BYTE_0 src1_sel:DWORD
	s_andn2_b64 s[4:5], s[4:5], exec
	s_and_b64 s[8:9], s[8:9], exec
	s_or_b64 s[4:5], s[4:5], s[8:9]
	s_or_b64 exec, exec, s[6:7]
	s_and_saveexec_b64 s[6:7], s[4:5]
	s_cbranch_execnz .LBB7_899
	s_branch .LBB7_900
.LBB7_2949:
	s_movk_i32 s4, 0x80
	v_cmp_eq_u16_sdwa s[12:13], v2, s4 src0_sel:BYTE_0 src1_sel:DWORD
	s_mov_b64 s[4:5], -1
                                        ; implicit-def: $sgpr10
	s_and_saveexec_b64 s[8:9], s[12:13]
; %bb.2950:
	s_mov_b32 s10, 0x7f800001
	s_xor_b64 s[4:5], exec, -1
; %bb.2951:
	s_or_b64 exec, exec, s[8:9]
	s_and_b64 s[4:5], s[4:5], exec
	s_or_saveexec_b64 s[6:7], s[6:7]
	v_mov_b32_e32 v11, s10
	s_xor_b64 exec, exec, s[6:7]
	s_cbranch_execz .LBB7_902
.LBB7_2952:
	v_mov_b32_e32 v11, 0
	v_cmp_ne_u16_sdwa s[8:9], v2, v11 src0_sel:BYTE_0 src1_sel:DWORD
	s_andn2_b64 s[4:5], s[4:5], exec
	s_and_b64 s[8:9], s[8:9], exec
	s_or_b64 s[4:5], s[4:5], s[8:9]
	s_or_b64 exec, exec, s[6:7]
	s_and_saveexec_b64 s[6:7], s[4:5]
	s_cbranch_execnz .LBB7_903
	s_branch .LBB7_904
.LBB7_2953:
	s_movk_i32 s4, 0x80
	v_cmp_eq_u16_sdwa s[12:13], v11, s4 src0_sel:BYTE_0 src1_sel:DWORD
	s_mov_b64 s[4:5], -1
                                        ; implicit-def: $sgpr10
	s_and_saveexec_b64 s[8:9], s[12:13]
; %bb.2954:
	s_mov_b32 s10, 0x7f800001
	s_xor_b64 s[4:5], exec, -1
; %bb.2955:
	s_or_b64 exec, exec, s[8:9]
	s_and_b64 s[4:5], s[4:5], exec
	s_or_saveexec_b64 s[6:7], s[6:7]
	v_mov_b32_e32 v10, s10
	s_xor_b64 exec, exec, s[6:7]
	s_cbranch_execz .LBB7_906
.LBB7_2956:
	v_mov_b32_e32 v10, 0
	v_cmp_ne_u16_sdwa s[8:9], v11, v10 src0_sel:BYTE_0 src1_sel:DWORD
	s_andn2_b64 s[4:5], s[4:5], exec
	s_and_b64 s[8:9], s[8:9], exec
	s_or_b64 s[4:5], s[4:5], s[8:9]
	s_or_b64 exec, exec, s[6:7]
	s_and_saveexec_b64 s[6:7], s[4:5]
	s_cbranch_execnz .LBB7_907
	s_branch .LBB7_908
.LBB7_2957:
	s_movk_i32 s4, 0x80
	v_cmp_eq_u16_sdwa s[12:13], v11, s4 src0_sel:BYTE_0 src1_sel:DWORD
	s_mov_b64 s[4:5], -1
                                        ; implicit-def: $sgpr10
	s_and_saveexec_b64 s[8:9], s[12:13]
; %bb.2958:
	s_mov_b32 s10, 0x7f800001
	s_xor_b64 s[4:5], exec, -1
; %bb.2959:
	s_or_b64 exec, exec, s[8:9]
	s_and_b64 s[4:5], s[4:5], exec
	s_or_saveexec_b64 s[6:7], s[6:7]
	v_mov_b32_e32 v12, s10
	s_xor_b64 exec, exec, s[6:7]
	s_cbranch_execz .LBB7_910
.LBB7_2960:
	v_mov_b32_e32 v12, 0
	v_cmp_ne_u16_sdwa s[8:9], v11, v12 src0_sel:BYTE_0 src1_sel:DWORD
	s_andn2_b64 s[4:5], s[4:5], exec
	s_and_b64 s[8:9], s[8:9], exec
	s_or_b64 s[4:5], s[4:5], s[8:9]
	s_or_b64 exec, exec, s[6:7]
	s_and_saveexec_b64 s[6:7], s[4:5]
	s_cbranch_execnz .LBB7_911
	s_branch .LBB7_912
.LBB7_2961:
	s_movk_i32 s4, 0x80
	v_cmp_eq_u16_e32 vcc, s4, v11
	s_mov_b64 s[4:5], -1
                                        ; implicit-def: $sgpr10
	s_and_saveexec_b64 s[8:9], vcc
; %bb.2962:
	s_mov_b32 s10, 0x7f800001
	s_xor_b64 s[4:5], exec, -1
; %bb.2963:
	s_or_b64 exec, exec, s[8:9]
	s_and_b64 s[4:5], s[4:5], exec
                                        ; implicit-def: $vgpr11
	s_or_saveexec_b64 s[6:7], s[6:7]
	v_mov_b32_e32 v10, s10
	s_xor_b64 exec, exec, s[6:7]
	s_cbranch_execz .LBB7_914
.LBB7_2964:
	v_cmp_ne_u16_e32 vcc, 0, v11
	s_andn2_b64 s[4:5], s[4:5], exec
	s_and_b64 s[8:9], vcc, exec
	v_mov_b32_e32 v10, 0
	s_or_b64 s[4:5], s[4:5], s[8:9]
	s_or_b64 exec, exec, s[6:7]
	s_and_saveexec_b64 s[6:7], s[4:5]
	s_cbranch_execnz .LBB7_915
	s_branch .LBB7_916
.LBB7_2965:
	s_movk_i32 s4, 0x80
	v_cmp_eq_u16_e32 vcc, s4, v11
	s_mov_b64 s[4:5], -1
                                        ; implicit-def: $sgpr10
	s_and_saveexec_b64 s[8:9], vcc
; %bb.2966:
	s_mov_b32 s10, 0x7f800001
	s_xor_b64 s[4:5], exec, -1
; %bb.2967:
	s_or_b64 exec, exec, s[8:9]
	s_and_b64 s[4:5], s[4:5], exec
                                        ; implicit-def: $vgpr11
	s_or_saveexec_b64 s[6:7], s[6:7]
	v_mov_b32_e32 v12, s10
	s_xor_b64 exec, exec, s[6:7]
	s_cbranch_execz .LBB7_918
.LBB7_2968:
	v_cmp_ne_u16_e32 vcc, 0, v11
	s_andn2_b64 s[4:5], s[4:5], exec
	s_and_b64 s[8:9], vcc, exec
	v_mov_b32_e32 v12, 0
	s_or_b64 s[4:5], s[4:5], s[8:9]
	s_or_b64 exec, exec, s[6:7]
	s_and_saveexec_b64 s[6:7], s[4:5]
	s_cbranch_execnz .LBB7_919
	s_branch .LBB7_920
.LBB7_2969:
	s_movk_i32 s4, 0x80
	v_cmp_eq_u16_sdwa s[12:13], v6, s4 src0_sel:BYTE_3 src1_sel:DWORD
	s_mov_b64 s[4:5], -1
                                        ; implicit-def: $sgpr10
	s_and_saveexec_b64 s[8:9], s[12:13]
; %bb.2970:
	s_mov_b32 s10, 0x7f800001
	s_xor_b64 s[4:5], exec, -1
; %bb.2971:
	s_or_b64 exec, exec, s[8:9]
	s_and_b64 s[4:5], s[4:5], exec
	s_or_saveexec_b64 s[6:7], s[6:7]
	v_mov_b32_e32 v10, s10
	s_xor_b64 exec, exec, s[6:7]
	s_cbranch_execz .LBB7_922
.LBB7_2972:
	v_mov_b32_e32 v10, 0
	v_cmp_ne_u16_sdwa s[8:9], v6, v10 src0_sel:BYTE_3 src1_sel:DWORD
	s_andn2_b64 s[4:5], s[4:5], exec
	s_and_b64 s[8:9], s[8:9], exec
	s_or_b64 s[4:5], s[4:5], s[8:9]
	s_or_b64 exec, exec, s[6:7]
	s_and_saveexec_b64 s[6:7], s[4:5]
	s_cbranch_execnz .LBB7_923
	s_branch .LBB7_924
.LBB7_2973:
	s_movk_i32 s4, 0x80
	v_cmp_eq_u16_sdwa s[12:13], v2, s4 src0_sel:BYTE_3 src1_sel:DWORD
	s_mov_b64 s[4:5], -1
                                        ; implicit-def: $sgpr10
	s_and_saveexec_b64 s[8:9], s[12:13]
; %bb.2974:
	s_mov_b32 s10, 0x7f800001
	s_xor_b64 s[4:5], exec, -1
; %bb.2975:
	s_or_b64 exec, exec, s[8:9]
	s_and_b64 s[4:5], s[4:5], exec
	s_or_saveexec_b64 s[6:7], s[6:7]
	v_mov_b32_e32 v6, s10
	s_xor_b64 exec, exec, s[6:7]
	s_cbranch_execz .LBB7_926
.LBB7_2976:
	v_mov_b32_e32 v6, 0
	v_cmp_ne_u16_sdwa s[8:9], v2, v6 src0_sel:BYTE_3 src1_sel:DWORD
	s_andn2_b64 s[4:5], s[4:5], exec
	s_and_b64 s[8:9], s[8:9], exec
	s_or_b64 s[4:5], s[4:5], s[8:9]
	s_or_b64 exec, exec, s[6:7]
	s_and_saveexec_b64 s[6:7], s[4:5]
	s_cbranch_execnz .LBB7_927
	s_branch .LBB7_928
.LBB7_2977:
	s_movk_i32 s4, 0x80
	v_cmp_eq_u16_sdwa s[12:13], v7, s4 src0_sel:BYTE_0 src1_sel:DWORD
	s_mov_b64 s[4:5], -1
                                        ; implicit-def: $sgpr10
	s_and_saveexec_b64 s[8:9], s[12:13]
; %bb.2978:
	s_mov_b32 s10, 0x7f800001
	s_xor_b64 s[4:5], exec, -1
; %bb.2979:
	s_or_b64 exec, exec, s[8:9]
	s_and_b64 s[4:5], s[4:5], exec
	s_or_saveexec_b64 s[6:7], s[6:7]
	v_mov_b32_e32 v2, s10
	s_xor_b64 exec, exec, s[6:7]
	s_cbranch_execz .LBB7_930
.LBB7_2980:
	v_mov_b32_e32 v2, 0
	v_cmp_ne_u16_sdwa s[8:9], v7, v2 src0_sel:BYTE_0 src1_sel:DWORD
	s_andn2_b64 s[4:5], s[4:5], exec
	s_and_b64 s[8:9], s[8:9], exec
	s_or_b64 s[4:5], s[4:5], s[8:9]
	s_or_b64 exec, exec, s[6:7]
	s_and_saveexec_b64 s[6:7], s[4:5]
	s_cbranch_execnz .LBB7_931
	s_branch .LBB7_932
.LBB7_2981:
	s_movk_i32 s4, 0x80
	v_cmp_eq_u16_sdwa s[12:13], v3, s4 src0_sel:BYTE_0 src1_sel:DWORD
	s_mov_b64 s[4:5], -1
                                        ; implicit-def: $sgpr10
	s_and_saveexec_b64 s[8:9], s[12:13]
; %bb.2982:
	s_mov_b32 s10, 0x7f800001
	s_xor_b64 s[4:5], exec, -1
; %bb.2983:
	s_or_b64 exec, exec, s[8:9]
	s_and_b64 s[4:5], s[4:5], exec
	s_or_saveexec_b64 s[6:7], s[6:7]
	v_mov_b32_e32 v6, s10
	s_xor_b64 exec, exec, s[6:7]
	s_cbranch_execz .LBB7_934
.LBB7_2984:
	v_mov_b32_e32 v6, 0
	v_cmp_ne_u16_sdwa s[8:9], v3, v6 src0_sel:BYTE_0 src1_sel:DWORD
	s_andn2_b64 s[4:5], s[4:5], exec
	s_and_b64 s[8:9], s[8:9], exec
	s_or_b64 s[4:5], s[4:5], s[8:9]
	s_or_b64 exec, exec, s[6:7]
	s_and_saveexec_b64 s[6:7], s[4:5]
	s_cbranch_execnz .LBB7_935
	s_branch .LBB7_936
.LBB7_2985:
	s_movk_i32 s4, 0x80
	v_cmp_eq_u16_sdwa s[12:13], v6, s4 src0_sel:BYTE_0 src1_sel:DWORD
	s_mov_b64 s[4:5], -1
                                        ; implicit-def: $sgpr10
	s_and_saveexec_b64 s[8:9], s[12:13]
; %bb.2986:
	s_mov_b32 s10, 0x7f800001
	s_xor_b64 s[4:5], exec, -1
; %bb.2987:
	s_or_b64 exec, exec, s[8:9]
	s_and_b64 s[4:5], s[4:5], exec
	s_or_saveexec_b64 s[6:7], s[6:7]
	v_mov_b32_e32 v2, s10
	s_xor_b64 exec, exec, s[6:7]
	s_cbranch_execz .LBB7_938
.LBB7_2988:
	v_mov_b32_e32 v2, 0
	v_cmp_ne_u16_sdwa s[8:9], v6, v2 src0_sel:BYTE_0 src1_sel:DWORD
	s_andn2_b64 s[4:5], s[4:5], exec
	s_and_b64 s[8:9], s[8:9], exec
	s_or_b64 s[4:5], s[4:5], s[8:9]
	s_or_b64 exec, exec, s[6:7]
	s_and_saveexec_b64 s[6:7], s[4:5]
	s_cbranch_execnz .LBB7_939
	s_branch .LBB7_940
.LBB7_2989:
	s_movk_i32 s4, 0x80
	v_cmp_eq_u16_sdwa s[12:13], v6, s4 src0_sel:BYTE_0 src1_sel:DWORD
	s_mov_b64 s[4:5], -1
                                        ; implicit-def: $sgpr10
	s_and_saveexec_b64 s[8:9], s[12:13]
; %bb.2990:
	s_mov_b32 s10, 0x7f800001
	s_xor_b64 s[4:5], exec, -1
; %bb.2991:
	s_or_b64 exec, exec, s[8:9]
	s_and_b64 s[4:5], s[4:5], exec
	s_or_saveexec_b64 s[6:7], s[6:7]
	v_mov_b32_e32 v10, s10
	s_xor_b64 exec, exec, s[6:7]
	s_cbranch_execz .LBB7_942
.LBB7_2992:
	v_mov_b32_e32 v10, 0
	v_cmp_ne_u16_sdwa s[8:9], v6, v10 src0_sel:BYTE_0 src1_sel:DWORD
	s_andn2_b64 s[4:5], s[4:5], exec
	s_and_b64 s[8:9], s[8:9], exec
	s_or_b64 s[4:5], s[4:5], s[8:9]
	s_or_b64 exec, exec, s[6:7]
	s_and_saveexec_b64 s[6:7], s[4:5]
	s_cbranch_execnz .LBB7_943
	s_branch .LBB7_944
.LBB7_2993:
	s_movk_i32 s4, 0x80
	v_cmp_eq_u16_e32 vcc, s4, v6
	s_mov_b64 s[4:5], -1
                                        ; implicit-def: $sgpr10
	s_and_saveexec_b64 s[8:9], vcc
; %bb.2994:
	s_mov_b32 s10, 0x7f800001
	s_xor_b64 s[4:5], exec, -1
; %bb.2995:
	s_or_b64 exec, exec, s[8:9]
	s_and_b64 s[4:5], s[4:5], exec
                                        ; implicit-def: $vgpr6
	s_or_saveexec_b64 s[6:7], s[6:7]
	v_mov_b32_e32 v2, s10
	s_xor_b64 exec, exec, s[6:7]
	s_cbranch_execz .LBB7_946
.LBB7_2996:
	v_cmp_ne_u16_e32 vcc, 0, v6
	s_andn2_b64 s[4:5], s[4:5], exec
	s_and_b64 s[8:9], vcc, exec
	v_mov_b32_e32 v2, 0
	s_or_b64 s[4:5], s[4:5], s[8:9]
	s_or_b64 exec, exec, s[6:7]
	s_and_saveexec_b64 s[6:7], s[4:5]
	s_cbranch_execnz .LBB7_947
	s_branch .LBB7_948
.LBB7_2997:
	s_movk_i32 s4, 0x80
	v_cmp_eq_u16_e32 vcc, s4, v6
	s_mov_b64 s[4:5], -1
                                        ; implicit-def: $sgpr10
	s_and_saveexec_b64 s[8:9], vcc
; %bb.2998:
	s_mov_b32 s10, 0x7f800001
	s_xor_b64 s[4:5], exec, -1
; %bb.2999:
	s_or_b64 exec, exec, s[8:9]
	s_and_b64 s[4:5], s[4:5], exec
                                        ; implicit-def: $vgpr6
	s_or_saveexec_b64 s[6:7], s[6:7]
	v_mov_b32_e32 v10, s10
	s_xor_b64 exec, exec, s[6:7]
	s_cbranch_execz .LBB7_950
.LBB7_3000:
	v_cmp_ne_u16_e32 vcc, 0, v6
	s_andn2_b64 s[4:5], s[4:5], exec
	s_and_b64 s[8:9], vcc, exec
	v_mov_b32_e32 v10, 0
	s_or_b64 s[4:5], s[4:5], s[8:9]
	s_or_b64 exec, exec, s[6:7]
	s_and_saveexec_b64 s[6:7], s[4:5]
	s_cbranch_execnz .LBB7_951
	s_branch .LBB7_952
.LBB7_3001:
	s_movk_i32 s4, 0x80
	v_cmp_eq_u16_sdwa s[12:13], v7, s4 src0_sel:BYTE_3 src1_sel:DWORD
	s_mov_b64 s[4:5], -1
                                        ; implicit-def: $sgpr10
	s_and_saveexec_b64 s[8:9], s[12:13]
; %bb.3002:
	s_mov_b32 s10, 0x7f800001
	s_xor_b64 s[4:5], exec, -1
; %bb.3003:
	s_or_b64 exec, exec, s[8:9]
	s_and_b64 s[4:5], s[4:5], exec
	s_or_saveexec_b64 s[6:7], s[6:7]
	v_mov_b32_e32 v2, s10
	s_xor_b64 exec, exec, s[6:7]
	s_cbranch_execz .LBB7_954
.LBB7_3004:
	v_mov_b32_e32 v2, 0
	v_cmp_ne_u16_sdwa s[8:9], v7, v2 src0_sel:BYTE_3 src1_sel:DWORD
	s_andn2_b64 s[4:5], s[4:5], exec
	s_and_b64 s[8:9], s[8:9], exec
	s_or_b64 s[4:5], s[4:5], s[8:9]
	s_or_b64 exec, exec, s[6:7]
	s_and_saveexec_b64 s[6:7], s[4:5]
	s_cbranch_execnz .LBB7_955
	s_branch .LBB7_956
.LBB7_3005:
	s_movk_i32 s4, 0x80
	v_cmp_eq_u16_sdwa s[12:13], v3, s4 src0_sel:BYTE_3 src1_sel:DWORD
	s_mov_b64 s[4:5], -1
                                        ; implicit-def: $sgpr10
	s_and_saveexec_b64 s[8:9], s[12:13]
; %bb.3006:
	s_mov_b32 s10, 0x7f800001
	s_xor_b64 s[4:5], exec, -1
; %bb.3007:
	s_or_b64 exec, exec, s[8:9]
	s_and_b64 s[4:5], s[4:5], exec
	s_or_saveexec_b64 s[6:7], s[6:7]
	v_mov_b32_e32 v6, s10
	s_xor_b64 exec, exec, s[6:7]
	s_cbranch_execz .LBB7_958
.LBB7_3008:
	v_mov_b32_e32 v6, 0
	v_cmp_ne_u16_sdwa s[8:9], v3, v6 src0_sel:BYTE_3 src1_sel:DWORD
	s_andn2_b64 s[4:5], s[4:5], exec
	s_and_b64 s[8:9], s[8:9], exec
	s_or_b64 s[4:5], s[4:5], s[8:9]
	s_or_b64 exec, exec, s[6:7]
	s_and_saveexec_b64 s[6:7], s[4:5]
	s_cbranch_execnz .LBB7_959
	s_branch .LBB7_960
.LBB7_3009:
	s_movk_i32 s4, 0x80
	v_cmp_eq_u16_sdwa s[12:13], v8, s4 src0_sel:BYTE_0 src1_sel:DWORD
	s_mov_b64 s[4:5], -1
                                        ; implicit-def: $sgpr10
	s_and_saveexec_b64 s[8:9], s[12:13]
; %bb.3010:
	s_mov_b32 s10, 0x7f800001
	s_xor_b64 s[4:5], exec, -1
; %bb.3011:
	s_or_b64 exec, exec, s[8:9]
	s_and_b64 s[4:5], s[4:5], exec
	s_or_saveexec_b64 s[6:7], s[6:7]
	v_mov_b32_e32 v2, s10
	s_xor_b64 exec, exec, s[6:7]
	s_cbranch_execz .LBB7_962
.LBB7_3012:
	v_mov_b32_e32 v2, 0
	v_cmp_ne_u16_sdwa s[8:9], v8, v2 src0_sel:BYTE_0 src1_sel:DWORD
	s_andn2_b64 s[4:5], s[4:5], exec
	s_and_b64 s[8:9], s[8:9], exec
	s_or_b64 s[4:5], s[4:5], s[8:9]
	s_or_b64 exec, exec, s[6:7]
	s_and_saveexec_b64 s[6:7], s[4:5]
	s_cbranch_execnz .LBB7_963
	s_branch .LBB7_964
.LBB7_3013:
	s_movk_i32 s4, 0x80
	v_cmp_eq_u16_sdwa s[12:13], v4, s4 src0_sel:BYTE_0 src1_sel:DWORD
	s_mov_b64 s[4:5], -1
                                        ; implicit-def: $sgpr10
	s_and_saveexec_b64 s[8:9], s[12:13]
; %bb.3014:
	s_mov_b32 s10, 0x7f800001
	s_xor_b64 s[4:5], exec, -1
; %bb.3015:
	s_or_b64 exec, exec, s[8:9]
	s_and_b64 s[4:5], s[4:5], exec
	s_or_saveexec_b64 s[6:7], s[6:7]
	v_mov_b32_e32 v3, s10
	s_xor_b64 exec, exec, s[6:7]
	s_cbranch_execz .LBB7_966
.LBB7_3016:
	v_mov_b32_e32 v3, 0
	v_cmp_ne_u16_sdwa s[8:9], v4, v3 src0_sel:BYTE_0 src1_sel:DWORD
	s_andn2_b64 s[4:5], s[4:5], exec
	s_and_b64 s[8:9], s[8:9], exec
	s_or_b64 s[4:5], s[4:5], s[8:9]
	s_or_b64 exec, exec, s[6:7]
	s_and_saveexec_b64 s[6:7], s[4:5]
	s_cbranch_execnz .LBB7_967
	s_branch .LBB7_968
.LBB7_3017:
	s_movk_i32 s4, 0x80
	v_cmp_eq_u16_sdwa s[12:13], v3, s4 src0_sel:BYTE_0 src1_sel:DWORD
	s_mov_b64 s[4:5], -1
                                        ; implicit-def: $sgpr10
	s_and_saveexec_b64 s[8:9], s[12:13]
; %bb.3018:
	s_mov_b32 s10, 0x7f800001
	s_xor_b64 s[4:5], exec, -1
; %bb.3019:
	s_or_b64 exec, exec, s[8:9]
	s_and_b64 s[4:5], s[4:5], exec
	s_or_saveexec_b64 s[6:7], s[6:7]
	v_mov_b32_e32 v2, s10
	s_xor_b64 exec, exec, s[6:7]
	s_cbranch_execz .LBB7_970
.LBB7_3020:
	v_mov_b32_e32 v2, 0
	v_cmp_ne_u16_sdwa s[8:9], v3, v2 src0_sel:BYTE_0 src1_sel:DWORD
	s_andn2_b64 s[4:5], s[4:5], exec
	s_and_b64 s[8:9], s[8:9], exec
	s_or_b64 s[4:5], s[4:5], s[8:9]
	s_or_b64 exec, exec, s[6:7]
	s_and_saveexec_b64 s[6:7], s[4:5]
	s_cbranch_execnz .LBB7_971
	s_branch .LBB7_972
.LBB7_3021:
	s_movk_i32 s4, 0x80
	v_cmp_eq_u16_sdwa s[12:13], v3, s4 src0_sel:BYTE_0 src1_sel:DWORD
	s_mov_b64 s[4:5], -1
                                        ; implicit-def: $sgpr10
	s_and_saveexec_b64 s[8:9], s[12:13]
; %bb.3022:
	s_mov_b32 s10, 0x7f800001
	s_xor_b64 s[4:5], exec, -1
; %bb.3023:
	s_or_b64 exec, exec, s[8:9]
	s_and_b64 s[4:5], s[4:5], exec
	s_or_saveexec_b64 s[6:7], s[6:7]
	v_mov_b32_e32 v6, s10
	s_xor_b64 exec, exec, s[6:7]
	s_cbranch_execz .LBB7_974
.LBB7_3024:
	v_mov_b32_e32 v6, 0
	v_cmp_ne_u16_sdwa s[8:9], v3, v6 src0_sel:BYTE_0 src1_sel:DWORD
	s_andn2_b64 s[4:5], s[4:5], exec
	s_and_b64 s[8:9], s[8:9], exec
	s_or_b64 s[4:5], s[4:5], s[8:9]
	s_or_b64 exec, exec, s[6:7]
	s_and_saveexec_b64 s[6:7], s[4:5]
	s_cbranch_execnz .LBB7_975
	s_branch .LBB7_976
.LBB7_3025:
	s_movk_i32 s4, 0x80
	v_cmp_eq_u16_e32 vcc, s4, v3
	s_mov_b64 s[4:5], -1
                                        ; implicit-def: $sgpr10
	s_and_saveexec_b64 s[8:9], vcc
; %bb.3026:
	s_mov_b32 s10, 0x7f800001
	s_xor_b64 s[4:5], exec, -1
; %bb.3027:
	s_or_b64 exec, exec, s[8:9]
	s_and_b64 s[4:5], s[4:5], exec
                                        ; implicit-def: $vgpr3
	s_or_saveexec_b64 s[6:7], s[6:7]
	v_mov_b32_e32 v2, s10
	s_xor_b64 exec, exec, s[6:7]
	s_cbranch_execz .LBB7_978
.LBB7_3028:
	v_cmp_ne_u16_e32 vcc, 0, v3
	s_andn2_b64 s[4:5], s[4:5], exec
	s_and_b64 s[8:9], vcc, exec
	v_mov_b32_e32 v2, 0
	s_or_b64 s[4:5], s[4:5], s[8:9]
	s_or_b64 exec, exec, s[6:7]
	s_and_saveexec_b64 s[6:7], s[4:5]
	s_cbranch_execnz .LBB7_979
	s_branch .LBB7_980
.LBB7_3029:
	s_movk_i32 s4, 0x80
	v_cmp_eq_u16_e32 vcc, s4, v3
	s_mov_b64 s[4:5], -1
                                        ; implicit-def: $sgpr10
	s_and_saveexec_b64 s[8:9], vcc
; %bb.3030:
	s_mov_b32 s10, 0x7f800001
	s_xor_b64 s[4:5], exec, -1
; %bb.3031:
	s_or_b64 exec, exec, s[8:9]
	s_and_b64 s[4:5], s[4:5], exec
                                        ; implicit-def: $vgpr3
	s_or_saveexec_b64 s[6:7], s[6:7]
	v_mov_b32_e32 v6, s10
	s_xor_b64 exec, exec, s[6:7]
	s_cbranch_execz .LBB7_982
.LBB7_3032:
	v_cmp_ne_u16_e32 vcc, 0, v3
	s_andn2_b64 s[4:5], s[4:5], exec
	s_and_b64 s[8:9], vcc, exec
	v_mov_b32_e32 v6, 0
	s_or_b64 s[4:5], s[4:5], s[8:9]
	s_or_b64 exec, exec, s[6:7]
	s_and_saveexec_b64 s[6:7], s[4:5]
	s_cbranch_execnz .LBB7_983
	s_branch .LBB7_984
.LBB7_3033:
	s_movk_i32 s4, 0x80
	v_cmp_eq_u16_sdwa s[12:13], v8, s4 src0_sel:BYTE_3 src1_sel:DWORD
	s_mov_b64 s[4:5], -1
                                        ; implicit-def: $sgpr10
	s_and_saveexec_b64 s[8:9], s[12:13]
; %bb.3034:
	s_mov_b32 s10, 0x7f800001
	s_xor_b64 s[4:5], exec, -1
; %bb.3035:
	s_or_b64 exec, exec, s[8:9]
	s_and_b64 s[4:5], s[4:5], exec
	s_or_saveexec_b64 s[6:7], s[6:7]
	v_mov_b32_e32 v2, s10
	s_xor_b64 exec, exec, s[6:7]
	s_cbranch_execz .LBB7_986
.LBB7_3036:
	v_mov_b32_e32 v2, 0
	v_cmp_ne_u16_sdwa s[8:9], v8, v2 src0_sel:BYTE_3 src1_sel:DWORD
	s_andn2_b64 s[4:5], s[4:5], exec
	s_and_b64 s[8:9], s[8:9], exec
	s_or_b64 s[4:5], s[4:5], s[8:9]
	s_or_b64 exec, exec, s[6:7]
	s_and_saveexec_b64 s[6:7], s[4:5]
	s_cbranch_execnz .LBB7_987
	s_branch .LBB7_988
.LBB7_3037:
	s_movk_i32 s4, 0x80
	v_cmp_eq_u16_sdwa s[12:13], v4, s4 src0_sel:BYTE_3 src1_sel:DWORD
	s_mov_b64 s[4:5], -1
                                        ; implicit-def: $sgpr10
	s_and_saveexec_b64 s[8:9], s[12:13]
; %bb.3038:
	s_mov_b32 s10, 0x7f800001
	s_xor_b64 s[4:5], exec, -1
; %bb.3039:
	s_or_b64 exec, exec, s[8:9]
	s_and_b64 s[4:5], s[4:5], exec
	s_or_saveexec_b64 s[6:7], s[6:7]
	v_mov_b32_e32 v3, s10
	s_xor_b64 exec, exec, s[6:7]
	s_cbranch_execz .LBB7_990
.LBB7_3040:
	v_mov_b32_e32 v3, 0
	v_cmp_ne_u16_sdwa s[8:9], v4, v3 src0_sel:BYTE_3 src1_sel:DWORD
	s_andn2_b64 s[4:5], s[4:5], exec
	s_and_b64 s[8:9], s[8:9], exec
	s_or_b64 s[4:5], s[4:5], s[8:9]
	s_or_b64 exec, exec, s[6:7]
	s_and_saveexec_b64 s[6:7], s[4:5]
	s_cbranch_execnz .LBB7_991
	s_branch .LBB7_992
.LBB7_3041:
	s_movk_i32 s4, 0x80
	v_cmp_eq_u16_sdwa s[12:13], v9, s4 src0_sel:BYTE_0 src1_sel:DWORD
	s_mov_b64 s[4:5], -1
                                        ; implicit-def: $sgpr10
	s_and_saveexec_b64 s[8:9], s[12:13]
; %bb.3042:
	s_mov_b32 s10, 0x7f800001
	s_xor_b64 s[4:5], exec, -1
; %bb.3043:
	s_or_b64 exec, exec, s[8:9]
	s_and_b64 s[4:5], s[4:5], exec
	s_or_saveexec_b64 s[6:7], s[6:7]
	v_mov_b32_e32 v2, s10
	s_xor_b64 exec, exec, s[6:7]
	s_cbranch_execz .LBB7_994
.LBB7_3044:
	v_mov_b32_e32 v2, 0
	v_cmp_ne_u16_sdwa s[8:9], v9, v2 src0_sel:BYTE_0 src1_sel:DWORD
	s_andn2_b64 s[4:5], s[4:5], exec
	s_and_b64 s[8:9], s[8:9], exec
	s_or_b64 s[4:5], s[4:5], s[8:9]
	s_or_b64 exec, exec, s[6:7]
	s_and_saveexec_b64 s[6:7], s[4:5]
	s_cbranch_execnz .LBB7_995
	s_branch .LBB7_996
.LBB7_3045:
	s_movk_i32 s4, 0x80
	v_cmp_eq_u16_sdwa s[12:13], v5, s4 src0_sel:BYTE_0 src1_sel:DWORD
	s_mov_b64 s[4:5], -1
                                        ; implicit-def: $sgpr10
	s_and_saveexec_b64 s[8:9], s[12:13]
; %bb.3046:
	s_mov_b32 s10, 0x7f800001
	s_xor_b64 s[4:5], exec, -1
; %bb.3047:
	s_or_b64 exec, exec, s[8:9]
	s_and_b64 s[4:5], s[4:5], exec
	s_or_saveexec_b64 s[6:7], s[6:7]
	v_mov_b32_e32 v3, s10
	s_xor_b64 exec, exec, s[6:7]
	s_cbranch_execz .LBB7_998
.LBB7_3048:
	v_mov_b32_e32 v3, 0
	v_cmp_ne_u16_sdwa s[8:9], v5, v3 src0_sel:BYTE_0 src1_sel:DWORD
	s_andn2_b64 s[4:5], s[4:5], exec
	s_and_b64 s[8:9], s[8:9], exec
	s_or_b64 s[4:5], s[4:5], s[8:9]
	s_or_b64 exec, exec, s[6:7]
	s_and_saveexec_b64 s[6:7], s[4:5]
	s_cbranch_execnz .LBB7_999
	s_branch .LBB7_1000
.LBB7_3049:
	s_movk_i32 s4, 0x80
	v_cmp_eq_u16_sdwa s[12:13], v3, s4 src0_sel:BYTE_0 src1_sel:DWORD
	s_mov_b64 s[4:5], -1
                                        ; implicit-def: $sgpr10
	s_and_saveexec_b64 s[8:9], s[12:13]
; %bb.3050:
	s_mov_b32 s10, 0x7f800001
	s_xor_b64 s[4:5], exec, -1
; %bb.3051:
	s_or_b64 exec, exec, s[8:9]
	s_and_b64 s[4:5], s[4:5], exec
	s_or_saveexec_b64 s[6:7], s[6:7]
	v_mov_b32_e32 v2, s10
	s_xor_b64 exec, exec, s[6:7]
	s_cbranch_execz .LBB7_1002
.LBB7_3052:
	v_mov_b32_e32 v2, 0
	v_cmp_ne_u16_sdwa s[8:9], v3, v2 src0_sel:BYTE_0 src1_sel:DWORD
	s_andn2_b64 s[4:5], s[4:5], exec
	s_and_b64 s[8:9], s[8:9], exec
	s_or_b64 s[4:5], s[4:5], s[8:9]
	s_or_b64 exec, exec, s[6:7]
	s_and_saveexec_b64 s[6:7], s[4:5]
	s_cbranch_execnz .LBB7_1003
	s_branch .LBB7_1004
.LBB7_3053:
	s_movk_i32 s4, 0x80
	v_cmp_eq_u16_sdwa s[12:13], v3, s4 src0_sel:BYTE_0 src1_sel:DWORD
	s_mov_b64 s[4:5], -1
                                        ; implicit-def: $sgpr10
	s_and_saveexec_b64 s[8:9], s[12:13]
; %bb.3054:
	s_mov_b32 s10, 0x7f800001
	s_xor_b64 s[4:5], exec, -1
; %bb.3055:
	s_or_b64 exec, exec, s[8:9]
	s_and_b64 s[4:5], s[4:5], exec
	s_or_saveexec_b64 s[6:7], s[6:7]
	v_mov_b32_e32 v4, s10
	s_xor_b64 exec, exec, s[6:7]
	s_cbranch_execz .LBB7_1006
.LBB7_3056:
	v_mov_b32_e32 v4, 0
	v_cmp_ne_u16_sdwa s[8:9], v3, v4 src0_sel:BYTE_0 src1_sel:DWORD
	s_andn2_b64 s[4:5], s[4:5], exec
	s_and_b64 s[8:9], s[8:9], exec
	s_or_b64 s[4:5], s[4:5], s[8:9]
	s_or_b64 exec, exec, s[6:7]
	s_and_saveexec_b64 s[6:7], s[4:5]
	s_cbranch_execnz .LBB7_1007
	s_branch .LBB7_1008
.LBB7_3057:
	s_movk_i32 s4, 0x80
	v_cmp_eq_u16_e32 vcc, s4, v3
	s_mov_b64 s[4:5], -1
                                        ; implicit-def: $sgpr10
	s_and_saveexec_b64 s[8:9], vcc
; %bb.3058:
	s_mov_b32 s10, 0x7f800001
	s_xor_b64 s[4:5], exec, -1
; %bb.3059:
	s_or_b64 exec, exec, s[8:9]
	s_and_b64 s[4:5], s[4:5], exec
                                        ; implicit-def: $vgpr3
	s_or_saveexec_b64 s[6:7], s[6:7]
	v_mov_b32_e32 v2, s10
	s_xor_b64 exec, exec, s[6:7]
	s_cbranch_execz .LBB7_1010
.LBB7_3060:
	v_cmp_ne_u16_e32 vcc, 0, v3
	s_andn2_b64 s[4:5], s[4:5], exec
	s_and_b64 s[8:9], vcc, exec
	v_mov_b32_e32 v2, 0
	s_or_b64 s[4:5], s[4:5], s[8:9]
	s_or_b64 exec, exec, s[6:7]
	s_and_saveexec_b64 s[6:7], s[4:5]
	s_cbranch_execnz .LBB7_1011
	s_branch .LBB7_1012
.LBB7_3061:
	s_movk_i32 s4, 0x80
	v_cmp_eq_u16_e32 vcc, s4, v3
	s_mov_b64 s[4:5], -1
                                        ; implicit-def: $sgpr10
	s_and_saveexec_b64 s[8:9], vcc
; %bb.3062:
	s_mov_b32 s10, 0x7f800001
	s_xor_b64 s[4:5], exec, -1
; %bb.3063:
	s_or_b64 exec, exec, s[8:9]
	s_and_b64 s[4:5], s[4:5], exec
                                        ; implicit-def: $vgpr3
	s_or_saveexec_b64 s[6:7], s[6:7]
	v_mov_b32_e32 v4, s10
	s_xor_b64 exec, exec, s[6:7]
	s_cbranch_execz .LBB7_1014
.LBB7_3064:
	v_cmp_ne_u16_e32 vcc, 0, v3
	s_andn2_b64 s[4:5], s[4:5], exec
	s_and_b64 s[8:9], vcc, exec
	v_mov_b32_e32 v4, 0
	s_or_b64 s[4:5], s[4:5], s[8:9]
	s_or_b64 exec, exec, s[6:7]
	s_and_saveexec_b64 s[6:7], s[4:5]
	s_cbranch_execnz .LBB7_1015
	s_branch .LBB7_1016
.LBB7_3065:
	s_movk_i32 s4, 0x80
	v_cmp_eq_u16_sdwa s[12:13], v9, s4 src0_sel:BYTE_3 src1_sel:DWORD
	s_mov_b64 s[4:5], -1
                                        ; implicit-def: $sgpr10
	s_and_saveexec_b64 s[8:9], s[12:13]
; %bb.3066:
	s_mov_b32 s10, 0x7f800001
	s_xor_b64 s[4:5], exec, -1
; %bb.3067:
	s_or_b64 exec, exec, s[8:9]
	s_and_b64 s[4:5], s[4:5], exec
	s_or_saveexec_b64 s[6:7], s[6:7]
	v_mov_b32_e32 v2, s10
	s_xor_b64 exec, exec, s[6:7]
	s_cbranch_execz .LBB7_1018
.LBB7_3068:
	v_mov_b32_e32 v2, 0
	v_cmp_ne_u16_sdwa s[8:9], v9, v2 src0_sel:BYTE_3 src1_sel:DWORD
	s_andn2_b64 s[4:5], s[4:5], exec
	s_and_b64 s[8:9], s[8:9], exec
	s_or_b64 s[4:5], s[4:5], s[8:9]
	s_or_b64 exec, exec, s[6:7]
	s_and_saveexec_b64 s[6:7], s[4:5]
	s_cbranch_execnz .LBB7_1019
	s_branch .LBB7_1020
.LBB7_3069:
	s_movk_i32 s4, 0x80
	v_cmp_eq_u16_sdwa s[12:13], v5, s4 src0_sel:BYTE_3 src1_sel:DWORD
	s_mov_b64 s[4:5], -1
                                        ; implicit-def: $sgpr10
	s_and_saveexec_b64 s[8:9], s[12:13]
; %bb.3070:
	s_mov_b32 s10, 0x7f800001
	s_xor_b64 s[4:5], exec, -1
; %bb.3071:
	s_or_b64 exec, exec, s[8:9]
	s_and_b64 s[4:5], s[4:5], exec
	s_or_saveexec_b64 s[6:7], s[6:7]
	v_mov_b32_e32 v3, s10
	s_xor_b64 exec, exec, s[6:7]
	s_cbranch_execz .LBB7_1022
.LBB7_3072:
	v_mov_b32_e32 v3, 0
	v_cmp_ne_u16_sdwa s[8:9], v5, v3 src0_sel:BYTE_3 src1_sel:DWORD
	s_andn2_b64 s[4:5], s[4:5], exec
	s_and_b64 s[8:9], s[8:9], exec
	s_or_b64 s[4:5], s[4:5], s[8:9]
	s_or_b64 exec, exec, s[6:7]
	s_and_saveexec_b64 s[6:7], s[4:5]
	s_cbranch_execnz .LBB7_1023
	s_branch .LBB7_1024
.LBB7_3073:
	s_movk_i32 s4, 0x80
	v_cmp_eq_u16_sdwa s[12:13], v14, s4 src0_sel:BYTE_0 src1_sel:DWORD
	s_mov_b64 s[4:5], -1
                                        ; implicit-def: $sgpr10
	s_and_saveexec_b64 s[8:9], s[12:13]
; %bb.3074:
	s_mov_b32 s10, 0x7f800001
	s_xor_b64 s[4:5], exec, -1
; %bb.3075:
	s_or_b64 exec, exec, s[8:9]
	s_and_b64 s[4:5], s[4:5], exec
	s_or_saveexec_b64 s[6:7], s[6:7]
	v_mov_b32_e32 v20, s10
	s_xor_b64 exec, exec, s[6:7]
	s_cbranch_execz .LBB7_1026
.LBB7_3076:
	v_mov_b32_e32 v20, 0
	v_cmp_ne_u16_sdwa s[8:9], v14, v20 src0_sel:BYTE_0 src1_sel:DWORD
	s_andn2_b64 s[4:5], s[4:5], exec
	s_and_b64 s[8:9], s[8:9], exec
	s_or_b64 s[4:5], s[4:5], s[8:9]
	s_or_b64 exec, exec, s[6:7]
	s_and_saveexec_b64 s[6:7], s[4:5]
	s_cbranch_execnz .LBB7_1027
	s_branch .LBB7_1028
.LBB7_3077:
	s_movk_i32 s4, 0x80
	v_cmp_eq_u16_sdwa s[12:13], v10, s4 src0_sel:BYTE_0 src1_sel:DWORD
	s_mov_b64 s[4:5], -1
                                        ; implicit-def: $sgpr10
	s_and_saveexec_b64 s[8:9], s[12:13]
; %bb.3078:
	s_mov_b32 s10, 0x7f800001
	s_xor_b64 s[4:5], exec, -1
; %bb.3079:
	s_or_b64 exec, exec, s[8:9]
	s_and_b64 s[4:5], s[4:5], exec
	s_or_saveexec_b64 s[6:7], s[6:7]
	v_mov_b32_e32 v21, s10
	s_xor_b64 exec, exec, s[6:7]
	s_cbranch_execz .LBB7_1030
.LBB7_3080:
	v_mov_b32_e32 v21, 0
	v_cmp_ne_u16_sdwa s[8:9], v10, v21 src0_sel:BYTE_0 src1_sel:DWORD
	s_andn2_b64 s[4:5], s[4:5], exec
	s_and_b64 s[8:9], s[8:9], exec
	s_or_b64 s[4:5], s[4:5], s[8:9]
	s_or_b64 exec, exec, s[6:7]
	s_and_saveexec_b64 s[6:7], s[4:5]
	s_cbranch_execnz .LBB7_1031
	s_branch .LBB7_1032
.LBB7_3081:
	s_movk_i32 s4, 0x80
	v_cmp_eq_u16_sdwa s[12:13], v21, s4 src0_sel:BYTE_0 src1_sel:DWORD
	s_mov_b64 s[4:5], -1
                                        ; implicit-def: $sgpr10
	s_and_saveexec_b64 s[8:9], s[12:13]
; %bb.3082:
	s_mov_b32 s10, 0x7f800001
	s_xor_b64 s[4:5], exec, -1
; %bb.3083:
	s_or_b64 exec, exec, s[8:9]
	s_and_b64 s[4:5], s[4:5], exec
	s_or_saveexec_b64 s[6:7], s[6:7]
	v_mov_b32_e32 v20, s10
	s_xor_b64 exec, exec, s[6:7]
	s_cbranch_execz .LBB7_1034
.LBB7_3084:
	v_mov_b32_e32 v20, 0
	v_cmp_ne_u16_sdwa s[8:9], v21, v20 src0_sel:BYTE_0 src1_sel:DWORD
	s_andn2_b64 s[4:5], s[4:5], exec
	s_and_b64 s[8:9], s[8:9], exec
	s_or_b64 s[4:5], s[4:5], s[8:9]
	s_or_b64 exec, exec, s[6:7]
	s_and_saveexec_b64 s[6:7], s[4:5]
	s_cbranch_execnz .LBB7_1035
	s_branch .LBB7_1036
.LBB7_3085:
	s_movk_i32 s4, 0x80
	v_cmp_eq_u16_sdwa s[12:13], v21, s4 src0_sel:BYTE_0 src1_sel:DWORD
	s_mov_b64 s[4:5], -1
                                        ; implicit-def: $sgpr10
	s_and_saveexec_b64 s[8:9], s[12:13]
; %bb.3086:
	s_mov_b32 s10, 0x7f800001
	s_xor_b64 s[4:5], exec, -1
; %bb.3087:
	s_or_b64 exec, exec, s[8:9]
	s_and_b64 s[4:5], s[4:5], exec
	s_or_saveexec_b64 s[6:7], s[6:7]
	v_mov_b32_e32 v22, s10
	s_xor_b64 exec, exec, s[6:7]
	s_cbranch_execz .LBB7_1038
.LBB7_3088:
	v_mov_b32_e32 v22, 0
	v_cmp_ne_u16_sdwa s[8:9], v21, v22 src0_sel:BYTE_0 src1_sel:DWORD
	s_andn2_b64 s[4:5], s[4:5], exec
	s_and_b64 s[8:9], s[8:9], exec
	s_or_b64 s[4:5], s[4:5], s[8:9]
	s_or_b64 exec, exec, s[6:7]
	s_and_saveexec_b64 s[6:7], s[4:5]
	s_cbranch_execnz .LBB7_1039
	s_branch .LBB7_1040
.LBB7_3089:
	s_movk_i32 s4, 0x80
	v_cmp_eq_u16_e32 vcc, s4, v21
	s_mov_b64 s[4:5], -1
                                        ; implicit-def: $sgpr10
	s_and_saveexec_b64 s[8:9], vcc
; %bb.3090:
	s_mov_b32 s10, 0x7f800001
	s_xor_b64 s[4:5], exec, -1
; %bb.3091:
	s_or_b64 exec, exec, s[8:9]
	s_and_b64 s[4:5], s[4:5], exec
                                        ; implicit-def: $vgpr21
	s_or_saveexec_b64 s[6:7], s[6:7]
	v_mov_b32_e32 v20, s10
	s_xor_b64 exec, exec, s[6:7]
	s_cbranch_execz .LBB7_1042
.LBB7_3092:
	v_cmp_ne_u16_e32 vcc, 0, v21
	s_andn2_b64 s[4:5], s[4:5], exec
	s_and_b64 s[8:9], vcc, exec
	v_mov_b32_e32 v20, 0
	s_or_b64 s[4:5], s[4:5], s[8:9]
	s_or_b64 exec, exec, s[6:7]
	s_and_saveexec_b64 s[6:7], s[4:5]
	s_cbranch_execnz .LBB7_1043
	s_branch .LBB7_1044
.LBB7_3093:
	s_movk_i32 s4, 0x80
	v_cmp_eq_u16_e32 vcc, s4, v21
	s_mov_b64 s[4:5], -1
                                        ; implicit-def: $sgpr10
	s_and_saveexec_b64 s[8:9], vcc
; %bb.3094:
	s_mov_b32 s10, 0x7f800001
	s_xor_b64 s[4:5], exec, -1
; %bb.3095:
	s_or_b64 exec, exec, s[8:9]
	s_and_b64 s[4:5], s[4:5], exec
                                        ; implicit-def: $vgpr21
	s_or_saveexec_b64 s[6:7], s[6:7]
	v_mov_b32_e32 v22, s10
	s_xor_b64 exec, exec, s[6:7]
	s_cbranch_execz .LBB7_1046
.LBB7_3096:
	v_cmp_ne_u16_e32 vcc, 0, v21
	s_andn2_b64 s[4:5], s[4:5], exec
	s_and_b64 s[8:9], vcc, exec
	v_mov_b32_e32 v22, 0
	s_or_b64 s[4:5], s[4:5], s[8:9]
	s_or_b64 exec, exec, s[6:7]
	s_and_saveexec_b64 s[6:7], s[4:5]
	s_cbranch_execnz .LBB7_1047
	s_branch .LBB7_1048
.LBB7_3097:
	s_movk_i32 s4, 0x80
	v_cmp_eq_u16_sdwa s[12:13], v14, s4 src0_sel:BYTE_3 src1_sel:DWORD
	s_mov_b64 s[4:5], -1
                                        ; implicit-def: $sgpr10
	s_and_saveexec_b64 s[8:9], s[12:13]
; %bb.3098:
	s_mov_b32 s10, 0x7f800001
	s_xor_b64 s[4:5], exec, -1
; %bb.3099:
	s_or_b64 exec, exec, s[8:9]
	s_and_b64 s[4:5], s[4:5], exec
	s_or_saveexec_b64 s[6:7], s[6:7]
	v_mov_b32_e32 v20, s10
	s_xor_b64 exec, exec, s[6:7]
	s_cbranch_execz .LBB7_1050
.LBB7_3100:
	v_mov_b32_e32 v20, 0
	v_cmp_ne_u16_sdwa s[8:9], v14, v20 src0_sel:BYTE_3 src1_sel:DWORD
	s_andn2_b64 s[4:5], s[4:5], exec
	s_and_b64 s[8:9], s[8:9], exec
	s_or_b64 s[4:5], s[4:5], s[8:9]
	s_or_b64 exec, exec, s[6:7]
	s_and_saveexec_b64 s[6:7], s[4:5]
	s_cbranch_execnz .LBB7_1051
	s_branch .LBB7_1052
.LBB7_3101:
	s_movk_i32 s4, 0x80
	v_cmp_eq_u16_sdwa s[12:13], v10, s4 src0_sel:BYTE_3 src1_sel:DWORD
	s_mov_b64 s[4:5], -1
                                        ; implicit-def: $sgpr10
	s_and_saveexec_b64 s[8:9], s[12:13]
; %bb.3102:
	s_mov_b32 s10, 0x7f800001
	s_xor_b64 s[4:5], exec, -1
; %bb.3103:
	s_or_b64 exec, exec, s[8:9]
	s_and_b64 s[4:5], s[4:5], exec
	s_or_saveexec_b64 s[6:7], s[6:7]
	v_mov_b32_e32 v14, s10
	s_xor_b64 exec, exec, s[6:7]
	s_cbranch_execz .LBB7_1054
.LBB7_3104:
	v_mov_b32_e32 v14, 0
	v_cmp_ne_u16_sdwa s[8:9], v10, v14 src0_sel:BYTE_3 src1_sel:DWORD
	s_andn2_b64 s[4:5], s[4:5], exec
	s_and_b64 s[8:9], s[8:9], exec
	s_or_b64 s[4:5], s[4:5], s[8:9]
	s_or_b64 exec, exec, s[6:7]
	s_and_saveexec_b64 s[6:7], s[4:5]
	s_cbranch_execnz .LBB7_1055
	s_branch .LBB7_1056
.LBB7_3105:
	s_movk_i32 s4, 0x80
	v_cmp_eq_u16_sdwa s[12:13], v15, s4 src0_sel:BYTE_0 src1_sel:DWORD
	s_mov_b64 s[4:5], -1
                                        ; implicit-def: $sgpr10
	s_and_saveexec_b64 s[8:9], s[12:13]
; %bb.3106:
	s_mov_b32 s10, 0x7f800001
	s_xor_b64 s[4:5], exec, -1
; %bb.3107:
	s_or_b64 exec, exec, s[8:9]
	s_and_b64 s[4:5], s[4:5], exec
	s_or_saveexec_b64 s[6:7], s[6:7]
	v_mov_b32_e32 v10, s10
	s_xor_b64 exec, exec, s[6:7]
	s_cbranch_execz .LBB7_1058
.LBB7_3108:
	v_mov_b32_e32 v10, 0
	v_cmp_ne_u16_sdwa s[8:9], v15, v10 src0_sel:BYTE_0 src1_sel:DWORD
	s_andn2_b64 s[4:5], s[4:5], exec
	s_and_b64 s[8:9], s[8:9], exec
	s_or_b64 s[4:5], s[4:5], s[8:9]
	s_or_b64 exec, exec, s[6:7]
	s_and_saveexec_b64 s[6:7], s[4:5]
	s_cbranch_execnz .LBB7_1059
	s_branch .LBB7_1060
.LBB7_3109:
	s_movk_i32 s4, 0x80
	v_cmp_eq_u16_sdwa s[12:13], v11, s4 src0_sel:BYTE_0 src1_sel:DWORD
	s_mov_b64 s[4:5], -1
                                        ; implicit-def: $sgpr10
	s_and_saveexec_b64 s[8:9], s[12:13]
; %bb.3110:
	s_mov_b32 s10, 0x7f800001
	s_xor_b64 s[4:5], exec, -1
; %bb.3111:
	s_or_b64 exec, exec, s[8:9]
	s_and_b64 s[4:5], s[4:5], exec
	s_or_saveexec_b64 s[6:7], s[6:7]
	v_mov_b32_e32 v14, s10
	s_xor_b64 exec, exec, s[6:7]
	s_cbranch_execz .LBB7_1062
.LBB7_3112:
	v_mov_b32_e32 v14, 0
	v_cmp_ne_u16_sdwa s[8:9], v11, v14 src0_sel:BYTE_0 src1_sel:DWORD
	s_andn2_b64 s[4:5], s[4:5], exec
	s_and_b64 s[8:9], s[8:9], exec
	s_or_b64 s[4:5], s[4:5], s[8:9]
	s_or_b64 exec, exec, s[6:7]
	s_and_saveexec_b64 s[6:7], s[4:5]
	s_cbranch_execnz .LBB7_1063
	s_branch .LBB7_1064
.LBB7_3113:
	s_movk_i32 s4, 0x80
	v_cmp_eq_u16_sdwa s[12:13], v14, s4 src0_sel:BYTE_0 src1_sel:DWORD
	s_mov_b64 s[4:5], -1
                                        ; implicit-def: $sgpr10
	s_and_saveexec_b64 s[8:9], s[12:13]
; %bb.3114:
	s_mov_b32 s10, 0x7f800001
	s_xor_b64 s[4:5], exec, -1
; %bb.3115:
	s_or_b64 exec, exec, s[8:9]
	s_and_b64 s[4:5], s[4:5], exec
	s_or_saveexec_b64 s[6:7], s[6:7]
	v_mov_b32_e32 v10, s10
	s_xor_b64 exec, exec, s[6:7]
	s_cbranch_execz .LBB7_1066
.LBB7_3116:
	v_mov_b32_e32 v10, 0
	v_cmp_ne_u16_sdwa s[8:9], v14, v10 src0_sel:BYTE_0 src1_sel:DWORD
	s_andn2_b64 s[4:5], s[4:5], exec
	s_and_b64 s[8:9], s[8:9], exec
	s_or_b64 s[4:5], s[4:5], s[8:9]
	s_or_b64 exec, exec, s[6:7]
	s_and_saveexec_b64 s[6:7], s[4:5]
	s_cbranch_execnz .LBB7_1067
	s_branch .LBB7_1068
.LBB7_3117:
	s_movk_i32 s4, 0x80
	v_cmp_eq_u16_sdwa s[12:13], v14, s4 src0_sel:BYTE_0 src1_sel:DWORD
	s_mov_b64 s[4:5], -1
                                        ; implicit-def: $sgpr10
	s_and_saveexec_b64 s[8:9], s[12:13]
; %bb.3118:
	s_mov_b32 s10, 0x7f800001
	s_xor_b64 s[4:5], exec, -1
; %bb.3119:
	s_or_b64 exec, exec, s[8:9]
	s_and_b64 s[4:5], s[4:5], exec
	s_or_saveexec_b64 s[6:7], s[6:7]
	v_mov_b32_e32 v20, s10
	s_xor_b64 exec, exec, s[6:7]
	s_cbranch_execz .LBB7_1070
.LBB7_3120:
	v_mov_b32_e32 v20, 0
	v_cmp_ne_u16_sdwa s[8:9], v14, v20 src0_sel:BYTE_0 src1_sel:DWORD
	s_andn2_b64 s[4:5], s[4:5], exec
	s_and_b64 s[8:9], s[8:9], exec
	s_or_b64 s[4:5], s[4:5], s[8:9]
	s_or_b64 exec, exec, s[6:7]
	s_and_saveexec_b64 s[6:7], s[4:5]
	s_cbranch_execnz .LBB7_1071
	s_branch .LBB7_1072
.LBB7_3121:
	s_movk_i32 s4, 0x80
	v_cmp_eq_u16_e32 vcc, s4, v14
	s_mov_b64 s[4:5], -1
                                        ; implicit-def: $sgpr10
	s_and_saveexec_b64 s[8:9], vcc
; %bb.3122:
	s_mov_b32 s10, 0x7f800001
	s_xor_b64 s[4:5], exec, -1
; %bb.3123:
	s_or_b64 exec, exec, s[8:9]
	s_and_b64 s[4:5], s[4:5], exec
                                        ; implicit-def: $vgpr14
	s_or_saveexec_b64 s[6:7], s[6:7]
	v_mov_b32_e32 v10, s10
	s_xor_b64 exec, exec, s[6:7]
	s_cbranch_execz .LBB7_1074
.LBB7_3124:
	v_cmp_ne_u16_e32 vcc, 0, v14
	s_andn2_b64 s[4:5], s[4:5], exec
	s_and_b64 s[8:9], vcc, exec
	v_mov_b32_e32 v10, 0
	s_or_b64 s[4:5], s[4:5], s[8:9]
	s_or_b64 exec, exec, s[6:7]
	s_and_saveexec_b64 s[6:7], s[4:5]
	s_cbranch_execnz .LBB7_1075
	s_branch .LBB7_1076
.LBB7_3125:
	s_movk_i32 s4, 0x80
	v_cmp_eq_u16_e32 vcc, s4, v14
	s_mov_b64 s[4:5], -1
                                        ; implicit-def: $sgpr10
	s_and_saveexec_b64 s[8:9], vcc
; %bb.3126:
	s_mov_b32 s10, 0x7f800001
	s_xor_b64 s[4:5], exec, -1
; %bb.3127:
	s_or_b64 exec, exec, s[8:9]
	s_and_b64 s[4:5], s[4:5], exec
                                        ; implicit-def: $vgpr14
	s_or_saveexec_b64 s[6:7], s[6:7]
	v_mov_b32_e32 v20, s10
	s_xor_b64 exec, exec, s[6:7]
	s_cbranch_execz .LBB7_1078
.LBB7_3128:
	v_cmp_ne_u16_e32 vcc, 0, v14
	s_andn2_b64 s[4:5], s[4:5], exec
	s_and_b64 s[8:9], vcc, exec
	v_mov_b32_e32 v20, 0
	s_or_b64 s[4:5], s[4:5], s[8:9]
	s_or_b64 exec, exec, s[6:7]
	s_and_saveexec_b64 s[6:7], s[4:5]
	s_cbranch_execnz .LBB7_1079
	s_branch .LBB7_1080
.LBB7_3129:
	s_movk_i32 s4, 0x80
	v_cmp_eq_u16_sdwa s[12:13], v15, s4 src0_sel:BYTE_3 src1_sel:DWORD
	s_mov_b64 s[4:5], -1
                                        ; implicit-def: $sgpr10
	s_and_saveexec_b64 s[8:9], s[12:13]
; %bb.3130:
	s_mov_b32 s10, 0x7f800001
	s_xor_b64 s[4:5], exec, -1
; %bb.3131:
	s_or_b64 exec, exec, s[8:9]
	s_and_b64 s[4:5], s[4:5], exec
	s_or_saveexec_b64 s[6:7], s[6:7]
	v_mov_b32_e32 v10, s10
	s_xor_b64 exec, exec, s[6:7]
	s_cbranch_execz .LBB7_1082
.LBB7_3132:
	v_mov_b32_e32 v10, 0
	v_cmp_ne_u16_sdwa s[8:9], v15, v10 src0_sel:BYTE_3 src1_sel:DWORD
	s_andn2_b64 s[4:5], s[4:5], exec
	s_and_b64 s[8:9], s[8:9], exec
	s_or_b64 s[4:5], s[4:5], s[8:9]
	s_or_b64 exec, exec, s[6:7]
	s_and_saveexec_b64 s[6:7], s[4:5]
	s_cbranch_execnz .LBB7_1083
	s_branch .LBB7_1084
.LBB7_3133:
	s_movk_i32 s4, 0x80
	v_cmp_eq_u16_sdwa s[12:13], v11, s4 src0_sel:BYTE_3 src1_sel:DWORD
	s_mov_b64 s[4:5], -1
                                        ; implicit-def: $sgpr10
	s_and_saveexec_b64 s[8:9], s[12:13]
; %bb.3134:
	s_mov_b32 s10, 0x7f800001
	s_xor_b64 s[4:5], exec, -1
; %bb.3135:
	s_or_b64 exec, exec, s[8:9]
	s_and_b64 s[4:5], s[4:5], exec
	s_or_saveexec_b64 s[6:7], s[6:7]
	v_mov_b32_e32 v14, s10
	s_xor_b64 exec, exec, s[6:7]
	s_cbranch_execz .LBB7_1086
.LBB7_3136:
	v_mov_b32_e32 v14, 0
	v_cmp_ne_u16_sdwa s[8:9], v11, v14 src0_sel:BYTE_3 src1_sel:DWORD
	s_andn2_b64 s[4:5], s[4:5], exec
	s_and_b64 s[8:9], s[8:9], exec
	s_or_b64 s[4:5], s[4:5], s[8:9]
	s_or_b64 exec, exec, s[6:7]
	s_and_saveexec_b64 s[6:7], s[4:5]
	s_cbranch_execnz .LBB7_1087
	s_branch .LBB7_1088
.LBB7_3137:
	s_movk_i32 s4, 0x80
	v_cmp_eq_u16_sdwa s[12:13], v16, s4 src0_sel:BYTE_0 src1_sel:DWORD
	s_mov_b64 s[4:5], -1
                                        ; implicit-def: $sgpr10
	s_and_saveexec_b64 s[8:9], s[12:13]
; %bb.3138:
	s_mov_b32 s10, 0x7f800001
	s_xor_b64 s[4:5], exec, -1
; %bb.3139:
	s_or_b64 exec, exec, s[8:9]
	s_and_b64 s[4:5], s[4:5], exec
	s_or_saveexec_b64 s[6:7], s[6:7]
	v_mov_b32_e32 v10, s10
	s_xor_b64 exec, exec, s[6:7]
	s_cbranch_execz .LBB7_1090
.LBB7_3140:
	v_mov_b32_e32 v10, 0
	v_cmp_ne_u16_sdwa s[8:9], v16, v10 src0_sel:BYTE_0 src1_sel:DWORD
	s_andn2_b64 s[4:5], s[4:5], exec
	s_and_b64 s[8:9], s[8:9], exec
	s_or_b64 s[4:5], s[4:5], s[8:9]
	s_or_b64 exec, exec, s[6:7]
	s_and_saveexec_b64 s[6:7], s[4:5]
	s_cbranch_execnz .LBB7_1091
	s_branch .LBB7_1092
.LBB7_3141:
	s_movk_i32 s4, 0x80
	v_cmp_eq_u16_sdwa s[12:13], v12, s4 src0_sel:BYTE_0 src1_sel:DWORD
	s_mov_b64 s[4:5], -1
                                        ; implicit-def: $sgpr10
	s_and_saveexec_b64 s[8:9], s[12:13]
; %bb.3142:
	s_mov_b32 s10, 0x7f800001
	s_xor_b64 s[4:5], exec, -1
; %bb.3143:
	s_or_b64 exec, exec, s[8:9]
	s_and_b64 s[4:5], s[4:5], exec
	s_or_saveexec_b64 s[6:7], s[6:7]
	v_mov_b32_e32 v11, s10
	s_xor_b64 exec, exec, s[6:7]
	s_cbranch_execz .LBB7_1094
.LBB7_3144:
	v_mov_b32_e32 v11, 0
	v_cmp_ne_u16_sdwa s[8:9], v12, v11 src0_sel:BYTE_0 src1_sel:DWORD
	s_andn2_b64 s[4:5], s[4:5], exec
	s_and_b64 s[8:9], s[8:9], exec
	s_or_b64 s[4:5], s[4:5], s[8:9]
	s_or_b64 exec, exec, s[6:7]
	s_and_saveexec_b64 s[6:7], s[4:5]
	s_cbranch_execnz .LBB7_1095
	s_branch .LBB7_1096
.LBB7_3145:
	s_movk_i32 s4, 0x80
	v_cmp_eq_u16_sdwa s[12:13], v11, s4 src0_sel:BYTE_0 src1_sel:DWORD
	s_mov_b64 s[4:5], -1
                                        ; implicit-def: $sgpr10
	s_and_saveexec_b64 s[8:9], s[12:13]
; %bb.3146:
	s_mov_b32 s10, 0x7f800001
	s_xor_b64 s[4:5], exec, -1
; %bb.3147:
	s_or_b64 exec, exec, s[8:9]
	s_and_b64 s[4:5], s[4:5], exec
	s_or_saveexec_b64 s[6:7], s[6:7]
	v_mov_b32_e32 v10, s10
	s_xor_b64 exec, exec, s[6:7]
	s_cbranch_execz .LBB7_1098
.LBB7_3148:
	v_mov_b32_e32 v10, 0
	v_cmp_ne_u16_sdwa s[8:9], v11, v10 src0_sel:BYTE_0 src1_sel:DWORD
	s_andn2_b64 s[4:5], s[4:5], exec
	s_and_b64 s[8:9], s[8:9], exec
	s_or_b64 s[4:5], s[4:5], s[8:9]
	s_or_b64 exec, exec, s[6:7]
	s_and_saveexec_b64 s[6:7], s[4:5]
	s_cbranch_execnz .LBB7_1099
	s_branch .LBB7_1100
.LBB7_3149:
	s_movk_i32 s4, 0x80
	v_cmp_eq_u16_sdwa s[12:13], v11, s4 src0_sel:BYTE_0 src1_sel:DWORD
	s_mov_b64 s[4:5], -1
                                        ; implicit-def: $sgpr10
	s_and_saveexec_b64 s[8:9], s[12:13]
; %bb.3150:
	s_mov_b32 s10, 0x7f800001
	s_xor_b64 s[4:5], exec, -1
; %bb.3151:
	s_or_b64 exec, exec, s[8:9]
	s_and_b64 s[4:5], s[4:5], exec
	s_or_saveexec_b64 s[6:7], s[6:7]
	v_mov_b32_e32 v14, s10
	s_xor_b64 exec, exec, s[6:7]
	s_cbranch_execz .LBB7_1102
.LBB7_3152:
	v_mov_b32_e32 v14, 0
	v_cmp_ne_u16_sdwa s[8:9], v11, v14 src0_sel:BYTE_0 src1_sel:DWORD
	s_andn2_b64 s[4:5], s[4:5], exec
	s_and_b64 s[8:9], s[8:9], exec
	s_or_b64 s[4:5], s[4:5], s[8:9]
	s_or_b64 exec, exec, s[6:7]
	s_and_saveexec_b64 s[6:7], s[4:5]
	s_cbranch_execnz .LBB7_1103
	s_branch .LBB7_1104
.LBB7_3153:
	s_movk_i32 s4, 0x80
	v_cmp_eq_u16_e32 vcc, s4, v11
	s_mov_b64 s[4:5], -1
                                        ; implicit-def: $sgpr10
	s_and_saveexec_b64 s[8:9], vcc
; %bb.3154:
	s_mov_b32 s10, 0x7f800001
	s_xor_b64 s[4:5], exec, -1
; %bb.3155:
	s_or_b64 exec, exec, s[8:9]
	s_and_b64 s[4:5], s[4:5], exec
                                        ; implicit-def: $vgpr11
	s_or_saveexec_b64 s[6:7], s[6:7]
	v_mov_b32_e32 v10, s10
	s_xor_b64 exec, exec, s[6:7]
	s_cbranch_execz .LBB7_1106
.LBB7_3156:
	v_cmp_ne_u16_e32 vcc, 0, v11
	s_andn2_b64 s[4:5], s[4:5], exec
	s_and_b64 s[8:9], vcc, exec
	v_mov_b32_e32 v10, 0
	s_or_b64 s[4:5], s[4:5], s[8:9]
	s_or_b64 exec, exec, s[6:7]
	s_and_saveexec_b64 s[6:7], s[4:5]
	s_cbranch_execnz .LBB7_1107
	s_branch .LBB7_1108
.LBB7_3157:
	s_movk_i32 s4, 0x80
	v_cmp_eq_u16_e32 vcc, s4, v11
	s_mov_b64 s[4:5], -1
                                        ; implicit-def: $sgpr10
	s_and_saveexec_b64 s[8:9], vcc
; %bb.3158:
	s_mov_b32 s10, 0x7f800001
	s_xor_b64 s[4:5], exec, -1
; %bb.3159:
	s_or_b64 exec, exec, s[8:9]
	s_and_b64 s[4:5], s[4:5], exec
                                        ; implicit-def: $vgpr11
	s_or_saveexec_b64 s[6:7], s[6:7]
	v_mov_b32_e32 v14, s10
	s_xor_b64 exec, exec, s[6:7]
	s_cbranch_execz .LBB7_1110
.LBB7_3160:
	v_cmp_ne_u16_e32 vcc, 0, v11
	s_andn2_b64 s[4:5], s[4:5], exec
	s_and_b64 s[8:9], vcc, exec
	v_mov_b32_e32 v14, 0
	s_or_b64 s[4:5], s[4:5], s[8:9]
	s_or_b64 exec, exec, s[6:7]
	s_and_saveexec_b64 s[6:7], s[4:5]
	s_cbranch_execnz .LBB7_1111
	s_branch .LBB7_1112
.LBB7_3161:
	s_movk_i32 s4, 0x80
	v_cmp_eq_u16_sdwa s[12:13], v16, s4 src0_sel:BYTE_3 src1_sel:DWORD
	s_mov_b64 s[4:5], -1
                                        ; implicit-def: $sgpr10
	s_and_saveexec_b64 s[8:9], s[12:13]
; %bb.3162:
	s_mov_b32 s10, 0x7f800001
	s_xor_b64 s[4:5], exec, -1
; %bb.3163:
	s_or_b64 exec, exec, s[8:9]
	s_and_b64 s[4:5], s[4:5], exec
	s_or_saveexec_b64 s[6:7], s[6:7]
	v_mov_b32_e32 v10, s10
	s_xor_b64 exec, exec, s[6:7]
	s_cbranch_execz .LBB7_1114
.LBB7_3164:
	v_mov_b32_e32 v10, 0
	v_cmp_ne_u16_sdwa s[8:9], v16, v10 src0_sel:BYTE_3 src1_sel:DWORD
	s_andn2_b64 s[4:5], s[4:5], exec
	s_and_b64 s[8:9], s[8:9], exec
	s_or_b64 s[4:5], s[4:5], s[8:9]
	s_or_b64 exec, exec, s[6:7]
	s_and_saveexec_b64 s[6:7], s[4:5]
	s_cbranch_execnz .LBB7_1115
	s_branch .LBB7_1116
.LBB7_3165:
	s_movk_i32 s4, 0x80
	v_cmp_eq_u16_sdwa s[12:13], v12, s4 src0_sel:BYTE_3 src1_sel:DWORD
	s_mov_b64 s[4:5], -1
                                        ; implicit-def: $sgpr10
	s_and_saveexec_b64 s[8:9], s[12:13]
; %bb.3166:
	s_mov_b32 s10, 0x7f800001
	s_xor_b64 s[4:5], exec, -1
; %bb.3167:
	s_or_b64 exec, exec, s[8:9]
	s_and_b64 s[4:5], s[4:5], exec
	s_or_saveexec_b64 s[6:7], s[6:7]
	v_mov_b32_e32 v11, s10
	s_xor_b64 exec, exec, s[6:7]
	s_cbranch_execz .LBB7_1118
.LBB7_3168:
	v_mov_b32_e32 v11, 0
	v_cmp_ne_u16_sdwa s[8:9], v12, v11 src0_sel:BYTE_3 src1_sel:DWORD
	s_andn2_b64 s[4:5], s[4:5], exec
	s_and_b64 s[8:9], s[8:9], exec
	s_or_b64 s[4:5], s[4:5], s[8:9]
	s_or_b64 exec, exec, s[6:7]
	s_and_saveexec_b64 s[6:7], s[4:5]
	s_cbranch_execnz .LBB7_1119
	s_branch .LBB7_1120
.LBB7_3169:
	s_movk_i32 s4, 0x80
	v_cmp_eq_u16_sdwa s[12:13], v17, s4 src0_sel:BYTE_0 src1_sel:DWORD
	s_mov_b64 s[4:5], -1
                                        ; implicit-def: $sgpr10
	s_and_saveexec_b64 s[8:9], s[12:13]
; %bb.3170:
	s_mov_b32 s10, 0x7f800001
	s_xor_b64 s[4:5], exec, -1
; %bb.3171:
	s_or_b64 exec, exec, s[8:9]
	s_and_b64 s[4:5], s[4:5], exec
	s_or_saveexec_b64 s[6:7], s[6:7]
	v_mov_b32_e32 v10, s10
	s_xor_b64 exec, exec, s[6:7]
	s_cbranch_execz .LBB7_1122
.LBB7_3172:
	v_mov_b32_e32 v10, 0
	v_cmp_ne_u16_sdwa s[8:9], v17, v10 src0_sel:BYTE_0 src1_sel:DWORD
	s_andn2_b64 s[4:5], s[4:5], exec
	s_and_b64 s[8:9], s[8:9], exec
	s_or_b64 s[4:5], s[4:5], s[8:9]
	s_or_b64 exec, exec, s[6:7]
	s_and_saveexec_b64 s[6:7], s[4:5]
	s_cbranch_execnz .LBB7_1123
	s_branch .LBB7_1124
.LBB7_3173:
	s_movk_i32 s4, 0x80
	v_cmp_eq_u16_sdwa s[12:13], v13, s4 src0_sel:BYTE_0 src1_sel:DWORD
	s_mov_b64 s[4:5], -1
                                        ; implicit-def: $sgpr10
	s_and_saveexec_b64 s[8:9], s[12:13]
; %bb.3174:
	s_mov_b32 s10, 0x7f800001
	s_xor_b64 s[4:5], exec, -1
; %bb.3175:
	s_or_b64 exec, exec, s[8:9]
	s_and_b64 s[4:5], s[4:5], exec
	s_or_saveexec_b64 s[6:7], s[6:7]
	v_mov_b32_e32 v11, s10
	s_xor_b64 exec, exec, s[6:7]
	s_cbranch_execz .LBB7_1126
.LBB7_3176:
	v_mov_b32_e32 v11, 0
	v_cmp_ne_u16_sdwa s[8:9], v13, v11 src0_sel:BYTE_0 src1_sel:DWORD
	s_andn2_b64 s[4:5], s[4:5], exec
	s_and_b64 s[8:9], s[8:9], exec
	s_or_b64 s[4:5], s[4:5], s[8:9]
	s_or_b64 exec, exec, s[6:7]
	s_and_saveexec_b64 s[6:7], s[4:5]
	s_cbranch_execnz .LBB7_1127
	s_branch .LBB7_1128
.LBB7_3177:
	s_movk_i32 s4, 0x80
	v_cmp_eq_u16_sdwa s[12:13], v11, s4 src0_sel:BYTE_0 src1_sel:DWORD
	s_mov_b64 s[4:5], -1
                                        ; implicit-def: $sgpr10
	s_and_saveexec_b64 s[8:9], s[12:13]
; %bb.3178:
	s_mov_b32 s10, 0x7f800001
	s_xor_b64 s[4:5], exec, -1
; %bb.3179:
	s_or_b64 exec, exec, s[8:9]
	s_and_b64 s[4:5], s[4:5], exec
	s_or_saveexec_b64 s[6:7], s[6:7]
	v_mov_b32_e32 v10, s10
	s_xor_b64 exec, exec, s[6:7]
	s_cbranch_execz .LBB7_1130
.LBB7_3180:
	v_mov_b32_e32 v10, 0
	v_cmp_ne_u16_sdwa s[8:9], v11, v10 src0_sel:BYTE_0 src1_sel:DWORD
	s_andn2_b64 s[4:5], s[4:5], exec
	s_and_b64 s[8:9], s[8:9], exec
	s_or_b64 s[4:5], s[4:5], s[8:9]
	s_or_b64 exec, exec, s[6:7]
	s_and_saveexec_b64 s[6:7], s[4:5]
	s_cbranch_execnz .LBB7_1131
	s_branch .LBB7_1132
.LBB7_3181:
	s_movk_i32 s4, 0x80
	v_cmp_eq_u16_sdwa s[12:13], v11, s4 src0_sel:BYTE_0 src1_sel:DWORD
	s_mov_b64 s[4:5], -1
                                        ; implicit-def: $sgpr10
	s_and_saveexec_b64 s[8:9], s[12:13]
; %bb.3182:
	s_mov_b32 s10, 0x7f800001
	s_xor_b64 s[4:5], exec, -1
; %bb.3183:
	s_or_b64 exec, exec, s[8:9]
	s_and_b64 s[4:5], s[4:5], exec
	s_or_saveexec_b64 s[6:7], s[6:7]
	v_mov_b32_e32 v12, s10
	s_xor_b64 exec, exec, s[6:7]
	s_cbranch_execz .LBB7_1134
.LBB7_3184:
	v_mov_b32_e32 v12, 0
	v_cmp_ne_u16_sdwa s[8:9], v11, v12 src0_sel:BYTE_0 src1_sel:DWORD
	s_andn2_b64 s[4:5], s[4:5], exec
	s_and_b64 s[8:9], s[8:9], exec
	s_or_b64 s[4:5], s[4:5], s[8:9]
	s_or_b64 exec, exec, s[6:7]
	s_and_saveexec_b64 s[6:7], s[4:5]
	s_cbranch_execnz .LBB7_1135
	s_branch .LBB7_1136
.LBB7_3185:
	s_movk_i32 s4, 0x80
	v_cmp_eq_u16_e32 vcc, s4, v11
	s_mov_b64 s[4:5], -1
                                        ; implicit-def: $sgpr10
	s_and_saveexec_b64 s[8:9], vcc
; %bb.3186:
	s_mov_b32 s10, 0x7f800001
	s_xor_b64 s[4:5], exec, -1
; %bb.3187:
	s_or_b64 exec, exec, s[8:9]
	s_and_b64 s[4:5], s[4:5], exec
                                        ; implicit-def: $vgpr11
	s_or_saveexec_b64 s[6:7], s[6:7]
	v_mov_b32_e32 v10, s10
	s_xor_b64 exec, exec, s[6:7]
	s_cbranch_execz .LBB7_1138
.LBB7_3188:
	v_cmp_ne_u16_e32 vcc, 0, v11
	s_andn2_b64 s[4:5], s[4:5], exec
	s_and_b64 s[8:9], vcc, exec
	v_mov_b32_e32 v10, 0
	s_or_b64 s[4:5], s[4:5], s[8:9]
	s_or_b64 exec, exec, s[6:7]
	s_and_saveexec_b64 s[6:7], s[4:5]
	s_cbranch_execnz .LBB7_1139
	s_branch .LBB7_1140
.LBB7_3189:
	s_movk_i32 s4, 0x80
	v_cmp_eq_u16_e32 vcc, s4, v11
	s_mov_b64 s[4:5], -1
                                        ; implicit-def: $sgpr10
	s_and_saveexec_b64 s[8:9], vcc
; %bb.3190:
	s_mov_b32 s10, 0x7f800001
	s_xor_b64 s[4:5], exec, -1
; %bb.3191:
	s_or_b64 exec, exec, s[8:9]
	s_and_b64 s[4:5], s[4:5], exec
                                        ; implicit-def: $vgpr11
	s_or_saveexec_b64 s[6:7], s[6:7]
	v_mov_b32_e32 v12, s10
	s_xor_b64 exec, exec, s[6:7]
	s_cbranch_execz .LBB7_1142
.LBB7_3192:
	v_cmp_ne_u16_e32 vcc, 0, v11
	s_andn2_b64 s[4:5], s[4:5], exec
	s_and_b64 s[8:9], vcc, exec
	v_mov_b32_e32 v12, 0
	s_or_b64 s[4:5], s[4:5], s[8:9]
	s_or_b64 exec, exec, s[6:7]
	s_and_saveexec_b64 s[6:7], s[4:5]
	s_cbranch_execnz .LBB7_1143
	s_branch .LBB7_1144
.LBB7_3193:
	s_movk_i32 s4, 0x80
	v_cmp_eq_u16_sdwa s[12:13], v17, s4 src0_sel:BYTE_3 src1_sel:DWORD
	s_mov_b64 s[4:5], -1
                                        ; implicit-def: $sgpr10
	s_and_saveexec_b64 s[8:9], s[12:13]
; %bb.3194:
	s_mov_b32 s10, 0x7f800001
	s_xor_b64 s[4:5], exec, -1
; %bb.3195:
	s_or_b64 exec, exec, s[8:9]
	s_and_b64 s[4:5], s[4:5], exec
	s_or_saveexec_b64 s[6:7], s[6:7]
	v_mov_b32_e32 v10, s10
	s_xor_b64 exec, exec, s[6:7]
	s_cbranch_execz .LBB7_1146
.LBB7_3196:
	v_mov_b32_e32 v10, 0
	v_cmp_ne_u16_sdwa s[8:9], v17, v10 src0_sel:BYTE_3 src1_sel:DWORD
	s_andn2_b64 s[4:5], s[4:5], exec
	s_and_b64 s[8:9], s[8:9], exec
	s_or_b64 s[4:5], s[4:5], s[8:9]
	s_or_b64 exec, exec, s[6:7]
	s_and_saveexec_b64 s[6:7], s[4:5]
	s_cbranch_execnz .LBB7_1147
	s_branch .LBB7_1148
.LBB7_3197:
	s_movk_i32 s4, 0x80
	v_cmp_eq_u16_sdwa s[12:13], v13, s4 src0_sel:BYTE_3 src1_sel:DWORD
	s_mov_b64 s[4:5], -1
                                        ; implicit-def: $sgpr10
	s_and_saveexec_b64 s[8:9], s[12:13]
; %bb.3198:
	s_mov_b32 s10, 0x7f800001
	s_xor_b64 s[4:5], exec, -1
; %bb.3199:
	s_or_b64 exec, exec, s[8:9]
	s_and_b64 s[4:5], s[4:5], exec
	s_or_saveexec_b64 s[6:7], s[6:7]
	v_mov_b32_e32 v11, s10
	s_xor_b64 exec, exec, s[6:7]
	s_cbranch_execz .LBB7_1150
.LBB7_3200:
	v_mov_b32_e32 v11, 0
	v_cmp_ne_u16_sdwa s[8:9], v13, v11 src0_sel:BYTE_3 src1_sel:DWORD
	s_andn2_b64 s[4:5], s[4:5], exec
	s_and_b64 s[8:9], s[8:9], exec
	s_or_b64 s[4:5], s[4:5], s[8:9]
	s_or_b64 exec, exec, s[6:7]
	s_and_saveexec_b64 s[6:7], s[4:5]
	s_cbranch_execnz .LBB7_1151
	s_branch .LBB7_1152
.LBB7_3201:
	s_movk_i32 s4, 0x80
	v_cmp_eq_u16_sdwa s[12:13], v6, s4 src0_sel:BYTE_0 src1_sel:DWORD
	s_mov_b64 s[4:5], -1
                                        ; implicit-def: $sgpr10
	s_and_saveexec_b64 s[8:9], s[12:13]
; %bb.3202:
	s_mov_b32 s10, 0x7f800001
	s_xor_b64 s[4:5], exec, -1
; %bb.3203:
	s_or_b64 exec, exec, s[8:9]
	s_and_b64 s[4:5], s[4:5], exec
	s_or_saveexec_b64 s[6:7], s[6:7]
	v_mov_b32_e32 v10, s10
	s_xor_b64 exec, exec, s[6:7]
	s_cbranch_execz .LBB7_1154
.LBB7_3204:
	v_mov_b32_e32 v10, 0
	v_cmp_ne_u16_sdwa s[8:9], v6, v10 src0_sel:BYTE_0 src1_sel:DWORD
	s_andn2_b64 s[4:5], s[4:5], exec
	s_and_b64 s[8:9], s[8:9], exec
	s_or_b64 s[4:5], s[4:5], s[8:9]
	s_or_b64 exec, exec, s[6:7]
	s_and_saveexec_b64 s[6:7], s[4:5]
	s_cbranch_execnz .LBB7_1155
	s_branch .LBB7_1156
.LBB7_3205:
	s_movk_i32 s4, 0x80
	v_cmp_eq_u16_sdwa s[12:13], v2, s4 src0_sel:BYTE_0 src1_sel:DWORD
	s_mov_b64 s[4:5], -1
                                        ; implicit-def: $sgpr10
	s_and_saveexec_b64 s[8:9], s[12:13]
; %bb.3206:
	s_mov_b32 s10, 0x7f800001
	s_xor_b64 s[4:5], exec, -1
; %bb.3207:
	s_or_b64 exec, exec, s[8:9]
	s_and_b64 s[4:5], s[4:5], exec
	s_or_saveexec_b64 s[6:7], s[6:7]
	v_mov_b32_e32 v11, s10
	s_xor_b64 exec, exec, s[6:7]
	s_cbranch_execz .LBB7_1158
.LBB7_3208:
	v_mov_b32_e32 v11, 0
	v_cmp_ne_u16_sdwa s[8:9], v2, v11 src0_sel:BYTE_0 src1_sel:DWORD
	s_andn2_b64 s[4:5], s[4:5], exec
	s_and_b64 s[8:9], s[8:9], exec
	s_or_b64 s[4:5], s[4:5], s[8:9]
	s_or_b64 exec, exec, s[6:7]
	s_and_saveexec_b64 s[6:7], s[4:5]
	s_cbranch_execnz .LBB7_1159
	s_branch .LBB7_1160
.LBB7_3209:
	s_movk_i32 s4, 0x80
	v_cmp_eq_u16_sdwa s[12:13], v11, s4 src0_sel:BYTE_0 src1_sel:DWORD
	s_mov_b64 s[4:5], -1
                                        ; implicit-def: $sgpr10
	s_and_saveexec_b64 s[8:9], s[12:13]
; %bb.3210:
	s_mov_b32 s10, 0x7f800001
	s_xor_b64 s[4:5], exec, -1
; %bb.3211:
	s_or_b64 exec, exec, s[8:9]
	s_and_b64 s[4:5], s[4:5], exec
	s_or_saveexec_b64 s[6:7], s[6:7]
	v_mov_b32_e32 v10, s10
	s_xor_b64 exec, exec, s[6:7]
	s_cbranch_execz .LBB7_1162
.LBB7_3212:
	v_mov_b32_e32 v10, 0
	v_cmp_ne_u16_sdwa s[8:9], v11, v10 src0_sel:BYTE_0 src1_sel:DWORD
	s_andn2_b64 s[4:5], s[4:5], exec
	s_and_b64 s[8:9], s[8:9], exec
	s_or_b64 s[4:5], s[4:5], s[8:9]
	s_or_b64 exec, exec, s[6:7]
	s_and_saveexec_b64 s[6:7], s[4:5]
	s_cbranch_execnz .LBB7_1163
	s_branch .LBB7_1164
.LBB7_3213:
	s_movk_i32 s4, 0x80
	v_cmp_eq_u16_sdwa s[12:13], v11, s4 src0_sel:BYTE_0 src1_sel:DWORD
	s_mov_b64 s[4:5], -1
                                        ; implicit-def: $sgpr10
	s_and_saveexec_b64 s[8:9], s[12:13]
; %bb.3214:
	s_mov_b32 s10, 0x7f800001
	s_xor_b64 s[4:5], exec, -1
; %bb.3215:
	s_or_b64 exec, exec, s[8:9]
	s_and_b64 s[4:5], s[4:5], exec
	s_or_saveexec_b64 s[6:7], s[6:7]
	v_mov_b32_e32 v12, s10
	s_xor_b64 exec, exec, s[6:7]
	s_cbranch_execz .LBB7_1166
.LBB7_3216:
	v_mov_b32_e32 v12, 0
	v_cmp_ne_u16_sdwa s[8:9], v11, v12 src0_sel:BYTE_0 src1_sel:DWORD
	s_andn2_b64 s[4:5], s[4:5], exec
	s_and_b64 s[8:9], s[8:9], exec
	s_or_b64 s[4:5], s[4:5], s[8:9]
	s_or_b64 exec, exec, s[6:7]
	s_and_saveexec_b64 s[6:7], s[4:5]
	s_cbranch_execnz .LBB7_1167
	s_branch .LBB7_1168
.LBB7_3217:
	s_movk_i32 s4, 0x80
	v_cmp_eq_u16_e32 vcc, s4, v11
	s_mov_b64 s[4:5], -1
                                        ; implicit-def: $sgpr10
	s_and_saveexec_b64 s[8:9], vcc
; %bb.3218:
	s_mov_b32 s10, 0x7f800001
	s_xor_b64 s[4:5], exec, -1
; %bb.3219:
	s_or_b64 exec, exec, s[8:9]
	s_and_b64 s[4:5], s[4:5], exec
                                        ; implicit-def: $vgpr11
	s_or_saveexec_b64 s[6:7], s[6:7]
	v_mov_b32_e32 v10, s10
	s_xor_b64 exec, exec, s[6:7]
	s_cbranch_execz .LBB7_1170
.LBB7_3220:
	v_cmp_ne_u16_e32 vcc, 0, v11
	s_andn2_b64 s[4:5], s[4:5], exec
	s_and_b64 s[8:9], vcc, exec
	v_mov_b32_e32 v10, 0
	s_or_b64 s[4:5], s[4:5], s[8:9]
	s_or_b64 exec, exec, s[6:7]
	s_and_saveexec_b64 s[6:7], s[4:5]
	s_cbranch_execnz .LBB7_1171
	s_branch .LBB7_1172
.LBB7_3221:
	s_movk_i32 s4, 0x80
	v_cmp_eq_u16_e32 vcc, s4, v11
	s_mov_b64 s[4:5], -1
                                        ; implicit-def: $sgpr10
	s_and_saveexec_b64 s[8:9], vcc
; %bb.3222:
	s_mov_b32 s10, 0x7f800001
	s_xor_b64 s[4:5], exec, -1
; %bb.3223:
	s_or_b64 exec, exec, s[8:9]
	s_and_b64 s[4:5], s[4:5], exec
                                        ; implicit-def: $vgpr11
	s_or_saveexec_b64 s[6:7], s[6:7]
	v_mov_b32_e32 v12, s10
	s_xor_b64 exec, exec, s[6:7]
	s_cbranch_execz .LBB7_1174
.LBB7_3224:
	v_cmp_ne_u16_e32 vcc, 0, v11
	s_andn2_b64 s[4:5], s[4:5], exec
	s_and_b64 s[8:9], vcc, exec
	v_mov_b32_e32 v12, 0
	s_or_b64 s[4:5], s[4:5], s[8:9]
	s_or_b64 exec, exec, s[6:7]
	s_and_saveexec_b64 s[6:7], s[4:5]
	s_cbranch_execnz .LBB7_1175
	s_branch .LBB7_1176
.LBB7_3225:
	s_movk_i32 s4, 0x80
	v_cmp_eq_u16_sdwa s[12:13], v6, s4 src0_sel:BYTE_3 src1_sel:DWORD
	s_mov_b64 s[4:5], -1
                                        ; implicit-def: $sgpr10
	s_and_saveexec_b64 s[8:9], s[12:13]
; %bb.3226:
	s_mov_b32 s10, 0x7f800001
	s_xor_b64 s[4:5], exec, -1
; %bb.3227:
	s_or_b64 exec, exec, s[8:9]
	s_and_b64 s[4:5], s[4:5], exec
	s_or_saveexec_b64 s[6:7], s[6:7]
	v_mov_b32_e32 v10, s10
	s_xor_b64 exec, exec, s[6:7]
	s_cbranch_execz .LBB7_1178
.LBB7_3228:
	v_mov_b32_e32 v10, 0
	v_cmp_ne_u16_sdwa s[8:9], v6, v10 src0_sel:BYTE_3 src1_sel:DWORD
	s_andn2_b64 s[4:5], s[4:5], exec
	s_and_b64 s[8:9], s[8:9], exec
	s_or_b64 s[4:5], s[4:5], s[8:9]
	s_or_b64 exec, exec, s[6:7]
	s_and_saveexec_b64 s[6:7], s[4:5]
	s_cbranch_execnz .LBB7_1179
	s_branch .LBB7_1180
.LBB7_3229:
	s_movk_i32 s4, 0x80
	v_cmp_eq_u16_sdwa s[12:13], v2, s4 src0_sel:BYTE_3 src1_sel:DWORD
	s_mov_b64 s[4:5], -1
                                        ; implicit-def: $sgpr10
	s_and_saveexec_b64 s[8:9], s[12:13]
; %bb.3230:
	s_mov_b32 s10, 0x7f800001
	s_xor_b64 s[4:5], exec, -1
; %bb.3231:
	s_or_b64 exec, exec, s[8:9]
	s_and_b64 s[4:5], s[4:5], exec
	s_or_saveexec_b64 s[6:7], s[6:7]
	v_mov_b32_e32 v6, s10
	s_xor_b64 exec, exec, s[6:7]
	s_cbranch_execz .LBB7_1182
.LBB7_3232:
	v_mov_b32_e32 v6, 0
	v_cmp_ne_u16_sdwa s[8:9], v2, v6 src0_sel:BYTE_3 src1_sel:DWORD
	s_andn2_b64 s[4:5], s[4:5], exec
	s_and_b64 s[8:9], s[8:9], exec
	s_or_b64 s[4:5], s[4:5], s[8:9]
	s_or_b64 exec, exec, s[6:7]
	s_and_saveexec_b64 s[6:7], s[4:5]
	s_cbranch_execnz .LBB7_1183
	s_branch .LBB7_1184
.LBB7_3233:
	s_movk_i32 s4, 0x80
	v_cmp_eq_u16_sdwa s[12:13], v7, s4 src0_sel:BYTE_0 src1_sel:DWORD
	s_mov_b64 s[4:5], -1
                                        ; implicit-def: $sgpr10
	s_and_saveexec_b64 s[8:9], s[12:13]
; %bb.3234:
	s_mov_b32 s10, 0x7f800001
	s_xor_b64 s[4:5], exec, -1
; %bb.3235:
	s_or_b64 exec, exec, s[8:9]
	s_and_b64 s[4:5], s[4:5], exec
	s_or_saveexec_b64 s[6:7], s[6:7]
	v_mov_b32_e32 v2, s10
	s_xor_b64 exec, exec, s[6:7]
	s_cbranch_execz .LBB7_1186
.LBB7_3236:
	v_mov_b32_e32 v2, 0
	v_cmp_ne_u16_sdwa s[8:9], v7, v2 src0_sel:BYTE_0 src1_sel:DWORD
	s_andn2_b64 s[4:5], s[4:5], exec
	s_and_b64 s[8:9], s[8:9], exec
	s_or_b64 s[4:5], s[4:5], s[8:9]
	s_or_b64 exec, exec, s[6:7]
	s_and_saveexec_b64 s[6:7], s[4:5]
	s_cbranch_execnz .LBB7_1187
	s_branch .LBB7_1188
.LBB7_3237:
	s_movk_i32 s4, 0x80
	v_cmp_eq_u16_sdwa s[12:13], v3, s4 src0_sel:BYTE_0 src1_sel:DWORD
	s_mov_b64 s[4:5], -1
                                        ; implicit-def: $sgpr10
	s_and_saveexec_b64 s[8:9], s[12:13]
; %bb.3238:
	s_mov_b32 s10, 0x7f800001
	s_xor_b64 s[4:5], exec, -1
; %bb.3239:
	s_or_b64 exec, exec, s[8:9]
	s_and_b64 s[4:5], s[4:5], exec
	s_or_saveexec_b64 s[6:7], s[6:7]
	v_mov_b32_e32 v6, s10
	s_xor_b64 exec, exec, s[6:7]
	s_cbranch_execz .LBB7_1190
.LBB7_3240:
	v_mov_b32_e32 v6, 0
	v_cmp_ne_u16_sdwa s[8:9], v3, v6 src0_sel:BYTE_0 src1_sel:DWORD
	s_andn2_b64 s[4:5], s[4:5], exec
	s_and_b64 s[8:9], s[8:9], exec
	s_or_b64 s[4:5], s[4:5], s[8:9]
	s_or_b64 exec, exec, s[6:7]
	s_and_saveexec_b64 s[6:7], s[4:5]
	s_cbranch_execnz .LBB7_1191
	s_branch .LBB7_1192
.LBB7_3241:
	s_movk_i32 s4, 0x80
	v_cmp_eq_u16_sdwa s[12:13], v6, s4 src0_sel:BYTE_0 src1_sel:DWORD
	s_mov_b64 s[4:5], -1
                                        ; implicit-def: $sgpr10
	s_and_saveexec_b64 s[8:9], s[12:13]
; %bb.3242:
	s_mov_b32 s10, 0x7f800001
	s_xor_b64 s[4:5], exec, -1
; %bb.3243:
	s_or_b64 exec, exec, s[8:9]
	s_and_b64 s[4:5], s[4:5], exec
	s_or_saveexec_b64 s[6:7], s[6:7]
	v_mov_b32_e32 v2, s10
	s_xor_b64 exec, exec, s[6:7]
	s_cbranch_execz .LBB7_1194
.LBB7_3244:
	v_mov_b32_e32 v2, 0
	v_cmp_ne_u16_sdwa s[8:9], v6, v2 src0_sel:BYTE_0 src1_sel:DWORD
	s_andn2_b64 s[4:5], s[4:5], exec
	s_and_b64 s[8:9], s[8:9], exec
	s_or_b64 s[4:5], s[4:5], s[8:9]
	s_or_b64 exec, exec, s[6:7]
	s_and_saveexec_b64 s[6:7], s[4:5]
	s_cbranch_execnz .LBB7_1195
	s_branch .LBB7_1196
.LBB7_3245:
	s_movk_i32 s4, 0x80
	v_cmp_eq_u16_sdwa s[12:13], v6, s4 src0_sel:BYTE_0 src1_sel:DWORD
	s_mov_b64 s[4:5], -1
                                        ; implicit-def: $sgpr10
	s_and_saveexec_b64 s[8:9], s[12:13]
; %bb.3246:
	s_mov_b32 s10, 0x7f800001
	s_xor_b64 s[4:5], exec, -1
; %bb.3247:
	s_or_b64 exec, exec, s[8:9]
	s_and_b64 s[4:5], s[4:5], exec
	s_or_saveexec_b64 s[6:7], s[6:7]
	v_mov_b32_e32 v10, s10
	s_xor_b64 exec, exec, s[6:7]
	s_cbranch_execz .LBB7_1198
.LBB7_3248:
	v_mov_b32_e32 v10, 0
	v_cmp_ne_u16_sdwa s[8:9], v6, v10 src0_sel:BYTE_0 src1_sel:DWORD
	s_andn2_b64 s[4:5], s[4:5], exec
	s_and_b64 s[8:9], s[8:9], exec
	s_or_b64 s[4:5], s[4:5], s[8:9]
	s_or_b64 exec, exec, s[6:7]
	s_and_saveexec_b64 s[6:7], s[4:5]
	s_cbranch_execnz .LBB7_1199
	s_branch .LBB7_1200
.LBB7_3249:
	s_movk_i32 s4, 0x80
	v_cmp_eq_u16_e32 vcc, s4, v6
	s_mov_b64 s[4:5], -1
                                        ; implicit-def: $sgpr10
	s_and_saveexec_b64 s[8:9], vcc
; %bb.3250:
	s_mov_b32 s10, 0x7f800001
	s_xor_b64 s[4:5], exec, -1
; %bb.3251:
	s_or_b64 exec, exec, s[8:9]
	s_and_b64 s[4:5], s[4:5], exec
                                        ; implicit-def: $vgpr6
	s_or_saveexec_b64 s[6:7], s[6:7]
	v_mov_b32_e32 v2, s10
	s_xor_b64 exec, exec, s[6:7]
	s_cbranch_execz .LBB7_1202
.LBB7_3252:
	v_cmp_ne_u16_e32 vcc, 0, v6
	s_andn2_b64 s[4:5], s[4:5], exec
	s_and_b64 s[8:9], vcc, exec
	v_mov_b32_e32 v2, 0
	s_or_b64 s[4:5], s[4:5], s[8:9]
	s_or_b64 exec, exec, s[6:7]
	s_and_saveexec_b64 s[6:7], s[4:5]
	s_cbranch_execnz .LBB7_1203
	s_branch .LBB7_1204
.LBB7_3253:
	s_movk_i32 s4, 0x80
	v_cmp_eq_u16_e32 vcc, s4, v6
	s_mov_b64 s[4:5], -1
                                        ; implicit-def: $sgpr10
	s_and_saveexec_b64 s[8:9], vcc
; %bb.3254:
	s_mov_b32 s10, 0x7f800001
	s_xor_b64 s[4:5], exec, -1
; %bb.3255:
	s_or_b64 exec, exec, s[8:9]
	s_and_b64 s[4:5], s[4:5], exec
                                        ; implicit-def: $vgpr6
	s_or_saveexec_b64 s[6:7], s[6:7]
	v_mov_b32_e32 v10, s10
	s_xor_b64 exec, exec, s[6:7]
	s_cbranch_execz .LBB7_1206
.LBB7_3256:
	v_cmp_ne_u16_e32 vcc, 0, v6
	s_andn2_b64 s[4:5], s[4:5], exec
	s_and_b64 s[8:9], vcc, exec
	v_mov_b32_e32 v10, 0
	s_or_b64 s[4:5], s[4:5], s[8:9]
	s_or_b64 exec, exec, s[6:7]
	s_and_saveexec_b64 s[6:7], s[4:5]
	s_cbranch_execnz .LBB7_1207
	s_branch .LBB7_1208
.LBB7_3257:
	s_movk_i32 s4, 0x80
	v_cmp_eq_u16_sdwa s[12:13], v7, s4 src0_sel:BYTE_3 src1_sel:DWORD
	s_mov_b64 s[4:5], -1
                                        ; implicit-def: $sgpr10
	s_and_saveexec_b64 s[8:9], s[12:13]
; %bb.3258:
	s_mov_b32 s10, 0x7f800001
	s_xor_b64 s[4:5], exec, -1
; %bb.3259:
	s_or_b64 exec, exec, s[8:9]
	s_and_b64 s[4:5], s[4:5], exec
	s_or_saveexec_b64 s[6:7], s[6:7]
	v_mov_b32_e32 v2, s10
	s_xor_b64 exec, exec, s[6:7]
	s_cbranch_execz .LBB7_1210
.LBB7_3260:
	v_mov_b32_e32 v2, 0
	v_cmp_ne_u16_sdwa s[8:9], v7, v2 src0_sel:BYTE_3 src1_sel:DWORD
	s_andn2_b64 s[4:5], s[4:5], exec
	s_and_b64 s[8:9], s[8:9], exec
	s_or_b64 s[4:5], s[4:5], s[8:9]
	s_or_b64 exec, exec, s[6:7]
	s_and_saveexec_b64 s[6:7], s[4:5]
	s_cbranch_execnz .LBB7_1211
	s_branch .LBB7_1212
.LBB7_3261:
	s_movk_i32 s4, 0x80
	v_cmp_eq_u16_sdwa s[12:13], v3, s4 src0_sel:BYTE_3 src1_sel:DWORD
	s_mov_b64 s[4:5], -1
                                        ; implicit-def: $sgpr10
	s_and_saveexec_b64 s[8:9], s[12:13]
; %bb.3262:
	s_mov_b32 s10, 0x7f800001
	s_xor_b64 s[4:5], exec, -1
; %bb.3263:
	s_or_b64 exec, exec, s[8:9]
	s_and_b64 s[4:5], s[4:5], exec
	s_or_saveexec_b64 s[6:7], s[6:7]
	v_mov_b32_e32 v6, s10
	s_xor_b64 exec, exec, s[6:7]
	s_cbranch_execz .LBB7_1214
.LBB7_3264:
	v_mov_b32_e32 v6, 0
	v_cmp_ne_u16_sdwa s[8:9], v3, v6 src0_sel:BYTE_3 src1_sel:DWORD
	s_andn2_b64 s[4:5], s[4:5], exec
	s_and_b64 s[8:9], s[8:9], exec
	s_or_b64 s[4:5], s[4:5], s[8:9]
	s_or_b64 exec, exec, s[6:7]
	s_and_saveexec_b64 s[6:7], s[4:5]
	s_cbranch_execnz .LBB7_1215
	s_branch .LBB7_1216
.LBB7_3265:
	s_movk_i32 s4, 0x80
	v_cmp_eq_u16_sdwa s[12:13], v8, s4 src0_sel:BYTE_0 src1_sel:DWORD
	s_mov_b64 s[4:5], -1
                                        ; implicit-def: $sgpr10
	s_and_saveexec_b64 s[8:9], s[12:13]
; %bb.3266:
	s_mov_b32 s10, 0x7f800001
	s_xor_b64 s[4:5], exec, -1
; %bb.3267:
	s_or_b64 exec, exec, s[8:9]
	s_and_b64 s[4:5], s[4:5], exec
	s_or_saveexec_b64 s[6:7], s[6:7]
	v_mov_b32_e32 v2, s10
	s_xor_b64 exec, exec, s[6:7]
	s_cbranch_execz .LBB7_1218
.LBB7_3268:
	v_mov_b32_e32 v2, 0
	v_cmp_ne_u16_sdwa s[8:9], v8, v2 src0_sel:BYTE_0 src1_sel:DWORD
	s_andn2_b64 s[4:5], s[4:5], exec
	s_and_b64 s[8:9], s[8:9], exec
	s_or_b64 s[4:5], s[4:5], s[8:9]
	s_or_b64 exec, exec, s[6:7]
	s_and_saveexec_b64 s[6:7], s[4:5]
	s_cbranch_execnz .LBB7_1219
	s_branch .LBB7_1220
.LBB7_3269:
	s_movk_i32 s4, 0x80
	v_cmp_eq_u16_sdwa s[12:13], v4, s4 src0_sel:BYTE_0 src1_sel:DWORD
	s_mov_b64 s[4:5], -1
                                        ; implicit-def: $sgpr10
	s_and_saveexec_b64 s[8:9], s[12:13]
; %bb.3270:
	s_mov_b32 s10, 0x7f800001
	s_xor_b64 s[4:5], exec, -1
; %bb.3271:
	s_or_b64 exec, exec, s[8:9]
	s_and_b64 s[4:5], s[4:5], exec
	s_or_saveexec_b64 s[6:7], s[6:7]
	v_mov_b32_e32 v3, s10
	s_xor_b64 exec, exec, s[6:7]
	s_cbranch_execz .LBB7_1222
.LBB7_3272:
	v_mov_b32_e32 v3, 0
	v_cmp_ne_u16_sdwa s[8:9], v4, v3 src0_sel:BYTE_0 src1_sel:DWORD
	s_andn2_b64 s[4:5], s[4:5], exec
	s_and_b64 s[8:9], s[8:9], exec
	s_or_b64 s[4:5], s[4:5], s[8:9]
	s_or_b64 exec, exec, s[6:7]
	s_and_saveexec_b64 s[6:7], s[4:5]
	s_cbranch_execnz .LBB7_1223
	s_branch .LBB7_1224
.LBB7_3273:
	s_movk_i32 s4, 0x80
	v_cmp_eq_u16_sdwa s[12:13], v3, s4 src0_sel:BYTE_0 src1_sel:DWORD
	s_mov_b64 s[4:5], -1
                                        ; implicit-def: $sgpr10
	s_and_saveexec_b64 s[8:9], s[12:13]
; %bb.3274:
	s_mov_b32 s10, 0x7f800001
	s_xor_b64 s[4:5], exec, -1
; %bb.3275:
	s_or_b64 exec, exec, s[8:9]
	s_and_b64 s[4:5], s[4:5], exec
	s_or_saveexec_b64 s[6:7], s[6:7]
	v_mov_b32_e32 v2, s10
	s_xor_b64 exec, exec, s[6:7]
	s_cbranch_execz .LBB7_1226
.LBB7_3276:
	v_mov_b32_e32 v2, 0
	v_cmp_ne_u16_sdwa s[8:9], v3, v2 src0_sel:BYTE_0 src1_sel:DWORD
	s_andn2_b64 s[4:5], s[4:5], exec
	s_and_b64 s[8:9], s[8:9], exec
	s_or_b64 s[4:5], s[4:5], s[8:9]
	s_or_b64 exec, exec, s[6:7]
	s_and_saveexec_b64 s[6:7], s[4:5]
	s_cbranch_execnz .LBB7_1227
	s_branch .LBB7_1228
.LBB7_3277:
	s_movk_i32 s4, 0x80
	v_cmp_eq_u16_sdwa s[12:13], v3, s4 src0_sel:BYTE_0 src1_sel:DWORD
	s_mov_b64 s[4:5], -1
                                        ; implicit-def: $sgpr10
	s_and_saveexec_b64 s[8:9], s[12:13]
; %bb.3278:
	s_mov_b32 s10, 0x7f800001
	s_xor_b64 s[4:5], exec, -1
; %bb.3279:
	s_or_b64 exec, exec, s[8:9]
	s_and_b64 s[4:5], s[4:5], exec
	s_or_saveexec_b64 s[6:7], s[6:7]
	v_mov_b32_e32 v6, s10
	s_xor_b64 exec, exec, s[6:7]
	s_cbranch_execz .LBB7_1230
.LBB7_3280:
	v_mov_b32_e32 v6, 0
	v_cmp_ne_u16_sdwa s[8:9], v3, v6 src0_sel:BYTE_0 src1_sel:DWORD
	s_andn2_b64 s[4:5], s[4:5], exec
	s_and_b64 s[8:9], s[8:9], exec
	s_or_b64 s[4:5], s[4:5], s[8:9]
	s_or_b64 exec, exec, s[6:7]
	s_and_saveexec_b64 s[6:7], s[4:5]
	s_cbranch_execnz .LBB7_1231
	s_branch .LBB7_1232
.LBB7_3281:
	s_movk_i32 s4, 0x80
	v_cmp_eq_u16_e32 vcc, s4, v3
	s_mov_b64 s[4:5], -1
                                        ; implicit-def: $sgpr10
	s_and_saveexec_b64 s[8:9], vcc
; %bb.3282:
	s_mov_b32 s10, 0x7f800001
	s_xor_b64 s[4:5], exec, -1
; %bb.3283:
	s_or_b64 exec, exec, s[8:9]
	s_and_b64 s[4:5], s[4:5], exec
                                        ; implicit-def: $vgpr3
	s_or_saveexec_b64 s[6:7], s[6:7]
	v_mov_b32_e32 v2, s10
	s_xor_b64 exec, exec, s[6:7]
	s_cbranch_execz .LBB7_1234
.LBB7_3284:
	v_cmp_ne_u16_e32 vcc, 0, v3
	s_andn2_b64 s[4:5], s[4:5], exec
	s_and_b64 s[8:9], vcc, exec
	v_mov_b32_e32 v2, 0
	s_or_b64 s[4:5], s[4:5], s[8:9]
	s_or_b64 exec, exec, s[6:7]
	s_and_saveexec_b64 s[6:7], s[4:5]
	s_cbranch_execnz .LBB7_1235
	s_branch .LBB7_1236
.LBB7_3285:
	s_movk_i32 s4, 0x80
	v_cmp_eq_u16_e32 vcc, s4, v3
	s_mov_b64 s[4:5], -1
                                        ; implicit-def: $sgpr10
	s_and_saveexec_b64 s[8:9], vcc
; %bb.3286:
	s_mov_b32 s10, 0x7f800001
	s_xor_b64 s[4:5], exec, -1
; %bb.3287:
	s_or_b64 exec, exec, s[8:9]
	s_and_b64 s[4:5], s[4:5], exec
                                        ; implicit-def: $vgpr3
	s_or_saveexec_b64 s[6:7], s[6:7]
	v_mov_b32_e32 v6, s10
	s_xor_b64 exec, exec, s[6:7]
	s_cbranch_execz .LBB7_1238
.LBB7_3288:
	v_cmp_ne_u16_e32 vcc, 0, v3
	s_andn2_b64 s[4:5], s[4:5], exec
	s_and_b64 s[8:9], vcc, exec
	v_mov_b32_e32 v6, 0
	s_or_b64 s[4:5], s[4:5], s[8:9]
	s_or_b64 exec, exec, s[6:7]
	s_and_saveexec_b64 s[6:7], s[4:5]
	s_cbranch_execnz .LBB7_1239
	s_branch .LBB7_1240
.LBB7_3289:
	s_movk_i32 s4, 0x80
	v_cmp_eq_u16_sdwa s[12:13], v8, s4 src0_sel:BYTE_3 src1_sel:DWORD
	s_mov_b64 s[4:5], -1
                                        ; implicit-def: $sgpr10
	s_and_saveexec_b64 s[8:9], s[12:13]
; %bb.3290:
	s_mov_b32 s10, 0x7f800001
	s_xor_b64 s[4:5], exec, -1
; %bb.3291:
	s_or_b64 exec, exec, s[8:9]
	s_and_b64 s[4:5], s[4:5], exec
	s_or_saveexec_b64 s[6:7], s[6:7]
	v_mov_b32_e32 v2, s10
	s_xor_b64 exec, exec, s[6:7]
	s_cbranch_execz .LBB7_1242
.LBB7_3292:
	v_mov_b32_e32 v2, 0
	v_cmp_ne_u16_sdwa s[8:9], v8, v2 src0_sel:BYTE_3 src1_sel:DWORD
	s_andn2_b64 s[4:5], s[4:5], exec
	s_and_b64 s[8:9], s[8:9], exec
	s_or_b64 s[4:5], s[4:5], s[8:9]
	s_or_b64 exec, exec, s[6:7]
	s_and_saveexec_b64 s[6:7], s[4:5]
	s_cbranch_execnz .LBB7_1243
	s_branch .LBB7_1244
.LBB7_3293:
	s_movk_i32 s4, 0x80
	v_cmp_eq_u16_sdwa s[12:13], v4, s4 src0_sel:BYTE_3 src1_sel:DWORD
	s_mov_b64 s[4:5], -1
                                        ; implicit-def: $sgpr10
	s_and_saveexec_b64 s[8:9], s[12:13]
; %bb.3294:
	s_mov_b32 s10, 0x7f800001
	s_xor_b64 s[4:5], exec, -1
; %bb.3295:
	s_or_b64 exec, exec, s[8:9]
	s_and_b64 s[4:5], s[4:5], exec
	s_or_saveexec_b64 s[6:7], s[6:7]
	v_mov_b32_e32 v3, s10
	s_xor_b64 exec, exec, s[6:7]
	s_cbranch_execz .LBB7_1246
.LBB7_3296:
	v_mov_b32_e32 v3, 0
	v_cmp_ne_u16_sdwa s[8:9], v4, v3 src0_sel:BYTE_3 src1_sel:DWORD
	s_andn2_b64 s[4:5], s[4:5], exec
	s_and_b64 s[8:9], s[8:9], exec
	s_or_b64 s[4:5], s[4:5], s[8:9]
	s_or_b64 exec, exec, s[6:7]
	s_and_saveexec_b64 s[6:7], s[4:5]
	s_cbranch_execnz .LBB7_1247
	s_branch .LBB7_1248
.LBB7_3297:
	s_movk_i32 s4, 0x80
	v_cmp_eq_u16_sdwa s[12:13], v9, s4 src0_sel:BYTE_0 src1_sel:DWORD
	s_mov_b64 s[4:5], -1
                                        ; implicit-def: $sgpr10
	s_and_saveexec_b64 s[8:9], s[12:13]
; %bb.3298:
	s_mov_b32 s10, 0x7f800001
	s_xor_b64 s[4:5], exec, -1
; %bb.3299:
	s_or_b64 exec, exec, s[8:9]
	s_and_b64 s[4:5], s[4:5], exec
	s_or_saveexec_b64 s[6:7], s[6:7]
	v_mov_b32_e32 v2, s10
	s_xor_b64 exec, exec, s[6:7]
	s_cbranch_execz .LBB7_1250
.LBB7_3300:
	v_mov_b32_e32 v2, 0
	v_cmp_ne_u16_sdwa s[8:9], v9, v2 src0_sel:BYTE_0 src1_sel:DWORD
	s_andn2_b64 s[4:5], s[4:5], exec
	s_and_b64 s[8:9], s[8:9], exec
	s_or_b64 s[4:5], s[4:5], s[8:9]
	s_or_b64 exec, exec, s[6:7]
	s_and_saveexec_b64 s[6:7], s[4:5]
	s_cbranch_execnz .LBB7_1251
	s_branch .LBB7_1252
.LBB7_3301:
	s_movk_i32 s4, 0x80
	v_cmp_eq_u16_sdwa s[12:13], v5, s4 src0_sel:BYTE_0 src1_sel:DWORD
	s_mov_b64 s[4:5], -1
                                        ; implicit-def: $sgpr10
	s_and_saveexec_b64 s[8:9], s[12:13]
; %bb.3302:
	s_mov_b32 s10, 0x7f800001
	s_xor_b64 s[4:5], exec, -1
; %bb.3303:
	s_or_b64 exec, exec, s[8:9]
	s_and_b64 s[4:5], s[4:5], exec
	s_or_saveexec_b64 s[6:7], s[6:7]
	v_mov_b32_e32 v3, s10
	s_xor_b64 exec, exec, s[6:7]
	s_cbranch_execz .LBB7_1254
.LBB7_3304:
	v_mov_b32_e32 v3, 0
	v_cmp_ne_u16_sdwa s[8:9], v5, v3 src0_sel:BYTE_0 src1_sel:DWORD
	s_andn2_b64 s[4:5], s[4:5], exec
	s_and_b64 s[8:9], s[8:9], exec
	s_or_b64 s[4:5], s[4:5], s[8:9]
	s_or_b64 exec, exec, s[6:7]
	s_and_saveexec_b64 s[6:7], s[4:5]
	s_cbranch_execnz .LBB7_1255
	s_branch .LBB7_1256
.LBB7_3305:
	s_movk_i32 s4, 0x80
	v_cmp_eq_u16_sdwa s[12:13], v3, s4 src0_sel:BYTE_0 src1_sel:DWORD
	s_mov_b64 s[4:5], -1
                                        ; implicit-def: $sgpr10
	s_and_saveexec_b64 s[8:9], s[12:13]
; %bb.3306:
	s_mov_b32 s10, 0x7f800001
	s_xor_b64 s[4:5], exec, -1
; %bb.3307:
	s_or_b64 exec, exec, s[8:9]
	s_and_b64 s[4:5], s[4:5], exec
	s_or_saveexec_b64 s[6:7], s[6:7]
	v_mov_b32_e32 v2, s10
	s_xor_b64 exec, exec, s[6:7]
	s_cbranch_execz .LBB7_1258
.LBB7_3308:
	v_mov_b32_e32 v2, 0
	v_cmp_ne_u16_sdwa s[8:9], v3, v2 src0_sel:BYTE_0 src1_sel:DWORD
	s_andn2_b64 s[4:5], s[4:5], exec
	s_and_b64 s[8:9], s[8:9], exec
	s_or_b64 s[4:5], s[4:5], s[8:9]
	s_or_b64 exec, exec, s[6:7]
	s_and_saveexec_b64 s[6:7], s[4:5]
	s_cbranch_execnz .LBB7_1259
	s_branch .LBB7_1260
.LBB7_3309:
	s_movk_i32 s4, 0x80
	v_cmp_eq_u16_sdwa s[12:13], v3, s4 src0_sel:BYTE_0 src1_sel:DWORD
	s_mov_b64 s[4:5], -1
                                        ; implicit-def: $sgpr10
	s_and_saveexec_b64 s[8:9], s[12:13]
; %bb.3310:
	s_mov_b32 s10, 0x7f800001
	s_xor_b64 s[4:5], exec, -1
; %bb.3311:
	s_or_b64 exec, exec, s[8:9]
	s_and_b64 s[4:5], s[4:5], exec
	s_or_saveexec_b64 s[6:7], s[6:7]
	v_mov_b32_e32 v4, s10
	s_xor_b64 exec, exec, s[6:7]
	s_cbranch_execz .LBB7_1262
.LBB7_3312:
	v_mov_b32_e32 v4, 0
	v_cmp_ne_u16_sdwa s[8:9], v3, v4 src0_sel:BYTE_0 src1_sel:DWORD
	s_andn2_b64 s[4:5], s[4:5], exec
	s_and_b64 s[8:9], s[8:9], exec
	s_or_b64 s[4:5], s[4:5], s[8:9]
	s_or_b64 exec, exec, s[6:7]
	s_and_saveexec_b64 s[6:7], s[4:5]
	s_cbranch_execnz .LBB7_1263
	s_branch .LBB7_1264
.LBB7_3313:
	s_movk_i32 s4, 0x80
	v_cmp_eq_u16_e32 vcc, s4, v3
	s_mov_b64 s[4:5], -1
                                        ; implicit-def: $sgpr10
	s_and_saveexec_b64 s[8:9], vcc
; %bb.3314:
	s_mov_b32 s10, 0x7f800001
	s_xor_b64 s[4:5], exec, -1
; %bb.3315:
	s_or_b64 exec, exec, s[8:9]
	s_and_b64 s[4:5], s[4:5], exec
                                        ; implicit-def: $vgpr3
	s_or_saveexec_b64 s[6:7], s[6:7]
	v_mov_b32_e32 v2, s10
	s_xor_b64 exec, exec, s[6:7]
	s_cbranch_execz .LBB7_1266
.LBB7_3316:
	v_cmp_ne_u16_e32 vcc, 0, v3
	s_andn2_b64 s[4:5], s[4:5], exec
	s_and_b64 s[8:9], vcc, exec
	v_mov_b32_e32 v2, 0
	s_or_b64 s[4:5], s[4:5], s[8:9]
	s_or_b64 exec, exec, s[6:7]
	s_and_saveexec_b64 s[6:7], s[4:5]
	s_cbranch_execnz .LBB7_1267
	s_branch .LBB7_1268
.LBB7_3317:
	s_movk_i32 s4, 0x80
	v_cmp_eq_u16_e32 vcc, s4, v3
	s_mov_b64 s[4:5], -1
                                        ; implicit-def: $sgpr10
	s_and_saveexec_b64 s[8:9], vcc
; %bb.3318:
	s_mov_b32 s10, 0x7f800001
	s_xor_b64 s[4:5], exec, -1
; %bb.3319:
	s_or_b64 exec, exec, s[8:9]
	s_and_b64 s[4:5], s[4:5], exec
                                        ; implicit-def: $vgpr3
	s_or_saveexec_b64 s[6:7], s[6:7]
	v_mov_b32_e32 v4, s10
	s_xor_b64 exec, exec, s[6:7]
	s_cbranch_execz .LBB7_1270
.LBB7_3320:
	v_cmp_ne_u16_e32 vcc, 0, v3
	s_andn2_b64 s[4:5], s[4:5], exec
	s_and_b64 s[8:9], vcc, exec
	v_mov_b32_e32 v4, 0
	s_or_b64 s[4:5], s[4:5], s[8:9]
	s_or_b64 exec, exec, s[6:7]
	s_and_saveexec_b64 s[6:7], s[4:5]
	s_cbranch_execnz .LBB7_1271
	s_branch .LBB7_1272
.LBB7_3321:
	s_movk_i32 s4, 0x80
	v_cmp_eq_u16_sdwa s[12:13], v9, s4 src0_sel:BYTE_3 src1_sel:DWORD
	s_mov_b64 s[4:5], -1
                                        ; implicit-def: $sgpr10
	s_and_saveexec_b64 s[8:9], s[12:13]
; %bb.3322:
	s_mov_b32 s10, 0x7f800001
	s_xor_b64 s[4:5], exec, -1
; %bb.3323:
	s_or_b64 exec, exec, s[8:9]
	s_and_b64 s[4:5], s[4:5], exec
	s_or_saveexec_b64 s[6:7], s[6:7]
	v_mov_b32_e32 v2, s10
	s_xor_b64 exec, exec, s[6:7]
	s_cbranch_execz .LBB7_1274
.LBB7_3324:
	v_mov_b32_e32 v2, 0
	v_cmp_ne_u16_sdwa s[8:9], v9, v2 src0_sel:BYTE_3 src1_sel:DWORD
	s_andn2_b64 s[4:5], s[4:5], exec
	s_and_b64 s[8:9], s[8:9], exec
	s_or_b64 s[4:5], s[4:5], s[8:9]
	s_or_b64 exec, exec, s[6:7]
	s_and_saveexec_b64 s[6:7], s[4:5]
	s_cbranch_execnz .LBB7_1275
	s_branch .LBB7_1276
.LBB7_3325:
	s_movk_i32 s4, 0x80
	v_cmp_eq_u16_sdwa s[12:13], v5, s4 src0_sel:BYTE_3 src1_sel:DWORD
	s_mov_b64 s[4:5], -1
                                        ; implicit-def: $sgpr10
	s_and_saveexec_b64 s[8:9], s[12:13]
; %bb.3326:
	s_mov_b32 s10, 0x7f800001
	s_xor_b64 s[4:5], exec, -1
; %bb.3327:
	s_or_b64 exec, exec, s[8:9]
	s_and_b64 s[4:5], s[4:5], exec
	s_or_saveexec_b64 s[6:7], s[6:7]
	v_mov_b32_e32 v3, s10
	s_xor_b64 exec, exec, s[6:7]
	s_cbranch_execz .LBB7_1278
.LBB7_3328:
	v_mov_b32_e32 v3, 0
	v_cmp_ne_u16_sdwa s[8:9], v5, v3 src0_sel:BYTE_3 src1_sel:DWORD
	s_andn2_b64 s[4:5], s[4:5], exec
	s_and_b64 s[8:9], s[8:9], exec
	s_or_b64 s[4:5], s[4:5], s[8:9]
	s_or_b64 exec, exec, s[6:7]
	s_and_saveexec_b64 s[6:7], s[4:5]
	s_cbranch_execnz .LBB7_1279
	s_branch .LBB7_1280
.LBB7_3329:
	s_movk_i32 s4, 0x80
	v_cmp_eq_u16_sdwa s[12:13], v14, s4 src0_sel:BYTE_0 src1_sel:DWORD
	s_mov_b64 s[4:5], -1
                                        ; implicit-def: $sgpr10
	s_and_saveexec_b64 s[8:9], s[12:13]
; %bb.3330:
	s_mov_b32 s10, 0x7f800001
	s_xor_b64 s[4:5], exec, -1
; %bb.3331:
	s_or_b64 exec, exec, s[8:9]
	s_and_b64 s[4:5], s[4:5], exec
	s_or_saveexec_b64 s[6:7], s[6:7]
	v_mov_b32_e32 v20, s10
	s_xor_b64 exec, exec, s[6:7]
	s_cbranch_execz .LBB7_1282
.LBB7_3332:
	v_mov_b32_e32 v20, 0
	v_cmp_ne_u16_sdwa s[8:9], v14, v20 src0_sel:BYTE_0 src1_sel:DWORD
	s_andn2_b64 s[4:5], s[4:5], exec
	s_and_b64 s[8:9], s[8:9], exec
	s_or_b64 s[4:5], s[4:5], s[8:9]
	s_or_b64 exec, exec, s[6:7]
	s_and_saveexec_b64 s[6:7], s[4:5]
	s_cbranch_execnz .LBB7_1283
	s_branch .LBB7_1284
.LBB7_3333:
	s_movk_i32 s4, 0x80
	v_cmp_eq_u16_sdwa s[12:13], v10, s4 src0_sel:BYTE_0 src1_sel:DWORD
	s_mov_b64 s[4:5], -1
                                        ; implicit-def: $sgpr10
	s_and_saveexec_b64 s[8:9], s[12:13]
; %bb.3334:
	s_mov_b32 s10, 0x7f800001
	s_xor_b64 s[4:5], exec, -1
; %bb.3335:
	s_or_b64 exec, exec, s[8:9]
	s_and_b64 s[4:5], s[4:5], exec
	s_or_saveexec_b64 s[6:7], s[6:7]
	v_mov_b32_e32 v21, s10
	s_xor_b64 exec, exec, s[6:7]
	s_cbranch_execz .LBB7_1286
.LBB7_3336:
	v_mov_b32_e32 v21, 0
	v_cmp_ne_u16_sdwa s[8:9], v10, v21 src0_sel:BYTE_0 src1_sel:DWORD
	s_andn2_b64 s[4:5], s[4:5], exec
	s_and_b64 s[8:9], s[8:9], exec
	s_or_b64 s[4:5], s[4:5], s[8:9]
	s_or_b64 exec, exec, s[6:7]
	s_and_saveexec_b64 s[6:7], s[4:5]
	s_cbranch_execnz .LBB7_1287
	s_branch .LBB7_1288
.LBB7_3337:
	s_movk_i32 s4, 0x80
	v_cmp_eq_u16_sdwa s[12:13], v21, s4 src0_sel:BYTE_0 src1_sel:DWORD
	s_mov_b64 s[4:5], -1
                                        ; implicit-def: $sgpr10
	s_and_saveexec_b64 s[8:9], s[12:13]
; %bb.3338:
	s_mov_b32 s10, 0x7f800001
	s_xor_b64 s[4:5], exec, -1
; %bb.3339:
	s_or_b64 exec, exec, s[8:9]
	s_and_b64 s[4:5], s[4:5], exec
	s_or_saveexec_b64 s[6:7], s[6:7]
	v_mov_b32_e32 v20, s10
	s_xor_b64 exec, exec, s[6:7]
	s_cbranch_execz .LBB7_1290
.LBB7_3340:
	v_mov_b32_e32 v20, 0
	v_cmp_ne_u16_sdwa s[8:9], v21, v20 src0_sel:BYTE_0 src1_sel:DWORD
	s_andn2_b64 s[4:5], s[4:5], exec
	s_and_b64 s[8:9], s[8:9], exec
	s_or_b64 s[4:5], s[4:5], s[8:9]
	s_or_b64 exec, exec, s[6:7]
	s_and_saveexec_b64 s[6:7], s[4:5]
	s_cbranch_execnz .LBB7_1291
	s_branch .LBB7_1292
.LBB7_3341:
	s_movk_i32 s4, 0x80
	v_cmp_eq_u16_sdwa s[12:13], v21, s4 src0_sel:BYTE_0 src1_sel:DWORD
	s_mov_b64 s[4:5], -1
                                        ; implicit-def: $sgpr10
	s_and_saveexec_b64 s[8:9], s[12:13]
; %bb.3342:
	s_mov_b32 s10, 0x7f800001
	s_xor_b64 s[4:5], exec, -1
; %bb.3343:
	s_or_b64 exec, exec, s[8:9]
	s_and_b64 s[4:5], s[4:5], exec
	s_or_saveexec_b64 s[6:7], s[6:7]
	v_mov_b32_e32 v22, s10
	s_xor_b64 exec, exec, s[6:7]
	s_cbranch_execz .LBB7_1294
.LBB7_3344:
	v_mov_b32_e32 v22, 0
	v_cmp_ne_u16_sdwa s[8:9], v21, v22 src0_sel:BYTE_0 src1_sel:DWORD
	s_andn2_b64 s[4:5], s[4:5], exec
	s_and_b64 s[8:9], s[8:9], exec
	s_or_b64 s[4:5], s[4:5], s[8:9]
	s_or_b64 exec, exec, s[6:7]
	s_and_saveexec_b64 s[6:7], s[4:5]
	s_cbranch_execnz .LBB7_1295
	s_branch .LBB7_1296
.LBB7_3345:
	s_movk_i32 s4, 0x80
	v_cmp_eq_u16_e32 vcc, s4, v21
	s_mov_b64 s[4:5], -1
                                        ; implicit-def: $sgpr10
	s_and_saveexec_b64 s[8:9], vcc
; %bb.3346:
	s_mov_b32 s10, 0x7f800001
	s_xor_b64 s[4:5], exec, -1
; %bb.3347:
	s_or_b64 exec, exec, s[8:9]
	s_and_b64 s[4:5], s[4:5], exec
                                        ; implicit-def: $vgpr21
	s_or_saveexec_b64 s[6:7], s[6:7]
	v_mov_b32_e32 v20, s10
	s_xor_b64 exec, exec, s[6:7]
	s_cbranch_execz .LBB7_1298
.LBB7_3348:
	v_cmp_ne_u16_e32 vcc, 0, v21
	s_andn2_b64 s[4:5], s[4:5], exec
	s_and_b64 s[8:9], vcc, exec
	v_mov_b32_e32 v20, 0
	s_or_b64 s[4:5], s[4:5], s[8:9]
	s_or_b64 exec, exec, s[6:7]
	s_and_saveexec_b64 s[6:7], s[4:5]
	s_cbranch_execnz .LBB7_1299
	s_branch .LBB7_1300
.LBB7_3349:
	s_movk_i32 s4, 0x80
	v_cmp_eq_u16_e32 vcc, s4, v21
	s_mov_b64 s[4:5], -1
                                        ; implicit-def: $sgpr10
	s_and_saveexec_b64 s[8:9], vcc
; %bb.3350:
	s_mov_b32 s10, 0x7f800001
	s_xor_b64 s[4:5], exec, -1
; %bb.3351:
	s_or_b64 exec, exec, s[8:9]
	s_and_b64 s[4:5], s[4:5], exec
                                        ; implicit-def: $vgpr21
	s_or_saveexec_b64 s[6:7], s[6:7]
	v_mov_b32_e32 v22, s10
	s_xor_b64 exec, exec, s[6:7]
	s_cbranch_execz .LBB7_1302
.LBB7_3352:
	v_cmp_ne_u16_e32 vcc, 0, v21
	s_andn2_b64 s[4:5], s[4:5], exec
	s_and_b64 s[8:9], vcc, exec
	v_mov_b32_e32 v22, 0
	s_or_b64 s[4:5], s[4:5], s[8:9]
	s_or_b64 exec, exec, s[6:7]
	s_and_saveexec_b64 s[6:7], s[4:5]
	s_cbranch_execnz .LBB7_1303
	s_branch .LBB7_1304
.LBB7_3353:
	s_movk_i32 s4, 0x80
	v_cmp_eq_u16_sdwa s[12:13], v14, s4 src0_sel:BYTE_3 src1_sel:DWORD
	s_mov_b64 s[4:5], -1
                                        ; implicit-def: $sgpr10
	s_and_saveexec_b64 s[8:9], s[12:13]
; %bb.3354:
	s_mov_b32 s10, 0x7f800001
	s_xor_b64 s[4:5], exec, -1
; %bb.3355:
	s_or_b64 exec, exec, s[8:9]
	s_and_b64 s[4:5], s[4:5], exec
	s_or_saveexec_b64 s[6:7], s[6:7]
	v_mov_b32_e32 v20, s10
	s_xor_b64 exec, exec, s[6:7]
	s_cbranch_execz .LBB7_1306
.LBB7_3356:
	v_mov_b32_e32 v20, 0
	v_cmp_ne_u16_sdwa s[8:9], v14, v20 src0_sel:BYTE_3 src1_sel:DWORD
	s_andn2_b64 s[4:5], s[4:5], exec
	s_and_b64 s[8:9], s[8:9], exec
	s_or_b64 s[4:5], s[4:5], s[8:9]
	s_or_b64 exec, exec, s[6:7]
	s_and_saveexec_b64 s[6:7], s[4:5]
	s_cbranch_execnz .LBB7_1307
	s_branch .LBB7_1308
.LBB7_3357:
	s_movk_i32 s4, 0x80
	v_cmp_eq_u16_sdwa s[12:13], v10, s4 src0_sel:BYTE_3 src1_sel:DWORD
	s_mov_b64 s[4:5], -1
                                        ; implicit-def: $sgpr10
	s_and_saveexec_b64 s[8:9], s[12:13]
; %bb.3358:
	s_mov_b32 s10, 0x7f800001
	s_xor_b64 s[4:5], exec, -1
; %bb.3359:
	s_or_b64 exec, exec, s[8:9]
	s_and_b64 s[4:5], s[4:5], exec
	s_or_saveexec_b64 s[6:7], s[6:7]
	v_mov_b32_e32 v14, s10
	s_xor_b64 exec, exec, s[6:7]
	s_cbranch_execz .LBB7_1310
.LBB7_3360:
	v_mov_b32_e32 v14, 0
	v_cmp_ne_u16_sdwa s[8:9], v10, v14 src0_sel:BYTE_3 src1_sel:DWORD
	s_andn2_b64 s[4:5], s[4:5], exec
	s_and_b64 s[8:9], s[8:9], exec
	s_or_b64 s[4:5], s[4:5], s[8:9]
	s_or_b64 exec, exec, s[6:7]
	s_and_saveexec_b64 s[6:7], s[4:5]
	s_cbranch_execnz .LBB7_1311
	s_branch .LBB7_1312
.LBB7_3361:
	s_movk_i32 s4, 0x80
	v_cmp_eq_u16_sdwa s[12:13], v15, s4 src0_sel:BYTE_0 src1_sel:DWORD
	s_mov_b64 s[4:5], -1
                                        ; implicit-def: $sgpr10
	s_and_saveexec_b64 s[8:9], s[12:13]
; %bb.3362:
	s_mov_b32 s10, 0x7f800001
	s_xor_b64 s[4:5], exec, -1
; %bb.3363:
	s_or_b64 exec, exec, s[8:9]
	s_and_b64 s[4:5], s[4:5], exec
	s_or_saveexec_b64 s[6:7], s[6:7]
	v_mov_b32_e32 v10, s10
	s_xor_b64 exec, exec, s[6:7]
	s_cbranch_execz .LBB7_1314
.LBB7_3364:
	v_mov_b32_e32 v10, 0
	v_cmp_ne_u16_sdwa s[8:9], v15, v10 src0_sel:BYTE_0 src1_sel:DWORD
	s_andn2_b64 s[4:5], s[4:5], exec
	s_and_b64 s[8:9], s[8:9], exec
	s_or_b64 s[4:5], s[4:5], s[8:9]
	s_or_b64 exec, exec, s[6:7]
	s_and_saveexec_b64 s[6:7], s[4:5]
	s_cbranch_execnz .LBB7_1315
	s_branch .LBB7_1316
.LBB7_3365:
	s_movk_i32 s4, 0x80
	v_cmp_eq_u16_sdwa s[12:13], v11, s4 src0_sel:BYTE_0 src1_sel:DWORD
	s_mov_b64 s[4:5], -1
                                        ; implicit-def: $sgpr10
	s_and_saveexec_b64 s[8:9], s[12:13]
; %bb.3366:
	s_mov_b32 s10, 0x7f800001
	s_xor_b64 s[4:5], exec, -1
; %bb.3367:
	s_or_b64 exec, exec, s[8:9]
	s_and_b64 s[4:5], s[4:5], exec
	s_or_saveexec_b64 s[6:7], s[6:7]
	v_mov_b32_e32 v14, s10
	s_xor_b64 exec, exec, s[6:7]
	s_cbranch_execz .LBB7_1318
.LBB7_3368:
	v_mov_b32_e32 v14, 0
	v_cmp_ne_u16_sdwa s[8:9], v11, v14 src0_sel:BYTE_0 src1_sel:DWORD
	s_andn2_b64 s[4:5], s[4:5], exec
	s_and_b64 s[8:9], s[8:9], exec
	s_or_b64 s[4:5], s[4:5], s[8:9]
	s_or_b64 exec, exec, s[6:7]
	s_and_saveexec_b64 s[6:7], s[4:5]
	s_cbranch_execnz .LBB7_1319
	s_branch .LBB7_1320
.LBB7_3369:
	s_movk_i32 s4, 0x80
	v_cmp_eq_u16_sdwa s[12:13], v14, s4 src0_sel:BYTE_0 src1_sel:DWORD
	s_mov_b64 s[4:5], -1
                                        ; implicit-def: $sgpr10
	s_and_saveexec_b64 s[8:9], s[12:13]
; %bb.3370:
	s_mov_b32 s10, 0x7f800001
	s_xor_b64 s[4:5], exec, -1
; %bb.3371:
	s_or_b64 exec, exec, s[8:9]
	s_and_b64 s[4:5], s[4:5], exec
	s_or_saveexec_b64 s[6:7], s[6:7]
	v_mov_b32_e32 v10, s10
	s_xor_b64 exec, exec, s[6:7]
	s_cbranch_execz .LBB7_1322
.LBB7_3372:
	v_mov_b32_e32 v10, 0
	v_cmp_ne_u16_sdwa s[8:9], v14, v10 src0_sel:BYTE_0 src1_sel:DWORD
	s_andn2_b64 s[4:5], s[4:5], exec
	s_and_b64 s[8:9], s[8:9], exec
	s_or_b64 s[4:5], s[4:5], s[8:9]
	s_or_b64 exec, exec, s[6:7]
	s_and_saveexec_b64 s[6:7], s[4:5]
	s_cbranch_execnz .LBB7_1323
	s_branch .LBB7_1324
.LBB7_3373:
	s_movk_i32 s4, 0x80
	v_cmp_eq_u16_sdwa s[12:13], v14, s4 src0_sel:BYTE_0 src1_sel:DWORD
	s_mov_b64 s[4:5], -1
                                        ; implicit-def: $sgpr10
	s_and_saveexec_b64 s[8:9], s[12:13]
; %bb.3374:
	s_mov_b32 s10, 0x7f800001
	s_xor_b64 s[4:5], exec, -1
; %bb.3375:
	s_or_b64 exec, exec, s[8:9]
	s_and_b64 s[4:5], s[4:5], exec
	s_or_saveexec_b64 s[6:7], s[6:7]
	v_mov_b32_e32 v20, s10
	s_xor_b64 exec, exec, s[6:7]
	s_cbranch_execz .LBB7_1326
.LBB7_3376:
	v_mov_b32_e32 v20, 0
	v_cmp_ne_u16_sdwa s[8:9], v14, v20 src0_sel:BYTE_0 src1_sel:DWORD
	s_andn2_b64 s[4:5], s[4:5], exec
	s_and_b64 s[8:9], s[8:9], exec
	s_or_b64 s[4:5], s[4:5], s[8:9]
	s_or_b64 exec, exec, s[6:7]
	s_and_saveexec_b64 s[6:7], s[4:5]
	s_cbranch_execnz .LBB7_1327
	s_branch .LBB7_1328
.LBB7_3377:
	s_movk_i32 s4, 0x80
	v_cmp_eq_u16_e32 vcc, s4, v14
	s_mov_b64 s[4:5], -1
                                        ; implicit-def: $sgpr10
	s_and_saveexec_b64 s[8:9], vcc
; %bb.3378:
	s_mov_b32 s10, 0x7f800001
	s_xor_b64 s[4:5], exec, -1
; %bb.3379:
	s_or_b64 exec, exec, s[8:9]
	s_and_b64 s[4:5], s[4:5], exec
                                        ; implicit-def: $vgpr14
	s_or_saveexec_b64 s[6:7], s[6:7]
	v_mov_b32_e32 v10, s10
	s_xor_b64 exec, exec, s[6:7]
	s_cbranch_execz .LBB7_1330
.LBB7_3380:
	v_cmp_ne_u16_e32 vcc, 0, v14
	s_andn2_b64 s[4:5], s[4:5], exec
	s_and_b64 s[8:9], vcc, exec
	v_mov_b32_e32 v10, 0
	s_or_b64 s[4:5], s[4:5], s[8:9]
	s_or_b64 exec, exec, s[6:7]
	s_and_saveexec_b64 s[6:7], s[4:5]
	s_cbranch_execnz .LBB7_1331
	s_branch .LBB7_1332
.LBB7_3381:
	s_movk_i32 s4, 0x80
	v_cmp_eq_u16_e32 vcc, s4, v14
	s_mov_b64 s[4:5], -1
                                        ; implicit-def: $sgpr10
	s_and_saveexec_b64 s[8:9], vcc
; %bb.3382:
	s_mov_b32 s10, 0x7f800001
	s_xor_b64 s[4:5], exec, -1
; %bb.3383:
	s_or_b64 exec, exec, s[8:9]
	s_and_b64 s[4:5], s[4:5], exec
                                        ; implicit-def: $vgpr14
	s_or_saveexec_b64 s[6:7], s[6:7]
	v_mov_b32_e32 v20, s10
	s_xor_b64 exec, exec, s[6:7]
	s_cbranch_execz .LBB7_1334
.LBB7_3384:
	v_cmp_ne_u16_e32 vcc, 0, v14
	s_andn2_b64 s[4:5], s[4:5], exec
	s_and_b64 s[8:9], vcc, exec
	v_mov_b32_e32 v20, 0
	s_or_b64 s[4:5], s[4:5], s[8:9]
	s_or_b64 exec, exec, s[6:7]
	s_and_saveexec_b64 s[6:7], s[4:5]
	s_cbranch_execnz .LBB7_1335
	s_branch .LBB7_1336
.LBB7_3385:
	s_movk_i32 s4, 0x80
	v_cmp_eq_u16_sdwa s[12:13], v15, s4 src0_sel:BYTE_3 src1_sel:DWORD
	s_mov_b64 s[4:5], -1
                                        ; implicit-def: $sgpr10
	s_and_saveexec_b64 s[8:9], s[12:13]
; %bb.3386:
	s_mov_b32 s10, 0x7f800001
	s_xor_b64 s[4:5], exec, -1
; %bb.3387:
	s_or_b64 exec, exec, s[8:9]
	s_and_b64 s[4:5], s[4:5], exec
	s_or_saveexec_b64 s[6:7], s[6:7]
	v_mov_b32_e32 v10, s10
	s_xor_b64 exec, exec, s[6:7]
	s_cbranch_execz .LBB7_1338
.LBB7_3388:
	v_mov_b32_e32 v10, 0
	v_cmp_ne_u16_sdwa s[8:9], v15, v10 src0_sel:BYTE_3 src1_sel:DWORD
	s_andn2_b64 s[4:5], s[4:5], exec
	s_and_b64 s[8:9], s[8:9], exec
	s_or_b64 s[4:5], s[4:5], s[8:9]
	s_or_b64 exec, exec, s[6:7]
	s_and_saveexec_b64 s[6:7], s[4:5]
	s_cbranch_execnz .LBB7_1339
	s_branch .LBB7_1340
.LBB7_3389:
	s_movk_i32 s4, 0x80
	v_cmp_eq_u16_sdwa s[12:13], v11, s4 src0_sel:BYTE_3 src1_sel:DWORD
	s_mov_b64 s[4:5], -1
                                        ; implicit-def: $sgpr10
	s_and_saveexec_b64 s[8:9], s[12:13]
; %bb.3390:
	s_mov_b32 s10, 0x7f800001
	s_xor_b64 s[4:5], exec, -1
; %bb.3391:
	s_or_b64 exec, exec, s[8:9]
	s_and_b64 s[4:5], s[4:5], exec
	s_or_saveexec_b64 s[6:7], s[6:7]
	v_mov_b32_e32 v14, s10
	s_xor_b64 exec, exec, s[6:7]
	s_cbranch_execz .LBB7_1342
.LBB7_3392:
	v_mov_b32_e32 v14, 0
	v_cmp_ne_u16_sdwa s[8:9], v11, v14 src0_sel:BYTE_3 src1_sel:DWORD
	s_andn2_b64 s[4:5], s[4:5], exec
	s_and_b64 s[8:9], s[8:9], exec
	s_or_b64 s[4:5], s[4:5], s[8:9]
	s_or_b64 exec, exec, s[6:7]
	s_and_saveexec_b64 s[6:7], s[4:5]
	s_cbranch_execnz .LBB7_1343
	s_branch .LBB7_1344
.LBB7_3393:
	s_movk_i32 s4, 0x80
	v_cmp_eq_u16_sdwa s[12:13], v16, s4 src0_sel:BYTE_0 src1_sel:DWORD
	s_mov_b64 s[4:5], -1
                                        ; implicit-def: $sgpr10
	s_and_saveexec_b64 s[8:9], s[12:13]
; %bb.3394:
	s_mov_b32 s10, 0x7f800001
	s_xor_b64 s[4:5], exec, -1
; %bb.3395:
	s_or_b64 exec, exec, s[8:9]
	s_and_b64 s[4:5], s[4:5], exec
	s_or_saveexec_b64 s[6:7], s[6:7]
	v_mov_b32_e32 v10, s10
	s_xor_b64 exec, exec, s[6:7]
	s_cbranch_execz .LBB7_1346
.LBB7_3396:
	v_mov_b32_e32 v10, 0
	v_cmp_ne_u16_sdwa s[8:9], v16, v10 src0_sel:BYTE_0 src1_sel:DWORD
	s_andn2_b64 s[4:5], s[4:5], exec
	s_and_b64 s[8:9], s[8:9], exec
	s_or_b64 s[4:5], s[4:5], s[8:9]
	s_or_b64 exec, exec, s[6:7]
	s_and_saveexec_b64 s[6:7], s[4:5]
	s_cbranch_execnz .LBB7_1347
	s_branch .LBB7_1348
.LBB7_3397:
	s_movk_i32 s4, 0x80
	v_cmp_eq_u16_sdwa s[12:13], v12, s4 src0_sel:BYTE_0 src1_sel:DWORD
	s_mov_b64 s[4:5], -1
                                        ; implicit-def: $sgpr10
	s_and_saveexec_b64 s[8:9], s[12:13]
; %bb.3398:
	s_mov_b32 s10, 0x7f800001
	s_xor_b64 s[4:5], exec, -1
; %bb.3399:
	s_or_b64 exec, exec, s[8:9]
	s_and_b64 s[4:5], s[4:5], exec
	s_or_saveexec_b64 s[6:7], s[6:7]
	v_mov_b32_e32 v11, s10
	s_xor_b64 exec, exec, s[6:7]
	s_cbranch_execz .LBB7_1350
.LBB7_3400:
	v_mov_b32_e32 v11, 0
	v_cmp_ne_u16_sdwa s[8:9], v12, v11 src0_sel:BYTE_0 src1_sel:DWORD
	s_andn2_b64 s[4:5], s[4:5], exec
	s_and_b64 s[8:9], s[8:9], exec
	s_or_b64 s[4:5], s[4:5], s[8:9]
	s_or_b64 exec, exec, s[6:7]
	s_and_saveexec_b64 s[6:7], s[4:5]
	s_cbranch_execnz .LBB7_1351
	s_branch .LBB7_1352
.LBB7_3401:
	s_movk_i32 s4, 0x80
	v_cmp_eq_u16_sdwa s[12:13], v11, s4 src0_sel:BYTE_0 src1_sel:DWORD
	s_mov_b64 s[4:5], -1
                                        ; implicit-def: $sgpr10
	s_and_saveexec_b64 s[8:9], s[12:13]
; %bb.3402:
	s_mov_b32 s10, 0x7f800001
	s_xor_b64 s[4:5], exec, -1
; %bb.3403:
	s_or_b64 exec, exec, s[8:9]
	s_and_b64 s[4:5], s[4:5], exec
	s_or_saveexec_b64 s[6:7], s[6:7]
	v_mov_b32_e32 v10, s10
	s_xor_b64 exec, exec, s[6:7]
	s_cbranch_execz .LBB7_1354
.LBB7_3404:
	v_mov_b32_e32 v10, 0
	v_cmp_ne_u16_sdwa s[8:9], v11, v10 src0_sel:BYTE_0 src1_sel:DWORD
	s_andn2_b64 s[4:5], s[4:5], exec
	s_and_b64 s[8:9], s[8:9], exec
	s_or_b64 s[4:5], s[4:5], s[8:9]
	s_or_b64 exec, exec, s[6:7]
	s_and_saveexec_b64 s[6:7], s[4:5]
	s_cbranch_execnz .LBB7_1355
	s_branch .LBB7_1356
.LBB7_3405:
	s_movk_i32 s4, 0x80
	v_cmp_eq_u16_sdwa s[12:13], v11, s4 src0_sel:BYTE_0 src1_sel:DWORD
	s_mov_b64 s[4:5], -1
                                        ; implicit-def: $sgpr10
	s_and_saveexec_b64 s[8:9], s[12:13]
; %bb.3406:
	s_mov_b32 s10, 0x7f800001
	s_xor_b64 s[4:5], exec, -1
; %bb.3407:
	s_or_b64 exec, exec, s[8:9]
	s_and_b64 s[4:5], s[4:5], exec
	s_or_saveexec_b64 s[6:7], s[6:7]
	v_mov_b32_e32 v14, s10
	s_xor_b64 exec, exec, s[6:7]
	s_cbranch_execz .LBB7_1358
.LBB7_3408:
	v_mov_b32_e32 v14, 0
	v_cmp_ne_u16_sdwa s[8:9], v11, v14 src0_sel:BYTE_0 src1_sel:DWORD
	s_andn2_b64 s[4:5], s[4:5], exec
	s_and_b64 s[8:9], s[8:9], exec
	s_or_b64 s[4:5], s[4:5], s[8:9]
	s_or_b64 exec, exec, s[6:7]
	s_and_saveexec_b64 s[6:7], s[4:5]
	s_cbranch_execnz .LBB7_1359
	s_branch .LBB7_1360
.LBB7_3409:
	s_movk_i32 s4, 0x80
	v_cmp_eq_u16_e32 vcc, s4, v11
	s_mov_b64 s[4:5], -1
                                        ; implicit-def: $sgpr10
	s_and_saveexec_b64 s[8:9], vcc
; %bb.3410:
	s_mov_b32 s10, 0x7f800001
	s_xor_b64 s[4:5], exec, -1
; %bb.3411:
	s_or_b64 exec, exec, s[8:9]
	s_and_b64 s[4:5], s[4:5], exec
                                        ; implicit-def: $vgpr11
	s_or_saveexec_b64 s[6:7], s[6:7]
	v_mov_b32_e32 v10, s10
	s_xor_b64 exec, exec, s[6:7]
	s_cbranch_execz .LBB7_1362
.LBB7_3412:
	v_cmp_ne_u16_e32 vcc, 0, v11
	s_andn2_b64 s[4:5], s[4:5], exec
	s_and_b64 s[8:9], vcc, exec
	v_mov_b32_e32 v10, 0
	s_or_b64 s[4:5], s[4:5], s[8:9]
	s_or_b64 exec, exec, s[6:7]
	s_and_saveexec_b64 s[6:7], s[4:5]
	s_cbranch_execnz .LBB7_1363
	s_branch .LBB7_1364
.LBB7_3413:
	s_movk_i32 s4, 0x80
	v_cmp_eq_u16_e32 vcc, s4, v11
	s_mov_b64 s[4:5], -1
                                        ; implicit-def: $sgpr10
	s_and_saveexec_b64 s[8:9], vcc
; %bb.3414:
	s_mov_b32 s10, 0x7f800001
	s_xor_b64 s[4:5], exec, -1
; %bb.3415:
	s_or_b64 exec, exec, s[8:9]
	s_and_b64 s[4:5], s[4:5], exec
                                        ; implicit-def: $vgpr11
	s_or_saveexec_b64 s[6:7], s[6:7]
	v_mov_b32_e32 v14, s10
	s_xor_b64 exec, exec, s[6:7]
	s_cbranch_execz .LBB7_1366
.LBB7_3416:
	v_cmp_ne_u16_e32 vcc, 0, v11
	s_andn2_b64 s[4:5], s[4:5], exec
	s_and_b64 s[8:9], vcc, exec
	v_mov_b32_e32 v14, 0
	s_or_b64 s[4:5], s[4:5], s[8:9]
	s_or_b64 exec, exec, s[6:7]
	s_and_saveexec_b64 s[6:7], s[4:5]
	s_cbranch_execnz .LBB7_1367
	s_branch .LBB7_1368
.LBB7_3417:
	s_movk_i32 s4, 0x80
	v_cmp_eq_u16_sdwa s[12:13], v16, s4 src0_sel:BYTE_3 src1_sel:DWORD
	s_mov_b64 s[4:5], -1
                                        ; implicit-def: $sgpr10
	s_and_saveexec_b64 s[8:9], s[12:13]
; %bb.3418:
	s_mov_b32 s10, 0x7f800001
	s_xor_b64 s[4:5], exec, -1
; %bb.3419:
	s_or_b64 exec, exec, s[8:9]
	s_and_b64 s[4:5], s[4:5], exec
	s_or_saveexec_b64 s[6:7], s[6:7]
	v_mov_b32_e32 v10, s10
	s_xor_b64 exec, exec, s[6:7]
	s_cbranch_execz .LBB7_1370
.LBB7_3420:
	v_mov_b32_e32 v10, 0
	v_cmp_ne_u16_sdwa s[8:9], v16, v10 src0_sel:BYTE_3 src1_sel:DWORD
	s_andn2_b64 s[4:5], s[4:5], exec
	s_and_b64 s[8:9], s[8:9], exec
	s_or_b64 s[4:5], s[4:5], s[8:9]
	s_or_b64 exec, exec, s[6:7]
	s_and_saveexec_b64 s[6:7], s[4:5]
	s_cbranch_execnz .LBB7_1371
	s_branch .LBB7_1372
.LBB7_3421:
	s_movk_i32 s4, 0x80
	v_cmp_eq_u16_sdwa s[12:13], v12, s4 src0_sel:BYTE_3 src1_sel:DWORD
	s_mov_b64 s[4:5], -1
                                        ; implicit-def: $sgpr10
	s_and_saveexec_b64 s[8:9], s[12:13]
; %bb.3422:
	s_mov_b32 s10, 0x7f800001
	s_xor_b64 s[4:5], exec, -1
; %bb.3423:
	s_or_b64 exec, exec, s[8:9]
	s_and_b64 s[4:5], s[4:5], exec
	s_or_saveexec_b64 s[6:7], s[6:7]
	v_mov_b32_e32 v11, s10
	s_xor_b64 exec, exec, s[6:7]
	s_cbranch_execz .LBB7_1374
.LBB7_3424:
	v_mov_b32_e32 v11, 0
	v_cmp_ne_u16_sdwa s[8:9], v12, v11 src0_sel:BYTE_3 src1_sel:DWORD
	s_andn2_b64 s[4:5], s[4:5], exec
	s_and_b64 s[8:9], s[8:9], exec
	s_or_b64 s[4:5], s[4:5], s[8:9]
	s_or_b64 exec, exec, s[6:7]
	s_and_saveexec_b64 s[6:7], s[4:5]
	s_cbranch_execnz .LBB7_1375
	s_branch .LBB7_1376
.LBB7_3425:
	s_movk_i32 s4, 0x80
	v_cmp_eq_u16_sdwa s[12:13], v17, s4 src0_sel:BYTE_0 src1_sel:DWORD
	s_mov_b64 s[4:5], -1
                                        ; implicit-def: $sgpr10
	s_and_saveexec_b64 s[8:9], s[12:13]
; %bb.3426:
	s_mov_b32 s10, 0x7f800001
	s_xor_b64 s[4:5], exec, -1
; %bb.3427:
	s_or_b64 exec, exec, s[8:9]
	s_and_b64 s[4:5], s[4:5], exec
	s_or_saveexec_b64 s[6:7], s[6:7]
	v_mov_b32_e32 v10, s10
	s_xor_b64 exec, exec, s[6:7]
	s_cbranch_execz .LBB7_1378
.LBB7_3428:
	v_mov_b32_e32 v10, 0
	v_cmp_ne_u16_sdwa s[8:9], v17, v10 src0_sel:BYTE_0 src1_sel:DWORD
	s_andn2_b64 s[4:5], s[4:5], exec
	s_and_b64 s[8:9], s[8:9], exec
	s_or_b64 s[4:5], s[4:5], s[8:9]
	s_or_b64 exec, exec, s[6:7]
	s_and_saveexec_b64 s[6:7], s[4:5]
	s_cbranch_execnz .LBB7_1379
	s_branch .LBB7_1380
.LBB7_3429:
	s_movk_i32 s4, 0x80
	v_cmp_eq_u16_sdwa s[12:13], v13, s4 src0_sel:BYTE_0 src1_sel:DWORD
	s_mov_b64 s[4:5], -1
                                        ; implicit-def: $sgpr10
	s_and_saveexec_b64 s[8:9], s[12:13]
; %bb.3430:
	s_mov_b32 s10, 0x7f800001
	s_xor_b64 s[4:5], exec, -1
; %bb.3431:
	s_or_b64 exec, exec, s[8:9]
	s_and_b64 s[4:5], s[4:5], exec
	s_or_saveexec_b64 s[6:7], s[6:7]
	v_mov_b32_e32 v11, s10
	s_xor_b64 exec, exec, s[6:7]
	s_cbranch_execz .LBB7_1382
.LBB7_3432:
	v_mov_b32_e32 v11, 0
	v_cmp_ne_u16_sdwa s[8:9], v13, v11 src0_sel:BYTE_0 src1_sel:DWORD
	s_andn2_b64 s[4:5], s[4:5], exec
	s_and_b64 s[8:9], s[8:9], exec
	s_or_b64 s[4:5], s[4:5], s[8:9]
	s_or_b64 exec, exec, s[6:7]
	s_and_saveexec_b64 s[6:7], s[4:5]
	s_cbranch_execnz .LBB7_1383
	s_branch .LBB7_1384
.LBB7_3433:
	s_movk_i32 s4, 0x80
	v_cmp_eq_u16_sdwa s[12:13], v11, s4 src0_sel:BYTE_0 src1_sel:DWORD
	s_mov_b64 s[4:5], -1
                                        ; implicit-def: $sgpr10
	s_and_saveexec_b64 s[8:9], s[12:13]
; %bb.3434:
	s_mov_b32 s10, 0x7f800001
	s_xor_b64 s[4:5], exec, -1
; %bb.3435:
	s_or_b64 exec, exec, s[8:9]
	s_and_b64 s[4:5], s[4:5], exec
	s_or_saveexec_b64 s[6:7], s[6:7]
	v_mov_b32_e32 v10, s10
	s_xor_b64 exec, exec, s[6:7]
	s_cbranch_execz .LBB7_1386
.LBB7_3436:
	v_mov_b32_e32 v10, 0
	v_cmp_ne_u16_sdwa s[8:9], v11, v10 src0_sel:BYTE_0 src1_sel:DWORD
	s_andn2_b64 s[4:5], s[4:5], exec
	s_and_b64 s[8:9], s[8:9], exec
	s_or_b64 s[4:5], s[4:5], s[8:9]
	s_or_b64 exec, exec, s[6:7]
	s_and_saveexec_b64 s[6:7], s[4:5]
	s_cbranch_execnz .LBB7_1387
	s_branch .LBB7_1388
.LBB7_3437:
	s_movk_i32 s4, 0x80
	v_cmp_eq_u16_sdwa s[12:13], v11, s4 src0_sel:BYTE_0 src1_sel:DWORD
	s_mov_b64 s[4:5], -1
                                        ; implicit-def: $sgpr10
	s_and_saveexec_b64 s[8:9], s[12:13]
; %bb.3438:
	s_mov_b32 s10, 0x7f800001
	s_xor_b64 s[4:5], exec, -1
; %bb.3439:
	s_or_b64 exec, exec, s[8:9]
	s_and_b64 s[4:5], s[4:5], exec
	s_or_saveexec_b64 s[6:7], s[6:7]
	v_mov_b32_e32 v12, s10
	s_xor_b64 exec, exec, s[6:7]
	s_cbranch_execz .LBB7_1390
.LBB7_3440:
	v_mov_b32_e32 v12, 0
	v_cmp_ne_u16_sdwa s[8:9], v11, v12 src0_sel:BYTE_0 src1_sel:DWORD
	s_andn2_b64 s[4:5], s[4:5], exec
	s_and_b64 s[8:9], s[8:9], exec
	s_or_b64 s[4:5], s[4:5], s[8:9]
	s_or_b64 exec, exec, s[6:7]
	s_and_saveexec_b64 s[6:7], s[4:5]
	s_cbranch_execnz .LBB7_1391
	s_branch .LBB7_1392
.LBB7_3441:
	s_movk_i32 s4, 0x80
	v_cmp_eq_u16_e32 vcc, s4, v11
	s_mov_b64 s[4:5], -1
                                        ; implicit-def: $sgpr10
	s_and_saveexec_b64 s[8:9], vcc
; %bb.3442:
	s_mov_b32 s10, 0x7f800001
	s_xor_b64 s[4:5], exec, -1
; %bb.3443:
	s_or_b64 exec, exec, s[8:9]
	s_and_b64 s[4:5], s[4:5], exec
                                        ; implicit-def: $vgpr11
	s_or_saveexec_b64 s[6:7], s[6:7]
	v_mov_b32_e32 v10, s10
	s_xor_b64 exec, exec, s[6:7]
	s_cbranch_execz .LBB7_1394
.LBB7_3444:
	v_cmp_ne_u16_e32 vcc, 0, v11
	s_andn2_b64 s[4:5], s[4:5], exec
	s_and_b64 s[8:9], vcc, exec
	v_mov_b32_e32 v10, 0
	s_or_b64 s[4:5], s[4:5], s[8:9]
	s_or_b64 exec, exec, s[6:7]
	s_and_saveexec_b64 s[6:7], s[4:5]
	s_cbranch_execnz .LBB7_1395
	s_branch .LBB7_1396
.LBB7_3445:
	s_movk_i32 s4, 0x80
	v_cmp_eq_u16_e32 vcc, s4, v11
	s_mov_b64 s[4:5], -1
                                        ; implicit-def: $sgpr10
	s_and_saveexec_b64 s[8:9], vcc
; %bb.3446:
	s_mov_b32 s10, 0x7f800001
	s_xor_b64 s[4:5], exec, -1
; %bb.3447:
	s_or_b64 exec, exec, s[8:9]
	s_and_b64 s[4:5], s[4:5], exec
                                        ; implicit-def: $vgpr11
	s_or_saveexec_b64 s[6:7], s[6:7]
	v_mov_b32_e32 v12, s10
	s_xor_b64 exec, exec, s[6:7]
	s_cbranch_execz .LBB7_1398
.LBB7_3448:
	v_cmp_ne_u16_e32 vcc, 0, v11
	s_andn2_b64 s[4:5], s[4:5], exec
	s_and_b64 s[8:9], vcc, exec
	v_mov_b32_e32 v12, 0
	s_or_b64 s[4:5], s[4:5], s[8:9]
	s_or_b64 exec, exec, s[6:7]
	s_and_saveexec_b64 s[6:7], s[4:5]
	s_cbranch_execnz .LBB7_1399
	s_branch .LBB7_1400
.LBB7_3449:
	s_movk_i32 s4, 0x80
	v_cmp_eq_u16_sdwa s[12:13], v17, s4 src0_sel:BYTE_3 src1_sel:DWORD
	s_mov_b64 s[4:5], -1
                                        ; implicit-def: $sgpr10
	s_and_saveexec_b64 s[8:9], s[12:13]
; %bb.3450:
	s_mov_b32 s10, 0x7f800001
	s_xor_b64 s[4:5], exec, -1
; %bb.3451:
	s_or_b64 exec, exec, s[8:9]
	s_and_b64 s[4:5], s[4:5], exec
	s_or_saveexec_b64 s[6:7], s[6:7]
	v_mov_b32_e32 v10, s10
	s_xor_b64 exec, exec, s[6:7]
	s_cbranch_execz .LBB7_1402
.LBB7_3452:
	v_mov_b32_e32 v10, 0
	v_cmp_ne_u16_sdwa s[8:9], v17, v10 src0_sel:BYTE_3 src1_sel:DWORD
	s_andn2_b64 s[4:5], s[4:5], exec
	s_and_b64 s[8:9], s[8:9], exec
	s_or_b64 s[4:5], s[4:5], s[8:9]
	s_or_b64 exec, exec, s[6:7]
	s_and_saveexec_b64 s[6:7], s[4:5]
	s_cbranch_execnz .LBB7_1403
	s_branch .LBB7_1404
.LBB7_3453:
	s_movk_i32 s4, 0x80
	v_cmp_eq_u16_sdwa s[12:13], v13, s4 src0_sel:BYTE_3 src1_sel:DWORD
	s_mov_b64 s[4:5], -1
                                        ; implicit-def: $sgpr10
	s_and_saveexec_b64 s[8:9], s[12:13]
; %bb.3454:
	s_mov_b32 s10, 0x7f800001
	s_xor_b64 s[4:5], exec, -1
; %bb.3455:
	s_or_b64 exec, exec, s[8:9]
	s_and_b64 s[4:5], s[4:5], exec
	s_or_saveexec_b64 s[6:7], s[6:7]
	v_mov_b32_e32 v11, s10
	s_xor_b64 exec, exec, s[6:7]
	s_cbranch_execz .LBB7_1406
.LBB7_3456:
	v_mov_b32_e32 v11, 0
	v_cmp_ne_u16_sdwa s[8:9], v13, v11 src0_sel:BYTE_3 src1_sel:DWORD
	s_andn2_b64 s[4:5], s[4:5], exec
	s_and_b64 s[8:9], s[8:9], exec
	s_or_b64 s[4:5], s[4:5], s[8:9]
	s_or_b64 exec, exec, s[6:7]
	s_and_saveexec_b64 s[6:7], s[4:5]
	s_cbranch_execnz .LBB7_1407
	s_branch .LBB7_1408
.LBB7_3457:
	s_movk_i32 s4, 0x80
	v_cmp_eq_u16_sdwa s[12:13], v6, s4 src0_sel:BYTE_0 src1_sel:DWORD
	s_mov_b64 s[4:5], -1
                                        ; implicit-def: $sgpr10
	s_and_saveexec_b64 s[8:9], s[12:13]
; %bb.3458:
	s_mov_b32 s10, 0x7f800001
	s_xor_b64 s[4:5], exec, -1
; %bb.3459:
	s_or_b64 exec, exec, s[8:9]
	s_and_b64 s[4:5], s[4:5], exec
	s_or_saveexec_b64 s[6:7], s[6:7]
	v_mov_b32_e32 v10, s10
	s_xor_b64 exec, exec, s[6:7]
	s_cbranch_execz .LBB7_1410
.LBB7_3460:
	v_mov_b32_e32 v10, 0
	v_cmp_ne_u16_sdwa s[8:9], v6, v10 src0_sel:BYTE_0 src1_sel:DWORD
	s_andn2_b64 s[4:5], s[4:5], exec
	s_and_b64 s[8:9], s[8:9], exec
	s_or_b64 s[4:5], s[4:5], s[8:9]
	s_or_b64 exec, exec, s[6:7]
	s_and_saveexec_b64 s[6:7], s[4:5]
	s_cbranch_execnz .LBB7_1411
	s_branch .LBB7_1412
.LBB7_3461:
	s_movk_i32 s4, 0x80
	v_cmp_eq_u16_sdwa s[12:13], v2, s4 src0_sel:BYTE_0 src1_sel:DWORD
	s_mov_b64 s[4:5], -1
                                        ; implicit-def: $sgpr10
	s_and_saveexec_b64 s[8:9], s[12:13]
; %bb.3462:
	s_mov_b32 s10, 0x7f800001
	s_xor_b64 s[4:5], exec, -1
; %bb.3463:
	s_or_b64 exec, exec, s[8:9]
	s_and_b64 s[4:5], s[4:5], exec
	s_or_saveexec_b64 s[6:7], s[6:7]
	v_mov_b32_e32 v11, s10
	s_xor_b64 exec, exec, s[6:7]
	s_cbranch_execz .LBB7_1414
.LBB7_3464:
	v_mov_b32_e32 v11, 0
	v_cmp_ne_u16_sdwa s[8:9], v2, v11 src0_sel:BYTE_0 src1_sel:DWORD
	s_andn2_b64 s[4:5], s[4:5], exec
	s_and_b64 s[8:9], s[8:9], exec
	s_or_b64 s[4:5], s[4:5], s[8:9]
	s_or_b64 exec, exec, s[6:7]
	s_and_saveexec_b64 s[6:7], s[4:5]
	s_cbranch_execnz .LBB7_1415
	s_branch .LBB7_1416
.LBB7_3465:
	s_movk_i32 s4, 0x80
	v_cmp_eq_u16_sdwa s[12:13], v11, s4 src0_sel:BYTE_0 src1_sel:DWORD
	s_mov_b64 s[4:5], -1
                                        ; implicit-def: $sgpr10
	s_and_saveexec_b64 s[8:9], s[12:13]
; %bb.3466:
	s_mov_b32 s10, 0x7f800001
	s_xor_b64 s[4:5], exec, -1
; %bb.3467:
	s_or_b64 exec, exec, s[8:9]
	s_and_b64 s[4:5], s[4:5], exec
	s_or_saveexec_b64 s[6:7], s[6:7]
	v_mov_b32_e32 v10, s10
	s_xor_b64 exec, exec, s[6:7]
	s_cbranch_execz .LBB7_1418
.LBB7_3468:
	v_mov_b32_e32 v10, 0
	v_cmp_ne_u16_sdwa s[8:9], v11, v10 src0_sel:BYTE_0 src1_sel:DWORD
	s_andn2_b64 s[4:5], s[4:5], exec
	s_and_b64 s[8:9], s[8:9], exec
	s_or_b64 s[4:5], s[4:5], s[8:9]
	s_or_b64 exec, exec, s[6:7]
	s_and_saveexec_b64 s[6:7], s[4:5]
	s_cbranch_execnz .LBB7_1419
	s_branch .LBB7_1420
.LBB7_3469:
	s_movk_i32 s4, 0x80
	v_cmp_eq_u16_sdwa s[12:13], v11, s4 src0_sel:BYTE_0 src1_sel:DWORD
	s_mov_b64 s[4:5], -1
                                        ; implicit-def: $sgpr10
	s_and_saveexec_b64 s[8:9], s[12:13]
; %bb.3470:
	s_mov_b32 s10, 0x7f800001
	s_xor_b64 s[4:5], exec, -1
; %bb.3471:
	s_or_b64 exec, exec, s[8:9]
	s_and_b64 s[4:5], s[4:5], exec
	s_or_saveexec_b64 s[6:7], s[6:7]
	v_mov_b32_e32 v12, s10
	s_xor_b64 exec, exec, s[6:7]
	s_cbranch_execz .LBB7_1422
.LBB7_3472:
	v_mov_b32_e32 v12, 0
	v_cmp_ne_u16_sdwa s[8:9], v11, v12 src0_sel:BYTE_0 src1_sel:DWORD
	s_andn2_b64 s[4:5], s[4:5], exec
	s_and_b64 s[8:9], s[8:9], exec
	s_or_b64 s[4:5], s[4:5], s[8:9]
	s_or_b64 exec, exec, s[6:7]
	s_and_saveexec_b64 s[6:7], s[4:5]
	s_cbranch_execnz .LBB7_1423
	s_branch .LBB7_1424
.LBB7_3473:
	s_movk_i32 s4, 0x80
	v_cmp_eq_u16_e32 vcc, s4, v11
	s_mov_b64 s[4:5], -1
                                        ; implicit-def: $sgpr10
	s_and_saveexec_b64 s[8:9], vcc
; %bb.3474:
	s_mov_b32 s10, 0x7f800001
	s_xor_b64 s[4:5], exec, -1
; %bb.3475:
	s_or_b64 exec, exec, s[8:9]
	s_and_b64 s[4:5], s[4:5], exec
                                        ; implicit-def: $vgpr11
	s_or_saveexec_b64 s[6:7], s[6:7]
	v_mov_b32_e32 v10, s10
	s_xor_b64 exec, exec, s[6:7]
	s_cbranch_execz .LBB7_1426
.LBB7_3476:
	v_cmp_ne_u16_e32 vcc, 0, v11
	s_andn2_b64 s[4:5], s[4:5], exec
	s_and_b64 s[8:9], vcc, exec
	v_mov_b32_e32 v10, 0
	s_or_b64 s[4:5], s[4:5], s[8:9]
	s_or_b64 exec, exec, s[6:7]
	s_and_saveexec_b64 s[6:7], s[4:5]
	s_cbranch_execnz .LBB7_1427
	s_branch .LBB7_1428
.LBB7_3477:
	s_movk_i32 s4, 0x80
	v_cmp_eq_u16_e32 vcc, s4, v11
	s_mov_b64 s[4:5], -1
                                        ; implicit-def: $sgpr10
	s_and_saveexec_b64 s[8:9], vcc
; %bb.3478:
	s_mov_b32 s10, 0x7f800001
	s_xor_b64 s[4:5], exec, -1
; %bb.3479:
	s_or_b64 exec, exec, s[8:9]
	s_and_b64 s[4:5], s[4:5], exec
                                        ; implicit-def: $vgpr11
	s_or_saveexec_b64 s[6:7], s[6:7]
	v_mov_b32_e32 v12, s10
	s_xor_b64 exec, exec, s[6:7]
	s_cbranch_execz .LBB7_1430
.LBB7_3480:
	v_cmp_ne_u16_e32 vcc, 0, v11
	s_andn2_b64 s[4:5], s[4:5], exec
	s_and_b64 s[8:9], vcc, exec
	v_mov_b32_e32 v12, 0
	s_or_b64 s[4:5], s[4:5], s[8:9]
	s_or_b64 exec, exec, s[6:7]
	s_and_saveexec_b64 s[6:7], s[4:5]
	s_cbranch_execnz .LBB7_1431
	s_branch .LBB7_1432
.LBB7_3481:
	s_movk_i32 s4, 0x80
	v_cmp_eq_u16_sdwa s[12:13], v6, s4 src0_sel:BYTE_3 src1_sel:DWORD
	s_mov_b64 s[4:5], -1
                                        ; implicit-def: $sgpr10
	s_and_saveexec_b64 s[8:9], s[12:13]
; %bb.3482:
	s_mov_b32 s10, 0x7f800001
	s_xor_b64 s[4:5], exec, -1
; %bb.3483:
	s_or_b64 exec, exec, s[8:9]
	s_and_b64 s[4:5], s[4:5], exec
	s_or_saveexec_b64 s[6:7], s[6:7]
	v_mov_b32_e32 v10, s10
	s_xor_b64 exec, exec, s[6:7]
	s_cbranch_execz .LBB7_1434
.LBB7_3484:
	v_mov_b32_e32 v10, 0
	v_cmp_ne_u16_sdwa s[8:9], v6, v10 src0_sel:BYTE_3 src1_sel:DWORD
	s_andn2_b64 s[4:5], s[4:5], exec
	s_and_b64 s[8:9], s[8:9], exec
	s_or_b64 s[4:5], s[4:5], s[8:9]
	s_or_b64 exec, exec, s[6:7]
	s_and_saveexec_b64 s[6:7], s[4:5]
	s_cbranch_execnz .LBB7_1435
	s_branch .LBB7_1436
.LBB7_3485:
	s_movk_i32 s4, 0x80
	v_cmp_eq_u16_sdwa s[12:13], v2, s4 src0_sel:BYTE_3 src1_sel:DWORD
	s_mov_b64 s[4:5], -1
                                        ; implicit-def: $sgpr10
	s_and_saveexec_b64 s[8:9], s[12:13]
; %bb.3486:
	s_mov_b32 s10, 0x7f800001
	s_xor_b64 s[4:5], exec, -1
; %bb.3487:
	s_or_b64 exec, exec, s[8:9]
	s_and_b64 s[4:5], s[4:5], exec
	s_or_saveexec_b64 s[6:7], s[6:7]
	v_mov_b32_e32 v6, s10
	s_xor_b64 exec, exec, s[6:7]
	s_cbranch_execz .LBB7_1438
.LBB7_3488:
	v_mov_b32_e32 v6, 0
	v_cmp_ne_u16_sdwa s[8:9], v2, v6 src0_sel:BYTE_3 src1_sel:DWORD
	s_andn2_b64 s[4:5], s[4:5], exec
	s_and_b64 s[8:9], s[8:9], exec
	s_or_b64 s[4:5], s[4:5], s[8:9]
	s_or_b64 exec, exec, s[6:7]
	s_and_saveexec_b64 s[6:7], s[4:5]
	s_cbranch_execnz .LBB7_1439
	s_branch .LBB7_1440
.LBB7_3489:
	s_movk_i32 s4, 0x80
	v_cmp_eq_u16_sdwa s[12:13], v7, s4 src0_sel:BYTE_0 src1_sel:DWORD
	s_mov_b64 s[4:5], -1
                                        ; implicit-def: $sgpr10
	s_and_saveexec_b64 s[8:9], s[12:13]
; %bb.3490:
	s_mov_b32 s10, 0x7f800001
	s_xor_b64 s[4:5], exec, -1
; %bb.3491:
	s_or_b64 exec, exec, s[8:9]
	s_and_b64 s[4:5], s[4:5], exec
	s_or_saveexec_b64 s[6:7], s[6:7]
	v_mov_b32_e32 v2, s10
	s_xor_b64 exec, exec, s[6:7]
	s_cbranch_execz .LBB7_1442
.LBB7_3492:
	v_mov_b32_e32 v2, 0
	v_cmp_ne_u16_sdwa s[8:9], v7, v2 src0_sel:BYTE_0 src1_sel:DWORD
	s_andn2_b64 s[4:5], s[4:5], exec
	s_and_b64 s[8:9], s[8:9], exec
	s_or_b64 s[4:5], s[4:5], s[8:9]
	s_or_b64 exec, exec, s[6:7]
	s_and_saveexec_b64 s[6:7], s[4:5]
	s_cbranch_execnz .LBB7_1443
	s_branch .LBB7_1444
.LBB7_3493:
	s_movk_i32 s4, 0x80
	v_cmp_eq_u16_sdwa s[12:13], v3, s4 src0_sel:BYTE_0 src1_sel:DWORD
	s_mov_b64 s[4:5], -1
                                        ; implicit-def: $sgpr10
	s_and_saveexec_b64 s[8:9], s[12:13]
; %bb.3494:
	s_mov_b32 s10, 0x7f800001
	s_xor_b64 s[4:5], exec, -1
; %bb.3495:
	s_or_b64 exec, exec, s[8:9]
	s_and_b64 s[4:5], s[4:5], exec
	s_or_saveexec_b64 s[6:7], s[6:7]
	v_mov_b32_e32 v6, s10
	s_xor_b64 exec, exec, s[6:7]
	s_cbranch_execz .LBB7_1446
.LBB7_3496:
	v_mov_b32_e32 v6, 0
	v_cmp_ne_u16_sdwa s[8:9], v3, v6 src0_sel:BYTE_0 src1_sel:DWORD
	s_andn2_b64 s[4:5], s[4:5], exec
	s_and_b64 s[8:9], s[8:9], exec
	s_or_b64 s[4:5], s[4:5], s[8:9]
	s_or_b64 exec, exec, s[6:7]
	s_and_saveexec_b64 s[6:7], s[4:5]
	s_cbranch_execnz .LBB7_1447
	s_branch .LBB7_1448
.LBB7_3497:
	s_movk_i32 s4, 0x80
	v_cmp_eq_u16_sdwa s[12:13], v6, s4 src0_sel:BYTE_0 src1_sel:DWORD
	s_mov_b64 s[4:5], -1
                                        ; implicit-def: $sgpr10
	s_and_saveexec_b64 s[8:9], s[12:13]
; %bb.3498:
	s_mov_b32 s10, 0x7f800001
	s_xor_b64 s[4:5], exec, -1
; %bb.3499:
	s_or_b64 exec, exec, s[8:9]
	s_and_b64 s[4:5], s[4:5], exec
	s_or_saveexec_b64 s[6:7], s[6:7]
	v_mov_b32_e32 v2, s10
	s_xor_b64 exec, exec, s[6:7]
	s_cbranch_execz .LBB7_1450
.LBB7_3500:
	v_mov_b32_e32 v2, 0
	v_cmp_ne_u16_sdwa s[8:9], v6, v2 src0_sel:BYTE_0 src1_sel:DWORD
	s_andn2_b64 s[4:5], s[4:5], exec
	s_and_b64 s[8:9], s[8:9], exec
	s_or_b64 s[4:5], s[4:5], s[8:9]
	s_or_b64 exec, exec, s[6:7]
	s_and_saveexec_b64 s[6:7], s[4:5]
	s_cbranch_execnz .LBB7_1451
	s_branch .LBB7_1452
.LBB7_3501:
	s_movk_i32 s4, 0x80
	v_cmp_eq_u16_sdwa s[12:13], v6, s4 src0_sel:BYTE_0 src1_sel:DWORD
	s_mov_b64 s[4:5], -1
                                        ; implicit-def: $sgpr10
	s_and_saveexec_b64 s[8:9], s[12:13]
; %bb.3502:
	s_mov_b32 s10, 0x7f800001
	s_xor_b64 s[4:5], exec, -1
; %bb.3503:
	s_or_b64 exec, exec, s[8:9]
	s_and_b64 s[4:5], s[4:5], exec
	s_or_saveexec_b64 s[6:7], s[6:7]
	v_mov_b32_e32 v10, s10
	s_xor_b64 exec, exec, s[6:7]
	s_cbranch_execz .LBB7_1454
.LBB7_3504:
	v_mov_b32_e32 v10, 0
	v_cmp_ne_u16_sdwa s[8:9], v6, v10 src0_sel:BYTE_0 src1_sel:DWORD
	s_andn2_b64 s[4:5], s[4:5], exec
	s_and_b64 s[8:9], s[8:9], exec
	s_or_b64 s[4:5], s[4:5], s[8:9]
	s_or_b64 exec, exec, s[6:7]
	s_and_saveexec_b64 s[6:7], s[4:5]
	s_cbranch_execnz .LBB7_1455
	s_branch .LBB7_1456
.LBB7_3505:
	s_movk_i32 s4, 0x80
	v_cmp_eq_u16_e32 vcc, s4, v6
	s_mov_b64 s[4:5], -1
                                        ; implicit-def: $sgpr10
	s_and_saveexec_b64 s[8:9], vcc
; %bb.3506:
	s_mov_b32 s10, 0x7f800001
	s_xor_b64 s[4:5], exec, -1
; %bb.3507:
	s_or_b64 exec, exec, s[8:9]
	s_and_b64 s[4:5], s[4:5], exec
                                        ; implicit-def: $vgpr6
	s_or_saveexec_b64 s[6:7], s[6:7]
	v_mov_b32_e32 v2, s10
	s_xor_b64 exec, exec, s[6:7]
	s_cbranch_execz .LBB7_1458
.LBB7_3508:
	v_cmp_ne_u16_e32 vcc, 0, v6
	s_andn2_b64 s[4:5], s[4:5], exec
	s_and_b64 s[8:9], vcc, exec
	v_mov_b32_e32 v2, 0
	s_or_b64 s[4:5], s[4:5], s[8:9]
	s_or_b64 exec, exec, s[6:7]
	s_and_saveexec_b64 s[6:7], s[4:5]
	s_cbranch_execnz .LBB7_1459
	s_branch .LBB7_1460
.LBB7_3509:
	s_movk_i32 s4, 0x80
	v_cmp_eq_u16_e32 vcc, s4, v6
	s_mov_b64 s[4:5], -1
                                        ; implicit-def: $sgpr10
	s_and_saveexec_b64 s[8:9], vcc
; %bb.3510:
	s_mov_b32 s10, 0x7f800001
	s_xor_b64 s[4:5], exec, -1
; %bb.3511:
	s_or_b64 exec, exec, s[8:9]
	s_and_b64 s[4:5], s[4:5], exec
                                        ; implicit-def: $vgpr6
	s_or_saveexec_b64 s[6:7], s[6:7]
	v_mov_b32_e32 v10, s10
	s_xor_b64 exec, exec, s[6:7]
	s_cbranch_execz .LBB7_1462
.LBB7_3512:
	v_cmp_ne_u16_e32 vcc, 0, v6
	s_andn2_b64 s[4:5], s[4:5], exec
	s_and_b64 s[8:9], vcc, exec
	v_mov_b32_e32 v10, 0
	s_or_b64 s[4:5], s[4:5], s[8:9]
	s_or_b64 exec, exec, s[6:7]
	s_and_saveexec_b64 s[6:7], s[4:5]
	s_cbranch_execnz .LBB7_1463
	s_branch .LBB7_1464
.LBB7_3513:
	s_movk_i32 s4, 0x80
	v_cmp_eq_u16_sdwa s[12:13], v7, s4 src0_sel:BYTE_3 src1_sel:DWORD
	s_mov_b64 s[4:5], -1
                                        ; implicit-def: $sgpr10
	s_and_saveexec_b64 s[8:9], s[12:13]
; %bb.3514:
	s_mov_b32 s10, 0x7f800001
	s_xor_b64 s[4:5], exec, -1
; %bb.3515:
	s_or_b64 exec, exec, s[8:9]
	s_and_b64 s[4:5], s[4:5], exec
	s_or_saveexec_b64 s[6:7], s[6:7]
	v_mov_b32_e32 v2, s10
	s_xor_b64 exec, exec, s[6:7]
	s_cbranch_execz .LBB7_1466
.LBB7_3516:
	v_mov_b32_e32 v2, 0
	v_cmp_ne_u16_sdwa s[8:9], v7, v2 src0_sel:BYTE_3 src1_sel:DWORD
	s_andn2_b64 s[4:5], s[4:5], exec
	s_and_b64 s[8:9], s[8:9], exec
	s_or_b64 s[4:5], s[4:5], s[8:9]
	s_or_b64 exec, exec, s[6:7]
	s_and_saveexec_b64 s[6:7], s[4:5]
	s_cbranch_execnz .LBB7_1467
	s_branch .LBB7_1468
.LBB7_3517:
	s_movk_i32 s4, 0x80
	v_cmp_eq_u16_sdwa s[12:13], v3, s4 src0_sel:BYTE_3 src1_sel:DWORD
	s_mov_b64 s[4:5], -1
                                        ; implicit-def: $sgpr10
	s_and_saveexec_b64 s[8:9], s[12:13]
; %bb.3518:
	s_mov_b32 s10, 0x7f800001
	s_xor_b64 s[4:5], exec, -1
; %bb.3519:
	s_or_b64 exec, exec, s[8:9]
	s_and_b64 s[4:5], s[4:5], exec
	s_or_saveexec_b64 s[6:7], s[6:7]
	v_mov_b32_e32 v6, s10
	s_xor_b64 exec, exec, s[6:7]
	s_cbranch_execz .LBB7_1470
.LBB7_3520:
	v_mov_b32_e32 v6, 0
	v_cmp_ne_u16_sdwa s[8:9], v3, v6 src0_sel:BYTE_3 src1_sel:DWORD
	s_andn2_b64 s[4:5], s[4:5], exec
	s_and_b64 s[8:9], s[8:9], exec
	s_or_b64 s[4:5], s[4:5], s[8:9]
	s_or_b64 exec, exec, s[6:7]
	s_and_saveexec_b64 s[6:7], s[4:5]
	s_cbranch_execnz .LBB7_1471
	s_branch .LBB7_1472
.LBB7_3521:
	s_movk_i32 s4, 0x80
	v_cmp_eq_u16_sdwa s[12:13], v8, s4 src0_sel:BYTE_0 src1_sel:DWORD
	s_mov_b64 s[4:5], -1
                                        ; implicit-def: $sgpr10
	s_and_saveexec_b64 s[8:9], s[12:13]
; %bb.3522:
	s_mov_b32 s10, 0x7f800001
	s_xor_b64 s[4:5], exec, -1
; %bb.3523:
	s_or_b64 exec, exec, s[8:9]
	s_and_b64 s[4:5], s[4:5], exec
	s_or_saveexec_b64 s[6:7], s[6:7]
	v_mov_b32_e32 v2, s10
	s_xor_b64 exec, exec, s[6:7]
	s_cbranch_execz .LBB7_1474
.LBB7_3524:
	v_mov_b32_e32 v2, 0
	v_cmp_ne_u16_sdwa s[8:9], v8, v2 src0_sel:BYTE_0 src1_sel:DWORD
	s_andn2_b64 s[4:5], s[4:5], exec
	s_and_b64 s[8:9], s[8:9], exec
	s_or_b64 s[4:5], s[4:5], s[8:9]
	s_or_b64 exec, exec, s[6:7]
	s_and_saveexec_b64 s[6:7], s[4:5]
	s_cbranch_execnz .LBB7_1475
	s_branch .LBB7_1476
.LBB7_3525:
	s_movk_i32 s4, 0x80
	v_cmp_eq_u16_sdwa s[12:13], v4, s4 src0_sel:BYTE_0 src1_sel:DWORD
	s_mov_b64 s[4:5], -1
                                        ; implicit-def: $sgpr10
	s_and_saveexec_b64 s[8:9], s[12:13]
; %bb.3526:
	s_mov_b32 s10, 0x7f800001
	s_xor_b64 s[4:5], exec, -1
; %bb.3527:
	s_or_b64 exec, exec, s[8:9]
	s_and_b64 s[4:5], s[4:5], exec
	s_or_saveexec_b64 s[6:7], s[6:7]
	v_mov_b32_e32 v3, s10
	s_xor_b64 exec, exec, s[6:7]
	s_cbranch_execz .LBB7_1478
.LBB7_3528:
	v_mov_b32_e32 v3, 0
	v_cmp_ne_u16_sdwa s[8:9], v4, v3 src0_sel:BYTE_0 src1_sel:DWORD
	s_andn2_b64 s[4:5], s[4:5], exec
	s_and_b64 s[8:9], s[8:9], exec
	s_or_b64 s[4:5], s[4:5], s[8:9]
	s_or_b64 exec, exec, s[6:7]
	s_and_saveexec_b64 s[6:7], s[4:5]
	s_cbranch_execnz .LBB7_1479
	s_branch .LBB7_1480
.LBB7_3529:
	s_movk_i32 s4, 0x80
	v_cmp_eq_u16_sdwa s[12:13], v3, s4 src0_sel:BYTE_0 src1_sel:DWORD
	s_mov_b64 s[4:5], -1
                                        ; implicit-def: $sgpr10
	s_and_saveexec_b64 s[8:9], s[12:13]
; %bb.3530:
	s_mov_b32 s10, 0x7f800001
	s_xor_b64 s[4:5], exec, -1
; %bb.3531:
	s_or_b64 exec, exec, s[8:9]
	s_and_b64 s[4:5], s[4:5], exec
	s_or_saveexec_b64 s[6:7], s[6:7]
	v_mov_b32_e32 v2, s10
	s_xor_b64 exec, exec, s[6:7]
	s_cbranch_execz .LBB7_1482
.LBB7_3532:
	v_mov_b32_e32 v2, 0
	v_cmp_ne_u16_sdwa s[8:9], v3, v2 src0_sel:BYTE_0 src1_sel:DWORD
	s_andn2_b64 s[4:5], s[4:5], exec
	s_and_b64 s[8:9], s[8:9], exec
	s_or_b64 s[4:5], s[4:5], s[8:9]
	s_or_b64 exec, exec, s[6:7]
	s_and_saveexec_b64 s[6:7], s[4:5]
	s_cbranch_execnz .LBB7_1483
	s_branch .LBB7_1484
.LBB7_3533:
	s_movk_i32 s4, 0x80
	v_cmp_eq_u16_sdwa s[12:13], v3, s4 src0_sel:BYTE_0 src1_sel:DWORD
	s_mov_b64 s[4:5], -1
                                        ; implicit-def: $sgpr10
	s_and_saveexec_b64 s[8:9], s[12:13]
; %bb.3534:
	s_mov_b32 s10, 0x7f800001
	s_xor_b64 s[4:5], exec, -1
; %bb.3535:
	s_or_b64 exec, exec, s[8:9]
	s_and_b64 s[4:5], s[4:5], exec
	s_or_saveexec_b64 s[6:7], s[6:7]
	v_mov_b32_e32 v6, s10
	s_xor_b64 exec, exec, s[6:7]
	s_cbranch_execz .LBB7_1486
.LBB7_3536:
	v_mov_b32_e32 v6, 0
	v_cmp_ne_u16_sdwa s[8:9], v3, v6 src0_sel:BYTE_0 src1_sel:DWORD
	s_andn2_b64 s[4:5], s[4:5], exec
	s_and_b64 s[8:9], s[8:9], exec
	s_or_b64 s[4:5], s[4:5], s[8:9]
	s_or_b64 exec, exec, s[6:7]
	s_and_saveexec_b64 s[6:7], s[4:5]
	s_cbranch_execnz .LBB7_1487
	s_branch .LBB7_1488
.LBB7_3537:
	s_movk_i32 s4, 0x80
	v_cmp_eq_u16_e32 vcc, s4, v3
	s_mov_b64 s[4:5], -1
                                        ; implicit-def: $sgpr10
	s_and_saveexec_b64 s[8:9], vcc
; %bb.3538:
	s_mov_b32 s10, 0x7f800001
	s_xor_b64 s[4:5], exec, -1
; %bb.3539:
	s_or_b64 exec, exec, s[8:9]
	s_and_b64 s[4:5], s[4:5], exec
                                        ; implicit-def: $vgpr3
	s_or_saveexec_b64 s[6:7], s[6:7]
	v_mov_b32_e32 v2, s10
	s_xor_b64 exec, exec, s[6:7]
	s_cbranch_execz .LBB7_1490
.LBB7_3540:
	v_cmp_ne_u16_e32 vcc, 0, v3
	s_andn2_b64 s[4:5], s[4:5], exec
	s_and_b64 s[8:9], vcc, exec
	v_mov_b32_e32 v2, 0
	s_or_b64 s[4:5], s[4:5], s[8:9]
	s_or_b64 exec, exec, s[6:7]
	s_and_saveexec_b64 s[6:7], s[4:5]
	s_cbranch_execnz .LBB7_1491
	s_branch .LBB7_1492
.LBB7_3541:
	s_movk_i32 s4, 0x80
	v_cmp_eq_u16_e32 vcc, s4, v3
	s_mov_b64 s[4:5], -1
                                        ; implicit-def: $sgpr10
	s_and_saveexec_b64 s[8:9], vcc
; %bb.3542:
	s_mov_b32 s10, 0x7f800001
	s_xor_b64 s[4:5], exec, -1
; %bb.3543:
	s_or_b64 exec, exec, s[8:9]
	s_and_b64 s[4:5], s[4:5], exec
                                        ; implicit-def: $vgpr3
	s_or_saveexec_b64 s[6:7], s[6:7]
	v_mov_b32_e32 v6, s10
	s_xor_b64 exec, exec, s[6:7]
	s_cbranch_execz .LBB7_1494
.LBB7_3544:
	v_cmp_ne_u16_e32 vcc, 0, v3
	s_andn2_b64 s[4:5], s[4:5], exec
	s_and_b64 s[8:9], vcc, exec
	v_mov_b32_e32 v6, 0
	s_or_b64 s[4:5], s[4:5], s[8:9]
	s_or_b64 exec, exec, s[6:7]
	s_and_saveexec_b64 s[6:7], s[4:5]
	s_cbranch_execnz .LBB7_1495
	s_branch .LBB7_1496
.LBB7_3545:
	s_movk_i32 s4, 0x80
	v_cmp_eq_u16_sdwa s[12:13], v8, s4 src0_sel:BYTE_3 src1_sel:DWORD
	s_mov_b64 s[4:5], -1
                                        ; implicit-def: $sgpr10
	s_and_saveexec_b64 s[8:9], s[12:13]
; %bb.3546:
	s_mov_b32 s10, 0x7f800001
	s_xor_b64 s[4:5], exec, -1
; %bb.3547:
	s_or_b64 exec, exec, s[8:9]
	s_and_b64 s[4:5], s[4:5], exec
	s_or_saveexec_b64 s[6:7], s[6:7]
	v_mov_b32_e32 v2, s10
	s_xor_b64 exec, exec, s[6:7]
	s_cbranch_execz .LBB7_1498
.LBB7_3548:
	v_mov_b32_e32 v2, 0
	v_cmp_ne_u16_sdwa s[8:9], v8, v2 src0_sel:BYTE_3 src1_sel:DWORD
	s_andn2_b64 s[4:5], s[4:5], exec
	s_and_b64 s[8:9], s[8:9], exec
	s_or_b64 s[4:5], s[4:5], s[8:9]
	s_or_b64 exec, exec, s[6:7]
	s_and_saveexec_b64 s[6:7], s[4:5]
	s_cbranch_execnz .LBB7_1499
	s_branch .LBB7_1500
.LBB7_3549:
	s_movk_i32 s4, 0x80
	v_cmp_eq_u16_sdwa s[12:13], v4, s4 src0_sel:BYTE_3 src1_sel:DWORD
	s_mov_b64 s[4:5], -1
                                        ; implicit-def: $sgpr10
	s_and_saveexec_b64 s[8:9], s[12:13]
; %bb.3550:
	s_mov_b32 s10, 0x7f800001
	s_xor_b64 s[4:5], exec, -1
; %bb.3551:
	s_or_b64 exec, exec, s[8:9]
	s_and_b64 s[4:5], s[4:5], exec
	s_or_saveexec_b64 s[6:7], s[6:7]
	v_mov_b32_e32 v3, s10
	s_xor_b64 exec, exec, s[6:7]
	s_cbranch_execz .LBB7_1502
.LBB7_3552:
	v_mov_b32_e32 v3, 0
	v_cmp_ne_u16_sdwa s[8:9], v4, v3 src0_sel:BYTE_3 src1_sel:DWORD
	s_andn2_b64 s[4:5], s[4:5], exec
	s_and_b64 s[8:9], s[8:9], exec
	s_or_b64 s[4:5], s[4:5], s[8:9]
	s_or_b64 exec, exec, s[6:7]
	s_and_saveexec_b64 s[6:7], s[4:5]
	s_cbranch_execnz .LBB7_1503
	s_branch .LBB7_1504
.LBB7_3553:
	s_movk_i32 s4, 0x80
	v_cmp_eq_u16_sdwa s[12:13], v9, s4 src0_sel:BYTE_0 src1_sel:DWORD
	s_mov_b64 s[4:5], -1
                                        ; implicit-def: $sgpr10
	s_and_saveexec_b64 s[8:9], s[12:13]
; %bb.3554:
	s_mov_b32 s10, 0x7f800001
	s_xor_b64 s[4:5], exec, -1
; %bb.3555:
	s_or_b64 exec, exec, s[8:9]
	s_and_b64 s[4:5], s[4:5], exec
	s_or_saveexec_b64 s[6:7], s[6:7]
	v_mov_b32_e32 v2, s10
	s_xor_b64 exec, exec, s[6:7]
	s_cbranch_execz .LBB7_1506
.LBB7_3556:
	v_mov_b32_e32 v2, 0
	v_cmp_ne_u16_sdwa s[8:9], v9, v2 src0_sel:BYTE_0 src1_sel:DWORD
	s_andn2_b64 s[4:5], s[4:5], exec
	s_and_b64 s[8:9], s[8:9], exec
	s_or_b64 s[4:5], s[4:5], s[8:9]
	s_or_b64 exec, exec, s[6:7]
	s_and_saveexec_b64 s[6:7], s[4:5]
	s_cbranch_execnz .LBB7_1507
	s_branch .LBB7_1508
.LBB7_3557:
	s_movk_i32 s4, 0x80
	v_cmp_eq_u16_sdwa s[12:13], v5, s4 src0_sel:BYTE_0 src1_sel:DWORD
	s_mov_b64 s[4:5], -1
                                        ; implicit-def: $sgpr10
	s_and_saveexec_b64 s[8:9], s[12:13]
; %bb.3558:
	s_mov_b32 s10, 0x7f800001
	s_xor_b64 s[4:5], exec, -1
; %bb.3559:
	s_or_b64 exec, exec, s[8:9]
	s_and_b64 s[4:5], s[4:5], exec
	s_or_saveexec_b64 s[6:7], s[6:7]
	v_mov_b32_e32 v3, s10
	s_xor_b64 exec, exec, s[6:7]
	s_cbranch_execz .LBB7_1510
.LBB7_3560:
	v_mov_b32_e32 v3, 0
	v_cmp_ne_u16_sdwa s[8:9], v5, v3 src0_sel:BYTE_0 src1_sel:DWORD
	s_andn2_b64 s[4:5], s[4:5], exec
	s_and_b64 s[8:9], s[8:9], exec
	s_or_b64 s[4:5], s[4:5], s[8:9]
	s_or_b64 exec, exec, s[6:7]
	s_and_saveexec_b64 s[6:7], s[4:5]
	s_cbranch_execnz .LBB7_1511
	s_branch .LBB7_1512
.LBB7_3561:
	s_movk_i32 s4, 0x80
	v_cmp_eq_u16_sdwa s[12:13], v3, s4 src0_sel:BYTE_0 src1_sel:DWORD
	s_mov_b64 s[4:5], -1
                                        ; implicit-def: $sgpr10
	s_and_saveexec_b64 s[8:9], s[12:13]
; %bb.3562:
	s_mov_b32 s10, 0x7f800001
	s_xor_b64 s[4:5], exec, -1
; %bb.3563:
	s_or_b64 exec, exec, s[8:9]
	s_and_b64 s[4:5], s[4:5], exec
	s_or_saveexec_b64 s[6:7], s[6:7]
	v_mov_b32_e32 v2, s10
	s_xor_b64 exec, exec, s[6:7]
	s_cbranch_execz .LBB7_1514
.LBB7_3564:
	v_mov_b32_e32 v2, 0
	v_cmp_ne_u16_sdwa s[8:9], v3, v2 src0_sel:BYTE_0 src1_sel:DWORD
	s_andn2_b64 s[4:5], s[4:5], exec
	s_and_b64 s[8:9], s[8:9], exec
	s_or_b64 s[4:5], s[4:5], s[8:9]
	s_or_b64 exec, exec, s[6:7]
	s_and_saveexec_b64 s[6:7], s[4:5]
	s_cbranch_execnz .LBB7_1515
	s_branch .LBB7_1516
.LBB7_3565:
	s_movk_i32 s4, 0x80
	v_cmp_eq_u16_sdwa s[12:13], v3, s4 src0_sel:BYTE_0 src1_sel:DWORD
	s_mov_b64 s[4:5], -1
                                        ; implicit-def: $sgpr10
	s_and_saveexec_b64 s[8:9], s[12:13]
; %bb.3566:
	s_mov_b32 s10, 0x7f800001
	s_xor_b64 s[4:5], exec, -1
; %bb.3567:
	s_or_b64 exec, exec, s[8:9]
	s_and_b64 s[4:5], s[4:5], exec
	s_or_saveexec_b64 s[6:7], s[6:7]
	v_mov_b32_e32 v4, s10
	s_xor_b64 exec, exec, s[6:7]
	s_cbranch_execz .LBB7_1518
.LBB7_3568:
	v_mov_b32_e32 v4, 0
	v_cmp_ne_u16_sdwa s[8:9], v3, v4 src0_sel:BYTE_0 src1_sel:DWORD
	s_andn2_b64 s[4:5], s[4:5], exec
	s_and_b64 s[8:9], s[8:9], exec
	s_or_b64 s[4:5], s[4:5], s[8:9]
	s_or_b64 exec, exec, s[6:7]
	s_and_saveexec_b64 s[6:7], s[4:5]
	s_cbranch_execnz .LBB7_1519
	s_branch .LBB7_1520
.LBB7_3569:
	s_movk_i32 s4, 0x80
	v_cmp_eq_u16_e32 vcc, s4, v3
	s_mov_b64 s[4:5], -1
                                        ; implicit-def: $sgpr10
	s_and_saveexec_b64 s[8:9], vcc
; %bb.3570:
	s_mov_b32 s10, 0x7f800001
	s_xor_b64 s[4:5], exec, -1
; %bb.3571:
	s_or_b64 exec, exec, s[8:9]
	s_and_b64 s[4:5], s[4:5], exec
                                        ; implicit-def: $vgpr3
	s_or_saveexec_b64 s[6:7], s[6:7]
	v_mov_b32_e32 v2, s10
	s_xor_b64 exec, exec, s[6:7]
	s_cbranch_execz .LBB7_1522
.LBB7_3572:
	v_cmp_ne_u16_e32 vcc, 0, v3
	s_andn2_b64 s[4:5], s[4:5], exec
	s_and_b64 s[8:9], vcc, exec
	v_mov_b32_e32 v2, 0
	s_or_b64 s[4:5], s[4:5], s[8:9]
	s_or_b64 exec, exec, s[6:7]
	s_and_saveexec_b64 s[6:7], s[4:5]
	s_cbranch_execnz .LBB7_1523
	s_branch .LBB7_1524
.LBB7_3573:
	s_movk_i32 s4, 0x80
	v_cmp_eq_u16_e32 vcc, s4, v3
	s_mov_b64 s[4:5], -1
                                        ; implicit-def: $sgpr10
	s_and_saveexec_b64 s[8:9], vcc
; %bb.3574:
	s_mov_b32 s10, 0x7f800001
	s_xor_b64 s[4:5], exec, -1
; %bb.3575:
	s_or_b64 exec, exec, s[8:9]
	s_and_b64 s[4:5], s[4:5], exec
                                        ; implicit-def: $vgpr3
	s_or_saveexec_b64 s[6:7], s[6:7]
	v_mov_b32_e32 v4, s10
	s_xor_b64 exec, exec, s[6:7]
	s_cbranch_execz .LBB7_1526
.LBB7_3576:
	v_cmp_ne_u16_e32 vcc, 0, v3
	s_andn2_b64 s[4:5], s[4:5], exec
	s_and_b64 s[8:9], vcc, exec
	v_mov_b32_e32 v4, 0
	s_or_b64 s[4:5], s[4:5], s[8:9]
	s_or_b64 exec, exec, s[6:7]
	s_and_saveexec_b64 s[6:7], s[4:5]
	s_cbranch_execnz .LBB7_1527
	s_branch .LBB7_1528
.LBB7_3577:
	s_movk_i32 s4, 0x80
	v_cmp_eq_u16_sdwa s[12:13], v9, s4 src0_sel:BYTE_3 src1_sel:DWORD
	s_mov_b64 s[4:5], -1
                                        ; implicit-def: $sgpr10
	s_and_saveexec_b64 s[8:9], s[12:13]
; %bb.3578:
	s_mov_b32 s10, 0x7f800001
	s_xor_b64 s[4:5], exec, -1
; %bb.3579:
	s_or_b64 exec, exec, s[8:9]
	s_and_b64 s[4:5], s[4:5], exec
	s_or_saveexec_b64 s[6:7], s[6:7]
	v_mov_b32_e32 v2, s10
	s_xor_b64 exec, exec, s[6:7]
	s_cbranch_execz .LBB7_1530
.LBB7_3580:
	v_mov_b32_e32 v2, 0
	v_cmp_ne_u16_sdwa s[8:9], v9, v2 src0_sel:BYTE_3 src1_sel:DWORD
	s_andn2_b64 s[4:5], s[4:5], exec
	s_and_b64 s[8:9], s[8:9], exec
	s_or_b64 s[4:5], s[4:5], s[8:9]
	s_or_b64 exec, exec, s[6:7]
	s_and_saveexec_b64 s[6:7], s[4:5]
	s_cbranch_execnz .LBB7_1531
	s_branch .LBB7_1532
.LBB7_3581:
	s_movk_i32 s4, 0x80
	v_cmp_eq_u16_sdwa s[12:13], v5, s4 src0_sel:BYTE_3 src1_sel:DWORD
	s_mov_b64 s[4:5], -1
                                        ; implicit-def: $sgpr10
	s_and_saveexec_b64 s[8:9], s[12:13]
; %bb.3582:
	s_mov_b32 s10, 0x7f800001
	s_xor_b64 s[4:5], exec, -1
; %bb.3583:
	s_or_b64 exec, exec, s[8:9]
	s_and_b64 s[4:5], s[4:5], exec
	s_or_saveexec_b64 s[6:7], s[6:7]
	v_mov_b32_e32 v3, s10
	s_xor_b64 exec, exec, s[6:7]
	s_cbranch_execz .LBB7_1534
.LBB7_3584:
	v_mov_b32_e32 v3, 0
	v_cmp_ne_u16_sdwa s[8:9], v5, v3 src0_sel:BYTE_3 src1_sel:DWORD
	s_andn2_b64 s[4:5], s[4:5], exec
	s_and_b64 s[8:9], s[8:9], exec
	s_or_b64 s[4:5], s[4:5], s[8:9]
	s_or_b64 exec, exec, s[6:7]
	s_and_saveexec_b64 s[6:7], s[4:5]
	s_cbranch_execnz .LBB7_1535
	s_branch .LBB7_1536
.LBB7_3585:
	s_movk_i32 s4, 0x80
	v_cmp_eq_u16_sdwa s[12:13], v14, s4 src0_sel:BYTE_0 src1_sel:DWORD
	s_mov_b64 s[4:5], -1
                                        ; implicit-def: $sgpr10
	s_and_saveexec_b64 s[8:9], s[12:13]
; %bb.3586:
	s_mov_b32 s10, 0x7f800001
	s_xor_b64 s[4:5], exec, -1
; %bb.3587:
	s_or_b64 exec, exec, s[8:9]
	s_and_b64 s[4:5], s[4:5], exec
	s_or_saveexec_b64 s[6:7], s[6:7]
	v_mov_b32_e32 v20, s10
	s_xor_b64 exec, exec, s[6:7]
	s_cbranch_execz .LBB7_1538
.LBB7_3588:
	v_mov_b32_e32 v20, 0
	v_cmp_ne_u16_sdwa s[8:9], v14, v20 src0_sel:BYTE_0 src1_sel:DWORD
	s_andn2_b64 s[4:5], s[4:5], exec
	s_and_b64 s[8:9], s[8:9], exec
	s_or_b64 s[4:5], s[4:5], s[8:9]
	s_or_b64 exec, exec, s[6:7]
	s_and_saveexec_b64 s[6:7], s[4:5]
	s_cbranch_execnz .LBB7_1539
	s_branch .LBB7_1540
.LBB7_3589:
	s_movk_i32 s4, 0x80
	v_cmp_eq_u16_sdwa s[12:13], v10, s4 src0_sel:BYTE_0 src1_sel:DWORD
	s_mov_b64 s[4:5], -1
                                        ; implicit-def: $sgpr10
	s_and_saveexec_b64 s[8:9], s[12:13]
; %bb.3590:
	s_mov_b32 s10, 0x7f800001
	s_xor_b64 s[4:5], exec, -1
; %bb.3591:
	s_or_b64 exec, exec, s[8:9]
	s_and_b64 s[4:5], s[4:5], exec
	s_or_saveexec_b64 s[6:7], s[6:7]
	v_mov_b32_e32 v21, s10
	s_xor_b64 exec, exec, s[6:7]
	s_cbranch_execz .LBB7_1542
.LBB7_3592:
	v_mov_b32_e32 v21, 0
	v_cmp_ne_u16_sdwa s[8:9], v10, v21 src0_sel:BYTE_0 src1_sel:DWORD
	s_andn2_b64 s[4:5], s[4:5], exec
	s_and_b64 s[8:9], s[8:9], exec
	s_or_b64 s[4:5], s[4:5], s[8:9]
	s_or_b64 exec, exec, s[6:7]
	s_and_saveexec_b64 s[6:7], s[4:5]
	s_cbranch_execnz .LBB7_1543
	s_branch .LBB7_1544
.LBB7_3593:
	s_movk_i32 s4, 0x80
	v_cmp_eq_u16_sdwa s[12:13], v21, s4 src0_sel:BYTE_0 src1_sel:DWORD
	s_mov_b64 s[4:5], -1
                                        ; implicit-def: $sgpr10
	s_and_saveexec_b64 s[8:9], s[12:13]
; %bb.3594:
	s_mov_b32 s10, 0x7f800001
	s_xor_b64 s[4:5], exec, -1
; %bb.3595:
	s_or_b64 exec, exec, s[8:9]
	s_and_b64 s[4:5], s[4:5], exec
	s_or_saveexec_b64 s[6:7], s[6:7]
	v_mov_b32_e32 v20, s10
	s_xor_b64 exec, exec, s[6:7]
	s_cbranch_execz .LBB7_1546
.LBB7_3596:
	v_mov_b32_e32 v20, 0
	v_cmp_ne_u16_sdwa s[8:9], v21, v20 src0_sel:BYTE_0 src1_sel:DWORD
	s_andn2_b64 s[4:5], s[4:5], exec
	s_and_b64 s[8:9], s[8:9], exec
	s_or_b64 s[4:5], s[4:5], s[8:9]
	s_or_b64 exec, exec, s[6:7]
	s_and_saveexec_b64 s[6:7], s[4:5]
	s_cbranch_execnz .LBB7_1547
	s_branch .LBB7_1548
.LBB7_3597:
	s_movk_i32 s4, 0x80
	v_cmp_eq_u16_sdwa s[12:13], v21, s4 src0_sel:BYTE_0 src1_sel:DWORD
	s_mov_b64 s[4:5], -1
                                        ; implicit-def: $sgpr10
	s_and_saveexec_b64 s[8:9], s[12:13]
; %bb.3598:
	s_mov_b32 s10, 0x7f800001
	s_xor_b64 s[4:5], exec, -1
; %bb.3599:
	s_or_b64 exec, exec, s[8:9]
	s_and_b64 s[4:5], s[4:5], exec
	s_or_saveexec_b64 s[6:7], s[6:7]
	v_mov_b32_e32 v22, s10
	s_xor_b64 exec, exec, s[6:7]
	s_cbranch_execz .LBB7_1550
.LBB7_3600:
	v_mov_b32_e32 v22, 0
	v_cmp_ne_u16_sdwa s[8:9], v21, v22 src0_sel:BYTE_0 src1_sel:DWORD
	s_andn2_b64 s[4:5], s[4:5], exec
	s_and_b64 s[8:9], s[8:9], exec
	s_or_b64 s[4:5], s[4:5], s[8:9]
	s_or_b64 exec, exec, s[6:7]
	s_and_saveexec_b64 s[6:7], s[4:5]
	s_cbranch_execnz .LBB7_1551
	s_branch .LBB7_1552
.LBB7_3601:
	s_movk_i32 s4, 0x80
	v_cmp_eq_u16_e32 vcc, s4, v21
	s_mov_b64 s[4:5], -1
                                        ; implicit-def: $sgpr10
	s_and_saveexec_b64 s[8:9], vcc
; %bb.3602:
	s_mov_b32 s10, 0x7f800001
	s_xor_b64 s[4:5], exec, -1
; %bb.3603:
	s_or_b64 exec, exec, s[8:9]
	s_and_b64 s[4:5], s[4:5], exec
                                        ; implicit-def: $vgpr21
	s_or_saveexec_b64 s[6:7], s[6:7]
	v_mov_b32_e32 v20, s10
	s_xor_b64 exec, exec, s[6:7]
	s_cbranch_execz .LBB7_1554
.LBB7_3604:
	v_cmp_ne_u16_e32 vcc, 0, v21
	s_andn2_b64 s[4:5], s[4:5], exec
	s_and_b64 s[8:9], vcc, exec
	v_mov_b32_e32 v20, 0
	s_or_b64 s[4:5], s[4:5], s[8:9]
	s_or_b64 exec, exec, s[6:7]
	s_and_saveexec_b64 s[6:7], s[4:5]
	s_cbranch_execnz .LBB7_1555
	s_branch .LBB7_1556
.LBB7_3605:
	s_movk_i32 s4, 0x80
	v_cmp_eq_u16_e32 vcc, s4, v21
	s_mov_b64 s[4:5], -1
                                        ; implicit-def: $sgpr10
	s_and_saveexec_b64 s[8:9], vcc
; %bb.3606:
	s_mov_b32 s10, 0x7f800001
	s_xor_b64 s[4:5], exec, -1
; %bb.3607:
	s_or_b64 exec, exec, s[8:9]
	s_and_b64 s[4:5], s[4:5], exec
                                        ; implicit-def: $vgpr21
	s_or_saveexec_b64 s[6:7], s[6:7]
	v_mov_b32_e32 v22, s10
	s_xor_b64 exec, exec, s[6:7]
	s_cbranch_execz .LBB7_1558
.LBB7_3608:
	v_cmp_ne_u16_e32 vcc, 0, v21
	s_andn2_b64 s[4:5], s[4:5], exec
	s_and_b64 s[8:9], vcc, exec
	v_mov_b32_e32 v22, 0
	s_or_b64 s[4:5], s[4:5], s[8:9]
	s_or_b64 exec, exec, s[6:7]
	s_and_saveexec_b64 s[6:7], s[4:5]
	s_cbranch_execnz .LBB7_1559
	s_branch .LBB7_1560
.LBB7_3609:
	s_movk_i32 s4, 0x80
	v_cmp_eq_u16_sdwa s[12:13], v14, s4 src0_sel:BYTE_3 src1_sel:DWORD
	s_mov_b64 s[4:5], -1
                                        ; implicit-def: $sgpr10
	s_and_saveexec_b64 s[8:9], s[12:13]
; %bb.3610:
	s_mov_b32 s10, 0x7f800001
	s_xor_b64 s[4:5], exec, -1
; %bb.3611:
	s_or_b64 exec, exec, s[8:9]
	s_and_b64 s[4:5], s[4:5], exec
	s_or_saveexec_b64 s[6:7], s[6:7]
	v_mov_b32_e32 v20, s10
	s_xor_b64 exec, exec, s[6:7]
	s_cbranch_execz .LBB7_1562
.LBB7_3612:
	v_mov_b32_e32 v20, 0
	v_cmp_ne_u16_sdwa s[8:9], v14, v20 src0_sel:BYTE_3 src1_sel:DWORD
	s_andn2_b64 s[4:5], s[4:5], exec
	s_and_b64 s[8:9], s[8:9], exec
	s_or_b64 s[4:5], s[4:5], s[8:9]
	s_or_b64 exec, exec, s[6:7]
	s_and_saveexec_b64 s[6:7], s[4:5]
	s_cbranch_execnz .LBB7_1563
	s_branch .LBB7_1564
.LBB7_3613:
	s_movk_i32 s4, 0x80
	v_cmp_eq_u16_sdwa s[12:13], v10, s4 src0_sel:BYTE_3 src1_sel:DWORD
	s_mov_b64 s[4:5], -1
                                        ; implicit-def: $sgpr10
	s_and_saveexec_b64 s[8:9], s[12:13]
; %bb.3614:
	s_mov_b32 s10, 0x7f800001
	s_xor_b64 s[4:5], exec, -1
; %bb.3615:
	s_or_b64 exec, exec, s[8:9]
	s_and_b64 s[4:5], s[4:5], exec
	s_or_saveexec_b64 s[6:7], s[6:7]
	v_mov_b32_e32 v14, s10
	s_xor_b64 exec, exec, s[6:7]
	s_cbranch_execz .LBB7_1566
.LBB7_3616:
	v_mov_b32_e32 v14, 0
	v_cmp_ne_u16_sdwa s[8:9], v10, v14 src0_sel:BYTE_3 src1_sel:DWORD
	s_andn2_b64 s[4:5], s[4:5], exec
	s_and_b64 s[8:9], s[8:9], exec
	s_or_b64 s[4:5], s[4:5], s[8:9]
	s_or_b64 exec, exec, s[6:7]
	s_and_saveexec_b64 s[6:7], s[4:5]
	s_cbranch_execnz .LBB7_1567
	s_branch .LBB7_1568
.LBB7_3617:
	s_movk_i32 s4, 0x80
	v_cmp_eq_u16_sdwa s[12:13], v15, s4 src0_sel:BYTE_0 src1_sel:DWORD
	s_mov_b64 s[4:5], -1
                                        ; implicit-def: $sgpr10
	s_and_saveexec_b64 s[8:9], s[12:13]
; %bb.3618:
	s_mov_b32 s10, 0x7f800001
	s_xor_b64 s[4:5], exec, -1
; %bb.3619:
	s_or_b64 exec, exec, s[8:9]
	s_and_b64 s[4:5], s[4:5], exec
	s_or_saveexec_b64 s[6:7], s[6:7]
	v_mov_b32_e32 v10, s10
	s_xor_b64 exec, exec, s[6:7]
	s_cbranch_execz .LBB7_1570
.LBB7_3620:
	v_mov_b32_e32 v10, 0
	v_cmp_ne_u16_sdwa s[8:9], v15, v10 src0_sel:BYTE_0 src1_sel:DWORD
	s_andn2_b64 s[4:5], s[4:5], exec
	s_and_b64 s[8:9], s[8:9], exec
	s_or_b64 s[4:5], s[4:5], s[8:9]
	s_or_b64 exec, exec, s[6:7]
	s_and_saveexec_b64 s[6:7], s[4:5]
	s_cbranch_execnz .LBB7_1571
	s_branch .LBB7_1572
.LBB7_3621:
	s_movk_i32 s4, 0x80
	v_cmp_eq_u16_sdwa s[12:13], v11, s4 src0_sel:BYTE_0 src1_sel:DWORD
	s_mov_b64 s[4:5], -1
                                        ; implicit-def: $sgpr10
	s_and_saveexec_b64 s[8:9], s[12:13]
; %bb.3622:
	s_mov_b32 s10, 0x7f800001
	s_xor_b64 s[4:5], exec, -1
; %bb.3623:
	s_or_b64 exec, exec, s[8:9]
	s_and_b64 s[4:5], s[4:5], exec
	s_or_saveexec_b64 s[6:7], s[6:7]
	v_mov_b32_e32 v14, s10
	s_xor_b64 exec, exec, s[6:7]
	s_cbranch_execz .LBB7_1574
.LBB7_3624:
	v_mov_b32_e32 v14, 0
	v_cmp_ne_u16_sdwa s[8:9], v11, v14 src0_sel:BYTE_0 src1_sel:DWORD
	s_andn2_b64 s[4:5], s[4:5], exec
	s_and_b64 s[8:9], s[8:9], exec
	s_or_b64 s[4:5], s[4:5], s[8:9]
	s_or_b64 exec, exec, s[6:7]
	s_and_saveexec_b64 s[6:7], s[4:5]
	s_cbranch_execnz .LBB7_1575
	s_branch .LBB7_1576
.LBB7_3625:
	s_movk_i32 s4, 0x80
	v_cmp_eq_u16_sdwa s[12:13], v14, s4 src0_sel:BYTE_0 src1_sel:DWORD
	s_mov_b64 s[4:5], -1
                                        ; implicit-def: $sgpr10
	s_and_saveexec_b64 s[8:9], s[12:13]
; %bb.3626:
	s_mov_b32 s10, 0x7f800001
	s_xor_b64 s[4:5], exec, -1
; %bb.3627:
	s_or_b64 exec, exec, s[8:9]
	s_and_b64 s[4:5], s[4:5], exec
	s_or_saveexec_b64 s[6:7], s[6:7]
	v_mov_b32_e32 v10, s10
	s_xor_b64 exec, exec, s[6:7]
	s_cbranch_execz .LBB7_1578
.LBB7_3628:
	v_mov_b32_e32 v10, 0
	v_cmp_ne_u16_sdwa s[8:9], v14, v10 src0_sel:BYTE_0 src1_sel:DWORD
	s_andn2_b64 s[4:5], s[4:5], exec
	s_and_b64 s[8:9], s[8:9], exec
	s_or_b64 s[4:5], s[4:5], s[8:9]
	s_or_b64 exec, exec, s[6:7]
	s_and_saveexec_b64 s[6:7], s[4:5]
	s_cbranch_execnz .LBB7_1579
	s_branch .LBB7_1580
.LBB7_3629:
	s_movk_i32 s4, 0x80
	v_cmp_eq_u16_sdwa s[12:13], v14, s4 src0_sel:BYTE_0 src1_sel:DWORD
	s_mov_b64 s[4:5], -1
                                        ; implicit-def: $sgpr10
	s_and_saveexec_b64 s[8:9], s[12:13]
; %bb.3630:
	s_mov_b32 s10, 0x7f800001
	s_xor_b64 s[4:5], exec, -1
; %bb.3631:
	s_or_b64 exec, exec, s[8:9]
	s_and_b64 s[4:5], s[4:5], exec
	s_or_saveexec_b64 s[6:7], s[6:7]
	v_mov_b32_e32 v20, s10
	s_xor_b64 exec, exec, s[6:7]
	s_cbranch_execz .LBB7_1582
.LBB7_3632:
	v_mov_b32_e32 v20, 0
	v_cmp_ne_u16_sdwa s[8:9], v14, v20 src0_sel:BYTE_0 src1_sel:DWORD
	s_andn2_b64 s[4:5], s[4:5], exec
	s_and_b64 s[8:9], s[8:9], exec
	s_or_b64 s[4:5], s[4:5], s[8:9]
	s_or_b64 exec, exec, s[6:7]
	s_and_saveexec_b64 s[6:7], s[4:5]
	s_cbranch_execnz .LBB7_1583
	s_branch .LBB7_1584
.LBB7_3633:
	s_movk_i32 s4, 0x80
	v_cmp_eq_u16_e32 vcc, s4, v14
	s_mov_b64 s[4:5], -1
                                        ; implicit-def: $sgpr10
	s_and_saveexec_b64 s[8:9], vcc
; %bb.3634:
	s_mov_b32 s10, 0x7f800001
	s_xor_b64 s[4:5], exec, -1
; %bb.3635:
	s_or_b64 exec, exec, s[8:9]
	s_and_b64 s[4:5], s[4:5], exec
                                        ; implicit-def: $vgpr14
	s_or_saveexec_b64 s[6:7], s[6:7]
	v_mov_b32_e32 v10, s10
	s_xor_b64 exec, exec, s[6:7]
	s_cbranch_execz .LBB7_1586
.LBB7_3636:
	v_cmp_ne_u16_e32 vcc, 0, v14
	s_andn2_b64 s[4:5], s[4:5], exec
	s_and_b64 s[8:9], vcc, exec
	v_mov_b32_e32 v10, 0
	s_or_b64 s[4:5], s[4:5], s[8:9]
	s_or_b64 exec, exec, s[6:7]
	s_and_saveexec_b64 s[6:7], s[4:5]
	s_cbranch_execnz .LBB7_1587
	s_branch .LBB7_1588
.LBB7_3637:
	s_movk_i32 s4, 0x80
	v_cmp_eq_u16_e32 vcc, s4, v14
	s_mov_b64 s[4:5], -1
                                        ; implicit-def: $sgpr10
	s_and_saveexec_b64 s[8:9], vcc
; %bb.3638:
	s_mov_b32 s10, 0x7f800001
	s_xor_b64 s[4:5], exec, -1
; %bb.3639:
	s_or_b64 exec, exec, s[8:9]
	s_and_b64 s[4:5], s[4:5], exec
                                        ; implicit-def: $vgpr14
	s_or_saveexec_b64 s[6:7], s[6:7]
	v_mov_b32_e32 v20, s10
	s_xor_b64 exec, exec, s[6:7]
	s_cbranch_execz .LBB7_1590
.LBB7_3640:
	v_cmp_ne_u16_e32 vcc, 0, v14
	s_andn2_b64 s[4:5], s[4:5], exec
	s_and_b64 s[8:9], vcc, exec
	v_mov_b32_e32 v20, 0
	s_or_b64 s[4:5], s[4:5], s[8:9]
	s_or_b64 exec, exec, s[6:7]
	s_and_saveexec_b64 s[6:7], s[4:5]
	s_cbranch_execnz .LBB7_1591
	s_branch .LBB7_1592
.LBB7_3641:
	s_movk_i32 s4, 0x80
	v_cmp_eq_u16_sdwa s[12:13], v15, s4 src0_sel:BYTE_3 src1_sel:DWORD
	s_mov_b64 s[4:5], -1
                                        ; implicit-def: $sgpr10
	s_and_saveexec_b64 s[8:9], s[12:13]
; %bb.3642:
	s_mov_b32 s10, 0x7f800001
	s_xor_b64 s[4:5], exec, -1
; %bb.3643:
	s_or_b64 exec, exec, s[8:9]
	s_and_b64 s[4:5], s[4:5], exec
	s_or_saveexec_b64 s[6:7], s[6:7]
	v_mov_b32_e32 v10, s10
	s_xor_b64 exec, exec, s[6:7]
	s_cbranch_execz .LBB7_1594
.LBB7_3644:
	v_mov_b32_e32 v10, 0
	v_cmp_ne_u16_sdwa s[8:9], v15, v10 src0_sel:BYTE_3 src1_sel:DWORD
	s_andn2_b64 s[4:5], s[4:5], exec
	s_and_b64 s[8:9], s[8:9], exec
	s_or_b64 s[4:5], s[4:5], s[8:9]
	s_or_b64 exec, exec, s[6:7]
	s_and_saveexec_b64 s[6:7], s[4:5]
	s_cbranch_execnz .LBB7_1595
	s_branch .LBB7_1596
.LBB7_3645:
	s_movk_i32 s4, 0x80
	v_cmp_eq_u16_sdwa s[12:13], v11, s4 src0_sel:BYTE_3 src1_sel:DWORD
	s_mov_b64 s[4:5], -1
                                        ; implicit-def: $sgpr10
	s_and_saveexec_b64 s[8:9], s[12:13]
; %bb.3646:
	s_mov_b32 s10, 0x7f800001
	s_xor_b64 s[4:5], exec, -1
; %bb.3647:
	s_or_b64 exec, exec, s[8:9]
	s_and_b64 s[4:5], s[4:5], exec
	s_or_saveexec_b64 s[6:7], s[6:7]
	v_mov_b32_e32 v14, s10
	s_xor_b64 exec, exec, s[6:7]
	s_cbranch_execz .LBB7_1598
.LBB7_3648:
	v_mov_b32_e32 v14, 0
	v_cmp_ne_u16_sdwa s[8:9], v11, v14 src0_sel:BYTE_3 src1_sel:DWORD
	s_andn2_b64 s[4:5], s[4:5], exec
	s_and_b64 s[8:9], s[8:9], exec
	s_or_b64 s[4:5], s[4:5], s[8:9]
	s_or_b64 exec, exec, s[6:7]
	s_and_saveexec_b64 s[6:7], s[4:5]
	s_cbranch_execnz .LBB7_1599
	s_branch .LBB7_1600
.LBB7_3649:
	s_movk_i32 s4, 0x80
	v_cmp_eq_u16_sdwa s[12:13], v16, s4 src0_sel:BYTE_0 src1_sel:DWORD
	s_mov_b64 s[4:5], -1
                                        ; implicit-def: $sgpr10
	s_and_saveexec_b64 s[8:9], s[12:13]
; %bb.3650:
	s_mov_b32 s10, 0x7f800001
	s_xor_b64 s[4:5], exec, -1
; %bb.3651:
	s_or_b64 exec, exec, s[8:9]
	s_and_b64 s[4:5], s[4:5], exec
	s_or_saveexec_b64 s[6:7], s[6:7]
	v_mov_b32_e32 v10, s10
	s_xor_b64 exec, exec, s[6:7]
	s_cbranch_execz .LBB7_1602
.LBB7_3652:
	v_mov_b32_e32 v10, 0
	v_cmp_ne_u16_sdwa s[8:9], v16, v10 src0_sel:BYTE_0 src1_sel:DWORD
	s_andn2_b64 s[4:5], s[4:5], exec
	s_and_b64 s[8:9], s[8:9], exec
	s_or_b64 s[4:5], s[4:5], s[8:9]
	s_or_b64 exec, exec, s[6:7]
	s_and_saveexec_b64 s[6:7], s[4:5]
	s_cbranch_execnz .LBB7_1603
	s_branch .LBB7_1604
.LBB7_3653:
	s_movk_i32 s4, 0x80
	v_cmp_eq_u16_sdwa s[12:13], v12, s4 src0_sel:BYTE_0 src1_sel:DWORD
	s_mov_b64 s[4:5], -1
                                        ; implicit-def: $sgpr10
	s_and_saveexec_b64 s[8:9], s[12:13]
; %bb.3654:
	s_mov_b32 s10, 0x7f800001
	s_xor_b64 s[4:5], exec, -1
; %bb.3655:
	s_or_b64 exec, exec, s[8:9]
	s_and_b64 s[4:5], s[4:5], exec
	s_or_saveexec_b64 s[6:7], s[6:7]
	v_mov_b32_e32 v11, s10
	s_xor_b64 exec, exec, s[6:7]
	s_cbranch_execz .LBB7_1606
.LBB7_3656:
	v_mov_b32_e32 v11, 0
	v_cmp_ne_u16_sdwa s[8:9], v12, v11 src0_sel:BYTE_0 src1_sel:DWORD
	s_andn2_b64 s[4:5], s[4:5], exec
	s_and_b64 s[8:9], s[8:9], exec
	s_or_b64 s[4:5], s[4:5], s[8:9]
	s_or_b64 exec, exec, s[6:7]
	s_and_saveexec_b64 s[6:7], s[4:5]
	s_cbranch_execnz .LBB7_1607
	s_branch .LBB7_1608
.LBB7_3657:
	s_movk_i32 s4, 0x80
	v_cmp_eq_u16_sdwa s[12:13], v11, s4 src0_sel:BYTE_0 src1_sel:DWORD
	s_mov_b64 s[4:5], -1
                                        ; implicit-def: $sgpr10
	s_and_saveexec_b64 s[8:9], s[12:13]
; %bb.3658:
	s_mov_b32 s10, 0x7f800001
	s_xor_b64 s[4:5], exec, -1
; %bb.3659:
	s_or_b64 exec, exec, s[8:9]
	s_and_b64 s[4:5], s[4:5], exec
	s_or_saveexec_b64 s[6:7], s[6:7]
	v_mov_b32_e32 v10, s10
	s_xor_b64 exec, exec, s[6:7]
	s_cbranch_execz .LBB7_1610
.LBB7_3660:
	v_mov_b32_e32 v10, 0
	v_cmp_ne_u16_sdwa s[8:9], v11, v10 src0_sel:BYTE_0 src1_sel:DWORD
	s_andn2_b64 s[4:5], s[4:5], exec
	s_and_b64 s[8:9], s[8:9], exec
	s_or_b64 s[4:5], s[4:5], s[8:9]
	s_or_b64 exec, exec, s[6:7]
	s_and_saveexec_b64 s[6:7], s[4:5]
	s_cbranch_execnz .LBB7_1611
	s_branch .LBB7_1612
.LBB7_3661:
	s_movk_i32 s4, 0x80
	v_cmp_eq_u16_sdwa s[12:13], v11, s4 src0_sel:BYTE_0 src1_sel:DWORD
	s_mov_b64 s[4:5], -1
                                        ; implicit-def: $sgpr10
	s_and_saveexec_b64 s[8:9], s[12:13]
; %bb.3662:
	s_mov_b32 s10, 0x7f800001
	s_xor_b64 s[4:5], exec, -1
; %bb.3663:
	s_or_b64 exec, exec, s[8:9]
	s_and_b64 s[4:5], s[4:5], exec
	s_or_saveexec_b64 s[6:7], s[6:7]
	v_mov_b32_e32 v14, s10
	s_xor_b64 exec, exec, s[6:7]
	s_cbranch_execz .LBB7_1614
.LBB7_3664:
	v_mov_b32_e32 v14, 0
	v_cmp_ne_u16_sdwa s[8:9], v11, v14 src0_sel:BYTE_0 src1_sel:DWORD
	s_andn2_b64 s[4:5], s[4:5], exec
	s_and_b64 s[8:9], s[8:9], exec
	s_or_b64 s[4:5], s[4:5], s[8:9]
	s_or_b64 exec, exec, s[6:7]
	s_and_saveexec_b64 s[6:7], s[4:5]
	s_cbranch_execnz .LBB7_1615
	s_branch .LBB7_1616
.LBB7_3665:
	s_movk_i32 s4, 0x80
	v_cmp_eq_u16_e32 vcc, s4, v11
	s_mov_b64 s[4:5], -1
                                        ; implicit-def: $sgpr10
	s_and_saveexec_b64 s[8:9], vcc
; %bb.3666:
	s_mov_b32 s10, 0x7f800001
	s_xor_b64 s[4:5], exec, -1
; %bb.3667:
	s_or_b64 exec, exec, s[8:9]
	s_and_b64 s[4:5], s[4:5], exec
                                        ; implicit-def: $vgpr11
	s_or_saveexec_b64 s[6:7], s[6:7]
	v_mov_b32_e32 v10, s10
	s_xor_b64 exec, exec, s[6:7]
	s_cbranch_execz .LBB7_1618
.LBB7_3668:
	v_cmp_ne_u16_e32 vcc, 0, v11
	s_andn2_b64 s[4:5], s[4:5], exec
	s_and_b64 s[8:9], vcc, exec
	v_mov_b32_e32 v10, 0
	s_or_b64 s[4:5], s[4:5], s[8:9]
	s_or_b64 exec, exec, s[6:7]
	s_and_saveexec_b64 s[6:7], s[4:5]
	s_cbranch_execnz .LBB7_1619
	s_branch .LBB7_1620
.LBB7_3669:
	s_movk_i32 s4, 0x80
	v_cmp_eq_u16_e32 vcc, s4, v11
	s_mov_b64 s[4:5], -1
                                        ; implicit-def: $sgpr10
	s_and_saveexec_b64 s[8:9], vcc
; %bb.3670:
	s_mov_b32 s10, 0x7f800001
	s_xor_b64 s[4:5], exec, -1
; %bb.3671:
	s_or_b64 exec, exec, s[8:9]
	s_and_b64 s[4:5], s[4:5], exec
                                        ; implicit-def: $vgpr11
	s_or_saveexec_b64 s[6:7], s[6:7]
	v_mov_b32_e32 v14, s10
	s_xor_b64 exec, exec, s[6:7]
	s_cbranch_execz .LBB7_1622
.LBB7_3672:
	v_cmp_ne_u16_e32 vcc, 0, v11
	s_andn2_b64 s[4:5], s[4:5], exec
	s_and_b64 s[8:9], vcc, exec
	v_mov_b32_e32 v14, 0
	s_or_b64 s[4:5], s[4:5], s[8:9]
	s_or_b64 exec, exec, s[6:7]
	s_and_saveexec_b64 s[6:7], s[4:5]
	s_cbranch_execnz .LBB7_1623
	s_branch .LBB7_1624
.LBB7_3673:
	s_movk_i32 s4, 0x80
	v_cmp_eq_u16_sdwa s[12:13], v16, s4 src0_sel:BYTE_3 src1_sel:DWORD
	s_mov_b64 s[4:5], -1
                                        ; implicit-def: $sgpr10
	s_and_saveexec_b64 s[8:9], s[12:13]
; %bb.3674:
	s_mov_b32 s10, 0x7f800001
	s_xor_b64 s[4:5], exec, -1
; %bb.3675:
	s_or_b64 exec, exec, s[8:9]
	s_and_b64 s[4:5], s[4:5], exec
	s_or_saveexec_b64 s[6:7], s[6:7]
	v_mov_b32_e32 v10, s10
	s_xor_b64 exec, exec, s[6:7]
	s_cbranch_execz .LBB7_1626
.LBB7_3676:
	v_mov_b32_e32 v10, 0
	v_cmp_ne_u16_sdwa s[8:9], v16, v10 src0_sel:BYTE_3 src1_sel:DWORD
	s_andn2_b64 s[4:5], s[4:5], exec
	s_and_b64 s[8:9], s[8:9], exec
	s_or_b64 s[4:5], s[4:5], s[8:9]
	s_or_b64 exec, exec, s[6:7]
	s_and_saveexec_b64 s[6:7], s[4:5]
	s_cbranch_execnz .LBB7_1627
	s_branch .LBB7_1628
.LBB7_3677:
	s_movk_i32 s4, 0x80
	v_cmp_eq_u16_sdwa s[12:13], v12, s4 src0_sel:BYTE_3 src1_sel:DWORD
	s_mov_b64 s[4:5], -1
                                        ; implicit-def: $sgpr10
	s_and_saveexec_b64 s[8:9], s[12:13]
; %bb.3678:
	s_mov_b32 s10, 0x7f800001
	s_xor_b64 s[4:5], exec, -1
; %bb.3679:
	s_or_b64 exec, exec, s[8:9]
	s_and_b64 s[4:5], s[4:5], exec
	s_or_saveexec_b64 s[6:7], s[6:7]
	v_mov_b32_e32 v11, s10
	s_xor_b64 exec, exec, s[6:7]
	s_cbranch_execz .LBB7_1630
.LBB7_3680:
	v_mov_b32_e32 v11, 0
	v_cmp_ne_u16_sdwa s[8:9], v12, v11 src0_sel:BYTE_3 src1_sel:DWORD
	s_andn2_b64 s[4:5], s[4:5], exec
	s_and_b64 s[8:9], s[8:9], exec
	s_or_b64 s[4:5], s[4:5], s[8:9]
	s_or_b64 exec, exec, s[6:7]
	s_and_saveexec_b64 s[6:7], s[4:5]
	s_cbranch_execnz .LBB7_1631
	s_branch .LBB7_1632
.LBB7_3681:
	s_movk_i32 s4, 0x80
	v_cmp_eq_u16_sdwa s[12:13], v17, s4 src0_sel:BYTE_0 src1_sel:DWORD
	s_mov_b64 s[4:5], -1
                                        ; implicit-def: $sgpr10
	s_and_saveexec_b64 s[8:9], s[12:13]
; %bb.3682:
	s_mov_b32 s10, 0x7f800001
	s_xor_b64 s[4:5], exec, -1
; %bb.3683:
	s_or_b64 exec, exec, s[8:9]
	s_and_b64 s[4:5], s[4:5], exec
	s_or_saveexec_b64 s[6:7], s[6:7]
	v_mov_b32_e32 v10, s10
	s_xor_b64 exec, exec, s[6:7]
	s_cbranch_execz .LBB7_1634
.LBB7_3684:
	v_mov_b32_e32 v10, 0
	v_cmp_ne_u16_sdwa s[8:9], v17, v10 src0_sel:BYTE_0 src1_sel:DWORD
	s_andn2_b64 s[4:5], s[4:5], exec
	s_and_b64 s[8:9], s[8:9], exec
	s_or_b64 s[4:5], s[4:5], s[8:9]
	s_or_b64 exec, exec, s[6:7]
	s_and_saveexec_b64 s[6:7], s[4:5]
	s_cbranch_execnz .LBB7_1635
	s_branch .LBB7_1636
.LBB7_3685:
	s_movk_i32 s4, 0x80
	v_cmp_eq_u16_sdwa s[12:13], v13, s4 src0_sel:BYTE_0 src1_sel:DWORD
	s_mov_b64 s[4:5], -1
                                        ; implicit-def: $sgpr10
	s_and_saveexec_b64 s[8:9], s[12:13]
; %bb.3686:
	s_mov_b32 s10, 0x7f800001
	s_xor_b64 s[4:5], exec, -1
; %bb.3687:
	s_or_b64 exec, exec, s[8:9]
	s_and_b64 s[4:5], s[4:5], exec
	s_or_saveexec_b64 s[6:7], s[6:7]
	v_mov_b32_e32 v11, s10
	s_xor_b64 exec, exec, s[6:7]
	s_cbranch_execz .LBB7_1638
.LBB7_3688:
	v_mov_b32_e32 v11, 0
	v_cmp_ne_u16_sdwa s[8:9], v13, v11 src0_sel:BYTE_0 src1_sel:DWORD
	s_andn2_b64 s[4:5], s[4:5], exec
	s_and_b64 s[8:9], s[8:9], exec
	s_or_b64 s[4:5], s[4:5], s[8:9]
	s_or_b64 exec, exec, s[6:7]
	s_and_saveexec_b64 s[6:7], s[4:5]
	s_cbranch_execnz .LBB7_1639
	s_branch .LBB7_1640
.LBB7_3689:
	s_movk_i32 s4, 0x80
	v_cmp_eq_u16_sdwa s[12:13], v11, s4 src0_sel:BYTE_0 src1_sel:DWORD
	s_mov_b64 s[4:5], -1
                                        ; implicit-def: $sgpr10
	s_and_saveexec_b64 s[8:9], s[12:13]
; %bb.3690:
	s_mov_b32 s10, 0x7f800001
	s_xor_b64 s[4:5], exec, -1
; %bb.3691:
	s_or_b64 exec, exec, s[8:9]
	s_and_b64 s[4:5], s[4:5], exec
	s_or_saveexec_b64 s[6:7], s[6:7]
	v_mov_b32_e32 v10, s10
	s_xor_b64 exec, exec, s[6:7]
	s_cbranch_execz .LBB7_1642
.LBB7_3692:
	v_mov_b32_e32 v10, 0
	v_cmp_ne_u16_sdwa s[8:9], v11, v10 src0_sel:BYTE_0 src1_sel:DWORD
	s_andn2_b64 s[4:5], s[4:5], exec
	s_and_b64 s[8:9], s[8:9], exec
	s_or_b64 s[4:5], s[4:5], s[8:9]
	s_or_b64 exec, exec, s[6:7]
	s_and_saveexec_b64 s[6:7], s[4:5]
	s_cbranch_execnz .LBB7_1643
	s_branch .LBB7_1644
.LBB7_3693:
	s_movk_i32 s4, 0x80
	v_cmp_eq_u16_sdwa s[12:13], v11, s4 src0_sel:BYTE_0 src1_sel:DWORD
	s_mov_b64 s[4:5], -1
                                        ; implicit-def: $sgpr10
	s_and_saveexec_b64 s[8:9], s[12:13]
; %bb.3694:
	s_mov_b32 s10, 0x7f800001
	s_xor_b64 s[4:5], exec, -1
; %bb.3695:
	s_or_b64 exec, exec, s[8:9]
	s_and_b64 s[4:5], s[4:5], exec
	s_or_saveexec_b64 s[6:7], s[6:7]
	v_mov_b32_e32 v12, s10
	s_xor_b64 exec, exec, s[6:7]
	s_cbranch_execz .LBB7_1646
.LBB7_3696:
	v_mov_b32_e32 v12, 0
	v_cmp_ne_u16_sdwa s[8:9], v11, v12 src0_sel:BYTE_0 src1_sel:DWORD
	s_andn2_b64 s[4:5], s[4:5], exec
	s_and_b64 s[8:9], s[8:9], exec
	s_or_b64 s[4:5], s[4:5], s[8:9]
	s_or_b64 exec, exec, s[6:7]
	s_and_saveexec_b64 s[6:7], s[4:5]
	s_cbranch_execnz .LBB7_1647
	s_branch .LBB7_1648
.LBB7_3697:
	s_movk_i32 s4, 0x80
	v_cmp_eq_u16_e32 vcc, s4, v11
	s_mov_b64 s[4:5], -1
                                        ; implicit-def: $sgpr10
	s_and_saveexec_b64 s[8:9], vcc
; %bb.3698:
	s_mov_b32 s10, 0x7f800001
	s_xor_b64 s[4:5], exec, -1
; %bb.3699:
	s_or_b64 exec, exec, s[8:9]
	s_and_b64 s[4:5], s[4:5], exec
                                        ; implicit-def: $vgpr11
	s_or_saveexec_b64 s[6:7], s[6:7]
	v_mov_b32_e32 v10, s10
	s_xor_b64 exec, exec, s[6:7]
	s_cbranch_execz .LBB7_1650
.LBB7_3700:
	v_cmp_ne_u16_e32 vcc, 0, v11
	s_andn2_b64 s[4:5], s[4:5], exec
	s_and_b64 s[8:9], vcc, exec
	v_mov_b32_e32 v10, 0
	s_or_b64 s[4:5], s[4:5], s[8:9]
	s_or_b64 exec, exec, s[6:7]
	s_and_saveexec_b64 s[6:7], s[4:5]
	s_cbranch_execnz .LBB7_1651
	s_branch .LBB7_1652
.LBB7_3701:
	s_movk_i32 s4, 0x80
	v_cmp_eq_u16_e32 vcc, s4, v11
	s_mov_b64 s[4:5], -1
                                        ; implicit-def: $sgpr10
	s_and_saveexec_b64 s[8:9], vcc
; %bb.3702:
	s_mov_b32 s10, 0x7f800001
	s_xor_b64 s[4:5], exec, -1
; %bb.3703:
	s_or_b64 exec, exec, s[8:9]
	s_and_b64 s[4:5], s[4:5], exec
                                        ; implicit-def: $vgpr11
	s_or_saveexec_b64 s[6:7], s[6:7]
	v_mov_b32_e32 v12, s10
	s_xor_b64 exec, exec, s[6:7]
	s_cbranch_execz .LBB7_1654
.LBB7_3704:
	v_cmp_ne_u16_e32 vcc, 0, v11
	s_andn2_b64 s[4:5], s[4:5], exec
	s_and_b64 s[8:9], vcc, exec
	v_mov_b32_e32 v12, 0
	s_or_b64 s[4:5], s[4:5], s[8:9]
	s_or_b64 exec, exec, s[6:7]
	s_and_saveexec_b64 s[6:7], s[4:5]
	s_cbranch_execnz .LBB7_1655
	s_branch .LBB7_1656
.LBB7_3705:
	s_movk_i32 s4, 0x80
	v_cmp_eq_u16_sdwa s[12:13], v17, s4 src0_sel:BYTE_3 src1_sel:DWORD
	s_mov_b64 s[4:5], -1
                                        ; implicit-def: $sgpr10
	s_and_saveexec_b64 s[8:9], s[12:13]
; %bb.3706:
	s_mov_b32 s10, 0x7f800001
	s_xor_b64 s[4:5], exec, -1
; %bb.3707:
	s_or_b64 exec, exec, s[8:9]
	s_and_b64 s[4:5], s[4:5], exec
	s_or_saveexec_b64 s[6:7], s[6:7]
	v_mov_b32_e32 v10, s10
	s_xor_b64 exec, exec, s[6:7]
	s_cbranch_execz .LBB7_1658
.LBB7_3708:
	v_mov_b32_e32 v10, 0
	v_cmp_ne_u16_sdwa s[8:9], v17, v10 src0_sel:BYTE_3 src1_sel:DWORD
	s_andn2_b64 s[4:5], s[4:5], exec
	s_and_b64 s[8:9], s[8:9], exec
	s_or_b64 s[4:5], s[4:5], s[8:9]
	s_or_b64 exec, exec, s[6:7]
	s_and_saveexec_b64 s[6:7], s[4:5]
	s_cbranch_execnz .LBB7_1659
	s_branch .LBB7_1660
.LBB7_3709:
	s_movk_i32 s4, 0x80
	v_cmp_eq_u16_sdwa s[12:13], v13, s4 src0_sel:BYTE_3 src1_sel:DWORD
	s_mov_b64 s[4:5], -1
                                        ; implicit-def: $sgpr10
	s_and_saveexec_b64 s[8:9], s[12:13]
; %bb.3710:
	s_mov_b32 s10, 0x7f800001
	s_xor_b64 s[4:5], exec, -1
; %bb.3711:
	s_or_b64 exec, exec, s[8:9]
	s_and_b64 s[4:5], s[4:5], exec
	s_or_saveexec_b64 s[6:7], s[6:7]
	v_mov_b32_e32 v11, s10
	s_xor_b64 exec, exec, s[6:7]
	s_cbranch_execz .LBB7_1662
.LBB7_3712:
	v_mov_b32_e32 v11, 0
	v_cmp_ne_u16_sdwa s[8:9], v13, v11 src0_sel:BYTE_3 src1_sel:DWORD
	s_andn2_b64 s[4:5], s[4:5], exec
	s_and_b64 s[8:9], s[8:9], exec
	s_or_b64 s[4:5], s[4:5], s[8:9]
	s_or_b64 exec, exec, s[6:7]
	s_and_saveexec_b64 s[6:7], s[4:5]
	s_cbranch_execnz .LBB7_1663
	s_branch .LBB7_1664
.LBB7_3713:
	s_movk_i32 s4, 0x80
	v_cmp_eq_u16_sdwa s[12:13], v6, s4 src0_sel:BYTE_0 src1_sel:DWORD
	s_mov_b64 s[4:5], -1
                                        ; implicit-def: $sgpr10
	s_and_saveexec_b64 s[8:9], s[12:13]
; %bb.3714:
	s_mov_b32 s10, 0x7f800001
	s_xor_b64 s[4:5], exec, -1
; %bb.3715:
	s_or_b64 exec, exec, s[8:9]
	s_and_b64 s[4:5], s[4:5], exec
	s_or_saveexec_b64 s[6:7], s[6:7]
	v_mov_b32_e32 v10, s10
	s_xor_b64 exec, exec, s[6:7]
	s_cbranch_execz .LBB7_1666
.LBB7_3716:
	v_mov_b32_e32 v10, 0
	v_cmp_ne_u16_sdwa s[8:9], v6, v10 src0_sel:BYTE_0 src1_sel:DWORD
	s_andn2_b64 s[4:5], s[4:5], exec
	s_and_b64 s[8:9], s[8:9], exec
	s_or_b64 s[4:5], s[4:5], s[8:9]
	s_or_b64 exec, exec, s[6:7]
	s_and_saveexec_b64 s[6:7], s[4:5]
	s_cbranch_execnz .LBB7_1667
	s_branch .LBB7_1668
.LBB7_3717:
	s_movk_i32 s4, 0x80
	v_cmp_eq_u16_sdwa s[12:13], v2, s4 src0_sel:BYTE_0 src1_sel:DWORD
	s_mov_b64 s[4:5], -1
                                        ; implicit-def: $sgpr10
	s_and_saveexec_b64 s[8:9], s[12:13]
; %bb.3718:
	s_mov_b32 s10, 0x7f800001
	s_xor_b64 s[4:5], exec, -1
; %bb.3719:
	s_or_b64 exec, exec, s[8:9]
	s_and_b64 s[4:5], s[4:5], exec
	s_or_saveexec_b64 s[6:7], s[6:7]
	v_mov_b32_e32 v11, s10
	s_xor_b64 exec, exec, s[6:7]
	s_cbranch_execz .LBB7_1670
.LBB7_3720:
	v_mov_b32_e32 v11, 0
	v_cmp_ne_u16_sdwa s[8:9], v2, v11 src0_sel:BYTE_0 src1_sel:DWORD
	s_andn2_b64 s[4:5], s[4:5], exec
	s_and_b64 s[8:9], s[8:9], exec
	s_or_b64 s[4:5], s[4:5], s[8:9]
	s_or_b64 exec, exec, s[6:7]
	s_and_saveexec_b64 s[6:7], s[4:5]
	s_cbranch_execnz .LBB7_1671
	s_branch .LBB7_1672
.LBB7_3721:
	s_movk_i32 s4, 0x80
	v_cmp_eq_u16_sdwa s[12:13], v11, s4 src0_sel:BYTE_0 src1_sel:DWORD
	s_mov_b64 s[4:5], -1
                                        ; implicit-def: $sgpr10
	s_and_saveexec_b64 s[8:9], s[12:13]
; %bb.3722:
	s_mov_b32 s10, 0x7f800001
	s_xor_b64 s[4:5], exec, -1
; %bb.3723:
	s_or_b64 exec, exec, s[8:9]
	s_and_b64 s[4:5], s[4:5], exec
	s_or_saveexec_b64 s[6:7], s[6:7]
	v_mov_b32_e32 v10, s10
	s_xor_b64 exec, exec, s[6:7]
	s_cbranch_execz .LBB7_1674
.LBB7_3724:
	v_mov_b32_e32 v10, 0
	v_cmp_ne_u16_sdwa s[8:9], v11, v10 src0_sel:BYTE_0 src1_sel:DWORD
	s_andn2_b64 s[4:5], s[4:5], exec
	s_and_b64 s[8:9], s[8:9], exec
	s_or_b64 s[4:5], s[4:5], s[8:9]
	s_or_b64 exec, exec, s[6:7]
	s_and_saveexec_b64 s[6:7], s[4:5]
	s_cbranch_execnz .LBB7_1675
	s_branch .LBB7_1676
.LBB7_3725:
	s_movk_i32 s4, 0x80
	v_cmp_eq_u16_sdwa s[12:13], v11, s4 src0_sel:BYTE_0 src1_sel:DWORD
	s_mov_b64 s[4:5], -1
                                        ; implicit-def: $sgpr10
	s_and_saveexec_b64 s[8:9], s[12:13]
; %bb.3726:
	s_mov_b32 s10, 0x7f800001
	s_xor_b64 s[4:5], exec, -1
; %bb.3727:
	s_or_b64 exec, exec, s[8:9]
	s_and_b64 s[4:5], s[4:5], exec
	s_or_saveexec_b64 s[6:7], s[6:7]
	v_mov_b32_e32 v12, s10
	s_xor_b64 exec, exec, s[6:7]
	s_cbranch_execz .LBB7_1678
.LBB7_3728:
	v_mov_b32_e32 v12, 0
	v_cmp_ne_u16_sdwa s[8:9], v11, v12 src0_sel:BYTE_0 src1_sel:DWORD
	s_andn2_b64 s[4:5], s[4:5], exec
	s_and_b64 s[8:9], s[8:9], exec
	s_or_b64 s[4:5], s[4:5], s[8:9]
	s_or_b64 exec, exec, s[6:7]
	s_and_saveexec_b64 s[6:7], s[4:5]
	s_cbranch_execnz .LBB7_1679
	s_branch .LBB7_1680
.LBB7_3729:
	s_movk_i32 s4, 0x80
	v_cmp_eq_u16_e32 vcc, s4, v11
	s_mov_b64 s[4:5], -1
                                        ; implicit-def: $sgpr10
	s_and_saveexec_b64 s[8:9], vcc
; %bb.3730:
	s_mov_b32 s10, 0x7f800001
	s_xor_b64 s[4:5], exec, -1
; %bb.3731:
	s_or_b64 exec, exec, s[8:9]
	s_and_b64 s[4:5], s[4:5], exec
                                        ; implicit-def: $vgpr11
	s_or_saveexec_b64 s[6:7], s[6:7]
	v_mov_b32_e32 v10, s10
	s_xor_b64 exec, exec, s[6:7]
	s_cbranch_execz .LBB7_1682
.LBB7_3732:
	v_cmp_ne_u16_e32 vcc, 0, v11
	s_andn2_b64 s[4:5], s[4:5], exec
	s_and_b64 s[8:9], vcc, exec
	v_mov_b32_e32 v10, 0
	s_or_b64 s[4:5], s[4:5], s[8:9]
	s_or_b64 exec, exec, s[6:7]
	s_and_saveexec_b64 s[6:7], s[4:5]
	s_cbranch_execnz .LBB7_1683
	s_branch .LBB7_1684
.LBB7_3733:
	s_movk_i32 s4, 0x80
	v_cmp_eq_u16_e32 vcc, s4, v11
	s_mov_b64 s[4:5], -1
                                        ; implicit-def: $sgpr10
	s_and_saveexec_b64 s[8:9], vcc
; %bb.3734:
	s_mov_b32 s10, 0x7f800001
	s_xor_b64 s[4:5], exec, -1
; %bb.3735:
	s_or_b64 exec, exec, s[8:9]
	s_and_b64 s[4:5], s[4:5], exec
                                        ; implicit-def: $vgpr11
	s_or_saveexec_b64 s[6:7], s[6:7]
	v_mov_b32_e32 v12, s10
	s_xor_b64 exec, exec, s[6:7]
	s_cbranch_execz .LBB7_1686
.LBB7_3736:
	v_cmp_ne_u16_e32 vcc, 0, v11
	s_andn2_b64 s[4:5], s[4:5], exec
	s_and_b64 s[8:9], vcc, exec
	v_mov_b32_e32 v12, 0
	s_or_b64 s[4:5], s[4:5], s[8:9]
	s_or_b64 exec, exec, s[6:7]
	s_and_saveexec_b64 s[6:7], s[4:5]
	s_cbranch_execnz .LBB7_1687
	s_branch .LBB7_1688
.LBB7_3737:
	s_movk_i32 s4, 0x80
	v_cmp_eq_u16_sdwa s[12:13], v6, s4 src0_sel:BYTE_3 src1_sel:DWORD
	s_mov_b64 s[4:5], -1
                                        ; implicit-def: $sgpr10
	s_and_saveexec_b64 s[8:9], s[12:13]
; %bb.3738:
	s_mov_b32 s10, 0x7f800001
	s_xor_b64 s[4:5], exec, -1
; %bb.3739:
	s_or_b64 exec, exec, s[8:9]
	s_and_b64 s[4:5], s[4:5], exec
	s_or_saveexec_b64 s[6:7], s[6:7]
	v_mov_b32_e32 v10, s10
	s_xor_b64 exec, exec, s[6:7]
	s_cbranch_execz .LBB7_1690
.LBB7_3740:
	v_mov_b32_e32 v10, 0
	v_cmp_ne_u16_sdwa s[8:9], v6, v10 src0_sel:BYTE_3 src1_sel:DWORD
	s_andn2_b64 s[4:5], s[4:5], exec
	s_and_b64 s[8:9], s[8:9], exec
	s_or_b64 s[4:5], s[4:5], s[8:9]
	s_or_b64 exec, exec, s[6:7]
	s_and_saveexec_b64 s[6:7], s[4:5]
	s_cbranch_execnz .LBB7_1691
	s_branch .LBB7_1692
.LBB7_3741:
	s_movk_i32 s4, 0x80
	v_cmp_eq_u16_sdwa s[12:13], v2, s4 src0_sel:BYTE_3 src1_sel:DWORD
	s_mov_b64 s[4:5], -1
                                        ; implicit-def: $sgpr10
	s_and_saveexec_b64 s[8:9], s[12:13]
; %bb.3742:
	s_mov_b32 s10, 0x7f800001
	s_xor_b64 s[4:5], exec, -1
; %bb.3743:
	s_or_b64 exec, exec, s[8:9]
	s_and_b64 s[4:5], s[4:5], exec
	s_or_saveexec_b64 s[6:7], s[6:7]
	v_mov_b32_e32 v6, s10
	s_xor_b64 exec, exec, s[6:7]
	s_cbranch_execz .LBB7_1694
.LBB7_3744:
	v_mov_b32_e32 v6, 0
	v_cmp_ne_u16_sdwa s[8:9], v2, v6 src0_sel:BYTE_3 src1_sel:DWORD
	s_andn2_b64 s[4:5], s[4:5], exec
	s_and_b64 s[8:9], s[8:9], exec
	s_or_b64 s[4:5], s[4:5], s[8:9]
	s_or_b64 exec, exec, s[6:7]
	s_and_saveexec_b64 s[6:7], s[4:5]
	s_cbranch_execnz .LBB7_1695
	s_branch .LBB7_1696
.LBB7_3745:
	s_movk_i32 s4, 0x80
	v_cmp_eq_u16_sdwa s[12:13], v7, s4 src0_sel:BYTE_0 src1_sel:DWORD
	s_mov_b64 s[4:5], -1
                                        ; implicit-def: $sgpr10
	s_and_saveexec_b64 s[8:9], s[12:13]
; %bb.3746:
	s_mov_b32 s10, 0x7f800001
	s_xor_b64 s[4:5], exec, -1
; %bb.3747:
	s_or_b64 exec, exec, s[8:9]
	s_and_b64 s[4:5], s[4:5], exec
	s_or_saveexec_b64 s[6:7], s[6:7]
	v_mov_b32_e32 v2, s10
	s_xor_b64 exec, exec, s[6:7]
	s_cbranch_execz .LBB7_1698
.LBB7_3748:
	v_mov_b32_e32 v2, 0
	v_cmp_ne_u16_sdwa s[8:9], v7, v2 src0_sel:BYTE_0 src1_sel:DWORD
	s_andn2_b64 s[4:5], s[4:5], exec
	s_and_b64 s[8:9], s[8:9], exec
	s_or_b64 s[4:5], s[4:5], s[8:9]
	s_or_b64 exec, exec, s[6:7]
	s_and_saveexec_b64 s[6:7], s[4:5]
	s_cbranch_execnz .LBB7_1699
	s_branch .LBB7_1700
.LBB7_3749:
	s_movk_i32 s4, 0x80
	v_cmp_eq_u16_sdwa s[12:13], v3, s4 src0_sel:BYTE_0 src1_sel:DWORD
	s_mov_b64 s[4:5], -1
                                        ; implicit-def: $sgpr10
	s_and_saveexec_b64 s[8:9], s[12:13]
; %bb.3750:
	s_mov_b32 s10, 0x7f800001
	s_xor_b64 s[4:5], exec, -1
; %bb.3751:
	s_or_b64 exec, exec, s[8:9]
	s_and_b64 s[4:5], s[4:5], exec
	s_or_saveexec_b64 s[6:7], s[6:7]
	v_mov_b32_e32 v6, s10
	s_xor_b64 exec, exec, s[6:7]
	s_cbranch_execz .LBB7_1702
.LBB7_3752:
	v_mov_b32_e32 v6, 0
	v_cmp_ne_u16_sdwa s[8:9], v3, v6 src0_sel:BYTE_0 src1_sel:DWORD
	s_andn2_b64 s[4:5], s[4:5], exec
	s_and_b64 s[8:9], s[8:9], exec
	s_or_b64 s[4:5], s[4:5], s[8:9]
	s_or_b64 exec, exec, s[6:7]
	s_and_saveexec_b64 s[6:7], s[4:5]
	s_cbranch_execnz .LBB7_1703
	s_branch .LBB7_1704
.LBB7_3753:
	s_movk_i32 s4, 0x80
	v_cmp_eq_u16_sdwa s[12:13], v6, s4 src0_sel:BYTE_0 src1_sel:DWORD
	s_mov_b64 s[4:5], -1
                                        ; implicit-def: $sgpr10
	s_and_saveexec_b64 s[8:9], s[12:13]
; %bb.3754:
	s_mov_b32 s10, 0x7f800001
	s_xor_b64 s[4:5], exec, -1
; %bb.3755:
	s_or_b64 exec, exec, s[8:9]
	s_and_b64 s[4:5], s[4:5], exec
	s_or_saveexec_b64 s[6:7], s[6:7]
	v_mov_b32_e32 v2, s10
	s_xor_b64 exec, exec, s[6:7]
	s_cbranch_execz .LBB7_1706
.LBB7_3756:
	v_mov_b32_e32 v2, 0
	v_cmp_ne_u16_sdwa s[8:9], v6, v2 src0_sel:BYTE_0 src1_sel:DWORD
	s_andn2_b64 s[4:5], s[4:5], exec
	s_and_b64 s[8:9], s[8:9], exec
	s_or_b64 s[4:5], s[4:5], s[8:9]
	s_or_b64 exec, exec, s[6:7]
	s_and_saveexec_b64 s[6:7], s[4:5]
	s_cbranch_execnz .LBB7_1707
	s_branch .LBB7_1708
.LBB7_3757:
	s_movk_i32 s4, 0x80
	v_cmp_eq_u16_sdwa s[12:13], v6, s4 src0_sel:BYTE_0 src1_sel:DWORD
	s_mov_b64 s[4:5], -1
                                        ; implicit-def: $sgpr10
	s_and_saveexec_b64 s[8:9], s[12:13]
; %bb.3758:
	s_mov_b32 s10, 0x7f800001
	s_xor_b64 s[4:5], exec, -1
; %bb.3759:
	s_or_b64 exec, exec, s[8:9]
	s_and_b64 s[4:5], s[4:5], exec
	s_or_saveexec_b64 s[6:7], s[6:7]
	v_mov_b32_e32 v10, s10
	s_xor_b64 exec, exec, s[6:7]
	s_cbranch_execz .LBB7_1710
.LBB7_3760:
	v_mov_b32_e32 v10, 0
	v_cmp_ne_u16_sdwa s[8:9], v6, v10 src0_sel:BYTE_0 src1_sel:DWORD
	s_andn2_b64 s[4:5], s[4:5], exec
	s_and_b64 s[8:9], s[8:9], exec
	s_or_b64 s[4:5], s[4:5], s[8:9]
	s_or_b64 exec, exec, s[6:7]
	s_and_saveexec_b64 s[6:7], s[4:5]
	s_cbranch_execnz .LBB7_1711
	s_branch .LBB7_1712
.LBB7_3761:
	s_movk_i32 s4, 0x80
	v_cmp_eq_u16_e32 vcc, s4, v6
	s_mov_b64 s[4:5], -1
                                        ; implicit-def: $sgpr10
	s_and_saveexec_b64 s[8:9], vcc
; %bb.3762:
	s_mov_b32 s10, 0x7f800001
	s_xor_b64 s[4:5], exec, -1
; %bb.3763:
	s_or_b64 exec, exec, s[8:9]
	s_and_b64 s[4:5], s[4:5], exec
                                        ; implicit-def: $vgpr6
	s_or_saveexec_b64 s[6:7], s[6:7]
	v_mov_b32_e32 v2, s10
	s_xor_b64 exec, exec, s[6:7]
	s_cbranch_execz .LBB7_1714
.LBB7_3764:
	v_cmp_ne_u16_e32 vcc, 0, v6
	s_andn2_b64 s[4:5], s[4:5], exec
	s_and_b64 s[8:9], vcc, exec
	v_mov_b32_e32 v2, 0
	s_or_b64 s[4:5], s[4:5], s[8:9]
	s_or_b64 exec, exec, s[6:7]
	s_and_saveexec_b64 s[6:7], s[4:5]
	s_cbranch_execnz .LBB7_1715
	s_branch .LBB7_1716
.LBB7_3765:
	s_movk_i32 s4, 0x80
	v_cmp_eq_u16_e32 vcc, s4, v6
	s_mov_b64 s[4:5], -1
                                        ; implicit-def: $sgpr10
	s_and_saveexec_b64 s[8:9], vcc
; %bb.3766:
	s_mov_b32 s10, 0x7f800001
	s_xor_b64 s[4:5], exec, -1
; %bb.3767:
	s_or_b64 exec, exec, s[8:9]
	s_and_b64 s[4:5], s[4:5], exec
                                        ; implicit-def: $vgpr6
	s_or_saveexec_b64 s[6:7], s[6:7]
	v_mov_b32_e32 v10, s10
	s_xor_b64 exec, exec, s[6:7]
	s_cbranch_execz .LBB7_1718
.LBB7_3768:
	v_cmp_ne_u16_e32 vcc, 0, v6
	s_andn2_b64 s[4:5], s[4:5], exec
	s_and_b64 s[8:9], vcc, exec
	v_mov_b32_e32 v10, 0
	s_or_b64 s[4:5], s[4:5], s[8:9]
	s_or_b64 exec, exec, s[6:7]
	s_and_saveexec_b64 s[6:7], s[4:5]
	s_cbranch_execnz .LBB7_1719
	s_branch .LBB7_1720
.LBB7_3769:
	s_movk_i32 s4, 0x80
	v_cmp_eq_u16_sdwa s[12:13], v7, s4 src0_sel:BYTE_3 src1_sel:DWORD
	s_mov_b64 s[4:5], -1
                                        ; implicit-def: $sgpr10
	s_and_saveexec_b64 s[8:9], s[12:13]
; %bb.3770:
	s_mov_b32 s10, 0x7f800001
	s_xor_b64 s[4:5], exec, -1
; %bb.3771:
	s_or_b64 exec, exec, s[8:9]
	s_and_b64 s[4:5], s[4:5], exec
	s_or_saveexec_b64 s[6:7], s[6:7]
	v_mov_b32_e32 v2, s10
	s_xor_b64 exec, exec, s[6:7]
	s_cbranch_execz .LBB7_1722
.LBB7_3772:
	v_mov_b32_e32 v2, 0
	v_cmp_ne_u16_sdwa s[8:9], v7, v2 src0_sel:BYTE_3 src1_sel:DWORD
	s_andn2_b64 s[4:5], s[4:5], exec
	s_and_b64 s[8:9], s[8:9], exec
	s_or_b64 s[4:5], s[4:5], s[8:9]
	s_or_b64 exec, exec, s[6:7]
	s_and_saveexec_b64 s[6:7], s[4:5]
	s_cbranch_execnz .LBB7_1723
	s_branch .LBB7_1724
.LBB7_3773:
	s_movk_i32 s4, 0x80
	v_cmp_eq_u16_sdwa s[12:13], v3, s4 src0_sel:BYTE_3 src1_sel:DWORD
	s_mov_b64 s[4:5], -1
                                        ; implicit-def: $sgpr10
	s_and_saveexec_b64 s[8:9], s[12:13]
; %bb.3774:
	s_mov_b32 s10, 0x7f800001
	s_xor_b64 s[4:5], exec, -1
; %bb.3775:
	s_or_b64 exec, exec, s[8:9]
	s_and_b64 s[4:5], s[4:5], exec
	s_or_saveexec_b64 s[6:7], s[6:7]
	v_mov_b32_e32 v6, s10
	s_xor_b64 exec, exec, s[6:7]
	s_cbranch_execz .LBB7_1726
.LBB7_3776:
	v_mov_b32_e32 v6, 0
	v_cmp_ne_u16_sdwa s[8:9], v3, v6 src0_sel:BYTE_3 src1_sel:DWORD
	s_andn2_b64 s[4:5], s[4:5], exec
	s_and_b64 s[8:9], s[8:9], exec
	s_or_b64 s[4:5], s[4:5], s[8:9]
	s_or_b64 exec, exec, s[6:7]
	s_and_saveexec_b64 s[6:7], s[4:5]
	s_cbranch_execnz .LBB7_1727
	s_branch .LBB7_1728
.LBB7_3777:
	s_movk_i32 s4, 0x80
	v_cmp_eq_u16_sdwa s[12:13], v8, s4 src0_sel:BYTE_0 src1_sel:DWORD
	s_mov_b64 s[4:5], -1
                                        ; implicit-def: $sgpr10
	s_and_saveexec_b64 s[8:9], s[12:13]
; %bb.3778:
	s_mov_b32 s10, 0x7f800001
	s_xor_b64 s[4:5], exec, -1
; %bb.3779:
	s_or_b64 exec, exec, s[8:9]
	s_and_b64 s[4:5], s[4:5], exec
	s_or_saveexec_b64 s[6:7], s[6:7]
	v_mov_b32_e32 v2, s10
	s_xor_b64 exec, exec, s[6:7]
	s_cbranch_execz .LBB7_1730
.LBB7_3780:
	v_mov_b32_e32 v2, 0
	v_cmp_ne_u16_sdwa s[8:9], v8, v2 src0_sel:BYTE_0 src1_sel:DWORD
	s_andn2_b64 s[4:5], s[4:5], exec
	s_and_b64 s[8:9], s[8:9], exec
	s_or_b64 s[4:5], s[4:5], s[8:9]
	s_or_b64 exec, exec, s[6:7]
	s_and_saveexec_b64 s[6:7], s[4:5]
	s_cbranch_execnz .LBB7_1731
	s_branch .LBB7_1732
.LBB7_3781:
	s_movk_i32 s4, 0x80
	v_cmp_eq_u16_sdwa s[12:13], v4, s4 src0_sel:BYTE_0 src1_sel:DWORD
	s_mov_b64 s[4:5], -1
                                        ; implicit-def: $sgpr10
	s_and_saveexec_b64 s[8:9], s[12:13]
; %bb.3782:
	s_mov_b32 s10, 0x7f800001
	s_xor_b64 s[4:5], exec, -1
; %bb.3783:
	s_or_b64 exec, exec, s[8:9]
	s_and_b64 s[4:5], s[4:5], exec
	s_or_saveexec_b64 s[6:7], s[6:7]
	v_mov_b32_e32 v3, s10
	s_xor_b64 exec, exec, s[6:7]
	s_cbranch_execz .LBB7_1734
.LBB7_3784:
	v_mov_b32_e32 v3, 0
	v_cmp_ne_u16_sdwa s[8:9], v4, v3 src0_sel:BYTE_0 src1_sel:DWORD
	s_andn2_b64 s[4:5], s[4:5], exec
	s_and_b64 s[8:9], s[8:9], exec
	s_or_b64 s[4:5], s[4:5], s[8:9]
	s_or_b64 exec, exec, s[6:7]
	s_and_saveexec_b64 s[6:7], s[4:5]
	s_cbranch_execnz .LBB7_1735
	s_branch .LBB7_1736
.LBB7_3785:
	s_movk_i32 s4, 0x80
	v_cmp_eq_u16_sdwa s[12:13], v3, s4 src0_sel:BYTE_0 src1_sel:DWORD
	s_mov_b64 s[4:5], -1
                                        ; implicit-def: $sgpr10
	s_and_saveexec_b64 s[8:9], s[12:13]
; %bb.3786:
	s_mov_b32 s10, 0x7f800001
	s_xor_b64 s[4:5], exec, -1
; %bb.3787:
	s_or_b64 exec, exec, s[8:9]
	s_and_b64 s[4:5], s[4:5], exec
	s_or_saveexec_b64 s[6:7], s[6:7]
	v_mov_b32_e32 v2, s10
	s_xor_b64 exec, exec, s[6:7]
	s_cbranch_execz .LBB7_1738
.LBB7_3788:
	v_mov_b32_e32 v2, 0
	v_cmp_ne_u16_sdwa s[8:9], v3, v2 src0_sel:BYTE_0 src1_sel:DWORD
	s_andn2_b64 s[4:5], s[4:5], exec
	s_and_b64 s[8:9], s[8:9], exec
	s_or_b64 s[4:5], s[4:5], s[8:9]
	s_or_b64 exec, exec, s[6:7]
	s_and_saveexec_b64 s[6:7], s[4:5]
	s_cbranch_execnz .LBB7_1739
	s_branch .LBB7_1740
.LBB7_3789:
	s_movk_i32 s4, 0x80
	v_cmp_eq_u16_sdwa s[12:13], v3, s4 src0_sel:BYTE_0 src1_sel:DWORD
	s_mov_b64 s[4:5], -1
                                        ; implicit-def: $sgpr10
	s_and_saveexec_b64 s[8:9], s[12:13]
; %bb.3790:
	s_mov_b32 s10, 0x7f800001
	s_xor_b64 s[4:5], exec, -1
; %bb.3791:
	s_or_b64 exec, exec, s[8:9]
	s_and_b64 s[4:5], s[4:5], exec
	s_or_saveexec_b64 s[6:7], s[6:7]
	v_mov_b32_e32 v6, s10
	s_xor_b64 exec, exec, s[6:7]
	s_cbranch_execz .LBB7_1742
.LBB7_3792:
	v_mov_b32_e32 v6, 0
	v_cmp_ne_u16_sdwa s[8:9], v3, v6 src0_sel:BYTE_0 src1_sel:DWORD
	s_andn2_b64 s[4:5], s[4:5], exec
	s_and_b64 s[8:9], s[8:9], exec
	s_or_b64 s[4:5], s[4:5], s[8:9]
	s_or_b64 exec, exec, s[6:7]
	s_and_saveexec_b64 s[6:7], s[4:5]
	s_cbranch_execnz .LBB7_1743
	s_branch .LBB7_1744
.LBB7_3793:
	s_movk_i32 s4, 0x80
	v_cmp_eq_u16_e32 vcc, s4, v3
	s_mov_b64 s[4:5], -1
                                        ; implicit-def: $sgpr10
	s_and_saveexec_b64 s[8:9], vcc
; %bb.3794:
	s_mov_b32 s10, 0x7f800001
	s_xor_b64 s[4:5], exec, -1
; %bb.3795:
	s_or_b64 exec, exec, s[8:9]
	s_and_b64 s[4:5], s[4:5], exec
                                        ; implicit-def: $vgpr3
	s_or_saveexec_b64 s[6:7], s[6:7]
	v_mov_b32_e32 v2, s10
	s_xor_b64 exec, exec, s[6:7]
	s_cbranch_execz .LBB7_1746
.LBB7_3796:
	v_cmp_ne_u16_e32 vcc, 0, v3
	s_andn2_b64 s[4:5], s[4:5], exec
	s_and_b64 s[8:9], vcc, exec
	v_mov_b32_e32 v2, 0
	s_or_b64 s[4:5], s[4:5], s[8:9]
	s_or_b64 exec, exec, s[6:7]
	s_and_saveexec_b64 s[6:7], s[4:5]
	s_cbranch_execnz .LBB7_1747
	s_branch .LBB7_1748
.LBB7_3797:
	s_movk_i32 s4, 0x80
	v_cmp_eq_u16_e32 vcc, s4, v3
	s_mov_b64 s[4:5], -1
                                        ; implicit-def: $sgpr10
	s_and_saveexec_b64 s[8:9], vcc
; %bb.3798:
	s_mov_b32 s10, 0x7f800001
	s_xor_b64 s[4:5], exec, -1
; %bb.3799:
	s_or_b64 exec, exec, s[8:9]
	s_and_b64 s[4:5], s[4:5], exec
                                        ; implicit-def: $vgpr3
	s_or_saveexec_b64 s[6:7], s[6:7]
	v_mov_b32_e32 v6, s10
	s_xor_b64 exec, exec, s[6:7]
	s_cbranch_execz .LBB7_1750
.LBB7_3800:
	v_cmp_ne_u16_e32 vcc, 0, v3
	s_andn2_b64 s[4:5], s[4:5], exec
	s_and_b64 s[8:9], vcc, exec
	v_mov_b32_e32 v6, 0
	s_or_b64 s[4:5], s[4:5], s[8:9]
	s_or_b64 exec, exec, s[6:7]
	s_and_saveexec_b64 s[6:7], s[4:5]
	s_cbranch_execnz .LBB7_1751
	s_branch .LBB7_1752
.LBB7_3801:
	s_movk_i32 s4, 0x80
	v_cmp_eq_u16_sdwa s[12:13], v8, s4 src0_sel:BYTE_3 src1_sel:DWORD
	s_mov_b64 s[4:5], -1
                                        ; implicit-def: $sgpr10
	s_and_saveexec_b64 s[8:9], s[12:13]
; %bb.3802:
	s_mov_b32 s10, 0x7f800001
	s_xor_b64 s[4:5], exec, -1
; %bb.3803:
	s_or_b64 exec, exec, s[8:9]
	s_and_b64 s[4:5], s[4:5], exec
	s_or_saveexec_b64 s[6:7], s[6:7]
	v_mov_b32_e32 v2, s10
	s_xor_b64 exec, exec, s[6:7]
	s_cbranch_execz .LBB7_1754
.LBB7_3804:
	v_mov_b32_e32 v2, 0
	v_cmp_ne_u16_sdwa s[8:9], v8, v2 src0_sel:BYTE_3 src1_sel:DWORD
	s_andn2_b64 s[4:5], s[4:5], exec
	s_and_b64 s[8:9], s[8:9], exec
	s_or_b64 s[4:5], s[4:5], s[8:9]
	s_or_b64 exec, exec, s[6:7]
	s_and_saveexec_b64 s[6:7], s[4:5]
	s_cbranch_execnz .LBB7_1755
	s_branch .LBB7_1756
.LBB7_3805:
	s_movk_i32 s4, 0x80
	v_cmp_eq_u16_sdwa s[12:13], v4, s4 src0_sel:BYTE_3 src1_sel:DWORD
	s_mov_b64 s[4:5], -1
                                        ; implicit-def: $sgpr10
	s_and_saveexec_b64 s[8:9], s[12:13]
; %bb.3806:
	s_mov_b32 s10, 0x7f800001
	s_xor_b64 s[4:5], exec, -1
; %bb.3807:
	s_or_b64 exec, exec, s[8:9]
	s_and_b64 s[4:5], s[4:5], exec
	s_or_saveexec_b64 s[6:7], s[6:7]
	v_mov_b32_e32 v3, s10
	s_xor_b64 exec, exec, s[6:7]
	s_cbranch_execz .LBB7_1758
.LBB7_3808:
	v_mov_b32_e32 v3, 0
	v_cmp_ne_u16_sdwa s[8:9], v4, v3 src0_sel:BYTE_3 src1_sel:DWORD
	s_andn2_b64 s[4:5], s[4:5], exec
	s_and_b64 s[8:9], s[8:9], exec
	s_or_b64 s[4:5], s[4:5], s[8:9]
	s_or_b64 exec, exec, s[6:7]
	s_and_saveexec_b64 s[6:7], s[4:5]
	s_cbranch_execnz .LBB7_1759
	s_branch .LBB7_1760
.LBB7_3809:
	s_movk_i32 s4, 0x80
	v_cmp_eq_u16_sdwa s[12:13], v9, s4 src0_sel:BYTE_0 src1_sel:DWORD
	s_mov_b64 s[4:5], -1
                                        ; implicit-def: $sgpr10
	s_and_saveexec_b64 s[8:9], s[12:13]
; %bb.3810:
	s_mov_b32 s10, 0x7f800001
	s_xor_b64 s[4:5], exec, -1
; %bb.3811:
	s_or_b64 exec, exec, s[8:9]
	s_and_b64 s[4:5], s[4:5], exec
	s_or_saveexec_b64 s[6:7], s[6:7]
	v_mov_b32_e32 v2, s10
	s_xor_b64 exec, exec, s[6:7]
	s_cbranch_execz .LBB7_1762
.LBB7_3812:
	v_mov_b32_e32 v2, 0
	v_cmp_ne_u16_sdwa s[8:9], v9, v2 src0_sel:BYTE_0 src1_sel:DWORD
	s_andn2_b64 s[4:5], s[4:5], exec
	s_and_b64 s[8:9], s[8:9], exec
	s_or_b64 s[4:5], s[4:5], s[8:9]
	s_or_b64 exec, exec, s[6:7]
	s_and_saveexec_b64 s[6:7], s[4:5]
	s_cbranch_execnz .LBB7_1763
	s_branch .LBB7_1764
.LBB7_3813:
	s_movk_i32 s4, 0x80
	v_cmp_eq_u16_sdwa s[12:13], v5, s4 src0_sel:BYTE_0 src1_sel:DWORD
	s_mov_b64 s[4:5], -1
                                        ; implicit-def: $sgpr10
	s_and_saveexec_b64 s[8:9], s[12:13]
; %bb.3814:
	s_mov_b32 s10, 0x7f800001
	s_xor_b64 s[4:5], exec, -1
; %bb.3815:
	s_or_b64 exec, exec, s[8:9]
	s_and_b64 s[4:5], s[4:5], exec
	s_or_saveexec_b64 s[6:7], s[6:7]
	v_mov_b32_e32 v3, s10
	s_xor_b64 exec, exec, s[6:7]
	s_cbranch_execz .LBB7_1766
.LBB7_3816:
	v_mov_b32_e32 v3, 0
	v_cmp_ne_u16_sdwa s[8:9], v5, v3 src0_sel:BYTE_0 src1_sel:DWORD
	s_andn2_b64 s[4:5], s[4:5], exec
	s_and_b64 s[8:9], s[8:9], exec
	s_or_b64 s[4:5], s[4:5], s[8:9]
	s_or_b64 exec, exec, s[6:7]
	s_and_saveexec_b64 s[6:7], s[4:5]
	s_cbranch_execnz .LBB7_1767
	s_branch .LBB7_1768
.LBB7_3817:
	s_movk_i32 s4, 0x80
	v_cmp_eq_u16_sdwa s[12:13], v3, s4 src0_sel:BYTE_0 src1_sel:DWORD
	s_mov_b64 s[4:5], -1
                                        ; implicit-def: $sgpr10
	s_and_saveexec_b64 s[8:9], s[12:13]
; %bb.3818:
	s_mov_b32 s10, 0x7f800001
	s_xor_b64 s[4:5], exec, -1
; %bb.3819:
	s_or_b64 exec, exec, s[8:9]
	s_and_b64 s[4:5], s[4:5], exec
	s_or_saveexec_b64 s[6:7], s[6:7]
	v_mov_b32_e32 v2, s10
	s_xor_b64 exec, exec, s[6:7]
	s_cbranch_execz .LBB7_1770
.LBB7_3820:
	v_mov_b32_e32 v2, 0
	v_cmp_ne_u16_sdwa s[8:9], v3, v2 src0_sel:BYTE_0 src1_sel:DWORD
	s_andn2_b64 s[4:5], s[4:5], exec
	s_and_b64 s[8:9], s[8:9], exec
	s_or_b64 s[4:5], s[4:5], s[8:9]
	s_or_b64 exec, exec, s[6:7]
	s_and_saveexec_b64 s[6:7], s[4:5]
	s_cbranch_execnz .LBB7_1771
	s_branch .LBB7_1772
.LBB7_3821:
	s_movk_i32 s4, 0x80
	v_cmp_eq_u16_sdwa s[12:13], v3, s4 src0_sel:BYTE_0 src1_sel:DWORD
	s_mov_b64 s[4:5], -1
                                        ; implicit-def: $sgpr10
	s_and_saveexec_b64 s[8:9], s[12:13]
; %bb.3822:
	s_mov_b32 s10, 0x7f800001
	s_xor_b64 s[4:5], exec, -1
; %bb.3823:
	s_or_b64 exec, exec, s[8:9]
	s_and_b64 s[4:5], s[4:5], exec
	s_or_saveexec_b64 s[6:7], s[6:7]
	v_mov_b32_e32 v4, s10
	s_xor_b64 exec, exec, s[6:7]
	s_cbranch_execz .LBB7_1774
.LBB7_3824:
	v_mov_b32_e32 v4, 0
	v_cmp_ne_u16_sdwa s[8:9], v3, v4 src0_sel:BYTE_0 src1_sel:DWORD
	s_andn2_b64 s[4:5], s[4:5], exec
	s_and_b64 s[8:9], s[8:9], exec
	s_or_b64 s[4:5], s[4:5], s[8:9]
	s_or_b64 exec, exec, s[6:7]
	s_and_saveexec_b64 s[6:7], s[4:5]
	s_cbranch_execnz .LBB7_1775
	s_branch .LBB7_1776
.LBB7_3825:
	s_movk_i32 s4, 0x80
	v_cmp_eq_u16_e32 vcc, s4, v3
	s_mov_b64 s[4:5], -1
                                        ; implicit-def: $sgpr10
	s_and_saveexec_b64 s[8:9], vcc
; %bb.3826:
	s_mov_b32 s10, 0x7f800001
	s_xor_b64 s[4:5], exec, -1
; %bb.3827:
	s_or_b64 exec, exec, s[8:9]
	s_and_b64 s[4:5], s[4:5], exec
                                        ; implicit-def: $vgpr3
	s_or_saveexec_b64 s[6:7], s[6:7]
	v_mov_b32_e32 v2, s10
	s_xor_b64 exec, exec, s[6:7]
	s_cbranch_execz .LBB7_1778
.LBB7_3828:
	v_cmp_ne_u16_e32 vcc, 0, v3
	s_andn2_b64 s[4:5], s[4:5], exec
	s_and_b64 s[8:9], vcc, exec
	v_mov_b32_e32 v2, 0
	s_or_b64 s[4:5], s[4:5], s[8:9]
	s_or_b64 exec, exec, s[6:7]
	s_and_saveexec_b64 s[6:7], s[4:5]
	s_cbranch_execnz .LBB7_1779
	s_branch .LBB7_1780
.LBB7_3829:
	s_movk_i32 s4, 0x80
	v_cmp_eq_u16_e32 vcc, s4, v3
	s_mov_b64 s[4:5], -1
                                        ; implicit-def: $sgpr10
	s_and_saveexec_b64 s[8:9], vcc
; %bb.3830:
	s_mov_b32 s10, 0x7f800001
	s_xor_b64 s[4:5], exec, -1
; %bb.3831:
	s_or_b64 exec, exec, s[8:9]
	s_and_b64 s[4:5], s[4:5], exec
                                        ; implicit-def: $vgpr3
	s_or_saveexec_b64 s[6:7], s[6:7]
	v_mov_b32_e32 v4, s10
	s_xor_b64 exec, exec, s[6:7]
	s_cbranch_execz .LBB7_1782
.LBB7_3832:
	v_cmp_ne_u16_e32 vcc, 0, v3
	s_andn2_b64 s[4:5], s[4:5], exec
	s_and_b64 s[8:9], vcc, exec
	v_mov_b32_e32 v4, 0
	s_or_b64 s[4:5], s[4:5], s[8:9]
	s_or_b64 exec, exec, s[6:7]
	s_and_saveexec_b64 s[6:7], s[4:5]
	s_cbranch_execnz .LBB7_1783
	s_branch .LBB7_1784
.LBB7_3833:
	s_movk_i32 s4, 0x80
	v_cmp_eq_u16_sdwa s[12:13], v9, s4 src0_sel:BYTE_3 src1_sel:DWORD
	s_mov_b64 s[4:5], -1
                                        ; implicit-def: $sgpr10
	s_and_saveexec_b64 s[8:9], s[12:13]
; %bb.3834:
	s_mov_b32 s10, 0x7f800001
	s_xor_b64 s[4:5], exec, -1
; %bb.3835:
	s_or_b64 exec, exec, s[8:9]
	s_and_b64 s[4:5], s[4:5], exec
	s_or_saveexec_b64 s[6:7], s[6:7]
	v_mov_b32_e32 v2, s10
	s_xor_b64 exec, exec, s[6:7]
	s_cbranch_execz .LBB7_1786
.LBB7_3836:
	v_mov_b32_e32 v2, 0
	v_cmp_ne_u16_sdwa s[8:9], v9, v2 src0_sel:BYTE_3 src1_sel:DWORD
	s_andn2_b64 s[4:5], s[4:5], exec
	s_and_b64 s[8:9], s[8:9], exec
	s_or_b64 s[4:5], s[4:5], s[8:9]
	s_or_b64 exec, exec, s[6:7]
	s_and_saveexec_b64 s[6:7], s[4:5]
	s_cbranch_execnz .LBB7_1787
	s_branch .LBB7_1788
.LBB7_3837:
	s_movk_i32 s4, 0x80
	v_cmp_eq_u16_sdwa s[12:13], v5, s4 src0_sel:BYTE_3 src1_sel:DWORD
	s_mov_b64 s[4:5], -1
                                        ; implicit-def: $sgpr10
	s_and_saveexec_b64 s[8:9], s[12:13]
; %bb.3838:
	s_mov_b32 s10, 0x7f800001
	s_xor_b64 s[4:5], exec, -1
; %bb.3839:
	s_or_b64 exec, exec, s[8:9]
	s_and_b64 s[4:5], s[4:5], exec
	s_or_saveexec_b64 s[6:7], s[6:7]
	v_mov_b32_e32 v3, s10
	s_xor_b64 exec, exec, s[6:7]
	s_cbranch_execz .LBB7_1790
.LBB7_3840:
	v_mov_b32_e32 v3, 0
	v_cmp_ne_u16_sdwa s[8:9], v5, v3 src0_sel:BYTE_3 src1_sel:DWORD
	s_andn2_b64 s[4:5], s[4:5], exec
	s_and_b64 s[8:9], s[8:9], exec
	s_or_b64 s[4:5], s[4:5], s[8:9]
	s_or_b64 exec, exec, s[6:7]
	s_and_saveexec_b64 s[6:7], s[4:5]
	s_cbranch_execnz .LBB7_1791
	s_branch .LBB7_1792
.LBB7_3841:
	s_movk_i32 s4, 0x80
	v_cmp_eq_u16_sdwa s[12:13], v12, s4 src0_sel:BYTE_0 src1_sel:DWORD
	s_mov_b64 s[4:5], -1
                                        ; implicit-def: $sgpr10
	s_and_saveexec_b64 s[8:9], s[12:13]
; %bb.3842:
	s_mov_b32 s10, 0x7f800001
	s_xor_b64 s[4:5], exec, -1
; %bb.3843:
	s_or_b64 exec, exec, s[8:9]
	s_and_b64 s[4:5], s[4:5], exec
	s_or_saveexec_b64 s[6:7], s[6:7]
	v_mov_b32_e32 v18, s10
	s_xor_b64 exec, exec, s[6:7]
	s_cbranch_execz .LBB7_1794
.LBB7_3844:
	v_mov_b32_e32 v18, 0
	v_cmp_ne_u16_sdwa s[8:9], v12, v18 src0_sel:BYTE_0 src1_sel:DWORD
	s_andn2_b64 s[4:5], s[4:5], exec
	s_and_b64 s[8:9], s[8:9], exec
	s_or_b64 s[4:5], s[4:5], s[8:9]
	s_or_b64 exec, exec, s[6:7]
	s_and_saveexec_b64 s[6:7], s[4:5]
	s_cbranch_execnz .LBB7_1795
	s_branch .LBB7_1796
.LBB7_3845:
	s_movk_i32 s4, 0x80
	v_cmp_eq_u16_sdwa s[12:13], v8, s4 src0_sel:BYTE_0 src1_sel:DWORD
	s_mov_b64 s[4:5], -1
                                        ; implicit-def: $sgpr10
	s_and_saveexec_b64 s[8:9], s[12:13]
; %bb.3846:
	s_mov_b32 s10, 0x7f800001
	s_xor_b64 s[4:5], exec, -1
; %bb.3847:
	s_or_b64 exec, exec, s[8:9]
	s_and_b64 s[4:5], s[4:5], exec
	s_or_saveexec_b64 s[6:7], s[6:7]
	v_mov_b32_e32 v19, s10
	s_xor_b64 exec, exec, s[6:7]
	s_cbranch_execz .LBB7_1798
.LBB7_3848:
	v_mov_b32_e32 v19, 0
	v_cmp_ne_u16_sdwa s[8:9], v8, v19 src0_sel:BYTE_0 src1_sel:DWORD
	s_andn2_b64 s[4:5], s[4:5], exec
	s_and_b64 s[8:9], s[8:9], exec
	s_or_b64 s[4:5], s[4:5], s[8:9]
	s_or_b64 exec, exec, s[6:7]
	s_and_saveexec_b64 s[6:7], s[4:5]
	s_cbranch_execnz .LBB7_1799
	s_branch .LBB7_1800
.LBB7_3849:
	s_movk_i32 s4, 0x80
	v_cmp_eq_u16_sdwa s[12:13], v19, s4 src0_sel:BYTE_0 src1_sel:DWORD
	s_mov_b64 s[4:5], -1
                                        ; implicit-def: $sgpr10
	s_and_saveexec_b64 s[8:9], s[12:13]
; %bb.3850:
	s_mov_b32 s10, 0x7f800001
	s_xor_b64 s[4:5], exec, -1
; %bb.3851:
	s_or_b64 exec, exec, s[8:9]
	s_and_b64 s[4:5], s[4:5], exec
	s_or_saveexec_b64 s[6:7], s[6:7]
	v_mov_b32_e32 v18, s10
	s_xor_b64 exec, exec, s[6:7]
	s_cbranch_execz .LBB7_1802
.LBB7_3852:
	v_mov_b32_e32 v18, 0
	v_cmp_ne_u16_sdwa s[8:9], v19, v18 src0_sel:BYTE_0 src1_sel:DWORD
	s_andn2_b64 s[4:5], s[4:5], exec
	s_and_b64 s[8:9], s[8:9], exec
	s_or_b64 s[4:5], s[4:5], s[8:9]
	s_or_b64 exec, exec, s[6:7]
	s_and_saveexec_b64 s[6:7], s[4:5]
	s_cbranch_execnz .LBB7_1803
	s_branch .LBB7_1804
.LBB7_3853:
	s_movk_i32 s4, 0x80
	v_cmp_eq_u16_sdwa s[12:13], v19, s4 src0_sel:BYTE_0 src1_sel:DWORD
	s_mov_b64 s[4:5], -1
                                        ; implicit-def: $sgpr10
	s_and_saveexec_b64 s[8:9], s[12:13]
; %bb.3854:
	s_mov_b32 s10, 0x7f800001
	s_xor_b64 s[4:5], exec, -1
; %bb.3855:
	s_or_b64 exec, exec, s[8:9]
	s_and_b64 s[4:5], s[4:5], exec
	s_or_saveexec_b64 s[6:7], s[6:7]
	v_mov_b32_e32 v20, s10
	s_xor_b64 exec, exec, s[6:7]
	s_cbranch_execz .LBB7_1806
.LBB7_3856:
	v_mov_b32_e32 v20, 0
	v_cmp_ne_u16_sdwa s[8:9], v19, v20 src0_sel:BYTE_0 src1_sel:DWORD
	s_andn2_b64 s[4:5], s[4:5], exec
	s_and_b64 s[8:9], s[8:9], exec
	s_or_b64 s[4:5], s[4:5], s[8:9]
	s_or_b64 exec, exec, s[6:7]
	s_and_saveexec_b64 s[6:7], s[4:5]
	s_cbranch_execnz .LBB7_1807
	s_branch .LBB7_1808
.LBB7_3857:
	s_movk_i32 s4, 0x80
	v_cmp_eq_u16_e32 vcc, s4, v19
	s_mov_b64 s[4:5], -1
                                        ; implicit-def: $sgpr10
	s_and_saveexec_b64 s[8:9], vcc
; %bb.3858:
	s_mov_b32 s10, 0x7f800001
	s_xor_b64 s[4:5], exec, -1
; %bb.3859:
	s_or_b64 exec, exec, s[8:9]
	s_and_b64 s[4:5], s[4:5], exec
                                        ; implicit-def: $vgpr19
	s_or_saveexec_b64 s[6:7], s[6:7]
	v_mov_b32_e32 v18, s10
	s_xor_b64 exec, exec, s[6:7]
	s_cbranch_execz .LBB7_1810
.LBB7_3860:
	v_cmp_ne_u16_e32 vcc, 0, v19
	s_andn2_b64 s[4:5], s[4:5], exec
	s_and_b64 s[8:9], vcc, exec
	v_mov_b32_e32 v18, 0
	s_or_b64 s[4:5], s[4:5], s[8:9]
	s_or_b64 exec, exec, s[6:7]
	s_and_saveexec_b64 s[6:7], s[4:5]
	s_cbranch_execnz .LBB7_1811
	s_branch .LBB7_1812
.LBB7_3861:
	s_movk_i32 s4, 0x80
	v_cmp_eq_u16_e32 vcc, s4, v19
	s_mov_b64 s[4:5], -1
                                        ; implicit-def: $sgpr10
	s_and_saveexec_b64 s[8:9], vcc
; %bb.3862:
	s_mov_b32 s10, 0x7f800001
	s_xor_b64 s[4:5], exec, -1
; %bb.3863:
	s_or_b64 exec, exec, s[8:9]
	s_and_b64 s[4:5], s[4:5], exec
                                        ; implicit-def: $vgpr19
	s_or_saveexec_b64 s[6:7], s[6:7]
	v_mov_b32_e32 v20, s10
	s_xor_b64 exec, exec, s[6:7]
	s_cbranch_execz .LBB7_1814
.LBB7_3864:
	v_cmp_ne_u16_e32 vcc, 0, v19
	s_andn2_b64 s[4:5], s[4:5], exec
	s_and_b64 s[8:9], vcc, exec
	v_mov_b32_e32 v20, 0
	s_or_b64 s[4:5], s[4:5], s[8:9]
	s_or_b64 exec, exec, s[6:7]
	s_and_saveexec_b64 s[6:7], s[4:5]
	s_cbranch_execnz .LBB7_1815
	s_branch .LBB7_1816
.LBB7_3865:
	s_movk_i32 s4, 0x80
	v_cmp_eq_u16_sdwa s[12:13], v12, s4 src0_sel:BYTE_3 src1_sel:DWORD
	s_mov_b64 s[4:5], -1
                                        ; implicit-def: $sgpr10
	s_and_saveexec_b64 s[8:9], s[12:13]
; %bb.3866:
	s_mov_b32 s10, 0x7f800001
	s_xor_b64 s[4:5], exec, -1
; %bb.3867:
	s_or_b64 exec, exec, s[8:9]
	s_and_b64 s[4:5], s[4:5], exec
	s_or_saveexec_b64 s[6:7], s[6:7]
	v_mov_b32_e32 v18, s10
	s_xor_b64 exec, exec, s[6:7]
	s_cbranch_execz .LBB7_1818
.LBB7_3868:
	v_mov_b32_e32 v18, 0
	v_cmp_ne_u16_sdwa s[8:9], v12, v18 src0_sel:BYTE_3 src1_sel:DWORD
	s_andn2_b64 s[4:5], s[4:5], exec
	s_and_b64 s[8:9], s[8:9], exec
	s_or_b64 s[4:5], s[4:5], s[8:9]
	s_or_b64 exec, exec, s[6:7]
	s_and_saveexec_b64 s[6:7], s[4:5]
	s_cbranch_execnz .LBB7_1819
	s_branch .LBB7_1820
.LBB7_3869:
	s_movk_i32 s4, 0x80
	v_cmp_eq_u16_sdwa s[12:13], v8, s4 src0_sel:BYTE_3 src1_sel:DWORD
	s_mov_b64 s[4:5], -1
                                        ; implicit-def: $sgpr10
	s_and_saveexec_b64 s[8:9], s[12:13]
; %bb.3870:
	s_mov_b32 s10, 0x7f800001
	s_xor_b64 s[4:5], exec, -1
; %bb.3871:
	s_or_b64 exec, exec, s[8:9]
	s_and_b64 s[4:5], s[4:5], exec
	s_or_saveexec_b64 s[6:7], s[6:7]
	v_mov_b32_e32 v12, s10
	s_xor_b64 exec, exec, s[6:7]
	s_cbranch_execz .LBB7_1822
.LBB7_3872:
	v_mov_b32_e32 v12, 0
	v_cmp_ne_u16_sdwa s[8:9], v8, v12 src0_sel:BYTE_3 src1_sel:DWORD
	s_andn2_b64 s[4:5], s[4:5], exec
	s_and_b64 s[8:9], s[8:9], exec
	s_or_b64 s[4:5], s[4:5], s[8:9]
	s_or_b64 exec, exec, s[6:7]
	s_and_saveexec_b64 s[6:7], s[4:5]
	s_cbranch_execnz .LBB7_1823
	s_branch .LBB7_1824
.LBB7_3873:
	s_movk_i32 s4, 0x80
	v_cmp_eq_u16_sdwa s[12:13], v13, s4 src0_sel:BYTE_0 src1_sel:DWORD
	s_mov_b64 s[4:5], -1
                                        ; implicit-def: $sgpr10
	s_and_saveexec_b64 s[8:9], s[12:13]
; %bb.3874:
	s_mov_b32 s10, 0x7f800001
	s_xor_b64 s[4:5], exec, -1
; %bb.3875:
	s_or_b64 exec, exec, s[8:9]
	s_and_b64 s[4:5], s[4:5], exec
	s_or_saveexec_b64 s[6:7], s[6:7]
	v_mov_b32_e32 v8, s10
	s_xor_b64 exec, exec, s[6:7]
	s_cbranch_execz .LBB7_1826
.LBB7_3876:
	v_mov_b32_e32 v8, 0
	v_cmp_ne_u16_sdwa s[8:9], v13, v8 src0_sel:BYTE_0 src1_sel:DWORD
	s_andn2_b64 s[4:5], s[4:5], exec
	s_and_b64 s[8:9], s[8:9], exec
	s_or_b64 s[4:5], s[4:5], s[8:9]
	s_or_b64 exec, exec, s[6:7]
	s_and_saveexec_b64 s[6:7], s[4:5]
	s_cbranch_execnz .LBB7_1827
	s_branch .LBB7_1828
.LBB7_3877:
	s_movk_i32 s4, 0x80
	v_cmp_eq_u16_sdwa s[12:13], v9, s4 src0_sel:BYTE_0 src1_sel:DWORD
	s_mov_b64 s[4:5], -1
                                        ; implicit-def: $sgpr10
	s_and_saveexec_b64 s[8:9], s[12:13]
; %bb.3878:
	s_mov_b32 s10, 0x7f800001
	s_xor_b64 s[4:5], exec, -1
; %bb.3879:
	s_or_b64 exec, exec, s[8:9]
	s_and_b64 s[4:5], s[4:5], exec
	s_or_saveexec_b64 s[6:7], s[6:7]
	v_mov_b32_e32 v12, s10
	s_xor_b64 exec, exec, s[6:7]
	s_cbranch_execz .LBB7_1830
.LBB7_3880:
	v_mov_b32_e32 v12, 0
	v_cmp_ne_u16_sdwa s[8:9], v9, v12 src0_sel:BYTE_0 src1_sel:DWORD
	s_andn2_b64 s[4:5], s[4:5], exec
	s_and_b64 s[8:9], s[8:9], exec
	s_or_b64 s[4:5], s[4:5], s[8:9]
	s_or_b64 exec, exec, s[6:7]
	s_and_saveexec_b64 s[6:7], s[4:5]
	s_cbranch_execnz .LBB7_1831
	s_branch .LBB7_1832
.LBB7_3881:
	s_movk_i32 s4, 0x80
	v_cmp_eq_u16_sdwa s[12:13], v12, s4 src0_sel:BYTE_0 src1_sel:DWORD
	s_mov_b64 s[4:5], -1
                                        ; implicit-def: $sgpr10
	s_and_saveexec_b64 s[8:9], s[12:13]
; %bb.3882:
	s_mov_b32 s10, 0x7f800001
	s_xor_b64 s[4:5], exec, -1
; %bb.3883:
	s_or_b64 exec, exec, s[8:9]
	s_and_b64 s[4:5], s[4:5], exec
	s_or_saveexec_b64 s[6:7], s[6:7]
	v_mov_b32_e32 v8, s10
	s_xor_b64 exec, exec, s[6:7]
	s_cbranch_execz .LBB7_1834
.LBB7_3884:
	v_mov_b32_e32 v8, 0
	v_cmp_ne_u16_sdwa s[8:9], v12, v8 src0_sel:BYTE_0 src1_sel:DWORD
	s_andn2_b64 s[4:5], s[4:5], exec
	s_and_b64 s[8:9], s[8:9], exec
	s_or_b64 s[4:5], s[4:5], s[8:9]
	s_or_b64 exec, exec, s[6:7]
	s_and_saveexec_b64 s[6:7], s[4:5]
	s_cbranch_execnz .LBB7_1835
	s_branch .LBB7_1836
.LBB7_3885:
	s_movk_i32 s4, 0x80
	v_cmp_eq_u16_sdwa s[12:13], v12, s4 src0_sel:BYTE_0 src1_sel:DWORD
	s_mov_b64 s[4:5], -1
                                        ; implicit-def: $sgpr10
	s_and_saveexec_b64 s[8:9], s[12:13]
; %bb.3886:
	s_mov_b32 s10, 0x7f800001
	s_xor_b64 s[4:5], exec, -1
; %bb.3887:
	s_or_b64 exec, exec, s[8:9]
	s_and_b64 s[4:5], s[4:5], exec
	s_or_saveexec_b64 s[6:7], s[6:7]
	v_mov_b32_e32 v18, s10
	s_xor_b64 exec, exec, s[6:7]
	s_cbranch_execz .LBB7_1838
.LBB7_3888:
	v_mov_b32_e32 v18, 0
	v_cmp_ne_u16_sdwa s[8:9], v12, v18 src0_sel:BYTE_0 src1_sel:DWORD
	s_andn2_b64 s[4:5], s[4:5], exec
	s_and_b64 s[8:9], s[8:9], exec
	s_or_b64 s[4:5], s[4:5], s[8:9]
	s_or_b64 exec, exec, s[6:7]
	s_and_saveexec_b64 s[6:7], s[4:5]
	s_cbranch_execnz .LBB7_1839
	s_branch .LBB7_1840
.LBB7_3889:
	s_movk_i32 s4, 0x80
	v_cmp_eq_u16_e32 vcc, s4, v12
	s_mov_b64 s[4:5], -1
                                        ; implicit-def: $sgpr10
	s_and_saveexec_b64 s[8:9], vcc
; %bb.3890:
	s_mov_b32 s10, 0x7f800001
	s_xor_b64 s[4:5], exec, -1
; %bb.3891:
	s_or_b64 exec, exec, s[8:9]
	s_and_b64 s[4:5], s[4:5], exec
                                        ; implicit-def: $vgpr12
	s_or_saveexec_b64 s[6:7], s[6:7]
	v_mov_b32_e32 v8, s10
	s_xor_b64 exec, exec, s[6:7]
	s_cbranch_execz .LBB7_1842
.LBB7_3892:
	v_cmp_ne_u16_e32 vcc, 0, v12
	s_andn2_b64 s[4:5], s[4:5], exec
	s_and_b64 s[8:9], vcc, exec
	v_mov_b32_e32 v8, 0
	s_or_b64 s[4:5], s[4:5], s[8:9]
	s_or_b64 exec, exec, s[6:7]
	s_and_saveexec_b64 s[6:7], s[4:5]
	s_cbranch_execnz .LBB7_1843
	s_branch .LBB7_1844
.LBB7_3893:
	s_movk_i32 s4, 0x80
	v_cmp_eq_u16_e32 vcc, s4, v12
	s_mov_b64 s[4:5], -1
                                        ; implicit-def: $sgpr10
	s_and_saveexec_b64 s[8:9], vcc
; %bb.3894:
	s_mov_b32 s10, 0x7f800001
	s_xor_b64 s[4:5], exec, -1
; %bb.3895:
	s_or_b64 exec, exec, s[8:9]
	s_and_b64 s[4:5], s[4:5], exec
                                        ; implicit-def: $vgpr12
	s_or_saveexec_b64 s[6:7], s[6:7]
	v_mov_b32_e32 v18, s10
	s_xor_b64 exec, exec, s[6:7]
	s_cbranch_execz .LBB7_1846
.LBB7_3896:
	v_cmp_ne_u16_e32 vcc, 0, v12
	s_andn2_b64 s[4:5], s[4:5], exec
	s_and_b64 s[8:9], vcc, exec
	v_mov_b32_e32 v18, 0
	s_or_b64 s[4:5], s[4:5], s[8:9]
	s_or_b64 exec, exec, s[6:7]
	s_and_saveexec_b64 s[6:7], s[4:5]
	s_cbranch_execnz .LBB7_1847
	s_branch .LBB7_1848
.LBB7_3897:
	s_movk_i32 s4, 0x80
	v_cmp_eq_u16_sdwa s[12:13], v13, s4 src0_sel:BYTE_3 src1_sel:DWORD
	s_mov_b64 s[4:5], -1
                                        ; implicit-def: $sgpr10
	s_and_saveexec_b64 s[8:9], s[12:13]
; %bb.3898:
	s_mov_b32 s10, 0x7f800001
	s_xor_b64 s[4:5], exec, -1
; %bb.3899:
	s_or_b64 exec, exec, s[8:9]
	s_and_b64 s[4:5], s[4:5], exec
	s_or_saveexec_b64 s[6:7], s[6:7]
	v_mov_b32_e32 v8, s10
	s_xor_b64 exec, exec, s[6:7]
	s_cbranch_execz .LBB7_1850
.LBB7_3900:
	v_mov_b32_e32 v8, 0
	v_cmp_ne_u16_sdwa s[8:9], v13, v8 src0_sel:BYTE_3 src1_sel:DWORD
	s_andn2_b64 s[4:5], s[4:5], exec
	s_and_b64 s[8:9], s[8:9], exec
	s_or_b64 s[4:5], s[4:5], s[8:9]
	s_or_b64 exec, exec, s[6:7]
	s_and_saveexec_b64 s[6:7], s[4:5]
	s_cbranch_execnz .LBB7_1851
	s_branch .LBB7_1852
.LBB7_3901:
	s_movk_i32 s4, 0x80
	v_cmp_eq_u16_sdwa s[12:13], v9, s4 src0_sel:BYTE_3 src1_sel:DWORD
	s_mov_b64 s[4:5], -1
                                        ; implicit-def: $sgpr10
	s_and_saveexec_b64 s[8:9], s[12:13]
; %bb.3902:
	s_mov_b32 s10, 0x7f800001
	s_xor_b64 s[4:5], exec, -1
; %bb.3903:
	s_or_b64 exec, exec, s[8:9]
	s_and_b64 s[4:5], s[4:5], exec
	s_or_saveexec_b64 s[6:7], s[6:7]
	v_mov_b32_e32 v12, s10
	s_xor_b64 exec, exec, s[6:7]
	s_cbranch_execz .LBB7_1854
.LBB7_3904:
	v_mov_b32_e32 v12, 0
	v_cmp_ne_u16_sdwa s[8:9], v9, v12 src0_sel:BYTE_3 src1_sel:DWORD
	s_andn2_b64 s[4:5], s[4:5], exec
	s_and_b64 s[8:9], s[8:9], exec
	s_or_b64 s[4:5], s[4:5], s[8:9]
	s_or_b64 exec, exec, s[6:7]
	s_and_saveexec_b64 s[6:7], s[4:5]
	s_cbranch_execnz .LBB7_1855
	s_branch .LBB7_1856
.LBB7_3905:
	s_movk_i32 s4, 0x80
	v_cmp_eq_u16_sdwa s[12:13], v14, s4 src0_sel:BYTE_0 src1_sel:DWORD
	s_mov_b64 s[4:5], -1
                                        ; implicit-def: $sgpr10
	s_and_saveexec_b64 s[8:9], s[12:13]
; %bb.3906:
	s_mov_b32 s10, 0x7f800001
	s_xor_b64 s[4:5], exec, -1
; %bb.3907:
	s_or_b64 exec, exec, s[8:9]
	s_and_b64 s[4:5], s[4:5], exec
	s_or_saveexec_b64 s[6:7], s[6:7]
	v_mov_b32_e32 v8, s10
	s_xor_b64 exec, exec, s[6:7]
	s_cbranch_execz .LBB7_1858
.LBB7_3908:
	v_mov_b32_e32 v8, 0
	v_cmp_ne_u16_sdwa s[8:9], v14, v8 src0_sel:BYTE_0 src1_sel:DWORD
	s_andn2_b64 s[4:5], s[4:5], exec
	s_and_b64 s[8:9], s[8:9], exec
	s_or_b64 s[4:5], s[4:5], s[8:9]
	s_or_b64 exec, exec, s[6:7]
	s_and_saveexec_b64 s[6:7], s[4:5]
	s_cbranch_execnz .LBB7_1859
	s_branch .LBB7_1860
.LBB7_3909:
	s_movk_i32 s4, 0x80
	v_cmp_eq_u16_sdwa s[12:13], v10, s4 src0_sel:BYTE_0 src1_sel:DWORD
	s_mov_b64 s[4:5], -1
                                        ; implicit-def: $sgpr10
	s_and_saveexec_b64 s[8:9], s[12:13]
; %bb.3910:
	s_mov_b32 s10, 0x7f800001
	s_xor_b64 s[4:5], exec, -1
; %bb.3911:
	s_or_b64 exec, exec, s[8:9]
	s_and_b64 s[4:5], s[4:5], exec
	s_or_saveexec_b64 s[6:7], s[6:7]
	v_mov_b32_e32 v9, s10
	s_xor_b64 exec, exec, s[6:7]
	s_cbranch_execz .LBB7_1862
.LBB7_3912:
	v_mov_b32_e32 v9, 0
	v_cmp_ne_u16_sdwa s[8:9], v10, v9 src0_sel:BYTE_0 src1_sel:DWORD
	s_andn2_b64 s[4:5], s[4:5], exec
	s_and_b64 s[8:9], s[8:9], exec
	s_or_b64 s[4:5], s[4:5], s[8:9]
	s_or_b64 exec, exec, s[6:7]
	s_and_saveexec_b64 s[6:7], s[4:5]
	s_cbranch_execnz .LBB7_1863
	s_branch .LBB7_1864
.LBB7_3913:
	s_movk_i32 s4, 0x80
	v_cmp_eq_u16_sdwa s[12:13], v9, s4 src0_sel:BYTE_0 src1_sel:DWORD
	s_mov_b64 s[4:5], -1
                                        ; implicit-def: $sgpr10
	s_and_saveexec_b64 s[8:9], s[12:13]
; %bb.3914:
	s_mov_b32 s10, 0x7f800001
	s_xor_b64 s[4:5], exec, -1
; %bb.3915:
	s_or_b64 exec, exec, s[8:9]
	s_and_b64 s[4:5], s[4:5], exec
	s_or_saveexec_b64 s[6:7], s[6:7]
	v_mov_b32_e32 v8, s10
	s_xor_b64 exec, exec, s[6:7]
	s_cbranch_execz .LBB7_1866
.LBB7_3916:
	v_mov_b32_e32 v8, 0
	v_cmp_ne_u16_sdwa s[8:9], v9, v8 src0_sel:BYTE_0 src1_sel:DWORD
	s_andn2_b64 s[4:5], s[4:5], exec
	s_and_b64 s[8:9], s[8:9], exec
	s_or_b64 s[4:5], s[4:5], s[8:9]
	s_or_b64 exec, exec, s[6:7]
	s_and_saveexec_b64 s[6:7], s[4:5]
	s_cbranch_execnz .LBB7_1867
	s_branch .LBB7_1868
.LBB7_3917:
	s_movk_i32 s4, 0x80
	v_cmp_eq_u16_sdwa s[12:13], v9, s4 src0_sel:BYTE_0 src1_sel:DWORD
	s_mov_b64 s[4:5], -1
                                        ; implicit-def: $sgpr10
	s_and_saveexec_b64 s[8:9], s[12:13]
; %bb.3918:
	s_mov_b32 s10, 0x7f800001
	s_xor_b64 s[4:5], exec, -1
; %bb.3919:
	s_or_b64 exec, exec, s[8:9]
	s_and_b64 s[4:5], s[4:5], exec
	s_or_saveexec_b64 s[6:7], s[6:7]
	v_mov_b32_e32 v12, s10
	s_xor_b64 exec, exec, s[6:7]
	s_cbranch_execz .LBB7_1870
.LBB7_3920:
	v_mov_b32_e32 v12, 0
	v_cmp_ne_u16_sdwa s[8:9], v9, v12 src0_sel:BYTE_0 src1_sel:DWORD
	s_andn2_b64 s[4:5], s[4:5], exec
	s_and_b64 s[8:9], s[8:9], exec
	s_or_b64 s[4:5], s[4:5], s[8:9]
	s_or_b64 exec, exec, s[6:7]
	s_and_saveexec_b64 s[6:7], s[4:5]
	s_cbranch_execnz .LBB7_1871
	s_branch .LBB7_1872
.LBB7_3921:
	s_movk_i32 s4, 0x80
	v_cmp_eq_u16_e32 vcc, s4, v9
	s_mov_b64 s[4:5], -1
                                        ; implicit-def: $sgpr10
	s_and_saveexec_b64 s[8:9], vcc
; %bb.3922:
	s_mov_b32 s10, 0x7f800001
	s_xor_b64 s[4:5], exec, -1
; %bb.3923:
	s_or_b64 exec, exec, s[8:9]
	s_and_b64 s[4:5], s[4:5], exec
                                        ; implicit-def: $vgpr9
	s_or_saveexec_b64 s[6:7], s[6:7]
	v_mov_b32_e32 v8, s10
	s_xor_b64 exec, exec, s[6:7]
	s_cbranch_execz .LBB7_1874
.LBB7_3924:
	v_cmp_ne_u16_e32 vcc, 0, v9
	s_andn2_b64 s[4:5], s[4:5], exec
	s_and_b64 s[8:9], vcc, exec
	v_mov_b32_e32 v8, 0
	s_or_b64 s[4:5], s[4:5], s[8:9]
	s_or_b64 exec, exec, s[6:7]
	s_and_saveexec_b64 s[6:7], s[4:5]
	s_cbranch_execnz .LBB7_1875
	s_branch .LBB7_1876
.LBB7_3925:
	s_movk_i32 s4, 0x80
	v_cmp_eq_u16_e32 vcc, s4, v9
	s_mov_b64 s[4:5], -1
                                        ; implicit-def: $sgpr10
	s_and_saveexec_b64 s[8:9], vcc
; %bb.3926:
	s_mov_b32 s10, 0x7f800001
	s_xor_b64 s[4:5], exec, -1
; %bb.3927:
	s_or_b64 exec, exec, s[8:9]
	s_and_b64 s[4:5], s[4:5], exec
                                        ; implicit-def: $vgpr9
	s_or_saveexec_b64 s[6:7], s[6:7]
	v_mov_b32_e32 v12, s10
	s_xor_b64 exec, exec, s[6:7]
	s_cbranch_execz .LBB7_1878
.LBB7_3928:
	v_cmp_ne_u16_e32 vcc, 0, v9
	s_andn2_b64 s[4:5], s[4:5], exec
	s_and_b64 s[8:9], vcc, exec
	v_mov_b32_e32 v12, 0
	s_or_b64 s[4:5], s[4:5], s[8:9]
	s_or_b64 exec, exec, s[6:7]
	s_and_saveexec_b64 s[6:7], s[4:5]
	s_cbranch_execnz .LBB7_1879
	s_branch .LBB7_1880
.LBB7_3929:
	s_movk_i32 s4, 0x80
	v_cmp_eq_u16_sdwa s[12:13], v14, s4 src0_sel:BYTE_3 src1_sel:DWORD
	s_mov_b64 s[4:5], -1
                                        ; implicit-def: $sgpr10
	s_and_saveexec_b64 s[8:9], s[12:13]
; %bb.3930:
	s_mov_b32 s10, 0x7f800001
	s_xor_b64 s[4:5], exec, -1
; %bb.3931:
	s_or_b64 exec, exec, s[8:9]
	s_and_b64 s[4:5], s[4:5], exec
	s_or_saveexec_b64 s[6:7], s[6:7]
	v_mov_b32_e32 v8, s10
	s_xor_b64 exec, exec, s[6:7]
	s_cbranch_execz .LBB7_1882
.LBB7_3932:
	v_mov_b32_e32 v8, 0
	v_cmp_ne_u16_sdwa s[8:9], v14, v8 src0_sel:BYTE_3 src1_sel:DWORD
	s_andn2_b64 s[4:5], s[4:5], exec
	s_and_b64 s[8:9], s[8:9], exec
	s_or_b64 s[4:5], s[4:5], s[8:9]
	s_or_b64 exec, exec, s[6:7]
	s_and_saveexec_b64 s[6:7], s[4:5]
	s_cbranch_execnz .LBB7_1883
	s_branch .LBB7_1884
.LBB7_3933:
	s_movk_i32 s4, 0x80
	v_cmp_eq_u16_sdwa s[12:13], v10, s4 src0_sel:BYTE_3 src1_sel:DWORD
	s_mov_b64 s[4:5], -1
                                        ; implicit-def: $sgpr10
	s_and_saveexec_b64 s[8:9], s[12:13]
; %bb.3934:
	s_mov_b32 s10, 0x7f800001
	s_xor_b64 s[4:5], exec, -1
; %bb.3935:
	s_or_b64 exec, exec, s[8:9]
	s_and_b64 s[4:5], s[4:5], exec
	s_or_saveexec_b64 s[6:7], s[6:7]
	v_mov_b32_e32 v9, s10
	s_xor_b64 exec, exec, s[6:7]
	s_cbranch_execz .LBB7_1886
.LBB7_3936:
	v_mov_b32_e32 v9, 0
	v_cmp_ne_u16_sdwa s[8:9], v10, v9 src0_sel:BYTE_3 src1_sel:DWORD
	s_andn2_b64 s[4:5], s[4:5], exec
	s_and_b64 s[8:9], s[8:9], exec
	s_or_b64 s[4:5], s[4:5], s[8:9]
	s_or_b64 exec, exec, s[6:7]
	s_and_saveexec_b64 s[6:7], s[4:5]
	s_cbranch_execnz .LBB7_1887
	s_branch .LBB7_1888
.LBB7_3937:
	s_movk_i32 s4, 0x80
	v_cmp_eq_u16_sdwa s[12:13], v15, s4 src0_sel:BYTE_0 src1_sel:DWORD
	s_mov_b64 s[4:5], -1
                                        ; implicit-def: $sgpr10
	s_and_saveexec_b64 s[8:9], s[12:13]
; %bb.3938:
	s_mov_b32 s10, 0x7f800001
	s_xor_b64 s[4:5], exec, -1
; %bb.3939:
	s_or_b64 exec, exec, s[8:9]
	s_and_b64 s[4:5], s[4:5], exec
	s_or_saveexec_b64 s[6:7], s[6:7]
	v_mov_b32_e32 v8, s10
	s_xor_b64 exec, exec, s[6:7]
	s_cbranch_execz .LBB7_1890
.LBB7_3940:
	v_mov_b32_e32 v8, 0
	v_cmp_ne_u16_sdwa s[8:9], v15, v8 src0_sel:BYTE_0 src1_sel:DWORD
	s_andn2_b64 s[4:5], s[4:5], exec
	s_and_b64 s[8:9], s[8:9], exec
	s_or_b64 s[4:5], s[4:5], s[8:9]
	s_or_b64 exec, exec, s[6:7]
	s_and_saveexec_b64 s[6:7], s[4:5]
	s_cbranch_execnz .LBB7_1891
	s_branch .LBB7_1892
.LBB7_3941:
	s_movk_i32 s4, 0x80
	v_cmp_eq_u16_sdwa s[12:13], v11, s4 src0_sel:BYTE_0 src1_sel:DWORD
	s_mov_b64 s[4:5], -1
                                        ; implicit-def: $sgpr10
	s_and_saveexec_b64 s[8:9], s[12:13]
; %bb.3942:
	s_mov_b32 s10, 0x7f800001
	s_xor_b64 s[4:5], exec, -1
; %bb.3943:
	s_or_b64 exec, exec, s[8:9]
	s_and_b64 s[4:5], s[4:5], exec
	s_or_saveexec_b64 s[6:7], s[6:7]
	v_mov_b32_e32 v9, s10
	s_xor_b64 exec, exec, s[6:7]
	s_cbranch_execz .LBB7_1894
.LBB7_3944:
	v_mov_b32_e32 v9, 0
	v_cmp_ne_u16_sdwa s[8:9], v11, v9 src0_sel:BYTE_0 src1_sel:DWORD
	s_andn2_b64 s[4:5], s[4:5], exec
	s_and_b64 s[8:9], s[8:9], exec
	s_or_b64 s[4:5], s[4:5], s[8:9]
	s_or_b64 exec, exec, s[6:7]
	s_and_saveexec_b64 s[6:7], s[4:5]
	s_cbranch_execnz .LBB7_1895
	s_branch .LBB7_1896
.LBB7_3945:
	s_movk_i32 s4, 0x80
	v_cmp_eq_u16_sdwa s[12:13], v9, s4 src0_sel:BYTE_0 src1_sel:DWORD
	s_mov_b64 s[4:5], -1
                                        ; implicit-def: $sgpr10
	s_and_saveexec_b64 s[8:9], s[12:13]
; %bb.3946:
	s_mov_b32 s10, 0x7f800001
	s_xor_b64 s[4:5], exec, -1
; %bb.3947:
	s_or_b64 exec, exec, s[8:9]
	s_and_b64 s[4:5], s[4:5], exec
	s_or_saveexec_b64 s[6:7], s[6:7]
	v_mov_b32_e32 v8, s10
	s_xor_b64 exec, exec, s[6:7]
	s_cbranch_execz .LBB7_1898
.LBB7_3948:
	v_mov_b32_e32 v8, 0
	v_cmp_ne_u16_sdwa s[8:9], v9, v8 src0_sel:BYTE_0 src1_sel:DWORD
	s_andn2_b64 s[4:5], s[4:5], exec
	s_and_b64 s[8:9], s[8:9], exec
	s_or_b64 s[4:5], s[4:5], s[8:9]
	s_or_b64 exec, exec, s[6:7]
	s_and_saveexec_b64 s[6:7], s[4:5]
	s_cbranch_execnz .LBB7_1899
	s_branch .LBB7_1900
.LBB7_3949:
	s_movk_i32 s4, 0x80
	v_cmp_eq_u16_sdwa s[12:13], v9, s4 src0_sel:BYTE_0 src1_sel:DWORD
	s_mov_b64 s[4:5], -1
                                        ; implicit-def: $sgpr10
	s_and_saveexec_b64 s[8:9], s[12:13]
; %bb.3950:
	s_mov_b32 s10, 0x7f800001
	s_xor_b64 s[4:5], exec, -1
; %bb.3951:
	s_or_b64 exec, exec, s[8:9]
	s_and_b64 s[4:5], s[4:5], exec
	s_or_saveexec_b64 s[6:7], s[6:7]
	v_mov_b32_e32 v10, s10
	s_xor_b64 exec, exec, s[6:7]
	s_cbranch_execz .LBB7_1902
.LBB7_3952:
	v_mov_b32_e32 v10, 0
	v_cmp_ne_u16_sdwa s[8:9], v9, v10 src0_sel:BYTE_0 src1_sel:DWORD
	s_andn2_b64 s[4:5], s[4:5], exec
	s_and_b64 s[8:9], s[8:9], exec
	s_or_b64 s[4:5], s[4:5], s[8:9]
	s_or_b64 exec, exec, s[6:7]
	s_and_saveexec_b64 s[6:7], s[4:5]
	s_cbranch_execnz .LBB7_1903
	s_branch .LBB7_1904
.LBB7_3953:
	s_movk_i32 s4, 0x80
	v_cmp_eq_u16_e32 vcc, s4, v9
	s_mov_b64 s[4:5], -1
                                        ; implicit-def: $sgpr10
	s_and_saveexec_b64 s[8:9], vcc
; %bb.3954:
	s_mov_b32 s10, 0x7f800001
	s_xor_b64 s[4:5], exec, -1
; %bb.3955:
	s_or_b64 exec, exec, s[8:9]
	s_and_b64 s[4:5], s[4:5], exec
                                        ; implicit-def: $vgpr9
	s_or_saveexec_b64 s[6:7], s[6:7]
	v_mov_b32_e32 v8, s10
	s_xor_b64 exec, exec, s[6:7]
	s_cbranch_execz .LBB7_1906
.LBB7_3956:
	v_cmp_ne_u16_e32 vcc, 0, v9
	s_andn2_b64 s[4:5], s[4:5], exec
	s_and_b64 s[8:9], vcc, exec
	v_mov_b32_e32 v8, 0
	s_or_b64 s[4:5], s[4:5], s[8:9]
	s_or_b64 exec, exec, s[6:7]
	s_and_saveexec_b64 s[6:7], s[4:5]
	s_cbranch_execnz .LBB7_1907
	s_branch .LBB7_1908
.LBB7_3957:
	s_movk_i32 s4, 0x80
	v_cmp_eq_u16_e32 vcc, s4, v9
	s_mov_b64 s[4:5], -1
                                        ; implicit-def: $sgpr10
	s_and_saveexec_b64 s[8:9], vcc
; %bb.3958:
	s_mov_b32 s10, 0x7f800001
	s_xor_b64 s[4:5], exec, -1
; %bb.3959:
	s_or_b64 exec, exec, s[8:9]
	s_and_b64 s[4:5], s[4:5], exec
                                        ; implicit-def: $vgpr9
	s_or_saveexec_b64 s[6:7], s[6:7]
	v_mov_b32_e32 v10, s10
	s_xor_b64 exec, exec, s[6:7]
	s_cbranch_execz .LBB7_1910
.LBB7_3960:
	v_cmp_ne_u16_e32 vcc, 0, v9
	s_andn2_b64 s[4:5], s[4:5], exec
	s_and_b64 s[8:9], vcc, exec
	v_mov_b32_e32 v10, 0
	s_or_b64 s[4:5], s[4:5], s[8:9]
	s_or_b64 exec, exec, s[6:7]
	s_and_saveexec_b64 s[6:7], s[4:5]
	s_cbranch_execnz .LBB7_1911
	s_branch .LBB7_1912
.LBB7_3961:
	s_movk_i32 s4, 0x80
	v_cmp_eq_u16_sdwa s[12:13], v15, s4 src0_sel:BYTE_3 src1_sel:DWORD
	s_mov_b64 s[4:5], -1
                                        ; implicit-def: $sgpr10
	s_and_saveexec_b64 s[8:9], s[12:13]
; %bb.3962:
	s_mov_b32 s10, 0x7f800001
	s_xor_b64 s[4:5], exec, -1
; %bb.3963:
	s_or_b64 exec, exec, s[8:9]
	s_and_b64 s[4:5], s[4:5], exec
	s_or_saveexec_b64 s[6:7], s[6:7]
	v_mov_b32_e32 v8, s10
	s_xor_b64 exec, exec, s[6:7]
	s_cbranch_execz .LBB7_1914
.LBB7_3964:
	v_mov_b32_e32 v8, 0
	v_cmp_ne_u16_sdwa s[8:9], v15, v8 src0_sel:BYTE_3 src1_sel:DWORD
	s_andn2_b64 s[4:5], s[4:5], exec
	s_and_b64 s[8:9], s[8:9], exec
	s_or_b64 s[4:5], s[4:5], s[8:9]
	s_or_b64 exec, exec, s[6:7]
	s_and_saveexec_b64 s[6:7], s[4:5]
	s_cbranch_execnz .LBB7_1915
	s_branch .LBB7_1916
.LBB7_3965:
	s_movk_i32 s4, 0x80
	v_cmp_eq_u16_sdwa s[12:13], v11, s4 src0_sel:BYTE_3 src1_sel:DWORD
	s_mov_b64 s[4:5], -1
                                        ; implicit-def: $sgpr10
	s_and_saveexec_b64 s[8:9], s[12:13]
; %bb.3966:
	s_mov_b32 s10, 0x7f800001
	s_xor_b64 s[4:5], exec, -1
; %bb.3967:
	s_or_b64 exec, exec, s[8:9]
	s_and_b64 s[4:5], s[4:5], exec
	s_or_saveexec_b64 s[6:7], s[6:7]
	v_mov_b32_e32 v9, s10
	s_xor_b64 exec, exec, s[6:7]
	s_cbranch_execz .LBB7_1918
.LBB7_3968:
	v_mov_b32_e32 v9, 0
	v_cmp_ne_u16_sdwa s[8:9], v11, v9 src0_sel:BYTE_3 src1_sel:DWORD
	s_andn2_b64 s[4:5], s[4:5], exec
	s_and_b64 s[8:9], s[8:9], exec
	s_or_b64 s[4:5], s[4:5], s[8:9]
	s_or_b64 exec, exec, s[6:7]
	s_and_saveexec_b64 s[6:7], s[4:5]
	s_cbranch_execnz .LBB7_1919
	s_branch .LBB7_1920
.LBB7_3969:
	s_movk_i32 s4, 0x80
	v_cmp_eq_u16_sdwa s[12:13], v4, s4 src0_sel:BYTE_0 src1_sel:DWORD
	s_mov_b64 s[4:5], -1
                                        ; implicit-def: $sgpr10
	s_and_saveexec_b64 s[8:9], s[12:13]
; %bb.3970:
	s_mov_b32 s10, 0x7f800001
	s_xor_b64 s[4:5], exec, -1
; %bb.3971:
	s_or_b64 exec, exec, s[8:9]
	s_and_b64 s[4:5], s[4:5], exec
	s_or_saveexec_b64 s[6:7], s[6:7]
	v_mov_b32_e32 v8, s10
	s_xor_b64 exec, exec, s[6:7]
	s_cbranch_execz .LBB7_1922
.LBB7_3972:
	v_mov_b32_e32 v8, 0
	v_cmp_ne_u16_sdwa s[8:9], v4, v8 src0_sel:BYTE_0 src1_sel:DWORD
	s_andn2_b64 s[4:5], s[4:5], exec
	s_and_b64 s[8:9], s[8:9], exec
	s_or_b64 s[4:5], s[4:5], s[8:9]
	s_or_b64 exec, exec, s[6:7]
	s_and_saveexec_b64 s[6:7], s[4:5]
	s_cbranch_execnz .LBB7_1923
	s_branch .LBB7_1924
.LBB7_3973:
	s_movk_i32 s4, 0x80
	v_cmp_eq_u16_sdwa s[12:13], v0, s4 src0_sel:BYTE_0 src1_sel:DWORD
	s_mov_b64 s[4:5], -1
                                        ; implicit-def: $sgpr10
	s_and_saveexec_b64 s[8:9], s[12:13]
; %bb.3974:
	s_mov_b32 s10, 0x7f800001
	s_xor_b64 s[4:5], exec, -1
; %bb.3975:
	s_or_b64 exec, exec, s[8:9]
	s_and_b64 s[4:5], s[4:5], exec
	s_or_saveexec_b64 s[6:7], s[6:7]
	v_mov_b32_e32 v9, s10
	s_xor_b64 exec, exec, s[6:7]
	s_cbranch_execz .LBB7_1926
.LBB7_3976:
	v_mov_b32_e32 v9, 0
	v_cmp_ne_u16_sdwa s[8:9], v0, v9 src0_sel:BYTE_0 src1_sel:DWORD
	s_andn2_b64 s[4:5], s[4:5], exec
	s_and_b64 s[8:9], s[8:9], exec
	s_or_b64 s[4:5], s[4:5], s[8:9]
	s_or_b64 exec, exec, s[6:7]
	s_and_saveexec_b64 s[6:7], s[4:5]
	s_cbranch_execnz .LBB7_1927
	s_branch .LBB7_1928
.LBB7_3977:
	s_movk_i32 s4, 0x80
	v_cmp_eq_u16_sdwa s[12:13], v9, s4 src0_sel:BYTE_0 src1_sel:DWORD
	s_mov_b64 s[4:5], -1
                                        ; implicit-def: $sgpr10
	s_and_saveexec_b64 s[8:9], s[12:13]
; %bb.3978:
	s_mov_b32 s10, 0x7f800001
	s_xor_b64 s[4:5], exec, -1
; %bb.3979:
	s_or_b64 exec, exec, s[8:9]
	s_and_b64 s[4:5], s[4:5], exec
	s_or_saveexec_b64 s[6:7], s[6:7]
	v_mov_b32_e32 v8, s10
	s_xor_b64 exec, exec, s[6:7]
	s_cbranch_execz .LBB7_1930
.LBB7_3980:
	v_mov_b32_e32 v8, 0
	v_cmp_ne_u16_sdwa s[8:9], v9, v8 src0_sel:BYTE_0 src1_sel:DWORD
	s_andn2_b64 s[4:5], s[4:5], exec
	s_and_b64 s[8:9], s[8:9], exec
	s_or_b64 s[4:5], s[4:5], s[8:9]
	s_or_b64 exec, exec, s[6:7]
	s_and_saveexec_b64 s[6:7], s[4:5]
	s_cbranch_execnz .LBB7_1931
	s_branch .LBB7_1932
.LBB7_3981:
	s_movk_i32 s4, 0x80
	v_cmp_eq_u16_sdwa s[12:13], v9, s4 src0_sel:BYTE_0 src1_sel:DWORD
	s_mov_b64 s[4:5], -1
                                        ; implicit-def: $sgpr10
	s_and_saveexec_b64 s[8:9], s[12:13]
; %bb.3982:
	s_mov_b32 s10, 0x7f800001
	s_xor_b64 s[4:5], exec, -1
; %bb.3983:
	s_or_b64 exec, exec, s[8:9]
	s_and_b64 s[4:5], s[4:5], exec
	s_or_saveexec_b64 s[6:7], s[6:7]
	v_mov_b32_e32 v10, s10
	s_xor_b64 exec, exec, s[6:7]
	s_cbranch_execz .LBB7_1934
.LBB7_3984:
	v_mov_b32_e32 v10, 0
	v_cmp_ne_u16_sdwa s[8:9], v9, v10 src0_sel:BYTE_0 src1_sel:DWORD
	s_andn2_b64 s[4:5], s[4:5], exec
	s_and_b64 s[8:9], s[8:9], exec
	s_or_b64 s[4:5], s[4:5], s[8:9]
	s_or_b64 exec, exec, s[6:7]
	s_and_saveexec_b64 s[6:7], s[4:5]
	s_cbranch_execnz .LBB7_1935
	s_branch .LBB7_1936
.LBB7_3985:
	s_movk_i32 s4, 0x80
	v_cmp_eq_u16_e32 vcc, s4, v9
	s_mov_b64 s[4:5], -1
                                        ; implicit-def: $sgpr10
	s_and_saveexec_b64 s[8:9], vcc
; %bb.3986:
	s_mov_b32 s10, 0x7f800001
	s_xor_b64 s[4:5], exec, -1
; %bb.3987:
	s_or_b64 exec, exec, s[8:9]
	s_and_b64 s[4:5], s[4:5], exec
                                        ; implicit-def: $vgpr9
	s_or_saveexec_b64 s[6:7], s[6:7]
	v_mov_b32_e32 v8, s10
	s_xor_b64 exec, exec, s[6:7]
	s_cbranch_execz .LBB7_1938
.LBB7_3988:
	v_cmp_ne_u16_e32 vcc, 0, v9
	s_andn2_b64 s[4:5], s[4:5], exec
	s_and_b64 s[8:9], vcc, exec
	v_mov_b32_e32 v8, 0
	s_or_b64 s[4:5], s[4:5], s[8:9]
	s_or_b64 exec, exec, s[6:7]
	s_and_saveexec_b64 s[6:7], s[4:5]
	s_cbranch_execnz .LBB7_1939
	s_branch .LBB7_1940
.LBB7_3989:
	s_movk_i32 s4, 0x80
	v_cmp_eq_u16_e32 vcc, s4, v9
	s_mov_b64 s[4:5], -1
                                        ; implicit-def: $sgpr10
	s_and_saveexec_b64 s[8:9], vcc
; %bb.3990:
	s_mov_b32 s10, 0x7f800001
	s_xor_b64 s[4:5], exec, -1
; %bb.3991:
	s_or_b64 exec, exec, s[8:9]
	s_and_b64 s[4:5], s[4:5], exec
                                        ; implicit-def: $vgpr9
	s_or_saveexec_b64 s[6:7], s[6:7]
	v_mov_b32_e32 v10, s10
	s_xor_b64 exec, exec, s[6:7]
	s_cbranch_execz .LBB7_1942
.LBB7_3992:
	v_cmp_ne_u16_e32 vcc, 0, v9
	s_andn2_b64 s[4:5], s[4:5], exec
	s_and_b64 s[8:9], vcc, exec
	v_mov_b32_e32 v10, 0
	s_or_b64 s[4:5], s[4:5], s[8:9]
	s_or_b64 exec, exec, s[6:7]
	s_and_saveexec_b64 s[6:7], s[4:5]
	s_cbranch_execnz .LBB7_1943
	s_branch .LBB7_1944
.LBB7_3993:
	s_movk_i32 s4, 0x80
	v_cmp_eq_u16_sdwa s[12:13], v4, s4 src0_sel:BYTE_3 src1_sel:DWORD
	s_mov_b64 s[4:5], -1
                                        ; implicit-def: $sgpr10
	s_and_saveexec_b64 s[8:9], s[12:13]
; %bb.3994:
	s_mov_b32 s10, 0x7f800001
	s_xor_b64 s[4:5], exec, -1
; %bb.3995:
	s_or_b64 exec, exec, s[8:9]
	s_and_b64 s[4:5], s[4:5], exec
	s_or_saveexec_b64 s[6:7], s[6:7]
	v_mov_b32_e32 v8, s10
	s_xor_b64 exec, exec, s[6:7]
	s_cbranch_execz .LBB7_1946
.LBB7_3996:
	v_mov_b32_e32 v8, 0
	v_cmp_ne_u16_sdwa s[8:9], v4, v8 src0_sel:BYTE_3 src1_sel:DWORD
	s_andn2_b64 s[4:5], s[4:5], exec
	s_and_b64 s[8:9], s[8:9], exec
	s_or_b64 s[4:5], s[4:5], s[8:9]
	s_or_b64 exec, exec, s[6:7]
	s_and_saveexec_b64 s[6:7], s[4:5]
	s_cbranch_execnz .LBB7_1947
	s_branch .LBB7_1948
.LBB7_3997:
	s_movk_i32 s4, 0x80
	v_cmp_eq_u16_sdwa s[12:13], v0, s4 src0_sel:BYTE_3 src1_sel:DWORD
	s_mov_b64 s[4:5], -1
                                        ; implicit-def: $sgpr10
	s_and_saveexec_b64 s[8:9], s[12:13]
; %bb.3998:
	s_mov_b32 s10, 0x7f800001
	s_xor_b64 s[4:5], exec, -1
; %bb.3999:
	s_or_b64 exec, exec, s[8:9]
	s_and_b64 s[4:5], s[4:5], exec
	s_or_saveexec_b64 s[6:7], s[6:7]
	v_mov_b32_e32 v4, s10
	s_xor_b64 exec, exec, s[6:7]
	s_cbranch_execz .LBB7_1950
.LBB7_4000:
	v_mov_b32_e32 v4, 0
	v_cmp_ne_u16_sdwa s[8:9], v0, v4 src0_sel:BYTE_3 src1_sel:DWORD
	s_andn2_b64 s[4:5], s[4:5], exec
	s_and_b64 s[8:9], s[8:9], exec
	s_or_b64 s[4:5], s[4:5], s[8:9]
	s_or_b64 exec, exec, s[6:7]
	s_and_saveexec_b64 s[6:7], s[4:5]
	s_cbranch_execnz .LBB7_1951
	s_branch .LBB7_1952
.LBB7_4001:
	s_movk_i32 s4, 0x80
	v_cmp_eq_u16_sdwa s[12:13], v5, s4 src0_sel:BYTE_0 src1_sel:DWORD
	s_mov_b64 s[4:5], -1
                                        ; implicit-def: $sgpr10
	s_and_saveexec_b64 s[8:9], s[12:13]
; %bb.4002:
	s_mov_b32 s10, 0x7f800001
	s_xor_b64 s[4:5], exec, -1
; %bb.4003:
	s_or_b64 exec, exec, s[8:9]
	s_and_b64 s[4:5], s[4:5], exec
	s_or_saveexec_b64 s[6:7], s[6:7]
	v_mov_b32_e32 v0, s10
	s_xor_b64 exec, exec, s[6:7]
	s_cbranch_execz .LBB7_1954
.LBB7_4004:
	v_mov_b32_e32 v0, 0
	v_cmp_ne_u16_sdwa s[8:9], v5, v0 src0_sel:BYTE_0 src1_sel:DWORD
	s_andn2_b64 s[4:5], s[4:5], exec
	s_and_b64 s[8:9], s[8:9], exec
	s_or_b64 s[4:5], s[4:5], s[8:9]
	s_or_b64 exec, exec, s[6:7]
	s_and_saveexec_b64 s[6:7], s[4:5]
	s_cbranch_execnz .LBB7_1955
	s_branch .LBB7_1956
.LBB7_4005:
	s_movk_i32 s4, 0x80
	v_cmp_eq_u16_sdwa s[12:13], v1, s4 src0_sel:BYTE_0 src1_sel:DWORD
	s_mov_b64 s[4:5], -1
                                        ; implicit-def: $sgpr10
	s_and_saveexec_b64 s[8:9], s[12:13]
; %bb.4006:
	s_mov_b32 s10, 0x7f800001
	s_xor_b64 s[4:5], exec, -1
; %bb.4007:
	s_or_b64 exec, exec, s[8:9]
	s_and_b64 s[4:5], s[4:5], exec
	s_or_saveexec_b64 s[6:7], s[6:7]
	v_mov_b32_e32 v4, s10
	s_xor_b64 exec, exec, s[6:7]
	s_cbranch_execz .LBB7_1958
.LBB7_4008:
	v_mov_b32_e32 v4, 0
	v_cmp_ne_u16_sdwa s[8:9], v1, v4 src0_sel:BYTE_0 src1_sel:DWORD
	s_andn2_b64 s[4:5], s[4:5], exec
	s_and_b64 s[8:9], s[8:9], exec
	s_or_b64 s[4:5], s[4:5], s[8:9]
	s_or_b64 exec, exec, s[6:7]
	s_and_saveexec_b64 s[6:7], s[4:5]
	s_cbranch_execnz .LBB7_1959
	s_branch .LBB7_1960
.LBB7_4009:
	s_movk_i32 s4, 0x80
	v_cmp_eq_u16_sdwa s[12:13], v4, s4 src0_sel:BYTE_0 src1_sel:DWORD
	s_mov_b64 s[4:5], -1
                                        ; implicit-def: $sgpr10
	s_and_saveexec_b64 s[8:9], s[12:13]
; %bb.4010:
	s_mov_b32 s10, 0x7f800001
	s_xor_b64 s[4:5], exec, -1
; %bb.4011:
	s_or_b64 exec, exec, s[8:9]
	s_and_b64 s[4:5], s[4:5], exec
	s_or_saveexec_b64 s[6:7], s[6:7]
	v_mov_b32_e32 v0, s10
	s_xor_b64 exec, exec, s[6:7]
	s_cbranch_execz .LBB7_1962
.LBB7_4012:
	v_mov_b32_e32 v0, 0
	v_cmp_ne_u16_sdwa s[8:9], v4, v0 src0_sel:BYTE_0 src1_sel:DWORD
	s_andn2_b64 s[4:5], s[4:5], exec
	s_and_b64 s[8:9], s[8:9], exec
	s_or_b64 s[4:5], s[4:5], s[8:9]
	s_or_b64 exec, exec, s[6:7]
	s_and_saveexec_b64 s[6:7], s[4:5]
	s_cbranch_execnz .LBB7_1963
	s_branch .LBB7_1964
.LBB7_4013:
	s_movk_i32 s4, 0x80
	v_cmp_eq_u16_sdwa s[12:13], v4, s4 src0_sel:BYTE_0 src1_sel:DWORD
	s_mov_b64 s[4:5], -1
                                        ; implicit-def: $sgpr10
	s_and_saveexec_b64 s[8:9], s[12:13]
; %bb.4014:
	s_mov_b32 s10, 0x7f800001
	s_xor_b64 s[4:5], exec, -1
; %bb.4015:
	s_or_b64 exec, exec, s[8:9]
	s_and_b64 s[4:5], s[4:5], exec
	s_or_saveexec_b64 s[6:7], s[6:7]
	v_mov_b32_e32 v8, s10
	s_xor_b64 exec, exec, s[6:7]
	s_cbranch_execz .LBB7_1966
.LBB7_4016:
	v_mov_b32_e32 v8, 0
	v_cmp_ne_u16_sdwa s[8:9], v4, v8 src0_sel:BYTE_0 src1_sel:DWORD
	s_andn2_b64 s[4:5], s[4:5], exec
	s_and_b64 s[8:9], s[8:9], exec
	s_or_b64 s[4:5], s[4:5], s[8:9]
	s_or_b64 exec, exec, s[6:7]
	s_and_saveexec_b64 s[6:7], s[4:5]
	s_cbranch_execnz .LBB7_1967
	s_branch .LBB7_1968
.LBB7_4017:
	s_movk_i32 s4, 0x80
	v_cmp_eq_u16_e32 vcc, s4, v4
	s_mov_b64 s[4:5], -1
                                        ; implicit-def: $sgpr10
	s_and_saveexec_b64 s[8:9], vcc
; %bb.4018:
	s_mov_b32 s10, 0x7f800001
	s_xor_b64 s[4:5], exec, -1
; %bb.4019:
	s_or_b64 exec, exec, s[8:9]
	s_and_b64 s[4:5], s[4:5], exec
                                        ; implicit-def: $vgpr4
	s_or_saveexec_b64 s[6:7], s[6:7]
	v_mov_b32_e32 v0, s10
	s_xor_b64 exec, exec, s[6:7]
	s_cbranch_execz .LBB7_1970
.LBB7_4020:
	v_cmp_ne_u16_e32 vcc, 0, v4
	s_andn2_b64 s[4:5], s[4:5], exec
	s_and_b64 s[8:9], vcc, exec
	v_mov_b32_e32 v0, 0
	s_or_b64 s[4:5], s[4:5], s[8:9]
	s_or_b64 exec, exec, s[6:7]
	s_and_saveexec_b64 s[6:7], s[4:5]
	s_cbranch_execnz .LBB7_1971
	s_branch .LBB7_1972
.LBB7_4021:
	s_movk_i32 s4, 0x80
	v_cmp_eq_u16_e32 vcc, s4, v4
	s_mov_b64 s[4:5], -1
                                        ; implicit-def: $sgpr10
	s_and_saveexec_b64 s[8:9], vcc
; %bb.4022:
	s_mov_b32 s10, 0x7f800001
	s_xor_b64 s[4:5], exec, -1
; %bb.4023:
	s_or_b64 exec, exec, s[8:9]
	s_and_b64 s[4:5], s[4:5], exec
                                        ; implicit-def: $vgpr4
	s_or_saveexec_b64 s[6:7], s[6:7]
	v_mov_b32_e32 v8, s10
	s_xor_b64 exec, exec, s[6:7]
	s_cbranch_execz .LBB7_1974
.LBB7_4024:
	v_cmp_ne_u16_e32 vcc, 0, v4
	s_andn2_b64 s[4:5], s[4:5], exec
	s_and_b64 s[8:9], vcc, exec
	v_mov_b32_e32 v8, 0
	s_or_b64 s[4:5], s[4:5], s[8:9]
	s_or_b64 exec, exec, s[6:7]
	s_and_saveexec_b64 s[6:7], s[4:5]
	s_cbranch_execnz .LBB7_1975
	s_branch .LBB7_1976
.LBB7_4025:
	s_movk_i32 s4, 0x80
	v_cmp_eq_u16_sdwa s[12:13], v5, s4 src0_sel:BYTE_3 src1_sel:DWORD
	s_mov_b64 s[4:5], -1
                                        ; implicit-def: $sgpr10
	s_and_saveexec_b64 s[8:9], s[12:13]
; %bb.4026:
	s_mov_b32 s10, 0x7f800001
	s_xor_b64 s[4:5], exec, -1
; %bb.4027:
	s_or_b64 exec, exec, s[8:9]
	s_and_b64 s[4:5], s[4:5], exec
	s_or_saveexec_b64 s[6:7], s[6:7]
	v_mov_b32_e32 v0, s10
	s_xor_b64 exec, exec, s[6:7]
	s_cbranch_execz .LBB7_1978
.LBB7_4028:
	v_mov_b32_e32 v0, 0
	v_cmp_ne_u16_sdwa s[8:9], v5, v0 src0_sel:BYTE_3 src1_sel:DWORD
	s_andn2_b64 s[4:5], s[4:5], exec
	s_and_b64 s[8:9], s[8:9], exec
	s_or_b64 s[4:5], s[4:5], s[8:9]
	s_or_b64 exec, exec, s[6:7]
	s_and_saveexec_b64 s[6:7], s[4:5]
	s_cbranch_execnz .LBB7_1979
	s_branch .LBB7_1980
.LBB7_4029:
	s_movk_i32 s4, 0x80
	v_cmp_eq_u16_sdwa s[12:13], v1, s4 src0_sel:BYTE_3 src1_sel:DWORD
	s_mov_b64 s[4:5], -1
                                        ; implicit-def: $sgpr10
	s_and_saveexec_b64 s[8:9], s[12:13]
; %bb.4030:
	s_mov_b32 s10, 0x7f800001
	s_xor_b64 s[4:5], exec, -1
; %bb.4031:
	s_or_b64 exec, exec, s[8:9]
	s_and_b64 s[4:5], s[4:5], exec
	s_or_saveexec_b64 s[6:7], s[6:7]
	v_mov_b32_e32 v4, s10
	s_xor_b64 exec, exec, s[6:7]
	s_cbranch_execz .LBB7_1982
.LBB7_4032:
	v_mov_b32_e32 v4, 0
	v_cmp_ne_u16_sdwa s[8:9], v1, v4 src0_sel:BYTE_3 src1_sel:DWORD
	s_andn2_b64 s[4:5], s[4:5], exec
	s_and_b64 s[8:9], s[8:9], exec
	s_or_b64 s[4:5], s[4:5], s[8:9]
	s_or_b64 exec, exec, s[6:7]
	s_and_saveexec_b64 s[6:7], s[4:5]
	s_cbranch_execnz .LBB7_1983
	s_branch .LBB7_1984
.LBB7_4033:
	s_movk_i32 s4, 0x80
	v_cmp_eq_u16_sdwa s[12:13], v6, s4 src0_sel:BYTE_0 src1_sel:DWORD
	s_mov_b64 s[4:5], -1
                                        ; implicit-def: $sgpr10
	s_and_saveexec_b64 s[8:9], s[12:13]
; %bb.4034:
	s_mov_b32 s10, 0x7f800001
	s_xor_b64 s[4:5], exec, -1
; %bb.4035:
	s_or_b64 exec, exec, s[8:9]
	s_and_b64 s[4:5], s[4:5], exec
	s_or_saveexec_b64 s[6:7], s[6:7]
	v_mov_b32_e32 v0, s10
	s_xor_b64 exec, exec, s[6:7]
	s_cbranch_execz .LBB7_1986
.LBB7_4036:
	v_mov_b32_e32 v0, 0
	v_cmp_ne_u16_sdwa s[8:9], v6, v0 src0_sel:BYTE_0 src1_sel:DWORD
	s_andn2_b64 s[4:5], s[4:5], exec
	s_and_b64 s[8:9], s[8:9], exec
	s_or_b64 s[4:5], s[4:5], s[8:9]
	s_or_b64 exec, exec, s[6:7]
	s_and_saveexec_b64 s[6:7], s[4:5]
	s_cbranch_execnz .LBB7_1987
	s_branch .LBB7_1988
.LBB7_4037:
	s_movk_i32 s4, 0x80
	v_cmp_eq_u16_sdwa s[12:13], v2, s4 src0_sel:BYTE_0 src1_sel:DWORD
	s_mov_b64 s[4:5], -1
                                        ; implicit-def: $sgpr10
	s_and_saveexec_b64 s[8:9], s[12:13]
; %bb.4038:
	s_mov_b32 s10, 0x7f800001
	s_xor_b64 s[4:5], exec, -1
; %bb.4039:
	s_or_b64 exec, exec, s[8:9]
	s_and_b64 s[4:5], s[4:5], exec
	s_or_saveexec_b64 s[6:7], s[6:7]
	v_mov_b32_e32 v1, s10
	s_xor_b64 exec, exec, s[6:7]
	s_cbranch_execz .LBB7_1990
.LBB7_4040:
	v_mov_b32_e32 v1, 0
	v_cmp_ne_u16_sdwa s[8:9], v2, v1 src0_sel:BYTE_0 src1_sel:DWORD
	s_andn2_b64 s[4:5], s[4:5], exec
	s_and_b64 s[8:9], s[8:9], exec
	s_or_b64 s[4:5], s[4:5], s[8:9]
	s_or_b64 exec, exec, s[6:7]
	s_and_saveexec_b64 s[6:7], s[4:5]
	s_cbranch_execnz .LBB7_1991
	s_branch .LBB7_1992
.LBB7_4041:
	s_movk_i32 s4, 0x80
	v_cmp_eq_u16_sdwa s[12:13], v1, s4 src0_sel:BYTE_0 src1_sel:DWORD
	s_mov_b64 s[4:5], -1
                                        ; implicit-def: $sgpr10
	s_and_saveexec_b64 s[8:9], s[12:13]
; %bb.4042:
	s_mov_b32 s10, 0x7f800001
	s_xor_b64 s[4:5], exec, -1
; %bb.4043:
	s_or_b64 exec, exec, s[8:9]
	s_and_b64 s[4:5], s[4:5], exec
	s_or_saveexec_b64 s[6:7], s[6:7]
	v_mov_b32_e32 v0, s10
	s_xor_b64 exec, exec, s[6:7]
	s_cbranch_execz .LBB7_1994
.LBB7_4044:
	v_mov_b32_e32 v0, 0
	v_cmp_ne_u16_sdwa s[8:9], v1, v0 src0_sel:BYTE_0 src1_sel:DWORD
	s_andn2_b64 s[4:5], s[4:5], exec
	s_and_b64 s[8:9], s[8:9], exec
	s_or_b64 s[4:5], s[4:5], s[8:9]
	s_or_b64 exec, exec, s[6:7]
	s_and_saveexec_b64 s[6:7], s[4:5]
	s_cbranch_execnz .LBB7_1995
	s_branch .LBB7_1996
.LBB7_4045:
	s_movk_i32 s4, 0x80
	v_cmp_eq_u16_sdwa s[12:13], v1, s4 src0_sel:BYTE_0 src1_sel:DWORD
	s_mov_b64 s[4:5], -1
                                        ; implicit-def: $sgpr10
	s_and_saveexec_b64 s[8:9], s[12:13]
; %bb.4046:
	s_mov_b32 s10, 0x7f800001
	s_xor_b64 s[4:5], exec, -1
; %bb.4047:
	s_or_b64 exec, exec, s[8:9]
	s_and_b64 s[4:5], s[4:5], exec
	s_or_saveexec_b64 s[6:7], s[6:7]
	v_mov_b32_e32 v4, s10
	s_xor_b64 exec, exec, s[6:7]
	s_cbranch_execz .LBB7_1998
.LBB7_4048:
	v_mov_b32_e32 v4, 0
	v_cmp_ne_u16_sdwa s[8:9], v1, v4 src0_sel:BYTE_0 src1_sel:DWORD
	s_andn2_b64 s[4:5], s[4:5], exec
	s_and_b64 s[8:9], s[8:9], exec
	s_or_b64 s[4:5], s[4:5], s[8:9]
	s_or_b64 exec, exec, s[6:7]
	s_and_saveexec_b64 s[6:7], s[4:5]
	s_cbranch_execnz .LBB7_1999
	s_branch .LBB7_2000
.LBB7_4049:
	s_movk_i32 s4, 0x80
	v_cmp_eq_u16_e32 vcc, s4, v1
	s_mov_b64 s[4:5], -1
                                        ; implicit-def: $sgpr10
	s_and_saveexec_b64 s[8:9], vcc
; %bb.4050:
	s_mov_b32 s10, 0x7f800001
	s_xor_b64 s[4:5], exec, -1
; %bb.4051:
	s_or_b64 exec, exec, s[8:9]
	s_and_b64 s[4:5], s[4:5], exec
                                        ; implicit-def: $vgpr1
	s_or_saveexec_b64 s[6:7], s[6:7]
	v_mov_b32_e32 v0, s10
	s_xor_b64 exec, exec, s[6:7]
	s_cbranch_execz .LBB7_2002
.LBB7_4052:
	v_cmp_ne_u16_e32 vcc, 0, v1
	s_andn2_b64 s[4:5], s[4:5], exec
	s_and_b64 s[8:9], vcc, exec
	v_mov_b32_e32 v0, 0
	s_or_b64 s[4:5], s[4:5], s[8:9]
	s_or_b64 exec, exec, s[6:7]
	s_and_saveexec_b64 s[6:7], s[4:5]
	s_cbranch_execnz .LBB7_2003
	s_branch .LBB7_2004
.LBB7_4053:
	s_movk_i32 s4, 0x80
	v_cmp_eq_u16_e32 vcc, s4, v1
	s_mov_b64 s[4:5], -1
                                        ; implicit-def: $sgpr10
	s_and_saveexec_b64 s[8:9], vcc
; %bb.4054:
	s_mov_b32 s10, 0x7f800001
	s_xor_b64 s[4:5], exec, -1
; %bb.4055:
	s_or_b64 exec, exec, s[8:9]
	s_and_b64 s[4:5], s[4:5], exec
                                        ; implicit-def: $vgpr1
	s_or_saveexec_b64 s[6:7], s[6:7]
	v_mov_b32_e32 v4, s10
	s_xor_b64 exec, exec, s[6:7]
	s_cbranch_execz .LBB7_2006
.LBB7_4056:
	v_cmp_ne_u16_e32 vcc, 0, v1
	s_andn2_b64 s[4:5], s[4:5], exec
	s_and_b64 s[8:9], vcc, exec
	v_mov_b32_e32 v4, 0
	s_or_b64 s[4:5], s[4:5], s[8:9]
	s_or_b64 exec, exec, s[6:7]
	s_and_saveexec_b64 s[6:7], s[4:5]
	s_cbranch_execnz .LBB7_2007
	s_branch .LBB7_2008
.LBB7_4057:
	s_movk_i32 s4, 0x80
	v_cmp_eq_u16_sdwa s[12:13], v6, s4 src0_sel:BYTE_3 src1_sel:DWORD
	s_mov_b64 s[4:5], -1
                                        ; implicit-def: $sgpr10
	s_and_saveexec_b64 s[8:9], s[12:13]
; %bb.4058:
	s_mov_b32 s10, 0x7f800001
	s_xor_b64 s[4:5], exec, -1
; %bb.4059:
	s_or_b64 exec, exec, s[8:9]
	s_and_b64 s[4:5], s[4:5], exec
	s_or_saveexec_b64 s[6:7], s[6:7]
	v_mov_b32_e32 v0, s10
	s_xor_b64 exec, exec, s[6:7]
	s_cbranch_execz .LBB7_2010
.LBB7_4060:
	v_mov_b32_e32 v0, 0
	v_cmp_ne_u16_sdwa s[8:9], v6, v0 src0_sel:BYTE_3 src1_sel:DWORD
	s_andn2_b64 s[4:5], s[4:5], exec
	s_and_b64 s[8:9], s[8:9], exec
	s_or_b64 s[4:5], s[4:5], s[8:9]
	s_or_b64 exec, exec, s[6:7]
	s_and_saveexec_b64 s[6:7], s[4:5]
	s_cbranch_execnz .LBB7_2011
	s_branch .LBB7_2012
.LBB7_4061:
	s_movk_i32 s4, 0x80
	v_cmp_eq_u16_sdwa s[12:13], v2, s4 src0_sel:BYTE_3 src1_sel:DWORD
	s_mov_b64 s[4:5], -1
                                        ; implicit-def: $sgpr10
	s_and_saveexec_b64 s[8:9], s[12:13]
; %bb.4062:
	s_mov_b32 s10, 0x7f800001
	s_xor_b64 s[4:5], exec, -1
; %bb.4063:
	s_or_b64 exec, exec, s[8:9]
	s_and_b64 s[4:5], s[4:5], exec
	s_or_saveexec_b64 s[6:7], s[6:7]
	v_mov_b32_e32 v1, s10
	s_xor_b64 exec, exec, s[6:7]
	s_cbranch_execz .LBB7_2014
.LBB7_4064:
	v_mov_b32_e32 v1, 0
	v_cmp_ne_u16_sdwa s[8:9], v2, v1 src0_sel:BYTE_3 src1_sel:DWORD
	s_andn2_b64 s[4:5], s[4:5], exec
	s_and_b64 s[8:9], s[8:9], exec
	s_or_b64 s[4:5], s[4:5], s[8:9]
	s_or_b64 exec, exec, s[6:7]
	s_and_saveexec_b64 s[6:7], s[4:5]
	s_cbranch_execnz .LBB7_2015
	s_branch .LBB7_2016
.LBB7_4065:
	s_movk_i32 s4, 0x80
	v_cmp_eq_u16_sdwa s[12:13], v7, s4 src0_sel:BYTE_0 src1_sel:DWORD
	s_mov_b64 s[4:5], -1
                                        ; implicit-def: $sgpr10
	s_and_saveexec_b64 s[8:9], s[12:13]
; %bb.4066:
	s_mov_b32 s10, 0x7f800001
	s_xor_b64 s[4:5], exec, -1
; %bb.4067:
	s_or_b64 exec, exec, s[8:9]
	s_and_b64 s[4:5], s[4:5], exec
	s_or_saveexec_b64 s[6:7], s[6:7]
	v_mov_b32_e32 v0, s10
	s_xor_b64 exec, exec, s[6:7]
	s_cbranch_execz .LBB7_2018
.LBB7_4068:
	v_mov_b32_e32 v0, 0
	v_cmp_ne_u16_sdwa s[8:9], v7, v0 src0_sel:BYTE_0 src1_sel:DWORD
	s_andn2_b64 s[4:5], s[4:5], exec
	s_and_b64 s[8:9], s[8:9], exec
	s_or_b64 s[4:5], s[4:5], s[8:9]
	s_or_b64 exec, exec, s[6:7]
	s_and_saveexec_b64 s[6:7], s[4:5]
	s_cbranch_execnz .LBB7_2019
	s_branch .LBB7_2020
.LBB7_4069:
	s_movk_i32 s4, 0x80
	v_cmp_eq_u16_sdwa s[12:13], v3, s4 src0_sel:BYTE_0 src1_sel:DWORD
	s_mov_b64 s[4:5], -1
                                        ; implicit-def: $sgpr10
	s_and_saveexec_b64 s[8:9], s[12:13]
; %bb.4070:
	s_mov_b32 s10, 0x7f800001
	s_xor_b64 s[4:5], exec, -1
; %bb.4071:
	s_or_b64 exec, exec, s[8:9]
	s_and_b64 s[4:5], s[4:5], exec
	s_or_saveexec_b64 s[6:7], s[6:7]
	v_mov_b32_e32 v1, s10
	s_xor_b64 exec, exec, s[6:7]
	s_cbranch_execz .LBB7_2022
.LBB7_4072:
	v_mov_b32_e32 v1, 0
	v_cmp_ne_u16_sdwa s[8:9], v3, v1 src0_sel:BYTE_0 src1_sel:DWORD
	s_andn2_b64 s[4:5], s[4:5], exec
	s_and_b64 s[8:9], s[8:9], exec
	s_or_b64 s[4:5], s[4:5], s[8:9]
	s_or_b64 exec, exec, s[6:7]
	s_and_saveexec_b64 s[6:7], s[4:5]
	s_cbranch_execnz .LBB7_2023
	s_branch .LBB7_2024
.LBB7_4073:
	s_movk_i32 s4, 0x80
	v_cmp_eq_u16_sdwa s[12:13], v1, s4 src0_sel:BYTE_0 src1_sel:DWORD
	s_mov_b64 s[4:5], -1
                                        ; implicit-def: $sgpr10
	s_and_saveexec_b64 s[8:9], s[12:13]
; %bb.4074:
	s_mov_b32 s10, 0x7f800001
	s_xor_b64 s[4:5], exec, -1
; %bb.4075:
	s_or_b64 exec, exec, s[8:9]
	s_and_b64 s[4:5], s[4:5], exec
	s_or_saveexec_b64 s[6:7], s[6:7]
	v_mov_b32_e32 v0, s10
	s_xor_b64 exec, exec, s[6:7]
	s_cbranch_execz .LBB7_2026
.LBB7_4076:
	v_mov_b32_e32 v0, 0
	v_cmp_ne_u16_sdwa s[8:9], v1, v0 src0_sel:BYTE_0 src1_sel:DWORD
	s_andn2_b64 s[4:5], s[4:5], exec
	s_and_b64 s[8:9], s[8:9], exec
	s_or_b64 s[4:5], s[4:5], s[8:9]
	s_or_b64 exec, exec, s[6:7]
	s_and_saveexec_b64 s[6:7], s[4:5]
	s_cbranch_execnz .LBB7_2027
	s_branch .LBB7_2028
.LBB7_4077:
	s_movk_i32 s4, 0x80
	v_cmp_eq_u16_sdwa s[12:13], v1, s4 src0_sel:BYTE_0 src1_sel:DWORD
	s_mov_b64 s[4:5], -1
                                        ; implicit-def: $sgpr10
	s_and_saveexec_b64 s[8:9], s[12:13]
; %bb.4078:
	s_mov_b32 s10, 0x7f800001
	s_xor_b64 s[4:5], exec, -1
; %bb.4079:
	s_or_b64 exec, exec, s[8:9]
	s_and_b64 s[4:5], s[4:5], exec
	s_or_saveexec_b64 s[6:7], s[6:7]
	v_mov_b32_e32 v2, s10
	s_xor_b64 exec, exec, s[6:7]
	s_cbranch_execz .LBB7_2030
.LBB7_4080:
	v_mov_b32_e32 v2, 0
	v_cmp_ne_u16_sdwa s[8:9], v1, v2 src0_sel:BYTE_0 src1_sel:DWORD
	s_andn2_b64 s[4:5], s[4:5], exec
	s_and_b64 s[8:9], s[8:9], exec
	s_or_b64 s[4:5], s[4:5], s[8:9]
	s_or_b64 exec, exec, s[6:7]
	s_and_saveexec_b64 s[6:7], s[4:5]
	s_cbranch_execnz .LBB7_2031
	s_branch .LBB7_2032
.LBB7_4081:
	s_movk_i32 s4, 0x80
	v_cmp_eq_u16_e32 vcc, s4, v1
	s_mov_b64 s[4:5], -1
                                        ; implicit-def: $sgpr10
	s_and_saveexec_b64 s[8:9], vcc
; %bb.4082:
	s_mov_b32 s10, 0x7f800001
	s_xor_b64 s[4:5], exec, -1
; %bb.4083:
	s_or_b64 exec, exec, s[8:9]
	s_and_b64 s[4:5], s[4:5], exec
                                        ; implicit-def: $vgpr1
	s_or_saveexec_b64 s[6:7], s[6:7]
	v_mov_b32_e32 v0, s10
	s_xor_b64 exec, exec, s[6:7]
	s_cbranch_execz .LBB7_2034
.LBB7_4084:
	v_cmp_ne_u16_e32 vcc, 0, v1
	s_andn2_b64 s[4:5], s[4:5], exec
	s_and_b64 s[8:9], vcc, exec
	v_mov_b32_e32 v0, 0
	s_or_b64 s[4:5], s[4:5], s[8:9]
	s_or_b64 exec, exec, s[6:7]
	s_and_saveexec_b64 s[6:7], s[4:5]
	s_cbranch_execnz .LBB7_2035
	s_branch .LBB7_2036
.LBB7_4085:
	s_movk_i32 s4, 0x80
	v_cmp_eq_u16_e32 vcc, s4, v1
	s_mov_b64 s[4:5], -1
                                        ; implicit-def: $sgpr10
	s_and_saveexec_b64 s[8:9], vcc
; %bb.4086:
	s_mov_b32 s10, 0x7f800001
	s_xor_b64 s[4:5], exec, -1
; %bb.4087:
	s_or_b64 exec, exec, s[8:9]
	s_and_b64 s[4:5], s[4:5], exec
                                        ; implicit-def: $vgpr1
	s_or_saveexec_b64 s[6:7], s[6:7]
	v_mov_b32_e32 v2, s10
	s_xor_b64 exec, exec, s[6:7]
	s_cbranch_execz .LBB7_2038
.LBB7_4088:
	v_cmp_ne_u16_e32 vcc, 0, v1
	s_andn2_b64 s[4:5], s[4:5], exec
	s_and_b64 s[8:9], vcc, exec
	v_mov_b32_e32 v2, 0
	s_or_b64 s[4:5], s[4:5], s[8:9]
	s_or_b64 exec, exec, s[6:7]
	s_and_saveexec_b64 s[6:7], s[4:5]
	s_cbranch_execnz .LBB7_2039
	s_branch .LBB7_2040
.LBB7_4089:
	s_movk_i32 s4, 0x80
	v_cmp_eq_u16_sdwa s[12:13], v7, s4 src0_sel:BYTE_3 src1_sel:DWORD
	s_mov_b64 s[4:5], -1
                                        ; implicit-def: $sgpr10
	s_and_saveexec_b64 s[8:9], s[12:13]
; %bb.4090:
	s_mov_b32 s10, 0x7f800001
	s_xor_b64 s[4:5], exec, -1
; %bb.4091:
	s_or_b64 exec, exec, s[8:9]
	s_and_b64 s[4:5], s[4:5], exec
	s_or_saveexec_b64 s[6:7], s[6:7]
	v_mov_b32_e32 v0, s10
	s_xor_b64 exec, exec, s[6:7]
	s_cbranch_execz .LBB7_2042
.LBB7_4092:
	v_mov_b32_e32 v0, 0
	v_cmp_ne_u16_sdwa s[8:9], v7, v0 src0_sel:BYTE_3 src1_sel:DWORD
	s_andn2_b64 s[4:5], s[4:5], exec
	s_and_b64 s[8:9], s[8:9], exec
	s_or_b64 s[4:5], s[4:5], s[8:9]
	s_or_b64 exec, exec, s[6:7]
	s_and_saveexec_b64 s[6:7], s[4:5]
	s_cbranch_execnz .LBB7_2043
	s_branch .LBB7_2044
.LBB7_4093:
	s_movk_i32 s4, 0x80
	v_cmp_eq_u16_sdwa s[12:13], v3, s4 src0_sel:BYTE_3 src1_sel:DWORD
	s_mov_b64 s[4:5], -1
                                        ; implicit-def: $sgpr10
	s_and_saveexec_b64 s[8:9], s[12:13]
; %bb.4094:
	s_mov_b32 s10, 0x7f800001
	s_xor_b64 s[4:5], exec, -1
; %bb.4095:
	s_or_b64 exec, exec, s[8:9]
	s_and_b64 s[4:5], s[4:5], exec
	s_or_saveexec_b64 s[6:7], s[6:7]
	v_mov_b32_e32 v1, s10
	s_xor_b64 exec, exec, s[6:7]
	s_cbranch_execz .LBB7_2046
.LBB7_4096:
	v_mov_b32_e32 v1, 0
	v_cmp_ne_u16_sdwa s[8:9], v3, v1 src0_sel:BYTE_3 src1_sel:DWORD
	s_andn2_b64 s[4:5], s[4:5], exec
	s_and_b64 s[8:9], s[8:9], exec
	s_or_b64 s[4:5], s[4:5], s[8:9]
	s_or_b64 exec, exec, s[6:7]
	s_and_saveexec_b64 s[6:7], s[4:5]
	s_cbranch_execnz .LBB7_2047
	s_branch .LBB7_2048
.Lfunc_end7:
	.size	_ZNK2ck6detail7applierIiJLi0ELi1ELi2ELi3ELi4ELi5ELi6ELi7EEEclIZNKS_11static_fordINS_8SequenceIJLi1ELi8EEEENS5_IJLi0ELi1EEEEEclIZZZNKS_52BlockwiseGemmXdlops_pipeline_bpreshuffle_bdequant_v3ILNS_26BlockGemmPipelineSchedulerE0ELi256ENS_9f8_fnuz_tENS_7pk_i4_tESC_fNS_16TensorDescriptorINS_5TupleIJNS_5EmbedINSF_IJNS_17integral_constantIiLi8EEENSH_IiLi256EEENSH_IiLi16EEEEEENSF_IJSK_NSH_IiLi128EEENSH_IiLi1EEEEEELb0EEENS_3XorINSF_IJSJ_SI_EEELb1EEENS_11PassThroughISK_EENS_7UnMergeINSF_IJSI_SN_EEELb0EEENST_ISJ_EESU_NST_ISI_EENS_21Merge_v3_division_modINSF_IJSJ_SN_EEEEESU_EEENSF_IJNS5_IJLi0EEEENS5_IJLi2ELi1EEEENS5_IJLi3EEEENS5_IJLi5EEEENS5_IJLi4EEEENS5_IJLi6EEEENS5_IJLi7EEEENS5_IJLi9ELi8EEEENS5_IJLi10EEEEEEENSF_IJNS5_IJLi1ELi2ELi3EEEENS5_IJLi4ELi5EEEES19_NS5_IJLi7ELi8EEEENS5_IJLi9EEEES1C_NS5_IJLi11EEEENS5_IJLi12EEEENS5_IJLi13EEEEEEENS5_IJLi11ELi12ELi13EEEENSH_IlLl32768EEEEENSE_INSF_IJNSV_INSF_IJSI_SN_SN_NSH_IiLi32EEEEEELb0EEEEEENSF_IJS14_EEENSF_IJNS5_IJLi1ELi2ELi3ELi4EEEEEEES1U_NSH_IlLl256EEEEENSE_INSF_IJSP_SS_SU_SX_SY_SU_SZ_S12_SU_NS10_INSF_IJSI_SK_EEEEENSV_INSF_IJSI_NSH_IiLi2EEESK_EEELb0EEEEEENSF_IJS14_S15_S16_S17_S18_S19_S1A_S1B_S1C_NS5_IJLi11ELi13EEEES1J_EEENSF_IJS1E_S1F_S19_S1G_S1H_S1C_S1I_S1J_S1K_NS5_IJLi14EEEENS5_IJLi15ELi16ELi17EEEEEEENS5_IJLi15ELi16ELi17ELi14EEEES1N_EENSE_INSF_IJS1R_NS10_ISW_EES22_EEENSF_IJS14_NS5_IJLi1ELi3EEEENS5_IJLi2EEEEEEENSF_IJS1U_S17_NS5_IJLi6ELi7ELi8EEEEEEENS5_IJLi6ELi7ELi8ELi5EEEES1W_EELi16ELi32ELi256ELi256ELi128ELi16ELi16ELi8ELi8ELi32ELb0EE3RunILb1ELNS_10TailNumberE0ENSE_INSF_IJNSG_INSF_IJiiEEENSF_IJiSN_EEELb0EEENSV_IS2N_Lb0EEENST_IiEEEEENSF_IJS14_S2E_NS5_IJLi1EEEEEEENSF_IJNS5_IJLi1ELi2EEEENS5_IJLi3ELi4EEEES17_EEENS5_IJLi3ELi5ELi4EEEElEES1O_NS_35ThreadGroupTensorSliceTransfer_v4r1INS_15ThisThreadBlockILi256EEENS_16tensor_operation12element_wise11PassThroughES35_LNS_25InMemoryDataOperationEnumE0ENS5_IJLi8ELi256ELi16EEEENS5_IJLi8ELi32ELi1EEEENS5_IJLi1ELi0ELi2EEEESC_SC_RKS2Z_KS1O_S39_NS5_IJLi0ELi1ELi2EEEELi2ELi2ELi16ELi16ELi1ELi1ELb0ELb1ELi2EiEENS_13DynamicBufferILNS_16AddressSpaceEnumE1EKSC_lLb1ELNS_22AmdBufferCoherenceEnumE0EiEENSF_IJNS3F_ILS3G_2ESC_S1N_Lb1ELS3I_0EiEES3K_EEENSF_IJiiiEEENSE_INSF_IJNSG_INSF_IJiiiiEEENSF_IJiiiSN_EEELb0EEEEEES1T_S1V_S1U_lEENS_32ThreadwiseTensorSliceTransfer_v2ISD_SD_RKS3R_KS1X_NS5_IJLi8ELi1ELi1ELi32EEEENS5_IJLi1ELi2ELi0ELi3EEEELi3ELi32ELi0ELb1ELb0ELb0EEENS3F_ILS3G_1EKSD_lLb1ELS3I_0EiEENSF_IJNS_12StaticBufferILS3G_4ESD_Li256ELb1EEES42_EEES3N_NS_25StaticBufferTupleOfVectorILS3G_4EfLi64ELi4ELb1ELb0EEEEEvRKT1_RKT2_RT3_RKT4_RT5_RKT6_RKT7_RT8_RKT9_RT10_RKT11_RT12_iENKUlT_T0_E_clINSH_IiLi0EEESN_EEDaS51_S52_ENKUlS51_E_clINSH_IiLi5EEEEEDaS51_EUlS51_E_EEvS51_EUlS51_E_EEvS51_, .Lfunc_end7-_ZNK2ck6detail7applierIiJLi0ELi1ELi2ELi3ELi4ELi5ELi6ELi7EEEclIZNKS_11static_fordINS_8SequenceIJLi1ELi8EEEENS5_IJLi0ELi1EEEEEclIZZZNKS_52BlockwiseGemmXdlops_pipeline_bpreshuffle_bdequant_v3ILNS_26BlockGemmPipelineSchedulerE0ELi256ENS_9f8_fnuz_tENS_7pk_i4_tESC_fNS_16TensorDescriptorINS_5TupleIJNS_5EmbedINSF_IJNS_17integral_constantIiLi8EEENSH_IiLi256EEENSH_IiLi16EEEEEENSF_IJSK_NSH_IiLi128EEENSH_IiLi1EEEEEELb0EEENS_3XorINSF_IJSJ_SI_EEELb1EEENS_11PassThroughISK_EENS_7UnMergeINSF_IJSI_SN_EEELb0EEENST_ISJ_EESU_NST_ISI_EENS_21Merge_v3_division_modINSF_IJSJ_SN_EEEEESU_EEENSF_IJNS5_IJLi0EEEENS5_IJLi2ELi1EEEENS5_IJLi3EEEENS5_IJLi5EEEENS5_IJLi4EEEENS5_IJLi6EEEENS5_IJLi7EEEENS5_IJLi9ELi8EEEENS5_IJLi10EEEEEEENSF_IJNS5_IJLi1ELi2ELi3EEEENS5_IJLi4ELi5EEEES19_NS5_IJLi7ELi8EEEENS5_IJLi9EEEES1C_NS5_IJLi11EEEENS5_IJLi12EEEENS5_IJLi13EEEEEEENS5_IJLi11ELi12ELi13EEEENSH_IlLl32768EEEEENSE_INSF_IJNSV_INSF_IJSI_SN_SN_NSH_IiLi32EEEEEELb0EEEEEENSF_IJS14_EEENSF_IJNS5_IJLi1ELi2ELi3ELi4EEEEEEES1U_NSH_IlLl256EEEEENSE_INSF_IJSP_SS_SU_SX_SY_SU_SZ_S12_SU_NS10_INSF_IJSI_SK_EEEEENSV_INSF_IJSI_NSH_IiLi2EEESK_EEELb0EEEEEENSF_IJS14_S15_S16_S17_S18_S19_S1A_S1B_S1C_NS5_IJLi11ELi13EEEES1J_EEENSF_IJS1E_S1F_S19_S1G_S1H_S1C_S1I_S1J_S1K_NS5_IJLi14EEEENS5_IJLi15ELi16ELi17EEEEEEENS5_IJLi15ELi16ELi17ELi14EEEES1N_EENSE_INSF_IJS1R_NS10_ISW_EES22_EEENSF_IJS14_NS5_IJLi1ELi3EEEENS5_IJLi2EEEEEEENSF_IJS1U_S17_NS5_IJLi6ELi7ELi8EEEEEEENS5_IJLi6ELi7ELi8ELi5EEEES1W_EELi16ELi32ELi256ELi256ELi128ELi16ELi16ELi8ELi8ELi32ELb0EE3RunILb1ELNS_10TailNumberE0ENSE_INSF_IJNSG_INSF_IJiiEEENSF_IJiSN_EEELb0EEENSV_IS2N_Lb0EEENST_IiEEEEENSF_IJS14_S2E_NS5_IJLi1EEEEEEENSF_IJNS5_IJLi1ELi2EEEENS5_IJLi3ELi4EEEES17_EEENS5_IJLi3ELi5ELi4EEEElEES1O_NS_35ThreadGroupTensorSliceTransfer_v4r1INS_15ThisThreadBlockILi256EEENS_16tensor_operation12element_wise11PassThroughES35_LNS_25InMemoryDataOperationEnumE0ENS5_IJLi8ELi256ELi16EEEENS5_IJLi8ELi32ELi1EEEENS5_IJLi1ELi0ELi2EEEESC_SC_RKS2Z_KS1O_S39_NS5_IJLi0ELi1ELi2EEEELi2ELi2ELi16ELi16ELi1ELi1ELb0ELb1ELi2EiEENS_13DynamicBufferILNS_16AddressSpaceEnumE1EKSC_lLb1ELNS_22AmdBufferCoherenceEnumE0EiEENSF_IJNS3F_ILS3G_2ESC_S1N_Lb1ELS3I_0EiEES3K_EEENSF_IJiiiEEENSE_INSF_IJNSG_INSF_IJiiiiEEENSF_IJiiiSN_EEELb0EEEEEES1T_S1V_S1U_lEENS_32ThreadwiseTensorSliceTransfer_v2ISD_SD_RKS3R_KS1X_NS5_IJLi8ELi1ELi1ELi32EEEENS5_IJLi1ELi2ELi0ELi3EEEELi3ELi32ELi0ELb1ELb0ELb0EEENS3F_ILS3G_1EKSD_lLb1ELS3I_0EiEENSF_IJNS_12StaticBufferILS3G_4ESD_Li256ELb1EEES42_EEES3N_NS_25StaticBufferTupleOfVectorILS3G_4EfLi64ELi4ELb1ELb0EEEEEvRKT1_RKT2_RT3_RKT4_RT5_RKT6_RKT7_RT8_RKT9_RT10_RKT11_RT12_iENKUlT_T0_E_clINSH_IiLi0EEESN_EEDaS51_S52_ENKUlS51_E_clINSH_IiLi5EEEEEDaS51_EUlS51_E_EEvS51_EUlS51_E_EEvS51_
                                        ; -- End function
	.section	.AMDGPU.csdata,"",@progbits
; Function info:
; codeLenInByte = 133608
; NumSgprs: 36
; NumVgprs: 26
; NumAgprs: 4
; TotalNumVgprs: 32
; ScratchSize: 0
; MemoryBound: 1
	.text
	.p2align	2                               ; -- Begin function _ZNK2ck6detail7applierIiJLi0ELi1ELi2ELi3ELi4ELi5ELi6ELi7EEEclIZNKS_11static_fordINS_8SequenceIJLi1ELi8EEEENS5_IJLi0ELi1EEEEEclIZZZNKS_52BlockwiseGemmXdlops_pipeline_bpreshuffle_bdequant_v3ILNS_26BlockGemmPipelineSchedulerE0ELi256ENS_9f8_fnuz_tENS_7pk_i4_tESC_fNS_16TensorDescriptorINS_5TupleIJNS_5EmbedINSF_IJNS_17integral_constantIiLi8EEENSH_IiLi256EEENSH_IiLi16EEEEEENSF_IJSK_NSH_IiLi128EEENSH_IiLi1EEEEEELb0EEENS_3XorINSF_IJSJ_SI_EEELb1EEENS_11PassThroughISK_EENS_7UnMergeINSF_IJSI_SN_EEELb0EEENST_ISJ_EESU_NST_ISI_EENS_21Merge_v3_division_modINSF_IJSJ_SN_EEEEESU_EEENSF_IJNS5_IJLi0EEEENS5_IJLi2ELi1EEEENS5_IJLi3EEEENS5_IJLi5EEEENS5_IJLi4EEEENS5_IJLi6EEEENS5_IJLi7EEEENS5_IJLi9ELi8EEEENS5_IJLi10EEEEEEENSF_IJNS5_IJLi1ELi2ELi3EEEENS5_IJLi4ELi5EEEES19_NS5_IJLi7ELi8EEEENS5_IJLi9EEEES1C_NS5_IJLi11EEEENS5_IJLi12EEEENS5_IJLi13EEEEEEENS5_IJLi11ELi12ELi13EEEENSH_IlLl32768EEEEENSE_INSF_IJNSV_INSF_IJSI_SN_SN_NSH_IiLi32EEEEEELb0EEEEEENSF_IJS14_EEENSF_IJNS5_IJLi1ELi2ELi3ELi4EEEEEEES1U_NSH_IlLl256EEEEENSE_INSF_IJSP_SS_SU_SX_SY_SU_SZ_S12_SU_NS10_INSF_IJSI_SK_EEEEENSV_INSF_IJSI_NSH_IiLi2EEESK_EEELb0EEEEEENSF_IJS14_S15_S16_S17_S18_S19_S1A_S1B_S1C_NS5_IJLi11ELi13EEEES1J_EEENSF_IJS1E_S1F_S19_S1G_S1H_S1C_S1I_S1J_S1K_NS5_IJLi14EEEENS5_IJLi15ELi16ELi17EEEEEEENS5_IJLi15ELi16ELi17ELi14EEEES1N_EENSE_INSF_IJS1R_NS10_ISW_EES22_EEENSF_IJS14_NS5_IJLi1ELi3EEEENS5_IJLi2EEEEEEENSF_IJS1U_S17_NS5_IJLi6ELi7ELi8EEEEEEENS5_IJLi6ELi7ELi8ELi5EEEES1W_EELi16ELi32ELi256ELi256ELi128ELi16ELi16ELi8ELi8ELi32ELb0EE3RunILb1ELNS_10TailNumberE0ENSE_INSF_IJNSG_INSF_IJiiEEENSF_IJiSN_EEELb0EEENSV_IS2N_Lb0EEENST_IiEEEEENSF_IJS14_S2E_NS5_IJLi1EEEEEEENSF_IJNS5_IJLi1ELi2EEEENS5_IJLi3ELi4EEEES17_EEENS5_IJLi3ELi5ELi4EEEElEES1O_NS_35ThreadGroupTensorSliceTransfer_v4r1INS_15ThisThreadBlockILi256EEENS_16tensor_operation12element_wise11PassThroughES35_LNS_25InMemoryDataOperationEnumE0ENS5_IJLi8ELi256ELi16EEEENS5_IJLi8ELi32ELi1EEEENS5_IJLi1ELi0ELi2EEEESC_SC_RKS2Z_KS1O_S39_NS5_IJLi0ELi1ELi2EEEELi2ELi2ELi16ELi16ELi1ELi1ELb0ELb1ELi2EiEENS_13DynamicBufferILNS_16AddressSpaceEnumE1EKSC_lLb1ELNS_22AmdBufferCoherenceEnumE0EiEENSF_IJNS3F_ILS3G_2ESC_S1N_Lb1ELS3I_0EiEES3K_EEENSF_IJiiiEEENSE_INSF_IJNSG_INSF_IJiiiiEEENSF_IJiiiSN_EEELb0EEEEEES1T_S1V_S1U_lEENS_32ThreadwiseTensorSliceTransfer_v2ISD_SD_RKS3R_KS1X_NS5_IJLi8ELi1ELi1ELi32EEEENS5_IJLi1ELi2ELi0ELi3EEEELi3ELi32ELi0ELb1ELb0ELb0EEENS3F_ILS3G_1EKSD_lLb1ELS3I_0EiEENSF_IJNS_12StaticBufferILS3G_4ESD_Li256ELb1EEES42_EEES3N_NS_25StaticBufferTupleOfVectorILS3G_4EfLi64ELi4ELb1ELb0EEEEEvRKT1_RKT2_RT3_RKT4_RT5_RKT6_RKT7_RT8_RKT9_RT10_RKT11_RT12_iENKUlT_T0_E_clINSH_IiLi0EEESN_EEDaS51_S52_ENKUlS51_E_clINSH_IiLi6EEEEEDaS51_EUlS51_E_EEvS51_EUlS51_E_EEvS51_
	.type	_ZNK2ck6detail7applierIiJLi0ELi1ELi2ELi3ELi4ELi5ELi6ELi7EEEclIZNKS_11static_fordINS_8SequenceIJLi1ELi8EEEENS5_IJLi0ELi1EEEEEclIZZZNKS_52BlockwiseGemmXdlops_pipeline_bpreshuffle_bdequant_v3ILNS_26BlockGemmPipelineSchedulerE0ELi256ENS_9f8_fnuz_tENS_7pk_i4_tESC_fNS_16TensorDescriptorINS_5TupleIJNS_5EmbedINSF_IJNS_17integral_constantIiLi8EEENSH_IiLi256EEENSH_IiLi16EEEEEENSF_IJSK_NSH_IiLi128EEENSH_IiLi1EEEEEELb0EEENS_3XorINSF_IJSJ_SI_EEELb1EEENS_11PassThroughISK_EENS_7UnMergeINSF_IJSI_SN_EEELb0EEENST_ISJ_EESU_NST_ISI_EENS_21Merge_v3_division_modINSF_IJSJ_SN_EEEEESU_EEENSF_IJNS5_IJLi0EEEENS5_IJLi2ELi1EEEENS5_IJLi3EEEENS5_IJLi5EEEENS5_IJLi4EEEENS5_IJLi6EEEENS5_IJLi7EEEENS5_IJLi9ELi8EEEENS5_IJLi10EEEEEEENSF_IJNS5_IJLi1ELi2ELi3EEEENS5_IJLi4ELi5EEEES19_NS5_IJLi7ELi8EEEENS5_IJLi9EEEES1C_NS5_IJLi11EEEENS5_IJLi12EEEENS5_IJLi13EEEEEEENS5_IJLi11ELi12ELi13EEEENSH_IlLl32768EEEEENSE_INSF_IJNSV_INSF_IJSI_SN_SN_NSH_IiLi32EEEEEELb0EEEEEENSF_IJS14_EEENSF_IJNS5_IJLi1ELi2ELi3ELi4EEEEEEES1U_NSH_IlLl256EEEEENSE_INSF_IJSP_SS_SU_SX_SY_SU_SZ_S12_SU_NS10_INSF_IJSI_SK_EEEEENSV_INSF_IJSI_NSH_IiLi2EEESK_EEELb0EEEEEENSF_IJS14_S15_S16_S17_S18_S19_S1A_S1B_S1C_NS5_IJLi11ELi13EEEES1J_EEENSF_IJS1E_S1F_S19_S1G_S1H_S1C_S1I_S1J_S1K_NS5_IJLi14EEEENS5_IJLi15ELi16ELi17EEEEEEENS5_IJLi15ELi16ELi17ELi14EEEES1N_EENSE_INSF_IJS1R_NS10_ISW_EES22_EEENSF_IJS14_NS5_IJLi1ELi3EEEENS5_IJLi2EEEEEEENSF_IJS1U_S17_NS5_IJLi6ELi7ELi8EEEEEEENS5_IJLi6ELi7ELi8ELi5EEEES1W_EELi16ELi32ELi256ELi256ELi128ELi16ELi16ELi8ELi8ELi32ELb0EE3RunILb1ELNS_10TailNumberE0ENSE_INSF_IJNSG_INSF_IJiiEEENSF_IJiSN_EEELb0EEENSV_IS2N_Lb0EEENST_IiEEEEENSF_IJS14_S2E_NS5_IJLi1EEEEEEENSF_IJNS5_IJLi1ELi2EEEENS5_IJLi3ELi4EEEES17_EEENS5_IJLi3ELi5ELi4EEEElEES1O_NS_35ThreadGroupTensorSliceTransfer_v4r1INS_15ThisThreadBlockILi256EEENS_16tensor_operation12element_wise11PassThroughES35_LNS_25InMemoryDataOperationEnumE0ENS5_IJLi8ELi256ELi16EEEENS5_IJLi8ELi32ELi1EEEENS5_IJLi1ELi0ELi2EEEESC_SC_RKS2Z_KS1O_S39_NS5_IJLi0ELi1ELi2EEEELi2ELi2ELi16ELi16ELi1ELi1ELb0ELb1ELi2EiEENS_13DynamicBufferILNS_16AddressSpaceEnumE1EKSC_lLb1ELNS_22AmdBufferCoherenceEnumE0EiEENSF_IJNS3F_ILS3G_2ESC_S1N_Lb1ELS3I_0EiEES3K_EEENSF_IJiiiEEENSE_INSF_IJNSG_INSF_IJiiiiEEENSF_IJiiiSN_EEELb0EEEEEES1T_S1V_S1U_lEENS_32ThreadwiseTensorSliceTransfer_v2ISD_SD_RKS3R_KS1X_NS5_IJLi8ELi1ELi1ELi32EEEENS5_IJLi1ELi2ELi0ELi3EEEELi3ELi32ELi0ELb1ELb0ELb0EEENS3F_ILS3G_1EKSD_lLb1ELS3I_0EiEENSF_IJNS_12StaticBufferILS3G_4ESD_Li256ELb1EEES42_EEES3N_NS_25StaticBufferTupleOfVectorILS3G_4EfLi64ELi4ELb1ELb0EEEEEvRKT1_RKT2_RT3_RKT4_RT5_RKT6_RKT7_RT8_RKT9_RT10_RKT11_RT12_iENKUlT_T0_E_clINSH_IiLi0EEESN_EEDaS51_S52_ENKUlS51_E_clINSH_IiLi6EEEEEDaS51_EUlS51_E_EEvS51_EUlS51_E_EEvS51_,@function
_ZNK2ck6detail7applierIiJLi0ELi1ELi2ELi3ELi4ELi5ELi6ELi7EEEclIZNKS_11static_fordINS_8SequenceIJLi1ELi8EEEENS5_IJLi0ELi1EEEEEclIZZZNKS_52BlockwiseGemmXdlops_pipeline_bpreshuffle_bdequant_v3ILNS_26BlockGemmPipelineSchedulerE0ELi256ENS_9f8_fnuz_tENS_7pk_i4_tESC_fNS_16TensorDescriptorINS_5TupleIJNS_5EmbedINSF_IJNS_17integral_constantIiLi8EEENSH_IiLi256EEENSH_IiLi16EEEEEENSF_IJSK_NSH_IiLi128EEENSH_IiLi1EEEEEELb0EEENS_3XorINSF_IJSJ_SI_EEELb1EEENS_11PassThroughISK_EENS_7UnMergeINSF_IJSI_SN_EEELb0EEENST_ISJ_EESU_NST_ISI_EENS_21Merge_v3_division_modINSF_IJSJ_SN_EEEEESU_EEENSF_IJNS5_IJLi0EEEENS5_IJLi2ELi1EEEENS5_IJLi3EEEENS5_IJLi5EEEENS5_IJLi4EEEENS5_IJLi6EEEENS5_IJLi7EEEENS5_IJLi9ELi8EEEENS5_IJLi10EEEEEEENSF_IJNS5_IJLi1ELi2ELi3EEEENS5_IJLi4ELi5EEEES19_NS5_IJLi7ELi8EEEENS5_IJLi9EEEES1C_NS5_IJLi11EEEENS5_IJLi12EEEENS5_IJLi13EEEEEEENS5_IJLi11ELi12ELi13EEEENSH_IlLl32768EEEEENSE_INSF_IJNSV_INSF_IJSI_SN_SN_NSH_IiLi32EEEEEELb0EEEEEENSF_IJS14_EEENSF_IJNS5_IJLi1ELi2ELi3ELi4EEEEEEES1U_NSH_IlLl256EEEEENSE_INSF_IJSP_SS_SU_SX_SY_SU_SZ_S12_SU_NS10_INSF_IJSI_SK_EEEEENSV_INSF_IJSI_NSH_IiLi2EEESK_EEELb0EEEEEENSF_IJS14_S15_S16_S17_S18_S19_S1A_S1B_S1C_NS5_IJLi11ELi13EEEES1J_EEENSF_IJS1E_S1F_S19_S1G_S1H_S1C_S1I_S1J_S1K_NS5_IJLi14EEEENS5_IJLi15ELi16ELi17EEEEEEENS5_IJLi15ELi16ELi17ELi14EEEES1N_EENSE_INSF_IJS1R_NS10_ISW_EES22_EEENSF_IJS14_NS5_IJLi1ELi3EEEENS5_IJLi2EEEEEEENSF_IJS1U_S17_NS5_IJLi6ELi7ELi8EEEEEEENS5_IJLi6ELi7ELi8ELi5EEEES1W_EELi16ELi32ELi256ELi256ELi128ELi16ELi16ELi8ELi8ELi32ELb0EE3RunILb1ELNS_10TailNumberE0ENSE_INSF_IJNSG_INSF_IJiiEEENSF_IJiSN_EEELb0EEENSV_IS2N_Lb0EEENST_IiEEEEENSF_IJS14_S2E_NS5_IJLi1EEEEEEENSF_IJNS5_IJLi1ELi2EEEENS5_IJLi3ELi4EEEES17_EEENS5_IJLi3ELi5ELi4EEEElEES1O_NS_35ThreadGroupTensorSliceTransfer_v4r1INS_15ThisThreadBlockILi256EEENS_16tensor_operation12element_wise11PassThroughES35_LNS_25InMemoryDataOperationEnumE0ENS5_IJLi8ELi256ELi16EEEENS5_IJLi8ELi32ELi1EEEENS5_IJLi1ELi0ELi2EEEESC_SC_RKS2Z_KS1O_S39_NS5_IJLi0ELi1ELi2EEEELi2ELi2ELi16ELi16ELi1ELi1ELb0ELb1ELi2EiEENS_13DynamicBufferILNS_16AddressSpaceEnumE1EKSC_lLb1ELNS_22AmdBufferCoherenceEnumE0EiEENSF_IJNS3F_ILS3G_2ESC_S1N_Lb1ELS3I_0EiEES3K_EEENSF_IJiiiEEENSE_INSF_IJNSG_INSF_IJiiiiEEENSF_IJiiiSN_EEELb0EEEEEES1T_S1V_S1U_lEENS_32ThreadwiseTensorSliceTransfer_v2ISD_SD_RKS3R_KS1X_NS5_IJLi8ELi1ELi1ELi32EEEENS5_IJLi1ELi2ELi0ELi3EEEELi3ELi32ELi0ELb1ELb0ELb0EEENS3F_ILS3G_1EKSD_lLb1ELS3I_0EiEENSF_IJNS_12StaticBufferILS3G_4ESD_Li256ELb1EEES42_EEES3N_NS_25StaticBufferTupleOfVectorILS3G_4EfLi64ELi4ELb1ELb0EEEEEvRKT1_RKT2_RT3_RKT4_RT5_RKT6_RKT7_RT8_RKT9_RT10_RKT11_RT12_iENKUlT_T0_E_clINSH_IiLi0EEESN_EEDaS51_S52_ENKUlS51_E_clINSH_IiLi6EEEEEDaS51_EUlS51_E_EEvS51_EUlS51_E_EEvS51_: ; @_ZNK2ck6detail7applierIiJLi0ELi1ELi2ELi3ELi4ELi5ELi6ELi7EEEclIZNKS_11static_fordINS_8SequenceIJLi1ELi8EEEENS5_IJLi0ELi1EEEEEclIZZZNKS_52BlockwiseGemmXdlops_pipeline_bpreshuffle_bdequant_v3ILNS_26BlockGemmPipelineSchedulerE0ELi256ENS_9f8_fnuz_tENS_7pk_i4_tESC_fNS_16TensorDescriptorINS_5TupleIJNS_5EmbedINSF_IJNS_17integral_constantIiLi8EEENSH_IiLi256EEENSH_IiLi16EEEEEENSF_IJSK_NSH_IiLi128EEENSH_IiLi1EEEEEELb0EEENS_3XorINSF_IJSJ_SI_EEELb1EEENS_11PassThroughISK_EENS_7UnMergeINSF_IJSI_SN_EEELb0EEENST_ISJ_EESU_NST_ISI_EENS_21Merge_v3_division_modINSF_IJSJ_SN_EEEEESU_EEENSF_IJNS5_IJLi0EEEENS5_IJLi2ELi1EEEENS5_IJLi3EEEENS5_IJLi5EEEENS5_IJLi4EEEENS5_IJLi6EEEENS5_IJLi7EEEENS5_IJLi9ELi8EEEENS5_IJLi10EEEEEEENSF_IJNS5_IJLi1ELi2ELi3EEEENS5_IJLi4ELi5EEEES19_NS5_IJLi7ELi8EEEENS5_IJLi9EEEES1C_NS5_IJLi11EEEENS5_IJLi12EEEENS5_IJLi13EEEEEEENS5_IJLi11ELi12ELi13EEEENSH_IlLl32768EEEEENSE_INSF_IJNSV_INSF_IJSI_SN_SN_NSH_IiLi32EEEEEELb0EEEEEENSF_IJS14_EEENSF_IJNS5_IJLi1ELi2ELi3ELi4EEEEEEES1U_NSH_IlLl256EEEEENSE_INSF_IJSP_SS_SU_SX_SY_SU_SZ_S12_SU_NS10_INSF_IJSI_SK_EEEEENSV_INSF_IJSI_NSH_IiLi2EEESK_EEELb0EEEEEENSF_IJS14_S15_S16_S17_S18_S19_S1A_S1B_S1C_NS5_IJLi11ELi13EEEES1J_EEENSF_IJS1E_S1F_S19_S1G_S1H_S1C_S1I_S1J_S1K_NS5_IJLi14EEEENS5_IJLi15ELi16ELi17EEEEEEENS5_IJLi15ELi16ELi17ELi14EEEES1N_EENSE_INSF_IJS1R_NS10_ISW_EES22_EEENSF_IJS14_NS5_IJLi1ELi3EEEENS5_IJLi2EEEEEEENSF_IJS1U_S17_NS5_IJLi6ELi7ELi8EEEEEEENS5_IJLi6ELi7ELi8ELi5EEEES1W_EELi16ELi32ELi256ELi256ELi128ELi16ELi16ELi8ELi8ELi32ELb0EE3RunILb1ELNS_10TailNumberE0ENSE_INSF_IJNSG_INSF_IJiiEEENSF_IJiSN_EEELb0EEENSV_IS2N_Lb0EEENST_IiEEEEENSF_IJS14_S2E_NS5_IJLi1EEEEEEENSF_IJNS5_IJLi1ELi2EEEENS5_IJLi3ELi4EEEES17_EEENS5_IJLi3ELi5ELi4EEEElEES1O_NS_35ThreadGroupTensorSliceTransfer_v4r1INS_15ThisThreadBlockILi256EEENS_16tensor_operation12element_wise11PassThroughES35_LNS_25InMemoryDataOperationEnumE0ENS5_IJLi8ELi256ELi16EEEENS5_IJLi8ELi32ELi1EEEENS5_IJLi1ELi0ELi2EEEESC_SC_RKS2Z_KS1O_S39_NS5_IJLi0ELi1ELi2EEEELi2ELi2ELi16ELi16ELi1ELi1ELb0ELb1ELi2EiEENS_13DynamicBufferILNS_16AddressSpaceEnumE1EKSC_lLb1ELNS_22AmdBufferCoherenceEnumE0EiEENSF_IJNS3F_ILS3G_2ESC_S1N_Lb1ELS3I_0EiEES3K_EEENSF_IJiiiEEENSE_INSF_IJNSG_INSF_IJiiiiEEENSF_IJiiiSN_EEELb0EEEEEES1T_S1V_S1U_lEENS_32ThreadwiseTensorSliceTransfer_v2ISD_SD_RKS3R_KS1X_NS5_IJLi8ELi1ELi1ELi32EEEENS5_IJLi1ELi2ELi0ELi3EEEELi3ELi32ELi0ELb1ELb0ELb0EEENS3F_ILS3G_1EKSD_lLb1ELS3I_0EiEENSF_IJNS_12StaticBufferILS3G_4ESD_Li256ELb1EEES42_EEES3N_NS_25StaticBufferTupleOfVectorILS3G_4EfLi64ELi4ELb1ELb0EEEEEvRKT1_RKT2_RT3_RKT4_RT5_RKT6_RKT7_RT8_RKT9_RT10_RKT11_RT12_iENKUlT_T0_E_clINSH_IiLi0EEESN_EEDaS51_S52_ENKUlS51_E_clINSH_IiLi6EEEEEDaS51_EUlS51_E_EEvS51_EUlS51_E_EEvS51_
; %bb.0:
	s_waitcnt vmcnt(0) expcnt(0) lgkmcnt(0)
	flat_load_dwordx4 v[20:23], v[0:1] offset:16
	flat_load_dwordx2 v[18:19], v[0:1] offset:32
	s_movk_i32 s4, 0x7f
                                        ; implicit-def: $sgpr10
	s_waitcnt vmcnt(0) lgkmcnt(0)
	flat_load_dwordx4 v[14:17], v[20:21]
	flat_load_dwordx4 v[10:13], v[22:23]
	flat_load_dwordx4 v[6:9], v[20:21] offset:16
	flat_load_dwordx4 v[2:5], v[22:23] offset:16
	s_waitcnt vmcnt(0) lgkmcnt(0)
	v_cmp_gt_i16_sdwa s[6:7], v14, s4 src0_sel:BYTE_0 src1_sel:DWORD
	s_mov_b64 s[4:5], 0
	s_and_saveexec_b64 s[8:9], s[6:7]
	s_xor_b64 s[6:7], exec, s[8:9]
	s_cbranch_execnz .LBB8_2049
; %bb.1:
	s_or_saveexec_b64 s[6:7], s[6:7]
	v_mov_b32_e32 v20, s10
	s_xor_b64 exec, exec, s[6:7]
	s_cbranch_execnz .LBB8_2052
.LBB8_2:
	s_or_b64 exec, exec, s[6:7]
	s_and_saveexec_b64 s[6:7], s[4:5]
	s_cbranch_execz .LBB8_4
.LBB8_3:
	v_and_b32_e32 v20, 7, v14
	v_ffbh_u32_e32 v22, v20
	v_min_u32_e32 v22, 32, v22
	v_lshrrev_b16_e32 v21, 3, v14
	v_subrev_u32_e32 v23, 28, v22
	v_and_b32_e32 v21, 15, v21
	v_lshlrev_b32_e32 v23, v23, v14
	v_sub_u32_e32 v22, 29, v22
	v_and_b32_e32 v23, 7, v23
	v_cmp_eq_u16_e32 vcc, 0, v21
	v_cndmask_b32_e32 v20, v20, v23, vcc
	v_cndmask_b32_e32 v21, v21, v22, vcc
	v_lshlrev_b32_e32 v22, 24, v14
	v_mov_b32_e32 v23, 0x3b800000
	v_lshlrev_b32_e32 v20, 20, v20
	v_and_b32_e32 v22, 0x80000000, v22
	v_lshl_add_u32 v21, v21, 23, v23
	v_or3_b32 v20, v22, v21, v20
.LBB8_4:
	s_or_b64 exec, exec, s[6:7]
	s_movk_i32 s4, 0x7f
	v_cmp_gt_i16_sdwa s[6:7], v10, s4 src0_sel:BYTE_0 src1_sel:DWORD
	s_mov_b64 s[4:5], 0
                                        ; implicit-def: $sgpr10
	s_and_saveexec_b64 s[8:9], s[6:7]
	s_xor_b64 s[6:7], exec, s[8:9]
	s_cbranch_execnz .LBB8_2053
; %bb.5:
	s_or_saveexec_b64 s[6:7], s[6:7]
	v_mov_b32_e32 v21, s10
	s_xor_b64 exec, exec, s[6:7]
	s_cbranch_execnz .LBB8_2056
.LBB8_6:
	s_or_b64 exec, exec, s[6:7]
	s_and_saveexec_b64 s[6:7], s[4:5]
	s_cbranch_execz .LBB8_8
.LBB8_7:
	v_and_b32_e32 v21, 7, v10
	v_ffbh_u32_e32 v23, v21
	v_min_u32_e32 v23, 32, v23
	v_lshrrev_b16_e32 v22, 3, v10
	v_subrev_u32_e32 v24, 28, v23
	v_and_b32_e32 v22, 15, v22
	v_lshlrev_b32_e32 v24, v24, v10
	v_sub_u32_e32 v23, 29, v23
	v_and_b32_e32 v24, 7, v24
	v_cmp_eq_u16_e32 vcc, 0, v22
	v_cndmask_b32_e32 v21, v21, v24, vcc
	v_cndmask_b32_e32 v22, v22, v23, vcc
	v_lshlrev_b32_e32 v23, 24, v10
	v_mov_b32_e32 v24, 0x3b800000
	v_lshlrev_b32_e32 v21, 20, v21
	v_and_b32_e32 v23, 0x80000000, v23
	v_lshl_add_u32 v22, v22, 23, v24
	v_or3_b32 v21, v23, v22, v21
.LBB8_8:
	s_or_b64 exec, exec, s[6:7]
	flat_load_dwordx4 a[0:3], v[18:19] offset:768
	s_movk_i32 s4, 0x7f
                                        ; implicit-def: $sgpr10
	s_waitcnt vmcnt(0) lgkmcnt(0)
	v_mfma_f32_16x16x4f32 a[0:3], v20, v21, a[0:3]
	v_lshrrev_b32_e32 v21, 8, v14
	v_cmp_gt_i16_sdwa s[6:7], v21, s4 src0_sel:BYTE_0 src1_sel:DWORD
	s_mov_b64 s[4:5], 0
	s_and_saveexec_b64 s[8:9], s[6:7]
	s_xor_b64 s[6:7], exec, s[8:9]
	s_cbranch_execnz .LBB8_2057
; %bb.9:
	s_or_saveexec_b64 s[6:7], s[6:7]
	v_mov_b32_e32 v20, s10
	s_xor_b64 exec, exec, s[6:7]
	s_cbranch_execnz .LBB8_2060
.LBB8_10:
	s_or_b64 exec, exec, s[6:7]
	s_and_saveexec_b64 s[6:7], s[4:5]
	s_cbranch_execz .LBB8_12
.LBB8_11:
	v_bfe_u32 v20, v14, 8, 3
	v_ffbh_u32_e32 v23, v20
	v_min_u32_e32 v23, 32, v23
	v_lshrrev_b16_e32 v22, 3, v21
	v_subrev_u32_e32 v24, 28, v23
	v_and_b32_e32 v22, 15, v22
	v_lshlrev_b32_e32 v21, v24, v21
	v_sub_u32_e32 v23, 29, v23
	v_and_b32_e32 v21, 7, v21
	v_cmp_eq_u16_e32 vcc, 0, v22
	v_cndmask_b32_e32 v20, v20, v21, vcc
	v_cndmask_b32_e32 v21, v22, v23, vcc
	v_lshlrev_b32_e32 v22, 16, v14
	v_mov_b32_e32 v23, 0x3b800000
	v_lshlrev_b32_e32 v20, 20, v20
	v_and_b32_e32 v22, 0x80000000, v22
	v_lshl_add_u32 v21, v21, 23, v23
	v_or3_b32 v20, v22, v21, v20
.LBB8_12:
	s_or_b64 exec, exec, s[6:7]
	v_lshrrev_b32_e32 v21, 8, v10
	s_movk_i32 s4, 0x7f
	v_cmp_gt_i16_sdwa s[6:7], v21, s4 src0_sel:BYTE_0 src1_sel:DWORD
	s_mov_b64 s[4:5], 0
                                        ; implicit-def: $sgpr10
	s_and_saveexec_b64 s[8:9], s[6:7]
	s_xor_b64 s[6:7], exec, s[8:9]
	s_cbranch_execnz .LBB8_2061
; %bb.13:
	s_or_saveexec_b64 s[6:7], s[6:7]
	v_mov_b32_e32 v22, s10
	s_xor_b64 exec, exec, s[6:7]
	s_cbranch_execnz .LBB8_2064
.LBB8_14:
	s_or_b64 exec, exec, s[6:7]
	s_and_saveexec_b64 s[6:7], s[4:5]
	s_cbranch_execz .LBB8_16
.LBB8_15:
	v_bfe_u32 v22, v10, 8, 3
	v_ffbh_u32_e32 v24, v22
	v_min_u32_e32 v24, 32, v24
	v_lshrrev_b16_e32 v23, 3, v21
	v_subrev_u32_e32 v25, 28, v24
	v_and_b32_e32 v23, 15, v23
	v_lshlrev_b32_e32 v21, v25, v21
	v_sub_u32_e32 v24, 29, v24
	v_and_b32_e32 v21, 7, v21
	v_cmp_eq_u16_e32 vcc, 0, v23
	v_cndmask_b32_e32 v21, v22, v21, vcc
	v_cndmask_b32_e32 v22, v23, v24, vcc
	v_lshlrev_b32_e32 v23, 16, v10
	v_mov_b32_e32 v24, 0x3b800000
	v_lshlrev_b32_e32 v21, 20, v21
	v_and_b32_e32 v23, 0x80000000, v23
	v_lshl_add_u32 v22, v22, 23, v24
	v_or3_b32 v22, v23, v22, v21
.LBB8_16:
	s_or_b64 exec, exec, s[6:7]
	s_nop 0
	v_mfma_f32_16x16x4f32 a[0:3], v20, v22, a[0:3]
	s_movk_i32 s4, 0xff
	v_and_b32_sdwa v21, v14, s4 dst_sel:DWORD dst_unused:UNUSED_PAD src0_sel:WORD_1 src1_sel:DWORD
	s_movk_i32 s4, 0x7f
	v_cmp_lt_i16_e32 vcc, s4, v21
	s_mov_b64 s[4:5], 0
                                        ; implicit-def: $sgpr10
	s_and_saveexec_b64 s[6:7], vcc
	s_xor_b64 s[6:7], exec, s[6:7]
	s_cbranch_execnz .LBB8_2065
; %bb.17:
	s_or_saveexec_b64 s[6:7], s[6:7]
	v_mov_b32_e32 v20, s10
	s_xor_b64 exec, exec, s[6:7]
	s_cbranch_execnz .LBB8_2068
.LBB8_18:
	s_or_b64 exec, exec, s[6:7]
	s_and_saveexec_b64 s[6:7], s[4:5]
	s_cbranch_execz .LBB8_20
.LBB8_19:
	v_bfe_u32 v20, v14, 16, 3
	v_ffbh_u32_e32 v23, v20
	v_min_u32_e32 v23, 32, v23
	v_lshrrev_b32_e32 v21, 19, v14
	v_subrev_u32_e32 v24, 28, v23
	v_and_b32_e32 v21, 15, v21
	v_lshlrev_b32_sdwa v24, v24, v14 dst_sel:DWORD dst_unused:UNUSED_PAD src0_sel:DWORD src1_sel:WORD_1
	v_bfe_u32 v22, v14, 19, 4
	v_sub_u32_e32 v23, 29, v23
	v_and_b32_e32 v24, 7, v24
	v_cmp_eq_u16_e32 vcc, 0, v21
	v_cndmask_b32_e32 v20, v20, v24, vcc
	v_cndmask_b32_e32 v21, v22, v23, vcc
	v_lshlrev_b32_e32 v22, 8, v14
	v_mov_b32_e32 v23, 0x3b800000
	v_lshlrev_b32_e32 v20, 20, v20
	v_and_b32_e32 v22, 0x80000000, v22
	v_lshl_add_u32 v21, v21, 23, v23
	v_or3_b32 v20, v22, v21, v20
.LBB8_20:
	s_or_b64 exec, exec, s[6:7]
	s_movk_i32 s4, 0xff
	v_and_b32_sdwa v21, v10, s4 dst_sel:DWORD dst_unused:UNUSED_PAD src0_sel:WORD_1 src1_sel:DWORD
	s_movk_i32 s4, 0x7f
	v_cmp_lt_i16_e32 vcc, s4, v21
	s_mov_b64 s[4:5], 0
                                        ; implicit-def: $sgpr10
	s_and_saveexec_b64 s[6:7], vcc
	s_xor_b64 s[6:7], exec, s[6:7]
	s_cbranch_execnz .LBB8_2069
; %bb.21:
	s_or_saveexec_b64 s[6:7], s[6:7]
	v_mov_b32_e32 v22, s10
	s_xor_b64 exec, exec, s[6:7]
	s_cbranch_execnz .LBB8_2072
.LBB8_22:
	s_or_b64 exec, exec, s[6:7]
	s_and_saveexec_b64 s[6:7], s[4:5]
	s_cbranch_execz .LBB8_24
.LBB8_23:
	v_bfe_u32 v21, v10, 16, 3
	v_ffbh_u32_e32 v24, v21
	v_min_u32_e32 v24, 32, v24
	v_lshrrev_b32_e32 v22, 19, v10
	v_subrev_u32_e32 v25, 28, v24
	v_and_b32_e32 v22, 15, v22
	v_lshlrev_b32_sdwa v25, v25, v10 dst_sel:DWORD dst_unused:UNUSED_PAD src0_sel:DWORD src1_sel:WORD_1
	v_bfe_u32 v23, v10, 19, 4
	v_sub_u32_e32 v24, 29, v24
	v_and_b32_e32 v25, 7, v25
	v_cmp_eq_u16_e32 vcc, 0, v22
	v_cndmask_b32_e32 v21, v21, v25, vcc
	v_cndmask_b32_e32 v22, v23, v24, vcc
	v_lshlrev_b32_e32 v23, 8, v10
	v_mov_b32_e32 v24, 0x3b800000
	v_lshlrev_b32_e32 v21, 20, v21
	v_and_b32_e32 v23, 0x80000000, v23
	v_lshl_add_u32 v22, v22, 23, v24
	v_or3_b32 v22, v23, v22, v21
.LBB8_24:
	s_or_b64 exec, exec, s[6:7]
	s_nop 0
	v_mfma_f32_16x16x4f32 a[0:3], v20, v22, a[0:3]
	s_movk_i32 s4, 0x7f
	v_cmp_gt_i16_sdwa s[6:7], v14, s4 src0_sel:BYTE_3 src1_sel:DWORD
	s_mov_b64 s[4:5], 0
                                        ; implicit-def: $sgpr10
	s_and_saveexec_b64 s[8:9], s[6:7]
	s_xor_b64 s[6:7], exec, s[8:9]
	s_cbranch_execnz .LBB8_2073
; %bb.25:
	s_or_saveexec_b64 s[6:7], s[6:7]
	v_mov_b32_e32 v20, s10
	s_xor_b64 exec, exec, s[6:7]
	s_cbranch_execnz .LBB8_2076
.LBB8_26:
	s_or_b64 exec, exec, s[6:7]
	s_and_saveexec_b64 s[6:7], s[4:5]
	s_cbranch_execz .LBB8_28
.LBB8_27:
	v_bfe_u32 v20, v14, 24, 3
	v_ffbh_u32_e32 v24, v20
	v_min_u32_e32 v24, 32, v24
	v_lshrrev_b32_e32 v22, 27, v14
	v_subrev_u32_e32 v25, 28, v24
	v_and_b32_e32 v21, 0x80000000, v14
	v_and_b32_e32 v22, 15, v22
	v_bfe_u32 v23, v14, 27, 4
	v_lshlrev_b32_sdwa v14, v25, v14 dst_sel:DWORD dst_unused:UNUSED_PAD src0_sel:DWORD src1_sel:BYTE_3
	v_sub_u32_e32 v24, 29, v24
	v_and_b32_e32 v14, 7, v14
	v_cmp_eq_u16_e32 vcc, 0, v22
	v_cndmask_b32_e32 v14, v20, v14, vcc
	v_cndmask_b32_e32 v20, v23, v24, vcc
	v_mov_b32_e32 v22, 0x3b800000
	v_lshlrev_b32_e32 v14, 20, v14
	v_lshl_add_u32 v20, v20, 23, v22
	v_or3_b32 v20, v21, v20, v14
.LBB8_28:
	s_or_b64 exec, exec, s[6:7]
	s_movk_i32 s4, 0x7f
	v_cmp_gt_i16_sdwa s[6:7], v10, s4 src0_sel:BYTE_3 src1_sel:DWORD
	s_mov_b64 s[4:5], 0
                                        ; implicit-def: $sgpr10
	s_and_saveexec_b64 s[8:9], s[6:7]
	s_xor_b64 s[6:7], exec, s[8:9]
	s_cbranch_execnz .LBB8_2077
; %bb.29:
	s_or_saveexec_b64 s[6:7], s[6:7]
	v_mov_b32_e32 v14, s10
	s_xor_b64 exec, exec, s[6:7]
	s_cbranch_execnz .LBB8_2080
.LBB8_30:
	s_or_b64 exec, exec, s[6:7]
	s_and_saveexec_b64 s[6:7], s[4:5]
	s_cbranch_execz .LBB8_32
.LBB8_31:
	v_bfe_u32 v14, v10, 24, 3
	v_ffbh_u32_e32 v24, v14
	v_min_u32_e32 v24, 32, v24
	v_lshrrev_b32_e32 v22, 27, v10
	v_subrev_u32_e32 v25, 28, v24
	v_and_b32_e32 v21, 0x80000000, v10
	v_and_b32_e32 v22, 15, v22
	v_bfe_u32 v23, v10, 27, 4
	v_lshlrev_b32_sdwa v10, v25, v10 dst_sel:DWORD dst_unused:UNUSED_PAD src0_sel:DWORD src1_sel:BYTE_3
	v_sub_u32_e32 v24, 29, v24
	v_and_b32_e32 v10, 7, v10
	v_cmp_eq_u16_e32 vcc, 0, v22
	v_cndmask_b32_e32 v10, v14, v10, vcc
	v_cndmask_b32_e32 v14, v23, v24, vcc
	v_mov_b32_e32 v22, 0x3b800000
	v_lshlrev_b32_e32 v10, 20, v10
	v_lshl_add_u32 v14, v14, 23, v22
	v_or3_b32 v14, v21, v14, v10
.LBB8_32:
	s_or_b64 exec, exec, s[6:7]
	s_nop 0
	v_mfma_f32_16x16x4f32 a[0:3], v20, v14, a[0:3]
	s_movk_i32 s4, 0x7f
	v_cmp_gt_i16_sdwa s[6:7], v15, s4 src0_sel:BYTE_0 src1_sel:DWORD
	s_mov_b64 s[4:5], 0
                                        ; implicit-def: $sgpr10
	s_and_saveexec_b64 s[8:9], s[6:7]
	s_xor_b64 s[6:7], exec, s[8:9]
	s_cbranch_execnz .LBB8_2081
; %bb.33:
	s_or_saveexec_b64 s[6:7], s[6:7]
	v_mov_b32_e32 v10, s10
	s_xor_b64 exec, exec, s[6:7]
	s_cbranch_execnz .LBB8_2084
.LBB8_34:
	s_or_b64 exec, exec, s[6:7]
	s_and_saveexec_b64 s[6:7], s[4:5]
	s_cbranch_execz .LBB8_36
.LBB8_35:
	v_and_b32_e32 v10, 7, v15
	v_ffbh_u32_e32 v20, v10
	v_min_u32_e32 v20, 32, v20
	v_lshrrev_b16_e32 v14, 3, v15
	v_subrev_u32_e32 v21, 28, v20
	v_and_b32_e32 v14, 15, v14
	v_lshlrev_b32_e32 v21, v21, v15
	v_sub_u32_e32 v20, 29, v20
	v_and_b32_e32 v21, 7, v21
	v_cmp_eq_u16_e32 vcc, 0, v14
	v_cndmask_b32_e32 v10, v10, v21, vcc
	v_cndmask_b32_e32 v14, v14, v20, vcc
	v_lshlrev_b32_e32 v20, 24, v15
	v_mov_b32_e32 v21, 0x3b800000
	v_lshlrev_b32_e32 v10, 20, v10
	v_and_b32_e32 v20, 0x80000000, v20
	v_lshl_add_u32 v14, v14, 23, v21
	v_or3_b32 v10, v20, v14, v10
.LBB8_36:
	s_or_b64 exec, exec, s[6:7]
	s_movk_i32 s4, 0x7f
	v_cmp_gt_i16_sdwa s[6:7], v11, s4 src0_sel:BYTE_0 src1_sel:DWORD
	s_mov_b64 s[4:5], 0
                                        ; implicit-def: $sgpr10
	s_and_saveexec_b64 s[8:9], s[6:7]
	s_xor_b64 s[6:7], exec, s[8:9]
	s_cbranch_execnz .LBB8_2085
; %bb.37:
	s_or_saveexec_b64 s[6:7], s[6:7]
	v_mov_b32_e32 v14, s10
	s_xor_b64 exec, exec, s[6:7]
	s_cbranch_execnz .LBB8_2088
.LBB8_38:
	s_or_b64 exec, exec, s[6:7]
	s_and_saveexec_b64 s[6:7], s[4:5]
	s_cbranch_execz .LBB8_40
.LBB8_39:
	v_and_b32_e32 v14, 7, v11
	v_ffbh_u32_e32 v21, v14
	v_min_u32_e32 v21, 32, v21
	v_lshrrev_b16_e32 v20, 3, v11
	v_subrev_u32_e32 v22, 28, v21
	v_and_b32_e32 v20, 15, v20
	v_lshlrev_b32_e32 v22, v22, v11
	v_sub_u32_e32 v21, 29, v21
	v_and_b32_e32 v22, 7, v22
	v_cmp_eq_u16_e32 vcc, 0, v20
	v_cndmask_b32_e32 v14, v14, v22, vcc
	v_cndmask_b32_e32 v20, v20, v21, vcc
	v_lshlrev_b32_e32 v21, 24, v11
	v_mov_b32_e32 v22, 0x3b800000
	v_lshlrev_b32_e32 v14, 20, v14
	v_and_b32_e32 v21, 0x80000000, v21
	v_lshl_add_u32 v20, v20, 23, v22
	v_or3_b32 v14, v21, v20, v14
.LBB8_40:
	s_or_b64 exec, exec, s[6:7]
	s_nop 0
	v_mfma_f32_16x16x4f32 a[0:3], v10, v14, a[0:3]
	v_lshrrev_b32_e32 v14, 8, v15
	s_movk_i32 s4, 0x7f
	v_cmp_gt_i16_sdwa s[6:7], v14, s4 src0_sel:BYTE_0 src1_sel:DWORD
	s_mov_b64 s[4:5], 0
                                        ; implicit-def: $sgpr10
	s_and_saveexec_b64 s[8:9], s[6:7]
	s_xor_b64 s[6:7], exec, s[8:9]
	s_cbranch_execnz .LBB8_2089
; %bb.41:
	s_or_saveexec_b64 s[6:7], s[6:7]
	v_mov_b32_e32 v10, s10
	s_xor_b64 exec, exec, s[6:7]
	s_cbranch_execnz .LBB8_2092
.LBB8_42:
	s_or_b64 exec, exec, s[6:7]
	s_and_saveexec_b64 s[6:7], s[4:5]
	s_cbranch_execz .LBB8_44
.LBB8_43:
	v_bfe_u32 v10, v15, 8, 3
	v_ffbh_u32_e32 v21, v10
	v_min_u32_e32 v21, 32, v21
	v_lshrrev_b16_e32 v20, 3, v14
	v_subrev_u32_e32 v22, 28, v21
	v_and_b32_e32 v20, 15, v20
	v_lshlrev_b32_e32 v14, v22, v14
	v_sub_u32_e32 v21, 29, v21
	v_and_b32_e32 v14, 7, v14
	v_cmp_eq_u16_e32 vcc, 0, v20
	v_cndmask_b32_e32 v10, v10, v14, vcc
	v_cndmask_b32_e32 v14, v20, v21, vcc
	v_lshlrev_b32_e32 v20, 16, v15
	v_mov_b32_e32 v21, 0x3b800000
	v_lshlrev_b32_e32 v10, 20, v10
	v_and_b32_e32 v20, 0x80000000, v20
	v_lshl_add_u32 v14, v14, 23, v21
	v_or3_b32 v10, v20, v14, v10
.LBB8_44:
	s_or_b64 exec, exec, s[6:7]
	v_lshrrev_b32_e32 v14, 8, v11
	s_movk_i32 s4, 0x7f
	v_cmp_gt_i16_sdwa s[6:7], v14, s4 src0_sel:BYTE_0 src1_sel:DWORD
	s_mov_b64 s[4:5], 0
                                        ; implicit-def: $sgpr10
	s_and_saveexec_b64 s[8:9], s[6:7]
	s_xor_b64 s[6:7], exec, s[8:9]
	s_cbranch_execnz .LBB8_2093
; %bb.45:
	s_or_saveexec_b64 s[6:7], s[6:7]
	v_mov_b32_e32 v20, s10
	s_xor_b64 exec, exec, s[6:7]
	s_cbranch_execnz .LBB8_2096
.LBB8_46:
	s_or_b64 exec, exec, s[6:7]
	s_and_saveexec_b64 s[6:7], s[4:5]
	s_cbranch_execz .LBB8_48
.LBB8_47:
	v_bfe_u32 v20, v11, 8, 3
	v_ffbh_u32_e32 v22, v20
	v_min_u32_e32 v22, 32, v22
	v_lshrrev_b16_e32 v21, 3, v14
	v_subrev_u32_e32 v23, 28, v22
	v_and_b32_e32 v21, 15, v21
	v_lshlrev_b32_e32 v14, v23, v14
	v_sub_u32_e32 v22, 29, v22
	v_and_b32_e32 v14, 7, v14
	v_cmp_eq_u16_e32 vcc, 0, v21
	v_cndmask_b32_e32 v14, v20, v14, vcc
	v_cndmask_b32_e32 v20, v21, v22, vcc
	v_lshlrev_b32_e32 v21, 16, v11
	v_mov_b32_e32 v22, 0x3b800000
	v_lshlrev_b32_e32 v14, 20, v14
	v_and_b32_e32 v21, 0x80000000, v21
	v_lshl_add_u32 v20, v20, 23, v22
	v_or3_b32 v20, v21, v20, v14
.LBB8_48:
	s_or_b64 exec, exec, s[6:7]
	s_nop 0
	v_mfma_f32_16x16x4f32 a[0:3], v10, v20, a[0:3]
	s_movk_i32 s4, 0xff
	v_and_b32_sdwa v14, v15, s4 dst_sel:DWORD dst_unused:UNUSED_PAD src0_sel:WORD_1 src1_sel:DWORD
	s_movk_i32 s4, 0x7f
	v_cmp_lt_i16_e32 vcc, s4, v14
	s_mov_b64 s[4:5], 0
                                        ; implicit-def: $sgpr10
	s_and_saveexec_b64 s[6:7], vcc
	s_xor_b64 s[6:7], exec, s[6:7]
	s_cbranch_execnz .LBB8_2097
; %bb.49:
	s_or_saveexec_b64 s[6:7], s[6:7]
	v_mov_b32_e32 v10, s10
	s_xor_b64 exec, exec, s[6:7]
	s_cbranch_execnz .LBB8_2100
.LBB8_50:
	s_or_b64 exec, exec, s[6:7]
	s_and_saveexec_b64 s[6:7], s[4:5]
	s_cbranch_execz .LBB8_52
.LBB8_51:
	v_bfe_u32 v10, v15, 16, 3
	v_ffbh_u32_e32 v21, v10
	v_min_u32_e32 v21, 32, v21
	v_lshrrev_b32_e32 v14, 19, v15
	v_subrev_u32_e32 v22, 28, v21
	v_and_b32_e32 v14, 15, v14
	v_lshlrev_b32_sdwa v22, v22, v15 dst_sel:DWORD dst_unused:UNUSED_PAD src0_sel:DWORD src1_sel:WORD_1
	v_bfe_u32 v20, v15, 19, 4
	v_sub_u32_e32 v21, 29, v21
	v_and_b32_e32 v22, 7, v22
	v_cmp_eq_u16_e32 vcc, 0, v14
	v_cndmask_b32_e32 v10, v10, v22, vcc
	v_cndmask_b32_e32 v14, v20, v21, vcc
	v_lshlrev_b32_e32 v20, 8, v15
	v_mov_b32_e32 v21, 0x3b800000
	v_lshlrev_b32_e32 v10, 20, v10
	v_and_b32_e32 v20, 0x80000000, v20
	v_lshl_add_u32 v14, v14, 23, v21
	v_or3_b32 v10, v20, v14, v10
.LBB8_52:
	s_or_b64 exec, exec, s[6:7]
	s_movk_i32 s4, 0xff
	v_and_b32_sdwa v14, v11, s4 dst_sel:DWORD dst_unused:UNUSED_PAD src0_sel:WORD_1 src1_sel:DWORD
	s_movk_i32 s4, 0x7f
	v_cmp_lt_i16_e32 vcc, s4, v14
	s_mov_b64 s[4:5], 0
                                        ; implicit-def: $sgpr10
	s_and_saveexec_b64 s[6:7], vcc
	s_xor_b64 s[6:7], exec, s[6:7]
	s_cbranch_execnz .LBB8_2101
; %bb.53:
	s_or_saveexec_b64 s[6:7], s[6:7]
	v_mov_b32_e32 v20, s10
	s_xor_b64 exec, exec, s[6:7]
	s_cbranch_execnz .LBB8_2104
.LBB8_54:
	s_or_b64 exec, exec, s[6:7]
	s_and_saveexec_b64 s[6:7], s[4:5]
	s_cbranch_execz .LBB8_56
.LBB8_55:
	v_bfe_u32 v14, v11, 16, 3
	v_ffbh_u32_e32 v22, v14
	v_min_u32_e32 v22, 32, v22
	v_lshrrev_b32_e32 v20, 19, v11
	v_subrev_u32_e32 v23, 28, v22
	v_and_b32_e32 v20, 15, v20
	v_lshlrev_b32_sdwa v23, v23, v11 dst_sel:DWORD dst_unused:UNUSED_PAD src0_sel:DWORD src1_sel:WORD_1
	v_bfe_u32 v21, v11, 19, 4
	v_sub_u32_e32 v22, 29, v22
	v_and_b32_e32 v23, 7, v23
	v_cmp_eq_u16_e32 vcc, 0, v20
	v_cndmask_b32_e32 v14, v14, v23, vcc
	v_cndmask_b32_e32 v20, v21, v22, vcc
	v_lshlrev_b32_e32 v21, 8, v11
	v_mov_b32_e32 v22, 0x3b800000
	v_lshlrev_b32_e32 v14, 20, v14
	v_and_b32_e32 v21, 0x80000000, v21
	v_lshl_add_u32 v20, v20, 23, v22
	v_or3_b32 v20, v21, v20, v14
.LBB8_56:
	s_or_b64 exec, exec, s[6:7]
	s_nop 0
	v_mfma_f32_16x16x4f32 a[0:3], v10, v20, a[0:3]
	s_movk_i32 s4, 0x7f
	v_cmp_gt_i16_sdwa s[6:7], v15, s4 src0_sel:BYTE_3 src1_sel:DWORD
	s_mov_b64 s[4:5], 0
                                        ; implicit-def: $sgpr10
	s_and_saveexec_b64 s[8:9], s[6:7]
	s_xor_b64 s[6:7], exec, s[8:9]
	s_cbranch_execnz .LBB8_2105
; %bb.57:
	s_or_saveexec_b64 s[6:7], s[6:7]
	v_mov_b32_e32 v10, s10
	s_xor_b64 exec, exec, s[6:7]
	s_cbranch_execnz .LBB8_2108
.LBB8_58:
	s_or_b64 exec, exec, s[6:7]
	s_and_saveexec_b64 s[6:7], s[4:5]
	s_cbranch_execz .LBB8_60
.LBB8_59:
	v_bfe_u32 v10, v15, 24, 3
	v_ffbh_u32_e32 v22, v10
	v_min_u32_e32 v22, 32, v22
	v_lshrrev_b32_e32 v20, 27, v15
	v_subrev_u32_e32 v23, 28, v22
	v_and_b32_e32 v14, 0x80000000, v15
	v_and_b32_e32 v20, 15, v20
	v_bfe_u32 v21, v15, 27, 4
	v_lshlrev_b32_sdwa v15, v23, v15 dst_sel:DWORD dst_unused:UNUSED_PAD src0_sel:DWORD src1_sel:BYTE_3
	v_sub_u32_e32 v22, 29, v22
	v_and_b32_e32 v15, 7, v15
	v_cmp_eq_u16_e32 vcc, 0, v20
	v_cndmask_b32_e32 v10, v10, v15, vcc
	v_cndmask_b32_e32 v15, v21, v22, vcc
	v_mov_b32_e32 v20, 0x3b800000
	v_lshlrev_b32_e32 v10, 20, v10
	v_lshl_add_u32 v15, v15, 23, v20
	v_or3_b32 v10, v14, v15, v10
.LBB8_60:
	s_or_b64 exec, exec, s[6:7]
	s_movk_i32 s4, 0x7f
	v_cmp_gt_i16_sdwa s[6:7], v11, s4 src0_sel:BYTE_3 src1_sel:DWORD
	s_mov_b64 s[4:5], 0
                                        ; implicit-def: $sgpr10
	s_and_saveexec_b64 s[8:9], s[6:7]
	s_xor_b64 s[6:7], exec, s[8:9]
	s_cbranch_execnz .LBB8_2109
; %bb.61:
	s_or_saveexec_b64 s[6:7], s[6:7]
	v_mov_b32_e32 v14, s10
	s_xor_b64 exec, exec, s[6:7]
	s_cbranch_execnz .LBB8_2112
.LBB8_62:
	s_or_b64 exec, exec, s[6:7]
	s_and_saveexec_b64 s[6:7], s[4:5]
	s_cbranch_execz .LBB8_64
.LBB8_63:
	v_bfe_u32 v14, v11, 24, 3
	v_ffbh_u32_e32 v22, v14
	v_min_u32_e32 v22, 32, v22
	v_lshrrev_b32_e32 v20, 27, v11
	v_subrev_u32_e32 v23, 28, v22
	v_and_b32_e32 v15, 0x80000000, v11
	v_and_b32_e32 v20, 15, v20
	v_bfe_u32 v21, v11, 27, 4
	v_lshlrev_b32_sdwa v11, v23, v11 dst_sel:DWORD dst_unused:UNUSED_PAD src0_sel:DWORD src1_sel:BYTE_3
	v_sub_u32_e32 v22, 29, v22
	v_and_b32_e32 v11, 7, v11
	v_cmp_eq_u16_e32 vcc, 0, v20
	v_cndmask_b32_e32 v11, v14, v11, vcc
	v_cndmask_b32_e32 v14, v21, v22, vcc
	v_mov_b32_e32 v20, 0x3b800000
	v_lshlrev_b32_e32 v11, 20, v11
	v_lshl_add_u32 v14, v14, 23, v20
	v_or3_b32 v14, v15, v14, v11
.LBB8_64:
	s_or_b64 exec, exec, s[6:7]
	s_nop 0
	v_mfma_f32_16x16x4f32 a[0:3], v10, v14, a[0:3]
	s_movk_i32 s4, 0x7f
	v_cmp_gt_i16_sdwa s[6:7], v16, s4 src0_sel:BYTE_0 src1_sel:DWORD
	s_mov_b64 s[4:5], 0
                                        ; implicit-def: $sgpr10
	s_and_saveexec_b64 s[8:9], s[6:7]
	s_xor_b64 s[6:7], exec, s[8:9]
	s_cbranch_execnz .LBB8_2113
; %bb.65:
	s_or_saveexec_b64 s[6:7], s[6:7]
	v_mov_b32_e32 v10, s10
	s_xor_b64 exec, exec, s[6:7]
	s_cbranch_execnz .LBB8_2116
.LBB8_66:
	s_or_b64 exec, exec, s[6:7]
	s_and_saveexec_b64 s[6:7], s[4:5]
	s_cbranch_execz .LBB8_68
.LBB8_67:
	v_and_b32_e32 v10, 7, v16
	v_ffbh_u32_e32 v14, v10
	v_min_u32_e32 v14, 32, v14
	v_lshrrev_b16_e32 v11, 3, v16
	v_subrev_u32_e32 v15, 28, v14
	v_and_b32_e32 v11, 15, v11
	v_lshlrev_b32_e32 v15, v15, v16
	v_sub_u32_e32 v14, 29, v14
	v_and_b32_e32 v15, 7, v15
	v_cmp_eq_u16_e32 vcc, 0, v11
	v_cndmask_b32_e32 v10, v10, v15, vcc
	v_cndmask_b32_e32 v11, v11, v14, vcc
	v_lshlrev_b32_e32 v14, 24, v16
	v_mov_b32_e32 v15, 0x3b800000
	v_lshlrev_b32_e32 v10, 20, v10
	v_and_b32_e32 v14, 0x80000000, v14
	v_lshl_add_u32 v11, v11, 23, v15
	v_or3_b32 v10, v14, v11, v10
.LBB8_68:
	s_or_b64 exec, exec, s[6:7]
	s_movk_i32 s4, 0x7f
	v_cmp_gt_i16_sdwa s[6:7], v12, s4 src0_sel:BYTE_0 src1_sel:DWORD
	s_mov_b64 s[4:5], 0
                                        ; implicit-def: $sgpr10
	s_and_saveexec_b64 s[8:9], s[6:7]
	s_xor_b64 s[6:7], exec, s[8:9]
	s_cbranch_execnz .LBB8_2117
; %bb.69:
	s_or_saveexec_b64 s[6:7], s[6:7]
	v_mov_b32_e32 v11, s10
	s_xor_b64 exec, exec, s[6:7]
	s_cbranch_execnz .LBB8_2120
.LBB8_70:
	s_or_b64 exec, exec, s[6:7]
	s_and_saveexec_b64 s[6:7], s[4:5]
	s_cbranch_execz .LBB8_72
.LBB8_71:
	v_and_b32_e32 v11, 7, v12
	v_ffbh_u32_e32 v15, v11
	v_min_u32_e32 v15, 32, v15
	v_lshrrev_b16_e32 v14, 3, v12
	v_subrev_u32_e32 v20, 28, v15
	v_and_b32_e32 v14, 15, v14
	v_lshlrev_b32_e32 v20, v20, v12
	v_sub_u32_e32 v15, 29, v15
	v_and_b32_e32 v20, 7, v20
	v_cmp_eq_u16_e32 vcc, 0, v14
	v_cndmask_b32_e32 v11, v11, v20, vcc
	v_cndmask_b32_e32 v14, v14, v15, vcc
	v_lshlrev_b32_e32 v15, 24, v12
	v_mov_b32_e32 v20, 0x3b800000
	v_lshlrev_b32_e32 v11, 20, v11
	v_and_b32_e32 v15, 0x80000000, v15
	v_lshl_add_u32 v14, v14, 23, v20
	v_or3_b32 v11, v15, v14, v11
.LBB8_72:
	s_or_b64 exec, exec, s[6:7]
	s_nop 0
	v_mfma_f32_16x16x4f32 a[0:3], v10, v11, a[0:3]
	v_lshrrev_b32_e32 v11, 8, v16
	s_movk_i32 s4, 0x7f
	v_cmp_gt_i16_sdwa s[6:7], v11, s4 src0_sel:BYTE_0 src1_sel:DWORD
	s_mov_b64 s[4:5], 0
                                        ; implicit-def: $sgpr10
	s_and_saveexec_b64 s[8:9], s[6:7]
	s_xor_b64 s[6:7], exec, s[8:9]
	s_cbranch_execnz .LBB8_2121
; %bb.73:
	s_or_saveexec_b64 s[6:7], s[6:7]
	v_mov_b32_e32 v10, s10
	s_xor_b64 exec, exec, s[6:7]
	s_cbranch_execnz .LBB8_2124
.LBB8_74:
	s_or_b64 exec, exec, s[6:7]
	s_and_saveexec_b64 s[6:7], s[4:5]
	s_cbranch_execz .LBB8_76
.LBB8_75:
	v_bfe_u32 v10, v16, 8, 3
	v_ffbh_u32_e32 v15, v10
	v_min_u32_e32 v15, 32, v15
	v_lshrrev_b16_e32 v14, 3, v11
	v_subrev_u32_e32 v20, 28, v15
	v_and_b32_e32 v14, 15, v14
	v_lshlrev_b32_e32 v11, v20, v11
	v_sub_u32_e32 v15, 29, v15
	v_and_b32_e32 v11, 7, v11
	v_cmp_eq_u16_e32 vcc, 0, v14
	v_cndmask_b32_e32 v10, v10, v11, vcc
	v_cndmask_b32_e32 v11, v14, v15, vcc
	v_lshlrev_b32_e32 v14, 16, v16
	v_mov_b32_e32 v15, 0x3b800000
	v_lshlrev_b32_e32 v10, 20, v10
	v_and_b32_e32 v14, 0x80000000, v14
	v_lshl_add_u32 v11, v11, 23, v15
	v_or3_b32 v10, v14, v11, v10
.LBB8_76:
	s_or_b64 exec, exec, s[6:7]
	v_lshrrev_b32_e32 v11, 8, v12
	s_movk_i32 s4, 0x7f
	v_cmp_gt_i16_sdwa s[6:7], v11, s4 src0_sel:BYTE_0 src1_sel:DWORD
	s_mov_b64 s[4:5], 0
                                        ; implicit-def: $sgpr10
	s_and_saveexec_b64 s[8:9], s[6:7]
	s_xor_b64 s[6:7], exec, s[8:9]
	s_cbranch_execnz .LBB8_2125
; %bb.77:
	s_or_saveexec_b64 s[6:7], s[6:7]
	v_mov_b32_e32 v14, s10
	s_xor_b64 exec, exec, s[6:7]
	s_cbranch_execnz .LBB8_2128
.LBB8_78:
	s_or_b64 exec, exec, s[6:7]
	s_and_saveexec_b64 s[6:7], s[4:5]
	s_cbranch_execz .LBB8_80
.LBB8_79:
	v_bfe_u32 v14, v12, 8, 3
	v_ffbh_u32_e32 v20, v14
	v_min_u32_e32 v20, 32, v20
	v_lshrrev_b16_e32 v15, 3, v11
	v_subrev_u32_e32 v21, 28, v20
	v_and_b32_e32 v15, 15, v15
	v_lshlrev_b32_e32 v11, v21, v11
	v_sub_u32_e32 v20, 29, v20
	v_and_b32_e32 v11, 7, v11
	v_cmp_eq_u16_e32 vcc, 0, v15
	v_cndmask_b32_e32 v11, v14, v11, vcc
	v_cndmask_b32_e32 v14, v15, v20, vcc
	v_lshlrev_b32_e32 v15, 16, v12
	v_mov_b32_e32 v20, 0x3b800000
	v_lshlrev_b32_e32 v11, 20, v11
	v_and_b32_e32 v15, 0x80000000, v15
	v_lshl_add_u32 v14, v14, 23, v20
	v_or3_b32 v14, v15, v14, v11
.LBB8_80:
	s_or_b64 exec, exec, s[6:7]
	s_nop 0
	v_mfma_f32_16x16x4f32 a[0:3], v10, v14, a[0:3]
	s_movk_i32 s4, 0xff
	v_and_b32_sdwa v11, v16, s4 dst_sel:DWORD dst_unused:UNUSED_PAD src0_sel:WORD_1 src1_sel:DWORD
	s_movk_i32 s4, 0x7f
	v_cmp_lt_i16_e32 vcc, s4, v11
	s_mov_b64 s[4:5], 0
                                        ; implicit-def: $sgpr10
	s_and_saveexec_b64 s[6:7], vcc
	s_xor_b64 s[6:7], exec, s[6:7]
	s_cbranch_execnz .LBB8_2129
; %bb.81:
	s_or_saveexec_b64 s[6:7], s[6:7]
	v_mov_b32_e32 v10, s10
	s_xor_b64 exec, exec, s[6:7]
	s_cbranch_execnz .LBB8_2132
.LBB8_82:
	s_or_b64 exec, exec, s[6:7]
	s_and_saveexec_b64 s[6:7], s[4:5]
	s_cbranch_execz .LBB8_84
.LBB8_83:
	v_bfe_u32 v10, v16, 16, 3
	v_ffbh_u32_e32 v15, v10
	v_min_u32_e32 v15, 32, v15
	v_lshrrev_b32_e32 v11, 19, v16
	v_subrev_u32_e32 v20, 28, v15
	v_and_b32_e32 v11, 15, v11
	v_lshlrev_b32_sdwa v20, v20, v16 dst_sel:DWORD dst_unused:UNUSED_PAD src0_sel:DWORD src1_sel:WORD_1
	v_bfe_u32 v14, v16, 19, 4
	v_sub_u32_e32 v15, 29, v15
	v_and_b32_e32 v20, 7, v20
	v_cmp_eq_u16_e32 vcc, 0, v11
	v_cndmask_b32_e32 v10, v10, v20, vcc
	v_cndmask_b32_e32 v11, v14, v15, vcc
	v_lshlrev_b32_e32 v14, 8, v16
	v_mov_b32_e32 v15, 0x3b800000
	v_lshlrev_b32_e32 v10, 20, v10
	v_and_b32_e32 v14, 0x80000000, v14
	v_lshl_add_u32 v11, v11, 23, v15
	v_or3_b32 v10, v14, v11, v10
.LBB8_84:
	s_or_b64 exec, exec, s[6:7]
	s_movk_i32 s4, 0xff
	v_and_b32_sdwa v11, v12, s4 dst_sel:DWORD dst_unused:UNUSED_PAD src0_sel:WORD_1 src1_sel:DWORD
	s_movk_i32 s4, 0x7f
	v_cmp_lt_i16_e32 vcc, s4, v11
	s_mov_b64 s[4:5], 0
                                        ; implicit-def: $sgpr10
	s_and_saveexec_b64 s[6:7], vcc
	s_xor_b64 s[6:7], exec, s[6:7]
	s_cbranch_execnz .LBB8_2133
; %bb.85:
	s_or_saveexec_b64 s[6:7], s[6:7]
	v_mov_b32_e32 v14, s10
	s_xor_b64 exec, exec, s[6:7]
	s_cbranch_execnz .LBB8_2136
.LBB8_86:
	s_or_b64 exec, exec, s[6:7]
	s_and_saveexec_b64 s[6:7], s[4:5]
	s_cbranch_execz .LBB8_88
.LBB8_87:
	v_bfe_u32 v11, v12, 16, 3
	v_ffbh_u32_e32 v20, v11
	v_min_u32_e32 v20, 32, v20
	v_lshrrev_b32_e32 v14, 19, v12
	v_subrev_u32_e32 v21, 28, v20
	v_and_b32_e32 v14, 15, v14
	v_lshlrev_b32_sdwa v21, v21, v12 dst_sel:DWORD dst_unused:UNUSED_PAD src0_sel:DWORD src1_sel:WORD_1
	v_bfe_u32 v15, v12, 19, 4
	v_sub_u32_e32 v20, 29, v20
	v_and_b32_e32 v21, 7, v21
	v_cmp_eq_u16_e32 vcc, 0, v14
	v_cndmask_b32_e32 v11, v11, v21, vcc
	v_cndmask_b32_e32 v14, v15, v20, vcc
	v_lshlrev_b32_e32 v15, 8, v12
	v_mov_b32_e32 v20, 0x3b800000
	v_lshlrev_b32_e32 v11, 20, v11
	v_and_b32_e32 v15, 0x80000000, v15
	v_lshl_add_u32 v14, v14, 23, v20
	v_or3_b32 v14, v15, v14, v11
.LBB8_88:
	s_or_b64 exec, exec, s[6:7]
	s_nop 0
	v_mfma_f32_16x16x4f32 a[0:3], v10, v14, a[0:3]
	s_movk_i32 s4, 0x7f
	v_cmp_gt_i16_sdwa s[6:7], v16, s4 src0_sel:BYTE_3 src1_sel:DWORD
	s_mov_b64 s[4:5], 0
                                        ; implicit-def: $sgpr10
	s_and_saveexec_b64 s[8:9], s[6:7]
	s_xor_b64 s[6:7], exec, s[8:9]
	s_cbranch_execnz .LBB8_2137
; %bb.89:
	s_or_saveexec_b64 s[6:7], s[6:7]
	v_mov_b32_e32 v10, s10
	s_xor_b64 exec, exec, s[6:7]
	s_cbranch_execnz .LBB8_2140
.LBB8_90:
	s_or_b64 exec, exec, s[6:7]
	s_and_saveexec_b64 s[6:7], s[4:5]
	s_cbranch_execz .LBB8_92
.LBB8_91:
	v_bfe_u32 v10, v16, 24, 3
	v_ffbh_u32_e32 v20, v10
	v_min_u32_e32 v20, 32, v20
	v_lshrrev_b32_e32 v14, 27, v16
	v_subrev_u32_e32 v21, 28, v20
	v_and_b32_e32 v11, 0x80000000, v16
	v_and_b32_e32 v14, 15, v14
	v_bfe_u32 v15, v16, 27, 4
	v_lshlrev_b32_sdwa v16, v21, v16 dst_sel:DWORD dst_unused:UNUSED_PAD src0_sel:DWORD src1_sel:BYTE_3
	v_sub_u32_e32 v20, 29, v20
	v_and_b32_e32 v16, 7, v16
	v_cmp_eq_u16_e32 vcc, 0, v14
	v_cndmask_b32_e32 v10, v10, v16, vcc
	v_cndmask_b32_e32 v14, v15, v20, vcc
	v_mov_b32_e32 v15, 0x3b800000
	v_lshlrev_b32_e32 v10, 20, v10
	v_lshl_add_u32 v14, v14, 23, v15
	v_or3_b32 v10, v11, v14, v10
.LBB8_92:
	s_or_b64 exec, exec, s[6:7]
	s_movk_i32 s4, 0x7f
	v_cmp_gt_i16_sdwa s[6:7], v12, s4 src0_sel:BYTE_3 src1_sel:DWORD
	s_mov_b64 s[4:5], 0
                                        ; implicit-def: $sgpr10
	s_and_saveexec_b64 s[8:9], s[6:7]
	s_xor_b64 s[6:7], exec, s[8:9]
	s_cbranch_execnz .LBB8_2141
; %bb.93:
	s_or_saveexec_b64 s[6:7], s[6:7]
	v_mov_b32_e32 v11, s10
	s_xor_b64 exec, exec, s[6:7]
	s_cbranch_execnz .LBB8_2144
.LBB8_94:
	s_or_b64 exec, exec, s[6:7]
	s_and_saveexec_b64 s[6:7], s[4:5]
	s_cbranch_execz .LBB8_96
.LBB8_95:
	v_bfe_u32 v11, v12, 24, 3
	v_ffbh_u32_e32 v20, v11
	v_min_u32_e32 v20, 32, v20
	v_lshrrev_b32_e32 v15, 27, v12
	v_subrev_u32_e32 v21, 28, v20
	v_and_b32_e32 v14, 0x80000000, v12
	v_and_b32_e32 v15, 15, v15
	v_bfe_u32 v16, v12, 27, 4
	v_lshlrev_b32_sdwa v12, v21, v12 dst_sel:DWORD dst_unused:UNUSED_PAD src0_sel:DWORD src1_sel:BYTE_3
	v_sub_u32_e32 v20, 29, v20
	v_and_b32_e32 v12, 7, v12
	v_cmp_eq_u16_e32 vcc, 0, v15
	v_cndmask_b32_e32 v11, v11, v12, vcc
	v_cndmask_b32_e32 v12, v16, v20, vcc
	v_mov_b32_e32 v15, 0x3b800000
	v_lshlrev_b32_e32 v11, 20, v11
	v_lshl_add_u32 v12, v12, 23, v15
	v_or3_b32 v11, v14, v12, v11
.LBB8_96:
	s_or_b64 exec, exec, s[6:7]
	s_nop 0
	v_mfma_f32_16x16x4f32 a[0:3], v10, v11, a[0:3]
	s_movk_i32 s4, 0x7f
	v_cmp_gt_i16_sdwa s[6:7], v17, s4 src0_sel:BYTE_0 src1_sel:DWORD
	s_mov_b64 s[4:5], 0
                                        ; implicit-def: $sgpr10
	s_and_saveexec_b64 s[8:9], s[6:7]
	s_xor_b64 s[6:7], exec, s[8:9]
	s_cbranch_execnz .LBB8_2145
; %bb.97:
	s_or_saveexec_b64 s[6:7], s[6:7]
	v_mov_b32_e32 v10, s10
	s_xor_b64 exec, exec, s[6:7]
	s_cbranch_execnz .LBB8_2148
.LBB8_98:
	s_or_b64 exec, exec, s[6:7]
	s_and_saveexec_b64 s[6:7], s[4:5]
	s_cbranch_execz .LBB8_100
.LBB8_99:
	v_and_b32_e32 v10, 7, v17
	v_ffbh_u32_e32 v12, v10
	v_min_u32_e32 v12, 32, v12
	v_lshrrev_b16_e32 v11, 3, v17
	v_subrev_u32_e32 v14, 28, v12
	v_and_b32_e32 v11, 15, v11
	v_lshlrev_b32_e32 v14, v14, v17
	v_sub_u32_e32 v12, 29, v12
	v_and_b32_e32 v14, 7, v14
	v_cmp_eq_u16_e32 vcc, 0, v11
	v_cndmask_b32_e32 v10, v10, v14, vcc
	v_cndmask_b32_e32 v11, v11, v12, vcc
	v_lshlrev_b32_e32 v12, 24, v17
	v_mov_b32_e32 v14, 0x3b800000
	v_lshlrev_b32_e32 v10, 20, v10
	v_and_b32_e32 v12, 0x80000000, v12
	v_lshl_add_u32 v11, v11, 23, v14
	v_or3_b32 v10, v12, v11, v10
.LBB8_100:
	s_or_b64 exec, exec, s[6:7]
	s_movk_i32 s4, 0x7f
	v_cmp_gt_i16_sdwa s[6:7], v13, s4 src0_sel:BYTE_0 src1_sel:DWORD
	s_mov_b64 s[4:5], 0
                                        ; implicit-def: $sgpr10
	s_and_saveexec_b64 s[8:9], s[6:7]
	s_xor_b64 s[6:7], exec, s[8:9]
	s_cbranch_execnz .LBB8_2149
; %bb.101:
	s_or_saveexec_b64 s[6:7], s[6:7]
	v_mov_b32_e32 v11, s10
	s_xor_b64 exec, exec, s[6:7]
	s_cbranch_execnz .LBB8_2152
.LBB8_102:
	s_or_b64 exec, exec, s[6:7]
	s_and_saveexec_b64 s[6:7], s[4:5]
	s_cbranch_execz .LBB8_104
.LBB8_103:
	v_and_b32_e32 v11, 7, v13
	v_ffbh_u32_e32 v14, v11
	v_min_u32_e32 v14, 32, v14
	v_lshrrev_b16_e32 v12, 3, v13
	v_subrev_u32_e32 v15, 28, v14
	v_and_b32_e32 v12, 15, v12
	v_lshlrev_b32_e32 v15, v15, v13
	v_sub_u32_e32 v14, 29, v14
	v_and_b32_e32 v15, 7, v15
	v_cmp_eq_u16_e32 vcc, 0, v12
	v_cndmask_b32_e32 v11, v11, v15, vcc
	v_cndmask_b32_e32 v12, v12, v14, vcc
	v_lshlrev_b32_e32 v14, 24, v13
	v_mov_b32_e32 v15, 0x3b800000
	v_lshlrev_b32_e32 v11, 20, v11
	v_and_b32_e32 v14, 0x80000000, v14
	v_lshl_add_u32 v12, v12, 23, v15
	v_or3_b32 v11, v14, v12, v11
.LBB8_104:
	s_or_b64 exec, exec, s[6:7]
	s_nop 0
	v_mfma_f32_16x16x4f32 a[0:3], v10, v11, a[0:3]
	v_lshrrev_b32_e32 v11, 8, v17
	s_movk_i32 s4, 0x7f
	v_cmp_gt_i16_sdwa s[6:7], v11, s4 src0_sel:BYTE_0 src1_sel:DWORD
	s_mov_b64 s[4:5], 0
                                        ; implicit-def: $sgpr10
	s_and_saveexec_b64 s[8:9], s[6:7]
	s_xor_b64 s[6:7], exec, s[8:9]
	s_cbranch_execnz .LBB8_2153
; %bb.105:
	s_or_saveexec_b64 s[6:7], s[6:7]
	v_mov_b32_e32 v10, s10
	s_xor_b64 exec, exec, s[6:7]
	s_cbranch_execnz .LBB8_2156
.LBB8_106:
	s_or_b64 exec, exec, s[6:7]
	s_and_saveexec_b64 s[6:7], s[4:5]
	s_cbranch_execz .LBB8_108
.LBB8_107:
	v_bfe_u32 v10, v17, 8, 3
	v_ffbh_u32_e32 v14, v10
	v_min_u32_e32 v14, 32, v14
	v_lshrrev_b16_e32 v12, 3, v11
	v_subrev_u32_e32 v15, 28, v14
	v_and_b32_e32 v12, 15, v12
	v_lshlrev_b32_e32 v11, v15, v11
	v_sub_u32_e32 v14, 29, v14
	v_and_b32_e32 v11, 7, v11
	v_cmp_eq_u16_e32 vcc, 0, v12
	v_cndmask_b32_e32 v10, v10, v11, vcc
	v_cndmask_b32_e32 v11, v12, v14, vcc
	v_lshlrev_b32_e32 v12, 16, v17
	v_mov_b32_e32 v14, 0x3b800000
	v_lshlrev_b32_e32 v10, 20, v10
	v_and_b32_e32 v12, 0x80000000, v12
	v_lshl_add_u32 v11, v11, 23, v14
	v_or3_b32 v10, v12, v11, v10
.LBB8_108:
	s_or_b64 exec, exec, s[6:7]
	v_lshrrev_b32_e32 v11, 8, v13
	s_movk_i32 s4, 0x7f
	v_cmp_gt_i16_sdwa s[6:7], v11, s4 src0_sel:BYTE_0 src1_sel:DWORD
	s_mov_b64 s[4:5], 0
                                        ; implicit-def: $sgpr10
	s_and_saveexec_b64 s[8:9], s[6:7]
	s_xor_b64 s[6:7], exec, s[8:9]
	s_cbranch_execnz .LBB8_2157
; %bb.109:
	s_or_saveexec_b64 s[6:7], s[6:7]
	v_mov_b32_e32 v12, s10
	s_xor_b64 exec, exec, s[6:7]
	s_cbranch_execnz .LBB8_2160
.LBB8_110:
	s_or_b64 exec, exec, s[6:7]
	s_and_saveexec_b64 s[6:7], s[4:5]
	s_cbranch_execz .LBB8_112
.LBB8_111:
	v_bfe_u32 v12, v13, 8, 3
	v_ffbh_u32_e32 v15, v12
	v_min_u32_e32 v15, 32, v15
	v_lshrrev_b16_e32 v14, 3, v11
	v_subrev_u32_e32 v16, 28, v15
	v_and_b32_e32 v14, 15, v14
	v_lshlrev_b32_e32 v11, v16, v11
	v_sub_u32_e32 v15, 29, v15
	v_and_b32_e32 v11, 7, v11
	v_cmp_eq_u16_e32 vcc, 0, v14
	v_cndmask_b32_e32 v11, v12, v11, vcc
	v_cndmask_b32_e32 v12, v14, v15, vcc
	v_lshlrev_b32_e32 v14, 16, v13
	v_mov_b32_e32 v15, 0x3b800000
	v_lshlrev_b32_e32 v11, 20, v11
	v_and_b32_e32 v14, 0x80000000, v14
	v_lshl_add_u32 v12, v12, 23, v15
	v_or3_b32 v12, v14, v12, v11
.LBB8_112:
	s_or_b64 exec, exec, s[6:7]
	s_nop 0
	v_mfma_f32_16x16x4f32 a[0:3], v10, v12, a[0:3]
	s_movk_i32 s4, 0xff
	v_and_b32_sdwa v11, v17, s4 dst_sel:DWORD dst_unused:UNUSED_PAD src0_sel:WORD_1 src1_sel:DWORD
	s_movk_i32 s4, 0x7f
	v_cmp_lt_i16_e32 vcc, s4, v11
	s_mov_b64 s[4:5], 0
                                        ; implicit-def: $sgpr10
	s_and_saveexec_b64 s[6:7], vcc
	s_xor_b64 s[6:7], exec, s[6:7]
	s_cbranch_execnz .LBB8_2161
; %bb.113:
	s_or_saveexec_b64 s[6:7], s[6:7]
	v_mov_b32_e32 v10, s10
	s_xor_b64 exec, exec, s[6:7]
	s_cbranch_execnz .LBB8_2164
.LBB8_114:
	s_or_b64 exec, exec, s[6:7]
	s_and_saveexec_b64 s[6:7], s[4:5]
	s_cbranch_execz .LBB8_116
.LBB8_115:
	v_bfe_u32 v10, v17, 16, 3
	v_ffbh_u32_e32 v14, v10
	v_min_u32_e32 v14, 32, v14
	v_lshrrev_b32_e32 v11, 19, v17
	v_subrev_u32_e32 v15, 28, v14
	v_and_b32_e32 v11, 15, v11
	v_lshlrev_b32_sdwa v15, v15, v17 dst_sel:DWORD dst_unused:UNUSED_PAD src0_sel:DWORD src1_sel:WORD_1
	v_bfe_u32 v12, v17, 19, 4
	v_sub_u32_e32 v14, 29, v14
	v_and_b32_e32 v15, 7, v15
	v_cmp_eq_u16_e32 vcc, 0, v11
	v_cndmask_b32_e32 v10, v10, v15, vcc
	v_cndmask_b32_e32 v11, v12, v14, vcc
	v_lshlrev_b32_e32 v12, 8, v17
	v_mov_b32_e32 v14, 0x3b800000
	v_lshlrev_b32_e32 v10, 20, v10
	v_and_b32_e32 v12, 0x80000000, v12
	v_lshl_add_u32 v11, v11, 23, v14
	v_or3_b32 v10, v12, v11, v10
.LBB8_116:
	s_or_b64 exec, exec, s[6:7]
	s_movk_i32 s4, 0xff
	v_and_b32_sdwa v11, v13, s4 dst_sel:DWORD dst_unused:UNUSED_PAD src0_sel:WORD_1 src1_sel:DWORD
	s_movk_i32 s4, 0x7f
	v_cmp_lt_i16_e32 vcc, s4, v11
	s_mov_b64 s[4:5], 0
                                        ; implicit-def: $sgpr10
	s_and_saveexec_b64 s[6:7], vcc
	s_xor_b64 s[6:7], exec, s[6:7]
	s_cbranch_execnz .LBB8_2165
; %bb.117:
	s_or_saveexec_b64 s[6:7], s[6:7]
	v_mov_b32_e32 v12, s10
	s_xor_b64 exec, exec, s[6:7]
	s_cbranch_execnz .LBB8_2168
.LBB8_118:
	s_or_b64 exec, exec, s[6:7]
	s_and_saveexec_b64 s[6:7], s[4:5]
	s_cbranch_execz .LBB8_120
.LBB8_119:
	v_bfe_u32 v11, v13, 16, 3
	v_ffbh_u32_e32 v15, v11
	v_min_u32_e32 v15, 32, v15
	v_lshrrev_b32_e32 v12, 19, v13
	v_subrev_u32_e32 v16, 28, v15
	v_and_b32_e32 v12, 15, v12
	v_lshlrev_b32_sdwa v16, v16, v13 dst_sel:DWORD dst_unused:UNUSED_PAD src0_sel:DWORD src1_sel:WORD_1
	v_bfe_u32 v14, v13, 19, 4
	v_sub_u32_e32 v15, 29, v15
	v_and_b32_e32 v16, 7, v16
	v_cmp_eq_u16_e32 vcc, 0, v12
	v_cndmask_b32_e32 v11, v11, v16, vcc
	v_cndmask_b32_e32 v12, v14, v15, vcc
	v_lshlrev_b32_e32 v14, 8, v13
	v_mov_b32_e32 v15, 0x3b800000
	v_lshlrev_b32_e32 v11, 20, v11
	v_and_b32_e32 v14, 0x80000000, v14
	v_lshl_add_u32 v12, v12, 23, v15
	v_or3_b32 v12, v14, v12, v11
.LBB8_120:
	s_or_b64 exec, exec, s[6:7]
	s_nop 0
	v_mfma_f32_16x16x4f32 a[0:3], v10, v12, a[0:3]
	s_movk_i32 s4, 0x7f
	v_cmp_gt_i16_sdwa s[6:7], v17, s4 src0_sel:BYTE_3 src1_sel:DWORD
	s_mov_b64 s[4:5], 0
                                        ; implicit-def: $sgpr10
	s_and_saveexec_b64 s[8:9], s[6:7]
	s_xor_b64 s[6:7], exec, s[8:9]
	s_cbranch_execnz .LBB8_2169
; %bb.121:
	s_or_saveexec_b64 s[6:7], s[6:7]
	v_mov_b32_e32 v10, s10
	s_xor_b64 exec, exec, s[6:7]
	s_cbranch_execnz .LBB8_2172
.LBB8_122:
	s_or_b64 exec, exec, s[6:7]
	s_and_saveexec_b64 s[6:7], s[4:5]
	s_cbranch_execz .LBB8_124
.LBB8_123:
	v_bfe_u32 v10, v17, 24, 3
	v_ffbh_u32_e32 v15, v10
	v_min_u32_e32 v15, 32, v15
	v_lshrrev_b32_e32 v12, 27, v17
	v_subrev_u32_e32 v16, 28, v15
	v_and_b32_e32 v12, 15, v12
	v_lshlrev_b32_sdwa v16, v16, v17 dst_sel:DWORD dst_unused:UNUSED_PAD src0_sel:DWORD src1_sel:BYTE_3
	v_bfe_u32 v14, v17, 27, 4
	v_sub_u32_e32 v15, 29, v15
	v_and_b32_e32 v16, 7, v16
	v_cmp_eq_u16_e32 vcc, 0, v12
	v_cndmask_b32_e32 v10, v10, v16, vcc
	v_cndmask_b32_e32 v12, v14, v15, vcc
	v_mov_b32_e32 v14, 0x3b800000
	v_and_b32_e32 v11, 0x80000000, v17
	v_lshlrev_b32_e32 v10, 20, v10
	v_lshl_add_u32 v12, v12, 23, v14
	v_or3_b32 v10, v11, v12, v10
.LBB8_124:
	s_or_b64 exec, exec, s[6:7]
	s_movk_i32 s4, 0x7f
	v_cmp_gt_i16_sdwa s[6:7], v13, s4 src0_sel:BYTE_3 src1_sel:DWORD
	s_mov_b64 s[4:5], 0
                                        ; implicit-def: $sgpr10
	s_and_saveexec_b64 s[8:9], s[6:7]
	s_xor_b64 s[6:7], exec, s[8:9]
	s_cbranch_execnz .LBB8_2173
; %bb.125:
	s_or_saveexec_b64 s[6:7], s[6:7]
	v_mov_b32_e32 v11, s10
	s_xor_b64 exec, exec, s[6:7]
	s_cbranch_execnz .LBB8_2176
.LBB8_126:
	s_or_b64 exec, exec, s[6:7]
	s_and_saveexec_b64 s[6:7], s[4:5]
	s_cbranch_execz .LBB8_128
.LBB8_127:
	v_bfe_u32 v11, v13, 24, 3
	v_ffbh_u32_e32 v16, v11
	v_min_u32_e32 v16, 32, v16
	v_lshrrev_b32_e32 v14, 27, v13
	v_subrev_u32_e32 v17, 28, v16
	v_and_b32_e32 v12, 0x80000000, v13
	v_and_b32_e32 v14, 15, v14
	v_bfe_u32 v15, v13, 27, 4
	v_lshlrev_b32_sdwa v13, v17, v13 dst_sel:DWORD dst_unused:UNUSED_PAD src0_sel:DWORD src1_sel:BYTE_3
	v_sub_u32_e32 v16, 29, v16
	v_and_b32_e32 v13, 7, v13
	v_cmp_eq_u16_e32 vcc, 0, v14
	v_cndmask_b32_e32 v11, v11, v13, vcc
	v_cndmask_b32_e32 v13, v15, v16, vcc
	v_mov_b32_e32 v14, 0x3b800000
	v_lshlrev_b32_e32 v11, 20, v11
	v_lshl_add_u32 v13, v13, 23, v14
	v_or3_b32 v11, v12, v13, v11
.LBB8_128:
	s_or_b64 exec, exec, s[6:7]
	s_nop 0
	v_mfma_f32_16x16x4f32 a[0:3], v10, v11, a[0:3]
	s_movk_i32 s4, 0x7f
	v_cmp_gt_i16_sdwa s[6:7], v6, s4 src0_sel:BYTE_0 src1_sel:DWORD
	s_mov_b64 s[4:5], 0
                                        ; implicit-def: $sgpr10
	s_and_saveexec_b64 s[8:9], s[6:7]
	s_xor_b64 s[6:7], exec, s[8:9]
	s_cbranch_execnz .LBB8_2177
; %bb.129:
	s_or_saveexec_b64 s[6:7], s[6:7]
	v_mov_b32_e32 v10, s10
	s_xor_b64 exec, exec, s[6:7]
	s_cbranch_execnz .LBB8_2180
.LBB8_130:
	s_or_b64 exec, exec, s[6:7]
	s_and_saveexec_b64 s[6:7], s[4:5]
	s_cbranch_execz .LBB8_132
.LBB8_131:
	v_and_b32_e32 v10, 7, v6
	v_ffbh_u32_e32 v12, v10
	v_min_u32_e32 v12, 32, v12
	v_lshrrev_b16_e32 v11, 3, v6
	v_subrev_u32_e32 v13, 28, v12
	v_and_b32_e32 v11, 15, v11
	v_lshlrev_b32_e32 v13, v13, v6
	v_sub_u32_e32 v12, 29, v12
	v_and_b32_e32 v13, 7, v13
	v_cmp_eq_u16_e32 vcc, 0, v11
	v_cndmask_b32_e32 v10, v10, v13, vcc
	v_cndmask_b32_e32 v11, v11, v12, vcc
	v_lshlrev_b32_e32 v12, 24, v6
	v_mov_b32_e32 v13, 0x3b800000
	v_lshlrev_b32_e32 v10, 20, v10
	v_and_b32_e32 v12, 0x80000000, v12
	v_lshl_add_u32 v11, v11, 23, v13
	v_or3_b32 v10, v12, v11, v10
.LBB8_132:
	s_or_b64 exec, exec, s[6:7]
	s_movk_i32 s4, 0x7f
	v_cmp_gt_i16_sdwa s[6:7], v2, s4 src0_sel:BYTE_0 src1_sel:DWORD
	s_mov_b64 s[4:5], 0
                                        ; implicit-def: $sgpr10
	s_and_saveexec_b64 s[8:9], s[6:7]
	s_xor_b64 s[6:7], exec, s[8:9]
	s_cbranch_execnz .LBB8_2181
; %bb.133:
	s_or_saveexec_b64 s[6:7], s[6:7]
	v_mov_b32_e32 v11, s10
	s_xor_b64 exec, exec, s[6:7]
	s_cbranch_execnz .LBB8_2184
.LBB8_134:
	s_or_b64 exec, exec, s[6:7]
	s_and_saveexec_b64 s[6:7], s[4:5]
	s_cbranch_execz .LBB8_136
.LBB8_135:
	v_and_b32_e32 v11, 7, v2
	v_ffbh_u32_e32 v13, v11
	v_min_u32_e32 v13, 32, v13
	v_lshrrev_b16_e32 v12, 3, v2
	v_subrev_u32_e32 v14, 28, v13
	v_and_b32_e32 v12, 15, v12
	v_lshlrev_b32_e32 v14, v14, v2
	v_sub_u32_e32 v13, 29, v13
	v_and_b32_e32 v14, 7, v14
	v_cmp_eq_u16_e32 vcc, 0, v12
	v_cndmask_b32_e32 v11, v11, v14, vcc
	v_cndmask_b32_e32 v12, v12, v13, vcc
	v_lshlrev_b32_e32 v13, 24, v2
	v_mov_b32_e32 v14, 0x3b800000
	v_lshlrev_b32_e32 v11, 20, v11
	v_and_b32_e32 v13, 0x80000000, v13
	v_lshl_add_u32 v12, v12, 23, v14
	v_or3_b32 v11, v13, v12, v11
.LBB8_136:
	s_or_b64 exec, exec, s[6:7]
	s_nop 0
	v_mfma_f32_16x16x4f32 a[0:3], v10, v11, a[0:3]
	v_lshrrev_b32_e32 v11, 8, v6
	s_movk_i32 s4, 0x7f
	v_cmp_gt_i16_sdwa s[6:7], v11, s4 src0_sel:BYTE_0 src1_sel:DWORD
	s_mov_b64 s[4:5], 0
                                        ; implicit-def: $sgpr10
	s_and_saveexec_b64 s[8:9], s[6:7]
	s_xor_b64 s[6:7], exec, s[8:9]
	s_cbranch_execnz .LBB8_2185
; %bb.137:
	s_or_saveexec_b64 s[6:7], s[6:7]
	v_mov_b32_e32 v10, s10
	s_xor_b64 exec, exec, s[6:7]
	s_cbranch_execnz .LBB8_2188
.LBB8_138:
	s_or_b64 exec, exec, s[6:7]
	s_and_saveexec_b64 s[6:7], s[4:5]
	s_cbranch_execz .LBB8_140
.LBB8_139:
	v_bfe_u32 v10, v6, 8, 3
	v_ffbh_u32_e32 v13, v10
	v_min_u32_e32 v13, 32, v13
	v_lshrrev_b16_e32 v12, 3, v11
	v_subrev_u32_e32 v14, 28, v13
	v_and_b32_e32 v12, 15, v12
	v_lshlrev_b32_e32 v11, v14, v11
	v_sub_u32_e32 v13, 29, v13
	v_and_b32_e32 v11, 7, v11
	v_cmp_eq_u16_e32 vcc, 0, v12
	v_cndmask_b32_e32 v10, v10, v11, vcc
	v_cndmask_b32_e32 v11, v12, v13, vcc
	v_lshlrev_b32_e32 v12, 16, v6
	v_mov_b32_e32 v13, 0x3b800000
	v_lshlrev_b32_e32 v10, 20, v10
	v_and_b32_e32 v12, 0x80000000, v12
	v_lshl_add_u32 v11, v11, 23, v13
	v_or3_b32 v10, v12, v11, v10
.LBB8_140:
	s_or_b64 exec, exec, s[6:7]
	v_lshrrev_b32_e32 v11, 8, v2
	s_movk_i32 s4, 0x7f
	v_cmp_gt_i16_sdwa s[6:7], v11, s4 src0_sel:BYTE_0 src1_sel:DWORD
	s_mov_b64 s[4:5], 0
                                        ; implicit-def: $sgpr10
	s_and_saveexec_b64 s[8:9], s[6:7]
	s_xor_b64 s[6:7], exec, s[8:9]
	s_cbranch_execnz .LBB8_2189
; %bb.141:
	s_or_saveexec_b64 s[6:7], s[6:7]
	v_mov_b32_e32 v12, s10
	s_xor_b64 exec, exec, s[6:7]
	s_cbranch_execnz .LBB8_2192
.LBB8_142:
	s_or_b64 exec, exec, s[6:7]
	s_and_saveexec_b64 s[6:7], s[4:5]
	s_cbranch_execz .LBB8_144
.LBB8_143:
	v_bfe_u32 v12, v2, 8, 3
	v_ffbh_u32_e32 v14, v12
	v_min_u32_e32 v14, 32, v14
	v_lshrrev_b16_e32 v13, 3, v11
	v_subrev_u32_e32 v15, 28, v14
	v_and_b32_e32 v13, 15, v13
	v_lshlrev_b32_e32 v11, v15, v11
	v_sub_u32_e32 v14, 29, v14
	v_and_b32_e32 v11, 7, v11
	v_cmp_eq_u16_e32 vcc, 0, v13
	v_cndmask_b32_e32 v11, v12, v11, vcc
	v_cndmask_b32_e32 v12, v13, v14, vcc
	v_lshlrev_b32_e32 v13, 16, v2
	v_mov_b32_e32 v14, 0x3b800000
	v_lshlrev_b32_e32 v11, 20, v11
	v_and_b32_e32 v13, 0x80000000, v13
	v_lshl_add_u32 v12, v12, 23, v14
	v_or3_b32 v12, v13, v12, v11
.LBB8_144:
	s_or_b64 exec, exec, s[6:7]
	s_nop 0
	v_mfma_f32_16x16x4f32 a[0:3], v10, v12, a[0:3]
	s_movk_i32 s4, 0xff
	v_and_b32_sdwa v11, v6, s4 dst_sel:DWORD dst_unused:UNUSED_PAD src0_sel:WORD_1 src1_sel:DWORD
	s_movk_i32 s4, 0x7f
	v_cmp_lt_i16_e32 vcc, s4, v11
	s_mov_b64 s[4:5], 0
                                        ; implicit-def: $sgpr10
	s_and_saveexec_b64 s[6:7], vcc
	s_xor_b64 s[6:7], exec, s[6:7]
	s_cbranch_execnz .LBB8_2193
; %bb.145:
	s_or_saveexec_b64 s[6:7], s[6:7]
	v_mov_b32_e32 v10, s10
	s_xor_b64 exec, exec, s[6:7]
	s_cbranch_execnz .LBB8_2196
.LBB8_146:
	s_or_b64 exec, exec, s[6:7]
	s_and_saveexec_b64 s[6:7], s[4:5]
	s_cbranch_execz .LBB8_148
.LBB8_147:
	v_bfe_u32 v10, v6, 16, 3
	v_ffbh_u32_e32 v13, v10
	v_min_u32_e32 v13, 32, v13
	v_lshrrev_b32_e32 v11, 19, v6
	v_subrev_u32_e32 v14, 28, v13
	v_and_b32_e32 v11, 15, v11
	v_lshlrev_b32_sdwa v14, v14, v6 dst_sel:DWORD dst_unused:UNUSED_PAD src0_sel:DWORD src1_sel:WORD_1
	v_bfe_u32 v12, v6, 19, 4
	v_sub_u32_e32 v13, 29, v13
	v_and_b32_e32 v14, 7, v14
	v_cmp_eq_u16_e32 vcc, 0, v11
	v_cndmask_b32_e32 v10, v10, v14, vcc
	v_cndmask_b32_e32 v11, v12, v13, vcc
	v_lshlrev_b32_e32 v12, 8, v6
	v_mov_b32_e32 v13, 0x3b800000
	v_lshlrev_b32_e32 v10, 20, v10
	v_and_b32_e32 v12, 0x80000000, v12
	v_lshl_add_u32 v11, v11, 23, v13
	v_or3_b32 v10, v12, v11, v10
.LBB8_148:
	s_or_b64 exec, exec, s[6:7]
	s_movk_i32 s4, 0xff
	v_and_b32_sdwa v11, v2, s4 dst_sel:DWORD dst_unused:UNUSED_PAD src0_sel:WORD_1 src1_sel:DWORD
	s_movk_i32 s4, 0x7f
	v_cmp_lt_i16_e32 vcc, s4, v11
	s_mov_b64 s[4:5], 0
                                        ; implicit-def: $sgpr10
	s_and_saveexec_b64 s[6:7], vcc
	s_xor_b64 s[6:7], exec, s[6:7]
	s_cbranch_execnz .LBB8_2197
; %bb.149:
	s_or_saveexec_b64 s[6:7], s[6:7]
	v_mov_b32_e32 v12, s10
	s_xor_b64 exec, exec, s[6:7]
	s_cbranch_execnz .LBB8_2200
.LBB8_150:
	s_or_b64 exec, exec, s[6:7]
	s_and_saveexec_b64 s[6:7], s[4:5]
	s_cbranch_execz .LBB8_152
.LBB8_151:
	v_bfe_u32 v11, v2, 16, 3
	v_ffbh_u32_e32 v14, v11
	v_min_u32_e32 v14, 32, v14
	v_lshrrev_b32_e32 v12, 19, v2
	v_subrev_u32_e32 v15, 28, v14
	v_and_b32_e32 v12, 15, v12
	v_lshlrev_b32_sdwa v15, v15, v2 dst_sel:DWORD dst_unused:UNUSED_PAD src0_sel:DWORD src1_sel:WORD_1
	v_bfe_u32 v13, v2, 19, 4
	v_sub_u32_e32 v14, 29, v14
	v_and_b32_e32 v15, 7, v15
	v_cmp_eq_u16_e32 vcc, 0, v12
	v_cndmask_b32_e32 v11, v11, v15, vcc
	v_cndmask_b32_e32 v12, v13, v14, vcc
	v_lshlrev_b32_e32 v13, 8, v2
	v_mov_b32_e32 v14, 0x3b800000
	v_lshlrev_b32_e32 v11, 20, v11
	v_and_b32_e32 v13, 0x80000000, v13
	v_lshl_add_u32 v12, v12, 23, v14
	v_or3_b32 v12, v13, v12, v11
.LBB8_152:
	s_or_b64 exec, exec, s[6:7]
	s_nop 0
	v_mfma_f32_16x16x4f32 a[0:3], v10, v12, a[0:3]
	s_movk_i32 s4, 0x7f
	v_cmp_gt_i16_sdwa s[6:7], v6, s4 src0_sel:BYTE_3 src1_sel:DWORD
	s_mov_b64 s[4:5], 0
                                        ; implicit-def: $sgpr10
	s_and_saveexec_b64 s[8:9], s[6:7]
	s_xor_b64 s[6:7], exec, s[8:9]
	s_cbranch_execnz .LBB8_2201
; %bb.153:
	s_or_saveexec_b64 s[6:7], s[6:7]
	v_mov_b32_e32 v10, s10
	s_xor_b64 exec, exec, s[6:7]
	s_cbranch_execnz .LBB8_2204
.LBB8_154:
	s_or_b64 exec, exec, s[6:7]
	s_and_saveexec_b64 s[6:7], s[4:5]
	s_cbranch_execz .LBB8_156
.LBB8_155:
	v_bfe_u32 v10, v6, 24, 3
	v_ffbh_u32_e32 v14, v10
	v_min_u32_e32 v14, 32, v14
	v_lshrrev_b32_e32 v12, 27, v6
	v_subrev_u32_e32 v15, 28, v14
	v_and_b32_e32 v11, 0x80000000, v6
	v_and_b32_e32 v12, 15, v12
	v_bfe_u32 v13, v6, 27, 4
	v_lshlrev_b32_sdwa v6, v15, v6 dst_sel:DWORD dst_unused:UNUSED_PAD src0_sel:DWORD src1_sel:BYTE_3
	v_sub_u32_e32 v14, 29, v14
	v_and_b32_e32 v6, 7, v6
	v_cmp_eq_u16_e32 vcc, 0, v12
	v_cndmask_b32_e32 v6, v10, v6, vcc
	v_cndmask_b32_e32 v10, v13, v14, vcc
	v_mov_b32_e32 v12, 0x3b800000
	v_lshlrev_b32_e32 v6, 20, v6
	v_lshl_add_u32 v10, v10, 23, v12
	v_or3_b32 v10, v11, v10, v6
.LBB8_156:
	s_or_b64 exec, exec, s[6:7]
	s_movk_i32 s4, 0x7f
	v_cmp_gt_i16_sdwa s[6:7], v2, s4 src0_sel:BYTE_3 src1_sel:DWORD
	s_mov_b64 s[4:5], 0
                                        ; implicit-def: $sgpr10
	s_and_saveexec_b64 s[8:9], s[6:7]
	s_xor_b64 s[6:7], exec, s[8:9]
	s_cbranch_execnz .LBB8_2205
; %bb.157:
	s_or_saveexec_b64 s[6:7], s[6:7]
	v_mov_b32_e32 v6, s10
	s_xor_b64 exec, exec, s[6:7]
	s_cbranch_execnz .LBB8_2208
.LBB8_158:
	s_or_b64 exec, exec, s[6:7]
	s_and_saveexec_b64 s[6:7], s[4:5]
	s_cbranch_execz .LBB8_160
.LBB8_159:
	v_bfe_u32 v6, v2, 24, 3
	v_ffbh_u32_e32 v14, v6
	v_min_u32_e32 v14, 32, v14
	v_lshrrev_b32_e32 v12, 27, v2
	v_subrev_u32_e32 v15, 28, v14
	v_and_b32_e32 v11, 0x80000000, v2
	v_and_b32_e32 v12, 15, v12
	v_bfe_u32 v13, v2, 27, 4
	v_lshlrev_b32_sdwa v2, v15, v2 dst_sel:DWORD dst_unused:UNUSED_PAD src0_sel:DWORD src1_sel:BYTE_3
	v_sub_u32_e32 v14, 29, v14
	v_and_b32_e32 v2, 7, v2
	v_cmp_eq_u16_e32 vcc, 0, v12
	v_cndmask_b32_e32 v2, v6, v2, vcc
	v_cndmask_b32_e32 v6, v13, v14, vcc
	v_mov_b32_e32 v12, 0x3b800000
	v_lshlrev_b32_e32 v2, 20, v2
	v_lshl_add_u32 v6, v6, 23, v12
	v_or3_b32 v6, v11, v6, v2
.LBB8_160:
	s_or_b64 exec, exec, s[6:7]
	s_nop 0
	v_mfma_f32_16x16x4f32 a[0:3], v10, v6, a[0:3]
	s_movk_i32 s4, 0x7f
	v_cmp_gt_i16_sdwa s[6:7], v7, s4 src0_sel:BYTE_0 src1_sel:DWORD
	s_mov_b64 s[4:5], 0
                                        ; implicit-def: $sgpr10
	s_and_saveexec_b64 s[8:9], s[6:7]
	s_xor_b64 s[6:7], exec, s[8:9]
	s_cbranch_execnz .LBB8_2209
; %bb.161:
	s_or_saveexec_b64 s[6:7], s[6:7]
	v_mov_b32_e32 v2, s10
	s_xor_b64 exec, exec, s[6:7]
	s_cbranch_execnz .LBB8_2212
.LBB8_162:
	s_or_b64 exec, exec, s[6:7]
	s_and_saveexec_b64 s[6:7], s[4:5]
	s_cbranch_execz .LBB8_164
.LBB8_163:
	v_and_b32_e32 v2, 7, v7
	v_ffbh_u32_e32 v10, v2
	v_min_u32_e32 v10, 32, v10
	v_lshrrev_b16_e32 v6, 3, v7
	v_subrev_u32_e32 v11, 28, v10
	v_and_b32_e32 v6, 15, v6
	v_lshlrev_b32_e32 v11, v11, v7
	v_sub_u32_e32 v10, 29, v10
	v_and_b32_e32 v11, 7, v11
	v_cmp_eq_u16_e32 vcc, 0, v6
	v_cndmask_b32_e32 v2, v2, v11, vcc
	v_cndmask_b32_e32 v6, v6, v10, vcc
	v_lshlrev_b32_e32 v10, 24, v7
	v_mov_b32_e32 v11, 0x3b800000
	v_lshlrev_b32_e32 v2, 20, v2
	v_and_b32_e32 v10, 0x80000000, v10
	v_lshl_add_u32 v6, v6, 23, v11
	v_or3_b32 v2, v10, v6, v2
.LBB8_164:
	s_or_b64 exec, exec, s[6:7]
	s_movk_i32 s4, 0x7f
	v_cmp_gt_i16_sdwa s[6:7], v3, s4 src0_sel:BYTE_0 src1_sel:DWORD
	s_mov_b64 s[4:5], 0
                                        ; implicit-def: $sgpr10
	s_and_saveexec_b64 s[8:9], s[6:7]
	s_xor_b64 s[6:7], exec, s[8:9]
	s_cbranch_execnz .LBB8_2213
; %bb.165:
	s_or_saveexec_b64 s[6:7], s[6:7]
	v_mov_b32_e32 v6, s10
	s_xor_b64 exec, exec, s[6:7]
	s_cbranch_execnz .LBB8_2216
.LBB8_166:
	s_or_b64 exec, exec, s[6:7]
	s_and_saveexec_b64 s[6:7], s[4:5]
	s_cbranch_execz .LBB8_168
.LBB8_167:
	v_and_b32_e32 v6, 7, v3
	v_ffbh_u32_e32 v11, v6
	v_min_u32_e32 v11, 32, v11
	v_lshrrev_b16_e32 v10, 3, v3
	v_subrev_u32_e32 v12, 28, v11
	v_and_b32_e32 v10, 15, v10
	v_lshlrev_b32_e32 v12, v12, v3
	v_sub_u32_e32 v11, 29, v11
	v_and_b32_e32 v12, 7, v12
	v_cmp_eq_u16_e32 vcc, 0, v10
	v_cndmask_b32_e32 v6, v6, v12, vcc
	v_cndmask_b32_e32 v10, v10, v11, vcc
	v_lshlrev_b32_e32 v11, 24, v3
	v_mov_b32_e32 v12, 0x3b800000
	v_lshlrev_b32_e32 v6, 20, v6
	v_and_b32_e32 v11, 0x80000000, v11
	v_lshl_add_u32 v10, v10, 23, v12
	v_or3_b32 v6, v11, v10, v6
.LBB8_168:
	s_or_b64 exec, exec, s[6:7]
	s_nop 0
	v_mfma_f32_16x16x4f32 a[0:3], v2, v6, a[0:3]
	v_lshrrev_b32_e32 v6, 8, v7
	s_movk_i32 s4, 0x7f
	v_cmp_gt_i16_sdwa s[6:7], v6, s4 src0_sel:BYTE_0 src1_sel:DWORD
	s_mov_b64 s[4:5], 0
                                        ; implicit-def: $sgpr10
	s_and_saveexec_b64 s[8:9], s[6:7]
	s_xor_b64 s[6:7], exec, s[8:9]
	s_cbranch_execnz .LBB8_2217
; %bb.169:
	s_or_saveexec_b64 s[6:7], s[6:7]
	v_mov_b32_e32 v2, s10
	s_xor_b64 exec, exec, s[6:7]
	s_cbranch_execnz .LBB8_2220
.LBB8_170:
	s_or_b64 exec, exec, s[6:7]
	s_and_saveexec_b64 s[6:7], s[4:5]
	s_cbranch_execz .LBB8_172
.LBB8_171:
	v_bfe_u32 v2, v7, 8, 3
	v_ffbh_u32_e32 v11, v2
	v_min_u32_e32 v11, 32, v11
	v_lshrrev_b16_e32 v10, 3, v6
	v_subrev_u32_e32 v12, 28, v11
	v_and_b32_e32 v10, 15, v10
	v_lshlrev_b32_e32 v6, v12, v6
	v_sub_u32_e32 v11, 29, v11
	v_and_b32_e32 v6, 7, v6
	v_cmp_eq_u16_e32 vcc, 0, v10
	v_cndmask_b32_e32 v2, v2, v6, vcc
	v_cndmask_b32_e32 v6, v10, v11, vcc
	v_lshlrev_b32_e32 v10, 16, v7
	v_mov_b32_e32 v11, 0x3b800000
	v_lshlrev_b32_e32 v2, 20, v2
	v_and_b32_e32 v10, 0x80000000, v10
	v_lshl_add_u32 v6, v6, 23, v11
	v_or3_b32 v2, v10, v6, v2
.LBB8_172:
	s_or_b64 exec, exec, s[6:7]
	v_lshrrev_b32_e32 v6, 8, v3
	s_movk_i32 s4, 0x7f
	v_cmp_gt_i16_sdwa s[6:7], v6, s4 src0_sel:BYTE_0 src1_sel:DWORD
	s_mov_b64 s[4:5], 0
                                        ; implicit-def: $sgpr10
	s_and_saveexec_b64 s[8:9], s[6:7]
	s_xor_b64 s[6:7], exec, s[8:9]
	s_cbranch_execnz .LBB8_2221
; %bb.173:
	s_or_saveexec_b64 s[6:7], s[6:7]
	v_mov_b32_e32 v10, s10
	s_xor_b64 exec, exec, s[6:7]
	s_cbranch_execnz .LBB8_2224
.LBB8_174:
	s_or_b64 exec, exec, s[6:7]
	s_and_saveexec_b64 s[6:7], s[4:5]
	s_cbranch_execz .LBB8_176
.LBB8_175:
	v_bfe_u32 v10, v3, 8, 3
	v_ffbh_u32_e32 v12, v10
	v_min_u32_e32 v12, 32, v12
	v_lshrrev_b16_e32 v11, 3, v6
	v_subrev_u32_e32 v13, 28, v12
	v_and_b32_e32 v11, 15, v11
	v_lshlrev_b32_e32 v6, v13, v6
	v_sub_u32_e32 v12, 29, v12
	v_and_b32_e32 v6, 7, v6
	v_cmp_eq_u16_e32 vcc, 0, v11
	v_cndmask_b32_e32 v6, v10, v6, vcc
	v_cndmask_b32_e32 v10, v11, v12, vcc
	v_lshlrev_b32_e32 v11, 16, v3
	v_mov_b32_e32 v12, 0x3b800000
	v_lshlrev_b32_e32 v6, 20, v6
	v_and_b32_e32 v11, 0x80000000, v11
	v_lshl_add_u32 v10, v10, 23, v12
	v_or3_b32 v10, v11, v10, v6
.LBB8_176:
	s_or_b64 exec, exec, s[6:7]
	s_nop 0
	v_mfma_f32_16x16x4f32 a[0:3], v2, v10, a[0:3]
	s_movk_i32 s4, 0xff
	v_and_b32_sdwa v6, v7, s4 dst_sel:DWORD dst_unused:UNUSED_PAD src0_sel:WORD_1 src1_sel:DWORD
	s_movk_i32 s4, 0x7f
	v_cmp_lt_i16_e32 vcc, s4, v6
	s_mov_b64 s[4:5], 0
                                        ; implicit-def: $sgpr10
	s_and_saveexec_b64 s[6:7], vcc
	s_xor_b64 s[6:7], exec, s[6:7]
	s_cbranch_execnz .LBB8_2225
; %bb.177:
	s_or_saveexec_b64 s[6:7], s[6:7]
	v_mov_b32_e32 v2, s10
	s_xor_b64 exec, exec, s[6:7]
	s_cbranch_execnz .LBB8_2228
.LBB8_178:
	s_or_b64 exec, exec, s[6:7]
	s_and_saveexec_b64 s[6:7], s[4:5]
	s_cbranch_execz .LBB8_180
.LBB8_179:
	v_bfe_u32 v2, v7, 16, 3
	v_ffbh_u32_e32 v11, v2
	v_min_u32_e32 v11, 32, v11
	v_lshrrev_b32_e32 v6, 19, v7
	v_subrev_u32_e32 v12, 28, v11
	v_and_b32_e32 v6, 15, v6
	v_lshlrev_b32_sdwa v12, v12, v7 dst_sel:DWORD dst_unused:UNUSED_PAD src0_sel:DWORD src1_sel:WORD_1
	v_bfe_u32 v10, v7, 19, 4
	v_sub_u32_e32 v11, 29, v11
	v_and_b32_e32 v12, 7, v12
	v_cmp_eq_u16_e32 vcc, 0, v6
	v_cndmask_b32_e32 v2, v2, v12, vcc
	v_cndmask_b32_e32 v6, v10, v11, vcc
	v_lshlrev_b32_e32 v10, 8, v7
	v_mov_b32_e32 v11, 0x3b800000
	v_lshlrev_b32_e32 v2, 20, v2
	v_and_b32_e32 v10, 0x80000000, v10
	v_lshl_add_u32 v6, v6, 23, v11
	v_or3_b32 v2, v10, v6, v2
.LBB8_180:
	s_or_b64 exec, exec, s[6:7]
	s_movk_i32 s4, 0xff
	v_and_b32_sdwa v6, v3, s4 dst_sel:DWORD dst_unused:UNUSED_PAD src0_sel:WORD_1 src1_sel:DWORD
	s_movk_i32 s4, 0x7f
	v_cmp_lt_i16_e32 vcc, s4, v6
	s_mov_b64 s[4:5], 0
                                        ; implicit-def: $sgpr10
	s_and_saveexec_b64 s[6:7], vcc
	s_xor_b64 s[6:7], exec, s[6:7]
	s_cbranch_execnz .LBB8_2229
; %bb.181:
	s_or_saveexec_b64 s[6:7], s[6:7]
	v_mov_b32_e32 v10, s10
	s_xor_b64 exec, exec, s[6:7]
	s_cbranch_execnz .LBB8_2232
.LBB8_182:
	s_or_b64 exec, exec, s[6:7]
	s_and_saveexec_b64 s[6:7], s[4:5]
	s_cbranch_execz .LBB8_184
.LBB8_183:
	v_bfe_u32 v6, v3, 16, 3
	v_ffbh_u32_e32 v12, v6
	v_min_u32_e32 v12, 32, v12
	v_lshrrev_b32_e32 v10, 19, v3
	v_subrev_u32_e32 v13, 28, v12
	v_and_b32_e32 v10, 15, v10
	v_lshlrev_b32_sdwa v13, v13, v3 dst_sel:DWORD dst_unused:UNUSED_PAD src0_sel:DWORD src1_sel:WORD_1
	v_bfe_u32 v11, v3, 19, 4
	v_sub_u32_e32 v12, 29, v12
	v_and_b32_e32 v13, 7, v13
	v_cmp_eq_u16_e32 vcc, 0, v10
	v_cndmask_b32_e32 v6, v6, v13, vcc
	v_cndmask_b32_e32 v10, v11, v12, vcc
	v_lshlrev_b32_e32 v11, 8, v3
	v_mov_b32_e32 v12, 0x3b800000
	v_lshlrev_b32_e32 v6, 20, v6
	v_and_b32_e32 v11, 0x80000000, v11
	v_lshl_add_u32 v10, v10, 23, v12
	v_or3_b32 v10, v11, v10, v6
.LBB8_184:
	s_or_b64 exec, exec, s[6:7]
	s_nop 0
	v_mfma_f32_16x16x4f32 a[0:3], v2, v10, a[0:3]
	s_movk_i32 s4, 0x7f
	v_cmp_gt_i16_sdwa s[6:7], v7, s4 src0_sel:BYTE_3 src1_sel:DWORD
	s_mov_b64 s[4:5], 0
                                        ; implicit-def: $sgpr10
	s_and_saveexec_b64 s[8:9], s[6:7]
	s_xor_b64 s[6:7], exec, s[8:9]
	s_cbranch_execnz .LBB8_2233
; %bb.185:
	s_or_saveexec_b64 s[6:7], s[6:7]
	v_mov_b32_e32 v2, s10
	s_xor_b64 exec, exec, s[6:7]
	s_cbranch_execnz .LBB8_2236
.LBB8_186:
	s_or_b64 exec, exec, s[6:7]
	s_and_saveexec_b64 s[6:7], s[4:5]
	s_cbranch_execz .LBB8_188
.LBB8_187:
	v_bfe_u32 v2, v7, 24, 3
	v_ffbh_u32_e32 v12, v2
	v_min_u32_e32 v12, 32, v12
	v_lshrrev_b32_e32 v10, 27, v7
	v_subrev_u32_e32 v13, 28, v12
	v_and_b32_e32 v6, 0x80000000, v7
	v_and_b32_e32 v10, 15, v10
	v_bfe_u32 v11, v7, 27, 4
	v_lshlrev_b32_sdwa v7, v13, v7 dst_sel:DWORD dst_unused:UNUSED_PAD src0_sel:DWORD src1_sel:BYTE_3
	v_sub_u32_e32 v12, 29, v12
	v_and_b32_e32 v7, 7, v7
	v_cmp_eq_u16_e32 vcc, 0, v10
	v_cndmask_b32_e32 v2, v2, v7, vcc
	v_cndmask_b32_e32 v7, v11, v12, vcc
	v_mov_b32_e32 v10, 0x3b800000
	v_lshlrev_b32_e32 v2, 20, v2
	v_lshl_add_u32 v7, v7, 23, v10
	v_or3_b32 v2, v6, v7, v2
.LBB8_188:
	s_or_b64 exec, exec, s[6:7]
	s_movk_i32 s4, 0x7f
	v_cmp_gt_i16_sdwa s[6:7], v3, s4 src0_sel:BYTE_3 src1_sel:DWORD
	s_mov_b64 s[4:5], 0
                                        ; implicit-def: $sgpr10
	s_and_saveexec_b64 s[8:9], s[6:7]
	s_xor_b64 s[6:7], exec, s[8:9]
	s_cbranch_execnz .LBB8_2237
; %bb.189:
	s_or_saveexec_b64 s[6:7], s[6:7]
	v_mov_b32_e32 v6, s10
	s_xor_b64 exec, exec, s[6:7]
	s_cbranch_execnz .LBB8_2240
.LBB8_190:
	s_or_b64 exec, exec, s[6:7]
	s_and_saveexec_b64 s[6:7], s[4:5]
	s_cbranch_execz .LBB8_192
.LBB8_191:
	v_bfe_u32 v6, v3, 24, 3
	v_ffbh_u32_e32 v12, v6
	v_min_u32_e32 v12, 32, v12
	v_lshrrev_b32_e32 v10, 27, v3
	v_subrev_u32_e32 v13, 28, v12
	v_and_b32_e32 v7, 0x80000000, v3
	v_and_b32_e32 v10, 15, v10
	v_bfe_u32 v11, v3, 27, 4
	v_lshlrev_b32_sdwa v3, v13, v3 dst_sel:DWORD dst_unused:UNUSED_PAD src0_sel:DWORD src1_sel:BYTE_3
	v_sub_u32_e32 v12, 29, v12
	v_and_b32_e32 v3, 7, v3
	v_cmp_eq_u16_e32 vcc, 0, v10
	v_cndmask_b32_e32 v3, v6, v3, vcc
	v_cndmask_b32_e32 v6, v11, v12, vcc
	v_mov_b32_e32 v10, 0x3b800000
	v_lshlrev_b32_e32 v3, 20, v3
	v_lshl_add_u32 v6, v6, 23, v10
	v_or3_b32 v6, v7, v6, v3
.LBB8_192:
	s_or_b64 exec, exec, s[6:7]
	s_nop 0
	v_mfma_f32_16x16x4f32 a[0:3], v2, v6, a[0:3]
	s_movk_i32 s4, 0x7f
	v_cmp_gt_i16_sdwa s[6:7], v8, s4 src0_sel:BYTE_0 src1_sel:DWORD
	s_mov_b64 s[4:5], 0
                                        ; implicit-def: $sgpr10
	s_and_saveexec_b64 s[8:9], s[6:7]
	s_xor_b64 s[6:7], exec, s[8:9]
	s_cbranch_execnz .LBB8_2241
; %bb.193:
	s_or_saveexec_b64 s[6:7], s[6:7]
	v_mov_b32_e32 v2, s10
	s_xor_b64 exec, exec, s[6:7]
	s_cbranch_execnz .LBB8_2244
.LBB8_194:
	s_or_b64 exec, exec, s[6:7]
	s_and_saveexec_b64 s[6:7], s[4:5]
	s_cbranch_execz .LBB8_196
.LBB8_195:
	v_and_b32_e32 v2, 7, v8
	v_ffbh_u32_e32 v6, v2
	v_min_u32_e32 v6, 32, v6
	v_lshrrev_b16_e32 v3, 3, v8
	v_subrev_u32_e32 v7, 28, v6
	v_and_b32_e32 v3, 15, v3
	v_lshlrev_b32_e32 v7, v7, v8
	v_sub_u32_e32 v6, 29, v6
	v_and_b32_e32 v7, 7, v7
	v_cmp_eq_u16_e32 vcc, 0, v3
	v_cndmask_b32_e32 v2, v2, v7, vcc
	v_cndmask_b32_e32 v3, v3, v6, vcc
	v_lshlrev_b32_e32 v6, 24, v8
	v_mov_b32_e32 v7, 0x3b800000
	v_lshlrev_b32_e32 v2, 20, v2
	v_and_b32_e32 v6, 0x80000000, v6
	v_lshl_add_u32 v3, v3, 23, v7
	v_or3_b32 v2, v6, v3, v2
.LBB8_196:
	s_or_b64 exec, exec, s[6:7]
	s_movk_i32 s4, 0x7f
	v_cmp_gt_i16_sdwa s[6:7], v4, s4 src0_sel:BYTE_0 src1_sel:DWORD
	s_mov_b64 s[4:5], 0
                                        ; implicit-def: $sgpr10
	s_and_saveexec_b64 s[8:9], s[6:7]
	s_xor_b64 s[6:7], exec, s[8:9]
	s_cbranch_execnz .LBB8_2245
; %bb.197:
	s_or_saveexec_b64 s[6:7], s[6:7]
	v_mov_b32_e32 v3, s10
	s_xor_b64 exec, exec, s[6:7]
	s_cbranch_execnz .LBB8_2248
.LBB8_198:
	s_or_b64 exec, exec, s[6:7]
	s_and_saveexec_b64 s[6:7], s[4:5]
	s_cbranch_execz .LBB8_200
.LBB8_199:
	v_and_b32_e32 v3, 7, v4
	v_ffbh_u32_e32 v7, v3
	v_min_u32_e32 v7, 32, v7
	v_lshrrev_b16_e32 v6, 3, v4
	v_subrev_u32_e32 v10, 28, v7
	v_and_b32_e32 v6, 15, v6
	v_lshlrev_b32_e32 v10, v10, v4
	v_sub_u32_e32 v7, 29, v7
	v_and_b32_e32 v10, 7, v10
	v_cmp_eq_u16_e32 vcc, 0, v6
	v_cndmask_b32_e32 v3, v3, v10, vcc
	v_cndmask_b32_e32 v6, v6, v7, vcc
	v_lshlrev_b32_e32 v7, 24, v4
	v_mov_b32_e32 v10, 0x3b800000
	v_lshlrev_b32_e32 v3, 20, v3
	v_and_b32_e32 v7, 0x80000000, v7
	v_lshl_add_u32 v6, v6, 23, v10
	v_or3_b32 v3, v7, v6, v3
.LBB8_200:
	s_or_b64 exec, exec, s[6:7]
	s_nop 0
	v_mfma_f32_16x16x4f32 a[0:3], v2, v3, a[0:3]
	v_lshrrev_b32_e32 v3, 8, v8
	s_movk_i32 s4, 0x7f
	v_cmp_gt_i16_sdwa s[6:7], v3, s4 src0_sel:BYTE_0 src1_sel:DWORD
	s_mov_b64 s[4:5], 0
                                        ; implicit-def: $sgpr10
	s_and_saveexec_b64 s[8:9], s[6:7]
	s_xor_b64 s[6:7], exec, s[8:9]
	s_cbranch_execnz .LBB8_2249
; %bb.201:
	s_or_saveexec_b64 s[6:7], s[6:7]
	v_mov_b32_e32 v2, s10
	s_xor_b64 exec, exec, s[6:7]
	s_cbranch_execnz .LBB8_2252
.LBB8_202:
	s_or_b64 exec, exec, s[6:7]
	s_and_saveexec_b64 s[6:7], s[4:5]
	s_cbranch_execz .LBB8_204
.LBB8_203:
	v_bfe_u32 v2, v8, 8, 3
	v_ffbh_u32_e32 v7, v2
	v_min_u32_e32 v7, 32, v7
	v_lshrrev_b16_e32 v6, 3, v3
	v_subrev_u32_e32 v10, 28, v7
	v_and_b32_e32 v6, 15, v6
	v_lshlrev_b32_e32 v3, v10, v3
	v_sub_u32_e32 v7, 29, v7
	v_and_b32_e32 v3, 7, v3
	v_cmp_eq_u16_e32 vcc, 0, v6
	v_cndmask_b32_e32 v2, v2, v3, vcc
	v_cndmask_b32_e32 v3, v6, v7, vcc
	v_lshlrev_b32_e32 v6, 16, v8
	v_mov_b32_e32 v7, 0x3b800000
	v_lshlrev_b32_e32 v2, 20, v2
	v_and_b32_e32 v6, 0x80000000, v6
	v_lshl_add_u32 v3, v3, 23, v7
	v_or3_b32 v2, v6, v3, v2
.LBB8_204:
	s_or_b64 exec, exec, s[6:7]
	v_lshrrev_b32_e32 v3, 8, v4
	s_movk_i32 s4, 0x7f
	v_cmp_gt_i16_sdwa s[6:7], v3, s4 src0_sel:BYTE_0 src1_sel:DWORD
	s_mov_b64 s[4:5], 0
                                        ; implicit-def: $sgpr10
	s_and_saveexec_b64 s[8:9], s[6:7]
	s_xor_b64 s[6:7], exec, s[8:9]
	s_cbranch_execnz .LBB8_2253
; %bb.205:
	s_or_saveexec_b64 s[6:7], s[6:7]
	v_mov_b32_e32 v6, s10
	s_xor_b64 exec, exec, s[6:7]
	s_cbranch_execnz .LBB8_2256
.LBB8_206:
	s_or_b64 exec, exec, s[6:7]
	s_and_saveexec_b64 s[6:7], s[4:5]
	s_cbranch_execz .LBB8_208
.LBB8_207:
	v_bfe_u32 v6, v4, 8, 3
	v_ffbh_u32_e32 v10, v6
	v_min_u32_e32 v10, 32, v10
	v_lshrrev_b16_e32 v7, 3, v3
	v_subrev_u32_e32 v11, 28, v10
	v_and_b32_e32 v7, 15, v7
	v_lshlrev_b32_e32 v3, v11, v3
	v_sub_u32_e32 v10, 29, v10
	v_and_b32_e32 v3, 7, v3
	v_cmp_eq_u16_e32 vcc, 0, v7
	v_cndmask_b32_e32 v3, v6, v3, vcc
	v_cndmask_b32_e32 v6, v7, v10, vcc
	v_lshlrev_b32_e32 v7, 16, v4
	v_mov_b32_e32 v10, 0x3b800000
	v_lshlrev_b32_e32 v3, 20, v3
	v_and_b32_e32 v7, 0x80000000, v7
	v_lshl_add_u32 v6, v6, 23, v10
	v_or3_b32 v6, v7, v6, v3
.LBB8_208:
	s_or_b64 exec, exec, s[6:7]
	s_nop 0
	v_mfma_f32_16x16x4f32 a[0:3], v2, v6, a[0:3]
	s_movk_i32 s4, 0xff
	v_and_b32_sdwa v3, v8, s4 dst_sel:DWORD dst_unused:UNUSED_PAD src0_sel:WORD_1 src1_sel:DWORD
	s_movk_i32 s4, 0x7f
	v_cmp_lt_i16_e32 vcc, s4, v3
	s_mov_b64 s[4:5], 0
                                        ; implicit-def: $sgpr10
	s_and_saveexec_b64 s[6:7], vcc
	s_xor_b64 s[6:7], exec, s[6:7]
	s_cbranch_execnz .LBB8_2257
; %bb.209:
	s_or_saveexec_b64 s[6:7], s[6:7]
	v_mov_b32_e32 v2, s10
	s_xor_b64 exec, exec, s[6:7]
	s_cbranch_execnz .LBB8_2260
.LBB8_210:
	s_or_b64 exec, exec, s[6:7]
	s_and_saveexec_b64 s[6:7], s[4:5]
	s_cbranch_execz .LBB8_212
.LBB8_211:
	v_bfe_u32 v2, v8, 16, 3
	v_ffbh_u32_e32 v7, v2
	v_min_u32_e32 v7, 32, v7
	v_lshrrev_b32_e32 v3, 19, v8
	v_subrev_u32_e32 v10, 28, v7
	v_and_b32_e32 v3, 15, v3
	v_lshlrev_b32_sdwa v10, v10, v8 dst_sel:DWORD dst_unused:UNUSED_PAD src0_sel:DWORD src1_sel:WORD_1
	v_bfe_u32 v6, v8, 19, 4
	v_sub_u32_e32 v7, 29, v7
	v_and_b32_e32 v10, 7, v10
	v_cmp_eq_u16_e32 vcc, 0, v3
	v_cndmask_b32_e32 v2, v2, v10, vcc
	v_cndmask_b32_e32 v3, v6, v7, vcc
	v_lshlrev_b32_e32 v6, 8, v8
	v_mov_b32_e32 v7, 0x3b800000
	v_lshlrev_b32_e32 v2, 20, v2
	v_and_b32_e32 v6, 0x80000000, v6
	v_lshl_add_u32 v3, v3, 23, v7
	v_or3_b32 v2, v6, v3, v2
.LBB8_212:
	s_or_b64 exec, exec, s[6:7]
	s_movk_i32 s4, 0xff
	v_and_b32_sdwa v3, v4, s4 dst_sel:DWORD dst_unused:UNUSED_PAD src0_sel:WORD_1 src1_sel:DWORD
	s_movk_i32 s4, 0x7f
	v_cmp_lt_i16_e32 vcc, s4, v3
	s_mov_b64 s[4:5], 0
                                        ; implicit-def: $sgpr10
	s_and_saveexec_b64 s[6:7], vcc
	s_xor_b64 s[6:7], exec, s[6:7]
	s_cbranch_execnz .LBB8_2261
; %bb.213:
	s_or_saveexec_b64 s[6:7], s[6:7]
	v_mov_b32_e32 v6, s10
	s_xor_b64 exec, exec, s[6:7]
	s_cbranch_execnz .LBB8_2264
.LBB8_214:
	s_or_b64 exec, exec, s[6:7]
	s_and_saveexec_b64 s[6:7], s[4:5]
	s_cbranch_execz .LBB8_216
.LBB8_215:
	v_bfe_u32 v3, v4, 16, 3
	v_ffbh_u32_e32 v10, v3
	v_min_u32_e32 v10, 32, v10
	v_lshrrev_b32_e32 v6, 19, v4
	v_subrev_u32_e32 v11, 28, v10
	v_and_b32_e32 v6, 15, v6
	v_lshlrev_b32_sdwa v11, v11, v4 dst_sel:DWORD dst_unused:UNUSED_PAD src0_sel:DWORD src1_sel:WORD_1
	v_bfe_u32 v7, v4, 19, 4
	v_sub_u32_e32 v10, 29, v10
	v_and_b32_e32 v11, 7, v11
	v_cmp_eq_u16_e32 vcc, 0, v6
	v_cndmask_b32_e32 v3, v3, v11, vcc
	v_cndmask_b32_e32 v6, v7, v10, vcc
	v_lshlrev_b32_e32 v7, 8, v4
	v_mov_b32_e32 v10, 0x3b800000
	v_lshlrev_b32_e32 v3, 20, v3
	v_and_b32_e32 v7, 0x80000000, v7
	v_lshl_add_u32 v6, v6, 23, v10
	v_or3_b32 v6, v7, v6, v3
.LBB8_216:
	s_or_b64 exec, exec, s[6:7]
	s_nop 0
	v_mfma_f32_16x16x4f32 a[0:3], v2, v6, a[0:3]
	s_movk_i32 s4, 0x7f
	v_cmp_gt_i16_sdwa s[6:7], v8, s4 src0_sel:BYTE_3 src1_sel:DWORD
	s_mov_b64 s[4:5], 0
                                        ; implicit-def: $sgpr10
	s_and_saveexec_b64 s[8:9], s[6:7]
	s_xor_b64 s[6:7], exec, s[8:9]
	s_cbranch_execnz .LBB8_2265
; %bb.217:
	s_or_saveexec_b64 s[6:7], s[6:7]
	v_mov_b32_e32 v2, s10
	s_xor_b64 exec, exec, s[6:7]
	s_cbranch_execnz .LBB8_2268
.LBB8_218:
	s_or_b64 exec, exec, s[6:7]
	s_and_saveexec_b64 s[6:7], s[4:5]
	s_cbranch_execz .LBB8_220
.LBB8_219:
	v_bfe_u32 v2, v8, 24, 3
	v_ffbh_u32_e32 v10, v2
	v_min_u32_e32 v10, 32, v10
	v_lshrrev_b32_e32 v6, 27, v8
	v_subrev_u32_e32 v11, 28, v10
	v_and_b32_e32 v3, 0x80000000, v8
	v_and_b32_e32 v6, 15, v6
	v_bfe_u32 v7, v8, 27, 4
	v_lshlrev_b32_sdwa v8, v11, v8 dst_sel:DWORD dst_unused:UNUSED_PAD src0_sel:DWORD src1_sel:BYTE_3
	v_sub_u32_e32 v10, 29, v10
	v_and_b32_e32 v8, 7, v8
	v_cmp_eq_u16_e32 vcc, 0, v6
	v_cndmask_b32_e32 v2, v2, v8, vcc
	v_cndmask_b32_e32 v6, v7, v10, vcc
	v_mov_b32_e32 v7, 0x3b800000
	v_lshlrev_b32_e32 v2, 20, v2
	v_lshl_add_u32 v6, v6, 23, v7
	v_or3_b32 v2, v3, v6, v2
.LBB8_220:
	s_or_b64 exec, exec, s[6:7]
	s_movk_i32 s4, 0x7f
	v_cmp_gt_i16_sdwa s[6:7], v4, s4 src0_sel:BYTE_3 src1_sel:DWORD
	s_mov_b64 s[4:5], 0
                                        ; implicit-def: $sgpr10
	s_and_saveexec_b64 s[8:9], s[6:7]
	s_xor_b64 s[6:7], exec, s[8:9]
	s_cbranch_execnz .LBB8_2269
; %bb.221:
	s_or_saveexec_b64 s[6:7], s[6:7]
	v_mov_b32_e32 v3, s10
	s_xor_b64 exec, exec, s[6:7]
	s_cbranch_execnz .LBB8_2272
.LBB8_222:
	s_or_b64 exec, exec, s[6:7]
	s_and_saveexec_b64 s[6:7], s[4:5]
	s_cbranch_execz .LBB8_224
.LBB8_223:
	v_bfe_u32 v3, v4, 24, 3
	v_ffbh_u32_e32 v10, v3
	v_min_u32_e32 v10, 32, v10
	v_lshrrev_b32_e32 v7, 27, v4
	v_subrev_u32_e32 v11, 28, v10
	v_and_b32_e32 v6, 0x80000000, v4
	v_and_b32_e32 v7, 15, v7
	v_bfe_u32 v8, v4, 27, 4
	v_lshlrev_b32_sdwa v4, v11, v4 dst_sel:DWORD dst_unused:UNUSED_PAD src0_sel:DWORD src1_sel:BYTE_3
	v_sub_u32_e32 v10, 29, v10
	v_and_b32_e32 v4, 7, v4
	v_cmp_eq_u16_e32 vcc, 0, v7
	v_cndmask_b32_e32 v3, v3, v4, vcc
	v_cndmask_b32_e32 v4, v8, v10, vcc
	v_mov_b32_e32 v7, 0x3b800000
	v_lshlrev_b32_e32 v3, 20, v3
	v_lshl_add_u32 v4, v4, 23, v7
	v_or3_b32 v3, v6, v4, v3
.LBB8_224:
	s_or_b64 exec, exec, s[6:7]
	s_nop 0
	v_mfma_f32_16x16x4f32 a[0:3], v2, v3, a[0:3]
	s_movk_i32 s4, 0x7f
	v_cmp_gt_i16_sdwa s[6:7], v9, s4 src0_sel:BYTE_0 src1_sel:DWORD
	s_mov_b64 s[4:5], 0
                                        ; implicit-def: $sgpr10
	s_and_saveexec_b64 s[8:9], s[6:7]
	s_xor_b64 s[6:7], exec, s[8:9]
	s_cbranch_execnz .LBB8_2273
; %bb.225:
	s_or_saveexec_b64 s[6:7], s[6:7]
	v_mov_b32_e32 v2, s10
	s_xor_b64 exec, exec, s[6:7]
	s_cbranch_execnz .LBB8_2276
.LBB8_226:
	s_or_b64 exec, exec, s[6:7]
	s_and_saveexec_b64 s[6:7], s[4:5]
	s_cbranch_execz .LBB8_228
.LBB8_227:
	v_mov_b32_e32 v2, 8
	v_and_b32_e32 v3, 7, v9
	v_lshrrev_b32_sdwa v2, v2, v9 dst_sel:BYTE_1 dst_unused:UNUSED_PAD src0_sel:DWORD src1_sel:DWORD
	v_ffbh_u32_e32 v4, v3
	v_or_b32_sdwa v2, v9, v2 dst_sel:DWORD dst_unused:UNUSED_PAD src0_sel:BYTE_0 src1_sel:DWORD
	v_min_u32_e32 v4, 32, v4
	v_lshrrev_b16_e32 v2, 3, v2
	v_subrev_u32_e32 v6, 28, v4
	v_and_b32_e32 v2, 15, v2
	v_lshlrev_b32_e32 v6, v6, v9
	v_sub_u32_e32 v4, 29, v4
	v_and_b32_e32 v6, 7, v6
	v_cmp_eq_u16_e32 vcc, 0, v2
	v_cndmask_b32_e32 v3, v3, v6, vcc
	v_cndmask_b32_e32 v2, v2, v4, vcc
	v_lshlrev_b32_e32 v4, 24, v9
	v_mov_b32_e32 v6, 0x3b800000
	v_lshlrev_b32_e32 v3, 20, v3
	v_and_b32_e32 v4, 0x80000000, v4
	v_lshl_add_u32 v2, v2, 23, v6
	v_or3_b32 v2, v4, v2, v3
.LBB8_228:
	s_or_b64 exec, exec, s[6:7]
	s_movk_i32 s4, 0x7f
	v_cmp_gt_i16_sdwa s[6:7], v5, s4 src0_sel:BYTE_0 src1_sel:DWORD
	s_mov_b64 s[4:5], 0
                                        ; implicit-def: $sgpr10
	s_and_saveexec_b64 s[8:9], s[6:7]
	s_xor_b64 s[6:7], exec, s[8:9]
	s_cbranch_execnz .LBB8_2277
; %bb.229:
	s_or_saveexec_b64 s[6:7], s[6:7]
	v_mov_b32_e32 v3, s10
	s_xor_b64 exec, exec, s[6:7]
	s_cbranch_execnz .LBB8_2280
.LBB8_230:
	s_or_b64 exec, exec, s[6:7]
	s_and_saveexec_b64 s[6:7], s[4:5]
	s_cbranch_execz .LBB8_232
.LBB8_231:
	v_mov_b32_e32 v3, 8
	v_and_b32_e32 v4, 7, v5
	v_lshrrev_b32_sdwa v3, v3, v5 dst_sel:BYTE_1 dst_unused:UNUSED_PAD src0_sel:DWORD src1_sel:DWORD
	v_ffbh_u32_e32 v6, v4
	v_or_b32_sdwa v3, v5, v3 dst_sel:DWORD dst_unused:UNUSED_PAD src0_sel:BYTE_0 src1_sel:DWORD
	v_min_u32_e32 v6, 32, v6
	v_lshrrev_b16_e32 v3, 3, v3
	v_subrev_u32_e32 v7, 28, v6
	v_and_b32_e32 v3, 15, v3
	v_lshlrev_b32_e32 v7, v7, v5
	v_sub_u32_e32 v6, 29, v6
	v_and_b32_e32 v7, 7, v7
	v_cmp_eq_u16_e32 vcc, 0, v3
	v_cndmask_b32_e32 v4, v4, v7, vcc
	v_cndmask_b32_e32 v3, v3, v6, vcc
	v_lshlrev_b32_e32 v6, 24, v5
	v_mov_b32_e32 v7, 0x3b800000
	v_lshlrev_b32_e32 v4, 20, v4
	v_and_b32_e32 v6, 0x80000000, v6
	v_lshl_add_u32 v3, v3, 23, v7
	v_or3_b32 v3, v6, v3, v4
.LBB8_232:
	s_or_b64 exec, exec, s[6:7]
	s_nop 0
	v_mfma_f32_16x16x4f32 a[0:3], v2, v3, a[0:3]
	v_lshrrev_b32_e32 v3, 8, v9
	s_movk_i32 s4, 0x7f
	v_cmp_gt_i16_sdwa s[6:7], v3, s4 src0_sel:BYTE_0 src1_sel:DWORD
	s_mov_b64 s[4:5], 0
                                        ; implicit-def: $sgpr10
	s_and_saveexec_b64 s[8:9], s[6:7]
	s_xor_b64 s[6:7], exec, s[8:9]
	s_cbranch_execnz .LBB8_2281
; %bb.233:
	s_or_saveexec_b64 s[6:7], s[6:7]
	v_mov_b32_e32 v2, s10
	s_xor_b64 exec, exec, s[6:7]
	s_cbranch_execnz .LBB8_2284
.LBB8_234:
	s_or_b64 exec, exec, s[6:7]
	s_and_saveexec_b64 s[6:7], s[4:5]
	s_cbranch_execz .LBB8_236
.LBB8_235:
	v_bfe_u32 v2, v9, 8, 3
	v_ffbh_u32_e32 v6, v2
	v_min_u32_e32 v6, 32, v6
	v_lshrrev_b16_e32 v4, 3, v3
	v_subrev_u32_e32 v7, 28, v6
	v_and_b32_e32 v4, 15, v4
	v_lshlrev_b32_e32 v3, v7, v3
	v_sub_u32_e32 v6, 29, v6
	v_and_b32_e32 v3, 7, v3
	v_cmp_eq_u16_e32 vcc, 0, v4
	v_cndmask_b32_e32 v2, v2, v3, vcc
	v_cndmask_b32_e32 v3, v4, v6, vcc
	v_lshlrev_b32_e32 v4, 16, v9
	v_mov_b32_e32 v6, 0x3b800000
	v_lshlrev_b32_e32 v2, 20, v2
	v_and_b32_e32 v4, 0x80000000, v4
	v_lshl_add_u32 v3, v3, 23, v6
	v_or3_b32 v2, v4, v3, v2
.LBB8_236:
	s_or_b64 exec, exec, s[6:7]
	v_lshrrev_b32_e32 v3, 8, v5
	s_movk_i32 s4, 0x7f
	v_cmp_gt_i16_sdwa s[6:7], v3, s4 src0_sel:BYTE_0 src1_sel:DWORD
	s_mov_b64 s[4:5], 0
                                        ; implicit-def: $sgpr10
	s_and_saveexec_b64 s[8:9], s[6:7]
	s_xor_b64 s[6:7], exec, s[8:9]
	s_cbranch_execnz .LBB8_2285
; %bb.237:
	s_or_saveexec_b64 s[6:7], s[6:7]
	v_mov_b32_e32 v4, s10
	s_xor_b64 exec, exec, s[6:7]
	s_cbranch_execnz .LBB8_2288
.LBB8_238:
	s_or_b64 exec, exec, s[6:7]
	s_and_saveexec_b64 s[6:7], s[4:5]
	s_cbranch_execz .LBB8_240
.LBB8_239:
	v_bfe_u32 v4, v5, 8, 3
	v_ffbh_u32_e32 v7, v4
	v_min_u32_e32 v7, 32, v7
	v_lshrrev_b16_e32 v6, 3, v3
	v_subrev_u32_e32 v8, 28, v7
	v_and_b32_e32 v6, 15, v6
	v_lshlrev_b32_e32 v3, v8, v3
	v_sub_u32_e32 v7, 29, v7
	v_and_b32_e32 v3, 7, v3
	v_cmp_eq_u16_e32 vcc, 0, v6
	v_cndmask_b32_e32 v3, v4, v3, vcc
	v_cndmask_b32_e32 v4, v6, v7, vcc
	v_lshlrev_b32_e32 v6, 16, v5
	v_mov_b32_e32 v7, 0x3b800000
	v_lshlrev_b32_e32 v3, 20, v3
	v_and_b32_e32 v6, 0x80000000, v6
	v_lshl_add_u32 v4, v4, 23, v7
	v_or3_b32 v4, v6, v4, v3
.LBB8_240:
	s_or_b64 exec, exec, s[6:7]
	s_nop 0
	v_mfma_f32_16x16x4f32 a[0:3], v2, v4, a[0:3]
	s_movk_i32 s4, 0xff
	v_and_b32_sdwa v3, v9, s4 dst_sel:DWORD dst_unused:UNUSED_PAD src0_sel:WORD_1 src1_sel:DWORD
	s_movk_i32 s4, 0x7f
	v_cmp_lt_i16_e32 vcc, s4, v3
	s_mov_b64 s[4:5], 0
                                        ; implicit-def: $sgpr10
	s_and_saveexec_b64 s[6:7], vcc
	s_xor_b64 s[6:7], exec, s[6:7]
	s_cbranch_execnz .LBB8_2289
; %bb.241:
	s_or_saveexec_b64 s[6:7], s[6:7]
	v_mov_b32_e32 v2, s10
	s_xor_b64 exec, exec, s[6:7]
	s_cbranch_execnz .LBB8_2292
.LBB8_242:
	s_or_b64 exec, exec, s[6:7]
	s_and_saveexec_b64 s[6:7], s[4:5]
	s_cbranch_execz .LBB8_244
.LBB8_243:
	v_bfe_u32 v2, v9, 16, 3
	v_ffbh_u32_e32 v6, v2
	v_min_u32_e32 v6, 32, v6
	v_lshrrev_b32_e32 v3, 19, v9
	v_subrev_u32_e32 v7, 28, v6
	v_and_b32_e32 v3, 15, v3
	v_lshlrev_b32_sdwa v7, v7, v9 dst_sel:DWORD dst_unused:UNUSED_PAD src0_sel:DWORD src1_sel:WORD_1
	v_bfe_u32 v4, v9, 19, 4
	v_sub_u32_e32 v6, 29, v6
	v_and_b32_e32 v7, 7, v7
	v_cmp_eq_u16_e32 vcc, 0, v3
	v_cndmask_b32_e32 v2, v2, v7, vcc
	v_cndmask_b32_e32 v3, v4, v6, vcc
	v_lshlrev_b32_e32 v4, 8, v9
	v_mov_b32_e32 v6, 0x3b800000
	v_lshlrev_b32_e32 v2, 20, v2
	v_and_b32_e32 v4, 0x80000000, v4
	v_lshl_add_u32 v3, v3, 23, v6
	v_or3_b32 v2, v4, v3, v2
.LBB8_244:
	s_or_b64 exec, exec, s[6:7]
	s_movk_i32 s4, 0xff
	v_and_b32_sdwa v3, v5, s4 dst_sel:DWORD dst_unused:UNUSED_PAD src0_sel:WORD_1 src1_sel:DWORD
	s_movk_i32 s4, 0x7f
	v_cmp_lt_i16_e32 vcc, s4, v3
	s_mov_b64 s[4:5], 0
                                        ; implicit-def: $sgpr10
	s_and_saveexec_b64 s[6:7], vcc
	s_xor_b64 s[6:7], exec, s[6:7]
	s_cbranch_execnz .LBB8_2293
; %bb.245:
	s_or_saveexec_b64 s[6:7], s[6:7]
	v_mov_b32_e32 v4, s10
	s_xor_b64 exec, exec, s[6:7]
	s_cbranch_execnz .LBB8_2296
.LBB8_246:
	s_or_b64 exec, exec, s[6:7]
	s_and_saveexec_b64 s[6:7], s[4:5]
	s_cbranch_execz .LBB8_248
.LBB8_247:
	v_bfe_u32 v3, v5, 16, 3
	v_ffbh_u32_e32 v7, v3
	v_min_u32_e32 v7, 32, v7
	v_lshrrev_b32_e32 v4, 19, v5
	v_subrev_u32_e32 v8, 28, v7
	v_and_b32_e32 v4, 15, v4
	v_lshlrev_b32_sdwa v8, v8, v5 dst_sel:DWORD dst_unused:UNUSED_PAD src0_sel:DWORD src1_sel:WORD_1
	v_bfe_u32 v6, v5, 19, 4
	v_sub_u32_e32 v7, 29, v7
	v_and_b32_e32 v8, 7, v8
	v_cmp_eq_u16_e32 vcc, 0, v4
	v_cndmask_b32_e32 v3, v3, v8, vcc
	v_cndmask_b32_e32 v4, v6, v7, vcc
	v_lshlrev_b32_e32 v6, 8, v5
	v_mov_b32_e32 v7, 0x3b800000
	v_lshlrev_b32_e32 v3, 20, v3
	v_and_b32_e32 v6, 0x80000000, v6
	v_lshl_add_u32 v4, v4, 23, v7
	v_or3_b32 v4, v6, v4, v3
.LBB8_248:
	s_or_b64 exec, exec, s[6:7]
	s_nop 0
	v_mfma_f32_16x16x4f32 a[0:3], v2, v4, a[0:3]
	s_movk_i32 s4, 0x7f
	v_cmp_gt_i16_sdwa s[6:7], v9, s4 src0_sel:BYTE_3 src1_sel:DWORD
	s_mov_b64 s[4:5], 0
                                        ; implicit-def: $sgpr10
	s_and_saveexec_b64 s[8:9], s[6:7]
	s_xor_b64 s[6:7], exec, s[8:9]
	s_cbranch_execnz .LBB8_2297
; %bb.249:
	s_or_saveexec_b64 s[6:7], s[6:7]
	v_mov_b32_e32 v2, s10
	s_xor_b64 exec, exec, s[6:7]
	s_cbranch_execnz .LBB8_2300
.LBB8_250:
	s_or_b64 exec, exec, s[6:7]
	s_and_saveexec_b64 s[6:7], s[4:5]
	s_cbranch_execz .LBB8_252
.LBB8_251:
	v_bfe_u32 v2, v9, 24, 3
	v_ffbh_u32_e32 v7, v2
	v_min_u32_e32 v7, 32, v7
	v_lshrrev_b32_e32 v4, 27, v9
	v_subrev_u32_e32 v8, 28, v7
	v_and_b32_e32 v4, 15, v4
	v_lshlrev_b32_sdwa v8, v8, v9 dst_sel:DWORD dst_unused:UNUSED_PAD src0_sel:DWORD src1_sel:BYTE_3
	v_bfe_u32 v6, v9, 27, 4
	v_sub_u32_e32 v7, 29, v7
	v_and_b32_e32 v8, 7, v8
	v_cmp_eq_u16_e32 vcc, 0, v4
	v_cndmask_b32_e32 v2, v2, v8, vcc
	v_cndmask_b32_e32 v4, v6, v7, vcc
	v_mov_b32_e32 v6, 0x3b800000
	v_and_b32_e32 v3, 0x80000000, v9
	v_lshlrev_b32_e32 v2, 20, v2
	v_lshl_add_u32 v4, v4, 23, v6
	v_or3_b32 v2, v3, v4, v2
.LBB8_252:
	s_or_b64 exec, exec, s[6:7]
	s_movk_i32 s4, 0x7f
	v_cmp_gt_i16_sdwa s[6:7], v5, s4 src0_sel:BYTE_3 src1_sel:DWORD
	s_mov_b64 s[4:5], 0
                                        ; implicit-def: $sgpr10
	s_and_saveexec_b64 s[8:9], s[6:7]
	s_xor_b64 s[6:7], exec, s[8:9]
	s_cbranch_execnz .LBB8_2301
; %bb.253:
	s_or_saveexec_b64 s[6:7], s[6:7]
	v_mov_b32_e32 v3, s10
	s_xor_b64 exec, exec, s[6:7]
	s_cbranch_execnz .LBB8_2304
.LBB8_254:
	s_or_b64 exec, exec, s[6:7]
	s_and_saveexec_b64 s[6:7], s[4:5]
	s_cbranch_execz .LBB8_256
.LBB8_255:
	v_bfe_u32 v3, v5, 24, 3
	v_ffbh_u32_e32 v8, v3
	v_min_u32_e32 v8, 32, v8
	v_lshrrev_b32_e32 v6, 27, v5
	v_subrev_u32_e32 v9, 28, v8
	v_and_b32_e32 v4, 0x80000000, v5
	v_and_b32_e32 v6, 15, v6
	v_bfe_u32 v7, v5, 27, 4
	v_lshlrev_b32_sdwa v5, v9, v5 dst_sel:DWORD dst_unused:UNUSED_PAD src0_sel:DWORD src1_sel:BYTE_3
	v_sub_u32_e32 v8, 29, v8
	v_and_b32_e32 v5, 7, v5
	v_cmp_eq_u16_e32 vcc, 0, v6
	v_cndmask_b32_e32 v3, v3, v5, vcc
	v_cndmask_b32_e32 v5, v7, v8, vcc
	v_mov_b32_e32 v6, 0x3b800000
	v_lshlrev_b32_e32 v3, 20, v3
	v_lshl_add_u32 v5, v5, 23, v6
	v_or3_b32 v3, v4, v5, v3
.LBB8_256:
	s_or_b64 exec, exec, s[6:7]
	s_nop 0
	v_mfma_f32_16x16x4f32 a[0:3], v2, v3, a[0:3]
	s_movk_i32 s4, 0x7f
                                        ; implicit-def: $sgpr10
	s_nop 7
	s_nop 1
	flat_store_dwordx4 v[18:19], a[0:3] offset:768
	flat_load_dwordx4 v[20:23], v[0:1] offset:16
	s_nop 0
	flat_load_dwordx2 v[18:19], v[0:1] offset:32
	s_waitcnt vmcnt(0) lgkmcnt(0)
	flat_load_dwordx4 v[14:17], v[20:21]
	flat_load_dwordx4 v[6:9], v[20:21] offset:16
	flat_load_dwordx4 v[10:13], v[22:23] offset:32
	;; [unrolled: 1-line block ×3, first 2 shown]
	s_waitcnt vmcnt(0) lgkmcnt(0)
	v_cmp_gt_i16_sdwa s[6:7], v14, s4 src0_sel:BYTE_0 src1_sel:DWORD
	s_mov_b64 s[4:5], 0
	s_and_saveexec_b64 s[8:9], s[6:7]
	s_xor_b64 s[6:7], exec, s[8:9]
	s_cbranch_execnz .LBB8_2305
; %bb.257:
	s_or_saveexec_b64 s[6:7], s[6:7]
	v_mov_b32_e32 v20, s10
	s_xor_b64 exec, exec, s[6:7]
	s_cbranch_execnz .LBB8_2308
.LBB8_258:
	s_or_b64 exec, exec, s[6:7]
	s_and_saveexec_b64 s[6:7], s[4:5]
	s_cbranch_execz .LBB8_260
.LBB8_259:
	v_and_b32_e32 v20, 7, v14
	v_ffbh_u32_e32 v22, v20
	v_min_u32_e32 v22, 32, v22
	v_lshrrev_b16_e32 v21, 3, v14
	v_subrev_u32_e32 v23, 28, v22
	v_and_b32_e32 v21, 15, v21
	v_lshlrev_b32_e32 v23, v23, v14
	v_sub_u32_e32 v22, 29, v22
	v_and_b32_e32 v23, 7, v23
	v_cmp_eq_u16_e32 vcc, 0, v21
	v_cndmask_b32_e32 v20, v20, v23, vcc
	v_cndmask_b32_e32 v21, v21, v22, vcc
	v_lshlrev_b32_e32 v22, 24, v14
	v_mov_b32_e32 v23, 0x3b800000
	v_lshlrev_b32_e32 v20, 20, v20
	v_and_b32_e32 v22, 0x80000000, v22
	v_lshl_add_u32 v21, v21, 23, v23
	v_or3_b32 v20, v22, v21, v20
.LBB8_260:
	s_or_b64 exec, exec, s[6:7]
	s_movk_i32 s4, 0x7f
	v_cmp_gt_i16_sdwa s[6:7], v10, s4 src0_sel:BYTE_0 src1_sel:DWORD
	s_mov_b64 s[4:5], 0
                                        ; implicit-def: $sgpr10
	s_and_saveexec_b64 s[8:9], s[6:7]
	s_xor_b64 s[6:7], exec, s[8:9]
	s_cbranch_execnz .LBB8_2309
; %bb.261:
	s_or_saveexec_b64 s[6:7], s[6:7]
	v_mov_b32_e32 v21, s10
	s_xor_b64 exec, exec, s[6:7]
	s_cbranch_execnz .LBB8_2312
.LBB8_262:
	s_or_b64 exec, exec, s[6:7]
	s_and_saveexec_b64 s[6:7], s[4:5]
	s_cbranch_execz .LBB8_264
.LBB8_263:
	v_and_b32_e32 v21, 7, v10
	v_ffbh_u32_e32 v23, v21
	v_min_u32_e32 v23, 32, v23
	v_lshrrev_b16_e32 v22, 3, v10
	v_subrev_u32_e32 v24, 28, v23
	v_and_b32_e32 v22, 15, v22
	v_lshlrev_b32_e32 v24, v24, v10
	v_sub_u32_e32 v23, 29, v23
	v_and_b32_e32 v24, 7, v24
	v_cmp_eq_u16_e32 vcc, 0, v22
	v_cndmask_b32_e32 v21, v21, v24, vcc
	v_cndmask_b32_e32 v22, v22, v23, vcc
	v_lshlrev_b32_e32 v23, 24, v10
	v_mov_b32_e32 v24, 0x3b800000
	v_lshlrev_b32_e32 v21, 20, v21
	v_and_b32_e32 v23, 0x80000000, v23
	v_lshl_add_u32 v22, v22, 23, v24
	v_or3_b32 v21, v23, v22, v21
.LBB8_264:
	s_or_b64 exec, exec, s[6:7]
	flat_load_dwordx4 a[0:3], v[18:19] offset:784
	s_movk_i32 s4, 0x7f
                                        ; implicit-def: $sgpr10
	s_waitcnt vmcnt(0) lgkmcnt(0)
	v_mfma_f32_16x16x4f32 a[0:3], v20, v21, a[0:3]
	v_lshrrev_b32_e32 v21, 8, v14
	v_cmp_gt_i16_sdwa s[6:7], v21, s4 src0_sel:BYTE_0 src1_sel:DWORD
	s_mov_b64 s[4:5], 0
	s_and_saveexec_b64 s[8:9], s[6:7]
	s_xor_b64 s[6:7], exec, s[8:9]
	s_cbranch_execnz .LBB8_2313
; %bb.265:
	s_or_saveexec_b64 s[6:7], s[6:7]
	v_mov_b32_e32 v20, s10
	s_xor_b64 exec, exec, s[6:7]
	s_cbranch_execnz .LBB8_2316
.LBB8_266:
	s_or_b64 exec, exec, s[6:7]
	s_and_saveexec_b64 s[6:7], s[4:5]
	s_cbranch_execz .LBB8_268
.LBB8_267:
	v_bfe_u32 v20, v14, 8, 3
	v_ffbh_u32_e32 v23, v20
	v_min_u32_e32 v23, 32, v23
	v_lshrrev_b16_e32 v22, 3, v21
	v_subrev_u32_e32 v24, 28, v23
	v_and_b32_e32 v22, 15, v22
	v_lshlrev_b32_e32 v21, v24, v21
	v_sub_u32_e32 v23, 29, v23
	v_and_b32_e32 v21, 7, v21
	v_cmp_eq_u16_e32 vcc, 0, v22
	v_cndmask_b32_e32 v20, v20, v21, vcc
	v_cndmask_b32_e32 v21, v22, v23, vcc
	v_lshlrev_b32_e32 v22, 16, v14
	v_mov_b32_e32 v23, 0x3b800000
	v_lshlrev_b32_e32 v20, 20, v20
	v_and_b32_e32 v22, 0x80000000, v22
	v_lshl_add_u32 v21, v21, 23, v23
	v_or3_b32 v20, v22, v21, v20
.LBB8_268:
	s_or_b64 exec, exec, s[6:7]
	v_lshrrev_b32_e32 v21, 8, v10
	s_movk_i32 s4, 0x7f
	v_cmp_gt_i16_sdwa s[6:7], v21, s4 src0_sel:BYTE_0 src1_sel:DWORD
	s_mov_b64 s[4:5], 0
                                        ; implicit-def: $sgpr10
	s_and_saveexec_b64 s[8:9], s[6:7]
	s_xor_b64 s[6:7], exec, s[8:9]
	s_cbranch_execnz .LBB8_2317
; %bb.269:
	s_or_saveexec_b64 s[6:7], s[6:7]
	v_mov_b32_e32 v22, s10
	s_xor_b64 exec, exec, s[6:7]
	s_cbranch_execnz .LBB8_2320
.LBB8_270:
	s_or_b64 exec, exec, s[6:7]
	s_and_saveexec_b64 s[6:7], s[4:5]
	s_cbranch_execz .LBB8_272
.LBB8_271:
	v_bfe_u32 v22, v10, 8, 3
	v_ffbh_u32_e32 v24, v22
	v_min_u32_e32 v24, 32, v24
	v_lshrrev_b16_e32 v23, 3, v21
	v_subrev_u32_e32 v25, 28, v24
	v_and_b32_e32 v23, 15, v23
	v_lshlrev_b32_e32 v21, v25, v21
	v_sub_u32_e32 v24, 29, v24
	v_and_b32_e32 v21, 7, v21
	v_cmp_eq_u16_e32 vcc, 0, v23
	v_cndmask_b32_e32 v21, v22, v21, vcc
	v_cndmask_b32_e32 v22, v23, v24, vcc
	v_lshlrev_b32_e32 v23, 16, v10
	v_mov_b32_e32 v24, 0x3b800000
	v_lshlrev_b32_e32 v21, 20, v21
	v_and_b32_e32 v23, 0x80000000, v23
	v_lshl_add_u32 v22, v22, 23, v24
	v_or3_b32 v22, v23, v22, v21
.LBB8_272:
	s_or_b64 exec, exec, s[6:7]
	s_nop 0
	v_mfma_f32_16x16x4f32 a[0:3], v20, v22, a[0:3]
	s_movk_i32 s4, 0xff
	v_and_b32_sdwa v21, v14, s4 dst_sel:DWORD dst_unused:UNUSED_PAD src0_sel:WORD_1 src1_sel:DWORD
	s_movk_i32 s4, 0x7f
	v_cmp_lt_i16_e32 vcc, s4, v21
	s_mov_b64 s[4:5], 0
                                        ; implicit-def: $sgpr10
	s_and_saveexec_b64 s[6:7], vcc
	s_xor_b64 s[6:7], exec, s[6:7]
	s_cbranch_execnz .LBB8_2321
; %bb.273:
	s_or_saveexec_b64 s[6:7], s[6:7]
	v_mov_b32_e32 v20, s10
	s_xor_b64 exec, exec, s[6:7]
	s_cbranch_execnz .LBB8_2324
.LBB8_274:
	s_or_b64 exec, exec, s[6:7]
	s_and_saveexec_b64 s[6:7], s[4:5]
	s_cbranch_execz .LBB8_276
.LBB8_275:
	v_bfe_u32 v20, v14, 16, 3
	v_ffbh_u32_e32 v23, v20
	v_min_u32_e32 v23, 32, v23
	v_lshrrev_b32_e32 v21, 19, v14
	v_subrev_u32_e32 v24, 28, v23
	v_and_b32_e32 v21, 15, v21
	v_lshlrev_b32_sdwa v24, v24, v14 dst_sel:DWORD dst_unused:UNUSED_PAD src0_sel:DWORD src1_sel:WORD_1
	v_bfe_u32 v22, v14, 19, 4
	v_sub_u32_e32 v23, 29, v23
	v_and_b32_e32 v24, 7, v24
	v_cmp_eq_u16_e32 vcc, 0, v21
	v_cndmask_b32_e32 v20, v20, v24, vcc
	v_cndmask_b32_e32 v21, v22, v23, vcc
	v_lshlrev_b32_e32 v22, 8, v14
	v_mov_b32_e32 v23, 0x3b800000
	v_lshlrev_b32_e32 v20, 20, v20
	v_and_b32_e32 v22, 0x80000000, v22
	v_lshl_add_u32 v21, v21, 23, v23
	v_or3_b32 v20, v22, v21, v20
.LBB8_276:
	s_or_b64 exec, exec, s[6:7]
	s_movk_i32 s4, 0xff
	v_and_b32_sdwa v21, v10, s4 dst_sel:DWORD dst_unused:UNUSED_PAD src0_sel:WORD_1 src1_sel:DWORD
	s_movk_i32 s4, 0x7f
	v_cmp_lt_i16_e32 vcc, s4, v21
	s_mov_b64 s[4:5], 0
                                        ; implicit-def: $sgpr10
	s_and_saveexec_b64 s[6:7], vcc
	s_xor_b64 s[6:7], exec, s[6:7]
	s_cbranch_execnz .LBB8_2325
; %bb.277:
	s_or_saveexec_b64 s[6:7], s[6:7]
	v_mov_b32_e32 v22, s10
	s_xor_b64 exec, exec, s[6:7]
	s_cbranch_execnz .LBB8_2328
.LBB8_278:
	s_or_b64 exec, exec, s[6:7]
	s_and_saveexec_b64 s[6:7], s[4:5]
	s_cbranch_execz .LBB8_280
.LBB8_279:
	v_bfe_u32 v21, v10, 16, 3
	v_ffbh_u32_e32 v24, v21
	v_min_u32_e32 v24, 32, v24
	v_lshrrev_b32_e32 v22, 19, v10
	v_subrev_u32_e32 v25, 28, v24
	v_and_b32_e32 v22, 15, v22
	v_lshlrev_b32_sdwa v25, v25, v10 dst_sel:DWORD dst_unused:UNUSED_PAD src0_sel:DWORD src1_sel:WORD_1
	v_bfe_u32 v23, v10, 19, 4
	v_sub_u32_e32 v24, 29, v24
	v_and_b32_e32 v25, 7, v25
	v_cmp_eq_u16_e32 vcc, 0, v22
	v_cndmask_b32_e32 v21, v21, v25, vcc
	v_cndmask_b32_e32 v22, v23, v24, vcc
	v_lshlrev_b32_e32 v23, 8, v10
	v_mov_b32_e32 v24, 0x3b800000
	v_lshlrev_b32_e32 v21, 20, v21
	v_and_b32_e32 v23, 0x80000000, v23
	v_lshl_add_u32 v22, v22, 23, v24
	v_or3_b32 v22, v23, v22, v21
.LBB8_280:
	s_or_b64 exec, exec, s[6:7]
	s_nop 0
	v_mfma_f32_16x16x4f32 a[0:3], v20, v22, a[0:3]
	s_movk_i32 s4, 0x7f
	v_cmp_gt_i16_sdwa s[6:7], v14, s4 src0_sel:BYTE_3 src1_sel:DWORD
	s_mov_b64 s[4:5], 0
                                        ; implicit-def: $sgpr10
	s_and_saveexec_b64 s[8:9], s[6:7]
	s_xor_b64 s[6:7], exec, s[8:9]
	s_cbranch_execnz .LBB8_2329
; %bb.281:
	s_or_saveexec_b64 s[6:7], s[6:7]
	v_mov_b32_e32 v20, s10
	s_xor_b64 exec, exec, s[6:7]
	s_cbranch_execnz .LBB8_2332
.LBB8_282:
	s_or_b64 exec, exec, s[6:7]
	s_and_saveexec_b64 s[6:7], s[4:5]
	s_cbranch_execz .LBB8_284
.LBB8_283:
	v_bfe_u32 v20, v14, 24, 3
	v_ffbh_u32_e32 v24, v20
	v_min_u32_e32 v24, 32, v24
	v_lshrrev_b32_e32 v22, 27, v14
	v_subrev_u32_e32 v25, 28, v24
	v_and_b32_e32 v21, 0x80000000, v14
	v_and_b32_e32 v22, 15, v22
	v_bfe_u32 v23, v14, 27, 4
	v_lshlrev_b32_sdwa v14, v25, v14 dst_sel:DWORD dst_unused:UNUSED_PAD src0_sel:DWORD src1_sel:BYTE_3
	v_sub_u32_e32 v24, 29, v24
	v_and_b32_e32 v14, 7, v14
	v_cmp_eq_u16_e32 vcc, 0, v22
	v_cndmask_b32_e32 v14, v20, v14, vcc
	v_cndmask_b32_e32 v20, v23, v24, vcc
	v_mov_b32_e32 v22, 0x3b800000
	v_lshlrev_b32_e32 v14, 20, v14
	v_lshl_add_u32 v20, v20, 23, v22
	v_or3_b32 v20, v21, v20, v14
.LBB8_284:
	s_or_b64 exec, exec, s[6:7]
	s_movk_i32 s4, 0x7f
	v_cmp_gt_i16_sdwa s[6:7], v10, s4 src0_sel:BYTE_3 src1_sel:DWORD
	s_mov_b64 s[4:5], 0
                                        ; implicit-def: $sgpr10
	s_and_saveexec_b64 s[8:9], s[6:7]
	s_xor_b64 s[6:7], exec, s[8:9]
	s_cbranch_execnz .LBB8_2333
; %bb.285:
	s_or_saveexec_b64 s[6:7], s[6:7]
	v_mov_b32_e32 v14, s10
	s_xor_b64 exec, exec, s[6:7]
	s_cbranch_execnz .LBB8_2336
.LBB8_286:
	s_or_b64 exec, exec, s[6:7]
	s_and_saveexec_b64 s[6:7], s[4:5]
	s_cbranch_execz .LBB8_288
.LBB8_287:
	v_bfe_u32 v14, v10, 24, 3
	v_ffbh_u32_e32 v24, v14
	v_min_u32_e32 v24, 32, v24
	v_lshrrev_b32_e32 v22, 27, v10
	v_subrev_u32_e32 v25, 28, v24
	v_and_b32_e32 v21, 0x80000000, v10
	v_and_b32_e32 v22, 15, v22
	v_bfe_u32 v23, v10, 27, 4
	v_lshlrev_b32_sdwa v10, v25, v10 dst_sel:DWORD dst_unused:UNUSED_PAD src0_sel:DWORD src1_sel:BYTE_3
	v_sub_u32_e32 v24, 29, v24
	v_and_b32_e32 v10, 7, v10
	v_cmp_eq_u16_e32 vcc, 0, v22
	v_cndmask_b32_e32 v10, v14, v10, vcc
	v_cndmask_b32_e32 v14, v23, v24, vcc
	v_mov_b32_e32 v22, 0x3b800000
	v_lshlrev_b32_e32 v10, 20, v10
	v_lshl_add_u32 v14, v14, 23, v22
	v_or3_b32 v14, v21, v14, v10
.LBB8_288:
	s_or_b64 exec, exec, s[6:7]
	s_nop 0
	v_mfma_f32_16x16x4f32 a[0:3], v20, v14, a[0:3]
	s_movk_i32 s4, 0x7f
	v_cmp_gt_i16_sdwa s[6:7], v15, s4 src0_sel:BYTE_0 src1_sel:DWORD
	s_mov_b64 s[4:5], 0
                                        ; implicit-def: $sgpr10
	s_and_saveexec_b64 s[8:9], s[6:7]
	s_xor_b64 s[6:7], exec, s[8:9]
	s_cbranch_execnz .LBB8_2337
; %bb.289:
	s_or_saveexec_b64 s[6:7], s[6:7]
	v_mov_b32_e32 v10, s10
	s_xor_b64 exec, exec, s[6:7]
	s_cbranch_execnz .LBB8_2340
.LBB8_290:
	s_or_b64 exec, exec, s[6:7]
	s_and_saveexec_b64 s[6:7], s[4:5]
	s_cbranch_execz .LBB8_292
.LBB8_291:
	v_and_b32_e32 v10, 7, v15
	v_ffbh_u32_e32 v20, v10
	v_min_u32_e32 v20, 32, v20
	v_lshrrev_b16_e32 v14, 3, v15
	v_subrev_u32_e32 v21, 28, v20
	v_and_b32_e32 v14, 15, v14
	v_lshlrev_b32_e32 v21, v21, v15
	v_sub_u32_e32 v20, 29, v20
	v_and_b32_e32 v21, 7, v21
	v_cmp_eq_u16_e32 vcc, 0, v14
	v_cndmask_b32_e32 v10, v10, v21, vcc
	v_cndmask_b32_e32 v14, v14, v20, vcc
	v_lshlrev_b32_e32 v20, 24, v15
	v_mov_b32_e32 v21, 0x3b800000
	v_lshlrev_b32_e32 v10, 20, v10
	v_and_b32_e32 v20, 0x80000000, v20
	v_lshl_add_u32 v14, v14, 23, v21
	v_or3_b32 v10, v20, v14, v10
.LBB8_292:
	s_or_b64 exec, exec, s[6:7]
	s_movk_i32 s4, 0x7f
	v_cmp_gt_i16_sdwa s[6:7], v11, s4 src0_sel:BYTE_0 src1_sel:DWORD
	s_mov_b64 s[4:5], 0
                                        ; implicit-def: $sgpr10
	s_and_saveexec_b64 s[8:9], s[6:7]
	s_xor_b64 s[6:7], exec, s[8:9]
	s_cbranch_execnz .LBB8_2341
; %bb.293:
	s_or_saveexec_b64 s[6:7], s[6:7]
	v_mov_b32_e32 v14, s10
	s_xor_b64 exec, exec, s[6:7]
	s_cbranch_execnz .LBB8_2344
.LBB8_294:
	s_or_b64 exec, exec, s[6:7]
	s_and_saveexec_b64 s[6:7], s[4:5]
	s_cbranch_execz .LBB8_296
.LBB8_295:
	v_and_b32_e32 v14, 7, v11
	v_ffbh_u32_e32 v21, v14
	v_min_u32_e32 v21, 32, v21
	v_lshrrev_b16_e32 v20, 3, v11
	v_subrev_u32_e32 v22, 28, v21
	v_and_b32_e32 v20, 15, v20
	v_lshlrev_b32_e32 v22, v22, v11
	v_sub_u32_e32 v21, 29, v21
	v_and_b32_e32 v22, 7, v22
	v_cmp_eq_u16_e32 vcc, 0, v20
	v_cndmask_b32_e32 v14, v14, v22, vcc
	v_cndmask_b32_e32 v20, v20, v21, vcc
	v_lshlrev_b32_e32 v21, 24, v11
	v_mov_b32_e32 v22, 0x3b800000
	v_lshlrev_b32_e32 v14, 20, v14
	v_and_b32_e32 v21, 0x80000000, v21
	v_lshl_add_u32 v20, v20, 23, v22
	v_or3_b32 v14, v21, v20, v14
.LBB8_296:
	s_or_b64 exec, exec, s[6:7]
	s_nop 0
	v_mfma_f32_16x16x4f32 a[0:3], v10, v14, a[0:3]
	v_lshrrev_b32_e32 v14, 8, v15
	s_movk_i32 s4, 0x7f
	v_cmp_gt_i16_sdwa s[6:7], v14, s4 src0_sel:BYTE_0 src1_sel:DWORD
	s_mov_b64 s[4:5], 0
                                        ; implicit-def: $sgpr10
	s_and_saveexec_b64 s[8:9], s[6:7]
	s_xor_b64 s[6:7], exec, s[8:9]
	s_cbranch_execnz .LBB8_2345
; %bb.297:
	s_or_saveexec_b64 s[6:7], s[6:7]
	v_mov_b32_e32 v10, s10
	s_xor_b64 exec, exec, s[6:7]
	s_cbranch_execnz .LBB8_2348
.LBB8_298:
	s_or_b64 exec, exec, s[6:7]
	s_and_saveexec_b64 s[6:7], s[4:5]
	s_cbranch_execz .LBB8_300
.LBB8_299:
	v_bfe_u32 v10, v15, 8, 3
	v_ffbh_u32_e32 v21, v10
	v_min_u32_e32 v21, 32, v21
	v_lshrrev_b16_e32 v20, 3, v14
	v_subrev_u32_e32 v22, 28, v21
	v_and_b32_e32 v20, 15, v20
	v_lshlrev_b32_e32 v14, v22, v14
	v_sub_u32_e32 v21, 29, v21
	v_and_b32_e32 v14, 7, v14
	v_cmp_eq_u16_e32 vcc, 0, v20
	v_cndmask_b32_e32 v10, v10, v14, vcc
	v_cndmask_b32_e32 v14, v20, v21, vcc
	v_lshlrev_b32_e32 v20, 16, v15
	v_mov_b32_e32 v21, 0x3b800000
	v_lshlrev_b32_e32 v10, 20, v10
	v_and_b32_e32 v20, 0x80000000, v20
	v_lshl_add_u32 v14, v14, 23, v21
	v_or3_b32 v10, v20, v14, v10
.LBB8_300:
	s_or_b64 exec, exec, s[6:7]
	v_lshrrev_b32_e32 v14, 8, v11
	s_movk_i32 s4, 0x7f
	v_cmp_gt_i16_sdwa s[6:7], v14, s4 src0_sel:BYTE_0 src1_sel:DWORD
	s_mov_b64 s[4:5], 0
                                        ; implicit-def: $sgpr10
	s_and_saveexec_b64 s[8:9], s[6:7]
	s_xor_b64 s[6:7], exec, s[8:9]
	s_cbranch_execnz .LBB8_2349
; %bb.301:
	s_or_saveexec_b64 s[6:7], s[6:7]
	v_mov_b32_e32 v20, s10
	s_xor_b64 exec, exec, s[6:7]
	s_cbranch_execnz .LBB8_2352
.LBB8_302:
	s_or_b64 exec, exec, s[6:7]
	s_and_saveexec_b64 s[6:7], s[4:5]
	s_cbranch_execz .LBB8_304
.LBB8_303:
	v_bfe_u32 v20, v11, 8, 3
	v_ffbh_u32_e32 v22, v20
	v_min_u32_e32 v22, 32, v22
	v_lshrrev_b16_e32 v21, 3, v14
	v_subrev_u32_e32 v23, 28, v22
	v_and_b32_e32 v21, 15, v21
	v_lshlrev_b32_e32 v14, v23, v14
	v_sub_u32_e32 v22, 29, v22
	v_and_b32_e32 v14, 7, v14
	v_cmp_eq_u16_e32 vcc, 0, v21
	v_cndmask_b32_e32 v14, v20, v14, vcc
	v_cndmask_b32_e32 v20, v21, v22, vcc
	v_lshlrev_b32_e32 v21, 16, v11
	v_mov_b32_e32 v22, 0x3b800000
	v_lshlrev_b32_e32 v14, 20, v14
	v_and_b32_e32 v21, 0x80000000, v21
	v_lshl_add_u32 v20, v20, 23, v22
	v_or3_b32 v20, v21, v20, v14
.LBB8_304:
	s_or_b64 exec, exec, s[6:7]
	s_nop 0
	v_mfma_f32_16x16x4f32 a[0:3], v10, v20, a[0:3]
	s_movk_i32 s4, 0xff
	v_and_b32_sdwa v14, v15, s4 dst_sel:DWORD dst_unused:UNUSED_PAD src0_sel:WORD_1 src1_sel:DWORD
	s_movk_i32 s4, 0x7f
	v_cmp_lt_i16_e32 vcc, s4, v14
	s_mov_b64 s[4:5], 0
                                        ; implicit-def: $sgpr10
	s_and_saveexec_b64 s[6:7], vcc
	s_xor_b64 s[6:7], exec, s[6:7]
	s_cbranch_execnz .LBB8_2353
; %bb.305:
	s_or_saveexec_b64 s[6:7], s[6:7]
	v_mov_b32_e32 v10, s10
	s_xor_b64 exec, exec, s[6:7]
	s_cbranch_execnz .LBB8_2356
.LBB8_306:
	s_or_b64 exec, exec, s[6:7]
	s_and_saveexec_b64 s[6:7], s[4:5]
	s_cbranch_execz .LBB8_308
.LBB8_307:
	v_bfe_u32 v10, v15, 16, 3
	v_ffbh_u32_e32 v21, v10
	v_min_u32_e32 v21, 32, v21
	v_lshrrev_b32_e32 v14, 19, v15
	v_subrev_u32_e32 v22, 28, v21
	v_and_b32_e32 v14, 15, v14
	v_lshlrev_b32_sdwa v22, v22, v15 dst_sel:DWORD dst_unused:UNUSED_PAD src0_sel:DWORD src1_sel:WORD_1
	v_bfe_u32 v20, v15, 19, 4
	v_sub_u32_e32 v21, 29, v21
	v_and_b32_e32 v22, 7, v22
	v_cmp_eq_u16_e32 vcc, 0, v14
	v_cndmask_b32_e32 v10, v10, v22, vcc
	v_cndmask_b32_e32 v14, v20, v21, vcc
	v_lshlrev_b32_e32 v20, 8, v15
	v_mov_b32_e32 v21, 0x3b800000
	v_lshlrev_b32_e32 v10, 20, v10
	v_and_b32_e32 v20, 0x80000000, v20
	v_lshl_add_u32 v14, v14, 23, v21
	v_or3_b32 v10, v20, v14, v10
.LBB8_308:
	s_or_b64 exec, exec, s[6:7]
	s_movk_i32 s4, 0xff
	v_and_b32_sdwa v14, v11, s4 dst_sel:DWORD dst_unused:UNUSED_PAD src0_sel:WORD_1 src1_sel:DWORD
	s_movk_i32 s4, 0x7f
	v_cmp_lt_i16_e32 vcc, s4, v14
	s_mov_b64 s[4:5], 0
                                        ; implicit-def: $sgpr10
	s_and_saveexec_b64 s[6:7], vcc
	s_xor_b64 s[6:7], exec, s[6:7]
	s_cbranch_execnz .LBB8_2357
; %bb.309:
	s_or_saveexec_b64 s[6:7], s[6:7]
	v_mov_b32_e32 v20, s10
	s_xor_b64 exec, exec, s[6:7]
	s_cbranch_execnz .LBB8_2360
.LBB8_310:
	s_or_b64 exec, exec, s[6:7]
	s_and_saveexec_b64 s[6:7], s[4:5]
	s_cbranch_execz .LBB8_312
.LBB8_311:
	v_bfe_u32 v14, v11, 16, 3
	v_ffbh_u32_e32 v22, v14
	v_min_u32_e32 v22, 32, v22
	v_lshrrev_b32_e32 v20, 19, v11
	v_subrev_u32_e32 v23, 28, v22
	v_and_b32_e32 v20, 15, v20
	v_lshlrev_b32_sdwa v23, v23, v11 dst_sel:DWORD dst_unused:UNUSED_PAD src0_sel:DWORD src1_sel:WORD_1
	v_bfe_u32 v21, v11, 19, 4
	v_sub_u32_e32 v22, 29, v22
	v_and_b32_e32 v23, 7, v23
	v_cmp_eq_u16_e32 vcc, 0, v20
	v_cndmask_b32_e32 v14, v14, v23, vcc
	v_cndmask_b32_e32 v20, v21, v22, vcc
	v_lshlrev_b32_e32 v21, 8, v11
	v_mov_b32_e32 v22, 0x3b800000
	v_lshlrev_b32_e32 v14, 20, v14
	v_and_b32_e32 v21, 0x80000000, v21
	v_lshl_add_u32 v20, v20, 23, v22
	v_or3_b32 v20, v21, v20, v14
.LBB8_312:
	s_or_b64 exec, exec, s[6:7]
	s_nop 0
	v_mfma_f32_16x16x4f32 a[0:3], v10, v20, a[0:3]
	s_movk_i32 s4, 0x7f
	v_cmp_gt_i16_sdwa s[6:7], v15, s4 src0_sel:BYTE_3 src1_sel:DWORD
	s_mov_b64 s[4:5], 0
                                        ; implicit-def: $sgpr10
	s_and_saveexec_b64 s[8:9], s[6:7]
	s_xor_b64 s[6:7], exec, s[8:9]
	s_cbranch_execnz .LBB8_2361
; %bb.313:
	s_or_saveexec_b64 s[6:7], s[6:7]
	v_mov_b32_e32 v10, s10
	s_xor_b64 exec, exec, s[6:7]
	s_cbranch_execnz .LBB8_2364
.LBB8_314:
	s_or_b64 exec, exec, s[6:7]
	s_and_saveexec_b64 s[6:7], s[4:5]
	s_cbranch_execz .LBB8_316
.LBB8_315:
	v_bfe_u32 v10, v15, 24, 3
	v_ffbh_u32_e32 v22, v10
	v_min_u32_e32 v22, 32, v22
	v_lshrrev_b32_e32 v20, 27, v15
	v_subrev_u32_e32 v23, 28, v22
	v_and_b32_e32 v14, 0x80000000, v15
	v_and_b32_e32 v20, 15, v20
	v_bfe_u32 v21, v15, 27, 4
	v_lshlrev_b32_sdwa v15, v23, v15 dst_sel:DWORD dst_unused:UNUSED_PAD src0_sel:DWORD src1_sel:BYTE_3
	v_sub_u32_e32 v22, 29, v22
	v_and_b32_e32 v15, 7, v15
	v_cmp_eq_u16_e32 vcc, 0, v20
	v_cndmask_b32_e32 v10, v10, v15, vcc
	v_cndmask_b32_e32 v15, v21, v22, vcc
	v_mov_b32_e32 v20, 0x3b800000
	v_lshlrev_b32_e32 v10, 20, v10
	v_lshl_add_u32 v15, v15, 23, v20
	v_or3_b32 v10, v14, v15, v10
.LBB8_316:
	s_or_b64 exec, exec, s[6:7]
	s_movk_i32 s4, 0x7f
	v_cmp_gt_i16_sdwa s[6:7], v11, s4 src0_sel:BYTE_3 src1_sel:DWORD
	s_mov_b64 s[4:5], 0
                                        ; implicit-def: $sgpr10
	s_and_saveexec_b64 s[8:9], s[6:7]
	s_xor_b64 s[6:7], exec, s[8:9]
	s_cbranch_execnz .LBB8_2365
; %bb.317:
	s_or_saveexec_b64 s[6:7], s[6:7]
	v_mov_b32_e32 v14, s10
	s_xor_b64 exec, exec, s[6:7]
	s_cbranch_execnz .LBB8_2368
.LBB8_318:
	s_or_b64 exec, exec, s[6:7]
	s_and_saveexec_b64 s[6:7], s[4:5]
	s_cbranch_execz .LBB8_320
.LBB8_319:
	v_bfe_u32 v14, v11, 24, 3
	v_ffbh_u32_e32 v22, v14
	v_min_u32_e32 v22, 32, v22
	v_lshrrev_b32_e32 v20, 27, v11
	v_subrev_u32_e32 v23, 28, v22
	v_and_b32_e32 v15, 0x80000000, v11
	v_and_b32_e32 v20, 15, v20
	v_bfe_u32 v21, v11, 27, 4
	v_lshlrev_b32_sdwa v11, v23, v11 dst_sel:DWORD dst_unused:UNUSED_PAD src0_sel:DWORD src1_sel:BYTE_3
	v_sub_u32_e32 v22, 29, v22
	v_and_b32_e32 v11, 7, v11
	v_cmp_eq_u16_e32 vcc, 0, v20
	v_cndmask_b32_e32 v11, v14, v11, vcc
	v_cndmask_b32_e32 v14, v21, v22, vcc
	v_mov_b32_e32 v20, 0x3b800000
	v_lshlrev_b32_e32 v11, 20, v11
	v_lshl_add_u32 v14, v14, 23, v20
	v_or3_b32 v14, v15, v14, v11
.LBB8_320:
	s_or_b64 exec, exec, s[6:7]
	s_nop 0
	v_mfma_f32_16x16x4f32 a[0:3], v10, v14, a[0:3]
	s_movk_i32 s4, 0x7f
	v_cmp_gt_i16_sdwa s[6:7], v16, s4 src0_sel:BYTE_0 src1_sel:DWORD
	s_mov_b64 s[4:5], 0
                                        ; implicit-def: $sgpr10
	s_and_saveexec_b64 s[8:9], s[6:7]
	s_xor_b64 s[6:7], exec, s[8:9]
	s_cbranch_execnz .LBB8_2369
; %bb.321:
	s_or_saveexec_b64 s[6:7], s[6:7]
	v_mov_b32_e32 v10, s10
	s_xor_b64 exec, exec, s[6:7]
	s_cbranch_execnz .LBB8_2372
.LBB8_322:
	s_or_b64 exec, exec, s[6:7]
	s_and_saveexec_b64 s[6:7], s[4:5]
	s_cbranch_execz .LBB8_324
.LBB8_323:
	v_and_b32_e32 v10, 7, v16
	v_ffbh_u32_e32 v14, v10
	v_min_u32_e32 v14, 32, v14
	v_lshrrev_b16_e32 v11, 3, v16
	v_subrev_u32_e32 v15, 28, v14
	v_and_b32_e32 v11, 15, v11
	v_lshlrev_b32_e32 v15, v15, v16
	v_sub_u32_e32 v14, 29, v14
	v_and_b32_e32 v15, 7, v15
	v_cmp_eq_u16_e32 vcc, 0, v11
	v_cndmask_b32_e32 v10, v10, v15, vcc
	v_cndmask_b32_e32 v11, v11, v14, vcc
	v_lshlrev_b32_e32 v14, 24, v16
	v_mov_b32_e32 v15, 0x3b800000
	v_lshlrev_b32_e32 v10, 20, v10
	v_and_b32_e32 v14, 0x80000000, v14
	v_lshl_add_u32 v11, v11, 23, v15
	v_or3_b32 v10, v14, v11, v10
.LBB8_324:
	s_or_b64 exec, exec, s[6:7]
	s_movk_i32 s4, 0x7f
	v_cmp_gt_i16_sdwa s[6:7], v12, s4 src0_sel:BYTE_0 src1_sel:DWORD
	s_mov_b64 s[4:5], 0
                                        ; implicit-def: $sgpr10
	s_and_saveexec_b64 s[8:9], s[6:7]
	s_xor_b64 s[6:7], exec, s[8:9]
	s_cbranch_execnz .LBB8_2373
; %bb.325:
	s_or_saveexec_b64 s[6:7], s[6:7]
	v_mov_b32_e32 v11, s10
	s_xor_b64 exec, exec, s[6:7]
	s_cbranch_execnz .LBB8_2376
.LBB8_326:
	s_or_b64 exec, exec, s[6:7]
	s_and_saveexec_b64 s[6:7], s[4:5]
	s_cbranch_execz .LBB8_328
.LBB8_327:
	v_and_b32_e32 v11, 7, v12
	v_ffbh_u32_e32 v15, v11
	v_min_u32_e32 v15, 32, v15
	v_lshrrev_b16_e32 v14, 3, v12
	v_subrev_u32_e32 v20, 28, v15
	v_and_b32_e32 v14, 15, v14
	v_lshlrev_b32_e32 v20, v20, v12
	v_sub_u32_e32 v15, 29, v15
	v_and_b32_e32 v20, 7, v20
	v_cmp_eq_u16_e32 vcc, 0, v14
	v_cndmask_b32_e32 v11, v11, v20, vcc
	v_cndmask_b32_e32 v14, v14, v15, vcc
	v_lshlrev_b32_e32 v15, 24, v12
	v_mov_b32_e32 v20, 0x3b800000
	v_lshlrev_b32_e32 v11, 20, v11
	v_and_b32_e32 v15, 0x80000000, v15
	v_lshl_add_u32 v14, v14, 23, v20
	v_or3_b32 v11, v15, v14, v11
.LBB8_328:
	s_or_b64 exec, exec, s[6:7]
	s_nop 0
	v_mfma_f32_16x16x4f32 a[0:3], v10, v11, a[0:3]
	v_lshrrev_b32_e32 v11, 8, v16
	s_movk_i32 s4, 0x7f
	v_cmp_gt_i16_sdwa s[6:7], v11, s4 src0_sel:BYTE_0 src1_sel:DWORD
	s_mov_b64 s[4:5], 0
                                        ; implicit-def: $sgpr10
	s_and_saveexec_b64 s[8:9], s[6:7]
	s_xor_b64 s[6:7], exec, s[8:9]
	s_cbranch_execnz .LBB8_2377
; %bb.329:
	s_or_saveexec_b64 s[6:7], s[6:7]
	v_mov_b32_e32 v10, s10
	s_xor_b64 exec, exec, s[6:7]
	s_cbranch_execnz .LBB8_2380
.LBB8_330:
	s_or_b64 exec, exec, s[6:7]
	s_and_saveexec_b64 s[6:7], s[4:5]
	s_cbranch_execz .LBB8_332
.LBB8_331:
	v_bfe_u32 v10, v16, 8, 3
	v_ffbh_u32_e32 v15, v10
	v_min_u32_e32 v15, 32, v15
	v_lshrrev_b16_e32 v14, 3, v11
	v_subrev_u32_e32 v20, 28, v15
	v_and_b32_e32 v14, 15, v14
	v_lshlrev_b32_e32 v11, v20, v11
	v_sub_u32_e32 v15, 29, v15
	v_and_b32_e32 v11, 7, v11
	v_cmp_eq_u16_e32 vcc, 0, v14
	v_cndmask_b32_e32 v10, v10, v11, vcc
	v_cndmask_b32_e32 v11, v14, v15, vcc
	v_lshlrev_b32_e32 v14, 16, v16
	v_mov_b32_e32 v15, 0x3b800000
	v_lshlrev_b32_e32 v10, 20, v10
	v_and_b32_e32 v14, 0x80000000, v14
	v_lshl_add_u32 v11, v11, 23, v15
	v_or3_b32 v10, v14, v11, v10
.LBB8_332:
	s_or_b64 exec, exec, s[6:7]
	v_lshrrev_b32_e32 v11, 8, v12
	s_movk_i32 s4, 0x7f
	v_cmp_gt_i16_sdwa s[6:7], v11, s4 src0_sel:BYTE_0 src1_sel:DWORD
	s_mov_b64 s[4:5], 0
                                        ; implicit-def: $sgpr10
	s_and_saveexec_b64 s[8:9], s[6:7]
	s_xor_b64 s[6:7], exec, s[8:9]
	s_cbranch_execnz .LBB8_2381
; %bb.333:
	s_or_saveexec_b64 s[6:7], s[6:7]
	v_mov_b32_e32 v14, s10
	s_xor_b64 exec, exec, s[6:7]
	s_cbranch_execnz .LBB8_2384
.LBB8_334:
	s_or_b64 exec, exec, s[6:7]
	s_and_saveexec_b64 s[6:7], s[4:5]
	s_cbranch_execz .LBB8_336
.LBB8_335:
	v_bfe_u32 v14, v12, 8, 3
	v_ffbh_u32_e32 v20, v14
	v_min_u32_e32 v20, 32, v20
	v_lshrrev_b16_e32 v15, 3, v11
	v_subrev_u32_e32 v21, 28, v20
	v_and_b32_e32 v15, 15, v15
	v_lshlrev_b32_e32 v11, v21, v11
	v_sub_u32_e32 v20, 29, v20
	v_and_b32_e32 v11, 7, v11
	v_cmp_eq_u16_e32 vcc, 0, v15
	v_cndmask_b32_e32 v11, v14, v11, vcc
	v_cndmask_b32_e32 v14, v15, v20, vcc
	v_lshlrev_b32_e32 v15, 16, v12
	v_mov_b32_e32 v20, 0x3b800000
	v_lshlrev_b32_e32 v11, 20, v11
	v_and_b32_e32 v15, 0x80000000, v15
	v_lshl_add_u32 v14, v14, 23, v20
	v_or3_b32 v14, v15, v14, v11
.LBB8_336:
	s_or_b64 exec, exec, s[6:7]
	s_nop 0
	v_mfma_f32_16x16x4f32 a[0:3], v10, v14, a[0:3]
	s_movk_i32 s4, 0xff
	v_and_b32_sdwa v11, v16, s4 dst_sel:DWORD dst_unused:UNUSED_PAD src0_sel:WORD_1 src1_sel:DWORD
	s_movk_i32 s4, 0x7f
	v_cmp_lt_i16_e32 vcc, s4, v11
	s_mov_b64 s[4:5], 0
                                        ; implicit-def: $sgpr10
	s_and_saveexec_b64 s[6:7], vcc
	s_xor_b64 s[6:7], exec, s[6:7]
	s_cbranch_execnz .LBB8_2385
; %bb.337:
	s_or_saveexec_b64 s[6:7], s[6:7]
	v_mov_b32_e32 v10, s10
	s_xor_b64 exec, exec, s[6:7]
	s_cbranch_execnz .LBB8_2388
.LBB8_338:
	s_or_b64 exec, exec, s[6:7]
	s_and_saveexec_b64 s[6:7], s[4:5]
	s_cbranch_execz .LBB8_340
.LBB8_339:
	v_bfe_u32 v10, v16, 16, 3
	v_ffbh_u32_e32 v15, v10
	v_min_u32_e32 v15, 32, v15
	v_lshrrev_b32_e32 v11, 19, v16
	v_subrev_u32_e32 v20, 28, v15
	v_and_b32_e32 v11, 15, v11
	v_lshlrev_b32_sdwa v20, v20, v16 dst_sel:DWORD dst_unused:UNUSED_PAD src0_sel:DWORD src1_sel:WORD_1
	v_bfe_u32 v14, v16, 19, 4
	v_sub_u32_e32 v15, 29, v15
	v_and_b32_e32 v20, 7, v20
	v_cmp_eq_u16_e32 vcc, 0, v11
	v_cndmask_b32_e32 v10, v10, v20, vcc
	v_cndmask_b32_e32 v11, v14, v15, vcc
	v_lshlrev_b32_e32 v14, 8, v16
	v_mov_b32_e32 v15, 0x3b800000
	v_lshlrev_b32_e32 v10, 20, v10
	v_and_b32_e32 v14, 0x80000000, v14
	v_lshl_add_u32 v11, v11, 23, v15
	v_or3_b32 v10, v14, v11, v10
.LBB8_340:
	s_or_b64 exec, exec, s[6:7]
	s_movk_i32 s4, 0xff
	v_and_b32_sdwa v11, v12, s4 dst_sel:DWORD dst_unused:UNUSED_PAD src0_sel:WORD_1 src1_sel:DWORD
	s_movk_i32 s4, 0x7f
	v_cmp_lt_i16_e32 vcc, s4, v11
	s_mov_b64 s[4:5], 0
                                        ; implicit-def: $sgpr10
	s_and_saveexec_b64 s[6:7], vcc
	s_xor_b64 s[6:7], exec, s[6:7]
	s_cbranch_execnz .LBB8_2389
; %bb.341:
	s_or_saveexec_b64 s[6:7], s[6:7]
	v_mov_b32_e32 v14, s10
	s_xor_b64 exec, exec, s[6:7]
	s_cbranch_execnz .LBB8_2392
.LBB8_342:
	s_or_b64 exec, exec, s[6:7]
	s_and_saveexec_b64 s[6:7], s[4:5]
	s_cbranch_execz .LBB8_344
.LBB8_343:
	v_bfe_u32 v11, v12, 16, 3
	v_ffbh_u32_e32 v20, v11
	v_min_u32_e32 v20, 32, v20
	v_lshrrev_b32_e32 v14, 19, v12
	v_subrev_u32_e32 v21, 28, v20
	v_and_b32_e32 v14, 15, v14
	v_lshlrev_b32_sdwa v21, v21, v12 dst_sel:DWORD dst_unused:UNUSED_PAD src0_sel:DWORD src1_sel:WORD_1
	v_bfe_u32 v15, v12, 19, 4
	v_sub_u32_e32 v20, 29, v20
	v_and_b32_e32 v21, 7, v21
	v_cmp_eq_u16_e32 vcc, 0, v14
	v_cndmask_b32_e32 v11, v11, v21, vcc
	v_cndmask_b32_e32 v14, v15, v20, vcc
	v_lshlrev_b32_e32 v15, 8, v12
	v_mov_b32_e32 v20, 0x3b800000
	v_lshlrev_b32_e32 v11, 20, v11
	v_and_b32_e32 v15, 0x80000000, v15
	v_lshl_add_u32 v14, v14, 23, v20
	v_or3_b32 v14, v15, v14, v11
.LBB8_344:
	s_or_b64 exec, exec, s[6:7]
	s_nop 0
	v_mfma_f32_16x16x4f32 a[0:3], v10, v14, a[0:3]
	s_movk_i32 s4, 0x7f
	v_cmp_gt_i16_sdwa s[6:7], v16, s4 src0_sel:BYTE_3 src1_sel:DWORD
	s_mov_b64 s[4:5], 0
                                        ; implicit-def: $sgpr10
	s_and_saveexec_b64 s[8:9], s[6:7]
	s_xor_b64 s[6:7], exec, s[8:9]
	s_cbranch_execnz .LBB8_2393
; %bb.345:
	s_or_saveexec_b64 s[6:7], s[6:7]
	v_mov_b32_e32 v10, s10
	s_xor_b64 exec, exec, s[6:7]
	s_cbranch_execnz .LBB8_2396
.LBB8_346:
	s_or_b64 exec, exec, s[6:7]
	s_and_saveexec_b64 s[6:7], s[4:5]
	s_cbranch_execz .LBB8_348
.LBB8_347:
	v_bfe_u32 v10, v16, 24, 3
	v_ffbh_u32_e32 v20, v10
	v_min_u32_e32 v20, 32, v20
	v_lshrrev_b32_e32 v14, 27, v16
	v_subrev_u32_e32 v21, 28, v20
	v_and_b32_e32 v11, 0x80000000, v16
	v_and_b32_e32 v14, 15, v14
	v_bfe_u32 v15, v16, 27, 4
	v_lshlrev_b32_sdwa v16, v21, v16 dst_sel:DWORD dst_unused:UNUSED_PAD src0_sel:DWORD src1_sel:BYTE_3
	v_sub_u32_e32 v20, 29, v20
	v_and_b32_e32 v16, 7, v16
	v_cmp_eq_u16_e32 vcc, 0, v14
	v_cndmask_b32_e32 v10, v10, v16, vcc
	v_cndmask_b32_e32 v14, v15, v20, vcc
	v_mov_b32_e32 v15, 0x3b800000
	v_lshlrev_b32_e32 v10, 20, v10
	v_lshl_add_u32 v14, v14, 23, v15
	v_or3_b32 v10, v11, v14, v10
.LBB8_348:
	s_or_b64 exec, exec, s[6:7]
	s_movk_i32 s4, 0x7f
	v_cmp_gt_i16_sdwa s[6:7], v12, s4 src0_sel:BYTE_3 src1_sel:DWORD
	s_mov_b64 s[4:5], 0
                                        ; implicit-def: $sgpr10
	s_and_saveexec_b64 s[8:9], s[6:7]
	s_xor_b64 s[6:7], exec, s[8:9]
	s_cbranch_execnz .LBB8_2397
; %bb.349:
	s_or_saveexec_b64 s[6:7], s[6:7]
	v_mov_b32_e32 v11, s10
	s_xor_b64 exec, exec, s[6:7]
	s_cbranch_execnz .LBB8_2400
.LBB8_350:
	s_or_b64 exec, exec, s[6:7]
	s_and_saveexec_b64 s[6:7], s[4:5]
	s_cbranch_execz .LBB8_352
.LBB8_351:
	v_bfe_u32 v11, v12, 24, 3
	v_ffbh_u32_e32 v20, v11
	v_min_u32_e32 v20, 32, v20
	v_lshrrev_b32_e32 v15, 27, v12
	v_subrev_u32_e32 v21, 28, v20
	v_and_b32_e32 v14, 0x80000000, v12
	v_and_b32_e32 v15, 15, v15
	v_bfe_u32 v16, v12, 27, 4
	v_lshlrev_b32_sdwa v12, v21, v12 dst_sel:DWORD dst_unused:UNUSED_PAD src0_sel:DWORD src1_sel:BYTE_3
	v_sub_u32_e32 v20, 29, v20
	v_and_b32_e32 v12, 7, v12
	v_cmp_eq_u16_e32 vcc, 0, v15
	v_cndmask_b32_e32 v11, v11, v12, vcc
	v_cndmask_b32_e32 v12, v16, v20, vcc
	v_mov_b32_e32 v15, 0x3b800000
	v_lshlrev_b32_e32 v11, 20, v11
	v_lshl_add_u32 v12, v12, 23, v15
	v_or3_b32 v11, v14, v12, v11
.LBB8_352:
	s_or_b64 exec, exec, s[6:7]
	s_nop 0
	v_mfma_f32_16x16x4f32 a[0:3], v10, v11, a[0:3]
	s_movk_i32 s4, 0x7f
	v_cmp_gt_i16_sdwa s[6:7], v17, s4 src0_sel:BYTE_0 src1_sel:DWORD
	s_mov_b64 s[4:5], 0
                                        ; implicit-def: $sgpr10
	s_and_saveexec_b64 s[8:9], s[6:7]
	s_xor_b64 s[6:7], exec, s[8:9]
	s_cbranch_execnz .LBB8_2401
; %bb.353:
	s_or_saveexec_b64 s[6:7], s[6:7]
	v_mov_b32_e32 v10, s10
	s_xor_b64 exec, exec, s[6:7]
	s_cbranch_execnz .LBB8_2404
.LBB8_354:
	s_or_b64 exec, exec, s[6:7]
	s_and_saveexec_b64 s[6:7], s[4:5]
	s_cbranch_execz .LBB8_356
.LBB8_355:
	v_and_b32_e32 v10, 7, v17
	v_ffbh_u32_e32 v12, v10
	v_min_u32_e32 v12, 32, v12
	v_lshrrev_b16_e32 v11, 3, v17
	v_subrev_u32_e32 v14, 28, v12
	v_and_b32_e32 v11, 15, v11
	v_lshlrev_b32_e32 v14, v14, v17
	v_sub_u32_e32 v12, 29, v12
	v_and_b32_e32 v14, 7, v14
	v_cmp_eq_u16_e32 vcc, 0, v11
	v_cndmask_b32_e32 v10, v10, v14, vcc
	v_cndmask_b32_e32 v11, v11, v12, vcc
	v_lshlrev_b32_e32 v12, 24, v17
	v_mov_b32_e32 v14, 0x3b800000
	v_lshlrev_b32_e32 v10, 20, v10
	v_and_b32_e32 v12, 0x80000000, v12
	v_lshl_add_u32 v11, v11, 23, v14
	v_or3_b32 v10, v12, v11, v10
.LBB8_356:
	s_or_b64 exec, exec, s[6:7]
	s_movk_i32 s4, 0x7f
	v_cmp_gt_i16_sdwa s[6:7], v13, s4 src0_sel:BYTE_0 src1_sel:DWORD
	s_mov_b64 s[4:5], 0
                                        ; implicit-def: $sgpr10
	s_and_saveexec_b64 s[8:9], s[6:7]
	s_xor_b64 s[6:7], exec, s[8:9]
	s_cbranch_execnz .LBB8_2405
; %bb.357:
	s_or_saveexec_b64 s[6:7], s[6:7]
	v_mov_b32_e32 v11, s10
	s_xor_b64 exec, exec, s[6:7]
	s_cbranch_execnz .LBB8_2408
.LBB8_358:
	s_or_b64 exec, exec, s[6:7]
	s_and_saveexec_b64 s[6:7], s[4:5]
	s_cbranch_execz .LBB8_360
.LBB8_359:
	v_and_b32_e32 v11, 7, v13
	v_ffbh_u32_e32 v14, v11
	v_min_u32_e32 v14, 32, v14
	v_lshrrev_b16_e32 v12, 3, v13
	v_subrev_u32_e32 v15, 28, v14
	v_and_b32_e32 v12, 15, v12
	v_lshlrev_b32_e32 v15, v15, v13
	v_sub_u32_e32 v14, 29, v14
	v_and_b32_e32 v15, 7, v15
	v_cmp_eq_u16_e32 vcc, 0, v12
	v_cndmask_b32_e32 v11, v11, v15, vcc
	v_cndmask_b32_e32 v12, v12, v14, vcc
	v_lshlrev_b32_e32 v14, 24, v13
	v_mov_b32_e32 v15, 0x3b800000
	v_lshlrev_b32_e32 v11, 20, v11
	v_and_b32_e32 v14, 0x80000000, v14
	v_lshl_add_u32 v12, v12, 23, v15
	v_or3_b32 v11, v14, v12, v11
.LBB8_360:
	s_or_b64 exec, exec, s[6:7]
	s_nop 0
	v_mfma_f32_16x16x4f32 a[0:3], v10, v11, a[0:3]
	v_lshrrev_b32_e32 v11, 8, v17
	s_movk_i32 s4, 0x7f
	v_cmp_gt_i16_sdwa s[6:7], v11, s4 src0_sel:BYTE_0 src1_sel:DWORD
	s_mov_b64 s[4:5], 0
                                        ; implicit-def: $sgpr10
	s_and_saveexec_b64 s[8:9], s[6:7]
	s_xor_b64 s[6:7], exec, s[8:9]
	s_cbranch_execnz .LBB8_2409
; %bb.361:
	s_or_saveexec_b64 s[6:7], s[6:7]
	v_mov_b32_e32 v10, s10
	s_xor_b64 exec, exec, s[6:7]
	s_cbranch_execnz .LBB8_2412
.LBB8_362:
	s_or_b64 exec, exec, s[6:7]
	s_and_saveexec_b64 s[6:7], s[4:5]
	s_cbranch_execz .LBB8_364
.LBB8_363:
	v_bfe_u32 v10, v17, 8, 3
	v_ffbh_u32_e32 v14, v10
	v_min_u32_e32 v14, 32, v14
	v_lshrrev_b16_e32 v12, 3, v11
	v_subrev_u32_e32 v15, 28, v14
	v_and_b32_e32 v12, 15, v12
	v_lshlrev_b32_e32 v11, v15, v11
	v_sub_u32_e32 v14, 29, v14
	v_and_b32_e32 v11, 7, v11
	v_cmp_eq_u16_e32 vcc, 0, v12
	v_cndmask_b32_e32 v10, v10, v11, vcc
	v_cndmask_b32_e32 v11, v12, v14, vcc
	v_lshlrev_b32_e32 v12, 16, v17
	v_mov_b32_e32 v14, 0x3b800000
	v_lshlrev_b32_e32 v10, 20, v10
	v_and_b32_e32 v12, 0x80000000, v12
	v_lshl_add_u32 v11, v11, 23, v14
	v_or3_b32 v10, v12, v11, v10
.LBB8_364:
	s_or_b64 exec, exec, s[6:7]
	v_lshrrev_b32_e32 v11, 8, v13
	s_movk_i32 s4, 0x7f
	v_cmp_gt_i16_sdwa s[6:7], v11, s4 src0_sel:BYTE_0 src1_sel:DWORD
	s_mov_b64 s[4:5], 0
                                        ; implicit-def: $sgpr10
	s_and_saveexec_b64 s[8:9], s[6:7]
	s_xor_b64 s[6:7], exec, s[8:9]
	s_cbranch_execnz .LBB8_2413
; %bb.365:
	s_or_saveexec_b64 s[6:7], s[6:7]
	v_mov_b32_e32 v12, s10
	s_xor_b64 exec, exec, s[6:7]
	s_cbranch_execnz .LBB8_2416
.LBB8_366:
	s_or_b64 exec, exec, s[6:7]
	s_and_saveexec_b64 s[6:7], s[4:5]
	s_cbranch_execz .LBB8_368
.LBB8_367:
	v_bfe_u32 v12, v13, 8, 3
	v_ffbh_u32_e32 v15, v12
	v_min_u32_e32 v15, 32, v15
	v_lshrrev_b16_e32 v14, 3, v11
	v_subrev_u32_e32 v16, 28, v15
	v_and_b32_e32 v14, 15, v14
	v_lshlrev_b32_e32 v11, v16, v11
	v_sub_u32_e32 v15, 29, v15
	v_and_b32_e32 v11, 7, v11
	v_cmp_eq_u16_e32 vcc, 0, v14
	v_cndmask_b32_e32 v11, v12, v11, vcc
	v_cndmask_b32_e32 v12, v14, v15, vcc
	v_lshlrev_b32_e32 v14, 16, v13
	v_mov_b32_e32 v15, 0x3b800000
	v_lshlrev_b32_e32 v11, 20, v11
	v_and_b32_e32 v14, 0x80000000, v14
	v_lshl_add_u32 v12, v12, 23, v15
	v_or3_b32 v12, v14, v12, v11
.LBB8_368:
	s_or_b64 exec, exec, s[6:7]
	s_nop 0
	v_mfma_f32_16x16x4f32 a[0:3], v10, v12, a[0:3]
	s_movk_i32 s4, 0xff
	v_and_b32_sdwa v11, v17, s4 dst_sel:DWORD dst_unused:UNUSED_PAD src0_sel:WORD_1 src1_sel:DWORD
	s_movk_i32 s4, 0x7f
	v_cmp_lt_i16_e32 vcc, s4, v11
	s_mov_b64 s[4:5], 0
                                        ; implicit-def: $sgpr10
	s_and_saveexec_b64 s[6:7], vcc
	s_xor_b64 s[6:7], exec, s[6:7]
	s_cbranch_execnz .LBB8_2417
; %bb.369:
	s_or_saveexec_b64 s[6:7], s[6:7]
	v_mov_b32_e32 v10, s10
	s_xor_b64 exec, exec, s[6:7]
	s_cbranch_execnz .LBB8_2420
.LBB8_370:
	s_or_b64 exec, exec, s[6:7]
	s_and_saveexec_b64 s[6:7], s[4:5]
	s_cbranch_execz .LBB8_372
.LBB8_371:
	v_bfe_u32 v10, v17, 16, 3
	v_ffbh_u32_e32 v14, v10
	v_min_u32_e32 v14, 32, v14
	v_lshrrev_b32_e32 v11, 19, v17
	v_subrev_u32_e32 v15, 28, v14
	v_and_b32_e32 v11, 15, v11
	v_lshlrev_b32_sdwa v15, v15, v17 dst_sel:DWORD dst_unused:UNUSED_PAD src0_sel:DWORD src1_sel:WORD_1
	v_bfe_u32 v12, v17, 19, 4
	v_sub_u32_e32 v14, 29, v14
	v_and_b32_e32 v15, 7, v15
	v_cmp_eq_u16_e32 vcc, 0, v11
	v_cndmask_b32_e32 v10, v10, v15, vcc
	v_cndmask_b32_e32 v11, v12, v14, vcc
	v_lshlrev_b32_e32 v12, 8, v17
	v_mov_b32_e32 v14, 0x3b800000
	v_lshlrev_b32_e32 v10, 20, v10
	v_and_b32_e32 v12, 0x80000000, v12
	v_lshl_add_u32 v11, v11, 23, v14
	v_or3_b32 v10, v12, v11, v10
.LBB8_372:
	s_or_b64 exec, exec, s[6:7]
	s_movk_i32 s4, 0xff
	v_and_b32_sdwa v11, v13, s4 dst_sel:DWORD dst_unused:UNUSED_PAD src0_sel:WORD_1 src1_sel:DWORD
	s_movk_i32 s4, 0x7f
	v_cmp_lt_i16_e32 vcc, s4, v11
	s_mov_b64 s[4:5], 0
                                        ; implicit-def: $sgpr10
	s_and_saveexec_b64 s[6:7], vcc
	s_xor_b64 s[6:7], exec, s[6:7]
	s_cbranch_execnz .LBB8_2421
; %bb.373:
	s_or_saveexec_b64 s[6:7], s[6:7]
	v_mov_b32_e32 v12, s10
	s_xor_b64 exec, exec, s[6:7]
	s_cbranch_execnz .LBB8_2424
.LBB8_374:
	s_or_b64 exec, exec, s[6:7]
	s_and_saveexec_b64 s[6:7], s[4:5]
	s_cbranch_execz .LBB8_376
.LBB8_375:
	v_bfe_u32 v11, v13, 16, 3
	v_ffbh_u32_e32 v15, v11
	v_min_u32_e32 v15, 32, v15
	v_lshrrev_b32_e32 v12, 19, v13
	v_subrev_u32_e32 v16, 28, v15
	v_and_b32_e32 v12, 15, v12
	v_lshlrev_b32_sdwa v16, v16, v13 dst_sel:DWORD dst_unused:UNUSED_PAD src0_sel:DWORD src1_sel:WORD_1
	v_bfe_u32 v14, v13, 19, 4
	v_sub_u32_e32 v15, 29, v15
	v_and_b32_e32 v16, 7, v16
	v_cmp_eq_u16_e32 vcc, 0, v12
	v_cndmask_b32_e32 v11, v11, v16, vcc
	v_cndmask_b32_e32 v12, v14, v15, vcc
	v_lshlrev_b32_e32 v14, 8, v13
	v_mov_b32_e32 v15, 0x3b800000
	v_lshlrev_b32_e32 v11, 20, v11
	v_and_b32_e32 v14, 0x80000000, v14
	v_lshl_add_u32 v12, v12, 23, v15
	v_or3_b32 v12, v14, v12, v11
.LBB8_376:
	s_or_b64 exec, exec, s[6:7]
	s_nop 0
	v_mfma_f32_16x16x4f32 a[0:3], v10, v12, a[0:3]
	s_movk_i32 s4, 0x7f
	v_cmp_gt_i16_sdwa s[6:7], v17, s4 src0_sel:BYTE_3 src1_sel:DWORD
	s_mov_b64 s[4:5], 0
                                        ; implicit-def: $sgpr10
	s_and_saveexec_b64 s[8:9], s[6:7]
	s_xor_b64 s[6:7], exec, s[8:9]
	s_cbranch_execnz .LBB8_2425
; %bb.377:
	s_or_saveexec_b64 s[6:7], s[6:7]
	v_mov_b32_e32 v10, s10
	s_xor_b64 exec, exec, s[6:7]
	s_cbranch_execnz .LBB8_2428
.LBB8_378:
	s_or_b64 exec, exec, s[6:7]
	s_and_saveexec_b64 s[6:7], s[4:5]
	s_cbranch_execz .LBB8_380
.LBB8_379:
	v_bfe_u32 v10, v17, 24, 3
	v_ffbh_u32_e32 v15, v10
	v_min_u32_e32 v15, 32, v15
	v_lshrrev_b32_e32 v12, 27, v17
	v_subrev_u32_e32 v16, 28, v15
	v_and_b32_e32 v12, 15, v12
	v_lshlrev_b32_sdwa v16, v16, v17 dst_sel:DWORD dst_unused:UNUSED_PAD src0_sel:DWORD src1_sel:BYTE_3
	v_bfe_u32 v14, v17, 27, 4
	v_sub_u32_e32 v15, 29, v15
	v_and_b32_e32 v16, 7, v16
	v_cmp_eq_u16_e32 vcc, 0, v12
	v_cndmask_b32_e32 v10, v10, v16, vcc
	v_cndmask_b32_e32 v12, v14, v15, vcc
	v_mov_b32_e32 v14, 0x3b800000
	v_and_b32_e32 v11, 0x80000000, v17
	v_lshlrev_b32_e32 v10, 20, v10
	v_lshl_add_u32 v12, v12, 23, v14
	v_or3_b32 v10, v11, v12, v10
.LBB8_380:
	s_or_b64 exec, exec, s[6:7]
	s_movk_i32 s4, 0x7f
	v_cmp_gt_i16_sdwa s[6:7], v13, s4 src0_sel:BYTE_3 src1_sel:DWORD
	s_mov_b64 s[4:5], 0
                                        ; implicit-def: $sgpr10
	s_and_saveexec_b64 s[8:9], s[6:7]
	s_xor_b64 s[6:7], exec, s[8:9]
	s_cbranch_execnz .LBB8_2429
; %bb.381:
	s_or_saveexec_b64 s[6:7], s[6:7]
	v_mov_b32_e32 v11, s10
	s_xor_b64 exec, exec, s[6:7]
	s_cbranch_execnz .LBB8_2432
.LBB8_382:
	s_or_b64 exec, exec, s[6:7]
	s_and_saveexec_b64 s[6:7], s[4:5]
	s_cbranch_execz .LBB8_384
.LBB8_383:
	v_bfe_u32 v11, v13, 24, 3
	v_ffbh_u32_e32 v16, v11
	v_min_u32_e32 v16, 32, v16
	v_lshrrev_b32_e32 v14, 27, v13
	v_subrev_u32_e32 v17, 28, v16
	v_and_b32_e32 v12, 0x80000000, v13
	v_and_b32_e32 v14, 15, v14
	v_bfe_u32 v15, v13, 27, 4
	v_lshlrev_b32_sdwa v13, v17, v13 dst_sel:DWORD dst_unused:UNUSED_PAD src0_sel:DWORD src1_sel:BYTE_3
	v_sub_u32_e32 v16, 29, v16
	v_and_b32_e32 v13, 7, v13
	v_cmp_eq_u16_e32 vcc, 0, v14
	v_cndmask_b32_e32 v11, v11, v13, vcc
	v_cndmask_b32_e32 v13, v15, v16, vcc
	v_mov_b32_e32 v14, 0x3b800000
	v_lshlrev_b32_e32 v11, 20, v11
	v_lshl_add_u32 v13, v13, 23, v14
	v_or3_b32 v11, v12, v13, v11
.LBB8_384:
	s_or_b64 exec, exec, s[6:7]
	s_nop 0
	v_mfma_f32_16x16x4f32 a[0:3], v10, v11, a[0:3]
	s_movk_i32 s4, 0x7f
	v_cmp_gt_i16_sdwa s[6:7], v6, s4 src0_sel:BYTE_0 src1_sel:DWORD
	s_mov_b64 s[4:5], 0
                                        ; implicit-def: $sgpr10
	s_and_saveexec_b64 s[8:9], s[6:7]
	s_xor_b64 s[6:7], exec, s[8:9]
	s_cbranch_execnz .LBB8_2433
; %bb.385:
	s_or_saveexec_b64 s[6:7], s[6:7]
	v_mov_b32_e32 v10, s10
	s_xor_b64 exec, exec, s[6:7]
	s_cbranch_execnz .LBB8_2436
.LBB8_386:
	s_or_b64 exec, exec, s[6:7]
	s_and_saveexec_b64 s[6:7], s[4:5]
	s_cbranch_execz .LBB8_388
.LBB8_387:
	v_and_b32_e32 v10, 7, v6
	v_ffbh_u32_e32 v12, v10
	v_min_u32_e32 v12, 32, v12
	v_lshrrev_b16_e32 v11, 3, v6
	v_subrev_u32_e32 v13, 28, v12
	v_and_b32_e32 v11, 15, v11
	v_lshlrev_b32_e32 v13, v13, v6
	v_sub_u32_e32 v12, 29, v12
	v_and_b32_e32 v13, 7, v13
	v_cmp_eq_u16_e32 vcc, 0, v11
	v_cndmask_b32_e32 v10, v10, v13, vcc
	v_cndmask_b32_e32 v11, v11, v12, vcc
	v_lshlrev_b32_e32 v12, 24, v6
	v_mov_b32_e32 v13, 0x3b800000
	v_lshlrev_b32_e32 v10, 20, v10
	v_and_b32_e32 v12, 0x80000000, v12
	v_lshl_add_u32 v11, v11, 23, v13
	v_or3_b32 v10, v12, v11, v10
.LBB8_388:
	s_or_b64 exec, exec, s[6:7]
	s_movk_i32 s4, 0x7f
	v_cmp_gt_i16_sdwa s[6:7], v2, s4 src0_sel:BYTE_0 src1_sel:DWORD
	s_mov_b64 s[4:5], 0
                                        ; implicit-def: $sgpr10
	s_and_saveexec_b64 s[8:9], s[6:7]
	s_xor_b64 s[6:7], exec, s[8:9]
	s_cbranch_execnz .LBB8_2437
; %bb.389:
	s_or_saveexec_b64 s[6:7], s[6:7]
	v_mov_b32_e32 v11, s10
	s_xor_b64 exec, exec, s[6:7]
	s_cbranch_execnz .LBB8_2440
.LBB8_390:
	s_or_b64 exec, exec, s[6:7]
	s_and_saveexec_b64 s[6:7], s[4:5]
	s_cbranch_execz .LBB8_392
.LBB8_391:
	v_and_b32_e32 v11, 7, v2
	v_ffbh_u32_e32 v13, v11
	v_min_u32_e32 v13, 32, v13
	v_lshrrev_b16_e32 v12, 3, v2
	v_subrev_u32_e32 v14, 28, v13
	v_and_b32_e32 v12, 15, v12
	v_lshlrev_b32_e32 v14, v14, v2
	v_sub_u32_e32 v13, 29, v13
	v_and_b32_e32 v14, 7, v14
	v_cmp_eq_u16_e32 vcc, 0, v12
	v_cndmask_b32_e32 v11, v11, v14, vcc
	v_cndmask_b32_e32 v12, v12, v13, vcc
	v_lshlrev_b32_e32 v13, 24, v2
	v_mov_b32_e32 v14, 0x3b800000
	v_lshlrev_b32_e32 v11, 20, v11
	v_and_b32_e32 v13, 0x80000000, v13
	v_lshl_add_u32 v12, v12, 23, v14
	v_or3_b32 v11, v13, v12, v11
.LBB8_392:
	s_or_b64 exec, exec, s[6:7]
	s_nop 0
	v_mfma_f32_16x16x4f32 a[0:3], v10, v11, a[0:3]
	v_lshrrev_b32_e32 v11, 8, v6
	s_movk_i32 s4, 0x7f
	v_cmp_gt_i16_sdwa s[6:7], v11, s4 src0_sel:BYTE_0 src1_sel:DWORD
	s_mov_b64 s[4:5], 0
                                        ; implicit-def: $sgpr10
	s_and_saveexec_b64 s[8:9], s[6:7]
	s_xor_b64 s[6:7], exec, s[8:9]
	s_cbranch_execnz .LBB8_2441
; %bb.393:
	s_or_saveexec_b64 s[6:7], s[6:7]
	v_mov_b32_e32 v10, s10
	s_xor_b64 exec, exec, s[6:7]
	s_cbranch_execnz .LBB8_2444
.LBB8_394:
	s_or_b64 exec, exec, s[6:7]
	s_and_saveexec_b64 s[6:7], s[4:5]
	s_cbranch_execz .LBB8_396
.LBB8_395:
	v_bfe_u32 v10, v6, 8, 3
	v_ffbh_u32_e32 v13, v10
	v_min_u32_e32 v13, 32, v13
	v_lshrrev_b16_e32 v12, 3, v11
	v_subrev_u32_e32 v14, 28, v13
	v_and_b32_e32 v12, 15, v12
	v_lshlrev_b32_e32 v11, v14, v11
	v_sub_u32_e32 v13, 29, v13
	v_and_b32_e32 v11, 7, v11
	v_cmp_eq_u16_e32 vcc, 0, v12
	v_cndmask_b32_e32 v10, v10, v11, vcc
	v_cndmask_b32_e32 v11, v12, v13, vcc
	v_lshlrev_b32_e32 v12, 16, v6
	v_mov_b32_e32 v13, 0x3b800000
	v_lshlrev_b32_e32 v10, 20, v10
	v_and_b32_e32 v12, 0x80000000, v12
	v_lshl_add_u32 v11, v11, 23, v13
	v_or3_b32 v10, v12, v11, v10
.LBB8_396:
	s_or_b64 exec, exec, s[6:7]
	v_lshrrev_b32_e32 v11, 8, v2
	s_movk_i32 s4, 0x7f
	v_cmp_gt_i16_sdwa s[6:7], v11, s4 src0_sel:BYTE_0 src1_sel:DWORD
	s_mov_b64 s[4:5], 0
                                        ; implicit-def: $sgpr10
	s_and_saveexec_b64 s[8:9], s[6:7]
	s_xor_b64 s[6:7], exec, s[8:9]
	s_cbranch_execnz .LBB8_2445
; %bb.397:
	s_or_saveexec_b64 s[6:7], s[6:7]
	v_mov_b32_e32 v12, s10
	s_xor_b64 exec, exec, s[6:7]
	s_cbranch_execnz .LBB8_2448
.LBB8_398:
	s_or_b64 exec, exec, s[6:7]
	s_and_saveexec_b64 s[6:7], s[4:5]
	s_cbranch_execz .LBB8_400
.LBB8_399:
	v_bfe_u32 v12, v2, 8, 3
	v_ffbh_u32_e32 v14, v12
	v_min_u32_e32 v14, 32, v14
	v_lshrrev_b16_e32 v13, 3, v11
	v_subrev_u32_e32 v15, 28, v14
	v_and_b32_e32 v13, 15, v13
	v_lshlrev_b32_e32 v11, v15, v11
	v_sub_u32_e32 v14, 29, v14
	v_and_b32_e32 v11, 7, v11
	v_cmp_eq_u16_e32 vcc, 0, v13
	v_cndmask_b32_e32 v11, v12, v11, vcc
	v_cndmask_b32_e32 v12, v13, v14, vcc
	v_lshlrev_b32_e32 v13, 16, v2
	v_mov_b32_e32 v14, 0x3b800000
	v_lshlrev_b32_e32 v11, 20, v11
	v_and_b32_e32 v13, 0x80000000, v13
	v_lshl_add_u32 v12, v12, 23, v14
	v_or3_b32 v12, v13, v12, v11
.LBB8_400:
	s_or_b64 exec, exec, s[6:7]
	s_nop 0
	v_mfma_f32_16x16x4f32 a[0:3], v10, v12, a[0:3]
	s_movk_i32 s4, 0xff
	v_and_b32_sdwa v11, v6, s4 dst_sel:DWORD dst_unused:UNUSED_PAD src0_sel:WORD_1 src1_sel:DWORD
	s_movk_i32 s4, 0x7f
	v_cmp_lt_i16_e32 vcc, s4, v11
	s_mov_b64 s[4:5], 0
                                        ; implicit-def: $sgpr10
	s_and_saveexec_b64 s[6:7], vcc
	s_xor_b64 s[6:7], exec, s[6:7]
	s_cbranch_execnz .LBB8_2449
; %bb.401:
	s_or_saveexec_b64 s[6:7], s[6:7]
	v_mov_b32_e32 v10, s10
	s_xor_b64 exec, exec, s[6:7]
	s_cbranch_execnz .LBB8_2452
.LBB8_402:
	s_or_b64 exec, exec, s[6:7]
	s_and_saveexec_b64 s[6:7], s[4:5]
	s_cbranch_execz .LBB8_404
.LBB8_403:
	v_bfe_u32 v10, v6, 16, 3
	v_ffbh_u32_e32 v13, v10
	v_min_u32_e32 v13, 32, v13
	v_lshrrev_b32_e32 v11, 19, v6
	v_subrev_u32_e32 v14, 28, v13
	v_and_b32_e32 v11, 15, v11
	v_lshlrev_b32_sdwa v14, v14, v6 dst_sel:DWORD dst_unused:UNUSED_PAD src0_sel:DWORD src1_sel:WORD_1
	v_bfe_u32 v12, v6, 19, 4
	v_sub_u32_e32 v13, 29, v13
	v_and_b32_e32 v14, 7, v14
	v_cmp_eq_u16_e32 vcc, 0, v11
	v_cndmask_b32_e32 v10, v10, v14, vcc
	v_cndmask_b32_e32 v11, v12, v13, vcc
	v_lshlrev_b32_e32 v12, 8, v6
	v_mov_b32_e32 v13, 0x3b800000
	v_lshlrev_b32_e32 v10, 20, v10
	v_and_b32_e32 v12, 0x80000000, v12
	v_lshl_add_u32 v11, v11, 23, v13
	v_or3_b32 v10, v12, v11, v10
.LBB8_404:
	s_or_b64 exec, exec, s[6:7]
	s_movk_i32 s4, 0xff
	v_and_b32_sdwa v11, v2, s4 dst_sel:DWORD dst_unused:UNUSED_PAD src0_sel:WORD_1 src1_sel:DWORD
	s_movk_i32 s4, 0x7f
	v_cmp_lt_i16_e32 vcc, s4, v11
	s_mov_b64 s[4:5], 0
                                        ; implicit-def: $sgpr10
	s_and_saveexec_b64 s[6:7], vcc
	s_xor_b64 s[6:7], exec, s[6:7]
	s_cbranch_execnz .LBB8_2453
; %bb.405:
	s_or_saveexec_b64 s[6:7], s[6:7]
	v_mov_b32_e32 v12, s10
	s_xor_b64 exec, exec, s[6:7]
	s_cbranch_execnz .LBB8_2456
.LBB8_406:
	s_or_b64 exec, exec, s[6:7]
	s_and_saveexec_b64 s[6:7], s[4:5]
	s_cbranch_execz .LBB8_408
.LBB8_407:
	v_bfe_u32 v11, v2, 16, 3
	v_ffbh_u32_e32 v14, v11
	v_min_u32_e32 v14, 32, v14
	v_lshrrev_b32_e32 v12, 19, v2
	v_subrev_u32_e32 v15, 28, v14
	v_and_b32_e32 v12, 15, v12
	v_lshlrev_b32_sdwa v15, v15, v2 dst_sel:DWORD dst_unused:UNUSED_PAD src0_sel:DWORD src1_sel:WORD_1
	v_bfe_u32 v13, v2, 19, 4
	v_sub_u32_e32 v14, 29, v14
	v_and_b32_e32 v15, 7, v15
	v_cmp_eq_u16_e32 vcc, 0, v12
	v_cndmask_b32_e32 v11, v11, v15, vcc
	v_cndmask_b32_e32 v12, v13, v14, vcc
	v_lshlrev_b32_e32 v13, 8, v2
	v_mov_b32_e32 v14, 0x3b800000
	v_lshlrev_b32_e32 v11, 20, v11
	v_and_b32_e32 v13, 0x80000000, v13
	v_lshl_add_u32 v12, v12, 23, v14
	v_or3_b32 v12, v13, v12, v11
.LBB8_408:
	s_or_b64 exec, exec, s[6:7]
	s_nop 0
	v_mfma_f32_16x16x4f32 a[0:3], v10, v12, a[0:3]
	s_movk_i32 s4, 0x7f
	v_cmp_gt_i16_sdwa s[6:7], v6, s4 src0_sel:BYTE_3 src1_sel:DWORD
	s_mov_b64 s[4:5], 0
                                        ; implicit-def: $sgpr10
	s_and_saveexec_b64 s[8:9], s[6:7]
	s_xor_b64 s[6:7], exec, s[8:9]
	s_cbranch_execnz .LBB8_2457
; %bb.409:
	s_or_saveexec_b64 s[6:7], s[6:7]
	v_mov_b32_e32 v10, s10
	s_xor_b64 exec, exec, s[6:7]
	s_cbranch_execnz .LBB8_2460
.LBB8_410:
	s_or_b64 exec, exec, s[6:7]
	s_and_saveexec_b64 s[6:7], s[4:5]
	s_cbranch_execz .LBB8_412
.LBB8_411:
	v_bfe_u32 v10, v6, 24, 3
	v_ffbh_u32_e32 v14, v10
	v_min_u32_e32 v14, 32, v14
	v_lshrrev_b32_e32 v12, 27, v6
	v_subrev_u32_e32 v15, 28, v14
	v_and_b32_e32 v11, 0x80000000, v6
	v_and_b32_e32 v12, 15, v12
	v_bfe_u32 v13, v6, 27, 4
	v_lshlrev_b32_sdwa v6, v15, v6 dst_sel:DWORD dst_unused:UNUSED_PAD src0_sel:DWORD src1_sel:BYTE_3
	v_sub_u32_e32 v14, 29, v14
	v_and_b32_e32 v6, 7, v6
	v_cmp_eq_u16_e32 vcc, 0, v12
	v_cndmask_b32_e32 v6, v10, v6, vcc
	v_cndmask_b32_e32 v10, v13, v14, vcc
	v_mov_b32_e32 v12, 0x3b800000
	v_lshlrev_b32_e32 v6, 20, v6
	v_lshl_add_u32 v10, v10, 23, v12
	v_or3_b32 v10, v11, v10, v6
.LBB8_412:
	s_or_b64 exec, exec, s[6:7]
	s_movk_i32 s4, 0x7f
	v_cmp_gt_i16_sdwa s[6:7], v2, s4 src0_sel:BYTE_3 src1_sel:DWORD
	s_mov_b64 s[4:5], 0
                                        ; implicit-def: $sgpr10
	s_and_saveexec_b64 s[8:9], s[6:7]
	s_xor_b64 s[6:7], exec, s[8:9]
	s_cbranch_execnz .LBB8_2461
; %bb.413:
	s_or_saveexec_b64 s[6:7], s[6:7]
	v_mov_b32_e32 v6, s10
	s_xor_b64 exec, exec, s[6:7]
	s_cbranch_execnz .LBB8_2464
.LBB8_414:
	s_or_b64 exec, exec, s[6:7]
	s_and_saveexec_b64 s[6:7], s[4:5]
	s_cbranch_execz .LBB8_416
.LBB8_415:
	v_bfe_u32 v6, v2, 24, 3
	v_ffbh_u32_e32 v14, v6
	v_min_u32_e32 v14, 32, v14
	v_lshrrev_b32_e32 v12, 27, v2
	v_subrev_u32_e32 v15, 28, v14
	v_and_b32_e32 v11, 0x80000000, v2
	v_and_b32_e32 v12, 15, v12
	v_bfe_u32 v13, v2, 27, 4
	v_lshlrev_b32_sdwa v2, v15, v2 dst_sel:DWORD dst_unused:UNUSED_PAD src0_sel:DWORD src1_sel:BYTE_3
	v_sub_u32_e32 v14, 29, v14
	v_and_b32_e32 v2, 7, v2
	v_cmp_eq_u16_e32 vcc, 0, v12
	v_cndmask_b32_e32 v2, v6, v2, vcc
	v_cndmask_b32_e32 v6, v13, v14, vcc
	v_mov_b32_e32 v12, 0x3b800000
	v_lshlrev_b32_e32 v2, 20, v2
	v_lshl_add_u32 v6, v6, 23, v12
	v_or3_b32 v6, v11, v6, v2
.LBB8_416:
	s_or_b64 exec, exec, s[6:7]
	s_nop 0
	v_mfma_f32_16x16x4f32 a[0:3], v10, v6, a[0:3]
	s_movk_i32 s4, 0x7f
	v_cmp_gt_i16_sdwa s[6:7], v7, s4 src0_sel:BYTE_0 src1_sel:DWORD
	s_mov_b64 s[4:5], 0
                                        ; implicit-def: $sgpr10
	s_and_saveexec_b64 s[8:9], s[6:7]
	s_xor_b64 s[6:7], exec, s[8:9]
	s_cbranch_execnz .LBB8_2465
; %bb.417:
	s_or_saveexec_b64 s[6:7], s[6:7]
	v_mov_b32_e32 v2, s10
	s_xor_b64 exec, exec, s[6:7]
	s_cbranch_execnz .LBB8_2468
.LBB8_418:
	s_or_b64 exec, exec, s[6:7]
	s_and_saveexec_b64 s[6:7], s[4:5]
	s_cbranch_execz .LBB8_420
.LBB8_419:
	v_and_b32_e32 v2, 7, v7
	v_ffbh_u32_e32 v10, v2
	v_min_u32_e32 v10, 32, v10
	v_lshrrev_b16_e32 v6, 3, v7
	v_subrev_u32_e32 v11, 28, v10
	v_and_b32_e32 v6, 15, v6
	v_lshlrev_b32_e32 v11, v11, v7
	v_sub_u32_e32 v10, 29, v10
	v_and_b32_e32 v11, 7, v11
	v_cmp_eq_u16_e32 vcc, 0, v6
	v_cndmask_b32_e32 v2, v2, v11, vcc
	v_cndmask_b32_e32 v6, v6, v10, vcc
	v_lshlrev_b32_e32 v10, 24, v7
	v_mov_b32_e32 v11, 0x3b800000
	v_lshlrev_b32_e32 v2, 20, v2
	v_and_b32_e32 v10, 0x80000000, v10
	v_lshl_add_u32 v6, v6, 23, v11
	v_or3_b32 v2, v10, v6, v2
.LBB8_420:
	s_or_b64 exec, exec, s[6:7]
	s_movk_i32 s4, 0x7f
	v_cmp_gt_i16_sdwa s[6:7], v3, s4 src0_sel:BYTE_0 src1_sel:DWORD
	s_mov_b64 s[4:5], 0
                                        ; implicit-def: $sgpr10
	s_and_saveexec_b64 s[8:9], s[6:7]
	s_xor_b64 s[6:7], exec, s[8:9]
	s_cbranch_execnz .LBB8_2469
; %bb.421:
	s_or_saveexec_b64 s[6:7], s[6:7]
	v_mov_b32_e32 v6, s10
	s_xor_b64 exec, exec, s[6:7]
	s_cbranch_execnz .LBB8_2472
.LBB8_422:
	s_or_b64 exec, exec, s[6:7]
	s_and_saveexec_b64 s[6:7], s[4:5]
	s_cbranch_execz .LBB8_424
.LBB8_423:
	v_and_b32_e32 v6, 7, v3
	v_ffbh_u32_e32 v11, v6
	v_min_u32_e32 v11, 32, v11
	v_lshrrev_b16_e32 v10, 3, v3
	v_subrev_u32_e32 v12, 28, v11
	v_and_b32_e32 v10, 15, v10
	v_lshlrev_b32_e32 v12, v12, v3
	v_sub_u32_e32 v11, 29, v11
	v_and_b32_e32 v12, 7, v12
	v_cmp_eq_u16_e32 vcc, 0, v10
	v_cndmask_b32_e32 v6, v6, v12, vcc
	v_cndmask_b32_e32 v10, v10, v11, vcc
	v_lshlrev_b32_e32 v11, 24, v3
	v_mov_b32_e32 v12, 0x3b800000
	v_lshlrev_b32_e32 v6, 20, v6
	v_and_b32_e32 v11, 0x80000000, v11
	v_lshl_add_u32 v10, v10, 23, v12
	v_or3_b32 v6, v11, v10, v6
.LBB8_424:
	s_or_b64 exec, exec, s[6:7]
	s_nop 0
	v_mfma_f32_16x16x4f32 a[0:3], v2, v6, a[0:3]
	v_lshrrev_b32_e32 v6, 8, v7
	s_movk_i32 s4, 0x7f
	v_cmp_gt_i16_sdwa s[6:7], v6, s4 src0_sel:BYTE_0 src1_sel:DWORD
	s_mov_b64 s[4:5], 0
                                        ; implicit-def: $sgpr10
	s_and_saveexec_b64 s[8:9], s[6:7]
	s_xor_b64 s[6:7], exec, s[8:9]
	s_cbranch_execnz .LBB8_2473
; %bb.425:
	s_or_saveexec_b64 s[6:7], s[6:7]
	v_mov_b32_e32 v2, s10
	s_xor_b64 exec, exec, s[6:7]
	s_cbranch_execnz .LBB8_2476
.LBB8_426:
	s_or_b64 exec, exec, s[6:7]
	s_and_saveexec_b64 s[6:7], s[4:5]
	s_cbranch_execz .LBB8_428
.LBB8_427:
	v_bfe_u32 v2, v7, 8, 3
	v_ffbh_u32_e32 v11, v2
	v_min_u32_e32 v11, 32, v11
	v_lshrrev_b16_e32 v10, 3, v6
	v_subrev_u32_e32 v12, 28, v11
	v_and_b32_e32 v10, 15, v10
	v_lshlrev_b32_e32 v6, v12, v6
	v_sub_u32_e32 v11, 29, v11
	v_and_b32_e32 v6, 7, v6
	v_cmp_eq_u16_e32 vcc, 0, v10
	v_cndmask_b32_e32 v2, v2, v6, vcc
	v_cndmask_b32_e32 v6, v10, v11, vcc
	v_lshlrev_b32_e32 v10, 16, v7
	v_mov_b32_e32 v11, 0x3b800000
	v_lshlrev_b32_e32 v2, 20, v2
	v_and_b32_e32 v10, 0x80000000, v10
	v_lshl_add_u32 v6, v6, 23, v11
	v_or3_b32 v2, v10, v6, v2
.LBB8_428:
	s_or_b64 exec, exec, s[6:7]
	v_lshrrev_b32_e32 v6, 8, v3
	s_movk_i32 s4, 0x7f
	v_cmp_gt_i16_sdwa s[6:7], v6, s4 src0_sel:BYTE_0 src1_sel:DWORD
	s_mov_b64 s[4:5], 0
                                        ; implicit-def: $sgpr10
	s_and_saveexec_b64 s[8:9], s[6:7]
	s_xor_b64 s[6:7], exec, s[8:9]
	s_cbranch_execnz .LBB8_2477
; %bb.429:
	s_or_saveexec_b64 s[6:7], s[6:7]
	v_mov_b32_e32 v10, s10
	s_xor_b64 exec, exec, s[6:7]
	s_cbranch_execnz .LBB8_2480
.LBB8_430:
	s_or_b64 exec, exec, s[6:7]
	s_and_saveexec_b64 s[6:7], s[4:5]
	s_cbranch_execz .LBB8_432
.LBB8_431:
	v_bfe_u32 v10, v3, 8, 3
	v_ffbh_u32_e32 v12, v10
	v_min_u32_e32 v12, 32, v12
	v_lshrrev_b16_e32 v11, 3, v6
	v_subrev_u32_e32 v13, 28, v12
	v_and_b32_e32 v11, 15, v11
	v_lshlrev_b32_e32 v6, v13, v6
	v_sub_u32_e32 v12, 29, v12
	v_and_b32_e32 v6, 7, v6
	v_cmp_eq_u16_e32 vcc, 0, v11
	v_cndmask_b32_e32 v6, v10, v6, vcc
	v_cndmask_b32_e32 v10, v11, v12, vcc
	v_lshlrev_b32_e32 v11, 16, v3
	v_mov_b32_e32 v12, 0x3b800000
	v_lshlrev_b32_e32 v6, 20, v6
	v_and_b32_e32 v11, 0x80000000, v11
	v_lshl_add_u32 v10, v10, 23, v12
	v_or3_b32 v10, v11, v10, v6
.LBB8_432:
	s_or_b64 exec, exec, s[6:7]
	s_nop 0
	v_mfma_f32_16x16x4f32 a[0:3], v2, v10, a[0:3]
	s_movk_i32 s4, 0xff
	v_and_b32_sdwa v6, v7, s4 dst_sel:DWORD dst_unused:UNUSED_PAD src0_sel:WORD_1 src1_sel:DWORD
	s_movk_i32 s4, 0x7f
	v_cmp_lt_i16_e32 vcc, s4, v6
	s_mov_b64 s[4:5], 0
                                        ; implicit-def: $sgpr10
	s_and_saveexec_b64 s[6:7], vcc
	s_xor_b64 s[6:7], exec, s[6:7]
	s_cbranch_execnz .LBB8_2481
; %bb.433:
	s_or_saveexec_b64 s[6:7], s[6:7]
	v_mov_b32_e32 v2, s10
	s_xor_b64 exec, exec, s[6:7]
	s_cbranch_execnz .LBB8_2484
.LBB8_434:
	s_or_b64 exec, exec, s[6:7]
	s_and_saveexec_b64 s[6:7], s[4:5]
	s_cbranch_execz .LBB8_436
.LBB8_435:
	v_bfe_u32 v2, v7, 16, 3
	v_ffbh_u32_e32 v11, v2
	v_min_u32_e32 v11, 32, v11
	v_lshrrev_b32_e32 v6, 19, v7
	v_subrev_u32_e32 v12, 28, v11
	v_and_b32_e32 v6, 15, v6
	v_lshlrev_b32_sdwa v12, v12, v7 dst_sel:DWORD dst_unused:UNUSED_PAD src0_sel:DWORD src1_sel:WORD_1
	v_bfe_u32 v10, v7, 19, 4
	v_sub_u32_e32 v11, 29, v11
	v_and_b32_e32 v12, 7, v12
	v_cmp_eq_u16_e32 vcc, 0, v6
	v_cndmask_b32_e32 v2, v2, v12, vcc
	v_cndmask_b32_e32 v6, v10, v11, vcc
	v_lshlrev_b32_e32 v10, 8, v7
	v_mov_b32_e32 v11, 0x3b800000
	v_lshlrev_b32_e32 v2, 20, v2
	v_and_b32_e32 v10, 0x80000000, v10
	v_lshl_add_u32 v6, v6, 23, v11
	v_or3_b32 v2, v10, v6, v2
.LBB8_436:
	s_or_b64 exec, exec, s[6:7]
	s_movk_i32 s4, 0xff
	v_and_b32_sdwa v6, v3, s4 dst_sel:DWORD dst_unused:UNUSED_PAD src0_sel:WORD_1 src1_sel:DWORD
	s_movk_i32 s4, 0x7f
	v_cmp_lt_i16_e32 vcc, s4, v6
	s_mov_b64 s[4:5], 0
                                        ; implicit-def: $sgpr10
	s_and_saveexec_b64 s[6:7], vcc
	s_xor_b64 s[6:7], exec, s[6:7]
	s_cbranch_execnz .LBB8_2485
; %bb.437:
	s_or_saveexec_b64 s[6:7], s[6:7]
	v_mov_b32_e32 v10, s10
	s_xor_b64 exec, exec, s[6:7]
	s_cbranch_execnz .LBB8_2488
.LBB8_438:
	s_or_b64 exec, exec, s[6:7]
	s_and_saveexec_b64 s[6:7], s[4:5]
	s_cbranch_execz .LBB8_440
.LBB8_439:
	v_bfe_u32 v6, v3, 16, 3
	v_ffbh_u32_e32 v12, v6
	v_min_u32_e32 v12, 32, v12
	v_lshrrev_b32_e32 v10, 19, v3
	v_subrev_u32_e32 v13, 28, v12
	v_and_b32_e32 v10, 15, v10
	v_lshlrev_b32_sdwa v13, v13, v3 dst_sel:DWORD dst_unused:UNUSED_PAD src0_sel:DWORD src1_sel:WORD_1
	v_bfe_u32 v11, v3, 19, 4
	v_sub_u32_e32 v12, 29, v12
	v_and_b32_e32 v13, 7, v13
	v_cmp_eq_u16_e32 vcc, 0, v10
	v_cndmask_b32_e32 v6, v6, v13, vcc
	v_cndmask_b32_e32 v10, v11, v12, vcc
	v_lshlrev_b32_e32 v11, 8, v3
	v_mov_b32_e32 v12, 0x3b800000
	v_lshlrev_b32_e32 v6, 20, v6
	v_and_b32_e32 v11, 0x80000000, v11
	v_lshl_add_u32 v10, v10, 23, v12
	v_or3_b32 v10, v11, v10, v6
.LBB8_440:
	s_or_b64 exec, exec, s[6:7]
	s_nop 0
	v_mfma_f32_16x16x4f32 a[0:3], v2, v10, a[0:3]
	s_movk_i32 s4, 0x7f
	v_cmp_gt_i16_sdwa s[6:7], v7, s4 src0_sel:BYTE_3 src1_sel:DWORD
	s_mov_b64 s[4:5], 0
                                        ; implicit-def: $sgpr10
	s_and_saveexec_b64 s[8:9], s[6:7]
	s_xor_b64 s[6:7], exec, s[8:9]
	s_cbranch_execnz .LBB8_2489
; %bb.441:
	s_or_saveexec_b64 s[6:7], s[6:7]
	v_mov_b32_e32 v2, s10
	s_xor_b64 exec, exec, s[6:7]
	s_cbranch_execnz .LBB8_2492
.LBB8_442:
	s_or_b64 exec, exec, s[6:7]
	s_and_saveexec_b64 s[6:7], s[4:5]
	s_cbranch_execz .LBB8_444
.LBB8_443:
	v_bfe_u32 v2, v7, 24, 3
	v_ffbh_u32_e32 v12, v2
	v_min_u32_e32 v12, 32, v12
	v_lshrrev_b32_e32 v10, 27, v7
	v_subrev_u32_e32 v13, 28, v12
	v_and_b32_e32 v6, 0x80000000, v7
	v_and_b32_e32 v10, 15, v10
	v_bfe_u32 v11, v7, 27, 4
	v_lshlrev_b32_sdwa v7, v13, v7 dst_sel:DWORD dst_unused:UNUSED_PAD src0_sel:DWORD src1_sel:BYTE_3
	v_sub_u32_e32 v12, 29, v12
	v_and_b32_e32 v7, 7, v7
	v_cmp_eq_u16_e32 vcc, 0, v10
	v_cndmask_b32_e32 v2, v2, v7, vcc
	v_cndmask_b32_e32 v7, v11, v12, vcc
	v_mov_b32_e32 v10, 0x3b800000
	v_lshlrev_b32_e32 v2, 20, v2
	v_lshl_add_u32 v7, v7, 23, v10
	v_or3_b32 v2, v6, v7, v2
.LBB8_444:
	s_or_b64 exec, exec, s[6:7]
	s_movk_i32 s4, 0x7f
	v_cmp_gt_i16_sdwa s[6:7], v3, s4 src0_sel:BYTE_3 src1_sel:DWORD
	s_mov_b64 s[4:5], 0
                                        ; implicit-def: $sgpr10
	s_and_saveexec_b64 s[8:9], s[6:7]
	s_xor_b64 s[6:7], exec, s[8:9]
	s_cbranch_execnz .LBB8_2493
; %bb.445:
	s_or_saveexec_b64 s[6:7], s[6:7]
	v_mov_b32_e32 v6, s10
	s_xor_b64 exec, exec, s[6:7]
	s_cbranch_execnz .LBB8_2496
.LBB8_446:
	s_or_b64 exec, exec, s[6:7]
	s_and_saveexec_b64 s[6:7], s[4:5]
	s_cbranch_execz .LBB8_448
.LBB8_447:
	v_bfe_u32 v6, v3, 24, 3
	v_ffbh_u32_e32 v12, v6
	v_min_u32_e32 v12, 32, v12
	v_lshrrev_b32_e32 v10, 27, v3
	v_subrev_u32_e32 v13, 28, v12
	v_and_b32_e32 v7, 0x80000000, v3
	v_and_b32_e32 v10, 15, v10
	v_bfe_u32 v11, v3, 27, 4
	v_lshlrev_b32_sdwa v3, v13, v3 dst_sel:DWORD dst_unused:UNUSED_PAD src0_sel:DWORD src1_sel:BYTE_3
	v_sub_u32_e32 v12, 29, v12
	v_and_b32_e32 v3, 7, v3
	v_cmp_eq_u16_e32 vcc, 0, v10
	v_cndmask_b32_e32 v3, v6, v3, vcc
	v_cndmask_b32_e32 v6, v11, v12, vcc
	v_mov_b32_e32 v10, 0x3b800000
	v_lshlrev_b32_e32 v3, 20, v3
	v_lshl_add_u32 v6, v6, 23, v10
	v_or3_b32 v6, v7, v6, v3
.LBB8_448:
	s_or_b64 exec, exec, s[6:7]
	s_nop 0
	v_mfma_f32_16x16x4f32 a[0:3], v2, v6, a[0:3]
	s_movk_i32 s4, 0x7f
	v_cmp_gt_i16_sdwa s[6:7], v8, s4 src0_sel:BYTE_0 src1_sel:DWORD
	s_mov_b64 s[4:5], 0
                                        ; implicit-def: $sgpr10
	s_and_saveexec_b64 s[8:9], s[6:7]
	s_xor_b64 s[6:7], exec, s[8:9]
	s_cbranch_execnz .LBB8_2497
; %bb.449:
	s_or_saveexec_b64 s[6:7], s[6:7]
	v_mov_b32_e32 v2, s10
	s_xor_b64 exec, exec, s[6:7]
	s_cbranch_execnz .LBB8_2500
.LBB8_450:
	s_or_b64 exec, exec, s[6:7]
	s_and_saveexec_b64 s[6:7], s[4:5]
	s_cbranch_execz .LBB8_452
.LBB8_451:
	v_and_b32_e32 v2, 7, v8
	v_ffbh_u32_e32 v6, v2
	v_min_u32_e32 v6, 32, v6
	v_lshrrev_b16_e32 v3, 3, v8
	v_subrev_u32_e32 v7, 28, v6
	v_and_b32_e32 v3, 15, v3
	v_lshlrev_b32_e32 v7, v7, v8
	v_sub_u32_e32 v6, 29, v6
	v_and_b32_e32 v7, 7, v7
	v_cmp_eq_u16_e32 vcc, 0, v3
	v_cndmask_b32_e32 v2, v2, v7, vcc
	v_cndmask_b32_e32 v3, v3, v6, vcc
	v_lshlrev_b32_e32 v6, 24, v8
	v_mov_b32_e32 v7, 0x3b800000
	v_lshlrev_b32_e32 v2, 20, v2
	v_and_b32_e32 v6, 0x80000000, v6
	v_lshl_add_u32 v3, v3, 23, v7
	v_or3_b32 v2, v6, v3, v2
.LBB8_452:
	s_or_b64 exec, exec, s[6:7]
	s_movk_i32 s4, 0x7f
	v_cmp_gt_i16_sdwa s[6:7], v4, s4 src0_sel:BYTE_0 src1_sel:DWORD
	s_mov_b64 s[4:5], 0
                                        ; implicit-def: $sgpr10
	s_and_saveexec_b64 s[8:9], s[6:7]
	s_xor_b64 s[6:7], exec, s[8:9]
	s_cbranch_execnz .LBB8_2501
; %bb.453:
	s_or_saveexec_b64 s[6:7], s[6:7]
	v_mov_b32_e32 v3, s10
	s_xor_b64 exec, exec, s[6:7]
	s_cbranch_execnz .LBB8_2504
.LBB8_454:
	s_or_b64 exec, exec, s[6:7]
	s_and_saveexec_b64 s[6:7], s[4:5]
	s_cbranch_execz .LBB8_456
.LBB8_455:
	v_and_b32_e32 v3, 7, v4
	v_ffbh_u32_e32 v7, v3
	v_min_u32_e32 v7, 32, v7
	v_lshrrev_b16_e32 v6, 3, v4
	v_subrev_u32_e32 v10, 28, v7
	v_and_b32_e32 v6, 15, v6
	v_lshlrev_b32_e32 v10, v10, v4
	v_sub_u32_e32 v7, 29, v7
	v_and_b32_e32 v10, 7, v10
	v_cmp_eq_u16_e32 vcc, 0, v6
	v_cndmask_b32_e32 v3, v3, v10, vcc
	v_cndmask_b32_e32 v6, v6, v7, vcc
	v_lshlrev_b32_e32 v7, 24, v4
	v_mov_b32_e32 v10, 0x3b800000
	v_lshlrev_b32_e32 v3, 20, v3
	v_and_b32_e32 v7, 0x80000000, v7
	v_lshl_add_u32 v6, v6, 23, v10
	v_or3_b32 v3, v7, v6, v3
.LBB8_456:
	s_or_b64 exec, exec, s[6:7]
	s_nop 0
	v_mfma_f32_16x16x4f32 a[0:3], v2, v3, a[0:3]
	v_lshrrev_b32_e32 v3, 8, v8
	s_movk_i32 s4, 0x7f
	v_cmp_gt_i16_sdwa s[6:7], v3, s4 src0_sel:BYTE_0 src1_sel:DWORD
	s_mov_b64 s[4:5], 0
                                        ; implicit-def: $sgpr10
	s_and_saveexec_b64 s[8:9], s[6:7]
	s_xor_b64 s[6:7], exec, s[8:9]
	s_cbranch_execnz .LBB8_2505
; %bb.457:
	s_or_saveexec_b64 s[6:7], s[6:7]
	v_mov_b32_e32 v2, s10
	s_xor_b64 exec, exec, s[6:7]
	s_cbranch_execnz .LBB8_2508
.LBB8_458:
	s_or_b64 exec, exec, s[6:7]
	s_and_saveexec_b64 s[6:7], s[4:5]
	s_cbranch_execz .LBB8_460
.LBB8_459:
	v_bfe_u32 v2, v8, 8, 3
	v_ffbh_u32_e32 v7, v2
	v_min_u32_e32 v7, 32, v7
	v_lshrrev_b16_e32 v6, 3, v3
	v_subrev_u32_e32 v10, 28, v7
	v_and_b32_e32 v6, 15, v6
	v_lshlrev_b32_e32 v3, v10, v3
	v_sub_u32_e32 v7, 29, v7
	v_and_b32_e32 v3, 7, v3
	v_cmp_eq_u16_e32 vcc, 0, v6
	v_cndmask_b32_e32 v2, v2, v3, vcc
	v_cndmask_b32_e32 v3, v6, v7, vcc
	v_lshlrev_b32_e32 v6, 16, v8
	v_mov_b32_e32 v7, 0x3b800000
	v_lshlrev_b32_e32 v2, 20, v2
	v_and_b32_e32 v6, 0x80000000, v6
	v_lshl_add_u32 v3, v3, 23, v7
	v_or3_b32 v2, v6, v3, v2
.LBB8_460:
	s_or_b64 exec, exec, s[6:7]
	v_lshrrev_b32_e32 v3, 8, v4
	s_movk_i32 s4, 0x7f
	v_cmp_gt_i16_sdwa s[6:7], v3, s4 src0_sel:BYTE_0 src1_sel:DWORD
	s_mov_b64 s[4:5], 0
                                        ; implicit-def: $sgpr10
	s_and_saveexec_b64 s[8:9], s[6:7]
	s_xor_b64 s[6:7], exec, s[8:9]
	s_cbranch_execnz .LBB8_2509
; %bb.461:
	s_or_saveexec_b64 s[6:7], s[6:7]
	v_mov_b32_e32 v6, s10
	s_xor_b64 exec, exec, s[6:7]
	s_cbranch_execnz .LBB8_2512
.LBB8_462:
	s_or_b64 exec, exec, s[6:7]
	s_and_saveexec_b64 s[6:7], s[4:5]
	s_cbranch_execz .LBB8_464
.LBB8_463:
	v_bfe_u32 v6, v4, 8, 3
	v_ffbh_u32_e32 v10, v6
	v_min_u32_e32 v10, 32, v10
	v_lshrrev_b16_e32 v7, 3, v3
	v_subrev_u32_e32 v11, 28, v10
	v_and_b32_e32 v7, 15, v7
	v_lshlrev_b32_e32 v3, v11, v3
	v_sub_u32_e32 v10, 29, v10
	v_and_b32_e32 v3, 7, v3
	v_cmp_eq_u16_e32 vcc, 0, v7
	v_cndmask_b32_e32 v3, v6, v3, vcc
	v_cndmask_b32_e32 v6, v7, v10, vcc
	v_lshlrev_b32_e32 v7, 16, v4
	v_mov_b32_e32 v10, 0x3b800000
	v_lshlrev_b32_e32 v3, 20, v3
	v_and_b32_e32 v7, 0x80000000, v7
	v_lshl_add_u32 v6, v6, 23, v10
	v_or3_b32 v6, v7, v6, v3
.LBB8_464:
	s_or_b64 exec, exec, s[6:7]
	s_nop 0
	v_mfma_f32_16x16x4f32 a[0:3], v2, v6, a[0:3]
	s_movk_i32 s4, 0xff
	v_and_b32_sdwa v3, v8, s4 dst_sel:DWORD dst_unused:UNUSED_PAD src0_sel:WORD_1 src1_sel:DWORD
	s_movk_i32 s4, 0x7f
	v_cmp_lt_i16_e32 vcc, s4, v3
	s_mov_b64 s[4:5], 0
                                        ; implicit-def: $sgpr10
	s_and_saveexec_b64 s[6:7], vcc
	s_xor_b64 s[6:7], exec, s[6:7]
	s_cbranch_execnz .LBB8_2513
; %bb.465:
	s_or_saveexec_b64 s[6:7], s[6:7]
	v_mov_b32_e32 v2, s10
	s_xor_b64 exec, exec, s[6:7]
	s_cbranch_execnz .LBB8_2516
.LBB8_466:
	s_or_b64 exec, exec, s[6:7]
	s_and_saveexec_b64 s[6:7], s[4:5]
	s_cbranch_execz .LBB8_468
.LBB8_467:
	v_bfe_u32 v2, v8, 16, 3
	v_ffbh_u32_e32 v7, v2
	v_min_u32_e32 v7, 32, v7
	v_lshrrev_b32_e32 v3, 19, v8
	v_subrev_u32_e32 v10, 28, v7
	v_and_b32_e32 v3, 15, v3
	v_lshlrev_b32_sdwa v10, v10, v8 dst_sel:DWORD dst_unused:UNUSED_PAD src0_sel:DWORD src1_sel:WORD_1
	v_bfe_u32 v6, v8, 19, 4
	v_sub_u32_e32 v7, 29, v7
	v_and_b32_e32 v10, 7, v10
	v_cmp_eq_u16_e32 vcc, 0, v3
	v_cndmask_b32_e32 v2, v2, v10, vcc
	v_cndmask_b32_e32 v3, v6, v7, vcc
	v_lshlrev_b32_e32 v6, 8, v8
	v_mov_b32_e32 v7, 0x3b800000
	v_lshlrev_b32_e32 v2, 20, v2
	v_and_b32_e32 v6, 0x80000000, v6
	v_lshl_add_u32 v3, v3, 23, v7
	v_or3_b32 v2, v6, v3, v2
.LBB8_468:
	s_or_b64 exec, exec, s[6:7]
	s_movk_i32 s4, 0xff
	v_and_b32_sdwa v3, v4, s4 dst_sel:DWORD dst_unused:UNUSED_PAD src0_sel:WORD_1 src1_sel:DWORD
	s_movk_i32 s4, 0x7f
	v_cmp_lt_i16_e32 vcc, s4, v3
	s_mov_b64 s[4:5], 0
                                        ; implicit-def: $sgpr10
	s_and_saveexec_b64 s[6:7], vcc
	s_xor_b64 s[6:7], exec, s[6:7]
	s_cbranch_execnz .LBB8_2517
; %bb.469:
	s_or_saveexec_b64 s[6:7], s[6:7]
	v_mov_b32_e32 v6, s10
	s_xor_b64 exec, exec, s[6:7]
	s_cbranch_execnz .LBB8_2520
.LBB8_470:
	s_or_b64 exec, exec, s[6:7]
	s_and_saveexec_b64 s[6:7], s[4:5]
	s_cbranch_execz .LBB8_472
.LBB8_471:
	v_bfe_u32 v3, v4, 16, 3
	v_ffbh_u32_e32 v10, v3
	v_min_u32_e32 v10, 32, v10
	v_lshrrev_b32_e32 v6, 19, v4
	v_subrev_u32_e32 v11, 28, v10
	v_and_b32_e32 v6, 15, v6
	v_lshlrev_b32_sdwa v11, v11, v4 dst_sel:DWORD dst_unused:UNUSED_PAD src0_sel:DWORD src1_sel:WORD_1
	v_bfe_u32 v7, v4, 19, 4
	v_sub_u32_e32 v10, 29, v10
	v_and_b32_e32 v11, 7, v11
	v_cmp_eq_u16_e32 vcc, 0, v6
	v_cndmask_b32_e32 v3, v3, v11, vcc
	v_cndmask_b32_e32 v6, v7, v10, vcc
	v_lshlrev_b32_e32 v7, 8, v4
	v_mov_b32_e32 v10, 0x3b800000
	v_lshlrev_b32_e32 v3, 20, v3
	v_and_b32_e32 v7, 0x80000000, v7
	v_lshl_add_u32 v6, v6, 23, v10
	v_or3_b32 v6, v7, v6, v3
.LBB8_472:
	s_or_b64 exec, exec, s[6:7]
	s_nop 0
	v_mfma_f32_16x16x4f32 a[0:3], v2, v6, a[0:3]
	s_movk_i32 s4, 0x7f
	v_cmp_gt_i16_sdwa s[6:7], v8, s4 src0_sel:BYTE_3 src1_sel:DWORD
	s_mov_b64 s[4:5], 0
                                        ; implicit-def: $sgpr10
	s_and_saveexec_b64 s[8:9], s[6:7]
	s_xor_b64 s[6:7], exec, s[8:9]
	s_cbranch_execnz .LBB8_2521
; %bb.473:
	s_or_saveexec_b64 s[6:7], s[6:7]
	v_mov_b32_e32 v2, s10
	s_xor_b64 exec, exec, s[6:7]
	s_cbranch_execnz .LBB8_2524
.LBB8_474:
	s_or_b64 exec, exec, s[6:7]
	s_and_saveexec_b64 s[6:7], s[4:5]
	s_cbranch_execz .LBB8_476
.LBB8_475:
	v_bfe_u32 v2, v8, 24, 3
	v_ffbh_u32_e32 v10, v2
	v_min_u32_e32 v10, 32, v10
	v_lshrrev_b32_e32 v6, 27, v8
	v_subrev_u32_e32 v11, 28, v10
	v_and_b32_e32 v3, 0x80000000, v8
	v_and_b32_e32 v6, 15, v6
	v_bfe_u32 v7, v8, 27, 4
	v_lshlrev_b32_sdwa v8, v11, v8 dst_sel:DWORD dst_unused:UNUSED_PAD src0_sel:DWORD src1_sel:BYTE_3
	v_sub_u32_e32 v10, 29, v10
	v_and_b32_e32 v8, 7, v8
	v_cmp_eq_u16_e32 vcc, 0, v6
	v_cndmask_b32_e32 v2, v2, v8, vcc
	v_cndmask_b32_e32 v6, v7, v10, vcc
	v_mov_b32_e32 v7, 0x3b800000
	v_lshlrev_b32_e32 v2, 20, v2
	v_lshl_add_u32 v6, v6, 23, v7
	v_or3_b32 v2, v3, v6, v2
.LBB8_476:
	s_or_b64 exec, exec, s[6:7]
	s_movk_i32 s4, 0x7f
	v_cmp_gt_i16_sdwa s[6:7], v4, s4 src0_sel:BYTE_3 src1_sel:DWORD
	s_mov_b64 s[4:5], 0
                                        ; implicit-def: $sgpr10
	s_and_saveexec_b64 s[8:9], s[6:7]
	s_xor_b64 s[6:7], exec, s[8:9]
	s_cbranch_execnz .LBB8_2525
; %bb.477:
	s_or_saveexec_b64 s[6:7], s[6:7]
	v_mov_b32_e32 v3, s10
	s_xor_b64 exec, exec, s[6:7]
	s_cbranch_execnz .LBB8_2528
.LBB8_478:
	s_or_b64 exec, exec, s[6:7]
	s_and_saveexec_b64 s[6:7], s[4:5]
	s_cbranch_execz .LBB8_480
.LBB8_479:
	v_bfe_u32 v3, v4, 24, 3
	v_ffbh_u32_e32 v10, v3
	v_min_u32_e32 v10, 32, v10
	v_lshrrev_b32_e32 v7, 27, v4
	v_subrev_u32_e32 v11, 28, v10
	v_and_b32_e32 v6, 0x80000000, v4
	v_and_b32_e32 v7, 15, v7
	v_bfe_u32 v8, v4, 27, 4
	v_lshlrev_b32_sdwa v4, v11, v4 dst_sel:DWORD dst_unused:UNUSED_PAD src0_sel:DWORD src1_sel:BYTE_3
	v_sub_u32_e32 v10, 29, v10
	v_and_b32_e32 v4, 7, v4
	v_cmp_eq_u16_e32 vcc, 0, v7
	v_cndmask_b32_e32 v3, v3, v4, vcc
	v_cndmask_b32_e32 v4, v8, v10, vcc
	v_mov_b32_e32 v7, 0x3b800000
	v_lshlrev_b32_e32 v3, 20, v3
	v_lshl_add_u32 v4, v4, 23, v7
	v_or3_b32 v3, v6, v4, v3
.LBB8_480:
	s_or_b64 exec, exec, s[6:7]
	s_nop 0
	v_mfma_f32_16x16x4f32 a[0:3], v2, v3, a[0:3]
	s_movk_i32 s4, 0x7f
	v_cmp_gt_i16_sdwa s[6:7], v9, s4 src0_sel:BYTE_0 src1_sel:DWORD
	s_mov_b64 s[4:5], 0
                                        ; implicit-def: $sgpr10
	s_and_saveexec_b64 s[8:9], s[6:7]
	s_xor_b64 s[6:7], exec, s[8:9]
	s_cbranch_execnz .LBB8_2529
; %bb.481:
	s_or_saveexec_b64 s[6:7], s[6:7]
	v_mov_b32_e32 v2, s10
	s_xor_b64 exec, exec, s[6:7]
	s_cbranch_execnz .LBB8_2532
.LBB8_482:
	s_or_b64 exec, exec, s[6:7]
	s_and_saveexec_b64 s[6:7], s[4:5]
	s_cbranch_execz .LBB8_484
.LBB8_483:
	v_mov_b32_e32 v2, 8
	v_and_b32_e32 v3, 7, v9
	v_lshrrev_b32_sdwa v2, v2, v9 dst_sel:BYTE_1 dst_unused:UNUSED_PAD src0_sel:DWORD src1_sel:DWORD
	v_ffbh_u32_e32 v4, v3
	v_or_b32_sdwa v2, v9, v2 dst_sel:DWORD dst_unused:UNUSED_PAD src0_sel:BYTE_0 src1_sel:DWORD
	v_min_u32_e32 v4, 32, v4
	v_lshrrev_b16_e32 v2, 3, v2
	v_subrev_u32_e32 v6, 28, v4
	v_and_b32_e32 v2, 15, v2
	v_lshlrev_b32_e32 v6, v6, v9
	v_sub_u32_e32 v4, 29, v4
	v_and_b32_e32 v6, 7, v6
	v_cmp_eq_u16_e32 vcc, 0, v2
	v_cndmask_b32_e32 v3, v3, v6, vcc
	v_cndmask_b32_e32 v2, v2, v4, vcc
	v_lshlrev_b32_e32 v4, 24, v9
	v_mov_b32_e32 v6, 0x3b800000
	v_lshlrev_b32_e32 v3, 20, v3
	v_and_b32_e32 v4, 0x80000000, v4
	v_lshl_add_u32 v2, v2, 23, v6
	v_or3_b32 v2, v4, v2, v3
.LBB8_484:
	s_or_b64 exec, exec, s[6:7]
	s_movk_i32 s4, 0x7f
	v_cmp_gt_i16_sdwa s[6:7], v5, s4 src0_sel:BYTE_0 src1_sel:DWORD
	s_mov_b64 s[4:5], 0
                                        ; implicit-def: $sgpr10
	s_and_saveexec_b64 s[8:9], s[6:7]
	s_xor_b64 s[6:7], exec, s[8:9]
	s_cbranch_execnz .LBB8_2533
; %bb.485:
	s_or_saveexec_b64 s[6:7], s[6:7]
	v_mov_b32_e32 v3, s10
	s_xor_b64 exec, exec, s[6:7]
	s_cbranch_execnz .LBB8_2536
.LBB8_486:
	s_or_b64 exec, exec, s[6:7]
	s_and_saveexec_b64 s[6:7], s[4:5]
	s_cbranch_execz .LBB8_488
.LBB8_487:
	v_mov_b32_e32 v3, 8
	v_and_b32_e32 v4, 7, v5
	v_lshrrev_b32_sdwa v3, v3, v5 dst_sel:BYTE_1 dst_unused:UNUSED_PAD src0_sel:DWORD src1_sel:DWORD
	v_ffbh_u32_e32 v6, v4
	v_or_b32_sdwa v3, v5, v3 dst_sel:DWORD dst_unused:UNUSED_PAD src0_sel:BYTE_0 src1_sel:DWORD
	v_min_u32_e32 v6, 32, v6
	v_lshrrev_b16_e32 v3, 3, v3
	v_subrev_u32_e32 v7, 28, v6
	v_and_b32_e32 v3, 15, v3
	v_lshlrev_b32_e32 v7, v7, v5
	v_sub_u32_e32 v6, 29, v6
	v_and_b32_e32 v7, 7, v7
	v_cmp_eq_u16_e32 vcc, 0, v3
	v_cndmask_b32_e32 v4, v4, v7, vcc
	v_cndmask_b32_e32 v3, v3, v6, vcc
	v_lshlrev_b32_e32 v6, 24, v5
	v_mov_b32_e32 v7, 0x3b800000
	v_lshlrev_b32_e32 v4, 20, v4
	v_and_b32_e32 v6, 0x80000000, v6
	v_lshl_add_u32 v3, v3, 23, v7
	v_or3_b32 v3, v6, v3, v4
.LBB8_488:
	s_or_b64 exec, exec, s[6:7]
	s_nop 0
	v_mfma_f32_16x16x4f32 a[0:3], v2, v3, a[0:3]
	v_lshrrev_b32_e32 v3, 8, v9
	s_movk_i32 s4, 0x7f
	v_cmp_gt_i16_sdwa s[6:7], v3, s4 src0_sel:BYTE_0 src1_sel:DWORD
	s_mov_b64 s[4:5], 0
                                        ; implicit-def: $sgpr10
	s_and_saveexec_b64 s[8:9], s[6:7]
	s_xor_b64 s[6:7], exec, s[8:9]
	s_cbranch_execnz .LBB8_2537
; %bb.489:
	s_or_saveexec_b64 s[6:7], s[6:7]
	v_mov_b32_e32 v2, s10
	s_xor_b64 exec, exec, s[6:7]
	s_cbranch_execnz .LBB8_2540
.LBB8_490:
	s_or_b64 exec, exec, s[6:7]
	s_and_saveexec_b64 s[6:7], s[4:5]
	s_cbranch_execz .LBB8_492
.LBB8_491:
	v_bfe_u32 v2, v9, 8, 3
	v_ffbh_u32_e32 v6, v2
	v_min_u32_e32 v6, 32, v6
	v_lshrrev_b16_e32 v4, 3, v3
	v_subrev_u32_e32 v7, 28, v6
	v_and_b32_e32 v4, 15, v4
	v_lshlrev_b32_e32 v3, v7, v3
	v_sub_u32_e32 v6, 29, v6
	v_and_b32_e32 v3, 7, v3
	v_cmp_eq_u16_e32 vcc, 0, v4
	v_cndmask_b32_e32 v2, v2, v3, vcc
	v_cndmask_b32_e32 v3, v4, v6, vcc
	v_lshlrev_b32_e32 v4, 16, v9
	v_mov_b32_e32 v6, 0x3b800000
	v_lshlrev_b32_e32 v2, 20, v2
	v_and_b32_e32 v4, 0x80000000, v4
	v_lshl_add_u32 v3, v3, 23, v6
	v_or3_b32 v2, v4, v3, v2
.LBB8_492:
	s_or_b64 exec, exec, s[6:7]
	v_lshrrev_b32_e32 v3, 8, v5
	s_movk_i32 s4, 0x7f
	v_cmp_gt_i16_sdwa s[6:7], v3, s4 src0_sel:BYTE_0 src1_sel:DWORD
	s_mov_b64 s[4:5], 0
                                        ; implicit-def: $sgpr10
	s_and_saveexec_b64 s[8:9], s[6:7]
	s_xor_b64 s[6:7], exec, s[8:9]
	s_cbranch_execnz .LBB8_2541
; %bb.493:
	s_or_saveexec_b64 s[6:7], s[6:7]
	v_mov_b32_e32 v4, s10
	s_xor_b64 exec, exec, s[6:7]
	s_cbranch_execnz .LBB8_2544
.LBB8_494:
	s_or_b64 exec, exec, s[6:7]
	s_and_saveexec_b64 s[6:7], s[4:5]
	s_cbranch_execz .LBB8_496
.LBB8_495:
	v_bfe_u32 v4, v5, 8, 3
	v_ffbh_u32_e32 v7, v4
	v_min_u32_e32 v7, 32, v7
	v_lshrrev_b16_e32 v6, 3, v3
	v_subrev_u32_e32 v8, 28, v7
	v_and_b32_e32 v6, 15, v6
	v_lshlrev_b32_e32 v3, v8, v3
	v_sub_u32_e32 v7, 29, v7
	v_and_b32_e32 v3, 7, v3
	v_cmp_eq_u16_e32 vcc, 0, v6
	v_cndmask_b32_e32 v3, v4, v3, vcc
	v_cndmask_b32_e32 v4, v6, v7, vcc
	v_lshlrev_b32_e32 v6, 16, v5
	v_mov_b32_e32 v7, 0x3b800000
	v_lshlrev_b32_e32 v3, 20, v3
	v_and_b32_e32 v6, 0x80000000, v6
	v_lshl_add_u32 v4, v4, 23, v7
	v_or3_b32 v4, v6, v4, v3
.LBB8_496:
	s_or_b64 exec, exec, s[6:7]
	s_nop 0
	v_mfma_f32_16x16x4f32 a[0:3], v2, v4, a[0:3]
	s_movk_i32 s4, 0xff
	v_and_b32_sdwa v3, v9, s4 dst_sel:DWORD dst_unused:UNUSED_PAD src0_sel:WORD_1 src1_sel:DWORD
	s_movk_i32 s4, 0x7f
	v_cmp_lt_i16_e32 vcc, s4, v3
	s_mov_b64 s[4:5], 0
                                        ; implicit-def: $sgpr10
	s_and_saveexec_b64 s[6:7], vcc
	s_xor_b64 s[6:7], exec, s[6:7]
	s_cbranch_execnz .LBB8_2545
; %bb.497:
	s_or_saveexec_b64 s[6:7], s[6:7]
	v_mov_b32_e32 v2, s10
	s_xor_b64 exec, exec, s[6:7]
	s_cbranch_execnz .LBB8_2548
.LBB8_498:
	s_or_b64 exec, exec, s[6:7]
	s_and_saveexec_b64 s[6:7], s[4:5]
	s_cbranch_execz .LBB8_500
.LBB8_499:
	v_bfe_u32 v2, v9, 16, 3
	v_ffbh_u32_e32 v6, v2
	v_min_u32_e32 v6, 32, v6
	v_lshrrev_b32_e32 v3, 19, v9
	v_subrev_u32_e32 v7, 28, v6
	v_and_b32_e32 v3, 15, v3
	v_lshlrev_b32_sdwa v7, v7, v9 dst_sel:DWORD dst_unused:UNUSED_PAD src0_sel:DWORD src1_sel:WORD_1
	v_bfe_u32 v4, v9, 19, 4
	v_sub_u32_e32 v6, 29, v6
	v_and_b32_e32 v7, 7, v7
	v_cmp_eq_u16_e32 vcc, 0, v3
	v_cndmask_b32_e32 v2, v2, v7, vcc
	v_cndmask_b32_e32 v3, v4, v6, vcc
	v_lshlrev_b32_e32 v4, 8, v9
	v_mov_b32_e32 v6, 0x3b800000
	v_lshlrev_b32_e32 v2, 20, v2
	v_and_b32_e32 v4, 0x80000000, v4
	v_lshl_add_u32 v3, v3, 23, v6
	v_or3_b32 v2, v4, v3, v2
.LBB8_500:
	s_or_b64 exec, exec, s[6:7]
	s_movk_i32 s4, 0xff
	v_and_b32_sdwa v3, v5, s4 dst_sel:DWORD dst_unused:UNUSED_PAD src0_sel:WORD_1 src1_sel:DWORD
	s_movk_i32 s4, 0x7f
	v_cmp_lt_i16_e32 vcc, s4, v3
	s_mov_b64 s[4:5], 0
                                        ; implicit-def: $sgpr10
	s_and_saveexec_b64 s[6:7], vcc
	s_xor_b64 s[6:7], exec, s[6:7]
	s_cbranch_execnz .LBB8_2549
; %bb.501:
	s_or_saveexec_b64 s[6:7], s[6:7]
	v_mov_b32_e32 v4, s10
	s_xor_b64 exec, exec, s[6:7]
	s_cbranch_execnz .LBB8_2552
.LBB8_502:
	s_or_b64 exec, exec, s[6:7]
	s_and_saveexec_b64 s[6:7], s[4:5]
	s_cbranch_execz .LBB8_504
.LBB8_503:
	v_bfe_u32 v3, v5, 16, 3
	v_ffbh_u32_e32 v7, v3
	v_min_u32_e32 v7, 32, v7
	v_lshrrev_b32_e32 v4, 19, v5
	v_subrev_u32_e32 v8, 28, v7
	v_and_b32_e32 v4, 15, v4
	v_lshlrev_b32_sdwa v8, v8, v5 dst_sel:DWORD dst_unused:UNUSED_PAD src0_sel:DWORD src1_sel:WORD_1
	v_bfe_u32 v6, v5, 19, 4
	v_sub_u32_e32 v7, 29, v7
	v_and_b32_e32 v8, 7, v8
	v_cmp_eq_u16_e32 vcc, 0, v4
	v_cndmask_b32_e32 v3, v3, v8, vcc
	v_cndmask_b32_e32 v4, v6, v7, vcc
	v_lshlrev_b32_e32 v6, 8, v5
	v_mov_b32_e32 v7, 0x3b800000
	v_lshlrev_b32_e32 v3, 20, v3
	v_and_b32_e32 v6, 0x80000000, v6
	v_lshl_add_u32 v4, v4, 23, v7
	v_or3_b32 v4, v6, v4, v3
.LBB8_504:
	s_or_b64 exec, exec, s[6:7]
	s_nop 0
	v_mfma_f32_16x16x4f32 a[0:3], v2, v4, a[0:3]
	s_movk_i32 s4, 0x7f
	v_cmp_gt_i16_sdwa s[6:7], v9, s4 src0_sel:BYTE_3 src1_sel:DWORD
	s_mov_b64 s[4:5], 0
                                        ; implicit-def: $sgpr10
	s_and_saveexec_b64 s[8:9], s[6:7]
	s_xor_b64 s[6:7], exec, s[8:9]
	s_cbranch_execnz .LBB8_2553
; %bb.505:
	s_or_saveexec_b64 s[6:7], s[6:7]
	v_mov_b32_e32 v2, s10
	s_xor_b64 exec, exec, s[6:7]
	s_cbranch_execnz .LBB8_2556
.LBB8_506:
	s_or_b64 exec, exec, s[6:7]
	s_and_saveexec_b64 s[6:7], s[4:5]
	s_cbranch_execz .LBB8_508
.LBB8_507:
	v_bfe_u32 v2, v9, 24, 3
	v_ffbh_u32_e32 v7, v2
	v_min_u32_e32 v7, 32, v7
	v_lshrrev_b32_e32 v4, 27, v9
	v_subrev_u32_e32 v8, 28, v7
	v_and_b32_e32 v4, 15, v4
	v_lshlrev_b32_sdwa v8, v8, v9 dst_sel:DWORD dst_unused:UNUSED_PAD src0_sel:DWORD src1_sel:BYTE_3
	v_bfe_u32 v6, v9, 27, 4
	v_sub_u32_e32 v7, 29, v7
	v_and_b32_e32 v8, 7, v8
	v_cmp_eq_u16_e32 vcc, 0, v4
	v_cndmask_b32_e32 v2, v2, v8, vcc
	v_cndmask_b32_e32 v4, v6, v7, vcc
	v_mov_b32_e32 v6, 0x3b800000
	v_and_b32_e32 v3, 0x80000000, v9
	v_lshlrev_b32_e32 v2, 20, v2
	v_lshl_add_u32 v4, v4, 23, v6
	v_or3_b32 v2, v3, v4, v2
.LBB8_508:
	s_or_b64 exec, exec, s[6:7]
	s_movk_i32 s4, 0x7f
	v_cmp_gt_i16_sdwa s[6:7], v5, s4 src0_sel:BYTE_3 src1_sel:DWORD
	s_mov_b64 s[4:5], 0
                                        ; implicit-def: $sgpr10
	s_and_saveexec_b64 s[8:9], s[6:7]
	s_xor_b64 s[6:7], exec, s[8:9]
	s_cbranch_execnz .LBB8_2557
; %bb.509:
	s_or_saveexec_b64 s[6:7], s[6:7]
	v_mov_b32_e32 v3, s10
	s_xor_b64 exec, exec, s[6:7]
	s_cbranch_execnz .LBB8_2560
.LBB8_510:
	s_or_b64 exec, exec, s[6:7]
	s_and_saveexec_b64 s[6:7], s[4:5]
	s_cbranch_execz .LBB8_512
.LBB8_511:
	v_bfe_u32 v3, v5, 24, 3
	v_ffbh_u32_e32 v8, v3
	v_min_u32_e32 v8, 32, v8
	v_lshrrev_b32_e32 v6, 27, v5
	v_subrev_u32_e32 v9, 28, v8
	v_and_b32_e32 v4, 0x80000000, v5
	v_and_b32_e32 v6, 15, v6
	v_bfe_u32 v7, v5, 27, 4
	v_lshlrev_b32_sdwa v5, v9, v5 dst_sel:DWORD dst_unused:UNUSED_PAD src0_sel:DWORD src1_sel:BYTE_3
	v_sub_u32_e32 v8, 29, v8
	v_and_b32_e32 v5, 7, v5
	v_cmp_eq_u16_e32 vcc, 0, v6
	v_cndmask_b32_e32 v3, v3, v5, vcc
	v_cndmask_b32_e32 v5, v7, v8, vcc
	v_mov_b32_e32 v6, 0x3b800000
	v_lshlrev_b32_e32 v3, 20, v3
	v_lshl_add_u32 v5, v5, 23, v6
	v_or3_b32 v3, v4, v5, v3
.LBB8_512:
	s_or_b64 exec, exec, s[6:7]
	s_nop 0
	v_mfma_f32_16x16x4f32 a[0:3], v2, v3, a[0:3]
	s_movk_i32 s4, 0x7f
                                        ; implicit-def: $sgpr10
	s_nop 7
	s_nop 1
	flat_store_dwordx4 v[18:19], a[0:3] offset:784
	flat_load_dwordx4 v[20:23], v[0:1] offset:16
	s_nop 0
	flat_load_dwordx2 v[18:19], v[0:1] offset:32
	s_waitcnt vmcnt(0) lgkmcnt(0)
	flat_load_dwordx4 v[14:17], v[20:21]
	flat_load_dwordx4 v[6:9], v[20:21] offset:16
	flat_load_dwordx4 v[10:13], v[22:23] offset:64
	;; [unrolled: 1-line block ×3, first 2 shown]
	s_waitcnt vmcnt(0) lgkmcnt(0)
	v_cmp_gt_i16_sdwa s[6:7], v14, s4 src0_sel:BYTE_0 src1_sel:DWORD
	s_mov_b64 s[4:5], 0
	s_and_saveexec_b64 s[8:9], s[6:7]
	s_xor_b64 s[6:7], exec, s[8:9]
	s_cbranch_execnz .LBB8_2561
; %bb.513:
	s_or_saveexec_b64 s[6:7], s[6:7]
	v_mov_b32_e32 v20, s10
	s_xor_b64 exec, exec, s[6:7]
	s_cbranch_execnz .LBB8_2564
.LBB8_514:
	s_or_b64 exec, exec, s[6:7]
	s_and_saveexec_b64 s[6:7], s[4:5]
	s_cbranch_execz .LBB8_516
.LBB8_515:
	v_and_b32_e32 v20, 7, v14
	v_ffbh_u32_e32 v22, v20
	v_min_u32_e32 v22, 32, v22
	v_lshrrev_b16_e32 v21, 3, v14
	v_subrev_u32_e32 v23, 28, v22
	v_and_b32_e32 v21, 15, v21
	v_lshlrev_b32_e32 v23, v23, v14
	v_sub_u32_e32 v22, 29, v22
	v_and_b32_e32 v23, 7, v23
	v_cmp_eq_u16_e32 vcc, 0, v21
	v_cndmask_b32_e32 v20, v20, v23, vcc
	v_cndmask_b32_e32 v21, v21, v22, vcc
	v_lshlrev_b32_e32 v22, 24, v14
	v_mov_b32_e32 v23, 0x3b800000
	v_lshlrev_b32_e32 v20, 20, v20
	v_and_b32_e32 v22, 0x80000000, v22
	v_lshl_add_u32 v21, v21, 23, v23
	v_or3_b32 v20, v22, v21, v20
.LBB8_516:
	s_or_b64 exec, exec, s[6:7]
	s_movk_i32 s4, 0x7f
	v_cmp_gt_i16_sdwa s[6:7], v10, s4 src0_sel:BYTE_0 src1_sel:DWORD
	s_mov_b64 s[4:5], 0
                                        ; implicit-def: $sgpr10
	s_and_saveexec_b64 s[8:9], s[6:7]
	s_xor_b64 s[6:7], exec, s[8:9]
	s_cbranch_execnz .LBB8_2565
; %bb.517:
	s_or_saveexec_b64 s[6:7], s[6:7]
	v_mov_b32_e32 v21, s10
	s_xor_b64 exec, exec, s[6:7]
	s_cbranch_execnz .LBB8_2568
.LBB8_518:
	s_or_b64 exec, exec, s[6:7]
	s_and_saveexec_b64 s[6:7], s[4:5]
	s_cbranch_execz .LBB8_520
.LBB8_519:
	v_and_b32_e32 v21, 7, v10
	v_ffbh_u32_e32 v23, v21
	v_min_u32_e32 v23, 32, v23
	v_lshrrev_b16_e32 v22, 3, v10
	v_subrev_u32_e32 v24, 28, v23
	v_and_b32_e32 v22, 15, v22
	v_lshlrev_b32_e32 v24, v24, v10
	v_sub_u32_e32 v23, 29, v23
	v_and_b32_e32 v24, 7, v24
	v_cmp_eq_u16_e32 vcc, 0, v22
	v_cndmask_b32_e32 v21, v21, v24, vcc
	v_cndmask_b32_e32 v22, v22, v23, vcc
	v_lshlrev_b32_e32 v23, 24, v10
	v_mov_b32_e32 v24, 0x3b800000
	v_lshlrev_b32_e32 v21, 20, v21
	v_and_b32_e32 v23, 0x80000000, v23
	v_lshl_add_u32 v22, v22, 23, v24
	v_or3_b32 v21, v23, v22, v21
.LBB8_520:
	s_or_b64 exec, exec, s[6:7]
	flat_load_dwordx4 a[0:3], v[18:19] offset:800
	s_movk_i32 s4, 0x7f
                                        ; implicit-def: $sgpr10
	s_waitcnt vmcnt(0) lgkmcnt(0)
	v_mfma_f32_16x16x4f32 a[0:3], v20, v21, a[0:3]
	v_lshrrev_b32_e32 v21, 8, v14
	v_cmp_gt_i16_sdwa s[6:7], v21, s4 src0_sel:BYTE_0 src1_sel:DWORD
	s_mov_b64 s[4:5], 0
	s_and_saveexec_b64 s[8:9], s[6:7]
	s_xor_b64 s[6:7], exec, s[8:9]
	s_cbranch_execnz .LBB8_2569
; %bb.521:
	s_or_saveexec_b64 s[6:7], s[6:7]
	v_mov_b32_e32 v20, s10
	s_xor_b64 exec, exec, s[6:7]
	s_cbranch_execnz .LBB8_2572
.LBB8_522:
	s_or_b64 exec, exec, s[6:7]
	s_and_saveexec_b64 s[6:7], s[4:5]
	s_cbranch_execz .LBB8_524
.LBB8_523:
	v_bfe_u32 v20, v14, 8, 3
	v_ffbh_u32_e32 v23, v20
	v_min_u32_e32 v23, 32, v23
	v_lshrrev_b16_e32 v22, 3, v21
	v_subrev_u32_e32 v24, 28, v23
	v_and_b32_e32 v22, 15, v22
	v_lshlrev_b32_e32 v21, v24, v21
	v_sub_u32_e32 v23, 29, v23
	v_and_b32_e32 v21, 7, v21
	v_cmp_eq_u16_e32 vcc, 0, v22
	v_cndmask_b32_e32 v20, v20, v21, vcc
	v_cndmask_b32_e32 v21, v22, v23, vcc
	v_lshlrev_b32_e32 v22, 16, v14
	v_mov_b32_e32 v23, 0x3b800000
	v_lshlrev_b32_e32 v20, 20, v20
	v_and_b32_e32 v22, 0x80000000, v22
	v_lshl_add_u32 v21, v21, 23, v23
	v_or3_b32 v20, v22, v21, v20
.LBB8_524:
	s_or_b64 exec, exec, s[6:7]
	v_lshrrev_b32_e32 v21, 8, v10
	s_movk_i32 s4, 0x7f
	v_cmp_gt_i16_sdwa s[6:7], v21, s4 src0_sel:BYTE_0 src1_sel:DWORD
	s_mov_b64 s[4:5], 0
                                        ; implicit-def: $sgpr10
	s_and_saveexec_b64 s[8:9], s[6:7]
	s_xor_b64 s[6:7], exec, s[8:9]
	s_cbranch_execnz .LBB8_2573
; %bb.525:
	s_or_saveexec_b64 s[6:7], s[6:7]
	v_mov_b32_e32 v22, s10
	s_xor_b64 exec, exec, s[6:7]
	s_cbranch_execnz .LBB8_2576
.LBB8_526:
	s_or_b64 exec, exec, s[6:7]
	s_and_saveexec_b64 s[6:7], s[4:5]
	s_cbranch_execz .LBB8_528
.LBB8_527:
	v_bfe_u32 v22, v10, 8, 3
	v_ffbh_u32_e32 v24, v22
	v_min_u32_e32 v24, 32, v24
	v_lshrrev_b16_e32 v23, 3, v21
	v_subrev_u32_e32 v25, 28, v24
	v_and_b32_e32 v23, 15, v23
	v_lshlrev_b32_e32 v21, v25, v21
	v_sub_u32_e32 v24, 29, v24
	v_and_b32_e32 v21, 7, v21
	v_cmp_eq_u16_e32 vcc, 0, v23
	v_cndmask_b32_e32 v21, v22, v21, vcc
	v_cndmask_b32_e32 v22, v23, v24, vcc
	v_lshlrev_b32_e32 v23, 16, v10
	v_mov_b32_e32 v24, 0x3b800000
	v_lshlrev_b32_e32 v21, 20, v21
	v_and_b32_e32 v23, 0x80000000, v23
	v_lshl_add_u32 v22, v22, 23, v24
	v_or3_b32 v22, v23, v22, v21
.LBB8_528:
	s_or_b64 exec, exec, s[6:7]
	s_nop 0
	v_mfma_f32_16x16x4f32 a[0:3], v20, v22, a[0:3]
	s_movk_i32 s4, 0xff
	v_and_b32_sdwa v21, v14, s4 dst_sel:DWORD dst_unused:UNUSED_PAD src0_sel:WORD_1 src1_sel:DWORD
	s_movk_i32 s4, 0x7f
	v_cmp_lt_i16_e32 vcc, s4, v21
	s_mov_b64 s[4:5], 0
                                        ; implicit-def: $sgpr10
	s_and_saveexec_b64 s[6:7], vcc
	s_xor_b64 s[6:7], exec, s[6:7]
	s_cbranch_execnz .LBB8_2577
; %bb.529:
	s_or_saveexec_b64 s[6:7], s[6:7]
	v_mov_b32_e32 v20, s10
	s_xor_b64 exec, exec, s[6:7]
	s_cbranch_execnz .LBB8_2580
.LBB8_530:
	s_or_b64 exec, exec, s[6:7]
	s_and_saveexec_b64 s[6:7], s[4:5]
	s_cbranch_execz .LBB8_532
.LBB8_531:
	v_bfe_u32 v20, v14, 16, 3
	v_ffbh_u32_e32 v23, v20
	v_min_u32_e32 v23, 32, v23
	v_lshrrev_b32_e32 v21, 19, v14
	v_subrev_u32_e32 v24, 28, v23
	v_and_b32_e32 v21, 15, v21
	v_lshlrev_b32_sdwa v24, v24, v14 dst_sel:DWORD dst_unused:UNUSED_PAD src0_sel:DWORD src1_sel:WORD_1
	v_bfe_u32 v22, v14, 19, 4
	v_sub_u32_e32 v23, 29, v23
	v_and_b32_e32 v24, 7, v24
	v_cmp_eq_u16_e32 vcc, 0, v21
	v_cndmask_b32_e32 v20, v20, v24, vcc
	v_cndmask_b32_e32 v21, v22, v23, vcc
	v_lshlrev_b32_e32 v22, 8, v14
	v_mov_b32_e32 v23, 0x3b800000
	v_lshlrev_b32_e32 v20, 20, v20
	v_and_b32_e32 v22, 0x80000000, v22
	v_lshl_add_u32 v21, v21, 23, v23
	v_or3_b32 v20, v22, v21, v20
.LBB8_532:
	s_or_b64 exec, exec, s[6:7]
	s_movk_i32 s4, 0xff
	v_and_b32_sdwa v21, v10, s4 dst_sel:DWORD dst_unused:UNUSED_PAD src0_sel:WORD_1 src1_sel:DWORD
	s_movk_i32 s4, 0x7f
	v_cmp_lt_i16_e32 vcc, s4, v21
	s_mov_b64 s[4:5], 0
                                        ; implicit-def: $sgpr10
	s_and_saveexec_b64 s[6:7], vcc
	s_xor_b64 s[6:7], exec, s[6:7]
	s_cbranch_execnz .LBB8_2581
; %bb.533:
	s_or_saveexec_b64 s[6:7], s[6:7]
	v_mov_b32_e32 v22, s10
	s_xor_b64 exec, exec, s[6:7]
	s_cbranch_execnz .LBB8_2584
.LBB8_534:
	s_or_b64 exec, exec, s[6:7]
	s_and_saveexec_b64 s[6:7], s[4:5]
	s_cbranch_execz .LBB8_536
.LBB8_535:
	v_bfe_u32 v21, v10, 16, 3
	v_ffbh_u32_e32 v24, v21
	v_min_u32_e32 v24, 32, v24
	v_lshrrev_b32_e32 v22, 19, v10
	v_subrev_u32_e32 v25, 28, v24
	v_and_b32_e32 v22, 15, v22
	v_lshlrev_b32_sdwa v25, v25, v10 dst_sel:DWORD dst_unused:UNUSED_PAD src0_sel:DWORD src1_sel:WORD_1
	v_bfe_u32 v23, v10, 19, 4
	v_sub_u32_e32 v24, 29, v24
	v_and_b32_e32 v25, 7, v25
	v_cmp_eq_u16_e32 vcc, 0, v22
	v_cndmask_b32_e32 v21, v21, v25, vcc
	v_cndmask_b32_e32 v22, v23, v24, vcc
	v_lshlrev_b32_e32 v23, 8, v10
	v_mov_b32_e32 v24, 0x3b800000
	v_lshlrev_b32_e32 v21, 20, v21
	v_and_b32_e32 v23, 0x80000000, v23
	v_lshl_add_u32 v22, v22, 23, v24
	v_or3_b32 v22, v23, v22, v21
.LBB8_536:
	s_or_b64 exec, exec, s[6:7]
	s_nop 0
	v_mfma_f32_16x16x4f32 a[0:3], v20, v22, a[0:3]
	s_movk_i32 s4, 0x7f
	v_cmp_gt_i16_sdwa s[6:7], v14, s4 src0_sel:BYTE_3 src1_sel:DWORD
	s_mov_b64 s[4:5], 0
                                        ; implicit-def: $sgpr10
	s_and_saveexec_b64 s[8:9], s[6:7]
	s_xor_b64 s[6:7], exec, s[8:9]
	s_cbranch_execnz .LBB8_2585
; %bb.537:
	s_or_saveexec_b64 s[6:7], s[6:7]
	v_mov_b32_e32 v20, s10
	s_xor_b64 exec, exec, s[6:7]
	s_cbranch_execnz .LBB8_2588
.LBB8_538:
	s_or_b64 exec, exec, s[6:7]
	s_and_saveexec_b64 s[6:7], s[4:5]
	s_cbranch_execz .LBB8_540
.LBB8_539:
	v_bfe_u32 v20, v14, 24, 3
	v_ffbh_u32_e32 v24, v20
	v_min_u32_e32 v24, 32, v24
	v_lshrrev_b32_e32 v22, 27, v14
	v_subrev_u32_e32 v25, 28, v24
	v_and_b32_e32 v21, 0x80000000, v14
	v_and_b32_e32 v22, 15, v22
	v_bfe_u32 v23, v14, 27, 4
	v_lshlrev_b32_sdwa v14, v25, v14 dst_sel:DWORD dst_unused:UNUSED_PAD src0_sel:DWORD src1_sel:BYTE_3
	v_sub_u32_e32 v24, 29, v24
	v_and_b32_e32 v14, 7, v14
	v_cmp_eq_u16_e32 vcc, 0, v22
	v_cndmask_b32_e32 v14, v20, v14, vcc
	v_cndmask_b32_e32 v20, v23, v24, vcc
	v_mov_b32_e32 v22, 0x3b800000
	v_lshlrev_b32_e32 v14, 20, v14
	v_lshl_add_u32 v20, v20, 23, v22
	v_or3_b32 v20, v21, v20, v14
.LBB8_540:
	s_or_b64 exec, exec, s[6:7]
	s_movk_i32 s4, 0x7f
	v_cmp_gt_i16_sdwa s[6:7], v10, s4 src0_sel:BYTE_3 src1_sel:DWORD
	s_mov_b64 s[4:5], 0
                                        ; implicit-def: $sgpr10
	s_and_saveexec_b64 s[8:9], s[6:7]
	s_xor_b64 s[6:7], exec, s[8:9]
	s_cbranch_execnz .LBB8_2589
; %bb.541:
	s_or_saveexec_b64 s[6:7], s[6:7]
	v_mov_b32_e32 v14, s10
	s_xor_b64 exec, exec, s[6:7]
	s_cbranch_execnz .LBB8_2592
.LBB8_542:
	s_or_b64 exec, exec, s[6:7]
	s_and_saveexec_b64 s[6:7], s[4:5]
	s_cbranch_execz .LBB8_544
.LBB8_543:
	v_bfe_u32 v14, v10, 24, 3
	v_ffbh_u32_e32 v24, v14
	v_min_u32_e32 v24, 32, v24
	v_lshrrev_b32_e32 v22, 27, v10
	v_subrev_u32_e32 v25, 28, v24
	v_and_b32_e32 v21, 0x80000000, v10
	v_and_b32_e32 v22, 15, v22
	v_bfe_u32 v23, v10, 27, 4
	v_lshlrev_b32_sdwa v10, v25, v10 dst_sel:DWORD dst_unused:UNUSED_PAD src0_sel:DWORD src1_sel:BYTE_3
	v_sub_u32_e32 v24, 29, v24
	v_and_b32_e32 v10, 7, v10
	v_cmp_eq_u16_e32 vcc, 0, v22
	v_cndmask_b32_e32 v10, v14, v10, vcc
	v_cndmask_b32_e32 v14, v23, v24, vcc
	v_mov_b32_e32 v22, 0x3b800000
	v_lshlrev_b32_e32 v10, 20, v10
	v_lshl_add_u32 v14, v14, 23, v22
	v_or3_b32 v14, v21, v14, v10
.LBB8_544:
	s_or_b64 exec, exec, s[6:7]
	s_nop 0
	v_mfma_f32_16x16x4f32 a[0:3], v20, v14, a[0:3]
	s_movk_i32 s4, 0x7f
	v_cmp_gt_i16_sdwa s[6:7], v15, s4 src0_sel:BYTE_0 src1_sel:DWORD
	s_mov_b64 s[4:5], 0
                                        ; implicit-def: $sgpr10
	s_and_saveexec_b64 s[8:9], s[6:7]
	s_xor_b64 s[6:7], exec, s[8:9]
	s_cbranch_execnz .LBB8_2593
; %bb.545:
	s_or_saveexec_b64 s[6:7], s[6:7]
	v_mov_b32_e32 v10, s10
	s_xor_b64 exec, exec, s[6:7]
	s_cbranch_execnz .LBB8_2596
.LBB8_546:
	s_or_b64 exec, exec, s[6:7]
	s_and_saveexec_b64 s[6:7], s[4:5]
	s_cbranch_execz .LBB8_548
.LBB8_547:
	v_and_b32_e32 v10, 7, v15
	v_ffbh_u32_e32 v20, v10
	v_min_u32_e32 v20, 32, v20
	v_lshrrev_b16_e32 v14, 3, v15
	v_subrev_u32_e32 v21, 28, v20
	v_and_b32_e32 v14, 15, v14
	v_lshlrev_b32_e32 v21, v21, v15
	v_sub_u32_e32 v20, 29, v20
	v_and_b32_e32 v21, 7, v21
	v_cmp_eq_u16_e32 vcc, 0, v14
	v_cndmask_b32_e32 v10, v10, v21, vcc
	v_cndmask_b32_e32 v14, v14, v20, vcc
	v_lshlrev_b32_e32 v20, 24, v15
	v_mov_b32_e32 v21, 0x3b800000
	v_lshlrev_b32_e32 v10, 20, v10
	v_and_b32_e32 v20, 0x80000000, v20
	v_lshl_add_u32 v14, v14, 23, v21
	v_or3_b32 v10, v20, v14, v10
.LBB8_548:
	s_or_b64 exec, exec, s[6:7]
	s_movk_i32 s4, 0x7f
	v_cmp_gt_i16_sdwa s[6:7], v11, s4 src0_sel:BYTE_0 src1_sel:DWORD
	s_mov_b64 s[4:5], 0
                                        ; implicit-def: $sgpr10
	s_and_saveexec_b64 s[8:9], s[6:7]
	s_xor_b64 s[6:7], exec, s[8:9]
	s_cbranch_execnz .LBB8_2597
; %bb.549:
	s_or_saveexec_b64 s[6:7], s[6:7]
	v_mov_b32_e32 v14, s10
	s_xor_b64 exec, exec, s[6:7]
	s_cbranch_execnz .LBB8_2600
.LBB8_550:
	s_or_b64 exec, exec, s[6:7]
	s_and_saveexec_b64 s[6:7], s[4:5]
	s_cbranch_execz .LBB8_552
.LBB8_551:
	v_and_b32_e32 v14, 7, v11
	v_ffbh_u32_e32 v21, v14
	v_min_u32_e32 v21, 32, v21
	v_lshrrev_b16_e32 v20, 3, v11
	v_subrev_u32_e32 v22, 28, v21
	v_and_b32_e32 v20, 15, v20
	v_lshlrev_b32_e32 v22, v22, v11
	v_sub_u32_e32 v21, 29, v21
	v_and_b32_e32 v22, 7, v22
	v_cmp_eq_u16_e32 vcc, 0, v20
	v_cndmask_b32_e32 v14, v14, v22, vcc
	v_cndmask_b32_e32 v20, v20, v21, vcc
	v_lshlrev_b32_e32 v21, 24, v11
	v_mov_b32_e32 v22, 0x3b800000
	v_lshlrev_b32_e32 v14, 20, v14
	v_and_b32_e32 v21, 0x80000000, v21
	v_lshl_add_u32 v20, v20, 23, v22
	v_or3_b32 v14, v21, v20, v14
.LBB8_552:
	s_or_b64 exec, exec, s[6:7]
	s_nop 0
	v_mfma_f32_16x16x4f32 a[0:3], v10, v14, a[0:3]
	v_lshrrev_b32_e32 v14, 8, v15
	s_movk_i32 s4, 0x7f
	v_cmp_gt_i16_sdwa s[6:7], v14, s4 src0_sel:BYTE_0 src1_sel:DWORD
	s_mov_b64 s[4:5], 0
                                        ; implicit-def: $sgpr10
	s_and_saveexec_b64 s[8:9], s[6:7]
	s_xor_b64 s[6:7], exec, s[8:9]
	s_cbranch_execnz .LBB8_2601
; %bb.553:
	s_or_saveexec_b64 s[6:7], s[6:7]
	v_mov_b32_e32 v10, s10
	s_xor_b64 exec, exec, s[6:7]
	s_cbranch_execnz .LBB8_2604
.LBB8_554:
	s_or_b64 exec, exec, s[6:7]
	s_and_saveexec_b64 s[6:7], s[4:5]
	s_cbranch_execz .LBB8_556
.LBB8_555:
	v_bfe_u32 v10, v15, 8, 3
	v_ffbh_u32_e32 v21, v10
	v_min_u32_e32 v21, 32, v21
	v_lshrrev_b16_e32 v20, 3, v14
	v_subrev_u32_e32 v22, 28, v21
	v_and_b32_e32 v20, 15, v20
	v_lshlrev_b32_e32 v14, v22, v14
	v_sub_u32_e32 v21, 29, v21
	v_and_b32_e32 v14, 7, v14
	v_cmp_eq_u16_e32 vcc, 0, v20
	v_cndmask_b32_e32 v10, v10, v14, vcc
	v_cndmask_b32_e32 v14, v20, v21, vcc
	v_lshlrev_b32_e32 v20, 16, v15
	v_mov_b32_e32 v21, 0x3b800000
	v_lshlrev_b32_e32 v10, 20, v10
	v_and_b32_e32 v20, 0x80000000, v20
	v_lshl_add_u32 v14, v14, 23, v21
	v_or3_b32 v10, v20, v14, v10
.LBB8_556:
	s_or_b64 exec, exec, s[6:7]
	v_lshrrev_b32_e32 v14, 8, v11
	s_movk_i32 s4, 0x7f
	v_cmp_gt_i16_sdwa s[6:7], v14, s4 src0_sel:BYTE_0 src1_sel:DWORD
	s_mov_b64 s[4:5], 0
                                        ; implicit-def: $sgpr10
	s_and_saveexec_b64 s[8:9], s[6:7]
	s_xor_b64 s[6:7], exec, s[8:9]
	s_cbranch_execnz .LBB8_2605
; %bb.557:
	s_or_saveexec_b64 s[6:7], s[6:7]
	v_mov_b32_e32 v20, s10
	s_xor_b64 exec, exec, s[6:7]
	s_cbranch_execnz .LBB8_2608
.LBB8_558:
	s_or_b64 exec, exec, s[6:7]
	s_and_saveexec_b64 s[6:7], s[4:5]
	s_cbranch_execz .LBB8_560
.LBB8_559:
	v_bfe_u32 v20, v11, 8, 3
	v_ffbh_u32_e32 v22, v20
	v_min_u32_e32 v22, 32, v22
	v_lshrrev_b16_e32 v21, 3, v14
	v_subrev_u32_e32 v23, 28, v22
	v_and_b32_e32 v21, 15, v21
	v_lshlrev_b32_e32 v14, v23, v14
	v_sub_u32_e32 v22, 29, v22
	v_and_b32_e32 v14, 7, v14
	v_cmp_eq_u16_e32 vcc, 0, v21
	v_cndmask_b32_e32 v14, v20, v14, vcc
	v_cndmask_b32_e32 v20, v21, v22, vcc
	v_lshlrev_b32_e32 v21, 16, v11
	v_mov_b32_e32 v22, 0x3b800000
	v_lshlrev_b32_e32 v14, 20, v14
	v_and_b32_e32 v21, 0x80000000, v21
	v_lshl_add_u32 v20, v20, 23, v22
	v_or3_b32 v20, v21, v20, v14
.LBB8_560:
	s_or_b64 exec, exec, s[6:7]
	s_nop 0
	v_mfma_f32_16x16x4f32 a[0:3], v10, v20, a[0:3]
	s_movk_i32 s4, 0xff
	v_and_b32_sdwa v14, v15, s4 dst_sel:DWORD dst_unused:UNUSED_PAD src0_sel:WORD_1 src1_sel:DWORD
	s_movk_i32 s4, 0x7f
	v_cmp_lt_i16_e32 vcc, s4, v14
	s_mov_b64 s[4:5], 0
                                        ; implicit-def: $sgpr10
	s_and_saveexec_b64 s[6:7], vcc
	s_xor_b64 s[6:7], exec, s[6:7]
	s_cbranch_execnz .LBB8_2609
; %bb.561:
	s_or_saveexec_b64 s[6:7], s[6:7]
	v_mov_b32_e32 v10, s10
	s_xor_b64 exec, exec, s[6:7]
	s_cbranch_execnz .LBB8_2612
.LBB8_562:
	s_or_b64 exec, exec, s[6:7]
	s_and_saveexec_b64 s[6:7], s[4:5]
	s_cbranch_execz .LBB8_564
.LBB8_563:
	v_bfe_u32 v10, v15, 16, 3
	v_ffbh_u32_e32 v21, v10
	v_min_u32_e32 v21, 32, v21
	v_lshrrev_b32_e32 v14, 19, v15
	v_subrev_u32_e32 v22, 28, v21
	v_and_b32_e32 v14, 15, v14
	v_lshlrev_b32_sdwa v22, v22, v15 dst_sel:DWORD dst_unused:UNUSED_PAD src0_sel:DWORD src1_sel:WORD_1
	v_bfe_u32 v20, v15, 19, 4
	v_sub_u32_e32 v21, 29, v21
	v_and_b32_e32 v22, 7, v22
	v_cmp_eq_u16_e32 vcc, 0, v14
	v_cndmask_b32_e32 v10, v10, v22, vcc
	v_cndmask_b32_e32 v14, v20, v21, vcc
	v_lshlrev_b32_e32 v20, 8, v15
	v_mov_b32_e32 v21, 0x3b800000
	v_lshlrev_b32_e32 v10, 20, v10
	v_and_b32_e32 v20, 0x80000000, v20
	v_lshl_add_u32 v14, v14, 23, v21
	v_or3_b32 v10, v20, v14, v10
.LBB8_564:
	s_or_b64 exec, exec, s[6:7]
	s_movk_i32 s4, 0xff
	v_and_b32_sdwa v14, v11, s4 dst_sel:DWORD dst_unused:UNUSED_PAD src0_sel:WORD_1 src1_sel:DWORD
	s_movk_i32 s4, 0x7f
	v_cmp_lt_i16_e32 vcc, s4, v14
	s_mov_b64 s[4:5], 0
                                        ; implicit-def: $sgpr10
	s_and_saveexec_b64 s[6:7], vcc
	s_xor_b64 s[6:7], exec, s[6:7]
	s_cbranch_execnz .LBB8_2613
; %bb.565:
	s_or_saveexec_b64 s[6:7], s[6:7]
	v_mov_b32_e32 v20, s10
	s_xor_b64 exec, exec, s[6:7]
	s_cbranch_execnz .LBB8_2616
.LBB8_566:
	s_or_b64 exec, exec, s[6:7]
	s_and_saveexec_b64 s[6:7], s[4:5]
	s_cbranch_execz .LBB8_568
.LBB8_567:
	v_bfe_u32 v14, v11, 16, 3
	v_ffbh_u32_e32 v22, v14
	v_min_u32_e32 v22, 32, v22
	v_lshrrev_b32_e32 v20, 19, v11
	v_subrev_u32_e32 v23, 28, v22
	v_and_b32_e32 v20, 15, v20
	v_lshlrev_b32_sdwa v23, v23, v11 dst_sel:DWORD dst_unused:UNUSED_PAD src0_sel:DWORD src1_sel:WORD_1
	v_bfe_u32 v21, v11, 19, 4
	v_sub_u32_e32 v22, 29, v22
	v_and_b32_e32 v23, 7, v23
	v_cmp_eq_u16_e32 vcc, 0, v20
	v_cndmask_b32_e32 v14, v14, v23, vcc
	v_cndmask_b32_e32 v20, v21, v22, vcc
	v_lshlrev_b32_e32 v21, 8, v11
	v_mov_b32_e32 v22, 0x3b800000
	v_lshlrev_b32_e32 v14, 20, v14
	v_and_b32_e32 v21, 0x80000000, v21
	v_lshl_add_u32 v20, v20, 23, v22
	v_or3_b32 v20, v21, v20, v14
.LBB8_568:
	s_or_b64 exec, exec, s[6:7]
	s_nop 0
	v_mfma_f32_16x16x4f32 a[0:3], v10, v20, a[0:3]
	s_movk_i32 s4, 0x7f
	v_cmp_gt_i16_sdwa s[6:7], v15, s4 src0_sel:BYTE_3 src1_sel:DWORD
	s_mov_b64 s[4:5], 0
                                        ; implicit-def: $sgpr10
	s_and_saveexec_b64 s[8:9], s[6:7]
	s_xor_b64 s[6:7], exec, s[8:9]
	s_cbranch_execnz .LBB8_2617
; %bb.569:
	s_or_saveexec_b64 s[6:7], s[6:7]
	v_mov_b32_e32 v10, s10
	s_xor_b64 exec, exec, s[6:7]
	s_cbranch_execnz .LBB8_2620
.LBB8_570:
	s_or_b64 exec, exec, s[6:7]
	s_and_saveexec_b64 s[6:7], s[4:5]
	s_cbranch_execz .LBB8_572
.LBB8_571:
	v_bfe_u32 v10, v15, 24, 3
	v_ffbh_u32_e32 v22, v10
	v_min_u32_e32 v22, 32, v22
	v_lshrrev_b32_e32 v20, 27, v15
	v_subrev_u32_e32 v23, 28, v22
	v_and_b32_e32 v14, 0x80000000, v15
	v_and_b32_e32 v20, 15, v20
	v_bfe_u32 v21, v15, 27, 4
	v_lshlrev_b32_sdwa v15, v23, v15 dst_sel:DWORD dst_unused:UNUSED_PAD src0_sel:DWORD src1_sel:BYTE_3
	v_sub_u32_e32 v22, 29, v22
	v_and_b32_e32 v15, 7, v15
	v_cmp_eq_u16_e32 vcc, 0, v20
	v_cndmask_b32_e32 v10, v10, v15, vcc
	v_cndmask_b32_e32 v15, v21, v22, vcc
	v_mov_b32_e32 v20, 0x3b800000
	v_lshlrev_b32_e32 v10, 20, v10
	v_lshl_add_u32 v15, v15, 23, v20
	v_or3_b32 v10, v14, v15, v10
.LBB8_572:
	s_or_b64 exec, exec, s[6:7]
	s_movk_i32 s4, 0x7f
	v_cmp_gt_i16_sdwa s[6:7], v11, s4 src0_sel:BYTE_3 src1_sel:DWORD
	s_mov_b64 s[4:5], 0
                                        ; implicit-def: $sgpr10
	s_and_saveexec_b64 s[8:9], s[6:7]
	s_xor_b64 s[6:7], exec, s[8:9]
	s_cbranch_execnz .LBB8_2621
; %bb.573:
	s_or_saveexec_b64 s[6:7], s[6:7]
	v_mov_b32_e32 v14, s10
	s_xor_b64 exec, exec, s[6:7]
	s_cbranch_execnz .LBB8_2624
.LBB8_574:
	s_or_b64 exec, exec, s[6:7]
	s_and_saveexec_b64 s[6:7], s[4:5]
	s_cbranch_execz .LBB8_576
.LBB8_575:
	v_bfe_u32 v14, v11, 24, 3
	v_ffbh_u32_e32 v22, v14
	v_min_u32_e32 v22, 32, v22
	v_lshrrev_b32_e32 v20, 27, v11
	v_subrev_u32_e32 v23, 28, v22
	v_and_b32_e32 v15, 0x80000000, v11
	v_and_b32_e32 v20, 15, v20
	v_bfe_u32 v21, v11, 27, 4
	v_lshlrev_b32_sdwa v11, v23, v11 dst_sel:DWORD dst_unused:UNUSED_PAD src0_sel:DWORD src1_sel:BYTE_3
	v_sub_u32_e32 v22, 29, v22
	v_and_b32_e32 v11, 7, v11
	v_cmp_eq_u16_e32 vcc, 0, v20
	v_cndmask_b32_e32 v11, v14, v11, vcc
	v_cndmask_b32_e32 v14, v21, v22, vcc
	v_mov_b32_e32 v20, 0x3b800000
	v_lshlrev_b32_e32 v11, 20, v11
	v_lshl_add_u32 v14, v14, 23, v20
	v_or3_b32 v14, v15, v14, v11
.LBB8_576:
	s_or_b64 exec, exec, s[6:7]
	s_nop 0
	v_mfma_f32_16x16x4f32 a[0:3], v10, v14, a[0:3]
	s_movk_i32 s4, 0x7f
	v_cmp_gt_i16_sdwa s[6:7], v16, s4 src0_sel:BYTE_0 src1_sel:DWORD
	s_mov_b64 s[4:5], 0
                                        ; implicit-def: $sgpr10
	s_and_saveexec_b64 s[8:9], s[6:7]
	s_xor_b64 s[6:7], exec, s[8:9]
	s_cbranch_execnz .LBB8_2625
; %bb.577:
	s_or_saveexec_b64 s[6:7], s[6:7]
	v_mov_b32_e32 v10, s10
	s_xor_b64 exec, exec, s[6:7]
	s_cbranch_execnz .LBB8_2628
.LBB8_578:
	s_or_b64 exec, exec, s[6:7]
	s_and_saveexec_b64 s[6:7], s[4:5]
	s_cbranch_execz .LBB8_580
.LBB8_579:
	v_and_b32_e32 v10, 7, v16
	v_ffbh_u32_e32 v14, v10
	v_min_u32_e32 v14, 32, v14
	v_lshrrev_b16_e32 v11, 3, v16
	v_subrev_u32_e32 v15, 28, v14
	v_and_b32_e32 v11, 15, v11
	v_lshlrev_b32_e32 v15, v15, v16
	v_sub_u32_e32 v14, 29, v14
	v_and_b32_e32 v15, 7, v15
	v_cmp_eq_u16_e32 vcc, 0, v11
	v_cndmask_b32_e32 v10, v10, v15, vcc
	v_cndmask_b32_e32 v11, v11, v14, vcc
	v_lshlrev_b32_e32 v14, 24, v16
	v_mov_b32_e32 v15, 0x3b800000
	v_lshlrev_b32_e32 v10, 20, v10
	v_and_b32_e32 v14, 0x80000000, v14
	v_lshl_add_u32 v11, v11, 23, v15
	v_or3_b32 v10, v14, v11, v10
.LBB8_580:
	s_or_b64 exec, exec, s[6:7]
	s_movk_i32 s4, 0x7f
	v_cmp_gt_i16_sdwa s[6:7], v12, s4 src0_sel:BYTE_0 src1_sel:DWORD
	s_mov_b64 s[4:5], 0
                                        ; implicit-def: $sgpr10
	s_and_saveexec_b64 s[8:9], s[6:7]
	s_xor_b64 s[6:7], exec, s[8:9]
	s_cbranch_execnz .LBB8_2629
; %bb.581:
	s_or_saveexec_b64 s[6:7], s[6:7]
	v_mov_b32_e32 v11, s10
	s_xor_b64 exec, exec, s[6:7]
	s_cbranch_execnz .LBB8_2632
.LBB8_582:
	s_or_b64 exec, exec, s[6:7]
	s_and_saveexec_b64 s[6:7], s[4:5]
	s_cbranch_execz .LBB8_584
.LBB8_583:
	v_and_b32_e32 v11, 7, v12
	v_ffbh_u32_e32 v15, v11
	v_min_u32_e32 v15, 32, v15
	v_lshrrev_b16_e32 v14, 3, v12
	v_subrev_u32_e32 v20, 28, v15
	v_and_b32_e32 v14, 15, v14
	v_lshlrev_b32_e32 v20, v20, v12
	v_sub_u32_e32 v15, 29, v15
	v_and_b32_e32 v20, 7, v20
	v_cmp_eq_u16_e32 vcc, 0, v14
	v_cndmask_b32_e32 v11, v11, v20, vcc
	v_cndmask_b32_e32 v14, v14, v15, vcc
	v_lshlrev_b32_e32 v15, 24, v12
	v_mov_b32_e32 v20, 0x3b800000
	v_lshlrev_b32_e32 v11, 20, v11
	v_and_b32_e32 v15, 0x80000000, v15
	v_lshl_add_u32 v14, v14, 23, v20
	v_or3_b32 v11, v15, v14, v11
.LBB8_584:
	s_or_b64 exec, exec, s[6:7]
	s_nop 0
	v_mfma_f32_16x16x4f32 a[0:3], v10, v11, a[0:3]
	v_lshrrev_b32_e32 v11, 8, v16
	s_movk_i32 s4, 0x7f
	v_cmp_gt_i16_sdwa s[6:7], v11, s4 src0_sel:BYTE_0 src1_sel:DWORD
	s_mov_b64 s[4:5], 0
                                        ; implicit-def: $sgpr10
	s_and_saveexec_b64 s[8:9], s[6:7]
	s_xor_b64 s[6:7], exec, s[8:9]
	s_cbranch_execnz .LBB8_2633
; %bb.585:
	s_or_saveexec_b64 s[6:7], s[6:7]
	v_mov_b32_e32 v10, s10
	s_xor_b64 exec, exec, s[6:7]
	s_cbranch_execnz .LBB8_2636
.LBB8_586:
	s_or_b64 exec, exec, s[6:7]
	s_and_saveexec_b64 s[6:7], s[4:5]
	s_cbranch_execz .LBB8_588
.LBB8_587:
	v_bfe_u32 v10, v16, 8, 3
	v_ffbh_u32_e32 v15, v10
	v_min_u32_e32 v15, 32, v15
	v_lshrrev_b16_e32 v14, 3, v11
	v_subrev_u32_e32 v20, 28, v15
	v_and_b32_e32 v14, 15, v14
	v_lshlrev_b32_e32 v11, v20, v11
	v_sub_u32_e32 v15, 29, v15
	v_and_b32_e32 v11, 7, v11
	v_cmp_eq_u16_e32 vcc, 0, v14
	v_cndmask_b32_e32 v10, v10, v11, vcc
	v_cndmask_b32_e32 v11, v14, v15, vcc
	v_lshlrev_b32_e32 v14, 16, v16
	v_mov_b32_e32 v15, 0x3b800000
	v_lshlrev_b32_e32 v10, 20, v10
	v_and_b32_e32 v14, 0x80000000, v14
	v_lshl_add_u32 v11, v11, 23, v15
	v_or3_b32 v10, v14, v11, v10
.LBB8_588:
	s_or_b64 exec, exec, s[6:7]
	v_lshrrev_b32_e32 v11, 8, v12
	s_movk_i32 s4, 0x7f
	v_cmp_gt_i16_sdwa s[6:7], v11, s4 src0_sel:BYTE_0 src1_sel:DWORD
	s_mov_b64 s[4:5], 0
                                        ; implicit-def: $sgpr10
	s_and_saveexec_b64 s[8:9], s[6:7]
	s_xor_b64 s[6:7], exec, s[8:9]
	s_cbranch_execnz .LBB8_2637
; %bb.589:
	s_or_saveexec_b64 s[6:7], s[6:7]
	v_mov_b32_e32 v14, s10
	s_xor_b64 exec, exec, s[6:7]
	s_cbranch_execnz .LBB8_2640
.LBB8_590:
	s_or_b64 exec, exec, s[6:7]
	s_and_saveexec_b64 s[6:7], s[4:5]
	s_cbranch_execz .LBB8_592
.LBB8_591:
	v_bfe_u32 v14, v12, 8, 3
	v_ffbh_u32_e32 v20, v14
	v_min_u32_e32 v20, 32, v20
	v_lshrrev_b16_e32 v15, 3, v11
	v_subrev_u32_e32 v21, 28, v20
	v_and_b32_e32 v15, 15, v15
	v_lshlrev_b32_e32 v11, v21, v11
	v_sub_u32_e32 v20, 29, v20
	v_and_b32_e32 v11, 7, v11
	v_cmp_eq_u16_e32 vcc, 0, v15
	v_cndmask_b32_e32 v11, v14, v11, vcc
	v_cndmask_b32_e32 v14, v15, v20, vcc
	v_lshlrev_b32_e32 v15, 16, v12
	v_mov_b32_e32 v20, 0x3b800000
	v_lshlrev_b32_e32 v11, 20, v11
	v_and_b32_e32 v15, 0x80000000, v15
	v_lshl_add_u32 v14, v14, 23, v20
	v_or3_b32 v14, v15, v14, v11
.LBB8_592:
	s_or_b64 exec, exec, s[6:7]
	s_nop 0
	v_mfma_f32_16x16x4f32 a[0:3], v10, v14, a[0:3]
	s_movk_i32 s4, 0xff
	v_and_b32_sdwa v11, v16, s4 dst_sel:DWORD dst_unused:UNUSED_PAD src0_sel:WORD_1 src1_sel:DWORD
	s_movk_i32 s4, 0x7f
	v_cmp_lt_i16_e32 vcc, s4, v11
	s_mov_b64 s[4:5], 0
                                        ; implicit-def: $sgpr10
	s_and_saveexec_b64 s[6:7], vcc
	s_xor_b64 s[6:7], exec, s[6:7]
	s_cbranch_execnz .LBB8_2641
; %bb.593:
	s_or_saveexec_b64 s[6:7], s[6:7]
	v_mov_b32_e32 v10, s10
	s_xor_b64 exec, exec, s[6:7]
	s_cbranch_execnz .LBB8_2644
.LBB8_594:
	s_or_b64 exec, exec, s[6:7]
	s_and_saveexec_b64 s[6:7], s[4:5]
	s_cbranch_execz .LBB8_596
.LBB8_595:
	v_bfe_u32 v10, v16, 16, 3
	v_ffbh_u32_e32 v15, v10
	v_min_u32_e32 v15, 32, v15
	v_lshrrev_b32_e32 v11, 19, v16
	v_subrev_u32_e32 v20, 28, v15
	v_and_b32_e32 v11, 15, v11
	v_lshlrev_b32_sdwa v20, v20, v16 dst_sel:DWORD dst_unused:UNUSED_PAD src0_sel:DWORD src1_sel:WORD_1
	v_bfe_u32 v14, v16, 19, 4
	v_sub_u32_e32 v15, 29, v15
	v_and_b32_e32 v20, 7, v20
	v_cmp_eq_u16_e32 vcc, 0, v11
	v_cndmask_b32_e32 v10, v10, v20, vcc
	v_cndmask_b32_e32 v11, v14, v15, vcc
	v_lshlrev_b32_e32 v14, 8, v16
	v_mov_b32_e32 v15, 0x3b800000
	v_lshlrev_b32_e32 v10, 20, v10
	v_and_b32_e32 v14, 0x80000000, v14
	v_lshl_add_u32 v11, v11, 23, v15
	v_or3_b32 v10, v14, v11, v10
.LBB8_596:
	s_or_b64 exec, exec, s[6:7]
	s_movk_i32 s4, 0xff
	v_and_b32_sdwa v11, v12, s4 dst_sel:DWORD dst_unused:UNUSED_PAD src0_sel:WORD_1 src1_sel:DWORD
	s_movk_i32 s4, 0x7f
	v_cmp_lt_i16_e32 vcc, s4, v11
	s_mov_b64 s[4:5], 0
                                        ; implicit-def: $sgpr10
	s_and_saveexec_b64 s[6:7], vcc
	s_xor_b64 s[6:7], exec, s[6:7]
	s_cbranch_execnz .LBB8_2645
; %bb.597:
	s_or_saveexec_b64 s[6:7], s[6:7]
	v_mov_b32_e32 v14, s10
	s_xor_b64 exec, exec, s[6:7]
	s_cbranch_execnz .LBB8_2648
.LBB8_598:
	s_or_b64 exec, exec, s[6:7]
	s_and_saveexec_b64 s[6:7], s[4:5]
	s_cbranch_execz .LBB8_600
.LBB8_599:
	v_bfe_u32 v11, v12, 16, 3
	v_ffbh_u32_e32 v20, v11
	v_min_u32_e32 v20, 32, v20
	v_lshrrev_b32_e32 v14, 19, v12
	v_subrev_u32_e32 v21, 28, v20
	v_and_b32_e32 v14, 15, v14
	v_lshlrev_b32_sdwa v21, v21, v12 dst_sel:DWORD dst_unused:UNUSED_PAD src0_sel:DWORD src1_sel:WORD_1
	v_bfe_u32 v15, v12, 19, 4
	v_sub_u32_e32 v20, 29, v20
	v_and_b32_e32 v21, 7, v21
	v_cmp_eq_u16_e32 vcc, 0, v14
	v_cndmask_b32_e32 v11, v11, v21, vcc
	v_cndmask_b32_e32 v14, v15, v20, vcc
	v_lshlrev_b32_e32 v15, 8, v12
	v_mov_b32_e32 v20, 0x3b800000
	v_lshlrev_b32_e32 v11, 20, v11
	v_and_b32_e32 v15, 0x80000000, v15
	v_lshl_add_u32 v14, v14, 23, v20
	v_or3_b32 v14, v15, v14, v11
.LBB8_600:
	s_or_b64 exec, exec, s[6:7]
	s_nop 0
	v_mfma_f32_16x16x4f32 a[0:3], v10, v14, a[0:3]
	s_movk_i32 s4, 0x7f
	v_cmp_gt_i16_sdwa s[6:7], v16, s4 src0_sel:BYTE_3 src1_sel:DWORD
	s_mov_b64 s[4:5], 0
                                        ; implicit-def: $sgpr10
	s_and_saveexec_b64 s[8:9], s[6:7]
	s_xor_b64 s[6:7], exec, s[8:9]
	s_cbranch_execnz .LBB8_2649
; %bb.601:
	s_or_saveexec_b64 s[6:7], s[6:7]
	v_mov_b32_e32 v10, s10
	s_xor_b64 exec, exec, s[6:7]
	s_cbranch_execnz .LBB8_2652
.LBB8_602:
	s_or_b64 exec, exec, s[6:7]
	s_and_saveexec_b64 s[6:7], s[4:5]
	s_cbranch_execz .LBB8_604
.LBB8_603:
	v_bfe_u32 v10, v16, 24, 3
	v_ffbh_u32_e32 v20, v10
	v_min_u32_e32 v20, 32, v20
	v_lshrrev_b32_e32 v14, 27, v16
	v_subrev_u32_e32 v21, 28, v20
	v_and_b32_e32 v11, 0x80000000, v16
	v_and_b32_e32 v14, 15, v14
	v_bfe_u32 v15, v16, 27, 4
	v_lshlrev_b32_sdwa v16, v21, v16 dst_sel:DWORD dst_unused:UNUSED_PAD src0_sel:DWORD src1_sel:BYTE_3
	v_sub_u32_e32 v20, 29, v20
	v_and_b32_e32 v16, 7, v16
	v_cmp_eq_u16_e32 vcc, 0, v14
	v_cndmask_b32_e32 v10, v10, v16, vcc
	v_cndmask_b32_e32 v14, v15, v20, vcc
	v_mov_b32_e32 v15, 0x3b800000
	v_lshlrev_b32_e32 v10, 20, v10
	v_lshl_add_u32 v14, v14, 23, v15
	v_or3_b32 v10, v11, v14, v10
.LBB8_604:
	s_or_b64 exec, exec, s[6:7]
	s_movk_i32 s4, 0x7f
	v_cmp_gt_i16_sdwa s[6:7], v12, s4 src0_sel:BYTE_3 src1_sel:DWORD
	s_mov_b64 s[4:5], 0
                                        ; implicit-def: $sgpr10
	s_and_saveexec_b64 s[8:9], s[6:7]
	s_xor_b64 s[6:7], exec, s[8:9]
	s_cbranch_execnz .LBB8_2653
; %bb.605:
	s_or_saveexec_b64 s[6:7], s[6:7]
	v_mov_b32_e32 v11, s10
	s_xor_b64 exec, exec, s[6:7]
	s_cbranch_execnz .LBB8_2656
.LBB8_606:
	s_or_b64 exec, exec, s[6:7]
	s_and_saveexec_b64 s[6:7], s[4:5]
	s_cbranch_execz .LBB8_608
.LBB8_607:
	v_bfe_u32 v11, v12, 24, 3
	v_ffbh_u32_e32 v20, v11
	v_min_u32_e32 v20, 32, v20
	v_lshrrev_b32_e32 v15, 27, v12
	v_subrev_u32_e32 v21, 28, v20
	v_and_b32_e32 v14, 0x80000000, v12
	v_and_b32_e32 v15, 15, v15
	v_bfe_u32 v16, v12, 27, 4
	v_lshlrev_b32_sdwa v12, v21, v12 dst_sel:DWORD dst_unused:UNUSED_PAD src0_sel:DWORD src1_sel:BYTE_3
	v_sub_u32_e32 v20, 29, v20
	v_and_b32_e32 v12, 7, v12
	v_cmp_eq_u16_e32 vcc, 0, v15
	v_cndmask_b32_e32 v11, v11, v12, vcc
	v_cndmask_b32_e32 v12, v16, v20, vcc
	v_mov_b32_e32 v15, 0x3b800000
	v_lshlrev_b32_e32 v11, 20, v11
	v_lshl_add_u32 v12, v12, 23, v15
	v_or3_b32 v11, v14, v12, v11
.LBB8_608:
	s_or_b64 exec, exec, s[6:7]
	s_nop 0
	v_mfma_f32_16x16x4f32 a[0:3], v10, v11, a[0:3]
	s_movk_i32 s4, 0x7f
	v_cmp_gt_i16_sdwa s[6:7], v17, s4 src0_sel:BYTE_0 src1_sel:DWORD
	s_mov_b64 s[4:5], 0
                                        ; implicit-def: $sgpr10
	s_and_saveexec_b64 s[8:9], s[6:7]
	s_xor_b64 s[6:7], exec, s[8:9]
	s_cbranch_execnz .LBB8_2657
; %bb.609:
	s_or_saveexec_b64 s[6:7], s[6:7]
	v_mov_b32_e32 v10, s10
	s_xor_b64 exec, exec, s[6:7]
	s_cbranch_execnz .LBB8_2660
.LBB8_610:
	s_or_b64 exec, exec, s[6:7]
	s_and_saveexec_b64 s[6:7], s[4:5]
	s_cbranch_execz .LBB8_612
.LBB8_611:
	v_and_b32_e32 v10, 7, v17
	v_ffbh_u32_e32 v12, v10
	v_min_u32_e32 v12, 32, v12
	v_lshrrev_b16_e32 v11, 3, v17
	v_subrev_u32_e32 v14, 28, v12
	v_and_b32_e32 v11, 15, v11
	v_lshlrev_b32_e32 v14, v14, v17
	v_sub_u32_e32 v12, 29, v12
	v_and_b32_e32 v14, 7, v14
	v_cmp_eq_u16_e32 vcc, 0, v11
	v_cndmask_b32_e32 v10, v10, v14, vcc
	v_cndmask_b32_e32 v11, v11, v12, vcc
	v_lshlrev_b32_e32 v12, 24, v17
	v_mov_b32_e32 v14, 0x3b800000
	v_lshlrev_b32_e32 v10, 20, v10
	v_and_b32_e32 v12, 0x80000000, v12
	v_lshl_add_u32 v11, v11, 23, v14
	v_or3_b32 v10, v12, v11, v10
.LBB8_612:
	s_or_b64 exec, exec, s[6:7]
	s_movk_i32 s4, 0x7f
	v_cmp_gt_i16_sdwa s[6:7], v13, s4 src0_sel:BYTE_0 src1_sel:DWORD
	s_mov_b64 s[4:5], 0
                                        ; implicit-def: $sgpr10
	s_and_saveexec_b64 s[8:9], s[6:7]
	s_xor_b64 s[6:7], exec, s[8:9]
	s_cbranch_execnz .LBB8_2661
; %bb.613:
	s_or_saveexec_b64 s[6:7], s[6:7]
	v_mov_b32_e32 v11, s10
	s_xor_b64 exec, exec, s[6:7]
	s_cbranch_execnz .LBB8_2664
.LBB8_614:
	s_or_b64 exec, exec, s[6:7]
	s_and_saveexec_b64 s[6:7], s[4:5]
	s_cbranch_execz .LBB8_616
.LBB8_615:
	v_and_b32_e32 v11, 7, v13
	v_ffbh_u32_e32 v14, v11
	v_min_u32_e32 v14, 32, v14
	v_lshrrev_b16_e32 v12, 3, v13
	v_subrev_u32_e32 v15, 28, v14
	v_and_b32_e32 v12, 15, v12
	v_lshlrev_b32_e32 v15, v15, v13
	v_sub_u32_e32 v14, 29, v14
	v_and_b32_e32 v15, 7, v15
	v_cmp_eq_u16_e32 vcc, 0, v12
	v_cndmask_b32_e32 v11, v11, v15, vcc
	v_cndmask_b32_e32 v12, v12, v14, vcc
	v_lshlrev_b32_e32 v14, 24, v13
	v_mov_b32_e32 v15, 0x3b800000
	v_lshlrev_b32_e32 v11, 20, v11
	v_and_b32_e32 v14, 0x80000000, v14
	v_lshl_add_u32 v12, v12, 23, v15
	v_or3_b32 v11, v14, v12, v11
.LBB8_616:
	s_or_b64 exec, exec, s[6:7]
	s_nop 0
	v_mfma_f32_16x16x4f32 a[0:3], v10, v11, a[0:3]
	v_lshrrev_b32_e32 v11, 8, v17
	s_movk_i32 s4, 0x7f
	v_cmp_gt_i16_sdwa s[6:7], v11, s4 src0_sel:BYTE_0 src1_sel:DWORD
	s_mov_b64 s[4:5], 0
                                        ; implicit-def: $sgpr10
	s_and_saveexec_b64 s[8:9], s[6:7]
	s_xor_b64 s[6:7], exec, s[8:9]
	s_cbranch_execnz .LBB8_2665
; %bb.617:
	s_or_saveexec_b64 s[6:7], s[6:7]
	v_mov_b32_e32 v10, s10
	s_xor_b64 exec, exec, s[6:7]
	s_cbranch_execnz .LBB8_2668
.LBB8_618:
	s_or_b64 exec, exec, s[6:7]
	s_and_saveexec_b64 s[6:7], s[4:5]
	s_cbranch_execz .LBB8_620
.LBB8_619:
	v_bfe_u32 v10, v17, 8, 3
	v_ffbh_u32_e32 v14, v10
	v_min_u32_e32 v14, 32, v14
	v_lshrrev_b16_e32 v12, 3, v11
	v_subrev_u32_e32 v15, 28, v14
	v_and_b32_e32 v12, 15, v12
	v_lshlrev_b32_e32 v11, v15, v11
	v_sub_u32_e32 v14, 29, v14
	v_and_b32_e32 v11, 7, v11
	v_cmp_eq_u16_e32 vcc, 0, v12
	v_cndmask_b32_e32 v10, v10, v11, vcc
	v_cndmask_b32_e32 v11, v12, v14, vcc
	v_lshlrev_b32_e32 v12, 16, v17
	v_mov_b32_e32 v14, 0x3b800000
	v_lshlrev_b32_e32 v10, 20, v10
	v_and_b32_e32 v12, 0x80000000, v12
	v_lshl_add_u32 v11, v11, 23, v14
	v_or3_b32 v10, v12, v11, v10
.LBB8_620:
	s_or_b64 exec, exec, s[6:7]
	v_lshrrev_b32_e32 v11, 8, v13
	s_movk_i32 s4, 0x7f
	v_cmp_gt_i16_sdwa s[6:7], v11, s4 src0_sel:BYTE_0 src1_sel:DWORD
	s_mov_b64 s[4:5], 0
                                        ; implicit-def: $sgpr10
	s_and_saveexec_b64 s[8:9], s[6:7]
	s_xor_b64 s[6:7], exec, s[8:9]
	s_cbranch_execnz .LBB8_2669
; %bb.621:
	s_or_saveexec_b64 s[6:7], s[6:7]
	v_mov_b32_e32 v12, s10
	s_xor_b64 exec, exec, s[6:7]
	s_cbranch_execnz .LBB8_2672
.LBB8_622:
	s_or_b64 exec, exec, s[6:7]
	s_and_saveexec_b64 s[6:7], s[4:5]
	s_cbranch_execz .LBB8_624
.LBB8_623:
	v_bfe_u32 v12, v13, 8, 3
	v_ffbh_u32_e32 v15, v12
	v_min_u32_e32 v15, 32, v15
	v_lshrrev_b16_e32 v14, 3, v11
	v_subrev_u32_e32 v16, 28, v15
	v_and_b32_e32 v14, 15, v14
	v_lshlrev_b32_e32 v11, v16, v11
	v_sub_u32_e32 v15, 29, v15
	v_and_b32_e32 v11, 7, v11
	v_cmp_eq_u16_e32 vcc, 0, v14
	v_cndmask_b32_e32 v11, v12, v11, vcc
	v_cndmask_b32_e32 v12, v14, v15, vcc
	v_lshlrev_b32_e32 v14, 16, v13
	v_mov_b32_e32 v15, 0x3b800000
	v_lshlrev_b32_e32 v11, 20, v11
	v_and_b32_e32 v14, 0x80000000, v14
	v_lshl_add_u32 v12, v12, 23, v15
	v_or3_b32 v12, v14, v12, v11
.LBB8_624:
	s_or_b64 exec, exec, s[6:7]
	s_nop 0
	v_mfma_f32_16x16x4f32 a[0:3], v10, v12, a[0:3]
	s_movk_i32 s4, 0xff
	v_and_b32_sdwa v11, v17, s4 dst_sel:DWORD dst_unused:UNUSED_PAD src0_sel:WORD_1 src1_sel:DWORD
	s_movk_i32 s4, 0x7f
	v_cmp_lt_i16_e32 vcc, s4, v11
	s_mov_b64 s[4:5], 0
                                        ; implicit-def: $sgpr10
	s_and_saveexec_b64 s[6:7], vcc
	s_xor_b64 s[6:7], exec, s[6:7]
	s_cbranch_execnz .LBB8_2673
; %bb.625:
	s_or_saveexec_b64 s[6:7], s[6:7]
	v_mov_b32_e32 v10, s10
	s_xor_b64 exec, exec, s[6:7]
	s_cbranch_execnz .LBB8_2676
.LBB8_626:
	s_or_b64 exec, exec, s[6:7]
	s_and_saveexec_b64 s[6:7], s[4:5]
	s_cbranch_execz .LBB8_628
.LBB8_627:
	v_bfe_u32 v10, v17, 16, 3
	v_ffbh_u32_e32 v14, v10
	v_min_u32_e32 v14, 32, v14
	v_lshrrev_b32_e32 v11, 19, v17
	v_subrev_u32_e32 v15, 28, v14
	v_and_b32_e32 v11, 15, v11
	v_lshlrev_b32_sdwa v15, v15, v17 dst_sel:DWORD dst_unused:UNUSED_PAD src0_sel:DWORD src1_sel:WORD_1
	v_bfe_u32 v12, v17, 19, 4
	v_sub_u32_e32 v14, 29, v14
	v_and_b32_e32 v15, 7, v15
	v_cmp_eq_u16_e32 vcc, 0, v11
	v_cndmask_b32_e32 v10, v10, v15, vcc
	v_cndmask_b32_e32 v11, v12, v14, vcc
	v_lshlrev_b32_e32 v12, 8, v17
	v_mov_b32_e32 v14, 0x3b800000
	v_lshlrev_b32_e32 v10, 20, v10
	v_and_b32_e32 v12, 0x80000000, v12
	v_lshl_add_u32 v11, v11, 23, v14
	v_or3_b32 v10, v12, v11, v10
.LBB8_628:
	s_or_b64 exec, exec, s[6:7]
	s_movk_i32 s4, 0xff
	v_and_b32_sdwa v11, v13, s4 dst_sel:DWORD dst_unused:UNUSED_PAD src0_sel:WORD_1 src1_sel:DWORD
	s_movk_i32 s4, 0x7f
	v_cmp_lt_i16_e32 vcc, s4, v11
	s_mov_b64 s[4:5], 0
                                        ; implicit-def: $sgpr10
	s_and_saveexec_b64 s[6:7], vcc
	s_xor_b64 s[6:7], exec, s[6:7]
	s_cbranch_execnz .LBB8_2677
; %bb.629:
	s_or_saveexec_b64 s[6:7], s[6:7]
	v_mov_b32_e32 v12, s10
	s_xor_b64 exec, exec, s[6:7]
	s_cbranch_execnz .LBB8_2680
.LBB8_630:
	s_or_b64 exec, exec, s[6:7]
	s_and_saveexec_b64 s[6:7], s[4:5]
	s_cbranch_execz .LBB8_632
.LBB8_631:
	v_bfe_u32 v11, v13, 16, 3
	v_ffbh_u32_e32 v15, v11
	v_min_u32_e32 v15, 32, v15
	v_lshrrev_b32_e32 v12, 19, v13
	v_subrev_u32_e32 v16, 28, v15
	v_and_b32_e32 v12, 15, v12
	v_lshlrev_b32_sdwa v16, v16, v13 dst_sel:DWORD dst_unused:UNUSED_PAD src0_sel:DWORD src1_sel:WORD_1
	v_bfe_u32 v14, v13, 19, 4
	v_sub_u32_e32 v15, 29, v15
	v_and_b32_e32 v16, 7, v16
	v_cmp_eq_u16_e32 vcc, 0, v12
	v_cndmask_b32_e32 v11, v11, v16, vcc
	v_cndmask_b32_e32 v12, v14, v15, vcc
	v_lshlrev_b32_e32 v14, 8, v13
	v_mov_b32_e32 v15, 0x3b800000
	v_lshlrev_b32_e32 v11, 20, v11
	v_and_b32_e32 v14, 0x80000000, v14
	v_lshl_add_u32 v12, v12, 23, v15
	v_or3_b32 v12, v14, v12, v11
.LBB8_632:
	s_or_b64 exec, exec, s[6:7]
	s_nop 0
	v_mfma_f32_16x16x4f32 a[0:3], v10, v12, a[0:3]
	s_movk_i32 s4, 0x7f
	v_cmp_gt_i16_sdwa s[6:7], v17, s4 src0_sel:BYTE_3 src1_sel:DWORD
	s_mov_b64 s[4:5], 0
                                        ; implicit-def: $sgpr10
	s_and_saveexec_b64 s[8:9], s[6:7]
	s_xor_b64 s[6:7], exec, s[8:9]
	s_cbranch_execnz .LBB8_2681
; %bb.633:
	s_or_saveexec_b64 s[6:7], s[6:7]
	v_mov_b32_e32 v10, s10
	s_xor_b64 exec, exec, s[6:7]
	s_cbranch_execnz .LBB8_2684
.LBB8_634:
	s_or_b64 exec, exec, s[6:7]
	s_and_saveexec_b64 s[6:7], s[4:5]
	s_cbranch_execz .LBB8_636
.LBB8_635:
	v_bfe_u32 v10, v17, 24, 3
	v_ffbh_u32_e32 v15, v10
	v_min_u32_e32 v15, 32, v15
	v_lshrrev_b32_e32 v12, 27, v17
	v_subrev_u32_e32 v16, 28, v15
	v_and_b32_e32 v12, 15, v12
	v_lshlrev_b32_sdwa v16, v16, v17 dst_sel:DWORD dst_unused:UNUSED_PAD src0_sel:DWORD src1_sel:BYTE_3
	v_bfe_u32 v14, v17, 27, 4
	v_sub_u32_e32 v15, 29, v15
	v_and_b32_e32 v16, 7, v16
	v_cmp_eq_u16_e32 vcc, 0, v12
	v_cndmask_b32_e32 v10, v10, v16, vcc
	v_cndmask_b32_e32 v12, v14, v15, vcc
	v_mov_b32_e32 v14, 0x3b800000
	v_and_b32_e32 v11, 0x80000000, v17
	v_lshlrev_b32_e32 v10, 20, v10
	v_lshl_add_u32 v12, v12, 23, v14
	v_or3_b32 v10, v11, v12, v10
.LBB8_636:
	s_or_b64 exec, exec, s[6:7]
	s_movk_i32 s4, 0x7f
	v_cmp_gt_i16_sdwa s[6:7], v13, s4 src0_sel:BYTE_3 src1_sel:DWORD
	s_mov_b64 s[4:5], 0
                                        ; implicit-def: $sgpr10
	s_and_saveexec_b64 s[8:9], s[6:7]
	s_xor_b64 s[6:7], exec, s[8:9]
	s_cbranch_execnz .LBB8_2685
; %bb.637:
	s_or_saveexec_b64 s[6:7], s[6:7]
	v_mov_b32_e32 v11, s10
	s_xor_b64 exec, exec, s[6:7]
	s_cbranch_execnz .LBB8_2688
.LBB8_638:
	s_or_b64 exec, exec, s[6:7]
	s_and_saveexec_b64 s[6:7], s[4:5]
	s_cbranch_execz .LBB8_640
.LBB8_639:
	v_bfe_u32 v11, v13, 24, 3
	v_ffbh_u32_e32 v16, v11
	v_min_u32_e32 v16, 32, v16
	v_lshrrev_b32_e32 v14, 27, v13
	v_subrev_u32_e32 v17, 28, v16
	v_and_b32_e32 v12, 0x80000000, v13
	v_and_b32_e32 v14, 15, v14
	v_bfe_u32 v15, v13, 27, 4
	v_lshlrev_b32_sdwa v13, v17, v13 dst_sel:DWORD dst_unused:UNUSED_PAD src0_sel:DWORD src1_sel:BYTE_3
	v_sub_u32_e32 v16, 29, v16
	v_and_b32_e32 v13, 7, v13
	v_cmp_eq_u16_e32 vcc, 0, v14
	v_cndmask_b32_e32 v11, v11, v13, vcc
	v_cndmask_b32_e32 v13, v15, v16, vcc
	v_mov_b32_e32 v14, 0x3b800000
	v_lshlrev_b32_e32 v11, 20, v11
	v_lshl_add_u32 v13, v13, 23, v14
	v_or3_b32 v11, v12, v13, v11
.LBB8_640:
	s_or_b64 exec, exec, s[6:7]
	s_nop 0
	v_mfma_f32_16x16x4f32 a[0:3], v10, v11, a[0:3]
	s_movk_i32 s4, 0x7f
	v_cmp_gt_i16_sdwa s[6:7], v6, s4 src0_sel:BYTE_0 src1_sel:DWORD
	s_mov_b64 s[4:5], 0
                                        ; implicit-def: $sgpr10
	s_and_saveexec_b64 s[8:9], s[6:7]
	s_xor_b64 s[6:7], exec, s[8:9]
	s_cbranch_execnz .LBB8_2689
; %bb.641:
	s_or_saveexec_b64 s[6:7], s[6:7]
	v_mov_b32_e32 v10, s10
	s_xor_b64 exec, exec, s[6:7]
	s_cbranch_execnz .LBB8_2692
.LBB8_642:
	s_or_b64 exec, exec, s[6:7]
	s_and_saveexec_b64 s[6:7], s[4:5]
	s_cbranch_execz .LBB8_644
.LBB8_643:
	v_and_b32_e32 v10, 7, v6
	v_ffbh_u32_e32 v12, v10
	v_min_u32_e32 v12, 32, v12
	v_lshrrev_b16_e32 v11, 3, v6
	v_subrev_u32_e32 v13, 28, v12
	v_and_b32_e32 v11, 15, v11
	v_lshlrev_b32_e32 v13, v13, v6
	v_sub_u32_e32 v12, 29, v12
	v_and_b32_e32 v13, 7, v13
	v_cmp_eq_u16_e32 vcc, 0, v11
	v_cndmask_b32_e32 v10, v10, v13, vcc
	v_cndmask_b32_e32 v11, v11, v12, vcc
	v_lshlrev_b32_e32 v12, 24, v6
	v_mov_b32_e32 v13, 0x3b800000
	v_lshlrev_b32_e32 v10, 20, v10
	v_and_b32_e32 v12, 0x80000000, v12
	v_lshl_add_u32 v11, v11, 23, v13
	v_or3_b32 v10, v12, v11, v10
.LBB8_644:
	s_or_b64 exec, exec, s[6:7]
	s_movk_i32 s4, 0x7f
	v_cmp_gt_i16_sdwa s[6:7], v2, s4 src0_sel:BYTE_0 src1_sel:DWORD
	s_mov_b64 s[4:5], 0
                                        ; implicit-def: $sgpr10
	s_and_saveexec_b64 s[8:9], s[6:7]
	s_xor_b64 s[6:7], exec, s[8:9]
	s_cbranch_execnz .LBB8_2693
; %bb.645:
	s_or_saveexec_b64 s[6:7], s[6:7]
	v_mov_b32_e32 v11, s10
	s_xor_b64 exec, exec, s[6:7]
	s_cbranch_execnz .LBB8_2696
.LBB8_646:
	s_or_b64 exec, exec, s[6:7]
	s_and_saveexec_b64 s[6:7], s[4:5]
	s_cbranch_execz .LBB8_648
.LBB8_647:
	v_and_b32_e32 v11, 7, v2
	v_ffbh_u32_e32 v13, v11
	v_min_u32_e32 v13, 32, v13
	v_lshrrev_b16_e32 v12, 3, v2
	v_subrev_u32_e32 v14, 28, v13
	v_and_b32_e32 v12, 15, v12
	v_lshlrev_b32_e32 v14, v14, v2
	v_sub_u32_e32 v13, 29, v13
	v_and_b32_e32 v14, 7, v14
	v_cmp_eq_u16_e32 vcc, 0, v12
	v_cndmask_b32_e32 v11, v11, v14, vcc
	v_cndmask_b32_e32 v12, v12, v13, vcc
	v_lshlrev_b32_e32 v13, 24, v2
	v_mov_b32_e32 v14, 0x3b800000
	v_lshlrev_b32_e32 v11, 20, v11
	v_and_b32_e32 v13, 0x80000000, v13
	v_lshl_add_u32 v12, v12, 23, v14
	v_or3_b32 v11, v13, v12, v11
.LBB8_648:
	s_or_b64 exec, exec, s[6:7]
	s_nop 0
	v_mfma_f32_16x16x4f32 a[0:3], v10, v11, a[0:3]
	v_lshrrev_b32_e32 v11, 8, v6
	s_movk_i32 s4, 0x7f
	v_cmp_gt_i16_sdwa s[6:7], v11, s4 src0_sel:BYTE_0 src1_sel:DWORD
	s_mov_b64 s[4:5], 0
                                        ; implicit-def: $sgpr10
	s_and_saveexec_b64 s[8:9], s[6:7]
	s_xor_b64 s[6:7], exec, s[8:9]
	s_cbranch_execnz .LBB8_2697
; %bb.649:
	s_or_saveexec_b64 s[6:7], s[6:7]
	v_mov_b32_e32 v10, s10
	s_xor_b64 exec, exec, s[6:7]
	s_cbranch_execnz .LBB8_2700
.LBB8_650:
	s_or_b64 exec, exec, s[6:7]
	s_and_saveexec_b64 s[6:7], s[4:5]
	s_cbranch_execz .LBB8_652
.LBB8_651:
	v_bfe_u32 v10, v6, 8, 3
	v_ffbh_u32_e32 v13, v10
	v_min_u32_e32 v13, 32, v13
	v_lshrrev_b16_e32 v12, 3, v11
	v_subrev_u32_e32 v14, 28, v13
	v_and_b32_e32 v12, 15, v12
	v_lshlrev_b32_e32 v11, v14, v11
	v_sub_u32_e32 v13, 29, v13
	v_and_b32_e32 v11, 7, v11
	v_cmp_eq_u16_e32 vcc, 0, v12
	v_cndmask_b32_e32 v10, v10, v11, vcc
	v_cndmask_b32_e32 v11, v12, v13, vcc
	v_lshlrev_b32_e32 v12, 16, v6
	v_mov_b32_e32 v13, 0x3b800000
	v_lshlrev_b32_e32 v10, 20, v10
	v_and_b32_e32 v12, 0x80000000, v12
	v_lshl_add_u32 v11, v11, 23, v13
	v_or3_b32 v10, v12, v11, v10
.LBB8_652:
	s_or_b64 exec, exec, s[6:7]
	v_lshrrev_b32_e32 v11, 8, v2
	s_movk_i32 s4, 0x7f
	v_cmp_gt_i16_sdwa s[6:7], v11, s4 src0_sel:BYTE_0 src1_sel:DWORD
	s_mov_b64 s[4:5], 0
                                        ; implicit-def: $sgpr10
	s_and_saveexec_b64 s[8:9], s[6:7]
	s_xor_b64 s[6:7], exec, s[8:9]
	s_cbranch_execnz .LBB8_2701
; %bb.653:
	s_or_saveexec_b64 s[6:7], s[6:7]
	v_mov_b32_e32 v12, s10
	s_xor_b64 exec, exec, s[6:7]
	s_cbranch_execnz .LBB8_2704
.LBB8_654:
	s_or_b64 exec, exec, s[6:7]
	s_and_saveexec_b64 s[6:7], s[4:5]
	s_cbranch_execz .LBB8_656
.LBB8_655:
	v_bfe_u32 v12, v2, 8, 3
	v_ffbh_u32_e32 v14, v12
	v_min_u32_e32 v14, 32, v14
	v_lshrrev_b16_e32 v13, 3, v11
	v_subrev_u32_e32 v15, 28, v14
	v_and_b32_e32 v13, 15, v13
	v_lshlrev_b32_e32 v11, v15, v11
	v_sub_u32_e32 v14, 29, v14
	v_and_b32_e32 v11, 7, v11
	v_cmp_eq_u16_e32 vcc, 0, v13
	v_cndmask_b32_e32 v11, v12, v11, vcc
	v_cndmask_b32_e32 v12, v13, v14, vcc
	v_lshlrev_b32_e32 v13, 16, v2
	v_mov_b32_e32 v14, 0x3b800000
	v_lshlrev_b32_e32 v11, 20, v11
	v_and_b32_e32 v13, 0x80000000, v13
	v_lshl_add_u32 v12, v12, 23, v14
	v_or3_b32 v12, v13, v12, v11
.LBB8_656:
	s_or_b64 exec, exec, s[6:7]
	s_nop 0
	v_mfma_f32_16x16x4f32 a[0:3], v10, v12, a[0:3]
	s_movk_i32 s4, 0xff
	v_and_b32_sdwa v11, v6, s4 dst_sel:DWORD dst_unused:UNUSED_PAD src0_sel:WORD_1 src1_sel:DWORD
	s_movk_i32 s4, 0x7f
	v_cmp_lt_i16_e32 vcc, s4, v11
	s_mov_b64 s[4:5], 0
                                        ; implicit-def: $sgpr10
	s_and_saveexec_b64 s[6:7], vcc
	s_xor_b64 s[6:7], exec, s[6:7]
	s_cbranch_execnz .LBB8_2705
; %bb.657:
	s_or_saveexec_b64 s[6:7], s[6:7]
	v_mov_b32_e32 v10, s10
	s_xor_b64 exec, exec, s[6:7]
	s_cbranch_execnz .LBB8_2708
.LBB8_658:
	s_or_b64 exec, exec, s[6:7]
	s_and_saveexec_b64 s[6:7], s[4:5]
	s_cbranch_execz .LBB8_660
.LBB8_659:
	v_bfe_u32 v10, v6, 16, 3
	v_ffbh_u32_e32 v13, v10
	v_min_u32_e32 v13, 32, v13
	v_lshrrev_b32_e32 v11, 19, v6
	v_subrev_u32_e32 v14, 28, v13
	v_and_b32_e32 v11, 15, v11
	v_lshlrev_b32_sdwa v14, v14, v6 dst_sel:DWORD dst_unused:UNUSED_PAD src0_sel:DWORD src1_sel:WORD_1
	v_bfe_u32 v12, v6, 19, 4
	v_sub_u32_e32 v13, 29, v13
	v_and_b32_e32 v14, 7, v14
	v_cmp_eq_u16_e32 vcc, 0, v11
	v_cndmask_b32_e32 v10, v10, v14, vcc
	v_cndmask_b32_e32 v11, v12, v13, vcc
	v_lshlrev_b32_e32 v12, 8, v6
	v_mov_b32_e32 v13, 0x3b800000
	v_lshlrev_b32_e32 v10, 20, v10
	v_and_b32_e32 v12, 0x80000000, v12
	v_lshl_add_u32 v11, v11, 23, v13
	v_or3_b32 v10, v12, v11, v10
.LBB8_660:
	s_or_b64 exec, exec, s[6:7]
	s_movk_i32 s4, 0xff
	v_and_b32_sdwa v11, v2, s4 dst_sel:DWORD dst_unused:UNUSED_PAD src0_sel:WORD_1 src1_sel:DWORD
	s_movk_i32 s4, 0x7f
	v_cmp_lt_i16_e32 vcc, s4, v11
	s_mov_b64 s[4:5], 0
                                        ; implicit-def: $sgpr10
	s_and_saveexec_b64 s[6:7], vcc
	s_xor_b64 s[6:7], exec, s[6:7]
	s_cbranch_execnz .LBB8_2709
; %bb.661:
	s_or_saveexec_b64 s[6:7], s[6:7]
	v_mov_b32_e32 v12, s10
	s_xor_b64 exec, exec, s[6:7]
	s_cbranch_execnz .LBB8_2712
.LBB8_662:
	s_or_b64 exec, exec, s[6:7]
	s_and_saveexec_b64 s[6:7], s[4:5]
	s_cbranch_execz .LBB8_664
.LBB8_663:
	v_bfe_u32 v11, v2, 16, 3
	v_ffbh_u32_e32 v14, v11
	v_min_u32_e32 v14, 32, v14
	v_lshrrev_b32_e32 v12, 19, v2
	v_subrev_u32_e32 v15, 28, v14
	v_and_b32_e32 v12, 15, v12
	v_lshlrev_b32_sdwa v15, v15, v2 dst_sel:DWORD dst_unused:UNUSED_PAD src0_sel:DWORD src1_sel:WORD_1
	v_bfe_u32 v13, v2, 19, 4
	v_sub_u32_e32 v14, 29, v14
	v_and_b32_e32 v15, 7, v15
	v_cmp_eq_u16_e32 vcc, 0, v12
	v_cndmask_b32_e32 v11, v11, v15, vcc
	v_cndmask_b32_e32 v12, v13, v14, vcc
	v_lshlrev_b32_e32 v13, 8, v2
	v_mov_b32_e32 v14, 0x3b800000
	v_lshlrev_b32_e32 v11, 20, v11
	v_and_b32_e32 v13, 0x80000000, v13
	v_lshl_add_u32 v12, v12, 23, v14
	v_or3_b32 v12, v13, v12, v11
.LBB8_664:
	s_or_b64 exec, exec, s[6:7]
	s_nop 0
	v_mfma_f32_16x16x4f32 a[0:3], v10, v12, a[0:3]
	s_movk_i32 s4, 0x7f
	v_cmp_gt_i16_sdwa s[6:7], v6, s4 src0_sel:BYTE_3 src1_sel:DWORD
	s_mov_b64 s[4:5], 0
                                        ; implicit-def: $sgpr10
	s_and_saveexec_b64 s[8:9], s[6:7]
	s_xor_b64 s[6:7], exec, s[8:9]
	s_cbranch_execnz .LBB8_2713
; %bb.665:
	s_or_saveexec_b64 s[6:7], s[6:7]
	v_mov_b32_e32 v10, s10
	s_xor_b64 exec, exec, s[6:7]
	s_cbranch_execnz .LBB8_2716
.LBB8_666:
	s_or_b64 exec, exec, s[6:7]
	s_and_saveexec_b64 s[6:7], s[4:5]
	s_cbranch_execz .LBB8_668
.LBB8_667:
	v_bfe_u32 v10, v6, 24, 3
	v_ffbh_u32_e32 v14, v10
	v_min_u32_e32 v14, 32, v14
	v_lshrrev_b32_e32 v12, 27, v6
	v_subrev_u32_e32 v15, 28, v14
	v_and_b32_e32 v11, 0x80000000, v6
	v_and_b32_e32 v12, 15, v12
	v_bfe_u32 v13, v6, 27, 4
	v_lshlrev_b32_sdwa v6, v15, v6 dst_sel:DWORD dst_unused:UNUSED_PAD src0_sel:DWORD src1_sel:BYTE_3
	v_sub_u32_e32 v14, 29, v14
	v_and_b32_e32 v6, 7, v6
	v_cmp_eq_u16_e32 vcc, 0, v12
	v_cndmask_b32_e32 v6, v10, v6, vcc
	v_cndmask_b32_e32 v10, v13, v14, vcc
	v_mov_b32_e32 v12, 0x3b800000
	v_lshlrev_b32_e32 v6, 20, v6
	v_lshl_add_u32 v10, v10, 23, v12
	v_or3_b32 v10, v11, v10, v6
.LBB8_668:
	s_or_b64 exec, exec, s[6:7]
	s_movk_i32 s4, 0x7f
	v_cmp_gt_i16_sdwa s[6:7], v2, s4 src0_sel:BYTE_3 src1_sel:DWORD
	s_mov_b64 s[4:5], 0
                                        ; implicit-def: $sgpr10
	s_and_saveexec_b64 s[8:9], s[6:7]
	s_xor_b64 s[6:7], exec, s[8:9]
	s_cbranch_execnz .LBB8_2717
; %bb.669:
	s_or_saveexec_b64 s[6:7], s[6:7]
	v_mov_b32_e32 v6, s10
	s_xor_b64 exec, exec, s[6:7]
	s_cbranch_execnz .LBB8_2720
.LBB8_670:
	s_or_b64 exec, exec, s[6:7]
	s_and_saveexec_b64 s[6:7], s[4:5]
	s_cbranch_execz .LBB8_672
.LBB8_671:
	v_bfe_u32 v6, v2, 24, 3
	v_ffbh_u32_e32 v14, v6
	v_min_u32_e32 v14, 32, v14
	v_lshrrev_b32_e32 v12, 27, v2
	v_subrev_u32_e32 v15, 28, v14
	v_and_b32_e32 v11, 0x80000000, v2
	v_and_b32_e32 v12, 15, v12
	v_bfe_u32 v13, v2, 27, 4
	v_lshlrev_b32_sdwa v2, v15, v2 dst_sel:DWORD dst_unused:UNUSED_PAD src0_sel:DWORD src1_sel:BYTE_3
	v_sub_u32_e32 v14, 29, v14
	v_and_b32_e32 v2, 7, v2
	v_cmp_eq_u16_e32 vcc, 0, v12
	v_cndmask_b32_e32 v2, v6, v2, vcc
	v_cndmask_b32_e32 v6, v13, v14, vcc
	v_mov_b32_e32 v12, 0x3b800000
	v_lshlrev_b32_e32 v2, 20, v2
	v_lshl_add_u32 v6, v6, 23, v12
	v_or3_b32 v6, v11, v6, v2
.LBB8_672:
	s_or_b64 exec, exec, s[6:7]
	s_nop 0
	v_mfma_f32_16x16x4f32 a[0:3], v10, v6, a[0:3]
	s_movk_i32 s4, 0x7f
	v_cmp_gt_i16_sdwa s[6:7], v7, s4 src0_sel:BYTE_0 src1_sel:DWORD
	s_mov_b64 s[4:5], 0
                                        ; implicit-def: $sgpr10
	s_and_saveexec_b64 s[8:9], s[6:7]
	s_xor_b64 s[6:7], exec, s[8:9]
	s_cbranch_execnz .LBB8_2721
; %bb.673:
	s_or_saveexec_b64 s[6:7], s[6:7]
	v_mov_b32_e32 v2, s10
	s_xor_b64 exec, exec, s[6:7]
	s_cbranch_execnz .LBB8_2724
.LBB8_674:
	s_or_b64 exec, exec, s[6:7]
	s_and_saveexec_b64 s[6:7], s[4:5]
	s_cbranch_execz .LBB8_676
.LBB8_675:
	v_and_b32_e32 v2, 7, v7
	v_ffbh_u32_e32 v10, v2
	v_min_u32_e32 v10, 32, v10
	v_lshrrev_b16_e32 v6, 3, v7
	v_subrev_u32_e32 v11, 28, v10
	v_and_b32_e32 v6, 15, v6
	v_lshlrev_b32_e32 v11, v11, v7
	v_sub_u32_e32 v10, 29, v10
	v_and_b32_e32 v11, 7, v11
	v_cmp_eq_u16_e32 vcc, 0, v6
	v_cndmask_b32_e32 v2, v2, v11, vcc
	v_cndmask_b32_e32 v6, v6, v10, vcc
	v_lshlrev_b32_e32 v10, 24, v7
	v_mov_b32_e32 v11, 0x3b800000
	v_lshlrev_b32_e32 v2, 20, v2
	v_and_b32_e32 v10, 0x80000000, v10
	v_lshl_add_u32 v6, v6, 23, v11
	v_or3_b32 v2, v10, v6, v2
.LBB8_676:
	s_or_b64 exec, exec, s[6:7]
	s_movk_i32 s4, 0x7f
	v_cmp_gt_i16_sdwa s[6:7], v3, s4 src0_sel:BYTE_0 src1_sel:DWORD
	s_mov_b64 s[4:5], 0
                                        ; implicit-def: $sgpr10
	s_and_saveexec_b64 s[8:9], s[6:7]
	s_xor_b64 s[6:7], exec, s[8:9]
	s_cbranch_execnz .LBB8_2725
; %bb.677:
	s_or_saveexec_b64 s[6:7], s[6:7]
	v_mov_b32_e32 v6, s10
	s_xor_b64 exec, exec, s[6:7]
	s_cbranch_execnz .LBB8_2728
.LBB8_678:
	s_or_b64 exec, exec, s[6:7]
	s_and_saveexec_b64 s[6:7], s[4:5]
	s_cbranch_execz .LBB8_680
.LBB8_679:
	v_and_b32_e32 v6, 7, v3
	v_ffbh_u32_e32 v11, v6
	v_min_u32_e32 v11, 32, v11
	v_lshrrev_b16_e32 v10, 3, v3
	v_subrev_u32_e32 v12, 28, v11
	v_and_b32_e32 v10, 15, v10
	v_lshlrev_b32_e32 v12, v12, v3
	v_sub_u32_e32 v11, 29, v11
	v_and_b32_e32 v12, 7, v12
	v_cmp_eq_u16_e32 vcc, 0, v10
	v_cndmask_b32_e32 v6, v6, v12, vcc
	v_cndmask_b32_e32 v10, v10, v11, vcc
	v_lshlrev_b32_e32 v11, 24, v3
	v_mov_b32_e32 v12, 0x3b800000
	v_lshlrev_b32_e32 v6, 20, v6
	v_and_b32_e32 v11, 0x80000000, v11
	v_lshl_add_u32 v10, v10, 23, v12
	v_or3_b32 v6, v11, v10, v6
.LBB8_680:
	s_or_b64 exec, exec, s[6:7]
	s_nop 0
	v_mfma_f32_16x16x4f32 a[0:3], v2, v6, a[0:3]
	v_lshrrev_b32_e32 v6, 8, v7
	s_movk_i32 s4, 0x7f
	v_cmp_gt_i16_sdwa s[6:7], v6, s4 src0_sel:BYTE_0 src1_sel:DWORD
	s_mov_b64 s[4:5], 0
                                        ; implicit-def: $sgpr10
	s_and_saveexec_b64 s[8:9], s[6:7]
	s_xor_b64 s[6:7], exec, s[8:9]
	s_cbranch_execnz .LBB8_2729
; %bb.681:
	s_or_saveexec_b64 s[6:7], s[6:7]
	v_mov_b32_e32 v2, s10
	s_xor_b64 exec, exec, s[6:7]
	s_cbranch_execnz .LBB8_2732
.LBB8_682:
	s_or_b64 exec, exec, s[6:7]
	s_and_saveexec_b64 s[6:7], s[4:5]
	s_cbranch_execz .LBB8_684
.LBB8_683:
	v_bfe_u32 v2, v7, 8, 3
	v_ffbh_u32_e32 v11, v2
	v_min_u32_e32 v11, 32, v11
	v_lshrrev_b16_e32 v10, 3, v6
	v_subrev_u32_e32 v12, 28, v11
	v_and_b32_e32 v10, 15, v10
	v_lshlrev_b32_e32 v6, v12, v6
	v_sub_u32_e32 v11, 29, v11
	v_and_b32_e32 v6, 7, v6
	v_cmp_eq_u16_e32 vcc, 0, v10
	v_cndmask_b32_e32 v2, v2, v6, vcc
	v_cndmask_b32_e32 v6, v10, v11, vcc
	v_lshlrev_b32_e32 v10, 16, v7
	v_mov_b32_e32 v11, 0x3b800000
	v_lshlrev_b32_e32 v2, 20, v2
	v_and_b32_e32 v10, 0x80000000, v10
	v_lshl_add_u32 v6, v6, 23, v11
	v_or3_b32 v2, v10, v6, v2
.LBB8_684:
	s_or_b64 exec, exec, s[6:7]
	v_lshrrev_b32_e32 v6, 8, v3
	s_movk_i32 s4, 0x7f
	v_cmp_gt_i16_sdwa s[6:7], v6, s4 src0_sel:BYTE_0 src1_sel:DWORD
	s_mov_b64 s[4:5], 0
                                        ; implicit-def: $sgpr10
	s_and_saveexec_b64 s[8:9], s[6:7]
	s_xor_b64 s[6:7], exec, s[8:9]
	s_cbranch_execnz .LBB8_2733
; %bb.685:
	s_or_saveexec_b64 s[6:7], s[6:7]
	v_mov_b32_e32 v10, s10
	s_xor_b64 exec, exec, s[6:7]
	s_cbranch_execnz .LBB8_2736
.LBB8_686:
	s_or_b64 exec, exec, s[6:7]
	s_and_saveexec_b64 s[6:7], s[4:5]
	s_cbranch_execz .LBB8_688
.LBB8_687:
	v_bfe_u32 v10, v3, 8, 3
	v_ffbh_u32_e32 v12, v10
	v_min_u32_e32 v12, 32, v12
	v_lshrrev_b16_e32 v11, 3, v6
	v_subrev_u32_e32 v13, 28, v12
	v_and_b32_e32 v11, 15, v11
	v_lshlrev_b32_e32 v6, v13, v6
	v_sub_u32_e32 v12, 29, v12
	v_and_b32_e32 v6, 7, v6
	v_cmp_eq_u16_e32 vcc, 0, v11
	v_cndmask_b32_e32 v6, v10, v6, vcc
	v_cndmask_b32_e32 v10, v11, v12, vcc
	v_lshlrev_b32_e32 v11, 16, v3
	v_mov_b32_e32 v12, 0x3b800000
	v_lshlrev_b32_e32 v6, 20, v6
	v_and_b32_e32 v11, 0x80000000, v11
	v_lshl_add_u32 v10, v10, 23, v12
	v_or3_b32 v10, v11, v10, v6
.LBB8_688:
	s_or_b64 exec, exec, s[6:7]
	s_nop 0
	v_mfma_f32_16x16x4f32 a[0:3], v2, v10, a[0:3]
	s_movk_i32 s4, 0xff
	v_and_b32_sdwa v6, v7, s4 dst_sel:DWORD dst_unused:UNUSED_PAD src0_sel:WORD_1 src1_sel:DWORD
	s_movk_i32 s4, 0x7f
	v_cmp_lt_i16_e32 vcc, s4, v6
	s_mov_b64 s[4:5], 0
                                        ; implicit-def: $sgpr10
	s_and_saveexec_b64 s[6:7], vcc
	s_xor_b64 s[6:7], exec, s[6:7]
	s_cbranch_execnz .LBB8_2737
; %bb.689:
	s_or_saveexec_b64 s[6:7], s[6:7]
	v_mov_b32_e32 v2, s10
	s_xor_b64 exec, exec, s[6:7]
	s_cbranch_execnz .LBB8_2740
.LBB8_690:
	s_or_b64 exec, exec, s[6:7]
	s_and_saveexec_b64 s[6:7], s[4:5]
	s_cbranch_execz .LBB8_692
.LBB8_691:
	v_bfe_u32 v2, v7, 16, 3
	v_ffbh_u32_e32 v11, v2
	v_min_u32_e32 v11, 32, v11
	v_lshrrev_b32_e32 v6, 19, v7
	v_subrev_u32_e32 v12, 28, v11
	v_and_b32_e32 v6, 15, v6
	v_lshlrev_b32_sdwa v12, v12, v7 dst_sel:DWORD dst_unused:UNUSED_PAD src0_sel:DWORD src1_sel:WORD_1
	v_bfe_u32 v10, v7, 19, 4
	v_sub_u32_e32 v11, 29, v11
	v_and_b32_e32 v12, 7, v12
	v_cmp_eq_u16_e32 vcc, 0, v6
	v_cndmask_b32_e32 v2, v2, v12, vcc
	v_cndmask_b32_e32 v6, v10, v11, vcc
	v_lshlrev_b32_e32 v10, 8, v7
	v_mov_b32_e32 v11, 0x3b800000
	v_lshlrev_b32_e32 v2, 20, v2
	v_and_b32_e32 v10, 0x80000000, v10
	v_lshl_add_u32 v6, v6, 23, v11
	v_or3_b32 v2, v10, v6, v2
.LBB8_692:
	s_or_b64 exec, exec, s[6:7]
	s_movk_i32 s4, 0xff
	v_and_b32_sdwa v6, v3, s4 dst_sel:DWORD dst_unused:UNUSED_PAD src0_sel:WORD_1 src1_sel:DWORD
	s_movk_i32 s4, 0x7f
	v_cmp_lt_i16_e32 vcc, s4, v6
	s_mov_b64 s[4:5], 0
                                        ; implicit-def: $sgpr10
	s_and_saveexec_b64 s[6:7], vcc
	s_xor_b64 s[6:7], exec, s[6:7]
	s_cbranch_execnz .LBB8_2741
; %bb.693:
	s_or_saveexec_b64 s[6:7], s[6:7]
	v_mov_b32_e32 v10, s10
	s_xor_b64 exec, exec, s[6:7]
	s_cbranch_execnz .LBB8_2744
.LBB8_694:
	s_or_b64 exec, exec, s[6:7]
	s_and_saveexec_b64 s[6:7], s[4:5]
	s_cbranch_execz .LBB8_696
.LBB8_695:
	v_bfe_u32 v6, v3, 16, 3
	v_ffbh_u32_e32 v12, v6
	v_min_u32_e32 v12, 32, v12
	v_lshrrev_b32_e32 v10, 19, v3
	v_subrev_u32_e32 v13, 28, v12
	v_and_b32_e32 v10, 15, v10
	v_lshlrev_b32_sdwa v13, v13, v3 dst_sel:DWORD dst_unused:UNUSED_PAD src0_sel:DWORD src1_sel:WORD_1
	v_bfe_u32 v11, v3, 19, 4
	v_sub_u32_e32 v12, 29, v12
	v_and_b32_e32 v13, 7, v13
	v_cmp_eq_u16_e32 vcc, 0, v10
	v_cndmask_b32_e32 v6, v6, v13, vcc
	v_cndmask_b32_e32 v10, v11, v12, vcc
	v_lshlrev_b32_e32 v11, 8, v3
	v_mov_b32_e32 v12, 0x3b800000
	v_lshlrev_b32_e32 v6, 20, v6
	v_and_b32_e32 v11, 0x80000000, v11
	v_lshl_add_u32 v10, v10, 23, v12
	v_or3_b32 v10, v11, v10, v6
.LBB8_696:
	s_or_b64 exec, exec, s[6:7]
	s_nop 0
	v_mfma_f32_16x16x4f32 a[0:3], v2, v10, a[0:3]
	s_movk_i32 s4, 0x7f
	v_cmp_gt_i16_sdwa s[6:7], v7, s4 src0_sel:BYTE_3 src1_sel:DWORD
	s_mov_b64 s[4:5], 0
                                        ; implicit-def: $sgpr10
	s_and_saveexec_b64 s[8:9], s[6:7]
	s_xor_b64 s[6:7], exec, s[8:9]
	s_cbranch_execnz .LBB8_2745
; %bb.697:
	s_or_saveexec_b64 s[6:7], s[6:7]
	v_mov_b32_e32 v2, s10
	s_xor_b64 exec, exec, s[6:7]
	s_cbranch_execnz .LBB8_2748
.LBB8_698:
	s_or_b64 exec, exec, s[6:7]
	s_and_saveexec_b64 s[6:7], s[4:5]
	s_cbranch_execz .LBB8_700
.LBB8_699:
	v_bfe_u32 v2, v7, 24, 3
	v_ffbh_u32_e32 v12, v2
	v_min_u32_e32 v12, 32, v12
	v_lshrrev_b32_e32 v10, 27, v7
	v_subrev_u32_e32 v13, 28, v12
	v_and_b32_e32 v6, 0x80000000, v7
	v_and_b32_e32 v10, 15, v10
	v_bfe_u32 v11, v7, 27, 4
	v_lshlrev_b32_sdwa v7, v13, v7 dst_sel:DWORD dst_unused:UNUSED_PAD src0_sel:DWORD src1_sel:BYTE_3
	v_sub_u32_e32 v12, 29, v12
	v_and_b32_e32 v7, 7, v7
	v_cmp_eq_u16_e32 vcc, 0, v10
	v_cndmask_b32_e32 v2, v2, v7, vcc
	v_cndmask_b32_e32 v7, v11, v12, vcc
	v_mov_b32_e32 v10, 0x3b800000
	v_lshlrev_b32_e32 v2, 20, v2
	v_lshl_add_u32 v7, v7, 23, v10
	v_or3_b32 v2, v6, v7, v2
.LBB8_700:
	s_or_b64 exec, exec, s[6:7]
	s_movk_i32 s4, 0x7f
	v_cmp_gt_i16_sdwa s[6:7], v3, s4 src0_sel:BYTE_3 src1_sel:DWORD
	s_mov_b64 s[4:5], 0
                                        ; implicit-def: $sgpr10
	s_and_saveexec_b64 s[8:9], s[6:7]
	s_xor_b64 s[6:7], exec, s[8:9]
	s_cbranch_execnz .LBB8_2749
; %bb.701:
	s_or_saveexec_b64 s[6:7], s[6:7]
	v_mov_b32_e32 v6, s10
	s_xor_b64 exec, exec, s[6:7]
	s_cbranch_execnz .LBB8_2752
.LBB8_702:
	s_or_b64 exec, exec, s[6:7]
	s_and_saveexec_b64 s[6:7], s[4:5]
	s_cbranch_execz .LBB8_704
.LBB8_703:
	v_bfe_u32 v6, v3, 24, 3
	v_ffbh_u32_e32 v12, v6
	v_min_u32_e32 v12, 32, v12
	v_lshrrev_b32_e32 v10, 27, v3
	v_subrev_u32_e32 v13, 28, v12
	v_and_b32_e32 v7, 0x80000000, v3
	v_and_b32_e32 v10, 15, v10
	v_bfe_u32 v11, v3, 27, 4
	v_lshlrev_b32_sdwa v3, v13, v3 dst_sel:DWORD dst_unused:UNUSED_PAD src0_sel:DWORD src1_sel:BYTE_3
	v_sub_u32_e32 v12, 29, v12
	v_and_b32_e32 v3, 7, v3
	v_cmp_eq_u16_e32 vcc, 0, v10
	v_cndmask_b32_e32 v3, v6, v3, vcc
	v_cndmask_b32_e32 v6, v11, v12, vcc
	v_mov_b32_e32 v10, 0x3b800000
	v_lshlrev_b32_e32 v3, 20, v3
	v_lshl_add_u32 v6, v6, 23, v10
	v_or3_b32 v6, v7, v6, v3
.LBB8_704:
	s_or_b64 exec, exec, s[6:7]
	s_nop 0
	v_mfma_f32_16x16x4f32 a[0:3], v2, v6, a[0:3]
	s_movk_i32 s4, 0x7f
	v_cmp_gt_i16_sdwa s[6:7], v8, s4 src0_sel:BYTE_0 src1_sel:DWORD
	s_mov_b64 s[4:5], 0
                                        ; implicit-def: $sgpr10
	s_and_saveexec_b64 s[8:9], s[6:7]
	s_xor_b64 s[6:7], exec, s[8:9]
	s_cbranch_execnz .LBB8_2753
; %bb.705:
	s_or_saveexec_b64 s[6:7], s[6:7]
	v_mov_b32_e32 v2, s10
	s_xor_b64 exec, exec, s[6:7]
	s_cbranch_execnz .LBB8_2756
.LBB8_706:
	s_or_b64 exec, exec, s[6:7]
	s_and_saveexec_b64 s[6:7], s[4:5]
	s_cbranch_execz .LBB8_708
.LBB8_707:
	v_and_b32_e32 v2, 7, v8
	v_ffbh_u32_e32 v6, v2
	v_min_u32_e32 v6, 32, v6
	v_lshrrev_b16_e32 v3, 3, v8
	v_subrev_u32_e32 v7, 28, v6
	v_and_b32_e32 v3, 15, v3
	v_lshlrev_b32_e32 v7, v7, v8
	v_sub_u32_e32 v6, 29, v6
	v_and_b32_e32 v7, 7, v7
	v_cmp_eq_u16_e32 vcc, 0, v3
	v_cndmask_b32_e32 v2, v2, v7, vcc
	v_cndmask_b32_e32 v3, v3, v6, vcc
	v_lshlrev_b32_e32 v6, 24, v8
	v_mov_b32_e32 v7, 0x3b800000
	v_lshlrev_b32_e32 v2, 20, v2
	v_and_b32_e32 v6, 0x80000000, v6
	v_lshl_add_u32 v3, v3, 23, v7
	v_or3_b32 v2, v6, v3, v2
.LBB8_708:
	s_or_b64 exec, exec, s[6:7]
	s_movk_i32 s4, 0x7f
	v_cmp_gt_i16_sdwa s[6:7], v4, s4 src0_sel:BYTE_0 src1_sel:DWORD
	s_mov_b64 s[4:5], 0
                                        ; implicit-def: $sgpr10
	s_and_saveexec_b64 s[8:9], s[6:7]
	s_xor_b64 s[6:7], exec, s[8:9]
	s_cbranch_execnz .LBB8_2757
; %bb.709:
	s_or_saveexec_b64 s[6:7], s[6:7]
	v_mov_b32_e32 v3, s10
	s_xor_b64 exec, exec, s[6:7]
	s_cbranch_execnz .LBB8_2760
.LBB8_710:
	s_or_b64 exec, exec, s[6:7]
	s_and_saveexec_b64 s[6:7], s[4:5]
	s_cbranch_execz .LBB8_712
.LBB8_711:
	v_and_b32_e32 v3, 7, v4
	v_ffbh_u32_e32 v7, v3
	v_min_u32_e32 v7, 32, v7
	v_lshrrev_b16_e32 v6, 3, v4
	v_subrev_u32_e32 v10, 28, v7
	v_and_b32_e32 v6, 15, v6
	v_lshlrev_b32_e32 v10, v10, v4
	v_sub_u32_e32 v7, 29, v7
	v_and_b32_e32 v10, 7, v10
	v_cmp_eq_u16_e32 vcc, 0, v6
	v_cndmask_b32_e32 v3, v3, v10, vcc
	v_cndmask_b32_e32 v6, v6, v7, vcc
	v_lshlrev_b32_e32 v7, 24, v4
	v_mov_b32_e32 v10, 0x3b800000
	v_lshlrev_b32_e32 v3, 20, v3
	v_and_b32_e32 v7, 0x80000000, v7
	v_lshl_add_u32 v6, v6, 23, v10
	v_or3_b32 v3, v7, v6, v3
.LBB8_712:
	s_or_b64 exec, exec, s[6:7]
	s_nop 0
	v_mfma_f32_16x16x4f32 a[0:3], v2, v3, a[0:3]
	v_lshrrev_b32_e32 v3, 8, v8
	s_movk_i32 s4, 0x7f
	v_cmp_gt_i16_sdwa s[6:7], v3, s4 src0_sel:BYTE_0 src1_sel:DWORD
	s_mov_b64 s[4:5], 0
                                        ; implicit-def: $sgpr10
	s_and_saveexec_b64 s[8:9], s[6:7]
	s_xor_b64 s[6:7], exec, s[8:9]
	s_cbranch_execnz .LBB8_2761
; %bb.713:
	s_or_saveexec_b64 s[6:7], s[6:7]
	v_mov_b32_e32 v2, s10
	s_xor_b64 exec, exec, s[6:7]
	s_cbranch_execnz .LBB8_2764
.LBB8_714:
	s_or_b64 exec, exec, s[6:7]
	s_and_saveexec_b64 s[6:7], s[4:5]
	s_cbranch_execz .LBB8_716
.LBB8_715:
	v_bfe_u32 v2, v8, 8, 3
	v_ffbh_u32_e32 v7, v2
	v_min_u32_e32 v7, 32, v7
	v_lshrrev_b16_e32 v6, 3, v3
	v_subrev_u32_e32 v10, 28, v7
	v_and_b32_e32 v6, 15, v6
	v_lshlrev_b32_e32 v3, v10, v3
	v_sub_u32_e32 v7, 29, v7
	v_and_b32_e32 v3, 7, v3
	v_cmp_eq_u16_e32 vcc, 0, v6
	v_cndmask_b32_e32 v2, v2, v3, vcc
	v_cndmask_b32_e32 v3, v6, v7, vcc
	v_lshlrev_b32_e32 v6, 16, v8
	v_mov_b32_e32 v7, 0x3b800000
	v_lshlrev_b32_e32 v2, 20, v2
	v_and_b32_e32 v6, 0x80000000, v6
	v_lshl_add_u32 v3, v3, 23, v7
	v_or3_b32 v2, v6, v3, v2
.LBB8_716:
	s_or_b64 exec, exec, s[6:7]
	v_lshrrev_b32_e32 v3, 8, v4
	s_movk_i32 s4, 0x7f
	v_cmp_gt_i16_sdwa s[6:7], v3, s4 src0_sel:BYTE_0 src1_sel:DWORD
	s_mov_b64 s[4:5], 0
                                        ; implicit-def: $sgpr10
	s_and_saveexec_b64 s[8:9], s[6:7]
	s_xor_b64 s[6:7], exec, s[8:9]
	s_cbranch_execnz .LBB8_2765
; %bb.717:
	s_or_saveexec_b64 s[6:7], s[6:7]
	v_mov_b32_e32 v6, s10
	s_xor_b64 exec, exec, s[6:7]
	s_cbranch_execnz .LBB8_2768
.LBB8_718:
	s_or_b64 exec, exec, s[6:7]
	s_and_saveexec_b64 s[6:7], s[4:5]
	s_cbranch_execz .LBB8_720
.LBB8_719:
	v_bfe_u32 v6, v4, 8, 3
	v_ffbh_u32_e32 v10, v6
	v_min_u32_e32 v10, 32, v10
	v_lshrrev_b16_e32 v7, 3, v3
	v_subrev_u32_e32 v11, 28, v10
	v_and_b32_e32 v7, 15, v7
	v_lshlrev_b32_e32 v3, v11, v3
	v_sub_u32_e32 v10, 29, v10
	v_and_b32_e32 v3, 7, v3
	v_cmp_eq_u16_e32 vcc, 0, v7
	v_cndmask_b32_e32 v3, v6, v3, vcc
	v_cndmask_b32_e32 v6, v7, v10, vcc
	v_lshlrev_b32_e32 v7, 16, v4
	v_mov_b32_e32 v10, 0x3b800000
	v_lshlrev_b32_e32 v3, 20, v3
	v_and_b32_e32 v7, 0x80000000, v7
	v_lshl_add_u32 v6, v6, 23, v10
	v_or3_b32 v6, v7, v6, v3
.LBB8_720:
	s_or_b64 exec, exec, s[6:7]
	s_nop 0
	v_mfma_f32_16x16x4f32 a[0:3], v2, v6, a[0:3]
	s_movk_i32 s4, 0xff
	v_and_b32_sdwa v3, v8, s4 dst_sel:DWORD dst_unused:UNUSED_PAD src0_sel:WORD_1 src1_sel:DWORD
	s_movk_i32 s4, 0x7f
	v_cmp_lt_i16_e32 vcc, s4, v3
	s_mov_b64 s[4:5], 0
                                        ; implicit-def: $sgpr10
	s_and_saveexec_b64 s[6:7], vcc
	s_xor_b64 s[6:7], exec, s[6:7]
	s_cbranch_execnz .LBB8_2769
; %bb.721:
	s_or_saveexec_b64 s[6:7], s[6:7]
	v_mov_b32_e32 v2, s10
	s_xor_b64 exec, exec, s[6:7]
	s_cbranch_execnz .LBB8_2772
.LBB8_722:
	s_or_b64 exec, exec, s[6:7]
	s_and_saveexec_b64 s[6:7], s[4:5]
	s_cbranch_execz .LBB8_724
.LBB8_723:
	v_bfe_u32 v2, v8, 16, 3
	v_ffbh_u32_e32 v7, v2
	v_min_u32_e32 v7, 32, v7
	v_lshrrev_b32_e32 v3, 19, v8
	v_subrev_u32_e32 v10, 28, v7
	v_and_b32_e32 v3, 15, v3
	v_lshlrev_b32_sdwa v10, v10, v8 dst_sel:DWORD dst_unused:UNUSED_PAD src0_sel:DWORD src1_sel:WORD_1
	v_bfe_u32 v6, v8, 19, 4
	v_sub_u32_e32 v7, 29, v7
	v_and_b32_e32 v10, 7, v10
	v_cmp_eq_u16_e32 vcc, 0, v3
	v_cndmask_b32_e32 v2, v2, v10, vcc
	v_cndmask_b32_e32 v3, v6, v7, vcc
	v_lshlrev_b32_e32 v6, 8, v8
	v_mov_b32_e32 v7, 0x3b800000
	v_lshlrev_b32_e32 v2, 20, v2
	v_and_b32_e32 v6, 0x80000000, v6
	v_lshl_add_u32 v3, v3, 23, v7
	v_or3_b32 v2, v6, v3, v2
.LBB8_724:
	s_or_b64 exec, exec, s[6:7]
	s_movk_i32 s4, 0xff
	v_and_b32_sdwa v3, v4, s4 dst_sel:DWORD dst_unused:UNUSED_PAD src0_sel:WORD_1 src1_sel:DWORD
	s_movk_i32 s4, 0x7f
	v_cmp_lt_i16_e32 vcc, s4, v3
	s_mov_b64 s[4:5], 0
                                        ; implicit-def: $sgpr10
	s_and_saveexec_b64 s[6:7], vcc
	s_xor_b64 s[6:7], exec, s[6:7]
	s_cbranch_execnz .LBB8_2773
; %bb.725:
	s_or_saveexec_b64 s[6:7], s[6:7]
	v_mov_b32_e32 v6, s10
	s_xor_b64 exec, exec, s[6:7]
	s_cbranch_execnz .LBB8_2776
.LBB8_726:
	s_or_b64 exec, exec, s[6:7]
	s_and_saveexec_b64 s[6:7], s[4:5]
	s_cbranch_execz .LBB8_728
.LBB8_727:
	v_bfe_u32 v3, v4, 16, 3
	v_ffbh_u32_e32 v10, v3
	v_min_u32_e32 v10, 32, v10
	v_lshrrev_b32_e32 v6, 19, v4
	v_subrev_u32_e32 v11, 28, v10
	v_and_b32_e32 v6, 15, v6
	v_lshlrev_b32_sdwa v11, v11, v4 dst_sel:DWORD dst_unused:UNUSED_PAD src0_sel:DWORD src1_sel:WORD_1
	v_bfe_u32 v7, v4, 19, 4
	v_sub_u32_e32 v10, 29, v10
	v_and_b32_e32 v11, 7, v11
	v_cmp_eq_u16_e32 vcc, 0, v6
	v_cndmask_b32_e32 v3, v3, v11, vcc
	v_cndmask_b32_e32 v6, v7, v10, vcc
	v_lshlrev_b32_e32 v7, 8, v4
	v_mov_b32_e32 v10, 0x3b800000
	v_lshlrev_b32_e32 v3, 20, v3
	v_and_b32_e32 v7, 0x80000000, v7
	v_lshl_add_u32 v6, v6, 23, v10
	v_or3_b32 v6, v7, v6, v3
.LBB8_728:
	s_or_b64 exec, exec, s[6:7]
	s_nop 0
	v_mfma_f32_16x16x4f32 a[0:3], v2, v6, a[0:3]
	s_movk_i32 s4, 0x7f
	v_cmp_gt_i16_sdwa s[6:7], v8, s4 src0_sel:BYTE_3 src1_sel:DWORD
	s_mov_b64 s[4:5], 0
                                        ; implicit-def: $sgpr10
	s_and_saveexec_b64 s[8:9], s[6:7]
	s_xor_b64 s[6:7], exec, s[8:9]
	s_cbranch_execnz .LBB8_2777
; %bb.729:
	s_or_saveexec_b64 s[6:7], s[6:7]
	v_mov_b32_e32 v2, s10
	s_xor_b64 exec, exec, s[6:7]
	s_cbranch_execnz .LBB8_2780
.LBB8_730:
	s_or_b64 exec, exec, s[6:7]
	s_and_saveexec_b64 s[6:7], s[4:5]
	s_cbranch_execz .LBB8_732
.LBB8_731:
	v_bfe_u32 v2, v8, 24, 3
	v_ffbh_u32_e32 v10, v2
	v_min_u32_e32 v10, 32, v10
	v_lshrrev_b32_e32 v6, 27, v8
	v_subrev_u32_e32 v11, 28, v10
	v_and_b32_e32 v3, 0x80000000, v8
	v_and_b32_e32 v6, 15, v6
	v_bfe_u32 v7, v8, 27, 4
	v_lshlrev_b32_sdwa v8, v11, v8 dst_sel:DWORD dst_unused:UNUSED_PAD src0_sel:DWORD src1_sel:BYTE_3
	v_sub_u32_e32 v10, 29, v10
	v_and_b32_e32 v8, 7, v8
	v_cmp_eq_u16_e32 vcc, 0, v6
	v_cndmask_b32_e32 v2, v2, v8, vcc
	v_cndmask_b32_e32 v6, v7, v10, vcc
	v_mov_b32_e32 v7, 0x3b800000
	v_lshlrev_b32_e32 v2, 20, v2
	v_lshl_add_u32 v6, v6, 23, v7
	v_or3_b32 v2, v3, v6, v2
.LBB8_732:
	s_or_b64 exec, exec, s[6:7]
	s_movk_i32 s4, 0x7f
	v_cmp_gt_i16_sdwa s[6:7], v4, s4 src0_sel:BYTE_3 src1_sel:DWORD
	s_mov_b64 s[4:5], 0
                                        ; implicit-def: $sgpr10
	s_and_saveexec_b64 s[8:9], s[6:7]
	s_xor_b64 s[6:7], exec, s[8:9]
	s_cbranch_execnz .LBB8_2781
; %bb.733:
	s_or_saveexec_b64 s[6:7], s[6:7]
	v_mov_b32_e32 v3, s10
	s_xor_b64 exec, exec, s[6:7]
	s_cbranch_execnz .LBB8_2784
.LBB8_734:
	s_or_b64 exec, exec, s[6:7]
	s_and_saveexec_b64 s[6:7], s[4:5]
	s_cbranch_execz .LBB8_736
.LBB8_735:
	v_bfe_u32 v3, v4, 24, 3
	v_ffbh_u32_e32 v10, v3
	v_min_u32_e32 v10, 32, v10
	v_lshrrev_b32_e32 v7, 27, v4
	v_subrev_u32_e32 v11, 28, v10
	v_and_b32_e32 v6, 0x80000000, v4
	v_and_b32_e32 v7, 15, v7
	v_bfe_u32 v8, v4, 27, 4
	v_lshlrev_b32_sdwa v4, v11, v4 dst_sel:DWORD dst_unused:UNUSED_PAD src0_sel:DWORD src1_sel:BYTE_3
	v_sub_u32_e32 v10, 29, v10
	v_and_b32_e32 v4, 7, v4
	v_cmp_eq_u16_e32 vcc, 0, v7
	v_cndmask_b32_e32 v3, v3, v4, vcc
	v_cndmask_b32_e32 v4, v8, v10, vcc
	v_mov_b32_e32 v7, 0x3b800000
	v_lshlrev_b32_e32 v3, 20, v3
	v_lshl_add_u32 v4, v4, 23, v7
	v_or3_b32 v3, v6, v4, v3
.LBB8_736:
	s_or_b64 exec, exec, s[6:7]
	s_nop 0
	v_mfma_f32_16x16x4f32 a[0:3], v2, v3, a[0:3]
	s_movk_i32 s4, 0x7f
	v_cmp_gt_i16_sdwa s[6:7], v9, s4 src0_sel:BYTE_0 src1_sel:DWORD
	s_mov_b64 s[4:5], 0
                                        ; implicit-def: $sgpr10
	s_and_saveexec_b64 s[8:9], s[6:7]
	s_xor_b64 s[6:7], exec, s[8:9]
	s_cbranch_execnz .LBB8_2785
; %bb.737:
	s_or_saveexec_b64 s[6:7], s[6:7]
	v_mov_b32_e32 v2, s10
	s_xor_b64 exec, exec, s[6:7]
	s_cbranch_execnz .LBB8_2788
.LBB8_738:
	s_or_b64 exec, exec, s[6:7]
	s_and_saveexec_b64 s[6:7], s[4:5]
	s_cbranch_execz .LBB8_740
.LBB8_739:
	v_mov_b32_e32 v2, 8
	v_and_b32_e32 v3, 7, v9
	v_lshrrev_b32_sdwa v2, v2, v9 dst_sel:BYTE_1 dst_unused:UNUSED_PAD src0_sel:DWORD src1_sel:DWORD
	v_ffbh_u32_e32 v4, v3
	v_or_b32_sdwa v2, v9, v2 dst_sel:DWORD dst_unused:UNUSED_PAD src0_sel:BYTE_0 src1_sel:DWORD
	v_min_u32_e32 v4, 32, v4
	v_lshrrev_b16_e32 v2, 3, v2
	v_subrev_u32_e32 v6, 28, v4
	v_and_b32_e32 v2, 15, v2
	v_lshlrev_b32_e32 v6, v6, v9
	v_sub_u32_e32 v4, 29, v4
	v_and_b32_e32 v6, 7, v6
	v_cmp_eq_u16_e32 vcc, 0, v2
	v_cndmask_b32_e32 v3, v3, v6, vcc
	v_cndmask_b32_e32 v2, v2, v4, vcc
	v_lshlrev_b32_e32 v4, 24, v9
	v_mov_b32_e32 v6, 0x3b800000
	v_lshlrev_b32_e32 v3, 20, v3
	v_and_b32_e32 v4, 0x80000000, v4
	v_lshl_add_u32 v2, v2, 23, v6
	v_or3_b32 v2, v4, v2, v3
.LBB8_740:
	s_or_b64 exec, exec, s[6:7]
	s_movk_i32 s4, 0x7f
	v_cmp_gt_i16_sdwa s[6:7], v5, s4 src0_sel:BYTE_0 src1_sel:DWORD
	s_mov_b64 s[4:5], 0
                                        ; implicit-def: $sgpr10
	s_and_saveexec_b64 s[8:9], s[6:7]
	s_xor_b64 s[6:7], exec, s[8:9]
	s_cbranch_execnz .LBB8_2789
; %bb.741:
	s_or_saveexec_b64 s[6:7], s[6:7]
	v_mov_b32_e32 v3, s10
	s_xor_b64 exec, exec, s[6:7]
	s_cbranch_execnz .LBB8_2792
.LBB8_742:
	s_or_b64 exec, exec, s[6:7]
	s_and_saveexec_b64 s[6:7], s[4:5]
	s_cbranch_execz .LBB8_744
.LBB8_743:
	v_mov_b32_e32 v3, 8
	v_and_b32_e32 v4, 7, v5
	v_lshrrev_b32_sdwa v3, v3, v5 dst_sel:BYTE_1 dst_unused:UNUSED_PAD src0_sel:DWORD src1_sel:DWORD
	v_ffbh_u32_e32 v6, v4
	v_or_b32_sdwa v3, v5, v3 dst_sel:DWORD dst_unused:UNUSED_PAD src0_sel:BYTE_0 src1_sel:DWORD
	v_min_u32_e32 v6, 32, v6
	v_lshrrev_b16_e32 v3, 3, v3
	v_subrev_u32_e32 v7, 28, v6
	v_and_b32_e32 v3, 15, v3
	v_lshlrev_b32_e32 v7, v7, v5
	v_sub_u32_e32 v6, 29, v6
	v_and_b32_e32 v7, 7, v7
	v_cmp_eq_u16_e32 vcc, 0, v3
	v_cndmask_b32_e32 v4, v4, v7, vcc
	v_cndmask_b32_e32 v3, v3, v6, vcc
	v_lshlrev_b32_e32 v6, 24, v5
	v_mov_b32_e32 v7, 0x3b800000
	v_lshlrev_b32_e32 v4, 20, v4
	v_and_b32_e32 v6, 0x80000000, v6
	v_lshl_add_u32 v3, v3, 23, v7
	v_or3_b32 v3, v6, v3, v4
.LBB8_744:
	s_or_b64 exec, exec, s[6:7]
	s_nop 0
	v_mfma_f32_16x16x4f32 a[0:3], v2, v3, a[0:3]
	v_lshrrev_b32_e32 v3, 8, v9
	s_movk_i32 s4, 0x7f
	v_cmp_gt_i16_sdwa s[6:7], v3, s4 src0_sel:BYTE_0 src1_sel:DWORD
	s_mov_b64 s[4:5], 0
                                        ; implicit-def: $sgpr10
	s_and_saveexec_b64 s[8:9], s[6:7]
	s_xor_b64 s[6:7], exec, s[8:9]
	s_cbranch_execnz .LBB8_2793
; %bb.745:
	s_or_saveexec_b64 s[6:7], s[6:7]
	v_mov_b32_e32 v2, s10
	s_xor_b64 exec, exec, s[6:7]
	s_cbranch_execnz .LBB8_2796
.LBB8_746:
	s_or_b64 exec, exec, s[6:7]
	s_and_saveexec_b64 s[6:7], s[4:5]
	s_cbranch_execz .LBB8_748
.LBB8_747:
	v_bfe_u32 v2, v9, 8, 3
	v_ffbh_u32_e32 v6, v2
	v_min_u32_e32 v6, 32, v6
	v_lshrrev_b16_e32 v4, 3, v3
	v_subrev_u32_e32 v7, 28, v6
	v_and_b32_e32 v4, 15, v4
	v_lshlrev_b32_e32 v3, v7, v3
	v_sub_u32_e32 v6, 29, v6
	v_and_b32_e32 v3, 7, v3
	v_cmp_eq_u16_e32 vcc, 0, v4
	v_cndmask_b32_e32 v2, v2, v3, vcc
	v_cndmask_b32_e32 v3, v4, v6, vcc
	v_lshlrev_b32_e32 v4, 16, v9
	v_mov_b32_e32 v6, 0x3b800000
	v_lshlrev_b32_e32 v2, 20, v2
	v_and_b32_e32 v4, 0x80000000, v4
	v_lshl_add_u32 v3, v3, 23, v6
	v_or3_b32 v2, v4, v3, v2
.LBB8_748:
	s_or_b64 exec, exec, s[6:7]
	v_lshrrev_b32_e32 v3, 8, v5
	s_movk_i32 s4, 0x7f
	v_cmp_gt_i16_sdwa s[6:7], v3, s4 src0_sel:BYTE_0 src1_sel:DWORD
	s_mov_b64 s[4:5], 0
                                        ; implicit-def: $sgpr10
	s_and_saveexec_b64 s[8:9], s[6:7]
	s_xor_b64 s[6:7], exec, s[8:9]
	s_cbranch_execnz .LBB8_2797
; %bb.749:
	s_or_saveexec_b64 s[6:7], s[6:7]
	v_mov_b32_e32 v4, s10
	s_xor_b64 exec, exec, s[6:7]
	s_cbranch_execnz .LBB8_2800
.LBB8_750:
	s_or_b64 exec, exec, s[6:7]
	s_and_saveexec_b64 s[6:7], s[4:5]
	s_cbranch_execz .LBB8_752
.LBB8_751:
	v_bfe_u32 v4, v5, 8, 3
	v_ffbh_u32_e32 v7, v4
	v_min_u32_e32 v7, 32, v7
	v_lshrrev_b16_e32 v6, 3, v3
	v_subrev_u32_e32 v8, 28, v7
	v_and_b32_e32 v6, 15, v6
	v_lshlrev_b32_e32 v3, v8, v3
	v_sub_u32_e32 v7, 29, v7
	v_and_b32_e32 v3, 7, v3
	v_cmp_eq_u16_e32 vcc, 0, v6
	v_cndmask_b32_e32 v3, v4, v3, vcc
	v_cndmask_b32_e32 v4, v6, v7, vcc
	v_lshlrev_b32_e32 v6, 16, v5
	v_mov_b32_e32 v7, 0x3b800000
	v_lshlrev_b32_e32 v3, 20, v3
	v_and_b32_e32 v6, 0x80000000, v6
	v_lshl_add_u32 v4, v4, 23, v7
	v_or3_b32 v4, v6, v4, v3
.LBB8_752:
	s_or_b64 exec, exec, s[6:7]
	s_nop 0
	v_mfma_f32_16x16x4f32 a[0:3], v2, v4, a[0:3]
	s_movk_i32 s4, 0xff
	v_and_b32_sdwa v3, v9, s4 dst_sel:DWORD dst_unused:UNUSED_PAD src0_sel:WORD_1 src1_sel:DWORD
	s_movk_i32 s4, 0x7f
	v_cmp_lt_i16_e32 vcc, s4, v3
	s_mov_b64 s[4:5], 0
                                        ; implicit-def: $sgpr10
	s_and_saveexec_b64 s[6:7], vcc
	s_xor_b64 s[6:7], exec, s[6:7]
	s_cbranch_execnz .LBB8_2801
; %bb.753:
	s_or_saveexec_b64 s[6:7], s[6:7]
	v_mov_b32_e32 v2, s10
	s_xor_b64 exec, exec, s[6:7]
	s_cbranch_execnz .LBB8_2804
.LBB8_754:
	s_or_b64 exec, exec, s[6:7]
	s_and_saveexec_b64 s[6:7], s[4:5]
	s_cbranch_execz .LBB8_756
.LBB8_755:
	v_bfe_u32 v2, v9, 16, 3
	v_ffbh_u32_e32 v6, v2
	v_min_u32_e32 v6, 32, v6
	v_lshrrev_b32_e32 v3, 19, v9
	v_subrev_u32_e32 v7, 28, v6
	v_and_b32_e32 v3, 15, v3
	v_lshlrev_b32_sdwa v7, v7, v9 dst_sel:DWORD dst_unused:UNUSED_PAD src0_sel:DWORD src1_sel:WORD_1
	v_bfe_u32 v4, v9, 19, 4
	v_sub_u32_e32 v6, 29, v6
	v_and_b32_e32 v7, 7, v7
	v_cmp_eq_u16_e32 vcc, 0, v3
	v_cndmask_b32_e32 v2, v2, v7, vcc
	v_cndmask_b32_e32 v3, v4, v6, vcc
	v_lshlrev_b32_e32 v4, 8, v9
	v_mov_b32_e32 v6, 0x3b800000
	v_lshlrev_b32_e32 v2, 20, v2
	v_and_b32_e32 v4, 0x80000000, v4
	v_lshl_add_u32 v3, v3, 23, v6
	v_or3_b32 v2, v4, v3, v2
.LBB8_756:
	s_or_b64 exec, exec, s[6:7]
	s_movk_i32 s4, 0xff
	v_and_b32_sdwa v3, v5, s4 dst_sel:DWORD dst_unused:UNUSED_PAD src0_sel:WORD_1 src1_sel:DWORD
	s_movk_i32 s4, 0x7f
	v_cmp_lt_i16_e32 vcc, s4, v3
	s_mov_b64 s[4:5], 0
                                        ; implicit-def: $sgpr10
	s_and_saveexec_b64 s[6:7], vcc
	s_xor_b64 s[6:7], exec, s[6:7]
	s_cbranch_execnz .LBB8_2805
; %bb.757:
	s_or_saveexec_b64 s[6:7], s[6:7]
	v_mov_b32_e32 v4, s10
	s_xor_b64 exec, exec, s[6:7]
	s_cbranch_execnz .LBB8_2808
.LBB8_758:
	s_or_b64 exec, exec, s[6:7]
	s_and_saveexec_b64 s[6:7], s[4:5]
	s_cbranch_execz .LBB8_760
.LBB8_759:
	v_bfe_u32 v3, v5, 16, 3
	v_ffbh_u32_e32 v7, v3
	v_min_u32_e32 v7, 32, v7
	v_lshrrev_b32_e32 v4, 19, v5
	v_subrev_u32_e32 v8, 28, v7
	v_and_b32_e32 v4, 15, v4
	v_lshlrev_b32_sdwa v8, v8, v5 dst_sel:DWORD dst_unused:UNUSED_PAD src0_sel:DWORD src1_sel:WORD_1
	v_bfe_u32 v6, v5, 19, 4
	v_sub_u32_e32 v7, 29, v7
	v_and_b32_e32 v8, 7, v8
	v_cmp_eq_u16_e32 vcc, 0, v4
	v_cndmask_b32_e32 v3, v3, v8, vcc
	v_cndmask_b32_e32 v4, v6, v7, vcc
	v_lshlrev_b32_e32 v6, 8, v5
	v_mov_b32_e32 v7, 0x3b800000
	v_lshlrev_b32_e32 v3, 20, v3
	v_and_b32_e32 v6, 0x80000000, v6
	v_lshl_add_u32 v4, v4, 23, v7
	v_or3_b32 v4, v6, v4, v3
.LBB8_760:
	s_or_b64 exec, exec, s[6:7]
	s_nop 0
	v_mfma_f32_16x16x4f32 a[0:3], v2, v4, a[0:3]
	s_movk_i32 s4, 0x7f
	v_cmp_gt_i16_sdwa s[6:7], v9, s4 src0_sel:BYTE_3 src1_sel:DWORD
	s_mov_b64 s[4:5], 0
                                        ; implicit-def: $sgpr10
	s_and_saveexec_b64 s[8:9], s[6:7]
	s_xor_b64 s[6:7], exec, s[8:9]
	s_cbranch_execnz .LBB8_2809
; %bb.761:
	s_or_saveexec_b64 s[6:7], s[6:7]
	v_mov_b32_e32 v2, s10
	s_xor_b64 exec, exec, s[6:7]
	s_cbranch_execnz .LBB8_2812
.LBB8_762:
	s_or_b64 exec, exec, s[6:7]
	s_and_saveexec_b64 s[6:7], s[4:5]
	s_cbranch_execz .LBB8_764
.LBB8_763:
	v_bfe_u32 v2, v9, 24, 3
	v_ffbh_u32_e32 v7, v2
	v_min_u32_e32 v7, 32, v7
	v_lshrrev_b32_e32 v4, 27, v9
	v_subrev_u32_e32 v8, 28, v7
	v_and_b32_e32 v4, 15, v4
	v_lshlrev_b32_sdwa v8, v8, v9 dst_sel:DWORD dst_unused:UNUSED_PAD src0_sel:DWORD src1_sel:BYTE_3
	v_bfe_u32 v6, v9, 27, 4
	v_sub_u32_e32 v7, 29, v7
	v_and_b32_e32 v8, 7, v8
	v_cmp_eq_u16_e32 vcc, 0, v4
	v_cndmask_b32_e32 v2, v2, v8, vcc
	v_cndmask_b32_e32 v4, v6, v7, vcc
	v_mov_b32_e32 v6, 0x3b800000
	v_and_b32_e32 v3, 0x80000000, v9
	v_lshlrev_b32_e32 v2, 20, v2
	v_lshl_add_u32 v4, v4, 23, v6
	v_or3_b32 v2, v3, v4, v2
.LBB8_764:
	s_or_b64 exec, exec, s[6:7]
	s_movk_i32 s4, 0x7f
	v_cmp_gt_i16_sdwa s[6:7], v5, s4 src0_sel:BYTE_3 src1_sel:DWORD
	s_mov_b64 s[4:5], 0
                                        ; implicit-def: $sgpr10
	s_and_saveexec_b64 s[8:9], s[6:7]
	s_xor_b64 s[6:7], exec, s[8:9]
	s_cbranch_execnz .LBB8_2813
; %bb.765:
	s_or_saveexec_b64 s[6:7], s[6:7]
	v_mov_b32_e32 v3, s10
	s_xor_b64 exec, exec, s[6:7]
	s_cbranch_execnz .LBB8_2816
.LBB8_766:
	s_or_b64 exec, exec, s[6:7]
	s_and_saveexec_b64 s[6:7], s[4:5]
	s_cbranch_execz .LBB8_768
.LBB8_767:
	v_bfe_u32 v3, v5, 24, 3
	v_ffbh_u32_e32 v8, v3
	v_min_u32_e32 v8, 32, v8
	v_lshrrev_b32_e32 v6, 27, v5
	v_subrev_u32_e32 v9, 28, v8
	v_and_b32_e32 v4, 0x80000000, v5
	v_and_b32_e32 v6, 15, v6
	v_bfe_u32 v7, v5, 27, 4
	v_lshlrev_b32_sdwa v5, v9, v5 dst_sel:DWORD dst_unused:UNUSED_PAD src0_sel:DWORD src1_sel:BYTE_3
	v_sub_u32_e32 v8, 29, v8
	v_and_b32_e32 v5, 7, v5
	v_cmp_eq_u16_e32 vcc, 0, v6
	v_cndmask_b32_e32 v3, v3, v5, vcc
	v_cndmask_b32_e32 v5, v7, v8, vcc
	v_mov_b32_e32 v6, 0x3b800000
	v_lshlrev_b32_e32 v3, 20, v3
	v_lshl_add_u32 v5, v5, 23, v6
	v_or3_b32 v3, v4, v5, v3
.LBB8_768:
	s_or_b64 exec, exec, s[6:7]
	s_nop 0
	v_mfma_f32_16x16x4f32 a[0:3], v2, v3, a[0:3]
	s_movk_i32 s4, 0x7f
                                        ; implicit-def: $sgpr10
	s_nop 7
	s_nop 1
	flat_store_dwordx4 v[18:19], a[0:3] offset:800
	flat_load_dwordx4 v[20:23], v[0:1] offset:16
	s_nop 0
	flat_load_dwordx2 v[18:19], v[0:1] offset:32
	s_waitcnt vmcnt(0) lgkmcnt(0)
	flat_load_dwordx4 v[14:17], v[20:21]
	flat_load_dwordx4 v[6:9], v[20:21] offset:16
	flat_load_dwordx4 v[10:13], v[22:23] offset:96
	;; [unrolled: 1-line block ×3, first 2 shown]
	s_waitcnt vmcnt(0) lgkmcnt(0)
	v_cmp_gt_i16_sdwa s[6:7], v14, s4 src0_sel:BYTE_0 src1_sel:DWORD
	s_mov_b64 s[4:5], 0
	s_and_saveexec_b64 s[8:9], s[6:7]
	s_xor_b64 s[6:7], exec, s[8:9]
	s_cbranch_execnz .LBB8_2817
; %bb.769:
	s_or_saveexec_b64 s[6:7], s[6:7]
	v_mov_b32_e32 v20, s10
	s_xor_b64 exec, exec, s[6:7]
	s_cbranch_execnz .LBB8_2820
.LBB8_770:
	s_or_b64 exec, exec, s[6:7]
	s_and_saveexec_b64 s[6:7], s[4:5]
	s_cbranch_execz .LBB8_772
.LBB8_771:
	v_and_b32_e32 v20, 7, v14
	v_ffbh_u32_e32 v22, v20
	v_min_u32_e32 v22, 32, v22
	v_lshrrev_b16_e32 v21, 3, v14
	v_subrev_u32_e32 v23, 28, v22
	v_and_b32_e32 v21, 15, v21
	v_lshlrev_b32_e32 v23, v23, v14
	v_sub_u32_e32 v22, 29, v22
	v_and_b32_e32 v23, 7, v23
	v_cmp_eq_u16_e32 vcc, 0, v21
	v_cndmask_b32_e32 v20, v20, v23, vcc
	v_cndmask_b32_e32 v21, v21, v22, vcc
	v_lshlrev_b32_e32 v22, 24, v14
	v_mov_b32_e32 v23, 0x3b800000
	v_lshlrev_b32_e32 v20, 20, v20
	v_and_b32_e32 v22, 0x80000000, v22
	v_lshl_add_u32 v21, v21, 23, v23
	v_or3_b32 v20, v22, v21, v20
.LBB8_772:
	s_or_b64 exec, exec, s[6:7]
	s_movk_i32 s4, 0x7f
	v_cmp_gt_i16_sdwa s[6:7], v10, s4 src0_sel:BYTE_0 src1_sel:DWORD
	s_mov_b64 s[4:5], 0
                                        ; implicit-def: $sgpr10
	s_and_saveexec_b64 s[8:9], s[6:7]
	s_xor_b64 s[6:7], exec, s[8:9]
	s_cbranch_execnz .LBB8_2821
; %bb.773:
	s_or_saveexec_b64 s[6:7], s[6:7]
	v_mov_b32_e32 v21, s10
	s_xor_b64 exec, exec, s[6:7]
	s_cbranch_execnz .LBB8_2824
.LBB8_774:
	s_or_b64 exec, exec, s[6:7]
	s_and_saveexec_b64 s[6:7], s[4:5]
	s_cbranch_execz .LBB8_776
.LBB8_775:
	v_and_b32_e32 v21, 7, v10
	v_ffbh_u32_e32 v23, v21
	v_min_u32_e32 v23, 32, v23
	v_lshrrev_b16_e32 v22, 3, v10
	v_subrev_u32_e32 v24, 28, v23
	v_and_b32_e32 v22, 15, v22
	v_lshlrev_b32_e32 v24, v24, v10
	v_sub_u32_e32 v23, 29, v23
	v_and_b32_e32 v24, 7, v24
	v_cmp_eq_u16_e32 vcc, 0, v22
	v_cndmask_b32_e32 v21, v21, v24, vcc
	v_cndmask_b32_e32 v22, v22, v23, vcc
	v_lshlrev_b32_e32 v23, 24, v10
	v_mov_b32_e32 v24, 0x3b800000
	v_lshlrev_b32_e32 v21, 20, v21
	v_and_b32_e32 v23, 0x80000000, v23
	v_lshl_add_u32 v22, v22, 23, v24
	v_or3_b32 v21, v23, v22, v21
.LBB8_776:
	s_or_b64 exec, exec, s[6:7]
	flat_load_dwordx4 a[0:3], v[18:19] offset:816
	s_movk_i32 s4, 0x7f
                                        ; implicit-def: $sgpr10
	s_waitcnt vmcnt(0) lgkmcnt(0)
	v_mfma_f32_16x16x4f32 a[0:3], v20, v21, a[0:3]
	v_lshrrev_b32_e32 v21, 8, v14
	v_cmp_gt_i16_sdwa s[6:7], v21, s4 src0_sel:BYTE_0 src1_sel:DWORD
	s_mov_b64 s[4:5], 0
	s_and_saveexec_b64 s[8:9], s[6:7]
	s_xor_b64 s[6:7], exec, s[8:9]
	s_cbranch_execnz .LBB8_2825
; %bb.777:
	s_or_saveexec_b64 s[6:7], s[6:7]
	v_mov_b32_e32 v20, s10
	s_xor_b64 exec, exec, s[6:7]
	s_cbranch_execnz .LBB8_2828
.LBB8_778:
	s_or_b64 exec, exec, s[6:7]
	s_and_saveexec_b64 s[6:7], s[4:5]
	s_cbranch_execz .LBB8_780
.LBB8_779:
	v_bfe_u32 v20, v14, 8, 3
	v_ffbh_u32_e32 v23, v20
	v_min_u32_e32 v23, 32, v23
	v_lshrrev_b16_e32 v22, 3, v21
	v_subrev_u32_e32 v24, 28, v23
	v_and_b32_e32 v22, 15, v22
	v_lshlrev_b32_e32 v21, v24, v21
	v_sub_u32_e32 v23, 29, v23
	v_and_b32_e32 v21, 7, v21
	v_cmp_eq_u16_e32 vcc, 0, v22
	v_cndmask_b32_e32 v20, v20, v21, vcc
	v_cndmask_b32_e32 v21, v22, v23, vcc
	v_lshlrev_b32_e32 v22, 16, v14
	v_mov_b32_e32 v23, 0x3b800000
	v_lshlrev_b32_e32 v20, 20, v20
	v_and_b32_e32 v22, 0x80000000, v22
	v_lshl_add_u32 v21, v21, 23, v23
	v_or3_b32 v20, v22, v21, v20
.LBB8_780:
	s_or_b64 exec, exec, s[6:7]
	v_lshrrev_b32_e32 v21, 8, v10
	s_movk_i32 s4, 0x7f
	v_cmp_gt_i16_sdwa s[6:7], v21, s4 src0_sel:BYTE_0 src1_sel:DWORD
	s_mov_b64 s[4:5], 0
                                        ; implicit-def: $sgpr10
	s_and_saveexec_b64 s[8:9], s[6:7]
	s_xor_b64 s[6:7], exec, s[8:9]
	s_cbranch_execnz .LBB8_2829
; %bb.781:
	s_or_saveexec_b64 s[6:7], s[6:7]
	v_mov_b32_e32 v22, s10
	s_xor_b64 exec, exec, s[6:7]
	s_cbranch_execnz .LBB8_2832
.LBB8_782:
	s_or_b64 exec, exec, s[6:7]
	s_and_saveexec_b64 s[6:7], s[4:5]
	s_cbranch_execz .LBB8_784
.LBB8_783:
	v_bfe_u32 v22, v10, 8, 3
	v_ffbh_u32_e32 v24, v22
	v_min_u32_e32 v24, 32, v24
	v_lshrrev_b16_e32 v23, 3, v21
	v_subrev_u32_e32 v25, 28, v24
	v_and_b32_e32 v23, 15, v23
	v_lshlrev_b32_e32 v21, v25, v21
	v_sub_u32_e32 v24, 29, v24
	v_and_b32_e32 v21, 7, v21
	v_cmp_eq_u16_e32 vcc, 0, v23
	v_cndmask_b32_e32 v21, v22, v21, vcc
	v_cndmask_b32_e32 v22, v23, v24, vcc
	v_lshlrev_b32_e32 v23, 16, v10
	v_mov_b32_e32 v24, 0x3b800000
	v_lshlrev_b32_e32 v21, 20, v21
	v_and_b32_e32 v23, 0x80000000, v23
	v_lshl_add_u32 v22, v22, 23, v24
	v_or3_b32 v22, v23, v22, v21
.LBB8_784:
	s_or_b64 exec, exec, s[6:7]
	s_nop 0
	v_mfma_f32_16x16x4f32 a[0:3], v20, v22, a[0:3]
	s_movk_i32 s4, 0xff
	v_and_b32_sdwa v21, v14, s4 dst_sel:DWORD dst_unused:UNUSED_PAD src0_sel:WORD_1 src1_sel:DWORD
	s_movk_i32 s4, 0x7f
	v_cmp_lt_i16_e32 vcc, s4, v21
	s_mov_b64 s[4:5], 0
                                        ; implicit-def: $sgpr10
	s_and_saveexec_b64 s[6:7], vcc
	s_xor_b64 s[6:7], exec, s[6:7]
	s_cbranch_execnz .LBB8_2833
; %bb.785:
	s_or_saveexec_b64 s[6:7], s[6:7]
	v_mov_b32_e32 v20, s10
	s_xor_b64 exec, exec, s[6:7]
	s_cbranch_execnz .LBB8_2836
.LBB8_786:
	s_or_b64 exec, exec, s[6:7]
	s_and_saveexec_b64 s[6:7], s[4:5]
	s_cbranch_execz .LBB8_788
.LBB8_787:
	v_bfe_u32 v20, v14, 16, 3
	v_ffbh_u32_e32 v23, v20
	v_min_u32_e32 v23, 32, v23
	v_lshrrev_b32_e32 v21, 19, v14
	v_subrev_u32_e32 v24, 28, v23
	v_and_b32_e32 v21, 15, v21
	v_lshlrev_b32_sdwa v24, v24, v14 dst_sel:DWORD dst_unused:UNUSED_PAD src0_sel:DWORD src1_sel:WORD_1
	v_bfe_u32 v22, v14, 19, 4
	v_sub_u32_e32 v23, 29, v23
	v_and_b32_e32 v24, 7, v24
	v_cmp_eq_u16_e32 vcc, 0, v21
	v_cndmask_b32_e32 v20, v20, v24, vcc
	v_cndmask_b32_e32 v21, v22, v23, vcc
	v_lshlrev_b32_e32 v22, 8, v14
	v_mov_b32_e32 v23, 0x3b800000
	v_lshlrev_b32_e32 v20, 20, v20
	v_and_b32_e32 v22, 0x80000000, v22
	v_lshl_add_u32 v21, v21, 23, v23
	v_or3_b32 v20, v22, v21, v20
.LBB8_788:
	s_or_b64 exec, exec, s[6:7]
	s_movk_i32 s4, 0xff
	v_and_b32_sdwa v21, v10, s4 dst_sel:DWORD dst_unused:UNUSED_PAD src0_sel:WORD_1 src1_sel:DWORD
	s_movk_i32 s4, 0x7f
	v_cmp_lt_i16_e32 vcc, s4, v21
	s_mov_b64 s[4:5], 0
                                        ; implicit-def: $sgpr10
	s_and_saveexec_b64 s[6:7], vcc
	s_xor_b64 s[6:7], exec, s[6:7]
	s_cbranch_execnz .LBB8_2837
; %bb.789:
	s_or_saveexec_b64 s[6:7], s[6:7]
	v_mov_b32_e32 v22, s10
	s_xor_b64 exec, exec, s[6:7]
	s_cbranch_execnz .LBB8_2840
.LBB8_790:
	s_or_b64 exec, exec, s[6:7]
	s_and_saveexec_b64 s[6:7], s[4:5]
	s_cbranch_execz .LBB8_792
.LBB8_791:
	v_bfe_u32 v21, v10, 16, 3
	v_ffbh_u32_e32 v24, v21
	v_min_u32_e32 v24, 32, v24
	v_lshrrev_b32_e32 v22, 19, v10
	v_subrev_u32_e32 v25, 28, v24
	v_and_b32_e32 v22, 15, v22
	v_lshlrev_b32_sdwa v25, v25, v10 dst_sel:DWORD dst_unused:UNUSED_PAD src0_sel:DWORD src1_sel:WORD_1
	v_bfe_u32 v23, v10, 19, 4
	v_sub_u32_e32 v24, 29, v24
	v_and_b32_e32 v25, 7, v25
	v_cmp_eq_u16_e32 vcc, 0, v22
	v_cndmask_b32_e32 v21, v21, v25, vcc
	v_cndmask_b32_e32 v22, v23, v24, vcc
	v_lshlrev_b32_e32 v23, 8, v10
	v_mov_b32_e32 v24, 0x3b800000
	v_lshlrev_b32_e32 v21, 20, v21
	v_and_b32_e32 v23, 0x80000000, v23
	v_lshl_add_u32 v22, v22, 23, v24
	v_or3_b32 v22, v23, v22, v21
.LBB8_792:
	s_or_b64 exec, exec, s[6:7]
	s_nop 0
	v_mfma_f32_16x16x4f32 a[0:3], v20, v22, a[0:3]
	s_movk_i32 s4, 0x7f
	v_cmp_gt_i16_sdwa s[6:7], v14, s4 src0_sel:BYTE_3 src1_sel:DWORD
	s_mov_b64 s[4:5], 0
                                        ; implicit-def: $sgpr10
	s_and_saveexec_b64 s[8:9], s[6:7]
	s_xor_b64 s[6:7], exec, s[8:9]
	s_cbranch_execnz .LBB8_2841
; %bb.793:
	s_or_saveexec_b64 s[6:7], s[6:7]
	v_mov_b32_e32 v20, s10
	s_xor_b64 exec, exec, s[6:7]
	s_cbranch_execnz .LBB8_2844
.LBB8_794:
	s_or_b64 exec, exec, s[6:7]
	s_and_saveexec_b64 s[6:7], s[4:5]
	s_cbranch_execz .LBB8_796
.LBB8_795:
	v_bfe_u32 v20, v14, 24, 3
	v_ffbh_u32_e32 v24, v20
	v_min_u32_e32 v24, 32, v24
	v_lshrrev_b32_e32 v22, 27, v14
	v_subrev_u32_e32 v25, 28, v24
	v_and_b32_e32 v21, 0x80000000, v14
	v_and_b32_e32 v22, 15, v22
	v_bfe_u32 v23, v14, 27, 4
	v_lshlrev_b32_sdwa v14, v25, v14 dst_sel:DWORD dst_unused:UNUSED_PAD src0_sel:DWORD src1_sel:BYTE_3
	v_sub_u32_e32 v24, 29, v24
	v_and_b32_e32 v14, 7, v14
	v_cmp_eq_u16_e32 vcc, 0, v22
	v_cndmask_b32_e32 v14, v20, v14, vcc
	v_cndmask_b32_e32 v20, v23, v24, vcc
	v_mov_b32_e32 v22, 0x3b800000
	v_lshlrev_b32_e32 v14, 20, v14
	v_lshl_add_u32 v20, v20, 23, v22
	v_or3_b32 v20, v21, v20, v14
.LBB8_796:
	s_or_b64 exec, exec, s[6:7]
	s_movk_i32 s4, 0x7f
	v_cmp_gt_i16_sdwa s[6:7], v10, s4 src0_sel:BYTE_3 src1_sel:DWORD
	s_mov_b64 s[4:5], 0
                                        ; implicit-def: $sgpr10
	s_and_saveexec_b64 s[8:9], s[6:7]
	s_xor_b64 s[6:7], exec, s[8:9]
	s_cbranch_execnz .LBB8_2845
; %bb.797:
	s_or_saveexec_b64 s[6:7], s[6:7]
	v_mov_b32_e32 v14, s10
	s_xor_b64 exec, exec, s[6:7]
	s_cbranch_execnz .LBB8_2848
.LBB8_798:
	s_or_b64 exec, exec, s[6:7]
	s_and_saveexec_b64 s[6:7], s[4:5]
	s_cbranch_execz .LBB8_800
.LBB8_799:
	v_bfe_u32 v14, v10, 24, 3
	v_ffbh_u32_e32 v24, v14
	v_min_u32_e32 v24, 32, v24
	v_lshrrev_b32_e32 v22, 27, v10
	v_subrev_u32_e32 v25, 28, v24
	v_and_b32_e32 v21, 0x80000000, v10
	v_and_b32_e32 v22, 15, v22
	v_bfe_u32 v23, v10, 27, 4
	v_lshlrev_b32_sdwa v10, v25, v10 dst_sel:DWORD dst_unused:UNUSED_PAD src0_sel:DWORD src1_sel:BYTE_3
	v_sub_u32_e32 v24, 29, v24
	v_and_b32_e32 v10, 7, v10
	v_cmp_eq_u16_e32 vcc, 0, v22
	v_cndmask_b32_e32 v10, v14, v10, vcc
	v_cndmask_b32_e32 v14, v23, v24, vcc
	v_mov_b32_e32 v22, 0x3b800000
	v_lshlrev_b32_e32 v10, 20, v10
	v_lshl_add_u32 v14, v14, 23, v22
	v_or3_b32 v14, v21, v14, v10
.LBB8_800:
	s_or_b64 exec, exec, s[6:7]
	s_nop 0
	v_mfma_f32_16x16x4f32 a[0:3], v20, v14, a[0:3]
	s_movk_i32 s4, 0x7f
	v_cmp_gt_i16_sdwa s[6:7], v15, s4 src0_sel:BYTE_0 src1_sel:DWORD
	s_mov_b64 s[4:5], 0
                                        ; implicit-def: $sgpr10
	s_and_saveexec_b64 s[8:9], s[6:7]
	s_xor_b64 s[6:7], exec, s[8:9]
	s_cbranch_execnz .LBB8_2849
; %bb.801:
	s_or_saveexec_b64 s[6:7], s[6:7]
	v_mov_b32_e32 v10, s10
	s_xor_b64 exec, exec, s[6:7]
	s_cbranch_execnz .LBB8_2852
.LBB8_802:
	s_or_b64 exec, exec, s[6:7]
	s_and_saveexec_b64 s[6:7], s[4:5]
	s_cbranch_execz .LBB8_804
.LBB8_803:
	v_and_b32_e32 v10, 7, v15
	v_ffbh_u32_e32 v20, v10
	v_min_u32_e32 v20, 32, v20
	v_lshrrev_b16_e32 v14, 3, v15
	v_subrev_u32_e32 v21, 28, v20
	v_and_b32_e32 v14, 15, v14
	v_lshlrev_b32_e32 v21, v21, v15
	v_sub_u32_e32 v20, 29, v20
	v_and_b32_e32 v21, 7, v21
	v_cmp_eq_u16_e32 vcc, 0, v14
	v_cndmask_b32_e32 v10, v10, v21, vcc
	v_cndmask_b32_e32 v14, v14, v20, vcc
	v_lshlrev_b32_e32 v20, 24, v15
	v_mov_b32_e32 v21, 0x3b800000
	v_lshlrev_b32_e32 v10, 20, v10
	v_and_b32_e32 v20, 0x80000000, v20
	v_lshl_add_u32 v14, v14, 23, v21
	v_or3_b32 v10, v20, v14, v10
.LBB8_804:
	s_or_b64 exec, exec, s[6:7]
	s_movk_i32 s4, 0x7f
	v_cmp_gt_i16_sdwa s[6:7], v11, s4 src0_sel:BYTE_0 src1_sel:DWORD
	s_mov_b64 s[4:5], 0
                                        ; implicit-def: $sgpr10
	s_and_saveexec_b64 s[8:9], s[6:7]
	s_xor_b64 s[6:7], exec, s[8:9]
	s_cbranch_execnz .LBB8_2853
; %bb.805:
	s_or_saveexec_b64 s[6:7], s[6:7]
	v_mov_b32_e32 v14, s10
	s_xor_b64 exec, exec, s[6:7]
	s_cbranch_execnz .LBB8_2856
.LBB8_806:
	s_or_b64 exec, exec, s[6:7]
	s_and_saveexec_b64 s[6:7], s[4:5]
	s_cbranch_execz .LBB8_808
.LBB8_807:
	v_and_b32_e32 v14, 7, v11
	v_ffbh_u32_e32 v21, v14
	v_min_u32_e32 v21, 32, v21
	v_lshrrev_b16_e32 v20, 3, v11
	v_subrev_u32_e32 v22, 28, v21
	v_and_b32_e32 v20, 15, v20
	v_lshlrev_b32_e32 v22, v22, v11
	v_sub_u32_e32 v21, 29, v21
	v_and_b32_e32 v22, 7, v22
	v_cmp_eq_u16_e32 vcc, 0, v20
	v_cndmask_b32_e32 v14, v14, v22, vcc
	v_cndmask_b32_e32 v20, v20, v21, vcc
	v_lshlrev_b32_e32 v21, 24, v11
	v_mov_b32_e32 v22, 0x3b800000
	v_lshlrev_b32_e32 v14, 20, v14
	v_and_b32_e32 v21, 0x80000000, v21
	v_lshl_add_u32 v20, v20, 23, v22
	v_or3_b32 v14, v21, v20, v14
.LBB8_808:
	s_or_b64 exec, exec, s[6:7]
	s_nop 0
	v_mfma_f32_16x16x4f32 a[0:3], v10, v14, a[0:3]
	v_lshrrev_b32_e32 v14, 8, v15
	s_movk_i32 s4, 0x7f
	v_cmp_gt_i16_sdwa s[6:7], v14, s4 src0_sel:BYTE_0 src1_sel:DWORD
	s_mov_b64 s[4:5], 0
                                        ; implicit-def: $sgpr10
	s_and_saveexec_b64 s[8:9], s[6:7]
	s_xor_b64 s[6:7], exec, s[8:9]
	s_cbranch_execnz .LBB8_2857
; %bb.809:
	s_or_saveexec_b64 s[6:7], s[6:7]
	v_mov_b32_e32 v10, s10
	s_xor_b64 exec, exec, s[6:7]
	s_cbranch_execnz .LBB8_2860
.LBB8_810:
	s_or_b64 exec, exec, s[6:7]
	s_and_saveexec_b64 s[6:7], s[4:5]
	s_cbranch_execz .LBB8_812
.LBB8_811:
	v_bfe_u32 v10, v15, 8, 3
	v_ffbh_u32_e32 v21, v10
	v_min_u32_e32 v21, 32, v21
	v_lshrrev_b16_e32 v20, 3, v14
	v_subrev_u32_e32 v22, 28, v21
	v_and_b32_e32 v20, 15, v20
	v_lshlrev_b32_e32 v14, v22, v14
	v_sub_u32_e32 v21, 29, v21
	v_and_b32_e32 v14, 7, v14
	v_cmp_eq_u16_e32 vcc, 0, v20
	v_cndmask_b32_e32 v10, v10, v14, vcc
	v_cndmask_b32_e32 v14, v20, v21, vcc
	v_lshlrev_b32_e32 v20, 16, v15
	v_mov_b32_e32 v21, 0x3b800000
	v_lshlrev_b32_e32 v10, 20, v10
	v_and_b32_e32 v20, 0x80000000, v20
	v_lshl_add_u32 v14, v14, 23, v21
	v_or3_b32 v10, v20, v14, v10
.LBB8_812:
	s_or_b64 exec, exec, s[6:7]
	v_lshrrev_b32_e32 v14, 8, v11
	s_movk_i32 s4, 0x7f
	v_cmp_gt_i16_sdwa s[6:7], v14, s4 src0_sel:BYTE_0 src1_sel:DWORD
	s_mov_b64 s[4:5], 0
                                        ; implicit-def: $sgpr10
	s_and_saveexec_b64 s[8:9], s[6:7]
	s_xor_b64 s[6:7], exec, s[8:9]
	s_cbranch_execnz .LBB8_2861
; %bb.813:
	s_or_saveexec_b64 s[6:7], s[6:7]
	v_mov_b32_e32 v20, s10
	s_xor_b64 exec, exec, s[6:7]
	s_cbranch_execnz .LBB8_2864
.LBB8_814:
	s_or_b64 exec, exec, s[6:7]
	s_and_saveexec_b64 s[6:7], s[4:5]
	s_cbranch_execz .LBB8_816
.LBB8_815:
	v_bfe_u32 v20, v11, 8, 3
	v_ffbh_u32_e32 v22, v20
	v_min_u32_e32 v22, 32, v22
	v_lshrrev_b16_e32 v21, 3, v14
	v_subrev_u32_e32 v23, 28, v22
	v_and_b32_e32 v21, 15, v21
	v_lshlrev_b32_e32 v14, v23, v14
	v_sub_u32_e32 v22, 29, v22
	v_and_b32_e32 v14, 7, v14
	v_cmp_eq_u16_e32 vcc, 0, v21
	v_cndmask_b32_e32 v14, v20, v14, vcc
	v_cndmask_b32_e32 v20, v21, v22, vcc
	v_lshlrev_b32_e32 v21, 16, v11
	v_mov_b32_e32 v22, 0x3b800000
	v_lshlrev_b32_e32 v14, 20, v14
	v_and_b32_e32 v21, 0x80000000, v21
	v_lshl_add_u32 v20, v20, 23, v22
	v_or3_b32 v20, v21, v20, v14
.LBB8_816:
	s_or_b64 exec, exec, s[6:7]
	s_nop 0
	v_mfma_f32_16x16x4f32 a[0:3], v10, v20, a[0:3]
	s_movk_i32 s4, 0xff
	v_and_b32_sdwa v14, v15, s4 dst_sel:DWORD dst_unused:UNUSED_PAD src0_sel:WORD_1 src1_sel:DWORD
	s_movk_i32 s4, 0x7f
	v_cmp_lt_i16_e32 vcc, s4, v14
	s_mov_b64 s[4:5], 0
                                        ; implicit-def: $sgpr10
	s_and_saveexec_b64 s[6:7], vcc
	s_xor_b64 s[6:7], exec, s[6:7]
	s_cbranch_execnz .LBB8_2865
; %bb.817:
	s_or_saveexec_b64 s[6:7], s[6:7]
	v_mov_b32_e32 v10, s10
	s_xor_b64 exec, exec, s[6:7]
	s_cbranch_execnz .LBB8_2868
.LBB8_818:
	s_or_b64 exec, exec, s[6:7]
	s_and_saveexec_b64 s[6:7], s[4:5]
	s_cbranch_execz .LBB8_820
.LBB8_819:
	v_bfe_u32 v10, v15, 16, 3
	v_ffbh_u32_e32 v21, v10
	v_min_u32_e32 v21, 32, v21
	v_lshrrev_b32_e32 v14, 19, v15
	v_subrev_u32_e32 v22, 28, v21
	v_and_b32_e32 v14, 15, v14
	v_lshlrev_b32_sdwa v22, v22, v15 dst_sel:DWORD dst_unused:UNUSED_PAD src0_sel:DWORD src1_sel:WORD_1
	v_bfe_u32 v20, v15, 19, 4
	v_sub_u32_e32 v21, 29, v21
	v_and_b32_e32 v22, 7, v22
	v_cmp_eq_u16_e32 vcc, 0, v14
	v_cndmask_b32_e32 v10, v10, v22, vcc
	v_cndmask_b32_e32 v14, v20, v21, vcc
	v_lshlrev_b32_e32 v20, 8, v15
	v_mov_b32_e32 v21, 0x3b800000
	v_lshlrev_b32_e32 v10, 20, v10
	v_and_b32_e32 v20, 0x80000000, v20
	v_lshl_add_u32 v14, v14, 23, v21
	v_or3_b32 v10, v20, v14, v10
.LBB8_820:
	s_or_b64 exec, exec, s[6:7]
	s_movk_i32 s4, 0xff
	v_and_b32_sdwa v14, v11, s4 dst_sel:DWORD dst_unused:UNUSED_PAD src0_sel:WORD_1 src1_sel:DWORD
	s_movk_i32 s4, 0x7f
	v_cmp_lt_i16_e32 vcc, s4, v14
	s_mov_b64 s[4:5], 0
                                        ; implicit-def: $sgpr10
	s_and_saveexec_b64 s[6:7], vcc
	s_xor_b64 s[6:7], exec, s[6:7]
	s_cbranch_execnz .LBB8_2869
; %bb.821:
	s_or_saveexec_b64 s[6:7], s[6:7]
	v_mov_b32_e32 v20, s10
	s_xor_b64 exec, exec, s[6:7]
	s_cbranch_execnz .LBB8_2872
.LBB8_822:
	s_or_b64 exec, exec, s[6:7]
	s_and_saveexec_b64 s[6:7], s[4:5]
	s_cbranch_execz .LBB8_824
.LBB8_823:
	v_bfe_u32 v14, v11, 16, 3
	v_ffbh_u32_e32 v22, v14
	v_min_u32_e32 v22, 32, v22
	v_lshrrev_b32_e32 v20, 19, v11
	v_subrev_u32_e32 v23, 28, v22
	v_and_b32_e32 v20, 15, v20
	v_lshlrev_b32_sdwa v23, v23, v11 dst_sel:DWORD dst_unused:UNUSED_PAD src0_sel:DWORD src1_sel:WORD_1
	v_bfe_u32 v21, v11, 19, 4
	v_sub_u32_e32 v22, 29, v22
	v_and_b32_e32 v23, 7, v23
	v_cmp_eq_u16_e32 vcc, 0, v20
	v_cndmask_b32_e32 v14, v14, v23, vcc
	v_cndmask_b32_e32 v20, v21, v22, vcc
	v_lshlrev_b32_e32 v21, 8, v11
	v_mov_b32_e32 v22, 0x3b800000
	v_lshlrev_b32_e32 v14, 20, v14
	v_and_b32_e32 v21, 0x80000000, v21
	v_lshl_add_u32 v20, v20, 23, v22
	v_or3_b32 v20, v21, v20, v14
.LBB8_824:
	s_or_b64 exec, exec, s[6:7]
	s_nop 0
	v_mfma_f32_16x16x4f32 a[0:3], v10, v20, a[0:3]
	s_movk_i32 s4, 0x7f
	v_cmp_gt_i16_sdwa s[6:7], v15, s4 src0_sel:BYTE_3 src1_sel:DWORD
	s_mov_b64 s[4:5], 0
                                        ; implicit-def: $sgpr10
	s_and_saveexec_b64 s[8:9], s[6:7]
	s_xor_b64 s[6:7], exec, s[8:9]
	s_cbranch_execnz .LBB8_2873
; %bb.825:
	s_or_saveexec_b64 s[6:7], s[6:7]
	v_mov_b32_e32 v10, s10
	s_xor_b64 exec, exec, s[6:7]
	s_cbranch_execnz .LBB8_2876
.LBB8_826:
	s_or_b64 exec, exec, s[6:7]
	s_and_saveexec_b64 s[6:7], s[4:5]
	s_cbranch_execz .LBB8_828
.LBB8_827:
	v_bfe_u32 v10, v15, 24, 3
	v_ffbh_u32_e32 v22, v10
	v_min_u32_e32 v22, 32, v22
	v_lshrrev_b32_e32 v20, 27, v15
	v_subrev_u32_e32 v23, 28, v22
	v_and_b32_e32 v14, 0x80000000, v15
	v_and_b32_e32 v20, 15, v20
	v_bfe_u32 v21, v15, 27, 4
	v_lshlrev_b32_sdwa v15, v23, v15 dst_sel:DWORD dst_unused:UNUSED_PAD src0_sel:DWORD src1_sel:BYTE_3
	v_sub_u32_e32 v22, 29, v22
	v_and_b32_e32 v15, 7, v15
	v_cmp_eq_u16_e32 vcc, 0, v20
	v_cndmask_b32_e32 v10, v10, v15, vcc
	v_cndmask_b32_e32 v15, v21, v22, vcc
	v_mov_b32_e32 v20, 0x3b800000
	v_lshlrev_b32_e32 v10, 20, v10
	v_lshl_add_u32 v15, v15, 23, v20
	v_or3_b32 v10, v14, v15, v10
.LBB8_828:
	s_or_b64 exec, exec, s[6:7]
	s_movk_i32 s4, 0x7f
	v_cmp_gt_i16_sdwa s[6:7], v11, s4 src0_sel:BYTE_3 src1_sel:DWORD
	s_mov_b64 s[4:5], 0
                                        ; implicit-def: $sgpr10
	s_and_saveexec_b64 s[8:9], s[6:7]
	s_xor_b64 s[6:7], exec, s[8:9]
	s_cbranch_execnz .LBB8_2877
; %bb.829:
	s_or_saveexec_b64 s[6:7], s[6:7]
	v_mov_b32_e32 v14, s10
	s_xor_b64 exec, exec, s[6:7]
	s_cbranch_execnz .LBB8_2880
.LBB8_830:
	s_or_b64 exec, exec, s[6:7]
	s_and_saveexec_b64 s[6:7], s[4:5]
	s_cbranch_execz .LBB8_832
.LBB8_831:
	v_bfe_u32 v14, v11, 24, 3
	v_ffbh_u32_e32 v22, v14
	v_min_u32_e32 v22, 32, v22
	v_lshrrev_b32_e32 v20, 27, v11
	v_subrev_u32_e32 v23, 28, v22
	v_and_b32_e32 v15, 0x80000000, v11
	v_and_b32_e32 v20, 15, v20
	v_bfe_u32 v21, v11, 27, 4
	v_lshlrev_b32_sdwa v11, v23, v11 dst_sel:DWORD dst_unused:UNUSED_PAD src0_sel:DWORD src1_sel:BYTE_3
	v_sub_u32_e32 v22, 29, v22
	v_and_b32_e32 v11, 7, v11
	v_cmp_eq_u16_e32 vcc, 0, v20
	v_cndmask_b32_e32 v11, v14, v11, vcc
	v_cndmask_b32_e32 v14, v21, v22, vcc
	v_mov_b32_e32 v20, 0x3b800000
	v_lshlrev_b32_e32 v11, 20, v11
	v_lshl_add_u32 v14, v14, 23, v20
	v_or3_b32 v14, v15, v14, v11
.LBB8_832:
	s_or_b64 exec, exec, s[6:7]
	s_nop 0
	v_mfma_f32_16x16x4f32 a[0:3], v10, v14, a[0:3]
	s_movk_i32 s4, 0x7f
	v_cmp_gt_i16_sdwa s[6:7], v16, s4 src0_sel:BYTE_0 src1_sel:DWORD
	s_mov_b64 s[4:5], 0
                                        ; implicit-def: $sgpr10
	s_and_saveexec_b64 s[8:9], s[6:7]
	s_xor_b64 s[6:7], exec, s[8:9]
	s_cbranch_execnz .LBB8_2881
; %bb.833:
	s_or_saveexec_b64 s[6:7], s[6:7]
	v_mov_b32_e32 v10, s10
	s_xor_b64 exec, exec, s[6:7]
	s_cbranch_execnz .LBB8_2884
.LBB8_834:
	s_or_b64 exec, exec, s[6:7]
	s_and_saveexec_b64 s[6:7], s[4:5]
	s_cbranch_execz .LBB8_836
.LBB8_835:
	v_and_b32_e32 v10, 7, v16
	v_ffbh_u32_e32 v14, v10
	v_min_u32_e32 v14, 32, v14
	v_lshrrev_b16_e32 v11, 3, v16
	v_subrev_u32_e32 v15, 28, v14
	v_and_b32_e32 v11, 15, v11
	v_lshlrev_b32_e32 v15, v15, v16
	v_sub_u32_e32 v14, 29, v14
	v_and_b32_e32 v15, 7, v15
	v_cmp_eq_u16_e32 vcc, 0, v11
	v_cndmask_b32_e32 v10, v10, v15, vcc
	v_cndmask_b32_e32 v11, v11, v14, vcc
	v_lshlrev_b32_e32 v14, 24, v16
	v_mov_b32_e32 v15, 0x3b800000
	v_lshlrev_b32_e32 v10, 20, v10
	v_and_b32_e32 v14, 0x80000000, v14
	v_lshl_add_u32 v11, v11, 23, v15
	v_or3_b32 v10, v14, v11, v10
.LBB8_836:
	s_or_b64 exec, exec, s[6:7]
	s_movk_i32 s4, 0x7f
	v_cmp_gt_i16_sdwa s[6:7], v12, s4 src0_sel:BYTE_0 src1_sel:DWORD
	s_mov_b64 s[4:5], 0
                                        ; implicit-def: $sgpr10
	s_and_saveexec_b64 s[8:9], s[6:7]
	s_xor_b64 s[6:7], exec, s[8:9]
	s_cbranch_execnz .LBB8_2885
; %bb.837:
	s_or_saveexec_b64 s[6:7], s[6:7]
	v_mov_b32_e32 v11, s10
	s_xor_b64 exec, exec, s[6:7]
	s_cbranch_execnz .LBB8_2888
.LBB8_838:
	s_or_b64 exec, exec, s[6:7]
	s_and_saveexec_b64 s[6:7], s[4:5]
	s_cbranch_execz .LBB8_840
.LBB8_839:
	v_and_b32_e32 v11, 7, v12
	v_ffbh_u32_e32 v15, v11
	v_min_u32_e32 v15, 32, v15
	v_lshrrev_b16_e32 v14, 3, v12
	v_subrev_u32_e32 v20, 28, v15
	v_and_b32_e32 v14, 15, v14
	v_lshlrev_b32_e32 v20, v20, v12
	v_sub_u32_e32 v15, 29, v15
	v_and_b32_e32 v20, 7, v20
	v_cmp_eq_u16_e32 vcc, 0, v14
	v_cndmask_b32_e32 v11, v11, v20, vcc
	v_cndmask_b32_e32 v14, v14, v15, vcc
	v_lshlrev_b32_e32 v15, 24, v12
	v_mov_b32_e32 v20, 0x3b800000
	v_lshlrev_b32_e32 v11, 20, v11
	v_and_b32_e32 v15, 0x80000000, v15
	v_lshl_add_u32 v14, v14, 23, v20
	v_or3_b32 v11, v15, v14, v11
.LBB8_840:
	s_or_b64 exec, exec, s[6:7]
	s_nop 0
	v_mfma_f32_16x16x4f32 a[0:3], v10, v11, a[0:3]
	v_lshrrev_b32_e32 v11, 8, v16
	s_movk_i32 s4, 0x7f
	v_cmp_gt_i16_sdwa s[6:7], v11, s4 src0_sel:BYTE_0 src1_sel:DWORD
	s_mov_b64 s[4:5], 0
                                        ; implicit-def: $sgpr10
	s_and_saveexec_b64 s[8:9], s[6:7]
	s_xor_b64 s[6:7], exec, s[8:9]
	s_cbranch_execnz .LBB8_2889
; %bb.841:
	s_or_saveexec_b64 s[6:7], s[6:7]
	v_mov_b32_e32 v10, s10
	s_xor_b64 exec, exec, s[6:7]
	s_cbranch_execnz .LBB8_2892
.LBB8_842:
	s_or_b64 exec, exec, s[6:7]
	s_and_saveexec_b64 s[6:7], s[4:5]
	s_cbranch_execz .LBB8_844
.LBB8_843:
	v_bfe_u32 v10, v16, 8, 3
	v_ffbh_u32_e32 v15, v10
	v_min_u32_e32 v15, 32, v15
	v_lshrrev_b16_e32 v14, 3, v11
	v_subrev_u32_e32 v20, 28, v15
	v_and_b32_e32 v14, 15, v14
	v_lshlrev_b32_e32 v11, v20, v11
	v_sub_u32_e32 v15, 29, v15
	v_and_b32_e32 v11, 7, v11
	v_cmp_eq_u16_e32 vcc, 0, v14
	v_cndmask_b32_e32 v10, v10, v11, vcc
	v_cndmask_b32_e32 v11, v14, v15, vcc
	v_lshlrev_b32_e32 v14, 16, v16
	v_mov_b32_e32 v15, 0x3b800000
	v_lshlrev_b32_e32 v10, 20, v10
	v_and_b32_e32 v14, 0x80000000, v14
	v_lshl_add_u32 v11, v11, 23, v15
	v_or3_b32 v10, v14, v11, v10
.LBB8_844:
	s_or_b64 exec, exec, s[6:7]
	v_lshrrev_b32_e32 v11, 8, v12
	s_movk_i32 s4, 0x7f
	v_cmp_gt_i16_sdwa s[6:7], v11, s4 src0_sel:BYTE_0 src1_sel:DWORD
	s_mov_b64 s[4:5], 0
                                        ; implicit-def: $sgpr10
	s_and_saveexec_b64 s[8:9], s[6:7]
	s_xor_b64 s[6:7], exec, s[8:9]
	s_cbranch_execnz .LBB8_2893
; %bb.845:
	s_or_saveexec_b64 s[6:7], s[6:7]
	v_mov_b32_e32 v14, s10
	s_xor_b64 exec, exec, s[6:7]
	s_cbranch_execnz .LBB8_2896
.LBB8_846:
	s_or_b64 exec, exec, s[6:7]
	s_and_saveexec_b64 s[6:7], s[4:5]
	s_cbranch_execz .LBB8_848
.LBB8_847:
	v_bfe_u32 v14, v12, 8, 3
	v_ffbh_u32_e32 v20, v14
	v_min_u32_e32 v20, 32, v20
	v_lshrrev_b16_e32 v15, 3, v11
	v_subrev_u32_e32 v21, 28, v20
	v_and_b32_e32 v15, 15, v15
	v_lshlrev_b32_e32 v11, v21, v11
	v_sub_u32_e32 v20, 29, v20
	v_and_b32_e32 v11, 7, v11
	v_cmp_eq_u16_e32 vcc, 0, v15
	v_cndmask_b32_e32 v11, v14, v11, vcc
	v_cndmask_b32_e32 v14, v15, v20, vcc
	v_lshlrev_b32_e32 v15, 16, v12
	v_mov_b32_e32 v20, 0x3b800000
	v_lshlrev_b32_e32 v11, 20, v11
	v_and_b32_e32 v15, 0x80000000, v15
	v_lshl_add_u32 v14, v14, 23, v20
	v_or3_b32 v14, v15, v14, v11
.LBB8_848:
	s_or_b64 exec, exec, s[6:7]
	s_nop 0
	v_mfma_f32_16x16x4f32 a[0:3], v10, v14, a[0:3]
	s_movk_i32 s4, 0xff
	v_and_b32_sdwa v11, v16, s4 dst_sel:DWORD dst_unused:UNUSED_PAD src0_sel:WORD_1 src1_sel:DWORD
	s_movk_i32 s4, 0x7f
	v_cmp_lt_i16_e32 vcc, s4, v11
	s_mov_b64 s[4:5], 0
                                        ; implicit-def: $sgpr10
	s_and_saveexec_b64 s[6:7], vcc
	s_xor_b64 s[6:7], exec, s[6:7]
	s_cbranch_execnz .LBB8_2897
; %bb.849:
	s_or_saveexec_b64 s[6:7], s[6:7]
	v_mov_b32_e32 v10, s10
	s_xor_b64 exec, exec, s[6:7]
	s_cbranch_execnz .LBB8_2900
.LBB8_850:
	s_or_b64 exec, exec, s[6:7]
	s_and_saveexec_b64 s[6:7], s[4:5]
	s_cbranch_execz .LBB8_852
.LBB8_851:
	v_bfe_u32 v10, v16, 16, 3
	v_ffbh_u32_e32 v15, v10
	v_min_u32_e32 v15, 32, v15
	v_lshrrev_b32_e32 v11, 19, v16
	v_subrev_u32_e32 v20, 28, v15
	v_and_b32_e32 v11, 15, v11
	v_lshlrev_b32_sdwa v20, v20, v16 dst_sel:DWORD dst_unused:UNUSED_PAD src0_sel:DWORD src1_sel:WORD_1
	v_bfe_u32 v14, v16, 19, 4
	v_sub_u32_e32 v15, 29, v15
	v_and_b32_e32 v20, 7, v20
	v_cmp_eq_u16_e32 vcc, 0, v11
	v_cndmask_b32_e32 v10, v10, v20, vcc
	v_cndmask_b32_e32 v11, v14, v15, vcc
	v_lshlrev_b32_e32 v14, 8, v16
	v_mov_b32_e32 v15, 0x3b800000
	v_lshlrev_b32_e32 v10, 20, v10
	v_and_b32_e32 v14, 0x80000000, v14
	v_lshl_add_u32 v11, v11, 23, v15
	v_or3_b32 v10, v14, v11, v10
.LBB8_852:
	s_or_b64 exec, exec, s[6:7]
	s_movk_i32 s4, 0xff
	v_and_b32_sdwa v11, v12, s4 dst_sel:DWORD dst_unused:UNUSED_PAD src0_sel:WORD_1 src1_sel:DWORD
	s_movk_i32 s4, 0x7f
	v_cmp_lt_i16_e32 vcc, s4, v11
	s_mov_b64 s[4:5], 0
                                        ; implicit-def: $sgpr10
	s_and_saveexec_b64 s[6:7], vcc
	s_xor_b64 s[6:7], exec, s[6:7]
	s_cbranch_execnz .LBB8_2901
; %bb.853:
	s_or_saveexec_b64 s[6:7], s[6:7]
	v_mov_b32_e32 v14, s10
	s_xor_b64 exec, exec, s[6:7]
	s_cbranch_execnz .LBB8_2904
.LBB8_854:
	s_or_b64 exec, exec, s[6:7]
	s_and_saveexec_b64 s[6:7], s[4:5]
	s_cbranch_execz .LBB8_856
.LBB8_855:
	v_bfe_u32 v11, v12, 16, 3
	v_ffbh_u32_e32 v20, v11
	v_min_u32_e32 v20, 32, v20
	v_lshrrev_b32_e32 v14, 19, v12
	v_subrev_u32_e32 v21, 28, v20
	v_and_b32_e32 v14, 15, v14
	v_lshlrev_b32_sdwa v21, v21, v12 dst_sel:DWORD dst_unused:UNUSED_PAD src0_sel:DWORD src1_sel:WORD_1
	v_bfe_u32 v15, v12, 19, 4
	v_sub_u32_e32 v20, 29, v20
	v_and_b32_e32 v21, 7, v21
	v_cmp_eq_u16_e32 vcc, 0, v14
	v_cndmask_b32_e32 v11, v11, v21, vcc
	v_cndmask_b32_e32 v14, v15, v20, vcc
	v_lshlrev_b32_e32 v15, 8, v12
	v_mov_b32_e32 v20, 0x3b800000
	v_lshlrev_b32_e32 v11, 20, v11
	v_and_b32_e32 v15, 0x80000000, v15
	v_lshl_add_u32 v14, v14, 23, v20
	v_or3_b32 v14, v15, v14, v11
.LBB8_856:
	s_or_b64 exec, exec, s[6:7]
	s_nop 0
	v_mfma_f32_16x16x4f32 a[0:3], v10, v14, a[0:3]
	s_movk_i32 s4, 0x7f
	v_cmp_gt_i16_sdwa s[6:7], v16, s4 src0_sel:BYTE_3 src1_sel:DWORD
	s_mov_b64 s[4:5], 0
                                        ; implicit-def: $sgpr10
	s_and_saveexec_b64 s[8:9], s[6:7]
	s_xor_b64 s[6:7], exec, s[8:9]
	s_cbranch_execnz .LBB8_2905
; %bb.857:
	s_or_saveexec_b64 s[6:7], s[6:7]
	v_mov_b32_e32 v10, s10
	s_xor_b64 exec, exec, s[6:7]
	s_cbranch_execnz .LBB8_2908
.LBB8_858:
	s_or_b64 exec, exec, s[6:7]
	s_and_saveexec_b64 s[6:7], s[4:5]
	s_cbranch_execz .LBB8_860
.LBB8_859:
	v_bfe_u32 v10, v16, 24, 3
	v_ffbh_u32_e32 v20, v10
	v_min_u32_e32 v20, 32, v20
	v_lshrrev_b32_e32 v14, 27, v16
	v_subrev_u32_e32 v21, 28, v20
	v_and_b32_e32 v11, 0x80000000, v16
	v_and_b32_e32 v14, 15, v14
	v_bfe_u32 v15, v16, 27, 4
	v_lshlrev_b32_sdwa v16, v21, v16 dst_sel:DWORD dst_unused:UNUSED_PAD src0_sel:DWORD src1_sel:BYTE_3
	v_sub_u32_e32 v20, 29, v20
	v_and_b32_e32 v16, 7, v16
	v_cmp_eq_u16_e32 vcc, 0, v14
	v_cndmask_b32_e32 v10, v10, v16, vcc
	v_cndmask_b32_e32 v14, v15, v20, vcc
	v_mov_b32_e32 v15, 0x3b800000
	v_lshlrev_b32_e32 v10, 20, v10
	v_lshl_add_u32 v14, v14, 23, v15
	v_or3_b32 v10, v11, v14, v10
.LBB8_860:
	s_or_b64 exec, exec, s[6:7]
	s_movk_i32 s4, 0x7f
	v_cmp_gt_i16_sdwa s[6:7], v12, s4 src0_sel:BYTE_3 src1_sel:DWORD
	s_mov_b64 s[4:5], 0
                                        ; implicit-def: $sgpr10
	s_and_saveexec_b64 s[8:9], s[6:7]
	s_xor_b64 s[6:7], exec, s[8:9]
	s_cbranch_execnz .LBB8_2909
; %bb.861:
	s_or_saveexec_b64 s[6:7], s[6:7]
	v_mov_b32_e32 v11, s10
	s_xor_b64 exec, exec, s[6:7]
	s_cbranch_execnz .LBB8_2912
.LBB8_862:
	s_or_b64 exec, exec, s[6:7]
	s_and_saveexec_b64 s[6:7], s[4:5]
	s_cbranch_execz .LBB8_864
.LBB8_863:
	v_bfe_u32 v11, v12, 24, 3
	v_ffbh_u32_e32 v20, v11
	v_min_u32_e32 v20, 32, v20
	v_lshrrev_b32_e32 v15, 27, v12
	v_subrev_u32_e32 v21, 28, v20
	v_and_b32_e32 v14, 0x80000000, v12
	v_and_b32_e32 v15, 15, v15
	v_bfe_u32 v16, v12, 27, 4
	v_lshlrev_b32_sdwa v12, v21, v12 dst_sel:DWORD dst_unused:UNUSED_PAD src0_sel:DWORD src1_sel:BYTE_3
	v_sub_u32_e32 v20, 29, v20
	v_and_b32_e32 v12, 7, v12
	v_cmp_eq_u16_e32 vcc, 0, v15
	v_cndmask_b32_e32 v11, v11, v12, vcc
	v_cndmask_b32_e32 v12, v16, v20, vcc
	v_mov_b32_e32 v15, 0x3b800000
	v_lshlrev_b32_e32 v11, 20, v11
	v_lshl_add_u32 v12, v12, 23, v15
	v_or3_b32 v11, v14, v12, v11
.LBB8_864:
	s_or_b64 exec, exec, s[6:7]
	s_nop 0
	v_mfma_f32_16x16x4f32 a[0:3], v10, v11, a[0:3]
	s_movk_i32 s4, 0x7f
	v_cmp_gt_i16_sdwa s[6:7], v17, s4 src0_sel:BYTE_0 src1_sel:DWORD
	s_mov_b64 s[4:5], 0
                                        ; implicit-def: $sgpr10
	s_and_saveexec_b64 s[8:9], s[6:7]
	s_xor_b64 s[6:7], exec, s[8:9]
	s_cbranch_execnz .LBB8_2913
; %bb.865:
	s_or_saveexec_b64 s[6:7], s[6:7]
	v_mov_b32_e32 v10, s10
	s_xor_b64 exec, exec, s[6:7]
	s_cbranch_execnz .LBB8_2916
.LBB8_866:
	s_or_b64 exec, exec, s[6:7]
	s_and_saveexec_b64 s[6:7], s[4:5]
	s_cbranch_execz .LBB8_868
.LBB8_867:
	v_and_b32_e32 v10, 7, v17
	v_ffbh_u32_e32 v12, v10
	v_min_u32_e32 v12, 32, v12
	v_lshrrev_b16_e32 v11, 3, v17
	v_subrev_u32_e32 v14, 28, v12
	v_and_b32_e32 v11, 15, v11
	v_lshlrev_b32_e32 v14, v14, v17
	v_sub_u32_e32 v12, 29, v12
	v_and_b32_e32 v14, 7, v14
	v_cmp_eq_u16_e32 vcc, 0, v11
	v_cndmask_b32_e32 v10, v10, v14, vcc
	v_cndmask_b32_e32 v11, v11, v12, vcc
	v_lshlrev_b32_e32 v12, 24, v17
	v_mov_b32_e32 v14, 0x3b800000
	v_lshlrev_b32_e32 v10, 20, v10
	v_and_b32_e32 v12, 0x80000000, v12
	v_lshl_add_u32 v11, v11, 23, v14
	v_or3_b32 v10, v12, v11, v10
.LBB8_868:
	s_or_b64 exec, exec, s[6:7]
	s_movk_i32 s4, 0x7f
	v_cmp_gt_i16_sdwa s[6:7], v13, s4 src0_sel:BYTE_0 src1_sel:DWORD
	s_mov_b64 s[4:5], 0
                                        ; implicit-def: $sgpr10
	s_and_saveexec_b64 s[8:9], s[6:7]
	s_xor_b64 s[6:7], exec, s[8:9]
	s_cbranch_execnz .LBB8_2917
; %bb.869:
	s_or_saveexec_b64 s[6:7], s[6:7]
	v_mov_b32_e32 v11, s10
	s_xor_b64 exec, exec, s[6:7]
	s_cbranch_execnz .LBB8_2920
.LBB8_870:
	s_or_b64 exec, exec, s[6:7]
	s_and_saveexec_b64 s[6:7], s[4:5]
	s_cbranch_execz .LBB8_872
.LBB8_871:
	v_and_b32_e32 v11, 7, v13
	v_ffbh_u32_e32 v14, v11
	v_min_u32_e32 v14, 32, v14
	v_lshrrev_b16_e32 v12, 3, v13
	v_subrev_u32_e32 v15, 28, v14
	v_and_b32_e32 v12, 15, v12
	v_lshlrev_b32_e32 v15, v15, v13
	v_sub_u32_e32 v14, 29, v14
	v_and_b32_e32 v15, 7, v15
	v_cmp_eq_u16_e32 vcc, 0, v12
	v_cndmask_b32_e32 v11, v11, v15, vcc
	v_cndmask_b32_e32 v12, v12, v14, vcc
	v_lshlrev_b32_e32 v14, 24, v13
	v_mov_b32_e32 v15, 0x3b800000
	v_lshlrev_b32_e32 v11, 20, v11
	v_and_b32_e32 v14, 0x80000000, v14
	v_lshl_add_u32 v12, v12, 23, v15
	v_or3_b32 v11, v14, v12, v11
.LBB8_872:
	s_or_b64 exec, exec, s[6:7]
	s_nop 0
	v_mfma_f32_16x16x4f32 a[0:3], v10, v11, a[0:3]
	v_lshrrev_b32_e32 v11, 8, v17
	s_movk_i32 s4, 0x7f
	v_cmp_gt_i16_sdwa s[6:7], v11, s4 src0_sel:BYTE_0 src1_sel:DWORD
	s_mov_b64 s[4:5], 0
                                        ; implicit-def: $sgpr10
	s_and_saveexec_b64 s[8:9], s[6:7]
	s_xor_b64 s[6:7], exec, s[8:9]
	s_cbranch_execnz .LBB8_2921
; %bb.873:
	s_or_saveexec_b64 s[6:7], s[6:7]
	v_mov_b32_e32 v10, s10
	s_xor_b64 exec, exec, s[6:7]
	s_cbranch_execnz .LBB8_2924
.LBB8_874:
	s_or_b64 exec, exec, s[6:7]
	s_and_saveexec_b64 s[6:7], s[4:5]
	s_cbranch_execz .LBB8_876
.LBB8_875:
	v_bfe_u32 v10, v17, 8, 3
	v_ffbh_u32_e32 v14, v10
	v_min_u32_e32 v14, 32, v14
	v_lshrrev_b16_e32 v12, 3, v11
	v_subrev_u32_e32 v15, 28, v14
	v_and_b32_e32 v12, 15, v12
	v_lshlrev_b32_e32 v11, v15, v11
	v_sub_u32_e32 v14, 29, v14
	v_and_b32_e32 v11, 7, v11
	v_cmp_eq_u16_e32 vcc, 0, v12
	v_cndmask_b32_e32 v10, v10, v11, vcc
	v_cndmask_b32_e32 v11, v12, v14, vcc
	v_lshlrev_b32_e32 v12, 16, v17
	v_mov_b32_e32 v14, 0x3b800000
	v_lshlrev_b32_e32 v10, 20, v10
	v_and_b32_e32 v12, 0x80000000, v12
	v_lshl_add_u32 v11, v11, 23, v14
	v_or3_b32 v10, v12, v11, v10
.LBB8_876:
	s_or_b64 exec, exec, s[6:7]
	v_lshrrev_b32_e32 v11, 8, v13
	s_movk_i32 s4, 0x7f
	v_cmp_gt_i16_sdwa s[6:7], v11, s4 src0_sel:BYTE_0 src1_sel:DWORD
	s_mov_b64 s[4:5], 0
                                        ; implicit-def: $sgpr10
	s_and_saveexec_b64 s[8:9], s[6:7]
	s_xor_b64 s[6:7], exec, s[8:9]
	s_cbranch_execnz .LBB8_2925
; %bb.877:
	s_or_saveexec_b64 s[6:7], s[6:7]
	v_mov_b32_e32 v12, s10
	s_xor_b64 exec, exec, s[6:7]
	s_cbranch_execnz .LBB8_2928
.LBB8_878:
	s_or_b64 exec, exec, s[6:7]
	s_and_saveexec_b64 s[6:7], s[4:5]
	s_cbranch_execz .LBB8_880
.LBB8_879:
	v_bfe_u32 v12, v13, 8, 3
	v_ffbh_u32_e32 v15, v12
	v_min_u32_e32 v15, 32, v15
	v_lshrrev_b16_e32 v14, 3, v11
	v_subrev_u32_e32 v16, 28, v15
	v_and_b32_e32 v14, 15, v14
	v_lshlrev_b32_e32 v11, v16, v11
	v_sub_u32_e32 v15, 29, v15
	v_and_b32_e32 v11, 7, v11
	v_cmp_eq_u16_e32 vcc, 0, v14
	v_cndmask_b32_e32 v11, v12, v11, vcc
	v_cndmask_b32_e32 v12, v14, v15, vcc
	v_lshlrev_b32_e32 v14, 16, v13
	v_mov_b32_e32 v15, 0x3b800000
	v_lshlrev_b32_e32 v11, 20, v11
	v_and_b32_e32 v14, 0x80000000, v14
	v_lshl_add_u32 v12, v12, 23, v15
	v_or3_b32 v12, v14, v12, v11
.LBB8_880:
	s_or_b64 exec, exec, s[6:7]
	s_nop 0
	v_mfma_f32_16x16x4f32 a[0:3], v10, v12, a[0:3]
	s_movk_i32 s4, 0xff
	v_and_b32_sdwa v11, v17, s4 dst_sel:DWORD dst_unused:UNUSED_PAD src0_sel:WORD_1 src1_sel:DWORD
	s_movk_i32 s4, 0x7f
	v_cmp_lt_i16_e32 vcc, s4, v11
	s_mov_b64 s[4:5], 0
                                        ; implicit-def: $sgpr10
	s_and_saveexec_b64 s[6:7], vcc
	s_xor_b64 s[6:7], exec, s[6:7]
	s_cbranch_execnz .LBB8_2929
; %bb.881:
	s_or_saveexec_b64 s[6:7], s[6:7]
	v_mov_b32_e32 v10, s10
	s_xor_b64 exec, exec, s[6:7]
	s_cbranch_execnz .LBB8_2932
.LBB8_882:
	s_or_b64 exec, exec, s[6:7]
	s_and_saveexec_b64 s[6:7], s[4:5]
	s_cbranch_execz .LBB8_884
.LBB8_883:
	v_bfe_u32 v10, v17, 16, 3
	v_ffbh_u32_e32 v14, v10
	v_min_u32_e32 v14, 32, v14
	v_lshrrev_b32_e32 v11, 19, v17
	v_subrev_u32_e32 v15, 28, v14
	v_and_b32_e32 v11, 15, v11
	v_lshlrev_b32_sdwa v15, v15, v17 dst_sel:DWORD dst_unused:UNUSED_PAD src0_sel:DWORD src1_sel:WORD_1
	v_bfe_u32 v12, v17, 19, 4
	v_sub_u32_e32 v14, 29, v14
	v_and_b32_e32 v15, 7, v15
	v_cmp_eq_u16_e32 vcc, 0, v11
	v_cndmask_b32_e32 v10, v10, v15, vcc
	v_cndmask_b32_e32 v11, v12, v14, vcc
	v_lshlrev_b32_e32 v12, 8, v17
	v_mov_b32_e32 v14, 0x3b800000
	v_lshlrev_b32_e32 v10, 20, v10
	v_and_b32_e32 v12, 0x80000000, v12
	v_lshl_add_u32 v11, v11, 23, v14
	v_or3_b32 v10, v12, v11, v10
.LBB8_884:
	s_or_b64 exec, exec, s[6:7]
	s_movk_i32 s4, 0xff
	v_and_b32_sdwa v11, v13, s4 dst_sel:DWORD dst_unused:UNUSED_PAD src0_sel:WORD_1 src1_sel:DWORD
	s_movk_i32 s4, 0x7f
	v_cmp_lt_i16_e32 vcc, s4, v11
	s_mov_b64 s[4:5], 0
                                        ; implicit-def: $sgpr10
	s_and_saveexec_b64 s[6:7], vcc
	s_xor_b64 s[6:7], exec, s[6:7]
	s_cbranch_execnz .LBB8_2933
; %bb.885:
	s_or_saveexec_b64 s[6:7], s[6:7]
	v_mov_b32_e32 v12, s10
	s_xor_b64 exec, exec, s[6:7]
	s_cbranch_execnz .LBB8_2936
.LBB8_886:
	s_or_b64 exec, exec, s[6:7]
	s_and_saveexec_b64 s[6:7], s[4:5]
	s_cbranch_execz .LBB8_888
.LBB8_887:
	v_bfe_u32 v11, v13, 16, 3
	v_ffbh_u32_e32 v15, v11
	v_min_u32_e32 v15, 32, v15
	v_lshrrev_b32_e32 v12, 19, v13
	v_subrev_u32_e32 v16, 28, v15
	v_and_b32_e32 v12, 15, v12
	v_lshlrev_b32_sdwa v16, v16, v13 dst_sel:DWORD dst_unused:UNUSED_PAD src0_sel:DWORD src1_sel:WORD_1
	v_bfe_u32 v14, v13, 19, 4
	v_sub_u32_e32 v15, 29, v15
	v_and_b32_e32 v16, 7, v16
	v_cmp_eq_u16_e32 vcc, 0, v12
	v_cndmask_b32_e32 v11, v11, v16, vcc
	v_cndmask_b32_e32 v12, v14, v15, vcc
	v_lshlrev_b32_e32 v14, 8, v13
	v_mov_b32_e32 v15, 0x3b800000
	v_lshlrev_b32_e32 v11, 20, v11
	v_and_b32_e32 v14, 0x80000000, v14
	v_lshl_add_u32 v12, v12, 23, v15
	v_or3_b32 v12, v14, v12, v11
.LBB8_888:
	s_or_b64 exec, exec, s[6:7]
	s_nop 0
	v_mfma_f32_16x16x4f32 a[0:3], v10, v12, a[0:3]
	s_movk_i32 s4, 0x7f
	v_cmp_gt_i16_sdwa s[6:7], v17, s4 src0_sel:BYTE_3 src1_sel:DWORD
	s_mov_b64 s[4:5], 0
                                        ; implicit-def: $sgpr10
	s_and_saveexec_b64 s[8:9], s[6:7]
	s_xor_b64 s[6:7], exec, s[8:9]
	s_cbranch_execnz .LBB8_2937
; %bb.889:
	s_or_saveexec_b64 s[6:7], s[6:7]
	v_mov_b32_e32 v10, s10
	s_xor_b64 exec, exec, s[6:7]
	s_cbranch_execnz .LBB8_2940
.LBB8_890:
	s_or_b64 exec, exec, s[6:7]
	s_and_saveexec_b64 s[6:7], s[4:5]
	s_cbranch_execz .LBB8_892
.LBB8_891:
	v_bfe_u32 v10, v17, 24, 3
	v_ffbh_u32_e32 v15, v10
	v_min_u32_e32 v15, 32, v15
	v_lshrrev_b32_e32 v12, 27, v17
	v_subrev_u32_e32 v16, 28, v15
	v_and_b32_e32 v12, 15, v12
	v_lshlrev_b32_sdwa v16, v16, v17 dst_sel:DWORD dst_unused:UNUSED_PAD src0_sel:DWORD src1_sel:BYTE_3
	v_bfe_u32 v14, v17, 27, 4
	v_sub_u32_e32 v15, 29, v15
	v_and_b32_e32 v16, 7, v16
	v_cmp_eq_u16_e32 vcc, 0, v12
	v_cndmask_b32_e32 v10, v10, v16, vcc
	v_cndmask_b32_e32 v12, v14, v15, vcc
	v_mov_b32_e32 v14, 0x3b800000
	v_and_b32_e32 v11, 0x80000000, v17
	v_lshlrev_b32_e32 v10, 20, v10
	v_lshl_add_u32 v12, v12, 23, v14
	v_or3_b32 v10, v11, v12, v10
.LBB8_892:
	s_or_b64 exec, exec, s[6:7]
	s_movk_i32 s4, 0x7f
	v_cmp_gt_i16_sdwa s[6:7], v13, s4 src0_sel:BYTE_3 src1_sel:DWORD
	s_mov_b64 s[4:5], 0
                                        ; implicit-def: $sgpr10
	s_and_saveexec_b64 s[8:9], s[6:7]
	s_xor_b64 s[6:7], exec, s[8:9]
	s_cbranch_execnz .LBB8_2941
; %bb.893:
	s_or_saveexec_b64 s[6:7], s[6:7]
	v_mov_b32_e32 v11, s10
	s_xor_b64 exec, exec, s[6:7]
	s_cbranch_execnz .LBB8_2944
.LBB8_894:
	s_or_b64 exec, exec, s[6:7]
	s_and_saveexec_b64 s[6:7], s[4:5]
	s_cbranch_execz .LBB8_896
.LBB8_895:
	v_bfe_u32 v11, v13, 24, 3
	v_ffbh_u32_e32 v16, v11
	v_min_u32_e32 v16, 32, v16
	v_lshrrev_b32_e32 v14, 27, v13
	v_subrev_u32_e32 v17, 28, v16
	v_and_b32_e32 v12, 0x80000000, v13
	v_and_b32_e32 v14, 15, v14
	v_bfe_u32 v15, v13, 27, 4
	v_lshlrev_b32_sdwa v13, v17, v13 dst_sel:DWORD dst_unused:UNUSED_PAD src0_sel:DWORD src1_sel:BYTE_3
	v_sub_u32_e32 v16, 29, v16
	v_and_b32_e32 v13, 7, v13
	v_cmp_eq_u16_e32 vcc, 0, v14
	v_cndmask_b32_e32 v11, v11, v13, vcc
	v_cndmask_b32_e32 v13, v15, v16, vcc
	v_mov_b32_e32 v14, 0x3b800000
	v_lshlrev_b32_e32 v11, 20, v11
	v_lshl_add_u32 v13, v13, 23, v14
	v_or3_b32 v11, v12, v13, v11
.LBB8_896:
	s_or_b64 exec, exec, s[6:7]
	s_nop 0
	v_mfma_f32_16x16x4f32 a[0:3], v10, v11, a[0:3]
	s_movk_i32 s4, 0x7f
	v_cmp_gt_i16_sdwa s[6:7], v6, s4 src0_sel:BYTE_0 src1_sel:DWORD
	s_mov_b64 s[4:5], 0
                                        ; implicit-def: $sgpr10
	s_and_saveexec_b64 s[8:9], s[6:7]
	s_xor_b64 s[6:7], exec, s[8:9]
	s_cbranch_execnz .LBB8_2945
; %bb.897:
	s_or_saveexec_b64 s[6:7], s[6:7]
	v_mov_b32_e32 v10, s10
	s_xor_b64 exec, exec, s[6:7]
	s_cbranch_execnz .LBB8_2948
.LBB8_898:
	s_or_b64 exec, exec, s[6:7]
	s_and_saveexec_b64 s[6:7], s[4:5]
	s_cbranch_execz .LBB8_900
.LBB8_899:
	v_and_b32_e32 v10, 7, v6
	v_ffbh_u32_e32 v12, v10
	v_min_u32_e32 v12, 32, v12
	v_lshrrev_b16_e32 v11, 3, v6
	v_subrev_u32_e32 v13, 28, v12
	v_and_b32_e32 v11, 15, v11
	v_lshlrev_b32_e32 v13, v13, v6
	v_sub_u32_e32 v12, 29, v12
	v_and_b32_e32 v13, 7, v13
	v_cmp_eq_u16_e32 vcc, 0, v11
	v_cndmask_b32_e32 v10, v10, v13, vcc
	v_cndmask_b32_e32 v11, v11, v12, vcc
	v_lshlrev_b32_e32 v12, 24, v6
	v_mov_b32_e32 v13, 0x3b800000
	v_lshlrev_b32_e32 v10, 20, v10
	v_and_b32_e32 v12, 0x80000000, v12
	v_lshl_add_u32 v11, v11, 23, v13
	v_or3_b32 v10, v12, v11, v10
.LBB8_900:
	s_or_b64 exec, exec, s[6:7]
	s_movk_i32 s4, 0x7f
	v_cmp_gt_i16_sdwa s[6:7], v2, s4 src0_sel:BYTE_0 src1_sel:DWORD
	s_mov_b64 s[4:5], 0
                                        ; implicit-def: $sgpr10
	s_and_saveexec_b64 s[8:9], s[6:7]
	s_xor_b64 s[6:7], exec, s[8:9]
	s_cbranch_execnz .LBB8_2949
; %bb.901:
	s_or_saveexec_b64 s[6:7], s[6:7]
	v_mov_b32_e32 v11, s10
	s_xor_b64 exec, exec, s[6:7]
	s_cbranch_execnz .LBB8_2952
.LBB8_902:
	s_or_b64 exec, exec, s[6:7]
	s_and_saveexec_b64 s[6:7], s[4:5]
	s_cbranch_execz .LBB8_904
.LBB8_903:
	v_and_b32_e32 v11, 7, v2
	v_ffbh_u32_e32 v13, v11
	v_min_u32_e32 v13, 32, v13
	v_lshrrev_b16_e32 v12, 3, v2
	v_subrev_u32_e32 v14, 28, v13
	v_and_b32_e32 v12, 15, v12
	v_lshlrev_b32_e32 v14, v14, v2
	v_sub_u32_e32 v13, 29, v13
	v_and_b32_e32 v14, 7, v14
	v_cmp_eq_u16_e32 vcc, 0, v12
	v_cndmask_b32_e32 v11, v11, v14, vcc
	v_cndmask_b32_e32 v12, v12, v13, vcc
	v_lshlrev_b32_e32 v13, 24, v2
	v_mov_b32_e32 v14, 0x3b800000
	v_lshlrev_b32_e32 v11, 20, v11
	v_and_b32_e32 v13, 0x80000000, v13
	v_lshl_add_u32 v12, v12, 23, v14
	v_or3_b32 v11, v13, v12, v11
.LBB8_904:
	s_or_b64 exec, exec, s[6:7]
	s_nop 0
	v_mfma_f32_16x16x4f32 a[0:3], v10, v11, a[0:3]
	v_lshrrev_b32_e32 v11, 8, v6
	s_movk_i32 s4, 0x7f
	v_cmp_gt_i16_sdwa s[6:7], v11, s4 src0_sel:BYTE_0 src1_sel:DWORD
	s_mov_b64 s[4:5], 0
                                        ; implicit-def: $sgpr10
	s_and_saveexec_b64 s[8:9], s[6:7]
	s_xor_b64 s[6:7], exec, s[8:9]
	s_cbranch_execnz .LBB8_2953
; %bb.905:
	s_or_saveexec_b64 s[6:7], s[6:7]
	v_mov_b32_e32 v10, s10
	s_xor_b64 exec, exec, s[6:7]
	s_cbranch_execnz .LBB8_2956
.LBB8_906:
	s_or_b64 exec, exec, s[6:7]
	s_and_saveexec_b64 s[6:7], s[4:5]
	s_cbranch_execz .LBB8_908
.LBB8_907:
	v_bfe_u32 v10, v6, 8, 3
	v_ffbh_u32_e32 v13, v10
	v_min_u32_e32 v13, 32, v13
	v_lshrrev_b16_e32 v12, 3, v11
	v_subrev_u32_e32 v14, 28, v13
	v_and_b32_e32 v12, 15, v12
	v_lshlrev_b32_e32 v11, v14, v11
	v_sub_u32_e32 v13, 29, v13
	v_and_b32_e32 v11, 7, v11
	v_cmp_eq_u16_e32 vcc, 0, v12
	v_cndmask_b32_e32 v10, v10, v11, vcc
	v_cndmask_b32_e32 v11, v12, v13, vcc
	v_lshlrev_b32_e32 v12, 16, v6
	v_mov_b32_e32 v13, 0x3b800000
	v_lshlrev_b32_e32 v10, 20, v10
	v_and_b32_e32 v12, 0x80000000, v12
	v_lshl_add_u32 v11, v11, 23, v13
	v_or3_b32 v10, v12, v11, v10
.LBB8_908:
	s_or_b64 exec, exec, s[6:7]
	v_lshrrev_b32_e32 v11, 8, v2
	s_movk_i32 s4, 0x7f
	v_cmp_gt_i16_sdwa s[6:7], v11, s4 src0_sel:BYTE_0 src1_sel:DWORD
	s_mov_b64 s[4:5], 0
                                        ; implicit-def: $sgpr10
	s_and_saveexec_b64 s[8:9], s[6:7]
	s_xor_b64 s[6:7], exec, s[8:9]
	s_cbranch_execnz .LBB8_2957
; %bb.909:
	s_or_saveexec_b64 s[6:7], s[6:7]
	v_mov_b32_e32 v12, s10
	s_xor_b64 exec, exec, s[6:7]
	s_cbranch_execnz .LBB8_2960
.LBB8_910:
	s_or_b64 exec, exec, s[6:7]
	s_and_saveexec_b64 s[6:7], s[4:5]
	s_cbranch_execz .LBB8_912
.LBB8_911:
	v_bfe_u32 v12, v2, 8, 3
	v_ffbh_u32_e32 v14, v12
	v_min_u32_e32 v14, 32, v14
	v_lshrrev_b16_e32 v13, 3, v11
	v_subrev_u32_e32 v15, 28, v14
	v_and_b32_e32 v13, 15, v13
	v_lshlrev_b32_e32 v11, v15, v11
	v_sub_u32_e32 v14, 29, v14
	v_and_b32_e32 v11, 7, v11
	v_cmp_eq_u16_e32 vcc, 0, v13
	v_cndmask_b32_e32 v11, v12, v11, vcc
	v_cndmask_b32_e32 v12, v13, v14, vcc
	v_lshlrev_b32_e32 v13, 16, v2
	v_mov_b32_e32 v14, 0x3b800000
	v_lshlrev_b32_e32 v11, 20, v11
	v_and_b32_e32 v13, 0x80000000, v13
	v_lshl_add_u32 v12, v12, 23, v14
	v_or3_b32 v12, v13, v12, v11
.LBB8_912:
	s_or_b64 exec, exec, s[6:7]
	s_nop 0
	v_mfma_f32_16x16x4f32 a[0:3], v10, v12, a[0:3]
	s_movk_i32 s4, 0xff
	v_and_b32_sdwa v11, v6, s4 dst_sel:DWORD dst_unused:UNUSED_PAD src0_sel:WORD_1 src1_sel:DWORD
	s_movk_i32 s4, 0x7f
	v_cmp_lt_i16_e32 vcc, s4, v11
	s_mov_b64 s[4:5], 0
                                        ; implicit-def: $sgpr10
	s_and_saveexec_b64 s[6:7], vcc
	s_xor_b64 s[6:7], exec, s[6:7]
	s_cbranch_execnz .LBB8_2961
; %bb.913:
	s_or_saveexec_b64 s[6:7], s[6:7]
	v_mov_b32_e32 v10, s10
	s_xor_b64 exec, exec, s[6:7]
	s_cbranch_execnz .LBB8_2964
.LBB8_914:
	s_or_b64 exec, exec, s[6:7]
	s_and_saveexec_b64 s[6:7], s[4:5]
	s_cbranch_execz .LBB8_916
.LBB8_915:
	v_bfe_u32 v10, v6, 16, 3
	v_ffbh_u32_e32 v13, v10
	v_min_u32_e32 v13, 32, v13
	v_lshrrev_b32_e32 v11, 19, v6
	v_subrev_u32_e32 v14, 28, v13
	v_and_b32_e32 v11, 15, v11
	v_lshlrev_b32_sdwa v14, v14, v6 dst_sel:DWORD dst_unused:UNUSED_PAD src0_sel:DWORD src1_sel:WORD_1
	v_bfe_u32 v12, v6, 19, 4
	v_sub_u32_e32 v13, 29, v13
	v_and_b32_e32 v14, 7, v14
	v_cmp_eq_u16_e32 vcc, 0, v11
	v_cndmask_b32_e32 v10, v10, v14, vcc
	v_cndmask_b32_e32 v11, v12, v13, vcc
	v_lshlrev_b32_e32 v12, 8, v6
	v_mov_b32_e32 v13, 0x3b800000
	v_lshlrev_b32_e32 v10, 20, v10
	v_and_b32_e32 v12, 0x80000000, v12
	v_lshl_add_u32 v11, v11, 23, v13
	v_or3_b32 v10, v12, v11, v10
.LBB8_916:
	s_or_b64 exec, exec, s[6:7]
	s_movk_i32 s4, 0xff
	v_and_b32_sdwa v11, v2, s4 dst_sel:DWORD dst_unused:UNUSED_PAD src0_sel:WORD_1 src1_sel:DWORD
	s_movk_i32 s4, 0x7f
	v_cmp_lt_i16_e32 vcc, s4, v11
	s_mov_b64 s[4:5], 0
                                        ; implicit-def: $sgpr10
	s_and_saveexec_b64 s[6:7], vcc
	s_xor_b64 s[6:7], exec, s[6:7]
	s_cbranch_execnz .LBB8_2965
; %bb.917:
	s_or_saveexec_b64 s[6:7], s[6:7]
	v_mov_b32_e32 v12, s10
	s_xor_b64 exec, exec, s[6:7]
	s_cbranch_execnz .LBB8_2968
.LBB8_918:
	s_or_b64 exec, exec, s[6:7]
	s_and_saveexec_b64 s[6:7], s[4:5]
	s_cbranch_execz .LBB8_920
.LBB8_919:
	v_bfe_u32 v11, v2, 16, 3
	v_ffbh_u32_e32 v14, v11
	v_min_u32_e32 v14, 32, v14
	v_lshrrev_b32_e32 v12, 19, v2
	v_subrev_u32_e32 v15, 28, v14
	v_and_b32_e32 v12, 15, v12
	v_lshlrev_b32_sdwa v15, v15, v2 dst_sel:DWORD dst_unused:UNUSED_PAD src0_sel:DWORD src1_sel:WORD_1
	v_bfe_u32 v13, v2, 19, 4
	v_sub_u32_e32 v14, 29, v14
	v_and_b32_e32 v15, 7, v15
	v_cmp_eq_u16_e32 vcc, 0, v12
	v_cndmask_b32_e32 v11, v11, v15, vcc
	v_cndmask_b32_e32 v12, v13, v14, vcc
	v_lshlrev_b32_e32 v13, 8, v2
	v_mov_b32_e32 v14, 0x3b800000
	v_lshlrev_b32_e32 v11, 20, v11
	v_and_b32_e32 v13, 0x80000000, v13
	v_lshl_add_u32 v12, v12, 23, v14
	v_or3_b32 v12, v13, v12, v11
.LBB8_920:
	s_or_b64 exec, exec, s[6:7]
	s_nop 0
	v_mfma_f32_16x16x4f32 a[0:3], v10, v12, a[0:3]
	s_movk_i32 s4, 0x7f
	v_cmp_gt_i16_sdwa s[6:7], v6, s4 src0_sel:BYTE_3 src1_sel:DWORD
	s_mov_b64 s[4:5], 0
                                        ; implicit-def: $sgpr10
	s_and_saveexec_b64 s[8:9], s[6:7]
	s_xor_b64 s[6:7], exec, s[8:9]
	s_cbranch_execnz .LBB8_2969
; %bb.921:
	s_or_saveexec_b64 s[6:7], s[6:7]
	v_mov_b32_e32 v10, s10
	s_xor_b64 exec, exec, s[6:7]
	s_cbranch_execnz .LBB8_2972
.LBB8_922:
	s_or_b64 exec, exec, s[6:7]
	s_and_saveexec_b64 s[6:7], s[4:5]
	s_cbranch_execz .LBB8_924
.LBB8_923:
	v_bfe_u32 v10, v6, 24, 3
	v_ffbh_u32_e32 v14, v10
	v_min_u32_e32 v14, 32, v14
	v_lshrrev_b32_e32 v12, 27, v6
	v_subrev_u32_e32 v15, 28, v14
	v_and_b32_e32 v11, 0x80000000, v6
	v_and_b32_e32 v12, 15, v12
	v_bfe_u32 v13, v6, 27, 4
	v_lshlrev_b32_sdwa v6, v15, v6 dst_sel:DWORD dst_unused:UNUSED_PAD src0_sel:DWORD src1_sel:BYTE_3
	v_sub_u32_e32 v14, 29, v14
	v_and_b32_e32 v6, 7, v6
	v_cmp_eq_u16_e32 vcc, 0, v12
	v_cndmask_b32_e32 v6, v10, v6, vcc
	v_cndmask_b32_e32 v10, v13, v14, vcc
	v_mov_b32_e32 v12, 0x3b800000
	v_lshlrev_b32_e32 v6, 20, v6
	v_lshl_add_u32 v10, v10, 23, v12
	v_or3_b32 v10, v11, v10, v6
.LBB8_924:
	s_or_b64 exec, exec, s[6:7]
	s_movk_i32 s4, 0x7f
	v_cmp_gt_i16_sdwa s[6:7], v2, s4 src0_sel:BYTE_3 src1_sel:DWORD
	s_mov_b64 s[4:5], 0
                                        ; implicit-def: $sgpr10
	s_and_saveexec_b64 s[8:9], s[6:7]
	s_xor_b64 s[6:7], exec, s[8:9]
	s_cbranch_execnz .LBB8_2973
; %bb.925:
	s_or_saveexec_b64 s[6:7], s[6:7]
	v_mov_b32_e32 v6, s10
	s_xor_b64 exec, exec, s[6:7]
	s_cbranch_execnz .LBB8_2976
.LBB8_926:
	s_or_b64 exec, exec, s[6:7]
	s_and_saveexec_b64 s[6:7], s[4:5]
	s_cbranch_execz .LBB8_928
.LBB8_927:
	v_bfe_u32 v6, v2, 24, 3
	v_ffbh_u32_e32 v14, v6
	v_min_u32_e32 v14, 32, v14
	v_lshrrev_b32_e32 v12, 27, v2
	v_subrev_u32_e32 v15, 28, v14
	v_and_b32_e32 v11, 0x80000000, v2
	v_and_b32_e32 v12, 15, v12
	v_bfe_u32 v13, v2, 27, 4
	v_lshlrev_b32_sdwa v2, v15, v2 dst_sel:DWORD dst_unused:UNUSED_PAD src0_sel:DWORD src1_sel:BYTE_3
	v_sub_u32_e32 v14, 29, v14
	v_and_b32_e32 v2, 7, v2
	v_cmp_eq_u16_e32 vcc, 0, v12
	v_cndmask_b32_e32 v2, v6, v2, vcc
	v_cndmask_b32_e32 v6, v13, v14, vcc
	v_mov_b32_e32 v12, 0x3b800000
	v_lshlrev_b32_e32 v2, 20, v2
	v_lshl_add_u32 v6, v6, 23, v12
	v_or3_b32 v6, v11, v6, v2
.LBB8_928:
	s_or_b64 exec, exec, s[6:7]
	s_nop 0
	v_mfma_f32_16x16x4f32 a[0:3], v10, v6, a[0:3]
	s_movk_i32 s4, 0x7f
	v_cmp_gt_i16_sdwa s[6:7], v7, s4 src0_sel:BYTE_0 src1_sel:DWORD
	s_mov_b64 s[4:5], 0
                                        ; implicit-def: $sgpr10
	s_and_saveexec_b64 s[8:9], s[6:7]
	s_xor_b64 s[6:7], exec, s[8:9]
	s_cbranch_execnz .LBB8_2977
; %bb.929:
	s_or_saveexec_b64 s[6:7], s[6:7]
	v_mov_b32_e32 v2, s10
	s_xor_b64 exec, exec, s[6:7]
	s_cbranch_execnz .LBB8_2980
.LBB8_930:
	s_or_b64 exec, exec, s[6:7]
	s_and_saveexec_b64 s[6:7], s[4:5]
	s_cbranch_execz .LBB8_932
.LBB8_931:
	v_and_b32_e32 v2, 7, v7
	v_ffbh_u32_e32 v10, v2
	v_min_u32_e32 v10, 32, v10
	v_lshrrev_b16_e32 v6, 3, v7
	v_subrev_u32_e32 v11, 28, v10
	v_and_b32_e32 v6, 15, v6
	v_lshlrev_b32_e32 v11, v11, v7
	v_sub_u32_e32 v10, 29, v10
	v_and_b32_e32 v11, 7, v11
	v_cmp_eq_u16_e32 vcc, 0, v6
	v_cndmask_b32_e32 v2, v2, v11, vcc
	v_cndmask_b32_e32 v6, v6, v10, vcc
	v_lshlrev_b32_e32 v10, 24, v7
	v_mov_b32_e32 v11, 0x3b800000
	v_lshlrev_b32_e32 v2, 20, v2
	v_and_b32_e32 v10, 0x80000000, v10
	v_lshl_add_u32 v6, v6, 23, v11
	v_or3_b32 v2, v10, v6, v2
.LBB8_932:
	s_or_b64 exec, exec, s[6:7]
	s_movk_i32 s4, 0x7f
	v_cmp_gt_i16_sdwa s[6:7], v3, s4 src0_sel:BYTE_0 src1_sel:DWORD
	s_mov_b64 s[4:5], 0
                                        ; implicit-def: $sgpr10
	s_and_saveexec_b64 s[8:9], s[6:7]
	s_xor_b64 s[6:7], exec, s[8:9]
	s_cbranch_execnz .LBB8_2981
; %bb.933:
	s_or_saveexec_b64 s[6:7], s[6:7]
	v_mov_b32_e32 v6, s10
	s_xor_b64 exec, exec, s[6:7]
	s_cbranch_execnz .LBB8_2984
.LBB8_934:
	s_or_b64 exec, exec, s[6:7]
	s_and_saveexec_b64 s[6:7], s[4:5]
	s_cbranch_execz .LBB8_936
.LBB8_935:
	v_and_b32_e32 v6, 7, v3
	v_ffbh_u32_e32 v11, v6
	v_min_u32_e32 v11, 32, v11
	v_lshrrev_b16_e32 v10, 3, v3
	v_subrev_u32_e32 v12, 28, v11
	v_and_b32_e32 v10, 15, v10
	v_lshlrev_b32_e32 v12, v12, v3
	v_sub_u32_e32 v11, 29, v11
	v_and_b32_e32 v12, 7, v12
	v_cmp_eq_u16_e32 vcc, 0, v10
	v_cndmask_b32_e32 v6, v6, v12, vcc
	v_cndmask_b32_e32 v10, v10, v11, vcc
	v_lshlrev_b32_e32 v11, 24, v3
	v_mov_b32_e32 v12, 0x3b800000
	v_lshlrev_b32_e32 v6, 20, v6
	v_and_b32_e32 v11, 0x80000000, v11
	v_lshl_add_u32 v10, v10, 23, v12
	v_or3_b32 v6, v11, v10, v6
.LBB8_936:
	s_or_b64 exec, exec, s[6:7]
	s_nop 0
	v_mfma_f32_16x16x4f32 a[0:3], v2, v6, a[0:3]
	v_lshrrev_b32_e32 v6, 8, v7
	s_movk_i32 s4, 0x7f
	v_cmp_gt_i16_sdwa s[6:7], v6, s4 src0_sel:BYTE_0 src1_sel:DWORD
	s_mov_b64 s[4:5], 0
                                        ; implicit-def: $sgpr10
	s_and_saveexec_b64 s[8:9], s[6:7]
	s_xor_b64 s[6:7], exec, s[8:9]
	s_cbranch_execnz .LBB8_2985
; %bb.937:
	s_or_saveexec_b64 s[6:7], s[6:7]
	v_mov_b32_e32 v2, s10
	s_xor_b64 exec, exec, s[6:7]
	s_cbranch_execnz .LBB8_2988
.LBB8_938:
	s_or_b64 exec, exec, s[6:7]
	s_and_saveexec_b64 s[6:7], s[4:5]
	s_cbranch_execz .LBB8_940
.LBB8_939:
	v_bfe_u32 v2, v7, 8, 3
	v_ffbh_u32_e32 v11, v2
	v_min_u32_e32 v11, 32, v11
	v_lshrrev_b16_e32 v10, 3, v6
	v_subrev_u32_e32 v12, 28, v11
	v_and_b32_e32 v10, 15, v10
	v_lshlrev_b32_e32 v6, v12, v6
	v_sub_u32_e32 v11, 29, v11
	v_and_b32_e32 v6, 7, v6
	v_cmp_eq_u16_e32 vcc, 0, v10
	v_cndmask_b32_e32 v2, v2, v6, vcc
	v_cndmask_b32_e32 v6, v10, v11, vcc
	v_lshlrev_b32_e32 v10, 16, v7
	v_mov_b32_e32 v11, 0x3b800000
	v_lshlrev_b32_e32 v2, 20, v2
	v_and_b32_e32 v10, 0x80000000, v10
	v_lshl_add_u32 v6, v6, 23, v11
	v_or3_b32 v2, v10, v6, v2
.LBB8_940:
	s_or_b64 exec, exec, s[6:7]
	v_lshrrev_b32_e32 v6, 8, v3
	s_movk_i32 s4, 0x7f
	v_cmp_gt_i16_sdwa s[6:7], v6, s4 src0_sel:BYTE_0 src1_sel:DWORD
	s_mov_b64 s[4:5], 0
                                        ; implicit-def: $sgpr10
	s_and_saveexec_b64 s[8:9], s[6:7]
	s_xor_b64 s[6:7], exec, s[8:9]
	s_cbranch_execnz .LBB8_2989
; %bb.941:
	s_or_saveexec_b64 s[6:7], s[6:7]
	v_mov_b32_e32 v10, s10
	s_xor_b64 exec, exec, s[6:7]
	s_cbranch_execnz .LBB8_2992
.LBB8_942:
	s_or_b64 exec, exec, s[6:7]
	s_and_saveexec_b64 s[6:7], s[4:5]
	s_cbranch_execz .LBB8_944
.LBB8_943:
	v_bfe_u32 v10, v3, 8, 3
	v_ffbh_u32_e32 v12, v10
	v_min_u32_e32 v12, 32, v12
	v_lshrrev_b16_e32 v11, 3, v6
	v_subrev_u32_e32 v13, 28, v12
	v_and_b32_e32 v11, 15, v11
	v_lshlrev_b32_e32 v6, v13, v6
	v_sub_u32_e32 v12, 29, v12
	v_and_b32_e32 v6, 7, v6
	v_cmp_eq_u16_e32 vcc, 0, v11
	v_cndmask_b32_e32 v6, v10, v6, vcc
	v_cndmask_b32_e32 v10, v11, v12, vcc
	v_lshlrev_b32_e32 v11, 16, v3
	v_mov_b32_e32 v12, 0x3b800000
	v_lshlrev_b32_e32 v6, 20, v6
	v_and_b32_e32 v11, 0x80000000, v11
	v_lshl_add_u32 v10, v10, 23, v12
	v_or3_b32 v10, v11, v10, v6
.LBB8_944:
	s_or_b64 exec, exec, s[6:7]
	s_nop 0
	v_mfma_f32_16x16x4f32 a[0:3], v2, v10, a[0:3]
	s_movk_i32 s4, 0xff
	v_and_b32_sdwa v6, v7, s4 dst_sel:DWORD dst_unused:UNUSED_PAD src0_sel:WORD_1 src1_sel:DWORD
	s_movk_i32 s4, 0x7f
	v_cmp_lt_i16_e32 vcc, s4, v6
	s_mov_b64 s[4:5], 0
                                        ; implicit-def: $sgpr10
	s_and_saveexec_b64 s[6:7], vcc
	s_xor_b64 s[6:7], exec, s[6:7]
	s_cbranch_execnz .LBB8_2993
; %bb.945:
	s_or_saveexec_b64 s[6:7], s[6:7]
	v_mov_b32_e32 v2, s10
	s_xor_b64 exec, exec, s[6:7]
	s_cbranch_execnz .LBB8_2996
.LBB8_946:
	s_or_b64 exec, exec, s[6:7]
	s_and_saveexec_b64 s[6:7], s[4:5]
	s_cbranch_execz .LBB8_948
.LBB8_947:
	v_bfe_u32 v2, v7, 16, 3
	v_ffbh_u32_e32 v11, v2
	v_min_u32_e32 v11, 32, v11
	v_lshrrev_b32_e32 v6, 19, v7
	v_subrev_u32_e32 v12, 28, v11
	v_and_b32_e32 v6, 15, v6
	v_lshlrev_b32_sdwa v12, v12, v7 dst_sel:DWORD dst_unused:UNUSED_PAD src0_sel:DWORD src1_sel:WORD_1
	v_bfe_u32 v10, v7, 19, 4
	v_sub_u32_e32 v11, 29, v11
	v_and_b32_e32 v12, 7, v12
	v_cmp_eq_u16_e32 vcc, 0, v6
	v_cndmask_b32_e32 v2, v2, v12, vcc
	v_cndmask_b32_e32 v6, v10, v11, vcc
	v_lshlrev_b32_e32 v10, 8, v7
	v_mov_b32_e32 v11, 0x3b800000
	v_lshlrev_b32_e32 v2, 20, v2
	v_and_b32_e32 v10, 0x80000000, v10
	v_lshl_add_u32 v6, v6, 23, v11
	v_or3_b32 v2, v10, v6, v2
.LBB8_948:
	s_or_b64 exec, exec, s[6:7]
	s_movk_i32 s4, 0xff
	v_and_b32_sdwa v6, v3, s4 dst_sel:DWORD dst_unused:UNUSED_PAD src0_sel:WORD_1 src1_sel:DWORD
	s_movk_i32 s4, 0x7f
	v_cmp_lt_i16_e32 vcc, s4, v6
	s_mov_b64 s[4:5], 0
                                        ; implicit-def: $sgpr10
	s_and_saveexec_b64 s[6:7], vcc
	s_xor_b64 s[6:7], exec, s[6:7]
	s_cbranch_execnz .LBB8_2997
; %bb.949:
	s_or_saveexec_b64 s[6:7], s[6:7]
	v_mov_b32_e32 v10, s10
	s_xor_b64 exec, exec, s[6:7]
	s_cbranch_execnz .LBB8_3000
.LBB8_950:
	s_or_b64 exec, exec, s[6:7]
	s_and_saveexec_b64 s[6:7], s[4:5]
	s_cbranch_execz .LBB8_952
.LBB8_951:
	v_bfe_u32 v6, v3, 16, 3
	v_ffbh_u32_e32 v12, v6
	v_min_u32_e32 v12, 32, v12
	v_lshrrev_b32_e32 v10, 19, v3
	v_subrev_u32_e32 v13, 28, v12
	v_and_b32_e32 v10, 15, v10
	v_lshlrev_b32_sdwa v13, v13, v3 dst_sel:DWORD dst_unused:UNUSED_PAD src0_sel:DWORD src1_sel:WORD_1
	v_bfe_u32 v11, v3, 19, 4
	v_sub_u32_e32 v12, 29, v12
	v_and_b32_e32 v13, 7, v13
	v_cmp_eq_u16_e32 vcc, 0, v10
	v_cndmask_b32_e32 v6, v6, v13, vcc
	v_cndmask_b32_e32 v10, v11, v12, vcc
	v_lshlrev_b32_e32 v11, 8, v3
	v_mov_b32_e32 v12, 0x3b800000
	v_lshlrev_b32_e32 v6, 20, v6
	v_and_b32_e32 v11, 0x80000000, v11
	v_lshl_add_u32 v10, v10, 23, v12
	v_or3_b32 v10, v11, v10, v6
.LBB8_952:
	s_or_b64 exec, exec, s[6:7]
	s_nop 0
	v_mfma_f32_16x16x4f32 a[0:3], v2, v10, a[0:3]
	s_movk_i32 s4, 0x7f
	v_cmp_gt_i16_sdwa s[6:7], v7, s4 src0_sel:BYTE_3 src1_sel:DWORD
	s_mov_b64 s[4:5], 0
                                        ; implicit-def: $sgpr10
	s_and_saveexec_b64 s[8:9], s[6:7]
	s_xor_b64 s[6:7], exec, s[8:9]
	s_cbranch_execnz .LBB8_3001
; %bb.953:
	s_or_saveexec_b64 s[6:7], s[6:7]
	v_mov_b32_e32 v2, s10
	s_xor_b64 exec, exec, s[6:7]
	s_cbranch_execnz .LBB8_3004
.LBB8_954:
	s_or_b64 exec, exec, s[6:7]
	s_and_saveexec_b64 s[6:7], s[4:5]
	s_cbranch_execz .LBB8_956
.LBB8_955:
	v_bfe_u32 v2, v7, 24, 3
	v_ffbh_u32_e32 v12, v2
	v_min_u32_e32 v12, 32, v12
	v_lshrrev_b32_e32 v10, 27, v7
	v_subrev_u32_e32 v13, 28, v12
	v_and_b32_e32 v6, 0x80000000, v7
	v_and_b32_e32 v10, 15, v10
	v_bfe_u32 v11, v7, 27, 4
	v_lshlrev_b32_sdwa v7, v13, v7 dst_sel:DWORD dst_unused:UNUSED_PAD src0_sel:DWORD src1_sel:BYTE_3
	v_sub_u32_e32 v12, 29, v12
	v_and_b32_e32 v7, 7, v7
	v_cmp_eq_u16_e32 vcc, 0, v10
	v_cndmask_b32_e32 v2, v2, v7, vcc
	v_cndmask_b32_e32 v7, v11, v12, vcc
	v_mov_b32_e32 v10, 0x3b800000
	v_lshlrev_b32_e32 v2, 20, v2
	v_lshl_add_u32 v7, v7, 23, v10
	v_or3_b32 v2, v6, v7, v2
.LBB8_956:
	s_or_b64 exec, exec, s[6:7]
	s_movk_i32 s4, 0x7f
	v_cmp_gt_i16_sdwa s[6:7], v3, s4 src0_sel:BYTE_3 src1_sel:DWORD
	s_mov_b64 s[4:5], 0
                                        ; implicit-def: $sgpr10
	s_and_saveexec_b64 s[8:9], s[6:7]
	s_xor_b64 s[6:7], exec, s[8:9]
	s_cbranch_execnz .LBB8_3005
; %bb.957:
	s_or_saveexec_b64 s[6:7], s[6:7]
	v_mov_b32_e32 v6, s10
	s_xor_b64 exec, exec, s[6:7]
	s_cbranch_execnz .LBB8_3008
.LBB8_958:
	s_or_b64 exec, exec, s[6:7]
	s_and_saveexec_b64 s[6:7], s[4:5]
	s_cbranch_execz .LBB8_960
.LBB8_959:
	v_bfe_u32 v6, v3, 24, 3
	v_ffbh_u32_e32 v12, v6
	v_min_u32_e32 v12, 32, v12
	v_lshrrev_b32_e32 v10, 27, v3
	v_subrev_u32_e32 v13, 28, v12
	v_and_b32_e32 v7, 0x80000000, v3
	v_and_b32_e32 v10, 15, v10
	v_bfe_u32 v11, v3, 27, 4
	v_lshlrev_b32_sdwa v3, v13, v3 dst_sel:DWORD dst_unused:UNUSED_PAD src0_sel:DWORD src1_sel:BYTE_3
	v_sub_u32_e32 v12, 29, v12
	v_and_b32_e32 v3, 7, v3
	v_cmp_eq_u16_e32 vcc, 0, v10
	v_cndmask_b32_e32 v3, v6, v3, vcc
	v_cndmask_b32_e32 v6, v11, v12, vcc
	v_mov_b32_e32 v10, 0x3b800000
	v_lshlrev_b32_e32 v3, 20, v3
	v_lshl_add_u32 v6, v6, 23, v10
	v_or3_b32 v6, v7, v6, v3
.LBB8_960:
	s_or_b64 exec, exec, s[6:7]
	s_nop 0
	v_mfma_f32_16x16x4f32 a[0:3], v2, v6, a[0:3]
	s_movk_i32 s4, 0x7f
	v_cmp_gt_i16_sdwa s[6:7], v8, s4 src0_sel:BYTE_0 src1_sel:DWORD
	s_mov_b64 s[4:5], 0
                                        ; implicit-def: $sgpr10
	s_and_saveexec_b64 s[8:9], s[6:7]
	s_xor_b64 s[6:7], exec, s[8:9]
	s_cbranch_execnz .LBB8_3009
; %bb.961:
	s_or_saveexec_b64 s[6:7], s[6:7]
	v_mov_b32_e32 v2, s10
	s_xor_b64 exec, exec, s[6:7]
	s_cbranch_execnz .LBB8_3012
.LBB8_962:
	s_or_b64 exec, exec, s[6:7]
	s_and_saveexec_b64 s[6:7], s[4:5]
	s_cbranch_execz .LBB8_964
.LBB8_963:
	v_and_b32_e32 v2, 7, v8
	v_ffbh_u32_e32 v6, v2
	v_min_u32_e32 v6, 32, v6
	v_lshrrev_b16_e32 v3, 3, v8
	v_subrev_u32_e32 v7, 28, v6
	v_and_b32_e32 v3, 15, v3
	v_lshlrev_b32_e32 v7, v7, v8
	v_sub_u32_e32 v6, 29, v6
	v_and_b32_e32 v7, 7, v7
	v_cmp_eq_u16_e32 vcc, 0, v3
	v_cndmask_b32_e32 v2, v2, v7, vcc
	v_cndmask_b32_e32 v3, v3, v6, vcc
	v_lshlrev_b32_e32 v6, 24, v8
	v_mov_b32_e32 v7, 0x3b800000
	v_lshlrev_b32_e32 v2, 20, v2
	v_and_b32_e32 v6, 0x80000000, v6
	v_lshl_add_u32 v3, v3, 23, v7
	v_or3_b32 v2, v6, v3, v2
.LBB8_964:
	s_or_b64 exec, exec, s[6:7]
	s_movk_i32 s4, 0x7f
	v_cmp_gt_i16_sdwa s[6:7], v4, s4 src0_sel:BYTE_0 src1_sel:DWORD
	s_mov_b64 s[4:5], 0
                                        ; implicit-def: $sgpr10
	s_and_saveexec_b64 s[8:9], s[6:7]
	s_xor_b64 s[6:7], exec, s[8:9]
	s_cbranch_execnz .LBB8_3013
; %bb.965:
	s_or_saveexec_b64 s[6:7], s[6:7]
	v_mov_b32_e32 v3, s10
	s_xor_b64 exec, exec, s[6:7]
	s_cbranch_execnz .LBB8_3016
.LBB8_966:
	s_or_b64 exec, exec, s[6:7]
	s_and_saveexec_b64 s[6:7], s[4:5]
	s_cbranch_execz .LBB8_968
.LBB8_967:
	v_and_b32_e32 v3, 7, v4
	v_ffbh_u32_e32 v7, v3
	v_min_u32_e32 v7, 32, v7
	v_lshrrev_b16_e32 v6, 3, v4
	v_subrev_u32_e32 v10, 28, v7
	v_and_b32_e32 v6, 15, v6
	v_lshlrev_b32_e32 v10, v10, v4
	v_sub_u32_e32 v7, 29, v7
	v_and_b32_e32 v10, 7, v10
	v_cmp_eq_u16_e32 vcc, 0, v6
	v_cndmask_b32_e32 v3, v3, v10, vcc
	v_cndmask_b32_e32 v6, v6, v7, vcc
	v_lshlrev_b32_e32 v7, 24, v4
	v_mov_b32_e32 v10, 0x3b800000
	v_lshlrev_b32_e32 v3, 20, v3
	v_and_b32_e32 v7, 0x80000000, v7
	v_lshl_add_u32 v6, v6, 23, v10
	v_or3_b32 v3, v7, v6, v3
.LBB8_968:
	s_or_b64 exec, exec, s[6:7]
	s_nop 0
	v_mfma_f32_16x16x4f32 a[0:3], v2, v3, a[0:3]
	v_lshrrev_b32_e32 v3, 8, v8
	s_movk_i32 s4, 0x7f
	v_cmp_gt_i16_sdwa s[6:7], v3, s4 src0_sel:BYTE_0 src1_sel:DWORD
	s_mov_b64 s[4:5], 0
                                        ; implicit-def: $sgpr10
	s_and_saveexec_b64 s[8:9], s[6:7]
	s_xor_b64 s[6:7], exec, s[8:9]
	s_cbranch_execnz .LBB8_3017
; %bb.969:
	s_or_saveexec_b64 s[6:7], s[6:7]
	v_mov_b32_e32 v2, s10
	s_xor_b64 exec, exec, s[6:7]
	s_cbranch_execnz .LBB8_3020
.LBB8_970:
	s_or_b64 exec, exec, s[6:7]
	s_and_saveexec_b64 s[6:7], s[4:5]
	s_cbranch_execz .LBB8_972
.LBB8_971:
	v_bfe_u32 v2, v8, 8, 3
	v_ffbh_u32_e32 v7, v2
	v_min_u32_e32 v7, 32, v7
	v_lshrrev_b16_e32 v6, 3, v3
	v_subrev_u32_e32 v10, 28, v7
	v_and_b32_e32 v6, 15, v6
	v_lshlrev_b32_e32 v3, v10, v3
	v_sub_u32_e32 v7, 29, v7
	v_and_b32_e32 v3, 7, v3
	v_cmp_eq_u16_e32 vcc, 0, v6
	v_cndmask_b32_e32 v2, v2, v3, vcc
	v_cndmask_b32_e32 v3, v6, v7, vcc
	v_lshlrev_b32_e32 v6, 16, v8
	v_mov_b32_e32 v7, 0x3b800000
	v_lshlrev_b32_e32 v2, 20, v2
	v_and_b32_e32 v6, 0x80000000, v6
	v_lshl_add_u32 v3, v3, 23, v7
	v_or3_b32 v2, v6, v3, v2
.LBB8_972:
	s_or_b64 exec, exec, s[6:7]
	v_lshrrev_b32_e32 v3, 8, v4
	s_movk_i32 s4, 0x7f
	v_cmp_gt_i16_sdwa s[6:7], v3, s4 src0_sel:BYTE_0 src1_sel:DWORD
	s_mov_b64 s[4:5], 0
                                        ; implicit-def: $sgpr10
	s_and_saveexec_b64 s[8:9], s[6:7]
	s_xor_b64 s[6:7], exec, s[8:9]
	s_cbranch_execnz .LBB8_3021
; %bb.973:
	s_or_saveexec_b64 s[6:7], s[6:7]
	v_mov_b32_e32 v6, s10
	s_xor_b64 exec, exec, s[6:7]
	s_cbranch_execnz .LBB8_3024
.LBB8_974:
	s_or_b64 exec, exec, s[6:7]
	s_and_saveexec_b64 s[6:7], s[4:5]
	s_cbranch_execz .LBB8_976
.LBB8_975:
	v_bfe_u32 v6, v4, 8, 3
	v_ffbh_u32_e32 v10, v6
	v_min_u32_e32 v10, 32, v10
	v_lshrrev_b16_e32 v7, 3, v3
	v_subrev_u32_e32 v11, 28, v10
	v_and_b32_e32 v7, 15, v7
	v_lshlrev_b32_e32 v3, v11, v3
	v_sub_u32_e32 v10, 29, v10
	v_and_b32_e32 v3, 7, v3
	v_cmp_eq_u16_e32 vcc, 0, v7
	v_cndmask_b32_e32 v3, v6, v3, vcc
	v_cndmask_b32_e32 v6, v7, v10, vcc
	v_lshlrev_b32_e32 v7, 16, v4
	v_mov_b32_e32 v10, 0x3b800000
	v_lshlrev_b32_e32 v3, 20, v3
	v_and_b32_e32 v7, 0x80000000, v7
	v_lshl_add_u32 v6, v6, 23, v10
	v_or3_b32 v6, v7, v6, v3
.LBB8_976:
	s_or_b64 exec, exec, s[6:7]
	s_nop 0
	v_mfma_f32_16x16x4f32 a[0:3], v2, v6, a[0:3]
	s_movk_i32 s4, 0xff
	v_and_b32_sdwa v3, v8, s4 dst_sel:DWORD dst_unused:UNUSED_PAD src0_sel:WORD_1 src1_sel:DWORD
	s_movk_i32 s4, 0x7f
	v_cmp_lt_i16_e32 vcc, s4, v3
	s_mov_b64 s[4:5], 0
                                        ; implicit-def: $sgpr10
	s_and_saveexec_b64 s[6:7], vcc
	s_xor_b64 s[6:7], exec, s[6:7]
	s_cbranch_execnz .LBB8_3025
; %bb.977:
	s_or_saveexec_b64 s[6:7], s[6:7]
	v_mov_b32_e32 v2, s10
	s_xor_b64 exec, exec, s[6:7]
	s_cbranch_execnz .LBB8_3028
.LBB8_978:
	s_or_b64 exec, exec, s[6:7]
	s_and_saveexec_b64 s[6:7], s[4:5]
	s_cbranch_execz .LBB8_980
.LBB8_979:
	v_bfe_u32 v2, v8, 16, 3
	v_ffbh_u32_e32 v7, v2
	v_min_u32_e32 v7, 32, v7
	v_lshrrev_b32_e32 v3, 19, v8
	v_subrev_u32_e32 v10, 28, v7
	v_and_b32_e32 v3, 15, v3
	v_lshlrev_b32_sdwa v10, v10, v8 dst_sel:DWORD dst_unused:UNUSED_PAD src0_sel:DWORD src1_sel:WORD_1
	v_bfe_u32 v6, v8, 19, 4
	v_sub_u32_e32 v7, 29, v7
	v_and_b32_e32 v10, 7, v10
	v_cmp_eq_u16_e32 vcc, 0, v3
	v_cndmask_b32_e32 v2, v2, v10, vcc
	v_cndmask_b32_e32 v3, v6, v7, vcc
	v_lshlrev_b32_e32 v6, 8, v8
	v_mov_b32_e32 v7, 0x3b800000
	v_lshlrev_b32_e32 v2, 20, v2
	v_and_b32_e32 v6, 0x80000000, v6
	v_lshl_add_u32 v3, v3, 23, v7
	v_or3_b32 v2, v6, v3, v2
.LBB8_980:
	s_or_b64 exec, exec, s[6:7]
	s_movk_i32 s4, 0xff
	v_and_b32_sdwa v3, v4, s4 dst_sel:DWORD dst_unused:UNUSED_PAD src0_sel:WORD_1 src1_sel:DWORD
	s_movk_i32 s4, 0x7f
	v_cmp_lt_i16_e32 vcc, s4, v3
	s_mov_b64 s[4:5], 0
                                        ; implicit-def: $sgpr10
	s_and_saveexec_b64 s[6:7], vcc
	s_xor_b64 s[6:7], exec, s[6:7]
	s_cbranch_execnz .LBB8_3029
; %bb.981:
	s_or_saveexec_b64 s[6:7], s[6:7]
	v_mov_b32_e32 v6, s10
	s_xor_b64 exec, exec, s[6:7]
	s_cbranch_execnz .LBB8_3032
.LBB8_982:
	s_or_b64 exec, exec, s[6:7]
	s_and_saveexec_b64 s[6:7], s[4:5]
	s_cbranch_execz .LBB8_984
.LBB8_983:
	v_bfe_u32 v3, v4, 16, 3
	v_ffbh_u32_e32 v10, v3
	v_min_u32_e32 v10, 32, v10
	v_lshrrev_b32_e32 v6, 19, v4
	v_subrev_u32_e32 v11, 28, v10
	v_and_b32_e32 v6, 15, v6
	v_lshlrev_b32_sdwa v11, v11, v4 dst_sel:DWORD dst_unused:UNUSED_PAD src0_sel:DWORD src1_sel:WORD_1
	v_bfe_u32 v7, v4, 19, 4
	v_sub_u32_e32 v10, 29, v10
	v_and_b32_e32 v11, 7, v11
	v_cmp_eq_u16_e32 vcc, 0, v6
	v_cndmask_b32_e32 v3, v3, v11, vcc
	v_cndmask_b32_e32 v6, v7, v10, vcc
	v_lshlrev_b32_e32 v7, 8, v4
	v_mov_b32_e32 v10, 0x3b800000
	v_lshlrev_b32_e32 v3, 20, v3
	v_and_b32_e32 v7, 0x80000000, v7
	v_lshl_add_u32 v6, v6, 23, v10
	v_or3_b32 v6, v7, v6, v3
.LBB8_984:
	s_or_b64 exec, exec, s[6:7]
	s_nop 0
	v_mfma_f32_16x16x4f32 a[0:3], v2, v6, a[0:3]
	s_movk_i32 s4, 0x7f
	v_cmp_gt_i16_sdwa s[6:7], v8, s4 src0_sel:BYTE_3 src1_sel:DWORD
	s_mov_b64 s[4:5], 0
                                        ; implicit-def: $sgpr10
	s_and_saveexec_b64 s[8:9], s[6:7]
	s_xor_b64 s[6:7], exec, s[8:9]
	s_cbranch_execnz .LBB8_3033
; %bb.985:
	s_or_saveexec_b64 s[6:7], s[6:7]
	v_mov_b32_e32 v2, s10
	s_xor_b64 exec, exec, s[6:7]
	s_cbranch_execnz .LBB8_3036
.LBB8_986:
	s_or_b64 exec, exec, s[6:7]
	s_and_saveexec_b64 s[6:7], s[4:5]
	s_cbranch_execz .LBB8_988
.LBB8_987:
	v_bfe_u32 v2, v8, 24, 3
	v_ffbh_u32_e32 v10, v2
	v_min_u32_e32 v10, 32, v10
	v_lshrrev_b32_e32 v6, 27, v8
	v_subrev_u32_e32 v11, 28, v10
	v_and_b32_e32 v3, 0x80000000, v8
	v_and_b32_e32 v6, 15, v6
	v_bfe_u32 v7, v8, 27, 4
	v_lshlrev_b32_sdwa v8, v11, v8 dst_sel:DWORD dst_unused:UNUSED_PAD src0_sel:DWORD src1_sel:BYTE_3
	v_sub_u32_e32 v10, 29, v10
	v_and_b32_e32 v8, 7, v8
	v_cmp_eq_u16_e32 vcc, 0, v6
	v_cndmask_b32_e32 v2, v2, v8, vcc
	v_cndmask_b32_e32 v6, v7, v10, vcc
	v_mov_b32_e32 v7, 0x3b800000
	v_lshlrev_b32_e32 v2, 20, v2
	v_lshl_add_u32 v6, v6, 23, v7
	v_or3_b32 v2, v3, v6, v2
.LBB8_988:
	s_or_b64 exec, exec, s[6:7]
	s_movk_i32 s4, 0x7f
	v_cmp_gt_i16_sdwa s[6:7], v4, s4 src0_sel:BYTE_3 src1_sel:DWORD
	s_mov_b64 s[4:5], 0
                                        ; implicit-def: $sgpr10
	s_and_saveexec_b64 s[8:9], s[6:7]
	s_xor_b64 s[6:7], exec, s[8:9]
	s_cbranch_execnz .LBB8_3037
; %bb.989:
	s_or_saveexec_b64 s[6:7], s[6:7]
	v_mov_b32_e32 v3, s10
	s_xor_b64 exec, exec, s[6:7]
	s_cbranch_execnz .LBB8_3040
.LBB8_990:
	s_or_b64 exec, exec, s[6:7]
	s_and_saveexec_b64 s[6:7], s[4:5]
	s_cbranch_execz .LBB8_992
.LBB8_991:
	v_bfe_u32 v3, v4, 24, 3
	v_ffbh_u32_e32 v10, v3
	v_min_u32_e32 v10, 32, v10
	v_lshrrev_b32_e32 v7, 27, v4
	v_subrev_u32_e32 v11, 28, v10
	v_and_b32_e32 v6, 0x80000000, v4
	v_and_b32_e32 v7, 15, v7
	v_bfe_u32 v8, v4, 27, 4
	v_lshlrev_b32_sdwa v4, v11, v4 dst_sel:DWORD dst_unused:UNUSED_PAD src0_sel:DWORD src1_sel:BYTE_3
	v_sub_u32_e32 v10, 29, v10
	v_and_b32_e32 v4, 7, v4
	v_cmp_eq_u16_e32 vcc, 0, v7
	v_cndmask_b32_e32 v3, v3, v4, vcc
	v_cndmask_b32_e32 v4, v8, v10, vcc
	v_mov_b32_e32 v7, 0x3b800000
	v_lshlrev_b32_e32 v3, 20, v3
	v_lshl_add_u32 v4, v4, 23, v7
	v_or3_b32 v3, v6, v4, v3
.LBB8_992:
	s_or_b64 exec, exec, s[6:7]
	s_nop 0
	v_mfma_f32_16x16x4f32 a[0:3], v2, v3, a[0:3]
	s_movk_i32 s4, 0x7f
	v_cmp_gt_i16_sdwa s[6:7], v9, s4 src0_sel:BYTE_0 src1_sel:DWORD
	s_mov_b64 s[4:5], 0
                                        ; implicit-def: $sgpr10
	s_and_saveexec_b64 s[8:9], s[6:7]
	s_xor_b64 s[6:7], exec, s[8:9]
	s_cbranch_execnz .LBB8_3041
; %bb.993:
	s_or_saveexec_b64 s[6:7], s[6:7]
	v_mov_b32_e32 v2, s10
	s_xor_b64 exec, exec, s[6:7]
	s_cbranch_execnz .LBB8_3044
.LBB8_994:
	s_or_b64 exec, exec, s[6:7]
	s_and_saveexec_b64 s[6:7], s[4:5]
	s_cbranch_execz .LBB8_996
.LBB8_995:
	v_mov_b32_e32 v2, 8
	v_and_b32_e32 v3, 7, v9
	v_lshrrev_b32_sdwa v2, v2, v9 dst_sel:BYTE_1 dst_unused:UNUSED_PAD src0_sel:DWORD src1_sel:DWORD
	v_ffbh_u32_e32 v4, v3
	v_or_b32_sdwa v2, v9, v2 dst_sel:DWORD dst_unused:UNUSED_PAD src0_sel:BYTE_0 src1_sel:DWORD
	v_min_u32_e32 v4, 32, v4
	v_lshrrev_b16_e32 v2, 3, v2
	v_subrev_u32_e32 v6, 28, v4
	v_and_b32_e32 v2, 15, v2
	v_lshlrev_b32_e32 v6, v6, v9
	v_sub_u32_e32 v4, 29, v4
	v_and_b32_e32 v6, 7, v6
	v_cmp_eq_u16_e32 vcc, 0, v2
	v_cndmask_b32_e32 v3, v3, v6, vcc
	v_cndmask_b32_e32 v2, v2, v4, vcc
	v_lshlrev_b32_e32 v4, 24, v9
	v_mov_b32_e32 v6, 0x3b800000
	v_lshlrev_b32_e32 v3, 20, v3
	v_and_b32_e32 v4, 0x80000000, v4
	v_lshl_add_u32 v2, v2, 23, v6
	v_or3_b32 v2, v4, v2, v3
.LBB8_996:
	s_or_b64 exec, exec, s[6:7]
	s_movk_i32 s4, 0x7f
	v_cmp_gt_i16_sdwa s[6:7], v5, s4 src0_sel:BYTE_0 src1_sel:DWORD
	s_mov_b64 s[4:5], 0
                                        ; implicit-def: $sgpr10
	s_and_saveexec_b64 s[8:9], s[6:7]
	s_xor_b64 s[6:7], exec, s[8:9]
	s_cbranch_execnz .LBB8_3045
; %bb.997:
	s_or_saveexec_b64 s[6:7], s[6:7]
	v_mov_b32_e32 v3, s10
	s_xor_b64 exec, exec, s[6:7]
	s_cbranch_execnz .LBB8_3048
.LBB8_998:
	s_or_b64 exec, exec, s[6:7]
	s_and_saveexec_b64 s[6:7], s[4:5]
	s_cbranch_execz .LBB8_1000
.LBB8_999:
	v_mov_b32_e32 v3, 8
	v_and_b32_e32 v4, 7, v5
	v_lshrrev_b32_sdwa v3, v3, v5 dst_sel:BYTE_1 dst_unused:UNUSED_PAD src0_sel:DWORD src1_sel:DWORD
	v_ffbh_u32_e32 v6, v4
	v_or_b32_sdwa v3, v5, v3 dst_sel:DWORD dst_unused:UNUSED_PAD src0_sel:BYTE_0 src1_sel:DWORD
	v_min_u32_e32 v6, 32, v6
	v_lshrrev_b16_e32 v3, 3, v3
	v_subrev_u32_e32 v7, 28, v6
	v_and_b32_e32 v3, 15, v3
	v_lshlrev_b32_e32 v7, v7, v5
	v_sub_u32_e32 v6, 29, v6
	v_and_b32_e32 v7, 7, v7
	v_cmp_eq_u16_e32 vcc, 0, v3
	v_cndmask_b32_e32 v4, v4, v7, vcc
	v_cndmask_b32_e32 v3, v3, v6, vcc
	v_lshlrev_b32_e32 v6, 24, v5
	v_mov_b32_e32 v7, 0x3b800000
	v_lshlrev_b32_e32 v4, 20, v4
	v_and_b32_e32 v6, 0x80000000, v6
	v_lshl_add_u32 v3, v3, 23, v7
	v_or3_b32 v3, v6, v3, v4
.LBB8_1000:
	s_or_b64 exec, exec, s[6:7]
	s_nop 0
	v_mfma_f32_16x16x4f32 a[0:3], v2, v3, a[0:3]
	v_lshrrev_b32_e32 v3, 8, v9
	s_movk_i32 s4, 0x7f
	v_cmp_gt_i16_sdwa s[6:7], v3, s4 src0_sel:BYTE_0 src1_sel:DWORD
	s_mov_b64 s[4:5], 0
                                        ; implicit-def: $sgpr10
	s_and_saveexec_b64 s[8:9], s[6:7]
	s_xor_b64 s[6:7], exec, s[8:9]
	s_cbranch_execnz .LBB8_3049
; %bb.1001:
	s_or_saveexec_b64 s[6:7], s[6:7]
	v_mov_b32_e32 v2, s10
	s_xor_b64 exec, exec, s[6:7]
	s_cbranch_execnz .LBB8_3052
.LBB8_1002:
	s_or_b64 exec, exec, s[6:7]
	s_and_saveexec_b64 s[6:7], s[4:5]
	s_cbranch_execz .LBB8_1004
.LBB8_1003:
	v_bfe_u32 v2, v9, 8, 3
	v_ffbh_u32_e32 v6, v2
	v_min_u32_e32 v6, 32, v6
	v_lshrrev_b16_e32 v4, 3, v3
	v_subrev_u32_e32 v7, 28, v6
	v_and_b32_e32 v4, 15, v4
	v_lshlrev_b32_e32 v3, v7, v3
	v_sub_u32_e32 v6, 29, v6
	v_and_b32_e32 v3, 7, v3
	v_cmp_eq_u16_e32 vcc, 0, v4
	v_cndmask_b32_e32 v2, v2, v3, vcc
	v_cndmask_b32_e32 v3, v4, v6, vcc
	v_lshlrev_b32_e32 v4, 16, v9
	v_mov_b32_e32 v6, 0x3b800000
	v_lshlrev_b32_e32 v2, 20, v2
	v_and_b32_e32 v4, 0x80000000, v4
	v_lshl_add_u32 v3, v3, 23, v6
	v_or3_b32 v2, v4, v3, v2
.LBB8_1004:
	s_or_b64 exec, exec, s[6:7]
	v_lshrrev_b32_e32 v3, 8, v5
	s_movk_i32 s4, 0x7f
	v_cmp_gt_i16_sdwa s[6:7], v3, s4 src0_sel:BYTE_0 src1_sel:DWORD
	s_mov_b64 s[4:5], 0
                                        ; implicit-def: $sgpr10
	s_and_saveexec_b64 s[8:9], s[6:7]
	s_xor_b64 s[6:7], exec, s[8:9]
	s_cbranch_execnz .LBB8_3053
; %bb.1005:
	s_or_saveexec_b64 s[6:7], s[6:7]
	v_mov_b32_e32 v4, s10
	s_xor_b64 exec, exec, s[6:7]
	s_cbranch_execnz .LBB8_3056
.LBB8_1006:
	s_or_b64 exec, exec, s[6:7]
	s_and_saveexec_b64 s[6:7], s[4:5]
	s_cbranch_execz .LBB8_1008
.LBB8_1007:
	v_bfe_u32 v4, v5, 8, 3
	v_ffbh_u32_e32 v7, v4
	v_min_u32_e32 v7, 32, v7
	v_lshrrev_b16_e32 v6, 3, v3
	v_subrev_u32_e32 v8, 28, v7
	v_and_b32_e32 v6, 15, v6
	v_lshlrev_b32_e32 v3, v8, v3
	v_sub_u32_e32 v7, 29, v7
	v_and_b32_e32 v3, 7, v3
	v_cmp_eq_u16_e32 vcc, 0, v6
	v_cndmask_b32_e32 v3, v4, v3, vcc
	v_cndmask_b32_e32 v4, v6, v7, vcc
	v_lshlrev_b32_e32 v6, 16, v5
	v_mov_b32_e32 v7, 0x3b800000
	v_lshlrev_b32_e32 v3, 20, v3
	v_and_b32_e32 v6, 0x80000000, v6
	v_lshl_add_u32 v4, v4, 23, v7
	v_or3_b32 v4, v6, v4, v3
.LBB8_1008:
	s_or_b64 exec, exec, s[6:7]
	s_nop 0
	v_mfma_f32_16x16x4f32 a[0:3], v2, v4, a[0:3]
	s_movk_i32 s4, 0xff
	v_and_b32_sdwa v3, v9, s4 dst_sel:DWORD dst_unused:UNUSED_PAD src0_sel:WORD_1 src1_sel:DWORD
	s_movk_i32 s4, 0x7f
	v_cmp_lt_i16_e32 vcc, s4, v3
	s_mov_b64 s[4:5], 0
                                        ; implicit-def: $sgpr10
	s_and_saveexec_b64 s[6:7], vcc
	s_xor_b64 s[6:7], exec, s[6:7]
	s_cbranch_execnz .LBB8_3057
; %bb.1009:
	s_or_saveexec_b64 s[6:7], s[6:7]
	v_mov_b32_e32 v2, s10
	s_xor_b64 exec, exec, s[6:7]
	s_cbranch_execnz .LBB8_3060
.LBB8_1010:
	s_or_b64 exec, exec, s[6:7]
	s_and_saveexec_b64 s[6:7], s[4:5]
	s_cbranch_execz .LBB8_1012
.LBB8_1011:
	v_bfe_u32 v2, v9, 16, 3
	v_ffbh_u32_e32 v6, v2
	v_min_u32_e32 v6, 32, v6
	v_lshrrev_b32_e32 v3, 19, v9
	v_subrev_u32_e32 v7, 28, v6
	v_and_b32_e32 v3, 15, v3
	v_lshlrev_b32_sdwa v7, v7, v9 dst_sel:DWORD dst_unused:UNUSED_PAD src0_sel:DWORD src1_sel:WORD_1
	v_bfe_u32 v4, v9, 19, 4
	v_sub_u32_e32 v6, 29, v6
	v_and_b32_e32 v7, 7, v7
	v_cmp_eq_u16_e32 vcc, 0, v3
	v_cndmask_b32_e32 v2, v2, v7, vcc
	v_cndmask_b32_e32 v3, v4, v6, vcc
	v_lshlrev_b32_e32 v4, 8, v9
	v_mov_b32_e32 v6, 0x3b800000
	v_lshlrev_b32_e32 v2, 20, v2
	v_and_b32_e32 v4, 0x80000000, v4
	v_lshl_add_u32 v3, v3, 23, v6
	v_or3_b32 v2, v4, v3, v2
.LBB8_1012:
	s_or_b64 exec, exec, s[6:7]
	s_movk_i32 s4, 0xff
	v_and_b32_sdwa v3, v5, s4 dst_sel:DWORD dst_unused:UNUSED_PAD src0_sel:WORD_1 src1_sel:DWORD
	s_movk_i32 s4, 0x7f
	v_cmp_lt_i16_e32 vcc, s4, v3
	s_mov_b64 s[4:5], 0
                                        ; implicit-def: $sgpr10
	s_and_saveexec_b64 s[6:7], vcc
	s_xor_b64 s[6:7], exec, s[6:7]
	s_cbranch_execnz .LBB8_3061
; %bb.1013:
	s_or_saveexec_b64 s[6:7], s[6:7]
	v_mov_b32_e32 v4, s10
	s_xor_b64 exec, exec, s[6:7]
	s_cbranch_execnz .LBB8_3064
.LBB8_1014:
	s_or_b64 exec, exec, s[6:7]
	s_and_saveexec_b64 s[6:7], s[4:5]
	s_cbranch_execz .LBB8_1016
.LBB8_1015:
	v_bfe_u32 v3, v5, 16, 3
	v_ffbh_u32_e32 v7, v3
	v_min_u32_e32 v7, 32, v7
	v_lshrrev_b32_e32 v4, 19, v5
	v_subrev_u32_e32 v8, 28, v7
	v_and_b32_e32 v4, 15, v4
	v_lshlrev_b32_sdwa v8, v8, v5 dst_sel:DWORD dst_unused:UNUSED_PAD src0_sel:DWORD src1_sel:WORD_1
	v_bfe_u32 v6, v5, 19, 4
	v_sub_u32_e32 v7, 29, v7
	v_and_b32_e32 v8, 7, v8
	v_cmp_eq_u16_e32 vcc, 0, v4
	v_cndmask_b32_e32 v3, v3, v8, vcc
	v_cndmask_b32_e32 v4, v6, v7, vcc
	v_lshlrev_b32_e32 v6, 8, v5
	v_mov_b32_e32 v7, 0x3b800000
	v_lshlrev_b32_e32 v3, 20, v3
	v_and_b32_e32 v6, 0x80000000, v6
	v_lshl_add_u32 v4, v4, 23, v7
	v_or3_b32 v4, v6, v4, v3
.LBB8_1016:
	s_or_b64 exec, exec, s[6:7]
	s_nop 0
	v_mfma_f32_16x16x4f32 a[0:3], v2, v4, a[0:3]
	s_movk_i32 s4, 0x7f
	v_cmp_gt_i16_sdwa s[6:7], v9, s4 src0_sel:BYTE_3 src1_sel:DWORD
	s_mov_b64 s[4:5], 0
                                        ; implicit-def: $sgpr10
	s_and_saveexec_b64 s[8:9], s[6:7]
	s_xor_b64 s[6:7], exec, s[8:9]
	s_cbranch_execnz .LBB8_3065
; %bb.1017:
	s_or_saveexec_b64 s[6:7], s[6:7]
	v_mov_b32_e32 v2, s10
	s_xor_b64 exec, exec, s[6:7]
	s_cbranch_execnz .LBB8_3068
.LBB8_1018:
	s_or_b64 exec, exec, s[6:7]
	s_and_saveexec_b64 s[6:7], s[4:5]
	s_cbranch_execz .LBB8_1020
.LBB8_1019:
	v_bfe_u32 v2, v9, 24, 3
	v_ffbh_u32_e32 v7, v2
	v_min_u32_e32 v7, 32, v7
	v_lshrrev_b32_e32 v4, 27, v9
	v_subrev_u32_e32 v8, 28, v7
	v_and_b32_e32 v4, 15, v4
	v_lshlrev_b32_sdwa v8, v8, v9 dst_sel:DWORD dst_unused:UNUSED_PAD src0_sel:DWORD src1_sel:BYTE_3
	v_bfe_u32 v6, v9, 27, 4
	v_sub_u32_e32 v7, 29, v7
	v_and_b32_e32 v8, 7, v8
	v_cmp_eq_u16_e32 vcc, 0, v4
	v_cndmask_b32_e32 v2, v2, v8, vcc
	v_cndmask_b32_e32 v4, v6, v7, vcc
	v_mov_b32_e32 v6, 0x3b800000
	v_and_b32_e32 v3, 0x80000000, v9
	v_lshlrev_b32_e32 v2, 20, v2
	v_lshl_add_u32 v4, v4, 23, v6
	v_or3_b32 v2, v3, v4, v2
.LBB8_1020:
	s_or_b64 exec, exec, s[6:7]
	s_movk_i32 s4, 0x7f
	v_cmp_gt_i16_sdwa s[6:7], v5, s4 src0_sel:BYTE_3 src1_sel:DWORD
	s_mov_b64 s[4:5], 0
                                        ; implicit-def: $sgpr10
	s_and_saveexec_b64 s[8:9], s[6:7]
	s_xor_b64 s[6:7], exec, s[8:9]
	s_cbranch_execnz .LBB8_3069
; %bb.1021:
	s_or_saveexec_b64 s[6:7], s[6:7]
	v_mov_b32_e32 v3, s10
	s_xor_b64 exec, exec, s[6:7]
	s_cbranch_execnz .LBB8_3072
.LBB8_1022:
	s_or_b64 exec, exec, s[6:7]
	s_and_saveexec_b64 s[6:7], s[4:5]
	s_cbranch_execz .LBB8_1024
.LBB8_1023:
	v_bfe_u32 v3, v5, 24, 3
	v_ffbh_u32_e32 v8, v3
	v_min_u32_e32 v8, 32, v8
	v_lshrrev_b32_e32 v6, 27, v5
	v_subrev_u32_e32 v9, 28, v8
	v_and_b32_e32 v4, 0x80000000, v5
	v_and_b32_e32 v6, 15, v6
	v_bfe_u32 v7, v5, 27, 4
	v_lshlrev_b32_sdwa v5, v9, v5 dst_sel:DWORD dst_unused:UNUSED_PAD src0_sel:DWORD src1_sel:BYTE_3
	v_sub_u32_e32 v8, 29, v8
	v_and_b32_e32 v5, 7, v5
	v_cmp_eq_u16_e32 vcc, 0, v6
	v_cndmask_b32_e32 v3, v3, v5, vcc
	v_cndmask_b32_e32 v5, v7, v8, vcc
	v_mov_b32_e32 v6, 0x3b800000
	v_lshlrev_b32_e32 v3, 20, v3
	v_lshl_add_u32 v5, v5, 23, v6
	v_or3_b32 v3, v4, v5, v3
.LBB8_1024:
	s_or_b64 exec, exec, s[6:7]
	s_nop 0
	v_mfma_f32_16x16x4f32 a[0:3], v2, v3, a[0:3]
	s_movk_i32 s4, 0x7f
                                        ; implicit-def: $sgpr10
	s_nop 7
	s_nop 1
	flat_store_dwordx4 v[18:19], a[0:3] offset:816
	flat_load_dwordx4 v[20:23], v[0:1] offset:16
	s_nop 0
	flat_load_dwordx2 v[18:19], v[0:1] offset:32
	s_waitcnt vmcnt(0) lgkmcnt(0)
	flat_load_dwordx4 v[14:17], v[20:21]
	flat_load_dwordx4 v[6:9], v[20:21] offset:16
	flat_load_dwordx4 v[10:13], v[22:23] offset:128
	;; [unrolled: 1-line block ×3, first 2 shown]
	s_waitcnt vmcnt(0) lgkmcnt(0)
	v_cmp_gt_i16_sdwa s[6:7], v14, s4 src0_sel:BYTE_0 src1_sel:DWORD
	s_mov_b64 s[4:5], 0
	s_and_saveexec_b64 s[8:9], s[6:7]
	s_xor_b64 s[6:7], exec, s[8:9]
	s_cbranch_execnz .LBB8_3073
; %bb.1025:
	s_or_saveexec_b64 s[6:7], s[6:7]
	v_mov_b32_e32 v20, s10
	s_xor_b64 exec, exec, s[6:7]
	s_cbranch_execnz .LBB8_3076
.LBB8_1026:
	s_or_b64 exec, exec, s[6:7]
	s_and_saveexec_b64 s[6:7], s[4:5]
	s_cbranch_execz .LBB8_1028
.LBB8_1027:
	v_and_b32_e32 v20, 7, v14
	v_ffbh_u32_e32 v22, v20
	v_min_u32_e32 v22, 32, v22
	v_lshrrev_b16_e32 v21, 3, v14
	v_subrev_u32_e32 v23, 28, v22
	v_and_b32_e32 v21, 15, v21
	v_lshlrev_b32_e32 v23, v23, v14
	v_sub_u32_e32 v22, 29, v22
	v_and_b32_e32 v23, 7, v23
	v_cmp_eq_u16_e32 vcc, 0, v21
	v_cndmask_b32_e32 v20, v20, v23, vcc
	v_cndmask_b32_e32 v21, v21, v22, vcc
	v_lshlrev_b32_e32 v22, 24, v14
	v_mov_b32_e32 v23, 0x3b800000
	v_lshlrev_b32_e32 v20, 20, v20
	v_and_b32_e32 v22, 0x80000000, v22
	v_lshl_add_u32 v21, v21, 23, v23
	v_or3_b32 v20, v22, v21, v20
.LBB8_1028:
	s_or_b64 exec, exec, s[6:7]
	s_movk_i32 s4, 0x7f
	v_cmp_gt_i16_sdwa s[6:7], v10, s4 src0_sel:BYTE_0 src1_sel:DWORD
	s_mov_b64 s[4:5], 0
                                        ; implicit-def: $sgpr10
	s_and_saveexec_b64 s[8:9], s[6:7]
	s_xor_b64 s[6:7], exec, s[8:9]
	s_cbranch_execnz .LBB8_3077
; %bb.1029:
	s_or_saveexec_b64 s[6:7], s[6:7]
	v_mov_b32_e32 v21, s10
	s_xor_b64 exec, exec, s[6:7]
	s_cbranch_execnz .LBB8_3080
.LBB8_1030:
	s_or_b64 exec, exec, s[6:7]
	s_and_saveexec_b64 s[6:7], s[4:5]
	s_cbranch_execz .LBB8_1032
.LBB8_1031:
	v_and_b32_e32 v21, 7, v10
	v_ffbh_u32_e32 v23, v21
	v_min_u32_e32 v23, 32, v23
	v_lshrrev_b16_e32 v22, 3, v10
	v_subrev_u32_e32 v24, 28, v23
	v_and_b32_e32 v22, 15, v22
	v_lshlrev_b32_e32 v24, v24, v10
	v_sub_u32_e32 v23, 29, v23
	v_and_b32_e32 v24, 7, v24
	v_cmp_eq_u16_e32 vcc, 0, v22
	v_cndmask_b32_e32 v21, v21, v24, vcc
	v_cndmask_b32_e32 v22, v22, v23, vcc
	v_lshlrev_b32_e32 v23, 24, v10
	v_mov_b32_e32 v24, 0x3b800000
	v_lshlrev_b32_e32 v21, 20, v21
	v_and_b32_e32 v23, 0x80000000, v23
	v_lshl_add_u32 v22, v22, 23, v24
	v_or3_b32 v21, v23, v22, v21
.LBB8_1032:
	s_or_b64 exec, exec, s[6:7]
	flat_load_dwordx4 a[0:3], v[18:19] offset:832
	s_movk_i32 s4, 0x7f
                                        ; implicit-def: $sgpr10
	s_waitcnt vmcnt(0) lgkmcnt(0)
	v_mfma_f32_16x16x4f32 a[0:3], v20, v21, a[0:3]
	v_lshrrev_b32_e32 v21, 8, v14
	v_cmp_gt_i16_sdwa s[6:7], v21, s4 src0_sel:BYTE_0 src1_sel:DWORD
	s_mov_b64 s[4:5], 0
	s_and_saveexec_b64 s[8:9], s[6:7]
	s_xor_b64 s[6:7], exec, s[8:9]
	s_cbranch_execnz .LBB8_3081
; %bb.1033:
	s_or_saveexec_b64 s[6:7], s[6:7]
	v_mov_b32_e32 v20, s10
	s_xor_b64 exec, exec, s[6:7]
	s_cbranch_execnz .LBB8_3084
.LBB8_1034:
	s_or_b64 exec, exec, s[6:7]
	s_and_saveexec_b64 s[6:7], s[4:5]
	s_cbranch_execz .LBB8_1036
.LBB8_1035:
	v_bfe_u32 v20, v14, 8, 3
	v_ffbh_u32_e32 v23, v20
	v_min_u32_e32 v23, 32, v23
	v_lshrrev_b16_e32 v22, 3, v21
	v_subrev_u32_e32 v24, 28, v23
	v_and_b32_e32 v22, 15, v22
	v_lshlrev_b32_e32 v21, v24, v21
	v_sub_u32_e32 v23, 29, v23
	v_and_b32_e32 v21, 7, v21
	v_cmp_eq_u16_e32 vcc, 0, v22
	v_cndmask_b32_e32 v20, v20, v21, vcc
	v_cndmask_b32_e32 v21, v22, v23, vcc
	v_lshlrev_b32_e32 v22, 16, v14
	v_mov_b32_e32 v23, 0x3b800000
	v_lshlrev_b32_e32 v20, 20, v20
	v_and_b32_e32 v22, 0x80000000, v22
	v_lshl_add_u32 v21, v21, 23, v23
	v_or3_b32 v20, v22, v21, v20
.LBB8_1036:
	s_or_b64 exec, exec, s[6:7]
	v_lshrrev_b32_e32 v21, 8, v10
	s_movk_i32 s4, 0x7f
	v_cmp_gt_i16_sdwa s[6:7], v21, s4 src0_sel:BYTE_0 src1_sel:DWORD
	s_mov_b64 s[4:5], 0
                                        ; implicit-def: $sgpr10
	s_and_saveexec_b64 s[8:9], s[6:7]
	s_xor_b64 s[6:7], exec, s[8:9]
	s_cbranch_execnz .LBB8_3085
; %bb.1037:
	s_or_saveexec_b64 s[6:7], s[6:7]
	v_mov_b32_e32 v22, s10
	s_xor_b64 exec, exec, s[6:7]
	s_cbranch_execnz .LBB8_3088
.LBB8_1038:
	s_or_b64 exec, exec, s[6:7]
	s_and_saveexec_b64 s[6:7], s[4:5]
	s_cbranch_execz .LBB8_1040
.LBB8_1039:
	v_bfe_u32 v22, v10, 8, 3
	v_ffbh_u32_e32 v24, v22
	v_min_u32_e32 v24, 32, v24
	v_lshrrev_b16_e32 v23, 3, v21
	v_subrev_u32_e32 v25, 28, v24
	v_and_b32_e32 v23, 15, v23
	v_lshlrev_b32_e32 v21, v25, v21
	v_sub_u32_e32 v24, 29, v24
	v_and_b32_e32 v21, 7, v21
	v_cmp_eq_u16_e32 vcc, 0, v23
	v_cndmask_b32_e32 v21, v22, v21, vcc
	v_cndmask_b32_e32 v22, v23, v24, vcc
	v_lshlrev_b32_e32 v23, 16, v10
	v_mov_b32_e32 v24, 0x3b800000
	v_lshlrev_b32_e32 v21, 20, v21
	v_and_b32_e32 v23, 0x80000000, v23
	v_lshl_add_u32 v22, v22, 23, v24
	v_or3_b32 v22, v23, v22, v21
.LBB8_1040:
	s_or_b64 exec, exec, s[6:7]
	s_nop 0
	v_mfma_f32_16x16x4f32 a[0:3], v20, v22, a[0:3]
	s_movk_i32 s4, 0xff
	v_and_b32_sdwa v21, v14, s4 dst_sel:DWORD dst_unused:UNUSED_PAD src0_sel:WORD_1 src1_sel:DWORD
	s_movk_i32 s4, 0x7f
	v_cmp_lt_i16_e32 vcc, s4, v21
	s_mov_b64 s[4:5], 0
                                        ; implicit-def: $sgpr10
	s_and_saveexec_b64 s[6:7], vcc
	s_xor_b64 s[6:7], exec, s[6:7]
	s_cbranch_execnz .LBB8_3089
; %bb.1041:
	s_or_saveexec_b64 s[6:7], s[6:7]
	v_mov_b32_e32 v20, s10
	s_xor_b64 exec, exec, s[6:7]
	s_cbranch_execnz .LBB8_3092
.LBB8_1042:
	s_or_b64 exec, exec, s[6:7]
	s_and_saveexec_b64 s[6:7], s[4:5]
	s_cbranch_execz .LBB8_1044
.LBB8_1043:
	v_bfe_u32 v20, v14, 16, 3
	v_ffbh_u32_e32 v23, v20
	v_min_u32_e32 v23, 32, v23
	v_lshrrev_b32_e32 v21, 19, v14
	v_subrev_u32_e32 v24, 28, v23
	v_and_b32_e32 v21, 15, v21
	v_lshlrev_b32_sdwa v24, v24, v14 dst_sel:DWORD dst_unused:UNUSED_PAD src0_sel:DWORD src1_sel:WORD_1
	v_bfe_u32 v22, v14, 19, 4
	v_sub_u32_e32 v23, 29, v23
	v_and_b32_e32 v24, 7, v24
	v_cmp_eq_u16_e32 vcc, 0, v21
	v_cndmask_b32_e32 v20, v20, v24, vcc
	v_cndmask_b32_e32 v21, v22, v23, vcc
	v_lshlrev_b32_e32 v22, 8, v14
	v_mov_b32_e32 v23, 0x3b800000
	v_lshlrev_b32_e32 v20, 20, v20
	v_and_b32_e32 v22, 0x80000000, v22
	v_lshl_add_u32 v21, v21, 23, v23
	v_or3_b32 v20, v22, v21, v20
.LBB8_1044:
	s_or_b64 exec, exec, s[6:7]
	s_movk_i32 s4, 0xff
	v_and_b32_sdwa v21, v10, s4 dst_sel:DWORD dst_unused:UNUSED_PAD src0_sel:WORD_1 src1_sel:DWORD
	s_movk_i32 s4, 0x7f
	v_cmp_lt_i16_e32 vcc, s4, v21
	s_mov_b64 s[4:5], 0
                                        ; implicit-def: $sgpr10
	s_and_saveexec_b64 s[6:7], vcc
	s_xor_b64 s[6:7], exec, s[6:7]
	s_cbranch_execnz .LBB8_3093
; %bb.1045:
	s_or_saveexec_b64 s[6:7], s[6:7]
	v_mov_b32_e32 v22, s10
	s_xor_b64 exec, exec, s[6:7]
	s_cbranch_execnz .LBB8_3096
.LBB8_1046:
	s_or_b64 exec, exec, s[6:7]
	s_and_saveexec_b64 s[6:7], s[4:5]
	s_cbranch_execz .LBB8_1048
.LBB8_1047:
	v_bfe_u32 v21, v10, 16, 3
	v_ffbh_u32_e32 v24, v21
	v_min_u32_e32 v24, 32, v24
	v_lshrrev_b32_e32 v22, 19, v10
	v_subrev_u32_e32 v25, 28, v24
	v_and_b32_e32 v22, 15, v22
	v_lshlrev_b32_sdwa v25, v25, v10 dst_sel:DWORD dst_unused:UNUSED_PAD src0_sel:DWORD src1_sel:WORD_1
	v_bfe_u32 v23, v10, 19, 4
	v_sub_u32_e32 v24, 29, v24
	v_and_b32_e32 v25, 7, v25
	v_cmp_eq_u16_e32 vcc, 0, v22
	v_cndmask_b32_e32 v21, v21, v25, vcc
	v_cndmask_b32_e32 v22, v23, v24, vcc
	v_lshlrev_b32_e32 v23, 8, v10
	v_mov_b32_e32 v24, 0x3b800000
	v_lshlrev_b32_e32 v21, 20, v21
	v_and_b32_e32 v23, 0x80000000, v23
	v_lshl_add_u32 v22, v22, 23, v24
	v_or3_b32 v22, v23, v22, v21
.LBB8_1048:
	s_or_b64 exec, exec, s[6:7]
	s_nop 0
	v_mfma_f32_16x16x4f32 a[0:3], v20, v22, a[0:3]
	s_movk_i32 s4, 0x7f
	v_cmp_gt_i16_sdwa s[6:7], v14, s4 src0_sel:BYTE_3 src1_sel:DWORD
	s_mov_b64 s[4:5], 0
                                        ; implicit-def: $sgpr10
	s_and_saveexec_b64 s[8:9], s[6:7]
	s_xor_b64 s[6:7], exec, s[8:9]
	s_cbranch_execnz .LBB8_3097
; %bb.1049:
	s_or_saveexec_b64 s[6:7], s[6:7]
	v_mov_b32_e32 v20, s10
	s_xor_b64 exec, exec, s[6:7]
	s_cbranch_execnz .LBB8_3100
.LBB8_1050:
	s_or_b64 exec, exec, s[6:7]
	s_and_saveexec_b64 s[6:7], s[4:5]
	s_cbranch_execz .LBB8_1052
.LBB8_1051:
	v_bfe_u32 v20, v14, 24, 3
	v_ffbh_u32_e32 v24, v20
	v_min_u32_e32 v24, 32, v24
	v_lshrrev_b32_e32 v22, 27, v14
	v_subrev_u32_e32 v25, 28, v24
	v_and_b32_e32 v21, 0x80000000, v14
	v_and_b32_e32 v22, 15, v22
	v_bfe_u32 v23, v14, 27, 4
	v_lshlrev_b32_sdwa v14, v25, v14 dst_sel:DWORD dst_unused:UNUSED_PAD src0_sel:DWORD src1_sel:BYTE_3
	v_sub_u32_e32 v24, 29, v24
	v_and_b32_e32 v14, 7, v14
	v_cmp_eq_u16_e32 vcc, 0, v22
	v_cndmask_b32_e32 v14, v20, v14, vcc
	v_cndmask_b32_e32 v20, v23, v24, vcc
	v_mov_b32_e32 v22, 0x3b800000
	v_lshlrev_b32_e32 v14, 20, v14
	v_lshl_add_u32 v20, v20, 23, v22
	v_or3_b32 v20, v21, v20, v14
.LBB8_1052:
	s_or_b64 exec, exec, s[6:7]
	s_movk_i32 s4, 0x7f
	v_cmp_gt_i16_sdwa s[6:7], v10, s4 src0_sel:BYTE_3 src1_sel:DWORD
	s_mov_b64 s[4:5], 0
                                        ; implicit-def: $sgpr10
	s_and_saveexec_b64 s[8:9], s[6:7]
	s_xor_b64 s[6:7], exec, s[8:9]
	s_cbranch_execnz .LBB8_3101
; %bb.1053:
	s_or_saveexec_b64 s[6:7], s[6:7]
	v_mov_b32_e32 v14, s10
	s_xor_b64 exec, exec, s[6:7]
	s_cbranch_execnz .LBB8_3104
.LBB8_1054:
	s_or_b64 exec, exec, s[6:7]
	s_and_saveexec_b64 s[6:7], s[4:5]
	s_cbranch_execz .LBB8_1056
.LBB8_1055:
	v_bfe_u32 v14, v10, 24, 3
	v_ffbh_u32_e32 v24, v14
	v_min_u32_e32 v24, 32, v24
	v_lshrrev_b32_e32 v22, 27, v10
	v_subrev_u32_e32 v25, 28, v24
	v_and_b32_e32 v21, 0x80000000, v10
	v_and_b32_e32 v22, 15, v22
	v_bfe_u32 v23, v10, 27, 4
	v_lshlrev_b32_sdwa v10, v25, v10 dst_sel:DWORD dst_unused:UNUSED_PAD src0_sel:DWORD src1_sel:BYTE_3
	v_sub_u32_e32 v24, 29, v24
	v_and_b32_e32 v10, 7, v10
	v_cmp_eq_u16_e32 vcc, 0, v22
	v_cndmask_b32_e32 v10, v14, v10, vcc
	v_cndmask_b32_e32 v14, v23, v24, vcc
	v_mov_b32_e32 v22, 0x3b800000
	v_lshlrev_b32_e32 v10, 20, v10
	v_lshl_add_u32 v14, v14, 23, v22
	v_or3_b32 v14, v21, v14, v10
.LBB8_1056:
	s_or_b64 exec, exec, s[6:7]
	s_nop 0
	v_mfma_f32_16x16x4f32 a[0:3], v20, v14, a[0:3]
	s_movk_i32 s4, 0x7f
	v_cmp_gt_i16_sdwa s[6:7], v15, s4 src0_sel:BYTE_0 src1_sel:DWORD
	s_mov_b64 s[4:5], 0
                                        ; implicit-def: $sgpr10
	s_and_saveexec_b64 s[8:9], s[6:7]
	s_xor_b64 s[6:7], exec, s[8:9]
	s_cbranch_execnz .LBB8_3105
; %bb.1057:
	s_or_saveexec_b64 s[6:7], s[6:7]
	v_mov_b32_e32 v10, s10
	s_xor_b64 exec, exec, s[6:7]
	s_cbranch_execnz .LBB8_3108
.LBB8_1058:
	s_or_b64 exec, exec, s[6:7]
	s_and_saveexec_b64 s[6:7], s[4:5]
	s_cbranch_execz .LBB8_1060
.LBB8_1059:
	v_and_b32_e32 v10, 7, v15
	v_ffbh_u32_e32 v20, v10
	v_min_u32_e32 v20, 32, v20
	v_lshrrev_b16_e32 v14, 3, v15
	v_subrev_u32_e32 v21, 28, v20
	v_and_b32_e32 v14, 15, v14
	v_lshlrev_b32_e32 v21, v21, v15
	v_sub_u32_e32 v20, 29, v20
	v_and_b32_e32 v21, 7, v21
	v_cmp_eq_u16_e32 vcc, 0, v14
	v_cndmask_b32_e32 v10, v10, v21, vcc
	v_cndmask_b32_e32 v14, v14, v20, vcc
	v_lshlrev_b32_e32 v20, 24, v15
	v_mov_b32_e32 v21, 0x3b800000
	v_lshlrev_b32_e32 v10, 20, v10
	v_and_b32_e32 v20, 0x80000000, v20
	v_lshl_add_u32 v14, v14, 23, v21
	v_or3_b32 v10, v20, v14, v10
.LBB8_1060:
	s_or_b64 exec, exec, s[6:7]
	s_movk_i32 s4, 0x7f
	v_cmp_gt_i16_sdwa s[6:7], v11, s4 src0_sel:BYTE_0 src1_sel:DWORD
	s_mov_b64 s[4:5], 0
                                        ; implicit-def: $sgpr10
	s_and_saveexec_b64 s[8:9], s[6:7]
	s_xor_b64 s[6:7], exec, s[8:9]
	s_cbranch_execnz .LBB8_3109
; %bb.1061:
	s_or_saveexec_b64 s[6:7], s[6:7]
	v_mov_b32_e32 v14, s10
	s_xor_b64 exec, exec, s[6:7]
	s_cbranch_execnz .LBB8_3112
.LBB8_1062:
	s_or_b64 exec, exec, s[6:7]
	s_and_saveexec_b64 s[6:7], s[4:5]
	s_cbranch_execz .LBB8_1064
.LBB8_1063:
	v_and_b32_e32 v14, 7, v11
	v_ffbh_u32_e32 v21, v14
	v_min_u32_e32 v21, 32, v21
	v_lshrrev_b16_e32 v20, 3, v11
	v_subrev_u32_e32 v22, 28, v21
	v_and_b32_e32 v20, 15, v20
	v_lshlrev_b32_e32 v22, v22, v11
	v_sub_u32_e32 v21, 29, v21
	v_and_b32_e32 v22, 7, v22
	v_cmp_eq_u16_e32 vcc, 0, v20
	v_cndmask_b32_e32 v14, v14, v22, vcc
	v_cndmask_b32_e32 v20, v20, v21, vcc
	v_lshlrev_b32_e32 v21, 24, v11
	v_mov_b32_e32 v22, 0x3b800000
	v_lshlrev_b32_e32 v14, 20, v14
	v_and_b32_e32 v21, 0x80000000, v21
	v_lshl_add_u32 v20, v20, 23, v22
	v_or3_b32 v14, v21, v20, v14
.LBB8_1064:
	s_or_b64 exec, exec, s[6:7]
	s_nop 0
	v_mfma_f32_16x16x4f32 a[0:3], v10, v14, a[0:3]
	v_lshrrev_b32_e32 v14, 8, v15
	s_movk_i32 s4, 0x7f
	v_cmp_gt_i16_sdwa s[6:7], v14, s4 src0_sel:BYTE_0 src1_sel:DWORD
	s_mov_b64 s[4:5], 0
                                        ; implicit-def: $sgpr10
	s_and_saveexec_b64 s[8:9], s[6:7]
	s_xor_b64 s[6:7], exec, s[8:9]
	s_cbranch_execnz .LBB8_3113
; %bb.1065:
	s_or_saveexec_b64 s[6:7], s[6:7]
	v_mov_b32_e32 v10, s10
	s_xor_b64 exec, exec, s[6:7]
	s_cbranch_execnz .LBB8_3116
.LBB8_1066:
	s_or_b64 exec, exec, s[6:7]
	s_and_saveexec_b64 s[6:7], s[4:5]
	s_cbranch_execz .LBB8_1068
.LBB8_1067:
	v_bfe_u32 v10, v15, 8, 3
	v_ffbh_u32_e32 v21, v10
	v_min_u32_e32 v21, 32, v21
	v_lshrrev_b16_e32 v20, 3, v14
	v_subrev_u32_e32 v22, 28, v21
	v_and_b32_e32 v20, 15, v20
	v_lshlrev_b32_e32 v14, v22, v14
	v_sub_u32_e32 v21, 29, v21
	v_and_b32_e32 v14, 7, v14
	v_cmp_eq_u16_e32 vcc, 0, v20
	v_cndmask_b32_e32 v10, v10, v14, vcc
	v_cndmask_b32_e32 v14, v20, v21, vcc
	v_lshlrev_b32_e32 v20, 16, v15
	v_mov_b32_e32 v21, 0x3b800000
	v_lshlrev_b32_e32 v10, 20, v10
	v_and_b32_e32 v20, 0x80000000, v20
	v_lshl_add_u32 v14, v14, 23, v21
	v_or3_b32 v10, v20, v14, v10
.LBB8_1068:
	s_or_b64 exec, exec, s[6:7]
	v_lshrrev_b32_e32 v14, 8, v11
	s_movk_i32 s4, 0x7f
	v_cmp_gt_i16_sdwa s[6:7], v14, s4 src0_sel:BYTE_0 src1_sel:DWORD
	s_mov_b64 s[4:5], 0
                                        ; implicit-def: $sgpr10
	s_and_saveexec_b64 s[8:9], s[6:7]
	s_xor_b64 s[6:7], exec, s[8:9]
	s_cbranch_execnz .LBB8_3117
; %bb.1069:
	s_or_saveexec_b64 s[6:7], s[6:7]
	v_mov_b32_e32 v20, s10
	s_xor_b64 exec, exec, s[6:7]
	s_cbranch_execnz .LBB8_3120
.LBB8_1070:
	s_or_b64 exec, exec, s[6:7]
	s_and_saveexec_b64 s[6:7], s[4:5]
	s_cbranch_execz .LBB8_1072
.LBB8_1071:
	v_bfe_u32 v20, v11, 8, 3
	v_ffbh_u32_e32 v22, v20
	v_min_u32_e32 v22, 32, v22
	v_lshrrev_b16_e32 v21, 3, v14
	v_subrev_u32_e32 v23, 28, v22
	v_and_b32_e32 v21, 15, v21
	v_lshlrev_b32_e32 v14, v23, v14
	v_sub_u32_e32 v22, 29, v22
	v_and_b32_e32 v14, 7, v14
	v_cmp_eq_u16_e32 vcc, 0, v21
	v_cndmask_b32_e32 v14, v20, v14, vcc
	v_cndmask_b32_e32 v20, v21, v22, vcc
	v_lshlrev_b32_e32 v21, 16, v11
	v_mov_b32_e32 v22, 0x3b800000
	v_lshlrev_b32_e32 v14, 20, v14
	v_and_b32_e32 v21, 0x80000000, v21
	v_lshl_add_u32 v20, v20, 23, v22
	v_or3_b32 v20, v21, v20, v14
.LBB8_1072:
	s_or_b64 exec, exec, s[6:7]
	s_nop 0
	v_mfma_f32_16x16x4f32 a[0:3], v10, v20, a[0:3]
	s_movk_i32 s4, 0xff
	v_and_b32_sdwa v14, v15, s4 dst_sel:DWORD dst_unused:UNUSED_PAD src0_sel:WORD_1 src1_sel:DWORD
	s_movk_i32 s4, 0x7f
	v_cmp_lt_i16_e32 vcc, s4, v14
	s_mov_b64 s[4:5], 0
                                        ; implicit-def: $sgpr10
	s_and_saveexec_b64 s[6:7], vcc
	s_xor_b64 s[6:7], exec, s[6:7]
	s_cbranch_execnz .LBB8_3121
; %bb.1073:
	s_or_saveexec_b64 s[6:7], s[6:7]
	v_mov_b32_e32 v10, s10
	s_xor_b64 exec, exec, s[6:7]
	s_cbranch_execnz .LBB8_3124
.LBB8_1074:
	s_or_b64 exec, exec, s[6:7]
	s_and_saveexec_b64 s[6:7], s[4:5]
	s_cbranch_execz .LBB8_1076
.LBB8_1075:
	v_bfe_u32 v10, v15, 16, 3
	v_ffbh_u32_e32 v21, v10
	v_min_u32_e32 v21, 32, v21
	v_lshrrev_b32_e32 v14, 19, v15
	v_subrev_u32_e32 v22, 28, v21
	v_and_b32_e32 v14, 15, v14
	v_lshlrev_b32_sdwa v22, v22, v15 dst_sel:DWORD dst_unused:UNUSED_PAD src0_sel:DWORD src1_sel:WORD_1
	v_bfe_u32 v20, v15, 19, 4
	v_sub_u32_e32 v21, 29, v21
	v_and_b32_e32 v22, 7, v22
	v_cmp_eq_u16_e32 vcc, 0, v14
	v_cndmask_b32_e32 v10, v10, v22, vcc
	v_cndmask_b32_e32 v14, v20, v21, vcc
	v_lshlrev_b32_e32 v20, 8, v15
	v_mov_b32_e32 v21, 0x3b800000
	v_lshlrev_b32_e32 v10, 20, v10
	v_and_b32_e32 v20, 0x80000000, v20
	v_lshl_add_u32 v14, v14, 23, v21
	v_or3_b32 v10, v20, v14, v10
.LBB8_1076:
	s_or_b64 exec, exec, s[6:7]
	s_movk_i32 s4, 0xff
	v_and_b32_sdwa v14, v11, s4 dst_sel:DWORD dst_unused:UNUSED_PAD src0_sel:WORD_1 src1_sel:DWORD
	s_movk_i32 s4, 0x7f
	v_cmp_lt_i16_e32 vcc, s4, v14
	s_mov_b64 s[4:5], 0
                                        ; implicit-def: $sgpr10
	s_and_saveexec_b64 s[6:7], vcc
	s_xor_b64 s[6:7], exec, s[6:7]
	s_cbranch_execnz .LBB8_3125
; %bb.1077:
	s_or_saveexec_b64 s[6:7], s[6:7]
	v_mov_b32_e32 v20, s10
	s_xor_b64 exec, exec, s[6:7]
	s_cbranch_execnz .LBB8_3128
.LBB8_1078:
	s_or_b64 exec, exec, s[6:7]
	s_and_saveexec_b64 s[6:7], s[4:5]
	s_cbranch_execz .LBB8_1080
.LBB8_1079:
	v_bfe_u32 v14, v11, 16, 3
	v_ffbh_u32_e32 v22, v14
	v_min_u32_e32 v22, 32, v22
	v_lshrrev_b32_e32 v20, 19, v11
	v_subrev_u32_e32 v23, 28, v22
	v_and_b32_e32 v20, 15, v20
	v_lshlrev_b32_sdwa v23, v23, v11 dst_sel:DWORD dst_unused:UNUSED_PAD src0_sel:DWORD src1_sel:WORD_1
	v_bfe_u32 v21, v11, 19, 4
	v_sub_u32_e32 v22, 29, v22
	v_and_b32_e32 v23, 7, v23
	v_cmp_eq_u16_e32 vcc, 0, v20
	v_cndmask_b32_e32 v14, v14, v23, vcc
	v_cndmask_b32_e32 v20, v21, v22, vcc
	v_lshlrev_b32_e32 v21, 8, v11
	v_mov_b32_e32 v22, 0x3b800000
	v_lshlrev_b32_e32 v14, 20, v14
	v_and_b32_e32 v21, 0x80000000, v21
	v_lshl_add_u32 v20, v20, 23, v22
	v_or3_b32 v20, v21, v20, v14
.LBB8_1080:
	s_or_b64 exec, exec, s[6:7]
	s_nop 0
	v_mfma_f32_16x16x4f32 a[0:3], v10, v20, a[0:3]
	s_movk_i32 s4, 0x7f
	v_cmp_gt_i16_sdwa s[6:7], v15, s4 src0_sel:BYTE_3 src1_sel:DWORD
	s_mov_b64 s[4:5], 0
                                        ; implicit-def: $sgpr10
	s_and_saveexec_b64 s[8:9], s[6:7]
	s_xor_b64 s[6:7], exec, s[8:9]
	s_cbranch_execnz .LBB8_3129
; %bb.1081:
	s_or_saveexec_b64 s[6:7], s[6:7]
	v_mov_b32_e32 v10, s10
	s_xor_b64 exec, exec, s[6:7]
	s_cbranch_execnz .LBB8_3132
.LBB8_1082:
	s_or_b64 exec, exec, s[6:7]
	s_and_saveexec_b64 s[6:7], s[4:5]
	s_cbranch_execz .LBB8_1084
.LBB8_1083:
	v_bfe_u32 v10, v15, 24, 3
	v_ffbh_u32_e32 v22, v10
	v_min_u32_e32 v22, 32, v22
	v_lshrrev_b32_e32 v20, 27, v15
	v_subrev_u32_e32 v23, 28, v22
	v_and_b32_e32 v14, 0x80000000, v15
	v_and_b32_e32 v20, 15, v20
	v_bfe_u32 v21, v15, 27, 4
	v_lshlrev_b32_sdwa v15, v23, v15 dst_sel:DWORD dst_unused:UNUSED_PAD src0_sel:DWORD src1_sel:BYTE_3
	v_sub_u32_e32 v22, 29, v22
	v_and_b32_e32 v15, 7, v15
	v_cmp_eq_u16_e32 vcc, 0, v20
	v_cndmask_b32_e32 v10, v10, v15, vcc
	v_cndmask_b32_e32 v15, v21, v22, vcc
	v_mov_b32_e32 v20, 0x3b800000
	v_lshlrev_b32_e32 v10, 20, v10
	v_lshl_add_u32 v15, v15, 23, v20
	v_or3_b32 v10, v14, v15, v10
.LBB8_1084:
	s_or_b64 exec, exec, s[6:7]
	s_movk_i32 s4, 0x7f
	v_cmp_gt_i16_sdwa s[6:7], v11, s4 src0_sel:BYTE_3 src1_sel:DWORD
	s_mov_b64 s[4:5], 0
                                        ; implicit-def: $sgpr10
	s_and_saveexec_b64 s[8:9], s[6:7]
	s_xor_b64 s[6:7], exec, s[8:9]
	s_cbranch_execnz .LBB8_3133
; %bb.1085:
	s_or_saveexec_b64 s[6:7], s[6:7]
	v_mov_b32_e32 v14, s10
	s_xor_b64 exec, exec, s[6:7]
	s_cbranch_execnz .LBB8_3136
.LBB8_1086:
	s_or_b64 exec, exec, s[6:7]
	s_and_saveexec_b64 s[6:7], s[4:5]
	s_cbranch_execz .LBB8_1088
.LBB8_1087:
	v_bfe_u32 v14, v11, 24, 3
	v_ffbh_u32_e32 v22, v14
	v_min_u32_e32 v22, 32, v22
	v_lshrrev_b32_e32 v20, 27, v11
	v_subrev_u32_e32 v23, 28, v22
	v_and_b32_e32 v15, 0x80000000, v11
	v_and_b32_e32 v20, 15, v20
	v_bfe_u32 v21, v11, 27, 4
	v_lshlrev_b32_sdwa v11, v23, v11 dst_sel:DWORD dst_unused:UNUSED_PAD src0_sel:DWORD src1_sel:BYTE_3
	v_sub_u32_e32 v22, 29, v22
	v_and_b32_e32 v11, 7, v11
	v_cmp_eq_u16_e32 vcc, 0, v20
	v_cndmask_b32_e32 v11, v14, v11, vcc
	v_cndmask_b32_e32 v14, v21, v22, vcc
	v_mov_b32_e32 v20, 0x3b800000
	v_lshlrev_b32_e32 v11, 20, v11
	v_lshl_add_u32 v14, v14, 23, v20
	v_or3_b32 v14, v15, v14, v11
.LBB8_1088:
	s_or_b64 exec, exec, s[6:7]
	s_nop 0
	v_mfma_f32_16x16x4f32 a[0:3], v10, v14, a[0:3]
	s_movk_i32 s4, 0x7f
	v_cmp_gt_i16_sdwa s[6:7], v16, s4 src0_sel:BYTE_0 src1_sel:DWORD
	s_mov_b64 s[4:5], 0
                                        ; implicit-def: $sgpr10
	s_and_saveexec_b64 s[8:9], s[6:7]
	s_xor_b64 s[6:7], exec, s[8:9]
	s_cbranch_execnz .LBB8_3137
; %bb.1089:
	s_or_saveexec_b64 s[6:7], s[6:7]
	v_mov_b32_e32 v10, s10
	s_xor_b64 exec, exec, s[6:7]
	s_cbranch_execnz .LBB8_3140
.LBB8_1090:
	s_or_b64 exec, exec, s[6:7]
	s_and_saveexec_b64 s[6:7], s[4:5]
	s_cbranch_execz .LBB8_1092
.LBB8_1091:
	v_and_b32_e32 v10, 7, v16
	v_ffbh_u32_e32 v14, v10
	v_min_u32_e32 v14, 32, v14
	v_lshrrev_b16_e32 v11, 3, v16
	v_subrev_u32_e32 v15, 28, v14
	v_and_b32_e32 v11, 15, v11
	v_lshlrev_b32_e32 v15, v15, v16
	v_sub_u32_e32 v14, 29, v14
	v_and_b32_e32 v15, 7, v15
	v_cmp_eq_u16_e32 vcc, 0, v11
	v_cndmask_b32_e32 v10, v10, v15, vcc
	v_cndmask_b32_e32 v11, v11, v14, vcc
	v_lshlrev_b32_e32 v14, 24, v16
	v_mov_b32_e32 v15, 0x3b800000
	v_lshlrev_b32_e32 v10, 20, v10
	v_and_b32_e32 v14, 0x80000000, v14
	v_lshl_add_u32 v11, v11, 23, v15
	v_or3_b32 v10, v14, v11, v10
.LBB8_1092:
	s_or_b64 exec, exec, s[6:7]
	s_movk_i32 s4, 0x7f
	v_cmp_gt_i16_sdwa s[6:7], v12, s4 src0_sel:BYTE_0 src1_sel:DWORD
	s_mov_b64 s[4:5], 0
                                        ; implicit-def: $sgpr10
	s_and_saveexec_b64 s[8:9], s[6:7]
	s_xor_b64 s[6:7], exec, s[8:9]
	s_cbranch_execnz .LBB8_3141
; %bb.1093:
	s_or_saveexec_b64 s[6:7], s[6:7]
	v_mov_b32_e32 v11, s10
	s_xor_b64 exec, exec, s[6:7]
	s_cbranch_execnz .LBB8_3144
.LBB8_1094:
	s_or_b64 exec, exec, s[6:7]
	s_and_saveexec_b64 s[6:7], s[4:5]
	s_cbranch_execz .LBB8_1096
.LBB8_1095:
	v_and_b32_e32 v11, 7, v12
	v_ffbh_u32_e32 v15, v11
	v_min_u32_e32 v15, 32, v15
	v_lshrrev_b16_e32 v14, 3, v12
	v_subrev_u32_e32 v20, 28, v15
	v_and_b32_e32 v14, 15, v14
	v_lshlrev_b32_e32 v20, v20, v12
	v_sub_u32_e32 v15, 29, v15
	v_and_b32_e32 v20, 7, v20
	v_cmp_eq_u16_e32 vcc, 0, v14
	v_cndmask_b32_e32 v11, v11, v20, vcc
	v_cndmask_b32_e32 v14, v14, v15, vcc
	v_lshlrev_b32_e32 v15, 24, v12
	v_mov_b32_e32 v20, 0x3b800000
	v_lshlrev_b32_e32 v11, 20, v11
	v_and_b32_e32 v15, 0x80000000, v15
	v_lshl_add_u32 v14, v14, 23, v20
	v_or3_b32 v11, v15, v14, v11
.LBB8_1096:
	s_or_b64 exec, exec, s[6:7]
	s_nop 0
	v_mfma_f32_16x16x4f32 a[0:3], v10, v11, a[0:3]
	v_lshrrev_b32_e32 v11, 8, v16
	s_movk_i32 s4, 0x7f
	v_cmp_gt_i16_sdwa s[6:7], v11, s4 src0_sel:BYTE_0 src1_sel:DWORD
	s_mov_b64 s[4:5], 0
                                        ; implicit-def: $sgpr10
	s_and_saveexec_b64 s[8:9], s[6:7]
	s_xor_b64 s[6:7], exec, s[8:9]
	s_cbranch_execnz .LBB8_3145
; %bb.1097:
	s_or_saveexec_b64 s[6:7], s[6:7]
	v_mov_b32_e32 v10, s10
	s_xor_b64 exec, exec, s[6:7]
	s_cbranch_execnz .LBB8_3148
.LBB8_1098:
	s_or_b64 exec, exec, s[6:7]
	s_and_saveexec_b64 s[6:7], s[4:5]
	s_cbranch_execz .LBB8_1100
.LBB8_1099:
	v_bfe_u32 v10, v16, 8, 3
	v_ffbh_u32_e32 v15, v10
	v_min_u32_e32 v15, 32, v15
	v_lshrrev_b16_e32 v14, 3, v11
	v_subrev_u32_e32 v20, 28, v15
	v_and_b32_e32 v14, 15, v14
	v_lshlrev_b32_e32 v11, v20, v11
	v_sub_u32_e32 v15, 29, v15
	v_and_b32_e32 v11, 7, v11
	v_cmp_eq_u16_e32 vcc, 0, v14
	v_cndmask_b32_e32 v10, v10, v11, vcc
	v_cndmask_b32_e32 v11, v14, v15, vcc
	v_lshlrev_b32_e32 v14, 16, v16
	v_mov_b32_e32 v15, 0x3b800000
	v_lshlrev_b32_e32 v10, 20, v10
	v_and_b32_e32 v14, 0x80000000, v14
	v_lshl_add_u32 v11, v11, 23, v15
	v_or3_b32 v10, v14, v11, v10
.LBB8_1100:
	s_or_b64 exec, exec, s[6:7]
	v_lshrrev_b32_e32 v11, 8, v12
	s_movk_i32 s4, 0x7f
	v_cmp_gt_i16_sdwa s[6:7], v11, s4 src0_sel:BYTE_0 src1_sel:DWORD
	s_mov_b64 s[4:5], 0
                                        ; implicit-def: $sgpr10
	s_and_saveexec_b64 s[8:9], s[6:7]
	s_xor_b64 s[6:7], exec, s[8:9]
	s_cbranch_execnz .LBB8_3149
; %bb.1101:
	s_or_saveexec_b64 s[6:7], s[6:7]
	v_mov_b32_e32 v14, s10
	s_xor_b64 exec, exec, s[6:7]
	s_cbranch_execnz .LBB8_3152
.LBB8_1102:
	s_or_b64 exec, exec, s[6:7]
	s_and_saveexec_b64 s[6:7], s[4:5]
	s_cbranch_execz .LBB8_1104
.LBB8_1103:
	v_bfe_u32 v14, v12, 8, 3
	v_ffbh_u32_e32 v20, v14
	v_min_u32_e32 v20, 32, v20
	v_lshrrev_b16_e32 v15, 3, v11
	v_subrev_u32_e32 v21, 28, v20
	v_and_b32_e32 v15, 15, v15
	v_lshlrev_b32_e32 v11, v21, v11
	v_sub_u32_e32 v20, 29, v20
	v_and_b32_e32 v11, 7, v11
	v_cmp_eq_u16_e32 vcc, 0, v15
	v_cndmask_b32_e32 v11, v14, v11, vcc
	v_cndmask_b32_e32 v14, v15, v20, vcc
	v_lshlrev_b32_e32 v15, 16, v12
	v_mov_b32_e32 v20, 0x3b800000
	v_lshlrev_b32_e32 v11, 20, v11
	v_and_b32_e32 v15, 0x80000000, v15
	v_lshl_add_u32 v14, v14, 23, v20
	v_or3_b32 v14, v15, v14, v11
.LBB8_1104:
	s_or_b64 exec, exec, s[6:7]
	s_nop 0
	v_mfma_f32_16x16x4f32 a[0:3], v10, v14, a[0:3]
	s_movk_i32 s4, 0xff
	v_and_b32_sdwa v11, v16, s4 dst_sel:DWORD dst_unused:UNUSED_PAD src0_sel:WORD_1 src1_sel:DWORD
	s_movk_i32 s4, 0x7f
	v_cmp_lt_i16_e32 vcc, s4, v11
	s_mov_b64 s[4:5], 0
                                        ; implicit-def: $sgpr10
	s_and_saveexec_b64 s[6:7], vcc
	s_xor_b64 s[6:7], exec, s[6:7]
	s_cbranch_execnz .LBB8_3153
; %bb.1105:
	s_or_saveexec_b64 s[6:7], s[6:7]
	v_mov_b32_e32 v10, s10
	s_xor_b64 exec, exec, s[6:7]
	s_cbranch_execnz .LBB8_3156
.LBB8_1106:
	s_or_b64 exec, exec, s[6:7]
	s_and_saveexec_b64 s[6:7], s[4:5]
	s_cbranch_execz .LBB8_1108
.LBB8_1107:
	v_bfe_u32 v10, v16, 16, 3
	v_ffbh_u32_e32 v15, v10
	v_min_u32_e32 v15, 32, v15
	v_lshrrev_b32_e32 v11, 19, v16
	v_subrev_u32_e32 v20, 28, v15
	v_and_b32_e32 v11, 15, v11
	v_lshlrev_b32_sdwa v20, v20, v16 dst_sel:DWORD dst_unused:UNUSED_PAD src0_sel:DWORD src1_sel:WORD_1
	v_bfe_u32 v14, v16, 19, 4
	v_sub_u32_e32 v15, 29, v15
	v_and_b32_e32 v20, 7, v20
	v_cmp_eq_u16_e32 vcc, 0, v11
	v_cndmask_b32_e32 v10, v10, v20, vcc
	v_cndmask_b32_e32 v11, v14, v15, vcc
	v_lshlrev_b32_e32 v14, 8, v16
	v_mov_b32_e32 v15, 0x3b800000
	v_lshlrev_b32_e32 v10, 20, v10
	v_and_b32_e32 v14, 0x80000000, v14
	v_lshl_add_u32 v11, v11, 23, v15
	v_or3_b32 v10, v14, v11, v10
.LBB8_1108:
	s_or_b64 exec, exec, s[6:7]
	s_movk_i32 s4, 0xff
	v_and_b32_sdwa v11, v12, s4 dst_sel:DWORD dst_unused:UNUSED_PAD src0_sel:WORD_1 src1_sel:DWORD
	s_movk_i32 s4, 0x7f
	v_cmp_lt_i16_e32 vcc, s4, v11
	s_mov_b64 s[4:5], 0
                                        ; implicit-def: $sgpr10
	s_and_saveexec_b64 s[6:7], vcc
	s_xor_b64 s[6:7], exec, s[6:7]
	s_cbranch_execnz .LBB8_3157
; %bb.1109:
	s_or_saveexec_b64 s[6:7], s[6:7]
	v_mov_b32_e32 v14, s10
	s_xor_b64 exec, exec, s[6:7]
	s_cbranch_execnz .LBB8_3160
.LBB8_1110:
	s_or_b64 exec, exec, s[6:7]
	s_and_saveexec_b64 s[6:7], s[4:5]
	s_cbranch_execz .LBB8_1112
.LBB8_1111:
	v_bfe_u32 v11, v12, 16, 3
	v_ffbh_u32_e32 v20, v11
	v_min_u32_e32 v20, 32, v20
	v_lshrrev_b32_e32 v14, 19, v12
	v_subrev_u32_e32 v21, 28, v20
	v_and_b32_e32 v14, 15, v14
	v_lshlrev_b32_sdwa v21, v21, v12 dst_sel:DWORD dst_unused:UNUSED_PAD src0_sel:DWORD src1_sel:WORD_1
	v_bfe_u32 v15, v12, 19, 4
	v_sub_u32_e32 v20, 29, v20
	v_and_b32_e32 v21, 7, v21
	v_cmp_eq_u16_e32 vcc, 0, v14
	v_cndmask_b32_e32 v11, v11, v21, vcc
	v_cndmask_b32_e32 v14, v15, v20, vcc
	v_lshlrev_b32_e32 v15, 8, v12
	v_mov_b32_e32 v20, 0x3b800000
	v_lshlrev_b32_e32 v11, 20, v11
	v_and_b32_e32 v15, 0x80000000, v15
	v_lshl_add_u32 v14, v14, 23, v20
	v_or3_b32 v14, v15, v14, v11
.LBB8_1112:
	s_or_b64 exec, exec, s[6:7]
	s_nop 0
	v_mfma_f32_16x16x4f32 a[0:3], v10, v14, a[0:3]
	s_movk_i32 s4, 0x7f
	v_cmp_gt_i16_sdwa s[6:7], v16, s4 src0_sel:BYTE_3 src1_sel:DWORD
	s_mov_b64 s[4:5], 0
                                        ; implicit-def: $sgpr10
	s_and_saveexec_b64 s[8:9], s[6:7]
	s_xor_b64 s[6:7], exec, s[8:9]
	s_cbranch_execnz .LBB8_3161
; %bb.1113:
	s_or_saveexec_b64 s[6:7], s[6:7]
	v_mov_b32_e32 v10, s10
	s_xor_b64 exec, exec, s[6:7]
	s_cbranch_execnz .LBB8_3164
.LBB8_1114:
	s_or_b64 exec, exec, s[6:7]
	s_and_saveexec_b64 s[6:7], s[4:5]
	s_cbranch_execz .LBB8_1116
.LBB8_1115:
	v_bfe_u32 v10, v16, 24, 3
	v_ffbh_u32_e32 v20, v10
	v_min_u32_e32 v20, 32, v20
	v_lshrrev_b32_e32 v14, 27, v16
	v_subrev_u32_e32 v21, 28, v20
	v_and_b32_e32 v11, 0x80000000, v16
	v_and_b32_e32 v14, 15, v14
	v_bfe_u32 v15, v16, 27, 4
	v_lshlrev_b32_sdwa v16, v21, v16 dst_sel:DWORD dst_unused:UNUSED_PAD src0_sel:DWORD src1_sel:BYTE_3
	v_sub_u32_e32 v20, 29, v20
	v_and_b32_e32 v16, 7, v16
	v_cmp_eq_u16_e32 vcc, 0, v14
	v_cndmask_b32_e32 v10, v10, v16, vcc
	v_cndmask_b32_e32 v14, v15, v20, vcc
	v_mov_b32_e32 v15, 0x3b800000
	v_lshlrev_b32_e32 v10, 20, v10
	v_lshl_add_u32 v14, v14, 23, v15
	v_or3_b32 v10, v11, v14, v10
.LBB8_1116:
	s_or_b64 exec, exec, s[6:7]
	s_movk_i32 s4, 0x7f
	v_cmp_gt_i16_sdwa s[6:7], v12, s4 src0_sel:BYTE_3 src1_sel:DWORD
	s_mov_b64 s[4:5], 0
                                        ; implicit-def: $sgpr10
	s_and_saveexec_b64 s[8:9], s[6:7]
	s_xor_b64 s[6:7], exec, s[8:9]
	s_cbranch_execnz .LBB8_3165
; %bb.1117:
	s_or_saveexec_b64 s[6:7], s[6:7]
	v_mov_b32_e32 v11, s10
	s_xor_b64 exec, exec, s[6:7]
	s_cbranch_execnz .LBB8_3168
.LBB8_1118:
	s_or_b64 exec, exec, s[6:7]
	s_and_saveexec_b64 s[6:7], s[4:5]
	s_cbranch_execz .LBB8_1120
.LBB8_1119:
	v_bfe_u32 v11, v12, 24, 3
	v_ffbh_u32_e32 v20, v11
	v_min_u32_e32 v20, 32, v20
	v_lshrrev_b32_e32 v15, 27, v12
	v_subrev_u32_e32 v21, 28, v20
	v_and_b32_e32 v14, 0x80000000, v12
	v_and_b32_e32 v15, 15, v15
	v_bfe_u32 v16, v12, 27, 4
	v_lshlrev_b32_sdwa v12, v21, v12 dst_sel:DWORD dst_unused:UNUSED_PAD src0_sel:DWORD src1_sel:BYTE_3
	v_sub_u32_e32 v20, 29, v20
	v_and_b32_e32 v12, 7, v12
	v_cmp_eq_u16_e32 vcc, 0, v15
	v_cndmask_b32_e32 v11, v11, v12, vcc
	v_cndmask_b32_e32 v12, v16, v20, vcc
	v_mov_b32_e32 v15, 0x3b800000
	v_lshlrev_b32_e32 v11, 20, v11
	v_lshl_add_u32 v12, v12, 23, v15
	v_or3_b32 v11, v14, v12, v11
.LBB8_1120:
	s_or_b64 exec, exec, s[6:7]
	s_nop 0
	v_mfma_f32_16x16x4f32 a[0:3], v10, v11, a[0:3]
	s_movk_i32 s4, 0x7f
	v_cmp_gt_i16_sdwa s[6:7], v17, s4 src0_sel:BYTE_0 src1_sel:DWORD
	s_mov_b64 s[4:5], 0
                                        ; implicit-def: $sgpr10
	s_and_saveexec_b64 s[8:9], s[6:7]
	s_xor_b64 s[6:7], exec, s[8:9]
	s_cbranch_execnz .LBB8_3169
; %bb.1121:
	s_or_saveexec_b64 s[6:7], s[6:7]
	v_mov_b32_e32 v10, s10
	s_xor_b64 exec, exec, s[6:7]
	s_cbranch_execnz .LBB8_3172
.LBB8_1122:
	s_or_b64 exec, exec, s[6:7]
	s_and_saveexec_b64 s[6:7], s[4:5]
	s_cbranch_execz .LBB8_1124
.LBB8_1123:
	v_and_b32_e32 v10, 7, v17
	v_ffbh_u32_e32 v12, v10
	v_min_u32_e32 v12, 32, v12
	v_lshrrev_b16_e32 v11, 3, v17
	v_subrev_u32_e32 v14, 28, v12
	v_and_b32_e32 v11, 15, v11
	v_lshlrev_b32_e32 v14, v14, v17
	v_sub_u32_e32 v12, 29, v12
	v_and_b32_e32 v14, 7, v14
	v_cmp_eq_u16_e32 vcc, 0, v11
	v_cndmask_b32_e32 v10, v10, v14, vcc
	v_cndmask_b32_e32 v11, v11, v12, vcc
	v_lshlrev_b32_e32 v12, 24, v17
	v_mov_b32_e32 v14, 0x3b800000
	v_lshlrev_b32_e32 v10, 20, v10
	v_and_b32_e32 v12, 0x80000000, v12
	v_lshl_add_u32 v11, v11, 23, v14
	v_or3_b32 v10, v12, v11, v10
.LBB8_1124:
	s_or_b64 exec, exec, s[6:7]
	s_movk_i32 s4, 0x7f
	v_cmp_gt_i16_sdwa s[6:7], v13, s4 src0_sel:BYTE_0 src1_sel:DWORD
	s_mov_b64 s[4:5], 0
                                        ; implicit-def: $sgpr10
	s_and_saveexec_b64 s[8:9], s[6:7]
	s_xor_b64 s[6:7], exec, s[8:9]
	s_cbranch_execnz .LBB8_3173
; %bb.1125:
	s_or_saveexec_b64 s[6:7], s[6:7]
	v_mov_b32_e32 v11, s10
	s_xor_b64 exec, exec, s[6:7]
	s_cbranch_execnz .LBB8_3176
.LBB8_1126:
	s_or_b64 exec, exec, s[6:7]
	s_and_saveexec_b64 s[6:7], s[4:5]
	s_cbranch_execz .LBB8_1128
.LBB8_1127:
	v_and_b32_e32 v11, 7, v13
	v_ffbh_u32_e32 v14, v11
	v_min_u32_e32 v14, 32, v14
	v_lshrrev_b16_e32 v12, 3, v13
	v_subrev_u32_e32 v15, 28, v14
	v_and_b32_e32 v12, 15, v12
	v_lshlrev_b32_e32 v15, v15, v13
	v_sub_u32_e32 v14, 29, v14
	v_and_b32_e32 v15, 7, v15
	v_cmp_eq_u16_e32 vcc, 0, v12
	v_cndmask_b32_e32 v11, v11, v15, vcc
	v_cndmask_b32_e32 v12, v12, v14, vcc
	v_lshlrev_b32_e32 v14, 24, v13
	v_mov_b32_e32 v15, 0x3b800000
	v_lshlrev_b32_e32 v11, 20, v11
	v_and_b32_e32 v14, 0x80000000, v14
	v_lshl_add_u32 v12, v12, 23, v15
	v_or3_b32 v11, v14, v12, v11
.LBB8_1128:
	s_or_b64 exec, exec, s[6:7]
	s_nop 0
	v_mfma_f32_16x16x4f32 a[0:3], v10, v11, a[0:3]
	v_lshrrev_b32_e32 v11, 8, v17
	s_movk_i32 s4, 0x7f
	v_cmp_gt_i16_sdwa s[6:7], v11, s4 src0_sel:BYTE_0 src1_sel:DWORD
	s_mov_b64 s[4:5], 0
                                        ; implicit-def: $sgpr10
	s_and_saveexec_b64 s[8:9], s[6:7]
	s_xor_b64 s[6:7], exec, s[8:9]
	s_cbranch_execnz .LBB8_3177
; %bb.1129:
	s_or_saveexec_b64 s[6:7], s[6:7]
	v_mov_b32_e32 v10, s10
	s_xor_b64 exec, exec, s[6:7]
	s_cbranch_execnz .LBB8_3180
.LBB8_1130:
	s_or_b64 exec, exec, s[6:7]
	s_and_saveexec_b64 s[6:7], s[4:5]
	s_cbranch_execz .LBB8_1132
.LBB8_1131:
	v_bfe_u32 v10, v17, 8, 3
	v_ffbh_u32_e32 v14, v10
	v_min_u32_e32 v14, 32, v14
	v_lshrrev_b16_e32 v12, 3, v11
	v_subrev_u32_e32 v15, 28, v14
	v_and_b32_e32 v12, 15, v12
	v_lshlrev_b32_e32 v11, v15, v11
	v_sub_u32_e32 v14, 29, v14
	v_and_b32_e32 v11, 7, v11
	v_cmp_eq_u16_e32 vcc, 0, v12
	v_cndmask_b32_e32 v10, v10, v11, vcc
	v_cndmask_b32_e32 v11, v12, v14, vcc
	v_lshlrev_b32_e32 v12, 16, v17
	v_mov_b32_e32 v14, 0x3b800000
	v_lshlrev_b32_e32 v10, 20, v10
	v_and_b32_e32 v12, 0x80000000, v12
	v_lshl_add_u32 v11, v11, 23, v14
	v_or3_b32 v10, v12, v11, v10
.LBB8_1132:
	s_or_b64 exec, exec, s[6:7]
	v_lshrrev_b32_e32 v11, 8, v13
	s_movk_i32 s4, 0x7f
	v_cmp_gt_i16_sdwa s[6:7], v11, s4 src0_sel:BYTE_0 src1_sel:DWORD
	s_mov_b64 s[4:5], 0
                                        ; implicit-def: $sgpr10
	s_and_saveexec_b64 s[8:9], s[6:7]
	s_xor_b64 s[6:7], exec, s[8:9]
	s_cbranch_execnz .LBB8_3181
; %bb.1133:
	s_or_saveexec_b64 s[6:7], s[6:7]
	v_mov_b32_e32 v12, s10
	s_xor_b64 exec, exec, s[6:7]
	s_cbranch_execnz .LBB8_3184
.LBB8_1134:
	s_or_b64 exec, exec, s[6:7]
	s_and_saveexec_b64 s[6:7], s[4:5]
	s_cbranch_execz .LBB8_1136
.LBB8_1135:
	v_bfe_u32 v12, v13, 8, 3
	v_ffbh_u32_e32 v15, v12
	v_min_u32_e32 v15, 32, v15
	v_lshrrev_b16_e32 v14, 3, v11
	v_subrev_u32_e32 v16, 28, v15
	v_and_b32_e32 v14, 15, v14
	v_lshlrev_b32_e32 v11, v16, v11
	v_sub_u32_e32 v15, 29, v15
	v_and_b32_e32 v11, 7, v11
	v_cmp_eq_u16_e32 vcc, 0, v14
	v_cndmask_b32_e32 v11, v12, v11, vcc
	v_cndmask_b32_e32 v12, v14, v15, vcc
	v_lshlrev_b32_e32 v14, 16, v13
	v_mov_b32_e32 v15, 0x3b800000
	v_lshlrev_b32_e32 v11, 20, v11
	v_and_b32_e32 v14, 0x80000000, v14
	v_lshl_add_u32 v12, v12, 23, v15
	v_or3_b32 v12, v14, v12, v11
.LBB8_1136:
	s_or_b64 exec, exec, s[6:7]
	s_nop 0
	v_mfma_f32_16x16x4f32 a[0:3], v10, v12, a[0:3]
	s_movk_i32 s4, 0xff
	v_and_b32_sdwa v11, v17, s4 dst_sel:DWORD dst_unused:UNUSED_PAD src0_sel:WORD_1 src1_sel:DWORD
	s_movk_i32 s4, 0x7f
	v_cmp_lt_i16_e32 vcc, s4, v11
	s_mov_b64 s[4:5], 0
                                        ; implicit-def: $sgpr10
	s_and_saveexec_b64 s[6:7], vcc
	s_xor_b64 s[6:7], exec, s[6:7]
	s_cbranch_execnz .LBB8_3185
; %bb.1137:
	s_or_saveexec_b64 s[6:7], s[6:7]
	v_mov_b32_e32 v10, s10
	s_xor_b64 exec, exec, s[6:7]
	s_cbranch_execnz .LBB8_3188
.LBB8_1138:
	s_or_b64 exec, exec, s[6:7]
	s_and_saveexec_b64 s[6:7], s[4:5]
	s_cbranch_execz .LBB8_1140
.LBB8_1139:
	v_bfe_u32 v10, v17, 16, 3
	v_ffbh_u32_e32 v14, v10
	v_min_u32_e32 v14, 32, v14
	v_lshrrev_b32_e32 v11, 19, v17
	v_subrev_u32_e32 v15, 28, v14
	v_and_b32_e32 v11, 15, v11
	v_lshlrev_b32_sdwa v15, v15, v17 dst_sel:DWORD dst_unused:UNUSED_PAD src0_sel:DWORD src1_sel:WORD_1
	v_bfe_u32 v12, v17, 19, 4
	v_sub_u32_e32 v14, 29, v14
	v_and_b32_e32 v15, 7, v15
	v_cmp_eq_u16_e32 vcc, 0, v11
	v_cndmask_b32_e32 v10, v10, v15, vcc
	v_cndmask_b32_e32 v11, v12, v14, vcc
	v_lshlrev_b32_e32 v12, 8, v17
	v_mov_b32_e32 v14, 0x3b800000
	v_lshlrev_b32_e32 v10, 20, v10
	v_and_b32_e32 v12, 0x80000000, v12
	v_lshl_add_u32 v11, v11, 23, v14
	v_or3_b32 v10, v12, v11, v10
.LBB8_1140:
	s_or_b64 exec, exec, s[6:7]
	s_movk_i32 s4, 0xff
	v_and_b32_sdwa v11, v13, s4 dst_sel:DWORD dst_unused:UNUSED_PAD src0_sel:WORD_1 src1_sel:DWORD
	s_movk_i32 s4, 0x7f
	v_cmp_lt_i16_e32 vcc, s4, v11
	s_mov_b64 s[4:5], 0
                                        ; implicit-def: $sgpr10
	s_and_saveexec_b64 s[6:7], vcc
	s_xor_b64 s[6:7], exec, s[6:7]
	s_cbranch_execnz .LBB8_3189
; %bb.1141:
	s_or_saveexec_b64 s[6:7], s[6:7]
	v_mov_b32_e32 v12, s10
	s_xor_b64 exec, exec, s[6:7]
	s_cbranch_execnz .LBB8_3192
.LBB8_1142:
	s_or_b64 exec, exec, s[6:7]
	s_and_saveexec_b64 s[6:7], s[4:5]
	s_cbranch_execz .LBB8_1144
.LBB8_1143:
	v_bfe_u32 v11, v13, 16, 3
	v_ffbh_u32_e32 v15, v11
	v_min_u32_e32 v15, 32, v15
	v_lshrrev_b32_e32 v12, 19, v13
	v_subrev_u32_e32 v16, 28, v15
	v_and_b32_e32 v12, 15, v12
	v_lshlrev_b32_sdwa v16, v16, v13 dst_sel:DWORD dst_unused:UNUSED_PAD src0_sel:DWORD src1_sel:WORD_1
	v_bfe_u32 v14, v13, 19, 4
	v_sub_u32_e32 v15, 29, v15
	v_and_b32_e32 v16, 7, v16
	v_cmp_eq_u16_e32 vcc, 0, v12
	v_cndmask_b32_e32 v11, v11, v16, vcc
	v_cndmask_b32_e32 v12, v14, v15, vcc
	v_lshlrev_b32_e32 v14, 8, v13
	v_mov_b32_e32 v15, 0x3b800000
	v_lshlrev_b32_e32 v11, 20, v11
	v_and_b32_e32 v14, 0x80000000, v14
	v_lshl_add_u32 v12, v12, 23, v15
	v_or3_b32 v12, v14, v12, v11
.LBB8_1144:
	s_or_b64 exec, exec, s[6:7]
	s_nop 0
	v_mfma_f32_16x16x4f32 a[0:3], v10, v12, a[0:3]
	s_movk_i32 s4, 0x7f
	v_cmp_gt_i16_sdwa s[6:7], v17, s4 src0_sel:BYTE_3 src1_sel:DWORD
	s_mov_b64 s[4:5], 0
                                        ; implicit-def: $sgpr10
	s_and_saveexec_b64 s[8:9], s[6:7]
	s_xor_b64 s[6:7], exec, s[8:9]
	s_cbranch_execnz .LBB8_3193
; %bb.1145:
	s_or_saveexec_b64 s[6:7], s[6:7]
	v_mov_b32_e32 v10, s10
	s_xor_b64 exec, exec, s[6:7]
	s_cbranch_execnz .LBB8_3196
.LBB8_1146:
	s_or_b64 exec, exec, s[6:7]
	s_and_saveexec_b64 s[6:7], s[4:5]
	s_cbranch_execz .LBB8_1148
.LBB8_1147:
	v_bfe_u32 v10, v17, 24, 3
	v_ffbh_u32_e32 v15, v10
	v_min_u32_e32 v15, 32, v15
	v_lshrrev_b32_e32 v12, 27, v17
	v_subrev_u32_e32 v16, 28, v15
	v_and_b32_e32 v12, 15, v12
	v_lshlrev_b32_sdwa v16, v16, v17 dst_sel:DWORD dst_unused:UNUSED_PAD src0_sel:DWORD src1_sel:BYTE_3
	v_bfe_u32 v14, v17, 27, 4
	v_sub_u32_e32 v15, 29, v15
	v_and_b32_e32 v16, 7, v16
	v_cmp_eq_u16_e32 vcc, 0, v12
	v_cndmask_b32_e32 v10, v10, v16, vcc
	v_cndmask_b32_e32 v12, v14, v15, vcc
	v_mov_b32_e32 v14, 0x3b800000
	v_and_b32_e32 v11, 0x80000000, v17
	v_lshlrev_b32_e32 v10, 20, v10
	v_lshl_add_u32 v12, v12, 23, v14
	v_or3_b32 v10, v11, v12, v10
.LBB8_1148:
	s_or_b64 exec, exec, s[6:7]
	s_movk_i32 s4, 0x7f
	v_cmp_gt_i16_sdwa s[6:7], v13, s4 src0_sel:BYTE_3 src1_sel:DWORD
	s_mov_b64 s[4:5], 0
                                        ; implicit-def: $sgpr10
	s_and_saveexec_b64 s[8:9], s[6:7]
	s_xor_b64 s[6:7], exec, s[8:9]
	s_cbranch_execnz .LBB8_3197
; %bb.1149:
	s_or_saveexec_b64 s[6:7], s[6:7]
	v_mov_b32_e32 v11, s10
	s_xor_b64 exec, exec, s[6:7]
	s_cbranch_execnz .LBB8_3200
.LBB8_1150:
	s_or_b64 exec, exec, s[6:7]
	s_and_saveexec_b64 s[6:7], s[4:5]
	s_cbranch_execz .LBB8_1152
.LBB8_1151:
	v_bfe_u32 v11, v13, 24, 3
	v_ffbh_u32_e32 v16, v11
	v_min_u32_e32 v16, 32, v16
	v_lshrrev_b32_e32 v14, 27, v13
	v_subrev_u32_e32 v17, 28, v16
	v_and_b32_e32 v12, 0x80000000, v13
	v_and_b32_e32 v14, 15, v14
	v_bfe_u32 v15, v13, 27, 4
	v_lshlrev_b32_sdwa v13, v17, v13 dst_sel:DWORD dst_unused:UNUSED_PAD src0_sel:DWORD src1_sel:BYTE_3
	v_sub_u32_e32 v16, 29, v16
	v_and_b32_e32 v13, 7, v13
	v_cmp_eq_u16_e32 vcc, 0, v14
	v_cndmask_b32_e32 v11, v11, v13, vcc
	v_cndmask_b32_e32 v13, v15, v16, vcc
	v_mov_b32_e32 v14, 0x3b800000
	v_lshlrev_b32_e32 v11, 20, v11
	v_lshl_add_u32 v13, v13, 23, v14
	v_or3_b32 v11, v12, v13, v11
.LBB8_1152:
	s_or_b64 exec, exec, s[6:7]
	s_nop 0
	v_mfma_f32_16x16x4f32 a[0:3], v10, v11, a[0:3]
	s_movk_i32 s4, 0x7f
	v_cmp_gt_i16_sdwa s[6:7], v6, s4 src0_sel:BYTE_0 src1_sel:DWORD
	s_mov_b64 s[4:5], 0
                                        ; implicit-def: $sgpr10
	s_and_saveexec_b64 s[8:9], s[6:7]
	s_xor_b64 s[6:7], exec, s[8:9]
	s_cbranch_execnz .LBB8_3201
; %bb.1153:
	s_or_saveexec_b64 s[6:7], s[6:7]
	v_mov_b32_e32 v10, s10
	s_xor_b64 exec, exec, s[6:7]
	s_cbranch_execnz .LBB8_3204
.LBB8_1154:
	s_or_b64 exec, exec, s[6:7]
	s_and_saveexec_b64 s[6:7], s[4:5]
	s_cbranch_execz .LBB8_1156
.LBB8_1155:
	v_and_b32_e32 v10, 7, v6
	v_ffbh_u32_e32 v12, v10
	v_min_u32_e32 v12, 32, v12
	v_lshrrev_b16_e32 v11, 3, v6
	v_subrev_u32_e32 v13, 28, v12
	v_and_b32_e32 v11, 15, v11
	v_lshlrev_b32_e32 v13, v13, v6
	v_sub_u32_e32 v12, 29, v12
	v_and_b32_e32 v13, 7, v13
	v_cmp_eq_u16_e32 vcc, 0, v11
	v_cndmask_b32_e32 v10, v10, v13, vcc
	v_cndmask_b32_e32 v11, v11, v12, vcc
	v_lshlrev_b32_e32 v12, 24, v6
	v_mov_b32_e32 v13, 0x3b800000
	v_lshlrev_b32_e32 v10, 20, v10
	v_and_b32_e32 v12, 0x80000000, v12
	v_lshl_add_u32 v11, v11, 23, v13
	v_or3_b32 v10, v12, v11, v10
.LBB8_1156:
	s_or_b64 exec, exec, s[6:7]
	s_movk_i32 s4, 0x7f
	v_cmp_gt_i16_sdwa s[6:7], v2, s4 src0_sel:BYTE_0 src1_sel:DWORD
	s_mov_b64 s[4:5], 0
                                        ; implicit-def: $sgpr10
	s_and_saveexec_b64 s[8:9], s[6:7]
	s_xor_b64 s[6:7], exec, s[8:9]
	s_cbranch_execnz .LBB8_3205
; %bb.1157:
	s_or_saveexec_b64 s[6:7], s[6:7]
	v_mov_b32_e32 v11, s10
	s_xor_b64 exec, exec, s[6:7]
	s_cbranch_execnz .LBB8_3208
.LBB8_1158:
	s_or_b64 exec, exec, s[6:7]
	s_and_saveexec_b64 s[6:7], s[4:5]
	s_cbranch_execz .LBB8_1160
.LBB8_1159:
	v_and_b32_e32 v11, 7, v2
	v_ffbh_u32_e32 v13, v11
	v_min_u32_e32 v13, 32, v13
	v_lshrrev_b16_e32 v12, 3, v2
	v_subrev_u32_e32 v14, 28, v13
	v_and_b32_e32 v12, 15, v12
	v_lshlrev_b32_e32 v14, v14, v2
	v_sub_u32_e32 v13, 29, v13
	v_and_b32_e32 v14, 7, v14
	v_cmp_eq_u16_e32 vcc, 0, v12
	v_cndmask_b32_e32 v11, v11, v14, vcc
	v_cndmask_b32_e32 v12, v12, v13, vcc
	v_lshlrev_b32_e32 v13, 24, v2
	v_mov_b32_e32 v14, 0x3b800000
	v_lshlrev_b32_e32 v11, 20, v11
	v_and_b32_e32 v13, 0x80000000, v13
	v_lshl_add_u32 v12, v12, 23, v14
	v_or3_b32 v11, v13, v12, v11
.LBB8_1160:
	s_or_b64 exec, exec, s[6:7]
	s_nop 0
	v_mfma_f32_16x16x4f32 a[0:3], v10, v11, a[0:3]
	v_lshrrev_b32_e32 v11, 8, v6
	s_movk_i32 s4, 0x7f
	v_cmp_gt_i16_sdwa s[6:7], v11, s4 src0_sel:BYTE_0 src1_sel:DWORD
	s_mov_b64 s[4:5], 0
                                        ; implicit-def: $sgpr10
	s_and_saveexec_b64 s[8:9], s[6:7]
	s_xor_b64 s[6:7], exec, s[8:9]
	s_cbranch_execnz .LBB8_3209
; %bb.1161:
	s_or_saveexec_b64 s[6:7], s[6:7]
	v_mov_b32_e32 v10, s10
	s_xor_b64 exec, exec, s[6:7]
	s_cbranch_execnz .LBB8_3212
.LBB8_1162:
	s_or_b64 exec, exec, s[6:7]
	s_and_saveexec_b64 s[6:7], s[4:5]
	s_cbranch_execz .LBB8_1164
.LBB8_1163:
	v_bfe_u32 v10, v6, 8, 3
	v_ffbh_u32_e32 v13, v10
	v_min_u32_e32 v13, 32, v13
	v_lshrrev_b16_e32 v12, 3, v11
	v_subrev_u32_e32 v14, 28, v13
	v_and_b32_e32 v12, 15, v12
	v_lshlrev_b32_e32 v11, v14, v11
	v_sub_u32_e32 v13, 29, v13
	v_and_b32_e32 v11, 7, v11
	v_cmp_eq_u16_e32 vcc, 0, v12
	v_cndmask_b32_e32 v10, v10, v11, vcc
	v_cndmask_b32_e32 v11, v12, v13, vcc
	v_lshlrev_b32_e32 v12, 16, v6
	v_mov_b32_e32 v13, 0x3b800000
	v_lshlrev_b32_e32 v10, 20, v10
	v_and_b32_e32 v12, 0x80000000, v12
	v_lshl_add_u32 v11, v11, 23, v13
	v_or3_b32 v10, v12, v11, v10
.LBB8_1164:
	s_or_b64 exec, exec, s[6:7]
	v_lshrrev_b32_e32 v11, 8, v2
	s_movk_i32 s4, 0x7f
	v_cmp_gt_i16_sdwa s[6:7], v11, s4 src0_sel:BYTE_0 src1_sel:DWORD
	s_mov_b64 s[4:5], 0
                                        ; implicit-def: $sgpr10
	s_and_saveexec_b64 s[8:9], s[6:7]
	s_xor_b64 s[6:7], exec, s[8:9]
	s_cbranch_execnz .LBB8_3213
; %bb.1165:
	s_or_saveexec_b64 s[6:7], s[6:7]
	v_mov_b32_e32 v12, s10
	s_xor_b64 exec, exec, s[6:7]
	s_cbranch_execnz .LBB8_3216
.LBB8_1166:
	s_or_b64 exec, exec, s[6:7]
	s_and_saveexec_b64 s[6:7], s[4:5]
	s_cbranch_execz .LBB8_1168
.LBB8_1167:
	v_bfe_u32 v12, v2, 8, 3
	v_ffbh_u32_e32 v14, v12
	v_min_u32_e32 v14, 32, v14
	v_lshrrev_b16_e32 v13, 3, v11
	v_subrev_u32_e32 v15, 28, v14
	v_and_b32_e32 v13, 15, v13
	v_lshlrev_b32_e32 v11, v15, v11
	v_sub_u32_e32 v14, 29, v14
	v_and_b32_e32 v11, 7, v11
	v_cmp_eq_u16_e32 vcc, 0, v13
	v_cndmask_b32_e32 v11, v12, v11, vcc
	v_cndmask_b32_e32 v12, v13, v14, vcc
	v_lshlrev_b32_e32 v13, 16, v2
	v_mov_b32_e32 v14, 0x3b800000
	v_lshlrev_b32_e32 v11, 20, v11
	v_and_b32_e32 v13, 0x80000000, v13
	v_lshl_add_u32 v12, v12, 23, v14
	v_or3_b32 v12, v13, v12, v11
.LBB8_1168:
	s_or_b64 exec, exec, s[6:7]
	s_nop 0
	v_mfma_f32_16x16x4f32 a[0:3], v10, v12, a[0:3]
	s_movk_i32 s4, 0xff
	v_and_b32_sdwa v11, v6, s4 dst_sel:DWORD dst_unused:UNUSED_PAD src0_sel:WORD_1 src1_sel:DWORD
	s_movk_i32 s4, 0x7f
	v_cmp_lt_i16_e32 vcc, s4, v11
	s_mov_b64 s[4:5], 0
                                        ; implicit-def: $sgpr10
	s_and_saveexec_b64 s[6:7], vcc
	s_xor_b64 s[6:7], exec, s[6:7]
	s_cbranch_execnz .LBB8_3217
; %bb.1169:
	s_or_saveexec_b64 s[6:7], s[6:7]
	v_mov_b32_e32 v10, s10
	s_xor_b64 exec, exec, s[6:7]
	s_cbranch_execnz .LBB8_3220
.LBB8_1170:
	s_or_b64 exec, exec, s[6:7]
	s_and_saveexec_b64 s[6:7], s[4:5]
	s_cbranch_execz .LBB8_1172
.LBB8_1171:
	v_bfe_u32 v10, v6, 16, 3
	v_ffbh_u32_e32 v13, v10
	v_min_u32_e32 v13, 32, v13
	v_lshrrev_b32_e32 v11, 19, v6
	v_subrev_u32_e32 v14, 28, v13
	v_and_b32_e32 v11, 15, v11
	v_lshlrev_b32_sdwa v14, v14, v6 dst_sel:DWORD dst_unused:UNUSED_PAD src0_sel:DWORD src1_sel:WORD_1
	v_bfe_u32 v12, v6, 19, 4
	v_sub_u32_e32 v13, 29, v13
	v_and_b32_e32 v14, 7, v14
	v_cmp_eq_u16_e32 vcc, 0, v11
	v_cndmask_b32_e32 v10, v10, v14, vcc
	v_cndmask_b32_e32 v11, v12, v13, vcc
	v_lshlrev_b32_e32 v12, 8, v6
	v_mov_b32_e32 v13, 0x3b800000
	v_lshlrev_b32_e32 v10, 20, v10
	v_and_b32_e32 v12, 0x80000000, v12
	v_lshl_add_u32 v11, v11, 23, v13
	v_or3_b32 v10, v12, v11, v10
.LBB8_1172:
	s_or_b64 exec, exec, s[6:7]
	s_movk_i32 s4, 0xff
	v_and_b32_sdwa v11, v2, s4 dst_sel:DWORD dst_unused:UNUSED_PAD src0_sel:WORD_1 src1_sel:DWORD
	s_movk_i32 s4, 0x7f
	v_cmp_lt_i16_e32 vcc, s4, v11
	s_mov_b64 s[4:5], 0
                                        ; implicit-def: $sgpr10
	s_and_saveexec_b64 s[6:7], vcc
	s_xor_b64 s[6:7], exec, s[6:7]
	s_cbranch_execnz .LBB8_3221
; %bb.1173:
	s_or_saveexec_b64 s[6:7], s[6:7]
	v_mov_b32_e32 v12, s10
	s_xor_b64 exec, exec, s[6:7]
	s_cbranch_execnz .LBB8_3224
.LBB8_1174:
	s_or_b64 exec, exec, s[6:7]
	s_and_saveexec_b64 s[6:7], s[4:5]
	s_cbranch_execz .LBB8_1176
.LBB8_1175:
	v_bfe_u32 v11, v2, 16, 3
	v_ffbh_u32_e32 v14, v11
	v_min_u32_e32 v14, 32, v14
	v_lshrrev_b32_e32 v12, 19, v2
	v_subrev_u32_e32 v15, 28, v14
	v_and_b32_e32 v12, 15, v12
	v_lshlrev_b32_sdwa v15, v15, v2 dst_sel:DWORD dst_unused:UNUSED_PAD src0_sel:DWORD src1_sel:WORD_1
	v_bfe_u32 v13, v2, 19, 4
	v_sub_u32_e32 v14, 29, v14
	v_and_b32_e32 v15, 7, v15
	v_cmp_eq_u16_e32 vcc, 0, v12
	v_cndmask_b32_e32 v11, v11, v15, vcc
	v_cndmask_b32_e32 v12, v13, v14, vcc
	v_lshlrev_b32_e32 v13, 8, v2
	v_mov_b32_e32 v14, 0x3b800000
	v_lshlrev_b32_e32 v11, 20, v11
	v_and_b32_e32 v13, 0x80000000, v13
	v_lshl_add_u32 v12, v12, 23, v14
	v_or3_b32 v12, v13, v12, v11
.LBB8_1176:
	s_or_b64 exec, exec, s[6:7]
	s_nop 0
	v_mfma_f32_16x16x4f32 a[0:3], v10, v12, a[0:3]
	s_movk_i32 s4, 0x7f
	v_cmp_gt_i16_sdwa s[6:7], v6, s4 src0_sel:BYTE_3 src1_sel:DWORD
	s_mov_b64 s[4:5], 0
                                        ; implicit-def: $sgpr10
	s_and_saveexec_b64 s[8:9], s[6:7]
	s_xor_b64 s[6:7], exec, s[8:9]
	s_cbranch_execnz .LBB8_3225
; %bb.1177:
	s_or_saveexec_b64 s[6:7], s[6:7]
	v_mov_b32_e32 v10, s10
	s_xor_b64 exec, exec, s[6:7]
	s_cbranch_execnz .LBB8_3228
.LBB8_1178:
	s_or_b64 exec, exec, s[6:7]
	s_and_saveexec_b64 s[6:7], s[4:5]
	s_cbranch_execz .LBB8_1180
.LBB8_1179:
	v_bfe_u32 v10, v6, 24, 3
	v_ffbh_u32_e32 v14, v10
	v_min_u32_e32 v14, 32, v14
	v_lshrrev_b32_e32 v12, 27, v6
	v_subrev_u32_e32 v15, 28, v14
	v_and_b32_e32 v11, 0x80000000, v6
	v_and_b32_e32 v12, 15, v12
	v_bfe_u32 v13, v6, 27, 4
	v_lshlrev_b32_sdwa v6, v15, v6 dst_sel:DWORD dst_unused:UNUSED_PAD src0_sel:DWORD src1_sel:BYTE_3
	v_sub_u32_e32 v14, 29, v14
	v_and_b32_e32 v6, 7, v6
	v_cmp_eq_u16_e32 vcc, 0, v12
	v_cndmask_b32_e32 v6, v10, v6, vcc
	v_cndmask_b32_e32 v10, v13, v14, vcc
	v_mov_b32_e32 v12, 0x3b800000
	v_lshlrev_b32_e32 v6, 20, v6
	v_lshl_add_u32 v10, v10, 23, v12
	v_or3_b32 v10, v11, v10, v6
.LBB8_1180:
	s_or_b64 exec, exec, s[6:7]
	s_movk_i32 s4, 0x7f
	v_cmp_gt_i16_sdwa s[6:7], v2, s4 src0_sel:BYTE_3 src1_sel:DWORD
	s_mov_b64 s[4:5], 0
                                        ; implicit-def: $sgpr10
	s_and_saveexec_b64 s[8:9], s[6:7]
	s_xor_b64 s[6:7], exec, s[8:9]
	s_cbranch_execnz .LBB8_3229
; %bb.1181:
	s_or_saveexec_b64 s[6:7], s[6:7]
	v_mov_b32_e32 v6, s10
	s_xor_b64 exec, exec, s[6:7]
	s_cbranch_execnz .LBB8_3232
.LBB8_1182:
	s_or_b64 exec, exec, s[6:7]
	s_and_saveexec_b64 s[6:7], s[4:5]
	s_cbranch_execz .LBB8_1184
.LBB8_1183:
	v_bfe_u32 v6, v2, 24, 3
	v_ffbh_u32_e32 v14, v6
	v_min_u32_e32 v14, 32, v14
	v_lshrrev_b32_e32 v12, 27, v2
	v_subrev_u32_e32 v15, 28, v14
	v_and_b32_e32 v11, 0x80000000, v2
	v_and_b32_e32 v12, 15, v12
	v_bfe_u32 v13, v2, 27, 4
	v_lshlrev_b32_sdwa v2, v15, v2 dst_sel:DWORD dst_unused:UNUSED_PAD src0_sel:DWORD src1_sel:BYTE_3
	v_sub_u32_e32 v14, 29, v14
	v_and_b32_e32 v2, 7, v2
	v_cmp_eq_u16_e32 vcc, 0, v12
	v_cndmask_b32_e32 v2, v6, v2, vcc
	v_cndmask_b32_e32 v6, v13, v14, vcc
	v_mov_b32_e32 v12, 0x3b800000
	v_lshlrev_b32_e32 v2, 20, v2
	v_lshl_add_u32 v6, v6, 23, v12
	v_or3_b32 v6, v11, v6, v2
.LBB8_1184:
	s_or_b64 exec, exec, s[6:7]
	s_nop 0
	v_mfma_f32_16x16x4f32 a[0:3], v10, v6, a[0:3]
	s_movk_i32 s4, 0x7f
	v_cmp_gt_i16_sdwa s[6:7], v7, s4 src0_sel:BYTE_0 src1_sel:DWORD
	s_mov_b64 s[4:5], 0
                                        ; implicit-def: $sgpr10
	s_and_saveexec_b64 s[8:9], s[6:7]
	s_xor_b64 s[6:7], exec, s[8:9]
	s_cbranch_execnz .LBB8_3233
; %bb.1185:
	s_or_saveexec_b64 s[6:7], s[6:7]
	v_mov_b32_e32 v2, s10
	s_xor_b64 exec, exec, s[6:7]
	s_cbranch_execnz .LBB8_3236
.LBB8_1186:
	s_or_b64 exec, exec, s[6:7]
	s_and_saveexec_b64 s[6:7], s[4:5]
	s_cbranch_execz .LBB8_1188
.LBB8_1187:
	v_and_b32_e32 v2, 7, v7
	v_ffbh_u32_e32 v10, v2
	v_min_u32_e32 v10, 32, v10
	v_lshrrev_b16_e32 v6, 3, v7
	v_subrev_u32_e32 v11, 28, v10
	v_and_b32_e32 v6, 15, v6
	v_lshlrev_b32_e32 v11, v11, v7
	v_sub_u32_e32 v10, 29, v10
	v_and_b32_e32 v11, 7, v11
	v_cmp_eq_u16_e32 vcc, 0, v6
	v_cndmask_b32_e32 v2, v2, v11, vcc
	v_cndmask_b32_e32 v6, v6, v10, vcc
	v_lshlrev_b32_e32 v10, 24, v7
	v_mov_b32_e32 v11, 0x3b800000
	v_lshlrev_b32_e32 v2, 20, v2
	v_and_b32_e32 v10, 0x80000000, v10
	v_lshl_add_u32 v6, v6, 23, v11
	v_or3_b32 v2, v10, v6, v2
.LBB8_1188:
	s_or_b64 exec, exec, s[6:7]
	s_movk_i32 s4, 0x7f
	v_cmp_gt_i16_sdwa s[6:7], v3, s4 src0_sel:BYTE_0 src1_sel:DWORD
	s_mov_b64 s[4:5], 0
                                        ; implicit-def: $sgpr10
	s_and_saveexec_b64 s[8:9], s[6:7]
	s_xor_b64 s[6:7], exec, s[8:9]
	s_cbranch_execnz .LBB8_3237
; %bb.1189:
	s_or_saveexec_b64 s[6:7], s[6:7]
	v_mov_b32_e32 v6, s10
	s_xor_b64 exec, exec, s[6:7]
	s_cbranch_execnz .LBB8_3240
.LBB8_1190:
	s_or_b64 exec, exec, s[6:7]
	s_and_saveexec_b64 s[6:7], s[4:5]
	s_cbranch_execz .LBB8_1192
.LBB8_1191:
	v_and_b32_e32 v6, 7, v3
	v_ffbh_u32_e32 v11, v6
	v_min_u32_e32 v11, 32, v11
	v_lshrrev_b16_e32 v10, 3, v3
	v_subrev_u32_e32 v12, 28, v11
	v_and_b32_e32 v10, 15, v10
	v_lshlrev_b32_e32 v12, v12, v3
	v_sub_u32_e32 v11, 29, v11
	v_and_b32_e32 v12, 7, v12
	v_cmp_eq_u16_e32 vcc, 0, v10
	v_cndmask_b32_e32 v6, v6, v12, vcc
	v_cndmask_b32_e32 v10, v10, v11, vcc
	v_lshlrev_b32_e32 v11, 24, v3
	v_mov_b32_e32 v12, 0x3b800000
	v_lshlrev_b32_e32 v6, 20, v6
	v_and_b32_e32 v11, 0x80000000, v11
	v_lshl_add_u32 v10, v10, 23, v12
	v_or3_b32 v6, v11, v10, v6
.LBB8_1192:
	s_or_b64 exec, exec, s[6:7]
	s_nop 0
	v_mfma_f32_16x16x4f32 a[0:3], v2, v6, a[0:3]
	v_lshrrev_b32_e32 v6, 8, v7
	s_movk_i32 s4, 0x7f
	v_cmp_gt_i16_sdwa s[6:7], v6, s4 src0_sel:BYTE_0 src1_sel:DWORD
	s_mov_b64 s[4:5], 0
                                        ; implicit-def: $sgpr10
	s_and_saveexec_b64 s[8:9], s[6:7]
	s_xor_b64 s[6:7], exec, s[8:9]
	s_cbranch_execnz .LBB8_3241
; %bb.1193:
	s_or_saveexec_b64 s[6:7], s[6:7]
	v_mov_b32_e32 v2, s10
	s_xor_b64 exec, exec, s[6:7]
	s_cbranch_execnz .LBB8_3244
.LBB8_1194:
	s_or_b64 exec, exec, s[6:7]
	s_and_saveexec_b64 s[6:7], s[4:5]
	s_cbranch_execz .LBB8_1196
.LBB8_1195:
	v_bfe_u32 v2, v7, 8, 3
	v_ffbh_u32_e32 v11, v2
	v_min_u32_e32 v11, 32, v11
	v_lshrrev_b16_e32 v10, 3, v6
	v_subrev_u32_e32 v12, 28, v11
	v_and_b32_e32 v10, 15, v10
	v_lshlrev_b32_e32 v6, v12, v6
	v_sub_u32_e32 v11, 29, v11
	v_and_b32_e32 v6, 7, v6
	v_cmp_eq_u16_e32 vcc, 0, v10
	v_cndmask_b32_e32 v2, v2, v6, vcc
	v_cndmask_b32_e32 v6, v10, v11, vcc
	v_lshlrev_b32_e32 v10, 16, v7
	v_mov_b32_e32 v11, 0x3b800000
	v_lshlrev_b32_e32 v2, 20, v2
	v_and_b32_e32 v10, 0x80000000, v10
	v_lshl_add_u32 v6, v6, 23, v11
	v_or3_b32 v2, v10, v6, v2
.LBB8_1196:
	s_or_b64 exec, exec, s[6:7]
	v_lshrrev_b32_e32 v6, 8, v3
	s_movk_i32 s4, 0x7f
	v_cmp_gt_i16_sdwa s[6:7], v6, s4 src0_sel:BYTE_0 src1_sel:DWORD
	s_mov_b64 s[4:5], 0
                                        ; implicit-def: $sgpr10
	s_and_saveexec_b64 s[8:9], s[6:7]
	s_xor_b64 s[6:7], exec, s[8:9]
	s_cbranch_execnz .LBB8_3245
; %bb.1197:
	s_or_saveexec_b64 s[6:7], s[6:7]
	v_mov_b32_e32 v10, s10
	s_xor_b64 exec, exec, s[6:7]
	s_cbranch_execnz .LBB8_3248
.LBB8_1198:
	s_or_b64 exec, exec, s[6:7]
	s_and_saveexec_b64 s[6:7], s[4:5]
	s_cbranch_execz .LBB8_1200
.LBB8_1199:
	v_bfe_u32 v10, v3, 8, 3
	v_ffbh_u32_e32 v12, v10
	v_min_u32_e32 v12, 32, v12
	v_lshrrev_b16_e32 v11, 3, v6
	v_subrev_u32_e32 v13, 28, v12
	v_and_b32_e32 v11, 15, v11
	v_lshlrev_b32_e32 v6, v13, v6
	v_sub_u32_e32 v12, 29, v12
	v_and_b32_e32 v6, 7, v6
	v_cmp_eq_u16_e32 vcc, 0, v11
	v_cndmask_b32_e32 v6, v10, v6, vcc
	v_cndmask_b32_e32 v10, v11, v12, vcc
	v_lshlrev_b32_e32 v11, 16, v3
	v_mov_b32_e32 v12, 0x3b800000
	v_lshlrev_b32_e32 v6, 20, v6
	v_and_b32_e32 v11, 0x80000000, v11
	v_lshl_add_u32 v10, v10, 23, v12
	v_or3_b32 v10, v11, v10, v6
.LBB8_1200:
	s_or_b64 exec, exec, s[6:7]
	s_nop 0
	v_mfma_f32_16x16x4f32 a[0:3], v2, v10, a[0:3]
	s_movk_i32 s4, 0xff
	v_and_b32_sdwa v6, v7, s4 dst_sel:DWORD dst_unused:UNUSED_PAD src0_sel:WORD_1 src1_sel:DWORD
	s_movk_i32 s4, 0x7f
	v_cmp_lt_i16_e32 vcc, s4, v6
	s_mov_b64 s[4:5], 0
                                        ; implicit-def: $sgpr10
	s_and_saveexec_b64 s[6:7], vcc
	s_xor_b64 s[6:7], exec, s[6:7]
	s_cbranch_execnz .LBB8_3249
; %bb.1201:
	s_or_saveexec_b64 s[6:7], s[6:7]
	v_mov_b32_e32 v2, s10
	s_xor_b64 exec, exec, s[6:7]
	s_cbranch_execnz .LBB8_3252
.LBB8_1202:
	s_or_b64 exec, exec, s[6:7]
	s_and_saveexec_b64 s[6:7], s[4:5]
	s_cbranch_execz .LBB8_1204
.LBB8_1203:
	v_bfe_u32 v2, v7, 16, 3
	v_ffbh_u32_e32 v11, v2
	v_min_u32_e32 v11, 32, v11
	v_lshrrev_b32_e32 v6, 19, v7
	v_subrev_u32_e32 v12, 28, v11
	v_and_b32_e32 v6, 15, v6
	v_lshlrev_b32_sdwa v12, v12, v7 dst_sel:DWORD dst_unused:UNUSED_PAD src0_sel:DWORD src1_sel:WORD_1
	v_bfe_u32 v10, v7, 19, 4
	v_sub_u32_e32 v11, 29, v11
	v_and_b32_e32 v12, 7, v12
	v_cmp_eq_u16_e32 vcc, 0, v6
	v_cndmask_b32_e32 v2, v2, v12, vcc
	v_cndmask_b32_e32 v6, v10, v11, vcc
	v_lshlrev_b32_e32 v10, 8, v7
	v_mov_b32_e32 v11, 0x3b800000
	v_lshlrev_b32_e32 v2, 20, v2
	v_and_b32_e32 v10, 0x80000000, v10
	v_lshl_add_u32 v6, v6, 23, v11
	v_or3_b32 v2, v10, v6, v2
.LBB8_1204:
	s_or_b64 exec, exec, s[6:7]
	s_movk_i32 s4, 0xff
	v_and_b32_sdwa v6, v3, s4 dst_sel:DWORD dst_unused:UNUSED_PAD src0_sel:WORD_1 src1_sel:DWORD
	s_movk_i32 s4, 0x7f
	v_cmp_lt_i16_e32 vcc, s4, v6
	s_mov_b64 s[4:5], 0
                                        ; implicit-def: $sgpr10
	s_and_saveexec_b64 s[6:7], vcc
	s_xor_b64 s[6:7], exec, s[6:7]
	s_cbranch_execnz .LBB8_3253
; %bb.1205:
	s_or_saveexec_b64 s[6:7], s[6:7]
	v_mov_b32_e32 v10, s10
	s_xor_b64 exec, exec, s[6:7]
	s_cbranch_execnz .LBB8_3256
.LBB8_1206:
	s_or_b64 exec, exec, s[6:7]
	s_and_saveexec_b64 s[6:7], s[4:5]
	s_cbranch_execz .LBB8_1208
.LBB8_1207:
	v_bfe_u32 v6, v3, 16, 3
	v_ffbh_u32_e32 v12, v6
	v_min_u32_e32 v12, 32, v12
	v_lshrrev_b32_e32 v10, 19, v3
	v_subrev_u32_e32 v13, 28, v12
	v_and_b32_e32 v10, 15, v10
	v_lshlrev_b32_sdwa v13, v13, v3 dst_sel:DWORD dst_unused:UNUSED_PAD src0_sel:DWORD src1_sel:WORD_1
	v_bfe_u32 v11, v3, 19, 4
	v_sub_u32_e32 v12, 29, v12
	v_and_b32_e32 v13, 7, v13
	v_cmp_eq_u16_e32 vcc, 0, v10
	v_cndmask_b32_e32 v6, v6, v13, vcc
	v_cndmask_b32_e32 v10, v11, v12, vcc
	v_lshlrev_b32_e32 v11, 8, v3
	v_mov_b32_e32 v12, 0x3b800000
	v_lshlrev_b32_e32 v6, 20, v6
	v_and_b32_e32 v11, 0x80000000, v11
	v_lshl_add_u32 v10, v10, 23, v12
	v_or3_b32 v10, v11, v10, v6
.LBB8_1208:
	s_or_b64 exec, exec, s[6:7]
	s_nop 0
	v_mfma_f32_16x16x4f32 a[0:3], v2, v10, a[0:3]
	s_movk_i32 s4, 0x7f
	v_cmp_gt_i16_sdwa s[6:7], v7, s4 src0_sel:BYTE_3 src1_sel:DWORD
	s_mov_b64 s[4:5], 0
                                        ; implicit-def: $sgpr10
	s_and_saveexec_b64 s[8:9], s[6:7]
	s_xor_b64 s[6:7], exec, s[8:9]
	s_cbranch_execnz .LBB8_3257
; %bb.1209:
	s_or_saveexec_b64 s[6:7], s[6:7]
	v_mov_b32_e32 v2, s10
	s_xor_b64 exec, exec, s[6:7]
	s_cbranch_execnz .LBB8_3260
.LBB8_1210:
	s_or_b64 exec, exec, s[6:7]
	s_and_saveexec_b64 s[6:7], s[4:5]
	s_cbranch_execz .LBB8_1212
.LBB8_1211:
	v_bfe_u32 v2, v7, 24, 3
	v_ffbh_u32_e32 v12, v2
	v_min_u32_e32 v12, 32, v12
	v_lshrrev_b32_e32 v10, 27, v7
	v_subrev_u32_e32 v13, 28, v12
	v_and_b32_e32 v6, 0x80000000, v7
	v_and_b32_e32 v10, 15, v10
	v_bfe_u32 v11, v7, 27, 4
	v_lshlrev_b32_sdwa v7, v13, v7 dst_sel:DWORD dst_unused:UNUSED_PAD src0_sel:DWORD src1_sel:BYTE_3
	v_sub_u32_e32 v12, 29, v12
	v_and_b32_e32 v7, 7, v7
	v_cmp_eq_u16_e32 vcc, 0, v10
	v_cndmask_b32_e32 v2, v2, v7, vcc
	v_cndmask_b32_e32 v7, v11, v12, vcc
	v_mov_b32_e32 v10, 0x3b800000
	v_lshlrev_b32_e32 v2, 20, v2
	v_lshl_add_u32 v7, v7, 23, v10
	v_or3_b32 v2, v6, v7, v2
.LBB8_1212:
	s_or_b64 exec, exec, s[6:7]
	s_movk_i32 s4, 0x7f
	v_cmp_gt_i16_sdwa s[6:7], v3, s4 src0_sel:BYTE_3 src1_sel:DWORD
	s_mov_b64 s[4:5], 0
                                        ; implicit-def: $sgpr10
	s_and_saveexec_b64 s[8:9], s[6:7]
	s_xor_b64 s[6:7], exec, s[8:9]
	s_cbranch_execnz .LBB8_3261
; %bb.1213:
	s_or_saveexec_b64 s[6:7], s[6:7]
	v_mov_b32_e32 v6, s10
	s_xor_b64 exec, exec, s[6:7]
	s_cbranch_execnz .LBB8_3264
.LBB8_1214:
	s_or_b64 exec, exec, s[6:7]
	s_and_saveexec_b64 s[6:7], s[4:5]
	s_cbranch_execz .LBB8_1216
.LBB8_1215:
	v_bfe_u32 v6, v3, 24, 3
	v_ffbh_u32_e32 v12, v6
	v_min_u32_e32 v12, 32, v12
	v_lshrrev_b32_e32 v10, 27, v3
	v_subrev_u32_e32 v13, 28, v12
	v_and_b32_e32 v7, 0x80000000, v3
	v_and_b32_e32 v10, 15, v10
	v_bfe_u32 v11, v3, 27, 4
	v_lshlrev_b32_sdwa v3, v13, v3 dst_sel:DWORD dst_unused:UNUSED_PAD src0_sel:DWORD src1_sel:BYTE_3
	v_sub_u32_e32 v12, 29, v12
	v_and_b32_e32 v3, 7, v3
	v_cmp_eq_u16_e32 vcc, 0, v10
	v_cndmask_b32_e32 v3, v6, v3, vcc
	v_cndmask_b32_e32 v6, v11, v12, vcc
	v_mov_b32_e32 v10, 0x3b800000
	v_lshlrev_b32_e32 v3, 20, v3
	v_lshl_add_u32 v6, v6, 23, v10
	v_or3_b32 v6, v7, v6, v3
.LBB8_1216:
	s_or_b64 exec, exec, s[6:7]
	s_nop 0
	v_mfma_f32_16x16x4f32 a[0:3], v2, v6, a[0:3]
	s_movk_i32 s4, 0x7f
	v_cmp_gt_i16_sdwa s[6:7], v8, s4 src0_sel:BYTE_0 src1_sel:DWORD
	s_mov_b64 s[4:5], 0
                                        ; implicit-def: $sgpr10
	s_and_saveexec_b64 s[8:9], s[6:7]
	s_xor_b64 s[6:7], exec, s[8:9]
	s_cbranch_execnz .LBB8_3265
; %bb.1217:
	s_or_saveexec_b64 s[6:7], s[6:7]
	v_mov_b32_e32 v2, s10
	s_xor_b64 exec, exec, s[6:7]
	s_cbranch_execnz .LBB8_3268
.LBB8_1218:
	s_or_b64 exec, exec, s[6:7]
	s_and_saveexec_b64 s[6:7], s[4:5]
	s_cbranch_execz .LBB8_1220
.LBB8_1219:
	v_and_b32_e32 v2, 7, v8
	v_ffbh_u32_e32 v6, v2
	v_min_u32_e32 v6, 32, v6
	v_lshrrev_b16_e32 v3, 3, v8
	v_subrev_u32_e32 v7, 28, v6
	v_and_b32_e32 v3, 15, v3
	v_lshlrev_b32_e32 v7, v7, v8
	v_sub_u32_e32 v6, 29, v6
	v_and_b32_e32 v7, 7, v7
	v_cmp_eq_u16_e32 vcc, 0, v3
	v_cndmask_b32_e32 v2, v2, v7, vcc
	v_cndmask_b32_e32 v3, v3, v6, vcc
	v_lshlrev_b32_e32 v6, 24, v8
	v_mov_b32_e32 v7, 0x3b800000
	v_lshlrev_b32_e32 v2, 20, v2
	v_and_b32_e32 v6, 0x80000000, v6
	v_lshl_add_u32 v3, v3, 23, v7
	v_or3_b32 v2, v6, v3, v2
.LBB8_1220:
	s_or_b64 exec, exec, s[6:7]
	s_movk_i32 s4, 0x7f
	v_cmp_gt_i16_sdwa s[6:7], v4, s4 src0_sel:BYTE_0 src1_sel:DWORD
	s_mov_b64 s[4:5], 0
                                        ; implicit-def: $sgpr10
	s_and_saveexec_b64 s[8:9], s[6:7]
	s_xor_b64 s[6:7], exec, s[8:9]
	s_cbranch_execnz .LBB8_3269
; %bb.1221:
	s_or_saveexec_b64 s[6:7], s[6:7]
	v_mov_b32_e32 v3, s10
	s_xor_b64 exec, exec, s[6:7]
	s_cbranch_execnz .LBB8_3272
.LBB8_1222:
	s_or_b64 exec, exec, s[6:7]
	s_and_saveexec_b64 s[6:7], s[4:5]
	s_cbranch_execz .LBB8_1224
.LBB8_1223:
	v_and_b32_e32 v3, 7, v4
	v_ffbh_u32_e32 v7, v3
	v_min_u32_e32 v7, 32, v7
	v_lshrrev_b16_e32 v6, 3, v4
	v_subrev_u32_e32 v10, 28, v7
	v_and_b32_e32 v6, 15, v6
	v_lshlrev_b32_e32 v10, v10, v4
	v_sub_u32_e32 v7, 29, v7
	v_and_b32_e32 v10, 7, v10
	v_cmp_eq_u16_e32 vcc, 0, v6
	v_cndmask_b32_e32 v3, v3, v10, vcc
	v_cndmask_b32_e32 v6, v6, v7, vcc
	v_lshlrev_b32_e32 v7, 24, v4
	v_mov_b32_e32 v10, 0x3b800000
	v_lshlrev_b32_e32 v3, 20, v3
	v_and_b32_e32 v7, 0x80000000, v7
	v_lshl_add_u32 v6, v6, 23, v10
	v_or3_b32 v3, v7, v6, v3
.LBB8_1224:
	s_or_b64 exec, exec, s[6:7]
	s_nop 0
	v_mfma_f32_16x16x4f32 a[0:3], v2, v3, a[0:3]
	v_lshrrev_b32_e32 v3, 8, v8
	s_movk_i32 s4, 0x7f
	v_cmp_gt_i16_sdwa s[6:7], v3, s4 src0_sel:BYTE_0 src1_sel:DWORD
	s_mov_b64 s[4:5], 0
                                        ; implicit-def: $sgpr10
	s_and_saveexec_b64 s[8:9], s[6:7]
	s_xor_b64 s[6:7], exec, s[8:9]
	s_cbranch_execnz .LBB8_3273
; %bb.1225:
	s_or_saveexec_b64 s[6:7], s[6:7]
	v_mov_b32_e32 v2, s10
	s_xor_b64 exec, exec, s[6:7]
	s_cbranch_execnz .LBB8_3276
.LBB8_1226:
	s_or_b64 exec, exec, s[6:7]
	s_and_saveexec_b64 s[6:7], s[4:5]
	s_cbranch_execz .LBB8_1228
.LBB8_1227:
	v_bfe_u32 v2, v8, 8, 3
	v_ffbh_u32_e32 v7, v2
	v_min_u32_e32 v7, 32, v7
	v_lshrrev_b16_e32 v6, 3, v3
	v_subrev_u32_e32 v10, 28, v7
	v_and_b32_e32 v6, 15, v6
	v_lshlrev_b32_e32 v3, v10, v3
	v_sub_u32_e32 v7, 29, v7
	v_and_b32_e32 v3, 7, v3
	v_cmp_eq_u16_e32 vcc, 0, v6
	v_cndmask_b32_e32 v2, v2, v3, vcc
	v_cndmask_b32_e32 v3, v6, v7, vcc
	v_lshlrev_b32_e32 v6, 16, v8
	v_mov_b32_e32 v7, 0x3b800000
	v_lshlrev_b32_e32 v2, 20, v2
	v_and_b32_e32 v6, 0x80000000, v6
	v_lshl_add_u32 v3, v3, 23, v7
	v_or3_b32 v2, v6, v3, v2
.LBB8_1228:
	s_or_b64 exec, exec, s[6:7]
	v_lshrrev_b32_e32 v3, 8, v4
	s_movk_i32 s4, 0x7f
	v_cmp_gt_i16_sdwa s[6:7], v3, s4 src0_sel:BYTE_0 src1_sel:DWORD
	s_mov_b64 s[4:5], 0
                                        ; implicit-def: $sgpr10
	s_and_saveexec_b64 s[8:9], s[6:7]
	s_xor_b64 s[6:7], exec, s[8:9]
	s_cbranch_execnz .LBB8_3277
; %bb.1229:
	s_or_saveexec_b64 s[6:7], s[6:7]
	v_mov_b32_e32 v6, s10
	s_xor_b64 exec, exec, s[6:7]
	s_cbranch_execnz .LBB8_3280
.LBB8_1230:
	s_or_b64 exec, exec, s[6:7]
	s_and_saveexec_b64 s[6:7], s[4:5]
	s_cbranch_execz .LBB8_1232
.LBB8_1231:
	v_bfe_u32 v6, v4, 8, 3
	v_ffbh_u32_e32 v10, v6
	v_min_u32_e32 v10, 32, v10
	v_lshrrev_b16_e32 v7, 3, v3
	v_subrev_u32_e32 v11, 28, v10
	v_and_b32_e32 v7, 15, v7
	v_lshlrev_b32_e32 v3, v11, v3
	v_sub_u32_e32 v10, 29, v10
	v_and_b32_e32 v3, 7, v3
	v_cmp_eq_u16_e32 vcc, 0, v7
	v_cndmask_b32_e32 v3, v6, v3, vcc
	v_cndmask_b32_e32 v6, v7, v10, vcc
	v_lshlrev_b32_e32 v7, 16, v4
	v_mov_b32_e32 v10, 0x3b800000
	v_lshlrev_b32_e32 v3, 20, v3
	v_and_b32_e32 v7, 0x80000000, v7
	v_lshl_add_u32 v6, v6, 23, v10
	v_or3_b32 v6, v7, v6, v3
.LBB8_1232:
	s_or_b64 exec, exec, s[6:7]
	s_nop 0
	v_mfma_f32_16x16x4f32 a[0:3], v2, v6, a[0:3]
	s_movk_i32 s4, 0xff
	v_and_b32_sdwa v3, v8, s4 dst_sel:DWORD dst_unused:UNUSED_PAD src0_sel:WORD_1 src1_sel:DWORD
	s_movk_i32 s4, 0x7f
	v_cmp_lt_i16_e32 vcc, s4, v3
	s_mov_b64 s[4:5], 0
                                        ; implicit-def: $sgpr10
	s_and_saveexec_b64 s[6:7], vcc
	s_xor_b64 s[6:7], exec, s[6:7]
	s_cbranch_execnz .LBB8_3281
; %bb.1233:
	s_or_saveexec_b64 s[6:7], s[6:7]
	v_mov_b32_e32 v2, s10
	s_xor_b64 exec, exec, s[6:7]
	s_cbranch_execnz .LBB8_3284
.LBB8_1234:
	s_or_b64 exec, exec, s[6:7]
	s_and_saveexec_b64 s[6:7], s[4:5]
	s_cbranch_execz .LBB8_1236
.LBB8_1235:
	v_bfe_u32 v2, v8, 16, 3
	v_ffbh_u32_e32 v7, v2
	v_min_u32_e32 v7, 32, v7
	v_lshrrev_b32_e32 v3, 19, v8
	v_subrev_u32_e32 v10, 28, v7
	v_and_b32_e32 v3, 15, v3
	v_lshlrev_b32_sdwa v10, v10, v8 dst_sel:DWORD dst_unused:UNUSED_PAD src0_sel:DWORD src1_sel:WORD_1
	v_bfe_u32 v6, v8, 19, 4
	v_sub_u32_e32 v7, 29, v7
	v_and_b32_e32 v10, 7, v10
	v_cmp_eq_u16_e32 vcc, 0, v3
	v_cndmask_b32_e32 v2, v2, v10, vcc
	v_cndmask_b32_e32 v3, v6, v7, vcc
	v_lshlrev_b32_e32 v6, 8, v8
	v_mov_b32_e32 v7, 0x3b800000
	v_lshlrev_b32_e32 v2, 20, v2
	v_and_b32_e32 v6, 0x80000000, v6
	v_lshl_add_u32 v3, v3, 23, v7
	v_or3_b32 v2, v6, v3, v2
.LBB8_1236:
	s_or_b64 exec, exec, s[6:7]
	s_movk_i32 s4, 0xff
	v_and_b32_sdwa v3, v4, s4 dst_sel:DWORD dst_unused:UNUSED_PAD src0_sel:WORD_1 src1_sel:DWORD
	s_movk_i32 s4, 0x7f
	v_cmp_lt_i16_e32 vcc, s4, v3
	s_mov_b64 s[4:5], 0
                                        ; implicit-def: $sgpr10
	s_and_saveexec_b64 s[6:7], vcc
	s_xor_b64 s[6:7], exec, s[6:7]
	s_cbranch_execnz .LBB8_3285
; %bb.1237:
	s_or_saveexec_b64 s[6:7], s[6:7]
	v_mov_b32_e32 v6, s10
	s_xor_b64 exec, exec, s[6:7]
	s_cbranch_execnz .LBB8_3288
.LBB8_1238:
	s_or_b64 exec, exec, s[6:7]
	s_and_saveexec_b64 s[6:7], s[4:5]
	s_cbranch_execz .LBB8_1240
.LBB8_1239:
	v_bfe_u32 v3, v4, 16, 3
	v_ffbh_u32_e32 v10, v3
	v_min_u32_e32 v10, 32, v10
	v_lshrrev_b32_e32 v6, 19, v4
	v_subrev_u32_e32 v11, 28, v10
	v_and_b32_e32 v6, 15, v6
	v_lshlrev_b32_sdwa v11, v11, v4 dst_sel:DWORD dst_unused:UNUSED_PAD src0_sel:DWORD src1_sel:WORD_1
	v_bfe_u32 v7, v4, 19, 4
	v_sub_u32_e32 v10, 29, v10
	v_and_b32_e32 v11, 7, v11
	v_cmp_eq_u16_e32 vcc, 0, v6
	v_cndmask_b32_e32 v3, v3, v11, vcc
	v_cndmask_b32_e32 v6, v7, v10, vcc
	v_lshlrev_b32_e32 v7, 8, v4
	v_mov_b32_e32 v10, 0x3b800000
	v_lshlrev_b32_e32 v3, 20, v3
	v_and_b32_e32 v7, 0x80000000, v7
	v_lshl_add_u32 v6, v6, 23, v10
	v_or3_b32 v6, v7, v6, v3
.LBB8_1240:
	s_or_b64 exec, exec, s[6:7]
	s_nop 0
	v_mfma_f32_16x16x4f32 a[0:3], v2, v6, a[0:3]
	s_movk_i32 s4, 0x7f
	v_cmp_gt_i16_sdwa s[6:7], v8, s4 src0_sel:BYTE_3 src1_sel:DWORD
	s_mov_b64 s[4:5], 0
                                        ; implicit-def: $sgpr10
	s_and_saveexec_b64 s[8:9], s[6:7]
	s_xor_b64 s[6:7], exec, s[8:9]
	s_cbranch_execnz .LBB8_3289
; %bb.1241:
	s_or_saveexec_b64 s[6:7], s[6:7]
	v_mov_b32_e32 v2, s10
	s_xor_b64 exec, exec, s[6:7]
	s_cbranch_execnz .LBB8_3292
.LBB8_1242:
	s_or_b64 exec, exec, s[6:7]
	s_and_saveexec_b64 s[6:7], s[4:5]
	s_cbranch_execz .LBB8_1244
.LBB8_1243:
	v_bfe_u32 v2, v8, 24, 3
	v_ffbh_u32_e32 v10, v2
	v_min_u32_e32 v10, 32, v10
	v_lshrrev_b32_e32 v6, 27, v8
	v_subrev_u32_e32 v11, 28, v10
	v_and_b32_e32 v3, 0x80000000, v8
	v_and_b32_e32 v6, 15, v6
	v_bfe_u32 v7, v8, 27, 4
	v_lshlrev_b32_sdwa v8, v11, v8 dst_sel:DWORD dst_unused:UNUSED_PAD src0_sel:DWORD src1_sel:BYTE_3
	v_sub_u32_e32 v10, 29, v10
	v_and_b32_e32 v8, 7, v8
	v_cmp_eq_u16_e32 vcc, 0, v6
	v_cndmask_b32_e32 v2, v2, v8, vcc
	v_cndmask_b32_e32 v6, v7, v10, vcc
	v_mov_b32_e32 v7, 0x3b800000
	v_lshlrev_b32_e32 v2, 20, v2
	v_lshl_add_u32 v6, v6, 23, v7
	v_or3_b32 v2, v3, v6, v2
.LBB8_1244:
	s_or_b64 exec, exec, s[6:7]
	s_movk_i32 s4, 0x7f
	v_cmp_gt_i16_sdwa s[6:7], v4, s4 src0_sel:BYTE_3 src1_sel:DWORD
	s_mov_b64 s[4:5], 0
                                        ; implicit-def: $sgpr10
	s_and_saveexec_b64 s[8:9], s[6:7]
	s_xor_b64 s[6:7], exec, s[8:9]
	s_cbranch_execnz .LBB8_3293
; %bb.1245:
	s_or_saveexec_b64 s[6:7], s[6:7]
	v_mov_b32_e32 v3, s10
	s_xor_b64 exec, exec, s[6:7]
	s_cbranch_execnz .LBB8_3296
.LBB8_1246:
	s_or_b64 exec, exec, s[6:7]
	s_and_saveexec_b64 s[6:7], s[4:5]
	s_cbranch_execz .LBB8_1248
.LBB8_1247:
	v_bfe_u32 v3, v4, 24, 3
	v_ffbh_u32_e32 v10, v3
	v_min_u32_e32 v10, 32, v10
	v_lshrrev_b32_e32 v7, 27, v4
	v_subrev_u32_e32 v11, 28, v10
	v_and_b32_e32 v6, 0x80000000, v4
	v_and_b32_e32 v7, 15, v7
	v_bfe_u32 v8, v4, 27, 4
	v_lshlrev_b32_sdwa v4, v11, v4 dst_sel:DWORD dst_unused:UNUSED_PAD src0_sel:DWORD src1_sel:BYTE_3
	v_sub_u32_e32 v10, 29, v10
	v_and_b32_e32 v4, 7, v4
	v_cmp_eq_u16_e32 vcc, 0, v7
	v_cndmask_b32_e32 v3, v3, v4, vcc
	v_cndmask_b32_e32 v4, v8, v10, vcc
	v_mov_b32_e32 v7, 0x3b800000
	v_lshlrev_b32_e32 v3, 20, v3
	v_lshl_add_u32 v4, v4, 23, v7
	v_or3_b32 v3, v6, v4, v3
.LBB8_1248:
	s_or_b64 exec, exec, s[6:7]
	s_nop 0
	v_mfma_f32_16x16x4f32 a[0:3], v2, v3, a[0:3]
	s_movk_i32 s4, 0x7f
	v_cmp_gt_i16_sdwa s[6:7], v9, s4 src0_sel:BYTE_0 src1_sel:DWORD
	s_mov_b64 s[4:5], 0
                                        ; implicit-def: $sgpr10
	s_and_saveexec_b64 s[8:9], s[6:7]
	s_xor_b64 s[6:7], exec, s[8:9]
	s_cbranch_execnz .LBB8_3297
; %bb.1249:
	s_or_saveexec_b64 s[6:7], s[6:7]
	v_mov_b32_e32 v2, s10
	s_xor_b64 exec, exec, s[6:7]
	s_cbranch_execnz .LBB8_3300
.LBB8_1250:
	s_or_b64 exec, exec, s[6:7]
	s_and_saveexec_b64 s[6:7], s[4:5]
	s_cbranch_execz .LBB8_1252
.LBB8_1251:
	v_mov_b32_e32 v2, 8
	v_and_b32_e32 v3, 7, v9
	v_lshrrev_b32_sdwa v2, v2, v9 dst_sel:BYTE_1 dst_unused:UNUSED_PAD src0_sel:DWORD src1_sel:DWORD
	v_ffbh_u32_e32 v4, v3
	v_or_b32_sdwa v2, v9, v2 dst_sel:DWORD dst_unused:UNUSED_PAD src0_sel:BYTE_0 src1_sel:DWORD
	v_min_u32_e32 v4, 32, v4
	v_lshrrev_b16_e32 v2, 3, v2
	v_subrev_u32_e32 v6, 28, v4
	v_and_b32_e32 v2, 15, v2
	v_lshlrev_b32_e32 v6, v6, v9
	v_sub_u32_e32 v4, 29, v4
	v_and_b32_e32 v6, 7, v6
	v_cmp_eq_u16_e32 vcc, 0, v2
	v_cndmask_b32_e32 v3, v3, v6, vcc
	v_cndmask_b32_e32 v2, v2, v4, vcc
	v_lshlrev_b32_e32 v4, 24, v9
	v_mov_b32_e32 v6, 0x3b800000
	v_lshlrev_b32_e32 v3, 20, v3
	v_and_b32_e32 v4, 0x80000000, v4
	v_lshl_add_u32 v2, v2, 23, v6
	v_or3_b32 v2, v4, v2, v3
.LBB8_1252:
	s_or_b64 exec, exec, s[6:7]
	s_movk_i32 s4, 0x7f
	v_cmp_gt_i16_sdwa s[6:7], v5, s4 src0_sel:BYTE_0 src1_sel:DWORD
	s_mov_b64 s[4:5], 0
                                        ; implicit-def: $sgpr10
	s_and_saveexec_b64 s[8:9], s[6:7]
	s_xor_b64 s[6:7], exec, s[8:9]
	s_cbranch_execnz .LBB8_3301
; %bb.1253:
	s_or_saveexec_b64 s[6:7], s[6:7]
	v_mov_b32_e32 v3, s10
	s_xor_b64 exec, exec, s[6:7]
	s_cbranch_execnz .LBB8_3304
.LBB8_1254:
	s_or_b64 exec, exec, s[6:7]
	s_and_saveexec_b64 s[6:7], s[4:5]
	s_cbranch_execz .LBB8_1256
.LBB8_1255:
	v_mov_b32_e32 v3, 8
	v_and_b32_e32 v4, 7, v5
	v_lshrrev_b32_sdwa v3, v3, v5 dst_sel:BYTE_1 dst_unused:UNUSED_PAD src0_sel:DWORD src1_sel:DWORD
	v_ffbh_u32_e32 v6, v4
	v_or_b32_sdwa v3, v5, v3 dst_sel:DWORD dst_unused:UNUSED_PAD src0_sel:BYTE_0 src1_sel:DWORD
	v_min_u32_e32 v6, 32, v6
	v_lshrrev_b16_e32 v3, 3, v3
	v_subrev_u32_e32 v7, 28, v6
	v_and_b32_e32 v3, 15, v3
	v_lshlrev_b32_e32 v7, v7, v5
	v_sub_u32_e32 v6, 29, v6
	v_and_b32_e32 v7, 7, v7
	v_cmp_eq_u16_e32 vcc, 0, v3
	v_cndmask_b32_e32 v4, v4, v7, vcc
	v_cndmask_b32_e32 v3, v3, v6, vcc
	v_lshlrev_b32_e32 v6, 24, v5
	v_mov_b32_e32 v7, 0x3b800000
	v_lshlrev_b32_e32 v4, 20, v4
	v_and_b32_e32 v6, 0x80000000, v6
	v_lshl_add_u32 v3, v3, 23, v7
	v_or3_b32 v3, v6, v3, v4
.LBB8_1256:
	s_or_b64 exec, exec, s[6:7]
	s_nop 0
	v_mfma_f32_16x16x4f32 a[0:3], v2, v3, a[0:3]
	v_lshrrev_b32_e32 v3, 8, v9
	s_movk_i32 s4, 0x7f
	v_cmp_gt_i16_sdwa s[6:7], v3, s4 src0_sel:BYTE_0 src1_sel:DWORD
	s_mov_b64 s[4:5], 0
                                        ; implicit-def: $sgpr10
	s_and_saveexec_b64 s[8:9], s[6:7]
	s_xor_b64 s[6:7], exec, s[8:9]
	s_cbranch_execnz .LBB8_3305
; %bb.1257:
	s_or_saveexec_b64 s[6:7], s[6:7]
	v_mov_b32_e32 v2, s10
	s_xor_b64 exec, exec, s[6:7]
	s_cbranch_execnz .LBB8_3308
.LBB8_1258:
	s_or_b64 exec, exec, s[6:7]
	s_and_saveexec_b64 s[6:7], s[4:5]
	s_cbranch_execz .LBB8_1260
.LBB8_1259:
	v_bfe_u32 v2, v9, 8, 3
	v_ffbh_u32_e32 v6, v2
	v_min_u32_e32 v6, 32, v6
	v_lshrrev_b16_e32 v4, 3, v3
	v_subrev_u32_e32 v7, 28, v6
	v_and_b32_e32 v4, 15, v4
	v_lshlrev_b32_e32 v3, v7, v3
	v_sub_u32_e32 v6, 29, v6
	v_and_b32_e32 v3, 7, v3
	v_cmp_eq_u16_e32 vcc, 0, v4
	v_cndmask_b32_e32 v2, v2, v3, vcc
	v_cndmask_b32_e32 v3, v4, v6, vcc
	v_lshlrev_b32_e32 v4, 16, v9
	v_mov_b32_e32 v6, 0x3b800000
	v_lshlrev_b32_e32 v2, 20, v2
	v_and_b32_e32 v4, 0x80000000, v4
	v_lshl_add_u32 v3, v3, 23, v6
	v_or3_b32 v2, v4, v3, v2
.LBB8_1260:
	s_or_b64 exec, exec, s[6:7]
	v_lshrrev_b32_e32 v3, 8, v5
	s_movk_i32 s4, 0x7f
	v_cmp_gt_i16_sdwa s[6:7], v3, s4 src0_sel:BYTE_0 src1_sel:DWORD
	s_mov_b64 s[4:5], 0
                                        ; implicit-def: $sgpr10
	s_and_saveexec_b64 s[8:9], s[6:7]
	s_xor_b64 s[6:7], exec, s[8:9]
	s_cbranch_execnz .LBB8_3309
; %bb.1261:
	s_or_saveexec_b64 s[6:7], s[6:7]
	v_mov_b32_e32 v4, s10
	s_xor_b64 exec, exec, s[6:7]
	s_cbranch_execnz .LBB8_3312
.LBB8_1262:
	s_or_b64 exec, exec, s[6:7]
	s_and_saveexec_b64 s[6:7], s[4:5]
	s_cbranch_execz .LBB8_1264
.LBB8_1263:
	v_bfe_u32 v4, v5, 8, 3
	v_ffbh_u32_e32 v7, v4
	v_min_u32_e32 v7, 32, v7
	v_lshrrev_b16_e32 v6, 3, v3
	v_subrev_u32_e32 v8, 28, v7
	v_and_b32_e32 v6, 15, v6
	v_lshlrev_b32_e32 v3, v8, v3
	v_sub_u32_e32 v7, 29, v7
	v_and_b32_e32 v3, 7, v3
	v_cmp_eq_u16_e32 vcc, 0, v6
	v_cndmask_b32_e32 v3, v4, v3, vcc
	v_cndmask_b32_e32 v4, v6, v7, vcc
	v_lshlrev_b32_e32 v6, 16, v5
	v_mov_b32_e32 v7, 0x3b800000
	v_lshlrev_b32_e32 v3, 20, v3
	v_and_b32_e32 v6, 0x80000000, v6
	v_lshl_add_u32 v4, v4, 23, v7
	v_or3_b32 v4, v6, v4, v3
.LBB8_1264:
	s_or_b64 exec, exec, s[6:7]
	s_nop 0
	v_mfma_f32_16x16x4f32 a[0:3], v2, v4, a[0:3]
	s_movk_i32 s4, 0xff
	v_and_b32_sdwa v3, v9, s4 dst_sel:DWORD dst_unused:UNUSED_PAD src0_sel:WORD_1 src1_sel:DWORD
	s_movk_i32 s4, 0x7f
	v_cmp_lt_i16_e32 vcc, s4, v3
	s_mov_b64 s[4:5], 0
                                        ; implicit-def: $sgpr10
	s_and_saveexec_b64 s[6:7], vcc
	s_xor_b64 s[6:7], exec, s[6:7]
	s_cbranch_execnz .LBB8_3313
; %bb.1265:
	s_or_saveexec_b64 s[6:7], s[6:7]
	v_mov_b32_e32 v2, s10
	s_xor_b64 exec, exec, s[6:7]
	s_cbranch_execnz .LBB8_3316
.LBB8_1266:
	s_or_b64 exec, exec, s[6:7]
	s_and_saveexec_b64 s[6:7], s[4:5]
	s_cbranch_execz .LBB8_1268
.LBB8_1267:
	v_bfe_u32 v2, v9, 16, 3
	v_ffbh_u32_e32 v6, v2
	v_min_u32_e32 v6, 32, v6
	v_lshrrev_b32_e32 v3, 19, v9
	v_subrev_u32_e32 v7, 28, v6
	v_and_b32_e32 v3, 15, v3
	v_lshlrev_b32_sdwa v7, v7, v9 dst_sel:DWORD dst_unused:UNUSED_PAD src0_sel:DWORD src1_sel:WORD_1
	v_bfe_u32 v4, v9, 19, 4
	v_sub_u32_e32 v6, 29, v6
	v_and_b32_e32 v7, 7, v7
	v_cmp_eq_u16_e32 vcc, 0, v3
	v_cndmask_b32_e32 v2, v2, v7, vcc
	v_cndmask_b32_e32 v3, v4, v6, vcc
	v_lshlrev_b32_e32 v4, 8, v9
	v_mov_b32_e32 v6, 0x3b800000
	v_lshlrev_b32_e32 v2, 20, v2
	v_and_b32_e32 v4, 0x80000000, v4
	v_lshl_add_u32 v3, v3, 23, v6
	v_or3_b32 v2, v4, v3, v2
.LBB8_1268:
	s_or_b64 exec, exec, s[6:7]
	s_movk_i32 s4, 0xff
	v_and_b32_sdwa v3, v5, s4 dst_sel:DWORD dst_unused:UNUSED_PAD src0_sel:WORD_1 src1_sel:DWORD
	s_movk_i32 s4, 0x7f
	v_cmp_lt_i16_e32 vcc, s4, v3
	s_mov_b64 s[4:5], 0
                                        ; implicit-def: $sgpr10
	s_and_saveexec_b64 s[6:7], vcc
	s_xor_b64 s[6:7], exec, s[6:7]
	s_cbranch_execnz .LBB8_3317
; %bb.1269:
	s_or_saveexec_b64 s[6:7], s[6:7]
	v_mov_b32_e32 v4, s10
	s_xor_b64 exec, exec, s[6:7]
	s_cbranch_execnz .LBB8_3320
.LBB8_1270:
	s_or_b64 exec, exec, s[6:7]
	s_and_saveexec_b64 s[6:7], s[4:5]
	s_cbranch_execz .LBB8_1272
.LBB8_1271:
	v_bfe_u32 v3, v5, 16, 3
	v_ffbh_u32_e32 v7, v3
	v_min_u32_e32 v7, 32, v7
	v_lshrrev_b32_e32 v4, 19, v5
	v_subrev_u32_e32 v8, 28, v7
	v_and_b32_e32 v4, 15, v4
	v_lshlrev_b32_sdwa v8, v8, v5 dst_sel:DWORD dst_unused:UNUSED_PAD src0_sel:DWORD src1_sel:WORD_1
	v_bfe_u32 v6, v5, 19, 4
	v_sub_u32_e32 v7, 29, v7
	v_and_b32_e32 v8, 7, v8
	v_cmp_eq_u16_e32 vcc, 0, v4
	v_cndmask_b32_e32 v3, v3, v8, vcc
	v_cndmask_b32_e32 v4, v6, v7, vcc
	v_lshlrev_b32_e32 v6, 8, v5
	v_mov_b32_e32 v7, 0x3b800000
	v_lshlrev_b32_e32 v3, 20, v3
	v_and_b32_e32 v6, 0x80000000, v6
	v_lshl_add_u32 v4, v4, 23, v7
	v_or3_b32 v4, v6, v4, v3
.LBB8_1272:
	s_or_b64 exec, exec, s[6:7]
	s_nop 0
	v_mfma_f32_16x16x4f32 a[0:3], v2, v4, a[0:3]
	s_movk_i32 s4, 0x7f
	v_cmp_gt_i16_sdwa s[6:7], v9, s4 src0_sel:BYTE_3 src1_sel:DWORD
	s_mov_b64 s[4:5], 0
                                        ; implicit-def: $sgpr10
	s_and_saveexec_b64 s[8:9], s[6:7]
	s_xor_b64 s[6:7], exec, s[8:9]
	s_cbranch_execnz .LBB8_3321
; %bb.1273:
	s_or_saveexec_b64 s[6:7], s[6:7]
	v_mov_b32_e32 v2, s10
	s_xor_b64 exec, exec, s[6:7]
	s_cbranch_execnz .LBB8_3324
.LBB8_1274:
	s_or_b64 exec, exec, s[6:7]
	s_and_saveexec_b64 s[6:7], s[4:5]
	s_cbranch_execz .LBB8_1276
.LBB8_1275:
	v_bfe_u32 v2, v9, 24, 3
	v_ffbh_u32_e32 v7, v2
	v_min_u32_e32 v7, 32, v7
	v_lshrrev_b32_e32 v4, 27, v9
	v_subrev_u32_e32 v8, 28, v7
	v_and_b32_e32 v4, 15, v4
	v_lshlrev_b32_sdwa v8, v8, v9 dst_sel:DWORD dst_unused:UNUSED_PAD src0_sel:DWORD src1_sel:BYTE_3
	v_bfe_u32 v6, v9, 27, 4
	v_sub_u32_e32 v7, 29, v7
	v_and_b32_e32 v8, 7, v8
	v_cmp_eq_u16_e32 vcc, 0, v4
	v_cndmask_b32_e32 v2, v2, v8, vcc
	v_cndmask_b32_e32 v4, v6, v7, vcc
	v_mov_b32_e32 v6, 0x3b800000
	v_and_b32_e32 v3, 0x80000000, v9
	v_lshlrev_b32_e32 v2, 20, v2
	v_lshl_add_u32 v4, v4, 23, v6
	v_or3_b32 v2, v3, v4, v2
.LBB8_1276:
	s_or_b64 exec, exec, s[6:7]
	s_movk_i32 s4, 0x7f
	v_cmp_gt_i16_sdwa s[6:7], v5, s4 src0_sel:BYTE_3 src1_sel:DWORD
	s_mov_b64 s[4:5], 0
                                        ; implicit-def: $sgpr10
	s_and_saveexec_b64 s[8:9], s[6:7]
	s_xor_b64 s[6:7], exec, s[8:9]
	s_cbranch_execnz .LBB8_3325
; %bb.1277:
	s_or_saveexec_b64 s[6:7], s[6:7]
	v_mov_b32_e32 v3, s10
	s_xor_b64 exec, exec, s[6:7]
	s_cbranch_execnz .LBB8_3328
.LBB8_1278:
	s_or_b64 exec, exec, s[6:7]
	s_and_saveexec_b64 s[6:7], s[4:5]
	s_cbranch_execz .LBB8_1280
.LBB8_1279:
	v_bfe_u32 v3, v5, 24, 3
	v_ffbh_u32_e32 v8, v3
	v_min_u32_e32 v8, 32, v8
	v_lshrrev_b32_e32 v6, 27, v5
	v_subrev_u32_e32 v9, 28, v8
	v_and_b32_e32 v4, 0x80000000, v5
	v_and_b32_e32 v6, 15, v6
	v_bfe_u32 v7, v5, 27, 4
	v_lshlrev_b32_sdwa v5, v9, v5 dst_sel:DWORD dst_unused:UNUSED_PAD src0_sel:DWORD src1_sel:BYTE_3
	v_sub_u32_e32 v8, 29, v8
	v_and_b32_e32 v5, 7, v5
	v_cmp_eq_u16_e32 vcc, 0, v6
	v_cndmask_b32_e32 v3, v3, v5, vcc
	v_cndmask_b32_e32 v5, v7, v8, vcc
	v_mov_b32_e32 v6, 0x3b800000
	v_lshlrev_b32_e32 v3, 20, v3
	v_lshl_add_u32 v5, v5, 23, v6
	v_or3_b32 v3, v4, v5, v3
.LBB8_1280:
	s_or_b64 exec, exec, s[6:7]
	s_nop 0
	v_mfma_f32_16x16x4f32 a[0:3], v2, v3, a[0:3]
	s_movk_i32 s4, 0x7f
                                        ; implicit-def: $sgpr10
	s_nop 7
	s_nop 1
	flat_store_dwordx4 v[18:19], a[0:3] offset:832
	flat_load_dwordx4 v[20:23], v[0:1] offset:16
	s_nop 0
	flat_load_dwordx2 v[18:19], v[0:1] offset:32
	s_waitcnt vmcnt(0) lgkmcnt(0)
	flat_load_dwordx4 v[14:17], v[20:21]
	flat_load_dwordx4 v[6:9], v[20:21] offset:16
	flat_load_dwordx4 v[10:13], v[22:23] offset:160
	;; [unrolled: 1-line block ×3, first 2 shown]
	s_waitcnt vmcnt(0) lgkmcnt(0)
	v_cmp_gt_i16_sdwa s[6:7], v14, s4 src0_sel:BYTE_0 src1_sel:DWORD
	s_mov_b64 s[4:5], 0
	s_and_saveexec_b64 s[8:9], s[6:7]
	s_xor_b64 s[6:7], exec, s[8:9]
	s_cbranch_execnz .LBB8_3329
; %bb.1281:
	s_or_saveexec_b64 s[6:7], s[6:7]
	v_mov_b32_e32 v20, s10
	s_xor_b64 exec, exec, s[6:7]
	s_cbranch_execnz .LBB8_3332
.LBB8_1282:
	s_or_b64 exec, exec, s[6:7]
	s_and_saveexec_b64 s[6:7], s[4:5]
	s_cbranch_execz .LBB8_1284
.LBB8_1283:
	v_and_b32_e32 v20, 7, v14
	v_ffbh_u32_e32 v22, v20
	v_min_u32_e32 v22, 32, v22
	v_lshrrev_b16_e32 v21, 3, v14
	v_subrev_u32_e32 v23, 28, v22
	v_and_b32_e32 v21, 15, v21
	v_lshlrev_b32_e32 v23, v23, v14
	v_sub_u32_e32 v22, 29, v22
	v_and_b32_e32 v23, 7, v23
	v_cmp_eq_u16_e32 vcc, 0, v21
	v_cndmask_b32_e32 v20, v20, v23, vcc
	v_cndmask_b32_e32 v21, v21, v22, vcc
	v_lshlrev_b32_e32 v22, 24, v14
	v_mov_b32_e32 v23, 0x3b800000
	v_lshlrev_b32_e32 v20, 20, v20
	v_and_b32_e32 v22, 0x80000000, v22
	v_lshl_add_u32 v21, v21, 23, v23
	v_or3_b32 v20, v22, v21, v20
.LBB8_1284:
	s_or_b64 exec, exec, s[6:7]
	s_movk_i32 s4, 0x7f
	v_cmp_gt_i16_sdwa s[6:7], v10, s4 src0_sel:BYTE_0 src1_sel:DWORD
	s_mov_b64 s[4:5], 0
                                        ; implicit-def: $sgpr10
	s_and_saveexec_b64 s[8:9], s[6:7]
	s_xor_b64 s[6:7], exec, s[8:9]
	s_cbranch_execnz .LBB8_3333
; %bb.1285:
	s_or_saveexec_b64 s[6:7], s[6:7]
	v_mov_b32_e32 v21, s10
	s_xor_b64 exec, exec, s[6:7]
	s_cbranch_execnz .LBB8_3336
.LBB8_1286:
	s_or_b64 exec, exec, s[6:7]
	s_and_saveexec_b64 s[6:7], s[4:5]
	s_cbranch_execz .LBB8_1288
.LBB8_1287:
	v_and_b32_e32 v21, 7, v10
	v_ffbh_u32_e32 v23, v21
	v_min_u32_e32 v23, 32, v23
	v_lshrrev_b16_e32 v22, 3, v10
	v_subrev_u32_e32 v24, 28, v23
	v_and_b32_e32 v22, 15, v22
	v_lshlrev_b32_e32 v24, v24, v10
	v_sub_u32_e32 v23, 29, v23
	v_and_b32_e32 v24, 7, v24
	v_cmp_eq_u16_e32 vcc, 0, v22
	v_cndmask_b32_e32 v21, v21, v24, vcc
	v_cndmask_b32_e32 v22, v22, v23, vcc
	v_lshlrev_b32_e32 v23, 24, v10
	v_mov_b32_e32 v24, 0x3b800000
	v_lshlrev_b32_e32 v21, 20, v21
	v_and_b32_e32 v23, 0x80000000, v23
	v_lshl_add_u32 v22, v22, 23, v24
	v_or3_b32 v21, v23, v22, v21
.LBB8_1288:
	s_or_b64 exec, exec, s[6:7]
	flat_load_dwordx4 a[0:3], v[18:19] offset:848
	s_movk_i32 s4, 0x7f
                                        ; implicit-def: $sgpr10
	s_waitcnt vmcnt(0) lgkmcnt(0)
	v_mfma_f32_16x16x4f32 a[0:3], v20, v21, a[0:3]
	v_lshrrev_b32_e32 v21, 8, v14
	v_cmp_gt_i16_sdwa s[6:7], v21, s4 src0_sel:BYTE_0 src1_sel:DWORD
	s_mov_b64 s[4:5], 0
	s_and_saveexec_b64 s[8:9], s[6:7]
	s_xor_b64 s[6:7], exec, s[8:9]
	s_cbranch_execnz .LBB8_3337
; %bb.1289:
	s_or_saveexec_b64 s[6:7], s[6:7]
	v_mov_b32_e32 v20, s10
	s_xor_b64 exec, exec, s[6:7]
	s_cbranch_execnz .LBB8_3340
.LBB8_1290:
	s_or_b64 exec, exec, s[6:7]
	s_and_saveexec_b64 s[6:7], s[4:5]
	s_cbranch_execz .LBB8_1292
.LBB8_1291:
	v_bfe_u32 v20, v14, 8, 3
	v_ffbh_u32_e32 v23, v20
	v_min_u32_e32 v23, 32, v23
	v_lshrrev_b16_e32 v22, 3, v21
	v_subrev_u32_e32 v24, 28, v23
	v_and_b32_e32 v22, 15, v22
	v_lshlrev_b32_e32 v21, v24, v21
	v_sub_u32_e32 v23, 29, v23
	v_and_b32_e32 v21, 7, v21
	v_cmp_eq_u16_e32 vcc, 0, v22
	v_cndmask_b32_e32 v20, v20, v21, vcc
	v_cndmask_b32_e32 v21, v22, v23, vcc
	v_lshlrev_b32_e32 v22, 16, v14
	v_mov_b32_e32 v23, 0x3b800000
	v_lshlrev_b32_e32 v20, 20, v20
	v_and_b32_e32 v22, 0x80000000, v22
	v_lshl_add_u32 v21, v21, 23, v23
	v_or3_b32 v20, v22, v21, v20
.LBB8_1292:
	s_or_b64 exec, exec, s[6:7]
	v_lshrrev_b32_e32 v21, 8, v10
	s_movk_i32 s4, 0x7f
	v_cmp_gt_i16_sdwa s[6:7], v21, s4 src0_sel:BYTE_0 src1_sel:DWORD
	s_mov_b64 s[4:5], 0
                                        ; implicit-def: $sgpr10
	s_and_saveexec_b64 s[8:9], s[6:7]
	s_xor_b64 s[6:7], exec, s[8:9]
	s_cbranch_execnz .LBB8_3341
; %bb.1293:
	s_or_saveexec_b64 s[6:7], s[6:7]
	v_mov_b32_e32 v22, s10
	s_xor_b64 exec, exec, s[6:7]
	s_cbranch_execnz .LBB8_3344
.LBB8_1294:
	s_or_b64 exec, exec, s[6:7]
	s_and_saveexec_b64 s[6:7], s[4:5]
	s_cbranch_execz .LBB8_1296
.LBB8_1295:
	v_bfe_u32 v22, v10, 8, 3
	v_ffbh_u32_e32 v24, v22
	v_min_u32_e32 v24, 32, v24
	v_lshrrev_b16_e32 v23, 3, v21
	v_subrev_u32_e32 v25, 28, v24
	v_and_b32_e32 v23, 15, v23
	v_lshlrev_b32_e32 v21, v25, v21
	v_sub_u32_e32 v24, 29, v24
	v_and_b32_e32 v21, 7, v21
	v_cmp_eq_u16_e32 vcc, 0, v23
	v_cndmask_b32_e32 v21, v22, v21, vcc
	v_cndmask_b32_e32 v22, v23, v24, vcc
	v_lshlrev_b32_e32 v23, 16, v10
	v_mov_b32_e32 v24, 0x3b800000
	v_lshlrev_b32_e32 v21, 20, v21
	v_and_b32_e32 v23, 0x80000000, v23
	v_lshl_add_u32 v22, v22, 23, v24
	v_or3_b32 v22, v23, v22, v21
.LBB8_1296:
	s_or_b64 exec, exec, s[6:7]
	s_nop 0
	v_mfma_f32_16x16x4f32 a[0:3], v20, v22, a[0:3]
	s_movk_i32 s4, 0xff
	v_and_b32_sdwa v21, v14, s4 dst_sel:DWORD dst_unused:UNUSED_PAD src0_sel:WORD_1 src1_sel:DWORD
	s_movk_i32 s4, 0x7f
	v_cmp_lt_i16_e32 vcc, s4, v21
	s_mov_b64 s[4:5], 0
                                        ; implicit-def: $sgpr10
	s_and_saveexec_b64 s[6:7], vcc
	s_xor_b64 s[6:7], exec, s[6:7]
	s_cbranch_execnz .LBB8_3345
; %bb.1297:
	s_or_saveexec_b64 s[6:7], s[6:7]
	v_mov_b32_e32 v20, s10
	s_xor_b64 exec, exec, s[6:7]
	s_cbranch_execnz .LBB8_3348
.LBB8_1298:
	s_or_b64 exec, exec, s[6:7]
	s_and_saveexec_b64 s[6:7], s[4:5]
	s_cbranch_execz .LBB8_1300
.LBB8_1299:
	v_bfe_u32 v20, v14, 16, 3
	v_ffbh_u32_e32 v23, v20
	v_min_u32_e32 v23, 32, v23
	v_lshrrev_b32_e32 v21, 19, v14
	v_subrev_u32_e32 v24, 28, v23
	v_and_b32_e32 v21, 15, v21
	v_lshlrev_b32_sdwa v24, v24, v14 dst_sel:DWORD dst_unused:UNUSED_PAD src0_sel:DWORD src1_sel:WORD_1
	v_bfe_u32 v22, v14, 19, 4
	v_sub_u32_e32 v23, 29, v23
	v_and_b32_e32 v24, 7, v24
	v_cmp_eq_u16_e32 vcc, 0, v21
	v_cndmask_b32_e32 v20, v20, v24, vcc
	v_cndmask_b32_e32 v21, v22, v23, vcc
	v_lshlrev_b32_e32 v22, 8, v14
	v_mov_b32_e32 v23, 0x3b800000
	v_lshlrev_b32_e32 v20, 20, v20
	v_and_b32_e32 v22, 0x80000000, v22
	v_lshl_add_u32 v21, v21, 23, v23
	v_or3_b32 v20, v22, v21, v20
.LBB8_1300:
	s_or_b64 exec, exec, s[6:7]
	s_movk_i32 s4, 0xff
	v_and_b32_sdwa v21, v10, s4 dst_sel:DWORD dst_unused:UNUSED_PAD src0_sel:WORD_1 src1_sel:DWORD
	s_movk_i32 s4, 0x7f
	v_cmp_lt_i16_e32 vcc, s4, v21
	s_mov_b64 s[4:5], 0
                                        ; implicit-def: $sgpr10
	s_and_saveexec_b64 s[6:7], vcc
	s_xor_b64 s[6:7], exec, s[6:7]
	s_cbranch_execnz .LBB8_3349
; %bb.1301:
	s_or_saveexec_b64 s[6:7], s[6:7]
	v_mov_b32_e32 v22, s10
	s_xor_b64 exec, exec, s[6:7]
	s_cbranch_execnz .LBB8_3352
.LBB8_1302:
	s_or_b64 exec, exec, s[6:7]
	s_and_saveexec_b64 s[6:7], s[4:5]
	s_cbranch_execz .LBB8_1304
.LBB8_1303:
	v_bfe_u32 v21, v10, 16, 3
	v_ffbh_u32_e32 v24, v21
	v_min_u32_e32 v24, 32, v24
	v_lshrrev_b32_e32 v22, 19, v10
	v_subrev_u32_e32 v25, 28, v24
	v_and_b32_e32 v22, 15, v22
	v_lshlrev_b32_sdwa v25, v25, v10 dst_sel:DWORD dst_unused:UNUSED_PAD src0_sel:DWORD src1_sel:WORD_1
	v_bfe_u32 v23, v10, 19, 4
	v_sub_u32_e32 v24, 29, v24
	v_and_b32_e32 v25, 7, v25
	v_cmp_eq_u16_e32 vcc, 0, v22
	v_cndmask_b32_e32 v21, v21, v25, vcc
	v_cndmask_b32_e32 v22, v23, v24, vcc
	v_lshlrev_b32_e32 v23, 8, v10
	v_mov_b32_e32 v24, 0x3b800000
	v_lshlrev_b32_e32 v21, 20, v21
	v_and_b32_e32 v23, 0x80000000, v23
	v_lshl_add_u32 v22, v22, 23, v24
	v_or3_b32 v22, v23, v22, v21
.LBB8_1304:
	s_or_b64 exec, exec, s[6:7]
	s_nop 0
	v_mfma_f32_16x16x4f32 a[0:3], v20, v22, a[0:3]
	s_movk_i32 s4, 0x7f
	v_cmp_gt_i16_sdwa s[6:7], v14, s4 src0_sel:BYTE_3 src1_sel:DWORD
	s_mov_b64 s[4:5], 0
                                        ; implicit-def: $sgpr10
	s_and_saveexec_b64 s[8:9], s[6:7]
	s_xor_b64 s[6:7], exec, s[8:9]
	s_cbranch_execnz .LBB8_3353
; %bb.1305:
	s_or_saveexec_b64 s[6:7], s[6:7]
	v_mov_b32_e32 v20, s10
	s_xor_b64 exec, exec, s[6:7]
	s_cbranch_execnz .LBB8_3356
.LBB8_1306:
	s_or_b64 exec, exec, s[6:7]
	s_and_saveexec_b64 s[6:7], s[4:5]
	s_cbranch_execz .LBB8_1308
.LBB8_1307:
	v_bfe_u32 v20, v14, 24, 3
	v_ffbh_u32_e32 v24, v20
	v_min_u32_e32 v24, 32, v24
	v_lshrrev_b32_e32 v22, 27, v14
	v_subrev_u32_e32 v25, 28, v24
	v_and_b32_e32 v21, 0x80000000, v14
	v_and_b32_e32 v22, 15, v22
	v_bfe_u32 v23, v14, 27, 4
	v_lshlrev_b32_sdwa v14, v25, v14 dst_sel:DWORD dst_unused:UNUSED_PAD src0_sel:DWORD src1_sel:BYTE_3
	v_sub_u32_e32 v24, 29, v24
	v_and_b32_e32 v14, 7, v14
	v_cmp_eq_u16_e32 vcc, 0, v22
	v_cndmask_b32_e32 v14, v20, v14, vcc
	v_cndmask_b32_e32 v20, v23, v24, vcc
	v_mov_b32_e32 v22, 0x3b800000
	v_lshlrev_b32_e32 v14, 20, v14
	v_lshl_add_u32 v20, v20, 23, v22
	v_or3_b32 v20, v21, v20, v14
.LBB8_1308:
	s_or_b64 exec, exec, s[6:7]
	s_movk_i32 s4, 0x7f
	v_cmp_gt_i16_sdwa s[6:7], v10, s4 src0_sel:BYTE_3 src1_sel:DWORD
	s_mov_b64 s[4:5], 0
                                        ; implicit-def: $sgpr10
	s_and_saveexec_b64 s[8:9], s[6:7]
	s_xor_b64 s[6:7], exec, s[8:9]
	s_cbranch_execnz .LBB8_3357
; %bb.1309:
	s_or_saveexec_b64 s[6:7], s[6:7]
	v_mov_b32_e32 v14, s10
	s_xor_b64 exec, exec, s[6:7]
	s_cbranch_execnz .LBB8_3360
.LBB8_1310:
	s_or_b64 exec, exec, s[6:7]
	s_and_saveexec_b64 s[6:7], s[4:5]
	s_cbranch_execz .LBB8_1312
.LBB8_1311:
	v_bfe_u32 v14, v10, 24, 3
	v_ffbh_u32_e32 v24, v14
	v_min_u32_e32 v24, 32, v24
	v_lshrrev_b32_e32 v22, 27, v10
	v_subrev_u32_e32 v25, 28, v24
	v_and_b32_e32 v21, 0x80000000, v10
	v_and_b32_e32 v22, 15, v22
	v_bfe_u32 v23, v10, 27, 4
	v_lshlrev_b32_sdwa v10, v25, v10 dst_sel:DWORD dst_unused:UNUSED_PAD src0_sel:DWORD src1_sel:BYTE_3
	v_sub_u32_e32 v24, 29, v24
	v_and_b32_e32 v10, 7, v10
	v_cmp_eq_u16_e32 vcc, 0, v22
	v_cndmask_b32_e32 v10, v14, v10, vcc
	v_cndmask_b32_e32 v14, v23, v24, vcc
	v_mov_b32_e32 v22, 0x3b800000
	v_lshlrev_b32_e32 v10, 20, v10
	v_lshl_add_u32 v14, v14, 23, v22
	v_or3_b32 v14, v21, v14, v10
.LBB8_1312:
	s_or_b64 exec, exec, s[6:7]
	s_nop 0
	v_mfma_f32_16x16x4f32 a[0:3], v20, v14, a[0:3]
	s_movk_i32 s4, 0x7f
	v_cmp_gt_i16_sdwa s[6:7], v15, s4 src0_sel:BYTE_0 src1_sel:DWORD
	s_mov_b64 s[4:5], 0
                                        ; implicit-def: $sgpr10
	s_and_saveexec_b64 s[8:9], s[6:7]
	s_xor_b64 s[6:7], exec, s[8:9]
	s_cbranch_execnz .LBB8_3361
; %bb.1313:
	s_or_saveexec_b64 s[6:7], s[6:7]
	v_mov_b32_e32 v10, s10
	s_xor_b64 exec, exec, s[6:7]
	s_cbranch_execnz .LBB8_3364
.LBB8_1314:
	s_or_b64 exec, exec, s[6:7]
	s_and_saveexec_b64 s[6:7], s[4:5]
	s_cbranch_execz .LBB8_1316
.LBB8_1315:
	v_and_b32_e32 v10, 7, v15
	v_ffbh_u32_e32 v20, v10
	v_min_u32_e32 v20, 32, v20
	v_lshrrev_b16_e32 v14, 3, v15
	v_subrev_u32_e32 v21, 28, v20
	v_and_b32_e32 v14, 15, v14
	v_lshlrev_b32_e32 v21, v21, v15
	v_sub_u32_e32 v20, 29, v20
	v_and_b32_e32 v21, 7, v21
	v_cmp_eq_u16_e32 vcc, 0, v14
	v_cndmask_b32_e32 v10, v10, v21, vcc
	v_cndmask_b32_e32 v14, v14, v20, vcc
	v_lshlrev_b32_e32 v20, 24, v15
	v_mov_b32_e32 v21, 0x3b800000
	v_lshlrev_b32_e32 v10, 20, v10
	v_and_b32_e32 v20, 0x80000000, v20
	v_lshl_add_u32 v14, v14, 23, v21
	v_or3_b32 v10, v20, v14, v10
.LBB8_1316:
	s_or_b64 exec, exec, s[6:7]
	s_movk_i32 s4, 0x7f
	v_cmp_gt_i16_sdwa s[6:7], v11, s4 src0_sel:BYTE_0 src1_sel:DWORD
	s_mov_b64 s[4:5], 0
                                        ; implicit-def: $sgpr10
	s_and_saveexec_b64 s[8:9], s[6:7]
	s_xor_b64 s[6:7], exec, s[8:9]
	s_cbranch_execnz .LBB8_3365
; %bb.1317:
	s_or_saveexec_b64 s[6:7], s[6:7]
	v_mov_b32_e32 v14, s10
	s_xor_b64 exec, exec, s[6:7]
	s_cbranch_execnz .LBB8_3368
.LBB8_1318:
	s_or_b64 exec, exec, s[6:7]
	s_and_saveexec_b64 s[6:7], s[4:5]
	s_cbranch_execz .LBB8_1320
.LBB8_1319:
	v_and_b32_e32 v14, 7, v11
	v_ffbh_u32_e32 v21, v14
	v_min_u32_e32 v21, 32, v21
	v_lshrrev_b16_e32 v20, 3, v11
	v_subrev_u32_e32 v22, 28, v21
	v_and_b32_e32 v20, 15, v20
	v_lshlrev_b32_e32 v22, v22, v11
	v_sub_u32_e32 v21, 29, v21
	v_and_b32_e32 v22, 7, v22
	v_cmp_eq_u16_e32 vcc, 0, v20
	v_cndmask_b32_e32 v14, v14, v22, vcc
	v_cndmask_b32_e32 v20, v20, v21, vcc
	v_lshlrev_b32_e32 v21, 24, v11
	v_mov_b32_e32 v22, 0x3b800000
	v_lshlrev_b32_e32 v14, 20, v14
	v_and_b32_e32 v21, 0x80000000, v21
	v_lshl_add_u32 v20, v20, 23, v22
	v_or3_b32 v14, v21, v20, v14
.LBB8_1320:
	s_or_b64 exec, exec, s[6:7]
	s_nop 0
	v_mfma_f32_16x16x4f32 a[0:3], v10, v14, a[0:3]
	v_lshrrev_b32_e32 v14, 8, v15
	s_movk_i32 s4, 0x7f
	v_cmp_gt_i16_sdwa s[6:7], v14, s4 src0_sel:BYTE_0 src1_sel:DWORD
	s_mov_b64 s[4:5], 0
                                        ; implicit-def: $sgpr10
	s_and_saveexec_b64 s[8:9], s[6:7]
	s_xor_b64 s[6:7], exec, s[8:9]
	s_cbranch_execnz .LBB8_3369
; %bb.1321:
	s_or_saveexec_b64 s[6:7], s[6:7]
	v_mov_b32_e32 v10, s10
	s_xor_b64 exec, exec, s[6:7]
	s_cbranch_execnz .LBB8_3372
.LBB8_1322:
	s_or_b64 exec, exec, s[6:7]
	s_and_saveexec_b64 s[6:7], s[4:5]
	s_cbranch_execz .LBB8_1324
.LBB8_1323:
	v_bfe_u32 v10, v15, 8, 3
	v_ffbh_u32_e32 v21, v10
	v_min_u32_e32 v21, 32, v21
	v_lshrrev_b16_e32 v20, 3, v14
	v_subrev_u32_e32 v22, 28, v21
	v_and_b32_e32 v20, 15, v20
	v_lshlrev_b32_e32 v14, v22, v14
	v_sub_u32_e32 v21, 29, v21
	v_and_b32_e32 v14, 7, v14
	v_cmp_eq_u16_e32 vcc, 0, v20
	v_cndmask_b32_e32 v10, v10, v14, vcc
	v_cndmask_b32_e32 v14, v20, v21, vcc
	v_lshlrev_b32_e32 v20, 16, v15
	v_mov_b32_e32 v21, 0x3b800000
	v_lshlrev_b32_e32 v10, 20, v10
	v_and_b32_e32 v20, 0x80000000, v20
	v_lshl_add_u32 v14, v14, 23, v21
	v_or3_b32 v10, v20, v14, v10
.LBB8_1324:
	s_or_b64 exec, exec, s[6:7]
	v_lshrrev_b32_e32 v14, 8, v11
	s_movk_i32 s4, 0x7f
	v_cmp_gt_i16_sdwa s[6:7], v14, s4 src0_sel:BYTE_0 src1_sel:DWORD
	s_mov_b64 s[4:5], 0
                                        ; implicit-def: $sgpr10
	s_and_saveexec_b64 s[8:9], s[6:7]
	s_xor_b64 s[6:7], exec, s[8:9]
	s_cbranch_execnz .LBB8_3373
; %bb.1325:
	s_or_saveexec_b64 s[6:7], s[6:7]
	v_mov_b32_e32 v20, s10
	s_xor_b64 exec, exec, s[6:7]
	s_cbranch_execnz .LBB8_3376
.LBB8_1326:
	s_or_b64 exec, exec, s[6:7]
	s_and_saveexec_b64 s[6:7], s[4:5]
	s_cbranch_execz .LBB8_1328
.LBB8_1327:
	v_bfe_u32 v20, v11, 8, 3
	v_ffbh_u32_e32 v22, v20
	v_min_u32_e32 v22, 32, v22
	v_lshrrev_b16_e32 v21, 3, v14
	v_subrev_u32_e32 v23, 28, v22
	v_and_b32_e32 v21, 15, v21
	v_lshlrev_b32_e32 v14, v23, v14
	v_sub_u32_e32 v22, 29, v22
	v_and_b32_e32 v14, 7, v14
	v_cmp_eq_u16_e32 vcc, 0, v21
	v_cndmask_b32_e32 v14, v20, v14, vcc
	v_cndmask_b32_e32 v20, v21, v22, vcc
	v_lshlrev_b32_e32 v21, 16, v11
	v_mov_b32_e32 v22, 0x3b800000
	v_lshlrev_b32_e32 v14, 20, v14
	v_and_b32_e32 v21, 0x80000000, v21
	v_lshl_add_u32 v20, v20, 23, v22
	v_or3_b32 v20, v21, v20, v14
.LBB8_1328:
	s_or_b64 exec, exec, s[6:7]
	s_nop 0
	v_mfma_f32_16x16x4f32 a[0:3], v10, v20, a[0:3]
	s_movk_i32 s4, 0xff
	v_and_b32_sdwa v14, v15, s4 dst_sel:DWORD dst_unused:UNUSED_PAD src0_sel:WORD_1 src1_sel:DWORD
	s_movk_i32 s4, 0x7f
	v_cmp_lt_i16_e32 vcc, s4, v14
	s_mov_b64 s[4:5], 0
                                        ; implicit-def: $sgpr10
	s_and_saveexec_b64 s[6:7], vcc
	s_xor_b64 s[6:7], exec, s[6:7]
	s_cbranch_execnz .LBB8_3377
; %bb.1329:
	s_or_saveexec_b64 s[6:7], s[6:7]
	v_mov_b32_e32 v10, s10
	s_xor_b64 exec, exec, s[6:7]
	s_cbranch_execnz .LBB8_3380
.LBB8_1330:
	s_or_b64 exec, exec, s[6:7]
	s_and_saveexec_b64 s[6:7], s[4:5]
	s_cbranch_execz .LBB8_1332
.LBB8_1331:
	v_bfe_u32 v10, v15, 16, 3
	v_ffbh_u32_e32 v21, v10
	v_min_u32_e32 v21, 32, v21
	v_lshrrev_b32_e32 v14, 19, v15
	v_subrev_u32_e32 v22, 28, v21
	v_and_b32_e32 v14, 15, v14
	v_lshlrev_b32_sdwa v22, v22, v15 dst_sel:DWORD dst_unused:UNUSED_PAD src0_sel:DWORD src1_sel:WORD_1
	v_bfe_u32 v20, v15, 19, 4
	v_sub_u32_e32 v21, 29, v21
	v_and_b32_e32 v22, 7, v22
	v_cmp_eq_u16_e32 vcc, 0, v14
	v_cndmask_b32_e32 v10, v10, v22, vcc
	v_cndmask_b32_e32 v14, v20, v21, vcc
	v_lshlrev_b32_e32 v20, 8, v15
	v_mov_b32_e32 v21, 0x3b800000
	v_lshlrev_b32_e32 v10, 20, v10
	v_and_b32_e32 v20, 0x80000000, v20
	v_lshl_add_u32 v14, v14, 23, v21
	v_or3_b32 v10, v20, v14, v10
.LBB8_1332:
	s_or_b64 exec, exec, s[6:7]
	s_movk_i32 s4, 0xff
	v_and_b32_sdwa v14, v11, s4 dst_sel:DWORD dst_unused:UNUSED_PAD src0_sel:WORD_1 src1_sel:DWORD
	s_movk_i32 s4, 0x7f
	v_cmp_lt_i16_e32 vcc, s4, v14
	s_mov_b64 s[4:5], 0
                                        ; implicit-def: $sgpr10
	s_and_saveexec_b64 s[6:7], vcc
	s_xor_b64 s[6:7], exec, s[6:7]
	s_cbranch_execnz .LBB8_3381
; %bb.1333:
	s_or_saveexec_b64 s[6:7], s[6:7]
	v_mov_b32_e32 v20, s10
	s_xor_b64 exec, exec, s[6:7]
	s_cbranch_execnz .LBB8_3384
.LBB8_1334:
	s_or_b64 exec, exec, s[6:7]
	s_and_saveexec_b64 s[6:7], s[4:5]
	s_cbranch_execz .LBB8_1336
.LBB8_1335:
	v_bfe_u32 v14, v11, 16, 3
	v_ffbh_u32_e32 v22, v14
	v_min_u32_e32 v22, 32, v22
	v_lshrrev_b32_e32 v20, 19, v11
	v_subrev_u32_e32 v23, 28, v22
	v_and_b32_e32 v20, 15, v20
	v_lshlrev_b32_sdwa v23, v23, v11 dst_sel:DWORD dst_unused:UNUSED_PAD src0_sel:DWORD src1_sel:WORD_1
	v_bfe_u32 v21, v11, 19, 4
	v_sub_u32_e32 v22, 29, v22
	v_and_b32_e32 v23, 7, v23
	v_cmp_eq_u16_e32 vcc, 0, v20
	v_cndmask_b32_e32 v14, v14, v23, vcc
	v_cndmask_b32_e32 v20, v21, v22, vcc
	v_lshlrev_b32_e32 v21, 8, v11
	v_mov_b32_e32 v22, 0x3b800000
	v_lshlrev_b32_e32 v14, 20, v14
	v_and_b32_e32 v21, 0x80000000, v21
	v_lshl_add_u32 v20, v20, 23, v22
	v_or3_b32 v20, v21, v20, v14
.LBB8_1336:
	s_or_b64 exec, exec, s[6:7]
	s_nop 0
	v_mfma_f32_16x16x4f32 a[0:3], v10, v20, a[0:3]
	s_movk_i32 s4, 0x7f
	v_cmp_gt_i16_sdwa s[6:7], v15, s4 src0_sel:BYTE_3 src1_sel:DWORD
	s_mov_b64 s[4:5], 0
                                        ; implicit-def: $sgpr10
	s_and_saveexec_b64 s[8:9], s[6:7]
	s_xor_b64 s[6:7], exec, s[8:9]
	s_cbranch_execnz .LBB8_3385
; %bb.1337:
	s_or_saveexec_b64 s[6:7], s[6:7]
	v_mov_b32_e32 v10, s10
	s_xor_b64 exec, exec, s[6:7]
	s_cbranch_execnz .LBB8_3388
.LBB8_1338:
	s_or_b64 exec, exec, s[6:7]
	s_and_saveexec_b64 s[6:7], s[4:5]
	s_cbranch_execz .LBB8_1340
.LBB8_1339:
	v_bfe_u32 v10, v15, 24, 3
	v_ffbh_u32_e32 v22, v10
	v_min_u32_e32 v22, 32, v22
	v_lshrrev_b32_e32 v20, 27, v15
	v_subrev_u32_e32 v23, 28, v22
	v_and_b32_e32 v14, 0x80000000, v15
	v_and_b32_e32 v20, 15, v20
	v_bfe_u32 v21, v15, 27, 4
	v_lshlrev_b32_sdwa v15, v23, v15 dst_sel:DWORD dst_unused:UNUSED_PAD src0_sel:DWORD src1_sel:BYTE_3
	v_sub_u32_e32 v22, 29, v22
	v_and_b32_e32 v15, 7, v15
	v_cmp_eq_u16_e32 vcc, 0, v20
	v_cndmask_b32_e32 v10, v10, v15, vcc
	v_cndmask_b32_e32 v15, v21, v22, vcc
	v_mov_b32_e32 v20, 0x3b800000
	v_lshlrev_b32_e32 v10, 20, v10
	v_lshl_add_u32 v15, v15, 23, v20
	v_or3_b32 v10, v14, v15, v10
.LBB8_1340:
	s_or_b64 exec, exec, s[6:7]
	s_movk_i32 s4, 0x7f
	v_cmp_gt_i16_sdwa s[6:7], v11, s4 src0_sel:BYTE_3 src1_sel:DWORD
	s_mov_b64 s[4:5], 0
                                        ; implicit-def: $sgpr10
	s_and_saveexec_b64 s[8:9], s[6:7]
	s_xor_b64 s[6:7], exec, s[8:9]
	s_cbranch_execnz .LBB8_3389
; %bb.1341:
	s_or_saveexec_b64 s[6:7], s[6:7]
	v_mov_b32_e32 v14, s10
	s_xor_b64 exec, exec, s[6:7]
	s_cbranch_execnz .LBB8_3392
.LBB8_1342:
	s_or_b64 exec, exec, s[6:7]
	s_and_saveexec_b64 s[6:7], s[4:5]
	s_cbranch_execz .LBB8_1344
.LBB8_1343:
	v_bfe_u32 v14, v11, 24, 3
	v_ffbh_u32_e32 v22, v14
	v_min_u32_e32 v22, 32, v22
	v_lshrrev_b32_e32 v20, 27, v11
	v_subrev_u32_e32 v23, 28, v22
	v_and_b32_e32 v15, 0x80000000, v11
	v_and_b32_e32 v20, 15, v20
	v_bfe_u32 v21, v11, 27, 4
	v_lshlrev_b32_sdwa v11, v23, v11 dst_sel:DWORD dst_unused:UNUSED_PAD src0_sel:DWORD src1_sel:BYTE_3
	v_sub_u32_e32 v22, 29, v22
	v_and_b32_e32 v11, 7, v11
	v_cmp_eq_u16_e32 vcc, 0, v20
	v_cndmask_b32_e32 v11, v14, v11, vcc
	v_cndmask_b32_e32 v14, v21, v22, vcc
	v_mov_b32_e32 v20, 0x3b800000
	v_lshlrev_b32_e32 v11, 20, v11
	v_lshl_add_u32 v14, v14, 23, v20
	v_or3_b32 v14, v15, v14, v11
.LBB8_1344:
	s_or_b64 exec, exec, s[6:7]
	s_nop 0
	v_mfma_f32_16x16x4f32 a[0:3], v10, v14, a[0:3]
	s_movk_i32 s4, 0x7f
	v_cmp_gt_i16_sdwa s[6:7], v16, s4 src0_sel:BYTE_0 src1_sel:DWORD
	s_mov_b64 s[4:5], 0
                                        ; implicit-def: $sgpr10
	s_and_saveexec_b64 s[8:9], s[6:7]
	s_xor_b64 s[6:7], exec, s[8:9]
	s_cbranch_execnz .LBB8_3393
; %bb.1345:
	s_or_saveexec_b64 s[6:7], s[6:7]
	v_mov_b32_e32 v10, s10
	s_xor_b64 exec, exec, s[6:7]
	s_cbranch_execnz .LBB8_3396
.LBB8_1346:
	s_or_b64 exec, exec, s[6:7]
	s_and_saveexec_b64 s[6:7], s[4:5]
	s_cbranch_execz .LBB8_1348
.LBB8_1347:
	v_and_b32_e32 v10, 7, v16
	v_ffbh_u32_e32 v14, v10
	v_min_u32_e32 v14, 32, v14
	v_lshrrev_b16_e32 v11, 3, v16
	v_subrev_u32_e32 v15, 28, v14
	v_and_b32_e32 v11, 15, v11
	v_lshlrev_b32_e32 v15, v15, v16
	v_sub_u32_e32 v14, 29, v14
	v_and_b32_e32 v15, 7, v15
	v_cmp_eq_u16_e32 vcc, 0, v11
	v_cndmask_b32_e32 v10, v10, v15, vcc
	v_cndmask_b32_e32 v11, v11, v14, vcc
	v_lshlrev_b32_e32 v14, 24, v16
	v_mov_b32_e32 v15, 0x3b800000
	v_lshlrev_b32_e32 v10, 20, v10
	v_and_b32_e32 v14, 0x80000000, v14
	v_lshl_add_u32 v11, v11, 23, v15
	v_or3_b32 v10, v14, v11, v10
.LBB8_1348:
	s_or_b64 exec, exec, s[6:7]
	s_movk_i32 s4, 0x7f
	v_cmp_gt_i16_sdwa s[6:7], v12, s4 src0_sel:BYTE_0 src1_sel:DWORD
	s_mov_b64 s[4:5], 0
                                        ; implicit-def: $sgpr10
	s_and_saveexec_b64 s[8:9], s[6:7]
	s_xor_b64 s[6:7], exec, s[8:9]
	s_cbranch_execnz .LBB8_3397
; %bb.1349:
	s_or_saveexec_b64 s[6:7], s[6:7]
	v_mov_b32_e32 v11, s10
	s_xor_b64 exec, exec, s[6:7]
	s_cbranch_execnz .LBB8_3400
.LBB8_1350:
	s_or_b64 exec, exec, s[6:7]
	s_and_saveexec_b64 s[6:7], s[4:5]
	s_cbranch_execz .LBB8_1352
.LBB8_1351:
	v_and_b32_e32 v11, 7, v12
	v_ffbh_u32_e32 v15, v11
	v_min_u32_e32 v15, 32, v15
	v_lshrrev_b16_e32 v14, 3, v12
	v_subrev_u32_e32 v20, 28, v15
	v_and_b32_e32 v14, 15, v14
	v_lshlrev_b32_e32 v20, v20, v12
	v_sub_u32_e32 v15, 29, v15
	v_and_b32_e32 v20, 7, v20
	v_cmp_eq_u16_e32 vcc, 0, v14
	v_cndmask_b32_e32 v11, v11, v20, vcc
	v_cndmask_b32_e32 v14, v14, v15, vcc
	v_lshlrev_b32_e32 v15, 24, v12
	v_mov_b32_e32 v20, 0x3b800000
	v_lshlrev_b32_e32 v11, 20, v11
	v_and_b32_e32 v15, 0x80000000, v15
	v_lshl_add_u32 v14, v14, 23, v20
	v_or3_b32 v11, v15, v14, v11
.LBB8_1352:
	s_or_b64 exec, exec, s[6:7]
	s_nop 0
	v_mfma_f32_16x16x4f32 a[0:3], v10, v11, a[0:3]
	v_lshrrev_b32_e32 v11, 8, v16
	s_movk_i32 s4, 0x7f
	v_cmp_gt_i16_sdwa s[6:7], v11, s4 src0_sel:BYTE_0 src1_sel:DWORD
	s_mov_b64 s[4:5], 0
                                        ; implicit-def: $sgpr10
	s_and_saveexec_b64 s[8:9], s[6:7]
	s_xor_b64 s[6:7], exec, s[8:9]
	s_cbranch_execnz .LBB8_3401
; %bb.1353:
	s_or_saveexec_b64 s[6:7], s[6:7]
	v_mov_b32_e32 v10, s10
	s_xor_b64 exec, exec, s[6:7]
	s_cbranch_execnz .LBB8_3404
.LBB8_1354:
	s_or_b64 exec, exec, s[6:7]
	s_and_saveexec_b64 s[6:7], s[4:5]
	s_cbranch_execz .LBB8_1356
.LBB8_1355:
	v_bfe_u32 v10, v16, 8, 3
	v_ffbh_u32_e32 v15, v10
	v_min_u32_e32 v15, 32, v15
	v_lshrrev_b16_e32 v14, 3, v11
	v_subrev_u32_e32 v20, 28, v15
	v_and_b32_e32 v14, 15, v14
	v_lshlrev_b32_e32 v11, v20, v11
	v_sub_u32_e32 v15, 29, v15
	v_and_b32_e32 v11, 7, v11
	v_cmp_eq_u16_e32 vcc, 0, v14
	v_cndmask_b32_e32 v10, v10, v11, vcc
	v_cndmask_b32_e32 v11, v14, v15, vcc
	v_lshlrev_b32_e32 v14, 16, v16
	v_mov_b32_e32 v15, 0x3b800000
	v_lshlrev_b32_e32 v10, 20, v10
	v_and_b32_e32 v14, 0x80000000, v14
	v_lshl_add_u32 v11, v11, 23, v15
	v_or3_b32 v10, v14, v11, v10
.LBB8_1356:
	s_or_b64 exec, exec, s[6:7]
	v_lshrrev_b32_e32 v11, 8, v12
	s_movk_i32 s4, 0x7f
	v_cmp_gt_i16_sdwa s[6:7], v11, s4 src0_sel:BYTE_0 src1_sel:DWORD
	s_mov_b64 s[4:5], 0
                                        ; implicit-def: $sgpr10
	s_and_saveexec_b64 s[8:9], s[6:7]
	s_xor_b64 s[6:7], exec, s[8:9]
	s_cbranch_execnz .LBB8_3405
; %bb.1357:
	s_or_saveexec_b64 s[6:7], s[6:7]
	v_mov_b32_e32 v14, s10
	s_xor_b64 exec, exec, s[6:7]
	s_cbranch_execnz .LBB8_3408
.LBB8_1358:
	s_or_b64 exec, exec, s[6:7]
	s_and_saveexec_b64 s[6:7], s[4:5]
	s_cbranch_execz .LBB8_1360
.LBB8_1359:
	v_bfe_u32 v14, v12, 8, 3
	v_ffbh_u32_e32 v20, v14
	v_min_u32_e32 v20, 32, v20
	v_lshrrev_b16_e32 v15, 3, v11
	v_subrev_u32_e32 v21, 28, v20
	v_and_b32_e32 v15, 15, v15
	v_lshlrev_b32_e32 v11, v21, v11
	v_sub_u32_e32 v20, 29, v20
	v_and_b32_e32 v11, 7, v11
	v_cmp_eq_u16_e32 vcc, 0, v15
	v_cndmask_b32_e32 v11, v14, v11, vcc
	v_cndmask_b32_e32 v14, v15, v20, vcc
	v_lshlrev_b32_e32 v15, 16, v12
	v_mov_b32_e32 v20, 0x3b800000
	v_lshlrev_b32_e32 v11, 20, v11
	v_and_b32_e32 v15, 0x80000000, v15
	v_lshl_add_u32 v14, v14, 23, v20
	v_or3_b32 v14, v15, v14, v11
.LBB8_1360:
	s_or_b64 exec, exec, s[6:7]
	s_nop 0
	v_mfma_f32_16x16x4f32 a[0:3], v10, v14, a[0:3]
	s_movk_i32 s4, 0xff
	v_and_b32_sdwa v11, v16, s4 dst_sel:DWORD dst_unused:UNUSED_PAD src0_sel:WORD_1 src1_sel:DWORD
	s_movk_i32 s4, 0x7f
	v_cmp_lt_i16_e32 vcc, s4, v11
	s_mov_b64 s[4:5], 0
                                        ; implicit-def: $sgpr10
	s_and_saveexec_b64 s[6:7], vcc
	s_xor_b64 s[6:7], exec, s[6:7]
	s_cbranch_execnz .LBB8_3409
; %bb.1361:
	s_or_saveexec_b64 s[6:7], s[6:7]
	v_mov_b32_e32 v10, s10
	s_xor_b64 exec, exec, s[6:7]
	s_cbranch_execnz .LBB8_3412
.LBB8_1362:
	s_or_b64 exec, exec, s[6:7]
	s_and_saveexec_b64 s[6:7], s[4:5]
	s_cbranch_execz .LBB8_1364
.LBB8_1363:
	v_bfe_u32 v10, v16, 16, 3
	v_ffbh_u32_e32 v15, v10
	v_min_u32_e32 v15, 32, v15
	v_lshrrev_b32_e32 v11, 19, v16
	v_subrev_u32_e32 v20, 28, v15
	v_and_b32_e32 v11, 15, v11
	v_lshlrev_b32_sdwa v20, v20, v16 dst_sel:DWORD dst_unused:UNUSED_PAD src0_sel:DWORD src1_sel:WORD_1
	v_bfe_u32 v14, v16, 19, 4
	v_sub_u32_e32 v15, 29, v15
	v_and_b32_e32 v20, 7, v20
	v_cmp_eq_u16_e32 vcc, 0, v11
	v_cndmask_b32_e32 v10, v10, v20, vcc
	v_cndmask_b32_e32 v11, v14, v15, vcc
	v_lshlrev_b32_e32 v14, 8, v16
	v_mov_b32_e32 v15, 0x3b800000
	v_lshlrev_b32_e32 v10, 20, v10
	v_and_b32_e32 v14, 0x80000000, v14
	v_lshl_add_u32 v11, v11, 23, v15
	v_or3_b32 v10, v14, v11, v10
.LBB8_1364:
	s_or_b64 exec, exec, s[6:7]
	s_movk_i32 s4, 0xff
	v_and_b32_sdwa v11, v12, s4 dst_sel:DWORD dst_unused:UNUSED_PAD src0_sel:WORD_1 src1_sel:DWORD
	s_movk_i32 s4, 0x7f
	v_cmp_lt_i16_e32 vcc, s4, v11
	s_mov_b64 s[4:5], 0
                                        ; implicit-def: $sgpr10
	s_and_saveexec_b64 s[6:7], vcc
	s_xor_b64 s[6:7], exec, s[6:7]
	s_cbranch_execnz .LBB8_3413
; %bb.1365:
	s_or_saveexec_b64 s[6:7], s[6:7]
	v_mov_b32_e32 v14, s10
	s_xor_b64 exec, exec, s[6:7]
	s_cbranch_execnz .LBB8_3416
.LBB8_1366:
	s_or_b64 exec, exec, s[6:7]
	s_and_saveexec_b64 s[6:7], s[4:5]
	s_cbranch_execz .LBB8_1368
.LBB8_1367:
	v_bfe_u32 v11, v12, 16, 3
	v_ffbh_u32_e32 v20, v11
	v_min_u32_e32 v20, 32, v20
	v_lshrrev_b32_e32 v14, 19, v12
	v_subrev_u32_e32 v21, 28, v20
	v_and_b32_e32 v14, 15, v14
	v_lshlrev_b32_sdwa v21, v21, v12 dst_sel:DWORD dst_unused:UNUSED_PAD src0_sel:DWORD src1_sel:WORD_1
	v_bfe_u32 v15, v12, 19, 4
	v_sub_u32_e32 v20, 29, v20
	v_and_b32_e32 v21, 7, v21
	v_cmp_eq_u16_e32 vcc, 0, v14
	v_cndmask_b32_e32 v11, v11, v21, vcc
	v_cndmask_b32_e32 v14, v15, v20, vcc
	v_lshlrev_b32_e32 v15, 8, v12
	v_mov_b32_e32 v20, 0x3b800000
	v_lshlrev_b32_e32 v11, 20, v11
	v_and_b32_e32 v15, 0x80000000, v15
	v_lshl_add_u32 v14, v14, 23, v20
	v_or3_b32 v14, v15, v14, v11
.LBB8_1368:
	s_or_b64 exec, exec, s[6:7]
	s_nop 0
	v_mfma_f32_16x16x4f32 a[0:3], v10, v14, a[0:3]
	s_movk_i32 s4, 0x7f
	v_cmp_gt_i16_sdwa s[6:7], v16, s4 src0_sel:BYTE_3 src1_sel:DWORD
	s_mov_b64 s[4:5], 0
                                        ; implicit-def: $sgpr10
	s_and_saveexec_b64 s[8:9], s[6:7]
	s_xor_b64 s[6:7], exec, s[8:9]
	s_cbranch_execnz .LBB8_3417
; %bb.1369:
	s_or_saveexec_b64 s[6:7], s[6:7]
	v_mov_b32_e32 v10, s10
	s_xor_b64 exec, exec, s[6:7]
	s_cbranch_execnz .LBB8_3420
.LBB8_1370:
	s_or_b64 exec, exec, s[6:7]
	s_and_saveexec_b64 s[6:7], s[4:5]
	s_cbranch_execz .LBB8_1372
.LBB8_1371:
	v_bfe_u32 v10, v16, 24, 3
	v_ffbh_u32_e32 v20, v10
	v_min_u32_e32 v20, 32, v20
	v_lshrrev_b32_e32 v14, 27, v16
	v_subrev_u32_e32 v21, 28, v20
	v_and_b32_e32 v11, 0x80000000, v16
	v_and_b32_e32 v14, 15, v14
	v_bfe_u32 v15, v16, 27, 4
	v_lshlrev_b32_sdwa v16, v21, v16 dst_sel:DWORD dst_unused:UNUSED_PAD src0_sel:DWORD src1_sel:BYTE_3
	v_sub_u32_e32 v20, 29, v20
	v_and_b32_e32 v16, 7, v16
	v_cmp_eq_u16_e32 vcc, 0, v14
	v_cndmask_b32_e32 v10, v10, v16, vcc
	v_cndmask_b32_e32 v14, v15, v20, vcc
	v_mov_b32_e32 v15, 0x3b800000
	v_lshlrev_b32_e32 v10, 20, v10
	v_lshl_add_u32 v14, v14, 23, v15
	v_or3_b32 v10, v11, v14, v10
.LBB8_1372:
	s_or_b64 exec, exec, s[6:7]
	s_movk_i32 s4, 0x7f
	v_cmp_gt_i16_sdwa s[6:7], v12, s4 src0_sel:BYTE_3 src1_sel:DWORD
	s_mov_b64 s[4:5], 0
                                        ; implicit-def: $sgpr10
	s_and_saveexec_b64 s[8:9], s[6:7]
	s_xor_b64 s[6:7], exec, s[8:9]
	s_cbranch_execnz .LBB8_3421
; %bb.1373:
	s_or_saveexec_b64 s[6:7], s[6:7]
	v_mov_b32_e32 v11, s10
	s_xor_b64 exec, exec, s[6:7]
	s_cbranch_execnz .LBB8_3424
.LBB8_1374:
	s_or_b64 exec, exec, s[6:7]
	s_and_saveexec_b64 s[6:7], s[4:5]
	s_cbranch_execz .LBB8_1376
.LBB8_1375:
	v_bfe_u32 v11, v12, 24, 3
	v_ffbh_u32_e32 v20, v11
	v_min_u32_e32 v20, 32, v20
	v_lshrrev_b32_e32 v15, 27, v12
	v_subrev_u32_e32 v21, 28, v20
	v_and_b32_e32 v14, 0x80000000, v12
	v_and_b32_e32 v15, 15, v15
	v_bfe_u32 v16, v12, 27, 4
	v_lshlrev_b32_sdwa v12, v21, v12 dst_sel:DWORD dst_unused:UNUSED_PAD src0_sel:DWORD src1_sel:BYTE_3
	v_sub_u32_e32 v20, 29, v20
	v_and_b32_e32 v12, 7, v12
	v_cmp_eq_u16_e32 vcc, 0, v15
	v_cndmask_b32_e32 v11, v11, v12, vcc
	v_cndmask_b32_e32 v12, v16, v20, vcc
	v_mov_b32_e32 v15, 0x3b800000
	v_lshlrev_b32_e32 v11, 20, v11
	v_lshl_add_u32 v12, v12, 23, v15
	v_or3_b32 v11, v14, v12, v11
.LBB8_1376:
	s_or_b64 exec, exec, s[6:7]
	s_nop 0
	v_mfma_f32_16x16x4f32 a[0:3], v10, v11, a[0:3]
	s_movk_i32 s4, 0x7f
	v_cmp_gt_i16_sdwa s[6:7], v17, s4 src0_sel:BYTE_0 src1_sel:DWORD
	s_mov_b64 s[4:5], 0
                                        ; implicit-def: $sgpr10
	s_and_saveexec_b64 s[8:9], s[6:7]
	s_xor_b64 s[6:7], exec, s[8:9]
	s_cbranch_execnz .LBB8_3425
; %bb.1377:
	s_or_saveexec_b64 s[6:7], s[6:7]
	v_mov_b32_e32 v10, s10
	s_xor_b64 exec, exec, s[6:7]
	s_cbranch_execnz .LBB8_3428
.LBB8_1378:
	s_or_b64 exec, exec, s[6:7]
	s_and_saveexec_b64 s[6:7], s[4:5]
	s_cbranch_execz .LBB8_1380
.LBB8_1379:
	v_and_b32_e32 v10, 7, v17
	v_ffbh_u32_e32 v12, v10
	v_min_u32_e32 v12, 32, v12
	v_lshrrev_b16_e32 v11, 3, v17
	v_subrev_u32_e32 v14, 28, v12
	v_and_b32_e32 v11, 15, v11
	v_lshlrev_b32_e32 v14, v14, v17
	v_sub_u32_e32 v12, 29, v12
	v_and_b32_e32 v14, 7, v14
	v_cmp_eq_u16_e32 vcc, 0, v11
	v_cndmask_b32_e32 v10, v10, v14, vcc
	v_cndmask_b32_e32 v11, v11, v12, vcc
	v_lshlrev_b32_e32 v12, 24, v17
	v_mov_b32_e32 v14, 0x3b800000
	v_lshlrev_b32_e32 v10, 20, v10
	v_and_b32_e32 v12, 0x80000000, v12
	v_lshl_add_u32 v11, v11, 23, v14
	v_or3_b32 v10, v12, v11, v10
.LBB8_1380:
	s_or_b64 exec, exec, s[6:7]
	s_movk_i32 s4, 0x7f
	v_cmp_gt_i16_sdwa s[6:7], v13, s4 src0_sel:BYTE_0 src1_sel:DWORD
	s_mov_b64 s[4:5], 0
                                        ; implicit-def: $sgpr10
	s_and_saveexec_b64 s[8:9], s[6:7]
	s_xor_b64 s[6:7], exec, s[8:9]
	s_cbranch_execnz .LBB8_3429
; %bb.1381:
	s_or_saveexec_b64 s[6:7], s[6:7]
	v_mov_b32_e32 v11, s10
	s_xor_b64 exec, exec, s[6:7]
	s_cbranch_execnz .LBB8_3432
.LBB8_1382:
	s_or_b64 exec, exec, s[6:7]
	s_and_saveexec_b64 s[6:7], s[4:5]
	s_cbranch_execz .LBB8_1384
.LBB8_1383:
	v_and_b32_e32 v11, 7, v13
	v_ffbh_u32_e32 v14, v11
	v_min_u32_e32 v14, 32, v14
	v_lshrrev_b16_e32 v12, 3, v13
	v_subrev_u32_e32 v15, 28, v14
	v_and_b32_e32 v12, 15, v12
	v_lshlrev_b32_e32 v15, v15, v13
	v_sub_u32_e32 v14, 29, v14
	v_and_b32_e32 v15, 7, v15
	v_cmp_eq_u16_e32 vcc, 0, v12
	v_cndmask_b32_e32 v11, v11, v15, vcc
	v_cndmask_b32_e32 v12, v12, v14, vcc
	v_lshlrev_b32_e32 v14, 24, v13
	v_mov_b32_e32 v15, 0x3b800000
	v_lshlrev_b32_e32 v11, 20, v11
	v_and_b32_e32 v14, 0x80000000, v14
	v_lshl_add_u32 v12, v12, 23, v15
	v_or3_b32 v11, v14, v12, v11
.LBB8_1384:
	s_or_b64 exec, exec, s[6:7]
	s_nop 0
	v_mfma_f32_16x16x4f32 a[0:3], v10, v11, a[0:3]
	v_lshrrev_b32_e32 v11, 8, v17
	s_movk_i32 s4, 0x7f
	v_cmp_gt_i16_sdwa s[6:7], v11, s4 src0_sel:BYTE_0 src1_sel:DWORD
	s_mov_b64 s[4:5], 0
                                        ; implicit-def: $sgpr10
	s_and_saveexec_b64 s[8:9], s[6:7]
	s_xor_b64 s[6:7], exec, s[8:9]
	s_cbranch_execnz .LBB8_3433
; %bb.1385:
	s_or_saveexec_b64 s[6:7], s[6:7]
	v_mov_b32_e32 v10, s10
	s_xor_b64 exec, exec, s[6:7]
	s_cbranch_execnz .LBB8_3436
.LBB8_1386:
	s_or_b64 exec, exec, s[6:7]
	s_and_saveexec_b64 s[6:7], s[4:5]
	s_cbranch_execz .LBB8_1388
.LBB8_1387:
	v_bfe_u32 v10, v17, 8, 3
	v_ffbh_u32_e32 v14, v10
	v_min_u32_e32 v14, 32, v14
	v_lshrrev_b16_e32 v12, 3, v11
	v_subrev_u32_e32 v15, 28, v14
	v_and_b32_e32 v12, 15, v12
	v_lshlrev_b32_e32 v11, v15, v11
	v_sub_u32_e32 v14, 29, v14
	v_and_b32_e32 v11, 7, v11
	v_cmp_eq_u16_e32 vcc, 0, v12
	v_cndmask_b32_e32 v10, v10, v11, vcc
	v_cndmask_b32_e32 v11, v12, v14, vcc
	v_lshlrev_b32_e32 v12, 16, v17
	v_mov_b32_e32 v14, 0x3b800000
	v_lshlrev_b32_e32 v10, 20, v10
	v_and_b32_e32 v12, 0x80000000, v12
	v_lshl_add_u32 v11, v11, 23, v14
	v_or3_b32 v10, v12, v11, v10
.LBB8_1388:
	s_or_b64 exec, exec, s[6:7]
	v_lshrrev_b32_e32 v11, 8, v13
	s_movk_i32 s4, 0x7f
	v_cmp_gt_i16_sdwa s[6:7], v11, s4 src0_sel:BYTE_0 src1_sel:DWORD
	s_mov_b64 s[4:5], 0
                                        ; implicit-def: $sgpr10
	s_and_saveexec_b64 s[8:9], s[6:7]
	s_xor_b64 s[6:7], exec, s[8:9]
	s_cbranch_execnz .LBB8_3437
; %bb.1389:
	s_or_saveexec_b64 s[6:7], s[6:7]
	v_mov_b32_e32 v12, s10
	s_xor_b64 exec, exec, s[6:7]
	s_cbranch_execnz .LBB8_3440
.LBB8_1390:
	s_or_b64 exec, exec, s[6:7]
	s_and_saveexec_b64 s[6:7], s[4:5]
	s_cbranch_execz .LBB8_1392
.LBB8_1391:
	v_bfe_u32 v12, v13, 8, 3
	v_ffbh_u32_e32 v15, v12
	v_min_u32_e32 v15, 32, v15
	v_lshrrev_b16_e32 v14, 3, v11
	v_subrev_u32_e32 v16, 28, v15
	v_and_b32_e32 v14, 15, v14
	v_lshlrev_b32_e32 v11, v16, v11
	v_sub_u32_e32 v15, 29, v15
	v_and_b32_e32 v11, 7, v11
	v_cmp_eq_u16_e32 vcc, 0, v14
	v_cndmask_b32_e32 v11, v12, v11, vcc
	v_cndmask_b32_e32 v12, v14, v15, vcc
	v_lshlrev_b32_e32 v14, 16, v13
	v_mov_b32_e32 v15, 0x3b800000
	v_lshlrev_b32_e32 v11, 20, v11
	v_and_b32_e32 v14, 0x80000000, v14
	v_lshl_add_u32 v12, v12, 23, v15
	v_or3_b32 v12, v14, v12, v11
.LBB8_1392:
	s_or_b64 exec, exec, s[6:7]
	s_nop 0
	v_mfma_f32_16x16x4f32 a[0:3], v10, v12, a[0:3]
	s_movk_i32 s4, 0xff
	v_and_b32_sdwa v11, v17, s4 dst_sel:DWORD dst_unused:UNUSED_PAD src0_sel:WORD_1 src1_sel:DWORD
	s_movk_i32 s4, 0x7f
	v_cmp_lt_i16_e32 vcc, s4, v11
	s_mov_b64 s[4:5], 0
                                        ; implicit-def: $sgpr10
	s_and_saveexec_b64 s[6:7], vcc
	s_xor_b64 s[6:7], exec, s[6:7]
	s_cbranch_execnz .LBB8_3441
; %bb.1393:
	s_or_saveexec_b64 s[6:7], s[6:7]
	v_mov_b32_e32 v10, s10
	s_xor_b64 exec, exec, s[6:7]
	s_cbranch_execnz .LBB8_3444
.LBB8_1394:
	s_or_b64 exec, exec, s[6:7]
	s_and_saveexec_b64 s[6:7], s[4:5]
	s_cbranch_execz .LBB8_1396
.LBB8_1395:
	v_bfe_u32 v10, v17, 16, 3
	v_ffbh_u32_e32 v14, v10
	v_min_u32_e32 v14, 32, v14
	v_lshrrev_b32_e32 v11, 19, v17
	v_subrev_u32_e32 v15, 28, v14
	v_and_b32_e32 v11, 15, v11
	v_lshlrev_b32_sdwa v15, v15, v17 dst_sel:DWORD dst_unused:UNUSED_PAD src0_sel:DWORD src1_sel:WORD_1
	v_bfe_u32 v12, v17, 19, 4
	v_sub_u32_e32 v14, 29, v14
	v_and_b32_e32 v15, 7, v15
	v_cmp_eq_u16_e32 vcc, 0, v11
	v_cndmask_b32_e32 v10, v10, v15, vcc
	v_cndmask_b32_e32 v11, v12, v14, vcc
	v_lshlrev_b32_e32 v12, 8, v17
	v_mov_b32_e32 v14, 0x3b800000
	v_lshlrev_b32_e32 v10, 20, v10
	v_and_b32_e32 v12, 0x80000000, v12
	v_lshl_add_u32 v11, v11, 23, v14
	v_or3_b32 v10, v12, v11, v10
.LBB8_1396:
	s_or_b64 exec, exec, s[6:7]
	s_movk_i32 s4, 0xff
	v_and_b32_sdwa v11, v13, s4 dst_sel:DWORD dst_unused:UNUSED_PAD src0_sel:WORD_1 src1_sel:DWORD
	s_movk_i32 s4, 0x7f
	v_cmp_lt_i16_e32 vcc, s4, v11
	s_mov_b64 s[4:5], 0
                                        ; implicit-def: $sgpr10
	s_and_saveexec_b64 s[6:7], vcc
	s_xor_b64 s[6:7], exec, s[6:7]
	s_cbranch_execnz .LBB8_3445
; %bb.1397:
	s_or_saveexec_b64 s[6:7], s[6:7]
	v_mov_b32_e32 v12, s10
	s_xor_b64 exec, exec, s[6:7]
	s_cbranch_execnz .LBB8_3448
.LBB8_1398:
	s_or_b64 exec, exec, s[6:7]
	s_and_saveexec_b64 s[6:7], s[4:5]
	s_cbranch_execz .LBB8_1400
.LBB8_1399:
	v_bfe_u32 v11, v13, 16, 3
	v_ffbh_u32_e32 v15, v11
	v_min_u32_e32 v15, 32, v15
	v_lshrrev_b32_e32 v12, 19, v13
	v_subrev_u32_e32 v16, 28, v15
	v_and_b32_e32 v12, 15, v12
	v_lshlrev_b32_sdwa v16, v16, v13 dst_sel:DWORD dst_unused:UNUSED_PAD src0_sel:DWORD src1_sel:WORD_1
	v_bfe_u32 v14, v13, 19, 4
	v_sub_u32_e32 v15, 29, v15
	v_and_b32_e32 v16, 7, v16
	v_cmp_eq_u16_e32 vcc, 0, v12
	v_cndmask_b32_e32 v11, v11, v16, vcc
	v_cndmask_b32_e32 v12, v14, v15, vcc
	v_lshlrev_b32_e32 v14, 8, v13
	v_mov_b32_e32 v15, 0x3b800000
	v_lshlrev_b32_e32 v11, 20, v11
	v_and_b32_e32 v14, 0x80000000, v14
	v_lshl_add_u32 v12, v12, 23, v15
	v_or3_b32 v12, v14, v12, v11
.LBB8_1400:
	s_or_b64 exec, exec, s[6:7]
	s_nop 0
	v_mfma_f32_16x16x4f32 a[0:3], v10, v12, a[0:3]
	s_movk_i32 s4, 0x7f
	v_cmp_gt_i16_sdwa s[6:7], v17, s4 src0_sel:BYTE_3 src1_sel:DWORD
	s_mov_b64 s[4:5], 0
                                        ; implicit-def: $sgpr10
	s_and_saveexec_b64 s[8:9], s[6:7]
	s_xor_b64 s[6:7], exec, s[8:9]
	s_cbranch_execnz .LBB8_3449
; %bb.1401:
	s_or_saveexec_b64 s[6:7], s[6:7]
	v_mov_b32_e32 v10, s10
	s_xor_b64 exec, exec, s[6:7]
	s_cbranch_execnz .LBB8_3452
.LBB8_1402:
	s_or_b64 exec, exec, s[6:7]
	s_and_saveexec_b64 s[6:7], s[4:5]
	s_cbranch_execz .LBB8_1404
.LBB8_1403:
	v_bfe_u32 v10, v17, 24, 3
	v_ffbh_u32_e32 v15, v10
	v_min_u32_e32 v15, 32, v15
	v_lshrrev_b32_e32 v12, 27, v17
	v_subrev_u32_e32 v16, 28, v15
	v_and_b32_e32 v12, 15, v12
	v_lshlrev_b32_sdwa v16, v16, v17 dst_sel:DWORD dst_unused:UNUSED_PAD src0_sel:DWORD src1_sel:BYTE_3
	v_bfe_u32 v14, v17, 27, 4
	v_sub_u32_e32 v15, 29, v15
	v_and_b32_e32 v16, 7, v16
	v_cmp_eq_u16_e32 vcc, 0, v12
	v_cndmask_b32_e32 v10, v10, v16, vcc
	v_cndmask_b32_e32 v12, v14, v15, vcc
	v_mov_b32_e32 v14, 0x3b800000
	v_and_b32_e32 v11, 0x80000000, v17
	v_lshlrev_b32_e32 v10, 20, v10
	v_lshl_add_u32 v12, v12, 23, v14
	v_or3_b32 v10, v11, v12, v10
.LBB8_1404:
	s_or_b64 exec, exec, s[6:7]
	s_movk_i32 s4, 0x7f
	v_cmp_gt_i16_sdwa s[6:7], v13, s4 src0_sel:BYTE_3 src1_sel:DWORD
	s_mov_b64 s[4:5], 0
                                        ; implicit-def: $sgpr10
	s_and_saveexec_b64 s[8:9], s[6:7]
	s_xor_b64 s[6:7], exec, s[8:9]
	s_cbranch_execnz .LBB8_3453
; %bb.1405:
	s_or_saveexec_b64 s[6:7], s[6:7]
	v_mov_b32_e32 v11, s10
	s_xor_b64 exec, exec, s[6:7]
	s_cbranch_execnz .LBB8_3456
.LBB8_1406:
	s_or_b64 exec, exec, s[6:7]
	s_and_saveexec_b64 s[6:7], s[4:5]
	s_cbranch_execz .LBB8_1408
.LBB8_1407:
	v_bfe_u32 v11, v13, 24, 3
	v_ffbh_u32_e32 v16, v11
	v_min_u32_e32 v16, 32, v16
	v_lshrrev_b32_e32 v14, 27, v13
	v_subrev_u32_e32 v17, 28, v16
	v_and_b32_e32 v12, 0x80000000, v13
	v_and_b32_e32 v14, 15, v14
	v_bfe_u32 v15, v13, 27, 4
	v_lshlrev_b32_sdwa v13, v17, v13 dst_sel:DWORD dst_unused:UNUSED_PAD src0_sel:DWORD src1_sel:BYTE_3
	v_sub_u32_e32 v16, 29, v16
	v_and_b32_e32 v13, 7, v13
	v_cmp_eq_u16_e32 vcc, 0, v14
	v_cndmask_b32_e32 v11, v11, v13, vcc
	v_cndmask_b32_e32 v13, v15, v16, vcc
	v_mov_b32_e32 v14, 0x3b800000
	v_lshlrev_b32_e32 v11, 20, v11
	v_lshl_add_u32 v13, v13, 23, v14
	v_or3_b32 v11, v12, v13, v11
.LBB8_1408:
	s_or_b64 exec, exec, s[6:7]
	s_nop 0
	v_mfma_f32_16x16x4f32 a[0:3], v10, v11, a[0:3]
	s_movk_i32 s4, 0x7f
	v_cmp_gt_i16_sdwa s[6:7], v6, s4 src0_sel:BYTE_0 src1_sel:DWORD
	s_mov_b64 s[4:5], 0
                                        ; implicit-def: $sgpr10
	s_and_saveexec_b64 s[8:9], s[6:7]
	s_xor_b64 s[6:7], exec, s[8:9]
	s_cbranch_execnz .LBB8_3457
; %bb.1409:
	s_or_saveexec_b64 s[6:7], s[6:7]
	v_mov_b32_e32 v10, s10
	s_xor_b64 exec, exec, s[6:7]
	s_cbranch_execnz .LBB8_3460
.LBB8_1410:
	s_or_b64 exec, exec, s[6:7]
	s_and_saveexec_b64 s[6:7], s[4:5]
	s_cbranch_execz .LBB8_1412
.LBB8_1411:
	v_and_b32_e32 v10, 7, v6
	v_ffbh_u32_e32 v12, v10
	v_min_u32_e32 v12, 32, v12
	v_lshrrev_b16_e32 v11, 3, v6
	v_subrev_u32_e32 v13, 28, v12
	v_and_b32_e32 v11, 15, v11
	v_lshlrev_b32_e32 v13, v13, v6
	v_sub_u32_e32 v12, 29, v12
	v_and_b32_e32 v13, 7, v13
	v_cmp_eq_u16_e32 vcc, 0, v11
	v_cndmask_b32_e32 v10, v10, v13, vcc
	v_cndmask_b32_e32 v11, v11, v12, vcc
	v_lshlrev_b32_e32 v12, 24, v6
	v_mov_b32_e32 v13, 0x3b800000
	v_lshlrev_b32_e32 v10, 20, v10
	v_and_b32_e32 v12, 0x80000000, v12
	v_lshl_add_u32 v11, v11, 23, v13
	v_or3_b32 v10, v12, v11, v10
.LBB8_1412:
	s_or_b64 exec, exec, s[6:7]
	s_movk_i32 s4, 0x7f
	v_cmp_gt_i16_sdwa s[6:7], v2, s4 src0_sel:BYTE_0 src1_sel:DWORD
	s_mov_b64 s[4:5], 0
                                        ; implicit-def: $sgpr10
	s_and_saveexec_b64 s[8:9], s[6:7]
	s_xor_b64 s[6:7], exec, s[8:9]
	s_cbranch_execnz .LBB8_3461
; %bb.1413:
	s_or_saveexec_b64 s[6:7], s[6:7]
	v_mov_b32_e32 v11, s10
	s_xor_b64 exec, exec, s[6:7]
	s_cbranch_execnz .LBB8_3464
.LBB8_1414:
	s_or_b64 exec, exec, s[6:7]
	s_and_saveexec_b64 s[6:7], s[4:5]
	s_cbranch_execz .LBB8_1416
.LBB8_1415:
	v_and_b32_e32 v11, 7, v2
	v_ffbh_u32_e32 v13, v11
	v_min_u32_e32 v13, 32, v13
	v_lshrrev_b16_e32 v12, 3, v2
	v_subrev_u32_e32 v14, 28, v13
	v_and_b32_e32 v12, 15, v12
	v_lshlrev_b32_e32 v14, v14, v2
	v_sub_u32_e32 v13, 29, v13
	v_and_b32_e32 v14, 7, v14
	v_cmp_eq_u16_e32 vcc, 0, v12
	v_cndmask_b32_e32 v11, v11, v14, vcc
	v_cndmask_b32_e32 v12, v12, v13, vcc
	v_lshlrev_b32_e32 v13, 24, v2
	v_mov_b32_e32 v14, 0x3b800000
	v_lshlrev_b32_e32 v11, 20, v11
	v_and_b32_e32 v13, 0x80000000, v13
	v_lshl_add_u32 v12, v12, 23, v14
	v_or3_b32 v11, v13, v12, v11
.LBB8_1416:
	s_or_b64 exec, exec, s[6:7]
	s_nop 0
	v_mfma_f32_16x16x4f32 a[0:3], v10, v11, a[0:3]
	v_lshrrev_b32_e32 v11, 8, v6
	s_movk_i32 s4, 0x7f
	v_cmp_gt_i16_sdwa s[6:7], v11, s4 src0_sel:BYTE_0 src1_sel:DWORD
	s_mov_b64 s[4:5], 0
                                        ; implicit-def: $sgpr10
	s_and_saveexec_b64 s[8:9], s[6:7]
	s_xor_b64 s[6:7], exec, s[8:9]
	s_cbranch_execnz .LBB8_3465
; %bb.1417:
	s_or_saveexec_b64 s[6:7], s[6:7]
	v_mov_b32_e32 v10, s10
	s_xor_b64 exec, exec, s[6:7]
	s_cbranch_execnz .LBB8_3468
.LBB8_1418:
	s_or_b64 exec, exec, s[6:7]
	s_and_saveexec_b64 s[6:7], s[4:5]
	s_cbranch_execz .LBB8_1420
.LBB8_1419:
	v_bfe_u32 v10, v6, 8, 3
	v_ffbh_u32_e32 v13, v10
	v_min_u32_e32 v13, 32, v13
	v_lshrrev_b16_e32 v12, 3, v11
	v_subrev_u32_e32 v14, 28, v13
	v_and_b32_e32 v12, 15, v12
	v_lshlrev_b32_e32 v11, v14, v11
	v_sub_u32_e32 v13, 29, v13
	v_and_b32_e32 v11, 7, v11
	v_cmp_eq_u16_e32 vcc, 0, v12
	v_cndmask_b32_e32 v10, v10, v11, vcc
	v_cndmask_b32_e32 v11, v12, v13, vcc
	v_lshlrev_b32_e32 v12, 16, v6
	v_mov_b32_e32 v13, 0x3b800000
	v_lshlrev_b32_e32 v10, 20, v10
	v_and_b32_e32 v12, 0x80000000, v12
	v_lshl_add_u32 v11, v11, 23, v13
	v_or3_b32 v10, v12, v11, v10
.LBB8_1420:
	s_or_b64 exec, exec, s[6:7]
	v_lshrrev_b32_e32 v11, 8, v2
	s_movk_i32 s4, 0x7f
	v_cmp_gt_i16_sdwa s[6:7], v11, s4 src0_sel:BYTE_0 src1_sel:DWORD
	s_mov_b64 s[4:5], 0
                                        ; implicit-def: $sgpr10
	s_and_saveexec_b64 s[8:9], s[6:7]
	s_xor_b64 s[6:7], exec, s[8:9]
	s_cbranch_execnz .LBB8_3469
; %bb.1421:
	s_or_saveexec_b64 s[6:7], s[6:7]
	v_mov_b32_e32 v12, s10
	s_xor_b64 exec, exec, s[6:7]
	s_cbranch_execnz .LBB8_3472
.LBB8_1422:
	s_or_b64 exec, exec, s[6:7]
	s_and_saveexec_b64 s[6:7], s[4:5]
	s_cbranch_execz .LBB8_1424
.LBB8_1423:
	v_bfe_u32 v12, v2, 8, 3
	v_ffbh_u32_e32 v14, v12
	v_min_u32_e32 v14, 32, v14
	v_lshrrev_b16_e32 v13, 3, v11
	v_subrev_u32_e32 v15, 28, v14
	v_and_b32_e32 v13, 15, v13
	v_lshlrev_b32_e32 v11, v15, v11
	v_sub_u32_e32 v14, 29, v14
	v_and_b32_e32 v11, 7, v11
	v_cmp_eq_u16_e32 vcc, 0, v13
	v_cndmask_b32_e32 v11, v12, v11, vcc
	v_cndmask_b32_e32 v12, v13, v14, vcc
	v_lshlrev_b32_e32 v13, 16, v2
	v_mov_b32_e32 v14, 0x3b800000
	v_lshlrev_b32_e32 v11, 20, v11
	v_and_b32_e32 v13, 0x80000000, v13
	v_lshl_add_u32 v12, v12, 23, v14
	v_or3_b32 v12, v13, v12, v11
.LBB8_1424:
	s_or_b64 exec, exec, s[6:7]
	s_nop 0
	v_mfma_f32_16x16x4f32 a[0:3], v10, v12, a[0:3]
	s_movk_i32 s4, 0xff
	v_and_b32_sdwa v11, v6, s4 dst_sel:DWORD dst_unused:UNUSED_PAD src0_sel:WORD_1 src1_sel:DWORD
	s_movk_i32 s4, 0x7f
	v_cmp_lt_i16_e32 vcc, s4, v11
	s_mov_b64 s[4:5], 0
                                        ; implicit-def: $sgpr10
	s_and_saveexec_b64 s[6:7], vcc
	s_xor_b64 s[6:7], exec, s[6:7]
	s_cbranch_execnz .LBB8_3473
; %bb.1425:
	s_or_saveexec_b64 s[6:7], s[6:7]
	v_mov_b32_e32 v10, s10
	s_xor_b64 exec, exec, s[6:7]
	s_cbranch_execnz .LBB8_3476
.LBB8_1426:
	s_or_b64 exec, exec, s[6:7]
	s_and_saveexec_b64 s[6:7], s[4:5]
	s_cbranch_execz .LBB8_1428
.LBB8_1427:
	v_bfe_u32 v10, v6, 16, 3
	v_ffbh_u32_e32 v13, v10
	v_min_u32_e32 v13, 32, v13
	v_lshrrev_b32_e32 v11, 19, v6
	v_subrev_u32_e32 v14, 28, v13
	v_and_b32_e32 v11, 15, v11
	v_lshlrev_b32_sdwa v14, v14, v6 dst_sel:DWORD dst_unused:UNUSED_PAD src0_sel:DWORD src1_sel:WORD_1
	v_bfe_u32 v12, v6, 19, 4
	v_sub_u32_e32 v13, 29, v13
	v_and_b32_e32 v14, 7, v14
	v_cmp_eq_u16_e32 vcc, 0, v11
	v_cndmask_b32_e32 v10, v10, v14, vcc
	v_cndmask_b32_e32 v11, v12, v13, vcc
	v_lshlrev_b32_e32 v12, 8, v6
	v_mov_b32_e32 v13, 0x3b800000
	v_lshlrev_b32_e32 v10, 20, v10
	v_and_b32_e32 v12, 0x80000000, v12
	v_lshl_add_u32 v11, v11, 23, v13
	v_or3_b32 v10, v12, v11, v10
.LBB8_1428:
	s_or_b64 exec, exec, s[6:7]
	s_movk_i32 s4, 0xff
	v_and_b32_sdwa v11, v2, s4 dst_sel:DWORD dst_unused:UNUSED_PAD src0_sel:WORD_1 src1_sel:DWORD
	s_movk_i32 s4, 0x7f
	v_cmp_lt_i16_e32 vcc, s4, v11
	s_mov_b64 s[4:5], 0
                                        ; implicit-def: $sgpr10
	s_and_saveexec_b64 s[6:7], vcc
	s_xor_b64 s[6:7], exec, s[6:7]
	s_cbranch_execnz .LBB8_3477
; %bb.1429:
	s_or_saveexec_b64 s[6:7], s[6:7]
	v_mov_b32_e32 v12, s10
	s_xor_b64 exec, exec, s[6:7]
	s_cbranch_execnz .LBB8_3480
.LBB8_1430:
	s_or_b64 exec, exec, s[6:7]
	s_and_saveexec_b64 s[6:7], s[4:5]
	s_cbranch_execz .LBB8_1432
.LBB8_1431:
	v_bfe_u32 v11, v2, 16, 3
	v_ffbh_u32_e32 v14, v11
	v_min_u32_e32 v14, 32, v14
	v_lshrrev_b32_e32 v12, 19, v2
	v_subrev_u32_e32 v15, 28, v14
	v_and_b32_e32 v12, 15, v12
	v_lshlrev_b32_sdwa v15, v15, v2 dst_sel:DWORD dst_unused:UNUSED_PAD src0_sel:DWORD src1_sel:WORD_1
	v_bfe_u32 v13, v2, 19, 4
	v_sub_u32_e32 v14, 29, v14
	v_and_b32_e32 v15, 7, v15
	v_cmp_eq_u16_e32 vcc, 0, v12
	v_cndmask_b32_e32 v11, v11, v15, vcc
	v_cndmask_b32_e32 v12, v13, v14, vcc
	v_lshlrev_b32_e32 v13, 8, v2
	v_mov_b32_e32 v14, 0x3b800000
	v_lshlrev_b32_e32 v11, 20, v11
	v_and_b32_e32 v13, 0x80000000, v13
	v_lshl_add_u32 v12, v12, 23, v14
	v_or3_b32 v12, v13, v12, v11
.LBB8_1432:
	s_or_b64 exec, exec, s[6:7]
	s_nop 0
	v_mfma_f32_16x16x4f32 a[0:3], v10, v12, a[0:3]
	s_movk_i32 s4, 0x7f
	v_cmp_gt_i16_sdwa s[6:7], v6, s4 src0_sel:BYTE_3 src1_sel:DWORD
	s_mov_b64 s[4:5], 0
                                        ; implicit-def: $sgpr10
	s_and_saveexec_b64 s[8:9], s[6:7]
	s_xor_b64 s[6:7], exec, s[8:9]
	s_cbranch_execnz .LBB8_3481
; %bb.1433:
	s_or_saveexec_b64 s[6:7], s[6:7]
	v_mov_b32_e32 v10, s10
	s_xor_b64 exec, exec, s[6:7]
	s_cbranch_execnz .LBB8_3484
.LBB8_1434:
	s_or_b64 exec, exec, s[6:7]
	s_and_saveexec_b64 s[6:7], s[4:5]
	s_cbranch_execz .LBB8_1436
.LBB8_1435:
	v_bfe_u32 v10, v6, 24, 3
	v_ffbh_u32_e32 v14, v10
	v_min_u32_e32 v14, 32, v14
	v_lshrrev_b32_e32 v12, 27, v6
	v_subrev_u32_e32 v15, 28, v14
	v_and_b32_e32 v11, 0x80000000, v6
	v_and_b32_e32 v12, 15, v12
	v_bfe_u32 v13, v6, 27, 4
	v_lshlrev_b32_sdwa v6, v15, v6 dst_sel:DWORD dst_unused:UNUSED_PAD src0_sel:DWORD src1_sel:BYTE_3
	v_sub_u32_e32 v14, 29, v14
	v_and_b32_e32 v6, 7, v6
	v_cmp_eq_u16_e32 vcc, 0, v12
	v_cndmask_b32_e32 v6, v10, v6, vcc
	v_cndmask_b32_e32 v10, v13, v14, vcc
	v_mov_b32_e32 v12, 0x3b800000
	v_lshlrev_b32_e32 v6, 20, v6
	v_lshl_add_u32 v10, v10, 23, v12
	v_or3_b32 v10, v11, v10, v6
.LBB8_1436:
	s_or_b64 exec, exec, s[6:7]
	s_movk_i32 s4, 0x7f
	v_cmp_gt_i16_sdwa s[6:7], v2, s4 src0_sel:BYTE_3 src1_sel:DWORD
	s_mov_b64 s[4:5], 0
                                        ; implicit-def: $sgpr10
	s_and_saveexec_b64 s[8:9], s[6:7]
	s_xor_b64 s[6:7], exec, s[8:9]
	s_cbranch_execnz .LBB8_3485
; %bb.1437:
	s_or_saveexec_b64 s[6:7], s[6:7]
	v_mov_b32_e32 v6, s10
	s_xor_b64 exec, exec, s[6:7]
	s_cbranch_execnz .LBB8_3488
.LBB8_1438:
	s_or_b64 exec, exec, s[6:7]
	s_and_saveexec_b64 s[6:7], s[4:5]
	s_cbranch_execz .LBB8_1440
.LBB8_1439:
	v_bfe_u32 v6, v2, 24, 3
	v_ffbh_u32_e32 v14, v6
	v_min_u32_e32 v14, 32, v14
	v_lshrrev_b32_e32 v12, 27, v2
	v_subrev_u32_e32 v15, 28, v14
	v_and_b32_e32 v11, 0x80000000, v2
	v_and_b32_e32 v12, 15, v12
	v_bfe_u32 v13, v2, 27, 4
	v_lshlrev_b32_sdwa v2, v15, v2 dst_sel:DWORD dst_unused:UNUSED_PAD src0_sel:DWORD src1_sel:BYTE_3
	v_sub_u32_e32 v14, 29, v14
	v_and_b32_e32 v2, 7, v2
	v_cmp_eq_u16_e32 vcc, 0, v12
	v_cndmask_b32_e32 v2, v6, v2, vcc
	v_cndmask_b32_e32 v6, v13, v14, vcc
	v_mov_b32_e32 v12, 0x3b800000
	v_lshlrev_b32_e32 v2, 20, v2
	v_lshl_add_u32 v6, v6, 23, v12
	v_or3_b32 v6, v11, v6, v2
.LBB8_1440:
	s_or_b64 exec, exec, s[6:7]
	s_nop 0
	v_mfma_f32_16x16x4f32 a[0:3], v10, v6, a[0:3]
	s_movk_i32 s4, 0x7f
	v_cmp_gt_i16_sdwa s[6:7], v7, s4 src0_sel:BYTE_0 src1_sel:DWORD
	s_mov_b64 s[4:5], 0
                                        ; implicit-def: $sgpr10
	s_and_saveexec_b64 s[8:9], s[6:7]
	s_xor_b64 s[6:7], exec, s[8:9]
	s_cbranch_execnz .LBB8_3489
; %bb.1441:
	s_or_saveexec_b64 s[6:7], s[6:7]
	v_mov_b32_e32 v2, s10
	s_xor_b64 exec, exec, s[6:7]
	s_cbranch_execnz .LBB8_3492
.LBB8_1442:
	s_or_b64 exec, exec, s[6:7]
	s_and_saveexec_b64 s[6:7], s[4:5]
	s_cbranch_execz .LBB8_1444
.LBB8_1443:
	v_and_b32_e32 v2, 7, v7
	v_ffbh_u32_e32 v10, v2
	v_min_u32_e32 v10, 32, v10
	v_lshrrev_b16_e32 v6, 3, v7
	v_subrev_u32_e32 v11, 28, v10
	v_and_b32_e32 v6, 15, v6
	v_lshlrev_b32_e32 v11, v11, v7
	v_sub_u32_e32 v10, 29, v10
	v_and_b32_e32 v11, 7, v11
	v_cmp_eq_u16_e32 vcc, 0, v6
	v_cndmask_b32_e32 v2, v2, v11, vcc
	v_cndmask_b32_e32 v6, v6, v10, vcc
	v_lshlrev_b32_e32 v10, 24, v7
	v_mov_b32_e32 v11, 0x3b800000
	v_lshlrev_b32_e32 v2, 20, v2
	v_and_b32_e32 v10, 0x80000000, v10
	v_lshl_add_u32 v6, v6, 23, v11
	v_or3_b32 v2, v10, v6, v2
.LBB8_1444:
	s_or_b64 exec, exec, s[6:7]
	s_movk_i32 s4, 0x7f
	v_cmp_gt_i16_sdwa s[6:7], v3, s4 src0_sel:BYTE_0 src1_sel:DWORD
	s_mov_b64 s[4:5], 0
                                        ; implicit-def: $sgpr10
	s_and_saveexec_b64 s[8:9], s[6:7]
	s_xor_b64 s[6:7], exec, s[8:9]
	s_cbranch_execnz .LBB8_3493
; %bb.1445:
	s_or_saveexec_b64 s[6:7], s[6:7]
	v_mov_b32_e32 v6, s10
	s_xor_b64 exec, exec, s[6:7]
	s_cbranch_execnz .LBB8_3496
.LBB8_1446:
	s_or_b64 exec, exec, s[6:7]
	s_and_saveexec_b64 s[6:7], s[4:5]
	s_cbranch_execz .LBB8_1448
.LBB8_1447:
	v_and_b32_e32 v6, 7, v3
	v_ffbh_u32_e32 v11, v6
	v_min_u32_e32 v11, 32, v11
	v_lshrrev_b16_e32 v10, 3, v3
	v_subrev_u32_e32 v12, 28, v11
	v_and_b32_e32 v10, 15, v10
	v_lshlrev_b32_e32 v12, v12, v3
	v_sub_u32_e32 v11, 29, v11
	v_and_b32_e32 v12, 7, v12
	v_cmp_eq_u16_e32 vcc, 0, v10
	v_cndmask_b32_e32 v6, v6, v12, vcc
	v_cndmask_b32_e32 v10, v10, v11, vcc
	v_lshlrev_b32_e32 v11, 24, v3
	v_mov_b32_e32 v12, 0x3b800000
	v_lshlrev_b32_e32 v6, 20, v6
	v_and_b32_e32 v11, 0x80000000, v11
	v_lshl_add_u32 v10, v10, 23, v12
	v_or3_b32 v6, v11, v10, v6
.LBB8_1448:
	s_or_b64 exec, exec, s[6:7]
	s_nop 0
	v_mfma_f32_16x16x4f32 a[0:3], v2, v6, a[0:3]
	v_lshrrev_b32_e32 v6, 8, v7
	s_movk_i32 s4, 0x7f
	v_cmp_gt_i16_sdwa s[6:7], v6, s4 src0_sel:BYTE_0 src1_sel:DWORD
	s_mov_b64 s[4:5], 0
                                        ; implicit-def: $sgpr10
	s_and_saveexec_b64 s[8:9], s[6:7]
	s_xor_b64 s[6:7], exec, s[8:9]
	s_cbranch_execnz .LBB8_3497
; %bb.1449:
	s_or_saveexec_b64 s[6:7], s[6:7]
	v_mov_b32_e32 v2, s10
	s_xor_b64 exec, exec, s[6:7]
	s_cbranch_execnz .LBB8_3500
.LBB8_1450:
	s_or_b64 exec, exec, s[6:7]
	s_and_saveexec_b64 s[6:7], s[4:5]
	s_cbranch_execz .LBB8_1452
.LBB8_1451:
	v_bfe_u32 v2, v7, 8, 3
	v_ffbh_u32_e32 v11, v2
	v_min_u32_e32 v11, 32, v11
	v_lshrrev_b16_e32 v10, 3, v6
	v_subrev_u32_e32 v12, 28, v11
	v_and_b32_e32 v10, 15, v10
	v_lshlrev_b32_e32 v6, v12, v6
	v_sub_u32_e32 v11, 29, v11
	v_and_b32_e32 v6, 7, v6
	v_cmp_eq_u16_e32 vcc, 0, v10
	v_cndmask_b32_e32 v2, v2, v6, vcc
	v_cndmask_b32_e32 v6, v10, v11, vcc
	v_lshlrev_b32_e32 v10, 16, v7
	v_mov_b32_e32 v11, 0x3b800000
	v_lshlrev_b32_e32 v2, 20, v2
	v_and_b32_e32 v10, 0x80000000, v10
	v_lshl_add_u32 v6, v6, 23, v11
	v_or3_b32 v2, v10, v6, v2
.LBB8_1452:
	s_or_b64 exec, exec, s[6:7]
	v_lshrrev_b32_e32 v6, 8, v3
	s_movk_i32 s4, 0x7f
	v_cmp_gt_i16_sdwa s[6:7], v6, s4 src0_sel:BYTE_0 src1_sel:DWORD
	s_mov_b64 s[4:5], 0
                                        ; implicit-def: $sgpr10
	s_and_saveexec_b64 s[8:9], s[6:7]
	s_xor_b64 s[6:7], exec, s[8:9]
	s_cbranch_execnz .LBB8_3501
; %bb.1453:
	s_or_saveexec_b64 s[6:7], s[6:7]
	v_mov_b32_e32 v10, s10
	s_xor_b64 exec, exec, s[6:7]
	s_cbranch_execnz .LBB8_3504
.LBB8_1454:
	s_or_b64 exec, exec, s[6:7]
	s_and_saveexec_b64 s[6:7], s[4:5]
	s_cbranch_execz .LBB8_1456
.LBB8_1455:
	v_bfe_u32 v10, v3, 8, 3
	v_ffbh_u32_e32 v12, v10
	v_min_u32_e32 v12, 32, v12
	v_lshrrev_b16_e32 v11, 3, v6
	v_subrev_u32_e32 v13, 28, v12
	v_and_b32_e32 v11, 15, v11
	v_lshlrev_b32_e32 v6, v13, v6
	v_sub_u32_e32 v12, 29, v12
	v_and_b32_e32 v6, 7, v6
	v_cmp_eq_u16_e32 vcc, 0, v11
	v_cndmask_b32_e32 v6, v10, v6, vcc
	v_cndmask_b32_e32 v10, v11, v12, vcc
	v_lshlrev_b32_e32 v11, 16, v3
	v_mov_b32_e32 v12, 0x3b800000
	v_lshlrev_b32_e32 v6, 20, v6
	v_and_b32_e32 v11, 0x80000000, v11
	v_lshl_add_u32 v10, v10, 23, v12
	v_or3_b32 v10, v11, v10, v6
.LBB8_1456:
	s_or_b64 exec, exec, s[6:7]
	s_nop 0
	v_mfma_f32_16x16x4f32 a[0:3], v2, v10, a[0:3]
	s_movk_i32 s4, 0xff
	v_and_b32_sdwa v6, v7, s4 dst_sel:DWORD dst_unused:UNUSED_PAD src0_sel:WORD_1 src1_sel:DWORD
	s_movk_i32 s4, 0x7f
	v_cmp_lt_i16_e32 vcc, s4, v6
	s_mov_b64 s[4:5], 0
                                        ; implicit-def: $sgpr10
	s_and_saveexec_b64 s[6:7], vcc
	s_xor_b64 s[6:7], exec, s[6:7]
	s_cbranch_execnz .LBB8_3505
; %bb.1457:
	s_or_saveexec_b64 s[6:7], s[6:7]
	v_mov_b32_e32 v2, s10
	s_xor_b64 exec, exec, s[6:7]
	s_cbranch_execnz .LBB8_3508
.LBB8_1458:
	s_or_b64 exec, exec, s[6:7]
	s_and_saveexec_b64 s[6:7], s[4:5]
	s_cbranch_execz .LBB8_1460
.LBB8_1459:
	v_bfe_u32 v2, v7, 16, 3
	v_ffbh_u32_e32 v11, v2
	v_min_u32_e32 v11, 32, v11
	v_lshrrev_b32_e32 v6, 19, v7
	v_subrev_u32_e32 v12, 28, v11
	v_and_b32_e32 v6, 15, v6
	v_lshlrev_b32_sdwa v12, v12, v7 dst_sel:DWORD dst_unused:UNUSED_PAD src0_sel:DWORD src1_sel:WORD_1
	v_bfe_u32 v10, v7, 19, 4
	v_sub_u32_e32 v11, 29, v11
	v_and_b32_e32 v12, 7, v12
	v_cmp_eq_u16_e32 vcc, 0, v6
	v_cndmask_b32_e32 v2, v2, v12, vcc
	v_cndmask_b32_e32 v6, v10, v11, vcc
	v_lshlrev_b32_e32 v10, 8, v7
	v_mov_b32_e32 v11, 0x3b800000
	v_lshlrev_b32_e32 v2, 20, v2
	v_and_b32_e32 v10, 0x80000000, v10
	v_lshl_add_u32 v6, v6, 23, v11
	v_or3_b32 v2, v10, v6, v2
.LBB8_1460:
	s_or_b64 exec, exec, s[6:7]
	s_movk_i32 s4, 0xff
	v_and_b32_sdwa v6, v3, s4 dst_sel:DWORD dst_unused:UNUSED_PAD src0_sel:WORD_1 src1_sel:DWORD
	s_movk_i32 s4, 0x7f
	v_cmp_lt_i16_e32 vcc, s4, v6
	s_mov_b64 s[4:5], 0
                                        ; implicit-def: $sgpr10
	s_and_saveexec_b64 s[6:7], vcc
	s_xor_b64 s[6:7], exec, s[6:7]
	s_cbranch_execnz .LBB8_3509
; %bb.1461:
	s_or_saveexec_b64 s[6:7], s[6:7]
	v_mov_b32_e32 v10, s10
	s_xor_b64 exec, exec, s[6:7]
	s_cbranch_execnz .LBB8_3512
.LBB8_1462:
	s_or_b64 exec, exec, s[6:7]
	s_and_saveexec_b64 s[6:7], s[4:5]
	s_cbranch_execz .LBB8_1464
.LBB8_1463:
	v_bfe_u32 v6, v3, 16, 3
	v_ffbh_u32_e32 v12, v6
	v_min_u32_e32 v12, 32, v12
	v_lshrrev_b32_e32 v10, 19, v3
	v_subrev_u32_e32 v13, 28, v12
	v_and_b32_e32 v10, 15, v10
	v_lshlrev_b32_sdwa v13, v13, v3 dst_sel:DWORD dst_unused:UNUSED_PAD src0_sel:DWORD src1_sel:WORD_1
	v_bfe_u32 v11, v3, 19, 4
	v_sub_u32_e32 v12, 29, v12
	v_and_b32_e32 v13, 7, v13
	v_cmp_eq_u16_e32 vcc, 0, v10
	v_cndmask_b32_e32 v6, v6, v13, vcc
	v_cndmask_b32_e32 v10, v11, v12, vcc
	v_lshlrev_b32_e32 v11, 8, v3
	v_mov_b32_e32 v12, 0x3b800000
	v_lshlrev_b32_e32 v6, 20, v6
	v_and_b32_e32 v11, 0x80000000, v11
	v_lshl_add_u32 v10, v10, 23, v12
	v_or3_b32 v10, v11, v10, v6
.LBB8_1464:
	s_or_b64 exec, exec, s[6:7]
	s_nop 0
	v_mfma_f32_16x16x4f32 a[0:3], v2, v10, a[0:3]
	s_movk_i32 s4, 0x7f
	v_cmp_gt_i16_sdwa s[6:7], v7, s4 src0_sel:BYTE_3 src1_sel:DWORD
	s_mov_b64 s[4:5], 0
                                        ; implicit-def: $sgpr10
	s_and_saveexec_b64 s[8:9], s[6:7]
	s_xor_b64 s[6:7], exec, s[8:9]
	s_cbranch_execnz .LBB8_3513
; %bb.1465:
	s_or_saveexec_b64 s[6:7], s[6:7]
	v_mov_b32_e32 v2, s10
	s_xor_b64 exec, exec, s[6:7]
	s_cbranch_execnz .LBB8_3516
.LBB8_1466:
	s_or_b64 exec, exec, s[6:7]
	s_and_saveexec_b64 s[6:7], s[4:5]
	s_cbranch_execz .LBB8_1468
.LBB8_1467:
	v_bfe_u32 v2, v7, 24, 3
	v_ffbh_u32_e32 v12, v2
	v_min_u32_e32 v12, 32, v12
	v_lshrrev_b32_e32 v10, 27, v7
	v_subrev_u32_e32 v13, 28, v12
	v_and_b32_e32 v6, 0x80000000, v7
	v_and_b32_e32 v10, 15, v10
	v_bfe_u32 v11, v7, 27, 4
	v_lshlrev_b32_sdwa v7, v13, v7 dst_sel:DWORD dst_unused:UNUSED_PAD src0_sel:DWORD src1_sel:BYTE_3
	v_sub_u32_e32 v12, 29, v12
	v_and_b32_e32 v7, 7, v7
	v_cmp_eq_u16_e32 vcc, 0, v10
	v_cndmask_b32_e32 v2, v2, v7, vcc
	v_cndmask_b32_e32 v7, v11, v12, vcc
	v_mov_b32_e32 v10, 0x3b800000
	v_lshlrev_b32_e32 v2, 20, v2
	v_lshl_add_u32 v7, v7, 23, v10
	v_or3_b32 v2, v6, v7, v2
.LBB8_1468:
	s_or_b64 exec, exec, s[6:7]
	s_movk_i32 s4, 0x7f
	v_cmp_gt_i16_sdwa s[6:7], v3, s4 src0_sel:BYTE_3 src1_sel:DWORD
	s_mov_b64 s[4:5], 0
                                        ; implicit-def: $sgpr10
	s_and_saveexec_b64 s[8:9], s[6:7]
	s_xor_b64 s[6:7], exec, s[8:9]
	s_cbranch_execnz .LBB8_3517
; %bb.1469:
	s_or_saveexec_b64 s[6:7], s[6:7]
	v_mov_b32_e32 v6, s10
	s_xor_b64 exec, exec, s[6:7]
	s_cbranch_execnz .LBB8_3520
.LBB8_1470:
	s_or_b64 exec, exec, s[6:7]
	s_and_saveexec_b64 s[6:7], s[4:5]
	s_cbranch_execz .LBB8_1472
.LBB8_1471:
	v_bfe_u32 v6, v3, 24, 3
	v_ffbh_u32_e32 v12, v6
	v_min_u32_e32 v12, 32, v12
	v_lshrrev_b32_e32 v10, 27, v3
	v_subrev_u32_e32 v13, 28, v12
	v_and_b32_e32 v7, 0x80000000, v3
	v_and_b32_e32 v10, 15, v10
	v_bfe_u32 v11, v3, 27, 4
	v_lshlrev_b32_sdwa v3, v13, v3 dst_sel:DWORD dst_unused:UNUSED_PAD src0_sel:DWORD src1_sel:BYTE_3
	v_sub_u32_e32 v12, 29, v12
	v_and_b32_e32 v3, 7, v3
	v_cmp_eq_u16_e32 vcc, 0, v10
	v_cndmask_b32_e32 v3, v6, v3, vcc
	v_cndmask_b32_e32 v6, v11, v12, vcc
	v_mov_b32_e32 v10, 0x3b800000
	v_lshlrev_b32_e32 v3, 20, v3
	v_lshl_add_u32 v6, v6, 23, v10
	v_or3_b32 v6, v7, v6, v3
.LBB8_1472:
	s_or_b64 exec, exec, s[6:7]
	s_nop 0
	v_mfma_f32_16x16x4f32 a[0:3], v2, v6, a[0:3]
	s_movk_i32 s4, 0x7f
	v_cmp_gt_i16_sdwa s[6:7], v8, s4 src0_sel:BYTE_0 src1_sel:DWORD
	s_mov_b64 s[4:5], 0
                                        ; implicit-def: $sgpr10
	s_and_saveexec_b64 s[8:9], s[6:7]
	s_xor_b64 s[6:7], exec, s[8:9]
	s_cbranch_execnz .LBB8_3521
; %bb.1473:
	s_or_saveexec_b64 s[6:7], s[6:7]
	v_mov_b32_e32 v2, s10
	s_xor_b64 exec, exec, s[6:7]
	s_cbranch_execnz .LBB8_3524
.LBB8_1474:
	s_or_b64 exec, exec, s[6:7]
	s_and_saveexec_b64 s[6:7], s[4:5]
	s_cbranch_execz .LBB8_1476
.LBB8_1475:
	v_and_b32_e32 v2, 7, v8
	v_ffbh_u32_e32 v6, v2
	v_min_u32_e32 v6, 32, v6
	v_lshrrev_b16_e32 v3, 3, v8
	v_subrev_u32_e32 v7, 28, v6
	v_and_b32_e32 v3, 15, v3
	v_lshlrev_b32_e32 v7, v7, v8
	v_sub_u32_e32 v6, 29, v6
	v_and_b32_e32 v7, 7, v7
	v_cmp_eq_u16_e32 vcc, 0, v3
	v_cndmask_b32_e32 v2, v2, v7, vcc
	v_cndmask_b32_e32 v3, v3, v6, vcc
	v_lshlrev_b32_e32 v6, 24, v8
	v_mov_b32_e32 v7, 0x3b800000
	v_lshlrev_b32_e32 v2, 20, v2
	v_and_b32_e32 v6, 0x80000000, v6
	v_lshl_add_u32 v3, v3, 23, v7
	v_or3_b32 v2, v6, v3, v2
.LBB8_1476:
	s_or_b64 exec, exec, s[6:7]
	s_movk_i32 s4, 0x7f
	v_cmp_gt_i16_sdwa s[6:7], v4, s4 src0_sel:BYTE_0 src1_sel:DWORD
	s_mov_b64 s[4:5], 0
                                        ; implicit-def: $sgpr10
	s_and_saveexec_b64 s[8:9], s[6:7]
	s_xor_b64 s[6:7], exec, s[8:9]
	s_cbranch_execnz .LBB8_3525
; %bb.1477:
	s_or_saveexec_b64 s[6:7], s[6:7]
	v_mov_b32_e32 v3, s10
	s_xor_b64 exec, exec, s[6:7]
	s_cbranch_execnz .LBB8_3528
.LBB8_1478:
	s_or_b64 exec, exec, s[6:7]
	s_and_saveexec_b64 s[6:7], s[4:5]
	s_cbranch_execz .LBB8_1480
.LBB8_1479:
	v_and_b32_e32 v3, 7, v4
	v_ffbh_u32_e32 v7, v3
	v_min_u32_e32 v7, 32, v7
	v_lshrrev_b16_e32 v6, 3, v4
	v_subrev_u32_e32 v10, 28, v7
	v_and_b32_e32 v6, 15, v6
	v_lshlrev_b32_e32 v10, v10, v4
	v_sub_u32_e32 v7, 29, v7
	v_and_b32_e32 v10, 7, v10
	v_cmp_eq_u16_e32 vcc, 0, v6
	v_cndmask_b32_e32 v3, v3, v10, vcc
	v_cndmask_b32_e32 v6, v6, v7, vcc
	v_lshlrev_b32_e32 v7, 24, v4
	v_mov_b32_e32 v10, 0x3b800000
	v_lshlrev_b32_e32 v3, 20, v3
	v_and_b32_e32 v7, 0x80000000, v7
	v_lshl_add_u32 v6, v6, 23, v10
	v_or3_b32 v3, v7, v6, v3
.LBB8_1480:
	s_or_b64 exec, exec, s[6:7]
	s_nop 0
	v_mfma_f32_16x16x4f32 a[0:3], v2, v3, a[0:3]
	v_lshrrev_b32_e32 v3, 8, v8
	s_movk_i32 s4, 0x7f
	v_cmp_gt_i16_sdwa s[6:7], v3, s4 src0_sel:BYTE_0 src1_sel:DWORD
	s_mov_b64 s[4:5], 0
                                        ; implicit-def: $sgpr10
	s_and_saveexec_b64 s[8:9], s[6:7]
	s_xor_b64 s[6:7], exec, s[8:9]
	s_cbranch_execnz .LBB8_3529
; %bb.1481:
	s_or_saveexec_b64 s[6:7], s[6:7]
	v_mov_b32_e32 v2, s10
	s_xor_b64 exec, exec, s[6:7]
	s_cbranch_execnz .LBB8_3532
.LBB8_1482:
	s_or_b64 exec, exec, s[6:7]
	s_and_saveexec_b64 s[6:7], s[4:5]
	s_cbranch_execz .LBB8_1484
.LBB8_1483:
	v_bfe_u32 v2, v8, 8, 3
	v_ffbh_u32_e32 v7, v2
	v_min_u32_e32 v7, 32, v7
	v_lshrrev_b16_e32 v6, 3, v3
	v_subrev_u32_e32 v10, 28, v7
	v_and_b32_e32 v6, 15, v6
	v_lshlrev_b32_e32 v3, v10, v3
	v_sub_u32_e32 v7, 29, v7
	v_and_b32_e32 v3, 7, v3
	v_cmp_eq_u16_e32 vcc, 0, v6
	v_cndmask_b32_e32 v2, v2, v3, vcc
	v_cndmask_b32_e32 v3, v6, v7, vcc
	v_lshlrev_b32_e32 v6, 16, v8
	v_mov_b32_e32 v7, 0x3b800000
	v_lshlrev_b32_e32 v2, 20, v2
	v_and_b32_e32 v6, 0x80000000, v6
	v_lshl_add_u32 v3, v3, 23, v7
	v_or3_b32 v2, v6, v3, v2
.LBB8_1484:
	s_or_b64 exec, exec, s[6:7]
	v_lshrrev_b32_e32 v3, 8, v4
	s_movk_i32 s4, 0x7f
	v_cmp_gt_i16_sdwa s[6:7], v3, s4 src0_sel:BYTE_0 src1_sel:DWORD
	s_mov_b64 s[4:5], 0
                                        ; implicit-def: $sgpr10
	s_and_saveexec_b64 s[8:9], s[6:7]
	s_xor_b64 s[6:7], exec, s[8:9]
	s_cbranch_execnz .LBB8_3533
; %bb.1485:
	s_or_saveexec_b64 s[6:7], s[6:7]
	v_mov_b32_e32 v6, s10
	s_xor_b64 exec, exec, s[6:7]
	s_cbranch_execnz .LBB8_3536
.LBB8_1486:
	s_or_b64 exec, exec, s[6:7]
	s_and_saveexec_b64 s[6:7], s[4:5]
	s_cbranch_execz .LBB8_1488
.LBB8_1487:
	v_bfe_u32 v6, v4, 8, 3
	v_ffbh_u32_e32 v10, v6
	v_min_u32_e32 v10, 32, v10
	v_lshrrev_b16_e32 v7, 3, v3
	v_subrev_u32_e32 v11, 28, v10
	v_and_b32_e32 v7, 15, v7
	v_lshlrev_b32_e32 v3, v11, v3
	v_sub_u32_e32 v10, 29, v10
	v_and_b32_e32 v3, 7, v3
	v_cmp_eq_u16_e32 vcc, 0, v7
	v_cndmask_b32_e32 v3, v6, v3, vcc
	v_cndmask_b32_e32 v6, v7, v10, vcc
	v_lshlrev_b32_e32 v7, 16, v4
	v_mov_b32_e32 v10, 0x3b800000
	v_lshlrev_b32_e32 v3, 20, v3
	v_and_b32_e32 v7, 0x80000000, v7
	v_lshl_add_u32 v6, v6, 23, v10
	v_or3_b32 v6, v7, v6, v3
.LBB8_1488:
	s_or_b64 exec, exec, s[6:7]
	s_nop 0
	v_mfma_f32_16x16x4f32 a[0:3], v2, v6, a[0:3]
	s_movk_i32 s4, 0xff
	v_and_b32_sdwa v3, v8, s4 dst_sel:DWORD dst_unused:UNUSED_PAD src0_sel:WORD_1 src1_sel:DWORD
	s_movk_i32 s4, 0x7f
	v_cmp_lt_i16_e32 vcc, s4, v3
	s_mov_b64 s[4:5], 0
                                        ; implicit-def: $sgpr10
	s_and_saveexec_b64 s[6:7], vcc
	s_xor_b64 s[6:7], exec, s[6:7]
	s_cbranch_execnz .LBB8_3537
; %bb.1489:
	s_or_saveexec_b64 s[6:7], s[6:7]
	v_mov_b32_e32 v2, s10
	s_xor_b64 exec, exec, s[6:7]
	s_cbranch_execnz .LBB8_3540
.LBB8_1490:
	s_or_b64 exec, exec, s[6:7]
	s_and_saveexec_b64 s[6:7], s[4:5]
	s_cbranch_execz .LBB8_1492
.LBB8_1491:
	v_bfe_u32 v2, v8, 16, 3
	v_ffbh_u32_e32 v7, v2
	v_min_u32_e32 v7, 32, v7
	v_lshrrev_b32_e32 v3, 19, v8
	v_subrev_u32_e32 v10, 28, v7
	v_and_b32_e32 v3, 15, v3
	v_lshlrev_b32_sdwa v10, v10, v8 dst_sel:DWORD dst_unused:UNUSED_PAD src0_sel:DWORD src1_sel:WORD_1
	v_bfe_u32 v6, v8, 19, 4
	v_sub_u32_e32 v7, 29, v7
	v_and_b32_e32 v10, 7, v10
	v_cmp_eq_u16_e32 vcc, 0, v3
	v_cndmask_b32_e32 v2, v2, v10, vcc
	v_cndmask_b32_e32 v3, v6, v7, vcc
	v_lshlrev_b32_e32 v6, 8, v8
	v_mov_b32_e32 v7, 0x3b800000
	v_lshlrev_b32_e32 v2, 20, v2
	v_and_b32_e32 v6, 0x80000000, v6
	v_lshl_add_u32 v3, v3, 23, v7
	v_or3_b32 v2, v6, v3, v2
.LBB8_1492:
	s_or_b64 exec, exec, s[6:7]
	s_movk_i32 s4, 0xff
	v_and_b32_sdwa v3, v4, s4 dst_sel:DWORD dst_unused:UNUSED_PAD src0_sel:WORD_1 src1_sel:DWORD
	s_movk_i32 s4, 0x7f
	v_cmp_lt_i16_e32 vcc, s4, v3
	s_mov_b64 s[4:5], 0
                                        ; implicit-def: $sgpr10
	s_and_saveexec_b64 s[6:7], vcc
	s_xor_b64 s[6:7], exec, s[6:7]
	s_cbranch_execnz .LBB8_3541
; %bb.1493:
	s_or_saveexec_b64 s[6:7], s[6:7]
	v_mov_b32_e32 v6, s10
	s_xor_b64 exec, exec, s[6:7]
	s_cbranch_execnz .LBB8_3544
.LBB8_1494:
	s_or_b64 exec, exec, s[6:7]
	s_and_saveexec_b64 s[6:7], s[4:5]
	s_cbranch_execz .LBB8_1496
.LBB8_1495:
	v_bfe_u32 v3, v4, 16, 3
	v_ffbh_u32_e32 v10, v3
	v_min_u32_e32 v10, 32, v10
	v_lshrrev_b32_e32 v6, 19, v4
	v_subrev_u32_e32 v11, 28, v10
	v_and_b32_e32 v6, 15, v6
	v_lshlrev_b32_sdwa v11, v11, v4 dst_sel:DWORD dst_unused:UNUSED_PAD src0_sel:DWORD src1_sel:WORD_1
	v_bfe_u32 v7, v4, 19, 4
	v_sub_u32_e32 v10, 29, v10
	v_and_b32_e32 v11, 7, v11
	v_cmp_eq_u16_e32 vcc, 0, v6
	v_cndmask_b32_e32 v3, v3, v11, vcc
	v_cndmask_b32_e32 v6, v7, v10, vcc
	v_lshlrev_b32_e32 v7, 8, v4
	v_mov_b32_e32 v10, 0x3b800000
	v_lshlrev_b32_e32 v3, 20, v3
	v_and_b32_e32 v7, 0x80000000, v7
	v_lshl_add_u32 v6, v6, 23, v10
	v_or3_b32 v6, v7, v6, v3
.LBB8_1496:
	s_or_b64 exec, exec, s[6:7]
	s_nop 0
	v_mfma_f32_16x16x4f32 a[0:3], v2, v6, a[0:3]
	s_movk_i32 s4, 0x7f
	v_cmp_gt_i16_sdwa s[6:7], v8, s4 src0_sel:BYTE_3 src1_sel:DWORD
	s_mov_b64 s[4:5], 0
                                        ; implicit-def: $sgpr10
	s_and_saveexec_b64 s[8:9], s[6:7]
	s_xor_b64 s[6:7], exec, s[8:9]
	s_cbranch_execnz .LBB8_3545
; %bb.1497:
	s_or_saveexec_b64 s[6:7], s[6:7]
	v_mov_b32_e32 v2, s10
	s_xor_b64 exec, exec, s[6:7]
	s_cbranch_execnz .LBB8_3548
.LBB8_1498:
	s_or_b64 exec, exec, s[6:7]
	s_and_saveexec_b64 s[6:7], s[4:5]
	s_cbranch_execz .LBB8_1500
.LBB8_1499:
	v_bfe_u32 v2, v8, 24, 3
	v_ffbh_u32_e32 v10, v2
	v_min_u32_e32 v10, 32, v10
	v_lshrrev_b32_e32 v6, 27, v8
	v_subrev_u32_e32 v11, 28, v10
	v_and_b32_e32 v3, 0x80000000, v8
	v_and_b32_e32 v6, 15, v6
	v_bfe_u32 v7, v8, 27, 4
	v_lshlrev_b32_sdwa v8, v11, v8 dst_sel:DWORD dst_unused:UNUSED_PAD src0_sel:DWORD src1_sel:BYTE_3
	v_sub_u32_e32 v10, 29, v10
	v_and_b32_e32 v8, 7, v8
	v_cmp_eq_u16_e32 vcc, 0, v6
	v_cndmask_b32_e32 v2, v2, v8, vcc
	v_cndmask_b32_e32 v6, v7, v10, vcc
	v_mov_b32_e32 v7, 0x3b800000
	v_lshlrev_b32_e32 v2, 20, v2
	v_lshl_add_u32 v6, v6, 23, v7
	v_or3_b32 v2, v3, v6, v2
.LBB8_1500:
	s_or_b64 exec, exec, s[6:7]
	s_movk_i32 s4, 0x7f
	v_cmp_gt_i16_sdwa s[6:7], v4, s4 src0_sel:BYTE_3 src1_sel:DWORD
	s_mov_b64 s[4:5], 0
                                        ; implicit-def: $sgpr10
	s_and_saveexec_b64 s[8:9], s[6:7]
	s_xor_b64 s[6:7], exec, s[8:9]
	s_cbranch_execnz .LBB8_3549
; %bb.1501:
	s_or_saveexec_b64 s[6:7], s[6:7]
	v_mov_b32_e32 v3, s10
	s_xor_b64 exec, exec, s[6:7]
	s_cbranch_execnz .LBB8_3552
.LBB8_1502:
	s_or_b64 exec, exec, s[6:7]
	s_and_saveexec_b64 s[6:7], s[4:5]
	s_cbranch_execz .LBB8_1504
.LBB8_1503:
	v_bfe_u32 v3, v4, 24, 3
	v_ffbh_u32_e32 v10, v3
	v_min_u32_e32 v10, 32, v10
	v_lshrrev_b32_e32 v7, 27, v4
	v_subrev_u32_e32 v11, 28, v10
	v_and_b32_e32 v6, 0x80000000, v4
	v_and_b32_e32 v7, 15, v7
	v_bfe_u32 v8, v4, 27, 4
	v_lshlrev_b32_sdwa v4, v11, v4 dst_sel:DWORD dst_unused:UNUSED_PAD src0_sel:DWORD src1_sel:BYTE_3
	v_sub_u32_e32 v10, 29, v10
	v_and_b32_e32 v4, 7, v4
	v_cmp_eq_u16_e32 vcc, 0, v7
	v_cndmask_b32_e32 v3, v3, v4, vcc
	v_cndmask_b32_e32 v4, v8, v10, vcc
	v_mov_b32_e32 v7, 0x3b800000
	v_lshlrev_b32_e32 v3, 20, v3
	v_lshl_add_u32 v4, v4, 23, v7
	v_or3_b32 v3, v6, v4, v3
.LBB8_1504:
	s_or_b64 exec, exec, s[6:7]
	s_nop 0
	v_mfma_f32_16x16x4f32 a[0:3], v2, v3, a[0:3]
	s_movk_i32 s4, 0x7f
	v_cmp_gt_i16_sdwa s[6:7], v9, s4 src0_sel:BYTE_0 src1_sel:DWORD
	s_mov_b64 s[4:5], 0
                                        ; implicit-def: $sgpr10
	s_and_saveexec_b64 s[8:9], s[6:7]
	s_xor_b64 s[6:7], exec, s[8:9]
	s_cbranch_execnz .LBB8_3553
; %bb.1505:
	s_or_saveexec_b64 s[6:7], s[6:7]
	v_mov_b32_e32 v2, s10
	s_xor_b64 exec, exec, s[6:7]
	s_cbranch_execnz .LBB8_3556
.LBB8_1506:
	s_or_b64 exec, exec, s[6:7]
	s_and_saveexec_b64 s[6:7], s[4:5]
	s_cbranch_execz .LBB8_1508
.LBB8_1507:
	v_mov_b32_e32 v2, 8
	v_and_b32_e32 v3, 7, v9
	v_lshrrev_b32_sdwa v2, v2, v9 dst_sel:BYTE_1 dst_unused:UNUSED_PAD src0_sel:DWORD src1_sel:DWORD
	v_ffbh_u32_e32 v4, v3
	v_or_b32_sdwa v2, v9, v2 dst_sel:DWORD dst_unused:UNUSED_PAD src0_sel:BYTE_0 src1_sel:DWORD
	v_min_u32_e32 v4, 32, v4
	v_lshrrev_b16_e32 v2, 3, v2
	v_subrev_u32_e32 v6, 28, v4
	v_and_b32_e32 v2, 15, v2
	v_lshlrev_b32_e32 v6, v6, v9
	v_sub_u32_e32 v4, 29, v4
	v_and_b32_e32 v6, 7, v6
	v_cmp_eq_u16_e32 vcc, 0, v2
	v_cndmask_b32_e32 v3, v3, v6, vcc
	v_cndmask_b32_e32 v2, v2, v4, vcc
	v_lshlrev_b32_e32 v4, 24, v9
	v_mov_b32_e32 v6, 0x3b800000
	v_lshlrev_b32_e32 v3, 20, v3
	v_and_b32_e32 v4, 0x80000000, v4
	v_lshl_add_u32 v2, v2, 23, v6
	v_or3_b32 v2, v4, v2, v3
.LBB8_1508:
	s_or_b64 exec, exec, s[6:7]
	s_movk_i32 s4, 0x7f
	v_cmp_gt_i16_sdwa s[6:7], v5, s4 src0_sel:BYTE_0 src1_sel:DWORD
	s_mov_b64 s[4:5], 0
                                        ; implicit-def: $sgpr10
	s_and_saveexec_b64 s[8:9], s[6:7]
	s_xor_b64 s[6:7], exec, s[8:9]
	s_cbranch_execnz .LBB8_3557
; %bb.1509:
	s_or_saveexec_b64 s[6:7], s[6:7]
	v_mov_b32_e32 v3, s10
	s_xor_b64 exec, exec, s[6:7]
	s_cbranch_execnz .LBB8_3560
.LBB8_1510:
	s_or_b64 exec, exec, s[6:7]
	s_and_saveexec_b64 s[6:7], s[4:5]
	s_cbranch_execz .LBB8_1512
.LBB8_1511:
	v_mov_b32_e32 v3, 8
	v_and_b32_e32 v4, 7, v5
	v_lshrrev_b32_sdwa v3, v3, v5 dst_sel:BYTE_1 dst_unused:UNUSED_PAD src0_sel:DWORD src1_sel:DWORD
	v_ffbh_u32_e32 v6, v4
	v_or_b32_sdwa v3, v5, v3 dst_sel:DWORD dst_unused:UNUSED_PAD src0_sel:BYTE_0 src1_sel:DWORD
	v_min_u32_e32 v6, 32, v6
	v_lshrrev_b16_e32 v3, 3, v3
	v_subrev_u32_e32 v7, 28, v6
	v_and_b32_e32 v3, 15, v3
	v_lshlrev_b32_e32 v7, v7, v5
	v_sub_u32_e32 v6, 29, v6
	v_and_b32_e32 v7, 7, v7
	v_cmp_eq_u16_e32 vcc, 0, v3
	v_cndmask_b32_e32 v4, v4, v7, vcc
	v_cndmask_b32_e32 v3, v3, v6, vcc
	v_lshlrev_b32_e32 v6, 24, v5
	v_mov_b32_e32 v7, 0x3b800000
	v_lshlrev_b32_e32 v4, 20, v4
	v_and_b32_e32 v6, 0x80000000, v6
	v_lshl_add_u32 v3, v3, 23, v7
	v_or3_b32 v3, v6, v3, v4
.LBB8_1512:
	s_or_b64 exec, exec, s[6:7]
	s_nop 0
	v_mfma_f32_16x16x4f32 a[0:3], v2, v3, a[0:3]
	v_lshrrev_b32_e32 v3, 8, v9
	s_movk_i32 s4, 0x7f
	v_cmp_gt_i16_sdwa s[6:7], v3, s4 src0_sel:BYTE_0 src1_sel:DWORD
	s_mov_b64 s[4:5], 0
                                        ; implicit-def: $sgpr10
	s_and_saveexec_b64 s[8:9], s[6:7]
	s_xor_b64 s[6:7], exec, s[8:9]
	s_cbranch_execnz .LBB8_3561
; %bb.1513:
	s_or_saveexec_b64 s[6:7], s[6:7]
	v_mov_b32_e32 v2, s10
	s_xor_b64 exec, exec, s[6:7]
	s_cbranch_execnz .LBB8_3564
.LBB8_1514:
	s_or_b64 exec, exec, s[6:7]
	s_and_saveexec_b64 s[6:7], s[4:5]
	s_cbranch_execz .LBB8_1516
.LBB8_1515:
	v_bfe_u32 v2, v9, 8, 3
	v_ffbh_u32_e32 v6, v2
	v_min_u32_e32 v6, 32, v6
	v_lshrrev_b16_e32 v4, 3, v3
	v_subrev_u32_e32 v7, 28, v6
	v_and_b32_e32 v4, 15, v4
	v_lshlrev_b32_e32 v3, v7, v3
	v_sub_u32_e32 v6, 29, v6
	v_and_b32_e32 v3, 7, v3
	v_cmp_eq_u16_e32 vcc, 0, v4
	v_cndmask_b32_e32 v2, v2, v3, vcc
	v_cndmask_b32_e32 v3, v4, v6, vcc
	v_lshlrev_b32_e32 v4, 16, v9
	v_mov_b32_e32 v6, 0x3b800000
	v_lshlrev_b32_e32 v2, 20, v2
	v_and_b32_e32 v4, 0x80000000, v4
	v_lshl_add_u32 v3, v3, 23, v6
	v_or3_b32 v2, v4, v3, v2
.LBB8_1516:
	s_or_b64 exec, exec, s[6:7]
	v_lshrrev_b32_e32 v3, 8, v5
	s_movk_i32 s4, 0x7f
	v_cmp_gt_i16_sdwa s[6:7], v3, s4 src0_sel:BYTE_0 src1_sel:DWORD
	s_mov_b64 s[4:5], 0
                                        ; implicit-def: $sgpr10
	s_and_saveexec_b64 s[8:9], s[6:7]
	s_xor_b64 s[6:7], exec, s[8:9]
	s_cbranch_execnz .LBB8_3565
; %bb.1517:
	s_or_saveexec_b64 s[6:7], s[6:7]
	v_mov_b32_e32 v4, s10
	s_xor_b64 exec, exec, s[6:7]
	s_cbranch_execnz .LBB8_3568
.LBB8_1518:
	s_or_b64 exec, exec, s[6:7]
	s_and_saveexec_b64 s[6:7], s[4:5]
	s_cbranch_execz .LBB8_1520
.LBB8_1519:
	v_bfe_u32 v4, v5, 8, 3
	v_ffbh_u32_e32 v7, v4
	v_min_u32_e32 v7, 32, v7
	v_lshrrev_b16_e32 v6, 3, v3
	v_subrev_u32_e32 v8, 28, v7
	v_and_b32_e32 v6, 15, v6
	v_lshlrev_b32_e32 v3, v8, v3
	v_sub_u32_e32 v7, 29, v7
	v_and_b32_e32 v3, 7, v3
	v_cmp_eq_u16_e32 vcc, 0, v6
	v_cndmask_b32_e32 v3, v4, v3, vcc
	v_cndmask_b32_e32 v4, v6, v7, vcc
	v_lshlrev_b32_e32 v6, 16, v5
	v_mov_b32_e32 v7, 0x3b800000
	v_lshlrev_b32_e32 v3, 20, v3
	v_and_b32_e32 v6, 0x80000000, v6
	v_lshl_add_u32 v4, v4, 23, v7
	v_or3_b32 v4, v6, v4, v3
.LBB8_1520:
	s_or_b64 exec, exec, s[6:7]
	s_nop 0
	v_mfma_f32_16x16x4f32 a[0:3], v2, v4, a[0:3]
	s_movk_i32 s4, 0xff
	v_and_b32_sdwa v3, v9, s4 dst_sel:DWORD dst_unused:UNUSED_PAD src0_sel:WORD_1 src1_sel:DWORD
	s_movk_i32 s4, 0x7f
	v_cmp_lt_i16_e32 vcc, s4, v3
	s_mov_b64 s[4:5], 0
                                        ; implicit-def: $sgpr10
	s_and_saveexec_b64 s[6:7], vcc
	s_xor_b64 s[6:7], exec, s[6:7]
	s_cbranch_execnz .LBB8_3569
; %bb.1521:
	s_or_saveexec_b64 s[6:7], s[6:7]
	v_mov_b32_e32 v2, s10
	s_xor_b64 exec, exec, s[6:7]
	s_cbranch_execnz .LBB8_3572
.LBB8_1522:
	s_or_b64 exec, exec, s[6:7]
	s_and_saveexec_b64 s[6:7], s[4:5]
	s_cbranch_execz .LBB8_1524
.LBB8_1523:
	v_bfe_u32 v2, v9, 16, 3
	v_ffbh_u32_e32 v6, v2
	v_min_u32_e32 v6, 32, v6
	v_lshrrev_b32_e32 v3, 19, v9
	v_subrev_u32_e32 v7, 28, v6
	v_and_b32_e32 v3, 15, v3
	v_lshlrev_b32_sdwa v7, v7, v9 dst_sel:DWORD dst_unused:UNUSED_PAD src0_sel:DWORD src1_sel:WORD_1
	v_bfe_u32 v4, v9, 19, 4
	v_sub_u32_e32 v6, 29, v6
	v_and_b32_e32 v7, 7, v7
	v_cmp_eq_u16_e32 vcc, 0, v3
	v_cndmask_b32_e32 v2, v2, v7, vcc
	v_cndmask_b32_e32 v3, v4, v6, vcc
	v_lshlrev_b32_e32 v4, 8, v9
	v_mov_b32_e32 v6, 0x3b800000
	v_lshlrev_b32_e32 v2, 20, v2
	v_and_b32_e32 v4, 0x80000000, v4
	v_lshl_add_u32 v3, v3, 23, v6
	v_or3_b32 v2, v4, v3, v2
.LBB8_1524:
	s_or_b64 exec, exec, s[6:7]
	s_movk_i32 s4, 0xff
	v_and_b32_sdwa v3, v5, s4 dst_sel:DWORD dst_unused:UNUSED_PAD src0_sel:WORD_1 src1_sel:DWORD
	s_movk_i32 s4, 0x7f
	v_cmp_lt_i16_e32 vcc, s4, v3
	s_mov_b64 s[4:5], 0
                                        ; implicit-def: $sgpr10
	s_and_saveexec_b64 s[6:7], vcc
	s_xor_b64 s[6:7], exec, s[6:7]
	s_cbranch_execnz .LBB8_3573
; %bb.1525:
	s_or_saveexec_b64 s[6:7], s[6:7]
	v_mov_b32_e32 v4, s10
	s_xor_b64 exec, exec, s[6:7]
	s_cbranch_execnz .LBB8_3576
.LBB8_1526:
	s_or_b64 exec, exec, s[6:7]
	s_and_saveexec_b64 s[6:7], s[4:5]
	s_cbranch_execz .LBB8_1528
.LBB8_1527:
	v_bfe_u32 v3, v5, 16, 3
	v_ffbh_u32_e32 v7, v3
	v_min_u32_e32 v7, 32, v7
	v_lshrrev_b32_e32 v4, 19, v5
	v_subrev_u32_e32 v8, 28, v7
	v_and_b32_e32 v4, 15, v4
	v_lshlrev_b32_sdwa v8, v8, v5 dst_sel:DWORD dst_unused:UNUSED_PAD src0_sel:DWORD src1_sel:WORD_1
	v_bfe_u32 v6, v5, 19, 4
	v_sub_u32_e32 v7, 29, v7
	v_and_b32_e32 v8, 7, v8
	v_cmp_eq_u16_e32 vcc, 0, v4
	v_cndmask_b32_e32 v3, v3, v8, vcc
	v_cndmask_b32_e32 v4, v6, v7, vcc
	v_lshlrev_b32_e32 v6, 8, v5
	v_mov_b32_e32 v7, 0x3b800000
	v_lshlrev_b32_e32 v3, 20, v3
	v_and_b32_e32 v6, 0x80000000, v6
	v_lshl_add_u32 v4, v4, 23, v7
	v_or3_b32 v4, v6, v4, v3
.LBB8_1528:
	s_or_b64 exec, exec, s[6:7]
	s_nop 0
	v_mfma_f32_16x16x4f32 a[0:3], v2, v4, a[0:3]
	s_movk_i32 s4, 0x7f
	v_cmp_gt_i16_sdwa s[6:7], v9, s4 src0_sel:BYTE_3 src1_sel:DWORD
	s_mov_b64 s[4:5], 0
                                        ; implicit-def: $sgpr10
	s_and_saveexec_b64 s[8:9], s[6:7]
	s_xor_b64 s[6:7], exec, s[8:9]
	s_cbranch_execnz .LBB8_3577
; %bb.1529:
	s_or_saveexec_b64 s[6:7], s[6:7]
	v_mov_b32_e32 v2, s10
	s_xor_b64 exec, exec, s[6:7]
	s_cbranch_execnz .LBB8_3580
.LBB8_1530:
	s_or_b64 exec, exec, s[6:7]
	s_and_saveexec_b64 s[6:7], s[4:5]
	s_cbranch_execz .LBB8_1532
.LBB8_1531:
	v_bfe_u32 v2, v9, 24, 3
	v_ffbh_u32_e32 v7, v2
	v_min_u32_e32 v7, 32, v7
	v_lshrrev_b32_e32 v4, 27, v9
	v_subrev_u32_e32 v8, 28, v7
	v_and_b32_e32 v4, 15, v4
	v_lshlrev_b32_sdwa v8, v8, v9 dst_sel:DWORD dst_unused:UNUSED_PAD src0_sel:DWORD src1_sel:BYTE_3
	v_bfe_u32 v6, v9, 27, 4
	v_sub_u32_e32 v7, 29, v7
	v_and_b32_e32 v8, 7, v8
	v_cmp_eq_u16_e32 vcc, 0, v4
	v_cndmask_b32_e32 v2, v2, v8, vcc
	v_cndmask_b32_e32 v4, v6, v7, vcc
	v_mov_b32_e32 v6, 0x3b800000
	v_and_b32_e32 v3, 0x80000000, v9
	v_lshlrev_b32_e32 v2, 20, v2
	v_lshl_add_u32 v4, v4, 23, v6
	v_or3_b32 v2, v3, v4, v2
.LBB8_1532:
	s_or_b64 exec, exec, s[6:7]
	s_movk_i32 s4, 0x7f
	v_cmp_gt_i16_sdwa s[6:7], v5, s4 src0_sel:BYTE_3 src1_sel:DWORD
	s_mov_b64 s[4:5], 0
                                        ; implicit-def: $sgpr10
	s_and_saveexec_b64 s[8:9], s[6:7]
	s_xor_b64 s[6:7], exec, s[8:9]
	s_cbranch_execnz .LBB8_3581
; %bb.1533:
	s_or_saveexec_b64 s[6:7], s[6:7]
	v_mov_b32_e32 v3, s10
	s_xor_b64 exec, exec, s[6:7]
	s_cbranch_execnz .LBB8_3584
.LBB8_1534:
	s_or_b64 exec, exec, s[6:7]
	s_and_saveexec_b64 s[6:7], s[4:5]
	s_cbranch_execz .LBB8_1536
.LBB8_1535:
	v_bfe_u32 v3, v5, 24, 3
	v_ffbh_u32_e32 v8, v3
	v_min_u32_e32 v8, 32, v8
	v_lshrrev_b32_e32 v6, 27, v5
	v_subrev_u32_e32 v9, 28, v8
	v_and_b32_e32 v4, 0x80000000, v5
	v_and_b32_e32 v6, 15, v6
	v_bfe_u32 v7, v5, 27, 4
	v_lshlrev_b32_sdwa v5, v9, v5 dst_sel:DWORD dst_unused:UNUSED_PAD src0_sel:DWORD src1_sel:BYTE_3
	v_sub_u32_e32 v8, 29, v8
	v_and_b32_e32 v5, 7, v5
	v_cmp_eq_u16_e32 vcc, 0, v6
	v_cndmask_b32_e32 v3, v3, v5, vcc
	v_cndmask_b32_e32 v5, v7, v8, vcc
	v_mov_b32_e32 v6, 0x3b800000
	v_lshlrev_b32_e32 v3, 20, v3
	v_lshl_add_u32 v5, v5, 23, v6
	v_or3_b32 v3, v4, v5, v3
.LBB8_1536:
	s_or_b64 exec, exec, s[6:7]
	s_nop 0
	v_mfma_f32_16x16x4f32 a[0:3], v2, v3, a[0:3]
	s_movk_i32 s4, 0x7f
                                        ; implicit-def: $sgpr10
	s_nop 7
	s_nop 1
	flat_store_dwordx4 v[18:19], a[0:3] offset:848
	flat_load_dwordx4 v[20:23], v[0:1] offset:16
	s_nop 0
	flat_load_dwordx2 v[18:19], v[0:1] offset:32
	s_waitcnt vmcnt(0) lgkmcnt(0)
	flat_load_dwordx4 v[14:17], v[20:21]
	flat_load_dwordx4 v[6:9], v[20:21] offset:16
	flat_load_dwordx4 v[10:13], v[22:23] offset:192
	flat_load_dwordx4 v[2:5], v[22:23] offset:208
	s_waitcnt vmcnt(0) lgkmcnt(0)
	v_cmp_gt_i16_sdwa s[6:7], v14, s4 src0_sel:BYTE_0 src1_sel:DWORD
	s_mov_b64 s[4:5], 0
	s_and_saveexec_b64 s[8:9], s[6:7]
	s_xor_b64 s[6:7], exec, s[8:9]
	s_cbranch_execnz .LBB8_3585
; %bb.1537:
	s_or_saveexec_b64 s[6:7], s[6:7]
	v_mov_b32_e32 v20, s10
	s_xor_b64 exec, exec, s[6:7]
	s_cbranch_execnz .LBB8_3588
.LBB8_1538:
	s_or_b64 exec, exec, s[6:7]
	s_and_saveexec_b64 s[6:7], s[4:5]
	s_cbranch_execz .LBB8_1540
.LBB8_1539:
	v_and_b32_e32 v20, 7, v14
	v_ffbh_u32_e32 v22, v20
	v_min_u32_e32 v22, 32, v22
	v_lshrrev_b16_e32 v21, 3, v14
	v_subrev_u32_e32 v23, 28, v22
	v_and_b32_e32 v21, 15, v21
	v_lshlrev_b32_e32 v23, v23, v14
	v_sub_u32_e32 v22, 29, v22
	v_and_b32_e32 v23, 7, v23
	v_cmp_eq_u16_e32 vcc, 0, v21
	v_cndmask_b32_e32 v20, v20, v23, vcc
	v_cndmask_b32_e32 v21, v21, v22, vcc
	v_lshlrev_b32_e32 v22, 24, v14
	v_mov_b32_e32 v23, 0x3b800000
	v_lshlrev_b32_e32 v20, 20, v20
	v_and_b32_e32 v22, 0x80000000, v22
	v_lshl_add_u32 v21, v21, 23, v23
	v_or3_b32 v20, v22, v21, v20
.LBB8_1540:
	s_or_b64 exec, exec, s[6:7]
	s_movk_i32 s4, 0x7f
	v_cmp_gt_i16_sdwa s[6:7], v10, s4 src0_sel:BYTE_0 src1_sel:DWORD
	s_mov_b64 s[4:5], 0
                                        ; implicit-def: $sgpr10
	s_and_saveexec_b64 s[8:9], s[6:7]
	s_xor_b64 s[6:7], exec, s[8:9]
	s_cbranch_execnz .LBB8_3589
; %bb.1541:
	s_or_saveexec_b64 s[6:7], s[6:7]
	v_mov_b32_e32 v21, s10
	s_xor_b64 exec, exec, s[6:7]
	s_cbranch_execnz .LBB8_3592
.LBB8_1542:
	s_or_b64 exec, exec, s[6:7]
	s_and_saveexec_b64 s[6:7], s[4:5]
	s_cbranch_execz .LBB8_1544
.LBB8_1543:
	v_and_b32_e32 v21, 7, v10
	v_ffbh_u32_e32 v23, v21
	v_min_u32_e32 v23, 32, v23
	v_lshrrev_b16_e32 v22, 3, v10
	v_subrev_u32_e32 v24, 28, v23
	v_and_b32_e32 v22, 15, v22
	v_lshlrev_b32_e32 v24, v24, v10
	v_sub_u32_e32 v23, 29, v23
	v_and_b32_e32 v24, 7, v24
	v_cmp_eq_u16_e32 vcc, 0, v22
	v_cndmask_b32_e32 v21, v21, v24, vcc
	v_cndmask_b32_e32 v22, v22, v23, vcc
	v_lshlrev_b32_e32 v23, 24, v10
	v_mov_b32_e32 v24, 0x3b800000
	v_lshlrev_b32_e32 v21, 20, v21
	v_and_b32_e32 v23, 0x80000000, v23
	v_lshl_add_u32 v22, v22, 23, v24
	v_or3_b32 v21, v23, v22, v21
.LBB8_1544:
	s_or_b64 exec, exec, s[6:7]
	flat_load_dwordx4 a[0:3], v[18:19] offset:864
	s_movk_i32 s4, 0x7f
                                        ; implicit-def: $sgpr10
	s_waitcnt vmcnt(0) lgkmcnt(0)
	v_mfma_f32_16x16x4f32 a[0:3], v20, v21, a[0:3]
	v_lshrrev_b32_e32 v21, 8, v14
	v_cmp_gt_i16_sdwa s[6:7], v21, s4 src0_sel:BYTE_0 src1_sel:DWORD
	s_mov_b64 s[4:5], 0
	s_and_saveexec_b64 s[8:9], s[6:7]
	s_xor_b64 s[6:7], exec, s[8:9]
	s_cbranch_execnz .LBB8_3593
; %bb.1545:
	s_or_saveexec_b64 s[6:7], s[6:7]
	v_mov_b32_e32 v20, s10
	s_xor_b64 exec, exec, s[6:7]
	s_cbranch_execnz .LBB8_3596
.LBB8_1546:
	s_or_b64 exec, exec, s[6:7]
	s_and_saveexec_b64 s[6:7], s[4:5]
	s_cbranch_execz .LBB8_1548
.LBB8_1547:
	v_bfe_u32 v20, v14, 8, 3
	v_ffbh_u32_e32 v23, v20
	v_min_u32_e32 v23, 32, v23
	v_lshrrev_b16_e32 v22, 3, v21
	v_subrev_u32_e32 v24, 28, v23
	v_and_b32_e32 v22, 15, v22
	v_lshlrev_b32_e32 v21, v24, v21
	v_sub_u32_e32 v23, 29, v23
	v_and_b32_e32 v21, 7, v21
	v_cmp_eq_u16_e32 vcc, 0, v22
	v_cndmask_b32_e32 v20, v20, v21, vcc
	v_cndmask_b32_e32 v21, v22, v23, vcc
	v_lshlrev_b32_e32 v22, 16, v14
	v_mov_b32_e32 v23, 0x3b800000
	v_lshlrev_b32_e32 v20, 20, v20
	v_and_b32_e32 v22, 0x80000000, v22
	v_lshl_add_u32 v21, v21, 23, v23
	v_or3_b32 v20, v22, v21, v20
.LBB8_1548:
	s_or_b64 exec, exec, s[6:7]
	v_lshrrev_b32_e32 v21, 8, v10
	s_movk_i32 s4, 0x7f
	v_cmp_gt_i16_sdwa s[6:7], v21, s4 src0_sel:BYTE_0 src1_sel:DWORD
	s_mov_b64 s[4:5], 0
                                        ; implicit-def: $sgpr10
	s_and_saveexec_b64 s[8:9], s[6:7]
	s_xor_b64 s[6:7], exec, s[8:9]
	s_cbranch_execnz .LBB8_3597
; %bb.1549:
	s_or_saveexec_b64 s[6:7], s[6:7]
	v_mov_b32_e32 v22, s10
	s_xor_b64 exec, exec, s[6:7]
	s_cbranch_execnz .LBB8_3600
.LBB8_1550:
	s_or_b64 exec, exec, s[6:7]
	s_and_saveexec_b64 s[6:7], s[4:5]
	s_cbranch_execz .LBB8_1552
.LBB8_1551:
	v_bfe_u32 v22, v10, 8, 3
	v_ffbh_u32_e32 v24, v22
	v_min_u32_e32 v24, 32, v24
	v_lshrrev_b16_e32 v23, 3, v21
	v_subrev_u32_e32 v25, 28, v24
	v_and_b32_e32 v23, 15, v23
	v_lshlrev_b32_e32 v21, v25, v21
	v_sub_u32_e32 v24, 29, v24
	v_and_b32_e32 v21, 7, v21
	v_cmp_eq_u16_e32 vcc, 0, v23
	v_cndmask_b32_e32 v21, v22, v21, vcc
	v_cndmask_b32_e32 v22, v23, v24, vcc
	v_lshlrev_b32_e32 v23, 16, v10
	v_mov_b32_e32 v24, 0x3b800000
	v_lshlrev_b32_e32 v21, 20, v21
	v_and_b32_e32 v23, 0x80000000, v23
	v_lshl_add_u32 v22, v22, 23, v24
	v_or3_b32 v22, v23, v22, v21
.LBB8_1552:
	s_or_b64 exec, exec, s[6:7]
	s_nop 0
	v_mfma_f32_16x16x4f32 a[0:3], v20, v22, a[0:3]
	s_movk_i32 s4, 0xff
	v_and_b32_sdwa v21, v14, s4 dst_sel:DWORD dst_unused:UNUSED_PAD src0_sel:WORD_1 src1_sel:DWORD
	s_movk_i32 s4, 0x7f
	v_cmp_lt_i16_e32 vcc, s4, v21
	s_mov_b64 s[4:5], 0
                                        ; implicit-def: $sgpr10
	s_and_saveexec_b64 s[6:7], vcc
	s_xor_b64 s[6:7], exec, s[6:7]
	s_cbranch_execnz .LBB8_3601
; %bb.1553:
	s_or_saveexec_b64 s[6:7], s[6:7]
	v_mov_b32_e32 v20, s10
	s_xor_b64 exec, exec, s[6:7]
	s_cbranch_execnz .LBB8_3604
.LBB8_1554:
	s_or_b64 exec, exec, s[6:7]
	s_and_saveexec_b64 s[6:7], s[4:5]
	s_cbranch_execz .LBB8_1556
.LBB8_1555:
	v_bfe_u32 v20, v14, 16, 3
	v_ffbh_u32_e32 v23, v20
	v_min_u32_e32 v23, 32, v23
	v_lshrrev_b32_e32 v21, 19, v14
	v_subrev_u32_e32 v24, 28, v23
	v_and_b32_e32 v21, 15, v21
	v_lshlrev_b32_sdwa v24, v24, v14 dst_sel:DWORD dst_unused:UNUSED_PAD src0_sel:DWORD src1_sel:WORD_1
	v_bfe_u32 v22, v14, 19, 4
	v_sub_u32_e32 v23, 29, v23
	v_and_b32_e32 v24, 7, v24
	v_cmp_eq_u16_e32 vcc, 0, v21
	v_cndmask_b32_e32 v20, v20, v24, vcc
	v_cndmask_b32_e32 v21, v22, v23, vcc
	v_lshlrev_b32_e32 v22, 8, v14
	v_mov_b32_e32 v23, 0x3b800000
	v_lshlrev_b32_e32 v20, 20, v20
	v_and_b32_e32 v22, 0x80000000, v22
	v_lshl_add_u32 v21, v21, 23, v23
	v_or3_b32 v20, v22, v21, v20
.LBB8_1556:
	s_or_b64 exec, exec, s[6:7]
	s_movk_i32 s4, 0xff
	v_and_b32_sdwa v21, v10, s4 dst_sel:DWORD dst_unused:UNUSED_PAD src0_sel:WORD_1 src1_sel:DWORD
	s_movk_i32 s4, 0x7f
	v_cmp_lt_i16_e32 vcc, s4, v21
	s_mov_b64 s[4:5], 0
                                        ; implicit-def: $sgpr10
	s_and_saveexec_b64 s[6:7], vcc
	s_xor_b64 s[6:7], exec, s[6:7]
	s_cbranch_execnz .LBB8_3605
; %bb.1557:
	s_or_saveexec_b64 s[6:7], s[6:7]
	v_mov_b32_e32 v22, s10
	s_xor_b64 exec, exec, s[6:7]
	s_cbranch_execnz .LBB8_3608
.LBB8_1558:
	s_or_b64 exec, exec, s[6:7]
	s_and_saveexec_b64 s[6:7], s[4:5]
	s_cbranch_execz .LBB8_1560
.LBB8_1559:
	v_bfe_u32 v21, v10, 16, 3
	v_ffbh_u32_e32 v24, v21
	v_min_u32_e32 v24, 32, v24
	v_lshrrev_b32_e32 v22, 19, v10
	v_subrev_u32_e32 v25, 28, v24
	v_and_b32_e32 v22, 15, v22
	v_lshlrev_b32_sdwa v25, v25, v10 dst_sel:DWORD dst_unused:UNUSED_PAD src0_sel:DWORD src1_sel:WORD_1
	v_bfe_u32 v23, v10, 19, 4
	v_sub_u32_e32 v24, 29, v24
	v_and_b32_e32 v25, 7, v25
	v_cmp_eq_u16_e32 vcc, 0, v22
	v_cndmask_b32_e32 v21, v21, v25, vcc
	v_cndmask_b32_e32 v22, v23, v24, vcc
	v_lshlrev_b32_e32 v23, 8, v10
	v_mov_b32_e32 v24, 0x3b800000
	v_lshlrev_b32_e32 v21, 20, v21
	v_and_b32_e32 v23, 0x80000000, v23
	v_lshl_add_u32 v22, v22, 23, v24
	v_or3_b32 v22, v23, v22, v21
.LBB8_1560:
	s_or_b64 exec, exec, s[6:7]
	s_nop 0
	v_mfma_f32_16x16x4f32 a[0:3], v20, v22, a[0:3]
	s_movk_i32 s4, 0x7f
	v_cmp_gt_i16_sdwa s[6:7], v14, s4 src0_sel:BYTE_3 src1_sel:DWORD
	s_mov_b64 s[4:5], 0
                                        ; implicit-def: $sgpr10
	s_and_saveexec_b64 s[8:9], s[6:7]
	s_xor_b64 s[6:7], exec, s[8:9]
	s_cbranch_execnz .LBB8_3609
; %bb.1561:
	s_or_saveexec_b64 s[6:7], s[6:7]
	v_mov_b32_e32 v20, s10
	s_xor_b64 exec, exec, s[6:7]
	s_cbranch_execnz .LBB8_3612
.LBB8_1562:
	s_or_b64 exec, exec, s[6:7]
	s_and_saveexec_b64 s[6:7], s[4:5]
	s_cbranch_execz .LBB8_1564
.LBB8_1563:
	v_bfe_u32 v20, v14, 24, 3
	v_ffbh_u32_e32 v24, v20
	v_min_u32_e32 v24, 32, v24
	v_lshrrev_b32_e32 v22, 27, v14
	v_subrev_u32_e32 v25, 28, v24
	v_and_b32_e32 v21, 0x80000000, v14
	v_and_b32_e32 v22, 15, v22
	v_bfe_u32 v23, v14, 27, 4
	v_lshlrev_b32_sdwa v14, v25, v14 dst_sel:DWORD dst_unused:UNUSED_PAD src0_sel:DWORD src1_sel:BYTE_3
	v_sub_u32_e32 v24, 29, v24
	v_and_b32_e32 v14, 7, v14
	v_cmp_eq_u16_e32 vcc, 0, v22
	v_cndmask_b32_e32 v14, v20, v14, vcc
	v_cndmask_b32_e32 v20, v23, v24, vcc
	v_mov_b32_e32 v22, 0x3b800000
	v_lshlrev_b32_e32 v14, 20, v14
	v_lshl_add_u32 v20, v20, 23, v22
	v_or3_b32 v20, v21, v20, v14
.LBB8_1564:
	s_or_b64 exec, exec, s[6:7]
	s_movk_i32 s4, 0x7f
	v_cmp_gt_i16_sdwa s[6:7], v10, s4 src0_sel:BYTE_3 src1_sel:DWORD
	s_mov_b64 s[4:5], 0
                                        ; implicit-def: $sgpr10
	s_and_saveexec_b64 s[8:9], s[6:7]
	s_xor_b64 s[6:7], exec, s[8:9]
	s_cbranch_execnz .LBB8_3613
; %bb.1565:
	s_or_saveexec_b64 s[6:7], s[6:7]
	v_mov_b32_e32 v14, s10
	s_xor_b64 exec, exec, s[6:7]
	s_cbranch_execnz .LBB8_3616
.LBB8_1566:
	s_or_b64 exec, exec, s[6:7]
	s_and_saveexec_b64 s[6:7], s[4:5]
	s_cbranch_execz .LBB8_1568
.LBB8_1567:
	v_bfe_u32 v14, v10, 24, 3
	v_ffbh_u32_e32 v24, v14
	v_min_u32_e32 v24, 32, v24
	v_lshrrev_b32_e32 v22, 27, v10
	v_subrev_u32_e32 v25, 28, v24
	v_and_b32_e32 v21, 0x80000000, v10
	v_and_b32_e32 v22, 15, v22
	v_bfe_u32 v23, v10, 27, 4
	v_lshlrev_b32_sdwa v10, v25, v10 dst_sel:DWORD dst_unused:UNUSED_PAD src0_sel:DWORD src1_sel:BYTE_3
	v_sub_u32_e32 v24, 29, v24
	v_and_b32_e32 v10, 7, v10
	v_cmp_eq_u16_e32 vcc, 0, v22
	v_cndmask_b32_e32 v10, v14, v10, vcc
	v_cndmask_b32_e32 v14, v23, v24, vcc
	v_mov_b32_e32 v22, 0x3b800000
	v_lshlrev_b32_e32 v10, 20, v10
	v_lshl_add_u32 v14, v14, 23, v22
	v_or3_b32 v14, v21, v14, v10
.LBB8_1568:
	s_or_b64 exec, exec, s[6:7]
	s_nop 0
	v_mfma_f32_16x16x4f32 a[0:3], v20, v14, a[0:3]
	s_movk_i32 s4, 0x7f
	v_cmp_gt_i16_sdwa s[6:7], v15, s4 src0_sel:BYTE_0 src1_sel:DWORD
	s_mov_b64 s[4:5], 0
                                        ; implicit-def: $sgpr10
	s_and_saveexec_b64 s[8:9], s[6:7]
	s_xor_b64 s[6:7], exec, s[8:9]
	s_cbranch_execnz .LBB8_3617
; %bb.1569:
	s_or_saveexec_b64 s[6:7], s[6:7]
	v_mov_b32_e32 v10, s10
	s_xor_b64 exec, exec, s[6:7]
	s_cbranch_execnz .LBB8_3620
.LBB8_1570:
	s_or_b64 exec, exec, s[6:7]
	s_and_saveexec_b64 s[6:7], s[4:5]
	s_cbranch_execz .LBB8_1572
.LBB8_1571:
	v_and_b32_e32 v10, 7, v15
	v_ffbh_u32_e32 v20, v10
	v_min_u32_e32 v20, 32, v20
	v_lshrrev_b16_e32 v14, 3, v15
	v_subrev_u32_e32 v21, 28, v20
	v_and_b32_e32 v14, 15, v14
	v_lshlrev_b32_e32 v21, v21, v15
	v_sub_u32_e32 v20, 29, v20
	v_and_b32_e32 v21, 7, v21
	v_cmp_eq_u16_e32 vcc, 0, v14
	v_cndmask_b32_e32 v10, v10, v21, vcc
	v_cndmask_b32_e32 v14, v14, v20, vcc
	v_lshlrev_b32_e32 v20, 24, v15
	v_mov_b32_e32 v21, 0x3b800000
	v_lshlrev_b32_e32 v10, 20, v10
	v_and_b32_e32 v20, 0x80000000, v20
	v_lshl_add_u32 v14, v14, 23, v21
	v_or3_b32 v10, v20, v14, v10
.LBB8_1572:
	s_or_b64 exec, exec, s[6:7]
	s_movk_i32 s4, 0x7f
	v_cmp_gt_i16_sdwa s[6:7], v11, s4 src0_sel:BYTE_0 src1_sel:DWORD
	s_mov_b64 s[4:5], 0
                                        ; implicit-def: $sgpr10
	s_and_saveexec_b64 s[8:9], s[6:7]
	s_xor_b64 s[6:7], exec, s[8:9]
	s_cbranch_execnz .LBB8_3621
; %bb.1573:
	s_or_saveexec_b64 s[6:7], s[6:7]
	v_mov_b32_e32 v14, s10
	s_xor_b64 exec, exec, s[6:7]
	s_cbranch_execnz .LBB8_3624
.LBB8_1574:
	s_or_b64 exec, exec, s[6:7]
	s_and_saveexec_b64 s[6:7], s[4:5]
	s_cbranch_execz .LBB8_1576
.LBB8_1575:
	v_and_b32_e32 v14, 7, v11
	v_ffbh_u32_e32 v21, v14
	v_min_u32_e32 v21, 32, v21
	v_lshrrev_b16_e32 v20, 3, v11
	v_subrev_u32_e32 v22, 28, v21
	v_and_b32_e32 v20, 15, v20
	v_lshlrev_b32_e32 v22, v22, v11
	v_sub_u32_e32 v21, 29, v21
	v_and_b32_e32 v22, 7, v22
	v_cmp_eq_u16_e32 vcc, 0, v20
	v_cndmask_b32_e32 v14, v14, v22, vcc
	v_cndmask_b32_e32 v20, v20, v21, vcc
	v_lshlrev_b32_e32 v21, 24, v11
	v_mov_b32_e32 v22, 0x3b800000
	v_lshlrev_b32_e32 v14, 20, v14
	v_and_b32_e32 v21, 0x80000000, v21
	v_lshl_add_u32 v20, v20, 23, v22
	v_or3_b32 v14, v21, v20, v14
.LBB8_1576:
	s_or_b64 exec, exec, s[6:7]
	s_nop 0
	v_mfma_f32_16x16x4f32 a[0:3], v10, v14, a[0:3]
	v_lshrrev_b32_e32 v14, 8, v15
	s_movk_i32 s4, 0x7f
	v_cmp_gt_i16_sdwa s[6:7], v14, s4 src0_sel:BYTE_0 src1_sel:DWORD
	s_mov_b64 s[4:5], 0
                                        ; implicit-def: $sgpr10
	s_and_saveexec_b64 s[8:9], s[6:7]
	s_xor_b64 s[6:7], exec, s[8:9]
	s_cbranch_execnz .LBB8_3625
; %bb.1577:
	s_or_saveexec_b64 s[6:7], s[6:7]
	v_mov_b32_e32 v10, s10
	s_xor_b64 exec, exec, s[6:7]
	s_cbranch_execnz .LBB8_3628
.LBB8_1578:
	s_or_b64 exec, exec, s[6:7]
	s_and_saveexec_b64 s[6:7], s[4:5]
	s_cbranch_execz .LBB8_1580
.LBB8_1579:
	v_bfe_u32 v10, v15, 8, 3
	v_ffbh_u32_e32 v21, v10
	v_min_u32_e32 v21, 32, v21
	v_lshrrev_b16_e32 v20, 3, v14
	v_subrev_u32_e32 v22, 28, v21
	v_and_b32_e32 v20, 15, v20
	v_lshlrev_b32_e32 v14, v22, v14
	v_sub_u32_e32 v21, 29, v21
	v_and_b32_e32 v14, 7, v14
	v_cmp_eq_u16_e32 vcc, 0, v20
	v_cndmask_b32_e32 v10, v10, v14, vcc
	v_cndmask_b32_e32 v14, v20, v21, vcc
	v_lshlrev_b32_e32 v20, 16, v15
	v_mov_b32_e32 v21, 0x3b800000
	v_lshlrev_b32_e32 v10, 20, v10
	v_and_b32_e32 v20, 0x80000000, v20
	v_lshl_add_u32 v14, v14, 23, v21
	v_or3_b32 v10, v20, v14, v10
.LBB8_1580:
	s_or_b64 exec, exec, s[6:7]
	v_lshrrev_b32_e32 v14, 8, v11
	s_movk_i32 s4, 0x7f
	v_cmp_gt_i16_sdwa s[6:7], v14, s4 src0_sel:BYTE_0 src1_sel:DWORD
	s_mov_b64 s[4:5], 0
                                        ; implicit-def: $sgpr10
	s_and_saveexec_b64 s[8:9], s[6:7]
	s_xor_b64 s[6:7], exec, s[8:9]
	s_cbranch_execnz .LBB8_3629
; %bb.1581:
	s_or_saveexec_b64 s[6:7], s[6:7]
	v_mov_b32_e32 v20, s10
	s_xor_b64 exec, exec, s[6:7]
	s_cbranch_execnz .LBB8_3632
.LBB8_1582:
	s_or_b64 exec, exec, s[6:7]
	s_and_saveexec_b64 s[6:7], s[4:5]
	s_cbranch_execz .LBB8_1584
.LBB8_1583:
	v_bfe_u32 v20, v11, 8, 3
	v_ffbh_u32_e32 v22, v20
	v_min_u32_e32 v22, 32, v22
	v_lshrrev_b16_e32 v21, 3, v14
	v_subrev_u32_e32 v23, 28, v22
	v_and_b32_e32 v21, 15, v21
	v_lshlrev_b32_e32 v14, v23, v14
	v_sub_u32_e32 v22, 29, v22
	v_and_b32_e32 v14, 7, v14
	v_cmp_eq_u16_e32 vcc, 0, v21
	v_cndmask_b32_e32 v14, v20, v14, vcc
	v_cndmask_b32_e32 v20, v21, v22, vcc
	v_lshlrev_b32_e32 v21, 16, v11
	v_mov_b32_e32 v22, 0x3b800000
	v_lshlrev_b32_e32 v14, 20, v14
	v_and_b32_e32 v21, 0x80000000, v21
	v_lshl_add_u32 v20, v20, 23, v22
	v_or3_b32 v20, v21, v20, v14
.LBB8_1584:
	s_or_b64 exec, exec, s[6:7]
	s_nop 0
	v_mfma_f32_16x16x4f32 a[0:3], v10, v20, a[0:3]
	s_movk_i32 s4, 0xff
	v_and_b32_sdwa v14, v15, s4 dst_sel:DWORD dst_unused:UNUSED_PAD src0_sel:WORD_1 src1_sel:DWORD
	s_movk_i32 s4, 0x7f
	v_cmp_lt_i16_e32 vcc, s4, v14
	s_mov_b64 s[4:5], 0
                                        ; implicit-def: $sgpr10
	s_and_saveexec_b64 s[6:7], vcc
	s_xor_b64 s[6:7], exec, s[6:7]
	s_cbranch_execnz .LBB8_3633
; %bb.1585:
	s_or_saveexec_b64 s[6:7], s[6:7]
	v_mov_b32_e32 v10, s10
	s_xor_b64 exec, exec, s[6:7]
	s_cbranch_execnz .LBB8_3636
.LBB8_1586:
	s_or_b64 exec, exec, s[6:7]
	s_and_saveexec_b64 s[6:7], s[4:5]
	s_cbranch_execz .LBB8_1588
.LBB8_1587:
	v_bfe_u32 v10, v15, 16, 3
	v_ffbh_u32_e32 v21, v10
	v_min_u32_e32 v21, 32, v21
	v_lshrrev_b32_e32 v14, 19, v15
	v_subrev_u32_e32 v22, 28, v21
	v_and_b32_e32 v14, 15, v14
	v_lshlrev_b32_sdwa v22, v22, v15 dst_sel:DWORD dst_unused:UNUSED_PAD src0_sel:DWORD src1_sel:WORD_1
	v_bfe_u32 v20, v15, 19, 4
	v_sub_u32_e32 v21, 29, v21
	v_and_b32_e32 v22, 7, v22
	v_cmp_eq_u16_e32 vcc, 0, v14
	v_cndmask_b32_e32 v10, v10, v22, vcc
	v_cndmask_b32_e32 v14, v20, v21, vcc
	v_lshlrev_b32_e32 v20, 8, v15
	v_mov_b32_e32 v21, 0x3b800000
	v_lshlrev_b32_e32 v10, 20, v10
	v_and_b32_e32 v20, 0x80000000, v20
	v_lshl_add_u32 v14, v14, 23, v21
	v_or3_b32 v10, v20, v14, v10
.LBB8_1588:
	s_or_b64 exec, exec, s[6:7]
	s_movk_i32 s4, 0xff
	v_and_b32_sdwa v14, v11, s4 dst_sel:DWORD dst_unused:UNUSED_PAD src0_sel:WORD_1 src1_sel:DWORD
	s_movk_i32 s4, 0x7f
	v_cmp_lt_i16_e32 vcc, s4, v14
	s_mov_b64 s[4:5], 0
                                        ; implicit-def: $sgpr10
	s_and_saveexec_b64 s[6:7], vcc
	s_xor_b64 s[6:7], exec, s[6:7]
	s_cbranch_execnz .LBB8_3637
; %bb.1589:
	s_or_saveexec_b64 s[6:7], s[6:7]
	v_mov_b32_e32 v20, s10
	s_xor_b64 exec, exec, s[6:7]
	s_cbranch_execnz .LBB8_3640
.LBB8_1590:
	s_or_b64 exec, exec, s[6:7]
	s_and_saveexec_b64 s[6:7], s[4:5]
	s_cbranch_execz .LBB8_1592
.LBB8_1591:
	v_bfe_u32 v14, v11, 16, 3
	v_ffbh_u32_e32 v22, v14
	v_min_u32_e32 v22, 32, v22
	v_lshrrev_b32_e32 v20, 19, v11
	v_subrev_u32_e32 v23, 28, v22
	v_and_b32_e32 v20, 15, v20
	v_lshlrev_b32_sdwa v23, v23, v11 dst_sel:DWORD dst_unused:UNUSED_PAD src0_sel:DWORD src1_sel:WORD_1
	v_bfe_u32 v21, v11, 19, 4
	v_sub_u32_e32 v22, 29, v22
	v_and_b32_e32 v23, 7, v23
	v_cmp_eq_u16_e32 vcc, 0, v20
	v_cndmask_b32_e32 v14, v14, v23, vcc
	v_cndmask_b32_e32 v20, v21, v22, vcc
	v_lshlrev_b32_e32 v21, 8, v11
	v_mov_b32_e32 v22, 0x3b800000
	v_lshlrev_b32_e32 v14, 20, v14
	v_and_b32_e32 v21, 0x80000000, v21
	v_lshl_add_u32 v20, v20, 23, v22
	v_or3_b32 v20, v21, v20, v14
.LBB8_1592:
	s_or_b64 exec, exec, s[6:7]
	s_nop 0
	v_mfma_f32_16x16x4f32 a[0:3], v10, v20, a[0:3]
	s_movk_i32 s4, 0x7f
	v_cmp_gt_i16_sdwa s[6:7], v15, s4 src0_sel:BYTE_3 src1_sel:DWORD
	s_mov_b64 s[4:5], 0
                                        ; implicit-def: $sgpr10
	s_and_saveexec_b64 s[8:9], s[6:7]
	s_xor_b64 s[6:7], exec, s[8:9]
	s_cbranch_execnz .LBB8_3641
; %bb.1593:
	s_or_saveexec_b64 s[6:7], s[6:7]
	v_mov_b32_e32 v10, s10
	s_xor_b64 exec, exec, s[6:7]
	s_cbranch_execnz .LBB8_3644
.LBB8_1594:
	s_or_b64 exec, exec, s[6:7]
	s_and_saveexec_b64 s[6:7], s[4:5]
	s_cbranch_execz .LBB8_1596
.LBB8_1595:
	v_bfe_u32 v10, v15, 24, 3
	v_ffbh_u32_e32 v22, v10
	v_min_u32_e32 v22, 32, v22
	v_lshrrev_b32_e32 v20, 27, v15
	v_subrev_u32_e32 v23, 28, v22
	v_and_b32_e32 v14, 0x80000000, v15
	v_and_b32_e32 v20, 15, v20
	v_bfe_u32 v21, v15, 27, 4
	v_lshlrev_b32_sdwa v15, v23, v15 dst_sel:DWORD dst_unused:UNUSED_PAD src0_sel:DWORD src1_sel:BYTE_3
	v_sub_u32_e32 v22, 29, v22
	v_and_b32_e32 v15, 7, v15
	v_cmp_eq_u16_e32 vcc, 0, v20
	v_cndmask_b32_e32 v10, v10, v15, vcc
	v_cndmask_b32_e32 v15, v21, v22, vcc
	v_mov_b32_e32 v20, 0x3b800000
	v_lshlrev_b32_e32 v10, 20, v10
	v_lshl_add_u32 v15, v15, 23, v20
	v_or3_b32 v10, v14, v15, v10
.LBB8_1596:
	s_or_b64 exec, exec, s[6:7]
	s_movk_i32 s4, 0x7f
	v_cmp_gt_i16_sdwa s[6:7], v11, s4 src0_sel:BYTE_3 src1_sel:DWORD
	s_mov_b64 s[4:5], 0
                                        ; implicit-def: $sgpr10
	s_and_saveexec_b64 s[8:9], s[6:7]
	s_xor_b64 s[6:7], exec, s[8:9]
	s_cbranch_execnz .LBB8_3645
; %bb.1597:
	s_or_saveexec_b64 s[6:7], s[6:7]
	v_mov_b32_e32 v14, s10
	s_xor_b64 exec, exec, s[6:7]
	s_cbranch_execnz .LBB8_3648
.LBB8_1598:
	s_or_b64 exec, exec, s[6:7]
	s_and_saveexec_b64 s[6:7], s[4:5]
	s_cbranch_execz .LBB8_1600
.LBB8_1599:
	v_bfe_u32 v14, v11, 24, 3
	v_ffbh_u32_e32 v22, v14
	v_min_u32_e32 v22, 32, v22
	v_lshrrev_b32_e32 v20, 27, v11
	v_subrev_u32_e32 v23, 28, v22
	v_and_b32_e32 v15, 0x80000000, v11
	v_and_b32_e32 v20, 15, v20
	v_bfe_u32 v21, v11, 27, 4
	v_lshlrev_b32_sdwa v11, v23, v11 dst_sel:DWORD dst_unused:UNUSED_PAD src0_sel:DWORD src1_sel:BYTE_3
	v_sub_u32_e32 v22, 29, v22
	v_and_b32_e32 v11, 7, v11
	v_cmp_eq_u16_e32 vcc, 0, v20
	v_cndmask_b32_e32 v11, v14, v11, vcc
	v_cndmask_b32_e32 v14, v21, v22, vcc
	v_mov_b32_e32 v20, 0x3b800000
	v_lshlrev_b32_e32 v11, 20, v11
	v_lshl_add_u32 v14, v14, 23, v20
	v_or3_b32 v14, v15, v14, v11
.LBB8_1600:
	s_or_b64 exec, exec, s[6:7]
	s_nop 0
	v_mfma_f32_16x16x4f32 a[0:3], v10, v14, a[0:3]
	s_movk_i32 s4, 0x7f
	v_cmp_gt_i16_sdwa s[6:7], v16, s4 src0_sel:BYTE_0 src1_sel:DWORD
	s_mov_b64 s[4:5], 0
                                        ; implicit-def: $sgpr10
	s_and_saveexec_b64 s[8:9], s[6:7]
	s_xor_b64 s[6:7], exec, s[8:9]
	s_cbranch_execnz .LBB8_3649
; %bb.1601:
	s_or_saveexec_b64 s[6:7], s[6:7]
	v_mov_b32_e32 v10, s10
	s_xor_b64 exec, exec, s[6:7]
	s_cbranch_execnz .LBB8_3652
.LBB8_1602:
	s_or_b64 exec, exec, s[6:7]
	s_and_saveexec_b64 s[6:7], s[4:5]
	s_cbranch_execz .LBB8_1604
.LBB8_1603:
	v_and_b32_e32 v10, 7, v16
	v_ffbh_u32_e32 v14, v10
	v_min_u32_e32 v14, 32, v14
	v_lshrrev_b16_e32 v11, 3, v16
	v_subrev_u32_e32 v15, 28, v14
	v_and_b32_e32 v11, 15, v11
	v_lshlrev_b32_e32 v15, v15, v16
	v_sub_u32_e32 v14, 29, v14
	v_and_b32_e32 v15, 7, v15
	v_cmp_eq_u16_e32 vcc, 0, v11
	v_cndmask_b32_e32 v10, v10, v15, vcc
	v_cndmask_b32_e32 v11, v11, v14, vcc
	v_lshlrev_b32_e32 v14, 24, v16
	v_mov_b32_e32 v15, 0x3b800000
	v_lshlrev_b32_e32 v10, 20, v10
	v_and_b32_e32 v14, 0x80000000, v14
	v_lshl_add_u32 v11, v11, 23, v15
	v_or3_b32 v10, v14, v11, v10
.LBB8_1604:
	s_or_b64 exec, exec, s[6:7]
	s_movk_i32 s4, 0x7f
	v_cmp_gt_i16_sdwa s[6:7], v12, s4 src0_sel:BYTE_0 src1_sel:DWORD
	s_mov_b64 s[4:5], 0
                                        ; implicit-def: $sgpr10
	s_and_saveexec_b64 s[8:9], s[6:7]
	s_xor_b64 s[6:7], exec, s[8:9]
	s_cbranch_execnz .LBB8_3653
; %bb.1605:
	s_or_saveexec_b64 s[6:7], s[6:7]
	v_mov_b32_e32 v11, s10
	s_xor_b64 exec, exec, s[6:7]
	s_cbranch_execnz .LBB8_3656
.LBB8_1606:
	s_or_b64 exec, exec, s[6:7]
	s_and_saveexec_b64 s[6:7], s[4:5]
	s_cbranch_execz .LBB8_1608
.LBB8_1607:
	v_and_b32_e32 v11, 7, v12
	v_ffbh_u32_e32 v15, v11
	v_min_u32_e32 v15, 32, v15
	v_lshrrev_b16_e32 v14, 3, v12
	v_subrev_u32_e32 v20, 28, v15
	v_and_b32_e32 v14, 15, v14
	v_lshlrev_b32_e32 v20, v20, v12
	v_sub_u32_e32 v15, 29, v15
	v_and_b32_e32 v20, 7, v20
	v_cmp_eq_u16_e32 vcc, 0, v14
	v_cndmask_b32_e32 v11, v11, v20, vcc
	v_cndmask_b32_e32 v14, v14, v15, vcc
	v_lshlrev_b32_e32 v15, 24, v12
	v_mov_b32_e32 v20, 0x3b800000
	v_lshlrev_b32_e32 v11, 20, v11
	v_and_b32_e32 v15, 0x80000000, v15
	v_lshl_add_u32 v14, v14, 23, v20
	v_or3_b32 v11, v15, v14, v11
.LBB8_1608:
	s_or_b64 exec, exec, s[6:7]
	s_nop 0
	v_mfma_f32_16x16x4f32 a[0:3], v10, v11, a[0:3]
	v_lshrrev_b32_e32 v11, 8, v16
	s_movk_i32 s4, 0x7f
	v_cmp_gt_i16_sdwa s[6:7], v11, s4 src0_sel:BYTE_0 src1_sel:DWORD
	s_mov_b64 s[4:5], 0
                                        ; implicit-def: $sgpr10
	s_and_saveexec_b64 s[8:9], s[6:7]
	s_xor_b64 s[6:7], exec, s[8:9]
	s_cbranch_execnz .LBB8_3657
; %bb.1609:
	s_or_saveexec_b64 s[6:7], s[6:7]
	v_mov_b32_e32 v10, s10
	s_xor_b64 exec, exec, s[6:7]
	s_cbranch_execnz .LBB8_3660
.LBB8_1610:
	s_or_b64 exec, exec, s[6:7]
	s_and_saveexec_b64 s[6:7], s[4:5]
	s_cbranch_execz .LBB8_1612
.LBB8_1611:
	v_bfe_u32 v10, v16, 8, 3
	v_ffbh_u32_e32 v15, v10
	v_min_u32_e32 v15, 32, v15
	v_lshrrev_b16_e32 v14, 3, v11
	v_subrev_u32_e32 v20, 28, v15
	v_and_b32_e32 v14, 15, v14
	v_lshlrev_b32_e32 v11, v20, v11
	v_sub_u32_e32 v15, 29, v15
	v_and_b32_e32 v11, 7, v11
	v_cmp_eq_u16_e32 vcc, 0, v14
	v_cndmask_b32_e32 v10, v10, v11, vcc
	v_cndmask_b32_e32 v11, v14, v15, vcc
	v_lshlrev_b32_e32 v14, 16, v16
	v_mov_b32_e32 v15, 0x3b800000
	v_lshlrev_b32_e32 v10, 20, v10
	v_and_b32_e32 v14, 0x80000000, v14
	v_lshl_add_u32 v11, v11, 23, v15
	v_or3_b32 v10, v14, v11, v10
.LBB8_1612:
	s_or_b64 exec, exec, s[6:7]
	v_lshrrev_b32_e32 v11, 8, v12
	s_movk_i32 s4, 0x7f
	v_cmp_gt_i16_sdwa s[6:7], v11, s4 src0_sel:BYTE_0 src1_sel:DWORD
	s_mov_b64 s[4:5], 0
                                        ; implicit-def: $sgpr10
	s_and_saveexec_b64 s[8:9], s[6:7]
	s_xor_b64 s[6:7], exec, s[8:9]
	s_cbranch_execnz .LBB8_3661
; %bb.1613:
	s_or_saveexec_b64 s[6:7], s[6:7]
	v_mov_b32_e32 v14, s10
	s_xor_b64 exec, exec, s[6:7]
	s_cbranch_execnz .LBB8_3664
.LBB8_1614:
	s_or_b64 exec, exec, s[6:7]
	s_and_saveexec_b64 s[6:7], s[4:5]
	s_cbranch_execz .LBB8_1616
.LBB8_1615:
	v_bfe_u32 v14, v12, 8, 3
	v_ffbh_u32_e32 v20, v14
	v_min_u32_e32 v20, 32, v20
	v_lshrrev_b16_e32 v15, 3, v11
	v_subrev_u32_e32 v21, 28, v20
	v_and_b32_e32 v15, 15, v15
	v_lshlrev_b32_e32 v11, v21, v11
	v_sub_u32_e32 v20, 29, v20
	v_and_b32_e32 v11, 7, v11
	v_cmp_eq_u16_e32 vcc, 0, v15
	v_cndmask_b32_e32 v11, v14, v11, vcc
	v_cndmask_b32_e32 v14, v15, v20, vcc
	v_lshlrev_b32_e32 v15, 16, v12
	v_mov_b32_e32 v20, 0x3b800000
	v_lshlrev_b32_e32 v11, 20, v11
	v_and_b32_e32 v15, 0x80000000, v15
	v_lshl_add_u32 v14, v14, 23, v20
	v_or3_b32 v14, v15, v14, v11
.LBB8_1616:
	s_or_b64 exec, exec, s[6:7]
	s_nop 0
	v_mfma_f32_16x16x4f32 a[0:3], v10, v14, a[0:3]
	s_movk_i32 s4, 0xff
	v_and_b32_sdwa v11, v16, s4 dst_sel:DWORD dst_unused:UNUSED_PAD src0_sel:WORD_1 src1_sel:DWORD
	s_movk_i32 s4, 0x7f
	v_cmp_lt_i16_e32 vcc, s4, v11
	s_mov_b64 s[4:5], 0
                                        ; implicit-def: $sgpr10
	s_and_saveexec_b64 s[6:7], vcc
	s_xor_b64 s[6:7], exec, s[6:7]
	s_cbranch_execnz .LBB8_3665
; %bb.1617:
	s_or_saveexec_b64 s[6:7], s[6:7]
	v_mov_b32_e32 v10, s10
	s_xor_b64 exec, exec, s[6:7]
	s_cbranch_execnz .LBB8_3668
.LBB8_1618:
	s_or_b64 exec, exec, s[6:7]
	s_and_saveexec_b64 s[6:7], s[4:5]
	s_cbranch_execz .LBB8_1620
.LBB8_1619:
	v_bfe_u32 v10, v16, 16, 3
	v_ffbh_u32_e32 v15, v10
	v_min_u32_e32 v15, 32, v15
	v_lshrrev_b32_e32 v11, 19, v16
	v_subrev_u32_e32 v20, 28, v15
	v_and_b32_e32 v11, 15, v11
	v_lshlrev_b32_sdwa v20, v20, v16 dst_sel:DWORD dst_unused:UNUSED_PAD src0_sel:DWORD src1_sel:WORD_1
	v_bfe_u32 v14, v16, 19, 4
	v_sub_u32_e32 v15, 29, v15
	v_and_b32_e32 v20, 7, v20
	v_cmp_eq_u16_e32 vcc, 0, v11
	v_cndmask_b32_e32 v10, v10, v20, vcc
	v_cndmask_b32_e32 v11, v14, v15, vcc
	v_lshlrev_b32_e32 v14, 8, v16
	v_mov_b32_e32 v15, 0x3b800000
	v_lshlrev_b32_e32 v10, 20, v10
	v_and_b32_e32 v14, 0x80000000, v14
	v_lshl_add_u32 v11, v11, 23, v15
	v_or3_b32 v10, v14, v11, v10
.LBB8_1620:
	s_or_b64 exec, exec, s[6:7]
	s_movk_i32 s4, 0xff
	v_and_b32_sdwa v11, v12, s4 dst_sel:DWORD dst_unused:UNUSED_PAD src0_sel:WORD_1 src1_sel:DWORD
	s_movk_i32 s4, 0x7f
	v_cmp_lt_i16_e32 vcc, s4, v11
	s_mov_b64 s[4:5], 0
                                        ; implicit-def: $sgpr10
	s_and_saveexec_b64 s[6:7], vcc
	s_xor_b64 s[6:7], exec, s[6:7]
	s_cbranch_execnz .LBB8_3669
; %bb.1621:
	s_or_saveexec_b64 s[6:7], s[6:7]
	v_mov_b32_e32 v14, s10
	s_xor_b64 exec, exec, s[6:7]
	s_cbranch_execnz .LBB8_3672
.LBB8_1622:
	s_or_b64 exec, exec, s[6:7]
	s_and_saveexec_b64 s[6:7], s[4:5]
	s_cbranch_execz .LBB8_1624
.LBB8_1623:
	v_bfe_u32 v11, v12, 16, 3
	v_ffbh_u32_e32 v20, v11
	v_min_u32_e32 v20, 32, v20
	v_lshrrev_b32_e32 v14, 19, v12
	v_subrev_u32_e32 v21, 28, v20
	v_and_b32_e32 v14, 15, v14
	v_lshlrev_b32_sdwa v21, v21, v12 dst_sel:DWORD dst_unused:UNUSED_PAD src0_sel:DWORD src1_sel:WORD_1
	v_bfe_u32 v15, v12, 19, 4
	v_sub_u32_e32 v20, 29, v20
	v_and_b32_e32 v21, 7, v21
	v_cmp_eq_u16_e32 vcc, 0, v14
	v_cndmask_b32_e32 v11, v11, v21, vcc
	v_cndmask_b32_e32 v14, v15, v20, vcc
	v_lshlrev_b32_e32 v15, 8, v12
	v_mov_b32_e32 v20, 0x3b800000
	v_lshlrev_b32_e32 v11, 20, v11
	v_and_b32_e32 v15, 0x80000000, v15
	v_lshl_add_u32 v14, v14, 23, v20
	v_or3_b32 v14, v15, v14, v11
.LBB8_1624:
	s_or_b64 exec, exec, s[6:7]
	s_nop 0
	v_mfma_f32_16x16x4f32 a[0:3], v10, v14, a[0:3]
	s_movk_i32 s4, 0x7f
	v_cmp_gt_i16_sdwa s[6:7], v16, s4 src0_sel:BYTE_3 src1_sel:DWORD
	s_mov_b64 s[4:5], 0
                                        ; implicit-def: $sgpr10
	s_and_saveexec_b64 s[8:9], s[6:7]
	s_xor_b64 s[6:7], exec, s[8:9]
	s_cbranch_execnz .LBB8_3673
; %bb.1625:
	s_or_saveexec_b64 s[6:7], s[6:7]
	v_mov_b32_e32 v10, s10
	s_xor_b64 exec, exec, s[6:7]
	s_cbranch_execnz .LBB8_3676
.LBB8_1626:
	s_or_b64 exec, exec, s[6:7]
	s_and_saveexec_b64 s[6:7], s[4:5]
	s_cbranch_execz .LBB8_1628
.LBB8_1627:
	v_bfe_u32 v10, v16, 24, 3
	v_ffbh_u32_e32 v20, v10
	v_min_u32_e32 v20, 32, v20
	v_lshrrev_b32_e32 v14, 27, v16
	v_subrev_u32_e32 v21, 28, v20
	v_and_b32_e32 v11, 0x80000000, v16
	v_and_b32_e32 v14, 15, v14
	v_bfe_u32 v15, v16, 27, 4
	v_lshlrev_b32_sdwa v16, v21, v16 dst_sel:DWORD dst_unused:UNUSED_PAD src0_sel:DWORD src1_sel:BYTE_3
	v_sub_u32_e32 v20, 29, v20
	v_and_b32_e32 v16, 7, v16
	v_cmp_eq_u16_e32 vcc, 0, v14
	v_cndmask_b32_e32 v10, v10, v16, vcc
	v_cndmask_b32_e32 v14, v15, v20, vcc
	v_mov_b32_e32 v15, 0x3b800000
	v_lshlrev_b32_e32 v10, 20, v10
	v_lshl_add_u32 v14, v14, 23, v15
	v_or3_b32 v10, v11, v14, v10
.LBB8_1628:
	s_or_b64 exec, exec, s[6:7]
	s_movk_i32 s4, 0x7f
	v_cmp_gt_i16_sdwa s[6:7], v12, s4 src0_sel:BYTE_3 src1_sel:DWORD
	s_mov_b64 s[4:5], 0
                                        ; implicit-def: $sgpr10
	s_and_saveexec_b64 s[8:9], s[6:7]
	s_xor_b64 s[6:7], exec, s[8:9]
	s_cbranch_execnz .LBB8_3677
; %bb.1629:
	s_or_saveexec_b64 s[6:7], s[6:7]
	v_mov_b32_e32 v11, s10
	s_xor_b64 exec, exec, s[6:7]
	s_cbranch_execnz .LBB8_3680
.LBB8_1630:
	s_or_b64 exec, exec, s[6:7]
	s_and_saveexec_b64 s[6:7], s[4:5]
	s_cbranch_execz .LBB8_1632
.LBB8_1631:
	v_bfe_u32 v11, v12, 24, 3
	v_ffbh_u32_e32 v20, v11
	v_min_u32_e32 v20, 32, v20
	v_lshrrev_b32_e32 v15, 27, v12
	v_subrev_u32_e32 v21, 28, v20
	v_and_b32_e32 v14, 0x80000000, v12
	v_and_b32_e32 v15, 15, v15
	v_bfe_u32 v16, v12, 27, 4
	v_lshlrev_b32_sdwa v12, v21, v12 dst_sel:DWORD dst_unused:UNUSED_PAD src0_sel:DWORD src1_sel:BYTE_3
	v_sub_u32_e32 v20, 29, v20
	v_and_b32_e32 v12, 7, v12
	v_cmp_eq_u16_e32 vcc, 0, v15
	v_cndmask_b32_e32 v11, v11, v12, vcc
	v_cndmask_b32_e32 v12, v16, v20, vcc
	v_mov_b32_e32 v15, 0x3b800000
	v_lshlrev_b32_e32 v11, 20, v11
	v_lshl_add_u32 v12, v12, 23, v15
	v_or3_b32 v11, v14, v12, v11
.LBB8_1632:
	s_or_b64 exec, exec, s[6:7]
	s_nop 0
	v_mfma_f32_16x16x4f32 a[0:3], v10, v11, a[0:3]
	s_movk_i32 s4, 0x7f
	v_cmp_gt_i16_sdwa s[6:7], v17, s4 src0_sel:BYTE_0 src1_sel:DWORD
	s_mov_b64 s[4:5], 0
                                        ; implicit-def: $sgpr10
	s_and_saveexec_b64 s[8:9], s[6:7]
	s_xor_b64 s[6:7], exec, s[8:9]
	s_cbranch_execnz .LBB8_3681
; %bb.1633:
	s_or_saveexec_b64 s[6:7], s[6:7]
	v_mov_b32_e32 v10, s10
	s_xor_b64 exec, exec, s[6:7]
	s_cbranch_execnz .LBB8_3684
.LBB8_1634:
	s_or_b64 exec, exec, s[6:7]
	s_and_saveexec_b64 s[6:7], s[4:5]
	s_cbranch_execz .LBB8_1636
.LBB8_1635:
	v_and_b32_e32 v10, 7, v17
	v_ffbh_u32_e32 v12, v10
	v_min_u32_e32 v12, 32, v12
	v_lshrrev_b16_e32 v11, 3, v17
	v_subrev_u32_e32 v14, 28, v12
	v_and_b32_e32 v11, 15, v11
	v_lshlrev_b32_e32 v14, v14, v17
	v_sub_u32_e32 v12, 29, v12
	v_and_b32_e32 v14, 7, v14
	v_cmp_eq_u16_e32 vcc, 0, v11
	v_cndmask_b32_e32 v10, v10, v14, vcc
	v_cndmask_b32_e32 v11, v11, v12, vcc
	v_lshlrev_b32_e32 v12, 24, v17
	v_mov_b32_e32 v14, 0x3b800000
	v_lshlrev_b32_e32 v10, 20, v10
	v_and_b32_e32 v12, 0x80000000, v12
	v_lshl_add_u32 v11, v11, 23, v14
	v_or3_b32 v10, v12, v11, v10
.LBB8_1636:
	s_or_b64 exec, exec, s[6:7]
	s_movk_i32 s4, 0x7f
	v_cmp_gt_i16_sdwa s[6:7], v13, s4 src0_sel:BYTE_0 src1_sel:DWORD
	s_mov_b64 s[4:5], 0
                                        ; implicit-def: $sgpr10
	s_and_saveexec_b64 s[8:9], s[6:7]
	s_xor_b64 s[6:7], exec, s[8:9]
	s_cbranch_execnz .LBB8_3685
; %bb.1637:
	s_or_saveexec_b64 s[6:7], s[6:7]
	v_mov_b32_e32 v11, s10
	s_xor_b64 exec, exec, s[6:7]
	s_cbranch_execnz .LBB8_3688
.LBB8_1638:
	s_or_b64 exec, exec, s[6:7]
	s_and_saveexec_b64 s[6:7], s[4:5]
	s_cbranch_execz .LBB8_1640
.LBB8_1639:
	v_and_b32_e32 v11, 7, v13
	v_ffbh_u32_e32 v14, v11
	v_min_u32_e32 v14, 32, v14
	v_lshrrev_b16_e32 v12, 3, v13
	v_subrev_u32_e32 v15, 28, v14
	v_and_b32_e32 v12, 15, v12
	v_lshlrev_b32_e32 v15, v15, v13
	v_sub_u32_e32 v14, 29, v14
	v_and_b32_e32 v15, 7, v15
	v_cmp_eq_u16_e32 vcc, 0, v12
	v_cndmask_b32_e32 v11, v11, v15, vcc
	v_cndmask_b32_e32 v12, v12, v14, vcc
	v_lshlrev_b32_e32 v14, 24, v13
	v_mov_b32_e32 v15, 0x3b800000
	v_lshlrev_b32_e32 v11, 20, v11
	v_and_b32_e32 v14, 0x80000000, v14
	v_lshl_add_u32 v12, v12, 23, v15
	v_or3_b32 v11, v14, v12, v11
.LBB8_1640:
	s_or_b64 exec, exec, s[6:7]
	s_nop 0
	v_mfma_f32_16x16x4f32 a[0:3], v10, v11, a[0:3]
	v_lshrrev_b32_e32 v11, 8, v17
	s_movk_i32 s4, 0x7f
	v_cmp_gt_i16_sdwa s[6:7], v11, s4 src0_sel:BYTE_0 src1_sel:DWORD
	s_mov_b64 s[4:5], 0
                                        ; implicit-def: $sgpr10
	s_and_saveexec_b64 s[8:9], s[6:7]
	s_xor_b64 s[6:7], exec, s[8:9]
	s_cbranch_execnz .LBB8_3689
; %bb.1641:
	s_or_saveexec_b64 s[6:7], s[6:7]
	v_mov_b32_e32 v10, s10
	s_xor_b64 exec, exec, s[6:7]
	s_cbranch_execnz .LBB8_3692
.LBB8_1642:
	s_or_b64 exec, exec, s[6:7]
	s_and_saveexec_b64 s[6:7], s[4:5]
	s_cbranch_execz .LBB8_1644
.LBB8_1643:
	v_bfe_u32 v10, v17, 8, 3
	v_ffbh_u32_e32 v14, v10
	v_min_u32_e32 v14, 32, v14
	v_lshrrev_b16_e32 v12, 3, v11
	v_subrev_u32_e32 v15, 28, v14
	v_and_b32_e32 v12, 15, v12
	v_lshlrev_b32_e32 v11, v15, v11
	v_sub_u32_e32 v14, 29, v14
	v_and_b32_e32 v11, 7, v11
	v_cmp_eq_u16_e32 vcc, 0, v12
	v_cndmask_b32_e32 v10, v10, v11, vcc
	v_cndmask_b32_e32 v11, v12, v14, vcc
	v_lshlrev_b32_e32 v12, 16, v17
	v_mov_b32_e32 v14, 0x3b800000
	v_lshlrev_b32_e32 v10, 20, v10
	v_and_b32_e32 v12, 0x80000000, v12
	v_lshl_add_u32 v11, v11, 23, v14
	v_or3_b32 v10, v12, v11, v10
.LBB8_1644:
	s_or_b64 exec, exec, s[6:7]
	v_lshrrev_b32_e32 v11, 8, v13
	s_movk_i32 s4, 0x7f
	v_cmp_gt_i16_sdwa s[6:7], v11, s4 src0_sel:BYTE_0 src1_sel:DWORD
	s_mov_b64 s[4:5], 0
                                        ; implicit-def: $sgpr10
	s_and_saveexec_b64 s[8:9], s[6:7]
	s_xor_b64 s[6:7], exec, s[8:9]
	s_cbranch_execnz .LBB8_3693
; %bb.1645:
	s_or_saveexec_b64 s[6:7], s[6:7]
	v_mov_b32_e32 v12, s10
	s_xor_b64 exec, exec, s[6:7]
	s_cbranch_execnz .LBB8_3696
.LBB8_1646:
	s_or_b64 exec, exec, s[6:7]
	s_and_saveexec_b64 s[6:7], s[4:5]
	s_cbranch_execz .LBB8_1648
.LBB8_1647:
	v_bfe_u32 v12, v13, 8, 3
	v_ffbh_u32_e32 v15, v12
	v_min_u32_e32 v15, 32, v15
	v_lshrrev_b16_e32 v14, 3, v11
	v_subrev_u32_e32 v16, 28, v15
	v_and_b32_e32 v14, 15, v14
	v_lshlrev_b32_e32 v11, v16, v11
	v_sub_u32_e32 v15, 29, v15
	v_and_b32_e32 v11, 7, v11
	v_cmp_eq_u16_e32 vcc, 0, v14
	v_cndmask_b32_e32 v11, v12, v11, vcc
	v_cndmask_b32_e32 v12, v14, v15, vcc
	v_lshlrev_b32_e32 v14, 16, v13
	v_mov_b32_e32 v15, 0x3b800000
	v_lshlrev_b32_e32 v11, 20, v11
	v_and_b32_e32 v14, 0x80000000, v14
	v_lshl_add_u32 v12, v12, 23, v15
	v_or3_b32 v12, v14, v12, v11
.LBB8_1648:
	s_or_b64 exec, exec, s[6:7]
	s_nop 0
	v_mfma_f32_16x16x4f32 a[0:3], v10, v12, a[0:3]
	s_movk_i32 s4, 0xff
	v_and_b32_sdwa v11, v17, s4 dst_sel:DWORD dst_unused:UNUSED_PAD src0_sel:WORD_1 src1_sel:DWORD
	s_movk_i32 s4, 0x7f
	v_cmp_lt_i16_e32 vcc, s4, v11
	s_mov_b64 s[4:5], 0
                                        ; implicit-def: $sgpr10
	s_and_saveexec_b64 s[6:7], vcc
	s_xor_b64 s[6:7], exec, s[6:7]
	s_cbranch_execnz .LBB8_3697
; %bb.1649:
	s_or_saveexec_b64 s[6:7], s[6:7]
	v_mov_b32_e32 v10, s10
	s_xor_b64 exec, exec, s[6:7]
	s_cbranch_execnz .LBB8_3700
.LBB8_1650:
	s_or_b64 exec, exec, s[6:7]
	s_and_saveexec_b64 s[6:7], s[4:5]
	s_cbranch_execz .LBB8_1652
.LBB8_1651:
	v_bfe_u32 v10, v17, 16, 3
	v_ffbh_u32_e32 v14, v10
	v_min_u32_e32 v14, 32, v14
	v_lshrrev_b32_e32 v11, 19, v17
	v_subrev_u32_e32 v15, 28, v14
	v_and_b32_e32 v11, 15, v11
	v_lshlrev_b32_sdwa v15, v15, v17 dst_sel:DWORD dst_unused:UNUSED_PAD src0_sel:DWORD src1_sel:WORD_1
	v_bfe_u32 v12, v17, 19, 4
	v_sub_u32_e32 v14, 29, v14
	v_and_b32_e32 v15, 7, v15
	v_cmp_eq_u16_e32 vcc, 0, v11
	v_cndmask_b32_e32 v10, v10, v15, vcc
	v_cndmask_b32_e32 v11, v12, v14, vcc
	v_lshlrev_b32_e32 v12, 8, v17
	v_mov_b32_e32 v14, 0x3b800000
	v_lshlrev_b32_e32 v10, 20, v10
	v_and_b32_e32 v12, 0x80000000, v12
	v_lshl_add_u32 v11, v11, 23, v14
	v_or3_b32 v10, v12, v11, v10
.LBB8_1652:
	s_or_b64 exec, exec, s[6:7]
	s_movk_i32 s4, 0xff
	v_and_b32_sdwa v11, v13, s4 dst_sel:DWORD dst_unused:UNUSED_PAD src0_sel:WORD_1 src1_sel:DWORD
	s_movk_i32 s4, 0x7f
	v_cmp_lt_i16_e32 vcc, s4, v11
	s_mov_b64 s[4:5], 0
                                        ; implicit-def: $sgpr10
	s_and_saveexec_b64 s[6:7], vcc
	s_xor_b64 s[6:7], exec, s[6:7]
	s_cbranch_execnz .LBB8_3701
; %bb.1653:
	s_or_saveexec_b64 s[6:7], s[6:7]
	v_mov_b32_e32 v12, s10
	s_xor_b64 exec, exec, s[6:7]
	s_cbranch_execnz .LBB8_3704
.LBB8_1654:
	s_or_b64 exec, exec, s[6:7]
	s_and_saveexec_b64 s[6:7], s[4:5]
	s_cbranch_execz .LBB8_1656
.LBB8_1655:
	v_bfe_u32 v11, v13, 16, 3
	v_ffbh_u32_e32 v15, v11
	v_min_u32_e32 v15, 32, v15
	v_lshrrev_b32_e32 v12, 19, v13
	v_subrev_u32_e32 v16, 28, v15
	v_and_b32_e32 v12, 15, v12
	v_lshlrev_b32_sdwa v16, v16, v13 dst_sel:DWORD dst_unused:UNUSED_PAD src0_sel:DWORD src1_sel:WORD_1
	v_bfe_u32 v14, v13, 19, 4
	v_sub_u32_e32 v15, 29, v15
	v_and_b32_e32 v16, 7, v16
	v_cmp_eq_u16_e32 vcc, 0, v12
	v_cndmask_b32_e32 v11, v11, v16, vcc
	v_cndmask_b32_e32 v12, v14, v15, vcc
	v_lshlrev_b32_e32 v14, 8, v13
	v_mov_b32_e32 v15, 0x3b800000
	v_lshlrev_b32_e32 v11, 20, v11
	v_and_b32_e32 v14, 0x80000000, v14
	v_lshl_add_u32 v12, v12, 23, v15
	v_or3_b32 v12, v14, v12, v11
.LBB8_1656:
	s_or_b64 exec, exec, s[6:7]
	s_nop 0
	v_mfma_f32_16x16x4f32 a[0:3], v10, v12, a[0:3]
	s_movk_i32 s4, 0x7f
	v_cmp_gt_i16_sdwa s[6:7], v17, s4 src0_sel:BYTE_3 src1_sel:DWORD
	s_mov_b64 s[4:5], 0
                                        ; implicit-def: $sgpr10
	s_and_saveexec_b64 s[8:9], s[6:7]
	s_xor_b64 s[6:7], exec, s[8:9]
	s_cbranch_execnz .LBB8_3705
; %bb.1657:
	s_or_saveexec_b64 s[6:7], s[6:7]
	v_mov_b32_e32 v10, s10
	s_xor_b64 exec, exec, s[6:7]
	s_cbranch_execnz .LBB8_3708
.LBB8_1658:
	s_or_b64 exec, exec, s[6:7]
	s_and_saveexec_b64 s[6:7], s[4:5]
	s_cbranch_execz .LBB8_1660
.LBB8_1659:
	v_bfe_u32 v10, v17, 24, 3
	v_ffbh_u32_e32 v15, v10
	v_min_u32_e32 v15, 32, v15
	v_lshrrev_b32_e32 v12, 27, v17
	v_subrev_u32_e32 v16, 28, v15
	v_and_b32_e32 v12, 15, v12
	v_lshlrev_b32_sdwa v16, v16, v17 dst_sel:DWORD dst_unused:UNUSED_PAD src0_sel:DWORD src1_sel:BYTE_3
	v_bfe_u32 v14, v17, 27, 4
	v_sub_u32_e32 v15, 29, v15
	v_and_b32_e32 v16, 7, v16
	v_cmp_eq_u16_e32 vcc, 0, v12
	v_cndmask_b32_e32 v10, v10, v16, vcc
	v_cndmask_b32_e32 v12, v14, v15, vcc
	v_mov_b32_e32 v14, 0x3b800000
	v_and_b32_e32 v11, 0x80000000, v17
	v_lshlrev_b32_e32 v10, 20, v10
	v_lshl_add_u32 v12, v12, 23, v14
	v_or3_b32 v10, v11, v12, v10
.LBB8_1660:
	s_or_b64 exec, exec, s[6:7]
	s_movk_i32 s4, 0x7f
	v_cmp_gt_i16_sdwa s[6:7], v13, s4 src0_sel:BYTE_3 src1_sel:DWORD
	s_mov_b64 s[4:5], 0
                                        ; implicit-def: $sgpr10
	s_and_saveexec_b64 s[8:9], s[6:7]
	s_xor_b64 s[6:7], exec, s[8:9]
	s_cbranch_execnz .LBB8_3709
; %bb.1661:
	s_or_saveexec_b64 s[6:7], s[6:7]
	v_mov_b32_e32 v11, s10
	s_xor_b64 exec, exec, s[6:7]
	s_cbranch_execnz .LBB8_3712
.LBB8_1662:
	s_or_b64 exec, exec, s[6:7]
	s_and_saveexec_b64 s[6:7], s[4:5]
	s_cbranch_execz .LBB8_1664
.LBB8_1663:
	v_bfe_u32 v11, v13, 24, 3
	v_ffbh_u32_e32 v16, v11
	v_min_u32_e32 v16, 32, v16
	v_lshrrev_b32_e32 v14, 27, v13
	v_subrev_u32_e32 v17, 28, v16
	v_and_b32_e32 v12, 0x80000000, v13
	v_and_b32_e32 v14, 15, v14
	v_bfe_u32 v15, v13, 27, 4
	v_lshlrev_b32_sdwa v13, v17, v13 dst_sel:DWORD dst_unused:UNUSED_PAD src0_sel:DWORD src1_sel:BYTE_3
	v_sub_u32_e32 v16, 29, v16
	v_and_b32_e32 v13, 7, v13
	v_cmp_eq_u16_e32 vcc, 0, v14
	v_cndmask_b32_e32 v11, v11, v13, vcc
	v_cndmask_b32_e32 v13, v15, v16, vcc
	v_mov_b32_e32 v14, 0x3b800000
	v_lshlrev_b32_e32 v11, 20, v11
	v_lshl_add_u32 v13, v13, 23, v14
	v_or3_b32 v11, v12, v13, v11
.LBB8_1664:
	s_or_b64 exec, exec, s[6:7]
	s_nop 0
	v_mfma_f32_16x16x4f32 a[0:3], v10, v11, a[0:3]
	s_movk_i32 s4, 0x7f
	v_cmp_gt_i16_sdwa s[6:7], v6, s4 src0_sel:BYTE_0 src1_sel:DWORD
	s_mov_b64 s[4:5], 0
                                        ; implicit-def: $sgpr10
	s_and_saveexec_b64 s[8:9], s[6:7]
	s_xor_b64 s[6:7], exec, s[8:9]
	s_cbranch_execnz .LBB8_3713
; %bb.1665:
	s_or_saveexec_b64 s[6:7], s[6:7]
	v_mov_b32_e32 v10, s10
	s_xor_b64 exec, exec, s[6:7]
	s_cbranch_execnz .LBB8_3716
.LBB8_1666:
	s_or_b64 exec, exec, s[6:7]
	s_and_saveexec_b64 s[6:7], s[4:5]
	s_cbranch_execz .LBB8_1668
.LBB8_1667:
	v_and_b32_e32 v10, 7, v6
	v_ffbh_u32_e32 v12, v10
	v_min_u32_e32 v12, 32, v12
	v_lshrrev_b16_e32 v11, 3, v6
	v_subrev_u32_e32 v13, 28, v12
	v_and_b32_e32 v11, 15, v11
	v_lshlrev_b32_e32 v13, v13, v6
	v_sub_u32_e32 v12, 29, v12
	v_and_b32_e32 v13, 7, v13
	v_cmp_eq_u16_e32 vcc, 0, v11
	v_cndmask_b32_e32 v10, v10, v13, vcc
	v_cndmask_b32_e32 v11, v11, v12, vcc
	v_lshlrev_b32_e32 v12, 24, v6
	v_mov_b32_e32 v13, 0x3b800000
	v_lshlrev_b32_e32 v10, 20, v10
	v_and_b32_e32 v12, 0x80000000, v12
	v_lshl_add_u32 v11, v11, 23, v13
	v_or3_b32 v10, v12, v11, v10
.LBB8_1668:
	s_or_b64 exec, exec, s[6:7]
	s_movk_i32 s4, 0x7f
	v_cmp_gt_i16_sdwa s[6:7], v2, s4 src0_sel:BYTE_0 src1_sel:DWORD
	s_mov_b64 s[4:5], 0
                                        ; implicit-def: $sgpr10
	s_and_saveexec_b64 s[8:9], s[6:7]
	s_xor_b64 s[6:7], exec, s[8:9]
	s_cbranch_execnz .LBB8_3717
; %bb.1669:
	s_or_saveexec_b64 s[6:7], s[6:7]
	v_mov_b32_e32 v11, s10
	s_xor_b64 exec, exec, s[6:7]
	s_cbranch_execnz .LBB8_3720
.LBB8_1670:
	s_or_b64 exec, exec, s[6:7]
	s_and_saveexec_b64 s[6:7], s[4:5]
	s_cbranch_execz .LBB8_1672
.LBB8_1671:
	v_and_b32_e32 v11, 7, v2
	v_ffbh_u32_e32 v13, v11
	v_min_u32_e32 v13, 32, v13
	v_lshrrev_b16_e32 v12, 3, v2
	v_subrev_u32_e32 v14, 28, v13
	v_and_b32_e32 v12, 15, v12
	v_lshlrev_b32_e32 v14, v14, v2
	v_sub_u32_e32 v13, 29, v13
	v_and_b32_e32 v14, 7, v14
	v_cmp_eq_u16_e32 vcc, 0, v12
	v_cndmask_b32_e32 v11, v11, v14, vcc
	v_cndmask_b32_e32 v12, v12, v13, vcc
	v_lshlrev_b32_e32 v13, 24, v2
	v_mov_b32_e32 v14, 0x3b800000
	v_lshlrev_b32_e32 v11, 20, v11
	v_and_b32_e32 v13, 0x80000000, v13
	v_lshl_add_u32 v12, v12, 23, v14
	v_or3_b32 v11, v13, v12, v11
.LBB8_1672:
	s_or_b64 exec, exec, s[6:7]
	s_nop 0
	v_mfma_f32_16x16x4f32 a[0:3], v10, v11, a[0:3]
	v_lshrrev_b32_e32 v11, 8, v6
	s_movk_i32 s4, 0x7f
	v_cmp_gt_i16_sdwa s[6:7], v11, s4 src0_sel:BYTE_0 src1_sel:DWORD
	s_mov_b64 s[4:5], 0
                                        ; implicit-def: $sgpr10
	s_and_saveexec_b64 s[8:9], s[6:7]
	s_xor_b64 s[6:7], exec, s[8:9]
	s_cbranch_execnz .LBB8_3721
; %bb.1673:
	s_or_saveexec_b64 s[6:7], s[6:7]
	v_mov_b32_e32 v10, s10
	s_xor_b64 exec, exec, s[6:7]
	s_cbranch_execnz .LBB8_3724
.LBB8_1674:
	s_or_b64 exec, exec, s[6:7]
	s_and_saveexec_b64 s[6:7], s[4:5]
	s_cbranch_execz .LBB8_1676
.LBB8_1675:
	v_bfe_u32 v10, v6, 8, 3
	v_ffbh_u32_e32 v13, v10
	v_min_u32_e32 v13, 32, v13
	v_lshrrev_b16_e32 v12, 3, v11
	v_subrev_u32_e32 v14, 28, v13
	v_and_b32_e32 v12, 15, v12
	v_lshlrev_b32_e32 v11, v14, v11
	v_sub_u32_e32 v13, 29, v13
	v_and_b32_e32 v11, 7, v11
	v_cmp_eq_u16_e32 vcc, 0, v12
	v_cndmask_b32_e32 v10, v10, v11, vcc
	v_cndmask_b32_e32 v11, v12, v13, vcc
	v_lshlrev_b32_e32 v12, 16, v6
	v_mov_b32_e32 v13, 0x3b800000
	v_lshlrev_b32_e32 v10, 20, v10
	v_and_b32_e32 v12, 0x80000000, v12
	v_lshl_add_u32 v11, v11, 23, v13
	v_or3_b32 v10, v12, v11, v10
.LBB8_1676:
	s_or_b64 exec, exec, s[6:7]
	v_lshrrev_b32_e32 v11, 8, v2
	s_movk_i32 s4, 0x7f
	v_cmp_gt_i16_sdwa s[6:7], v11, s4 src0_sel:BYTE_0 src1_sel:DWORD
	s_mov_b64 s[4:5], 0
                                        ; implicit-def: $sgpr10
	s_and_saveexec_b64 s[8:9], s[6:7]
	s_xor_b64 s[6:7], exec, s[8:9]
	s_cbranch_execnz .LBB8_3725
; %bb.1677:
	s_or_saveexec_b64 s[6:7], s[6:7]
	v_mov_b32_e32 v12, s10
	s_xor_b64 exec, exec, s[6:7]
	s_cbranch_execnz .LBB8_3728
.LBB8_1678:
	s_or_b64 exec, exec, s[6:7]
	s_and_saveexec_b64 s[6:7], s[4:5]
	s_cbranch_execz .LBB8_1680
.LBB8_1679:
	v_bfe_u32 v12, v2, 8, 3
	v_ffbh_u32_e32 v14, v12
	v_min_u32_e32 v14, 32, v14
	v_lshrrev_b16_e32 v13, 3, v11
	v_subrev_u32_e32 v15, 28, v14
	v_and_b32_e32 v13, 15, v13
	v_lshlrev_b32_e32 v11, v15, v11
	v_sub_u32_e32 v14, 29, v14
	v_and_b32_e32 v11, 7, v11
	v_cmp_eq_u16_e32 vcc, 0, v13
	v_cndmask_b32_e32 v11, v12, v11, vcc
	v_cndmask_b32_e32 v12, v13, v14, vcc
	v_lshlrev_b32_e32 v13, 16, v2
	v_mov_b32_e32 v14, 0x3b800000
	v_lshlrev_b32_e32 v11, 20, v11
	v_and_b32_e32 v13, 0x80000000, v13
	v_lshl_add_u32 v12, v12, 23, v14
	v_or3_b32 v12, v13, v12, v11
.LBB8_1680:
	s_or_b64 exec, exec, s[6:7]
	s_nop 0
	v_mfma_f32_16x16x4f32 a[0:3], v10, v12, a[0:3]
	s_movk_i32 s4, 0xff
	v_and_b32_sdwa v11, v6, s4 dst_sel:DWORD dst_unused:UNUSED_PAD src0_sel:WORD_1 src1_sel:DWORD
	s_movk_i32 s4, 0x7f
	v_cmp_lt_i16_e32 vcc, s4, v11
	s_mov_b64 s[4:5], 0
                                        ; implicit-def: $sgpr10
	s_and_saveexec_b64 s[6:7], vcc
	s_xor_b64 s[6:7], exec, s[6:7]
	s_cbranch_execnz .LBB8_3729
; %bb.1681:
	s_or_saveexec_b64 s[6:7], s[6:7]
	v_mov_b32_e32 v10, s10
	s_xor_b64 exec, exec, s[6:7]
	s_cbranch_execnz .LBB8_3732
.LBB8_1682:
	s_or_b64 exec, exec, s[6:7]
	s_and_saveexec_b64 s[6:7], s[4:5]
	s_cbranch_execz .LBB8_1684
.LBB8_1683:
	v_bfe_u32 v10, v6, 16, 3
	v_ffbh_u32_e32 v13, v10
	v_min_u32_e32 v13, 32, v13
	v_lshrrev_b32_e32 v11, 19, v6
	v_subrev_u32_e32 v14, 28, v13
	v_and_b32_e32 v11, 15, v11
	v_lshlrev_b32_sdwa v14, v14, v6 dst_sel:DWORD dst_unused:UNUSED_PAD src0_sel:DWORD src1_sel:WORD_1
	v_bfe_u32 v12, v6, 19, 4
	v_sub_u32_e32 v13, 29, v13
	v_and_b32_e32 v14, 7, v14
	v_cmp_eq_u16_e32 vcc, 0, v11
	v_cndmask_b32_e32 v10, v10, v14, vcc
	v_cndmask_b32_e32 v11, v12, v13, vcc
	v_lshlrev_b32_e32 v12, 8, v6
	v_mov_b32_e32 v13, 0x3b800000
	v_lshlrev_b32_e32 v10, 20, v10
	v_and_b32_e32 v12, 0x80000000, v12
	v_lshl_add_u32 v11, v11, 23, v13
	v_or3_b32 v10, v12, v11, v10
.LBB8_1684:
	s_or_b64 exec, exec, s[6:7]
	s_movk_i32 s4, 0xff
	v_and_b32_sdwa v11, v2, s4 dst_sel:DWORD dst_unused:UNUSED_PAD src0_sel:WORD_1 src1_sel:DWORD
	s_movk_i32 s4, 0x7f
	v_cmp_lt_i16_e32 vcc, s4, v11
	s_mov_b64 s[4:5], 0
                                        ; implicit-def: $sgpr10
	s_and_saveexec_b64 s[6:7], vcc
	s_xor_b64 s[6:7], exec, s[6:7]
	s_cbranch_execnz .LBB8_3733
; %bb.1685:
	s_or_saveexec_b64 s[6:7], s[6:7]
	v_mov_b32_e32 v12, s10
	s_xor_b64 exec, exec, s[6:7]
	s_cbranch_execnz .LBB8_3736
.LBB8_1686:
	s_or_b64 exec, exec, s[6:7]
	s_and_saveexec_b64 s[6:7], s[4:5]
	s_cbranch_execz .LBB8_1688
.LBB8_1687:
	v_bfe_u32 v11, v2, 16, 3
	v_ffbh_u32_e32 v14, v11
	v_min_u32_e32 v14, 32, v14
	v_lshrrev_b32_e32 v12, 19, v2
	v_subrev_u32_e32 v15, 28, v14
	v_and_b32_e32 v12, 15, v12
	v_lshlrev_b32_sdwa v15, v15, v2 dst_sel:DWORD dst_unused:UNUSED_PAD src0_sel:DWORD src1_sel:WORD_1
	v_bfe_u32 v13, v2, 19, 4
	v_sub_u32_e32 v14, 29, v14
	v_and_b32_e32 v15, 7, v15
	v_cmp_eq_u16_e32 vcc, 0, v12
	v_cndmask_b32_e32 v11, v11, v15, vcc
	v_cndmask_b32_e32 v12, v13, v14, vcc
	v_lshlrev_b32_e32 v13, 8, v2
	v_mov_b32_e32 v14, 0x3b800000
	v_lshlrev_b32_e32 v11, 20, v11
	v_and_b32_e32 v13, 0x80000000, v13
	v_lshl_add_u32 v12, v12, 23, v14
	v_or3_b32 v12, v13, v12, v11
.LBB8_1688:
	s_or_b64 exec, exec, s[6:7]
	s_nop 0
	v_mfma_f32_16x16x4f32 a[0:3], v10, v12, a[0:3]
	s_movk_i32 s4, 0x7f
	v_cmp_gt_i16_sdwa s[6:7], v6, s4 src0_sel:BYTE_3 src1_sel:DWORD
	s_mov_b64 s[4:5], 0
                                        ; implicit-def: $sgpr10
	s_and_saveexec_b64 s[8:9], s[6:7]
	s_xor_b64 s[6:7], exec, s[8:9]
	s_cbranch_execnz .LBB8_3737
; %bb.1689:
	s_or_saveexec_b64 s[6:7], s[6:7]
	v_mov_b32_e32 v10, s10
	s_xor_b64 exec, exec, s[6:7]
	s_cbranch_execnz .LBB8_3740
.LBB8_1690:
	s_or_b64 exec, exec, s[6:7]
	s_and_saveexec_b64 s[6:7], s[4:5]
	s_cbranch_execz .LBB8_1692
.LBB8_1691:
	v_bfe_u32 v10, v6, 24, 3
	v_ffbh_u32_e32 v14, v10
	v_min_u32_e32 v14, 32, v14
	v_lshrrev_b32_e32 v12, 27, v6
	v_subrev_u32_e32 v15, 28, v14
	v_and_b32_e32 v11, 0x80000000, v6
	v_and_b32_e32 v12, 15, v12
	v_bfe_u32 v13, v6, 27, 4
	v_lshlrev_b32_sdwa v6, v15, v6 dst_sel:DWORD dst_unused:UNUSED_PAD src0_sel:DWORD src1_sel:BYTE_3
	v_sub_u32_e32 v14, 29, v14
	v_and_b32_e32 v6, 7, v6
	v_cmp_eq_u16_e32 vcc, 0, v12
	v_cndmask_b32_e32 v6, v10, v6, vcc
	v_cndmask_b32_e32 v10, v13, v14, vcc
	v_mov_b32_e32 v12, 0x3b800000
	v_lshlrev_b32_e32 v6, 20, v6
	v_lshl_add_u32 v10, v10, 23, v12
	v_or3_b32 v10, v11, v10, v6
.LBB8_1692:
	s_or_b64 exec, exec, s[6:7]
	s_movk_i32 s4, 0x7f
	v_cmp_gt_i16_sdwa s[6:7], v2, s4 src0_sel:BYTE_3 src1_sel:DWORD
	s_mov_b64 s[4:5], 0
                                        ; implicit-def: $sgpr10
	s_and_saveexec_b64 s[8:9], s[6:7]
	s_xor_b64 s[6:7], exec, s[8:9]
	s_cbranch_execnz .LBB8_3741
; %bb.1693:
	s_or_saveexec_b64 s[6:7], s[6:7]
	v_mov_b32_e32 v6, s10
	s_xor_b64 exec, exec, s[6:7]
	s_cbranch_execnz .LBB8_3744
.LBB8_1694:
	s_or_b64 exec, exec, s[6:7]
	s_and_saveexec_b64 s[6:7], s[4:5]
	s_cbranch_execz .LBB8_1696
.LBB8_1695:
	v_bfe_u32 v6, v2, 24, 3
	v_ffbh_u32_e32 v14, v6
	v_min_u32_e32 v14, 32, v14
	v_lshrrev_b32_e32 v12, 27, v2
	v_subrev_u32_e32 v15, 28, v14
	v_and_b32_e32 v11, 0x80000000, v2
	v_and_b32_e32 v12, 15, v12
	v_bfe_u32 v13, v2, 27, 4
	v_lshlrev_b32_sdwa v2, v15, v2 dst_sel:DWORD dst_unused:UNUSED_PAD src0_sel:DWORD src1_sel:BYTE_3
	v_sub_u32_e32 v14, 29, v14
	v_and_b32_e32 v2, 7, v2
	v_cmp_eq_u16_e32 vcc, 0, v12
	v_cndmask_b32_e32 v2, v6, v2, vcc
	v_cndmask_b32_e32 v6, v13, v14, vcc
	v_mov_b32_e32 v12, 0x3b800000
	v_lshlrev_b32_e32 v2, 20, v2
	v_lshl_add_u32 v6, v6, 23, v12
	v_or3_b32 v6, v11, v6, v2
.LBB8_1696:
	s_or_b64 exec, exec, s[6:7]
	s_nop 0
	v_mfma_f32_16x16x4f32 a[0:3], v10, v6, a[0:3]
	s_movk_i32 s4, 0x7f
	v_cmp_gt_i16_sdwa s[6:7], v7, s4 src0_sel:BYTE_0 src1_sel:DWORD
	s_mov_b64 s[4:5], 0
                                        ; implicit-def: $sgpr10
	s_and_saveexec_b64 s[8:9], s[6:7]
	s_xor_b64 s[6:7], exec, s[8:9]
	s_cbranch_execnz .LBB8_3745
; %bb.1697:
	s_or_saveexec_b64 s[6:7], s[6:7]
	v_mov_b32_e32 v2, s10
	s_xor_b64 exec, exec, s[6:7]
	s_cbranch_execnz .LBB8_3748
.LBB8_1698:
	s_or_b64 exec, exec, s[6:7]
	s_and_saveexec_b64 s[6:7], s[4:5]
	s_cbranch_execz .LBB8_1700
.LBB8_1699:
	v_and_b32_e32 v2, 7, v7
	v_ffbh_u32_e32 v10, v2
	v_min_u32_e32 v10, 32, v10
	v_lshrrev_b16_e32 v6, 3, v7
	v_subrev_u32_e32 v11, 28, v10
	v_and_b32_e32 v6, 15, v6
	v_lshlrev_b32_e32 v11, v11, v7
	v_sub_u32_e32 v10, 29, v10
	v_and_b32_e32 v11, 7, v11
	v_cmp_eq_u16_e32 vcc, 0, v6
	v_cndmask_b32_e32 v2, v2, v11, vcc
	v_cndmask_b32_e32 v6, v6, v10, vcc
	v_lshlrev_b32_e32 v10, 24, v7
	v_mov_b32_e32 v11, 0x3b800000
	v_lshlrev_b32_e32 v2, 20, v2
	v_and_b32_e32 v10, 0x80000000, v10
	v_lshl_add_u32 v6, v6, 23, v11
	v_or3_b32 v2, v10, v6, v2
.LBB8_1700:
	s_or_b64 exec, exec, s[6:7]
	s_movk_i32 s4, 0x7f
	v_cmp_gt_i16_sdwa s[6:7], v3, s4 src0_sel:BYTE_0 src1_sel:DWORD
	s_mov_b64 s[4:5], 0
                                        ; implicit-def: $sgpr10
	s_and_saveexec_b64 s[8:9], s[6:7]
	s_xor_b64 s[6:7], exec, s[8:9]
	s_cbranch_execnz .LBB8_3749
; %bb.1701:
	s_or_saveexec_b64 s[6:7], s[6:7]
	v_mov_b32_e32 v6, s10
	s_xor_b64 exec, exec, s[6:7]
	s_cbranch_execnz .LBB8_3752
.LBB8_1702:
	s_or_b64 exec, exec, s[6:7]
	s_and_saveexec_b64 s[6:7], s[4:5]
	s_cbranch_execz .LBB8_1704
.LBB8_1703:
	v_and_b32_e32 v6, 7, v3
	v_ffbh_u32_e32 v11, v6
	v_min_u32_e32 v11, 32, v11
	v_lshrrev_b16_e32 v10, 3, v3
	v_subrev_u32_e32 v12, 28, v11
	v_and_b32_e32 v10, 15, v10
	v_lshlrev_b32_e32 v12, v12, v3
	v_sub_u32_e32 v11, 29, v11
	v_and_b32_e32 v12, 7, v12
	v_cmp_eq_u16_e32 vcc, 0, v10
	v_cndmask_b32_e32 v6, v6, v12, vcc
	v_cndmask_b32_e32 v10, v10, v11, vcc
	v_lshlrev_b32_e32 v11, 24, v3
	v_mov_b32_e32 v12, 0x3b800000
	v_lshlrev_b32_e32 v6, 20, v6
	v_and_b32_e32 v11, 0x80000000, v11
	v_lshl_add_u32 v10, v10, 23, v12
	v_or3_b32 v6, v11, v10, v6
.LBB8_1704:
	s_or_b64 exec, exec, s[6:7]
	s_nop 0
	v_mfma_f32_16x16x4f32 a[0:3], v2, v6, a[0:3]
	v_lshrrev_b32_e32 v6, 8, v7
	s_movk_i32 s4, 0x7f
	v_cmp_gt_i16_sdwa s[6:7], v6, s4 src0_sel:BYTE_0 src1_sel:DWORD
	s_mov_b64 s[4:5], 0
                                        ; implicit-def: $sgpr10
	s_and_saveexec_b64 s[8:9], s[6:7]
	s_xor_b64 s[6:7], exec, s[8:9]
	s_cbranch_execnz .LBB8_3753
; %bb.1705:
	s_or_saveexec_b64 s[6:7], s[6:7]
	v_mov_b32_e32 v2, s10
	s_xor_b64 exec, exec, s[6:7]
	s_cbranch_execnz .LBB8_3756
.LBB8_1706:
	s_or_b64 exec, exec, s[6:7]
	s_and_saveexec_b64 s[6:7], s[4:5]
	s_cbranch_execz .LBB8_1708
.LBB8_1707:
	v_bfe_u32 v2, v7, 8, 3
	v_ffbh_u32_e32 v11, v2
	v_min_u32_e32 v11, 32, v11
	v_lshrrev_b16_e32 v10, 3, v6
	v_subrev_u32_e32 v12, 28, v11
	v_and_b32_e32 v10, 15, v10
	v_lshlrev_b32_e32 v6, v12, v6
	v_sub_u32_e32 v11, 29, v11
	v_and_b32_e32 v6, 7, v6
	v_cmp_eq_u16_e32 vcc, 0, v10
	v_cndmask_b32_e32 v2, v2, v6, vcc
	v_cndmask_b32_e32 v6, v10, v11, vcc
	v_lshlrev_b32_e32 v10, 16, v7
	v_mov_b32_e32 v11, 0x3b800000
	v_lshlrev_b32_e32 v2, 20, v2
	v_and_b32_e32 v10, 0x80000000, v10
	v_lshl_add_u32 v6, v6, 23, v11
	v_or3_b32 v2, v10, v6, v2
.LBB8_1708:
	s_or_b64 exec, exec, s[6:7]
	v_lshrrev_b32_e32 v6, 8, v3
	s_movk_i32 s4, 0x7f
	v_cmp_gt_i16_sdwa s[6:7], v6, s4 src0_sel:BYTE_0 src1_sel:DWORD
	s_mov_b64 s[4:5], 0
                                        ; implicit-def: $sgpr10
	s_and_saveexec_b64 s[8:9], s[6:7]
	s_xor_b64 s[6:7], exec, s[8:9]
	s_cbranch_execnz .LBB8_3757
; %bb.1709:
	s_or_saveexec_b64 s[6:7], s[6:7]
	v_mov_b32_e32 v10, s10
	s_xor_b64 exec, exec, s[6:7]
	s_cbranch_execnz .LBB8_3760
.LBB8_1710:
	s_or_b64 exec, exec, s[6:7]
	s_and_saveexec_b64 s[6:7], s[4:5]
	s_cbranch_execz .LBB8_1712
.LBB8_1711:
	v_bfe_u32 v10, v3, 8, 3
	v_ffbh_u32_e32 v12, v10
	v_min_u32_e32 v12, 32, v12
	v_lshrrev_b16_e32 v11, 3, v6
	v_subrev_u32_e32 v13, 28, v12
	v_and_b32_e32 v11, 15, v11
	v_lshlrev_b32_e32 v6, v13, v6
	v_sub_u32_e32 v12, 29, v12
	v_and_b32_e32 v6, 7, v6
	v_cmp_eq_u16_e32 vcc, 0, v11
	v_cndmask_b32_e32 v6, v10, v6, vcc
	v_cndmask_b32_e32 v10, v11, v12, vcc
	v_lshlrev_b32_e32 v11, 16, v3
	v_mov_b32_e32 v12, 0x3b800000
	v_lshlrev_b32_e32 v6, 20, v6
	v_and_b32_e32 v11, 0x80000000, v11
	v_lshl_add_u32 v10, v10, 23, v12
	v_or3_b32 v10, v11, v10, v6
.LBB8_1712:
	s_or_b64 exec, exec, s[6:7]
	s_nop 0
	v_mfma_f32_16x16x4f32 a[0:3], v2, v10, a[0:3]
	s_movk_i32 s4, 0xff
	v_and_b32_sdwa v6, v7, s4 dst_sel:DWORD dst_unused:UNUSED_PAD src0_sel:WORD_1 src1_sel:DWORD
	s_movk_i32 s4, 0x7f
	v_cmp_lt_i16_e32 vcc, s4, v6
	s_mov_b64 s[4:5], 0
                                        ; implicit-def: $sgpr10
	s_and_saveexec_b64 s[6:7], vcc
	s_xor_b64 s[6:7], exec, s[6:7]
	s_cbranch_execnz .LBB8_3761
; %bb.1713:
	s_or_saveexec_b64 s[6:7], s[6:7]
	v_mov_b32_e32 v2, s10
	s_xor_b64 exec, exec, s[6:7]
	s_cbranch_execnz .LBB8_3764
.LBB8_1714:
	s_or_b64 exec, exec, s[6:7]
	s_and_saveexec_b64 s[6:7], s[4:5]
	s_cbranch_execz .LBB8_1716
.LBB8_1715:
	v_bfe_u32 v2, v7, 16, 3
	v_ffbh_u32_e32 v11, v2
	v_min_u32_e32 v11, 32, v11
	v_lshrrev_b32_e32 v6, 19, v7
	v_subrev_u32_e32 v12, 28, v11
	v_and_b32_e32 v6, 15, v6
	v_lshlrev_b32_sdwa v12, v12, v7 dst_sel:DWORD dst_unused:UNUSED_PAD src0_sel:DWORD src1_sel:WORD_1
	v_bfe_u32 v10, v7, 19, 4
	v_sub_u32_e32 v11, 29, v11
	v_and_b32_e32 v12, 7, v12
	v_cmp_eq_u16_e32 vcc, 0, v6
	v_cndmask_b32_e32 v2, v2, v12, vcc
	v_cndmask_b32_e32 v6, v10, v11, vcc
	v_lshlrev_b32_e32 v10, 8, v7
	v_mov_b32_e32 v11, 0x3b800000
	v_lshlrev_b32_e32 v2, 20, v2
	v_and_b32_e32 v10, 0x80000000, v10
	v_lshl_add_u32 v6, v6, 23, v11
	v_or3_b32 v2, v10, v6, v2
.LBB8_1716:
	s_or_b64 exec, exec, s[6:7]
	s_movk_i32 s4, 0xff
	v_and_b32_sdwa v6, v3, s4 dst_sel:DWORD dst_unused:UNUSED_PAD src0_sel:WORD_1 src1_sel:DWORD
	s_movk_i32 s4, 0x7f
	v_cmp_lt_i16_e32 vcc, s4, v6
	s_mov_b64 s[4:5], 0
                                        ; implicit-def: $sgpr10
	s_and_saveexec_b64 s[6:7], vcc
	s_xor_b64 s[6:7], exec, s[6:7]
	s_cbranch_execnz .LBB8_3765
; %bb.1717:
	s_or_saveexec_b64 s[6:7], s[6:7]
	v_mov_b32_e32 v10, s10
	s_xor_b64 exec, exec, s[6:7]
	s_cbranch_execnz .LBB8_3768
.LBB8_1718:
	s_or_b64 exec, exec, s[6:7]
	s_and_saveexec_b64 s[6:7], s[4:5]
	s_cbranch_execz .LBB8_1720
.LBB8_1719:
	v_bfe_u32 v6, v3, 16, 3
	v_ffbh_u32_e32 v12, v6
	v_min_u32_e32 v12, 32, v12
	v_lshrrev_b32_e32 v10, 19, v3
	v_subrev_u32_e32 v13, 28, v12
	v_and_b32_e32 v10, 15, v10
	v_lshlrev_b32_sdwa v13, v13, v3 dst_sel:DWORD dst_unused:UNUSED_PAD src0_sel:DWORD src1_sel:WORD_1
	v_bfe_u32 v11, v3, 19, 4
	v_sub_u32_e32 v12, 29, v12
	v_and_b32_e32 v13, 7, v13
	v_cmp_eq_u16_e32 vcc, 0, v10
	v_cndmask_b32_e32 v6, v6, v13, vcc
	v_cndmask_b32_e32 v10, v11, v12, vcc
	v_lshlrev_b32_e32 v11, 8, v3
	v_mov_b32_e32 v12, 0x3b800000
	v_lshlrev_b32_e32 v6, 20, v6
	v_and_b32_e32 v11, 0x80000000, v11
	v_lshl_add_u32 v10, v10, 23, v12
	v_or3_b32 v10, v11, v10, v6
.LBB8_1720:
	s_or_b64 exec, exec, s[6:7]
	s_nop 0
	v_mfma_f32_16x16x4f32 a[0:3], v2, v10, a[0:3]
	s_movk_i32 s4, 0x7f
	v_cmp_gt_i16_sdwa s[6:7], v7, s4 src0_sel:BYTE_3 src1_sel:DWORD
	s_mov_b64 s[4:5], 0
                                        ; implicit-def: $sgpr10
	s_and_saveexec_b64 s[8:9], s[6:7]
	s_xor_b64 s[6:7], exec, s[8:9]
	s_cbranch_execnz .LBB8_3769
; %bb.1721:
	s_or_saveexec_b64 s[6:7], s[6:7]
	v_mov_b32_e32 v2, s10
	s_xor_b64 exec, exec, s[6:7]
	s_cbranch_execnz .LBB8_3772
.LBB8_1722:
	s_or_b64 exec, exec, s[6:7]
	s_and_saveexec_b64 s[6:7], s[4:5]
	s_cbranch_execz .LBB8_1724
.LBB8_1723:
	v_bfe_u32 v2, v7, 24, 3
	v_ffbh_u32_e32 v12, v2
	v_min_u32_e32 v12, 32, v12
	v_lshrrev_b32_e32 v10, 27, v7
	v_subrev_u32_e32 v13, 28, v12
	v_and_b32_e32 v6, 0x80000000, v7
	v_and_b32_e32 v10, 15, v10
	v_bfe_u32 v11, v7, 27, 4
	v_lshlrev_b32_sdwa v7, v13, v7 dst_sel:DWORD dst_unused:UNUSED_PAD src0_sel:DWORD src1_sel:BYTE_3
	v_sub_u32_e32 v12, 29, v12
	v_and_b32_e32 v7, 7, v7
	v_cmp_eq_u16_e32 vcc, 0, v10
	v_cndmask_b32_e32 v2, v2, v7, vcc
	v_cndmask_b32_e32 v7, v11, v12, vcc
	v_mov_b32_e32 v10, 0x3b800000
	v_lshlrev_b32_e32 v2, 20, v2
	v_lshl_add_u32 v7, v7, 23, v10
	v_or3_b32 v2, v6, v7, v2
.LBB8_1724:
	s_or_b64 exec, exec, s[6:7]
	s_movk_i32 s4, 0x7f
	v_cmp_gt_i16_sdwa s[6:7], v3, s4 src0_sel:BYTE_3 src1_sel:DWORD
	s_mov_b64 s[4:5], 0
                                        ; implicit-def: $sgpr10
	s_and_saveexec_b64 s[8:9], s[6:7]
	s_xor_b64 s[6:7], exec, s[8:9]
	s_cbranch_execnz .LBB8_3773
; %bb.1725:
	s_or_saveexec_b64 s[6:7], s[6:7]
	v_mov_b32_e32 v6, s10
	s_xor_b64 exec, exec, s[6:7]
	s_cbranch_execnz .LBB8_3776
.LBB8_1726:
	s_or_b64 exec, exec, s[6:7]
	s_and_saveexec_b64 s[6:7], s[4:5]
	s_cbranch_execz .LBB8_1728
.LBB8_1727:
	v_bfe_u32 v6, v3, 24, 3
	v_ffbh_u32_e32 v12, v6
	v_min_u32_e32 v12, 32, v12
	v_lshrrev_b32_e32 v10, 27, v3
	v_subrev_u32_e32 v13, 28, v12
	v_and_b32_e32 v7, 0x80000000, v3
	v_and_b32_e32 v10, 15, v10
	v_bfe_u32 v11, v3, 27, 4
	v_lshlrev_b32_sdwa v3, v13, v3 dst_sel:DWORD dst_unused:UNUSED_PAD src0_sel:DWORD src1_sel:BYTE_3
	v_sub_u32_e32 v12, 29, v12
	v_and_b32_e32 v3, 7, v3
	v_cmp_eq_u16_e32 vcc, 0, v10
	v_cndmask_b32_e32 v3, v6, v3, vcc
	v_cndmask_b32_e32 v6, v11, v12, vcc
	v_mov_b32_e32 v10, 0x3b800000
	v_lshlrev_b32_e32 v3, 20, v3
	v_lshl_add_u32 v6, v6, 23, v10
	v_or3_b32 v6, v7, v6, v3
.LBB8_1728:
	s_or_b64 exec, exec, s[6:7]
	s_nop 0
	v_mfma_f32_16x16x4f32 a[0:3], v2, v6, a[0:3]
	s_movk_i32 s4, 0x7f
	v_cmp_gt_i16_sdwa s[6:7], v8, s4 src0_sel:BYTE_0 src1_sel:DWORD
	s_mov_b64 s[4:5], 0
                                        ; implicit-def: $sgpr10
	s_and_saveexec_b64 s[8:9], s[6:7]
	s_xor_b64 s[6:7], exec, s[8:9]
	s_cbranch_execnz .LBB8_3777
; %bb.1729:
	s_or_saveexec_b64 s[6:7], s[6:7]
	v_mov_b32_e32 v2, s10
	s_xor_b64 exec, exec, s[6:7]
	s_cbranch_execnz .LBB8_3780
.LBB8_1730:
	s_or_b64 exec, exec, s[6:7]
	s_and_saveexec_b64 s[6:7], s[4:5]
	s_cbranch_execz .LBB8_1732
.LBB8_1731:
	v_and_b32_e32 v2, 7, v8
	v_ffbh_u32_e32 v6, v2
	v_min_u32_e32 v6, 32, v6
	v_lshrrev_b16_e32 v3, 3, v8
	v_subrev_u32_e32 v7, 28, v6
	v_and_b32_e32 v3, 15, v3
	v_lshlrev_b32_e32 v7, v7, v8
	v_sub_u32_e32 v6, 29, v6
	v_and_b32_e32 v7, 7, v7
	v_cmp_eq_u16_e32 vcc, 0, v3
	v_cndmask_b32_e32 v2, v2, v7, vcc
	v_cndmask_b32_e32 v3, v3, v6, vcc
	v_lshlrev_b32_e32 v6, 24, v8
	v_mov_b32_e32 v7, 0x3b800000
	v_lshlrev_b32_e32 v2, 20, v2
	v_and_b32_e32 v6, 0x80000000, v6
	v_lshl_add_u32 v3, v3, 23, v7
	v_or3_b32 v2, v6, v3, v2
.LBB8_1732:
	s_or_b64 exec, exec, s[6:7]
	s_movk_i32 s4, 0x7f
	v_cmp_gt_i16_sdwa s[6:7], v4, s4 src0_sel:BYTE_0 src1_sel:DWORD
	s_mov_b64 s[4:5], 0
                                        ; implicit-def: $sgpr10
	s_and_saveexec_b64 s[8:9], s[6:7]
	s_xor_b64 s[6:7], exec, s[8:9]
	s_cbranch_execnz .LBB8_3781
; %bb.1733:
	s_or_saveexec_b64 s[6:7], s[6:7]
	v_mov_b32_e32 v3, s10
	s_xor_b64 exec, exec, s[6:7]
	s_cbranch_execnz .LBB8_3784
.LBB8_1734:
	s_or_b64 exec, exec, s[6:7]
	s_and_saveexec_b64 s[6:7], s[4:5]
	s_cbranch_execz .LBB8_1736
.LBB8_1735:
	v_and_b32_e32 v3, 7, v4
	v_ffbh_u32_e32 v7, v3
	v_min_u32_e32 v7, 32, v7
	v_lshrrev_b16_e32 v6, 3, v4
	v_subrev_u32_e32 v10, 28, v7
	v_and_b32_e32 v6, 15, v6
	v_lshlrev_b32_e32 v10, v10, v4
	v_sub_u32_e32 v7, 29, v7
	v_and_b32_e32 v10, 7, v10
	v_cmp_eq_u16_e32 vcc, 0, v6
	v_cndmask_b32_e32 v3, v3, v10, vcc
	v_cndmask_b32_e32 v6, v6, v7, vcc
	v_lshlrev_b32_e32 v7, 24, v4
	v_mov_b32_e32 v10, 0x3b800000
	v_lshlrev_b32_e32 v3, 20, v3
	v_and_b32_e32 v7, 0x80000000, v7
	v_lshl_add_u32 v6, v6, 23, v10
	v_or3_b32 v3, v7, v6, v3
.LBB8_1736:
	s_or_b64 exec, exec, s[6:7]
	s_nop 0
	v_mfma_f32_16x16x4f32 a[0:3], v2, v3, a[0:3]
	v_lshrrev_b32_e32 v3, 8, v8
	s_movk_i32 s4, 0x7f
	v_cmp_gt_i16_sdwa s[6:7], v3, s4 src0_sel:BYTE_0 src1_sel:DWORD
	s_mov_b64 s[4:5], 0
                                        ; implicit-def: $sgpr10
	s_and_saveexec_b64 s[8:9], s[6:7]
	s_xor_b64 s[6:7], exec, s[8:9]
	s_cbranch_execnz .LBB8_3785
; %bb.1737:
	s_or_saveexec_b64 s[6:7], s[6:7]
	v_mov_b32_e32 v2, s10
	s_xor_b64 exec, exec, s[6:7]
	s_cbranch_execnz .LBB8_3788
.LBB8_1738:
	s_or_b64 exec, exec, s[6:7]
	s_and_saveexec_b64 s[6:7], s[4:5]
	s_cbranch_execz .LBB8_1740
.LBB8_1739:
	v_bfe_u32 v2, v8, 8, 3
	v_ffbh_u32_e32 v7, v2
	v_min_u32_e32 v7, 32, v7
	v_lshrrev_b16_e32 v6, 3, v3
	v_subrev_u32_e32 v10, 28, v7
	v_and_b32_e32 v6, 15, v6
	v_lshlrev_b32_e32 v3, v10, v3
	v_sub_u32_e32 v7, 29, v7
	v_and_b32_e32 v3, 7, v3
	v_cmp_eq_u16_e32 vcc, 0, v6
	v_cndmask_b32_e32 v2, v2, v3, vcc
	v_cndmask_b32_e32 v3, v6, v7, vcc
	v_lshlrev_b32_e32 v6, 16, v8
	v_mov_b32_e32 v7, 0x3b800000
	v_lshlrev_b32_e32 v2, 20, v2
	v_and_b32_e32 v6, 0x80000000, v6
	v_lshl_add_u32 v3, v3, 23, v7
	v_or3_b32 v2, v6, v3, v2
.LBB8_1740:
	s_or_b64 exec, exec, s[6:7]
	v_lshrrev_b32_e32 v3, 8, v4
	s_movk_i32 s4, 0x7f
	v_cmp_gt_i16_sdwa s[6:7], v3, s4 src0_sel:BYTE_0 src1_sel:DWORD
	s_mov_b64 s[4:5], 0
                                        ; implicit-def: $sgpr10
	s_and_saveexec_b64 s[8:9], s[6:7]
	s_xor_b64 s[6:7], exec, s[8:9]
	s_cbranch_execnz .LBB8_3789
; %bb.1741:
	s_or_saveexec_b64 s[6:7], s[6:7]
	v_mov_b32_e32 v6, s10
	s_xor_b64 exec, exec, s[6:7]
	s_cbranch_execnz .LBB8_3792
.LBB8_1742:
	s_or_b64 exec, exec, s[6:7]
	s_and_saveexec_b64 s[6:7], s[4:5]
	s_cbranch_execz .LBB8_1744
.LBB8_1743:
	v_bfe_u32 v6, v4, 8, 3
	v_ffbh_u32_e32 v10, v6
	v_min_u32_e32 v10, 32, v10
	v_lshrrev_b16_e32 v7, 3, v3
	v_subrev_u32_e32 v11, 28, v10
	v_and_b32_e32 v7, 15, v7
	v_lshlrev_b32_e32 v3, v11, v3
	v_sub_u32_e32 v10, 29, v10
	v_and_b32_e32 v3, 7, v3
	v_cmp_eq_u16_e32 vcc, 0, v7
	v_cndmask_b32_e32 v3, v6, v3, vcc
	v_cndmask_b32_e32 v6, v7, v10, vcc
	v_lshlrev_b32_e32 v7, 16, v4
	v_mov_b32_e32 v10, 0x3b800000
	v_lshlrev_b32_e32 v3, 20, v3
	v_and_b32_e32 v7, 0x80000000, v7
	v_lshl_add_u32 v6, v6, 23, v10
	v_or3_b32 v6, v7, v6, v3
.LBB8_1744:
	s_or_b64 exec, exec, s[6:7]
	s_nop 0
	v_mfma_f32_16x16x4f32 a[0:3], v2, v6, a[0:3]
	s_movk_i32 s4, 0xff
	v_and_b32_sdwa v3, v8, s4 dst_sel:DWORD dst_unused:UNUSED_PAD src0_sel:WORD_1 src1_sel:DWORD
	s_movk_i32 s4, 0x7f
	v_cmp_lt_i16_e32 vcc, s4, v3
	s_mov_b64 s[4:5], 0
                                        ; implicit-def: $sgpr10
	s_and_saveexec_b64 s[6:7], vcc
	s_xor_b64 s[6:7], exec, s[6:7]
	s_cbranch_execnz .LBB8_3793
; %bb.1745:
	s_or_saveexec_b64 s[6:7], s[6:7]
	v_mov_b32_e32 v2, s10
	s_xor_b64 exec, exec, s[6:7]
	s_cbranch_execnz .LBB8_3796
.LBB8_1746:
	s_or_b64 exec, exec, s[6:7]
	s_and_saveexec_b64 s[6:7], s[4:5]
	s_cbranch_execz .LBB8_1748
.LBB8_1747:
	v_bfe_u32 v2, v8, 16, 3
	v_ffbh_u32_e32 v7, v2
	v_min_u32_e32 v7, 32, v7
	v_lshrrev_b32_e32 v3, 19, v8
	v_subrev_u32_e32 v10, 28, v7
	v_and_b32_e32 v3, 15, v3
	v_lshlrev_b32_sdwa v10, v10, v8 dst_sel:DWORD dst_unused:UNUSED_PAD src0_sel:DWORD src1_sel:WORD_1
	v_bfe_u32 v6, v8, 19, 4
	v_sub_u32_e32 v7, 29, v7
	v_and_b32_e32 v10, 7, v10
	v_cmp_eq_u16_e32 vcc, 0, v3
	v_cndmask_b32_e32 v2, v2, v10, vcc
	v_cndmask_b32_e32 v3, v6, v7, vcc
	v_lshlrev_b32_e32 v6, 8, v8
	v_mov_b32_e32 v7, 0x3b800000
	v_lshlrev_b32_e32 v2, 20, v2
	v_and_b32_e32 v6, 0x80000000, v6
	v_lshl_add_u32 v3, v3, 23, v7
	v_or3_b32 v2, v6, v3, v2
.LBB8_1748:
	s_or_b64 exec, exec, s[6:7]
	s_movk_i32 s4, 0xff
	v_and_b32_sdwa v3, v4, s4 dst_sel:DWORD dst_unused:UNUSED_PAD src0_sel:WORD_1 src1_sel:DWORD
	s_movk_i32 s4, 0x7f
	v_cmp_lt_i16_e32 vcc, s4, v3
	s_mov_b64 s[4:5], 0
                                        ; implicit-def: $sgpr10
	s_and_saveexec_b64 s[6:7], vcc
	s_xor_b64 s[6:7], exec, s[6:7]
	s_cbranch_execnz .LBB8_3797
; %bb.1749:
	s_or_saveexec_b64 s[6:7], s[6:7]
	v_mov_b32_e32 v6, s10
	s_xor_b64 exec, exec, s[6:7]
	s_cbranch_execnz .LBB8_3800
.LBB8_1750:
	s_or_b64 exec, exec, s[6:7]
	s_and_saveexec_b64 s[6:7], s[4:5]
	s_cbranch_execz .LBB8_1752
.LBB8_1751:
	v_bfe_u32 v3, v4, 16, 3
	v_ffbh_u32_e32 v10, v3
	v_min_u32_e32 v10, 32, v10
	v_lshrrev_b32_e32 v6, 19, v4
	v_subrev_u32_e32 v11, 28, v10
	v_and_b32_e32 v6, 15, v6
	v_lshlrev_b32_sdwa v11, v11, v4 dst_sel:DWORD dst_unused:UNUSED_PAD src0_sel:DWORD src1_sel:WORD_1
	v_bfe_u32 v7, v4, 19, 4
	v_sub_u32_e32 v10, 29, v10
	v_and_b32_e32 v11, 7, v11
	v_cmp_eq_u16_e32 vcc, 0, v6
	v_cndmask_b32_e32 v3, v3, v11, vcc
	v_cndmask_b32_e32 v6, v7, v10, vcc
	v_lshlrev_b32_e32 v7, 8, v4
	v_mov_b32_e32 v10, 0x3b800000
	v_lshlrev_b32_e32 v3, 20, v3
	v_and_b32_e32 v7, 0x80000000, v7
	v_lshl_add_u32 v6, v6, 23, v10
	v_or3_b32 v6, v7, v6, v3
.LBB8_1752:
	s_or_b64 exec, exec, s[6:7]
	s_nop 0
	v_mfma_f32_16x16x4f32 a[0:3], v2, v6, a[0:3]
	s_movk_i32 s4, 0x7f
	v_cmp_gt_i16_sdwa s[6:7], v8, s4 src0_sel:BYTE_3 src1_sel:DWORD
	s_mov_b64 s[4:5], 0
                                        ; implicit-def: $sgpr10
	s_and_saveexec_b64 s[8:9], s[6:7]
	s_xor_b64 s[6:7], exec, s[8:9]
	s_cbranch_execnz .LBB8_3801
; %bb.1753:
	s_or_saveexec_b64 s[6:7], s[6:7]
	v_mov_b32_e32 v2, s10
	s_xor_b64 exec, exec, s[6:7]
	s_cbranch_execnz .LBB8_3804
.LBB8_1754:
	s_or_b64 exec, exec, s[6:7]
	s_and_saveexec_b64 s[6:7], s[4:5]
	s_cbranch_execz .LBB8_1756
.LBB8_1755:
	v_bfe_u32 v2, v8, 24, 3
	v_ffbh_u32_e32 v10, v2
	v_min_u32_e32 v10, 32, v10
	v_lshrrev_b32_e32 v6, 27, v8
	v_subrev_u32_e32 v11, 28, v10
	v_and_b32_e32 v3, 0x80000000, v8
	v_and_b32_e32 v6, 15, v6
	v_bfe_u32 v7, v8, 27, 4
	v_lshlrev_b32_sdwa v8, v11, v8 dst_sel:DWORD dst_unused:UNUSED_PAD src0_sel:DWORD src1_sel:BYTE_3
	v_sub_u32_e32 v10, 29, v10
	v_and_b32_e32 v8, 7, v8
	v_cmp_eq_u16_e32 vcc, 0, v6
	v_cndmask_b32_e32 v2, v2, v8, vcc
	v_cndmask_b32_e32 v6, v7, v10, vcc
	v_mov_b32_e32 v7, 0x3b800000
	v_lshlrev_b32_e32 v2, 20, v2
	v_lshl_add_u32 v6, v6, 23, v7
	v_or3_b32 v2, v3, v6, v2
.LBB8_1756:
	s_or_b64 exec, exec, s[6:7]
	s_movk_i32 s4, 0x7f
	v_cmp_gt_i16_sdwa s[6:7], v4, s4 src0_sel:BYTE_3 src1_sel:DWORD
	s_mov_b64 s[4:5], 0
                                        ; implicit-def: $sgpr10
	s_and_saveexec_b64 s[8:9], s[6:7]
	s_xor_b64 s[6:7], exec, s[8:9]
	s_cbranch_execnz .LBB8_3805
; %bb.1757:
	s_or_saveexec_b64 s[6:7], s[6:7]
	v_mov_b32_e32 v3, s10
	s_xor_b64 exec, exec, s[6:7]
	s_cbranch_execnz .LBB8_3808
.LBB8_1758:
	s_or_b64 exec, exec, s[6:7]
	s_and_saveexec_b64 s[6:7], s[4:5]
	s_cbranch_execz .LBB8_1760
.LBB8_1759:
	v_bfe_u32 v3, v4, 24, 3
	v_ffbh_u32_e32 v10, v3
	v_min_u32_e32 v10, 32, v10
	v_lshrrev_b32_e32 v7, 27, v4
	v_subrev_u32_e32 v11, 28, v10
	v_and_b32_e32 v6, 0x80000000, v4
	v_and_b32_e32 v7, 15, v7
	v_bfe_u32 v8, v4, 27, 4
	v_lshlrev_b32_sdwa v4, v11, v4 dst_sel:DWORD dst_unused:UNUSED_PAD src0_sel:DWORD src1_sel:BYTE_3
	v_sub_u32_e32 v10, 29, v10
	v_and_b32_e32 v4, 7, v4
	v_cmp_eq_u16_e32 vcc, 0, v7
	v_cndmask_b32_e32 v3, v3, v4, vcc
	v_cndmask_b32_e32 v4, v8, v10, vcc
	v_mov_b32_e32 v7, 0x3b800000
	v_lshlrev_b32_e32 v3, 20, v3
	v_lshl_add_u32 v4, v4, 23, v7
	v_or3_b32 v3, v6, v4, v3
.LBB8_1760:
	s_or_b64 exec, exec, s[6:7]
	s_nop 0
	v_mfma_f32_16x16x4f32 a[0:3], v2, v3, a[0:3]
	s_movk_i32 s4, 0x7f
	v_cmp_gt_i16_sdwa s[6:7], v9, s4 src0_sel:BYTE_0 src1_sel:DWORD
	s_mov_b64 s[4:5], 0
                                        ; implicit-def: $sgpr10
	s_and_saveexec_b64 s[8:9], s[6:7]
	s_xor_b64 s[6:7], exec, s[8:9]
	s_cbranch_execnz .LBB8_3809
; %bb.1761:
	s_or_saveexec_b64 s[6:7], s[6:7]
	v_mov_b32_e32 v2, s10
	s_xor_b64 exec, exec, s[6:7]
	s_cbranch_execnz .LBB8_3812
.LBB8_1762:
	s_or_b64 exec, exec, s[6:7]
	s_and_saveexec_b64 s[6:7], s[4:5]
	s_cbranch_execz .LBB8_1764
.LBB8_1763:
	v_mov_b32_e32 v2, 8
	v_and_b32_e32 v3, 7, v9
	v_lshrrev_b32_sdwa v2, v2, v9 dst_sel:BYTE_1 dst_unused:UNUSED_PAD src0_sel:DWORD src1_sel:DWORD
	v_ffbh_u32_e32 v4, v3
	v_or_b32_sdwa v2, v9, v2 dst_sel:DWORD dst_unused:UNUSED_PAD src0_sel:BYTE_0 src1_sel:DWORD
	v_min_u32_e32 v4, 32, v4
	v_lshrrev_b16_e32 v2, 3, v2
	v_subrev_u32_e32 v6, 28, v4
	v_and_b32_e32 v2, 15, v2
	v_lshlrev_b32_e32 v6, v6, v9
	v_sub_u32_e32 v4, 29, v4
	v_and_b32_e32 v6, 7, v6
	v_cmp_eq_u16_e32 vcc, 0, v2
	v_cndmask_b32_e32 v3, v3, v6, vcc
	v_cndmask_b32_e32 v2, v2, v4, vcc
	v_lshlrev_b32_e32 v4, 24, v9
	v_mov_b32_e32 v6, 0x3b800000
	v_lshlrev_b32_e32 v3, 20, v3
	v_and_b32_e32 v4, 0x80000000, v4
	v_lshl_add_u32 v2, v2, 23, v6
	v_or3_b32 v2, v4, v2, v3
.LBB8_1764:
	s_or_b64 exec, exec, s[6:7]
	s_movk_i32 s4, 0x7f
	v_cmp_gt_i16_sdwa s[6:7], v5, s4 src0_sel:BYTE_0 src1_sel:DWORD
	s_mov_b64 s[4:5], 0
                                        ; implicit-def: $sgpr10
	s_and_saveexec_b64 s[8:9], s[6:7]
	s_xor_b64 s[6:7], exec, s[8:9]
	s_cbranch_execnz .LBB8_3813
; %bb.1765:
	s_or_saveexec_b64 s[6:7], s[6:7]
	v_mov_b32_e32 v3, s10
	s_xor_b64 exec, exec, s[6:7]
	s_cbranch_execnz .LBB8_3816
.LBB8_1766:
	s_or_b64 exec, exec, s[6:7]
	s_and_saveexec_b64 s[6:7], s[4:5]
	s_cbranch_execz .LBB8_1768
.LBB8_1767:
	v_mov_b32_e32 v3, 8
	v_and_b32_e32 v4, 7, v5
	v_lshrrev_b32_sdwa v3, v3, v5 dst_sel:BYTE_1 dst_unused:UNUSED_PAD src0_sel:DWORD src1_sel:DWORD
	v_ffbh_u32_e32 v6, v4
	v_or_b32_sdwa v3, v5, v3 dst_sel:DWORD dst_unused:UNUSED_PAD src0_sel:BYTE_0 src1_sel:DWORD
	v_min_u32_e32 v6, 32, v6
	v_lshrrev_b16_e32 v3, 3, v3
	v_subrev_u32_e32 v7, 28, v6
	v_and_b32_e32 v3, 15, v3
	v_lshlrev_b32_e32 v7, v7, v5
	v_sub_u32_e32 v6, 29, v6
	v_and_b32_e32 v7, 7, v7
	v_cmp_eq_u16_e32 vcc, 0, v3
	v_cndmask_b32_e32 v4, v4, v7, vcc
	v_cndmask_b32_e32 v3, v3, v6, vcc
	v_lshlrev_b32_e32 v6, 24, v5
	v_mov_b32_e32 v7, 0x3b800000
	v_lshlrev_b32_e32 v4, 20, v4
	v_and_b32_e32 v6, 0x80000000, v6
	v_lshl_add_u32 v3, v3, 23, v7
	v_or3_b32 v3, v6, v3, v4
.LBB8_1768:
	s_or_b64 exec, exec, s[6:7]
	s_nop 0
	v_mfma_f32_16x16x4f32 a[0:3], v2, v3, a[0:3]
	v_lshrrev_b32_e32 v3, 8, v9
	s_movk_i32 s4, 0x7f
	v_cmp_gt_i16_sdwa s[6:7], v3, s4 src0_sel:BYTE_0 src1_sel:DWORD
	s_mov_b64 s[4:5], 0
                                        ; implicit-def: $sgpr10
	s_and_saveexec_b64 s[8:9], s[6:7]
	s_xor_b64 s[6:7], exec, s[8:9]
	s_cbranch_execnz .LBB8_3817
; %bb.1769:
	s_or_saveexec_b64 s[6:7], s[6:7]
	v_mov_b32_e32 v2, s10
	s_xor_b64 exec, exec, s[6:7]
	s_cbranch_execnz .LBB8_3820
.LBB8_1770:
	s_or_b64 exec, exec, s[6:7]
	s_and_saveexec_b64 s[6:7], s[4:5]
	s_cbranch_execz .LBB8_1772
.LBB8_1771:
	v_bfe_u32 v2, v9, 8, 3
	v_ffbh_u32_e32 v6, v2
	v_min_u32_e32 v6, 32, v6
	v_lshrrev_b16_e32 v4, 3, v3
	v_subrev_u32_e32 v7, 28, v6
	v_and_b32_e32 v4, 15, v4
	v_lshlrev_b32_e32 v3, v7, v3
	v_sub_u32_e32 v6, 29, v6
	v_and_b32_e32 v3, 7, v3
	v_cmp_eq_u16_e32 vcc, 0, v4
	v_cndmask_b32_e32 v2, v2, v3, vcc
	v_cndmask_b32_e32 v3, v4, v6, vcc
	v_lshlrev_b32_e32 v4, 16, v9
	v_mov_b32_e32 v6, 0x3b800000
	v_lshlrev_b32_e32 v2, 20, v2
	v_and_b32_e32 v4, 0x80000000, v4
	v_lshl_add_u32 v3, v3, 23, v6
	v_or3_b32 v2, v4, v3, v2
.LBB8_1772:
	s_or_b64 exec, exec, s[6:7]
	v_lshrrev_b32_e32 v3, 8, v5
	s_movk_i32 s4, 0x7f
	v_cmp_gt_i16_sdwa s[6:7], v3, s4 src0_sel:BYTE_0 src1_sel:DWORD
	s_mov_b64 s[4:5], 0
                                        ; implicit-def: $sgpr10
	s_and_saveexec_b64 s[8:9], s[6:7]
	s_xor_b64 s[6:7], exec, s[8:9]
	s_cbranch_execnz .LBB8_3821
; %bb.1773:
	s_or_saveexec_b64 s[6:7], s[6:7]
	v_mov_b32_e32 v4, s10
	s_xor_b64 exec, exec, s[6:7]
	s_cbranch_execnz .LBB8_3824
.LBB8_1774:
	s_or_b64 exec, exec, s[6:7]
	s_and_saveexec_b64 s[6:7], s[4:5]
	s_cbranch_execz .LBB8_1776
.LBB8_1775:
	v_bfe_u32 v4, v5, 8, 3
	v_ffbh_u32_e32 v7, v4
	v_min_u32_e32 v7, 32, v7
	v_lshrrev_b16_e32 v6, 3, v3
	v_subrev_u32_e32 v8, 28, v7
	v_and_b32_e32 v6, 15, v6
	v_lshlrev_b32_e32 v3, v8, v3
	v_sub_u32_e32 v7, 29, v7
	v_and_b32_e32 v3, 7, v3
	v_cmp_eq_u16_e32 vcc, 0, v6
	v_cndmask_b32_e32 v3, v4, v3, vcc
	v_cndmask_b32_e32 v4, v6, v7, vcc
	v_lshlrev_b32_e32 v6, 16, v5
	v_mov_b32_e32 v7, 0x3b800000
	v_lshlrev_b32_e32 v3, 20, v3
	v_and_b32_e32 v6, 0x80000000, v6
	v_lshl_add_u32 v4, v4, 23, v7
	v_or3_b32 v4, v6, v4, v3
.LBB8_1776:
	s_or_b64 exec, exec, s[6:7]
	s_nop 0
	v_mfma_f32_16x16x4f32 a[0:3], v2, v4, a[0:3]
	s_movk_i32 s4, 0xff
	v_and_b32_sdwa v3, v9, s4 dst_sel:DWORD dst_unused:UNUSED_PAD src0_sel:WORD_1 src1_sel:DWORD
	s_movk_i32 s4, 0x7f
	v_cmp_lt_i16_e32 vcc, s4, v3
	s_mov_b64 s[4:5], 0
                                        ; implicit-def: $sgpr10
	s_and_saveexec_b64 s[6:7], vcc
	s_xor_b64 s[6:7], exec, s[6:7]
	s_cbranch_execnz .LBB8_3825
; %bb.1777:
	s_or_saveexec_b64 s[6:7], s[6:7]
	v_mov_b32_e32 v2, s10
	s_xor_b64 exec, exec, s[6:7]
	s_cbranch_execnz .LBB8_3828
.LBB8_1778:
	s_or_b64 exec, exec, s[6:7]
	s_and_saveexec_b64 s[6:7], s[4:5]
	s_cbranch_execz .LBB8_1780
.LBB8_1779:
	v_bfe_u32 v2, v9, 16, 3
	v_ffbh_u32_e32 v6, v2
	v_min_u32_e32 v6, 32, v6
	v_lshrrev_b32_e32 v3, 19, v9
	v_subrev_u32_e32 v7, 28, v6
	v_and_b32_e32 v3, 15, v3
	v_lshlrev_b32_sdwa v7, v7, v9 dst_sel:DWORD dst_unused:UNUSED_PAD src0_sel:DWORD src1_sel:WORD_1
	v_bfe_u32 v4, v9, 19, 4
	v_sub_u32_e32 v6, 29, v6
	v_and_b32_e32 v7, 7, v7
	v_cmp_eq_u16_e32 vcc, 0, v3
	v_cndmask_b32_e32 v2, v2, v7, vcc
	v_cndmask_b32_e32 v3, v4, v6, vcc
	v_lshlrev_b32_e32 v4, 8, v9
	v_mov_b32_e32 v6, 0x3b800000
	v_lshlrev_b32_e32 v2, 20, v2
	v_and_b32_e32 v4, 0x80000000, v4
	v_lshl_add_u32 v3, v3, 23, v6
	v_or3_b32 v2, v4, v3, v2
.LBB8_1780:
	s_or_b64 exec, exec, s[6:7]
	s_movk_i32 s4, 0xff
	v_and_b32_sdwa v3, v5, s4 dst_sel:DWORD dst_unused:UNUSED_PAD src0_sel:WORD_1 src1_sel:DWORD
	s_movk_i32 s4, 0x7f
	v_cmp_lt_i16_e32 vcc, s4, v3
	s_mov_b64 s[4:5], 0
                                        ; implicit-def: $sgpr10
	s_and_saveexec_b64 s[6:7], vcc
	s_xor_b64 s[6:7], exec, s[6:7]
	s_cbranch_execnz .LBB8_3829
; %bb.1781:
	s_or_saveexec_b64 s[6:7], s[6:7]
	v_mov_b32_e32 v4, s10
	s_xor_b64 exec, exec, s[6:7]
	s_cbranch_execnz .LBB8_3832
.LBB8_1782:
	s_or_b64 exec, exec, s[6:7]
	s_and_saveexec_b64 s[6:7], s[4:5]
	s_cbranch_execz .LBB8_1784
.LBB8_1783:
	v_bfe_u32 v3, v5, 16, 3
	v_ffbh_u32_e32 v7, v3
	v_min_u32_e32 v7, 32, v7
	v_lshrrev_b32_e32 v4, 19, v5
	v_subrev_u32_e32 v8, 28, v7
	v_and_b32_e32 v4, 15, v4
	v_lshlrev_b32_sdwa v8, v8, v5 dst_sel:DWORD dst_unused:UNUSED_PAD src0_sel:DWORD src1_sel:WORD_1
	v_bfe_u32 v6, v5, 19, 4
	v_sub_u32_e32 v7, 29, v7
	v_and_b32_e32 v8, 7, v8
	v_cmp_eq_u16_e32 vcc, 0, v4
	v_cndmask_b32_e32 v3, v3, v8, vcc
	v_cndmask_b32_e32 v4, v6, v7, vcc
	v_lshlrev_b32_e32 v6, 8, v5
	v_mov_b32_e32 v7, 0x3b800000
	v_lshlrev_b32_e32 v3, 20, v3
	v_and_b32_e32 v6, 0x80000000, v6
	v_lshl_add_u32 v4, v4, 23, v7
	v_or3_b32 v4, v6, v4, v3
.LBB8_1784:
	s_or_b64 exec, exec, s[6:7]
	s_nop 0
	v_mfma_f32_16x16x4f32 a[0:3], v2, v4, a[0:3]
	s_movk_i32 s4, 0x7f
	v_cmp_gt_i16_sdwa s[6:7], v9, s4 src0_sel:BYTE_3 src1_sel:DWORD
	s_mov_b64 s[4:5], 0
                                        ; implicit-def: $sgpr10
	s_and_saveexec_b64 s[8:9], s[6:7]
	s_xor_b64 s[6:7], exec, s[8:9]
	s_cbranch_execnz .LBB8_3833
; %bb.1785:
	s_or_saveexec_b64 s[6:7], s[6:7]
	v_mov_b32_e32 v2, s10
	s_xor_b64 exec, exec, s[6:7]
	s_cbranch_execnz .LBB8_3836
.LBB8_1786:
	s_or_b64 exec, exec, s[6:7]
	s_and_saveexec_b64 s[6:7], s[4:5]
	s_cbranch_execz .LBB8_1788
.LBB8_1787:
	v_bfe_u32 v2, v9, 24, 3
	v_ffbh_u32_e32 v7, v2
	v_min_u32_e32 v7, 32, v7
	v_lshrrev_b32_e32 v4, 27, v9
	v_subrev_u32_e32 v8, 28, v7
	v_and_b32_e32 v4, 15, v4
	v_lshlrev_b32_sdwa v8, v8, v9 dst_sel:DWORD dst_unused:UNUSED_PAD src0_sel:DWORD src1_sel:BYTE_3
	v_bfe_u32 v6, v9, 27, 4
	v_sub_u32_e32 v7, 29, v7
	v_and_b32_e32 v8, 7, v8
	v_cmp_eq_u16_e32 vcc, 0, v4
	v_cndmask_b32_e32 v2, v2, v8, vcc
	v_cndmask_b32_e32 v4, v6, v7, vcc
	v_mov_b32_e32 v6, 0x3b800000
	v_and_b32_e32 v3, 0x80000000, v9
	v_lshlrev_b32_e32 v2, 20, v2
	v_lshl_add_u32 v4, v4, 23, v6
	v_or3_b32 v2, v3, v4, v2
.LBB8_1788:
	s_or_b64 exec, exec, s[6:7]
	s_movk_i32 s4, 0x7f
	v_cmp_gt_i16_sdwa s[6:7], v5, s4 src0_sel:BYTE_3 src1_sel:DWORD
	s_mov_b64 s[4:5], 0
                                        ; implicit-def: $sgpr10
	s_and_saveexec_b64 s[8:9], s[6:7]
	s_xor_b64 s[6:7], exec, s[8:9]
	s_cbranch_execnz .LBB8_3837
; %bb.1789:
	s_or_saveexec_b64 s[6:7], s[6:7]
	v_mov_b32_e32 v3, s10
	s_xor_b64 exec, exec, s[6:7]
	s_cbranch_execnz .LBB8_3840
.LBB8_1790:
	s_or_b64 exec, exec, s[6:7]
	s_and_saveexec_b64 s[6:7], s[4:5]
	s_cbranch_execz .LBB8_1792
.LBB8_1791:
	v_bfe_u32 v3, v5, 24, 3
	v_ffbh_u32_e32 v8, v3
	v_min_u32_e32 v8, 32, v8
	v_lshrrev_b32_e32 v6, 27, v5
	v_subrev_u32_e32 v9, 28, v8
	v_and_b32_e32 v4, 0x80000000, v5
	v_and_b32_e32 v6, 15, v6
	v_bfe_u32 v7, v5, 27, 4
	v_lshlrev_b32_sdwa v5, v9, v5 dst_sel:DWORD dst_unused:UNUSED_PAD src0_sel:DWORD src1_sel:BYTE_3
	v_sub_u32_e32 v8, 29, v8
	v_and_b32_e32 v5, 7, v5
	v_cmp_eq_u16_e32 vcc, 0, v6
	v_cndmask_b32_e32 v3, v3, v5, vcc
	v_cndmask_b32_e32 v5, v7, v8, vcc
	v_mov_b32_e32 v6, 0x3b800000
	v_lshlrev_b32_e32 v3, 20, v3
	v_lshl_add_u32 v5, v5, 23, v6
	v_or3_b32 v3, v4, v5, v3
.LBB8_1792:
	s_or_b64 exec, exec, s[6:7]
	s_nop 0
	v_mfma_f32_16x16x4f32 a[0:3], v2, v3, a[0:3]
	s_movk_i32 s4, 0x7f
                                        ; implicit-def: $sgpr10
	s_nop 7
	s_nop 1
	flat_store_dwordx4 v[18:19], a[0:3] offset:864
	flat_load_dwordx4 v[18:21], v[0:1] offset:16
	s_nop 0
	flat_load_dwordx2 v[16:17], v[0:1] offset:32
	s_waitcnt vmcnt(0) lgkmcnt(0)
	flat_load_dwordx4 v[12:15], v[18:19]
	flat_load_dwordx4 v[4:7], v[18:19] offset:16
	flat_load_dwordx4 v[8:11], v[20:21] offset:224
	;; [unrolled: 1-line block ×3, first 2 shown]
	s_waitcnt vmcnt(0) lgkmcnt(0)
	v_cmp_gt_i16_sdwa s[6:7], v12, s4 src0_sel:BYTE_0 src1_sel:DWORD
	s_mov_b64 s[4:5], 0
	s_and_saveexec_b64 s[8:9], s[6:7]
	s_xor_b64 s[6:7], exec, s[8:9]
	s_cbranch_execnz .LBB8_3841
; %bb.1793:
	s_or_saveexec_b64 s[6:7], s[6:7]
	v_mov_b32_e32 v18, s10
	s_xor_b64 exec, exec, s[6:7]
	s_cbranch_execnz .LBB8_3844
.LBB8_1794:
	s_or_b64 exec, exec, s[6:7]
	s_and_saveexec_b64 s[6:7], s[4:5]
	s_cbranch_execz .LBB8_1796
.LBB8_1795:
	v_and_b32_e32 v18, 7, v12
	v_ffbh_u32_e32 v20, v18
	v_min_u32_e32 v20, 32, v20
	v_lshrrev_b16_e32 v19, 3, v12
	v_subrev_u32_e32 v21, 28, v20
	v_and_b32_e32 v19, 15, v19
	v_lshlrev_b32_e32 v21, v21, v12
	v_sub_u32_e32 v20, 29, v20
	v_and_b32_e32 v21, 7, v21
	v_cmp_eq_u16_e32 vcc, 0, v19
	v_cndmask_b32_e32 v18, v18, v21, vcc
	v_cndmask_b32_e32 v19, v19, v20, vcc
	v_lshlrev_b32_e32 v20, 24, v12
	v_mov_b32_e32 v21, 0x3b800000
	v_lshlrev_b32_e32 v18, 20, v18
	v_and_b32_e32 v20, 0x80000000, v20
	v_lshl_add_u32 v19, v19, 23, v21
	v_or3_b32 v18, v20, v19, v18
.LBB8_1796:
	s_or_b64 exec, exec, s[6:7]
	s_movk_i32 s4, 0x7f
	v_cmp_gt_i16_sdwa s[6:7], v8, s4 src0_sel:BYTE_0 src1_sel:DWORD
	s_mov_b64 s[4:5], 0
                                        ; implicit-def: $sgpr10
	s_and_saveexec_b64 s[8:9], s[6:7]
	s_xor_b64 s[6:7], exec, s[8:9]
	s_cbranch_execnz .LBB8_3845
; %bb.1797:
	s_or_saveexec_b64 s[6:7], s[6:7]
	v_mov_b32_e32 v19, s10
	s_xor_b64 exec, exec, s[6:7]
	s_cbranch_execnz .LBB8_3848
.LBB8_1798:
	s_or_b64 exec, exec, s[6:7]
	s_and_saveexec_b64 s[6:7], s[4:5]
	s_cbranch_execz .LBB8_1800
.LBB8_1799:
	v_and_b32_e32 v19, 7, v8
	v_ffbh_u32_e32 v21, v19
	v_min_u32_e32 v21, 32, v21
	v_lshrrev_b16_e32 v20, 3, v8
	v_subrev_u32_e32 v22, 28, v21
	v_and_b32_e32 v20, 15, v20
	v_lshlrev_b32_e32 v22, v22, v8
	v_sub_u32_e32 v21, 29, v21
	v_and_b32_e32 v22, 7, v22
	v_cmp_eq_u16_e32 vcc, 0, v20
	v_cndmask_b32_e32 v19, v19, v22, vcc
	v_cndmask_b32_e32 v20, v20, v21, vcc
	v_lshlrev_b32_e32 v21, 24, v8
	v_mov_b32_e32 v22, 0x3b800000
	v_lshlrev_b32_e32 v19, 20, v19
	v_and_b32_e32 v21, 0x80000000, v21
	v_lshl_add_u32 v20, v20, 23, v22
	v_or3_b32 v19, v21, v20, v19
.LBB8_1800:
	s_or_b64 exec, exec, s[6:7]
	flat_load_dwordx4 a[0:3], v[16:17] offset:880
	s_movk_i32 s4, 0x7f
                                        ; implicit-def: $sgpr10
	s_waitcnt vmcnt(0) lgkmcnt(0)
	v_mfma_f32_16x16x4f32 a[0:3], v18, v19, a[0:3]
	v_lshrrev_b32_e32 v19, 8, v12
	v_cmp_gt_i16_sdwa s[6:7], v19, s4 src0_sel:BYTE_0 src1_sel:DWORD
	s_mov_b64 s[4:5], 0
	s_and_saveexec_b64 s[8:9], s[6:7]
	s_xor_b64 s[6:7], exec, s[8:9]
	s_cbranch_execnz .LBB8_3849
; %bb.1801:
	s_or_saveexec_b64 s[6:7], s[6:7]
	v_mov_b32_e32 v18, s10
	s_xor_b64 exec, exec, s[6:7]
	s_cbranch_execnz .LBB8_3852
.LBB8_1802:
	s_or_b64 exec, exec, s[6:7]
	s_and_saveexec_b64 s[6:7], s[4:5]
	s_cbranch_execz .LBB8_1804
.LBB8_1803:
	v_bfe_u32 v18, v12, 8, 3
	v_ffbh_u32_e32 v21, v18
	v_min_u32_e32 v21, 32, v21
	v_lshrrev_b16_e32 v20, 3, v19
	v_subrev_u32_e32 v22, 28, v21
	v_and_b32_e32 v20, 15, v20
	v_lshlrev_b32_e32 v19, v22, v19
	v_sub_u32_e32 v21, 29, v21
	v_and_b32_e32 v19, 7, v19
	v_cmp_eq_u16_e32 vcc, 0, v20
	v_cndmask_b32_e32 v18, v18, v19, vcc
	v_cndmask_b32_e32 v19, v20, v21, vcc
	v_lshlrev_b32_e32 v20, 16, v12
	v_mov_b32_e32 v21, 0x3b800000
	v_lshlrev_b32_e32 v18, 20, v18
	v_and_b32_e32 v20, 0x80000000, v20
	v_lshl_add_u32 v19, v19, 23, v21
	v_or3_b32 v18, v20, v19, v18
.LBB8_1804:
	s_or_b64 exec, exec, s[6:7]
	v_lshrrev_b32_e32 v19, 8, v8
	s_movk_i32 s4, 0x7f
	v_cmp_gt_i16_sdwa s[6:7], v19, s4 src0_sel:BYTE_0 src1_sel:DWORD
	s_mov_b64 s[4:5], 0
                                        ; implicit-def: $sgpr10
	s_and_saveexec_b64 s[8:9], s[6:7]
	s_xor_b64 s[6:7], exec, s[8:9]
	s_cbranch_execnz .LBB8_3853
; %bb.1805:
	s_or_saveexec_b64 s[6:7], s[6:7]
	v_mov_b32_e32 v20, s10
	s_xor_b64 exec, exec, s[6:7]
	s_cbranch_execnz .LBB8_3856
.LBB8_1806:
	s_or_b64 exec, exec, s[6:7]
	s_and_saveexec_b64 s[6:7], s[4:5]
	s_cbranch_execz .LBB8_1808
.LBB8_1807:
	v_bfe_u32 v20, v8, 8, 3
	v_ffbh_u32_e32 v22, v20
	v_min_u32_e32 v22, 32, v22
	v_lshrrev_b16_e32 v21, 3, v19
	v_subrev_u32_e32 v23, 28, v22
	v_and_b32_e32 v21, 15, v21
	v_lshlrev_b32_e32 v19, v23, v19
	v_sub_u32_e32 v22, 29, v22
	v_and_b32_e32 v19, 7, v19
	v_cmp_eq_u16_e32 vcc, 0, v21
	v_cndmask_b32_e32 v19, v20, v19, vcc
	v_cndmask_b32_e32 v20, v21, v22, vcc
	v_lshlrev_b32_e32 v21, 16, v8
	v_mov_b32_e32 v22, 0x3b800000
	v_lshlrev_b32_e32 v19, 20, v19
	v_and_b32_e32 v21, 0x80000000, v21
	v_lshl_add_u32 v20, v20, 23, v22
	v_or3_b32 v20, v21, v20, v19
.LBB8_1808:
	s_or_b64 exec, exec, s[6:7]
	s_nop 0
	v_mfma_f32_16x16x4f32 a[0:3], v18, v20, a[0:3]
	s_movk_i32 s4, 0xff
	v_and_b32_sdwa v19, v12, s4 dst_sel:DWORD dst_unused:UNUSED_PAD src0_sel:WORD_1 src1_sel:DWORD
	s_movk_i32 s4, 0x7f
	v_cmp_lt_i16_e32 vcc, s4, v19
	s_mov_b64 s[4:5], 0
                                        ; implicit-def: $sgpr10
	s_and_saveexec_b64 s[6:7], vcc
	s_xor_b64 s[6:7], exec, s[6:7]
	s_cbranch_execnz .LBB8_3857
; %bb.1809:
	s_or_saveexec_b64 s[6:7], s[6:7]
	v_mov_b32_e32 v18, s10
	s_xor_b64 exec, exec, s[6:7]
	s_cbranch_execnz .LBB8_3860
.LBB8_1810:
	s_or_b64 exec, exec, s[6:7]
	s_and_saveexec_b64 s[6:7], s[4:5]
	s_cbranch_execz .LBB8_1812
.LBB8_1811:
	v_bfe_u32 v18, v12, 16, 3
	v_ffbh_u32_e32 v21, v18
	v_min_u32_e32 v21, 32, v21
	v_lshrrev_b32_e32 v19, 19, v12
	v_subrev_u32_e32 v22, 28, v21
	v_and_b32_e32 v19, 15, v19
	v_lshlrev_b32_sdwa v22, v22, v12 dst_sel:DWORD dst_unused:UNUSED_PAD src0_sel:DWORD src1_sel:WORD_1
	v_bfe_u32 v20, v12, 19, 4
	v_sub_u32_e32 v21, 29, v21
	v_and_b32_e32 v22, 7, v22
	v_cmp_eq_u16_e32 vcc, 0, v19
	v_cndmask_b32_e32 v18, v18, v22, vcc
	v_cndmask_b32_e32 v19, v20, v21, vcc
	v_lshlrev_b32_e32 v20, 8, v12
	v_mov_b32_e32 v21, 0x3b800000
	v_lshlrev_b32_e32 v18, 20, v18
	v_and_b32_e32 v20, 0x80000000, v20
	v_lshl_add_u32 v19, v19, 23, v21
	v_or3_b32 v18, v20, v19, v18
.LBB8_1812:
	s_or_b64 exec, exec, s[6:7]
	s_movk_i32 s4, 0xff
	v_and_b32_sdwa v19, v8, s4 dst_sel:DWORD dst_unused:UNUSED_PAD src0_sel:WORD_1 src1_sel:DWORD
	s_movk_i32 s4, 0x7f
	v_cmp_lt_i16_e32 vcc, s4, v19
	s_mov_b64 s[4:5], 0
                                        ; implicit-def: $sgpr10
	s_and_saveexec_b64 s[6:7], vcc
	s_xor_b64 s[6:7], exec, s[6:7]
	s_cbranch_execnz .LBB8_3861
; %bb.1813:
	s_or_saveexec_b64 s[6:7], s[6:7]
	v_mov_b32_e32 v20, s10
	s_xor_b64 exec, exec, s[6:7]
	s_cbranch_execnz .LBB8_3864
.LBB8_1814:
	s_or_b64 exec, exec, s[6:7]
	s_and_saveexec_b64 s[6:7], s[4:5]
	s_cbranch_execz .LBB8_1816
.LBB8_1815:
	v_bfe_u32 v19, v8, 16, 3
	v_ffbh_u32_e32 v22, v19
	v_min_u32_e32 v22, 32, v22
	v_lshrrev_b32_e32 v20, 19, v8
	v_subrev_u32_e32 v23, 28, v22
	v_and_b32_e32 v20, 15, v20
	v_lshlrev_b32_sdwa v23, v23, v8 dst_sel:DWORD dst_unused:UNUSED_PAD src0_sel:DWORD src1_sel:WORD_1
	v_bfe_u32 v21, v8, 19, 4
	v_sub_u32_e32 v22, 29, v22
	v_and_b32_e32 v23, 7, v23
	v_cmp_eq_u16_e32 vcc, 0, v20
	v_cndmask_b32_e32 v19, v19, v23, vcc
	v_cndmask_b32_e32 v20, v21, v22, vcc
	v_lshlrev_b32_e32 v21, 8, v8
	v_mov_b32_e32 v22, 0x3b800000
	v_lshlrev_b32_e32 v19, 20, v19
	v_and_b32_e32 v21, 0x80000000, v21
	v_lshl_add_u32 v20, v20, 23, v22
	v_or3_b32 v20, v21, v20, v19
.LBB8_1816:
	s_or_b64 exec, exec, s[6:7]
	s_nop 0
	v_mfma_f32_16x16x4f32 a[0:3], v18, v20, a[0:3]
	s_movk_i32 s4, 0x7f
	v_cmp_gt_i16_sdwa s[6:7], v12, s4 src0_sel:BYTE_3 src1_sel:DWORD
	s_mov_b64 s[4:5], 0
                                        ; implicit-def: $sgpr10
	s_and_saveexec_b64 s[8:9], s[6:7]
	s_xor_b64 s[6:7], exec, s[8:9]
	s_cbranch_execnz .LBB8_3865
; %bb.1817:
	s_or_saveexec_b64 s[6:7], s[6:7]
	v_mov_b32_e32 v18, s10
	s_xor_b64 exec, exec, s[6:7]
	s_cbranch_execnz .LBB8_3868
.LBB8_1818:
	s_or_b64 exec, exec, s[6:7]
	s_and_saveexec_b64 s[6:7], s[4:5]
	s_cbranch_execz .LBB8_1820
.LBB8_1819:
	v_bfe_u32 v18, v12, 24, 3
	v_ffbh_u32_e32 v22, v18
	v_min_u32_e32 v22, 32, v22
	v_lshrrev_b32_e32 v20, 27, v12
	v_subrev_u32_e32 v23, 28, v22
	v_and_b32_e32 v19, 0x80000000, v12
	v_and_b32_e32 v20, 15, v20
	v_bfe_u32 v21, v12, 27, 4
	v_lshlrev_b32_sdwa v12, v23, v12 dst_sel:DWORD dst_unused:UNUSED_PAD src0_sel:DWORD src1_sel:BYTE_3
	v_sub_u32_e32 v22, 29, v22
	v_and_b32_e32 v12, 7, v12
	v_cmp_eq_u16_e32 vcc, 0, v20
	v_cndmask_b32_e32 v12, v18, v12, vcc
	v_cndmask_b32_e32 v18, v21, v22, vcc
	v_mov_b32_e32 v20, 0x3b800000
	v_lshlrev_b32_e32 v12, 20, v12
	v_lshl_add_u32 v18, v18, 23, v20
	v_or3_b32 v18, v19, v18, v12
.LBB8_1820:
	s_or_b64 exec, exec, s[6:7]
	s_movk_i32 s4, 0x7f
	v_cmp_gt_i16_sdwa s[6:7], v8, s4 src0_sel:BYTE_3 src1_sel:DWORD
	s_mov_b64 s[4:5], 0
                                        ; implicit-def: $sgpr10
	s_and_saveexec_b64 s[8:9], s[6:7]
	s_xor_b64 s[6:7], exec, s[8:9]
	s_cbranch_execnz .LBB8_3869
; %bb.1821:
	s_or_saveexec_b64 s[6:7], s[6:7]
	v_mov_b32_e32 v12, s10
	s_xor_b64 exec, exec, s[6:7]
	s_cbranch_execnz .LBB8_3872
.LBB8_1822:
	s_or_b64 exec, exec, s[6:7]
	s_and_saveexec_b64 s[6:7], s[4:5]
	s_cbranch_execz .LBB8_1824
.LBB8_1823:
	v_bfe_u32 v12, v8, 24, 3
	v_ffbh_u32_e32 v22, v12
	v_min_u32_e32 v22, 32, v22
	v_lshrrev_b32_e32 v20, 27, v8
	v_subrev_u32_e32 v23, 28, v22
	v_and_b32_e32 v19, 0x80000000, v8
	v_and_b32_e32 v20, 15, v20
	v_bfe_u32 v21, v8, 27, 4
	v_lshlrev_b32_sdwa v8, v23, v8 dst_sel:DWORD dst_unused:UNUSED_PAD src0_sel:DWORD src1_sel:BYTE_3
	v_sub_u32_e32 v22, 29, v22
	v_and_b32_e32 v8, 7, v8
	v_cmp_eq_u16_e32 vcc, 0, v20
	v_cndmask_b32_e32 v8, v12, v8, vcc
	v_cndmask_b32_e32 v12, v21, v22, vcc
	v_mov_b32_e32 v20, 0x3b800000
	v_lshlrev_b32_e32 v8, 20, v8
	v_lshl_add_u32 v12, v12, 23, v20
	v_or3_b32 v12, v19, v12, v8
.LBB8_1824:
	s_or_b64 exec, exec, s[6:7]
	s_nop 0
	v_mfma_f32_16x16x4f32 a[0:3], v18, v12, a[0:3]
	s_movk_i32 s4, 0x7f
	v_cmp_gt_i16_sdwa s[6:7], v13, s4 src0_sel:BYTE_0 src1_sel:DWORD
	s_mov_b64 s[4:5], 0
                                        ; implicit-def: $sgpr10
	s_and_saveexec_b64 s[8:9], s[6:7]
	s_xor_b64 s[6:7], exec, s[8:9]
	s_cbranch_execnz .LBB8_3873
; %bb.1825:
	s_or_saveexec_b64 s[6:7], s[6:7]
	v_mov_b32_e32 v8, s10
	s_xor_b64 exec, exec, s[6:7]
	s_cbranch_execnz .LBB8_3876
.LBB8_1826:
	s_or_b64 exec, exec, s[6:7]
	s_and_saveexec_b64 s[6:7], s[4:5]
	s_cbranch_execz .LBB8_1828
.LBB8_1827:
	v_and_b32_e32 v8, 7, v13
	v_ffbh_u32_e32 v18, v8
	v_min_u32_e32 v18, 32, v18
	v_lshrrev_b16_e32 v12, 3, v13
	v_subrev_u32_e32 v19, 28, v18
	v_and_b32_e32 v12, 15, v12
	v_lshlrev_b32_e32 v19, v19, v13
	v_sub_u32_e32 v18, 29, v18
	v_and_b32_e32 v19, 7, v19
	v_cmp_eq_u16_e32 vcc, 0, v12
	v_cndmask_b32_e32 v8, v8, v19, vcc
	v_cndmask_b32_e32 v12, v12, v18, vcc
	v_lshlrev_b32_e32 v18, 24, v13
	v_mov_b32_e32 v19, 0x3b800000
	v_lshlrev_b32_e32 v8, 20, v8
	v_and_b32_e32 v18, 0x80000000, v18
	v_lshl_add_u32 v12, v12, 23, v19
	v_or3_b32 v8, v18, v12, v8
.LBB8_1828:
	s_or_b64 exec, exec, s[6:7]
	s_movk_i32 s4, 0x7f
	v_cmp_gt_i16_sdwa s[6:7], v9, s4 src0_sel:BYTE_0 src1_sel:DWORD
	s_mov_b64 s[4:5], 0
                                        ; implicit-def: $sgpr10
	s_and_saveexec_b64 s[8:9], s[6:7]
	s_xor_b64 s[6:7], exec, s[8:9]
	s_cbranch_execnz .LBB8_3877
; %bb.1829:
	s_or_saveexec_b64 s[6:7], s[6:7]
	v_mov_b32_e32 v12, s10
	s_xor_b64 exec, exec, s[6:7]
	s_cbranch_execnz .LBB8_3880
.LBB8_1830:
	s_or_b64 exec, exec, s[6:7]
	s_and_saveexec_b64 s[6:7], s[4:5]
	s_cbranch_execz .LBB8_1832
.LBB8_1831:
	v_and_b32_e32 v12, 7, v9
	v_ffbh_u32_e32 v19, v12
	v_min_u32_e32 v19, 32, v19
	v_lshrrev_b16_e32 v18, 3, v9
	v_subrev_u32_e32 v20, 28, v19
	v_and_b32_e32 v18, 15, v18
	v_lshlrev_b32_e32 v20, v20, v9
	v_sub_u32_e32 v19, 29, v19
	v_and_b32_e32 v20, 7, v20
	v_cmp_eq_u16_e32 vcc, 0, v18
	v_cndmask_b32_e32 v12, v12, v20, vcc
	v_cndmask_b32_e32 v18, v18, v19, vcc
	v_lshlrev_b32_e32 v19, 24, v9
	v_mov_b32_e32 v20, 0x3b800000
	v_lshlrev_b32_e32 v12, 20, v12
	v_and_b32_e32 v19, 0x80000000, v19
	v_lshl_add_u32 v18, v18, 23, v20
	v_or3_b32 v12, v19, v18, v12
.LBB8_1832:
	s_or_b64 exec, exec, s[6:7]
	s_nop 0
	v_mfma_f32_16x16x4f32 a[0:3], v8, v12, a[0:3]
	v_lshrrev_b32_e32 v12, 8, v13
	s_movk_i32 s4, 0x7f
	v_cmp_gt_i16_sdwa s[6:7], v12, s4 src0_sel:BYTE_0 src1_sel:DWORD
	s_mov_b64 s[4:5], 0
                                        ; implicit-def: $sgpr10
	s_and_saveexec_b64 s[8:9], s[6:7]
	s_xor_b64 s[6:7], exec, s[8:9]
	s_cbranch_execnz .LBB8_3881
; %bb.1833:
	s_or_saveexec_b64 s[6:7], s[6:7]
	v_mov_b32_e32 v8, s10
	s_xor_b64 exec, exec, s[6:7]
	s_cbranch_execnz .LBB8_3884
.LBB8_1834:
	s_or_b64 exec, exec, s[6:7]
	s_and_saveexec_b64 s[6:7], s[4:5]
	s_cbranch_execz .LBB8_1836
.LBB8_1835:
	v_bfe_u32 v8, v13, 8, 3
	v_ffbh_u32_e32 v19, v8
	v_min_u32_e32 v19, 32, v19
	v_lshrrev_b16_e32 v18, 3, v12
	v_subrev_u32_e32 v20, 28, v19
	v_and_b32_e32 v18, 15, v18
	v_lshlrev_b32_e32 v12, v20, v12
	v_sub_u32_e32 v19, 29, v19
	v_and_b32_e32 v12, 7, v12
	v_cmp_eq_u16_e32 vcc, 0, v18
	v_cndmask_b32_e32 v8, v8, v12, vcc
	v_cndmask_b32_e32 v12, v18, v19, vcc
	v_lshlrev_b32_e32 v18, 16, v13
	v_mov_b32_e32 v19, 0x3b800000
	v_lshlrev_b32_e32 v8, 20, v8
	v_and_b32_e32 v18, 0x80000000, v18
	v_lshl_add_u32 v12, v12, 23, v19
	v_or3_b32 v8, v18, v12, v8
.LBB8_1836:
	s_or_b64 exec, exec, s[6:7]
	v_lshrrev_b32_e32 v12, 8, v9
	s_movk_i32 s4, 0x7f
	v_cmp_gt_i16_sdwa s[6:7], v12, s4 src0_sel:BYTE_0 src1_sel:DWORD
	s_mov_b64 s[4:5], 0
                                        ; implicit-def: $sgpr10
	s_and_saveexec_b64 s[8:9], s[6:7]
	s_xor_b64 s[6:7], exec, s[8:9]
	s_cbranch_execnz .LBB8_3885
; %bb.1837:
	s_or_saveexec_b64 s[6:7], s[6:7]
	v_mov_b32_e32 v18, s10
	s_xor_b64 exec, exec, s[6:7]
	s_cbranch_execnz .LBB8_3888
.LBB8_1838:
	s_or_b64 exec, exec, s[6:7]
	s_and_saveexec_b64 s[6:7], s[4:5]
	s_cbranch_execz .LBB8_1840
.LBB8_1839:
	v_bfe_u32 v18, v9, 8, 3
	v_ffbh_u32_e32 v20, v18
	v_min_u32_e32 v20, 32, v20
	v_lshrrev_b16_e32 v19, 3, v12
	v_subrev_u32_e32 v21, 28, v20
	v_and_b32_e32 v19, 15, v19
	v_lshlrev_b32_e32 v12, v21, v12
	v_sub_u32_e32 v20, 29, v20
	v_and_b32_e32 v12, 7, v12
	v_cmp_eq_u16_e32 vcc, 0, v19
	v_cndmask_b32_e32 v12, v18, v12, vcc
	v_cndmask_b32_e32 v18, v19, v20, vcc
	v_lshlrev_b32_e32 v19, 16, v9
	v_mov_b32_e32 v20, 0x3b800000
	v_lshlrev_b32_e32 v12, 20, v12
	v_and_b32_e32 v19, 0x80000000, v19
	v_lshl_add_u32 v18, v18, 23, v20
	v_or3_b32 v18, v19, v18, v12
.LBB8_1840:
	s_or_b64 exec, exec, s[6:7]
	s_nop 0
	v_mfma_f32_16x16x4f32 a[0:3], v8, v18, a[0:3]
	s_movk_i32 s4, 0xff
	v_and_b32_sdwa v12, v13, s4 dst_sel:DWORD dst_unused:UNUSED_PAD src0_sel:WORD_1 src1_sel:DWORD
	s_movk_i32 s4, 0x7f
	v_cmp_lt_i16_e32 vcc, s4, v12
	s_mov_b64 s[4:5], 0
                                        ; implicit-def: $sgpr10
	s_and_saveexec_b64 s[6:7], vcc
	s_xor_b64 s[6:7], exec, s[6:7]
	s_cbranch_execnz .LBB8_3889
; %bb.1841:
	s_or_saveexec_b64 s[6:7], s[6:7]
	v_mov_b32_e32 v8, s10
	s_xor_b64 exec, exec, s[6:7]
	s_cbranch_execnz .LBB8_3892
.LBB8_1842:
	s_or_b64 exec, exec, s[6:7]
	s_and_saveexec_b64 s[6:7], s[4:5]
	s_cbranch_execz .LBB8_1844
.LBB8_1843:
	v_bfe_u32 v8, v13, 16, 3
	v_ffbh_u32_e32 v19, v8
	v_min_u32_e32 v19, 32, v19
	v_lshrrev_b32_e32 v12, 19, v13
	v_subrev_u32_e32 v20, 28, v19
	v_and_b32_e32 v12, 15, v12
	v_lshlrev_b32_sdwa v20, v20, v13 dst_sel:DWORD dst_unused:UNUSED_PAD src0_sel:DWORD src1_sel:WORD_1
	v_bfe_u32 v18, v13, 19, 4
	v_sub_u32_e32 v19, 29, v19
	v_and_b32_e32 v20, 7, v20
	v_cmp_eq_u16_e32 vcc, 0, v12
	v_cndmask_b32_e32 v8, v8, v20, vcc
	v_cndmask_b32_e32 v12, v18, v19, vcc
	v_lshlrev_b32_e32 v18, 8, v13
	v_mov_b32_e32 v19, 0x3b800000
	v_lshlrev_b32_e32 v8, 20, v8
	v_and_b32_e32 v18, 0x80000000, v18
	v_lshl_add_u32 v12, v12, 23, v19
	v_or3_b32 v8, v18, v12, v8
.LBB8_1844:
	s_or_b64 exec, exec, s[6:7]
	s_movk_i32 s4, 0xff
	v_and_b32_sdwa v12, v9, s4 dst_sel:DWORD dst_unused:UNUSED_PAD src0_sel:WORD_1 src1_sel:DWORD
	s_movk_i32 s4, 0x7f
	v_cmp_lt_i16_e32 vcc, s4, v12
	s_mov_b64 s[4:5], 0
                                        ; implicit-def: $sgpr10
	s_and_saveexec_b64 s[6:7], vcc
	s_xor_b64 s[6:7], exec, s[6:7]
	s_cbranch_execnz .LBB8_3893
; %bb.1845:
	s_or_saveexec_b64 s[6:7], s[6:7]
	v_mov_b32_e32 v18, s10
	s_xor_b64 exec, exec, s[6:7]
	s_cbranch_execnz .LBB8_3896
.LBB8_1846:
	s_or_b64 exec, exec, s[6:7]
	s_and_saveexec_b64 s[6:7], s[4:5]
	s_cbranch_execz .LBB8_1848
.LBB8_1847:
	v_bfe_u32 v12, v9, 16, 3
	v_ffbh_u32_e32 v20, v12
	v_min_u32_e32 v20, 32, v20
	v_lshrrev_b32_e32 v18, 19, v9
	v_subrev_u32_e32 v21, 28, v20
	v_and_b32_e32 v18, 15, v18
	v_lshlrev_b32_sdwa v21, v21, v9 dst_sel:DWORD dst_unused:UNUSED_PAD src0_sel:DWORD src1_sel:WORD_1
	v_bfe_u32 v19, v9, 19, 4
	v_sub_u32_e32 v20, 29, v20
	v_and_b32_e32 v21, 7, v21
	v_cmp_eq_u16_e32 vcc, 0, v18
	v_cndmask_b32_e32 v12, v12, v21, vcc
	v_cndmask_b32_e32 v18, v19, v20, vcc
	v_lshlrev_b32_e32 v19, 8, v9
	v_mov_b32_e32 v20, 0x3b800000
	v_lshlrev_b32_e32 v12, 20, v12
	v_and_b32_e32 v19, 0x80000000, v19
	v_lshl_add_u32 v18, v18, 23, v20
	v_or3_b32 v18, v19, v18, v12
.LBB8_1848:
	s_or_b64 exec, exec, s[6:7]
	s_nop 0
	v_mfma_f32_16x16x4f32 a[0:3], v8, v18, a[0:3]
	s_movk_i32 s4, 0x7f
	v_cmp_gt_i16_sdwa s[6:7], v13, s4 src0_sel:BYTE_3 src1_sel:DWORD
	s_mov_b64 s[4:5], 0
                                        ; implicit-def: $sgpr10
	s_and_saveexec_b64 s[8:9], s[6:7]
	s_xor_b64 s[6:7], exec, s[8:9]
	s_cbranch_execnz .LBB8_3897
; %bb.1849:
	s_or_saveexec_b64 s[6:7], s[6:7]
	v_mov_b32_e32 v8, s10
	s_xor_b64 exec, exec, s[6:7]
	s_cbranch_execnz .LBB8_3900
.LBB8_1850:
	s_or_b64 exec, exec, s[6:7]
	s_and_saveexec_b64 s[6:7], s[4:5]
	s_cbranch_execz .LBB8_1852
.LBB8_1851:
	v_bfe_u32 v8, v13, 24, 3
	v_ffbh_u32_e32 v20, v8
	v_min_u32_e32 v20, 32, v20
	v_lshrrev_b32_e32 v18, 27, v13
	v_subrev_u32_e32 v21, 28, v20
	v_and_b32_e32 v12, 0x80000000, v13
	v_and_b32_e32 v18, 15, v18
	v_bfe_u32 v19, v13, 27, 4
	v_lshlrev_b32_sdwa v13, v21, v13 dst_sel:DWORD dst_unused:UNUSED_PAD src0_sel:DWORD src1_sel:BYTE_3
	v_sub_u32_e32 v20, 29, v20
	v_and_b32_e32 v13, 7, v13
	v_cmp_eq_u16_e32 vcc, 0, v18
	v_cndmask_b32_e32 v8, v8, v13, vcc
	v_cndmask_b32_e32 v13, v19, v20, vcc
	v_mov_b32_e32 v18, 0x3b800000
	v_lshlrev_b32_e32 v8, 20, v8
	v_lshl_add_u32 v13, v13, 23, v18
	v_or3_b32 v8, v12, v13, v8
.LBB8_1852:
	s_or_b64 exec, exec, s[6:7]
	s_movk_i32 s4, 0x7f
	v_cmp_gt_i16_sdwa s[6:7], v9, s4 src0_sel:BYTE_3 src1_sel:DWORD
	s_mov_b64 s[4:5], 0
                                        ; implicit-def: $sgpr10
	s_and_saveexec_b64 s[8:9], s[6:7]
	s_xor_b64 s[6:7], exec, s[8:9]
	s_cbranch_execnz .LBB8_3901
; %bb.1853:
	s_or_saveexec_b64 s[6:7], s[6:7]
	v_mov_b32_e32 v12, s10
	s_xor_b64 exec, exec, s[6:7]
	s_cbranch_execnz .LBB8_3904
.LBB8_1854:
	s_or_b64 exec, exec, s[6:7]
	s_and_saveexec_b64 s[6:7], s[4:5]
	s_cbranch_execz .LBB8_1856
.LBB8_1855:
	v_bfe_u32 v12, v9, 24, 3
	v_ffbh_u32_e32 v20, v12
	v_min_u32_e32 v20, 32, v20
	v_lshrrev_b32_e32 v18, 27, v9
	v_subrev_u32_e32 v21, 28, v20
	v_and_b32_e32 v13, 0x80000000, v9
	v_and_b32_e32 v18, 15, v18
	v_bfe_u32 v19, v9, 27, 4
	v_lshlrev_b32_sdwa v9, v21, v9 dst_sel:DWORD dst_unused:UNUSED_PAD src0_sel:DWORD src1_sel:BYTE_3
	v_sub_u32_e32 v20, 29, v20
	v_and_b32_e32 v9, 7, v9
	v_cmp_eq_u16_e32 vcc, 0, v18
	v_cndmask_b32_e32 v9, v12, v9, vcc
	v_cndmask_b32_e32 v12, v19, v20, vcc
	v_mov_b32_e32 v18, 0x3b800000
	v_lshlrev_b32_e32 v9, 20, v9
	v_lshl_add_u32 v12, v12, 23, v18
	v_or3_b32 v12, v13, v12, v9
.LBB8_1856:
	s_or_b64 exec, exec, s[6:7]
	s_nop 0
	v_mfma_f32_16x16x4f32 a[0:3], v8, v12, a[0:3]
	s_movk_i32 s4, 0x7f
	v_cmp_gt_i16_sdwa s[6:7], v14, s4 src0_sel:BYTE_0 src1_sel:DWORD
	s_mov_b64 s[4:5], 0
                                        ; implicit-def: $sgpr10
	s_and_saveexec_b64 s[8:9], s[6:7]
	s_xor_b64 s[6:7], exec, s[8:9]
	s_cbranch_execnz .LBB8_3905
; %bb.1857:
	s_or_saveexec_b64 s[6:7], s[6:7]
	v_mov_b32_e32 v8, s10
	s_xor_b64 exec, exec, s[6:7]
	s_cbranch_execnz .LBB8_3908
.LBB8_1858:
	s_or_b64 exec, exec, s[6:7]
	s_and_saveexec_b64 s[6:7], s[4:5]
	s_cbranch_execz .LBB8_1860
.LBB8_1859:
	v_and_b32_e32 v8, 7, v14
	v_ffbh_u32_e32 v12, v8
	v_min_u32_e32 v12, 32, v12
	v_lshrrev_b16_e32 v9, 3, v14
	v_subrev_u32_e32 v13, 28, v12
	v_and_b32_e32 v9, 15, v9
	v_lshlrev_b32_e32 v13, v13, v14
	v_sub_u32_e32 v12, 29, v12
	v_and_b32_e32 v13, 7, v13
	v_cmp_eq_u16_e32 vcc, 0, v9
	v_cndmask_b32_e32 v8, v8, v13, vcc
	v_cndmask_b32_e32 v9, v9, v12, vcc
	v_lshlrev_b32_e32 v12, 24, v14
	v_mov_b32_e32 v13, 0x3b800000
	v_lshlrev_b32_e32 v8, 20, v8
	v_and_b32_e32 v12, 0x80000000, v12
	v_lshl_add_u32 v9, v9, 23, v13
	v_or3_b32 v8, v12, v9, v8
.LBB8_1860:
	s_or_b64 exec, exec, s[6:7]
	s_movk_i32 s4, 0x7f
	v_cmp_gt_i16_sdwa s[6:7], v10, s4 src0_sel:BYTE_0 src1_sel:DWORD
	s_mov_b64 s[4:5], 0
                                        ; implicit-def: $sgpr10
	s_and_saveexec_b64 s[8:9], s[6:7]
	s_xor_b64 s[6:7], exec, s[8:9]
	s_cbranch_execnz .LBB8_3909
; %bb.1861:
	s_or_saveexec_b64 s[6:7], s[6:7]
	v_mov_b32_e32 v9, s10
	s_xor_b64 exec, exec, s[6:7]
	s_cbranch_execnz .LBB8_3912
.LBB8_1862:
	s_or_b64 exec, exec, s[6:7]
	s_and_saveexec_b64 s[6:7], s[4:5]
	s_cbranch_execz .LBB8_1864
.LBB8_1863:
	v_and_b32_e32 v9, 7, v10
	v_ffbh_u32_e32 v13, v9
	v_min_u32_e32 v13, 32, v13
	v_lshrrev_b16_e32 v12, 3, v10
	v_subrev_u32_e32 v18, 28, v13
	v_and_b32_e32 v12, 15, v12
	v_lshlrev_b32_e32 v18, v18, v10
	v_sub_u32_e32 v13, 29, v13
	v_and_b32_e32 v18, 7, v18
	v_cmp_eq_u16_e32 vcc, 0, v12
	v_cndmask_b32_e32 v9, v9, v18, vcc
	v_cndmask_b32_e32 v12, v12, v13, vcc
	v_lshlrev_b32_e32 v13, 24, v10
	v_mov_b32_e32 v18, 0x3b800000
	v_lshlrev_b32_e32 v9, 20, v9
	v_and_b32_e32 v13, 0x80000000, v13
	v_lshl_add_u32 v12, v12, 23, v18
	v_or3_b32 v9, v13, v12, v9
.LBB8_1864:
	s_or_b64 exec, exec, s[6:7]
	s_nop 0
	v_mfma_f32_16x16x4f32 a[0:3], v8, v9, a[0:3]
	v_lshrrev_b32_e32 v9, 8, v14
	s_movk_i32 s4, 0x7f
	v_cmp_gt_i16_sdwa s[6:7], v9, s4 src0_sel:BYTE_0 src1_sel:DWORD
	s_mov_b64 s[4:5], 0
                                        ; implicit-def: $sgpr10
	s_and_saveexec_b64 s[8:9], s[6:7]
	s_xor_b64 s[6:7], exec, s[8:9]
	s_cbranch_execnz .LBB8_3913
; %bb.1865:
	s_or_saveexec_b64 s[6:7], s[6:7]
	v_mov_b32_e32 v8, s10
	s_xor_b64 exec, exec, s[6:7]
	s_cbranch_execnz .LBB8_3916
.LBB8_1866:
	s_or_b64 exec, exec, s[6:7]
	s_and_saveexec_b64 s[6:7], s[4:5]
	s_cbranch_execz .LBB8_1868
.LBB8_1867:
	v_bfe_u32 v8, v14, 8, 3
	v_ffbh_u32_e32 v13, v8
	v_min_u32_e32 v13, 32, v13
	v_lshrrev_b16_e32 v12, 3, v9
	v_subrev_u32_e32 v18, 28, v13
	v_and_b32_e32 v12, 15, v12
	v_lshlrev_b32_e32 v9, v18, v9
	v_sub_u32_e32 v13, 29, v13
	v_and_b32_e32 v9, 7, v9
	v_cmp_eq_u16_e32 vcc, 0, v12
	v_cndmask_b32_e32 v8, v8, v9, vcc
	v_cndmask_b32_e32 v9, v12, v13, vcc
	v_lshlrev_b32_e32 v12, 16, v14
	v_mov_b32_e32 v13, 0x3b800000
	v_lshlrev_b32_e32 v8, 20, v8
	v_and_b32_e32 v12, 0x80000000, v12
	v_lshl_add_u32 v9, v9, 23, v13
	v_or3_b32 v8, v12, v9, v8
.LBB8_1868:
	s_or_b64 exec, exec, s[6:7]
	v_lshrrev_b32_e32 v9, 8, v10
	s_movk_i32 s4, 0x7f
	v_cmp_gt_i16_sdwa s[6:7], v9, s4 src0_sel:BYTE_0 src1_sel:DWORD
	s_mov_b64 s[4:5], 0
                                        ; implicit-def: $sgpr10
	s_and_saveexec_b64 s[8:9], s[6:7]
	s_xor_b64 s[6:7], exec, s[8:9]
	s_cbranch_execnz .LBB8_3917
; %bb.1869:
	s_or_saveexec_b64 s[6:7], s[6:7]
	v_mov_b32_e32 v12, s10
	s_xor_b64 exec, exec, s[6:7]
	s_cbranch_execnz .LBB8_3920
.LBB8_1870:
	s_or_b64 exec, exec, s[6:7]
	s_and_saveexec_b64 s[6:7], s[4:5]
	s_cbranch_execz .LBB8_1872
.LBB8_1871:
	v_bfe_u32 v12, v10, 8, 3
	v_ffbh_u32_e32 v18, v12
	v_min_u32_e32 v18, 32, v18
	v_lshrrev_b16_e32 v13, 3, v9
	v_subrev_u32_e32 v19, 28, v18
	v_and_b32_e32 v13, 15, v13
	v_lshlrev_b32_e32 v9, v19, v9
	v_sub_u32_e32 v18, 29, v18
	v_and_b32_e32 v9, 7, v9
	v_cmp_eq_u16_e32 vcc, 0, v13
	v_cndmask_b32_e32 v9, v12, v9, vcc
	v_cndmask_b32_e32 v12, v13, v18, vcc
	v_lshlrev_b32_e32 v13, 16, v10
	v_mov_b32_e32 v18, 0x3b800000
	v_lshlrev_b32_e32 v9, 20, v9
	v_and_b32_e32 v13, 0x80000000, v13
	v_lshl_add_u32 v12, v12, 23, v18
	v_or3_b32 v12, v13, v12, v9
.LBB8_1872:
	s_or_b64 exec, exec, s[6:7]
	s_nop 0
	v_mfma_f32_16x16x4f32 a[0:3], v8, v12, a[0:3]
	s_movk_i32 s4, 0xff
	v_and_b32_sdwa v9, v14, s4 dst_sel:DWORD dst_unused:UNUSED_PAD src0_sel:WORD_1 src1_sel:DWORD
	s_movk_i32 s4, 0x7f
	v_cmp_lt_i16_e32 vcc, s4, v9
	s_mov_b64 s[4:5], 0
                                        ; implicit-def: $sgpr10
	s_and_saveexec_b64 s[6:7], vcc
	s_xor_b64 s[6:7], exec, s[6:7]
	s_cbranch_execnz .LBB8_3921
; %bb.1873:
	s_or_saveexec_b64 s[6:7], s[6:7]
	v_mov_b32_e32 v8, s10
	s_xor_b64 exec, exec, s[6:7]
	s_cbranch_execnz .LBB8_3924
.LBB8_1874:
	s_or_b64 exec, exec, s[6:7]
	s_and_saveexec_b64 s[6:7], s[4:5]
	s_cbranch_execz .LBB8_1876
.LBB8_1875:
	v_bfe_u32 v8, v14, 16, 3
	v_ffbh_u32_e32 v13, v8
	v_min_u32_e32 v13, 32, v13
	v_lshrrev_b32_e32 v9, 19, v14
	v_subrev_u32_e32 v18, 28, v13
	v_and_b32_e32 v9, 15, v9
	v_lshlrev_b32_sdwa v18, v18, v14 dst_sel:DWORD dst_unused:UNUSED_PAD src0_sel:DWORD src1_sel:WORD_1
	v_bfe_u32 v12, v14, 19, 4
	v_sub_u32_e32 v13, 29, v13
	v_and_b32_e32 v18, 7, v18
	v_cmp_eq_u16_e32 vcc, 0, v9
	v_cndmask_b32_e32 v8, v8, v18, vcc
	v_cndmask_b32_e32 v9, v12, v13, vcc
	v_lshlrev_b32_e32 v12, 8, v14
	v_mov_b32_e32 v13, 0x3b800000
	v_lshlrev_b32_e32 v8, 20, v8
	v_and_b32_e32 v12, 0x80000000, v12
	v_lshl_add_u32 v9, v9, 23, v13
	v_or3_b32 v8, v12, v9, v8
.LBB8_1876:
	s_or_b64 exec, exec, s[6:7]
	s_movk_i32 s4, 0xff
	v_and_b32_sdwa v9, v10, s4 dst_sel:DWORD dst_unused:UNUSED_PAD src0_sel:WORD_1 src1_sel:DWORD
	s_movk_i32 s4, 0x7f
	v_cmp_lt_i16_e32 vcc, s4, v9
	s_mov_b64 s[4:5], 0
                                        ; implicit-def: $sgpr10
	s_and_saveexec_b64 s[6:7], vcc
	s_xor_b64 s[6:7], exec, s[6:7]
	s_cbranch_execnz .LBB8_3925
; %bb.1877:
	s_or_saveexec_b64 s[6:7], s[6:7]
	v_mov_b32_e32 v12, s10
	s_xor_b64 exec, exec, s[6:7]
	s_cbranch_execnz .LBB8_3928
.LBB8_1878:
	s_or_b64 exec, exec, s[6:7]
	s_and_saveexec_b64 s[6:7], s[4:5]
	s_cbranch_execz .LBB8_1880
.LBB8_1879:
	v_bfe_u32 v9, v10, 16, 3
	v_ffbh_u32_e32 v18, v9
	v_min_u32_e32 v18, 32, v18
	v_lshrrev_b32_e32 v12, 19, v10
	v_subrev_u32_e32 v19, 28, v18
	v_and_b32_e32 v12, 15, v12
	v_lshlrev_b32_sdwa v19, v19, v10 dst_sel:DWORD dst_unused:UNUSED_PAD src0_sel:DWORD src1_sel:WORD_1
	v_bfe_u32 v13, v10, 19, 4
	v_sub_u32_e32 v18, 29, v18
	v_and_b32_e32 v19, 7, v19
	v_cmp_eq_u16_e32 vcc, 0, v12
	v_cndmask_b32_e32 v9, v9, v19, vcc
	v_cndmask_b32_e32 v12, v13, v18, vcc
	v_lshlrev_b32_e32 v13, 8, v10
	v_mov_b32_e32 v18, 0x3b800000
	v_lshlrev_b32_e32 v9, 20, v9
	v_and_b32_e32 v13, 0x80000000, v13
	v_lshl_add_u32 v12, v12, 23, v18
	v_or3_b32 v12, v13, v12, v9
.LBB8_1880:
	s_or_b64 exec, exec, s[6:7]
	s_nop 0
	v_mfma_f32_16x16x4f32 a[0:3], v8, v12, a[0:3]
	s_movk_i32 s4, 0x7f
	v_cmp_gt_i16_sdwa s[6:7], v14, s4 src0_sel:BYTE_3 src1_sel:DWORD
	s_mov_b64 s[4:5], 0
                                        ; implicit-def: $sgpr10
	s_and_saveexec_b64 s[8:9], s[6:7]
	s_xor_b64 s[6:7], exec, s[8:9]
	s_cbranch_execnz .LBB8_3929
; %bb.1881:
	s_or_saveexec_b64 s[6:7], s[6:7]
	v_mov_b32_e32 v8, s10
	s_xor_b64 exec, exec, s[6:7]
	s_cbranch_execnz .LBB8_3932
.LBB8_1882:
	s_or_b64 exec, exec, s[6:7]
	s_and_saveexec_b64 s[6:7], s[4:5]
	s_cbranch_execz .LBB8_1884
.LBB8_1883:
	v_bfe_u32 v8, v14, 24, 3
	v_ffbh_u32_e32 v18, v8
	v_min_u32_e32 v18, 32, v18
	v_lshrrev_b32_e32 v12, 27, v14
	v_subrev_u32_e32 v19, 28, v18
	v_and_b32_e32 v9, 0x80000000, v14
	v_and_b32_e32 v12, 15, v12
	v_bfe_u32 v13, v14, 27, 4
	v_lshlrev_b32_sdwa v14, v19, v14 dst_sel:DWORD dst_unused:UNUSED_PAD src0_sel:DWORD src1_sel:BYTE_3
	v_sub_u32_e32 v18, 29, v18
	v_and_b32_e32 v14, 7, v14
	v_cmp_eq_u16_e32 vcc, 0, v12
	v_cndmask_b32_e32 v8, v8, v14, vcc
	v_cndmask_b32_e32 v12, v13, v18, vcc
	v_mov_b32_e32 v13, 0x3b800000
	v_lshlrev_b32_e32 v8, 20, v8
	v_lshl_add_u32 v12, v12, 23, v13
	v_or3_b32 v8, v9, v12, v8
.LBB8_1884:
	s_or_b64 exec, exec, s[6:7]
	s_movk_i32 s4, 0x7f
	v_cmp_gt_i16_sdwa s[6:7], v10, s4 src0_sel:BYTE_3 src1_sel:DWORD
	s_mov_b64 s[4:5], 0
                                        ; implicit-def: $sgpr10
	s_and_saveexec_b64 s[8:9], s[6:7]
	s_xor_b64 s[6:7], exec, s[8:9]
	s_cbranch_execnz .LBB8_3933
; %bb.1885:
	s_or_saveexec_b64 s[6:7], s[6:7]
	v_mov_b32_e32 v9, s10
	s_xor_b64 exec, exec, s[6:7]
	s_cbranch_execnz .LBB8_3936
.LBB8_1886:
	s_or_b64 exec, exec, s[6:7]
	s_and_saveexec_b64 s[6:7], s[4:5]
	s_cbranch_execz .LBB8_1888
.LBB8_1887:
	v_bfe_u32 v9, v10, 24, 3
	v_ffbh_u32_e32 v18, v9
	v_min_u32_e32 v18, 32, v18
	v_lshrrev_b32_e32 v13, 27, v10
	v_subrev_u32_e32 v19, 28, v18
	v_and_b32_e32 v12, 0x80000000, v10
	v_and_b32_e32 v13, 15, v13
	v_bfe_u32 v14, v10, 27, 4
	v_lshlrev_b32_sdwa v10, v19, v10 dst_sel:DWORD dst_unused:UNUSED_PAD src0_sel:DWORD src1_sel:BYTE_3
	v_sub_u32_e32 v18, 29, v18
	v_and_b32_e32 v10, 7, v10
	v_cmp_eq_u16_e32 vcc, 0, v13
	v_cndmask_b32_e32 v9, v9, v10, vcc
	v_cndmask_b32_e32 v10, v14, v18, vcc
	v_mov_b32_e32 v13, 0x3b800000
	v_lshlrev_b32_e32 v9, 20, v9
	v_lshl_add_u32 v10, v10, 23, v13
	v_or3_b32 v9, v12, v10, v9
.LBB8_1888:
	s_or_b64 exec, exec, s[6:7]
	s_nop 0
	v_mfma_f32_16x16x4f32 a[0:3], v8, v9, a[0:3]
	s_movk_i32 s4, 0x7f
	v_cmp_gt_i16_sdwa s[6:7], v15, s4 src0_sel:BYTE_0 src1_sel:DWORD
	s_mov_b64 s[4:5], 0
                                        ; implicit-def: $sgpr10
	s_and_saveexec_b64 s[8:9], s[6:7]
	s_xor_b64 s[6:7], exec, s[8:9]
	s_cbranch_execnz .LBB8_3937
; %bb.1889:
	s_or_saveexec_b64 s[6:7], s[6:7]
	v_mov_b32_e32 v8, s10
	s_xor_b64 exec, exec, s[6:7]
	s_cbranch_execnz .LBB8_3940
.LBB8_1890:
	s_or_b64 exec, exec, s[6:7]
	s_and_saveexec_b64 s[6:7], s[4:5]
	s_cbranch_execz .LBB8_1892
.LBB8_1891:
	v_and_b32_e32 v8, 7, v15
	v_ffbh_u32_e32 v10, v8
	v_min_u32_e32 v10, 32, v10
	v_lshrrev_b16_e32 v9, 3, v15
	v_subrev_u32_e32 v12, 28, v10
	v_and_b32_e32 v9, 15, v9
	v_lshlrev_b32_e32 v12, v12, v15
	v_sub_u32_e32 v10, 29, v10
	v_and_b32_e32 v12, 7, v12
	v_cmp_eq_u16_e32 vcc, 0, v9
	v_cndmask_b32_e32 v8, v8, v12, vcc
	v_cndmask_b32_e32 v9, v9, v10, vcc
	v_lshlrev_b32_e32 v10, 24, v15
	v_mov_b32_e32 v12, 0x3b800000
	v_lshlrev_b32_e32 v8, 20, v8
	v_and_b32_e32 v10, 0x80000000, v10
	v_lshl_add_u32 v9, v9, 23, v12
	v_or3_b32 v8, v10, v9, v8
.LBB8_1892:
	s_or_b64 exec, exec, s[6:7]
	s_movk_i32 s4, 0x7f
	v_cmp_gt_i16_sdwa s[6:7], v11, s4 src0_sel:BYTE_0 src1_sel:DWORD
	s_mov_b64 s[4:5], 0
                                        ; implicit-def: $sgpr10
	s_and_saveexec_b64 s[8:9], s[6:7]
	s_xor_b64 s[6:7], exec, s[8:9]
	s_cbranch_execnz .LBB8_3941
; %bb.1893:
	s_or_saveexec_b64 s[6:7], s[6:7]
	v_mov_b32_e32 v9, s10
	s_xor_b64 exec, exec, s[6:7]
	s_cbranch_execnz .LBB8_3944
.LBB8_1894:
	s_or_b64 exec, exec, s[6:7]
	s_and_saveexec_b64 s[6:7], s[4:5]
	s_cbranch_execz .LBB8_1896
.LBB8_1895:
	v_and_b32_e32 v9, 7, v11
	v_ffbh_u32_e32 v12, v9
	v_min_u32_e32 v12, 32, v12
	v_lshrrev_b16_e32 v10, 3, v11
	v_subrev_u32_e32 v13, 28, v12
	v_and_b32_e32 v10, 15, v10
	v_lshlrev_b32_e32 v13, v13, v11
	v_sub_u32_e32 v12, 29, v12
	v_and_b32_e32 v13, 7, v13
	v_cmp_eq_u16_e32 vcc, 0, v10
	v_cndmask_b32_e32 v9, v9, v13, vcc
	v_cndmask_b32_e32 v10, v10, v12, vcc
	v_lshlrev_b32_e32 v12, 24, v11
	v_mov_b32_e32 v13, 0x3b800000
	v_lshlrev_b32_e32 v9, 20, v9
	v_and_b32_e32 v12, 0x80000000, v12
	v_lshl_add_u32 v10, v10, 23, v13
	v_or3_b32 v9, v12, v10, v9
.LBB8_1896:
	s_or_b64 exec, exec, s[6:7]
	s_nop 0
	v_mfma_f32_16x16x4f32 a[0:3], v8, v9, a[0:3]
	v_lshrrev_b32_e32 v9, 8, v15
	s_movk_i32 s4, 0x7f
	v_cmp_gt_i16_sdwa s[6:7], v9, s4 src0_sel:BYTE_0 src1_sel:DWORD
	s_mov_b64 s[4:5], 0
                                        ; implicit-def: $sgpr10
	s_and_saveexec_b64 s[8:9], s[6:7]
	s_xor_b64 s[6:7], exec, s[8:9]
	s_cbranch_execnz .LBB8_3945
; %bb.1897:
	s_or_saveexec_b64 s[6:7], s[6:7]
	v_mov_b32_e32 v8, s10
	s_xor_b64 exec, exec, s[6:7]
	s_cbranch_execnz .LBB8_3948
.LBB8_1898:
	s_or_b64 exec, exec, s[6:7]
	s_and_saveexec_b64 s[6:7], s[4:5]
	s_cbranch_execz .LBB8_1900
.LBB8_1899:
	v_bfe_u32 v8, v15, 8, 3
	v_ffbh_u32_e32 v12, v8
	v_min_u32_e32 v12, 32, v12
	v_lshrrev_b16_e32 v10, 3, v9
	v_subrev_u32_e32 v13, 28, v12
	v_and_b32_e32 v10, 15, v10
	v_lshlrev_b32_e32 v9, v13, v9
	v_sub_u32_e32 v12, 29, v12
	v_and_b32_e32 v9, 7, v9
	v_cmp_eq_u16_e32 vcc, 0, v10
	v_cndmask_b32_e32 v8, v8, v9, vcc
	v_cndmask_b32_e32 v9, v10, v12, vcc
	v_lshlrev_b32_e32 v10, 16, v15
	v_mov_b32_e32 v12, 0x3b800000
	v_lshlrev_b32_e32 v8, 20, v8
	v_and_b32_e32 v10, 0x80000000, v10
	v_lshl_add_u32 v9, v9, 23, v12
	v_or3_b32 v8, v10, v9, v8
.LBB8_1900:
	s_or_b64 exec, exec, s[6:7]
	v_lshrrev_b32_e32 v9, 8, v11
	s_movk_i32 s4, 0x7f
	v_cmp_gt_i16_sdwa s[6:7], v9, s4 src0_sel:BYTE_0 src1_sel:DWORD
	s_mov_b64 s[4:5], 0
                                        ; implicit-def: $sgpr10
	s_and_saveexec_b64 s[8:9], s[6:7]
	s_xor_b64 s[6:7], exec, s[8:9]
	s_cbranch_execnz .LBB8_3949
; %bb.1901:
	s_or_saveexec_b64 s[6:7], s[6:7]
	v_mov_b32_e32 v10, s10
	s_xor_b64 exec, exec, s[6:7]
	s_cbranch_execnz .LBB8_3952
.LBB8_1902:
	s_or_b64 exec, exec, s[6:7]
	s_and_saveexec_b64 s[6:7], s[4:5]
	s_cbranch_execz .LBB8_1904
.LBB8_1903:
	v_bfe_u32 v10, v11, 8, 3
	v_ffbh_u32_e32 v13, v10
	v_min_u32_e32 v13, 32, v13
	v_lshrrev_b16_e32 v12, 3, v9
	v_subrev_u32_e32 v14, 28, v13
	v_and_b32_e32 v12, 15, v12
	v_lshlrev_b32_e32 v9, v14, v9
	v_sub_u32_e32 v13, 29, v13
	v_and_b32_e32 v9, 7, v9
	v_cmp_eq_u16_e32 vcc, 0, v12
	v_cndmask_b32_e32 v9, v10, v9, vcc
	v_cndmask_b32_e32 v10, v12, v13, vcc
	v_lshlrev_b32_e32 v12, 16, v11
	v_mov_b32_e32 v13, 0x3b800000
	v_lshlrev_b32_e32 v9, 20, v9
	v_and_b32_e32 v12, 0x80000000, v12
	v_lshl_add_u32 v10, v10, 23, v13
	v_or3_b32 v10, v12, v10, v9
.LBB8_1904:
	s_or_b64 exec, exec, s[6:7]
	s_nop 0
	v_mfma_f32_16x16x4f32 a[0:3], v8, v10, a[0:3]
	s_movk_i32 s4, 0xff
	v_and_b32_sdwa v9, v15, s4 dst_sel:DWORD dst_unused:UNUSED_PAD src0_sel:WORD_1 src1_sel:DWORD
	s_movk_i32 s4, 0x7f
	v_cmp_lt_i16_e32 vcc, s4, v9
	s_mov_b64 s[4:5], 0
                                        ; implicit-def: $sgpr10
	s_and_saveexec_b64 s[6:7], vcc
	s_xor_b64 s[6:7], exec, s[6:7]
	s_cbranch_execnz .LBB8_3953
; %bb.1905:
	s_or_saveexec_b64 s[6:7], s[6:7]
	v_mov_b32_e32 v8, s10
	s_xor_b64 exec, exec, s[6:7]
	s_cbranch_execnz .LBB8_3956
.LBB8_1906:
	s_or_b64 exec, exec, s[6:7]
	s_and_saveexec_b64 s[6:7], s[4:5]
	s_cbranch_execz .LBB8_1908
.LBB8_1907:
	v_bfe_u32 v8, v15, 16, 3
	v_ffbh_u32_e32 v12, v8
	v_min_u32_e32 v12, 32, v12
	v_lshrrev_b32_e32 v9, 19, v15
	v_subrev_u32_e32 v13, 28, v12
	v_and_b32_e32 v9, 15, v9
	v_lshlrev_b32_sdwa v13, v13, v15 dst_sel:DWORD dst_unused:UNUSED_PAD src0_sel:DWORD src1_sel:WORD_1
	v_bfe_u32 v10, v15, 19, 4
	v_sub_u32_e32 v12, 29, v12
	v_and_b32_e32 v13, 7, v13
	v_cmp_eq_u16_e32 vcc, 0, v9
	v_cndmask_b32_e32 v8, v8, v13, vcc
	v_cndmask_b32_e32 v9, v10, v12, vcc
	v_lshlrev_b32_e32 v10, 8, v15
	v_mov_b32_e32 v12, 0x3b800000
	v_lshlrev_b32_e32 v8, 20, v8
	v_and_b32_e32 v10, 0x80000000, v10
	v_lshl_add_u32 v9, v9, 23, v12
	v_or3_b32 v8, v10, v9, v8
.LBB8_1908:
	s_or_b64 exec, exec, s[6:7]
	s_movk_i32 s4, 0xff
	v_and_b32_sdwa v9, v11, s4 dst_sel:DWORD dst_unused:UNUSED_PAD src0_sel:WORD_1 src1_sel:DWORD
	s_movk_i32 s4, 0x7f
	v_cmp_lt_i16_e32 vcc, s4, v9
	s_mov_b64 s[4:5], 0
                                        ; implicit-def: $sgpr10
	s_and_saveexec_b64 s[6:7], vcc
	s_xor_b64 s[6:7], exec, s[6:7]
	s_cbranch_execnz .LBB8_3957
; %bb.1909:
	s_or_saveexec_b64 s[6:7], s[6:7]
	v_mov_b32_e32 v10, s10
	s_xor_b64 exec, exec, s[6:7]
	s_cbranch_execnz .LBB8_3960
.LBB8_1910:
	s_or_b64 exec, exec, s[6:7]
	s_and_saveexec_b64 s[6:7], s[4:5]
	s_cbranch_execz .LBB8_1912
.LBB8_1911:
	v_bfe_u32 v9, v11, 16, 3
	v_ffbh_u32_e32 v13, v9
	v_min_u32_e32 v13, 32, v13
	v_lshrrev_b32_e32 v10, 19, v11
	v_subrev_u32_e32 v14, 28, v13
	v_and_b32_e32 v10, 15, v10
	v_lshlrev_b32_sdwa v14, v14, v11 dst_sel:DWORD dst_unused:UNUSED_PAD src0_sel:DWORD src1_sel:WORD_1
	v_bfe_u32 v12, v11, 19, 4
	v_sub_u32_e32 v13, 29, v13
	v_and_b32_e32 v14, 7, v14
	v_cmp_eq_u16_e32 vcc, 0, v10
	v_cndmask_b32_e32 v9, v9, v14, vcc
	v_cndmask_b32_e32 v10, v12, v13, vcc
	v_lshlrev_b32_e32 v12, 8, v11
	v_mov_b32_e32 v13, 0x3b800000
	v_lshlrev_b32_e32 v9, 20, v9
	v_and_b32_e32 v12, 0x80000000, v12
	v_lshl_add_u32 v10, v10, 23, v13
	v_or3_b32 v10, v12, v10, v9
.LBB8_1912:
	s_or_b64 exec, exec, s[6:7]
	s_nop 0
	v_mfma_f32_16x16x4f32 a[0:3], v8, v10, a[0:3]
	s_movk_i32 s4, 0x7f
	v_cmp_gt_i16_sdwa s[6:7], v15, s4 src0_sel:BYTE_3 src1_sel:DWORD
	s_mov_b64 s[4:5], 0
                                        ; implicit-def: $sgpr10
	s_and_saveexec_b64 s[8:9], s[6:7]
	s_xor_b64 s[6:7], exec, s[8:9]
	s_cbranch_execnz .LBB8_3961
; %bb.1913:
	s_or_saveexec_b64 s[6:7], s[6:7]
	v_mov_b32_e32 v8, s10
	s_xor_b64 exec, exec, s[6:7]
	s_cbranch_execnz .LBB8_3964
.LBB8_1914:
	s_or_b64 exec, exec, s[6:7]
	s_and_saveexec_b64 s[6:7], s[4:5]
	s_cbranch_execz .LBB8_1916
.LBB8_1915:
	v_bfe_u32 v8, v15, 24, 3
	v_ffbh_u32_e32 v13, v8
	v_min_u32_e32 v13, 32, v13
	v_lshrrev_b32_e32 v10, 27, v15
	v_subrev_u32_e32 v14, 28, v13
	v_and_b32_e32 v10, 15, v10
	v_lshlrev_b32_sdwa v14, v14, v15 dst_sel:DWORD dst_unused:UNUSED_PAD src0_sel:DWORD src1_sel:BYTE_3
	v_bfe_u32 v12, v15, 27, 4
	v_sub_u32_e32 v13, 29, v13
	v_and_b32_e32 v14, 7, v14
	v_cmp_eq_u16_e32 vcc, 0, v10
	v_cndmask_b32_e32 v8, v8, v14, vcc
	v_cndmask_b32_e32 v10, v12, v13, vcc
	v_mov_b32_e32 v12, 0x3b800000
	v_and_b32_e32 v9, 0x80000000, v15
	v_lshlrev_b32_e32 v8, 20, v8
	v_lshl_add_u32 v10, v10, 23, v12
	v_or3_b32 v8, v9, v10, v8
.LBB8_1916:
	s_or_b64 exec, exec, s[6:7]
	s_movk_i32 s4, 0x7f
	v_cmp_gt_i16_sdwa s[6:7], v11, s4 src0_sel:BYTE_3 src1_sel:DWORD
	s_mov_b64 s[4:5], 0
                                        ; implicit-def: $sgpr10
	s_and_saveexec_b64 s[8:9], s[6:7]
	s_xor_b64 s[6:7], exec, s[8:9]
	s_cbranch_execnz .LBB8_3965
; %bb.1917:
	s_or_saveexec_b64 s[6:7], s[6:7]
	v_mov_b32_e32 v9, s10
	s_xor_b64 exec, exec, s[6:7]
	s_cbranch_execnz .LBB8_3968
.LBB8_1918:
	s_or_b64 exec, exec, s[6:7]
	s_and_saveexec_b64 s[6:7], s[4:5]
	s_cbranch_execz .LBB8_1920
.LBB8_1919:
	v_bfe_u32 v9, v11, 24, 3
	v_ffbh_u32_e32 v14, v9
	v_min_u32_e32 v14, 32, v14
	v_lshrrev_b32_e32 v12, 27, v11
	v_subrev_u32_e32 v15, 28, v14
	v_and_b32_e32 v10, 0x80000000, v11
	v_and_b32_e32 v12, 15, v12
	v_bfe_u32 v13, v11, 27, 4
	v_lshlrev_b32_sdwa v11, v15, v11 dst_sel:DWORD dst_unused:UNUSED_PAD src0_sel:DWORD src1_sel:BYTE_3
	v_sub_u32_e32 v14, 29, v14
	v_and_b32_e32 v11, 7, v11
	v_cmp_eq_u16_e32 vcc, 0, v12
	v_cndmask_b32_e32 v9, v9, v11, vcc
	v_cndmask_b32_e32 v11, v13, v14, vcc
	v_mov_b32_e32 v12, 0x3b800000
	v_lshlrev_b32_e32 v9, 20, v9
	v_lshl_add_u32 v11, v11, 23, v12
	v_or3_b32 v9, v10, v11, v9
.LBB8_1920:
	s_or_b64 exec, exec, s[6:7]
	s_nop 0
	v_mfma_f32_16x16x4f32 a[0:3], v8, v9, a[0:3]
	s_movk_i32 s4, 0x7f
	v_cmp_gt_i16_sdwa s[6:7], v4, s4 src0_sel:BYTE_0 src1_sel:DWORD
	s_mov_b64 s[4:5], 0
                                        ; implicit-def: $sgpr10
	s_and_saveexec_b64 s[8:9], s[6:7]
	s_xor_b64 s[6:7], exec, s[8:9]
	s_cbranch_execnz .LBB8_3969
; %bb.1921:
	s_or_saveexec_b64 s[6:7], s[6:7]
	v_mov_b32_e32 v8, s10
	s_xor_b64 exec, exec, s[6:7]
	s_cbranch_execnz .LBB8_3972
.LBB8_1922:
	s_or_b64 exec, exec, s[6:7]
	s_and_saveexec_b64 s[6:7], s[4:5]
	s_cbranch_execz .LBB8_1924
.LBB8_1923:
	v_and_b32_e32 v8, 7, v4
	v_ffbh_u32_e32 v10, v8
	v_min_u32_e32 v10, 32, v10
	v_lshrrev_b16_e32 v9, 3, v4
	v_subrev_u32_e32 v11, 28, v10
	v_and_b32_e32 v9, 15, v9
	v_lshlrev_b32_e32 v11, v11, v4
	v_sub_u32_e32 v10, 29, v10
	v_and_b32_e32 v11, 7, v11
	v_cmp_eq_u16_e32 vcc, 0, v9
	v_cndmask_b32_e32 v8, v8, v11, vcc
	v_cndmask_b32_e32 v9, v9, v10, vcc
	v_lshlrev_b32_e32 v10, 24, v4
	v_mov_b32_e32 v11, 0x3b800000
	v_lshlrev_b32_e32 v8, 20, v8
	v_and_b32_e32 v10, 0x80000000, v10
	v_lshl_add_u32 v9, v9, 23, v11
	v_or3_b32 v8, v10, v9, v8
.LBB8_1924:
	s_or_b64 exec, exec, s[6:7]
	s_movk_i32 s4, 0x7f
	v_cmp_gt_i16_sdwa s[6:7], v0, s4 src0_sel:BYTE_0 src1_sel:DWORD
	s_mov_b64 s[4:5], 0
                                        ; implicit-def: $sgpr10
	s_and_saveexec_b64 s[8:9], s[6:7]
	s_xor_b64 s[6:7], exec, s[8:9]
	s_cbranch_execnz .LBB8_3973
; %bb.1925:
	s_or_saveexec_b64 s[6:7], s[6:7]
	v_mov_b32_e32 v9, s10
	s_xor_b64 exec, exec, s[6:7]
	s_cbranch_execnz .LBB8_3976
.LBB8_1926:
	s_or_b64 exec, exec, s[6:7]
	s_and_saveexec_b64 s[6:7], s[4:5]
	s_cbranch_execz .LBB8_1928
.LBB8_1927:
	v_and_b32_e32 v9, 7, v0
	v_ffbh_u32_e32 v11, v9
	v_min_u32_e32 v11, 32, v11
	v_lshrrev_b16_e32 v10, 3, v0
	v_subrev_u32_e32 v12, 28, v11
	v_and_b32_e32 v10, 15, v10
	v_lshlrev_b32_e32 v12, v12, v0
	v_sub_u32_e32 v11, 29, v11
	v_and_b32_e32 v12, 7, v12
	v_cmp_eq_u16_e32 vcc, 0, v10
	v_cndmask_b32_e32 v9, v9, v12, vcc
	v_cndmask_b32_e32 v10, v10, v11, vcc
	v_lshlrev_b32_e32 v11, 24, v0
	v_mov_b32_e32 v12, 0x3b800000
	v_lshlrev_b32_e32 v9, 20, v9
	v_and_b32_e32 v11, 0x80000000, v11
	v_lshl_add_u32 v10, v10, 23, v12
	v_or3_b32 v9, v11, v10, v9
.LBB8_1928:
	s_or_b64 exec, exec, s[6:7]
	s_nop 0
	v_mfma_f32_16x16x4f32 a[0:3], v8, v9, a[0:3]
	v_lshrrev_b32_e32 v9, 8, v4
	s_movk_i32 s4, 0x7f
	v_cmp_gt_i16_sdwa s[6:7], v9, s4 src0_sel:BYTE_0 src1_sel:DWORD
	s_mov_b64 s[4:5], 0
                                        ; implicit-def: $sgpr10
	s_and_saveexec_b64 s[8:9], s[6:7]
	s_xor_b64 s[6:7], exec, s[8:9]
	s_cbranch_execnz .LBB8_3977
; %bb.1929:
	s_or_saveexec_b64 s[6:7], s[6:7]
	v_mov_b32_e32 v8, s10
	s_xor_b64 exec, exec, s[6:7]
	s_cbranch_execnz .LBB8_3980
.LBB8_1930:
	s_or_b64 exec, exec, s[6:7]
	s_and_saveexec_b64 s[6:7], s[4:5]
	s_cbranch_execz .LBB8_1932
.LBB8_1931:
	v_bfe_u32 v8, v4, 8, 3
	v_ffbh_u32_e32 v11, v8
	v_min_u32_e32 v11, 32, v11
	v_lshrrev_b16_e32 v10, 3, v9
	v_subrev_u32_e32 v12, 28, v11
	v_and_b32_e32 v10, 15, v10
	v_lshlrev_b32_e32 v9, v12, v9
	v_sub_u32_e32 v11, 29, v11
	v_and_b32_e32 v9, 7, v9
	v_cmp_eq_u16_e32 vcc, 0, v10
	v_cndmask_b32_e32 v8, v8, v9, vcc
	v_cndmask_b32_e32 v9, v10, v11, vcc
	v_lshlrev_b32_e32 v10, 16, v4
	v_mov_b32_e32 v11, 0x3b800000
	v_lshlrev_b32_e32 v8, 20, v8
	v_and_b32_e32 v10, 0x80000000, v10
	v_lshl_add_u32 v9, v9, 23, v11
	v_or3_b32 v8, v10, v9, v8
.LBB8_1932:
	s_or_b64 exec, exec, s[6:7]
	v_lshrrev_b32_e32 v9, 8, v0
	s_movk_i32 s4, 0x7f
	v_cmp_gt_i16_sdwa s[6:7], v9, s4 src0_sel:BYTE_0 src1_sel:DWORD
	s_mov_b64 s[4:5], 0
                                        ; implicit-def: $sgpr10
	s_and_saveexec_b64 s[8:9], s[6:7]
	s_xor_b64 s[6:7], exec, s[8:9]
	s_cbranch_execnz .LBB8_3981
; %bb.1933:
	s_or_saveexec_b64 s[6:7], s[6:7]
	v_mov_b32_e32 v10, s10
	s_xor_b64 exec, exec, s[6:7]
	s_cbranch_execnz .LBB8_3984
.LBB8_1934:
	s_or_b64 exec, exec, s[6:7]
	s_and_saveexec_b64 s[6:7], s[4:5]
	s_cbranch_execz .LBB8_1936
.LBB8_1935:
	v_bfe_u32 v10, v0, 8, 3
	v_ffbh_u32_e32 v12, v10
	v_min_u32_e32 v12, 32, v12
	v_lshrrev_b16_e32 v11, 3, v9
	v_subrev_u32_e32 v13, 28, v12
	v_and_b32_e32 v11, 15, v11
	v_lshlrev_b32_e32 v9, v13, v9
	v_sub_u32_e32 v12, 29, v12
	v_and_b32_e32 v9, 7, v9
	v_cmp_eq_u16_e32 vcc, 0, v11
	v_cndmask_b32_e32 v9, v10, v9, vcc
	v_cndmask_b32_e32 v10, v11, v12, vcc
	v_lshlrev_b32_e32 v11, 16, v0
	v_mov_b32_e32 v12, 0x3b800000
	v_lshlrev_b32_e32 v9, 20, v9
	v_and_b32_e32 v11, 0x80000000, v11
	v_lshl_add_u32 v10, v10, 23, v12
	v_or3_b32 v10, v11, v10, v9
.LBB8_1936:
	s_or_b64 exec, exec, s[6:7]
	s_nop 0
	v_mfma_f32_16x16x4f32 a[0:3], v8, v10, a[0:3]
	s_movk_i32 s4, 0xff
	v_and_b32_sdwa v9, v4, s4 dst_sel:DWORD dst_unused:UNUSED_PAD src0_sel:WORD_1 src1_sel:DWORD
	s_movk_i32 s4, 0x7f
	v_cmp_lt_i16_e32 vcc, s4, v9
	s_mov_b64 s[4:5], 0
                                        ; implicit-def: $sgpr10
	s_and_saveexec_b64 s[6:7], vcc
	s_xor_b64 s[6:7], exec, s[6:7]
	s_cbranch_execnz .LBB8_3985
; %bb.1937:
	s_or_saveexec_b64 s[6:7], s[6:7]
	v_mov_b32_e32 v8, s10
	s_xor_b64 exec, exec, s[6:7]
	s_cbranch_execnz .LBB8_3988
.LBB8_1938:
	s_or_b64 exec, exec, s[6:7]
	s_and_saveexec_b64 s[6:7], s[4:5]
	s_cbranch_execz .LBB8_1940
.LBB8_1939:
	v_bfe_u32 v8, v4, 16, 3
	v_ffbh_u32_e32 v11, v8
	v_min_u32_e32 v11, 32, v11
	v_lshrrev_b32_e32 v9, 19, v4
	v_subrev_u32_e32 v12, 28, v11
	v_and_b32_e32 v9, 15, v9
	v_lshlrev_b32_sdwa v12, v12, v4 dst_sel:DWORD dst_unused:UNUSED_PAD src0_sel:DWORD src1_sel:WORD_1
	v_bfe_u32 v10, v4, 19, 4
	v_sub_u32_e32 v11, 29, v11
	v_and_b32_e32 v12, 7, v12
	v_cmp_eq_u16_e32 vcc, 0, v9
	v_cndmask_b32_e32 v8, v8, v12, vcc
	v_cndmask_b32_e32 v9, v10, v11, vcc
	v_lshlrev_b32_e32 v10, 8, v4
	v_mov_b32_e32 v11, 0x3b800000
	v_lshlrev_b32_e32 v8, 20, v8
	v_and_b32_e32 v10, 0x80000000, v10
	v_lshl_add_u32 v9, v9, 23, v11
	v_or3_b32 v8, v10, v9, v8
.LBB8_1940:
	s_or_b64 exec, exec, s[6:7]
	s_movk_i32 s4, 0xff
	v_and_b32_sdwa v9, v0, s4 dst_sel:DWORD dst_unused:UNUSED_PAD src0_sel:WORD_1 src1_sel:DWORD
	s_movk_i32 s4, 0x7f
	v_cmp_lt_i16_e32 vcc, s4, v9
	s_mov_b64 s[4:5], 0
                                        ; implicit-def: $sgpr10
	s_and_saveexec_b64 s[6:7], vcc
	s_xor_b64 s[6:7], exec, s[6:7]
	s_cbranch_execnz .LBB8_3989
; %bb.1941:
	s_or_saveexec_b64 s[6:7], s[6:7]
	v_mov_b32_e32 v10, s10
	s_xor_b64 exec, exec, s[6:7]
	s_cbranch_execnz .LBB8_3992
.LBB8_1942:
	s_or_b64 exec, exec, s[6:7]
	s_and_saveexec_b64 s[6:7], s[4:5]
	s_cbranch_execz .LBB8_1944
.LBB8_1943:
	v_bfe_u32 v9, v0, 16, 3
	v_ffbh_u32_e32 v12, v9
	v_min_u32_e32 v12, 32, v12
	v_lshrrev_b32_e32 v10, 19, v0
	v_subrev_u32_e32 v13, 28, v12
	v_and_b32_e32 v10, 15, v10
	v_lshlrev_b32_sdwa v13, v13, v0 dst_sel:DWORD dst_unused:UNUSED_PAD src0_sel:DWORD src1_sel:WORD_1
	v_bfe_u32 v11, v0, 19, 4
	v_sub_u32_e32 v12, 29, v12
	v_and_b32_e32 v13, 7, v13
	v_cmp_eq_u16_e32 vcc, 0, v10
	v_cndmask_b32_e32 v9, v9, v13, vcc
	v_cndmask_b32_e32 v10, v11, v12, vcc
	v_lshlrev_b32_e32 v11, 8, v0
	v_mov_b32_e32 v12, 0x3b800000
	v_lshlrev_b32_e32 v9, 20, v9
	v_and_b32_e32 v11, 0x80000000, v11
	v_lshl_add_u32 v10, v10, 23, v12
	v_or3_b32 v10, v11, v10, v9
.LBB8_1944:
	s_or_b64 exec, exec, s[6:7]
	s_nop 0
	v_mfma_f32_16x16x4f32 a[0:3], v8, v10, a[0:3]
	s_movk_i32 s4, 0x7f
	v_cmp_gt_i16_sdwa s[6:7], v4, s4 src0_sel:BYTE_3 src1_sel:DWORD
	s_mov_b64 s[4:5], 0
                                        ; implicit-def: $sgpr10
	s_and_saveexec_b64 s[8:9], s[6:7]
	s_xor_b64 s[6:7], exec, s[8:9]
	s_cbranch_execnz .LBB8_3993
; %bb.1945:
	s_or_saveexec_b64 s[6:7], s[6:7]
	v_mov_b32_e32 v8, s10
	s_xor_b64 exec, exec, s[6:7]
	s_cbranch_execnz .LBB8_3996
.LBB8_1946:
	s_or_b64 exec, exec, s[6:7]
	s_and_saveexec_b64 s[6:7], s[4:5]
	s_cbranch_execz .LBB8_1948
.LBB8_1947:
	v_bfe_u32 v8, v4, 24, 3
	v_ffbh_u32_e32 v12, v8
	v_min_u32_e32 v12, 32, v12
	v_lshrrev_b32_e32 v10, 27, v4
	v_subrev_u32_e32 v13, 28, v12
	v_and_b32_e32 v9, 0x80000000, v4
	v_and_b32_e32 v10, 15, v10
	v_bfe_u32 v11, v4, 27, 4
	v_lshlrev_b32_sdwa v4, v13, v4 dst_sel:DWORD dst_unused:UNUSED_PAD src0_sel:DWORD src1_sel:BYTE_3
	v_sub_u32_e32 v12, 29, v12
	v_and_b32_e32 v4, 7, v4
	v_cmp_eq_u16_e32 vcc, 0, v10
	v_cndmask_b32_e32 v4, v8, v4, vcc
	v_cndmask_b32_e32 v8, v11, v12, vcc
	v_mov_b32_e32 v10, 0x3b800000
	v_lshlrev_b32_e32 v4, 20, v4
	v_lshl_add_u32 v8, v8, 23, v10
	v_or3_b32 v8, v9, v8, v4
.LBB8_1948:
	s_or_b64 exec, exec, s[6:7]
	s_movk_i32 s4, 0x7f
	v_cmp_gt_i16_sdwa s[6:7], v0, s4 src0_sel:BYTE_3 src1_sel:DWORD
	s_mov_b64 s[4:5], 0
                                        ; implicit-def: $sgpr10
	s_and_saveexec_b64 s[8:9], s[6:7]
	s_xor_b64 s[6:7], exec, s[8:9]
	s_cbranch_execnz .LBB8_3997
; %bb.1949:
	s_or_saveexec_b64 s[6:7], s[6:7]
	v_mov_b32_e32 v4, s10
	s_xor_b64 exec, exec, s[6:7]
	s_cbranch_execnz .LBB8_4000
.LBB8_1950:
	s_or_b64 exec, exec, s[6:7]
	s_and_saveexec_b64 s[6:7], s[4:5]
	s_cbranch_execz .LBB8_1952
.LBB8_1951:
	v_bfe_u32 v4, v0, 24, 3
	v_ffbh_u32_e32 v12, v4
	v_min_u32_e32 v12, 32, v12
	v_lshrrev_b32_e32 v10, 27, v0
	v_subrev_u32_e32 v13, 28, v12
	v_and_b32_e32 v9, 0x80000000, v0
	v_and_b32_e32 v10, 15, v10
	v_bfe_u32 v11, v0, 27, 4
	v_lshlrev_b32_sdwa v0, v13, v0 dst_sel:DWORD dst_unused:UNUSED_PAD src0_sel:DWORD src1_sel:BYTE_3
	v_sub_u32_e32 v12, 29, v12
	v_and_b32_e32 v0, 7, v0
	v_cmp_eq_u16_e32 vcc, 0, v10
	v_cndmask_b32_e32 v0, v4, v0, vcc
	v_cndmask_b32_e32 v4, v11, v12, vcc
	v_mov_b32_e32 v10, 0x3b800000
	v_lshlrev_b32_e32 v0, 20, v0
	v_lshl_add_u32 v4, v4, 23, v10
	v_or3_b32 v4, v9, v4, v0
.LBB8_1952:
	s_or_b64 exec, exec, s[6:7]
	s_nop 0
	v_mfma_f32_16x16x4f32 a[0:3], v8, v4, a[0:3]
	s_movk_i32 s4, 0x7f
	v_cmp_gt_i16_sdwa s[6:7], v5, s4 src0_sel:BYTE_0 src1_sel:DWORD
	s_mov_b64 s[4:5], 0
                                        ; implicit-def: $sgpr10
	s_and_saveexec_b64 s[8:9], s[6:7]
	s_xor_b64 s[6:7], exec, s[8:9]
	s_cbranch_execnz .LBB8_4001
; %bb.1953:
	s_or_saveexec_b64 s[6:7], s[6:7]
	v_mov_b32_e32 v0, s10
	s_xor_b64 exec, exec, s[6:7]
	s_cbranch_execnz .LBB8_4004
.LBB8_1954:
	s_or_b64 exec, exec, s[6:7]
	s_and_saveexec_b64 s[6:7], s[4:5]
	s_cbranch_execz .LBB8_1956
.LBB8_1955:
	v_and_b32_e32 v0, 7, v5
	v_ffbh_u32_e32 v8, v0
	v_min_u32_e32 v8, 32, v8
	v_lshrrev_b16_e32 v4, 3, v5
	v_subrev_u32_e32 v9, 28, v8
	v_and_b32_e32 v4, 15, v4
	v_lshlrev_b32_e32 v9, v9, v5
	v_sub_u32_e32 v8, 29, v8
	v_and_b32_e32 v9, 7, v9
	v_cmp_eq_u16_e32 vcc, 0, v4
	v_cndmask_b32_e32 v0, v0, v9, vcc
	v_cndmask_b32_e32 v4, v4, v8, vcc
	v_lshlrev_b32_e32 v8, 24, v5
	v_mov_b32_e32 v9, 0x3b800000
	v_lshlrev_b32_e32 v0, 20, v0
	v_and_b32_e32 v8, 0x80000000, v8
	v_lshl_add_u32 v4, v4, 23, v9
	v_or3_b32 v0, v8, v4, v0
.LBB8_1956:
	s_or_b64 exec, exec, s[6:7]
	s_movk_i32 s4, 0x7f
	v_cmp_gt_i16_sdwa s[6:7], v1, s4 src0_sel:BYTE_0 src1_sel:DWORD
	s_mov_b64 s[4:5], 0
                                        ; implicit-def: $sgpr10
	s_and_saveexec_b64 s[8:9], s[6:7]
	s_xor_b64 s[6:7], exec, s[8:9]
	s_cbranch_execnz .LBB8_4005
; %bb.1957:
	s_or_saveexec_b64 s[6:7], s[6:7]
	v_mov_b32_e32 v4, s10
	s_xor_b64 exec, exec, s[6:7]
	s_cbranch_execnz .LBB8_4008
.LBB8_1958:
	s_or_b64 exec, exec, s[6:7]
	s_and_saveexec_b64 s[6:7], s[4:5]
	s_cbranch_execz .LBB8_1960
.LBB8_1959:
	v_and_b32_e32 v4, 7, v1
	v_ffbh_u32_e32 v9, v4
	v_min_u32_e32 v9, 32, v9
	v_lshrrev_b16_e32 v8, 3, v1
	v_subrev_u32_e32 v10, 28, v9
	v_and_b32_e32 v8, 15, v8
	v_lshlrev_b32_e32 v10, v10, v1
	v_sub_u32_e32 v9, 29, v9
	v_and_b32_e32 v10, 7, v10
	v_cmp_eq_u16_e32 vcc, 0, v8
	v_cndmask_b32_e32 v4, v4, v10, vcc
	v_cndmask_b32_e32 v8, v8, v9, vcc
	v_lshlrev_b32_e32 v9, 24, v1
	v_mov_b32_e32 v10, 0x3b800000
	v_lshlrev_b32_e32 v4, 20, v4
	v_and_b32_e32 v9, 0x80000000, v9
	v_lshl_add_u32 v8, v8, 23, v10
	v_or3_b32 v4, v9, v8, v4
.LBB8_1960:
	s_or_b64 exec, exec, s[6:7]
	s_nop 0
	v_mfma_f32_16x16x4f32 a[0:3], v0, v4, a[0:3]
	v_lshrrev_b32_e32 v4, 8, v5
	s_movk_i32 s4, 0x7f
	v_cmp_gt_i16_sdwa s[6:7], v4, s4 src0_sel:BYTE_0 src1_sel:DWORD
	s_mov_b64 s[4:5], 0
                                        ; implicit-def: $sgpr10
	s_and_saveexec_b64 s[8:9], s[6:7]
	s_xor_b64 s[6:7], exec, s[8:9]
	s_cbranch_execnz .LBB8_4009
; %bb.1961:
	s_or_saveexec_b64 s[6:7], s[6:7]
	v_mov_b32_e32 v0, s10
	s_xor_b64 exec, exec, s[6:7]
	s_cbranch_execnz .LBB8_4012
.LBB8_1962:
	s_or_b64 exec, exec, s[6:7]
	s_and_saveexec_b64 s[6:7], s[4:5]
	s_cbranch_execz .LBB8_1964
.LBB8_1963:
	v_bfe_u32 v0, v5, 8, 3
	v_ffbh_u32_e32 v9, v0
	v_min_u32_e32 v9, 32, v9
	v_lshrrev_b16_e32 v8, 3, v4
	v_subrev_u32_e32 v10, 28, v9
	v_and_b32_e32 v8, 15, v8
	v_lshlrev_b32_e32 v4, v10, v4
	v_sub_u32_e32 v9, 29, v9
	v_and_b32_e32 v4, 7, v4
	v_cmp_eq_u16_e32 vcc, 0, v8
	v_cndmask_b32_e32 v0, v0, v4, vcc
	v_cndmask_b32_e32 v4, v8, v9, vcc
	v_lshlrev_b32_e32 v8, 16, v5
	v_mov_b32_e32 v9, 0x3b800000
	v_lshlrev_b32_e32 v0, 20, v0
	v_and_b32_e32 v8, 0x80000000, v8
	v_lshl_add_u32 v4, v4, 23, v9
	v_or3_b32 v0, v8, v4, v0
.LBB8_1964:
	s_or_b64 exec, exec, s[6:7]
	v_lshrrev_b32_e32 v4, 8, v1
	s_movk_i32 s4, 0x7f
	v_cmp_gt_i16_sdwa s[6:7], v4, s4 src0_sel:BYTE_0 src1_sel:DWORD
	s_mov_b64 s[4:5], 0
                                        ; implicit-def: $sgpr10
	s_and_saveexec_b64 s[8:9], s[6:7]
	s_xor_b64 s[6:7], exec, s[8:9]
	s_cbranch_execnz .LBB8_4013
; %bb.1965:
	s_or_saveexec_b64 s[6:7], s[6:7]
	v_mov_b32_e32 v8, s10
	s_xor_b64 exec, exec, s[6:7]
	s_cbranch_execnz .LBB8_4016
.LBB8_1966:
	s_or_b64 exec, exec, s[6:7]
	s_and_saveexec_b64 s[6:7], s[4:5]
	s_cbranch_execz .LBB8_1968
.LBB8_1967:
	v_bfe_u32 v8, v1, 8, 3
	v_ffbh_u32_e32 v10, v8
	v_min_u32_e32 v10, 32, v10
	v_lshrrev_b16_e32 v9, 3, v4
	v_subrev_u32_e32 v11, 28, v10
	v_and_b32_e32 v9, 15, v9
	v_lshlrev_b32_e32 v4, v11, v4
	v_sub_u32_e32 v10, 29, v10
	v_and_b32_e32 v4, 7, v4
	v_cmp_eq_u16_e32 vcc, 0, v9
	v_cndmask_b32_e32 v4, v8, v4, vcc
	v_cndmask_b32_e32 v8, v9, v10, vcc
	v_lshlrev_b32_e32 v9, 16, v1
	v_mov_b32_e32 v10, 0x3b800000
	v_lshlrev_b32_e32 v4, 20, v4
	v_and_b32_e32 v9, 0x80000000, v9
	v_lshl_add_u32 v8, v8, 23, v10
	v_or3_b32 v8, v9, v8, v4
.LBB8_1968:
	s_or_b64 exec, exec, s[6:7]
	s_nop 0
	v_mfma_f32_16x16x4f32 a[0:3], v0, v8, a[0:3]
	s_movk_i32 s4, 0xff
	v_and_b32_sdwa v4, v5, s4 dst_sel:DWORD dst_unused:UNUSED_PAD src0_sel:WORD_1 src1_sel:DWORD
	s_movk_i32 s4, 0x7f
	v_cmp_lt_i16_e32 vcc, s4, v4
	s_mov_b64 s[4:5], 0
                                        ; implicit-def: $sgpr10
	s_and_saveexec_b64 s[6:7], vcc
	s_xor_b64 s[6:7], exec, s[6:7]
	s_cbranch_execnz .LBB8_4017
; %bb.1969:
	s_or_saveexec_b64 s[6:7], s[6:7]
	v_mov_b32_e32 v0, s10
	s_xor_b64 exec, exec, s[6:7]
	s_cbranch_execnz .LBB8_4020
.LBB8_1970:
	s_or_b64 exec, exec, s[6:7]
	s_and_saveexec_b64 s[6:7], s[4:5]
	s_cbranch_execz .LBB8_1972
.LBB8_1971:
	v_bfe_u32 v0, v5, 16, 3
	v_ffbh_u32_e32 v9, v0
	v_min_u32_e32 v9, 32, v9
	v_lshrrev_b32_e32 v4, 19, v5
	v_subrev_u32_e32 v10, 28, v9
	v_and_b32_e32 v4, 15, v4
	v_lshlrev_b32_sdwa v10, v10, v5 dst_sel:DWORD dst_unused:UNUSED_PAD src0_sel:DWORD src1_sel:WORD_1
	v_bfe_u32 v8, v5, 19, 4
	v_sub_u32_e32 v9, 29, v9
	v_and_b32_e32 v10, 7, v10
	v_cmp_eq_u16_e32 vcc, 0, v4
	v_cndmask_b32_e32 v0, v0, v10, vcc
	v_cndmask_b32_e32 v4, v8, v9, vcc
	v_lshlrev_b32_e32 v8, 8, v5
	v_mov_b32_e32 v9, 0x3b800000
	v_lshlrev_b32_e32 v0, 20, v0
	v_and_b32_e32 v8, 0x80000000, v8
	v_lshl_add_u32 v4, v4, 23, v9
	v_or3_b32 v0, v8, v4, v0
.LBB8_1972:
	s_or_b64 exec, exec, s[6:7]
	s_movk_i32 s4, 0xff
	v_and_b32_sdwa v4, v1, s4 dst_sel:DWORD dst_unused:UNUSED_PAD src0_sel:WORD_1 src1_sel:DWORD
	s_movk_i32 s4, 0x7f
	v_cmp_lt_i16_e32 vcc, s4, v4
	s_mov_b64 s[4:5], 0
                                        ; implicit-def: $sgpr10
	s_and_saveexec_b64 s[6:7], vcc
	s_xor_b64 s[6:7], exec, s[6:7]
	s_cbranch_execnz .LBB8_4021
; %bb.1973:
	s_or_saveexec_b64 s[6:7], s[6:7]
	v_mov_b32_e32 v8, s10
	s_xor_b64 exec, exec, s[6:7]
	s_cbranch_execnz .LBB8_4024
.LBB8_1974:
	s_or_b64 exec, exec, s[6:7]
	s_and_saveexec_b64 s[6:7], s[4:5]
	s_cbranch_execz .LBB8_1976
.LBB8_1975:
	v_bfe_u32 v4, v1, 16, 3
	v_ffbh_u32_e32 v10, v4
	v_min_u32_e32 v10, 32, v10
	v_lshrrev_b32_e32 v8, 19, v1
	v_subrev_u32_e32 v11, 28, v10
	v_and_b32_e32 v8, 15, v8
	v_lshlrev_b32_sdwa v11, v11, v1 dst_sel:DWORD dst_unused:UNUSED_PAD src0_sel:DWORD src1_sel:WORD_1
	v_bfe_u32 v9, v1, 19, 4
	v_sub_u32_e32 v10, 29, v10
	v_and_b32_e32 v11, 7, v11
	v_cmp_eq_u16_e32 vcc, 0, v8
	v_cndmask_b32_e32 v4, v4, v11, vcc
	v_cndmask_b32_e32 v8, v9, v10, vcc
	v_lshlrev_b32_e32 v9, 8, v1
	v_mov_b32_e32 v10, 0x3b800000
	v_lshlrev_b32_e32 v4, 20, v4
	v_and_b32_e32 v9, 0x80000000, v9
	v_lshl_add_u32 v8, v8, 23, v10
	v_or3_b32 v8, v9, v8, v4
.LBB8_1976:
	s_or_b64 exec, exec, s[6:7]
	s_nop 0
	v_mfma_f32_16x16x4f32 a[0:3], v0, v8, a[0:3]
	s_movk_i32 s4, 0x7f
	v_cmp_gt_i16_sdwa s[6:7], v5, s4 src0_sel:BYTE_3 src1_sel:DWORD
	s_mov_b64 s[4:5], 0
                                        ; implicit-def: $sgpr10
	s_and_saveexec_b64 s[8:9], s[6:7]
	s_xor_b64 s[6:7], exec, s[8:9]
	s_cbranch_execnz .LBB8_4025
; %bb.1977:
	s_or_saveexec_b64 s[6:7], s[6:7]
	v_mov_b32_e32 v0, s10
	s_xor_b64 exec, exec, s[6:7]
	s_cbranch_execnz .LBB8_4028
.LBB8_1978:
	s_or_b64 exec, exec, s[6:7]
	s_and_saveexec_b64 s[6:7], s[4:5]
	s_cbranch_execz .LBB8_1980
.LBB8_1979:
	v_bfe_u32 v0, v5, 24, 3
	v_ffbh_u32_e32 v10, v0
	v_min_u32_e32 v10, 32, v10
	v_lshrrev_b32_e32 v8, 27, v5
	v_subrev_u32_e32 v11, 28, v10
	v_and_b32_e32 v4, 0x80000000, v5
	v_and_b32_e32 v8, 15, v8
	v_bfe_u32 v9, v5, 27, 4
	v_lshlrev_b32_sdwa v5, v11, v5 dst_sel:DWORD dst_unused:UNUSED_PAD src0_sel:DWORD src1_sel:BYTE_3
	v_sub_u32_e32 v10, 29, v10
	v_and_b32_e32 v5, 7, v5
	v_cmp_eq_u16_e32 vcc, 0, v8
	v_cndmask_b32_e32 v0, v0, v5, vcc
	v_cndmask_b32_e32 v5, v9, v10, vcc
	v_mov_b32_e32 v8, 0x3b800000
	v_lshlrev_b32_e32 v0, 20, v0
	v_lshl_add_u32 v5, v5, 23, v8
	v_or3_b32 v0, v4, v5, v0
.LBB8_1980:
	s_or_b64 exec, exec, s[6:7]
	s_movk_i32 s4, 0x7f
	v_cmp_gt_i16_sdwa s[6:7], v1, s4 src0_sel:BYTE_3 src1_sel:DWORD
	s_mov_b64 s[4:5], 0
                                        ; implicit-def: $sgpr10
	s_and_saveexec_b64 s[8:9], s[6:7]
	s_xor_b64 s[6:7], exec, s[8:9]
	s_cbranch_execnz .LBB8_4029
; %bb.1981:
	s_or_saveexec_b64 s[6:7], s[6:7]
	v_mov_b32_e32 v4, s10
	s_xor_b64 exec, exec, s[6:7]
	s_cbranch_execnz .LBB8_4032
.LBB8_1982:
	s_or_b64 exec, exec, s[6:7]
	s_and_saveexec_b64 s[6:7], s[4:5]
	s_cbranch_execz .LBB8_1984
.LBB8_1983:
	v_bfe_u32 v4, v1, 24, 3
	v_ffbh_u32_e32 v10, v4
	v_min_u32_e32 v10, 32, v10
	v_lshrrev_b32_e32 v8, 27, v1
	v_subrev_u32_e32 v11, 28, v10
	v_and_b32_e32 v5, 0x80000000, v1
	v_and_b32_e32 v8, 15, v8
	v_bfe_u32 v9, v1, 27, 4
	v_lshlrev_b32_sdwa v1, v11, v1 dst_sel:DWORD dst_unused:UNUSED_PAD src0_sel:DWORD src1_sel:BYTE_3
	v_sub_u32_e32 v10, 29, v10
	v_and_b32_e32 v1, 7, v1
	v_cmp_eq_u16_e32 vcc, 0, v8
	v_cndmask_b32_e32 v1, v4, v1, vcc
	v_cndmask_b32_e32 v4, v9, v10, vcc
	v_mov_b32_e32 v8, 0x3b800000
	v_lshlrev_b32_e32 v1, 20, v1
	v_lshl_add_u32 v4, v4, 23, v8
	v_or3_b32 v4, v5, v4, v1
.LBB8_1984:
	s_or_b64 exec, exec, s[6:7]
	s_nop 0
	v_mfma_f32_16x16x4f32 a[0:3], v0, v4, a[0:3]
	s_movk_i32 s4, 0x7f
	v_cmp_gt_i16_sdwa s[6:7], v6, s4 src0_sel:BYTE_0 src1_sel:DWORD
	s_mov_b64 s[4:5], 0
                                        ; implicit-def: $sgpr10
	s_and_saveexec_b64 s[8:9], s[6:7]
	s_xor_b64 s[6:7], exec, s[8:9]
	s_cbranch_execnz .LBB8_4033
; %bb.1985:
	s_or_saveexec_b64 s[6:7], s[6:7]
	v_mov_b32_e32 v0, s10
	s_xor_b64 exec, exec, s[6:7]
	s_cbranch_execnz .LBB8_4036
.LBB8_1986:
	s_or_b64 exec, exec, s[6:7]
	s_and_saveexec_b64 s[6:7], s[4:5]
	s_cbranch_execz .LBB8_1988
.LBB8_1987:
	v_and_b32_e32 v0, 7, v6
	v_ffbh_u32_e32 v4, v0
	v_min_u32_e32 v4, 32, v4
	v_lshrrev_b16_e32 v1, 3, v6
	v_subrev_u32_e32 v5, 28, v4
	v_and_b32_e32 v1, 15, v1
	v_lshlrev_b32_e32 v5, v5, v6
	v_sub_u32_e32 v4, 29, v4
	v_and_b32_e32 v5, 7, v5
	v_cmp_eq_u16_e32 vcc, 0, v1
	v_cndmask_b32_e32 v0, v0, v5, vcc
	v_cndmask_b32_e32 v1, v1, v4, vcc
	v_lshlrev_b32_e32 v4, 24, v6
	v_mov_b32_e32 v5, 0x3b800000
	v_lshlrev_b32_e32 v0, 20, v0
	v_and_b32_e32 v4, 0x80000000, v4
	v_lshl_add_u32 v1, v1, 23, v5
	v_or3_b32 v0, v4, v1, v0
.LBB8_1988:
	s_or_b64 exec, exec, s[6:7]
	s_movk_i32 s4, 0x7f
	v_cmp_gt_i16_sdwa s[6:7], v2, s4 src0_sel:BYTE_0 src1_sel:DWORD
	s_mov_b64 s[4:5], 0
                                        ; implicit-def: $sgpr10
	s_and_saveexec_b64 s[8:9], s[6:7]
	s_xor_b64 s[6:7], exec, s[8:9]
	s_cbranch_execnz .LBB8_4037
; %bb.1989:
	s_or_saveexec_b64 s[6:7], s[6:7]
	v_mov_b32_e32 v1, s10
	s_xor_b64 exec, exec, s[6:7]
	s_cbranch_execnz .LBB8_4040
.LBB8_1990:
	s_or_b64 exec, exec, s[6:7]
	s_and_saveexec_b64 s[6:7], s[4:5]
	s_cbranch_execz .LBB8_1992
.LBB8_1991:
	v_and_b32_e32 v1, 7, v2
	v_ffbh_u32_e32 v5, v1
	v_min_u32_e32 v5, 32, v5
	v_lshrrev_b16_e32 v4, 3, v2
	v_subrev_u32_e32 v8, 28, v5
	v_and_b32_e32 v4, 15, v4
	v_lshlrev_b32_e32 v8, v8, v2
	v_sub_u32_e32 v5, 29, v5
	v_and_b32_e32 v8, 7, v8
	v_cmp_eq_u16_e32 vcc, 0, v4
	v_cndmask_b32_e32 v1, v1, v8, vcc
	v_cndmask_b32_e32 v4, v4, v5, vcc
	v_lshlrev_b32_e32 v5, 24, v2
	v_mov_b32_e32 v8, 0x3b800000
	v_lshlrev_b32_e32 v1, 20, v1
	v_and_b32_e32 v5, 0x80000000, v5
	v_lshl_add_u32 v4, v4, 23, v8
	v_or3_b32 v1, v5, v4, v1
.LBB8_1992:
	s_or_b64 exec, exec, s[6:7]
	s_nop 0
	v_mfma_f32_16x16x4f32 a[0:3], v0, v1, a[0:3]
	v_lshrrev_b32_e32 v1, 8, v6
	s_movk_i32 s4, 0x7f
	v_cmp_gt_i16_sdwa s[6:7], v1, s4 src0_sel:BYTE_0 src1_sel:DWORD
	s_mov_b64 s[4:5], 0
                                        ; implicit-def: $sgpr10
	s_and_saveexec_b64 s[8:9], s[6:7]
	s_xor_b64 s[6:7], exec, s[8:9]
	s_cbranch_execnz .LBB8_4041
; %bb.1993:
	s_or_saveexec_b64 s[6:7], s[6:7]
	v_mov_b32_e32 v0, s10
	s_xor_b64 exec, exec, s[6:7]
	s_cbranch_execnz .LBB8_4044
.LBB8_1994:
	s_or_b64 exec, exec, s[6:7]
	s_and_saveexec_b64 s[6:7], s[4:5]
	s_cbranch_execz .LBB8_1996
.LBB8_1995:
	v_bfe_u32 v0, v6, 8, 3
	v_ffbh_u32_e32 v5, v0
	v_min_u32_e32 v5, 32, v5
	v_lshrrev_b16_e32 v4, 3, v1
	v_subrev_u32_e32 v8, 28, v5
	v_and_b32_e32 v4, 15, v4
	v_lshlrev_b32_e32 v1, v8, v1
	v_sub_u32_e32 v5, 29, v5
	v_and_b32_e32 v1, 7, v1
	v_cmp_eq_u16_e32 vcc, 0, v4
	v_cndmask_b32_e32 v0, v0, v1, vcc
	v_cndmask_b32_e32 v1, v4, v5, vcc
	v_lshlrev_b32_e32 v4, 16, v6
	v_mov_b32_e32 v5, 0x3b800000
	v_lshlrev_b32_e32 v0, 20, v0
	v_and_b32_e32 v4, 0x80000000, v4
	v_lshl_add_u32 v1, v1, 23, v5
	v_or3_b32 v0, v4, v1, v0
.LBB8_1996:
	s_or_b64 exec, exec, s[6:7]
	v_lshrrev_b32_e32 v1, 8, v2
	s_movk_i32 s4, 0x7f
	v_cmp_gt_i16_sdwa s[6:7], v1, s4 src0_sel:BYTE_0 src1_sel:DWORD
	s_mov_b64 s[4:5], 0
                                        ; implicit-def: $sgpr10
	s_and_saveexec_b64 s[8:9], s[6:7]
	s_xor_b64 s[6:7], exec, s[8:9]
	s_cbranch_execnz .LBB8_4045
; %bb.1997:
	s_or_saveexec_b64 s[6:7], s[6:7]
	v_mov_b32_e32 v4, s10
	s_xor_b64 exec, exec, s[6:7]
	s_cbranch_execnz .LBB8_4048
.LBB8_1998:
	s_or_b64 exec, exec, s[6:7]
	s_and_saveexec_b64 s[6:7], s[4:5]
	s_cbranch_execz .LBB8_2000
.LBB8_1999:
	v_bfe_u32 v4, v2, 8, 3
	v_ffbh_u32_e32 v8, v4
	v_min_u32_e32 v8, 32, v8
	v_lshrrev_b16_e32 v5, 3, v1
	v_subrev_u32_e32 v9, 28, v8
	v_and_b32_e32 v5, 15, v5
	v_lshlrev_b32_e32 v1, v9, v1
	v_sub_u32_e32 v8, 29, v8
	v_and_b32_e32 v1, 7, v1
	v_cmp_eq_u16_e32 vcc, 0, v5
	v_cndmask_b32_e32 v1, v4, v1, vcc
	v_cndmask_b32_e32 v4, v5, v8, vcc
	v_lshlrev_b32_e32 v5, 16, v2
	v_mov_b32_e32 v8, 0x3b800000
	v_lshlrev_b32_e32 v1, 20, v1
	v_and_b32_e32 v5, 0x80000000, v5
	v_lshl_add_u32 v4, v4, 23, v8
	v_or3_b32 v4, v5, v4, v1
.LBB8_2000:
	s_or_b64 exec, exec, s[6:7]
	s_nop 0
	v_mfma_f32_16x16x4f32 a[0:3], v0, v4, a[0:3]
	s_movk_i32 s4, 0xff
	v_and_b32_sdwa v1, v6, s4 dst_sel:DWORD dst_unused:UNUSED_PAD src0_sel:WORD_1 src1_sel:DWORD
	s_movk_i32 s4, 0x7f
	v_cmp_lt_i16_e32 vcc, s4, v1
	s_mov_b64 s[4:5], 0
                                        ; implicit-def: $sgpr10
	s_and_saveexec_b64 s[6:7], vcc
	s_xor_b64 s[6:7], exec, s[6:7]
	s_cbranch_execnz .LBB8_4049
; %bb.2001:
	s_or_saveexec_b64 s[6:7], s[6:7]
	v_mov_b32_e32 v0, s10
	s_xor_b64 exec, exec, s[6:7]
	s_cbranch_execnz .LBB8_4052
.LBB8_2002:
	s_or_b64 exec, exec, s[6:7]
	s_and_saveexec_b64 s[6:7], s[4:5]
	s_cbranch_execz .LBB8_2004
.LBB8_2003:
	v_bfe_u32 v0, v6, 16, 3
	v_ffbh_u32_e32 v5, v0
	v_min_u32_e32 v5, 32, v5
	v_lshrrev_b32_e32 v1, 19, v6
	v_subrev_u32_e32 v8, 28, v5
	v_and_b32_e32 v1, 15, v1
	v_lshlrev_b32_sdwa v8, v8, v6 dst_sel:DWORD dst_unused:UNUSED_PAD src0_sel:DWORD src1_sel:WORD_1
	v_bfe_u32 v4, v6, 19, 4
	v_sub_u32_e32 v5, 29, v5
	v_and_b32_e32 v8, 7, v8
	v_cmp_eq_u16_e32 vcc, 0, v1
	v_cndmask_b32_e32 v0, v0, v8, vcc
	v_cndmask_b32_e32 v1, v4, v5, vcc
	v_lshlrev_b32_e32 v4, 8, v6
	v_mov_b32_e32 v5, 0x3b800000
	v_lshlrev_b32_e32 v0, 20, v0
	v_and_b32_e32 v4, 0x80000000, v4
	v_lshl_add_u32 v1, v1, 23, v5
	v_or3_b32 v0, v4, v1, v0
.LBB8_2004:
	s_or_b64 exec, exec, s[6:7]
	s_movk_i32 s4, 0xff
	v_and_b32_sdwa v1, v2, s4 dst_sel:DWORD dst_unused:UNUSED_PAD src0_sel:WORD_1 src1_sel:DWORD
	s_movk_i32 s4, 0x7f
	v_cmp_lt_i16_e32 vcc, s4, v1
	s_mov_b64 s[4:5], 0
                                        ; implicit-def: $sgpr10
	s_and_saveexec_b64 s[6:7], vcc
	s_xor_b64 s[6:7], exec, s[6:7]
	s_cbranch_execnz .LBB8_4053
; %bb.2005:
	s_or_saveexec_b64 s[6:7], s[6:7]
	v_mov_b32_e32 v4, s10
	s_xor_b64 exec, exec, s[6:7]
	s_cbranch_execnz .LBB8_4056
.LBB8_2006:
	s_or_b64 exec, exec, s[6:7]
	s_and_saveexec_b64 s[6:7], s[4:5]
	s_cbranch_execz .LBB8_2008
.LBB8_2007:
	v_bfe_u32 v1, v2, 16, 3
	v_ffbh_u32_e32 v8, v1
	v_min_u32_e32 v8, 32, v8
	v_lshrrev_b32_e32 v4, 19, v2
	v_subrev_u32_e32 v9, 28, v8
	v_and_b32_e32 v4, 15, v4
	v_lshlrev_b32_sdwa v9, v9, v2 dst_sel:DWORD dst_unused:UNUSED_PAD src0_sel:DWORD src1_sel:WORD_1
	v_bfe_u32 v5, v2, 19, 4
	v_sub_u32_e32 v8, 29, v8
	v_and_b32_e32 v9, 7, v9
	v_cmp_eq_u16_e32 vcc, 0, v4
	v_cndmask_b32_e32 v1, v1, v9, vcc
	v_cndmask_b32_e32 v4, v5, v8, vcc
	v_lshlrev_b32_e32 v5, 8, v2
	v_mov_b32_e32 v8, 0x3b800000
	v_lshlrev_b32_e32 v1, 20, v1
	v_and_b32_e32 v5, 0x80000000, v5
	v_lshl_add_u32 v4, v4, 23, v8
	v_or3_b32 v4, v5, v4, v1
.LBB8_2008:
	s_or_b64 exec, exec, s[6:7]
	s_nop 0
	v_mfma_f32_16x16x4f32 a[0:3], v0, v4, a[0:3]
	s_movk_i32 s4, 0x7f
	v_cmp_gt_i16_sdwa s[6:7], v6, s4 src0_sel:BYTE_3 src1_sel:DWORD
	s_mov_b64 s[4:5], 0
                                        ; implicit-def: $sgpr10
	s_and_saveexec_b64 s[8:9], s[6:7]
	s_xor_b64 s[6:7], exec, s[8:9]
	s_cbranch_execnz .LBB8_4057
; %bb.2009:
	s_or_saveexec_b64 s[6:7], s[6:7]
	v_mov_b32_e32 v0, s10
	s_xor_b64 exec, exec, s[6:7]
	s_cbranch_execnz .LBB8_4060
.LBB8_2010:
	s_or_b64 exec, exec, s[6:7]
	s_and_saveexec_b64 s[6:7], s[4:5]
	s_cbranch_execz .LBB8_2012
.LBB8_2011:
	v_bfe_u32 v0, v6, 24, 3
	v_ffbh_u32_e32 v8, v0
	v_min_u32_e32 v8, 32, v8
	v_lshrrev_b32_e32 v4, 27, v6
	v_subrev_u32_e32 v9, 28, v8
	v_and_b32_e32 v1, 0x80000000, v6
	v_and_b32_e32 v4, 15, v4
	v_bfe_u32 v5, v6, 27, 4
	v_lshlrev_b32_sdwa v6, v9, v6 dst_sel:DWORD dst_unused:UNUSED_PAD src0_sel:DWORD src1_sel:BYTE_3
	v_sub_u32_e32 v8, 29, v8
	v_and_b32_e32 v6, 7, v6
	v_cmp_eq_u16_e32 vcc, 0, v4
	v_cndmask_b32_e32 v0, v0, v6, vcc
	v_cndmask_b32_e32 v4, v5, v8, vcc
	v_mov_b32_e32 v5, 0x3b800000
	v_lshlrev_b32_e32 v0, 20, v0
	v_lshl_add_u32 v4, v4, 23, v5
	v_or3_b32 v0, v1, v4, v0
.LBB8_2012:
	s_or_b64 exec, exec, s[6:7]
	s_movk_i32 s4, 0x7f
	v_cmp_gt_i16_sdwa s[6:7], v2, s4 src0_sel:BYTE_3 src1_sel:DWORD
	s_mov_b64 s[4:5], 0
                                        ; implicit-def: $sgpr10
	s_and_saveexec_b64 s[8:9], s[6:7]
	s_xor_b64 s[6:7], exec, s[8:9]
	s_cbranch_execnz .LBB8_4061
; %bb.2013:
	s_or_saveexec_b64 s[6:7], s[6:7]
	v_mov_b32_e32 v1, s10
	s_xor_b64 exec, exec, s[6:7]
	s_cbranch_execnz .LBB8_4064
.LBB8_2014:
	s_or_b64 exec, exec, s[6:7]
	s_and_saveexec_b64 s[6:7], s[4:5]
	s_cbranch_execz .LBB8_2016
.LBB8_2015:
	v_bfe_u32 v1, v2, 24, 3
	v_ffbh_u32_e32 v8, v1
	v_min_u32_e32 v8, 32, v8
	v_lshrrev_b32_e32 v5, 27, v2
	v_subrev_u32_e32 v9, 28, v8
	v_and_b32_e32 v4, 0x80000000, v2
	v_and_b32_e32 v5, 15, v5
	v_bfe_u32 v6, v2, 27, 4
	v_lshlrev_b32_sdwa v2, v9, v2 dst_sel:DWORD dst_unused:UNUSED_PAD src0_sel:DWORD src1_sel:BYTE_3
	v_sub_u32_e32 v8, 29, v8
	v_and_b32_e32 v2, 7, v2
	v_cmp_eq_u16_e32 vcc, 0, v5
	v_cndmask_b32_e32 v1, v1, v2, vcc
	v_cndmask_b32_e32 v2, v6, v8, vcc
	v_mov_b32_e32 v5, 0x3b800000
	v_lshlrev_b32_e32 v1, 20, v1
	v_lshl_add_u32 v2, v2, 23, v5
	v_or3_b32 v1, v4, v2, v1
.LBB8_2016:
	s_or_b64 exec, exec, s[6:7]
	s_nop 0
	v_mfma_f32_16x16x4f32 a[0:3], v0, v1, a[0:3]
	s_movk_i32 s4, 0x7f
	v_cmp_gt_i16_sdwa s[6:7], v7, s4 src0_sel:BYTE_0 src1_sel:DWORD
	s_mov_b64 s[4:5], 0
                                        ; implicit-def: $sgpr10
	s_and_saveexec_b64 s[8:9], s[6:7]
	s_xor_b64 s[6:7], exec, s[8:9]
	s_cbranch_execnz .LBB8_4065
; %bb.2017:
	s_or_saveexec_b64 s[6:7], s[6:7]
	v_mov_b32_e32 v0, s10
	s_xor_b64 exec, exec, s[6:7]
	s_cbranch_execnz .LBB8_4068
.LBB8_2018:
	s_or_b64 exec, exec, s[6:7]
	s_and_saveexec_b64 s[6:7], s[4:5]
	s_cbranch_execz .LBB8_2020
.LBB8_2019:
	v_mov_b32_e32 v0, 8
	v_and_b32_e32 v1, 7, v7
	v_lshrrev_b32_sdwa v0, v0, v7 dst_sel:BYTE_1 dst_unused:UNUSED_PAD src0_sel:DWORD src1_sel:DWORD
	v_ffbh_u32_e32 v2, v1
	v_or_b32_sdwa v0, v7, v0 dst_sel:DWORD dst_unused:UNUSED_PAD src0_sel:BYTE_0 src1_sel:DWORD
	v_min_u32_e32 v2, 32, v2
	v_lshrrev_b16_e32 v0, 3, v0
	v_subrev_u32_e32 v4, 28, v2
	v_and_b32_e32 v0, 15, v0
	v_lshlrev_b32_e32 v4, v4, v7
	v_sub_u32_e32 v2, 29, v2
	v_and_b32_e32 v4, 7, v4
	v_cmp_eq_u16_e32 vcc, 0, v0
	v_cndmask_b32_e32 v1, v1, v4, vcc
	v_cndmask_b32_e32 v0, v0, v2, vcc
	v_lshlrev_b32_e32 v2, 24, v7
	v_mov_b32_e32 v4, 0x3b800000
	v_lshlrev_b32_e32 v1, 20, v1
	v_and_b32_e32 v2, 0x80000000, v2
	v_lshl_add_u32 v0, v0, 23, v4
	v_or3_b32 v0, v2, v0, v1
.LBB8_2020:
	s_or_b64 exec, exec, s[6:7]
	s_movk_i32 s4, 0x7f
	v_cmp_gt_i16_sdwa s[6:7], v3, s4 src0_sel:BYTE_0 src1_sel:DWORD
	s_mov_b64 s[4:5], 0
                                        ; implicit-def: $sgpr10
	s_and_saveexec_b64 s[8:9], s[6:7]
	s_xor_b64 s[6:7], exec, s[8:9]
	s_cbranch_execnz .LBB8_4069
; %bb.2021:
	s_or_saveexec_b64 s[6:7], s[6:7]
	v_mov_b32_e32 v1, s10
	s_xor_b64 exec, exec, s[6:7]
	s_cbranch_execnz .LBB8_4072
.LBB8_2022:
	s_or_b64 exec, exec, s[6:7]
	s_and_saveexec_b64 s[6:7], s[4:5]
	s_cbranch_execz .LBB8_2024
.LBB8_2023:
	v_mov_b32_e32 v1, 8
	v_and_b32_e32 v2, 7, v3
	v_lshrrev_b32_sdwa v1, v1, v3 dst_sel:BYTE_1 dst_unused:UNUSED_PAD src0_sel:DWORD src1_sel:DWORD
	v_ffbh_u32_e32 v4, v2
	v_or_b32_sdwa v1, v3, v1 dst_sel:DWORD dst_unused:UNUSED_PAD src0_sel:BYTE_0 src1_sel:DWORD
	v_min_u32_e32 v4, 32, v4
	v_lshrrev_b16_e32 v1, 3, v1
	v_subrev_u32_e32 v5, 28, v4
	v_and_b32_e32 v1, 15, v1
	v_lshlrev_b32_e32 v5, v5, v3
	v_sub_u32_e32 v4, 29, v4
	v_and_b32_e32 v5, 7, v5
	v_cmp_eq_u16_e32 vcc, 0, v1
	v_cndmask_b32_e32 v2, v2, v5, vcc
	v_cndmask_b32_e32 v1, v1, v4, vcc
	v_lshlrev_b32_e32 v4, 24, v3
	v_mov_b32_e32 v5, 0x3b800000
	v_lshlrev_b32_e32 v2, 20, v2
	v_and_b32_e32 v4, 0x80000000, v4
	v_lshl_add_u32 v1, v1, 23, v5
	v_or3_b32 v1, v4, v1, v2
.LBB8_2024:
	s_or_b64 exec, exec, s[6:7]
	s_nop 0
	v_mfma_f32_16x16x4f32 a[0:3], v0, v1, a[0:3]
	v_lshrrev_b32_e32 v1, 8, v7
	s_movk_i32 s4, 0x7f
	v_cmp_gt_i16_sdwa s[6:7], v1, s4 src0_sel:BYTE_0 src1_sel:DWORD
	s_mov_b64 s[4:5], 0
                                        ; implicit-def: $sgpr10
	s_and_saveexec_b64 s[8:9], s[6:7]
	s_xor_b64 s[6:7], exec, s[8:9]
	s_cbranch_execnz .LBB8_4073
; %bb.2025:
	s_or_saveexec_b64 s[6:7], s[6:7]
	v_mov_b32_e32 v0, s10
	s_xor_b64 exec, exec, s[6:7]
	s_cbranch_execnz .LBB8_4076
.LBB8_2026:
	s_or_b64 exec, exec, s[6:7]
	s_and_saveexec_b64 s[6:7], s[4:5]
	s_cbranch_execz .LBB8_2028
.LBB8_2027:
	v_bfe_u32 v0, v7, 8, 3
	v_ffbh_u32_e32 v4, v0
	v_min_u32_e32 v4, 32, v4
	v_lshrrev_b16_e32 v2, 3, v1
	v_subrev_u32_e32 v5, 28, v4
	v_and_b32_e32 v2, 15, v2
	v_lshlrev_b32_e32 v1, v5, v1
	v_sub_u32_e32 v4, 29, v4
	v_and_b32_e32 v1, 7, v1
	v_cmp_eq_u16_e32 vcc, 0, v2
	v_cndmask_b32_e32 v0, v0, v1, vcc
	v_cndmask_b32_e32 v1, v2, v4, vcc
	v_lshlrev_b32_e32 v2, 16, v7
	v_mov_b32_e32 v4, 0x3b800000
	v_lshlrev_b32_e32 v0, 20, v0
	v_and_b32_e32 v2, 0x80000000, v2
	v_lshl_add_u32 v1, v1, 23, v4
	v_or3_b32 v0, v2, v1, v0
.LBB8_2028:
	s_or_b64 exec, exec, s[6:7]
	v_lshrrev_b32_e32 v1, 8, v3
	s_movk_i32 s4, 0x7f
	v_cmp_gt_i16_sdwa s[6:7], v1, s4 src0_sel:BYTE_0 src1_sel:DWORD
	s_mov_b64 s[4:5], 0
                                        ; implicit-def: $sgpr10
	s_and_saveexec_b64 s[8:9], s[6:7]
	s_xor_b64 s[6:7], exec, s[8:9]
	s_cbranch_execnz .LBB8_4077
; %bb.2029:
	s_or_saveexec_b64 s[6:7], s[6:7]
	v_mov_b32_e32 v2, s10
	s_xor_b64 exec, exec, s[6:7]
	s_cbranch_execnz .LBB8_4080
.LBB8_2030:
	s_or_b64 exec, exec, s[6:7]
	s_and_saveexec_b64 s[6:7], s[4:5]
	s_cbranch_execz .LBB8_2032
.LBB8_2031:
	v_bfe_u32 v2, v3, 8, 3
	v_ffbh_u32_e32 v5, v2
	v_min_u32_e32 v5, 32, v5
	v_lshrrev_b16_e32 v4, 3, v1
	v_subrev_u32_e32 v6, 28, v5
	v_and_b32_e32 v4, 15, v4
	v_lshlrev_b32_e32 v1, v6, v1
	v_sub_u32_e32 v5, 29, v5
	v_and_b32_e32 v1, 7, v1
	v_cmp_eq_u16_e32 vcc, 0, v4
	v_cndmask_b32_e32 v1, v2, v1, vcc
	v_cndmask_b32_e32 v2, v4, v5, vcc
	v_lshlrev_b32_e32 v4, 16, v3
	v_mov_b32_e32 v5, 0x3b800000
	v_lshlrev_b32_e32 v1, 20, v1
	v_and_b32_e32 v4, 0x80000000, v4
	v_lshl_add_u32 v2, v2, 23, v5
	v_or3_b32 v2, v4, v2, v1
.LBB8_2032:
	s_or_b64 exec, exec, s[6:7]
	s_nop 0
	v_mfma_f32_16x16x4f32 a[0:3], v0, v2, a[0:3]
	s_movk_i32 s4, 0xff
	v_and_b32_sdwa v1, v7, s4 dst_sel:DWORD dst_unused:UNUSED_PAD src0_sel:WORD_1 src1_sel:DWORD
	s_movk_i32 s4, 0x7f
	v_cmp_lt_i16_e32 vcc, s4, v1
	s_mov_b64 s[4:5], 0
                                        ; implicit-def: $sgpr10
	s_and_saveexec_b64 s[6:7], vcc
	s_xor_b64 s[6:7], exec, s[6:7]
	s_cbranch_execnz .LBB8_4081
; %bb.2033:
	s_or_saveexec_b64 s[6:7], s[6:7]
	v_mov_b32_e32 v0, s10
	s_xor_b64 exec, exec, s[6:7]
	s_cbranch_execnz .LBB8_4084
.LBB8_2034:
	s_or_b64 exec, exec, s[6:7]
	s_and_saveexec_b64 s[6:7], s[4:5]
	s_cbranch_execz .LBB8_2036
.LBB8_2035:
	v_bfe_u32 v0, v7, 16, 3
	v_ffbh_u32_e32 v4, v0
	v_min_u32_e32 v4, 32, v4
	v_lshrrev_b32_e32 v1, 19, v7
	v_subrev_u32_e32 v5, 28, v4
	v_and_b32_e32 v1, 15, v1
	v_lshlrev_b32_sdwa v5, v5, v7 dst_sel:DWORD dst_unused:UNUSED_PAD src0_sel:DWORD src1_sel:WORD_1
	v_bfe_u32 v2, v7, 19, 4
	v_sub_u32_e32 v4, 29, v4
	v_and_b32_e32 v5, 7, v5
	v_cmp_eq_u16_e32 vcc, 0, v1
	v_cndmask_b32_e32 v0, v0, v5, vcc
	v_cndmask_b32_e32 v1, v2, v4, vcc
	v_lshlrev_b32_e32 v2, 8, v7
	v_mov_b32_e32 v4, 0x3b800000
	v_lshlrev_b32_e32 v0, 20, v0
	v_and_b32_e32 v2, 0x80000000, v2
	v_lshl_add_u32 v1, v1, 23, v4
	v_or3_b32 v0, v2, v1, v0
.LBB8_2036:
	s_or_b64 exec, exec, s[6:7]
	s_movk_i32 s4, 0xff
	v_and_b32_sdwa v1, v3, s4 dst_sel:DWORD dst_unused:UNUSED_PAD src0_sel:WORD_1 src1_sel:DWORD
	s_movk_i32 s4, 0x7f
	v_cmp_lt_i16_e32 vcc, s4, v1
	s_mov_b64 s[4:5], 0
                                        ; implicit-def: $sgpr10
	s_and_saveexec_b64 s[6:7], vcc
	s_xor_b64 s[6:7], exec, s[6:7]
	s_cbranch_execnz .LBB8_4085
; %bb.2037:
	s_or_saveexec_b64 s[6:7], s[6:7]
	v_mov_b32_e32 v2, s10
	s_xor_b64 exec, exec, s[6:7]
	s_cbranch_execnz .LBB8_4088
.LBB8_2038:
	s_or_b64 exec, exec, s[6:7]
	s_and_saveexec_b64 s[6:7], s[4:5]
	s_cbranch_execz .LBB8_2040
.LBB8_2039:
	v_bfe_u32 v1, v3, 16, 3
	v_ffbh_u32_e32 v5, v1
	v_min_u32_e32 v5, 32, v5
	v_lshrrev_b32_e32 v2, 19, v3
	v_subrev_u32_e32 v6, 28, v5
	v_and_b32_e32 v2, 15, v2
	v_lshlrev_b32_sdwa v6, v6, v3 dst_sel:DWORD dst_unused:UNUSED_PAD src0_sel:DWORD src1_sel:WORD_1
	v_bfe_u32 v4, v3, 19, 4
	v_sub_u32_e32 v5, 29, v5
	v_and_b32_e32 v6, 7, v6
	v_cmp_eq_u16_e32 vcc, 0, v2
	v_cndmask_b32_e32 v1, v1, v6, vcc
	v_cndmask_b32_e32 v2, v4, v5, vcc
	v_lshlrev_b32_e32 v4, 8, v3
	v_mov_b32_e32 v5, 0x3b800000
	v_lshlrev_b32_e32 v1, 20, v1
	v_and_b32_e32 v4, 0x80000000, v4
	v_lshl_add_u32 v2, v2, 23, v5
	v_or3_b32 v2, v4, v2, v1
.LBB8_2040:
	s_or_b64 exec, exec, s[6:7]
	s_nop 0
	v_mfma_f32_16x16x4f32 a[0:3], v0, v2, a[0:3]
	s_movk_i32 s4, 0x7f
	v_cmp_gt_i16_sdwa s[6:7], v7, s4 src0_sel:BYTE_3 src1_sel:DWORD
	s_mov_b64 s[4:5], 0
                                        ; implicit-def: $sgpr10
	s_and_saveexec_b64 s[8:9], s[6:7]
	s_xor_b64 s[6:7], exec, s[8:9]
	s_cbranch_execnz .LBB8_4089
; %bb.2041:
	s_or_saveexec_b64 s[6:7], s[6:7]
	v_mov_b32_e32 v0, s10
	s_xor_b64 exec, exec, s[6:7]
	s_cbranch_execnz .LBB8_4092
.LBB8_2042:
	s_or_b64 exec, exec, s[6:7]
	s_and_saveexec_b64 s[6:7], s[4:5]
	s_cbranch_execz .LBB8_2044
.LBB8_2043:
	v_bfe_u32 v0, v7, 24, 3
	v_ffbh_u32_e32 v5, v0
	v_min_u32_e32 v5, 32, v5
	v_lshrrev_b32_e32 v2, 27, v7
	v_subrev_u32_e32 v6, 28, v5
	v_and_b32_e32 v2, 15, v2
	v_lshlrev_b32_sdwa v6, v6, v7 dst_sel:DWORD dst_unused:UNUSED_PAD src0_sel:DWORD src1_sel:BYTE_3
	v_bfe_u32 v4, v7, 27, 4
	v_sub_u32_e32 v5, 29, v5
	v_and_b32_e32 v6, 7, v6
	v_cmp_eq_u16_e32 vcc, 0, v2
	v_cndmask_b32_e32 v0, v0, v6, vcc
	v_cndmask_b32_e32 v2, v4, v5, vcc
	v_mov_b32_e32 v4, 0x3b800000
	v_and_b32_e32 v1, 0x80000000, v7
	v_lshlrev_b32_e32 v0, 20, v0
	v_lshl_add_u32 v2, v2, 23, v4
	v_or3_b32 v0, v1, v2, v0
.LBB8_2044:
	s_or_b64 exec, exec, s[6:7]
	s_movk_i32 s4, 0x7f
	v_cmp_gt_i16_sdwa s[6:7], v3, s4 src0_sel:BYTE_3 src1_sel:DWORD
	s_mov_b64 s[4:5], 0
                                        ; implicit-def: $sgpr10
	s_and_saveexec_b64 s[8:9], s[6:7]
	s_xor_b64 s[6:7], exec, s[8:9]
	s_cbranch_execnz .LBB8_4093
; %bb.2045:
	s_or_saveexec_b64 s[6:7], s[6:7]
	v_mov_b32_e32 v1, s10
	s_xor_b64 exec, exec, s[6:7]
	s_cbranch_execnz .LBB8_4096
.LBB8_2046:
	s_or_b64 exec, exec, s[6:7]
	s_and_saveexec_b64 s[6:7], s[4:5]
	s_cbranch_execz .LBB8_2048
.LBB8_2047:
	v_bfe_u32 v1, v3, 24, 3
	v_ffbh_u32_e32 v6, v1
	v_min_u32_e32 v6, 32, v6
	v_lshrrev_b32_e32 v4, 27, v3
	v_subrev_u32_e32 v7, 28, v6
	v_and_b32_e32 v2, 0x80000000, v3
	v_and_b32_e32 v4, 15, v4
	v_bfe_u32 v5, v3, 27, 4
	v_lshlrev_b32_sdwa v3, v7, v3 dst_sel:DWORD dst_unused:UNUSED_PAD src0_sel:DWORD src1_sel:BYTE_3
	v_sub_u32_e32 v6, 29, v6
	v_and_b32_e32 v3, 7, v3
	v_cmp_eq_u16_e32 vcc, 0, v4
	v_cndmask_b32_e32 v1, v1, v3, vcc
	v_cndmask_b32_e32 v3, v5, v6, vcc
	v_mov_b32_e32 v4, 0x3b800000
	v_lshlrev_b32_e32 v1, 20, v1
	v_lshl_add_u32 v3, v3, 23, v4
	v_or3_b32 v1, v2, v3, v1
.LBB8_2048:
	s_or_b64 exec, exec, s[6:7]
	s_nop 0
	v_mfma_f32_16x16x4f32 a[0:3], v0, v1, a[0:3]
	s_nop 7
	s_nop 2
	flat_store_dwordx4 v[16:17], a[0:3] offset:880
	s_waitcnt vmcnt(0) lgkmcnt(0)
	s_setpc_b64 s[30:31]
.LBB8_2049:
	s_movk_i32 s4, 0x80
	v_cmp_eq_u16_sdwa s[12:13], v14, s4 src0_sel:BYTE_0 src1_sel:DWORD
	s_mov_b64 s[4:5], -1
                                        ; implicit-def: $sgpr10
	s_and_saveexec_b64 s[8:9], s[12:13]
; %bb.2050:
	s_mov_b32 s10, 0x7f800001
	s_xor_b64 s[4:5], exec, -1
; %bb.2051:
	s_or_b64 exec, exec, s[8:9]
	s_and_b64 s[4:5], s[4:5], exec
	s_or_saveexec_b64 s[6:7], s[6:7]
	v_mov_b32_e32 v20, s10
	s_xor_b64 exec, exec, s[6:7]
	s_cbranch_execz .LBB8_2
.LBB8_2052:
	v_mov_b32_e32 v20, 0
	v_cmp_ne_u16_sdwa s[8:9], v14, v20 src0_sel:BYTE_0 src1_sel:DWORD
	s_andn2_b64 s[4:5], s[4:5], exec
	s_and_b64 s[8:9], s[8:9], exec
	s_or_b64 s[4:5], s[4:5], s[8:9]
	s_or_b64 exec, exec, s[6:7]
	s_and_saveexec_b64 s[6:7], s[4:5]
	s_cbranch_execnz .LBB8_3
	s_branch .LBB8_4
.LBB8_2053:
	s_movk_i32 s4, 0x80
	v_cmp_eq_u16_sdwa s[12:13], v10, s4 src0_sel:BYTE_0 src1_sel:DWORD
	s_mov_b64 s[4:5], -1
                                        ; implicit-def: $sgpr10
	s_and_saveexec_b64 s[8:9], s[12:13]
; %bb.2054:
	s_mov_b32 s10, 0x7f800001
	s_xor_b64 s[4:5], exec, -1
; %bb.2055:
	s_or_b64 exec, exec, s[8:9]
	s_and_b64 s[4:5], s[4:5], exec
	s_or_saveexec_b64 s[6:7], s[6:7]
	v_mov_b32_e32 v21, s10
	s_xor_b64 exec, exec, s[6:7]
	s_cbranch_execz .LBB8_6
.LBB8_2056:
	v_mov_b32_e32 v21, 0
	v_cmp_ne_u16_sdwa s[8:9], v10, v21 src0_sel:BYTE_0 src1_sel:DWORD
	s_andn2_b64 s[4:5], s[4:5], exec
	s_and_b64 s[8:9], s[8:9], exec
	s_or_b64 s[4:5], s[4:5], s[8:9]
	s_or_b64 exec, exec, s[6:7]
	s_and_saveexec_b64 s[6:7], s[4:5]
	s_cbranch_execnz .LBB8_7
	s_branch .LBB8_8
.LBB8_2057:
	s_movk_i32 s4, 0x80
	v_cmp_eq_u16_sdwa s[12:13], v21, s4 src0_sel:BYTE_0 src1_sel:DWORD
	s_mov_b64 s[4:5], -1
                                        ; implicit-def: $sgpr10
	s_and_saveexec_b64 s[8:9], s[12:13]
; %bb.2058:
	s_mov_b32 s10, 0x7f800001
	s_xor_b64 s[4:5], exec, -1
; %bb.2059:
	s_or_b64 exec, exec, s[8:9]
	s_and_b64 s[4:5], s[4:5], exec
	s_or_saveexec_b64 s[6:7], s[6:7]
	v_mov_b32_e32 v20, s10
	s_xor_b64 exec, exec, s[6:7]
	s_cbranch_execz .LBB8_10
.LBB8_2060:
	v_mov_b32_e32 v20, 0
	v_cmp_ne_u16_sdwa s[8:9], v21, v20 src0_sel:BYTE_0 src1_sel:DWORD
	s_andn2_b64 s[4:5], s[4:5], exec
	s_and_b64 s[8:9], s[8:9], exec
	s_or_b64 s[4:5], s[4:5], s[8:9]
	s_or_b64 exec, exec, s[6:7]
	s_and_saveexec_b64 s[6:7], s[4:5]
	s_cbranch_execnz .LBB8_11
	s_branch .LBB8_12
.LBB8_2061:
	s_movk_i32 s4, 0x80
	v_cmp_eq_u16_sdwa s[12:13], v21, s4 src0_sel:BYTE_0 src1_sel:DWORD
	s_mov_b64 s[4:5], -1
                                        ; implicit-def: $sgpr10
	s_and_saveexec_b64 s[8:9], s[12:13]
; %bb.2062:
	s_mov_b32 s10, 0x7f800001
	s_xor_b64 s[4:5], exec, -1
; %bb.2063:
	s_or_b64 exec, exec, s[8:9]
	s_and_b64 s[4:5], s[4:5], exec
	s_or_saveexec_b64 s[6:7], s[6:7]
	v_mov_b32_e32 v22, s10
	s_xor_b64 exec, exec, s[6:7]
	s_cbranch_execz .LBB8_14
.LBB8_2064:
	v_mov_b32_e32 v22, 0
	v_cmp_ne_u16_sdwa s[8:9], v21, v22 src0_sel:BYTE_0 src1_sel:DWORD
	s_andn2_b64 s[4:5], s[4:5], exec
	s_and_b64 s[8:9], s[8:9], exec
	s_or_b64 s[4:5], s[4:5], s[8:9]
	s_or_b64 exec, exec, s[6:7]
	s_and_saveexec_b64 s[6:7], s[4:5]
	s_cbranch_execnz .LBB8_15
	s_branch .LBB8_16
.LBB8_2065:
	s_movk_i32 s4, 0x80
	v_cmp_eq_u16_e32 vcc, s4, v21
	s_mov_b64 s[4:5], -1
                                        ; implicit-def: $sgpr10
	s_and_saveexec_b64 s[8:9], vcc
; %bb.2066:
	s_mov_b32 s10, 0x7f800001
	s_xor_b64 s[4:5], exec, -1
; %bb.2067:
	s_or_b64 exec, exec, s[8:9]
	s_and_b64 s[4:5], s[4:5], exec
                                        ; implicit-def: $vgpr21
	s_or_saveexec_b64 s[6:7], s[6:7]
	v_mov_b32_e32 v20, s10
	s_xor_b64 exec, exec, s[6:7]
	s_cbranch_execz .LBB8_18
.LBB8_2068:
	v_cmp_ne_u16_e32 vcc, 0, v21
	s_andn2_b64 s[4:5], s[4:5], exec
	s_and_b64 s[8:9], vcc, exec
	v_mov_b32_e32 v20, 0
	s_or_b64 s[4:5], s[4:5], s[8:9]
	s_or_b64 exec, exec, s[6:7]
	s_and_saveexec_b64 s[6:7], s[4:5]
	s_cbranch_execnz .LBB8_19
	s_branch .LBB8_20
.LBB8_2069:
	s_movk_i32 s4, 0x80
	v_cmp_eq_u16_e32 vcc, s4, v21
	s_mov_b64 s[4:5], -1
                                        ; implicit-def: $sgpr10
	s_and_saveexec_b64 s[8:9], vcc
; %bb.2070:
	s_mov_b32 s10, 0x7f800001
	s_xor_b64 s[4:5], exec, -1
; %bb.2071:
	s_or_b64 exec, exec, s[8:9]
	s_and_b64 s[4:5], s[4:5], exec
                                        ; implicit-def: $vgpr21
	s_or_saveexec_b64 s[6:7], s[6:7]
	v_mov_b32_e32 v22, s10
	s_xor_b64 exec, exec, s[6:7]
	s_cbranch_execz .LBB8_22
.LBB8_2072:
	v_cmp_ne_u16_e32 vcc, 0, v21
	s_andn2_b64 s[4:5], s[4:5], exec
	s_and_b64 s[8:9], vcc, exec
	v_mov_b32_e32 v22, 0
	s_or_b64 s[4:5], s[4:5], s[8:9]
	s_or_b64 exec, exec, s[6:7]
	s_and_saveexec_b64 s[6:7], s[4:5]
	s_cbranch_execnz .LBB8_23
	s_branch .LBB8_24
.LBB8_2073:
	s_movk_i32 s4, 0x80
	v_cmp_eq_u16_sdwa s[12:13], v14, s4 src0_sel:BYTE_3 src1_sel:DWORD
	s_mov_b64 s[4:5], -1
                                        ; implicit-def: $sgpr10
	s_and_saveexec_b64 s[8:9], s[12:13]
; %bb.2074:
	s_mov_b32 s10, 0x7f800001
	s_xor_b64 s[4:5], exec, -1
; %bb.2075:
	s_or_b64 exec, exec, s[8:9]
	s_and_b64 s[4:5], s[4:5], exec
	s_or_saveexec_b64 s[6:7], s[6:7]
	v_mov_b32_e32 v20, s10
	s_xor_b64 exec, exec, s[6:7]
	s_cbranch_execz .LBB8_26
.LBB8_2076:
	v_mov_b32_e32 v20, 0
	v_cmp_ne_u16_sdwa s[8:9], v14, v20 src0_sel:BYTE_3 src1_sel:DWORD
	s_andn2_b64 s[4:5], s[4:5], exec
	s_and_b64 s[8:9], s[8:9], exec
	s_or_b64 s[4:5], s[4:5], s[8:9]
	s_or_b64 exec, exec, s[6:7]
	s_and_saveexec_b64 s[6:7], s[4:5]
	s_cbranch_execnz .LBB8_27
	s_branch .LBB8_28
.LBB8_2077:
	s_movk_i32 s4, 0x80
	v_cmp_eq_u16_sdwa s[12:13], v10, s4 src0_sel:BYTE_3 src1_sel:DWORD
	s_mov_b64 s[4:5], -1
                                        ; implicit-def: $sgpr10
	s_and_saveexec_b64 s[8:9], s[12:13]
; %bb.2078:
	s_mov_b32 s10, 0x7f800001
	s_xor_b64 s[4:5], exec, -1
; %bb.2079:
	s_or_b64 exec, exec, s[8:9]
	s_and_b64 s[4:5], s[4:5], exec
	s_or_saveexec_b64 s[6:7], s[6:7]
	v_mov_b32_e32 v14, s10
	s_xor_b64 exec, exec, s[6:7]
	s_cbranch_execz .LBB8_30
.LBB8_2080:
	v_mov_b32_e32 v14, 0
	v_cmp_ne_u16_sdwa s[8:9], v10, v14 src0_sel:BYTE_3 src1_sel:DWORD
	s_andn2_b64 s[4:5], s[4:5], exec
	s_and_b64 s[8:9], s[8:9], exec
	s_or_b64 s[4:5], s[4:5], s[8:9]
	s_or_b64 exec, exec, s[6:7]
	s_and_saveexec_b64 s[6:7], s[4:5]
	s_cbranch_execnz .LBB8_31
	s_branch .LBB8_32
.LBB8_2081:
	s_movk_i32 s4, 0x80
	v_cmp_eq_u16_sdwa s[12:13], v15, s4 src0_sel:BYTE_0 src1_sel:DWORD
	s_mov_b64 s[4:5], -1
                                        ; implicit-def: $sgpr10
	s_and_saveexec_b64 s[8:9], s[12:13]
; %bb.2082:
	s_mov_b32 s10, 0x7f800001
	s_xor_b64 s[4:5], exec, -1
; %bb.2083:
	s_or_b64 exec, exec, s[8:9]
	s_and_b64 s[4:5], s[4:5], exec
	s_or_saveexec_b64 s[6:7], s[6:7]
	v_mov_b32_e32 v10, s10
	s_xor_b64 exec, exec, s[6:7]
	s_cbranch_execz .LBB8_34
.LBB8_2084:
	v_mov_b32_e32 v10, 0
	v_cmp_ne_u16_sdwa s[8:9], v15, v10 src0_sel:BYTE_0 src1_sel:DWORD
	s_andn2_b64 s[4:5], s[4:5], exec
	s_and_b64 s[8:9], s[8:9], exec
	s_or_b64 s[4:5], s[4:5], s[8:9]
	s_or_b64 exec, exec, s[6:7]
	s_and_saveexec_b64 s[6:7], s[4:5]
	s_cbranch_execnz .LBB8_35
	s_branch .LBB8_36
.LBB8_2085:
	s_movk_i32 s4, 0x80
	v_cmp_eq_u16_sdwa s[12:13], v11, s4 src0_sel:BYTE_0 src1_sel:DWORD
	s_mov_b64 s[4:5], -1
                                        ; implicit-def: $sgpr10
	s_and_saveexec_b64 s[8:9], s[12:13]
; %bb.2086:
	s_mov_b32 s10, 0x7f800001
	s_xor_b64 s[4:5], exec, -1
; %bb.2087:
	s_or_b64 exec, exec, s[8:9]
	s_and_b64 s[4:5], s[4:5], exec
	s_or_saveexec_b64 s[6:7], s[6:7]
	v_mov_b32_e32 v14, s10
	s_xor_b64 exec, exec, s[6:7]
	s_cbranch_execz .LBB8_38
.LBB8_2088:
	v_mov_b32_e32 v14, 0
	v_cmp_ne_u16_sdwa s[8:9], v11, v14 src0_sel:BYTE_0 src1_sel:DWORD
	s_andn2_b64 s[4:5], s[4:5], exec
	s_and_b64 s[8:9], s[8:9], exec
	s_or_b64 s[4:5], s[4:5], s[8:9]
	s_or_b64 exec, exec, s[6:7]
	s_and_saveexec_b64 s[6:7], s[4:5]
	s_cbranch_execnz .LBB8_39
	s_branch .LBB8_40
.LBB8_2089:
	s_movk_i32 s4, 0x80
	v_cmp_eq_u16_sdwa s[12:13], v14, s4 src0_sel:BYTE_0 src1_sel:DWORD
	s_mov_b64 s[4:5], -1
                                        ; implicit-def: $sgpr10
	s_and_saveexec_b64 s[8:9], s[12:13]
; %bb.2090:
	s_mov_b32 s10, 0x7f800001
	s_xor_b64 s[4:5], exec, -1
; %bb.2091:
	s_or_b64 exec, exec, s[8:9]
	s_and_b64 s[4:5], s[4:5], exec
	s_or_saveexec_b64 s[6:7], s[6:7]
	v_mov_b32_e32 v10, s10
	s_xor_b64 exec, exec, s[6:7]
	s_cbranch_execz .LBB8_42
.LBB8_2092:
	v_mov_b32_e32 v10, 0
	v_cmp_ne_u16_sdwa s[8:9], v14, v10 src0_sel:BYTE_0 src1_sel:DWORD
	s_andn2_b64 s[4:5], s[4:5], exec
	s_and_b64 s[8:9], s[8:9], exec
	s_or_b64 s[4:5], s[4:5], s[8:9]
	s_or_b64 exec, exec, s[6:7]
	s_and_saveexec_b64 s[6:7], s[4:5]
	s_cbranch_execnz .LBB8_43
	s_branch .LBB8_44
.LBB8_2093:
	s_movk_i32 s4, 0x80
	v_cmp_eq_u16_sdwa s[12:13], v14, s4 src0_sel:BYTE_0 src1_sel:DWORD
	s_mov_b64 s[4:5], -1
                                        ; implicit-def: $sgpr10
	s_and_saveexec_b64 s[8:9], s[12:13]
; %bb.2094:
	s_mov_b32 s10, 0x7f800001
	s_xor_b64 s[4:5], exec, -1
; %bb.2095:
	s_or_b64 exec, exec, s[8:9]
	s_and_b64 s[4:5], s[4:5], exec
	s_or_saveexec_b64 s[6:7], s[6:7]
	v_mov_b32_e32 v20, s10
	s_xor_b64 exec, exec, s[6:7]
	s_cbranch_execz .LBB8_46
.LBB8_2096:
	v_mov_b32_e32 v20, 0
	v_cmp_ne_u16_sdwa s[8:9], v14, v20 src0_sel:BYTE_0 src1_sel:DWORD
	s_andn2_b64 s[4:5], s[4:5], exec
	s_and_b64 s[8:9], s[8:9], exec
	s_or_b64 s[4:5], s[4:5], s[8:9]
	s_or_b64 exec, exec, s[6:7]
	s_and_saveexec_b64 s[6:7], s[4:5]
	s_cbranch_execnz .LBB8_47
	s_branch .LBB8_48
.LBB8_2097:
	s_movk_i32 s4, 0x80
	v_cmp_eq_u16_e32 vcc, s4, v14
	s_mov_b64 s[4:5], -1
                                        ; implicit-def: $sgpr10
	s_and_saveexec_b64 s[8:9], vcc
; %bb.2098:
	s_mov_b32 s10, 0x7f800001
	s_xor_b64 s[4:5], exec, -1
; %bb.2099:
	s_or_b64 exec, exec, s[8:9]
	s_and_b64 s[4:5], s[4:5], exec
                                        ; implicit-def: $vgpr14
	s_or_saveexec_b64 s[6:7], s[6:7]
	v_mov_b32_e32 v10, s10
	s_xor_b64 exec, exec, s[6:7]
	s_cbranch_execz .LBB8_50
.LBB8_2100:
	v_cmp_ne_u16_e32 vcc, 0, v14
	s_andn2_b64 s[4:5], s[4:5], exec
	s_and_b64 s[8:9], vcc, exec
	v_mov_b32_e32 v10, 0
	s_or_b64 s[4:5], s[4:5], s[8:9]
	s_or_b64 exec, exec, s[6:7]
	s_and_saveexec_b64 s[6:7], s[4:5]
	s_cbranch_execnz .LBB8_51
	s_branch .LBB8_52
.LBB8_2101:
	s_movk_i32 s4, 0x80
	v_cmp_eq_u16_e32 vcc, s4, v14
	s_mov_b64 s[4:5], -1
                                        ; implicit-def: $sgpr10
	s_and_saveexec_b64 s[8:9], vcc
; %bb.2102:
	s_mov_b32 s10, 0x7f800001
	s_xor_b64 s[4:5], exec, -1
; %bb.2103:
	s_or_b64 exec, exec, s[8:9]
	s_and_b64 s[4:5], s[4:5], exec
                                        ; implicit-def: $vgpr14
	s_or_saveexec_b64 s[6:7], s[6:7]
	v_mov_b32_e32 v20, s10
	s_xor_b64 exec, exec, s[6:7]
	s_cbranch_execz .LBB8_54
.LBB8_2104:
	v_cmp_ne_u16_e32 vcc, 0, v14
	s_andn2_b64 s[4:5], s[4:5], exec
	s_and_b64 s[8:9], vcc, exec
	v_mov_b32_e32 v20, 0
	s_or_b64 s[4:5], s[4:5], s[8:9]
	s_or_b64 exec, exec, s[6:7]
	s_and_saveexec_b64 s[6:7], s[4:5]
	s_cbranch_execnz .LBB8_55
	s_branch .LBB8_56
.LBB8_2105:
	s_movk_i32 s4, 0x80
	v_cmp_eq_u16_sdwa s[12:13], v15, s4 src0_sel:BYTE_3 src1_sel:DWORD
	s_mov_b64 s[4:5], -1
                                        ; implicit-def: $sgpr10
	s_and_saveexec_b64 s[8:9], s[12:13]
; %bb.2106:
	s_mov_b32 s10, 0x7f800001
	s_xor_b64 s[4:5], exec, -1
; %bb.2107:
	s_or_b64 exec, exec, s[8:9]
	s_and_b64 s[4:5], s[4:5], exec
	s_or_saveexec_b64 s[6:7], s[6:7]
	v_mov_b32_e32 v10, s10
	s_xor_b64 exec, exec, s[6:7]
	s_cbranch_execz .LBB8_58
.LBB8_2108:
	v_mov_b32_e32 v10, 0
	v_cmp_ne_u16_sdwa s[8:9], v15, v10 src0_sel:BYTE_3 src1_sel:DWORD
	s_andn2_b64 s[4:5], s[4:5], exec
	s_and_b64 s[8:9], s[8:9], exec
	s_or_b64 s[4:5], s[4:5], s[8:9]
	s_or_b64 exec, exec, s[6:7]
	s_and_saveexec_b64 s[6:7], s[4:5]
	s_cbranch_execnz .LBB8_59
	s_branch .LBB8_60
.LBB8_2109:
	s_movk_i32 s4, 0x80
	v_cmp_eq_u16_sdwa s[12:13], v11, s4 src0_sel:BYTE_3 src1_sel:DWORD
	s_mov_b64 s[4:5], -1
                                        ; implicit-def: $sgpr10
	s_and_saveexec_b64 s[8:9], s[12:13]
; %bb.2110:
	s_mov_b32 s10, 0x7f800001
	s_xor_b64 s[4:5], exec, -1
; %bb.2111:
	s_or_b64 exec, exec, s[8:9]
	s_and_b64 s[4:5], s[4:5], exec
	s_or_saveexec_b64 s[6:7], s[6:7]
	v_mov_b32_e32 v14, s10
	s_xor_b64 exec, exec, s[6:7]
	s_cbranch_execz .LBB8_62
.LBB8_2112:
	v_mov_b32_e32 v14, 0
	v_cmp_ne_u16_sdwa s[8:9], v11, v14 src0_sel:BYTE_3 src1_sel:DWORD
	s_andn2_b64 s[4:5], s[4:5], exec
	s_and_b64 s[8:9], s[8:9], exec
	s_or_b64 s[4:5], s[4:5], s[8:9]
	s_or_b64 exec, exec, s[6:7]
	s_and_saveexec_b64 s[6:7], s[4:5]
	s_cbranch_execnz .LBB8_63
	s_branch .LBB8_64
.LBB8_2113:
	s_movk_i32 s4, 0x80
	v_cmp_eq_u16_sdwa s[12:13], v16, s4 src0_sel:BYTE_0 src1_sel:DWORD
	s_mov_b64 s[4:5], -1
                                        ; implicit-def: $sgpr10
	s_and_saveexec_b64 s[8:9], s[12:13]
; %bb.2114:
	s_mov_b32 s10, 0x7f800001
	s_xor_b64 s[4:5], exec, -1
; %bb.2115:
	s_or_b64 exec, exec, s[8:9]
	s_and_b64 s[4:5], s[4:5], exec
	s_or_saveexec_b64 s[6:7], s[6:7]
	v_mov_b32_e32 v10, s10
	s_xor_b64 exec, exec, s[6:7]
	s_cbranch_execz .LBB8_66
.LBB8_2116:
	v_mov_b32_e32 v10, 0
	v_cmp_ne_u16_sdwa s[8:9], v16, v10 src0_sel:BYTE_0 src1_sel:DWORD
	s_andn2_b64 s[4:5], s[4:5], exec
	s_and_b64 s[8:9], s[8:9], exec
	s_or_b64 s[4:5], s[4:5], s[8:9]
	s_or_b64 exec, exec, s[6:7]
	s_and_saveexec_b64 s[6:7], s[4:5]
	s_cbranch_execnz .LBB8_67
	s_branch .LBB8_68
.LBB8_2117:
	s_movk_i32 s4, 0x80
	v_cmp_eq_u16_sdwa s[12:13], v12, s4 src0_sel:BYTE_0 src1_sel:DWORD
	s_mov_b64 s[4:5], -1
                                        ; implicit-def: $sgpr10
	s_and_saveexec_b64 s[8:9], s[12:13]
; %bb.2118:
	s_mov_b32 s10, 0x7f800001
	s_xor_b64 s[4:5], exec, -1
; %bb.2119:
	s_or_b64 exec, exec, s[8:9]
	s_and_b64 s[4:5], s[4:5], exec
	s_or_saveexec_b64 s[6:7], s[6:7]
	v_mov_b32_e32 v11, s10
	s_xor_b64 exec, exec, s[6:7]
	s_cbranch_execz .LBB8_70
.LBB8_2120:
	v_mov_b32_e32 v11, 0
	v_cmp_ne_u16_sdwa s[8:9], v12, v11 src0_sel:BYTE_0 src1_sel:DWORD
	s_andn2_b64 s[4:5], s[4:5], exec
	s_and_b64 s[8:9], s[8:9], exec
	s_or_b64 s[4:5], s[4:5], s[8:9]
	s_or_b64 exec, exec, s[6:7]
	s_and_saveexec_b64 s[6:7], s[4:5]
	s_cbranch_execnz .LBB8_71
	s_branch .LBB8_72
.LBB8_2121:
	s_movk_i32 s4, 0x80
	v_cmp_eq_u16_sdwa s[12:13], v11, s4 src0_sel:BYTE_0 src1_sel:DWORD
	s_mov_b64 s[4:5], -1
                                        ; implicit-def: $sgpr10
	s_and_saveexec_b64 s[8:9], s[12:13]
; %bb.2122:
	s_mov_b32 s10, 0x7f800001
	s_xor_b64 s[4:5], exec, -1
; %bb.2123:
	s_or_b64 exec, exec, s[8:9]
	s_and_b64 s[4:5], s[4:5], exec
	s_or_saveexec_b64 s[6:7], s[6:7]
	v_mov_b32_e32 v10, s10
	s_xor_b64 exec, exec, s[6:7]
	s_cbranch_execz .LBB8_74
.LBB8_2124:
	v_mov_b32_e32 v10, 0
	v_cmp_ne_u16_sdwa s[8:9], v11, v10 src0_sel:BYTE_0 src1_sel:DWORD
	s_andn2_b64 s[4:5], s[4:5], exec
	s_and_b64 s[8:9], s[8:9], exec
	s_or_b64 s[4:5], s[4:5], s[8:9]
	s_or_b64 exec, exec, s[6:7]
	s_and_saveexec_b64 s[6:7], s[4:5]
	s_cbranch_execnz .LBB8_75
	s_branch .LBB8_76
.LBB8_2125:
	s_movk_i32 s4, 0x80
	v_cmp_eq_u16_sdwa s[12:13], v11, s4 src0_sel:BYTE_0 src1_sel:DWORD
	s_mov_b64 s[4:5], -1
                                        ; implicit-def: $sgpr10
	s_and_saveexec_b64 s[8:9], s[12:13]
; %bb.2126:
	s_mov_b32 s10, 0x7f800001
	s_xor_b64 s[4:5], exec, -1
; %bb.2127:
	s_or_b64 exec, exec, s[8:9]
	s_and_b64 s[4:5], s[4:5], exec
	s_or_saveexec_b64 s[6:7], s[6:7]
	v_mov_b32_e32 v14, s10
	s_xor_b64 exec, exec, s[6:7]
	s_cbranch_execz .LBB8_78
.LBB8_2128:
	v_mov_b32_e32 v14, 0
	v_cmp_ne_u16_sdwa s[8:9], v11, v14 src0_sel:BYTE_0 src1_sel:DWORD
	s_andn2_b64 s[4:5], s[4:5], exec
	s_and_b64 s[8:9], s[8:9], exec
	s_or_b64 s[4:5], s[4:5], s[8:9]
	s_or_b64 exec, exec, s[6:7]
	s_and_saveexec_b64 s[6:7], s[4:5]
	s_cbranch_execnz .LBB8_79
	s_branch .LBB8_80
.LBB8_2129:
	s_movk_i32 s4, 0x80
	v_cmp_eq_u16_e32 vcc, s4, v11
	s_mov_b64 s[4:5], -1
                                        ; implicit-def: $sgpr10
	s_and_saveexec_b64 s[8:9], vcc
; %bb.2130:
	s_mov_b32 s10, 0x7f800001
	s_xor_b64 s[4:5], exec, -1
; %bb.2131:
	s_or_b64 exec, exec, s[8:9]
	s_and_b64 s[4:5], s[4:5], exec
                                        ; implicit-def: $vgpr11
	s_or_saveexec_b64 s[6:7], s[6:7]
	v_mov_b32_e32 v10, s10
	s_xor_b64 exec, exec, s[6:7]
	s_cbranch_execz .LBB8_82
.LBB8_2132:
	v_cmp_ne_u16_e32 vcc, 0, v11
	s_andn2_b64 s[4:5], s[4:5], exec
	s_and_b64 s[8:9], vcc, exec
	v_mov_b32_e32 v10, 0
	s_or_b64 s[4:5], s[4:5], s[8:9]
	s_or_b64 exec, exec, s[6:7]
	s_and_saveexec_b64 s[6:7], s[4:5]
	s_cbranch_execnz .LBB8_83
	s_branch .LBB8_84
.LBB8_2133:
	s_movk_i32 s4, 0x80
	v_cmp_eq_u16_e32 vcc, s4, v11
	s_mov_b64 s[4:5], -1
                                        ; implicit-def: $sgpr10
	s_and_saveexec_b64 s[8:9], vcc
; %bb.2134:
	s_mov_b32 s10, 0x7f800001
	s_xor_b64 s[4:5], exec, -1
; %bb.2135:
	s_or_b64 exec, exec, s[8:9]
	s_and_b64 s[4:5], s[4:5], exec
                                        ; implicit-def: $vgpr11
	s_or_saveexec_b64 s[6:7], s[6:7]
	v_mov_b32_e32 v14, s10
	s_xor_b64 exec, exec, s[6:7]
	s_cbranch_execz .LBB8_86
.LBB8_2136:
	v_cmp_ne_u16_e32 vcc, 0, v11
	s_andn2_b64 s[4:5], s[4:5], exec
	s_and_b64 s[8:9], vcc, exec
	v_mov_b32_e32 v14, 0
	s_or_b64 s[4:5], s[4:5], s[8:9]
	s_or_b64 exec, exec, s[6:7]
	s_and_saveexec_b64 s[6:7], s[4:5]
	s_cbranch_execnz .LBB8_87
	s_branch .LBB8_88
.LBB8_2137:
	s_movk_i32 s4, 0x80
	v_cmp_eq_u16_sdwa s[12:13], v16, s4 src0_sel:BYTE_3 src1_sel:DWORD
	s_mov_b64 s[4:5], -1
                                        ; implicit-def: $sgpr10
	s_and_saveexec_b64 s[8:9], s[12:13]
; %bb.2138:
	s_mov_b32 s10, 0x7f800001
	s_xor_b64 s[4:5], exec, -1
; %bb.2139:
	s_or_b64 exec, exec, s[8:9]
	s_and_b64 s[4:5], s[4:5], exec
	s_or_saveexec_b64 s[6:7], s[6:7]
	v_mov_b32_e32 v10, s10
	s_xor_b64 exec, exec, s[6:7]
	s_cbranch_execz .LBB8_90
.LBB8_2140:
	v_mov_b32_e32 v10, 0
	v_cmp_ne_u16_sdwa s[8:9], v16, v10 src0_sel:BYTE_3 src1_sel:DWORD
	s_andn2_b64 s[4:5], s[4:5], exec
	s_and_b64 s[8:9], s[8:9], exec
	s_or_b64 s[4:5], s[4:5], s[8:9]
	s_or_b64 exec, exec, s[6:7]
	s_and_saveexec_b64 s[6:7], s[4:5]
	s_cbranch_execnz .LBB8_91
	s_branch .LBB8_92
.LBB8_2141:
	s_movk_i32 s4, 0x80
	v_cmp_eq_u16_sdwa s[12:13], v12, s4 src0_sel:BYTE_3 src1_sel:DWORD
	s_mov_b64 s[4:5], -1
                                        ; implicit-def: $sgpr10
	s_and_saveexec_b64 s[8:9], s[12:13]
; %bb.2142:
	s_mov_b32 s10, 0x7f800001
	s_xor_b64 s[4:5], exec, -1
; %bb.2143:
	s_or_b64 exec, exec, s[8:9]
	s_and_b64 s[4:5], s[4:5], exec
	s_or_saveexec_b64 s[6:7], s[6:7]
	v_mov_b32_e32 v11, s10
	s_xor_b64 exec, exec, s[6:7]
	s_cbranch_execz .LBB8_94
.LBB8_2144:
	v_mov_b32_e32 v11, 0
	v_cmp_ne_u16_sdwa s[8:9], v12, v11 src0_sel:BYTE_3 src1_sel:DWORD
	s_andn2_b64 s[4:5], s[4:5], exec
	s_and_b64 s[8:9], s[8:9], exec
	s_or_b64 s[4:5], s[4:5], s[8:9]
	s_or_b64 exec, exec, s[6:7]
	s_and_saveexec_b64 s[6:7], s[4:5]
	s_cbranch_execnz .LBB8_95
	s_branch .LBB8_96
.LBB8_2145:
	s_movk_i32 s4, 0x80
	v_cmp_eq_u16_sdwa s[12:13], v17, s4 src0_sel:BYTE_0 src1_sel:DWORD
	s_mov_b64 s[4:5], -1
                                        ; implicit-def: $sgpr10
	s_and_saveexec_b64 s[8:9], s[12:13]
; %bb.2146:
	s_mov_b32 s10, 0x7f800001
	s_xor_b64 s[4:5], exec, -1
; %bb.2147:
	s_or_b64 exec, exec, s[8:9]
	s_and_b64 s[4:5], s[4:5], exec
	s_or_saveexec_b64 s[6:7], s[6:7]
	v_mov_b32_e32 v10, s10
	s_xor_b64 exec, exec, s[6:7]
	s_cbranch_execz .LBB8_98
.LBB8_2148:
	v_mov_b32_e32 v10, 0
	v_cmp_ne_u16_sdwa s[8:9], v17, v10 src0_sel:BYTE_0 src1_sel:DWORD
	s_andn2_b64 s[4:5], s[4:5], exec
	s_and_b64 s[8:9], s[8:9], exec
	s_or_b64 s[4:5], s[4:5], s[8:9]
	s_or_b64 exec, exec, s[6:7]
	s_and_saveexec_b64 s[6:7], s[4:5]
	s_cbranch_execnz .LBB8_99
	s_branch .LBB8_100
.LBB8_2149:
	s_movk_i32 s4, 0x80
	v_cmp_eq_u16_sdwa s[12:13], v13, s4 src0_sel:BYTE_0 src1_sel:DWORD
	s_mov_b64 s[4:5], -1
                                        ; implicit-def: $sgpr10
	s_and_saveexec_b64 s[8:9], s[12:13]
; %bb.2150:
	s_mov_b32 s10, 0x7f800001
	s_xor_b64 s[4:5], exec, -1
; %bb.2151:
	s_or_b64 exec, exec, s[8:9]
	s_and_b64 s[4:5], s[4:5], exec
	s_or_saveexec_b64 s[6:7], s[6:7]
	v_mov_b32_e32 v11, s10
	s_xor_b64 exec, exec, s[6:7]
	s_cbranch_execz .LBB8_102
.LBB8_2152:
	v_mov_b32_e32 v11, 0
	v_cmp_ne_u16_sdwa s[8:9], v13, v11 src0_sel:BYTE_0 src1_sel:DWORD
	s_andn2_b64 s[4:5], s[4:5], exec
	s_and_b64 s[8:9], s[8:9], exec
	s_or_b64 s[4:5], s[4:5], s[8:9]
	s_or_b64 exec, exec, s[6:7]
	s_and_saveexec_b64 s[6:7], s[4:5]
	s_cbranch_execnz .LBB8_103
	s_branch .LBB8_104
.LBB8_2153:
	s_movk_i32 s4, 0x80
	v_cmp_eq_u16_sdwa s[12:13], v11, s4 src0_sel:BYTE_0 src1_sel:DWORD
	s_mov_b64 s[4:5], -1
                                        ; implicit-def: $sgpr10
	s_and_saveexec_b64 s[8:9], s[12:13]
; %bb.2154:
	s_mov_b32 s10, 0x7f800001
	s_xor_b64 s[4:5], exec, -1
; %bb.2155:
	s_or_b64 exec, exec, s[8:9]
	s_and_b64 s[4:5], s[4:5], exec
	s_or_saveexec_b64 s[6:7], s[6:7]
	v_mov_b32_e32 v10, s10
	s_xor_b64 exec, exec, s[6:7]
	s_cbranch_execz .LBB8_106
.LBB8_2156:
	v_mov_b32_e32 v10, 0
	v_cmp_ne_u16_sdwa s[8:9], v11, v10 src0_sel:BYTE_0 src1_sel:DWORD
	s_andn2_b64 s[4:5], s[4:5], exec
	s_and_b64 s[8:9], s[8:9], exec
	s_or_b64 s[4:5], s[4:5], s[8:9]
	s_or_b64 exec, exec, s[6:7]
	s_and_saveexec_b64 s[6:7], s[4:5]
	s_cbranch_execnz .LBB8_107
	s_branch .LBB8_108
.LBB8_2157:
	s_movk_i32 s4, 0x80
	v_cmp_eq_u16_sdwa s[12:13], v11, s4 src0_sel:BYTE_0 src1_sel:DWORD
	s_mov_b64 s[4:5], -1
                                        ; implicit-def: $sgpr10
	s_and_saveexec_b64 s[8:9], s[12:13]
; %bb.2158:
	s_mov_b32 s10, 0x7f800001
	s_xor_b64 s[4:5], exec, -1
; %bb.2159:
	s_or_b64 exec, exec, s[8:9]
	s_and_b64 s[4:5], s[4:5], exec
	s_or_saveexec_b64 s[6:7], s[6:7]
	v_mov_b32_e32 v12, s10
	s_xor_b64 exec, exec, s[6:7]
	s_cbranch_execz .LBB8_110
.LBB8_2160:
	v_mov_b32_e32 v12, 0
	v_cmp_ne_u16_sdwa s[8:9], v11, v12 src0_sel:BYTE_0 src1_sel:DWORD
	s_andn2_b64 s[4:5], s[4:5], exec
	s_and_b64 s[8:9], s[8:9], exec
	s_or_b64 s[4:5], s[4:5], s[8:9]
	s_or_b64 exec, exec, s[6:7]
	s_and_saveexec_b64 s[6:7], s[4:5]
	s_cbranch_execnz .LBB8_111
	s_branch .LBB8_112
.LBB8_2161:
	s_movk_i32 s4, 0x80
	v_cmp_eq_u16_e32 vcc, s4, v11
	s_mov_b64 s[4:5], -1
                                        ; implicit-def: $sgpr10
	s_and_saveexec_b64 s[8:9], vcc
; %bb.2162:
	s_mov_b32 s10, 0x7f800001
	s_xor_b64 s[4:5], exec, -1
; %bb.2163:
	s_or_b64 exec, exec, s[8:9]
	s_and_b64 s[4:5], s[4:5], exec
                                        ; implicit-def: $vgpr11
	s_or_saveexec_b64 s[6:7], s[6:7]
	v_mov_b32_e32 v10, s10
	s_xor_b64 exec, exec, s[6:7]
	s_cbranch_execz .LBB8_114
.LBB8_2164:
	v_cmp_ne_u16_e32 vcc, 0, v11
	s_andn2_b64 s[4:5], s[4:5], exec
	s_and_b64 s[8:9], vcc, exec
	v_mov_b32_e32 v10, 0
	s_or_b64 s[4:5], s[4:5], s[8:9]
	s_or_b64 exec, exec, s[6:7]
	s_and_saveexec_b64 s[6:7], s[4:5]
	s_cbranch_execnz .LBB8_115
	s_branch .LBB8_116
.LBB8_2165:
	s_movk_i32 s4, 0x80
	v_cmp_eq_u16_e32 vcc, s4, v11
	s_mov_b64 s[4:5], -1
                                        ; implicit-def: $sgpr10
	s_and_saveexec_b64 s[8:9], vcc
; %bb.2166:
	s_mov_b32 s10, 0x7f800001
	s_xor_b64 s[4:5], exec, -1
; %bb.2167:
	s_or_b64 exec, exec, s[8:9]
	s_and_b64 s[4:5], s[4:5], exec
                                        ; implicit-def: $vgpr11
	s_or_saveexec_b64 s[6:7], s[6:7]
	v_mov_b32_e32 v12, s10
	s_xor_b64 exec, exec, s[6:7]
	s_cbranch_execz .LBB8_118
.LBB8_2168:
	v_cmp_ne_u16_e32 vcc, 0, v11
	s_andn2_b64 s[4:5], s[4:5], exec
	s_and_b64 s[8:9], vcc, exec
	v_mov_b32_e32 v12, 0
	s_or_b64 s[4:5], s[4:5], s[8:9]
	s_or_b64 exec, exec, s[6:7]
	s_and_saveexec_b64 s[6:7], s[4:5]
	s_cbranch_execnz .LBB8_119
	s_branch .LBB8_120
.LBB8_2169:
	s_movk_i32 s4, 0x80
	v_cmp_eq_u16_sdwa s[12:13], v17, s4 src0_sel:BYTE_3 src1_sel:DWORD
	s_mov_b64 s[4:5], -1
                                        ; implicit-def: $sgpr10
	s_and_saveexec_b64 s[8:9], s[12:13]
; %bb.2170:
	s_mov_b32 s10, 0x7f800001
	s_xor_b64 s[4:5], exec, -1
; %bb.2171:
	s_or_b64 exec, exec, s[8:9]
	s_and_b64 s[4:5], s[4:5], exec
	s_or_saveexec_b64 s[6:7], s[6:7]
	v_mov_b32_e32 v10, s10
	s_xor_b64 exec, exec, s[6:7]
	s_cbranch_execz .LBB8_122
.LBB8_2172:
	v_mov_b32_e32 v10, 0
	v_cmp_ne_u16_sdwa s[8:9], v17, v10 src0_sel:BYTE_3 src1_sel:DWORD
	s_andn2_b64 s[4:5], s[4:5], exec
	s_and_b64 s[8:9], s[8:9], exec
	s_or_b64 s[4:5], s[4:5], s[8:9]
	s_or_b64 exec, exec, s[6:7]
	s_and_saveexec_b64 s[6:7], s[4:5]
	s_cbranch_execnz .LBB8_123
	s_branch .LBB8_124
.LBB8_2173:
	s_movk_i32 s4, 0x80
	v_cmp_eq_u16_sdwa s[12:13], v13, s4 src0_sel:BYTE_3 src1_sel:DWORD
	s_mov_b64 s[4:5], -1
                                        ; implicit-def: $sgpr10
	s_and_saveexec_b64 s[8:9], s[12:13]
; %bb.2174:
	s_mov_b32 s10, 0x7f800001
	s_xor_b64 s[4:5], exec, -1
; %bb.2175:
	s_or_b64 exec, exec, s[8:9]
	s_and_b64 s[4:5], s[4:5], exec
	s_or_saveexec_b64 s[6:7], s[6:7]
	v_mov_b32_e32 v11, s10
	s_xor_b64 exec, exec, s[6:7]
	s_cbranch_execz .LBB8_126
.LBB8_2176:
	v_mov_b32_e32 v11, 0
	v_cmp_ne_u16_sdwa s[8:9], v13, v11 src0_sel:BYTE_3 src1_sel:DWORD
	s_andn2_b64 s[4:5], s[4:5], exec
	s_and_b64 s[8:9], s[8:9], exec
	s_or_b64 s[4:5], s[4:5], s[8:9]
	s_or_b64 exec, exec, s[6:7]
	s_and_saveexec_b64 s[6:7], s[4:5]
	s_cbranch_execnz .LBB8_127
	s_branch .LBB8_128
.LBB8_2177:
	s_movk_i32 s4, 0x80
	v_cmp_eq_u16_sdwa s[12:13], v6, s4 src0_sel:BYTE_0 src1_sel:DWORD
	s_mov_b64 s[4:5], -1
                                        ; implicit-def: $sgpr10
	s_and_saveexec_b64 s[8:9], s[12:13]
; %bb.2178:
	s_mov_b32 s10, 0x7f800001
	s_xor_b64 s[4:5], exec, -1
; %bb.2179:
	s_or_b64 exec, exec, s[8:9]
	s_and_b64 s[4:5], s[4:5], exec
	s_or_saveexec_b64 s[6:7], s[6:7]
	v_mov_b32_e32 v10, s10
	s_xor_b64 exec, exec, s[6:7]
	s_cbranch_execz .LBB8_130
.LBB8_2180:
	v_mov_b32_e32 v10, 0
	v_cmp_ne_u16_sdwa s[8:9], v6, v10 src0_sel:BYTE_0 src1_sel:DWORD
	s_andn2_b64 s[4:5], s[4:5], exec
	s_and_b64 s[8:9], s[8:9], exec
	s_or_b64 s[4:5], s[4:5], s[8:9]
	s_or_b64 exec, exec, s[6:7]
	s_and_saveexec_b64 s[6:7], s[4:5]
	s_cbranch_execnz .LBB8_131
	s_branch .LBB8_132
.LBB8_2181:
	s_movk_i32 s4, 0x80
	v_cmp_eq_u16_sdwa s[12:13], v2, s4 src0_sel:BYTE_0 src1_sel:DWORD
	s_mov_b64 s[4:5], -1
                                        ; implicit-def: $sgpr10
	s_and_saveexec_b64 s[8:9], s[12:13]
; %bb.2182:
	s_mov_b32 s10, 0x7f800001
	s_xor_b64 s[4:5], exec, -1
; %bb.2183:
	s_or_b64 exec, exec, s[8:9]
	s_and_b64 s[4:5], s[4:5], exec
	s_or_saveexec_b64 s[6:7], s[6:7]
	v_mov_b32_e32 v11, s10
	s_xor_b64 exec, exec, s[6:7]
	s_cbranch_execz .LBB8_134
.LBB8_2184:
	v_mov_b32_e32 v11, 0
	v_cmp_ne_u16_sdwa s[8:9], v2, v11 src0_sel:BYTE_0 src1_sel:DWORD
	s_andn2_b64 s[4:5], s[4:5], exec
	s_and_b64 s[8:9], s[8:9], exec
	s_or_b64 s[4:5], s[4:5], s[8:9]
	s_or_b64 exec, exec, s[6:7]
	s_and_saveexec_b64 s[6:7], s[4:5]
	s_cbranch_execnz .LBB8_135
	s_branch .LBB8_136
.LBB8_2185:
	s_movk_i32 s4, 0x80
	v_cmp_eq_u16_sdwa s[12:13], v11, s4 src0_sel:BYTE_0 src1_sel:DWORD
	s_mov_b64 s[4:5], -1
                                        ; implicit-def: $sgpr10
	s_and_saveexec_b64 s[8:9], s[12:13]
; %bb.2186:
	s_mov_b32 s10, 0x7f800001
	s_xor_b64 s[4:5], exec, -1
; %bb.2187:
	s_or_b64 exec, exec, s[8:9]
	s_and_b64 s[4:5], s[4:5], exec
	s_or_saveexec_b64 s[6:7], s[6:7]
	v_mov_b32_e32 v10, s10
	s_xor_b64 exec, exec, s[6:7]
	s_cbranch_execz .LBB8_138
.LBB8_2188:
	v_mov_b32_e32 v10, 0
	v_cmp_ne_u16_sdwa s[8:9], v11, v10 src0_sel:BYTE_0 src1_sel:DWORD
	s_andn2_b64 s[4:5], s[4:5], exec
	s_and_b64 s[8:9], s[8:9], exec
	s_or_b64 s[4:5], s[4:5], s[8:9]
	s_or_b64 exec, exec, s[6:7]
	s_and_saveexec_b64 s[6:7], s[4:5]
	s_cbranch_execnz .LBB8_139
	s_branch .LBB8_140
.LBB8_2189:
	s_movk_i32 s4, 0x80
	v_cmp_eq_u16_sdwa s[12:13], v11, s4 src0_sel:BYTE_0 src1_sel:DWORD
	s_mov_b64 s[4:5], -1
                                        ; implicit-def: $sgpr10
	s_and_saveexec_b64 s[8:9], s[12:13]
; %bb.2190:
	s_mov_b32 s10, 0x7f800001
	s_xor_b64 s[4:5], exec, -1
; %bb.2191:
	s_or_b64 exec, exec, s[8:9]
	s_and_b64 s[4:5], s[4:5], exec
	s_or_saveexec_b64 s[6:7], s[6:7]
	v_mov_b32_e32 v12, s10
	s_xor_b64 exec, exec, s[6:7]
	s_cbranch_execz .LBB8_142
.LBB8_2192:
	v_mov_b32_e32 v12, 0
	v_cmp_ne_u16_sdwa s[8:9], v11, v12 src0_sel:BYTE_0 src1_sel:DWORD
	s_andn2_b64 s[4:5], s[4:5], exec
	s_and_b64 s[8:9], s[8:9], exec
	s_or_b64 s[4:5], s[4:5], s[8:9]
	s_or_b64 exec, exec, s[6:7]
	s_and_saveexec_b64 s[6:7], s[4:5]
	s_cbranch_execnz .LBB8_143
	s_branch .LBB8_144
.LBB8_2193:
	s_movk_i32 s4, 0x80
	v_cmp_eq_u16_e32 vcc, s4, v11
	s_mov_b64 s[4:5], -1
                                        ; implicit-def: $sgpr10
	s_and_saveexec_b64 s[8:9], vcc
; %bb.2194:
	s_mov_b32 s10, 0x7f800001
	s_xor_b64 s[4:5], exec, -1
; %bb.2195:
	s_or_b64 exec, exec, s[8:9]
	s_and_b64 s[4:5], s[4:5], exec
                                        ; implicit-def: $vgpr11
	s_or_saveexec_b64 s[6:7], s[6:7]
	v_mov_b32_e32 v10, s10
	s_xor_b64 exec, exec, s[6:7]
	s_cbranch_execz .LBB8_146
.LBB8_2196:
	v_cmp_ne_u16_e32 vcc, 0, v11
	s_andn2_b64 s[4:5], s[4:5], exec
	s_and_b64 s[8:9], vcc, exec
	v_mov_b32_e32 v10, 0
	s_or_b64 s[4:5], s[4:5], s[8:9]
	s_or_b64 exec, exec, s[6:7]
	s_and_saveexec_b64 s[6:7], s[4:5]
	s_cbranch_execnz .LBB8_147
	s_branch .LBB8_148
.LBB8_2197:
	s_movk_i32 s4, 0x80
	v_cmp_eq_u16_e32 vcc, s4, v11
	s_mov_b64 s[4:5], -1
                                        ; implicit-def: $sgpr10
	s_and_saveexec_b64 s[8:9], vcc
; %bb.2198:
	s_mov_b32 s10, 0x7f800001
	s_xor_b64 s[4:5], exec, -1
; %bb.2199:
	s_or_b64 exec, exec, s[8:9]
	s_and_b64 s[4:5], s[4:5], exec
                                        ; implicit-def: $vgpr11
	s_or_saveexec_b64 s[6:7], s[6:7]
	v_mov_b32_e32 v12, s10
	s_xor_b64 exec, exec, s[6:7]
	s_cbranch_execz .LBB8_150
.LBB8_2200:
	v_cmp_ne_u16_e32 vcc, 0, v11
	s_andn2_b64 s[4:5], s[4:5], exec
	s_and_b64 s[8:9], vcc, exec
	v_mov_b32_e32 v12, 0
	s_or_b64 s[4:5], s[4:5], s[8:9]
	s_or_b64 exec, exec, s[6:7]
	s_and_saveexec_b64 s[6:7], s[4:5]
	s_cbranch_execnz .LBB8_151
	s_branch .LBB8_152
.LBB8_2201:
	s_movk_i32 s4, 0x80
	v_cmp_eq_u16_sdwa s[12:13], v6, s4 src0_sel:BYTE_3 src1_sel:DWORD
	s_mov_b64 s[4:5], -1
                                        ; implicit-def: $sgpr10
	s_and_saveexec_b64 s[8:9], s[12:13]
; %bb.2202:
	s_mov_b32 s10, 0x7f800001
	s_xor_b64 s[4:5], exec, -1
; %bb.2203:
	s_or_b64 exec, exec, s[8:9]
	s_and_b64 s[4:5], s[4:5], exec
	s_or_saveexec_b64 s[6:7], s[6:7]
	v_mov_b32_e32 v10, s10
	s_xor_b64 exec, exec, s[6:7]
	s_cbranch_execz .LBB8_154
.LBB8_2204:
	v_mov_b32_e32 v10, 0
	v_cmp_ne_u16_sdwa s[8:9], v6, v10 src0_sel:BYTE_3 src1_sel:DWORD
	s_andn2_b64 s[4:5], s[4:5], exec
	s_and_b64 s[8:9], s[8:9], exec
	s_or_b64 s[4:5], s[4:5], s[8:9]
	s_or_b64 exec, exec, s[6:7]
	s_and_saveexec_b64 s[6:7], s[4:5]
	s_cbranch_execnz .LBB8_155
	s_branch .LBB8_156
.LBB8_2205:
	s_movk_i32 s4, 0x80
	v_cmp_eq_u16_sdwa s[12:13], v2, s4 src0_sel:BYTE_3 src1_sel:DWORD
	s_mov_b64 s[4:5], -1
                                        ; implicit-def: $sgpr10
	s_and_saveexec_b64 s[8:9], s[12:13]
; %bb.2206:
	s_mov_b32 s10, 0x7f800001
	s_xor_b64 s[4:5], exec, -1
; %bb.2207:
	s_or_b64 exec, exec, s[8:9]
	s_and_b64 s[4:5], s[4:5], exec
	s_or_saveexec_b64 s[6:7], s[6:7]
	v_mov_b32_e32 v6, s10
	s_xor_b64 exec, exec, s[6:7]
	s_cbranch_execz .LBB8_158
.LBB8_2208:
	v_mov_b32_e32 v6, 0
	v_cmp_ne_u16_sdwa s[8:9], v2, v6 src0_sel:BYTE_3 src1_sel:DWORD
	s_andn2_b64 s[4:5], s[4:5], exec
	s_and_b64 s[8:9], s[8:9], exec
	s_or_b64 s[4:5], s[4:5], s[8:9]
	s_or_b64 exec, exec, s[6:7]
	s_and_saveexec_b64 s[6:7], s[4:5]
	s_cbranch_execnz .LBB8_159
	s_branch .LBB8_160
.LBB8_2209:
	s_movk_i32 s4, 0x80
	v_cmp_eq_u16_sdwa s[12:13], v7, s4 src0_sel:BYTE_0 src1_sel:DWORD
	s_mov_b64 s[4:5], -1
                                        ; implicit-def: $sgpr10
	s_and_saveexec_b64 s[8:9], s[12:13]
; %bb.2210:
	s_mov_b32 s10, 0x7f800001
	s_xor_b64 s[4:5], exec, -1
; %bb.2211:
	s_or_b64 exec, exec, s[8:9]
	s_and_b64 s[4:5], s[4:5], exec
	s_or_saveexec_b64 s[6:7], s[6:7]
	v_mov_b32_e32 v2, s10
	s_xor_b64 exec, exec, s[6:7]
	s_cbranch_execz .LBB8_162
.LBB8_2212:
	v_mov_b32_e32 v2, 0
	v_cmp_ne_u16_sdwa s[8:9], v7, v2 src0_sel:BYTE_0 src1_sel:DWORD
	s_andn2_b64 s[4:5], s[4:5], exec
	s_and_b64 s[8:9], s[8:9], exec
	s_or_b64 s[4:5], s[4:5], s[8:9]
	s_or_b64 exec, exec, s[6:7]
	s_and_saveexec_b64 s[6:7], s[4:5]
	s_cbranch_execnz .LBB8_163
	s_branch .LBB8_164
.LBB8_2213:
	s_movk_i32 s4, 0x80
	v_cmp_eq_u16_sdwa s[12:13], v3, s4 src0_sel:BYTE_0 src1_sel:DWORD
	s_mov_b64 s[4:5], -1
                                        ; implicit-def: $sgpr10
	s_and_saveexec_b64 s[8:9], s[12:13]
; %bb.2214:
	s_mov_b32 s10, 0x7f800001
	s_xor_b64 s[4:5], exec, -1
; %bb.2215:
	s_or_b64 exec, exec, s[8:9]
	s_and_b64 s[4:5], s[4:5], exec
	s_or_saveexec_b64 s[6:7], s[6:7]
	v_mov_b32_e32 v6, s10
	s_xor_b64 exec, exec, s[6:7]
	s_cbranch_execz .LBB8_166
.LBB8_2216:
	v_mov_b32_e32 v6, 0
	v_cmp_ne_u16_sdwa s[8:9], v3, v6 src0_sel:BYTE_0 src1_sel:DWORD
	s_andn2_b64 s[4:5], s[4:5], exec
	s_and_b64 s[8:9], s[8:9], exec
	s_or_b64 s[4:5], s[4:5], s[8:9]
	s_or_b64 exec, exec, s[6:7]
	s_and_saveexec_b64 s[6:7], s[4:5]
	s_cbranch_execnz .LBB8_167
	s_branch .LBB8_168
.LBB8_2217:
	s_movk_i32 s4, 0x80
	v_cmp_eq_u16_sdwa s[12:13], v6, s4 src0_sel:BYTE_0 src1_sel:DWORD
	s_mov_b64 s[4:5], -1
                                        ; implicit-def: $sgpr10
	s_and_saveexec_b64 s[8:9], s[12:13]
; %bb.2218:
	s_mov_b32 s10, 0x7f800001
	s_xor_b64 s[4:5], exec, -1
; %bb.2219:
	s_or_b64 exec, exec, s[8:9]
	s_and_b64 s[4:5], s[4:5], exec
	s_or_saveexec_b64 s[6:7], s[6:7]
	v_mov_b32_e32 v2, s10
	s_xor_b64 exec, exec, s[6:7]
	s_cbranch_execz .LBB8_170
.LBB8_2220:
	v_mov_b32_e32 v2, 0
	v_cmp_ne_u16_sdwa s[8:9], v6, v2 src0_sel:BYTE_0 src1_sel:DWORD
	s_andn2_b64 s[4:5], s[4:5], exec
	s_and_b64 s[8:9], s[8:9], exec
	s_or_b64 s[4:5], s[4:5], s[8:9]
	s_or_b64 exec, exec, s[6:7]
	s_and_saveexec_b64 s[6:7], s[4:5]
	s_cbranch_execnz .LBB8_171
	s_branch .LBB8_172
.LBB8_2221:
	s_movk_i32 s4, 0x80
	v_cmp_eq_u16_sdwa s[12:13], v6, s4 src0_sel:BYTE_0 src1_sel:DWORD
	s_mov_b64 s[4:5], -1
                                        ; implicit-def: $sgpr10
	s_and_saveexec_b64 s[8:9], s[12:13]
; %bb.2222:
	s_mov_b32 s10, 0x7f800001
	s_xor_b64 s[4:5], exec, -1
; %bb.2223:
	s_or_b64 exec, exec, s[8:9]
	s_and_b64 s[4:5], s[4:5], exec
	s_or_saveexec_b64 s[6:7], s[6:7]
	v_mov_b32_e32 v10, s10
	s_xor_b64 exec, exec, s[6:7]
	s_cbranch_execz .LBB8_174
.LBB8_2224:
	v_mov_b32_e32 v10, 0
	v_cmp_ne_u16_sdwa s[8:9], v6, v10 src0_sel:BYTE_0 src1_sel:DWORD
	s_andn2_b64 s[4:5], s[4:5], exec
	s_and_b64 s[8:9], s[8:9], exec
	s_or_b64 s[4:5], s[4:5], s[8:9]
	s_or_b64 exec, exec, s[6:7]
	s_and_saveexec_b64 s[6:7], s[4:5]
	s_cbranch_execnz .LBB8_175
	s_branch .LBB8_176
.LBB8_2225:
	s_movk_i32 s4, 0x80
	v_cmp_eq_u16_e32 vcc, s4, v6
	s_mov_b64 s[4:5], -1
                                        ; implicit-def: $sgpr10
	s_and_saveexec_b64 s[8:9], vcc
; %bb.2226:
	s_mov_b32 s10, 0x7f800001
	s_xor_b64 s[4:5], exec, -1
; %bb.2227:
	s_or_b64 exec, exec, s[8:9]
	s_and_b64 s[4:5], s[4:5], exec
                                        ; implicit-def: $vgpr6
	s_or_saveexec_b64 s[6:7], s[6:7]
	v_mov_b32_e32 v2, s10
	s_xor_b64 exec, exec, s[6:7]
	s_cbranch_execz .LBB8_178
.LBB8_2228:
	v_cmp_ne_u16_e32 vcc, 0, v6
	s_andn2_b64 s[4:5], s[4:5], exec
	s_and_b64 s[8:9], vcc, exec
	v_mov_b32_e32 v2, 0
	s_or_b64 s[4:5], s[4:5], s[8:9]
	s_or_b64 exec, exec, s[6:7]
	s_and_saveexec_b64 s[6:7], s[4:5]
	s_cbranch_execnz .LBB8_179
	s_branch .LBB8_180
.LBB8_2229:
	s_movk_i32 s4, 0x80
	v_cmp_eq_u16_e32 vcc, s4, v6
	s_mov_b64 s[4:5], -1
                                        ; implicit-def: $sgpr10
	s_and_saveexec_b64 s[8:9], vcc
; %bb.2230:
	s_mov_b32 s10, 0x7f800001
	s_xor_b64 s[4:5], exec, -1
; %bb.2231:
	s_or_b64 exec, exec, s[8:9]
	s_and_b64 s[4:5], s[4:5], exec
                                        ; implicit-def: $vgpr6
	s_or_saveexec_b64 s[6:7], s[6:7]
	v_mov_b32_e32 v10, s10
	s_xor_b64 exec, exec, s[6:7]
	s_cbranch_execz .LBB8_182
.LBB8_2232:
	v_cmp_ne_u16_e32 vcc, 0, v6
	s_andn2_b64 s[4:5], s[4:5], exec
	s_and_b64 s[8:9], vcc, exec
	v_mov_b32_e32 v10, 0
	s_or_b64 s[4:5], s[4:5], s[8:9]
	s_or_b64 exec, exec, s[6:7]
	s_and_saveexec_b64 s[6:7], s[4:5]
	s_cbranch_execnz .LBB8_183
	s_branch .LBB8_184
.LBB8_2233:
	s_movk_i32 s4, 0x80
	v_cmp_eq_u16_sdwa s[12:13], v7, s4 src0_sel:BYTE_3 src1_sel:DWORD
	s_mov_b64 s[4:5], -1
                                        ; implicit-def: $sgpr10
	s_and_saveexec_b64 s[8:9], s[12:13]
; %bb.2234:
	s_mov_b32 s10, 0x7f800001
	s_xor_b64 s[4:5], exec, -1
; %bb.2235:
	s_or_b64 exec, exec, s[8:9]
	s_and_b64 s[4:5], s[4:5], exec
	s_or_saveexec_b64 s[6:7], s[6:7]
	v_mov_b32_e32 v2, s10
	s_xor_b64 exec, exec, s[6:7]
	s_cbranch_execz .LBB8_186
.LBB8_2236:
	v_mov_b32_e32 v2, 0
	v_cmp_ne_u16_sdwa s[8:9], v7, v2 src0_sel:BYTE_3 src1_sel:DWORD
	s_andn2_b64 s[4:5], s[4:5], exec
	s_and_b64 s[8:9], s[8:9], exec
	s_or_b64 s[4:5], s[4:5], s[8:9]
	s_or_b64 exec, exec, s[6:7]
	s_and_saveexec_b64 s[6:7], s[4:5]
	s_cbranch_execnz .LBB8_187
	s_branch .LBB8_188
.LBB8_2237:
	s_movk_i32 s4, 0x80
	v_cmp_eq_u16_sdwa s[12:13], v3, s4 src0_sel:BYTE_3 src1_sel:DWORD
	s_mov_b64 s[4:5], -1
                                        ; implicit-def: $sgpr10
	s_and_saveexec_b64 s[8:9], s[12:13]
; %bb.2238:
	s_mov_b32 s10, 0x7f800001
	s_xor_b64 s[4:5], exec, -1
; %bb.2239:
	s_or_b64 exec, exec, s[8:9]
	s_and_b64 s[4:5], s[4:5], exec
	s_or_saveexec_b64 s[6:7], s[6:7]
	v_mov_b32_e32 v6, s10
	s_xor_b64 exec, exec, s[6:7]
	s_cbranch_execz .LBB8_190
.LBB8_2240:
	v_mov_b32_e32 v6, 0
	v_cmp_ne_u16_sdwa s[8:9], v3, v6 src0_sel:BYTE_3 src1_sel:DWORD
	s_andn2_b64 s[4:5], s[4:5], exec
	s_and_b64 s[8:9], s[8:9], exec
	s_or_b64 s[4:5], s[4:5], s[8:9]
	s_or_b64 exec, exec, s[6:7]
	s_and_saveexec_b64 s[6:7], s[4:5]
	s_cbranch_execnz .LBB8_191
	s_branch .LBB8_192
.LBB8_2241:
	s_movk_i32 s4, 0x80
	v_cmp_eq_u16_sdwa s[12:13], v8, s4 src0_sel:BYTE_0 src1_sel:DWORD
	s_mov_b64 s[4:5], -1
                                        ; implicit-def: $sgpr10
	s_and_saveexec_b64 s[8:9], s[12:13]
; %bb.2242:
	s_mov_b32 s10, 0x7f800001
	s_xor_b64 s[4:5], exec, -1
; %bb.2243:
	s_or_b64 exec, exec, s[8:9]
	s_and_b64 s[4:5], s[4:5], exec
	s_or_saveexec_b64 s[6:7], s[6:7]
	v_mov_b32_e32 v2, s10
	s_xor_b64 exec, exec, s[6:7]
	s_cbranch_execz .LBB8_194
.LBB8_2244:
	v_mov_b32_e32 v2, 0
	v_cmp_ne_u16_sdwa s[8:9], v8, v2 src0_sel:BYTE_0 src1_sel:DWORD
	s_andn2_b64 s[4:5], s[4:5], exec
	s_and_b64 s[8:9], s[8:9], exec
	s_or_b64 s[4:5], s[4:5], s[8:9]
	s_or_b64 exec, exec, s[6:7]
	s_and_saveexec_b64 s[6:7], s[4:5]
	s_cbranch_execnz .LBB8_195
	s_branch .LBB8_196
.LBB8_2245:
	s_movk_i32 s4, 0x80
	v_cmp_eq_u16_sdwa s[12:13], v4, s4 src0_sel:BYTE_0 src1_sel:DWORD
	s_mov_b64 s[4:5], -1
                                        ; implicit-def: $sgpr10
	s_and_saveexec_b64 s[8:9], s[12:13]
; %bb.2246:
	s_mov_b32 s10, 0x7f800001
	s_xor_b64 s[4:5], exec, -1
; %bb.2247:
	s_or_b64 exec, exec, s[8:9]
	s_and_b64 s[4:5], s[4:5], exec
	s_or_saveexec_b64 s[6:7], s[6:7]
	v_mov_b32_e32 v3, s10
	s_xor_b64 exec, exec, s[6:7]
	s_cbranch_execz .LBB8_198
.LBB8_2248:
	v_mov_b32_e32 v3, 0
	v_cmp_ne_u16_sdwa s[8:9], v4, v3 src0_sel:BYTE_0 src1_sel:DWORD
	s_andn2_b64 s[4:5], s[4:5], exec
	s_and_b64 s[8:9], s[8:9], exec
	s_or_b64 s[4:5], s[4:5], s[8:9]
	s_or_b64 exec, exec, s[6:7]
	s_and_saveexec_b64 s[6:7], s[4:5]
	s_cbranch_execnz .LBB8_199
	s_branch .LBB8_200
.LBB8_2249:
	s_movk_i32 s4, 0x80
	v_cmp_eq_u16_sdwa s[12:13], v3, s4 src0_sel:BYTE_0 src1_sel:DWORD
	s_mov_b64 s[4:5], -1
                                        ; implicit-def: $sgpr10
	s_and_saveexec_b64 s[8:9], s[12:13]
; %bb.2250:
	s_mov_b32 s10, 0x7f800001
	s_xor_b64 s[4:5], exec, -1
; %bb.2251:
	s_or_b64 exec, exec, s[8:9]
	s_and_b64 s[4:5], s[4:5], exec
	s_or_saveexec_b64 s[6:7], s[6:7]
	v_mov_b32_e32 v2, s10
	s_xor_b64 exec, exec, s[6:7]
	s_cbranch_execz .LBB8_202
.LBB8_2252:
	v_mov_b32_e32 v2, 0
	v_cmp_ne_u16_sdwa s[8:9], v3, v2 src0_sel:BYTE_0 src1_sel:DWORD
	s_andn2_b64 s[4:5], s[4:5], exec
	s_and_b64 s[8:9], s[8:9], exec
	s_or_b64 s[4:5], s[4:5], s[8:9]
	s_or_b64 exec, exec, s[6:7]
	s_and_saveexec_b64 s[6:7], s[4:5]
	s_cbranch_execnz .LBB8_203
	s_branch .LBB8_204
.LBB8_2253:
	s_movk_i32 s4, 0x80
	v_cmp_eq_u16_sdwa s[12:13], v3, s4 src0_sel:BYTE_0 src1_sel:DWORD
	s_mov_b64 s[4:5], -1
                                        ; implicit-def: $sgpr10
	s_and_saveexec_b64 s[8:9], s[12:13]
; %bb.2254:
	s_mov_b32 s10, 0x7f800001
	s_xor_b64 s[4:5], exec, -1
; %bb.2255:
	s_or_b64 exec, exec, s[8:9]
	s_and_b64 s[4:5], s[4:5], exec
	s_or_saveexec_b64 s[6:7], s[6:7]
	v_mov_b32_e32 v6, s10
	s_xor_b64 exec, exec, s[6:7]
	s_cbranch_execz .LBB8_206
.LBB8_2256:
	v_mov_b32_e32 v6, 0
	v_cmp_ne_u16_sdwa s[8:9], v3, v6 src0_sel:BYTE_0 src1_sel:DWORD
	s_andn2_b64 s[4:5], s[4:5], exec
	s_and_b64 s[8:9], s[8:9], exec
	s_or_b64 s[4:5], s[4:5], s[8:9]
	s_or_b64 exec, exec, s[6:7]
	s_and_saveexec_b64 s[6:7], s[4:5]
	s_cbranch_execnz .LBB8_207
	s_branch .LBB8_208
.LBB8_2257:
	s_movk_i32 s4, 0x80
	v_cmp_eq_u16_e32 vcc, s4, v3
	s_mov_b64 s[4:5], -1
                                        ; implicit-def: $sgpr10
	s_and_saveexec_b64 s[8:9], vcc
; %bb.2258:
	s_mov_b32 s10, 0x7f800001
	s_xor_b64 s[4:5], exec, -1
; %bb.2259:
	s_or_b64 exec, exec, s[8:9]
	s_and_b64 s[4:5], s[4:5], exec
                                        ; implicit-def: $vgpr3
	s_or_saveexec_b64 s[6:7], s[6:7]
	v_mov_b32_e32 v2, s10
	s_xor_b64 exec, exec, s[6:7]
	s_cbranch_execz .LBB8_210
.LBB8_2260:
	v_cmp_ne_u16_e32 vcc, 0, v3
	s_andn2_b64 s[4:5], s[4:5], exec
	s_and_b64 s[8:9], vcc, exec
	v_mov_b32_e32 v2, 0
	s_or_b64 s[4:5], s[4:5], s[8:9]
	s_or_b64 exec, exec, s[6:7]
	s_and_saveexec_b64 s[6:7], s[4:5]
	s_cbranch_execnz .LBB8_211
	s_branch .LBB8_212
.LBB8_2261:
	s_movk_i32 s4, 0x80
	v_cmp_eq_u16_e32 vcc, s4, v3
	s_mov_b64 s[4:5], -1
                                        ; implicit-def: $sgpr10
	s_and_saveexec_b64 s[8:9], vcc
; %bb.2262:
	s_mov_b32 s10, 0x7f800001
	s_xor_b64 s[4:5], exec, -1
; %bb.2263:
	s_or_b64 exec, exec, s[8:9]
	s_and_b64 s[4:5], s[4:5], exec
                                        ; implicit-def: $vgpr3
	s_or_saveexec_b64 s[6:7], s[6:7]
	v_mov_b32_e32 v6, s10
	s_xor_b64 exec, exec, s[6:7]
	s_cbranch_execz .LBB8_214
.LBB8_2264:
	v_cmp_ne_u16_e32 vcc, 0, v3
	s_andn2_b64 s[4:5], s[4:5], exec
	s_and_b64 s[8:9], vcc, exec
	v_mov_b32_e32 v6, 0
	s_or_b64 s[4:5], s[4:5], s[8:9]
	s_or_b64 exec, exec, s[6:7]
	s_and_saveexec_b64 s[6:7], s[4:5]
	s_cbranch_execnz .LBB8_215
	s_branch .LBB8_216
.LBB8_2265:
	s_movk_i32 s4, 0x80
	v_cmp_eq_u16_sdwa s[12:13], v8, s4 src0_sel:BYTE_3 src1_sel:DWORD
	s_mov_b64 s[4:5], -1
                                        ; implicit-def: $sgpr10
	s_and_saveexec_b64 s[8:9], s[12:13]
; %bb.2266:
	s_mov_b32 s10, 0x7f800001
	s_xor_b64 s[4:5], exec, -1
; %bb.2267:
	s_or_b64 exec, exec, s[8:9]
	s_and_b64 s[4:5], s[4:5], exec
	s_or_saveexec_b64 s[6:7], s[6:7]
	v_mov_b32_e32 v2, s10
	s_xor_b64 exec, exec, s[6:7]
	s_cbranch_execz .LBB8_218
.LBB8_2268:
	v_mov_b32_e32 v2, 0
	v_cmp_ne_u16_sdwa s[8:9], v8, v2 src0_sel:BYTE_3 src1_sel:DWORD
	s_andn2_b64 s[4:5], s[4:5], exec
	s_and_b64 s[8:9], s[8:9], exec
	s_or_b64 s[4:5], s[4:5], s[8:9]
	s_or_b64 exec, exec, s[6:7]
	s_and_saveexec_b64 s[6:7], s[4:5]
	s_cbranch_execnz .LBB8_219
	s_branch .LBB8_220
.LBB8_2269:
	s_movk_i32 s4, 0x80
	v_cmp_eq_u16_sdwa s[12:13], v4, s4 src0_sel:BYTE_3 src1_sel:DWORD
	s_mov_b64 s[4:5], -1
                                        ; implicit-def: $sgpr10
	s_and_saveexec_b64 s[8:9], s[12:13]
; %bb.2270:
	s_mov_b32 s10, 0x7f800001
	s_xor_b64 s[4:5], exec, -1
; %bb.2271:
	s_or_b64 exec, exec, s[8:9]
	s_and_b64 s[4:5], s[4:5], exec
	s_or_saveexec_b64 s[6:7], s[6:7]
	v_mov_b32_e32 v3, s10
	s_xor_b64 exec, exec, s[6:7]
	s_cbranch_execz .LBB8_222
.LBB8_2272:
	v_mov_b32_e32 v3, 0
	v_cmp_ne_u16_sdwa s[8:9], v4, v3 src0_sel:BYTE_3 src1_sel:DWORD
	s_andn2_b64 s[4:5], s[4:5], exec
	s_and_b64 s[8:9], s[8:9], exec
	s_or_b64 s[4:5], s[4:5], s[8:9]
	s_or_b64 exec, exec, s[6:7]
	s_and_saveexec_b64 s[6:7], s[4:5]
	s_cbranch_execnz .LBB8_223
	s_branch .LBB8_224
.LBB8_2273:
	s_movk_i32 s4, 0x80
	v_cmp_eq_u16_sdwa s[12:13], v9, s4 src0_sel:BYTE_0 src1_sel:DWORD
	s_mov_b64 s[4:5], -1
                                        ; implicit-def: $sgpr10
	s_and_saveexec_b64 s[8:9], s[12:13]
; %bb.2274:
	s_mov_b32 s10, 0x7f800001
	s_xor_b64 s[4:5], exec, -1
; %bb.2275:
	s_or_b64 exec, exec, s[8:9]
	s_and_b64 s[4:5], s[4:5], exec
	s_or_saveexec_b64 s[6:7], s[6:7]
	v_mov_b32_e32 v2, s10
	s_xor_b64 exec, exec, s[6:7]
	s_cbranch_execz .LBB8_226
.LBB8_2276:
	v_mov_b32_e32 v2, 0
	v_cmp_ne_u16_sdwa s[8:9], v9, v2 src0_sel:BYTE_0 src1_sel:DWORD
	s_andn2_b64 s[4:5], s[4:5], exec
	s_and_b64 s[8:9], s[8:9], exec
	s_or_b64 s[4:5], s[4:5], s[8:9]
	s_or_b64 exec, exec, s[6:7]
	s_and_saveexec_b64 s[6:7], s[4:5]
	s_cbranch_execnz .LBB8_227
	s_branch .LBB8_228
.LBB8_2277:
	s_movk_i32 s4, 0x80
	v_cmp_eq_u16_sdwa s[12:13], v5, s4 src0_sel:BYTE_0 src1_sel:DWORD
	s_mov_b64 s[4:5], -1
                                        ; implicit-def: $sgpr10
	s_and_saveexec_b64 s[8:9], s[12:13]
; %bb.2278:
	s_mov_b32 s10, 0x7f800001
	s_xor_b64 s[4:5], exec, -1
; %bb.2279:
	s_or_b64 exec, exec, s[8:9]
	s_and_b64 s[4:5], s[4:5], exec
	s_or_saveexec_b64 s[6:7], s[6:7]
	v_mov_b32_e32 v3, s10
	s_xor_b64 exec, exec, s[6:7]
	s_cbranch_execz .LBB8_230
.LBB8_2280:
	v_mov_b32_e32 v3, 0
	v_cmp_ne_u16_sdwa s[8:9], v5, v3 src0_sel:BYTE_0 src1_sel:DWORD
	s_andn2_b64 s[4:5], s[4:5], exec
	s_and_b64 s[8:9], s[8:9], exec
	s_or_b64 s[4:5], s[4:5], s[8:9]
	s_or_b64 exec, exec, s[6:7]
	s_and_saveexec_b64 s[6:7], s[4:5]
	s_cbranch_execnz .LBB8_231
	s_branch .LBB8_232
.LBB8_2281:
	s_movk_i32 s4, 0x80
	v_cmp_eq_u16_sdwa s[12:13], v3, s4 src0_sel:BYTE_0 src1_sel:DWORD
	s_mov_b64 s[4:5], -1
                                        ; implicit-def: $sgpr10
	s_and_saveexec_b64 s[8:9], s[12:13]
; %bb.2282:
	s_mov_b32 s10, 0x7f800001
	s_xor_b64 s[4:5], exec, -1
; %bb.2283:
	s_or_b64 exec, exec, s[8:9]
	s_and_b64 s[4:5], s[4:5], exec
	s_or_saveexec_b64 s[6:7], s[6:7]
	v_mov_b32_e32 v2, s10
	s_xor_b64 exec, exec, s[6:7]
	s_cbranch_execz .LBB8_234
.LBB8_2284:
	v_mov_b32_e32 v2, 0
	v_cmp_ne_u16_sdwa s[8:9], v3, v2 src0_sel:BYTE_0 src1_sel:DWORD
	s_andn2_b64 s[4:5], s[4:5], exec
	s_and_b64 s[8:9], s[8:9], exec
	s_or_b64 s[4:5], s[4:5], s[8:9]
	s_or_b64 exec, exec, s[6:7]
	s_and_saveexec_b64 s[6:7], s[4:5]
	s_cbranch_execnz .LBB8_235
	s_branch .LBB8_236
.LBB8_2285:
	s_movk_i32 s4, 0x80
	v_cmp_eq_u16_sdwa s[12:13], v3, s4 src0_sel:BYTE_0 src1_sel:DWORD
	s_mov_b64 s[4:5], -1
                                        ; implicit-def: $sgpr10
	s_and_saveexec_b64 s[8:9], s[12:13]
; %bb.2286:
	s_mov_b32 s10, 0x7f800001
	s_xor_b64 s[4:5], exec, -1
; %bb.2287:
	s_or_b64 exec, exec, s[8:9]
	s_and_b64 s[4:5], s[4:5], exec
	s_or_saveexec_b64 s[6:7], s[6:7]
	v_mov_b32_e32 v4, s10
	s_xor_b64 exec, exec, s[6:7]
	s_cbranch_execz .LBB8_238
.LBB8_2288:
	v_mov_b32_e32 v4, 0
	v_cmp_ne_u16_sdwa s[8:9], v3, v4 src0_sel:BYTE_0 src1_sel:DWORD
	s_andn2_b64 s[4:5], s[4:5], exec
	s_and_b64 s[8:9], s[8:9], exec
	s_or_b64 s[4:5], s[4:5], s[8:9]
	s_or_b64 exec, exec, s[6:7]
	s_and_saveexec_b64 s[6:7], s[4:5]
	s_cbranch_execnz .LBB8_239
	s_branch .LBB8_240
.LBB8_2289:
	s_movk_i32 s4, 0x80
	v_cmp_eq_u16_e32 vcc, s4, v3
	s_mov_b64 s[4:5], -1
                                        ; implicit-def: $sgpr10
	s_and_saveexec_b64 s[8:9], vcc
; %bb.2290:
	s_mov_b32 s10, 0x7f800001
	s_xor_b64 s[4:5], exec, -1
; %bb.2291:
	s_or_b64 exec, exec, s[8:9]
	s_and_b64 s[4:5], s[4:5], exec
                                        ; implicit-def: $vgpr3
	s_or_saveexec_b64 s[6:7], s[6:7]
	v_mov_b32_e32 v2, s10
	s_xor_b64 exec, exec, s[6:7]
	s_cbranch_execz .LBB8_242
.LBB8_2292:
	v_cmp_ne_u16_e32 vcc, 0, v3
	s_andn2_b64 s[4:5], s[4:5], exec
	s_and_b64 s[8:9], vcc, exec
	v_mov_b32_e32 v2, 0
	s_or_b64 s[4:5], s[4:5], s[8:9]
	s_or_b64 exec, exec, s[6:7]
	s_and_saveexec_b64 s[6:7], s[4:5]
	s_cbranch_execnz .LBB8_243
	s_branch .LBB8_244
.LBB8_2293:
	s_movk_i32 s4, 0x80
	v_cmp_eq_u16_e32 vcc, s4, v3
	s_mov_b64 s[4:5], -1
                                        ; implicit-def: $sgpr10
	s_and_saveexec_b64 s[8:9], vcc
; %bb.2294:
	s_mov_b32 s10, 0x7f800001
	s_xor_b64 s[4:5], exec, -1
; %bb.2295:
	s_or_b64 exec, exec, s[8:9]
	s_and_b64 s[4:5], s[4:5], exec
                                        ; implicit-def: $vgpr3
	s_or_saveexec_b64 s[6:7], s[6:7]
	v_mov_b32_e32 v4, s10
	s_xor_b64 exec, exec, s[6:7]
	s_cbranch_execz .LBB8_246
.LBB8_2296:
	v_cmp_ne_u16_e32 vcc, 0, v3
	s_andn2_b64 s[4:5], s[4:5], exec
	s_and_b64 s[8:9], vcc, exec
	v_mov_b32_e32 v4, 0
	s_or_b64 s[4:5], s[4:5], s[8:9]
	s_or_b64 exec, exec, s[6:7]
	s_and_saveexec_b64 s[6:7], s[4:5]
	s_cbranch_execnz .LBB8_247
	s_branch .LBB8_248
.LBB8_2297:
	s_movk_i32 s4, 0x80
	v_cmp_eq_u16_sdwa s[12:13], v9, s4 src0_sel:BYTE_3 src1_sel:DWORD
	s_mov_b64 s[4:5], -1
                                        ; implicit-def: $sgpr10
	s_and_saveexec_b64 s[8:9], s[12:13]
; %bb.2298:
	s_mov_b32 s10, 0x7f800001
	s_xor_b64 s[4:5], exec, -1
; %bb.2299:
	s_or_b64 exec, exec, s[8:9]
	s_and_b64 s[4:5], s[4:5], exec
	s_or_saveexec_b64 s[6:7], s[6:7]
	v_mov_b32_e32 v2, s10
	s_xor_b64 exec, exec, s[6:7]
	s_cbranch_execz .LBB8_250
.LBB8_2300:
	v_mov_b32_e32 v2, 0
	v_cmp_ne_u16_sdwa s[8:9], v9, v2 src0_sel:BYTE_3 src1_sel:DWORD
	s_andn2_b64 s[4:5], s[4:5], exec
	s_and_b64 s[8:9], s[8:9], exec
	s_or_b64 s[4:5], s[4:5], s[8:9]
	s_or_b64 exec, exec, s[6:7]
	s_and_saveexec_b64 s[6:7], s[4:5]
	s_cbranch_execnz .LBB8_251
	s_branch .LBB8_252
.LBB8_2301:
	s_movk_i32 s4, 0x80
	v_cmp_eq_u16_sdwa s[12:13], v5, s4 src0_sel:BYTE_3 src1_sel:DWORD
	s_mov_b64 s[4:5], -1
                                        ; implicit-def: $sgpr10
	s_and_saveexec_b64 s[8:9], s[12:13]
; %bb.2302:
	s_mov_b32 s10, 0x7f800001
	s_xor_b64 s[4:5], exec, -1
; %bb.2303:
	s_or_b64 exec, exec, s[8:9]
	s_and_b64 s[4:5], s[4:5], exec
	s_or_saveexec_b64 s[6:7], s[6:7]
	v_mov_b32_e32 v3, s10
	s_xor_b64 exec, exec, s[6:7]
	s_cbranch_execz .LBB8_254
.LBB8_2304:
	v_mov_b32_e32 v3, 0
	v_cmp_ne_u16_sdwa s[8:9], v5, v3 src0_sel:BYTE_3 src1_sel:DWORD
	s_andn2_b64 s[4:5], s[4:5], exec
	s_and_b64 s[8:9], s[8:9], exec
	s_or_b64 s[4:5], s[4:5], s[8:9]
	s_or_b64 exec, exec, s[6:7]
	s_and_saveexec_b64 s[6:7], s[4:5]
	s_cbranch_execnz .LBB8_255
	s_branch .LBB8_256
.LBB8_2305:
	s_movk_i32 s4, 0x80
	v_cmp_eq_u16_sdwa s[12:13], v14, s4 src0_sel:BYTE_0 src1_sel:DWORD
	s_mov_b64 s[4:5], -1
                                        ; implicit-def: $sgpr10
	s_and_saveexec_b64 s[8:9], s[12:13]
; %bb.2306:
	s_mov_b32 s10, 0x7f800001
	s_xor_b64 s[4:5], exec, -1
; %bb.2307:
	s_or_b64 exec, exec, s[8:9]
	s_and_b64 s[4:5], s[4:5], exec
	s_or_saveexec_b64 s[6:7], s[6:7]
	v_mov_b32_e32 v20, s10
	s_xor_b64 exec, exec, s[6:7]
	s_cbranch_execz .LBB8_258
.LBB8_2308:
	v_mov_b32_e32 v20, 0
	v_cmp_ne_u16_sdwa s[8:9], v14, v20 src0_sel:BYTE_0 src1_sel:DWORD
	s_andn2_b64 s[4:5], s[4:5], exec
	s_and_b64 s[8:9], s[8:9], exec
	s_or_b64 s[4:5], s[4:5], s[8:9]
	s_or_b64 exec, exec, s[6:7]
	s_and_saveexec_b64 s[6:7], s[4:5]
	s_cbranch_execnz .LBB8_259
	s_branch .LBB8_260
.LBB8_2309:
	s_movk_i32 s4, 0x80
	v_cmp_eq_u16_sdwa s[12:13], v10, s4 src0_sel:BYTE_0 src1_sel:DWORD
	s_mov_b64 s[4:5], -1
                                        ; implicit-def: $sgpr10
	s_and_saveexec_b64 s[8:9], s[12:13]
; %bb.2310:
	s_mov_b32 s10, 0x7f800001
	s_xor_b64 s[4:5], exec, -1
; %bb.2311:
	s_or_b64 exec, exec, s[8:9]
	s_and_b64 s[4:5], s[4:5], exec
	s_or_saveexec_b64 s[6:7], s[6:7]
	v_mov_b32_e32 v21, s10
	s_xor_b64 exec, exec, s[6:7]
	s_cbranch_execz .LBB8_262
.LBB8_2312:
	v_mov_b32_e32 v21, 0
	v_cmp_ne_u16_sdwa s[8:9], v10, v21 src0_sel:BYTE_0 src1_sel:DWORD
	s_andn2_b64 s[4:5], s[4:5], exec
	s_and_b64 s[8:9], s[8:9], exec
	s_or_b64 s[4:5], s[4:5], s[8:9]
	s_or_b64 exec, exec, s[6:7]
	s_and_saveexec_b64 s[6:7], s[4:5]
	s_cbranch_execnz .LBB8_263
	s_branch .LBB8_264
.LBB8_2313:
	s_movk_i32 s4, 0x80
	v_cmp_eq_u16_sdwa s[12:13], v21, s4 src0_sel:BYTE_0 src1_sel:DWORD
	s_mov_b64 s[4:5], -1
                                        ; implicit-def: $sgpr10
	s_and_saveexec_b64 s[8:9], s[12:13]
; %bb.2314:
	s_mov_b32 s10, 0x7f800001
	s_xor_b64 s[4:5], exec, -1
; %bb.2315:
	s_or_b64 exec, exec, s[8:9]
	s_and_b64 s[4:5], s[4:5], exec
	s_or_saveexec_b64 s[6:7], s[6:7]
	v_mov_b32_e32 v20, s10
	s_xor_b64 exec, exec, s[6:7]
	s_cbranch_execz .LBB8_266
.LBB8_2316:
	v_mov_b32_e32 v20, 0
	v_cmp_ne_u16_sdwa s[8:9], v21, v20 src0_sel:BYTE_0 src1_sel:DWORD
	s_andn2_b64 s[4:5], s[4:5], exec
	s_and_b64 s[8:9], s[8:9], exec
	s_or_b64 s[4:5], s[4:5], s[8:9]
	s_or_b64 exec, exec, s[6:7]
	s_and_saveexec_b64 s[6:7], s[4:5]
	s_cbranch_execnz .LBB8_267
	s_branch .LBB8_268
.LBB8_2317:
	s_movk_i32 s4, 0x80
	v_cmp_eq_u16_sdwa s[12:13], v21, s4 src0_sel:BYTE_0 src1_sel:DWORD
	s_mov_b64 s[4:5], -1
                                        ; implicit-def: $sgpr10
	s_and_saveexec_b64 s[8:9], s[12:13]
; %bb.2318:
	s_mov_b32 s10, 0x7f800001
	s_xor_b64 s[4:5], exec, -1
; %bb.2319:
	s_or_b64 exec, exec, s[8:9]
	s_and_b64 s[4:5], s[4:5], exec
	s_or_saveexec_b64 s[6:7], s[6:7]
	v_mov_b32_e32 v22, s10
	s_xor_b64 exec, exec, s[6:7]
	s_cbranch_execz .LBB8_270
.LBB8_2320:
	v_mov_b32_e32 v22, 0
	v_cmp_ne_u16_sdwa s[8:9], v21, v22 src0_sel:BYTE_0 src1_sel:DWORD
	s_andn2_b64 s[4:5], s[4:5], exec
	s_and_b64 s[8:9], s[8:9], exec
	s_or_b64 s[4:5], s[4:5], s[8:9]
	s_or_b64 exec, exec, s[6:7]
	s_and_saveexec_b64 s[6:7], s[4:5]
	s_cbranch_execnz .LBB8_271
	s_branch .LBB8_272
.LBB8_2321:
	s_movk_i32 s4, 0x80
	v_cmp_eq_u16_e32 vcc, s4, v21
	s_mov_b64 s[4:5], -1
                                        ; implicit-def: $sgpr10
	s_and_saveexec_b64 s[8:9], vcc
; %bb.2322:
	s_mov_b32 s10, 0x7f800001
	s_xor_b64 s[4:5], exec, -1
; %bb.2323:
	s_or_b64 exec, exec, s[8:9]
	s_and_b64 s[4:5], s[4:5], exec
                                        ; implicit-def: $vgpr21
	s_or_saveexec_b64 s[6:7], s[6:7]
	v_mov_b32_e32 v20, s10
	s_xor_b64 exec, exec, s[6:7]
	s_cbranch_execz .LBB8_274
.LBB8_2324:
	v_cmp_ne_u16_e32 vcc, 0, v21
	s_andn2_b64 s[4:5], s[4:5], exec
	s_and_b64 s[8:9], vcc, exec
	v_mov_b32_e32 v20, 0
	s_or_b64 s[4:5], s[4:5], s[8:9]
	s_or_b64 exec, exec, s[6:7]
	s_and_saveexec_b64 s[6:7], s[4:5]
	s_cbranch_execnz .LBB8_275
	s_branch .LBB8_276
.LBB8_2325:
	s_movk_i32 s4, 0x80
	v_cmp_eq_u16_e32 vcc, s4, v21
	s_mov_b64 s[4:5], -1
                                        ; implicit-def: $sgpr10
	s_and_saveexec_b64 s[8:9], vcc
; %bb.2326:
	s_mov_b32 s10, 0x7f800001
	s_xor_b64 s[4:5], exec, -1
; %bb.2327:
	s_or_b64 exec, exec, s[8:9]
	s_and_b64 s[4:5], s[4:5], exec
                                        ; implicit-def: $vgpr21
	s_or_saveexec_b64 s[6:7], s[6:7]
	v_mov_b32_e32 v22, s10
	s_xor_b64 exec, exec, s[6:7]
	s_cbranch_execz .LBB8_278
.LBB8_2328:
	v_cmp_ne_u16_e32 vcc, 0, v21
	s_andn2_b64 s[4:5], s[4:5], exec
	s_and_b64 s[8:9], vcc, exec
	v_mov_b32_e32 v22, 0
	s_or_b64 s[4:5], s[4:5], s[8:9]
	s_or_b64 exec, exec, s[6:7]
	s_and_saveexec_b64 s[6:7], s[4:5]
	s_cbranch_execnz .LBB8_279
	s_branch .LBB8_280
.LBB8_2329:
	s_movk_i32 s4, 0x80
	v_cmp_eq_u16_sdwa s[12:13], v14, s4 src0_sel:BYTE_3 src1_sel:DWORD
	s_mov_b64 s[4:5], -1
                                        ; implicit-def: $sgpr10
	s_and_saveexec_b64 s[8:9], s[12:13]
; %bb.2330:
	s_mov_b32 s10, 0x7f800001
	s_xor_b64 s[4:5], exec, -1
; %bb.2331:
	s_or_b64 exec, exec, s[8:9]
	s_and_b64 s[4:5], s[4:5], exec
	s_or_saveexec_b64 s[6:7], s[6:7]
	v_mov_b32_e32 v20, s10
	s_xor_b64 exec, exec, s[6:7]
	s_cbranch_execz .LBB8_282
.LBB8_2332:
	v_mov_b32_e32 v20, 0
	v_cmp_ne_u16_sdwa s[8:9], v14, v20 src0_sel:BYTE_3 src1_sel:DWORD
	s_andn2_b64 s[4:5], s[4:5], exec
	s_and_b64 s[8:9], s[8:9], exec
	s_or_b64 s[4:5], s[4:5], s[8:9]
	s_or_b64 exec, exec, s[6:7]
	s_and_saveexec_b64 s[6:7], s[4:5]
	s_cbranch_execnz .LBB8_283
	s_branch .LBB8_284
.LBB8_2333:
	s_movk_i32 s4, 0x80
	v_cmp_eq_u16_sdwa s[12:13], v10, s4 src0_sel:BYTE_3 src1_sel:DWORD
	s_mov_b64 s[4:5], -1
                                        ; implicit-def: $sgpr10
	s_and_saveexec_b64 s[8:9], s[12:13]
; %bb.2334:
	s_mov_b32 s10, 0x7f800001
	s_xor_b64 s[4:5], exec, -1
; %bb.2335:
	s_or_b64 exec, exec, s[8:9]
	s_and_b64 s[4:5], s[4:5], exec
	s_or_saveexec_b64 s[6:7], s[6:7]
	v_mov_b32_e32 v14, s10
	s_xor_b64 exec, exec, s[6:7]
	s_cbranch_execz .LBB8_286
.LBB8_2336:
	v_mov_b32_e32 v14, 0
	v_cmp_ne_u16_sdwa s[8:9], v10, v14 src0_sel:BYTE_3 src1_sel:DWORD
	s_andn2_b64 s[4:5], s[4:5], exec
	s_and_b64 s[8:9], s[8:9], exec
	s_or_b64 s[4:5], s[4:5], s[8:9]
	s_or_b64 exec, exec, s[6:7]
	s_and_saveexec_b64 s[6:7], s[4:5]
	s_cbranch_execnz .LBB8_287
	s_branch .LBB8_288
.LBB8_2337:
	s_movk_i32 s4, 0x80
	v_cmp_eq_u16_sdwa s[12:13], v15, s4 src0_sel:BYTE_0 src1_sel:DWORD
	s_mov_b64 s[4:5], -1
                                        ; implicit-def: $sgpr10
	s_and_saveexec_b64 s[8:9], s[12:13]
; %bb.2338:
	s_mov_b32 s10, 0x7f800001
	s_xor_b64 s[4:5], exec, -1
; %bb.2339:
	s_or_b64 exec, exec, s[8:9]
	s_and_b64 s[4:5], s[4:5], exec
	s_or_saveexec_b64 s[6:7], s[6:7]
	v_mov_b32_e32 v10, s10
	s_xor_b64 exec, exec, s[6:7]
	s_cbranch_execz .LBB8_290
.LBB8_2340:
	v_mov_b32_e32 v10, 0
	v_cmp_ne_u16_sdwa s[8:9], v15, v10 src0_sel:BYTE_0 src1_sel:DWORD
	s_andn2_b64 s[4:5], s[4:5], exec
	s_and_b64 s[8:9], s[8:9], exec
	s_or_b64 s[4:5], s[4:5], s[8:9]
	s_or_b64 exec, exec, s[6:7]
	s_and_saveexec_b64 s[6:7], s[4:5]
	s_cbranch_execnz .LBB8_291
	s_branch .LBB8_292
.LBB8_2341:
	s_movk_i32 s4, 0x80
	v_cmp_eq_u16_sdwa s[12:13], v11, s4 src0_sel:BYTE_0 src1_sel:DWORD
	s_mov_b64 s[4:5], -1
                                        ; implicit-def: $sgpr10
	s_and_saveexec_b64 s[8:9], s[12:13]
; %bb.2342:
	s_mov_b32 s10, 0x7f800001
	s_xor_b64 s[4:5], exec, -1
; %bb.2343:
	s_or_b64 exec, exec, s[8:9]
	s_and_b64 s[4:5], s[4:5], exec
	s_or_saveexec_b64 s[6:7], s[6:7]
	v_mov_b32_e32 v14, s10
	s_xor_b64 exec, exec, s[6:7]
	s_cbranch_execz .LBB8_294
.LBB8_2344:
	v_mov_b32_e32 v14, 0
	v_cmp_ne_u16_sdwa s[8:9], v11, v14 src0_sel:BYTE_0 src1_sel:DWORD
	s_andn2_b64 s[4:5], s[4:5], exec
	s_and_b64 s[8:9], s[8:9], exec
	s_or_b64 s[4:5], s[4:5], s[8:9]
	s_or_b64 exec, exec, s[6:7]
	s_and_saveexec_b64 s[6:7], s[4:5]
	s_cbranch_execnz .LBB8_295
	s_branch .LBB8_296
.LBB8_2345:
	s_movk_i32 s4, 0x80
	v_cmp_eq_u16_sdwa s[12:13], v14, s4 src0_sel:BYTE_0 src1_sel:DWORD
	s_mov_b64 s[4:5], -1
                                        ; implicit-def: $sgpr10
	s_and_saveexec_b64 s[8:9], s[12:13]
; %bb.2346:
	s_mov_b32 s10, 0x7f800001
	s_xor_b64 s[4:5], exec, -1
; %bb.2347:
	s_or_b64 exec, exec, s[8:9]
	s_and_b64 s[4:5], s[4:5], exec
	s_or_saveexec_b64 s[6:7], s[6:7]
	v_mov_b32_e32 v10, s10
	s_xor_b64 exec, exec, s[6:7]
	s_cbranch_execz .LBB8_298
.LBB8_2348:
	v_mov_b32_e32 v10, 0
	v_cmp_ne_u16_sdwa s[8:9], v14, v10 src0_sel:BYTE_0 src1_sel:DWORD
	s_andn2_b64 s[4:5], s[4:5], exec
	s_and_b64 s[8:9], s[8:9], exec
	s_or_b64 s[4:5], s[4:5], s[8:9]
	s_or_b64 exec, exec, s[6:7]
	s_and_saveexec_b64 s[6:7], s[4:5]
	s_cbranch_execnz .LBB8_299
	s_branch .LBB8_300
.LBB8_2349:
	s_movk_i32 s4, 0x80
	v_cmp_eq_u16_sdwa s[12:13], v14, s4 src0_sel:BYTE_0 src1_sel:DWORD
	s_mov_b64 s[4:5], -1
                                        ; implicit-def: $sgpr10
	s_and_saveexec_b64 s[8:9], s[12:13]
; %bb.2350:
	s_mov_b32 s10, 0x7f800001
	s_xor_b64 s[4:5], exec, -1
; %bb.2351:
	s_or_b64 exec, exec, s[8:9]
	s_and_b64 s[4:5], s[4:5], exec
	s_or_saveexec_b64 s[6:7], s[6:7]
	v_mov_b32_e32 v20, s10
	s_xor_b64 exec, exec, s[6:7]
	s_cbranch_execz .LBB8_302
.LBB8_2352:
	v_mov_b32_e32 v20, 0
	v_cmp_ne_u16_sdwa s[8:9], v14, v20 src0_sel:BYTE_0 src1_sel:DWORD
	s_andn2_b64 s[4:5], s[4:5], exec
	s_and_b64 s[8:9], s[8:9], exec
	s_or_b64 s[4:5], s[4:5], s[8:9]
	s_or_b64 exec, exec, s[6:7]
	s_and_saveexec_b64 s[6:7], s[4:5]
	s_cbranch_execnz .LBB8_303
	s_branch .LBB8_304
.LBB8_2353:
	s_movk_i32 s4, 0x80
	v_cmp_eq_u16_e32 vcc, s4, v14
	s_mov_b64 s[4:5], -1
                                        ; implicit-def: $sgpr10
	s_and_saveexec_b64 s[8:9], vcc
; %bb.2354:
	s_mov_b32 s10, 0x7f800001
	s_xor_b64 s[4:5], exec, -1
; %bb.2355:
	s_or_b64 exec, exec, s[8:9]
	s_and_b64 s[4:5], s[4:5], exec
                                        ; implicit-def: $vgpr14
	s_or_saveexec_b64 s[6:7], s[6:7]
	v_mov_b32_e32 v10, s10
	s_xor_b64 exec, exec, s[6:7]
	s_cbranch_execz .LBB8_306
.LBB8_2356:
	v_cmp_ne_u16_e32 vcc, 0, v14
	s_andn2_b64 s[4:5], s[4:5], exec
	s_and_b64 s[8:9], vcc, exec
	v_mov_b32_e32 v10, 0
	s_or_b64 s[4:5], s[4:5], s[8:9]
	s_or_b64 exec, exec, s[6:7]
	s_and_saveexec_b64 s[6:7], s[4:5]
	s_cbranch_execnz .LBB8_307
	s_branch .LBB8_308
.LBB8_2357:
	s_movk_i32 s4, 0x80
	v_cmp_eq_u16_e32 vcc, s4, v14
	s_mov_b64 s[4:5], -1
                                        ; implicit-def: $sgpr10
	s_and_saveexec_b64 s[8:9], vcc
; %bb.2358:
	s_mov_b32 s10, 0x7f800001
	s_xor_b64 s[4:5], exec, -1
; %bb.2359:
	s_or_b64 exec, exec, s[8:9]
	s_and_b64 s[4:5], s[4:5], exec
                                        ; implicit-def: $vgpr14
	s_or_saveexec_b64 s[6:7], s[6:7]
	v_mov_b32_e32 v20, s10
	s_xor_b64 exec, exec, s[6:7]
	s_cbranch_execz .LBB8_310
.LBB8_2360:
	v_cmp_ne_u16_e32 vcc, 0, v14
	s_andn2_b64 s[4:5], s[4:5], exec
	s_and_b64 s[8:9], vcc, exec
	v_mov_b32_e32 v20, 0
	s_or_b64 s[4:5], s[4:5], s[8:9]
	s_or_b64 exec, exec, s[6:7]
	s_and_saveexec_b64 s[6:7], s[4:5]
	s_cbranch_execnz .LBB8_311
	s_branch .LBB8_312
.LBB8_2361:
	s_movk_i32 s4, 0x80
	v_cmp_eq_u16_sdwa s[12:13], v15, s4 src0_sel:BYTE_3 src1_sel:DWORD
	s_mov_b64 s[4:5], -1
                                        ; implicit-def: $sgpr10
	s_and_saveexec_b64 s[8:9], s[12:13]
; %bb.2362:
	s_mov_b32 s10, 0x7f800001
	s_xor_b64 s[4:5], exec, -1
; %bb.2363:
	s_or_b64 exec, exec, s[8:9]
	s_and_b64 s[4:5], s[4:5], exec
	s_or_saveexec_b64 s[6:7], s[6:7]
	v_mov_b32_e32 v10, s10
	s_xor_b64 exec, exec, s[6:7]
	s_cbranch_execz .LBB8_314
.LBB8_2364:
	v_mov_b32_e32 v10, 0
	v_cmp_ne_u16_sdwa s[8:9], v15, v10 src0_sel:BYTE_3 src1_sel:DWORD
	s_andn2_b64 s[4:5], s[4:5], exec
	s_and_b64 s[8:9], s[8:9], exec
	s_or_b64 s[4:5], s[4:5], s[8:9]
	s_or_b64 exec, exec, s[6:7]
	s_and_saveexec_b64 s[6:7], s[4:5]
	s_cbranch_execnz .LBB8_315
	s_branch .LBB8_316
.LBB8_2365:
	s_movk_i32 s4, 0x80
	v_cmp_eq_u16_sdwa s[12:13], v11, s4 src0_sel:BYTE_3 src1_sel:DWORD
	s_mov_b64 s[4:5], -1
                                        ; implicit-def: $sgpr10
	s_and_saveexec_b64 s[8:9], s[12:13]
; %bb.2366:
	s_mov_b32 s10, 0x7f800001
	s_xor_b64 s[4:5], exec, -1
; %bb.2367:
	s_or_b64 exec, exec, s[8:9]
	s_and_b64 s[4:5], s[4:5], exec
	s_or_saveexec_b64 s[6:7], s[6:7]
	v_mov_b32_e32 v14, s10
	s_xor_b64 exec, exec, s[6:7]
	s_cbranch_execz .LBB8_318
.LBB8_2368:
	v_mov_b32_e32 v14, 0
	v_cmp_ne_u16_sdwa s[8:9], v11, v14 src0_sel:BYTE_3 src1_sel:DWORD
	s_andn2_b64 s[4:5], s[4:5], exec
	s_and_b64 s[8:9], s[8:9], exec
	s_or_b64 s[4:5], s[4:5], s[8:9]
	s_or_b64 exec, exec, s[6:7]
	s_and_saveexec_b64 s[6:7], s[4:5]
	s_cbranch_execnz .LBB8_319
	s_branch .LBB8_320
.LBB8_2369:
	s_movk_i32 s4, 0x80
	v_cmp_eq_u16_sdwa s[12:13], v16, s4 src0_sel:BYTE_0 src1_sel:DWORD
	s_mov_b64 s[4:5], -1
                                        ; implicit-def: $sgpr10
	s_and_saveexec_b64 s[8:9], s[12:13]
; %bb.2370:
	s_mov_b32 s10, 0x7f800001
	s_xor_b64 s[4:5], exec, -1
; %bb.2371:
	s_or_b64 exec, exec, s[8:9]
	s_and_b64 s[4:5], s[4:5], exec
	s_or_saveexec_b64 s[6:7], s[6:7]
	v_mov_b32_e32 v10, s10
	s_xor_b64 exec, exec, s[6:7]
	s_cbranch_execz .LBB8_322
.LBB8_2372:
	v_mov_b32_e32 v10, 0
	v_cmp_ne_u16_sdwa s[8:9], v16, v10 src0_sel:BYTE_0 src1_sel:DWORD
	s_andn2_b64 s[4:5], s[4:5], exec
	s_and_b64 s[8:9], s[8:9], exec
	s_or_b64 s[4:5], s[4:5], s[8:9]
	s_or_b64 exec, exec, s[6:7]
	s_and_saveexec_b64 s[6:7], s[4:5]
	s_cbranch_execnz .LBB8_323
	s_branch .LBB8_324
.LBB8_2373:
	s_movk_i32 s4, 0x80
	v_cmp_eq_u16_sdwa s[12:13], v12, s4 src0_sel:BYTE_0 src1_sel:DWORD
	s_mov_b64 s[4:5], -1
                                        ; implicit-def: $sgpr10
	s_and_saveexec_b64 s[8:9], s[12:13]
; %bb.2374:
	s_mov_b32 s10, 0x7f800001
	s_xor_b64 s[4:5], exec, -1
; %bb.2375:
	s_or_b64 exec, exec, s[8:9]
	s_and_b64 s[4:5], s[4:5], exec
	s_or_saveexec_b64 s[6:7], s[6:7]
	v_mov_b32_e32 v11, s10
	s_xor_b64 exec, exec, s[6:7]
	s_cbranch_execz .LBB8_326
.LBB8_2376:
	v_mov_b32_e32 v11, 0
	v_cmp_ne_u16_sdwa s[8:9], v12, v11 src0_sel:BYTE_0 src1_sel:DWORD
	s_andn2_b64 s[4:5], s[4:5], exec
	s_and_b64 s[8:9], s[8:9], exec
	s_or_b64 s[4:5], s[4:5], s[8:9]
	s_or_b64 exec, exec, s[6:7]
	s_and_saveexec_b64 s[6:7], s[4:5]
	s_cbranch_execnz .LBB8_327
	s_branch .LBB8_328
.LBB8_2377:
	s_movk_i32 s4, 0x80
	v_cmp_eq_u16_sdwa s[12:13], v11, s4 src0_sel:BYTE_0 src1_sel:DWORD
	s_mov_b64 s[4:5], -1
                                        ; implicit-def: $sgpr10
	s_and_saveexec_b64 s[8:9], s[12:13]
; %bb.2378:
	s_mov_b32 s10, 0x7f800001
	s_xor_b64 s[4:5], exec, -1
; %bb.2379:
	s_or_b64 exec, exec, s[8:9]
	s_and_b64 s[4:5], s[4:5], exec
	s_or_saveexec_b64 s[6:7], s[6:7]
	v_mov_b32_e32 v10, s10
	s_xor_b64 exec, exec, s[6:7]
	s_cbranch_execz .LBB8_330
.LBB8_2380:
	v_mov_b32_e32 v10, 0
	v_cmp_ne_u16_sdwa s[8:9], v11, v10 src0_sel:BYTE_0 src1_sel:DWORD
	s_andn2_b64 s[4:5], s[4:5], exec
	s_and_b64 s[8:9], s[8:9], exec
	s_or_b64 s[4:5], s[4:5], s[8:9]
	s_or_b64 exec, exec, s[6:7]
	s_and_saveexec_b64 s[6:7], s[4:5]
	s_cbranch_execnz .LBB8_331
	s_branch .LBB8_332
.LBB8_2381:
	s_movk_i32 s4, 0x80
	v_cmp_eq_u16_sdwa s[12:13], v11, s4 src0_sel:BYTE_0 src1_sel:DWORD
	s_mov_b64 s[4:5], -1
                                        ; implicit-def: $sgpr10
	s_and_saveexec_b64 s[8:9], s[12:13]
; %bb.2382:
	s_mov_b32 s10, 0x7f800001
	s_xor_b64 s[4:5], exec, -1
; %bb.2383:
	s_or_b64 exec, exec, s[8:9]
	s_and_b64 s[4:5], s[4:5], exec
	s_or_saveexec_b64 s[6:7], s[6:7]
	v_mov_b32_e32 v14, s10
	s_xor_b64 exec, exec, s[6:7]
	s_cbranch_execz .LBB8_334
.LBB8_2384:
	v_mov_b32_e32 v14, 0
	v_cmp_ne_u16_sdwa s[8:9], v11, v14 src0_sel:BYTE_0 src1_sel:DWORD
	s_andn2_b64 s[4:5], s[4:5], exec
	s_and_b64 s[8:9], s[8:9], exec
	s_or_b64 s[4:5], s[4:5], s[8:9]
	s_or_b64 exec, exec, s[6:7]
	s_and_saveexec_b64 s[6:7], s[4:5]
	s_cbranch_execnz .LBB8_335
	s_branch .LBB8_336
.LBB8_2385:
	s_movk_i32 s4, 0x80
	v_cmp_eq_u16_e32 vcc, s4, v11
	s_mov_b64 s[4:5], -1
                                        ; implicit-def: $sgpr10
	s_and_saveexec_b64 s[8:9], vcc
; %bb.2386:
	s_mov_b32 s10, 0x7f800001
	s_xor_b64 s[4:5], exec, -1
; %bb.2387:
	s_or_b64 exec, exec, s[8:9]
	s_and_b64 s[4:5], s[4:5], exec
                                        ; implicit-def: $vgpr11
	s_or_saveexec_b64 s[6:7], s[6:7]
	v_mov_b32_e32 v10, s10
	s_xor_b64 exec, exec, s[6:7]
	s_cbranch_execz .LBB8_338
.LBB8_2388:
	v_cmp_ne_u16_e32 vcc, 0, v11
	s_andn2_b64 s[4:5], s[4:5], exec
	s_and_b64 s[8:9], vcc, exec
	v_mov_b32_e32 v10, 0
	s_or_b64 s[4:5], s[4:5], s[8:9]
	s_or_b64 exec, exec, s[6:7]
	s_and_saveexec_b64 s[6:7], s[4:5]
	s_cbranch_execnz .LBB8_339
	s_branch .LBB8_340
.LBB8_2389:
	s_movk_i32 s4, 0x80
	v_cmp_eq_u16_e32 vcc, s4, v11
	s_mov_b64 s[4:5], -1
                                        ; implicit-def: $sgpr10
	s_and_saveexec_b64 s[8:9], vcc
; %bb.2390:
	s_mov_b32 s10, 0x7f800001
	s_xor_b64 s[4:5], exec, -1
; %bb.2391:
	s_or_b64 exec, exec, s[8:9]
	s_and_b64 s[4:5], s[4:5], exec
                                        ; implicit-def: $vgpr11
	s_or_saveexec_b64 s[6:7], s[6:7]
	v_mov_b32_e32 v14, s10
	s_xor_b64 exec, exec, s[6:7]
	s_cbranch_execz .LBB8_342
.LBB8_2392:
	v_cmp_ne_u16_e32 vcc, 0, v11
	s_andn2_b64 s[4:5], s[4:5], exec
	s_and_b64 s[8:9], vcc, exec
	v_mov_b32_e32 v14, 0
	s_or_b64 s[4:5], s[4:5], s[8:9]
	s_or_b64 exec, exec, s[6:7]
	s_and_saveexec_b64 s[6:7], s[4:5]
	s_cbranch_execnz .LBB8_343
	s_branch .LBB8_344
.LBB8_2393:
	s_movk_i32 s4, 0x80
	v_cmp_eq_u16_sdwa s[12:13], v16, s4 src0_sel:BYTE_3 src1_sel:DWORD
	s_mov_b64 s[4:5], -1
                                        ; implicit-def: $sgpr10
	s_and_saveexec_b64 s[8:9], s[12:13]
; %bb.2394:
	s_mov_b32 s10, 0x7f800001
	s_xor_b64 s[4:5], exec, -1
; %bb.2395:
	s_or_b64 exec, exec, s[8:9]
	s_and_b64 s[4:5], s[4:5], exec
	s_or_saveexec_b64 s[6:7], s[6:7]
	v_mov_b32_e32 v10, s10
	s_xor_b64 exec, exec, s[6:7]
	s_cbranch_execz .LBB8_346
.LBB8_2396:
	v_mov_b32_e32 v10, 0
	v_cmp_ne_u16_sdwa s[8:9], v16, v10 src0_sel:BYTE_3 src1_sel:DWORD
	s_andn2_b64 s[4:5], s[4:5], exec
	s_and_b64 s[8:9], s[8:9], exec
	s_or_b64 s[4:5], s[4:5], s[8:9]
	s_or_b64 exec, exec, s[6:7]
	s_and_saveexec_b64 s[6:7], s[4:5]
	s_cbranch_execnz .LBB8_347
	s_branch .LBB8_348
.LBB8_2397:
	s_movk_i32 s4, 0x80
	v_cmp_eq_u16_sdwa s[12:13], v12, s4 src0_sel:BYTE_3 src1_sel:DWORD
	s_mov_b64 s[4:5], -1
                                        ; implicit-def: $sgpr10
	s_and_saveexec_b64 s[8:9], s[12:13]
; %bb.2398:
	s_mov_b32 s10, 0x7f800001
	s_xor_b64 s[4:5], exec, -1
; %bb.2399:
	s_or_b64 exec, exec, s[8:9]
	s_and_b64 s[4:5], s[4:5], exec
	s_or_saveexec_b64 s[6:7], s[6:7]
	v_mov_b32_e32 v11, s10
	s_xor_b64 exec, exec, s[6:7]
	s_cbranch_execz .LBB8_350
.LBB8_2400:
	v_mov_b32_e32 v11, 0
	v_cmp_ne_u16_sdwa s[8:9], v12, v11 src0_sel:BYTE_3 src1_sel:DWORD
	s_andn2_b64 s[4:5], s[4:5], exec
	s_and_b64 s[8:9], s[8:9], exec
	s_or_b64 s[4:5], s[4:5], s[8:9]
	s_or_b64 exec, exec, s[6:7]
	s_and_saveexec_b64 s[6:7], s[4:5]
	s_cbranch_execnz .LBB8_351
	s_branch .LBB8_352
.LBB8_2401:
	s_movk_i32 s4, 0x80
	v_cmp_eq_u16_sdwa s[12:13], v17, s4 src0_sel:BYTE_0 src1_sel:DWORD
	s_mov_b64 s[4:5], -1
                                        ; implicit-def: $sgpr10
	s_and_saveexec_b64 s[8:9], s[12:13]
; %bb.2402:
	s_mov_b32 s10, 0x7f800001
	s_xor_b64 s[4:5], exec, -1
; %bb.2403:
	s_or_b64 exec, exec, s[8:9]
	s_and_b64 s[4:5], s[4:5], exec
	s_or_saveexec_b64 s[6:7], s[6:7]
	v_mov_b32_e32 v10, s10
	s_xor_b64 exec, exec, s[6:7]
	s_cbranch_execz .LBB8_354
.LBB8_2404:
	v_mov_b32_e32 v10, 0
	v_cmp_ne_u16_sdwa s[8:9], v17, v10 src0_sel:BYTE_0 src1_sel:DWORD
	s_andn2_b64 s[4:5], s[4:5], exec
	s_and_b64 s[8:9], s[8:9], exec
	s_or_b64 s[4:5], s[4:5], s[8:9]
	s_or_b64 exec, exec, s[6:7]
	s_and_saveexec_b64 s[6:7], s[4:5]
	s_cbranch_execnz .LBB8_355
	s_branch .LBB8_356
.LBB8_2405:
	s_movk_i32 s4, 0x80
	v_cmp_eq_u16_sdwa s[12:13], v13, s4 src0_sel:BYTE_0 src1_sel:DWORD
	s_mov_b64 s[4:5], -1
                                        ; implicit-def: $sgpr10
	s_and_saveexec_b64 s[8:9], s[12:13]
; %bb.2406:
	s_mov_b32 s10, 0x7f800001
	s_xor_b64 s[4:5], exec, -1
; %bb.2407:
	s_or_b64 exec, exec, s[8:9]
	s_and_b64 s[4:5], s[4:5], exec
	s_or_saveexec_b64 s[6:7], s[6:7]
	v_mov_b32_e32 v11, s10
	s_xor_b64 exec, exec, s[6:7]
	s_cbranch_execz .LBB8_358
.LBB8_2408:
	v_mov_b32_e32 v11, 0
	v_cmp_ne_u16_sdwa s[8:9], v13, v11 src0_sel:BYTE_0 src1_sel:DWORD
	s_andn2_b64 s[4:5], s[4:5], exec
	s_and_b64 s[8:9], s[8:9], exec
	s_or_b64 s[4:5], s[4:5], s[8:9]
	s_or_b64 exec, exec, s[6:7]
	s_and_saveexec_b64 s[6:7], s[4:5]
	s_cbranch_execnz .LBB8_359
	s_branch .LBB8_360
.LBB8_2409:
	s_movk_i32 s4, 0x80
	v_cmp_eq_u16_sdwa s[12:13], v11, s4 src0_sel:BYTE_0 src1_sel:DWORD
	s_mov_b64 s[4:5], -1
                                        ; implicit-def: $sgpr10
	s_and_saveexec_b64 s[8:9], s[12:13]
; %bb.2410:
	s_mov_b32 s10, 0x7f800001
	s_xor_b64 s[4:5], exec, -1
; %bb.2411:
	s_or_b64 exec, exec, s[8:9]
	s_and_b64 s[4:5], s[4:5], exec
	s_or_saveexec_b64 s[6:7], s[6:7]
	v_mov_b32_e32 v10, s10
	s_xor_b64 exec, exec, s[6:7]
	s_cbranch_execz .LBB8_362
.LBB8_2412:
	v_mov_b32_e32 v10, 0
	v_cmp_ne_u16_sdwa s[8:9], v11, v10 src0_sel:BYTE_0 src1_sel:DWORD
	s_andn2_b64 s[4:5], s[4:5], exec
	s_and_b64 s[8:9], s[8:9], exec
	s_or_b64 s[4:5], s[4:5], s[8:9]
	s_or_b64 exec, exec, s[6:7]
	s_and_saveexec_b64 s[6:7], s[4:5]
	s_cbranch_execnz .LBB8_363
	s_branch .LBB8_364
.LBB8_2413:
	s_movk_i32 s4, 0x80
	v_cmp_eq_u16_sdwa s[12:13], v11, s4 src0_sel:BYTE_0 src1_sel:DWORD
	s_mov_b64 s[4:5], -1
                                        ; implicit-def: $sgpr10
	s_and_saveexec_b64 s[8:9], s[12:13]
; %bb.2414:
	s_mov_b32 s10, 0x7f800001
	s_xor_b64 s[4:5], exec, -1
; %bb.2415:
	s_or_b64 exec, exec, s[8:9]
	s_and_b64 s[4:5], s[4:5], exec
	s_or_saveexec_b64 s[6:7], s[6:7]
	v_mov_b32_e32 v12, s10
	s_xor_b64 exec, exec, s[6:7]
	s_cbranch_execz .LBB8_366
.LBB8_2416:
	v_mov_b32_e32 v12, 0
	v_cmp_ne_u16_sdwa s[8:9], v11, v12 src0_sel:BYTE_0 src1_sel:DWORD
	s_andn2_b64 s[4:5], s[4:5], exec
	s_and_b64 s[8:9], s[8:9], exec
	s_or_b64 s[4:5], s[4:5], s[8:9]
	s_or_b64 exec, exec, s[6:7]
	s_and_saveexec_b64 s[6:7], s[4:5]
	s_cbranch_execnz .LBB8_367
	s_branch .LBB8_368
.LBB8_2417:
	s_movk_i32 s4, 0x80
	v_cmp_eq_u16_e32 vcc, s4, v11
	s_mov_b64 s[4:5], -1
                                        ; implicit-def: $sgpr10
	s_and_saveexec_b64 s[8:9], vcc
; %bb.2418:
	s_mov_b32 s10, 0x7f800001
	s_xor_b64 s[4:5], exec, -1
; %bb.2419:
	s_or_b64 exec, exec, s[8:9]
	s_and_b64 s[4:5], s[4:5], exec
                                        ; implicit-def: $vgpr11
	s_or_saveexec_b64 s[6:7], s[6:7]
	v_mov_b32_e32 v10, s10
	s_xor_b64 exec, exec, s[6:7]
	s_cbranch_execz .LBB8_370
.LBB8_2420:
	v_cmp_ne_u16_e32 vcc, 0, v11
	s_andn2_b64 s[4:5], s[4:5], exec
	s_and_b64 s[8:9], vcc, exec
	v_mov_b32_e32 v10, 0
	s_or_b64 s[4:5], s[4:5], s[8:9]
	s_or_b64 exec, exec, s[6:7]
	s_and_saveexec_b64 s[6:7], s[4:5]
	s_cbranch_execnz .LBB8_371
	s_branch .LBB8_372
.LBB8_2421:
	s_movk_i32 s4, 0x80
	v_cmp_eq_u16_e32 vcc, s4, v11
	s_mov_b64 s[4:5], -1
                                        ; implicit-def: $sgpr10
	s_and_saveexec_b64 s[8:9], vcc
; %bb.2422:
	s_mov_b32 s10, 0x7f800001
	s_xor_b64 s[4:5], exec, -1
; %bb.2423:
	s_or_b64 exec, exec, s[8:9]
	s_and_b64 s[4:5], s[4:5], exec
                                        ; implicit-def: $vgpr11
	s_or_saveexec_b64 s[6:7], s[6:7]
	v_mov_b32_e32 v12, s10
	s_xor_b64 exec, exec, s[6:7]
	s_cbranch_execz .LBB8_374
.LBB8_2424:
	v_cmp_ne_u16_e32 vcc, 0, v11
	s_andn2_b64 s[4:5], s[4:5], exec
	s_and_b64 s[8:9], vcc, exec
	v_mov_b32_e32 v12, 0
	s_or_b64 s[4:5], s[4:5], s[8:9]
	s_or_b64 exec, exec, s[6:7]
	s_and_saveexec_b64 s[6:7], s[4:5]
	s_cbranch_execnz .LBB8_375
	s_branch .LBB8_376
.LBB8_2425:
	s_movk_i32 s4, 0x80
	v_cmp_eq_u16_sdwa s[12:13], v17, s4 src0_sel:BYTE_3 src1_sel:DWORD
	s_mov_b64 s[4:5], -1
                                        ; implicit-def: $sgpr10
	s_and_saveexec_b64 s[8:9], s[12:13]
; %bb.2426:
	s_mov_b32 s10, 0x7f800001
	s_xor_b64 s[4:5], exec, -1
; %bb.2427:
	s_or_b64 exec, exec, s[8:9]
	s_and_b64 s[4:5], s[4:5], exec
	s_or_saveexec_b64 s[6:7], s[6:7]
	v_mov_b32_e32 v10, s10
	s_xor_b64 exec, exec, s[6:7]
	s_cbranch_execz .LBB8_378
.LBB8_2428:
	v_mov_b32_e32 v10, 0
	v_cmp_ne_u16_sdwa s[8:9], v17, v10 src0_sel:BYTE_3 src1_sel:DWORD
	s_andn2_b64 s[4:5], s[4:5], exec
	s_and_b64 s[8:9], s[8:9], exec
	s_or_b64 s[4:5], s[4:5], s[8:9]
	s_or_b64 exec, exec, s[6:7]
	s_and_saveexec_b64 s[6:7], s[4:5]
	s_cbranch_execnz .LBB8_379
	s_branch .LBB8_380
.LBB8_2429:
	s_movk_i32 s4, 0x80
	v_cmp_eq_u16_sdwa s[12:13], v13, s4 src0_sel:BYTE_3 src1_sel:DWORD
	s_mov_b64 s[4:5], -1
                                        ; implicit-def: $sgpr10
	s_and_saveexec_b64 s[8:9], s[12:13]
; %bb.2430:
	s_mov_b32 s10, 0x7f800001
	s_xor_b64 s[4:5], exec, -1
; %bb.2431:
	s_or_b64 exec, exec, s[8:9]
	s_and_b64 s[4:5], s[4:5], exec
	s_or_saveexec_b64 s[6:7], s[6:7]
	v_mov_b32_e32 v11, s10
	s_xor_b64 exec, exec, s[6:7]
	s_cbranch_execz .LBB8_382
.LBB8_2432:
	v_mov_b32_e32 v11, 0
	v_cmp_ne_u16_sdwa s[8:9], v13, v11 src0_sel:BYTE_3 src1_sel:DWORD
	s_andn2_b64 s[4:5], s[4:5], exec
	s_and_b64 s[8:9], s[8:9], exec
	s_or_b64 s[4:5], s[4:5], s[8:9]
	s_or_b64 exec, exec, s[6:7]
	s_and_saveexec_b64 s[6:7], s[4:5]
	s_cbranch_execnz .LBB8_383
	s_branch .LBB8_384
.LBB8_2433:
	s_movk_i32 s4, 0x80
	v_cmp_eq_u16_sdwa s[12:13], v6, s4 src0_sel:BYTE_0 src1_sel:DWORD
	s_mov_b64 s[4:5], -1
                                        ; implicit-def: $sgpr10
	s_and_saveexec_b64 s[8:9], s[12:13]
; %bb.2434:
	s_mov_b32 s10, 0x7f800001
	s_xor_b64 s[4:5], exec, -1
; %bb.2435:
	s_or_b64 exec, exec, s[8:9]
	s_and_b64 s[4:5], s[4:5], exec
	s_or_saveexec_b64 s[6:7], s[6:7]
	v_mov_b32_e32 v10, s10
	s_xor_b64 exec, exec, s[6:7]
	s_cbranch_execz .LBB8_386
.LBB8_2436:
	v_mov_b32_e32 v10, 0
	v_cmp_ne_u16_sdwa s[8:9], v6, v10 src0_sel:BYTE_0 src1_sel:DWORD
	s_andn2_b64 s[4:5], s[4:5], exec
	s_and_b64 s[8:9], s[8:9], exec
	s_or_b64 s[4:5], s[4:5], s[8:9]
	s_or_b64 exec, exec, s[6:7]
	s_and_saveexec_b64 s[6:7], s[4:5]
	s_cbranch_execnz .LBB8_387
	s_branch .LBB8_388
.LBB8_2437:
	s_movk_i32 s4, 0x80
	v_cmp_eq_u16_sdwa s[12:13], v2, s4 src0_sel:BYTE_0 src1_sel:DWORD
	s_mov_b64 s[4:5], -1
                                        ; implicit-def: $sgpr10
	s_and_saveexec_b64 s[8:9], s[12:13]
; %bb.2438:
	s_mov_b32 s10, 0x7f800001
	s_xor_b64 s[4:5], exec, -1
; %bb.2439:
	s_or_b64 exec, exec, s[8:9]
	s_and_b64 s[4:5], s[4:5], exec
	s_or_saveexec_b64 s[6:7], s[6:7]
	v_mov_b32_e32 v11, s10
	s_xor_b64 exec, exec, s[6:7]
	s_cbranch_execz .LBB8_390
.LBB8_2440:
	v_mov_b32_e32 v11, 0
	v_cmp_ne_u16_sdwa s[8:9], v2, v11 src0_sel:BYTE_0 src1_sel:DWORD
	s_andn2_b64 s[4:5], s[4:5], exec
	s_and_b64 s[8:9], s[8:9], exec
	s_or_b64 s[4:5], s[4:5], s[8:9]
	s_or_b64 exec, exec, s[6:7]
	s_and_saveexec_b64 s[6:7], s[4:5]
	s_cbranch_execnz .LBB8_391
	s_branch .LBB8_392
.LBB8_2441:
	s_movk_i32 s4, 0x80
	v_cmp_eq_u16_sdwa s[12:13], v11, s4 src0_sel:BYTE_0 src1_sel:DWORD
	s_mov_b64 s[4:5], -1
                                        ; implicit-def: $sgpr10
	s_and_saveexec_b64 s[8:9], s[12:13]
; %bb.2442:
	s_mov_b32 s10, 0x7f800001
	s_xor_b64 s[4:5], exec, -1
; %bb.2443:
	s_or_b64 exec, exec, s[8:9]
	s_and_b64 s[4:5], s[4:5], exec
	s_or_saveexec_b64 s[6:7], s[6:7]
	v_mov_b32_e32 v10, s10
	s_xor_b64 exec, exec, s[6:7]
	s_cbranch_execz .LBB8_394
.LBB8_2444:
	v_mov_b32_e32 v10, 0
	v_cmp_ne_u16_sdwa s[8:9], v11, v10 src0_sel:BYTE_0 src1_sel:DWORD
	s_andn2_b64 s[4:5], s[4:5], exec
	s_and_b64 s[8:9], s[8:9], exec
	s_or_b64 s[4:5], s[4:5], s[8:9]
	s_or_b64 exec, exec, s[6:7]
	s_and_saveexec_b64 s[6:7], s[4:5]
	s_cbranch_execnz .LBB8_395
	s_branch .LBB8_396
.LBB8_2445:
	s_movk_i32 s4, 0x80
	v_cmp_eq_u16_sdwa s[12:13], v11, s4 src0_sel:BYTE_0 src1_sel:DWORD
	s_mov_b64 s[4:5], -1
                                        ; implicit-def: $sgpr10
	s_and_saveexec_b64 s[8:9], s[12:13]
; %bb.2446:
	s_mov_b32 s10, 0x7f800001
	s_xor_b64 s[4:5], exec, -1
; %bb.2447:
	s_or_b64 exec, exec, s[8:9]
	s_and_b64 s[4:5], s[4:5], exec
	s_or_saveexec_b64 s[6:7], s[6:7]
	v_mov_b32_e32 v12, s10
	s_xor_b64 exec, exec, s[6:7]
	s_cbranch_execz .LBB8_398
.LBB8_2448:
	v_mov_b32_e32 v12, 0
	v_cmp_ne_u16_sdwa s[8:9], v11, v12 src0_sel:BYTE_0 src1_sel:DWORD
	s_andn2_b64 s[4:5], s[4:5], exec
	s_and_b64 s[8:9], s[8:9], exec
	s_or_b64 s[4:5], s[4:5], s[8:9]
	s_or_b64 exec, exec, s[6:7]
	s_and_saveexec_b64 s[6:7], s[4:5]
	s_cbranch_execnz .LBB8_399
	s_branch .LBB8_400
.LBB8_2449:
	s_movk_i32 s4, 0x80
	v_cmp_eq_u16_e32 vcc, s4, v11
	s_mov_b64 s[4:5], -1
                                        ; implicit-def: $sgpr10
	s_and_saveexec_b64 s[8:9], vcc
; %bb.2450:
	s_mov_b32 s10, 0x7f800001
	s_xor_b64 s[4:5], exec, -1
; %bb.2451:
	s_or_b64 exec, exec, s[8:9]
	s_and_b64 s[4:5], s[4:5], exec
                                        ; implicit-def: $vgpr11
	s_or_saveexec_b64 s[6:7], s[6:7]
	v_mov_b32_e32 v10, s10
	s_xor_b64 exec, exec, s[6:7]
	s_cbranch_execz .LBB8_402
.LBB8_2452:
	v_cmp_ne_u16_e32 vcc, 0, v11
	s_andn2_b64 s[4:5], s[4:5], exec
	s_and_b64 s[8:9], vcc, exec
	v_mov_b32_e32 v10, 0
	s_or_b64 s[4:5], s[4:5], s[8:9]
	s_or_b64 exec, exec, s[6:7]
	s_and_saveexec_b64 s[6:7], s[4:5]
	s_cbranch_execnz .LBB8_403
	s_branch .LBB8_404
.LBB8_2453:
	s_movk_i32 s4, 0x80
	v_cmp_eq_u16_e32 vcc, s4, v11
	s_mov_b64 s[4:5], -1
                                        ; implicit-def: $sgpr10
	s_and_saveexec_b64 s[8:9], vcc
; %bb.2454:
	s_mov_b32 s10, 0x7f800001
	s_xor_b64 s[4:5], exec, -1
; %bb.2455:
	s_or_b64 exec, exec, s[8:9]
	s_and_b64 s[4:5], s[4:5], exec
                                        ; implicit-def: $vgpr11
	s_or_saveexec_b64 s[6:7], s[6:7]
	v_mov_b32_e32 v12, s10
	s_xor_b64 exec, exec, s[6:7]
	s_cbranch_execz .LBB8_406
.LBB8_2456:
	v_cmp_ne_u16_e32 vcc, 0, v11
	s_andn2_b64 s[4:5], s[4:5], exec
	s_and_b64 s[8:9], vcc, exec
	v_mov_b32_e32 v12, 0
	s_or_b64 s[4:5], s[4:5], s[8:9]
	s_or_b64 exec, exec, s[6:7]
	s_and_saveexec_b64 s[6:7], s[4:5]
	s_cbranch_execnz .LBB8_407
	s_branch .LBB8_408
.LBB8_2457:
	s_movk_i32 s4, 0x80
	v_cmp_eq_u16_sdwa s[12:13], v6, s4 src0_sel:BYTE_3 src1_sel:DWORD
	s_mov_b64 s[4:5], -1
                                        ; implicit-def: $sgpr10
	s_and_saveexec_b64 s[8:9], s[12:13]
; %bb.2458:
	s_mov_b32 s10, 0x7f800001
	s_xor_b64 s[4:5], exec, -1
; %bb.2459:
	s_or_b64 exec, exec, s[8:9]
	s_and_b64 s[4:5], s[4:5], exec
	s_or_saveexec_b64 s[6:7], s[6:7]
	v_mov_b32_e32 v10, s10
	s_xor_b64 exec, exec, s[6:7]
	s_cbranch_execz .LBB8_410
.LBB8_2460:
	v_mov_b32_e32 v10, 0
	v_cmp_ne_u16_sdwa s[8:9], v6, v10 src0_sel:BYTE_3 src1_sel:DWORD
	s_andn2_b64 s[4:5], s[4:5], exec
	s_and_b64 s[8:9], s[8:9], exec
	s_or_b64 s[4:5], s[4:5], s[8:9]
	s_or_b64 exec, exec, s[6:7]
	s_and_saveexec_b64 s[6:7], s[4:5]
	s_cbranch_execnz .LBB8_411
	s_branch .LBB8_412
.LBB8_2461:
	s_movk_i32 s4, 0x80
	v_cmp_eq_u16_sdwa s[12:13], v2, s4 src0_sel:BYTE_3 src1_sel:DWORD
	s_mov_b64 s[4:5], -1
                                        ; implicit-def: $sgpr10
	s_and_saveexec_b64 s[8:9], s[12:13]
; %bb.2462:
	s_mov_b32 s10, 0x7f800001
	s_xor_b64 s[4:5], exec, -1
; %bb.2463:
	s_or_b64 exec, exec, s[8:9]
	s_and_b64 s[4:5], s[4:5], exec
	s_or_saveexec_b64 s[6:7], s[6:7]
	v_mov_b32_e32 v6, s10
	s_xor_b64 exec, exec, s[6:7]
	s_cbranch_execz .LBB8_414
.LBB8_2464:
	v_mov_b32_e32 v6, 0
	v_cmp_ne_u16_sdwa s[8:9], v2, v6 src0_sel:BYTE_3 src1_sel:DWORD
	s_andn2_b64 s[4:5], s[4:5], exec
	s_and_b64 s[8:9], s[8:9], exec
	s_or_b64 s[4:5], s[4:5], s[8:9]
	s_or_b64 exec, exec, s[6:7]
	s_and_saveexec_b64 s[6:7], s[4:5]
	s_cbranch_execnz .LBB8_415
	s_branch .LBB8_416
.LBB8_2465:
	s_movk_i32 s4, 0x80
	v_cmp_eq_u16_sdwa s[12:13], v7, s4 src0_sel:BYTE_0 src1_sel:DWORD
	s_mov_b64 s[4:5], -1
                                        ; implicit-def: $sgpr10
	s_and_saveexec_b64 s[8:9], s[12:13]
; %bb.2466:
	s_mov_b32 s10, 0x7f800001
	s_xor_b64 s[4:5], exec, -1
; %bb.2467:
	s_or_b64 exec, exec, s[8:9]
	s_and_b64 s[4:5], s[4:5], exec
	s_or_saveexec_b64 s[6:7], s[6:7]
	v_mov_b32_e32 v2, s10
	s_xor_b64 exec, exec, s[6:7]
	s_cbranch_execz .LBB8_418
.LBB8_2468:
	v_mov_b32_e32 v2, 0
	v_cmp_ne_u16_sdwa s[8:9], v7, v2 src0_sel:BYTE_0 src1_sel:DWORD
	s_andn2_b64 s[4:5], s[4:5], exec
	s_and_b64 s[8:9], s[8:9], exec
	s_or_b64 s[4:5], s[4:5], s[8:9]
	s_or_b64 exec, exec, s[6:7]
	s_and_saveexec_b64 s[6:7], s[4:5]
	s_cbranch_execnz .LBB8_419
	s_branch .LBB8_420
.LBB8_2469:
	s_movk_i32 s4, 0x80
	v_cmp_eq_u16_sdwa s[12:13], v3, s4 src0_sel:BYTE_0 src1_sel:DWORD
	s_mov_b64 s[4:5], -1
                                        ; implicit-def: $sgpr10
	s_and_saveexec_b64 s[8:9], s[12:13]
; %bb.2470:
	s_mov_b32 s10, 0x7f800001
	s_xor_b64 s[4:5], exec, -1
; %bb.2471:
	s_or_b64 exec, exec, s[8:9]
	s_and_b64 s[4:5], s[4:5], exec
	s_or_saveexec_b64 s[6:7], s[6:7]
	v_mov_b32_e32 v6, s10
	s_xor_b64 exec, exec, s[6:7]
	s_cbranch_execz .LBB8_422
.LBB8_2472:
	v_mov_b32_e32 v6, 0
	v_cmp_ne_u16_sdwa s[8:9], v3, v6 src0_sel:BYTE_0 src1_sel:DWORD
	s_andn2_b64 s[4:5], s[4:5], exec
	s_and_b64 s[8:9], s[8:9], exec
	s_or_b64 s[4:5], s[4:5], s[8:9]
	s_or_b64 exec, exec, s[6:7]
	s_and_saveexec_b64 s[6:7], s[4:5]
	s_cbranch_execnz .LBB8_423
	s_branch .LBB8_424
.LBB8_2473:
	s_movk_i32 s4, 0x80
	v_cmp_eq_u16_sdwa s[12:13], v6, s4 src0_sel:BYTE_0 src1_sel:DWORD
	s_mov_b64 s[4:5], -1
                                        ; implicit-def: $sgpr10
	s_and_saveexec_b64 s[8:9], s[12:13]
; %bb.2474:
	s_mov_b32 s10, 0x7f800001
	s_xor_b64 s[4:5], exec, -1
; %bb.2475:
	s_or_b64 exec, exec, s[8:9]
	s_and_b64 s[4:5], s[4:5], exec
	s_or_saveexec_b64 s[6:7], s[6:7]
	v_mov_b32_e32 v2, s10
	s_xor_b64 exec, exec, s[6:7]
	s_cbranch_execz .LBB8_426
.LBB8_2476:
	v_mov_b32_e32 v2, 0
	v_cmp_ne_u16_sdwa s[8:9], v6, v2 src0_sel:BYTE_0 src1_sel:DWORD
	s_andn2_b64 s[4:5], s[4:5], exec
	s_and_b64 s[8:9], s[8:9], exec
	s_or_b64 s[4:5], s[4:5], s[8:9]
	s_or_b64 exec, exec, s[6:7]
	s_and_saveexec_b64 s[6:7], s[4:5]
	s_cbranch_execnz .LBB8_427
	s_branch .LBB8_428
.LBB8_2477:
	s_movk_i32 s4, 0x80
	v_cmp_eq_u16_sdwa s[12:13], v6, s4 src0_sel:BYTE_0 src1_sel:DWORD
	s_mov_b64 s[4:5], -1
                                        ; implicit-def: $sgpr10
	s_and_saveexec_b64 s[8:9], s[12:13]
; %bb.2478:
	s_mov_b32 s10, 0x7f800001
	s_xor_b64 s[4:5], exec, -1
; %bb.2479:
	s_or_b64 exec, exec, s[8:9]
	s_and_b64 s[4:5], s[4:5], exec
	s_or_saveexec_b64 s[6:7], s[6:7]
	v_mov_b32_e32 v10, s10
	s_xor_b64 exec, exec, s[6:7]
	s_cbranch_execz .LBB8_430
.LBB8_2480:
	v_mov_b32_e32 v10, 0
	v_cmp_ne_u16_sdwa s[8:9], v6, v10 src0_sel:BYTE_0 src1_sel:DWORD
	s_andn2_b64 s[4:5], s[4:5], exec
	s_and_b64 s[8:9], s[8:9], exec
	s_or_b64 s[4:5], s[4:5], s[8:9]
	s_or_b64 exec, exec, s[6:7]
	s_and_saveexec_b64 s[6:7], s[4:5]
	s_cbranch_execnz .LBB8_431
	s_branch .LBB8_432
.LBB8_2481:
	s_movk_i32 s4, 0x80
	v_cmp_eq_u16_e32 vcc, s4, v6
	s_mov_b64 s[4:5], -1
                                        ; implicit-def: $sgpr10
	s_and_saveexec_b64 s[8:9], vcc
; %bb.2482:
	s_mov_b32 s10, 0x7f800001
	s_xor_b64 s[4:5], exec, -1
; %bb.2483:
	s_or_b64 exec, exec, s[8:9]
	s_and_b64 s[4:5], s[4:5], exec
                                        ; implicit-def: $vgpr6
	s_or_saveexec_b64 s[6:7], s[6:7]
	v_mov_b32_e32 v2, s10
	s_xor_b64 exec, exec, s[6:7]
	s_cbranch_execz .LBB8_434
.LBB8_2484:
	v_cmp_ne_u16_e32 vcc, 0, v6
	s_andn2_b64 s[4:5], s[4:5], exec
	s_and_b64 s[8:9], vcc, exec
	v_mov_b32_e32 v2, 0
	s_or_b64 s[4:5], s[4:5], s[8:9]
	s_or_b64 exec, exec, s[6:7]
	s_and_saveexec_b64 s[6:7], s[4:5]
	s_cbranch_execnz .LBB8_435
	s_branch .LBB8_436
.LBB8_2485:
	s_movk_i32 s4, 0x80
	v_cmp_eq_u16_e32 vcc, s4, v6
	s_mov_b64 s[4:5], -1
                                        ; implicit-def: $sgpr10
	s_and_saveexec_b64 s[8:9], vcc
; %bb.2486:
	s_mov_b32 s10, 0x7f800001
	s_xor_b64 s[4:5], exec, -1
; %bb.2487:
	s_or_b64 exec, exec, s[8:9]
	s_and_b64 s[4:5], s[4:5], exec
                                        ; implicit-def: $vgpr6
	s_or_saveexec_b64 s[6:7], s[6:7]
	v_mov_b32_e32 v10, s10
	s_xor_b64 exec, exec, s[6:7]
	s_cbranch_execz .LBB8_438
.LBB8_2488:
	v_cmp_ne_u16_e32 vcc, 0, v6
	s_andn2_b64 s[4:5], s[4:5], exec
	s_and_b64 s[8:9], vcc, exec
	v_mov_b32_e32 v10, 0
	s_or_b64 s[4:5], s[4:5], s[8:9]
	s_or_b64 exec, exec, s[6:7]
	s_and_saveexec_b64 s[6:7], s[4:5]
	s_cbranch_execnz .LBB8_439
	s_branch .LBB8_440
.LBB8_2489:
	s_movk_i32 s4, 0x80
	v_cmp_eq_u16_sdwa s[12:13], v7, s4 src0_sel:BYTE_3 src1_sel:DWORD
	s_mov_b64 s[4:5], -1
                                        ; implicit-def: $sgpr10
	s_and_saveexec_b64 s[8:9], s[12:13]
; %bb.2490:
	s_mov_b32 s10, 0x7f800001
	s_xor_b64 s[4:5], exec, -1
; %bb.2491:
	s_or_b64 exec, exec, s[8:9]
	s_and_b64 s[4:5], s[4:5], exec
	s_or_saveexec_b64 s[6:7], s[6:7]
	v_mov_b32_e32 v2, s10
	s_xor_b64 exec, exec, s[6:7]
	s_cbranch_execz .LBB8_442
.LBB8_2492:
	v_mov_b32_e32 v2, 0
	v_cmp_ne_u16_sdwa s[8:9], v7, v2 src0_sel:BYTE_3 src1_sel:DWORD
	s_andn2_b64 s[4:5], s[4:5], exec
	s_and_b64 s[8:9], s[8:9], exec
	s_or_b64 s[4:5], s[4:5], s[8:9]
	s_or_b64 exec, exec, s[6:7]
	s_and_saveexec_b64 s[6:7], s[4:5]
	s_cbranch_execnz .LBB8_443
	s_branch .LBB8_444
.LBB8_2493:
	s_movk_i32 s4, 0x80
	v_cmp_eq_u16_sdwa s[12:13], v3, s4 src0_sel:BYTE_3 src1_sel:DWORD
	s_mov_b64 s[4:5], -1
                                        ; implicit-def: $sgpr10
	s_and_saveexec_b64 s[8:9], s[12:13]
; %bb.2494:
	s_mov_b32 s10, 0x7f800001
	s_xor_b64 s[4:5], exec, -1
; %bb.2495:
	s_or_b64 exec, exec, s[8:9]
	s_and_b64 s[4:5], s[4:5], exec
	s_or_saveexec_b64 s[6:7], s[6:7]
	v_mov_b32_e32 v6, s10
	s_xor_b64 exec, exec, s[6:7]
	s_cbranch_execz .LBB8_446
.LBB8_2496:
	v_mov_b32_e32 v6, 0
	v_cmp_ne_u16_sdwa s[8:9], v3, v6 src0_sel:BYTE_3 src1_sel:DWORD
	s_andn2_b64 s[4:5], s[4:5], exec
	s_and_b64 s[8:9], s[8:9], exec
	s_or_b64 s[4:5], s[4:5], s[8:9]
	s_or_b64 exec, exec, s[6:7]
	s_and_saveexec_b64 s[6:7], s[4:5]
	s_cbranch_execnz .LBB8_447
	s_branch .LBB8_448
.LBB8_2497:
	s_movk_i32 s4, 0x80
	v_cmp_eq_u16_sdwa s[12:13], v8, s4 src0_sel:BYTE_0 src1_sel:DWORD
	s_mov_b64 s[4:5], -1
                                        ; implicit-def: $sgpr10
	s_and_saveexec_b64 s[8:9], s[12:13]
; %bb.2498:
	s_mov_b32 s10, 0x7f800001
	s_xor_b64 s[4:5], exec, -1
; %bb.2499:
	s_or_b64 exec, exec, s[8:9]
	s_and_b64 s[4:5], s[4:5], exec
	s_or_saveexec_b64 s[6:7], s[6:7]
	v_mov_b32_e32 v2, s10
	s_xor_b64 exec, exec, s[6:7]
	s_cbranch_execz .LBB8_450
.LBB8_2500:
	v_mov_b32_e32 v2, 0
	v_cmp_ne_u16_sdwa s[8:9], v8, v2 src0_sel:BYTE_0 src1_sel:DWORD
	s_andn2_b64 s[4:5], s[4:5], exec
	s_and_b64 s[8:9], s[8:9], exec
	s_or_b64 s[4:5], s[4:5], s[8:9]
	s_or_b64 exec, exec, s[6:7]
	s_and_saveexec_b64 s[6:7], s[4:5]
	s_cbranch_execnz .LBB8_451
	s_branch .LBB8_452
.LBB8_2501:
	s_movk_i32 s4, 0x80
	v_cmp_eq_u16_sdwa s[12:13], v4, s4 src0_sel:BYTE_0 src1_sel:DWORD
	s_mov_b64 s[4:5], -1
                                        ; implicit-def: $sgpr10
	s_and_saveexec_b64 s[8:9], s[12:13]
; %bb.2502:
	s_mov_b32 s10, 0x7f800001
	s_xor_b64 s[4:5], exec, -1
; %bb.2503:
	s_or_b64 exec, exec, s[8:9]
	s_and_b64 s[4:5], s[4:5], exec
	s_or_saveexec_b64 s[6:7], s[6:7]
	v_mov_b32_e32 v3, s10
	s_xor_b64 exec, exec, s[6:7]
	s_cbranch_execz .LBB8_454
.LBB8_2504:
	v_mov_b32_e32 v3, 0
	v_cmp_ne_u16_sdwa s[8:9], v4, v3 src0_sel:BYTE_0 src1_sel:DWORD
	s_andn2_b64 s[4:5], s[4:5], exec
	s_and_b64 s[8:9], s[8:9], exec
	s_or_b64 s[4:5], s[4:5], s[8:9]
	s_or_b64 exec, exec, s[6:7]
	s_and_saveexec_b64 s[6:7], s[4:5]
	s_cbranch_execnz .LBB8_455
	s_branch .LBB8_456
.LBB8_2505:
	s_movk_i32 s4, 0x80
	v_cmp_eq_u16_sdwa s[12:13], v3, s4 src0_sel:BYTE_0 src1_sel:DWORD
	s_mov_b64 s[4:5], -1
                                        ; implicit-def: $sgpr10
	s_and_saveexec_b64 s[8:9], s[12:13]
; %bb.2506:
	s_mov_b32 s10, 0x7f800001
	s_xor_b64 s[4:5], exec, -1
; %bb.2507:
	s_or_b64 exec, exec, s[8:9]
	s_and_b64 s[4:5], s[4:5], exec
	s_or_saveexec_b64 s[6:7], s[6:7]
	v_mov_b32_e32 v2, s10
	s_xor_b64 exec, exec, s[6:7]
	s_cbranch_execz .LBB8_458
.LBB8_2508:
	v_mov_b32_e32 v2, 0
	v_cmp_ne_u16_sdwa s[8:9], v3, v2 src0_sel:BYTE_0 src1_sel:DWORD
	s_andn2_b64 s[4:5], s[4:5], exec
	s_and_b64 s[8:9], s[8:9], exec
	s_or_b64 s[4:5], s[4:5], s[8:9]
	s_or_b64 exec, exec, s[6:7]
	s_and_saveexec_b64 s[6:7], s[4:5]
	s_cbranch_execnz .LBB8_459
	s_branch .LBB8_460
.LBB8_2509:
	s_movk_i32 s4, 0x80
	v_cmp_eq_u16_sdwa s[12:13], v3, s4 src0_sel:BYTE_0 src1_sel:DWORD
	s_mov_b64 s[4:5], -1
                                        ; implicit-def: $sgpr10
	s_and_saveexec_b64 s[8:9], s[12:13]
; %bb.2510:
	s_mov_b32 s10, 0x7f800001
	s_xor_b64 s[4:5], exec, -1
; %bb.2511:
	s_or_b64 exec, exec, s[8:9]
	s_and_b64 s[4:5], s[4:5], exec
	s_or_saveexec_b64 s[6:7], s[6:7]
	v_mov_b32_e32 v6, s10
	s_xor_b64 exec, exec, s[6:7]
	s_cbranch_execz .LBB8_462
.LBB8_2512:
	v_mov_b32_e32 v6, 0
	v_cmp_ne_u16_sdwa s[8:9], v3, v6 src0_sel:BYTE_0 src1_sel:DWORD
	s_andn2_b64 s[4:5], s[4:5], exec
	s_and_b64 s[8:9], s[8:9], exec
	s_or_b64 s[4:5], s[4:5], s[8:9]
	s_or_b64 exec, exec, s[6:7]
	s_and_saveexec_b64 s[6:7], s[4:5]
	s_cbranch_execnz .LBB8_463
	s_branch .LBB8_464
.LBB8_2513:
	s_movk_i32 s4, 0x80
	v_cmp_eq_u16_e32 vcc, s4, v3
	s_mov_b64 s[4:5], -1
                                        ; implicit-def: $sgpr10
	s_and_saveexec_b64 s[8:9], vcc
; %bb.2514:
	s_mov_b32 s10, 0x7f800001
	s_xor_b64 s[4:5], exec, -1
; %bb.2515:
	s_or_b64 exec, exec, s[8:9]
	s_and_b64 s[4:5], s[4:5], exec
                                        ; implicit-def: $vgpr3
	s_or_saveexec_b64 s[6:7], s[6:7]
	v_mov_b32_e32 v2, s10
	s_xor_b64 exec, exec, s[6:7]
	s_cbranch_execz .LBB8_466
.LBB8_2516:
	v_cmp_ne_u16_e32 vcc, 0, v3
	s_andn2_b64 s[4:5], s[4:5], exec
	s_and_b64 s[8:9], vcc, exec
	v_mov_b32_e32 v2, 0
	s_or_b64 s[4:5], s[4:5], s[8:9]
	s_or_b64 exec, exec, s[6:7]
	s_and_saveexec_b64 s[6:7], s[4:5]
	s_cbranch_execnz .LBB8_467
	s_branch .LBB8_468
.LBB8_2517:
	s_movk_i32 s4, 0x80
	v_cmp_eq_u16_e32 vcc, s4, v3
	s_mov_b64 s[4:5], -1
                                        ; implicit-def: $sgpr10
	s_and_saveexec_b64 s[8:9], vcc
; %bb.2518:
	s_mov_b32 s10, 0x7f800001
	s_xor_b64 s[4:5], exec, -1
; %bb.2519:
	s_or_b64 exec, exec, s[8:9]
	s_and_b64 s[4:5], s[4:5], exec
                                        ; implicit-def: $vgpr3
	s_or_saveexec_b64 s[6:7], s[6:7]
	v_mov_b32_e32 v6, s10
	s_xor_b64 exec, exec, s[6:7]
	s_cbranch_execz .LBB8_470
.LBB8_2520:
	v_cmp_ne_u16_e32 vcc, 0, v3
	s_andn2_b64 s[4:5], s[4:5], exec
	s_and_b64 s[8:9], vcc, exec
	v_mov_b32_e32 v6, 0
	s_or_b64 s[4:5], s[4:5], s[8:9]
	s_or_b64 exec, exec, s[6:7]
	s_and_saveexec_b64 s[6:7], s[4:5]
	s_cbranch_execnz .LBB8_471
	s_branch .LBB8_472
.LBB8_2521:
	s_movk_i32 s4, 0x80
	v_cmp_eq_u16_sdwa s[12:13], v8, s4 src0_sel:BYTE_3 src1_sel:DWORD
	s_mov_b64 s[4:5], -1
                                        ; implicit-def: $sgpr10
	s_and_saveexec_b64 s[8:9], s[12:13]
; %bb.2522:
	s_mov_b32 s10, 0x7f800001
	s_xor_b64 s[4:5], exec, -1
; %bb.2523:
	s_or_b64 exec, exec, s[8:9]
	s_and_b64 s[4:5], s[4:5], exec
	s_or_saveexec_b64 s[6:7], s[6:7]
	v_mov_b32_e32 v2, s10
	s_xor_b64 exec, exec, s[6:7]
	s_cbranch_execz .LBB8_474
.LBB8_2524:
	v_mov_b32_e32 v2, 0
	v_cmp_ne_u16_sdwa s[8:9], v8, v2 src0_sel:BYTE_3 src1_sel:DWORD
	s_andn2_b64 s[4:5], s[4:5], exec
	s_and_b64 s[8:9], s[8:9], exec
	s_or_b64 s[4:5], s[4:5], s[8:9]
	s_or_b64 exec, exec, s[6:7]
	s_and_saveexec_b64 s[6:7], s[4:5]
	s_cbranch_execnz .LBB8_475
	s_branch .LBB8_476
.LBB8_2525:
	s_movk_i32 s4, 0x80
	v_cmp_eq_u16_sdwa s[12:13], v4, s4 src0_sel:BYTE_3 src1_sel:DWORD
	s_mov_b64 s[4:5], -1
                                        ; implicit-def: $sgpr10
	s_and_saveexec_b64 s[8:9], s[12:13]
; %bb.2526:
	s_mov_b32 s10, 0x7f800001
	s_xor_b64 s[4:5], exec, -1
; %bb.2527:
	s_or_b64 exec, exec, s[8:9]
	s_and_b64 s[4:5], s[4:5], exec
	s_or_saveexec_b64 s[6:7], s[6:7]
	v_mov_b32_e32 v3, s10
	s_xor_b64 exec, exec, s[6:7]
	s_cbranch_execz .LBB8_478
.LBB8_2528:
	v_mov_b32_e32 v3, 0
	v_cmp_ne_u16_sdwa s[8:9], v4, v3 src0_sel:BYTE_3 src1_sel:DWORD
	s_andn2_b64 s[4:5], s[4:5], exec
	s_and_b64 s[8:9], s[8:9], exec
	s_or_b64 s[4:5], s[4:5], s[8:9]
	s_or_b64 exec, exec, s[6:7]
	s_and_saveexec_b64 s[6:7], s[4:5]
	s_cbranch_execnz .LBB8_479
	s_branch .LBB8_480
.LBB8_2529:
	s_movk_i32 s4, 0x80
	v_cmp_eq_u16_sdwa s[12:13], v9, s4 src0_sel:BYTE_0 src1_sel:DWORD
	s_mov_b64 s[4:5], -1
                                        ; implicit-def: $sgpr10
	s_and_saveexec_b64 s[8:9], s[12:13]
; %bb.2530:
	s_mov_b32 s10, 0x7f800001
	s_xor_b64 s[4:5], exec, -1
; %bb.2531:
	s_or_b64 exec, exec, s[8:9]
	s_and_b64 s[4:5], s[4:5], exec
	s_or_saveexec_b64 s[6:7], s[6:7]
	v_mov_b32_e32 v2, s10
	s_xor_b64 exec, exec, s[6:7]
	s_cbranch_execz .LBB8_482
.LBB8_2532:
	v_mov_b32_e32 v2, 0
	v_cmp_ne_u16_sdwa s[8:9], v9, v2 src0_sel:BYTE_0 src1_sel:DWORD
	s_andn2_b64 s[4:5], s[4:5], exec
	s_and_b64 s[8:9], s[8:9], exec
	s_or_b64 s[4:5], s[4:5], s[8:9]
	s_or_b64 exec, exec, s[6:7]
	s_and_saveexec_b64 s[6:7], s[4:5]
	s_cbranch_execnz .LBB8_483
	s_branch .LBB8_484
.LBB8_2533:
	s_movk_i32 s4, 0x80
	v_cmp_eq_u16_sdwa s[12:13], v5, s4 src0_sel:BYTE_0 src1_sel:DWORD
	s_mov_b64 s[4:5], -1
                                        ; implicit-def: $sgpr10
	s_and_saveexec_b64 s[8:9], s[12:13]
; %bb.2534:
	s_mov_b32 s10, 0x7f800001
	s_xor_b64 s[4:5], exec, -1
; %bb.2535:
	s_or_b64 exec, exec, s[8:9]
	s_and_b64 s[4:5], s[4:5], exec
	s_or_saveexec_b64 s[6:7], s[6:7]
	v_mov_b32_e32 v3, s10
	s_xor_b64 exec, exec, s[6:7]
	s_cbranch_execz .LBB8_486
.LBB8_2536:
	v_mov_b32_e32 v3, 0
	v_cmp_ne_u16_sdwa s[8:9], v5, v3 src0_sel:BYTE_0 src1_sel:DWORD
	s_andn2_b64 s[4:5], s[4:5], exec
	s_and_b64 s[8:9], s[8:9], exec
	s_or_b64 s[4:5], s[4:5], s[8:9]
	s_or_b64 exec, exec, s[6:7]
	s_and_saveexec_b64 s[6:7], s[4:5]
	s_cbranch_execnz .LBB8_487
	s_branch .LBB8_488
.LBB8_2537:
	s_movk_i32 s4, 0x80
	v_cmp_eq_u16_sdwa s[12:13], v3, s4 src0_sel:BYTE_0 src1_sel:DWORD
	s_mov_b64 s[4:5], -1
                                        ; implicit-def: $sgpr10
	s_and_saveexec_b64 s[8:9], s[12:13]
; %bb.2538:
	s_mov_b32 s10, 0x7f800001
	s_xor_b64 s[4:5], exec, -1
; %bb.2539:
	s_or_b64 exec, exec, s[8:9]
	s_and_b64 s[4:5], s[4:5], exec
	s_or_saveexec_b64 s[6:7], s[6:7]
	v_mov_b32_e32 v2, s10
	s_xor_b64 exec, exec, s[6:7]
	s_cbranch_execz .LBB8_490
.LBB8_2540:
	v_mov_b32_e32 v2, 0
	v_cmp_ne_u16_sdwa s[8:9], v3, v2 src0_sel:BYTE_0 src1_sel:DWORD
	s_andn2_b64 s[4:5], s[4:5], exec
	s_and_b64 s[8:9], s[8:9], exec
	s_or_b64 s[4:5], s[4:5], s[8:9]
	s_or_b64 exec, exec, s[6:7]
	s_and_saveexec_b64 s[6:7], s[4:5]
	s_cbranch_execnz .LBB8_491
	s_branch .LBB8_492
.LBB8_2541:
	s_movk_i32 s4, 0x80
	v_cmp_eq_u16_sdwa s[12:13], v3, s4 src0_sel:BYTE_0 src1_sel:DWORD
	s_mov_b64 s[4:5], -1
                                        ; implicit-def: $sgpr10
	s_and_saveexec_b64 s[8:9], s[12:13]
; %bb.2542:
	s_mov_b32 s10, 0x7f800001
	s_xor_b64 s[4:5], exec, -1
; %bb.2543:
	s_or_b64 exec, exec, s[8:9]
	s_and_b64 s[4:5], s[4:5], exec
	s_or_saveexec_b64 s[6:7], s[6:7]
	v_mov_b32_e32 v4, s10
	s_xor_b64 exec, exec, s[6:7]
	s_cbranch_execz .LBB8_494
.LBB8_2544:
	v_mov_b32_e32 v4, 0
	v_cmp_ne_u16_sdwa s[8:9], v3, v4 src0_sel:BYTE_0 src1_sel:DWORD
	s_andn2_b64 s[4:5], s[4:5], exec
	s_and_b64 s[8:9], s[8:9], exec
	s_or_b64 s[4:5], s[4:5], s[8:9]
	s_or_b64 exec, exec, s[6:7]
	s_and_saveexec_b64 s[6:7], s[4:5]
	s_cbranch_execnz .LBB8_495
	s_branch .LBB8_496
.LBB8_2545:
	s_movk_i32 s4, 0x80
	v_cmp_eq_u16_e32 vcc, s4, v3
	s_mov_b64 s[4:5], -1
                                        ; implicit-def: $sgpr10
	s_and_saveexec_b64 s[8:9], vcc
; %bb.2546:
	s_mov_b32 s10, 0x7f800001
	s_xor_b64 s[4:5], exec, -1
; %bb.2547:
	s_or_b64 exec, exec, s[8:9]
	s_and_b64 s[4:5], s[4:5], exec
                                        ; implicit-def: $vgpr3
	s_or_saveexec_b64 s[6:7], s[6:7]
	v_mov_b32_e32 v2, s10
	s_xor_b64 exec, exec, s[6:7]
	s_cbranch_execz .LBB8_498
.LBB8_2548:
	v_cmp_ne_u16_e32 vcc, 0, v3
	s_andn2_b64 s[4:5], s[4:5], exec
	s_and_b64 s[8:9], vcc, exec
	v_mov_b32_e32 v2, 0
	s_or_b64 s[4:5], s[4:5], s[8:9]
	s_or_b64 exec, exec, s[6:7]
	s_and_saveexec_b64 s[6:7], s[4:5]
	s_cbranch_execnz .LBB8_499
	s_branch .LBB8_500
.LBB8_2549:
	s_movk_i32 s4, 0x80
	v_cmp_eq_u16_e32 vcc, s4, v3
	s_mov_b64 s[4:5], -1
                                        ; implicit-def: $sgpr10
	s_and_saveexec_b64 s[8:9], vcc
; %bb.2550:
	s_mov_b32 s10, 0x7f800001
	s_xor_b64 s[4:5], exec, -1
; %bb.2551:
	s_or_b64 exec, exec, s[8:9]
	s_and_b64 s[4:5], s[4:5], exec
                                        ; implicit-def: $vgpr3
	s_or_saveexec_b64 s[6:7], s[6:7]
	v_mov_b32_e32 v4, s10
	s_xor_b64 exec, exec, s[6:7]
	s_cbranch_execz .LBB8_502
.LBB8_2552:
	v_cmp_ne_u16_e32 vcc, 0, v3
	s_andn2_b64 s[4:5], s[4:5], exec
	s_and_b64 s[8:9], vcc, exec
	v_mov_b32_e32 v4, 0
	s_or_b64 s[4:5], s[4:5], s[8:9]
	s_or_b64 exec, exec, s[6:7]
	s_and_saveexec_b64 s[6:7], s[4:5]
	s_cbranch_execnz .LBB8_503
	s_branch .LBB8_504
.LBB8_2553:
	s_movk_i32 s4, 0x80
	v_cmp_eq_u16_sdwa s[12:13], v9, s4 src0_sel:BYTE_3 src1_sel:DWORD
	s_mov_b64 s[4:5], -1
                                        ; implicit-def: $sgpr10
	s_and_saveexec_b64 s[8:9], s[12:13]
; %bb.2554:
	s_mov_b32 s10, 0x7f800001
	s_xor_b64 s[4:5], exec, -1
; %bb.2555:
	s_or_b64 exec, exec, s[8:9]
	s_and_b64 s[4:5], s[4:5], exec
	s_or_saveexec_b64 s[6:7], s[6:7]
	v_mov_b32_e32 v2, s10
	s_xor_b64 exec, exec, s[6:7]
	s_cbranch_execz .LBB8_506
.LBB8_2556:
	v_mov_b32_e32 v2, 0
	v_cmp_ne_u16_sdwa s[8:9], v9, v2 src0_sel:BYTE_3 src1_sel:DWORD
	s_andn2_b64 s[4:5], s[4:5], exec
	s_and_b64 s[8:9], s[8:9], exec
	s_or_b64 s[4:5], s[4:5], s[8:9]
	s_or_b64 exec, exec, s[6:7]
	s_and_saveexec_b64 s[6:7], s[4:5]
	s_cbranch_execnz .LBB8_507
	s_branch .LBB8_508
.LBB8_2557:
	s_movk_i32 s4, 0x80
	v_cmp_eq_u16_sdwa s[12:13], v5, s4 src0_sel:BYTE_3 src1_sel:DWORD
	s_mov_b64 s[4:5], -1
                                        ; implicit-def: $sgpr10
	s_and_saveexec_b64 s[8:9], s[12:13]
; %bb.2558:
	s_mov_b32 s10, 0x7f800001
	s_xor_b64 s[4:5], exec, -1
; %bb.2559:
	s_or_b64 exec, exec, s[8:9]
	s_and_b64 s[4:5], s[4:5], exec
	s_or_saveexec_b64 s[6:7], s[6:7]
	v_mov_b32_e32 v3, s10
	s_xor_b64 exec, exec, s[6:7]
	s_cbranch_execz .LBB8_510
.LBB8_2560:
	v_mov_b32_e32 v3, 0
	v_cmp_ne_u16_sdwa s[8:9], v5, v3 src0_sel:BYTE_3 src1_sel:DWORD
	s_andn2_b64 s[4:5], s[4:5], exec
	s_and_b64 s[8:9], s[8:9], exec
	s_or_b64 s[4:5], s[4:5], s[8:9]
	s_or_b64 exec, exec, s[6:7]
	s_and_saveexec_b64 s[6:7], s[4:5]
	s_cbranch_execnz .LBB8_511
	s_branch .LBB8_512
.LBB8_2561:
	s_movk_i32 s4, 0x80
	v_cmp_eq_u16_sdwa s[12:13], v14, s4 src0_sel:BYTE_0 src1_sel:DWORD
	s_mov_b64 s[4:5], -1
                                        ; implicit-def: $sgpr10
	s_and_saveexec_b64 s[8:9], s[12:13]
; %bb.2562:
	s_mov_b32 s10, 0x7f800001
	s_xor_b64 s[4:5], exec, -1
; %bb.2563:
	s_or_b64 exec, exec, s[8:9]
	s_and_b64 s[4:5], s[4:5], exec
	s_or_saveexec_b64 s[6:7], s[6:7]
	v_mov_b32_e32 v20, s10
	s_xor_b64 exec, exec, s[6:7]
	s_cbranch_execz .LBB8_514
.LBB8_2564:
	v_mov_b32_e32 v20, 0
	v_cmp_ne_u16_sdwa s[8:9], v14, v20 src0_sel:BYTE_0 src1_sel:DWORD
	s_andn2_b64 s[4:5], s[4:5], exec
	s_and_b64 s[8:9], s[8:9], exec
	s_or_b64 s[4:5], s[4:5], s[8:9]
	s_or_b64 exec, exec, s[6:7]
	s_and_saveexec_b64 s[6:7], s[4:5]
	s_cbranch_execnz .LBB8_515
	s_branch .LBB8_516
.LBB8_2565:
	s_movk_i32 s4, 0x80
	v_cmp_eq_u16_sdwa s[12:13], v10, s4 src0_sel:BYTE_0 src1_sel:DWORD
	s_mov_b64 s[4:5], -1
                                        ; implicit-def: $sgpr10
	s_and_saveexec_b64 s[8:9], s[12:13]
; %bb.2566:
	s_mov_b32 s10, 0x7f800001
	s_xor_b64 s[4:5], exec, -1
; %bb.2567:
	s_or_b64 exec, exec, s[8:9]
	s_and_b64 s[4:5], s[4:5], exec
	s_or_saveexec_b64 s[6:7], s[6:7]
	v_mov_b32_e32 v21, s10
	s_xor_b64 exec, exec, s[6:7]
	s_cbranch_execz .LBB8_518
.LBB8_2568:
	v_mov_b32_e32 v21, 0
	v_cmp_ne_u16_sdwa s[8:9], v10, v21 src0_sel:BYTE_0 src1_sel:DWORD
	s_andn2_b64 s[4:5], s[4:5], exec
	s_and_b64 s[8:9], s[8:9], exec
	s_or_b64 s[4:5], s[4:5], s[8:9]
	s_or_b64 exec, exec, s[6:7]
	s_and_saveexec_b64 s[6:7], s[4:5]
	s_cbranch_execnz .LBB8_519
	s_branch .LBB8_520
.LBB8_2569:
	s_movk_i32 s4, 0x80
	v_cmp_eq_u16_sdwa s[12:13], v21, s4 src0_sel:BYTE_0 src1_sel:DWORD
	s_mov_b64 s[4:5], -1
                                        ; implicit-def: $sgpr10
	s_and_saveexec_b64 s[8:9], s[12:13]
; %bb.2570:
	s_mov_b32 s10, 0x7f800001
	s_xor_b64 s[4:5], exec, -1
; %bb.2571:
	s_or_b64 exec, exec, s[8:9]
	s_and_b64 s[4:5], s[4:5], exec
	s_or_saveexec_b64 s[6:7], s[6:7]
	v_mov_b32_e32 v20, s10
	s_xor_b64 exec, exec, s[6:7]
	s_cbranch_execz .LBB8_522
.LBB8_2572:
	v_mov_b32_e32 v20, 0
	v_cmp_ne_u16_sdwa s[8:9], v21, v20 src0_sel:BYTE_0 src1_sel:DWORD
	s_andn2_b64 s[4:5], s[4:5], exec
	s_and_b64 s[8:9], s[8:9], exec
	s_or_b64 s[4:5], s[4:5], s[8:9]
	s_or_b64 exec, exec, s[6:7]
	s_and_saveexec_b64 s[6:7], s[4:5]
	s_cbranch_execnz .LBB8_523
	s_branch .LBB8_524
.LBB8_2573:
	s_movk_i32 s4, 0x80
	v_cmp_eq_u16_sdwa s[12:13], v21, s4 src0_sel:BYTE_0 src1_sel:DWORD
	s_mov_b64 s[4:5], -1
                                        ; implicit-def: $sgpr10
	s_and_saveexec_b64 s[8:9], s[12:13]
; %bb.2574:
	s_mov_b32 s10, 0x7f800001
	s_xor_b64 s[4:5], exec, -1
; %bb.2575:
	s_or_b64 exec, exec, s[8:9]
	s_and_b64 s[4:5], s[4:5], exec
	s_or_saveexec_b64 s[6:7], s[6:7]
	v_mov_b32_e32 v22, s10
	s_xor_b64 exec, exec, s[6:7]
	s_cbranch_execz .LBB8_526
.LBB8_2576:
	v_mov_b32_e32 v22, 0
	v_cmp_ne_u16_sdwa s[8:9], v21, v22 src0_sel:BYTE_0 src1_sel:DWORD
	s_andn2_b64 s[4:5], s[4:5], exec
	s_and_b64 s[8:9], s[8:9], exec
	s_or_b64 s[4:5], s[4:5], s[8:9]
	s_or_b64 exec, exec, s[6:7]
	s_and_saveexec_b64 s[6:7], s[4:5]
	s_cbranch_execnz .LBB8_527
	s_branch .LBB8_528
.LBB8_2577:
	s_movk_i32 s4, 0x80
	v_cmp_eq_u16_e32 vcc, s4, v21
	s_mov_b64 s[4:5], -1
                                        ; implicit-def: $sgpr10
	s_and_saveexec_b64 s[8:9], vcc
; %bb.2578:
	s_mov_b32 s10, 0x7f800001
	s_xor_b64 s[4:5], exec, -1
; %bb.2579:
	s_or_b64 exec, exec, s[8:9]
	s_and_b64 s[4:5], s[4:5], exec
                                        ; implicit-def: $vgpr21
	s_or_saveexec_b64 s[6:7], s[6:7]
	v_mov_b32_e32 v20, s10
	s_xor_b64 exec, exec, s[6:7]
	s_cbranch_execz .LBB8_530
.LBB8_2580:
	v_cmp_ne_u16_e32 vcc, 0, v21
	s_andn2_b64 s[4:5], s[4:5], exec
	s_and_b64 s[8:9], vcc, exec
	v_mov_b32_e32 v20, 0
	s_or_b64 s[4:5], s[4:5], s[8:9]
	s_or_b64 exec, exec, s[6:7]
	s_and_saveexec_b64 s[6:7], s[4:5]
	s_cbranch_execnz .LBB8_531
	s_branch .LBB8_532
.LBB8_2581:
	s_movk_i32 s4, 0x80
	v_cmp_eq_u16_e32 vcc, s4, v21
	s_mov_b64 s[4:5], -1
                                        ; implicit-def: $sgpr10
	s_and_saveexec_b64 s[8:9], vcc
; %bb.2582:
	s_mov_b32 s10, 0x7f800001
	s_xor_b64 s[4:5], exec, -1
; %bb.2583:
	s_or_b64 exec, exec, s[8:9]
	s_and_b64 s[4:5], s[4:5], exec
                                        ; implicit-def: $vgpr21
	s_or_saveexec_b64 s[6:7], s[6:7]
	v_mov_b32_e32 v22, s10
	s_xor_b64 exec, exec, s[6:7]
	s_cbranch_execz .LBB8_534
.LBB8_2584:
	v_cmp_ne_u16_e32 vcc, 0, v21
	s_andn2_b64 s[4:5], s[4:5], exec
	s_and_b64 s[8:9], vcc, exec
	v_mov_b32_e32 v22, 0
	s_or_b64 s[4:5], s[4:5], s[8:9]
	s_or_b64 exec, exec, s[6:7]
	s_and_saveexec_b64 s[6:7], s[4:5]
	s_cbranch_execnz .LBB8_535
	s_branch .LBB8_536
.LBB8_2585:
	s_movk_i32 s4, 0x80
	v_cmp_eq_u16_sdwa s[12:13], v14, s4 src0_sel:BYTE_3 src1_sel:DWORD
	s_mov_b64 s[4:5], -1
                                        ; implicit-def: $sgpr10
	s_and_saveexec_b64 s[8:9], s[12:13]
; %bb.2586:
	s_mov_b32 s10, 0x7f800001
	s_xor_b64 s[4:5], exec, -1
; %bb.2587:
	s_or_b64 exec, exec, s[8:9]
	s_and_b64 s[4:5], s[4:5], exec
	s_or_saveexec_b64 s[6:7], s[6:7]
	v_mov_b32_e32 v20, s10
	s_xor_b64 exec, exec, s[6:7]
	s_cbranch_execz .LBB8_538
.LBB8_2588:
	v_mov_b32_e32 v20, 0
	v_cmp_ne_u16_sdwa s[8:9], v14, v20 src0_sel:BYTE_3 src1_sel:DWORD
	s_andn2_b64 s[4:5], s[4:5], exec
	s_and_b64 s[8:9], s[8:9], exec
	s_or_b64 s[4:5], s[4:5], s[8:9]
	s_or_b64 exec, exec, s[6:7]
	s_and_saveexec_b64 s[6:7], s[4:5]
	s_cbranch_execnz .LBB8_539
	s_branch .LBB8_540
.LBB8_2589:
	s_movk_i32 s4, 0x80
	v_cmp_eq_u16_sdwa s[12:13], v10, s4 src0_sel:BYTE_3 src1_sel:DWORD
	s_mov_b64 s[4:5], -1
                                        ; implicit-def: $sgpr10
	s_and_saveexec_b64 s[8:9], s[12:13]
; %bb.2590:
	s_mov_b32 s10, 0x7f800001
	s_xor_b64 s[4:5], exec, -1
; %bb.2591:
	s_or_b64 exec, exec, s[8:9]
	s_and_b64 s[4:5], s[4:5], exec
	s_or_saveexec_b64 s[6:7], s[6:7]
	v_mov_b32_e32 v14, s10
	s_xor_b64 exec, exec, s[6:7]
	s_cbranch_execz .LBB8_542
.LBB8_2592:
	v_mov_b32_e32 v14, 0
	v_cmp_ne_u16_sdwa s[8:9], v10, v14 src0_sel:BYTE_3 src1_sel:DWORD
	s_andn2_b64 s[4:5], s[4:5], exec
	s_and_b64 s[8:9], s[8:9], exec
	s_or_b64 s[4:5], s[4:5], s[8:9]
	s_or_b64 exec, exec, s[6:7]
	s_and_saveexec_b64 s[6:7], s[4:5]
	s_cbranch_execnz .LBB8_543
	s_branch .LBB8_544
.LBB8_2593:
	s_movk_i32 s4, 0x80
	v_cmp_eq_u16_sdwa s[12:13], v15, s4 src0_sel:BYTE_0 src1_sel:DWORD
	s_mov_b64 s[4:5], -1
                                        ; implicit-def: $sgpr10
	s_and_saveexec_b64 s[8:9], s[12:13]
; %bb.2594:
	s_mov_b32 s10, 0x7f800001
	s_xor_b64 s[4:5], exec, -1
; %bb.2595:
	s_or_b64 exec, exec, s[8:9]
	s_and_b64 s[4:5], s[4:5], exec
	s_or_saveexec_b64 s[6:7], s[6:7]
	v_mov_b32_e32 v10, s10
	s_xor_b64 exec, exec, s[6:7]
	s_cbranch_execz .LBB8_546
.LBB8_2596:
	v_mov_b32_e32 v10, 0
	v_cmp_ne_u16_sdwa s[8:9], v15, v10 src0_sel:BYTE_0 src1_sel:DWORD
	s_andn2_b64 s[4:5], s[4:5], exec
	s_and_b64 s[8:9], s[8:9], exec
	s_or_b64 s[4:5], s[4:5], s[8:9]
	s_or_b64 exec, exec, s[6:7]
	s_and_saveexec_b64 s[6:7], s[4:5]
	s_cbranch_execnz .LBB8_547
	s_branch .LBB8_548
.LBB8_2597:
	s_movk_i32 s4, 0x80
	v_cmp_eq_u16_sdwa s[12:13], v11, s4 src0_sel:BYTE_0 src1_sel:DWORD
	s_mov_b64 s[4:5], -1
                                        ; implicit-def: $sgpr10
	s_and_saveexec_b64 s[8:9], s[12:13]
; %bb.2598:
	s_mov_b32 s10, 0x7f800001
	s_xor_b64 s[4:5], exec, -1
; %bb.2599:
	s_or_b64 exec, exec, s[8:9]
	s_and_b64 s[4:5], s[4:5], exec
	s_or_saveexec_b64 s[6:7], s[6:7]
	v_mov_b32_e32 v14, s10
	s_xor_b64 exec, exec, s[6:7]
	s_cbranch_execz .LBB8_550
.LBB8_2600:
	v_mov_b32_e32 v14, 0
	v_cmp_ne_u16_sdwa s[8:9], v11, v14 src0_sel:BYTE_0 src1_sel:DWORD
	s_andn2_b64 s[4:5], s[4:5], exec
	s_and_b64 s[8:9], s[8:9], exec
	s_or_b64 s[4:5], s[4:5], s[8:9]
	s_or_b64 exec, exec, s[6:7]
	s_and_saveexec_b64 s[6:7], s[4:5]
	s_cbranch_execnz .LBB8_551
	s_branch .LBB8_552
.LBB8_2601:
	s_movk_i32 s4, 0x80
	v_cmp_eq_u16_sdwa s[12:13], v14, s4 src0_sel:BYTE_0 src1_sel:DWORD
	s_mov_b64 s[4:5], -1
                                        ; implicit-def: $sgpr10
	s_and_saveexec_b64 s[8:9], s[12:13]
; %bb.2602:
	s_mov_b32 s10, 0x7f800001
	s_xor_b64 s[4:5], exec, -1
; %bb.2603:
	s_or_b64 exec, exec, s[8:9]
	s_and_b64 s[4:5], s[4:5], exec
	s_or_saveexec_b64 s[6:7], s[6:7]
	v_mov_b32_e32 v10, s10
	s_xor_b64 exec, exec, s[6:7]
	s_cbranch_execz .LBB8_554
.LBB8_2604:
	v_mov_b32_e32 v10, 0
	v_cmp_ne_u16_sdwa s[8:9], v14, v10 src0_sel:BYTE_0 src1_sel:DWORD
	s_andn2_b64 s[4:5], s[4:5], exec
	s_and_b64 s[8:9], s[8:9], exec
	s_or_b64 s[4:5], s[4:5], s[8:9]
	s_or_b64 exec, exec, s[6:7]
	s_and_saveexec_b64 s[6:7], s[4:5]
	s_cbranch_execnz .LBB8_555
	s_branch .LBB8_556
.LBB8_2605:
	s_movk_i32 s4, 0x80
	v_cmp_eq_u16_sdwa s[12:13], v14, s4 src0_sel:BYTE_0 src1_sel:DWORD
	s_mov_b64 s[4:5], -1
                                        ; implicit-def: $sgpr10
	s_and_saveexec_b64 s[8:9], s[12:13]
; %bb.2606:
	s_mov_b32 s10, 0x7f800001
	s_xor_b64 s[4:5], exec, -1
; %bb.2607:
	s_or_b64 exec, exec, s[8:9]
	s_and_b64 s[4:5], s[4:5], exec
	s_or_saveexec_b64 s[6:7], s[6:7]
	v_mov_b32_e32 v20, s10
	s_xor_b64 exec, exec, s[6:7]
	s_cbranch_execz .LBB8_558
.LBB8_2608:
	v_mov_b32_e32 v20, 0
	v_cmp_ne_u16_sdwa s[8:9], v14, v20 src0_sel:BYTE_0 src1_sel:DWORD
	s_andn2_b64 s[4:5], s[4:5], exec
	s_and_b64 s[8:9], s[8:9], exec
	s_or_b64 s[4:5], s[4:5], s[8:9]
	s_or_b64 exec, exec, s[6:7]
	s_and_saveexec_b64 s[6:7], s[4:5]
	s_cbranch_execnz .LBB8_559
	s_branch .LBB8_560
.LBB8_2609:
	s_movk_i32 s4, 0x80
	v_cmp_eq_u16_e32 vcc, s4, v14
	s_mov_b64 s[4:5], -1
                                        ; implicit-def: $sgpr10
	s_and_saveexec_b64 s[8:9], vcc
; %bb.2610:
	s_mov_b32 s10, 0x7f800001
	s_xor_b64 s[4:5], exec, -1
; %bb.2611:
	s_or_b64 exec, exec, s[8:9]
	s_and_b64 s[4:5], s[4:5], exec
                                        ; implicit-def: $vgpr14
	s_or_saveexec_b64 s[6:7], s[6:7]
	v_mov_b32_e32 v10, s10
	s_xor_b64 exec, exec, s[6:7]
	s_cbranch_execz .LBB8_562
.LBB8_2612:
	v_cmp_ne_u16_e32 vcc, 0, v14
	s_andn2_b64 s[4:5], s[4:5], exec
	s_and_b64 s[8:9], vcc, exec
	v_mov_b32_e32 v10, 0
	s_or_b64 s[4:5], s[4:5], s[8:9]
	s_or_b64 exec, exec, s[6:7]
	s_and_saveexec_b64 s[6:7], s[4:5]
	s_cbranch_execnz .LBB8_563
	s_branch .LBB8_564
.LBB8_2613:
	s_movk_i32 s4, 0x80
	v_cmp_eq_u16_e32 vcc, s4, v14
	s_mov_b64 s[4:5], -1
                                        ; implicit-def: $sgpr10
	s_and_saveexec_b64 s[8:9], vcc
; %bb.2614:
	s_mov_b32 s10, 0x7f800001
	s_xor_b64 s[4:5], exec, -1
; %bb.2615:
	s_or_b64 exec, exec, s[8:9]
	s_and_b64 s[4:5], s[4:5], exec
                                        ; implicit-def: $vgpr14
	s_or_saveexec_b64 s[6:7], s[6:7]
	v_mov_b32_e32 v20, s10
	s_xor_b64 exec, exec, s[6:7]
	s_cbranch_execz .LBB8_566
.LBB8_2616:
	v_cmp_ne_u16_e32 vcc, 0, v14
	s_andn2_b64 s[4:5], s[4:5], exec
	s_and_b64 s[8:9], vcc, exec
	v_mov_b32_e32 v20, 0
	s_or_b64 s[4:5], s[4:5], s[8:9]
	s_or_b64 exec, exec, s[6:7]
	s_and_saveexec_b64 s[6:7], s[4:5]
	s_cbranch_execnz .LBB8_567
	s_branch .LBB8_568
.LBB8_2617:
	s_movk_i32 s4, 0x80
	v_cmp_eq_u16_sdwa s[12:13], v15, s4 src0_sel:BYTE_3 src1_sel:DWORD
	s_mov_b64 s[4:5], -1
                                        ; implicit-def: $sgpr10
	s_and_saveexec_b64 s[8:9], s[12:13]
; %bb.2618:
	s_mov_b32 s10, 0x7f800001
	s_xor_b64 s[4:5], exec, -1
; %bb.2619:
	s_or_b64 exec, exec, s[8:9]
	s_and_b64 s[4:5], s[4:5], exec
	s_or_saveexec_b64 s[6:7], s[6:7]
	v_mov_b32_e32 v10, s10
	s_xor_b64 exec, exec, s[6:7]
	s_cbranch_execz .LBB8_570
.LBB8_2620:
	v_mov_b32_e32 v10, 0
	v_cmp_ne_u16_sdwa s[8:9], v15, v10 src0_sel:BYTE_3 src1_sel:DWORD
	s_andn2_b64 s[4:5], s[4:5], exec
	s_and_b64 s[8:9], s[8:9], exec
	s_or_b64 s[4:5], s[4:5], s[8:9]
	s_or_b64 exec, exec, s[6:7]
	s_and_saveexec_b64 s[6:7], s[4:5]
	s_cbranch_execnz .LBB8_571
	s_branch .LBB8_572
.LBB8_2621:
	s_movk_i32 s4, 0x80
	v_cmp_eq_u16_sdwa s[12:13], v11, s4 src0_sel:BYTE_3 src1_sel:DWORD
	s_mov_b64 s[4:5], -1
                                        ; implicit-def: $sgpr10
	s_and_saveexec_b64 s[8:9], s[12:13]
; %bb.2622:
	s_mov_b32 s10, 0x7f800001
	s_xor_b64 s[4:5], exec, -1
; %bb.2623:
	s_or_b64 exec, exec, s[8:9]
	s_and_b64 s[4:5], s[4:5], exec
	s_or_saveexec_b64 s[6:7], s[6:7]
	v_mov_b32_e32 v14, s10
	s_xor_b64 exec, exec, s[6:7]
	s_cbranch_execz .LBB8_574
.LBB8_2624:
	v_mov_b32_e32 v14, 0
	v_cmp_ne_u16_sdwa s[8:9], v11, v14 src0_sel:BYTE_3 src1_sel:DWORD
	s_andn2_b64 s[4:5], s[4:5], exec
	s_and_b64 s[8:9], s[8:9], exec
	s_or_b64 s[4:5], s[4:5], s[8:9]
	s_or_b64 exec, exec, s[6:7]
	s_and_saveexec_b64 s[6:7], s[4:5]
	s_cbranch_execnz .LBB8_575
	s_branch .LBB8_576
.LBB8_2625:
	s_movk_i32 s4, 0x80
	v_cmp_eq_u16_sdwa s[12:13], v16, s4 src0_sel:BYTE_0 src1_sel:DWORD
	s_mov_b64 s[4:5], -1
                                        ; implicit-def: $sgpr10
	s_and_saveexec_b64 s[8:9], s[12:13]
; %bb.2626:
	s_mov_b32 s10, 0x7f800001
	s_xor_b64 s[4:5], exec, -1
; %bb.2627:
	s_or_b64 exec, exec, s[8:9]
	s_and_b64 s[4:5], s[4:5], exec
	s_or_saveexec_b64 s[6:7], s[6:7]
	v_mov_b32_e32 v10, s10
	s_xor_b64 exec, exec, s[6:7]
	s_cbranch_execz .LBB8_578
.LBB8_2628:
	v_mov_b32_e32 v10, 0
	v_cmp_ne_u16_sdwa s[8:9], v16, v10 src0_sel:BYTE_0 src1_sel:DWORD
	s_andn2_b64 s[4:5], s[4:5], exec
	s_and_b64 s[8:9], s[8:9], exec
	s_or_b64 s[4:5], s[4:5], s[8:9]
	s_or_b64 exec, exec, s[6:7]
	s_and_saveexec_b64 s[6:7], s[4:5]
	s_cbranch_execnz .LBB8_579
	s_branch .LBB8_580
.LBB8_2629:
	s_movk_i32 s4, 0x80
	v_cmp_eq_u16_sdwa s[12:13], v12, s4 src0_sel:BYTE_0 src1_sel:DWORD
	s_mov_b64 s[4:5], -1
                                        ; implicit-def: $sgpr10
	s_and_saveexec_b64 s[8:9], s[12:13]
; %bb.2630:
	s_mov_b32 s10, 0x7f800001
	s_xor_b64 s[4:5], exec, -1
; %bb.2631:
	s_or_b64 exec, exec, s[8:9]
	s_and_b64 s[4:5], s[4:5], exec
	s_or_saveexec_b64 s[6:7], s[6:7]
	v_mov_b32_e32 v11, s10
	s_xor_b64 exec, exec, s[6:7]
	s_cbranch_execz .LBB8_582
.LBB8_2632:
	v_mov_b32_e32 v11, 0
	v_cmp_ne_u16_sdwa s[8:9], v12, v11 src0_sel:BYTE_0 src1_sel:DWORD
	s_andn2_b64 s[4:5], s[4:5], exec
	s_and_b64 s[8:9], s[8:9], exec
	s_or_b64 s[4:5], s[4:5], s[8:9]
	s_or_b64 exec, exec, s[6:7]
	s_and_saveexec_b64 s[6:7], s[4:5]
	s_cbranch_execnz .LBB8_583
	s_branch .LBB8_584
.LBB8_2633:
	s_movk_i32 s4, 0x80
	v_cmp_eq_u16_sdwa s[12:13], v11, s4 src0_sel:BYTE_0 src1_sel:DWORD
	s_mov_b64 s[4:5], -1
                                        ; implicit-def: $sgpr10
	s_and_saveexec_b64 s[8:9], s[12:13]
; %bb.2634:
	s_mov_b32 s10, 0x7f800001
	s_xor_b64 s[4:5], exec, -1
; %bb.2635:
	s_or_b64 exec, exec, s[8:9]
	s_and_b64 s[4:5], s[4:5], exec
	s_or_saveexec_b64 s[6:7], s[6:7]
	v_mov_b32_e32 v10, s10
	s_xor_b64 exec, exec, s[6:7]
	s_cbranch_execz .LBB8_586
.LBB8_2636:
	v_mov_b32_e32 v10, 0
	v_cmp_ne_u16_sdwa s[8:9], v11, v10 src0_sel:BYTE_0 src1_sel:DWORD
	s_andn2_b64 s[4:5], s[4:5], exec
	s_and_b64 s[8:9], s[8:9], exec
	s_or_b64 s[4:5], s[4:5], s[8:9]
	s_or_b64 exec, exec, s[6:7]
	s_and_saveexec_b64 s[6:7], s[4:5]
	s_cbranch_execnz .LBB8_587
	s_branch .LBB8_588
.LBB8_2637:
	s_movk_i32 s4, 0x80
	v_cmp_eq_u16_sdwa s[12:13], v11, s4 src0_sel:BYTE_0 src1_sel:DWORD
	s_mov_b64 s[4:5], -1
                                        ; implicit-def: $sgpr10
	s_and_saveexec_b64 s[8:9], s[12:13]
; %bb.2638:
	s_mov_b32 s10, 0x7f800001
	s_xor_b64 s[4:5], exec, -1
; %bb.2639:
	s_or_b64 exec, exec, s[8:9]
	s_and_b64 s[4:5], s[4:5], exec
	s_or_saveexec_b64 s[6:7], s[6:7]
	v_mov_b32_e32 v14, s10
	s_xor_b64 exec, exec, s[6:7]
	s_cbranch_execz .LBB8_590
.LBB8_2640:
	v_mov_b32_e32 v14, 0
	v_cmp_ne_u16_sdwa s[8:9], v11, v14 src0_sel:BYTE_0 src1_sel:DWORD
	s_andn2_b64 s[4:5], s[4:5], exec
	s_and_b64 s[8:9], s[8:9], exec
	s_or_b64 s[4:5], s[4:5], s[8:9]
	s_or_b64 exec, exec, s[6:7]
	s_and_saveexec_b64 s[6:7], s[4:5]
	s_cbranch_execnz .LBB8_591
	s_branch .LBB8_592
.LBB8_2641:
	s_movk_i32 s4, 0x80
	v_cmp_eq_u16_e32 vcc, s4, v11
	s_mov_b64 s[4:5], -1
                                        ; implicit-def: $sgpr10
	s_and_saveexec_b64 s[8:9], vcc
; %bb.2642:
	s_mov_b32 s10, 0x7f800001
	s_xor_b64 s[4:5], exec, -1
; %bb.2643:
	s_or_b64 exec, exec, s[8:9]
	s_and_b64 s[4:5], s[4:5], exec
                                        ; implicit-def: $vgpr11
	s_or_saveexec_b64 s[6:7], s[6:7]
	v_mov_b32_e32 v10, s10
	s_xor_b64 exec, exec, s[6:7]
	s_cbranch_execz .LBB8_594
.LBB8_2644:
	v_cmp_ne_u16_e32 vcc, 0, v11
	s_andn2_b64 s[4:5], s[4:5], exec
	s_and_b64 s[8:9], vcc, exec
	v_mov_b32_e32 v10, 0
	s_or_b64 s[4:5], s[4:5], s[8:9]
	s_or_b64 exec, exec, s[6:7]
	s_and_saveexec_b64 s[6:7], s[4:5]
	s_cbranch_execnz .LBB8_595
	s_branch .LBB8_596
.LBB8_2645:
	s_movk_i32 s4, 0x80
	v_cmp_eq_u16_e32 vcc, s4, v11
	s_mov_b64 s[4:5], -1
                                        ; implicit-def: $sgpr10
	s_and_saveexec_b64 s[8:9], vcc
; %bb.2646:
	s_mov_b32 s10, 0x7f800001
	s_xor_b64 s[4:5], exec, -1
; %bb.2647:
	s_or_b64 exec, exec, s[8:9]
	s_and_b64 s[4:5], s[4:5], exec
                                        ; implicit-def: $vgpr11
	s_or_saveexec_b64 s[6:7], s[6:7]
	v_mov_b32_e32 v14, s10
	s_xor_b64 exec, exec, s[6:7]
	s_cbranch_execz .LBB8_598
.LBB8_2648:
	v_cmp_ne_u16_e32 vcc, 0, v11
	s_andn2_b64 s[4:5], s[4:5], exec
	s_and_b64 s[8:9], vcc, exec
	v_mov_b32_e32 v14, 0
	s_or_b64 s[4:5], s[4:5], s[8:9]
	s_or_b64 exec, exec, s[6:7]
	s_and_saveexec_b64 s[6:7], s[4:5]
	s_cbranch_execnz .LBB8_599
	s_branch .LBB8_600
.LBB8_2649:
	s_movk_i32 s4, 0x80
	v_cmp_eq_u16_sdwa s[12:13], v16, s4 src0_sel:BYTE_3 src1_sel:DWORD
	s_mov_b64 s[4:5], -1
                                        ; implicit-def: $sgpr10
	s_and_saveexec_b64 s[8:9], s[12:13]
; %bb.2650:
	s_mov_b32 s10, 0x7f800001
	s_xor_b64 s[4:5], exec, -1
; %bb.2651:
	s_or_b64 exec, exec, s[8:9]
	s_and_b64 s[4:5], s[4:5], exec
	s_or_saveexec_b64 s[6:7], s[6:7]
	v_mov_b32_e32 v10, s10
	s_xor_b64 exec, exec, s[6:7]
	s_cbranch_execz .LBB8_602
.LBB8_2652:
	v_mov_b32_e32 v10, 0
	v_cmp_ne_u16_sdwa s[8:9], v16, v10 src0_sel:BYTE_3 src1_sel:DWORD
	s_andn2_b64 s[4:5], s[4:5], exec
	s_and_b64 s[8:9], s[8:9], exec
	s_or_b64 s[4:5], s[4:5], s[8:9]
	s_or_b64 exec, exec, s[6:7]
	s_and_saveexec_b64 s[6:7], s[4:5]
	s_cbranch_execnz .LBB8_603
	s_branch .LBB8_604
.LBB8_2653:
	s_movk_i32 s4, 0x80
	v_cmp_eq_u16_sdwa s[12:13], v12, s4 src0_sel:BYTE_3 src1_sel:DWORD
	s_mov_b64 s[4:5], -1
                                        ; implicit-def: $sgpr10
	s_and_saveexec_b64 s[8:9], s[12:13]
; %bb.2654:
	s_mov_b32 s10, 0x7f800001
	s_xor_b64 s[4:5], exec, -1
; %bb.2655:
	s_or_b64 exec, exec, s[8:9]
	s_and_b64 s[4:5], s[4:5], exec
	s_or_saveexec_b64 s[6:7], s[6:7]
	v_mov_b32_e32 v11, s10
	s_xor_b64 exec, exec, s[6:7]
	s_cbranch_execz .LBB8_606
.LBB8_2656:
	v_mov_b32_e32 v11, 0
	v_cmp_ne_u16_sdwa s[8:9], v12, v11 src0_sel:BYTE_3 src1_sel:DWORD
	s_andn2_b64 s[4:5], s[4:5], exec
	s_and_b64 s[8:9], s[8:9], exec
	s_or_b64 s[4:5], s[4:5], s[8:9]
	s_or_b64 exec, exec, s[6:7]
	s_and_saveexec_b64 s[6:7], s[4:5]
	s_cbranch_execnz .LBB8_607
	s_branch .LBB8_608
.LBB8_2657:
	s_movk_i32 s4, 0x80
	v_cmp_eq_u16_sdwa s[12:13], v17, s4 src0_sel:BYTE_0 src1_sel:DWORD
	s_mov_b64 s[4:5], -1
                                        ; implicit-def: $sgpr10
	s_and_saveexec_b64 s[8:9], s[12:13]
; %bb.2658:
	s_mov_b32 s10, 0x7f800001
	s_xor_b64 s[4:5], exec, -1
; %bb.2659:
	s_or_b64 exec, exec, s[8:9]
	s_and_b64 s[4:5], s[4:5], exec
	s_or_saveexec_b64 s[6:7], s[6:7]
	v_mov_b32_e32 v10, s10
	s_xor_b64 exec, exec, s[6:7]
	s_cbranch_execz .LBB8_610
.LBB8_2660:
	v_mov_b32_e32 v10, 0
	v_cmp_ne_u16_sdwa s[8:9], v17, v10 src0_sel:BYTE_0 src1_sel:DWORD
	s_andn2_b64 s[4:5], s[4:5], exec
	s_and_b64 s[8:9], s[8:9], exec
	s_or_b64 s[4:5], s[4:5], s[8:9]
	s_or_b64 exec, exec, s[6:7]
	s_and_saveexec_b64 s[6:7], s[4:5]
	s_cbranch_execnz .LBB8_611
	s_branch .LBB8_612
.LBB8_2661:
	s_movk_i32 s4, 0x80
	v_cmp_eq_u16_sdwa s[12:13], v13, s4 src0_sel:BYTE_0 src1_sel:DWORD
	s_mov_b64 s[4:5], -1
                                        ; implicit-def: $sgpr10
	s_and_saveexec_b64 s[8:9], s[12:13]
; %bb.2662:
	s_mov_b32 s10, 0x7f800001
	s_xor_b64 s[4:5], exec, -1
; %bb.2663:
	s_or_b64 exec, exec, s[8:9]
	s_and_b64 s[4:5], s[4:5], exec
	s_or_saveexec_b64 s[6:7], s[6:7]
	v_mov_b32_e32 v11, s10
	s_xor_b64 exec, exec, s[6:7]
	s_cbranch_execz .LBB8_614
.LBB8_2664:
	v_mov_b32_e32 v11, 0
	v_cmp_ne_u16_sdwa s[8:9], v13, v11 src0_sel:BYTE_0 src1_sel:DWORD
	s_andn2_b64 s[4:5], s[4:5], exec
	s_and_b64 s[8:9], s[8:9], exec
	s_or_b64 s[4:5], s[4:5], s[8:9]
	s_or_b64 exec, exec, s[6:7]
	s_and_saveexec_b64 s[6:7], s[4:5]
	s_cbranch_execnz .LBB8_615
	s_branch .LBB8_616
.LBB8_2665:
	s_movk_i32 s4, 0x80
	v_cmp_eq_u16_sdwa s[12:13], v11, s4 src0_sel:BYTE_0 src1_sel:DWORD
	s_mov_b64 s[4:5], -1
                                        ; implicit-def: $sgpr10
	s_and_saveexec_b64 s[8:9], s[12:13]
; %bb.2666:
	s_mov_b32 s10, 0x7f800001
	s_xor_b64 s[4:5], exec, -1
; %bb.2667:
	s_or_b64 exec, exec, s[8:9]
	s_and_b64 s[4:5], s[4:5], exec
	s_or_saveexec_b64 s[6:7], s[6:7]
	v_mov_b32_e32 v10, s10
	s_xor_b64 exec, exec, s[6:7]
	s_cbranch_execz .LBB8_618
.LBB8_2668:
	v_mov_b32_e32 v10, 0
	v_cmp_ne_u16_sdwa s[8:9], v11, v10 src0_sel:BYTE_0 src1_sel:DWORD
	s_andn2_b64 s[4:5], s[4:5], exec
	s_and_b64 s[8:9], s[8:9], exec
	s_or_b64 s[4:5], s[4:5], s[8:9]
	s_or_b64 exec, exec, s[6:7]
	s_and_saveexec_b64 s[6:7], s[4:5]
	s_cbranch_execnz .LBB8_619
	s_branch .LBB8_620
.LBB8_2669:
	s_movk_i32 s4, 0x80
	v_cmp_eq_u16_sdwa s[12:13], v11, s4 src0_sel:BYTE_0 src1_sel:DWORD
	s_mov_b64 s[4:5], -1
                                        ; implicit-def: $sgpr10
	s_and_saveexec_b64 s[8:9], s[12:13]
; %bb.2670:
	s_mov_b32 s10, 0x7f800001
	s_xor_b64 s[4:5], exec, -1
; %bb.2671:
	s_or_b64 exec, exec, s[8:9]
	s_and_b64 s[4:5], s[4:5], exec
	s_or_saveexec_b64 s[6:7], s[6:7]
	v_mov_b32_e32 v12, s10
	s_xor_b64 exec, exec, s[6:7]
	s_cbranch_execz .LBB8_622
.LBB8_2672:
	v_mov_b32_e32 v12, 0
	v_cmp_ne_u16_sdwa s[8:9], v11, v12 src0_sel:BYTE_0 src1_sel:DWORD
	s_andn2_b64 s[4:5], s[4:5], exec
	s_and_b64 s[8:9], s[8:9], exec
	s_or_b64 s[4:5], s[4:5], s[8:9]
	s_or_b64 exec, exec, s[6:7]
	s_and_saveexec_b64 s[6:7], s[4:5]
	s_cbranch_execnz .LBB8_623
	s_branch .LBB8_624
.LBB8_2673:
	s_movk_i32 s4, 0x80
	v_cmp_eq_u16_e32 vcc, s4, v11
	s_mov_b64 s[4:5], -1
                                        ; implicit-def: $sgpr10
	s_and_saveexec_b64 s[8:9], vcc
; %bb.2674:
	s_mov_b32 s10, 0x7f800001
	s_xor_b64 s[4:5], exec, -1
; %bb.2675:
	s_or_b64 exec, exec, s[8:9]
	s_and_b64 s[4:5], s[4:5], exec
                                        ; implicit-def: $vgpr11
	s_or_saveexec_b64 s[6:7], s[6:7]
	v_mov_b32_e32 v10, s10
	s_xor_b64 exec, exec, s[6:7]
	s_cbranch_execz .LBB8_626
.LBB8_2676:
	v_cmp_ne_u16_e32 vcc, 0, v11
	s_andn2_b64 s[4:5], s[4:5], exec
	s_and_b64 s[8:9], vcc, exec
	v_mov_b32_e32 v10, 0
	s_or_b64 s[4:5], s[4:5], s[8:9]
	s_or_b64 exec, exec, s[6:7]
	s_and_saveexec_b64 s[6:7], s[4:5]
	s_cbranch_execnz .LBB8_627
	s_branch .LBB8_628
.LBB8_2677:
	s_movk_i32 s4, 0x80
	v_cmp_eq_u16_e32 vcc, s4, v11
	s_mov_b64 s[4:5], -1
                                        ; implicit-def: $sgpr10
	s_and_saveexec_b64 s[8:9], vcc
; %bb.2678:
	s_mov_b32 s10, 0x7f800001
	s_xor_b64 s[4:5], exec, -1
; %bb.2679:
	s_or_b64 exec, exec, s[8:9]
	s_and_b64 s[4:5], s[4:5], exec
                                        ; implicit-def: $vgpr11
	s_or_saveexec_b64 s[6:7], s[6:7]
	v_mov_b32_e32 v12, s10
	s_xor_b64 exec, exec, s[6:7]
	s_cbranch_execz .LBB8_630
.LBB8_2680:
	v_cmp_ne_u16_e32 vcc, 0, v11
	s_andn2_b64 s[4:5], s[4:5], exec
	s_and_b64 s[8:9], vcc, exec
	v_mov_b32_e32 v12, 0
	s_or_b64 s[4:5], s[4:5], s[8:9]
	s_or_b64 exec, exec, s[6:7]
	s_and_saveexec_b64 s[6:7], s[4:5]
	s_cbranch_execnz .LBB8_631
	s_branch .LBB8_632
.LBB8_2681:
	s_movk_i32 s4, 0x80
	v_cmp_eq_u16_sdwa s[12:13], v17, s4 src0_sel:BYTE_3 src1_sel:DWORD
	s_mov_b64 s[4:5], -1
                                        ; implicit-def: $sgpr10
	s_and_saveexec_b64 s[8:9], s[12:13]
; %bb.2682:
	s_mov_b32 s10, 0x7f800001
	s_xor_b64 s[4:5], exec, -1
; %bb.2683:
	s_or_b64 exec, exec, s[8:9]
	s_and_b64 s[4:5], s[4:5], exec
	s_or_saveexec_b64 s[6:7], s[6:7]
	v_mov_b32_e32 v10, s10
	s_xor_b64 exec, exec, s[6:7]
	s_cbranch_execz .LBB8_634
.LBB8_2684:
	v_mov_b32_e32 v10, 0
	v_cmp_ne_u16_sdwa s[8:9], v17, v10 src0_sel:BYTE_3 src1_sel:DWORD
	s_andn2_b64 s[4:5], s[4:5], exec
	s_and_b64 s[8:9], s[8:9], exec
	s_or_b64 s[4:5], s[4:5], s[8:9]
	s_or_b64 exec, exec, s[6:7]
	s_and_saveexec_b64 s[6:7], s[4:5]
	s_cbranch_execnz .LBB8_635
	s_branch .LBB8_636
.LBB8_2685:
	s_movk_i32 s4, 0x80
	v_cmp_eq_u16_sdwa s[12:13], v13, s4 src0_sel:BYTE_3 src1_sel:DWORD
	s_mov_b64 s[4:5], -1
                                        ; implicit-def: $sgpr10
	s_and_saveexec_b64 s[8:9], s[12:13]
; %bb.2686:
	s_mov_b32 s10, 0x7f800001
	s_xor_b64 s[4:5], exec, -1
; %bb.2687:
	s_or_b64 exec, exec, s[8:9]
	s_and_b64 s[4:5], s[4:5], exec
	s_or_saveexec_b64 s[6:7], s[6:7]
	v_mov_b32_e32 v11, s10
	s_xor_b64 exec, exec, s[6:7]
	s_cbranch_execz .LBB8_638
.LBB8_2688:
	v_mov_b32_e32 v11, 0
	v_cmp_ne_u16_sdwa s[8:9], v13, v11 src0_sel:BYTE_3 src1_sel:DWORD
	s_andn2_b64 s[4:5], s[4:5], exec
	s_and_b64 s[8:9], s[8:9], exec
	s_or_b64 s[4:5], s[4:5], s[8:9]
	s_or_b64 exec, exec, s[6:7]
	s_and_saveexec_b64 s[6:7], s[4:5]
	s_cbranch_execnz .LBB8_639
	s_branch .LBB8_640
.LBB8_2689:
	s_movk_i32 s4, 0x80
	v_cmp_eq_u16_sdwa s[12:13], v6, s4 src0_sel:BYTE_0 src1_sel:DWORD
	s_mov_b64 s[4:5], -1
                                        ; implicit-def: $sgpr10
	s_and_saveexec_b64 s[8:9], s[12:13]
; %bb.2690:
	s_mov_b32 s10, 0x7f800001
	s_xor_b64 s[4:5], exec, -1
; %bb.2691:
	s_or_b64 exec, exec, s[8:9]
	s_and_b64 s[4:5], s[4:5], exec
	s_or_saveexec_b64 s[6:7], s[6:7]
	v_mov_b32_e32 v10, s10
	s_xor_b64 exec, exec, s[6:7]
	s_cbranch_execz .LBB8_642
.LBB8_2692:
	v_mov_b32_e32 v10, 0
	v_cmp_ne_u16_sdwa s[8:9], v6, v10 src0_sel:BYTE_0 src1_sel:DWORD
	s_andn2_b64 s[4:5], s[4:5], exec
	s_and_b64 s[8:9], s[8:9], exec
	s_or_b64 s[4:5], s[4:5], s[8:9]
	s_or_b64 exec, exec, s[6:7]
	s_and_saveexec_b64 s[6:7], s[4:5]
	s_cbranch_execnz .LBB8_643
	s_branch .LBB8_644
.LBB8_2693:
	s_movk_i32 s4, 0x80
	v_cmp_eq_u16_sdwa s[12:13], v2, s4 src0_sel:BYTE_0 src1_sel:DWORD
	s_mov_b64 s[4:5], -1
                                        ; implicit-def: $sgpr10
	s_and_saveexec_b64 s[8:9], s[12:13]
; %bb.2694:
	s_mov_b32 s10, 0x7f800001
	s_xor_b64 s[4:5], exec, -1
; %bb.2695:
	s_or_b64 exec, exec, s[8:9]
	s_and_b64 s[4:5], s[4:5], exec
	s_or_saveexec_b64 s[6:7], s[6:7]
	v_mov_b32_e32 v11, s10
	s_xor_b64 exec, exec, s[6:7]
	s_cbranch_execz .LBB8_646
.LBB8_2696:
	v_mov_b32_e32 v11, 0
	v_cmp_ne_u16_sdwa s[8:9], v2, v11 src0_sel:BYTE_0 src1_sel:DWORD
	s_andn2_b64 s[4:5], s[4:5], exec
	s_and_b64 s[8:9], s[8:9], exec
	s_or_b64 s[4:5], s[4:5], s[8:9]
	s_or_b64 exec, exec, s[6:7]
	s_and_saveexec_b64 s[6:7], s[4:5]
	s_cbranch_execnz .LBB8_647
	s_branch .LBB8_648
.LBB8_2697:
	s_movk_i32 s4, 0x80
	v_cmp_eq_u16_sdwa s[12:13], v11, s4 src0_sel:BYTE_0 src1_sel:DWORD
	s_mov_b64 s[4:5], -1
                                        ; implicit-def: $sgpr10
	s_and_saveexec_b64 s[8:9], s[12:13]
; %bb.2698:
	s_mov_b32 s10, 0x7f800001
	s_xor_b64 s[4:5], exec, -1
; %bb.2699:
	s_or_b64 exec, exec, s[8:9]
	s_and_b64 s[4:5], s[4:5], exec
	s_or_saveexec_b64 s[6:7], s[6:7]
	v_mov_b32_e32 v10, s10
	s_xor_b64 exec, exec, s[6:7]
	s_cbranch_execz .LBB8_650
.LBB8_2700:
	v_mov_b32_e32 v10, 0
	v_cmp_ne_u16_sdwa s[8:9], v11, v10 src0_sel:BYTE_0 src1_sel:DWORD
	s_andn2_b64 s[4:5], s[4:5], exec
	s_and_b64 s[8:9], s[8:9], exec
	s_or_b64 s[4:5], s[4:5], s[8:9]
	s_or_b64 exec, exec, s[6:7]
	s_and_saveexec_b64 s[6:7], s[4:5]
	s_cbranch_execnz .LBB8_651
	s_branch .LBB8_652
.LBB8_2701:
	s_movk_i32 s4, 0x80
	v_cmp_eq_u16_sdwa s[12:13], v11, s4 src0_sel:BYTE_0 src1_sel:DWORD
	s_mov_b64 s[4:5], -1
                                        ; implicit-def: $sgpr10
	s_and_saveexec_b64 s[8:9], s[12:13]
; %bb.2702:
	s_mov_b32 s10, 0x7f800001
	s_xor_b64 s[4:5], exec, -1
; %bb.2703:
	s_or_b64 exec, exec, s[8:9]
	s_and_b64 s[4:5], s[4:5], exec
	s_or_saveexec_b64 s[6:7], s[6:7]
	v_mov_b32_e32 v12, s10
	s_xor_b64 exec, exec, s[6:7]
	s_cbranch_execz .LBB8_654
.LBB8_2704:
	v_mov_b32_e32 v12, 0
	v_cmp_ne_u16_sdwa s[8:9], v11, v12 src0_sel:BYTE_0 src1_sel:DWORD
	s_andn2_b64 s[4:5], s[4:5], exec
	s_and_b64 s[8:9], s[8:9], exec
	s_or_b64 s[4:5], s[4:5], s[8:9]
	s_or_b64 exec, exec, s[6:7]
	s_and_saveexec_b64 s[6:7], s[4:5]
	s_cbranch_execnz .LBB8_655
	s_branch .LBB8_656
.LBB8_2705:
	s_movk_i32 s4, 0x80
	v_cmp_eq_u16_e32 vcc, s4, v11
	s_mov_b64 s[4:5], -1
                                        ; implicit-def: $sgpr10
	s_and_saveexec_b64 s[8:9], vcc
; %bb.2706:
	s_mov_b32 s10, 0x7f800001
	s_xor_b64 s[4:5], exec, -1
; %bb.2707:
	s_or_b64 exec, exec, s[8:9]
	s_and_b64 s[4:5], s[4:5], exec
                                        ; implicit-def: $vgpr11
	s_or_saveexec_b64 s[6:7], s[6:7]
	v_mov_b32_e32 v10, s10
	s_xor_b64 exec, exec, s[6:7]
	s_cbranch_execz .LBB8_658
.LBB8_2708:
	v_cmp_ne_u16_e32 vcc, 0, v11
	s_andn2_b64 s[4:5], s[4:5], exec
	s_and_b64 s[8:9], vcc, exec
	v_mov_b32_e32 v10, 0
	s_or_b64 s[4:5], s[4:5], s[8:9]
	s_or_b64 exec, exec, s[6:7]
	s_and_saveexec_b64 s[6:7], s[4:5]
	s_cbranch_execnz .LBB8_659
	s_branch .LBB8_660
.LBB8_2709:
	s_movk_i32 s4, 0x80
	v_cmp_eq_u16_e32 vcc, s4, v11
	s_mov_b64 s[4:5], -1
                                        ; implicit-def: $sgpr10
	s_and_saveexec_b64 s[8:9], vcc
; %bb.2710:
	s_mov_b32 s10, 0x7f800001
	s_xor_b64 s[4:5], exec, -1
; %bb.2711:
	s_or_b64 exec, exec, s[8:9]
	s_and_b64 s[4:5], s[4:5], exec
                                        ; implicit-def: $vgpr11
	s_or_saveexec_b64 s[6:7], s[6:7]
	v_mov_b32_e32 v12, s10
	s_xor_b64 exec, exec, s[6:7]
	s_cbranch_execz .LBB8_662
.LBB8_2712:
	v_cmp_ne_u16_e32 vcc, 0, v11
	s_andn2_b64 s[4:5], s[4:5], exec
	s_and_b64 s[8:9], vcc, exec
	v_mov_b32_e32 v12, 0
	s_or_b64 s[4:5], s[4:5], s[8:9]
	s_or_b64 exec, exec, s[6:7]
	s_and_saveexec_b64 s[6:7], s[4:5]
	s_cbranch_execnz .LBB8_663
	s_branch .LBB8_664
.LBB8_2713:
	s_movk_i32 s4, 0x80
	v_cmp_eq_u16_sdwa s[12:13], v6, s4 src0_sel:BYTE_3 src1_sel:DWORD
	s_mov_b64 s[4:5], -1
                                        ; implicit-def: $sgpr10
	s_and_saveexec_b64 s[8:9], s[12:13]
; %bb.2714:
	s_mov_b32 s10, 0x7f800001
	s_xor_b64 s[4:5], exec, -1
; %bb.2715:
	s_or_b64 exec, exec, s[8:9]
	s_and_b64 s[4:5], s[4:5], exec
	s_or_saveexec_b64 s[6:7], s[6:7]
	v_mov_b32_e32 v10, s10
	s_xor_b64 exec, exec, s[6:7]
	s_cbranch_execz .LBB8_666
.LBB8_2716:
	v_mov_b32_e32 v10, 0
	v_cmp_ne_u16_sdwa s[8:9], v6, v10 src0_sel:BYTE_3 src1_sel:DWORD
	s_andn2_b64 s[4:5], s[4:5], exec
	s_and_b64 s[8:9], s[8:9], exec
	s_or_b64 s[4:5], s[4:5], s[8:9]
	s_or_b64 exec, exec, s[6:7]
	s_and_saveexec_b64 s[6:7], s[4:5]
	s_cbranch_execnz .LBB8_667
	s_branch .LBB8_668
.LBB8_2717:
	s_movk_i32 s4, 0x80
	v_cmp_eq_u16_sdwa s[12:13], v2, s4 src0_sel:BYTE_3 src1_sel:DWORD
	s_mov_b64 s[4:5], -1
                                        ; implicit-def: $sgpr10
	s_and_saveexec_b64 s[8:9], s[12:13]
; %bb.2718:
	s_mov_b32 s10, 0x7f800001
	s_xor_b64 s[4:5], exec, -1
; %bb.2719:
	s_or_b64 exec, exec, s[8:9]
	s_and_b64 s[4:5], s[4:5], exec
	s_or_saveexec_b64 s[6:7], s[6:7]
	v_mov_b32_e32 v6, s10
	s_xor_b64 exec, exec, s[6:7]
	s_cbranch_execz .LBB8_670
.LBB8_2720:
	v_mov_b32_e32 v6, 0
	v_cmp_ne_u16_sdwa s[8:9], v2, v6 src0_sel:BYTE_3 src1_sel:DWORD
	s_andn2_b64 s[4:5], s[4:5], exec
	s_and_b64 s[8:9], s[8:9], exec
	s_or_b64 s[4:5], s[4:5], s[8:9]
	s_or_b64 exec, exec, s[6:7]
	s_and_saveexec_b64 s[6:7], s[4:5]
	s_cbranch_execnz .LBB8_671
	s_branch .LBB8_672
.LBB8_2721:
	s_movk_i32 s4, 0x80
	v_cmp_eq_u16_sdwa s[12:13], v7, s4 src0_sel:BYTE_0 src1_sel:DWORD
	s_mov_b64 s[4:5], -1
                                        ; implicit-def: $sgpr10
	s_and_saveexec_b64 s[8:9], s[12:13]
; %bb.2722:
	s_mov_b32 s10, 0x7f800001
	s_xor_b64 s[4:5], exec, -1
; %bb.2723:
	s_or_b64 exec, exec, s[8:9]
	s_and_b64 s[4:5], s[4:5], exec
	s_or_saveexec_b64 s[6:7], s[6:7]
	v_mov_b32_e32 v2, s10
	s_xor_b64 exec, exec, s[6:7]
	s_cbranch_execz .LBB8_674
.LBB8_2724:
	v_mov_b32_e32 v2, 0
	v_cmp_ne_u16_sdwa s[8:9], v7, v2 src0_sel:BYTE_0 src1_sel:DWORD
	s_andn2_b64 s[4:5], s[4:5], exec
	s_and_b64 s[8:9], s[8:9], exec
	s_or_b64 s[4:5], s[4:5], s[8:9]
	s_or_b64 exec, exec, s[6:7]
	s_and_saveexec_b64 s[6:7], s[4:5]
	s_cbranch_execnz .LBB8_675
	s_branch .LBB8_676
.LBB8_2725:
	s_movk_i32 s4, 0x80
	v_cmp_eq_u16_sdwa s[12:13], v3, s4 src0_sel:BYTE_0 src1_sel:DWORD
	s_mov_b64 s[4:5], -1
                                        ; implicit-def: $sgpr10
	s_and_saveexec_b64 s[8:9], s[12:13]
; %bb.2726:
	s_mov_b32 s10, 0x7f800001
	s_xor_b64 s[4:5], exec, -1
; %bb.2727:
	s_or_b64 exec, exec, s[8:9]
	s_and_b64 s[4:5], s[4:5], exec
	s_or_saveexec_b64 s[6:7], s[6:7]
	v_mov_b32_e32 v6, s10
	s_xor_b64 exec, exec, s[6:7]
	s_cbranch_execz .LBB8_678
.LBB8_2728:
	v_mov_b32_e32 v6, 0
	v_cmp_ne_u16_sdwa s[8:9], v3, v6 src0_sel:BYTE_0 src1_sel:DWORD
	s_andn2_b64 s[4:5], s[4:5], exec
	s_and_b64 s[8:9], s[8:9], exec
	s_or_b64 s[4:5], s[4:5], s[8:9]
	s_or_b64 exec, exec, s[6:7]
	s_and_saveexec_b64 s[6:7], s[4:5]
	s_cbranch_execnz .LBB8_679
	s_branch .LBB8_680
.LBB8_2729:
	s_movk_i32 s4, 0x80
	v_cmp_eq_u16_sdwa s[12:13], v6, s4 src0_sel:BYTE_0 src1_sel:DWORD
	s_mov_b64 s[4:5], -1
                                        ; implicit-def: $sgpr10
	s_and_saveexec_b64 s[8:9], s[12:13]
; %bb.2730:
	s_mov_b32 s10, 0x7f800001
	s_xor_b64 s[4:5], exec, -1
; %bb.2731:
	s_or_b64 exec, exec, s[8:9]
	s_and_b64 s[4:5], s[4:5], exec
	s_or_saveexec_b64 s[6:7], s[6:7]
	v_mov_b32_e32 v2, s10
	s_xor_b64 exec, exec, s[6:7]
	s_cbranch_execz .LBB8_682
.LBB8_2732:
	v_mov_b32_e32 v2, 0
	v_cmp_ne_u16_sdwa s[8:9], v6, v2 src0_sel:BYTE_0 src1_sel:DWORD
	s_andn2_b64 s[4:5], s[4:5], exec
	s_and_b64 s[8:9], s[8:9], exec
	s_or_b64 s[4:5], s[4:5], s[8:9]
	s_or_b64 exec, exec, s[6:7]
	s_and_saveexec_b64 s[6:7], s[4:5]
	s_cbranch_execnz .LBB8_683
	s_branch .LBB8_684
.LBB8_2733:
	s_movk_i32 s4, 0x80
	v_cmp_eq_u16_sdwa s[12:13], v6, s4 src0_sel:BYTE_0 src1_sel:DWORD
	s_mov_b64 s[4:5], -1
                                        ; implicit-def: $sgpr10
	s_and_saveexec_b64 s[8:9], s[12:13]
; %bb.2734:
	s_mov_b32 s10, 0x7f800001
	s_xor_b64 s[4:5], exec, -1
; %bb.2735:
	s_or_b64 exec, exec, s[8:9]
	s_and_b64 s[4:5], s[4:5], exec
	s_or_saveexec_b64 s[6:7], s[6:7]
	v_mov_b32_e32 v10, s10
	s_xor_b64 exec, exec, s[6:7]
	s_cbranch_execz .LBB8_686
.LBB8_2736:
	v_mov_b32_e32 v10, 0
	v_cmp_ne_u16_sdwa s[8:9], v6, v10 src0_sel:BYTE_0 src1_sel:DWORD
	s_andn2_b64 s[4:5], s[4:5], exec
	s_and_b64 s[8:9], s[8:9], exec
	s_or_b64 s[4:5], s[4:5], s[8:9]
	s_or_b64 exec, exec, s[6:7]
	s_and_saveexec_b64 s[6:7], s[4:5]
	s_cbranch_execnz .LBB8_687
	s_branch .LBB8_688
.LBB8_2737:
	s_movk_i32 s4, 0x80
	v_cmp_eq_u16_e32 vcc, s4, v6
	s_mov_b64 s[4:5], -1
                                        ; implicit-def: $sgpr10
	s_and_saveexec_b64 s[8:9], vcc
; %bb.2738:
	s_mov_b32 s10, 0x7f800001
	s_xor_b64 s[4:5], exec, -1
; %bb.2739:
	s_or_b64 exec, exec, s[8:9]
	s_and_b64 s[4:5], s[4:5], exec
                                        ; implicit-def: $vgpr6
	s_or_saveexec_b64 s[6:7], s[6:7]
	v_mov_b32_e32 v2, s10
	s_xor_b64 exec, exec, s[6:7]
	s_cbranch_execz .LBB8_690
.LBB8_2740:
	v_cmp_ne_u16_e32 vcc, 0, v6
	s_andn2_b64 s[4:5], s[4:5], exec
	s_and_b64 s[8:9], vcc, exec
	v_mov_b32_e32 v2, 0
	s_or_b64 s[4:5], s[4:5], s[8:9]
	s_or_b64 exec, exec, s[6:7]
	s_and_saveexec_b64 s[6:7], s[4:5]
	s_cbranch_execnz .LBB8_691
	s_branch .LBB8_692
.LBB8_2741:
	s_movk_i32 s4, 0x80
	v_cmp_eq_u16_e32 vcc, s4, v6
	s_mov_b64 s[4:5], -1
                                        ; implicit-def: $sgpr10
	s_and_saveexec_b64 s[8:9], vcc
; %bb.2742:
	s_mov_b32 s10, 0x7f800001
	s_xor_b64 s[4:5], exec, -1
; %bb.2743:
	s_or_b64 exec, exec, s[8:9]
	s_and_b64 s[4:5], s[4:5], exec
                                        ; implicit-def: $vgpr6
	s_or_saveexec_b64 s[6:7], s[6:7]
	v_mov_b32_e32 v10, s10
	s_xor_b64 exec, exec, s[6:7]
	s_cbranch_execz .LBB8_694
.LBB8_2744:
	v_cmp_ne_u16_e32 vcc, 0, v6
	s_andn2_b64 s[4:5], s[4:5], exec
	s_and_b64 s[8:9], vcc, exec
	v_mov_b32_e32 v10, 0
	s_or_b64 s[4:5], s[4:5], s[8:9]
	s_or_b64 exec, exec, s[6:7]
	s_and_saveexec_b64 s[6:7], s[4:5]
	s_cbranch_execnz .LBB8_695
	s_branch .LBB8_696
.LBB8_2745:
	s_movk_i32 s4, 0x80
	v_cmp_eq_u16_sdwa s[12:13], v7, s4 src0_sel:BYTE_3 src1_sel:DWORD
	s_mov_b64 s[4:5], -1
                                        ; implicit-def: $sgpr10
	s_and_saveexec_b64 s[8:9], s[12:13]
; %bb.2746:
	s_mov_b32 s10, 0x7f800001
	s_xor_b64 s[4:5], exec, -1
; %bb.2747:
	s_or_b64 exec, exec, s[8:9]
	s_and_b64 s[4:5], s[4:5], exec
	s_or_saveexec_b64 s[6:7], s[6:7]
	v_mov_b32_e32 v2, s10
	s_xor_b64 exec, exec, s[6:7]
	s_cbranch_execz .LBB8_698
.LBB8_2748:
	v_mov_b32_e32 v2, 0
	v_cmp_ne_u16_sdwa s[8:9], v7, v2 src0_sel:BYTE_3 src1_sel:DWORD
	s_andn2_b64 s[4:5], s[4:5], exec
	s_and_b64 s[8:9], s[8:9], exec
	s_or_b64 s[4:5], s[4:5], s[8:9]
	s_or_b64 exec, exec, s[6:7]
	s_and_saveexec_b64 s[6:7], s[4:5]
	s_cbranch_execnz .LBB8_699
	s_branch .LBB8_700
.LBB8_2749:
	s_movk_i32 s4, 0x80
	v_cmp_eq_u16_sdwa s[12:13], v3, s4 src0_sel:BYTE_3 src1_sel:DWORD
	s_mov_b64 s[4:5], -1
                                        ; implicit-def: $sgpr10
	s_and_saveexec_b64 s[8:9], s[12:13]
; %bb.2750:
	s_mov_b32 s10, 0x7f800001
	s_xor_b64 s[4:5], exec, -1
; %bb.2751:
	s_or_b64 exec, exec, s[8:9]
	s_and_b64 s[4:5], s[4:5], exec
	s_or_saveexec_b64 s[6:7], s[6:7]
	v_mov_b32_e32 v6, s10
	s_xor_b64 exec, exec, s[6:7]
	s_cbranch_execz .LBB8_702
.LBB8_2752:
	v_mov_b32_e32 v6, 0
	v_cmp_ne_u16_sdwa s[8:9], v3, v6 src0_sel:BYTE_3 src1_sel:DWORD
	s_andn2_b64 s[4:5], s[4:5], exec
	s_and_b64 s[8:9], s[8:9], exec
	s_or_b64 s[4:5], s[4:5], s[8:9]
	s_or_b64 exec, exec, s[6:7]
	s_and_saveexec_b64 s[6:7], s[4:5]
	s_cbranch_execnz .LBB8_703
	s_branch .LBB8_704
.LBB8_2753:
	s_movk_i32 s4, 0x80
	v_cmp_eq_u16_sdwa s[12:13], v8, s4 src0_sel:BYTE_0 src1_sel:DWORD
	s_mov_b64 s[4:5], -1
                                        ; implicit-def: $sgpr10
	s_and_saveexec_b64 s[8:9], s[12:13]
; %bb.2754:
	s_mov_b32 s10, 0x7f800001
	s_xor_b64 s[4:5], exec, -1
; %bb.2755:
	s_or_b64 exec, exec, s[8:9]
	s_and_b64 s[4:5], s[4:5], exec
	s_or_saveexec_b64 s[6:7], s[6:7]
	v_mov_b32_e32 v2, s10
	s_xor_b64 exec, exec, s[6:7]
	s_cbranch_execz .LBB8_706
.LBB8_2756:
	v_mov_b32_e32 v2, 0
	v_cmp_ne_u16_sdwa s[8:9], v8, v2 src0_sel:BYTE_0 src1_sel:DWORD
	s_andn2_b64 s[4:5], s[4:5], exec
	s_and_b64 s[8:9], s[8:9], exec
	s_or_b64 s[4:5], s[4:5], s[8:9]
	s_or_b64 exec, exec, s[6:7]
	s_and_saveexec_b64 s[6:7], s[4:5]
	s_cbranch_execnz .LBB8_707
	s_branch .LBB8_708
.LBB8_2757:
	s_movk_i32 s4, 0x80
	v_cmp_eq_u16_sdwa s[12:13], v4, s4 src0_sel:BYTE_0 src1_sel:DWORD
	s_mov_b64 s[4:5], -1
                                        ; implicit-def: $sgpr10
	s_and_saveexec_b64 s[8:9], s[12:13]
; %bb.2758:
	s_mov_b32 s10, 0x7f800001
	s_xor_b64 s[4:5], exec, -1
; %bb.2759:
	s_or_b64 exec, exec, s[8:9]
	s_and_b64 s[4:5], s[4:5], exec
	s_or_saveexec_b64 s[6:7], s[6:7]
	v_mov_b32_e32 v3, s10
	s_xor_b64 exec, exec, s[6:7]
	s_cbranch_execz .LBB8_710
.LBB8_2760:
	v_mov_b32_e32 v3, 0
	v_cmp_ne_u16_sdwa s[8:9], v4, v3 src0_sel:BYTE_0 src1_sel:DWORD
	s_andn2_b64 s[4:5], s[4:5], exec
	s_and_b64 s[8:9], s[8:9], exec
	s_or_b64 s[4:5], s[4:5], s[8:9]
	s_or_b64 exec, exec, s[6:7]
	s_and_saveexec_b64 s[6:7], s[4:5]
	s_cbranch_execnz .LBB8_711
	s_branch .LBB8_712
.LBB8_2761:
	s_movk_i32 s4, 0x80
	v_cmp_eq_u16_sdwa s[12:13], v3, s4 src0_sel:BYTE_0 src1_sel:DWORD
	s_mov_b64 s[4:5], -1
                                        ; implicit-def: $sgpr10
	s_and_saveexec_b64 s[8:9], s[12:13]
; %bb.2762:
	s_mov_b32 s10, 0x7f800001
	s_xor_b64 s[4:5], exec, -1
; %bb.2763:
	s_or_b64 exec, exec, s[8:9]
	s_and_b64 s[4:5], s[4:5], exec
	s_or_saveexec_b64 s[6:7], s[6:7]
	v_mov_b32_e32 v2, s10
	s_xor_b64 exec, exec, s[6:7]
	s_cbranch_execz .LBB8_714
.LBB8_2764:
	v_mov_b32_e32 v2, 0
	v_cmp_ne_u16_sdwa s[8:9], v3, v2 src0_sel:BYTE_0 src1_sel:DWORD
	s_andn2_b64 s[4:5], s[4:5], exec
	s_and_b64 s[8:9], s[8:9], exec
	s_or_b64 s[4:5], s[4:5], s[8:9]
	s_or_b64 exec, exec, s[6:7]
	s_and_saveexec_b64 s[6:7], s[4:5]
	s_cbranch_execnz .LBB8_715
	s_branch .LBB8_716
.LBB8_2765:
	s_movk_i32 s4, 0x80
	v_cmp_eq_u16_sdwa s[12:13], v3, s4 src0_sel:BYTE_0 src1_sel:DWORD
	s_mov_b64 s[4:5], -1
                                        ; implicit-def: $sgpr10
	s_and_saveexec_b64 s[8:9], s[12:13]
; %bb.2766:
	s_mov_b32 s10, 0x7f800001
	s_xor_b64 s[4:5], exec, -1
; %bb.2767:
	s_or_b64 exec, exec, s[8:9]
	s_and_b64 s[4:5], s[4:5], exec
	s_or_saveexec_b64 s[6:7], s[6:7]
	v_mov_b32_e32 v6, s10
	s_xor_b64 exec, exec, s[6:7]
	s_cbranch_execz .LBB8_718
.LBB8_2768:
	v_mov_b32_e32 v6, 0
	v_cmp_ne_u16_sdwa s[8:9], v3, v6 src0_sel:BYTE_0 src1_sel:DWORD
	s_andn2_b64 s[4:5], s[4:5], exec
	s_and_b64 s[8:9], s[8:9], exec
	s_or_b64 s[4:5], s[4:5], s[8:9]
	s_or_b64 exec, exec, s[6:7]
	s_and_saveexec_b64 s[6:7], s[4:5]
	s_cbranch_execnz .LBB8_719
	s_branch .LBB8_720
.LBB8_2769:
	s_movk_i32 s4, 0x80
	v_cmp_eq_u16_e32 vcc, s4, v3
	s_mov_b64 s[4:5], -1
                                        ; implicit-def: $sgpr10
	s_and_saveexec_b64 s[8:9], vcc
; %bb.2770:
	s_mov_b32 s10, 0x7f800001
	s_xor_b64 s[4:5], exec, -1
; %bb.2771:
	s_or_b64 exec, exec, s[8:9]
	s_and_b64 s[4:5], s[4:5], exec
                                        ; implicit-def: $vgpr3
	s_or_saveexec_b64 s[6:7], s[6:7]
	v_mov_b32_e32 v2, s10
	s_xor_b64 exec, exec, s[6:7]
	s_cbranch_execz .LBB8_722
.LBB8_2772:
	v_cmp_ne_u16_e32 vcc, 0, v3
	s_andn2_b64 s[4:5], s[4:5], exec
	s_and_b64 s[8:9], vcc, exec
	v_mov_b32_e32 v2, 0
	s_or_b64 s[4:5], s[4:5], s[8:9]
	s_or_b64 exec, exec, s[6:7]
	s_and_saveexec_b64 s[6:7], s[4:5]
	s_cbranch_execnz .LBB8_723
	s_branch .LBB8_724
.LBB8_2773:
	s_movk_i32 s4, 0x80
	v_cmp_eq_u16_e32 vcc, s4, v3
	s_mov_b64 s[4:5], -1
                                        ; implicit-def: $sgpr10
	s_and_saveexec_b64 s[8:9], vcc
; %bb.2774:
	s_mov_b32 s10, 0x7f800001
	s_xor_b64 s[4:5], exec, -1
; %bb.2775:
	s_or_b64 exec, exec, s[8:9]
	s_and_b64 s[4:5], s[4:5], exec
                                        ; implicit-def: $vgpr3
	s_or_saveexec_b64 s[6:7], s[6:7]
	v_mov_b32_e32 v6, s10
	s_xor_b64 exec, exec, s[6:7]
	s_cbranch_execz .LBB8_726
.LBB8_2776:
	v_cmp_ne_u16_e32 vcc, 0, v3
	s_andn2_b64 s[4:5], s[4:5], exec
	s_and_b64 s[8:9], vcc, exec
	v_mov_b32_e32 v6, 0
	s_or_b64 s[4:5], s[4:5], s[8:9]
	s_or_b64 exec, exec, s[6:7]
	s_and_saveexec_b64 s[6:7], s[4:5]
	s_cbranch_execnz .LBB8_727
	s_branch .LBB8_728
.LBB8_2777:
	s_movk_i32 s4, 0x80
	v_cmp_eq_u16_sdwa s[12:13], v8, s4 src0_sel:BYTE_3 src1_sel:DWORD
	s_mov_b64 s[4:5], -1
                                        ; implicit-def: $sgpr10
	s_and_saveexec_b64 s[8:9], s[12:13]
; %bb.2778:
	s_mov_b32 s10, 0x7f800001
	s_xor_b64 s[4:5], exec, -1
; %bb.2779:
	s_or_b64 exec, exec, s[8:9]
	s_and_b64 s[4:5], s[4:5], exec
	s_or_saveexec_b64 s[6:7], s[6:7]
	v_mov_b32_e32 v2, s10
	s_xor_b64 exec, exec, s[6:7]
	s_cbranch_execz .LBB8_730
.LBB8_2780:
	v_mov_b32_e32 v2, 0
	v_cmp_ne_u16_sdwa s[8:9], v8, v2 src0_sel:BYTE_3 src1_sel:DWORD
	s_andn2_b64 s[4:5], s[4:5], exec
	s_and_b64 s[8:9], s[8:9], exec
	s_or_b64 s[4:5], s[4:5], s[8:9]
	s_or_b64 exec, exec, s[6:7]
	s_and_saveexec_b64 s[6:7], s[4:5]
	s_cbranch_execnz .LBB8_731
	s_branch .LBB8_732
.LBB8_2781:
	s_movk_i32 s4, 0x80
	v_cmp_eq_u16_sdwa s[12:13], v4, s4 src0_sel:BYTE_3 src1_sel:DWORD
	s_mov_b64 s[4:5], -1
                                        ; implicit-def: $sgpr10
	s_and_saveexec_b64 s[8:9], s[12:13]
; %bb.2782:
	s_mov_b32 s10, 0x7f800001
	s_xor_b64 s[4:5], exec, -1
; %bb.2783:
	s_or_b64 exec, exec, s[8:9]
	s_and_b64 s[4:5], s[4:5], exec
	s_or_saveexec_b64 s[6:7], s[6:7]
	v_mov_b32_e32 v3, s10
	s_xor_b64 exec, exec, s[6:7]
	s_cbranch_execz .LBB8_734
.LBB8_2784:
	v_mov_b32_e32 v3, 0
	v_cmp_ne_u16_sdwa s[8:9], v4, v3 src0_sel:BYTE_3 src1_sel:DWORD
	s_andn2_b64 s[4:5], s[4:5], exec
	s_and_b64 s[8:9], s[8:9], exec
	s_or_b64 s[4:5], s[4:5], s[8:9]
	s_or_b64 exec, exec, s[6:7]
	s_and_saveexec_b64 s[6:7], s[4:5]
	s_cbranch_execnz .LBB8_735
	s_branch .LBB8_736
.LBB8_2785:
	s_movk_i32 s4, 0x80
	v_cmp_eq_u16_sdwa s[12:13], v9, s4 src0_sel:BYTE_0 src1_sel:DWORD
	s_mov_b64 s[4:5], -1
                                        ; implicit-def: $sgpr10
	s_and_saveexec_b64 s[8:9], s[12:13]
; %bb.2786:
	s_mov_b32 s10, 0x7f800001
	s_xor_b64 s[4:5], exec, -1
; %bb.2787:
	s_or_b64 exec, exec, s[8:9]
	s_and_b64 s[4:5], s[4:5], exec
	s_or_saveexec_b64 s[6:7], s[6:7]
	v_mov_b32_e32 v2, s10
	s_xor_b64 exec, exec, s[6:7]
	s_cbranch_execz .LBB8_738
.LBB8_2788:
	v_mov_b32_e32 v2, 0
	v_cmp_ne_u16_sdwa s[8:9], v9, v2 src0_sel:BYTE_0 src1_sel:DWORD
	s_andn2_b64 s[4:5], s[4:5], exec
	s_and_b64 s[8:9], s[8:9], exec
	s_or_b64 s[4:5], s[4:5], s[8:9]
	s_or_b64 exec, exec, s[6:7]
	s_and_saveexec_b64 s[6:7], s[4:5]
	s_cbranch_execnz .LBB8_739
	s_branch .LBB8_740
.LBB8_2789:
	s_movk_i32 s4, 0x80
	v_cmp_eq_u16_sdwa s[12:13], v5, s4 src0_sel:BYTE_0 src1_sel:DWORD
	s_mov_b64 s[4:5], -1
                                        ; implicit-def: $sgpr10
	s_and_saveexec_b64 s[8:9], s[12:13]
; %bb.2790:
	s_mov_b32 s10, 0x7f800001
	s_xor_b64 s[4:5], exec, -1
; %bb.2791:
	s_or_b64 exec, exec, s[8:9]
	s_and_b64 s[4:5], s[4:5], exec
	s_or_saveexec_b64 s[6:7], s[6:7]
	v_mov_b32_e32 v3, s10
	s_xor_b64 exec, exec, s[6:7]
	s_cbranch_execz .LBB8_742
.LBB8_2792:
	v_mov_b32_e32 v3, 0
	v_cmp_ne_u16_sdwa s[8:9], v5, v3 src0_sel:BYTE_0 src1_sel:DWORD
	s_andn2_b64 s[4:5], s[4:5], exec
	s_and_b64 s[8:9], s[8:9], exec
	s_or_b64 s[4:5], s[4:5], s[8:9]
	s_or_b64 exec, exec, s[6:7]
	s_and_saveexec_b64 s[6:7], s[4:5]
	s_cbranch_execnz .LBB8_743
	s_branch .LBB8_744
.LBB8_2793:
	s_movk_i32 s4, 0x80
	v_cmp_eq_u16_sdwa s[12:13], v3, s4 src0_sel:BYTE_0 src1_sel:DWORD
	s_mov_b64 s[4:5], -1
                                        ; implicit-def: $sgpr10
	s_and_saveexec_b64 s[8:9], s[12:13]
; %bb.2794:
	s_mov_b32 s10, 0x7f800001
	s_xor_b64 s[4:5], exec, -1
; %bb.2795:
	s_or_b64 exec, exec, s[8:9]
	s_and_b64 s[4:5], s[4:5], exec
	s_or_saveexec_b64 s[6:7], s[6:7]
	v_mov_b32_e32 v2, s10
	s_xor_b64 exec, exec, s[6:7]
	s_cbranch_execz .LBB8_746
.LBB8_2796:
	v_mov_b32_e32 v2, 0
	v_cmp_ne_u16_sdwa s[8:9], v3, v2 src0_sel:BYTE_0 src1_sel:DWORD
	s_andn2_b64 s[4:5], s[4:5], exec
	s_and_b64 s[8:9], s[8:9], exec
	s_or_b64 s[4:5], s[4:5], s[8:9]
	s_or_b64 exec, exec, s[6:7]
	s_and_saveexec_b64 s[6:7], s[4:5]
	s_cbranch_execnz .LBB8_747
	s_branch .LBB8_748
.LBB8_2797:
	s_movk_i32 s4, 0x80
	v_cmp_eq_u16_sdwa s[12:13], v3, s4 src0_sel:BYTE_0 src1_sel:DWORD
	s_mov_b64 s[4:5], -1
                                        ; implicit-def: $sgpr10
	s_and_saveexec_b64 s[8:9], s[12:13]
; %bb.2798:
	s_mov_b32 s10, 0x7f800001
	s_xor_b64 s[4:5], exec, -1
; %bb.2799:
	s_or_b64 exec, exec, s[8:9]
	s_and_b64 s[4:5], s[4:5], exec
	s_or_saveexec_b64 s[6:7], s[6:7]
	v_mov_b32_e32 v4, s10
	s_xor_b64 exec, exec, s[6:7]
	s_cbranch_execz .LBB8_750
.LBB8_2800:
	v_mov_b32_e32 v4, 0
	v_cmp_ne_u16_sdwa s[8:9], v3, v4 src0_sel:BYTE_0 src1_sel:DWORD
	s_andn2_b64 s[4:5], s[4:5], exec
	s_and_b64 s[8:9], s[8:9], exec
	s_or_b64 s[4:5], s[4:5], s[8:9]
	s_or_b64 exec, exec, s[6:7]
	s_and_saveexec_b64 s[6:7], s[4:5]
	s_cbranch_execnz .LBB8_751
	s_branch .LBB8_752
.LBB8_2801:
	s_movk_i32 s4, 0x80
	v_cmp_eq_u16_e32 vcc, s4, v3
	s_mov_b64 s[4:5], -1
                                        ; implicit-def: $sgpr10
	s_and_saveexec_b64 s[8:9], vcc
; %bb.2802:
	s_mov_b32 s10, 0x7f800001
	s_xor_b64 s[4:5], exec, -1
; %bb.2803:
	s_or_b64 exec, exec, s[8:9]
	s_and_b64 s[4:5], s[4:5], exec
                                        ; implicit-def: $vgpr3
	s_or_saveexec_b64 s[6:7], s[6:7]
	v_mov_b32_e32 v2, s10
	s_xor_b64 exec, exec, s[6:7]
	s_cbranch_execz .LBB8_754
.LBB8_2804:
	v_cmp_ne_u16_e32 vcc, 0, v3
	s_andn2_b64 s[4:5], s[4:5], exec
	s_and_b64 s[8:9], vcc, exec
	v_mov_b32_e32 v2, 0
	s_or_b64 s[4:5], s[4:5], s[8:9]
	s_or_b64 exec, exec, s[6:7]
	s_and_saveexec_b64 s[6:7], s[4:5]
	s_cbranch_execnz .LBB8_755
	s_branch .LBB8_756
.LBB8_2805:
	s_movk_i32 s4, 0x80
	v_cmp_eq_u16_e32 vcc, s4, v3
	s_mov_b64 s[4:5], -1
                                        ; implicit-def: $sgpr10
	s_and_saveexec_b64 s[8:9], vcc
; %bb.2806:
	s_mov_b32 s10, 0x7f800001
	s_xor_b64 s[4:5], exec, -1
; %bb.2807:
	s_or_b64 exec, exec, s[8:9]
	s_and_b64 s[4:5], s[4:5], exec
                                        ; implicit-def: $vgpr3
	s_or_saveexec_b64 s[6:7], s[6:7]
	v_mov_b32_e32 v4, s10
	s_xor_b64 exec, exec, s[6:7]
	s_cbranch_execz .LBB8_758
.LBB8_2808:
	v_cmp_ne_u16_e32 vcc, 0, v3
	s_andn2_b64 s[4:5], s[4:5], exec
	s_and_b64 s[8:9], vcc, exec
	v_mov_b32_e32 v4, 0
	s_or_b64 s[4:5], s[4:5], s[8:9]
	s_or_b64 exec, exec, s[6:7]
	s_and_saveexec_b64 s[6:7], s[4:5]
	s_cbranch_execnz .LBB8_759
	s_branch .LBB8_760
.LBB8_2809:
	s_movk_i32 s4, 0x80
	v_cmp_eq_u16_sdwa s[12:13], v9, s4 src0_sel:BYTE_3 src1_sel:DWORD
	s_mov_b64 s[4:5], -1
                                        ; implicit-def: $sgpr10
	s_and_saveexec_b64 s[8:9], s[12:13]
; %bb.2810:
	s_mov_b32 s10, 0x7f800001
	s_xor_b64 s[4:5], exec, -1
; %bb.2811:
	s_or_b64 exec, exec, s[8:9]
	s_and_b64 s[4:5], s[4:5], exec
	s_or_saveexec_b64 s[6:7], s[6:7]
	v_mov_b32_e32 v2, s10
	s_xor_b64 exec, exec, s[6:7]
	s_cbranch_execz .LBB8_762
.LBB8_2812:
	v_mov_b32_e32 v2, 0
	v_cmp_ne_u16_sdwa s[8:9], v9, v2 src0_sel:BYTE_3 src1_sel:DWORD
	s_andn2_b64 s[4:5], s[4:5], exec
	s_and_b64 s[8:9], s[8:9], exec
	s_or_b64 s[4:5], s[4:5], s[8:9]
	s_or_b64 exec, exec, s[6:7]
	s_and_saveexec_b64 s[6:7], s[4:5]
	s_cbranch_execnz .LBB8_763
	s_branch .LBB8_764
.LBB8_2813:
	s_movk_i32 s4, 0x80
	v_cmp_eq_u16_sdwa s[12:13], v5, s4 src0_sel:BYTE_3 src1_sel:DWORD
	s_mov_b64 s[4:5], -1
                                        ; implicit-def: $sgpr10
	s_and_saveexec_b64 s[8:9], s[12:13]
; %bb.2814:
	s_mov_b32 s10, 0x7f800001
	s_xor_b64 s[4:5], exec, -1
; %bb.2815:
	s_or_b64 exec, exec, s[8:9]
	s_and_b64 s[4:5], s[4:5], exec
	s_or_saveexec_b64 s[6:7], s[6:7]
	v_mov_b32_e32 v3, s10
	s_xor_b64 exec, exec, s[6:7]
	s_cbranch_execz .LBB8_766
.LBB8_2816:
	v_mov_b32_e32 v3, 0
	v_cmp_ne_u16_sdwa s[8:9], v5, v3 src0_sel:BYTE_3 src1_sel:DWORD
	s_andn2_b64 s[4:5], s[4:5], exec
	s_and_b64 s[8:9], s[8:9], exec
	s_or_b64 s[4:5], s[4:5], s[8:9]
	s_or_b64 exec, exec, s[6:7]
	s_and_saveexec_b64 s[6:7], s[4:5]
	s_cbranch_execnz .LBB8_767
	s_branch .LBB8_768
.LBB8_2817:
	s_movk_i32 s4, 0x80
	v_cmp_eq_u16_sdwa s[12:13], v14, s4 src0_sel:BYTE_0 src1_sel:DWORD
	s_mov_b64 s[4:5], -1
                                        ; implicit-def: $sgpr10
	s_and_saveexec_b64 s[8:9], s[12:13]
; %bb.2818:
	s_mov_b32 s10, 0x7f800001
	s_xor_b64 s[4:5], exec, -1
; %bb.2819:
	s_or_b64 exec, exec, s[8:9]
	s_and_b64 s[4:5], s[4:5], exec
	s_or_saveexec_b64 s[6:7], s[6:7]
	v_mov_b32_e32 v20, s10
	s_xor_b64 exec, exec, s[6:7]
	s_cbranch_execz .LBB8_770
.LBB8_2820:
	v_mov_b32_e32 v20, 0
	v_cmp_ne_u16_sdwa s[8:9], v14, v20 src0_sel:BYTE_0 src1_sel:DWORD
	s_andn2_b64 s[4:5], s[4:5], exec
	s_and_b64 s[8:9], s[8:9], exec
	s_or_b64 s[4:5], s[4:5], s[8:9]
	s_or_b64 exec, exec, s[6:7]
	s_and_saveexec_b64 s[6:7], s[4:5]
	s_cbranch_execnz .LBB8_771
	s_branch .LBB8_772
.LBB8_2821:
	s_movk_i32 s4, 0x80
	v_cmp_eq_u16_sdwa s[12:13], v10, s4 src0_sel:BYTE_0 src1_sel:DWORD
	s_mov_b64 s[4:5], -1
                                        ; implicit-def: $sgpr10
	s_and_saveexec_b64 s[8:9], s[12:13]
; %bb.2822:
	s_mov_b32 s10, 0x7f800001
	s_xor_b64 s[4:5], exec, -1
; %bb.2823:
	s_or_b64 exec, exec, s[8:9]
	s_and_b64 s[4:5], s[4:5], exec
	s_or_saveexec_b64 s[6:7], s[6:7]
	v_mov_b32_e32 v21, s10
	s_xor_b64 exec, exec, s[6:7]
	s_cbranch_execz .LBB8_774
.LBB8_2824:
	v_mov_b32_e32 v21, 0
	v_cmp_ne_u16_sdwa s[8:9], v10, v21 src0_sel:BYTE_0 src1_sel:DWORD
	s_andn2_b64 s[4:5], s[4:5], exec
	s_and_b64 s[8:9], s[8:9], exec
	s_or_b64 s[4:5], s[4:5], s[8:9]
	s_or_b64 exec, exec, s[6:7]
	s_and_saveexec_b64 s[6:7], s[4:5]
	s_cbranch_execnz .LBB8_775
	s_branch .LBB8_776
.LBB8_2825:
	s_movk_i32 s4, 0x80
	v_cmp_eq_u16_sdwa s[12:13], v21, s4 src0_sel:BYTE_0 src1_sel:DWORD
	s_mov_b64 s[4:5], -1
                                        ; implicit-def: $sgpr10
	s_and_saveexec_b64 s[8:9], s[12:13]
; %bb.2826:
	s_mov_b32 s10, 0x7f800001
	s_xor_b64 s[4:5], exec, -1
; %bb.2827:
	s_or_b64 exec, exec, s[8:9]
	s_and_b64 s[4:5], s[4:5], exec
	s_or_saveexec_b64 s[6:7], s[6:7]
	v_mov_b32_e32 v20, s10
	s_xor_b64 exec, exec, s[6:7]
	s_cbranch_execz .LBB8_778
.LBB8_2828:
	v_mov_b32_e32 v20, 0
	v_cmp_ne_u16_sdwa s[8:9], v21, v20 src0_sel:BYTE_0 src1_sel:DWORD
	s_andn2_b64 s[4:5], s[4:5], exec
	s_and_b64 s[8:9], s[8:9], exec
	s_or_b64 s[4:5], s[4:5], s[8:9]
	s_or_b64 exec, exec, s[6:7]
	s_and_saveexec_b64 s[6:7], s[4:5]
	s_cbranch_execnz .LBB8_779
	s_branch .LBB8_780
.LBB8_2829:
	s_movk_i32 s4, 0x80
	v_cmp_eq_u16_sdwa s[12:13], v21, s4 src0_sel:BYTE_0 src1_sel:DWORD
	s_mov_b64 s[4:5], -1
                                        ; implicit-def: $sgpr10
	s_and_saveexec_b64 s[8:9], s[12:13]
; %bb.2830:
	s_mov_b32 s10, 0x7f800001
	s_xor_b64 s[4:5], exec, -1
; %bb.2831:
	s_or_b64 exec, exec, s[8:9]
	s_and_b64 s[4:5], s[4:5], exec
	s_or_saveexec_b64 s[6:7], s[6:7]
	v_mov_b32_e32 v22, s10
	s_xor_b64 exec, exec, s[6:7]
	s_cbranch_execz .LBB8_782
.LBB8_2832:
	v_mov_b32_e32 v22, 0
	v_cmp_ne_u16_sdwa s[8:9], v21, v22 src0_sel:BYTE_0 src1_sel:DWORD
	s_andn2_b64 s[4:5], s[4:5], exec
	s_and_b64 s[8:9], s[8:9], exec
	s_or_b64 s[4:5], s[4:5], s[8:9]
	s_or_b64 exec, exec, s[6:7]
	s_and_saveexec_b64 s[6:7], s[4:5]
	s_cbranch_execnz .LBB8_783
	s_branch .LBB8_784
.LBB8_2833:
	s_movk_i32 s4, 0x80
	v_cmp_eq_u16_e32 vcc, s4, v21
	s_mov_b64 s[4:5], -1
                                        ; implicit-def: $sgpr10
	s_and_saveexec_b64 s[8:9], vcc
; %bb.2834:
	s_mov_b32 s10, 0x7f800001
	s_xor_b64 s[4:5], exec, -1
; %bb.2835:
	s_or_b64 exec, exec, s[8:9]
	s_and_b64 s[4:5], s[4:5], exec
                                        ; implicit-def: $vgpr21
	s_or_saveexec_b64 s[6:7], s[6:7]
	v_mov_b32_e32 v20, s10
	s_xor_b64 exec, exec, s[6:7]
	s_cbranch_execz .LBB8_786
.LBB8_2836:
	v_cmp_ne_u16_e32 vcc, 0, v21
	s_andn2_b64 s[4:5], s[4:5], exec
	s_and_b64 s[8:9], vcc, exec
	v_mov_b32_e32 v20, 0
	s_or_b64 s[4:5], s[4:5], s[8:9]
	s_or_b64 exec, exec, s[6:7]
	s_and_saveexec_b64 s[6:7], s[4:5]
	s_cbranch_execnz .LBB8_787
	s_branch .LBB8_788
.LBB8_2837:
	s_movk_i32 s4, 0x80
	v_cmp_eq_u16_e32 vcc, s4, v21
	s_mov_b64 s[4:5], -1
                                        ; implicit-def: $sgpr10
	s_and_saveexec_b64 s[8:9], vcc
; %bb.2838:
	s_mov_b32 s10, 0x7f800001
	s_xor_b64 s[4:5], exec, -1
; %bb.2839:
	s_or_b64 exec, exec, s[8:9]
	s_and_b64 s[4:5], s[4:5], exec
                                        ; implicit-def: $vgpr21
	s_or_saveexec_b64 s[6:7], s[6:7]
	v_mov_b32_e32 v22, s10
	s_xor_b64 exec, exec, s[6:7]
	s_cbranch_execz .LBB8_790
.LBB8_2840:
	v_cmp_ne_u16_e32 vcc, 0, v21
	s_andn2_b64 s[4:5], s[4:5], exec
	s_and_b64 s[8:9], vcc, exec
	v_mov_b32_e32 v22, 0
	s_or_b64 s[4:5], s[4:5], s[8:9]
	s_or_b64 exec, exec, s[6:7]
	s_and_saveexec_b64 s[6:7], s[4:5]
	s_cbranch_execnz .LBB8_791
	s_branch .LBB8_792
.LBB8_2841:
	s_movk_i32 s4, 0x80
	v_cmp_eq_u16_sdwa s[12:13], v14, s4 src0_sel:BYTE_3 src1_sel:DWORD
	s_mov_b64 s[4:5], -1
                                        ; implicit-def: $sgpr10
	s_and_saveexec_b64 s[8:9], s[12:13]
; %bb.2842:
	s_mov_b32 s10, 0x7f800001
	s_xor_b64 s[4:5], exec, -1
; %bb.2843:
	s_or_b64 exec, exec, s[8:9]
	s_and_b64 s[4:5], s[4:5], exec
	s_or_saveexec_b64 s[6:7], s[6:7]
	v_mov_b32_e32 v20, s10
	s_xor_b64 exec, exec, s[6:7]
	s_cbranch_execz .LBB8_794
.LBB8_2844:
	v_mov_b32_e32 v20, 0
	v_cmp_ne_u16_sdwa s[8:9], v14, v20 src0_sel:BYTE_3 src1_sel:DWORD
	s_andn2_b64 s[4:5], s[4:5], exec
	s_and_b64 s[8:9], s[8:9], exec
	s_or_b64 s[4:5], s[4:5], s[8:9]
	s_or_b64 exec, exec, s[6:7]
	s_and_saveexec_b64 s[6:7], s[4:5]
	s_cbranch_execnz .LBB8_795
	s_branch .LBB8_796
.LBB8_2845:
	s_movk_i32 s4, 0x80
	v_cmp_eq_u16_sdwa s[12:13], v10, s4 src0_sel:BYTE_3 src1_sel:DWORD
	s_mov_b64 s[4:5], -1
                                        ; implicit-def: $sgpr10
	s_and_saveexec_b64 s[8:9], s[12:13]
; %bb.2846:
	s_mov_b32 s10, 0x7f800001
	s_xor_b64 s[4:5], exec, -1
; %bb.2847:
	s_or_b64 exec, exec, s[8:9]
	s_and_b64 s[4:5], s[4:5], exec
	s_or_saveexec_b64 s[6:7], s[6:7]
	v_mov_b32_e32 v14, s10
	s_xor_b64 exec, exec, s[6:7]
	s_cbranch_execz .LBB8_798
.LBB8_2848:
	v_mov_b32_e32 v14, 0
	v_cmp_ne_u16_sdwa s[8:9], v10, v14 src0_sel:BYTE_3 src1_sel:DWORD
	s_andn2_b64 s[4:5], s[4:5], exec
	s_and_b64 s[8:9], s[8:9], exec
	s_or_b64 s[4:5], s[4:5], s[8:9]
	s_or_b64 exec, exec, s[6:7]
	s_and_saveexec_b64 s[6:7], s[4:5]
	s_cbranch_execnz .LBB8_799
	s_branch .LBB8_800
.LBB8_2849:
	s_movk_i32 s4, 0x80
	v_cmp_eq_u16_sdwa s[12:13], v15, s4 src0_sel:BYTE_0 src1_sel:DWORD
	s_mov_b64 s[4:5], -1
                                        ; implicit-def: $sgpr10
	s_and_saveexec_b64 s[8:9], s[12:13]
; %bb.2850:
	s_mov_b32 s10, 0x7f800001
	s_xor_b64 s[4:5], exec, -1
; %bb.2851:
	s_or_b64 exec, exec, s[8:9]
	s_and_b64 s[4:5], s[4:5], exec
	s_or_saveexec_b64 s[6:7], s[6:7]
	v_mov_b32_e32 v10, s10
	s_xor_b64 exec, exec, s[6:7]
	s_cbranch_execz .LBB8_802
.LBB8_2852:
	v_mov_b32_e32 v10, 0
	v_cmp_ne_u16_sdwa s[8:9], v15, v10 src0_sel:BYTE_0 src1_sel:DWORD
	s_andn2_b64 s[4:5], s[4:5], exec
	s_and_b64 s[8:9], s[8:9], exec
	s_or_b64 s[4:5], s[4:5], s[8:9]
	s_or_b64 exec, exec, s[6:7]
	s_and_saveexec_b64 s[6:7], s[4:5]
	s_cbranch_execnz .LBB8_803
	s_branch .LBB8_804
.LBB8_2853:
	s_movk_i32 s4, 0x80
	v_cmp_eq_u16_sdwa s[12:13], v11, s4 src0_sel:BYTE_0 src1_sel:DWORD
	s_mov_b64 s[4:5], -1
                                        ; implicit-def: $sgpr10
	s_and_saveexec_b64 s[8:9], s[12:13]
; %bb.2854:
	s_mov_b32 s10, 0x7f800001
	s_xor_b64 s[4:5], exec, -1
; %bb.2855:
	s_or_b64 exec, exec, s[8:9]
	s_and_b64 s[4:5], s[4:5], exec
	s_or_saveexec_b64 s[6:7], s[6:7]
	v_mov_b32_e32 v14, s10
	s_xor_b64 exec, exec, s[6:7]
	s_cbranch_execz .LBB8_806
.LBB8_2856:
	v_mov_b32_e32 v14, 0
	v_cmp_ne_u16_sdwa s[8:9], v11, v14 src0_sel:BYTE_0 src1_sel:DWORD
	s_andn2_b64 s[4:5], s[4:5], exec
	s_and_b64 s[8:9], s[8:9], exec
	s_or_b64 s[4:5], s[4:5], s[8:9]
	s_or_b64 exec, exec, s[6:7]
	s_and_saveexec_b64 s[6:7], s[4:5]
	s_cbranch_execnz .LBB8_807
	s_branch .LBB8_808
.LBB8_2857:
	s_movk_i32 s4, 0x80
	v_cmp_eq_u16_sdwa s[12:13], v14, s4 src0_sel:BYTE_0 src1_sel:DWORD
	s_mov_b64 s[4:5], -1
                                        ; implicit-def: $sgpr10
	s_and_saveexec_b64 s[8:9], s[12:13]
; %bb.2858:
	s_mov_b32 s10, 0x7f800001
	s_xor_b64 s[4:5], exec, -1
; %bb.2859:
	s_or_b64 exec, exec, s[8:9]
	s_and_b64 s[4:5], s[4:5], exec
	s_or_saveexec_b64 s[6:7], s[6:7]
	v_mov_b32_e32 v10, s10
	s_xor_b64 exec, exec, s[6:7]
	s_cbranch_execz .LBB8_810
.LBB8_2860:
	v_mov_b32_e32 v10, 0
	v_cmp_ne_u16_sdwa s[8:9], v14, v10 src0_sel:BYTE_0 src1_sel:DWORD
	s_andn2_b64 s[4:5], s[4:5], exec
	s_and_b64 s[8:9], s[8:9], exec
	s_or_b64 s[4:5], s[4:5], s[8:9]
	s_or_b64 exec, exec, s[6:7]
	s_and_saveexec_b64 s[6:7], s[4:5]
	s_cbranch_execnz .LBB8_811
	s_branch .LBB8_812
.LBB8_2861:
	s_movk_i32 s4, 0x80
	v_cmp_eq_u16_sdwa s[12:13], v14, s4 src0_sel:BYTE_0 src1_sel:DWORD
	s_mov_b64 s[4:5], -1
                                        ; implicit-def: $sgpr10
	s_and_saveexec_b64 s[8:9], s[12:13]
; %bb.2862:
	s_mov_b32 s10, 0x7f800001
	s_xor_b64 s[4:5], exec, -1
; %bb.2863:
	s_or_b64 exec, exec, s[8:9]
	s_and_b64 s[4:5], s[4:5], exec
	s_or_saveexec_b64 s[6:7], s[6:7]
	v_mov_b32_e32 v20, s10
	s_xor_b64 exec, exec, s[6:7]
	s_cbranch_execz .LBB8_814
.LBB8_2864:
	v_mov_b32_e32 v20, 0
	v_cmp_ne_u16_sdwa s[8:9], v14, v20 src0_sel:BYTE_0 src1_sel:DWORD
	s_andn2_b64 s[4:5], s[4:5], exec
	s_and_b64 s[8:9], s[8:9], exec
	s_or_b64 s[4:5], s[4:5], s[8:9]
	s_or_b64 exec, exec, s[6:7]
	s_and_saveexec_b64 s[6:7], s[4:5]
	s_cbranch_execnz .LBB8_815
	s_branch .LBB8_816
.LBB8_2865:
	s_movk_i32 s4, 0x80
	v_cmp_eq_u16_e32 vcc, s4, v14
	s_mov_b64 s[4:5], -1
                                        ; implicit-def: $sgpr10
	s_and_saveexec_b64 s[8:9], vcc
; %bb.2866:
	s_mov_b32 s10, 0x7f800001
	s_xor_b64 s[4:5], exec, -1
; %bb.2867:
	s_or_b64 exec, exec, s[8:9]
	s_and_b64 s[4:5], s[4:5], exec
                                        ; implicit-def: $vgpr14
	s_or_saveexec_b64 s[6:7], s[6:7]
	v_mov_b32_e32 v10, s10
	s_xor_b64 exec, exec, s[6:7]
	s_cbranch_execz .LBB8_818
.LBB8_2868:
	v_cmp_ne_u16_e32 vcc, 0, v14
	s_andn2_b64 s[4:5], s[4:5], exec
	s_and_b64 s[8:9], vcc, exec
	v_mov_b32_e32 v10, 0
	s_or_b64 s[4:5], s[4:5], s[8:9]
	s_or_b64 exec, exec, s[6:7]
	s_and_saveexec_b64 s[6:7], s[4:5]
	s_cbranch_execnz .LBB8_819
	s_branch .LBB8_820
.LBB8_2869:
	s_movk_i32 s4, 0x80
	v_cmp_eq_u16_e32 vcc, s4, v14
	s_mov_b64 s[4:5], -1
                                        ; implicit-def: $sgpr10
	s_and_saveexec_b64 s[8:9], vcc
; %bb.2870:
	s_mov_b32 s10, 0x7f800001
	s_xor_b64 s[4:5], exec, -1
; %bb.2871:
	s_or_b64 exec, exec, s[8:9]
	s_and_b64 s[4:5], s[4:5], exec
                                        ; implicit-def: $vgpr14
	s_or_saveexec_b64 s[6:7], s[6:7]
	v_mov_b32_e32 v20, s10
	s_xor_b64 exec, exec, s[6:7]
	s_cbranch_execz .LBB8_822
.LBB8_2872:
	v_cmp_ne_u16_e32 vcc, 0, v14
	s_andn2_b64 s[4:5], s[4:5], exec
	s_and_b64 s[8:9], vcc, exec
	v_mov_b32_e32 v20, 0
	s_or_b64 s[4:5], s[4:5], s[8:9]
	s_or_b64 exec, exec, s[6:7]
	s_and_saveexec_b64 s[6:7], s[4:5]
	s_cbranch_execnz .LBB8_823
	s_branch .LBB8_824
.LBB8_2873:
	s_movk_i32 s4, 0x80
	v_cmp_eq_u16_sdwa s[12:13], v15, s4 src0_sel:BYTE_3 src1_sel:DWORD
	s_mov_b64 s[4:5], -1
                                        ; implicit-def: $sgpr10
	s_and_saveexec_b64 s[8:9], s[12:13]
; %bb.2874:
	s_mov_b32 s10, 0x7f800001
	s_xor_b64 s[4:5], exec, -1
; %bb.2875:
	s_or_b64 exec, exec, s[8:9]
	s_and_b64 s[4:5], s[4:5], exec
	s_or_saveexec_b64 s[6:7], s[6:7]
	v_mov_b32_e32 v10, s10
	s_xor_b64 exec, exec, s[6:7]
	s_cbranch_execz .LBB8_826
.LBB8_2876:
	v_mov_b32_e32 v10, 0
	v_cmp_ne_u16_sdwa s[8:9], v15, v10 src0_sel:BYTE_3 src1_sel:DWORD
	s_andn2_b64 s[4:5], s[4:5], exec
	s_and_b64 s[8:9], s[8:9], exec
	s_or_b64 s[4:5], s[4:5], s[8:9]
	s_or_b64 exec, exec, s[6:7]
	s_and_saveexec_b64 s[6:7], s[4:5]
	s_cbranch_execnz .LBB8_827
	s_branch .LBB8_828
.LBB8_2877:
	s_movk_i32 s4, 0x80
	v_cmp_eq_u16_sdwa s[12:13], v11, s4 src0_sel:BYTE_3 src1_sel:DWORD
	s_mov_b64 s[4:5], -1
                                        ; implicit-def: $sgpr10
	s_and_saveexec_b64 s[8:9], s[12:13]
; %bb.2878:
	s_mov_b32 s10, 0x7f800001
	s_xor_b64 s[4:5], exec, -1
; %bb.2879:
	s_or_b64 exec, exec, s[8:9]
	s_and_b64 s[4:5], s[4:5], exec
	s_or_saveexec_b64 s[6:7], s[6:7]
	v_mov_b32_e32 v14, s10
	s_xor_b64 exec, exec, s[6:7]
	s_cbranch_execz .LBB8_830
.LBB8_2880:
	v_mov_b32_e32 v14, 0
	v_cmp_ne_u16_sdwa s[8:9], v11, v14 src0_sel:BYTE_3 src1_sel:DWORD
	s_andn2_b64 s[4:5], s[4:5], exec
	s_and_b64 s[8:9], s[8:9], exec
	s_or_b64 s[4:5], s[4:5], s[8:9]
	s_or_b64 exec, exec, s[6:7]
	s_and_saveexec_b64 s[6:7], s[4:5]
	s_cbranch_execnz .LBB8_831
	s_branch .LBB8_832
.LBB8_2881:
	s_movk_i32 s4, 0x80
	v_cmp_eq_u16_sdwa s[12:13], v16, s4 src0_sel:BYTE_0 src1_sel:DWORD
	s_mov_b64 s[4:5], -1
                                        ; implicit-def: $sgpr10
	s_and_saveexec_b64 s[8:9], s[12:13]
; %bb.2882:
	s_mov_b32 s10, 0x7f800001
	s_xor_b64 s[4:5], exec, -1
; %bb.2883:
	s_or_b64 exec, exec, s[8:9]
	s_and_b64 s[4:5], s[4:5], exec
	s_or_saveexec_b64 s[6:7], s[6:7]
	v_mov_b32_e32 v10, s10
	s_xor_b64 exec, exec, s[6:7]
	s_cbranch_execz .LBB8_834
.LBB8_2884:
	v_mov_b32_e32 v10, 0
	v_cmp_ne_u16_sdwa s[8:9], v16, v10 src0_sel:BYTE_0 src1_sel:DWORD
	s_andn2_b64 s[4:5], s[4:5], exec
	s_and_b64 s[8:9], s[8:9], exec
	s_or_b64 s[4:5], s[4:5], s[8:9]
	s_or_b64 exec, exec, s[6:7]
	s_and_saveexec_b64 s[6:7], s[4:5]
	s_cbranch_execnz .LBB8_835
	s_branch .LBB8_836
.LBB8_2885:
	s_movk_i32 s4, 0x80
	v_cmp_eq_u16_sdwa s[12:13], v12, s4 src0_sel:BYTE_0 src1_sel:DWORD
	s_mov_b64 s[4:5], -1
                                        ; implicit-def: $sgpr10
	s_and_saveexec_b64 s[8:9], s[12:13]
; %bb.2886:
	s_mov_b32 s10, 0x7f800001
	s_xor_b64 s[4:5], exec, -1
; %bb.2887:
	s_or_b64 exec, exec, s[8:9]
	s_and_b64 s[4:5], s[4:5], exec
	s_or_saveexec_b64 s[6:7], s[6:7]
	v_mov_b32_e32 v11, s10
	s_xor_b64 exec, exec, s[6:7]
	s_cbranch_execz .LBB8_838
.LBB8_2888:
	v_mov_b32_e32 v11, 0
	v_cmp_ne_u16_sdwa s[8:9], v12, v11 src0_sel:BYTE_0 src1_sel:DWORD
	s_andn2_b64 s[4:5], s[4:5], exec
	s_and_b64 s[8:9], s[8:9], exec
	s_or_b64 s[4:5], s[4:5], s[8:9]
	s_or_b64 exec, exec, s[6:7]
	s_and_saveexec_b64 s[6:7], s[4:5]
	s_cbranch_execnz .LBB8_839
	s_branch .LBB8_840
.LBB8_2889:
	s_movk_i32 s4, 0x80
	v_cmp_eq_u16_sdwa s[12:13], v11, s4 src0_sel:BYTE_0 src1_sel:DWORD
	s_mov_b64 s[4:5], -1
                                        ; implicit-def: $sgpr10
	s_and_saveexec_b64 s[8:9], s[12:13]
; %bb.2890:
	s_mov_b32 s10, 0x7f800001
	s_xor_b64 s[4:5], exec, -1
; %bb.2891:
	s_or_b64 exec, exec, s[8:9]
	s_and_b64 s[4:5], s[4:5], exec
	s_or_saveexec_b64 s[6:7], s[6:7]
	v_mov_b32_e32 v10, s10
	s_xor_b64 exec, exec, s[6:7]
	s_cbranch_execz .LBB8_842
.LBB8_2892:
	v_mov_b32_e32 v10, 0
	v_cmp_ne_u16_sdwa s[8:9], v11, v10 src0_sel:BYTE_0 src1_sel:DWORD
	s_andn2_b64 s[4:5], s[4:5], exec
	s_and_b64 s[8:9], s[8:9], exec
	s_or_b64 s[4:5], s[4:5], s[8:9]
	s_or_b64 exec, exec, s[6:7]
	s_and_saveexec_b64 s[6:7], s[4:5]
	s_cbranch_execnz .LBB8_843
	s_branch .LBB8_844
.LBB8_2893:
	s_movk_i32 s4, 0x80
	v_cmp_eq_u16_sdwa s[12:13], v11, s4 src0_sel:BYTE_0 src1_sel:DWORD
	s_mov_b64 s[4:5], -1
                                        ; implicit-def: $sgpr10
	s_and_saveexec_b64 s[8:9], s[12:13]
; %bb.2894:
	s_mov_b32 s10, 0x7f800001
	s_xor_b64 s[4:5], exec, -1
; %bb.2895:
	s_or_b64 exec, exec, s[8:9]
	s_and_b64 s[4:5], s[4:5], exec
	s_or_saveexec_b64 s[6:7], s[6:7]
	v_mov_b32_e32 v14, s10
	s_xor_b64 exec, exec, s[6:7]
	s_cbranch_execz .LBB8_846
.LBB8_2896:
	v_mov_b32_e32 v14, 0
	v_cmp_ne_u16_sdwa s[8:9], v11, v14 src0_sel:BYTE_0 src1_sel:DWORD
	s_andn2_b64 s[4:5], s[4:5], exec
	s_and_b64 s[8:9], s[8:9], exec
	s_or_b64 s[4:5], s[4:5], s[8:9]
	s_or_b64 exec, exec, s[6:7]
	s_and_saveexec_b64 s[6:7], s[4:5]
	s_cbranch_execnz .LBB8_847
	s_branch .LBB8_848
.LBB8_2897:
	s_movk_i32 s4, 0x80
	v_cmp_eq_u16_e32 vcc, s4, v11
	s_mov_b64 s[4:5], -1
                                        ; implicit-def: $sgpr10
	s_and_saveexec_b64 s[8:9], vcc
; %bb.2898:
	s_mov_b32 s10, 0x7f800001
	s_xor_b64 s[4:5], exec, -1
; %bb.2899:
	s_or_b64 exec, exec, s[8:9]
	s_and_b64 s[4:5], s[4:5], exec
                                        ; implicit-def: $vgpr11
	s_or_saveexec_b64 s[6:7], s[6:7]
	v_mov_b32_e32 v10, s10
	s_xor_b64 exec, exec, s[6:7]
	s_cbranch_execz .LBB8_850
.LBB8_2900:
	v_cmp_ne_u16_e32 vcc, 0, v11
	s_andn2_b64 s[4:5], s[4:5], exec
	s_and_b64 s[8:9], vcc, exec
	v_mov_b32_e32 v10, 0
	s_or_b64 s[4:5], s[4:5], s[8:9]
	s_or_b64 exec, exec, s[6:7]
	s_and_saveexec_b64 s[6:7], s[4:5]
	s_cbranch_execnz .LBB8_851
	s_branch .LBB8_852
.LBB8_2901:
	s_movk_i32 s4, 0x80
	v_cmp_eq_u16_e32 vcc, s4, v11
	s_mov_b64 s[4:5], -1
                                        ; implicit-def: $sgpr10
	s_and_saveexec_b64 s[8:9], vcc
; %bb.2902:
	s_mov_b32 s10, 0x7f800001
	s_xor_b64 s[4:5], exec, -1
; %bb.2903:
	s_or_b64 exec, exec, s[8:9]
	s_and_b64 s[4:5], s[4:5], exec
                                        ; implicit-def: $vgpr11
	s_or_saveexec_b64 s[6:7], s[6:7]
	v_mov_b32_e32 v14, s10
	s_xor_b64 exec, exec, s[6:7]
	s_cbranch_execz .LBB8_854
.LBB8_2904:
	v_cmp_ne_u16_e32 vcc, 0, v11
	s_andn2_b64 s[4:5], s[4:5], exec
	s_and_b64 s[8:9], vcc, exec
	v_mov_b32_e32 v14, 0
	s_or_b64 s[4:5], s[4:5], s[8:9]
	s_or_b64 exec, exec, s[6:7]
	s_and_saveexec_b64 s[6:7], s[4:5]
	s_cbranch_execnz .LBB8_855
	s_branch .LBB8_856
.LBB8_2905:
	s_movk_i32 s4, 0x80
	v_cmp_eq_u16_sdwa s[12:13], v16, s4 src0_sel:BYTE_3 src1_sel:DWORD
	s_mov_b64 s[4:5], -1
                                        ; implicit-def: $sgpr10
	s_and_saveexec_b64 s[8:9], s[12:13]
; %bb.2906:
	s_mov_b32 s10, 0x7f800001
	s_xor_b64 s[4:5], exec, -1
; %bb.2907:
	s_or_b64 exec, exec, s[8:9]
	s_and_b64 s[4:5], s[4:5], exec
	s_or_saveexec_b64 s[6:7], s[6:7]
	v_mov_b32_e32 v10, s10
	s_xor_b64 exec, exec, s[6:7]
	s_cbranch_execz .LBB8_858
.LBB8_2908:
	v_mov_b32_e32 v10, 0
	v_cmp_ne_u16_sdwa s[8:9], v16, v10 src0_sel:BYTE_3 src1_sel:DWORD
	s_andn2_b64 s[4:5], s[4:5], exec
	s_and_b64 s[8:9], s[8:9], exec
	s_or_b64 s[4:5], s[4:5], s[8:9]
	s_or_b64 exec, exec, s[6:7]
	s_and_saveexec_b64 s[6:7], s[4:5]
	s_cbranch_execnz .LBB8_859
	s_branch .LBB8_860
.LBB8_2909:
	s_movk_i32 s4, 0x80
	v_cmp_eq_u16_sdwa s[12:13], v12, s4 src0_sel:BYTE_3 src1_sel:DWORD
	s_mov_b64 s[4:5], -1
                                        ; implicit-def: $sgpr10
	s_and_saveexec_b64 s[8:9], s[12:13]
; %bb.2910:
	s_mov_b32 s10, 0x7f800001
	s_xor_b64 s[4:5], exec, -1
; %bb.2911:
	s_or_b64 exec, exec, s[8:9]
	s_and_b64 s[4:5], s[4:5], exec
	s_or_saveexec_b64 s[6:7], s[6:7]
	v_mov_b32_e32 v11, s10
	s_xor_b64 exec, exec, s[6:7]
	s_cbranch_execz .LBB8_862
.LBB8_2912:
	v_mov_b32_e32 v11, 0
	v_cmp_ne_u16_sdwa s[8:9], v12, v11 src0_sel:BYTE_3 src1_sel:DWORD
	s_andn2_b64 s[4:5], s[4:5], exec
	s_and_b64 s[8:9], s[8:9], exec
	s_or_b64 s[4:5], s[4:5], s[8:9]
	s_or_b64 exec, exec, s[6:7]
	s_and_saveexec_b64 s[6:7], s[4:5]
	s_cbranch_execnz .LBB8_863
	s_branch .LBB8_864
.LBB8_2913:
	s_movk_i32 s4, 0x80
	v_cmp_eq_u16_sdwa s[12:13], v17, s4 src0_sel:BYTE_0 src1_sel:DWORD
	s_mov_b64 s[4:5], -1
                                        ; implicit-def: $sgpr10
	s_and_saveexec_b64 s[8:9], s[12:13]
; %bb.2914:
	s_mov_b32 s10, 0x7f800001
	s_xor_b64 s[4:5], exec, -1
; %bb.2915:
	s_or_b64 exec, exec, s[8:9]
	s_and_b64 s[4:5], s[4:5], exec
	s_or_saveexec_b64 s[6:7], s[6:7]
	v_mov_b32_e32 v10, s10
	s_xor_b64 exec, exec, s[6:7]
	s_cbranch_execz .LBB8_866
.LBB8_2916:
	v_mov_b32_e32 v10, 0
	v_cmp_ne_u16_sdwa s[8:9], v17, v10 src0_sel:BYTE_0 src1_sel:DWORD
	s_andn2_b64 s[4:5], s[4:5], exec
	s_and_b64 s[8:9], s[8:9], exec
	s_or_b64 s[4:5], s[4:5], s[8:9]
	s_or_b64 exec, exec, s[6:7]
	s_and_saveexec_b64 s[6:7], s[4:5]
	s_cbranch_execnz .LBB8_867
	s_branch .LBB8_868
.LBB8_2917:
	s_movk_i32 s4, 0x80
	v_cmp_eq_u16_sdwa s[12:13], v13, s4 src0_sel:BYTE_0 src1_sel:DWORD
	s_mov_b64 s[4:5], -1
                                        ; implicit-def: $sgpr10
	s_and_saveexec_b64 s[8:9], s[12:13]
; %bb.2918:
	s_mov_b32 s10, 0x7f800001
	s_xor_b64 s[4:5], exec, -1
; %bb.2919:
	s_or_b64 exec, exec, s[8:9]
	s_and_b64 s[4:5], s[4:5], exec
	s_or_saveexec_b64 s[6:7], s[6:7]
	v_mov_b32_e32 v11, s10
	s_xor_b64 exec, exec, s[6:7]
	s_cbranch_execz .LBB8_870
.LBB8_2920:
	v_mov_b32_e32 v11, 0
	v_cmp_ne_u16_sdwa s[8:9], v13, v11 src0_sel:BYTE_0 src1_sel:DWORD
	s_andn2_b64 s[4:5], s[4:5], exec
	s_and_b64 s[8:9], s[8:9], exec
	s_or_b64 s[4:5], s[4:5], s[8:9]
	s_or_b64 exec, exec, s[6:7]
	s_and_saveexec_b64 s[6:7], s[4:5]
	s_cbranch_execnz .LBB8_871
	s_branch .LBB8_872
.LBB8_2921:
	s_movk_i32 s4, 0x80
	v_cmp_eq_u16_sdwa s[12:13], v11, s4 src0_sel:BYTE_0 src1_sel:DWORD
	s_mov_b64 s[4:5], -1
                                        ; implicit-def: $sgpr10
	s_and_saveexec_b64 s[8:9], s[12:13]
; %bb.2922:
	s_mov_b32 s10, 0x7f800001
	s_xor_b64 s[4:5], exec, -1
; %bb.2923:
	s_or_b64 exec, exec, s[8:9]
	s_and_b64 s[4:5], s[4:5], exec
	s_or_saveexec_b64 s[6:7], s[6:7]
	v_mov_b32_e32 v10, s10
	s_xor_b64 exec, exec, s[6:7]
	s_cbranch_execz .LBB8_874
.LBB8_2924:
	v_mov_b32_e32 v10, 0
	v_cmp_ne_u16_sdwa s[8:9], v11, v10 src0_sel:BYTE_0 src1_sel:DWORD
	s_andn2_b64 s[4:5], s[4:5], exec
	s_and_b64 s[8:9], s[8:9], exec
	s_or_b64 s[4:5], s[4:5], s[8:9]
	s_or_b64 exec, exec, s[6:7]
	s_and_saveexec_b64 s[6:7], s[4:5]
	s_cbranch_execnz .LBB8_875
	s_branch .LBB8_876
.LBB8_2925:
	s_movk_i32 s4, 0x80
	v_cmp_eq_u16_sdwa s[12:13], v11, s4 src0_sel:BYTE_0 src1_sel:DWORD
	s_mov_b64 s[4:5], -1
                                        ; implicit-def: $sgpr10
	s_and_saveexec_b64 s[8:9], s[12:13]
; %bb.2926:
	s_mov_b32 s10, 0x7f800001
	s_xor_b64 s[4:5], exec, -1
; %bb.2927:
	s_or_b64 exec, exec, s[8:9]
	s_and_b64 s[4:5], s[4:5], exec
	s_or_saveexec_b64 s[6:7], s[6:7]
	v_mov_b32_e32 v12, s10
	s_xor_b64 exec, exec, s[6:7]
	s_cbranch_execz .LBB8_878
.LBB8_2928:
	v_mov_b32_e32 v12, 0
	v_cmp_ne_u16_sdwa s[8:9], v11, v12 src0_sel:BYTE_0 src1_sel:DWORD
	s_andn2_b64 s[4:5], s[4:5], exec
	s_and_b64 s[8:9], s[8:9], exec
	s_or_b64 s[4:5], s[4:5], s[8:9]
	s_or_b64 exec, exec, s[6:7]
	s_and_saveexec_b64 s[6:7], s[4:5]
	s_cbranch_execnz .LBB8_879
	s_branch .LBB8_880
.LBB8_2929:
	s_movk_i32 s4, 0x80
	v_cmp_eq_u16_e32 vcc, s4, v11
	s_mov_b64 s[4:5], -1
                                        ; implicit-def: $sgpr10
	s_and_saveexec_b64 s[8:9], vcc
; %bb.2930:
	s_mov_b32 s10, 0x7f800001
	s_xor_b64 s[4:5], exec, -1
; %bb.2931:
	s_or_b64 exec, exec, s[8:9]
	s_and_b64 s[4:5], s[4:5], exec
                                        ; implicit-def: $vgpr11
	s_or_saveexec_b64 s[6:7], s[6:7]
	v_mov_b32_e32 v10, s10
	s_xor_b64 exec, exec, s[6:7]
	s_cbranch_execz .LBB8_882
.LBB8_2932:
	v_cmp_ne_u16_e32 vcc, 0, v11
	s_andn2_b64 s[4:5], s[4:5], exec
	s_and_b64 s[8:9], vcc, exec
	v_mov_b32_e32 v10, 0
	s_or_b64 s[4:5], s[4:5], s[8:9]
	s_or_b64 exec, exec, s[6:7]
	s_and_saveexec_b64 s[6:7], s[4:5]
	s_cbranch_execnz .LBB8_883
	s_branch .LBB8_884
.LBB8_2933:
	s_movk_i32 s4, 0x80
	v_cmp_eq_u16_e32 vcc, s4, v11
	s_mov_b64 s[4:5], -1
                                        ; implicit-def: $sgpr10
	s_and_saveexec_b64 s[8:9], vcc
; %bb.2934:
	s_mov_b32 s10, 0x7f800001
	s_xor_b64 s[4:5], exec, -1
; %bb.2935:
	s_or_b64 exec, exec, s[8:9]
	s_and_b64 s[4:5], s[4:5], exec
                                        ; implicit-def: $vgpr11
	s_or_saveexec_b64 s[6:7], s[6:7]
	v_mov_b32_e32 v12, s10
	s_xor_b64 exec, exec, s[6:7]
	s_cbranch_execz .LBB8_886
.LBB8_2936:
	v_cmp_ne_u16_e32 vcc, 0, v11
	s_andn2_b64 s[4:5], s[4:5], exec
	s_and_b64 s[8:9], vcc, exec
	v_mov_b32_e32 v12, 0
	s_or_b64 s[4:5], s[4:5], s[8:9]
	s_or_b64 exec, exec, s[6:7]
	s_and_saveexec_b64 s[6:7], s[4:5]
	s_cbranch_execnz .LBB8_887
	s_branch .LBB8_888
.LBB8_2937:
	s_movk_i32 s4, 0x80
	v_cmp_eq_u16_sdwa s[12:13], v17, s4 src0_sel:BYTE_3 src1_sel:DWORD
	s_mov_b64 s[4:5], -1
                                        ; implicit-def: $sgpr10
	s_and_saveexec_b64 s[8:9], s[12:13]
; %bb.2938:
	s_mov_b32 s10, 0x7f800001
	s_xor_b64 s[4:5], exec, -1
; %bb.2939:
	s_or_b64 exec, exec, s[8:9]
	s_and_b64 s[4:5], s[4:5], exec
	s_or_saveexec_b64 s[6:7], s[6:7]
	v_mov_b32_e32 v10, s10
	s_xor_b64 exec, exec, s[6:7]
	s_cbranch_execz .LBB8_890
.LBB8_2940:
	v_mov_b32_e32 v10, 0
	v_cmp_ne_u16_sdwa s[8:9], v17, v10 src0_sel:BYTE_3 src1_sel:DWORD
	s_andn2_b64 s[4:5], s[4:5], exec
	s_and_b64 s[8:9], s[8:9], exec
	s_or_b64 s[4:5], s[4:5], s[8:9]
	s_or_b64 exec, exec, s[6:7]
	s_and_saveexec_b64 s[6:7], s[4:5]
	s_cbranch_execnz .LBB8_891
	s_branch .LBB8_892
.LBB8_2941:
	s_movk_i32 s4, 0x80
	v_cmp_eq_u16_sdwa s[12:13], v13, s4 src0_sel:BYTE_3 src1_sel:DWORD
	s_mov_b64 s[4:5], -1
                                        ; implicit-def: $sgpr10
	s_and_saveexec_b64 s[8:9], s[12:13]
; %bb.2942:
	s_mov_b32 s10, 0x7f800001
	s_xor_b64 s[4:5], exec, -1
; %bb.2943:
	s_or_b64 exec, exec, s[8:9]
	s_and_b64 s[4:5], s[4:5], exec
	s_or_saveexec_b64 s[6:7], s[6:7]
	v_mov_b32_e32 v11, s10
	s_xor_b64 exec, exec, s[6:7]
	s_cbranch_execz .LBB8_894
.LBB8_2944:
	v_mov_b32_e32 v11, 0
	v_cmp_ne_u16_sdwa s[8:9], v13, v11 src0_sel:BYTE_3 src1_sel:DWORD
	s_andn2_b64 s[4:5], s[4:5], exec
	s_and_b64 s[8:9], s[8:9], exec
	s_or_b64 s[4:5], s[4:5], s[8:9]
	s_or_b64 exec, exec, s[6:7]
	s_and_saveexec_b64 s[6:7], s[4:5]
	s_cbranch_execnz .LBB8_895
	s_branch .LBB8_896
.LBB8_2945:
	s_movk_i32 s4, 0x80
	v_cmp_eq_u16_sdwa s[12:13], v6, s4 src0_sel:BYTE_0 src1_sel:DWORD
	s_mov_b64 s[4:5], -1
                                        ; implicit-def: $sgpr10
	s_and_saveexec_b64 s[8:9], s[12:13]
; %bb.2946:
	s_mov_b32 s10, 0x7f800001
	s_xor_b64 s[4:5], exec, -1
; %bb.2947:
	s_or_b64 exec, exec, s[8:9]
	s_and_b64 s[4:5], s[4:5], exec
	s_or_saveexec_b64 s[6:7], s[6:7]
	v_mov_b32_e32 v10, s10
	s_xor_b64 exec, exec, s[6:7]
	s_cbranch_execz .LBB8_898
.LBB8_2948:
	v_mov_b32_e32 v10, 0
	v_cmp_ne_u16_sdwa s[8:9], v6, v10 src0_sel:BYTE_0 src1_sel:DWORD
	s_andn2_b64 s[4:5], s[4:5], exec
	s_and_b64 s[8:9], s[8:9], exec
	s_or_b64 s[4:5], s[4:5], s[8:9]
	s_or_b64 exec, exec, s[6:7]
	s_and_saveexec_b64 s[6:7], s[4:5]
	s_cbranch_execnz .LBB8_899
	s_branch .LBB8_900
.LBB8_2949:
	s_movk_i32 s4, 0x80
	v_cmp_eq_u16_sdwa s[12:13], v2, s4 src0_sel:BYTE_0 src1_sel:DWORD
	s_mov_b64 s[4:5], -1
                                        ; implicit-def: $sgpr10
	s_and_saveexec_b64 s[8:9], s[12:13]
; %bb.2950:
	s_mov_b32 s10, 0x7f800001
	s_xor_b64 s[4:5], exec, -1
; %bb.2951:
	s_or_b64 exec, exec, s[8:9]
	s_and_b64 s[4:5], s[4:5], exec
	s_or_saveexec_b64 s[6:7], s[6:7]
	v_mov_b32_e32 v11, s10
	s_xor_b64 exec, exec, s[6:7]
	s_cbranch_execz .LBB8_902
.LBB8_2952:
	v_mov_b32_e32 v11, 0
	v_cmp_ne_u16_sdwa s[8:9], v2, v11 src0_sel:BYTE_0 src1_sel:DWORD
	s_andn2_b64 s[4:5], s[4:5], exec
	s_and_b64 s[8:9], s[8:9], exec
	s_or_b64 s[4:5], s[4:5], s[8:9]
	s_or_b64 exec, exec, s[6:7]
	s_and_saveexec_b64 s[6:7], s[4:5]
	s_cbranch_execnz .LBB8_903
	s_branch .LBB8_904
.LBB8_2953:
	s_movk_i32 s4, 0x80
	v_cmp_eq_u16_sdwa s[12:13], v11, s4 src0_sel:BYTE_0 src1_sel:DWORD
	s_mov_b64 s[4:5], -1
                                        ; implicit-def: $sgpr10
	s_and_saveexec_b64 s[8:9], s[12:13]
; %bb.2954:
	s_mov_b32 s10, 0x7f800001
	s_xor_b64 s[4:5], exec, -1
; %bb.2955:
	s_or_b64 exec, exec, s[8:9]
	s_and_b64 s[4:5], s[4:5], exec
	s_or_saveexec_b64 s[6:7], s[6:7]
	v_mov_b32_e32 v10, s10
	s_xor_b64 exec, exec, s[6:7]
	s_cbranch_execz .LBB8_906
.LBB8_2956:
	v_mov_b32_e32 v10, 0
	v_cmp_ne_u16_sdwa s[8:9], v11, v10 src0_sel:BYTE_0 src1_sel:DWORD
	s_andn2_b64 s[4:5], s[4:5], exec
	s_and_b64 s[8:9], s[8:9], exec
	s_or_b64 s[4:5], s[4:5], s[8:9]
	s_or_b64 exec, exec, s[6:7]
	s_and_saveexec_b64 s[6:7], s[4:5]
	s_cbranch_execnz .LBB8_907
	s_branch .LBB8_908
.LBB8_2957:
	s_movk_i32 s4, 0x80
	v_cmp_eq_u16_sdwa s[12:13], v11, s4 src0_sel:BYTE_0 src1_sel:DWORD
	s_mov_b64 s[4:5], -1
                                        ; implicit-def: $sgpr10
	s_and_saveexec_b64 s[8:9], s[12:13]
; %bb.2958:
	s_mov_b32 s10, 0x7f800001
	s_xor_b64 s[4:5], exec, -1
; %bb.2959:
	s_or_b64 exec, exec, s[8:9]
	s_and_b64 s[4:5], s[4:5], exec
	s_or_saveexec_b64 s[6:7], s[6:7]
	v_mov_b32_e32 v12, s10
	s_xor_b64 exec, exec, s[6:7]
	s_cbranch_execz .LBB8_910
.LBB8_2960:
	v_mov_b32_e32 v12, 0
	v_cmp_ne_u16_sdwa s[8:9], v11, v12 src0_sel:BYTE_0 src1_sel:DWORD
	s_andn2_b64 s[4:5], s[4:5], exec
	s_and_b64 s[8:9], s[8:9], exec
	s_or_b64 s[4:5], s[4:5], s[8:9]
	s_or_b64 exec, exec, s[6:7]
	s_and_saveexec_b64 s[6:7], s[4:5]
	s_cbranch_execnz .LBB8_911
	s_branch .LBB8_912
.LBB8_2961:
	s_movk_i32 s4, 0x80
	v_cmp_eq_u16_e32 vcc, s4, v11
	s_mov_b64 s[4:5], -1
                                        ; implicit-def: $sgpr10
	s_and_saveexec_b64 s[8:9], vcc
; %bb.2962:
	s_mov_b32 s10, 0x7f800001
	s_xor_b64 s[4:5], exec, -1
; %bb.2963:
	s_or_b64 exec, exec, s[8:9]
	s_and_b64 s[4:5], s[4:5], exec
                                        ; implicit-def: $vgpr11
	s_or_saveexec_b64 s[6:7], s[6:7]
	v_mov_b32_e32 v10, s10
	s_xor_b64 exec, exec, s[6:7]
	s_cbranch_execz .LBB8_914
.LBB8_2964:
	v_cmp_ne_u16_e32 vcc, 0, v11
	s_andn2_b64 s[4:5], s[4:5], exec
	s_and_b64 s[8:9], vcc, exec
	v_mov_b32_e32 v10, 0
	s_or_b64 s[4:5], s[4:5], s[8:9]
	s_or_b64 exec, exec, s[6:7]
	s_and_saveexec_b64 s[6:7], s[4:5]
	s_cbranch_execnz .LBB8_915
	s_branch .LBB8_916
.LBB8_2965:
	s_movk_i32 s4, 0x80
	v_cmp_eq_u16_e32 vcc, s4, v11
	s_mov_b64 s[4:5], -1
                                        ; implicit-def: $sgpr10
	s_and_saveexec_b64 s[8:9], vcc
; %bb.2966:
	s_mov_b32 s10, 0x7f800001
	s_xor_b64 s[4:5], exec, -1
; %bb.2967:
	s_or_b64 exec, exec, s[8:9]
	s_and_b64 s[4:5], s[4:5], exec
                                        ; implicit-def: $vgpr11
	s_or_saveexec_b64 s[6:7], s[6:7]
	v_mov_b32_e32 v12, s10
	s_xor_b64 exec, exec, s[6:7]
	s_cbranch_execz .LBB8_918
.LBB8_2968:
	v_cmp_ne_u16_e32 vcc, 0, v11
	s_andn2_b64 s[4:5], s[4:5], exec
	s_and_b64 s[8:9], vcc, exec
	v_mov_b32_e32 v12, 0
	s_or_b64 s[4:5], s[4:5], s[8:9]
	s_or_b64 exec, exec, s[6:7]
	s_and_saveexec_b64 s[6:7], s[4:5]
	s_cbranch_execnz .LBB8_919
	s_branch .LBB8_920
.LBB8_2969:
	s_movk_i32 s4, 0x80
	v_cmp_eq_u16_sdwa s[12:13], v6, s4 src0_sel:BYTE_3 src1_sel:DWORD
	s_mov_b64 s[4:5], -1
                                        ; implicit-def: $sgpr10
	s_and_saveexec_b64 s[8:9], s[12:13]
; %bb.2970:
	s_mov_b32 s10, 0x7f800001
	s_xor_b64 s[4:5], exec, -1
; %bb.2971:
	s_or_b64 exec, exec, s[8:9]
	s_and_b64 s[4:5], s[4:5], exec
	s_or_saveexec_b64 s[6:7], s[6:7]
	v_mov_b32_e32 v10, s10
	s_xor_b64 exec, exec, s[6:7]
	s_cbranch_execz .LBB8_922
.LBB8_2972:
	v_mov_b32_e32 v10, 0
	v_cmp_ne_u16_sdwa s[8:9], v6, v10 src0_sel:BYTE_3 src1_sel:DWORD
	s_andn2_b64 s[4:5], s[4:5], exec
	s_and_b64 s[8:9], s[8:9], exec
	s_or_b64 s[4:5], s[4:5], s[8:9]
	s_or_b64 exec, exec, s[6:7]
	s_and_saveexec_b64 s[6:7], s[4:5]
	s_cbranch_execnz .LBB8_923
	s_branch .LBB8_924
.LBB8_2973:
	s_movk_i32 s4, 0x80
	v_cmp_eq_u16_sdwa s[12:13], v2, s4 src0_sel:BYTE_3 src1_sel:DWORD
	s_mov_b64 s[4:5], -1
                                        ; implicit-def: $sgpr10
	s_and_saveexec_b64 s[8:9], s[12:13]
; %bb.2974:
	s_mov_b32 s10, 0x7f800001
	s_xor_b64 s[4:5], exec, -1
; %bb.2975:
	s_or_b64 exec, exec, s[8:9]
	s_and_b64 s[4:5], s[4:5], exec
	s_or_saveexec_b64 s[6:7], s[6:7]
	v_mov_b32_e32 v6, s10
	s_xor_b64 exec, exec, s[6:7]
	s_cbranch_execz .LBB8_926
.LBB8_2976:
	v_mov_b32_e32 v6, 0
	v_cmp_ne_u16_sdwa s[8:9], v2, v6 src0_sel:BYTE_3 src1_sel:DWORD
	s_andn2_b64 s[4:5], s[4:5], exec
	s_and_b64 s[8:9], s[8:9], exec
	s_or_b64 s[4:5], s[4:5], s[8:9]
	s_or_b64 exec, exec, s[6:7]
	s_and_saveexec_b64 s[6:7], s[4:5]
	s_cbranch_execnz .LBB8_927
	s_branch .LBB8_928
.LBB8_2977:
	s_movk_i32 s4, 0x80
	v_cmp_eq_u16_sdwa s[12:13], v7, s4 src0_sel:BYTE_0 src1_sel:DWORD
	s_mov_b64 s[4:5], -1
                                        ; implicit-def: $sgpr10
	s_and_saveexec_b64 s[8:9], s[12:13]
; %bb.2978:
	s_mov_b32 s10, 0x7f800001
	s_xor_b64 s[4:5], exec, -1
; %bb.2979:
	s_or_b64 exec, exec, s[8:9]
	s_and_b64 s[4:5], s[4:5], exec
	s_or_saveexec_b64 s[6:7], s[6:7]
	v_mov_b32_e32 v2, s10
	s_xor_b64 exec, exec, s[6:7]
	s_cbranch_execz .LBB8_930
.LBB8_2980:
	v_mov_b32_e32 v2, 0
	v_cmp_ne_u16_sdwa s[8:9], v7, v2 src0_sel:BYTE_0 src1_sel:DWORD
	s_andn2_b64 s[4:5], s[4:5], exec
	s_and_b64 s[8:9], s[8:9], exec
	s_or_b64 s[4:5], s[4:5], s[8:9]
	s_or_b64 exec, exec, s[6:7]
	s_and_saveexec_b64 s[6:7], s[4:5]
	s_cbranch_execnz .LBB8_931
	s_branch .LBB8_932
.LBB8_2981:
	s_movk_i32 s4, 0x80
	v_cmp_eq_u16_sdwa s[12:13], v3, s4 src0_sel:BYTE_0 src1_sel:DWORD
	s_mov_b64 s[4:5], -1
                                        ; implicit-def: $sgpr10
	s_and_saveexec_b64 s[8:9], s[12:13]
; %bb.2982:
	s_mov_b32 s10, 0x7f800001
	s_xor_b64 s[4:5], exec, -1
; %bb.2983:
	s_or_b64 exec, exec, s[8:9]
	s_and_b64 s[4:5], s[4:5], exec
	s_or_saveexec_b64 s[6:7], s[6:7]
	v_mov_b32_e32 v6, s10
	s_xor_b64 exec, exec, s[6:7]
	s_cbranch_execz .LBB8_934
.LBB8_2984:
	v_mov_b32_e32 v6, 0
	v_cmp_ne_u16_sdwa s[8:9], v3, v6 src0_sel:BYTE_0 src1_sel:DWORD
	s_andn2_b64 s[4:5], s[4:5], exec
	s_and_b64 s[8:9], s[8:9], exec
	s_or_b64 s[4:5], s[4:5], s[8:9]
	s_or_b64 exec, exec, s[6:7]
	s_and_saveexec_b64 s[6:7], s[4:5]
	s_cbranch_execnz .LBB8_935
	s_branch .LBB8_936
.LBB8_2985:
	s_movk_i32 s4, 0x80
	v_cmp_eq_u16_sdwa s[12:13], v6, s4 src0_sel:BYTE_0 src1_sel:DWORD
	s_mov_b64 s[4:5], -1
                                        ; implicit-def: $sgpr10
	s_and_saveexec_b64 s[8:9], s[12:13]
; %bb.2986:
	s_mov_b32 s10, 0x7f800001
	s_xor_b64 s[4:5], exec, -1
; %bb.2987:
	s_or_b64 exec, exec, s[8:9]
	s_and_b64 s[4:5], s[4:5], exec
	s_or_saveexec_b64 s[6:7], s[6:7]
	v_mov_b32_e32 v2, s10
	s_xor_b64 exec, exec, s[6:7]
	s_cbranch_execz .LBB8_938
.LBB8_2988:
	v_mov_b32_e32 v2, 0
	v_cmp_ne_u16_sdwa s[8:9], v6, v2 src0_sel:BYTE_0 src1_sel:DWORD
	s_andn2_b64 s[4:5], s[4:5], exec
	s_and_b64 s[8:9], s[8:9], exec
	s_or_b64 s[4:5], s[4:5], s[8:9]
	s_or_b64 exec, exec, s[6:7]
	s_and_saveexec_b64 s[6:7], s[4:5]
	s_cbranch_execnz .LBB8_939
	s_branch .LBB8_940
.LBB8_2989:
	s_movk_i32 s4, 0x80
	v_cmp_eq_u16_sdwa s[12:13], v6, s4 src0_sel:BYTE_0 src1_sel:DWORD
	s_mov_b64 s[4:5], -1
                                        ; implicit-def: $sgpr10
	s_and_saveexec_b64 s[8:9], s[12:13]
; %bb.2990:
	s_mov_b32 s10, 0x7f800001
	s_xor_b64 s[4:5], exec, -1
; %bb.2991:
	s_or_b64 exec, exec, s[8:9]
	s_and_b64 s[4:5], s[4:5], exec
	s_or_saveexec_b64 s[6:7], s[6:7]
	v_mov_b32_e32 v10, s10
	s_xor_b64 exec, exec, s[6:7]
	s_cbranch_execz .LBB8_942
.LBB8_2992:
	v_mov_b32_e32 v10, 0
	v_cmp_ne_u16_sdwa s[8:9], v6, v10 src0_sel:BYTE_0 src1_sel:DWORD
	s_andn2_b64 s[4:5], s[4:5], exec
	s_and_b64 s[8:9], s[8:9], exec
	s_or_b64 s[4:5], s[4:5], s[8:9]
	s_or_b64 exec, exec, s[6:7]
	s_and_saveexec_b64 s[6:7], s[4:5]
	s_cbranch_execnz .LBB8_943
	s_branch .LBB8_944
.LBB8_2993:
	s_movk_i32 s4, 0x80
	v_cmp_eq_u16_e32 vcc, s4, v6
	s_mov_b64 s[4:5], -1
                                        ; implicit-def: $sgpr10
	s_and_saveexec_b64 s[8:9], vcc
; %bb.2994:
	s_mov_b32 s10, 0x7f800001
	s_xor_b64 s[4:5], exec, -1
; %bb.2995:
	s_or_b64 exec, exec, s[8:9]
	s_and_b64 s[4:5], s[4:5], exec
                                        ; implicit-def: $vgpr6
	s_or_saveexec_b64 s[6:7], s[6:7]
	v_mov_b32_e32 v2, s10
	s_xor_b64 exec, exec, s[6:7]
	s_cbranch_execz .LBB8_946
.LBB8_2996:
	v_cmp_ne_u16_e32 vcc, 0, v6
	s_andn2_b64 s[4:5], s[4:5], exec
	s_and_b64 s[8:9], vcc, exec
	v_mov_b32_e32 v2, 0
	s_or_b64 s[4:5], s[4:5], s[8:9]
	s_or_b64 exec, exec, s[6:7]
	s_and_saveexec_b64 s[6:7], s[4:5]
	s_cbranch_execnz .LBB8_947
	s_branch .LBB8_948
.LBB8_2997:
	s_movk_i32 s4, 0x80
	v_cmp_eq_u16_e32 vcc, s4, v6
	s_mov_b64 s[4:5], -1
                                        ; implicit-def: $sgpr10
	s_and_saveexec_b64 s[8:9], vcc
; %bb.2998:
	s_mov_b32 s10, 0x7f800001
	s_xor_b64 s[4:5], exec, -1
; %bb.2999:
	s_or_b64 exec, exec, s[8:9]
	s_and_b64 s[4:5], s[4:5], exec
                                        ; implicit-def: $vgpr6
	s_or_saveexec_b64 s[6:7], s[6:7]
	v_mov_b32_e32 v10, s10
	s_xor_b64 exec, exec, s[6:7]
	s_cbranch_execz .LBB8_950
.LBB8_3000:
	v_cmp_ne_u16_e32 vcc, 0, v6
	s_andn2_b64 s[4:5], s[4:5], exec
	s_and_b64 s[8:9], vcc, exec
	v_mov_b32_e32 v10, 0
	s_or_b64 s[4:5], s[4:5], s[8:9]
	s_or_b64 exec, exec, s[6:7]
	s_and_saveexec_b64 s[6:7], s[4:5]
	s_cbranch_execnz .LBB8_951
	s_branch .LBB8_952
.LBB8_3001:
	s_movk_i32 s4, 0x80
	v_cmp_eq_u16_sdwa s[12:13], v7, s4 src0_sel:BYTE_3 src1_sel:DWORD
	s_mov_b64 s[4:5], -1
                                        ; implicit-def: $sgpr10
	s_and_saveexec_b64 s[8:9], s[12:13]
; %bb.3002:
	s_mov_b32 s10, 0x7f800001
	s_xor_b64 s[4:5], exec, -1
; %bb.3003:
	s_or_b64 exec, exec, s[8:9]
	s_and_b64 s[4:5], s[4:5], exec
	s_or_saveexec_b64 s[6:7], s[6:7]
	v_mov_b32_e32 v2, s10
	s_xor_b64 exec, exec, s[6:7]
	s_cbranch_execz .LBB8_954
.LBB8_3004:
	v_mov_b32_e32 v2, 0
	v_cmp_ne_u16_sdwa s[8:9], v7, v2 src0_sel:BYTE_3 src1_sel:DWORD
	s_andn2_b64 s[4:5], s[4:5], exec
	s_and_b64 s[8:9], s[8:9], exec
	s_or_b64 s[4:5], s[4:5], s[8:9]
	s_or_b64 exec, exec, s[6:7]
	s_and_saveexec_b64 s[6:7], s[4:5]
	s_cbranch_execnz .LBB8_955
	s_branch .LBB8_956
.LBB8_3005:
	s_movk_i32 s4, 0x80
	v_cmp_eq_u16_sdwa s[12:13], v3, s4 src0_sel:BYTE_3 src1_sel:DWORD
	s_mov_b64 s[4:5], -1
                                        ; implicit-def: $sgpr10
	s_and_saveexec_b64 s[8:9], s[12:13]
; %bb.3006:
	s_mov_b32 s10, 0x7f800001
	s_xor_b64 s[4:5], exec, -1
; %bb.3007:
	s_or_b64 exec, exec, s[8:9]
	s_and_b64 s[4:5], s[4:5], exec
	s_or_saveexec_b64 s[6:7], s[6:7]
	v_mov_b32_e32 v6, s10
	s_xor_b64 exec, exec, s[6:7]
	s_cbranch_execz .LBB8_958
.LBB8_3008:
	v_mov_b32_e32 v6, 0
	v_cmp_ne_u16_sdwa s[8:9], v3, v6 src0_sel:BYTE_3 src1_sel:DWORD
	s_andn2_b64 s[4:5], s[4:5], exec
	s_and_b64 s[8:9], s[8:9], exec
	s_or_b64 s[4:5], s[4:5], s[8:9]
	s_or_b64 exec, exec, s[6:7]
	s_and_saveexec_b64 s[6:7], s[4:5]
	s_cbranch_execnz .LBB8_959
	s_branch .LBB8_960
.LBB8_3009:
	s_movk_i32 s4, 0x80
	v_cmp_eq_u16_sdwa s[12:13], v8, s4 src0_sel:BYTE_0 src1_sel:DWORD
	s_mov_b64 s[4:5], -1
                                        ; implicit-def: $sgpr10
	s_and_saveexec_b64 s[8:9], s[12:13]
; %bb.3010:
	s_mov_b32 s10, 0x7f800001
	s_xor_b64 s[4:5], exec, -1
; %bb.3011:
	s_or_b64 exec, exec, s[8:9]
	s_and_b64 s[4:5], s[4:5], exec
	s_or_saveexec_b64 s[6:7], s[6:7]
	v_mov_b32_e32 v2, s10
	s_xor_b64 exec, exec, s[6:7]
	s_cbranch_execz .LBB8_962
.LBB8_3012:
	v_mov_b32_e32 v2, 0
	v_cmp_ne_u16_sdwa s[8:9], v8, v2 src0_sel:BYTE_0 src1_sel:DWORD
	s_andn2_b64 s[4:5], s[4:5], exec
	s_and_b64 s[8:9], s[8:9], exec
	s_or_b64 s[4:5], s[4:5], s[8:9]
	s_or_b64 exec, exec, s[6:7]
	s_and_saveexec_b64 s[6:7], s[4:5]
	s_cbranch_execnz .LBB8_963
	s_branch .LBB8_964
.LBB8_3013:
	s_movk_i32 s4, 0x80
	v_cmp_eq_u16_sdwa s[12:13], v4, s4 src0_sel:BYTE_0 src1_sel:DWORD
	s_mov_b64 s[4:5], -1
                                        ; implicit-def: $sgpr10
	s_and_saveexec_b64 s[8:9], s[12:13]
; %bb.3014:
	s_mov_b32 s10, 0x7f800001
	s_xor_b64 s[4:5], exec, -1
; %bb.3015:
	s_or_b64 exec, exec, s[8:9]
	s_and_b64 s[4:5], s[4:5], exec
	s_or_saveexec_b64 s[6:7], s[6:7]
	v_mov_b32_e32 v3, s10
	s_xor_b64 exec, exec, s[6:7]
	s_cbranch_execz .LBB8_966
.LBB8_3016:
	v_mov_b32_e32 v3, 0
	v_cmp_ne_u16_sdwa s[8:9], v4, v3 src0_sel:BYTE_0 src1_sel:DWORD
	s_andn2_b64 s[4:5], s[4:5], exec
	s_and_b64 s[8:9], s[8:9], exec
	s_or_b64 s[4:5], s[4:5], s[8:9]
	s_or_b64 exec, exec, s[6:7]
	s_and_saveexec_b64 s[6:7], s[4:5]
	s_cbranch_execnz .LBB8_967
	s_branch .LBB8_968
.LBB8_3017:
	s_movk_i32 s4, 0x80
	v_cmp_eq_u16_sdwa s[12:13], v3, s4 src0_sel:BYTE_0 src1_sel:DWORD
	s_mov_b64 s[4:5], -1
                                        ; implicit-def: $sgpr10
	s_and_saveexec_b64 s[8:9], s[12:13]
; %bb.3018:
	s_mov_b32 s10, 0x7f800001
	s_xor_b64 s[4:5], exec, -1
; %bb.3019:
	s_or_b64 exec, exec, s[8:9]
	s_and_b64 s[4:5], s[4:5], exec
	s_or_saveexec_b64 s[6:7], s[6:7]
	v_mov_b32_e32 v2, s10
	s_xor_b64 exec, exec, s[6:7]
	s_cbranch_execz .LBB8_970
.LBB8_3020:
	v_mov_b32_e32 v2, 0
	v_cmp_ne_u16_sdwa s[8:9], v3, v2 src0_sel:BYTE_0 src1_sel:DWORD
	s_andn2_b64 s[4:5], s[4:5], exec
	s_and_b64 s[8:9], s[8:9], exec
	s_or_b64 s[4:5], s[4:5], s[8:9]
	s_or_b64 exec, exec, s[6:7]
	s_and_saveexec_b64 s[6:7], s[4:5]
	s_cbranch_execnz .LBB8_971
	s_branch .LBB8_972
.LBB8_3021:
	s_movk_i32 s4, 0x80
	v_cmp_eq_u16_sdwa s[12:13], v3, s4 src0_sel:BYTE_0 src1_sel:DWORD
	s_mov_b64 s[4:5], -1
                                        ; implicit-def: $sgpr10
	s_and_saveexec_b64 s[8:9], s[12:13]
; %bb.3022:
	s_mov_b32 s10, 0x7f800001
	s_xor_b64 s[4:5], exec, -1
; %bb.3023:
	s_or_b64 exec, exec, s[8:9]
	s_and_b64 s[4:5], s[4:5], exec
	s_or_saveexec_b64 s[6:7], s[6:7]
	v_mov_b32_e32 v6, s10
	s_xor_b64 exec, exec, s[6:7]
	s_cbranch_execz .LBB8_974
.LBB8_3024:
	v_mov_b32_e32 v6, 0
	v_cmp_ne_u16_sdwa s[8:9], v3, v6 src0_sel:BYTE_0 src1_sel:DWORD
	s_andn2_b64 s[4:5], s[4:5], exec
	s_and_b64 s[8:9], s[8:9], exec
	s_or_b64 s[4:5], s[4:5], s[8:9]
	s_or_b64 exec, exec, s[6:7]
	s_and_saveexec_b64 s[6:7], s[4:5]
	s_cbranch_execnz .LBB8_975
	s_branch .LBB8_976
.LBB8_3025:
	s_movk_i32 s4, 0x80
	v_cmp_eq_u16_e32 vcc, s4, v3
	s_mov_b64 s[4:5], -1
                                        ; implicit-def: $sgpr10
	s_and_saveexec_b64 s[8:9], vcc
; %bb.3026:
	s_mov_b32 s10, 0x7f800001
	s_xor_b64 s[4:5], exec, -1
; %bb.3027:
	s_or_b64 exec, exec, s[8:9]
	s_and_b64 s[4:5], s[4:5], exec
                                        ; implicit-def: $vgpr3
	s_or_saveexec_b64 s[6:7], s[6:7]
	v_mov_b32_e32 v2, s10
	s_xor_b64 exec, exec, s[6:7]
	s_cbranch_execz .LBB8_978
.LBB8_3028:
	v_cmp_ne_u16_e32 vcc, 0, v3
	s_andn2_b64 s[4:5], s[4:5], exec
	s_and_b64 s[8:9], vcc, exec
	v_mov_b32_e32 v2, 0
	s_or_b64 s[4:5], s[4:5], s[8:9]
	s_or_b64 exec, exec, s[6:7]
	s_and_saveexec_b64 s[6:7], s[4:5]
	s_cbranch_execnz .LBB8_979
	s_branch .LBB8_980
.LBB8_3029:
	s_movk_i32 s4, 0x80
	v_cmp_eq_u16_e32 vcc, s4, v3
	s_mov_b64 s[4:5], -1
                                        ; implicit-def: $sgpr10
	s_and_saveexec_b64 s[8:9], vcc
; %bb.3030:
	s_mov_b32 s10, 0x7f800001
	s_xor_b64 s[4:5], exec, -1
; %bb.3031:
	s_or_b64 exec, exec, s[8:9]
	s_and_b64 s[4:5], s[4:5], exec
                                        ; implicit-def: $vgpr3
	s_or_saveexec_b64 s[6:7], s[6:7]
	v_mov_b32_e32 v6, s10
	s_xor_b64 exec, exec, s[6:7]
	s_cbranch_execz .LBB8_982
.LBB8_3032:
	v_cmp_ne_u16_e32 vcc, 0, v3
	s_andn2_b64 s[4:5], s[4:5], exec
	s_and_b64 s[8:9], vcc, exec
	v_mov_b32_e32 v6, 0
	s_or_b64 s[4:5], s[4:5], s[8:9]
	s_or_b64 exec, exec, s[6:7]
	s_and_saveexec_b64 s[6:7], s[4:5]
	s_cbranch_execnz .LBB8_983
	s_branch .LBB8_984
.LBB8_3033:
	s_movk_i32 s4, 0x80
	v_cmp_eq_u16_sdwa s[12:13], v8, s4 src0_sel:BYTE_3 src1_sel:DWORD
	s_mov_b64 s[4:5], -1
                                        ; implicit-def: $sgpr10
	s_and_saveexec_b64 s[8:9], s[12:13]
; %bb.3034:
	s_mov_b32 s10, 0x7f800001
	s_xor_b64 s[4:5], exec, -1
; %bb.3035:
	s_or_b64 exec, exec, s[8:9]
	s_and_b64 s[4:5], s[4:5], exec
	s_or_saveexec_b64 s[6:7], s[6:7]
	v_mov_b32_e32 v2, s10
	s_xor_b64 exec, exec, s[6:7]
	s_cbranch_execz .LBB8_986
.LBB8_3036:
	v_mov_b32_e32 v2, 0
	v_cmp_ne_u16_sdwa s[8:9], v8, v2 src0_sel:BYTE_3 src1_sel:DWORD
	s_andn2_b64 s[4:5], s[4:5], exec
	s_and_b64 s[8:9], s[8:9], exec
	s_or_b64 s[4:5], s[4:5], s[8:9]
	s_or_b64 exec, exec, s[6:7]
	s_and_saveexec_b64 s[6:7], s[4:5]
	s_cbranch_execnz .LBB8_987
	s_branch .LBB8_988
.LBB8_3037:
	s_movk_i32 s4, 0x80
	v_cmp_eq_u16_sdwa s[12:13], v4, s4 src0_sel:BYTE_3 src1_sel:DWORD
	s_mov_b64 s[4:5], -1
                                        ; implicit-def: $sgpr10
	s_and_saveexec_b64 s[8:9], s[12:13]
; %bb.3038:
	s_mov_b32 s10, 0x7f800001
	s_xor_b64 s[4:5], exec, -1
; %bb.3039:
	s_or_b64 exec, exec, s[8:9]
	s_and_b64 s[4:5], s[4:5], exec
	s_or_saveexec_b64 s[6:7], s[6:7]
	v_mov_b32_e32 v3, s10
	s_xor_b64 exec, exec, s[6:7]
	s_cbranch_execz .LBB8_990
.LBB8_3040:
	v_mov_b32_e32 v3, 0
	v_cmp_ne_u16_sdwa s[8:9], v4, v3 src0_sel:BYTE_3 src1_sel:DWORD
	s_andn2_b64 s[4:5], s[4:5], exec
	s_and_b64 s[8:9], s[8:9], exec
	s_or_b64 s[4:5], s[4:5], s[8:9]
	s_or_b64 exec, exec, s[6:7]
	s_and_saveexec_b64 s[6:7], s[4:5]
	s_cbranch_execnz .LBB8_991
	s_branch .LBB8_992
.LBB8_3041:
	s_movk_i32 s4, 0x80
	v_cmp_eq_u16_sdwa s[12:13], v9, s4 src0_sel:BYTE_0 src1_sel:DWORD
	s_mov_b64 s[4:5], -1
                                        ; implicit-def: $sgpr10
	s_and_saveexec_b64 s[8:9], s[12:13]
; %bb.3042:
	s_mov_b32 s10, 0x7f800001
	s_xor_b64 s[4:5], exec, -1
; %bb.3043:
	s_or_b64 exec, exec, s[8:9]
	s_and_b64 s[4:5], s[4:5], exec
	s_or_saveexec_b64 s[6:7], s[6:7]
	v_mov_b32_e32 v2, s10
	s_xor_b64 exec, exec, s[6:7]
	s_cbranch_execz .LBB8_994
.LBB8_3044:
	v_mov_b32_e32 v2, 0
	v_cmp_ne_u16_sdwa s[8:9], v9, v2 src0_sel:BYTE_0 src1_sel:DWORD
	s_andn2_b64 s[4:5], s[4:5], exec
	s_and_b64 s[8:9], s[8:9], exec
	s_or_b64 s[4:5], s[4:5], s[8:9]
	s_or_b64 exec, exec, s[6:7]
	s_and_saveexec_b64 s[6:7], s[4:5]
	s_cbranch_execnz .LBB8_995
	s_branch .LBB8_996
.LBB8_3045:
	s_movk_i32 s4, 0x80
	v_cmp_eq_u16_sdwa s[12:13], v5, s4 src0_sel:BYTE_0 src1_sel:DWORD
	s_mov_b64 s[4:5], -1
                                        ; implicit-def: $sgpr10
	s_and_saveexec_b64 s[8:9], s[12:13]
; %bb.3046:
	s_mov_b32 s10, 0x7f800001
	s_xor_b64 s[4:5], exec, -1
; %bb.3047:
	s_or_b64 exec, exec, s[8:9]
	s_and_b64 s[4:5], s[4:5], exec
	s_or_saveexec_b64 s[6:7], s[6:7]
	v_mov_b32_e32 v3, s10
	s_xor_b64 exec, exec, s[6:7]
	s_cbranch_execz .LBB8_998
.LBB8_3048:
	v_mov_b32_e32 v3, 0
	v_cmp_ne_u16_sdwa s[8:9], v5, v3 src0_sel:BYTE_0 src1_sel:DWORD
	s_andn2_b64 s[4:5], s[4:5], exec
	s_and_b64 s[8:9], s[8:9], exec
	s_or_b64 s[4:5], s[4:5], s[8:9]
	s_or_b64 exec, exec, s[6:7]
	s_and_saveexec_b64 s[6:7], s[4:5]
	s_cbranch_execnz .LBB8_999
	s_branch .LBB8_1000
.LBB8_3049:
	s_movk_i32 s4, 0x80
	v_cmp_eq_u16_sdwa s[12:13], v3, s4 src0_sel:BYTE_0 src1_sel:DWORD
	s_mov_b64 s[4:5], -1
                                        ; implicit-def: $sgpr10
	s_and_saveexec_b64 s[8:9], s[12:13]
; %bb.3050:
	s_mov_b32 s10, 0x7f800001
	s_xor_b64 s[4:5], exec, -1
; %bb.3051:
	s_or_b64 exec, exec, s[8:9]
	s_and_b64 s[4:5], s[4:5], exec
	s_or_saveexec_b64 s[6:7], s[6:7]
	v_mov_b32_e32 v2, s10
	s_xor_b64 exec, exec, s[6:7]
	s_cbranch_execz .LBB8_1002
.LBB8_3052:
	v_mov_b32_e32 v2, 0
	v_cmp_ne_u16_sdwa s[8:9], v3, v2 src0_sel:BYTE_0 src1_sel:DWORD
	s_andn2_b64 s[4:5], s[4:5], exec
	s_and_b64 s[8:9], s[8:9], exec
	s_or_b64 s[4:5], s[4:5], s[8:9]
	s_or_b64 exec, exec, s[6:7]
	s_and_saveexec_b64 s[6:7], s[4:5]
	s_cbranch_execnz .LBB8_1003
	s_branch .LBB8_1004
.LBB8_3053:
	s_movk_i32 s4, 0x80
	v_cmp_eq_u16_sdwa s[12:13], v3, s4 src0_sel:BYTE_0 src1_sel:DWORD
	s_mov_b64 s[4:5], -1
                                        ; implicit-def: $sgpr10
	s_and_saveexec_b64 s[8:9], s[12:13]
; %bb.3054:
	s_mov_b32 s10, 0x7f800001
	s_xor_b64 s[4:5], exec, -1
; %bb.3055:
	s_or_b64 exec, exec, s[8:9]
	s_and_b64 s[4:5], s[4:5], exec
	s_or_saveexec_b64 s[6:7], s[6:7]
	v_mov_b32_e32 v4, s10
	s_xor_b64 exec, exec, s[6:7]
	s_cbranch_execz .LBB8_1006
.LBB8_3056:
	v_mov_b32_e32 v4, 0
	v_cmp_ne_u16_sdwa s[8:9], v3, v4 src0_sel:BYTE_0 src1_sel:DWORD
	s_andn2_b64 s[4:5], s[4:5], exec
	s_and_b64 s[8:9], s[8:9], exec
	s_or_b64 s[4:5], s[4:5], s[8:9]
	s_or_b64 exec, exec, s[6:7]
	s_and_saveexec_b64 s[6:7], s[4:5]
	s_cbranch_execnz .LBB8_1007
	s_branch .LBB8_1008
.LBB8_3057:
	s_movk_i32 s4, 0x80
	v_cmp_eq_u16_e32 vcc, s4, v3
	s_mov_b64 s[4:5], -1
                                        ; implicit-def: $sgpr10
	s_and_saveexec_b64 s[8:9], vcc
; %bb.3058:
	s_mov_b32 s10, 0x7f800001
	s_xor_b64 s[4:5], exec, -1
; %bb.3059:
	s_or_b64 exec, exec, s[8:9]
	s_and_b64 s[4:5], s[4:5], exec
                                        ; implicit-def: $vgpr3
	s_or_saveexec_b64 s[6:7], s[6:7]
	v_mov_b32_e32 v2, s10
	s_xor_b64 exec, exec, s[6:7]
	s_cbranch_execz .LBB8_1010
.LBB8_3060:
	v_cmp_ne_u16_e32 vcc, 0, v3
	s_andn2_b64 s[4:5], s[4:5], exec
	s_and_b64 s[8:9], vcc, exec
	v_mov_b32_e32 v2, 0
	s_or_b64 s[4:5], s[4:5], s[8:9]
	s_or_b64 exec, exec, s[6:7]
	s_and_saveexec_b64 s[6:7], s[4:5]
	s_cbranch_execnz .LBB8_1011
	s_branch .LBB8_1012
.LBB8_3061:
	s_movk_i32 s4, 0x80
	v_cmp_eq_u16_e32 vcc, s4, v3
	s_mov_b64 s[4:5], -1
                                        ; implicit-def: $sgpr10
	s_and_saveexec_b64 s[8:9], vcc
; %bb.3062:
	s_mov_b32 s10, 0x7f800001
	s_xor_b64 s[4:5], exec, -1
; %bb.3063:
	s_or_b64 exec, exec, s[8:9]
	s_and_b64 s[4:5], s[4:5], exec
                                        ; implicit-def: $vgpr3
	s_or_saveexec_b64 s[6:7], s[6:7]
	v_mov_b32_e32 v4, s10
	s_xor_b64 exec, exec, s[6:7]
	s_cbranch_execz .LBB8_1014
.LBB8_3064:
	v_cmp_ne_u16_e32 vcc, 0, v3
	s_andn2_b64 s[4:5], s[4:5], exec
	s_and_b64 s[8:9], vcc, exec
	v_mov_b32_e32 v4, 0
	s_or_b64 s[4:5], s[4:5], s[8:9]
	s_or_b64 exec, exec, s[6:7]
	s_and_saveexec_b64 s[6:7], s[4:5]
	s_cbranch_execnz .LBB8_1015
	s_branch .LBB8_1016
.LBB8_3065:
	s_movk_i32 s4, 0x80
	v_cmp_eq_u16_sdwa s[12:13], v9, s4 src0_sel:BYTE_3 src1_sel:DWORD
	s_mov_b64 s[4:5], -1
                                        ; implicit-def: $sgpr10
	s_and_saveexec_b64 s[8:9], s[12:13]
; %bb.3066:
	s_mov_b32 s10, 0x7f800001
	s_xor_b64 s[4:5], exec, -1
; %bb.3067:
	s_or_b64 exec, exec, s[8:9]
	s_and_b64 s[4:5], s[4:5], exec
	s_or_saveexec_b64 s[6:7], s[6:7]
	v_mov_b32_e32 v2, s10
	s_xor_b64 exec, exec, s[6:7]
	s_cbranch_execz .LBB8_1018
.LBB8_3068:
	v_mov_b32_e32 v2, 0
	v_cmp_ne_u16_sdwa s[8:9], v9, v2 src0_sel:BYTE_3 src1_sel:DWORD
	s_andn2_b64 s[4:5], s[4:5], exec
	s_and_b64 s[8:9], s[8:9], exec
	s_or_b64 s[4:5], s[4:5], s[8:9]
	s_or_b64 exec, exec, s[6:7]
	s_and_saveexec_b64 s[6:7], s[4:5]
	s_cbranch_execnz .LBB8_1019
	s_branch .LBB8_1020
.LBB8_3069:
	s_movk_i32 s4, 0x80
	v_cmp_eq_u16_sdwa s[12:13], v5, s4 src0_sel:BYTE_3 src1_sel:DWORD
	s_mov_b64 s[4:5], -1
                                        ; implicit-def: $sgpr10
	s_and_saveexec_b64 s[8:9], s[12:13]
; %bb.3070:
	s_mov_b32 s10, 0x7f800001
	s_xor_b64 s[4:5], exec, -1
; %bb.3071:
	s_or_b64 exec, exec, s[8:9]
	s_and_b64 s[4:5], s[4:5], exec
	s_or_saveexec_b64 s[6:7], s[6:7]
	v_mov_b32_e32 v3, s10
	s_xor_b64 exec, exec, s[6:7]
	s_cbranch_execz .LBB8_1022
.LBB8_3072:
	v_mov_b32_e32 v3, 0
	v_cmp_ne_u16_sdwa s[8:9], v5, v3 src0_sel:BYTE_3 src1_sel:DWORD
	s_andn2_b64 s[4:5], s[4:5], exec
	s_and_b64 s[8:9], s[8:9], exec
	s_or_b64 s[4:5], s[4:5], s[8:9]
	s_or_b64 exec, exec, s[6:7]
	s_and_saveexec_b64 s[6:7], s[4:5]
	s_cbranch_execnz .LBB8_1023
	s_branch .LBB8_1024
.LBB8_3073:
	s_movk_i32 s4, 0x80
	v_cmp_eq_u16_sdwa s[12:13], v14, s4 src0_sel:BYTE_0 src1_sel:DWORD
	s_mov_b64 s[4:5], -1
                                        ; implicit-def: $sgpr10
	s_and_saveexec_b64 s[8:9], s[12:13]
; %bb.3074:
	s_mov_b32 s10, 0x7f800001
	s_xor_b64 s[4:5], exec, -1
; %bb.3075:
	s_or_b64 exec, exec, s[8:9]
	s_and_b64 s[4:5], s[4:5], exec
	s_or_saveexec_b64 s[6:7], s[6:7]
	v_mov_b32_e32 v20, s10
	s_xor_b64 exec, exec, s[6:7]
	s_cbranch_execz .LBB8_1026
.LBB8_3076:
	v_mov_b32_e32 v20, 0
	v_cmp_ne_u16_sdwa s[8:9], v14, v20 src0_sel:BYTE_0 src1_sel:DWORD
	s_andn2_b64 s[4:5], s[4:5], exec
	s_and_b64 s[8:9], s[8:9], exec
	s_or_b64 s[4:5], s[4:5], s[8:9]
	s_or_b64 exec, exec, s[6:7]
	s_and_saveexec_b64 s[6:7], s[4:5]
	s_cbranch_execnz .LBB8_1027
	s_branch .LBB8_1028
.LBB8_3077:
	s_movk_i32 s4, 0x80
	v_cmp_eq_u16_sdwa s[12:13], v10, s4 src0_sel:BYTE_0 src1_sel:DWORD
	s_mov_b64 s[4:5], -1
                                        ; implicit-def: $sgpr10
	s_and_saveexec_b64 s[8:9], s[12:13]
; %bb.3078:
	s_mov_b32 s10, 0x7f800001
	s_xor_b64 s[4:5], exec, -1
; %bb.3079:
	s_or_b64 exec, exec, s[8:9]
	s_and_b64 s[4:5], s[4:5], exec
	s_or_saveexec_b64 s[6:7], s[6:7]
	v_mov_b32_e32 v21, s10
	s_xor_b64 exec, exec, s[6:7]
	s_cbranch_execz .LBB8_1030
.LBB8_3080:
	v_mov_b32_e32 v21, 0
	v_cmp_ne_u16_sdwa s[8:9], v10, v21 src0_sel:BYTE_0 src1_sel:DWORD
	s_andn2_b64 s[4:5], s[4:5], exec
	s_and_b64 s[8:9], s[8:9], exec
	s_or_b64 s[4:5], s[4:5], s[8:9]
	s_or_b64 exec, exec, s[6:7]
	s_and_saveexec_b64 s[6:7], s[4:5]
	s_cbranch_execnz .LBB8_1031
	s_branch .LBB8_1032
.LBB8_3081:
	s_movk_i32 s4, 0x80
	v_cmp_eq_u16_sdwa s[12:13], v21, s4 src0_sel:BYTE_0 src1_sel:DWORD
	s_mov_b64 s[4:5], -1
                                        ; implicit-def: $sgpr10
	s_and_saveexec_b64 s[8:9], s[12:13]
; %bb.3082:
	s_mov_b32 s10, 0x7f800001
	s_xor_b64 s[4:5], exec, -1
; %bb.3083:
	s_or_b64 exec, exec, s[8:9]
	s_and_b64 s[4:5], s[4:5], exec
	s_or_saveexec_b64 s[6:7], s[6:7]
	v_mov_b32_e32 v20, s10
	s_xor_b64 exec, exec, s[6:7]
	s_cbranch_execz .LBB8_1034
.LBB8_3084:
	v_mov_b32_e32 v20, 0
	v_cmp_ne_u16_sdwa s[8:9], v21, v20 src0_sel:BYTE_0 src1_sel:DWORD
	s_andn2_b64 s[4:5], s[4:5], exec
	s_and_b64 s[8:9], s[8:9], exec
	s_or_b64 s[4:5], s[4:5], s[8:9]
	s_or_b64 exec, exec, s[6:7]
	s_and_saveexec_b64 s[6:7], s[4:5]
	s_cbranch_execnz .LBB8_1035
	s_branch .LBB8_1036
.LBB8_3085:
	s_movk_i32 s4, 0x80
	v_cmp_eq_u16_sdwa s[12:13], v21, s4 src0_sel:BYTE_0 src1_sel:DWORD
	s_mov_b64 s[4:5], -1
                                        ; implicit-def: $sgpr10
	s_and_saveexec_b64 s[8:9], s[12:13]
; %bb.3086:
	s_mov_b32 s10, 0x7f800001
	s_xor_b64 s[4:5], exec, -1
; %bb.3087:
	s_or_b64 exec, exec, s[8:9]
	s_and_b64 s[4:5], s[4:5], exec
	s_or_saveexec_b64 s[6:7], s[6:7]
	v_mov_b32_e32 v22, s10
	s_xor_b64 exec, exec, s[6:7]
	s_cbranch_execz .LBB8_1038
.LBB8_3088:
	v_mov_b32_e32 v22, 0
	v_cmp_ne_u16_sdwa s[8:9], v21, v22 src0_sel:BYTE_0 src1_sel:DWORD
	s_andn2_b64 s[4:5], s[4:5], exec
	s_and_b64 s[8:9], s[8:9], exec
	s_or_b64 s[4:5], s[4:5], s[8:9]
	s_or_b64 exec, exec, s[6:7]
	s_and_saveexec_b64 s[6:7], s[4:5]
	s_cbranch_execnz .LBB8_1039
	s_branch .LBB8_1040
.LBB8_3089:
	s_movk_i32 s4, 0x80
	v_cmp_eq_u16_e32 vcc, s4, v21
	s_mov_b64 s[4:5], -1
                                        ; implicit-def: $sgpr10
	s_and_saveexec_b64 s[8:9], vcc
; %bb.3090:
	s_mov_b32 s10, 0x7f800001
	s_xor_b64 s[4:5], exec, -1
; %bb.3091:
	s_or_b64 exec, exec, s[8:9]
	s_and_b64 s[4:5], s[4:5], exec
                                        ; implicit-def: $vgpr21
	s_or_saveexec_b64 s[6:7], s[6:7]
	v_mov_b32_e32 v20, s10
	s_xor_b64 exec, exec, s[6:7]
	s_cbranch_execz .LBB8_1042
.LBB8_3092:
	v_cmp_ne_u16_e32 vcc, 0, v21
	s_andn2_b64 s[4:5], s[4:5], exec
	s_and_b64 s[8:9], vcc, exec
	v_mov_b32_e32 v20, 0
	s_or_b64 s[4:5], s[4:5], s[8:9]
	s_or_b64 exec, exec, s[6:7]
	s_and_saveexec_b64 s[6:7], s[4:5]
	s_cbranch_execnz .LBB8_1043
	s_branch .LBB8_1044
.LBB8_3093:
	s_movk_i32 s4, 0x80
	v_cmp_eq_u16_e32 vcc, s4, v21
	s_mov_b64 s[4:5], -1
                                        ; implicit-def: $sgpr10
	s_and_saveexec_b64 s[8:9], vcc
; %bb.3094:
	s_mov_b32 s10, 0x7f800001
	s_xor_b64 s[4:5], exec, -1
; %bb.3095:
	s_or_b64 exec, exec, s[8:9]
	s_and_b64 s[4:5], s[4:5], exec
                                        ; implicit-def: $vgpr21
	s_or_saveexec_b64 s[6:7], s[6:7]
	v_mov_b32_e32 v22, s10
	s_xor_b64 exec, exec, s[6:7]
	s_cbranch_execz .LBB8_1046
.LBB8_3096:
	v_cmp_ne_u16_e32 vcc, 0, v21
	s_andn2_b64 s[4:5], s[4:5], exec
	s_and_b64 s[8:9], vcc, exec
	v_mov_b32_e32 v22, 0
	s_or_b64 s[4:5], s[4:5], s[8:9]
	s_or_b64 exec, exec, s[6:7]
	s_and_saveexec_b64 s[6:7], s[4:5]
	s_cbranch_execnz .LBB8_1047
	s_branch .LBB8_1048
.LBB8_3097:
	s_movk_i32 s4, 0x80
	v_cmp_eq_u16_sdwa s[12:13], v14, s4 src0_sel:BYTE_3 src1_sel:DWORD
	s_mov_b64 s[4:5], -1
                                        ; implicit-def: $sgpr10
	s_and_saveexec_b64 s[8:9], s[12:13]
; %bb.3098:
	s_mov_b32 s10, 0x7f800001
	s_xor_b64 s[4:5], exec, -1
; %bb.3099:
	s_or_b64 exec, exec, s[8:9]
	s_and_b64 s[4:5], s[4:5], exec
	s_or_saveexec_b64 s[6:7], s[6:7]
	v_mov_b32_e32 v20, s10
	s_xor_b64 exec, exec, s[6:7]
	s_cbranch_execz .LBB8_1050
.LBB8_3100:
	v_mov_b32_e32 v20, 0
	v_cmp_ne_u16_sdwa s[8:9], v14, v20 src0_sel:BYTE_3 src1_sel:DWORD
	s_andn2_b64 s[4:5], s[4:5], exec
	s_and_b64 s[8:9], s[8:9], exec
	s_or_b64 s[4:5], s[4:5], s[8:9]
	s_or_b64 exec, exec, s[6:7]
	s_and_saveexec_b64 s[6:7], s[4:5]
	s_cbranch_execnz .LBB8_1051
	s_branch .LBB8_1052
.LBB8_3101:
	s_movk_i32 s4, 0x80
	v_cmp_eq_u16_sdwa s[12:13], v10, s4 src0_sel:BYTE_3 src1_sel:DWORD
	s_mov_b64 s[4:5], -1
                                        ; implicit-def: $sgpr10
	s_and_saveexec_b64 s[8:9], s[12:13]
; %bb.3102:
	s_mov_b32 s10, 0x7f800001
	s_xor_b64 s[4:5], exec, -1
; %bb.3103:
	s_or_b64 exec, exec, s[8:9]
	s_and_b64 s[4:5], s[4:5], exec
	s_or_saveexec_b64 s[6:7], s[6:7]
	v_mov_b32_e32 v14, s10
	s_xor_b64 exec, exec, s[6:7]
	s_cbranch_execz .LBB8_1054
.LBB8_3104:
	v_mov_b32_e32 v14, 0
	v_cmp_ne_u16_sdwa s[8:9], v10, v14 src0_sel:BYTE_3 src1_sel:DWORD
	s_andn2_b64 s[4:5], s[4:5], exec
	s_and_b64 s[8:9], s[8:9], exec
	s_or_b64 s[4:5], s[4:5], s[8:9]
	s_or_b64 exec, exec, s[6:7]
	s_and_saveexec_b64 s[6:7], s[4:5]
	s_cbranch_execnz .LBB8_1055
	s_branch .LBB8_1056
.LBB8_3105:
	s_movk_i32 s4, 0x80
	v_cmp_eq_u16_sdwa s[12:13], v15, s4 src0_sel:BYTE_0 src1_sel:DWORD
	s_mov_b64 s[4:5], -1
                                        ; implicit-def: $sgpr10
	s_and_saveexec_b64 s[8:9], s[12:13]
; %bb.3106:
	s_mov_b32 s10, 0x7f800001
	s_xor_b64 s[4:5], exec, -1
; %bb.3107:
	s_or_b64 exec, exec, s[8:9]
	s_and_b64 s[4:5], s[4:5], exec
	s_or_saveexec_b64 s[6:7], s[6:7]
	v_mov_b32_e32 v10, s10
	s_xor_b64 exec, exec, s[6:7]
	s_cbranch_execz .LBB8_1058
.LBB8_3108:
	v_mov_b32_e32 v10, 0
	v_cmp_ne_u16_sdwa s[8:9], v15, v10 src0_sel:BYTE_0 src1_sel:DWORD
	s_andn2_b64 s[4:5], s[4:5], exec
	s_and_b64 s[8:9], s[8:9], exec
	s_or_b64 s[4:5], s[4:5], s[8:9]
	s_or_b64 exec, exec, s[6:7]
	s_and_saveexec_b64 s[6:7], s[4:5]
	s_cbranch_execnz .LBB8_1059
	s_branch .LBB8_1060
.LBB8_3109:
	s_movk_i32 s4, 0x80
	v_cmp_eq_u16_sdwa s[12:13], v11, s4 src0_sel:BYTE_0 src1_sel:DWORD
	s_mov_b64 s[4:5], -1
                                        ; implicit-def: $sgpr10
	s_and_saveexec_b64 s[8:9], s[12:13]
; %bb.3110:
	s_mov_b32 s10, 0x7f800001
	s_xor_b64 s[4:5], exec, -1
; %bb.3111:
	s_or_b64 exec, exec, s[8:9]
	s_and_b64 s[4:5], s[4:5], exec
	s_or_saveexec_b64 s[6:7], s[6:7]
	v_mov_b32_e32 v14, s10
	s_xor_b64 exec, exec, s[6:7]
	s_cbranch_execz .LBB8_1062
.LBB8_3112:
	v_mov_b32_e32 v14, 0
	v_cmp_ne_u16_sdwa s[8:9], v11, v14 src0_sel:BYTE_0 src1_sel:DWORD
	s_andn2_b64 s[4:5], s[4:5], exec
	s_and_b64 s[8:9], s[8:9], exec
	s_or_b64 s[4:5], s[4:5], s[8:9]
	s_or_b64 exec, exec, s[6:7]
	s_and_saveexec_b64 s[6:7], s[4:5]
	s_cbranch_execnz .LBB8_1063
	s_branch .LBB8_1064
.LBB8_3113:
	s_movk_i32 s4, 0x80
	v_cmp_eq_u16_sdwa s[12:13], v14, s4 src0_sel:BYTE_0 src1_sel:DWORD
	s_mov_b64 s[4:5], -1
                                        ; implicit-def: $sgpr10
	s_and_saveexec_b64 s[8:9], s[12:13]
; %bb.3114:
	s_mov_b32 s10, 0x7f800001
	s_xor_b64 s[4:5], exec, -1
; %bb.3115:
	s_or_b64 exec, exec, s[8:9]
	s_and_b64 s[4:5], s[4:5], exec
	s_or_saveexec_b64 s[6:7], s[6:7]
	v_mov_b32_e32 v10, s10
	s_xor_b64 exec, exec, s[6:7]
	s_cbranch_execz .LBB8_1066
.LBB8_3116:
	v_mov_b32_e32 v10, 0
	v_cmp_ne_u16_sdwa s[8:9], v14, v10 src0_sel:BYTE_0 src1_sel:DWORD
	s_andn2_b64 s[4:5], s[4:5], exec
	s_and_b64 s[8:9], s[8:9], exec
	s_or_b64 s[4:5], s[4:5], s[8:9]
	s_or_b64 exec, exec, s[6:7]
	s_and_saveexec_b64 s[6:7], s[4:5]
	s_cbranch_execnz .LBB8_1067
	s_branch .LBB8_1068
.LBB8_3117:
	s_movk_i32 s4, 0x80
	v_cmp_eq_u16_sdwa s[12:13], v14, s4 src0_sel:BYTE_0 src1_sel:DWORD
	s_mov_b64 s[4:5], -1
                                        ; implicit-def: $sgpr10
	s_and_saveexec_b64 s[8:9], s[12:13]
; %bb.3118:
	s_mov_b32 s10, 0x7f800001
	s_xor_b64 s[4:5], exec, -1
; %bb.3119:
	s_or_b64 exec, exec, s[8:9]
	s_and_b64 s[4:5], s[4:5], exec
	s_or_saveexec_b64 s[6:7], s[6:7]
	v_mov_b32_e32 v20, s10
	s_xor_b64 exec, exec, s[6:7]
	s_cbranch_execz .LBB8_1070
.LBB8_3120:
	v_mov_b32_e32 v20, 0
	v_cmp_ne_u16_sdwa s[8:9], v14, v20 src0_sel:BYTE_0 src1_sel:DWORD
	s_andn2_b64 s[4:5], s[4:5], exec
	s_and_b64 s[8:9], s[8:9], exec
	s_or_b64 s[4:5], s[4:5], s[8:9]
	s_or_b64 exec, exec, s[6:7]
	s_and_saveexec_b64 s[6:7], s[4:5]
	s_cbranch_execnz .LBB8_1071
	s_branch .LBB8_1072
.LBB8_3121:
	s_movk_i32 s4, 0x80
	v_cmp_eq_u16_e32 vcc, s4, v14
	s_mov_b64 s[4:5], -1
                                        ; implicit-def: $sgpr10
	s_and_saveexec_b64 s[8:9], vcc
; %bb.3122:
	s_mov_b32 s10, 0x7f800001
	s_xor_b64 s[4:5], exec, -1
; %bb.3123:
	s_or_b64 exec, exec, s[8:9]
	s_and_b64 s[4:5], s[4:5], exec
                                        ; implicit-def: $vgpr14
	s_or_saveexec_b64 s[6:7], s[6:7]
	v_mov_b32_e32 v10, s10
	s_xor_b64 exec, exec, s[6:7]
	s_cbranch_execz .LBB8_1074
.LBB8_3124:
	v_cmp_ne_u16_e32 vcc, 0, v14
	s_andn2_b64 s[4:5], s[4:5], exec
	s_and_b64 s[8:9], vcc, exec
	v_mov_b32_e32 v10, 0
	s_or_b64 s[4:5], s[4:5], s[8:9]
	s_or_b64 exec, exec, s[6:7]
	s_and_saveexec_b64 s[6:7], s[4:5]
	s_cbranch_execnz .LBB8_1075
	s_branch .LBB8_1076
.LBB8_3125:
	s_movk_i32 s4, 0x80
	v_cmp_eq_u16_e32 vcc, s4, v14
	s_mov_b64 s[4:5], -1
                                        ; implicit-def: $sgpr10
	s_and_saveexec_b64 s[8:9], vcc
; %bb.3126:
	s_mov_b32 s10, 0x7f800001
	s_xor_b64 s[4:5], exec, -1
; %bb.3127:
	s_or_b64 exec, exec, s[8:9]
	s_and_b64 s[4:5], s[4:5], exec
                                        ; implicit-def: $vgpr14
	s_or_saveexec_b64 s[6:7], s[6:7]
	v_mov_b32_e32 v20, s10
	s_xor_b64 exec, exec, s[6:7]
	s_cbranch_execz .LBB8_1078
.LBB8_3128:
	v_cmp_ne_u16_e32 vcc, 0, v14
	s_andn2_b64 s[4:5], s[4:5], exec
	s_and_b64 s[8:9], vcc, exec
	v_mov_b32_e32 v20, 0
	s_or_b64 s[4:5], s[4:5], s[8:9]
	s_or_b64 exec, exec, s[6:7]
	s_and_saveexec_b64 s[6:7], s[4:5]
	s_cbranch_execnz .LBB8_1079
	s_branch .LBB8_1080
.LBB8_3129:
	s_movk_i32 s4, 0x80
	v_cmp_eq_u16_sdwa s[12:13], v15, s4 src0_sel:BYTE_3 src1_sel:DWORD
	s_mov_b64 s[4:5], -1
                                        ; implicit-def: $sgpr10
	s_and_saveexec_b64 s[8:9], s[12:13]
; %bb.3130:
	s_mov_b32 s10, 0x7f800001
	s_xor_b64 s[4:5], exec, -1
; %bb.3131:
	s_or_b64 exec, exec, s[8:9]
	s_and_b64 s[4:5], s[4:5], exec
	s_or_saveexec_b64 s[6:7], s[6:7]
	v_mov_b32_e32 v10, s10
	s_xor_b64 exec, exec, s[6:7]
	s_cbranch_execz .LBB8_1082
.LBB8_3132:
	v_mov_b32_e32 v10, 0
	v_cmp_ne_u16_sdwa s[8:9], v15, v10 src0_sel:BYTE_3 src1_sel:DWORD
	s_andn2_b64 s[4:5], s[4:5], exec
	s_and_b64 s[8:9], s[8:9], exec
	s_or_b64 s[4:5], s[4:5], s[8:9]
	s_or_b64 exec, exec, s[6:7]
	s_and_saveexec_b64 s[6:7], s[4:5]
	s_cbranch_execnz .LBB8_1083
	s_branch .LBB8_1084
.LBB8_3133:
	s_movk_i32 s4, 0x80
	v_cmp_eq_u16_sdwa s[12:13], v11, s4 src0_sel:BYTE_3 src1_sel:DWORD
	s_mov_b64 s[4:5], -1
                                        ; implicit-def: $sgpr10
	s_and_saveexec_b64 s[8:9], s[12:13]
; %bb.3134:
	s_mov_b32 s10, 0x7f800001
	s_xor_b64 s[4:5], exec, -1
; %bb.3135:
	s_or_b64 exec, exec, s[8:9]
	s_and_b64 s[4:5], s[4:5], exec
	s_or_saveexec_b64 s[6:7], s[6:7]
	v_mov_b32_e32 v14, s10
	s_xor_b64 exec, exec, s[6:7]
	s_cbranch_execz .LBB8_1086
.LBB8_3136:
	v_mov_b32_e32 v14, 0
	v_cmp_ne_u16_sdwa s[8:9], v11, v14 src0_sel:BYTE_3 src1_sel:DWORD
	s_andn2_b64 s[4:5], s[4:5], exec
	s_and_b64 s[8:9], s[8:9], exec
	s_or_b64 s[4:5], s[4:5], s[8:9]
	s_or_b64 exec, exec, s[6:7]
	s_and_saveexec_b64 s[6:7], s[4:5]
	s_cbranch_execnz .LBB8_1087
	s_branch .LBB8_1088
.LBB8_3137:
	s_movk_i32 s4, 0x80
	v_cmp_eq_u16_sdwa s[12:13], v16, s4 src0_sel:BYTE_0 src1_sel:DWORD
	s_mov_b64 s[4:5], -1
                                        ; implicit-def: $sgpr10
	s_and_saveexec_b64 s[8:9], s[12:13]
; %bb.3138:
	s_mov_b32 s10, 0x7f800001
	s_xor_b64 s[4:5], exec, -1
; %bb.3139:
	s_or_b64 exec, exec, s[8:9]
	s_and_b64 s[4:5], s[4:5], exec
	s_or_saveexec_b64 s[6:7], s[6:7]
	v_mov_b32_e32 v10, s10
	s_xor_b64 exec, exec, s[6:7]
	s_cbranch_execz .LBB8_1090
.LBB8_3140:
	v_mov_b32_e32 v10, 0
	v_cmp_ne_u16_sdwa s[8:9], v16, v10 src0_sel:BYTE_0 src1_sel:DWORD
	s_andn2_b64 s[4:5], s[4:5], exec
	s_and_b64 s[8:9], s[8:9], exec
	s_or_b64 s[4:5], s[4:5], s[8:9]
	s_or_b64 exec, exec, s[6:7]
	s_and_saveexec_b64 s[6:7], s[4:5]
	s_cbranch_execnz .LBB8_1091
	s_branch .LBB8_1092
.LBB8_3141:
	s_movk_i32 s4, 0x80
	v_cmp_eq_u16_sdwa s[12:13], v12, s4 src0_sel:BYTE_0 src1_sel:DWORD
	s_mov_b64 s[4:5], -1
                                        ; implicit-def: $sgpr10
	s_and_saveexec_b64 s[8:9], s[12:13]
; %bb.3142:
	s_mov_b32 s10, 0x7f800001
	s_xor_b64 s[4:5], exec, -1
; %bb.3143:
	s_or_b64 exec, exec, s[8:9]
	s_and_b64 s[4:5], s[4:5], exec
	s_or_saveexec_b64 s[6:7], s[6:7]
	v_mov_b32_e32 v11, s10
	s_xor_b64 exec, exec, s[6:7]
	s_cbranch_execz .LBB8_1094
.LBB8_3144:
	v_mov_b32_e32 v11, 0
	v_cmp_ne_u16_sdwa s[8:9], v12, v11 src0_sel:BYTE_0 src1_sel:DWORD
	s_andn2_b64 s[4:5], s[4:5], exec
	s_and_b64 s[8:9], s[8:9], exec
	s_or_b64 s[4:5], s[4:5], s[8:9]
	s_or_b64 exec, exec, s[6:7]
	s_and_saveexec_b64 s[6:7], s[4:5]
	s_cbranch_execnz .LBB8_1095
	s_branch .LBB8_1096
.LBB8_3145:
	s_movk_i32 s4, 0x80
	v_cmp_eq_u16_sdwa s[12:13], v11, s4 src0_sel:BYTE_0 src1_sel:DWORD
	s_mov_b64 s[4:5], -1
                                        ; implicit-def: $sgpr10
	s_and_saveexec_b64 s[8:9], s[12:13]
; %bb.3146:
	s_mov_b32 s10, 0x7f800001
	s_xor_b64 s[4:5], exec, -1
; %bb.3147:
	s_or_b64 exec, exec, s[8:9]
	s_and_b64 s[4:5], s[4:5], exec
	s_or_saveexec_b64 s[6:7], s[6:7]
	v_mov_b32_e32 v10, s10
	s_xor_b64 exec, exec, s[6:7]
	s_cbranch_execz .LBB8_1098
.LBB8_3148:
	v_mov_b32_e32 v10, 0
	v_cmp_ne_u16_sdwa s[8:9], v11, v10 src0_sel:BYTE_0 src1_sel:DWORD
	s_andn2_b64 s[4:5], s[4:5], exec
	s_and_b64 s[8:9], s[8:9], exec
	s_or_b64 s[4:5], s[4:5], s[8:9]
	s_or_b64 exec, exec, s[6:7]
	s_and_saveexec_b64 s[6:7], s[4:5]
	s_cbranch_execnz .LBB8_1099
	s_branch .LBB8_1100
.LBB8_3149:
	s_movk_i32 s4, 0x80
	v_cmp_eq_u16_sdwa s[12:13], v11, s4 src0_sel:BYTE_0 src1_sel:DWORD
	s_mov_b64 s[4:5], -1
                                        ; implicit-def: $sgpr10
	s_and_saveexec_b64 s[8:9], s[12:13]
; %bb.3150:
	s_mov_b32 s10, 0x7f800001
	s_xor_b64 s[4:5], exec, -1
; %bb.3151:
	s_or_b64 exec, exec, s[8:9]
	s_and_b64 s[4:5], s[4:5], exec
	s_or_saveexec_b64 s[6:7], s[6:7]
	v_mov_b32_e32 v14, s10
	s_xor_b64 exec, exec, s[6:7]
	s_cbranch_execz .LBB8_1102
.LBB8_3152:
	v_mov_b32_e32 v14, 0
	v_cmp_ne_u16_sdwa s[8:9], v11, v14 src0_sel:BYTE_0 src1_sel:DWORD
	s_andn2_b64 s[4:5], s[4:5], exec
	s_and_b64 s[8:9], s[8:9], exec
	s_or_b64 s[4:5], s[4:5], s[8:9]
	s_or_b64 exec, exec, s[6:7]
	s_and_saveexec_b64 s[6:7], s[4:5]
	s_cbranch_execnz .LBB8_1103
	s_branch .LBB8_1104
.LBB8_3153:
	s_movk_i32 s4, 0x80
	v_cmp_eq_u16_e32 vcc, s4, v11
	s_mov_b64 s[4:5], -1
                                        ; implicit-def: $sgpr10
	s_and_saveexec_b64 s[8:9], vcc
; %bb.3154:
	s_mov_b32 s10, 0x7f800001
	s_xor_b64 s[4:5], exec, -1
; %bb.3155:
	s_or_b64 exec, exec, s[8:9]
	s_and_b64 s[4:5], s[4:5], exec
                                        ; implicit-def: $vgpr11
	s_or_saveexec_b64 s[6:7], s[6:7]
	v_mov_b32_e32 v10, s10
	s_xor_b64 exec, exec, s[6:7]
	s_cbranch_execz .LBB8_1106
.LBB8_3156:
	v_cmp_ne_u16_e32 vcc, 0, v11
	s_andn2_b64 s[4:5], s[4:5], exec
	s_and_b64 s[8:9], vcc, exec
	v_mov_b32_e32 v10, 0
	s_or_b64 s[4:5], s[4:5], s[8:9]
	s_or_b64 exec, exec, s[6:7]
	s_and_saveexec_b64 s[6:7], s[4:5]
	s_cbranch_execnz .LBB8_1107
	s_branch .LBB8_1108
.LBB8_3157:
	s_movk_i32 s4, 0x80
	v_cmp_eq_u16_e32 vcc, s4, v11
	s_mov_b64 s[4:5], -1
                                        ; implicit-def: $sgpr10
	s_and_saveexec_b64 s[8:9], vcc
; %bb.3158:
	s_mov_b32 s10, 0x7f800001
	s_xor_b64 s[4:5], exec, -1
; %bb.3159:
	s_or_b64 exec, exec, s[8:9]
	s_and_b64 s[4:5], s[4:5], exec
                                        ; implicit-def: $vgpr11
	s_or_saveexec_b64 s[6:7], s[6:7]
	v_mov_b32_e32 v14, s10
	s_xor_b64 exec, exec, s[6:7]
	s_cbranch_execz .LBB8_1110
.LBB8_3160:
	v_cmp_ne_u16_e32 vcc, 0, v11
	s_andn2_b64 s[4:5], s[4:5], exec
	s_and_b64 s[8:9], vcc, exec
	v_mov_b32_e32 v14, 0
	s_or_b64 s[4:5], s[4:5], s[8:9]
	s_or_b64 exec, exec, s[6:7]
	s_and_saveexec_b64 s[6:7], s[4:5]
	s_cbranch_execnz .LBB8_1111
	s_branch .LBB8_1112
.LBB8_3161:
	s_movk_i32 s4, 0x80
	v_cmp_eq_u16_sdwa s[12:13], v16, s4 src0_sel:BYTE_3 src1_sel:DWORD
	s_mov_b64 s[4:5], -1
                                        ; implicit-def: $sgpr10
	s_and_saveexec_b64 s[8:9], s[12:13]
; %bb.3162:
	s_mov_b32 s10, 0x7f800001
	s_xor_b64 s[4:5], exec, -1
; %bb.3163:
	s_or_b64 exec, exec, s[8:9]
	s_and_b64 s[4:5], s[4:5], exec
	s_or_saveexec_b64 s[6:7], s[6:7]
	v_mov_b32_e32 v10, s10
	s_xor_b64 exec, exec, s[6:7]
	s_cbranch_execz .LBB8_1114
.LBB8_3164:
	v_mov_b32_e32 v10, 0
	v_cmp_ne_u16_sdwa s[8:9], v16, v10 src0_sel:BYTE_3 src1_sel:DWORD
	s_andn2_b64 s[4:5], s[4:5], exec
	s_and_b64 s[8:9], s[8:9], exec
	s_or_b64 s[4:5], s[4:5], s[8:9]
	s_or_b64 exec, exec, s[6:7]
	s_and_saveexec_b64 s[6:7], s[4:5]
	s_cbranch_execnz .LBB8_1115
	s_branch .LBB8_1116
.LBB8_3165:
	s_movk_i32 s4, 0x80
	v_cmp_eq_u16_sdwa s[12:13], v12, s4 src0_sel:BYTE_3 src1_sel:DWORD
	s_mov_b64 s[4:5], -1
                                        ; implicit-def: $sgpr10
	s_and_saveexec_b64 s[8:9], s[12:13]
; %bb.3166:
	s_mov_b32 s10, 0x7f800001
	s_xor_b64 s[4:5], exec, -1
; %bb.3167:
	s_or_b64 exec, exec, s[8:9]
	s_and_b64 s[4:5], s[4:5], exec
	s_or_saveexec_b64 s[6:7], s[6:7]
	v_mov_b32_e32 v11, s10
	s_xor_b64 exec, exec, s[6:7]
	s_cbranch_execz .LBB8_1118
.LBB8_3168:
	v_mov_b32_e32 v11, 0
	v_cmp_ne_u16_sdwa s[8:9], v12, v11 src0_sel:BYTE_3 src1_sel:DWORD
	s_andn2_b64 s[4:5], s[4:5], exec
	s_and_b64 s[8:9], s[8:9], exec
	s_or_b64 s[4:5], s[4:5], s[8:9]
	s_or_b64 exec, exec, s[6:7]
	s_and_saveexec_b64 s[6:7], s[4:5]
	s_cbranch_execnz .LBB8_1119
	s_branch .LBB8_1120
.LBB8_3169:
	s_movk_i32 s4, 0x80
	v_cmp_eq_u16_sdwa s[12:13], v17, s4 src0_sel:BYTE_0 src1_sel:DWORD
	s_mov_b64 s[4:5], -1
                                        ; implicit-def: $sgpr10
	s_and_saveexec_b64 s[8:9], s[12:13]
; %bb.3170:
	s_mov_b32 s10, 0x7f800001
	s_xor_b64 s[4:5], exec, -1
; %bb.3171:
	s_or_b64 exec, exec, s[8:9]
	s_and_b64 s[4:5], s[4:5], exec
	s_or_saveexec_b64 s[6:7], s[6:7]
	v_mov_b32_e32 v10, s10
	s_xor_b64 exec, exec, s[6:7]
	s_cbranch_execz .LBB8_1122
.LBB8_3172:
	v_mov_b32_e32 v10, 0
	v_cmp_ne_u16_sdwa s[8:9], v17, v10 src0_sel:BYTE_0 src1_sel:DWORD
	s_andn2_b64 s[4:5], s[4:5], exec
	s_and_b64 s[8:9], s[8:9], exec
	s_or_b64 s[4:5], s[4:5], s[8:9]
	s_or_b64 exec, exec, s[6:7]
	s_and_saveexec_b64 s[6:7], s[4:5]
	s_cbranch_execnz .LBB8_1123
	s_branch .LBB8_1124
.LBB8_3173:
	s_movk_i32 s4, 0x80
	v_cmp_eq_u16_sdwa s[12:13], v13, s4 src0_sel:BYTE_0 src1_sel:DWORD
	s_mov_b64 s[4:5], -1
                                        ; implicit-def: $sgpr10
	s_and_saveexec_b64 s[8:9], s[12:13]
; %bb.3174:
	s_mov_b32 s10, 0x7f800001
	s_xor_b64 s[4:5], exec, -1
; %bb.3175:
	s_or_b64 exec, exec, s[8:9]
	s_and_b64 s[4:5], s[4:5], exec
	s_or_saveexec_b64 s[6:7], s[6:7]
	v_mov_b32_e32 v11, s10
	s_xor_b64 exec, exec, s[6:7]
	s_cbranch_execz .LBB8_1126
.LBB8_3176:
	v_mov_b32_e32 v11, 0
	v_cmp_ne_u16_sdwa s[8:9], v13, v11 src0_sel:BYTE_0 src1_sel:DWORD
	s_andn2_b64 s[4:5], s[4:5], exec
	s_and_b64 s[8:9], s[8:9], exec
	s_or_b64 s[4:5], s[4:5], s[8:9]
	s_or_b64 exec, exec, s[6:7]
	s_and_saveexec_b64 s[6:7], s[4:5]
	s_cbranch_execnz .LBB8_1127
	s_branch .LBB8_1128
.LBB8_3177:
	s_movk_i32 s4, 0x80
	v_cmp_eq_u16_sdwa s[12:13], v11, s4 src0_sel:BYTE_0 src1_sel:DWORD
	s_mov_b64 s[4:5], -1
                                        ; implicit-def: $sgpr10
	s_and_saveexec_b64 s[8:9], s[12:13]
; %bb.3178:
	s_mov_b32 s10, 0x7f800001
	s_xor_b64 s[4:5], exec, -1
; %bb.3179:
	s_or_b64 exec, exec, s[8:9]
	s_and_b64 s[4:5], s[4:5], exec
	s_or_saveexec_b64 s[6:7], s[6:7]
	v_mov_b32_e32 v10, s10
	s_xor_b64 exec, exec, s[6:7]
	s_cbranch_execz .LBB8_1130
.LBB8_3180:
	v_mov_b32_e32 v10, 0
	v_cmp_ne_u16_sdwa s[8:9], v11, v10 src0_sel:BYTE_0 src1_sel:DWORD
	s_andn2_b64 s[4:5], s[4:5], exec
	s_and_b64 s[8:9], s[8:9], exec
	s_or_b64 s[4:5], s[4:5], s[8:9]
	s_or_b64 exec, exec, s[6:7]
	s_and_saveexec_b64 s[6:7], s[4:5]
	s_cbranch_execnz .LBB8_1131
	s_branch .LBB8_1132
.LBB8_3181:
	s_movk_i32 s4, 0x80
	v_cmp_eq_u16_sdwa s[12:13], v11, s4 src0_sel:BYTE_0 src1_sel:DWORD
	s_mov_b64 s[4:5], -1
                                        ; implicit-def: $sgpr10
	s_and_saveexec_b64 s[8:9], s[12:13]
; %bb.3182:
	s_mov_b32 s10, 0x7f800001
	s_xor_b64 s[4:5], exec, -1
; %bb.3183:
	s_or_b64 exec, exec, s[8:9]
	s_and_b64 s[4:5], s[4:5], exec
	s_or_saveexec_b64 s[6:7], s[6:7]
	v_mov_b32_e32 v12, s10
	s_xor_b64 exec, exec, s[6:7]
	s_cbranch_execz .LBB8_1134
.LBB8_3184:
	v_mov_b32_e32 v12, 0
	v_cmp_ne_u16_sdwa s[8:9], v11, v12 src0_sel:BYTE_0 src1_sel:DWORD
	s_andn2_b64 s[4:5], s[4:5], exec
	s_and_b64 s[8:9], s[8:9], exec
	s_or_b64 s[4:5], s[4:5], s[8:9]
	s_or_b64 exec, exec, s[6:7]
	s_and_saveexec_b64 s[6:7], s[4:5]
	s_cbranch_execnz .LBB8_1135
	s_branch .LBB8_1136
.LBB8_3185:
	s_movk_i32 s4, 0x80
	v_cmp_eq_u16_e32 vcc, s4, v11
	s_mov_b64 s[4:5], -1
                                        ; implicit-def: $sgpr10
	s_and_saveexec_b64 s[8:9], vcc
; %bb.3186:
	s_mov_b32 s10, 0x7f800001
	s_xor_b64 s[4:5], exec, -1
; %bb.3187:
	s_or_b64 exec, exec, s[8:9]
	s_and_b64 s[4:5], s[4:5], exec
                                        ; implicit-def: $vgpr11
	s_or_saveexec_b64 s[6:7], s[6:7]
	v_mov_b32_e32 v10, s10
	s_xor_b64 exec, exec, s[6:7]
	s_cbranch_execz .LBB8_1138
.LBB8_3188:
	v_cmp_ne_u16_e32 vcc, 0, v11
	s_andn2_b64 s[4:5], s[4:5], exec
	s_and_b64 s[8:9], vcc, exec
	v_mov_b32_e32 v10, 0
	s_or_b64 s[4:5], s[4:5], s[8:9]
	s_or_b64 exec, exec, s[6:7]
	s_and_saveexec_b64 s[6:7], s[4:5]
	s_cbranch_execnz .LBB8_1139
	s_branch .LBB8_1140
.LBB8_3189:
	s_movk_i32 s4, 0x80
	v_cmp_eq_u16_e32 vcc, s4, v11
	s_mov_b64 s[4:5], -1
                                        ; implicit-def: $sgpr10
	s_and_saveexec_b64 s[8:9], vcc
; %bb.3190:
	s_mov_b32 s10, 0x7f800001
	s_xor_b64 s[4:5], exec, -1
; %bb.3191:
	s_or_b64 exec, exec, s[8:9]
	s_and_b64 s[4:5], s[4:5], exec
                                        ; implicit-def: $vgpr11
	s_or_saveexec_b64 s[6:7], s[6:7]
	v_mov_b32_e32 v12, s10
	s_xor_b64 exec, exec, s[6:7]
	s_cbranch_execz .LBB8_1142
.LBB8_3192:
	v_cmp_ne_u16_e32 vcc, 0, v11
	s_andn2_b64 s[4:5], s[4:5], exec
	s_and_b64 s[8:9], vcc, exec
	v_mov_b32_e32 v12, 0
	s_or_b64 s[4:5], s[4:5], s[8:9]
	s_or_b64 exec, exec, s[6:7]
	s_and_saveexec_b64 s[6:7], s[4:5]
	s_cbranch_execnz .LBB8_1143
	s_branch .LBB8_1144
.LBB8_3193:
	s_movk_i32 s4, 0x80
	v_cmp_eq_u16_sdwa s[12:13], v17, s4 src0_sel:BYTE_3 src1_sel:DWORD
	s_mov_b64 s[4:5], -1
                                        ; implicit-def: $sgpr10
	s_and_saveexec_b64 s[8:9], s[12:13]
; %bb.3194:
	s_mov_b32 s10, 0x7f800001
	s_xor_b64 s[4:5], exec, -1
; %bb.3195:
	s_or_b64 exec, exec, s[8:9]
	s_and_b64 s[4:5], s[4:5], exec
	s_or_saveexec_b64 s[6:7], s[6:7]
	v_mov_b32_e32 v10, s10
	s_xor_b64 exec, exec, s[6:7]
	s_cbranch_execz .LBB8_1146
.LBB8_3196:
	v_mov_b32_e32 v10, 0
	v_cmp_ne_u16_sdwa s[8:9], v17, v10 src0_sel:BYTE_3 src1_sel:DWORD
	s_andn2_b64 s[4:5], s[4:5], exec
	s_and_b64 s[8:9], s[8:9], exec
	s_or_b64 s[4:5], s[4:5], s[8:9]
	s_or_b64 exec, exec, s[6:7]
	s_and_saveexec_b64 s[6:7], s[4:5]
	s_cbranch_execnz .LBB8_1147
	s_branch .LBB8_1148
.LBB8_3197:
	s_movk_i32 s4, 0x80
	v_cmp_eq_u16_sdwa s[12:13], v13, s4 src0_sel:BYTE_3 src1_sel:DWORD
	s_mov_b64 s[4:5], -1
                                        ; implicit-def: $sgpr10
	s_and_saveexec_b64 s[8:9], s[12:13]
; %bb.3198:
	s_mov_b32 s10, 0x7f800001
	s_xor_b64 s[4:5], exec, -1
; %bb.3199:
	s_or_b64 exec, exec, s[8:9]
	s_and_b64 s[4:5], s[4:5], exec
	s_or_saveexec_b64 s[6:7], s[6:7]
	v_mov_b32_e32 v11, s10
	s_xor_b64 exec, exec, s[6:7]
	s_cbranch_execz .LBB8_1150
.LBB8_3200:
	v_mov_b32_e32 v11, 0
	v_cmp_ne_u16_sdwa s[8:9], v13, v11 src0_sel:BYTE_3 src1_sel:DWORD
	s_andn2_b64 s[4:5], s[4:5], exec
	s_and_b64 s[8:9], s[8:9], exec
	s_or_b64 s[4:5], s[4:5], s[8:9]
	s_or_b64 exec, exec, s[6:7]
	s_and_saveexec_b64 s[6:7], s[4:5]
	s_cbranch_execnz .LBB8_1151
	s_branch .LBB8_1152
.LBB8_3201:
	s_movk_i32 s4, 0x80
	v_cmp_eq_u16_sdwa s[12:13], v6, s4 src0_sel:BYTE_0 src1_sel:DWORD
	s_mov_b64 s[4:5], -1
                                        ; implicit-def: $sgpr10
	s_and_saveexec_b64 s[8:9], s[12:13]
; %bb.3202:
	s_mov_b32 s10, 0x7f800001
	s_xor_b64 s[4:5], exec, -1
; %bb.3203:
	s_or_b64 exec, exec, s[8:9]
	s_and_b64 s[4:5], s[4:5], exec
	s_or_saveexec_b64 s[6:7], s[6:7]
	v_mov_b32_e32 v10, s10
	s_xor_b64 exec, exec, s[6:7]
	s_cbranch_execz .LBB8_1154
.LBB8_3204:
	v_mov_b32_e32 v10, 0
	v_cmp_ne_u16_sdwa s[8:9], v6, v10 src0_sel:BYTE_0 src1_sel:DWORD
	s_andn2_b64 s[4:5], s[4:5], exec
	s_and_b64 s[8:9], s[8:9], exec
	s_or_b64 s[4:5], s[4:5], s[8:9]
	s_or_b64 exec, exec, s[6:7]
	s_and_saveexec_b64 s[6:7], s[4:5]
	s_cbranch_execnz .LBB8_1155
	s_branch .LBB8_1156
.LBB8_3205:
	s_movk_i32 s4, 0x80
	v_cmp_eq_u16_sdwa s[12:13], v2, s4 src0_sel:BYTE_0 src1_sel:DWORD
	s_mov_b64 s[4:5], -1
                                        ; implicit-def: $sgpr10
	s_and_saveexec_b64 s[8:9], s[12:13]
; %bb.3206:
	s_mov_b32 s10, 0x7f800001
	s_xor_b64 s[4:5], exec, -1
; %bb.3207:
	s_or_b64 exec, exec, s[8:9]
	s_and_b64 s[4:5], s[4:5], exec
	s_or_saveexec_b64 s[6:7], s[6:7]
	v_mov_b32_e32 v11, s10
	s_xor_b64 exec, exec, s[6:7]
	s_cbranch_execz .LBB8_1158
.LBB8_3208:
	v_mov_b32_e32 v11, 0
	v_cmp_ne_u16_sdwa s[8:9], v2, v11 src0_sel:BYTE_0 src1_sel:DWORD
	s_andn2_b64 s[4:5], s[4:5], exec
	s_and_b64 s[8:9], s[8:9], exec
	s_or_b64 s[4:5], s[4:5], s[8:9]
	s_or_b64 exec, exec, s[6:7]
	s_and_saveexec_b64 s[6:7], s[4:5]
	s_cbranch_execnz .LBB8_1159
	s_branch .LBB8_1160
.LBB8_3209:
	s_movk_i32 s4, 0x80
	v_cmp_eq_u16_sdwa s[12:13], v11, s4 src0_sel:BYTE_0 src1_sel:DWORD
	s_mov_b64 s[4:5], -1
                                        ; implicit-def: $sgpr10
	s_and_saveexec_b64 s[8:9], s[12:13]
; %bb.3210:
	s_mov_b32 s10, 0x7f800001
	s_xor_b64 s[4:5], exec, -1
; %bb.3211:
	s_or_b64 exec, exec, s[8:9]
	s_and_b64 s[4:5], s[4:5], exec
	s_or_saveexec_b64 s[6:7], s[6:7]
	v_mov_b32_e32 v10, s10
	s_xor_b64 exec, exec, s[6:7]
	s_cbranch_execz .LBB8_1162
.LBB8_3212:
	v_mov_b32_e32 v10, 0
	v_cmp_ne_u16_sdwa s[8:9], v11, v10 src0_sel:BYTE_0 src1_sel:DWORD
	s_andn2_b64 s[4:5], s[4:5], exec
	s_and_b64 s[8:9], s[8:9], exec
	s_or_b64 s[4:5], s[4:5], s[8:9]
	s_or_b64 exec, exec, s[6:7]
	s_and_saveexec_b64 s[6:7], s[4:5]
	s_cbranch_execnz .LBB8_1163
	s_branch .LBB8_1164
.LBB8_3213:
	s_movk_i32 s4, 0x80
	v_cmp_eq_u16_sdwa s[12:13], v11, s4 src0_sel:BYTE_0 src1_sel:DWORD
	s_mov_b64 s[4:5], -1
                                        ; implicit-def: $sgpr10
	s_and_saveexec_b64 s[8:9], s[12:13]
; %bb.3214:
	s_mov_b32 s10, 0x7f800001
	s_xor_b64 s[4:5], exec, -1
; %bb.3215:
	s_or_b64 exec, exec, s[8:9]
	s_and_b64 s[4:5], s[4:5], exec
	s_or_saveexec_b64 s[6:7], s[6:7]
	v_mov_b32_e32 v12, s10
	s_xor_b64 exec, exec, s[6:7]
	s_cbranch_execz .LBB8_1166
.LBB8_3216:
	v_mov_b32_e32 v12, 0
	v_cmp_ne_u16_sdwa s[8:9], v11, v12 src0_sel:BYTE_0 src1_sel:DWORD
	s_andn2_b64 s[4:5], s[4:5], exec
	s_and_b64 s[8:9], s[8:9], exec
	s_or_b64 s[4:5], s[4:5], s[8:9]
	s_or_b64 exec, exec, s[6:7]
	s_and_saveexec_b64 s[6:7], s[4:5]
	s_cbranch_execnz .LBB8_1167
	s_branch .LBB8_1168
.LBB8_3217:
	s_movk_i32 s4, 0x80
	v_cmp_eq_u16_e32 vcc, s4, v11
	s_mov_b64 s[4:5], -1
                                        ; implicit-def: $sgpr10
	s_and_saveexec_b64 s[8:9], vcc
; %bb.3218:
	s_mov_b32 s10, 0x7f800001
	s_xor_b64 s[4:5], exec, -1
; %bb.3219:
	s_or_b64 exec, exec, s[8:9]
	s_and_b64 s[4:5], s[4:5], exec
                                        ; implicit-def: $vgpr11
	s_or_saveexec_b64 s[6:7], s[6:7]
	v_mov_b32_e32 v10, s10
	s_xor_b64 exec, exec, s[6:7]
	s_cbranch_execz .LBB8_1170
.LBB8_3220:
	v_cmp_ne_u16_e32 vcc, 0, v11
	s_andn2_b64 s[4:5], s[4:5], exec
	s_and_b64 s[8:9], vcc, exec
	v_mov_b32_e32 v10, 0
	s_or_b64 s[4:5], s[4:5], s[8:9]
	s_or_b64 exec, exec, s[6:7]
	s_and_saveexec_b64 s[6:7], s[4:5]
	s_cbranch_execnz .LBB8_1171
	s_branch .LBB8_1172
.LBB8_3221:
	s_movk_i32 s4, 0x80
	v_cmp_eq_u16_e32 vcc, s4, v11
	s_mov_b64 s[4:5], -1
                                        ; implicit-def: $sgpr10
	s_and_saveexec_b64 s[8:9], vcc
; %bb.3222:
	s_mov_b32 s10, 0x7f800001
	s_xor_b64 s[4:5], exec, -1
; %bb.3223:
	s_or_b64 exec, exec, s[8:9]
	s_and_b64 s[4:5], s[4:5], exec
                                        ; implicit-def: $vgpr11
	s_or_saveexec_b64 s[6:7], s[6:7]
	v_mov_b32_e32 v12, s10
	s_xor_b64 exec, exec, s[6:7]
	s_cbranch_execz .LBB8_1174
.LBB8_3224:
	v_cmp_ne_u16_e32 vcc, 0, v11
	s_andn2_b64 s[4:5], s[4:5], exec
	s_and_b64 s[8:9], vcc, exec
	v_mov_b32_e32 v12, 0
	s_or_b64 s[4:5], s[4:5], s[8:9]
	s_or_b64 exec, exec, s[6:7]
	s_and_saveexec_b64 s[6:7], s[4:5]
	s_cbranch_execnz .LBB8_1175
	s_branch .LBB8_1176
.LBB8_3225:
	s_movk_i32 s4, 0x80
	v_cmp_eq_u16_sdwa s[12:13], v6, s4 src0_sel:BYTE_3 src1_sel:DWORD
	s_mov_b64 s[4:5], -1
                                        ; implicit-def: $sgpr10
	s_and_saveexec_b64 s[8:9], s[12:13]
; %bb.3226:
	s_mov_b32 s10, 0x7f800001
	s_xor_b64 s[4:5], exec, -1
; %bb.3227:
	s_or_b64 exec, exec, s[8:9]
	s_and_b64 s[4:5], s[4:5], exec
	s_or_saveexec_b64 s[6:7], s[6:7]
	v_mov_b32_e32 v10, s10
	s_xor_b64 exec, exec, s[6:7]
	s_cbranch_execz .LBB8_1178
.LBB8_3228:
	v_mov_b32_e32 v10, 0
	v_cmp_ne_u16_sdwa s[8:9], v6, v10 src0_sel:BYTE_3 src1_sel:DWORD
	s_andn2_b64 s[4:5], s[4:5], exec
	s_and_b64 s[8:9], s[8:9], exec
	s_or_b64 s[4:5], s[4:5], s[8:9]
	s_or_b64 exec, exec, s[6:7]
	s_and_saveexec_b64 s[6:7], s[4:5]
	s_cbranch_execnz .LBB8_1179
	s_branch .LBB8_1180
.LBB8_3229:
	s_movk_i32 s4, 0x80
	v_cmp_eq_u16_sdwa s[12:13], v2, s4 src0_sel:BYTE_3 src1_sel:DWORD
	s_mov_b64 s[4:5], -1
                                        ; implicit-def: $sgpr10
	s_and_saveexec_b64 s[8:9], s[12:13]
; %bb.3230:
	s_mov_b32 s10, 0x7f800001
	s_xor_b64 s[4:5], exec, -1
; %bb.3231:
	s_or_b64 exec, exec, s[8:9]
	s_and_b64 s[4:5], s[4:5], exec
	s_or_saveexec_b64 s[6:7], s[6:7]
	v_mov_b32_e32 v6, s10
	s_xor_b64 exec, exec, s[6:7]
	s_cbranch_execz .LBB8_1182
.LBB8_3232:
	v_mov_b32_e32 v6, 0
	v_cmp_ne_u16_sdwa s[8:9], v2, v6 src0_sel:BYTE_3 src1_sel:DWORD
	s_andn2_b64 s[4:5], s[4:5], exec
	s_and_b64 s[8:9], s[8:9], exec
	s_or_b64 s[4:5], s[4:5], s[8:9]
	s_or_b64 exec, exec, s[6:7]
	s_and_saveexec_b64 s[6:7], s[4:5]
	s_cbranch_execnz .LBB8_1183
	s_branch .LBB8_1184
.LBB8_3233:
	s_movk_i32 s4, 0x80
	v_cmp_eq_u16_sdwa s[12:13], v7, s4 src0_sel:BYTE_0 src1_sel:DWORD
	s_mov_b64 s[4:5], -1
                                        ; implicit-def: $sgpr10
	s_and_saveexec_b64 s[8:9], s[12:13]
; %bb.3234:
	s_mov_b32 s10, 0x7f800001
	s_xor_b64 s[4:5], exec, -1
; %bb.3235:
	s_or_b64 exec, exec, s[8:9]
	s_and_b64 s[4:5], s[4:5], exec
	s_or_saveexec_b64 s[6:7], s[6:7]
	v_mov_b32_e32 v2, s10
	s_xor_b64 exec, exec, s[6:7]
	s_cbranch_execz .LBB8_1186
.LBB8_3236:
	v_mov_b32_e32 v2, 0
	v_cmp_ne_u16_sdwa s[8:9], v7, v2 src0_sel:BYTE_0 src1_sel:DWORD
	s_andn2_b64 s[4:5], s[4:5], exec
	s_and_b64 s[8:9], s[8:9], exec
	s_or_b64 s[4:5], s[4:5], s[8:9]
	s_or_b64 exec, exec, s[6:7]
	s_and_saveexec_b64 s[6:7], s[4:5]
	s_cbranch_execnz .LBB8_1187
	s_branch .LBB8_1188
.LBB8_3237:
	s_movk_i32 s4, 0x80
	v_cmp_eq_u16_sdwa s[12:13], v3, s4 src0_sel:BYTE_0 src1_sel:DWORD
	s_mov_b64 s[4:5], -1
                                        ; implicit-def: $sgpr10
	s_and_saveexec_b64 s[8:9], s[12:13]
; %bb.3238:
	s_mov_b32 s10, 0x7f800001
	s_xor_b64 s[4:5], exec, -1
; %bb.3239:
	s_or_b64 exec, exec, s[8:9]
	s_and_b64 s[4:5], s[4:5], exec
	s_or_saveexec_b64 s[6:7], s[6:7]
	v_mov_b32_e32 v6, s10
	s_xor_b64 exec, exec, s[6:7]
	s_cbranch_execz .LBB8_1190
.LBB8_3240:
	v_mov_b32_e32 v6, 0
	v_cmp_ne_u16_sdwa s[8:9], v3, v6 src0_sel:BYTE_0 src1_sel:DWORD
	s_andn2_b64 s[4:5], s[4:5], exec
	s_and_b64 s[8:9], s[8:9], exec
	s_or_b64 s[4:5], s[4:5], s[8:9]
	s_or_b64 exec, exec, s[6:7]
	s_and_saveexec_b64 s[6:7], s[4:5]
	s_cbranch_execnz .LBB8_1191
	s_branch .LBB8_1192
.LBB8_3241:
	s_movk_i32 s4, 0x80
	v_cmp_eq_u16_sdwa s[12:13], v6, s4 src0_sel:BYTE_0 src1_sel:DWORD
	s_mov_b64 s[4:5], -1
                                        ; implicit-def: $sgpr10
	s_and_saveexec_b64 s[8:9], s[12:13]
; %bb.3242:
	s_mov_b32 s10, 0x7f800001
	s_xor_b64 s[4:5], exec, -1
; %bb.3243:
	s_or_b64 exec, exec, s[8:9]
	s_and_b64 s[4:5], s[4:5], exec
	s_or_saveexec_b64 s[6:7], s[6:7]
	v_mov_b32_e32 v2, s10
	s_xor_b64 exec, exec, s[6:7]
	s_cbranch_execz .LBB8_1194
.LBB8_3244:
	v_mov_b32_e32 v2, 0
	v_cmp_ne_u16_sdwa s[8:9], v6, v2 src0_sel:BYTE_0 src1_sel:DWORD
	s_andn2_b64 s[4:5], s[4:5], exec
	s_and_b64 s[8:9], s[8:9], exec
	s_or_b64 s[4:5], s[4:5], s[8:9]
	s_or_b64 exec, exec, s[6:7]
	s_and_saveexec_b64 s[6:7], s[4:5]
	s_cbranch_execnz .LBB8_1195
	s_branch .LBB8_1196
.LBB8_3245:
	s_movk_i32 s4, 0x80
	v_cmp_eq_u16_sdwa s[12:13], v6, s4 src0_sel:BYTE_0 src1_sel:DWORD
	s_mov_b64 s[4:5], -1
                                        ; implicit-def: $sgpr10
	s_and_saveexec_b64 s[8:9], s[12:13]
; %bb.3246:
	s_mov_b32 s10, 0x7f800001
	s_xor_b64 s[4:5], exec, -1
; %bb.3247:
	s_or_b64 exec, exec, s[8:9]
	s_and_b64 s[4:5], s[4:5], exec
	s_or_saveexec_b64 s[6:7], s[6:7]
	v_mov_b32_e32 v10, s10
	s_xor_b64 exec, exec, s[6:7]
	s_cbranch_execz .LBB8_1198
.LBB8_3248:
	v_mov_b32_e32 v10, 0
	v_cmp_ne_u16_sdwa s[8:9], v6, v10 src0_sel:BYTE_0 src1_sel:DWORD
	s_andn2_b64 s[4:5], s[4:5], exec
	s_and_b64 s[8:9], s[8:9], exec
	s_or_b64 s[4:5], s[4:5], s[8:9]
	s_or_b64 exec, exec, s[6:7]
	s_and_saveexec_b64 s[6:7], s[4:5]
	s_cbranch_execnz .LBB8_1199
	s_branch .LBB8_1200
.LBB8_3249:
	s_movk_i32 s4, 0x80
	v_cmp_eq_u16_e32 vcc, s4, v6
	s_mov_b64 s[4:5], -1
                                        ; implicit-def: $sgpr10
	s_and_saveexec_b64 s[8:9], vcc
; %bb.3250:
	s_mov_b32 s10, 0x7f800001
	s_xor_b64 s[4:5], exec, -1
; %bb.3251:
	s_or_b64 exec, exec, s[8:9]
	s_and_b64 s[4:5], s[4:5], exec
                                        ; implicit-def: $vgpr6
	s_or_saveexec_b64 s[6:7], s[6:7]
	v_mov_b32_e32 v2, s10
	s_xor_b64 exec, exec, s[6:7]
	s_cbranch_execz .LBB8_1202
.LBB8_3252:
	v_cmp_ne_u16_e32 vcc, 0, v6
	s_andn2_b64 s[4:5], s[4:5], exec
	s_and_b64 s[8:9], vcc, exec
	v_mov_b32_e32 v2, 0
	s_or_b64 s[4:5], s[4:5], s[8:9]
	s_or_b64 exec, exec, s[6:7]
	s_and_saveexec_b64 s[6:7], s[4:5]
	s_cbranch_execnz .LBB8_1203
	s_branch .LBB8_1204
.LBB8_3253:
	s_movk_i32 s4, 0x80
	v_cmp_eq_u16_e32 vcc, s4, v6
	s_mov_b64 s[4:5], -1
                                        ; implicit-def: $sgpr10
	s_and_saveexec_b64 s[8:9], vcc
; %bb.3254:
	s_mov_b32 s10, 0x7f800001
	s_xor_b64 s[4:5], exec, -1
; %bb.3255:
	s_or_b64 exec, exec, s[8:9]
	s_and_b64 s[4:5], s[4:5], exec
                                        ; implicit-def: $vgpr6
	s_or_saveexec_b64 s[6:7], s[6:7]
	v_mov_b32_e32 v10, s10
	s_xor_b64 exec, exec, s[6:7]
	s_cbranch_execz .LBB8_1206
.LBB8_3256:
	v_cmp_ne_u16_e32 vcc, 0, v6
	s_andn2_b64 s[4:5], s[4:5], exec
	s_and_b64 s[8:9], vcc, exec
	v_mov_b32_e32 v10, 0
	s_or_b64 s[4:5], s[4:5], s[8:9]
	s_or_b64 exec, exec, s[6:7]
	s_and_saveexec_b64 s[6:7], s[4:5]
	s_cbranch_execnz .LBB8_1207
	s_branch .LBB8_1208
.LBB8_3257:
	s_movk_i32 s4, 0x80
	v_cmp_eq_u16_sdwa s[12:13], v7, s4 src0_sel:BYTE_3 src1_sel:DWORD
	s_mov_b64 s[4:5], -1
                                        ; implicit-def: $sgpr10
	s_and_saveexec_b64 s[8:9], s[12:13]
; %bb.3258:
	s_mov_b32 s10, 0x7f800001
	s_xor_b64 s[4:5], exec, -1
; %bb.3259:
	s_or_b64 exec, exec, s[8:9]
	s_and_b64 s[4:5], s[4:5], exec
	s_or_saveexec_b64 s[6:7], s[6:7]
	v_mov_b32_e32 v2, s10
	s_xor_b64 exec, exec, s[6:7]
	s_cbranch_execz .LBB8_1210
.LBB8_3260:
	v_mov_b32_e32 v2, 0
	v_cmp_ne_u16_sdwa s[8:9], v7, v2 src0_sel:BYTE_3 src1_sel:DWORD
	s_andn2_b64 s[4:5], s[4:5], exec
	s_and_b64 s[8:9], s[8:9], exec
	s_or_b64 s[4:5], s[4:5], s[8:9]
	s_or_b64 exec, exec, s[6:7]
	s_and_saveexec_b64 s[6:7], s[4:5]
	s_cbranch_execnz .LBB8_1211
	s_branch .LBB8_1212
.LBB8_3261:
	s_movk_i32 s4, 0x80
	v_cmp_eq_u16_sdwa s[12:13], v3, s4 src0_sel:BYTE_3 src1_sel:DWORD
	s_mov_b64 s[4:5], -1
                                        ; implicit-def: $sgpr10
	s_and_saveexec_b64 s[8:9], s[12:13]
; %bb.3262:
	s_mov_b32 s10, 0x7f800001
	s_xor_b64 s[4:5], exec, -1
; %bb.3263:
	s_or_b64 exec, exec, s[8:9]
	s_and_b64 s[4:5], s[4:5], exec
	s_or_saveexec_b64 s[6:7], s[6:7]
	v_mov_b32_e32 v6, s10
	s_xor_b64 exec, exec, s[6:7]
	s_cbranch_execz .LBB8_1214
.LBB8_3264:
	v_mov_b32_e32 v6, 0
	v_cmp_ne_u16_sdwa s[8:9], v3, v6 src0_sel:BYTE_3 src1_sel:DWORD
	s_andn2_b64 s[4:5], s[4:5], exec
	s_and_b64 s[8:9], s[8:9], exec
	s_or_b64 s[4:5], s[4:5], s[8:9]
	s_or_b64 exec, exec, s[6:7]
	s_and_saveexec_b64 s[6:7], s[4:5]
	s_cbranch_execnz .LBB8_1215
	s_branch .LBB8_1216
.LBB8_3265:
	s_movk_i32 s4, 0x80
	v_cmp_eq_u16_sdwa s[12:13], v8, s4 src0_sel:BYTE_0 src1_sel:DWORD
	s_mov_b64 s[4:5], -1
                                        ; implicit-def: $sgpr10
	s_and_saveexec_b64 s[8:9], s[12:13]
; %bb.3266:
	s_mov_b32 s10, 0x7f800001
	s_xor_b64 s[4:5], exec, -1
; %bb.3267:
	s_or_b64 exec, exec, s[8:9]
	s_and_b64 s[4:5], s[4:5], exec
	s_or_saveexec_b64 s[6:7], s[6:7]
	v_mov_b32_e32 v2, s10
	s_xor_b64 exec, exec, s[6:7]
	s_cbranch_execz .LBB8_1218
.LBB8_3268:
	v_mov_b32_e32 v2, 0
	v_cmp_ne_u16_sdwa s[8:9], v8, v2 src0_sel:BYTE_0 src1_sel:DWORD
	s_andn2_b64 s[4:5], s[4:5], exec
	s_and_b64 s[8:9], s[8:9], exec
	s_or_b64 s[4:5], s[4:5], s[8:9]
	s_or_b64 exec, exec, s[6:7]
	s_and_saveexec_b64 s[6:7], s[4:5]
	s_cbranch_execnz .LBB8_1219
	s_branch .LBB8_1220
.LBB8_3269:
	s_movk_i32 s4, 0x80
	v_cmp_eq_u16_sdwa s[12:13], v4, s4 src0_sel:BYTE_0 src1_sel:DWORD
	s_mov_b64 s[4:5], -1
                                        ; implicit-def: $sgpr10
	s_and_saveexec_b64 s[8:9], s[12:13]
; %bb.3270:
	s_mov_b32 s10, 0x7f800001
	s_xor_b64 s[4:5], exec, -1
; %bb.3271:
	s_or_b64 exec, exec, s[8:9]
	s_and_b64 s[4:5], s[4:5], exec
	s_or_saveexec_b64 s[6:7], s[6:7]
	v_mov_b32_e32 v3, s10
	s_xor_b64 exec, exec, s[6:7]
	s_cbranch_execz .LBB8_1222
.LBB8_3272:
	v_mov_b32_e32 v3, 0
	v_cmp_ne_u16_sdwa s[8:9], v4, v3 src0_sel:BYTE_0 src1_sel:DWORD
	s_andn2_b64 s[4:5], s[4:5], exec
	s_and_b64 s[8:9], s[8:9], exec
	s_or_b64 s[4:5], s[4:5], s[8:9]
	s_or_b64 exec, exec, s[6:7]
	s_and_saveexec_b64 s[6:7], s[4:5]
	s_cbranch_execnz .LBB8_1223
	s_branch .LBB8_1224
.LBB8_3273:
	s_movk_i32 s4, 0x80
	v_cmp_eq_u16_sdwa s[12:13], v3, s4 src0_sel:BYTE_0 src1_sel:DWORD
	s_mov_b64 s[4:5], -1
                                        ; implicit-def: $sgpr10
	s_and_saveexec_b64 s[8:9], s[12:13]
; %bb.3274:
	s_mov_b32 s10, 0x7f800001
	s_xor_b64 s[4:5], exec, -1
; %bb.3275:
	s_or_b64 exec, exec, s[8:9]
	s_and_b64 s[4:5], s[4:5], exec
	s_or_saveexec_b64 s[6:7], s[6:7]
	v_mov_b32_e32 v2, s10
	s_xor_b64 exec, exec, s[6:7]
	s_cbranch_execz .LBB8_1226
.LBB8_3276:
	v_mov_b32_e32 v2, 0
	v_cmp_ne_u16_sdwa s[8:9], v3, v2 src0_sel:BYTE_0 src1_sel:DWORD
	s_andn2_b64 s[4:5], s[4:5], exec
	s_and_b64 s[8:9], s[8:9], exec
	s_or_b64 s[4:5], s[4:5], s[8:9]
	s_or_b64 exec, exec, s[6:7]
	s_and_saveexec_b64 s[6:7], s[4:5]
	s_cbranch_execnz .LBB8_1227
	s_branch .LBB8_1228
.LBB8_3277:
	s_movk_i32 s4, 0x80
	v_cmp_eq_u16_sdwa s[12:13], v3, s4 src0_sel:BYTE_0 src1_sel:DWORD
	s_mov_b64 s[4:5], -1
                                        ; implicit-def: $sgpr10
	s_and_saveexec_b64 s[8:9], s[12:13]
; %bb.3278:
	s_mov_b32 s10, 0x7f800001
	s_xor_b64 s[4:5], exec, -1
; %bb.3279:
	s_or_b64 exec, exec, s[8:9]
	s_and_b64 s[4:5], s[4:5], exec
	s_or_saveexec_b64 s[6:7], s[6:7]
	v_mov_b32_e32 v6, s10
	s_xor_b64 exec, exec, s[6:7]
	s_cbranch_execz .LBB8_1230
.LBB8_3280:
	v_mov_b32_e32 v6, 0
	v_cmp_ne_u16_sdwa s[8:9], v3, v6 src0_sel:BYTE_0 src1_sel:DWORD
	s_andn2_b64 s[4:5], s[4:5], exec
	s_and_b64 s[8:9], s[8:9], exec
	s_or_b64 s[4:5], s[4:5], s[8:9]
	s_or_b64 exec, exec, s[6:7]
	s_and_saveexec_b64 s[6:7], s[4:5]
	s_cbranch_execnz .LBB8_1231
	s_branch .LBB8_1232
.LBB8_3281:
	s_movk_i32 s4, 0x80
	v_cmp_eq_u16_e32 vcc, s4, v3
	s_mov_b64 s[4:5], -1
                                        ; implicit-def: $sgpr10
	s_and_saveexec_b64 s[8:9], vcc
; %bb.3282:
	s_mov_b32 s10, 0x7f800001
	s_xor_b64 s[4:5], exec, -1
; %bb.3283:
	s_or_b64 exec, exec, s[8:9]
	s_and_b64 s[4:5], s[4:5], exec
                                        ; implicit-def: $vgpr3
	s_or_saveexec_b64 s[6:7], s[6:7]
	v_mov_b32_e32 v2, s10
	s_xor_b64 exec, exec, s[6:7]
	s_cbranch_execz .LBB8_1234
.LBB8_3284:
	v_cmp_ne_u16_e32 vcc, 0, v3
	s_andn2_b64 s[4:5], s[4:5], exec
	s_and_b64 s[8:9], vcc, exec
	v_mov_b32_e32 v2, 0
	s_or_b64 s[4:5], s[4:5], s[8:9]
	s_or_b64 exec, exec, s[6:7]
	s_and_saveexec_b64 s[6:7], s[4:5]
	s_cbranch_execnz .LBB8_1235
	s_branch .LBB8_1236
.LBB8_3285:
	s_movk_i32 s4, 0x80
	v_cmp_eq_u16_e32 vcc, s4, v3
	s_mov_b64 s[4:5], -1
                                        ; implicit-def: $sgpr10
	s_and_saveexec_b64 s[8:9], vcc
; %bb.3286:
	s_mov_b32 s10, 0x7f800001
	s_xor_b64 s[4:5], exec, -1
; %bb.3287:
	s_or_b64 exec, exec, s[8:9]
	s_and_b64 s[4:5], s[4:5], exec
                                        ; implicit-def: $vgpr3
	s_or_saveexec_b64 s[6:7], s[6:7]
	v_mov_b32_e32 v6, s10
	s_xor_b64 exec, exec, s[6:7]
	s_cbranch_execz .LBB8_1238
.LBB8_3288:
	v_cmp_ne_u16_e32 vcc, 0, v3
	s_andn2_b64 s[4:5], s[4:5], exec
	s_and_b64 s[8:9], vcc, exec
	v_mov_b32_e32 v6, 0
	s_or_b64 s[4:5], s[4:5], s[8:9]
	s_or_b64 exec, exec, s[6:7]
	s_and_saveexec_b64 s[6:7], s[4:5]
	s_cbranch_execnz .LBB8_1239
	s_branch .LBB8_1240
.LBB8_3289:
	s_movk_i32 s4, 0x80
	v_cmp_eq_u16_sdwa s[12:13], v8, s4 src0_sel:BYTE_3 src1_sel:DWORD
	s_mov_b64 s[4:5], -1
                                        ; implicit-def: $sgpr10
	s_and_saveexec_b64 s[8:9], s[12:13]
; %bb.3290:
	s_mov_b32 s10, 0x7f800001
	s_xor_b64 s[4:5], exec, -1
; %bb.3291:
	s_or_b64 exec, exec, s[8:9]
	s_and_b64 s[4:5], s[4:5], exec
	s_or_saveexec_b64 s[6:7], s[6:7]
	v_mov_b32_e32 v2, s10
	s_xor_b64 exec, exec, s[6:7]
	s_cbranch_execz .LBB8_1242
.LBB8_3292:
	v_mov_b32_e32 v2, 0
	v_cmp_ne_u16_sdwa s[8:9], v8, v2 src0_sel:BYTE_3 src1_sel:DWORD
	s_andn2_b64 s[4:5], s[4:5], exec
	s_and_b64 s[8:9], s[8:9], exec
	s_or_b64 s[4:5], s[4:5], s[8:9]
	s_or_b64 exec, exec, s[6:7]
	s_and_saveexec_b64 s[6:7], s[4:5]
	s_cbranch_execnz .LBB8_1243
	s_branch .LBB8_1244
.LBB8_3293:
	s_movk_i32 s4, 0x80
	v_cmp_eq_u16_sdwa s[12:13], v4, s4 src0_sel:BYTE_3 src1_sel:DWORD
	s_mov_b64 s[4:5], -1
                                        ; implicit-def: $sgpr10
	s_and_saveexec_b64 s[8:9], s[12:13]
; %bb.3294:
	s_mov_b32 s10, 0x7f800001
	s_xor_b64 s[4:5], exec, -1
; %bb.3295:
	s_or_b64 exec, exec, s[8:9]
	s_and_b64 s[4:5], s[4:5], exec
	s_or_saveexec_b64 s[6:7], s[6:7]
	v_mov_b32_e32 v3, s10
	s_xor_b64 exec, exec, s[6:7]
	s_cbranch_execz .LBB8_1246
.LBB8_3296:
	v_mov_b32_e32 v3, 0
	v_cmp_ne_u16_sdwa s[8:9], v4, v3 src0_sel:BYTE_3 src1_sel:DWORD
	s_andn2_b64 s[4:5], s[4:5], exec
	s_and_b64 s[8:9], s[8:9], exec
	s_or_b64 s[4:5], s[4:5], s[8:9]
	s_or_b64 exec, exec, s[6:7]
	s_and_saveexec_b64 s[6:7], s[4:5]
	s_cbranch_execnz .LBB8_1247
	s_branch .LBB8_1248
.LBB8_3297:
	s_movk_i32 s4, 0x80
	v_cmp_eq_u16_sdwa s[12:13], v9, s4 src0_sel:BYTE_0 src1_sel:DWORD
	s_mov_b64 s[4:5], -1
                                        ; implicit-def: $sgpr10
	s_and_saveexec_b64 s[8:9], s[12:13]
; %bb.3298:
	s_mov_b32 s10, 0x7f800001
	s_xor_b64 s[4:5], exec, -1
; %bb.3299:
	s_or_b64 exec, exec, s[8:9]
	s_and_b64 s[4:5], s[4:5], exec
	s_or_saveexec_b64 s[6:7], s[6:7]
	v_mov_b32_e32 v2, s10
	s_xor_b64 exec, exec, s[6:7]
	s_cbranch_execz .LBB8_1250
.LBB8_3300:
	v_mov_b32_e32 v2, 0
	v_cmp_ne_u16_sdwa s[8:9], v9, v2 src0_sel:BYTE_0 src1_sel:DWORD
	s_andn2_b64 s[4:5], s[4:5], exec
	s_and_b64 s[8:9], s[8:9], exec
	s_or_b64 s[4:5], s[4:5], s[8:9]
	s_or_b64 exec, exec, s[6:7]
	s_and_saveexec_b64 s[6:7], s[4:5]
	s_cbranch_execnz .LBB8_1251
	s_branch .LBB8_1252
.LBB8_3301:
	s_movk_i32 s4, 0x80
	v_cmp_eq_u16_sdwa s[12:13], v5, s4 src0_sel:BYTE_0 src1_sel:DWORD
	s_mov_b64 s[4:5], -1
                                        ; implicit-def: $sgpr10
	s_and_saveexec_b64 s[8:9], s[12:13]
; %bb.3302:
	s_mov_b32 s10, 0x7f800001
	s_xor_b64 s[4:5], exec, -1
; %bb.3303:
	s_or_b64 exec, exec, s[8:9]
	s_and_b64 s[4:5], s[4:5], exec
	s_or_saveexec_b64 s[6:7], s[6:7]
	v_mov_b32_e32 v3, s10
	s_xor_b64 exec, exec, s[6:7]
	s_cbranch_execz .LBB8_1254
.LBB8_3304:
	v_mov_b32_e32 v3, 0
	v_cmp_ne_u16_sdwa s[8:9], v5, v3 src0_sel:BYTE_0 src1_sel:DWORD
	s_andn2_b64 s[4:5], s[4:5], exec
	s_and_b64 s[8:9], s[8:9], exec
	s_or_b64 s[4:5], s[4:5], s[8:9]
	s_or_b64 exec, exec, s[6:7]
	s_and_saveexec_b64 s[6:7], s[4:5]
	s_cbranch_execnz .LBB8_1255
	s_branch .LBB8_1256
.LBB8_3305:
	s_movk_i32 s4, 0x80
	v_cmp_eq_u16_sdwa s[12:13], v3, s4 src0_sel:BYTE_0 src1_sel:DWORD
	s_mov_b64 s[4:5], -1
                                        ; implicit-def: $sgpr10
	s_and_saveexec_b64 s[8:9], s[12:13]
; %bb.3306:
	s_mov_b32 s10, 0x7f800001
	s_xor_b64 s[4:5], exec, -1
; %bb.3307:
	s_or_b64 exec, exec, s[8:9]
	s_and_b64 s[4:5], s[4:5], exec
	s_or_saveexec_b64 s[6:7], s[6:7]
	v_mov_b32_e32 v2, s10
	s_xor_b64 exec, exec, s[6:7]
	s_cbranch_execz .LBB8_1258
.LBB8_3308:
	v_mov_b32_e32 v2, 0
	v_cmp_ne_u16_sdwa s[8:9], v3, v2 src0_sel:BYTE_0 src1_sel:DWORD
	s_andn2_b64 s[4:5], s[4:5], exec
	s_and_b64 s[8:9], s[8:9], exec
	s_or_b64 s[4:5], s[4:5], s[8:9]
	s_or_b64 exec, exec, s[6:7]
	s_and_saveexec_b64 s[6:7], s[4:5]
	s_cbranch_execnz .LBB8_1259
	s_branch .LBB8_1260
.LBB8_3309:
	s_movk_i32 s4, 0x80
	v_cmp_eq_u16_sdwa s[12:13], v3, s4 src0_sel:BYTE_0 src1_sel:DWORD
	s_mov_b64 s[4:5], -1
                                        ; implicit-def: $sgpr10
	s_and_saveexec_b64 s[8:9], s[12:13]
; %bb.3310:
	s_mov_b32 s10, 0x7f800001
	s_xor_b64 s[4:5], exec, -1
; %bb.3311:
	s_or_b64 exec, exec, s[8:9]
	s_and_b64 s[4:5], s[4:5], exec
	s_or_saveexec_b64 s[6:7], s[6:7]
	v_mov_b32_e32 v4, s10
	s_xor_b64 exec, exec, s[6:7]
	s_cbranch_execz .LBB8_1262
.LBB8_3312:
	v_mov_b32_e32 v4, 0
	v_cmp_ne_u16_sdwa s[8:9], v3, v4 src0_sel:BYTE_0 src1_sel:DWORD
	s_andn2_b64 s[4:5], s[4:5], exec
	s_and_b64 s[8:9], s[8:9], exec
	s_or_b64 s[4:5], s[4:5], s[8:9]
	s_or_b64 exec, exec, s[6:7]
	s_and_saveexec_b64 s[6:7], s[4:5]
	s_cbranch_execnz .LBB8_1263
	s_branch .LBB8_1264
.LBB8_3313:
	s_movk_i32 s4, 0x80
	v_cmp_eq_u16_e32 vcc, s4, v3
	s_mov_b64 s[4:5], -1
                                        ; implicit-def: $sgpr10
	s_and_saveexec_b64 s[8:9], vcc
; %bb.3314:
	s_mov_b32 s10, 0x7f800001
	s_xor_b64 s[4:5], exec, -1
; %bb.3315:
	s_or_b64 exec, exec, s[8:9]
	s_and_b64 s[4:5], s[4:5], exec
                                        ; implicit-def: $vgpr3
	s_or_saveexec_b64 s[6:7], s[6:7]
	v_mov_b32_e32 v2, s10
	s_xor_b64 exec, exec, s[6:7]
	s_cbranch_execz .LBB8_1266
.LBB8_3316:
	v_cmp_ne_u16_e32 vcc, 0, v3
	s_andn2_b64 s[4:5], s[4:5], exec
	s_and_b64 s[8:9], vcc, exec
	v_mov_b32_e32 v2, 0
	s_or_b64 s[4:5], s[4:5], s[8:9]
	s_or_b64 exec, exec, s[6:7]
	s_and_saveexec_b64 s[6:7], s[4:5]
	s_cbranch_execnz .LBB8_1267
	s_branch .LBB8_1268
.LBB8_3317:
	s_movk_i32 s4, 0x80
	v_cmp_eq_u16_e32 vcc, s4, v3
	s_mov_b64 s[4:5], -1
                                        ; implicit-def: $sgpr10
	s_and_saveexec_b64 s[8:9], vcc
; %bb.3318:
	s_mov_b32 s10, 0x7f800001
	s_xor_b64 s[4:5], exec, -1
; %bb.3319:
	s_or_b64 exec, exec, s[8:9]
	s_and_b64 s[4:5], s[4:5], exec
                                        ; implicit-def: $vgpr3
	s_or_saveexec_b64 s[6:7], s[6:7]
	v_mov_b32_e32 v4, s10
	s_xor_b64 exec, exec, s[6:7]
	s_cbranch_execz .LBB8_1270
.LBB8_3320:
	v_cmp_ne_u16_e32 vcc, 0, v3
	s_andn2_b64 s[4:5], s[4:5], exec
	s_and_b64 s[8:9], vcc, exec
	v_mov_b32_e32 v4, 0
	s_or_b64 s[4:5], s[4:5], s[8:9]
	s_or_b64 exec, exec, s[6:7]
	s_and_saveexec_b64 s[6:7], s[4:5]
	s_cbranch_execnz .LBB8_1271
	s_branch .LBB8_1272
.LBB8_3321:
	s_movk_i32 s4, 0x80
	v_cmp_eq_u16_sdwa s[12:13], v9, s4 src0_sel:BYTE_3 src1_sel:DWORD
	s_mov_b64 s[4:5], -1
                                        ; implicit-def: $sgpr10
	s_and_saveexec_b64 s[8:9], s[12:13]
; %bb.3322:
	s_mov_b32 s10, 0x7f800001
	s_xor_b64 s[4:5], exec, -1
; %bb.3323:
	s_or_b64 exec, exec, s[8:9]
	s_and_b64 s[4:5], s[4:5], exec
	s_or_saveexec_b64 s[6:7], s[6:7]
	v_mov_b32_e32 v2, s10
	s_xor_b64 exec, exec, s[6:7]
	s_cbranch_execz .LBB8_1274
.LBB8_3324:
	v_mov_b32_e32 v2, 0
	v_cmp_ne_u16_sdwa s[8:9], v9, v2 src0_sel:BYTE_3 src1_sel:DWORD
	s_andn2_b64 s[4:5], s[4:5], exec
	s_and_b64 s[8:9], s[8:9], exec
	s_or_b64 s[4:5], s[4:5], s[8:9]
	s_or_b64 exec, exec, s[6:7]
	s_and_saveexec_b64 s[6:7], s[4:5]
	s_cbranch_execnz .LBB8_1275
	s_branch .LBB8_1276
.LBB8_3325:
	s_movk_i32 s4, 0x80
	v_cmp_eq_u16_sdwa s[12:13], v5, s4 src0_sel:BYTE_3 src1_sel:DWORD
	s_mov_b64 s[4:5], -1
                                        ; implicit-def: $sgpr10
	s_and_saveexec_b64 s[8:9], s[12:13]
; %bb.3326:
	s_mov_b32 s10, 0x7f800001
	s_xor_b64 s[4:5], exec, -1
; %bb.3327:
	s_or_b64 exec, exec, s[8:9]
	s_and_b64 s[4:5], s[4:5], exec
	s_or_saveexec_b64 s[6:7], s[6:7]
	v_mov_b32_e32 v3, s10
	s_xor_b64 exec, exec, s[6:7]
	s_cbranch_execz .LBB8_1278
.LBB8_3328:
	v_mov_b32_e32 v3, 0
	v_cmp_ne_u16_sdwa s[8:9], v5, v3 src0_sel:BYTE_3 src1_sel:DWORD
	s_andn2_b64 s[4:5], s[4:5], exec
	s_and_b64 s[8:9], s[8:9], exec
	s_or_b64 s[4:5], s[4:5], s[8:9]
	s_or_b64 exec, exec, s[6:7]
	s_and_saveexec_b64 s[6:7], s[4:5]
	s_cbranch_execnz .LBB8_1279
	s_branch .LBB8_1280
.LBB8_3329:
	s_movk_i32 s4, 0x80
	v_cmp_eq_u16_sdwa s[12:13], v14, s4 src0_sel:BYTE_0 src1_sel:DWORD
	s_mov_b64 s[4:5], -1
                                        ; implicit-def: $sgpr10
	s_and_saveexec_b64 s[8:9], s[12:13]
; %bb.3330:
	s_mov_b32 s10, 0x7f800001
	s_xor_b64 s[4:5], exec, -1
; %bb.3331:
	s_or_b64 exec, exec, s[8:9]
	s_and_b64 s[4:5], s[4:5], exec
	s_or_saveexec_b64 s[6:7], s[6:7]
	v_mov_b32_e32 v20, s10
	s_xor_b64 exec, exec, s[6:7]
	s_cbranch_execz .LBB8_1282
.LBB8_3332:
	v_mov_b32_e32 v20, 0
	v_cmp_ne_u16_sdwa s[8:9], v14, v20 src0_sel:BYTE_0 src1_sel:DWORD
	s_andn2_b64 s[4:5], s[4:5], exec
	s_and_b64 s[8:9], s[8:9], exec
	s_or_b64 s[4:5], s[4:5], s[8:9]
	s_or_b64 exec, exec, s[6:7]
	s_and_saveexec_b64 s[6:7], s[4:5]
	s_cbranch_execnz .LBB8_1283
	s_branch .LBB8_1284
.LBB8_3333:
	s_movk_i32 s4, 0x80
	v_cmp_eq_u16_sdwa s[12:13], v10, s4 src0_sel:BYTE_0 src1_sel:DWORD
	s_mov_b64 s[4:5], -1
                                        ; implicit-def: $sgpr10
	s_and_saveexec_b64 s[8:9], s[12:13]
; %bb.3334:
	s_mov_b32 s10, 0x7f800001
	s_xor_b64 s[4:5], exec, -1
; %bb.3335:
	s_or_b64 exec, exec, s[8:9]
	s_and_b64 s[4:5], s[4:5], exec
	s_or_saveexec_b64 s[6:7], s[6:7]
	v_mov_b32_e32 v21, s10
	s_xor_b64 exec, exec, s[6:7]
	s_cbranch_execz .LBB8_1286
.LBB8_3336:
	v_mov_b32_e32 v21, 0
	v_cmp_ne_u16_sdwa s[8:9], v10, v21 src0_sel:BYTE_0 src1_sel:DWORD
	s_andn2_b64 s[4:5], s[4:5], exec
	s_and_b64 s[8:9], s[8:9], exec
	s_or_b64 s[4:5], s[4:5], s[8:9]
	s_or_b64 exec, exec, s[6:7]
	s_and_saveexec_b64 s[6:7], s[4:5]
	s_cbranch_execnz .LBB8_1287
	s_branch .LBB8_1288
.LBB8_3337:
	s_movk_i32 s4, 0x80
	v_cmp_eq_u16_sdwa s[12:13], v21, s4 src0_sel:BYTE_0 src1_sel:DWORD
	s_mov_b64 s[4:5], -1
                                        ; implicit-def: $sgpr10
	s_and_saveexec_b64 s[8:9], s[12:13]
; %bb.3338:
	s_mov_b32 s10, 0x7f800001
	s_xor_b64 s[4:5], exec, -1
; %bb.3339:
	s_or_b64 exec, exec, s[8:9]
	s_and_b64 s[4:5], s[4:5], exec
	s_or_saveexec_b64 s[6:7], s[6:7]
	v_mov_b32_e32 v20, s10
	s_xor_b64 exec, exec, s[6:7]
	s_cbranch_execz .LBB8_1290
.LBB8_3340:
	v_mov_b32_e32 v20, 0
	v_cmp_ne_u16_sdwa s[8:9], v21, v20 src0_sel:BYTE_0 src1_sel:DWORD
	s_andn2_b64 s[4:5], s[4:5], exec
	s_and_b64 s[8:9], s[8:9], exec
	s_or_b64 s[4:5], s[4:5], s[8:9]
	s_or_b64 exec, exec, s[6:7]
	s_and_saveexec_b64 s[6:7], s[4:5]
	s_cbranch_execnz .LBB8_1291
	s_branch .LBB8_1292
.LBB8_3341:
	s_movk_i32 s4, 0x80
	v_cmp_eq_u16_sdwa s[12:13], v21, s4 src0_sel:BYTE_0 src1_sel:DWORD
	s_mov_b64 s[4:5], -1
                                        ; implicit-def: $sgpr10
	s_and_saveexec_b64 s[8:9], s[12:13]
; %bb.3342:
	s_mov_b32 s10, 0x7f800001
	s_xor_b64 s[4:5], exec, -1
; %bb.3343:
	s_or_b64 exec, exec, s[8:9]
	s_and_b64 s[4:5], s[4:5], exec
	s_or_saveexec_b64 s[6:7], s[6:7]
	v_mov_b32_e32 v22, s10
	s_xor_b64 exec, exec, s[6:7]
	s_cbranch_execz .LBB8_1294
.LBB8_3344:
	v_mov_b32_e32 v22, 0
	v_cmp_ne_u16_sdwa s[8:9], v21, v22 src0_sel:BYTE_0 src1_sel:DWORD
	s_andn2_b64 s[4:5], s[4:5], exec
	s_and_b64 s[8:9], s[8:9], exec
	s_or_b64 s[4:5], s[4:5], s[8:9]
	s_or_b64 exec, exec, s[6:7]
	s_and_saveexec_b64 s[6:7], s[4:5]
	s_cbranch_execnz .LBB8_1295
	s_branch .LBB8_1296
.LBB8_3345:
	s_movk_i32 s4, 0x80
	v_cmp_eq_u16_e32 vcc, s4, v21
	s_mov_b64 s[4:5], -1
                                        ; implicit-def: $sgpr10
	s_and_saveexec_b64 s[8:9], vcc
; %bb.3346:
	s_mov_b32 s10, 0x7f800001
	s_xor_b64 s[4:5], exec, -1
; %bb.3347:
	s_or_b64 exec, exec, s[8:9]
	s_and_b64 s[4:5], s[4:5], exec
                                        ; implicit-def: $vgpr21
	s_or_saveexec_b64 s[6:7], s[6:7]
	v_mov_b32_e32 v20, s10
	s_xor_b64 exec, exec, s[6:7]
	s_cbranch_execz .LBB8_1298
.LBB8_3348:
	v_cmp_ne_u16_e32 vcc, 0, v21
	s_andn2_b64 s[4:5], s[4:5], exec
	s_and_b64 s[8:9], vcc, exec
	v_mov_b32_e32 v20, 0
	s_or_b64 s[4:5], s[4:5], s[8:9]
	s_or_b64 exec, exec, s[6:7]
	s_and_saveexec_b64 s[6:7], s[4:5]
	s_cbranch_execnz .LBB8_1299
	s_branch .LBB8_1300
.LBB8_3349:
	s_movk_i32 s4, 0x80
	v_cmp_eq_u16_e32 vcc, s4, v21
	s_mov_b64 s[4:5], -1
                                        ; implicit-def: $sgpr10
	s_and_saveexec_b64 s[8:9], vcc
; %bb.3350:
	s_mov_b32 s10, 0x7f800001
	s_xor_b64 s[4:5], exec, -1
; %bb.3351:
	s_or_b64 exec, exec, s[8:9]
	s_and_b64 s[4:5], s[4:5], exec
                                        ; implicit-def: $vgpr21
	s_or_saveexec_b64 s[6:7], s[6:7]
	v_mov_b32_e32 v22, s10
	s_xor_b64 exec, exec, s[6:7]
	s_cbranch_execz .LBB8_1302
.LBB8_3352:
	v_cmp_ne_u16_e32 vcc, 0, v21
	s_andn2_b64 s[4:5], s[4:5], exec
	s_and_b64 s[8:9], vcc, exec
	v_mov_b32_e32 v22, 0
	s_or_b64 s[4:5], s[4:5], s[8:9]
	s_or_b64 exec, exec, s[6:7]
	s_and_saveexec_b64 s[6:7], s[4:5]
	s_cbranch_execnz .LBB8_1303
	s_branch .LBB8_1304
.LBB8_3353:
	s_movk_i32 s4, 0x80
	v_cmp_eq_u16_sdwa s[12:13], v14, s4 src0_sel:BYTE_3 src1_sel:DWORD
	s_mov_b64 s[4:5], -1
                                        ; implicit-def: $sgpr10
	s_and_saveexec_b64 s[8:9], s[12:13]
; %bb.3354:
	s_mov_b32 s10, 0x7f800001
	s_xor_b64 s[4:5], exec, -1
; %bb.3355:
	s_or_b64 exec, exec, s[8:9]
	s_and_b64 s[4:5], s[4:5], exec
	s_or_saveexec_b64 s[6:7], s[6:7]
	v_mov_b32_e32 v20, s10
	s_xor_b64 exec, exec, s[6:7]
	s_cbranch_execz .LBB8_1306
.LBB8_3356:
	v_mov_b32_e32 v20, 0
	v_cmp_ne_u16_sdwa s[8:9], v14, v20 src0_sel:BYTE_3 src1_sel:DWORD
	s_andn2_b64 s[4:5], s[4:5], exec
	s_and_b64 s[8:9], s[8:9], exec
	s_or_b64 s[4:5], s[4:5], s[8:9]
	s_or_b64 exec, exec, s[6:7]
	s_and_saveexec_b64 s[6:7], s[4:5]
	s_cbranch_execnz .LBB8_1307
	s_branch .LBB8_1308
.LBB8_3357:
	s_movk_i32 s4, 0x80
	v_cmp_eq_u16_sdwa s[12:13], v10, s4 src0_sel:BYTE_3 src1_sel:DWORD
	s_mov_b64 s[4:5], -1
                                        ; implicit-def: $sgpr10
	s_and_saveexec_b64 s[8:9], s[12:13]
; %bb.3358:
	s_mov_b32 s10, 0x7f800001
	s_xor_b64 s[4:5], exec, -1
; %bb.3359:
	s_or_b64 exec, exec, s[8:9]
	s_and_b64 s[4:5], s[4:5], exec
	s_or_saveexec_b64 s[6:7], s[6:7]
	v_mov_b32_e32 v14, s10
	s_xor_b64 exec, exec, s[6:7]
	s_cbranch_execz .LBB8_1310
.LBB8_3360:
	v_mov_b32_e32 v14, 0
	v_cmp_ne_u16_sdwa s[8:9], v10, v14 src0_sel:BYTE_3 src1_sel:DWORD
	s_andn2_b64 s[4:5], s[4:5], exec
	s_and_b64 s[8:9], s[8:9], exec
	s_or_b64 s[4:5], s[4:5], s[8:9]
	s_or_b64 exec, exec, s[6:7]
	s_and_saveexec_b64 s[6:7], s[4:5]
	s_cbranch_execnz .LBB8_1311
	s_branch .LBB8_1312
.LBB8_3361:
	s_movk_i32 s4, 0x80
	v_cmp_eq_u16_sdwa s[12:13], v15, s4 src0_sel:BYTE_0 src1_sel:DWORD
	s_mov_b64 s[4:5], -1
                                        ; implicit-def: $sgpr10
	s_and_saveexec_b64 s[8:9], s[12:13]
; %bb.3362:
	s_mov_b32 s10, 0x7f800001
	s_xor_b64 s[4:5], exec, -1
; %bb.3363:
	s_or_b64 exec, exec, s[8:9]
	s_and_b64 s[4:5], s[4:5], exec
	s_or_saveexec_b64 s[6:7], s[6:7]
	v_mov_b32_e32 v10, s10
	s_xor_b64 exec, exec, s[6:7]
	s_cbranch_execz .LBB8_1314
.LBB8_3364:
	v_mov_b32_e32 v10, 0
	v_cmp_ne_u16_sdwa s[8:9], v15, v10 src0_sel:BYTE_0 src1_sel:DWORD
	s_andn2_b64 s[4:5], s[4:5], exec
	s_and_b64 s[8:9], s[8:9], exec
	s_or_b64 s[4:5], s[4:5], s[8:9]
	s_or_b64 exec, exec, s[6:7]
	s_and_saveexec_b64 s[6:7], s[4:5]
	s_cbranch_execnz .LBB8_1315
	s_branch .LBB8_1316
.LBB8_3365:
	s_movk_i32 s4, 0x80
	v_cmp_eq_u16_sdwa s[12:13], v11, s4 src0_sel:BYTE_0 src1_sel:DWORD
	s_mov_b64 s[4:5], -1
                                        ; implicit-def: $sgpr10
	s_and_saveexec_b64 s[8:9], s[12:13]
; %bb.3366:
	s_mov_b32 s10, 0x7f800001
	s_xor_b64 s[4:5], exec, -1
; %bb.3367:
	s_or_b64 exec, exec, s[8:9]
	s_and_b64 s[4:5], s[4:5], exec
	s_or_saveexec_b64 s[6:7], s[6:7]
	v_mov_b32_e32 v14, s10
	s_xor_b64 exec, exec, s[6:7]
	s_cbranch_execz .LBB8_1318
.LBB8_3368:
	v_mov_b32_e32 v14, 0
	v_cmp_ne_u16_sdwa s[8:9], v11, v14 src0_sel:BYTE_0 src1_sel:DWORD
	s_andn2_b64 s[4:5], s[4:5], exec
	s_and_b64 s[8:9], s[8:9], exec
	s_or_b64 s[4:5], s[4:5], s[8:9]
	s_or_b64 exec, exec, s[6:7]
	s_and_saveexec_b64 s[6:7], s[4:5]
	s_cbranch_execnz .LBB8_1319
	s_branch .LBB8_1320
.LBB8_3369:
	s_movk_i32 s4, 0x80
	v_cmp_eq_u16_sdwa s[12:13], v14, s4 src0_sel:BYTE_0 src1_sel:DWORD
	s_mov_b64 s[4:5], -1
                                        ; implicit-def: $sgpr10
	s_and_saveexec_b64 s[8:9], s[12:13]
; %bb.3370:
	s_mov_b32 s10, 0x7f800001
	s_xor_b64 s[4:5], exec, -1
; %bb.3371:
	s_or_b64 exec, exec, s[8:9]
	s_and_b64 s[4:5], s[4:5], exec
	s_or_saveexec_b64 s[6:7], s[6:7]
	v_mov_b32_e32 v10, s10
	s_xor_b64 exec, exec, s[6:7]
	s_cbranch_execz .LBB8_1322
.LBB8_3372:
	v_mov_b32_e32 v10, 0
	v_cmp_ne_u16_sdwa s[8:9], v14, v10 src0_sel:BYTE_0 src1_sel:DWORD
	s_andn2_b64 s[4:5], s[4:5], exec
	s_and_b64 s[8:9], s[8:9], exec
	s_or_b64 s[4:5], s[4:5], s[8:9]
	s_or_b64 exec, exec, s[6:7]
	s_and_saveexec_b64 s[6:7], s[4:5]
	s_cbranch_execnz .LBB8_1323
	s_branch .LBB8_1324
.LBB8_3373:
	s_movk_i32 s4, 0x80
	v_cmp_eq_u16_sdwa s[12:13], v14, s4 src0_sel:BYTE_0 src1_sel:DWORD
	s_mov_b64 s[4:5], -1
                                        ; implicit-def: $sgpr10
	s_and_saveexec_b64 s[8:9], s[12:13]
; %bb.3374:
	s_mov_b32 s10, 0x7f800001
	s_xor_b64 s[4:5], exec, -1
; %bb.3375:
	s_or_b64 exec, exec, s[8:9]
	s_and_b64 s[4:5], s[4:5], exec
	s_or_saveexec_b64 s[6:7], s[6:7]
	v_mov_b32_e32 v20, s10
	s_xor_b64 exec, exec, s[6:7]
	s_cbranch_execz .LBB8_1326
.LBB8_3376:
	v_mov_b32_e32 v20, 0
	v_cmp_ne_u16_sdwa s[8:9], v14, v20 src0_sel:BYTE_0 src1_sel:DWORD
	s_andn2_b64 s[4:5], s[4:5], exec
	s_and_b64 s[8:9], s[8:9], exec
	s_or_b64 s[4:5], s[4:5], s[8:9]
	s_or_b64 exec, exec, s[6:7]
	s_and_saveexec_b64 s[6:7], s[4:5]
	s_cbranch_execnz .LBB8_1327
	s_branch .LBB8_1328
.LBB8_3377:
	s_movk_i32 s4, 0x80
	v_cmp_eq_u16_e32 vcc, s4, v14
	s_mov_b64 s[4:5], -1
                                        ; implicit-def: $sgpr10
	s_and_saveexec_b64 s[8:9], vcc
; %bb.3378:
	s_mov_b32 s10, 0x7f800001
	s_xor_b64 s[4:5], exec, -1
; %bb.3379:
	s_or_b64 exec, exec, s[8:9]
	s_and_b64 s[4:5], s[4:5], exec
                                        ; implicit-def: $vgpr14
	s_or_saveexec_b64 s[6:7], s[6:7]
	v_mov_b32_e32 v10, s10
	s_xor_b64 exec, exec, s[6:7]
	s_cbranch_execz .LBB8_1330
.LBB8_3380:
	v_cmp_ne_u16_e32 vcc, 0, v14
	s_andn2_b64 s[4:5], s[4:5], exec
	s_and_b64 s[8:9], vcc, exec
	v_mov_b32_e32 v10, 0
	s_or_b64 s[4:5], s[4:5], s[8:9]
	s_or_b64 exec, exec, s[6:7]
	s_and_saveexec_b64 s[6:7], s[4:5]
	s_cbranch_execnz .LBB8_1331
	s_branch .LBB8_1332
.LBB8_3381:
	s_movk_i32 s4, 0x80
	v_cmp_eq_u16_e32 vcc, s4, v14
	s_mov_b64 s[4:5], -1
                                        ; implicit-def: $sgpr10
	s_and_saveexec_b64 s[8:9], vcc
; %bb.3382:
	s_mov_b32 s10, 0x7f800001
	s_xor_b64 s[4:5], exec, -1
; %bb.3383:
	s_or_b64 exec, exec, s[8:9]
	s_and_b64 s[4:5], s[4:5], exec
                                        ; implicit-def: $vgpr14
	s_or_saveexec_b64 s[6:7], s[6:7]
	v_mov_b32_e32 v20, s10
	s_xor_b64 exec, exec, s[6:7]
	s_cbranch_execz .LBB8_1334
.LBB8_3384:
	v_cmp_ne_u16_e32 vcc, 0, v14
	s_andn2_b64 s[4:5], s[4:5], exec
	s_and_b64 s[8:9], vcc, exec
	v_mov_b32_e32 v20, 0
	s_or_b64 s[4:5], s[4:5], s[8:9]
	s_or_b64 exec, exec, s[6:7]
	s_and_saveexec_b64 s[6:7], s[4:5]
	s_cbranch_execnz .LBB8_1335
	s_branch .LBB8_1336
.LBB8_3385:
	s_movk_i32 s4, 0x80
	v_cmp_eq_u16_sdwa s[12:13], v15, s4 src0_sel:BYTE_3 src1_sel:DWORD
	s_mov_b64 s[4:5], -1
                                        ; implicit-def: $sgpr10
	s_and_saveexec_b64 s[8:9], s[12:13]
; %bb.3386:
	s_mov_b32 s10, 0x7f800001
	s_xor_b64 s[4:5], exec, -1
; %bb.3387:
	s_or_b64 exec, exec, s[8:9]
	s_and_b64 s[4:5], s[4:5], exec
	s_or_saveexec_b64 s[6:7], s[6:7]
	v_mov_b32_e32 v10, s10
	s_xor_b64 exec, exec, s[6:7]
	s_cbranch_execz .LBB8_1338
.LBB8_3388:
	v_mov_b32_e32 v10, 0
	v_cmp_ne_u16_sdwa s[8:9], v15, v10 src0_sel:BYTE_3 src1_sel:DWORD
	s_andn2_b64 s[4:5], s[4:5], exec
	s_and_b64 s[8:9], s[8:9], exec
	s_or_b64 s[4:5], s[4:5], s[8:9]
	s_or_b64 exec, exec, s[6:7]
	s_and_saveexec_b64 s[6:7], s[4:5]
	s_cbranch_execnz .LBB8_1339
	s_branch .LBB8_1340
.LBB8_3389:
	s_movk_i32 s4, 0x80
	v_cmp_eq_u16_sdwa s[12:13], v11, s4 src0_sel:BYTE_3 src1_sel:DWORD
	s_mov_b64 s[4:5], -1
                                        ; implicit-def: $sgpr10
	s_and_saveexec_b64 s[8:9], s[12:13]
; %bb.3390:
	s_mov_b32 s10, 0x7f800001
	s_xor_b64 s[4:5], exec, -1
; %bb.3391:
	s_or_b64 exec, exec, s[8:9]
	s_and_b64 s[4:5], s[4:5], exec
	s_or_saveexec_b64 s[6:7], s[6:7]
	v_mov_b32_e32 v14, s10
	s_xor_b64 exec, exec, s[6:7]
	s_cbranch_execz .LBB8_1342
.LBB8_3392:
	v_mov_b32_e32 v14, 0
	v_cmp_ne_u16_sdwa s[8:9], v11, v14 src0_sel:BYTE_3 src1_sel:DWORD
	s_andn2_b64 s[4:5], s[4:5], exec
	s_and_b64 s[8:9], s[8:9], exec
	s_or_b64 s[4:5], s[4:5], s[8:9]
	s_or_b64 exec, exec, s[6:7]
	s_and_saveexec_b64 s[6:7], s[4:5]
	s_cbranch_execnz .LBB8_1343
	s_branch .LBB8_1344
.LBB8_3393:
	s_movk_i32 s4, 0x80
	v_cmp_eq_u16_sdwa s[12:13], v16, s4 src0_sel:BYTE_0 src1_sel:DWORD
	s_mov_b64 s[4:5], -1
                                        ; implicit-def: $sgpr10
	s_and_saveexec_b64 s[8:9], s[12:13]
; %bb.3394:
	s_mov_b32 s10, 0x7f800001
	s_xor_b64 s[4:5], exec, -1
; %bb.3395:
	s_or_b64 exec, exec, s[8:9]
	s_and_b64 s[4:5], s[4:5], exec
	s_or_saveexec_b64 s[6:7], s[6:7]
	v_mov_b32_e32 v10, s10
	s_xor_b64 exec, exec, s[6:7]
	s_cbranch_execz .LBB8_1346
.LBB8_3396:
	v_mov_b32_e32 v10, 0
	v_cmp_ne_u16_sdwa s[8:9], v16, v10 src0_sel:BYTE_0 src1_sel:DWORD
	s_andn2_b64 s[4:5], s[4:5], exec
	s_and_b64 s[8:9], s[8:9], exec
	s_or_b64 s[4:5], s[4:5], s[8:9]
	s_or_b64 exec, exec, s[6:7]
	s_and_saveexec_b64 s[6:7], s[4:5]
	s_cbranch_execnz .LBB8_1347
	s_branch .LBB8_1348
.LBB8_3397:
	s_movk_i32 s4, 0x80
	v_cmp_eq_u16_sdwa s[12:13], v12, s4 src0_sel:BYTE_0 src1_sel:DWORD
	s_mov_b64 s[4:5], -1
                                        ; implicit-def: $sgpr10
	s_and_saveexec_b64 s[8:9], s[12:13]
; %bb.3398:
	s_mov_b32 s10, 0x7f800001
	s_xor_b64 s[4:5], exec, -1
; %bb.3399:
	s_or_b64 exec, exec, s[8:9]
	s_and_b64 s[4:5], s[4:5], exec
	s_or_saveexec_b64 s[6:7], s[6:7]
	v_mov_b32_e32 v11, s10
	s_xor_b64 exec, exec, s[6:7]
	s_cbranch_execz .LBB8_1350
.LBB8_3400:
	v_mov_b32_e32 v11, 0
	v_cmp_ne_u16_sdwa s[8:9], v12, v11 src0_sel:BYTE_0 src1_sel:DWORD
	s_andn2_b64 s[4:5], s[4:5], exec
	s_and_b64 s[8:9], s[8:9], exec
	s_or_b64 s[4:5], s[4:5], s[8:9]
	s_or_b64 exec, exec, s[6:7]
	s_and_saveexec_b64 s[6:7], s[4:5]
	s_cbranch_execnz .LBB8_1351
	s_branch .LBB8_1352
.LBB8_3401:
	s_movk_i32 s4, 0x80
	v_cmp_eq_u16_sdwa s[12:13], v11, s4 src0_sel:BYTE_0 src1_sel:DWORD
	s_mov_b64 s[4:5], -1
                                        ; implicit-def: $sgpr10
	s_and_saveexec_b64 s[8:9], s[12:13]
; %bb.3402:
	s_mov_b32 s10, 0x7f800001
	s_xor_b64 s[4:5], exec, -1
; %bb.3403:
	s_or_b64 exec, exec, s[8:9]
	s_and_b64 s[4:5], s[4:5], exec
	s_or_saveexec_b64 s[6:7], s[6:7]
	v_mov_b32_e32 v10, s10
	s_xor_b64 exec, exec, s[6:7]
	s_cbranch_execz .LBB8_1354
.LBB8_3404:
	v_mov_b32_e32 v10, 0
	v_cmp_ne_u16_sdwa s[8:9], v11, v10 src0_sel:BYTE_0 src1_sel:DWORD
	s_andn2_b64 s[4:5], s[4:5], exec
	s_and_b64 s[8:9], s[8:9], exec
	s_or_b64 s[4:5], s[4:5], s[8:9]
	s_or_b64 exec, exec, s[6:7]
	s_and_saveexec_b64 s[6:7], s[4:5]
	s_cbranch_execnz .LBB8_1355
	s_branch .LBB8_1356
.LBB8_3405:
	s_movk_i32 s4, 0x80
	v_cmp_eq_u16_sdwa s[12:13], v11, s4 src0_sel:BYTE_0 src1_sel:DWORD
	s_mov_b64 s[4:5], -1
                                        ; implicit-def: $sgpr10
	s_and_saveexec_b64 s[8:9], s[12:13]
; %bb.3406:
	s_mov_b32 s10, 0x7f800001
	s_xor_b64 s[4:5], exec, -1
; %bb.3407:
	s_or_b64 exec, exec, s[8:9]
	s_and_b64 s[4:5], s[4:5], exec
	s_or_saveexec_b64 s[6:7], s[6:7]
	v_mov_b32_e32 v14, s10
	s_xor_b64 exec, exec, s[6:7]
	s_cbranch_execz .LBB8_1358
.LBB8_3408:
	v_mov_b32_e32 v14, 0
	v_cmp_ne_u16_sdwa s[8:9], v11, v14 src0_sel:BYTE_0 src1_sel:DWORD
	s_andn2_b64 s[4:5], s[4:5], exec
	s_and_b64 s[8:9], s[8:9], exec
	s_or_b64 s[4:5], s[4:5], s[8:9]
	s_or_b64 exec, exec, s[6:7]
	s_and_saveexec_b64 s[6:7], s[4:5]
	s_cbranch_execnz .LBB8_1359
	s_branch .LBB8_1360
.LBB8_3409:
	s_movk_i32 s4, 0x80
	v_cmp_eq_u16_e32 vcc, s4, v11
	s_mov_b64 s[4:5], -1
                                        ; implicit-def: $sgpr10
	s_and_saveexec_b64 s[8:9], vcc
; %bb.3410:
	s_mov_b32 s10, 0x7f800001
	s_xor_b64 s[4:5], exec, -1
; %bb.3411:
	s_or_b64 exec, exec, s[8:9]
	s_and_b64 s[4:5], s[4:5], exec
                                        ; implicit-def: $vgpr11
	s_or_saveexec_b64 s[6:7], s[6:7]
	v_mov_b32_e32 v10, s10
	s_xor_b64 exec, exec, s[6:7]
	s_cbranch_execz .LBB8_1362
.LBB8_3412:
	v_cmp_ne_u16_e32 vcc, 0, v11
	s_andn2_b64 s[4:5], s[4:5], exec
	s_and_b64 s[8:9], vcc, exec
	v_mov_b32_e32 v10, 0
	s_or_b64 s[4:5], s[4:5], s[8:9]
	s_or_b64 exec, exec, s[6:7]
	s_and_saveexec_b64 s[6:7], s[4:5]
	s_cbranch_execnz .LBB8_1363
	s_branch .LBB8_1364
.LBB8_3413:
	s_movk_i32 s4, 0x80
	v_cmp_eq_u16_e32 vcc, s4, v11
	s_mov_b64 s[4:5], -1
                                        ; implicit-def: $sgpr10
	s_and_saveexec_b64 s[8:9], vcc
; %bb.3414:
	s_mov_b32 s10, 0x7f800001
	s_xor_b64 s[4:5], exec, -1
; %bb.3415:
	s_or_b64 exec, exec, s[8:9]
	s_and_b64 s[4:5], s[4:5], exec
                                        ; implicit-def: $vgpr11
	s_or_saveexec_b64 s[6:7], s[6:7]
	v_mov_b32_e32 v14, s10
	s_xor_b64 exec, exec, s[6:7]
	s_cbranch_execz .LBB8_1366
.LBB8_3416:
	v_cmp_ne_u16_e32 vcc, 0, v11
	s_andn2_b64 s[4:5], s[4:5], exec
	s_and_b64 s[8:9], vcc, exec
	v_mov_b32_e32 v14, 0
	s_or_b64 s[4:5], s[4:5], s[8:9]
	s_or_b64 exec, exec, s[6:7]
	s_and_saveexec_b64 s[6:7], s[4:5]
	s_cbranch_execnz .LBB8_1367
	s_branch .LBB8_1368
.LBB8_3417:
	s_movk_i32 s4, 0x80
	v_cmp_eq_u16_sdwa s[12:13], v16, s4 src0_sel:BYTE_3 src1_sel:DWORD
	s_mov_b64 s[4:5], -1
                                        ; implicit-def: $sgpr10
	s_and_saveexec_b64 s[8:9], s[12:13]
; %bb.3418:
	s_mov_b32 s10, 0x7f800001
	s_xor_b64 s[4:5], exec, -1
; %bb.3419:
	s_or_b64 exec, exec, s[8:9]
	s_and_b64 s[4:5], s[4:5], exec
	s_or_saveexec_b64 s[6:7], s[6:7]
	v_mov_b32_e32 v10, s10
	s_xor_b64 exec, exec, s[6:7]
	s_cbranch_execz .LBB8_1370
.LBB8_3420:
	v_mov_b32_e32 v10, 0
	v_cmp_ne_u16_sdwa s[8:9], v16, v10 src0_sel:BYTE_3 src1_sel:DWORD
	s_andn2_b64 s[4:5], s[4:5], exec
	s_and_b64 s[8:9], s[8:9], exec
	s_or_b64 s[4:5], s[4:5], s[8:9]
	s_or_b64 exec, exec, s[6:7]
	s_and_saveexec_b64 s[6:7], s[4:5]
	s_cbranch_execnz .LBB8_1371
	s_branch .LBB8_1372
.LBB8_3421:
	s_movk_i32 s4, 0x80
	v_cmp_eq_u16_sdwa s[12:13], v12, s4 src0_sel:BYTE_3 src1_sel:DWORD
	s_mov_b64 s[4:5], -1
                                        ; implicit-def: $sgpr10
	s_and_saveexec_b64 s[8:9], s[12:13]
; %bb.3422:
	s_mov_b32 s10, 0x7f800001
	s_xor_b64 s[4:5], exec, -1
; %bb.3423:
	s_or_b64 exec, exec, s[8:9]
	s_and_b64 s[4:5], s[4:5], exec
	s_or_saveexec_b64 s[6:7], s[6:7]
	v_mov_b32_e32 v11, s10
	s_xor_b64 exec, exec, s[6:7]
	s_cbranch_execz .LBB8_1374
.LBB8_3424:
	v_mov_b32_e32 v11, 0
	v_cmp_ne_u16_sdwa s[8:9], v12, v11 src0_sel:BYTE_3 src1_sel:DWORD
	s_andn2_b64 s[4:5], s[4:5], exec
	s_and_b64 s[8:9], s[8:9], exec
	s_or_b64 s[4:5], s[4:5], s[8:9]
	s_or_b64 exec, exec, s[6:7]
	s_and_saveexec_b64 s[6:7], s[4:5]
	s_cbranch_execnz .LBB8_1375
	s_branch .LBB8_1376
.LBB8_3425:
	s_movk_i32 s4, 0x80
	v_cmp_eq_u16_sdwa s[12:13], v17, s4 src0_sel:BYTE_0 src1_sel:DWORD
	s_mov_b64 s[4:5], -1
                                        ; implicit-def: $sgpr10
	s_and_saveexec_b64 s[8:9], s[12:13]
; %bb.3426:
	s_mov_b32 s10, 0x7f800001
	s_xor_b64 s[4:5], exec, -1
; %bb.3427:
	s_or_b64 exec, exec, s[8:9]
	s_and_b64 s[4:5], s[4:5], exec
	s_or_saveexec_b64 s[6:7], s[6:7]
	v_mov_b32_e32 v10, s10
	s_xor_b64 exec, exec, s[6:7]
	s_cbranch_execz .LBB8_1378
.LBB8_3428:
	v_mov_b32_e32 v10, 0
	v_cmp_ne_u16_sdwa s[8:9], v17, v10 src0_sel:BYTE_0 src1_sel:DWORD
	s_andn2_b64 s[4:5], s[4:5], exec
	s_and_b64 s[8:9], s[8:9], exec
	s_or_b64 s[4:5], s[4:5], s[8:9]
	s_or_b64 exec, exec, s[6:7]
	s_and_saveexec_b64 s[6:7], s[4:5]
	s_cbranch_execnz .LBB8_1379
	s_branch .LBB8_1380
.LBB8_3429:
	s_movk_i32 s4, 0x80
	v_cmp_eq_u16_sdwa s[12:13], v13, s4 src0_sel:BYTE_0 src1_sel:DWORD
	s_mov_b64 s[4:5], -1
                                        ; implicit-def: $sgpr10
	s_and_saveexec_b64 s[8:9], s[12:13]
; %bb.3430:
	s_mov_b32 s10, 0x7f800001
	s_xor_b64 s[4:5], exec, -1
; %bb.3431:
	s_or_b64 exec, exec, s[8:9]
	s_and_b64 s[4:5], s[4:5], exec
	s_or_saveexec_b64 s[6:7], s[6:7]
	v_mov_b32_e32 v11, s10
	s_xor_b64 exec, exec, s[6:7]
	s_cbranch_execz .LBB8_1382
.LBB8_3432:
	v_mov_b32_e32 v11, 0
	v_cmp_ne_u16_sdwa s[8:9], v13, v11 src0_sel:BYTE_0 src1_sel:DWORD
	s_andn2_b64 s[4:5], s[4:5], exec
	s_and_b64 s[8:9], s[8:9], exec
	s_or_b64 s[4:5], s[4:5], s[8:9]
	s_or_b64 exec, exec, s[6:7]
	s_and_saveexec_b64 s[6:7], s[4:5]
	s_cbranch_execnz .LBB8_1383
	s_branch .LBB8_1384
.LBB8_3433:
	s_movk_i32 s4, 0x80
	v_cmp_eq_u16_sdwa s[12:13], v11, s4 src0_sel:BYTE_0 src1_sel:DWORD
	s_mov_b64 s[4:5], -1
                                        ; implicit-def: $sgpr10
	s_and_saveexec_b64 s[8:9], s[12:13]
; %bb.3434:
	s_mov_b32 s10, 0x7f800001
	s_xor_b64 s[4:5], exec, -1
; %bb.3435:
	s_or_b64 exec, exec, s[8:9]
	s_and_b64 s[4:5], s[4:5], exec
	s_or_saveexec_b64 s[6:7], s[6:7]
	v_mov_b32_e32 v10, s10
	s_xor_b64 exec, exec, s[6:7]
	s_cbranch_execz .LBB8_1386
.LBB8_3436:
	v_mov_b32_e32 v10, 0
	v_cmp_ne_u16_sdwa s[8:9], v11, v10 src0_sel:BYTE_0 src1_sel:DWORD
	s_andn2_b64 s[4:5], s[4:5], exec
	s_and_b64 s[8:9], s[8:9], exec
	s_or_b64 s[4:5], s[4:5], s[8:9]
	s_or_b64 exec, exec, s[6:7]
	s_and_saveexec_b64 s[6:7], s[4:5]
	s_cbranch_execnz .LBB8_1387
	s_branch .LBB8_1388
.LBB8_3437:
	s_movk_i32 s4, 0x80
	v_cmp_eq_u16_sdwa s[12:13], v11, s4 src0_sel:BYTE_0 src1_sel:DWORD
	s_mov_b64 s[4:5], -1
                                        ; implicit-def: $sgpr10
	s_and_saveexec_b64 s[8:9], s[12:13]
; %bb.3438:
	s_mov_b32 s10, 0x7f800001
	s_xor_b64 s[4:5], exec, -1
; %bb.3439:
	s_or_b64 exec, exec, s[8:9]
	s_and_b64 s[4:5], s[4:5], exec
	s_or_saveexec_b64 s[6:7], s[6:7]
	v_mov_b32_e32 v12, s10
	s_xor_b64 exec, exec, s[6:7]
	s_cbranch_execz .LBB8_1390
.LBB8_3440:
	v_mov_b32_e32 v12, 0
	v_cmp_ne_u16_sdwa s[8:9], v11, v12 src0_sel:BYTE_0 src1_sel:DWORD
	s_andn2_b64 s[4:5], s[4:5], exec
	s_and_b64 s[8:9], s[8:9], exec
	s_or_b64 s[4:5], s[4:5], s[8:9]
	s_or_b64 exec, exec, s[6:7]
	s_and_saveexec_b64 s[6:7], s[4:5]
	s_cbranch_execnz .LBB8_1391
	s_branch .LBB8_1392
.LBB8_3441:
	s_movk_i32 s4, 0x80
	v_cmp_eq_u16_e32 vcc, s4, v11
	s_mov_b64 s[4:5], -1
                                        ; implicit-def: $sgpr10
	s_and_saveexec_b64 s[8:9], vcc
; %bb.3442:
	s_mov_b32 s10, 0x7f800001
	s_xor_b64 s[4:5], exec, -1
; %bb.3443:
	s_or_b64 exec, exec, s[8:9]
	s_and_b64 s[4:5], s[4:5], exec
                                        ; implicit-def: $vgpr11
	s_or_saveexec_b64 s[6:7], s[6:7]
	v_mov_b32_e32 v10, s10
	s_xor_b64 exec, exec, s[6:7]
	s_cbranch_execz .LBB8_1394
.LBB8_3444:
	v_cmp_ne_u16_e32 vcc, 0, v11
	s_andn2_b64 s[4:5], s[4:5], exec
	s_and_b64 s[8:9], vcc, exec
	v_mov_b32_e32 v10, 0
	s_or_b64 s[4:5], s[4:5], s[8:9]
	s_or_b64 exec, exec, s[6:7]
	s_and_saveexec_b64 s[6:7], s[4:5]
	s_cbranch_execnz .LBB8_1395
	s_branch .LBB8_1396
.LBB8_3445:
	s_movk_i32 s4, 0x80
	v_cmp_eq_u16_e32 vcc, s4, v11
	s_mov_b64 s[4:5], -1
                                        ; implicit-def: $sgpr10
	s_and_saveexec_b64 s[8:9], vcc
; %bb.3446:
	s_mov_b32 s10, 0x7f800001
	s_xor_b64 s[4:5], exec, -1
; %bb.3447:
	s_or_b64 exec, exec, s[8:9]
	s_and_b64 s[4:5], s[4:5], exec
                                        ; implicit-def: $vgpr11
	s_or_saveexec_b64 s[6:7], s[6:7]
	v_mov_b32_e32 v12, s10
	s_xor_b64 exec, exec, s[6:7]
	s_cbranch_execz .LBB8_1398
.LBB8_3448:
	v_cmp_ne_u16_e32 vcc, 0, v11
	s_andn2_b64 s[4:5], s[4:5], exec
	s_and_b64 s[8:9], vcc, exec
	v_mov_b32_e32 v12, 0
	s_or_b64 s[4:5], s[4:5], s[8:9]
	s_or_b64 exec, exec, s[6:7]
	s_and_saveexec_b64 s[6:7], s[4:5]
	s_cbranch_execnz .LBB8_1399
	s_branch .LBB8_1400
.LBB8_3449:
	s_movk_i32 s4, 0x80
	v_cmp_eq_u16_sdwa s[12:13], v17, s4 src0_sel:BYTE_3 src1_sel:DWORD
	s_mov_b64 s[4:5], -1
                                        ; implicit-def: $sgpr10
	s_and_saveexec_b64 s[8:9], s[12:13]
; %bb.3450:
	s_mov_b32 s10, 0x7f800001
	s_xor_b64 s[4:5], exec, -1
; %bb.3451:
	s_or_b64 exec, exec, s[8:9]
	s_and_b64 s[4:5], s[4:5], exec
	s_or_saveexec_b64 s[6:7], s[6:7]
	v_mov_b32_e32 v10, s10
	s_xor_b64 exec, exec, s[6:7]
	s_cbranch_execz .LBB8_1402
.LBB8_3452:
	v_mov_b32_e32 v10, 0
	v_cmp_ne_u16_sdwa s[8:9], v17, v10 src0_sel:BYTE_3 src1_sel:DWORD
	s_andn2_b64 s[4:5], s[4:5], exec
	s_and_b64 s[8:9], s[8:9], exec
	s_or_b64 s[4:5], s[4:5], s[8:9]
	s_or_b64 exec, exec, s[6:7]
	s_and_saveexec_b64 s[6:7], s[4:5]
	s_cbranch_execnz .LBB8_1403
	s_branch .LBB8_1404
.LBB8_3453:
	s_movk_i32 s4, 0x80
	v_cmp_eq_u16_sdwa s[12:13], v13, s4 src0_sel:BYTE_3 src1_sel:DWORD
	s_mov_b64 s[4:5], -1
                                        ; implicit-def: $sgpr10
	s_and_saveexec_b64 s[8:9], s[12:13]
; %bb.3454:
	s_mov_b32 s10, 0x7f800001
	s_xor_b64 s[4:5], exec, -1
; %bb.3455:
	s_or_b64 exec, exec, s[8:9]
	s_and_b64 s[4:5], s[4:5], exec
	s_or_saveexec_b64 s[6:7], s[6:7]
	v_mov_b32_e32 v11, s10
	s_xor_b64 exec, exec, s[6:7]
	s_cbranch_execz .LBB8_1406
.LBB8_3456:
	v_mov_b32_e32 v11, 0
	v_cmp_ne_u16_sdwa s[8:9], v13, v11 src0_sel:BYTE_3 src1_sel:DWORD
	s_andn2_b64 s[4:5], s[4:5], exec
	s_and_b64 s[8:9], s[8:9], exec
	s_or_b64 s[4:5], s[4:5], s[8:9]
	s_or_b64 exec, exec, s[6:7]
	s_and_saveexec_b64 s[6:7], s[4:5]
	s_cbranch_execnz .LBB8_1407
	s_branch .LBB8_1408
.LBB8_3457:
	s_movk_i32 s4, 0x80
	v_cmp_eq_u16_sdwa s[12:13], v6, s4 src0_sel:BYTE_0 src1_sel:DWORD
	s_mov_b64 s[4:5], -1
                                        ; implicit-def: $sgpr10
	s_and_saveexec_b64 s[8:9], s[12:13]
; %bb.3458:
	s_mov_b32 s10, 0x7f800001
	s_xor_b64 s[4:5], exec, -1
; %bb.3459:
	s_or_b64 exec, exec, s[8:9]
	s_and_b64 s[4:5], s[4:5], exec
	s_or_saveexec_b64 s[6:7], s[6:7]
	v_mov_b32_e32 v10, s10
	s_xor_b64 exec, exec, s[6:7]
	s_cbranch_execz .LBB8_1410
.LBB8_3460:
	v_mov_b32_e32 v10, 0
	v_cmp_ne_u16_sdwa s[8:9], v6, v10 src0_sel:BYTE_0 src1_sel:DWORD
	s_andn2_b64 s[4:5], s[4:5], exec
	s_and_b64 s[8:9], s[8:9], exec
	s_or_b64 s[4:5], s[4:5], s[8:9]
	s_or_b64 exec, exec, s[6:7]
	s_and_saveexec_b64 s[6:7], s[4:5]
	s_cbranch_execnz .LBB8_1411
	s_branch .LBB8_1412
.LBB8_3461:
	s_movk_i32 s4, 0x80
	v_cmp_eq_u16_sdwa s[12:13], v2, s4 src0_sel:BYTE_0 src1_sel:DWORD
	s_mov_b64 s[4:5], -1
                                        ; implicit-def: $sgpr10
	s_and_saveexec_b64 s[8:9], s[12:13]
; %bb.3462:
	s_mov_b32 s10, 0x7f800001
	s_xor_b64 s[4:5], exec, -1
; %bb.3463:
	s_or_b64 exec, exec, s[8:9]
	s_and_b64 s[4:5], s[4:5], exec
	s_or_saveexec_b64 s[6:7], s[6:7]
	v_mov_b32_e32 v11, s10
	s_xor_b64 exec, exec, s[6:7]
	s_cbranch_execz .LBB8_1414
.LBB8_3464:
	v_mov_b32_e32 v11, 0
	v_cmp_ne_u16_sdwa s[8:9], v2, v11 src0_sel:BYTE_0 src1_sel:DWORD
	s_andn2_b64 s[4:5], s[4:5], exec
	s_and_b64 s[8:9], s[8:9], exec
	s_or_b64 s[4:5], s[4:5], s[8:9]
	s_or_b64 exec, exec, s[6:7]
	s_and_saveexec_b64 s[6:7], s[4:5]
	s_cbranch_execnz .LBB8_1415
	s_branch .LBB8_1416
.LBB8_3465:
	s_movk_i32 s4, 0x80
	v_cmp_eq_u16_sdwa s[12:13], v11, s4 src0_sel:BYTE_0 src1_sel:DWORD
	s_mov_b64 s[4:5], -1
                                        ; implicit-def: $sgpr10
	s_and_saveexec_b64 s[8:9], s[12:13]
; %bb.3466:
	s_mov_b32 s10, 0x7f800001
	s_xor_b64 s[4:5], exec, -1
; %bb.3467:
	s_or_b64 exec, exec, s[8:9]
	s_and_b64 s[4:5], s[4:5], exec
	s_or_saveexec_b64 s[6:7], s[6:7]
	v_mov_b32_e32 v10, s10
	s_xor_b64 exec, exec, s[6:7]
	s_cbranch_execz .LBB8_1418
.LBB8_3468:
	v_mov_b32_e32 v10, 0
	v_cmp_ne_u16_sdwa s[8:9], v11, v10 src0_sel:BYTE_0 src1_sel:DWORD
	s_andn2_b64 s[4:5], s[4:5], exec
	s_and_b64 s[8:9], s[8:9], exec
	s_or_b64 s[4:5], s[4:5], s[8:9]
	s_or_b64 exec, exec, s[6:7]
	s_and_saveexec_b64 s[6:7], s[4:5]
	s_cbranch_execnz .LBB8_1419
	s_branch .LBB8_1420
.LBB8_3469:
	s_movk_i32 s4, 0x80
	v_cmp_eq_u16_sdwa s[12:13], v11, s4 src0_sel:BYTE_0 src1_sel:DWORD
	s_mov_b64 s[4:5], -1
                                        ; implicit-def: $sgpr10
	s_and_saveexec_b64 s[8:9], s[12:13]
; %bb.3470:
	s_mov_b32 s10, 0x7f800001
	s_xor_b64 s[4:5], exec, -1
; %bb.3471:
	s_or_b64 exec, exec, s[8:9]
	s_and_b64 s[4:5], s[4:5], exec
	s_or_saveexec_b64 s[6:7], s[6:7]
	v_mov_b32_e32 v12, s10
	s_xor_b64 exec, exec, s[6:7]
	s_cbranch_execz .LBB8_1422
.LBB8_3472:
	v_mov_b32_e32 v12, 0
	v_cmp_ne_u16_sdwa s[8:9], v11, v12 src0_sel:BYTE_0 src1_sel:DWORD
	s_andn2_b64 s[4:5], s[4:5], exec
	s_and_b64 s[8:9], s[8:9], exec
	s_or_b64 s[4:5], s[4:5], s[8:9]
	s_or_b64 exec, exec, s[6:7]
	s_and_saveexec_b64 s[6:7], s[4:5]
	s_cbranch_execnz .LBB8_1423
	s_branch .LBB8_1424
.LBB8_3473:
	s_movk_i32 s4, 0x80
	v_cmp_eq_u16_e32 vcc, s4, v11
	s_mov_b64 s[4:5], -1
                                        ; implicit-def: $sgpr10
	s_and_saveexec_b64 s[8:9], vcc
; %bb.3474:
	s_mov_b32 s10, 0x7f800001
	s_xor_b64 s[4:5], exec, -1
; %bb.3475:
	s_or_b64 exec, exec, s[8:9]
	s_and_b64 s[4:5], s[4:5], exec
                                        ; implicit-def: $vgpr11
	s_or_saveexec_b64 s[6:7], s[6:7]
	v_mov_b32_e32 v10, s10
	s_xor_b64 exec, exec, s[6:7]
	s_cbranch_execz .LBB8_1426
.LBB8_3476:
	v_cmp_ne_u16_e32 vcc, 0, v11
	s_andn2_b64 s[4:5], s[4:5], exec
	s_and_b64 s[8:9], vcc, exec
	v_mov_b32_e32 v10, 0
	s_or_b64 s[4:5], s[4:5], s[8:9]
	s_or_b64 exec, exec, s[6:7]
	s_and_saveexec_b64 s[6:7], s[4:5]
	s_cbranch_execnz .LBB8_1427
	s_branch .LBB8_1428
.LBB8_3477:
	s_movk_i32 s4, 0x80
	v_cmp_eq_u16_e32 vcc, s4, v11
	s_mov_b64 s[4:5], -1
                                        ; implicit-def: $sgpr10
	s_and_saveexec_b64 s[8:9], vcc
; %bb.3478:
	s_mov_b32 s10, 0x7f800001
	s_xor_b64 s[4:5], exec, -1
; %bb.3479:
	s_or_b64 exec, exec, s[8:9]
	s_and_b64 s[4:5], s[4:5], exec
                                        ; implicit-def: $vgpr11
	s_or_saveexec_b64 s[6:7], s[6:7]
	v_mov_b32_e32 v12, s10
	s_xor_b64 exec, exec, s[6:7]
	s_cbranch_execz .LBB8_1430
.LBB8_3480:
	v_cmp_ne_u16_e32 vcc, 0, v11
	s_andn2_b64 s[4:5], s[4:5], exec
	s_and_b64 s[8:9], vcc, exec
	v_mov_b32_e32 v12, 0
	s_or_b64 s[4:5], s[4:5], s[8:9]
	s_or_b64 exec, exec, s[6:7]
	s_and_saveexec_b64 s[6:7], s[4:5]
	s_cbranch_execnz .LBB8_1431
	s_branch .LBB8_1432
.LBB8_3481:
	s_movk_i32 s4, 0x80
	v_cmp_eq_u16_sdwa s[12:13], v6, s4 src0_sel:BYTE_3 src1_sel:DWORD
	s_mov_b64 s[4:5], -1
                                        ; implicit-def: $sgpr10
	s_and_saveexec_b64 s[8:9], s[12:13]
; %bb.3482:
	s_mov_b32 s10, 0x7f800001
	s_xor_b64 s[4:5], exec, -1
; %bb.3483:
	s_or_b64 exec, exec, s[8:9]
	s_and_b64 s[4:5], s[4:5], exec
	s_or_saveexec_b64 s[6:7], s[6:7]
	v_mov_b32_e32 v10, s10
	s_xor_b64 exec, exec, s[6:7]
	s_cbranch_execz .LBB8_1434
.LBB8_3484:
	v_mov_b32_e32 v10, 0
	v_cmp_ne_u16_sdwa s[8:9], v6, v10 src0_sel:BYTE_3 src1_sel:DWORD
	s_andn2_b64 s[4:5], s[4:5], exec
	s_and_b64 s[8:9], s[8:9], exec
	s_or_b64 s[4:5], s[4:5], s[8:9]
	s_or_b64 exec, exec, s[6:7]
	s_and_saveexec_b64 s[6:7], s[4:5]
	s_cbranch_execnz .LBB8_1435
	s_branch .LBB8_1436
.LBB8_3485:
	s_movk_i32 s4, 0x80
	v_cmp_eq_u16_sdwa s[12:13], v2, s4 src0_sel:BYTE_3 src1_sel:DWORD
	s_mov_b64 s[4:5], -1
                                        ; implicit-def: $sgpr10
	s_and_saveexec_b64 s[8:9], s[12:13]
; %bb.3486:
	s_mov_b32 s10, 0x7f800001
	s_xor_b64 s[4:5], exec, -1
; %bb.3487:
	s_or_b64 exec, exec, s[8:9]
	s_and_b64 s[4:5], s[4:5], exec
	s_or_saveexec_b64 s[6:7], s[6:7]
	v_mov_b32_e32 v6, s10
	s_xor_b64 exec, exec, s[6:7]
	s_cbranch_execz .LBB8_1438
.LBB8_3488:
	v_mov_b32_e32 v6, 0
	v_cmp_ne_u16_sdwa s[8:9], v2, v6 src0_sel:BYTE_3 src1_sel:DWORD
	s_andn2_b64 s[4:5], s[4:5], exec
	s_and_b64 s[8:9], s[8:9], exec
	s_or_b64 s[4:5], s[4:5], s[8:9]
	s_or_b64 exec, exec, s[6:7]
	s_and_saveexec_b64 s[6:7], s[4:5]
	s_cbranch_execnz .LBB8_1439
	s_branch .LBB8_1440
.LBB8_3489:
	s_movk_i32 s4, 0x80
	v_cmp_eq_u16_sdwa s[12:13], v7, s4 src0_sel:BYTE_0 src1_sel:DWORD
	s_mov_b64 s[4:5], -1
                                        ; implicit-def: $sgpr10
	s_and_saveexec_b64 s[8:9], s[12:13]
; %bb.3490:
	s_mov_b32 s10, 0x7f800001
	s_xor_b64 s[4:5], exec, -1
; %bb.3491:
	s_or_b64 exec, exec, s[8:9]
	s_and_b64 s[4:5], s[4:5], exec
	s_or_saveexec_b64 s[6:7], s[6:7]
	v_mov_b32_e32 v2, s10
	s_xor_b64 exec, exec, s[6:7]
	s_cbranch_execz .LBB8_1442
.LBB8_3492:
	v_mov_b32_e32 v2, 0
	v_cmp_ne_u16_sdwa s[8:9], v7, v2 src0_sel:BYTE_0 src1_sel:DWORD
	s_andn2_b64 s[4:5], s[4:5], exec
	s_and_b64 s[8:9], s[8:9], exec
	s_or_b64 s[4:5], s[4:5], s[8:9]
	s_or_b64 exec, exec, s[6:7]
	s_and_saveexec_b64 s[6:7], s[4:5]
	s_cbranch_execnz .LBB8_1443
	s_branch .LBB8_1444
.LBB8_3493:
	s_movk_i32 s4, 0x80
	v_cmp_eq_u16_sdwa s[12:13], v3, s4 src0_sel:BYTE_0 src1_sel:DWORD
	s_mov_b64 s[4:5], -1
                                        ; implicit-def: $sgpr10
	s_and_saveexec_b64 s[8:9], s[12:13]
; %bb.3494:
	s_mov_b32 s10, 0x7f800001
	s_xor_b64 s[4:5], exec, -1
; %bb.3495:
	s_or_b64 exec, exec, s[8:9]
	s_and_b64 s[4:5], s[4:5], exec
	s_or_saveexec_b64 s[6:7], s[6:7]
	v_mov_b32_e32 v6, s10
	s_xor_b64 exec, exec, s[6:7]
	s_cbranch_execz .LBB8_1446
.LBB8_3496:
	v_mov_b32_e32 v6, 0
	v_cmp_ne_u16_sdwa s[8:9], v3, v6 src0_sel:BYTE_0 src1_sel:DWORD
	s_andn2_b64 s[4:5], s[4:5], exec
	s_and_b64 s[8:9], s[8:9], exec
	s_or_b64 s[4:5], s[4:5], s[8:9]
	s_or_b64 exec, exec, s[6:7]
	s_and_saveexec_b64 s[6:7], s[4:5]
	s_cbranch_execnz .LBB8_1447
	s_branch .LBB8_1448
.LBB8_3497:
	s_movk_i32 s4, 0x80
	v_cmp_eq_u16_sdwa s[12:13], v6, s4 src0_sel:BYTE_0 src1_sel:DWORD
	s_mov_b64 s[4:5], -1
                                        ; implicit-def: $sgpr10
	s_and_saveexec_b64 s[8:9], s[12:13]
; %bb.3498:
	s_mov_b32 s10, 0x7f800001
	s_xor_b64 s[4:5], exec, -1
; %bb.3499:
	s_or_b64 exec, exec, s[8:9]
	s_and_b64 s[4:5], s[4:5], exec
	s_or_saveexec_b64 s[6:7], s[6:7]
	v_mov_b32_e32 v2, s10
	s_xor_b64 exec, exec, s[6:7]
	s_cbranch_execz .LBB8_1450
.LBB8_3500:
	v_mov_b32_e32 v2, 0
	v_cmp_ne_u16_sdwa s[8:9], v6, v2 src0_sel:BYTE_0 src1_sel:DWORD
	s_andn2_b64 s[4:5], s[4:5], exec
	s_and_b64 s[8:9], s[8:9], exec
	s_or_b64 s[4:5], s[4:5], s[8:9]
	s_or_b64 exec, exec, s[6:7]
	s_and_saveexec_b64 s[6:7], s[4:5]
	s_cbranch_execnz .LBB8_1451
	s_branch .LBB8_1452
.LBB8_3501:
	s_movk_i32 s4, 0x80
	v_cmp_eq_u16_sdwa s[12:13], v6, s4 src0_sel:BYTE_0 src1_sel:DWORD
	s_mov_b64 s[4:5], -1
                                        ; implicit-def: $sgpr10
	s_and_saveexec_b64 s[8:9], s[12:13]
; %bb.3502:
	s_mov_b32 s10, 0x7f800001
	s_xor_b64 s[4:5], exec, -1
; %bb.3503:
	s_or_b64 exec, exec, s[8:9]
	s_and_b64 s[4:5], s[4:5], exec
	s_or_saveexec_b64 s[6:7], s[6:7]
	v_mov_b32_e32 v10, s10
	s_xor_b64 exec, exec, s[6:7]
	s_cbranch_execz .LBB8_1454
.LBB8_3504:
	v_mov_b32_e32 v10, 0
	v_cmp_ne_u16_sdwa s[8:9], v6, v10 src0_sel:BYTE_0 src1_sel:DWORD
	s_andn2_b64 s[4:5], s[4:5], exec
	s_and_b64 s[8:9], s[8:9], exec
	s_or_b64 s[4:5], s[4:5], s[8:9]
	s_or_b64 exec, exec, s[6:7]
	s_and_saveexec_b64 s[6:7], s[4:5]
	s_cbranch_execnz .LBB8_1455
	s_branch .LBB8_1456
.LBB8_3505:
	s_movk_i32 s4, 0x80
	v_cmp_eq_u16_e32 vcc, s4, v6
	s_mov_b64 s[4:5], -1
                                        ; implicit-def: $sgpr10
	s_and_saveexec_b64 s[8:9], vcc
; %bb.3506:
	s_mov_b32 s10, 0x7f800001
	s_xor_b64 s[4:5], exec, -1
; %bb.3507:
	s_or_b64 exec, exec, s[8:9]
	s_and_b64 s[4:5], s[4:5], exec
                                        ; implicit-def: $vgpr6
	s_or_saveexec_b64 s[6:7], s[6:7]
	v_mov_b32_e32 v2, s10
	s_xor_b64 exec, exec, s[6:7]
	s_cbranch_execz .LBB8_1458
.LBB8_3508:
	v_cmp_ne_u16_e32 vcc, 0, v6
	s_andn2_b64 s[4:5], s[4:5], exec
	s_and_b64 s[8:9], vcc, exec
	v_mov_b32_e32 v2, 0
	s_or_b64 s[4:5], s[4:5], s[8:9]
	s_or_b64 exec, exec, s[6:7]
	s_and_saveexec_b64 s[6:7], s[4:5]
	s_cbranch_execnz .LBB8_1459
	s_branch .LBB8_1460
.LBB8_3509:
	s_movk_i32 s4, 0x80
	v_cmp_eq_u16_e32 vcc, s4, v6
	s_mov_b64 s[4:5], -1
                                        ; implicit-def: $sgpr10
	s_and_saveexec_b64 s[8:9], vcc
; %bb.3510:
	s_mov_b32 s10, 0x7f800001
	s_xor_b64 s[4:5], exec, -1
; %bb.3511:
	s_or_b64 exec, exec, s[8:9]
	s_and_b64 s[4:5], s[4:5], exec
                                        ; implicit-def: $vgpr6
	s_or_saveexec_b64 s[6:7], s[6:7]
	v_mov_b32_e32 v10, s10
	s_xor_b64 exec, exec, s[6:7]
	s_cbranch_execz .LBB8_1462
.LBB8_3512:
	v_cmp_ne_u16_e32 vcc, 0, v6
	s_andn2_b64 s[4:5], s[4:5], exec
	s_and_b64 s[8:9], vcc, exec
	v_mov_b32_e32 v10, 0
	s_or_b64 s[4:5], s[4:5], s[8:9]
	s_or_b64 exec, exec, s[6:7]
	s_and_saveexec_b64 s[6:7], s[4:5]
	s_cbranch_execnz .LBB8_1463
	s_branch .LBB8_1464
.LBB8_3513:
	s_movk_i32 s4, 0x80
	v_cmp_eq_u16_sdwa s[12:13], v7, s4 src0_sel:BYTE_3 src1_sel:DWORD
	s_mov_b64 s[4:5], -1
                                        ; implicit-def: $sgpr10
	s_and_saveexec_b64 s[8:9], s[12:13]
; %bb.3514:
	s_mov_b32 s10, 0x7f800001
	s_xor_b64 s[4:5], exec, -1
; %bb.3515:
	s_or_b64 exec, exec, s[8:9]
	s_and_b64 s[4:5], s[4:5], exec
	s_or_saveexec_b64 s[6:7], s[6:7]
	v_mov_b32_e32 v2, s10
	s_xor_b64 exec, exec, s[6:7]
	s_cbranch_execz .LBB8_1466
.LBB8_3516:
	v_mov_b32_e32 v2, 0
	v_cmp_ne_u16_sdwa s[8:9], v7, v2 src0_sel:BYTE_3 src1_sel:DWORD
	s_andn2_b64 s[4:5], s[4:5], exec
	s_and_b64 s[8:9], s[8:9], exec
	s_or_b64 s[4:5], s[4:5], s[8:9]
	s_or_b64 exec, exec, s[6:7]
	s_and_saveexec_b64 s[6:7], s[4:5]
	s_cbranch_execnz .LBB8_1467
	s_branch .LBB8_1468
.LBB8_3517:
	s_movk_i32 s4, 0x80
	v_cmp_eq_u16_sdwa s[12:13], v3, s4 src0_sel:BYTE_3 src1_sel:DWORD
	s_mov_b64 s[4:5], -1
                                        ; implicit-def: $sgpr10
	s_and_saveexec_b64 s[8:9], s[12:13]
; %bb.3518:
	s_mov_b32 s10, 0x7f800001
	s_xor_b64 s[4:5], exec, -1
; %bb.3519:
	s_or_b64 exec, exec, s[8:9]
	s_and_b64 s[4:5], s[4:5], exec
	s_or_saveexec_b64 s[6:7], s[6:7]
	v_mov_b32_e32 v6, s10
	s_xor_b64 exec, exec, s[6:7]
	s_cbranch_execz .LBB8_1470
.LBB8_3520:
	v_mov_b32_e32 v6, 0
	v_cmp_ne_u16_sdwa s[8:9], v3, v6 src0_sel:BYTE_3 src1_sel:DWORD
	s_andn2_b64 s[4:5], s[4:5], exec
	s_and_b64 s[8:9], s[8:9], exec
	s_or_b64 s[4:5], s[4:5], s[8:9]
	s_or_b64 exec, exec, s[6:7]
	s_and_saveexec_b64 s[6:7], s[4:5]
	s_cbranch_execnz .LBB8_1471
	s_branch .LBB8_1472
.LBB8_3521:
	s_movk_i32 s4, 0x80
	v_cmp_eq_u16_sdwa s[12:13], v8, s4 src0_sel:BYTE_0 src1_sel:DWORD
	s_mov_b64 s[4:5], -1
                                        ; implicit-def: $sgpr10
	s_and_saveexec_b64 s[8:9], s[12:13]
; %bb.3522:
	s_mov_b32 s10, 0x7f800001
	s_xor_b64 s[4:5], exec, -1
; %bb.3523:
	s_or_b64 exec, exec, s[8:9]
	s_and_b64 s[4:5], s[4:5], exec
	s_or_saveexec_b64 s[6:7], s[6:7]
	v_mov_b32_e32 v2, s10
	s_xor_b64 exec, exec, s[6:7]
	s_cbranch_execz .LBB8_1474
.LBB8_3524:
	v_mov_b32_e32 v2, 0
	v_cmp_ne_u16_sdwa s[8:9], v8, v2 src0_sel:BYTE_0 src1_sel:DWORD
	s_andn2_b64 s[4:5], s[4:5], exec
	s_and_b64 s[8:9], s[8:9], exec
	s_or_b64 s[4:5], s[4:5], s[8:9]
	s_or_b64 exec, exec, s[6:7]
	s_and_saveexec_b64 s[6:7], s[4:5]
	s_cbranch_execnz .LBB8_1475
	s_branch .LBB8_1476
.LBB8_3525:
	s_movk_i32 s4, 0x80
	v_cmp_eq_u16_sdwa s[12:13], v4, s4 src0_sel:BYTE_0 src1_sel:DWORD
	s_mov_b64 s[4:5], -1
                                        ; implicit-def: $sgpr10
	s_and_saveexec_b64 s[8:9], s[12:13]
; %bb.3526:
	s_mov_b32 s10, 0x7f800001
	s_xor_b64 s[4:5], exec, -1
; %bb.3527:
	s_or_b64 exec, exec, s[8:9]
	s_and_b64 s[4:5], s[4:5], exec
	s_or_saveexec_b64 s[6:7], s[6:7]
	v_mov_b32_e32 v3, s10
	s_xor_b64 exec, exec, s[6:7]
	s_cbranch_execz .LBB8_1478
.LBB8_3528:
	v_mov_b32_e32 v3, 0
	v_cmp_ne_u16_sdwa s[8:9], v4, v3 src0_sel:BYTE_0 src1_sel:DWORD
	s_andn2_b64 s[4:5], s[4:5], exec
	s_and_b64 s[8:9], s[8:9], exec
	s_or_b64 s[4:5], s[4:5], s[8:9]
	s_or_b64 exec, exec, s[6:7]
	s_and_saveexec_b64 s[6:7], s[4:5]
	s_cbranch_execnz .LBB8_1479
	s_branch .LBB8_1480
.LBB8_3529:
	s_movk_i32 s4, 0x80
	v_cmp_eq_u16_sdwa s[12:13], v3, s4 src0_sel:BYTE_0 src1_sel:DWORD
	s_mov_b64 s[4:5], -1
                                        ; implicit-def: $sgpr10
	s_and_saveexec_b64 s[8:9], s[12:13]
; %bb.3530:
	s_mov_b32 s10, 0x7f800001
	s_xor_b64 s[4:5], exec, -1
; %bb.3531:
	s_or_b64 exec, exec, s[8:9]
	s_and_b64 s[4:5], s[4:5], exec
	s_or_saveexec_b64 s[6:7], s[6:7]
	v_mov_b32_e32 v2, s10
	s_xor_b64 exec, exec, s[6:7]
	s_cbranch_execz .LBB8_1482
.LBB8_3532:
	v_mov_b32_e32 v2, 0
	v_cmp_ne_u16_sdwa s[8:9], v3, v2 src0_sel:BYTE_0 src1_sel:DWORD
	s_andn2_b64 s[4:5], s[4:5], exec
	s_and_b64 s[8:9], s[8:9], exec
	s_or_b64 s[4:5], s[4:5], s[8:9]
	s_or_b64 exec, exec, s[6:7]
	s_and_saveexec_b64 s[6:7], s[4:5]
	s_cbranch_execnz .LBB8_1483
	s_branch .LBB8_1484
.LBB8_3533:
	s_movk_i32 s4, 0x80
	v_cmp_eq_u16_sdwa s[12:13], v3, s4 src0_sel:BYTE_0 src1_sel:DWORD
	s_mov_b64 s[4:5], -1
                                        ; implicit-def: $sgpr10
	s_and_saveexec_b64 s[8:9], s[12:13]
; %bb.3534:
	s_mov_b32 s10, 0x7f800001
	s_xor_b64 s[4:5], exec, -1
; %bb.3535:
	s_or_b64 exec, exec, s[8:9]
	s_and_b64 s[4:5], s[4:5], exec
	s_or_saveexec_b64 s[6:7], s[6:7]
	v_mov_b32_e32 v6, s10
	s_xor_b64 exec, exec, s[6:7]
	s_cbranch_execz .LBB8_1486
.LBB8_3536:
	v_mov_b32_e32 v6, 0
	v_cmp_ne_u16_sdwa s[8:9], v3, v6 src0_sel:BYTE_0 src1_sel:DWORD
	s_andn2_b64 s[4:5], s[4:5], exec
	s_and_b64 s[8:9], s[8:9], exec
	s_or_b64 s[4:5], s[4:5], s[8:9]
	s_or_b64 exec, exec, s[6:7]
	s_and_saveexec_b64 s[6:7], s[4:5]
	s_cbranch_execnz .LBB8_1487
	s_branch .LBB8_1488
.LBB8_3537:
	s_movk_i32 s4, 0x80
	v_cmp_eq_u16_e32 vcc, s4, v3
	s_mov_b64 s[4:5], -1
                                        ; implicit-def: $sgpr10
	s_and_saveexec_b64 s[8:9], vcc
; %bb.3538:
	s_mov_b32 s10, 0x7f800001
	s_xor_b64 s[4:5], exec, -1
; %bb.3539:
	s_or_b64 exec, exec, s[8:9]
	s_and_b64 s[4:5], s[4:5], exec
                                        ; implicit-def: $vgpr3
	s_or_saveexec_b64 s[6:7], s[6:7]
	v_mov_b32_e32 v2, s10
	s_xor_b64 exec, exec, s[6:7]
	s_cbranch_execz .LBB8_1490
.LBB8_3540:
	v_cmp_ne_u16_e32 vcc, 0, v3
	s_andn2_b64 s[4:5], s[4:5], exec
	s_and_b64 s[8:9], vcc, exec
	v_mov_b32_e32 v2, 0
	s_or_b64 s[4:5], s[4:5], s[8:9]
	s_or_b64 exec, exec, s[6:7]
	s_and_saveexec_b64 s[6:7], s[4:5]
	s_cbranch_execnz .LBB8_1491
	s_branch .LBB8_1492
.LBB8_3541:
	s_movk_i32 s4, 0x80
	v_cmp_eq_u16_e32 vcc, s4, v3
	s_mov_b64 s[4:5], -1
                                        ; implicit-def: $sgpr10
	s_and_saveexec_b64 s[8:9], vcc
; %bb.3542:
	s_mov_b32 s10, 0x7f800001
	s_xor_b64 s[4:5], exec, -1
; %bb.3543:
	s_or_b64 exec, exec, s[8:9]
	s_and_b64 s[4:5], s[4:5], exec
                                        ; implicit-def: $vgpr3
	s_or_saveexec_b64 s[6:7], s[6:7]
	v_mov_b32_e32 v6, s10
	s_xor_b64 exec, exec, s[6:7]
	s_cbranch_execz .LBB8_1494
.LBB8_3544:
	v_cmp_ne_u16_e32 vcc, 0, v3
	s_andn2_b64 s[4:5], s[4:5], exec
	s_and_b64 s[8:9], vcc, exec
	v_mov_b32_e32 v6, 0
	s_or_b64 s[4:5], s[4:5], s[8:9]
	s_or_b64 exec, exec, s[6:7]
	s_and_saveexec_b64 s[6:7], s[4:5]
	s_cbranch_execnz .LBB8_1495
	s_branch .LBB8_1496
.LBB8_3545:
	s_movk_i32 s4, 0x80
	v_cmp_eq_u16_sdwa s[12:13], v8, s4 src0_sel:BYTE_3 src1_sel:DWORD
	s_mov_b64 s[4:5], -1
                                        ; implicit-def: $sgpr10
	s_and_saveexec_b64 s[8:9], s[12:13]
; %bb.3546:
	s_mov_b32 s10, 0x7f800001
	s_xor_b64 s[4:5], exec, -1
; %bb.3547:
	s_or_b64 exec, exec, s[8:9]
	s_and_b64 s[4:5], s[4:5], exec
	s_or_saveexec_b64 s[6:7], s[6:7]
	v_mov_b32_e32 v2, s10
	s_xor_b64 exec, exec, s[6:7]
	s_cbranch_execz .LBB8_1498
.LBB8_3548:
	v_mov_b32_e32 v2, 0
	v_cmp_ne_u16_sdwa s[8:9], v8, v2 src0_sel:BYTE_3 src1_sel:DWORD
	s_andn2_b64 s[4:5], s[4:5], exec
	s_and_b64 s[8:9], s[8:9], exec
	s_or_b64 s[4:5], s[4:5], s[8:9]
	s_or_b64 exec, exec, s[6:7]
	s_and_saveexec_b64 s[6:7], s[4:5]
	s_cbranch_execnz .LBB8_1499
	s_branch .LBB8_1500
.LBB8_3549:
	s_movk_i32 s4, 0x80
	v_cmp_eq_u16_sdwa s[12:13], v4, s4 src0_sel:BYTE_3 src1_sel:DWORD
	s_mov_b64 s[4:5], -1
                                        ; implicit-def: $sgpr10
	s_and_saveexec_b64 s[8:9], s[12:13]
; %bb.3550:
	s_mov_b32 s10, 0x7f800001
	s_xor_b64 s[4:5], exec, -1
; %bb.3551:
	s_or_b64 exec, exec, s[8:9]
	s_and_b64 s[4:5], s[4:5], exec
	s_or_saveexec_b64 s[6:7], s[6:7]
	v_mov_b32_e32 v3, s10
	s_xor_b64 exec, exec, s[6:7]
	s_cbranch_execz .LBB8_1502
.LBB8_3552:
	v_mov_b32_e32 v3, 0
	v_cmp_ne_u16_sdwa s[8:9], v4, v3 src0_sel:BYTE_3 src1_sel:DWORD
	s_andn2_b64 s[4:5], s[4:5], exec
	s_and_b64 s[8:9], s[8:9], exec
	s_or_b64 s[4:5], s[4:5], s[8:9]
	s_or_b64 exec, exec, s[6:7]
	s_and_saveexec_b64 s[6:7], s[4:5]
	s_cbranch_execnz .LBB8_1503
	s_branch .LBB8_1504
.LBB8_3553:
	s_movk_i32 s4, 0x80
	v_cmp_eq_u16_sdwa s[12:13], v9, s4 src0_sel:BYTE_0 src1_sel:DWORD
	s_mov_b64 s[4:5], -1
                                        ; implicit-def: $sgpr10
	s_and_saveexec_b64 s[8:9], s[12:13]
; %bb.3554:
	s_mov_b32 s10, 0x7f800001
	s_xor_b64 s[4:5], exec, -1
; %bb.3555:
	s_or_b64 exec, exec, s[8:9]
	s_and_b64 s[4:5], s[4:5], exec
	s_or_saveexec_b64 s[6:7], s[6:7]
	v_mov_b32_e32 v2, s10
	s_xor_b64 exec, exec, s[6:7]
	s_cbranch_execz .LBB8_1506
.LBB8_3556:
	v_mov_b32_e32 v2, 0
	v_cmp_ne_u16_sdwa s[8:9], v9, v2 src0_sel:BYTE_0 src1_sel:DWORD
	s_andn2_b64 s[4:5], s[4:5], exec
	s_and_b64 s[8:9], s[8:9], exec
	s_or_b64 s[4:5], s[4:5], s[8:9]
	s_or_b64 exec, exec, s[6:7]
	s_and_saveexec_b64 s[6:7], s[4:5]
	s_cbranch_execnz .LBB8_1507
	s_branch .LBB8_1508
.LBB8_3557:
	s_movk_i32 s4, 0x80
	v_cmp_eq_u16_sdwa s[12:13], v5, s4 src0_sel:BYTE_0 src1_sel:DWORD
	s_mov_b64 s[4:5], -1
                                        ; implicit-def: $sgpr10
	s_and_saveexec_b64 s[8:9], s[12:13]
; %bb.3558:
	s_mov_b32 s10, 0x7f800001
	s_xor_b64 s[4:5], exec, -1
; %bb.3559:
	s_or_b64 exec, exec, s[8:9]
	s_and_b64 s[4:5], s[4:5], exec
	s_or_saveexec_b64 s[6:7], s[6:7]
	v_mov_b32_e32 v3, s10
	s_xor_b64 exec, exec, s[6:7]
	s_cbranch_execz .LBB8_1510
.LBB8_3560:
	v_mov_b32_e32 v3, 0
	v_cmp_ne_u16_sdwa s[8:9], v5, v3 src0_sel:BYTE_0 src1_sel:DWORD
	s_andn2_b64 s[4:5], s[4:5], exec
	s_and_b64 s[8:9], s[8:9], exec
	s_or_b64 s[4:5], s[4:5], s[8:9]
	s_or_b64 exec, exec, s[6:7]
	s_and_saveexec_b64 s[6:7], s[4:5]
	s_cbranch_execnz .LBB8_1511
	s_branch .LBB8_1512
.LBB8_3561:
	s_movk_i32 s4, 0x80
	v_cmp_eq_u16_sdwa s[12:13], v3, s4 src0_sel:BYTE_0 src1_sel:DWORD
	s_mov_b64 s[4:5], -1
                                        ; implicit-def: $sgpr10
	s_and_saveexec_b64 s[8:9], s[12:13]
; %bb.3562:
	s_mov_b32 s10, 0x7f800001
	s_xor_b64 s[4:5], exec, -1
; %bb.3563:
	s_or_b64 exec, exec, s[8:9]
	s_and_b64 s[4:5], s[4:5], exec
	s_or_saveexec_b64 s[6:7], s[6:7]
	v_mov_b32_e32 v2, s10
	s_xor_b64 exec, exec, s[6:7]
	s_cbranch_execz .LBB8_1514
.LBB8_3564:
	v_mov_b32_e32 v2, 0
	v_cmp_ne_u16_sdwa s[8:9], v3, v2 src0_sel:BYTE_0 src1_sel:DWORD
	s_andn2_b64 s[4:5], s[4:5], exec
	s_and_b64 s[8:9], s[8:9], exec
	s_or_b64 s[4:5], s[4:5], s[8:9]
	s_or_b64 exec, exec, s[6:7]
	s_and_saveexec_b64 s[6:7], s[4:5]
	s_cbranch_execnz .LBB8_1515
	s_branch .LBB8_1516
.LBB8_3565:
	s_movk_i32 s4, 0x80
	v_cmp_eq_u16_sdwa s[12:13], v3, s4 src0_sel:BYTE_0 src1_sel:DWORD
	s_mov_b64 s[4:5], -1
                                        ; implicit-def: $sgpr10
	s_and_saveexec_b64 s[8:9], s[12:13]
; %bb.3566:
	s_mov_b32 s10, 0x7f800001
	s_xor_b64 s[4:5], exec, -1
; %bb.3567:
	s_or_b64 exec, exec, s[8:9]
	s_and_b64 s[4:5], s[4:5], exec
	s_or_saveexec_b64 s[6:7], s[6:7]
	v_mov_b32_e32 v4, s10
	s_xor_b64 exec, exec, s[6:7]
	s_cbranch_execz .LBB8_1518
.LBB8_3568:
	v_mov_b32_e32 v4, 0
	v_cmp_ne_u16_sdwa s[8:9], v3, v4 src0_sel:BYTE_0 src1_sel:DWORD
	s_andn2_b64 s[4:5], s[4:5], exec
	s_and_b64 s[8:9], s[8:9], exec
	s_or_b64 s[4:5], s[4:5], s[8:9]
	s_or_b64 exec, exec, s[6:7]
	s_and_saveexec_b64 s[6:7], s[4:5]
	s_cbranch_execnz .LBB8_1519
	s_branch .LBB8_1520
.LBB8_3569:
	s_movk_i32 s4, 0x80
	v_cmp_eq_u16_e32 vcc, s4, v3
	s_mov_b64 s[4:5], -1
                                        ; implicit-def: $sgpr10
	s_and_saveexec_b64 s[8:9], vcc
; %bb.3570:
	s_mov_b32 s10, 0x7f800001
	s_xor_b64 s[4:5], exec, -1
; %bb.3571:
	s_or_b64 exec, exec, s[8:9]
	s_and_b64 s[4:5], s[4:5], exec
                                        ; implicit-def: $vgpr3
	s_or_saveexec_b64 s[6:7], s[6:7]
	v_mov_b32_e32 v2, s10
	s_xor_b64 exec, exec, s[6:7]
	s_cbranch_execz .LBB8_1522
.LBB8_3572:
	v_cmp_ne_u16_e32 vcc, 0, v3
	s_andn2_b64 s[4:5], s[4:5], exec
	s_and_b64 s[8:9], vcc, exec
	v_mov_b32_e32 v2, 0
	s_or_b64 s[4:5], s[4:5], s[8:9]
	s_or_b64 exec, exec, s[6:7]
	s_and_saveexec_b64 s[6:7], s[4:5]
	s_cbranch_execnz .LBB8_1523
	s_branch .LBB8_1524
.LBB8_3573:
	s_movk_i32 s4, 0x80
	v_cmp_eq_u16_e32 vcc, s4, v3
	s_mov_b64 s[4:5], -1
                                        ; implicit-def: $sgpr10
	s_and_saveexec_b64 s[8:9], vcc
; %bb.3574:
	s_mov_b32 s10, 0x7f800001
	s_xor_b64 s[4:5], exec, -1
; %bb.3575:
	s_or_b64 exec, exec, s[8:9]
	s_and_b64 s[4:5], s[4:5], exec
                                        ; implicit-def: $vgpr3
	s_or_saveexec_b64 s[6:7], s[6:7]
	v_mov_b32_e32 v4, s10
	s_xor_b64 exec, exec, s[6:7]
	s_cbranch_execz .LBB8_1526
.LBB8_3576:
	v_cmp_ne_u16_e32 vcc, 0, v3
	s_andn2_b64 s[4:5], s[4:5], exec
	s_and_b64 s[8:9], vcc, exec
	v_mov_b32_e32 v4, 0
	s_or_b64 s[4:5], s[4:5], s[8:9]
	s_or_b64 exec, exec, s[6:7]
	s_and_saveexec_b64 s[6:7], s[4:5]
	s_cbranch_execnz .LBB8_1527
	s_branch .LBB8_1528
.LBB8_3577:
	s_movk_i32 s4, 0x80
	v_cmp_eq_u16_sdwa s[12:13], v9, s4 src0_sel:BYTE_3 src1_sel:DWORD
	s_mov_b64 s[4:5], -1
                                        ; implicit-def: $sgpr10
	s_and_saveexec_b64 s[8:9], s[12:13]
; %bb.3578:
	s_mov_b32 s10, 0x7f800001
	s_xor_b64 s[4:5], exec, -1
; %bb.3579:
	s_or_b64 exec, exec, s[8:9]
	s_and_b64 s[4:5], s[4:5], exec
	s_or_saveexec_b64 s[6:7], s[6:7]
	v_mov_b32_e32 v2, s10
	s_xor_b64 exec, exec, s[6:7]
	s_cbranch_execz .LBB8_1530
.LBB8_3580:
	v_mov_b32_e32 v2, 0
	v_cmp_ne_u16_sdwa s[8:9], v9, v2 src0_sel:BYTE_3 src1_sel:DWORD
	s_andn2_b64 s[4:5], s[4:5], exec
	s_and_b64 s[8:9], s[8:9], exec
	s_or_b64 s[4:5], s[4:5], s[8:9]
	s_or_b64 exec, exec, s[6:7]
	s_and_saveexec_b64 s[6:7], s[4:5]
	s_cbranch_execnz .LBB8_1531
	s_branch .LBB8_1532
.LBB8_3581:
	s_movk_i32 s4, 0x80
	v_cmp_eq_u16_sdwa s[12:13], v5, s4 src0_sel:BYTE_3 src1_sel:DWORD
	s_mov_b64 s[4:5], -1
                                        ; implicit-def: $sgpr10
	s_and_saveexec_b64 s[8:9], s[12:13]
; %bb.3582:
	s_mov_b32 s10, 0x7f800001
	s_xor_b64 s[4:5], exec, -1
; %bb.3583:
	s_or_b64 exec, exec, s[8:9]
	s_and_b64 s[4:5], s[4:5], exec
	s_or_saveexec_b64 s[6:7], s[6:7]
	v_mov_b32_e32 v3, s10
	s_xor_b64 exec, exec, s[6:7]
	s_cbranch_execz .LBB8_1534
.LBB8_3584:
	v_mov_b32_e32 v3, 0
	v_cmp_ne_u16_sdwa s[8:9], v5, v3 src0_sel:BYTE_3 src1_sel:DWORD
	s_andn2_b64 s[4:5], s[4:5], exec
	s_and_b64 s[8:9], s[8:9], exec
	s_or_b64 s[4:5], s[4:5], s[8:9]
	s_or_b64 exec, exec, s[6:7]
	s_and_saveexec_b64 s[6:7], s[4:5]
	s_cbranch_execnz .LBB8_1535
	s_branch .LBB8_1536
.LBB8_3585:
	s_movk_i32 s4, 0x80
	v_cmp_eq_u16_sdwa s[12:13], v14, s4 src0_sel:BYTE_0 src1_sel:DWORD
	s_mov_b64 s[4:5], -1
                                        ; implicit-def: $sgpr10
	s_and_saveexec_b64 s[8:9], s[12:13]
; %bb.3586:
	s_mov_b32 s10, 0x7f800001
	s_xor_b64 s[4:5], exec, -1
; %bb.3587:
	s_or_b64 exec, exec, s[8:9]
	s_and_b64 s[4:5], s[4:5], exec
	s_or_saveexec_b64 s[6:7], s[6:7]
	v_mov_b32_e32 v20, s10
	s_xor_b64 exec, exec, s[6:7]
	s_cbranch_execz .LBB8_1538
.LBB8_3588:
	v_mov_b32_e32 v20, 0
	v_cmp_ne_u16_sdwa s[8:9], v14, v20 src0_sel:BYTE_0 src1_sel:DWORD
	s_andn2_b64 s[4:5], s[4:5], exec
	s_and_b64 s[8:9], s[8:9], exec
	s_or_b64 s[4:5], s[4:5], s[8:9]
	s_or_b64 exec, exec, s[6:7]
	s_and_saveexec_b64 s[6:7], s[4:5]
	s_cbranch_execnz .LBB8_1539
	s_branch .LBB8_1540
.LBB8_3589:
	s_movk_i32 s4, 0x80
	v_cmp_eq_u16_sdwa s[12:13], v10, s4 src0_sel:BYTE_0 src1_sel:DWORD
	s_mov_b64 s[4:5], -1
                                        ; implicit-def: $sgpr10
	s_and_saveexec_b64 s[8:9], s[12:13]
; %bb.3590:
	s_mov_b32 s10, 0x7f800001
	s_xor_b64 s[4:5], exec, -1
; %bb.3591:
	s_or_b64 exec, exec, s[8:9]
	s_and_b64 s[4:5], s[4:5], exec
	s_or_saveexec_b64 s[6:7], s[6:7]
	v_mov_b32_e32 v21, s10
	s_xor_b64 exec, exec, s[6:7]
	s_cbranch_execz .LBB8_1542
.LBB8_3592:
	v_mov_b32_e32 v21, 0
	v_cmp_ne_u16_sdwa s[8:9], v10, v21 src0_sel:BYTE_0 src1_sel:DWORD
	s_andn2_b64 s[4:5], s[4:5], exec
	s_and_b64 s[8:9], s[8:9], exec
	s_or_b64 s[4:5], s[4:5], s[8:9]
	s_or_b64 exec, exec, s[6:7]
	s_and_saveexec_b64 s[6:7], s[4:5]
	s_cbranch_execnz .LBB8_1543
	s_branch .LBB8_1544
.LBB8_3593:
	s_movk_i32 s4, 0x80
	v_cmp_eq_u16_sdwa s[12:13], v21, s4 src0_sel:BYTE_0 src1_sel:DWORD
	s_mov_b64 s[4:5], -1
                                        ; implicit-def: $sgpr10
	s_and_saveexec_b64 s[8:9], s[12:13]
; %bb.3594:
	s_mov_b32 s10, 0x7f800001
	s_xor_b64 s[4:5], exec, -1
; %bb.3595:
	s_or_b64 exec, exec, s[8:9]
	s_and_b64 s[4:5], s[4:5], exec
	s_or_saveexec_b64 s[6:7], s[6:7]
	v_mov_b32_e32 v20, s10
	s_xor_b64 exec, exec, s[6:7]
	s_cbranch_execz .LBB8_1546
.LBB8_3596:
	v_mov_b32_e32 v20, 0
	v_cmp_ne_u16_sdwa s[8:9], v21, v20 src0_sel:BYTE_0 src1_sel:DWORD
	s_andn2_b64 s[4:5], s[4:5], exec
	s_and_b64 s[8:9], s[8:9], exec
	s_or_b64 s[4:5], s[4:5], s[8:9]
	s_or_b64 exec, exec, s[6:7]
	s_and_saveexec_b64 s[6:7], s[4:5]
	s_cbranch_execnz .LBB8_1547
	s_branch .LBB8_1548
.LBB8_3597:
	s_movk_i32 s4, 0x80
	v_cmp_eq_u16_sdwa s[12:13], v21, s4 src0_sel:BYTE_0 src1_sel:DWORD
	s_mov_b64 s[4:5], -1
                                        ; implicit-def: $sgpr10
	s_and_saveexec_b64 s[8:9], s[12:13]
; %bb.3598:
	s_mov_b32 s10, 0x7f800001
	s_xor_b64 s[4:5], exec, -1
; %bb.3599:
	s_or_b64 exec, exec, s[8:9]
	s_and_b64 s[4:5], s[4:5], exec
	s_or_saveexec_b64 s[6:7], s[6:7]
	v_mov_b32_e32 v22, s10
	s_xor_b64 exec, exec, s[6:7]
	s_cbranch_execz .LBB8_1550
.LBB8_3600:
	v_mov_b32_e32 v22, 0
	v_cmp_ne_u16_sdwa s[8:9], v21, v22 src0_sel:BYTE_0 src1_sel:DWORD
	s_andn2_b64 s[4:5], s[4:5], exec
	s_and_b64 s[8:9], s[8:9], exec
	s_or_b64 s[4:5], s[4:5], s[8:9]
	s_or_b64 exec, exec, s[6:7]
	s_and_saveexec_b64 s[6:7], s[4:5]
	s_cbranch_execnz .LBB8_1551
	s_branch .LBB8_1552
.LBB8_3601:
	s_movk_i32 s4, 0x80
	v_cmp_eq_u16_e32 vcc, s4, v21
	s_mov_b64 s[4:5], -1
                                        ; implicit-def: $sgpr10
	s_and_saveexec_b64 s[8:9], vcc
; %bb.3602:
	s_mov_b32 s10, 0x7f800001
	s_xor_b64 s[4:5], exec, -1
; %bb.3603:
	s_or_b64 exec, exec, s[8:9]
	s_and_b64 s[4:5], s[4:5], exec
                                        ; implicit-def: $vgpr21
	s_or_saveexec_b64 s[6:7], s[6:7]
	v_mov_b32_e32 v20, s10
	s_xor_b64 exec, exec, s[6:7]
	s_cbranch_execz .LBB8_1554
.LBB8_3604:
	v_cmp_ne_u16_e32 vcc, 0, v21
	s_andn2_b64 s[4:5], s[4:5], exec
	s_and_b64 s[8:9], vcc, exec
	v_mov_b32_e32 v20, 0
	s_or_b64 s[4:5], s[4:5], s[8:9]
	s_or_b64 exec, exec, s[6:7]
	s_and_saveexec_b64 s[6:7], s[4:5]
	s_cbranch_execnz .LBB8_1555
	s_branch .LBB8_1556
.LBB8_3605:
	s_movk_i32 s4, 0x80
	v_cmp_eq_u16_e32 vcc, s4, v21
	s_mov_b64 s[4:5], -1
                                        ; implicit-def: $sgpr10
	s_and_saveexec_b64 s[8:9], vcc
; %bb.3606:
	s_mov_b32 s10, 0x7f800001
	s_xor_b64 s[4:5], exec, -1
; %bb.3607:
	s_or_b64 exec, exec, s[8:9]
	s_and_b64 s[4:5], s[4:5], exec
                                        ; implicit-def: $vgpr21
	s_or_saveexec_b64 s[6:7], s[6:7]
	v_mov_b32_e32 v22, s10
	s_xor_b64 exec, exec, s[6:7]
	s_cbranch_execz .LBB8_1558
.LBB8_3608:
	v_cmp_ne_u16_e32 vcc, 0, v21
	s_andn2_b64 s[4:5], s[4:5], exec
	s_and_b64 s[8:9], vcc, exec
	v_mov_b32_e32 v22, 0
	s_or_b64 s[4:5], s[4:5], s[8:9]
	s_or_b64 exec, exec, s[6:7]
	s_and_saveexec_b64 s[6:7], s[4:5]
	s_cbranch_execnz .LBB8_1559
	s_branch .LBB8_1560
.LBB8_3609:
	s_movk_i32 s4, 0x80
	v_cmp_eq_u16_sdwa s[12:13], v14, s4 src0_sel:BYTE_3 src1_sel:DWORD
	s_mov_b64 s[4:5], -1
                                        ; implicit-def: $sgpr10
	s_and_saveexec_b64 s[8:9], s[12:13]
; %bb.3610:
	s_mov_b32 s10, 0x7f800001
	s_xor_b64 s[4:5], exec, -1
; %bb.3611:
	s_or_b64 exec, exec, s[8:9]
	s_and_b64 s[4:5], s[4:5], exec
	s_or_saveexec_b64 s[6:7], s[6:7]
	v_mov_b32_e32 v20, s10
	s_xor_b64 exec, exec, s[6:7]
	s_cbranch_execz .LBB8_1562
.LBB8_3612:
	v_mov_b32_e32 v20, 0
	v_cmp_ne_u16_sdwa s[8:9], v14, v20 src0_sel:BYTE_3 src1_sel:DWORD
	s_andn2_b64 s[4:5], s[4:5], exec
	s_and_b64 s[8:9], s[8:9], exec
	s_or_b64 s[4:5], s[4:5], s[8:9]
	s_or_b64 exec, exec, s[6:7]
	s_and_saveexec_b64 s[6:7], s[4:5]
	s_cbranch_execnz .LBB8_1563
	s_branch .LBB8_1564
.LBB8_3613:
	s_movk_i32 s4, 0x80
	v_cmp_eq_u16_sdwa s[12:13], v10, s4 src0_sel:BYTE_3 src1_sel:DWORD
	s_mov_b64 s[4:5], -1
                                        ; implicit-def: $sgpr10
	s_and_saveexec_b64 s[8:9], s[12:13]
; %bb.3614:
	s_mov_b32 s10, 0x7f800001
	s_xor_b64 s[4:5], exec, -1
; %bb.3615:
	s_or_b64 exec, exec, s[8:9]
	s_and_b64 s[4:5], s[4:5], exec
	s_or_saveexec_b64 s[6:7], s[6:7]
	v_mov_b32_e32 v14, s10
	s_xor_b64 exec, exec, s[6:7]
	s_cbranch_execz .LBB8_1566
.LBB8_3616:
	v_mov_b32_e32 v14, 0
	v_cmp_ne_u16_sdwa s[8:9], v10, v14 src0_sel:BYTE_3 src1_sel:DWORD
	s_andn2_b64 s[4:5], s[4:5], exec
	s_and_b64 s[8:9], s[8:9], exec
	s_or_b64 s[4:5], s[4:5], s[8:9]
	s_or_b64 exec, exec, s[6:7]
	s_and_saveexec_b64 s[6:7], s[4:5]
	s_cbranch_execnz .LBB8_1567
	s_branch .LBB8_1568
.LBB8_3617:
	s_movk_i32 s4, 0x80
	v_cmp_eq_u16_sdwa s[12:13], v15, s4 src0_sel:BYTE_0 src1_sel:DWORD
	s_mov_b64 s[4:5], -1
                                        ; implicit-def: $sgpr10
	s_and_saveexec_b64 s[8:9], s[12:13]
; %bb.3618:
	s_mov_b32 s10, 0x7f800001
	s_xor_b64 s[4:5], exec, -1
; %bb.3619:
	s_or_b64 exec, exec, s[8:9]
	s_and_b64 s[4:5], s[4:5], exec
	s_or_saveexec_b64 s[6:7], s[6:7]
	v_mov_b32_e32 v10, s10
	s_xor_b64 exec, exec, s[6:7]
	s_cbranch_execz .LBB8_1570
.LBB8_3620:
	v_mov_b32_e32 v10, 0
	v_cmp_ne_u16_sdwa s[8:9], v15, v10 src0_sel:BYTE_0 src1_sel:DWORD
	s_andn2_b64 s[4:5], s[4:5], exec
	s_and_b64 s[8:9], s[8:9], exec
	s_or_b64 s[4:5], s[4:5], s[8:9]
	s_or_b64 exec, exec, s[6:7]
	s_and_saveexec_b64 s[6:7], s[4:5]
	s_cbranch_execnz .LBB8_1571
	s_branch .LBB8_1572
.LBB8_3621:
	s_movk_i32 s4, 0x80
	v_cmp_eq_u16_sdwa s[12:13], v11, s4 src0_sel:BYTE_0 src1_sel:DWORD
	s_mov_b64 s[4:5], -1
                                        ; implicit-def: $sgpr10
	s_and_saveexec_b64 s[8:9], s[12:13]
; %bb.3622:
	s_mov_b32 s10, 0x7f800001
	s_xor_b64 s[4:5], exec, -1
; %bb.3623:
	s_or_b64 exec, exec, s[8:9]
	s_and_b64 s[4:5], s[4:5], exec
	s_or_saveexec_b64 s[6:7], s[6:7]
	v_mov_b32_e32 v14, s10
	s_xor_b64 exec, exec, s[6:7]
	s_cbranch_execz .LBB8_1574
.LBB8_3624:
	v_mov_b32_e32 v14, 0
	v_cmp_ne_u16_sdwa s[8:9], v11, v14 src0_sel:BYTE_0 src1_sel:DWORD
	s_andn2_b64 s[4:5], s[4:5], exec
	s_and_b64 s[8:9], s[8:9], exec
	s_or_b64 s[4:5], s[4:5], s[8:9]
	s_or_b64 exec, exec, s[6:7]
	s_and_saveexec_b64 s[6:7], s[4:5]
	s_cbranch_execnz .LBB8_1575
	s_branch .LBB8_1576
.LBB8_3625:
	s_movk_i32 s4, 0x80
	v_cmp_eq_u16_sdwa s[12:13], v14, s4 src0_sel:BYTE_0 src1_sel:DWORD
	s_mov_b64 s[4:5], -1
                                        ; implicit-def: $sgpr10
	s_and_saveexec_b64 s[8:9], s[12:13]
; %bb.3626:
	s_mov_b32 s10, 0x7f800001
	s_xor_b64 s[4:5], exec, -1
; %bb.3627:
	s_or_b64 exec, exec, s[8:9]
	s_and_b64 s[4:5], s[4:5], exec
	s_or_saveexec_b64 s[6:7], s[6:7]
	v_mov_b32_e32 v10, s10
	s_xor_b64 exec, exec, s[6:7]
	s_cbranch_execz .LBB8_1578
.LBB8_3628:
	v_mov_b32_e32 v10, 0
	v_cmp_ne_u16_sdwa s[8:9], v14, v10 src0_sel:BYTE_0 src1_sel:DWORD
	s_andn2_b64 s[4:5], s[4:5], exec
	s_and_b64 s[8:9], s[8:9], exec
	s_or_b64 s[4:5], s[4:5], s[8:9]
	s_or_b64 exec, exec, s[6:7]
	s_and_saveexec_b64 s[6:7], s[4:5]
	s_cbranch_execnz .LBB8_1579
	s_branch .LBB8_1580
.LBB8_3629:
	s_movk_i32 s4, 0x80
	v_cmp_eq_u16_sdwa s[12:13], v14, s4 src0_sel:BYTE_0 src1_sel:DWORD
	s_mov_b64 s[4:5], -1
                                        ; implicit-def: $sgpr10
	s_and_saveexec_b64 s[8:9], s[12:13]
; %bb.3630:
	s_mov_b32 s10, 0x7f800001
	s_xor_b64 s[4:5], exec, -1
; %bb.3631:
	s_or_b64 exec, exec, s[8:9]
	s_and_b64 s[4:5], s[4:5], exec
	s_or_saveexec_b64 s[6:7], s[6:7]
	v_mov_b32_e32 v20, s10
	s_xor_b64 exec, exec, s[6:7]
	s_cbranch_execz .LBB8_1582
.LBB8_3632:
	v_mov_b32_e32 v20, 0
	v_cmp_ne_u16_sdwa s[8:9], v14, v20 src0_sel:BYTE_0 src1_sel:DWORD
	s_andn2_b64 s[4:5], s[4:5], exec
	s_and_b64 s[8:9], s[8:9], exec
	s_or_b64 s[4:5], s[4:5], s[8:9]
	s_or_b64 exec, exec, s[6:7]
	s_and_saveexec_b64 s[6:7], s[4:5]
	s_cbranch_execnz .LBB8_1583
	s_branch .LBB8_1584
.LBB8_3633:
	s_movk_i32 s4, 0x80
	v_cmp_eq_u16_e32 vcc, s4, v14
	s_mov_b64 s[4:5], -1
                                        ; implicit-def: $sgpr10
	s_and_saveexec_b64 s[8:9], vcc
; %bb.3634:
	s_mov_b32 s10, 0x7f800001
	s_xor_b64 s[4:5], exec, -1
; %bb.3635:
	s_or_b64 exec, exec, s[8:9]
	s_and_b64 s[4:5], s[4:5], exec
                                        ; implicit-def: $vgpr14
	s_or_saveexec_b64 s[6:7], s[6:7]
	v_mov_b32_e32 v10, s10
	s_xor_b64 exec, exec, s[6:7]
	s_cbranch_execz .LBB8_1586
.LBB8_3636:
	v_cmp_ne_u16_e32 vcc, 0, v14
	s_andn2_b64 s[4:5], s[4:5], exec
	s_and_b64 s[8:9], vcc, exec
	v_mov_b32_e32 v10, 0
	s_or_b64 s[4:5], s[4:5], s[8:9]
	s_or_b64 exec, exec, s[6:7]
	s_and_saveexec_b64 s[6:7], s[4:5]
	s_cbranch_execnz .LBB8_1587
	s_branch .LBB8_1588
.LBB8_3637:
	s_movk_i32 s4, 0x80
	v_cmp_eq_u16_e32 vcc, s4, v14
	s_mov_b64 s[4:5], -1
                                        ; implicit-def: $sgpr10
	s_and_saveexec_b64 s[8:9], vcc
; %bb.3638:
	s_mov_b32 s10, 0x7f800001
	s_xor_b64 s[4:5], exec, -1
; %bb.3639:
	s_or_b64 exec, exec, s[8:9]
	s_and_b64 s[4:5], s[4:5], exec
                                        ; implicit-def: $vgpr14
	s_or_saveexec_b64 s[6:7], s[6:7]
	v_mov_b32_e32 v20, s10
	s_xor_b64 exec, exec, s[6:7]
	s_cbranch_execz .LBB8_1590
.LBB8_3640:
	v_cmp_ne_u16_e32 vcc, 0, v14
	s_andn2_b64 s[4:5], s[4:5], exec
	s_and_b64 s[8:9], vcc, exec
	v_mov_b32_e32 v20, 0
	s_or_b64 s[4:5], s[4:5], s[8:9]
	s_or_b64 exec, exec, s[6:7]
	s_and_saveexec_b64 s[6:7], s[4:5]
	s_cbranch_execnz .LBB8_1591
	s_branch .LBB8_1592
.LBB8_3641:
	s_movk_i32 s4, 0x80
	v_cmp_eq_u16_sdwa s[12:13], v15, s4 src0_sel:BYTE_3 src1_sel:DWORD
	s_mov_b64 s[4:5], -1
                                        ; implicit-def: $sgpr10
	s_and_saveexec_b64 s[8:9], s[12:13]
; %bb.3642:
	s_mov_b32 s10, 0x7f800001
	s_xor_b64 s[4:5], exec, -1
; %bb.3643:
	s_or_b64 exec, exec, s[8:9]
	s_and_b64 s[4:5], s[4:5], exec
	s_or_saveexec_b64 s[6:7], s[6:7]
	v_mov_b32_e32 v10, s10
	s_xor_b64 exec, exec, s[6:7]
	s_cbranch_execz .LBB8_1594
.LBB8_3644:
	v_mov_b32_e32 v10, 0
	v_cmp_ne_u16_sdwa s[8:9], v15, v10 src0_sel:BYTE_3 src1_sel:DWORD
	s_andn2_b64 s[4:5], s[4:5], exec
	s_and_b64 s[8:9], s[8:9], exec
	s_or_b64 s[4:5], s[4:5], s[8:9]
	s_or_b64 exec, exec, s[6:7]
	s_and_saveexec_b64 s[6:7], s[4:5]
	s_cbranch_execnz .LBB8_1595
	s_branch .LBB8_1596
.LBB8_3645:
	s_movk_i32 s4, 0x80
	v_cmp_eq_u16_sdwa s[12:13], v11, s4 src0_sel:BYTE_3 src1_sel:DWORD
	s_mov_b64 s[4:5], -1
                                        ; implicit-def: $sgpr10
	s_and_saveexec_b64 s[8:9], s[12:13]
; %bb.3646:
	s_mov_b32 s10, 0x7f800001
	s_xor_b64 s[4:5], exec, -1
; %bb.3647:
	s_or_b64 exec, exec, s[8:9]
	s_and_b64 s[4:5], s[4:5], exec
	s_or_saveexec_b64 s[6:7], s[6:7]
	v_mov_b32_e32 v14, s10
	s_xor_b64 exec, exec, s[6:7]
	s_cbranch_execz .LBB8_1598
.LBB8_3648:
	v_mov_b32_e32 v14, 0
	v_cmp_ne_u16_sdwa s[8:9], v11, v14 src0_sel:BYTE_3 src1_sel:DWORD
	s_andn2_b64 s[4:5], s[4:5], exec
	s_and_b64 s[8:9], s[8:9], exec
	s_or_b64 s[4:5], s[4:5], s[8:9]
	s_or_b64 exec, exec, s[6:7]
	s_and_saveexec_b64 s[6:7], s[4:5]
	s_cbranch_execnz .LBB8_1599
	s_branch .LBB8_1600
.LBB8_3649:
	s_movk_i32 s4, 0x80
	v_cmp_eq_u16_sdwa s[12:13], v16, s4 src0_sel:BYTE_0 src1_sel:DWORD
	s_mov_b64 s[4:5], -1
                                        ; implicit-def: $sgpr10
	s_and_saveexec_b64 s[8:9], s[12:13]
; %bb.3650:
	s_mov_b32 s10, 0x7f800001
	s_xor_b64 s[4:5], exec, -1
; %bb.3651:
	s_or_b64 exec, exec, s[8:9]
	s_and_b64 s[4:5], s[4:5], exec
	s_or_saveexec_b64 s[6:7], s[6:7]
	v_mov_b32_e32 v10, s10
	s_xor_b64 exec, exec, s[6:7]
	s_cbranch_execz .LBB8_1602
.LBB8_3652:
	v_mov_b32_e32 v10, 0
	v_cmp_ne_u16_sdwa s[8:9], v16, v10 src0_sel:BYTE_0 src1_sel:DWORD
	s_andn2_b64 s[4:5], s[4:5], exec
	s_and_b64 s[8:9], s[8:9], exec
	s_or_b64 s[4:5], s[4:5], s[8:9]
	s_or_b64 exec, exec, s[6:7]
	s_and_saveexec_b64 s[6:7], s[4:5]
	s_cbranch_execnz .LBB8_1603
	s_branch .LBB8_1604
.LBB8_3653:
	s_movk_i32 s4, 0x80
	v_cmp_eq_u16_sdwa s[12:13], v12, s4 src0_sel:BYTE_0 src1_sel:DWORD
	s_mov_b64 s[4:5], -1
                                        ; implicit-def: $sgpr10
	s_and_saveexec_b64 s[8:9], s[12:13]
; %bb.3654:
	s_mov_b32 s10, 0x7f800001
	s_xor_b64 s[4:5], exec, -1
; %bb.3655:
	s_or_b64 exec, exec, s[8:9]
	s_and_b64 s[4:5], s[4:5], exec
	s_or_saveexec_b64 s[6:7], s[6:7]
	v_mov_b32_e32 v11, s10
	s_xor_b64 exec, exec, s[6:7]
	s_cbranch_execz .LBB8_1606
.LBB8_3656:
	v_mov_b32_e32 v11, 0
	v_cmp_ne_u16_sdwa s[8:9], v12, v11 src0_sel:BYTE_0 src1_sel:DWORD
	s_andn2_b64 s[4:5], s[4:5], exec
	s_and_b64 s[8:9], s[8:9], exec
	s_or_b64 s[4:5], s[4:5], s[8:9]
	s_or_b64 exec, exec, s[6:7]
	s_and_saveexec_b64 s[6:7], s[4:5]
	s_cbranch_execnz .LBB8_1607
	s_branch .LBB8_1608
.LBB8_3657:
	s_movk_i32 s4, 0x80
	v_cmp_eq_u16_sdwa s[12:13], v11, s4 src0_sel:BYTE_0 src1_sel:DWORD
	s_mov_b64 s[4:5], -1
                                        ; implicit-def: $sgpr10
	s_and_saveexec_b64 s[8:9], s[12:13]
; %bb.3658:
	s_mov_b32 s10, 0x7f800001
	s_xor_b64 s[4:5], exec, -1
; %bb.3659:
	s_or_b64 exec, exec, s[8:9]
	s_and_b64 s[4:5], s[4:5], exec
	s_or_saveexec_b64 s[6:7], s[6:7]
	v_mov_b32_e32 v10, s10
	s_xor_b64 exec, exec, s[6:7]
	s_cbranch_execz .LBB8_1610
.LBB8_3660:
	v_mov_b32_e32 v10, 0
	v_cmp_ne_u16_sdwa s[8:9], v11, v10 src0_sel:BYTE_0 src1_sel:DWORD
	s_andn2_b64 s[4:5], s[4:5], exec
	s_and_b64 s[8:9], s[8:9], exec
	s_or_b64 s[4:5], s[4:5], s[8:9]
	s_or_b64 exec, exec, s[6:7]
	s_and_saveexec_b64 s[6:7], s[4:5]
	s_cbranch_execnz .LBB8_1611
	s_branch .LBB8_1612
.LBB8_3661:
	s_movk_i32 s4, 0x80
	v_cmp_eq_u16_sdwa s[12:13], v11, s4 src0_sel:BYTE_0 src1_sel:DWORD
	s_mov_b64 s[4:5], -1
                                        ; implicit-def: $sgpr10
	s_and_saveexec_b64 s[8:9], s[12:13]
; %bb.3662:
	s_mov_b32 s10, 0x7f800001
	s_xor_b64 s[4:5], exec, -1
; %bb.3663:
	s_or_b64 exec, exec, s[8:9]
	s_and_b64 s[4:5], s[4:5], exec
	s_or_saveexec_b64 s[6:7], s[6:7]
	v_mov_b32_e32 v14, s10
	s_xor_b64 exec, exec, s[6:7]
	s_cbranch_execz .LBB8_1614
.LBB8_3664:
	v_mov_b32_e32 v14, 0
	v_cmp_ne_u16_sdwa s[8:9], v11, v14 src0_sel:BYTE_0 src1_sel:DWORD
	s_andn2_b64 s[4:5], s[4:5], exec
	s_and_b64 s[8:9], s[8:9], exec
	s_or_b64 s[4:5], s[4:5], s[8:9]
	s_or_b64 exec, exec, s[6:7]
	s_and_saveexec_b64 s[6:7], s[4:5]
	s_cbranch_execnz .LBB8_1615
	s_branch .LBB8_1616
.LBB8_3665:
	s_movk_i32 s4, 0x80
	v_cmp_eq_u16_e32 vcc, s4, v11
	s_mov_b64 s[4:5], -1
                                        ; implicit-def: $sgpr10
	s_and_saveexec_b64 s[8:9], vcc
; %bb.3666:
	s_mov_b32 s10, 0x7f800001
	s_xor_b64 s[4:5], exec, -1
; %bb.3667:
	s_or_b64 exec, exec, s[8:9]
	s_and_b64 s[4:5], s[4:5], exec
                                        ; implicit-def: $vgpr11
	s_or_saveexec_b64 s[6:7], s[6:7]
	v_mov_b32_e32 v10, s10
	s_xor_b64 exec, exec, s[6:7]
	s_cbranch_execz .LBB8_1618
.LBB8_3668:
	v_cmp_ne_u16_e32 vcc, 0, v11
	s_andn2_b64 s[4:5], s[4:5], exec
	s_and_b64 s[8:9], vcc, exec
	v_mov_b32_e32 v10, 0
	s_or_b64 s[4:5], s[4:5], s[8:9]
	s_or_b64 exec, exec, s[6:7]
	s_and_saveexec_b64 s[6:7], s[4:5]
	s_cbranch_execnz .LBB8_1619
	s_branch .LBB8_1620
.LBB8_3669:
	s_movk_i32 s4, 0x80
	v_cmp_eq_u16_e32 vcc, s4, v11
	s_mov_b64 s[4:5], -1
                                        ; implicit-def: $sgpr10
	s_and_saveexec_b64 s[8:9], vcc
; %bb.3670:
	s_mov_b32 s10, 0x7f800001
	s_xor_b64 s[4:5], exec, -1
; %bb.3671:
	s_or_b64 exec, exec, s[8:9]
	s_and_b64 s[4:5], s[4:5], exec
                                        ; implicit-def: $vgpr11
	s_or_saveexec_b64 s[6:7], s[6:7]
	v_mov_b32_e32 v14, s10
	s_xor_b64 exec, exec, s[6:7]
	s_cbranch_execz .LBB8_1622
.LBB8_3672:
	v_cmp_ne_u16_e32 vcc, 0, v11
	s_andn2_b64 s[4:5], s[4:5], exec
	s_and_b64 s[8:9], vcc, exec
	v_mov_b32_e32 v14, 0
	s_or_b64 s[4:5], s[4:5], s[8:9]
	s_or_b64 exec, exec, s[6:7]
	s_and_saveexec_b64 s[6:7], s[4:5]
	s_cbranch_execnz .LBB8_1623
	s_branch .LBB8_1624
.LBB8_3673:
	s_movk_i32 s4, 0x80
	v_cmp_eq_u16_sdwa s[12:13], v16, s4 src0_sel:BYTE_3 src1_sel:DWORD
	s_mov_b64 s[4:5], -1
                                        ; implicit-def: $sgpr10
	s_and_saveexec_b64 s[8:9], s[12:13]
; %bb.3674:
	s_mov_b32 s10, 0x7f800001
	s_xor_b64 s[4:5], exec, -1
; %bb.3675:
	s_or_b64 exec, exec, s[8:9]
	s_and_b64 s[4:5], s[4:5], exec
	s_or_saveexec_b64 s[6:7], s[6:7]
	v_mov_b32_e32 v10, s10
	s_xor_b64 exec, exec, s[6:7]
	s_cbranch_execz .LBB8_1626
.LBB8_3676:
	v_mov_b32_e32 v10, 0
	v_cmp_ne_u16_sdwa s[8:9], v16, v10 src0_sel:BYTE_3 src1_sel:DWORD
	s_andn2_b64 s[4:5], s[4:5], exec
	s_and_b64 s[8:9], s[8:9], exec
	s_or_b64 s[4:5], s[4:5], s[8:9]
	s_or_b64 exec, exec, s[6:7]
	s_and_saveexec_b64 s[6:7], s[4:5]
	s_cbranch_execnz .LBB8_1627
	s_branch .LBB8_1628
.LBB8_3677:
	s_movk_i32 s4, 0x80
	v_cmp_eq_u16_sdwa s[12:13], v12, s4 src0_sel:BYTE_3 src1_sel:DWORD
	s_mov_b64 s[4:5], -1
                                        ; implicit-def: $sgpr10
	s_and_saveexec_b64 s[8:9], s[12:13]
; %bb.3678:
	s_mov_b32 s10, 0x7f800001
	s_xor_b64 s[4:5], exec, -1
; %bb.3679:
	s_or_b64 exec, exec, s[8:9]
	s_and_b64 s[4:5], s[4:5], exec
	s_or_saveexec_b64 s[6:7], s[6:7]
	v_mov_b32_e32 v11, s10
	s_xor_b64 exec, exec, s[6:7]
	s_cbranch_execz .LBB8_1630
.LBB8_3680:
	v_mov_b32_e32 v11, 0
	v_cmp_ne_u16_sdwa s[8:9], v12, v11 src0_sel:BYTE_3 src1_sel:DWORD
	s_andn2_b64 s[4:5], s[4:5], exec
	s_and_b64 s[8:9], s[8:9], exec
	s_or_b64 s[4:5], s[4:5], s[8:9]
	s_or_b64 exec, exec, s[6:7]
	s_and_saveexec_b64 s[6:7], s[4:5]
	s_cbranch_execnz .LBB8_1631
	s_branch .LBB8_1632
.LBB8_3681:
	s_movk_i32 s4, 0x80
	v_cmp_eq_u16_sdwa s[12:13], v17, s4 src0_sel:BYTE_0 src1_sel:DWORD
	s_mov_b64 s[4:5], -1
                                        ; implicit-def: $sgpr10
	s_and_saveexec_b64 s[8:9], s[12:13]
; %bb.3682:
	s_mov_b32 s10, 0x7f800001
	s_xor_b64 s[4:5], exec, -1
; %bb.3683:
	s_or_b64 exec, exec, s[8:9]
	s_and_b64 s[4:5], s[4:5], exec
	s_or_saveexec_b64 s[6:7], s[6:7]
	v_mov_b32_e32 v10, s10
	s_xor_b64 exec, exec, s[6:7]
	s_cbranch_execz .LBB8_1634
.LBB8_3684:
	v_mov_b32_e32 v10, 0
	v_cmp_ne_u16_sdwa s[8:9], v17, v10 src0_sel:BYTE_0 src1_sel:DWORD
	s_andn2_b64 s[4:5], s[4:5], exec
	s_and_b64 s[8:9], s[8:9], exec
	s_or_b64 s[4:5], s[4:5], s[8:9]
	s_or_b64 exec, exec, s[6:7]
	s_and_saveexec_b64 s[6:7], s[4:5]
	s_cbranch_execnz .LBB8_1635
	s_branch .LBB8_1636
.LBB8_3685:
	s_movk_i32 s4, 0x80
	v_cmp_eq_u16_sdwa s[12:13], v13, s4 src0_sel:BYTE_0 src1_sel:DWORD
	s_mov_b64 s[4:5], -1
                                        ; implicit-def: $sgpr10
	s_and_saveexec_b64 s[8:9], s[12:13]
; %bb.3686:
	s_mov_b32 s10, 0x7f800001
	s_xor_b64 s[4:5], exec, -1
; %bb.3687:
	s_or_b64 exec, exec, s[8:9]
	s_and_b64 s[4:5], s[4:5], exec
	s_or_saveexec_b64 s[6:7], s[6:7]
	v_mov_b32_e32 v11, s10
	s_xor_b64 exec, exec, s[6:7]
	s_cbranch_execz .LBB8_1638
.LBB8_3688:
	v_mov_b32_e32 v11, 0
	v_cmp_ne_u16_sdwa s[8:9], v13, v11 src0_sel:BYTE_0 src1_sel:DWORD
	s_andn2_b64 s[4:5], s[4:5], exec
	s_and_b64 s[8:9], s[8:9], exec
	s_or_b64 s[4:5], s[4:5], s[8:9]
	s_or_b64 exec, exec, s[6:7]
	s_and_saveexec_b64 s[6:7], s[4:5]
	s_cbranch_execnz .LBB8_1639
	s_branch .LBB8_1640
.LBB8_3689:
	s_movk_i32 s4, 0x80
	v_cmp_eq_u16_sdwa s[12:13], v11, s4 src0_sel:BYTE_0 src1_sel:DWORD
	s_mov_b64 s[4:5], -1
                                        ; implicit-def: $sgpr10
	s_and_saveexec_b64 s[8:9], s[12:13]
; %bb.3690:
	s_mov_b32 s10, 0x7f800001
	s_xor_b64 s[4:5], exec, -1
; %bb.3691:
	s_or_b64 exec, exec, s[8:9]
	s_and_b64 s[4:5], s[4:5], exec
	s_or_saveexec_b64 s[6:7], s[6:7]
	v_mov_b32_e32 v10, s10
	s_xor_b64 exec, exec, s[6:7]
	s_cbranch_execz .LBB8_1642
.LBB8_3692:
	v_mov_b32_e32 v10, 0
	v_cmp_ne_u16_sdwa s[8:9], v11, v10 src0_sel:BYTE_0 src1_sel:DWORD
	s_andn2_b64 s[4:5], s[4:5], exec
	s_and_b64 s[8:9], s[8:9], exec
	s_or_b64 s[4:5], s[4:5], s[8:9]
	s_or_b64 exec, exec, s[6:7]
	s_and_saveexec_b64 s[6:7], s[4:5]
	s_cbranch_execnz .LBB8_1643
	s_branch .LBB8_1644
.LBB8_3693:
	s_movk_i32 s4, 0x80
	v_cmp_eq_u16_sdwa s[12:13], v11, s4 src0_sel:BYTE_0 src1_sel:DWORD
	s_mov_b64 s[4:5], -1
                                        ; implicit-def: $sgpr10
	s_and_saveexec_b64 s[8:9], s[12:13]
; %bb.3694:
	s_mov_b32 s10, 0x7f800001
	s_xor_b64 s[4:5], exec, -1
; %bb.3695:
	s_or_b64 exec, exec, s[8:9]
	s_and_b64 s[4:5], s[4:5], exec
	s_or_saveexec_b64 s[6:7], s[6:7]
	v_mov_b32_e32 v12, s10
	s_xor_b64 exec, exec, s[6:7]
	s_cbranch_execz .LBB8_1646
.LBB8_3696:
	v_mov_b32_e32 v12, 0
	v_cmp_ne_u16_sdwa s[8:9], v11, v12 src0_sel:BYTE_0 src1_sel:DWORD
	s_andn2_b64 s[4:5], s[4:5], exec
	s_and_b64 s[8:9], s[8:9], exec
	s_or_b64 s[4:5], s[4:5], s[8:9]
	s_or_b64 exec, exec, s[6:7]
	s_and_saveexec_b64 s[6:7], s[4:5]
	s_cbranch_execnz .LBB8_1647
	s_branch .LBB8_1648
.LBB8_3697:
	s_movk_i32 s4, 0x80
	v_cmp_eq_u16_e32 vcc, s4, v11
	s_mov_b64 s[4:5], -1
                                        ; implicit-def: $sgpr10
	s_and_saveexec_b64 s[8:9], vcc
; %bb.3698:
	s_mov_b32 s10, 0x7f800001
	s_xor_b64 s[4:5], exec, -1
; %bb.3699:
	s_or_b64 exec, exec, s[8:9]
	s_and_b64 s[4:5], s[4:5], exec
                                        ; implicit-def: $vgpr11
	s_or_saveexec_b64 s[6:7], s[6:7]
	v_mov_b32_e32 v10, s10
	s_xor_b64 exec, exec, s[6:7]
	s_cbranch_execz .LBB8_1650
.LBB8_3700:
	v_cmp_ne_u16_e32 vcc, 0, v11
	s_andn2_b64 s[4:5], s[4:5], exec
	s_and_b64 s[8:9], vcc, exec
	v_mov_b32_e32 v10, 0
	s_or_b64 s[4:5], s[4:5], s[8:9]
	s_or_b64 exec, exec, s[6:7]
	s_and_saveexec_b64 s[6:7], s[4:5]
	s_cbranch_execnz .LBB8_1651
	s_branch .LBB8_1652
.LBB8_3701:
	s_movk_i32 s4, 0x80
	v_cmp_eq_u16_e32 vcc, s4, v11
	s_mov_b64 s[4:5], -1
                                        ; implicit-def: $sgpr10
	s_and_saveexec_b64 s[8:9], vcc
; %bb.3702:
	s_mov_b32 s10, 0x7f800001
	s_xor_b64 s[4:5], exec, -1
; %bb.3703:
	s_or_b64 exec, exec, s[8:9]
	s_and_b64 s[4:5], s[4:5], exec
                                        ; implicit-def: $vgpr11
	s_or_saveexec_b64 s[6:7], s[6:7]
	v_mov_b32_e32 v12, s10
	s_xor_b64 exec, exec, s[6:7]
	s_cbranch_execz .LBB8_1654
.LBB8_3704:
	v_cmp_ne_u16_e32 vcc, 0, v11
	s_andn2_b64 s[4:5], s[4:5], exec
	s_and_b64 s[8:9], vcc, exec
	v_mov_b32_e32 v12, 0
	s_or_b64 s[4:5], s[4:5], s[8:9]
	s_or_b64 exec, exec, s[6:7]
	s_and_saveexec_b64 s[6:7], s[4:5]
	s_cbranch_execnz .LBB8_1655
	s_branch .LBB8_1656
.LBB8_3705:
	s_movk_i32 s4, 0x80
	v_cmp_eq_u16_sdwa s[12:13], v17, s4 src0_sel:BYTE_3 src1_sel:DWORD
	s_mov_b64 s[4:5], -1
                                        ; implicit-def: $sgpr10
	s_and_saveexec_b64 s[8:9], s[12:13]
; %bb.3706:
	s_mov_b32 s10, 0x7f800001
	s_xor_b64 s[4:5], exec, -1
; %bb.3707:
	s_or_b64 exec, exec, s[8:9]
	s_and_b64 s[4:5], s[4:5], exec
	s_or_saveexec_b64 s[6:7], s[6:7]
	v_mov_b32_e32 v10, s10
	s_xor_b64 exec, exec, s[6:7]
	s_cbranch_execz .LBB8_1658
.LBB8_3708:
	v_mov_b32_e32 v10, 0
	v_cmp_ne_u16_sdwa s[8:9], v17, v10 src0_sel:BYTE_3 src1_sel:DWORD
	s_andn2_b64 s[4:5], s[4:5], exec
	s_and_b64 s[8:9], s[8:9], exec
	s_or_b64 s[4:5], s[4:5], s[8:9]
	s_or_b64 exec, exec, s[6:7]
	s_and_saveexec_b64 s[6:7], s[4:5]
	s_cbranch_execnz .LBB8_1659
	s_branch .LBB8_1660
.LBB8_3709:
	s_movk_i32 s4, 0x80
	v_cmp_eq_u16_sdwa s[12:13], v13, s4 src0_sel:BYTE_3 src1_sel:DWORD
	s_mov_b64 s[4:5], -1
                                        ; implicit-def: $sgpr10
	s_and_saveexec_b64 s[8:9], s[12:13]
; %bb.3710:
	s_mov_b32 s10, 0x7f800001
	s_xor_b64 s[4:5], exec, -1
; %bb.3711:
	s_or_b64 exec, exec, s[8:9]
	s_and_b64 s[4:5], s[4:5], exec
	s_or_saveexec_b64 s[6:7], s[6:7]
	v_mov_b32_e32 v11, s10
	s_xor_b64 exec, exec, s[6:7]
	s_cbranch_execz .LBB8_1662
.LBB8_3712:
	v_mov_b32_e32 v11, 0
	v_cmp_ne_u16_sdwa s[8:9], v13, v11 src0_sel:BYTE_3 src1_sel:DWORD
	s_andn2_b64 s[4:5], s[4:5], exec
	s_and_b64 s[8:9], s[8:9], exec
	s_or_b64 s[4:5], s[4:5], s[8:9]
	s_or_b64 exec, exec, s[6:7]
	s_and_saveexec_b64 s[6:7], s[4:5]
	s_cbranch_execnz .LBB8_1663
	s_branch .LBB8_1664
.LBB8_3713:
	s_movk_i32 s4, 0x80
	v_cmp_eq_u16_sdwa s[12:13], v6, s4 src0_sel:BYTE_0 src1_sel:DWORD
	s_mov_b64 s[4:5], -1
                                        ; implicit-def: $sgpr10
	s_and_saveexec_b64 s[8:9], s[12:13]
; %bb.3714:
	s_mov_b32 s10, 0x7f800001
	s_xor_b64 s[4:5], exec, -1
; %bb.3715:
	s_or_b64 exec, exec, s[8:9]
	s_and_b64 s[4:5], s[4:5], exec
	s_or_saveexec_b64 s[6:7], s[6:7]
	v_mov_b32_e32 v10, s10
	s_xor_b64 exec, exec, s[6:7]
	s_cbranch_execz .LBB8_1666
.LBB8_3716:
	v_mov_b32_e32 v10, 0
	v_cmp_ne_u16_sdwa s[8:9], v6, v10 src0_sel:BYTE_0 src1_sel:DWORD
	s_andn2_b64 s[4:5], s[4:5], exec
	s_and_b64 s[8:9], s[8:9], exec
	s_or_b64 s[4:5], s[4:5], s[8:9]
	s_or_b64 exec, exec, s[6:7]
	s_and_saveexec_b64 s[6:7], s[4:5]
	s_cbranch_execnz .LBB8_1667
	s_branch .LBB8_1668
.LBB8_3717:
	s_movk_i32 s4, 0x80
	v_cmp_eq_u16_sdwa s[12:13], v2, s4 src0_sel:BYTE_0 src1_sel:DWORD
	s_mov_b64 s[4:5], -1
                                        ; implicit-def: $sgpr10
	s_and_saveexec_b64 s[8:9], s[12:13]
; %bb.3718:
	s_mov_b32 s10, 0x7f800001
	s_xor_b64 s[4:5], exec, -1
; %bb.3719:
	s_or_b64 exec, exec, s[8:9]
	s_and_b64 s[4:5], s[4:5], exec
	s_or_saveexec_b64 s[6:7], s[6:7]
	v_mov_b32_e32 v11, s10
	s_xor_b64 exec, exec, s[6:7]
	s_cbranch_execz .LBB8_1670
.LBB8_3720:
	v_mov_b32_e32 v11, 0
	v_cmp_ne_u16_sdwa s[8:9], v2, v11 src0_sel:BYTE_0 src1_sel:DWORD
	s_andn2_b64 s[4:5], s[4:5], exec
	s_and_b64 s[8:9], s[8:9], exec
	s_or_b64 s[4:5], s[4:5], s[8:9]
	s_or_b64 exec, exec, s[6:7]
	s_and_saveexec_b64 s[6:7], s[4:5]
	s_cbranch_execnz .LBB8_1671
	s_branch .LBB8_1672
.LBB8_3721:
	s_movk_i32 s4, 0x80
	v_cmp_eq_u16_sdwa s[12:13], v11, s4 src0_sel:BYTE_0 src1_sel:DWORD
	s_mov_b64 s[4:5], -1
                                        ; implicit-def: $sgpr10
	s_and_saveexec_b64 s[8:9], s[12:13]
; %bb.3722:
	s_mov_b32 s10, 0x7f800001
	s_xor_b64 s[4:5], exec, -1
; %bb.3723:
	s_or_b64 exec, exec, s[8:9]
	s_and_b64 s[4:5], s[4:5], exec
	s_or_saveexec_b64 s[6:7], s[6:7]
	v_mov_b32_e32 v10, s10
	s_xor_b64 exec, exec, s[6:7]
	s_cbranch_execz .LBB8_1674
.LBB8_3724:
	v_mov_b32_e32 v10, 0
	v_cmp_ne_u16_sdwa s[8:9], v11, v10 src0_sel:BYTE_0 src1_sel:DWORD
	s_andn2_b64 s[4:5], s[4:5], exec
	s_and_b64 s[8:9], s[8:9], exec
	s_or_b64 s[4:5], s[4:5], s[8:9]
	s_or_b64 exec, exec, s[6:7]
	s_and_saveexec_b64 s[6:7], s[4:5]
	s_cbranch_execnz .LBB8_1675
	s_branch .LBB8_1676
.LBB8_3725:
	s_movk_i32 s4, 0x80
	v_cmp_eq_u16_sdwa s[12:13], v11, s4 src0_sel:BYTE_0 src1_sel:DWORD
	s_mov_b64 s[4:5], -1
                                        ; implicit-def: $sgpr10
	s_and_saveexec_b64 s[8:9], s[12:13]
; %bb.3726:
	s_mov_b32 s10, 0x7f800001
	s_xor_b64 s[4:5], exec, -1
; %bb.3727:
	s_or_b64 exec, exec, s[8:9]
	s_and_b64 s[4:5], s[4:5], exec
	s_or_saveexec_b64 s[6:7], s[6:7]
	v_mov_b32_e32 v12, s10
	s_xor_b64 exec, exec, s[6:7]
	s_cbranch_execz .LBB8_1678
.LBB8_3728:
	v_mov_b32_e32 v12, 0
	v_cmp_ne_u16_sdwa s[8:9], v11, v12 src0_sel:BYTE_0 src1_sel:DWORD
	s_andn2_b64 s[4:5], s[4:5], exec
	s_and_b64 s[8:9], s[8:9], exec
	s_or_b64 s[4:5], s[4:5], s[8:9]
	s_or_b64 exec, exec, s[6:7]
	s_and_saveexec_b64 s[6:7], s[4:5]
	s_cbranch_execnz .LBB8_1679
	s_branch .LBB8_1680
.LBB8_3729:
	s_movk_i32 s4, 0x80
	v_cmp_eq_u16_e32 vcc, s4, v11
	s_mov_b64 s[4:5], -1
                                        ; implicit-def: $sgpr10
	s_and_saveexec_b64 s[8:9], vcc
; %bb.3730:
	s_mov_b32 s10, 0x7f800001
	s_xor_b64 s[4:5], exec, -1
; %bb.3731:
	s_or_b64 exec, exec, s[8:9]
	s_and_b64 s[4:5], s[4:5], exec
                                        ; implicit-def: $vgpr11
	s_or_saveexec_b64 s[6:7], s[6:7]
	v_mov_b32_e32 v10, s10
	s_xor_b64 exec, exec, s[6:7]
	s_cbranch_execz .LBB8_1682
.LBB8_3732:
	v_cmp_ne_u16_e32 vcc, 0, v11
	s_andn2_b64 s[4:5], s[4:5], exec
	s_and_b64 s[8:9], vcc, exec
	v_mov_b32_e32 v10, 0
	s_or_b64 s[4:5], s[4:5], s[8:9]
	s_or_b64 exec, exec, s[6:7]
	s_and_saveexec_b64 s[6:7], s[4:5]
	s_cbranch_execnz .LBB8_1683
	s_branch .LBB8_1684
.LBB8_3733:
	s_movk_i32 s4, 0x80
	v_cmp_eq_u16_e32 vcc, s4, v11
	s_mov_b64 s[4:5], -1
                                        ; implicit-def: $sgpr10
	s_and_saveexec_b64 s[8:9], vcc
; %bb.3734:
	s_mov_b32 s10, 0x7f800001
	s_xor_b64 s[4:5], exec, -1
; %bb.3735:
	s_or_b64 exec, exec, s[8:9]
	s_and_b64 s[4:5], s[4:5], exec
                                        ; implicit-def: $vgpr11
	s_or_saveexec_b64 s[6:7], s[6:7]
	v_mov_b32_e32 v12, s10
	s_xor_b64 exec, exec, s[6:7]
	s_cbranch_execz .LBB8_1686
.LBB8_3736:
	v_cmp_ne_u16_e32 vcc, 0, v11
	s_andn2_b64 s[4:5], s[4:5], exec
	s_and_b64 s[8:9], vcc, exec
	v_mov_b32_e32 v12, 0
	s_or_b64 s[4:5], s[4:5], s[8:9]
	s_or_b64 exec, exec, s[6:7]
	s_and_saveexec_b64 s[6:7], s[4:5]
	s_cbranch_execnz .LBB8_1687
	s_branch .LBB8_1688
.LBB8_3737:
	s_movk_i32 s4, 0x80
	v_cmp_eq_u16_sdwa s[12:13], v6, s4 src0_sel:BYTE_3 src1_sel:DWORD
	s_mov_b64 s[4:5], -1
                                        ; implicit-def: $sgpr10
	s_and_saveexec_b64 s[8:9], s[12:13]
; %bb.3738:
	s_mov_b32 s10, 0x7f800001
	s_xor_b64 s[4:5], exec, -1
; %bb.3739:
	s_or_b64 exec, exec, s[8:9]
	s_and_b64 s[4:5], s[4:5], exec
	s_or_saveexec_b64 s[6:7], s[6:7]
	v_mov_b32_e32 v10, s10
	s_xor_b64 exec, exec, s[6:7]
	s_cbranch_execz .LBB8_1690
.LBB8_3740:
	v_mov_b32_e32 v10, 0
	v_cmp_ne_u16_sdwa s[8:9], v6, v10 src0_sel:BYTE_3 src1_sel:DWORD
	s_andn2_b64 s[4:5], s[4:5], exec
	s_and_b64 s[8:9], s[8:9], exec
	s_or_b64 s[4:5], s[4:5], s[8:9]
	s_or_b64 exec, exec, s[6:7]
	s_and_saveexec_b64 s[6:7], s[4:5]
	s_cbranch_execnz .LBB8_1691
	s_branch .LBB8_1692
.LBB8_3741:
	s_movk_i32 s4, 0x80
	v_cmp_eq_u16_sdwa s[12:13], v2, s4 src0_sel:BYTE_3 src1_sel:DWORD
	s_mov_b64 s[4:5], -1
                                        ; implicit-def: $sgpr10
	s_and_saveexec_b64 s[8:9], s[12:13]
; %bb.3742:
	s_mov_b32 s10, 0x7f800001
	s_xor_b64 s[4:5], exec, -1
; %bb.3743:
	s_or_b64 exec, exec, s[8:9]
	s_and_b64 s[4:5], s[4:5], exec
	s_or_saveexec_b64 s[6:7], s[6:7]
	v_mov_b32_e32 v6, s10
	s_xor_b64 exec, exec, s[6:7]
	s_cbranch_execz .LBB8_1694
.LBB8_3744:
	v_mov_b32_e32 v6, 0
	v_cmp_ne_u16_sdwa s[8:9], v2, v6 src0_sel:BYTE_3 src1_sel:DWORD
	s_andn2_b64 s[4:5], s[4:5], exec
	s_and_b64 s[8:9], s[8:9], exec
	s_or_b64 s[4:5], s[4:5], s[8:9]
	s_or_b64 exec, exec, s[6:7]
	s_and_saveexec_b64 s[6:7], s[4:5]
	s_cbranch_execnz .LBB8_1695
	s_branch .LBB8_1696
.LBB8_3745:
	s_movk_i32 s4, 0x80
	v_cmp_eq_u16_sdwa s[12:13], v7, s4 src0_sel:BYTE_0 src1_sel:DWORD
	s_mov_b64 s[4:5], -1
                                        ; implicit-def: $sgpr10
	s_and_saveexec_b64 s[8:9], s[12:13]
; %bb.3746:
	s_mov_b32 s10, 0x7f800001
	s_xor_b64 s[4:5], exec, -1
; %bb.3747:
	s_or_b64 exec, exec, s[8:9]
	s_and_b64 s[4:5], s[4:5], exec
	s_or_saveexec_b64 s[6:7], s[6:7]
	v_mov_b32_e32 v2, s10
	s_xor_b64 exec, exec, s[6:7]
	s_cbranch_execz .LBB8_1698
.LBB8_3748:
	v_mov_b32_e32 v2, 0
	v_cmp_ne_u16_sdwa s[8:9], v7, v2 src0_sel:BYTE_0 src1_sel:DWORD
	s_andn2_b64 s[4:5], s[4:5], exec
	s_and_b64 s[8:9], s[8:9], exec
	s_or_b64 s[4:5], s[4:5], s[8:9]
	s_or_b64 exec, exec, s[6:7]
	s_and_saveexec_b64 s[6:7], s[4:5]
	s_cbranch_execnz .LBB8_1699
	s_branch .LBB8_1700
.LBB8_3749:
	s_movk_i32 s4, 0x80
	v_cmp_eq_u16_sdwa s[12:13], v3, s4 src0_sel:BYTE_0 src1_sel:DWORD
	s_mov_b64 s[4:5], -1
                                        ; implicit-def: $sgpr10
	s_and_saveexec_b64 s[8:9], s[12:13]
; %bb.3750:
	s_mov_b32 s10, 0x7f800001
	s_xor_b64 s[4:5], exec, -1
; %bb.3751:
	s_or_b64 exec, exec, s[8:9]
	s_and_b64 s[4:5], s[4:5], exec
	s_or_saveexec_b64 s[6:7], s[6:7]
	v_mov_b32_e32 v6, s10
	s_xor_b64 exec, exec, s[6:7]
	s_cbranch_execz .LBB8_1702
.LBB8_3752:
	v_mov_b32_e32 v6, 0
	v_cmp_ne_u16_sdwa s[8:9], v3, v6 src0_sel:BYTE_0 src1_sel:DWORD
	s_andn2_b64 s[4:5], s[4:5], exec
	s_and_b64 s[8:9], s[8:9], exec
	s_or_b64 s[4:5], s[4:5], s[8:9]
	s_or_b64 exec, exec, s[6:7]
	s_and_saveexec_b64 s[6:7], s[4:5]
	s_cbranch_execnz .LBB8_1703
	s_branch .LBB8_1704
.LBB8_3753:
	s_movk_i32 s4, 0x80
	v_cmp_eq_u16_sdwa s[12:13], v6, s4 src0_sel:BYTE_0 src1_sel:DWORD
	s_mov_b64 s[4:5], -1
                                        ; implicit-def: $sgpr10
	s_and_saveexec_b64 s[8:9], s[12:13]
; %bb.3754:
	s_mov_b32 s10, 0x7f800001
	s_xor_b64 s[4:5], exec, -1
; %bb.3755:
	s_or_b64 exec, exec, s[8:9]
	s_and_b64 s[4:5], s[4:5], exec
	s_or_saveexec_b64 s[6:7], s[6:7]
	v_mov_b32_e32 v2, s10
	s_xor_b64 exec, exec, s[6:7]
	s_cbranch_execz .LBB8_1706
.LBB8_3756:
	v_mov_b32_e32 v2, 0
	v_cmp_ne_u16_sdwa s[8:9], v6, v2 src0_sel:BYTE_0 src1_sel:DWORD
	s_andn2_b64 s[4:5], s[4:5], exec
	s_and_b64 s[8:9], s[8:9], exec
	s_or_b64 s[4:5], s[4:5], s[8:9]
	s_or_b64 exec, exec, s[6:7]
	s_and_saveexec_b64 s[6:7], s[4:5]
	s_cbranch_execnz .LBB8_1707
	s_branch .LBB8_1708
.LBB8_3757:
	s_movk_i32 s4, 0x80
	v_cmp_eq_u16_sdwa s[12:13], v6, s4 src0_sel:BYTE_0 src1_sel:DWORD
	s_mov_b64 s[4:5], -1
                                        ; implicit-def: $sgpr10
	s_and_saveexec_b64 s[8:9], s[12:13]
; %bb.3758:
	s_mov_b32 s10, 0x7f800001
	s_xor_b64 s[4:5], exec, -1
; %bb.3759:
	s_or_b64 exec, exec, s[8:9]
	s_and_b64 s[4:5], s[4:5], exec
	s_or_saveexec_b64 s[6:7], s[6:7]
	v_mov_b32_e32 v10, s10
	s_xor_b64 exec, exec, s[6:7]
	s_cbranch_execz .LBB8_1710
.LBB8_3760:
	v_mov_b32_e32 v10, 0
	v_cmp_ne_u16_sdwa s[8:9], v6, v10 src0_sel:BYTE_0 src1_sel:DWORD
	s_andn2_b64 s[4:5], s[4:5], exec
	s_and_b64 s[8:9], s[8:9], exec
	s_or_b64 s[4:5], s[4:5], s[8:9]
	s_or_b64 exec, exec, s[6:7]
	s_and_saveexec_b64 s[6:7], s[4:5]
	s_cbranch_execnz .LBB8_1711
	s_branch .LBB8_1712
.LBB8_3761:
	s_movk_i32 s4, 0x80
	v_cmp_eq_u16_e32 vcc, s4, v6
	s_mov_b64 s[4:5], -1
                                        ; implicit-def: $sgpr10
	s_and_saveexec_b64 s[8:9], vcc
; %bb.3762:
	s_mov_b32 s10, 0x7f800001
	s_xor_b64 s[4:5], exec, -1
; %bb.3763:
	s_or_b64 exec, exec, s[8:9]
	s_and_b64 s[4:5], s[4:5], exec
                                        ; implicit-def: $vgpr6
	s_or_saveexec_b64 s[6:7], s[6:7]
	v_mov_b32_e32 v2, s10
	s_xor_b64 exec, exec, s[6:7]
	s_cbranch_execz .LBB8_1714
.LBB8_3764:
	v_cmp_ne_u16_e32 vcc, 0, v6
	s_andn2_b64 s[4:5], s[4:5], exec
	s_and_b64 s[8:9], vcc, exec
	v_mov_b32_e32 v2, 0
	s_or_b64 s[4:5], s[4:5], s[8:9]
	s_or_b64 exec, exec, s[6:7]
	s_and_saveexec_b64 s[6:7], s[4:5]
	s_cbranch_execnz .LBB8_1715
	s_branch .LBB8_1716
.LBB8_3765:
	s_movk_i32 s4, 0x80
	v_cmp_eq_u16_e32 vcc, s4, v6
	s_mov_b64 s[4:5], -1
                                        ; implicit-def: $sgpr10
	s_and_saveexec_b64 s[8:9], vcc
; %bb.3766:
	s_mov_b32 s10, 0x7f800001
	s_xor_b64 s[4:5], exec, -1
; %bb.3767:
	s_or_b64 exec, exec, s[8:9]
	s_and_b64 s[4:5], s[4:5], exec
                                        ; implicit-def: $vgpr6
	s_or_saveexec_b64 s[6:7], s[6:7]
	v_mov_b32_e32 v10, s10
	s_xor_b64 exec, exec, s[6:7]
	s_cbranch_execz .LBB8_1718
.LBB8_3768:
	v_cmp_ne_u16_e32 vcc, 0, v6
	s_andn2_b64 s[4:5], s[4:5], exec
	s_and_b64 s[8:9], vcc, exec
	v_mov_b32_e32 v10, 0
	s_or_b64 s[4:5], s[4:5], s[8:9]
	s_or_b64 exec, exec, s[6:7]
	s_and_saveexec_b64 s[6:7], s[4:5]
	s_cbranch_execnz .LBB8_1719
	s_branch .LBB8_1720
.LBB8_3769:
	s_movk_i32 s4, 0x80
	v_cmp_eq_u16_sdwa s[12:13], v7, s4 src0_sel:BYTE_3 src1_sel:DWORD
	s_mov_b64 s[4:5], -1
                                        ; implicit-def: $sgpr10
	s_and_saveexec_b64 s[8:9], s[12:13]
; %bb.3770:
	s_mov_b32 s10, 0x7f800001
	s_xor_b64 s[4:5], exec, -1
; %bb.3771:
	s_or_b64 exec, exec, s[8:9]
	s_and_b64 s[4:5], s[4:5], exec
	s_or_saveexec_b64 s[6:7], s[6:7]
	v_mov_b32_e32 v2, s10
	s_xor_b64 exec, exec, s[6:7]
	s_cbranch_execz .LBB8_1722
.LBB8_3772:
	v_mov_b32_e32 v2, 0
	v_cmp_ne_u16_sdwa s[8:9], v7, v2 src0_sel:BYTE_3 src1_sel:DWORD
	s_andn2_b64 s[4:5], s[4:5], exec
	s_and_b64 s[8:9], s[8:9], exec
	s_or_b64 s[4:5], s[4:5], s[8:9]
	s_or_b64 exec, exec, s[6:7]
	s_and_saveexec_b64 s[6:7], s[4:5]
	s_cbranch_execnz .LBB8_1723
	s_branch .LBB8_1724
.LBB8_3773:
	s_movk_i32 s4, 0x80
	v_cmp_eq_u16_sdwa s[12:13], v3, s4 src0_sel:BYTE_3 src1_sel:DWORD
	s_mov_b64 s[4:5], -1
                                        ; implicit-def: $sgpr10
	s_and_saveexec_b64 s[8:9], s[12:13]
; %bb.3774:
	s_mov_b32 s10, 0x7f800001
	s_xor_b64 s[4:5], exec, -1
; %bb.3775:
	s_or_b64 exec, exec, s[8:9]
	s_and_b64 s[4:5], s[4:5], exec
	s_or_saveexec_b64 s[6:7], s[6:7]
	v_mov_b32_e32 v6, s10
	s_xor_b64 exec, exec, s[6:7]
	s_cbranch_execz .LBB8_1726
.LBB8_3776:
	v_mov_b32_e32 v6, 0
	v_cmp_ne_u16_sdwa s[8:9], v3, v6 src0_sel:BYTE_3 src1_sel:DWORD
	s_andn2_b64 s[4:5], s[4:5], exec
	s_and_b64 s[8:9], s[8:9], exec
	s_or_b64 s[4:5], s[4:5], s[8:9]
	s_or_b64 exec, exec, s[6:7]
	s_and_saveexec_b64 s[6:7], s[4:5]
	s_cbranch_execnz .LBB8_1727
	s_branch .LBB8_1728
.LBB8_3777:
	s_movk_i32 s4, 0x80
	v_cmp_eq_u16_sdwa s[12:13], v8, s4 src0_sel:BYTE_0 src1_sel:DWORD
	s_mov_b64 s[4:5], -1
                                        ; implicit-def: $sgpr10
	s_and_saveexec_b64 s[8:9], s[12:13]
; %bb.3778:
	s_mov_b32 s10, 0x7f800001
	s_xor_b64 s[4:5], exec, -1
; %bb.3779:
	s_or_b64 exec, exec, s[8:9]
	s_and_b64 s[4:5], s[4:5], exec
	s_or_saveexec_b64 s[6:7], s[6:7]
	v_mov_b32_e32 v2, s10
	s_xor_b64 exec, exec, s[6:7]
	s_cbranch_execz .LBB8_1730
.LBB8_3780:
	v_mov_b32_e32 v2, 0
	v_cmp_ne_u16_sdwa s[8:9], v8, v2 src0_sel:BYTE_0 src1_sel:DWORD
	s_andn2_b64 s[4:5], s[4:5], exec
	s_and_b64 s[8:9], s[8:9], exec
	s_or_b64 s[4:5], s[4:5], s[8:9]
	s_or_b64 exec, exec, s[6:7]
	s_and_saveexec_b64 s[6:7], s[4:5]
	s_cbranch_execnz .LBB8_1731
	s_branch .LBB8_1732
.LBB8_3781:
	s_movk_i32 s4, 0x80
	v_cmp_eq_u16_sdwa s[12:13], v4, s4 src0_sel:BYTE_0 src1_sel:DWORD
	s_mov_b64 s[4:5], -1
                                        ; implicit-def: $sgpr10
	s_and_saveexec_b64 s[8:9], s[12:13]
; %bb.3782:
	s_mov_b32 s10, 0x7f800001
	s_xor_b64 s[4:5], exec, -1
; %bb.3783:
	s_or_b64 exec, exec, s[8:9]
	s_and_b64 s[4:5], s[4:5], exec
	s_or_saveexec_b64 s[6:7], s[6:7]
	v_mov_b32_e32 v3, s10
	s_xor_b64 exec, exec, s[6:7]
	s_cbranch_execz .LBB8_1734
.LBB8_3784:
	v_mov_b32_e32 v3, 0
	v_cmp_ne_u16_sdwa s[8:9], v4, v3 src0_sel:BYTE_0 src1_sel:DWORD
	s_andn2_b64 s[4:5], s[4:5], exec
	s_and_b64 s[8:9], s[8:9], exec
	s_or_b64 s[4:5], s[4:5], s[8:9]
	s_or_b64 exec, exec, s[6:7]
	s_and_saveexec_b64 s[6:7], s[4:5]
	s_cbranch_execnz .LBB8_1735
	s_branch .LBB8_1736
.LBB8_3785:
	s_movk_i32 s4, 0x80
	v_cmp_eq_u16_sdwa s[12:13], v3, s4 src0_sel:BYTE_0 src1_sel:DWORD
	s_mov_b64 s[4:5], -1
                                        ; implicit-def: $sgpr10
	s_and_saveexec_b64 s[8:9], s[12:13]
; %bb.3786:
	s_mov_b32 s10, 0x7f800001
	s_xor_b64 s[4:5], exec, -1
; %bb.3787:
	s_or_b64 exec, exec, s[8:9]
	s_and_b64 s[4:5], s[4:5], exec
	s_or_saveexec_b64 s[6:7], s[6:7]
	v_mov_b32_e32 v2, s10
	s_xor_b64 exec, exec, s[6:7]
	s_cbranch_execz .LBB8_1738
.LBB8_3788:
	v_mov_b32_e32 v2, 0
	v_cmp_ne_u16_sdwa s[8:9], v3, v2 src0_sel:BYTE_0 src1_sel:DWORD
	s_andn2_b64 s[4:5], s[4:5], exec
	s_and_b64 s[8:9], s[8:9], exec
	s_or_b64 s[4:5], s[4:5], s[8:9]
	s_or_b64 exec, exec, s[6:7]
	s_and_saveexec_b64 s[6:7], s[4:5]
	s_cbranch_execnz .LBB8_1739
	s_branch .LBB8_1740
.LBB8_3789:
	s_movk_i32 s4, 0x80
	v_cmp_eq_u16_sdwa s[12:13], v3, s4 src0_sel:BYTE_0 src1_sel:DWORD
	s_mov_b64 s[4:5], -1
                                        ; implicit-def: $sgpr10
	s_and_saveexec_b64 s[8:9], s[12:13]
; %bb.3790:
	s_mov_b32 s10, 0x7f800001
	s_xor_b64 s[4:5], exec, -1
; %bb.3791:
	s_or_b64 exec, exec, s[8:9]
	s_and_b64 s[4:5], s[4:5], exec
	s_or_saveexec_b64 s[6:7], s[6:7]
	v_mov_b32_e32 v6, s10
	s_xor_b64 exec, exec, s[6:7]
	s_cbranch_execz .LBB8_1742
.LBB8_3792:
	v_mov_b32_e32 v6, 0
	v_cmp_ne_u16_sdwa s[8:9], v3, v6 src0_sel:BYTE_0 src1_sel:DWORD
	s_andn2_b64 s[4:5], s[4:5], exec
	s_and_b64 s[8:9], s[8:9], exec
	s_or_b64 s[4:5], s[4:5], s[8:9]
	s_or_b64 exec, exec, s[6:7]
	s_and_saveexec_b64 s[6:7], s[4:5]
	s_cbranch_execnz .LBB8_1743
	s_branch .LBB8_1744
.LBB8_3793:
	s_movk_i32 s4, 0x80
	v_cmp_eq_u16_e32 vcc, s4, v3
	s_mov_b64 s[4:5], -1
                                        ; implicit-def: $sgpr10
	s_and_saveexec_b64 s[8:9], vcc
; %bb.3794:
	s_mov_b32 s10, 0x7f800001
	s_xor_b64 s[4:5], exec, -1
; %bb.3795:
	s_or_b64 exec, exec, s[8:9]
	s_and_b64 s[4:5], s[4:5], exec
                                        ; implicit-def: $vgpr3
	s_or_saveexec_b64 s[6:7], s[6:7]
	v_mov_b32_e32 v2, s10
	s_xor_b64 exec, exec, s[6:7]
	s_cbranch_execz .LBB8_1746
.LBB8_3796:
	v_cmp_ne_u16_e32 vcc, 0, v3
	s_andn2_b64 s[4:5], s[4:5], exec
	s_and_b64 s[8:9], vcc, exec
	v_mov_b32_e32 v2, 0
	s_or_b64 s[4:5], s[4:5], s[8:9]
	s_or_b64 exec, exec, s[6:7]
	s_and_saveexec_b64 s[6:7], s[4:5]
	s_cbranch_execnz .LBB8_1747
	s_branch .LBB8_1748
.LBB8_3797:
	s_movk_i32 s4, 0x80
	v_cmp_eq_u16_e32 vcc, s4, v3
	s_mov_b64 s[4:5], -1
                                        ; implicit-def: $sgpr10
	s_and_saveexec_b64 s[8:9], vcc
; %bb.3798:
	s_mov_b32 s10, 0x7f800001
	s_xor_b64 s[4:5], exec, -1
; %bb.3799:
	s_or_b64 exec, exec, s[8:9]
	s_and_b64 s[4:5], s[4:5], exec
                                        ; implicit-def: $vgpr3
	s_or_saveexec_b64 s[6:7], s[6:7]
	v_mov_b32_e32 v6, s10
	s_xor_b64 exec, exec, s[6:7]
	s_cbranch_execz .LBB8_1750
.LBB8_3800:
	v_cmp_ne_u16_e32 vcc, 0, v3
	s_andn2_b64 s[4:5], s[4:5], exec
	s_and_b64 s[8:9], vcc, exec
	v_mov_b32_e32 v6, 0
	s_or_b64 s[4:5], s[4:5], s[8:9]
	s_or_b64 exec, exec, s[6:7]
	s_and_saveexec_b64 s[6:7], s[4:5]
	s_cbranch_execnz .LBB8_1751
	s_branch .LBB8_1752
.LBB8_3801:
	s_movk_i32 s4, 0x80
	v_cmp_eq_u16_sdwa s[12:13], v8, s4 src0_sel:BYTE_3 src1_sel:DWORD
	s_mov_b64 s[4:5], -1
                                        ; implicit-def: $sgpr10
	s_and_saveexec_b64 s[8:9], s[12:13]
; %bb.3802:
	s_mov_b32 s10, 0x7f800001
	s_xor_b64 s[4:5], exec, -1
; %bb.3803:
	s_or_b64 exec, exec, s[8:9]
	s_and_b64 s[4:5], s[4:5], exec
	s_or_saveexec_b64 s[6:7], s[6:7]
	v_mov_b32_e32 v2, s10
	s_xor_b64 exec, exec, s[6:7]
	s_cbranch_execz .LBB8_1754
.LBB8_3804:
	v_mov_b32_e32 v2, 0
	v_cmp_ne_u16_sdwa s[8:9], v8, v2 src0_sel:BYTE_3 src1_sel:DWORD
	s_andn2_b64 s[4:5], s[4:5], exec
	s_and_b64 s[8:9], s[8:9], exec
	s_or_b64 s[4:5], s[4:5], s[8:9]
	s_or_b64 exec, exec, s[6:7]
	s_and_saveexec_b64 s[6:7], s[4:5]
	s_cbranch_execnz .LBB8_1755
	s_branch .LBB8_1756
.LBB8_3805:
	s_movk_i32 s4, 0x80
	v_cmp_eq_u16_sdwa s[12:13], v4, s4 src0_sel:BYTE_3 src1_sel:DWORD
	s_mov_b64 s[4:5], -1
                                        ; implicit-def: $sgpr10
	s_and_saveexec_b64 s[8:9], s[12:13]
; %bb.3806:
	s_mov_b32 s10, 0x7f800001
	s_xor_b64 s[4:5], exec, -1
; %bb.3807:
	s_or_b64 exec, exec, s[8:9]
	s_and_b64 s[4:5], s[4:5], exec
	s_or_saveexec_b64 s[6:7], s[6:7]
	v_mov_b32_e32 v3, s10
	s_xor_b64 exec, exec, s[6:7]
	s_cbranch_execz .LBB8_1758
.LBB8_3808:
	v_mov_b32_e32 v3, 0
	v_cmp_ne_u16_sdwa s[8:9], v4, v3 src0_sel:BYTE_3 src1_sel:DWORD
	s_andn2_b64 s[4:5], s[4:5], exec
	s_and_b64 s[8:9], s[8:9], exec
	s_or_b64 s[4:5], s[4:5], s[8:9]
	s_or_b64 exec, exec, s[6:7]
	s_and_saveexec_b64 s[6:7], s[4:5]
	s_cbranch_execnz .LBB8_1759
	s_branch .LBB8_1760
.LBB8_3809:
	s_movk_i32 s4, 0x80
	v_cmp_eq_u16_sdwa s[12:13], v9, s4 src0_sel:BYTE_0 src1_sel:DWORD
	s_mov_b64 s[4:5], -1
                                        ; implicit-def: $sgpr10
	s_and_saveexec_b64 s[8:9], s[12:13]
; %bb.3810:
	s_mov_b32 s10, 0x7f800001
	s_xor_b64 s[4:5], exec, -1
; %bb.3811:
	s_or_b64 exec, exec, s[8:9]
	s_and_b64 s[4:5], s[4:5], exec
	s_or_saveexec_b64 s[6:7], s[6:7]
	v_mov_b32_e32 v2, s10
	s_xor_b64 exec, exec, s[6:7]
	s_cbranch_execz .LBB8_1762
.LBB8_3812:
	v_mov_b32_e32 v2, 0
	v_cmp_ne_u16_sdwa s[8:9], v9, v2 src0_sel:BYTE_0 src1_sel:DWORD
	s_andn2_b64 s[4:5], s[4:5], exec
	s_and_b64 s[8:9], s[8:9], exec
	s_or_b64 s[4:5], s[4:5], s[8:9]
	s_or_b64 exec, exec, s[6:7]
	s_and_saveexec_b64 s[6:7], s[4:5]
	s_cbranch_execnz .LBB8_1763
	s_branch .LBB8_1764
.LBB8_3813:
	s_movk_i32 s4, 0x80
	v_cmp_eq_u16_sdwa s[12:13], v5, s4 src0_sel:BYTE_0 src1_sel:DWORD
	s_mov_b64 s[4:5], -1
                                        ; implicit-def: $sgpr10
	s_and_saveexec_b64 s[8:9], s[12:13]
; %bb.3814:
	s_mov_b32 s10, 0x7f800001
	s_xor_b64 s[4:5], exec, -1
; %bb.3815:
	s_or_b64 exec, exec, s[8:9]
	s_and_b64 s[4:5], s[4:5], exec
	s_or_saveexec_b64 s[6:7], s[6:7]
	v_mov_b32_e32 v3, s10
	s_xor_b64 exec, exec, s[6:7]
	s_cbranch_execz .LBB8_1766
.LBB8_3816:
	v_mov_b32_e32 v3, 0
	v_cmp_ne_u16_sdwa s[8:9], v5, v3 src0_sel:BYTE_0 src1_sel:DWORD
	s_andn2_b64 s[4:5], s[4:5], exec
	s_and_b64 s[8:9], s[8:9], exec
	s_or_b64 s[4:5], s[4:5], s[8:9]
	s_or_b64 exec, exec, s[6:7]
	s_and_saveexec_b64 s[6:7], s[4:5]
	s_cbranch_execnz .LBB8_1767
	s_branch .LBB8_1768
.LBB8_3817:
	s_movk_i32 s4, 0x80
	v_cmp_eq_u16_sdwa s[12:13], v3, s4 src0_sel:BYTE_0 src1_sel:DWORD
	s_mov_b64 s[4:5], -1
                                        ; implicit-def: $sgpr10
	s_and_saveexec_b64 s[8:9], s[12:13]
; %bb.3818:
	s_mov_b32 s10, 0x7f800001
	s_xor_b64 s[4:5], exec, -1
; %bb.3819:
	s_or_b64 exec, exec, s[8:9]
	s_and_b64 s[4:5], s[4:5], exec
	s_or_saveexec_b64 s[6:7], s[6:7]
	v_mov_b32_e32 v2, s10
	s_xor_b64 exec, exec, s[6:7]
	s_cbranch_execz .LBB8_1770
.LBB8_3820:
	v_mov_b32_e32 v2, 0
	v_cmp_ne_u16_sdwa s[8:9], v3, v2 src0_sel:BYTE_0 src1_sel:DWORD
	s_andn2_b64 s[4:5], s[4:5], exec
	s_and_b64 s[8:9], s[8:9], exec
	s_or_b64 s[4:5], s[4:5], s[8:9]
	s_or_b64 exec, exec, s[6:7]
	s_and_saveexec_b64 s[6:7], s[4:5]
	s_cbranch_execnz .LBB8_1771
	s_branch .LBB8_1772
.LBB8_3821:
	s_movk_i32 s4, 0x80
	v_cmp_eq_u16_sdwa s[12:13], v3, s4 src0_sel:BYTE_0 src1_sel:DWORD
	s_mov_b64 s[4:5], -1
                                        ; implicit-def: $sgpr10
	s_and_saveexec_b64 s[8:9], s[12:13]
; %bb.3822:
	s_mov_b32 s10, 0x7f800001
	s_xor_b64 s[4:5], exec, -1
; %bb.3823:
	s_or_b64 exec, exec, s[8:9]
	s_and_b64 s[4:5], s[4:5], exec
	s_or_saveexec_b64 s[6:7], s[6:7]
	v_mov_b32_e32 v4, s10
	s_xor_b64 exec, exec, s[6:7]
	s_cbranch_execz .LBB8_1774
.LBB8_3824:
	v_mov_b32_e32 v4, 0
	v_cmp_ne_u16_sdwa s[8:9], v3, v4 src0_sel:BYTE_0 src1_sel:DWORD
	s_andn2_b64 s[4:5], s[4:5], exec
	s_and_b64 s[8:9], s[8:9], exec
	s_or_b64 s[4:5], s[4:5], s[8:9]
	s_or_b64 exec, exec, s[6:7]
	s_and_saveexec_b64 s[6:7], s[4:5]
	s_cbranch_execnz .LBB8_1775
	s_branch .LBB8_1776
.LBB8_3825:
	s_movk_i32 s4, 0x80
	v_cmp_eq_u16_e32 vcc, s4, v3
	s_mov_b64 s[4:5], -1
                                        ; implicit-def: $sgpr10
	s_and_saveexec_b64 s[8:9], vcc
; %bb.3826:
	s_mov_b32 s10, 0x7f800001
	s_xor_b64 s[4:5], exec, -1
; %bb.3827:
	s_or_b64 exec, exec, s[8:9]
	s_and_b64 s[4:5], s[4:5], exec
                                        ; implicit-def: $vgpr3
	s_or_saveexec_b64 s[6:7], s[6:7]
	v_mov_b32_e32 v2, s10
	s_xor_b64 exec, exec, s[6:7]
	s_cbranch_execz .LBB8_1778
.LBB8_3828:
	v_cmp_ne_u16_e32 vcc, 0, v3
	s_andn2_b64 s[4:5], s[4:5], exec
	s_and_b64 s[8:9], vcc, exec
	v_mov_b32_e32 v2, 0
	s_or_b64 s[4:5], s[4:5], s[8:9]
	s_or_b64 exec, exec, s[6:7]
	s_and_saveexec_b64 s[6:7], s[4:5]
	s_cbranch_execnz .LBB8_1779
	s_branch .LBB8_1780
.LBB8_3829:
	s_movk_i32 s4, 0x80
	v_cmp_eq_u16_e32 vcc, s4, v3
	s_mov_b64 s[4:5], -1
                                        ; implicit-def: $sgpr10
	s_and_saveexec_b64 s[8:9], vcc
; %bb.3830:
	s_mov_b32 s10, 0x7f800001
	s_xor_b64 s[4:5], exec, -1
; %bb.3831:
	s_or_b64 exec, exec, s[8:9]
	s_and_b64 s[4:5], s[4:5], exec
                                        ; implicit-def: $vgpr3
	s_or_saveexec_b64 s[6:7], s[6:7]
	v_mov_b32_e32 v4, s10
	s_xor_b64 exec, exec, s[6:7]
	s_cbranch_execz .LBB8_1782
.LBB8_3832:
	v_cmp_ne_u16_e32 vcc, 0, v3
	s_andn2_b64 s[4:5], s[4:5], exec
	s_and_b64 s[8:9], vcc, exec
	v_mov_b32_e32 v4, 0
	s_or_b64 s[4:5], s[4:5], s[8:9]
	s_or_b64 exec, exec, s[6:7]
	s_and_saveexec_b64 s[6:7], s[4:5]
	s_cbranch_execnz .LBB8_1783
	s_branch .LBB8_1784
.LBB8_3833:
	s_movk_i32 s4, 0x80
	v_cmp_eq_u16_sdwa s[12:13], v9, s4 src0_sel:BYTE_3 src1_sel:DWORD
	s_mov_b64 s[4:5], -1
                                        ; implicit-def: $sgpr10
	s_and_saveexec_b64 s[8:9], s[12:13]
; %bb.3834:
	s_mov_b32 s10, 0x7f800001
	s_xor_b64 s[4:5], exec, -1
; %bb.3835:
	s_or_b64 exec, exec, s[8:9]
	s_and_b64 s[4:5], s[4:5], exec
	s_or_saveexec_b64 s[6:7], s[6:7]
	v_mov_b32_e32 v2, s10
	s_xor_b64 exec, exec, s[6:7]
	s_cbranch_execz .LBB8_1786
.LBB8_3836:
	v_mov_b32_e32 v2, 0
	v_cmp_ne_u16_sdwa s[8:9], v9, v2 src0_sel:BYTE_3 src1_sel:DWORD
	s_andn2_b64 s[4:5], s[4:5], exec
	s_and_b64 s[8:9], s[8:9], exec
	s_or_b64 s[4:5], s[4:5], s[8:9]
	s_or_b64 exec, exec, s[6:7]
	s_and_saveexec_b64 s[6:7], s[4:5]
	s_cbranch_execnz .LBB8_1787
	s_branch .LBB8_1788
.LBB8_3837:
	s_movk_i32 s4, 0x80
	v_cmp_eq_u16_sdwa s[12:13], v5, s4 src0_sel:BYTE_3 src1_sel:DWORD
	s_mov_b64 s[4:5], -1
                                        ; implicit-def: $sgpr10
	s_and_saveexec_b64 s[8:9], s[12:13]
; %bb.3838:
	s_mov_b32 s10, 0x7f800001
	s_xor_b64 s[4:5], exec, -1
; %bb.3839:
	s_or_b64 exec, exec, s[8:9]
	s_and_b64 s[4:5], s[4:5], exec
	s_or_saveexec_b64 s[6:7], s[6:7]
	v_mov_b32_e32 v3, s10
	s_xor_b64 exec, exec, s[6:7]
	s_cbranch_execz .LBB8_1790
.LBB8_3840:
	v_mov_b32_e32 v3, 0
	v_cmp_ne_u16_sdwa s[8:9], v5, v3 src0_sel:BYTE_3 src1_sel:DWORD
	s_andn2_b64 s[4:5], s[4:5], exec
	s_and_b64 s[8:9], s[8:9], exec
	s_or_b64 s[4:5], s[4:5], s[8:9]
	s_or_b64 exec, exec, s[6:7]
	s_and_saveexec_b64 s[6:7], s[4:5]
	s_cbranch_execnz .LBB8_1791
	s_branch .LBB8_1792
.LBB8_3841:
	s_movk_i32 s4, 0x80
	v_cmp_eq_u16_sdwa s[12:13], v12, s4 src0_sel:BYTE_0 src1_sel:DWORD
	s_mov_b64 s[4:5], -1
                                        ; implicit-def: $sgpr10
	s_and_saveexec_b64 s[8:9], s[12:13]
; %bb.3842:
	s_mov_b32 s10, 0x7f800001
	s_xor_b64 s[4:5], exec, -1
; %bb.3843:
	s_or_b64 exec, exec, s[8:9]
	s_and_b64 s[4:5], s[4:5], exec
	s_or_saveexec_b64 s[6:7], s[6:7]
	v_mov_b32_e32 v18, s10
	s_xor_b64 exec, exec, s[6:7]
	s_cbranch_execz .LBB8_1794
.LBB8_3844:
	v_mov_b32_e32 v18, 0
	v_cmp_ne_u16_sdwa s[8:9], v12, v18 src0_sel:BYTE_0 src1_sel:DWORD
	s_andn2_b64 s[4:5], s[4:5], exec
	s_and_b64 s[8:9], s[8:9], exec
	s_or_b64 s[4:5], s[4:5], s[8:9]
	s_or_b64 exec, exec, s[6:7]
	s_and_saveexec_b64 s[6:7], s[4:5]
	s_cbranch_execnz .LBB8_1795
	s_branch .LBB8_1796
.LBB8_3845:
	s_movk_i32 s4, 0x80
	v_cmp_eq_u16_sdwa s[12:13], v8, s4 src0_sel:BYTE_0 src1_sel:DWORD
	s_mov_b64 s[4:5], -1
                                        ; implicit-def: $sgpr10
	s_and_saveexec_b64 s[8:9], s[12:13]
; %bb.3846:
	s_mov_b32 s10, 0x7f800001
	s_xor_b64 s[4:5], exec, -1
; %bb.3847:
	s_or_b64 exec, exec, s[8:9]
	s_and_b64 s[4:5], s[4:5], exec
	s_or_saveexec_b64 s[6:7], s[6:7]
	v_mov_b32_e32 v19, s10
	s_xor_b64 exec, exec, s[6:7]
	s_cbranch_execz .LBB8_1798
.LBB8_3848:
	v_mov_b32_e32 v19, 0
	v_cmp_ne_u16_sdwa s[8:9], v8, v19 src0_sel:BYTE_0 src1_sel:DWORD
	s_andn2_b64 s[4:5], s[4:5], exec
	s_and_b64 s[8:9], s[8:9], exec
	s_or_b64 s[4:5], s[4:5], s[8:9]
	s_or_b64 exec, exec, s[6:7]
	s_and_saveexec_b64 s[6:7], s[4:5]
	s_cbranch_execnz .LBB8_1799
	s_branch .LBB8_1800
.LBB8_3849:
	s_movk_i32 s4, 0x80
	v_cmp_eq_u16_sdwa s[12:13], v19, s4 src0_sel:BYTE_0 src1_sel:DWORD
	s_mov_b64 s[4:5], -1
                                        ; implicit-def: $sgpr10
	s_and_saveexec_b64 s[8:9], s[12:13]
; %bb.3850:
	s_mov_b32 s10, 0x7f800001
	s_xor_b64 s[4:5], exec, -1
; %bb.3851:
	s_or_b64 exec, exec, s[8:9]
	s_and_b64 s[4:5], s[4:5], exec
	s_or_saveexec_b64 s[6:7], s[6:7]
	v_mov_b32_e32 v18, s10
	s_xor_b64 exec, exec, s[6:7]
	s_cbranch_execz .LBB8_1802
.LBB8_3852:
	v_mov_b32_e32 v18, 0
	v_cmp_ne_u16_sdwa s[8:9], v19, v18 src0_sel:BYTE_0 src1_sel:DWORD
	s_andn2_b64 s[4:5], s[4:5], exec
	s_and_b64 s[8:9], s[8:9], exec
	s_or_b64 s[4:5], s[4:5], s[8:9]
	s_or_b64 exec, exec, s[6:7]
	s_and_saveexec_b64 s[6:7], s[4:5]
	s_cbranch_execnz .LBB8_1803
	s_branch .LBB8_1804
.LBB8_3853:
	s_movk_i32 s4, 0x80
	v_cmp_eq_u16_sdwa s[12:13], v19, s4 src0_sel:BYTE_0 src1_sel:DWORD
	s_mov_b64 s[4:5], -1
                                        ; implicit-def: $sgpr10
	s_and_saveexec_b64 s[8:9], s[12:13]
; %bb.3854:
	s_mov_b32 s10, 0x7f800001
	s_xor_b64 s[4:5], exec, -1
; %bb.3855:
	s_or_b64 exec, exec, s[8:9]
	s_and_b64 s[4:5], s[4:5], exec
	s_or_saveexec_b64 s[6:7], s[6:7]
	v_mov_b32_e32 v20, s10
	s_xor_b64 exec, exec, s[6:7]
	s_cbranch_execz .LBB8_1806
.LBB8_3856:
	v_mov_b32_e32 v20, 0
	v_cmp_ne_u16_sdwa s[8:9], v19, v20 src0_sel:BYTE_0 src1_sel:DWORD
	s_andn2_b64 s[4:5], s[4:5], exec
	s_and_b64 s[8:9], s[8:9], exec
	s_or_b64 s[4:5], s[4:5], s[8:9]
	s_or_b64 exec, exec, s[6:7]
	s_and_saveexec_b64 s[6:7], s[4:5]
	s_cbranch_execnz .LBB8_1807
	s_branch .LBB8_1808
.LBB8_3857:
	s_movk_i32 s4, 0x80
	v_cmp_eq_u16_e32 vcc, s4, v19
	s_mov_b64 s[4:5], -1
                                        ; implicit-def: $sgpr10
	s_and_saveexec_b64 s[8:9], vcc
; %bb.3858:
	s_mov_b32 s10, 0x7f800001
	s_xor_b64 s[4:5], exec, -1
; %bb.3859:
	s_or_b64 exec, exec, s[8:9]
	s_and_b64 s[4:5], s[4:5], exec
                                        ; implicit-def: $vgpr19
	s_or_saveexec_b64 s[6:7], s[6:7]
	v_mov_b32_e32 v18, s10
	s_xor_b64 exec, exec, s[6:7]
	s_cbranch_execz .LBB8_1810
.LBB8_3860:
	v_cmp_ne_u16_e32 vcc, 0, v19
	s_andn2_b64 s[4:5], s[4:5], exec
	s_and_b64 s[8:9], vcc, exec
	v_mov_b32_e32 v18, 0
	s_or_b64 s[4:5], s[4:5], s[8:9]
	s_or_b64 exec, exec, s[6:7]
	s_and_saveexec_b64 s[6:7], s[4:5]
	s_cbranch_execnz .LBB8_1811
	s_branch .LBB8_1812
.LBB8_3861:
	s_movk_i32 s4, 0x80
	v_cmp_eq_u16_e32 vcc, s4, v19
	s_mov_b64 s[4:5], -1
                                        ; implicit-def: $sgpr10
	s_and_saveexec_b64 s[8:9], vcc
; %bb.3862:
	s_mov_b32 s10, 0x7f800001
	s_xor_b64 s[4:5], exec, -1
; %bb.3863:
	s_or_b64 exec, exec, s[8:9]
	s_and_b64 s[4:5], s[4:5], exec
                                        ; implicit-def: $vgpr19
	s_or_saveexec_b64 s[6:7], s[6:7]
	v_mov_b32_e32 v20, s10
	s_xor_b64 exec, exec, s[6:7]
	s_cbranch_execz .LBB8_1814
.LBB8_3864:
	v_cmp_ne_u16_e32 vcc, 0, v19
	s_andn2_b64 s[4:5], s[4:5], exec
	s_and_b64 s[8:9], vcc, exec
	v_mov_b32_e32 v20, 0
	s_or_b64 s[4:5], s[4:5], s[8:9]
	s_or_b64 exec, exec, s[6:7]
	s_and_saveexec_b64 s[6:7], s[4:5]
	s_cbranch_execnz .LBB8_1815
	s_branch .LBB8_1816
.LBB8_3865:
	s_movk_i32 s4, 0x80
	v_cmp_eq_u16_sdwa s[12:13], v12, s4 src0_sel:BYTE_3 src1_sel:DWORD
	s_mov_b64 s[4:5], -1
                                        ; implicit-def: $sgpr10
	s_and_saveexec_b64 s[8:9], s[12:13]
; %bb.3866:
	s_mov_b32 s10, 0x7f800001
	s_xor_b64 s[4:5], exec, -1
; %bb.3867:
	s_or_b64 exec, exec, s[8:9]
	s_and_b64 s[4:5], s[4:5], exec
	s_or_saveexec_b64 s[6:7], s[6:7]
	v_mov_b32_e32 v18, s10
	s_xor_b64 exec, exec, s[6:7]
	s_cbranch_execz .LBB8_1818
.LBB8_3868:
	v_mov_b32_e32 v18, 0
	v_cmp_ne_u16_sdwa s[8:9], v12, v18 src0_sel:BYTE_3 src1_sel:DWORD
	s_andn2_b64 s[4:5], s[4:5], exec
	s_and_b64 s[8:9], s[8:9], exec
	s_or_b64 s[4:5], s[4:5], s[8:9]
	s_or_b64 exec, exec, s[6:7]
	s_and_saveexec_b64 s[6:7], s[4:5]
	s_cbranch_execnz .LBB8_1819
	s_branch .LBB8_1820
.LBB8_3869:
	s_movk_i32 s4, 0x80
	v_cmp_eq_u16_sdwa s[12:13], v8, s4 src0_sel:BYTE_3 src1_sel:DWORD
	s_mov_b64 s[4:5], -1
                                        ; implicit-def: $sgpr10
	s_and_saveexec_b64 s[8:9], s[12:13]
; %bb.3870:
	s_mov_b32 s10, 0x7f800001
	s_xor_b64 s[4:5], exec, -1
; %bb.3871:
	s_or_b64 exec, exec, s[8:9]
	s_and_b64 s[4:5], s[4:5], exec
	s_or_saveexec_b64 s[6:7], s[6:7]
	v_mov_b32_e32 v12, s10
	s_xor_b64 exec, exec, s[6:7]
	s_cbranch_execz .LBB8_1822
.LBB8_3872:
	v_mov_b32_e32 v12, 0
	v_cmp_ne_u16_sdwa s[8:9], v8, v12 src0_sel:BYTE_3 src1_sel:DWORD
	s_andn2_b64 s[4:5], s[4:5], exec
	s_and_b64 s[8:9], s[8:9], exec
	s_or_b64 s[4:5], s[4:5], s[8:9]
	s_or_b64 exec, exec, s[6:7]
	s_and_saveexec_b64 s[6:7], s[4:5]
	s_cbranch_execnz .LBB8_1823
	s_branch .LBB8_1824
.LBB8_3873:
	s_movk_i32 s4, 0x80
	v_cmp_eq_u16_sdwa s[12:13], v13, s4 src0_sel:BYTE_0 src1_sel:DWORD
	s_mov_b64 s[4:5], -1
                                        ; implicit-def: $sgpr10
	s_and_saveexec_b64 s[8:9], s[12:13]
; %bb.3874:
	s_mov_b32 s10, 0x7f800001
	s_xor_b64 s[4:5], exec, -1
; %bb.3875:
	s_or_b64 exec, exec, s[8:9]
	s_and_b64 s[4:5], s[4:5], exec
	s_or_saveexec_b64 s[6:7], s[6:7]
	v_mov_b32_e32 v8, s10
	s_xor_b64 exec, exec, s[6:7]
	s_cbranch_execz .LBB8_1826
.LBB8_3876:
	v_mov_b32_e32 v8, 0
	v_cmp_ne_u16_sdwa s[8:9], v13, v8 src0_sel:BYTE_0 src1_sel:DWORD
	s_andn2_b64 s[4:5], s[4:5], exec
	s_and_b64 s[8:9], s[8:9], exec
	s_or_b64 s[4:5], s[4:5], s[8:9]
	s_or_b64 exec, exec, s[6:7]
	s_and_saveexec_b64 s[6:7], s[4:5]
	s_cbranch_execnz .LBB8_1827
	s_branch .LBB8_1828
.LBB8_3877:
	s_movk_i32 s4, 0x80
	v_cmp_eq_u16_sdwa s[12:13], v9, s4 src0_sel:BYTE_0 src1_sel:DWORD
	s_mov_b64 s[4:5], -1
                                        ; implicit-def: $sgpr10
	s_and_saveexec_b64 s[8:9], s[12:13]
; %bb.3878:
	s_mov_b32 s10, 0x7f800001
	s_xor_b64 s[4:5], exec, -1
; %bb.3879:
	s_or_b64 exec, exec, s[8:9]
	s_and_b64 s[4:5], s[4:5], exec
	s_or_saveexec_b64 s[6:7], s[6:7]
	v_mov_b32_e32 v12, s10
	s_xor_b64 exec, exec, s[6:7]
	s_cbranch_execz .LBB8_1830
.LBB8_3880:
	v_mov_b32_e32 v12, 0
	v_cmp_ne_u16_sdwa s[8:9], v9, v12 src0_sel:BYTE_0 src1_sel:DWORD
	s_andn2_b64 s[4:5], s[4:5], exec
	s_and_b64 s[8:9], s[8:9], exec
	s_or_b64 s[4:5], s[4:5], s[8:9]
	s_or_b64 exec, exec, s[6:7]
	s_and_saveexec_b64 s[6:7], s[4:5]
	s_cbranch_execnz .LBB8_1831
	s_branch .LBB8_1832
.LBB8_3881:
	s_movk_i32 s4, 0x80
	v_cmp_eq_u16_sdwa s[12:13], v12, s4 src0_sel:BYTE_0 src1_sel:DWORD
	s_mov_b64 s[4:5], -1
                                        ; implicit-def: $sgpr10
	s_and_saveexec_b64 s[8:9], s[12:13]
; %bb.3882:
	s_mov_b32 s10, 0x7f800001
	s_xor_b64 s[4:5], exec, -1
; %bb.3883:
	s_or_b64 exec, exec, s[8:9]
	s_and_b64 s[4:5], s[4:5], exec
	s_or_saveexec_b64 s[6:7], s[6:7]
	v_mov_b32_e32 v8, s10
	s_xor_b64 exec, exec, s[6:7]
	s_cbranch_execz .LBB8_1834
.LBB8_3884:
	v_mov_b32_e32 v8, 0
	v_cmp_ne_u16_sdwa s[8:9], v12, v8 src0_sel:BYTE_0 src1_sel:DWORD
	s_andn2_b64 s[4:5], s[4:5], exec
	s_and_b64 s[8:9], s[8:9], exec
	s_or_b64 s[4:5], s[4:5], s[8:9]
	s_or_b64 exec, exec, s[6:7]
	s_and_saveexec_b64 s[6:7], s[4:5]
	s_cbranch_execnz .LBB8_1835
	s_branch .LBB8_1836
.LBB8_3885:
	s_movk_i32 s4, 0x80
	v_cmp_eq_u16_sdwa s[12:13], v12, s4 src0_sel:BYTE_0 src1_sel:DWORD
	s_mov_b64 s[4:5], -1
                                        ; implicit-def: $sgpr10
	s_and_saveexec_b64 s[8:9], s[12:13]
; %bb.3886:
	s_mov_b32 s10, 0x7f800001
	s_xor_b64 s[4:5], exec, -1
; %bb.3887:
	s_or_b64 exec, exec, s[8:9]
	s_and_b64 s[4:5], s[4:5], exec
	s_or_saveexec_b64 s[6:7], s[6:7]
	v_mov_b32_e32 v18, s10
	s_xor_b64 exec, exec, s[6:7]
	s_cbranch_execz .LBB8_1838
.LBB8_3888:
	v_mov_b32_e32 v18, 0
	v_cmp_ne_u16_sdwa s[8:9], v12, v18 src0_sel:BYTE_0 src1_sel:DWORD
	s_andn2_b64 s[4:5], s[4:5], exec
	s_and_b64 s[8:9], s[8:9], exec
	s_or_b64 s[4:5], s[4:5], s[8:9]
	s_or_b64 exec, exec, s[6:7]
	s_and_saveexec_b64 s[6:7], s[4:5]
	s_cbranch_execnz .LBB8_1839
	s_branch .LBB8_1840
.LBB8_3889:
	s_movk_i32 s4, 0x80
	v_cmp_eq_u16_e32 vcc, s4, v12
	s_mov_b64 s[4:5], -1
                                        ; implicit-def: $sgpr10
	s_and_saveexec_b64 s[8:9], vcc
; %bb.3890:
	s_mov_b32 s10, 0x7f800001
	s_xor_b64 s[4:5], exec, -1
; %bb.3891:
	s_or_b64 exec, exec, s[8:9]
	s_and_b64 s[4:5], s[4:5], exec
                                        ; implicit-def: $vgpr12
	s_or_saveexec_b64 s[6:7], s[6:7]
	v_mov_b32_e32 v8, s10
	s_xor_b64 exec, exec, s[6:7]
	s_cbranch_execz .LBB8_1842
.LBB8_3892:
	v_cmp_ne_u16_e32 vcc, 0, v12
	s_andn2_b64 s[4:5], s[4:5], exec
	s_and_b64 s[8:9], vcc, exec
	v_mov_b32_e32 v8, 0
	s_or_b64 s[4:5], s[4:5], s[8:9]
	s_or_b64 exec, exec, s[6:7]
	s_and_saveexec_b64 s[6:7], s[4:5]
	s_cbranch_execnz .LBB8_1843
	s_branch .LBB8_1844
.LBB8_3893:
	s_movk_i32 s4, 0x80
	v_cmp_eq_u16_e32 vcc, s4, v12
	s_mov_b64 s[4:5], -1
                                        ; implicit-def: $sgpr10
	s_and_saveexec_b64 s[8:9], vcc
; %bb.3894:
	s_mov_b32 s10, 0x7f800001
	s_xor_b64 s[4:5], exec, -1
; %bb.3895:
	s_or_b64 exec, exec, s[8:9]
	s_and_b64 s[4:5], s[4:5], exec
                                        ; implicit-def: $vgpr12
	s_or_saveexec_b64 s[6:7], s[6:7]
	v_mov_b32_e32 v18, s10
	s_xor_b64 exec, exec, s[6:7]
	s_cbranch_execz .LBB8_1846
.LBB8_3896:
	v_cmp_ne_u16_e32 vcc, 0, v12
	s_andn2_b64 s[4:5], s[4:5], exec
	s_and_b64 s[8:9], vcc, exec
	v_mov_b32_e32 v18, 0
	s_or_b64 s[4:5], s[4:5], s[8:9]
	s_or_b64 exec, exec, s[6:7]
	s_and_saveexec_b64 s[6:7], s[4:5]
	s_cbranch_execnz .LBB8_1847
	s_branch .LBB8_1848
.LBB8_3897:
	s_movk_i32 s4, 0x80
	v_cmp_eq_u16_sdwa s[12:13], v13, s4 src0_sel:BYTE_3 src1_sel:DWORD
	s_mov_b64 s[4:5], -1
                                        ; implicit-def: $sgpr10
	s_and_saveexec_b64 s[8:9], s[12:13]
; %bb.3898:
	s_mov_b32 s10, 0x7f800001
	s_xor_b64 s[4:5], exec, -1
; %bb.3899:
	s_or_b64 exec, exec, s[8:9]
	s_and_b64 s[4:5], s[4:5], exec
	s_or_saveexec_b64 s[6:7], s[6:7]
	v_mov_b32_e32 v8, s10
	s_xor_b64 exec, exec, s[6:7]
	s_cbranch_execz .LBB8_1850
.LBB8_3900:
	v_mov_b32_e32 v8, 0
	v_cmp_ne_u16_sdwa s[8:9], v13, v8 src0_sel:BYTE_3 src1_sel:DWORD
	s_andn2_b64 s[4:5], s[4:5], exec
	s_and_b64 s[8:9], s[8:9], exec
	s_or_b64 s[4:5], s[4:5], s[8:9]
	s_or_b64 exec, exec, s[6:7]
	s_and_saveexec_b64 s[6:7], s[4:5]
	s_cbranch_execnz .LBB8_1851
	s_branch .LBB8_1852
.LBB8_3901:
	s_movk_i32 s4, 0x80
	v_cmp_eq_u16_sdwa s[12:13], v9, s4 src0_sel:BYTE_3 src1_sel:DWORD
	s_mov_b64 s[4:5], -1
                                        ; implicit-def: $sgpr10
	s_and_saveexec_b64 s[8:9], s[12:13]
; %bb.3902:
	s_mov_b32 s10, 0x7f800001
	s_xor_b64 s[4:5], exec, -1
; %bb.3903:
	s_or_b64 exec, exec, s[8:9]
	s_and_b64 s[4:5], s[4:5], exec
	s_or_saveexec_b64 s[6:7], s[6:7]
	v_mov_b32_e32 v12, s10
	s_xor_b64 exec, exec, s[6:7]
	s_cbranch_execz .LBB8_1854
.LBB8_3904:
	v_mov_b32_e32 v12, 0
	v_cmp_ne_u16_sdwa s[8:9], v9, v12 src0_sel:BYTE_3 src1_sel:DWORD
	s_andn2_b64 s[4:5], s[4:5], exec
	s_and_b64 s[8:9], s[8:9], exec
	s_or_b64 s[4:5], s[4:5], s[8:9]
	s_or_b64 exec, exec, s[6:7]
	s_and_saveexec_b64 s[6:7], s[4:5]
	s_cbranch_execnz .LBB8_1855
	s_branch .LBB8_1856
.LBB8_3905:
	s_movk_i32 s4, 0x80
	v_cmp_eq_u16_sdwa s[12:13], v14, s4 src0_sel:BYTE_0 src1_sel:DWORD
	s_mov_b64 s[4:5], -1
                                        ; implicit-def: $sgpr10
	s_and_saveexec_b64 s[8:9], s[12:13]
; %bb.3906:
	s_mov_b32 s10, 0x7f800001
	s_xor_b64 s[4:5], exec, -1
; %bb.3907:
	s_or_b64 exec, exec, s[8:9]
	s_and_b64 s[4:5], s[4:5], exec
	s_or_saveexec_b64 s[6:7], s[6:7]
	v_mov_b32_e32 v8, s10
	s_xor_b64 exec, exec, s[6:7]
	s_cbranch_execz .LBB8_1858
.LBB8_3908:
	v_mov_b32_e32 v8, 0
	v_cmp_ne_u16_sdwa s[8:9], v14, v8 src0_sel:BYTE_0 src1_sel:DWORD
	s_andn2_b64 s[4:5], s[4:5], exec
	s_and_b64 s[8:9], s[8:9], exec
	s_or_b64 s[4:5], s[4:5], s[8:9]
	s_or_b64 exec, exec, s[6:7]
	s_and_saveexec_b64 s[6:7], s[4:5]
	s_cbranch_execnz .LBB8_1859
	s_branch .LBB8_1860
.LBB8_3909:
	s_movk_i32 s4, 0x80
	v_cmp_eq_u16_sdwa s[12:13], v10, s4 src0_sel:BYTE_0 src1_sel:DWORD
	s_mov_b64 s[4:5], -1
                                        ; implicit-def: $sgpr10
	s_and_saveexec_b64 s[8:9], s[12:13]
; %bb.3910:
	s_mov_b32 s10, 0x7f800001
	s_xor_b64 s[4:5], exec, -1
; %bb.3911:
	s_or_b64 exec, exec, s[8:9]
	s_and_b64 s[4:5], s[4:5], exec
	s_or_saveexec_b64 s[6:7], s[6:7]
	v_mov_b32_e32 v9, s10
	s_xor_b64 exec, exec, s[6:7]
	s_cbranch_execz .LBB8_1862
.LBB8_3912:
	v_mov_b32_e32 v9, 0
	v_cmp_ne_u16_sdwa s[8:9], v10, v9 src0_sel:BYTE_0 src1_sel:DWORD
	s_andn2_b64 s[4:5], s[4:5], exec
	s_and_b64 s[8:9], s[8:9], exec
	s_or_b64 s[4:5], s[4:5], s[8:9]
	s_or_b64 exec, exec, s[6:7]
	s_and_saveexec_b64 s[6:7], s[4:5]
	s_cbranch_execnz .LBB8_1863
	s_branch .LBB8_1864
.LBB8_3913:
	s_movk_i32 s4, 0x80
	v_cmp_eq_u16_sdwa s[12:13], v9, s4 src0_sel:BYTE_0 src1_sel:DWORD
	s_mov_b64 s[4:5], -1
                                        ; implicit-def: $sgpr10
	s_and_saveexec_b64 s[8:9], s[12:13]
; %bb.3914:
	s_mov_b32 s10, 0x7f800001
	s_xor_b64 s[4:5], exec, -1
; %bb.3915:
	s_or_b64 exec, exec, s[8:9]
	s_and_b64 s[4:5], s[4:5], exec
	s_or_saveexec_b64 s[6:7], s[6:7]
	v_mov_b32_e32 v8, s10
	s_xor_b64 exec, exec, s[6:7]
	s_cbranch_execz .LBB8_1866
.LBB8_3916:
	v_mov_b32_e32 v8, 0
	v_cmp_ne_u16_sdwa s[8:9], v9, v8 src0_sel:BYTE_0 src1_sel:DWORD
	s_andn2_b64 s[4:5], s[4:5], exec
	s_and_b64 s[8:9], s[8:9], exec
	s_or_b64 s[4:5], s[4:5], s[8:9]
	s_or_b64 exec, exec, s[6:7]
	s_and_saveexec_b64 s[6:7], s[4:5]
	s_cbranch_execnz .LBB8_1867
	s_branch .LBB8_1868
.LBB8_3917:
	s_movk_i32 s4, 0x80
	v_cmp_eq_u16_sdwa s[12:13], v9, s4 src0_sel:BYTE_0 src1_sel:DWORD
	s_mov_b64 s[4:5], -1
                                        ; implicit-def: $sgpr10
	s_and_saveexec_b64 s[8:9], s[12:13]
; %bb.3918:
	s_mov_b32 s10, 0x7f800001
	s_xor_b64 s[4:5], exec, -1
; %bb.3919:
	s_or_b64 exec, exec, s[8:9]
	s_and_b64 s[4:5], s[4:5], exec
	s_or_saveexec_b64 s[6:7], s[6:7]
	v_mov_b32_e32 v12, s10
	s_xor_b64 exec, exec, s[6:7]
	s_cbranch_execz .LBB8_1870
.LBB8_3920:
	v_mov_b32_e32 v12, 0
	v_cmp_ne_u16_sdwa s[8:9], v9, v12 src0_sel:BYTE_0 src1_sel:DWORD
	s_andn2_b64 s[4:5], s[4:5], exec
	s_and_b64 s[8:9], s[8:9], exec
	s_or_b64 s[4:5], s[4:5], s[8:9]
	s_or_b64 exec, exec, s[6:7]
	s_and_saveexec_b64 s[6:7], s[4:5]
	s_cbranch_execnz .LBB8_1871
	s_branch .LBB8_1872
.LBB8_3921:
	s_movk_i32 s4, 0x80
	v_cmp_eq_u16_e32 vcc, s4, v9
	s_mov_b64 s[4:5], -1
                                        ; implicit-def: $sgpr10
	s_and_saveexec_b64 s[8:9], vcc
; %bb.3922:
	s_mov_b32 s10, 0x7f800001
	s_xor_b64 s[4:5], exec, -1
; %bb.3923:
	s_or_b64 exec, exec, s[8:9]
	s_and_b64 s[4:5], s[4:5], exec
                                        ; implicit-def: $vgpr9
	s_or_saveexec_b64 s[6:7], s[6:7]
	v_mov_b32_e32 v8, s10
	s_xor_b64 exec, exec, s[6:7]
	s_cbranch_execz .LBB8_1874
.LBB8_3924:
	v_cmp_ne_u16_e32 vcc, 0, v9
	s_andn2_b64 s[4:5], s[4:5], exec
	s_and_b64 s[8:9], vcc, exec
	v_mov_b32_e32 v8, 0
	s_or_b64 s[4:5], s[4:5], s[8:9]
	s_or_b64 exec, exec, s[6:7]
	s_and_saveexec_b64 s[6:7], s[4:5]
	s_cbranch_execnz .LBB8_1875
	s_branch .LBB8_1876
.LBB8_3925:
	s_movk_i32 s4, 0x80
	v_cmp_eq_u16_e32 vcc, s4, v9
	s_mov_b64 s[4:5], -1
                                        ; implicit-def: $sgpr10
	s_and_saveexec_b64 s[8:9], vcc
; %bb.3926:
	s_mov_b32 s10, 0x7f800001
	s_xor_b64 s[4:5], exec, -1
; %bb.3927:
	s_or_b64 exec, exec, s[8:9]
	s_and_b64 s[4:5], s[4:5], exec
                                        ; implicit-def: $vgpr9
	s_or_saveexec_b64 s[6:7], s[6:7]
	v_mov_b32_e32 v12, s10
	s_xor_b64 exec, exec, s[6:7]
	s_cbranch_execz .LBB8_1878
.LBB8_3928:
	v_cmp_ne_u16_e32 vcc, 0, v9
	s_andn2_b64 s[4:5], s[4:5], exec
	s_and_b64 s[8:9], vcc, exec
	v_mov_b32_e32 v12, 0
	s_or_b64 s[4:5], s[4:5], s[8:9]
	s_or_b64 exec, exec, s[6:7]
	s_and_saveexec_b64 s[6:7], s[4:5]
	s_cbranch_execnz .LBB8_1879
	s_branch .LBB8_1880
.LBB8_3929:
	s_movk_i32 s4, 0x80
	v_cmp_eq_u16_sdwa s[12:13], v14, s4 src0_sel:BYTE_3 src1_sel:DWORD
	s_mov_b64 s[4:5], -1
                                        ; implicit-def: $sgpr10
	s_and_saveexec_b64 s[8:9], s[12:13]
; %bb.3930:
	s_mov_b32 s10, 0x7f800001
	s_xor_b64 s[4:5], exec, -1
; %bb.3931:
	s_or_b64 exec, exec, s[8:9]
	s_and_b64 s[4:5], s[4:5], exec
	s_or_saveexec_b64 s[6:7], s[6:7]
	v_mov_b32_e32 v8, s10
	s_xor_b64 exec, exec, s[6:7]
	s_cbranch_execz .LBB8_1882
.LBB8_3932:
	v_mov_b32_e32 v8, 0
	v_cmp_ne_u16_sdwa s[8:9], v14, v8 src0_sel:BYTE_3 src1_sel:DWORD
	s_andn2_b64 s[4:5], s[4:5], exec
	s_and_b64 s[8:9], s[8:9], exec
	s_or_b64 s[4:5], s[4:5], s[8:9]
	s_or_b64 exec, exec, s[6:7]
	s_and_saveexec_b64 s[6:7], s[4:5]
	s_cbranch_execnz .LBB8_1883
	s_branch .LBB8_1884
.LBB8_3933:
	s_movk_i32 s4, 0x80
	v_cmp_eq_u16_sdwa s[12:13], v10, s4 src0_sel:BYTE_3 src1_sel:DWORD
	s_mov_b64 s[4:5], -1
                                        ; implicit-def: $sgpr10
	s_and_saveexec_b64 s[8:9], s[12:13]
; %bb.3934:
	s_mov_b32 s10, 0x7f800001
	s_xor_b64 s[4:5], exec, -1
; %bb.3935:
	s_or_b64 exec, exec, s[8:9]
	s_and_b64 s[4:5], s[4:5], exec
	s_or_saveexec_b64 s[6:7], s[6:7]
	v_mov_b32_e32 v9, s10
	s_xor_b64 exec, exec, s[6:7]
	s_cbranch_execz .LBB8_1886
.LBB8_3936:
	v_mov_b32_e32 v9, 0
	v_cmp_ne_u16_sdwa s[8:9], v10, v9 src0_sel:BYTE_3 src1_sel:DWORD
	s_andn2_b64 s[4:5], s[4:5], exec
	s_and_b64 s[8:9], s[8:9], exec
	s_or_b64 s[4:5], s[4:5], s[8:9]
	s_or_b64 exec, exec, s[6:7]
	s_and_saveexec_b64 s[6:7], s[4:5]
	s_cbranch_execnz .LBB8_1887
	s_branch .LBB8_1888
.LBB8_3937:
	s_movk_i32 s4, 0x80
	v_cmp_eq_u16_sdwa s[12:13], v15, s4 src0_sel:BYTE_0 src1_sel:DWORD
	s_mov_b64 s[4:5], -1
                                        ; implicit-def: $sgpr10
	s_and_saveexec_b64 s[8:9], s[12:13]
; %bb.3938:
	s_mov_b32 s10, 0x7f800001
	s_xor_b64 s[4:5], exec, -1
; %bb.3939:
	s_or_b64 exec, exec, s[8:9]
	s_and_b64 s[4:5], s[4:5], exec
	s_or_saveexec_b64 s[6:7], s[6:7]
	v_mov_b32_e32 v8, s10
	s_xor_b64 exec, exec, s[6:7]
	s_cbranch_execz .LBB8_1890
.LBB8_3940:
	v_mov_b32_e32 v8, 0
	v_cmp_ne_u16_sdwa s[8:9], v15, v8 src0_sel:BYTE_0 src1_sel:DWORD
	s_andn2_b64 s[4:5], s[4:5], exec
	s_and_b64 s[8:9], s[8:9], exec
	s_or_b64 s[4:5], s[4:5], s[8:9]
	s_or_b64 exec, exec, s[6:7]
	s_and_saveexec_b64 s[6:7], s[4:5]
	s_cbranch_execnz .LBB8_1891
	s_branch .LBB8_1892
.LBB8_3941:
	s_movk_i32 s4, 0x80
	v_cmp_eq_u16_sdwa s[12:13], v11, s4 src0_sel:BYTE_0 src1_sel:DWORD
	s_mov_b64 s[4:5], -1
                                        ; implicit-def: $sgpr10
	s_and_saveexec_b64 s[8:9], s[12:13]
; %bb.3942:
	s_mov_b32 s10, 0x7f800001
	s_xor_b64 s[4:5], exec, -1
; %bb.3943:
	s_or_b64 exec, exec, s[8:9]
	s_and_b64 s[4:5], s[4:5], exec
	s_or_saveexec_b64 s[6:7], s[6:7]
	v_mov_b32_e32 v9, s10
	s_xor_b64 exec, exec, s[6:7]
	s_cbranch_execz .LBB8_1894
.LBB8_3944:
	v_mov_b32_e32 v9, 0
	v_cmp_ne_u16_sdwa s[8:9], v11, v9 src0_sel:BYTE_0 src1_sel:DWORD
	s_andn2_b64 s[4:5], s[4:5], exec
	s_and_b64 s[8:9], s[8:9], exec
	s_or_b64 s[4:5], s[4:5], s[8:9]
	s_or_b64 exec, exec, s[6:7]
	s_and_saveexec_b64 s[6:7], s[4:5]
	s_cbranch_execnz .LBB8_1895
	s_branch .LBB8_1896
.LBB8_3945:
	s_movk_i32 s4, 0x80
	v_cmp_eq_u16_sdwa s[12:13], v9, s4 src0_sel:BYTE_0 src1_sel:DWORD
	s_mov_b64 s[4:5], -1
                                        ; implicit-def: $sgpr10
	s_and_saveexec_b64 s[8:9], s[12:13]
; %bb.3946:
	s_mov_b32 s10, 0x7f800001
	s_xor_b64 s[4:5], exec, -1
; %bb.3947:
	s_or_b64 exec, exec, s[8:9]
	s_and_b64 s[4:5], s[4:5], exec
	s_or_saveexec_b64 s[6:7], s[6:7]
	v_mov_b32_e32 v8, s10
	s_xor_b64 exec, exec, s[6:7]
	s_cbranch_execz .LBB8_1898
.LBB8_3948:
	v_mov_b32_e32 v8, 0
	v_cmp_ne_u16_sdwa s[8:9], v9, v8 src0_sel:BYTE_0 src1_sel:DWORD
	s_andn2_b64 s[4:5], s[4:5], exec
	s_and_b64 s[8:9], s[8:9], exec
	s_or_b64 s[4:5], s[4:5], s[8:9]
	s_or_b64 exec, exec, s[6:7]
	s_and_saveexec_b64 s[6:7], s[4:5]
	s_cbranch_execnz .LBB8_1899
	s_branch .LBB8_1900
.LBB8_3949:
	s_movk_i32 s4, 0x80
	v_cmp_eq_u16_sdwa s[12:13], v9, s4 src0_sel:BYTE_0 src1_sel:DWORD
	s_mov_b64 s[4:5], -1
                                        ; implicit-def: $sgpr10
	s_and_saveexec_b64 s[8:9], s[12:13]
; %bb.3950:
	s_mov_b32 s10, 0x7f800001
	s_xor_b64 s[4:5], exec, -1
; %bb.3951:
	s_or_b64 exec, exec, s[8:9]
	s_and_b64 s[4:5], s[4:5], exec
	s_or_saveexec_b64 s[6:7], s[6:7]
	v_mov_b32_e32 v10, s10
	s_xor_b64 exec, exec, s[6:7]
	s_cbranch_execz .LBB8_1902
.LBB8_3952:
	v_mov_b32_e32 v10, 0
	v_cmp_ne_u16_sdwa s[8:9], v9, v10 src0_sel:BYTE_0 src1_sel:DWORD
	s_andn2_b64 s[4:5], s[4:5], exec
	s_and_b64 s[8:9], s[8:9], exec
	s_or_b64 s[4:5], s[4:5], s[8:9]
	s_or_b64 exec, exec, s[6:7]
	s_and_saveexec_b64 s[6:7], s[4:5]
	s_cbranch_execnz .LBB8_1903
	s_branch .LBB8_1904
.LBB8_3953:
	s_movk_i32 s4, 0x80
	v_cmp_eq_u16_e32 vcc, s4, v9
	s_mov_b64 s[4:5], -1
                                        ; implicit-def: $sgpr10
	s_and_saveexec_b64 s[8:9], vcc
; %bb.3954:
	s_mov_b32 s10, 0x7f800001
	s_xor_b64 s[4:5], exec, -1
; %bb.3955:
	s_or_b64 exec, exec, s[8:9]
	s_and_b64 s[4:5], s[4:5], exec
                                        ; implicit-def: $vgpr9
	s_or_saveexec_b64 s[6:7], s[6:7]
	v_mov_b32_e32 v8, s10
	s_xor_b64 exec, exec, s[6:7]
	s_cbranch_execz .LBB8_1906
.LBB8_3956:
	v_cmp_ne_u16_e32 vcc, 0, v9
	s_andn2_b64 s[4:5], s[4:5], exec
	s_and_b64 s[8:9], vcc, exec
	v_mov_b32_e32 v8, 0
	s_or_b64 s[4:5], s[4:5], s[8:9]
	s_or_b64 exec, exec, s[6:7]
	s_and_saveexec_b64 s[6:7], s[4:5]
	s_cbranch_execnz .LBB8_1907
	s_branch .LBB8_1908
.LBB8_3957:
	s_movk_i32 s4, 0x80
	v_cmp_eq_u16_e32 vcc, s4, v9
	s_mov_b64 s[4:5], -1
                                        ; implicit-def: $sgpr10
	s_and_saveexec_b64 s[8:9], vcc
; %bb.3958:
	s_mov_b32 s10, 0x7f800001
	s_xor_b64 s[4:5], exec, -1
; %bb.3959:
	s_or_b64 exec, exec, s[8:9]
	s_and_b64 s[4:5], s[4:5], exec
                                        ; implicit-def: $vgpr9
	s_or_saveexec_b64 s[6:7], s[6:7]
	v_mov_b32_e32 v10, s10
	s_xor_b64 exec, exec, s[6:7]
	s_cbranch_execz .LBB8_1910
.LBB8_3960:
	v_cmp_ne_u16_e32 vcc, 0, v9
	s_andn2_b64 s[4:5], s[4:5], exec
	s_and_b64 s[8:9], vcc, exec
	v_mov_b32_e32 v10, 0
	s_or_b64 s[4:5], s[4:5], s[8:9]
	s_or_b64 exec, exec, s[6:7]
	s_and_saveexec_b64 s[6:7], s[4:5]
	s_cbranch_execnz .LBB8_1911
	s_branch .LBB8_1912
.LBB8_3961:
	s_movk_i32 s4, 0x80
	v_cmp_eq_u16_sdwa s[12:13], v15, s4 src0_sel:BYTE_3 src1_sel:DWORD
	s_mov_b64 s[4:5], -1
                                        ; implicit-def: $sgpr10
	s_and_saveexec_b64 s[8:9], s[12:13]
; %bb.3962:
	s_mov_b32 s10, 0x7f800001
	s_xor_b64 s[4:5], exec, -1
; %bb.3963:
	s_or_b64 exec, exec, s[8:9]
	s_and_b64 s[4:5], s[4:5], exec
	s_or_saveexec_b64 s[6:7], s[6:7]
	v_mov_b32_e32 v8, s10
	s_xor_b64 exec, exec, s[6:7]
	s_cbranch_execz .LBB8_1914
.LBB8_3964:
	v_mov_b32_e32 v8, 0
	v_cmp_ne_u16_sdwa s[8:9], v15, v8 src0_sel:BYTE_3 src1_sel:DWORD
	s_andn2_b64 s[4:5], s[4:5], exec
	s_and_b64 s[8:9], s[8:9], exec
	s_or_b64 s[4:5], s[4:5], s[8:9]
	s_or_b64 exec, exec, s[6:7]
	s_and_saveexec_b64 s[6:7], s[4:5]
	s_cbranch_execnz .LBB8_1915
	s_branch .LBB8_1916
.LBB8_3965:
	s_movk_i32 s4, 0x80
	v_cmp_eq_u16_sdwa s[12:13], v11, s4 src0_sel:BYTE_3 src1_sel:DWORD
	s_mov_b64 s[4:5], -1
                                        ; implicit-def: $sgpr10
	s_and_saveexec_b64 s[8:9], s[12:13]
; %bb.3966:
	s_mov_b32 s10, 0x7f800001
	s_xor_b64 s[4:5], exec, -1
; %bb.3967:
	s_or_b64 exec, exec, s[8:9]
	s_and_b64 s[4:5], s[4:5], exec
	s_or_saveexec_b64 s[6:7], s[6:7]
	v_mov_b32_e32 v9, s10
	s_xor_b64 exec, exec, s[6:7]
	s_cbranch_execz .LBB8_1918
.LBB8_3968:
	v_mov_b32_e32 v9, 0
	v_cmp_ne_u16_sdwa s[8:9], v11, v9 src0_sel:BYTE_3 src1_sel:DWORD
	s_andn2_b64 s[4:5], s[4:5], exec
	s_and_b64 s[8:9], s[8:9], exec
	s_or_b64 s[4:5], s[4:5], s[8:9]
	s_or_b64 exec, exec, s[6:7]
	s_and_saveexec_b64 s[6:7], s[4:5]
	s_cbranch_execnz .LBB8_1919
	s_branch .LBB8_1920
.LBB8_3969:
	s_movk_i32 s4, 0x80
	v_cmp_eq_u16_sdwa s[12:13], v4, s4 src0_sel:BYTE_0 src1_sel:DWORD
	s_mov_b64 s[4:5], -1
                                        ; implicit-def: $sgpr10
	s_and_saveexec_b64 s[8:9], s[12:13]
; %bb.3970:
	s_mov_b32 s10, 0x7f800001
	s_xor_b64 s[4:5], exec, -1
; %bb.3971:
	s_or_b64 exec, exec, s[8:9]
	s_and_b64 s[4:5], s[4:5], exec
	s_or_saveexec_b64 s[6:7], s[6:7]
	v_mov_b32_e32 v8, s10
	s_xor_b64 exec, exec, s[6:7]
	s_cbranch_execz .LBB8_1922
.LBB8_3972:
	v_mov_b32_e32 v8, 0
	v_cmp_ne_u16_sdwa s[8:9], v4, v8 src0_sel:BYTE_0 src1_sel:DWORD
	s_andn2_b64 s[4:5], s[4:5], exec
	s_and_b64 s[8:9], s[8:9], exec
	s_or_b64 s[4:5], s[4:5], s[8:9]
	s_or_b64 exec, exec, s[6:7]
	s_and_saveexec_b64 s[6:7], s[4:5]
	s_cbranch_execnz .LBB8_1923
	s_branch .LBB8_1924
.LBB8_3973:
	s_movk_i32 s4, 0x80
	v_cmp_eq_u16_sdwa s[12:13], v0, s4 src0_sel:BYTE_0 src1_sel:DWORD
	s_mov_b64 s[4:5], -1
                                        ; implicit-def: $sgpr10
	s_and_saveexec_b64 s[8:9], s[12:13]
; %bb.3974:
	s_mov_b32 s10, 0x7f800001
	s_xor_b64 s[4:5], exec, -1
; %bb.3975:
	s_or_b64 exec, exec, s[8:9]
	s_and_b64 s[4:5], s[4:5], exec
	s_or_saveexec_b64 s[6:7], s[6:7]
	v_mov_b32_e32 v9, s10
	s_xor_b64 exec, exec, s[6:7]
	s_cbranch_execz .LBB8_1926
.LBB8_3976:
	v_mov_b32_e32 v9, 0
	v_cmp_ne_u16_sdwa s[8:9], v0, v9 src0_sel:BYTE_0 src1_sel:DWORD
	s_andn2_b64 s[4:5], s[4:5], exec
	s_and_b64 s[8:9], s[8:9], exec
	s_or_b64 s[4:5], s[4:5], s[8:9]
	s_or_b64 exec, exec, s[6:7]
	s_and_saveexec_b64 s[6:7], s[4:5]
	s_cbranch_execnz .LBB8_1927
	s_branch .LBB8_1928
.LBB8_3977:
	s_movk_i32 s4, 0x80
	v_cmp_eq_u16_sdwa s[12:13], v9, s4 src0_sel:BYTE_0 src1_sel:DWORD
	s_mov_b64 s[4:5], -1
                                        ; implicit-def: $sgpr10
	s_and_saveexec_b64 s[8:9], s[12:13]
; %bb.3978:
	s_mov_b32 s10, 0x7f800001
	s_xor_b64 s[4:5], exec, -1
; %bb.3979:
	s_or_b64 exec, exec, s[8:9]
	s_and_b64 s[4:5], s[4:5], exec
	s_or_saveexec_b64 s[6:7], s[6:7]
	v_mov_b32_e32 v8, s10
	s_xor_b64 exec, exec, s[6:7]
	s_cbranch_execz .LBB8_1930
.LBB8_3980:
	v_mov_b32_e32 v8, 0
	v_cmp_ne_u16_sdwa s[8:9], v9, v8 src0_sel:BYTE_0 src1_sel:DWORD
	s_andn2_b64 s[4:5], s[4:5], exec
	s_and_b64 s[8:9], s[8:9], exec
	s_or_b64 s[4:5], s[4:5], s[8:9]
	s_or_b64 exec, exec, s[6:7]
	s_and_saveexec_b64 s[6:7], s[4:5]
	s_cbranch_execnz .LBB8_1931
	s_branch .LBB8_1932
.LBB8_3981:
	s_movk_i32 s4, 0x80
	v_cmp_eq_u16_sdwa s[12:13], v9, s4 src0_sel:BYTE_0 src1_sel:DWORD
	s_mov_b64 s[4:5], -1
                                        ; implicit-def: $sgpr10
	s_and_saveexec_b64 s[8:9], s[12:13]
; %bb.3982:
	s_mov_b32 s10, 0x7f800001
	s_xor_b64 s[4:5], exec, -1
; %bb.3983:
	s_or_b64 exec, exec, s[8:9]
	s_and_b64 s[4:5], s[4:5], exec
	s_or_saveexec_b64 s[6:7], s[6:7]
	v_mov_b32_e32 v10, s10
	s_xor_b64 exec, exec, s[6:7]
	s_cbranch_execz .LBB8_1934
.LBB8_3984:
	v_mov_b32_e32 v10, 0
	v_cmp_ne_u16_sdwa s[8:9], v9, v10 src0_sel:BYTE_0 src1_sel:DWORD
	s_andn2_b64 s[4:5], s[4:5], exec
	s_and_b64 s[8:9], s[8:9], exec
	s_or_b64 s[4:5], s[4:5], s[8:9]
	s_or_b64 exec, exec, s[6:7]
	s_and_saveexec_b64 s[6:7], s[4:5]
	s_cbranch_execnz .LBB8_1935
	s_branch .LBB8_1936
.LBB8_3985:
	s_movk_i32 s4, 0x80
	v_cmp_eq_u16_e32 vcc, s4, v9
	s_mov_b64 s[4:5], -1
                                        ; implicit-def: $sgpr10
	s_and_saveexec_b64 s[8:9], vcc
; %bb.3986:
	s_mov_b32 s10, 0x7f800001
	s_xor_b64 s[4:5], exec, -1
; %bb.3987:
	s_or_b64 exec, exec, s[8:9]
	s_and_b64 s[4:5], s[4:5], exec
                                        ; implicit-def: $vgpr9
	s_or_saveexec_b64 s[6:7], s[6:7]
	v_mov_b32_e32 v8, s10
	s_xor_b64 exec, exec, s[6:7]
	s_cbranch_execz .LBB8_1938
.LBB8_3988:
	v_cmp_ne_u16_e32 vcc, 0, v9
	s_andn2_b64 s[4:5], s[4:5], exec
	s_and_b64 s[8:9], vcc, exec
	v_mov_b32_e32 v8, 0
	s_or_b64 s[4:5], s[4:5], s[8:9]
	s_or_b64 exec, exec, s[6:7]
	s_and_saveexec_b64 s[6:7], s[4:5]
	s_cbranch_execnz .LBB8_1939
	s_branch .LBB8_1940
.LBB8_3989:
	s_movk_i32 s4, 0x80
	v_cmp_eq_u16_e32 vcc, s4, v9
	s_mov_b64 s[4:5], -1
                                        ; implicit-def: $sgpr10
	s_and_saveexec_b64 s[8:9], vcc
; %bb.3990:
	s_mov_b32 s10, 0x7f800001
	s_xor_b64 s[4:5], exec, -1
; %bb.3991:
	s_or_b64 exec, exec, s[8:9]
	s_and_b64 s[4:5], s[4:5], exec
                                        ; implicit-def: $vgpr9
	s_or_saveexec_b64 s[6:7], s[6:7]
	v_mov_b32_e32 v10, s10
	s_xor_b64 exec, exec, s[6:7]
	s_cbranch_execz .LBB8_1942
.LBB8_3992:
	v_cmp_ne_u16_e32 vcc, 0, v9
	s_andn2_b64 s[4:5], s[4:5], exec
	s_and_b64 s[8:9], vcc, exec
	v_mov_b32_e32 v10, 0
	s_or_b64 s[4:5], s[4:5], s[8:9]
	s_or_b64 exec, exec, s[6:7]
	s_and_saveexec_b64 s[6:7], s[4:5]
	s_cbranch_execnz .LBB8_1943
	s_branch .LBB8_1944
.LBB8_3993:
	s_movk_i32 s4, 0x80
	v_cmp_eq_u16_sdwa s[12:13], v4, s4 src0_sel:BYTE_3 src1_sel:DWORD
	s_mov_b64 s[4:5], -1
                                        ; implicit-def: $sgpr10
	s_and_saveexec_b64 s[8:9], s[12:13]
; %bb.3994:
	s_mov_b32 s10, 0x7f800001
	s_xor_b64 s[4:5], exec, -1
; %bb.3995:
	s_or_b64 exec, exec, s[8:9]
	s_and_b64 s[4:5], s[4:5], exec
	s_or_saveexec_b64 s[6:7], s[6:7]
	v_mov_b32_e32 v8, s10
	s_xor_b64 exec, exec, s[6:7]
	s_cbranch_execz .LBB8_1946
.LBB8_3996:
	v_mov_b32_e32 v8, 0
	v_cmp_ne_u16_sdwa s[8:9], v4, v8 src0_sel:BYTE_3 src1_sel:DWORD
	s_andn2_b64 s[4:5], s[4:5], exec
	s_and_b64 s[8:9], s[8:9], exec
	s_or_b64 s[4:5], s[4:5], s[8:9]
	s_or_b64 exec, exec, s[6:7]
	s_and_saveexec_b64 s[6:7], s[4:5]
	s_cbranch_execnz .LBB8_1947
	s_branch .LBB8_1948
.LBB8_3997:
	s_movk_i32 s4, 0x80
	v_cmp_eq_u16_sdwa s[12:13], v0, s4 src0_sel:BYTE_3 src1_sel:DWORD
	s_mov_b64 s[4:5], -1
                                        ; implicit-def: $sgpr10
	s_and_saveexec_b64 s[8:9], s[12:13]
; %bb.3998:
	s_mov_b32 s10, 0x7f800001
	s_xor_b64 s[4:5], exec, -1
; %bb.3999:
	s_or_b64 exec, exec, s[8:9]
	s_and_b64 s[4:5], s[4:5], exec
	s_or_saveexec_b64 s[6:7], s[6:7]
	v_mov_b32_e32 v4, s10
	s_xor_b64 exec, exec, s[6:7]
	s_cbranch_execz .LBB8_1950
.LBB8_4000:
	v_mov_b32_e32 v4, 0
	v_cmp_ne_u16_sdwa s[8:9], v0, v4 src0_sel:BYTE_3 src1_sel:DWORD
	s_andn2_b64 s[4:5], s[4:5], exec
	s_and_b64 s[8:9], s[8:9], exec
	s_or_b64 s[4:5], s[4:5], s[8:9]
	s_or_b64 exec, exec, s[6:7]
	s_and_saveexec_b64 s[6:7], s[4:5]
	s_cbranch_execnz .LBB8_1951
	s_branch .LBB8_1952
.LBB8_4001:
	s_movk_i32 s4, 0x80
	v_cmp_eq_u16_sdwa s[12:13], v5, s4 src0_sel:BYTE_0 src1_sel:DWORD
	s_mov_b64 s[4:5], -1
                                        ; implicit-def: $sgpr10
	s_and_saveexec_b64 s[8:9], s[12:13]
; %bb.4002:
	s_mov_b32 s10, 0x7f800001
	s_xor_b64 s[4:5], exec, -1
; %bb.4003:
	s_or_b64 exec, exec, s[8:9]
	s_and_b64 s[4:5], s[4:5], exec
	s_or_saveexec_b64 s[6:7], s[6:7]
	v_mov_b32_e32 v0, s10
	s_xor_b64 exec, exec, s[6:7]
	s_cbranch_execz .LBB8_1954
.LBB8_4004:
	v_mov_b32_e32 v0, 0
	v_cmp_ne_u16_sdwa s[8:9], v5, v0 src0_sel:BYTE_0 src1_sel:DWORD
	s_andn2_b64 s[4:5], s[4:5], exec
	s_and_b64 s[8:9], s[8:9], exec
	s_or_b64 s[4:5], s[4:5], s[8:9]
	s_or_b64 exec, exec, s[6:7]
	s_and_saveexec_b64 s[6:7], s[4:5]
	s_cbranch_execnz .LBB8_1955
	s_branch .LBB8_1956
.LBB8_4005:
	s_movk_i32 s4, 0x80
	v_cmp_eq_u16_sdwa s[12:13], v1, s4 src0_sel:BYTE_0 src1_sel:DWORD
	s_mov_b64 s[4:5], -1
                                        ; implicit-def: $sgpr10
	s_and_saveexec_b64 s[8:9], s[12:13]
; %bb.4006:
	s_mov_b32 s10, 0x7f800001
	s_xor_b64 s[4:5], exec, -1
; %bb.4007:
	s_or_b64 exec, exec, s[8:9]
	s_and_b64 s[4:5], s[4:5], exec
	s_or_saveexec_b64 s[6:7], s[6:7]
	v_mov_b32_e32 v4, s10
	s_xor_b64 exec, exec, s[6:7]
	s_cbranch_execz .LBB8_1958
.LBB8_4008:
	v_mov_b32_e32 v4, 0
	v_cmp_ne_u16_sdwa s[8:9], v1, v4 src0_sel:BYTE_0 src1_sel:DWORD
	s_andn2_b64 s[4:5], s[4:5], exec
	s_and_b64 s[8:9], s[8:9], exec
	s_or_b64 s[4:5], s[4:5], s[8:9]
	s_or_b64 exec, exec, s[6:7]
	s_and_saveexec_b64 s[6:7], s[4:5]
	s_cbranch_execnz .LBB8_1959
	s_branch .LBB8_1960
.LBB8_4009:
	s_movk_i32 s4, 0x80
	v_cmp_eq_u16_sdwa s[12:13], v4, s4 src0_sel:BYTE_0 src1_sel:DWORD
	s_mov_b64 s[4:5], -1
                                        ; implicit-def: $sgpr10
	s_and_saveexec_b64 s[8:9], s[12:13]
; %bb.4010:
	s_mov_b32 s10, 0x7f800001
	s_xor_b64 s[4:5], exec, -1
; %bb.4011:
	s_or_b64 exec, exec, s[8:9]
	s_and_b64 s[4:5], s[4:5], exec
	s_or_saveexec_b64 s[6:7], s[6:7]
	v_mov_b32_e32 v0, s10
	s_xor_b64 exec, exec, s[6:7]
	s_cbranch_execz .LBB8_1962
.LBB8_4012:
	v_mov_b32_e32 v0, 0
	v_cmp_ne_u16_sdwa s[8:9], v4, v0 src0_sel:BYTE_0 src1_sel:DWORD
	s_andn2_b64 s[4:5], s[4:5], exec
	s_and_b64 s[8:9], s[8:9], exec
	s_or_b64 s[4:5], s[4:5], s[8:9]
	s_or_b64 exec, exec, s[6:7]
	s_and_saveexec_b64 s[6:7], s[4:5]
	s_cbranch_execnz .LBB8_1963
	s_branch .LBB8_1964
.LBB8_4013:
	s_movk_i32 s4, 0x80
	v_cmp_eq_u16_sdwa s[12:13], v4, s4 src0_sel:BYTE_0 src1_sel:DWORD
	s_mov_b64 s[4:5], -1
                                        ; implicit-def: $sgpr10
	s_and_saveexec_b64 s[8:9], s[12:13]
; %bb.4014:
	s_mov_b32 s10, 0x7f800001
	s_xor_b64 s[4:5], exec, -1
; %bb.4015:
	s_or_b64 exec, exec, s[8:9]
	s_and_b64 s[4:5], s[4:5], exec
	s_or_saveexec_b64 s[6:7], s[6:7]
	v_mov_b32_e32 v8, s10
	s_xor_b64 exec, exec, s[6:7]
	s_cbranch_execz .LBB8_1966
.LBB8_4016:
	v_mov_b32_e32 v8, 0
	v_cmp_ne_u16_sdwa s[8:9], v4, v8 src0_sel:BYTE_0 src1_sel:DWORD
	s_andn2_b64 s[4:5], s[4:5], exec
	s_and_b64 s[8:9], s[8:9], exec
	s_or_b64 s[4:5], s[4:5], s[8:9]
	s_or_b64 exec, exec, s[6:7]
	s_and_saveexec_b64 s[6:7], s[4:5]
	s_cbranch_execnz .LBB8_1967
	s_branch .LBB8_1968
.LBB8_4017:
	s_movk_i32 s4, 0x80
	v_cmp_eq_u16_e32 vcc, s4, v4
	s_mov_b64 s[4:5], -1
                                        ; implicit-def: $sgpr10
	s_and_saveexec_b64 s[8:9], vcc
; %bb.4018:
	s_mov_b32 s10, 0x7f800001
	s_xor_b64 s[4:5], exec, -1
; %bb.4019:
	s_or_b64 exec, exec, s[8:9]
	s_and_b64 s[4:5], s[4:5], exec
                                        ; implicit-def: $vgpr4
	s_or_saveexec_b64 s[6:7], s[6:7]
	v_mov_b32_e32 v0, s10
	s_xor_b64 exec, exec, s[6:7]
	s_cbranch_execz .LBB8_1970
.LBB8_4020:
	v_cmp_ne_u16_e32 vcc, 0, v4
	s_andn2_b64 s[4:5], s[4:5], exec
	s_and_b64 s[8:9], vcc, exec
	v_mov_b32_e32 v0, 0
	s_or_b64 s[4:5], s[4:5], s[8:9]
	s_or_b64 exec, exec, s[6:7]
	s_and_saveexec_b64 s[6:7], s[4:5]
	s_cbranch_execnz .LBB8_1971
	s_branch .LBB8_1972
.LBB8_4021:
	s_movk_i32 s4, 0x80
	v_cmp_eq_u16_e32 vcc, s4, v4
	s_mov_b64 s[4:5], -1
                                        ; implicit-def: $sgpr10
	s_and_saveexec_b64 s[8:9], vcc
; %bb.4022:
	s_mov_b32 s10, 0x7f800001
	s_xor_b64 s[4:5], exec, -1
; %bb.4023:
	s_or_b64 exec, exec, s[8:9]
	s_and_b64 s[4:5], s[4:5], exec
                                        ; implicit-def: $vgpr4
	s_or_saveexec_b64 s[6:7], s[6:7]
	v_mov_b32_e32 v8, s10
	s_xor_b64 exec, exec, s[6:7]
	s_cbranch_execz .LBB8_1974
.LBB8_4024:
	v_cmp_ne_u16_e32 vcc, 0, v4
	s_andn2_b64 s[4:5], s[4:5], exec
	s_and_b64 s[8:9], vcc, exec
	v_mov_b32_e32 v8, 0
	s_or_b64 s[4:5], s[4:5], s[8:9]
	s_or_b64 exec, exec, s[6:7]
	s_and_saveexec_b64 s[6:7], s[4:5]
	s_cbranch_execnz .LBB8_1975
	s_branch .LBB8_1976
.LBB8_4025:
	s_movk_i32 s4, 0x80
	v_cmp_eq_u16_sdwa s[12:13], v5, s4 src0_sel:BYTE_3 src1_sel:DWORD
	s_mov_b64 s[4:5], -1
                                        ; implicit-def: $sgpr10
	s_and_saveexec_b64 s[8:9], s[12:13]
; %bb.4026:
	s_mov_b32 s10, 0x7f800001
	s_xor_b64 s[4:5], exec, -1
; %bb.4027:
	s_or_b64 exec, exec, s[8:9]
	s_and_b64 s[4:5], s[4:5], exec
	s_or_saveexec_b64 s[6:7], s[6:7]
	v_mov_b32_e32 v0, s10
	s_xor_b64 exec, exec, s[6:7]
	s_cbranch_execz .LBB8_1978
.LBB8_4028:
	v_mov_b32_e32 v0, 0
	v_cmp_ne_u16_sdwa s[8:9], v5, v0 src0_sel:BYTE_3 src1_sel:DWORD
	s_andn2_b64 s[4:5], s[4:5], exec
	s_and_b64 s[8:9], s[8:9], exec
	s_or_b64 s[4:5], s[4:5], s[8:9]
	s_or_b64 exec, exec, s[6:7]
	s_and_saveexec_b64 s[6:7], s[4:5]
	s_cbranch_execnz .LBB8_1979
	s_branch .LBB8_1980
.LBB8_4029:
	s_movk_i32 s4, 0x80
	v_cmp_eq_u16_sdwa s[12:13], v1, s4 src0_sel:BYTE_3 src1_sel:DWORD
	s_mov_b64 s[4:5], -1
                                        ; implicit-def: $sgpr10
	s_and_saveexec_b64 s[8:9], s[12:13]
; %bb.4030:
	s_mov_b32 s10, 0x7f800001
	s_xor_b64 s[4:5], exec, -1
; %bb.4031:
	s_or_b64 exec, exec, s[8:9]
	s_and_b64 s[4:5], s[4:5], exec
	s_or_saveexec_b64 s[6:7], s[6:7]
	v_mov_b32_e32 v4, s10
	s_xor_b64 exec, exec, s[6:7]
	s_cbranch_execz .LBB8_1982
.LBB8_4032:
	v_mov_b32_e32 v4, 0
	v_cmp_ne_u16_sdwa s[8:9], v1, v4 src0_sel:BYTE_3 src1_sel:DWORD
	s_andn2_b64 s[4:5], s[4:5], exec
	s_and_b64 s[8:9], s[8:9], exec
	s_or_b64 s[4:5], s[4:5], s[8:9]
	s_or_b64 exec, exec, s[6:7]
	s_and_saveexec_b64 s[6:7], s[4:5]
	s_cbranch_execnz .LBB8_1983
	s_branch .LBB8_1984
.LBB8_4033:
	s_movk_i32 s4, 0x80
	v_cmp_eq_u16_sdwa s[12:13], v6, s4 src0_sel:BYTE_0 src1_sel:DWORD
	s_mov_b64 s[4:5], -1
                                        ; implicit-def: $sgpr10
	s_and_saveexec_b64 s[8:9], s[12:13]
; %bb.4034:
	s_mov_b32 s10, 0x7f800001
	s_xor_b64 s[4:5], exec, -1
; %bb.4035:
	s_or_b64 exec, exec, s[8:9]
	s_and_b64 s[4:5], s[4:5], exec
	s_or_saveexec_b64 s[6:7], s[6:7]
	v_mov_b32_e32 v0, s10
	s_xor_b64 exec, exec, s[6:7]
	s_cbranch_execz .LBB8_1986
.LBB8_4036:
	v_mov_b32_e32 v0, 0
	v_cmp_ne_u16_sdwa s[8:9], v6, v0 src0_sel:BYTE_0 src1_sel:DWORD
	s_andn2_b64 s[4:5], s[4:5], exec
	s_and_b64 s[8:9], s[8:9], exec
	s_or_b64 s[4:5], s[4:5], s[8:9]
	s_or_b64 exec, exec, s[6:7]
	s_and_saveexec_b64 s[6:7], s[4:5]
	s_cbranch_execnz .LBB8_1987
	s_branch .LBB8_1988
.LBB8_4037:
	s_movk_i32 s4, 0x80
	v_cmp_eq_u16_sdwa s[12:13], v2, s4 src0_sel:BYTE_0 src1_sel:DWORD
	s_mov_b64 s[4:5], -1
                                        ; implicit-def: $sgpr10
	s_and_saveexec_b64 s[8:9], s[12:13]
; %bb.4038:
	s_mov_b32 s10, 0x7f800001
	s_xor_b64 s[4:5], exec, -1
; %bb.4039:
	s_or_b64 exec, exec, s[8:9]
	s_and_b64 s[4:5], s[4:5], exec
	s_or_saveexec_b64 s[6:7], s[6:7]
	v_mov_b32_e32 v1, s10
	s_xor_b64 exec, exec, s[6:7]
	s_cbranch_execz .LBB8_1990
.LBB8_4040:
	v_mov_b32_e32 v1, 0
	v_cmp_ne_u16_sdwa s[8:9], v2, v1 src0_sel:BYTE_0 src1_sel:DWORD
	s_andn2_b64 s[4:5], s[4:5], exec
	s_and_b64 s[8:9], s[8:9], exec
	s_or_b64 s[4:5], s[4:5], s[8:9]
	s_or_b64 exec, exec, s[6:7]
	s_and_saveexec_b64 s[6:7], s[4:5]
	s_cbranch_execnz .LBB8_1991
	s_branch .LBB8_1992
.LBB8_4041:
	s_movk_i32 s4, 0x80
	v_cmp_eq_u16_sdwa s[12:13], v1, s4 src0_sel:BYTE_0 src1_sel:DWORD
	s_mov_b64 s[4:5], -1
                                        ; implicit-def: $sgpr10
	s_and_saveexec_b64 s[8:9], s[12:13]
; %bb.4042:
	s_mov_b32 s10, 0x7f800001
	s_xor_b64 s[4:5], exec, -1
; %bb.4043:
	s_or_b64 exec, exec, s[8:9]
	s_and_b64 s[4:5], s[4:5], exec
	s_or_saveexec_b64 s[6:7], s[6:7]
	v_mov_b32_e32 v0, s10
	s_xor_b64 exec, exec, s[6:7]
	s_cbranch_execz .LBB8_1994
.LBB8_4044:
	v_mov_b32_e32 v0, 0
	v_cmp_ne_u16_sdwa s[8:9], v1, v0 src0_sel:BYTE_0 src1_sel:DWORD
	s_andn2_b64 s[4:5], s[4:5], exec
	s_and_b64 s[8:9], s[8:9], exec
	s_or_b64 s[4:5], s[4:5], s[8:9]
	s_or_b64 exec, exec, s[6:7]
	s_and_saveexec_b64 s[6:7], s[4:5]
	s_cbranch_execnz .LBB8_1995
	s_branch .LBB8_1996
.LBB8_4045:
	s_movk_i32 s4, 0x80
	v_cmp_eq_u16_sdwa s[12:13], v1, s4 src0_sel:BYTE_0 src1_sel:DWORD
	s_mov_b64 s[4:5], -1
                                        ; implicit-def: $sgpr10
	s_and_saveexec_b64 s[8:9], s[12:13]
; %bb.4046:
	s_mov_b32 s10, 0x7f800001
	s_xor_b64 s[4:5], exec, -1
; %bb.4047:
	s_or_b64 exec, exec, s[8:9]
	s_and_b64 s[4:5], s[4:5], exec
	s_or_saveexec_b64 s[6:7], s[6:7]
	v_mov_b32_e32 v4, s10
	s_xor_b64 exec, exec, s[6:7]
	s_cbranch_execz .LBB8_1998
.LBB8_4048:
	v_mov_b32_e32 v4, 0
	v_cmp_ne_u16_sdwa s[8:9], v1, v4 src0_sel:BYTE_0 src1_sel:DWORD
	s_andn2_b64 s[4:5], s[4:5], exec
	s_and_b64 s[8:9], s[8:9], exec
	s_or_b64 s[4:5], s[4:5], s[8:9]
	s_or_b64 exec, exec, s[6:7]
	s_and_saveexec_b64 s[6:7], s[4:5]
	s_cbranch_execnz .LBB8_1999
	s_branch .LBB8_2000
.LBB8_4049:
	s_movk_i32 s4, 0x80
	v_cmp_eq_u16_e32 vcc, s4, v1
	s_mov_b64 s[4:5], -1
                                        ; implicit-def: $sgpr10
	s_and_saveexec_b64 s[8:9], vcc
; %bb.4050:
	s_mov_b32 s10, 0x7f800001
	s_xor_b64 s[4:5], exec, -1
; %bb.4051:
	s_or_b64 exec, exec, s[8:9]
	s_and_b64 s[4:5], s[4:5], exec
                                        ; implicit-def: $vgpr1
	s_or_saveexec_b64 s[6:7], s[6:7]
	v_mov_b32_e32 v0, s10
	s_xor_b64 exec, exec, s[6:7]
	s_cbranch_execz .LBB8_2002
.LBB8_4052:
	v_cmp_ne_u16_e32 vcc, 0, v1
	s_andn2_b64 s[4:5], s[4:5], exec
	s_and_b64 s[8:9], vcc, exec
	v_mov_b32_e32 v0, 0
	s_or_b64 s[4:5], s[4:5], s[8:9]
	s_or_b64 exec, exec, s[6:7]
	s_and_saveexec_b64 s[6:7], s[4:5]
	s_cbranch_execnz .LBB8_2003
	s_branch .LBB8_2004
.LBB8_4053:
	s_movk_i32 s4, 0x80
	v_cmp_eq_u16_e32 vcc, s4, v1
	s_mov_b64 s[4:5], -1
                                        ; implicit-def: $sgpr10
	s_and_saveexec_b64 s[8:9], vcc
; %bb.4054:
	s_mov_b32 s10, 0x7f800001
	s_xor_b64 s[4:5], exec, -1
; %bb.4055:
	s_or_b64 exec, exec, s[8:9]
	s_and_b64 s[4:5], s[4:5], exec
                                        ; implicit-def: $vgpr1
	s_or_saveexec_b64 s[6:7], s[6:7]
	v_mov_b32_e32 v4, s10
	s_xor_b64 exec, exec, s[6:7]
	s_cbranch_execz .LBB8_2006
.LBB8_4056:
	v_cmp_ne_u16_e32 vcc, 0, v1
	s_andn2_b64 s[4:5], s[4:5], exec
	s_and_b64 s[8:9], vcc, exec
	v_mov_b32_e32 v4, 0
	s_or_b64 s[4:5], s[4:5], s[8:9]
	s_or_b64 exec, exec, s[6:7]
	s_and_saveexec_b64 s[6:7], s[4:5]
	s_cbranch_execnz .LBB8_2007
	s_branch .LBB8_2008
.LBB8_4057:
	s_movk_i32 s4, 0x80
	v_cmp_eq_u16_sdwa s[12:13], v6, s4 src0_sel:BYTE_3 src1_sel:DWORD
	s_mov_b64 s[4:5], -1
                                        ; implicit-def: $sgpr10
	s_and_saveexec_b64 s[8:9], s[12:13]
; %bb.4058:
	s_mov_b32 s10, 0x7f800001
	s_xor_b64 s[4:5], exec, -1
; %bb.4059:
	s_or_b64 exec, exec, s[8:9]
	s_and_b64 s[4:5], s[4:5], exec
	s_or_saveexec_b64 s[6:7], s[6:7]
	v_mov_b32_e32 v0, s10
	s_xor_b64 exec, exec, s[6:7]
	s_cbranch_execz .LBB8_2010
.LBB8_4060:
	v_mov_b32_e32 v0, 0
	v_cmp_ne_u16_sdwa s[8:9], v6, v0 src0_sel:BYTE_3 src1_sel:DWORD
	s_andn2_b64 s[4:5], s[4:5], exec
	s_and_b64 s[8:9], s[8:9], exec
	s_or_b64 s[4:5], s[4:5], s[8:9]
	s_or_b64 exec, exec, s[6:7]
	s_and_saveexec_b64 s[6:7], s[4:5]
	s_cbranch_execnz .LBB8_2011
	s_branch .LBB8_2012
.LBB8_4061:
	s_movk_i32 s4, 0x80
	v_cmp_eq_u16_sdwa s[12:13], v2, s4 src0_sel:BYTE_3 src1_sel:DWORD
	s_mov_b64 s[4:5], -1
                                        ; implicit-def: $sgpr10
	s_and_saveexec_b64 s[8:9], s[12:13]
; %bb.4062:
	s_mov_b32 s10, 0x7f800001
	s_xor_b64 s[4:5], exec, -1
; %bb.4063:
	s_or_b64 exec, exec, s[8:9]
	s_and_b64 s[4:5], s[4:5], exec
	s_or_saveexec_b64 s[6:7], s[6:7]
	v_mov_b32_e32 v1, s10
	s_xor_b64 exec, exec, s[6:7]
	s_cbranch_execz .LBB8_2014
.LBB8_4064:
	v_mov_b32_e32 v1, 0
	v_cmp_ne_u16_sdwa s[8:9], v2, v1 src0_sel:BYTE_3 src1_sel:DWORD
	s_andn2_b64 s[4:5], s[4:5], exec
	s_and_b64 s[8:9], s[8:9], exec
	s_or_b64 s[4:5], s[4:5], s[8:9]
	s_or_b64 exec, exec, s[6:7]
	s_and_saveexec_b64 s[6:7], s[4:5]
	s_cbranch_execnz .LBB8_2015
	s_branch .LBB8_2016
.LBB8_4065:
	s_movk_i32 s4, 0x80
	v_cmp_eq_u16_sdwa s[12:13], v7, s4 src0_sel:BYTE_0 src1_sel:DWORD
	s_mov_b64 s[4:5], -1
                                        ; implicit-def: $sgpr10
	s_and_saveexec_b64 s[8:9], s[12:13]
; %bb.4066:
	s_mov_b32 s10, 0x7f800001
	s_xor_b64 s[4:5], exec, -1
; %bb.4067:
	s_or_b64 exec, exec, s[8:9]
	s_and_b64 s[4:5], s[4:5], exec
	s_or_saveexec_b64 s[6:7], s[6:7]
	v_mov_b32_e32 v0, s10
	s_xor_b64 exec, exec, s[6:7]
	s_cbranch_execz .LBB8_2018
.LBB8_4068:
	v_mov_b32_e32 v0, 0
	v_cmp_ne_u16_sdwa s[8:9], v7, v0 src0_sel:BYTE_0 src1_sel:DWORD
	s_andn2_b64 s[4:5], s[4:5], exec
	s_and_b64 s[8:9], s[8:9], exec
	s_or_b64 s[4:5], s[4:5], s[8:9]
	s_or_b64 exec, exec, s[6:7]
	s_and_saveexec_b64 s[6:7], s[4:5]
	s_cbranch_execnz .LBB8_2019
	s_branch .LBB8_2020
.LBB8_4069:
	s_movk_i32 s4, 0x80
	v_cmp_eq_u16_sdwa s[12:13], v3, s4 src0_sel:BYTE_0 src1_sel:DWORD
	s_mov_b64 s[4:5], -1
                                        ; implicit-def: $sgpr10
	s_and_saveexec_b64 s[8:9], s[12:13]
; %bb.4070:
	s_mov_b32 s10, 0x7f800001
	s_xor_b64 s[4:5], exec, -1
; %bb.4071:
	s_or_b64 exec, exec, s[8:9]
	s_and_b64 s[4:5], s[4:5], exec
	s_or_saveexec_b64 s[6:7], s[6:7]
	v_mov_b32_e32 v1, s10
	s_xor_b64 exec, exec, s[6:7]
	s_cbranch_execz .LBB8_2022
.LBB8_4072:
	v_mov_b32_e32 v1, 0
	v_cmp_ne_u16_sdwa s[8:9], v3, v1 src0_sel:BYTE_0 src1_sel:DWORD
	s_andn2_b64 s[4:5], s[4:5], exec
	s_and_b64 s[8:9], s[8:9], exec
	s_or_b64 s[4:5], s[4:5], s[8:9]
	s_or_b64 exec, exec, s[6:7]
	s_and_saveexec_b64 s[6:7], s[4:5]
	s_cbranch_execnz .LBB8_2023
	s_branch .LBB8_2024
.LBB8_4073:
	s_movk_i32 s4, 0x80
	v_cmp_eq_u16_sdwa s[12:13], v1, s4 src0_sel:BYTE_0 src1_sel:DWORD
	s_mov_b64 s[4:5], -1
                                        ; implicit-def: $sgpr10
	s_and_saveexec_b64 s[8:9], s[12:13]
; %bb.4074:
	s_mov_b32 s10, 0x7f800001
	s_xor_b64 s[4:5], exec, -1
; %bb.4075:
	s_or_b64 exec, exec, s[8:9]
	s_and_b64 s[4:5], s[4:5], exec
	s_or_saveexec_b64 s[6:7], s[6:7]
	v_mov_b32_e32 v0, s10
	s_xor_b64 exec, exec, s[6:7]
	s_cbranch_execz .LBB8_2026
.LBB8_4076:
	v_mov_b32_e32 v0, 0
	v_cmp_ne_u16_sdwa s[8:9], v1, v0 src0_sel:BYTE_0 src1_sel:DWORD
	s_andn2_b64 s[4:5], s[4:5], exec
	s_and_b64 s[8:9], s[8:9], exec
	s_or_b64 s[4:5], s[4:5], s[8:9]
	s_or_b64 exec, exec, s[6:7]
	s_and_saveexec_b64 s[6:7], s[4:5]
	s_cbranch_execnz .LBB8_2027
	s_branch .LBB8_2028
.LBB8_4077:
	s_movk_i32 s4, 0x80
	v_cmp_eq_u16_sdwa s[12:13], v1, s4 src0_sel:BYTE_0 src1_sel:DWORD
	s_mov_b64 s[4:5], -1
                                        ; implicit-def: $sgpr10
	s_and_saveexec_b64 s[8:9], s[12:13]
; %bb.4078:
	s_mov_b32 s10, 0x7f800001
	s_xor_b64 s[4:5], exec, -1
; %bb.4079:
	s_or_b64 exec, exec, s[8:9]
	s_and_b64 s[4:5], s[4:5], exec
	s_or_saveexec_b64 s[6:7], s[6:7]
	v_mov_b32_e32 v2, s10
	s_xor_b64 exec, exec, s[6:7]
	s_cbranch_execz .LBB8_2030
.LBB8_4080:
	v_mov_b32_e32 v2, 0
	v_cmp_ne_u16_sdwa s[8:9], v1, v2 src0_sel:BYTE_0 src1_sel:DWORD
	s_andn2_b64 s[4:5], s[4:5], exec
	s_and_b64 s[8:9], s[8:9], exec
	s_or_b64 s[4:5], s[4:5], s[8:9]
	s_or_b64 exec, exec, s[6:7]
	s_and_saveexec_b64 s[6:7], s[4:5]
	s_cbranch_execnz .LBB8_2031
	s_branch .LBB8_2032
.LBB8_4081:
	s_movk_i32 s4, 0x80
	v_cmp_eq_u16_e32 vcc, s4, v1
	s_mov_b64 s[4:5], -1
                                        ; implicit-def: $sgpr10
	s_and_saveexec_b64 s[8:9], vcc
; %bb.4082:
	s_mov_b32 s10, 0x7f800001
	s_xor_b64 s[4:5], exec, -1
; %bb.4083:
	s_or_b64 exec, exec, s[8:9]
	s_and_b64 s[4:5], s[4:5], exec
                                        ; implicit-def: $vgpr1
	s_or_saveexec_b64 s[6:7], s[6:7]
	v_mov_b32_e32 v0, s10
	s_xor_b64 exec, exec, s[6:7]
	s_cbranch_execz .LBB8_2034
.LBB8_4084:
	v_cmp_ne_u16_e32 vcc, 0, v1
	s_andn2_b64 s[4:5], s[4:5], exec
	s_and_b64 s[8:9], vcc, exec
	v_mov_b32_e32 v0, 0
	s_or_b64 s[4:5], s[4:5], s[8:9]
	s_or_b64 exec, exec, s[6:7]
	s_and_saveexec_b64 s[6:7], s[4:5]
	s_cbranch_execnz .LBB8_2035
	s_branch .LBB8_2036
.LBB8_4085:
	s_movk_i32 s4, 0x80
	v_cmp_eq_u16_e32 vcc, s4, v1
	s_mov_b64 s[4:5], -1
                                        ; implicit-def: $sgpr10
	s_and_saveexec_b64 s[8:9], vcc
; %bb.4086:
	s_mov_b32 s10, 0x7f800001
	s_xor_b64 s[4:5], exec, -1
; %bb.4087:
	s_or_b64 exec, exec, s[8:9]
	s_and_b64 s[4:5], s[4:5], exec
                                        ; implicit-def: $vgpr1
	s_or_saveexec_b64 s[6:7], s[6:7]
	v_mov_b32_e32 v2, s10
	s_xor_b64 exec, exec, s[6:7]
	s_cbranch_execz .LBB8_2038
.LBB8_4088:
	v_cmp_ne_u16_e32 vcc, 0, v1
	s_andn2_b64 s[4:5], s[4:5], exec
	s_and_b64 s[8:9], vcc, exec
	v_mov_b32_e32 v2, 0
	s_or_b64 s[4:5], s[4:5], s[8:9]
	s_or_b64 exec, exec, s[6:7]
	s_and_saveexec_b64 s[6:7], s[4:5]
	s_cbranch_execnz .LBB8_2039
	s_branch .LBB8_2040
.LBB8_4089:
	s_movk_i32 s4, 0x80
	v_cmp_eq_u16_sdwa s[12:13], v7, s4 src0_sel:BYTE_3 src1_sel:DWORD
	s_mov_b64 s[4:5], -1
                                        ; implicit-def: $sgpr10
	s_and_saveexec_b64 s[8:9], s[12:13]
; %bb.4090:
	s_mov_b32 s10, 0x7f800001
	s_xor_b64 s[4:5], exec, -1
; %bb.4091:
	s_or_b64 exec, exec, s[8:9]
	s_and_b64 s[4:5], s[4:5], exec
	s_or_saveexec_b64 s[6:7], s[6:7]
	v_mov_b32_e32 v0, s10
	s_xor_b64 exec, exec, s[6:7]
	s_cbranch_execz .LBB8_2042
.LBB8_4092:
	v_mov_b32_e32 v0, 0
	v_cmp_ne_u16_sdwa s[8:9], v7, v0 src0_sel:BYTE_3 src1_sel:DWORD
	s_andn2_b64 s[4:5], s[4:5], exec
	s_and_b64 s[8:9], s[8:9], exec
	s_or_b64 s[4:5], s[4:5], s[8:9]
	s_or_b64 exec, exec, s[6:7]
	s_and_saveexec_b64 s[6:7], s[4:5]
	s_cbranch_execnz .LBB8_2043
	s_branch .LBB8_2044
.LBB8_4093:
	s_movk_i32 s4, 0x80
	v_cmp_eq_u16_sdwa s[12:13], v3, s4 src0_sel:BYTE_3 src1_sel:DWORD
	s_mov_b64 s[4:5], -1
                                        ; implicit-def: $sgpr10
	s_and_saveexec_b64 s[8:9], s[12:13]
; %bb.4094:
	s_mov_b32 s10, 0x7f800001
	s_xor_b64 s[4:5], exec, -1
; %bb.4095:
	s_or_b64 exec, exec, s[8:9]
	s_and_b64 s[4:5], s[4:5], exec
	s_or_saveexec_b64 s[6:7], s[6:7]
	v_mov_b32_e32 v1, s10
	s_xor_b64 exec, exec, s[6:7]
	s_cbranch_execz .LBB8_2046
.LBB8_4096:
	v_mov_b32_e32 v1, 0
	v_cmp_ne_u16_sdwa s[8:9], v3, v1 src0_sel:BYTE_3 src1_sel:DWORD
	s_andn2_b64 s[4:5], s[4:5], exec
	s_and_b64 s[8:9], s[8:9], exec
	s_or_b64 s[4:5], s[4:5], s[8:9]
	s_or_b64 exec, exec, s[6:7]
	s_and_saveexec_b64 s[6:7], s[4:5]
	s_cbranch_execnz .LBB8_2047
	s_branch .LBB8_2048
.Lfunc_end8:
	.size	_ZNK2ck6detail7applierIiJLi0ELi1ELi2ELi3ELi4ELi5ELi6ELi7EEEclIZNKS_11static_fordINS_8SequenceIJLi1ELi8EEEENS5_IJLi0ELi1EEEEEclIZZZNKS_52BlockwiseGemmXdlops_pipeline_bpreshuffle_bdequant_v3ILNS_26BlockGemmPipelineSchedulerE0ELi256ENS_9f8_fnuz_tENS_7pk_i4_tESC_fNS_16TensorDescriptorINS_5TupleIJNS_5EmbedINSF_IJNS_17integral_constantIiLi8EEENSH_IiLi256EEENSH_IiLi16EEEEEENSF_IJSK_NSH_IiLi128EEENSH_IiLi1EEEEEELb0EEENS_3XorINSF_IJSJ_SI_EEELb1EEENS_11PassThroughISK_EENS_7UnMergeINSF_IJSI_SN_EEELb0EEENST_ISJ_EESU_NST_ISI_EENS_21Merge_v3_division_modINSF_IJSJ_SN_EEEEESU_EEENSF_IJNS5_IJLi0EEEENS5_IJLi2ELi1EEEENS5_IJLi3EEEENS5_IJLi5EEEENS5_IJLi4EEEENS5_IJLi6EEEENS5_IJLi7EEEENS5_IJLi9ELi8EEEENS5_IJLi10EEEEEEENSF_IJNS5_IJLi1ELi2ELi3EEEENS5_IJLi4ELi5EEEES19_NS5_IJLi7ELi8EEEENS5_IJLi9EEEES1C_NS5_IJLi11EEEENS5_IJLi12EEEENS5_IJLi13EEEEEEENS5_IJLi11ELi12ELi13EEEENSH_IlLl32768EEEEENSE_INSF_IJNSV_INSF_IJSI_SN_SN_NSH_IiLi32EEEEEELb0EEEEEENSF_IJS14_EEENSF_IJNS5_IJLi1ELi2ELi3ELi4EEEEEEES1U_NSH_IlLl256EEEEENSE_INSF_IJSP_SS_SU_SX_SY_SU_SZ_S12_SU_NS10_INSF_IJSI_SK_EEEEENSV_INSF_IJSI_NSH_IiLi2EEESK_EEELb0EEEEEENSF_IJS14_S15_S16_S17_S18_S19_S1A_S1B_S1C_NS5_IJLi11ELi13EEEES1J_EEENSF_IJS1E_S1F_S19_S1G_S1H_S1C_S1I_S1J_S1K_NS5_IJLi14EEEENS5_IJLi15ELi16ELi17EEEEEEENS5_IJLi15ELi16ELi17ELi14EEEES1N_EENSE_INSF_IJS1R_NS10_ISW_EES22_EEENSF_IJS14_NS5_IJLi1ELi3EEEENS5_IJLi2EEEEEEENSF_IJS1U_S17_NS5_IJLi6ELi7ELi8EEEEEEENS5_IJLi6ELi7ELi8ELi5EEEES1W_EELi16ELi32ELi256ELi256ELi128ELi16ELi16ELi8ELi8ELi32ELb0EE3RunILb1ELNS_10TailNumberE0ENSE_INSF_IJNSG_INSF_IJiiEEENSF_IJiSN_EEELb0EEENSV_IS2N_Lb0EEENST_IiEEEEENSF_IJS14_S2E_NS5_IJLi1EEEEEEENSF_IJNS5_IJLi1ELi2EEEENS5_IJLi3ELi4EEEES17_EEENS5_IJLi3ELi5ELi4EEEElEES1O_NS_35ThreadGroupTensorSliceTransfer_v4r1INS_15ThisThreadBlockILi256EEENS_16tensor_operation12element_wise11PassThroughES35_LNS_25InMemoryDataOperationEnumE0ENS5_IJLi8ELi256ELi16EEEENS5_IJLi8ELi32ELi1EEEENS5_IJLi1ELi0ELi2EEEESC_SC_RKS2Z_KS1O_S39_NS5_IJLi0ELi1ELi2EEEELi2ELi2ELi16ELi16ELi1ELi1ELb0ELb1ELi2EiEENS_13DynamicBufferILNS_16AddressSpaceEnumE1EKSC_lLb1ELNS_22AmdBufferCoherenceEnumE0EiEENSF_IJNS3F_ILS3G_2ESC_S1N_Lb1ELS3I_0EiEES3K_EEENSF_IJiiiEEENSE_INSF_IJNSG_INSF_IJiiiiEEENSF_IJiiiSN_EEELb0EEEEEES1T_S1V_S1U_lEENS_32ThreadwiseTensorSliceTransfer_v2ISD_SD_RKS3R_KS1X_NS5_IJLi8ELi1ELi1ELi32EEEENS5_IJLi1ELi2ELi0ELi3EEEELi3ELi32ELi0ELb1ELb0ELb0EEENS3F_ILS3G_1EKSD_lLb1ELS3I_0EiEENSF_IJNS_12StaticBufferILS3G_4ESD_Li256ELb1EEES42_EEES3N_NS_25StaticBufferTupleOfVectorILS3G_4EfLi64ELi4ELb1ELb0EEEEEvRKT1_RKT2_RT3_RKT4_RT5_RKT6_RKT7_RT8_RKT9_RT10_RKT11_RT12_iENKUlT_T0_E_clINSH_IiLi0EEESN_EEDaS51_S52_ENKUlS51_E_clINSH_IiLi6EEEEEDaS51_EUlS51_E_EEvS51_EUlS51_E_EEvS51_, .Lfunc_end8-_ZNK2ck6detail7applierIiJLi0ELi1ELi2ELi3ELi4ELi5ELi6ELi7EEEclIZNKS_11static_fordINS_8SequenceIJLi1ELi8EEEENS5_IJLi0ELi1EEEEEclIZZZNKS_52BlockwiseGemmXdlops_pipeline_bpreshuffle_bdequant_v3ILNS_26BlockGemmPipelineSchedulerE0ELi256ENS_9f8_fnuz_tENS_7pk_i4_tESC_fNS_16TensorDescriptorINS_5TupleIJNS_5EmbedINSF_IJNS_17integral_constantIiLi8EEENSH_IiLi256EEENSH_IiLi16EEEEEENSF_IJSK_NSH_IiLi128EEENSH_IiLi1EEEEEELb0EEENS_3XorINSF_IJSJ_SI_EEELb1EEENS_11PassThroughISK_EENS_7UnMergeINSF_IJSI_SN_EEELb0EEENST_ISJ_EESU_NST_ISI_EENS_21Merge_v3_division_modINSF_IJSJ_SN_EEEEESU_EEENSF_IJNS5_IJLi0EEEENS5_IJLi2ELi1EEEENS5_IJLi3EEEENS5_IJLi5EEEENS5_IJLi4EEEENS5_IJLi6EEEENS5_IJLi7EEEENS5_IJLi9ELi8EEEENS5_IJLi10EEEEEEENSF_IJNS5_IJLi1ELi2ELi3EEEENS5_IJLi4ELi5EEEES19_NS5_IJLi7ELi8EEEENS5_IJLi9EEEES1C_NS5_IJLi11EEEENS5_IJLi12EEEENS5_IJLi13EEEEEEENS5_IJLi11ELi12ELi13EEEENSH_IlLl32768EEEEENSE_INSF_IJNSV_INSF_IJSI_SN_SN_NSH_IiLi32EEEEEELb0EEEEEENSF_IJS14_EEENSF_IJNS5_IJLi1ELi2ELi3ELi4EEEEEEES1U_NSH_IlLl256EEEEENSE_INSF_IJSP_SS_SU_SX_SY_SU_SZ_S12_SU_NS10_INSF_IJSI_SK_EEEEENSV_INSF_IJSI_NSH_IiLi2EEESK_EEELb0EEEEEENSF_IJS14_S15_S16_S17_S18_S19_S1A_S1B_S1C_NS5_IJLi11ELi13EEEES1J_EEENSF_IJS1E_S1F_S19_S1G_S1H_S1C_S1I_S1J_S1K_NS5_IJLi14EEEENS5_IJLi15ELi16ELi17EEEEEEENS5_IJLi15ELi16ELi17ELi14EEEES1N_EENSE_INSF_IJS1R_NS10_ISW_EES22_EEENSF_IJS14_NS5_IJLi1ELi3EEEENS5_IJLi2EEEEEEENSF_IJS1U_S17_NS5_IJLi6ELi7ELi8EEEEEEENS5_IJLi6ELi7ELi8ELi5EEEES1W_EELi16ELi32ELi256ELi256ELi128ELi16ELi16ELi8ELi8ELi32ELb0EE3RunILb1ELNS_10TailNumberE0ENSE_INSF_IJNSG_INSF_IJiiEEENSF_IJiSN_EEELb0EEENSV_IS2N_Lb0EEENST_IiEEEEENSF_IJS14_S2E_NS5_IJLi1EEEEEEENSF_IJNS5_IJLi1ELi2EEEENS5_IJLi3ELi4EEEES17_EEENS5_IJLi3ELi5ELi4EEEElEES1O_NS_35ThreadGroupTensorSliceTransfer_v4r1INS_15ThisThreadBlockILi256EEENS_16tensor_operation12element_wise11PassThroughES35_LNS_25InMemoryDataOperationEnumE0ENS5_IJLi8ELi256ELi16EEEENS5_IJLi8ELi32ELi1EEEENS5_IJLi1ELi0ELi2EEEESC_SC_RKS2Z_KS1O_S39_NS5_IJLi0ELi1ELi2EEEELi2ELi2ELi16ELi16ELi1ELi1ELb0ELb1ELi2EiEENS_13DynamicBufferILNS_16AddressSpaceEnumE1EKSC_lLb1ELNS_22AmdBufferCoherenceEnumE0EiEENSF_IJNS3F_ILS3G_2ESC_S1N_Lb1ELS3I_0EiEES3K_EEENSF_IJiiiEEENSE_INSF_IJNSG_INSF_IJiiiiEEENSF_IJiiiSN_EEELb0EEEEEES1T_S1V_S1U_lEENS_32ThreadwiseTensorSliceTransfer_v2ISD_SD_RKS3R_KS1X_NS5_IJLi8ELi1ELi1ELi32EEEENS5_IJLi1ELi2ELi0ELi3EEEELi3ELi32ELi0ELb1ELb0ELb0EEENS3F_ILS3G_1EKSD_lLb1ELS3I_0EiEENSF_IJNS_12StaticBufferILS3G_4ESD_Li256ELb1EEES42_EEES3N_NS_25StaticBufferTupleOfVectorILS3G_4EfLi64ELi4ELb1ELb0EEEEEvRKT1_RKT2_RT3_RKT4_RT5_RKT6_RKT7_RT8_RKT9_RT10_RKT11_RT12_iENKUlT_T0_E_clINSH_IiLi0EEESN_EEDaS51_S52_ENKUlS51_E_clINSH_IiLi6EEEEEDaS51_EUlS51_E_EEvS51_EUlS51_E_EEvS51_
                                        ; -- End function
	.section	.AMDGPU.csdata,"",@progbits
; Function info:
; codeLenInByte = 133608
; NumSgprs: 36
; NumVgprs: 26
; NumAgprs: 4
; TotalNumVgprs: 32
; ScratchSize: 0
; MemoryBound: 1
	.text
	.p2align	2                               ; -- Begin function _ZNK2ck6detail7applierIiJLi0ELi1ELi2ELi3ELi4ELi5ELi6ELi7EEEclIZNKS_11static_fordINS_8SequenceIJLi1ELi8EEEENS5_IJLi0ELi1EEEEEclIZZZNKS_52BlockwiseGemmXdlops_pipeline_bpreshuffle_bdequant_v3ILNS_26BlockGemmPipelineSchedulerE0ELi256ENS_9f8_fnuz_tENS_7pk_i4_tESC_fNS_16TensorDescriptorINS_5TupleIJNS_5EmbedINSF_IJNS_17integral_constantIiLi8EEENSH_IiLi256EEENSH_IiLi16EEEEEENSF_IJSK_NSH_IiLi128EEENSH_IiLi1EEEEEELb0EEENS_3XorINSF_IJSJ_SI_EEELb1EEENS_11PassThroughISK_EENS_7UnMergeINSF_IJSI_SN_EEELb0EEENST_ISJ_EESU_NST_ISI_EENS_21Merge_v3_division_modINSF_IJSJ_SN_EEEEESU_EEENSF_IJNS5_IJLi0EEEENS5_IJLi2ELi1EEEENS5_IJLi3EEEENS5_IJLi5EEEENS5_IJLi4EEEENS5_IJLi6EEEENS5_IJLi7EEEENS5_IJLi9ELi8EEEENS5_IJLi10EEEEEEENSF_IJNS5_IJLi1ELi2ELi3EEEENS5_IJLi4ELi5EEEES19_NS5_IJLi7ELi8EEEENS5_IJLi9EEEES1C_NS5_IJLi11EEEENS5_IJLi12EEEENS5_IJLi13EEEEEEENS5_IJLi11ELi12ELi13EEEENSH_IlLl32768EEEEENSE_INSF_IJNSV_INSF_IJSI_SN_SN_NSH_IiLi32EEEEEELb0EEEEEENSF_IJS14_EEENSF_IJNS5_IJLi1ELi2ELi3ELi4EEEEEEES1U_NSH_IlLl256EEEEENSE_INSF_IJSP_SS_SU_SX_SY_SU_SZ_S12_SU_NS10_INSF_IJSI_SK_EEEEENSV_INSF_IJSI_NSH_IiLi2EEESK_EEELb0EEEEEENSF_IJS14_S15_S16_S17_S18_S19_S1A_S1B_S1C_NS5_IJLi11ELi13EEEES1J_EEENSF_IJS1E_S1F_S19_S1G_S1H_S1C_S1I_S1J_S1K_NS5_IJLi14EEEENS5_IJLi15ELi16ELi17EEEEEEENS5_IJLi15ELi16ELi17ELi14EEEES1N_EENSE_INSF_IJS1R_NS10_ISW_EES22_EEENSF_IJS14_NS5_IJLi1ELi3EEEENS5_IJLi2EEEEEEENSF_IJS1U_S17_NS5_IJLi6ELi7ELi8EEEEEEENS5_IJLi6ELi7ELi8ELi5EEEES1W_EELi16ELi32ELi256ELi256ELi128ELi16ELi16ELi8ELi8ELi32ELb0EE3RunILb1ELNS_10TailNumberE0ENSE_INSF_IJNSG_INSF_IJiiEEENSF_IJiSN_EEELb0EEENSV_IS2N_Lb0EEENST_IiEEEEENSF_IJS14_S2E_NS5_IJLi1EEEEEEENSF_IJNS5_IJLi1ELi2EEEENS5_IJLi3ELi4EEEES17_EEENS5_IJLi3ELi5ELi4EEEElEES1O_NS_35ThreadGroupTensorSliceTransfer_v4r1INS_15ThisThreadBlockILi256EEENS_16tensor_operation12element_wise11PassThroughES35_LNS_25InMemoryDataOperationEnumE0ENS5_IJLi8ELi256ELi16EEEENS5_IJLi8ELi32ELi1EEEENS5_IJLi1ELi0ELi2EEEESC_SC_RKS2Z_KS1O_S39_NS5_IJLi0ELi1ELi2EEEELi2ELi2ELi16ELi16ELi1ELi1ELb0ELb1ELi2EiEENS_13DynamicBufferILNS_16AddressSpaceEnumE1EKSC_lLb1ELNS_22AmdBufferCoherenceEnumE0EiEENSF_IJNS3F_ILS3G_2ESC_S1N_Lb1ELS3I_0EiEES3K_EEENSF_IJiiiEEENSE_INSF_IJNSG_INSF_IJiiiiEEENSF_IJiiiSN_EEELb0EEEEEES1T_S1V_S1U_lEENS_32ThreadwiseTensorSliceTransfer_v2ISD_SD_RKS3R_KS1X_NS5_IJLi8ELi1ELi1ELi32EEEENS5_IJLi1ELi2ELi0ELi3EEEELi3ELi32ELi0ELb1ELb0ELb0EEENS3F_ILS3G_1EKSD_lLb1ELS3I_0EiEENSF_IJNS_12StaticBufferILS3G_4ESD_Li256ELb1EEES42_EEES3N_NS_25StaticBufferTupleOfVectorILS3G_4EfLi64ELi4ELb1ELb0EEEEEvRKT1_RKT2_RT3_RKT4_RT5_RKT6_RKT7_RT8_RKT9_RT10_RKT11_RT12_iENKUlT_T0_E_clINSH_IiLi0EEESN_EEDaS51_S52_ENKUlS51_E_clINSH_IiLi7EEEEEDaS51_EUlS51_E_EEvS51_EUlS51_E_EEvS51_
	.type	_ZNK2ck6detail7applierIiJLi0ELi1ELi2ELi3ELi4ELi5ELi6ELi7EEEclIZNKS_11static_fordINS_8SequenceIJLi1ELi8EEEENS5_IJLi0ELi1EEEEEclIZZZNKS_52BlockwiseGemmXdlops_pipeline_bpreshuffle_bdequant_v3ILNS_26BlockGemmPipelineSchedulerE0ELi256ENS_9f8_fnuz_tENS_7pk_i4_tESC_fNS_16TensorDescriptorINS_5TupleIJNS_5EmbedINSF_IJNS_17integral_constantIiLi8EEENSH_IiLi256EEENSH_IiLi16EEEEEENSF_IJSK_NSH_IiLi128EEENSH_IiLi1EEEEEELb0EEENS_3XorINSF_IJSJ_SI_EEELb1EEENS_11PassThroughISK_EENS_7UnMergeINSF_IJSI_SN_EEELb0EEENST_ISJ_EESU_NST_ISI_EENS_21Merge_v3_division_modINSF_IJSJ_SN_EEEEESU_EEENSF_IJNS5_IJLi0EEEENS5_IJLi2ELi1EEEENS5_IJLi3EEEENS5_IJLi5EEEENS5_IJLi4EEEENS5_IJLi6EEEENS5_IJLi7EEEENS5_IJLi9ELi8EEEENS5_IJLi10EEEEEEENSF_IJNS5_IJLi1ELi2ELi3EEEENS5_IJLi4ELi5EEEES19_NS5_IJLi7ELi8EEEENS5_IJLi9EEEES1C_NS5_IJLi11EEEENS5_IJLi12EEEENS5_IJLi13EEEEEEENS5_IJLi11ELi12ELi13EEEENSH_IlLl32768EEEEENSE_INSF_IJNSV_INSF_IJSI_SN_SN_NSH_IiLi32EEEEEELb0EEEEEENSF_IJS14_EEENSF_IJNS5_IJLi1ELi2ELi3ELi4EEEEEEES1U_NSH_IlLl256EEEEENSE_INSF_IJSP_SS_SU_SX_SY_SU_SZ_S12_SU_NS10_INSF_IJSI_SK_EEEEENSV_INSF_IJSI_NSH_IiLi2EEESK_EEELb0EEEEEENSF_IJS14_S15_S16_S17_S18_S19_S1A_S1B_S1C_NS5_IJLi11ELi13EEEES1J_EEENSF_IJS1E_S1F_S19_S1G_S1H_S1C_S1I_S1J_S1K_NS5_IJLi14EEEENS5_IJLi15ELi16ELi17EEEEEEENS5_IJLi15ELi16ELi17ELi14EEEES1N_EENSE_INSF_IJS1R_NS10_ISW_EES22_EEENSF_IJS14_NS5_IJLi1ELi3EEEENS5_IJLi2EEEEEEENSF_IJS1U_S17_NS5_IJLi6ELi7ELi8EEEEEEENS5_IJLi6ELi7ELi8ELi5EEEES1W_EELi16ELi32ELi256ELi256ELi128ELi16ELi16ELi8ELi8ELi32ELb0EE3RunILb1ELNS_10TailNumberE0ENSE_INSF_IJNSG_INSF_IJiiEEENSF_IJiSN_EEELb0EEENSV_IS2N_Lb0EEENST_IiEEEEENSF_IJS14_S2E_NS5_IJLi1EEEEEEENSF_IJNS5_IJLi1ELi2EEEENS5_IJLi3ELi4EEEES17_EEENS5_IJLi3ELi5ELi4EEEElEES1O_NS_35ThreadGroupTensorSliceTransfer_v4r1INS_15ThisThreadBlockILi256EEENS_16tensor_operation12element_wise11PassThroughES35_LNS_25InMemoryDataOperationEnumE0ENS5_IJLi8ELi256ELi16EEEENS5_IJLi8ELi32ELi1EEEENS5_IJLi1ELi0ELi2EEEESC_SC_RKS2Z_KS1O_S39_NS5_IJLi0ELi1ELi2EEEELi2ELi2ELi16ELi16ELi1ELi1ELb0ELb1ELi2EiEENS_13DynamicBufferILNS_16AddressSpaceEnumE1EKSC_lLb1ELNS_22AmdBufferCoherenceEnumE0EiEENSF_IJNS3F_ILS3G_2ESC_S1N_Lb1ELS3I_0EiEES3K_EEENSF_IJiiiEEENSE_INSF_IJNSG_INSF_IJiiiiEEENSF_IJiiiSN_EEELb0EEEEEES1T_S1V_S1U_lEENS_32ThreadwiseTensorSliceTransfer_v2ISD_SD_RKS3R_KS1X_NS5_IJLi8ELi1ELi1ELi32EEEENS5_IJLi1ELi2ELi0ELi3EEEELi3ELi32ELi0ELb1ELb0ELb0EEENS3F_ILS3G_1EKSD_lLb1ELS3I_0EiEENSF_IJNS_12StaticBufferILS3G_4ESD_Li256ELb1EEES42_EEES3N_NS_25StaticBufferTupleOfVectorILS3G_4EfLi64ELi4ELb1ELb0EEEEEvRKT1_RKT2_RT3_RKT4_RT5_RKT6_RKT7_RT8_RKT9_RT10_RKT11_RT12_iENKUlT_T0_E_clINSH_IiLi0EEESN_EEDaS51_S52_ENKUlS51_E_clINSH_IiLi7EEEEEDaS51_EUlS51_E_EEvS51_EUlS51_E_EEvS51_,@function
_ZNK2ck6detail7applierIiJLi0ELi1ELi2ELi3ELi4ELi5ELi6ELi7EEEclIZNKS_11static_fordINS_8SequenceIJLi1ELi8EEEENS5_IJLi0ELi1EEEEEclIZZZNKS_52BlockwiseGemmXdlops_pipeline_bpreshuffle_bdequant_v3ILNS_26BlockGemmPipelineSchedulerE0ELi256ENS_9f8_fnuz_tENS_7pk_i4_tESC_fNS_16TensorDescriptorINS_5TupleIJNS_5EmbedINSF_IJNS_17integral_constantIiLi8EEENSH_IiLi256EEENSH_IiLi16EEEEEENSF_IJSK_NSH_IiLi128EEENSH_IiLi1EEEEEELb0EEENS_3XorINSF_IJSJ_SI_EEELb1EEENS_11PassThroughISK_EENS_7UnMergeINSF_IJSI_SN_EEELb0EEENST_ISJ_EESU_NST_ISI_EENS_21Merge_v3_division_modINSF_IJSJ_SN_EEEEESU_EEENSF_IJNS5_IJLi0EEEENS5_IJLi2ELi1EEEENS5_IJLi3EEEENS5_IJLi5EEEENS5_IJLi4EEEENS5_IJLi6EEEENS5_IJLi7EEEENS5_IJLi9ELi8EEEENS5_IJLi10EEEEEEENSF_IJNS5_IJLi1ELi2ELi3EEEENS5_IJLi4ELi5EEEES19_NS5_IJLi7ELi8EEEENS5_IJLi9EEEES1C_NS5_IJLi11EEEENS5_IJLi12EEEENS5_IJLi13EEEEEEENS5_IJLi11ELi12ELi13EEEENSH_IlLl32768EEEEENSE_INSF_IJNSV_INSF_IJSI_SN_SN_NSH_IiLi32EEEEEELb0EEEEEENSF_IJS14_EEENSF_IJNS5_IJLi1ELi2ELi3ELi4EEEEEEES1U_NSH_IlLl256EEEEENSE_INSF_IJSP_SS_SU_SX_SY_SU_SZ_S12_SU_NS10_INSF_IJSI_SK_EEEEENSV_INSF_IJSI_NSH_IiLi2EEESK_EEELb0EEEEEENSF_IJS14_S15_S16_S17_S18_S19_S1A_S1B_S1C_NS5_IJLi11ELi13EEEES1J_EEENSF_IJS1E_S1F_S19_S1G_S1H_S1C_S1I_S1J_S1K_NS5_IJLi14EEEENS5_IJLi15ELi16ELi17EEEEEEENS5_IJLi15ELi16ELi17ELi14EEEES1N_EENSE_INSF_IJS1R_NS10_ISW_EES22_EEENSF_IJS14_NS5_IJLi1ELi3EEEENS5_IJLi2EEEEEEENSF_IJS1U_S17_NS5_IJLi6ELi7ELi8EEEEEEENS5_IJLi6ELi7ELi8ELi5EEEES1W_EELi16ELi32ELi256ELi256ELi128ELi16ELi16ELi8ELi8ELi32ELb0EE3RunILb1ELNS_10TailNumberE0ENSE_INSF_IJNSG_INSF_IJiiEEENSF_IJiSN_EEELb0EEENSV_IS2N_Lb0EEENST_IiEEEEENSF_IJS14_S2E_NS5_IJLi1EEEEEEENSF_IJNS5_IJLi1ELi2EEEENS5_IJLi3ELi4EEEES17_EEENS5_IJLi3ELi5ELi4EEEElEES1O_NS_35ThreadGroupTensorSliceTransfer_v4r1INS_15ThisThreadBlockILi256EEENS_16tensor_operation12element_wise11PassThroughES35_LNS_25InMemoryDataOperationEnumE0ENS5_IJLi8ELi256ELi16EEEENS5_IJLi8ELi32ELi1EEEENS5_IJLi1ELi0ELi2EEEESC_SC_RKS2Z_KS1O_S39_NS5_IJLi0ELi1ELi2EEEELi2ELi2ELi16ELi16ELi1ELi1ELb0ELb1ELi2EiEENS_13DynamicBufferILNS_16AddressSpaceEnumE1EKSC_lLb1ELNS_22AmdBufferCoherenceEnumE0EiEENSF_IJNS3F_ILS3G_2ESC_S1N_Lb1ELS3I_0EiEES3K_EEENSF_IJiiiEEENSE_INSF_IJNSG_INSF_IJiiiiEEENSF_IJiiiSN_EEELb0EEEEEES1T_S1V_S1U_lEENS_32ThreadwiseTensorSliceTransfer_v2ISD_SD_RKS3R_KS1X_NS5_IJLi8ELi1ELi1ELi32EEEENS5_IJLi1ELi2ELi0ELi3EEEELi3ELi32ELi0ELb1ELb0ELb0EEENS3F_ILS3G_1EKSD_lLb1ELS3I_0EiEENSF_IJNS_12StaticBufferILS3G_4ESD_Li256ELb1EEES42_EEES3N_NS_25StaticBufferTupleOfVectorILS3G_4EfLi64ELi4ELb1ELb0EEEEEvRKT1_RKT2_RT3_RKT4_RT5_RKT6_RKT7_RT8_RKT9_RT10_RKT11_RT12_iENKUlT_T0_E_clINSH_IiLi0EEESN_EEDaS51_S52_ENKUlS51_E_clINSH_IiLi7EEEEEDaS51_EUlS51_E_EEvS51_EUlS51_E_EEvS51_: ; @_ZNK2ck6detail7applierIiJLi0ELi1ELi2ELi3ELi4ELi5ELi6ELi7EEEclIZNKS_11static_fordINS_8SequenceIJLi1ELi8EEEENS5_IJLi0ELi1EEEEEclIZZZNKS_52BlockwiseGemmXdlops_pipeline_bpreshuffle_bdequant_v3ILNS_26BlockGemmPipelineSchedulerE0ELi256ENS_9f8_fnuz_tENS_7pk_i4_tESC_fNS_16TensorDescriptorINS_5TupleIJNS_5EmbedINSF_IJNS_17integral_constantIiLi8EEENSH_IiLi256EEENSH_IiLi16EEEEEENSF_IJSK_NSH_IiLi128EEENSH_IiLi1EEEEEELb0EEENS_3XorINSF_IJSJ_SI_EEELb1EEENS_11PassThroughISK_EENS_7UnMergeINSF_IJSI_SN_EEELb0EEENST_ISJ_EESU_NST_ISI_EENS_21Merge_v3_division_modINSF_IJSJ_SN_EEEEESU_EEENSF_IJNS5_IJLi0EEEENS5_IJLi2ELi1EEEENS5_IJLi3EEEENS5_IJLi5EEEENS5_IJLi4EEEENS5_IJLi6EEEENS5_IJLi7EEEENS5_IJLi9ELi8EEEENS5_IJLi10EEEEEEENSF_IJNS5_IJLi1ELi2ELi3EEEENS5_IJLi4ELi5EEEES19_NS5_IJLi7ELi8EEEENS5_IJLi9EEEES1C_NS5_IJLi11EEEENS5_IJLi12EEEENS5_IJLi13EEEEEEENS5_IJLi11ELi12ELi13EEEENSH_IlLl32768EEEEENSE_INSF_IJNSV_INSF_IJSI_SN_SN_NSH_IiLi32EEEEEELb0EEEEEENSF_IJS14_EEENSF_IJNS5_IJLi1ELi2ELi3ELi4EEEEEEES1U_NSH_IlLl256EEEEENSE_INSF_IJSP_SS_SU_SX_SY_SU_SZ_S12_SU_NS10_INSF_IJSI_SK_EEEEENSV_INSF_IJSI_NSH_IiLi2EEESK_EEELb0EEEEEENSF_IJS14_S15_S16_S17_S18_S19_S1A_S1B_S1C_NS5_IJLi11ELi13EEEES1J_EEENSF_IJS1E_S1F_S19_S1G_S1H_S1C_S1I_S1J_S1K_NS5_IJLi14EEEENS5_IJLi15ELi16ELi17EEEEEEENS5_IJLi15ELi16ELi17ELi14EEEES1N_EENSE_INSF_IJS1R_NS10_ISW_EES22_EEENSF_IJS14_NS5_IJLi1ELi3EEEENS5_IJLi2EEEEEEENSF_IJS1U_S17_NS5_IJLi6ELi7ELi8EEEEEEENS5_IJLi6ELi7ELi8ELi5EEEES1W_EELi16ELi32ELi256ELi256ELi128ELi16ELi16ELi8ELi8ELi32ELb0EE3RunILb1ELNS_10TailNumberE0ENSE_INSF_IJNSG_INSF_IJiiEEENSF_IJiSN_EEELb0EEENSV_IS2N_Lb0EEENST_IiEEEEENSF_IJS14_S2E_NS5_IJLi1EEEEEEENSF_IJNS5_IJLi1ELi2EEEENS5_IJLi3ELi4EEEES17_EEENS5_IJLi3ELi5ELi4EEEElEES1O_NS_35ThreadGroupTensorSliceTransfer_v4r1INS_15ThisThreadBlockILi256EEENS_16tensor_operation12element_wise11PassThroughES35_LNS_25InMemoryDataOperationEnumE0ENS5_IJLi8ELi256ELi16EEEENS5_IJLi8ELi32ELi1EEEENS5_IJLi1ELi0ELi2EEEESC_SC_RKS2Z_KS1O_S39_NS5_IJLi0ELi1ELi2EEEELi2ELi2ELi16ELi16ELi1ELi1ELb0ELb1ELi2EiEENS_13DynamicBufferILNS_16AddressSpaceEnumE1EKSC_lLb1ELNS_22AmdBufferCoherenceEnumE0EiEENSF_IJNS3F_ILS3G_2ESC_S1N_Lb1ELS3I_0EiEES3K_EEENSF_IJiiiEEENSE_INSF_IJNSG_INSF_IJiiiiEEENSF_IJiiiSN_EEELb0EEEEEES1T_S1V_S1U_lEENS_32ThreadwiseTensorSliceTransfer_v2ISD_SD_RKS3R_KS1X_NS5_IJLi8ELi1ELi1ELi32EEEENS5_IJLi1ELi2ELi0ELi3EEEELi3ELi32ELi0ELb1ELb0ELb0EEENS3F_ILS3G_1EKSD_lLb1ELS3I_0EiEENSF_IJNS_12StaticBufferILS3G_4ESD_Li256ELb1EEES42_EEES3N_NS_25StaticBufferTupleOfVectorILS3G_4EfLi64ELi4ELb1ELb0EEEEEvRKT1_RKT2_RT3_RKT4_RT5_RKT6_RKT7_RT8_RKT9_RT10_RKT11_RT12_iENKUlT_T0_E_clINSH_IiLi0EEESN_EEDaS51_S52_ENKUlS51_E_clINSH_IiLi7EEEEEDaS51_EUlS51_E_EEvS51_EUlS51_E_EEvS51_
; %bb.0:
	s_waitcnt vmcnt(0) expcnt(0) lgkmcnt(0)
	flat_load_dwordx4 v[20:23], v[0:1] offset:16
	flat_load_dwordx2 v[18:19], v[0:1] offset:32
	s_movk_i32 s4, 0x7f
                                        ; implicit-def: $sgpr10
	s_waitcnt vmcnt(0) lgkmcnt(0)
	flat_load_dwordx4 v[14:17], v[20:21] offset:32
	flat_load_dwordx4 v[6:9], v[20:21] offset:48
	flat_load_dwordx4 v[10:13], v[22:23]
	flat_load_dwordx4 v[2:5], v[22:23] offset:16
	s_waitcnt vmcnt(0) lgkmcnt(0)
	v_cmp_gt_i16_sdwa s[6:7], v14, s4 src0_sel:BYTE_0 src1_sel:DWORD
	s_mov_b64 s[4:5], 0
	s_and_saveexec_b64 s[8:9], s[6:7]
	s_xor_b64 s[6:7], exec, s[8:9]
	s_cbranch_execnz .LBB9_2049
; %bb.1:
	s_or_saveexec_b64 s[6:7], s[6:7]
	v_mov_b32_e32 v20, s10
	s_xor_b64 exec, exec, s[6:7]
	s_cbranch_execnz .LBB9_2052
.LBB9_2:
	s_or_b64 exec, exec, s[6:7]
	s_and_saveexec_b64 s[6:7], s[4:5]
	s_cbranch_execz .LBB9_4
.LBB9_3:
	v_and_b32_e32 v20, 7, v14
	v_ffbh_u32_e32 v22, v20
	v_min_u32_e32 v22, 32, v22
	v_lshrrev_b16_e32 v21, 3, v14
	v_subrev_u32_e32 v23, 28, v22
	v_and_b32_e32 v21, 15, v21
	v_lshlrev_b32_e32 v23, v23, v14
	v_sub_u32_e32 v22, 29, v22
	v_and_b32_e32 v23, 7, v23
	v_cmp_eq_u16_e32 vcc, 0, v21
	v_cndmask_b32_e32 v20, v20, v23, vcc
	v_cndmask_b32_e32 v21, v21, v22, vcc
	v_lshlrev_b32_e32 v22, 24, v14
	v_mov_b32_e32 v23, 0x3b800000
	v_lshlrev_b32_e32 v20, 20, v20
	v_and_b32_e32 v22, 0x80000000, v22
	v_lshl_add_u32 v21, v21, 23, v23
	v_or3_b32 v20, v22, v21, v20
.LBB9_4:
	s_or_b64 exec, exec, s[6:7]
	s_movk_i32 s4, 0x7f
	v_cmp_gt_i16_sdwa s[6:7], v10, s4 src0_sel:BYTE_0 src1_sel:DWORD
	s_mov_b64 s[4:5], 0
                                        ; implicit-def: $sgpr10
	s_and_saveexec_b64 s[8:9], s[6:7]
	s_xor_b64 s[6:7], exec, s[8:9]
	s_cbranch_execnz .LBB9_2053
; %bb.5:
	s_or_saveexec_b64 s[6:7], s[6:7]
	v_mov_b32_e32 v21, s10
	s_xor_b64 exec, exec, s[6:7]
	s_cbranch_execnz .LBB9_2056
.LBB9_6:
	s_or_b64 exec, exec, s[6:7]
	s_and_saveexec_b64 s[6:7], s[4:5]
	s_cbranch_execz .LBB9_8
.LBB9_7:
	v_and_b32_e32 v21, 7, v10
	v_ffbh_u32_e32 v23, v21
	v_min_u32_e32 v23, 32, v23
	v_lshrrev_b16_e32 v22, 3, v10
	v_subrev_u32_e32 v24, 28, v23
	v_and_b32_e32 v22, 15, v22
	v_lshlrev_b32_e32 v24, v24, v10
	v_sub_u32_e32 v23, 29, v23
	v_and_b32_e32 v24, 7, v24
	v_cmp_eq_u16_e32 vcc, 0, v22
	v_cndmask_b32_e32 v21, v21, v24, vcc
	v_cndmask_b32_e32 v22, v22, v23, vcc
	v_lshlrev_b32_e32 v23, 24, v10
	v_mov_b32_e32 v24, 0x3b800000
	v_lshlrev_b32_e32 v21, 20, v21
	v_and_b32_e32 v23, 0x80000000, v23
	v_lshl_add_u32 v22, v22, 23, v24
	v_or3_b32 v21, v23, v22, v21
.LBB9_8:
	s_or_b64 exec, exec, s[6:7]
	flat_load_dwordx4 a[0:3], v[18:19] offset:896
	s_movk_i32 s4, 0x7f
                                        ; implicit-def: $sgpr10
	s_waitcnt vmcnt(0) lgkmcnt(0)
	v_mfma_f32_16x16x4f32 a[0:3], v20, v21, a[0:3]
	v_lshrrev_b32_e32 v21, 8, v14
	v_cmp_gt_i16_sdwa s[6:7], v21, s4 src0_sel:BYTE_0 src1_sel:DWORD
	s_mov_b64 s[4:5], 0
	s_and_saveexec_b64 s[8:9], s[6:7]
	s_xor_b64 s[6:7], exec, s[8:9]
	s_cbranch_execnz .LBB9_2057
; %bb.9:
	s_or_saveexec_b64 s[6:7], s[6:7]
	v_mov_b32_e32 v20, s10
	s_xor_b64 exec, exec, s[6:7]
	s_cbranch_execnz .LBB9_2060
.LBB9_10:
	s_or_b64 exec, exec, s[6:7]
	s_and_saveexec_b64 s[6:7], s[4:5]
	s_cbranch_execz .LBB9_12
.LBB9_11:
	v_bfe_u32 v20, v14, 8, 3
	v_ffbh_u32_e32 v23, v20
	v_min_u32_e32 v23, 32, v23
	v_lshrrev_b16_e32 v22, 3, v21
	v_subrev_u32_e32 v24, 28, v23
	v_and_b32_e32 v22, 15, v22
	v_lshlrev_b32_e32 v21, v24, v21
	v_sub_u32_e32 v23, 29, v23
	v_and_b32_e32 v21, 7, v21
	v_cmp_eq_u16_e32 vcc, 0, v22
	v_cndmask_b32_e32 v20, v20, v21, vcc
	v_cndmask_b32_e32 v21, v22, v23, vcc
	v_lshlrev_b32_e32 v22, 16, v14
	v_mov_b32_e32 v23, 0x3b800000
	v_lshlrev_b32_e32 v20, 20, v20
	v_and_b32_e32 v22, 0x80000000, v22
	v_lshl_add_u32 v21, v21, 23, v23
	v_or3_b32 v20, v22, v21, v20
.LBB9_12:
	s_or_b64 exec, exec, s[6:7]
	v_lshrrev_b32_e32 v21, 8, v10
	s_movk_i32 s4, 0x7f
	v_cmp_gt_i16_sdwa s[6:7], v21, s4 src0_sel:BYTE_0 src1_sel:DWORD
	s_mov_b64 s[4:5], 0
                                        ; implicit-def: $sgpr10
	s_and_saveexec_b64 s[8:9], s[6:7]
	s_xor_b64 s[6:7], exec, s[8:9]
	s_cbranch_execnz .LBB9_2061
; %bb.13:
	s_or_saveexec_b64 s[6:7], s[6:7]
	v_mov_b32_e32 v22, s10
	s_xor_b64 exec, exec, s[6:7]
	s_cbranch_execnz .LBB9_2064
.LBB9_14:
	s_or_b64 exec, exec, s[6:7]
	s_and_saveexec_b64 s[6:7], s[4:5]
	s_cbranch_execz .LBB9_16
.LBB9_15:
	v_bfe_u32 v22, v10, 8, 3
	v_ffbh_u32_e32 v24, v22
	v_min_u32_e32 v24, 32, v24
	v_lshrrev_b16_e32 v23, 3, v21
	v_subrev_u32_e32 v25, 28, v24
	v_and_b32_e32 v23, 15, v23
	v_lshlrev_b32_e32 v21, v25, v21
	v_sub_u32_e32 v24, 29, v24
	v_and_b32_e32 v21, 7, v21
	v_cmp_eq_u16_e32 vcc, 0, v23
	v_cndmask_b32_e32 v21, v22, v21, vcc
	v_cndmask_b32_e32 v22, v23, v24, vcc
	v_lshlrev_b32_e32 v23, 16, v10
	v_mov_b32_e32 v24, 0x3b800000
	v_lshlrev_b32_e32 v21, 20, v21
	v_and_b32_e32 v23, 0x80000000, v23
	v_lshl_add_u32 v22, v22, 23, v24
	v_or3_b32 v22, v23, v22, v21
.LBB9_16:
	s_or_b64 exec, exec, s[6:7]
	s_nop 0
	v_mfma_f32_16x16x4f32 a[0:3], v20, v22, a[0:3]
	s_movk_i32 s4, 0xff
	v_and_b32_sdwa v21, v14, s4 dst_sel:DWORD dst_unused:UNUSED_PAD src0_sel:WORD_1 src1_sel:DWORD
	s_movk_i32 s4, 0x7f
	v_cmp_lt_i16_e32 vcc, s4, v21
	s_mov_b64 s[4:5], 0
                                        ; implicit-def: $sgpr10
	s_and_saveexec_b64 s[6:7], vcc
	s_xor_b64 s[6:7], exec, s[6:7]
	s_cbranch_execnz .LBB9_2065
; %bb.17:
	s_or_saveexec_b64 s[6:7], s[6:7]
	v_mov_b32_e32 v20, s10
	s_xor_b64 exec, exec, s[6:7]
	s_cbranch_execnz .LBB9_2068
.LBB9_18:
	s_or_b64 exec, exec, s[6:7]
	s_and_saveexec_b64 s[6:7], s[4:5]
	s_cbranch_execz .LBB9_20
.LBB9_19:
	v_bfe_u32 v20, v14, 16, 3
	v_ffbh_u32_e32 v23, v20
	v_min_u32_e32 v23, 32, v23
	v_lshrrev_b32_e32 v21, 19, v14
	v_subrev_u32_e32 v24, 28, v23
	v_and_b32_e32 v21, 15, v21
	v_lshlrev_b32_sdwa v24, v24, v14 dst_sel:DWORD dst_unused:UNUSED_PAD src0_sel:DWORD src1_sel:WORD_1
	v_bfe_u32 v22, v14, 19, 4
	v_sub_u32_e32 v23, 29, v23
	v_and_b32_e32 v24, 7, v24
	v_cmp_eq_u16_e32 vcc, 0, v21
	v_cndmask_b32_e32 v20, v20, v24, vcc
	v_cndmask_b32_e32 v21, v22, v23, vcc
	v_lshlrev_b32_e32 v22, 8, v14
	v_mov_b32_e32 v23, 0x3b800000
	v_lshlrev_b32_e32 v20, 20, v20
	v_and_b32_e32 v22, 0x80000000, v22
	v_lshl_add_u32 v21, v21, 23, v23
	v_or3_b32 v20, v22, v21, v20
.LBB9_20:
	s_or_b64 exec, exec, s[6:7]
	s_movk_i32 s4, 0xff
	v_and_b32_sdwa v21, v10, s4 dst_sel:DWORD dst_unused:UNUSED_PAD src0_sel:WORD_1 src1_sel:DWORD
	s_movk_i32 s4, 0x7f
	v_cmp_lt_i16_e32 vcc, s4, v21
	s_mov_b64 s[4:5], 0
                                        ; implicit-def: $sgpr10
	s_and_saveexec_b64 s[6:7], vcc
	s_xor_b64 s[6:7], exec, s[6:7]
	s_cbranch_execnz .LBB9_2069
; %bb.21:
	s_or_saveexec_b64 s[6:7], s[6:7]
	v_mov_b32_e32 v22, s10
	s_xor_b64 exec, exec, s[6:7]
	s_cbranch_execnz .LBB9_2072
.LBB9_22:
	s_or_b64 exec, exec, s[6:7]
	s_and_saveexec_b64 s[6:7], s[4:5]
	s_cbranch_execz .LBB9_24
.LBB9_23:
	v_bfe_u32 v21, v10, 16, 3
	v_ffbh_u32_e32 v24, v21
	v_min_u32_e32 v24, 32, v24
	v_lshrrev_b32_e32 v22, 19, v10
	v_subrev_u32_e32 v25, 28, v24
	v_and_b32_e32 v22, 15, v22
	v_lshlrev_b32_sdwa v25, v25, v10 dst_sel:DWORD dst_unused:UNUSED_PAD src0_sel:DWORD src1_sel:WORD_1
	v_bfe_u32 v23, v10, 19, 4
	v_sub_u32_e32 v24, 29, v24
	v_and_b32_e32 v25, 7, v25
	v_cmp_eq_u16_e32 vcc, 0, v22
	v_cndmask_b32_e32 v21, v21, v25, vcc
	v_cndmask_b32_e32 v22, v23, v24, vcc
	v_lshlrev_b32_e32 v23, 8, v10
	v_mov_b32_e32 v24, 0x3b800000
	v_lshlrev_b32_e32 v21, 20, v21
	v_and_b32_e32 v23, 0x80000000, v23
	v_lshl_add_u32 v22, v22, 23, v24
	v_or3_b32 v22, v23, v22, v21
.LBB9_24:
	s_or_b64 exec, exec, s[6:7]
	s_nop 0
	v_mfma_f32_16x16x4f32 a[0:3], v20, v22, a[0:3]
	s_movk_i32 s4, 0x7f
	v_cmp_gt_i16_sdwa s[6:7], v14, s4 src0_sel:BYTE_3 src1_sel:DWORD
	s_mov_b64 s[4:5], 0
                                        ; implicit-def: $sgpr10
	s_and_saveexec_b64 s[8:9], s[6:7]
	s_xor_b64 s[6:7], exec, s[8:9]
	s_cbranch_execnz .LBB9_2073
; %bb.25:
	s_or_saveexec_b64 s[6:7], s[6:7]
	v_mov_b32_e32 v20, s10
	s_xor_b64 exec, exec, s[6:7]
	s_cbranch_execnz .LBB9_2076
.LBB9_26:
	s_or_b64 exec, exec, s[6:7]
	s_and_saveexec_b64 s[6:7], s[4:5]
	s_cbranch_execz .LBB9_28
.LBB9_27:
	v_bfe_u32 v20, v14, 24, 3
	v_ffbh_u32_e32 v24, v20
	v_min_u32_e32 v24, 32, v24
	v_lshrrev_b32_e32 v22, 27, v14
	v_subrev_u32_e32 v25, 28, v24
	v_and_b32_e32 v21, 0x80000000, v14
	v_and_b32_e32 v22, 15, v22
	v_bfe_u32 v23, v14, 27, 4
	v_lshlrev_b32_sdwa v14, v25, v14 dst_sel:DWORD dst_unused:UNUSED_PAD src0_sel:DWORD src1_sel:BYTE_3
	v_sub_u32_e32 v24, 29, v24
	v_and_b32_e32 v14, 7, v14
	v_cmp_eq_u16_e32 vcc, 0, v22
	v_cndmask_b32_e32 v14, v20, v14, vcc
	v_cndmask_b32_e32 v20, v23, v24, vcc
	v_mov_b32_e32 v22, 0x3b800000
	v_lshlrev_b32_e32 v14, 20, v14
	v_lshl_add_u32 v20, v20, 23, v22
	v_or3_b32 v20, v21, v20, v14
.LBB9_28:
	s_or_b64 exec, exec, s[6:7]
	s_movk_i32 s4, 0x7f
	v_cmp_gt_i16_sdwa s[6:7], v10, s4 src0_sel:BYTE_3 src1_sel:DWORD
	s_mov_b64 s[4:5], 0
                                        ; implicit-def: $sgpr10
	s_and_saveexec_b64 s[8:9], s[6:7]
	s_xor_b64 s[6:7], exec, s[8:9]
	s_cbranch_execnz .LBB9_2077
; %bb.29:
	s_or_saveexec_b64 s[6:7], s[6:7]
	v_mov_b32_e32 v14, s10
	s_xor_b64 exec, exec, s[6:7]
	s_cbranch_execnz .LBB9_2080
.LBB9_30:
	s_or_b64 exec, exec, s[6:7]
	s_and_saveexec_b64 s[6:7], s[4:5]
	s_cbranch_execz .LBB9_32
.LBB9_31:
	v_bfe_u32 v14, v10, 24, 3
	v_ffbh_u32_e32 v24, v14
	v_min_u32_e32 v24, 32, v24
	v_lshrrev_b32_e32 v22, 27, v10
	v_subrev_u32_e32 v25, 28, v24
	v_and_b32_e32 v21, 0x80000000, v10
	v_and_b32_e32 v22, 15, v22
	v_bfe_u32 v23, v10, 27, 4
	v_lshlrev_b32_sdwa v10, v25, v10 dst_sel:DWORD dst_unused:UNUSED_PAD src0_sel:DWORD src1_sel:BYTE_3
	v_sub_u32_e32 v24, 29, v24
	v_and_b32_e32 v10, 7, v10
	v_cmp_eq_u16_e32 vcc, 0, v22
	v_cndmask_b32_e32 v10, v14, v10, vcc
	v_cndmask_b32_e32 v14, v23, v24, vcc
	v_mov_b32_e32 v22, 0x3b800000
	v_lshlrev_b32_e32 v10, 20, v10
	v_lshl_add_u32 v14, v14, 23, v22
	v_or3_b32 v14, v21, v14, v10
.LBB9_32:
	s_or_b64 exec, exec, s[6:7]
	s_nop 0
	v_mfma_f32_16x16x4f32 a[0:3], v20, v14, a[0:3]
	s_movk_i32 s4, 0x7f
	v_cmp_gt_i16_sdwa s[6:7], v15, s4 src0_sel:BYTE_0 src1_sel:DWORD
	s_mov_b64 s[4:5], 0
                                        ; implicit-def: $sgpr10
	s_and_saveexec_b64 s[8:9], s[6:7]
	s_xor_b64 s[6:7], exec, s[8:9]
	s_cbranch_execnz .LBB9_2081
; %bb.33:
	s_or_saveexec_b64 s[6:7], s[6:7]
	v_mov_b32_e32 v10, s10
	s_xor_b64 exec, exec, s[6:7]
	s_cbranch_execnz .LBB9_2084
.LBB9_34:
	s_or_b64 exec, exec, s[6:7]
	s_and_saveexec_b64 s[6:7], s[4:5]
	s_cbranch_execz .LBB9_36
.LBB9_35:
	v_and_b32_e32 v10, 7, v15
	v_ffbh_u32_e32 v20, v10
	v_min_u32_e32 v20, 32, v20
	v_lshrrev_b16_e32 v14, 3, v15
	v_subrev_u32_e32 v21, 28, v20
	v_and_b32_e32 v14, 15, v14
	v_lshlrev_b32_e32 v21, v21, v15
	v_sub_u32_e32 v20, 29, v20
	v_and_b32_e32 v21, 7, v21
	v_cmp_eq_u16_e32 vcc, 0, v14
	v_cndmask_b32_e32 v10, v10, v21, vcc
	v_cndmask_b32_e32 v14, v14, v20, vcc
	v_lshlrev_b32_e32 v20, 24, v15
	v_mov_b32_e32 v21, 0x3b800000
	v_lshlrev_b32_e32 v10, 20, v10
	v_and_b32_e32 v20, 0x80000000, v20
	v_lshl_add_u32 v14, v14, 23, v21
	v_or3_b32 v10, v20, v14, v10
.LBB9_36:
	s_or_b64 exec, exec, s[6:7]
	s_movk_i32 s4, 0x7f
	v_cmp_gt_i16_sdwa s[6:7], v11, s4 src0_sel:BYTE_0 src1_sel:DWORD
	s_mov_b64 s[4:5], 0
                                        ; implicit-def: $sgpr10
	s_and_saveexec_b64 s[8:9], s[6:7]
	s_xor_b64 s[6:7], exec, s[8:9]
	s_cbranch_execnz .LBB9_2085
; %bb.37:
	s_or_saveexec_b64 s[6:7], s[6:7]
	v_mov_b32_e32 v14, s10
	s_xor_b64 exec, exec, s[6:7]
	s_cbranch_execnz .LBB9_2088
.LBB9_38:
	s_or_b64 exec, exec, s[6:7]
	s_and_saveexec_b64 s[6:7], s[4:5]
	s_cbranch_execz .LBB9_40
.LBB9_39:
	v_and_b32_e32 v14, 7, v11
	v_ffbh_u32_e32 v21, v14
	v_min_u32_e32 v21, 32, v21
	v_lshrrev_b16_e32 v20, 3, v11
	v_subrev_u32_e32 v22, 28, v21
	v_and_b32_e32 v20, 15, v20
	v_lshlrev_b32_e32 v22, v22, v11
	v_sub_u32_e32 v21, 29, v21
	v_and_b32_e32 v22, 7, v22
	v_cmp_eq_u16_e32 vcc, 0, v20
	v_cndmask_b32_e32 v14, v14, v22, vcc
	v_cndmask_b32_e32 v20, v20, v21, vcc
	v_lshlrev_b32_e32 v21, 24, v11
	v_mov_b32_e32 v22, 0x3b800000
	v_lshlrev_b32_e32 v14, 20, v14
	v_and_b32_e32 v21, 0x80000000, v21
	v_lshl_add_u32 v20, v20, 23, v22
	v_or3_b32 v14, v21, v20, v14
.LBB9_40:
	s_or_b64 exec, exec, s[6:7]
	s_nop 0
	v_mfma_f32_16x16x4f32 a[0:3], v10, v14, a[0:3]
	v_lshrrev_b32_e32 v14, 8, v15
	s_movk_i32 s4, 0x7f
	v_cmp_gt_i16_sdwa s[6:7], v14, s4 src0_sel:BYTE_0 src1_sel:DWORD
	s_mov_b64 s[4:5], 0
                                        ; implicit-def: $sgpr10
	s_and_saveexec_b64 s[8:9], s[6:7]
	s_xor_b64 s[6:7], exec, s[8:9]
	s_cbranch_execnz .LBB9_2089
; %bb.41:
	s_or_saveexec_b64 s[6:7], s[6:7]
	v_mov_b32_e32 v10, s10
	s_xor_b64 exec, exec, s[6:7]
	s_cbranch_execnz .LBB9_2092
.LBB9_42:
	s_or_b64 exec, exec, s[6:7]
	s_and_saveexec_b64 s[6:7], s[4:5]
	s_cbranch_execz .LBB9_44
.LBB9_43:
	v_bfe_u32 v10, v15, 8, 3
	v_ffbh_u32_e32 v21, v10
	v_min_u32_e32 v21, 32, v21
	v_lshrrev_b16_e32 v20, 3, v14
	v_subrev_u32_e32 v22, 28, v21
	v_and_b32_e32 v20, 15, v20
	v_lshlrev_b32_e32 v14, v22, v14
	v_sub_u32_e32 v21, 29, v21
	v_and_b32_e32 v14, 7, v14
	v_cmp_eq_u16_e32 vcc, 0, v20
	v_cndmask_b32_e32 v10, v10, v14, vcc
	v_cndmask_b32_e32 v14, v20, v21, vcc
	v_lshlrev_b32_e32 v20, 16, v15
	v_mov_b32_e32 v21, 0x3b800000
	v_lshlrev_b32_e32 v10, 20, v10
	v_and_b32_e32 v20, 0x80000000, v20
	v_lshl_add_u32 v14, v14, 23, v21
	v_or3_b32 v10, v20, v14, v10
.LBB9_44:
	s_or_b64 exec, exec, s[6:7]
	v_lshrrev_b32_e32 v14, 8, v11
	s_movk_i32 s4, 0x7f
	v_cmp_gt_i16_sdwa s[6:7], v14, s4 src0_sel:BYTE_0 src1_sel:DWORD
	s_mov_b64 s[4:5], 0
                                        ; implicit-def: $sgpr10
	s_and_saveexec_b64 s[8:9], s[6:7]
	s_xor_b64 s[6:7], exec, s[8:9]
	s_cbranch_execnz .LBB9_2093
; %bb.45:
	s_or_saveexec_b64 s[6:7], s[6:7]
	v_mov_b32_e32 v20, s10
	s_xor_b64 exec, exec, s[6:7]
	s_cbranch_execnz .LBB9_2096
.LBB9_46:
	s_or_b64 exec, exec, s[6:7]
	s_and_saveexec_b64 s[6:7], s[4:5]
	s_cbranch_execz .LBB9_48
.LBB9_47:
	v_bfe_u32 v20, v11, 8, 3
	v_ffbh_u32_e32 v22, v20
	v_min_u32_e32 v22, 32, v22
	v_lshrrev_b16_e32 v21, 3, v14
	v_subrev_u32_e32 v23, 28, v22
	v_and_b32_e32 v21, 15, v21
	v_lshlrev_b32_e32 v14, v23, v14
	v_sub_u32_e32 v22, 29, v22
	v_and_b32_e32 v14, 7, v14
	v_cmp_eq_u16_e32 vcc, 0, v21
	v_cndmask_b32_e32 v14, v20, v14, vcc
	v_cndmask_b32_e32 v20, v21, v22, vcc
	v_lshlrev_b32_e32 v21, 16, v11
	v_mov_b32_e32 v22, 0x3b800000
	v_lshlrev_b32_e32 v14, 20, v14
	v_and_b32_e32 v21, 0x80000000, v21
	v_lshl_add_u32 v20, v20, 23, v22
	v_or3_b32 v20, v21, v20, v14
.LBB9_48:
	s_or_b64 exec, exec, s[6:7]
	s_nop 0
	v_mfma_f32_16x16x4f32 a[0:3], v10, v20, a[0:3]
	s_movk_i32 s4, 0xff
	v_and_b32_sdwa v14, v15, s4 dst_sel:DWORD dst_unused:UNUSED_PAD src0_sel:WORD_1 src1_sel:DWORD
	s_movk_i32 s4, 0x7f
	v_cmp_lt_i16_e32 vcc, s4, v14
	s_mov_b64 s[4:5], 0
                                        ; implicit-def: $sgpr10
	s_and_saveexec_b64 s[6:7], vcc
	s_xor_b64 s[6:7], exec, s[6:7]
	s_cbranch_execnz .LBB9_2097
; %bb.49:
	s_or_saveexec_b64 s[6:7], s[6:7]
	v_mov_b32_e32 v10, s10
	s_xor_b64 exec, exec, s[6:7]
	s_cbranch_execnz .LBB9_2100
.LBB9_50:
	s_or_b64 exec, exec, s[6:7]
	s_and_saveexec_b64 s[6:7], s[4:5]
	s_cbranch_execz .LBB9_52
.LBB9_51:
	v_bfe_u32 v10, v15, 16, 3
	v_ffbh_u32_e32 v21, v10
	v_min_u32_e32 v21, 32, v21
	v_lshrrev_b32_e32 v14, 19, v15
	v_subrev_u32_e32 v22, 28, v21
	v_and_b32_e32 v14, 15, v14
	v_lshlrev_b32_sdwa v22, v22, v15 dst_sel:DWORD dst_unused:UNUSED_PAD src0_sel:DWORD src1_sel:WORD_1
	v_bfe_u32 v20, v15, 19, 4
	v_sub_u32_e32 v21, 29, v21
	v_and_b32_e32 v22, 7, v22
	v_cmp_eq_u16_e32 vcc, 0, v14
	v_cndmask_b32_e32 v10, v10, v22, vcc
	v_cndmask_b32_e32 v14, v20, v21, vcc
	v_lshlrev_b32_e32 v20, 8, v15
	v_mov_b32_e32 v21, 0x3b800000
	v_lshlrev_b32_e32 v10, 20, v10
	v_and_b32_e32 v20, 0x80000000, v20
	v_lshl_add_u32 v14, v14, 23, v21
	v_or3_b32 v10, v20, v14, v10
.LBB9_52:
	s_or_b64 exec, exec, s[6:7]
	s_movk_i32 s4, 0xff
	v_and_b32_sdwa v14, v11, s4 dst_sel:DWORD dst_unused:UNUSED_PAD src0_sel:WORD_1 src1_sel:DWORD
	s_movk_i32 s4, 0x7f
	v_cmp_lt_i16_e32 vcc, s4, v14
	s_mov_b64 s[4:5], 0
                                        ; implicit-def: $sgpr10
	s_and_saveexec_b64 s[6:7], vcc
	s_xor_b64 s[6:7], exec, s[6:7]
	s_cbranch_execnz .LBB9_2101
; %bb.53:
	s_or_saveexec_b64 s[6:7], s[6:7]
	v_mov_b32_e32 v20, s10
	s_xor_b64 exec, exec, s[6:7]
	s_cbranch_execnz .LBB9_2104
.LBB9_54:
	s_or_b64 exec, exec, s[6:7]
	s_and_saveexec_b64 s[6:7], s[4:5]
	s_cbranch_execz .LBB9_56
.LBB9_55:
	v_bfe_u32 v14, v11, 16, 3
	v_ffbh_u32_e32 v22, v14
	v_min_u32_e32 v22, 32, v22
	v_lshrrev_b32_e32 v20, 19, v11
	v_subrev_u32_e32 v23, 28, v22
	v_and_b32_e32 v20, 15, v20
	v_lshlrev_b32_sdwa v23, v23, v11 dst_sel:DWORD dst_unused:UNUSED_PAD src0_sel:DWORD src1_sel:WORD_1
	v_bfe_u32 v21, v11, 19, 4
	v_sub_u32_e32 v22, 29, v22
	v_and_b32_e32 v23, 7, v23
	v_cmp_eq_u16_e32 vcc, 0, v20
	v_cndmask_b32_e32 v14, v14, v23, vcc
	v_cndmask_b32_e32 v20, v21, v22, vcc
	v_lshlrev_b32_e32 v21, 8, v11
	v_mov_b32_e32 v22, 0x3b800000
	v_lshlrev_b32_e32 v14, 20, v14
	v_and_b32_e32 v21, 0x80000000, v21
	v_lshl_add_u32 v20, v20, 23, v22
	v_or3_b32 v20, v21, v20, v14
.LBB9_56:
	s_or_b64 exec, exec, s[6:7]
	s_nop 0
	v_mfma_f32_16x16x4f32 a[0:3], v10, v20, a[0:3]
	s_movk_i32 s4, 0x7f
	v_cmp_gt_i16_sdwa s[6:7], v15, s4 src0_sel:BYTE_3 src1_sel:DWORD
	s_mov_b64 s[4:5], 0
                                        ; implicit-def: $sgpr10
	s_and_saveexec_b64 s[8:9], s[6:7]
	s_xor_b64 s[6:7], exec, s[8:9]
	s_cbranch_execnz .LBB9_2105
; %bb.57:
	s_or_saveexec_b64 s[6:7], s[6:7]
	v_mov_b32_e32 v10, s10
	s_xor_b64 exec, exec, s[6:7]
	s_cbranch_execnz .LBB9_2108
.LBB9_58:
	s_or_b64 exec, exec, s[6:7]
	s_and_saveexec_b64 s[6:7], s[4:5]
	s_cbranch_execz .LBB9_60
.LBB9_59:
	v_bfe_u32 v10, v15, 24, 3
	v_ffbh_u32_e32 v22, v10
	v_min_u32_e32 v22, 32, v22
	v_lshrrev_b32_e32 v20, 27, v15
	v_subrev_u32_e32 v23, 28, v22
	v_and_b32_e32 v14, 0x80000000, v15
	v_and_b32_e32 v20, 15, v20
	v_bfe_u32 v21, v15, 27, 4
	v_lshlrev_b32_sdwa v15, v23, v15 dst_sel:DWORD dst_unused:UNUSED_PAD src0_sel:DWORD src1_sel:BYTE_3
	v_sub_u32_e32 v22, 29, v22
	v_and_b32_e32 v15, 7, v15
	v_cmp_eq_u16_e32 vcc, 0, v20
	v_cndmask_b32_e32 v10, v10, v15, vcc
	v_cndmask_b32_e32 v15, v21, v22, vcc
	v_mov_b32_e32 v20, 0x3b800000
	v_lshlrev_b32_e32 v10, 20, v10
	v_lshl_add_u32 v15, v15, 23, v20
	v_or3_b32 v10, v14, v15, v10
.LBB9_60:
	s_or_b64 exec, exec, s[6:7]
	s_movk_i32 s4, 0x7f
	v_cmp_gt_i16_sdwa s[6:7], v11, s4 src0_sel:BYTE_3 src1_sel:DWORD
	s_mov_b64 s[4:5], 0
                                        ; implicit-def: $sgpr10
	s_and_saveexec_b64 s[8:9], s[6:7]
	s_xor_b64 s[6:7], exec, s[8:9]
	s_cbranch_execnz .LBB9_2109
; %bb.61:
	s_or_saveexec_b64 s[6:7], s[6:7]
	v_mov_b32_e32 v14, s10
	s_xor_b64 exec, exec, s[6:7]
	s_cbranch_execnz .LBB9_2112
.LBB9_62:
	s_or_b64 exec, exec, s[6:7]
	s_and_saveexec_b64 s[6:7], s[4:5]
	s_cbranch_execz .LBB9_64
.LBB9_63:
	v_bfe_u32 v14, v11, 24, 3
	v_ffbh_u32_e32 v22, v14
	v_min_u32_e32 v22, 32, v22
	v_lshrrev_b32_e32 v20, 27, v11
	v_subrev_u32_e32 v23, 28, v22
	v_and_b32_e32 v15, 0x80000000, v11
	v_and_b32_e32 v20, 15, v20
	v_bfe_u32 v21, v11, 27, 4
	v_lshlrev_b32_sdwa v11, v23, v11 dst_sel:DWORD dst_unused:UNUSED_PAD src0_sel:DWORD src1_sel:BYTE_3
	v_sub_u32_e32 v22, 29, v22
	v_and_b32_e32 v11, 7, v11
	v_cmp_eq_u16_e32 vcc, 0, v20
	v_cndmask_b32_e32 v11, v14, v11, vcc
	v_cndmask_b32_e32 v14, v21, v22, vcc
	v_mov_b32_e32 v20, 0x3b800000
	v_lshlrev_b32_e32 v11, 20, v11
	v_lshl_add_u32 v14, v14, 23, v20
	v_or3_b32 v14, v15, v14, v11
.LBB9_64:
	s_or_b64 exec, exec, s[6:7]
	s_nop 0
	v_mfma_f32_16x16x4f32 a[0:3], v10, v14, a[0:3]
	s_movk_i32 s4, 0x7f
	v_cmp_gt_i16_sdwa s[6:7], v16, s4 src0_sel:BYTE_0 src1_sel:DWORD
	s_mov_b64 s[4:5], 0
                                        ; implicit-def: $sgpr10
	s_and_saveexec_b64 s[8:9], s[6:7]
	s_xor_b64 s[6:7], exec, s[8:9]
	s_cbranch_execnz .LBB9_2113
; %bb.65:
	s_or_saveexec_b64 s[6:7], s[6:7]
	v_mov_b32_e32 v10, s10
	s_xor_b64 exec, exec, s[6:7]
	s_cbranch_execnz .LBB9_2116
.LBB9_66:
	s_or_b64 exec, exec, s[6:7]
	s_and_saveexec_b64 s[6:7], s[4:5]
	s_cbranch_execz .LBB9_68
.LBB9_67:
	v_and_b32_e32 v10, 7, v16
	v_ffbh_u32_e32 v14, v10
	v_min_u32_e32 v14, 32, v14
	v_lshrrev_b16_e32 v11, 3, v16
	v_subrev_u32_e32 v15, 28, v14
	v_and_b32_e32 v11, 15, v11
	v_lshlrev_b32_e32 v15, v15, v16
	v_sub_u32_e32 v14, 29, v14
	v_and_b32_e32 v15, 7, v15
	v_cmp_eq_u16_e32 vcc, 0, v11
	v_cndmask_b32_e32 v10, v10, v15, vcc
	v_cndmask_b32_e32 v11, v11, v14, vcc
	v_lshlrev_b32_e32 v14, 24, v16
	v_mov_b32_e32 v15, 0x3b800000
	v_lshlrev_b32_e32 v10, 20, v10
	v_and_b32_e32 v14, 0x80000000, v14
	v_lshl_add_u32 v11, v11, 23, v15
	v_or3_b32 v10, v14, v11, v10
.LBB9_68:
	s_or_b64 exec, exec, s[6:7]
	s_movk_i32 s4, 0x7f
	v_cmp_gt_i16_sdwa s[6:7], v12, s4 src0_sel:BYTE_0 src1_sel:DWORD
	s_mov_b64 s[4:5], 0
                                        ; implicit-def: $sgpr10
	s_and_saveexec_b64 s[8:9], s[6:7]
	s_xor_b64 s[6:7], exec, s[8:9]
	s_cbranch_execnz .LBB9_2117
; %bb.69:
	s_or_saveexec_b64 s[6:7], s[6:7]
	v_mov_b32_e32 v11, s10
	s_xor_b64 exec, exec, s[6:7]
	s_cbranch_execnz .LBB9_2120
.LBB9_70:
	s_or_b64 exec, exec, s[6:7]
	s_and_saveexec_b64 s[6:7], s[4:5]
	s_cbranch_execz .LBB9_72
.LBB9_71:
	v_and_b32_e32 v11, 7, v12
	v_ffbh_u32_e32 v15, v11
	v_min_u32_e32 v15, 32, v15
	v_lshrrev_b16_e32 v14, 3, v12
	v_subrev_u32_e32 v20, 28, v15
	v_and_b32_e32 v14, 15, v14
	v_lshlrev_b32_e32 v20, v20, v12
	v_sub_u32_e32 v15, 29, v15
	v_and_b32_e32 v20, 7, v20
	v_cmp_eq_u16_e32 vcc, 0, v14
	v_cndmask_b32_e32 v11, v11, v20, vcc
	v_cndmask_b32_e32 v14, v14, v15, vcc
	v_lshlrev_b32_e32 v15, 24, v12
	v_mov_b32_e32 v20, 0x3b800000
	v_lshlrev_b32_e32 v11, 20, v11
	v_and_b32_e32 v15, 0x80000000, v15
	v_lshl_add_u32 v14, v14, 23, v20
	v_or3_b32 v11, v15, v14, v11
.LBB9_72:
	s_or_b64 exec, exec, s[6:7]
	s_nop 0
	v_mfma_f32_16x16x4f32 a[0:3], v10, v11, a[0:3]
	v_lshrrev_b32_e32 v11, 8, v16
	s_movk_i32 s4, 0x7f
	v_cmp_gt_i16_sdwa s[6:7], v11, s4 src0_sel:BYTE_0 src1_sel:DWORD
	s_mov_b64 s[4:5], 0
                                        ; implicit-def: $sgpr10
	s_and_saveexec_b64 s[8:9], s[6:7]
	s_xor_b64 s[6:7], exec, s[8:9]
	s_cbranch_execnz .LBB9_2121
; %bb.73:
	s_or_saveexec_b64 s[6:7], s[6:7]
	v_mov_b32_e32 v10, s10
	s_xor_b64 exec, exec, s[6:7]
	s_cbranch_execnz .LBB9_2124
.LBB9_74:
	s_or_b64 exec, exec, s[6:7]
	s_and_saveexec_b64 s[6:7], s[4:5]
	s_cbranch_execz .LBB9_76
.LBB9_75:
	v_bfe_u32 v10, v16, 8, 3
	v_ffbh_u32_e32 v15, v10
	v_min_u32_e32 v15, 32, v15
	v_lshrrev_b16_e32 v14, 3, v11
	v_subrev_u32_e32 v20, 28, v15
	v_and_b32_e32 v14, 15, v14
	v_lshlrev_b32_e32 v11, v20, v11
	v_sub_u32_e32 v15, 29, v15
	v_and_b32_e32 v11, 7, v11
	v_cmp_eq_u16_e32 vcc, 0, v14
	v_cndmask_b32_e32 v10, v10, v11, vcc
	v_cndmask_b32_e32 v11, v14, v15, vcc
	v_lshlrev_b32_e32 v14, 16, v16
	v_mov_b32_e32 v15, 0x3b800000
	v_lshlrev_b32_e32 v10, 20, v10
	v_and_b32_e32 v14, 0x80000000, v14
	v_lshl_add_u32 v11, v11, 23, v15
	v_or3_b32 v10, v14, v11, v10
.LBB9_76:
	s_or_b64 exec, exec, s[6:7]
	v_lshrrev_b32_e32 v11, 8, v12
	s_movk_i32 s4, 0x7f
	v_cmp_gt_i16_sdwa s[6:7], v11, s4 src0_sel:BYTE_0 src1_sel:DWORD
	s_mov_b64 s[4:5], 0
                                        ; implicit-def: $sgpr10
	s_and_saveexec_b64 s[8:9], s[6:7]
	s_xor_b64 s[6:7], exec, s[8:9]
	s_cbranch_execnz .LBB9_2125
; %bb.77:
	s_or_saveexec_b64 s[6:7], s[6:7]
	v_mov_b32_e32 v14, s10
	s_xor_b64 exec, exec, s[6:7]
	s_cbranch_execnz .LBB9_2128
.LBB9_78:
	s_or_b64 exec, exec, s[6:7]
	s_and_saveexec_b64 s[6:7], s[4:5]
	s_cbranch_execz .LBB9_80
.LBB9_79:
	v_bfe_u32 v14, v12, 8, 3
	v_ffbh_u32_e32 v20, v14
	v_min_u32_e32 v20, 32, v20
	v_lshrrev_b16_e32 v15, 3, v11
	v_subrev_u32_e32 v21, 28, v20
	v_and_b32_e32 v15, 15, v15
	v_lshlrev_b32_e32 v11, v21, v11
	v_sub_u32_e32 v20, 29, v20
	v_and_b32_e32 v11, 7, v11
	v_cmp_eq_u16_e32 vcc, 0, v15
	v_cndmask_b32_e32 v11, v14, v11, vcc
	v_cndmask_b32_e32 v14, v15, v20, vcc
	v_lshlrev_b32_e32 v15, 16, v12
	v_mov_b32_e32 v20, 0x3b800000
	v_lshlrev_b32_e32 v11, 20, v11
	v_and_b32_e32 v15, 0x80000000, v15
	v_lshl_add_u32 v14, v14, 23, v20
	v_or3_b32 v14, v15, v14, v11
.LBB9_80:
	s_or_b64 exec, exec, s[6:7]
	s_nop 0
	v_mfma_f32_16x16x4f32 a[0:3], v10, v14, a[0:3]
	s_movk_i32 s4, 0xff
	v_and_b32_sdwa v11, v16, s4 dst_sel:DWORD dst_unused:UNUSED_PAD src0_sel:WORD_1 src1_sel:DWORD
	s_movk_i32 s4, 0x7f
	v_cmp_lt_i16_e32 vcc, s4, v11
	s_mov_b64 s[4:5], 0
                                        ; implicit-def: $sgpr10
	s_and_saveexec_b64 s[6:7], vcc
	s_xor_b64 s[6:7], exec, s[6:7]
	s_cbranch_execnz .LBB9_2129
; %bb.81:
	s_or_saveexec_b64 s[6:7], s[6:7]
	v_mov_b32_e32 v10, s10
	s_xor_b64 exec, exec, s[6:7]
	s_cbranch_execnz .LBB9_2132
.LBB9_82:
	s_or_b64 exec, exec, s[6:7]
	s_and_saveexec_b64 s[6:7], s[4:5]
	s_cbranch_execz .LBB9_84
.LBB9_83:
	v_bfe_u32 v10, v16, 16, 3
	v_ffbh_u32_e32 v15, v10
	v_min_u32_e32 v15, 32, v15
	v_lshrrev_b32_e32 v11, 19, v16
	v_subrev_u32_e32 v20, 28, v15
	v_and_b32_e32 v11, 15, v11
	v_lshlrev_b32_sdwa v20, v20, v16 dst_sel:DWORD dst_unused:UNUSED_PAD src0_sel:DWORD src1_sel:WORD_1
	v_bfe_u32 v14, v16, 19, 4
	v_sub_u32_e32 v15, 29, v15
	v_and_b32_e32 v20, 7, v20
	v_cmp_eq_u16_e32 vcc, 0, v11
	v_cndmask_b32_e32 v10, v10, v20, vcc
	v_cndmask_b32_e32 v11, v14, v15, vcc
	v_lshlrev_b32_e32 v14, 8, v16
	v_mov_b32_e32 v15, 0x3b800000
	v_lshlrev_b32_e32 v10, 20, v10
	v_and_b32_e32 v14, 0x80000000, v14
	v_lshl_add_u32 v11, v11, 23, v15
	v_or3_b32 v10, v14, v11, v10
.LBB9_84:
	s_or_b64 exec, exec, s[6:7]
	s_movk_i32 s4, 0xff
	v_and_b32_sdwa v11, v12, s4 dst_sel:DWORD dst_unused:UNUSED_PAD src0_sel:WORD_1 src1_sel:DWORD
	s_movk_i32 s4, 0x7f
	v_cmp_lt_i16_e32 vcc, s4, v11
	s_mov_b64 s[4:5], 0
                                        ; implicit-def: $sgpr10
	s_and_saveexec_b64 s[6:7], vcc
	s_xor_b64 s[6:7], exec, s[6:7]
	s_cbranch_execnz .LBB9_2133
; %bb.85:
	s_or_saveexec_b64 s[6:7], s[6:7]
	v_mov_b32_e32 v14, s10
	s_xor_b64 exec, exec, s[6:7]
	s_cbranch_execnz .LBB9_2136
.LBB9_86:
	s_or_b64 exec, exec, s[6:7]
	s_and_saveexec_b64 s[6:7], s[4:5]
	s_cbranch_execz .LBB9_88
.LBB9_87:
	v_bfe_u32 v11, v12, 16, 3
	v_ffbh_u32_e32 v20, v11
	v_min_u32_e32 v20, 32, v20
	v_lshrrev_b32_e32 v14, 19, v12
	v_subrev_u32_e32 v21, 28, v20
	v_and_b32_e32 v14, 15, v14
	v_lshlrev_b32_sdwa v21, v21, v12 dst_sel:DWORD dst_unused:UNUSED_PAD src0_sel:DWORD src1_sel:WORD_1
	v_bfe_u32 v15, v12, 19, 4
	v_sub_u32_e32 v20, 29, v20
	v_and_b32_e32 v21, 7, v21
	v_cmp_eq_u16_e32 vcc, 0, v14
	v_cndmask_b32_e32 v11, v11, v21, vcc
	v_cndmask_b32_e32 v14, v15, v20, vcc
	v_lshlrev_b32_e32 v15, 8, v12
	v_mov_b32_e32 v20, 0x3b800000
	v_lshlrev_b32_e32 v11, 20, v11
	v_and_b32_e32 v15, 0x80000000, v15
	v_lshl_add_u32 v14, v14, 23, v20
	v_or3_b32 v14, v15, v14, v11
.LBB9_88:
	s_or_b64 exec, exec, s[6:7]
	s_nop 0
	v_mfma_f32_16x16x4f32 a[0:3], v10, v14, a[0:3]
	s_movk_i32 s4, 0x7f
	v_cmp_gt_i16_sdwa s[6:7], v16, s4 src0_sel:BYTE_3 src1_sel:DWORD
	s_mov_b64 s[4:5], 0
                                        ; implicit-def: $sgpr10
	s_and_saveexec_b64 s[8:9], s[6:7]
	s_xor_b64 s[6:7], exec, s[8:9]
	s_cbranch_execnz .LBB9_2137
; %bb.89:
	s_or_saveexec_b64 s[6:7], s[6:7]
	v_mov_b32_e32 v10, s10
	s_xor_b64 exec, exec, s[6:7]
	s_cbranch_execnz .LBB9_2140
.LBB9_90:
	s_or_b64 exec, exec, s[6:7]
	s_and_saveexec_b64 s[6:7], s[4:5]
	s_cbranch_execz .LBB9_92
.LBB9_91:
	v_bfe_u32 v10, v16, 24, 3
	v_ffbh_u32_e32 v20, v10
	v_min_u32_e32 v20, 32, v20
	v_lshrrev_b32_e32 v14, 27, v16
	v_subrev_u32_e32 v21, 28, v20
	v_and_b32_e32 v11, 0x80000000, v16
	v_and_b32_e32 v14, 15, v14
	v_bfe_u32 v15, v16, 27, 4
	v_lshlrev_b32_sdwa v16, v21, v16 dst_sel:DWORD dst_unused:UNUSED_PAD src0_sel:DWORD src1_sel:BYTE_3
	v_sub_u32_e32 v20, 29, v20
	v_and_b32_e32 v16, 7, v16
	v_cmp_eq_u16_e32 vcc, 0, v14
	v_cndmask_b32_e32 v10, v10, v16, vcc
	v_cndmask_b32_e32 v14, v15, v20, vcc
	v_mov_b32_e32 v15, 0x3b800000
	v_lshlrev_b32_e32 v10, 20, v10
	v_lshl_add_u32 v14, v14, 23, v15
	v_or3_b32 v10, v11, v14, v10
.LBB9_92:
	s_or_b64 exec, exec, s[6:7]
	s_movk_i32 s4, 0x7f
	v_cmp_gt_i16_sdwa s[6:7], v12, s4 src0_sel:BYTE_3 src1_sel:DWORD
	s_mov_b64 s[4:5], 0
                                        ; implicit-def: $sgpr10
	s_and_saveexec_b64 s[8:9], s[6:7]
	s_xor_b64 s[6:7], exec, s[8:9]
	s_cbranch_execnz .LBB9_2141
; %bb.93:
	s_or_saveexec_b64 s[6:7], s[6:7]
	v_mov_b32_e32 v11, s10
	s_xor_b64 exec, exec, s[6:7]
	s_cbranch_execnz .LBB9_2144
.LBB9_94:
	s_or_b64 exec, exec, s[6:7]
	s_and_saveexec_b64 s[6:7], s[4:5]
	s_cbranch_execz .LBB9_96
.LBB9_95:
	v_bfe_u32 v11, v12, 24, 3
	v_ffbh_u32_e32 v20, v11
	v_min_u32_e32 v20, 32, v20
	v_lshrrev_b32_e32 v15, 27, v12
	v_subrev_u32_e32 v21, 28, v20
	v_and_b32_e32 v14, 0x80000000, v12
	v_and_b32_e32 v15, 15, v15
	v_bfe_u32 v16, v12, 27, 4
	v_lshlrev_b32_sdwa v12, v21, v12 dst_sel:DWORD dst_unused:UNUSED_PAD src0_sel:DWORD src1_sel:BYTE_3
	v_sub_u32_e32 v20, 29, v20
	v_and_b32_e32 v12, 7, v12
	v_cmp_eq_u16_e32 vcc, 0, v15
	v_cndmask_b32_e32 v11, v11, v12, vcc
	v_cndmask_b32_e32 v12, v16, v20, vcc
	v_mov_b32_e32 v15, 0x3b800000
	v_lshlrev_b32_e32 v11, 20, v11
	v_lshl_add_u32 v12, v12, 23, v15
	v_or3_b32 v11, v14, v12, v11
.LBB9_96:
	s_or_b64 exec, exec, s[6:7]
	s_nop 0
	v_mfma_f32_16x16x4f32 a[0:3], v10, v11, a[0:3]
	s_movk_i32 s4, 0x7f
	v_cmp_gt_i16_sdwa s[6:7], v17, s4 src0_sel:BYTE_0 src1_sel:DWORD
	s_mov_b64 s[4:5], 0
                                        ; implicit-def: $sgpr10
	s_and_saveexec_b64 s[8:9], s[6:7]
	s_xor_b64 s[6:7], exec, s[8:9]
	s_cbranch_execnz .LBB9_2145
; %bb.97:
	s_or_saveexec_b64 s[6:7], s[6:7]
	v_mov_b32_e32 v10, s10
	s_xor_b64 exec, exec, s[6:7]
	s_cbranch_execnz .LBB9_2148
.LBB9_98:
	s_or_b64 exec, exec, s[6:7]
	s_and_saveexec_b64 s[6:7], s[4:5]
	s_cbranch_execz .LBB9_100
.LBB9_99:
	v_and_b32_e32 v10, 7, v17
	v_ffbh_u32_e32 v12, v10
	v_min_u32_e32 v12, 32, v12
	v_lshrrev_b16_e32 v11, 3, v17
	v_subrev_u32_e32 v14, 28, v12
	v_and_b32_e32 v11, 15, v11
	v_lshlrev_b32_e32 v14, v14, v17
	v_sub_u32_e32 v12, 29, v12
	v_and_b32_e32 v14, 7, v14
	v_cmp_eq_u16_e32 vcc, 0, v11
	v_cndmask_b32_e32 v10, v10, v14, vcc
	v_cndmask_b32_e32 v11, v11, v12, vcc
	v_lshlrev_b32_e32 v12, 24, v17
	v_mov_b32_e32 v14, 0x3b800000
	v_lshlrev_b32_e32 v10, 20, v10
	v_and_b32_e32 v12, 0x80000000, v12
	v_lshl_add_u32 v11, v11, 23, v14
	v_or3_b32 v10, v12, v11, v10
.LBB9_100:
	s_or_b64 exec, exec, s[6:7]
	s_movk_i32 s4, 0x7f
	v_cmp_gt_i16_sdwa s[6:7], v13, s4 src0_sel:BYTE_0 src1_sel:DWORD
	s_mov_b64 s[4:5], 0
                                        ; implicit-def: $sgpr10
	s_and_saveexec_b64 s[8:9], s[6:7]
	s_xor_b64 s[6:7], exec, s[8:9]
	s_cbranch_execnz .LBB9_2149
; %bb.101:
	s_or_saveexec_b64 s[6:7], s[6:7]
	v_mov_b32_e32 v11, s10
	s_xor_b64 exec, exec, s[6:7]
	s_cbranch_execnz .LBB9_2152
.LBB9_102:
	s_or_b64 exec, exec, s[6:7]
	s_and_saveexec_b64 s[6:7], s[4:5]
	s_cbranch_execz .LBB9_104
.LBB9_103:
	v_and_b32_e32 v11, 7, v13
	v_ffbh_u32_e32 v14, v11
	v_min_u32_e32 v14, 32, v14
	v_lshrrev_b16_e32 v12, 3, v13
	v_subrev_u32_e32 v15, 28, v14
	v_and_b32_e32 v12, 15, v12
	v_lshlrev_b32_e32 v15, v15, v13
	v_sub_u32_e32 v14, 29, v14
	v_and_b32_e32 v15, 7, v15
	v_cmp_eq_u16_e32 vcc, 0, v12
	v_cndmask_b32_e32 v11, v11, v15, vcc
	v_cndmask_b32_e32 v12, v12, v14, vcc
	v_lshlrev_b32_e32 v14, 24, v13
	v_mov_b32_e32 v15, 0x3b800000
	v_lshlrev_b32_e32 v11, 20, v11
	v_and_b32_e32 v14, 0x80000000, v14
	v_lshl_add_u32 v12, v12, 23, v15
	v_or3_b32 v11, v14, v12, v11
.LBB9_104:
	s_or_b64 exec, exec, s[6:7]
	s_nop 0
	v_mfma_f32_16x16x4f32 a[0:3], v10, v11, a[0:3]
	v_lshrrev_b32_e32 v11, 8, v17
	s_movk_i32 s4, 0x7f
	v_cmp_gt_i16_sdwa s[6:7], v11, s4 src0_sel:BYTE_0 src1_sel:DWORD
	s_mov_b64 s[4:5], 0
                                        ; implicit-def: $sgpr10
	s_and_saveexec_b64 s[8:9], s[6:7]
	s_xor_b64 s[6:7], exec, s[8:9]
	s_cbranch_execnz .LBB9_2153
; %bb.105:
	s_or_saveexec_b64 s[6:7], s[6:7]
	v_mov_b32_e32 v10, s10
	s_xor_b64 exec, exec, s[6:7]
	s_cbranch_execnz .LBB9_2156
.LBB9_106:
	s_or_b64 exec, exec, s[6:7]
	s_and_saveexec_b64 s[6:7], s[4:5]
	s_cbranch_execz .LBB9_108
.LBB9_107:
	v_bfe_u32 v10, v17, 8, 3
	v_ffbh_u32_e32 v14, v10
	v_min_u32_e32 v14, 32, v14
	v_lshrrev_b16_e32 v12, 3, v11
	v_subrev_u32_e32 v15, 28, v14
	v_and_b32_e32 v12, 15, v12
	v_lshlrev_b32_e32 v11, v15, v11
	v_sub_u32_e32 v14, 29, v14
	v_and_b32_e32 v11, 7, v11
	v_cmp_eq_u16_e32 vcc, 0, v12
	v_cndmask_b32_e32 v10, v10, v11, vcc
	v_cndmask_b32_e32 v11, v12, v14, vcc
	v_lshlrev_b32_e32 v12, 16, v17
	v_mov_b32_e32 v14, 0x3b800000
	v_lshlrev_b32_e32 v10, 20, v10
	v_and_b32_e32 v12, 0x80000000, v12
	v_lshl_add_u32 v11, v11, 23, v14
	v_or3_b32 v10, v12, v11, v10
.LBB9_108:
	s_or_b64 exec, exec, s[6:7]
	v_lshrrev_b32_e32 v11, 8, v13
	s_movk_i32 s4, 0x7f
	v_cmp_gt_i16_sdwa s[6:7], v11, s4 src0_sel:BYTE_0 src1_sel:DWORD
	s_mov_b64 s[4:5], 0
                                        ; implicit-def: $sgpr10
	s_and_saveexec_b64 s[8:9], s[6:7]
	s_xor_b64 s[6:7], exec, s[8:9]
	s_cbranch_execnz .LBB9_2157
; %bb.109:
	s_or_saveexec_b64 s[6:7], s[6:7]
	v_mov_b32_e32 v12, s10
	s_xor_b64 exec, exec, s[6:7]
	s_cbranch_execnz .LBB9_2160
.LBB9_110:
	s_or_b64 exec, exec, s[6:7]
	s_and_saveexec_b64 s[6:7], s[4:5]
	s_cbranch_execz .LBB9_112
.LBB9_111:
	v_bfe_u32 v12, v13, 8, 3
	v_ffbh_u32_e32 v15, v12
	v_min_u32_e32 v15, 32, v15
	v_lshrrev_b16_e32 v14, 3, v11
	v_subrev_u32_e32 v16, 28, v15
	v_and_b32_e32 v14, 15, v14
	v_lshlrev_b32_e32 v11, v16, v11
	v_sub_u32_e32 v15, 29, v15
	v_and_b32_e32 v11, 7, v11
	v_cmp_eq_u16_e32 vcc, 0, v14
	v_cndmask_b32_e32 v11, v12, v11, vcc
	v_cndmask_b32_e32 v12, v14, v15, vcc
	v_lshlrev_b32_e32 v14, 16, v13
	v_mov_b32_e32 v15, 0x3b800000
	v_lshlrev_b32_e32 v11, 20, v11
	v_and_b32_e32 v14, 0x80000000, v14
	v_lshl_add_u32 v12, v12, 23, v15
	v_or3_b32 v12, v14, v12, v11
.LBB9_112:
	s_or_b64 exec, exec, s[6:7]
	s_nop 0
	v_mfma_f32_16x16x4f32 a[0:3], v10, v12, a[0:3]
	s_movk_i32 s4, 0xff
	v_and_b32_sdwa v11, v17, s4 dst_sel:DWORD dst_unused:UNUSED_PAD src0_sel:WORD_1 src1_sel:DWORD
	s_movk_i32 s4, 0x7f
	v_cmp_lt_i16_e32 vcc, s4, v11
	s_mov_b64 s[4:5], 0
                                        ; implicit-def: $sgpr10
	s_and_saveexec_b64 s[6:7], vcc
	s_xor_b64 s[6:7], exec, s[6:7]
	s_cbranch_execnz .LBB9_2161
; %bb.113:
	s_or_saveexec_b64 s[6:7], s[6:7]
	v_mov_b32_e32 v10, s10
	s_xor_b64 exec, exec, s[6:7]
	s_cbranch_execnz .LBB9_2164
.LBB9_114:
	s_or_b64 exec, exec, s[6:7]
	s_and_saveexec_b64 s[6:7], s[4:5]
	s_cbranch_execz .LBB9_116
.LBB9_115:
	v_bfe_u32 v10, v17, 16, 3
	v_ffbh_u32_e32 v14, v10
	v_min_u32_e32 v14, 32, v14
	v_lshrrev_b32_e32 v11, 19, v17
	v_subrev_u32_e32 v15, 28, v14
	v_and_b32_e32 v11, 15, v11
	v_lshlrev_b32_sdwa v15, v15, v17 dst_sel:DWORD dst_unused:UNUSED_PAD src0_sel:DWORD src1_sel:WORD_1
	v_bfe_u32 v12, v17, 19, 4
	v_sub_u32_e32 v14, 29, v14
	v_and_b32_e32 v15, 7, v15
	v_cmp_eq_u16_e32 vcc, 0, v11
	v_cndmask_b32_e32 v10, v10, v15, vcc
	v_cndmask_b32_e32 v11, v12, v14, vcc
	v_lshlrev_b32_e32 v12, 8, v17
	v_mov_b32_e32 v14, 0x3b800000
	v_lshlrev_b32_e32 v10, 20, v10
	v_and_b32_e32 v12, 0x80000000, v12
	v_lshl_add_u32 v11, v11, 23, v14
	v_or3_b32 v10, v12, v11, v10
.LBB9_116:
	s_or_b64 exec, exec, s[6:7]
	s_movk_i32 s4, 0xff
	v_and_b32_sdwa v11, v13, s4 dst_sel:DWORD dst_unused:UNUSED_PAD src0_sel:WORD_1 src1_sel:DWORD
	s_movk_i32 s4, 0x7f
	v_cmp_lt_i16_e32 vcc, s4, v11
	s_mov_b64 s[4:5], 0
                                        ; implicit-def: $sgpr10
	s_and_saveexec_b64 s[6:7], vcc
	s_xor_b64 s[6:7], exec, s[6:7]
	s_cbranch_execnz .LBB9_2165
; %bb.117:
	s_or_saveexec_b64 s[6:7], s[6:7]
	v_mov_b32_e32 v12, s10
	s_xor_b64 exec, exec, s[6:7]
	s_cbranch_execnz .LBB9_2168
.LBB9_118:
	s_or_b64 exec, exec, s[6:7]
	s_and_saveexec_b64 s[6:7], s[4:5]
	s_cbranch_execz .LBB9_120
.LBB9_119:
	v_bfe_u32 v11, v13, 16, 3
	v_ffbh_u32_e32 v15, v11
	v_min_u32_e32 v15, 32, v15
	v_lshrrev_b32_e32 v12, 19, v13
	v_subrev_u32_e32 v16, 28, v15
	v_and_b32_e32 v12, 15, v12
	v_lshlrev_b32_sdwa v16, v16, v13 dst_sel:DWORD dst_unused:UNUSED_PAD src0_sel:DWORD src1_sel:WORD_1
	v_bfe_u32 v14, v13, 19, 4
	v_sub_u32_e32 v15, 29, v15
	v_and_b32_e32 v16, 7, v16
	v_cmp_eq_u16_e32 vcc, 0, v12
	v_cndmask_b32_e32 v11, v11, v16, vcc
	v_cndmask_b32_e32 v12, v14, v15, vcc
	v_lshlrev_b32_e32 v14, 8, v13
	v_mov_b32_e32 v15, 0x3b800000
	v_lshlrev_b32_e32 v11, 20, v11
	v_and_b32_e32 v14, 0x80000000, v14
	v_lshl_add_u32 v12, v12, 23, v15
	v_or3_b32 v12, v14, v12, v11
.LBB9_120:
	s_or_b64 exec, exec, s[6:7]
	s_nop 0
	v_mfma_f32_16x16x4f32 a[0:3], v10, v12, a[0:3]
	s_movk_i32 s4, 0x7f
	v_cmp_gt_i16_sdwa s[6:7], v17, s4 src0_sel:BYTE_3 src1_sel:DWORD
	s_mov_b64 s[4:5], 0
                                        ; implicit-def: $sgpr10
	s_and_saveexec_b64 s[8:9], s[6:7]
	s_xor_b64 s[6:7], exec, s[8:9]
	s_cbranch_execnz .LBB9_2169
; %bb.121:
	s_or_saveexec_b64 s[6:7], s[6:7]
	v_mov_b32_e32 v10, s10
	s_xor_b64 exec, exec, s[6:7]
	s_cbranch_execnz .LBB9_2172
.LBB9_122:
	s_or_b64 exec, exec, s[6:7]
	s_and_saveexec_b64 s[6:7], s[4:5]
	s_cbranch_execz .LBB9_124
.LBB9_123:
	v_bfe_u32 v10, v17, 24, 3
	v_ffbh_u32_e32 v15, v10
	v_min_u32_e32 v15, 32, v15
	v_lshrrev_b32_e32 v12, 27, v17
	v_subrev_u32_e32 v16, 28, v15
	v_and_b32_e32 v12, 15, v12
	v_lshlrev_b32_sdwa v16, v16, v17 dst_sel:DWORD dst_unused:UNUSED_PAD src0_sel:DWORD src1_sel:BYTE_3
	v_bfe_u32 v14, v17, 27, 4
	v_sub_u32_e32 v15, 29, v15
	v_and_b32_e32 v16, 7, v16
	v_cmp_eq_u16_e32 vcc, 0, v12
	v_cndmask_b32_e32 v10, v10, v16, vcc
	v_cndmask_b32_e32 v12, v14, v15, vcc
	v_mov_b32_e32 v14, 0x3b800000
	v_and_b32_e32 v11, 0x80000000, v17
	v_lshlrev_b32_e32 v10, 20, v10
	v_lshl_add_u32 v12, v12, 23, v14
	v_or3_b32 v10, v11, v12, v10
.LBB9_124:
	s_or_b64 exec, exec, s[6:7]
	s_movk_i32 s4, 0x7f
	v_cmp_gt_i16_sdwa s[6:7], v13, s4 src0_sel:BYTE_3 src1_sel:DWORD
	s_mov_b64 s[4:5], 0
                                        ; implicit-def: $sgpr10
	s_and_saveexec_b64 s[8:9], s[6:7]
	s_xor_b64 s[6:7], exec, s[8:9]
	s_cbranch_execnz .LBB9_2173
; %bb.125:
	s_or_saveexec_b64 s[6:7], s[6:7]
	v_mov_b32_e32 v11, s10
	s_xor_b64 exec, exec, s[6:7]
	s_cbranch_execnz .LBB9_2176
.LBB9_126:
	s_or_b64 exec, exec, s[6:7]
	s_and_saveexec_b64 s[6:7], s[4:5]
	s_cbranch_execz .LBB9_128
.LBB9_127:
	v_bfe_u32 v11, v13, 24, 3
	v_ffbh_u32_e32 v16, v11
	v_min_u32_e32 v16, 32, v16
	v_lshrrev_b32_e32 v14, 27, v13
	v_subrev_u32_e32 v17, 28, v16
	v_and_b32_e32 v12, 0x80000000, v13
	v_and_b32_e32 v14, 15, v14
	v_bfe_u32 v15, v13, 27, 4
	v_lshlrev_b32_sdwa v13, v17, v13 dst_sel:DWORD dst_unused:UNUSED_PAD src0_sel:DWORD src1_sel:BYTE_3
	v_sub_u32_e32 v16, 29, v16
	v_and_b32_e32 v13, 7, v13
	v_cmp_eq_u16_e32 vcc, 0, v14
	v_cndmask_b32_e32 v11, v11, v13, vcc
	v_cndmask_b32_e32 v13, v15, v16, vcc
	v_mov_b32_e32 v14, 0x3b800000
	v_lshlrev_b32_e32 v11, 20, v11
	v_lshl_add_u32 v13, v13, 23, v14
	v_or3_b32 v11, v12, v13, v11
.LBB9_128:
	s_or_b64 exec, exec, s[6:7]
	s_nop 0
	v_mfma_f32_16x16x4f32 a[0:3], v10, v11, a[0:3]
	s_movk_i32 s4, 0x7f
	v_cmp_gt_i16_sdwa s[6:7], v6, s4 src0_sel:BYTE_0 src1_sel:DWORD
	s_mov_b64 s[4:5], 0
                                        ; implicit-def: $sgpr10
	s_and_saveexec_b64 s[8:9], s[6:7]
	s_xor_b64 s[6:7], exec, s[8:9]
	s_cbranch_execnz .LBB9_2177
; %bb.129:
	s_or_saveexec_b64 s[6:7], s[6:7]
	v_mov_b32_e32 v10, s10
	s_xor_b64 exec, exec, s[6:7]
	s_cbranch_execnz .LBB9_2180
.LBB9_130:
	s_or_b64 exec, exec, s[6:7]
	s_and_saveexec_b64 s[6:7], s[4:5]
	s_cbranch_execz .LBB9_132
.LBB9_131:
	v_and_b32_e32 v10, 7, v6
	v_ffbh_u32_e32 v12, v10
	v_min_u32_e32 v12, 32, v12
	v_lshrrev_b16_e32 v11, 3, v6
	v_subrev_u32_e32 v13, 28, v12
	v_and_b32_e32 v11, 15, v11
	v_lshlrev_b32_e32 v13, v13, v6
	v_sub_u32_e32 v12, 29, v12
	v_and_b32_e32 v13, 7, v13
	v_cmp_eq_u16_e32 vcc, 0, v11
	v_cndmask_b32_e32 v10, v10, v13, vcc
	v_cndmask_b32_e32 v11, v11, v12, vcc
	v_lshlrev_b32_e32 v12, 24, v6
	v_mov_b32_e32 v13, 0x3b800000
	v_lshlrev_b32_e32 v10, 20, v10
	v_and_b32_e32 v12, 0x80000000, v12
	v_lshl_add_u32 v11, v11, 23, v13
	v_or3_b32 v10, v12, v11, v10
.LBB9_132:
	s_or_b64 exec, exec, s[6:7]
	s_movk_i32 s4, 0x7f
	v_cmp_gt_i16_sdwa s[6:7], v2, s4 src0_sel:BYTE_0 src1_sel:DWORD
	s_mov_b64 s[4:5], 0
                                        ; implicit-def: $sgpr10
	s_and_saveexec_b64 s[8:9], s[6:7]
	s_xor_b64 s[6:7], exec, s[8:9]
	s_cbranch_execnz .LBB9_2181
; %bb.133:
	s_or_saveexec_b64 s[6:7], s[6:7]
	v_mov_b32_e32 v11, s10
	s_xor_b64 exec, exec, s[6:7]
	s_cbranch_execnz .LBB9_2184
.LBB9_134:
	s_or_b64 exec, exec, s[6:7]
	s_and_saveexec_b64 s[6:7], s[4:5]
	s_cbranch_execz .LBB9_136
.LBB9_135:
	v_and_b32_e32 v11, 7, v2
	v_ffbh_u32_e32 v13, v11
	v_min_u32_e32 v13, 32, v13
	v_lshrrev_b16_e32 v12, 3, v2
	v_subrev_u32_e32 v14, 28, v13
	v_and_b32_e32 v12, 15, v12
	v_lshlrev_b32_e32 v14, v14, v2
	v_sub_u32_e32 v13, 29, v13
	v_and_b32_e32 v14, 7, v14
	v_cmp_eq_u16_e32 vcc, 0, v12
	v_cndmask_b32_e32 v11, v11, v14, vcc
	v_cndmask_b32_e32 v12, v12, v13, vcc
	v_lshlrev_b32_e32 v13, 24, v2
	v_mov_b32_e32 v14, 0x3b800000
	v_lshlrev_b32_e32 v11, 20, v11
	v_and_b32_e32 v13, 0x80000000, v13
	v_lshl_add_u32 v12, v12, 23, v14
	v_or3_b32 v11, v13, v12, v11
.LBB9_136:
	s_or_b64 exec, exec, s[6:7]
	s_nop 0
	v_mfma_f32_16x16x4f32 a[0:3], v10, v11, a[0:3]
	v_lshrrev_b32_e32 v11, 8, v6
	s_movk_i32 s4, 0x7f
	v_cmp_gt_i16_sdwa s[6:7], v11, s4 src0_sel:BYTE_0 src1_sel:DWORD
	s_mov_b64 s[4:5], 0
                                        ; implicit-def: $sgpr10
	s_and_saveexec_b64 s[8:9], s[6:7]
	s_xor_b64 s[6:7], exec, s[8:9]
	s_cbranch_execnz .LBB9_2185
; %bb.137:
	s_or_saveexec_b64 s[6:7], s[6:7]
	v_mov_b32_e32 v10, s10
	s_xor_b64 exec, exec, s[6:7]
	s_cbranch_execnz .LBB9_2188
.LBB9_138:
	s_or_b64 exec, exec, s[6:7]
	s_and_saveexec_b64 s[6:7], s[4:5]
	s_cbranch_execz .LBB9_140
.LBB9_139:
	v_bfe_u32 v10, v6, 8, 3
	v_ffbh_u32_e32 v13, v10
	v_min_u32_e32 v13, 32, v13
	v_lshrrev_b16_e32 v12, 3, v11
	v_subrev_u32_e32 v14, 28, v13
	v_and_b32_e32 v12, 15, v12
	v_lshlrev_b32_e32 v11, v14, v11
	v_sub_u32_e32 v13, 29, v13
	v_and_b32_e32 v11, 7, v11
	v_cmp_eq_u16_e32 vcc, 0, v12
	v_cndmask_b32_e32 v10, v10, v11, vcc
	v_cndmask_b32_e32 v11, v12, v13, vcc
	v_lshlrev_b32_e32 v12, 16, v6
	v_mov_b32_e32 v13, 0x3b800000
	v_lshlrev_b32_e32 v10, 20, v10
	v_and_b32_e32 v12, 0x80000000, v12
	v_lshl_add_u32 v11, v11, 23, v13
	v_or3_b32 v10, v12, v11, v10
.LBB9_140:
	s_or_b64 exec, exec, s[6:7]
	v_lshrrev_b32_e32 v11, 8, v2
	s_movk_i32 s4, 0x7f
	v_cmp_gt_i16_sdwa s[6:7], v11, s4 src0_sel:BYTE_0 src1_sel:DWORD
	s_mov_b64 s[4:5], 0
                                        ; implicit-def: $sgpr10
	s_and_saveexec_b64 s[8:9], s[6:7]
	s_xor_b64 s[6:7], exec, s[8:9]
	s_cbranch_execnz .LBB9_2189
; %bb.141:
	s_or_saveexec_b64 s[6:7], s[6:7]
	v_mov_b32_e32 v12, s10
	s_xor_b64 exec, exec, s[6:7]
	s_cbranch_execnz .LBB9_2192
.LBB9_142:
	s_or_b64 exec, exec, s[6:7]
	s_and_saveexec_b64 s[6:7], s[4:5]
	s_cbranch_execz .LBB9_144
.LBB9_143:
	v_bfe_u32 v12, v2, 8, 3
	v_ffbh_u32_e32 v14, v12
	v_min_u32_e32 v14, 32, v14
	v_lshrrev_b16_e32 v13, 3, v11
	v_subrev_u32_e32 v15, 28, v14
	v_and_b32_e32 v13, 15, v13
	v_lshlrev_b32_e32 v11, v15, v11
	v_sub_u32_e32 v14, 29, v14
	v_and_b32_e32 v11, 7, v11
	v_cmp_eq_u16_e32 vcc, 0, v13
	v_cndmask_b32_e32 v11, v12, v11, vcc
	v_cndmask_b32_e32 v12, v13, v14, vcc
	v_lshlrev_b32_e32 v13, 16, v2
	v_mov_b32_e32 v14, 0x3b800000
	v_lshlrev_b32_e32 v11, 20, v11
	v_and_b32_e32 v13, 0x80000000, v13
	v_lshl_add_u32 v12, v12, 23, v14
	v_or3_b32 v12, v13, v12, v11
.LBB9_144:
	s_or_b64 exec, exec, s[6:7]
	s_nop 0
	v_mfma_f32_16x16x4f32 a[0:3], v10, v12, a[0:3]
	s_movk_i32 s4, 0xff
	v_and_b32_sdwa v11, v6, s4 dst_sel:DWORD dst_unused:UNUSED_PAD src0_sel:WORD_1 src1_sel:DWORD
	s_movk_i32 s4, 0x7f
	v_cmp_lt_i16_e32 vcc, s4, v11
	s_mov_b64 s[4:5], 0
                                        ; implicit-def: $sgpr10
	s_and_saveexec_b64 s[6:7], vcc
	s_xor_b64 s[6:7], exec, s[6:7]
	s_cbranch_execnz .LBB9_2193
; %bb.145:
	s_or_saveexec_b64 s[6:7], s[6:7]
	v_mov_b32_e32 v10, s10
	s_xor_b64 exec, exec, s[6:7]
	s_cbranch_execnz .LBB9_2196
.LBB9_146:
	s_or_b64 exec, exec, s[6:7]
	s_and_saveexec_b64 s[6:7], s[4:5]
	s_cbranch_execz .LBB9_148
.LBB9_147:
	v_bfe_u32 v10, v6, 16, 3
	v_ffbh_u32_e32 v13, v10
	v_min_u32_e32 v13, 32, v13
	v_lshrrev_b32_e32 v11, 19, v6
	v_subrev_u32_e32 v14, 28, v13
	v_and_b32_e32 v11, 15, v11
	v_lshlrev_b32_sdwa v14, v14, v6 dst_sel:DWORD dst_unused:UNUSED_PAD src0_sel:DWORD src1_sel:WORD_1
	v_bfe_u32 v12, v6, 19, 4
	v_sub_u32_e32 v13, 29, v13
	v_and_b32_e32 v14, 7, v14
	v_cmp_eq_u16_e32 vcc, 0, v11
	v_cndmask_b32_e32 v10, v10, v14, vcc
	v_cndmask_b32_e32 v11, v12, v13, vcc
	v_lshlrev_b32_e32 v12, 8, v6
	v_mov_b32_e32 v13, 0x3b800000
	v_lshlrev_b32_e32 v10, 20, v10
	v_and_b32_e32 v12, 0x80000000, v12
	v_lshl_add_u32 v11, v11, 23, v13
	v_or3_b32 v10, v12, v11, v10
.LBB9_148:
	s_or_b64 exec, exec, s[6:7]
	s_movk_i32 s4, 0xff
	v_and_b32_sdwa v11, v2, s4 dst_sel:DWORD dst_unused:UNUSED_PAD src0_sel:WORD_1 src1_sel:DWORD
	s_movk_i32 s4, 0x7f
	v_cmp_lt_i16_e32 vcc, s4, v11
	s_mov_b64 s[4:5], 0
                                        ; implicit-def: $sgpr10
	s_and_saveexec_b64 s[6:7], vcc
	s_xor_b64 s[6:7], exec, s[6:7]
	s_cbranch_execnz .LBB9_2197
; %bb.149:
	s_or_saveexec_b64 s[6:7], s[6:7]
	v_mov_b32_e32 v12, s10
	s_xor_b64 exec, exec, s[6:7]
	s_cbranch_execnz .LBB9_2200
.LBB9_150:
	s_or_b64 exec, exec, s[6:7]
	s_and_saveexec_b64 s[6:7], s[4:5]
	s_cbranch_execz .LBB9_152
.LBB9_151:
	v_bfe_u32 v11, v2, 16, 3
	v_ffbh_u32_e32 v14, v11
	v_min_u32_e32 v14, 32, v14
	v_lshrrev_b32_e32 v12, 19, v2
	v_subrev_u32_e32 v15, 28, v14
	v_and_b32_e32 v12, 15, v12
	v_lshlrev_b32_sdwa v15, v15, v2 dst_sel:DWORD dst_unused:UNUSED_PAD src0_sel:DWORD src1_sel:WORD_1
	v_bfe_u32 v13, v2, 19, 4
	v_sub_u32_e32 v14, 29, v14
	v_and_b32_e32 v15, 7, v15
	v_cmp_eq_u16_e32 vcc, 0, v12
	v_cndmask_b32_e32 v11, v11, v15, vcc
	v_cndmask_b32_e32 v12, v13, v14, vcc
	v_lshlrev_b32_e32 v13, 8, v2
	v_mov_b32_e32 v14, 0x3b800000
	v_lshlrev_b32_e32 v11, 20, v11
	v_and_b32_e32 v13, 0x80000000, v13
	v_lshl_add_u32 v12, v12, 23, v14
	v_or3_b32 v12, v13, v12, v11
.LBB9_152:
	s_or_b64 exec, exec, s[6:7]
	s_nop 0
	v_mfma_f32_16x16x4f32 a[0:3], v10, v12, a[0:3]
	s_movk_i32 s4, 0x7f
	v_cmp_gt_i16_sdwa s[6:7], v6, s4 src0_sel:BYTE_3 src1_sel:DWORD
	s_mov_b64 s[4:5], 0
                                        ; implicit-def: $sgpr10
	s_and_saveexec_b64 s[8:9], s[6:7]
	s_xor_b64 s[6:7], exec, s[8:9]
	s_cbranch_execnz .LBB9_2201
; %bb.153:
	s_or_saveexec_b64 s[6:7], s[6:7]
	v_mov_b32_e32 v10, s10
	s_xor_b64 exec, exec, s[6:7]
	s_cbranch_execnz .LBB9_2204
.LBB9_154:
	s_or_b64 exec, exec, s[6:7]
	s_and_saveexec_b64 s[6:7], s[4:5]
	s_cbranch_execz .LBB9_156
.LBB9_155:
	v_bfe_u32 v10, v6, 24, 3
	v_ffbh_u32_e32 v14, v10
	v_min_u32_e32 v14, 32, v14
	v_lshrrev_b32_e32 v12, 27, v6
	v_subrev_u32_e32 v15, 28, v14
	v_and_b32_e32 v11, 0x80000000, v6
	v_and_b32_e32 v12, 15, v12
	v_bfe_u32 v13, v6, 27, 4
	v_lshlrev_b32_sdwa v6, v15, v6 dst_sel:DWORD dst_unused:UNUSED_PAD src0_sel:DWORD src1_sel:BYTE_3
	v_sub_u32_e32 v14, 29, v14
	v_and_b32_e32 v6, 7, v6
	v_cmp_eq_u16_e32 vcc, 0, v12
	v_cndmask_b32_e32 v6, v10, v6, vcc
	v_cndmask_b32_e32 v10, v13, v14, vcc
	v_mov_b32_e32 v12, 0x3b800000
	v_lshlrev_b32_e32 v6, 20, v6
	v_lshl_add_u32 v10, v10, 23, v12
	v_or3_b32 v10, v11, v10, v6
.LBB9_156:
	s_or_b64 exec, exec, s[6:7]
	s_movk_i32 s4, 0x7f
	v_cmp_gt_i16_sdwa s[6:7], v2, s4 src0_sel:BYTE_3 src1_sel:DWORD
	s_mov_b64 s[4:5], 0
                                        ; implicit-def: $sgpr10
	s_and_saveexec_b64 s[8:9], s[6:7]
	s_xor_b64 s[6:7], exec, s[8:9]
	s_cbranch_execnz .LBB9_2205
; %bb.157:
	s_or_saveexec_b64 s[6:7], s[6:7]
	v_mov_b32_e32 v6, s10
	s_xor_b64 exec, exec, s[6:7]
	s_cbranch_execnz .LBB9_2208
.LBB9_158:
	s_or_b64 exec, exec, s[6:7]
	s_and_saveexec_b64 s[6:7], s[4:5]
	s_cbranch_execz .LBB9_160
.LBB9_159:
	v_bfe_u32 v6, v2, 24, 3
	v_ffbh_u32_e32 v14, v6
	v_min_u32_e32 v14, 32, v14
	v_lshrrev_b32_e32 v12, 27, v2
	v_subrev_u32_e32 v15, 28, v14
	v_and_b32_e32 v11, 0x80000000, v2
	v_and_b32_e32 v12, 15, v12
	v_bfe_u32 v13, v2, 27, 4
	v_lshlrev_b32_sdwa v2, v15, v2 dst_sel:DWORD dst_unused:UNUSED_PAD src0_sel:DWORD src1_sel:BYTE_3
	v_sub_u32_e32 v14, 29, v14
	v_and_b32_e32 v2, 7, v2
	v_cmp_eq_u16_e32 vcc, 0, v12
	v_cndmask_b32_e32 v2, v6, v2, vcc
	v_cndmask_b32_e32 v6, v13, v14, vcc
	v_mov_b32_e32 v12, 0x3b800000
	v_lshlrev_b32_e32 v2, 20, v2
	v_lshl_add_u32 v6, v6, 23, v12
	v_or3_b32 v6, v11, v6, v2
.LBB9_160:
	s_or_b64 exec, exec, s[6:7]
	s_nop 0
	v_mfma_f32_16x16x4f32 a[0:3], v10, v6, a[0:3]
	s_movk_i32 s4, 0x7f
	v_cmp_gt_i16_sdwa s[6:7], v7, s4 src0_sel:BYTE_0 src1_sel:DWORD
	s_mov_b64 s[4:5], 0
                                        ; implicit-def: $sgpr10
	s_and_saveexec_b64 s[8:9], s[6:7]
	s_xor_b64 s[6:7], exec, s[8:9]
	s_cbranch_execnz .LBB9_2209
; %bb.161:
	s_or_saveexec_b64 s[6:7], s[6:7]
	v_mov_b32_e32 v2, s10
	s_xor_b64 exec, exec, s[6:7]
	s_cbranch_execnz .LBB9_2212
.LBB9_162:
	s_or_b64 exec, exec, s[6:7]
	s_and_saveexec_b64 s[6:7], s[4:5]
	s_cbranch_execz .LBB9_164
.LBB9_163:
	v_and_b32_e32 v2, 7, v7
	v_ffbh_u32_e32 v10, v2
	v_min_u32_e32 v10, 32, v10
	v_lshrrev_b16_e32 v6, 3, v7
	v_subrev_u32_e32 v11, 28, v10
	v_and_b32_e32 v6, 15, v6
	v_lshlrev_b32_e32 v11, v11, v7
	v_sub_u32_e32 v10, 29, v10
	v_and_b32_e32 v11, 7, v11
	v_cmp_eq_u16_e32 vcc, 0, v6
	v_cndmask_b32_e32 v2, v2, v11, vcc
	v_cndmask_b32_e32 v6, v6, v10, vcc
	v_lshlrev_b32_e32 v10, 24, v7
	v_mov_b32_e32 v11, 0x3b800000
	v_lshlrev_b32_e32 v2, 20, v2
	v_and_b32_e32 v10, 0x80000000, v10
	v_lshl_add_u32 v6, v6, 23, v11
	v_or3_b32 v2, v10, v6, v2
.LBB9_164:
	s_or_b64 exec, exec, s[6:7]
	s_movk_i32 s4, 0x7f
	v_cmp_gt_i16_sdwa s[6:7], v3, s4 src0_sel:BYTE_0 src1_sel:DWORD
	s_mov_b64 s[4:5], 0
                                        ; implicit-def: $sgpr10
	s_and_saveexec_b64 s[8:9], s[6:7]
	s_xor_b64 s[6:7], exec, s[8:9]
	s_cbranch_execnz .LBB9_2213
; %bb.165:
	s_or_saveexec_b64 s[6:7], s[6:7]
	v_mov_b32_e32 v6, s10
	s_xor_b64 exec, exec, s[6:7]
	s_cbranch_execnz .LBB9_2216
.LBB9_166:
	s_or_b64 exec, exec, s[6:7]
	s_and_saveexec_b64 s[6:7], s[4:5]
	s_cbranch_execz .LBB9_168
.LBB9_167:
	v_and_b32_e32 v6, 7, v3
	v_ffbh_u32_e32 v11, v6
	v_min_u32_e32 v11, 32, v11
	v_lshrrev_b16_e32 v10, 3, v3
	v_subrev_u32_e32 v12, 28, v11
	v_and_b32_e32 v10, 15, v10
	v_lshlrev_b32_e32 v12, v12, v3
	v_sub_u32_e32 v11, 29, v11
	v_and_b32_e32 v12, 7, v12
	v_cmp_eq_u16_e32 vcc, 0, v10
	v_cndmask_b32_e32 v6, v6, v12, vcc
	v_cndmask_b32_e32 v10, v10, v11, vcc
	v_lshlrev_b32_e32 v11, 24, v3
	v_mov_b32_e32 v12, 0x3b800000
	v_lshlrev_b32_e32 v6, 20, v6
	v_and_b32_e32 v11, 0x80000000, v11
	v_lshl_add_u32 v10, v10, 23, v12
	v_or3_b32 v6, v11, v10, v6
.LBB9_168:
	s_or_b64 exec, exec, s[6:7]
	s_nop 0
	v_mfma_f32_16x16x4f32 a[0:3], v2, v6, a[0:3]
	v_lshrrev_b32_e32 v6, 8, v7
	s_movk_i32 s4, 0x7f
	v_cmp_gt_i16_sdwa s[6:7], v6, s4 src0_sel:BYTE_0 src1_sel:DWORD
	s_mov_b64 s[4:5], 0
                                        ; implicit-def: $sgpr10
	s_and_saveexec_b64 s[8:9], s[6:7]
	s_xor_b64 s[6:7], exec, s[8:9]
	s_cbranch_execnz .LBB9_2217
; %bb.169:
	s_or_saveexec_b64 s[6:7], s[6:7]
	v_mov_b32_e32 v2, s10
	s_xor_b64 exec, exec, s[6:7]
	s_cbranch_execnz .LBB9_2220
.LBB9_170:
	s_or_b64 exec, exec, s[6:7]
	s_and_saveexec_b64 s[6:7], s[4:5]
	s_cbranch_execz .LBB9_172
.LBB9_171:
	v_bfe_u32 v2, v7, 8, 3
	v_ffbh_u32_e32 v11, v2
	v_min_u32_e32 v11, 32, v11
	v_lshrrev_b16_e32 v10, 3, v6
	v_subrev_u32_e32 v12, 28, v11
	v_and_b32_e32 v10, 15, v10
	v_lshlrev_b32_e32 v6, v12, v6
	v_sub_u32_e32 v11, 29, v11
	v_and_b32_e32 v6, 7, v6
	v_cmp_eq_u16_e32 vcc, 0, v10
	v_cndmask_b32_e32 v2, v2, v6, vcc
	v_cndmask_b32_e32 v6, v10, v11, vcc
	v_lshlrev_b32_e32 v10, 16, v7
	v_mov_b32_e32 v11, 0x3b800000
	v_lshlrev_b32_e32 v2, 20, v2
	v_and_b32_e32 v10, 0x80000000, v10
	v_lshl_add_u32 v6, v6, 23, v11
	v_or3_b32 v2, v10, v6, v2
.LBB9_172:
	s_or_b64 exec, exec, s[6:7]
	v_lshrrev_b32_e32 v6, 8, v3
	s_movk_i32 s4, 0x7f
	v_cmp_gt_i16_sdwa s[6:7], v6, s4 src0_sel:BYTE_0 src1_sel:DWORD
	s_mov_b64 s[4:5], 0
                                        ; implicit-def: $sgpr10
	s_and_saveexec_b64 s[8:9], s[6:7]
	s_xor_b64 s[6:7], exec, s[8:9]
	s_cbranch_execnz .LBB9_2221
; %bb.173:
	s_or_saveexec_b64 s[6:7], s[6:7]
	v_mov_b32_e32 v10, s10
	s_xor_b64 exec, exec, s[6:7]
	s_cbranch_execnz .LBB9_2224
.LBB9_174:
	s_or_b64 exec, exec, s[6:7]
	s_and_saveexec_b64 s[6:7], s[4:5]
	s_cbranch_execz .LBB9_176
.LBB9_175:
	v_bfe_u32 v10, v3, 8, 3
	v_ffbh_u32_e32 v12, v10
	v_min_u32_e32 v12, 32, v12
	v_lshrrev_b16_e32 v11, 3, v6
	v_subrev_u32_e32 v13, 28, v12
	v_and_b32_e32 v11, 15, v11
	v_lshlrev_b32_e32 v6, v13, v6
	v_sub_u32_e32 v12, 29, v12
	v_and_b32_e32 v6, 7, v6
	v_cmp_eq_u16_e32 vcc, 0, v11
	v_cndmask_b32_e32 v6, v10, v6, vcc
	v_cndmask_b32_e32 v10, v11, v12, vcc
	v_lshlrev_b32_e32 v11, 16, v3
	v_mov_b32_e32 v12, 0x3b800000
	v_lshlrev_b32_e32 v6, 20, v6
	v_and_b32_e32 v11, 0x80000000, v11
	v_lshl_add_u32 v10, v10, 23, v12
	v_or3_b32 v10, v11, v10, v6
.LBB9_176:
	s_or_b64 exec, exec, s[6:7]
	s_nop 0
	v_mfma_f32_16x16x4f32 a[0:3], v2, v10, a[0:3]
	s_movk_i32 s4, 0xff
	v_and_b32_sdwa v6, v7, s4 dst_sel:DWORD dst_unused:UNUSED_PAD src0_sel:WORD_1 src1_sel:DWORD
	s_movk_i32 s4, 0x7f
	v_cmp_lt_i16_e32 vcc, s4, v6
	s_mov_b64 s[4:5], 0
                                        ; implicit-def: $sgpr10
	s_and_saveexec_b64 s[6:7], vcc
	s_xor_b64 s[6:7], exec, s[6:7]
	s_cbranch_execnz .LBB9_2225
; %bb.177:
	s_or_saveexec_b64 s[6:7], s[6:7]
	v_mov_b32_e32 v2, s10
	s_xor_b64 exec, exec, s[6:7]
	s_cbranch_execnz .LBB9_2228
.LBB9_178:
	s_or_b64 exec, exec, s[6:7]
	s_and_saveexec_b64 s[6:7], s[4:5]
	s_cbranch_execz .LBB9_180
.LBB9_179:
	v_bfe_u32 v2, v7, 16, 3
	v_ffbh_u32_e32 v11, v2
	v_min_u32_e32 v11, 32, v11
	v_lshrrev_b32_e32 v6, 19, v7
	v_subrev_u32_e32 v12, 28, v11
	v_and_b32_e32 v6, 15, v6
	v_lshlrev_b32_sdwa v12, v12, v7 dst_sel:DWORD dst_unused:UNUSED_PAD src0_sel:DWORD src1_sel:WORD_1
	v_bfe_u32 v10, v7, 19, 4
	v_sub_u32_e32 v11, 29, v11
	v_and_b32_e32 v12, 7, v12
	v_cmp_eq_u16_e32 vcc, 0, v6
	v_cndmask_b32_e32 v2, v2, v12, vcc
	v_cndmask_b32_e32 v6, v10, v11, vcc
	v_lshlrev_b32_e32 v10, 8, v7
	v_mov_b32_e32 v11, 0x3b800000
	v_lshlrev_b32_e32 v2, 20, v2
	v_and_b32_e32 v10, 0x80000000, v10
	v_lshl_add_u32 v6, v6, 23, v11
	v_or3_b32 v2, v10, v6, v2
.LBB9_180:
	s_or_b64 exec, exec, s[6:7]
	s_movk_i32 s4, 0xff
	v_and_b32_sdwa v6, v3, s4 dst_sel:DWORD dst_unused:UNUSED_PAD src0_sel:WORD_1 src1_sel:DWORD
	s_movk_i32 s4, 0x7f
	v_cmp_lt_i16_e32 vcc, s4, v6
	s_mov_b64 s[4:5], 0
                                        ; implicit-def: $sgpr10
	s_and_saveexec_b64 s[6:7], vcc
	s_xor_b64 s[6:7], exec, s[6:7]
	s_cbranch_execnz .LBB9_2229
; %bb.181:
	s_or_saveexec_b64 s[6:7], s[6:7]
	v_mov_b32_e32 v10, s10
	s_xor_b64 exec, exec, s[6:7]
	s_cbranch_execnz .LBB9_2232
.LBB9_182:
	s_or_b64 exec, exec, s[6:7]
	s_and_saveexec_b64 s[6:7], s[4:5]
	s_cbranch_execz .LBB9_184
.LBB9_183:
	v_bfe_u32 v6, v3, 16, 3
	v_ffbh_u32_e32 v12, v6
	v_min_u32_e32 v12, 32, v12
	v_lshrrev_b32_e32 v10, 19, v3
	v_subrev_u32_e32 v13, 28, v12
	v_and_b32_e32 v10, 15, v10
	v_lshlrev_b32_sdwa v13, v13, v3 dst_sel:DWORD dst_unused:UNUSED_PAD src0_sel:DWORD src1_sel:WORD_1
	v_bfe_u32 v11, v3, 19, 4
	v_sub_u32_e32 v12, 29, v12
	v_and_b32_e32 v13, 7, v13
	v_cmp_eq_u16_e32 vcc, 0, v10
	v_cndmask_b32_e32 v6, v6, v13, vcc
	v_cndmask_b32_e32 v10, v11, v12, vcc
	v_lshlrev_b32_e32 v11, 8, v3
	v_mov_b32_e32 v12, 0x3b800000
	v_lshlrev_b32_e32 v6, 20, v6
	v_and_b32_e32 v11, 0x80000000, v11
	v_lshl_add_u32 v10, v10, 23, v12
	v_or3_b32 v10, v11, v10, v6
.LBB9_184:
	s_or_b64 exec, exec, s[6:7]
	s_nop 0
	v_mfma_f32_16x16x4f32 a[0:3], v2, v10, a[0:3]
	s_movk_i32 s4, 0x7f
	v_cmp_gt_i16_sdwa s[6:7], v7, s4 src0_sel:BYTE_3 src1_sel:DWORD
	s_mov_b64 s[4:5], 0
                                        ; implicit-def: $sgpr10
	s_and_saveexec_b64 s[8:9], s[6:7]
	s_xor_b64 s[6:7], exec, s[8:9]
	s_cbranch_execnz .LBB9_2233
; %bb.185:
	s_or_saveexec_b64 s[6:7], s[6:7]
	v_mov_b32_e32 v2, s10
	s_xor_b64 exec, exec, s[6:7]
	s_cbranch_execnz .LBB9_2236
.LBB9_186:
	s_or_b64 exec, exec, s[6:7]
	s_and_saveexec_b64 s[6:7], s[4:5]
	s_cbranch_execz .LBB9_188
.LBB9_187:
	v_bfe_u32 v2, v7, 24, 3
	v_ffbh_u32_e32 v12, v2
	v_min_u32_e32 v12, 32, v12
	v_lshrrev_b32_e32 v10, 27, v7
	v_subrev_u32_e32 v13, 28, v12
	v_and_b32_e32 v6, 0x80000000, v7
	v_and_b32_e32 v10, 15, v10
	v_bfe_u32 v11, v7, 27, 4
	v_lshlrev_b32_sdwa v7, v13, v7 dst_sel:DWORD dst_unused:UNUSED_PAD src0_sel:DWORD src1_sel:BYTE_3
	v_sub_u32_e32 v12, 29, v12
	v_and_b32_e32 v7, 7, v7
	v_cmp_eq_u16_e32 vcc, 0, v10
	v_cndmask_b32_e32 v2, v2, v7, vcc
	v_cndmask_b32_e32 v7, v11, v12, vcc
	v_mov_b32_e32 v10, 0x3b800000
	v_lshlrev_b32_e32 v2, 20, v2
	v_lshl_add_u32 v7, v7, 23, v10
	v_or3_b32 v2, v6, v7, v2
.LBB9_188:
	s_or_b64 exec, exec, s[6:7]
	s_movk_i32 s4, 0x7f
	v_cmp_gt_i16_sdwa s[6:7], v3, s4 src0_sel:BYTE_3 src1_sel:DWORD
	s_mov_b64 s[4:5], 0
                                        ; implicit-def: $sgpr10
	s_and_saveexec_b64 s[8:9], s[6:7]
	s_xor_b64 s[6:7], exec, s[8:9]
	s_cbranch_execnz .LBB9_2237
; %bb.189:
	s_or_saveexec_b64 s[6:7], s[6:7]
	v_mov_b32_e32 v6, s10
	s_xor_b64 exec, exec, s[6:7]
	s_cbranch_execnz .LBB9_2240
.LBB9_190:
	s_or_b64 exec, exec, s[6:7]
	s_and_saveexec_b64 s[6:7], s[4:5]
	s_cbranch_execz .LBB9_192
.LBB9_191:
	v_bfe_u32 v6, v3, 24, 3
	v_ffbh_u32_e32 v12, v6
	v_min_u32_e32 v12, 32, v12
	v_lshrrev_b32_e32 v10, 27, v3
	v_subrev_u32_e32 v13, 28, v12
	v_and_b32_e32 v7, 0x80000000, v3
	v_and_b32_e32 v10, 15, v10
	v_bfe_u32 v11, v3, 27, 4
	v_lshlrev_b32_sdwa v3, v13, v3 dst_sel:DWORD dst_unused:UNUSED_PAD src0_sel:DWORD src1_sel:BYTE_3
	v_sub_u32_e32 v12, 29, v12
	v_and_b32_e32 v3, 7, v3
	v_cmp_eq_u16_e32 vcc, 0, v10
	v_cndmask_b32_e32 v3, v6, v3, vcc
	v_cndmask_b32_e32 v6, v11, v12, vcc
	v_mov_b32_e32 v10, 0x3b800000
	v_lshlrev_b32_e32 v3, 20, v3
	v_lshl_add_u32 v6, v6, 23, v10
	v_or3_b32 v6, v7, v6, v3
.LBB9_192:
	s_or_b64 exec, exec, s[6:7]
	s_nop 0
	v_mfma_f32_16x16x4f32 a[0:3], v2, v6, a[0:3]
	s_movk_i32 s4, 0x7f
	v_cmp_gt_i16_sdwa s[6:7], v8, s4 src0_sel:BYTE_0 src1_sel:DWORD
	s_mov_b64 s[4:5], 0
                                        ; implicit-def: $sgpr10
	s_and_saveexec_b64 s[8:9], s[6:7]
	s_xor_b64 s[6:7], exec, s[8:9]
	s_cbranch_execnz .LBB9_2241
; %bb.193:
	s_or_saveexec_b64 s[6:7], s[6:7]
	v_mov_b32_e32 v2, s10
	s_xor_b64 exec, exec, s[6:7]
	s_cbranch_execnz .LBB9_2244
.LBB9_194:
	s_or_b64 exec, exec, s[6:7]
	s_and_saveexec_b64 s[6:7], s[4:5]
	s_cbranch_execz .LBB9_196
.LBB9_195:
	v_and_b32_e32 v2, 7, v8
	v_ffbh_u32_e32 v6, v2
	v_min_u32_e32 v6, 32, v6
	v_lshrrev_b16_e32 v3, 3, v8
	v_subrev_u32_e32 v7, 28, v6
	v_and_b32_e32 v3, 15, v3
	v_lshlrev_b32_e32 v7, v7, v8
	v_sub_u32_e32 v6, 29, v6
	v_and_b32_e32 v7, 7, v7
	v_cmp_eq_u16_e32 vcc, 0, v3
	v_cndmask_b32_e32 v2, v2, v7, vcc
	v_cndmask_b32_e32 v3, v3, v6, vcc
	v_lshlrev_b32_e32 v6, 24, v8
	v_mov_b32_e32 v7, 0x3b800000
	v_lshlrev_b32_e32 v2, 20, v2
	v_and_b32_e32 v6, 0x80000000, v6
	v_lshl_add_u32 v3, v3, 23, v7
	v_or3_b32 v2, v6, v3, v2
.LBB9_196:
	s_or_b64 exec, exec, s[6:7]
	s_movk_i32 s4, 0x7f
	v_cmp_gt_i16_sdwa s[6:7], v4, s4 src0_sel:BYTE_0 src1_sel:DWORD
	s_mov_b64 s[4:5], 0
                                        ; implicit-def: $sgpr10
	s_and_saveexec_b64 s[8:9], s[6:7]
	s_xor_b64 s[6:7], exec, s[8:9]
	s_cbranch_execnz .LBB9_2245
; %bb.197:
	s_or_saveexec_b64 s[6:7], s[6:7]
	v_mov_b32_e32 v3, s10
	s_xor_b64 exec, exec, s[6:7]
	s_cbranch_execnz .LBB9_2248
.LBB9_198:
	s_or_b64 exec, exec, s[6:7]
	s_and_saveexec_b64 s[6:7], s[4:5]
	s_cbranch_execz .LBB9_200
.LBB9_199:
	v_and_b32_e32 v3, 7, v4
	v_ffbh_u32_e32 v7, v3
	v_min_u32_e32 v7, 32, v7
	v_lshrrev_b16_e32 v6, 3, v4
	v_subrev_u32_e32 v10, 28, v7
	v_and_b32_e32 v6, 15, v6
	v_lshlrev_b32_e32 v10, v10, v4
	v_sub_u32_e32 v7, 29, v7
	v_and_b32_e32 v10, 7, v10
	v_cmp_eq_u16_e32 vcc, 0, v6
	v_cndmask_b32_e32 v3, v3, v10, vcc
	v_cndmask_b32_e32 v6, v6, v7, vcc
	v_lshlrev_b32_e32 v7, 24, v4
	v_mov_b32_e32 v10, 0x3b800000
	v_lshlrev_b32_e32 v3, 20, v3
	v_and_b32_e32 v7, 0x80000000, v7
	v_lshl_add_u32 v6, v6, 23, v10
	v_or3_b32 v3, v7, v6, v3
.LBB9_200:
	s_or_b64 exec, exec, s[6:7]
	s_nop 0
	v_mfma_f32_16x16x4f32 a[0:3], v2, v3, a[0:3]
	v_lshrrev_b32_e32 v3, 8, v8
	s_movk_i32 s4, 0x7f
	v_cmp_gt_i16_sdwa s[6:7], v3, s4 src0_sel:BYTE_0 src1_sel:DWORD
	s_mov_b64 s[4:5], 0
                                        ; implicit-def: $sgpr10
	s_and_saveexec_b64 s[8:9], s[6:7]
	s_xor_b64 s[6:7], exec, s[8:9]
	s_cbranch_execnz .LBB9_2249
; %bb.201:
	s_or_saveexec_b64 s[6:7], s[6:7]
	v_mov_b32_e32 v2, s10
	s_xor_b64 exec, exec, s[6:7]
	s_cbranch_execnz .LBB9_2252
.LBB9_202:
	s_or_b64 exec, exec, s[6:7]
	s_and_saveexec_b64 s[6:7], s[4:5]
	s_cbranch_execz .LBB9_204
.LBB9_203:
	v_bfe_u32 v2, v8, 8, 3
	v_ffbh_u32_e32 v7, v2
	v_min_u32_e32 v7, 32, v7
	v_lshrrev_b16_e32 v6, 3, v3
	v_subrev_u32_e32 v10, 28, v7
	v_and_b32_e32 v6, 15, v6
	v_lshlrev_b32_e32 v3, v10, v3
	v_sub_u32_e32 v7, 29, v7
	v_and_b32_e32 v3, 7, v3
	v_cmp_eq_u16_e32 vcc, 0, v6
	v_cndmask_b32_e32 v2, v2, v3, vcc
	v_cndmask_b32_e32 v3, v6, v7, vcc
	v_lshlrev_b32_e32 v6, 16, v8
	v_mov_b32_e32 v7, 0x3b800000
	v_lshlrev_b32_e32 v2, 20, v2
	v_and_b32_e32 v6, 0x80000000, v6
	v_lshl_add_u32 v3, v3, 23, v7
	v_or3_b32 v2, v6, v3, v2
.LBB9_204:
	s_or_b64 exec, exec, s[6:7]
	v_lshrrev_b32_e32 v3, 8, v4
	s_movk_i32 s4, 0x7f
	v_cmp_gt_i16_sdwa s[6:7], v3, s4 src0_sel:BYTE_0 src1_sel:DWORD
	s_mov_b64 s[4:5], 0
                                        ; implicit-def: $sgpr10
	s_and_saveexec_b64 s[8:9], s[6:7]
	s_xor_b64 s[6:7], exec, s[8:9]
	s_cbranch_execnz .LBB9_2253
; %bb.205:
	s_or_saveexec_b64 s[6:7], s[6:7]
	v_mov_b32_e32 v6, s10
	s_xor_b64 exec, exec, s[6:7]
	s_cbranch_execnz .LBB9_2256
.LBB9_206:
	s_or_b64 exec, exec, s[6:7]
	s_and_saveexec_b64 s[6:7], s[4:5]
	s_cbranch_execz .LBB9_208
.LBB9_207:
	v_bfe_u32 v6, v4, 8, 3
	v_ffbh_u32_e32 v10, v6
	v_min_u32_e32 v10, 32, v10
	v_lshrrev_b16_e32 v7, 3, v3
	v_subrev_u32_e32 v11, 28, v10
	v_and_b32_e32 v7, 15, v7
	v_lshlrev_b32_e32 v3, v11, v3
	v_sub_u32_e32 v10, 29, v10
	v_and_b32_e32 v3, 7, v3
	v_cmp_eq_u16_e32 vcc, 0, v7
	v_cndmask_b32_e32 v3, v6, v3, vcc
	v_cndmask_b32_e32 v6, v7, v10, vcc
	v_lshlrev_b32_e32 v7, 16, v4
	v_mov_b32_e32 v10, 0x3b800000
	v_lshlrev_b32_e32 v3, 20, v3
	v_and_b32_e32 v7, 0x80000000, v7
	v_lshl_add_u32 v6, v6, 23, v10
	v_or3_b32 v6, v7, v6, v3
.LBB9_208:
	s_or_b64 exec, exec, s[6:7]
	s_nop 0
	v_mfma_f32_16x16x4f32 a[0:3], v2, v6, a[0:3]
	s_movk_i32 s4, 0xff
	v_and_b32_sdwa v3, v8, s4 dst_sel:DWORD dst_unused:UNUSED_PAD src0_sel:WORD_1 src1_sel:DWORD
	s_movk_i32 s4, 0x7f
	v_cmp_lt_i16_e32 vcc, s4, v3
	s_mov_b64 s[4:5], 0
                                        ; implicit-def: $sgpr10
	s_and_saveexec_b64 s[6:7], vcc
	s_xor_b64 s[6:7], exec, s[6:7]
	s_cbranch_execnz .LBB9_2257
; %bb.209:
	s_or_saveexec_b64 s[6:7], s[6:7]
	v_mov_b32_e32 v2, s10
	s_xor_b64 exec, exec, s[6:7]
	s_cbranch_execnz .LBB9_2260
.LBB9_210:
	s_or_b64 exec, exec, s[6:7]
	s_and_saveexec_b64 s[6:7], s[4:5]
	s_cbranch_execz .LBB9_212
.LBB9_211:
	v_bfe_u32 v2, v8, 16, 3
	v_ffbh_u32_e32 v7, v2
	v_min_u32_e32 v7, 32, v7
	v_lshrrev_b32_e32 v3, 19, v8
	v_subrev_u32_e32 v10, 28, v7
	v_and_b32_e32 v3, 15, v3
	v_lshlrev_b32_sdwa v10, v10, v8 dst_sel:DWORD dst_unused:UNUSED_PAD src0_sel:DWORD src1_sel:WORD_1
	v_bfe_u32 v6, v8, 19, 4
	v_sub_u32_e32 v7, 29, v7
	v_and_b32_e32 v10, 7, v10
	v_cmp_eq_u16_e32 vcc, 0, v3
	v_cndmask_b32_e32 v2, v2, v10, vcc
	v_cndmask_b32_e32 v3, v6, v7, vcc
	v_lshlrev_b32_e32 v6, 8, v8
	v_mov_b32_e32 v7, 0x3b800000
	v_lshlrev_b32_e32 v2, 20, v2
	v_and_b32_e32 v6, 0x80000000, v6
	v_lshl_add_u32 v3, v3, 23, v7
	v_or3_b32 v2, v6, v3, v2
.LBB9_212:
	s_or_b64 exec, exec, s[6:7]
	s_movk_i32 s4, 0xff
	v_and_b32_sdwa v3, v4, s4 dst_sel:DWORD dst_unused:UNUSED_PAD src0_sel:WORD_1 src1_sel:DWORD
	s_movk_i32 s4, 0x7f
	v_cmp_lt_i16_e32 vcc, s4, v3
	s_mov_b64 s[4:5], 0
                                        ; implicit-def: $sgpr10
	s_and_saveexec_b64 s[6:7], vcc
	s_xor_b64 s[6:7], exec, s[6:7]
	s_cbranch_execnz .LBB9_2261
; %bb.213:
	s_or_saveexec_b64 s[6:7], s[6:7]
	v_mov_b32_e32 v6, s10
	s_xor_b64 exec, exec, s[6:7]
	s_cbranch_execnz .LBB9_2264
.LBB9_214:
	s_or_b64 exec, exec, s[6:7]
	s_and_saveexec_b64 s[6:7], s[4:5]
	s_cbranch_execz .LBB9_216
.LBB9_215:
	v_bfe_u32 v3, v4, 16, 3
	v_ffbh_u32_e32 v10, v3
	v_min_u32_e32 v10, 32, v10
	v_lshrrev_b32_e32 v6, 19, v4
	v_subrev_u32_e32 v11, 28, v10
	v_and_b32_e32 v6, 15, v6
	v_lshlrev_b32_sdwa v11, v11, v4 dst_sel:DWORD dst_unused:UNUSED_PAD src0_sel:DWORD src1_sel:WORD_1
	v_bfe_u32 v7, v4, 19, 4
	v_sub_u32_e32 v10, 29, v10
	v_and_b32_e32 v11, 7, v11
	v_cmp_eq_u16_e32 vcc, 0, v6
	v_cndmask_b32_e32 v3, v3, v11, vcc
	v_cndmask_b32_e32 v6, v7, v10, vcc
	v_lshlrev_b32_e32 v7, 8, v4
	v_mov_b32_e32 v10, 0x3b800000
	v_lshlrev_b32_e32 v3, 20, v3
	v_and_b32_e32 v7, 0x80000000, v7
	v_lshl_add_u32 v6, v6, 23, v10
	v_or3_b32 v6, v7, v6, v3
.LBB9_216:
	s_or_b64 exec, exec, s[6:7]
	s_nop 0
	v_mfma_f32_16x16x4f32 a[0:3], v2, v6, a[0:3]
	s_movk_i32 s4, 0x7f
	v_cmp_gt_i16_sdwa s[6:7], v8, s4 src0_sel:BYTE_3 src1_sel:DWORD
	s_mov_b64 s[4:5], 0
                                        ; implicit-def: $sgpr10
	s_and_saveexec_b64 s[8:9], s[6:7]
	s_xor_b64 s[6:7], exec, s[8:9]
	s_cbranch_execnz .LBB9_2265
; %bb.217:
	s_or_saveexec_b64 s[6:7], s[6:7]
	v_mov_b32_e32 v2, s10
	s_xor_b64 exec, exec, s[6:7]
	s_cbranch_execnz .LBB9_2268
.LBB9_218:
	s_or_b64 exec, exec, s[6:7]
	s_and_saveexec_b64 s[6:7], s[4:5]
	s_cbranch_execz .LBB9_220
.LBB9_219:
	v_bfe_u32 v2, v8, 24, 3
	v_ffbh_u32_e32 v10, v2
	v_min_u32_e32 v10, 32, v10
	v_lshrrev_b32_e32 v6, 27, v8
	v_subrev_u32_e32 v11, 28, v10
	v_and_b32_e32 v3, 0x80000000, v8
	v_and_b32_e32 v6, 15, v6
	v_bfe_u32 v7, v8, 27, 4
	v_lshlrev_b32_sdwa v8, v11, v8 dst_sel:DWORD dst_unused:UNUSED_PAD src0_sel:DWORD src1_sel:BYTE_3
	v_sub_u32_e32 v10, 29, v10
	v_and_b32_e32 v8, 7, v8
	v_cmp_eq_u16_e32 vcc, 0, v6
	v_cndmask_b32_e32 v2, v2, v8, vcc
	v_cndmask_b32_e32 v6, v7, v10, vcc
	v_mov_b32_e32 v7, 0x3b800000
	v_lshlrev_b32_e32 v2, 20, v2
	v_lshl_add_u32 v6, v6, 23, v7
	v_or3_b32 v2, v3, v6, v2
.LBB9_220:
	s_or_b64 exec, exec, s[6:7]
	s_movk_i32 s4, 0x7f
	v_cmp_gt_i16_sdwa s[6:7], v4, s4 src0_sel:BYTE_3 src1_sel:DWORD
	s_mov_b64 s[4:5], 0
                                        ; implicit-def: $sgpr10
	s_and_saveexec_b64 s[8:9], s[6:7]
	s_xor_b64 s[6:7], exec, s[8:9]
	s_cbranch_execnz .LBB9_2269
; %bb.221:
	s_or_saveexec_b64 s[6:7], s[6:7]
	v_mov_b32_e32 v3, s10
	s_xor_b64 exec, exec, s[6:7]
	s_cbranch_execnz .LBB9_2272
.LBB9_222:
	s_or_b64 exec, exec, s[6:7]
	s_and_saveexec_b64 s[6:7], s[4:5]
	s_cbranch_execz .LBB9_224
.LBB9_223:
	v_bfe_u32 v3, v4, 24, 3
	v_ffbh_u32_e32 v10, v3
	v_min_u32_e32 v10, 32, v10
	v_lshrrev_b32_e32 v7, 27, v4
	v_subrev_u32_e32 v11, 28, v10
	v_and_b32_e32 v6, 0x80000000, v4
	v_and_b32_e32 v7, 15, v7
	v_bfe_u32 v8, v4, 27, 4
	v_lshlrev_b32_sdwa v4, v11, v4 dst_sel:DWORD dst_unused:UNUSED_PAD src0_sel:DWORD src1_sel:BYTE_3
	v_sub_u32_e32 v10, 29, v10
	v_and_b32_e32 v4, 7, v4
	v_cmp_eq_u16_e32 vcc, 0, v7
	v_cndmask_b32_e32 v3, v3, v4, vcc
	v_cndmask_b32_e32 v4, v8, v10, vcc
	v_mov_b32_e32 v7, 0x3b800000
	v_lshlrev_b32_e32 v3, 20, v3
	v_lshl_add_u32 v4, v4, 23, v7
	v_or3_b32 v3, v6, v4, v3
.LBB9_224:
	s_or_b64 exec, exec, s[6:7]
	s_nop 0
	v_mfma_f32_16x16x4f32 a[0:3], v2, v3, a[0:3]
	s_movk_i32 s4, 0x7f
	v_cmp_gt_i16_sdwa s[6:7], v9, s4 src0_sel:BYTE_0 src1_sel:DWORD
	s_mov_b64 s[4:5], 0
                                        ; implicit-def: $sgpr10
	s_and_saveexec_b64 s[8:9], s[6:7]
	s_xor_b64 s[6:7], exec, s[8:9]
	s_cbranch_execnz .LBB9_2273
; %bb.225:
	s_or_saveexec_b64 s[6:7], s[6:7]
	v_mov_b32_e32 v2, s10
	s_xor_b64 exec, exec, s[6:7]
	s_cbranch_execnz .LBB9_2276
.LBB9_226:
	s_or_b64 exec, exec, s[6:7]
	s_and_saveexec_b64 s[6:7], s[4:5]
	s_cbranch_execz .LBB9_228
.LBB9_227:
	v_mov_b32_e32 v2, 8
	v_and_b32_e32 v3, 7, v9
	v_lshrrev_b32_sdwa v2, v2, v9 dst_sel:BYTE_1 dst_unused:UNUSED_PAD src0_sel:DWORD src1_sel:DWORD
	v_ffbh_u32_e32 v4, v3
	v_or_b32_sdwa v2, v9, v2 dst_sel:DWORD dst_unused:UNUSED_PAD src0_sel:BYTE_0 src1_sel:DWORD
	v_min_u32_e32 v4, 32, v4
	v_lshrrev_b16_e32 v2, 3, v2
	v_subrev_u32_e32 v6, 28, v4
	v_and_b32_e32 v2, 15, v2
	v_lshlrev_b32_e32 v6, v6, v9
	v_sub_u32_e32 v4, 29, v4
	v_and_b32_e32 v6, 7, v6
	v_cmp_eq_u16_e32 vcc, 0, v2
	v_cndmask_b32_e32 v3, v3, v6, vcc
	v_cndmask_b32_e32 v2, v2, v4, vcc
	v_lshlrev_b32_e32 v4, 24, v9
	v_mov_b32_e32 v6, 0x3b800000
	v_lshlrev_b32_e32 v3, 20, v3
	v_and_b32_e32 v4, 0x80000000, v4
	v_lshl_add_u32 v2, v2, 23, v6
	v_or3_b32 v2, v4, v2, v3
.LBB9_228:
	s_or_b64 exec, exec, s[6:7]
	s_movk_i32 s4, 0x7f
	v_cmp_gt_i16_sdwa s[6:7], v5, s4 src0_sel:BYTE_0 src1_sel:DWORD
	s_mov_b64 s[4:5], 0
                                        ; implicit-def: $sgpr10
	s_and_saveexec_b64 s[8:9], s[6:7]
	s_xor_b64 s[6:7], exec, s[8:9]
	s_cbranch_execnz .LBB9_2277
; %bb.229:
	s_or_saveexec_b64 s[6:7], s[6:7]
	v_mov_b32_e32 v3, s10
	s_xor_b64 exec, exec, s[6:7]
	s_cbranch_execnz .LBB9_2280
.LBB9_230:
	s_or_b64 exec, exec, s[6:7]
	s_and_saveexec_b64 s[6:7], s[4:5]
	s_cbranch_execz .LBB9_232
.LBB9_231:
	v_mov_b32_e32 v3, 8
	v_and_b32_e32 v4, 7, v5
	v_lshrrev_b32_sdwa v3, v3, v5 dst_sel:BYTE_1 dst_unused:UNUSED_PAD src0_sel:DWORD src1_sel:DWORD
	v_ffbh_u32_e32 v6, v4
	v_or_b32_sdwa v3, v5, v3 dst_sel:DWORD dst_unused:UNUSED_PAD src0_sel:BYTE_0 src1_sel:DWORD
	v_min_u32_e32 v6, 32, v6
	v_lshrrev_b16_e32 v3, 3, v3
	v_subrev_u32_e32 v7, 28, v6
	v_and_b32_e32 v3, 15, v3
	v_lshlrev_b32_e32 v7, v7, v5
	v_sub_u32_e32 v6, 29, v6
	v_and_b32_e32 v7, 7, v7
	v_cmp_eq_u16_e32 vcc, 0, v3
	v_cndmask_b32_e32 v4, v4, v7, vcc
	v_cndmask_b32_e32 v3, v3, v6, vcc
	v_lshlrev_b32_e32 v6, 24, v5
	v_mov_b32_e32 v7, 0x3b800000
	v_lshlrev_b32_e32 v4, 20, v4
	v_and_b32_e32 v6, 0x80000000, v6
	v_lshl_add_u32 v3, v3, 23, v7
	v_or3_b32 v3, v6, v3, v4
.LBB9_232:
	s_or_b64 exec, exec, s[6:7]
	s_nop 0
	v_mfma_f32_16x16x4f32 a[0:3], v2, v3, a[0:3]
	v_lshrrev_b32_e32 v3, 8, v9
	s_movk_i32 s4, 0x7f
	v_cmp_gt_i16_sdwa s[6:7], v3, s4 src0_sel:BYTE_0 src1_sel:DWORD
	s_mov_b64 s[4:5], 0
                                        ; implicit-def: $sgpr10
	s_and_saveexec_b64 s[8:9], s[6:7]
	s_xor_b64 s[6:7], exec, s[8:9]
	s_cbranch_execnz .LBB9_2281
; %bb.233:
	s_or_saveexec_b64 s[6:7], s[6:7]
	v_mov_b32_e32 v2, s10
	s_xor_b64 exec, exec, s[6:7]
	s_cbranch_execnz .LBB9_2284
.LBB9_234:
	s_or_b64 exec, exec, s[6:7]
	s_and_saveexec_b64 s[6:7], s[4:5]
	s_cbranch_execz .LBB9_236
.LBB9_235:
	v_bfe_u32 v2, v9, 8, 3
	v_ffbh_u32_e32 v6, v2
	v_min_u32_e32 v6, 32, v6
	v_lshrrev_b16_e32 v4, 3, v3
	v_subrev_u32_e32 v7, 28, v6
	v_and_b32_e32 v4, 15, v4
	v_lshlrev_b32_e32 v3, v7, v3
	v_sub_u32_e32 v6, 29, v6
	v_and_b32_e32 v3, 7, v3
	v_cmp_eq_u16_e32 vcc, 0, v4
	v_cndmask_b32_e32 v2, v2, v3, vcc
	v_cndmask_b32_e32 v3, v4, v6, vcc
	v_lshlrev_b32_e32 v4, 16, v9
	v_mov_b32_e32 v6, 0x3b800000
	v_lshlrev_b32_e32 v2, 20, v2
	v_and_b32_e32 v4, 0x80000000, v4
	v_lshl_add_u32 v3, v3, 23, v6
	v_or3_b32 v2, v4, v3, v2
.LBB9_236:
	s_or_b64 exec, exec, s[6:7]
	v_lshrrev_b32_e32 v3, 8, v5
	s_movk_i32 s4, 0x7f
	v_cmp_gt_i16_sdwa s[6:7], v3, s4 src0_sel:BYTE_0 src1_sel:DWORD
	s_mov_b64 s[4:5], 0
                                        ; implicit-def: $sgpr10
	s_and_saveexec_b64 s[8:9], s[6:7]
	s_xor_b64 s[6:7], exec, s[8:9]
	s_cbranch_execnz .LBB9_2285
; %bb.237:
	s_or_saveexec_b64 s[6:7], s[6:7]
	v_mov_b32_e32 v4, s10
	s_xor_b64 exec, exec, s[6:7]
	s_cbranch_execnz .LBB9_2288
.LBB9_238:
	s_or_b64 exec, exec, s[6:7]
	s_and_saveexec_b64 s[6:7], s[4:5]
	s_cbranch_execz .LBB9_240
.LBB9_239:
	v_bfe_u32 v4, v5, 8, 3
	v_ffbh_u32_e32 v7, v4
	v_min_u32_e32 v7, 32, v7
	v_lshrrev_b16_e32 v6, 3, v3
	v_subrev_u32_e32 v8, 28, v7
	v_and_b32_e32 v6, 15, v6
	v_lshlrev_b32_e32 v3, v8, v3
	v_sub_u32_e32 v7, 29, v7
	v_and_b32_e32 v3, 7, v3
	v_cmp_eq_u16_e32 vcc, 0, v6
	v_cndmask_b32_e32 v3, v4, v3, vcc
	v_cndmask_b32_e32 v4, v6, v7, vcc
	v_lshlrev_b32_e32 v6, 16, v5
	v_mov_b32_e32 v7, 0x3b800000
	v_lshlrev_b32_e32 v3, 20, v3
	v_and_b32_e32 v6, 0x80000000, v6
	v_lshl_add_u32 v4, v4, 23, v7
	v_or3_b32 v4, v6, v4, v3
.LBB9_240:
	s_or_b64 exec, exec, s[6:7]
	s_nop 0
	v_mfma_f32_16x16x4f32 a[0:3], v2, v4, a[0:3]
	s_movk_i32 s4, 0xff
	v_and_b32_sdwa v3, v9, s4 dst_sel:DWORD dst_unused:UNUSED_PAD src0_sel:WORD_1 src1_sel:DWORD
	s_movk_i32 s4, 0x7f
	v_cmp_lt_i16_e32 vcc, s4, v3
	s_mov_b64 s[4:5], 0
                                        ; implicit-def: $sgpr10
	s_and_saveexec_b64 s[6:7], vcc
	s_xor_b64 s[6:7], exec, s[6:7]
	s_cbranch_execnz .LBB9_2289
; %bb.241:
	s_or_saveexec_b64 s[6:7], s[6:7]
	v_mov_b32_e32 v2, s10
	s_xor_b64 exec, exec, s[6:7]
	s_cbranch_execnz .LBB9_2292
.LBB9_242:
	s_or_b64 exec, exec, s[6:7]
	s_and_saveexec_b64 s[6:7], s[4:5]
	s_cbranch_execz .LBB9_244
.LBB9_243:
	v_bfe_u32 v2, v9, 16, 3
	v_ffbh_u32_e32 v6, v2
	v_min_u32_e32 v6, 32, v6
	v_lshrrev_b32_e32 v3, 19, v9
	v_subrev_u32_e32 v7, 28, v6
	v_and_b32_e32 v3, 15, v3
	v_lshlrev_b32_sdwa v7, v7, v9 dst_sel:DWORD dst_unused:UNUSED_PAD src0_sel:DWORD src1_sel:WORD_1
	v_bfe_u32 v4, v9, 19, 4
	v_sub_u32_e32 v6, 29, v6
	v_and_b32_e32 v7, 7, v7
	v_cmp_eq_u16_e32 vcc, 0, v3
	v_cndmask_b32_e32 v2, v2, v7, vcc
	v_cndmask_b32_e32 v3, v4, v6, vcc
	v_lshlrev_b32_e32 v4, 8, v9
	v_mov_b32_e32 v6, 0x3b800000
	v_lshlrev_b32_e32 v2, 20, v2
	v_and_b32_e32 v4, 0x80000000, v4
	v_lshl_add_u32 v3, v3, 23, v6
	v_or3_b32 v2, v4, v3, v2
.LBB9_244:
	s_or_b64 exec, exec, s[6:7]
	s_movk_i32 s4, 0xff
	v_and_b32_sdwa v3, v5, s4 dst_sel:DWORD dst_unused:UNUSED_PAD src0_sel:WORD_1 src1_sel:DWORD
	s_movk_i32 s4, 0x7f
	v_cmp_lt_i16_e32 vcc, s4, v3
	s_mov_b64 s[4:5], 0
                                        ; implicit-def: $sgpr10
	s_and_saveexec_b64 s[6:7], vcc
	s_xor_b64 s[6:7], exec, s[6:7]
	s_cbranch_execnz .LBB9_2293
; %bb.245:
	s_or_saveexec_b64 s[6:7], s[6:7]
	v_mov_b32_e32 v4, s10
	s_xor_b64 exec, exec, s[6:7]
	s_cbranch_execnz .LBB9_2296
.LBB9_246:
	s_or_b64 exec, exec, s[6:7]
	s_and_saveexec_b64 s[6:7], s[4:5]
	s_cbranch_execz .LBB9_248
.LBB9_247:
	v_bfe_u32 v3, v5, 16, 3
	v_ffbh_u32_e32 v7, v3
	v_min_u32_e32 v7, 32, v7
	v_lshrrev_b32_e32 v4, 19, v5
	v_subrev_u32_e32 v8, 28, v7
	v_and_b32_e32 v4, 15, v4
	v_lshlrev_b32_sdwa v8, v8, v5 dst_sel:DWORD dst_unused:UNUSED_PAD src0_sel:DWORD src1_sel:WORD_1
	v_bfe_u32 v6, v5, 19, 4
	v_sub_u32_e32 v7, 29, v7
	v_and_b32_e32 v8, 7, v8
	v_cmp_eq_u16_e32 vcc, 0, v4
	v_cndmask_b32_e32 v3, v3, v8, vcc
	v_cndmask_b32_e32 v4, v6, v7, vcc
	v_lshlrev_b32_e32 v6, 8, v5
	v_mov_b32_e32 v7, 0x3b800000
	v_lshlrev_b32_e32 v3, 20, v3
	v_and_b32_e32 v6, 0x80000000, v6
	v_lshl_add_u32 v4, v4, 23, v7
	v_or3_b32 v4, v6, v4, v3
.LBB9_248:
	s_or_b64 exec, exec, s[6:7]
	s_nop 0
	v_mfma_f32_16x16x4f32 a[0:3], v2, v4, a[0:3]
	s_movk_i32 s4, 0x7f
	v_cmp_gt_i16_sdwa s[6:7], v9, s4 src0_sel:BYTE_3 src1_sel:DWORD
	s_mov_b64 s[4:5], 0
                                        ; implicit-def: $sgpr10
	s_and_saveexec_b64 s[8:9], s[6:7]
	s_xor_b64 s[6:7], exec, s[8:9]
	s_cbranch_execnz .LBB9_2297
; %bb.249:
	s_or_saveexec_b64 s[6:7], s[6:7]
	v_mov_b32_e32 v2, s10
	s_xor_b64 exec, exec, s[6:7]
	s_cbranch_execnz .LBB9_2300
.LBB9_250:
	s_or_b64 exec, exec, s[6:7]
	s_and_saveexec_b64 s[6:7], s[4:5]
	s_cbranch_execz .LBB9_252
.LBB9_251:
	v_bfe_u32 v2, v9, 24, 3
	v_ffbh_u32_e32 v7, v2
	v_min_u32_e32 v7, 32, v7
	v_lshrrev_b32_e32 v4, 27, v9
	v_subrev_u32_e32 v8, 28, v7
	v_and_b32_e32 v4, 15, v4
	v_lshlrev_b32_sdwa v8, v8, v9 dst_sel:DWORD dst_unused:UNUSED_PAD src0_sel:DWORD src1_sel:BYTE_3
	v_bfe_u32 v6, v9, 27, 4
	v_sub_u32_e32 v7, 29, v7
	v_and_b32_e32 v8, 7, v8
	v_cmp_eq_u16_e32 vcc, 0, v4
	v_cndmask_b32_e32 v2, v2, v8, vcc
	v_cndmask_b32_e32 v4, v6, v7, vcc
	v_mov_b32_e32 v6, 0x3b800000
	v_and_b32_e32 v3, 0x80000000, v9
	v_lshlrev_b32_e32 v2, 20, v2
	v_lshl_add_u32 v4, v4, 23, v6
	v_or3_b32 v2, v3, v4, v2
.LBB9_252:
	s_or_b64 exec, exec, s[6:7]
	s_movk_i32 s4, 0x7f
	v_cmp_gt_i16_sdwa s[6:7], v5, s4 src0_sel:BYTE_3 src1_sel:DWORD
	s_mov_b64 s[4:5], 0
                                        ; implicit-def: $sgpr10
	s_and_saveexec_b64 s[8:9], s[6:7]
	s_xor_b64 s[6:7], exec, s[8:9]
	s_cbranch_execnz .LBB9_2301
; %bb.253:
	s_or_saveexec_b64 s[6:7], s[6:7]
	v_mov_b32_e32 v3, s10
	s_xor_b64 exec, exec, s[6:7]
	s_cbranch_execnz .LBB9_2304
.LBB9_254:
	s_or_b64 exec, exec, s[6:7]
	s_and_saveexec_b64 s[6:7], s[4:5]
	s_cbranch_execz .LBB9_256
.LBB9_255:
	v_bfe_u32 v3, v5, 24, 3
	v_ffbh_u32_e32 v8, v3
	v_min_u32_e32 v8, 32, v8
	v_lshrrev_b32_e32 v6, 27, v5
	v_subrev_u32_e32 v9, 28, v8
	v_and_b32_e32 v4, 0x80000000, v5
	v_and_b32_e32 v6, 15, v6
	v_bfe_u32 v7, v5, 27, 4
	v_lshlrev_b32_sdwa v5, v9, v5 dst_sel:DWORD dst_unused:UNUSED_PAD src0_sel:DWORD src1_sel:BYTE_3
	v_sub_u32_e32 v8, 29, v8
	v_and_b32_e32 v5, 7, v5
	v_cmp_eq_u16_e32 vcc, 0, v6
	v_cndmask_b32_e32 v3, v3, v5, vcc
	v_cndmask_b32_e32 v5, v7, v8, vcc
	v_mov_b32_e32 v6, 0x3b800000
	v_lshlrev_b32_e32 v3, 20, v3
	v_lshl_add_u32 v5, v5, 23, v6
	v_or3_b32 v3, v4, v5, v3
.LBB9_256:
	s_or_b64 exec, exec, s[6:7]
	s_nop 0
	v_mfma_f32_16x16x4f32 a[0:3], v2, v3, a[0:3]
	s_movk_i32 s4, 0x7f
                                        ; implicit-def: $sgpr10
	s_nop 7
	s_nop 1
	flat_store_dwordx4 v[18:19], a[0:3] offset:896
	flat_load_dwordx4 v[20:23], v[0:1] offset:16
	s_nop 0
	flat_load_dwordx2 v[18:19], v[0:1] offset:32
	s_waitcnt vmcnt(0) lgkmcnt(0)
	flat_load_dwordx4 v[14:17], v[20:21] offset:32
	flat_load_dwordx4 v[10:13], v[22:23] offset:32
	;; [unrolled: 1-line block ×4, first 2 shown]
	s_waitcnt vmcnt(0) lgkmcnt(0)
	v_cmp_gt_i16_sdwa s[6:7], v14, s4 src0_sel:BYTE_0 src1_sel:DWORD
	s_mov_b64 s[4:5], 0
	s_and_saveexec_b64 s[8:9], s[6:7]
	s_xor_b64 s[6:7], exec, s[8:9]
	s_cbranch_execnz .LBB9_2305
; %bb.257:
	s_or_saveexec_b64 s[6:7], s[6:7]
	v_mov_b32_e32 v20, s10
	s_xor_b64 exec, exec, s[6:7]
	s_cbranch_execnz .LBB9_2308
.LBB9_258:
	s_or_b64 exec, exec, s[6:7]
	s_and_saveexec_b64 s[6:7], s[4:5]
	s_cbranch_execz .LBB9_260
.LBB9_259:
	v_and_b32_e32 v20, 7, v14
	v_ffbh_u32_e32 v22, v20
	v_min_u32_e32 v22, 32, v22
	v_lshrrev_b16_e32 v21, 3, v14
	v_subrev_u32_e32 v23, 28, v22
	v_and_b32_e32 v21, 15, v21
	v_lshlrev_b32_e32 v23, v23, v14
	v_sub_u32_e32 v22, 29, v22
	v_and_b32_e32 v23, 7, v23
	v_cmp_eq_u16_e32 vcc, 0, v21
	v_cndmask_b32_e32 v20, v20, v23, vcc
	v_cndmask_b32_e32 v21, v21, v22, vcc
	v_lshlrev_b32_e32 v22, 24, v14
	v_mov_b32_e32 v23, 0x3b800000
	v_lshlrev_b32_e32 v20, 20, v20
	v_and_b32_e32 v22, 0x80000000, v22
	v_lshl_add_u32 v21, v21, 23, v23
	v_or3_b32 v20, v22, v21, v20
.LBB9_260:
	s_or_b64 exec, exec, s[6:7]
	s_movk_i32 s4, 0x7f
	v_cmp_gt_i16_sdwa s[6:7], v10, s4 src0_sel:BYTE_0 src1_sel:DWORD
	s_mov_b64 s[4:5], 0
                                        ; implicit-def: $sgpr10
	s_and_saveexec_b64 s[8:9], s[6:7]
	s_xor_b64 s[6:7], exec, s[8:9]
	s_cbranch_execnz .LBB9_2309
; %bb.261:
	s_or_saveexec_b64 s[6:7], s[6:7]
	v_mov_b32_e32 v21, s10
	s_xor_b64 exec, exec, s[6:7]
	s_cbranch_execnz .LBB9_2312
.LBB9_262:
	s_or_b64 exec, exec, s[6:7]
	s_and_saveexec_b64 s[6:7], s[4:5]
	s_cbranch_execz .LBB9_264
.LBB9_263:
	v_and_b32_e32 v21, 7, v10
	v_ffbh_u32_e32 v23, v21
	v_min_u32_e32 v23, 32, v23
	v_lshrrev_b16_e32 v22, 3, v10
	v_subrev_u32_e32 v24, 28, v23
	v_and_b32_e32 v22, 15, v22
	v_lshlrev_b32_e32 v24, v24, v10
	v_sub_u32_e32 v23, 29, v23
	v_and_b32_e32 v24, 7, v24
	v_cmp_eq_u16_e32 vcc, 0, v22
	v_cndmask_b32_e32 v21, v21, v24, vcc
	v_cndmask_b32_e32 v22, v22, v23, vcc
	v_lshlrev_b32_e32 v23, 24, v10
	v_mov_b32_e32 v24, 0x3b800000
	v_lshlrev_b32_e32 v21, 20, v21
	v_and_b32_e32 v23, 0x80000000, v23
	v_lshl_add_u32 v22, v22, 23, v24
	v_or3_b32 v21, v23, v22, v21
.LBB9_264:
	s_or_b64 exec, exec, s[6:7]
	flat_load_dwordx4 a[0:3], v[18:19] offset:912
	s_movk_i32 s4, 0x7f
                                        ; implicit-def: $sgpr10
	s_waitcnt vmcnt(0) lgkmcnt(0)
	v_mfma_f32_16x16x4f32 a[0:3], v20, v21, a[0:3]
	v_lshrrev_b32_e32 v21, 8, v14
	v_cmp_gt_i16_sdwa s[6:7], v21, s4 src0_sel:BYTE_0 src1_sel:DWORD
	s_mov_b64 s[4:5], 0
	s_and_saveexec_b64 s[8:9], s[6:7]
	s_xor_b64 s[6:7], exec, s[8:9]
	s_cbranch_execnz .LBB9_2313
; %bb.265:
	s_or_saveexec_b64 s[6:7], s[6:7]
	v_mov_b32_e32 v20, s10
	s_xor_b64 exec, exec, s[6:7]
	s_cbranch_execnz .LBB9_2316
.LBB9_266:
	s_or_b64 exec, exec, s[6:7]
	s_and_saveexec_b64 s[6:7], s[4:5]
	s_cbranch_execz .LBB9_268
.LBB9_267:
	v_bfe_u32 v20, v14, 8, 3
	v_ffbh_u32_e32 v23, v20
	v_min_u32_e32 v23, 32, v23
	v_lshrrev_b16_e32 v22, 3, v21
	v_subrev_u32_e32 v24, 28, v23
	v_and_b32_e32 v22, 15, v22
	v_lshlrev_b32_e32 v21, v24, v21
	v_sub_u32_e32 v23, 29, v23
	v_and_b32_e32 v21, 7, v21
	v_cmp_eq_u16_e32 vcc, 0, v22
	v_cndmask_b32_e32 v20, v20, v21, vcc
	v_cndmask_b32_e32 v21, v22, v23, vcc
	v_lshlrev_b32_e32 v22, 16, v14
	v_mov_b32_e32 v23, 0x3b800000
	v_lshlrev_b32_e32 v20, 20, v20
	v_and_b32_e32 v22, 0x80000000, v22
	v_lshl_add_u32 v21, v21, 23, v23
	v_or3_b32 v20, v22, v21, v20
.LBB9_268:
	s_or_b64 exec, exec, s[6:7]
	v_lshrrev_b32_e32 v21, 8, v10
	s_movk_i32 s4, 0x7f
	v_cmp_gt_i16_sdwa s[6:7], v21, s4 src0_sel:BYTE_0 src1_sel:DWORD
	s_mov_b64 s[4:5], 0
                                        ; implicit-def: $sgpr10
	s_and_saveexec_b64 s[8:9], s[6:7]
	s_xor_b64 s[6:7], exec, s[8:9]
	s_cbranch_execnz .LBB9_2317
; %bb.269:
	s_or_saveexec_b64 s[6:7], s[6:7]
	v_mov_b32_e32 v22, s10
	s_xor_b64 exec, exec, s[6:7]
	s_cbranch_execnz .LBB9_2320
.LBB9_270:
	s_or_b64 exec, exec, s[6:7]
	s_and_saveexec_b64 s[6:7], s[4:5]
	s_cbranch_execz .LBB9_272
.LBB9_271:
	v_bfe_u32 v22, v10, 8, 3
	v_ffbh_u32_e32 v24, v22
	v_min_u32_e32 v24, 32, v24
	v_lshrrev_b16_e32 v23, 3, v21
	v_subrev_u32_e32 v25, 28, v24
	v_and_b32_e32 v23, 15, v23
	v_lshlrev_b32_e32 v21, v25, v21
	v_sub_u32_e32 v24, 29, v24
	v_and_b32_e32 v21, 7, v21
	v_cmp_eq_u16_e32 vcc, 0, v23
	v_cndmask_b32_e32 v21, v22, v21, vcc
	v_cndmask_b32_e32 v22, v23, v24, vcc
	v_lshlrev_b32_e32 v23, 16, v10
	v_mov_b32_e32 v24, 0x3b800000
	v_lshlrev_b32_e32 v21, 20, v21
	v_and_b32_e32 v23, 0x80000000, v23
	v_lshl_add_u32 v22, v22, 23, v24
	v_or3_b32 v22, v23, v22, v21
.LBB9_272:
	s_or_b64 exec, exec, s[6:7]
	s_nop 0
	v_mfma_f32_16x16x4f32 a[0:3], v20, v22, a[0:3]
	s_movk_i32 s4, 0xff
	v_and_b32_sdwa v21, v14, s4 dst_sel:DWORD dst_unused:UNUSED_PAD src0_sel:WORD_1 src1_sel:DWORD
	s_movk_i32 s4, 0x7f
	v_cmp_lt_i16_e32 vcc, s4, v21
	s_mov_b64 s[4:5], 0
                                        ; implicit-def: $sgpr10
	s_and_saveexec_b64 s[6:7], vcc
	s_xor_b64 s[6:7], exec, s[6:7]
	s_cbranch_execnz .LBB9_2321
; %bb.273:
	s_or_saveexec_b64 s[6:7], s[6:7]
	v_mov_b32_e32 v20, s10
	s_xor_b64 exec, exec, s[6:7]
	s_cbranch_execnz .LBB9_2324
.LBB9_274:
	s_or_b64 exec, exec, s[6:7]
	s_and_saveexec_b64 s[6:7], s[4:5]
	s_cbranch_execz .LBB9_276
.LBB9_275:
	v_bfe_u32 v20, v14, 16, 3
	v_ffbh_u32_e32 v23, v20
	v_min_u32_e32 v23, 32, v23
	v_lshrrev_b32_e32 v21, 19, v14
	v_subrev_u32_e32 v24, 28, v23
	v_and_b32_e32 v21, 15, v21
	v_lshlrev_b32_sdwa v24, v24, v14 dst_sel:DWORD dst_unused:UNUSED_PAD src0_sel:DWORD src1_sel:WORD_1
	v_bfe_u32 v22, v14, 19, 4
	v_sub_u32_e32 v23, 29, v23
	v_and_b32_e32 v24, 7, v24
	v_cmp_eq_u16_e32 vcc, 0, v21
	v_cndmask_b32_e32 v20, v20, v24, vcc
	v_cndmask_b32_e32 v21, v22, v23, vcc
	v_lshlrev_b32_e32 v22, 8, v14
	v_mov_b32_e32 v23, 0x3b800000
	v_lshlrev_b32_e32 v20, 20, v20
	v_and_b32_e32 v22, 0x80000000, v22
	v_lshl_add_u32 v21, v21, 23, v23
	v_or3_b32 v20, v22, v21, v20
.LBB9_276:
	s_or_b64 exec, exec, s[6:7]
	s_movk_i32 s4, 0xff
	v_and_b32_sdwa v21, v10, s4 dst_sel:DWORD dst_unused:UNUSED_PAD src0_sel:WORD_1 src1_sel:DWORD
	s_movk_i32 s4, 0x7f
	v_cmp_lt_i16_e32 vcc, s4, v21
	s_mov_b64 s[4:5], 0
                                        ; implicit-def: $sgpr10
	s_and_saveexec_b64 s[6:7], vcc
	s_xor_b64 s[6:7], exec, s[6:7]
	s_cbranch_execnz .LBB9_2325
; %bb.277:
	s_or_saveexec_b64 s[6:7], s[6:7]
	v_mov_b32_e32 v22, s10
	s_xor_b64 exec, exec, s[6:7]
	s_cbranch_execnz .LBB9_2328
.LBB9_278:
	s_or_b64 exec, exec, s[6:7]
	s_and_saveexec_b64 s[6:7], s[4:5]
	s_cbranch_execz .LBB9_280
.LBB9_279:
	v_bfe_u32 v21, v10, 16, 3
	v_ffbh_u32_e32 v24, v21
	v_min_u32_e32 v24, 32, v24
	v_lshrrev_b32_e32 v22, 19, v10
	v_subrev_u32_e32 v25, 28, v24
	v_and_b32_e32 v22, 15, v22
	v_lshlrev_b32_sdwa v25, v25, v10 dst_sel:DWORD dst_unused:UNUSED_PAD src0_sel:DWORD src1_sel:WORD_1
	v_bfe_u32 v23, v10, 19, 4
	v_sub_u32_e32 v24, 29, v24
	v_and_b32_e32 v25, 7, v25
	v_cmp_eq_u16_e32 vcc, 0, v22
	v_cndmask_b32_e32 v21, v21, v25, vcc
	v_cndmask_b32_e32 v22, v23, v24, vcc
	v_lshlrev_b32_e32 v23, 8, v10
	v_mov_b32_e32 v24, 0x3b800000
	v_lshlrev_b32_e32 v21, 20, v21
	v_and_b32_e32 v23, 0x80000000, v23
	v_lshl_add_u32 v22, v22, 23, v24
	v_or3_b32 v22, v23, v22, v21
.LBB9_280:
	s_or_b64 exec, exec, s[6:7]
	s_nop 0
	v_mfma_f32_16x16x4f32 a[0:3], v20, v22, a[0:3]
	s_movk_i32 s4, 0x7f
	v_cmp_gt_i16_sdwa s[6:7], v14, s4 src0_sel:BYTE_3 src1_sel:DWORD
	s_mov_b64 s[4:5], 0
                                        ; implicit-def: $sgpr10
	s_and_saveexec_b64 s[8:9], s[6:7]
	s_xor_b64 s[6:7], exec, s[8:9]
	s_cbranch_execnz .LBB9_2329
; %bb.281:
	s_or_saveexec_b64 s[6:7], s[6:7]
	v_mov_b32_e32 v20, s10
	s_xor_b64 exec, exec, s[6:7]
	s_cbranch_execnz .LBB9_2332
.LBB9_282:
	s_or_b64 exec, exec, s[6:7]
	s_and_saveexec_b64 s[6:7], s[4:5]
	s_cbranch_execz .LBB9_284
.LBB9_283:
	v_bfe_u32 v20, v14, 24, 3
	v_ffbh_u32_e32 v24, v20
	v_min_u32_e32 v24, 32, v24
	v_lshrrev_b32_e32 v22, 27, v14
	v_subrev_u32_e32 v25, 28, v24
	v_and_b32_e32 v21, 0x80000000, v14
	v_and_b32_e32 v22, 15, v22
	v_bfe_u32 v23, v14, 27, 4
	v_lshlrev_b32_sdwa v14, v25, v14 dst_sel:DWORD dst_unused:UNUSED_PAD src0_sel:DWORD src1_sel:BYTE_3
	v_sub_u32_e32 v24, 29, v24
	v_and_b32_e32 v14, 7, v14
	v_cmp_eq_u16_e32 vcc, 0, v22
	v_cndmask_b32_e32 v14, v20, v14, vcc
	v_cndmask_b32_e32 v20, v23, v24, vcc
	v_mov_b32_e32 v22, 0x3b800000
	v_lshlrev_b32_e32 v14, 20, v14
	v_lshl_add_u32 v20, v20, 23, v22
	v_or3_b32 v20, v21, v20, v14
.LBB9_284:
	s_or_b64 exec, exec, s[6:7]
	s_movk_i32 s4, 0x7f
	v_cmp_gt_i16_sdwa s[6:7], v10, s4 src0_sel:BYTE_3 src1_sel:DWORD
	s_mov_b64 s[4:5], 0
                                        ; implicit-def: $sgpr10
	s_and_saveexec_b64 s[8:9], s[6:7]
	s_xor_b64 s[6:7], exec, s[8:9]
	s_cbranch_execnz .LBB9_2333
; %bb.285:
	s_or_saveexec_b64 s[6:7], s[6:7]
	v_mov_b32_e32 v14, s10
	s_xor_b64 exec, exec, s[6:7]
	s_cbranch_execnz .LBB9_2336
.LBB9_286:
	s_or_b64 exec, exec, s[6:7]
	s_and_saveexec_b64 s[6:7], s[4:5]
	s_cbranch_execz .LBB9_288
.LBB9_287:
	v_bfe_u32 v14, v10, 24, 3
	v_ffbh_u32_e32 v24, v14
	v_min_u32_e32 v24, 32, v24
	v_lshrrev_b32_e32 v22, 27, v10
	v_subrev_u32_e32 v25, 28, v24
	v_and_b32_e32 v21, 0x80000000, v10
	v_and_b32_e32 v22, 15, v22
	v_bfe_u32 v23, v10, 27, 4
	v_lshlrev_b32_sdwa v10, v25, v10 dst_sel:DWORD dst_unused:UNUSED_PAD src0_sel:DWORD src1_sel:BYTE_3
	v_sub_u32_e32 v24, 29, v24
	v_and_b32_e32 v10, 7, v10
	v_cmp_eq_u16_e32 vcc, 0, v22
	v_cndmask_b32_e32 v10, v14, v10, vcc
	v_cndmask_b32_e32 v14, v23, v24, vcc
	v_mov_b32_e32 v22, 0x3b800000
	v_lshlrev_b32_e32 v10, 20, v10
	v_lshl_add_u32 v14, v14, 23, v22
	v_or3_b32 v14, v21, v14, v10
.LBB9_288:
	s_or_b64 exec, exec, s[6:7]
	s_nop 0
	v_mfma_f32_16x16x4f32 a[0:3], v20, v14, a[0:3]
	s_movk_i32 s4, 0x7f
	v_cmp_gt_i16_sdwa s[6:7], v15, s4 src0_sel:BYTE_0 src1_sel:DWORD
	s_mov_b64 s[4:5], 0
                                        ; implicit-def: $sgpr10
	s_and_saveexec_b64 s[8:9], s[6:7]
	s_xor_b64 s[6:7], exec, s[8:9]
	s_cbranch_execnz .LBB9_2337
; %bb.289:
	s_or_saveexec_b64 s[6:7], s[6:7]
	v_mov_b32_e32 v10, s10
	s_xor_b64 exec, exec, s[6:7]
	s_cbranch_execnz .LBB9_2340
.LBB9_290:
	s_or_b64 exec, exec, s[6:7]
	s_and_saveexec_b64 s[6:7], s[4:5]
	s_cbranch_execz .LBB9_292
.LBB9_291:
	v_and_b32_e32 v10, 7, v15
	v_ffbh_u32_e32 v20, v10
	v_min_u32_e32 v20, 32, v20
	v_lshrrev_b16_e32 v14, 3, v15
	v_subrev_u32_e32 v21, 28, v20
	v_and_b32_e32 v14, 15, v14
	v_lshlrev_b32_e32 v21, v21, v15
	v_sub_u32_e32 v20, 29, v20
	v_and_b32_e32 v21, 7, v21
	v_cmp_eq_u16_e32 vcc, 0, v14
	v_cndmask_b32_e32 v10, v10, v21, vcc
	v_cndmask_b32_e32 v14, v14, v20, vcc
	v_lshlrev_b32_e32 v20, 24, v15
	v_mov_b32_e32 v21, 0x3b800000
	v_lshlrev_b32_e32 v10, 20, v10
	v_and_b32_e32 v20, 0x80000000, v20
	v_lshl_add_u32 v14, v14, 23, v21
	v_or3_b32 v10, v20, v14, v10
.LBB9_292:
	s_or_b64 exec, exec, s[6:7]
	s_movk_i32 s4, 0x7f
	v_cmp_gt_i16_sdwa s[6:7], v11, s4 src0_sel:BYTE_0 src1_sel:DWORD
	s_mov_b64 s[4:5], 0
                                        ; implicit-def: $sgpr10
	s_and_saveexec_b64 s[8:9], s[6:7]
	s_xor_b64 s[6:7], exec, s[8:9]
	s_cbranch_execnz .LBB9_2341
; %bb.293:
	s_or_saveexec_b64 s[6:7], s[6:7]
	v_mov_b32_e32 v14, s10
	s_xor_b64 exec, exec, s[6:7]
	s_cbranch_execnz .LBB9_2344
.LBB9_294:
	s_or_b64 exec, exec, s[6:7]
	s_and_saveexec_b64 s[6:7], s[4:5]
	s_cbranch_execz .LBB9_296
.LBB9_295:
	v_and_b32_e32 v14, 7, v11
	v_ffbh_u32_e32 v21, v14
	v_min_u32_e32 v21, 32, v21
	v_lshrrev_b16_e32 v20, 3, v11
	v_subrev_u32_e32 v22, 28, v21
	v_and_b32_e32 v20, 15, v20
	v_lshlrev_b32_e32 v22, v22, v11
	v_sub_u32_e32 v21, 29, v21
	v_and_b32_e32 v22, 7, v22
	v_cmp_eq_u16_e32 vcc, 0, v20
	v_cndmask_b32_e32 v14, v14, v22, vcc
	v_cndmask_b32_e32 v20, v20, v21, vcc
	v_lshlrev_b32_e32 v21, 24, v11
	v_mov_b32_e32 v22, 0x3b800000
	v_lshlrev_b32_e32 v14, 20, v14
	v_and_b32_e32 v21, 0x80000000, v21
	v_lshl_add_u32 v20, v20, 23, v22
	v_or3_b32 v14, v21, v20, v14
.LBB9_296:
	s_or_b64 exec, exec, s[6:7]
	s_nop 0
	v_mfma_f32_16x16x4f32 a[0:3], v10, v14, a[0:3]
	v_lshrrev_b32_e32 v14, 8, v15
	s_movk_i32 s4, 0x7f
	v_cmp_gt_i16_sdwa s[6:7], v14, s4 src0_sel:BYTE_0 src1_sel:DWORD
	s_mov_b64 s[4:5], 0
                                        ; implicit-def: $sgpr10
	s_and_saveexec_b64 s[8:9], s[6:7]
	s_xor_b64 s[6:7], exec, s[8:9]
	s_cbranch_execnz .LBB9_2345
; %bb.297:
	s_or_saveexec_b64 s[6:7], s[6:7]
	v_mov_b32_e32 v10, s10
	s_xor_b64 exec, exec, s[6:7]
	s_cbranch_execnz .LBB9_2348
.LBB9_298:
	s_or_b64 exec, exec, s[6:7]
	s_and_saveexec_b64 s[6:7], s[4:5]
	s_cbranch_execz .LBB9_300
.LBB9_299:
	v_bfe_u32 v10, v15, 8, 3
	v_ffbh_u32_e32 v21, v10
	v_min_u32_e32 v21, 32, v21
	v_lshrrev_b16_e32 v20, 3, v14
	v_subrev_u32_e32 v22, 28, v21
	v_and_b32_e32 v20, 15, v20
	v_lshlrev_b32_e32 v14, v22, v14
	v_sub_u32_e32 v21, 29, v21
	v_and_b32_e32 v14, 7, v14
	v_cmp_eq_u16_e32 vcc, 0, v20
	v_cndmask_b32_e32 v10, v10, v14, vcc
	v_cndmask_b32_e32 v14, v20, v21, vcc
	v_lshlrev_b32_e32 v20, 16, v15
	v_mov_b32_e32 v21, 0x3b800000
	v_lshlrev_b32_e32 v10, 20, v10
	v_and_b32_e32 v20, 0x80000000, v20
	v_lshl_add_u32 v14, v14, 23, v21
	v_or3_b32 v10, v20, v14, v10
.LBB9_300:
	s_or_b64 exec, exec, s[6:7]
	v_lshrrev_b32_e32 v14, 8, v11
	s_movk_i32 s4, 0x7f
	v_cmp_gt_i16_sdwa s[6:7], v14, s4 src0_sel:BYTE_0 src1_sel:DWORD
	s_mov_b64 s[4:5], 0
                                        ; implicit-def: $sgpr10
	s_and_saveexec_b64 s[8:9], s[6:7]
	s_xor_b64 s[6:7], exec, s[8:9]
	s_cbranch_execnz .LBB9_2349
; %bb.301:
	s_or_saveexec_b64 s[6:7], s[6:7]
	v_mov_b32_e32 v20, s10
	s_xor_b64 exec, exec, s[6:7]
	s_cbranch_execnz .LBB9_2352
.LBB9_302:
	s_or_b64 exec, exec, s[6:7]
	s_and_saveexec_b64 s[6:7], s[4:5]
	s_cbranch_execz .LBB9_304
.LBB9_303:
	v_bfe_u32 v20, v11, 8, 3
	v_ffbh_u32_e32 v22, v20
	v_min_u32_e32 v22, 32, v22
	v_lshrrev_b16_e32 v21, 3, v14
	v_subrev_u32_e32 v23, 28, v22
	v_and_b32_e32 v21, 15, v21
	v_lshlrev_b32_e32 v14, v23, v14
	v_sub_u32_e32 v22, 29, v22
	v_and_b32_e32 v14, 7, v14
	v_cmp_eq_u16_e32 vcc, 0, v21
	v_cndmask_b32_e32 v14, v20, v14, vcc
	v_cndmask_b32_e32 v20, v21, v22, vcc
	v_lshlrev_b32_e32 v21, 16, v11
	v_mov_b32_e32 v22, 0x3b800000
	v_lshlrev_b32_e32 v14, 20, v14
	v_and_b32_e32 v21, 0x80000000, v21
	v_lshl_add_u32 v20, v20, 23, v22
	v_or3_b32 v20, v21, v20, v14
.LBB9_304:
	s_or_b64 exec, exec, s[6:7]
	s_nop 0
	v_mfma_f32_16x16x4f32 a[0:3], v10, v20, a[0:3]
	s_movk_i32 s4, 0xff
	v_and_b32_sdwa v14, v15, s4 dst_sel:DWORD dst_unused:UNUSED_PAD src0_sel:WORD_1 src1_sel:DWORD
	s_movk_i32 s4, 0x7f
	v_cmp_lt_i16_e32 vcc, s4, v14
	s_mov_b64 s[4:5], 0
                                        ; implicit-def: $sgpr10
	s_and_saveexec_b64 s[6:7], vcc
	s_xor_b64 s[6:7], exec, s[6:7]
	s_cbranch_execnz .LBB9_2353
; %bb.305:
	s_or_saveexec_b64 s[6:7], s[6:7]
	v_mov_b32_e32 v10, s10
	s_xor_b64 exec, exec, s[6:7]
	s_cbranch_execnz .LBB9_2356
.LBB9_306:
	s_or_b64 exec, exec, s[6:7]
	s_and_saveexec_b64 s[6:7], s[4:5]
	s_cbranch_execz .LBB9_308
.LBB9_307:
	v_bfe_u32 v10, v15, 16, 3
	v_ffbh_u32_e32 v21, v10
	v_min_u32_e32 v21, 32, v21
	v_lshrrev_b32_e32 v14, 19, v15
	v_subrev_u32_e32 v22, 28, v21
	v_and_b32_e32 v14, 15, v14
	v_lshlrev_b32_sdwa v22, v22, v15 dst_sel:DWORD dst_unused:UNUSED_PAD src0_sel:DWORD src1_sel:WORD_1
	v_bfe_u32 v20, v15, 19, 4
	v_sub_u32_e32 v21, 29, v21
	v_and_b32_e32 v22, 7, v22
	v_cmp_eq_u16_e32 vcc, 0, v14
	v_cndmask_b32_e32 v10, v10, v22, vcc
	v_cndmask_b32_e32 v14, v20, v21, vcc
	v_lshlrev_b32_e32 v20, 8, v15
	v_mov_b32_e32 v21, 0x3b800000
	v_lshlrev_b32_e32 v10, 20, v10
	v_and_b32_e32 v20, 0x80000000, v20
	v_lshl_add_u32 v14, v14, 23, v21
	v_or3_b32 v10, v20, v14, v10
.LBB9_308:
	s_or_b64 exec, exec, s[6:7]
	s_movk_i32 s4, 0xff
	v_and_b32_sdwa v14, v11, s4 dst_sel:DWORD dst_unused:UNUSED_PAD src0_sel:WORD_1 src1_sel:DWORD
	s_movk_i32 s4, 0x7f
	v_cmp_lt_i16_e32 vcc, s4, v14
	s_mov_b64 s[4:5], 0
                                        ; implicit-def: $sgpr10
	s_and_saveexec_b64 s[6:7], vcc
	s_xor_b64 s[6:7], exec, s[6:7]
	s_cbranch_execnz .LBB9_2357
; %bb.309:
	s_or_saveexec_b64 s[6:7], s[6:7]
	v_mov_b32_e32 v20, s10
	s_xor_b64 exec, exec, s[6:7]
	s_cbranch_execnz .LBB9_2360
.LBB9_310:
	s_or_b64 exec, exec, s[6:7]
	s_and_saveexec_b64 s[6:7], s[4:5]
	s_cbranch_execz .LBB9_312
.LBB9_311:
	v_bfe_u32 v14, v11, 16, 3
	v_ffbh_u32_e32 v22, v14
	v_min_u32_e32 v22, 32, v22
	v_lshrrev_b32_e32 v20, 19, v11
	v_subrev_u32_e32 v23, 28, v22
	v_and_b32_e32 v20, 15, v20
	v_lshlrev_b32_sdwa v23, v23, v11 dst_sel:DWORD dst_unused:UNUSED_PAD src0_sel:DWORD src1_sel:WORD_1
	v_bfe_u32 v21, v11, 19, 4
	v_sub_u32_e32 v22, 29, v22
	v_and_b32_e32 v23, 7, v23
	v_cmp_eq_u16_e32 vcc, 0, v20
	v_cndmask_b32_e32 v14, v14, v23, vcc
	v_cndmask_b32_e32 v20, v21, v22, vcc
	v_lshlrev_b32_e32 v21, 8, v11
	v_mov_b32_e32 v22, 0x3b800000
	v_lshlrev_b32_e32 v14, 20, v14
	v_and_b32_e32 v21, 0x80000000, v21
	v_lshl_add_u32 v20, v20, 23, v22
	v_or3_b32 v20, v21, v20, v14
.LBB9_312:
	s_or_b64 exec, exec, s[6:7]
	s_nop 0
	v_mfma_f32_16x16x4f32 a[0:3], v10, v20, a[0:3]
	s_movk_i32 s4, 0x7f
	v_cmp_gt_i16_sdwa s[6:7], v15, s4 src0_sel:BYTE_3 src1_sel:DWORD
	s_mov_b64 s[4:5], 0
                                        ; implicit-def: $sgpr10
	s_and_saveexec_b64 s[8:9], s[6:7]
	s_xor_b64 s[6:7], exec, s[8:9]
	s_cbranch_execnz .LBB9_2361
; %bb.313:
	s_or_saveexec_b64 s[6:7], s[6:7]
	v_mov_b32_e32 v10, s10
	s_xor_b64 exec, exec, s[6:7]
	s_cbranch_execnz .LBB9_2364
.LBB9_314:
	s_or_b64 exec, exec, s[6:7]
	s_and_saveexec_b64 s[6:7], s[4:5]
	s_cbranch_execz .LBB9_316
.LBB9_315:
	v_bfe_u32 v10, v15, 24, 3
	v_ffbh_u32_e32 v22, v10
	v_min_u32_e32 v22, 32, v22
	v_lshrrev_b32_e32 v20, 27, v15
	v_subrev_u32_e32 v23, 28, v22
	v_and_b32_e32 v14, 0x80000000, v15
	v_and_b32_e32 v20, 15, v20
	v_bfe_u32 v21, v15, 27, 4
	v_lshlrev_b32_sdwa v15, v23, v15 dst_sel:DWORD dst_unused:UNUSED_PAD src0_sel:DWORD src1_sel:BYTE_3
	v_sub_u32_e32 v22, 29, v22
	v_and_b32_e32 v15, 7, v15
	v_cmp_eq_u16_e32 vcc, 0, v20
	v_cndmask_b32_e32 v10, v10, v15, vcc
	v_cndmask_b32_e32 v15, v21, v22, vcc
	v_mov_b32_e32 v20, 0x3b800000
	v_lshlrev_b32_e32 v10, 20, v10
	v_lshl_add_u32 v15, v15, 23, v20
	v_or3_b32 v10, v14, v15, v10
.LBB9_316:
	s_or_b64 exec, exec, s[6:7]
	s_movk_i32 s4, 0x7f
	v_cmp_gt_i16_sdwa s[6:7], v11, s4 src0_sel:BYTE_3 src1_sel:DWORD
	s_mov_b64 s[4:5], 0
                                        ; implicit-def: $sgpr10
	s_and_saveexec_b64 s[8:9], s[6:7]
	s_xor_b64 s[6:7], exec, s[8:9]
	s_cbranch_execnz .LBB9_2365
; %bb.317:
	s_or_saveexec_b64 s[6:7], s[6:7]
	v_mov_b32_e32 v14, s10
	s_xor_b64 exec, exec, s[6:7]
	s_cbranch_execnz .LBB9_2368
.LBB9_318:
	s_or_b64 exec, exec, s[6:7]
	s_and_saveexec_b64 s[6:7], s[4:5]
	s_cbranch_execz .LBB9_320
.LBB9_319:
	v_bfe_u32 v14, v11, 24, 3
	v_ffbh_u32_e32 v22, v14
	v_min_u32_e32 v22, 32, v22
	v_lshrrev_b32_e32 v20, 27, v11
	v_subrev_u32_e32 v23, 28, v22
	v_and_b32_e32 v15, 0x80000000, v11
	v_and_b32_e32 v20, 15, v20
	v_bfe_u32 v21, v11, 27, 4
	v_lshlrev_b32_sdwa v11, v23, v11 dst_sel:DWORD dst_unused:UNUSED_PAD src0_sel:DWORD src1_sel:BYTE_3
	v_sub_u32_e32 v22, 29, v22
	v_and_b32_e32 v11, 7, v11
	v_cmp_eq_u16_e32 vcc, 0, v20
	v_cndmask_b32_e32 v11, v14, v11, vcc
	v_cndmask_b32_e32 v14, v21, v22, vcc
	v_mov_b32_e32 v20, 0x3b800000
	v_lshlrev_b32_e32 v11, 20, v11
	v_lshl_add_u32 v14, v14, 23, v20
	v_or3_b32 v14, v15, v14, v11
.LBB9_320:
	s_or_b64 exec, exec, s[6:7]
	s_nop 0
	v_mfma_f32_16x16x4f32 a[0:3], v10, v14, a[0:3]
	s_movk_i32 s4, 0x7f
	v_cmp_gt_i16_sdwa s[6:7], v16, s4 src0_sel:BYTE_0 src1_sel:DWORD
	s_mov_b64 s[4:5], 0
                                        ; implicit-def: $sgpr10
	s_and_saveexec_b64 s[8:9], s[6:7]
	s_xor_b64 s[6:7], exec, s[8:9]
	s_cbranch_execnz .LBB9_2369
; %bb.321:
	s_or_saveexec_b64 s[6:7], s[6:7]
	v_mov_b32_e32 v10, s10
	s_xor_b64 exec, exec, s[6:7]
	s_cbranch_execnz .LBB9_2372
.LBB9_322:
	s_or_b64 exec, exec, s[6:7]
	s_and_saveexec_b64 s[6:7], s[4:5]
	s_cbranch_execz .LBB9_324
.LBB9_323:
	v_and_b32_e32 v10, 7, v16
	v_ffbh_u32_e32 v14, v10
	v_min_u32_e32 v14, 32, v14
	v_lshrrev_b16_e32 v11, 3, v16
	v_subrev_u32_e32 v15, 28, v14
	v_and_b32_e32 v11, 15, v11
	v_lshlrev_b32_e32 v15, v15, v16
	v_sub_u32_e32 v14, 29, v14
	v_and_b32_e32 v15, 7, v15
	v_cmp_eq_u16_e32 vcc, 0, v11
	v_cndmask_b32_e32 v10, v10, v15, vcc
	v_cndmask_b32_e32 v11, v11, v14, vcc
	v_lshlrev_b32_e32 v14, 24, v16
	v_mov_b32_e32 v15, 0x3b800000
	v_lshlrev_b32_e32 v10, 20, v10
	v_and_b32_e32 v14, 0x80000000, v14
	v_lshl_add_u32 v11, v11, 23, v15
	v_or3_b32 v10, v14, v11, v10
.LBB9_324:
	s_or_b64 exec, exec, s[6:7]
	s_movk_i32 s4, 0x7f
	v_cmp_gt_i16_sdwa s[6:7], v12, s4 src0_sel:BYTE_0 src1_sel:DWORD
	s_mov_b64 s[4:5], 0
                                        ; implicit-def: $sgpr10
	s_and_saveexec_b64 s[8:9], s[6:7]
	s_xor_b64 s[6:7], exec, s[8:9]
	s_cbranch_execnz .LBB9_2373
; %bb.325:
	s_or_saveexec_b64 s[6:7], s[6:7]
	v_mov_b32_e32 v11, s10
	s_xor_b64 exec, exec, s[6:7]
	s_cbranch_execnz .LBB9_2376
.LBB9_326:
	s_or_b64 exec, exec, s[6:7]
	s_and_saveexec_b64 s[6:7], s[4:5]
	s_cbranch_execz .LBB9_328
.LBB9_327:
	v_and_b32_e32 v11, 7, v12
	v_ffbh_u32_e32 v15, v11
	v_min_u32_e32 v15, 32, v15
	v_lshrrev_b16_e32 v14, 3, v12
	v_subrev_u32_e32 v20, 28, v15
	v_and_b32_e32 v14, 15, v14
	v_lshlrev_b32_e32 v20, v20, v12
	v_sub_u32_e32 v15, 29, v15
	v_and_b32_e32 v20, 7, v20
	v_cmp_eq_u16_e32 vcc, 0, v14
	v_cndmask_b32_e32 v11, v11, v20, vcc
	v_cndmask_b32_e32 v14, v14, v15, vcc
	v_lshlrev_b32_e32 v15, 24, v12
	v_mov_b32_e32 v20, 0x3b800000
	v_lshlrev_b32_e32 v11, 20, v11
	v_and_b32_e32 v15, 0x80000000, v15
	v_lshl_add_u32 v14, v14, 23, v20
	v_or3_b32 v11, v15, v14, v11
.LBB9_328:
	s_or_b64 exec, exec, s[6:7]
	s_nop 0
	v_mfma_f32_16x16x4f32 a[0:3], v10, v11, a[0:3]
	v_lshrrev_b32_e32 v11, 8, v16
	s_movk_i32 s4, 0x7f
	v_cmp_gt_i16_sdwa s[6:7], v11, s4 src0_sel:BYTE_0 src1_sel:DWORD
	s_mov_b64 s[4:5], 0
                                        ; implicit-def: $sgpr10
	s_and_saveexec_b64 s[8:9], s[6:7]
	s_xor_b64 s[6:7], exec, s[8:9]
	s_cbranch_execnz .LBB9_2377
; %bb.329:
	s_or_saveexec_b64 s[6:7], s[6:7]
	v_mov_b32_e32 v10, s10
	s_xor_b64 exec, exec, s[6:7]
	s_cbranch_execnz .LBB9_2380
.LBB9_330:
	s_or_b64 exec, exec, s[6:7]
	s_and_saveexec_b64 s[6:7], s[4:5]
	s_cbranch_execz .LBB9_332
.LBB9_331:
	v_bfe_u32 v10, v16, 8, 3
	v_ffbh_u32_e32 v15, v10
	v_min_u32_e32 v15, 32, v15
	v_lshrrev_b16_e32 v14, 3, v11
	v_subrev_u32_e32 v20, 28, v15
	v_and_b32_e32 v14, 15, v14
	v_lshlrev_b32_e32 v11, v20, v11
	v_sub_u32_e32 v15, 29, v15
	v_and_b32_e32 v11, 7, v11
	v_cmp_eq_u16_e32 vcc, 0, v14
	v_cndmask_b32_e32 v10, v10, v11, vcc
	v_cndmask_b32_e32 v11, v14, v15, vcc
	v_lshlrev_b32_e32 v14, 16, v16
	v_mov_b32_e32 v15, 0x3b800000
	v_lshlrev_b32_e32 v10, 20, v10
	v_and_b32_e32 v14, 0x80000000, v14
	v_lshl_add_u32 v11, v11, 23, v15
	v_or3_b32 v10, v14, v11, v10
.LBB9_332:
	s_or_b64 exec, exec, s[6:7]
	v_lshrrev_b32_e32 v11, 8, v12
	s_movk_i32 s4, 0x7f
	v_cmp_gt_i16_sdwa s[6:7], v11, s4 src0_sel:BYTE_0 src1_sel:DWORD
	s_mov_b64 s[4:5], 0
                                        ; implicit-def: $sgpr10
	s_and_saveexec_b64 s[8:9], s[6:7]
	s_xor_b64 s[6:7], exec, s[8:9]
	s_cbranch_execnz .LBB9_2381
; %bb.333:
	s_or_saveexec_b64 s[6:7], s[6:7]
	v_mov_b32_e32 v14, s10
	s_xor_b64 exec, exec, s[6:7]
	s_cbranch_execnz .LBB9_2384
.LBB9_334:
	s_or_b64 exec, exec, s[6:7]
	s_and_saveexec_b64 s[6:7], s[4:5]
	s_cbranch_execz .LBB9_336
.LBB9_335:
	v_bfe_u32 v14, v12, 8, 3
	v_ffbh_u32_e32 v20, v14
	v_min_u32_e32 v20, 32, v20
	v_lshrrev_b16_e32 v15, 3, v11
	v_subrev_u32_e32 v21, 28, v20
	v_and_b32_e32 v15, 15, v15
	v_lshlrev_b32_e32 v11, v21, v11
	v_sub_u32_e32 v20, 29, v20
	v_and_b32_e32 v11, 7, v11
	v_cmp_eq_u16_e32 vcc, 0, v15
	v_cndmask_b32_e32 v11, v14, v11, vcc
	v_cndmask_b32_e32 v14, v15, v20, vcc
	v_lshlrev_b32_e32 v15, 16, v12
	v_mov_b32_e32 v20, 0x3b800000
	v_lshlrev_b32_e32 v11, 20, v11
	v_and_b32_e32 v15, 0x80000000, v15
	v_lshl_add_u32 v14, v14, 23, v20
	v_or3_b32 v14, v15, v14, v11
.LBB9_336:
	s_or_b64 exec, exec, s[6:7]
	s_nop 0
	v_mfma_f32_16x16x4f32 a[0:3], v10, v14, a[0:3]
	s_movk_i32 s4, 0xff
	v_and_b32_sdwa v11, v16, s4 dst_sel:DWORD dst_unused:UNUSED_PAD src0_sel:WORD_1 src1_sel:DWORD
	s_movk_i32 s4, 0x7f
	v_cmp_lt_i16_e32 vcc, s4, v11
	s_mov_b64 s[4:5], 0
                                        ; implicit-def: $sgpr10
	s_and_saveexec_b64 s[6:7], vcc
	s_xor_b64 s[6:7], exec, s[6:7]
	s_cbranch_execnz .LBB9_2385
; %bb.337:
	s_or_saveexec_b64 s[6:7], s[6:7]
	v_mov_b32_e32 v10, s10
	s_xor_b64 exec, exec, s[6:7]
	s_cbranch_execnz .LBB9_2388
.LBB9_338:
	s_or_b64 exec, exec, s[6:7]
	s_and_saveexec_b64 s[6:7], s[4:5]
	s_cbranch_execz .LBB9_340
.LBB9_339:
	v_bfe_u32 v10, v16, 16, 3
	v_ffbh_u32_e32 v15, v10
	v_min_u32_e32 v15, 32, v15
	v_lshrrev_b32_e32 v11, 19, v16
	v_subrev_u32_e32 v20, 28, v15
	v_and_b32_e32 v11, 15, v11
	v_lshlrev_b32_sdwa v20, v20, v16 dst_sel:DWORD dst_unused:UNUSED_PAD src0_sel:DWORD src1_sel:WORD_1
	v_bfe_u32 v14, v16, 19, 4
	v_sub_u32_e32 v15, 29, v15
	v_and_b32_e32 v20, 7, v20
	v_cmp_eq_u16_e32 vcc, 0, v11
	v_cndmask_b32_e32 v10, v10, v20, vcc
	v_cndmask_b32_e32 v11, v14, v15, vcc
	v_lshlrev_b32_e32 v14, 8, v16
	v_mov_b32_e32 v15, 0x3b800000
	v_lshlrev_b32_e32 v10, 20, v10
	v_and_b32_e32 v14, 0x80000000, v14
	v_lshl_add_u32 v11, v11, 23, v15
	v_or3_b32 v10, v14, v11, v10
.LBB9_340:
	s_or_b64 exec, exec, s[6:7]
	s_movk_i32 s4, 0xff
	v_and_b32_sdwa v11, v12, s4 dst_sel:DWORD dst_unused:UNUSED_PAD src0_sel:WORD_1 src1_sel:DWORD
	s_movk_i32 s4, 0x7f
	v_cmp_lt_i16_e32 vcc, s4, v11
	s_mov_b64 s[4:5], 0
                                        ; implicit-def: $sgpr10
	s_and_saveexec_b64 s[6:7], vcc
	s_xor_b64 s[6:7], exec, s[6:7]
	s_cbranch_execnz .LBB9_2389
; %bb.341:
	s_or_saveexec_b64 s[6:7], s[6:7]
	v_mov_b32_e32 v14, s10
	s_xor_b64 exec, exec, s[6:7]
	s_cbranch_execnz .LBB9_2392
.LBB9_342:
	s_or_b64 exec, exec, s[6:7]
	s_and_saveexec_b64 s[6:7], s[4:5]
	s_cbranch_execz .LBB9_344
.LBB9_343:
	v_bfe_u32 v11, v12, 16, 3
	v_ffbh_u32_e32 v20, v11
	v_min_u32_e32 v20, 32, v20
	v_lshrrev_b32_e32 v14, 19, v12
	v_subrev_u32_e32 v21, 28, v20
	v_and_b32_e32 v14, 15, v14
	v_lshlrev_b32_sdwa v21, v21, v12 dst_sel:DWORD dst_unused:UNUSED_PAD src0_sel:DWORD src1_sel:WORD_1
	v_bfe_u32 v15, v12, 19, 4
	v_sub_u32_e32 v20, 29, v20
	v_and_b32_e32 v21, 7, v21
	v_cmp_eq_u16_e32 vcc, 0, v14
	v_cndmask_b32_e32 v11, v11, v21, vcc
	v_cndmask_b32_e32 v14, v15, v20, vcc
	v_lshlrev_b32_e32 v15, 8, v12
	v_mov_b32_e32 v20, 0x3b800000
	v_lshlrev_b32_e32 v11, 20, v11
	v_and_b32_e32 v15, 0x80000000, v15
	v_lshl_add_u32 v14, v14, 23, v20
	v_or3_b32 v14, v15, v14, v11
.LBB9_344:
	s_or_b64 exec, exec, s[6:7]
	s_nop 0
	v_mfma_f32_16x16x4f32 a[0:3], v10, v14, a[0:3]
	s_movk_i32 s4, 0x7f
	v_cmp_gt_i16_sdwa s[6:7], v16, s4 src0_sel:BYTE_3 src1_sel:DWORD
	s_mov_b64 s[4:5], 0
                                        ; implicit-def: $sgpr10
	s_and_saveexec_b64 s[8:9], s[6:7]
	s_xor_b64 s[6:7], exec, s[8:9]
	s_cbranch_execnz .LBB9_2393
; %bb.345:
	s_or_saveexec_b64 s[6:7], s[6:7]
	v_mov_b32_e32 v10, s10
	s_xor_b64 exec, exec, s[6:7]
	s_cbranch_execnz .LBB9_2396
.LBB9_346:
	s_or_b64 exec, exec, s[6:7]
	s_and_saveexec_b64 s[6:7], s[4:5]
	s_cbranch_execz .LBB9_348
.LBB9_347:
	v_bfe_u32 v10, v16, 24, 3
	v_ffbh_u32_e32 v20, v10
	v_min_u32_e32 v20, 32, v20
	v_lshrrev_b32_e32 v14, 27, v16
	v_subrev_u32_e32 v21, 28, v20
	v_and_b32_e32 v11, 0x80000000, v16
	v_and_b32_e32 v14, 15, v14
	v_bfe_u32 v15, v16, 27, 4
	v_lshlrev_b32_sdwa v16, v21, v16 dst_sel:DWORD dst_unused:UNUSED_PAD src0_sel:DWORD src1_sel:BYTE_3
	v_sub_u32_e32 v20, 29, v20
	v_and_b32_e32 v16, 7, v16
	v_cmp_eq_u16_e32 vcc, 0, v14
	v_cndmask_b32_e32 v10, v10, v16, vcc
	v_cndmask_b32_e32 v14, v15, v20, vcc
	v_mov_b32_e32 v15, 0x3b800000
	v_lshlrev_b32_e32 v10, 20, v10
	v_lshl_add_u32 v14, v14, 23, v15
	v_or3_b32 v10, v11, v14, v10
.LBB9_348:
	s_or_b64 exec, exec, s[6:7]
	s_movk_i32 s4, 0x7f
	v_cmp_gt_i16_sdwa s[6:7], v12, s4 src0_sel:BYTE_3 src1_sel:DWORD
	s_mov_b64 s[4:5], 0
                                        ; implicit-def: $sgpr10
	s_and_saveexec_b64 s[8:9], s[6:7]
	s_xor_b64 s[6:7], exec, s[8:9]
	s_cbranch_execnz .LBB9_2397
; %bb.349:
	s_or_saveexec_b64 s[6:7], s[6:7]
	v_mov_b32_e32 v11, s10
	s_xor_b64 exec, exec, s[6:7]
	s_cbranch_execnz .LBB9_2400
.LBB9_350:
	s_or_b64 exec, exec, s[6:7]
	s_and_saveexec_b64 s[6:7], s[4:5]
	s_cbranch_execz .LBB9_352
.LBB9_351:
	v_bfe_u32 v11, v12, 24, 3
	v_ffbh_u32_e32 v20, v11
	v_min_u32_e32 v20, 32, v20
	v_lshrrev_b32_e32 v15, 27, v12
	v_subrev_u32_e32 v21, 28, v20
	v_and_b32_e32 v14, 0x80000000, v12
	v_and_b32_e32 v15, 15, v15
	v_bfe_u32 v16, v12, 27, 4
	v_lshlrev_b32_sdwa v12, v21, v12 dst_sel:DWORD dst_unused:UNUSED_PAD src0_sel:DWORD src1_sel:BYTE_3
	v_sub_u32_e32 v20, 29, v20
	v_and_b32_e32 v12, 7, v12
	v_cmp_eq_u16_e32 vcc, 0, v15
	v_cndmask_b32_e32 v11, v11, v12, vcc
	v_cndmask_b32_e32 v12, v16, v20, vcc
	v_mov_b32_e32 v15, 0x3b800000
	v_lshlrev_b32_e32 v11, 20, v11
	v_lshl_add_u32 v12, v12, 23, v15
	v_or3_b32 v11, v14, v12, v11
.LBB9_352:
	s_or_b64 exec, exec, s[6:7]
	s_nop 0
	v_mfma_f32_16x16x4f32 a[0:3], v10, v11, a[0:3]
	s_movk_i32 s4, 0x7f
	v_cmp_gt_i16_sdwa s[6:7], v17, s4 src0_sel:BYTE_0 src1_sel:DWORD
	s_mov_b64 s[4:5], 0
                                        ; implicit-def: $sgpr10
	s_and_saveexec_b64 s[8:9], s[6:7]
	s_xor_b64 s[6:7], exec, s[8:9]
	s_cbranch_execnz .LBB9_2401
; %bb.353:
	s_or_saveexec_b64 s[6:7], s[6:7]
	v_mov_b32_e32 v10, s10
	s_xor_b64 exec, exec, s[6:7]
	s_cbranch_execnz .LBB9_2404
.LBB9_354:
	s_or_b64 exec, exec, s[6:7]
	s_and_saveexec_b64 s[6:7], s[4:5]
	s_cbranch_execz .LBB9_356
.LBB9_355:
	v_and_b32_e32 v10, 7, v17
	v_ffbh_u32_e32 v12, v10
	v_min_u32_e32 v12, 32, v12
	v_lshrrev_b16_e32 v11, 3, v17
	v_subrev_u32_e32 v14, 28, v12
	v_and_b32_e32 v11, 15, v11
	v_lshlrev_b32_e32 v14, v14, v17
	v_sub_u32_e32 v12, 29, v12
	v_and_b32_e32 v14, 7, v14
	v_cmp_eq_u16_e32 vcc, 0, v11
	v_cndmask_b32_e32 v10, v10, v14, vcc
	v_cndmask_b32_e32 v11, v11, v12, vcc
	v_lshlrev_b32_e32 v12, 24, v17
	v_mov_b32_e32 v14, 0x3b800000
	v_lshlrev_b32_e32 v10, 20, v10
	v_and_b32_e32 v12, 0x80000000, v12
	v_lshl_add_u32 v11, v11, 23, v14
	v_or3_b32 v10, v12, v11, v10
.LBB9_356:
	s_or_b64 exec, exec, s[6:7]
	s_movk_i32 s4, 0x7f
	v_cmp_gt_i16_sdwa s[6:7], v13, s4 src0_sel:BYTE_0 src1_sel:DWORD
	s_mov_b64 s[4:5], 0
                                        ; implicit-def: $sgpr10
	s_and_saveexec_b64 s[8:9], s[6:7]
	s_xor_b64 s[6:7], exec, s[8:9]
	s_cbranch_execnz .LBB9_2405
; %bb.357:
	s_or_saveexec_b64 s[6:7], s[6:7]
	v_mov_b32_e32 v11, s10
	s_xor_b64 exec, exec, s[6:7]
	s_cbranch_execnz .LBB9_2408
.LBB9_358:
	s_or_b64 exec, exec, s[6:7]
	s_and_saveexec_b64 s[6:7], s[4:5]
	s_cbranch_execz .LBB9_360
.LBB9_359:
	v_and_b32_e32 v11, 7, v13
	v_ffbh_u32_e32 v14, v11
	v_min_u32_e32 v14, 32, v14
	v_lshrrev_b16_e32 v12, 3, v13
	v_subrev_u32_e32 v15, 28, v14
	v_and_b32_e32 v12, 15, v12
	v_lshlrev_b32_e32 v15, v15, v13
	v_sub_u32_e32 v14, 29, v14
	v_and_b32_e32 v15, 7, v15
	v_cmp_eq_u16_e32 vcc, 0, v12
	v_cndmask_b32_e32 v11, v11, v15, vcc
	v_cndmask_b32_e32 v12, v12, v14, vcc
	v_lshlrev_b32_e32 v14, 24, v13
	v_mov_b32_e32 v15, 0x3b800000
	v_lshlrev_b32_e32 v11, 20, v11
	v_and_b32_e32 v14, 0x80000000, v14
	v_lshl_add_u32 v12, v12, 23, v15
	v_or3_b32 v11, v14, v12, v11
.LBB9_360:
	s_or_b64 exec, exec, s[6:7]
	s_nop 0
	v_mfma_f32_16x16x4f32 a[0:3], v10, v11, a[0:3]
	v_lshrrev_b32_e32 v11, 8, v17
	s_movk_i32 s4, 0x7f
	v_cmp_gt_i16_sdwa s[6:7], v11, s4 src0_sel:BYTE_0 src1_sel:DWORD
	s_mov_b64 s[4:5], 0
                                        ; implicit-def: $sgpr10
	s_and_saveexec_b64 s[8:9], s[6:7]
	s_xor_b64 s[6:7], exec, s[8:9]
	s_cbranch_execnz .LBB9_2409
; %bb.361:
	s_or_saveexec_b64 s[6:7], s[6:7]
	v_mov_b32_e32 v10, s10
	s_xor_b64 exec, exec, s[6:7]
	s_cbranch_execnz .LBB9_2412
.LBB9_362:
	s_or_b64 exec, exec, s[6:7]
	s_and_saveexec_b64 s[6:7], s[4:5]
	s_cbranch_execz .LBB9_364
.LBB9_363:
	v_bfe_u32 v10, v17, 8, 3
	v_ffbh_u32_e32 v14, v10
	v_min_u32_e32 v14, 32, v14
	v_lshrrev_b16_e32 v12, 3, v11
	v_subrev_u32_e32 v15, 28, v14
	v_and_b32_e32 v12, 15, v12
	v_lshlrev_b32_e32 v11, v15, v11
	v_sub_u32_e32 v14, 29, v14
	v_and_b32_e32 v11, 7, v11
	v_cmp_eq_u16_e32 vcc, 0, v12
	v_cndmask_b32_e32 v10, v10, v11, vcc
	v_cndmask_b32_e32 v11, v12, v14, vcc
	v_lshlrev_b32_e32 v12, 16, v17
	v_mov_b32_e32 v14, 0x3b800000
	v_lshlrev_b32_e32 v10, 20, v10
	v_and_b32_e32 v12, 0x80000000, v12
	v_lshl_add_u32 v11, v11, 23, v14
	v_or3_b32 v10, v12, v11, v10
.LBB9_364:
	s_or_b64 exec, exec, s[6:7]
	v_lshrrev_b32_e32 v11, 8, v13
	s_movk_i32 s4, 0x7f
	v_cmp_gt_i16_sdwa s[6:7], v11, s4 src0_sel:BYTE_0 src1_sel:DWORD
	s_mov_b64 s[4:5], 0
                                        ; implicit-def: $sgpr10
	s_and_saveexec_b64 s[8:9], s[6:7]
	s_xor_b64 s[6:7], exec, s[8:9]
	s_cbranch_execnz .LBB9_2413
; %bb.365:
	s_or_saveexec_b64 s[6:7], s[6:7]
	v_mov_b32_e32 v12, s10
	s_xor_b64 exec, exec, s[6:7]
	s_cbranch_execnz .LBB9_2416
.LBB9_366:
	s_or_b64 exec, exec, s[6:7]
	s_and_saveexec_b64 s[6:7], s[4:5]
	s_cbranch_execz .LBB9_368
.LBB9_367:
	v_bfe_u32 v12, v13, 8, 3
	v_ffbh_u32_e32 v15, v12
	v_min_u32_e32 v15, 32, v15
	v_lshrrev_b16_e32 v14, 3, v11
	v_subrev_u32_e32 v16, 28, v15
	v_and_b32_e32 v14, 15, v14
	v_lshlrev_b32_e32 v11, v16, v11
	v_sub_u32_e32 v15, 29, v15
	v_and_b32_e32 v11, 7, v11
	v_cmp_eq_u16_e32 vcc, 0, v14
	v_cndmask_b32_e32 v11, v12, v11, vcc
	v_cndmask_b32_e32 v12, v14, v15, vcc
	v_lshlrev_b32_e32 v14, 16, v13
	v_mov_b32_e32 v15, 0x3b800000
	v_lshlrev_b32_e32 v11, 20, v11
	v_and_b32_e32 v14, 0x80000000, v14
	v_lshl_add_u32 v12, v12, 23, v15
	v_or3_b32 v12, v14, v12, v11
.LBB9_368:
	s_or_b64 exec, exec, s[6:7]
	s_nop 0
	v_mfma_f32_16x16x4f32 a[0:3], v10, v12, a[0:3]
	s_movk_i32 s4, 0xff
	v_and_b32_sdwa v11, v17, s4 dst_sel:DWORD dst_unused:UNUSED_PAD src0_sel:WORD_1 src1_sel:DWORD
	s_movk_i32 s4, 0x7f
	v_cmp_lt_i16_e32 vcc, s4, v11
	s_mov_b64 s[4:5], 0
                                        ; implicit-def: $sgpr10
	s_and_saveexec_b64 s[6:7], vcc
	s_xor_b64 s[6:7], exec, s[6:7]
	s_cbranch_execnz .LBB9_2417
; %bb.369:
	s_or_saveexec_b64 s[6:7], s[6:7]
	v_mov_b32_e32 v10, s10
	s_xor_b64 exec, exec, s[6:7]
	s_cbranch_execnz .LBB9_2420
.LBB9_370:
	s_or_b64 exec, exec, s[6:7]
	s_and_saveexec_b64 s[6:7], s[4:5]
	s_cbranch_execz .LBB9_372
.LBB9_371:
	v_bfe_u32 v10, v17, 16, 3
	v_ffbh_u32_e32 v14, v10
	v_min_u32_e32 v14, 32, v14
	v_lshrrev_b32_e32 v11, 19, v17
	v_subrev_u32_e32 v15, 28, v14
	v_and_b32_e32 v11, 15, v11
	v_lshlrev_b32_sdwa v15, v15, v17 dst_sel:DWORD dst_unused:UNUSED_PAD src0_sel:DWORD src1_sel:WORD_1
	v_bfe_u32 v12, v17, 19, 4
	v_sub_u32_e32 v14, 29, v14
	v_and_b32_e32 v15, 7, v15
	v_cmp_eq_u16_e32 vcc, 0, v11
	v_cndmask_b32_e32 v10, v10, v15, vcc
	v_cndmask_b32_e32 v11, v12, v14, vcc
	v_lshlrev_b32_e32 v12, 8, v17
	v_mov_b32_e32 v14, 0x3b800000
	v_lshlrev_b32_e32 v10, 20, v10
	v_and_b32_e32 v12, 0x80000000, v12
	v_lshl_add_u32 v11, v11, 23, v14
	v_or3_b32 v10, v12, v11, v10
.LBB9_372:
	s_or_b64 exec, exec, s[6:7]
	s_movk_i32 s4, 0xff
	v_and_b32_sdwa v11, v13, s4 dst_sel:DWORD dst_unused:UNUSED_PAD src0_sel:WORD_1 src1_sel:DWORD
	s_movk_i32 s4, 0x7f
	v_cmp_lt_i16_e32 vcc, s4, v11
	s_mov_b64 s[4:5], 0
                                        ; implicit-def: $sgpr10
	s_and_saveexec_b64 s[6:7], vcc
	s_xor_b64 s[6:7], exec, s[6:7]
	s_cbranch_execnz .LBB9_2421
; %bb.373:
	s_or_saveexec_b64 s[6:7], s[6:7]
	v_mov_b32_e32 v12, s10
	s_xor_b64 exec, exec, s[6:7]
	s_cbranch_execnz .LBB9_2424
.LBB9_374:
	s_or_b64 exec, exec, s[6:7]
	s_and_saveexec_b64 s[6:7], s[4:5]
	s_cbranch_execz .LBB9_376
.LBB9_375:
	v_bfe_u32 v11, v13, 16, 3
	v_ffbh_u32_e32 v15, v11
	v_min_u32_e32 v15, 32, v15
	v_lshrrev_b32_e32 v12, 19, v13
	v_subrev_u32_e32 v16, 28, v15
	v_and_b32_e32 v12, 15, v12
	v_lshlrev_b32_sdwa v16, v16, v13 dst_sel:DWORD dst_unused:UNUSED_PAD src0_sel:DWORD src1_sel:WORD_1
	v_bfe_u32 v14, v13, 19, 4
	v_sub_u32_e32 v15, 29, v15
	v_and_b32_e32 v16, 7, v16
	v_cmp_eq_u16_e32 vcc, 0, v12
	v_cndmask_b32_e32 v11, v11, v16, vcc
	v_cndmask_b32_e32 v12, v14, v15, vcc
	v_lshlrev_b32_e32 v14, 8, v13
	v_mov_b32_e32 v15, 0x3b800000
	v_lshlrev_b32_e32 v11, 20, v11
	v_and_b32_e32 v14, 0x80000000, v14
	v_lshl_add_u32 v12, v12, 23, v15
	v_or3_b32 v12, v14, v12, v11
.LBB9_376:
	s_or_b64 exec, exec, s[6:7]
	s_nop 0
	v_mfma_f32_16x16x4f32 a[0:3], v10, v12, a[0:3]
	s_movk_i32 s4, 0x7f
	v_cmp_gt_i16_sdwa s[6:7], v17, s4 src0_sel:BYTE_3 src1_sel:DWORD
	s_mov_b64 s[4:5], 0
                                        ; implicit-def: $sgpr10
	s_and_saveexec_b64 s[8:9], s[6:7]
	s_xor_b64 s[6:7], exec, s[8:9]
	s_cbranch_execnz .LBB9_2425
; %bb.377:
	s_or_saveexec_b64 s[6:7], s[6:7]
	v_mov_b32_e32 v10, s10
	s_xor_b64 exec, exec, s[6:7]
	s_cbranch_execnz .LBB9_2428
.LBB9_378:
	s_or_b64 exec, exec, s[6:7]
	s_and_saveexec_b64 s[6:7], s[4:5]
	s_cbranch_execz .LBB9_380
.LBB9_379:
	v_bfe_u32 v10, v17, 24, 3
	v_ffbh_u32_e32 v15, v10
	v_min_u32_e32 v15, 32, v15
	v_lshrrev_b32_e32 v12, 27, v17
	v_subrev_u32_e32 v16, 28, v15
	v_and_b32_e32 v12, 15, v12
	v_lshlrev_b32_sdwa v16, v16, v17 dst_sel:DWORD dst_unused:UNUSED_PAD src0_sel:DWORD src1_sel:BYTE_3
	v_bfe_u32 v14, v17, 27, 4
	v_sub_u32_e32 v15, 29, v15
	v_and_b32_e32 v16, 7, v16
	v_cmp_eq_u16_e32 vcc, 0, v12
	v_cndmask_b32_e32 v10, v10, v16, vcc
	v_cndmask_b32_e32 v12, v14, v15, vcc
	v_mov_b32_e32 v14, 0x3b800000
	v_and_b32_e32 v11, 0x80000000, v17
	v_lshlrev_b32_e32 v10, 20, v10
	v_lshl_add_u32 v12, v12, 23, v14
	v_or3_b32 v10, v11, v12, v10
.LBB9_380:
	s_or_b64 exec, exec, s[6:7]
	s_movk_i32 s4, 0x7f
	v_cmp_gt_i16_sdwa s[6:7], v13, s4 src0_sel:BYTE_3 src1_sel:DWORD
	s_mov_b64 s[4:5], 0
                                        ; implicit-def: $sgpr10
	s_and_saveexec_b64 s[8:9], s[6:7]
	s_xor_b64 s[6:7], exec, s[8:9]
	s_cbranch_execnz .LBB9_2429
; %bb.381:
	s_or_saveexec_b64 s[6:7], s[6:7]
	v_mov_b32_e32 v11, s10
	s_xor_b64 exec, exec, s[6:7]
	s_cbranch_execnz .LBB9_2432
.LBB9_382:
	s_or_b64 exec, exec, s[6:7]
	s_and_saveexec_b64 s[6:7], s[4:5]
	s_cbranch_execz .LBB9_384
.LBB9_383:
	v_bfe_u32 v11, v13, 24, 3
	v_ffbh_u32_e32 v16, v11
	v_min_u32_e32 v16, 32, v16
	v_lshrrev_b32_e32 v14, 27, v13
	v_subrev_u32_e32 v17, 28, v16
	v_and_b32_e32 v12, 0x80000000, v13
	v_and_b32_e32 v14, 15, v14
	v_bfe_u32 v15, v13, 27, 4
	v_lshlrev_b32_sdwa v13, v17, v13 dst_sel:DWORD dst_unused:UNUSED_PAD src0_sel:DWORD src1_sel:BYTE_3
	v_sub_u32_e32 v16, 29, v16
	v_and_b32_e32 v13, 7, v13
	v_cmp_eq_u16_e32 vcc, 0, v14
	v_cndmask_b32_e32 v11, v11, v13, vcc
	v_cndmask_b32_e32 v13, v15, v16, vcc
	v_mov_b32_e32 v14, 0x3b800000
	v_lshlrev_b32_e32 v11, 20, v11
	v_lshl_add_u32 v13, v13, 23, v14
	v_or3_b32 v11, v12, v13, v11
.LBB9_384:
	s_or_b64 exec, exec, s[6:7]
	s_nop 0
	v_mfma_f32_16x16x4f32 a[0:3], v10, v11, a[0:3]
	s_movk_i32 s4, 0x7f
	v_cmp_gt_i16_sdwa s[6:7], v6, s4 src0_sel:BYTE_0 src1_sel:DWORD
	s_mov_b64 s[4:5], 0
                                        ; implicit-def: $sgpr10
	s_and_saveexec_b64 s[8:9], s[6:7]
	s_xor_b64 s[6:7], exec, s[8:9]
	s_cbranch_execnz .LBB9_2433
; %bb.385:
	s_or_saveexec_b64 s[6:7], s[6:7]
	v_mov_b32_e32 v10, s10
	s_xor_b64 exec, exec, s[6:7]
	s_cbranch_execnz .LBB9_2436
.LBB9_386:
	s_or_b64 exec, exec, s[6:7]
	s_and_saveexec_b64 s[6:7], s[4:5]
	s_cbranch_execz .LBB9_388
.LBB9_387:
	v_and_b32_e32 v10, 7, v6
	v_ffbh_u32_e32 v12, v10
	v_min_u32_e32 v12, 32, v12
	v_lshrrev_b16_e32 v11, 3, v6
	v_subrev_u32_e32 v13, 28, v12
	v_and_b32_e32 v11, 15, v11
	v_lshlrev_b32_e32 v13, v13, v6
	v_sub_u32_e32 v12, 29, v12
	v_and_b32_e32 v13, 7, v13
	v_cmp_eq_u16_e32 vcc, 0, v11
	v_cndmask_b32_e32 v10, v10, v13, vcc
	v_cndmask_b32_e32 v11, v11, v12, vcc
	v_lshlrev_b32_e32 v12, 24, v6
	v_mov_b32_e32 v13, 0x3b800000
	v_lshlrev_b32_e32 v10, 20, v10
	v_and_b32_e32 v12, 0x80000000, v12
	v_lshl_add_u32 v11, v11, 23, v13
	v_or3_b32 v10, v12, v11, v10
.LBB9_388:
	s_or_b64 exec, exec, s[6:7]
	s_movk_i32 s4, 0x7f
	v_cmp_gt_i16_sdwa s[6:7], v2, s4 src0_sel:BYTE_0 src1_sel:DWORD
	s_mov_b64 s[4:5], 0
                                        ; implicit-def: $sgpr10
	s_and_saveexec_b64 s[8:9], s[6:7]
	s_xor_b64 s[6:7], exec, s[8:9]
	s_cbranch_execnz .LBB9_2437
; %bb.389:
	s_or_saveexec_b64 s[6:7], s[6:7]
	v_mov_b32_e32 v11, s10
	s_xor_b64 exec, exec, s[6:7]
	s_cbranch_execnz .LBB9_2440
.LBB9_390:
	s_or_b64 exec, exec, s[6:7]
	s_and_saveexec_b64 s[6:7], s[4:5]
	s_cbranch_execz .LBB9_392
.LBB9_391:
	v_and_b32_e32 v11, 7, v2
	v_ffbh_u32_e32 v13, v11
	v_min_u32_e32 v13, 32, v13
	v_lshrrev_b16_e32 v12, 3, v2
	v_subrev_u32_e32 v14, 28, v13
	v_and_b32_e32 v12, 15, v12
	v_lshlrev_b32_e32 v14, v14, v2
	v_sub_u32_e32 v13, 29, v13
	v_and_b32_e32 v14, 7, v14
	v_cmp_eq_u16_e32 vcc, 0, v12
	v_cndmask_b32_e32 v11, v11, v14, vcc
	v_cndmask_b32_e32 v12, v12, v13, vcc
	v_lshlrev_b32_e32 v13, 24, v2
	v_mov_b32_e32 v14, 0x3b800000
	v_lshlrev_b32_e32 v11, 20, v11
	v_and_b32_e32 v13, 0x80000000, v13
	v_lshl_add_u32 v12, v12, 23, v14
	v_or3_b32 v11, v13, v12, v11
.LBB9_392:
	s_or_b64 exec, exec, s[6:7]
	s_nop 0
	v_mfma_f32_16x16x4f32 a[0:3], v10, v11, a[0:3]
	v_lshrrev_b32_e32 v11, 8, v6
	s_movk_i32 s4, 0x7f
	v_cmp_gt_i16_sdwa s[6:7], v11, s4 src0_sel:BYTE_0 src1_sel:DWORD
	s_mov_b64 s[4:5], 0
                                        ; implicit-def: $sgpr10
	s_and_saveexec_b64 s[8:9], s[6:7]
	s_xor_b64 s[6:7], exec, s[8:9]
	s_cbranch_execnz .LBB9_2441
; %bb.393:
	s_or_saveexec_b64 s[6:7], s[6:7]
	v_mov_b32_e32 v10, s10
	s_xor_b64 exec, exec, s[6:7]
	s_cbranch_execnz .LBB9_2444
.LBB9_394:
	s_or_b64 exec, exec, s[6:7]
	s_and_saveexec_b64 s[6:7], s[4:5]
	s_cbranch_execz .LBB9_396
.LBB9_395:
	v_bfe_u32 v10, v6, 8, 3
	v_ffbh_u32_e32 v13, v10
	v_min_u32_e32 v13, 32, v13
	v_lshrrev_b16_e32 v12, 3, v11
	v_subrev_u32_e32 v14, 28, v13
	v_and_b32_e32 v12, 15, v12
	v_lshlrev_b32_e32 v11, v14, v11
	v_sub_u32_e32 v13, 29, v13
	v_and_b32_e32 v11, 7, v11
	v_cmp_eq_u16_e32 vcc, 0, v12
	v_cndmask_b32_e32 v10, v10, v11, vcc
	v_cndmask_b32_e32 v11, v12, v13, vcc
	v_lshlrev_b32_e32 v12, 16, v6
	v_mov_b32_e32 v13, 0x3b800000
	v_lshlrev_b32_e32 v10, 20, v10
	v_and_b32_e32 v12, 0x80000000, v12
	v_lshl_add_u32 v11, v11, 23, v13
	v_or3_b32 v10, v12, v11, v10
.LBB9_396:
	s_or_b64 exec, exec, s[6:7]
	v_lshrrev_b32_e32 v11, 8, v2
	s_movk_i32 s4, 0x7f
	v_cmp_gt_i16_sdwa s[6:7], v11, s4 src0_sel:BYTE_0 src1_sel:DWORD
	s_mov_b64 s[4:5], 0
                                        ; implicit-def: $sgpr10
	s_and_saveexec_b64 s[8:9], s[6:7]
	s_xor_b64 s[6:7], exec, s[8:9]
	s_cbranch_execnz .LBB9_2445
; %bb.397:
	s_or_saveexec_b64 s[6:7], s[6:7]
	v_mov_b32_e32 v12, s10
	s_xor_b64 exec, exec, s[6:7]
	s_cbranch_execnz .LBB9_2448
.LBB9_398:
	s_or_b64 exec, exec, s[6:7]
	s_and_saveexec_b64 s[6:7], s[4:5]
	s_cbranch_execz .LBB9_400
.LBB9_399:
	v_bfe_u32 v12, v2, 8, 3
	v_ffbh_u32_e32 v14, v12
	v_min_u32_e32 v14, 32, v14
	v_lshrrev_b16_e32 v13, 3, v11
	v_subrev_u32_e32 v15, 28, v14
	v_and_b32_e32 v13, 15, v13
	v_lshlrev_b32_e32 v11, v15, v11
	v_sub_u32_e32 v14, 29, v14
	v_and_b32_e32 v11, 7, v11
	v_cmp_eq_u16_e32 vcc, 0, v13
	v_cndmask_b32_e32 v11, v12, v11, vcc
	v_cndmask_b32_e32 v12, v13, v14, vcc
	v_lshlrev_b32_e32 v13, 16, v2
	v_mov_b32_e32 v14, 0x3b800000
	v_lshlrev_b32_e32 v11, 20, v11
	v_and_b32_e32 v13, 0x80000000, v13
	v_lshl_add_u32 v12, v12, 23, v14
	v_or3_b32 v12, v13, v12, v11
.LBB9_400:
	s_or_b64 exec, exec, s[6:7]
	s_nop 0
	v_mfma_f32_16x16x4f32 a[0:3], v10, v12, a[0:3]
	s_movk_i32 s4, 0xff
	v_and_b32_sdwa v11, v6, s4 dst_sel:DWORD dst_unused:UNUSED_PAD src0_sel:WORD_1 src1_sel:DWORD
	s_movk_i32 s4, 0x7f
	v_cmp_lt_i16_e32 vcc, s4, v11
	s_mov_b64 s[4:5], 0
                                        ; implicit-def: $sgpr10
	s_and_saveexec_b64 s[6:7], vcc
	s_xor_b64 s[6:7], exec, s[6:7]
	s_cbranch_execnz .LBB9_2449
; %bb.401:
	s_or_saveexec_b64 s[6:7], s[6:7]
	v_mov_b32_e32 v10, s10
	s_xor_b64 exec, exec, s[6:7]
	s_cbranch_execnz .LBB9_2452
.LBB9_402:
	s_or_b64 exec, exec, s[6:7]
	s_and_saveexec_b64 s[6:7], s[4:5]
	s_cbranch_execz .LBB9_404
.LBB9_403:
	v_bfe_u32 v10, v6, 16, 3
	v_ffbh_u32_e32 v13, v10
	v_min_u32_e32 v13, 32, v13
	v_lshrrev_b32_e32 v11, 19, v6
	v_subrev_u32_e32 v14, 28, v13
	v_and_b32_e32 v11, 15, v11
	v_lshlrev_b32_sdwa v14, v14, v6 dst_sel:DWORD dst_unused:UNUSED_PAD src0_sel:DWORD src1_sel:WORD_1
	v_bfe_u32 v12, v6, 19, 4
	v_sub_u32_e32 v13, 29, v13
	v_and_b32_e32 v14, 7, v14
	v_cmp_eq_u16_e32 vcc, 0, v11
	v_cndmask_b32_e32 v10, v10, v14, vcc
	v_cndmask_b32_e32 v11, v12, v13, vcc
	v_lshlrev_b32_e32 v12, 8, v6
	v_mov_b32_e32 v13, 0x3b800000
	v_lshlrev_b32_e32 v10, 20, v10
	v_and_b32_e32 v12, 0x80000000, v12
	v_lshl_add_u32 v11, v11, 23, v13
	v_or3_b32 v10, v12, v11, v10
.LBB9_404:
	s_or_b64 exec, exec, s[6:7]
	s_movk_i32 s4, 0xff
	v_and_b32_sdwa v11, v2, s4 dst_sel:DWORD dst_unused:UNUSED_PAD src0_sel:WORD_1 src1_sel:DWORD
	s_movk_i32 s4, 0x7f
	v_cmp_lt_i16_e32 vcc, s4, v11
	s_mov_b64 s[4:5], 0
                                        ; implicit-def: $sgpr10
	s_and_saveexec_b64 s[6:7], vcc
	s_xor_b64 s[6:7], exec, s[6:7]
	s_cbranch_execnz .LBB9_2453
; %bb.405:
	s_or_saveexec_b64 s[6:7], s[6:7]
	v_mov_b32_e32 v12, s10
	s_xor_b64 exec, exec, s[6:7]
	s_cbranch_execnz .LBB9_2456
.LBB9_406:
	s_or_b64 exec, exec, s[6:7]
	s_and_saveexec_b64 s[6:7], s[4:5]
	s_cbranch_execz .LBB9_408
.LBB9_407:
	v_bfe_u32 v11, v2, 16, 3
	v_ffbh_u32_e32 v14, v11
	v_min_u32_e32 v14, 32, v14
	v_lshrrev_b32_e32 v12, 19, v2
	v_subrev_u32_e32 v15, 28, v14
	v_and_b32_e32 v12, 15, v12
	v_lshlrev_b32_sdwa v15, v15, v2 dst_sel:DWORD dst_unused:UNUSED_PAD src0_sel:DWORD src1_sel:WORD_1
	v_bfe_u32 v13, v2, 19, 4
	v_sub_u32_e32 v14, 29, v14
	v_and_b32_e32 v15, 7, v15
	v_cmp_eq_u16_e32 vcc, 0, v12
	v_cndmask_b32_e32 v11, v11, v15, vcc
	v_cndmask_b32_e32 v12, v13, v14, vcc
	v_lshlrev_b32_e32 v13, 8, v2
	v_mov_b32_e32 v14, 0x3b800000
	v_lshlrev_b32_e32 v11, 20, v11
	v_and_b32_e32 v13, 0x80000000, v13
	v_lshl_add_u32 v12, v12, 23, v14
	v_or3_b32 v12, v13, v12, v11
.LBB9_408:
	s_or_b64 exec, exec, s[6:7]
	s_nop 0
	v_mfma_f32_16x16x4f32 a[0:3], v10, v12, a[0:3]
	s_movk_i32 s4, 0x7f
	v_cmp_gt_i16_sdwa s[6:7], v6, s4 src0_sel:BYTE_3 src1_sel:DWORD
	s_mov_b64 s[4:5], 0
                                        ; implicit-def: $sgpr10
	s_and_saveexec_b64 s[8:9], s[6:7]
	s_xor_b64 s[6:7], exec, s[8:9]
	s_cbranch_execnz .LBB9_2457
; %bb.409:
	s_or_saveexec_b64 s[6:7], s[6:7]
	v_mov_b32_e32 v10, s10
	s_xor_b64 exec, exec, s[6:7]
	s_cbranch_execnz .LBB9_2460
.LBB9_410:
	s_or_b64 exec, exec, s[6:7]
	s_and_saveexec_b64 s[6:7], s[4:5]
	s_cbranch_execz .LBB9_412
.LBB9_411:
	v_bfe_u32 v10, v6, 24, 3
	v_ffbh_u32_e32 v14, v10
	v_min_u32_e32 v14, 32, v14
	v_lshrrev_b32_e32 v12, 27, v6
	v_subrev_u32_e32 v15, 28, v14
	v_and_b32_e32 v11, 0x80000000, v6
	v_and_b32_e32 v12, 15, v12
	v_bfe_u32 v13, v6, 27, 4
	v_lshlrev_b32_sdwa v6, v15, v6 dst_sel:DWORD dst_unused:UNUSED_PAD src0_sel:DWORD src1_sel:BYTE_3
	v_sub_u32_e32 v14, 29, v14
	v_and_b32_e32 v6, 7, v6
	v_cmp_eq_u16_e32 vcc, 0, v12
	v_cndmask_b32_e32 v6, v10, v6, vcc
	v_cndmask_b32_e32 v10, v13, v14, vcc
	v_mov_b32_e32 v12, 0x3b800000
	v_lshlrev_b32_e32 v6, 20, v6
	v_lshl_add_u32 v10, v10, 23, v12
	v_or3_b32 v10, v11, v10, v6
.LBB9_412:
	s_or_b64 exec, exec, s[6:7]
	s_movk_i32 s4, 0x7f
	v_cmp_gt_i16_sdwa s[6:7], v2, s4 src0_sel:BYTE_3 src1_sel:DWORD
	s_mov_b64 s[4:5], 0
                                        ; implicit-def: $sgpr10
	s_and_saveexec_b64 s[8:9], s[6:7]
	s_xor_b64 s[6:7], exec, s[8:9]
	s_cbranch_execnz .LBB9_2461
; %bb.413:
	s_or_saveexec_b64 s[6:7], s[6:7]
	v_mov_b32_e32 v6, s10
	s_xor_b64 exec, exec, s[6:7]
	s_cbranch_execnz .LBB9_2464
.LBB9_414:
	s_or_b64 exec, exec, s[6:7]
	s_and_saveexec_b64 s[6:7], s[4:5]
	s_cbranch_execz .LBB9_416
.LBB9_415:
	v_bfe_u32 v6, v2, 24, 3
	v_ffbh_u32_e32 v14, v6
	v_min_u32_e32 v14, 32, v14
	v_lshrrev_b32_e32 v12, 27, v2
	v_subrev_u32_e32 v15, 28, v14
	v_and_b32_e32 v11, 0x80000000, v2
	v_and_b32_e32 v12, 15, v12
	v_bfe_u32 v13, v2, 27, 4
	v_lshlrev_b32_sdwa v2, v15, v2 dst_sel:DWORD dst_unused:UNUSED_PAD src0_sel:DWORD src1_sel:BYTE_3
	v_sub_u32_e32 v14, 29, v14
	v_and_b32_e32 v2, 7, v2
	v_cmp_eq_u16_e32 vcc, 0, v12
	v_cndmask_b32_e32 v2, v6, v2, vcc
	v_cndmask_b32_e32 v6, v13, v14, vcc
	v_mov_b32_e32 v12, 0x3b800000
	v_lshlrev_b32_e32 v2, 20, v2
	v_lshl_add_u32 v6, v6, 23, v12
	v_or3_b32 v6, v11, v6, v2
.LBB9_416:
	s_or_b64 exec, exec, s[6:7]
	s_nop 0
	v_mfma_f32_16x16x4f32 a[0:3], v10, v6, a[0:3]
	s_movk_i32 s4, 0x7f
	v_cmp_gt_i16_sdwa s[6:7], v7, s4 src0_sel:BYTE_0 src1_sel:DWORD
	s_mov_b64 s[4:5], 0
                                        ; implicit-def: $sgpr10
	s_and_saveexec_b64 s[8:9], s[6:7]
	s_xor_b64 s[6:7], exec, s[8:9]
	s_cbranch_execnz .LBB9_2465
; %bb.417:
	s_or_saveexec_b64 s[6:7], s[6:7]
	v_mov_b32_e32 v2, s10
	s_xor_b64 exec, exec, s[6:7]
	s_cbranch_execnz .LBB9_2468
.LBB9_418:
	s_or_b64 exec, exec, s[6:7]
	s_and_saveexec_b64 s[6:7], s[4:5]
	s_cbranch_execz .LBB9_420
.LBB9_419:
	v_and_b32_e32 v2, 7, v7
	v_ffbh_u32_e32 v10, v2
	v_min_u32_e32 v10, 32, v10
	v_lshrrev_b16_e32 v6, 3, v7
	v_subrev_u32_e32 v11, 28, v10
	v_and_b32_e32 v6, 15, v6
	v_lshlrev_b32_e32 v11, v11, v7
	v_sub_u32_e32 v10, 29, v10
	v_and_b32_e32 v11, 7, v11
	v_cmp_eq_u16_e32 vcc, 0, v6
	v_cndmask_b32_e32 v2, v2, v11, vcc
	v_cndmask_b32_e32 v6, v6, v10, vcc
	v_lshlrev_b32_e32 v10, 24, v7
	v_mov_b32_e32 v11, 0x3b800000
	v_lshlrev_b32_e32 v2, 20, v2
	v_and_b32_e32 v10, 0x80000000, v10
	v_lshl_add_u32 v6, v6, 23, v11
	v_or3_b32 v2, v10, v6, v2
.LBB9_420:
	s_or_b64 exec, exec, s[6:7]
	s_movk_i32 s4, 0x7f
	v_cmp_gt_i16_sdwa s[6:7], v3, s4 src0_sel:BYTE_0 src1_sel:DWORD
	s_mov_b64 s[4:5], 0
                                        ; implicit-def: $sgpr10
	s_and_saveexec_b64 s[8:9], s[6:7]
	s_xor_b64 s[6:7], exec, s[8:9]
	s_cbranch_execnz .LBB9_2469
; %bb.421:
	s_or_saveexec_b64 s[6:7], s[6:7]
	v_mov_b32_e32 v6, s10
	s_xor_b64 exec, exec, s[6:7]
	s_cbranch_execnz .LBB9_2472
.LBB9_422:
	s_or_b64 exec, exec, s[6:7]
	s_and_saveexec_b64 s[6:7], s[4:5]
	s_cbranch_execz .LBB9_424
.LBB9_423:
	v_and_b32_e32 v6, 7, v3
	v_ffbh_u32_e32 v11, v6
	v_min_u32_e32 v11, 32, v11
	v_lshrrev_b16_e32 v10, 3, v3
	v_subrev_u32_e32 v12, 28, v11
	v_and_b32_e32 v10, 15, v10
	v_lshlrev_b32_e32 v12, v12, v3
	v_sub_u32_e32 v11, 29, v11
	v_and_b32_e32 v12, 7, v12
	v_cmp_eq_u16_e32 vcc, 0, v10
	v_cndmask_b32_e32 v6, v6, v12, vcc
	v_cndmask_b32_e32 v10, v10, v11, vcc
	v_lshlrev_b32_e32 v11, 24, v3
	v_mov_b32_e32 v12, 0x3b800000
	v_lshlrev_b32_e32 v6, 20, v6
	v_and_b32_e32 v11, 0x80000000, v11
	v_lshl_add_u32 v10, v10, 23, v12
	v_or3_b32 v6, v11, v10, v6
.LBB9_424:
	s_or_b64 exec, exec, s[6:7]
	s_nop 0
	v_mfma_f32_16x16x4f32 a[0:3], v2, v6, a[0:3]
	v_lshrrev_b32_e32 v6, 8, v7
	s_movk_i32 s4, 0x7f
	v_cmp_gt_i16_sdwa s[6:7], v6, s4 src0_sel:BYTE_0 src1_sel:DWORD
	s_mov_b64 s[4:5], 0
                                        ; implicit-def: $sgpr10
	s_and_saveexec_b64 s[8:9], s[6:7]
	s_xor_b64 s[6:7], exec, s[8:9]
	s_cbranch_execnz .LBB9_2473
; %bb.425:
	s_or_saveexec_b64 s[6:7], s[6:7]
	v_mov_b32_e32 v2, s10
	s_xor_b64 exec, exec, s[6:7]
	s_cbranch_execnz .LBB9_2476
.LBB9_426:
	s_or_b64 exec, exec, s[6:7]
	s_and_saveexec_b64 s[6:7], s[4:5]
	s_cbranch_execz .LBB9_428
.LBB9_427:
	v_bfe_u32 v2, v7, 8, 3
	v_ffbh_u32_e32 v11, v2
	v_min_u32_e32 v11, 32, v11
	v_lshrrev_b16_e32 v10, 3, v6
	v_subrev_u32_e32 v12, 28, v11
	v_and_b32_e32 v10, 15, v10
	v_lshlrev_b32_e32 v6, v12, v6
	v_sub_u32_e32 v11, 29, v11
	v_and_b32_e32 v6, 7, v6
	v_cmp_eq_u16_e32 vcc, 0, v10
	v_cndmask_b32_e32 v2, v2, v6, vcc
	v_cndmask_b32_e32 v6, v10, v11, vcc
	v_lshlrev_b32_e32 v10, 16, v7
	v_mov_b32_e32 v11, 0x3b800000
	v_lshlrev_b32_e32 v2, 20, v2
	v_and_b32_e32 v10, 0x80000000, v10
	v_lshl_add_u32 v6, v6, 23, v11
	v_or3_b32 v2, v10, v6, v2
.LBB9_428:
	s_or_b64 exec, exec, s[6:7]
	v_lshrrev_b32_e32 v6, 8, v3
	s_movk_i32 s4, 0x7f
	v_cmp_gt_i16_sdwa s[6:7], v6, s4 src0_sel:BYTE_0 src1_sel:DWORD
	s_mov_b64 s[4:5], 0
                                        ; implicit-def: $sgpr10
	s_and_saveexec_b64 s[8:9], s[6:7]
	s_xor_b64 s[6:7], exec, s[8:9]
	s_cbranch_execnz .LBB9_2477
; %bb.429:
	s_or_saveexec_b64 s[6:7], s[6:7]
	v_mov_b32_e32 v10, s10
	s_xor_b64 exec, exec, s[6:7]
	s_cbranch_execnz .LBB9_2480
.LBB9_430:
	s_or_b64 exec, exec, s[6:7]
	s_and_saveexec_b64 s[6:7], s[4:5]
	s_cbranch_execz .LBB9_432
.LBB9_431:
	v_bfe_u32 v10, v3, 8, 3
	v_ffbh_u32_e32 v12, v10
	v_min_u32_e32 v12, 32, v12
	v_lshrrev_b16_e32 v11, 3, v6
	v_subrev_u32_e32 v13, 28, v12
	v_and_b32_e32 v11, 15, v11
	v_lshlrev_b32_e32 v6, v13, v6
	v_sub_u32_e32 v12, 29, v12
	v_and_b32_e32 v6, 7, v6
	v_cmp_eq_u16_e32 vcc, 0, v11
	v_cndmask_b32_e32 v6, v10, v6, vcc
	v_cndmask_b32_e32 v10, v11, v12, vcc
	v_lshlrev_b32_e32 v11, 16, v3
	v_mov_b32_e32 v12, 0x3b800000
	v_lshlrev_b32_e32 v6, 20, v6
	v_and_b32_e32 v11, 0x80000000, v11
	v_lshl_add_u32 v10, v10, 23, v12
	v_or3_b32 v10, v11, v10, v6
.LBB9_432:
	s_or_b64 exec, exec, s[6:7]
	s_nop 0
	v_mfma_f32_16x16x4f32 a[0:3], v2, v10, a[0:3]
	s_movk_i32 s4, 0xff
	v_and_b32_sdwa v6, v7, s4 dst_sel:DWORD dst_unused:UNUSED_PAD src0_sel:WORD_1 src1_sel:DWORD
	s_movk_i32 s4, 0x7f
	v_cmp_lt_i16_e32 vcc, s4, v6
	s_mov_b64 s[4:5], 0
                                        ; implicit-def: $sgpr10
	s_and_saveexec_b64 s[6:7], vcc
	s_xor_b64 s[6:7], exec, s[6:7]
	s_cbranch_execnz .LBB9_2481
; %bb.433:
	s_or_saveexec_b64 s[6:7], s[6:7]
	v_mov_b32_e32 v2, s10
	s_xor_b64 exec, exec, s[6:7]
	s_cbranch_execnz .LBB9_2484
.LBB9_434:
	s_or_b64 exec, exec, s[6:7]
	s_and_saveexec_b64 s[6:7], s[4:5]
	s_cbranch_execz .LBB9_436
.LBB9_435:
	v_bfe_u32 v2, v7, 16, 3
	v_ffbh_u32_e32 v11, v2
	v_min_u32_e32 v11, 32, v11
	v_lshrrev_b32_e32 v6, 19, v7
	v_subrev_u32_e32 v12, 28, v11
	v_and_b32_e32 v6, 15, v6
	v_lshlrev_b32_sdwa v12, v12, v7 dst_sel:DWORD dst_unused:UNUSED_PAD src0_sel:DWORD src1_sel:WORD_1
	v_bfe_u32 v10, v7, 19, 4
	v_sub_u32_e32 v11, 29, v11
	v_and_b32_e32 v12, 7, v12
	v_cmp_eq_u16_e32 vcc, 0, v6
	v_cndmask_b32_e32 v2, v2, v12, vcc
	v_cndmask_b32_e32 v6, v10, v11, vcc
	v_lshlrev_b32_e32 v10, 8, v7
	v_mov_b32_e32 v11, 0x3b800000
	v_lshlrev_b32_e32 v2, 20, v2
	v_and_b32_e32 v10, 0x80000000, v10
	v_lshl_add_u32 v6, v6, 23, v11
	v_or3_b32 v2, v10, v6, v2
.LBB9_436:
	s_or_b64 exec, exec, s[6:7]
	s_movk_i32 s4, 0xff
	v_and_b32_sdwa v6, v3, s4 dst_sel:DWORD dst_unused:UNUSED_PAD src0_sel:WORD_1 src1_sel:DWORD
	s_movk_i32 s4, 0x7f
	v_cmp_lt_i16_e32 vcc, s4, v6
	s_mov_b64 s[4:5], 0
                                        ; implicit-def: $sgpr10
	s_and_saveexec_b64 s[6:7], vcc
	s_xor_b64 s[6:7], exec, s[6:7]
	s_cbranch_execnz .LBB9_2485
; %bb.437:
	s_or_saveexec_b64 s[6:7], s[6:7]
	v_mov_b32_e32 v10, s10
	s_xor_b64 exec, exec, s[6:7]
	s_cbranch_execnz .LBB9_2488
.LBB9_438:
	s_or_b64 exec, exec, s[6:7]
	s_and_saveexec_b64 s[6:7], s[4:5]
	s_cbranch_execz .LBB9_440
.LBB9_439:
	v_bfe_u32 v6, v3, 16, 3
	v_ffbh_u32_e32 v12, v6
	v_min_u32_e32 v12, 32, v12
	v_lshrrev_b32_e32 v10, 19, v3
	v_subrev_u32_e32 v13, 28, v12
	v_and_b32_e32 v10, 15, v10
	v_lshlrev_b32_sdwa v13, v13, v3 dst_sel:DWORD dst_unused:UNUSED_PAD src0_sel:DWORD src1_sel:WORD_1
	v_bfe_u32 v11, v3, 19, 4
	v_sub_u32_e32 v12, 29, v12
	v_and_b32_e32 v13, 7, v13
	v_cmp_eq_u16_e32 vcc, 0, v10
	v_cndmask_b32_e32 v6, v6, v13, vcc
	v_cndmask_b32_e32 v10, v11, v12, vcc
	v_lshlrev_b32_e32 v11, 8, v3
	v_mov_b32_e32 v12, 0x3b800000
	v_lshlrev_b32_e32 v6, 20, v6
	v_and_b32_e32 v11, 0x80000000, v11
	v_lshl_add_u32 v10, v10, 23, v12
	v_or3_b32 v10, v11, v10, v6
.LBB9_440:
	s_or_b64 exec, exec, s[6:7]
	s_nop 0
	v_mfma_f32_16x16x4f32 a[0:3], v2, v10, a[0:3]
	s_movk_i32 s4, 0x7f
	v_cmp_gt_i16_sdwa s[6:7], v7, s4 src0_sel:BYTE_3 src1_sel:DWORD
	s_mov_b64 s[4:5], 0
                                        ; implicit-def: $sgpr10
	s_and_saveexec_b64 s[8:9], s[6:7]
	s_xor_b64 s[6:7], exec, s[8:9]
	s_cbranch_execnz .LBB9_2489
; %bb.441:
	s_or_saveexec_b64 s[6:7], s[6:7]
	v_mov_b32_e32 v2, s10
	s_xor_b64 exec, exec, s[6:7]
	s_cbranch_execnz .LBB9_2492
.LBB9_442:
	s_or_b64 exec, exec, s[6:7]
	s_and_saveexec_b64 s[6:7], s[4:5]
	s_cbranch_execz .LBB9_444
.LBB9_443:
	v_bfe_u32 v2, v7, 24, 3
	v_ffbh_u32_e32 v12, v2
	v_min_u32_e32 v12, 32, v12
	v_lshrrev_b32_e32 v10, 27, v7
	v_subrev_u32_e32 v13, 28, v12
	v_and_b32_e32 v6, 0x80000000, v7
	v_and_b32_e32 v10, 15, v10
	v_bfe_u32 v11, v7, 27, 4
	v_lshlrev_b32_sdwa v7, v13, v7 dst_sel:DWORD dst_unused:UNUSED_PAD src0_sel:DWORD src1_sel:BYTE_3
	v_sub_u32_e32 v12, 29, v12
	v_and_b32_e32 v7, 7, v7
	v_cmp_eq_u16_e32 vcc, 0, v10
	v_cndmask_b32_e32 v2, v2, v7, vcc
	v_cndmask_b32_e32 v7, v11, v12, vcc
	v_mov_b32_e32 v10, 0x3b800000
	v_lshlrev_b32_e32 v2, 20, v2
	v_lshl_add_u32 v7, v7, 23, v10
	v_or3_b32 v2, v6, v7, v2
.LBB9_444:
	s_or_b64 exec, exec, s[6:7]
	s_movk_i32 s4, 0x7f
	v_cmp_gt_i16_sdwa s[6:7], v3, s4 src0_sel:BYTE_3 src1_sel:DWORD
	s_mov_b64 s[4:5], 0
                                        ; implicit-def: $sgpr10
	s_and_saveexec_b64 s[8:9], s[6:7]
	s_xor_b64 s[6:7], exec, s[8:9]
	s_cbranch_execnz .LBB9_2493
; %bb.445:
	s_or_saveexec_b64 s[6:7], s[6:7]
	v_mov_b32_e32 v6, s10
	s_xor_b64 exec, exec, s[6:7]
	s_cbranch_execnz .LBB9_2496
.LBB9_446:
	s_or_b64 exec, exec, s[6:7]
	s_and_saveexec_b64 s[6:7], s[4:5]
	s_cbranch_execz .LBB9_448
.LBB9_447:
	v_bfe_u32 v6, v3, 24, 3
	v_ffbh_u32_e32 v12, v6
	v_min_u32_e32 v12, 32, v12
	v_lshrrev_b32_e32 v10, 27, v3
	v_subrev_u32_e32 v13, 28, v12
	v_and_b32_e32 v7, 0x80000000, v3
	v_and_b32_e32 v10, 15, v10
	v_bfe_u32 v11, v3, 27, 4
	v_lshlrev_b32_sdwa v3, v13, v3 dst_sel:DWORD dst_unused:UNUSED_PAD src0_sel:DWORD src1_sel:BYTE_3
	v_sub_u32_e32 v12, 29, v12
	v_and_b32_e32 v3, 7, v3
	v_cmp_eq_u16_e32 vcc, 0, v10
	v_cndmask_b32_e32 v3, v6, v3, vcc
	v_cndmask_b32_e32 v6, v11, v12, vcc
	v_mov_b32_e32 v10, 0x3b800000
	v_lshlrev_b32_e32 v3, 20, v3
	v_lshl_add_u32 v6, v6, 23, v10
	v_or3_b32 v6, v7, v6, v3
.LBB9_448:
	s_or_b64 exec, exec, s[6:7]
	s_nop 0
	v_mfma_f32_16x16x4f32 a[0:3], v2, v6, a[0:3]
	s_movk_i32 s4, 0x7f
	v_cmp_gt_i16_sdwa s[6:7], v8, s4 src0_sel:BYTE_0 src1_sel:DWORD
	s_mov_b64 s[4:5], 0
                                        ; implicit-def: $sgpr10
	s_and_saveexec_b64 s[8:9], s[6:7]
	s_xor_b64 s[6:7], exec, s[8:9]
	s_cbranch_execnz .LBB9_2497
; %bb.449:
	s_or_saveexec_b64 s[6:7], s[6:7]
	v_mov_b32_e32 v2, s10
	s_xor_b64 exec, exec, s[6:7]
	s_cbranch_execnz .LBB9_2500
.LBB9_450:
	s_or_b64 exec, exec, s[6:7]
	s_and_saveexec_b64 s[6:7], s[4:5]
	s_cbranch_execz .LBB9_452
.LBB9_451:
	v_and_b32_e32 v2, 7, v8
	v_ffbh_u32_e32 v6, v2
	v_min_u32_e32 v6, 32, v6
	v_lshrrev_b16_e32 v3, 3, v8
	v_subrev_u32_e32 v7, 28, v6
	v_and_b32_e32 v3, 15, v3
	v_lshlrev_b32_e32 v7, v7, v8
	v_sub_u32_e32 v6, 29, v6
	v_and_b32_e32 v7, 7, v7
	v_cmp_eq_u16_e32 vcc, 0, v3
	v_cndmask_b32_e32 v2, v2, v7, vcc
	v_cndmask_b32_e32 v3, v3, v6, vcc
	v_lshlrev_b32_e32 v6, 24, v8
	v_mov_b32_e32 v7, 0x3b800000
	v_lshlrev_b32_e32 v2, 20, v2
	v_and_b32_e32 v6, 0x80000000, v6
	v_lshl_add_u32 v3, v3, 23, v7
	v_or3_b32 v2, v6, v3, v2
.LBB9_452:
	s_or_b64 exec, exec, s[6:7]
	s_movk_i32 s4, 0x7f
	v_cmp_gt_i16_sdwa s[6:7], v4, s4 src0_sel:BYTE_0 src1_sel:DWORD
	s_mov_b64 s[4:5], 0
                                        ; implicit-def: $sgpr10
	s_and_saveexec_b64 s[8:9], s[6:7]
	s_xor_b64 s[6:7], exec, s[8:9]
	s_cbranch_execnz .LBB9_2501
; %bb.453:
	s_or_saveexec_b64 s[6:7], s[6:7]
	v_mov_b32_e32 v3, s10
	s_xor_b64 exec, exec, s[6:7]
	s_cbranch_execnz .LBB9_2504
.LBB9_454:
	s_or_b64 exec, exec, s[6:7]
	s_and_saveexec_b64 s[6:7], s[4:5]
	s_cbranch_execz .LBB9_456
.LBB9_455:
	v_and_b32_e32 v3, 7, v4
	v_ffbh_u32_e32 v7, v3
	v_min_u32_e32 v7, 32, v7
	v_lshrrev_b16_e32 v6, 3, v4
	v_subrev_u32_e32 v10, 28, v7
	v_and_b32_e32 v6, 15, v6
	v_lshlrev_b32_e32 v10, v10, v4
	v_sub_u32_e32 v7, 29, v7
	v_and_b32_e32 v10, 7, v10
	v_cmp_eq_u16_e32 vcc, 0, v6
	v_cndmask_b32_e32 v3, v3, v10, vcc
	v_cndmask_b32_e32 v6, v6, v7, vcc
	v_lshlrev_b32_e32 v7, 24, v4
	v_mov_b32_e32 v10, 0x3b800000
	v_lshlrev_b32_e32 v3, 20, v3
	v_and_b32_e32 v7, 0x80000000, v7
	v_lshl_add_u32 v6, v6, 23, v10
	v_or3_b32 v3, v7, v6, v3
.LBB9_456:
	s_or_b64 exec, exec, s[6:7]
	s_nop 0
	v_mfma_f32_16x16x4f32 a[0:3], v2, v3, a[0:3]
	v_lshrrev_b32_e32 v3, 8, v8
	s_movk_i32 s4, 0x7f
	v_cmp_gt_i16_sdwa s[6:7], v3, s4 src0_sel:BYTE_0 src1_sel:DWORD
	s_mov_b64 s[4:5], 0
                                        ; implicit-def: $sgpr10
	s_and_saveexec_b64 s[8:9], s[6:7]
	s_xor_b64 s[6:7], exec, s[8:9]
	s_cbranch_execnz .LBB9_2505
; %bb.457:
	s_or_saveexec_b64 s[6:7], s[6:7]
	v_mov_b32_e32 v2, s10
	s_xor_b64 exec, exec, s[6:7]
	s_cbranch_execnz .LBB9_2508
.LBB9_458:
	s_or_b64 exec, exec, s[6:7]
	s_and_saveexec_b64 s[6:7], s[4:5]
	s_cbranch_execz .LBB9_460
.LBB9_459:
	v_bfe_u32 v2, v8, 8, 3
	v_ffbh_u32_e32 v7, v2
	v_min_u32_e32 v7, 32, v7
	v_lshrrev_b16_e32 v6, 3, v3
	v_subrev_u32_e32 v10, 28, v7
	v_and_b32_e32 v6, 15, v6
	v_lshlrev_b32_e32 v3, v10, v3
	v_sub_u32_e32 v7, 29, v7
	v_and_b32_e32 v3, 7, v3
	v_cmp_eq_u16_e32 vcc, 0, v6
	v_cndmask_b32_e32 v2, v2, v3, vcc
	v_cndmask_b32_e32 v3, v6, v7, vcc
	v_lshlrev_b32_e32 v6, 16, v8
	v_mov_b32_e32 v7, 0x3b800000
	v_lshlrev_b32_e32 v2, 20, v2
	v_and_b32_e32 v6, 0x80000000, v6
	v_lshl_add_u32 v3, v3, 23, v7
	v_or3_b32 v2, v6, v3, v2
.LBB9_460:
	s_or_b64 exec, exec, s[6:7]
	v_lshrrev_b32_e32 v3, 8, v4
	s_movk_i32 s4, 0x7f
	v_cmp_gt_i16_sdwa s[6:7], v3, s4 src0_sel:BYTE_0 src1_sel:DWORD
	s_mov_b64 s[4:5], 0
                                        ; implicit-def: $sgpr10
	s_and_saveexec_b64 s[8:9], s[6:7]
	s_xor_b64 s[6:7], exec, s[8:9]
	s_cbranch_execnz .LBB9_2509
; %bb.461:
	s_or_saveexec_b64 s[6:7], s[6:7]
	v_mov_b32_e32 v6, s10
	s_xor_b64 exec, exec, s[6:7]
	s_cbranch_execnz .LBB9_2512
.LBB9_462:
	s_or_b64 exec, exec, s[6:7]
	s_and_saveexec_b64 s[6:7], s[4:5]
	s_cbranch_execz .LBB9_464
.LBB9_463:
	v_bfe_u32 v6, v4, 8, 3
	v_ffbh_u32_e32 v10, v6
	v_min_u32_e32 v10, 32, v10
	v_lshrrev_b16_e32 v7, 3, v3
	v_subrev_u32_e32 v11, 28, v10
	v_and_b32_e32 v7, 15, v7
	v_lshlrev_b32_e32 v3, v11, v3
	v_sub_u32_e32 v10, 29, v10
	v_and_b32_e32 v3, 7, v3
	v_cmp_eq_u16_e32 vcc, 0, v7
	v_cndmask_b32_e32 v3, v6, v3, vcc
	v_cndmask_b32_e32 v6, v7, v10, vcc
	v_lshlrev_b32_e32 v7, 16, v4
	v_mov_b32_e32 v10, 0x3b800000
	v_lshlrev_b32_e32 v3, 20, v3
	v_and_b32_e32 v7, 0x80000000, v7
	v_lshl_add_u32 v6, v6, 23, v10
	v_or3_b32 v6, v7, v6, v3
.LBB9_464:
	s_or_b64 exec, exec, s[6:7]
	s_nop 0
	v_mfma_f32_16x16x4f32 a[0:3], v2, v6, a[0:3]
	s_movk_i32 s4, 0xff
	v_and_b32_sdwa v3, v8, s4 dst_sel:DWORD dst_unused:UNUSED_PAD src0_sel:WORD_1 src1_sel:DWORD
	s_movk_i32 s4, 0x7f
	v_cmp_lt_i16_e32 vcc, s4, v3
	s_mov_b64 s[4:5], 0
                                        ; implicit-def: $sgpr10
	s_and_saveexec_b64 s[6:7], vcc
	s_xor_b64 s[6:7], exec, s[6:7]
	s_cbranch_execnz .LBB9_2513
; %bb.465:
	s_or_saveexec_b64 s[6:7], s[6:7]
	v_mov_b32_e32 v2, s10
	s_xor_b64 exec, exec, s[6:7]
	s_cbranch_execnz .LBB9_2516
.LBB9_466:
	s_or_b64 exec, exec, s[6:7]
	s_and_saveexec_b64 s[6:7], s[4:5]
	s_cbranch_execz .LBB9_468
.LBB9_467:
	v_bfe_u32 v2, v8, 16, 3
	v_ffbh_u32_e32 v7, v2
	v_min_u32_e32 v7, 32, v7
	v_lshrrev_b32_e32 v3, 19, v8
	v_subrev_u32_e32 v10, 28, v7
	v_and_b32_e32 v3, 15, v3
	v_lshlrev_b32_sdwa v10, v10, v8 dst_sel:DWORD dst_unused:UNUSED_PAD src0_sel:DWORD src1_sel:WORD_1
	v_bfe_u32 v6, v8, 19, 4
	v_sub_u32_e32 v7, 29, v7
	v_and_b32_e32 v10, 7, v10
	v_cmp_eq_u16_e32 vcc, 0, v3
	v_cndmask_b32_e32 v2, v2, v10, vcc
	v_cndmask_b32_e32 v3, v6, v7, vcc
	v_lshlrev_b32_e32 v6, 8, v8
	v_mov_b32_e32 v7, 0x3b800000
	v_lshlrev_b32_e32 v2, 20, v2
	v_and_b32_e32 v6, 0x80000000, v6
	v_lshl_add_u32 v3, v3, 23, v7
	v_or3_b32 v2, v6, v3, v2
.LBB9_468:
	s_or_b64 exec, exec, s[6:7]
	s_movk_i32 s4, 0xff
	v_and_b32_sdwa v3, v4, s4 dst_sel:DWORD dst_unused:UNUSED_PAD src0_sel:WORD_1 src1_sel:DWORD
	s_movk_i32 s4, 0x7f
	v_cmp_lt_i16_e32 vcc, s4, v3
	s_mov_b64 s[4:5], 0
                                        ; implicit-def: $sgpr10
	s_and_saveexec_b64 s[6:7], vcc
	s_xor_b64 s[6:7], exec, s[6:7]
	s_cbranch_execnz .LBB9_2517
; %bb.469:
	s_or_saveexec_b64 s[6:7], s[6:7]
	v_mov_b32_e32 v6, s10
	s_xor_b64 exec, exec, s[6:7]
	s_cbranch_execnz .LBB9_2520
.LBB9_470:
	s_or_b64 exec, exec, s[6:7]
	s_and_saveexec_b64 s[6:7], s[4:5]
	s_cbranch_execz .LBB9_472
.LBB9_471:
	v_bfe_u32 v3, v4, 16, 3
	v_ffbh_u32_e32 v10, v3
	v_min_u32_e32 v10, 32, v10
	v_lshrrev_b32_e32 v6, 19, v4
	v_subrev_u32_e32 v11, 28, v10
	v_and_b32_e32 v6, 15, v6
	v_lshlrev_b32_sdwa v11, v11, v4 dst_sel:DWORD dst_unused:UNUSED_PAD src0_sel:DWORD src1_sel:WORD_1
	v_bfe_u32 v7, v4, 19, 4
	v_sub_u32_e32 v10, 29, v10
	v_and_b32_e32 v11, 7, v11
	v_cmp_eq_u16_e32 vcc, 0, v6
	v_cndmask_b32_e32 v3, v3, v11, vcc
	v_cndmask_b32_e32 v6, v7, v10, vcc
	v_lshlrev_b32_e32 v7, 8, v4
	v_mov_b32_e32 v10, 0x3b800000
	v_lshlrev_b32_e32 v3, 20, v3
	v_and_b32_e32 v7, 0x80000000, v7
	v_lshl_add_u32 v6, v6, 23, v10
	v_or3_b32 v6, v7, v6, v3
.LBB9_472:
	s_or_b64 exec, exec, s[6:7]
	s_nop 0
	v_mfma_f32_16x16x4f32 a[0:3], v2, v6, a[0:3]
	s_movk_i32 s4, 0x7f
	v_cmp_gt_i16_sdwa s[6:7], v8, s4 src0_sel:BYTE_3 src1_sel:DWORD
	s_mov_b64 s[4:5], 0
                                        ; implicit-def: $sgpr10
	s_and_saveexec_b64 s[8:9], s[6:7]
	s_xor_b64 s[6:7], exec, s[8:9]
	s_cbranch_execnz .LBB9_2521
; %bb.473:
	s_or_saveexec_b64 s[6:7], s[6:7]
	v_mov_b32_e32 v2, s10
	s_xor_b64 exec, exec, s[6:7]
	s_cbranch_execnz .LBB9_2524
.LBB9_474:
	s_or_b64 exec, exec, s[6:7]
	s_and_saveexec_b64 s[6:7], s[4:5]
	s_cbranch_execz .LBB9_476
.LBB9_475:
	v_bfe_u32 v2, v8, 24, 3
	v_ffbh_u32_e32 v10, v2
	v_min_u32_e32 v10, 32, v10
	v_lshrrev_b32_e32 v6, 27, v8
	v_subrev_u32_e32 v11, 28, v10
	v_and_b32_e32 v3, 0x80000000, v8
	v_and_b32_e32 v6, 15, v6
	v_bfe_u32 v7, v8, 27, 4
	v_lshlrev_b32_sdwa v8, v11, v8 dst_sel:DWORD dst_unused:UNUSED_PAD src0_sel:DWORD src1_sel:BYTE_3
	v_sub_u32_e32 v10, 29, v10
	v_and_b32_e32 v8, 7, v8
	v_cmp_eq_u16_e32 vcc, 0, v6
	v_cndmask_b32_e32 v2, v2, v8, vcc
	v_cndmask_b32_e32 v6, v7, v10, vcc
	v_mov_b32_e32 v7, 0x3b800000
	v_lshlrev_b32_e32 v2, 20, v2
	v_lshl_add_u32 v6, v6, 23, v7
	v_or3_b32 v2, v3, v6, v2
.LBB9_476:
	s_or_b64 exec, exec, s[6:7]
	s_movk_i32 s4, 0x7f
	v_cmp_gt_i16_sdwa s[6:7], v4, s4 src0_sel:BYTE_3 src1_sel:DWORD
	s_mov_b64 s[4:5], 0
                                        ; implicit-def: $sgpr10
	s_and_saveexec_b64 s[8:9], s[6:7]
	s_xor_b64 s[6:7], exec, s[8:9]
	s_cbranch_execnz .LBB9_2525
; %bb.477:
	s_or_saveexec_b64 s[6:7], s[6:7]
	v_mov_b32_e32 v3, s10
	s_xor_b64 exec, exec, s[6:7]
	s_cbranch_execnz .LBB9_2528
.LBB9_478:
	s_or_b64 exec, exec, s[6:7]
	s_and_saveexec_b64 s[6:7], s[4:5]
	s_cbranch_execz .LBB9_480
.LBB9_479:
	v_bfe_u32 v3, v4, 24, 3
	v_ffbh_u32_e32 v10, v3
	v_min_u32_e32 v10, 32, v10
	v_lshrrev_b32_e32 v7, 27, v4
	v_subrev_u32_e32 v11, 28, v10
	v_and_b32_e32 v6, 0x80000000, v4
	v_and_b32_e32 v7, 15, v7
	v_bfe_u32 v8, v4, 27, 4
	v_lshlrev_b32_sdwa v4, v11, v4 dst_sel:DWORD dst_unused:UNUSED_PAD src0_sel:DWORD src1_sel:BYTE_3
	v_sub_u32_e32 v10, 29, v10
	v_and_b32_e32 v4, 7, v4
	v_cmp_eq_u16_e32 vcc, 0, v7
	v_cndmask_b32_e32 v3, v3, v4, vcc
	v_cndmask_b32_e32 v4, v8, v10, vcc
	v_mov_b32_e32 v7, 0x3b800000
	v_lshlrev_b32_e32 v3, 20, v3
	v_lshl_add_u32 v4, v4, 23, v7
	v_or3_b32 v3, v6, v4, v3
.LBB9_480:
	s_or_b64 exec, exec, s[6:7]
	s_nop 0
	v_mfma_f32_16x16x4f32 a[0:3], v2, v3, a[0:3]
	s_movk_i32 s4, 0x7f
	v_cmp_gt_i16_sdwa s[6:7], v9, s4 src0_sel:BYTE_0 src1_sel:DWORD
	s_mov_b64 s[4:5], 0
                                        ; implicit-def: $sgpr10
	s_and_saveexec_b64 s[8:9], s[6:7]
	s_xor_b64 s[6:7], exec, s[8:9]
	s_cbranch_execnz .LBB9_2529
; %bb.481:
	s_or_saveexec_b64 s[6:7], s[6:7]
	v_mov_b32_e32 v2, s10
	s_xor_b64 exec, exec, s[6:7]
	s_cbranch_execnz .LBB9_2532
.LBB9_482:
	s_or_b64 exec, exec, s[6:7]
	s_and_saveexec_b64 s[6:7], s[4:5]
	s_cbranch_execz .LBB9_484
.LBB9_483:
	v_mov_b32_e32 v2, 8
	v_and_b32_e32 v3, 7, v9
	v_lshrrev_b32_sdwa v2, v2, v9 dst_sel:BYTE_1 dst_unused:UNUSED_PAD src0_sel:DWORD src1_sel:DWORD
	v_ffbh_u32_e32 v4, v3
	v_or_b32_sdwa v2, v9, v2 dst_sel:DWORD dst_unused:UNUSED_PAD src0_sel:BYTE_0 src1_sel:DWORD
	v_min_u32_e32 v4, 32, v4
	v_lshrrev_b16_e32 v2, 3, v2
	v_subrev_u32_e32 v6, 28, v4
	v_and_b32_e32 v2, 15, v2
	v_lshlrev_b32_e32 v6, v6, v9
	v_sub_u32_e32 v4, 29, v4
	v_and_b32_e32 v6, 7, v6
	v_cmp_eq_u16_e32 vcc, 0, v2
	v_cndmask_b32_e32 v3, v3, v6, vcc
	v_cndmask_b32_e32 v2, v2, v4, vcc
	v_lshlrev_b32_e32 v4, 24, v9
	v_mov_b32_e32 v6, 0x3b800000
	v_lshlrev_b32_e32 v3, 20, v3
	v_and_b32_e32 v4, 0x80000000, v4
	v_lshl_add_u32 v2, v2, 23, v6
	v_or3_b32 v2, v4, v2, v3
.LBB9_484:
	s_or_b64 exec, exec, s[6:7]
	s_movk_i32 s4, 0x7f
	v_cmp_gt_i16_sdwa s[6:7], v5, s4 src0_sel:BYTE_0 src1_sel:DWORD
	s_mov_b64 s[4:5], 0
                                        ; implicit-def: $sgpr10
	s_and_saveexec_b64 s[8:9], s[6:7]
	s_xor_b64 s[6:7], exec, s[8:9]
	s_cbranch_execnz .LBB9_2533
; %bb.485:
	s_or_saveexec_b64 s[6:7], s[6:7]
	v_mov_b32_e32 v3, s10
	s_xor_b64 exec, exec, s[6:7]
	s_cbranch_execnz .LBB9_2536
.LBB9_486:
	s_or_b64 exec, exec, s[6:7]
	s_and_saveexec_b64 s[6:7], s[4:5]
	s_cbranch_execz .LBB9_488
.LBB9_487:
	v_mov_b32_e32 v3, 8
	v_and_b32_e32 v4, 7, v5
	v_lshrrev_b32_sdwa v3, v3, v5 dst_sel:BYTE_1 dst_unused:UNUSED_PAD src0_sel:DWORD src1_sel:DWORD
	v_ffbh_u32_e32 v6, v4
	v_or_b32_sdwa v3, v5, v3 dst_sel:DWORD dst_unused:UNUSED_PAD src0_sel:BYTE_0 src1_sel:DWORD
	v_min_u32_e32 v6, 32, v6
	v_lshrrev_b16_e32 v3, 3, v3
	v_subrev_u32_e32 v7, 28, v6
	v_and_b32_e32 v3, 15, v3
	v_lshlrev_b32_e32 v7, v7, v5
	v_sub_u32_e32 v6, 29, v6
	v_and_b32_e32 v7, 7, v7
	v_cmp_eq_u16_e32 vcc, 0, v3
	v_cndmask_b32_e32 v4, v4, v7, vcc
	v_cndmask_b32_e32 v3, v3, v6, vcc
	v_lshlrev_b32_e32 v6, 24, v5
	v_mov_b32_e32 v7, 0x3b800000
	v_lshlrev_b32_e32 v4, 20, v4
	v_and_b32_e32 v6, 0x80000000, v6
	v_lshl_add_u32 v3, v3, 23, v7
	v_or3_b32 v3, v6, v3, v4
.LBB9_488:
	s_or_b64 exec, exec, s[6:7]
	s_nop 0
	v_mfma_f32_16x16x4f32 a[0:3], v2, v3, a[0:3]
	v_lshrrev_b32_e32 v3, 8, v9
	s_movk_i32 s4, 0x7f
	v_cmp_gt_i16_sdwa s[6:7], v3, s4 src0_sel:BYTE_0 src1_sel:DWORD
	s_mov_b64 s[4:5], 0
                                        ; implicit-def: $sgpr10
	s_and_saveexec_b64 s[8:9], s[6:7]
	s_xor_b64 s[6:7], exec, s[8:9]
	s_cbranch_execnz .LBB9_2537
; %bb.489:
	s_or_saveexec_b64 s[6:7], s[6:7]
	v_mov_b32_e32 v2, s10
	s_xor_b64 exec, exec, s[6:7]
	s_cbranch_execnz .LBB9_2540
.LBB9_490:
	s_or_b64 exec, exec, s[6:7]
	s_and_saveexec_b64 s[6:7], s[4:5]
	s_cbranch_execz .LBB9_492
.LBB9_491:
	v_bfe_u32 v2, v9, 8, 3
	v_ffbh_u32_e32 v6, v2
	v_min_u32_e32 v6, 32, v6
	v_lshrrev_b16_e32 v4, 3, v3
	v_subrev_u32_e32 v7, 28, v6
	v_and_b32_e32 v4, 15, v4
	v_lshlrev_b32_e32 v3, v7, v3
	v_sub_u32_e32 v6, 29, v6
	v_and_b32_e32 v3, 7, v3
	v_cmp_eq_u16_e32 vcc, 0, v4
	v_cndmask_b32_e32 v2, v2, v3, vcc
	v_cndmask_b32_e32 v3, v4, v6, vcc
	v_lshlrev_b32_e32 v4, 16, v9
	v_mov_b32_e32 v6, 0x3b800000
	v_lshlrev_b32_e32 v2, 20, v2
	v_and_b32_e32 v4, 0x80000000, v4
	v_lshl_add_u32 v3, v3, 23, v6
	v_or3_b32 v2, v4, v3, v2
.LBB9_492:
	s_or_b64 exec, exec, s[6:7]
	v_lshrrev_b32_e32 v3, 8, v5
	s_movk_i32 s4, 0x7f
	v_cmp_gt_i16_sdwa s[6:7], v3, s4 src0_sel:BYTE_0 src1_sel:DWORD
	s_mov_b64 s[4:5], 0
                                        ; implicit-def: $sgpr10
	s_and_saveexec_b64 s[8:9], s[6:7]
	s_xor_b64 s[6:7], exec, s[8:9]
	s_cbranch_execnz .LBB9_2541
; %bb.493:
	s_or_saveexec_b64 s[6:7], s[6:7]
	v_mov_b32_e32 v4, s10
	s_xor_b64 exec, exec, s[6:7]
	s_cbranch_execnz .LBB9_2544
.LBB9_494:
	s_or_b64 exec, exec, s[6:7]
	s_and_saveexec_b64 s[6:7], s[4:5]
	s_cbranch_execz .LBB9_496
.LBB9_495:
	v_bfe_u32 v4, v5, 8, 3
	v_ffbh_u32_e32 v7, v4
	v_min_u32_e32 v7, 32, v7
	v_lshrrev_b16_e32 v6, 3, v3
	v_subrev_u32_e32 v8, 28, v7
	v_and_b32_e32 v6, 15, v6
	v_lshlrev_b32_e32 v3, v8, v3
	v_sub_u32_e32 v7, 29, v7
	v_and_b32_e32 v3, 7, v3
	v_cmp_eq_u16_e32 vcc, 0, v6
	v_cndmask_b32_e32 v3, v4, v3, vcc
	v_cndmask_b32_e32 v4, v6, v7, vcc
	v_lshlrev_b32_e32 v6, 16, v5
	v_mov_b32_e32 v7, 0x3b800000
	v_lshlrev_b32_e32 v3, 20, v3
	v_and_b32_e32 v6, 0x80000000, v6
	v_lshl_add_u32 v4, v4, 23, v7
	v_or3_b32 v4, v6, v4, v3
.LBB9_496:
	s_or_b64 exec, exec, s[6:7]
	s_nop 0
	v_mfma_f32_16x16x4f32 a[0:3], v2, v4, a[0:3]
	s_movk_i32 s4, 0xff
	v_and_b32_sdwa v3, v9, s4 dst_sel:DWORD dst_unused:UNUSED_PAD src0_sel:WORD_1 src1_sel:DWORD
	s_movk_i32 s4, 0x7f
	v_cmp_lt_i16_e32 vcc, s4, v3
	s_mov_b64 s[4:5], 0
                                        ; implicit-def: $sgpr10
	s_and_saveexec_b64 s[6:7], vcc
	s_xor_b64 s[6:7], exec, s[6:7]
	s_cbranch_execnz .LBB9_2545
; %bb.497:
	s_or_saveexec_b64 s[6:7], s[6:7]
	v_mov_b32_e32 v2, s10
	s_xor_b64 exec, exec, s[6:7]
	s_cbranch_execnz .LBB9_2548
.LBB9_498:
	s_or_b64 exec, exec, s[6:7]
	s_and_saveexec_b64 s[6:7], s[4:5]
	s_cbranch_execz .LBB9_500
.LBB9_499:
	v_bfe_u32 v2, v9, 16, 3
	v_ffbh_u32_e32 v6, v2
	v_min_u32_e32 v6, 32, v6
	v_lshrrev_b32_e32 v3, 19, v9
	v_subrev_u32_e32 v7, 28, v6
	v_and_b32_e32 v3, 15, v3
	v_lshlrev_b32_sdwa v7, v7, v9 dst_sel:DWORD dst_unused:UNUSED_PAD src0_sel:DWORD src1_sel:WORD_1
	v_bfe_u32 v4, v9, 19, 4
	v_sub_u32_e32 v6, 29, v6
	v_and_b32_e32 v7, 7, v7
	v_cmp_eq_u16_e32 vcc, 0, v3
	v_cndmask_b32_e32 v2, v2, v7, vcc
	v_cndmask_b32_e32 v3, v4, v6, vcc
	v_lshlrev_b32_e32 v4, 8, v9
	v_mov_b32_e32 v6, 0x3b800000
	v_lshlrev_b32_e32 v2, 20, v2
	v_and_b32_e32 v4, 0x80000000, v4
	v_lshl_add_u32 v3, v3, 23, v6
	v_or3_b32 v2, v4, v3, v2
.LBB9_500:
	s_or_b64 exec, exec, s[6:7]
	s_movk_i32 s4, 0xff
	v_and_b32_sdwa v3, v5, s4 dst_sel:DWORD dst_unused:UNUSED_PAD src0_sel:WORD_1 src1_sel:DWORD
	s_movk_i32 s4, 0x7f
	v_cmp_lt_i16_e32 vcc, s4, v3
	s_mov_b64 s[4:5], 0
                                        ; implicit-def: $sgpr10
	s_and_saveexec_b64 s[6:7], vcc
	s_xor_b64 s[6:7], exec, s[6:7]
	s_cbranch_execnz .LBB9_2549
; %bb.501:
	s_or_saveexec_b64 s[6:7], s[6:7]
	v_mov_b32_e32 v4, s10
	s_xor_b64 exec, exec, s[6:7]
	s_cbranch_execnz .LBB9_2552
.LBB9_502:
	s_or_b64 exec, exec, s[6:7]
	s_and_saveexec_b64 s[6:7], s[4:5]
	s_cbranch_execz .LBB9_504
.LBB9_503:
	v_bfe_u32 v3, v5, 16, 3
	v_ffbh_u32_e32 v7, v3
	v_min_u32_e32 v7, 32, v7
	v_lshrrev_b32_e32 v4, 19, v5
	v_subrev_u32_e32 v8, 28, v7
	v_and_b32_e32 v4, 15, v4
	v_lshlrev_b32_sdwa v8, v8, v5 dst_sel:DWORD dst_unused:UNUSED_PAD src0_sel:DWORD src1_sel:WORD_1
	v_bfe_u32 v6, v5, 19, 4
	v_sub_u32_e32 v7, 29, v7
	v_and_b32_e32 v8, 7, v8
	v_cmp_eq_u16_e32 vcc, 0, v4
	v_cndmask_b32_e32 v3, v3, v8, vcc
	v_cndmask_b32_e32 v4, v6, v7, vcc
	v_lshlrev_b32_e32 v6, 8, v5
	v_mov_b32_e32 v7, 0x3b800000
	v_lshlrev_b32_e32 v3, 20, v3
	v_and_b32_e32 v6, 0x80000000, v6
	v_lshl_add_u32 v4, v4, 23, v7
	v_or3_b32 v4, v6, v4, v3
.LBB9_504:
	s_or_b64 exec, exec, s[6:7]
	s_nop 0
	v_mfma_f32_16x16x4f32 a[0:3], v2, v4, a[0:3]
	s_movk_i32 s4, 0x7f
	v_cmp_gt_i16_sdwa s[6:7], v9, s4 src0_sel:BYTE_3 src1_sel:DWORD
	s_mov_b64 s[4:5], 0
                                        ; implicit-def: $sgpr10
	s_and_saveexec_b64 s[8:9], s[6:7]
	s_xor_b64 s[6:7], exec, s[8:9]
	s_cbranch_execnz .LBB9_2553
; %bb.505:
	s_or_saveexec_b64 s[6:7], s[6:7]
	v_mov_b32_e32 v2, s10
	s_xor_b64 exec, exec, s[6:7]
	s_cbranch_execnz .LBB9_2556
.LBB9_506:
	s_or_b64 exec, exec, s[6:7]
	s_and_saveexec_b64 s[6:7], s[4:5]
	s_cbranch_execz .LBB9_508
.LBB9_507:
	v_bfe_u32 v2, v9, 24, 3
	v_ffbh_u32_e32 v7, v2
	v_min_u32_e32 v7, 32, v7
	v_lshrrev_b32_e32 v4, 27, v9
	v_subrev_u32_e32 v8, 28, v7
	v_and_b32_e32 v4, 15, v4
	v_lshlrev_b32_sdwa v8, v8, v9 dst_sel:DWORD dst_unused:UNUSED_PAD src0_sel:DWORD src1_sel:BYTE_3
	v_bfe_u32 v6, v9, 27, 4
	v_sub_u32_e32 v7, 29, v7
	v_and_b32_e32 v8, 7, v8
	v_cmp_eq_u16_e32 vcc, 0, v4
	v_cndmask_b32_e32 v2, v2, v8, vcc
	v_cndmask_b32_e32 v4, v6, v7, vcc
	v_mov_b32_e32 v6, 0x3b800000
	v_and_b32_e32 v3, 0x80000000, v9
	v_lshlrev_b32_e32 v2, 20, v2
	v_lshl_add_u32 v4, v4, 23, v6
	v_or3_b32 v2, v3, v4, v2
.LBB9_508:
	s_or_b64 exec, exec, s[6:7]
	s_movk_i32 s4, 0x7f
	v_cmp_gt_i16_sdwa s[6:7], v5, s4 src0_sel:BYTE_3 src1_sel:DWORD
	s_mov_b64 s[4:5], 0
                                        ; implicit-def: $sgpr10
	s_and_saveexec_b64 s[8:9], s[6:7]
	s_xor_b64 s[6:7], exec, s[8:9]
	s_cbranch_execnz .LBB9_2557
; %bb.509:
	s_or_saveexec_b64 s[6:7], s[6:7]
	v_mov_b32_e32 v3, s10
	s_xor_b64 exec, exec, s[6:7]
	s_cbranch_execnz .LBB9_2560
.LBB9_510:
	s_or_b64 exec, exec, s[6:7]
	s_and_saveexec_b64 s[6:7], s[4:5]
	s_cbranch_execz .LBB9_512
.LBB9_511:
	v_bfe_u32 v3, v5, 24, 3
	v_ffbh_u32_e32 v8, v3
	v_min_u32_e32 v8, 32, v8
	v_lshrrev_b32_e32 v6, 27, v5
	v_subrev_u32_e32 v9, 28, v8
	v_and_b32_e32 v4, 0x80000000, v5
	v_and_b32_e32 v6, 15, v6
	v_bfe_u32 v7, v5, 27, 4
	v_lshlrev_b32_sdwa v5, v9, v5 dst_sel:DWORD dst_unused:UNUSED_PAD src0_sel:DWORD src1_sel:BYTE_3
	v_sub_u32_e32 v8, 29, v8
	v_and_b32_e32 v5, 7, v5
	v_cmp_eq_u16_e32 vcc, 0, v6
	v_cndmask_b32_e32 v3, v3, v5, vcc
	v_cndmask_b32_e32 v5, v7, v8, vcc
	v_mov_b32_e32 v6, 0x3b800000
	v_lshlrev_b32_e32 v3, 20, v3
	v_lshl_add_u32 v5, v5, 23, v6
	v_or3_b32 v3, v4, v5, v3
.LBB9_512:
	s_or_b64 exec, exec, s[6:7]
	s_nop 0
	v_mfma_f32_16x16x4f32 a[0:3], v2, v3, a[0:3]
	s_movk_i32 s4, 0x7f
                                        ; implicit-def: $sgpr10
	s_nop 7
	s_nop 1
	flat_store_dwordx4 v[18:19], a[0:3] offset:912
	flat_load_dwordx4 v[20:23], v[0:1] offset:16
	s_nop 0
	flat_load_dwordx2 v[18:19], v[0:1] offset:32
	s_waitcnt vmcnt(0) lgkmcnt(0)
	flat_load_dwordx4 v[14:17], v[20:21] offset:32
	flat_load_dwordx4 v[6:9], v[20:21] offset:48
	flat_load_dwordx4 v[10:13], v[22:23] offset:64
	flat_load_dwordx4 v[2:5], v[22:23] offset:80
	s_waitcnt vmcnt(0) lgkmcnt(0)
	v_cmp_gt_i16_sdwa s[6:7], v14, s4 src0_sel:BYTE_0 src1_sel:DWORD
	s_mov_b64 s[4:5], 0
	s_and_saveexec_b64 s[8:9], s[6:7]
	s_xor_b64 s[6:7], exec, s[8:9]
	s_cbranch_execnz .LBB9_2561
; %bb.513:
	s_or_saveexec_b64 s[6:7], s[6:7]
	v_mov_b32_e32 v20, s10
	s_xor_b64 exec, exec, s[6:7]
	s_cbranch_execnz .LBB9_2564
.LBB9_514:
	s_or_b64 exec, exec, s[6:7]
	s_and_saveexec_b64 s[6:7], s[4:5]
	s_cbranch_execz .LBB9_516
.LBB9_515:
	v_and_b32_e32 v20, 7, v14
	v_ffbh_u32_e32 v22, v20
	v_min_u32_e32 v22, 32, v22
	v_lshrrev_b16_e32 v21, 3, v14
	v_subrev_u32_e32 v23, 28, v22
	v_and_b32_e32 v21, 15, v21
	v_lshlrev_b32_e32 v23, v23, v14
	v_sub_u32_e32 v22, 29, v22
	v_and_b32_e32 v23, 7, v23
	v_cmp_eq_u16_e32 vcc, 0, v21
	v_cndmask_b32_e32 v20, v20, v23, vcc
	v_cndmask_b32_e32 v21, v21, v22, vcc
	v_lshlrev_b32_e32 v22, 24, v14
	v_mov_b32_e32 v23, 0x3b800000
	v_lshlrev_b32_e32 v20, 20, v20
	v_and_b32_e32 v22, 0x80000000, v22
	v_lshl_add_u32 v21, v21, 23, v23
	v_or3_b32 v20, v22, v21, v20
.LBB9_516:
	s_or_b64 exec, exec, s[6:7]
	s_movk_i32 s4, 0x7f
	v_cmp_gt_i16_sdwa s[6:7], v10, s4 src0_sel:BYTE_0 src1_sel:DWORD
	s_mov_b64 s[4:5], 0
                                        ; implicit-def: $sgpr10
	s_and_saveexec_b64 s[8:9], s[6:7]
	s_xor_b64 s[6:7], exec, s[8:9]
	s_cbranch_execnz .LBB9_2565
; %bb.517:
	s_or_saveexec_b64 s[6:7], s[6:7]
	v_mov_b32_e32 v21, s10
	s_xor_b64 exec, exec, s[6:7]
	s_cbranch_execnz .LBB9_2568
.LBB9_518:
	s_or_b64 exec, exec, s[6:7]
	s_and_saveexec_b64 s[6:7], s[4:5]
	s_cbranch_execz .LBB9_520
.LBB9_519:
	v_and_b32_e32 v21, 7, v10
	v_ffbh_u32_e32 v23, v21
	v_min_u32_e32 v23, 32, v23
	v_lshrrev_b16_e32 v22, 3, v10
	v_subrev_u32_e32 v24, 28, v23
	v_and_b32_e32 v22, 15, v22
	v_lshlrev_b32_e32 v24, v24, v10
	v_sub_u32_e32 v23, 29, v23
	v_and_b32_e32 v24, 7, v24
	v_cmp_eq_u16_e32 vcc, 0, v22
	v_cndmask_b32_e32 v21, v21, v24, vcc
	v_cndmask_b32_e32 v22, v22, v23, vcc
	v_lshlrev_b32_e32 v23, 24, v10
	v_mov_b32_e32 v24, 0x3b800000
	v_lshlrev_b32_e32 v21, 20, v21
	v_and_b32_e32 v23, 0x80000000, v23
	v_lshl_add_u32 v22, v22, 23, v24
	v_or3_b32 v21, v23, v22, v21
.LBB9_520:
	s_or_b64 exec, exec, s[6:7]
	flat_load_dwordx4 a[0:3], v[18:19] offset:928
	s_movk_i32 s4, 0x7f
                                        ; implicit-def: $sgpr10
	s_waitcnt vmcnt(0) lgkmcnt(0)
	v_mfma_f32_16x16x4f32 a[0:3], v20, v21, a[0:3]
	v_lshrrev_b32_e32 v21, 8, v14
	v_cmp_gt_i16_sdwa s[6:7], v21, s4 src0_sel:BYTE_0 src1_sel:DWORD
	s_mov_b64 s[4:5], 0
	s_and_saveexec_b64 s[8:9], s[6:7]
	s_xor_b64 s[6:7], exec, s[8:9]
	s_cbranch_execnz .LBB9_2569
; %bb.521:
	s_or_saveexec_b64 s[6:7], s[6:7]
	v_mov_b32_e32 v20, s10
	s_xor_b64 exec, exec, s[6:7]
	s_cbranch_execnz .LBB9_2572
.LBB9_522:
	s_or_b64 exec, exec, s[6:7]
	s_and_saveexec_b64 s[6:7], s[4:5]
	s_cbranch_execz .LBB9_524
.LBB9_523:
	v_bfe_u32 v20, v14, 8, 3
	v_ffbh_u32_e32 v23, v20
	v_min_u32_e32 v23, 32, v23
	v_lshrrev_b16_e32 v22, 3, v21
	v_subrev_u32_e32 v24, 28, v23
	v_and_b32_e32 v22, 15, v22
	v_lshlrev_b32_e32 v21, v24, v21
	v_sub_u32_e32 v23, 29, v23
	v_and_b32_e32 v21, 7, v21
	v_cmp_eq_u16_e32 vcc, 0, v22
	v_cndmask_b32_e32 v20, v20, v21, vcc
	v_cndmask_b32_e32 v21, v22, v23, vcc
	v_lshlrev_b32_e32 v22, 16, v14
	v_mov_b32_e32 v23, 0x3b800000
	v_lshlrev_b32_e32 v20, 20, v20
	v_and_b32_e32 v22, 0x80000000, v22
	v_lshl_add_u32 v21, v21, 23, v23
	v_or3_b32 v20, v22, v21, v20
.LBB9_524:
	s_or_b64 exec, exec, s[6:7]
	v_lshrrev_b32_e32 v21, 8, v10
	s_movk_i32 s4, 0x7f
	v_cmp_gt_i16_sdwa s[6:7], v21, s4 src0_sel:BYTE_0 src1_sel:DWORD
	s_mov_b64 s[4:5], 0
                                        ; implicit-def: $sgpr10
	s_and_saveexec_b64 s[8:9], s[6:7]
	s_xor_b64 s[6:7], exec, s[8:9]
	s_cbranch_execnz .LBB9_2573
; %bb.525:
	s_or_saveexec_b64 s[6:7], s[6:7]
	v_mov_b32_e32 v22, s10
	s_xor_b64 exec, exec, s[6:7]
	s_cbranch_execnz .LBB9_2576
.LBB9_526:
	s_or_b64 exec, exec, s[6:7]
	s_and_saveexec_b64 s[6:7], s[4:5]
	s_cbranch_execz .LBB9_528
.LBB9_527:
	v_bfe_u32 v22, v10, 8, 3
	v_ffbh_u32_e32 v24, v22
	v_min_u32_e32 v24, 32, v24
	v_lshrrev_b16_e32 v23, 3, v21
	v_subrev_u32_e32 v25, 28, v24
	v_and_b32_e32 v23, 15, v23
	v_lshlrev_b32_e32 v21, v25, v21
	v_sub_u32_e32 v24, 29, v24
	v_and_b32_e32 v21, 7, v21
	v_cmp_eq_u16_e32 vcc, 0, v23
	v_cndmask_b32_e32 v21, v22, v21, vcc
	v_cndmask_b32_e32 v22, v23, v24, vcc
	v_lshlrev_b32_e32 v23, 16, v10
	v_mov_b32_e32 v24, 0x3b800000
	v_lshlrev_b32_e32 v21, 20, v21
	v_and_b32_e32 v23, 0x80000000, v23
	v_lshl_add_u32 v22, v22, 23, v24
	v_or3_b32 v22, v23, v22, v21
.LBB9_528:
	s_or_b64 exec, exec, s[6:7]
	s_nop 0
	v_mfma_f32_16x16x4f32 a[0:3], v20, v22, a[0:3]
	s_movk_i32 s4, 0xff
	v_and_b32_sdwa v21, v14, s4 dst_sel:DWORD dst_unused:UNUSED_PAD src0_sel:WORD_1 src1_sel:DWORD
	s_movk_i32 s4, 0x7f
	v_cmp_lt_i16_e32 vcc, s4, v21
	s_mov_b64 s[4:5], 0
                                        ; implicit-def: $sgpr10
	s_and_saveexec_b64 s[6:7], vcc
	s_xor_b64 s[6:7], exec, s[6:7]
	s_cbranch_execnz .LBB9_2577
; %bb.529:
	s_or_saveexec_b64 s[6:7], s[6:7]
	v_mov_b32_e32 v20, s10
	s_xor_b64 exec, exec, s[6:7]
	s_cbranch_execnz .LBB9_2580
.LBB9_530:
	s_or_b64 exec, exec, s[6:7]
	s_and_saveexec_b64 s[6:7], s[4:5]
	s_cbranch_execz .LBB9_532
.LBB9_531:
	v_bfe_u32 v20, v14, 16, 3
	v_ffbh_u32_e32 v23, v20
	v_min_u32_e32 v23, 32, v23
	v_lshrrev_b32_e32 v21, 19, v14
	v_subrev_u32_e32 v24, 28, v23
	v_and_b32_e32 v21, 15, v21
	v_lshlrev_b32_sdwa v24, v24, v14 dst_sel:DWORD dst_unused:UNUSED_PAD src0_sel:DWORD src1_sel:WORD_1
	v_bfe_u32 v22, v14, 19, 4
	v_sub_u32_e32 v23, 29, v23
	v_and_b32_e32 v24, 7, v24
	v_cmp_eq_u16_e32 vcc, 0, v21
	v_cndmask_b32_e32 v20, v20, v24, vcc
	v_cndmask_b32_e32 v21, v22, v23, vcc
	v_lshlrev_b32_e32 v22, 8, v14
	v_mov_b32_e32 v23, 0x3b800000
	v_lshlrev_b32_e32 v20, 20, v20
	v_and_b32_e32 v22, 0x80000000, v22
	v_lshl_add_u32 v21, v21, 23, v23
	v_or3_b32 v20, v22, v21, v20
.LBB9_532:
	s_or_b64 exec, exec, s[6:7]
	s_movk_i32 s4, 0xff
	v_and_b32_sdwa v21, v10, s4 dst_sel:DWORD dst_unused:UNUSED_PAD src0_sel:WORD_1 src1_sel:DWORD
	s_movk_i32 s4, 0x7f
	v_cmp_lt_i16_e32 vcc, s4, v21
	s_mov_b64 s[4:5], 0
                                        ; implicit-def: $sgpr10
	s_and_saveexec_b64 s[6:7], vcc
	s_xor_b64 s[6:7], exec, s[6:7]
	s_cbranch_execnz .LBB9_2581
; %bb.533:
	s_or_saveexec_b64 s[6:7], s[6:7]
	v_mov_b32_e32 v22, s10
	s_xor_b64 exec, exec, s[6:7]
	s_cbranch_execnz .LBB9_2584
.LBB9_534:
	s_or_b64 exec, exec, s[6:7]
	s_and_saveexec_b64 s[6:7], s[4:5]
	s_cbranch_execz .LBB9_536
.LBB9_535:
	v_bfe_u32 v21, v10, 16, 3
	v_ffbh_u32_e32 v24, v21
	v_min_u32_e32 v24, 32, v24
	v_lshrrev_b32_e32 v22, 19, v10
	v_subrev_u32_e32 v25, 28, v24
	v_and_b32_e32 v22, 15, v22
	v_lshlrev_b32_sdwa v25, v25, v10 dst_sel:DWORD dst_unused:UNUSED_PAD src0_sel:DWORD src1_sel:WORD_1
	v_bfe_u32 v23, v10, 19, 4
	v_sub_u32_e32 v24, 29, v24
	v_and_b32_e32 v25, 7, v25
	v_cmp_eq_u16_e32 vcc, 0, v22
	v_cndmask_b32_e32 v21, v21, v25, vcc
	v_cndmask_b32_e32 v22, v23, v24, vcc
	v_lshlrev_b32_e32 v23, 8, v10
	v_mov_b32_e32 v24, 0x3b800000
	v_lshlrev_b32_e32 v21, 20, v21
	v_and_b32_e32 v23, 0x80000000, v23
	v_lshl_add_u32 v22, v22, 23, v24
	v_or3_b32 v22, v23, v22, v21
.LBB9_536:
	s_or_b64 exec, exec, s[6:7]
	s_nop 0
	v_mfma_f32_16x16x4f32 a[0:3], v20, v22, a[0:3]
	s_movk_i32 s4, 0x7f
	v_cmp_gt_i16_sdwa s[6:7], v14, s4 src0_sel:BYTE_3 src1_sel:DWORD
	s_mov_b64 s[4:5], 0
                                        ; implicit-def: $sgpr10
	s_and_saveexec_b64 s[8:9], s[6:7]
	s_xor_b64 s[6:7], exec, s[8:9]
	s_cbranch_execnz .LBB9_2585
; %bb.537:
	s_or_saveexec_b64 s[6:7], s[6:7]
	v_mov_b32_e32 v20, s10
	s_xor_b64 exec, exec, s[6:7]
	s_cbranch_execnz .LBB9_2588
.LBB9_538:
	s_or_b64 exec, exec, s[6:7]
	s_and_saveexec_b64 s[6:7], s[4:5]
	s_cbranch_execz .LBB9_540
.LBB9_539:
	v_bfe_u32 v20, v14, 24, 3
	v_ffbh_u32_e32 v24, v20
	v_min_u32_e32 v24, 32, v24
	v_lshrrev_b32_e32 v22, 27, v14
	v_subrev_u32_e32 v25, 28, v24
	v_and_b32_e32 v21, 0x80000000, v14
	v_and_b32_e32 v22, 15, v22
	v_bfe_u32 v23, v14, 27, 4
	v_lshlrev_b32_sdwa v14, v25, v14 dst_sel:DWORD dst_unused:UNUSED_PAD src0_sel:DWORD src1_sel:BYTE_3
	v_sub_u32_e32 v24, 29, v24
	v_and_b32_e32 v14, 7, v14
	v_cmp_eq_u16_e32 vcc, 0, v22
	v_cndmask_b32_e32 v14, v20, v14, vcc
	v_cndmask_b32_e32 v20, v23, v24, vcc
	v_mov_b32_e32 v22, 0x3b800000
	v_lshlrev_b32_e32 v14, 20, v14
	v_lshl_add_u32 v20, v20, 23, v22
	v_or3_b32 v20, v21, v20, v14
.LBB9_540:
	s_or_b64 exec, exec, s[6:7]
	s_movk_i32 s4, 0x7f
	v_cmp_gt_i16_sdwa s[6:7], v10, s4 src0_sel:BYTE_3 src1_sel:DWORD
	s_mov_b64 s[4:5], 0
                                        ; implicit-def: $sgpr10
	s_and_saveexec_b64 s[8:9], s[6:7]
	s_xor_b64 s[6:7], exec, s[8:9]
	s_cbranch_execnz .LBB9_2589
; %bb.541:
	s_or_saveexec_b64 s[6:7], s[6:7]
	v_mov_b32_e32 v14, s10
	s_xor_b64 exec, exec, s[6:7]
	s_cbranch_execnz .LBB9_2592
.LBB9_542:
	s_or_b64 exec, exec, s[6:7]
	s_and_saveexec_b64 s[6:7], s[4:5]
	s_cbranch_execz .LBB9_544
.LBB9_543:
	v_bfe_u32 v14, v10, 24, 3
	v_ffbh_u32_e32 v24, v14
	v_min_u32_e32 v24, 32, v24
	v_lshrrev_b32_e32 v22, 27, v10
	v_subrev_u32_e32 v25, 28, v24
	v_and_b32_e32 v21, 0x80000000, v10
	v_and_b32_e32 v22, 15, v22
	v_bfe_u32 v23, v10, 27, 4
	v_lshlrev_b32_sdwa v10, v25, v10 dst_sel:DWORD dst_unused:UNUSED_PAD src0_sel:DWORD src1_sel:BYTE_3
	v_sub_u32_e32 v24, 29, v24
	v_and_b32_e32 v10, 7, v10
	v_cmp_eq_u16_e32 vcc, 0, v22
	v_cndmask_b32_e32 v10, v14, v10, vcc
	v_cndmask_b32_e32 v14, v23, v24, vcc
	v_mov_b32_e32 v22, 0x3b800000
	v_lshlrev_b32_e32 v10, 20, v10
	v_lshl_add_u32 v14, v14, 23, v22
	v_or3_b32 v14, v21, v14, v10
.LBB9_544:
	s_or_b64 exec, exec, s[6:7]
	s_nop 0
	v_mfma_f32_16x16x4f32 a[0:3], v20, v14, a[0:3]
	s_movk_i32 s4, 0x7f
	v_cmp_gt_i16_sdwa s[6:7], v15, s4 src0_sel:BYTE_0 src1_sel:DWORD
	s_mov_b64 s[4:5], 0
                                        ; implicit-def: $sgpr10
	s_and_saveexec_b64 s[8:9], s[6:7]
	s_xor_b64 s[6:7], exec, s[8:9]
	s_cbranch_execnz .LBB9_2593
; %bb.545:
	s_or_saveexec_b64 s[6:7], s[6:7]
	v_mov_b32_e32 v10, s10
	s_xor_b64 exec, exec, s[6:7]
	s_cbranch_execnz .LBB9_2596
.LBB9_546:
	s_or_b64 exec, exec, s[6:7]
	s_and_saveexec_b64 s[6:7], s[4:5]
	s_cbranch_execz .LBB9_548
.LBB9_547:
	v_and_b32_e32 v10, 7, v15
	v_ffbh_u32_e32 v20, v10
	v_min_u32_e32 v20, 32, v20
	v_lshrrev_b16_e32 v14, 3, v15
	v_subrev_u32_e32 v21, 28, v20
	v_and_b32_e32 v14, 15, v14
	v_lshlrev_b32_e32 v21, v21, v15
	v_sub_u32_e32 v20, 29, v20
	v_and_b32_e32 v21, 7, v21
	v_cmp_eq_u16_e32 vcc, 0, v14
	v_cndmask_b32_e32 v10, v10, v21, vcc
	v_cndmask_b32_e32 v14, v14, v20, vcc
	v_lshlrev_b32_e32 v20, 24, v15
	v_mov_b32_e32 v21, 0x3b800000
	v_lshlrev_b32_e32 v10, 20, v10
	v_and_b32_e32 v20, 0x80000000, v20
	v_lshl_add_u32 v14, v14, 23, v21
	v_or3_b32 v10, v20, v14, v10
.LBB9_548:
	s_or_b64 exec, exec, s[6:7]
	s_movk_i32 s4, 0x7f
	v_cmp_gt_i16_sdwa s[6:7], v11, s4 src0_sel:BYTE_0 src1_sel:DWORD
	s_mov_b64 s[4:5], 0
                                        ; implicit-def: $sgpr10
	s_and_saveexec_b64 s[8:9], s[6:7]
	s_xor_b64 s[6:7], exec, s[8:9]
	s_cbranch_execnz .LBB9_2597
; %bb.549:
	s_or_saveexec_b64 s[6:7], s[6:7]
	v_mov_b32_e32 v14, s10
	s_xor_b64 exec, exec, s[6:7]
	s_cbranch_execnz .LBB9_2600
.LBB9_550:
	s_or_b64 exec, exec, s[6:7]
	s_and_saveexec_b64 s[6:7], s[4:5]
	s_cbranch_execz .LBB9_552
.LBB9_551:
	v_and_b32_e32 v14, 7, v11
	v_ffbh_u32_e32 v21, v14
	v_min_u32_e32 v21, 32, v21
	v_lshrrev_b16_e32 v20, 3, v11
	v_subrev_u32_e32 v22, 28, v21
	v_and_b32_e32 v20, 15, v20
	v_lshlrev_b32_e32 v22, v22, v11
	v_sub_u32_e32 v21, 29, v21
	v_and_b32_e32 v22, 7, v22
	v_cmp_eq_u16_e32 vcc, 0, v20
	v_cndmask_b32_e32 v14, v14, v22, vcc
	v_cndmask_b32_e32 v20, v20, v21, vcc
	v_lshlrev_b32_e32 v21, 24, v11
	v_mov_b32_e32 v22, 0x3b800000
	v_lshlrev_b32_e32 v14, 20, v14
	v_and_b32_e32 v21, 0x80000000, v21
	v_lshl_add_u32 v20, v20, 23, v22
	v_or3_b32 v14, v21, v20, v14
.LBB9_552:
	s_or_b64 exec, exec, s[6:7]
	s_nop 0
	v_mfma_f32_16x16x4f32 a[0:3], v10, v14, a[0:3]
	v_lshrrev_b32_e32 v14, 8, v15
	s_movk_i32 s4, 0x7f
	v_cmp_gt_i16_sdwa s[6:7], v14, s4 src0_sel:BYTE_0 src1_sel:DWORD
	s_mov_b64 s[4:5], 0
                                        ; implicit-def: $sgpr10
	s_and_saveexec_b64 s[8:9], s[6:7]
	s_xor_b64 s[6:7], exec, s[8:9]
	s_cbranch_execnz .LBB9_2601
; %bb.553:
	s_or_saveexec_b64 s[6:7], s[6:7]
	v_mov_b32_e32 v10, s10
	s_xor_b64 exec, exec, s[6:7]
	s_cbranch_execnz .LBB9_2604
.LBB9_554:
	s_or_b64 exec, exec, s[6:7]
	s_and_saveexec_b64 s[6:7], s[4:5]
	s_cbranch_execz .LBB9_556
.LBB9_555:
	v_bfe_u32 v10, v15, 8, 3
	v_ffbh_u32_e32 v21, v10
	v_min_u32_e32 v21, 32, v21
	v_lshrrev_b16_e32 v20, 3, v14
	v_subrev_u32_e32 v22, 28, v21
	v_and_b32_e32 v20, 15, v20
	v_lshlrev_b32_e32 v14, v22, v14
	v_sub_u32_e32 v21, 29, v21
	v_and_b32_e32 v14, 7, v14
	v_cmp_eq_u16_e32 vcc, 0, v20
	v_cndmask_b32_e32 v10, v10, v14, vcc
	v_cndmask_b32_e32 v14, v20, v21, vcc
	v_lshlrev_b32_e32 v20, 16, v15
	v_mov_b32_e32 v21, 0x3b800000
	v_lshlrev_b32_e32 v10, 20, v10
	v_and_b32_e32 v20, 0x80000000, v20
	v_lshl_add_u32 v14, v14, 23, v21
	v_or3_b32 v10, v20, v14, v10
.LBB9_556:
	s_or_b64 exec, exec, s[6:7]
	v_lshrrev_b32_e32 v14, 8, v11
	s_movk_i32 s4, 0x7f
	v_cmp_gt_i16_sdwa s[6:7], v14, s4 src0_sel:BYTE_0 src1_sel:DWORD
	s_mov_b64 s[4:5], 0
                                        ; implicit-def: $sgpr10
	s_and_saveexec_b64 s[8:9], s[6:7]
	s_xor_b64 s[6:7], exec, s[8:9]
	s_cbranch_execnz .LBB9_2605
; %bb.557:
	s_or_saveexec_b64 s[6:7], s[6:7]
	v_mov_b32_e32 v20, s10
	s_xor_b64 exec, exec, s[6:7]
	s_cbranch_execnz .LBB9_2608
.LBB9_558:
	s_or_b64 exec, exec, s[6:7]
	s_and_saveexec_b64 s[6:7], s[4:5]
	s_cbranch_execz .LBB9_560
.LBB9_559:
	v_bfe_u32 v20, v11, 8, 3
	v_ffbh_u32_e32 v22, v20
	v_min_u32_e32 v22, 32, v22
	v_lshrrev_b16_e32 v21, 3, v14
	v_subrev_u32_e32 v23, 28, v22
	v_and_b32_e32 v21, 15, v21
	v_lshlrev_b32_e32 v14, v23, v14
	v_sub_u32_e32 v22, 29, v22
	v_and_b32_e32 v14, 7, v14
	v_cmp_eq_u16_e32 vcc, 0, v21
	v_cndmask_b32_e32 v14, v20, v14, vcc
	v_cndmask_b32_e32 v20, v21, v22, vcc
	v_lshlrev_b32_e32 v21, 16, v11
	v_mov_b32_e32 v22, 0x3b800000
	v_lshlrev_b32_e32 v14, 20, v14
	v_and_b32_e32 v21, 0x80000000, v21
	v_lshl_add_u32 v20, v20, 23, v22
	v_or3_b32 v20, v21, v20, v14
.LBB9_560:
	s_or_b64 exec, exec, s[6:7]
	s_nop 0
	v_mfma_f32_16x16x4f32 a[0:3], v10, v20, a[0:3]
	s_movk_i32 s4, 0xff
	v_and_b32_sdwa v14, v15, s4 dst_sel:DWORD dst_unused:UNUSED_PAD src0_sel:WORD_1 src1_sel:DWORD
	s_movk_i32 s4, 0x7f
	v_cmp_lt_i16_e32 vcc, s4, v14
	s_mov_b64 s[4:5], 0
                                        ; implicit-def: $sgpr10
	s_and_saveexec_b64 s[6:7], vcc
	s_xor_b64 s[6:7], exec, s[6:7]
	s_cbranch_execnz .LBB9_2609
; %bb.561:
	s_or_saveexec_b64 s[6:7], s[6:7]
	v_mov_b32_e32 v10, s10
	s_xor_b64 exec, exec, s[6:7]
	s_cbranch_execnz .LBB9_2612
.LBB9_562:
	s_or_b64 exec, exec, s[6:7]
	s_and_saveexec_b64 s[6:7], s[4:5]
	s_cbranch_execz .LBB9_564
.LBB9_563:
	v_bfe_u32 v10, v15, 16, 3
	v_ffbh_u32_e32 v21, v10
	v_min_u32_e32 v21, 32, v21
	v_lshrrev_b32_e32 v14, 19, v15
	v_subrev_u32_e32 v22, 28, v21
	v_and_b32_e32 v14, 15, v14
	v_lshlrev_b32_sdwa v22, v22, v15 dst_sel:DWORD dst_unused:UNUSED_PAD src0_sel:DWORD src1_sel:WORD_1
	v_bfe_u32 v20, v15, 19, 4
	v_sub_u32_e32 v21, 29, v21
	v_and_b32_e32 v22, 7, v22
	v_cmp_eq_u16_e32 vcc, 0, v14
	v_cndmask_b32_e32 v10, v10, v22, vcc
	v_cndmask_b32_e32 v14, v20, v21, vcc
	v_lshlrev_b32_e32 v20, 8, v15
	v_mov_b32_e32 v21, 0x3b800000
	v_lshlrev_b32_e32 v10, 20, v10
	v_and_b32_e32 v20, 0x80000000, v20
	v_lshl_add_u32 v14, v14, 23, v21
	v_or3_b32 v10, v20, v14, v10
.LBB9_564:
	s_or_b64 exec, exec, s[6:7]
	s_movk_i32 s4, 0xff
	v_and_b32_sdwa v14, v11, s4 dst_sel:DWORD dst_unused:UNUSED_PAD src0_sel:WORD_1 src1_sel:DWORD
	s_movk_i32 s4, 0x7f
	v_cmp_lt_i16_e32 vcc, s4, v14
	s_mov_b64 s[4:5], 0
                                        ; implicit-def: $sgpr10
	s_and_saveexec_b64 s[6:7], vcc
	s_xor_b64 s[6:7], exec, s[6:7]
	s_cbranch_execnz .LBB9_2613
; %bb.565:
	s_or_saveexec_b64 s[6:7], s[6:7]
	v_mov_b32_e32 v20, s10
	s_xor_b64 exec, exec, s[6:7]
	s_cbranch_execnz .LBB9_2616
.LBB9_566:
	s_or_b64 exec, exec, s[6:7]
	s_and_saveexec_b64 s[6:7], s[4:5]
	s_cbranch_execz .LBB9_568
.LBB9_567:
	v_bfe_u32 v14, v11, 16, 3
	v_ffbh_u32_e32 v22, v14
	v_min_u32_e32 v22, 32, v22
	v_lshrrev_b32_e32 v20, 19, v11
	v_subrev_u32_e32 v23, 28, v22
	v_and_b32_e32 v20, 15, v20
	v_lshlrev_b32_sdwa v23, v23, v11 dst_sel:DWORD dst_unused:UNUSED_PAD src0_sel:DWORD src1_sel:WORD_1
	v_bfe_u32 v21, v11, 19, 4
	v_sub_u32_e32 v22, 29, v22
	v_and_b32_e32 v23, 7, v23
	v_cmp_eq_u16_e32 vcc, 0, v20
	v_cndmask_b32_e32 v14, v14, v23, vcc
	v_cndmask_b32_e32 v20, v21, v22, vcc
	v_lshlrev_b32_e32 v21, 8, v11
	v_mov_b32_e32 v22, 0x3b800000
	v_lshlrev_b32_e32 v14, 20, v14
	v_and_b32_e32 v21, 0x80000000, v21
	v_lshl_add_u32 v20, v20, 23, v22
	v_or3_b32 v20, v21, v20, v14
.LBB9_568:
	s_or_b64 exec, exec, s[6:7]
	s_nop 0
	v_mfma_f32_16x16x4f32 a[0:3], v10, v20, a[0:3]
	s_movk_i32 s4, 0x7f
	v_cmp_gt_i16_sdwa s[6:7], v15, s4 src0_sel:BYTE_3 src1_sel:DWORD
	s_mov_b64 s[4:5], 0
                                        ; implicit-def: $sgpr10
	s_and_saveexec_b64 s[8:9], s[6:7]
	s_xor_b64 s[6:7], exec, s[8:9]
	s_cbranch_execnz .LBB9_2617
; %bb.569:
	s_or_saveexec_b64 s[6:7], s[6:7]
	v_mov_b32_e32 v10, s10
	s_xor_b64 exec, exec, s[6:7]
	s_cbranch_execnz .LBB9_2620
.LBB9_570:
	s_or_b64 exec, exec, s[6:7]
	s_and_saveexec_b64 s[6:7], s[4:5]
	s_cbranch_execz .LBB9_572
.LBB9_571:
	v_bfe_u32 v10, v15, 24, 3
	v_ffbh_u32_e32 v22, v10
	v_min_u32_e32 v22, 32, v22
	v_lshrrev_b32_e32 v20, 27, v15
	v_subrev_u32_e32 v23, 28, v22
	v_and_b32_e32 v14, 0x80000000, v15
	v_and_b32_e32 v20, 15, v20
	v_bfe_u32 v21, v15, 27, 4
	v_lshlrev_b32_sdwa v15, v23, v15 dst_sel:DWORD dst_unused:UNUSED_PAD src0_sel:DWORD src1_sel:BYTE_3
	v_sub_u32_e32 v22, 29, v22
	v_and_b32_e32 v15, 7, v15
	v_cmp_eq_u16_e32 vcc, 0, v20
	v_cndmask_b32_e32 v10, v10, v15, vcc
	v_cndmask_b32_e32 v15, v21, v22, vcc
	v_mov_b32_e32 v20, 0x3b800000
	v_lshlrev_b32_e32 v10, 20, v10
	v_lshl_add_u32 v15, v15, 23, v20
	v_or3_b32 v10, v14, v15, v10
.LBB9_572:
	s_or_b64 exec, exec, s[6:7]
	s_movk_i32 s4, 0x7f
	v_cmp_gt_i16_sdwa s[6:7], v11, s4 src0_sel:BYTE_3 src1_sel:DWORD
	s_mov_b64 s[4:5], 0
                                        ; implicit-def: $sgpr10
	s_and_saveexec_b64 s[8:9], s[6:7]
	s_xor_b64 s[6:7], exec, s[8:9]
	s_cbranch_execnz .LBB9_2621
; %bb.573:
	s_or_saveexec_b64 s[6:7], s[6:7]
	v_mov_b32_e32 v14, s10
	s_xor_b64 exec, exec, s[6:7]
	s_cbranch_execnz .LBB9_2624
.LBB9_574:
	s_or_b64 exec, exec, s[6:7]
	s_and_saveexec_b64 s[6:7], s[4:5]
	s_cbranch_execz .LBB9_576
.LBB9_575:
	v_bfe_u32 v14, v11, 24, 3
	v_ffbh_u32_e32 v22, v14
	v_min_u32_e32 v22, 32, v22
	v_lshrrev_b32_e32 v20, 27, v11
	v_subrev_u32_e32 v23, 28, v22
	v_and_b32_e32 v15, 0x80000000, v11
	v_and_b32_e32 v20, 15, v20
	v_bfe_u32 v21, v11, 27, 4
	v_lshlrev_b32_sdwa v11, v23, v11 dst_sel:DWORD dst_unused:UNUSED_PAD src0_sel:DWORD src1_sel:BYTE_3
	v_sub_u32_e32 v22, 29, v22
	v_and_b32_e32 v11, 7, v11
	v_cmp_eq_u16_e32 vcc, 0, v20
	v_cndmask_b32_e32 v11, v14, v11, vcc
	v_cndmask_b32_e32 v14, v21, v22, vcc
	v_mov_b32_e32 v20, 0x3b800000
	v_lshlrev_b32_e32 v11, 20, v11
	v_lshl_add_u32 v14, v14, 23, v20
	v_or3_b32 v14, v15, v14, v11
.LBB9_576:
	s_or_b64 exec, exec, s[6:7]
	s_nop 0
	v_mfma_f32_16x16x4f32 a[0:3], v10, v14, a[0:3]
	s_movk_i32 s4, 0x7f
	v_cmp_gt_i16_sdwa s[6:7], v16, s4 src0_sel:BYTE_0 src1_sel:DWORD
	s_mov_b64 s[4:5], 0
                                        ; implicit-def: $sgpr10
	s_and_saveexec_b64 s[8:9], s[6:7]
	s_xor_b64 s[6:7], exec, s[8:9]
	s_cbranch_execnz .LBB9_2625
; %bb.577:
	s_or_saveexec_b64 s[6:7], s[6:7]
	v_mov_b32_e32 v10, s10
	s_xor_b64 exec, exec, s[6:7]
	s_cbranch_execnz .LBB9_2628
.LBB9_578:
	s_or_b64 exec, exec, s[6:7]
	s_and_saveexec_b64 s[6:7], s[4:5]
	s_cbranch_execz .LBB9_580
.LBB9_579:
	v_and_b32_e32 v10, 7, v16
	v_ffbh_u32_e32 v14, v10
	v_min_u32_e32 v14, 32, v14
	v_lshrrev_b16_e32 v11, 3, v16
	v_subrev_u32_e32 v15, 28, v14
	v_and_b32_e32 v11, 15, v11
	v_lshlrev_b32_e32 v15, v15, v16
	v_sub_u32_e32 v14, 29, v14
	v_and_b32_e32 v15, 7, v15
	v_cmp_eq_u16_e32 vcc, 0, v11
	v_cndmask_b32_e32 v10, v10, v15, vcc
	v_cndmask_b32_e32 v11, v11, v14, vcc
	v_lshlrev_b32_e32 v14, 24, v16
	v_mov_b32_e32 v15, 0x3b800000
	v_lshlrev_b32_e32 v10, 20, v10
	v_and_b32_e32 v14, 0x80000000, v14
	v_lshl_add_u32 v11, v11, 23, v15
	v_or3_b32 v10, v14, v11, v10
.LBB9_580:
	s_or_b64 exec, exec, s[6:7]
	s_movk_i32 s4, 0x7f
	v_cmp_gt_i16_sdwa s[6:7], v12, s4 src0_sel:BYTE_0 src1_sel:DWORD
	s_mov_b64 s[4:5], 0
                                        ; implicit-def: $sgpr10
	s_and_saveexec_b64 s[8:9], s[6:7]
	s_xor_b64 s[6:7], exec, s[8:9]
	s_cbranch_execnz .LBB9_2629
; %bb.581:
	s_or_saveexec_b64 s[6:7], s[6:7]
	v_mov_b32_e32 v11, s10
	s_xor_b64 exec, exec, s[6:7]
	s_cbranch_execnz .LBB9_2632
.LBB9_582:
	s_or_b64 exec, exec, s[6:7]
	s_and_saveexec_b64 s[6:7], s[4:5]
	s_cbranch_execz .LBB9_584
.LBB9_583:
	v_and_b32_e32 v11, 7, v12
	v_ffbh_u32_e32 v15, v11
	v_min_u32_e32 v15, 32, v15
	v_lshrrev_b16_e32 v14, 3, v12
	v_subrev_u32_e32 v20, 28, v15
	v_and_b32_e32 v14, 15, v14
	v_lshlrev_b32_e32 v20, v20, v12
	v_sub_u32_e32 v15, 29, v15
	v_and_b32_e32 v20, 7, v20
	v_cmp_eq_u16_e32 vcc, 0, v14
	v_cndmask_b32_e32 v11, v11, v20, vcc
	v_cndmask_b32_e32 v14, v14, v15, vcc
	v_lshlrev_b32_e32 v15, 24, v12
	v_mov_b32_e32 v20, 0x3b800000
	v_lshlrev_b32_e32 v11, 20, v11
	v_and_b32_e32 v15, 0x80000000, v15
	v_lshl_add_u32 v14, v14, 23, v20
	v_or3_b32 v11, v15, v14, v11
.LBB9_584:
	s_or_b64 exec, exec, s[6:7]
	s_nop 0
	v_mfma_f32_16x16x4f32 a[0:3], v10, v11, a[0:3]
	v_lshrrev_b32_e32 v11, 8, v16
	s_movk_i32 s4, 0x7f
	v_cmp_gt_i16_sdwa s[6:7], v11, s4 src0_sel:BYTE_0 src1_sel:DWORD
	s_mov_b64 s[4:5], 0
                                        ; implicit-def: $sgpr10
	s_and_saveexec_b64 s[8:9], s[6:7]
	s_xor_b64 s[6:7], exec, s[8:9]
	s_cbranch_execnz .LBB9_2633
; %bb.585:
	s_or_saveexec_b64 s[6:7], s[6:7]
	v_mov_b32_e32 v10, s10
	s_xor_b64 exec, exec, s[6:7]
	s_cbranch_execnz .LBB9_2636
.LBB9_586:
	s_or_b64 exec, exec, s[6:7]
	s_and_saveexec_b64 s[6:7], s[4:5]
	s_cbranch_execz .LBB9_588
.LBB9_587:
	v_bfe_u32 v10, v16, 8, 3
	v_ffbh_u32_e32 v15, v10
	v_min_u32_e32 v15, 32, v15
	v_lshrrev_b16_e32 v14, 3, v11
	v_subrev_u32_e32 v20, 28, v15
	v_and_b32_e32 v14, 15, v14
	v_lshlrev_b32_e32 v11, v20, v11
	v_sub_u32_e32 v15, 29, v15
	v_and_b32_e32 v11, 7, v11
	v_cmp_eq_u16_e32 vcc, 0, v14
	v_cndmask_b32_e32 v10, v10, v11, vcc
	v_cndmask_b32_e32 v11, v14, v15, vcc
	v_lshlrev_b32_e32 v14, 16, v16
	v_mov_b32_e32 v15, 0x3b800000
	v_lshlrev_b32_e32 v10, 20, v10
	v_and_b32_e32 v14, 0x80000000, v14
	v_lshl_add_u32 v11, v11, 23, v15
	v_or3_b32 v10, v14, v11, v10
.LBB9_588:
	s_or_b64 exec, exec, s[6:7]
	v_lshrrev_b32_e32 v11, 8, v12
	s_movk_i32 s4, 0x7f
	v_cmp_gt_i16_sdwa s[6:7], v11, s4 src0_sel:BYTE_0 src1_sel:DWORD
	s_mov_b64 s[4:5], 0
                                        ; implicit-def: $sgpr10
	s_and_saveexec_b64 s[8:9], s[6:7]
	s_xor_b64 s[6:7], exec, s[8:9]
	s_cbranch_execnz .LBB9_2637
; %bb.589:
	s_or_saveexec_b64 s[6:7], s[6:7]
	v_mov_b32_e32 v14, s10
	s_xor_b64 exec, exec, s[6:7]
	s_cbranch_execnz .LBB9_2640
.LBB9_590:
	s_or_b64 exec, exec, s[6:7]
	s_and_saveexec_b64 s[6:7], s[4:5]
	s_cbranch_execz .LBB9_592
.LBB9_591:
	v_bfe_u32 v14, v12, 8, 3
	v_ffbh_u32_e32 v20, v14
	v_min_u32_e32 v20, 32, v20
	v_lshrrev_b16_e32 v15, 3, v11
	v_subrev_u32_e32 v21, 28, v20
	v_and_b32_e32 v15, 15, v15
	v_lshlrev_b32_e32 v11, v21, v11
	v_sub_u32_e32 v20, 29, v20
	v_and_b32_e32 v11, 7, v11
	v_cmp_eq_u16_e32 vcc, 0, v15
	v_cndmask_b32_e32 v11, v14, v11, vcc
	v_cndmask_b32_e32 v14, v15, v20, vcc
	v_lshlrev_b32_e32 v15, 16, v12
	v_mov_b32_e32 v20, 0x3b800000
	v_lshlrev_b32_e32 v11, 20, v11
	v_and_b32_e32 v15, 0x80000000, v15
	v_lshl_add_u32 v14, v14, 23, v20
	v_or3_b32 v14, v15, v14, v11
.LBB9_592:
	s_or_b64 exec, exec, s[6:7]
	s_nop 0
	v_mfma_f32_16x16x4f32 a[0:3], v10, v14, a[0:3]
	s_movk_i32 s4, 0xff
	v_and_b32_sdwa v11, v16, s4 dst_sel:DWORD dst_unused:UNUSED_PAD src0_sel:WORD_1 src1_sel:DWORD
	s_movk_i32 s4, 0x7f
	v_cmp_lt_i16_e32 vcc, s4, v11
	s_mov_b64 s[4:5], 0
                                        ; implicit-def: $sgpr10
	s_and_saveexec_b64 s[6:7], vcc
	s_xor_b64 s[6:7], exec, s[6:7]
	s_cbranch_execnz .LBB9_2641
; %bb.593:
	s_or_saveexec_b64 s[6:7], s[6:7]
	v_mov_b32_e32 v10, s10
	s_xor_b64 exec, exec, s[6:7]
	s_cbranch_execnz .LBB9_2644
.LBB9_594:
	s_or_b64 exec, exec, s[6:7]
	s_and_saveexec_b64 s[6:7], s[4:5]
	s_cbranch_execz .LBB9_596
.LBB9_595:
	v_bfe_u32 v10, v16, 16, 3
	v_ffbh_u32_e32 v15, v10
	v_min_u32_e32 v15, 32, v15
	v_lshrrev_b32_e32 v11, 19, v16
	v_subrev_u32_e32 v20, 28, v15
	v_and_b32_e32 v11, 15, v11
	v_lshlrev_b32_sdwa v20, v20, v16 dst_sel:DWORD dst_unused:UNUSED_PAD src0_sel:DWORD src1_sel:WORD_1
	v_bfe_u32 v14, v16, 19, 4
	v_sub_u32_e32 v15, 29, v15
	v_and_b32_e32 v20, 7, v20
	v_cmp_eq_u16_e32 vcc, 0, v11
	v_cndmask_b32_e32 v10, v10, v20, vcc
	v_cndmask_b32_e32 v11, v14, v15, vcc
	v_lshlrev_b32_e32 v14, 8, v16
	v_mov_b32_e32 v15, 0x3b800000
	v_lshlrev_b32_e32 v10, 20, v10
	v_and_b32_e32 v14, 0x80000000, v14
	v_lshl_add_u32 v11, v11, 23, v15
	v_or3_b32 v10, v14, v11, v10
.LBB9_596:
	s_or_b64 exec, exec, s[6:7]
	s_movk_i32 s4, 0xff
	v_and_b32_sdwa v11, v12, s4 dst_sel:DWORD dst_unused:UNUSED_PAD src0_sel:WORD_1 src1_sel:DWORD
	s_movk_i32 s4, 0x7f
	v_cmp_lt_i16_e32 vcc, s4, v11
	s_mov_b64 s[4:5], 0
                                        ; implicit-def: $sgpr10
	s_and_saveexec_b64 s[6:7], vcc
	s_xor_b64 s[6:7], exec, s[6:7]
	s_cbranch_execnz .LBB9_2645
; %bb.597:
	s_or_saveexec_b64 s[6:7], s[6:7]
	v_mov_b32_e32 v14, s10
	s_xor_b64 exec, exec, s[6:7]
	s_cbranch_execnz .LBB9_2648
.LBB9_598:
	s_or_b64 exec, exec, s[6:7]
	s_and_saveexec_b64 s[6:7], s[4:5]
	s_cbranch_execz .LBB9_600
.LBB9_599:
	v_bfe_u32 v11, v12, 16, 3
	v_ffbh_u32_e32 v20, v11
	v_min_u32_e32 v20, 32, v20
	v_lshrrev_b32_e32 v14, 19, v12
	v_subrev_u32_e32 v21, 28, v20
	v_and_b32_e32 v14, 15, v14
	v_lshlrev_b32_sdwa v21, v21, v12 dst_sel:DWORD dst_unused:UNUSED_PAD src0_sel:DWORD src1_sel:WORD_1
	v_bfe_u32 v15, v12, 19, 4
	v_sub_u32_e32 v20, 29, v20
	v_and_b32_e32 v21, 7, v21
	v_cmp_eq_u16_e32 vcc, 0, v14
	v_cndmask_b32_e32 v11, v11, v21, vcc
	v_cndmask_b32_e32 v14, v15, v20, vcc
	v_lshlrev_b32_e32 v15, 8, v12
	v_mov_b32_e32 v20, 0x3b800000
	v_lshlrev_b32_e32 v11, 20, v11
	v_and_b32_e32 v15, 0x80000000, v15
	v_lshl_add_u32 v14, v14, 23, v20
	v_or3_b32 v14, v15, v14, v11
.LBB9_600:
	s_or_b64 exec, exec, s[6:7]
	s_nop 0
	v_mfma_f32_16x16x4f32 a[0:3], v10, v14, a[0:3]
	s_movk_i32 s4, 0x7f
	v_cmp_gt_i16_sdwa s[6:7], v16, s4 src0_sel:BYTE_3 src1_sel:DWORD
	s_mov_b64 s[4:5], 0
                                        ; implicit-def: $sgpr10
	s_and_saveexec_b64 s[8:9], s[6:7]
	s_xor_b64 s[6:7], exec, s[8:9]
	s_cbranch_execnz .LBB9_2649
; %bb.601:
	s_or_saveexec_b64 s[6:7], s[6:7]
	v_mov_b32_e32 v10, s10
	s_xor_b64 exec, exec, s[6:7]
	s_cbranch_execnz .LBB9_2652
.LBB9_602:
	s_or_b64 exec, exec, s[6:7]
	s_and_saveexec_b64 s[6:7], s[4:5]
	s_cbranch_execz .LBB9_604
.LBB9_603:
	v_bfe_u32 v10, v16, 24, 3
	v_ffbh_u32_e32 v20, v10
	v_min_u32_e32 v20, 32, v20
	v_lshrrev_b32_e32 v14, 27, v16
	v_subrev_u32_e32 v21, 28, v20
	v_and_b32_e32 v11, 0x80000000, v16
	v_and_b32_e32 v14, 15, v14
	v_bfe_u32 v15, v16, 27, 4
	v_lshlrev_b32_sdwa v16, v21, v16 dst_sel:DWORD dst_unused:UNUSED_PAD src0_sel:DWORD src1_sel:BYTE_3
	v_sub_u32_e32 v20, 29, v20
	v_and_b32_e32 v16, 7, v16
	v_cmp_eq_u16_e32 vcc, 0, v14
	v_cndmask_b32_e32 v10, v10, v16, vcc
	v_cndmask_b32_e32 v14, v15, v20, vcc
	v_mov_b32_e32 v15, 0x3b800000
	v_lshlrev_b32_e32 v10, 20, v10
	v_lshl_add_u32 v14, v14, 23, v15
	v_or3_b32 v10, v11, v14, v10
.LBB9_604:
	s_or_b64 exec, exec, s[6:7]
	s_movk_i32 s4, 0x7f
	v_cmp_gt_i16_sdwa s[6:7], v12, s4 src0_sel:BYTE_3 src1_sel:DWORD
	s_mov_b64 s[4:5], 0
                                        ; implicit-def: $sgpr10
	s_and_saveexec_b64 s[8:9], s[6:7]
	s_xor_b64 s[6:7], exec, s[8:9]
	s_cbranch_execnz .LBB9_2653
; %bb.605:
	s_or_saveexec_b64 s[6:7], s[6:7]
	v_mov_b32_e32 v11, s10
	s_xor_b64 exec, exec, s[6:7]
	s_cbranch_execnz .LBB9_2656
.LBB9_606:
	s_or_b64 exec, exec, s[6:7]
	s_and_saveexec_b64 s[6:7], s[4:5]
	s_cbranch_execz .LBB9_608
.LBB9_607:
	v_bfe_u32 v11, v12, 24, 3
	v_ffbh_u32_e32 v20, v11
	v_min_u32_e32 v20, 32, v20
	v_lshrrev_b32_e32 v15, 27, v12
	v_subrev_u32_e32 v21, 28, v20
	v_and_b32_e32 v14, 0x80000000, v12
	v_and_b32_e32 v15, 15, v15
	v_bfe_u32 v16, v12, 27, 4
	v_lshlrev_b32_sdwa v12, v21, v12 dst_sel:DWORD dst_unused:UNUSED_PAD src0_sel:DWORD src1_sel:BYTE_3
	v_sub_u32_e32 v20, 29, v20
	v_and_b32_e32 v12, 7, v12
	v_cmp_eq_u16_e32 vcc, 0, v15
	v_cndmask_b32_e32 v11, v11, v12, vcc
	v_cndmask_b32_e32 v12, v16, v20, vcc
	v_mov_b32_e32 v15, 0x3b800000
	v_lshlrev_b32_e32 v11, 20, v11
	v_lshl_add_u32 v12, v12, 23, v15
	v_or3_b32 v11, v14, v12, v11
.LBB9_608:
	s_or_b64 exec, exec, s[6:7]
	s_nop 0
	v_mfma_f32_16x16x4f32 a[0:3], v10, v11, a[0:3]
	s_movk_i32 s4, 0x7f
	v_cmp_gt_i16_sdwa s[6:7], v17, s4 src0_sel:BYTE_0 src1_sel:DWORD
	s_mov_b64 s[4:5], 0
                                        ; implicit-def: $sgpr10
	s_and_saveexec_b64 s[8:9], s[6:7]
	s_xor_b64 s[6:7], exec, s[8:9]
	s_cbranch_execnz .LBB9_2657
; %bb.609:
	s_or_saveexec_b64 s[6:7], s[6:7]
	v_mov_b32_e32 v10, s10
	s_xor_b64 exec, exec, s[6:7]
	s_cbranch_execnz .LBB9_2660
.LBB9_610:
	s_or_b64 exec, exec, s[6:7]
	s_and_saveexec_b64 s[6:7], s[4:5]
	s_cbranch_execz .LBB9_612
.LBB9_611:
	v_and_b32_e32 v10, 7, v17
	v_ffbh_u32_e32 v12, v10
	v_min_u32_e32 v12, 32, v12
	v_lshrrev_b16_e32 v11, 3, v17
	v_subrev_u32_e32 v14, 28, v12
	v_and_b32_e32 v11, 15, v11
	v_lshlrev_b32_e32 v14, v14, v17
	v_sub_u32_e32 v12, 29, v12
	v_and_b32_e32 v14, 7, v14
	v_cmp_eq_u16_e32 vcc, 0, v11
	v_cndmask_b32_e32 v10, v10, v14, vcc
	v_cndmask_b32_e32 v11, v11, v12, vcc
	v_lshlrev_b32_e32 v12, 24, v17
	v_mov_b32_e32 v14, 0x3b800000
	v_lshlrev_b32_e32 v10, 20, v10
	v_and_b32_e32 v12, 0x80000000, v12
	v_lshl_add_u32 v11, v11, 23, v14
	v_or3_b32 v10, v12, v11, v10
.LBB9_612:
	s_or_b64 exec, exec, s[6:7]
	s_movk_i32 s4, 0x7f
	v_cmp_gt_i16_sdwa s[6:7], v13, s4 src0_sel:BYTE_0 src1_sel:DWORD
	s_mov_b64 s[4:5], 0
                                        ; implicit-def: $sgpr10
	s_and_saveexec_b64 s[8:9], s[6:7]
	s_xor_b64 s[6:7], exec, s[8:9]
	s_cbranch_execnz .LBB9_2661
; %bb.613:
	s_or_saveexec_b64 s[6:7], s[6:7]
	v_mov_b32_e32 v11, s10
	s_xor_b64 exec, exec, s[6:7]
	s_cbranch_execnz .LBB9_2664
.LBB9_614:
	s_or_b64 exec, exec, s[6:7]
	s_and_saveexec_b64 s[6:7], s[4:5]
	s_cbranch_execz .LBB9_616
.LBB9_615:
	v_and_b32_e32 v11, 7, v13
	v_ffbh_u32_e32 v14, v11
	v_min_u32_e32 v14, 32, v14
	v_lshrrev_b16_e32 v12, 3, v13
	v_subrev_u32_e32 v15, 28, v14
	v_and_b32_e32 v12, 15, v12
	v_lshlrev_b32_e32 v15, v15, v13
	v_sub_u32_e32 v14, 29, v14
	v_and_b32_e32 v15, 7, v15
	v_cmp_eq_u16_e32 vcc, 0, v12
	v_cndmask_b32_e32 v11, v11, v15, vcc
	v_cndmask_b32_e32 v12, v12, v14, vcc
	v_lshlrev_b32_e32 v14, 24, v13
	v_mov_b32_e32 v15, 0x3b800000
	v_lshlrev_b32_e32 v11, 20, v11
	v_and_b32_e32 v14, 0x80000000, v14
	v_lshl_add_u32 v12, v12, 23, v15
	v_or3_b32 v11, v14, v12, v11
.LBB9_616:
	s_or_b64 exec, exec, s[6:7]
	s_nop 0
	v_mfma_f32_16x16x4f32 a[0:3], v10, v11, a[0:3]
	v_lshrrev_b32_e32 v11, 8, v17
	s_movk_i32 s4, 0x7f
	v_cmp_gt_i16_sdwa s[6:7], v11, s4 src0_sel:BYTE_0 src1_sel:DWORD
	s_mov_b64 s[4:5], 0
                                        ; implicit-def: $sgpr10
	s_and_saveexec_b64 s[8:9], s[6:7]
	s_xor_b64 s[6:7], exec, s[8:9]
	s_cbranch_execnz .LBB9_2665
; %bb.617:
	s_or_saveexec_b64 s[6:7], s[6:7]
	v_mov_b32_e32 v10, s10
	s_xor_b64 exec, exec, s[6:7]
	s_cbranch_execnz .LBB9_2668
.LBB9_618:
	s_or_b64 exec, exec, s[6:7]
	s_and_saveexec_b64 s[6:7], s[4:5]
	s_cbranch_execz .LBB9_620
.LBB9_619:
	v_bfe_u32 v10, v17, 8, 3
	v_ffbh_u32_e32 v14, v10
	v_min_u32_e32 v14, 32, v14
	v_lshrrev_b16_e32 v12, 3, v11
	v_subrev_u32_e32 v15, 28, v14
	v_and_b32_e32 v12, 15, v12
	v_lshlrev_b32_e32 v11, v15, v11
	v_sub_u32_e32 v14, 29, v14
	v_and_b32_e32 v11, 7, v11
	v_cmp_eq_u16_e32 vcc, 0, v12
	v_cndmask_b32_e32 v10, v10, v11, vcc
	v_cndmask_b32_e32 v11, v12, v14, vcc
	v_lshlrev_b32_e32 v12, 16, v17
	v_mov_b32_e32 v14, 0x3b800000
	v_lshlrev_b32_e32 v10, 20, v10
	v_and_b32_e32 v12, 0x80000000, v12
	v_lshl_add_u32 v11, v11, 23, v14
	v_or3_b32 v10, v12, v11, v10
.LBB9_620:
	s_or_b64 exec, exec, s[6:7]
	v_lshrrev_b32_e32 v11, 8, v13
	s_movk_i32 s4, 0x7f
	v_cmp_gt_i16_sdwa s[6:7], v11, s4 src0_sel:BYTE_0 src1_sel:DWORD
	s_mov_b64 s[4:5], 0
                                        ; implicit-def: $sgpr10
	s_and_saveexec_b64 s[8:9], s[6:7]
	s_xor_b64 s[6:7], exec, s[8:9]
	s_cbranch_execnz .LBB9_2669
; %bb.621:
	s_or_saveexec_b64 s[6:7], s[6:7]
	v_mov_b32_e32 v12, s10
	s_xor_b64 exec, exec, s[6:7]
	s_cbranch_execnz .LBB9_2672
.LBB9_622:
	s_or_b64 exec, exec, s[6:7]
	s_and_saveexec_b64 s[6:7], s[4:5]
	s_cbranch_execz .LBB9_624
.LBB9_623:
	v_bfe_u32 v12, v13, 8, 3
	v_ffbh_u32_e32 v15, v12
	v_min_u32_e32 v15, 32, v15
	v_lshrrev_b16_e32 v14, 3, v11
	v_subrev_u32_e32 v16, 28, v15
	v_and_b32_e32 v14, 15, v14
	v_lshlrev_b32_e32 v11, v16, v11
	v_sub_u32_e32 v15, 29, v15
	v_and_b32_e32 v11, 7, v11
	v_cmp_eq_u16_e32 vcc, 0, v14
	v_cndmask_b32_e32 v11, v12, v11, vcc
	v_cndmask_b32_e32 v12, v14, v15, vcc
	v_lshlrev_b32_e32 v14, 16, v13
	v_mov_b32_e32 v15, 0x3b800000
	v_lshlrev_b32_e32 v11, 20, v11
	v_and_b32_e32 v14, 0x80000000, v14
	v_lshl_add_u32 v12, v12, 23, v15
	v_or3_b32 v12, v14, v12, v11
.LBB9_624:
	s_or_b64 exec, exec, s[6:7]
	s_nop 0
	v_mfma_f32_16x16x4f32 a[0:3], v10, v12, a[0:3]
	s_movk_i32 s4, 0xff
	v_and_b32_sdwa v11, v17, s4 dst_sel:DWORD dst_unused:UNUSED_PAD src0_sel:WORD_1 src1_sel:DWORD
	s_movk_i32 s4, 0x7f
	v_cmp_lt_i16_e32 vcc, s4, v11
	s_mov_b64 s[4:5], 0
                                        ; implicit-def: $sgpr10
	s_and_saveexec_b64 s[6:7], vcc
	s_xor_b64 s[6:7], exec, s[6:7]
	s_cbranch_execnz .LBB9_2673
; %bb.625:
	s_or_saveexec_b64 s[6:7], s[6:7]
	v_mov_b32_e32 v10, s10
	s_xor_b64 exec, exec, s[6:7]
	s_cbranch_execnz .LBB9_2676
.LBB9_626:
	s_or_b64 exec, exec, s[6:7]
	s_and_saveexec_b64 s[6:7], s[4:5]
	s_cbranch_execz .LBB9_628
.LBB9_627:
	v_bfe_u32 v10, v17, 16, 3
	v_ffbh_u32_e32 v14, v10
	v_min_u32_e32 v14, 32, v14
	v_lshrrev_b32_e32 v11, 19, v17
	v_subrev_u32_e32 v15, 28, v14
	v_and_b32_e32 v11, 15, v11
	v_lshlrev_b32_sdwa v15, v15, v17 dst_sel:DWORD dst_unused:UNUSED_PAD src0_sel:DWORD src1_sel:WORD_1
	v_bfe_u32 v12, v17, 19, 4
	v_sub_u32_e32 v14, 29, v14
	v_and_b32_e32 v15, 7, v15
	v_cmp_eq_u16_e32 vcc, 0, v11
	v_cndmask_b32_e32 v10, v10, v15, vcc
	v_cndmask_b32_e32 v11, v12, v14, vcc
	v_lshlrev_b32_e32 v12, 8, v17
	v_mov_b32_e32 v14, 0x3b800000
	v_lshlrev_b32_e32 v10, 20, v10
	v_and_b32_e32 v12, 0x80000000, v12
	v_lshl_add_u32 v11, v11, 23, v14
	v_or3_b32 v10, v12, v11, v10
.LBB9_628:
	s_or_b64 exec, exec, s[6:7]
	s_movk_i32 s4, 0xff
	v_and_b32_sdwa v11, v13, s4 dst_sel:DWORD dst_unused:UNUSED_PAD src0_sel:WORD_1 src1_sel:DWORD
	s_movk_i32 s4, 0x7f
	v_cmp_lt_i16_e32 vcc, s4, v11
	s_mov_b64 s[4:5], 0
                                        ; implicit-def: $sgpr10
	s_and_saveexec_b64 s[6:7], vcc
	s_xor_b64 s[6:7], exec, s[6:7]
	s_cbranch_execnz .LBB9_2677
; %bb.629:
	s_or_saveexec_b64 s[6:7], s[6:7]
	v_mov_b32_e32 v12, s10
	s_xor_b64 exec, exec, s[6:7]
	s_cbranch_execnz .LBB9_2680
.LBB9_630:
	s_or_b64 exec, exec, s[6:7]
	s_and_saveexec_b64 s[6:7], s[4:5]
	s_cbranch_execz .LBB9_632
.LBB9_631:
	v_bfe_u32 v11, v13, 16, 3
	v_ffbh_u32_e32 v15, v11
	v_min_u32_e32 v15, 32, v15
	v_lshrrev_b32_e32 v12, 19, v13
	v_subrev_u32_e32 v16, 28, v15
	v_and_b32_e32 v12, 15, v12
	v_lshlrev_b32_sdwa v16, v16, v13 dst_sel:DWORD dst_unused:UNUSED_PAD src0_sel:DWORD src1_sel:WORD_1
	v_bfe_u32 v14, v13, 19, 4
	v_sub_u32_e32 v15, 29, v15
	v_and_b32_e32 v16, 7, v16
	v_cmp_eq_u16_e32 vcc, 0, v12
	v_cndmask_b32_e32 v11, v11, v16, vcc
	v_cndmask_b32_e32 v12, v14, v15, vcc
	v_lshlrev_b32_e32 v14, 8, v13
	v_mov_b32_e32 v15, 0x3b800000
	v_lshlrev_b32_e32 v11, 20, v11
	v_and_b32_e32 v14, 0x80000000, v14
	v_lshl_add_u32 v12, v12, 23, v15
	v_or3_b32 v12, v14, v12, v11
.LBB9_632:
	s_or_b64 exec, exec, s[6:7]
	s_nop 0
	v_mfma_f32_16x16x4f32 a[0:3], v10, v12, a[0:3]
	s_movk_i32 s4, 0x7f
	v_cmp_gt_i16_sdwa s[6:7], v17, s4 src0_sel:BYTE_3 src1_sel:DWORD
	s_mov_b64 s[4:5], 0
                                        ; implicit-def: $sgpr10
	s_and_saveexec_b64 s[8:9], s[6:7]
	s_xor_b64 s[6:7], exec, s[8:9]
	s_cbranch_execnz .LBB9_2681
; %bb.633:
	s_or_saveexec_b64 s[6:7], s[6:7]
	v_mov_b32_e32 v10, s10
	s_xor_b64 exec, exec, s[6:7]
	s_cbranch_execnz .LBB9_2684
.LBB9_634:
	s_or_b64 exec, exec, s[6:7]
	s_and_saveexec_b64 s[6:7], s[4:5]
	s_cbranch_execz .LBB9_636
.LBB9_635:
	v_bfe_u32 v10, v17, 24, 3
	v_ffbh_u32_e32 v15, v10
	v_min_u32_e32 v15, 32, v15
	v_lshrrev_b32_e32 v12, 27, v17
	v_subrev_u32_e32 v16, 28, v15
	v_and_b32_e32 v12, 15, v12
	v_lshlrev_b32_sdwa v16, v16, v17 dst_sel:DWORD dst_unused:UNUSED_PAD src0_sel:DWORD src1_sel:BYTE_3
	v_bfe_u32 v14, v17, 27, 4
	v_sub_u32_e32 v15, 29, v15
	v_and_b32_e32 v16, 7, v16
	v_cmp_eq_u16_e32 vcc, 0, v12
	v_cndmask_b32_e32 v10, v10, v16, vcc
	v_cndmask_b32_e32 v12, v14, v15, vcc
	v_mov_b32_e32 v14, 0x3b800000
	v_and_b32_e32 v11, 0x80000000, v17
	v_lshlrev_b32_e32 v10, 20, v10
	v_lshl_add_u32 v12, v12, 23, v14
	v_or3_b32 v10, v11, v12, v10
.LBB9_636:
	s_or_b64 exec, exec, s[6:7]
	s_movk_i32 s4, 0x7f
	v_cmp_gt_i16_sdwa s[6:7], v13, s4 src0_sel:BYTE_3 src1_sel:DWORD
	s_mov_b64 s[4:5], 0
                                        ; implicit-def: $sgpr10
	s_and_saveexec_b64 s[8:9], s[6:7]
	s_xor_b64 s[6:7], exec, s[8:9]
	s_cbranch_execnz .LBB9_2685
; %bb.637:
	s_or_saveexec_b64 s[6:7], s[6:7]
	v_mov_b32_e32 v11, s10
	s_xor_b64 exec, exec, s[6:7]
	s_cbranch_execnz .LBB9_2688
.LBB9_638:
	s_or_b64 exec, exec, s[6:7]
	s_and_saveexec_b64 s[6:7], s[4:5]
	s_cbranch_execz .LBB9_640
.LBB9_639:
	v_bfe_u32 v11, v13, 24, 3
	v_ffbh_u32_e32 v16, v11
	v_min_u32_e32 v16, 32, v16
	v_lshrrev_b32_e32 v14, 27, v13
	v_subrev_u32_e32 v17, 28, v16
	v_and_b32_e32 v12, 0x80000000, v13
	v_and_b32_e32 v14, 15, v14
	v_bfe_u32 v15, v13, 27, 4
	v_lshlrev_b32_sdwa v13, v17, v13 dst_sel:DWORD dst_unused:UNUSED_PAD src0_sel:DWORD src1_sel:BYTE_3
	v_sub_u32_e32 v16, 29, v16
	v_and_b32_e32 v13, 7, v13
	v_cmp_eq_u16_e32 vcc, 0, v14
	v_cndmask_b32_e32 v11, v11, v13, vcc
	v_cndmask_b32_e32 v13, v15, v16, vcc
	v_mov_b32_e32 v14, 0x3b800000
	v_lshlrev_b32_e32 v11, 20, v11
	v_lshl_add_u32 v13, v13, 23, v14
	v_or3_b32 v11, v12, v13, v11
.LBB9_640:
	s_or_b64 exec, exec, s[6:7]
	s_nop 0
	v_mfma_f32_16x16x4f32 a[0:3], v10, v11, a[0:3]
	s_movk_i32 s4, 0x7f
	v_cmp_gt_i16_sdwa s[6:7], v6, s4 src0_sel:BYTE_0 src1_sel:DWORD
	s_mov_b64 s[4:5], 0
                                        ; implicit-def: $sgpr10
	s_and_saveexec_b64 s[8:9], s[6:7]
	s_xor_b64 s[6:7], exec, s[8:9]
	s_cbranch_execnz .LBB9_2689
; %bb.641:
	s_or_saveexec_b64 s[6:7], s[6:7]
	v_mov_b32_e32 v10, s10
	s_xor_b64 exec, exec, s[6:7]
	s_cbranch_execnz .LBB9_2692
.LBB9_642:
	s_or_b64 exec, exec, s[6:7]
	s_and_saveexec_b64 s[6:7], s[4:5]
	s_cbranch_execz .LBB9_644
.LBB9_643:
	v_and_b32_e32 v10, 7, v6
	v_ffbh_u32_e32 v12, v10
	v_min_u32_e32 v12, 32, v12
	v_lshrrev_b16_e32 v11, 3, v6
	v_subrev_u32_e32 v13, 28, v12
	v_and_b32_e32 v11, 15, v11
	v_lshlrev_b32_e32 v13, v13, v6
	v_sub_u32_e32 v12, 29, v12
	v_and_b32_e32 v13, 7, v13
	v_cmp_eq_u16_e32 vcc, 0, v11
	v_cndmask_b32_e32 v10, v10, v13, vcc
	v_cndmask_b32_e32 v11, v11, v12, vcc
	v_lshlrev_b32_e32 v12, 24, v6
	v_mov_b32_e32 v13, 0x3b800000
	v_lshlrev_b32_e32 v10, 20, v10
	v_and_b32_e32 v12, 0x80000000, v12
	v_lshl_add_u32 v11, v11, 23, v13
	v_or3_b32 v10, v12, v11, v10
.LBB9_644:
	s_or_b64 exec, exec, s[6:7]
	s_movk_i32 s4, 0x7f
	v_cmp_gt_i16_sdwa s[6:7], v2, s4 src0_sel:BYTE_0 src1_sel:DWORD
	s_mov_b64 s[4:5], 0
                                        ; implicit-def: $sgpr10
	s_and_saveexec_b64 s[8:9], s[6:7]
	s_xor_b64 s[6:7], exec, s[8:9]
	s_cbranch_execnz .LBB9_2693
; %bb.645:
	s_or_saveexec_b64 s[6:7], s[6:7]
	v_mov_b32_e32 v11, s10
	s_xor_b64 exec, exec, s[6:7]
	s_cbranch_execnz .LBB9_2696
.LBB9_646:
	s_or_b64 exec, exec, s[6:7]
	s_and_saveexec_b64 s[6:7], s[4:5]
	s_cbranch_execz .LBB9_648
.LBB9_647:
	v_and_b32_e32 v11, 7, v2
	v_ffbh_u32_e32 v13, v11
	v_min_u32_e32 v13, 32, v13
	v_lshrrev_b16_e32 v12, 3, v2
	v_subrev_u32_e32 v14, 28, v13
	v_and_b32_e32 v12, 15, v12
	v_lshlrev_b32_e32 v14, v14, v2
	v_sub_u32_e32 v13, 29, v13
	v_and_b32_e32 v14, 7, v14
	v_cmp_eq_u16_e32 vcc, 0, v12
	v_cndmask_b32_e32 v11, v11, v14, vcc
	v_cndmask_b32_e32 v12, v12, v13, vcc
	v_lshlrev_b32_e32 v13, 24, v2
	v_mov_b32_e32 v14, 0x3b800000
	v_lshlrev_b32_e32 v11, 20, v11
	v_and_b32_e32 v13, 0x80000000, v13
	v_lshl_add_u32 v12, v12, 23, v14
	v_or3_b32 v11, v13, v12, v11
.LBB9_648:
	s_or_b64 exec, exec, s[6:7]
	s_nop 0
	v_mfma_f32_16x16x4f32 a[0:3], v10, v11, a[0:3]
	v_lshrrev_b32_e32 v11, 8, v6
	s_movk_i32 s4, 0x7f
	v_cmp_gt_i16_sdwa s[6:7], v11, s4 src0_sel:BYTE_0 src1_sel:DWORD
	s_mov_b64 s[4:5], 0
                                        ; implicit-def: $sgpr10
	s_and_saveexec_b64 s[8:9], s[6:7]
	s_xor_b64 s[6:7], exec, s[8:9]
	s_cbranch_execnz .LBB9_2697
; %bb.649:
	s_or_saveexec_b64 s[6:7], s[6:7]
	v_mov_b32_e32 v10, s10
	s_xor_b64 exec, exec, s[6:7]
	s_cbranch_execnz .LBB9_2700
.LBB9_650:
	s_or_b64 exec, exec, s[6:7]
	s_and_saveexec_b64 s[6:7], s[4:5]
	s_cbranch_execz .LBB9_652
.LBB9_651:
	v_bfe_u32 v10, v6, 8, 3
	v_ffbh_u32_e32 v13, v10
	v_min_u32_e32 v13, 32, v13
	v_lshrrev_b16_e32 v12, 3, v11
	v_subrev_u32_e32 v14, 28, v13
	v_and_b32_e32 v12, 15, v12
	v_lshlrev_b32_e32 v11, v14, v11
	v_sub_u32_e32 v13, 29, v13
	v_and_b32_e32 v11, 7, v11
	v_cmp_eq_u16_e32 vcc, 0, v12
	v_cndmask_b32_e32 v10, v10, v11, vcc
	v_cndmask_b32_e32 v11, v12, v13, vcc
	v_lshlrev_b32_e32 v12, 16, v6
	v_mov_b32_e32 v13, 0x3b800000
	v_lshlrev_b32_e32 v10, 20, v10
	v_and_b32_e32 v12, 0x80000000, v12
	v_lshl_add_u32 v11, v11, 23, v13
	v_or3_b32 v10, v12, v11, v10
.LBB9_652:
	s_or_b64 exec, exec, s[6:7]
	v_lshrrev_b32_e32 v11, 8, v2
	s_movk_i32 s4, 0x7f
	v_cmp_gt_i16_sdwa s[6:7], v11, s4 src0_sel:BYTE_0 src1_sel:DWORD
	s_mov_b64 s[4:5], 0
                                        ; implicit-def: $sgpr10
	s_and_saveexec_b64 s[8:9], s[6:7]
	s_xor_b64 s[6:7], exec, s[8:9]
	s_cbranch_execnz .LBB9_2701
; %bb.653:
	s_or_saveexec_b64 s[6:7], s[6:7]
	v_mov_b32_e32 v12, s10
	s_xor_b64 exec, exec, s[6:7]
	s_cbranch_execnz .LBB9_2704
.LBB9_654:
	s_or_b64 exec, exec, s[6:7]
	s_and_saveexec_b64 s[6:7], s[4:5]
	s_cbranch_execz .LBB9_656
.LBB9_655:
	v_bfe_u32 v12, v2, 8, 3
	v_ffbh_u32_e32 v14, v12
	v_min_u32_e32 v14, 32, v14
	v_lshrrev_b16_e32 v13, 3, v11
	v_subrev_u32_e32 v15, 28, v14
	v_and_b32_e32 v13, 15, v13
	v_lshlrev_b32_e32 v11, v15, v11
	v_sub_u32_e32 v14, 29, v14
	v_and_b32_e32 v11, 7, v11
	v_cmp_eq_u16_e32 vcc, 0, v13
	v_cndmask_b32_e32 v11, v12, v11, vcc
	v_cndmask_b32_e32 v12, v13, v14, vcc
	v_lshlrev_b32_e32 v13, 16, v2
	v_mov_b32_e32 v14, 0x3b800000
	v_lshlrev_b32_e32 v11, 20, v11
	v_and_b32_e32 v13, 0x80000000, v13
	v_lshl_add_u32 v12, v12, 23, v14
	v_or3_b32 v12, v13, v12, v11
.LBB9_656:
	s_or_b64 exec, exec, s[6:7]
	s_nop 0
	v_mfma_f32_16x16x4f32 a[0:3], v10, v12, a[0:3]
	s_movk_i32 s4, 0xff
	v_and_b32_sdwa v11, v6, s4 dst_sel:DWORD dst_unused:UNUSED_PAD src0_sel:WORD_1 src1_sel:DWORD
	s_movk_i32 s4, 0x7f
	v_cmp_lt_i16_e32 vcc, s4, v11
	s_mov_b64 s[4:5], 0
                                        ; implicit-def: $sgpr10
	s_and_saveexec_b64 s[6:7], vcc
	s_xor_b64 s[6:7], exec, s[6:7]
	s_cbranch_execnz .LBB9_2705
; %bb.657:
	s_or_saveexec_b64 s[6:7], s[6:7]
	v_mov_b32_e32 v10, s10
	s_xor_b64 exec, exec, s[6:7]
	s_cbranch_execnz .LBB9_2708
.LBB9_658:
	s_or_b64 exec, exec, s[6:7]
	s_and_saveexec_b64 s[6:7], s[4:5]
	s_cbranch_execz .LBB9_660
.LBB9_659:
	v_bfe_u32 v10, v6, 16, 3
	v_ffbh_u32_e32 v13, v10
	v_min_u32_e32 v13, 32, v13
	v_lshrrev_b32_e32 v11, 19, v6
	v_subrev_u32_e32 v14, 28, v13
	v_and_b32_e32 v11, 15, v11
	v_lshlrev_b32_sdwa v14, v14, v6 dst_sel:DWORD dst_unused:UNUSED_PAD src0_sel:DWORD src1_sel:WORD_1
	v_bfe_u32 v12, v6, 19, 4
	v_sub_u32_e32 v13, 29, v13
	v_and_b32_e32 v14, 7, v14
	v_cmp_eq_u16_e32 vcc, 0, v11
	v_cndmask_b32_e32 v10, v10, v14, vcc
	v_cndmask_b32_e32 v11, v12, v13, vcc
	v_lshlrev_b32_e32 v12, 8, v6
	v_mov_b32_e32 v13, 0x3b800000
	v_lshlrev_b32_e32 v10, 20, v10
	v_and_b32_e32 v12, 0x80000000, v12
	v_lshl_add_u32 v11, v11, 23, v13
	v_or3_b32 v10, v12, v11, v10
.LBB9_660:
	s_or_b64 exec, exec, s[6:7]
	s_movk_i32 s4, 0xff
	v_and_b32_sdwa v11, v2, s4 dst_sel:DWORD dst_unused:UNUSED_PAD src0_sel:WORD_1 src1_sel:DWORD
	s_movk_i32 s4, 0x7f
	v_cmp_lt_i16_e32 vcc, s4, v11
	s_mov_b64 s[4:5], 0
                                        ; implicit-def: $sgpr10
	s_and_saveexec_b64 s[6:7], vcc
	s_xor_b64 s[6:7], exec, s[6:7]
	s_cbranch_execnz .LBB9_2709
; %bb.661:
	s_or_saveexec_b64 s[6:7], s[6:7]
	v_mov_b32_e32 v12, s10
	s_xor_b64 exec, exec, s[6:7]
	s_cbranch_execnz .LBB9_2712
.LBB9_662:
	s_or_b64 exec, exec, s[6:7]
	s_and_saveexec_b64 s[6:7], s[4:5]
	s_cbranch_execz .LBB9_664
.LBB9_663:
	v_bfe_u32 v11, v2, 16, 3
	v_ffbh_u32_e32 v14, v11
	v_min_u32_e32 v14, 32, v14
	v_lshrrev_b32_e32 v12, 19, v2
	v_subrev_u32_e32 v15, 28, v14
	v_and_b32_e32 v12, 15, v12
	v_lshlrev_b32_sdwa v15, v15, v2 dst_sel:DWORD dst_unused:UNUSED_PAD src0_sel:DWORD src1_sel:WORD_1
	v_bfe_u32 v13, v2, 19, 4
	v_sub_u32_e32 v14, 29, v14
	v_and_b32_e32 v15, 7, v15
	v_cmp_eq_u16_e32 vcc, 0, v12
	v_cndmask_b32_e32 v11, v11, v15, vcc
	v_cndmask_b32_e32 v12, v13, v14, vcc
	v_lshlrev_b32_e32 v13, 8, v2
	v_mov_b32_e32 v14, 0x3b800000
	v_lshlrev_b32_e32 v11, 20, v11
	v_and_b32_e32 v13, 0x80000000, v13
	v_lshl_add_u32 v12, v12, 23, v14
	v_or3_b32 v12, v13, v12, v11
.LBB9_664:
	s_or_b64 exec, exec, s[6:7]
	s_nop 0
	v_mfma_f32_16x16x4f32 a[0:3], v10, v12, a[0:3]
	s_movk_i32 s4, 0x7f
	v_cmp_gt_i16_sdwa s[6:7], v6, s4 src0_sel:BYTE_3 src1_sel:DWORD
	s_mov_b64 s[4:5], 0
                                        ; implicit-def: $sgpr10
	s_and_saveexec_b64 s[8:9], s[6:7]
	s_xor_b64 s[6:7], exec, s[8:9]
	s_cbranch_execnz .LBB9_2713
; %bb.665:
	s_or_saveexec_b64 s[6:7], s[6:7]
	v_mov_b32_e32 v10, s10
	s_xor_b64 exec, exec, s[6:7]
	s_cbranch_execnz .LBB9_2716
.LBB9_666:
	s_or_b64 exec, exec, s[6:7]
	s_and_saveexec_b64 s[6:7], s[4:5]
	s_cbranch_execz .LBB9_668
.LBB9_667:
	v_bfe_u32 v10, v6, 24, 3
	v_ffbh_u32_e32 v14, v10
	v_min_u32_e32 v14, 32, v14
	v_lshrrev_b32_e32 v12, 27, v6
	v_subrev_u32_e32 v15, 28, v14
	v_and_b32_e32 v11, 0x80000000, v6
	v_and_b32_e32 v12, 15, v12
	v_bfe_u32 v13, v6, 27, 4
	v_lshlrev_b32_sdwa v6, v15, v6 dst_sel:DWORD dst_unused:UNUSED_PAD src0_sel:DWORD src1_sel:BYTE_3
	v_sub_u32_e32 v14, 29, v14
	v_and_b32_e32 v6, 7, v6
	v_cmp_eq_u16_e32 vcc, 0, v12
	v_cndmask_b32_e32 v6, v10, v6, vcc
	v_cndmask_b32_e32 v10, v13, v14, vcc
	v_mov_b32_e32 v12, 0x3b800000
	v_lshlrev_b32_e32 v6, 20, v6
	v_lshl_add_u32 v10, v10, 23, v12
	v_or3_b32 v10, v11, v10, v6
.LBB9_668:
	s_or_b64 exec, exec, s[6:7]
	s_movk_i32 s4, 0x7f
	v_cmp_gt_i16_sdwa s[6:7], v2, s4 src0_sel:BYTE_3 src1_sel:DWORD
	s_mov_b64 s[4:5], 0
                                        ; implicit-def: $sgpr10
	s_and_saveexec_b64 s[8:9], s[6:7]
	s_xor_b64 s[6:7], exec, s[8:9]
	s_cbranch_execnz .LBB9_2717
; %bb.669:
	s_or_saveexec_b64 s[6:7], s[6:7]
	v_mov_b32_e32 v6, s10
	s_xor_b64 exec, exec, s[6:7]
	s_cbranch_execnz .LBB9_2720
.LBB9_670:
	s_or_b64 exec, exec, s[6:7]
	s_and_saveexec_b64 s[6:7], s[4:5]
	s_cbranch_execz .LBB9_672
.LBB9_671:
	v_bfe_u32 v6, v2, 24, 3
	v_ffbh_u32_e32 v14, v6
	v_min_u32_e32 v14, 32, v14
	v_lshrrev_b32_e32 v12, 27, v2
	v_subrev_u32_e32 v15, 28, v14
	v_and_b32_e32 v11, 0x80000000, v2
	v_and_b32_e32 v12, 15, v12
	v_bfe_u32 v13, v2, 27, 4
	v_lshlrev_b32_sdwa v2, v15, v2 dst_sel:DWORD dst_unused:UNUSED_PAD src0_sel:DWORD src1_sel:BYTE_3
	v_sub_u32_e32 v14, 29, v14
	v_and_b32_e32 v2, 7, v2
	v_cmp_eq_u16_e32 vcc, 0, v12
	v_cndmask_b32_e32 v2, v6, v2, vcc
	v_cndmask_b32_e32 v6, v13, v14, vcc
	v_mov_b32_e32 v12, 0x3b800000
	v_lshlrev_b32_e32 v2, 20, v2
	v_lshl_add_u32 v6, v6, 23, v12
	v_or3_b32 v6, v11, v6, v2
.LBB9_672:
	s_or_b64 exec, exec, s[6:7]
	s_nop 0
	v_mfma_f32_16x16x4f32 a[0:3], v10, v6, a[0:3]
	s_movk_i32 s4, 0x7f
	v_cmp_gt_i16_sdwa s[6:7], v7, s4 src0_sel:BYTE_0 src1_sel:DWORD
	s_mov_b64 s[4:5], 0
                                        ; implicit-def: $sgpr10
	s_and_saveexec_b64 s[8:9], s[6:7]
	s_xor_b64 s[6:7], exec, s[8:9]
	s_cbranch_execnz .LBB9_2721
; %bb.673:
	s_or_saveexec_b64 s[6:7], s[6:7]
	v_mov_b32_e32 v2, s10
	s_xor_b64 exec, exec, s[6:7]
	s_cbranch_execnz .LBB9_2724
.LBB9_674:
	s_or_b64 exec, exec, s[6:7]
	s_and_saveexec_b64 s[6:7], s[4:5]
	s_cbranch_execz .LBB9_676
.LBB9_675:
	v_and_b32_e32 v2, 7, v7
	v_ffbh_u32_e32 v10, v2
	v_min_u32_e32 v10, 32, v10
	v_lshrrev_b16_e32 v6, 3, v7
	v_subrev_u32_e32 v11, 28, v10
	v_and_b32_e32 v6, 15, v6
	v_lshlrev_b32_e32 v11, v11, v7
	v_sub_u32_e32 v10, 29, v10
	v_and_b32_e32 v11, 7, v11
	v_cmp_eq_u16_e32 vcc, 0, v6
	v_cndmask_b32_e32 v2, v2, v11, vcc
	v_cndmask_b32_e32 v6, v6, v10, vcc
	v_lshlrev_b32_e32 v10, 24, v7
	v_mov_b32_e32 v11, 0x3b800000
	v_lshlrev_b32_e32 v2, 20, v2
	v_and_b32_e32 v10, 0x80000000, v10
	v_lshl_add_u32 v6, v6, 23, v11
	v_or3_b32 v2, v10, v6, v2
.LBB9_676:
	s_or_b64 exec, exec, s[6:7]
	s_movk_i32 s4, 0x7f
	v_cmp_gt_i16_sdwa s[6:7], v3, s4 src0_sel:BYTE_0 src1_sel:DWORD
	s_mov_b64 s[4:5], 0
                                        ; implicit-def: $sgpr10
	s_and_saveexec_b64 s[8:9], s[6:7]
	s_xor_b64 s[6:7], exec, s[8:9]
	s_cbranch_execnz .LBB9_2725
; %bb.677:
	s_or_saveexec_b64 s[6:7], s[6:7]
	v_mov_b32_e32 v6, s10
	s_xor_b64 exec, exec, s[6:7]
	s_cbranch_execnz .LBB9_2728
.LBB9_678:
	s_or_b64 exec, exec, s[6:7]
	s_and_saveexec_b64 s[6:7], s[4:5]
	s_cbranch_execz .LBB9_680
.LBB9_679:
	v_and_b32_e32 v6, 7, v3
	v_ffbh_u32_e32 v11, v6
	v_min_u32_e32 v11, 32, v11
	v_lshrrev_b16_e32 v10, 3, v3
	v_subrev_u32_e32 v12, 28, v11
	v_and_b32_e32 v10, 15, v10
	v_lshlrev_b32_e32 v12, v12, v3
	v_sub_u32_e32 v11, 29, v11
	v_and_b32_e32 v12, 7, v12
	v_cmp_eq_u16_e32 vcc, 0, v10
	v_cndmask_b32_e32 v6, v6, v12, vcc
	v_cndmask_b32_e32 v10, v10, v11, vcc
	v_lshlrev_b32_e32 v11, 24, v3
	v_mov_b32_e32 v12, 0x3b800000
	v_lshlrev_b32_e32 v6, 20, v6
	v_and_b32_e32 v11, 0x80000000, v11
	v_lshl_add_u32 v10, v10, 23, v12
	v_or3_b32 v6, v11, v10, v6
.LBB9_680:
	s_or_b64 exec, exec, s[6:7]
	s_nop 0
	v_mfma_f32_16x16x4f32 a[0:3], v2, v6, a[0:3]
	v_lshrrev_b32_e32 v6, 8, v7
	s_movk_i32 s4, 0x7f
	v_cmp_gt_i16_sdwa s[6:7], v6, s4 src0_sel:BYTE_0 src1_sel:DWORD
	s_mov_b64 s[4:5], 0
                                        ; implicit-def: $sgpr10
	s_and_saveexec_b64 s[8:9], s[6:7]
	s_xor_b64 s[6:7], exec, s[8:9]
	s_cbranch_execnz .LBB9_2729
; %bb.681:
	s_or_saveexec_b64 s[6:7], s[6:7]
	v_mov_b32_e32 v2, s10
	s_xor_b64 exec, exec, s[6:7]
	s_cbranch_execnz .LBB9_2732
.LBB9_682:
	s_or_b64 exec, exec, s[6:7]
	s_and_saveexec_b64 s[6:7], s[4:5]
	s_cbranch_execz .LBB9_684
.LBB9_683:
	v_bfe_u32 v2, v7, 8, 3
	v_ffbh_u32_e32 v11, v2
	v_min_u32_e32 v11, 32, v11
	v_lshrrev_b16_e32 v10, 3, v6
	v_subrev_u32_e32 v12, 28, v11
	v_and_b32_e32 v10, 15, v10
	v_lshlrev_b32_e32 v6, v12, v6
	v_sub_u32_e32 v11, 29, v11
	v_and_b32_e32 v6, 7, v6
	v_cmp_eq_u16_e32 vcc, 0, v10
	v_cndmask_b32_e32 v2, v2, v6, vcc
	v_cndmask_b32_e32 v6, v10, v11, vcc
	v_lshlrev_b32_e32 v10, 16, v7
	v_mov_b32_e32 v11, 0x3b800000
	v_lshlrev_b32_e32 v2, 20, v2
	v_and_b32_e32 v10, 0x80000000, v10
	v_lshl_add_u32 v6, v6, 23, v11
	v_or3_b32 v2, v10, v6, v2
.LBB9_684:
	s_or_b64 exec, exec, s[6:7]
	v_lshrrev_b32_e32 v6, 8, v3
	s_movk_i32 s4, 0x7f
	v_cmp_gt_i16_sdwa s[6:7], v6, s4 src0_sel:BYTE_0 src1_sel:DWORD
	s_mov_b64 s[4:5], 0
                                        ; implicit-def: $sgpr10
	s_and_saveexec_b64 s[8:9], s[6:7]
	s_xor_b64 s[6:7], exec, s[8:9]
	s_cbranch_execnz .LBB9_2733
; %bb.685:
	s_or_saveexec_b64 s[6:7], s[6:7]
	v_mov_b32_e32 v10, s10
	s_xor_b64 exec, exec, s[6:7]
	s_cbranch_execnz .LBB9_2736
.LBB9_686:
	s_or_b64 exec, exec, s[6:7]
	s_and_saveexec_b64 s[6:7], s[4:5]
	s_cbranch_execz .LBB9_688
.LBB9_687:
	v_bfe_u32 v10, v3, 8, 3
	v_ffbh_u32_e32 v12, v10
	v_min_u32_e32 v12, 32, v12
	v_lshrrev_b16_e32 v11, 3, v6
	v_subrev_u32_e32 v13, 28, v12
	v_and_b32_e32 v11, 15, v11
	v_lshlrev_b32_e32 v6, v13, v6
	v_sub_u32_e32 v12, 29, v12
	v_and_b32_e32 v6, 7, v6
	v_cmp_eq_u16_e32 vcc, 0, v11
	v_cndmask_b32_e32 v6, v10, v6, vcc
	v_cndmask_b32_e32 v10, v11, v12, vcc
	v_lshlrev_b32_e32 v11, 16, v3
	v_mov_b32_e32 v12, 0x3b800000
	v_lshlrev_b32_e32 v6, 20, v6
	v_and_b32_e32 v11, 0x80000000, v11
	v_lshl_add_u32 v10, v10, 23, v12
	v_or3_b32 v10, v11, v10, v6
.LBB9_688:
	s_or_b64 exec, exec, s[6:7]
	s_nop 0
	v_mfma_f32_16x16x4f32 a[0:3], v2, v10, a[0:3]
	s_movk_i32 s4, 0xff
	v_and_b32_sdwa v6, v7, s4 dst_sel:DWORD dst_unused:UNUSED_PAD src0_sel:WORD_1 src1_sel:DWORD
	s_movk_i32 s4, 0x7f
	v_cmp_lt_i16_e32 vcc, s4, v6
	s_mov_b64 s[4:5], 0
                                        ; implicit-def: $sgpr10
	s_and_saveexec_b64 s[6:7], vcc
	s_xor_b64 s[6:7], exec, s[6:7]
	s_cbranch_execnz .LBB9_2737
; %bb.689:
	s_or_saveexec_b64 s[6:7], s[6:7]
	v_mov_b32_e32 v2, s10
	s_xor_b64 exec, exec, s[6:7]
	s_cbranch_execnz .LBB9_2740
.LBB9_690:
	s_or_b64 exec, exec, s[6:7]
	s_and_saveexec_b64 s[6:7], s[4:5]
	s_cbranch_execz .LBB9_692
.LBB9_691:
	v_bfe_u32 v2, v7, 16, 3
	v_ffbh_u32_e32 v11, v2
	v_min_u32_e32 v11, 32, v11
	v_lshrrev_b32_e32 v6, 19, v7
	v_subrev_u32_e32 v12, 28, v11
	v_and_b32_e32 v6, 15, v6
	v_lshlrev_b32_sdwa v12, v12, v7 dst_sel:DWORD dst_unused:UNUSED_PAD src0_sel:DWORD src1_sel:WORD_1
	v_bfe_u32 v10, v7, 19, 4
	v_sub_u32_e32 v11, 29, v11
	v_and_b32_e32 v12, 7, v12
	v_cmp_eq_u16_e32 vcc, 0, v6
	v_cndmask_b32_e32 v2, v2, v12, vcc
	v_cndmask_b32_e32 v6, v10, v11, vcc
	v_lshlrev_b32_e32 v10, 8, v7
	v_mov_b32_e32 v11, 0x3b800000
	v_lshlrev_b32_e32 v2, 20, v2
	v_and_b32_e32 v10, 0x80000000, v10
	v_lshl_add_u32 v6, v6, 23, v11
	v_or3_b32 v2, v10, v6, v2
.LBB9_692:
	s_or_b64 exec, exec, s[6:7]
	s_movk_i32 s4, 0xff
	v_and_b32_sdwa v6, v3, s4 dst_sel:DWORD dst_unused:UNUSED_PAD src0_sel:WORD_1 src1_sel:DWORD
	s_movk_i32 s4, 0x7f
	v_cmp_lt_i16_e32 vcc, s4, v6
	s_mov_b64 s[4:5], 0
                                        ; implicit-def: $sgpr10
	s_and_saveexec_b64 s[6:7], vcc
	s_xor_b64 s[6:7], exec, s[6:7]
	s_cbranch_execnz .LBB9_2741
; %bb.693:
	s_or_saveexec_b64 s[6:7], s[6:7]
	v_mov_b32_e32 v10, s10
	s_xor_b64 exec, exec, s[6:7]
	s_cbranch_execnz .LBB9_2744
.LBB9_694:
	s_or_b64 exec, exec, s[6:7]
	s_and_saveexec_b64 s[6:7], s[4:5]
	s_cbranch_execz .LBB9_696
.LBB9_695:
	v_bfe_u32 v6, v3, 16, 3
	v_ffbh_u32_e32 v12, v6
	v_min_u32_e32 v12, 32, v12
	v_lshrrev_b32_e32 v10, 19, v3
	v_subrev_u32_e32 v13, 28, v12
	v_and_b32_e32 v10, 15, v10
	v_lshlrev_b32_sdwa v13, v13, v3 dst_sel:DWORD dst_unused:UNUSED_PAD src0_sel:DWORD src1_sel:WORD_1
	v_bfe_u32 v11, v3, 19, 4
	v_sub_u32_e32 v12, 29, v12
	v_and_b32_e32 v13, 7, v13
	v_cmp_eq_u16_e32 vcc, 0, v10
	v_cndmask_b32_e32 v6, v6, v13, vcc
	v_cndmask_b32_e32 v10, v11, v12, vcc
	v_lshlrev_b32_e32 v11, 8, v3
	v_mov_b32_e32 v12, 0x3b800000
	v_lshlrev_b32_e32 v6, 20, v6
	v_and_b32_e32 v11, 0x80000000, v11
	v_lshl_add_u32 v10, v10, 23, v12
	v_or3_b32 v10, v11, v10, v6
.LBB9_696:
	s_or_b64 exec, exec, s[6:7]
	s_nop 0
	v_mfma_f32_16x16x4f32 a[0:3], v2, v10, a[0:3]
	s_movk_i32 s4, 0x7f
	v_cmp_gt_i16_sdwa s[6:7], v7, s4 src0_sel:BYTE_3 src1_sel:DWORD
	s_mov_b64 s[4:5], 0
                                        ; implicit-def: $sgpr10
	s_and_saveexec_b64 s[8:9], s[6:7]
	s_xor_b64 s[6:7], exec, s[8:9]
	s_cbranch_execnz .LBB9_2745
; %bb.697:
	s_or_saveexec_b64 s[6:7], s[6:7]
	v_mov_b32_e32 v2, s10
	s_xor_b64 exec, exec, s[6:7]
	s_cbranch_execnz .LBB9_2748
.LBB9_698:
	s_or_b64 exec, exec, s[6:7]
	s_and_saveexec_b64 s[6:7], s[4:5]
	s_cbranch_execz .LBB9_700
.LBB9_699:
	v_bfe_u32 v2, v7, 24, 3
	v_ffbh_u32_e32 v12, v2
	v_min_u32_e32 v12, 32, v12
	v_lshrrev_b32_e32 v10, 27, v7
	v_subrev_u32_e32 v13, 28, v12
	v_and_b32_e32 v6, 0x80000000, v7
	v_and_b32_e32 v10, 15, v10
	v_bfe_u32 v11, v7, 27, 4
	v_lshlrev_b32_sdwa v7, v13, v7 dst_sel:DWORD dst_unused:UNUSED_PAD src0_sel:DWORD src1_sel:BYTE_3
	v_sub_u32_e32 v12, 29, v12
	v_and_b32_e32 v7, 7, v7
	v_cmp_eq_u16_e32 vcc, 0, v10
	v_cndmask_b32_e32 v2, v2, v7, vcc
	v_cndmask_b32_e32 v7, v11, v12, vcc
	v_mov_b32_e32 v10, 0x3b800000
	v_lshlrev_b32_e32 v2, 20, v2
	v_lshl_add_u32 v7, v7, 23, v10
	v_or3_b32 v2, v6, v7, v2
.LBB9_700:
	s_or_b64 exec, exec, s[6:7]
	s_movk_i32 s4, 0x7f
	v_cmp_gt_i16_sdwa s[6:7], v3, s4 src0_sel:BYTE_3 src1_sel:DWORD
	s_mov_b64 s[4:5], 0
                                        ; implicit-def: $sgpr10
	s_and_saveexec_b64 s[8:9], s[6:7]
	s_xor_b64 s[6:7], exec, s[8:9]
	s_cbranch_execnz .LBB9_2749
; %bb.701:
	s_or_saveexec_b64 s[6:7], s[6:7]
	v_mov_b32_e32 v6, s10
	s_xor_b64 exec, exec, s[6:7]
	s_cbranch_execnz .LBB9_2752
.LBB9_702:
	s_or_b64 exec, exec, s[6:7]
	s_and_saveexec_b64 s[6:7], s[4:5]
	s_cbranch_execz .LBB9_704
.LBB9_703:
	v_bfe_u32 v6, v3, 24, 3
	v_ffbh_u32_e32 v12, v6
	v_min_u32_e32 v12, 32, v12
	v_lshrrev_b32_e32 v10, 27, v3
	v_subrev_u32_e32 v13, 28, v12
	v_and_b32_e32 v7, 0x80000000, v3
	v_and_b32_e32 v10, 15, v10
	v_bfe_u32 v11, v3, 27, 4
	v_lshlrev_b32_sdwa v3, v13, v3 dst_sel:DWORD dst_unused:UNUSED_PAD src0_sel:DWORD src1_sel:BYTE_3
	v_sub_u32_e32 v12, 29, v12
	v_and_b32_e32 v3, 7, v3
	v_cmp_eq_u16_e32 vcc, 0, v10
	v_cndmask_b32_e32 v3, v6, v3, vcc
	v_cndmask_b32_e32 v6, v11, v12, vcc
	v_mov_b32_e32 v10, 0x3b800000
	v_lshlrev_b32_e32 v3, 20, v3
	v_lshl_add_u32 v6, v6, 23, v10
	v_or3_b32 v6, v7, v6, v3
.LBB9_704:
	s_or_b64 exec, exec, s[6:7]
	s_nop 0
	v_mfma_f32_16x16x4f32 a[0:3], v2, v6, a[0:3]
	s_movk_i32 s4, 0x7f
	v_cmp_gt_i16_sdwa s[6:7], v8, s4 src0_sel:BYTE_0 src1_sel:DWORD
	s_mov_b64 s[4:5], 0
                                        ; implicit-def: $sgpr10
	s_and_saveexec_b64 s[8:9], s[6:7]
	s_xor_b64 s[6:7], exec, s[8:9]
	s_cbranch_execnz .LBB9_2753
; %bb.705:
	s_or_saveexec_b64 s[6:7], s[6:7]
	v_mov_b32_e32 v2, s10
	s_xor_b64 exec, exec, s[6:7]
	s_cbranch_execnz .LBB9_2756
.LBB9_706:
	s_or_b64 exec, exec, s[6:7]
	s_and_saveexec_b64 s[6:7], s[4:5]
	s_cbranch_execz .LBB9_708
.LBB9_707:
	v_and_b32_e32 v2, 7, v8
	v_ffbh_u32_e32 v6, v2
	v_min_u32_e32 v6, 32, v6
	v_lshrrev_b16_e32 v3, 3, v8
	v_subrev_u32_e32 v7, 28, v6
	v_and_b32_e32 v3, 15, v3
	v_lshlrev_b32_e32 v7, v7, v8
	v_sub_u32_e32 v6, 29, v6
	v_and_b32_e32 v7, 7, v7
	v_cmp_eq_u16_e32 vcc, 0, v3
	v_cndmask_b32_e32 v2, v2, v7, vcc
	v_cndmask_b32_e32 v3, v3, v6, vcc
	v_lshlrev_b32_e32 v6, 24, v8
	v_mov_b32_e32 v7, 0x3b800000
	v_lshlrev_b32_e32 v2, 20, v2
	v_and_b32_e32 v6, 0x80000000, v6
	v_lshl_add_u32 v3, v3, 23, v7
	v_or3_b32 v2, v6, v3, v2
.LBB9_708:
	s_or_b64 exec, exec, s[6:7]
	s_movk_i32 s4, 0x7f
	v_cmp_gt_i16_sdwa s[6:7], v4, s4 src0_sel:BYTE_0 src1_sel:DWORD
	s_mov_b64 s[4:5], 0
                                        ; implicit-def: $sgpr10
	s_and_saveexec_b64 s[8:9], s[6:7]
	s_xor_b64 s[6:7], exec, s[8:9]
	s_cbranch_execnz .LBB9_2757
; %bb.709:
	s_or_saveexec_b64 s[6:7], s[6:7]
	v_mov_b32_e32 v3, s10
	s_xor_b64 exec, exec, s[6:7]
	s_cbranch_execnz .LBB9_2760
.LBB9_710:
	s_or_b64 exec, exec, s[6:7]
	s_and_saveexec_b64 s[6:7], s[4:5]
	s_cbranch_execz .LBB9_712
.LBB9_711:
	v_and_b32_e32 v3, 7, v4
	v_ffbh_u32_e32 v7, v3
	v_min_u32_e32 v7, 32, v7
	v_lshrrev_b16_e32 v6, 3, v4
	v_subrev_u32_e32 v10, 28, v7
	v_and_b32_e32 v6, 15, v6
	v_lshlrev_b32_e32 v10, v10, v4
	v_sub_u32_e32 v7, 29, v7
	v_and_b32_e32 v10, 7, v10
	v_cmp_eq_u16_e32 vcc, 0, v6
	v_cndmask_b32_e32 v3, v3, v10, vcc
	v_cndmask_b32_e32 v6, v6, v7, vcc
	v_lshlrev_b32_e32 v7, 24, v4
	v_mov_b32_e32 v10, 0x3b800000
	v_lshlrev_b32_e32 v3, 20, v3
	v_and_b32_e32 v7, 0x80000000, v7
	v_lshl_add_u32 v6, v6, 23, v10
	v_or3_b32 v3, v7, v6, v3
.LBB9_712:
	s_or_b64 exec, exec, s[6:7]
	s_nop 0
	v_mfma_f32_16x16x4f32 a[0:3], v2, v3, a[0:3]
	v_lshrrev_b32_e32 v3, 8, v8
	s_movk_i32 s4, 0x7f
	v_cmp_gt_i16_sdwa s[6:7], v3, s4 src0_sel:BYTE_0 src1_sel:DWORD
	s_mov_b64 s[4:5], 0
                                        ; implicit-def: $sgpr10
	s_and_saveexec_b64 s[8:9], s[6:7]
	s_xor_b64 s[6:7], exec, s[8:9]
	s_cbranch_execnz .LBB9_2761
; %bb.713:
	s_or_saveexec_b64 s[6:7], s[6:7]
	v_mov_b32_e32 v2, s10
	s_xor_b64 exec, exec, s[6:7]
	s_cbranch_execnz .LBB9_2764
.LBB9_714:
	s_or_b64 exec, exec, s[6:7]
	s_and_saveexec_b64 s[6:7], s[4:5]
	s_cbranch_execz .LBB9_716
.LBB9_715:
	v_bfe_u32 v2, v8, 8, 3
	v_ffbh_u32_e32 v7, v2
	v_min_u32_e32 v7, 32, v7
	v_lshrrev_b16_e32 v6, 3, v3
	v_subrev_u32_e32 v10, 28, v7
	v_and_b32_e32 v6, 15, v6
	v_lshlrev_b32_e32 v3, v10, v3
	v_sub_u32_e32 v7, 29, v7
	v_and_b32_e32 v3, 7, v3
	v_cmp_eq_u16_e32 vcc, 0, v6
	v_cndmask_b32_e32 v2, v2, v3, vcc
	v_cndmask_b32_e32 v3, v6, v7, vcc
	v_lshlrev_b32_e32 v6, 16, v8
	v_mov_b32_e32 v7, 0x3b800000
	v_lshlrev_b32_e32 v2, 20, v2
	v_and_b32_e32 v6, 0x80000000, v6
	v_lshl_add_u32 v3, v3, 23, v7
	v_or3_b32 v2, v6, v3, v2
.LBB9_716:
	s_or_b64 exec, exec, s[6:7]
	v_lshrrev_b32_e32 v3, 8, v4
	s_movk_i32 s4, 0x7f
	v_cmp_gt_i16_sdwa s[6:7], v3, s4 src0_sel:BYTE_0 src1_sel:DWORD
	s_mov_b64 s[4:5], 0
                                        ; implicit-def: $sgpr10
	s_and_saveexec_b64 s[8:9], s[6:7]
	s_xor_b64 s[6:7], exec, s[8:9]
	s_cbranch_execnz .LBB9_2765
; %bb.717:
	s_or_saveexec_b64 s[6:7], s[6:7]
	v_mov_b32_e32 v6, s10
	s_xor_b64 exec, exec, s[6:7]
	s_cbranch_execnz .LBB9_2768
.LBB9_718:
	s_or_b64 exec, exec, s[6:7]
	s_and_saveexec_b64 s[6:7], s[4:5]
	s_cbranch_execz .LBB9_720
.LBB9_719:
	v_bfe_u32 v6, v4, 8, 3
	v_ffbh_u32_e32 v10, v6
	v_min_u32_e32 v10, 32, v10
	v_lshrrev_b16_e32 v7, 3, v3
	v_subrev_u32_e32 v11, 28, v10
	v_and_b32_e32 v7, 15, v7
	v_lshlrev_b32_e32 v3, v11, v3
	v_sub_u32_e32 v10, 29, v10
	v_and_b32_e32 v3, 7, v3
	v_cmp_eq_u16_e32 vcc, 0, v7
	v_cndmask_b32_e32 v3, v6, v3, vcc
	v_cndmask_b32_e32 v6, v7, v10, vcc
	v_lshlrev_b32_e32 v7, 16, v4
	v_mov_b32_e32 v10, 0x3b800000
	v_lshlrev_b32_e32 v3, 20, v3
	v_and_b32_e32 v7, 0x80000000, v7
	v_lshl_add_u32 v6, v6, 23, v10
	v_or3_b32 v6, v7, v6, v3
.LBB9_720:
	s_or_b64 exec, exec, s[6:7]
	s_nop 0
	v_mfma_f32_16x16x4f32 a[0:3], v2, v6, a[0:3]
	s_movk_i32 s4, 0xff
	v_and_b32_sdwa v3, v8, s4 dst_sel:DWORD dst_unused:UNUSED_PAD src0_sel:WORD_1 src1_sel:DWORD
	s_movk_i32 s4, 0x7f
	v_cmp_lt_i16_e32 vcc, s4, v3
	s_mov_b64 s[4:5], 0
                                        ; implicit-def: $sgpr10
	s_and_saveexec_b64 s[6:7], vcc
	s_xor_b64 s[6:7], exec, s[6:7]
	s_cbranch_execnz .LBB9_2769
; %bb.721:
	s_or_saveexec_b64 s[6:7], s[6:7]
	v_mov_b32_e32 v2, s10
	s_xor_b64 exec, exec, s[6:7]
	s_cbranch_execnz .LBB9_2772
.LBB9_722:
	s_or_b64 exec, exec, s[6:7]
	s_and_saveexec_b64 s[6:7], s[4:5]
	s_cbranch_execz .LBB9_724
.LBB9_723:
	v_bfe_u32 v2, v8, 16, 3
	v_ffbh_u32_e32 v7, v2
	v_min_u32_e32 v7, 32, v7
	v_lshrrev_b32_e32 v3, 19, v8
	v_subrev_u32_e32 v10, 28, v7
	v_and_b32_e32 v3, 15, v3
	v_lshlrev_b32_sdwa v10, v10, v8 dst_sel:DWORD dst_unused:UNUSED_PAD src0_sel:DWORD src1_sel:WORD_1
	v_bfe_u32 v6, v8, 19, 4
	v_sub_u32_e32 v7, 29, v7
	v_and_b32_e32 v10, 7, v10
	v_cmp_eq_u16_e32 vcc, 0, v3
	v_cndmask_b32_e32 v2, v2, v10, vcc
	v_cndmask_b32_e32 v3, v6, v7, vcc
	v_lshlrev_b32_e32 v6, 8, v8
	v_mov_b32_e32 v7, 0x3b800000
	v_lshlrev_b32_e32 v2, 20, v2
	v_and_b32_e32 v6, 0x80000000, v6
	v_lshl_add_u32 v3, v3, 23, v7
	v_or3_b32 v2, v6, v3, v2
.LBB9_724:
	s_or_b64 exec, exec, s[6:7]
	s_movk_i32 s4, 0xff
	v_and_b32_sdwa v3, v4, s4 dst_sel:DWORD dst_unused:UNUSED_PAD src0_sel:WORD_1 src1_sel:DWORD
	s_movk_i32 s4, 0x7f
	v_cmp_lt_i16_e32 vcc, s4, v3
	s_mov_b64 s[4:5], 0
                                        ; implicit-def: $sgpr10
	s_and_saveexec_b64 s[6:7], vcc
	s_xor_b64 s[6:7], exec, s[6:7]
	s_cbranch_execnz .LBB9_2773
; %bb.725:
	s_or_saveexec_b64 s[6:7], s[6:7]
	v_mov_b32_e32 v6, s10
	s_xor_b64 exec, exec, s[6:7]
	s_cbranch_execnz .LBB9_2776
.LBB9_726:
	s_or_b64 exec, exec, s[6:7]
	s_and_saveexec_b64 s[6:7], s[4:5]
	s_cbranch_execz .LBB9_728
.LBB9_727:
	v_bfe_u32 v3, v4, 16, 3
	v_ffbh_u32_e32 v10, v3
	v_min_u32_e32 v10, 32, v10
	v_lshrrev_b32_e32 v6, 19, v4
	v_subrev_u32_e32 v11, 28, v10
	v_and_b32_e32 v6, 15, v6
	v_lshlrev_b32_sdwa v11, v11, v4 dst_sel:DWORD dst_unused:UNUSED_PAD src0_sel:DWORD src1_sel:WORD_1
	v_bfe_u32 v7, v4, 19, 4
	v_sub_u32_e32 v10, 29, v10
	v_and_b32_e32 v11, 7, v11
	v_cmp_eq_u16_e32 vcc, 0, v6
	v_cndmask_b32_e32 v3, v3, v11, vcc
	v_cndmask_b32_e32 v6, v7, v10, vcc
	v_lshlrev_b32_e32 v7, 8, v4
	v_mov_b32_e32 v10, 0x3b800000
	v_lshlrev_b32_e32 v3, 20, v3
	v_and_b32_e32 v7, 0x80000000, v7
	v_lshl_add_u32 v6, v6, 23, v10
	v_or3_b32 v6, v7, v6, v3
.LBB9_728:
	s_or_b64 exec, exec, s[6:7]
	s_nop 0
	v_mfma_f32_16x16x4f32 a[0:3], v2, v6, a[0:3]
	s_movk_i32 s4, 0x7f
	v_cmp_gt_i16_sdwa s[6:7], v8, s4 src0_sel:BYTE_3 src1_sel:DWORD
	s_mov_b64 s[4:5], 0
                                        ; implicit-def: $sgpr10
	s_and_saveexec_b64 s[8:9], s[6:7]
	s_xor_b64 s[6:7], exec, s[8:9]
	s_cbranch_execnz .LBB9_2777
; %bb.729:
	s_or_saveexec_b64 s[6:7], s[6:7]
	v_mov_b32_e32 v2, s10
	s_xor_b64 exec, exec, s[6:7]
	s_cbranch_execnz .LBB9_2780
.LBB9_730:
	s_or_b64 exec, exec, s[6:7]
	s_and_saveexec_b64 s[6:7], s[4:5]
	s_cbranch_execz .LBB9_732
.LBB9_731:
	v_bfe_u32 v2, v8, 24, 3
	v_ffbh_u32_e32 v10, v2
	v_min_u32_e32 v10, 32, v10
	v_lshrrev_b32_e32 v6, 27, v8
	v_subrev_u32_e32 v11, 28, v10
	v_and_b32_e32 v3, 0x80000000, v8
	v_and_b32_e32 v6, 15, v6
	v_bfe_u32 v7, v8, 27, 4
	v_lshlrev_b32_sdwa v8, v11, v8 dst_sel:DWORD dst_unused:UNUSED_PAD src0_sel:DWORD src1_sel:BYTE_3
	v_sub_u32_e32 v10, 29, v10
	v_and_b32_e32 v8, 7, v8
	v_cmp_eq_u16_e32 vcc, 0, v6
	v_cndmask_b32_e32 v2, v2, v8, vcc
	v_cndmask_b32_e32 v6, v7, v10, vcc
	v_mov_b32_e32 v7, 0x3b800000
	v_lshlrev_b32_e32 v2, 20, v2
	v_lshl_add_u32 v6, v6, 23, v7
	v_or3_b32 v2, v3, v6, v2
.LBB9_732:
	s_or_b64 exec, exec, s[6:7]
	s_movk_i32 s4, 0x7f
	v_cmp_gt_i16_sdwa s[6:7], v4, s4 src0_sel:BYTE_3 src1_sel:DWORD
	s_mov_b64 s[4:5], 0
                                        ; implicit-def: $sgpr10
	s_and_saveexec_b64 s[8:9], s[6:7]
	s_xor_b64 s[6:7], exec, s[8:9]
	s_cbranch_execnz .LBB9_2781
; %bb.733:
	s_or_saveexec_b64 s[6:7], s[6:7]
	v_mov_b32_e32 v3, s10
	s_xor_b64 exec, exec, s[6:7]
	s_cbranch_execnz .LBB9_2784
.LBB9_734:
	s_or_b64 exec, exec, s[6:7]
	s_and_saveexec_b64 s[6:7], s[4:5]
	s_cbranch_execz .LBB9_736
.LBB9_735:
	v_bfe_u32 v3, v4, 24, 3
	v_ffbh_u32_e32 v10, v3
	v_min_u32_e32 v10, 32, v10
	v_lshrrev_b32_e32 v7, 27, v4
	v_subrev_u32_e32 v11, 28, v10
	v_and_b32_e32 v6, 0x80000000, v4
	v_and_b32_e32 v7, 15, v7
	v_bfe_u32 v8, v4, 27, 4
	v_lshlrev_b32_sdwa v4, v11, v4 dst_sel:DWORD dst_unused:UNUSED_PAD src0_sel:DWORD src1_sel:BYTE_3
	v_sub_u32_e32 v10, 29, v10
	v_and_b32_e32 v4, 7, v4
	v_cmp_eq_u16_e32 vcc, 0, v7
	v_cndmask_b32_e32 v3, v3, v4, vcc
	v_cndmask_b32_e32 v4, v8, v10, vcc
	v_mov_b32_e32 v7, 0x3b800000
	v_lshlrev_b32_e32 v3, 20, v3
	v_lshl_add_u32 v4, v4, 23, v7
	v_or3_b32 v3, v6, v4, v3
.LBB9_736:
	s_or_b64 exec, exec, s[6:7]
	s_nop 0
	v_mfma_f32_16x16x4f32 a[0:3], v2, v3, a[0:3]
	s_movk_i32 s4, 0x7f
	v_cmp_gt_i16_sdwa s[6:7], v9, s4 src0_sel:BYTE_0 src1_sel:DWORD
	s_mov_b64 s[4:5], 0
                                        ; implicit-def: $sgpr10
	s_and_saveexec_b64 s[8:9], s[6:7]
	s_xor_b64 s[6:7], exec, s[8:9]
	s_cbranch_execnz .LBB9_2785
; %bb.737:
	s_or_saveexec_b64 s[6:7], s[6:7]
	v_mov_b32_e32 v2, s10
	s_xor_b64 exec, exec, s[6:7]
	s_cbranch_execnz .LBB9_2788
.LBB9_738:
	s_or_b64 exec, exec, s[6:7]
	s_and_saveexec_b64 s[6:7], s[4:5]
	s_cbranch_execz .LBB9_740
.LBB9_739:
	v_mov_b32_e32 v2, 8
	v_and_b32_e32 v3, 7, v9
	v_lshrrev_b32_sdwa v2, v2, v9 dst_sel:BYTE_1 dst_unused:UNUSED_PAD src0_sel:DWORD src1_sel:DWORD
	v_ffbh_u32_e32 v4, v3
	v_or_b32_sdwa v2, v9, v2 dst_sel:DWORD dst_unused:UNUSED_PAD src0_sel:BYTE_0 src1_sel:DWORD
	v_min_u32_e32 v4, 32, v4
	v_lshrrev_b16_e32 v2, 3, v2
	v_subrev_u32_e32 v6, 28, v4
	v_and_b32_e32 v2, 15, v2
	v_lshlrev_b32_e32 v6, v6, v9
	v_sub_u32_e32 v4, 29, v4
	v_and_b32_e32 v6, 7, v6
	v_cmp_eq_u16_e32 vcc, 0, v2
	v_cndmask_b32_e32 v3, v3, v6, vcc
	v_cndmask_b32_e32 v2, v2, v4, vcc
	v_lshlrev_b32_e32 v4, 24, v9
	v_mov_b32_e32 v6, 0x3b800000
	v_lshlrev_b32_e32 v3, 20, v3
	v_and_b32_e32 v4, 0x80000000, v4
	v_lshl_add_u32 v2, v2, 23, v6
	v_or3_b32 v2, v4, v2, v3
.LBB9_740:
	s_or_b64 exec, exec, s[6:7]
	s_movk_i32 s4, 0x7f
	v_cmp_gt_i16_sdwa s[6:7], v5, s4 src0_sel:BYTE_0 src1_sel:DWORD
	s_mov_b64 s[4:5], 0
                                        ; implicit-def: $sgpr10
	s_and_saveexec_b64 s[8:9], s[6:7]
	s_xor_b64 s[6:7], exec, s[8:9]
	s_cbranch_execnz .LBB9_2789
; %bb.741:
	s_or_saveexec_b64 s[6:7], s[6:7]
	v_mov_b32_e32 v3, s10
	s_xor_b64 exec, exec, s[6:7]
	s_cbranch_execnz .LBB9_2792
.LBB9_742:
	s_or_b64 exec, exec, s[6:7]
	s_and_saveexec_b64 s[6:7], s[4:5]
	s_cbranch_execz .LBB9_744
.LBB9_743:
	v_mov_b32_e32 v3, 8
	v_and_b32_e32 v4, 7, v5
	v_lshrrev_b32_sdwa v3, v3, v5 dst_sel:BYTE_1 dst_unused:UNUSED_PAD src0_sel:DWORD src1_sel:DWORD
	v_ffbh_u32_e32 v6, v4
	v_or_b32_sdwa v3, v5, v3 dst_sel:DWORD dst_unused:UNUSED_PAD src0_sel:BYTE_0 src1_sel:DWORD
	v_min_u32_e32 v6, 32, v6
	v_lshrrev_b16_e32 v3, 3, v3
	v_subrev_u32_e32 v7, 28, v6
	v_and_b32_e32 v3, 15, v3
	v_lshlrev_b32_e32 v7, v7, v5
	v_sub_u32_e32 v6, 29, v6
	v_and_b32_e32 v7, 7, v7
	v_cmp_eq_u16_e32 vcc, 0, v3
	v_cndmask_b32_e32 v4, v4, v7, vcc
	v_cndmask_b32_e32 v3, v3, v6, vcc
	v_lshlrev_b32_e32 v6, 24, v5
	v_mov_b32_e32 v7, 0x3b800000
	v_lshlrev_b32_e32 v4, 20, v4
	v_and_b32_e32 v6, 0x80000000, v6
	v_lshl_add_u32 v3, v3, 23, v7
	v_or3_b32 v3, v6, v3, v4
.LBB9_744:
	s_or_b64 exec, exec, s[6:7]
	s_nop 0
	v_mfma_f32_16x16x4f32 a[0:3], v2, v3, a[0:3]
	v_lshrrev_b32_e32 v3, 8, v9
	s_movk_i32 s4, 0x7f
	v_cmp_gt_i16_sdwa s[6:7], v3, s4 src0_sel:BYTE_0 src1_sel:DWORD
	s_mov_b64 s[4:5], 0
                                        ; implicit-def: $sgpr10
	s_and_saveexec_b64 s[8:9], s[6:7]
	s_xor_b64 s[6:7], exec, s[8:9]
	s_cbranch_execnz .LBB9_2793
; %bb.745:
	s_or_saveexec_b64 s[6:7], s[6:7]
	v_mov_b32_e32 v2, s10
	s_xor_b64 exec, exec, s[6:7]
	s_cbranch_execnz .LBB9_2796
.LBB9_746:
	s_or_b64 exec, exec, s[6:7]
	s_and_saveexec_b64 s[6:7], s[4:5]
	s_cbranch_execz .LBB9_748
.LBB9_747:
	v_bfe_u32 v2, v9, 8, 3
	v_ffbh_u32_e32 v6, v2
	v_min_u32_e32 v6, 32, v6
	v_lshrrev_b16_e32 v4, 3, v3
	v_subrev_u32_e32 v7, 28, v6
	v_and_b32_e32 v4, 15, v4
	v_lshlrev_b32_e32 v3, v7, v3
	v_sub_u32_e32 v6, 29, v6
	v_and_b32_e32 v3, 7, v3
	v_cmp_eq_u16_e32 vcc, 0, v4
	v_cndmask_b32_e32 v2, v2, v3, vcc
	v_cndmask_b32_e32 v3, v4, v6, vcc
	v_lshlrev_b32_e32 v4, 16, v9
	v_mov_b32_e32 v6, 0x3b800000
	v_lshlrev_b32_e32 v2, 20, v2
	v_and_b32_e32 v4, 0x80000000, v4
	v_lshl_add_u32 v3, v3, 23, v6
	v_or3_b32 v2, v4, v3, v2
.LBB9_748:
	s_or_b64 exec, exec, s[6:7]
	v_lshrrev_b32_e32 v3, 8, v5
	s_movk_i32 s4, 0x7f
	v_cmp_gt_i16_sdwa s[6:7], v3, s4 src0_sel:BYTE_0 src1_sel:DWORD
	s_mov_b64 s[4:5], 0
                                        ; implicit-def: $sgpr10
	s_and_saveexec_b64 s[8:9], s[6:7]
	s_xor_b64 s[6:7], exec, s[8:9]
	s_cbranch_execnz .LBB9_2797
; %bb.749:
	s_or_saveexec_b64 s[6:7], s[6:7]
	v_mov_b32_e32 v4, s10
	s_xor_b64 exec, exec, s[6:7]
	s_cbranch_execnz .LBB9_2800
.LBB9_750:
	s_or_b64 exec, exec, s[6:7]
	s_and_saveexec_b64 s[6:7], s[4:5]
	s_cbranch_execz .LBB9_752
.LBB9_751:
	v_bfe_u32 v4, v5, 8, 3
	v_ffbh_u32_e32 v7, v4
	v_min_u32_e32 v7, 32, v7
	v_lshrrev_b16_e32 v6, 3, v3
	v_subrev_u32_e32 v8, 28, v7
	v_and_b32_e32 v6, 15, v6
	v_lshlrev_b32_e32 v3, v8, v3
	v_sub_u32_e32 v7, 29, v7
	v_and_b32_e32 v3, 7, v3
	v_cmp_eq_u16_e32 vcc, 0, v6
	v_cndmask_b32_e32 v3, v4, v3, vcc
	v_cndmask_b32_e32 v4, v6, v7, vcc
	v_lshlrev_b32_e32 v6, 16, v5
	v_mov_b32_e32 v7, 0x3b800000
	v_lshlrev_b32_e32 v3, 20, v3
	v_and_b32_e32 v6, 0x80000000, v6
	v_lshl_add_u32 v4, v4, 23, v7
	v_or3_b32 v4, v6, v4, v3
.LBB9_752:
	s_or_b64 exec, exec, s[6:7]
	s_nop 0
	v_mfma_f32_16x16x4f32 a[0:3], v2, v4, a[0:3]
	s_movk_i32 s4, 0xff
	v_and_b32_sdwa v3, v9, s4 dst_sel:DWORD dst_unused:UNUSED_PAD src0_sel:WORD_1 src1_sel:DWORD
	s_movk_i32 s4, 0x7f
	v_cmp_lt_i16_e32 vcc, s4, v3
	s_mov_b64 s[4:5], 0
                                        ; implicit-def: $sgpr10
	s_and_saveexec_b64 s[6:7], vcc
	s_xor_b64 s[6:7], exec, s[6:7]
	s_cbranch_execnz .LBB9_2801
; %bb.753:
	s_or_saveexec_b64 s[6:7], s[6:7]
	v_mov_b32_e32 v2, s10
	s_xor_b64 exec, exec, s[6:7]
	s_cbranch_execnz .LBB9_2804
.LBB9_754:
	s_or_b64 exec, exec, s[6:7]
	s_and_saveexec_b64 s[6:7], s[4:5]
	s_cbranch_execz .LBB9_756
.LBB9_755:
	v_bfe_u32 v2, v9, 16, 3
	v_ffbh_u32_e32 v6, v2
	v_min_u32_e32 v6, 32, v6
	v_lshrrev_b32_e32 v3, 19, v9
	v_subrev_u32_e32 v7, 28, v6
	v_and_b32_e32 v3, 15, v3
	v_lshlrev_b32_sdwa v7, v7, v9 dst_sel:DWORD dst_unused:UNUSED_PAD src0_sel:DWORD src1_sel:WORD_1
	v_bfe_u32 v4, v9, 19, 4
	v_sub_u32_e32 v6, 29, v6
	v_and_b32_e32 v7, 7, v7
	v_cmp_eq_u16_e32 vcc, 0, v3
	v_cndmask_b32_e32 v2, v2, v7, vcc
	v_cndmask_b32_e32 v3, v4, v6, vcc
	v_lshlrev_b32_e32 v4, 8, v9
	v_mov_b32_e32 v6, 0x3b800000
	v_lshlrev_b32_e32 v2, 20, v2
	v_and_b32_e32 v4, 0x80000000, v4
	v_lshl_add_u32 v3, v3, 23, v6
	v_or3_b32 v2, v4, v3, v2
.LBB9_756:
	s_or_b64 exec, exec, s[6:7]
	s_movk_i32 s4, 0xff
	v_and_b32_sdwa v3, v5, s4 dst_sel:DWORD dst_unused:UNUSED_PAD src0_sel:WORD_1 src1_sel:DWORD
	s_movk_i32 s4, 0x7f
	v_cmp_lt_i16_e32 vcc, s4, v3
	s_mov_b64 s[4:5], 0
                                        ; implicit-def: $sgpr10
	s_and_saveexec_b64 s[6:7], vcc
	s_xor_b64 s[6:7], exec, s[6:7]
	s_cbranch_execnz .LBB9_2805
; %bb.757:
	s_or_saveexec_b64 s[6:7], s[6:7]
	v_mov_b32_e32 v4, s10
	s_xor_b64 exec, exec, s[6:7]
	s_cbranch_execnz .LBB9_2808
.LBB9_758:
	s_or_b64 exec, exec, s[6:7]
	s_and_saveexec_b64 s[6:7], s[4:5]
	s_cbranch_execz .LBB9_760
.LBB9_759:
	v_bfe_u32 v3, v5, 16, 3
	v_ffbh_u32_e32 v7, v3
	v_min_u32_e32 v7, 32, v7
	v_lshrrev_b32_e32 v4, 19, v5
	v_subrev_u32_e32 v8, 28, v7
	v_and_b32_e32 v4, 15, v4
	v_lshlrev_b32_sdwa v8, v8, v5 dst_sel:DWORD dst_unused:UNUSED_PAD src0_sel:DWORD src1_sel:WORD_1
	v_bfe_u32 v6, v5, 19, 4
	v_sub_u32_e32 v7, 29, v7
	v_and_b32_e32 v8, 7, v8
	v_cmp_eq_u16_e32 vcc, 0, v4
	v_cndmask_b32_e32 v3, v3, v8, vcc
	v_cndmask_b32_e32 v4, v6, v7, vcc
	v_lshlrev_b32_e32 v6, 8, v5
	v_mov_b32_e32 v7, 0x3b800000
	v_lshlrev_b32_e32 v3, 20, v3
	v_and_b32_e32 v6, 0x80000000, v6
	v_lshl_add_u32 v4, v4, 23, v7
	v_or3_b32 v4, v6, v4, v3
.LBB9_760:
	s_or_b64 exec, exec, s[6:7]
	s_nop 0
	v_mfma_f32_16x16x4f32 a[0:3], v2, v4, a[0:3]
	s_movk_i32 s4, 0x7f
	v_cmp_gt_i16_sdwa s[6:7], v9, s4 src0_sel:BYTE_3 src1_sel:DWORD
	s_mov_b64 s[4:5], 0
                                        ; implicit-def: $sgpr10
	s_and_saveexec_b64 s[8:9], s[6:7]
	s_xor_b64 s[6:7], exec, s[8:9]
	s_cbranch_execnz .LBB9_2809
; %bb.761:
	s_or_saveexec_b64 s[6:7], s[6:7]
	v_mov_b32_e32 v2, s10
	s_xor_b64 exec, exec, s[6:7]
	s_cbranch_execnz .LBB9_2812
.LBB9_762:
	s_or_b64 exec, exec, s[6:7]
	s_and_saveexec_b64 s[6:7], s[4:5]
	s_cbranch_execz .LBB9_764
.LBB9_763:
	v_bfe_u32 v2, v9, 24, 3
	v_ffbh_u32_e32 v7, v2
	v_min_u32_e32 v7, 32, v7
	v_lshrrev_b32_e32 v4, 27, v9
	v_subrev_u32_e32 v8, 28, v7
	v_and_b32_e32 v4, 15, v4
	v_lshlrev_b32_sdwa v8, v8, v9 dst_sel:DWORD dst_unused:UNUSED_PAD src0_sel:DWORD src1_sel:BYTE_3
	v_bfe_u32 v6, v9, 27, 4
	v_sub_u32_e32 v7, 29, v7
	v_and_b32_e32 v8, 7, v8
	v_cmp_eq_u16_e32 vcc, 0, v4
	v_cndmask_b32_e32 v2, v2, v8, vcc
	v_cndmask_b32_e32 v4, v6, v7, vcc
	v_mov_b32_e32 v6, 0x3b800000
	v_and_b32_e32 v3, 0x80000000, v9
	v_lshlrev_b32_e32 v2, 20, v2
	v_lshl_add_u32 v4, v4, 23, v6
	v_or3_b32 v2, v3, v4, v2
.LBB9_764:
	s_or_b64 exec, exec, s[6:7]
	s_movk_i32 s4, 0x7f
	v_cmp_gt_i16_sdwa s[6:7], v5, s4 src0_sel:BYTE_3 src1_sel:DWORD
	s_mov_b64 s[4:5], 0
                                        ; implicit-def: $sgpr10
	s_and_saveexec_b64 s[8:9], s[6:7]
	s_xor_b64 s[6:7], exec, s[8:9]
	s_cbranch_execnz .LBB9_2813
; %bb.765:
	s_or_saveexec_b64 s[6:7], s[6:7]
	v_mov_b32_e32 v3, s10
	s_xor_b64 exec, exec, s[6:7]
	s_cbranch_execnz .LBB9_2816
.LBB9_766:
	s_or_b64 exec, exec, s[6:7]
	s_and_saveexec_b64 s[6:7], s[4:5]
	s_cbranch_execz .LBB9_768
.LBB9_767:
	v_bfe_u32 v3, v5, 24, 3
	v_ffbh_u32_e32 v8, v3
	v_min_u32_e32 v8, 32, v8
	v_lshrrev_b32_e32 v6, 27, v5
	v_subrev_u32_e32 v9, 28, v8
	v_and_b32_e32 v4, 0x80000000, v5
	v_and_b32_e32 v6, 15, v6
	v_bfe_u32 v7, v5, 27, 4
	v_lshlrev_b32_sdwa v5, v9, v5 dst_sel:DWORD dst_unused:UNUSED_PAD src0_sel:DWORD src1_sel:BYTE_3
	v_sub_u32_e32 v8, 29, v8
	v_and_b32_e32 v5, 7, v5
	v_cmp_eq_u16_e32 vcc, 0, v6
	v_cndmask_b32_e32 v3, v3, v5, vcc
	v_cndmask_b32_e32 v5, v7, v8, vcc
	v_mov_b32_e32 v6, 0x3b800000
	v_lshlrev_b32_e32 v3, 20, v3
	v_lshl_add_u32 v5, v5, 23, v6
	v_or3_b32 v3, v4, v5, v3
.LBB9_768:
	s_or_b64 exec, exec, s[6:7]
	s_nop 0
	v_mfma_f32_16x16x4f32 a[0:3], v2, v3, a[0:3]
	s_movk_i32 s4, 0x7f
                                        ; implicit-def: $sgpr10
	s_nop 7
	s_nop 1
	flat_store_dwordx4 v[18:19], a[0:3] offset:928
	flat_load_dwordx4 v[20:23], v[0:1] offset:16
	s_nop 0
	flat_load_dwordx2 v[18:19], v[0:1] offset:32
	s_waitcnt vmcnt(0) lgkmcnt(0)
	flat_load_dwordx4 v[14:17], v[20:21] offset:32
	flat_load_dwordx4 v[6:9], v[20:21] offset:48
	;; [unrolled: 1-line block ×4, first 2 shown]
	s_waitcnt vmcnt(0) lgkmcnt(0)
	v_cmp_gt_i16_sdwa s[6:7], v14, s4 src0_sel:BYTE_0 src1_sel:DWORD
	s_mov_b64 s[4:5], 0
	s_and_saveexec_b64 s[8:9], s[6:7]
	s_xor_b64 s[6:7], exec, s[8:9]
	s_cbranch_execnz .LBB9_2817
; %bb.769:
	s_or_saveexec_b64 s[6:7], s[6:7]
	v_mov_b32_e32 v20, s10
	s_xor_b64 exec, exec, s[6:7]
	s_cbranch_execnz .LBB9_2820
.LBB9_770:
	s_or_b64 exec, exec, s[6:7]
	s_and_saveexec_b64 s[6:7], s[4:5]
	s_cbranch_execz .LBB9_772
.LBB9_771:
	v_and_b32_e32 v20, 7, v14
	v_ffbh_u32_e32 v22, v20
	v_min_u32_e32 v22, 32, v22
	v_lshrrev_b16_e32 v21, 3, v14
	v_subrev_u32_e32 v23, 28, v22
	v_and_b32_e32 v21, 15, v21
	v_lshlrev_b32_e32 v23, v23, v14
	v_sub_u32_e32 v22, 29, v22
	v_and_b32_e32 v23, 7, v23
	v_cmp_eq_u16_e32 vcc, 0, v21
	v_cndmask_b32_e32 v20, v20, v23, vcc
	v_cndmask_b32_e32 v21, v21, v22, vcc
	v_lshlrev_b32_e32 v22, 24, v14
	v_mov_b32_e32 v23, 0x3b800000
	v_lshlrev_b32_e32 v20, 20, v20
	v_and_b32_e32 v22, 0x80000000, v22
	v_lshl_add_u32 v21, v21, 23, v23
	v_or3_b32 v20, v22, v21, v20
.LBB9_772:
	s_or_b64 exec, exec, s[6:7]
	s_movk_i32 s4, 0x7f
	v_cmp_gt_i16_sdwa s[6:7], v10, s4 src0_sel:BYTE_0 src1_sel:DWORD
	s_mov_b64 s[4:5], 0
                                        ; implicit-def: $sgpr10
	s_and_saveexec_b64 s[8:9], s[6:7]
	s_xor_b64 s[6:7], exec, s[8:9]
	s_cbranch_execnz .LBB9_2821
; %bb.773:
	s_or_saveexec_b64 s[6:7], s[6:7]
	v_mov_b32_e32 v21, s10
	s_xor_b64 exec, exec, s[6:7]
	s_cbranch_execnz .LBB9_2824
.LBB9_774:
	s_or_b64 exec, exec, s[6:7]
	s_and_saveexec_b64 s[6:7], s[4:5]
	s_cbranch_execz .LBB9_776
.LBB9_775:
	v_and_b32_e32 v21, 7, v10
	v_ffbh_u32_e32 v23, v21
	v_min_u32_e32 v23, 32, v23
	v_lshrrev_b16_e32 v22, 3, v10
	v_subrev_u32_e32 v24, 28, v23
	v_and_b32_e32 v22, 15, v22
	v_lshlrev_b32_e32 v24, v24, v10
	v_sub_u32_e32 v23, 29, v23
	v_and_b32_e32 v24, 7, v24
	v_cmp_eq_u16_e32 vcc, 0, v22
	v_cndmask_b32_e32 v21, v21, v24, vcc
	v_cndmask_b32_e32 v22, v22, v23, vcc
	v_lshlrev_b32_e32 v23, 24, v10
	v_mov_b32_e32 v24, 0x3b800000
	v_lshlrev_b32_e32 v21, 20, v21
	v_and_b32_e32 v23, 0x80000000, v23
	v_lshl_add_u32 v22, v22, 23, v24
	v_or3_b32 v21, v23, v22, v21
.LBB9_776:
	s_or_b64 exec, exec, s[6:7]
	flat_load_dwordx4 a[0:3], v[18:19] offset:944
	s_movk_i32 s4, 0x7f
                                        ; implicit-def: $sgpr10
	s_waitcnt vmcnt(0) lgkmcnt(0)
	v_mfma_f32_16x16x4f32 a[0:3], v20, v21, a[0:3]
	v_lshrrev_b32_e32 v21, 8, v14
	v_cmp_gt_i16_sdwa s[6:7], v21, s4 src0_sel:BYTE_0 src1_sel:DWORD
	s_mov_b64 s[4:5], 0
	s_and_saveexec_b64 s[8:9], s[6:7]
	s_xor_b64 s[6:7], exec, s[8:9]
	s_cbranch_execnz .LBB9_2825
; %bb.777:
	s_or_saveexec_b64 s[6:7], s[6:7]
	v_mov_b32_e32 v20, s10
	s_xor_b64 exec, exec, s[6:7]
	s_cbranch_execnz .LBB9_2828
.LBB9_778:
	s_or_b64 exec, exec, s[6:7]
	s_and_saveexec_b64 s[6:7], s[4:5]
	s_cbranch_execz .LBB9_780
.LBB9_779:
	v_bfe_u32 v20, v14, 8, 3
	v_ffbh_u32_e32 v23, v20
	v_min_u32_e32 v23, 32, v23
	v_lshrrev_b16_e32 v22, 3, v21
	v_subrev_u32_e32 v24, 28, v23
	v_and_b32_e32 v22, 15, v22
	v_lshlrev_b32_e32 v21, v24, v21
	v_sub_u32_e32 v23, 29, v23
	v_and_b32_e32 v21, 7, v21
	v_cmp_eq_u16_e32 vcc, 0, v22
	v_cndmask_b32_e32 v20, v20, v21, vcc
	v_cndmask_b32_e32 v21, v22, v23, vcc
	v_lshlrev_b32_e32 v22, 16, v14
	v_mov_b32_e32 v23, 0x3b800000
	v_lshlrev_b32_e32 v20, 20, v20
	v_and_b32_e32 v22, 0x80000000, v22
	v_lshl_add_u32 v21, v21, 23, v23
	v_or3_b32 v20, v22, v21, v20
.LBB9_780:
	s_or_b64 exec, exec, s[6:7]
	v_lshrrev_b32_e32 v21, 8, v10
	s_movk_i32 s4, 0x7f
	v_cmp_gt_i16_sdwa s[6:7], v21, s4 src0_sel:BYTE_0 src1_sel:DWORD
	s_mov_b64 s[4:5], 0
                                        ; implicit-def: $sgpr10
	s_and_saveexec_b64 s[8:9], s[6:7]
	s_xor_b64 s[6:7], exec, s[8:9]
	s_cbranch_execnz .LBB9_2829
; %bb.781:
	s_or_saveexec_b64 s[6:7], s[6:7]
	v_mov_b32_e32 v22, s10
	s_xor_b64 exec, exec, s[6:7]
	s_cbranch_execnz .LBB9_2832
.LBB9_782:
	s_or_b64 exec, exec, s[6:7]
	s_and_saveexec_b64 s[6:7], s[4:5]
	s_cbranch_execz .LBB9_784
.LBB9_783:
	v_bfe_u32 v22, v10, 8, 3
	v_ffbh_u32_e32 v24, v22
	v_min_u32_e32 v24, 32, v24
	v_lshrrev_b16_e32 v23, 3, v21
	v_subrev_u32_e32 v25, 28, v24
	v_and_b32_e32 v23, 15, v23
	v_lshlrev_b32_e32 v21, v25, v21
	v_sub_u32_e32 v24, 29, v24
	v_and_b32_e32 v21, 7, v21
	v_cmp_eq_u16_e32 vcc, 0, v23
	v_cndmask_b32_e32 v21, v22, v21, vcc
	v_cndmask_b32_e32 v22, v23, v24, vcc
	v_lshlrev_b32_e32 v23, 16, v10
	v_mov_b32_e32 v24, 0x3b800000
	v_lshlrev_b32_e32 v21, 20, v21
	v_and_b32_e32 v23, 0x80000000, v23
	v_lshl_add_u32 v22, v22, 23, v24
	v_or3_b32 v22, v23, v22, v21
.LBB9_784:
	s_or_b64 exec, exec, s[6:7]
	s_nop 0
	v_mfma_f32_16x16x4f32 a[0:3], v20, v22, a[0:3]
	s_movk_i32 s4, 0xff
	v_and_b32_sdwa v21, v14, s4 dst_sel:DWORD dst_unused:UNUSED_PAD src0_sel:WORD_1 src1_sel:DWORD
	s_movk_i32 s4, 0x7f
	v_cmp_lt_i16_e32 vcc, s4, v21
	s_mov_b64 s[4:5], 0
                                        ; implicit-def: $sgpr10
	s_and_saveexec_b64 s[6:7], vcc
	s_xor_b64 s[6:7], exec, s[6:7]
	s_cbranch_execnz .LBB9_2833
; %bb.785:
	s_or_saveexec_b64 s[6:7], s[6:7]
	v_mov_b32_e32 v20, s10
	s_xor_b64 exec, exec, s[6:7]
	s_cbranch_execnz .LBB9_2836
.LBB9_786:
	s_or_b64 exec, exec, s[6:7]
	s_and_saveexec_b64 s[6:7], s[4:5]
	s_cbranch_execz .LBB9_788
.LBB9_787:
	v_bfe_u32 v20, v14, 16, 3
	v_ffbh_u32_e32 v23, v20
	v_min_u32_e32 v23, 32, v23
	v_lshrrev_b32_e32 v21, 19, v14
	v_subrev_u32_e32 v24, 28, v23
	v_and_b32_e32 v21, 15, v21
	v_lshlrev_b32_sdwa v24, v24, v14 dst_sel:DWORD dst_unused:UNUSED_PAD src0_sel:DWORD src1_sel:WORD_1
	v_bfe_u32 v22, v14, 19, 4
	v_sub_u32_e32 v23, 29, v23
	v_and_b32_e32 v24, 7, v24
	v_cmp_eq_u16_e32 vcc, 0, v21
	v_cndmask_b32_e32 v20, v20, v24, vcc
	v_cndmask_b32_e32 v21, v22, v23, vcc
	v_lshlrev_b32_e32 v22, 8, v14
	v_mov_b32_e32 v23, 0x3b800000
	v_lshlrev_b32_e32 v20, 20, v20
	v_and_b32_e32 v22, 0x80000000, v22
	v_lshl_add_u32 v21, v21, 23, v23
	v_or3_b32 v20, v22, v21, v20
.LBB9_788:
	s_or_b64 exec, exec, s[6:7]
	s_movk_i32 s4, 0xff
	v_and_b32_sdwa v21, v10, s4 dst_sel:DWORD dst_unused:UNUSED_PAD src0_sel:WORD_1 src1_sel:DWORD
	s_movk_i32 s4, 0x7f
	v_cmp_lt_i16_e32 vcc, s4, v21
	s_mov_b64 s[4:5], 0
                                        ; implicit-def: $sgpr10
	s_and_saveexec_b64 s[6:7], vcc
	s_xor_b64 s[6:7], exec, s[6:7]
	s_cbranch_execnz .LBB9_2837
; %bb.789:
	s_or_saveexec_b64 s[6:7], s[6:7]
	v_mov_b32_e32 v22, s10
	s_xor_b64 exec, exec, s[6:7]
	s_cbranch_execnz .LBB9_2840
.LBB9_790:
	s_or_b64 exec, exec, s[6:7]
	s_and_saveexec_b64 s[6:7], s[4:5]
	s_cbranch_execz .LBB9_792
.LBB9_791:
	v_bfe_u32 v21, v10, 16, 3
	v_ffbh_u32_e32 v24, v21
	v_min_u32_e32 v24, 32, v24
	v_lshrrev_b32_e32 v22, 19, v10
	v_subrev_u32_e32 v25, 28, v24
	v_and_b32_e32 v22, 15, v22
	v_lshlrev_b32_sdwa v25, v25, v10 dst_sel:DWORD dst_unused:UNUSED_PAD src0_sel:DWORD src1_sel:WORD_1
	v_bfe_u32 v23, v10, 19, 4
	v_sub_u32_e32 v24, 29, v24
	v_and_b32_e32 v25, 7, v25
	v_cmp_eq_u16_e32 vcc, 0, v22
	v_cndmask_b32_e32 v21, v21, v25, vcc
	v_cndmask_b32_e32 v22, v23, v24, vcc
	v_lshlrev_b32_e32 v23, 8, v10
	v_mov_b32_e32 v24, 0x3b800000
	v_lshlrev_b32_e32 v21, 20, v21
	v_and_b32_e32 v23, 0x80000000, v23
	v_lshl_add_u32 v22, v22, 23, v24
	v_or3_b32 v22, v23, v22, v21
.LBB9_792:
	s_or_b64 exec, exec, s[6:7]
	s_nop 0
	v_mfma_f32_16x16x4f32 a[0:3], v20, v22, a[0:3]
	s_movk_i32 s4, 0x7f
	v_cmp_gt_i16_sdwa s[6:7], v14, s4 src0_sel:BYTE_3 src1_sel:DWORD
	s_mov_b64 s[4:5], 0
                                        ; implicit-def: $sgpr10
	s_and_saveexec_b64 s[8:9], s[6:7]
	s_xor_b64 s[6:7], exec, s[8:9]
	s_cbranch_execnz .LBB9_2841
; %bb.793:
	s_or_saveexec_b64 s[6:7], s[6:7]
	v_mov_b32_e32 v20, s10
	s_xor_b64 exec, exec, s[6:7]
	s_cbranch_execnz .LBB9_2844
.LBB9_794:
	s_or_b64 exec, exec, s[6:7]
	s_and_saveexec_b64 s[6:7], s[4:5]
	s_cbranch_execz .LBB9_796
.LBB9_795:
	v_bfe_u32 v20, v14, 24, 3
	v_ffbh_u32_e32 v24, v20
	v_min_u32_e32 v24, 32, v24
	v_lshrrev_b32_e32 v22, 27, v14
	v_subrev_u32_e32 v25, 28, v24
	v_and_b32_e32 v21, 0x80000000, v14
	v_and_b32_e32 v22, 15, v22
	v_bfe_u32 v23, v14, 27, 4
	v_lshlrev_b32_sdwa v14, v25, v14 dst_sel:DWORD dst_unused:UNUSED_PAD src0_sel:DWORD src1_sel:BYTE_3
	v_sub_u32_e32 v24, 29, v24
	v_and_b32_e32 v14, 7, v14
	v_cmp_eq_u16_e32 vcc, 0, v22
	v_cndmask_b32_e32 v14, v20, v14, vcc
	v_cndmask_b32_e32 v20, v23, v24, vcc
	v_mov_b32_e32 v22, 0x3b800000
	v_lshlrev_b32_e32 v14, 20, v14
	v_lshl_add_u32 v20, v20, 23, v22
	v_or3_b32 v20, v21, v20, v14
.LBB9_796:
	s_or_b64 exec, exec, s[6:7]
	s_movk_i32 s4, 0x7f
	v_cmp_gt_i16_sdwa s[6:7], v10, s4 src0_sel:BYTE_3 src1_sel:DWORD
	s_mov_b64 s[4:5], 0
                                        ; implicit-def: $sgpr10
	s_and_saveexec_b64 s[8:9], s[6:7]
	s_xor_b64 s[6:7], exec, s[8:9]
	s_cbranch_execnz .LBB9_2845
; %bb.797:
	s_or_saveexec_b64 s[6:7], s[6:7]
	v_mov_b32_e32 v14, s10
	s_xor_b64 exec, exec, s[6:7]
	s_cbranch_execnz .LBB9_2848
.LBB9_798:
	s_or_b64 exec, exec, s[6:7]
	s_and_saveexec_b64 s[6:7], s[4:5]
	s_cbranch_execz .LBB9_800
.LBB9_799:
	v_bfe_u32 v14, v10, 24, 3
	v_ffbh_u32_e32 v24, v14
	v_min_u32_e32 v24, 32, v24
	v_lshrrev_b32_e32 v22, 27, v10
	v_subrev_u32_e32 v25, 28, v24
	v_and_b32_e32 v21, 0x80000000, v10
	v_and_b32_e32 v22, 15, v22
	v_bfe_u32 v23, v10, 27, 4
	v_lshlrev_b32_sdwa v10, v25, v10 dst_sel:DWORD dst_unused:UNUSED_PAD src0_sel:DWORD src1_sel:BYTE_3
	v_sub_u32_e32 v24, 29, v24
	v_and_b32_e32 v10, 7, v10
	v_cmp_eq_u16_e32 vcc, 0, v22
	v_cndmask_b32_e32 v10, v14, v10, vcc
	v_cndmask_b32_e32 v14, v23, v24, vcc
	v_mov_b32_e32 v22, 0x3b800000
	v_lshlrev_b32_e32 v10, 20, v10
	v_lshl_add_u32 v14, v14, 23, v22
	v_or3_b32 v14, v21, v14, v10
.LBB9_800:
	s_or_b64 exec, exec, s[6:7]
	s_nop 0
	v_mfma_f32_16x16x4f32 a[0:3], v20, v14, a[0:3]
	s_movk_i32 s4, 0x7f
	v_cmp_gt_i16_sdwa s[6:7], v15, s4 src0_sel:BYTE_0 src1_sel:DWORD
	s_mov_b64 s[4:5], 0
                                        ; implicit-def: $sgpr10
	s_and_saveexec_b64 s[8:9], s[6:7]
	s_xor_b64 s[6:7], exec, s[8:9]
	s_cbranch_execnz .LBB9_2849
; %bb.801:
	s_or_saveexec_b64 s[6:7], s[6:7]
	v_mov_b32_e32 v10, s10
	s_xor_b64 exec, exec, s[6:7]
	s_cbranch_execnz .LBB9_2852
.LBB9_802:
	s_or_b64 exec, exec, s[6:7]
	s_and_saveexec_b64 s[6:7], s[4:5]
	s_cbranch_execz .LBB9_804
.LBB9_803:
	v_and_b32_e32 v10, 7, v15
	v_ffbh_u32_e32 v20, v10
	v_min_u32_e32 v20, 32, v20
	v_lshrrev_b16_e32 v14, 3, v15
	v_subrev_u32_e32 v21, 28, v20
	v_and_b32_e32 v14, 15, v14
	v_lshlrev_b32_e32 v21, v21, v15
	v_sub_u32_e32 v20, 29, v20
	v_and_b32_e32 v21, 7, v21
	v_cmp_eq_u16_e32 vcc, 0, v14
	v_cndmask_b32_e32 v10, v10, v21, vcc
	v_cndmask_b32_e32 v14, v14, v20, vcc
	v_lshlrev_b32_e32 v20, 24, v15
	v_mov_b32_e32 v21, 0x3b800000
	v_lshlrev_b32_e32 v10, 20, v10
	v_and_b32_e32 v20, 0x80000000, v20
	v_lshl_add_u32 v14, v14, 23, v21
	v_or3_b32 v10, v20, v14, v10
.LBB9_804:
	s_or_b64 exec, exec, s[6:7]
	s_movk_i32 s4, 0x7f
	v_cmp_gt_i16_sdwa s[6:7], v11, s4 src0_sel:BYTE_0 src1_sel:DWORD
	s_mov_b64 s[4:5], 0
                                        ; implicit-def: $sgpr10
	s_and_saveexec_b64 s[8:9], s[6:7]
	s_xor_b64 s[6:7], exec, s[8:9]
	s_cbranch_execnz .LBB9_2853
; %bb.805:
	s_or_saveexec_b64 s[6:7], s[6:7]
	v_mov_b32_e32 v14, s10
	s_xor_b64 exec, exec, s[6:7]
	s_cbranch_execnz .LBB9_2856
.LBB9_806:
	s_or_b64 exec, exec, s[6:7]
	s_and_saveexec_b64 s[6:7], s[4:5]
	s_cbranch_execz .LBB9_808
.LBB9_807:
	v_and_b32_e32 v14, 7, v11
	v_ffbh_u32_e32 v21, v14
	v_min_u32_e32 v21, 32, v21
	v_lshrrev_b16_e32 v20, 3, v11
	v_subrev_u32_e32 v22, 28, v21
	v_and_b32_e32 v20, 15, v20
	v_lshlrev_b32_e32 v22, v22, v11
	v_sub_u32_e32 v21, 29, v21
	v_and_b32_e32 v22, 7, v22
	v_cmp_eq_u16_e32 vcc, 0, v20
	v_cndmask_b32_e32 v14, v14, v22, vcc
	v_cndmask_b32_e32 v20, v20, v21, vcc
	v_lshlrev_b32_e32 v21, 24, v11
	v_mov_b32_e32 v22, 0x3b800000
	v_lshlrev_b32_e32 v14, 20, v14
	v_and_b32_e32 v21, 0x80000000, v21
	v_lshl_add_u32 v20, v20, 23, v22
	v_or3_b32 v14, v21, v20, v14
.LBB9_808:
	s_or_b64 exec, exec, s[6:7]
	s_nop 0
	v_mfma_f32_16x16x4f32 a[0:3], v10, v14, a[0:3]
	v_lshrrev_b32_e32 v14, 8, v15
	s_movk_i32 s4, 0x7f
	v_cmp_gt_i16_sdwa s[6:7], v14, s4 src0_sel:BYTE_0 src1_sel:DWORD
	s_mov_b64 s[4:5], 0
                                        ; implicit-def: $sgpr10
	s_and_saveexec_b64 s[8:9], s[6:7]
	s_xor_b64 s[6:7], exec, s[8:9]
	s_cbranch_execnz .LBB9_2857
; %bb.809:
	s_or_saveexec_b64 s[6:7], s[6:7]
	v_mov_b32_e32 v10, s10
	s_xor_b64 exec, exec, s[6:7]
	s_cbranch_execnz .LBB9_2860
.LBB9_810:
	s_or_b64 exec, exec, s[6:7]
	s_and_saveexec_b64 s[6:7], s[4:5]
	s_cbranch_execz .LBB9_812
.LBB9_811:
	v_bfe_u32 v10, v15, 8, 3
	v_ffbh_u32_e32 v21, v10
	v_min_u32_e32 v21, 32, v21
	v_lshrrev_b16_e32 v20, 3, v14
	v_subrev_u32_e32 v22, 28, v21
	v_and_b32_e32 v20, 15, v20
	v_lshlrev_b32_e32 v14, v22, v14
	v_sub_u32_e32 v21, 29, v21
	v_and_b32_e32 v14, 7, v14
	v_cmp_eq_u16_e32 vcc, 0, v20
	v_cndmask_b32_e32 v10, v10, v14, vcc
	v_cndmask_b32_e32 v14, v20, v21, vcc
	v_lshlrev_b32_e32 v20, 16, v15
	v_mov_b32_e32 v21, 0x3b800000
	v_lshlrev_b32_e32 v10, 20, v10
	v_and_b32_e32 v20, 0x80000000, v20
	v_lshl_add_u32 v14, v14, 23, v21
	v_or3_b32 v10, v20, v14, v10
.LBB9_812:
	s_or_b64 exec, exec, s[6:7]
	v_lshrrev_b32_e32 v14, 8, v11
	s_movk_i32 s4, 0x7f
	v_cmp_gt_i16_sdwa s[6:7], v14, s4 src0_sel:BYTE_0 src1_sel:DWORD
	s_mov_b64 s[4:5], 0
                                        ; implicit-def: $sgpr10
	s_and_saveexec_b64 s[8:9], s[6:7]
	s_xor_b64 s[6:7], exec, s[8:9]
	s_cbranch_execnz .LBB9_2861
; %bb.813:
	s_or_saveexec_b64 s[6:7], s[6:7]
	v_mov_b32_e32 v20, s10
	s_xor_b64 exec, exec, s[6:7]
	s_cbranch_execnz .LBB9_2864
.LBB9_814:
	s_or_b64 exec, exec, s[6:7]
	s_and_saveexec_b64 s[6:7], s[4:5]
	s_cbranch_execz .LBB9_816
.LBB9_815:
	v_bfe_u32 v20, v11, 8, 3
	v_ffbh_u32_e32 v22, v20
	v_min_u32_e32 v22, 32, v22
	v_lshrrev_b16_e32 v21, 3, v14
	v_subrev_u32_e32 v23, 28, v22
	v_and_b32_e32 v21, 15, v21
	v_lshlrev_b32_e32 v14, v23, v14
	v_sub_u32_e32 v22, 29, v22
	v_and_b32_e32 v14, 7, v14
	v_cmp_eq_u16_e32 vcc, 0, v21
	v_cndmask_b32_e32 v14, v20, v14, vcc
	v_cndmask_b32_e32 v20, v21, v22, vcc
	v_lshlrev_b32_e32 v21, 16, v11
	v_mov_b32_e32 v22, 0x3b800000
	v_lshlrev_b32_e32 v14, 20, v14
	v_and_b32_e32 v21, 0x80000000, v21
	v_lshl_add_u32 v20, v20, 23, v22
	v_or3_b32 v20, v21, v20, v14
.LBB9_816:
	s_or_b64 exec, exec, s[6:7]
	s_nop 0
	v_mfma_f32_16x16x4f32 a[0:3], v10, v20, a[0:3]
	s_movk_i32 s4, 0xff
	v_and_b32_sdwa v14, v15, s4 dst_sel:DWORD dst_unused:UNUSED_PAD src0_sel:WORD_1 src1_sel:DWORD
	s_movk_i32 s4, 0x7f
	v_cmp_lt_i16_e32 vcc, s4, v14
	s_mov_b64 s[4:5], 0
                                        ; implicit-def: $sgpr10
	s_and_saveexec_b64 s[6:7], vcc
	s_xor_b64 s[6:7], exec, s[6:7]
	s_cbranch_execnz .LBB9_2865
; %bb.817:
	s_or_saveexec_b64 s[6:7], s[6:7]
	v_mov_b32_e32 v10, s10
	s_xor_b64 exec, exec, s[6:7]
	s_cbranch_execnz .LBB9_2868
.LBB9_818:
	s_or_b64 exec, exec, s[6:7]
	s_and_saveexec_b64 s[6:7], s[4:5]
	s_cbranch_execz .LBB9_820
.LBB9_819:
	v_bfe_u32 v10, v15, 16, 3
	v_ffbh_u32_e32 v21, v10
	v_min_u32_e32 v21, 32, v21
	v_lshrrev_b32_e32 v14, 19, v15
	v_subrev_u32_e32 v22, 28, v21
	v_and_b32_e32 v14, 15, v14
	v_lshlrev_b32_sdwa v22, v22, v15 dst_sel:DWORD dst_unused:UNUSED_PAD src0_sel:DWORD src1_sel:WORD_1
	v_bfe_u32 v20, v15, 19, 4
	v_sub_u32_e32 v21, 29, v21
	v_and_b32_e32 v22, 7, v22
	v_cmp_eq_u16_e32 vcc, 0, v14
	v_cndmask_b32_e32 v10, v10, v22, vcc
	v_cndmask_b32_e32 v14, v20, v21, vcc
	v_lshlrev_b32_e32 v20, 8, v15
	v_mov_b32_e32 v21, 0x3b800000
	v_lshlrev_b32_e32 v10, 20, v10
	v_and_b32_e32 v20, 0x80000000, v20
	v_lshl_add_u32 v14, v14, 23, v21
	v_or3_b32 v10, v20, v14, v10
.LBB9_820:
	s_or_b64 exec, exec, s[6:7]
	s_movk_i32 s4, 0xff
	v_and_b32_sdwa v14, v11, s4 dst_sel:DWORD dst_unused:UNUSED_PAD src0_sel:WORD_1 src1_sel:DWORD
	s_movk_i32 s4, 0x7f
	v_cmp_lt_i16_e32 vcc, s4, v14
	s_mov_b64 s[4:5], 0
                                        ; implicit-def: $sgpr10
	s_and_saveexec_b64 s[6:7], vcc
	s_xor_b64 s[6:7], exec, s[6:7]
	s_cbranch_execnz .LBB9_2869
; %bb.821:
	s_or_saveexec_b64 s[6:7], s[6:7]
	v_mov_b32_e32 v20, s10
	s_xor_b64 exec, exec, s[6:7]
	s_cbranch_execnz .LBB9_2872
.LBB9_822:
	s_or_b64 exec, exec, s[6:7]
	s_and_saveexec_b64 s[6:7], s[4:5]
	s_cbranch_execz .LBB9_824
.LBB9_823:
	v_bfe_u32 v14, v11, 16, 3
	v_ffbh_u32_e32 v22, v14
	v_min_u32_e32 v22, 32, v22
	v_lshrrev_b32_e32 v20, 19, v11
	v_subrev_u32_e32 v23, 28, v22
	v_and_b32_e32 v20, 15, v20
	v_lshlrev_b32_sdwa v23, v23, v11 dst_sel:DWORD dst_unused:UNUSED_PAD src0_sel:DWORD src1_sel:WORD_1
	v_bfe_u32 v21, v11, 19, 4
	v_sub_u32_e32 v22, 29, v22
	v_and_b32_e32 v23, 7, v23
	v_cmp_eq_u16_e32 vcc, 0, v20
	v_cndmask_b32_e32 v14, v14, v23, vcc
	v_cndmask_b32_e32 v20, v21, v22, vcc
	v_lshlrev_b32_e32 v21, 8, v11
	v_mov_b32_e32 v22, 0x3b800000
	v_lshlrev_b32_e32 v14, 20, v14
	v_and_b32_e32 v21, 0x80000000, v21
	v_lshl_add_u32 v20, v20, 23, v22
	v_or3_b32 v20, v21, v20, v14
.LBB9_824:
	s_or_b64 exec, exec, s[6:7]
	s_nop 0
	v_mfma_f32_16x16x4f32 a[0:3], v10, v20, a[0:3]
	s_movk_i32 s4, 0x7f
	v_cmp_gt_i16_sdwa s[6:7], v15, s4 src0_sel:BYTE_3 src1_sel:DWORD
	s_mov_b64 s[4:5], 0
                                        ; implicit-def: $sgpr10
	s_and_saveexec_b64 s[8:9], s[6:7]
	s_xor_b64 s[6:7], exec, s[8:9]
	s_cbranch_execnz .LBB9_2873
; %bb.825:
	s_or_saveexec_b64 s[6:7], s[6:7]
	v_mov_b32_e32 v10, s10
	s_xor_b64 exec, exec, s[6:7]
	s_cbranch_execnz .LBB9_2876
.LBB9_826:
	s_or_b64 exec, exec, s[6:7]
	s_and_saveexec_b64 s[6:7], s[4:5]
	s_cbranch_execz .LBB9_828
.LBB9_827:
	v_bfe_u32 v10, v15, 24, 3
	v_ffbh_u32_e32 v22, v10
	v_min_u32_e32 v22, 32, v22
	v_lshrrev_b32_e32 v20, 27, v15
	v_subrev_u32_e32 v23, 28, v22
	v_and_b32_e32 v14, 0x80000000, v15
	v_and_b32_e32 v20, 15, v20
	v_bfe_u32 v21, v15, 27, 4
	v_lshlrev_b32_sdwa v15, v23, v15 dst_sel:DWORD dst_unused:UNUSED_PAD src0_sel:DWORD src1_sel:BYTE_3
	v_sub_u32_e32 v22, 29, v22
	v_and_b32_e32 v15, 7, v15
	v_cmp_eq_u16_e32 vcc, 0, v20
	v_cndmask_b32_e32 v10, v10, v15, vcc
	v_cndmask_b32_e32 v15, v21, v22, vcc
	v_mov_b32_e32 v20, 0x3b800000
	v_lshlrev_b32_e32 v10, 20, v10
	v_lshl_add_u32 v15, v15, 23, v20
	v_or3_b32 v10, v14, v15, v10
.LBB9_828:
	s_or_b64 exec, exec, s[6:7]
	s_movk_i32 s4, 0x7f
	v_cmp_gt_i16_sdwa s[6:7], v11, s4 src0_sel:BYTE_3 src1_sel:DWORD
	s_mov_b64 s[4:5], 0
                                        ; implicit-def: $sgpr10
	s_and_saveexec_b64 s[8:9], s[6:7]
	s_xor_b64 s[6:7], exec, s[8:9]
	s_cbranch_execnz .LBB9_2877
; %bb.829:
	s_or_saveexec_b64 s[6:7], s[6:7]
	v_mov_b32_e32 v14, s10
	s_xor_b64 exec, exec, s[6:7]
	s_cbranch_execnz .LBB9_2880
.LBB9_830:
	s_or_b64 exec, exec, s[6:7]
	s_and_saveexec_b64 s[6:7], s[4:5]
	s_cbranch_execz .LBB9_832
.LBB9_831:
	v_bfe_u32 v14, v11, 24, 3
	v_ffbh_u32_e32 v22, v14
	v_min_u32_e32 v22, 32, v22
	v_lshrrev_b32_e32 v20, 27, v11
	v_subrev_u32_e32 v23, 28, v22
	v_and_b32_e32 v15, 0x80000000, v11
	v_and_b32_e32 v20, 15, v20
	v_bfe_u32 v21, v11, 27, 4
	v_lshlrev_b32_sdwa v11, v23, v11 dst_sel:DWORD dst_unused:UNUSED_PAD src0_sel:DWORD src1_sel:BYTE_3
	v_sub_u32_e32 v22, 29, v22
	v_and_b32_e32 v11, 7, v11
	v_cmp_eq_u16_e32 vcc, 0, v20
	v_cndmask_b32_e32 v11, v14, v11, vcc
	v_cndmask_b32_e32 v14, v21, v22, vcc
	v_mov_b32_e32 v20, 0x3b800000
	v_lshlrev_b32_e32 v11, 20, v11
	v_lshl_add_u32 v14, v14, 23, v20
	v_or3_b32 v14, v15, v14, v11
.LBB9_832:
	s_or_b64 exec, exec, s[6:7]
	s_nop 0
	v_mfma_f32_16x16x4f32 a[0:3], v10, v14, a[0:3]
	s_movk_i32 s4, 0x7f
	v_cmp_gt_i16_sdwa s[6:7], v16, s4 src0_sel:BYTE_0 src1_sel:DWORD
	s_mov_b64 s[4:5], 0
                                        ; implicit-def: $sgpr10
	s_and_saveexec_b64 s[8:9], s[6:7]
	s_xor_b64 s[6:7], exec, s[8:9]
	s_cbranch_execnz .LBB9_2881
; %bb.833:
	s_or_saveexec_b64 s[6:7], s[6:7]
	v_mov_b32_e32 v10, s10
	s_xor_b64 exec, exec, s[6:7]
	s_cbranch_execnz .LBB9_2884
.LBB9_834:
	s_or_b64 exec, exec, s[6:7]
	s_and_saveexec_b64 s[6:7], s[4:5]
	s_cbranch_execz .LBB9_836
.LBB9_835:
	v_and_b32_e32 v10, 7, v16
	v_ffbh_u32_e32 v14, v10
	v_min_u32_e32 v14, 32, v14
	v_lshrrev_b16_e32 v11, 3, v16
	v_subrev_u32_e32 v15, 28, v14
	v_and_b32_e32 v11, 15, v11
	v_lshlrev_b32_e32 v15, v15, v16
	v_sub_u32_e32 v14, 29, v14
	v_and_b32_e32 v15, 7, v15
	v_cmp_eq_u16_e32 vcc, 0, v11
	v_cndmask_b32_e32 v10, v10, v15, vcc
	v_cndmask_b32_e32 v11, v11, v14, vcc
	v_lshlrev_b32_e32 v14, 24, v16
	v_mov_b32_e32 v15, 0x3b800000
	v_lshlrev_b32_e32 v10, 20, v10
	v_and_b32_e32 v14, 0x80000000, v14
	v_lshl_add_u32 v11, v11, 23, v15
	v_or3_b32 v10, v14, v11, v10
.LBB9_836:
	s_or_b64 exec, exec, s[6:7]
	s_movk_i32 s4, 0x7f
	v_cmp_gt_i16_sdwa s[6:7], v12, s4 src0_sel:BYTE_0 src1_sel:DWORD
	s_mov_b64 s[4:5], 0
                                        ; implicit-def: $sgpr10
	s_and_saveexec_b64 s[8:9], s[6:7]
	s_xor_b64 s[6:7], exec, s[8:9]
	s_cbranch_execnz .LBB9_2885
; %bb.837:
	s_or_saveexec_b64 s[6:7], s[6:7]
	v_mov_b32_e32 v11, s10
	s_xor_b64 exec, exec, s[6:7]
	s_cbranch_execnz .LBB9_2888
.LBB9_838:
	s_or_b64 exec, exec, s[6:7]
	s_and_saveexec_b64 s[6:7], s[4:5]
	s_cbranch_execz .LBB9_840
.LBB9_839:
	v_and_b32_e32 v11, 7, v12
	v_ffbh_u32_e32 v15, v11
	v_min_u32_e32 v15, 32, v15
	v_lshrrev_b16_e32 v14, 3, v12
	v_subrev_u32_e32 v20, 28, v15
	v_and_b32_e32 v14, 15, v14
	v_lshlrev_b32_e32 v20, v20, v12
	v_sub_u32_e32 v15, 29, v15
	v_and_b32_e32 v20, 7, v20
	v_cmp_eq_u16_e32 vcc, 0, v14
	v_cndmask_b32_e32 v11, v11, v20, vcc
	v_cndmask_b32_e32 v14, v14, v15, vcc
	v_lshlrev_b32_e32 v15, 24, v12
	v_mov_b32_e32 v20, 0x3b800000
	v_lshlrev_b32_e32 v11, 20, v11
	v_and_b32_e32 v15, 0x80000000, v15
	v_lshl_add_u32 v14, v14, 23, v20
	v_or3_b32 v11, v15, v14, v11
.LBB9_840:
	s_or_b64 exec, exec, s[6:7]
	s_nop 0
	v_mfma_f32_16x16x4f32 a[0:3], v10, v11, a[0:3]
	v_lshrrev_b32_e32 v11, 8, v16
	s_movk_i32 s4, 0x7f
	v_cmp_gt_i16_sdwa s[6:7], v11, s4 src0_sel:BYTE_0 src1_sel:DWORD
	s_mov_b64 s[4:5], 0
                                        ; implicit-def: $sgpr10
	s_and_saveexec_b64 s[8:9], s[6:7]
	s_xor_b64 s[6:7], exec, s[8:9]
	s_cbranch_execnz .LBB9_2889
; %bb.841:
	s_or_saveexec_b64 s[6:7], s[6:7]
	v_mov_b32_e32 v10, s10
	s_xor_b64 exec, exec, s[6:7]
	s_cbranch_execnz .LBB9_2892
.LBB9_842:
	s_or_b64 exec, exec, s[6:7]
	s_and_saveexec_b64 s[6:7], s[4:5]
	s_cbranch_execz .LBB9_844
.LBB9_843:
	v_bfe_u32 v10, v16, 8, 3
	v_ffbh_u32_e32 v15, v10
	v_min_u32_e32 v15, 32, v15
	v_lshrrev_b16_e32 v14, 3, v11
	v_subrev_u32_e32 v20, 28, v15
	v_and_b32_e32 v14, 15, v14
	v_lshlrev_b32_e32 v11, v20, v11
	v_sub_u32_e32 v15, 29, v15
	v_and_b32_e32 v11, 7, v11
	v_cmp_eq_u16_e32 vcc, 0, v14
	v_cndmask_b32_e32 v10, v10, v11, vcc
	v_cndmask_b32_e32 v11, v14, v15, vcc
	v_lshlrev_b32_e32 v14, 16, v16
	v_mov_b32_e32 v15, 0x3b800000
	v_lshlrev_b32_e32 v10, 20, v10
	v_and_b32_e32 v14, 0x80000000, v14
	v_lshl_add_u32 v11, v11, 23, v15
	v_or3_b32 v10, v14, v11, v10
.LBB9_844:
	s_or_b64 exec, exec, s[6:7]
	v_lshrrev_b32_e32 v11, 8, v12
	s_movk_i32 s4, 0x7f
	v_cmp_gt_i16_sdwa s[6:7], v11, s4 src0_sel:BYTE_0 src1_sel:DWORD
	s_mov_b64 s[4:5], 0
                                        ; implicit-def: $sgpr10
	s_and_saveexec_b64 s[8:9], s[6:7]
	s_xor_b64 s[6:7], exec, s[8:9]
	s_cbranch_execnz .LBB9_2893
; %bb.845:
	s_or_saveexec_b64 s[6:7], s[6:7]
	v_mov_b32_e32 v14, s10
	s_xor_b64 exec, exec, s[6:7]
	s_cbranch_execnz .LBB9_2896
.LBB9_846:
	s_or_b64 exec, exec, s[6:7]
	s_and_saveexec_b64 s[6:7], s[4:5]
	s_cbranch_execz .LBB9_848
.LBB9_847:
	v_bfe_u32 v14, v12, 8, 3
	v_ffbh_u32_e32 v20, v14
	v_min_u32_e32 v20, 32, v20
	v_lshrrev_b16_e32 v15, 3, v11
	v_subrev_u32_e32 v21, 28, v20
	v_and_b32_e32 v15, 15, v15
	v_lshlrev_b32_e32 v11, v21, v11
	v_sub_u32_e32 v20, 29, v20
	v_and_b32_e32 v11, 7, v11
	v_cmp_eq_u16_e32 vcc, 0, v15
	v_cndmask_b32_e32 v11, v14, v11, vcc
	v_cndmask_b32_e32 v14, v15, v20, vcc
	v_lshlrev_b32_e32 v15, 16, v12
	v_mov_b32_e32 v20, 0x3b800000
	v_lshlrev_b32_e32 v11, 20, v11
	v_and_b32_e32 v15, 0x80000000, v15
	v_lshl_add_u32 v14, v14, 23, v20
	v_or3_b32 v14, v15, v14, v11
.LBB9_848:
	s_or_b64 exec, exec, s[6:7]
	s_nop 0
	v_mfma_f32_16x16x4f32 a[0:3], v10, v14, a[0:3]
	s_movk_i32 s4, 0xff
	v_and_b32_sdwa v11, v16, s4 dst_sel:DWORD dst_unused:UNUSED_PAD src0_sel:WORD_1 src1_sel:DWORD
	s_movk_i32 s4, 0x7f
	v_cmp_lt_i16_e32 vcc, s4, v11
	s_mov_b64 s[4:5], 0
                                        ; implicit-def: $sgpr10
	s_and_saveexec_b64 s[6:7], vcc
	s_xor_b64 s[6:7], exec, s[6:7]
	s_cbranch_execnz .LBB9_2897
; %bb.849:
	s_or_saveexec_b64 s[6:7], s[6:7]
	v_mov_b32_e32 v10, s10
	s_xor_b64 exec, exec, s[6:7]
	s_cbranch_execnz .LBB9_2900
.LBB9_850:
	s_or_b64 exec, exec, s[6:7]
	s_and_saveexec_b64 s[6:7], s[4:5]
	s_cbranch_execz .LBB9_852
.LBB9_851:
	v_bfe_u32 v10, v16, 16, 3
	v_ffbh_u32_e32 v15, v10
	v_min_u32_e32 v15, 32, v15
	v_lshrrev_b32_e32 v11, 19, v16
	v_subrev_u32_e32 v20, 28, v15
	v_and_b32_e32 v11, 15, v11
	v_lshlrev_b32_sdwa v20, v20, v16 dst_sel:DWORD dst_unused:UNUSED_PAD src0_sel:DWORD src1_sel:WORD_1
	v_bfe_u32 v14, v16, 19, 4
	v_sub_u32_e32 v15, 29, v15
	v_and_b32_e32 v20, 7, v20
	v_cmp_eq_u16_e32 vcc, 0, v11
	v_cndmask_b32_e32 v10, v10, v20, vcc
	v_cndmask_b32_e32 v11, v14, v15, vcc
	v_lshlrev_b32_e32 v14, 8, v16
	v_mov_b32_e32 v15, 0x3b800000
	v_lshlrev_b32_e32 v10, 20, v10
	v_and_b32_e32 v14, 0x80000000, v14
	v_lshl_add_u32 v11, v11, 23, v15
	v_or3_b32 v10, v14, v11, v10
.LBB9_852:
	s_or_b64 exec, exec, s[6:7]
	s_movk_i32 s4, 0xff
	v_and_b32_sdwa v11, v12, s4 dst_sel:DWORD dst_unused:UNUSED_PAD src0_sel:WORD_1 src1_sel:DWORD
	s_movk_i32 s4, 0x7f
	v_cmp_lt_i16_e32 vcc, s4, v11
	s_mov_b64 s[4:5], 0
                                        ; implicit-def: $sgpr10
	s_and_saveexec_b64 s[6:7], vcc
	s_xor_b64 s[6:7], exec, s[6:7]
	s_cbranch_execnz .LBB9_2901
; %bb.853:
	s_or_saveexec_b64 s[6:7], s[6:7]
	v_mov_b32_e32 v14, s10
	s_xor_b64 exec, exec, s[6:7]
	s_cbranch_execnz .LBB9_2904
.LBB9_854:
	s_or_b64 exec, exec, s[6:7]
	s_and_saveexec_b64 s[6:7], s[4:5]
	s_cbranch_execz .LBB9_856
.LBB9_855:
	v_bfe_u32 v11, v12, 16, 3
	v_ffbh_u32_e32 v20, v11
	v_min_u32_e32 v20, 32, v20
	v_lshrrev_b32_e32 v14, 19, v12
	v_subrev_u32_e32 v21, 28, v20
	v_and_b32_e32 v14, 15, v14
	v_lshlrev_b32_sdwa v21, v21, v12 dst_sel:DWORD dst_unused:UNUSED_PAD src0_sel:DWORD src1_sel:WORD_1
	v_bfe_u32 v15, v12, 19, 4
	v_sub_u32_e32 v20, 29, v20
	v_and_b32_e32 v21, 7, v21
	v_cmp_eq_u16_e32 vcc, 0, v14
	v_cndmask_b32_e32 v11, v11, v21, vcc
	v_cndmask_b32_e32 v14, v15, v20, vcc
	v_lshlrev_b32_e32 v15, 8, v12
	v_mov_b32_e32 v20, 0x3b800000
	v_lshlrev_b32_e32 v11, 20, v11
	v_and_b32_e32 v15, 0x80000000, v15
	v_lshl_add_u32 v14, v14, 23, v20
	v_or3_b32 v14, v15, v14, v11
.LBB9_856:
	s_or_b64 exec, exec, s[6:7]
	s_nop 0
	v_mfma_f32_16x16x4f32 a[0:3], v10, v14, a[0:3]
	s_movk_i32 s4, 0x7f
	v_cmp_gt_i16_sdwa s[6:7], v16, s4 src0_sel:BYTE_3 src1_sel:DWORD
	s_mov_b64 s[4:5], 0
                                        ; implicit-def: $sgpr10
	s_and_saveexec_b64 s[8:9], s[6:7]
	s_xor_b64 s[6:7], exec, s[8:9]
	s_cbranch_execnz .LBB9_2905
; %bb.857:
	s_or_saveexec_b64 s[6:7], s[6:7]
	v_mov_b32_e32 v10, s10
	s_xor_b64 exec, exec, s[6:7]
	s_cbranch_execnz .LBB9_2908
.LBB9_858:
	s_or_b64 exec, exec, s[6:7]
	s_and_saveexec_b64 s[6:7], s[4:5]
	s_cbranch_execz .LBB9_860
.LBB9_859:
	v_bfe_u32 v10, v16, 24, 3
	v_ffbh_u32_e32 v20, v10
	v_min_u32_e32 v20, 32, v20
	v_lshrrev_b32_e32 v14, 27, v16
	v_subrev_u32_e32 v21, 28, v20
	v_and_b32_e32 v11, 0x80000000, v16
	v_and_b32_e32 v14, 15, v14
	v_bfe_u32 v15, v16, 27, 4
	v_lshlrev_b32_sdwa v16, v21, v16 dst_sel:DWORD dst_unused:UNUSED_PAD src0_sel:DWORD src1_sel:BYTE_3
	v_sub_u32_e32 v20, 29, v20
	v_and_b32_e32 v16, 7, v16
	v_cmp_eq_u16_e32 vcc, 0, v14
	v_cndmask_b32_e32 v10, v10, v16, vcc
	v_cndmask_b32_e32 v14, v15, v20, vcc
	v_mov_b32_e32 v15, 0x3b800000
	v_lshlrev_b32_e32 v10, 20, v10
	v_lshl_add_u32 v14, v14, 23, v15
	v_or3_b32 v10, v11, v14, v10
.LBB9_860:
	s_or_b64 exec, exec, s[6:7]
	s_movk_i32 s4, 0x7f
	v_cmp_gt_i16_sdwa s[6:7], v12, s4 src0_sel:BYTE_3 src1_sel:DWORD
	s_mov_b64 s[4:5], 0
                                        ; implicit-def: $sgpr10
	s_and_saveexec_b64 s[8:9], s[6:7]
	s_xor_b64 s[6:7], exec, s[8:9]
	s_cbranch_execnz .LBB9_2909
; %bb.861:
	s_or_saveexec_b64 s[6:7], s[6:7]
	v_mov_b32_e32 v11, s10
	s_xor_b64 exec, exec, s[6:7]
	s_cbranch_execnz .LBB9_2912
.LBB9_862:
	s_or_b64 exec, exec, s[6:7]
	s_and_saveexec_b64 s[6:7], s[4:5]
	s_cbranch_execz .LBB9_864
.LBB9_863:
	v_bfe_u32 v11, v12, 24, 3
	v_ffbh_u32_e32 v20, v11
	v_min_u32_e32 v20, 32, v20
	v_lshrrev_b32_e32 v15, 27, v12
	v_subrev_u32_e32 v21, 28, v20
	v_and_b32_e32 v14, 0x80000000, v12
	v_and_b32_e32 v15, 15, v15
	v_bfe_u32 v16, v12, 27, 4
	v_lshlrev_b32_sdwa v12, v21, v12 dst_sel:DWORD dst_unused:UNUSED_PAD src0_sel:DWORD src1_sel:BYTE_3
	v_sub_u32_e32 v20, 29, v20
	v_and_b32_e32 v12, 7, v12
	v_cmp_eq_u16_e32 vcc, 0, v15
	v_cndmask_b32_e32 v11, v11, v12, vcc
	v_cndmask_b32_e32 v12, v16, v20, vcc
	v_mov_b32_e32 v15, 0x3b800000
	v_lshlrev_b32_e32 v11, 20, v11
	v_lshl_add_u32 v12, v12, 23, v15
	v_or3_b32 v11, v14, v12, v11
.LBB9_864:
	s_or_b64 exec, exec, s[6:7]
	s_nop 0
	v_mfma_f32_16x16x4f32 a[0:3], v10, v11, a[0:3]
	s_movk_i32 s4, 0x7f
	v_cmp_gt_i16_sdwa s[6:7], v17, s4 src0_sel:BYTE_0 src1_sel:DWORD
	s_mov_b64 s[4:5], 0
                                        ; implicit-def: $sgpr10
	s_and_saveexec_b64 s[8:9], s[6:7]
	s_xor_b64 s[6:7], exec, s[8:9]
	s_cbranch_execnz .LBB9_2913
; %bb.865:
	s_or_saveexec_b64 s[6:7], s[6:7]
	v_mov_b32_e32 v10, s10
	s_xor_b64 exec, exec, s[6:7]
	s_cbranch_execnz .LBB9_2916
.LBB9_866:
	s_or_b64 exec, exec, s[6:7]
	s_and_saveexec_b64 s[6:7], s[4:5]
	s_cbranch_execz .LBB9_868
.LBB9_867:
	v_and_b32_e32 v10, 7, v17
	v_ffbh_u32_e32 v12, v10
	v_min_u32_e32 v12, 32, v12
	v_lshrrev_b16_e32 v11, 3, v17
	v_subrev_u32_e32 v14, 28, v12
	v_and_b32_e32 v11, 15, v11
	v_lshlrev_b32_e32 v14, v14, v17
	v_sub_u32_e32 v12, 29, v12
	v_and_b32_e32 v14, 7, v14
	v_cmp_eq_u16_e32 vcc, 0, v11
	v_cndmask_b32_e32 v10, v10, v14, vcc
	v_cndmask_b32_e32 v11, v11, v12, vcc
	v_lshlrev_b32_e32 v12, 24, v17
	v_mov_b32_e32 v14, 0x3b800000
	v_lshlrev_b32_e32 v10, 20, v10
	v_and_b32_e32 v12, 0x80000000, v12
	v_lshl_add_u32 v11, v11, 23, v14
	v_or3_b32 v10, v12, v11, v10
.LBB9_868:
	s_or_b64 exec, exec, s[6:7]
	s_movk_i32 s4, 0x7f
	v_cmp_gt_i16_sdwa s[6:7], v13, s4 src0_sel:BYTE_0 src1_sel:DWORD
	s_mov_b64 s[4:5], 0
                                        ; implicit-def: $sgpr10
	s_and_saveexec_b64 s[8:9], s[6:7]
	s_xor_b64 s[6:7], exec, s[8:9]
	s_cbranch_execnz .LBB9_2917
; %bb.869:
	s_or_saveexec_b64 s[6:7], s[6:7]
	v_mov_b32_e32 v11, s10
	s_xor_b64 exec, exec, s[6:7]
	s_cbranch_execnz .LBB9_2920
.LBB9_870:
	s_or_b64 exec, exec, s[6:7]
	s_and_saveexec_b64 s[6:7], s[4:5]
	s_cbranch_execz .LBB9_872
.LBB9_871:
	v_and_b32_e32 v11, 7, v13
	v_ffbh_u32_e32 v14, v11
	v_min_u32_e32 v14, 32, v14
	v_lshrrev_b16_e32 v12, 3, v13
	v_subrev_u32_e32 v15, 28, v14
	v_and_b32_e32 v12, 15, v12
	v_lshlrev_b32_e32 v15, v15, v13
	v_sub_u32_e32 v14, 29, v14
	v_and_b32_e32 v15, 7, v15
	v_cmp_eq_u16_e32 vcc, 0, v12
	v_cndmask_b32_e32 v11, v11, v15, vcc
	v_cndmask_b32_e32 v12, v12, v14, vcc
	v_lshlrev_b32_e32 v14, 24, v13
	v_mov_b32_e32 v15, 0x3b800000
	v_lshlrev_b32_e32 v11, 20, v11
	v_and_b32_e32 v14, 0x80000000, v14
	v_lshl_add_u32 v12, v12, 23, v15
	v_or3_b32 v11, v14, v12, v11
.LBB9_872:
	s_or_b64 exec, exec, s[6:7]
	s_nop 0
	v_mfma_f32_16x16x4f32 a[0:3], v10, v11, a[0:3]
	v_lshrrev_b32_e32 v11, 8, v17
	s_movk_i32 s4, 0x7f
	v_cmp_gt_i16_sdwa s[6:7], v11, s4 src0_sel:BYTE_0 src1_sel:DWORD
	s_mov_b64 s[4:5], 0
                                        ; implicit-def: $sgpr10
	s_and_saveexec_b64 s[8:9], s[6:7]
	s_xor_b64 s[6:7], exec, s[8:9]
	s_cbranch_execnz .LBB9_2921
; %bb.873:
	s_or_saveexec_b64 s[6:7], s[6:7]
	v_mov_b32_e32 v10, s10
	s_xor_b64 exec, exec, s[6:7]
	s_cbranch_execnz .LBB9_2924
.LBB9_874:
	s_or_b64 exec, exec, s[6:7]
	s_and_saveexec_b64 s[6:7], s[4:5]
	s_cbranch_execz .LBB9_876
.LBB9_875:
	v_bfe_u32 v10, v17, 8, 3
	v_ffbh_u32_e32 v14, v10
	v_min_u32_e32 v14, 32, v14
	v_lshrrev_b16_e32 v12, 3, v11
	v_subrev_u32_e32 v15, 28, v14
	v_and_b32_e32 v12, 15, v12
	v_lshlrev_b32_e32 v11, v15, v11
	v_sub_u32_e32 v14, 29, v14
	v_and_b32_e32 v11, 7, v11
	v_cmp_eq_u16_e32 vcc, 0, v12
	v_cndmask_b32_e32 v10, v10, v11, vcc
	v_cndmask_b32_e32 v11, v12, v14, vcc
	v_lshlrev_b32_e32 v12, 16, v17
	v_mov_b32_e32 v14, 0x3b800000
	v_lshlrev_b32_e32 v10, 20, v10
	v_and_b32_e32 v12, 0x80000000, v12
	v_lshl_add_u32 v11, v11, 23, v14
	v_or3_b32 v10, v12, v11, v10
.LBB9_876:
	s_or_b64 exec, exec, s[6:7]
	v_lshrrev_b32_e32 v11, 8, v13
	s_movk_i32 s4, 0x7f
	v_cmp_gt_i16_sdwa s[6:7], v11, s4 src0_sel:BYTE_0 src1_sel:DWORD
	s_mov_b64 s[4:5], 0
                                        ; implicit-def: $sgpr10
	s_and_saveexec_b64 s[8:9], s[6:7]
	s_xor_b64 s[6:7], exec, s[8:9]
	s_cbranch_execnz .LBB9_2925
; %bb.877:
	s_or_saveexec_b64 s[6:7], s[6:7]
	v_mov_b32_e32 v12, s10
	s_xor_b64 exec, exec, s[6:7]
	s_cbranch_execnz .LBB9_2928
.LBB9_878:
	s_or_b64 exec, exec, s[6:7]
	s_and_saveexec_b64 s[6:7], s[4:5]
	s_cbranch_execz .LBB9_880
.LBB9_879:
	v_bfe_u32 v12, v13, 8, 3
	v_ffbh_u32_e32 v15, v12
	v_min_u32_e32 v15, 32, v15
	v_lshrrev_b16_e32 v14, 3, v11
	v_subrev_u32_e32 v16, 28, v15
	v_and_b32_e32 v14, 15, v14
	v_lshlrev_b32_e32 v11, v16, v11
	v_sub_u32_e32 v15, 29, v15
	v_and_b32_e32 v11, 7, v11
	v_cmp_eq_u16_e32 vcc, 0, v14
	v_cndmask_b32_e32 v11, v12, v11, vcc
	v_cndmask_b32_e32 v12, v14, v15, vcc
	v_lshlrev_b32_e32 v14, 16, v13
	v_mov_b32_e32 v15, 0x3b800000
	v_lshlrev_b32_e32 v11, 20, v11
	v_and_b32_e32 v14, 0x80000000, v14
	v_lshl_add_u32 v12, v12, 23, v15
	v_or3_b32 v12, v14, v12, v11
.LBB9_880:
	s_or_b64 exec, exec, s[6:7]
	s_nop 0
	v_mfma_f32_16x16x4f32 a[0:3], v10, v12, a[0:3]
	s_movk_i32 s4, 0xff
	v_and_b32_sdwa v11, v17, s4 dst_sel:DWORD dst_unused:UNUSED_PAD src0_sel:WORD_1 src1_sel:DWORD
	s_movk_i32 s4, 0x7f
	v_cmp_lt_i16_e32 vcc, s4, v11
	s_mov_b64 s[4:5], 0
                                        ; implicit-def: $sgpr10
	s_and_saveexec_b64 s[6:7], vcc
	s_xor_b64 s[6:7], exec, s[6:7]
	s_cbranch_execnz .LBB9_2929
; %bb.881:
	s_or_saveexec_b64 s[6:7], s[6:7]
	v_mov_b32_e32 v10, s10
	s_xor_b64 exec, exec, s[6:7]
	s_cbranch_execnz .LBB9_2932
.LBB9_882:
	s_or_b64 exec, exec, s[6:7]
	s_and_saveexec_b64 s[6:7], s[4:5]
	s_cbranch_execz .LBB9_884
.LBB9_883:
	v_bfe_u32 v10, v17, 16, 3
	v_ffbh_u32_e32 v14, v10
	v_min_u32_e32 v14, 32, v14
	v_lshrrev_b32_e32 v11, 19, v17
	v_subrev_u32_e32 v15, 28, v14
	v_and_b32_e32 v11, 15, v11
	v_lshlrev_b32_sdwa v15, v15, v17 dst_sel:DWORD dst_unused:UNUSED_PAD src0_sel:DWORD src1_sel:WORD_1
	v_bfe_u32 v12, v17, 19, 4
	v_sub_u32_e32 v14, 29, v14
	v_and_b32_e32 v15, 7, v15
	v_cmp_eq_u16_e32 vcc, 0, v11
	v_cndmask_b32_e32 v10, v10, v15, vcc
	v_cndmask_b32_e32 v11, v12, v14, vcc
	v_lshlrev_b32_e32 v12, 8, v17
	v_mov_b32_e32 v14, 0x3b800000
	v_lshlrev_b32_e32 v10, 20, v10
	v_and_b32_e32 v12, 0x80000000, v12
	v_lshl_add_u32 v11, v11, 23, v14
	v_or3_b32 v10, v12, v11, v10
.LBB9_884:
	s_or_b64 exec, exec, s[6:7]
	s_movk_i32 s4, 0xff
	v_and_b32_sdwa v11, v13, s4 dst_sel:DWORD dst_unused:UNUSED_PAD src0_sel:WORD_1 src1_sel:DWORD
	s_movk_i32 s4, 0x7f
	v_cmp_lt_i16_e32 vcc, s4, v11
	s_mov_b64 s[4:5], 0
                                        ; implicit-def: $sgpr10
	s_and_saveexec_b64 s[6:7], vcc
	s_xor_b64 s[6:7], exec, s[6:7]
	s_cbranch_execnz .LBB9_2933
; %bb.885:
	s_or_saveexec_b64 s[6:7], s[6:7]
	v_mov_b32_e32 v12, s10
	s_xor_b64 exec, exec, s[6:7]
	s_cbranch_execnz .LBB9_2936
.LBB9_886:
	s_or_b64 exec, exec, s[6:7]
	s_and_saveexec_b64 s[6:7], s[4:5]
	s_cbranch_execz .LBB9_888
.LBB9_887:
	v_bfe_u32 v11, v13, 16, 3
	v_ffbh_u32_e32 v15, v11
	v_min_u32_e32 v15, 32, v15
	v_lshrrev_b32_e32 v12, 19, v13
	v_subrev_u32_e32 v16, 28, v15
	v_and_b32_e32 v12, 15, v12
	v_lshlrev_b32_sdwa v16, v16, v13 dst_sel:DWORD dst_unused:UNUSED_PAD src0_sel:DWORD src1_sel:WORD_1
	v_bfe_u32 v14, v13, 19, 4
	v_sub_u32_e32 v15, 29, v15
	v_and_b32_e32 v16, 7, v16
	v_cmp_eq_u16_e32 vcc, 0, v12
	v_cndmask_b32_e32 v11, v11, v16, vcc
	v_cndmask_b32_e32 v12, v14, v15, vcc
	v_lshlrev_b32_e32 v14, 8, v13
	v_mov_b32_e32 v15, 0x3b800000
	v_lshlrev_b32_e32 v11, 20, v11
	v_and_b32_e32 v14, 0x80000000, v14
	v_lshl_add_u32 v12, v12, 23, v15
	v_or3_b32 v12, v14, v12, v11
.LBB9_888:
	s_or_b64 exec, exec, s[6:7]
	s_nop 0
	v_mfma_f32_16x16x4f32 a[0:3], v10, v12, a[0:3]
	s_movk_i32 s4, 0x7f
	v_cmp_gt_i16_sdwa s[6:7], v17, s4 src0_sel:BYTE_3 src1_sel:DWORD
	s_mov_b64 s[4:5], 0
                                        ; implicit-def: $sgpr10
	s_and_saveexec_b64 s[8:9], s[6:7]
	s_xor_b64 s[6:7], exec, s[8:9]
	s_cbranch_execnz .LBB9_2937
; %bb.889:
	s_or_saveexec_b64 s[6:7], s[6:7]
	v_mov_b32_e32 v10, s10
	s_xor_b64 exec, exec, s[6:7]
	s_cbranch_execnz .LBB9_2940
.LBB9_890:
	s_or_b64 exec, exec, s[6:7]
	s_and_saveexec_b64 s[6:7], s[4:5]
	s_cbranch_execz .LBB9_892
.LBB9_891:
	v_bfe_u32 v10, v17, 24, 3
	v_ffbh_u32_e32 v15, v10
	v_min_u32_e32 v15, 32, v15
	v_lshrrev_b32_e32 v12, 27, v17
	v_subrev_u32_e32 v16, 28, v15
	v_and_b32_e32 v12, 15, v12
	v_lshlrev_b32_sdwa v16, v16, v17 dst_sel:DWORD dst_unused:UNUSED_PAD src0_sel:DWORD src1_sel:BYTE_3
	v_bfe_u32 v14, v17, 27, 4
	v_sub_u32_e32 v15, 29, v15
	v_and_b32_e32 v16, 7, v16
	v_cmp_eq_u16_e32 vcc, 0, v12
	v_cndmask_b32_e32 v10, v10, v16, vcc
	v_cndmask_b32_e32 v12, v14, v15, vcc
	v_mov_b32_e32 v14, 0x3b800000
	v_and_b32_e32 v11, 0x80000000, v17
	v_lshlrev_b32_e32 v10, 20, v10
	v_lshl_add_u32 v12, v12, 23, v14
	v_or3_b32 v10, v11, v12, v10
.LBB9_892:
	s_or_b64 exec, exec, s[6:7]
	s_movk_i32 s4, 0x7f
	v_cmp_gt_i16_sdwa s[6:7], v13, s4 src0_sel:BYTE_3 src1_sel:DWORD
	s_mov_b64 s[4:5], 0
                                        ; implicit-def: $sgpr10
	s_and_saveexec_b64 s[8:9], s[6:7]
	s_xor_b64 s[6:7], exec, s[8:9]
	s_cbranch_execnz .LBB9_2941
; %bb.893:
	s_or_saveexec_b64 s[6:7], s[6:7]
	v_mov_b32_e32 v11, s10
	s_xor_b64 exec, exec, s[6:7]
	s_cbranch_execnz .LBB9_2944
.LBB9_894:
	s_or_b64 exec, exec, s[6:7]
	s_and_saveexec_b64 s[6:7], s[4:5]
	s_cbranch_execz .LBB9_896
.LBB9_895:
	v_bfe_u32 v11, v13, 24, 3
	v_ffbh_u32_e32 v16, v11
	v_min_u32_e32 v16, 32, v16
	v_lshrrev_b32_e32 v14, 27, v13
	v_subrev_u32_e32 v17, 28, v16
	v_and_b32_e32 v12, 0x80000000, v13
	v_and_b32_e32 v14, 15, v14
	v_bfe_u32 v15, v13, 27, 4
	v_lshlrev_b32_sdwa v13, v17, v13 dst_sel:DWORD dst_unused:UNUSED_PAD src0_sel:DWORD src1_sel:BYTE_3
	v_sub_u32_e32 v16, 29, v16
	v_and_b32_e32 v13, 7, v13
	v_cmp_eq_u16_e32 vcc, 0, v14
	v_cndmask_b32_e32 v11, v11, v13, vcc
	v_cndmask_b32_e32 v13, v15, v16, vcc
	v_mov_b32_e32 v14, 0x3b800000
	v_lshlrev_b32_e32 v11, 20, v11
	v_lshl_add_u32 v13, v13, 23, v14
	v_or3_b32 v11, v12, v13, v11
.LBB9_896:
	s_or_b64 exec, exec, s[6:7]
	s_nop 0
	v_mfma_f32_16x16x4f32 a[0:3], v10, v11, a[0:3]
	s_movk_i32 s4, 0x7f
	v_cmp_gt_i16_sdwa s[6:7], v6, s4 src0_sel:BYTE_0 src1_sel:DWORD
	s_mov_b64 s[4:5], 0
                                        ; implicit-def: $sgpr10
	s_and_saveexec_b64 s[8:9], s[6:7]
	s_xor_b64 s[6:7], exec, s[8:9]
	s_cbranch_execnz .LBB9_2945
; %bb.897:
	s_or_saveexec_b64 s[6:7], s[6:7]
	v_mov_b32_e32 v10, s10
	s_xor_b64 exec, exec, s[6:7]
	s_cbranch_execnz .LBB9_2948
.LBB9_898:
	s_or_b64 exec, exec, s[6:7]
	s_and_saveexec_b64 s[6:7], s[4:5]
	s_cbranch_execz .LBB9_900
.LBB9_899:
	v_and_b32_e32 v10, 7, v6
	v_ffbh_u32_e32 v12, v10
	v_min_u32_e32 v12, 32, v12
	v_lshrrev_b16_e32 v11, 3, v6
	v_subrev_u32_e32 v13, 28, v12
	v_and_b32_e32 v11, 15, v11
	v_lshlrev_b32_e32 v13, v13, v6
	v_sub_u32_e32 v12, 29, v12
	v_and_b32_e32 v13, 7, v13
	v_cmp_eq_u16_e32 vcc, 0, v11
	v_cndmask_b32_e32 v10, v10, v13, vcc
	v_cndmask_b32_e32 v11, v11, v12, vcc
	v_lshlrev_b32_e32 v12, 24, v6
	v_mov_b32_e32 v13, 0x3b800000
	v_lshlrev_b32_e32 v10, 20, v10
	v_and_b32_e32 v12, 0x80000000, v12
	v_lshl_add_u32 v11, v11, 23, v13
	v_or3_b32 v10, v12, v11, v10
.LBB9_900:
	s_or_b64 exec, exec, s[6:7]
	s_movk_i32 s4, 0x7f
	v_cmp_gt_i16_sdwa s[6:7], v2, s4 src0_sel:BYTE_0 src1_sel:DWORD
	s_mov_b64 s[4:5], 0
                                        ; implicit-def: $sgpr10
	s_and_saveexec_b64 s[8:9], s[6:7]
	s_xor_b64 s[6:7], exec, s[8:9]
	s_cbranch_execnz .LBB9_2949
; %bb.901:
	s_or_saveexec_b64 s[6:7], s[6:7]
	v_mov_b32_e32 v11, s10
	s_xor_b64 exec, exec, s[6:7]
	s_cbranch_execnz .LBB9_2952
.LBB9_902:
	s_or_b64 exec, exec, s[6:7]
	s_and_saveexec_b64 s[6:7], s[4:5]
	s_cbranch_execz .LBB9_904
.LBB9_903:
	v_and_b32_e32 v11, 7, v2
	v_ffbh_u32_e32 v13, v11
	v_min_u32_e32 v13, 32, v13
	v_lshrrev_b16_e32 v12, 3, v2
	v_subrev_u32_e32 v14, 28, v13
	v_and_b32_e32 v12, 15, v12
	v_lshlrev_b32_e32 v14, v14, v2
	v_sub_u32_e32 v13, 29, v13
	v_and_b32_e32 v14, 7, v14
	v_cmp_eq_u16_e32 vcc, 0, v12
	v_cndmask_b32_e32 v11, v11, v14, vcc
	v_cndmask_b32_e32 v12, v12, v13, vcc
	v_lshlrev_b32_e32 v13, 24, v2
	v_mov_b32_e32 v14, 0x3b800000
	v_lshlrev_b32_e32 v11, 20, v11
	v_and_b32_e32 v13, 0x80000000, v13
	v_lshl_add_u32 v12, v12, 23, v14
	v_or3_b32 v11, v13, v12, v11
.LBB9_904:
	s_or_b64 exec, exec, s[6:7]
	s_nop 0
	v_mfma_f32_16x16x4f32 a[0:3], v10, v11, a[0:3]
	v_lshrrev_b32_e32 v11, 8, v6
	s_movk_i32 s4, 0x7f
	v_cmp_gt_i16_sdwa s[6:7], v11, s4 src0_sel:BYTE_0 src1_sel:DWORD
	s_mov_b64 s[4:5], 0
                                        ; implicit-def: $sgpr10
	s_and_saveexec_b64 s[8:9], s[6:7]
	s_xor_b64 s[6:7], exec, s[8:9]
	s_cbranch_execnz .LBB9_2953
; %bb.905:
	s_or_saveexec_b64 s[6:7], s[6:7]
	v_mov_b32_e32 v10, s10
	s_xor_b64 exec, exec, s[6:7]
	s_cbranch_execnz .LBB9_2956
.LBB9_906:
	s_or_b64 exec, exec, s[6:7]
	s_and_saveexec_b64 s[6:7], s[4:5]
	s_cbranch_execz .LBB9_908
.LBB9_907:
	v_bfe_u32 v10, v6, 8, 3
	v_ffbh_u32_e32 v13, v10
	v_min_u32_e32 v13, 32, v13
	v_lshrrev_b16_e32 v12, 3, v11
	v_subrev_u32_e32 v14, 28, v13
	v_and_b32_e32 v12, 15, v12
	v_lshlrev_b32_e32 v11, v14, v11
	v_sub_u32_e32 v13, 29, v13
	v_and_b32_e32 v11, 7, v11
	v_cmp_eq_u16_e32 vcc, 0, v12
	v_cndmask_b32_e32 v10, v10, v11, vcc
	v_cndmask_b32_e32 v11, v12, v13, vcc
	v_lshlrev_b32_e32 v12, 16, v6
	v_mov_b32_e32 v13, 0x3b800000
	v_lshlrev_b32_e32 v10, 20, v10
	v_and_b32_e32 v12, 0x80000000, v12
	v_lshl_add_u32 v11, v11, 23, v13
	v_or3_b32 v10, v12, v11, v10
.LBB9_908:
	s_or_b64 exec, exec, s[6:7]
	v_lshrrev_b32_e32 v11, 8, v2
	s_movk_i32 s4, 0x7f
	v_cmp_gt_i16_sdwa s[6:7], v11, s4 src0_sel:BYTE_0 src1_sel:DWORD
	s_mov_b64 s[4:5], 0
                                        ; implicit-def: $sgpr10
	s_and_saveexec_b64 s[8:9], s[6:7]
	s_xor_b64 s[6:7], exec, s[8:9]
	s_cbranch_execnz .LBB9_2957
; %bb.909:
	s_or_saveexec_b64 s[6:7], s[6:7]
	v_mov_b32_e32 v12, s10
	s_xor_b64 exec, exec, s[6:7]
	s_cbranch_execnz .LBB9_2960
.LBB9_910:
	s_or_b64 exec, exec, s[6:7]
	s_and_saveexec_b64 s[6:7], s[4:5]
	s_cbranch_execz .LBB9_912
.LBB9_911:
	v_bfe_u32 v12, v2, 8, 3
	v_ffbh_u32_e32 v14, v12
	v_min_u32_e32 v14, 32, v14
	v_lshrrev_b16_e32 v13, 3, v11
	v_subrev_u32_e32 v15, 28, v14
	v_and_b32_e32 v13, 15, v13
	v_lshlrev_b32_e32 v11, v15, v11
	v_sub_u32_e32 v14, 29, v14
	v_and_b32_e32 v11, 7, v11
	v_cmp_eq_u16_e32 vcc, 0, v13
	v_cndmask_b32_e32 v11, v12, v11, vcc
	v_cndmask_b32_e32 v12, v13, v14, vcc
	v_lshlrev_b32_e32 v13, 16, v2
	v_mov_b32_e32 v14, 0x3b800000
	v_lshlrev_b32_e32 v11, 20, v11
	v_and_b32_e32 v13, 0x80000000, v13
	v_lshl_add_u32 v12, v12, 23, v14
	v_or3_b32 v12, v13, v12, v11
.LBB9_912:
	s_or_b64 exec, exec, s[6:7]
	s_nop 0
	v_mfma_f32_16x16x4f32 a[0:3], v10, v12, a[0:3]
	s_movk_i32 s4, 0xff
	v_and_b32_sdwa v11, v6, s4 dst_sel:DWORD dst_unused:UNUSED_PAD src0_sel:WORD_1 src1_sel:DWORD
	s_movk_i32 s4, 0x7f
	v_cmp_lt_i16_e32 vcc, s4, v11
	s_mov_b64 s[4:5], 0
                                        ; implicit-def: $sgpr10
	s_and_saveexec_b64 s[6:7], vcc
	s_xor_b64 s[6:7], exec, s[6:7]
	s_cbranch_execnz .LBB9_2961
; %bb.913:
	s_or_saveexec_b64 s[6:7], s[6:7]
	v_mov_b32_e32 v10, s10
	s_xor_b64 exec, exec, s[6:7]
	s_cbranch_execnz .LBB9_2964
.LBB9_914:
	s_or_b64 exec, exec, s[6:7]
	s_and_saveexec_b64 s[6:7], s[4:5]
	s_cbranch_execz .LBB9_916
.LBB9_915:
	v_bfe_u32 v10, v6, 16, 3
	v_ffbh_u32_e32 v13, v10
	v_min_u32_e32 v13, 32, v13
	v_lshrrev_b32_e32 v11, 19, v6
	v_subrev_u32_e32 v14, 28, v13
	v_and_b32_e32 v11, 15, v11
	v_lshlrev_b32_sdwa v14, v14, v6 dst_sel:DWORD dst_unused:UNUSED_PAD src0_sel:DWORD src1_sel:WORD_1
	v_bfe_u32 v12, v6, 19, 4
	v_sub_u32_e32 v13, 29, v13
	v_and_b32_e32 v14, 7, v14
	v_cmp_eq_u16_e32 vcc, 0, v11
	v_cndmask_b32_e32 v10, v10, v14, vcc
	v_cndmask_b32_e32 v11, v12, v13, vcc
	v_lshlrev_b32_e32 v12, 8, v6
	v_mov_b32_e32 v13, 0x3b800000
	v_lshlrev_b32_e32 v10, 20, v10
	v_and_b32_e32 v12, 0x80000000, v12
	v_lshl_add_u32 v11, v11, 23, v13
	v_or3_b32 v10, v12, v11, v10
.LBB9_916:
	s_or_b64 exec, exec, s[6:7]
	s_movk_i32 s4, 0xff
	v_and_b32_sdwa v11, v2, s4 dst_sel:DWORD dst_unused:UNUSED_PAD src0_sel:WORD_1 src1_sel:DWORD
	s_movk_i32 s4, 0x7f
	v_cmp_lt_i16_e32 vcc, s4, v11
	s_mov_b64 s[4:5], 0
                                        ; implicit-def: $sgpr10
	s_and_saveexec_b64 s[6:7], vcc
	s_xor_b64 s[6:7], exec, s[6:7]
	s_cbranch_execnz .LBB9_2965
; %bb.917:
	s_or_saveexec_b64 s[6:7], s[6:7]
	v_mov_b32_e32 v12, s10
	s_xor_b64 exec, exec, s[6:7]
	s_cbranch_execnz .LBB9_2968
.LBB9_918:
	s_or_b64 exec, exec, s[6:7]
	s_and_saveexec_b64 s[6:7], s[4:5]
	s_cbranch_execz .LBB9_920
.LBB9_919:
	v_bfe_u32 v11, v2, 16, 3
	v_ffbh_u32_e32 v14, v11
	v_min_u32_e32 v14, 32, v14
	v_lshrrev_b32_e32 v12, 19, v2
	v_subrev_u32_e32 v15, 28, v14
	v_and_b32_e32 v12, 15, v12
	v_lshlrev_b32_sdwa v15, v15, v2 dst_sel:DWORD dst_unused:UNUSED_PAD src0_sel:DWORD src1_sel:WORD_1
	v_bfe_u32 v13, v2, 19, 4
	v_sub_u32_e32 v14, 29, v14
	v_and_b32_e32 v15, 7, v15
	v_cmp_eq_u16_e32 vcc, 0, v12
	v_cndmask_b32_e32 v11, v11, v15, vcc
	v_cndmask_b32_e32 v12, v13, v14, vcc
	v_lshlrev_b32_e32 v13, 8, v2
	v_mov_b32_e32 v14, 0x3b800000
	v_lshlrev_b32_e32 v11, 20, v11
	v_and_b32_e32 v13, 0x80000000, v13
	v_lshl_add_u32 v12, v12, 23, v14
	v_or3_b32 v12, v13, v12, v11
.LBB9_920:
	s_or_b64 exec, exec, s[6:7]
	s_nop 0
	v_mfma_f32_16x16x4f32 a[0:3], v10, v12, a[0:3]
	s_movk_i32 s4, 0x7f
	v_cmp_gt_i16_sdwa s[6:7], v6, s4 src0_sel:BYTE_3 src1_sel:DWORD
	s_mov_b64 s[4:5], 0
                                        ; implicit-def: $sgpr10
	s_and_saveexec_b64 s[8:9], s[6:7]
	s_xor_b64 s[6:7], exec, s[8:9]
	s_cbranch_execnz .LBB9_2969
; %bb.921:
	s_or_saveexec_b64 s[6:7], s[6:7]
	v_mov_b32_e32 v10, s10
	s_xor_b64 exec, exec, s[6:7]
	s_cbranch_execnz .LBB9_2972
.LBB9_922:
	s_or_b64 exec, exec, s[6:7]
	s_and_saveexec_b64 s[6:7], s[4:5]
	s_cbranch_execz .LBB9_924
.LBB9_923:
	v_bfe_u32 v10, v6, 24, 3
	v_ffbh_u32_e32 v14, v10
	v_min_u32_e32 v14, 32, v14
	v_lshrrev_b32_e32 v12, 27, v6
	v_subrev_u32_e32 v15, 28, v14
	v_and_b32_e32 v11, 0x80000000, v6
	v_and_b32_e32 v12, 15, v12
	v_bfe_u32 v13, v6, 27, 4
	v_lshlrev_b32_sdwa v6, v15, v6 dst_sel:DWORD dst_unused:UNUSED_PAD src0_sel:DWORD src1_sel:BYTE_3
	v_sub_u32_e32 v14, 29, v14
	v_and_b32_e32 v6, 7, v6
	v_cmp_eq_u16_e32 vcc, 0, v12
	v_cndmask_b32_e32 v6, v10, v6, vcc
	v_cndmask_b32_e32 v10, v13, v14, vcc
	v_mov_b32_e32 v12, 0x3b800000
	v_lshlrev_b32_e32 v6, 20, v6
	v_lshl_add_u32 v10, v10, 23, v12
	v_or3_b32 v10, v11, v10, v6
.LBB9_924:
	s_or_b64 exec, exec, s[6:7]
	s_movk_i32 s4, 0x7f
	v_cmp_gt_i16_sdwa s[6:7], v2, s4 src0_sel:BYTE_3 src1_sel:DWORD
	s_mov_b64 s[4:5], 0
                                        ; implicit-def: $sgpr10
	s_and_saveexec_b64 s[8:9], s[6:7]
	s_xor_b64 s[6:7], exec, s[8:9]
	s_cbranch_execnz .LBB9_2973
; %bb.925:
	s_or_saveexec_b64 s[6:7], s[6:7]
	v_mov_b32_e32 v6, s10
	s_xor_b64 exec, exec, s[6:7]
	s_cbranch_execnz .LBB9_2976
.LBB9_926:
	s_or_b64 exec, exec, s[6:7]
	s_and_saveexec_b64 s[6:7], s[4:5]
	s_cbranch_execz .LBB9_928
.LBB9_927:
	v_bfe_u32 v6, v2, 24, 3
	v_ffbh_u32_e32 v14, v6
	v_min_u32_e32 v14, 32, v14
	v_lshrrev_b32_e32 v12, 27, v2
	v_subrev_u32_e32 v15, 28, v14
	v_and_b32_e32 v11, 0x80000000, v2
	v_and_b32_e32 v12, 15, v12
	v_bfe_u32 v13, v2, 27, 4
	v_lshlrev_b32_sdwa v2, v15, v2 dst_sel:DWORD dst_unused:UNUSED_PAD src0_sel:DWORD src1_sel:BYTE_3
	v_sub_u32_e32 v14, 29, v14
	v_and_b32_e32 v2, 7, v2
	v_cmp_eq_u16_e32 vcc, 0, v12
	v_cndmask_b32_e32 v2, v6, v2, vcc
	v_cndmask_b32_e32 v6, v13, v14, vcc
	v_mov_b32_e32 v12, 0x3b800000
	v_lshlrev_b32_e32 v2, 20, v2
	v_lshl_add_u32 v6, v6, 23, v12
	v_or3_b32 v6, v11, v6, v2
.LBB9_928:
	s_or_b64 exec, exec, s[6:7]
	s_nop 0
	v_mfma_f32_16x16x4f32 a[0:3], v10, v6, a[0:3]
	s_movk_i32 s4, 0x7f
	v_cmp_gt_i16_sdwa s[6:7], v7, s4 src0_sel:BYTE_0 src1_sel:DWORD
	s_mov_b64 s[4:5], 0
                                        ; implicit-def: $sgpr10
	s_and_saveexec_b64 s[8:9], s[6:7]
	s_xor_b64 s[6:7], exec, s[8:9]
	s_cbranch_execnz .LBB9_2977
; %bb.929:
	s_or_saveexec_b64 s[6:7], s[6:7]
	v_mov_b32_e32 v2, s10
	s_xor_b64 exec, exec, s[6:7]
	s_cbranch_execnz .LBB9_2980
.LBB9_930:
	s_or_b64 exec, exec, s[6:7]
	s_and_saveexec_b64 s[6:7], s[4:5]
	s_cbranch_execz .LBB9_932
.LBB9_931:
	v_and_b32_e32 v2, 7, v7
	v_ffbh_u32_e32 v10, v2
	v_min_u32_e32 v10, 32, v10
	v_lshrrev_b16_e32 v6, 3, v7
	v_subrev_u32_e32 v11, 28, v10
	v_and_b32_e32 v6, 15, v6
	v_lshlrev_b32_e32 v11, v11, v7
	v_sub_u32_e32 v10, 29, v10
	v_and_b32_e32 v11, 7, v11
	v_cmp_eq_u16_e32 vcc, 0, v6
	v_cndmask_b32_e32 v2, v2, v11, vcc
	v_cndmask_b32_e32 v6, v6, v10, vcc
	v_lshlrev_b32_e32 v10, 24, v7
	v_mov_b32_e32 v11, 0x3b800000
	v_lshlrev_b32_e32 v2, 20, v2
	v_and_b32_e32 v10, 0x80000000, v10
	v_lshl_add_u32 v6, v6, 23, v11
	v_or3_b32 v2, v10, v6, v2
.LBB9_932:
	s_or_b64 exec, exec, s[6:7]
	s_movk_i32 s4, 0x7f
	v_cmp_gt_i16_sdwa s[6:7], v3, s4 src0_sel:BYTE_0 src1_sel:DWORD
	s_mov_b64 s[4:5], 0
                                        ; implicit-def: $sgpr10
	s_and_saveexec_b64 s[8:9], s[6:7]
	s_xor_b64 s[6:7], exec, s[8:9]
	s_cbranch_execnz .LBB9_2981
; %bb.933:
	s_or_saveexec_b64 s[6:7], s[6:7]
	v_mov_b32_e32 v6, s10
	s_xor_b64 exec, exec, s[6:7]
	s_cbranch_execnz .LBB9_2984
.LBB9_934:
	s_or_b64 exec, exec, s[6:7]
	s_and_saveexec_b64 s[6:7], s[4:5]
	s_cbranch_execz .LBB9_936
.LBB9_935:
	v_and_b32_e32 v6, 7, v3
	v_ffbh_u32_e32 v11, v6
	v_min_u32_e32 v11, 32, v11
	v_lshrrev_b16_e32 v10, 3, v3
	v_subrev_u32_e32 v12, 28, v11
	v_and_b32_e32 v10, 15, v10
	v_lshlrev_b32_e32 v12, v12, v3
	v_sub_u32_e32 v11, 29, v11
	v_and_b32_e32 v12, 7, v12
	v_cmp_eq_u16_e32 vcc, 0, v10
	v_cndmask_b32_e32 v6, v6, v12, vcc
	v_cndmask_b32_e32 v10, v10, v11, vcc
	v_lshlrev_b32_e32 v11, 24, v3
	v_mov_b32_e32 v12, 0x3b800000
	v_lshlrev_b32_e32 v6, 20, v6
	v_and_b32_e32 v11, 0x80000000, v11
	v_lshl_add_u32 v10, v10, 23, v12
	v_or3_b32 v6, v11, v10, v6
.LBB9_936:
	s_or_b64 exec, exec, s[6:7]
	s_nop 0
	v_mfma_f32_16x16x4f32 a[0:3], v2, v6, a[0:3]
	v_lshrrev_b32_e32 v6, 8, v7
	s_movk_i32 s4, 0x7f
	v_cmp_gt_i16_sdwa s[6:7], v6, s4 src0_sel:BYTE_0 src1_sel:DWORD
	s_mov_b64 s[4:5], 0
                                        ; implicit-def: $sgpr10
	s_and_saveexec_b64 s[8:9], s[6:7]
	s_xor_b64 s[6:7], exec, s[8:9]
	s_cbranch_execnz .LBB9_2985
; %bb.937:
	s_or_saveexec_b64 s[6:7], s[6:7]
	v_mov_b32_e32 v2, s10
	s_xor_b64 exec, exec, s[6:7]
	s_cbranch_execnz .LBB9_2988
.LBB9_938:
	s_or_b64 exec, exec, s[6:7]
	s_and_saveexec_b64 s[6:7], s[4:5]
	s_cbranch_execz .LBB9_940
.LBB9_939:
	v_bfe_u32 v2, v7, 8, 3
	v_ffbh_u32_e32 v11, v2
	v_min_u32_e32 v11, 32, v11
	v_lshrrev_b16_e32 v10, 3, v6
	v_subrev_u32_e32 v12, 28, v11
	v_and_b32_e32 v10, 15, v10
	v_lshlrev_b32_e32 v6, v12, v6
	v_sub_u32_e32 v11, 29, v11
	v_and_b32_e32 v6, 7, v6
	v_cmp_eq_u16_e32 vcc, 0, v10
	v_cndmask_b32_e32 v2, v2, v6, vcc
	v_cndmask_b32_e32 v6, v10, v11, vcc
	v_lshlrev_b32_e32 v10, 16, v7
	v_mov_b32_e32 v11, 0x3b800000
	v_lshlrev_b32_e32 v2, 20, v2
	v_and_b32_e32 v10, 0x80000000, v10
	v_lshl_add_u32 v6, v6, 23, v11
	v_or3_b32 v2, v10, v6, v2
.LBB9_940:
	s_or_b64 exec, exec, s[6:7]
	v_lshrrev_b32_e32 v6, 8, v3
	s_movk_i32 s4, 0x7f
	v_cmp_gt_i16_sdwa s[6:7], v6, s4 src0_sel:BYTE_0 src1_sel:DWORD
	s_mov_b64 s[4:5], 0
                                        ; implicit-def: $sgpr10
	s_and_saveexec_b64 s[8:9], s[6:7]
	s_xor_b64 s[6:7], exec, s[8:9]
	s_cbranch_execnz .LBB9_2989
; %bb.941:
	s_or_saveexec_b64 s[6:7], s[6:7]
	v_mov_b32_e32 v10, s10
	s_xor_b64 exec, exec, s[6:7]
	s_cbranch_execnz .LBB9_2992
.LBB9_942:
	s_or_b64 exec, exec, s[6:7]
	s_and_saveexec_b64 s[6:7], s[4:5]
	s_cbranch_execz .LBB9_944
.LBB9_943:
	v_bfe_u32 v10, v3, 8, 3
	v_ffbh_u32_e32 v12, v10
	v_min_u32_e32 v12, 32, v12
	v_lshrrev_b16_e32 v11, 3, v6
	v_subrev_u32_e32 v13, 28, v12
	v_and_b32_e32 v11, 15, v11
	v_lshlrev_b32_e32 v6, v13, v6
	v_sub_u32_e32 v12, 29, v12
	v_and_b32_e32 v6, 7, v6
	v_cmp_eq_u16_e32 vcc, 0, v11
	v_cndmask_b32_e32 v6, v10, v6, vcc
	v_cndmask_b32_e32 v10, v11, v12, vcc
	v_lshlrev_b32_e32 v11, 16, v3
	v_mov_b32_e32 v12, 0x3b800000
	v_lshlrev_b32_e32 v6, 20, v6
	v_and_b32_e32 v11, 0x80000000, v11
	v_lshl_add_u32 v10, v10, 23, v12
	v_or3_b32 v10, v11, v10, v6
.LBB9_944:
	s_or_b64 exec, exec, s[6:7]
	s_nop 0
	v_mfma_f32_16x16x4f32 a[0:3], v2, v10, a[0:3]
	s_movk_i32 s4, 0xff
	v_and_b32_sdwa v6, v7, s4 dst_sel:DWORD dst_unused:UNUSED_PAD src0_sel:WORD_1 src1_sel:DWORD
	s_movk_i32 s4, 0x7f
	v_cmp_lt_i16_e32 vcc, s4, v6
	s_mov_b64 s[4:5], 0
                                        ; implicit-def: $sgpr10
	s_and_saveexec_b64 s[6:7], vcc
	s_xor_b64 s[6:7], exec, s[6:7]
	s_cbranch_execnz .LBB9_2993
; %bb.945:
	s_or_saveexec_b64 s[6:7], s[6:7]
	v_mov_b32_e32 v2, s10
	s_xor_b64 exec, exec, s[6:7]
	s_cbranch_execnz .LBB9_2996
.LBB9_946:
	s_or_b64 exec, exec, s[6:7]
	s_and_saveexec_b64 s[6:7], s[4:5]
	s_cbranch_execz .LBB9_948
.LBB9_947:
	v_bfe_u32 v2, v7, 16, 3
	v_ffbh_u32_e32 v11, v2
	v_min_u32_e32 v11, 32, v11
	v_lshrrev_b32_e32 v6, 19, v7
	v_subrev_u32_e32 v12, 28, v11
	v_and_b32_e32 v6, 15, v6
	v_lshlrev_b32_sdwa v12, v12, v7 dst_sel:DWORD dst_unused:UNUSED_PAD src0_sel:DWORD src1_sel:WORD_1
	v_bfe_u32 v10, v7, 19, 4
	v_sub_u32_e32 v11, 29, v11
	v_and_b32_e32 v12, 7, v12
	v_cmp_eq_u16_e32 vcc, 0, v6
	v_cndmask_b32_e32 v2, v2, v12, vcc
	v_cndmask_b32_e32 v6, v10, v11, vcc
	v_lshlrev_b32_e32 v10, 8, v7
	v_mov_b32_e32 v11, 0x3b800000
	v_lshlrev_b32_e32 v2, 20, v2
	v_and_b32_e32 v10, 0x80000000, v10
	v_lshl_add_u32 v6, v6, 23, v11
	v_or3_b32 v2, v10, v6, v2
.LBB9_948:
	s_or_b64 exec, exec, s[6:7]
	s_movk_i32 s4, 0xff
	v_and_b32_sdwa v6, v3, s4 dst_sel:DWORD dst_unused:UNUSED_PAD src0_sel:WORD_1 src1_sel:DWORD
	s_movk_i32 s4, 0x7f
	v_cmp_lt_i16_e32 vcc, s4, v6
	s_mov_b64 s[4:5], 0
                                        ; implicit-def: $sgpr10
	s_and_saveexec_b64 s[6:7], vcc
	s_xor_b64 s[6:7], exec, s[6:7]
	s_cbranch_execnz .LBB9_2997
; %bb.949:
	s_or_saveexec_b64 s[6:7], s[6:7]
	v_mov_b32_e32 v10, s10
	s_xor_b64 exec, exec, s[6:7]
	s_cbranch_execnz .LBB9_3000
.LBB9_950:
	s_or_b64 exec, exec, s[6:7]
	s_and_saveexec_b64 s[6:7], s[4:5]
	s_cbranch_execz .LBB9_952
.LBB9_951:
	v_bfe_u32 v6, v3, 16, 3
	v_ffbh_u32_e32 v12, v6
	v_min_u32_e32 v12, 32, v12
	v_lshrrev_b32_e32 v10, 19, v3
	v_subrev_u32_e32 v13, 28, v12
	v_and_b32_e32 v10, 15, v10
	v_lshlrev_b32_sdwa v13, v13, v3 dst_sel:DWORD dst_unused:UNUSED_PAD src0_sel:DWORD src1_sel:WORD_1
	v_bfe_u32 v11, v3, 19, 4
	v_sub_u32_e32 v12, 29, v12
	v_and_b32_e32 v13, 7, v13
	v_cmp_eq_u16_e32 vcc, 0, v10
	v_cndmask_b32_e32 v6, v6, v13, vcc
	v_cndmask_b32_e32 v10, v11, v12, vcc
	v_lshlrev_b32_e32 v11, 8, v3
	v_mov_b32_e32 v12, 0x3b800000
	v_lshlrev_b32_e32 v6, 20, v6
	v_and_b32_e32 v11, 0x80000000, v11
	v_lshl_add_u32 v10, v10, 23, v12
	v_or3_b32 v10, v11, v10, v6
.LBB9_952:
	s_or_b64 exec, exec, s[6:7]
	s_nop 0
	v_mfma_f32_16x16x4f32 a[0:3], v2, v10, a[0:3]
	s_movk_i32 s4, 0x7f
	v_cmp_gt_i16_sdwa s[6:7], v7, s4 src0_sel:BYTE_3 src1_sel:DWORD
	s_mov_b64 s[4:5], 0
                                        ; implicit-def: $sgpr10
	s_and_saveexec_b64 s[8:9], s[6:7]
	s_xor_b64 s[6:7], exec, s[8:9]
	s_cbranch_execnz .LBB9_3001
; %bb.953:
	s_or_saveexec_b64 s[6:7], s[6:7]
	v_mov_b32_e32 v2, s10
	s_xor_b64 exec, exec, s[6:7]
	s_cbranch_execnz .LBB9_3004
.LBB9_954:
	s_or_b64 exec, exec, s[6:7]
	s_and_saveexec_b64 s[6:7], s[4:5]
	s_cbranch_execz .LBB9_956
.LBB9_955:
	v_bfe_u32 v2, v7, 24, 3
	v_ffbh_u32_e32 v12, v2
	v_min_u32_e32 v12, 32, v12
	v_lshrrev_b32_e32 v10, 27, v7
	v_subrev_u32_e32 v13, 28, v12
	v_and_b32_e32 v6, 0x80000000, v7
	v_and_b32_e32 v10, 15, v10
	v_bfe_u32 v11, v7, 27, 4
	v_lshlrev_b32_sdwa v7, v13, v7 dst_sel:DWORD dst_unused:UNUSED_PAD src0_sel:DWORD src1_sel:BYTE_3
	v_sub_u32_e32 v12, 29, v12
	v_and_b32_e32 v7, 7, v7
	v_cmp_eq_u16_e32 vcc, 0, v10
	v_cndmask_b32_e32 v2, v2, v7, vcc
	v_cndmask_b32_e32 v7, v11, v12, vcc
	v_mov_b32_e32 v10, 0x3b800000
	v_lshlrev_b32_e32 v2, 20, v2
	v_lshl_add_u32 v7, v7, 23, v10
	v_or3_b32 v2, v6, v7, v2
.LBB9_956:
	s_or_b64 exec, exec, s[6:7]
	s_movk_i32 s4, 0x7f
	v_cmp_gt_i16_sdwa s[6:7], v3, s4 src0_sel:BYTE_3 src1_sel:DWORD
	s_mov_b64 s[4:5], 0
                                        ; implicit-def: $sgpr10
	s_and_saveexec_b64 s[8:9], s[6:7]
	s_xor_b64 s[6:7], exec, s[8:9]
	s_cbranch_execnz .LBB9_3005
; %bb.957:
	s_or_saveexec_b64 s[6:7], s[6:7]
	v_mov_b32_e32 v6, s10
	s_xor_b64 exec, exec, s[6:7]
	s_cbranch_execnz .LBB9_3008
.LBB9_958:
	s_or_b64 exec, exec, s[6:7]
	s_and_saveexec_b64 s[6:7], s[4:5]
	s_cbranch_execz .LBB9_960
.LBB9_959:
	v_bfe_u32 v6, v3, 24, 3
	v_ffbh_u32_e32 v12, v6
	v_min_u32_e32 v12, 32, v12
	v_lshrrev_b32_e32 v10, 27, v3
	v_subrev_u32_e32 v13, 28, v12
	v_and_b32_e32 v7, 0x80000000, v3
	v_and_b32_e32 v10, 15, v10
	v_bfe_u32 v11, v3, 27, 4
	v_lshlrev_b32_sdwa v3, v13, v3 dst_sel:DWORD dst_unused:UNUSED_PAD src0_sel:DWORD src1_sel:BYTE_3
	v_sub_u32_e32 v12, 29, v12
	v_and_b32_e32 v3, 7, v3
	v_cmp_eq_u16_e32 vcc, 0, v10
	v_cndmask_b32_e32 v3, v6, v3, vcc
	v_cndmask_b32_e32 v6, v11, v12, vcc
	v_mov_b32_e32 v10, 0x3b800000
	v_lshlrev_b32_e32 v3, 20, v3
	v_lshl_add_u32 v6, v6, 23, v10
	v_or3_b32 v6, v7, v6, v3
.LBB9_960:
	s_or_b64 exec, exec, s[6:7]
	s_nop 0
	v_mfma_f32_16x16x4f32 a[0:3], v2, v6, a[0:3]
	s_movk_i32 s4, 0x7f
	v_cmp_gt_i16_sdwa s[6:7], v8, s4 src0_sel:BYTE_0 src1_sel:DWORD
	s_mov_b64 s[4:5], 0
                                        ; implicit-def: $sgpr10
	s_and_saveexec_b64 s[8:9], s[6:7]
	s_xor_b64 s[6:7], exec, s[8:9]
	s_cbranch_execnz .LBB9_3009
; %bb.961:
	s_or_saveexec_b64 s[6:7], s[6:7]
	v_mov_b32_e32 v2, s10
	s_xor_b64 exec, exec, s[6:7]
	s_cbranch_execnz .LBB9_3012
.LBB9_962:
	s_or_b64 exec, exec, s[6:7]
	s_and_saveexec_b64 s[6:7], s[4:5]
	s_cbranch_execz .LBB9_964
.LBB9_963:
	v_and_b32_e32 v2, 7, v8
	v_ffbh_u32_e32 v6, v2
	v_min_u32_e32 v6, 32, v6
	v_lshrrev_b16_e32 v3, 3, v8
	v_subrev_u32_e32 v7, 28, v6
	v_and_b32_e32 v3, 15, v3
	v_lshlrev_b32_e32 v7, v7, v8
	v_sub_u32_e32 v6, 29, v6
	v_and_b32_e32 v7, 7, v7
	v_cmp_eq_u16_e32 vcc, 0, v3
	v_cndmask_b32_e32 v2, v2, v7, vcc
	v_cndmask_b32_e32 v3, v3, v6, vcc
	v_lshlrev_b32_e32 v6, 24, v8
	v_mov_b32_e32 v7, 0x3b800000
	v_lshlrev_b32_e32 v2, 20, v2
	v_and_b32_e32 v6, 0x80000000, v6
	v_lshl_add_u32 v3, v3, 23, v7
	v_or3_b32 v2, v6, v3, v2
.LBB9_964:
	s_or_b64 exec, exec, s[6:7]
	s_movk_i32 s4, 0x7f
	v_cmp_gt_i16_sdwa s[6:7], v4, s4 src0_sel:BYTE_0 src1_sel:DWORD
	s_mov_b64 s[4:5], 0
                                        ; implicit-def: $sgpr10
	s_and_saveexec_b64 s[8:9], s[6:7]
	s_xor_b64 s[6:7], exec, s[8:9]
	s_cbranch_execnz .LBB9_3013
; %bb.965:
	s_or_saveexec_b64 s[6:7], s[6:7]
	v_mov_b32_e32 v3, s10
	s_xor_b64 exec, exec, s[6:7]
	s_cbranch_execnz .LBB9_3016
.LBB9_966:
	s_or_b64 exec, exec, s[6:7]
	s_and_saveexec_b64 s[6:7], s[4:5]
	s_cbranch_execz .LBB9_968
.LBB9_967:
	v_and_b32_e32 v3, 7, v4
	v_ffbh_u32_e32 v7, v3
	v_min_u32_e32 v7, 32, v7
	v_lshrrev_b16_e32 v6, 3, v4
	v_subrev_u32_e32 v10, 28, v7
	v_and_b32_e32 v6, 15, v6
	v_lshlrev_b32_e32 v10, v10, v4
	v_sub_u32_e32 v7, 29, v7
	v_and_b32_e32 v10, 7, v10
	v_cmp_eq_u16_e32 vcc, 0, v6
	v_cndmask_b32_e32 v3, v3, v10, vcc
	v_cndmask_b32_e32 v6, v6, v7, vcc
	v_lshlrev_b32_e32 v7, 24, v4
	v_mov_b32_e32 v10, 0x3b800000
	v_lshlrev_b32_e32 v3, 20, v3
	v_and_b32_e32 v7, 0x80000000, v7
	v_lshl_add_u32 v6, v6, 23, v10
	v_or3_b32 v3, v7, v6, v3
.LBB9_968:
	s_or_b64 exec, exec, s[6:7]
	s_nop 0
	v_mfma_f32_16x16x4f32 a[0:3], v2, v3, a[0:3]
	v_lshrrev_b32_e32 v3, 8, v8
	s_movk_i32 s4, 0x7f
	v_cmp_gt_i16_sdwa s[6:7], v3, s4 src0_sel:BYTE_0 src1_sel:DWORD
	s_mov_b64 s[4:5], 0
                                        ; implicit-def: $sgpr10
	s_and_saveexec_b64 s[8:9], s[6:7]
	s_xor_b64 s[6:7], exec, s[8:9]
	s_cbranch_execnz .LBB9_3017
; %bb.969:
	s_or_saveexec_b64 s[6:7], s[6:7]
	v_mov_b32_e32 v2, s10
	s_xor_b64 exec, exec, s[6:7]
	s_cbranch_execnz .LBB9_3020
.LBB9_970:
	s_or_b64 exec, exec, s[6:7]
	s_and_saveexec_b64 s[6:7], s[4:5]
	s_cbranch_execz .LBB9_972
.LBB9_971:
	v_bfe_u32 v2, v8, 8, 3
	v_ffbh_u32_e32 v7, v2
	v_min_u32_e32 v7, 32, v7
	v_lshrrev_b16_e32 v6, 3, v3
	v_subrev_u32_e32 v10, 28, v7
	v_and_b32_e32 v6, 15, v6
	v_lshlrev_b32_e32 v3, v10, v3
	v_sub_u32_e32 v7, 29, v7
	v_and_b32_e32 v3, 7, v3
	v_cmp_eq_u16_e32 vcc, 0, v6
	v_cndmask_b32_e32 v2, v2, v3, vcc
	v_cndmask_b32_e32 v3, v6, v7, vcc
	v_lshlrev_b32_e32 v6, 16, v8
	v_mov_b32_e32 v7, 0x3b800000
	v_lshlrev_b32_e32 v2, 20, v2
	v_and_b32_e32 v6, 0x80000000, v6
	v_lshl_add_u32 v3, v3, 23, v7
	v_or3_b32 v2, v6, v3, v2
.LBB9_972:
	s_or_b64 exec, exec, s[6:7]
	v_lshrrev_b32_e32 v3, 8, v4
	s_movk_i32 s4, 0x7f
	v_cmp_gt_i16_sdwa s[6:7], v3, s4 src0_sel:BYTE_0 src1_sel:DWORD
	s_mov_b64 s[4:5], 0
                                        ; implicit-def: $sgpr10
	s_and_saveexec_b64 s[8:9], s[6:7]
	s_xor_b64 s[6:7], exec, s[8:9]
	s_cbranch_execnz .LBB9_3021
; %bb.973:
	s_or_saveexec_b64 s[6:7], s[6:7]
	v_mov_b32_e32 v6, s10
	s_xor_b64 exec, exec, s[6:7]
	s_cbranch_execnz .LBB9_3024
.LBB9_974:
	s_or_b64 exec, exec, s[6:7]
	s_and_saveexec_b64 s[6:7], s[4:5]
	s_cbranch_execz .LBB9_976
.LBB9_975:
	v_bfe_u32 v6, v4, 8, 3
	v_ffbh_u32_e32 v10, v6
	v_min_u32_e32 v10, 32, v10
	v_lshrrev_b16_e32 v7, 3, v3
	v_subrev_u32_e32 v11, 28, v10
	v_and_b32_e32 v7, 15, v7
	v_lshlrev_b32_e32 v3, v11, v3
	v_sub_u32_e32 v10, 29, v10
	v_and_b32_e32 v3, 7, v3
	v_cmp_eq_u16_e32 vcc, 0, v7
	v_cndmask_b32_e32 v3, v6, v3, vcc
	v_cndmask_b32_e32 v6, v7, v10, vcc
	v_lshlrev_b32_e32 v7, 16, v4
	v_mov_b32_e32 v10, 0x3b800000
	v_lshlrev_b32_e32 v3, 20, v3
	v_and_b32_e32 v7, 0x80000000, v7
	v_lshl_add_u32 v6, v6, 23, v10
	v_or3_b32 v6, v7, v6, v3
.LBB9_976:
	s_or_b64 exec, exec, s[6:7]
	s_nop 0
	v_mfma_f32_16x16x4f32 a[0:3], v2, v6, a[0:3]
	s_movk_i32 s4, 0xff
	v_and_b32_sdwa v3, v8, s4 dst_sel:DWORD dst_unused:UNUSED_PAD src0_sel:WORD_1 src1_sel:DWORD
	s_movk_i32 s4, 0x7f
	v_cmp_lt_i16_e32 vcc, s4, v3
	s_mov_b64 s[4:5], 0
                                        ; implicit-def: $sgpr10
	s_and_saveexec_b64 s[6:7], vcc
	s_xor_b64 s[6:7], exec, s[6:7]
	s_cbranch_execnz .LBB9_3025
; %bb.977:
	s_or_saveexec_b64 s[6:7], s[6:7]
	v_mov_b32_e32 v2, s10
	s_xor_b64 exec, exec, s[6:7]
	s_cbranch_execnz .LBB9_3028
.LBB9_978:
	s_or_b64 exec, exec, s[6:7]
	s_and_saveexec_b64 s[6:7], s[4:5]
	s_cbranch_execz .LBB9_980
.LBB9_979:
	v_bfe_u32 v2, v8, 16, 3
	v_ffbh_u32_e32 v7, v2
	v_min_u32_e32 v7, 32, v7
	v_lshrrev_b32_e32 v3, 19, v8
	v_subrev_u32_e32 v10, 28, v7
	v_and_b32_e32 v3, 15, v3
	v_lshlrev_b32_sdwa v10, v10, v8 dst_sel:DWORD dst_unused:UNUSED_PAD src0_sel:DWORD src1_sel:WORD_1
	v_bfe_u32 v6, v8, 19, 4
	v_sub_u32_e32 v7, 29, v7
	v_and_b32_e32 v10, 7, v10
	v_cmp_eq_u16_e32 vcc, 0, v3
	v_cndmask_b32_e32 v2, v2, v10, vcc
	v_cndmask_b32_e32 v3, v6, v7, vcc
	v_lshlrev_b32_e32 v6, 8, v8
	v_mov_b32_e32 v7, 0x3b800000
	v_lshlrev_b32_e32 v2, 20, v2
	v_and_b32_e32 v6, 0x80000000, v6
	v_lshl_add_u32 v3, v3, 23, v7
	v_or3_b32 v2, v6, v3, v2
.LBB9_980:
	s_or_b64 exec, exec, s[6:7]
	s_movk_i32 s4, 0xff
	v_and_b32_sdwa v3, v4, s4 dst_sel:DWORD dst_unused:UNUSED_PAD src0_sel:WORD_1 src1_sel:DWORD
	s_movk_i32 s4, 0x7f
	v_cmp_lt_i16_e32 vcc, s4, v3
	s_mov_b64 s[4:5], 0
                                        ; implicit-def: $sgpr10
	s_and_saveexec_b64 s[6:7], vcc
	s_xor_b64 s[6:7], exec, s[6:7]
	s_cbranch_execnz .LBB9_3029
; %bb.981:
	s_or_saveexec_b64 s[6:7], s[6:7]
	v_mov_b32_e32 v6, s10
	s_xor_b64 exec, exec, s[6:7]
	s_cbranch_execnz .LBB9_3032
.LBB9_982:
	s_or_b64 exec, exec, s[6:7]
	s_and_saveexec_b64 s[6:7], s[4:5]
	s_cbranch_execz .LBB9_984
.LBB9_983:
	v_bfe_u32 v3, v4, 16, 3
	v_ffbh_u32_e32 v10, v3
	v_min_u32_e32 v10, 32, v10
	v_lshrrev_b32_e32 v6, 19, v4
	v_subrev_u32_e32 v11, 28, v10
	v_and_b32_e32 v6, 15, v6
	v_lshlrev_b32_sdwa v11, v11, v4 dst_sel:DWORD dst_unused:UNUSED_PAD src0_sel:DWORD src1_sel:WORD_1
	v_bfe_u32 v7, v4, 19, 4
	v_sub_u32_e32 v10, 29, v10
	v_and_b32_e32 v11, 7, v11
	v_cmp_eq_u16_e32 vcc, 0, v6
	v_cndmask_b32_e32 v3, v3, v11, vcc
	v_cndmask_b32_e32 v6, v7, v10, vcc
	v_lshlrev_b32_e32 v7, 8, v4
	v_mov_b32_e32 v10, 0x3b800000
	v_lshlrev_b32_e32 v3, 20, v3
	v_and_b32_e32 v7, 0x80000000, v7
	v_lshl_add_u32 v6, v6, 23, v10
	v_or3_b32 v6, v7, v6, v3
.LBB9_984:
	s_or_b64 exec, exec, s[6:7]
	s_nop 0
	v_mfma_f32_16x16x4f32 a[0:3], v2, v6, a[0:3]
	s_movk_i32 s4, 0x7f
	v_cmp_gt_i16_sdwa s[6:7], v8, s4 src0_sel:BYTE_3 src1_sel:DWORD
	s_mov_b64 s[4:5], 0
                                        ; implicit-def: $sgpr10
	s_and_saveexec_b64 s[8:9], s[6:7]
	s_xor_b64 s[6:7], exec, s[8:9]
	s_cbranch_execnz .LBB9_3033
; %bb.985:
	s_or_saveexec_b64 s[6:7], s[6:7]
	v_mov_b32_e32 v2, s10
	s_xor_b64 exec, exec, s[6:7]
	s_cbranch_execnz .LBB9_3036
.LBB9_986:
	s_or_b64 exec, exec, s[6:7]
	s_and_saveexec_b64 s[6:7], s[4:5]
	s_cbranch_execz .LBB9_988
.LBB9_987:
	v_bfe_u32 v2, v8, 24, 3
	v_ffbh_u32_e32 v10, v2
	v_min_u32_e32 v10, 32, v10
	v_lshrrev_b32_e32 v6, 27, v8
	v_subrev_u32_e32 v11, 28, v10
	v_and_b32_e32 v3, 0x80000000, v8
	v_and_b32_e32 v6, 15, v6
	v_bfe_u32 v7, v8, 27, 4
	v_lshlrev_b32_sdwa v8, v11, v8 dst_sel:DWORD dst_unused:UNUSED_PAD src0_sel:DWORD src1_sel:BYTE_3
	v_sub_u32_e32 v10, 29, v10
	v_and_b32_e32 v8, 7, v8
	v_cmp_eq_u16_e32 vcc, 0, v6
	v_cndmask_b32_e32 v2, v2, v8, vcc
	v_cndmask_b32_e32 v6, v7, v10, vcc
	v_mov_b32_e32 v7, 0x3b800000
	v_lshlrev_b32_e32 v2, 20, v2
	v_lshl_add_u32 v6, v6, 23, v7
	v_or3_b32 v2, v3, v6, v2
.LBB9_988:
	s_or_b64 exec, exec, s[6:7]
	s_movk_i32 s4, 0x7f
	v_cmp_gt_i16_sdwa s[6:7], v4, s4 src0_sel:BYTE_3 src1_sel:DWORD
	s_mov_b64 s[4:5], 0
                                        ; implicit-def: $sgpr10
	s_and_saveexec_b64 s[8:9], s[6:7]
	s_xor_b64 s[6:7], exec, s[8:9]
	s_cbranch_execnz .LBB9_3037
; %bb.989:
	s_or_saveexec_b64 s[6:7], s[6:7]
	v_mov_b32_e32 v3, s10
	s_xor_b64 exec, exec, s[6:7]
	s_cbranch_execnz .LBB9_3040
.LBB9_990:
	s_or_b64 exec, exec, s[6:7]
	s_and_saveexec_b64 s[6:7], s[4:5]
	s_cbranch_execz .LBB9_992
.LBB9_991:
	v_bfe_u32 v3, v4, 24, 3
	v_ffbh_u32_e32 v10, v3
	v_min_u32_e32 v10, 32, v10
	v_lshrrev_b32_e32 v7, 27, v4
	v_subrev_u32_e32 v11, 28, v10
	v_and_b32_e32 v6, 0x80000000, v4
	v_and_b32_e32 v7, 15, v7
	v_bfe_u32 v8, v4, 27, 4
	v_lshlrev_b32_sdwa v4, v11, v4 dst_sel:DWORD dst_unused:UNUSED_PAD src0_sel:DWORD src1_sel:BYTE_3
	v_sub_u32_e32 v10, 29, v10
	v_and_b32_e32 v4, 7, v4
	v_cmp_eq_u16_e32 vcc, 0, v7
	v_cndmask_b32_e32 v3, v3, v4, vcc
	v_cndmask_b32_e32 v4, v8, v10, vcc
	v_mov_b32_e32 v7, 0x3b800000
	v_lshlrev_b32_e32 v3, 20, v3
	v_lshl_add_u32 v4, v4, 23, v7
	v_or3_b32 v3, v6, v4, v3
.LBB9_992:
	s_or_b64 exec, exec, s[6:7]
	s_nop 0
	v_mfma_f32_16x16x4f32 a[0:3], v2, v3, a[0:3]
	s_movk_i32 s4, 0x7f
	v_cmp_gt_i16_sdwa s[6:7], v9, s4 src0_sel:BYTE_0 src1_sel:DWORD
	s_mov_b64 s[4:5], 0
                                        ; implicit-def: $sgpr10
	s_and_saveexec_b64 s[8:9], s[6:7]
	s_xor_b64 s[6:7], exec, s[8:9]
	s_cbranch_execnz .LBB9_3041
; %bb.993:
	s_or_saveexec_b64 s[6:7], s[6:7]
	v_mov_b32_e32 v2, s10
	s_xor_b64 exec, exec, s[6:7]
	s_cbranch_execnz .LBB9_3044
.LBB9_994:
	s_or_b64 exec, exec, s[6:7]
	s_and_saveexec_b64 s[6:7], s[4:5]
	s_cbranch_execz .LBB9_996
.LBB9_995:
	v_mov_b32_e32 v2, 8
	v_and_b32_e32 v3, 7, v9
	v_lshrrev_b32_sdwa v2, v2, v9 dst_sel:BYTE_1 dst_unused:UNUSED_PAD src0_sel:DWORD src1_sel:DWORD
	v_ffbh_u32_e32 v4, v3
	v_or_b32_sdwa v2, v9, v2 dst_sel:DWORD dst_unused:UNUSED_PAD src0_sel:BYTE_0 src1_sel:DWORD
	v_min_u32_e32 v4, 32, v4
	v_lshrrev_b16_e32 v2, 3, v2
	v_subrev_u32_e32 v6, 28, v4
	v_and_b32_e32 v2, 15, v2
	v_lshlrev_b32_e32 v6, v6, v9
	v_sub_u32_e32 v4, 29, v4
	v_and_b32_e32 v6, 7, v6
	v_cmp_eq_u16_e32 vcc, 0, v2
	v_cndmask_b32_e32 v3, v3, v6, vcc
	v_cndmask_b32_e32 v2, v2, v4, vcc
	v_lshlrev_b32_e32 v4, 24, v9
	v_mov_b32_e32 v6, 0x3b800000
	v_lshlrev_b32_e32 v3, 20, v3
	v_and_b32_e32 v4, 0x80000000, v4
	v_lshl_add_u32 v2, v2, 23, v6
	v_or3_b32 v2, v4, v2, v3
.LBB9_996:
	s_or_b64 exec, exec, s[6:7]
	s_movk_i32 s4, 0x7f
	v_cmp_gt_i16_sdwa s[6:7], v5, s4 src0_sel:BYTE_0 src1_sel:DWORD
	s_mov_b64 s[4:5], 0
                                        ; implicit-def: $sgpr10
	s_and_saveexec_b64 s[8:9], s[6:7]
	s_xor_b64 s[6:7], exec, s[8:9]
	s_cbranch_execnz .LBB9_3045
; %bb.997:
	s_or_saveexec_b64 s[6:7], s[6:7]
	v_mov_b32_e32 v3, s10
	s_xor_b64 exec, exec, s[6:7]
	s_cbranch_execnz .LBB9_3048
.LBB9_998:
	s_or_b64 exec, exec, s[6:7]
	s_and_saveexec_b64 s[6:7], s[4:5]
	s_cbranch_execz .LBB9_1000
.LBB9_999:
	v_mov_b32_e32 v3, 8
	v_and_b32_e32 v4, 7, v5
	v_lshrrev_b32_sdwa v3, v3, v5 dst_sel:BYTE_1 dst_unused:UNUSED_PAD src0_sel:DWORD src1_sel:DWORD
	v_ffbh_u32_e32 v6, v4
	v_or_b32_sdwa v3, v5, v3 dst_sel:DWORD dst_unused:UNUSED_PAD src0_sel:BYTE_0 src1_sel:DWORD
	v_min_u32_e32 v6, 32, v6
	v_lshrrev_b16_e32 v3, 3, v3
	v_subrev_u32_e32 v7, 28, v6
	v_and_b32_e32 v3, 15, v3
	v_lshlrev_b32_e32 v7, v7, v5
	v_sub_u32_e32 v6, 29, v6
	v_and_b32_e32 v7, 7, v7
	v_cmp_eq_u16_e32 vcc, 0, v3
	v_cndmask_b32_e32 v4, v4, v7, vcc
	v_cndmask_b32_e32 v3, v3, v6, vcc
	v_lshlrev_b32_e32 v6, 24, v5
	v_mov_b32_e32 v7, 0x3b800000
	v_lshlrev_b32_e32 v4, 20, v4
	v_and_b32_e32 v6, 0x80000000, v6
	v_lshl_add_u32 v3, v3, 23, v7
	v_or3_b32 v3, v6, v3, v4
.LBB9_1000:
	s_or_b64 exec, exec, s[6:7]
	s_nop 0
	v_mfma_f32_16x16x4f32 a[0:3], v2, v3, a[0:3]
	v_lshrrev_b32_e32 v3, 8, v9
	s_movk_i32 s4, 0x7f
	v_cmp_gt_i16_sdwa s[6:7], v3, s4 src0_sel:BYTE_0 src1_sel:DWORD
	s_mov_b64 s[4:5], 0
                                        ; implicit-def: $sgpr10
	s_and_saveexec_b64 s[8:9], s[6:7]
	s_xor_b64 s[6:7], exec, s[8:9]
	s_cbranch_execnz .LBB9_3049
; %bb.1001:
	s_or_saveexec_b64 s[6:7], s[6:7]
	v_mov_b32_e32 v2, s10
	s_xor_b64 exec, exec, s[6:7]
	s_cbranch_execnz .LBB9_3052
.LBB9_1002:
	s_or_b64 exec, exec, s[6:7]
	s_and_saveexec_b64 s[6:7], s[4:5]
	s_cbranch_execz .LBB9_1004
.LBB9_1003:
	v_bfe_u32 v2, v9, 8, 3
	v_ffbh_u32_e32 v6, v2
	v_min_u32_e32 v6, 32, v6
	v_lshrrev_b16_e32 v4, 3, v3
	v_subrev_u32_e32 v7, 28, v6
	v_and_b32_e32 v4, 15, v4
	v_lshlrev_b32_e32 v3, v7, v3
	v_sub_u32_e32 v6, 29, v6
	v_and_b32_e32 v3, 7, v3
	v_cmp_eq_u16_e32 vcc, 0, v4
	v_cndmask_b32_e32 v2, v2, v3, vcc
	v_cndmask_b32_e32 v3, v4, v6, vcc
	v_lshlrev_b32_e32 v4, 16, v9
	v_mov_b32_e32 v6, 0x3b800000
	v_lshlrev_b32_e32 v2, 20, v2
	v_and_b32_e32 v4, 0x80000000, v4
	v_lshl_add_u32 v3, v3, 23, v6
	v_or3_b32 v2, v4, v3, v2
.LBB9_1004:
	s_or_b64 exec, exec, s[6:7]
	v_lshrrev_b32_e32 v3, 8, v5
	s_movk_i32 s4, 0x7f
	v_cmp_gt_i16_sdwa s[6:7], v3, s4 src0_sel:BYTE_0 src1_sel:DWORD
	s_mov_b64 s[4:5], 0
                                        ; implicit-def: $sgpr10
	s_and_saveexec_b64 s[8:9], s[6:7]
	s_xor_b64 s[6:7], exec, s[8:9]
	s_cbranch_execnz .LBB9_3053
; %bb.1005:
	s_or_saveexec_b64 s[6:7], s[6:7]
	v_mov_b32_e32 v4, s10
	s_xor_b64 exec, exec, s[6:7]
	s_cbranch_execnz .LBB9_3056
.LBB9_1006:
	s_or_b64 exec, exec, s[6:7]
	s_and_saveexec_b64 s[6:7], s[4:5]
	s_cbranch_execz .LBB9_1008
.LBB9_1007:
	v_bfe_u32 v4, v5, 8, 3
	v_ffbh_u32_e32 v7, v4
	v_min_u32_e32 v7, 32, v7
	v_lshrrev_b16_e32 v6, 3, v3
	v_subrev_u32_e32 v8, 28, v7
	v_and_b32_e32 v6, 15, v6
	v_lshlrev_b32_e32 v3, v8, v3
	v_sub_u32_e32 v7, 29, v7
	v_and_b32_e32 v3, 7, v3
	v_cmp_eq_u16_e32 vcc, 0, v6
	v_cndmask_b32_e32 v3, v4, v3, vcc
	v_cndmask_b32_e32 v4, v6, v7, vcc
	v_lshlrev_b32_e32 v6, 16, v5
	v_mov_b32_e32 v7, 0x3b800000
	v_lshlrev_b32_e32 v3, 20, v3
	v_and_b32_e32 v6, 0x80000000, v6
	v_lshl_add_u32 v4, v4, 23, v7
	v_or3_b32 v4, v6, v4, v3
.LBB9_1008:
	s_or_b64 exec, exec, s[6:7]
	s_nop 0
	v_mfma_f32_16x16x4f32 a[0:3], v2, v4, a[0:3]
	s_movk_i32 s4, 0xff
	v_and_b32_sdwa v3, v9, s4 dst_sel:DWORD dst_unused:UNUSED_PAD src0_sel:WORD_1 src1_sel:DWORD
	s_movk_i32 s4, 0x7f
	v_cmp_lt_i16_e32 vcc, s4, v3
	s_mov_b64 s[4:5], 0
                                        ; implicit-def: $sgpr10
	s_and_saveexec_b64 s[6:7], vcc
	s_xor_b64 s[6:7], exec, s[6:7]
	s_cbranch_execnz .LBB9_3057
; %bb.1009:
	s_or_saveexec_b64 s[6:7], s[6:7]
	v_mov_b32_e32 v2, s10
	s_xor_b64 exec, exec, s[6:7]
	s_cbranch_execnz .LBB9_3060
.LBB9_1010:
	s_or_b64 exec, exec, s[6:7]
	s_and_saveexec_b64 s[6:7], s[4:5]
	s_cbranch_execz .LBB9_1012
.LBB9_1011:
	v_bfe_u32 v2, v9, 16, 3
	v_ffbh_u32_e32 v6, v2
	v_min_u32_e32 v6, 32, v6
	v_lshrrev_b32_e32 v3, 19, v9
	v_subrev_u32_e32 v7, 28, v6
	v_and_b32_e32 v3, 15, v3
	v_lshlrev_b32_sdwa v7, v7, v9 dst_sel:DWORD dst_unused:UNUSED_PAD src0_sel:DWORD src1_sel:WORD_1
	v_bfe_u32 v4, v9, 19, 4
	v_sub_u32_e32 v6, 29, v6
	v_and_b32_e32 v7, 7, v7
	v_cmp_eq_u16_e32 vcc, 0, v3
	v_cndmask_b32_e32 v2, v2, v7, vcc
	v_cndmask_b32_e32 v3, v4, v6, vcc
	v_lshlrev_b32_e32 v4, 8, v9
	v_mov_b32_e32 v6, 0x3b800000
	v_lshlrev_b32_e32 v2, 20, v2
	v_and_b32_e32 v4, 0x80000000, v4
	v_lshl_add_u32 v3, v3, 23, v6
	v_or3_b32 v2, v4, v3, v2
.LBB9_1012:
	s_or_b64 exec, exec, s[6:7]
	s_movk_i32 s4, 0xff
	v_and_b32_sdwa v3, v5, s4 dst_sel:DWORD dst_unused:UNUSED_PAD src0_sel:WORD_1 src1_sel:DWORD
	s_movk_i32 s4, 0x7f
	v_cmp_lt_i16_e32 vcc, s4, v3
	s_mov_b64 s[4:5], 0
                                        ; implicit-def: $sgpr10
	s_and_saveexec_b64 s[6:7], vcc
	s_xor_b64 s[6:7], exec, s[6:7]
	s_cbranch_execnz .LBB9_3061
; %bb.1013:
	s_or_saveexec_b64 s[6:7], s[6:7]
	v_mov_b32_e32 v4, s10
	s_xor_b64 exec, exec, s[6:7]
	s_cbranch_execnz .LBB9_3064
.LBB9_1014:
	s_or_b64 exec, exec, s[6:7]
	s_and_saveexec_b64 s[6:7], s[4:5]
	s_cbranch_execz .LBB9_1016
.LBB9_1015:
	v_bfe_u32 v3, v5, 16, 3
	v_ffbh_u32_e32 v7, v3
	v_min_u32_e32 v7, 32, v7
	v_lshrrev_b32_e32 v4, 19, v5
	v_subrev_u32_e32 v8, 28, v7
	v_and_b32_e32 v4, 15, v4
	v_lshlrev_b32_sdwa v8, v8, v5 dst_sel:DWORD dst_unused:UNUSED_PAD src0_sel:DWORD src1_sel:WORD_1
	v_bfe_u32 v6, v5, 19, 4
	v_sub_u32_e32 v7, 29, v7
	v_and_b32_e32 v8, 7, v8
	v_cmp_eq_u16_e32 vcc, 0, v4
	v_cndmask_b32_e32 v3, v3, v8, vcc
	v_cndmask_b32_e32 v4, v6, v7, vcc
	v_lshlrev_b32_e32 v6, 8, v5
	v_mov_b32_e32 v7, 0x3b800000
	v_lshlrev_b32_e32 v3, 20, v3
	v_and_b32_e32 v6, 0x80000000, v6
	v_lshl_add_u32 v4, v4, 23, v7
	v_or3_b32 v4, v6, v4, v3
.LBB9_1016:
	s_or_b64 exec, exec, s[6:7]
	s_nop 0
	v_mfma_f32_16x16x4f32 a[0:3], v2, v4, a[0:3]
	s_movk_i32 s4, 0x7f
	v_cmp_gt_i16_sdwa s[6:7], v9, s4 src0_sel:BYTE_3 src1_sel:DWORD
	s_mov_b64 s[4:5], 0
                                        ; implicit-def: $sgpr10
	s_and_saveexec_b64 s[8:9], s[6:7]
	s_xor_b64 s[6:7], exec, s[8:9]
	s_cbranch_execnz .LBB9_3065
; %bb.1017:
	s_or_saveexec_b64 s[6:7], s[6:7]
	v_mov_b32_e32 v2, s10
	s_xor_b64 exec, exec, s[6:7]
	s_cbranch_execnz .LBB9_3068
.LBB9_1018:
	s_or_b64 exec, exec, s[6:7]
	s_and_saveexec_b64 s[6:7], s[4:5]
	s_cbranch_execz .LBB9_1020
.LBB9_1019:
	v_bfe_u32 v2, v9, 24, 3
	v_ffbh_u32_e32 v7, v2
	v_min_u32_e32 v7, 32, v7
	v_lshrrev_b32_e32 v4, 27, v9
	v_subrev_u32_e32 v8, 28, v7
	v_and_b32_e32 v4, 15, v4
	v_lshlrev_b32_sdwa v8, v8, v9 dst_sel:DWORD dst_unused:UNUSED_PAD src0_sel:DWORD src1_sel:BYTE_3
	v_bfe_u32 v6, v9, 27, 4
	v_sub_u32_e32 v7, 29, v7
	v_and_b32_e32 v8, 7, v8
	v_cmp_eq_u16_e32 vcc, 0, v4
	v_cndmask_b32_e32 v2, v2, v8, vcc
	v_cndmask_b32_e32 v4, v6, v7, vcc
	v_mov_b32_e32 v6, 0x3b800000
	v_and_b32_e32 v3, 0x80000000, v9
	v_lshlrev_b32_e32 v2, 20, v2
	v_lshl_add_u32 v4, v4, 23, v6
	v_or3_b32 v2, v3, v4, v2
.LBB9_1020:
	s_or_b64 exec, exec, s[6:7]
	s_movk_i32 s4, 0x7f
	v_cmp_gt_i16_sdwa s[6:7], v5, s4 src0_sel:BYTE_3 src1_sel:DWORD
	s_mov_b64 s[4:5], 0
                                        ; implicit-def: $sgpr10
	s_and_saveexec_b64 s[8:9], s[6:7]
	s_xor_b64 s[6:7], exec, s[8:9]
	s_cbranch_execnz .LBB9_3069
; %bb.1021:
	s_or_saveexec_b64 s[6:7], s[6:7]
	v_mov_b32_e32 v3, s10
	s_xor_b64 exec, exec, s[6:7]
	s_cbranch_execnz .LBB9_3072
.LBB9_1022:
	s_or_b64 exec, exec, s[6:7]
	s_and_saveexec_b64 s[6:7], s[4:5]
	s_cbranch_execz .LBB9_1024
.LBB9_1023:
	v_bfe_u32 v3, v5, 24, 3
	v_ffbh_u32_e32 v8, v3
	v_min_u32_e32 v8, 32, v8
	v_lshrrev_b32_e32 v6, 27, v5
	v_subrev_u32_e32 v9, 28, v8
	v_and_b32_e32 v4, 0x80000000, v5
	v_and_b32_e32 v6, 15, v6
	v_bfe_u32 v7, v5, 27, 4
	v_lshlrev_b32_sdwa v5, v9, v5 dst_sel:DWORD dst_unused:UNUSED_PAD src0_sel:DWORD src1_sel:BYTE_3
	v_sub_u32_e32 v8, 29, v8
	v_and_b32_e32 v5, 7, v5
	v_cmp_eq_u16_e32 vcc, 0, v6
	v_cndmask_b32_e32 v3, v3, v5, vcc
	v_cndmask_b32_e32 v5, v7, v8, vcc
	v_mov_b32_e32 v6, 0x3b800000
	v_lshlrev_b32_e32 v3, 20, v3
	v_lshl_add_u32 v5, v5, 23, v6
	v_or3_b32 v3, v4, v5, v3
.LBB9_1024:
	s_or_b64 exec, exec, s[6:7]
	s_nop 0
	v_mfma_f32_16x16x4f32 a[0:3], v2, v3, a[0:3]
	s_movk_i32 s4, 0x7f
                                        ; implicit-def: $sgpr10
	s_nop 7
	s_nop 1
	flat_store_dwordx4 v[18:19], a[0:3] offset:944
	flat_load_dwordx4 v[20:23], v[0:1] offset:16
	s_nop 0
	flat_load_dwordx2 v[18:19], v[0:1] offset:32
	s_waitcnt vmcnt(0) lgkmcnt(0)
	flat_load_dwordx4 v[14:17], v[20:21] offset:32
	flat_load_dwordx4 v[6:9], v[20:21] offset:48
	;; [unrolled: 1-line block ×4, first 2 shown]
	s_waitcnt vmcnt(0) lgkmcnt(0)
	v_cmp_gt_i16_sdwa s[6:7], v14, s4 src0_sel:BYTE_0 src1_sel:DWORD
	s_mov_b64 s[4:5], 0
	s_and_saveexec_b64 s[8:9], s[6:7]
	s_xor_b64 s[6:7], exec, s[8:9]
	s_cbranch_execnz .LBB9_3073
; %bb.1025:
	s_or_saveexec_b64 s[6:7], s[6:7]
	v_mov_b32_e32 v20, s10
	s_xor_b64 exec, exec, s[6:7]
	s_cbranch_execnz .LBB9_3076
.LBB9_1026:
	s_or_b64 exec, exec, s[6:7]
	s_and_saveexec_b64 s[6:7], s[4:5]
	s_cbranch_execz .LBB9_1028
.LBB9_1027:
	v_and_b32_e32 v20, 7, v14
	v_ffbh_u32_e32 v22, v20
	v_min_u32_e32 v22, 32, v22
	v_lshrrev_b16_e32 v21, 3, v14
	v_subrev_u32_e32 v23, 28, v22
	v_and_b32_e32 v21, 15, v21
	v_lshlrev_b32_e32 v23, v23, v14
	v_sub_u32_e32 v22, 29, v22
	v_and_b32_e32 v23, 7, v23
	v_cmp_eq_u16_e32 vcc, 0, v21
	v_cndmask_b32_e32 v20, v20, v23, vcc
	v_cndmask_b32_e32 v21, v21, v22, vcc
	v_lshlrev_b32_e32 v22, 24, v14
	v_mov_b32_e32 v23, 0x3b800000
	v_lshlrev_b32_e32 v20, 20, v20
	v_and_b32_e32 v22, 0x80000000, v22
	v_lshl_add_u32 v21, v21, 23, v23
	v_or3_b32 v20, v22, v21, v20
.LBB9_1028:
	s_or_b64 exec, exec, s[6:7]
	s_movk_i32 s4, 0x7f
	v_cmp_gt_i16_sdwa s[6:7], v10, s4 src0_sel:BYTE_0 src1_sel:DWORD
	s_mov_b64 s[4:5], 0
                                        ; implicit-def: $sgpr10
	s_and_saveexec_b64 s[8:9], s[6:7]
	s_xor_b64 s[6:7], exec, s[8:9]
	s_cbranch_execnz .LBB9_3077
; %bb.1029:
	s_or_saveexec_b64 s[6:7], s[6:7]
	v_mov_b32_e32 v21, s10
	s_xor_b64 exec, exec, s[6:7]
	s_cbranch_execnz .LBB9_3080
.LBB9_1030:
	s_or_b64 exec, exec, s[6:7]
	s_and_saveexec_b64 s[6:7], s[4:5]
	s_cbranch_execz .LBB9_1032
.LBB9_1031:
	v_and_b32_e32 v21, 7, v10
	v_ffbh_u32_e32 v23, v21
	v_min_u32_e32 v23, 32, v23
	v_lshrrev_b16_e32 v22, 3, v10
	v_subrev_u32_e32 v24, 28, v23
	v_and_b32_e32 v22, 15, v22
	v_lshlrev_b32_e32 v24, v24, v10
	v_sub_u32_e32 v23, 29, v23
	v_and_b32_e32 v24, 7, v24
	v_cmp_eq_u16_e32 vcc, 0, v22
	v_cndmask_b32_e32 v21, v21, v24, vcc
	v_cndmask_b32_e32 v22, v22, v23, vcc
	v_lshlrev_b32_e32 v23, 24, v10
	v_mov_b32_e32 v24, 0x3b800000
	v_lshlrev_b32_e32 v21, 20, v21
	v_and_b32_e32 v23, 0x80000000, v23
	v_lshl_add_u32 v22, v22, 23, v24
	v_or3_b32 v21, v23, v22, v21
.LBB9_1032:
	s_or_b64 exec, exec, s[6:7]
	flat_load_dwordx4 a[0:3], v[18:19] offset:960
	s_movk_i32 s4, 0x7f
                                        ; implicit-def: $sgpr10
	s_waitcnt vmcnt(0) lgkmcnt(0)
	v_mfma_f32_16x16x4f32 a[0:3], v20, v21, a[0:3]
	v_lshrrev_b32_e32 v21, 8, v14
	v_cmp_gt_i16_sdwa s[6:7], v21, s4 src0_sel:BYTE_0 src1_sel:DWORD
	s_mov_b64 s[4:5], 0
	s_and_saveexec_b64 s[8:9], s[6:7]
	s_xor_b64 s[6:7], exec, s[8:9]
	s_cbranch_execnz .LBB9_3081
; %bb.1033:
	s_or_saveexec_b64 s[6:7], s[6:7]
	v_mov_b32_e32 v20, s10
	s_xor_b64 exec, exec, s[6:7]
	s_cbranch_execnz .LBB9_3084
.LBB9_1034:
	s_or_b64 exec, exec, s[6:7]
	s_and_saveexec_b64 s[6:7], s[4:5]
	s_cbranch_execz .LBB9_1036
.LBB9_1035:
	v_bfe_u32 v20, v14, 8, 3
	v_ffbh_u32_e32 v23, v20
	v_min_u32_e32 v23, 32, v23
	v_lshrrev_b16_e32 v22, 3, v21
	v_subrev_u32_e32 v24, 28, v23
	v_and_b32_e32 v22, 15, v22
	v_lshlrev_b32_e32 v21, v24, v21
	v_sub_u32_e32 v23, 29, v23
	v_and_b32_e32 v21, 7, v21
	v_cmp_eq_u16_e32 vcc, 0, v22
	v_cndmask_b32_e32 v20, v20, v21, vcc
	v_cndmask_b32_e32 v21, v22, v23, vcc
	v_lshlrev_b32_e32 v22, 16, v14
	v_mov_b32_e32 v23, 0x3b800000
	v_lshlrev_b32_e32 v20, 20, v20
	v_and_b32_e32 v22, 0x80000000, v22
	v_lshl_add_u32 v21, v21, 23, v23
	v_or3_b32 v20, v22, v21, v20
.LBB9_1036:
	s_or_b64 exec, exec, s[6:7]
	v_lshrrev_b32_e32 v21, 8, v10
	s_movk_i32 s4, 0x7f
	v_cmp_gt_i16_sdwa s[6:7], v21, s4 src0_sel:BYTE_0 src1_sel:DWORD
	s_mov_b64 s[4:5], 0
                                        ; implicit-def: $sgpr10
	s_and_saveexec_b64 s[8:9], s[6:7]
	s_xor_b64 s[6:7], exec, s[8:9]
	s_cbranch_execnz .LBB9_3085
; %bb.1037:
	s_or_saveexec_b64 s[6:7], s[6:7]
	v_mov_b32_e32 v22, s10
	s_xor_b64 exec, exec, s[6:7]
	s_cbranch_execnz .LBB9_3088
.LBB9_1038:
	s_or_b64 exec, exec, s[6:7]
	s_and_saveexec_b64 s[6:7], s[4:5]
	s_cbranch_execz .LBB9_1040
.LBB9_1039:
	v_bfe_u32 v22, v10, 8, 3
	v_ffbh_u32_e32 v24, v22
	v_min_u32_e32 v24, 32, v24
	v_lshrrev_b16_e32 v23, 3, v21
	v_subrev_u32_e32 v25, 28, v24
	v_and_b32_e32 v23, 15, v23
	v_lshlrev_b32_e32 v21, v25, v21
	v_sub_u32_e32 v24, 29, v24
	v_and_b32_e32 v21, 7, v21
	v_cmp_eq_u16_e32 vcc, 0, v23
	v_cndmask_b32_e32 v21, v22, v21, vcc
	v_cndmask_b32_e32 v22, v23, v24, vcc
	v_lshlrev_b32_e32 v23, 16, v10
	v_mov_b32_e32 v24, 0x3b800000
	v_lshlrev_b32_e32 v21, 20, v21
	v_and_b32_e32 v23, 0x80000000, v23
	v_lshl_add_u32 v22, v22, 23, v24
	v_or3_b32 v22, v23, v22, v21
.LBB9_1040:
	s_or_b64 exec, exec, s[6:7]
	s_nop 0
	v_mfma_f32_16x16x4f32 a[0:3], v20, v22, a[0:3]
	s_movk_i32 s4, 0xff
	v_and_b32_sdwa v21, v14, s4 dst_sel:DWORD dst_unused:UNUSED_PAD src0_sel:WORD_1 src1_sel:DWORD
	s_movk_i32 s4, 0x7f
	v_cmp_lt_i16_e32 vcc, s4, v21
	s_mov_b64 s[4:5], 0
                                        ; implicit-def: $sgpr10
	s_and_saveexec_b64 s[6:7], vcc
	s_xor_b64 s[6:7], exec, s[6:7]
	s_cbranch_execnz .LBB9_3089
; %bb.1041:
	s_or_saveexec_b64 s[6:7], s[6:7]
	v_mov_b32_e32 v20, s10
	s_xor_b64 exec, exec, s[6:7]
	s_cbranch_execnz .LBB9_3092
.LBB9_1042:
	s_or_b64 exec, exec, s[6:7]
	s_and_saveexec_b64 s[6:7], s[4:5]
	s_cbranch_execz .LBB9_1044
.LBB9_1043:
	v_bfe_u32 v20, v14, 16, 3
	v_ffbh_u32_e32 v23, v20
	v_min_u32_e32 v23, 32, v23
	v_lshrrev_b32_e32 v21, 19, v14
	v_subrev_u32_e32 v24, 28, v23
	v_and_b32_e32 v21, 15, v21
	v_lshlrev_b32_sdwa v24, v24, v14 dst_sel:DWORD dst_unused:UNUSED_PAD src0_sel:DWORD src1_sel:WORD_1
	v_bfe_u32 v22, v14, 19, 4
	v_sub_u32_e32 v23, 29, v23
	v_and_b32_e32 v24, 7, v24
	v_cmp_eq_u16_e32 vcc, 0, v21
	v_cndmask_b32_e32 v20, v20, v24, vcc
	v_cndmask_b32_e32 v21, v22, v23, vcc
	v_lshlrev_b32_e32 v22, 8, v14
	v_mov_b32_e32 v23, 0x3b800000
	v_lshlrev_b32_e32 v20, 20, v20
	v_and_b32_e32 v22, 0x80000000, v22
	v_lshl_add_u32 v21, v21, 23, v23
	v_or3_b32 v20, v22, v21, v20
.LBB9_1044:
	s_or_b64 exec, exec, s[6:7]
	s_movk_i32 s4, 0xff
	v_and_b32_sdwa v21, v10, s4 dst_sel:DWORD dst_unused:UNUSED_PAD src0_sel:WORD_1 src1_sel:DWORD
	s_movk_i32 s4, 0x7f
	v_cmp_lt_i16_e32 vcc, s4, v21
	s_mov_b64 s[4:5], 0
                                        ; implicit-def: $sgpr10
	s_and_saveexec_b64 s[6:7], vcc
	s_xor_b64 s[6:7], exec, s[6:7]
	s_cbranch_execnz .LBB9_3093
; %bb.1045:
	s_or_saveexec_b64 s[6:7], s[6:7]
	v_mov_b32_e32 v22, s10
	s_xor_b64 exec, exec, s[6:7]
	s_cbranch_execnz .LBB9_3096
.LBB9_1046:
	s_or_b64 exec, exec, s[6:7]
	s_and_saveexec_b64 s[6:7], s[4:5]
	s_cbranch_execz .LBB9_1048
.LBB9_1047:
	v_bfe_u32 v21, v10, 16, 3
	v_ffbh_u32_e32 v24, v21
	v_min_u32_e32 v24, 32, v24
	v_lshrrev_b32_e32 v22, 19, v10
	v_subrev_u32_e32 v25, 28, v24
	v_and_b32_e32 v22, 15, v22
	v_lshlrev_b32_sdwa v25, v25, v10 dst_sel:DWORD dst_unused:UNUSED_PAD src0_sel:DWORD src1_sel:WORD_1
	v_bfe_u32 v23, v10, 19, 4
	v_sub_u32_e32 v24, 29, v24
	v_and_b32_e32 v25, 7, v25
	v_cmp_eq_u16_e32 vcc, 0, v22
	v_cndmask_b32_e32 v21, v21, v25, vcc
	v_cndmask_b32_e32 v22, v23, v24, vcc
	v_lshlrev_b32_e32 v23, 8, v10
	v_mov_b32_e32 v24, 0x3b800000
	v_lshlrev_b32_e32 v21, 20, v21
	v_and_b32_e32 v23, 0x80000000, v23
	v_lshl_add_u32 v22, v22, 23, v24
	v_or3_b32 v22, v23, v22, v21
.LBB9_1048:
	s_or_b64 exec, exec, s[6:7]
	s_nop 0
	v_mfma_f32_16x16x4f32 a[0:3], v20, v22, a[0:3]
	s_movk_i32 s4, 0x7f
	v_cmp_gt_i16_sdwa s[6:7], v14, s4 src0_sel:BYTE_3 src1_sel:DWORD
	s_mov_b64 s[4:5], 0
                                        ; implicit-def: $sgpr10
	s_and_saveexec_b64 s[8:9], s[6:7]
	s_xor_b64 s[6:7], exec, s[8:9]
	s_cbranch_execnz .LBB9_3097
; %bb.1049:
	s_or_saveexec_b64 s[6:7], s[6:7]
	v_mov_b32_e32 v20, s10
	s_xor_b64 exec, exec, s[6:7]
	s_cbranch_execnz .LBB9_3100
.LBB9_1050:
	s_or_b64 exec, exec, s[6:7]
	s_and_saveexec_b64 s[6:7], s[4:5]
	s_cbranch_execz .LBB9_1052
.LBB9_1051:
	v_bfe_u32 v20, v14, 24, 3
	v_ffbh_u32_e32 v24, v20
	v_min_u32_e32 v24, 32, v24
	v_lshrrev_b32_e32 v22, 27, v14
	v_subrev_u32_e32 v25, 28, v24
	v_and_b32_e32 v21, 0x80000000, v14
	v_and_b32_e32 v22, 15, v22
	v_bfe_u32 v23, v14, 27, 4
	v_lshlrev_b32_sdwa v14, v25, v14 dst_sel:DWORD dst_unused:UNUSED_PAD src0_sel:DWORD src1_sel:BYTE_3
	v_sub_u32_e32 v24, 29, v24
	v_and_b32_e32 v14, 7, v14
	v_cmp_eq_u16_e32 vcc, 0, v22
	v_cndmask_b32_e32 v14, v20, v14, vcc
	v_cndmask_b32_e32 v20, v23, v24, vcc
	v_mov_b32_e32 v22, 0x3b800000
	v_lshlrev_b32_e32 v14, 20, v14
	v_lshl_add_u32 v20, v20, 23, v22
	v_or3_b32 v20, v21, v20, v14
.LBB9_1052:
	s_or_b64 exec, exec, s[6:7]
	s_movk_i32 s4, 0x7f
	v_cmp_gt_i16_sdwa s[6:7], v10, s4 src0_sel:BYTE_3 src1_sel:DWORD
	s_mov_b64 s[4:5], 0
                                        ; implicit-def: $sgpr10
	s_and_saveexec_b64 s[8:9], s[6:7]
	s_xor_b64 s[6:7], exec, s[8:9]
	s_cbranch_execnz .LBB9_3101
; %bb.1053:
	s_or_saveexec_b64 s[6:7], s[6:7]
	v_mov_b32_e32 v14, s10
	s_xor_b64 exec, exec, s[6:7]
	s_cbranch_execnz .LBB9_3104
.LBB9_1054:
	s_or_b64 exec, exec, s[6:7]
	s_and_saveexec_b64 s[6:7], s[4:5]
	s_cbranch_execz .LBB9_1056
.LBB9_1055:
	v_bfe_u32 v14, v10, 24, 3
	v_ffbh_u32_e32 v24, v14
	v_min_u32_e32 v24, 32, v24
	v_lshrrev_b32_e32 v22, 27, v10
	v_subrev_u32_e32 v25, 28, v24
	v_and_b32_e32 v21, 0x80000000, v10
	v_and_b32_e32 v22, 15, v22
	v_bfe_u32 v23, v10, 27, 4
	v_lshlrev_b32_sdwa v10, v25, v10 dst_sel:DWORD dst_unused:UNUSED_PAD src0_sel:DWORD src1_sel:BYTE_3
	v_sub_u32_e32 v24, 29, v24
	v_and_b32_e32 v10, 7, v10
	v_cmp_eq_u16_e32 vcc, 0, v22
	v_cndmask_b32_e32 v10, v14, v10, vcc
	v_cndmask_b32_e32 v14, v23, v24, vcc
	v_mov_b32_e32 v22, 0x3b800000
	v_lshlrev_b32_e32 v10, 20, v10
	v_lshl_add_u32 v14, v14, 23, v22
	v_or3_b32 v14, v21, v14, v10
.LBB9_1056:
	s_or_b64 exec, exec, s[6:7]
	s_nop 0
	v_mfma_f32_16x16x4f32 a[0:3], v20, v14, a[0:3]
	s_movk_i32 s4, 0x7f
	v_cmp_gt_i16_sdwa s[6:7], v15, s4 src0_sel:BYTE_0 src1_sel:DWORD
	s_mov_b64 s[4:5], 0
                                        ; implicit-def: $sgpr10
	s_and_saveexec_b64 s[8:9], s[6:7]
	s_xor_b64 s[6:7], exec, s[8:9]
	s_cbranch_execnz .LBB9_3105
; %bb.1057:
	s_or_saveexec_b64 s[6:7], s[6:7]
	v_mov_b32_e32 v10, s10
	s_xor_b64 exec, exec, s[6:7]
	s_cbranch_execnz .LBB9_3108
.LBB9_1058:
	s_or_b64 exec, exec, s[6:7]
	s_and_saveexec_b64 s[6:7], s[4:5]
	s_cbranch_execz .LBB9_1060
.LBB9_1059:
	v_and_b32_e32 v10, 7, v15
	v_ffbh_u32_e32 v20, v10
	v_min_u32_e32 v20, 32, v20
	v_lshrrev_b16_e32 v14, 3, v15
	v_subrev_u32_e32 v21, 28, v20
	v_and_b32_e32 v14, 15, v14
	v_lshlrev_b32_e32 v21, v21, v15
	v_sub_u32_e32 v20, 29, v20
	v_and_b32_e32 v21, 7, v21
	v_cmp_eq_u16_e32 vcc, 0, v14
	v_cndmask_b32_e32 v10, v10, v21, vcc
	v_cndmask_b32_e32 v14, v14, v20, vcc
	v_lshlrev_b32_e32 v20, 24, v15
	v_mov_b32_e32 v21, 0x3b800000
	v_lshlrev_b32_e32 v10, 20, v10
	v_and_b32_e32 v20, 0x80000000, v20
	v_lshl_add_u32 v14, v14, 23, v21
	v_or3_b32 v10, v20, v14, v10
.LBB9_1060:
	s_or_b64 exec, exec, s[6:7]
	s_movk_i32 s4, 0x7f
	v_cmp_gt_i16_sdwa s[6:7], v11, s4 src0_sel:BYTE_0 src1_sel:DWORD
	s_mov_b64 s[4:5], 0
                                        ; implicit-def: $sgpr10
	s_and_saveexec_b64 s[8:9], s[6:7]
	s_xor_b64 s[6:7], exec, s[8:9]
	s_cbranch_execnz .LBB9_3109
; %bb.1061:
	s_or_saveexec_b64 s[6:7], s[6:7]
	v_mov_b32_e32 v14, s10
	s_xor_b64 exec, exec, s[6:7]
	s_cbranch_execnz .LBB9_3112
.LBB9_1062:
	s_or_b64 exec, exec, s[6:7]
	s_and_saveexec_b64 s[6:7], s[4:5]
	s_cbranch_execz .LBB9_1064
.LBB9_1063:
	v_and_b32_e32 v14, 7, v11
	v_ffbh_u32_e32 v21, v14
	v_min_u32_e32 v21, 32, v21
	v_lshrrev_b16_e32 v20, 3, v11
	v_subrev_u32_e32 v22, 28, v21
	v_and_b32_e32 v20, 15, v20
	v_lshlrev_b32_e32 v22, v22, v11
	v_sub_u32_e32 v21, 29, v21
	v_and_b32_e32 v22, 7, v22
	v_cmp_eq_u16_e32 vcc, 0, v20
	v_cndmask_b32_e32 v14, v14, v22, vcc
	v_cndmask_b32_e32 v20, v20, v21, vcc
	v_lshlrev_b32_e32 v21, 24, v11
	v_mov_b32_e32 v22, 0x3b800000
	v_lshlrev_b32_e32 v14, 20, v14
	v_and_b32_e32 v21, 0x80000000, v21
	v_lshl_add_u32 v20, v20, 23, v22
	v_or3_b32 v14, v21, v20, v14
.LBB9_1064:
	s_or_b64 exec, exec, s[6:7]
	s_nop 0
	v_mfma_f32_16x16x4f32 a[0:3], v10, v14, a[0:3]
	v_lshrrev_b32_e32 v14, 8, v15
	s_movk_i32 s4, 0x7f
	v_cmp_gt_i16_sdwa s[6:7], v14, s4 src0_sel:BYTE_0 src1_sel:DWORD
	s_mov_b64 s[4:5], 0
                                        ; implicit-def: $sgpr10
	s_and_saveexec_b64 s[8:9], s[6:7]
	s_xor_b64 s[6:7], exec, s[8:9]
	s_cbranch_execnz .LBB9_3113
; %bb.1065:
	s_or_saveexec_b64 s[6:7], s[6:7]
	v_mov_b32_e32 v10, s10
	s_xor_b64 exec, exec, s[6:7]
	s_cbranch_execnz .LBB9_3116
.LBB9_1066:
	s_or_b64 exec, exec, s[6:7]
	s_and_saveexec_b64 s[6:7], s[4:5]
	s_cbranch_execz .LBB9_1068
.LBB9_1067:
	v_bfe_u32 v10, v15, 8, 3
	v_ffbh_u32_e32 v21, v10
	v_min_u32_e32 v21, 32, v21
	v_lshrrev_b16_e32 v20, 3, v14
	v_subrev_u32_e32 v22, 28, v21
	v_and_b32_e32 v20, 15, v20
	v_lshlrev_b32_e32 v14, v22, v14
	v_sub_u32_e32 v21, 29, v21
	v_and_b32_e32 v14, 7, v14
	v_cmp_eq_u16_e32 vcc, 0, v20
	v_cndmask_b32_e32 v10, v10, v14, vcc
	v_cndmask_b32_e32 v14, v20, v21, vcc
	v_lshlrev_b32_e32 v20, 16, v15
	v_mov_b32_e32 v21, 0x3b800000
	v_lshlrev_b32_e32 v10, 20, v10
	v_and_b32_e32 v20, 0x80000000, v20
	v_lshl_add_u32 v14, v14, 23, v21
	v_or3_b32 v10, v20, v14, v10
.LBB9_1068:
	s_or_b64 exec, exec, s[6:7]
	v_lshrrev_b32_e32 v14, 8, v11
	s_movk_i32 s4, 0x7f
	v_cmp_gt_i16_sdwa s[6:7], v14, s4 src0_sel:BYTE_0 src1_sel:DWORD
	s_mov_b64 s[4:5], 0
                                        ; implicit-def: $sgpr10
	s_and_saveexec_b64 s[8:9], s[6:7]
	s_xor_b64 s[6:7], exec, s[8:9]
	s_cbranch_execnz .LBB9_3117
; %bb.1069:
	s_or_saveexec_b64 s[6:7], s[6:7]
	v_mov_b32_e32 v20, s10
	s_xor_b64 exec, exec, s[6:7]
	s_cbranch_execnz .LBB9_3120
.LBB9_1070:
	s_or_b64 exec, exec, s[6:7]
	s_and_saveexec_b64 s[6:7], s[4:5]
	s_cbranch_execz .LBB9_1072
.LBB9_1071:
	v_bfe_u32 v20, v11, 8, 3
	v_ffbh_u32_e32 v22, v20
	v_min_u32_e32 v22, 32, v22
	v_lshrrev_b16_e32 v21, 3, v14
	v_subrev_u32_e32 v23, 28, v22
	v_and_b32_e32 v21, 15, v21
	v_lshlrev_b32_e32 v14, v23, v14
	v_sub_u32_e32 v22, 29, v22
	v_and_b32_e32 v14, 7, v14
	v_cmp_eq_u16_e32 vcc, 0, v21
	v_cndmask_b32_e32 v14, v20, v14, vcc
	v_cndmask_b32_e32 v20, v21, v22, vcc
	v_lshlrev_b32_e32 v21, 16, v11
	v_mov_b32_e32 v22, 0x3b800000
	v_lshlrev_b32_e32 v14, 20, v14
	v_and_b32_e32 v21, 0x80000000, v21
	v_lshl_add_u32 v20, v20, 23, v22
	v_or3_b32 v20, v21, v20, v14
.LBB9_1072:
	s_or_b64 exec, exec, s[6:7]
	s_nop 0
	v_mfma_f32_16x16x4f32 a[0:3], v10, v20, a[0:3]
	s_movk_i32 s4, 0xff
	v_and_b32_sdwa v14, v15, s4 dst_sel:DWORD dst_unused:UNUSED_PAD src0_sel:WORD_1 src1_sel:DWORD
	s_movk_i32 s4, 0x7f
	v_cmp_lt_i16_e32 vcc, s4, v14
	s_mov_b64 s[4:5], 0
                                        ; implicit-def: $sgpr10
	s_and_saveexec_b64 s[6:7], vcc
	s_xor_b64 s[6:7], exec, s[6:7]
	s_cbranch_execnz .LBB9_3121
; %bb.1073:
	s_or_saveexec_b64 s[6:7], s[6:7]
	v_mov_b32_e32 v10, s10
	s_xor_b64 exec, exec, s[6:7]
	s_cbranch_execnz .LBB9_3124
.LBB9_1074:
	s_or_b64 exec, exec, s[6:7]
	s_and_saveexec_b64 s[6:7], s[4:5]
	s_cbranch_execz .LBB9_1076
.LBB9_1075:
	v_bfe_u32 v10, v15, 16, 3
	v_ffbh_u32_e32 v21, v10
	v_min_u32_e32 v21, 32, v21
	v_lshrrev_b32_e32 v14, 19, v15
	v_subrev_u32_e32 v22, 28, v21
	v_and_b32_e32 v14, 15, v14
	v_lshlrev_b32_sdwa v22, v22, v15 dst_sel:DWORD dst_unused:UNUSED_PAD src0_sel:DWORD src1_sel:WORD_1
	v_bfe_u32 v20, v15, 19, 4
	v_sub_u32_e32 v21, 29, v21
	v_and_b32_e32 v22, 7, v22
	v_cmp_eq_u16_e32 vcc, 0, v14
	v_cndmask_b32_e32 v10, v10, v22, vcc
	v_cndmask_b32_e32 v14, v20, v21, vcc
	v_lshlrev_b32_e32 v20, 8, v15
	v_mov_b32_e32 v21, 0x3b800000
	v_lshlrev_b32_e32 v10, 20, v10
	v_and_b32_e32 v20, 0x80000000, v20
	v_lshl_add_u32 v14, v14, 23, v21
	v_or3_b32 v10, v20, v14, v10
.LBB9_1076:
	s_or_b64 exec, exec, s[6:7]
	s_movk_i32 s4, 0xff
	v_and_b32_sdwa v14, v11, s4 dst_sel:DWORD dst_unused:UNUSED_PAD src0_sel:WORD_1 src1_sel:DWORD
	s_movk_i32 s4, 0x7f
	v_cmp_lt_i16_e32 vcc, s4, v14
	s_mov_b64 s[4:5], 0
                                        ; implicit-def: $sgpr10
	s_and_saveexec_b64 s[6:7], vcc
	s_xor_b64 s[6:7], exec, s[6:7]
	s_cbranch_execnz .LBB9_3125
; %bb.1077:
	s_or_saveexec_b64 s[6:7], s[6:7]
	v_mov_b32_e32 v20, s10
	s_xor_b64 exec, exec, s[6:7]
	s_cbranch_execnz .LBB9_3128
.LBB9_1078:
	s_or_b64 exec, exec, s[6:7]
	s_and_saveexec_b64 s[6:7], s[4:5]
	s_cbranch_execz .LBB9_1080
.LBB9_1079:
	v_bfe_u32 v14, v11, 16, 3
	v_ffbh_u32_e32 v22, v14
	v_min_u32_e32 v22, 32, v22
	v_lshrrev_b32_e32 v20, 19, v11
	v_subrev_u32_e32 v23, 28, v22
	v_and_b32_e32 v20, 15, v20
	v_lshlrev_b32_sdwa v23, v23, v11 dst_sel:DWORD dst_unused:UNUSED_PAD src0_sel:DWORD src1_sel:WORD_1
	v_bfe_u32 v21, v11, 19, 4
	v_sub_u32_e32 v22, 29, v22
	v_and_b32_e32 v23, 7, v23
	v_cmp_eq_u16_e32 vcc, 0, v20
	v_cndmask_b32_e32 v14, v14, v23, vcc
	v_cndmask_b32_e32 v20, v21, v22, vcc
	v_lshlrev_b32_e32 v21, 8, v11
	v_mov_b32_e32 v22, 0x3b800000
	v_lshlrev_b32_e32 v14, 20, v14
	v_and_b32_e32 v21, 0x80000000, v21
	v_lshl_add_u32 v20, v20, 23, v22
	v_or3_b32 v20, v21, v20, v14
.LBB9_1080:
	s_or_b64 exec, exec, s[6:7]
	s_nop 0
	v_mfma_f32_16x16x4f32 a[0:3], v10, v20, a[0:3]
	s_movk_i32 s4, 0x7f
	v_cmp_gt_i16_sdwa s[6:7], v15, s4 src0_sel:BYTE_3 src1_sel:DWORD
	s_mov_b64 s[4:5], 0
                                        ; implicit-def: $sgpr10
	s_and_saveexec_b64 s[8:9], s[6:7]
	s_xor_b64 s[6:7], exec, s[8:9]
	s_cbranch_execnz .LBB9_3129
; %bb.1081:
	s_or_saveexec_b64 s[6:7], s[6:7]
	v_mov_b32_e32 v10, s10
	s_xor_b64 exec, exec, s[6:7]
	s_cbranch_execnz .LBB9_3132
.LBB9_1082:
	s_or_b64 exec, exec, s[6:7]
	s_and_saveexec_b64 s[6:7], s[4:5]
	s_cbranch_execz .LBB9_1084
.LBB9_1083:
	v_bfe_u32 v10, v15, 24, 3
	v_ffbh_u32_e32 v22, v10
	v_min_u32_e32 v22, 32, v22
	v_lshrrev_b32_e32 v20, 27, v15
	v_subrev_u32_e32 v23, 28, v22
	v_and_b32_e32 v14, 0x80000000, v15
	v_and_b32_e32 v20, 15, v20
	v_bfe_u32 v21, v15, 27, 4
	v_lshlrev_b32_sdwa v15, v23, v15 dst_sel:DWORD dst_unused:UNUSED_PAD src0_sel:DWORD src1_sel:BYTE_3
	v_sub_u32_e32 v22, 29, v22
	v_and_b32_e32 v15, 7, v15
	v_cmp_eq_u16_e32 vcc, 0, v20
	v_cndmask_b32_e32 v10, v10, v15, vcc
	v_cndmask_b32_e32 v15, v21, v22, vcc
	v_mov_b32_e32 v20, 0x3b800000
	v_lshlrev_b32_e32 v10, 20, v10
	v_lshl_add_u32 v15, v15, 23, v20
	v_or3_b32 v10, v14, v15, v10
.LBB9_1084:
	s_or_b64 exec, exec, s[6:7]
	s_movk_i32 s4, 0x7f
	v_cmp_gt_i16_sdwa s[6:7], v11, s4 src0_sel:BYTE_3 src1_sel:DWORD
	s_mov_b64 s[4:5], 0
                                        ; implicit-def: $sgpr10
	s_and_saveexec_b64 s[8:9], s[6:7]
	s_xor_b64 s[6:7], exec, s[8:9]
	s_cbranch_execnz .LBB9_3133
; %bb.1085:
	s_or_saveexec_b64 s[6:7], s[6:7]
	v_mov_b32_e32 v14, s10
	s_xor_b64 exec, exec, s[6:7]
	s_cbranch_execnz .LBB9_3136
.LBB9_1086:
	s_or_b64 exec, exec, s[6:7]
	s_and_saveexec_b64 s[6:7], s[4:5]
	s_cbranch_execz .LBB9_1088
.LBB9_1087:
	v_bfe_u32 v14, v11, 24, 3
	v_ffbh_u32_e32 v22, v14
	v_min_u32_e32 v22, 32, v22
	v_lshrrev_b32_e32 v20, 27, v11
	v_subrev_u32_e32 v23, 28, v22
	v_and_b32_e32 v15, 0x80000000, v11
	v_and_b32_e32 v20, 15, v20
	v_bfe_u32 v21, v11, 27, 4
	v_lshlrev_b32_sdwa v11, v23, v11 dst_sel:DWORD dst_unused:UNUSED_PAD src0_sel:DWORD src1_sel:BYTE_3
	v_sub_u32_e32 v22, 29, v22
	v_and_b32_e32 v11, 7, v11
	v_cmp_eq_u16_e32 vcc, 0, v20
	v_cndmask_b32_e32 v11, v14, v11, vcc
	v_cndmask_b32_e32 v14, v21, v22, vcc
	v_mov_b32_e32 v20, 0x3b800000
	v_lshlrev_b32_e32 v11, 20, v11
	v_lshl_add_u32 v14, v14, 23, v20
	v_or3_b32 v14, v15, v14, v11
.LBB9_1088:
	s_or_b64 exec, exec, s[6:7]
	s_nop 0
	v_mfma_f32_16x16x4f32 a[0:3], v10, v14, a[0:3]
	s_movk_i32 s4, 0x7f
	v_cmp_gt_i16_sdwa s[6:7], v16, s4 src0_sel:BYTE_0 src1_sel:DWORD
	s_mov_b64 s[4:5], 0
                                        ; implicit-def: $sgpr10
	s_and_saveexec_b64 s[8:9], s[6:7]
	s_xor_b64 s[6:7], exec, s[8:9]
	s_cbranch_execnz .LBB9_3137
; %bb.1089:
	s_or_saveexec_b64 s[6:7], s[6:7]
	v_mov_b32_e32 v10, s10
	s_xor_b64 exec, exec, s[6:7]
	s_cbranch_execnz .LBB9_3140
.LBB9_1090:
	s_or_b64 exec, exec, s[6:7]
	s_and_saveexec_b64 s[6:7], s[4:5]
	s_cbranch_execz .LBB9_1092
.LBB9_1091:
	v_and_b32_e32 v10, 7, v16
	v_ffbh_u32_e32 v14, v10
	v_min_u32_e32 v14, 32, v14
	v_lshrrev_b16_e32 v11, 3, v16
	v_subrev_u32_e32 v15, 28, v14
	v_and_b32_e32 v11, 15, v11
	v_lshlrev_b32_e32 v15, v15, v16
	v_sub_u32_e32 v14, 29, v14
	v_and_b32_e32 v15, 7, v15
	v_cmp_eq_u16_e32 vcc, 0, v11
	v_cndmask_b32_e32 v10, v10, v15, vcc
	v_cndmask_b32_e32 v11, v11, v14, vcc
	v_lshlrev_b32_e32 v14, 24, v16
	v_mov_b32_e32 v15, 0x3b800000
	v_lshlrev_b32_e32 v10, 20, v10
	v_and_b32_e32 v14, 0x80000000, v14
	v_lshl_add_u32 v11, v11, 23, v15
	v_or3_b32 v10, v14, v11, v10
.LBB9_1092:
	s_or_b64 exec, exec, s[6:7]
	s_movk_i32 s4, 0x7f
	v_cmp_gt_i16_sdwa s[6:7], v12, s4 src0_sel:BYTE_0 src1_sel:DWORD
	s_mov_b64 s[4:5], 0
                                        ; implicit-def: $sgpr10
	s_and_saveexec_b64 s[8:9], s[6:7]
	s_xor_b64 s[6:7], exec, s[8:9]
	s_cbranch_execnz .LBB9_3141
; %bb.1093:
	s_or_saveexec_b64 s[6:7], s[6:7]
	v_mov_b32_e32 v11, s10
	s_xor_b64 exec, exec, s[6:7]
	s_cbranch_execnz .LBB9_3144
.LBB9_1094:
	s_or_b64 exec, exec, s[6:7]
	s_and_saveexec_b64 s[6:7], s[4:5]
	s_cbranch_execz .LBB9_1096
.LBB9_1095:
	v_and_b32_e32 v11, 7, v12
	v_ffbh_u32_e32 v15, v11
	v_min_u32_e32 v15, 32, v15
	v_lshrrev_b16_e32 v14, 3, v12
	v_subrev_u32_e32 v20, 28, v15
	v_and_b32_e32 v14, 15, v14
	v_lshlrev_b32_e32 v20, v20, v12
	v_sub_u32_e32 v15, 29, v15
	v_and_b32_e32 v20, 7, v20
	v_cmp_eq_u16_e32 vcc, 0, v14
	v_cndmask_b32_e32 v11, v11, v20, vcc
	v_cndmask_b32_e32 v14, v14, v15, vcc
	v_lshlrev_b32_e32 v15, 24, v12
	v_mov_b32_e32 v20, 0x3b800000
	v_lshlrev_b32_e32 v11, 20, v11
	v_and_b32_e32 v15, 0x80000000, v15
	v_lshl_add_u32 v14, v14, 23, v20
	v_or3_b32 v11, v15, v14, v11
.LBB9_1096:
	s_or_b64 exec, exec, s[6:7]
	s_nop 0
	v_mfma_f32_16x16x4f32 a[0:3], v10, v11, a[0:3]
	v_lshrrev_b32_e32 v11, 8, v16
	s_movk_i32 s4, 0x7f
	v_cmp_gt_i16_sdwa s[6:7], v11, s4 src0_sel:BYTE_0 src1_sel:DWORD
	s_mov_b64 s[4:5], 0
                                        ; implicit-def: $sgpr10
	s_and_saveexec_b64 s[8:9], s[6:7]
	s_xor_b64 s[6:7], exec, s[8:9]
	s_cbranch_execnz .LBB9_3145
; %bb.1097:
	s_or_saveexec_b64 s[6:7], s[6:7]
	v_mov_b32_e32 v10, s10
	s_xor_b64 exec, exec, s[6:7]
	s_cbranch_execnz .LBB9_3148
.LBB9_1098:
	s_or_b64 exec, exec, s[6:7]
	s_and_saveexec_b64 s[6:7], s[4:5]
	s_cbranch_execz .LBB9_1100
.LBB9_1099:
	v_bfe_u32 v10, v16, 8, 3
	v_ffbh_u32_e32 v15, v10
	v_min_u32_e32 v15, 32, v15
	v_lshrrev_b16_e32 v14, 3, v11
	v_subrev_u32_e32 v20, 28, v15
	v_and_b32_e32 v14, 15, v14
	v_lshlrev_b32_e32 v11, v20, v11
	v_sub_u32_e32 v15, 29, v15
	v_and_b32_e32 v11, 7, v11
	v_cmp_eq_u16_e32 vcc, 0, v14
	v_cndmask_b32_e32 v10, v10, v11, vcc
	v_cndmask_b32_e32 v11, v14, v15, vcc
	v_lshlrev_b32_e32 v14, 16, v16
	v_mov_b32_e32 v15, 0x3b800000
	v_lshlrev_b32_e32 v10, 20, v10
	v_and_b32_e32 v14, 0x80000000, v14
	v_lshl_add_u32 v11, v11, 23, v15
	v_or3_b32 v10, v14, v11, v10
.LBB9_1100:
	s_or_b64 exec, exec, s[6:7]
	v_lshrrev_b32_e32 v11, 8, v12
	s_movk_i32 s4, 0x7f
	v_cmp_gt_i16_sdwa s[6:7], v11, s4 src0_sel:BYTE_0 src1_sel:DWORD
	s_mov_b64 s[4:5], 0
                                        ; implicit-def: $sgpr10
	s_and_saveexec_b64 s[8:9], s[6:7]
	s_xor_b64 s[6:7], exec, s[8:9]
	s_cbranch_execnz .LBB9_3149
; %bb.1101:
	s_or_saveexec_b64 s[6:7], s[6:7]
	v_mov_b32_e32 v14, s10
	s_xor_b64 exec, exec, s[6:7]
	s_cbranch_execnz .LBB9_3152
.LBB9_1102:
	s_or_b64 exec, exec, s[6:7]
	s_and_saveexec_b64 s[6:7], s[4:5]
	s_cbranch_execz .LBB9_1104
.LBB9_1103:
	v_bfe_u32 v14, v12, 8, 3
	v_ffbh_u32_e32 v20, v14
	v_min_u32_e32 v20, 32, v20
	v_lshrrev_b16_e32 v15, 3, v11
	v_subrev_u32_e32 v21, 28, v20
	v_and_b32_e32 v15, 15, v15
	v_lshlrev_b32_e32 v11, v21, v11
	v_sub_u32_e32 v20, 29, v20
	v_and_b32_e32 v11, 7, v11
	v_cmp_eq_u16_e32 vcc, 0, v15
	v_cndmask_b32_e32 v11, v14, v11, vcc
	v_cndmask_b32_e32 v14, v15, v20, vcc
	v_lshlrev_b32_e32 v15, 16, v12
	v_mov_b32_e32 v20, 0x3b800000
	v_lshlrev_b32_e32 v11, 20, v11
	v_and_b32_e32 v15, 0x80000000, v15
	v_lshl_add_u32 v14, v14, 23, v20
	v_or3_b32 v14, v15, v14, v11
.LBB9_1104:
	s_or_b64 exec, exec, s[6:7]
	s_nop 0
	v_mfma_f32_16x16x4f32 a[0:3], v10, v14, a[0:3]
	s_movk_i32 s4, 0xff
	v_and_b32_sdwa v11, v16, s4 dst_sel:DWORD dst_unused:UNUSED_PAD src0_sel:WORD_1 src1_sel:DWORD
	s_movk_i32 s4, 0x7f
	v_cmp_lt_i16_e32 vcc, s4, v11
	s_mov_b64 s[4:5], 0
                                        ; implicit-def: $sgpr10
	s_and_saveexec_b64 s[6:7], vcc
	s_xor_b64 s[6:7], exec, s[6:7]
	s_cbranch_execnz .LBB9_3153
; %bb.1105:
	s_or_saveexec_b64 s[6:7], s[6:7]
	v_mov_b32_e32 v10, s10
	s_xor_b64 exec, exec, s[6:7]
	s_cbranch_execnz .LBB9_3156
.LBB9_1106:
	s_or_b64 exec, exec, s[6:7]
	s_and_saveexec_b64 s[6:7], s[4:5]
	s_cbranch_execz .LBB9_1108
.LBB9_1107:
	v_bfe_u32 v10, v16, 16, 3
	v_ffbh_u32_e32 v15, v10
	v_min_u32_e32 v15, 32, v15
	v_lshrrev_b32_e32 v11, 19, v16
	v_subrev_u32_e32 v20, 28, v15
	v_and_b32_e32 v11, 15, v11
	v_lshlrev_b32_sdwa v20, v20, v16 dst_sel:DWORD dst_unused:UNUSED_PAD src0_sel:DWORD src1_sel:WORD_1
	v_bfe_u32 v14, v16, 19, 4
	v_sub_u32_e32 v15, 29, v15
	v_and_b32_e32 v20, 7, v20
	v_cmp_eq_u16_e32 vcc, 0, v11
	v_cndmask_b32_e32 v10, v10, v20, vcc
	v_cndmask_b32_e32 v11, v14, v15, vcc
	v_lshlrev_b32_e32 v14, 8, v16
	v_mov_b32_e32 v15, 0x3b800000
	v_lshlrev_b32_e32 v10, 20, v10
	v_and_b32_e32 v14, 0x80000000, v14
	v_lshl_add_u32 v11, v11, 23, v15
	v_or3_b32 v10, v14, v11, v10
.LBB9_1108:
	s_or_b64 exec, exec, s[6:7]
	s_movk_i32 s4, 0xff
	v_and_b32_sdwa v11, v12, s4 dst_sel:DWORD dst_unused:UNUSED_PAD src0_sel:WORD_1 src1_sel:DWORD
	s_movk_i32 s4, 0x7f
	v_cmp_lt_i16_e32 vcc, s4, v11
	s_mov_b64 s[4:5], 0
                                        ; implicit-def: $sgpr10
	s_and_saveexec_b64 s[6:7], vcc
	s_xor_b64 s[6:7], exec, s[6:7]
	s_cbranch_execnz .LBB9_3157
; %bb.1109:
	s_or_saveexec_b64 s[6:7], s[6:7]
	v_mov_b32_e32 v14, s10
	s_xor_b64 exec, exec, s[6:7]
	s_cbranch_execnz .LBB9_3160
.LBB9_1110:
	s_or_b64 exec, exec, s[6:7]
	s_and_saveexec_b64 s[6:7], s[4:5]
	s_cbranch_execz .LBB9_1112
.LBB9_1111:
	v_bfe_u32 v11, v12, 16, 3
	v_ffbh_u32_e32 v20, v11
	v_min_u32_e32 v20, 32, v20
	v_lshrrev_b32_e32 v14, 19, v12
	v_subrev_u32_e32 v21, 28, v20
	v_and_b32_e32 v14, 15, v14
	v_lshlrev_b32_sdwa v21, v21, v12 dst_sel:DWORD dst_unused:UNUSED_PAD src0_sel:DWORD src1_sel:WORD_1
	v_bfe_u32 v15, v12, 19, 4
	v_sub_u32_e32 v20, 29, v20
	v_and_b32_e32 v21, 7, v21
	v_cmp_eq_u16_e32 vcc, 0, v14
	v_cndmask_b32_e32 v11, v11, v21, vcc
	v_cndmask_b32_e32 v14, v15, v20, vcc
	v_lshlrev_b32_e32 v15, 8, v12
	v_mov_b32_e32 v20, 0x3b800000
	v_lshlrev_b32_e32 v11, 20, v11
	v_and_b32_e32 v15, 0x80000000, v15
	v_lshl_add_u32 v14, v14, 23, v20
	v_or3_b32 v14, v15, v14, v11
.LBB9_1112:
	s_or_b64 exec, exec, s[6:7]
	s_nop 0
	v_mfma_f32_16x16x4f32 a[0:3], v10, v14, a[0:3]
	s_movk_i32 s4, 0x7f
	v_cmp_gt_i16_sdwa s[6:7], v16, s4 src0_sel:BYTE_3 src1_sel:DWORD
	s_mov_b64 s[4:5], 0
                                        ; implicit-def: $sgpr10
	s_and_saveexec_b64 s[8:9], s[6:7]
	s_xor_b64 s[6:7], exec, s[8:9]
	s_cbranch_execnz .LBB9_3161
; %bb.1113:
	s_or_saveexec_b64 s[6:7], s[6:7]
	v_mov_b32_e32 v10, s10
	s_xor_b64 exec, exec, s[6:7]
	s_cbranch_execnz .LBB9_3164
.LBB9_1114:
	s_or_b64 exec, exec, s[6:7]
	s_and_saveexec_b64 s[6:7], s[4:5]
	s_cbranch_execz .LBB9_1116
.LBB9_1115:
	v_bfe_u32 v10, v16, 24, 3
	v_ffbh_u32_e32 v20, v10
	v_min_u32_e32 v20, 32, v20
	v_lshrrev_b32_e32 v14, 27, v16
	v_subrev_u32_e32 v21, 28, v20
	v_and_b32_e32 v11, 0x80000000, v16
	v_and_b32_e32 v14, 15, v14
	v_bfe_u32 v15, v16, 27, 4
	v_lshlrev_b32_sdwa v16, v21, v16 dst_sel:DWORD dst_unused:UNUSED_PAD src0_sel:DWORD src1_sel:BYTE_3
	v_sub_u32_e32 v20, 29, v20
	v_and_b32_e32 v16, 7, v16
	v_cmp_eq_u16_e32 vcc, 0, v14
	v_cndmask_b32_e32 v10, v10, v16, vcc
	v_cndmask_b32_e32 v14, v15, v20, vcc
	v_mov_b32_e32 v15, 0x3b800000
	v_lshlrev_b32_e32 v10, 20, v10
	v_lshl_add_u32 v14, v14, 23, v15
	v_or3_b32 v10, v11, v14, v10
.LBB9_1116:
	s_or_b64 exec, exec, s[6:7]
	s_movk_i32 s4, 0x7f
	v_cmp_gt_i16_sdwa s[6:7], v12, s4 src0_sel:BYTE_3 src1_sel:DWORD
	s_mov_b64 s[4:5], 0
                                        ; implicit-def: $sgpr10
	s_and_saveexec_b64 s[8:9], s[6:7]
	s_xor_b64 s[6:7], exec, s[8:9]
	s_cbranch_execnz .LBB9_3165
; %bb.1117:
	s_or_saveexec_b64 s[6:7], s[6:7]
	v_mov_b32_e32 v11, s10
	s_xor_b64 exec, exec, s[6:7]
	s_cbranch_execnz .LBB9_3168
.LBB9_1118:
	s_or_b64 exec, exec, s[6:7]
	s_and_saveexec_b64 s[6:7], s[4:5]
	s_cbranch_execz .LBB9_1120
.LBB9_1119:
	v_bfe_u32 v11, v12, 24, 3
	v_ffbh_u32_e32 v20, v11
	v_min_u32_e32 v20, 32, v20
	v_lshrrev_b32_e32 v15, 27, v12
	v_subrev_u32_e32 v21, 28, v20
	v_and_b32_e32 v14, 0x80000000, v12
	v_and_b32_e32 v15, 15, v15
	v_bfe_u32 v16, v12, 27, 4
	v_lshlrev_b32_sdwa v12, v21, v12 dst_sel:DWORD dst_unused:UNUSED_PAD src0_sel:DWORD src1_sel:BYTE_3
	v_sub_u32_e32 v20, 29, v20
	v_and_b32_e32 v12, 7, v12
	v_cmp_eq_u16_e32 vcc, 0, v15
	v_cndmask_b32_e32 v11, v11, v12, vcc
	v_cndmask_b32_e32 v12, v16, v20, vcc
	v_mov_b32_e32 v15, 0x3b800000
	v_lshlrev_b32_e32 v11, 20, v11
	v_lshl_add_u32 v12, v12, 23, v15
	v_or3_b32 v11, v14, v12, v11
.LBB9_1120:
	s_or_b64 exec, exec, s[6:7]
	s_nop 0
	v_mfma_f32_16x16x4f32 a[0:3], v10, v11, a[0:3]
	s_movk_i32 s4, 0x7f
	v_cmp_gt_i16_sdwa s[6:7], v17, s4 src0_sel:BYTE_0 src1_sel:DWORD
	s_mov_b64 s[4:5], 0
                                        ; implicit-def: $sgpr10
	s_and_saveexec_b64 s[8:9], s[6:7]
	s_xor_b64 s[6:7], exec, s[8:9]
	s_cbranch_execnz .LBB9_3169
; %bb.1121:
	s_or_saveexec_b64 s[6:7], s[6:7]
	v_mov_b32_e32 v10, s10
	s_xor_b64 exec, exec, s[6:7]
	s_cbranch_execnz .LBB9_3172
.LBB9_1122:
	s_or_b64 exec, exec, s[6:7]
	s_and_saveexec_b64 s[6:7], s[4:5]
	s_cbranch_execz .LBB9_1124
.LBB9_1123:
	v_and_b32_e32 v10, 7, v17
	v_ffbh_u32_e32 v12, v10
	v_min_u32_e32 v12, 32, v12
	v_lshrrev_b16_e32 v11, 3, v17
	v_subrev_u32_e32 v14, 28, v12
	v_and_b32_e32 v11, 15, v11
	v_lshlrev_b32_e32 v14, v14, v17
	v_sub_u32_e32 v12, 29, v12
	v_and_b32_e32 v14, 7, v14
	v_cmp_eq_u16_e32 vcc, 0, v11
	v_cndmask_b32_e32 v10, v10, v14, vcc
	v_cndmask_b32_e32 v11, v11, v12, vcc
	v_lshlrev_b32_e32 v12, 24, v17
	v_mov_b32_e32 v14, 0x3b800000
	v_lshlrev_b32_e32 v10, 20, v10
	v_and_b32_e32 v12, 0x80000000, v12
	v_lshl_add_u32 v11, v11, 23, v14
	v_or3_b32 v10, v12, v11, v10
.LBB9_1124:
	s_or_b64 exec, exec, s[6:7]
	s_movk_i32 s4, 0x7f
	v_cmp_gt_i16_sdwa s[6:7], v13, s4 src0_sel:BYTE_0 src1_sel:DWORD
	s_mov_b64 s[4:5], 0
                                        ; implicit-def: $sgpr10
	s_and_saveexec_b64 s[8:9], s[6:7]
	s_xor_b64 s[6:7], exec, s[8:9]
	s_cbranch_execnz .LBB9_3173
; %bb.1125:
	s_or_saveexec_b64 s[6:7], s[6:7]
	v_mov_b32_e32 v11, s10
	s_xor_b64 exec, exec, s[6:7]
	s_cbranch_execnz .LBB9_3176
.LBB9_1126:
	s_or_b64 exec, exec, s[6:7]
	s_and_saveexec_b64 s[6:7], s[4:5]
	s_cbranch_execz .LBB9_1128
.LBB9_1127:
	v_and_b32_e32 v11, 7, v13
	v_ffbh_u32_e32 v14, v11
	v_min_u32_e32 v14, 32, v14
	v_lshrrev_b16_e32 v12, 3, v13
	v_subrev_u32_e32 v15, 28, v14
	v_and_b32_e32 v12, 15, v12
	v_lshlrev_b32_e32 v15, v15, v13
	v_sub_u32_e32 v14, 29, v14
	v_and_b32_e32 v15, 7, v15
	v_cmp_eq_u16_e32 vcc, 0, v12
	v_cndmask_b32_e32 v11, v11, v15, vcc
	v_cndmask_b32_e32 v12, v12, v14, vcc
	v_lshlrev_b32_e32 v14, 24, v13
	v_mov_b32_e32 v15, 0x3b800000
	v_lshlrev_b32_e32 v11, 20, v11
	v_and_b32_e32 v14, 0x80000000, v14
	v_lshl_add_u32 v12, v12, 23, v15
	v_or3_b32 v11, v14, v12, v11
.LBB9_1128:
	s_or_b64 exec, exec, s[6:7]
	s_nop 0
	v_mfma_f32_16x16x4f32 a[0:3], v10, v11, a[0:3]
	v_lshrrev_b32_e32 v11, 8, v17
	s_movk_i32 s4, 0x7f
	v_cmp_gt_i16_sdwa s[6:7], v11, s4 src0_sel:BYTE_0 src1_sel:DWORD
	s_mov_b64 s[4:5], 0
                                        ; implicit-def: $sgpr10
	s_and_saveexec_b64 s[8:9], s[6:7]
	s_xor_b64 s[6:7], exec, s[8:9]
	s_cbranch_execnz .LBB9_3177
; %bb.1129:
	s_or_saveexec_b64 s[6:7], s[6:7]
	v_mov_b32_e32 v10, s10
	s_xor_b64 exec, exec, s[6:7]
	s_cbranch_execnz .LBB9_3180
.LBB9_1130:
	s_or_b64 exec, exec, s[6:7]
	s_and_saveexec_b64 s[6:7], s[4:5]
	s_cbranch_execz .LBB9_1132
.LBB9_1131:
	v_bfe_u32 v10, v17, 8, 3
	v_ffbh_u32_e32 v14, v10
	v_min_u32_e32 v14, 32, v14
	v_lshrrev_b16_e32 v12, 3, v11
	v_subrev_u32_e32 v15, 28, v14
	v_and_b32_e32 v12, 15, v12
	v_lshlrev_b32_e32 v11, v15, v11
	v_sub_u32_e32 v14, 29, v14
	v_and_b32_e32 v11, 7, v11
	v_cmp_eq_u16_e32 vcc, 0, v12
	v_cndmask_b32_e32 v10, v10, v11, vcc
	v_cndmask_b32_e32 v11, v12, v14, vcc
	v_lshlrev_b32_e32 v12, 16, v17
	v_mov_b32_e32 v14, 0x3b800000
	v_lshlrev_b32_e32 v10, 20, v10
	v_and_b32_e32 v12, 0x80000000, v12
	v_lshl_add_u32 v11, v11, 23, v14
	v_or3_b32 v10, v12, v11, v10
.LBB9_1132:
	s_or_b64 exec, exec, s[6:7]
	v_lshrrev_b32_e32 v11, 8, v13
	s_movk_i32 s4, 0x7f
	v_cmp_gt_i16_sdwa s[6:7], v11, s4 src0_sel:BYTE_0 src1_sel:DWORD
	s_mov_b64 s[4:5], 0
                                        ; implicit-def: $sgpr10
	s_and_saveexec_b64 s[8:9], s[6:7]
	s_xor_b64 s[6:7], exec, s[8:9]
	s_cbranch_execnz .LBB9_3181
; %bb.1133:
	s_or_saveexec_b64 s[6:7], s[6:7]
	v_mov_b32_e32 v12, s10
	s_xor_b64 exec, exec, s[6:7]
	s_cbranch_execnz .LBB9_3184
.LBB9_1134:
	s_or_b64 exec, exec, s[6:7]
	s_and_saveexec_b64 s[6:7], s[4:5]
	s_cbranch_execz .LBB9_1136
.LBB9_1135:
	v_bfe_u32 v12, v13, 8, 3
	v_ffbh_u32_e32 v15, v12
	v_min_u32_e32 v15, 32, v15
	v_lshrrev_b16_e32 v14, 3, v11
	v_subrev_u32_e32 v16, 28, v15
	v_and_b32_e32 v14, 15, v14
	v_lshlrev_b32_e32 v11, v16, v11
	v_sub_u32_e32 v15, 29, v15
	v_and_b32_e32 v11, 7, v11
	v_cmp_eq_u16_e32 vcc, 0, v14
	v_cndmask_b32_e32 v11, v12, v11, vcc
	v_cndmask_b32_e32 v12, v14, v15, vcc
	v_lshlrev_b32_e32 v14, 16, v13
	v_mov_b32_e32 v15, 0x3b800000
	v_lshlrev_b32_e32 v11, 20, v11
	v_and_b32_e32 v14, 0x80000000, v14
	v_lshl_add_u32 v12, v12, 23, v15
	v_or3_b32 v12, v14, v12, v11
.LBB9_1136:
	s_or_b64 exec, exec, s[6:7]
	s_nop 0
	v_mfma_f32_16x16x4f32 a[0:3], v10, v12, a[0:3]
	s_movk_i32 s4, 0xff
	v_and_b32_sdwa v11, v17, s4 dst_sel:DWORD dst_unused:UNUSED_PAD src0_sel:WORD_1 src1_sel:DWORD
	s_movk_i32 s4, 0x7f
	v_cmp_lt_i16_e32 vcc, s4, v11
	s_mov_b64 s[4:5], 0
                                        ; implicit-def: $sgpr10
	s_and_saveexec_b64 s[6:7], vcc
	s_xor_b64 s[6:7], exec, s[6:7]
	s_cbranch_execnz .LBB9_3185
; %bb.1137:
	s_or_saveexec_b64 s[6:7], s[6:7]
	v_mov_b32_e32 v10, s10
	s_xor_b64 exec, exec, s[6:7]
	s_cbranch_execnz .LBB9_3188
.LBB9_1138:
	s_or_b64 exec, exec, s[6:7]
	s_and_saveexec_b64 s[6:7], s[4:5]
	s_cbranch_execz .LBB9_1140
.LBB9_1139:
	v_bfe_u32 v10, v17, 16, 3
	v_ffbh_u32_e32 v14, v10
	v_min_u32_e32 v14, 32, v14
	v_lshrrev_b32_e32 v11, 19, v17
	v_subrev_u32_e32 v15, 28, v14
	v_and_b32_e32 v11, 15, v11
	v_lshlrev_b32_sdwa v15, v15, v17 dst_sel:DWORD dst_unused:UNUSED_PAD src0_sel:DWORD src1_sel:WORD_1
	v_bfe_u32 v12, v17, 19, 4
	v_sub_u32_e32 v14, 29, v14
	v_and_b32_e32 v15, 7, v15
	v_cmp_eq_u16_e32 vcc, 0, v11
	v_cndmask_b32_e32 v10, v10, v15, vcc
	v_cndmask_b32_e32 v11, v12, v14, vcc
	v_lshlrev_b32_e32 v12, 8, v17
	v_mov_b32_e32 v14, 0x3b800000
	v_lshlrev_b32_e32 v10, 20, v10
	v_and_b32_e32 v12, 0x80000000, v12
	v_lshl_add_u32 v11, v11, 23, v14
	v_or3_b32 v10, v12, v11, v10
.LBB9_1140:
	s_or_b64 exec, exec, s[6:7]
	s_movk_i32 s4, 0xff
	v_and_b32_sdwa v11, v13, s4 dst_sel:DWORD dst_unused:UNUSED_PAD src0_sel:WORD_1 src1_sel:DWORD
	s_movk_i32 s4, 0x7f
	v_cmp_lt_i16_e32 vcc, s4, v11
	s_mov_b64 s[4:5], 0
                                        ; implicit-def: $sgpr10
	s_and_saveexec_b64 s[6:7], vcc
	s_xor_b64 s[6:7], exec, s[6:7]
	s_cbranch_execnz .LBB9_3189
; %bb.1141:
	s_or_saveexec_b64 s[6:7], s[6:7]
	v_mov_b32_e32 v12, s10
	s_xor_b64 exec, exec, s[6:7]
	s_cbranch_execnz .LBB9_3192
.LBB9_1142:
	s_or_b64 exec, exec, s[6:7]
	s_and_saveexec_b64 s[6:7], s[4:5]
	s_cbranch_execz .LBB9_1144
.LBB9_1143:
	v_bfe_u32 v11, v13, 16, 3
	v_ffbh_u32_e32 v15, v11
	v_min_u32_e32 v15, 32, v15
	v_lshrrev_b32_e32 v12, 19, v13
	v_subrev_u32_e32 v16, 28, v15
	v_and_b32_e32 v12, 15, v12
	v_lshlrev_b32_sdwa v16, v16, v13 dst_sel:DWORD dst_unused:UNUSED_PAD src0_sel:DWORD src1_sel:WORD_1
	v_bfe_u32 v14, v13, 19, 4
	v_sub_u32_e32 v15, 29, v15
	v_and_b32_e32 v16, 7, v16
	v_cmp_eq_u16_e32 vcc, 0, v12
	v_cndmask_b32_e32 v11, v11, v16, vcc
	v_cndmask_b32_e32 v12, v14, v15, vcc
	v_lshlrev_b32_e32 v14, 8, v13
	v_mov_b32_e32 v15, 0x3b800000
	v_lshlrev_b32_e32 v11, 20, v11
	v_and_b32_e32 v14, 0x80000000, v14
	v_lshl_add_u32 v12, v12, 23, v15
	v_or3_b32 v12, v14, v12, v11
.LBB9_1144:
	s_or_b64 exec, exec, s[6:7]
	s_nop 0
	v_mfma_f32_16x16x4f32 a[0:3], v10, v12, a[0:3]
	s_movk_i32 s4, 0x7f
	v_cmp_gt_i16_sdwa s[6:7], v17, s4 src0_sel:BYTE_3 src1_sel:DWORD
	s_mov_b64 s[4:5], 0
                                        ; implicit-def: $sgpr10
	s_and_saveexec_b64 s[8:9], s[6:7]
	s_xor_b64 s[6:7], exec, s[8:9]
	s_cbranch_execnz .LBB9_3193
; %bb.1145:
	s_or_saveexec_b64 s[6:7], s[6:7]
	v_mov_b32_e32 v10, s10
	s_xor_b64 exec, exec, s[6:7]
	s_cbranch_execnz .LBB9_3196
.LBB9_1146:
	s_or_b64 exec, exec, s[6:7]
	s_and_saveexec_b64 s[6:7], s[4:5]
	s_cbranch_execz .LBB9_1148
.LBB9_1147:
	v_bfe_u32 v10, v17, 24, 3
	v_ffbh_u32_e32 v15, v10
	v_min_u32_e32 v15, 32, v15
	v_lshrrev_b32_e32 v12, 27, v17
	v_subrev_u32_e32 v16, 28, v15
	v_and_b32_e32 v12, 15, v12
	v_lshlrev_b32_sdwa v16, v16, v17 dst_sel:DWORD dst_unused:UNUSED_PAD src0_sel:DWORD src1_sel:BYTE_3
	v_bfe_u32 v14, v17, 27, 4
	v_sub_u32_e32 v15, 29, v15
	v_and_b32_e32 v16, 7, v16
	v_cmp_eq_u16_e32 vcc, 0, v12
	v_cndmask_b32_e32 v10, v10, v16, vcc
	v_cndmask_b32_e32 v12, v14, v15, vcc
	v_mov_b32_e32 v14, 0x3b800000
	v_and_b32_e32 v11, 0x80000000, v17
	v_lshlrev_b32_e32 v10, 20, v10
	v_lshl_add_u32 v12, v12, 23, v14
	v_or3_b32 v10, v11, v12, v10
.LBB9_1148:
	s_or_b64 exec, exec, s[6:7]
	s_movk_i32 s4, 0x7f
	v_cmp_gt_i16_sdwa s[6:7], v13, s4 src0_sel:BYTE_3 src1_sel:DWORD
	s_mov_b64 s[4:5], 0
                                        ; implicit-def: $sgpr10
	s_and_saveexec_b64 s[8:9], s[6:7]
	s_xor_b64 s[6:7], exec, s[8:9]
	s_cbranch_execnz .LBB9_3197
; %bb.1149:
	s_or_saveexec_b64 s[6:7], s[6:7]
	v_mov_b32_e32 v11, s10
	s_xor_b64 exec, exec, s[6:7]
	s_cbranch_execnz .LBB9_3200
.LBB9_1150:
	s_or_b64 exec, exec, s[6:7]
	s_and_saveexec_b64 s[6:7], s[4:5]
	s_cbranch_execz .LBB9_1152
.LBB9_1151:
	v_bfe_u32 v11, v13, 24, 3
	v_ffbh_u32_e32 v16, v11
	v_min_u32_e32 v16, 32, v16
	v_lshrrev_b32_e32 v14, 27, v13
	v_subrev_u32_e32 v17, 28, v16
	v_and_b32_e32 v12, 0x80000000, v13
	v_and_b32_e32 v14, 15, v14
	v_bfe_u32 v15, v13, 27, 4
	v_lshlrev_b32_sdwa v13, v17, v13 dst_sel:DWORD dst_unused:UNUSED_PAD src0_sel:DWORD src1_sel:BYTE_3
	v_sub_u32_e32 v16, 29, v16
	v_and_b32_e32 v13, 7, v13
	v_cmp_eq_u16_e32 vcc, 0, v14
	v_cndmask_b32_e32 v11, v11, v13, vcc
	v_cndmask_b32_e32 v13, v15, v16, vcc
	v_mov_b32_e32 v14, 0x3b800000
	v_lshlrev_b32_e32 v11, 20, v11
	v_lshl_add_u32 v13, v13, 23, v14
	v_or3_b32 v11, v12, v13, v11
.LBB9_1152:
	s_or_b64 exec, exec, s[6:7]
	s_nop 0
	v_mfma_f32_16x16x4f32 a[0:3], v10, v11, a[0:3]
	s_movk_i32 s4, 0x7f
	v_cmp_gt_i16_sdwa s[6:7], v6, s4 src0_sel:BYTE_0 src1_sel:DWORD
	s_mov_b64 s[4:5], 0
                                        ; implicit-def: $sgpr10
	s_and_saveexec_b64 s[8:9], s[6:7]
	s_xor_b64 s[6:7], exec, s[8:9]
	s_cbranch_execnz .LBB9_3201
; %bb.1153:
	s_or_saveexec_b64 s[6:7], s[6:7]
	v_mov_b32_e32 v10, s10
	s_xor_b64 exec, exec, s[6:7]
	s_cbranch_execnz .LBB9_3204
.LBB9_1154:
	s_or_b64 exec, exec, s[6:7]
	s_and_saveexec_b64 s[6:7], s[4:5]
	s_cbranch_execz .LBB9_1156
.LBB9_1155:
	v_and_b32_e32 v10, 7, v6
	v_ffbh_u32_e32 v12, v10
	v_min_u32_e32 v12, 32, v12
	v_lshrrev_b16_e32 v11, 3, v6
	v_subrev_u32_e32 v13, 28, v12
	v_and_b32_e32 v11, 15, v11
	v_lshlrev_b32_e32 v13, v13, v6
	v_sub_u32_e32 v12, 29, v12
	v_and_b32_e32 v13, 7, v13
	v_cmp_eq_u16_e32 vcc, 0, v11
	v_cndmask_b32_e32 v10, v10, v13, vcc
	v_cndmask_b32_e32 v11, v11, v12, vcc
	v_lshlrev_b32_e32 v12, 24, v6
	v_mov_b32_e32 v13, 0x3b800000
	v_lshlrev_b32_e32 v10, 20, v10
	v_and_b32_e32 v12, 0x80000000, v12
	v_lshl_add_u32 v11, v11, 23, v13
	v_or3_b32 v10, v12, v11, v10
.LBB9_1156:
	s_or_b64 exec, exec, s[6:7]
	s_movk_i32 s4, 0x7f
	v_cmp_gt_i16_sdwa s[6:7], v2, s4 src0_sel:BYTE_0 src1_sel:DWORD
	s_mov_b64 s[4:5], 0
                                        ; implicit-def: $sgpr10
	s_and_saveexec_b64 s[8:9], s[6:7]
	s_xor_b64 s[6:7], exec, s[8:9]
	s_cbranch_execnz .LBB9_3205
; %bb.1157:
	s_or_saveexec_b64 s[6:7], s[6:7]
	v_mov_b32_e32 v11, s10
	s_xor_b64 exec, exec, s[6:7]
	s_cbranch_execnz .LBB9_3208
.LBB9_1158:
	s_or_b64 exec, exec, s[6:7]
	s_and_saveexec_b64 s[6:7], s[4:5]
	s_cbranch_execz .LBB9_1160
.LBB9_1159:
	v_and_b32_e32 v11, 7, v2
	v_ffbh_u32_e32 v13, v11
	v_min_u32_e32 v13, 32, v13
	v_lshrrev_b16_e32 v12, 3, v2
	v_subrev_u32_e32 v14, 28, v13
	v_and_b32_e32 v12, 15, v12
	v_lshlrev_b32_e32 v14, v14, v2
	v_sub_u32_e32 v13, 29, v13
	v_and_b32_e32 v14, 7, v14
	v_cmp_eq_u16_e32 vcc, 0, v12
	v_cndmask_b32_e32 v11, v11, v14, vcc
	v_cndmask_b32_e32 v12, v12, v13, vcc
	v_lshlrev_b32_e32 v13, 24, v2
	v_mov_b32_e32 v14, 0x3b800000
	v_lshlrev_b32_e32 v11, 20, v11
	v_and_b32_e32 v13, 0x80000000, v13
	v_lshl_add_u32 v12, v12, 23, v14
	v_or3_b32 v11, v13, v12, v11
.LBB9_1160:
	s_or_b64 exec, exec, s[6:7]
	s_nop 0
	v_mfma_f32_16x16x4f32 a[0:3], v10, v11, a[0:3]
	v_lshrrev_b32_e32 v11, 8, v6
	s_movk_i32 s4, 0x7f
	v_cmp_gt_i16_sdwa s[6:7], v11, s4 src0_sel:BYTE_0 src1_sel:DWORD
	s_mov_b64 s[4:5], 0
                                        ; implicit-def: $sgpr10
	s_and_saveexec_b64 s[8:9], s[6:7]
	s_xor_b64 s[6:7], exec, s[8:9]
	s_cbranch_execnz .LBB9_3209
; %bb.1161:
	s_or_saveexec_b64 s[6:7], s[6:7]
	v_mov_b32_e32 v10, s10
	s_xor_b64 exec, exec, s[6:7]
	s_cbranch_execnz .LBB9_3212
.LBB9_1162:
	s_or_b64 exec, exec, s[6:7]
	s_and_saveexec_b64 s[6:7], s[4:5]
	s_cbranch_execz .LBB9_1164
.LBB9_1163:
	v_bfe_u32 v10, v6, 8, 3
	v_ffbh_u32_e32 v13, v10
	v_min_u32_e32 v13, 32, v13
	v_lshrrev_b16_e32 v12, 3, v11
	v_subrev_u32_e32 v14, 28, v13
	v_and_b32_e32 v12, 15, v12
	v_lshlrev_b32_e32 v11, v14, v11
	v_sub_u32_e32 v13, 29, v13
	v_and_b32_e32 v11, 7, v11
	v_cmp_eq_u16_e32 vcc, 0, v12
	v_cndmask_b32_e32 v10, v10, v11, vcc
	v_cndmask_b32_e32 v11, v12, v13, vcc
	v_lshlrev_b32_e32 v12, 16, v6
	v_mov_b32_e32 v13, 0x3b800000
	v_lshlrev_b32_e32 v10, 20, v10
	v_and_b32_e32 v12, 0x80000000, v12
	v_lshl_add_u32 v11, v11, 23, v13
	v_or3_b32 v10, v12, v11, v10
.LBB9_1164:
	s_or_b64 exec, exec, s[6:7]
	v_lshrrev_b32_e32 v11, 8, v2
	s_movk_i32 s4, 0x7f
	v_cmp_gt_i16_sdwa s[6:7], v11, s4 src0_sel:BYTE_0 src1_sel:DWORD
	s_mov_b64 s[4:5], 0
                                        ; implicit-def: $sgpr10
	s_and_saveexec_b64 s[8:9], s[6:7]
	s_xor_b64 s[6:7], exec, s[8:9]
	s_cbranch_execnz .LBB9_3213
; %bb.1165:
	s_or_saveexec_b64 s[6:7], s[6:7]
	v_mov_b32_e32 v12, s10
	s_xor_b64 exec, exec, s[6:7]
	s_cbranch_execnz .LBB9_3216
.LBB9_1166:
	s_or_b64 exec, exec, s[6:7]
	s_and_saveexec_b64 s[6:7], s[4:5]
	s_cbranch_execz .LBB9_1168
.LBB9_1167:
	v_bfe_u32 v12, v2, 8, 3
	v_ffbh_u32_e32 v14, v12
	v_min_u32_e32 v14, 32, v14
	v_lshrrev_b16_e32 v13, 3, v11
	v_subrev_u32_e32 v15, 28, v14
	v_and_b32_e32 v13, 15, v13
	v_lshlrev_b32_e32 v11, v15, v11
	v_sub_u32_e32 v14, 29, v14
	v_and_b32_e32 v11, 7, v11
	v_cmp_eq_u16_e32 vcc, 0, v13
	v_cndmask_b32_e32 v11, v12, v11, vcc
	v_cndmask_b32_e32 v12, v13, v14, vcc
	v_lshlrev_b32_e32 v13, 16, v2
	v_mov_b32_e32 v14, 0x3b800000
	v_lshlrev_b32_e32 v11, 20, v11
	v_and_b32_e32 v13, 0x80000000, v13
	v_lshl_add_u32 v12, v12, 23, v14
	v_or3_b32 v12, v13, v12, v11
.LBB9_1168:
	s_or_b64 exec, exec, s[6:7]
	s_nop 0
	v_mfma_f32_16x16x4f32 a[0:3], v10, v12, a[0:3]
	s_movk_i32 s4, 0xff
	v_and_b32_sdwa v11, v6, s4 dst_sel:DWORD dst_unused:UNUSED_PAD src0_sel:WORD_1 src1_sel:DWORD
	s_movk_i32 s4, 0x7f
	v_cmp_lt_i16_e32 vcc, s4, v11
	s_mov_b64 s[4:5], 0
                                        ; implicit-def: $sgpr10
	s_and_saveexec_b64 s[6:7], vcc
	s_xor_b64 s[6:7], exec, s[6:7]
	s_cbranch_execnz .LBB9_3217
; %bb.1169:
	s_or_saveexec_b64 s[6:7], s[6:7]
	v_mov_b32_e32 v10, s10
	s_xor_b64 exec, exec, s[6:7]
	s_cbranch_execnz .LBB9_3220
.LBB9_1170:
	s_or_b64 exec, exec, s[6:7]
	s_and_saveexec_b64 s[6:7], s[4:5]
	s_cbranch_execz .LBB9_1172
.LBB9_1171:
	v_bfe_u32 v10, v6, 16, 3
	v_ffbh_u32_e32 v13, v10
	v_min_u32_e32 v13, 32, v13
	v_lshrrev_b32_e32 v11, 19, v6
	v_subrev_u32_e32 v14, 28, v13
	v_and_b32_e32 v11, 15, v11
	v_lshlrev_b32_sdwa v14, v14, v6 dst_sel:DWORD dst_unused:UNUSED_PAD src0_sel:DWORD src1_sel:WORD_1
	v_bfe_u32 v12, v6, 19, 4
	v_sub_u32_e32 v13, 29, v13
	v_and_b32_e32 v14, 7, v14
	v_cmp_eq_u16_e32 vcc, 0, v11
	v_cndmask_b32_e32 v10, v10, v14, vcc
	v_cndmask_b32_e32 v11, v12, v13, vcc
	v_lshlrev_b32_e32 v12, 8, v6
	v_mov_b32_e32 v13, 0x3b800000
	v_lshlrev_b32_e32 v10, 20, v10
	v_and_b32_e32 v12, 0x80000000, v12
	v_lshl_add_u32 v11, v11, 23, v13
	v_or3_b32 v10, v12, v11, v10
.LBB9_1172:
	s_or_b64 exec, exec, s[6:7]
	s_movk_i32 s4, 0xff
	v_and_b32_sdwa v11, v2, s4 dst_sel:DWORD dst_unused:UNUSED_PAD src0_sel:WORD_1 src1_sel:DWORD
	s_movk_i32 s4, 0x7f
	v_cmp_lt_i16_e32 vcc, s4, v11
	s_mov_b64 s[4:5], 0
                                        ; implicit-def: $sgpr10
	s_and_saveexec_b64 s[6:7], vcc
	s_xor_b64 s[6:7], exec, s[6:7]
	s_cbranch_execnz .LBB9_3221
; %bb.1173:
	s_or_saveexec_b64 s[6:7], s[6:7]
	v_mov_b32_e32 v12, s10
	s_xor_b64 exec, exec, s[6:7]
	s_cbranch_execnz .LBB9_3224
.LBB9_1174:
	s_or_b64 exec, exec, s[6:7]
	s_and_saveexec_b64 s[6:7], s[4:5]
	s_cbranch_execz .LBB9_1176
.LBB9_1175:
	v_bfe_u32 v11, v2, 16, 3
	v_ffbh_u32_e32 v14, v11
	v_min_u32_e32 v14, 32, v14
	v_lshrrev_b32_e32 v12, 19, v2
	v_subrev_u32_e32 v15, 28, v14
	v_and_b32_e32 v12, 15, v12
	v_lshlrev_b32_sdwa v15, v15, v2 dst_sel:DWORD dst_unused:UNUSED_PAD src0_sel:DWORD src1_sel:WORD_1
	v_bfe_u32 v13, v2, 19, 4
	v_sub_u32_e32 v14, 29, v14
	v_and_b32_e32 v15, 7, v15
	v_cmp_eq_u16_e32 vcc, 0, v12
	v_cndmask_b32_e32 v11, v11, v15, vcc
	v_cndmask_b32_e32 v12, v13, v14, vcc
	v_lshlrev_b32_e32 v13, 8, v2
	v_mov_b32_e32 v14, 0x3b800000
	v_lshlrev_b32_e32 v11, 20, v11
	v_and_b32_e32 v13, 0x80000000, v13
	v_lshl_add_u32 v12, v12, 23, v14
	v_or3_b32 v12, v13, v12, v11
.LBB9_1176:
	s_or_b64 exec, exec, s[6:7]
	s_nop 0
	v_mfma_f32_16x16x4f32 a[0:3], v10, v12, a[0:3]
	s_movk_i32 s4, 0x7f
	v_cmp_gt_i16_sdwa s[6:7], v6, s4 src0_sel:BYTE_3 src1_sel:DWORD
	s_mov_b64 s[4:5], 0
                                        ; implicit-def: $sgpr10
	s_and_saveexec_b64 s[8:9], s[6:7]
	s_xor_b64 s[6:7], exec, s[8:9]
	s_cbranch_execnz .LBB9_3225
; %bb.1177:
	s_or_saveexec_b64 s[6:7], s[6:7]
	v_mov_b32_e32 v10, s10
	s_xor_b64 exec, exec, s[6:7]
	s_cbranch_execnz .LBB9_3228
.LBB9_1178:
	s_or_b64 exec, exec, s[6:7]
	s_and_saveexec_b64 s[6:7], s[4:5]
	s_cbranch_execz .LBB9_1180
.LBB9_1179:
	v_bfe_u32 v10, v6, 24, 3
	v_ffbh_u32_e32 v14, v10
	v_min_u32_e32 v14, 32, v14
	v_lshrrev_b32_e32 v12, 27, v6
	v_subrev_u32_e32 v15, 28, v14
	v_and_b32_e32 v11, 0x80000000, v6
	v_and_b32_e32 v12, 15, v12
	v_bfe_u32 v13, v6, 27, 4
	v_lshlrev_b32_sdwa v6, v15, v6 dst_sel:DWORD dst_unused:UNUSED_PAD src0_sel:DWORD src1_sel:BYTE_3
	v_sub_u32_e32 v14, 29, v14
	v_and_b32_e32 v6, 7, v6
	v_cmp_eq_u16_e32 vcc, 0, v12
	v_cndmask_b32_e32 v6, v10, v6, vcc
	v_cndmask_b32_e32 v10, v13, v14, vcc
	v_mov_b32_e32 v12, 0x3b800000
	v_lshlrev_b32_e32 v6, 20, v6
	v_lshl_add_u32 v10, v10, 23, v12
	v_or3_b32 v10, v11, v10, v6
.LBB9_1180:
	s_or_b64 exec, exec, s[6:7]
	s_movk_i32 s4, 0x7f
	v_cmp_gt_i16_sdwa s[6:7], v2, s4 src0_sel:BYTE_3 src1_sel:DWORD
	s_mov_b64 s[4:5], 0
                                        ; implicit-def: $sgpr10
	s_and_saveexec_b64 s[8:9], s[6:7]
	s_xor_b64 s[6:7], exec, s[8:9]
	s_cbranch_execnz .LBB9_3229
; %bb.1181:
	s_or_saveexec_b64 s[6:7], s[6:7]
	v_mov_b32_e32 v6, s10
	s_xor_b64 exec, exec, s[6:7]
	s_cbranch_execnz .LBB9_3232
.LBB9_1182:
	s_or_b64 exec, exec, s[6:7]
	s_and_saveexec_b64 s[6:7], s[4:5]
	s_cbranch_execz .LBB9_1184
.LBB9_1183:
	v_bfe_u32 v6, v2, 24, 3
	v_ffbh_u32_e32 v14, v6
	v_min_u32_e32 v14, 32, v14
	v_lshrrev_b32_e32 v12, 27, v2
	v_subrev_u32_e32 v15, 28, v14
	v_and_b32_e32 v11, 0x80000000, v2
	v_and_b32_e32 v12, 15, v12
	v_bfe_u32 v13, v2, 27, 4
	v_lshlrev_b32_sdwa v2, v15, v2 dst_sel:DWORD dst_unused:UNUSED_PAD src0_sel:DWORD src1_sel:BYTE_3
	v_sub_u32_e32 v14, 29, v14
	v_and_b32_e32 v2, 7, v2
	v_cmp_eq_u16_e32 vcc, 0, v12
	v_cndmask_b32_e32 v2, v6, v2, vcc
	v_cndmask_b32_e32 v6, v13, v14, vcc
	v_mov_b32_e32 v12, 0x3b800000
	v_lshlrev_b32_e32 v2, 20, v2
	v_lshl_add_u32 v6, v6, 23, v12
	v_or3_b32 v6, v11, v6, v2
.LBB9_1184:
	s_or_b64 exec, exec, s[6:7]
	s_nop 0
	v_mfma_f32_16x16x4f32 a[0:3], v10, v6, a[0:3]
	s_movk_i32 s4, 0x7f
	v_cmp_gt_i16_sdwa s[6:7], v7, s4 src0_sel:BYTE_0 src1_sel:DWORD
	s_mov_b64 s[4:5], 0
                                        ; implicit-def: $sgpr10
	s_and_saveexec_b64 s[8:9], s[6:7]
	s_xor_b64 s[6:7], exec, s[8:9]
	s_cbranch_execnz .LBB9_3233
; %bb.1185:
	s_or_saveexec_b64 s[6:7], s[6:7]
	v_mov_b32_e32 v2, s10
	s_xor_b64 exec, exec, s[6:7]
	s_cbranch_execnz .LBB9_3236
.LBB9_1186:
	s_or_b64 exec, exec, s[6:7]
	s_and_saveexec_b64 s[6:7], s[4:5]
	s_cbranch_execz .LBB9_1188
.LBB9_1187:
	v_and_b32_e32 v2, 7, v7
	v_ffbh_u32_e32 v10, v2
	v_min_u32_e32 v10, 32, v10
	v_lshrrev_b16_e32 v6, 3, v7
	v_subrev_u32_e32 v11, 28, v10
	v_and_b32_e32 v6, 15, v6
	v_lshlrev_b32_e32 v11, v11, v7
	v_sub_u32_e32 v10, 29, v10
	v_and_b32_e32 v11, 7, v11
	v_cmp_eq_u16_e32 vcc, 0, v6
	v_cndmask_b32_e32 v2, v2, v11, vcc
	v_cndmask_b32_e32 v6, v6, v10, vcc
	v_lshlrev_b32_e32 v10, 24, v7
	v_mov_b32_e32 v11, 0x3b800000
	v_lshlrev_b32_e32 v2, 20, v2
	v_and_b32_e32 v10, 0x80000000, v10
	v_lshl_add_u32 v6, v6, 23, v11
	v_or3_b32 v2, v10, v6, v2
.LBB9_1188:
	s_or_b64 exec, exec, s[6:7]
	s_movk_i32 s4, 0x7f
	v_cmp_gt_i16_sdwa s[6:7], v3, s4 src0_sel:BYTE_0 src1_sel:DWORD
	s_mov_b64 s[4:5], 0
                                        ; implicit-def: $sgpr10
	s_and_saveexec_b64 s[8:9], s[6:7]
	s_xor_b64 s[6:7], exec, s[8:9]
	s_cbranch_execnz .LBB9_3237
; %bb.1189:
	s_or_saveexec_b64 s[6:7], s[6:7]
	v_mov_b32_e32 v6, s10
	s_xor_b64 exec, exec, s[6:7]
	s_cbranch_execnz .LBB9_3240
.LBB9_1190:
	s_or_b64 exec, exec, s[6:7]
	s_and_saveexec_b64 s[6:7], s[4:5]
	s_cbranch_execz .LBB9_1192
.LBB9_1191:
	v_and_b32_e32 v6, 7, v3
	v_ffbh_u32_e32 v11, v6
	v_min_u32_e32 v11, 32, v11
	v_lshrrev_b16_e32 v10, 3, v3
	v_subrev_u32_e32 v12, 28, v11
	v_and_b32_e32 v10, 15, v10
	v_lshlrev_b32_e32 v12, v12, v3
	v_sub_u32_e32 v11, 29, v11
	v_and_b32_e32 v12, 7, v12
	v_cmp_eq_u16_e32 vcc, 0, v10
	v_cndmask_b32_e32 v6, v6, v12, vcc
	v_cndmask_b32_e32 v10, v10, v11, vcc
	v_lshlrev_b32_e32 v11, 24, v3
	v_mov_b32_e32 v12, 0x3b800000
	v_lshlrev_b32_e32 v6, 20, v6
	v_and_b32_e32 v11, 0x80000000, v11
	v_lshl_add_u32 v10, v10, 23, v12
	v_or3_b32 v6, v11, v10, v6
.LBB9_1192:
	s_or_b64 exec, exec, s[6:7]
	s_nop 0
	v_mfma_f32_16x16x4f32 a[0:3], v2, v6, a[0:3]
	v_lshrrev_b32_e32 v6, 8, v7
	s_movk_i32 s4, 0x7f
	v_cmp_gt_i16_sdwa s[6:7], v6, s4 src0_sel:BYTE_0 src1_sel:DWORD
	s_mov_b64 s[4:5], 0
                                        ; implicit-def: $sgpr10
	s_and_saveexec_b64 s[8:9], s[6:7]
	s_xor_b64 s[6:7], exec, s[8:9]
	s_cbranch_execnz .LBB9_3241
; %bb.1193:
	s_or_saveexec_b64 s[6:7], s[6:7]
	v_mov_b32_e32 v2, s10
	s_xor_b64 exec, exec, s[6:7]
	s_cbranch_execnz .LBB9_3244
.LBB9_1194:
	s_or_b64 exec, exec, s[6:7]
	s_and_saveexec_b64 s[6:7], s[4:5]
	s_cbranch_execz .LBB9_1196
.LBB9_1195:
	v_bfe_u32 v2, v7, 8, 3
	v_ffbh_u32_e32 v11, v2
	v_min_u32_e32 v11, 32, v11
	v_lshrrev_b16_e32 v10, 3, v6
	v_subrev_u32_e32 v12, 28, v11
	v_and_b32_e32 v10, 15, v10
	v_lshlrev_b32_e32 v6, v12, v6
	v_sub_u32_e32 v11, 29, v11
	v_and_b32_e32 v6, 7, v6
	v_cmp_eq_u16_e32 vcc, 0, v10
	v_cndmask_b32_e32 v2, v2, v6, vcc
	v_cndmask_b32_e32 v6, v10, v11, vcc
	v_lshlrev_b32_e32 v10, 16, v7
	v_mov_b32_e32 v11, 0x3b800000
	v_lshlrev_b32_e32 v2, 20, v2
	v_and_b32_e32 v10, 0x80000000, v10
	v_lshl_add_u32 v6, v6, 23, v11
	v_or3_b32 v2, v10, v6, v2
.LBB9_1196:
	s_or_b64 exec, exec, s[6:7]
	v_lshrrev_b32_e32 v6, 8, v3
	s_movk_i32 s4, 0x7f
	v_cmp_gt_i16_sdwa s[6:7], v6, s4 src0_sel:BYTE_0 src1_sel:DWORD
	s_mov_b64 s[4:5], 0
                                        ; implicit-def: $sgpr10
	s_and_saveexec_b64 s[8:9], s[6:7]
	s_xor_b64 s[6:7], exec, s[8:9]
	s_cbranch_execnz .LBB9_3245
; %bb.1197:
	s_or_saveexec_b64 s[6:7], s[6:7]
	v_mov_b32_e32 v10, s10
	s_xor_b64 exec, exec, s[6:7]
	s_cbranch_execnz .LBB9_3248
.LBB9_1198:
	s_or_b64 exec, exec, s[6:7]
	s_and_saveexec_b64 s[6:7], s[4:5]
	s_cbranch_execz .LBB9_1200
.LBB9_1199:
	v_bfe_u32 v10, v3, 8, 3
	v_ffbh_u32_e32 v12, v10
	v_min_u32_e32 v12, 32, v12
	v_lshrrev_b16_e32 v11, 3, v6
	v_subrev_u32_e32 v13, 28, v12
	v_and_b32_e32 v11, 15, v11
	v_lshlrev_b32_e32 v6, v13, v6
	v_sub_u32_e32 v12, 29, v12
	v_and_b32_e32 v6, 7, v6
	v_cmp_eq_u16_e32 vcc, 0, v11
	v_cndmask_b32_e32 v6, v10, v6, vcc
	v_cndmask_b32_e32 v10, v11, v12, vcc
	v_lshlrev_b32_e32 v11, 16, v3
	v_mov_b32_e32 v12, 0x3b800000
	v_lshlrev_b32_e32 v6, 20, v6
	v_and_b32_e32 v11, 0x80000000, v11
	v_lshl_add_u32 v10, v10, 23, v12
	v_or3_b32 v10, v11, v10, v6
.LBB9_1200:
	s_or_b64 exec, exec, s[6:7]
	s_nop 0
	v_mfma_f32_16x16x4f32 a[0:3], v2, v10, a[0:3]
	s_movk_i32 s4, 0xff
	v_and_b32_sdwa v6, v7, s4 dst_sel:DWORD dst_unused:UNUSED_PAD src0_sel:WORD_1 src1_sel:DWORD
	s_movk_i32 s4, 0x7f
	v_cmp_lt_i16_e32 vcc, s4, v6
	s_mov_b64 s[4:5], 0
                                        ; implicit-def: $sgpr10
	s_and_saveexec_b64 s[6:7], vcc
	s_xor_b64 s[6:7], exec, s[6:7]
	s_cbranch_execnz .LBB9_3249
; %bb.1201:
	s_or_saveexec_b64 s[6:7], s[6:7]
	v_mov_b32_e32 v2, s10
	s_xor_b64 exec, exec, s[6:7]
	s_cbranch_execnz .LBB9_3252
.LBB9_1202:
	s_or_b64 exec, exec, s[6:7]
	s_and_saveexec_b64 s[6:7], s[4:5]
	s_cbranch_execz .LBB9_1204
.LBB9_1203:
	v_bfe_u32 v2, v7, 16, 3
	v_ffbh_u32_e32 v11, v2
	v_min_u32_e32 v11, 32, v11
	v_lshrrev_b32_e32 v6, 19, v7
	v_subrev_u32_e32 v12, 28, v11
	v_and_b32_e32 v6, 15, v6
	v_lshlrev_b32_sdwa v12, v12, v7 dst_sel:DWORD dst_unused:UNUSED_PAD src0_sel:DWORD src1_sel:WORD_1
	v_bfe_u32 v10, v7, 19, 4
	v_sub_u32_e32 v11, 29, v11
	v_and_b32_e32 v12, 7, v12
	v_cmp_eq_u16_e32 vcc, 0, v6
	v_cndmask_b32_e32 v2, v2, v12, vcc
	v_cndmask_b32_e32 v6, v10, v11, vcc
	v_lshlrev_b32_e32 v10, 8, v7
	v_mov_b32_e32 v11, 0x3b800000
	v_lshlrev_b32_e32 v2, 20, v2
	v_and_b32_e32 v10, 0x80000000, v10
	v_lshl_add_u32 v6, v6, 23, v11
	v_or3_b32 v2, v10, v6, v2
.LBB9_1204:
	s_or_b64 exec, exec, s[6:7]
	s_movk_i32 s4, 0xff
	v_and_b32_sdwa v6, v3, s4 dst_sel:DWORD dst_unused:UNUSED_PAD src0_sel:WORD_1 src1_sel:DWORD
	s_movk_i32 s4, 0x7f
	v_cmp_lt_i16_e32 vcc, s4, v6
	s_mov_b64 s[4:5], 0
                                        ; implicit-def: $sgpr10
	s_and_saveexec_b64 s[6:7], vcc
	s_xor_b64 s[6:7], exec, s[6:7]
	s_cbranch_execnz .LBB9_3253
; %bb.1205:
	s_or_saveexec_b64 s[6:7], s[6:7]
	v_mov_b32_e32 v10, s10
	s_xor_b64 exec, exec, s[6:7]
	s_cbranch_execnz .LBB9_3256
.LBB9_1206:
	s_or_b64 exec, exec, s[6:7]
	s_and_saveexec_b64 s[6:7], s[4:5]
	s_cbranch_execz .LBB9_1208
.LBB9_1207:
	v_bfe_u32 v6, v3, 16, 3
	v_ffbh_u32_e32 v12, v6
	v_min_u32_e32 v12, 32, v12
	v_lshrrev_b32_e32 v10, 19, v3
	v_subrev_u32_e32 v13, 28, v12
	v_and_b32_e32 v10, 15, v10
	v_lshlrev_b32_sdwa v13, v13, v3 dst_sel:DWORD dst_unused:UNUSED_PAD src0_sel:DWORD src1_sel:WORD_1
	v_bfe_u32 v11, v3, 19, 4
	v_sub_u32_e32 v12, 29, v12
	v_and_b32_e32 v13, 7, v13
	v_cmp_eq_u16_e32 vcc, 0, v10
	v_cndmask_b32_e32 v6, v6, v13, vcc
	v_cndmask_b32_e32 v10, v11, v12, vcc
	v_lshlrev_b32_e32 v11, 8, v3
	v_mov_b32_e32 v12, 0x3b800000
	v_lshlrev_b32_e32 v6, 20, v6
	v_and_b32_e32 v11, 0x80000000, v11
	v_lshl_add_u32 v10, v10, 23, v12
	v_or3_b32 v10, v11, v10, v6
.LBB9_1208:
	s_or_b64 exec, exec, s[6:7]
	s_nop 0
	v_mfma_f32_16x16x4f32 a[0:3], v2, v10, a[0:3]
	s_movk_i32 s4, 0x7f
	v_cmp_gt_i16_sdwa s[6:7], v7, s4 src0_sel:BYTE_3 src1_sel:DWORD
	s_mov_b64 s[4:5], 0
                                        ; implicit-def: $sgpr10
	s_and_saveexec_b64 s[8:9], s[6:7]
	s_xor_b64 s[6:7], exec, s[8:9]
	s_cbranch_execnz .LBB9_3257
; %bb.1209:
	s_or_saveexec_b64 s[6:7], s[6:7]
	v_mov_b32_e32 v2, s10
	s_xor_b64 exec, exec, s[6:7]
	s_cbranch_execnz .LBB9_3260
.LBB9_1210:
	s_or_b64 exec, exec, s[6:7]
	s_and_saveexec_b64 s[6:7], s[4:5]
	s_cbranch_execz .LBB9_1212
.LBB9_1211:
	v_bfe_u32 v2, v7, 24, 3
	v_ffbh_u32_e32 v12, v2
	v_min_u32_e32 v12, 32, v12
	v_lshrrev_b32_e32 v10, 27, v7
	v_subrev_u32_e32 v13, 28, v12
	v_and_b32_e32 v6, 0x80000000, v7
	v_and_b32_e32 v10, 15, v10
	v_bfe_u32 v11, v7, 27, 4
	v_lshlrev_b32_sdwa v7, v13, v7 dst_sel:DWORD dst_unused:UNUSED_PAD src0_sel:DWORD src1_sel:BYTE_3
	v_sub_u32_e32 v12, 29, v12
	v_and_b32_e32 v7, 7, v7
	v_cmp_eq_u16_e32 vcc, 0, v10
	v_cndmask_b32_e32 v2, v2, v7, vcc
	v_cndmask_b32_e32 v7, v11, v12, vcc
	v_mov_b32_e32 v10, 0x3b800000
	v_lshlrev_b32_e32 v2, 20, v2
	v_lshl_add_u32 v7, v7, 23, v10
	v_or3_b32 v2, v6, v7, v2
.LBB9_1212:
	s_or_b64 exec, exec, s[6:7]
	s_movk_i32 s4, 0x7f
	v_cmp_gt_i16_sdwa s[6:7], v3, s4 src0_sel:BYTE_3 src1_sel:DWORD
	s_mov_b64 s[4:5], 0
                                        ; implicit-def: $sgpr10
	s_and_saveexec_b64 s[8:9], s[6:7]
	s_xor_b64 s[6:7], exec, s[8:9]
	s_cbranch_execnz .LBB9_3261
; %bb.1213:
	s_or_saveexec_b64 s[6:7], s[6:7]
	v_mov_b32_e32 v6, s10
	s_xor_b64 exec, exec, s[6:7]
	s_cbranch_execnz .LBB9_3264
.LBB9_1214:
	s_or_b64 exec, exec, s[6:7]
	s_and_saveexec_b64 s[6:7], s[4:5]
	s_cbranch_execz .LBB9_1216
.LBB9_1215:
	v_bfe_u32 v6, v3, 24, 3
	v_ffbh_u32_e32 v12, v6
	v_min_u32_e32 v12, 32, v12
	v_lshrrev_b32_e32 v10, 27, v3
	v_subrev_u32_e32 v13, 28, v12
	v_and_b32_e32 v7, 0x80000000, v3
	v_and_b32_e32 v10, 15, v10
	v_bfe_u32 v11, v3, 27, 4
	v_lshlrev_b32_sdwa v3, v13, v3 dst_sel:DWORD dst_unused:UNUSED_PAD src0_sel:DWORD src1_sel:BYTE_3
	v_sub_u32_e32 v12, 29, v12
	v_and_b32_e32 v3, 7, v3
	v_cmp_eq_u16_e32 vcc, 0, v10
	v_cndmask_b32_e32 v3, v6, v3, vcc
	v_cndmask_b32_e32 v6, v11, v12, vcc
	v_mov_b32_e32 v10, 0x3b800000
	v_lshlrev_b32_e32 v3, 20, v3
	v_lshl_add_u32 v6, v6, 23, v10
	v_or3_b32 v6, v7, v6, v3
.LBB9_1216:
	s_or_b64 exec, exec, s[6:7]
	s_nop 0
	v_mfma_f32_16x16x4f32 a[0:3], v2, v6, a[0:3]
	s_movk_i32 s4, 0x7f
	v_cmp_gt_i16_sdwa s[6:7], v8, s4 src0_sel:BYTE_0 src1_sel:DWORD
	s_mov_b64 s[4:5], 0
                                        ; implicit-def: $sgpr10
	s_and_saveexec_b64 s[8:9], s[6:7]
	s_xor_b64 s[6:7], exec, s[8:9]
	s_cbranch_execnz .LBB9_3265
; %bb.1217:
	s_or_saveexec_b64 s[6:7], s[6:7]
	v_mov_b32_e32 v2, s10
	s_xor_b64 exec, exec, s[6:7]
	s_cbranch_execnz .LBB9_3268
.LBB9_1218:
	s_or_b64 exec, exec, s[6:7]
	s_and_saveexec_b64 s[6:7], s[4:5]
	s_cbranch_execz .LBB9_1220
.LBB9_1219:
	v_and_b32_e32 v2, 7, v8
	v_ffbh_u32_e32 v6, v2
	v_min_u32_e32 v6, 32, v6
	v_lshrrev_b16_e32 v3, 3, v8
	v_subrev_u32_e32 v7, 28, v6
	v_and_b32_e32 v3, 15, v3
	v_lshlrev_b32_e32 v7, v7, v8
	v_sub_u32_e32 v6, 29, v6
	v_and_b32_e32 v7, 7, v7
	v_cmp_eq_u16_e32 vcc, 0, v3
	v_cndmask_b32_e32 v2, v2, v7, vcc
	v_cndmask_b32_e32 v3, v3, v6, vcc
	v_lshlrev_b32_e32 v6, 24, v8
	v_mov_b32_e32 v7, 0x3b800000
	v_lshlrev_b32_e32 v2, 20, v2
	v_and_b32_e32 v6, 0x80000000, v6
	v_lshl_add_u32 v3, v3, 23, v7
	v_or3_b32 v2, v6, v3, v2
.LBB9_1220:
	s_or_b64 exec, exec, s[6:7]
	s_movk_i32 s4, 0x7f
	v_cmp_gt_i16_sdwa s[6:7], v4, s4 src0_sel:BYTE_0 src1_sel:DWORD
	s_mov_b64 s[4:5], 0
                                        ; implicit-def: $sgpr10
	s_and_saveexec_b64 s[8:9], s[6:7]
	s_xor_b64 s[6:7], exec, s[8:9]
	s_cbranch_execnz .LBB9_3269
; %bb.1221:
	s_or_saveexec_b64 s[6:7], s[6:7]
	v_mov_b32_e32 v3, s10
	s_xor_b64 exec, exec, s[6:7]
	s_cbranch_execnz .LBB9_3272
.LBB9_1222:
	s_or_b64 exec, exec, s[6:7]
	s_and_saveexec_b64 s[6:7], s[4:5]
	s_cbranch_execz .LBB9_1224
.LBB9_1223:
	v_and_b32_e32 v3, 7, v4
	v_ffbh_u32_e32 v7, v3
	v_min_u32_e32 v7, 32, v7
	v_lshrrev_b16_e32 v6, 3, v4
	v_subrev_u32_e32 v10, 28, v7
	v_and_b32_e32 v6, 15, v6
	v_lshlrev_b32_e32 v10, v10, v4
	v_sub_u32_e32 v7, 29, v7
	v_and_b32_e32 v10, 7, v10
	v_cmp_eq_u16_e32 vcc, 0, v6
	v_cndmask_b32_e32 v3, v3, v10, vcc
	v_cndmask_b32_e32 v6, v6, v7, vcc
	v_lshlrev_b32_e32 v7, 24, v4
	v_mov_b32_e32 v10, 0x3b800000
	v_lshlrev_b32_e32 v3, 20, v3
	v_and_b32_e32 v7, 0x80000000, v7
	v_lshl_add_u32 v6, v6, 23, v10
	v_or3_b32 v3, v7, v6, v3
.LBB9_1224:
	s_or_b64 exec, exec, s[6:7]
	s_nop 0
	v_mfma_f32_16x16x4f32 a[0:3], v2, v3, a[0:3]
	v_lshrrev_b32_e32 v3, 8, v8
	s_movk_i32 s4, 0x7f
	v_cmp_gt_i16_sdwa s[6:7], v3, s4 src0_sel:BYTE_0 src1_sel:DWORD
	s_mov_b64 s[4:5], 0
                                        ; implicit-def: $sgpr10
	s_and_saveexec_b64 s[8:9], s[6:7]
	s_xor_b64 s[6:7], exec, s[8:9]
	s_cbranch_execnz .LBB9_3273
; %bb.1225:
	s_or_saveexec_b64 s[6:7], s[6:7]
	v_mov_b32_e32 v2, s10
	s_xor_b64 exec, exec, s[6:7]
	s_cbranch_execnz .LBB9_3276
.LBB9_1226:
	s_or_b64 exec, exec, s[6:7]
	s_and_saveexec_b64 s[6:7], s[4:5]
	s_cbranch_execz .LBB9_1228
.LBB9_1227:
	v_bfe_u32 v2, v8, 8, 3
	v_ffbh_u32_e32 v7, v2
	v_min_u32_e32 v7, 32, v7
	v_lshrrev_b16_e32 v6, 3, v3
	v_subrev_u32_e32 v10, 28, v7
	v_and_b32_e32 v6, 15, v6
	v_lshlrev_b32_e32 v3, v10, v3
	v_sub_u32_e32 v7, 29, v7
	v_and_b32_e32 v3, 7, v3
	v_cmp_eq_u16_e32 vcc, 0, v6
	v_cndmask_b32_e32 v2, v2, v3, vcc
	v_cndmask_b32_e32 v3, v6, v7, vcc
	v_lshlrev_b32_e32 v6, 16, v8
	v_mov_b32_e32 v7, 0x3b800000
	v_lshlrev_b32_e32 v2, 20, v2
	v_and_b32_e32 v6, 0x80000000, v6
	v_lshl_add_u32 v3, v3, 23, v7
	v_or3_b32 v2, v6, v3, v2
.LBB9_1228:
	s_or_b64 exec, exec, s[6:7]
	v_lshrrev_b32_e32 v3, 8, v4
	s_movk_i32 s4, 0x7f
	v_cmp_gt_i16_sdwa s[6:7], v3, s4 src0_sel:BYTE_0 src1_sel:DWORD
	s_mov_b64 s[4:5], 0
                                        ; implicit-def: $sgpr10
	s_and_saveexec_b64 s[8:9], s[6:7]
	s_xor_b64 s[6:7], exec, s[8:9]
	s_cbranch_execnz .LBB9_3277
; %bb.1229:
	s_or_saveexec_b64 s[6:7], s[6:7]
	v_mov_b32_e32 v6, s10
	s_xor_b64 exec, exec, s[6:7]
	s_cbranch_execnz .LBB9_3280
.LBB9_1230:
	s_or_b64 exec, exec, s[6:7]
	s_and_saveexec_b64 s[6:7], s[4:5]
	s_cbranch_execz .LBB9_1232
.LBB9_1231:
	v_bfe_u32 v6, v4, 8, 3
	v_ffbh_u32_e32 v10, v6
	v_min_u32_e32 v10, 32, v10
	v_lshrrev_b16_e32 v7, 3, v3
	v_subrev_u32_e32 v11, 28, v10
	v_and_b32_e32 v7, 15, v7
	v_lshlrev_b32_e32 v3, v11, v3
	v_sub_u32_e32 v10, 29, v10
	v_and_b32_e32 v3, 7, v3
	v_cmp_eq_u16_e32 vcc, 0, v7
	v_cndmask_b32_e32 v3, v6, v3, vcc
	v_cndmask_b32_e32 v6, v7, v10, vcc
	v_lshlrev_b32_e32 v7, 16, v4
	v_mov_b32_e32 v10, 0x3b800000
	v_lshlrev_b32_e32 v3, 20, v3
	v_and_b32_e32 v7, 0x80000000, v7
	v_lshl_add_u32 v6, v6, 23, v10
	v_or3_b32 v6, v7, v6, v3
.LBB9_1232:
	s_or_b64 exec, exec, s[6:7]
	s_nop 0
	v_mfma_f32_16x16x4f32 a[0:3], v2, v6, a[0:3]
	s_movk_i32 s4, 0xff
	v_and_b32_sdwa v3, v8, s4 dst_sel:DWORD dst_unused:UNUSED_PAD src0_sel:WORD_1 src1_sel:DWORD
	s_movk_i32 s4, 0x7f
	v_cmp_lt_i16_e32 vcc, s4, v3
	s_mov_b64 s[4:5], 0
                                        ; implicit-def: $sgpr10
	s_and_saveexec_b64 s[6:7], vcc
	s_xor_b64 s[6:7], exec, s[6:7]
	s_cbranch_execnz .LBB9_3281
; %bb.1233:
	s_or_saveexec_b64 s[6:7], s[6:7]
	v_mov_b32_e32 v2, s10
	s_xor_b64 exec, exec, s[6:7]
	s_cbranch_execnz .LBB9_3284
.LBB9_1234:
	s_or_b64 exec, exec, s[6:7]
	s_and_saveexec_b64 s[6:7], s[4:5]
	s_cbranch_execz .LBB9_1236
.LBB9_1235:
	v_bfe_u32 v2, v8, 16, 3
	v_ffbh_u32_e32 v7, v2
	v_min_u32_e32 v7, 32, v7
	v_lshrrev_b32_e32 v3, 19, v8
	v_subrev_u32_e32 v10, 28, v7
	v_and_b32_e32 v3, 15, v3
	v_lshlrev_b32_sdwa v10, v10, v8 dst_sel:DWORD dst_unused:UNUSED_PAD src0_sel:DWORD src1_sel:WORD_1
	v_bfe_u32 v6, v8, 19, 4
	v_sub_u32_e32 v7, 29, v7
	v_and_b32_e32 v10, 7, v10
	v_cmp_eq_u16_e32 vcc, 0, v3
	v_cndmask_b32_e32 v2, v2, v10, vcc
	v_cndmask_b32_e32 v3, v6, v7, vcc
	v_lshlrev_b32_e32 v6, 8, v8
	v_mov_b32_e32 v7, 0x3b800000
	v_lshlrev_b32_e32 v2, 20, v2
	v_and_b32_e32 v6, 0x80000000, v6
	v_lshl_add_u32 v3, v3, 23, v7
	v_or3_b32 v2, v6, v3, v2
.LBB9_1236:
	s_or_b64 exec, exec, s[6:7]
	s_movk_i32 s4, 0xff
	v_and_b32_sdwa v3, v4, s4 dst_sel:DWORD dst_unused:UNUSED_PAD src0_sel:WORD_1 src1_sel:DWORD
	s_movk_i32 s4, 0x7f
	v_cmp_lt_i16_e32 vcc, s4, v3
	s_mov_b64 s[4:5], 0
                                        ; implicit-def: $sgpr10
	s_and_saveexec_b64 s[6:7], vcc
	s_xor_b64 s[6:7], exec, s[6:7]
	s_cbranch_execnz .LBB9_3285
; %bb.1237:
	s_or_saveexec_b64 s[6:7], s[6:7]
	v_mov_b32_e32 v6, s10
	s_xor_b64 exec, exec, s[6:7]
	s_cbranch_execnz .LBB9_3288
.LBB9_1238:
	s_or_b64 exec, exec, s[6:7]
	s_and_saveexec_b64 s[6:7], s[4:5]
	s_cbranch_execz .LBB9_1240
.LBB9_1239:
	v_bfe_u32 v3, v4, 16, 3
	v_ffbh_u32_e32 v10, v3
	v_min_u32_e32 v10, 32, v10
	v_lshrrev_b32_e32 v6, 19, v4
	v_subrev_u32_e32 v11, 28, v10
	v_and_b32_e32 v6, 15, v6
	v_lshlrev_b32_sdwa v11, v11, v4 dst_sel:DWORD dst_unused:UNUSED_PAD src0_sel:DWORD src1_sel:WORD_1
	v_bfe_u32 v7, v4, 19, 4
	v_sub_u32_e32 v10, 29, v10
	v_and_b32_e32 v11, 7, v11
	v_cmp_eq_u16_e32 vcc, 0, v6
	v_cndmask_b32_e32 v3, v3, v11, vcc
	v_cndmask_b32_e32 v6, v7, v10, vcc
	v_lshlrev_b32_e32 v7, 8, v4
	v_mov_b32_e32 v10, 0x3b800000
	v_lshlrev_b32_e32 v3, 20, v3
	v_and_b32_e32 v7, 0x80000000, v7
	v_lshl_add_u32 v6, v6, 23, v10
	v_or3_b32 v6, v7, v6, v3
.LBB9_1240:
	s_or_b64 exec, exec, s[6:7]
	s_nop 0
	v_mfma_f32_16x16x4f32 a[0:3], v2, v6, a[0:3]
	s_movk_i32 s4, 0x7f
	v_cmp_gt_i16_sdwa s[6:7], v8, s4 src0_sel:BYTE_3 src1_sel:DWORD
	s_mov_b64 s[4:5], 0
                                        ; implicit-def: $sgpr10
	s_and_saveexec_b64 s[8:9], s[6:7]
	s_xor_b64 s[6:7], exec, s[8:9]
	s_cbranch_execnz .LBB9_3289
; %bb.1241:
	s_or_saveexec_b64 s[6:7], s[6:7]
	v_mov_b32_e32 v2, s10
	s_xor_b64 exec, exec, s[6:7]
	s_cbranch_execnz .LBB9_3292
.LBB9_1242:
	s_or_b64 exec, exec, s[6:7]
	s_and_saveexec_b64 s[6:7], s[4:5]
	s_cbranch_execz .LBB9_1244
.LBB9_1243:
	v_bfe_u32 v2, v8, 24, 3
	v_ffbh_u32_e32 v10, v2
	v_min_u32_e32 v10, 32, v10
	v_lshrrev_b32_e32 v6, 27, v8
	v_subrev_u32_e32 v11, 28, v10
	v_and_b32_e32 v3, 0x80000000, v8
	v_and_b32_e32 v6, 15, v6
	v_bfe_u32 v7, v8, 27, 4
	v_lshlrev_b32_sdwa v8, v11, v8 dst_sel:DWORD dst_unused:UNUSED_PAD src0_sel:DWORD src1_sel:BYTE_3
	v_sub_u32_e32 v10, 29, v10
	v_and_b32_e32 v8, 7, v8
	v_cmp_eq_u16_e32 vcc, 0, v6
	v_cndmask_b32_e32 v2, v2, v8, vcc
	v_cndmask_b32_e32 v6, v7, v10, vcc
	v_mov_b32_e32 v7, 0x3b800000
	v_lshlrev_b32_e32 v2, 20, v2
	v_lshl_add_u32 v6, v6, 23, v7
	v_or3_b32 v2, v3, v6, v2
.LBB9_1244:
	s_or_b64 exec, exec, s[6:7]
	s_movk_i32 s4, 0x7f
	v_cmp_gt_i16_sdwa s[6:7], v4, s4 src0_sel:BYTE_3 src1_sel:DWORD
	s_mov_b64 s[4:5], 0
                                        ; implicit-def: $sgpr10
	s_and_saveexec_b64 s[8:9], s[6:7]
	s_xor_b64 s[6:7], exec, s[8:9]
	s_cbranch_execnz .LBB9_3293
; %bb.1245:
	s_or_saveexec_b64 s[6:7], s[6:7]
	v_mov_b32_e32 v3, s10
	s_xor_b64 exec, exec, s[6:7]
	s_cbranch_execnz .LBB9_3296
.LBB9_1246:
	s_or_b64 exec, exec, s[6:7]
	s_and_saveexec_b64 s[6:7], s[4:5]
	s_cbranch_execz .LBB9_1248
.LBB9_1247:
	v_bfe_u32 v3, v4, 24, 3
	v_ffbh_u32_e32 v10, v3
	v_min_u32_e32 v10, 32, v10
	v_lshrrev_b32_e32 v7, 27, v4
	v_subrev_u32_e32 v11, 28, v10
	v_and_b32_e32 v6, 0x80000000, v4
	v_and_b32_e32 v7, 15, v7
	v_bfe_u32 v8, v4, 27, 4
	v_lshlrev_b32_sdwa v4, v11, v4 dst_sel:DWORD dst_unused:UNUSED_PAD src0_sel:DWORD src1_sel:BYTE_3
	v_sub_u32_e32 v10, 29, v10
	v_and_b32_e32 v4, 7, v4
	v_cmp_eq_u16_e32 vcc, 0, v7
	v_cndmask_b32_e32 v3, v3, v4, vcc
	v_cndmask_b32_e32 v4, v8, v10, vcc
	v_mov_b32_e32 v7, 0x3b800000
	v_lshlrev_b32_e32 v3, 20, v3
	v_lshl_add_u32 v4, v4, 23, v7
	v_or3_b32 v3, v6, v4, v3
.LBB9_1248:
	s_or_b64 exec, exec, s[6:7]
	s_nop 0
	v_mfma_f32_16x16x4f32 a[0:3], v2, v3, a[0:3]
	s_movk_i32 s4, 0x7f
	v_cmp_gt_i16_sdwa s[6:7], v9, s4 src0_sel:BYTE_0 src1_sel:DWORD
	s_mov_b64 s[4:5], 0
                                        ; implicit-def: $sgpr10
	s_and_saveexec_b64 s[8:9], s[6:7]
	s_xor_b64 s[6:7], exec, s[8:9]
	s_cbranch_execnz .LBB9_3297
; %bb.1249:
	s_or_saveexec_b64 s[6:7], s[6:7]
	v_mov_b32_e32 v2, s10
	s_xor_b64 exec, exec, s[6:7]
	s_cbranch_execnz .LBB9_3300
.LBB9_1250:
	s_or_b64 exec, exec, s[6:7]
	s_and_saveexec_b64 s[6:7], s[4:5]
	s_cbranch_execz .LBB9_1252
.LBB9_1251:
	v_mov_b32_e32 v2, 8
	v_and_b32_e32 v3, 7, v9
	v_lshrrev_b32_sdwa v2, v2, v9 dst_sel:BYTE_1 dst_unused:UNUSED_PAD src0_sel:DWORD src1_sel:DWORD
	v_ffbh_u32_e32 v4, v3
	v_or_b32_sdwa v2, v9, v2 dst_sel:DWORD dst_unused:UNUSED_PAD src0_sel:BYTE_0 src1_sel:DWORD
	v_min_u32_e32 v4, 32, v4
	v_lshrrev_b16_e32 v2, 3, v2
	v_subrev_u32_e32 v6, 28, v4
	v_and_b32_e32 v2, 15, v2
	v_lshlrev_b32_e32 v6, v6, v9
	v_sub_u32_e32 v4, 29, v4
	v_and_b32_e32 v6, 7, v6
	v_cmp_eq_u16_e32 vcc, 0, v2
	v_cndmask_b32_e32 v3, v3, v6, vcc
	v_cndmask_b32_e32 v2, v2, v4, vcc
	v_lshlrev_b32_e32 v4, 24, v9
	v_mov_b32_e32 v6, 0x3b800000
	v_lshlrev_b32_e32 v3, 20, v3
	v_and_b32_e32 v4, 0x80000000, v4
	v_lshl_add_u32 v2, v2, 23, v6
	v_or3_b32 v2, v4, v2, v3
.LBB9_1252:
	s_or_b64 exec, exec, s[6:7]
	s_movk_i32 s4, 0x7f
	v_cmp_gt_i16_sdwa s[6:7], v5, s4 src0_sel:BYTE_0 src1_sel:DWORD
	s_mov_b64 s[4:5], 0
                                        ; implicit-def: $sgpr10
	s_and_saveexec_b64 s[8:9], s[6:7]
	s_xor_b64 s[6:7], exec, s[8:9]
	s_cbranch_execnz .LBB9_3301
; %bb.1253:
	s_or_saveexec_b64 s[6:7], s[6:7]
	v_mov_b32_e32 v3, s10
	s_xor_b64 exec, exec, s[6:7]
	s_cbranch_execnz .LBB9_3304
.LBB9_1254:
	s_or_b64 exec, exec, s[6:7]
	s_and_saveexec_b64 s[6:7], s[4:5]
	s_cbranch_execz .LBB9_1256
.LBB9_1255:
	v_mov_b32_e32 v3, 8
	v_and_b32_e32 v4, 7, v5
	v_lshrrev_b32_sdwa v3, v3, v5 dst_sel:BYTE_1 dst_unused:UNUSED_PAD src0_sel:DWORD src1_sel:DWORD
	v_ffbh_u32_e32 v6, v4
	v_or_b32_sdwa v3, v5, v3 dst_sel:DWORD dst_unused:UNUSED_PAD src0_sel:BYTE_0 src1_sel:DWORD
	v_min_u32_e32 v6, 32, v6
	v_lshrrev_b16_e32 v3, 3, v3
	v_subrev_u32_e32 v7, 28, v6
	v_and_b32_e32 v3, 15, v3
	v_lshlrev_b32_e32 v7, v7, v5
	v_sub_u32_e32 v6, 29, v6
	v_and_b32_e32 v7, 7, v7
	v_cmp_eq_u16_e32 vcc, 0, v3
	v_cndmask_b32_e32 v4, v4, v7, vcc
	v_cndmask_b32_e32 v3, v3, v6, vcc
	v_lshlrev_b32_e32 v6, 24, v5
	v_mov_b32_e32 v7, 0x3b800000
	v_lshlrev_b32_e32 v4, 20, v4
	v_and_b32_e32 v6, 0x80000000, v6
	v_lshl_add_u32 v3, v3, 23, v7
	v_or3_b32 v3, v6, v3, v4
.LBB9_1256:
	s_or_b64 exec, exec, s[6:7]
	s_nop 0
	v_mfma_f32_16x16x4f32 a[0:3], v2, v3, a[0:3]
	v_lshrrev_b32_e32 v3, 8, v9
	s_movk_i32 s4, 0x7f
	v_cmp_gt_i16_sdwa s[6:7], v3, s4 src0_sel:BYTE_0 src1_sel:DWORD
	s_mov_b64 s[4:5], 0
                                        ; implicit-def: $sgpr10
	s_and_saveexec_b64 s[8:9], s[6:7]
	s_xor_b64 s[6:7], exec, s[8:9]
	s_cbranch_execnz .LBB9_3305
; %bb.1257:
	s_or_saveexec_b64 s[6:7], s[6:7]
	v_mov_b32_e32 v2, s10
	s_xor_b64 exec, exec, s[6:7]
	s_cbranch_execnz .LBB9_3308
.LBB9_1258:
	s_or_b64 exec, exec, s[6:7]
	s_and_saveexec_b64 s[6:7], s[4:5]
	s_cbranch_execz .LBB9_1260
.LBB9_1259:
	v_bfe_u32 v2, v9, 8, 3
	v_ffbh_u32_e32 v6, v2
	v_min_u32_e32 v6, 32, v6
	v_lshrrev_b16_e32 v4, 3, v3
	v_subrev_u32_e32 v7, 28, v6
	v_and_b32_e32 v4, 15, v4
	v_lshlrev_b32_e32 v3, v7, v3
	v_sub_u32_e32 v6, 29, v6
	v_and_b32_e32 v3, 7, v3
	v_cmp_eq_u16_e32 vcc, 0, v4
	v_cndmask_b32_e32 v2, v2, v3, vcc
	v_cndmask_b32_e32 v3, v4, v6, vcc
	v_lshlrev_b32_e32 v4, 16, v9
	v_mov_b32_e32 v6, 0x3b800000
	v_lshlrev_b32_e32 v2, 20, v2
	v_and_b32_e32 v4, 0x80000000, v4
	v_lshl_add_u32 v3, v3, 23, v6
	v_or3_b32 v2, v4, v3, v2
.LBB9_1260:
	s_or_b64 exec, exec, s[6:7]
	v_lshrrev_b32_e32 v3, 8, v5
	s_movk_i32 s4, 0x7f
	v_cmp_gt_i16_sdwa s[6:7], v3, s4 src0_sel:BYTE_0 src1_sel:DWORD
	s_mov_b64 s[4:5], 0
                                        ; implicit-def: $sgpr10
	s_and_saveexec_b64 s[8:9], s[6:7]
	s_xor_b64 s[6:7], exec, s[8:9]
	s_cbranch_execnz .LBB9_3309
; %bb.1261:
	s_or_saveexec_b64 s[6:7], s[6:7]
	v_mov_b32_e32 v4, s10
	s_xor_b64 exec, exec, s[6:7]
	s_cbranch_execnz .LBB9_3312
.LBB9_1262:
	s_or_b64 exec, exec, s[6:7]
	s_and_saveexec_b64 s[6:7], s[4:5]
	s_cbranch_execz .LBB9_1264
.LBB9_1263:
	v_bfe_u32 v4, v5, 8, 3
	v_ffbh_u32_e32 v7, v4
	v_min_u32_e32 v7, 32, v7
	v_lshrrev_b16_e32 v6, 3, v3
	v_subrev_u32_e32 v8, 28, v7
	v_and_b32_e32 v6, 15, v6
	v_lshlrev_b32_e32 v3, v8, v3
	v_sub_u32_e32 v7, 29, v7
	v_and_b32_e32 v3, 7, v3
	v_cmp_eq_u16_e32 vcc, 0, v6
	v_cndmask_b32_e32 v3, v4, v3, vcc
	v_cndmask_b32_e32 v4, v6, v7, vcc
	v_lshlrev_b32_e32 v6, 16, v5
	v_mov_b32_e32 v7, 0x3b800000
	v_lshlrev_b32_e32 v3, 20, v3
	v_and_b32_e32 v6, 0x80000000, v6
	v_lshl_add_u32 v4, v4, 23, v7
	v_or3_b32 v4, v6, v4, v3
.LBB9_1264:
	s_or_b64 exec, exec, s[6:7]
	s_nop 0
	v_mfma_f32_16x16x4f32 a[0:3], v2, v4, a[0:3]
	s_movk_i32 s4, 0xff
	v_and_b32_sdwa v3, v9, s4 dst_sel:DWORD dst_unused:UNUSED_PAD src0_sel:WORD_1 src1_sel:DWORD
	s_movk_i32 s4, 0x7f
	v_cmp_lt_i16_e32 vcc, s4, v3
	s_mov_b64 s[4:5], 0
                                        ; implicit-def: $sgpr10
	s_and_saveexec_b64 s[6:7], vcc
	s_xor_b64 s[6:7], exec, s[6:7]
	s_cbranch_execnz .LBB9_3313
; %bb.1265:
	s_or_saveexec_b64 s[6:7], s[6:7]
	v_mov_b32_e32 v2, s10
	s_xor_b64 exec, exec, s[6:7]
	s_cbranch_execnz .LBB9_3316
.LBB9_1266:
	s_or_b64 exec, exec, s[6:7]
	s_and_saveexec_b64 s[6:7], s[4:5]
	s_cbranch_execz .LBB9_1268
.LBB9_1267:
	v_bfe_u32 v2, v9, 16, 3
	v_ffbh_u32_e32 v6, v2
	v_min_u32_e32 v6, 32, v6
	v_lshrrev_b32_e32 v3, 19, v9
	v_subrev_u32_e32 v7, 28, v6
	v_and_b32_e32 v3, 15, v3
	v_lshlrev_b32_sdwa v7, v7, v9 dst_sel:DWORD dst_unused:UNUSED_PAD src0_sel:DWORD src1_sel:WORD_1
	v_bfe_u32 v4, v9, 19, 4
	v_sub_u32_e32 v6, 29, v6
	v_and_b32_e32 v7, 7, v7
	v_cmp_eq_u16_e32 vcc, 0, v3
	v_cndmask_b32_e32 v2, v2, v7, vcc
	v_cndmask_b32_e32 v3, v4, v6, vcc
	v_lshlrev_b32_e32 v4, 8, v9
	v_mov_b32_e32 v6, 0x3b800000
	v_lshlrev_b32_e32 v2, 20, v2
	v_and_b32_e32 v4, 0x80000000, v4
	v_lshl_add_u32 v3, v3, 23, v6
	v_or3_b32 v2, v4, v3, v2
.LBB9_1268:
	s_or_b64 exec, exec, s[6:7]
	s_movk_i32 s4, 0xff
	v_and_b32_sdwa v3, v5, s4 dst_sel:DWORD dst_unused:UNUSED_PAD src0_sel:WORD_1 src1_sel:DWORD
	s_movk_i32 s4, 0x7f
	v_cmp_lt_i16_e32 vcc, s4, v3
	s_mov_b64 s[4:5], 0
                                        ; implicit-def: $sgpr10
	s_and_saveexec_b64 s[6:7], vcc
	s_xor_b64 s[6:7], exec, s[6:7]
	s_cbranch_execnz .LBB9_3317
; %bb.1269:
	s_or_saveexec_b64 s[6:7], s[6:7]
	v_mov_b32_e32 v4, s10
	s_xor_b64 exec, exec, s[6:7]
	s_cbranch_execnz .LBB9_3320
.LBB9_1270:
	s_or_b64 exec, exec, s[6:7]
	s_and_saveexec_b64 s[6:7], s[4:5]
	s_cbranch_execz .LBB9_1272
.LBB9_1271:
	v_bfe_u32 v3, v5, 16, 3
	v_ffbh_u32_e32 v7, v3
	v_min_u32_e32 v7, 32, v7
	v_lshrrev_b32_e32 v4, 19, v5
	v_subrev_u32_e32 v8, 28, v7
	v_and_b32_e32 v4, 15, v4
	v_lshlrev_b32_sdwa v8, v8, v5 dst_sel:DWORD dst_unused:UNUSED_PAD src0_sel:DWORD src1_sel:WORD_1
	v_bfe_u32 v6, v5, 19, 4
	v_sub_u32_e32 v7, 29, v7
	v_and_b32_e32 v8, 7, v8
	v_cmp_eq_u16_e32 vcc, 0, v4
	v_cndmask_b32_e32 v3, v3, v8, vcc
	v_cndmask_b32_e32 v4, v6, v7, vcc
	v_lshlrev_b32_e32 v6, 8, v5
	v_mov_b32_e32 v7, 0x3b800000
	v_lshlrev_b32_e32 v3, 20, v3
	v_and_b32_e32 v6, 0x80000000, v6
	v_lshl_add_u32 v4, v4, 23, v7
	v_or3_b32 v4, v6, v4, v3
.LBB9_1272:
	s_or_b64 exec, exec, s[6:7]
	s_nop 0
	v_mfma_f32_16x16x4f32 a[0:3], v2, v4, a[0:3]
	s_movk_i32 s4, 0x7f
	v_cmp_gt_i16_sdwa s[6:7], v9, s4 src0_sel:BYTE_3 src1_sel:DWORD
	s_mov_b64 s[4:5], 0
                                        ; implicit-def: $sgpr10
	s_and_saveexec_b64 s[8:9], s[6:7]
	s_xor_b64 s[6:7], exec, s[8:9]
	s_cbranch_execnz .LBB9_3321
; %bb.1273:
	s_or_saveexec_b64 s[6:7], s[6:7]
	v_mov_b32_e32 v2, s10
	s_xor_b64 exec, exec, s[6:7]
	s_cbranch_execnz .LBB9_3324
.LBB9_1274:
	s_or_b64 exec, exec, s[6:7]
	s_and_saveexec_b64 s[6:7], s[4:5]
	s_cbranch_execz .LBB9_1276
.LBB9_1275:
	v_bfe_u32 v2, v9, 24, 3
	v_ffbh_u32_e32 v7, v2
	v_min_u32_e32 v7, 32, v7
	v_lshrrev_b32_e32 v4, 27, v9
	v_subrev_u32_e32 v8, 28, v7
	v_and_b32_e32 v4, 15, v4
	v_lshlrev_b32_sdwa v8, v8, v9 dst_sel:DWORD dst_unused:UNUSED_PAD src0_sel:DWORD src1_sel:BYTE_3
	v_bfe_u32 v6, v9, 27, 4
	v_sub_u32_e32 v7, 29, v7
	v_and_b32_e32 v8, 7, v8
	v_cmp_eq_u16_e32 vcc, 0, v4
	v_cndmask_b32_e32 v2, v2, v8, vcc
	v_cndmask_b32_e32 v4, v6, v7, vcc
	v_mov_b32_e32 v6, 0x3b800000
	v_and_b32_e32 v3, 0x80000000, v9
	v_lshlrev_b32_e32 v2, 20, v2
	v_lshl_add_u32 v4, v4, 23, v6
	v_or3_b32 v2, v3, v4, v2
.LBB9_1276:
	s_or_b64 exec, exec, s[6:7]
	s_movk_i32 s4, 0x7f
	v_cmp_gt_i16_sdwa s[6:7], v5, s4 src0_sel:BYTE_3 src1_sel:DWORD
	s_mov_b64 s[4:5], 0
                                        ; implicit-def: $sgpr10
	s_and_saveexec_b64 s[8:9], s[6:7]
	s_xor_b64 s[6:7], exec, s[8:9]
	s_cbranch_execnz .LBB9_3325
; %bb.1277:
	s_or_saveexec_b64 s[6:7], s[6:7]
	v_mov_b32_e32 v3, s10
	s_xor_b64 exec, exec, s[6:7]
	s_cbranch_execnz .LBB9_3328
.LBB9_1278:
	s_or_b64 exec, exec, s[6:7]
	s_and_saveexec_b64 s[6:7], s[4:5]
	s_cbranch_execz .LBB9_1280
.LBB9_1279:
	v_bfe_u32 v3, v5, 24, 3
	v_ffbh_u32_e32 v8, v3
	v_min_u32_e32 v8, 32, v8
	v_lshrrev_b32_e32 v6, 27, v5
	v_subrev_u32_e32 v9, 28, v8
	v_and_b32_e32 v4, 0x80000000, v5
	v_and_b32_e32 v6, 15, v6
	v_bfe_u32 v7, v5, 27, 4
	v_lshlrev_b32_sdwa v5, v9, v5 dst_sel:DWORD dst_unused:UNUSED_PAD src0_sel:DWORD src1_sel:BYTE_3
	v_sub_u32_e32 v8, 29, v8
	v_and_b32_e32 v5, 7, v5
	v_cmp_eq_u16_e32 vcc, 0, v6
	v_cndmask_b32_e32 v3, v3, v5, vcc
	v_cndmask_b32_e32 v5, v7, v8, vcc
	v_mov_b32_e32 v6, 0x3b800000
	v_lshlrev_b32_e32 v3, 20, v3
	v_lshl_add_u32 v5, v5, 23, v6
	v_or3_b32 v3, v4, v5, v3
.LBB9_1280:
	s_or_b64 exec, exec, s[6:7]
	s_nop 0
	v_mfma_f32_16x16x4f32 a[0:3], v2, v3, a[0:3]
	s_movk_i32 s4, 0x7f
                                        ; implicit-def: $sgpr10
	s_nop 7
	s_nop 1
	flat_store_dwordx4 v[18:19], a[0:3] offset:960
	flat_load_dwordx4 v[20:23], v[0:1] offset:16
	s_nop 0
	flat_load_dwordx2 v[18:19], v[0:1] offset:32
	s_waitcnt vmcnt(0) lgkmcnt(0)
	flat_load_dwordx4 v[14:17], v[20:21] offset:32
	flat_load_dwordx4 v[6:9], v[20:21] offset:48
	;; [unrolled: 1-line block ×4, first 2 shown]
	s_waitcnt vmcnt(0) lgkmcnt(0)
	v_cmp_gt_i16_sdwa s[6:7], v14, s4 src0_sel:BYTE_0 src1_sel:DWORD
	s_mov_b64 s[4:5], 0
	s_and_saveexec_b64 s[8:9], s[6:7]
	s_xor_b64 s[6:7], exec, s[8:9]
	s_cbranch_execnz .LBB9_3329
; %bb.1281:
	s_or_saveexec_b64 s[6:7], s[6:7]
	v_mov_b32_e32 v20, s10
	s_xor_b64 exec, exec, s[6:7]
	s_cbranch_execnz .LBB9_3332
.LBB9_1282:
	s_or_b64 exec, exec, s[6:7]
	s_and_saveexec_b64 s[6:7], s[4:5]
	s_cbranch_execz .LBB9_1284
.LBB9_1283:
	v_and_b32_e32 v20, 7, v14
	v_ffbh_u32_e32 v22, v20
	v_min_u32_e32 v22, 32, v22
	v_lshrrev_b16_e32 v21, 3, v14
	v_subrev_u32_e32 v23, 28, v22
	v_and_b32_e32 v21, 15, v21
	v_lshlrev_b32_e32 v23, v23, v14
	v_sub_u32_e32 v22, 29, v22
	v_and_b32_e32 v23, 7, v23
	v_cmp_eq_u16_e32 vcc, 0, v21
	v_cndmask_b32_e32 v20, v20, v23, vcc
	v_cndmask_b32_e32 v21, v21, v22, vcc
	v_lshlrev_b32_e32 v22, 24, v14
	v_mov_b32_e32 v23, 0x3b800000
	v_lshlrev_b32_e32 v20, 20, v20
	v_and_b32_e32 v22, 0x80000000, v22
	v_lshl_add_u32 v21, v21, 23, v23
	v_or3_b32 v20, v22, v21, v20
.LBB9_1284:
	s_or_b64 exec, exec, s[6:7]
	s_movk_i32 s4, 0x7f
	v_cmp_gt_i16_sdwa s[6:7], v10, s4 src0_sel:BYTE_0 src1_sel:DWORD
	s_mov_b64 s[4:5], 0
                                        ; implicit-def: $sgpr10
	s_and_saveexec_b64 s[8:9], s[6:7]
	s_xor_b64 s[6:7], exec, s[8:9]
	s_cbranch_execnz .LBB9_3333
; %bb.1285:
	s_or_saveexec_b64 s[6:7], s[6:7]
	v_mov_b32_e32 v21, s10
	s_xor_b64 exec, exec, s[6:7]
	s_cbranch_execnz .LBB9_3336
.LBB9_1286:
	s_or_b64 exec, exec, s[6:7]
	s_and_saveexec_b64 s[6:7], s[4:5]
	s_cbranch_execz .LBB9_1288
.LBB9_1287:
	v_and_b32_e32 v21, 7, v10
	v_ffbh_u32_e32 v23, v21
	v_min_u32_e32 v23, 32, v23
	v_lshrrev_b16_e32 v22, 3, v10
	v_subrev_u32_e32 v24, 28, v23
	v_and_b32_e32 v22, 15, v22
	v_lshlrev_b32_e32 v24, v24, v10
	v_sub_u32_e32 v23, 29, v23
	v_and_b32_e32 v24, 7, v24
	v_cmp_eq_u16_e32 vcc, 0, v22
	v_cndmask_b32_e32 v21, v21, v24, vcc
	v_cndmask_b32_e32 v22, v22, v23, vcc
	v_lshlrev_b32_e32 v23, 24, v10
	v_mov_b32_e32 v24, 0x3b800000
	v_lshlrev_b32_e32 v21, 20, v21
	v_and_b32_e32 v23, 0x80000000, v23
	v_lshl_add_u32 v22, v22, 23, v24
	v_or3_b32 v21, v23, v22, v21
.LBB9_1288:
	s_or_b64 exec, exec, s[6:7]
	flat_load_dwordx4 a[0:3], v[18:19] offset:976
	s_movk_i32 s4, 0x7f
                                        ; implicit-def: $sgpr10
	s_waitcnt vmcnt(0) lgkmcnt(0)
	v_mfma_f32_16x16x4f32 a[0:3], v20, v21, a[0:3]
	v_lshrrev_b32_e32 v21, 8, v14
	v_cmp_gt_i16_sdwa s[6:7], v21, s4 src0_sel:BYTE_0 src1_sel:DWORD
	s_mov_b64 s[4:5], 0
	s_and_saveexec_b64 s[8:9], s[6:7]
	s_xor_b64 s[6:7], exec, s[8:9]
	s_cbranch_execnz .LBB9_3337
; %bb.1289:
	s_or_saveexec_b64 s[6:7], s[6:7]
	v_mov_b32_e32 v20, s10
	s_xor_b64 exec, exec, s[6:7]
	s_cbranch_execnz .LBB9_3340
.LBB9_1290:
	s_or_b64 exec, exec, s[6:7]
	s_and_saveexec_b64 s[6:7], s[4:5]
	s_cbranch_execz .LBB9_1292
.LBB9_1291:
	v_bfe_u32 v20, v14, 8, 3
	v_ffbh_u32_e32 v23, v20
	v_min_u32_e32 v23, 32, v23
	v_lshrrev_b16_e32 v22, 3, v21
	v_subrev_u32_e32 v24, 28, v23
	v_and_b32_e32 v22, 15, v22
	v_lshlrev_b32_e32 v21, v24, v21
	v_sub_u32_e32 v23, 29, v23
	v_and_b32_e32 v21, 7, v21
	v_cmp_eq_u16_e32 vcc, 0, v22
	v_cndmask_b32_e32 v20, v20, v21, vcc
	v_cndmask_b32_e32 v21, v22, v23, vcc
	v_lshlrev_b32_e32 v22, 16, v14
	v_mov_b32_e32 v23, 0x3b800000
	v_lshlrev_b32_e32 v20, 20, v20
	v_and_b32_e32 v22, 0x80000000, v22
	v_lshl_add_u32 v21, v21, 23, v23
	v_or3_b32 v20, v22, v21, v20
.LBB9_1292:
	s_or_b64 exec, exec, s[6:7]
	v_lshrrev_b32_e32 v21, 8, v10
	s_movk_i32 s4, 0x7f
	v_cmp_gt_i16_sdwa s[6:7], v21, s4 src0_sel:BYTE_0 src1_sel:DWORD
	s_mov_b64 s[4:5], 0
                                        ; implicit-def: $sgpr10
	s_and_saveexec_b64 s[8:9], s[6:7]
	s_xor_b64 s[6:7], exec, s[8:9]
	s_cbranch_execnz .LBB9_3341
; %bb.1293:
	s_or_saveexec_b64 s[6:7], s[6:7]
	v_mov_b32_e32 v22, s10
	s_xor_b64 exec, exec, s[6:7]
	s_cbranch_execnz .LBB9_3344
.LBB9_1294:
	s_or_b64 exec, exec, s[6:7]
	s_and_saveexec_b64 s[6:7], s[4:5]
	s_cbranch_execz .LBB9_1296
.LBB9_1295:
	v_bfe_u32 v22, v10, 8, 3
	v_ffbh_u32_e32 v24, v22
	v_min_u32_e32 v24, 32, v24
	v_lshrrev_b16_e32 v23, 3, v21
	v_subrev_u32_e32 v25, 28, v24
	v_and_b32_e32 v23, 15, v23
	v_lshlrev_b32_e32 v21, v25, v21
	v_sub_u32_e32 v24, 29, v24
	v_and_b32_e32 v21, 7, v21
	v_cmp_eq_u16_e32 vcc, 0, v23
	v_cndmask_b32_e32 v21, v22, v21, vcc
	v_cndmask_b32_e32 v22, v23, v24, vcc
	v_lshlrev_b32_e32 v23, 16, v10
	v_mov_b32_e32 v24, 0x3b800000
	v_lshlrev_b32_e32 v21, 20, v21
	v_and_b32_e32 v23, 0x80000000, v23
	v_lshl_add_u32 v22, v22, 23, v24
	v_or3_b32 v22, v23, v22, v21
.LBB9_1296:
	s_or_b64 exec, exec, s[6:7]
	s_nop 0
	v_mfma_f32_16x16x4f32 a[0:3], v20, v22, a[0:3]
	s_movk_i32 s4, 0xff
	v_and_b32_sdwa v21, v14, s4 dst_sel:DWORD dst_unused:UNUSED_PAD src0_sel:WORD_1 src1_sel:DWORD
	s_movk_i32 s4, 0x7f
	v_cmp_lt_i16_e32 vcc, s4, v21
	s_mov_b64 s[4:5], 0
                                        ; implicit-def: $sgpr10
	s_and_saveexec_b64 s[6:7], vcc
	s_xor_b64 s[6:7], exec, s[6:7]
	s_cbranch_execnz .LBB9_3345
; %bb.1297:
	s_or_saveexec_b64 s[6:7], s[6:7]
	v_mov_b32_e32 v20, s10
	s_xor_b64 exec, exec, s[6:7]
	s_cbranch_execnz .LBB9_3348
.LBB9_1298:
	s_or_b64 exec, exec, s[6:7]
	s_and_saveexec_b64 s[6:7], s[4:5]
	s_cbranch_execz .LBB9_1300
.LBB9_1299:
	v_bfe_u32 v20, v14, 16, 3
	v_ffbh_u32_e32 v23, v20
	v_min_u32_e32 v23, 32, v23
	v_lshrrev_b32_e32 v21, 19, v14
	v_subrev_u32_e32 v24, 28, v23
	v_and_b32_e32 v21, 15, v21
	v_lshlrev_b32_sdwa v24, v24, v14 dst_sel:DWORD dst_unused:UNUSED_PAD src0_sel:DWORD src1_sel:WORD_1
	v_bfe_u32 v22, v14, 19, 4
	v_sub_u32_e32 v23, 29, v23
	v_and_b32_e32 v24, 7, v24
	v_cmp_eq_u16_e32 vcc, 0, v21
	v_cndmask_b32_e32 v20, v20, v24, vcc
	v_cndmask_b32_e32 v21, v22, v23, vcc
	v_lshlrev_b32_e32 v22, 8, v14
	v_mov_b32_e32 v23, 0x3b800000
	v_lshlrev_b32_e32 v20, 20, v20
	v_and_b32_e32 v22, 0x80000000, v22
	v_lshl_add_u32 v21, v21, 23, v23
	v_or3_b32 v20, v22, v21, v20
.LBB9_1300:
	s_or_b64 exec, exec, s[6:7]
	s_movk_i32 s4, 0xff
	v_and_b32_sdwa v21, v10, s4 dst_sel:DWORD dst_unused:UNUSED_PAD src0_sel:WORD_1 src1_sel:DWORD
	s_movk_i32 s4, 0x7f
	v_cmp_lt_i16_e32 vcc, s4, v21
	s_mov_b64 s[4:5], 0
                                        ; implicit-def: $sgpr10
	s_and_saveexec_b64 s[6:7], vcc
	s_xor_b64 s[6:7], exec, s[6:7]
	s_cbranch_execnz .LBB9_3349
; %bb.1301:
	s_or_saveexec_b64 s[6:7], s[6:7]
	v_mov_b32_e32 v22, s10
	s_xor_b64 exec, exec, s[6:7]
	s_cbranch_execnz .LBB9_3352
.LBB9_1302:
	s_or_b64 exec, exec, s[6:7]
	s_and_saveexec_b64 s[6:7], s[4:5]
	s_cbranch_execz .LBB9_1304
.LBB9_1303:
	v_bfe_u32 v21, v10, 16, 3
	v_ffbh_u32_e32 v24, v21
	v_min_u32_e32 v24, 32, v24
	v_lshrrev_b32_e32 v22, 19, v10
	v_subrev_u32_e32 v25, 28, v24
	v_and_b32_e32 v22, 15, v22
	v_lshlrev_b32_sdwa v25, v25, v10 dst_sel:DWORD dst_unused:UNUSED_PAD src0_sel:DWORD src1_sel:WORD_1
	v_bfe_u32 v23, v10, 19, 4
	v_sub_u32_e32 v24, 29, v24
	v_and_b32_e32 v25, 7, v25
	v_cmp_eq_u16_e32 vcc, 0, v22
	v_cndmask_b32_e32 v21, v21, v25, vcc
	v_cndmask_b32_e32 v22, v23, v24, vcc
	v_lshlrev_b32_e32 v23, 8, v10
	v_mov_b32_e32 v24, 0x3b800000
	v_lshlrev_b32_e32 v21, 20, v21
	v_and_b32_e32 v23, 0x80000000, v23
	v_lshl_add_u32 v22, v22, 23, v24
	v_or3_b32 v22, v23, v22, v21
.LBB9_1304:
	s_or_b64 exec, exec, s[6:7]
	s_nop 0
	v_mfma_f32_16x16x4f32 a[0:3], v20, v22, a[0:3]
	s_movk_i32 s4, 0x7f
	v_cmp_gt_i16_sdwa s[6:7], v14, s4 src0_sel:BYTE_3 src1_sel:DWORD
	s_mov_b64 s[4:5], 0
                                        ; implicit-def: $sgpr10
	s_and_saveexec_b64 s[8:9], s[6:7]
	s_xor_b64 s[6:7], exec, s[8:9]
	s_cbranch_execnz .LBB9_3353
; %bb.1305:
	s_or_saveexec_b64 s[6:7], s[6:7]
	v_mov_b32_e32 v20, s10
	s_xor_b64 exec, exec, s[6:7]
	s_cbranch_execnz .LBB9_3356
.LBB9_1306:
	s_or_b64 exec, exec, s[6:7]
	s_and_saveexec_b64 s[6:7], s[4:5]
	s_cbranch_execz .LBB9_1308
.LBB9_1307:
	v_bfe_u32 v20, v14, 24, 3
	v_ffbh_u32_e32 v24, v20
	v_min_u32_e32 v24, 32, v24
	v_lshrrev_b32_e32 v22, 27, v14
	v_subrev_u32_e32 v25, 28, v24
	v_and_b32_e32 v21, 0x80000000, v14
	v_and_b32_e32 v22, 15, v22
	v_bfe_u32 v23, v14, 27, 4
	v_lshlrev_b32_sdwa v14, v25, v14 dst_sel:DWORD dst_unused:UNUSED_PAD src0_sel:DWORD src1_sel:BYTE_3
	v_sub_u32_e32 v24, 29, v24
	v_and_b32_e32 v14, 7, v14
	v_cmp_eq_u16_e32 vcc, 0, v22
	v_cndmask_b32_e32 v14, v20, v14, vcc
	v_cndmask_b32_e32 v20, v23, v24, vcc
	v_mov_b32_e32 v22, 0x3b800000
	v_lshlrev_b32_e32 v14, 20, v14
	v_lshl_add_u32 v20, v20, 23, v22
	v_or3_b32 v20, v21, v20, v14
.LBB9_1308:
	s_or_b64 exec, exec, s[6:7]
	s_movk_i32 s4, 0x7f
	v_cmp_gt_i16_sdwa s[6:7], v10, s4 src0_sel:BYTE_3 src1_sel:DWORD
	s_mov_b64 s[4:5], 0
                                        ; implicit-def: $sgpr10
	s_and_saveexec_b64 s[8:9], s[6:7]
	s_xor_b64 s[6:7], exec, s[8:9]
	s_cbranch_execnz .LBB9_3357
; %bb.1309:
	s_or_saveexec_b64 s[6:7], s[6:7]
	v_mov_b32_e32 v14, s10
	s_xor_b64 exec, exec, s[6:7]
	s_cbranch_execnz .LBB9_3360
.LBB9_1310:
	s_or_b64 exec, exec, s[6:7]
	s_and_saveexec_b64 s[6:7], s[4:5]
	s_cbranch_execz .LBB9_1312
.LBB9_1311:
	v_bfe_u32 v14, v10, 24, 3
	v_ffbh_u32_e32 v24, v14
	v_min_u32_e32 v24, 32, v24
	v_lshrrev_b32_e32 v22, 27, v10
	v_subrev_u32_e32 v25, 28, v24
	v_and_b32_e32 v21, 0x80000000, v10
	v_and_b32_e32 v22, 15, v22
	v_bfe_u32 v23, v10, 27, 4
	v_lshlrev_b32_sdwa v10, v25, v10 dst_sel:DWORD dst_unused:UNUSED_PAD src0_sel:DWORD src1_sel:BYTE_3
	v_sub_u32_e32 v24, 29, v24
	v_and_b32_e32 v10, 7, v10
	v_cmp_eq_u16_e32 vcc, 0, v22
	v_cndmask_b32_e32 v10, v14, v10, vcc
	v_cndmask_b32_e32 v14, v23, v24, vcc
	v_mov_b32_e32 v22, 0x3b800000
	v_lshlrev_b32_e32 v10, 20, v10
	v_lshl_add_u32 v14, v14, 23, v22
	v_or3_b32 v14, v21, v14, v10
.LBB9_1312:
	s_or_b64 exec, exec, s[6:7]
	s_nop 0
	v_mfma_f32_16x16x4f32 a[0:3], v20, v14, a[0:3]
	s_movk_i32 s4, 0x7f
	v_cmp_gt_i16_sdwa s[6:7], v15, s4 src0_sel:BYTE_0 src1_sel:DWORD
	s_mov_b64 s[4:5], 0
                                        ; implicit-def: $sgpr10
	s_and_saveexec_b64 s[8:9], s[6:7]
	s_xor_b64 s[6:7], exec, s[8:9]
	s_cbranch_execnz .LBB9_3361
; %bb.1313:
	s_or_saveexec_b64 s[6:7], s[6:7]
	v_mov_b32_e32 v10, s10
	s_xor_b64 exec, exec, s[6:7]
	s_cbranch_execnz .LBB9_3364
.LBB9_1314:
	s_or_b64 exec, exec, s[6:7]
	s_and_saveexec_b64 s[6:7], s[4:5]
	s_cbranch_execz .LBB9_1316
.LBB9_1315:
	v_and_b32_e32 v10, 7, v15
	v_ffbh_u32_e32 v20, v10
	v_min_u32_e32 v20, 32, v20
	v_lshrrev_b16_e32 v14, 3, v15
	v_subrev_u32_e32 v21, 28, v20
	v_and_b32_e32 v14, 15, v14
	v_lshlrev_b32_e32 v21, v21, v15
	v_sub_u32_e32 v20, 29, v20
	v_and_b32_e32 v21, 7, v21
	v_cmp_eq_u16_e32 vcc, 0, v14
	v_cndmask_b32_e32 v10, v10, v21, vcc
	v_cndmask_b32_e32 v14, v14, v20, vcc
	v_lshlrev_b32_e32 v20, 24, v15
	v_mov_b32_e32 v21, 0x3b800000
	v_lshlrev_b32_e32 v10, 20, v10
	v_and_b32_e32 v20, 0x80000000, v20
	v_lshl_add_u32 v14, v14, 23, v21
	v_or3_b32 v10, v20, v14, v10
.LBB9_1316:
	s_or_b64 exec, exec, s[6:7]
	s_movk_i32 s4, 0x7f
	v_cmp_gt_i16_sdwa s[6:7], v11, s4 src0_sel:BYTE_0 src1_sel:DWORD
	s_mov_b64 s[4:5], 0
                                        ; implicit-def: $sgpr10
	s_and_saveexec_b64 s[8:9], s[6:7]
	s_xor_b64 s[6:7], exec, s[8:9]
	s_cbranch_execnz .LBB9_3365
; %bb.1317:
	s_or_saveexec_b64 s[6:7], s[6:7]
	v_mov_b32_e32 v14, s10
	s_xor_b64 exec, exec, s[6:7]
	s_cbranch_execnz .LBB9_3368
.LBB9_1318:
	s_or_b64 exec, exec, s[6:7]
	s_and_saveexec_b64 s[6:7], s[4:5]
	s_cbranch_execz .LBB9_1320
.LBB9_1319:
	v_and_b32_e32 v14, 7, v11
	v_ffbh_u32_e32 v21, v14
	v_min_u32_e32 v21, 32, v21
	v_lshrrev_b16_e32 v20, 3, v11
	v_subrev_u32_e32 v22, 28, v21
	v_and_b32_e32 v20, 15, v20
	v_lshlrev_b32_e32 v22, v22, v11
	v_sub_u32_e32 v21, 29, v21
	v_and_b32_e32 v22, 7, v22
	v_cmp_eq_u16_e32 vcc, 0, v20
	v_cndmask_b32_e32 v14, v14, v22, vcc
	v_cndmask_b32_e32 v20, v20, v21, vcc
	v_lshlrev_b32_e32 v21, 24, v11
	v_mov_b32_e32 v22, 0x3b800000
	v_lshlrev_b32_e32 v14, 20, v14
	v_and_b32_e32 v21, 0x80000000, v21
	v_lshl_add_u32 v20, v20, 23, v22
	v_or3_b32 v14, v21, v20, v14
.LBB9_1320:
	s_or_b64 exec, exec, s[6:7]
	s_nop 0
	v_mfma_f32_16x16x4f32 a[0:3], v10, v14, a[0:3]
	v_lshrrev_b32_e32 v14, 8, v15
	s_movk_i32 s4, 0x7f
	v_cmp_gt_i16_sdwa s[6:7], v14, s4 src0_sel:BYTE_0 src1_sel:DWORD
	s_mov_b64 s[4:5], 0
                                        ; implicit-def: $sgpr10
	s_and_saveexec_b64 s[8:9], s[6:7]
	s_xor_b64 s[6:7], exec, s[8:9]
	s_cbranch_execnz .LBB9_3369
; %bb.1321:
	s_or_saveexec_b64 s[6:7], s[6:7]
	v_mov_b32_e32 v10, s10
	s_xor_b64 exec, exec, s[6:7]
	s_cbranch_execnz .LBB9_3372
.LBB9_1322:
	s_or_b64 exec, exec, s[6:7]
	s_and_saveexec_b64 s[6:7], s[4:5]
	s_cbranch_execz .LBB9_1324
.LBB9_1323:
	v_bfe_u32 v10, v15, 8, 3
	v_ffbh_u32_e32 v21, v10
	v_min_u32_e32 v21, 32, v21
	v_lshrrev_b16_e32 v20, 3, v14
	v_subrev_u32_e32 v22, 28, v21
	v_and_b32_e32 v20, 15, v20
	v_lshlrev_b32_e32 v14, v22, v14
	v_sub_u32_e32 v21, 29, v21
	v_and_b32_e32 v14, 7, v14
	v_cmp_eq_u16_e32 vcc, 0, v20
	v_cndmask_b32_e32 v10, v10, v14, vcc
	v_cndmask_b32_e32 v14, v20, v21, vcc
	v_lshlrev_b32_e32 v20, 16, v15
	v_mov_b32_e32 v21, 0x3b800000
	v_lshlrev_b32_e32 v10, 20, v10
	v_and_b32_e32 v20, 0x80000000, v20
	v_lshl_add_u32 v14, v14, 23, v21
	v_or3_b32 v10, v20, v14, v10
.LBB9_1324:
	s_or_b64 exec, exec, s[6:7]
	v_lshrrev_b32_e32 v14, 8, v11
	s_movk_i32 s4, 0x7f
	v_cmp_gt_i16_sdwa s[6:7], v14, s4 src0_sel:BYTE_0 src1_sel:DWORD
	s_mov_b64 s[4:5], 0
                                        ; implicit-def: $sgpr10
	s_and_saveexec_b64 s[8:9], s[6:7]
	s_xor_b64 s[6:7], exec, s[8:9]
	s_cbranch_execnz .LBB9_3373
; %bb.1325:
	s_or_saveexec_b64 s[6:7], s[6:7]
	v_mov_b32_e32 v20, s10
	s_xor_b64 exec, exec, s[6:7]
	s_cbranch_execnz .LBB9_3376
.LBB9_1326:
	s_or_b64 exec, exec, s[6:7]
	s_and_saveexec_b64 s[6:7], s[4:5]
	s_cbranch_execz .LBB9_1328
.LBB9_1327:
	v_bfe_u32 v20, v11, 8, 3
	v_ffbh_u32_e32 v22, v20
	v_min_u32_e32 v22, 32, v22
	v_lshrrev_b16_e32 v21, 3, v14
	v_subrev_u32_e32 v23, 28, v22
	v_and_b32_e32 v21, 15, v21
	v_lshlrev_b32_e32 v14, v23, v14
	v_sub_u32_e32 v22, 29, v22
	v_and_b32_e32 v14, 7, v14
	v_cmp_eq_u16_e32 vcc, 0, v21
	v_cndmask_b32_e32 v14, v20, v14, vcc
	v_cndmask_b32_e32 v20, v21, v22, vcc
	v_lshlrev_b32_e32 v21, 16, v11
	v_mov_b32_e32 v22, 0x3b800000
	v_lshlrev_b32_e32 v14, 20, v14
	v_and_b32_e32 v21, 0x80000000, v21
	v_lshl_add_u32 v20, v20, 23, v22
	v_or3_b32 v20, v21, v20, v14
.LBB9_1328:
	s_or_b64 exec, exec, s[6:7]
	s_nop 0
	v_mfma_f32_16x16x4f32 a[0:3], v10, v20, a[0:3]
	s_movk_i32 s4, 0xff
	v_and_b32_sdwa v14, v15, s4 dst_sel:DWORD dst_unused:UNUSED_PAD src0_sel:WORD_1 src1_sel:DWORD
	s_movk_i32 s4, 0x7f
	v_cmp_lt_i16_e32 vcc, s4, v14
	s_mov_b64 s[4:5], 0
                                        ; implicit-def: $sgpr10
	s_and_saveexec_b64 s[6:7], vcc
	s_xor_b64 s[6:7], exec, s[6:7]
	s_cbranch_execnz .LBB9_3377
; %bb.1329:
	s_or_saveexec_b64 s[6:7], s[6:7]
	v_mov_b32_e32 v10, s10
	s_xor_b64 exec, exec, s[6:7]
	s_cbranch_execnz .LBB9_3380
.LBB9_1330:
	s_or_b64 exec, exec, s[6:7]
	s_and_saveexec_b64 s[6:7], s[4:5]
	s_cbranch_execz .LBB9_1332
.LBB9_1331:
	v_bfe_u32 v10, v15, 16, 3
	v_ffbh_u32_e32 v21, v10
	v_min_u32_e32 v21, 32, v21
	v_lshrrev_b32_e32 v14, 19, v15
	v_subrev_u32_e32 v22, 28, v21
	v_and_b32_e32 v14, 15, v14
	v_lshlrev_b32_sdwa v22, v22, v15 dst_sel:DWORD dst_unused:UNUSED_PAD src0_sel:DWORD src1_sel:WORD_1
	v_bfe_u32 v20, v15, 19, 4
	v_sub_u32_e32 v21, 29, v21
	v_and_b32_e32 v22, 7, v22
	v_cmp_eq_u16_e32 vcc, 0, v14
	v_cndmask_b32_e32 v10, v10, v22, vcc
	v_cndmask_b32_e32 v14, v20, v21, vcc
	v_lshlrev_b32_e32 v20, 8, v15
	v_mov_b32_e32 v21, 0x3b800000
	v_lshlrev_b32_e32 v10, 20, v10
	v_and_b32_e32 v20, 0x80000000, v20
	v_lshl_add_u32 v14, v14, 23, v21
	v_or3_b32 v10, v20, v14, v10
.LBB9_1332:
	s_or_b64 exec, exec, s[6:7]
	s_movk_i32 s4, 0xff
	v_and_b32_sdwa v14, v11, s4 dst_sel:DWORD dst_unused:UNUSED_PAD src0_sel:WORD_1 src1_sel:DWORD
	s_movk_i32 s4, 0x7f
	v_cmp_lt_i16_e32 vcc, s4, v14
	s_mov_b64 s[4:5], 0
                                        ; implicit-def: $sgpr10
	s_and_saveexec_b64 s[6:7], vcc
	s_xor_b64 s[6:7], exec, s[6:7]
	s_cbranch_execnz .LBB9_3381
; %bb.1333:
	s_or_saveexec_b64 s[6:7], s[6:7]
	v_mov_b32_e32 v20, s10
	s_xor_b64 exec, exec, s[6:7]
	s_cbranch_execnz .LBB9_3384
.LBB9_1334:
	s_or_b64 exec, exec, s[6:7]
	s_and_saveexec_b64 s[6:7], s[4:5]
	s_cbranch_execz .LBB9_1336
.LBB9_1335:
	v_bfe_u32 v14, v11, 16, 3
	v_ffbh_u32_e32 v22, v14
	v_min_u32_e32 v22, 32, v22
	v_lshrrev_b32_e32 v20, 19, v11
	v_subrev_u32_e32 v23, 28, v22
	v_and_b32_e32 v20, 15, v20
	v_lshlrev_b32_sdwa v23, v23, v11 dst_sel:DWORD dst_unused:UNUSED_PAD src0_sel:DWORD src1_sel:WORD_1
	v_bfe_u32 v21, v11, 19, 4
	v_sub_u32_e32 v22, 29, v22
	v_and_b32_e32 v23, 7, v23
	v_cmp_eq_u16_e32 vcc, 0, v20
	v_cndmask_b32_e32 v14, v14, v23, vcc
	v_cndmask_b32_e32 v20, v21, v22, vcc
	v_lshlrev_b32_e32 v21, 8, v11
	v_mov_b32_e32 v22, 0x3b800000
	v_lshlrev_b32_e32 v14, 20, v14
	v_and_b32_e32 v21, 0x80000000, v21
	v_lshl_add_u32 v20, v20, 23, v22
	v_or3_b32 v20, v21, v20, v14
.LBB9_1336:
	s_or_b64 exec, exec, s[6:7]
	s_nop 0
	v_mfma_f32_16x16x4f32 a[0:3], v10, v20, a[0:3]
	s_movk_i32 s4, 0x7f
	v_cmp_gt_i16_sdwa s[6:7], v15, s4 src0_sel:BYTE_3 src1_sel:DWORD
	s_mov_b64 s[4:5], 0
                                        ; implicit-def: $sgpr10
	s_and_saveexec_b64 s[8:9], s[6:7]
	s_xor_b64 s[6:7], exec, s[8:9]
	s_cbranch_execnz .LBB9_3385
; %bb.1337:
	s_or_saveexec_b64 s[6:7], s[6:7]
	v_mov_b32_e32 v10, s10
	s_xor_b64 exec, exec, s[6:7]
	s_cbranch_execnz .LBB9_3388
.LBB9_1338:
	s_or_b64 exec, exec, s[6:7]
	s_and_saveexec_b64 s[6:7], s[4:5]
	s_cbranch_execz .LBB9_1340
.LBB9_1339:
	v_bfe_u32 v10, v15, 24, 3
	v_ffbh_u32_e32 v22, v10
	v_min_u32_e32 v22, 32, v22
	v_lshrrev_b32_e32 v20, 27, v15
	v_subrev_u32_e32 v23, 28, v22
	v_and_b32_e32 v14, 0x80000000, v15
	v_and_b32_e32 v20, 15, v20
	v_bfe_u32 v21, v15, 27, 4
	v_lshlrev_b32_sdwa v15, v23, v15 dst_sel:DWORD dst_unused:UNUSED_PAD src0_sel:DWORD src1_sel:BYTE_3
	v_sub_u32_e32 v22, 29, v22
	v_and_b32_e32 v15, 7, v15
	v_cmp_eq_u16_e32 vcc, 0, v20
	v_cndmask_b32_e32 v10, v10, v15, vcc
	v_cndmask_b32_e32 v15, v21, v22, vcc
	v_mov_b32_e32 v20, 0x3b800000
	v_lshlrev_b32_e32 v10, 20, v10
	v_lshl_add_u32 v15, v15, 23, v20
	v_or3_b32 v10, v14, v15, v10
.LBB9_1340:
	s_or_b64 exec, exec, s[6:7]
	s_movk_i32 s4, 0x7f
	v_cmp_gt_i16_sdwa s[6:7], v11, s4 src0_sel:BYTE_3 src1_sel:DWORD
	s_mov_b64 s[4:5], 0
                                        ; implicit-def: $sgpr10
	s_and_saveexec_b64 s[8:9], s[6:7]
	s_xor_b64 s[6:7], exec, s[8:9]
	s_cbranch_execnz .LBB9_3389
; %bb.1341:
	s_or_saveexec_b64 s[6:7], s[6:7]
	v_mov_b32_e32 v14, s10
	s_xor_b64 exec, exec, s[6:7]
	s_cbranch_execnz .LBB9_3392
.LBB9_1342:
	s_or_b64 exec, exec, s[6:7]
	s_and_saveexec_b64 s[6:7], s[4:5]
	s_cbranch_execz .LBB9_1344
.LBB9_1343:
	v_bfe_u32 v14, v11, 24, 3
	v_ffbh_u32_e32 v22, v14
	v_min_u32_e32 v22, 32, v22
	v_lshrrev_b32_e32 v20, 27, v11
	v_subrev_u32_e32 v23, 28, v22
	v_and_b32_e32 v15, 0x80000000, v11
	v_and_b32_e32 v20, 15, v20
	v_bfe_u32 v21, v11, 27, 4
	v_lshlrev_b32_sdwa v11, v23, v11 dst_sel:DWORD dst_unused:UNUSED_PAD src0_sel:DWORD src1_sel:BYTE_3
	v_sub_u32_e32 v22, 29, v22
	v_and_b32_e32 v11, 7, v11
	v_cmp_eq_u16_e32 vcc, 0, v20
	v_cndmask_b32_e32 v11, v14, v11, vcc
	v_cndmask_b32_e32 v14, v21, v22, vcc
	v_mov_b32_e32 v20, 0x3b800000
	v_lshlrev_b32_e32 v11, 20, v11
	v_lshl_add_u32 v14, v14, 23, v20
	v_or3_b32 v14, v15, v14, v11
.LBB9_1344:
	s_or_b64 exec, exec, s[6:7]
	s_nop 0
	v_mfma_f32_16x16x4f32 a[0:3], v10, v14, a[0:3]
	s_movk_i32 s4, 0x7f
	v_cmp_gt_i16_sdwa s[6:7], v16, s4 src0_sel:BYTE_0 src1_sel:DWORD
	s_mov_b64 s[4:5], 0
                                        ; implicit-def: $sgpr10
	s_and_saveexec_b64 s[8:9], s[6:7]
	s_xor_b64 s[6:7], exec, s[8:9]
	s_cbranch_execnz .LBB9_3393
; %bb.1345:
	s_or_saveexec_b64 s[6:7], s[6:7]
	v_mov_b32_e32 v10, s10
	s_xor_b64 exec, exec, s[6:7]
	s_cbranch_execnz .LBB9_3396
.LBB9_1346:
	s_or_b64 exec, exec, s[6:7]
	s_and_saveexec_b64 s[6:7], s[4:5]
	s_cbranch_execz .LBB9_1348
.LBB9_1347:
	v_and_b32_e32 v10, 7, v16
	v_ffbh_u32_e32 v14, v10
	v_min_u32_e32 v14, 32, v14
	v_lshrrev_b16_e32 v11, 3, v16
	v_subrev_u32_e32 v15, 28, v14
	v_and_b32_e32 v11, 15, v11
	v_lshlrev_b32_e32 v15, v15, v16
	v_sub_u32_e32 v14, 29, v14
	v_and_b32_e32 v15, 7, v15
	v_cmp_eq_u16_e32 vcc, 0, v11
	v_cndmask_b32_e32 v10, v10, v15, vcc
	v_cndmask_b32_e32 v11, v11, v14, vcc
	v_lshlrev_b32_e32 v14, 24, v16
	v_mov_b32_e32 v15, 0x3b800000
	v_lshlrev_b32_e32 v10, 20, v10
	v_and_b32_e32 v14, 0x80000000, v14
	v_lshl_add_u32 v11, v11, 23, v15
	v_or3_b32 v10, v14, v11, v10
.LBB9_1348:
	s_or_b64 exec, exec, s[6:7]
	s_movk_i32 s4, 0x7f
	v_cmp_gt_i16_sdwa s[6:7], v12, s4 src0_sel:BYTE_0 src1_sel:DWORD
	s_mov_b64 s[4:5], 0
                                        ; implicit-def: $sgpr10
	s_and_saveexec_b64 s[8:9], s[6:7]
	s_xor_b64 s[6:7], exec, s[8:9]
	s_cbranch_execnz .LBB9_3397
; %bb.1349:
	s_or_saveexec_b64 s[6:7], s[6:7]
	v_mov_b32_e32 v11, s10
	s_xor_b64 exec, exec, s[6:7]
	s_cbranch_execnz .LBB9_3400
.LBB9_1350:
	s_or_b64 exec, exec, s[6:7]
	s_and_saveexec_b64 s[6:7], s[4:5]
	s_cbranch_execz .LBB9_1352
.LBB9_1351:
	v_and_b32_e32 v11, 7, v12
	v_ffbh_u32_e32 v15, v11
	v_min_u32_e32 v15, 32, v15
	v_lshrrev_b16_e32 v14, 3, v12
	v_subrev_u32_e32 v20, 28, v15
	v_and_b32_e32 v14, 15, v14
	v_lshlrev_b32_e32 v20, v20, v12
	v_sub_u32_e32 v15, 29, v15
	v_and_b32_e32 v20, 7, v20
	v_cmp_eq_u16_e32 vcc, 0, v14
	v_cndmask_b32_e32 v11, v11, v20, vcc
	v_cndmask_b32_e32 v14, v14, v15, vcc
	v_lshlrev_b32_e32 v15, 24, v12
	v_mov_b32_e32 v20, 0x3b800000
	v_lshlrev_b32_e32 v11, 20, v11
	v_and_b32_e32 v15, 0x80000000, v15
	v_lshl_add_u32 v14, v14, 23, v20
	v_or3_b32 v11, v15, v14, v11
.LBB9_1352:
	s_or_b64 exec, exec, s[6:7]
	s_nop 0
	v_mfma_f32_16x16x4f32 a[0:3], v10, v11, a[0:3]
	v_lshrrev_b32_e32 v11, 8, v16
	s_movk_i32 s4, 0x7f
	v_cmp_gt_i16_sdwa s[6:7], v11, s4 src0_sel:BYTE_0 src1_sel:DWORD
	s_mov_b64 s[4:5], 0
                                        ; implicit-def: $sgpr10
	s_and_saveexec_b64 s[8:9], s[6:7]
	s_xor_b64 s[6:7], exec, s[8:9]
	s_cbranch_execnz .LBB9_3401
; %bb.1353:
	s_or_saveexec_b64 s[6:7], s[6:7]
	v_mov_b32_e32 v10, s10
	s_xor_b64 exec, exec, s[6:7]
	s_cbranch_execnz .LBB9_3404
.LBB9_1354:
	s_or_b64 exec, exec, s[6:7]
	s_and_saveexec_b64 s[6:7], s[4:5]
	s_cbranch_execz .LBB9_1356
.LBB9_1355:
	v_bfe_u32 v10, v16, 8, 3
	v_ffbh_u32_e32 v15, v10
	v_min_u32_e32 v15, 32, v15
	v_lshrrev_b16_e32 v14, 3, v11
	v_subrev_u32_e32 v20, 28, v15
	v_and_b32_e32 v14, 15, v14
	v_lshlrev_b32_e32 v11, v20, v11
	v_sub_u32_e32 v15, 29, v15
	v_and_b32_e32 v11, 7, v11
	v_cmp_eq_u16_e32 vcc, 0, v14
	v_cndmask_b32_e32 v10, v10, v11, vcc
	v_cndmask_b32_e32 v11, v14, v15, vcc
	v_lshlrev_b32_e32 v14, 16, v16
	v_mov_b32_e32 v15, 0x3b800000
	v_lshlrev_b32_e32 v10, 20, v10
	v_and_b32_e32 v14, 0x80000000, v14
	v_lshl_add_u32 v11, v11, 23, v15
	v_or3_b32 v10, v14, v11, v10
.LBB9_1356:
	s_or_b64 exec, exec, s[6:7]
	v_lshrrev_b32_e32 v11, 8, v12
	s_movk_i32 s4, 0x7f
	v_cmp_gt_i16_sdwa s[6:7], v11, s4 src0_sel:BYTE_0 src1_sel:DWORD
	s_mov_b64 s[4:5], 0
                                        ; implicit-def: $sgpr10
	s_and_saveexec_b64 s[8:9], s[6:7]
	s_xor_b64 s[6:7], exec, s[8:9]
	s_cbranch_execnz .LBB9_3405
; %bb.1357:
	s_or_saveexec_b64 s[6:7], s[6:7]
	v_mov_b32_e32 v14, s10
	s_xor_b64 exec, exec, s[6:7]
	s_cbranch_execnz .LBB9_3408
.LBB9_1358:
	s_or_b64 exec, exec, s[6:7]
	s_and_saveexec_b64 s[6:7], s[4:5]
	s_cbranch_execz .LBB9_1360
.LBB9_1359:
	v_bfe_u32 v14, v12, 8, 3
	v_ffbh_u32_e32 v20, v14
	v_min_u32_e32 v20, 32, v20
	v_lshrrev_b16_e32 v15, 3, v11
	v_subrev_u32_e32 v21, 28, v20
	v_and_b32_e32 v15, 15, v15
	v_lshlrev_b32_e32 v11, v21, v11
	v_sub_u32_e32 v20, 29, v20
	v_and_b32_e32 v11, 7, v11
	v_cmp_eq_u16_e32 vcc, 0, v15
	v_cndmask_b32_e32 v11, v14, v11, vcc
	v_cndmask_b32_e32 v14, v15, v20, vcc
	v_lshlrev_b32_e32 v15, 16, v12
	v_mov_b32_e32 v20, 0x3b800000
	v_lshlrev_b32_e32 v11, 20, v11
	v_and_b32_e32 v15, 0x80000000, v15
	v_lshl_add_u32 v14, v14, 23, v20
	v_or3_b32 v14, v15, v14, v11
.LBB9_1360:
	s_or_b64 exec, exec, s[6:7]
	s_nop 0
	v_mfma_f32_16x16x4f32 a[0:3], v10, v14, a[0:3]
	s_movk_i32 s4, 0xff
	v_and_b32_sdwa v11, v16, s4 dst_sel:DWORD dst_unused:UNUSED_PAD src0_sel:WORD_1 src1_sel:DWORD
	s_movk_i32 s4, 0x7f
	v_cmp_lt_i16_e32 vcc, s4, v11
	s_mov_b64 s[4:5], 0
                                        ; implicit-def: $sgpr10
	s_and_saveexec_b64 s[6:7], vcc
	s_xor_b64 s[6:7], exec, s[6:7]
	s_cbranch_execnz .LBB9_3409
; %bb.1361:
	s_or_saveexec_b64 s[6:7], s[6:7]
	v_mov_b32_e32 v10, s10
	s_xor_b64 exec, exec, s[6:7]
	s_cbranch_execnz .LBB9_3412
.LBB9_1362:
	s_or_b64 exec, exec, s[6:7]
	s_and_saveexec_b64 s[6:7], s[4:5]
	s_cbranch_execz .LBB9_1364
.LBB9_1363:
	v_bfe_u32 v10, v16, 16, 3
	v_ffbh_u32_e32 v15, v10
	v_min_u32_e32 v15, 32, v15
	v_lshrrev_b32_e32 v11, 19, v16
	v_subrev_u32_e32 v20, 28, v15
	v_and_b32_e32 v11, 15, v11
	v_lshlrev_b32_sdwa v20, v20, v16 dst_sel:DWORD dst_unused:UNUSED_PAD src0_sel:DWORD src1_sel:WORD_1
	v_bfe_u32 v14, v16, 19, 4
	v_sub_u32_e32 v15, 29, v15
	v_and_b32_e32 v20, 7, v20
	v_cmp_eq_u16_e32 vcc, 0, v11
	v_cndmask_b32_e32 v10, v10, v20, vcc
	v_cndmask_b32_e32 v11, v14, v15, vcc
	v_lshlrev_b32_e32 v14, 8, v16
	v_mov_b32_e32 v15, 0x3b800000
	v_lshlrev_b32_e32 v10, 20, v10
	v_and_b32_e32 v14, 0x80000000, v14
	v_lshl_add_u32 v11, v11, 23, v15
	v_or3_b32 v10, v14, v11, v10
.LBB9_1364:
	s_or_b64 exec, exec, s[6:7]
	s_movk_i32 s4, 0xff
	v_and_b32_sdwa v11, v12, s4 dst_sel:DWORD dst_unused:UNUSED_PAD src0_sel:WORD_1 src1_sel:DWORD
	s_movk_i32 s4, 0x7f
	v_cmp_lt_i16_e32 vcc, s4, v11
	s_mov_b64 s[4:5], 0
                                        ; implicit-def: $sgpr10
	s_and_saveexec_b64 s[6:7], vcc
	s_xor_b64 s[6:7], exec, s[6:7]
	s_cbranch_execnz .LBB9_3413
; %bb.1365:
	s_or_saveexec_b64 s[6:7], s[6:7]
	v_mov_b32_e32 v14, s10
	s_xor_b64 exec, exec, s[6:7]
	s_cbranch_execnz .LBB9_3416
.LBB9_1366:
	s_or_b64 exec, exec, s[6:7]
	s_and_saveexec_b64 s[6:7], s[4:5]
	s_cbranch_execz .LBB9_1368
.LBB9_1367:
	v_bfe_u32 v11, v12, 16, 3
	v_ffbh_u32_e32 v20, v11
	v_min_u32_e32 v20, 32, v20
	v_lshrrev_b32_e32 v14, 19, v12
	v_subrev_u32_e32 v21, 28, v20
	v_and_b32_e32 v14, 15, v14
	v_lshlrev_b32_sdwa v21, v21, v12 dst_sel:DWORD dst_unused:UNUSED_PAD src0_sel:DWORD src1_sel:WORD_1
	v_bfe_u32 v15, v12, 19, 4
	v_sub_u32_e32 v20, 29, v20
	v_and_b32_e32 v21, 7, v21
	v_cmp_eq_u16_e32 vcc, 0, v14
	v_cndmask_b32_e32 v11, v11, v21, vcc
	v_cndmask_b32_e32 v14, v15, v20, vcc
	v_lshlrev_b32_e32 v15, 8, v12
	v_mov_b32_e32 v20, 0x3b800000
	v_lshlrev_b32_e32 v11, 20, v11
	v_and_b32_e32 v15, 0x80000000, v15
	v_lshl_add_u32 v14, v14, 23, v20
	v_or3_b32 v14, v15, v14, v11
.LBB9_1368:
	s_or_b64 exec, exec, s[6:7]
	s_nop 0
	v_mfma_f32_16x16x4f32 a[0:3], v10, v14, a[0:3]
	s_movk_i32 s4, 0x7f
	v_cmp_gt_i16_sdwa s[6:7], v16, s4 src0_sel:BYTE_3 src1_sel:DWORD
	s_mov_b64 s[4:5], 0
                                        ; implicit-def: $sgpr10
	s_and_saveexec_b64 s[8:9], s[6:7]
	s_xor_b64 s[6:7], exec, s[8:9]
	s_cbranch_execnz .LBB9_3417
; %bb.1369:
	s_or_saveexec_b64 s[6:7], s[6:7]
	v_mov_b32_e32 v10, s10
	s_xor_b64 exec, exec, s[6:7]
	s_cbranch_execnz .LBB9_3420
.LBB9_1370:
	s_or_b64 exec, exec, s[6:7]
	s_and_saveexec_b64 s[6:7], s[4:5]
	s_cbranch_execz .LBB9_1372
.LBB9_1371:
	v_bfe_u32 v10, v16, 24, 3
	v_ffbh_u32_e32 v20, v10
	v_min_u32_e32 v20, 32, v20
	v_lshrrev_b32_e32 v14, 27, v16
	v_subrev_u32_e32 v21, 28, v20
	v_and_b32_e32 v11, 0x80000000, v16
	v_and_b32_e32 v14, 15, v14
	v_bfe_u32 v15, v16, 27, 4
	v_lshlrev_b32_sdwa v16, v21, v16 dst_sel:DWORD dst_unused:UNUSED_PAD src0_sel:DWORD src1_sel:BYTE_3
	v_sub_u32_e32 v20, 29, v20
	v_and_b32_e32 v16, 7, v16
	v_cmp_eq_u16_e32 vcc, 0, v14
	v_cndmask_b32_e32 v10, v10, v16, vcc
	v_cndmask_b32_e32 v14, v15, v20, vcc
	v_mov_b32_e32 v15, 0x3b800000
	v_lshlrev_b32_e32 v10, 20, v10
	v_lshl_add_u32 v14, v14, 23, v15
	v_or3_b32 v10, v11, v14, v10
.LBB9_1372:
	s_or_b64 exec, exec, s[6:7]
	s_movk_i32 s4, 0x7f
	v_cmp_gt_i16_sdwa s[6:7], v12, s4 src0_sel:BYTE_3 src1_sel:DWORD
	s_mov_b64 s[4:5], 0
                                        ; implicit-def: $sgpr10
	s_and_saveexec_b64 s[8:9], s[6:7]
	s_xor_b64 s[6:7], exec, s[8:9]
	s_cbranch_execnz .LBB9_3421
; %bb.1373:
	s_or_saveexec_b64 s[6:7], s[6:7]
	v_mov_b32_e32 v11, s10
	s_xor_b64 exec, exec, s[6:7]
	s_cbranch_execnz .LBB9_3424
.LBB9_1374:
	s_or_b64 exec, exec, s[6:7]
	s_and_saveexec_b64 s[6:7], s[4:5]
	s_cbranch_execz .LBB9_1376
.LBB9_1375:
	v_bfe_u32 v11, v12, 24, 3
	v_ffbh_u32_e32 v20, v11
	v_min_u32_e32 v20, 32, v20
	v_lshrrev_b32_e32 v15, 27, v12
	v_subrev_u32_e32 v21, 28, v20
	v_and_b32_e32 v14, 0x80000000, v12
	v_and_b32_e32 v15, 15, v15
	v_bfe_u32 v16, v12, 27, 4
	v_lshlrev_b32_sdwa v12, v21, v12 dst_sel:DWORD dst_unused:UNUSED_PAD src0_sel:DWORD src1_sel:BYTE_3
	v_sub_u32_e32 v20, 29, v20
	v_and_b32_e32 v12, 7, v12
	v_cmp_eq_u16_e32 vcc, 0, v15
	v_cndmask_b32_e32 v11, v11, v12, vcc
	v_cndmask_b32_e32 v12, v16, v20, vcc
	v_mov_b32_e32 v15, 0x3b800000
	v_lshlrev_b32_e32 v11, 20, v11
	v_lshl_add_u32 v12, v12, 23, v15
	v_or3_b32 v11, v14, v12, v11
.LBB9_1376:
	s_or_b64 exec, exec, s[6:7]
	s_nop 0
	v_mfma_f32_16x16x4f32 a[0:3], v10, v11, a[0:3]
	s_movk_i32 s4, 0x7f
	v_cmp_gt_i16_sdwa s[6:7], v17, s4 src0_sel:BYTE_0 src1_sel:DWORD
	s_mov_b64 s[4:5], 0
                                        ; implicit-def: $sgpr10
	s_and_saveexec_b64 s[8:9], s[6:7]
	s_xor_b64 s[6:7], exec, s[8:9]
	s_cbranch_execnz .LBB9_3425
; %bb.1377:
	s_or_saveexec_b64 s[6:7], s[6:7]
	v_mov_b32_e32 v10, s10
	s_xor_b64 exec, exec, s[6:7]
	s_cbranch_execnz .LBB9_3428
.LBB9_1378:
	s_or_b64 exec, exec, s[6:7]
	s_and_saveexec_b64 s[6:7], s[4:5]
	s_cbranch_execz .LBB9_1380
.LBB9_1379:
	v_and_b32_e32 v10, 7, v17
	v_ffbh_u32_e32 v12, v10
	v_min_u32_e32 v12, 32, v12
	v_lshrrev_b16_e32 v11, 3, v17
	v_subrev_u32_e32 v14, 28, v12
	v_and_b32_e32 v11, 15, v11
	v_lshlrev_b32_e32 v14, v14, v17
	v_sub_u32_e32 v12, 29, v12
	v_and_b32_e32 v14, 7, v14
	v_cmp_eq_u16_e32 vcc, 0, v11
	v_cndmask_b32_e32 v10, v10, v14, vcc
	v_cndmask_b32_e32 v11, v11, v12, vcc
	v_lshlrev_b32_e32 v12, 24, v17
	v_mov_b32_e32 v14, 0x3b800000
	v_lshlrev_b32_e32 v10, 20, v10
	v_and_b32_e32 v12, 0x80000000, v12
	v_lshl_add_u32 v11, v11, 23, v14
	v_or3_b32 v10, v12, v11, v10
.LBB9_1380:
	s_or_b64 exec, exec, s[6:7]
	s_movk_i32 s4, 0x7f
	v_cmp_gt_i16_sdwa s[6:7], v13, s4 src0_sel:BYTE_0 src1_sel:DWORD
	s_mov_b64 s[4:5], 0
                                        ; implicit-def: $sgpr10
	s_and_saveexec_b64 s[8:9], s[6:7]
	s_xor_b64 s[6:7], exec, s[8:9]
	s_cbranch_execnz .LBB9_3429
; %bb.1381:
	s_or_saveexec_b64 s[6:7], s[6:7]
	v_mov_b32_e32 v11, s10
	s_xor_b64 exec, exec, s[6:7]
	s_cbranch_execnz .LBB9_3432
.LBB9_1382:
	s_or_b64 exec, exec, s[6:7]
	s_and_saveexec_b64 s[6:7], s[4:5]
	s_cbranch_execz .LBB9_1384
.LBB9_1383:
	v_and_b32_e32 v11, 7, v13
	v_ffbh_u32_e32 v14, v11
	v_min_u32_e32 v14, 32, v14
	v_lshrrev_b16_e32 v12, 3, v13
	v_subrev_u32_e32 v15, 28, v14
	v_and_b32_e32 v12, 15, v12
	v_lshlrev_b32_e32 v15, v15, v13
	v_sub_u32_e32 v14, 29, v14
	v_and_b32_e32 v15, 7, v15
	v_cmp_eq_u16_e32 vcc, 0, v12
	v_cndmask_b32_e32 v11, v11, v15, vcc
	v_cndmask_b32_e32 v12, v12, v14, vcc
	v_lshlrev_b32_e32 v14, 24, v13
	v_mov_b32_e32 v15, 0x3b800000
	v_lshlrev_b32_e32 v11, 20, v11
	v_and_b32_e32 v14, 0x80000000, v14
	v_lshl_add_u32 v12, v12, 23, v15
	v_or3_b32 v11, v14, v12, v11
.LBB9_1384:
	s_or_b64 exec, exec, s[6:7]
	s_nop 0
	v_mfma_f32_16x16x4f32 a[0:3], v10, v11, a[0:3]
	v_lshrrev_b32_e32 v11, 8, v17
	s_movk_i32 s4, 0x7f
	v_cmp_gt_i16_sdwa s[6:7], v11, s4 src0_sel:BYTE_0 src1_sel:DWORD
	s_mov_b64 s[4:5], 0
                                        ; implicit-def: $sgpr10
	s_and_saveexec_b64 s[8:9], s[6:7]
	s_xor_b64 s[6:7], exec, s[8:9]
	s_cbranch_execnz .LBB9_3433
; %bb.1385:
	s_or_saveexec_b64 s[6:7], s[6:7]
	v_mov_b32_e32 v10, s10
	s_xor_b64 exec, exec, s[6:7]
	s_cbranch_execnz .LBB9_3436
.LBB9_1386:
	s_or_b64 exec, exec, s[6:7]
	s_and_saveexec_b64 s[6:7], s[4:5]
	s_cbranch_execz .LBB9_1388
.LBB9_1387:
	v_bfe_u32 v10, v17, 8, 3
	v_ffbh_u32_e32 v14, v10
	v_min_u32_e32 v14, 32, v14
	v_lshrrev_b16_e32 v12, 3, v11
	v_subrev_u32_e32 v15, 28, v14
	v_and_b32_e32 v12, 15, v12
	v_lshlrev_b32_e32 v11, v15, v11
	v_sub_u32_e32 v14, 29, v14
	v_and_b32_e32 v11, 7, v11
	v_cmp_eq_u16_e32 vcc, 0, v12
	v_cndmask_b32_e32 v10, v10, v11, vcc
	v_cndmask_b32_e32 v11, v12, v14, vcc
	v_lshlrev_b32_e32 v12, 16, v17
	v_mov_b32_e32 v14, 0x3b800000
	v_lshlrev_b32_e32 v10, 20, v10
	v_and_b32_e32 v12, 0x80000000, v12
	v_lshl_add_u32 v11, v11, 23, v14
	v_or3_b32 v10, v12, v11, v10
.LBB9_1388:
	s_or_b64 exec, exec, s[6:7]
	v_lshrrev_b32_e32 v11, 8, v13
	s_movk_i32 s4, 0x7f
	v_cmp_gt_i16_sdwa s[6:7], v11, s4 src0_sel:BYTE_0 src1_sel:DWORD
	s_mov_b64 s[4:5], 0
                                        ; implicit-def: $sgpr10
	s_and_saveexec_b64 s[8:9], s[6:7]
	s_xor_b64 s[6:7], exec, s[8:9]
	s_cbranch_execnz .LBB9_3437
; %bb.1389:
	s_or_saveexec_b64 s[6:7], s[6:7]
	v_mov_b32_e32 v12, s10
	s_xor_b64 exec, exec, s[6:7]
	s_cbranch_execnz .LBB9_3440
.LBB9_1390:
	s_or_b64 exec, exec, s[6:7]
	s_and_saveexec_b64 s[6:7], s[4:5]
	s_cbranch_execz .LBB9_1392
.LBB9_1391:
	v_bfe_u32 v12, v13, 8, 3
	v_ffbh_u32_e32 v15, v12
	v_min_u32_e32 v15, 32, v15
	v_lshrrev_b16_e32 v14, 3, v11
	v_subrev_u32_e32 v16, 28, v15
	v_and_b32_e32 v14, 15, v14
	v_lshlrev_b32_e32 v11, v16, v11
	v_sub_u32_e32 v15, 29, v15
	v_and_b32_e32 v11, 7, v11
	v_cmp_eq_u16_e32 vcc, 0, v14
	v_cndmask_b32_e32 v11, v12, v11, vcc
	v_cndmask_b32_e32 v12, v14, v15, vcc
	v_lshlrev_b32_e32 v14, 16, v13
	v_mov_b32_e32 v15, 0x3b800000
	v_lshlrev_b32_e32 v11, 20, v11
	v_and_b32_e32 v14, 0x80000000, v14
	v_lshl_add_u32 v12, v12, 23, v15
	v_or3_b32 v12, v14, v12, v11
.LBB9_1392:
	s_or_b64 exec, exec, s[6:7]
	s_nop 0
	v_mfma_f32_16x16x4f32 a[0:3], v10, v12, a[0:3]
	s_movk_i32 s4, 0xff
	v_and_b32_sdwa v11, v17, s4 dst_sel:DWORD dst_unused:UNUSED_PAD src0_sel:WORD_1 src1_sel:DWORD
	s_movk_i32 s4, 0x7f
	v_cmp_lt_i16_e32 vcc, s4, v11
	s_mov_b64 s[4:5], 0
                                        ; implicit-def: $sgpr10
	s_and_saveexec_b64 s[6:7], vcc
	s_xor_b64 s[6:7], exec, s[6:7]
	s_cbranch_execnz .LBB9_3441
; %bb.1393:
	s_or_saveexec_b64 s[6:7], s[6:7]
	v_mov_b32_e32 v10, s10
	s_xor_b64 exec, exec, s[6:7]
	s_cbranch_execnz .LBB9_3444
.LBB9_1394:
	s_or_b64 exec, exec, s[6:7]
	s_and_saveexec_b64 s[6:7], s[4:5]
	s_cbranch_execz .LBB9_1396
.LBB9_1395:
	v_bfe_u32 v10, v17, 16, 3
	v_ffbh_u32_e32 v14, v10
	v_min_u32_e32 v14, 32, v14
	v_lshrrev_b32_e32 v11, 19, v17
	v_subrev_u32_e32 v15, 28, v14
	v_and_b32_e32 v11, 15, v11
	v_lshlrev_b32_sdwa v15, v15, v17 dst_sel:DWORD dst_unused:UNUSED_PAD src0_sel:DWORD src1_sel:WORD_1
	v_bfe_u32 v12, v17, 19, 4
	v_sub_u32_e32 v14, 29, v14
	v_and_b32_e32 v15, 7, v15
	v_cmp_eq_u16_e32 vcc, 0, v11
	v_cndmask_b32_e32 v10, v10, v15, vcc
	v_cndmask_b32_e32 v11, v12, v14, vcc
	v_lshlrev_b32_e32 v12, 8, v17
	v_mov_b32_e32 v14, 0x3b800000
	v_lshlrev_b32_e32 v10, 20, v10
	v_and_b32_e32 v12, 0x80000000, v12
	v_lshl_add_u32 v11, v11, 23, v14
	v_or3_b32 v10, v12, v11, v10
.LBB9_1396:
	s_or_b64 exec, exec, s[6:7]
	s_movk_i32 s4, 0xff
	v_and_b32_sdwa v11, v13, s4 dst_sel:DWORD dst_unused:UNUSED_PAD src0_sel:WORD_1 src1_sel:DWORD
	s_movk_i32 s4, 0x7f
	v_cmp_lt_i16_e32 vcc, s4, v11
	s_mov_b64 s[4:5], 0
                                        ; implicit-def: $sgpr10
	s_and_saveexec_b64 s[6:7], vcc
	s_xor_b64 s[6:7], exec, s[6:7]
	s_cbranch_execnz .LBB9_3445
; %bb.1397:
	s_or_saveexec_b64 s[6:7], s[6:7]
	v_mov_b32_e32 v12, s10
	s_xor_b64 exec, exec, s[6:7]
	s_cbranch_execnz .LBB9_3448
.LBB9_1398:
	s_or_b64 exec, exec, s[6:7]
	s_and_saveexec_b64 s[6:7], s[4:5]
	s_cbranch_execz .LBB9_1400
.LBB9_1399:
	v_bfe_u32 v11, v13, 16, 3
	v_ffbh_u32_e32 v15, v11
	v_min_u32_e32 v15, 32, v15
	v_lshrrev_b32_e32 v12, 19, v13
	v_subrev_u32_e32 v16, 28, v15
	v_and_b32_e32 v12, 15, v12
	v_lshlrev_b32_sdwa v16, v16, v13 dst_sel:DWORD dst_unused:UNUSED_PAD src0_sel:DWORD src1_sel:WORD_1
	v_bfe_u32 v14, v13, 19, 4
	v_sub_u32_e32 v15, 29, v15
	v_and_b32_e32 v16, 7, v16
	v_cmp_eq_u16_e32 vcc, 0, v12
	v_cndmask_b32_e32 v11, v11, v16, vcc
	v_cndmask_b32_e32 v12, v14, v15, vcc
	v_lshlrev_b32_e32 v14, 8, v13
	v_mov_b32_e32 v15, 0x3b800000
	v_lshlrev_b32_e32 v11, 20, v11
	v_and_b32_e32 v14, 0x80000000, v14
	v_lshl_add_u32 v12, v12, 23, v15
	v_or3_b32 v12, v14, v12, v11
.LBB9_1400:
	s_or_b64 exec, exec, s[6:7]
	s_nop 0
	v_mfma_f32_16x16x4f32 a[0:3], v10, v12, a[0:3]
	s_movk_i32 s4, 0x7f
	v_cmp_gt_i16_sdwa s[6:7], v17, s4 src0_sel:BYTE_3 src1_sel:DWORD
	s_mov_b64 s[4:5], 0
                                        ; implicit-def: $sgpr10
	s_and_saveexec_b64 s[8:9], s[6:7]
	s_xor_b64 s[6:7], exec, s[8:9]
	s_cbranch_execnz .LBB9_3449
; %bb.1401:
	s_or_saveexec_b64 s[6:7], s[6:7]
	v_mov_b32_e32 v10, s10
	s_xor_b64 exec, exec, s[6:7]
	s_cbranch_execnz .LBB9_3452
.LBB9_1402:
	s_or_b64 exec, exec, s[6:7]
	s_and_saveexec_b64 s[6:7], s[4:5]
	s_cbranch_execz .LBB9_1404
.LBB9_1403:
	v_bfe_u32 v10, v17, 24, 3
	v_ffbh_u32_e32 v15, v10
	v_min_u32_e32 v15, 32, v15
	v_lshrrev_b32_e32 v12, 27, v17
	v_subrev_u32_e32 v16, 28, v15
	v_and_b32_e32 v12, 15, v12
	v_lshlrev_b32_sdwa v16, v16, v17 dst_sel:DWORD dst_unused:UNUSED_PAD src0_sel:DWORD src1_sel:BYTE_3
	v_bfe_u32 v14, v17, 27, 4
	v_sub_u32_e32 v15, 29, v15
	v_and_b32_e32 v16, 7, v16
	v_cmp_eq_u16_e32 vcc, 0, v12
	v_cndmask_b32_e32 v10, v10, v16, vcc
	v_cndmask_b32_e32 v12, v14, v15, vcc
	v_mov_b32_e32 v14, 0x3b800000
	v_and_b32_e32 v11, 0x80000000, v17
	v_lshlrev_b32_e32 v10, 20, v10
	v_lshl_add_u32 v12, v12, 23, v14
	v_or3_b32 v10, v11, v12, v10
.LBB9_1404:
	s_or_b64 exec, exec, s[6:7]
	s_movk_i32 s4, 0x7f
	v_cmp_gt_i16_sdwa s[6:7], v13, s4 src0_sel:BYTE_3 src1_sel:DWORD
	s_mov_b64 s[4:5], 0
                                        ; implicit-def: $sgpr10
	s_and_saveexec_b64 s[8:9], s[6:7]
	s_xor_b64 s[6:7], exec, s[8:9]
	s_cbranch_execnz .LBB9_3453
; %bb.1405:
	s_or_saveexec_b64 s[6:7], s[6:7]
	v_mov_b32_e32 v11, s10
	s_xor_b64 exec, exec, s[6:7]
	s_cbranch_execnz .LBB9_3456
.LBB9_1406:
	s_or_b64 exec, exec, s[6:7]
	s_and_saveexec_b64 s[6:7], s[4:5]
	s_cbranch_execz .LBB9_1408
.LBB9_1407:
	v_bfe_u32 v11, v13, 24, 3
	v_ffbh_u32_e32 v16, v11
	v_min_u32_e32 v16, 32, v16
	v_lshrrev_b32_e32 v14, 27, v13
	v_subrev_u32_e32 v17, 28, v16
	v_and_b32_e32 v12, 0x80000000, v13
	v_and_b32_e32 v14, 15, v14
	v_bfe_u32 v15, v13, 27, 4
	v_lshlrev_b32_sdwa v13, v17, v13 dst_sel:DWORD dst_unused:UNUSED_PAD src0_sel:DWORD src1_sel:BYTE_3
	v_sub_u32_e32 v16, 29, v16
	v_and_b32_e32 v13, 7, v13
	v_cmp_eq_u16_e32 vcc, 0, v14
	v_cndmask_b32_e32 v11, v11, v13, vcc
	v_cndmask_b32_e32 v13, v15, v16, vcc
	v_mov_b32_e32 v14, 0x3b800000
	v_lshlrev_b32_e32 v11, 20, v11
	v_lshl_add_u32 v13, v13, 23, v14
	v_or3_b32 v11, v12, v13, v11
.LBB9_1408:
	s_or_b64 exec, exec, s[6:7]
	s_nop 0
	v_mfma_f32_16x16x4f32 a[0:3], v10, v11, a[0:3]
	s_movk_i32 s4, 0x7f
	v_cmp_gt_i16_sdwa s[6:7], v6, s4 src0_sel:BYTE_0 src1_sel:DWORD
	s_mov_b64 s[4:5], 0
                                        ; implicit-def: $sgpr10
	s_and_saveexec_b64 s[8:9], s[6:7]
	s_xor_b64 s[6:7], exec, s[8:9]
	s_cbranch_execnz .LBB9_3457
; %bb.1409:
	s_or_saveexec_b64 s[6:7], s[6:7]
	v_mov_b32_e32 v10, s10
	s_xor_b64 exec, exec, s[6:7]
	s_cbranch_execnz .LBB9_3460
.LBB9_1410:
	s_or_b64 exec, exec, s[6:7]
	s_and_saveexec_b64 s[6:7], s[4:5]
	s_cbranch_execz .LBB9_1412
.LBB9_1411:
	v_and_b32_e32 v10, 7, v6
	v_ffbh_u32_e32 v12, v10
	v_min_u32_e32 v12, 32, v12
	v_lshrrev_b16_e32 v11, 3, v6
	v_subrev_u32_e32 v13, 28, v12
	v_and_b32_e32 v11, 15, v11
	v_lshlrev_b32_e32 v13, v13, v6
	v_sub_u32_e32 v12, 29, v12
	v_and_b32_e32 v13, 7, v13
	v_cmp_eq_u16_e32 vcc, 0, v11
	v_cndmask_b32_e32 v10, v10, v13, vcc
	v_cndmask_b32_e32 v11, v11, v12, vcc
	v_lshlrev_b32_e32 v12, 24, v6
	v_mov_b32_e32 v13, 0x3b800000
	v_lshlrev_b32_e32 v10, 20, v10
	v_and_b32_e32 v12, 0x80000000, v12
	v_lshl_add_u32 v11, v11, 23, v13
	v_or3_b32 v10, v12, v11, v10
.LBB9_1412:
	s_or_b64 exec, exec, s[6:7]
	s_movk_i32 s4, 0x7f
	v_cmp_gt_i16_sdwa s[6:7], v2, s4 src0_sel:BYTE_0 src1_sel:DWORD
	s_mov_b64 s[4:5], 0
                                        ; implicit-def: $sgpr10
	s_and_saveexec_b64 s[8:9], s[6:7]
	s_xor_b64 s[6:7], exec, s[8:9]
	s_cbranch_execnz .LBB9_3461
; %bb.1413:
	s_or_saveexec_b64 s[6:7], s[6:7]
	v_mov_b32_e32 v11, s10
	s_xor_b64 exec, exec, s[6:7]
	s_cbranch_execnz .LBB9_3464
.LBB9_1414:
	s_or_b64 exec, exec, s[6:7]
	s_and_saveexec_b64 s[6:7], s[4:5]
	s_cbranch_execz .LBB9_1416
.LBB9_1415:
	v_and_b32_e32 v11, 7, v2
	v_ffbh_u32_e32 v13, v11
	v_min_u32_e32 v13, 32, v13
	v_lshrrev_b16_e32 v12, 3, v2
	v_subrev_u32_e32 v14, 28, v13
	v_and_b32_e32 v12, 15, v12
	v_lshlrev_b32_e32 v14, v14, v2
	v_sub_u32_e32 v13, 29, v13
	v_and_b32_e32 v14, 7, v14
	v_cmp_eq_u16_e32 vcc, 0, v12
	v_cndmask_b32_e32 v11, v11, v14, vcc
	v_cndmask_b32_e32 v12, v12, v13, vcc
	v_lshlrev_b32_e32 v13, 24, v2
	v_mov_b32_e32 v14, 0x3b800000
	v_lshlrev_b32_e32 v11, 20, v11
	v_and_b32_e32 v13, 0x80000000, v13
	v_lshl_add_u32 v12, v12, 23, v14
	v_or3_b32 v11, v13, v12, v11
.LBB9_1416:
	s_or_b64 exec, exec, s[6:7]
	s_nop 0
	v_mfma_f32_16x16x4f32 a[0:3], v10, v11, a[0:3]
	v_lshrrev_b32_e32 v11, 8, v6
	s_movk_i32 s4, 0x7f
	v_cmp_gt_i16_sdwa s[6:7], v11, s4 src0_sel:BYTE_0 src1_sel:DWORD
	s_mov_b64 s[4:5], 0
                                        ; implicit-def: $sgpr10
	s_and_saveexec_b64 s[8:9], s[6:7]
	s_xor_b64 s[6:7], exec, s[8:9]
	s_cbranch_execnz .LBB9_3465
; %bb.1417:
	s_or_saveexec_b64 s[6:7], s[6:7]
	v_mov_b32_e32 v10, s10
	s_xor_b64 exec, exec, s[6:7]
	s_cbranch_execnz .LBB9_3468
.LBB9_1418:
	s_or_b64 exec, exec, s[6:7]
	s_and_saveexec_b64 s[6:7], s[4:5]
	s_cbranch_execz .LBB9_1420
.LBB9_1419:
	v_bfe_u32 v10, v6, 8, 3
	v_ffbh_u32_e32 v13, v10
	v_min_u32_e32 v13, 32, v13
	v_lshrrev_b16_e32 v12, 3, v11
	v_subrev_u32_e32 v14, 28, v13
	v_and_b32_e32 v12, 15, v12
	v_lshlrev_b32_e32 v11, v14, v11
	v_sub_u32_e32 v13, 29, v13
	v_and_b32_e32 v11, 7, v11
	v_cmp_eq_u16_e32 vcc, 0, v12
	v_cndmask_b32_e32 v10, v10, v11, vcc
	v_cndmask_b32_e32 v11, v12, v13, vcc
	v_lshlrev_b32_e32 v12, 16, v6
	v_mov_b32_e32 v13, 0x3b800000
	v_lshlrev_b32_e32 v10, 20, v10
	v_and_b32_e32 v12, 0x80000000, v12
	v_lshl_add_u32 v11, v11, 23, v13
	v_or3_b32 v10, v12, v11, v10
.LBB9_1420:
	s_or_b64 exec, exec, s[6:7]
	v_lshrrev_b32_e32 v11, 8, v2
	s_movk_i32 s4, 0x7f
	v_cmp_gt_i16_sdwa s[6:7], v11, s4 src0_sel:BYTE_0 src1_sel:DWORD
	s_mov_b64 s[4:5], 0
                                        ; implicit-def: $sgpr10
	s_and_saveexec_b64 s[8:9], s[6:7]
	s_xor_b64 s[6:7], exec, s[8:9]
	s_cbranch_execnz .LBB9_3469
; %bb.1421:
	s_or_saveexec_b64 s[6:7], s[6:7]
	v_mov_b32_e32 v12, s10
	s_xor_b64 exec, exec, s[6:7]
	s_cbranch_execnz .LBB9_3472
.LBB9_1422:
	s_or_b64 exec, exec, s[6:7]
	s_and_saveexec_b64 s[6:7], s[4:5]
	s_cbranch_execz .LBB9_1424
.LBB9_1423:
	v_bfe_u32 v12, v2, 8, 3
	v_ffbh_u32_e32 v14, v12
	v_min_u32_e32 v14, 32, v14
	v_lshrrev_b16_e32 v13, 3, v11
	v_subrev_u32_e32 v15, 28, v14
	v_and_b32_e32 v13, 15, v13
	v_lshlrev_b32_e32 v11, v15, v11
	v_sub_u32_e32 v14, 29, v14
	v_and_b32_e32 v11, 7, v11
	v_cmp_eq_u16_e32 vcc, 0, v13
	v_cndmask_b32_e32 v11, v12, v11, vcc
	v_cndmask_b32_e32 v12, v13, v14, vcc
	v_lshlrev_b32_e32 v13, 16, v2
	v_mov_b32_e32 v14, 0x3b800000
	v_lshlrev_b32_e32 v11, 20, v11
	v_and_b32_e32 v13, 0x80000000, v13
	v_lshl_add_u32 v12, v12, 23, v14
	v_or3_b32 v12, v13, v12, v11
.LBB9_1424:
	s_or_b64 exec, exec, s[6:7]
	s_nop 0
	v_mfma_f32_16x16x4f32 a[0:3], v10, v12, a[0:3]
	s_movk_i32 s4, 0xff
	v_and_b32_sdwa v11, v6, s4 dst_sel:DWORD dst_unused:UNUSED_PAD src0_sel:WORD_1 src1_sel:DWORD
	s_movk_i32 s4, 0x7f
	v_cmp_lt_i16_e32 vcc, s4, v11
	s_mov_b64 s[4:5], 0
                                        ; implicit-def: $sgpr10
	s_and_saveexec_b64 s[6:7], vcc
	s_xor_b64 s[6:7], exec, s[6:7]
	s_cbranch_execnz .LBB9_3473
; %bb.1425:
	s_or_saveexec_b64 s[6:7], s[6:7]
	v_mov_b32_e32 v10, s10
	s_xor_b64 exec, exec, s[6:7]
	s_cbranch_execnz .LBB9_3476
.LBB9_1426:
	s_or_b64 exec, exec, s[6:7]
	s_and_saveexec_b64 s[6:7], s[4:5]
	s_cbranch_execz .LBB9_1428
.LBB9_1427:
	v_bfe_u32 v10, v6, 16, 3
	v_ffbh_u32_e32 v13, v10
	v_min_u32_e32 v13, 32, v13
	v_lshrrev_b32_e32 v11, 19, v6
	v_subrev_u32_e32 v14, 28, v13
	v_and_b32_e32 v11, 15, v11
	v_lshlrev_b32_sdwa v14, v14, v6 dst_sel:DWORD dst_unused:UNUSED_PAD src0_sel:DWORD src1_sel:WORD_1
	v_bfe_u32 v12, v6, 19, 4
	v_sub_u32_e32 v13, 29, v13
	v_and_b32_e32 v14, 7, v14
	v_cmp_eq_u16_e32 vcc, 0, v11
	v_cndmask_b32_e32 v10, v10, v14, vcc
	v_cndmask_b32_e32 v11, v12, v13, vcc
	v_lshlrev_b32_e32 v12, 8, v6
	v_mov_b32_e32 v13, 0x3b800000
	v_lshlrev_b32_e32 v10, 20, v10
	v_and_b32_e32 v12, 0x80000000, v12
	v_lshl_add_u32 v11, v11, 23, v13
	v_or3_b32 v10, v12, v11, v10
.LBB9_1428:
	s_or_b64 exec, exec, s[6:7]
	s_movk_i32 s4, 0xff
	v_and_b32_sdwa v11, v2, s4 dst_sel:DWORD dst_unused:UNUSED_PAD src0_sel:WORD_1 src1_sel:DWORD
	s_movk_i32 s4, 0x7f
	v_cmp_lt_i16_e32 vcc, s4, v11
	s_mov_b64 s[4:5], 0
                                        ; implicit-def: $sgpr10
	s_and_saveexec_b64 s[6:7], vcc
	s_xor_b64 s[6:7], exec, s[6:7]
	s_cbranch_execnz .LBB9_3477
; %bb.1429:
	s_or_saveexec_b64 s[6:7], s[6:7]
	v_mov_b32_e32 v12, s10
	s_xor_b64 exec, exec, s[6:7]
	s_cbranch_execnz .LBB9_3480
.LBB9_1430:
	s_or_b64 exec, exec, s[6:7]
	s_and_saveexec_b64 s[6:7], s[4:5]
	s_cbranch_execz .LBB9_1432
.LBB9_1431:
	v_bfe_u32 v11, v2, 16, 3
	v_ffbh_u32_e32 v14, v11
	v_min_u32_e32 v14, 32, v14
	v_lshrrev_b32_e32 v12, 19, v2
	v_subrev_u32_e32 v15, 28, v14
	v_and_b32_e32 v12, 15, v12
	v_lshlrev_b32_sdwa v15, v15, v2 dst_sel:DWORD dst_unused:UNUSED_PAD src0_sel:DWORD src1_sel:WORD_1
	v_bfe_u32 v13, v2, 19, 4
	v_sub_u32_e32 v14, 29, v14
	v_and_b32_e32 v15, 7, v15
	v_cmp_eq_u16_e32 vcc, 0, v12
	v_cndmask_b32_e32 v11, v11, v15, vcc
	v_cndmask_b32_e32 v12, v13, v14, vcc
	v_lshlrev_b32_e32 v13, 8, v2
	v_mov_b32_e32 v14, 0x3b800000
	v_lshlrev_b32_e32 v11, 20, v11
	v_and_b32_e32 v13, 0x80000000, v13
	v_lshl_add_u32 v12, v12, 23, v14
	v_or3_b32 v12, v13, v12, v11
.LBB9_1432:
	s_or_b64 exec, exec, s[6:7]
	s_nop 0
	v_mfma_f32_16x16x4f32 a[0:3], v10, v12, a[0:3]
	s_movk_i32 s4, 0x7f
	v_cmp_gt_i16_sdwa s[6:7], v6, s4 src0_sel:BYTE_3 src1_sel:DWORD
	s_mov_b64 s[4:5], 0
                                        ; implicit-def: $sgpr10
	s_and_saveexec_b64 s[8:9], s[6:7]
	s_xor_b64 s[6:7], exec, s[8:9]
	s_cbranch_execnz .LBB9_3481
; %bb.1433:
	s_or_saveexec_b64 s[6:7], s[6:7]
	v_mov_b32_e32 v10, s10
	s_xor_b64 exec, exec, s[6:7]
	s_cbranch_execnz .LBB9_3484
.LBB9_1434:
	s_or_b64 exec, exec, s[6:7]
	s_and_saveexec_b64 s[6:7], s[4:5]
	s_cbranch_execz .LBB9_1436
.LBB9_1435:
	v_bfe_u32 v10, v6, 24, 3
	v_ffbh_u32_e32 v14, v10
	v_min_u32_e32 v14, 32, v14
	v_lshrrev_b32_e32 v12, 27, v6
	v_subrev_u32_e32 v15, 28, v14
	v_and_b32_e32 v11, 0x80000000, v6
	v_and_b32_e32 v12, 15, v12
	v_bfe_u32 v13, v6, 27, 4
	v_lshlrev_b32_sdwa v6, v15, v6 dst_sel:DWORD dst_unused:UNUSED_PAD src0_sel:DWORD src1_sel:BYTE_3
	v_sub_u32_e32 v14, 29, v14
	v_and_b32_e32 v6, 7, v6
	v_cmp_eq_u16_e32 vcc, 0, v12
	v_cndmask_b32_e32 v6, v10, v6, vcc
	v_cndmask_b32_e32 v10, v13, v14, vcc
	v_mov_b32_e32 v12, 0x3b800000
	v_lshlrev_b32_e32 v6, 20, v6
	v_lshl_add_u32 v10, v10, 23, v12
	v_or3_b32 v10, v11, v10, v6
.LBB9_1436:
	s_or_b64 exec, exec, s[6:7]
	s_movk_i32 s4, 0x7f
	v_cmp_gt_i16_sdwa s[6:7], v2, s4 src0_sel:BYTE_3 src1_sel:DWORD
	s_mov_b64 s[4:5], 0
                                        ; implicit-def: $sgpr10
	s_and_saveexec_b64 s[8:9], s[6:7]
	s_xor_b64 s[6:7], exec, s[8:9]
	s_cbranch_execnz .LBB9_3485
; %bb.1437:
	s_or_saveexec_b64 s[6:7], s[6:7]
	v_mov_b32_e32 v6, s10
	s_xor_b64 exec, exec, s[6:7]
	s_cbranch_execnz .LBB9_3488
.LBB9_1438:
	s_or_b64 exec, exec, s[6:7]
	s_and_saveexec_b64 s[6:7], s[4:5]
	s_cbranch_execz .LBB9_1440
.LBB9_1439:
	v_bfe_u32 v6, v2, 24, 3
	v_ffbh_u32_e32 v14, v6
	v_min_u32_e32 v14, 32, v14
	v_lshrrev_b32_e32 v12, 27, v2
	v_subrev_u32_e32 v15, 28, v14
	v_and_b32_e32 v11, 0x80000000, v2
	v_and_b32_e32 v12, 15, v12
	v_bfe_u32 v13, v2, 27, 4
	v_lshlrev_b32_sdwa v2, v15, v2 dst_sel:DWORD dst_unused:UNUSED_PAD src0_sel:DWORD src1_sel:BYTE_3
	v_sub_u32_e32 v14, 29, v14
	v_and_b32_e32 v2, 7, v2
	v_cmp_eq_u16_e32 vcc, 0, v12
	v_cndmask_b32_e32 v2, v6, v2, vcc
	v_cndmask_b32_e32 v6, v13, v14, vcc
	v_mov_b32_e32 v12, 0x3b800000
	v_lshlrev_b32_e32 v2, 20, v2
	v_lshl_add_u32 v6, v6, 23, v12
	v_or3_b32 v6, v11, v6, v2
.LBB9_1440:
	s_or_b64 exec, exec, s[6:7]
	s_nop 0
	v_mfma_f32_16x16x4f32 a[0:3], v10, v6, a[0:3]
	s_movk_i32 s4, 0x7f
	v_cmp_gt_i16_sdwa s[6:7], v7, s4 src0_sel:BYTE_0 src1_sel:DWORD
	s_mov_b64 s[4:5], 0
                                        ; implicit-def: $sgpr10
	s_and_saveexec_b64 s[8:9], s[6:7]
	s_xor_b64 s[6:7], exec, s[8:9]
	s_cbranch_execnz .LBB9_3489
; %bb.1441:
	s_or_saveexec_b64 s[6:7], s[6:7]
	v_mov_b32_e32 v2, s10
	s_xor_b64 exec, exec, s[6:7]
	s_cbranch_execnz .LBB9_3492
.LBB9_1442:
	s_or_b64 exec, exec, s[6:7]
	s_and_saveexec_b64 s[6:7], s[4:5]
	s_cbranch_execz .LBB9_1444
.LBB9_1443:
	v_and_b32_e32 v2, 7, v7
	v_ffbh_u32_e32 v10, v2
	v_min_u32_e32 v10, 32, v10
	v_lshrrev_b16_e32 v6, 3, v7
	v_subrev_u32_e32 v11, 28, v10
	v_and_b32_e32 v6, 15, v6
	v_lshlrev_b32_e32 v11, v11, v7
	v_sub_u32_e32 v10, 29, v10
	v_and_b32_e32 v11, 7, v11
	v_cmp_eq_u16_e32 vcc, 0, v6
	v_cndmask_b32_e32 v2, v2, v11, vcc
	v_cndmask_b32_e32 v6, v6, v10, vcc
	v_lshlrev_b32_e32 v10, 24, v7
	v_mov_b32_e32 v11, 0x3b800000
	v_lshlrev_b32_e32 v2, 20, v2
	v_and_b32_e32 v10, 0x80000000, v10
	v_lshl_add_u32 v6, v6, 23, v11
	v_or3_b32 v2, v10, v6, v2
.LBB9_1444:
	s_or_b64 exec, exec, s[6:7]
	s_movk_i32 s4, 0x7f
	v_cmp_gt_i16_sdwa s[6:7], v3, s4 src0_sel:BYTE_0 src1_sel:DWORD
	s_mov_b64 s[4:5], 0
                                        ; implicit-def: $sgpr10
	s_and_saveexec_b64 s[8:9], s[6:7]
	s_xor_b64 s[6:7], exec, s[8:9]
	s_cbranch_execnz .LBB9_3493
; %bb.1445:
	s_or_saveexec_b64 s[6:7], s[6:7]
	v_mov_b32_e32 v6, s10
	s_xor_b64 exec, exec, s[6:7]
	s_cbranch_execnz .LBB9_3496
.LBB9_1446:
	s_or_b64 exec, exec, s[6:7]
	s_and_saveexec_b64 s[6:7], s[4:5]
	s_cbranch_execz .LBB9_1448
.LBB9_1447:
	v_and_b32_e32 v6, 7, v3
	v_ffbh_u32_e32 v11, v6
	v_min_u32_e32 v11, 32, v11
	v_lshrrev_b16_e32 v10, 3, v3
	v_subrev_u32_e32 v12, 28, v11
	v_and_b32_e32 v10, 15, v10
	v_lshlrev_b32_e32 v12, v12, v3
	v_sub_u32_e32 v11, 29, v11
	v_and_b32_e32 v12, 7, v12
	v_cmp_eq_u16_e32 vcc, 0, v10
	v_cndmask_b32_e32 v6, v6, v12, vcc
	v_cndmask_b32_e32 v10, v10, v11, vcc
	v_lshlrev_b32_e32 v11, 24, v3
	v_mov_b32_e32 v12, 0x3b800000
	v_lshlrev_b32_e32 v6, 20, v6
	v_and_b32_e32 v11, 0x80000000, v11
	v_lshl_add_u32 v10, v10, 23, v12
	v_or3_b32 v6, v11, v10, v6
.LBB9_1448:
	s_or_b64 exec, exec, s[6:7]
	s_nop 0
	v_mfma_f32_16x16x4f32 a[0:3], v2, v6, a[0:3]
	v_lshrrev_b32_e32 v6, 8, v7
	s_movk_i32 s4, 0x7f
	v_cmp_gt_i16_sdwa s[6:7], v6, s4 src0_sel:BYTE_0 src1_sel:DWORD
	s_mov_b64 s[4:5], 0
                                        ; implicit-def: $sgpr10
	s_and_saveexec_b64 s[8:9], s[6:7]
	s_xor_b64 s[6:7], exec, s[8:9]
	s_cbranch_execnz .LBB9_3497
; %bb.1449:
	s_or_saveexec_b64 s[6:7], s[6:7]
	v_mov_b32_e32 v2, s10
	s_xor_b64 exec, exec, s[6:7]
	s_cbranch_execnz .LBB9_3500
.LBB9_1450:
	s_or_b64 exec, exec, s[6:7]
	s_and_saveexec_b64 s[6:7], s[4:5]
	s_cbranch_execz .LBB9_1452
.LBB9_1451:
	v_bfe_u32 v2, v7, 8, 3
	v_ffbh_u32_e32 v11, v2
	v_min_u32_e32 v11, 32, v11
	v_lshrrev_b16_e32 v10, 3, v6
	v_subrev_u32_e32 v12, 28, v11
	v_and_b32_e32 v10, 15, v10
	v_lshlrev_b32_e32 v6, v12, v6
	v_sub_u32_e32 v11, 29, v11
	v_and_b32_e32 v6, 7, v6
	v_cmp_eq_u16_e32 vcc, 0, v10
	v_cndmask_b32_e32 v2, v2, v6, vcc
	v_cndmask_b32_e32 v6, v10, v11, vcc
	v_lshlrev_b32_e32 v10, 16, v7
	v_mov_b32_e32 v11, 0x3b800000
	v_lshlrev_b32_e32 v2, 20, v2
	v_and_b32_e32 v10, 0x80000000, v10
	v_lshl_add_u32 v6, v6, 23, v11
	v_or3_b32 v2, v10, v6, v2
.LBB9_1452:
	s_or_b64 exec, exec, s[6:7]
	v_lshrrev_b32_e32 v6, 8, v3
	s_movk_i32 s4, 0x7f
	v_cmp_gt_i16_sdwa s[6:7], v6, s4 src0_sel:BYTE_0 src1_sel:DWORD
	s_mov_b64 s[4:5], 0
                                        ; implicit-def: $sgpr10
	s_and_saveexec_b64 s[8:9], s[6:7]
	s_xor_b64 s[6:7], exec, s[8:9]
	s_cbranch_execnz .LBB9_3501
; %bb.1453:
	s_or_saveexec_b64 s[6:7], s[6:7]
	v_mov_b32_e32 v10, s10
	s_xor_b64 exec, exec, s[6:7]
	s_cbranch_execnz .LBB9_3504
.LBB9_1454:
	s_or_b64 exec, exec, s[6:7]
	s_and_saveexec_b64 s[6:7], s[4:5]
	s_cbranch_execz .LBB9_1456
.LBB9_1455:
	v_bfe_u32 v10, v3, 8, 3
	v_ffbh_u32_e32 v12, v10
	v_min_u32_e32 v12, 32, v12
	v_lshrrev_b16_e32 v11, 3, v6
	v_subrev_u32_e32 v13, 28, v12
	v_and_b32_e32 v11, 15, v11
	v_lshlrev_b32_e32 v6, v13, v6
	v_sub_u32_e32 v12, 29, v12
	v_and_b32_e32 v6, 7, v6
	v_cmp_eq_u16_e32 vcc, 0, v11
	v_cndmask_b32_e32 v6, v10, v6, vcc
	v_cndmask_b32_e32 v10, v11, v12, vcc
	v_lshlrev_b32_e32 v11, 16, v3
	v_mov_b32_e32 v12, 0x3b800000
	v_lshlrev_b32_e32 v6, 20, v6
	v_and_b32_e32 v11, 0x80000000, v11
	v_lshl_add_u32 v10, v10, 23, v12
	v_or3_b32 v10, v11, v10, v6
.LBB9_1456:
	s_or_b64 exec, exec, s[6:7]
	s_nop 0
	v_mfma_f32_16x16x4f32 a[0:3], v2, v10, a[0:3]
	s_movk_i32 s4, 0xff
	v_and_b32_sdwa v6, v7, s4 dst_sel:DWORD dst_unused:UNUSED_PAD src0_sel:WORD_1 src1_sel:DWORD
	s_movk_i32 s4, 0x7f
	v_cmp_lt_i16_e32 vcc, s4, v6
	s_mov_b64 s[4:5], 0
                                        ; implicit-def: $sgpr10
	s_and_saveexec_b64 s[6:7], vcc
	s_xor_b64 s[6:7], exec, s[6:7]
	s_cbranch_execnz .LBB9_3505
; %bb.1457:
	s_or_saveexec_b64 s[6:7], s[6:7]
	v_mov_b32_e32 v2, s10
	s_xor_b64 exec, exec, s[6:7]
	s_cbranch_execnz .LBB9_3508
.LBB9_1458:
	s_or_b64 exec, exec, s[6:7]
	s_and_saveexec_b64 s[6:7], s[4:5]
	s_cbranch_execz .LBB9_1460
.LBB9_1459:
	v_bfe_u32 v2, v7, 16, 3
	v_ffbh_u32_e32 v11, v2
	v_min_u32_e32 v11, 32, v11
	v_lshrrev_b32_e32 v6, 19, v7
	v_subrev_u32_e32 v12, 28, v11
	v_and_b32_e32 v6, 15, v6
	v_lshlrev_b32_sdwa v12, v12, v7 dst_sel:DWORD dst_unused:UNUSED_PAD src0_sel:DWORD src1_sel:WORD_1
	v_bfe_u32 v10, v7, 19, 4
	v_sub_u32_e32 v11, 29, v11
	v_and_b32_e32 v12, 7, v12
	v_cmp_eq_u16_e32 vcc, 0, v6
	v_cndmask_b32_e32 v2, v2, v12, vcc
	v_cndmask_b32_e32 v6, v10, v11, vcc
	v_lshlrev_b32_e32 v10, 8, v7
	v_mov_b32_e32 v11, 0x3b800000
	v_lshlrev_b32_e32 v2, 20, v2
	v_and_b32_e32 v10, 0x80000000, v10
	v_lshl_add_u32 v6, v6, 23, v11
	v_or3_b32 v2, v10, v6, v2
.LBB9_1460:
	s_or_b64 exec, exec, s[6:7]
	s_movk_i32 s4, 0xff
	v_and_b32_sdwa v6, v3, s4 dst_sel:DWORD dst_unused:UNUSED_PAD src0_sel:WORD_1 src1_sel:DWORD
	s_movk_i32 s4, 0x7f
	v_cmp_lt_i16_e32 vcc, s4, v6
	s_mov_b64 s[4:5], 0
                                        ; implicit-def: $sgpr10
	s_and_saveexec_b64 s[6:7], vcc
	s_xor_b64 s[6:7], exec, s[6:7]
	s_cbranch_execnz .LBB9_3509
; %bb.1461:
	s_or_saveexec_b64 s[6:7], s[6:7]
	v_mov_b32_e32 v10, s10
	s_xor_b64 exec, exec, s[6:7]
	s_cbranch_execnz .LBB9_3512
.LBB9_1462:
	s_or_b64 exec, exec, s[6:7]
	s_and_saveexec_b64 s[6:7], s[4:5]
	s_cbranch_execz .LBB9_1464
.LBB9_1463:
	v_bfe_u32 v6, v3, 16, 3
	v_ffbh_u32_e32 v12, v6
	v_min_u32_e32 v12, 32, v12
	v_lshrrev_b32_e32 v10, 19, v3
	v_subrev_u32_e32 v13, 28, v12
	v_and_b32_e32 v10, 15, v10
	v_lshlrev_b32_sdwa v13, v13, v3 dst_sel:DWORD dst_unused:UNUSED_PAD src0_sel:DWORD src1_sel:WORD_1
	v_bfe_u32 v11, v3, 19, 4
	v_sub_u32_e32 v12, 29, v12
	v_and_b32_e32 v13, 7, v13
	v_cmp_eq_u16_e32 vcc, 0, v10
	v_cndmask_b32_e32 v6, v6, v13, vcc
	v_cndmask_b32_e32 v10, v11, v12, vcc
	v_lshlrev_b32_e32 v11, 8, v3
	v_mov_b32_e32 v12, 0x3b800000
	v_lshlrev_b32_e32 v6, 20, v6
	v_and_b32_e32 v11, 0x80000000, v11
	v_lshl_add_u32 v10, v10, 23, v12
	v_or3_b32 v10, v11, v10, v6
.LBB9_1464:
	s_or_b64 exec, exec, s[6:7]
	s_nop 0
	v_mfma_f32_16x16x4f32 a[0:3], v2, v10, a[0:3]
	s_movk_i32 s4, 0x7f
	v_cmp_gt_i16_sdwa s[6:7], v7, s4 src0_sel:BYTE_3 src1_sel:DWORD
	s_mov_b64 s[4:5], 0
                                        ; implicit-def: $sgpr10
	s_and_saveexec_b64 s[8:9], s[6:7]
	s_xor_b64 s[6:7], exec, s[8:9]
	s_cbranch_execnz .LBB9_3513
; %bb.1465:
	s_or_saveexec_b64 s[6:7], s[6:7]
	v_mov_b32_e32 v2, s10
	s_xor_b64 exec, exec, s[6:7]
	s_cbranch_execnz .LBB9_3516
.LBB9_1466:
	s_or_b64 exec, exec, s[6:7]
	s_and_saveexec_b64 s[6:7], s[4:5]
	s_cbranch_execz .LBB9_1468
.LBB9_1467:
	v_bfe_u32 v2, v7, 24, 3
	v_ffbh_u32_e32 v12, v2
	v_min_u32_e32 v12, 32, v12
	v_lshrrev_b32_e32 v10, 27, v7
	v_subrev_u32_e32 v13, 28, v12
	v_and_b32_e32 v6, 0x80000000, v7
	v_and_b32_e32 v10, 15, v10
	v_bfe_u32 v11, v7, 27, 4
	v_lshlrev_b32_sdwa v7, v13, v7 dst_sel:DWORD dst_unused:UNUSED_PAD src0_sel:DWORD src1_sel:BYTE_3
	v_sub_u32_e32 v12, 29, v12
	v_and_b32_e32 v7, 7, v7
	v_cmp_eq_u16_e32 vcc, 0, v10
	v_cndmask_b32_e32 v2, v2, v7, vcc
	v_cndmask_b32_e32 v7, v11, v12, vcc
	v_mov_b32_e32 v10, 0x3b800000
	v_lshlrev_b32_e32 v2, 20, v2
	v_lshl_add_u32 v7, v7, 23, v10
	v_or3_b32 v2, v6, v7, v2
.LBB9_1468:
	s_or_b64 exec, exec, s[6:7]
	s_movk_i32 s4, 0x7f
	v_cmp_gt_i16_sdwa s[6:7], v3, s4 src0_sel:BYTE_3 src1_sel:DWORD
	s_mov_b64 s[4:5], 0
                                        ; implicit-def: $sgpr10
	s_and_saveexec_b64 s[8:9], s[6:7]
	s_xor_b64 s[6:7], exec, s[8:9]
	s_cbranch_execnz .LBB9_3517
; %bb.1469:
	s_or_saveexec_b64 s[6:7], s[6:7]
	v_mov_b32_e32 v6, s10
	s_xor_b64 exec, exec, s[6:7]
	s_cbranch_execnz .LBB9_3520
.LBB9_1470:
	s_or_b64 exec, exec, s[6:7]
	s_and_saveexec_b64 s[6:7], s[4:5]
	s_cbranch_execz .LBB9_1472
.LBB9_1471:
	v_bfe_u32 v6, v3, 24, 3
	v_ffbh_u32_e32 v12, v6
	v_min_u32_e32 v12, 32, v12
	v_lshrrev_b32_e32 v10, 27, v3
	v_subrev_u32_e32 v13, 28, v12
	v_and_b32_e32 v7, 0x80000000, v3
	v_and_b32_e32 v10, 15, v10
	v_bfe_u32 v11, v3, 27, 4
	v_lshlrev_b32_sdwa v3, v13, v3 dst_sel:DWORD dst_unused:UNUSED_PAD src0_sel:DWORD src1_sel:BYTE_3
	v_sub_u32_e32 v12, 29, v12
	v_and_b32_e32 v3, 7, v3
	v_cmp_eq_u16_e32 vcc, 0, v10
	v_cndmask_b32_e32 v3, v6, v3, vcc
	v_cndmask_b32_e32 v6, v11, v12, vcc
	v_mov_b32_e32 v10, 0x3b800000
	v_lshlrev_b32_e32 v3, 20, v3
	v_lshl_add_u32 v6, v6, 23, v10
	v_or3_b32 v6, v7, v6, v3
.LBB9_1472:
	s_or_b64 exec, exec, s[6:7]
	s_nop 0
	v_mfma_f32_16x16x4f32 a[0:3], v2, v6, a[0:3]
	s_movk_i32 s4, 0x7f
	v_cmp_gt_i16_sdwa s[6:7], v8, s4 src0_sel:BYTE_0 src1_sel:DWORD
	s_mov_b64 s[4:5], 0
                                        ; implicit-def: $sgpr10
	s_and_saveexec_b64 s[8:9], s[6:7]
	s_xor_b64 s[6:7], exec, s[8:9]
	s_cbranch_execnz .LBB9_3521
; %bb.1473:
	s_or_saveexec_b64 s[6:7], s[6:7]
	v_mov_b32_e32 v2, s10
	s_xor_b64 exec, exec, s[6:7]
	s_cbranch_execnz .LBB9_3524
.LBB9_1474:
	s_or_b64 exec, exec, s[6:7]
	s_and_saveexec_b64 s[6:7], s[4:5]
	s_cbranch_execz .LBB9_1476
.LBB9_1475:
	v_and_b32_e32 v2, 7, v8
	v_ffbh_u32_e32 v6, v2
	v_min_u32_e32 v6, 32, v6
	v_lshrrev_b16_e32 v3, 3, v8
	v_subrev_u32_e32 v7, 28, v6
	v_and_b32_e32 v3, 15, v3
	v_lshlrev_b32_e32 v7, v7, v8
	v_sub_u32_e32 v6, 29, v6
	v_and_b32_e32 v7, 7, v7
	v_cmp_eq_u16_e32 vcc, 0, v3
	v_cndmask_b32_e32 v2, v2, v7, vcc
	v_cndmask_b32_e32 v3, v3, v6, vcc
	v_lshlrev_b32_e32 v6, 24, v8
	v_mov_b32_e32 v7, 0x3b800000
	v_lshlrev_b32_e32 v2, 20, v2
	v_and_b32_e32 v6, 0x80000000, v6
	v_lshl_add_u32 v3, v3, 23, v7
	v_or3_b32 v2, v6, v3, v2
.LBB9_1476:
	s_or_b64 exec, exec, s[6:7]
	s_movk_i32 s4, 0x7f
	v_cmp_gt_i16_sdwa s[6:7], v4, s4 src0_sel:BYTE_0 src1_sel:DWORD
	s_mov_b64 s[4:5], 0
                                        ; implicit-def: $sgpr10
	s_and_saveexec_b64 s[8:9], s[6:7]
	s_xor_b64 s[6:7], exec, s[8:9]
	s_cbranch_execnz .LBB9_3525
; %bb.1477:
	s_or_saveexec_b64 s[6:7], s[6:7]
	v_mov_b32_e32 v3, s10
	s_xor_b64 exec, exec, s[6:7]
	s_cbranch_execnz .LBB9_3528
.LBB9_1478:
	s_or_b64 exec, exec, s[6:7]
	s_and_saveexec_b64 s[6:7], s[4:5]
	s_cbranch_execz .LBB9_1480
.LBB9_1479:
	v_and_b32_e32 v3, 7, v4
	v_ffbh_u32_e32 v7, v3
	v_min_u32_e32 v7, 32, v7
	v_lshrrev_b16_e32 v6, 3, v4
	v_subrev_u32_e32 v10, 28, v7
	v_and_b32_e32 v6, 15, v6
	v_lshlrev_b32_e32 v10, v10, v4
	v_sub_u32_e32 v7, 29, v7
	v_and_b32_e32 v10, 7, v10
	v_cmp_eq_u16_e32 vcc, 0, v6
	v_cndmask_b32_e32 v3, v3, v10, vcc
	v_cndmask_b32_e32 v6, v6, v7, vcc
	v_lshlrev_b32_e32 v7, 24, v4
	v_mov_b32_e32 v10, 0x3b800000
	v_lshlrev_b32_e32 v3, 20, v3
	v_and_b32_e32 v7, 0x80000000, v7
	v_lshl_add_u32 v6, v6, 23, v10
	v_or3_b32 v3, v7, v6, v3
.LBB9_1480:
	s_or_b64 exec, exec, s[6:7]
	s_nop 0
	v_mfma_f32_16x16x4f32 a[0:3], v2, v3, a[0:3]
	v_lshrrev_b32_e32 v3, 8, v8
	s_movk_i32 s4, 0x7f
	v_cmp_gt_i16_sdwa s[6:7], v3, s4 src0_sel:BYTE_0 src1_sel:DWORD
	s_mov_b64 s[4:5], 0
                                        ; implicit-def: $sgpr10
	s_and_saveexec_b64 s[8:9], s[6:7]
	s_xor_b64 s[6:7], exec, s[8:9]
	s_cbranch_execnz .LBB9_3529
; %bb.1481:
	s_or_saveexec_b64 s[6:7], s[6:7]
	v_mov_b32_e32 v2, s10
	s_xor_b64 exec, exec, s[6:7]
	s_cbranch_execnz .LBB9_3532
.LBB9_1482:
	s_or_b64 exec, exec, s[6:7]
	s_and_saveexec_b64 s[6:7], s[4:5]
	s_cbranch_execz .LBB9_1484
.LBB9_1483:
	v_bfe_u32 v2, v8, 8, 3
	v_ffbh_u32_e32 v7, v2
	v_min_u32_e32 v7, 32, v7
	v_lshrrev_b16_e32 v6, 3, v3
	v_subrev_u32_e32 v10, 28, v7
	v_and_b32_e32 v6, 15, v6
	v_lshlrev_b32_e32 v3, v10, v3
	v_sub_u32_e32 v7, 29, v7
	v_and_b32_e32 v3, 7, v3
	v_cmp_eq_u16_e32 vcc, 0, v6
	v_cndmask_b32_e32 v2, v2, v3, vcc
	v_cndmask_b32_e32 v3, v6, v7, vcc
	v_lshlrev_b32_e32 v6, 16, v8
	v_mov_b32_e32 v7, 0x3b800000
	v_lshlrev_b32_e32 v2, 20, v2
	v_and_b32_e32 v6, 0x80000000, v6
	v_lshl_add_u32 v3, v3, 23, v7
	v_or3_b32 v2, v6, v3, v2
.LBB9_1484:
	s_or_b64 exec, exec, s[6:7]
	v_lshrrev_b32_e32 v3, 8, v4
	s_movk_i32 s4, 0x7f
	v_cmp_gt_i16_sdwa s[6:7], v3, s4 src0_sel:BYTE_0 src1_sel:DWORD
	s_mov_b64 s[4:5], 0
                                        ; implicit-def: $sgpr10
	s_and_saveexec_b64 s[8:9], s[6:7]
	s_xor_b64 s[6:7], exec, s[8:9]
	s_cbranch_execnz .LBB9_3533
; %bb.1485:
	s_or_saveexec_b64 s[6:7], s[6:7]
	v_mov_b32_e32 v6, s10
	s_xor_b64 exec, exec, s[6:7]
	s_cbranch_execnz .LBB9_3536
.LBB9_1486:
	s_or_b64 exec, exec, s[6:7]
	s_and_saveexec_b64 s[6:7], s[4:5]
	s_cbranch_execz .LBB9_1488
.LBB9_1487:
	v_bfe_u32 v6, v4, 8, 3
	v_ffbh_u32_e32 v10, v6
	v_min_u32_e32 v10, 32, v10
	v_lshrrev_b16_e32 v7, 3, v3
	v_subrev_u32_e32 v11, 28, v10
	v_and_b32_e32 v7, 15, v7
	v_lshlrev_b32_e32 v3, v11, v3
	v_sub_u32_e32 v10, 29, v10
	v_and_b32_e32 v3, 7, v3
	v_cmp_eq_u16_e32 vcc, 0, v7
	v_cndmask_b32_e32 v3, v6, v3, vcc
	v_cndmask_b32_e32 v6, v7, v10, vcc
	v_lshlrev_b32_e32 v7, 16, v4
	v_mov_b32_e32 v10, 0x3b800000
	v_lshlrev_b32_e32 v3, 20, v3
	v_and_b32_e32 v7, 0x80000000, v7
	v_lshl_add_u32 v6, v6, 23, v10
	v_or3_b32 v6, v7, v6, v3
.LBB9_1488:
	s_or_b64 exec, exec, s[6:7]
	s_nop 0
	v_mfma_f32_16x16x4f32 a[0:3], v2, v6, a[0:3]
	s_movk_i32 s4, 0xff
	v_and_b32_sdwa v3, v8, s4 dst_sel:DWORD dst_unused:UNUSED_PAD src0_sel:WORD_1 src1_sel:DWORD
	s_movk_i32 s4, 0x7f
	v_cmp_lt_i16_e32 vcc, s4, v3
	s_mov_b64 s[4:5], 0
                                        ; implicit-def: $sgpr10
	s_and_saveexec_b64 s[6:7], vcc
	s_xor_b64 s[6:7], exec, s[6:7]
	s_cbranch_execnz .LBB9_3537
; %bb.1489:
	s_or_saveexec_b64 s[6:7], s[6:7]
	v_mov_b32_e32 v2, s10
	s_xor_b64 exec, exec, s[6:7]
	s_cbranch_execnz .LBB9_3540
.LBB9_1490:
	s_or_b64 exec, exec, s[6:7]
	s_and_saveexec_b64 s[6:7], s[4:5]
	s_cbranch_execz .LBB9_1492
.LBB9_1491:
	v_bfe_u32 v2, v8, 16, 3
	v_ffbh_u32_e32 v7, v2
	v_min_u32_e32 v7, 32, v7
	v_lshrrev_b32_e32 v3, 19, v8
	v_subrev_u32_e32 v10, 28, v7
	v_and_b32_e32 v3, 15, v3
	v_lshlrev_b32_sdwa v10, v10, v8 dst_sel:DWORD dst_unused:UNUSED_PAD src0_sel:DWORD src1_sel:WORD_1
	v_bfe_u32 v6, v8, 19, 4
	v_sub_u32_e32 v7, 29, v7
	v_and_b32_e32 v10, 7, v10
	v_cmp_eq_u16_e32 vcc, 0, v3
	v_cndmask_b32_e32 v2, v2, v10, vcc
	v_cndmask_b32_e32 v3, v6, v7, vcc
	v_lshlrev_b32_e32 v6, 8, v8
	v_mov_b32_e32 v7, 0x3b800000
	v_lshlrev_b32_e32 v2, 20, v2
	v_and_b32_e32 v6, 0x80000000, v6
	v_lshl_add_u32 v3, v3, 23, v7
	v_or3_b32 v2, v6, v3, v2
.LBB9_1492:
	s_or_b64 exec, exec, s[6:7]
	s_movk_i32 s4, 0xff
	v_and_b32_sdwa v3, v4, s4 dst_sel:DWORD dst_unused:UNUSED_PAD src0_sel:WORD_1 src1_sel:DWORD
	s_movk_i32 s4, 0x7f
	v_cmp_lt_i16_e32 vcc, s4, v3
	s_mov_b64 s[4:5], 0
                                        ; implicit-def: $sgpr10
	s_and_saveexec_b64 s[6:7], vcc
	s_xor_b64 s[6:7], exec, s[6:7]
	s_cbranch_execnz .LBB9_3541
; %bb.1493:
	s_or_saveexec_b64 s[6:7], s[6:7]
	v_mov_b32_e32 v6, s10
	s_xor_b64 exec, exec, s[6:7]
	s_cbranch_execnz .LBB9_3544
.LBB9_1494:
	s_or_b64 exec, exec, s[6:7]
	s_and_saveexec_b64 s[6:7], s[4:5]
	s_cbranch_execz .LBB9_1496
.LBB9_1495:
	v_bfe_u32 v3, v4, 16, 3
	v_ffbh_u32_e32 v10, v3
	v_min_u32_e32 v10, 32, v10
	v_lshrrev_b32_e32 v6, 19, v4
	v_subrev_u32_e32 v11, 28, v10
	v_and_b32_e32 v6, 15, v6
	v_lshlrev_b32_sdwa v11, v11, v4 dst_sel:DWORD dst_unused:UNUSED_PAD src0_sel:DWORD src1_sel:WORD_1
	v_bfe_u32 v7, v4, 19, 4
	v_sub_u32_e32 v10, 29, v10
	v_and_b32_e32 v11, 7, v11
	v_cmp_eq_u16_e32 vcc, 0, v6
	v_cndmask_b32_e32 v3, v3, v11, vcc
	v_cndmask_b32_e32 v6, v7, v10, vcc
	v_lshlrev_b32_e32 v7, 8, v4
	v_mov_b32_e32 v10, 0x3b800000
	v_lshlrev_b32_e32 v3, 20, v3
	v_and_b32_e32 v7, 0x80000000, v7
	v_lshl_add_u32 v6, v6, 23, v10
	v_or3_b32 v6, v7, v6, v3
.LBB9_1496:
	s_or_b64 exec, exec, s[6:7]
	s_nop 0
	v_mfma_f32_16x16x4f32 a[0:3], v2, v6, a[0:3]
	s_movk_i32 s4, 0x7f
	v_cmp_gt_i16_sdwa s[6:7], v8, s4 src0_sel:BYTE_3 src1_sel:DWORD
	s_mov_b64 s[4:5], 0
                                        ; implicit-def: $sgpr10
	s_and_saveexec_b64 s[8:9], s[6:7]
	s_xor_b64 s[6:7], exec, s[8:9]
	s_cbranch_execnz .LBB9_3545
; %bb.1497:
	s_or_saveexec_b64 s[6:7], s[6:7]
	v_mov_b32_e32 v2, s10
	s_xor_b64 exec, exec, s[6:7]
	s_cbranch_execnz .LBB9_3548
.LBB9_1498:
	s_or_b64 exec, exec, s[6:7]
	s_and_saveexec_b64 s[6:7], s[4:5]
	s_cbranch_execz .LBB9_1500
.LBB9_1499:
	v_bfe_u32 v2, v8, 24, 3
	v_ffbh_u32_e32 v10, v2
	v_min_u32_e32 v10, 32, v10
	v_lshrrev_b32_e32 v6, 27, v8
	v_subrev_u32_e32 v11, 28, v10
	v_and_b32_e32 v3, 0x80000000, v8
	v_and_b32_e32 v6, 15, v6
	v_bfe_u32 v7, v8, 27, 4
	v_lshlrev_b32_sdwa v8, v11, v8 dst_sel:DWORD dst_unused:UNUSED_PAD src0_sel:DWORD src1_sel:BYTE_3
	v_sub_u32_e32 v10, 29, v10
	v_and_b32_e32 v8, 7, v8
	v_cmp_eq_u16_e32 vcc, 0, v6
	v_cndmask_b32_e32 v2, v2, v8, vcc
	v_cndmask_b32_e32 v6, v7, v10, vcc
	v_mov_b32_e32 v7, 0x3b800000
	v_lshlrev_b32_e32 v2, 20, v2
	v_lshl_add_u32 v6, v6, 23, v7
	v_or3_b32 v2, v3, v6, v2
.LBB9_1500:
	s_or_b64 exec, exec, s[6:7]
	s_movk_i32 s4, 0x7f
	v_cmp_gt_i16_sdwa s[6:7], v4, s4 src0_sel:BYTE_3 src1_sel:DWORD
	s_mov_b64 s[4:5], 0
                                        ; implicit-def: $sgpr10
	s_and_saveexec_b64 s[8:9], s[6:7]
	s_xor_b64 s[6:7], exec, s[8:9]
	s_cbranch_execnz .LBB9_3549
; %bb.1501:
	s_or_saveexec_b64 s[6:7], s[6:7]
	v_mov_b32_e32 v3, s10
	s_xor_b64 exec, exec, s[6:7]
	s_cbranch_execnz .LBB9_3552
.LBB9_1502:
	s_or_b64 exec, exec, s[6:7]
	s_and_saveexec_b64 s[6:7], s[4:5]
	s_cbranch_execz .LBB9_1504
.LBB9_1503:
	v_bfe_u32 v3, v4, 24, 3
	v_ffbh_u32_e32 v10, v3
	v_min_u32_e32 v10, 32, v10
	v_lshrrev_b32_e32 v7, 27, v4
	v_subrev_u32_e32 v11, 28, v10
	v_and_b32_e32 v6, 0x80000000, v4
	v_and_b32_e32 v7, 15, v7
	v_bfe_u32 v8, v4, 27, 4
	v_lshlrev_b32_sdwa v4, v11, v4 dst_sel:DWORD dst_unused:UNUSED_PAD src0_sel:DWORD src1_sel:BYTE_3
	v_sub_u32_e32 v10, 29, v10
	v_and_b32_e32 v4, 7, v4
	v_cmp_eq_u16_e32 vcc, 0, v7
	v_cndmask_b32_e32 v3, v3, v4, vcc
	v_cndmask_b32_e32 v4, v8, v10, vcc
	v_mov_b32_e32 v7, 0x3b800000
	v_lshlrev_b32_e32 v3, 20, v3
	v_lshl_add_u32 v4, v4, 23, v7
	v_or3_b32 v3, v6, v4, v3
.LBB9_1504:
	s_or_b64 exec, exec, s[6:7]
	s_nop 0
	v_mfma_f32_16x16x4f32 a[0:3], v2, v3, a[0:3]
	s_movk_i32 s4, 0x7f
	v_cmp_gt_i16_sdwa s[6:7], v9, s4 src0_sel:BYTE_0 src1_sel:DWORD
	s_mov_b64 s[4:5], 0
                                        ; implicit-def: $sgpr10
	s_and_saveexec_b64 s[8:9], s[6:7]
	s_xor_b64 s[6:7], exec, s[8:9]
	s_cbranch_execnz .LBB9_3553
; %bb.1505:
	s_or_saveexec_b64 s[6:7], s[6:7]
	v_mov_b32_e32 v2, s10
	s_xor_b64 exec, exec, s[6:7]
	s_cbranch_execnz .LBB9_3556
.LBB9_1506:
	s_or_b64 exec, exec, s[6:7]
	s_and_saveexec_b64 s[6:7], s[4:5]
	s_cbranch_execz .LBB9_1508
.LBB9_1507:
	v_mov_b32_e32 v2, 8
	v_and_b32_e32 v3, 7, v9
	v_lshrrev_b32_sdwa v2, v2, v9 dst_sel:BYTE_1 dst_unused:UNUSED_PAD src0_sel:DWORD src1_sel:DWORD
	v_ffbh_u32_e32 v4, v3
	v_or_b32_sdwa v2, v9, v2 dst_sel:DWORD dst_unused:UNUSED_PAD src0_sel:BYTE_0 src1_sel:DWORD
	v_min_u32_e32 v4, 32, v4
	v_lshrrev_b16_e32 v2, 3, v2
	v_subrev_u32_e32 v6, 28, v4
	v_and_b32_e32 v2, 15, v2
	v_lshlrev_b32_e32 v6, v6, v9
	v_sub_u32_e32 v4, 29, v4
	v_and_b32_e32 v6, 7, v6
	v_cmp_eq_u16_e32 vcc, 0, v2
	v_cndmask_b32_e32 v3, v3, v6, vcc
	v_cndmask_b32_e32 v2, v2, v4, vcc
	v_lshlrev_b32_e32 v4, 24, v9
	v_mov_b32_e32 v6, 0x3b800000
	v_lshlrev_b32_e32 v3, 20, v3
	v_and_b32_e32 v4, 0x80000000, v4
	v_lshl_add_u32 v2, v2, 23, v6
	v_or3_b32 v2, v4, v2, v3
.LBB9_1508:
	s_or_b64 exec, exec, s[6:7]
	s_movk_i32 s4, 0x7f
	v_cmp_gt_i16_sdwa s[6:7], v5, s4 src0_sel:BYTE_0 src1_sel:DWORD
	s_mov_b64 s[4:5], 0
                                        ; implicit-def: $sgpr10
	s_and_saveexec_b64 s[8:9], s[6:7]
	s_xor_b64 s[6:7], exec, s[8:9]
	s_cbranch_execnz .LBB9_3557
; %bb.1509:
	s_or_saveexec_b64 s[6:7], s[6:7]
	v_mov_b32_e32 v3, s10
	s_xor_b64 exec, exec, s[6:7]
	s_cbranch_execnz .LBB9_3560
.LBB9_1510:
	s_or_b64 exec, exec, s[6:7]
	s_and_saveexec_b64 s[6:7], s[4:5]
	s_cbranch_execz .LBB9_1512
.LBB9_1511:
	v_mov_b32_e32 v3, 8
	v_and_b32_e32 v4, 7, v5
	v_lshrrev_b32_sdwa v3, v3, v5 dst_sel:BYTE_1 dst_unused:UNUSED_PAD src0_sel:DWORD src1_sel:DWORD
	v_ffbh_u32_e32 v6, v4
	v_or_b32_sdwa v3, v5, v3 dst_sel:DWORD dst_unused:UNUSED_PAD src0_sel:BYTE_0 src1_sel:DWORD
	v_min_u32_e32 v6, 32, v6
	v_lshrrev_b16_e32 v3, 3, v3
	v_subrev_u32_e32 v7, 28, v6
	v_and_b32_e32 v3, 15, v3
	v_lshlrev_b32_e32 v7, v7, v5
	v_sub_u32_e32 v6, 29, v6
	v_and_b32_e32 v7, 7, v7
	v_cmp_eq_u16_e32 vcc, 0, v3
	v_cndmask_b32_e32 v4, v4, v7, vcc
	v_cndmask_b32_e32 v3, v3, v6, vcc
	v_lshlrev_b32_e32 v6, 24, v5
	v_mov_b32_e32 v7, 0x3b800000
	v_lshlrev_b32_e32 v4, 20, v4
	v_and_b32_e32 v6, 0x80000000, v6
	v_lshl_add_u32 v3, v3, 23, v7
	v_or3_b32 v3, v6, v3, v4
.LBB9_1512:
	s_or_b64 exec, exec, s[6:7]
	s_nop 0
	v_mfma_f32_16x16x4f32 a[0:3], v2, v3, a[0:3]
	v_lshrrev_b32_e32 v3, 8, v9
	s_movk_i32 s4, 0x7f
	v_cmp_gt_i16_sdwa s[6:7], v3, s4 src0_sel:BYTE_0 src1_sel:DWORD
	s_mov_b64 s[4:5], 0
                                        ; implicit-def: $sgpr10
	s_and_saveexec_b64 s[8:9], s[6:7]
	s_xor_b64 s[6:7], exec, s[8:9]
	s_cbranch_execnz .LBB9_3561
; %bb.1513:
	s_or_saveexec_b64 s[6:7], s[6:7]
	v_mov_b32_e32 v2, s10
	s_xor_b64 exec, exec, s[6:7]
	s_cbranch_execnz .LBB9_3564
.LBB9_1514:
	s_or_b64 exec, exec, s[6:7]
	s_and_saveexec_b64 s[6:7], s[4:5]
	s_cbranch_execz .LBB9_1516
.LBB9_1515:
	v_bfe_u32 v2, v9, 8, 3
	v_ffbh_u32_e32 v6, v2
	v_min_u32_e32 v6, 32, v6
	v_lshrrev_b16_e32 v4, 3, v3
	v_subrev_u32_e32 v7, 28, v6
	v_and_b32_e32 v4, 15, v4
	v_lshlrev_b32_e32 v3, v7, v3
	v_sub_u32_e32 v6, 29, v6
	v_and_b32_e32 v3, 7, v3
	v_cmp_eq_u16_e32 vcc, 0, v4
	v_cndmask_b32_e32 v2, v2, v3, vcc
	v_cndmask_b32_e32 v3, v4, v6, vcc
	v_lshlrev_b32_e32 v4, 16, v9
	v_mov_b32_e32 v6, 0x3b800000
	v_lshlrev_b32_e32 v2, 20, v2
	v_and_b32_e32 v4, 0x80000000, v4
	v_lshl_add_u32 v3, v3, 23, v6
	v_or3_b32 v2, v4, v3, v2
.LBB9_1516:
	s_or_b64 exec, exec, s[6:7]
	v_lshrrev_b32_e32 v3, 8, v5
	s_movk_i32 s4, 0x7f
	v_cmp_gt_i16_sdwa s[6:7], v3, s4 src0_sel:BYTE_0 src1_sel:DWORD
	s_mov_b64 s[4:5], 0
                                        ; implicit-def: $sgpr10
	s_and_saveexec_b64 s[8:9], s[6:7]
	s_xor_b64 s[6:7], exec, s[8:9]
	s_cbranch_execnz .LBB9_3565
; %bb.1517:
	s_or_saveexec_b64 s[6:7], s[6:7]
	v_mov_b32_e32 v4, s10
	s_xor_b64 exec, exec, s[6:7]
	s_cbranch_execnz .LBB9_3568
.LBB9_1518:
	s_or_b64 exec, exec, s[6:7]
	s_and_saveexec_b64 s[6:7], s[4:5]
	s_cbranch_execz .LBB9_1520
.LBB9_1519:
	v_bfe_u32 v4, v5, 8, 3
	v_ffbh_u32_e32 v7, v4
	v_min_u32_e32 v7, 32, v7
	v_lshrrev_b16_e32 v6, 3, v3
	v_subrev_u32_e32 v8, 28, v7
	v_and_b32_e32 v6, 15, v6
	v_lshlrev_b32_e32 v3, v8, v3
	v_sub_u32_e32 v7, 29, v7
	v_and_b32_e32 v3, 7, v3
	v_cmp_eq_u16_e32 vcc, 0, v6
	v_cndmask_b32_e32 v3, v4, v3, vcc
	v_cndmask_b32_e32 v4, v6, v7, vcc
	v_lshlrev_b32_e32 v6, 16, v5
	v_mov_b32_e32 v7, 0x3b800000
	v_lshlrev_b32_e32 v3, 20, v3
	v_and_b32_e32 v6, 0x80000000, v6
	v_lshl_add_u32 v4, v4, 23, v7
	v_or3_b32 v4, v6, v4, v3
.LBB9_1520:
	s_or_b64 exec, exec, s[6:7]
	s_nop 0
	v_mfma_f32_16x16x4f32 a[0:3], v2, v4, a[0:3]
	s_movk_i32 s4, 0xff
	v_and_b32_sdwa v3, v9, s4 dst_sel:DWORD dst_unused:UNUSED_PAD src0_sel:WORD_1 src1_sel:DWORD
	s_movk_i32 s4, 0x7f
	v_cmp_lt_i16_e32 vcc, s4, v3
	s_mov_b64 s[4:5], 0
                                        ; implicit-def: $sgpr10
	s_and_saveexec_b64 s[6:7], vcc
	s_xor_b64 s[6:7], exec, s[6:7]
	s_cbranch_execnz .LBB9_3569
; %bb.1521:
	s_or_saveexec_b64 s[6:7], s[6:7]
	v_mov_b32_e32 v2, s10
	s_xor_b64 exec, exec, s[6:7]
	s_cbranch_execnz .LBB9_3572
.LBB9_1522:
	s_or_b64 exec, exec, s[6:7]
	s_and_saveexec_b64 s[6:7], s[4:5]
	s_cbranch_execz .LBB9_1524
.LBB9_1523:
	v_bfe_u32 v2, v9, 16, 3
	v_ffbh_u32_e32 v6, v2
	v_min_u32_e32 v6, 32, v6
	v_lshrrev_b32_e32 v3, 19, v9
	v_subrev_u32_e32 v7, 28, v6
	v_and_b32_e32 v3, 15, v3
	v_lshlrev_b32_sdwa v7, v7, v9 dst_sel:DWORD dst_unused:UNUSED_PAD src0_sel:DWORD src1_sel:WORD_1
	v_bfe_u32 v4, v9, 19, 4
	v_sub_u32_e32 v6, 29, v6
	v_and_b32_e32 v7, 7, v7
	v_cmp_eq_u16_e32 vcc, 0, v3
	v_cndmask_b32_e32 v2, v2, v7, vcc
	v_cndmask_b32_e32 v3, v4, v6, vcc
	v_lshlrev_b32_e32 v4, 8, v9
	v_mov_b32_e32 v6, 0x3b800000
	v_lshlrev_b32_e32 v2, 20, v2
	v_and_b32_e32 v4, 0x80000000, v4
	v_lshl_add_u32 v3, v3, 23, v6
	v_or3_b32 v2, v4, v3, v2
.LBB9_1524:
	s_or_b64 exec, exec, s[6:7]
	s_movk_i32 s4, 0xff
	v_and_b32_sdwa v3, v5, s4 dst_sel:DWORD dst_unused:UNUSED_PAD src0_sel:WORD_1 src1_sel:DWORD
	s_movk_i32 s4, 0x7f
	v_cmp_lt_i16_e32 vcc, s4, v3
	s_mov_b64 s[4:5], 0
                                        ; implicit-def: $sgpr10
	s_and_saveexec_b64 s[6:7], vcc
	s_xor_b64 s[6:7], exec, s[6:7]
	s_cbranch_execnz .LBB9_3573
; %bb.1525:
	s_or_saveexec_b64 s[6:7], s[6:7]
	v_mov_b32_e32 v4, s10
	s_xor_b64 exec, exec, s[6:7]
	s_cbranch_execnz .LBB9_3576
.LBB9_1526:
	s_or_b64 exec, exec, s[6:7]
	s_and_saveexec_b64 s[6:7], s[4:5]
	s_cbranch_execz .LBB9_1528
.LBB9_1527:
	v_bfe_u32 v3, v5, 16, 3
	v_ffbh_u32_e32 v7, v3
	v_min_u32_e32 v7, 32, v7
	v_lshrrev_b32_e32 v4, 19, v5
	v_subrev_u32_e32 v8, 28, v7
	v_and_b32_e32 v4, 15, v4
	v_lshlrev_b32_sdwa v8, v8, v5 dst_sel:DWORD dst_unused:UNUSED_PAD src0_sel:DWORD src1_sel:WORD_1
	v_bfe_u32 v6, v5, 19, 4
	v_sub_u32_e32 v7, 29, v7
	v_and_b32_e32 v8, 7, v8
	v_cmp_eq_u16_e32 vcc, 0, v4
	v_cndmask_b32_e32 v3, v3, v8, vcc
	v_cndmask_b32_e32 v4, v6, v7, vcc
	v_lshlrev_b32_e32 v6, 8, v5
	v_mov_b32_e32 v7, 0x3b800000
	v_lshlrev_b32_e32 v3, 20, v3
	v_and_b32_e32 v6, 0x80000000, v6
	v_lshl_add_u32 v4, v4, 23, v7
	v_or3_b32 v4, v6, v4, v3
.LBB9_1528:
	s_or_b64 exec, exec, s[6:7]
	s_nop 0
	v_mfma_f32_16x16x4f32 a[0:3], v2, v4, a[0:3]
	s_movk_i32 s4, 0x7f
	v_cmp_gt_i16_sdwa s[6:7], v9, s4 src0_sel:BYTE_3 src1_sel:DWORD
	s_mov_b64 s[4:5], 0
                                        ; implicit-def: $sgpr10
	s_and_saveexec_b64 s[8:9], s[6:7]
	s_xor_b64 s[6:7], exec, s[8:9]
	s_cbranch_execnz .LBB9_3577
; %bb.1529:
	s_or_saveexec_b64 s[6:7], s[6:7]
	v_mov_b32_e32 v2, s10
	s_xor_b64 exec, exec, s[6:7]
	s_cbranch_execnz .LBB9_3580
.LBB9_1530:
	s_or_b64 exec, exec, s[6:7]
	s_and_saveexec_b64 s[6:7], s[4:5]
	s_cbranch_execz .LBB9_1532
.LBB9_1531:
	v_bfe_u32 v2, v9, 24, 3
	v_ffbh_u32_e32 v7, v2
	v_min_u32_e32 v7, 32, v7
	v_lshrrev_b32_e32 v4, 27, v9
	v_subrev_u32_e32 v8, 28, v7
	v_and_b32_e32 v4, 15, v4
	v_lshlrev_b32_sdwa v8, v8, v9 dst_sel:DWORD dst_unused:UNUSED_PAD src0_sel:DWORD src1_sel:BYTE_3
	v_bfe_u32 v6, v9, 27, 4
	v_sub_u32_e32 v7, 29, v7
	v_and_b32_e32 v8, 7, v8
	v_cmp_eq_u16_e32 vcc, 0, v4
	v_cndmask_b32_e32 v2, v2, v8, vcc
	v_cndmask_b32_e32 v4, v6, v7, vcc
	v_mov_b32_e32 v6, 0x3b800000
	v_and_b32_e32 v3, 0x80000000, v9
	v_lshlrev_b32_e32 v2, 20, v2
	v_lshl_add_u32 v4, v4, 23, v6
	v_or3_b32 v2, v3, v4, v2
.LBB9_1532:
	s_or_b64 exec, exec, s[6:7]
	s_movk_i32 s4, 0x7f
	v_cmp_gt_i16_sdwa s[6:7], v5, s4 src0_sel:BYTE_3 src1_sel:DWORD
	s_mov_b64 s[4:5], 0
                                        ; implicit-def: $sgpr10
	s_and_saveexec_b64 s[8:9], s[6:7]
	s_xor_b64 s[6:7], exec, s[8:9]
	s_cbranch_execnz .LBB9_3581
; %bb.1533:
	s_or_saveexec_b64 s[6:7], s[6:7]
	v_mov_b32_e32 v3, s10
	s_xor_b64 exec, exec, s[6:7]
	s_cbranch_execnz .LBB9_3584
.LBB9_1534:
	s_or_b64 exec, exec, s[6:7]
	s_and_saveexec_b64 s[6:7], s[4:5]
	s_cbranch_execz .LBB9_1536
.LBB9_1535:
	v_bfe_u32 v3, v5, 24, 3
	v_ffbh_u32_e32 v8, v3
	v_min_u32_e32 v8, 32, v8
	v_lshrrev_b32_e32 v6, 27, v5
	v_subrev_u32_e32 v9, 28, v8
	v_and_b32_e32 v4, 0x80000000, v5
	v_and_b32_e32 v6, 15, v6
	v_bfe_u32 v7, v5, 27, 4
	v_lshlrev_b32_sdwa v5, v9, v5 dst_sel:DWORD dst_unused:UNUSED_PAD src0_sel:DWORD src1_sel:BYTE_3
	v_sub_u32_e32 v8, 29, v8
	v_and_b32_e32 v5, 7, v5
	v_cmp_eq_u16_e32 vcc, 0, v6
	v_cndmask_b32_e32 v3, v3, v5, vcc
	v_cndmask_b32_e32 v5, v7, v8, vcc
	v_mov_b32_e32 v6, 0x3b800000
	v_lshlrev_b32_e32 v3, 20, v3
	v_lshl_add_u32 v5, v5, 23, v6
	v_or3_b32 v3, v4, v5, v3
.LBB9_1536:
	s_or_b64 exec, exec, s[6:7]
	s_nop 0
	v_mfma_f32_16x16x4f32 a[0:3], v2, v3, a[0:3]
	s_movk_i32 s4, 0x7f
                                        ; implicit-def: $sgpr10
	s_nop 7
	s_nop 1
	flat_store_dwordx4 v[18:19], a[0:3] offset:976
	flat_load_dwordx4 v[20:23], v[0:1] offset:16
	s_nop 0
	flat_load_dwordx2 v[18:19], v[0:1] offset:32
	s_waitcnt vmcnt(0) lgkmcnt(0)
	flat_load_dwordx4 v[14:17], v[20:21] offset:32
	flat_load_dwordx4 v[6:9], v[20:21] offset:48
	;; [unrolled: 1-line block ×4, first 2 shown]
	s_waitcnt vmcnt(0) lgkmcnt(0)
	v_cmp_gt_i16_sdwa s[6:7], v14, s4 src0_sel:BYTE_0 src1_sel:DWORD
	s_mov_b64 s[4:5], 0
	s_and_saveexec_b64 s[8:9], s[6:7]
	s_xor_b64 s[6:7], exec, s[8:9]
	s_cbranch_execnz .LBB9_3585
; %bb.1537:
	s_or_saveexec_b64 s[6:7], s[6:7]
	v_mov_b32_e32 v20, s10
	s_xor_b64 exec, exec, s[6:7]
	s_cbranch_execnz .LBB9_3588
.LBB9_1538:
	s_or_b64 exec, exec, s[6:7]
	s_and_saveexec_b64 s[6:7], s[4:5]
	s_cbranch_execz .LBB9_1540
.LBB9_1539:
	v_and_b32_e32 v20, 7, v14
	v_ffbh_u32_e32 v22, v20
	v_min_u32_e32 v22, 32, v22
	v_lshrrev_b16_e32 v21, 3, v14
	v_subrev_u32_e32 v23, 28, v22
	v_and_b32_e32 v21, 15, v21
	v_lshlrev_b32_e32 v23, v23, v14
	v_sub_u32_e32 v22, 29, v22
	v_and_b32_e32 v23, 7, v23
	v_cmp_eq_u16_e32 vcc, 0, v21
	v_cndmask_b32_e32 v20, v20, v23, vcc
	v_cndmask_b32_e32 v21, v21, v22, vcc
	v_lshlrev_b32_e32 v22, 24, v14
	v_mov_b32_e32 v23, 0x3b800000
	v_lshlrev_b32_e32 v20, 20, v20
	v_and_b32_e32 v22, 0x80000000, v22
	v_lshl_add_u32 v21, v21, 23, v23
	v_or3_b32 v20, v22, v21, v20
.LBB9_1540:
	s_or_b64 exec, exec, s[6:7]
	s_movk_i32 s4, 0x7f
	v_cmp_gt_i16_sdwa s[6:7], v10, s4 src0_sel:BYTE_0 src1_sel:DWORD
	s_mov_b64 s[4:5], 0
                                        ; implicit-def: $sgpr10
	s_and_saveexec_b64 s[8:9], s[6:7]
	s_xor_b64 s[6:7], exec, s[8:9]
	s_cbranch_execnz .LBB9_3589
; %bb.1541:
	s_or_saveexec_b64 s[6:7], s[6:7]
	v_mov_b32_e32 v21, s10
	s_xor_b64 exec, exec, s[6:7]
	s_cbranch_execnz .LBB9_3592
.LBB9_1542:
	s_or_b64 exec, exec, s[6:7]
	s_and_saveexec_b64 s[6:7], s[4:5]
	s_cbranch_execz .LBB9_1544
.LBB9_1543:
	v_and_b32_e32 v21, 7, v10
	v_ffbh_u32_e32 v23, v21
	v_min_u32_e32 v23, 32, v23
	v_lshrrev_b16_e32 v22, 3, v10
	v_subrev_u32_e32 v24, 28, v23
	v_and_b32_e32 v22, 15, v22
	v_lshlrev_b32_e32 v24, v24, v10
	v_sub_u32_e32 v23, 29, v23
	v_and_b32_e32 v24, 7, v24
	v_cmp_eq_u16_e32 vcc, 0, v22
	v_cndmask_b32_e32 v21, v21, v24, vcc
	v_cndmask_b32_e32 v22, v22, v23, vcc
	v_lshlrev_b32_e32 v23, 24, v10
	v_mov_b32_e32 v24, 0x3b800000
	v_lshlrev_b32_e32 v21, 20, v21
	v_and_b32_e32 v23, 0x80000000, v23
	v_lshl_add_u32 v22, v22, 23, v24
	v_or3_b32 v21, v23, v22, v21
.LBB9_1544:
	s_or_b64 exec, exec, s[6:7]
	flat_load_dwordx4 a[0:3], v[18:19] offset:992
	s_movk_i32 s4, 0x7f
                                        ; implicit-def: $sgpr10
	s_waitcnt vmcnt(0) lgkmcnt(0)
	v_mfma_f32_16x16x4f32 a[0:3], v20, v21, a[0:3]
	v_lshrrev_b32_e32 v21, 8, v14
	v_cmp_gt_i16_sdwa s[6:7], v21, s4 src0_sel:BYTE_0 src1_sel:DWORD
	s_mov_b64 s[4:5], 0
	s_and_saveexec_b64 s[8:9], s[6:7]
	s_xor_b64 s[6:7], exec, s[8:9]
	s_cbranch_execnz .LBB9_3593
; %bb.1545:
	s_or_saveexec_b64 s[6:7], s[6:7]
	v_mov_b32_e32 v20, s10
	s_xor_b64 exec, exec, s[6:7]
	s_cbranch_execnz .LBB9_3596
.LBB9_1546:
	s_or_b64 exec, exec, s[6:7]
	s_and_saveexec_b64 s[6:7], s[4:5]
	s_cbranch_execz .LBB9_1548
.LBB9_1547:
	v_bfe_u32 v20, v14, 8, 3
	v_ffbh_u32_e32 v23, v20
	v_min_u32_e32 v23, 32, v23
	v_lshrrev_b16_e32 v22, 3, v21
	v_subrev_u32_e32 v24, 28, v23
	v_and_b32_e32 v22, 15, v22
	v_lshlrev_b32_e32 v21, v24, v21
	v_sub_u32_e32 v23, 29, v23
	v_and_b32_e32 v21, 7, v21
	v_cmp_eq_u16_e32 vcc, 0, v22
	v_cndmask_b32_e32 v20, v20, v21, vcc
	v_cndmask_b32_e32 v21, v22, v23, vcc
	v_lshlrev_b32_e32 v22, 16, v14
	v_mov_b32_e32 v23, 0x3b800000
	v_lshlrev_b32_e32 v20, 20, v20
	v_and_b32_e32 v22, 0x80000000, v22
	v_lshl_add_u32 v21, v21, 23, v23
	v_or3_b32 v20, v22, v21, v20
.LBB9_1548:
	s_or_b64 exec, exec, s[6:7]
	v_lshrrev_b32_e32 v21, 8, v10
	s_movk_i32 s4, 0x7f
	v_cmp_gt_i16_sdwa s[6:7], v21, s4 src0_sel:BYTE_0 src1_sel:DWORD
	s_mov_b64 s[4:5], 0
                                        ; implicit-def: $sgpr10
	s_and_saveexec_b64 s[8:9], s[6:7]
	s_xor_b64 s[6:7], exec, s[8:9]
	s_cbranch_execnz .LBB9_3597
; %bb.1549:
	s_or_saveexec_b64 s[6:7], s[6:7]
	v_mov_b32_e32 v22, s10
	s_xor_b64 exec, exec, s[6:7]
	s_cbranch_execnz .LBB9_3600
.LBB9_1550:
	s_or_b64 exec, exec, s[6:7]
	s_and_saveexec_b64 s[6:7], s[4:5]
	s_cbranch_execz .LBB9_1552
.LBB9_1551:
	v_bfe_u32 v22, v10, 8, 3
	v_ffbh_u32_e32 v24, v22
	v_min_u32_e32 v24, 32, v24
	v_lshrrev_b16_e32 v23, 3, v21
	v_subrev_u32_e32 v25, 28, v24
	v_and_b32_e32 v23, 15, v23
	v_lshlrev_b32_e32 v21, v25, v21
	v_sub_u32_e32 v24, 29, v24
	v_and_b32_e32 v21, 7, v21
	v_cmp_eq_u16_e32 vcc, 0, v23
	v_cndmask_b32_e32 v21, v22, v21, vcc
	v_cndmask_b32_e32 v22, v23, v24, vcc
	v_lshlrev_b32_e32 v23, 16, v10
	v_mov_b32_e32 v24, 0x3b800000
	v_lshlrev_b32_e32 v21, 20, v21
	v_and_b32_e32 v23, 0x80000000, v23
	v_lshl_add_u32 v22, v22, 23, v24
	v_or3_b32 v22, v23, v22, v21
.LBB9_1552:
	s_or_b64 exec, exec, s[6:7]
	s_nop 0
	v_mfma_f32_16x16x4f32 a[0:3], v20, v22, a[0:3]
	s_movk_i32 s4, 0xff
	v_and_b32_sdwa v21, v14, s4 dst_sel:DWORD dst_unused:UNUSED_PAD src0_sel:WORD_1 src1_sel:DWORD
	s_movk_i32 s4, 0x7f
	v_cmp_lt_i16_e32 vcc, s4, v21
	s_mov_b64 s[4:5], 0
                                        ; implicit-def: $sgpr10
	s_and_saveexec_b64 s[6:7], vcc
	s_xor_b64 s[6:7], exec, s[6:7]
	s_cbranch_execnz .LBB9_3601
; %bb.1553:
	s_or_saveexec_b64 s[6:7], s[6:7]
	v_mov_b32_e32 v20, s10
	s_xor_b64 exec, exec, s[6:7]
	s_cbranch_execnz .LBB9_3604
.LBB9_1554:
	s_or_b64 exec, exec, s[6:7]
	s_and_saveexec_b64 s[6:7], s[4:5]
	s_cbranch_execz .LBB9_1556
.LBB9_1555:
	v_bfe_u32 v20, v14, 16, 3
	v_ffbh_u32_e32 v23, v20
	v_min_u32_e32 v23, 32, v23
	v_lshrrev_b32_e32 v21, 19, v14
	v_subrev_u32_e32 v24, 28, v23
	v_and_b32_e32 v21, 15, v21
	v_lshlrev_b32_sdwa v24, v24, v14 dst_sel:DWORD dst_unused:UNUSED_PAD src0_sel:DWORD src1_sel:WORD_1
	v_bfe_u32 v22, v14, 19, 4
	v_sub_u32_e32 v23, 29, v23
	v_and_b32_e32 v24, 7, v24
	v_cmp_eq_u16_e32 vcc, 0, v21
	v_cndmask_b32_e32 v20, v20, v24, vcc
	v_cndmask_b32_e32 v21, v22, v23, vcc
	v_lshlrev_b32_e32 v22, 8, v14
	v_mov_b32_e32 v23, 0x3b800000
	v_lshlrev_b32_e32 v20, 20, v20
	v_and_b32_e32 v22, 0x80000000, v22
	v_lshl_add_u32 v21, v21, 23, v23
	v_or3_b32 v20, v22, v21, v20
.LBB9_1556:
	s_or_b64 exec, exec, s[6:7]
	s_movk_i32 s4, 0xff
	v_and_b32_sdwa v21, v10, s4 dst_sel:DWORD dst_unused:UNUSED_PAD src0_sel:WORD_1 src1_sel:DWORD
	s_movk_i32 s4, 0x7f
	v_cmp_lt_i16_e32 vcc, s4, v21
	s_mov_b64 s[4:5], 0
                                        ; implicit-def: $sgpr10
	s_and_saveexec_b64 s[6:7], vcc
	s_xor_b64 s[6:7], exec, s[6:7]
	s_cbranch_execnz .LBB9_3605
; %bb.1557:
	s_or_saveexec_b64 s[6:7], s[6:7]
	v_mov_b32_e32 v22, s10
	s_xor_b64 exec, exec, s[6:7]
	s_cbranch_execnz .LBB9_3608
.LBB9_1558:
	s_or_b64 exec, exec, s[6:7]
	s_and_saveexec_b64 s[6:7], s[4:5]
	s_cbranch_execz .LBB9_1560
.LBB9_1559:
	v_bfe_u32 v21, v10, 16, 3
	v_ffbh_u32_e32 v24, v21
	v_min_u32_e32 v24, 32, v24
	v_lshrrev_b32_e32 v22, 19, v10
	v_subrev_u32_e32 v25, 28, v24
	v_and_b32_e32 v22, 15, v22
	v_lshlrev_b32_sdwa v25, v25, v10 dst_sel:DWORD dst_unused:UNUSED_PAD src0_sel:DWORD src1_sel:WORD_1
	v_bfe_u32 v23, v10, 19, 4
	v_sub_u32_e32 v24, 29, v24
	v_and_b32_e32 v25, 7, v25
	v_cmp_eq_u16_e32 vcc, 0, v22
	v_cndmask_b32_e32 v21, v21, v25, vcc
	v_cndmask_b32_e32 v22, v23, v24, vcc
	v_lshlrev_b32_e32 v23, 8, v10
	v_mov_b32_e32 v24, 0x3b800000
	v_lshlrev_b32_e32 v21, 20, v21
	v_and_b32_e32 v23, 0x80000000, v23
	v_lshl_add_u32 v22, v22, 23, v24
	v_or3_b32 v22, v23, v22, v21
.LBB9_1560:
	s_or_b64 exec, exec, s[6:7]
	s_nop 0
	v_mfma_f32_16x16x4f32 a[0:3], v20, v22, a[0:3]
	s_movk_i32 s4, 0x7f
	v_cmp_gt_i16_sdwa s[6:7], v14, s4 src0_sel:BYTE_3 src1_sel:DWORD
	s_mov_b64 s[4:5], 0
                                        ; implicit-def: $sgpr10
	s_and_saveexec_b64 s[8:9], s[6:7]
	s_xor_b64 s[6:7], exec, s[8:9]
	s_cbranch_execnz .LBB9_3609
; %bb.1561:
	s_or_saveexec_b64 s[6:7], s[6:7]
	v_mov_b32_e32 v20, s10
	s_xor_b64 exec, exec, s[6:7]
	s_cbranch_execnz .LBB9_3612
.LBB9_1562:
	s_or_b64 exec, exec, s[6:7]
	s_and_saveexec_b64 s[6:7], s[4:5]
	s_cbranch_execz .LBB9_1564
.LBB9_1563:
	v_bfe_u32 v20, v14, 24, 3
	v_ffbh_u32_e32 v24, v20
	v_min_u32_e32 v24, 32, v24
	v_lshrrev_b32_e32 v22, 27, v14
	v_subrev_u32_e32 v25, 28, v24
	v_and_b32_e32 v21, 0x80000000, v14
	v_and_b32_e32 v22, 15, v22
	v_bfe_u32 v23, v14, 27, 4
	v_lshlrev_b32_sdwa v14, v25, v14 dst_sel:DWORD dst_unused:UNUSED_PAD src0_sel:DWORD src1_sel:BYTE_3
	v_sub_u32_e32 v24, 29, v24
	v_and_b32_e32 v14, 7, v14
	v_cmp_eq_u16_e32 vcc, 0, v22
	v_cndmask_b32_e32 v14, v20, v14, vcc
	v_cndmask_b32_e32 v20, v23, v24, vcc
	v_mov_b32_e32 v22, 0x3b800000
	v_lshlrev_b32_e32 v14, 20, v14
	v_lshl_add_u32 v20, v20, 23, v22
	v_or3_b32 v20, v21, v20, v14
.LBB9_1564:
	s_or_b64 exec, exec, s[6:7]
	s_movk_i32 s4, 0x7f
	v_cmp_gt_i16_sdwa s[6:7], v10, s4 src0_sel:BYTE_3 src1_sel:DWORD
	s_mov_b64 s[4:5], 0
                                        ; implicit-def: $sgpr10
	s_and_saveexec_b64 s[8:9], s[6:7]
	s_xor_b64 s[6:7], exec, s[8:9]
	s_cbranch_execnz .LBB9_3613
; %bb.1565:
	s_or_saveexec_b64 s[6:7], s[6:7]
	v_mov_b32_e32 v14, s10
	s_xor_b64 exec, exec, s[6:7]
	s_cbranch_execnz .LBB9_3616
.LBB9_1566:
	s_or_b64 exec, exec, s[6:7]
	s_and_saveexec_b64 s[6:7], s[4:5]
	s_cbranch_execz .LBB9_1568
.LBB9_1567:
	v_bfe_u32 v14, v10, 24, 3
	v_ffbh_u32_e32 v24, v14
	v_min_u32_e32 v24, 32, v24
	v_lshrrev_b32_e32 v22, 27, v10
	v_subrev_u32_e32 v25, 28, v24
	v_and_b32_e32 v21, 0x80000000, v10
	v_and_b32_e32 v22, 15, v22
	v_bfe_u32 v23, v10, 27, 4
	v_lshlrev_b32_sdwa v10, v25, v10 dst_sel:DWORD dst_unused:UNUSED_PAD src0_sel:DWORD src1_sel:BYTE_3
	v_sub_u32_e32 v24, 29, v24
	v_and_b32_e32 v10, 7, v10
	v_cmp_eq_u16_e32 vcc, 0, v22
	v_cndmask_b32_e32 v10, v14, v10, vcc
	v_cndmask_b32_e32 v14, v23, v24, vcc
	v_mov_b32_e32 v22, 0x3b800000
	v_lshlrev_b32_e32 v10, 20, v10
	v_lshl_add_u32 v14, v14, 23, v22
	v_or3_b32 v14, v21, v14, v10
.LBB9_1568:
	s_or_b64 exec, exec, s[6:7]
	s_nop 0
	v_mfma_f32_16x16x4f32 a[0:3], v20, v14, a[0:3]
	s_movk_i32 s4, 0x7f
	v_cmp_gt_i16_sdwa s[6:7], v15, s4 src0_sel:BYTE_0 src1_sel:DWORD
	s_mov_b64 s[4:5], 0
                                        ; implicit-def: $sgpr10
	s_and_saveexec_b64 s[8:9], s[6:7]
	s_xor_b64 s[6:7], exec, s[8:9]
	s_cbranch_execnz .LBB9_3617
; %bb.1569:
	s_or_saveexec_b64 s[6:7], s[6:7]
	v_mov_b32_e32 v10, s10
	s_xor_b64 exec, exec, s[6:7]
	s_cbranch_execnz .LBB9_3620
.LBB9_1570:
	s_or_b64 exec, exec, s[6:7]
	s_and_saveexec_b64 s[6:7], s[4:5]
	s_cbranch_execz .LBB9_1572
.LBB9_1571:
	v_and_b32_e32 v10, 7, v15
	v_ffbh_u32_e32 v20, v10
	v_min_u32_e32 v20, 32, v20
	v_lshrrev_b16_e32 v14, 3, v15
	v_subrev_u32_e32 v21, 28, v20
	v_and_b32_e32 v14, 15, v14
	v_lshlrev_b32_e32 v21, v21, v15
	v_sub_u32_e32 v20, 29, v20
	v_and_b32_e32 v21, 7, v21
	v_cmp_eq_u16_e32 vcc, 0, v14
	v_cndmask_b32_e32 v10, v10, v21, vcc
	v_cndmask_b32_e32 v14, v14, v20, vcc
	v_lshlrev_b32_e32 v20, 24, v15
	v_mov_b32_e32 v21, 0x3b800000
	v_lshlrev_b32_e32 v10, 20, v10
	v_and_b32_e32 v20, 0x80000000, v20
	v_lshl_add_u32 v14, v14, 23, v21
	v_or3_b32 v10, v20, v14, v10
.LBB9_1572:
	s_or_b64 exec, exec, s[6:7]
	s_movk_i32 s4, 0x7f
	v_cmp_gt_i16_sdwa s[6:7], v11, s4 src0_sel:BYTE_0 src1_sel:DWORD
	s_mov_b64 s[4:5], 0
                                        ; implicit-def: $sgpr10
	s_and_saveexec_b64 s[8:9], s[6:7]
	s_xor_b64 s[6:7], exec, s[8:9]
	s_cbranch_execnz .LBB9_3621
; %bb.1573:
	s_or_saveexec_b64 s[6:7], s[6:7]
	v_mov_b32_e32 v14, s10
	s_xor_b64 exec, exec, s[6:7]
	s_cbranch_execnz .LBB9_3624
.LBB9_1574:
	s_or_b64 exec, exec, s[6:7]
	s_and_saveexec_b64 s[6:7], s[4:5]
	s_cbranch_execz .LBB9_1576
.LBB9_1575:
	v_and_b32_e32 v14, 7, v11
	v_ffbh_u32_e32 v21, v14
	v_min_u32_e32 v21, 32, v21
	v_lshrrev_b16_e32 v20, 3, v11
	v_subrev_u32_e32 v22, 28, v21
	v_and_b32_e32 v20, 15, v20
	v_lshlrev_b32_e32 v22, v22, v11
	v_sub_u32_e32 v21, 29, v21
	v_and_b32_e32 v22, 7, v22
	v_cmp_eq_u16_e32 vcc, 0, v20
	v_cndmask_b32_e32 v14, v14, v22, vcc
	v_cndmask_b32_e32 v20, v20, v21, vcc
	v_lshlrev_b32_e32 v21, 24, v11
	v_mov_b32_e32 v22, 0x3b800000
	v_lshlrev_b32_e32 v14, 20, v14
	v_and_b32_e32 v21, 0x80000000, v21
	v_lshl_add_u32 v20, v20, 23, v22
	v_or3_b32 v14, v21, v20, v14
.LBB9_1576:
	s_or_b64 exec, exec, s[6:7]
	s_nop 0
	v_mfma_f32_16x16x4f32 a[0:3], v10, v14, a[0:3]
	v_lshrrev_b32_e32 v14, 8, v15
	s_movk_i32 s4, 0x7f
	v_cmp_gt_i16_sdwa s[6:7], v14, s4 src0_sel:BYTE_0 src1_sel:DWORD
	s_mov_b64 s[4:5], 0
                                        ; implicit-def: $sgpr10
	s_and_saveexec_b64 s[8:9], s[6:7]
	s_xor_b64 s[6:7], exec, s[8:9]
	s_cbranch_execnz .LBB9_3625
; %bb.1577:
	s_or_saveexec_b64 s[6:7], s[6:7]
	v_mov_b32_e32 v10, s10
	s_xor_b64 exec, exec, s[6:7]
	s_cbranch_execnz .LBB9_3628
.LBB9_1578:
	s_or_b64 exec, exec, s[6:7]
	s_and_saveexec_b64 s[6:7], s[4:5]
	s_cbranch_execz .LBB9_1580
.LBB9_1579:
	v_bfe_u32 v10, v15, 8, 3
	v_ffbh_u32_e32 v21, v10
	v_min_u32_e32 v21, 32, v21
	v_lshrrev_b16_e32 v20, 3, v14
	v_subrev_u32_e32 v22, 28, v21
	v_and_b32_e32 v20, 15, v20
	v_lshlrev_b32_e32 v14, v22, v14
	v_sub_u32_e32 v21, 29, v21
	v_and_b32_e32 v14, 7, v14
	v_cmp_eq_u16_e32 vcc, 0, v20
	v_cndmask_b32_e32 v10, v10, v14, vcc
	v_cndmask_b32_e32 v14, v20, v21, vcc
	v_lshlrev_b32_e32 v20, 16, v15
	v_mov_b32_e32 v21, 0x3b800000
	v_lshlrev_b32_e32 v10, 20, v10
	v_and_b32_e32 v20, 0x80000000, v20
	v_lshl_add_u32 v14, v14, 23, v21
	v_or3_b32 v10, v20, v14, v10
.LBB9_1580:
	s_or_b64 exec, exec, s[6:7]
	v_lshrrev_b32_e32 v14, 8, v11
	s_movk_i32 s4, 0x7f
	v_cmp_gt_i16_sdwa s[6:7], v14, s4 src0_sel:BYTE_0 src1_sel:DWORD
	s_mov_b64 s[4:5], 0
                                        ; implicit-def: $sgpr10
	s_and_saveexec_b64 s[8:9], s[6:7]
	s_xor_b64 s[6:7], exec, s[8:9]
	s_cbranch_execnz .LBB9_3629
; %bb.1581:
	s_or_saveexec_b64 s[6:7], s[6:7]
	v_mov_b32_e32 v20, s10
	s_xor_b64 exec, exec, s[6:7]
	s_cbranch_execnz .LBB9_3632
.LBB9_1582:
	s_or_b64 exec, exec, s[6:7]
	s_and_saveexec_b64 s[6:7], s[4:5]
	s_cbranch_execz .LBB9_1584
.LBB9_1583:
	v_bfe_u32 v20, v11, 8, 3
	v_ffbh_u32_e32 v22, v20
	v_min_u32_e32 v22, 32, v22
	v_lshrrev_b16_e32 v21, 3, v14
	v_subrev_u32_e32 v23, 28, v22
	v_and_b32_e32 v21, 15, v21
	v_lshlrev_b32_e32 v14, v23, v14
	v_sub_u32_e32 v22, 29, v22
	v_and_b32_e32 v14, 7, v14
	v_cmp_eq_u16_e32 vcc, 0, v21
	v_cndmask_b32_e32 v14, v20, v14, vcc
	v_cndmask_b32_e32 v20, v21, v22, vcc
	v_lshlrev_b32_e32 v21, 16, v11
	v_mov_b32_e32 v22, 0x3b800000
	v_lshlrev_b32_e32 v14, 20, v14
	v_and_b32_e32 v21, 0x80000000, v21
	v_lshl_add_u32 v20, v20, 23, v22
	v_or3_b32 v20, v21, v20, v14
.LBB9_1584:
	s_or_b64 exec, exec, s[6:7]
	s_nop 0
	v_mfma_f32_16x16x4f32 a[0:3], v10, v20, a[0:3]
	s_movk_i32 s4, 0xff
	v_and_b32_sdwa v14, v15, s4 dst_sel:DWORD dst_unused:UNUSED_PAD src0_sel:WORD_1 src1_sel:DWORD
	s_movk_i32 s4, 0x7f
	v_cmp_lt_i16_e32 vcc, s4, v14
	s_mov_b64 s[4:5], 0
                                        ; implicit-def: $sgpr10
	s_and_saveexec_b64 s[6:7], vcc
	s_xor_b64 s[6:7], exec, s[6:7]
	s_cbranch_execnz .LBB9_3633
; %bb.1585:
	s_or_saveexec_b64 s[6:7], s[6:7]
	v_mov_b32_e32 v10, s10
	s_xor_b64 exec, exec, s[6:7]
	s_cbranch_execnz .LBB9_3636
.LBB9_1586:
	s_or_b64 exec, exec, s[6:7]
	s_and_saveexec_b64 s[6:7], s[4:5]
	s_cbranch_execz .LBB9_1588
.LBB9_1587:
	v_bfe_u32 v10, v15, 16, 3
	v_ffbh_u32_e32 v21, v10
	v_min_u32_e32 v21, 32, v21
	v_lshrrev_b32_e32 v14, 19, v15
	v_subrev_u32_e32 v22, 28, v21
	v_and_b32_e32 v14, 15, v14
	v_lshlrev_b32_sdwa v22, v22, v15 dst_sel:DWORD dst_unused:UNUSED_PAD src0_sel:DWORD src1_sel:WORD_1
	v_bfe_u32 v20, v15, 19, 4
	v_sub_u32_e32 v21, 29, v21
	v_and_b32_e32 v22, 7, v22
	v_cmp_eq_u16_e32 vcc, 0, v14
	v_cndmask_b32_e32 v10, v10, v22, vcc
	v_cndmask_b32_e32 v14, v20, v21, vcc
	v_lshlrev_b32_e32 v20, 8, v15
	v_mov_b32_e32 v21, 0x3b800000
	v_lshlrev_b32_e32 v10, 20, v10
	v_and_b32_e32 v20, 0x80000000, v20
	v_lshl_add_u32 v14, v14, 23, v21
	v_or3_b32 v10, v20, v14, v10
.LBB9_1588:
	s_or_b64 exec, exec, s[6:7]
	s_movk_i32 s4, 0xff
	v_and_b32_sdwa v14, v11, s4 dst_sel:DWORD dst_unused:UNUSED_PAD src0_sel:WORD_1 src1_sel:DWORD
	s_movk_i32 s4, 0x7f
	v_cmp_lt_i16_e32 vcc, s4, v14
	s_mov_b64 s[4:5], 0
                                        ; implicit-def: $sgpr10
	s_and_saveexec_b64 s[6:7], vcc
	s_xor_b64 s[6:7], exec, s[6:7]
	s_cbranch_execnz .LBB9_3637
; %bb.1589:
	s_or_saveexec_b64 s[6:7], s[6:7]
	v_mov_b32_e32 v20, s10
	s_xor_b64 exec, exec, s[6:7]
	s_cbranch_execnz .LBB9_3640
.LBB9_1590:
	s_or_b64 exec, exec, s[6:7]
	s_and_saveexec_b64 s[6:7], s[4:5]
	s_cbranch_execz .LBB9_1592
.LBB9_1591:
	v_bfe_u32 v14, v11, 16, 3
	v_ffbh_u32_e32 v22, v14
	v_min_u32_e32 v22, 32, v22
	v_lshrrev_b32_e32 v20, 19, v11
	v_subrev_u32_e32 v23, 28, v22
	v_and_b32_e32 v20, 15, v20
	v_lshlrev_b32_sdwa v23, v23, v11 dst_sel:DWORD dst_unused:UNUSED_PAD src0_sel:DWORD src1_sel:WORD_1
	v_bfe_u32 v21, v11, 19, 4
	v_sub_u32_e32 v22, 29, v22
	v_and_b32_e32 v23, 7, v23
	v_cmp_eq_u16_e32 vcc, 0, v20
	v_cndmask_b32_e32 v14, v14, v23, vcc
	v_cndmask_b32_e32 v20, v21, v22, vcc
	v_lshlrev_b32_e32 v21, 8, v11
	v_mov_b32_e32 v22, 0x3b800000
	v_lshlrev_b32_e32 v14, 20, v14
	v_and_b32_e32 v21, 0x80000000, v21
	v_lshl_add_u32 v20, v20, 23, v22
	v_or3_b32 v20, v21, v20, v14
.LBB9_1592:
	s_or_b64 exec, exec, s[6:7]
	s_nop 0
	v_mfma_f32_16x16x4f32 a[0:3], v10, v20, a[0:3]
	s_movk_i32 s4, 0x7f
	v_cmp_gt_i16_sdwa s[6:7], v15, s4 src0_sel:BYTE_3 src1_sel:DWORD
	s_mov_b64 s[4:5], 0
                                        ; implicit-def: $sgpr10
	s_and_saveexec_b64 s[8:9], s[6:7]
	s_xor_b64 s[6:7], exec, s[8:9]
	s_cbranch_execnz .LBB9_3641
; %bb.1593:
	s_or_saveexec_b64 s[6:7], s[6:7]
	v_mov_b32_e32 v10, s10
	s_xor_b64 exec, exec, s[6:7]
	s_cbranch_execnz .LBB9_3644
.LBB9_1594:
	s_or_b64 exec, exec, s[6:7]
	s_and_saveexec_b64 s[6:7], s[4:5]
	s_cbranch_execz .LBB9_1596
.LBB9_1595:
	v_bfe_u32 v10, v15, 24, 3
	v_ffbh_u32_e32 v22, v10
	v_min_u32_e32 v22, 32, v22
	v_lshrrev_b32_e32 v20, 27, v15
	v_subrev_u32_e32 v23, 28, v22
	v_and_b32_e32 v14, 0x80000000, v15
	v_and_b32_e32 v20, 15, v20
	v_bfe_u32 v21, v15, 27, 4
	v_lshlrev_b32_sdwa v15, v23, v15 dst_sel:DWORD dst_unused:UNUSED_PAD src0_sel:DWORD src1_sel:BYTE_3
	v_sub_u32_e32 v22, 29, v22
	v_and_b32_e32 v15, 7, v15
	v_cmp_eq_u16_e32 vcc, 0, v20
	v_cndmask_b32_e32 v10, v10, v15, vcc
	v_cndmask_b32_e32 v15, v21, v22, vcc
	v_mov_b32_e32 v20, 0x3b800000
	v_lshlrev_b32_e32 v10, 20, v10
	v_lshl_add_u32 v15, v15, 23, v20
	v_or3_b32 v10, v14, v15, v10
.LBB9_1596:
	s_or_b64 exec, exec, s[6:7]
	s_movk_i32 s4, 0x7f
	v_cmp_gt_i16_sdwa s[6:7], v11, s4 src0_sel:BYTE_3 src1_sel:DWORD
	s_mov_b64 s[4:5], 0
                                        ; implicit-def: $sgpr10
	s_and_saveexec_b64 s[8:9], s[6:7]
	s_xor_b64 s[6:7], exec, s[8:9]
	s_cbranch_execnz .LBB9_3645
; %bb.1597:
	s_or_saveexec_b64 s[6:7], s[6:7]
	v_mov_b32_e32 v14, s10
	s_xor_b64 exec, exec, s[6:7]
	s_cbranch_execnz .LBB9_3648
.LBB9_1598:
	s_or_b64 exec, exec, s[6:7]
	s_and_saveexec_b64 s[6:7], s[4:5]
	s_cbranch_execz .LBB9_1600
.LBB9_1599:
	v_bfe_u32 v14, v11, 24, 3
	v_ffbh_u32_e32 v22, v14
	v_min_u32_e32 v22, 32, v22
	v_lshrrev_b32_e32 v20, 27, v11
	v_subrev_u32_e32 v23, 28, v22
	v_and_b32_e32 v15, 0x80000000, v11
	v_and_b32_e32 v20, 15, v20
	v_bfe_u32 v21, v11, 27, 4
	v_lshlrev_b32_sdwa v11, v23, v11 dst_sel:DWORD dst_unused:UNUSED_PAD src0_sel:DWORD src1_sel:BYTE_3
	v_sub_u32_e32 v22, 29, v22
	v_and_b32_e32 v11, 7, v11
	v_cmp_eq_u16_e32 vcc, 0, v20
	v_cndmask_b32_e32 v11, v14, v11, vcc
	v_cndmask_b32_e32 v14, v21, v22, vcc
	v_mov_b32_e32 v20, 0x3b800000
	v_lshlrev_b32_e32 v11, 20, v11
	v_lshl_add_u32 v14, v14, 23, v20
	v_or3_b32 v14, v15, v14, v11
.LBB9_1600:
	s_or_b64 exec, exec, s[6:7]
	s_nop 0
	v_mfma_f32_16x16x4f32 a[0:3], v10, v14, a[0:3]
	s_movk_i32 s4, 0x7f
	v_cmp_gt_i16_sdwa s[6:7], v16, s4 src0_sel:BYTE_0 src1_sel:DWORD
	s_mov_b64 s[4:5], 0
                                        ; implicit-def: $sgpr10
	s_and_saveexec_b64 s[8:9], s[6:7]
	s_xor_b64 s[6:7], exec, s[8:9]
	s_cbranch_execnz .LBB9_3649
; %bb.1601:
	s_or_saveexec_b64 s[6:7], s[6:7]
	v_mov_b32_e32 v10, s10
	s_xor_b64 exec, exec, s[6:7]
	s_cbranch_execnz .LBB9_3652
.LBB9_1602:
	s_or_b64 exec, exec, s[6:7]
	s_and_saveexec_b64 s[6:7], s[4:5]
	s_cbranch_execz .LBB9_1604
.LBB9_1603:
	v_and_b32_e32 v10, 7, v16
	v_ffbh_u32_e32 v14, v10
	v_min_u32_e32 v14, 32, v14
	v_lshrrev_b16_e32 v11, 3, v16
	v_subrev_u32_e32 v15, 28, v14
	v_and_b32_e32 v11, 15, v11
	v_lshlrev_b32_e32 v15, v15, v16
	v_sub_u32_e32 v14, 29, v14
	v_and_b32_e32 v15, 7, v15
	v_cmp_eq_u16_e32 vcc, 0, v11
	v_cndmask_b32_e32 v10, v10, v15, vcc
	v_cndmask_b32_e32 v11, v11, v14, vcc
	v_lshlrev_b32_e32 v14, 24, v16
	v_mov_b32_e32 v15, 0x3b800000
	v_lshlrev_b32_e32 v10, 20, v10
	v_and_b32_e32 v14, 0x80000000, v14
	v_lshl_add_u32 v11, v11, 23, v15
	v_or3_b32 v10, v14, v11, v10
.LBB9_1604:
	s_or_b64 exec, exec, s[6:7]
	s_movk_i32 s4, 0x7f
	v_cmp_gt_i16_sdwa s[6:7], v12, s4 src0_sel:BYTE_0 src1_sel:DWORD
	s_mov_b64 s[4:5], 0
                                        ; implicit-def: $sgpr10
	s_and_saveexec_b64 s[8:9], s[6:7]
	s_xor_b64 s[6:7], exec, s[8:9]
	s_cbranch_execnz .LBB9_3653
; %bb.1605:
	s_or_saveexec_b64 s[6:7], s[6:7]
	v_mov_b32_e32 v11, s10
	s_xor_b64 exec, exec, s[6:7]
	s_cbranch_execnz .LBB9_3656
.LBB9_1606:
	s_or_b64 exec, exec, s[6:7]
	s_and_saveexec_b64 s[6:7], s[4:5]
	s_cbranch_execz .LBB9_1608
.LBB9_1607:
	v_and_b32_e32 v11, 7, v12
	v_ffbh_u32_e32 v15, v11
	v_min_u32_e32 v15, 32, v15
	v_lshrrev_b16_e32 v14, 3, v12
	v_subrev_u32_e32 v20, 28, v15
	v_and_b32_e32 v14, 15, v14
	v_lshlrev_b32_e32 v20, v20, v12
	v_sub_u32_e32 v15, 29, v15
	v_and_b32_e32 v20, 7, v20
	v_cmp_eq_u16_e32 vcc, 0, v14
	v_cndmask_b32_e32 v11, v11, v20, vcc
	v_cndmask_b32_e32 v14, v14, v15, vcc
	v_lshlrev_b32_e32 v15, 24, v12
	v_mov_b32_e32 v20, 0x3b800000
	v_lshlrev_b32_e32 v11, 20, v11
	v_and_b32_e32 v15, 0x80000000, v15
	v_lshl_add_u32 v14, v14, 23, v20
	v_or3_b32 v11, v15, v14, v11
.LBB9_1608:
	s_or_b64 exec, exec, s[6:7]
	s_nop 0
	v_mfma_f32_16x16x4f32 a[0:3], v10, v11, a[0:3]
	v_lshrrev_b32_e32 v11, 8, v16
	s_movk_i32 s4, 0x7f
	v_cmp_gt_i16_sdwa s[6:7], v11, s4 src0_sel:BYTE_0 src1_sel:DWORD
	s_mov_b64 s[4:5], 0
                                        ; implicit-def: $sgpr10
	s_and_saveexec_b64 s[8:9], s[6:7]
	s_xor_b64 s[6:7], exec, s[8:9]
	s_cbranch_execnz .LBB9_3657
; %bb.1609:
	s_or_saveexec_b64 s[6:7], s[6:7]
	v_mov_b32_e32 v10, s10
	s_xor_b64 exec, exec, s[6:7]
	s_cbranch_execnz .LBB9_3660
.LBB9_1610:
	s_or_b64 exec, exec, s[6:7]
	s_and_saveexec_b64 s[6:7], s[4:5]
	s_cbranch_execz .LBB9_1612
.LBB9_1611:
	v_bfe_u32 v10, v16, 8, 3
	v_ffbh_u32_e32 v15, v10
	v_min_u32_e32 v15, 32, v15
	v_lshrrev_b16_e32 v14, 3, v11
	v_subrev_u32_e32 v20, 28, v15
	v_and_b32_e32 v14, 15, v14
	v_lshlrev_b32_e32 v11, v20, v11
	v_sub_u32_e32 v15, 29, v15
	v_and_b32_e32 v11, 7, v11
	v_cmp_eq_u16_e32 vcc, 0, v14
	v_cndmask_b32_e32 v10, v10, v11, vcc
	v_cndmask_b32_e32 v11, v14, v15, vcc
	v_lshlrev_b32_e32 v14, 16, v16
	v_mov_b32_e32 v15, 0x3b800000
	v_lshlrev_b32_e32 v10, 20, v10
	v_and_b32_e32 v14, 0x80000000, v14
	v_lshl_add_u32 v11, v11, 23, v15
	v_or3_b32 v10, v14, v11, v10
.LBB9_1612:
	s_or_b64 exec, exec, s[6:7]
	v_lshrrev_b32_e32 v11, 8, v12
	s_movk_i32 s4, 0x7f
	v_cmp_gt_i16_sdwa s[6:7], v11, s4 src0_sel:BYTE_0 src1_sel:DWORD
	s_mov_b64 s[4:5], 0
                                        ; implicit-def: $sgpr10
	s_and_saveexec_b64 s[8:9], s[6:7]
	s_xor_b64 s[6:7], exec, s[8:9]
	s_cbranch_execnz .LBB9_3661
; %bb.1613:
	s_or_saveexec_b64 s[6:7], s[6:7]
	v_mov_b32_e32 v14, s10
	s_xor_b64 exec, exec, s[6:7]
	s_cbranch_execnz .LBB9_3664
.LBB9_1614:
	s_or_b64 exec, exec, s[6:7]
	s_and_saveexec_b64 s[6:7], s[4:5]
	s_cbranch_execz .LBB9_1616
.LBB9_1615:
	v_bfe_u32 v14, v12, 8, 3
	v_ffbh_u32_e32 v20, v14
	v_min_u32_e32 v20, 32, v20
	v_lshrrev_b16_e32 v15, 3, v11
	v_subrev_u32_e32 v21, 28, v20
	v_and_b32_e32 v15, 15, v15
	v_lshlrev_b32_e32 v11, v21, v11
	v_sub_u32_e32 v20, 29, v20
	v_and_b32_e32 v11, 7, v11
	v_cmp_eq_u16_e32 vcc, 0, v15
	v_cndmask_b32_e32 v11, v14, v11, vcc
	v_cndmask_b32_e32 v14, v15, v20, vcc
	v_lshlrev_b32_e32 v15, 16, v12
	v_mov_b32_e32 v20, 0x3b800000
	v_lshlrev_b32_e32 v11, 20, v11
	v_and_b32_e32 v15, 0x80000000, v15
	v_lshl_add_u32 v14, v14, 23, v20
	v_or3_b32 v14, v15, v14, v11
.LBB9_1616:
	s_or_b64 exec, exec, s[6:7]
	s_nop 0
	v_mfma_f32_16x16x4f32 a[0:3], v10, v14, a[0:3]
	s_movk_i32 s4, 0xff
	v_and_b32_sdwa v11, v16, s4 dst_sel:DWORD dst_unused:UNUSED_PAD src0_sel:WORD_1 src1_sel:DWORD
	s_movk_i32 s4, 0x7f
	v_cmp_lt_i16_e32 vcc, s4, v11
	s_mov_b64 s[4:5], 0
                                        ; implicit-def: $sgpr10
	s_and_saveexec_b64 s[6:7], vcc
	s_xor_b64 s[6:7], exec, s[6:7]
	s_cbranch_execnz .LBB9_3665
; %bb.1617:
	s_or_saveexec_b64 s[6:7], s[6:7]
	v_mov_b32_e32 v10, s10
	s_xor_b64 exec, exec, s[6:7]
	s_cbranch_execnz .LBB9_3668
.LBB9_1618:
	s_or_b64 exec, exec, s[6:7]
	s_and_saveexec_b64 s[6:7], s[4:5]
	s_cbranch_execz .LBB9_1620
.LBB9_1619:
	v_bfe_u32 v10, v16, 16, 3
	v_ffbh_u32_e32 v15, v10
	v_min_u32_e32 v15, 32, v15
	v_lshrrev_b32_e32 v11, 19, v16
	v_subrev_u32_e32 v20, 28, v15
	v_and_b32_e32 v11, 15, v11
	v_lshlrev_b32_sdwa v20, v20, v16 dst_sel:DWORD dst_unused:UNUSED_PAD src0_sel:DWORD src1_sel:WORD_1
	v_bfe_u32 v14, v16, 19, 4
	v_sub_u32_e32 v15, 29, v15
	v_and_b32_e32 v20, 7, v20
	v_cmp_eq_u16_e32 vcc, 0, v11
	v_cndmask_b32_e32 v10, v10, v20, vcc
	v_cndmask_b32_e32 v11, v14, v15, vcc
	v_lshlrev_b32_e32 v14, 8, v16
	v_mov_b32_e32 v15, 0x3b800000
	v_lshlrev_b32_e32 v10, 20, v10
	v_and_b32_e32 v14, 0x80000000, v14
	v_lshl_add_u32 v11, v11, 23, v15
	v_or3_b32 v10, v14, v11, v10
.LBB9_1620:
	s_or_b64 exec, exec, s[6:7]
	s_movk_i32 s4, 0xff
	v_and_b32_sdwa v11, v12, s4 dst_sel:DWORD dst_unused:UNUSED_PAD src0_sel:WORD_1 src1_sel:DWORD
	s_movk_i32 s4, 0x7f
	v_cmp_lt_i16_e32 vcc, s4, v11
	s_mov_b64 s[4:5], 0
                                        ; implicit-def: $sgpr10
	s_and_saveexec_b64 s[6:7], vcc
	s_xor_b64 s[6:7], exec, s[6:7]
	s_cbranch_execnz .LBB9_3669
; %bb.1621:
	s_or_saveexec_b64 s[6:7], s[6:7]
	v_mov_b32_e32 v14, s10
	s_xor_b64 exec, exec, s[6:7]
	s_cbranch_execnz .LBB9_3672
.LBB9_1622:
	s_or_b64 exec, exec, s[6:7]
	s_and_saveexec_b64 s[6:7], s[4:5]
	s_cbranch_execz .LBB9_1624
.LBB9_1623:
	v_bfe_u32 v11, v12, 16, 3
	v_ffbh_u32_e32 v20, v11
	v_min_u32_e32 v20, 32, v20
	v_lshrrev_b32_e32 v14, 19, v12
	v_subrev_u32_e32 v21, 28, v20
	v_and_b32_e32 v14, 15, v14
	v_lshlrev_b32_sdwa v21, v21, v12 dst_sel:DWORD dst_unused:UNUSED_PAD src0_sel:DWORD src1_sel:WORD_1
	v_bfe_u32 v15, v12, 19, 4
	v_sub_u32_e32 v20, 29, v20
	v_and_b32_e32 v21, 7, v21
	v_cmp_eq_u16_e32 vcc, 0, v14
	v_cndmask_b32_e32 v11, v11, v21, vcc
	v_cndmask_b32_e32 v14, v15, v20, vcc
	v_lshlrev_b32_e32 v15, 8, v12
	v_mov_b32_e32 v20, 0x3b800000
	v_lshlrev_b32_e32 v11, 20, v11
	v_and_b32_e32 v15, 0x80000000, v15
	v_lshl_add_u32 v14, v14, 23, v20
	v_or3_b32 v14, v15, v14, v11
.LBB9_1624:
	s_or_b64 exec, exec, s[6:7]
	s_nop 0
	v_mfma_f32_16x16x4f32 a[0:3], v10, v14, a[0:3]
	s_movk_i32 s4, 0x7f
	v_cmp_gt_i16_sdwa s[6:7], v16, s4 src0_sel:BYTE_3 src1_sel:DWORD
	s_mov_b64 s[4:5], 0
                                        ; implicit-def: $sgpr10
	s_and_saveexec_b64 s[8:9], s[6:7]
	s_xor_b64 s[6:7], exec, s[8:9]
	s_cbranch_execnz .LBB9_3673
; %bb.1625:
	s_or_saveexec_b64 s[6:7], s[6:7]
	v_mov_b32_e32 v10, s10
	s_xor_b64 exec, exec, s[6:7]
	s_cbranch_execnz .LBB9_3676
.LBB9_1626:
	s_or_b64 exec, exec, s[6:7]
	s_and_saveexec_b64 s[6:7], s[4:5]
	s_cbranch_execz .LBB9_1628
.LBB9_1627:
	v_bfe_u32 v10, v16, 24, 3
	v_ffbh_u32_e32 v20, v10
	v_min_u32_e32 v20, 32, v20
	v_lshrrev_b32_e32 v14, 27, v16
	v_subrev_u32_e32 v21, 28, v20
	v_and_b32_e32 v11, 0x80000000, v16
	v_and_b32_e32 v14, 15, v14
	v_bfe_u32 v15, v16, 27, 4
	v_lshlrev_b32_sdwa v16, v21, v16 dst_sel:DWORD dst_unused:UNUSED_PAD src0_sel:DWORD src1_sel:BYTE_3
	v_sub_u32_e32 v20, 29, v20
	v_and_b32_e32 v16, 7, v16
	v_cmp_eq_u16_e32 vcc, 0, v14
	v_cndmask_b32_e32 v10, v10, v16, vcc
	v_cndmask_b32_e32 v14, v15, v20, vcc
	v_mov_b32_e32 v15, 0x3b800000
	v_lshlrev_b32_e32 v10, 20, v10
	v_lshl_add_u32 v14, v14, 23, v15
	v_or3_b32 v10, v11, v14, v10
.LBB9_1628:
	s_or_b64 exec, exec, s[6:7]
	s_movk_i32 s4, 0x7f
	v_cmp_gt_i16_sdwa s[6:7], v12, s4 src0_sel:BYTE_3 src1_sel:DWORD
	s_mov_b64 s[4:5], 0
                                        ; implicit-def: $sgpr10
	s_and_saveexec_b64 s[8:9], s[6:7]
	s_xor_b64 s[6:7], exec, s[8:9]
	s_cbranch_execnz .LBB9_3677
; %bb.1629:
	s_or_saveexec_b64 s[6:7], s[6:7]
	v_mov_b32_e32 v11, s10
	s_xor_b64 exec, exec, s[6:7]
	s_cbranch_execnz .LBB9_3680
.LBB9_1630:
	s_or_b64 exec, exec, s[6:7]
	s_and_saveexec_b64 s[6:7], s[4:5]
	s_cbranch_execz .LBB9_1632
.LBB9_1631:
	v_bfe_u32 v11, v12, 24, 3
	v_ffbh_u32_e32 v20, v11
	v_min_u32_e32 v20, 32, v20
	v_lshrrev_b32_e32 v15, 27, v12
	v_subrev_u32_e32 v21, 28, v20
	v_and_b32_e32 v14, 0x80000000, v12
	v_and_b32_e32 v15, 15, v15
	v_bfe_u32 v16, v12, 27, 4
	v_lshlrev_b32_sdwa v12, v21, v12 dst_sel:DWORD dst_unused:UNUSED_PAD src0_sel:DWORD src1_sel:BYTE_3
	v_sub_u32_e32 v20, 29, v20
	v_and_b32_e32 v12, 7, v12
	v_cmp_eq_u16_e32 vcc, 0, v15
	v_cndmask_b32_e32 v11, v11, v12, vcc
	v_cndmask_b32_e32 v12, v16, v20, vcc
	v_mov_b32_e32 v15, 0x3b800000
	v_lshlrev_b32_e32 v11, 20, v11
	v_lshl_add_u32 v12, v12, 23, v15
	v_or3_b32 v11, v14, v12, v11
.LBB9_1632:
	s_or_b64 exec, exec, s[6:7]
	s_nop 0
	v_mfma_f32_16x16x4f32 a[0:3], v10, v11, a[0:3]
	s_movk_i32 s4, 0x7f
	v_cmp_gt_i16_sdwa s[6:7], v17, s4 src0_sel:BYTE_0 src1_sel:DWORD
	s_mov_b64 s[4:5], 0
                                        ; implicit-def: $sgpr10
	s_and_saveexec_b64 s[8:9], s[6:7]
	s_xor_b64 s[6:7], exec, s[8:9]
	s_cbranch_execnz .LBB9_3681
; %bb.1633:
	s_or_saveexec_b64 s[6:7], s[6:7]
	v_mov_b32_e32 v10, s10
	s_xor_b64 exec, exec, s[6:7]
	s_cbranch_execnz .LBB9_3684
.LBB9_1634:
	s_or_b64 exec, exec, s[6:7]
	s_and_saveexec_b64 s[6:7], s[4:5]
	s_cbranch_execz .LBB9_1636
.LBB9_1635:
	v_and_b32_e32 v10, 7, v17
	v_ffbh_u32_e32 v12, v10
	v_min_u32_e32 v12, 32, v12
	v_lshrrev_b16_e32 v11, 3, v17
	v_subrev_u32_e32 v14, 28, v12
	v_and_b32_e32 v11, 15, v11
	v_lshlrev_b32_e32 v14, v14, v17
	v_sub_u32_e32 v12, 29, v12
	v_and_b32_e32 v14, 7, v14
	v_cmp_eq_u16_e32 vcc, 0, v11
	v_cndmask_b32_e32 v10, v10, v14, vcc
	v_cndmask_b32_e32 v11, v11, v12, vcc
	v_lshlrev_b32_e32 v12, 24, v17
	v_mov_b32_e32 v14, 0x3b800000
	v_lshlrev_b32_e32 v10, 20, v10
	v_and_b32_e32 v12, 0x80000000, v12
	v_lshl_add_u32 v11, v11, 23, v14
	v_or3_b32 v10, v12, v11, v10
.LBB9_1636:
	s_or_b64 exec, exec, s[6:7]
	s_movk_i32 s4, 0x7f
	v_cmp_gt_i16_sdwa s[6:7], v13, s4 src0_sel:BYTE_0 src1_sel:DWORD
	s_mov_b64 s[4:5], 0
                                        ; implicit-def: $sgpr10
	s_and_saveexec_b64 s[8:9], s[6:7]
	s_xor_b64 s[6:7], exec, s[8:9]
	s_cbranch_execnz .LBB9_3685
; %bb.1637:
	s_or_saveexec_b64 s[6:7], s[6:7]
	v_mov_b32_e32 v11, s10
	s_xor_b64 exec, exec, s[6:7]
	s_cbranch_execnz .LBB9_3688
.LBB9_1638:
	s_or_b64 exec, exec, s[6:7]
	s_and_saveexec_b64 s[6:7], s[4:5]
	s_cbranch_execz .LBB9_1640
.LBB9_1639:
	v_and_b32_e32 v11, 7, v13
	v_ffbh_u32_e32 v14, v11
	v_min_u32_e32 v14, 32, v14
	v_lshrrev_b16_e32 v12, 3, v13
	v_subrev_u32_e32 v15, 28, v14
	v_and_b32_e32 v12, 15, v12
	v_lshlrev_b32_e32 v15, v15, v13
	v_sub_u32_e32 v14, 29, v14
	v_and_b32_e32 v15, 7, v15
	v_cmp_eq_u16_e32 vcc, 0, v12
	v_cndmask_b32_e32 v11, v11, v15, vcc
	v_cndmask_b32_e32 v12, v12, v14, vcc
	v_lshlrev_b32_e32 v14, 24, v13
	v_mov_b32_e32 v15, 0x3b800000
	v_lshlrev_b32_e32 v11, 20, v11
	v_and_b32_e32 v14, 0x80000000, v14
	v_lshl_add_u32 v12, v12, 23, v15
	v_or3_b32 v11, v14, v12, v11
.LBB9_1640:
	s_or_b64 exec, exec, s[6:7]
	s_nop 0
	v_mfma_f32_16x16x4f32 a[0:3], v10, v11, a[0:3]
	v_lshrrev_b32_e32 v11, 8, v17
	s_movk_i32 s4, 0x7f
	v_cmp_gt_i16_sdwa s[6:7], v11, s4 src0_sel:BYTE_0 src1_sel:DWORD
	s_mov_b64 s[4:5], 0
                                        ; implicit-def: $sgpr10
	s_and_saveexec_b64 s[8:9], s[6:7]
	s_xor_b64 s[6:7], exec, s[8:9]
	s_cbranch_execnz .LBB9_3689
; %bb.1641:
	s_or_saveexec_b64 s[6:7], s[6:7]
	v_mov_b32_e32 v10, s10
	s_xor_b64 exec, exec, s[6:7]
	s_cbranch_execnz .LBB9_3692
.LBB9_1642:
	s_or_b64 exec, exec, s[6:7]
	s_and_saveexec_b64 s[6:7], s[4:5]
	s_cbranch_execz .LBB9_1644
.LBB9_1643:
	v_bfe_u32 v10, v17, 8, 3
	v_ffbh_u32_e32 v14, v10
	v_min_u32_e32 v14, 32, v14
	v_lshrrev_b16_e32 v12, 3, v11
	v_subrev_u32_e32 v15, 28, v14
	v_and_b32_e32 v12, 15, v12
	v_lshlrev_b32_e32 v11, v15, v11
	v_sub_u32_e32 v14, 29, v14
	v_and_b32_e32 v11, 7, v11
	v_cmp_eq_u16_e32 vcc, 0, v12
	v_cndmask_b32_e32 v10, v10, v11, vcc
	v_cndmask_b32_e32 v11, v12, v14, vcc
	v_lshlrev_b32_e32 v12, 16, v17
	v_mov_b32_e32 v14, 0x3b800000
	v_lshlrev_b32_e32 v10, 20, v10
	v_and_b32_e32 v12, 0x80000000, v12
	v_lshl_add_u32 v11, v11, 23, v14
	v_or3_b32 v10, v12, v11, v10
.LBB9_1644:
	s_or_b64 exec, exec, s[6:7]
	v_lshrrev_b32_e32 v11, 8, v13
	s_movk_i32 s4, 0x7f
	v_cmp_gt_i16_sdwa s[6:7], v11, s4 src0_sel:BYTE_0 src1_sel:DWORD
	s_mov_b64 s[4:5], 0
                                        ; implicit-def: $sgpr10
	s_and_saveexec_b64 s[8:9], s[6:7]
	s_xor_b64 s[6:7], exec, s[8:9]
	s_cbranch_execnz .LBB9_3693
; %bb.1645:
	s_or_saveexec_b64 s[6:7], s[6:7]
	v_mov_b32_e32 v12, s10
	s_xor_b64 exec, exec, s[6:7]
	s_cbranch_execnz .LBB9_3696
.LBB9_1646:
	s_or_b64 exec, exec, s[6:7]
	s_and_saveexec_b64 s[6:7], s[4:5]
	s_cbranch_execz .LBB9_1648
.LBB9_1647:
	v_bfe_u32 v12, v13, 8, 3
	v_ffbh_u32_e32 v15, v12
	v_min_u32_e32 v15, 32, v15
	v_lshrrev_b16_e32 v14, 3, v11
	v_subrev_u32_e32 v16, 28, v15
	v_and_b32_e32 v14, 15, v14
	v_lshlrev_b32_e32 v11, v16, v11
	v_sub_u32_e32 v15, 29, v15
	v_and_b32_e32 v11, 7, v11
	v_cmp_eq_u16_e32 vcc, 0, v14
	v_cndmask_b32_e32 v11, v12, v11, vcc
	v_cndmask_b32_e32 v12, v14, v15, vcc
	v_lshlrev_b32_e32 v14, 16, v13
	v_mov_b32_e32 v15, 0x3b800000
	v_lshlrev_b32_e32 v11, 20, v11
	v_and_b32_e32 v14, 0x80000000, v14
	v_lshl_add_u32 v12, v12, 23, v15
	v_or3_b32 v12, v14, v12, v11
.LBB9_1648:
	s_or_b64 exec, exec, s[6:7]
	s_nop 0
	v_mfma_f32_16x16x4f32 a[0:3], v10, v12, a[0:3]
	s_movk_i32 s4, 0xff
	v_and_b32_sdwa v11, v17, s4 dst_sel:DWORD dst_unused:UNUSED_PAD src0_sel:WORD_1 src1_sel:DWORD
	s_movk_i32 s4, 0x7f
	v_cmp_lt_i16_e32 vcc, s4, v11
	s_mov_b64 s[4:5], 0
                                        ; implicit-def: $sgpr10
	s_and_saveexec_b64 s[6:7], vcc
	s_xor_b64 s[6:7], exec, s[6:7]
	s_cbranch_execnz .LBB9_3697
; %bb.1649:
	s_or_saveexec_b64 s[6:7], s[6:7]
	v_mov_b32_e32 v10, s10
	s_xor_b64 exec, exec, s[6:7]
	s_cbranch_execnz .LBB9_3700
.LBB9_1650:
	s_or_b64 exec, exec, s[6:7]
	s_and_saveexec_b64 s[6:7], s[4:5]
	s_cbranch_execz .LBB9_1652
.LBB9_1651:
	v_bfe_u32 v10, v17, 16, 3
	v_ffbh_u32_e32 v14, v10
	v_min_u32_e32 v14, 32, v14
	v_lshrrev_b32_e32 v11, 19, v17
	v_subrev_u32_e32 v15, 28, v14
	v_and_b32_e32 v11, 15, v11
	v_lshlrev_b32_sdwa v15, v15, v17 dst_sel:DWORD dst_unused:UNUSED_PAD src0_sel:DWORD src1_sel:WORD_1
	v_bfe_u32 v12, v17, 19, 4
	v_sub_u32_e32 v14, 29, v14
	v_and_b32_e32 v15, 7, v15
	v_cmp_eq_u16_e32 vcc, 0, v11
	v_cndmask_b32_e32 v10, v10, v15, vcc
	v_cndmask_b32_e32 v11, v12, v14, vcc
	v_lshlrev_b32_e32 v12, 8, v17
	v_mov_b32_e32 v14, 0x3b800000
	v_lshlrev_b32_e32 v10, 20, v10
	v_and_b32_e32 v12, 0x80000000, v12
	v_lshl_add_u32 v11, v11, 23, v14
	v_or3_b32 v10, v12, v11, v10
.LBB9_1652:
	s_or_b64 exec, exec, s[6:7]
	s_movk_i32 s4, 0xff
	v_and_b32_sdwa v11, v13, s4 dst_sel:DWORD dst_unused:UNUSED_PAD src0_sel:WORD_1 src1_sel:DWORD
	s_movk_i32 s4, 0x7f
	v_cmp_lt_i16_e32 vcc, s4, v11
	s_mov_b64 s[4:5], 0
                                        ; implicit-def: $sgpr10
	s_and_saveexec_b64 s[6:7], vcc
	s_xor_b64 s[6:7], exec, s[6:7]
	s_cbranch_execnz .LBB9_3701
; %bb.1653:
	s_or_saveexec_b64 s[6:7], s[6:7]
	v_mov_b32_e32 v12, s10
	s_xor_b64 exec, exec, s[6:7]
	s_cbranch_execnz .LBB9_3704
.LBB9_1654:
	s_or_b64 exec, exec, s[6:7]
	s_and_saveexec_b64 s[6:7], s[4:5]
	s_cbranch_execz .LBB9_1656
.LBB9_1655:
	v_bfe_u32 v11, v13, 16, 3
	v_ffbh_u32_e32 v15, v11
	v_min_u32_e32 v15, 32, v15
	v_lshrrev_b32_e32 v12, 19, v13
	v_subrev_u32_e32 v16, 28, v15
	v_and_b32_e32 v12, 15, v12
	v_lshlrev_b32_sdwa v16, v16, v13 dst_sel:DWORD dst_unused:UNUSED_PAD src0_sel:DWORD src1_sel:WORD_1
	v_bfe_u32 v14, v13, 19, 4
	v_sub_u32_e32 v15, 29, v15
	v_and_b32_e32 v16, 7, v16
	v_cmp_eq_u16_e32 vcc, 0, v12
	v_cndmask_b32_e32 v11, v11, v16, vcc
	v_cndmask_b32_e32 v12, v14, v15, vcc
	v_lshlrev_b32_e32 v14, 8, v13
	v_mov_b32_e32 v15, 0x3b800000
	v_lshlrev_b32_e32 v11, 20, v11
	v_and_b32_e32 v14, 0x80000000, v14
	v_lshl_add_u32 v12, v12, 23, v15
	v_or3_b32 v12, v14, v12, v11
.LBB9_1656:
	s_or_b64 exec, exec, s[6:7]
	s_nop 0
	v_mfma_f32_16x16x4f32 a[0:3], v10, v12, a[0:3]
	s_movk_i32 s4, 0x7f
	v_cmp_gt_i16_sdwa s[6:7], v17, s4 src0_sel:BYTE_3 src1_sel:DWORD
	s_mov_b64 s[4:5], 0
                                        ; implicit-def: $sgpr10
	s_and_saveexec_b64 s[8:9], s[6:7]
	s_xor_b64 s[6:7], exec, s[8:9]
	s_cbranch_execnz .LBB9_3705
; %bb.1657:
	s_or_saveexec_b64 s[6:7], s[6:7]
	v_mov_b32_e32 v10, s10
	s_xor_b64 exec, exec, s[6:7]
	s_cbranch_execnz .LBB9_3708
.LBB9_1658:
	s_or_b64 exec, exec, s[6:7]
	s_and_saveexec_b64 s[6:7], s[4:5]
	s_cbranch_execz .LBB9_1660
.LBB9_1659:
	v_bfe_u32 v10, v17, 24, 3
	v_ffbh_u32_e32 v15, v10
	v_min_u32_e32 v15, 32, v15
	v_lshrrev_b32_e32 v12, 27, v17
	v_subrev_u32_e32 v16, 28, v15
	v_and_b32_e32 v12, 15, v12
	v_lshlrev_b32_sdwa v16, v16, v17 dst_sel:DWORD dst_unused:UNUSED_PAD src0_sel:DWORD src1_sel:BYTE_3
	v_bfe_u32 v14, v17, 27, 4
	v_sub_u32_e32 v15, 29, v15
	v_and_b32_e32 v16, 7, v16
	v_cmp_eq_u16_e32 vcc, 0, v12
	v_cndmask_b32_e32 v10, v10, v16, vcc
	v_cndmask_b32_e32 v12, v14, v15, vcc
	v_mov_b32_e32 v14, 0x3b800000
	v_and_b32_e32 v11, 0x80000000, v17
	v_lshlrev_b32_e32 v10, 20, v10
	v_lshl_add_u32 v12, v12, 23, v14
	v_or3_b32 v10, v11, v12, v10
.LBB9_1660:
	s_or_b64 exec, exec, s[6:7]
	s_movk_i32 s4, 0x7f
	v_cmp_gt_i16_sdwa s[6:7], v13, s4 src0_sel:BYTE_3 src1_sel:DWORD
	s_mov_b64 s[4:5], 0
                                        ; implicit-def: $sgpr10
	s_and_saveexec_b64 s[8:9], s[6:7]
	s_xor_b64 s[6:7], exec, s[8:9]
	s_cbranch_execnz .LBB9_3709
; %bb.1661:
	s_or_saveexec_b64 s[6:7], s[6:7]
	v_mov_b32_e32 v11, s10
	s_xor_b64 exec, exec, s[6:7]
	s_cbranch_execnz .LBB9_3712
.LBB9_1662:
	s_or_b64 exec, exec, s[6:7]
	s_and_saveexec_b64 s[6:7], s[4:5]
	s_cbranch_execz .LBB9_1664
.LBB9_1663:
	v_bfe_u32 v11, v13, 24, 3
	v_ffbh_u32_e32 v16, v11
	v_min_u32_e32 v16, 32, v16
	v_lshrrev_b32_e32 v14, 27, v13
	v_subrev_u32_e32 v17, 28, v16
	v_and_b32_e32 v12, 0x80000000, v13
	v_and_b32_e32 v14, 15, v14
	v_bfe_u32 v15, v13, 27, 4
	v_lshlrev_b32_sdwa v13, v17, v13 dst_sel:DWORD dst_unused:UNUSED_PAD src0_sel:DWORD src1_sel:BYTE_3
	v_sub_u32_e32 v16, 29, v16
	v_and_b32_e32 v13, 7, v13
	v_cmp_eq_u16_e32 vcc, 0, v14
	v_cndmask_b32_e32 v11, v11, v13, vcc
	v_cndmask_b32_e32 v13, v15, v16, vcc
	v_mov_b32_e32 v14, 0x3b800000
	v_lshlrev_b32_e32 v11, 20, v11
	v_lshl_add_u32 v13, v13, 23, v14
	v_or3_b32 v11, v12, v13, v11
.LBB9_1664:
	s_or_b64 exec, exec, s[6:7]
	s_nop 0
	v_mfma_f32_16x16x4f32 a[0:3], v10, v11, a[0:3]
	s_movk_i32 s4, 0x7f
	v_cmp_gt_i16_sdwa s[6:7], v6, s4 src0_sel:BYTE_0 src1_sel:DWORD
	s_mov_b64 s[4:5], 0
                                        ; implicit-def: $sgpr10
	s_and_saveexec_b64 s[8:9], s[6:7]
	s_xor_b64 s[6:7], exec, s[8:9]
	s_cbranch_execnz .LBB9_3713
; %bb.1665:
	s_or_saveexec_b64 s[6:7], s[6:7]
	v_mov_b32_e32 v10, s10
	s_xor_b64 exec, exec, s[6:7]
	s_cbranch_execnz .LBB9_3716
.LBB9_1666:
	s_or_b64 exec, exec, s[6:7]
	s_and_saveexec_b64 s[6:7], s[4:5]
	s_cbranch_execz .LBB9_1668
.LBB9_1667:
	v_and_b32_e32 v10, 7, v6
	v_ffbh_u32_e32 v12, v10
	v_min_u32_e32 v12, 32, v12
	v_lshrrev_b16_e32 v11, 3, v6
	v_subrev_u32_e32 v13, 28, v12
	v_and_b32_e32 v11, 15, v11
	v_lshlrev_b32_e32 v13, v13, v6
	v_sub_u32_e32 v12, 29, v12
	v_and_b32_e32 v13, 7, v13
	v_cmp_eq_u16_e32 vcc, 0, v11
	v_cndmask_b32_e32 v10, v10, v13, vcc
	v_cndmask_b32_e32 v11, v11, v12, vcc
	v_lshlrev_b32_e32 v12, 24, v6
	v_mov_b32_e32 v13, 0x3b800000
	v_lshlrev_b32_e32 v10, 20, v10
	v_and_b32_e32 v12, 0x80000000, v12
	v_lshl_add_u32 v11, v11, 23, v13
	v_or3_b32 v10, v12, v11, v10
.LBB9_1668:
	s_or_b64 exec, exec, s[6:7]
	s_movk_i32 s4, 0x7f
	v_cmp_gt_i16_sdwa s[6:7], v2, s4 src0_sel:BYTE_0 src1_sel:DWORD
	s_mov_b64 s[4:5], 0
                                        ; implicit-def: $sgpr10
	s_and_saveexec_b64 s[8:9], s[6:7]
	s_xor_b64 s[6:7], exec, s[8:9]
	s_cbranch_execnz .LBB9_3717
; %bb.1669:
	s_or_saveexec_b64 s[6:7], s[6:7]
	v_mov_b32_e32 v11, s10
	s_xor_b64 exec, exec, s[6:7]
	s_cbranch_execnz .LBB9_3720
.LBB9_1670:
	s_or_b64 exec, exec, s[6:7]
	s_and_saveexec_b64 s[6:7], s[4:5]
	s_cbranch_execz .LBB9_1672
.LBB9_1671:
	v_and_b32_e32 v11, 7, v2
	v_ffbh_u32_e32 v13, v11
	v_min_u32_e32 v13, 32, v13
	v_lshrrev_b16_e32 v12, 3, v2
	v_subrev_u32_e32 v14, 28, v13
	v_and_b32_e32 v12, 15, v12
	v_lshlrev_b32_e32 v14, v14, v2
	v_sub_u32_e32 v13, 29, v13
	v_and_b32_e32 v14, 7, v14
	v_cmp_eq_u16_e32 vcc, 0, v12
	v_cndmask_b32_e32 v11, v11, v14, vcc
	v_cndmask_b32_e32 v12, v12, v13, vcc
	v_lshlrev_b32_e32 v13, 24, v2
	v_mov_b32_e32 v14, 0x3b800000
	v_lshlrev_b32_e32 v11, 20, v11
	v_and_b32_e32 v13, 0x80000000, v13
	v_lshl_add_u32 v12, v12, 23, v14
	v_or3_b32 v11, v13, v12, v11
.LBB9_1672:
	s_or_b64 exec, exec, s[6:7]
	s_nop 0
	v_mfma_f32_16x16x4f32 a[0:3], v10, v11, a[0:3]
	v_lshrrev_b32_e32 v11, 8, v6
	s_movk_i32 s4, 0x7f
	v_cmp_gt_i16_sdwa s[6:7], v11, s4 src0_sel:BYTE_0 src1_sel:DWORD
	s_mov_b64 s[4:5], 0
                                        ; implicit-def: $sgpr10
	s_and_saveexec_b64 s[8:9], s[6:7]
	s_xor_b64 s[6:7], exec, s[8:9]
	s_cbranch_execnz .LBB9_3721
; %bb.1673:
	s_or_saveexec_b64 s[6:7], s[6:7]
	v_mov_b32_e32 v10, s10
	s_xor_b64 exec, exec, s[6:7]
	s_cbranch_execnz .LBB9_3724
.LBB9_1674:
	s_or_b64 exec, exec, s[6:7]
	s_and_saveexec_b64 s[6:7], s[4:5]
	s_cbranch_execz .LBB9_1676
.LBB9_1675:
	v_bfe_u32 v10, v6, 8, 3
	v_ffbh_u32_e32 v13, v10
	v_min_u32_e32 v13, 32, v13
	v_lshrrev_b16_e32 v12, 3, v11
	v_subrev_u32_e32 v14, 28, v13
	v_and_b32_e32 v12, 15, v12
	v_lshlrev_b32_e32 v11, v14, v11
	v_sub_u32_e32 v13, 29, v13
	v_and_b32_e32 v11, 7, v11
	v_cmp_eq_u16_e32 vcc, 0, v12
	v_cndmask_b32_e32 v10, v10, v11, vcc
	v_cndmask_b32_e32 v11, v12, v13, vcc
	v_lshlrev_b32_e32 v12, 16, v6
	v_mov_b32_e32 v13, 0x3b800000
	v_lshlrev_b32_e32 v10, 20, v10
	v_and_b32_e32 v12, 0x80000000, v12
	v_lshl_add_u32 v11, v11, 23, v13
	v_or3_b32 v10, v12, v11, v10
.LBB9_1676:
	s_or_b64 exec, exec, s[6:7]
	v_lshrrev_b32_e32 v11, 8, v2
	s_movk_i32 s4, 0x7f
	v_cmp_gt_i16_sdwa s[6:7], v11, s4 src0_sel:BYTE_0 src1_sel:DWORD
	s_mov_b64 s[4:5], 0
                                        ; implicit-def: $sgpr10
	s_and_saveexec_b64 s[8:9], s[6:7]
	s_xor_b64 s[6:7], exec, s[8:9]
	s_cbranch_execnz .LBB9_3725
; %bb.1677:
	s_or_saveexec_b64 s[6:7], s[6:7]
	v_mov_b32_e32 v12, s10
	s_xor_b64 exec, exec, s[6:7]
	s_cbranch_execnz .LBB9_3728
.LBB9_1678:
	s_or_b64 exec, exec, s[6:7]
	s_and_saveexec_b64 s[6:7], s[4:5]
	s_cbranch_execz .LBB9_1680
.LBB9_1679:
	v_bfe_u32 v12, v2, 8, 3
	v_ffbh_u32_e32 v14, v12
	v_min_u32_e32 v14, 32, v14
	v_lshrrev_b16_e32 v13, 3, v11
	v_subrev_u32_e32 v15, 28, v14
	v_and_b32_e32 v13, 15, v13
	v_lshlrev_b32_e32 v11, v15, v11
	v_sub_u32_e32 v14, 29, v14
	v_and_b32_e32 v11, 7, v11
	v_cmp_eq_u16_e32 vcc, 0, v13
	v_cndmask_b32_e32 v11, v12, v11, vcc
	v_cndmask_b32_e32 v12, v13, v14, vcc
	v_lshlrev_b32_e32 v13, 16, v2
	v_mov_b32_e32 v14, 0x3b800000
	v_lshlrev_b32_e32 v11, 20, v11
	v_and_b32_e32 v13, 0x80000000, v13
	v_lshl_add_u32 v12, v12, 23, v14
	v_or3_b32 v12, v13, v12, v11
.LBB9_1680:
	s_or_b64 exec, exec, s[6:7]
	s_nop 0
	v_mfma_f32_16x16x4f32 a[0:3], v10, v12, a[0:3]
	s_movk_i32 s4, 0xff
	v_and_b32_sdwa v11, v6, s4 dst_sel:DWORD dst_unused:UNUSED_PAD src0_sel:WORD_1 src1_sel:DWORD
	s_movk_i32 s4, 0x7f
	v_cmp_lt_i16_e32 vcc, s4, v11
	s_mov_b64 s[4:5], 0
                                        ; implicit-def: $sgpr10
	s_and_saveexec_b64 s[6:7], vcc
	s_xor_b64 s[6:7], exec, s[6:7]
	s_cbranch_execnz .LBB9_3729
; %bb.1681:
	s_or_saveexec_b64 s[6:7], s[6:7]
	v_mov_b32_e32 v10, s10
	s_xor_b64 exec, exec, s[6:7]
	s_cbranch_execnz .LBB9_3732
.LBB9_1682:
	s_or_b64 exec, exec, s[6:7]
	s_and_saveexec_b64 s[6:7], s[4:5]
	s_cbranch_execz .LBB9_1684
.LBB9_1683:
	v_bfe_u32 v10, v6, 16, 3
	v_ffbh_u32_e32 v13, v10
	v_min_u32_e32 v13, 32, v13
	v_lshrrev_b32_e32 v11, 19, v6
	v_subrev_u32_e32 v14, 28, v13
	v_and_b32_e32 v11, 15, v11
	v_lshlrev_b32_sdwa v14, v14, v6 dst_sel:DWORD dst_unused:UNUSED_PAD src0_sel:DWORD src1_sel:WORD_1
	v_bfe_u32 v12, v6, 19, 4
	v_sub_u32_e32 v13, 29, v13
	v_and_b32_e32 v14, 7, v14
	v_cmp_eq_u16_e32 vcc, 0, v11
	v_cndmask_b32_e32 v10, v10, v14, vcc
	v_cndmask_b32_e32 v11, v12, v13, vcc
	v_lshlrev_b32_e32 v12, 8, v6
	v_mov_b32_e32 v13, 0x3b800000
	v_lshlrev_b32_e32 v10, 20, v10
	v_and_b32_e32 v12, 0x80000000, v12
	v_lshl_add_u32 v11, v11, 23, v13
	v_or3_b32 v10, v12, v11, v10
.LBB9_1684:
	s_or_b64 exec, exec, s[6:7]
	s_movk_i32 s4, 0xff
	v_and_b32_sdwa v11, v2, s4 dst_sel:DWORD dst_unused:UNUSED_PAD src0_sel:WORD_1 src1_sel:DWORD
	s_movk_i32 s4, 0x7f
	v_cmp_lt_i16_e32 vcc, s4, v11
	s_mov_b64 s[4:5], 0
                                        ; implicit-def: $sgpr10
	s_and_saveexec_b64 s[6:7], vcc
	s_xor_b64 s[6:7], exec, s[6:7]
	s_cbranch_execnz .LBB9_3733
; %bb.1685:
	s_or_saveexec_b64 s[6:7], s[6:7]
	v_mov_b32_e32 v12, s10
	s_xor_b64 exec, exec, s[6:7]
	s_cbranch_execnz .LBB9_3736
.LBB9_1686:
	s_or_b64 exec, exec, s[6:7]
	s_and_saveexec_b64 s[6:7], s[4:5]
	s_cbranch_execz .LBB9_1688
.LBB9_1687:
	v_bfe_u32 v11, v2, 16, 3
	v_ffbh_u32_e32 v14, v11
	v_min_u32_e32 v14, 32, v14
	v_lshrrev_b32_e32 v12, 19, v2
	v_subrev_u32_e32 v15, 28, v14
	v_and_b32_e32 v12, 15, v12
	v_lshlrev_b32_sdwa v15, v15, v2 dst_sel:DWORD dst_unused:UNUSED_PAD src0_sel:DWORD src1_sel:WORD_1
	v_bfe_u32 v13, v2, 19, 4
	v_sub_u32_e32 v14, 29, v14
	v_and_b32_e32 v15, 7, v15
	v_cmp_eq_u16_e32 vcc, 0, v12
	v_cndmask_b32_e32 v11, v11, v15, vcc
	v_cndmask_b32_e32 v12, v13, v14, vcc
	v_lshlrev_b32_e32 v13, 8, v2
	v_mov_b32_e32 v14, 0x3b800000
	v_lshlrev_b32_e32 v11, 20, v11
	v_and_b32_e32 v13, 0x80000000, v13
	v_lshl_add_u32 v12, v12, 23, v14
	v_or3_b32 v12, v13, v12, v11
.LBB9_1688:
	s_or_b64 exec, exec, s[6:7]
	s_nop 0
	v_mfma_f32_16x16x4f32 a[0:3], v10, v12, a[0:3]
	s_movk_i32 s4, 0x7f
	v_cmp_gt_i16_sdwa s[6:7], v6, s4 src0_sel:BYTE_3 src1_sel:DWORD
	s_mov_b64 s[4:5], 0
                                        ; implicit-def: $sgpr10
	s_and_saveexec_b64 s[8:9], s[6:7]
	s_xor_b64 s[6:7], exec, s[8:9]
	s_cbranch_execnz .LBB9_3737
; %bb.1689:
	s_or_saveexec_b64 s[6:7], s[6:7]
	v_mov_b32_e32 v10, s10
	s_xor_b64 exec, exec, s[6:7]
	s_cbranch_execnz .LBB9_3740
.LBB9_1690:
	s_or_b64 exec, exec, s[6:7]
	s_and_saveexec_b64 s[6:7], s[4:5]
	s_cbranch_execz .LBB9_1692
.LBB9_1691:
	v_bfe_u32 v10, v6, 24, 3
	v_ffbh_u32_e32 v14, v10
	v_min_u32_e32 v14, 32, v14
	v_lshrrev_b32_e32 v12, 27, v6
	v_subrev_u32_e32 v15, 28, v14
	v_and_b32_e32 v11, 0x80000000, v6
	v_and_b32_e32 v12, 15, v12
	v_bfe_u32 v13, v6, 27, 4
	v_lshlrev_b32_sdwa v6, v15, v6 dst_sel:DWORD dst_unused:UNUSED_PAD src0_sel:DWORD src1_sel:BYTE_3
	v_sub_u32_e32 v14, 29, v14
	v_and_b32_e32 v6, 7, v6
	v_cmp_eq_u16_e32 vcc, 0, v12
	v_cndmask_b32_e32 v6, v10, v6, vcc
	v_cndmask_b32_e32 v10, v13, v14, vcc
	v_mov_b32_e32 v12, 0x3b800000
	v_lshlrev_b32_e32 v6, 20, v6
	v_lshl_add_u32 v10, v10, 23, v12
	v_or3_b32 v10, v11, v10, v6
.LBB9_1692:
	s_or_b64 exec, exec, s[6:7]
	s_movk_i32 s4, 0x7f
	v_cmp_gt_i16_sdwa s[6:7], v2, s4 src0_sel:BYTE_3 src1_sel:DWORD
	s_mov_b64 s[4:5], 0
                                        ; implicit-def: $sgpr10
	s_and_saveexec_b64 s[8:9], s[6:7]
	s_xor_b64 s[6:7], exec, s[8:9]
	s_cbranch_execnz .LBB9_3741
; %bb.1693:
	s_or_saveexec_b64 s[6:7], s[6:7]
	v_mov_b32_e32 v6, s10
	s_xor_b64 exec, exec, s[6:7]
	s_cbranch_execnz .LBB9_3744
.LBB9_1694:
	s_or_b64 exec, exec, s[6:7]
	s_and_saveexec_b64 s[6:7], s[4:5]
	s_cbranch_execz .LBB9_1696
.LBB9_1695:
	v_bfe_u32 v6, v2, 24, 3
	v_ffbh_u32_e32 v14, v6
	v_min_u32_e32 v14, 32, v14
	v_lshrrev_b32_e32 v12, 27, v2
	v_subrev_u32_e32 v15, 28, v14
	v_and_b32_e32 v11, 0x80000000, v2
	v_and_b32_e32 v12, 15, v12
	v_bfe_u32 v13, v2, 27, 4
	v_lshlrev_b32_sdwa v2, v15, v2 dst_sel:DWORD dst_unused:UNUSED_PAD src0_sel:DWORD src1_sel:BYTE_3
	v_sub_u32_e32 v14, 29, v14
	v_and_b32_e32 v2, 7, v2
	v_cmp_eq_u16_e32 vcc, 0, v12
	v_cndmask_b32_e32 v2, v6, v2, vcc
	v_cndmask_b32_e32 v6, v13, v14, vcc
	v_mov_b32_e32 v12, 0x3b800000
	v_lshlrev_b32_e32 v2, 20, v2
	v_lshl_add_u32 v6, v6, 23, v12
	v_or3_b32 v6, v11, v6, v2
.LBB9_1696:
	s_or_b64 exec, exec, s[6:7]
	s_nop 0
	v_mfma_f32_16x16x4f32 a[0:3], v10, v6, a[0:3]
	s_movk_i32 s4, 0x7f
	v_cmp_gt_i16_sdwa s[6:7], v7, s4 src0_sel:BYTE_0 src1_sel:DWORD
	s_mov_b64 s[4:5], 0
                                        ; implicit-def: $sgpr10
	s_and_saveexec_b64 s[8:9], s[6:7]
	s_xor_b64 s[6:7], exec, s[8:9]
	s_cbranch_execnz .LBB9_3745
; %bb.1697:
	s_or_saveexec_b64 s[6:7], s[6:7]
	v_mov_b32_e32 v2, s10
	s_xor_b64 exec, exec, s[6:7]
	s_cbranch_execnz .LBB9_3748
.LBB9_1698:
	s_or_b64 exec, exec, s[6:7]
	s_and_saveexec_b64 s[6:7], s[4:5]
	s_cbranch_execz .LBB9_1700
.LBB9_1699:
	v_and_b32_e32 v2, 7, v7
	v_ffbh_u32_e32 v10, v2
	v_min_u32_e32 v10, 32, v10
	v_lshrrev_b16_e32 v6, 3, v7
	v_subrev_u32_e32 v11, 28, v10
	v_and_b32_e32 v6, 15, v6
	v_lshlrev_b32_e32 v11, v11, v7
	v_sub_u32_e32 v10, 29, v10
	v_and_b32_e32 v11, 7, v11
	v_cmp_eq_u16_e32 vcc, 0, v6
	v_cndmask_b32_e32 v2, v2, v11, vcc
	v_cndmask_b32_e32 v6, v6, v10, vcc
	v_lshlrev_b32_e32 v10, 24, v7
	v_mov_b32_e32 v11, 0x3b800000
	v_lshlrev_b32_e32 v2, 20, v2
	v_and_b32_e32 v10, 0x80000000, v10
	v_lshl_add_u32 v6, v6, 23, v11
	v_or3_b32 v2, v10, v6, v2
.LBB9_1700:
	s_or_b64 exec, exec, s[6:7]
	s_movk_i32 s4, 0x7f
	v_cmp_gt_i16_sdwa s[6:7], v3, s4 src0_sel:BYTE_0 src1_sel:DWORD
	s_mov_b64 s[4:5], 0
                                        ; implicit-def: $sgpr10
	s_and_saveexec_b64 s[8:9], s[6:7]
	s_xor_b64 s[6:7], exec, s[8:9]
	s_cbranch_execnz .LBB9_3749
; %bb.1701:
	s_or_saveexec_b64 s[6:7], s[6:7]
	v_mov_b32_e32 v6, s10
	s_xor_b64 exec, exec, s[6:7]
	s_cbranch_execnz .LBB9_3752
.LBB9_1702:
	s_or_b64 exec, exec, s[6:7]
	s_and_saveexec_b64 s[6:7], s[4:5]
	s_cbranch_execz .LBB9_1704
.LBB9_1703:
	v_and_b32_e32 v6, 7, v3
	v_ffbh_u32_e32 v11, v6
	v_min_u32_e32 v11, 32, v11
	v_lshrrev_b16_e32 v10, 3, v3
	v_subrev_u32_e32 v12, 28, v11
	v_and_b32_e32 v10, 15, v10
	v_lshlrev_b32_e32 v12, v12, v3
	v_sub_u32_e32 v11, 29, v11
	v_and_b32_e32 v12, 7, v12
	v_cmp_eq_u16_e32 vcc, 0, v10
	v_cndmask_b32_e32 v6, v6, v12, vcc
	v_cndmask_b32_e32 v10, v10, v11, vcc
	v_lshlrev_b32_e32 v11, 24, v3
	v_mov_b32_e32 v12, 0x3b800000
	v_lshlrev_b32_e32 v6, 20, v6
	v_and_b32_e32 v11, 0x80000000, v11
	v_lshl_add_u32 v10, v10, 23, v12
	v_or3_b32 v6, v11, v10, v6
.LBB9_1704:
	s_or_b64 exec, exec, s[6:7]
	s_nop 0
	v_mfma_f32_16x16x4f32 a[0:3], v2, v6, a[0:3]
	v_lshrrev_b32_e32 v6, 8, v7
	s_movk_i32 s4, 0x7f
	v_cmp_gt_i16_sdwa s[6:7], v6, s4 src0_sel:BYTE_0 src1_sel:DWORD
	s_mov_b64 s[4:5], 0
                                        ; implicit-def: $sgpr10
	s_and_saveexec_b64 s[8:9], s[6:7]
	s_xor_b64 s[6:7], exec, s[8:9]
	s_cbranch_execnz .LBB9_3753
; %bb.1705:
	s_or_saveexec_b64 s[6:7], s[6:7]
	v_mov_b32_e32 v2, s10
	s_xor_b64 exec, exec, s[6:7]
	s_cbranch_execnz .LBB9_3756
.LBB9_1706:
	s_or_b64 exec, exec, s[6:7]
	s_and_saveexec_b64 s[6:7], s[4:5]
	s_cbranch_execz .LBB9_1708
.LBB9_1707:
	v_bfe_u32 v2, v7, 8, 3
	v_ffbh_u32_e32 v11, v2
	v_min_u32_e32 v11, 32, v11
	v_lshrrev_b16_e32 v10, 3, v6
	v_subrev_u32_e32 v12, 28, v11
	v_and_b32_e32 v10, 15, v10
	v_lshlrev_b32_e32 v6, v12, v6
	v_sub_u32_e32 v11, 29, v11
	v_and_b32_e32 v6, 7, v6
	v_cmp_eq_u16_e32 vcc, 0, v10
	v_cndmask_b32_e32 v2, v2, v6, vcc
	v_cndmask_b32_e32 v6, v10, v11, vcc
	v_lshlrev_b32_e32 v10, 16, v7
	v_mov_b32_e32 v11, 0x3b800000
	v_lshlrev_b32_e32 v2, 20, v2
	v_and_b32_e32 v10, 0x80000000, v10
	v_lshl_add_u32 v6, v6, 23, v11
	v_or3_b32 v2, v10, v6, v2
.LBB9_1708:
	s_or_b64 exec, exec, s[6:7]
	v_lshrrev_b32_e32 v6, 8, v3
	s_movk_i32 s4, 0x7f
	v_cmp_gt_i16_sdwa s[6:7], v6, s4 src0_sel:BYTE_0 src1_sel:DWORD
	s_mov_b64 s[4:5], 0
                                        ; implicit-def: $sgpr10
	s_and_saveexec_b64 s[8:9], s[6:7]
	s_xor_b64 s[6:7], exec, s[8:9]
	s_cbranch_execnz .LBB9_3757
; %bb.1709:
	s_or_saveexec_b64 s[6:7], s[6:7]
	v_mov_b32_e32 v10, s10
	s_xor_b64 exec, exec, s[6:7]
	s_cbranch_execnz .LBB9_3760
.LBB9_1710:
	s_or_b64 exec, exec, s[6:7]
	s_and_saveexec_b64 s[6:7], s[4:5]
	s_cbranch_execz .LBB9_1712
.LBB9_1711:
	v_bfe_u32 v10, v3, 8, 3
	v_ffbh_u32_e32 v12, v10
	v_min_u32_e32 v12, 32, v12
	v_lshrrev_b16_e32 v11, 3, v6
	v_subrev_u32_e32 v13, 28, v12
	v_and_b32_e32 v11, 15, v11
	v_lshlrev_b32_e32 v6, v13, v6
	v_sub_u32_e32 v12, 29, v12
	v_and_b32_e32 v6, 7, v6
	v_cmp_eq_u16_e32 vcc, 0, v11
	v_cndmask_b32_e32 v6, v10, v6, vcc
	v_cndmask_b32_e32 v10, v11, v12, vcc
	v_lshlrev_b32_e32 v11, 16, v3
	v_mov_b32_e32 v12, 0x3b800000
	v_lshlrev_b32_e32 v6, 20, v6
	v_and_b32_e32 v11, 0x80000000, v11
	v_lshl_add_u32 v10, v10, 23, v12
	v_or3_b32 v10, v11, v10, v6
.LBB9_1712:
	s_or_b64 exec, exec, s[6:7]
	s_nop 0
	v_mfma_f32_16x16x4f32 a[0:3], v2, v10, a[0:3]
	s_movk_i32 s4, 0xff
	v_and_b32_sdwa v6, v7, s4 dst_sel:DWORD dst_unused:UNUSED_PAD src0_sel:WORD_1 src1_sel:DWORD
	s_movk_i32 s4, 0x7f
	v_cmp_lt_i16_e32 vcc, s4, v6
	s_mov_b64 s[4:5], 0
                                        ; implicit-def: $sgpr10
	s_and_saveexec_b64 s[6:7], vcc
	s_xor_b64 s[6:7], exec, s[6:7]
	s_cbranch_execnz .LBB9_3761
; %bb.1713:
	s_or_saveexec_b64 s[6:7], s[6:7]
	v_mov_b32_e32 v2, s10
	s_xor_b64 exec, exec, s[6:7]
	s_cbranch_execnz .LBB9_3764
.LBB9_1714:
	s_or_b64 exec, exec, s[6:7]
	s_and_saveexec_b64 s[6:7], s[4:5]
	s_cbranch_execz .LBB9_1716
.LBB9_1715:
	v_bfe_u32 v2, v7, 16, 3
	v_ffbh_u32_e32 v11, v2
	v_min_u32_e32 v11, 32, v11
	v_lshrrev_b32_e32 v6, 19, v7
	v_subrev_u32_e32 v12, 28, v11
	v_and_b32_e32 v6, 15, v6
	v_lshlrev_b32_sdwa v12, v12, v7 dst_sel:DWORD dst_unused:UNUSED_PAD src0_sel:DWORD src1_sel:WORD_1
	v_bfe_u32 v10, v7, 19, 4
	v_sub_u32_e32 v11, 29, v11
	v_and_b32_e32 v12, 7, v12
	v_cmp_eq_u16_e32 vcc, 0, v6
	v_cndmask_b32_e32 v2, v2, v12, vcc
	v_cndmask_b32_e32 v6, v10, v11, vcc
	v_lshlrev_b32_e32 v10, 8, v7
	v_mov_b32_e32 v11, 0x3b800000
	v_lshlrev_b32_e32 v2, 20, v2
	v_and_b32_e32 v10, 0x80000000, v10
	v_lshl_add_u32 v6, v6, 23, v11
	v_or3_b32 v2, v10, v6, v2
.LBB9_1716:
	s_or_b64 exec, exec, s[6:7]
	s_movk_i32 s4, 0xff
	v_and_b32_sdwa v6, v3, s4 dst_sel:DWORD dst_unused:UNUSED_PAD src0_sel:WORD_1 src1_sel:DWORD
	s_movk_i32 s4, 0x7f
	v_cmp_lt_i16_e32 vcc, s4, v6
	s_mov_b64 s[4:5], 0
                                        ; implicit-def: $sgpr10
	s_and_saveexec_b64 s[6:7], vcc
	s_xor_b64 s[6:7], exec, s[6:7]
	s_cbranch_execnz .LBB9_3765
; %bb.1717:
	s_or_saveexec_b64 s[6:7], s[6:7]
	v_mov_b32_e32 v10, s10
	s_xor_b64 exec, exec, s[6:7]
	s_cbranch_execnz .LBB9_3768
.LBB9_1718:
	s_or_b64 exec, exec, s[6:7]
	s_and_saveexec_b64 s[6:7], s[4:5]
	s_cbranch_execz .LBB9_1720
.LBB9_1719:
	v_bfe_u32 v6, v3, 16, 3
	v_ffbh_u32_e32 v12, v6
	v_min_u32_e32 v12, 32, v12
	v_lshrrev_b32_e32 v10, 19, v3
	v_subrev_u32_e32 v13, 28, v12
	v_and_b32_e32 v10, 15, v10
	v_lshlrev_b32_sdwa v13, v13, v3 dst_sel:DWORD dst_unused:UNUSED_PAD src0_sel:DWORD src1_sel:WORD_1
	v_bfe_u32 v11, v3, 19, 4
	v_sub_u32_e32 v12, 29, v12
	v_and_b32_e32 v13, 7, v13
	v_cmp_eq_u16_e32 vcc, 0, v10
	v_cndmask_b32_e32 v6, v6, v13, vcc
	v_cndmask_b32_e32 v10, v11, v12, vcc
	v_lshlrev_b32_e32 v11, 8, v3
	v_mov_b32_e32 v12, 0x3b800000
	v_lshlrev_b32_e32 v6, 20, v6
	v_and_b32_e32 v11, 0x80000000, v11
	v_lshl_add_u32 v10, v10, 23, v12
	v_or3_b32 v10, v11, v10, v6
.LBB9_1720:
	s_or_b64 exec, exec, s[6:7]
	s_nop 0
	v_mfma_f32_16x16x4f32 a[0:3], v2, v10, a[0:3]
	s_movk_i32 s4, 0x7f
	v_cmp_gt_i16_sdwa s[6:7], v7, s4 src0_sel:BYTE_3 src1_sel:DWORD
	s_mov_b64 s[4:5], 0
                                        ; implicit-def: $sgpr10
	s_and_saveexec_b64 s[8:9], s[6:7]
	s_xor_b64 s[6:7], exec, s[8:9]
	s_cbranch_execnz .LBB9_3769
; %bb.1721:
	s_or_saveexec_b64 s[6:7], s[6:7]
	v_mov_b32_e32 v2, s10
	s_xor_b64 exec, exec, s[6:7]
	s_cbranch_execnz .LBB9_3772
.LBB9_1722:
	s_or_b64 exec, exec, s[6:7]
	s_and_saveexec_b64 s[6:7], s[4:5]
	s_cbranch_execz .LBB9_1724
.LBB9_1723:
	v_bfe_u32 v2, v7, 24, 3
	v_ffbh_u32_e32 v12, v2
	v_min_u32_e32 v12, 32, v12
	v_lshrrev_b32_e32 v10, 27, v7
	v_subrev_u32_e32 v13, 28, v12
	v_and_b32_e32 v6, 0x80000000, v7
	v_and_b32_e32 v10, 15, v10
	v_bfe_u32 v11, v7, 27, 4
	v_lshlrev_b32_sdwa v7, v13, v7 dst_sel:DWORD dst_unused:UNUSED_PAD src0_sel:DWORD src1_sel:BYTE_3
	v_sub_u32_e32 v12, 29, v12
	v_and_b32_e32 v7, 7, v7
	v_cmp_eq_u16_e32 vcc, 0, v10
	v_cndmask_b32_e32 v2, v2, v7, vcc
	v_cndmask_b32_e32 v7, v11, v12, vcc
	v_mov_b32_e32 v10, 0x3b800000
	v_lshlrev_b32_e32 v2, 20, v2
	v_lshl_add_u32 v7, v7, 23, v10
	v_or3_b32 v2, v6, v7, v2
.LBB9_1724:
	s_or_b64 exec, exec, s[6:7]
	s_movk_i32 s4, 0x7f
	v_cmp_gt_i16_sdwa s[6:7], v3, s4 src0_sel:BYTE_3 src1_sel:DWORD
	s_mov_b64 s[4:5], 0
                                        ; implicit-def: $sgpr10
	s_and_saveexec_b64 s[8:9], s[6:7]
	s_xor_b64 s[6:7], exec, s[8:9]
	s_cbranch_execnz .LBB9_3773
; %bb.1725:
	s_or_saveexec_b64 s[6:7], s[6:7]
	v_mov_b32_e32 v6, s10
	s_xor_b64 exec, exec, s[6:7]
	s_cbranch_execnz .LBB9_3776
.LBB9_1726:
	s_or_b64 exec, exec, s[6:7]
	s_and_saveexec_b64 s[6:7], s[4:5]
	s_cbranch_execz .LBB9_1728
.LBB9_1727:
	v_bfe_u32 v6, v3, 24, 3
	v_ffbh_u32_e32 v12, v6
	v_min_u32_e32 v12, 32, v12
	v_lshrrev_b32_e32 v10, 27, v3
	v_subrev_u32_e32 v13, 28, v12
	v_and_b32_e32 v7, 0x80000000, v3
	v_and_b32_e32 v10, 15, v10
	v_bfe_u32 v11, v3, 27, 4
	v_lshlrev_b32_sdwa v3, v13, v3 dst_sel:DWORD dst_unused:UNUSED_PAD src0_sel:DWORD src1_sel:BYTE_3
	v_sub_u32_e32 v12, 29, v12
	v_and_b32_e32 v3, 7, v3
	v_cmp_eq_u16_e32 vcc, 0, v10
	v_cndmask_b32_e32 v3, v6, v3, vcc
	v_cndmask_b32_e32 v6, v11, v12, vcc
	v_mov_b32_e32 v10, 0x3b800000
	v_lshlrev_b32_e32 v3, 20, v3
	v_lshl_add_u32 v6, v6, 23, v10
	v_or3_b32 v6, v7, v6, v3
.LBB9_1728:
	s_or_b64 exec, exec, s[6:7]
	s_nop 0
	v_mfma_f32_16x16x4f32 a[0:3], v2, v6, a[0:3]
	s_movk_i32 s4, 0x7f
	v_cmp_gt_i16_sdwa s[6:7], v8, s4 src0_sel:BYTE_0 src1_sel:DWORD
	s_mov_b64 s[4:5], 0
                                        ; implicit-def: $sgpr10
	s_and_saveexec_b64 s[8:9], s[6:7]
	s_xor_b64 s[6:7], exec, s[8:9]
	s_cbranch_execnz .LBB9_3777
; %bb.1729:
	s_or_saveexec_b64 s[6:7], s[6:7]
	v_mov_b32_e32 v2, s10
	s_xor_b64 exec, exec, s[6:7]
	s_cbranch_execnz .LBB9_3780
.LBB9_1730:
	s_or_b64 exec, exec, s[6:7]
	s_and_saveexec_b64 s[6:7], s[4:5]
	s_cbranch_execz .LBB9_1732
.LBB9_1731:
	v_and_b32_e32 v2, 7, v8
	v_ffbh_u32_e32 v6, v2
	v_min_u32_e32 v6, 32, v6
	v_lshrrev_b16_e32 v3, 3, v8
	v_subrev_u32_e32 v7, 28, v6
	v_and_b32_e32 v3, 15, v3
	v_lshlrev_b32_e32 v7, v7, v8
	v_sub_u32_e32 v6, 29, v6
	v_and_b32_e32 v7, 7, v7
	v_cmp_eq_u16_e32 vcc, 0, v3
	v_cndmask_b32_e32 v2, v2, v7, vcc
	v_cndmask_b32_e32 v3, v3, v6, vcc
	v_lshlrev_b32_e32 v6, 24, v8
	v_mov_b32_e32 v7, 0x3b800000
	v_lshlrev_b32_e32 v2, 20, v2
	v_and_b32_e32 v6, 0x80000000, v6
	v_lshl_add_u32 v3, v3, 23, v7
	v_or3_b32 v2, v6, v3, v2
.LBB9_1732:
	s_or_b64 exec, exec, s[6:7]
	s_movk_i32 s4, 0x7f
	v_cmp_gt_i16_sdwa s[6:7], v4, s4 src0_sel:BYTE_0 src1_sel:DWORD
	s_mov_b64 s[4:5], 0
                                        ; implicit-def: $sgpr10
	s_and_saveexec_b64 s[8:9], s[6:7]
	s_xor_b64 s[6:7], exec, s[8:9]
	s_cbranch_execnz .LBB9_3781
; %bb.1733:
	s_or_saveexec_b64 s[6:7], s[6:7]
	v_mov_b32_e32 v3, s10
	s_xor_b64 exec, exec, s[6:7]
	s_cbranch_execnz .LBB9_3784
.LBB9_1734:
	s_or_b64 exec, exec, s[6:7]
	s_and_saveexec_b64 s[6:7], s[4:5]
	s_cbranch_execz .LBB9_1736
.LBB9_1735:
	v_and_b32_e32 v3, 7, v4
	v_ffbh_u32_e32 v7, v3
	v_min_u32_e32 v7, 32, v7
	v_lshrrev_b16_e32 v6, 3, v4
	v_subrev_u32_e32 v10, 28, v7
	v_and_b32_e32 v6, 15, v6
	v_lshlrev_b32_e32 v10, v10, v4
	v_sub_u32_e32 v7, 29, v7
	v_and_b32_e32 v10, 7, v10
	v_cmp_eq_u16_e32 vcc, 0, v6
	v_cndmask_b32_e32 v3, v3, v10, vcc
	v_cndmask_b32_e32 v6, v6, v7, vcc
	v_lshlrev_b32_e32 v7, 24, v4
	v_mov_b32_e32 v10, 0x3b800000
	v_lshlrev_b32_e32 v3, 20, v3
	v_and_b32_e32 v7, 0x80000000, v7
	v_lshl_add_u32 v6, v6, 23, v10
	v_or3_b32 v3, v7, v6, v3
.LBB9_1736:
	s_or_b64 exec, exec, s[6:7]
	s_nop 0
	v_mfma_f32_16x16x4f32 a[0:3], v2, v3, a[0:3]
	v_lshrrev_b32_e32 v3, 8, v8
	s_movk_i32 s4, 0x7f
	v_cmp_gt_i16_sdwa s[6:7], v3, s4 src0_sel:BYTE_0 src1_sel:DWORD
	s_mov_b64 s[4:5], 0
                                        ; implicit-def: $sgpr10
	s_and_saveexec_b64 s[8:9], s[6:7]
	s_xor_b64 s[6:7], exec, s[8:9]
	s_cbranch_execnz .LBB9_3785
; %bb.1737:
	s_or_saveexec_b64 s[6:7], s[6:7]
	v_mov_b32_e32 v2, s10
	s_xor_b64 exec, exec, s[6:7]
	s_cbranch_execnz .LBB9_3788
.LBB9_1738:
	s_or_b64 exec, exec, s[6:7]
	s_and_saveexec_b64 s[6:7], s[4:5]
	s_cbranch_execz .LBB9_1740
.LBB9_1739:
	v_bfe_u32 v2, v8, 8, 3
	v_ffbh_u32_e32 v7, v2
	v_min_u32_e32 v7, 32, v7
	v_lshrrev_b16_e32 v6, 3, v3
	v_subrev_u32_e32 v10, 28, v7
	v_and_b32_e32 v6, 15, v6
	v_lshlrev_b32_e32 v3, v10, v3
	v_sub_u32_e32 v7, 29, v7
	v_and_b32_e32 v3, 7, v3
	v_cmp_eq_u16_e32 vcc, 0, v6
	v_cndmask_b32_e32 v2, v2, v3, vcc
	v_cndmask_b32_e32 v3, v6, v7, vcc
	v_lshlrev_b32_e32 v6, 16, v8
	v_mov_b32_e32 v7, 0x3b800000
	v_lshlrev_b32_e32 v2, 20, v2
	v_and_b32_e32 v6, 0x80000000, v6
	v_lshl_add_u32 v3, v3, 23, v7
	v_or3_b32 v2, v6, v3, v2
.LBB9_1740:
	s_or_b64 exec, exec, s[6:7]
	v_lshrrev_b32_e32 v3, 8, v4
	s_movk_i32 s4, 0x7f
	v_cmp_gt_i16_sdwa s[6:7], v3, s4 src0_sel:BYTE_0 src1_sel:DWORD
	s_mov_b64 s[4:5], 0
                                        ; implicit-def: $sgpr10
	s_and_saveexec_b64 s[8:9], s[6:7]
	s_xor_b64 s[6:7], exec, s[8:9]
	s_cbranch_execnz .LBB9_3789
; %bb.1741:
	s_or_saveexec_b64 s[6:7], s[6:7]
	v_mov_b32_e32 v6, s10
	s_xor_b64 exec, exec, s[6:7]
	s_cbranch_execnz .LBB9_3792
.LBB9_1742:
	s_or_b64 exec, exec, s[6:7]
	s_and_saveexec_b64 s[6:7], s[4:5]
	s_cbranch_execz .LBB9_1744
.LBB9_1743:
	v_bfe_u32 v6, v4, 8, 3
	v_ffbh_u32_e32 v10, v6
	v_min_u32_e32 v10, 32, v10
	v_lshrrev_b16_e32 v7, 3, v3
	v_subrev_u32_e32 v11, 28, v10
	v_and_b32_e32 v7, 15, v7
	v_lshlrev_b32_e32 v3, v11, v3
	v_sub_u32_e32 v10, 29, v10
	v_and_b32_e32 v3, 7, v3
	v_cmp_eq_u16_e32 vcc, 0, v7
	v_cndmask_b32_e32 v3, v6, v3, vcc
	v_cndmask_b32_e32 v6, v7, v10, vcc
	v_lshlrev_b32_e32 v7, 16, v4
	v_mov_b32_e32 v10, 0x3b800000
	v_lshlrev_b32_e32 v3, 20, v3
	v_and_b32_e32 v7, 0x80000000, v7
	v_lshl_add_u32 v6, v6, 23, v10
	v_or3_b32 v6, v7, v6, v3
.LBB9_1744:
	s_or_b64 exec, exec, s[6:7]
	s_nop 0
	v_mfma_f32_16x16x4f32 a[0:3], v2, v6, a[0:3]
	s_movk_i32 s4, 0xff
	v_and_b32_sdwa v3, v8, s4 dst_sel:DWORD dst_unused:UNUSED_PAD src0_sel:WORD_1 src1_sel:DWORD
	s_movk_i32 s4, 0x7f
	v_cmp_lt_i16_e32 vcc, s4, v3
	s_mov_b64 s[4:5], 0
                                        ; implicit-def: $sgpr10
	s_and_saveexec_b64 s[6:7], vcc
	s_xor_b64 s[6:7], exec, s[6:7]
	s_cbranch_execnz .LBB9_3793
; %bb.1745:
	s_or_saveexec_b64 s[6:7], s[6:7]
	v_mov_b32_e32 v2, s10
	s_xor_b64 exec, exec, s[6:7]
	s_cbranch_execnz .LBB9_3796
.LBB9_1746:
	s_or_b64 exec, exec, s[6:7]
	s_and_saveexec_b64 s[6:7], s[4:5]
	s_cbranch_execz .LBB9_1748
.LBB9_1747:
	v_bfe_u32 v2, v8, 16, 3
	v_ffbh_u32_e32 v7, v2
	v_min_u32_e32 v7, 32, v7
	v_lshrrev_b32_e32 v3, 19, v8
	v_subrev_u32_e32 v10, 28, v7
	v_and_b32_e32 v3, 15, v3
	v_lshlrev_b32_sdwa v10, v10, v8 dst_sel:DWORD dst_unused:UNUSED_PAD src0_sel:DWORD src1_sel:WORD_1
	v_bfe_u32 v6, v8, 19, 4
	v_sub_u32_e32 v7, 29, v7
	v_and_b32_e32 v10, 7, v10
	v_cmp_eq_u16_e32 vcc, 0, v3
	v_cndmask_b32_e32 v2, v2, v10, vcc
	v_cndmask_b32_e32 v3, v6, v7, vcc
	v_lshlrev_b32_e32 v6, 8, v8
	v_mov_b32_e32 v7, 0x3b800000
	v_lshlrev_b32_e32 v2, 20, v2
	v_and_b32_e32 v6, 0x80000000, v6
	v_lshl_add_u32 v3, v3, 23, v7
	v_or3_b32 v2, v6, v3, v2
.LBB9_1748:
	s_or_b64 exec, exec, s[6:7]
	s_movk_i32 s4, 0xff
	v_and_b32_sdwa v3, v4, s4 dst_sel:DWORD dst_unused:UNUSED_PAD src0_sel:WORD_1 src1_sel:DWORD
	s_movk_i32 s4, 0x7f
	v_cmp_lt_i16_e32 vcc, s4, v3
	s_mov_b64 s[4:5], 0
                                        ; implicit-def: $sgpr10
	s_and_saveexec_b64 s[6:7], vcc
	s_xor_b64 s[6:7], exec, s[6:7]
	s_cbranch_execnz .LBB9_3797
; %bb.1749:
	s_or_saveexec_b64 s[6:7], s[6:7]
	v_mov_b32_e32 v6, s10
	s_xor_b64 exec, exec, s[6:7]
	s_cbranch_execnz .LBB9_3800
.LBB9_1750:
	s_or_b64 exec, exec, s[6:7]
	s_and_saveexec_b64 s[6:7], s[4:5]
	s_cbranch_execz .LBB9_1752
.LBB9_1751:
	v_bfe_u32 v3, v4, 16, 3
	v_ffbh_u32_e32 v10, v3
	v_min_u32_e32 v10, 32, v10
	v_lshrrev_b32_e32 v6, 19, v4
	v_subrev_u32_e32 v11, 28, v10
	v_and_b32_e32 v6, 15, v6
	v_lshlrev_b32_sdwa v11, v11, v4 dst_sel:DWORD dst_unused:UNUSED_PAD src0_sel:DWORD src1_sel:WORD_1
	v_bfe_u32 v7, v4, 19, 4
	v_sub_u32_e32 v10, 29, v10
	v_and_b32_e32 v11, 7, v11
	v_cmp_eq_u16_e32 vcc, 0, v6
	v_cndmask_b32_e32 v3, v3, v11, vcc
	v_cndmask_b32_e32 v6, v7, v10, vcc
	v_lshlrev_b32_e32 v7, 8, v4
	v_mov_b32_e32 v10, 0x3b800000
	v_lshlrev_b32_e32 v3, 20, v3
	v_and_b32_e32 v7, 0x80000000, v7
	v_lshl_add_u32 v6, v6, 23, v10
	v_or3_b32 v6, v7, v6, v3
.LBB9_1752:
	s_or_b64 exec, exec, s[6:7]
	s_nop 0
	v_mfma_f32_16x16x4f32 a[0:3], v2, v6, a[0:3]
	s_movk_i32 s4, 0x7f
	v_cmp_gt_i16_sdwa s[6:7], v8, s4 src0_sel:BYTE_3 src1_sel:DWORD
	s_mov_b64 s[4:5], 0
                                        ; implicit-def: $sgpr10
	s_and_saveexec_b64 s[8:9], s[6:7]
	s_xor_b64 s[6:7], exec, s[8:9]
	s_cbranch_execnz .LBB9_3801
; %bb.1753:
	s_or_saveexec_b64 s[6:7], s[6:7]
	v_mov_b32_e32 v2, s10
	s_xor_b64 exec, exec, s[6:7]
	s_cbranch_execnz .LBB9_3804
.LBB9_1754:
	s_or_b64 exec, exec, s[6:7]
	s_and_saveexec_b64 s[6:7], s[4:5]
	s_cbranch_execz .LBB9_1756
.LBB9_1755:
	v_bfe_u32 v2, v8, 24, 3
	v_ffbh_u32_e32 v10, v2
	v_min_u32_e32 v10, 32, v10
	v_lshrrev_b32_e32 v6, 27, v8
	v_subrev_u32_e32 v11, 28, v10
	v_and_b32_e32 v3, 0x80000000, v8
	v_and_b32_e32 v6, 15, v6
	v_bfe_u32 v7, v8, 27, 4
	v_lshlrev_b32_sdwa v8, v11, v8 dst_sel:DWORD dst_unused:UNUSED_PAD src0_sel:DWORD src1_sel:BYTE_3
	v_sub_u32_e32 v10, 29, v10
	v_and_b32_e32 v8, 7, v8
	v_cmp_eq_u16_e32 vcc, 0, v6
	v_cndmask_b32_e32 v2, v2, v8, vcc
	v_cndmask_b32_e32 v6, v7, v10, vcc
	v_mov_b32_e32 v7, 0x3b800000
	v_lshlrev_b32_e32 v2, 20, v2
	v_lshl_add_u32 v6, v6, 23, v7
	v_or3_b32 v2, v3, v6, v2
.LBB9_1756:
	s_or_b64 exec, exec, s[6:7]
	s_movk_i32 s4, 0x7f
	v_cmp_gt_i16_sdwa s[6:7], v4, s4 src0_sel:BYTE_3 src1_sel:DWORD
	s_mov_b64 s[4:5], 0
                                        ; implicit-def: $sgpr10
	s_and_saveexec_b64 s[8:9], s[6:7]
	s_xor_b64 s[6:7], exec, s[8:9]
	s_cbranch_execnz .LBB9_3805
; %bb.1757:
	s_or_saveexec_b64 s[6:7], s[6:7]
	v_mov_b32_e32 v3, s10
	s_xor_b64 exec, exec, s[6:7]
	s_cbranch_execnz .LBB9_3808
.LBB9_1758:
	s_or_b64 exec, exec, s[6:7]
	s_and_saveexec_b64 s[6:7], s[4:5]
	s_cbranch_execz .LBB9_1760
.LBB9_1759:
	v_bfe_u32 v3, v4, 24, 3
	v_ffbh_u32_e32 v10, v3
	v_min_u32_e32 v10, 32, v10
	v_lshrrev_b32_e32 v7, 27, v4
	v_subrev_u32_e32 v11, 28, v10
	v_and_b32_e32 v6, 0x80000000, v4
	v_and_b32_e32 v7, 15, v7
	v_bfe_u32 v8, v4, 27, 4
	v_lshlrev_b32_sdwa v4, v11, v4 dst_sel:DWORD dst_unused:UNUSED_PAD src0_sel:DWORD src1_sel:BYTE_3
	v_sub_u32_e32 v10, 29, v10
	v_and_b32_e32 v4, 7, v4
	v_cmp_eq_u16_e32 vcc, 0, v7
	v_cndmask_b32_e32 v3, v3, v4, vcc
	v_cndmask_b32_e32 v4, v8, v10, vcc
	v_mov_b32_e32 v7, 0x3b800000
	v_lshlrev_b32_e32 v3, 20, v3
	v_lshl_add_u32 v4, v4, 23, v7
	v_or3_b32 v3, v6, v4, v3
.LBB9_1760:
	s_or_b64 exec, exec, s[6:7]
	s_nop 0
	v_mfma_f32_16x16x4f32 a[0:3], v2, v3, a[0:3]
	s_movk_i32 s4, 0x7f
	v_cmp_gt_i16_sdwa s[6:7], v9, s4 src0_sel:BYTE_0 src1_sel:DWORD
	s_mov_b64 s[4:5], 0
                                        ; implicit-def: $sgpr10
	s_and_saveexec_b64 s[8:9], s[6:7]
	s_xor_b64 s[6:7], exec, s[8:9]
	s_cbranch_execnz .LBB9_3809
; %bb.1761:
	s_or_saveexec_b64 s[6:7], s[6:7]
	v_mov_b32_e32 v2, s10
	s_xor_b64 exec, exec, s[6:7]
	s_cbranch_execnz .LBB9_3812
.LBB9_1762:
	s_or_b64 exec, exec, s[6:7]
	s_and_saveexec_b64 s[6:7], s[4:5]
	s_cbranch_execz .LBB9_1764
.LBB9_1763:
	v_mov_b32_e32 v2, 8
	v_and_b32_e32 v3, 7, v9
	v_lshrrev_b32_sdwa v2, v2, v9 dst_sel:BYTE_1 dst_unused:UNUSED_PAD src0_sel:DWORD src1_sel:DWORD
	v_ffbh_u32_e32 v4, v3
	v_or_b32_sdwa v2, v9, v2 dst_sel:DWORD dst_unused:UNUSED_PAD src0_sel:BYTE_0 src1_sel:DWORD
	v_min_u32_e32 v4, 32, v4
	v_lshrrev_b16_e32 v2, 3, v2
	v_subrev_u32_e32 v6, 28, v4
	v_and_b32_e32 v2, 15, v2
	v_lshlrev_b32_e32 v6, v6, v9
	v_sub_u32_e32 v4, 29, v4
	v_and_b32_e32 v6, 7, v6
	v_cmp_eq_u16_e32 vcc, 0, v2
	v_cndmask_b32_e32 v3, v3, v6, vcc
	v_cndmask_b32_e32 v2, v2, v4, vcc
	v_lshlrev_b32_e32 v4, 24, v9
	v_mov_b32_e32 v6, 0x3b800000
	v_lshlrev_b32_e32 v3, 20, v3
	v_and_b32_e32 v4, 0x80000000, v4
	v_lshl_add_u32 v2, v2, 23, v6
	v_or3_b32 v2, v4, v2, v3
.LBB9_1764:
	s_or_b64 exec, exec, s[6:7]
	s_movk_i32 s4, 0x7f
	v_cmp_gt_i16_sdwa s[6:7], v5, s4 src0_sel:BYTE_0 src1_sel:DWORD
	s_mov_b64 s[4:5], 0
                                        ; implicit-def: $sgpr10
	s_and_saveexec_b64 s[8:9], s[6:7]
	s_xor_b64 s[6:7], exec, s[8:9]
	s_cbranch_execnz .LBB9_3813
; %bb.1765:
	s_or_saveexec_b64 s[6:7], s[6:7]
	v_mov_b32_e32 v3, s10
	s_xor_b64 exec, exec, s[6:7]
	s_cbranch_execnz .LBB9_3816
.LBB9_1766:
	s_or_b64 exec, exec, s[6:7]
	s_and_saveexec_b64 s[6:7], s[4:5]
	s_cbranch_execz .LBB9_1768
.LBB9_1767:
	v_mov_b32_e32 v3, 8
	v_and_b32_e32 v4, 7, v5
	v_lshrrev_b32_sdwa v3, v3, v5 dst_sel:BYTE_1 dst_unused:UNUSED_PAD src0_sel:DWORD src1_sel:DWORD
	v_ffbh_u32_e32 v6, v4
	v_or_b32_sdwa v3, v5, v3 dst_sel:DWORD dst_unused:UNUSED_PAD src0_sel:BYTE_0 src1_sel:DWORD
	v_min_u32_e32 v6, 32, v6
	v_lshrrev_b16_e32 v3, 3, v3
	v_subrev_u32_e32 v7, 28, v6
	v_and_b32_e32 v3, 15, v3
	v_lshlrev_b32_e32 v7, v7, v5
	v_sub_u32_e32 v6, 29, v6
	v_and_b32_e32 v7, 7, v7
	v_cmp_eq_u16_e32 vcc, 0, v3
	v_cndmask_b32_e32 v4, v4, v7, vcc
	v_cndmask_b32_e32 v3, v3, v6, vcc
	v_lshlrev_b32_e32 v6, 24, v5
	v_mov_b32_e32 v7, 0x3b800000
	v_lshlrev_b32_e32 v4, 20, v4
	v_and_b32_e32 v6, 0x80000000, v6
	v_lshl_add_u32 v3, v3, 23, v7
	v_or3_b32 v3, v6, v3, v4
.LBB9_1768:
	s_or_b64 exec, exec, s[6:7]
	s_nop 0
	v_mfma_f32_16x16x4f32 a[0:3], v2, v3, a[0:3]
	v_lshrrev_b32_e32 v3, 8, v9
	s_movk_i32 s4, 0x7f
	v_cmp_gt_i16_sdwa s[6:7], v3, s4 src0_sel:BYTE_0 src1_sel:DWORD
	s_mov_b64 s[4:5], 0
                                        ; implicit-def: $sgpr10
	s_and_saveexec_b64 s[8:9], s[6:7]
	s_xor_b64 s[6:7], exec, s[8:9]
	s_cbranch_execnz .LBB9_3817
; %bb.1769:
	s_or_saveexec_b64 s[6:7], s[6:7]
	v_mov_b32_e32 v2, s10
	s_xor_b64 exec, exec, s[6:7]
	s_cbranch_execnz .LBB9_3820
.LBB9_1770:
	s_or_b64 exec, exec, s[6:7]
	s_and_saveexec_b64 s[6:7], s[4:5]
	s_cbranch_execz .LBB9_1772
.LBB9_1771:
	v_bfe_u32 v2, v9, 8, 3
	v_ffbh_u32_e32 v6, v2
	v_min_u32_e32 v6, 32, v6
	v_lshrrev_b16_e32 v4, 3, v3
	v_subrev_u32_e32 v7, 28, v6
	v_and_b32_e32 v4, 15, v4
	v_lshlrev_b32_e32 v3, v7, v3
	v_sub_u32_e32 v6, 29, v6
	v_and_b32_e32 v3, 7, v3
	v_cmp_eq_u16_e32 vcc, 0, v4
	v_cndmask_b32_e32 v2, v2, v3, vcc
	v_cndmask_b32_e32 v3, v4, v6, vcc
	v_lshlrev_b32_e32 v4, 16, v9
	v_mov_b32_e32 v6, 0x3b800000
	v_lshlrev_b32_e32 v2, 20, v2
	v_and_b32_e32 v4, 0x80000000, v4
	v_lshl_add_u32 v3, v3, 23, v6
	v_or3_b32 v2, v4, v3, v2
.LBB9_1772:
	s_or_b64 exec, exec, s[6:7]
	v_lshrrev_b32_e32 v3, 8, v5
	s_movk_i32 s4, 0x7f
	v_cmp_gt_i16_sdwa s[6:7], v3, s4 src0_sel:BYTE_0 src1_sel:DWORD
	s_mov_b64 s[4:5], 0
                                        ; implicit-def: $sgpr10
	s_and_saveexec_b64 s[8:9], s[6:7]
	s_xor_b64 s[6:7], exec, s[8:9]
	s_cbranch_execnz .LBB9_3821
; %bb.1773:
	s_or_saveexec_b64 s[6:7], s[6:7]
	v_mov_b32_e32 v4, s10
	s_xor_b64 exec, exec, s[6:7]
	s_cbranch_execnz .LBB9_3824
.LBB9_1774:
	s_or_b64 exec, exec, s[6:7]
	s_and_saveexec_b64 s[6:7], s[4:5]
	s_cbranch_execz .LBB9_1776
.LBB9_1775:
	v_bfe_u32 v4, v5, 8, 3
	v_ffbh_u32_e32 v7, v4
	v_min_u32_e32 v7, 32, v7
	v_lshrrev_b16_e32 v6, 3, v3
	v_subrev_u32_e32 v8, 28, v7
	v_and_b32_e32 v6, 15, v6
	v_lshlrev_b32_e32 v3, v8, v3
	v_sub_u32_e32 v7, 29, v7
	v_and_b32_e32 v3, 7, v3
	v_cmp_eq_u16_e32 vcc, 0, v6
	v_cndmask_b32_e32 v3, v4, v3, vcc
	v_cndmask_b32_e32 v4, v6, v7, vcc
	v_lshlrev_b32_e32 v6, 16, v5
	v_mov_b32_e32 v7, 0x3b800000
	v_lshlrev_b32_e32 v3, 20, v3
	v_and_b32_e32 v6, 0x80000000, v6
	v_lshl_add_u32 v4, v4, 23, v7
	v_or3_b32 v4, v6, v4, v3
.LBB9_1776:
	s_or_b64 exec, exec, s[6:7]
	s_nop 0
	v_mfma_f32_16x16x4f32 a[0:3], v2, v4, a[0:3]
	s_movk_i32 s4, 0xff
	v_and_b32_sdwa v3, v9, s4 dst_sel:DWORD dst_unused:UNUSED_PAD src0_sel:WORD_1 src1_sel:DWORD
	s_movk_i32 s4, 0x7f
	v_cmp_lt_i16_e32 vcc, s4, v3
	s_mov_b64 s[4:5], 0
                                        ; implicit-def: $sgpr10
	s_and_saveexec_b64 s[6:7], vcc
	s_xor_b64 s[6:7], exec, s[6:7]
	s_cbranch_execnz .LBB9_3825
; %bb.1777:
	s_or_saveexec_b64 s[6:7], s[6:7]
	v_mov_b32_e32 v2, s10
	s_xor_b64 exec, exec, s[6:7]
	s_cbranch_execnz .LBB9_3828
.LBB9_1778:
	s_or_b64 exec, exec, s[6:7]
	s_and_saveexec_b64 s[6:7], s[4:5]
	s_cbranch_execz .LBB9_1780
.LBB9_1779:
	v_bfe_u32 v2, v9, 16, 3
	v_ffbh_u32_e32 v6, v2
	v_min_u32_e32 v6, 32, v6
	v_lshrrev_b32_e32 v3, 19, v9
	v_subrev_u32_e32 v7, 28, v6
	v_and_b32_e32 v3, 15, v3
	v_lshlrev_b32_sdwa v7, v7, v9 dst_sel:DWORD dst_unused:UNUSED_PAD src0_sel:DWORD src1_sel:WORD_1
	v_bfe_u32 v4, v9, 19, 4
	v_sub_u32_e32 v6, 29, v6
	v_and_b32_e32 v7, 7, v7
	v_cmp_eq_u16_e32 vcc, 0, v3
	v_cndmask_b32_e32 v2, v2, v7, vcc
	v_cndmask_b32_e32 v3, v4, v6, vcc
	v_lshlrev_b32_e32 v4, 8, v9
	v_mov_b32_e32 v6, 0x3b800000
	v_lshlrev_b32_e32 v2, 20, v2
	v_and_b32_e32 v4, 0x80000000, v4
	v_lshl_add_u32 v3, v3, 23, v6
	v_or3_b32 v2, v4, v3, v2
.LBB9_1780:
	s_or_b64 exec, exec, s[6:7]
	s_movk_i32 s4, 0xff
	v_and_b32_sdwa v3, v5, s4 dst_sel:DWORD dst_unused:UNUSED_PAD src0_sel:WORD_1 src1_sel:DWORD
	s_movk_i32 s4, 0x7f
	v_cmp_lt_i16_e32 vcc, s4, v3
	s_mov_b64 s[4:5], 0
                                        ; implicit-def: $sgpr10
	s_and_saveexec_b64 s[6:7], vcc
	s_xor_b64 s[6:7], exec, s[6:7]
	s_cbranch_execnz .LBB9_3829
; %bb.1781:
	s_or_saveexec_b64 s[6:7], s[6:7]
	v_mov_b32_e32 v4, s10
	s_xor_b64 exec, exec, s[6:7]
	s_cbranch_execnz .LBB9_3832
.LBB9_1782:
	s_or_b64 exec, exec, s[6:7]
	s_and_saveexec_b64 s[6:7], s[4:5]
	s_cbranch_execz .LBB9_1784
.LBB9_1783:
	v_bfe_u32 v3, v5, 16, 3
	v_ffbh_u32_e32 v7, v3
	v_min_u32_e32 v7, 32, v7
	v_lshrrev_b32_e32 v4, 19, v5
	v_subrev_u32_e32 v8, 28, v7
	v_and_b32_e32 v4, 15, v4
	v_lshlrev_b32_sdwa v8, v8, v5 dst_sel:DWORD dst_unused:UNUSED_PAD src0_sel:DWORD src1_sel:WORD_1
	v_bfe_u32 v6, v5, 19, 4
	v_sub_u32_e32 v7, 29, v7
	v_and_b32_e32 v8, 7, v8
	v_cmp_eq_u16_e32 vcc, 0, v4
	v_cndmask_b32_e32 v3, v3, v8, vcc
	v_cndmask_b32_e32 v4, v6, v7, vcc
	v_lshlrev_b32_e32 v6, 8, v5
	v_mov_b32_e32 v7, 0x3b800000
	v_lshlrev_b32_e32 v3, 20, v3
	v_and_b32_e32 v6, 0x80000000, v6
	v_lshl_add_u32 v4, v4, 23, v7
	v_or3_b32 v4, v6, v4, v3
.LBB9_1784:
	s_or_b64 exec, exec, s[6:7]
	s_nop 0
	v_mfma_f32_16x16x4f32 a[0:3], v2, v4, a[0:3]
	s_movk_i32 s4, 0x7f
	v_cmp_gt_i16_sdwa s[6:7], v9, s4 src0_sel:BYTE_3 src1_sel:DWORD
	s_mov_b64 s[4:5], 0
                                        ; implicit-def: $sgpr10
	s_and_saveexec_b64 s[8:9], s[6:7]
	s_xor_b64 s[6:7], exec, s[8:9]
	s_cbranch_execnz .LBB9_3833
; %bb.1785:
	s_or_saveexec_b64 s[6:7], s[6:7]
	v_mov_b32_e32 v2, s10
	s_xor_b64 exec, exec, s[6:7]
	s_cbranch_execnz .LBB9_3836
.LBB9_1786:
	s_or_b64 exec, exec, s[6:7]
	s_and_saveexec_b64 s[6:7], s[4:5]
	s_cbranch_execz .LBB9_1788
.LBB9_1787:
	v_bfe_u32 v2, v9, 24, 3
	v_ffbh_u32_e32 v7, v2
	v_min_u32_e32 v7, 32, v7
	v_lshrrev_b32_e32 v4, 27, v9
	v_subrev_u32_e32 v8, 28, v7
	v_and_b32_e32 v4, 15, v4
	v_lshlrev_b32_sdwa v8, v8, v9 dst_sel:DWORD dst_unused:UNUSED_PAD src0_sel:DWORD src1_sel:BYTE_3
	v_bfe_u32 v6, v9, 27, 4
	v_sub_u32_e32 v7, 29, v7
	v_and_b32_e32 v8, 7, v8
	v_cmp_eq_u16_e32 vcc, 0, v4
	v_cndmask_b32_e32 v2, v2, v8, vcc
	v_cndmask_b32_e32 v4, v6, v7, vcc
	v_mov_b32_e32 v6, 0x3b800000
	v_and_b32_e32 v3, 0x80000000, v9
	v_lshlrev_b32_e32 v2, 20, v2
	v_lshl_add_u32 v4, v4, 23, v6
	v_or3_b32 v2, v3, v4, v2
.LBB9_1788:
	s_or_b64 exec, exec, s[6:7]
	s_movk_i32 s4, 0x7f
	v_cmp_gt_i16_sdwa s[6:7], v5, s4 src0_sel:BYTE_3 src1_sel:DWORD
	s_mov_b64 s[4:5], 0
                                        ; implicit-def: $sgpr10
	s_and_saveexec_b64 s[8:9], s[6:7]
	s_xor_b64 s[6:7], exec, s[8:9]
	s_cbranch_execnz .LBB9_3837
; %bb.1789:
	s_or_saveexec_b64 s[6:7], s[6:7]
	v_mov_b32_e32 v3, s10
	s_xor_b64 exec, exec, s[6:7]
	s_cbranch_execnz .LBB9_3840
.LBB9_1790:
	s_or_b64 exec, exec, s[6:7]
	s_and_saveexec_b64 s[6:7], s[4:5]
	s_cbranch_execz .LBB9_1792
.LBB9_1791:
	v_bfe_u32 v3, v5, 24, 3
	v_ffbh_u32_e32 v8, v3
	v_min_u32_e32 v8, 32, v8
	v_lshrrev_b32_e32 v6, 27, v5
	v_subrev_u32_e32 v9, 28, v8
	v_and_b32_e32 v4, 0x80000000, v5
	v_and_b32_e32 v6, 15, v6
	v_bfe_u32 v7, v5, 27, 4
	v_lshlrev_b32_sdwa v5, v9, v5 dst_sel:DWORD dst_unused:UNUSED_PAD src0_sel:DWORD src1_sel:BYTE_3
	v_sub_u32_e32 v8, 29, v8
	v_and_b32_e32 v5, 7, v5
	v_cmp_eq_u16_e32 vcc, 0, v6
	v_cndmask_b32_e32 v3, v3, v5, vcc
	v_cndmask_b32_e32 v5, v7, v8, vcc
	v_mov_b32_e32 v6, 0x3b800000
	v_lshlrev_b32_e32 v3, 20, v3
	v_lshl_add_u32 v5, v5, 23, v6
	v_or3_b32 v3, v4, v5, v3
.LBB9_1792:
	s_or_b64 exec, exec, s[6:7]
	s_nop 0
	v_mfma_f32_16x16x4f32 a[0:3], v2, v3, a[0:3]
	s_movk_i32 s4, 0x7f
                                        ; implicit-def: $sgpr10
	s_nop 7
	s_nop 1
	flat_store_dwordx4 v[18:19], a[0:3] offset:992
	flat_load_dwordx4 v[18:21], v[0:1] offset:16
	s_nop 0
	flat_load_dwordx2 v[16:17], v[0:1] offset:32
	s_waitcnt vmcnt(0) lgkmcnt(0)
	flat_load_dwordx4 v[12:15], v[18:19] offset:32
	flat_load_dwordx4 v[4:7], v[18:19] offset:48
	;; [unrolled: 1-line block ×4, first 2 shown]
	s_waitcnt vmcnt(0) lgkmcnt(0)
	v_cmp_gt_i16_sdwa s[6:7], v12, s4 src0_sel:BYTE_0 src1_sel:DWORD
	s_mov_b64 s[4:5], 0
	s_and_saveexec_b64 s[8:9], s[6:7]
	s_xor_b64 s[6:7], exec, s[8:9]
	s_cbranch_execnz .LBB9_3841
; %bb.1793:
	s_or_saveexec_b64 s[6:7], s[6:7]
	v_mov_b32_e32 v18, s10
	s_xor_b64 exec, exec, s[6:7]
	s_cbranch_execnz .LBB9_3844
.LBB9_1794:
	s_or_b64 exec, exec, s[6:7]
	s_and_saveexec_b64 s[6:7], s[4:5]
	s_cbranch_execz .LBB9_1796
.LBB9_1795:
	v_and_b32_e32 v18, 7, v12
	v_ffbh_u32_e32 v20, v18
	v_min_u32_e32 v20, 32, v20
	v_lshrrev_b16_e32 v19, 3, v12
	v_subrev_u32_e32 v21, 28, v20
	v_and_b32_e32 v19, 15, v19
	v_lshlrev_b32_e32 v21, v21, v12
	v_sub_u32_e32 v20, 29, v20
	v_and_b32_e32 v21, 7, v21
	v_cmp_eq_u16_e32 vcc, 0, v19
	v_cndmask_b32_e32 v18, v18, v21, vcc
	v_cndmask_b32_e32 v19, v19, v20, vcc
	v_lshlrev_b32_e32 v20, 24, v12
	v_mov_b32_e32 v21, 0x3b800000
	v_lshlrev_b32_e32 v18, 20, v18
	v_and_b32_e32 v20, 0x80000000, v20
	v_lshl_add_u32 v19, v19, 23, v21
	v_or3_b32 v18, v20, v19, v18
.LBB9_1796:
	s_or_b64 exec, exec, s[6:7]
	s_movk_i32 s4, 0x7f
	v_cmp_gt_i16_sdwa s[6:7], v8, s4 src0_sel:BYTE_0 src1_sel:DWORD
	s_mov_b64 s[4:5], 0
                                        ; implicit-def: $sgpr10
	s_and_saveexec_b64 s[8:9], s[6:7]
	s_xor_b64 s[6:7], exec, s[8:9]
	s_cbranch_execnz .LBB9_3845
; %bb.1797:
	s_or_saveexec_b64 s[6:7], s[6:7]
	v_mov_b32_e32 v19, s10
	s_xor_b64 exec, exec, s[6:7]
	s_cbranch_execnz .LBB9_3848
.LBB9_1798:
	s_or_b64 exec, exec, s[6:7]
	s_and_saveexec_b64 s[6:7], s[4:5]
	s_cbranch_execz .LBB9_1800
.LBB9_1799:
	v_and_b32_e32 v19, 7, v8
	v_ffbh_u32_e32 v21, v19
	v_min_u32_e32 v21, 32, v21
	v_lshrrev_b16_e32 v20, 3, v8
	v_subrev_u32_e32 v22, 28, v21
	v_and_b32_e32 v20, 15, v20
	v_lshlrev_b32_e32 v22, v22, v8
	v_sub_u32_e32 v21, 29, v21
	v_and_b32_e32 v22, 7, v22
	v_cmp_eq_u16_e32 vcc, 0, v20
	v_cndmask_b32_e32 v19, v19, v22, vcc
	v_cndmask_b32_e32 v20, v20, v21, vcc
	v_lshlrev_b32_e32 v21, 24, v8
	v_mov_b32_e32 v22, 0x3b800000
	v_lshlrev_b32_e32 v19, 20, v19
	v_and_b32_e32 v21, 0x80000000, v21
	v_lshl_add_u32 v20, v20, 23, v22
	v_or3_b32 v19, v21, v20, v19
.LBB9_1800:
	s_or_b64 exec, exec, s[6:7]
	flat_load_dwordx4 a[0:3], v[16:17] offset:1008
	s_movk_i32 s4, 0x7f
                                        ; implicit-def: $sgpr10
	s_waitcnt vmcnt(0) lgkmcnt(0)
	v_mfma_f32_16x16x4f32 a[0:3], v18, v19, a[0:3]
	v_lshrrev_b32_e32 v19, 8, v12
	v_cmp_gt_i16_sdwa s[6:7], v19, s4 src0_sel:BYTE_0 src1_sel:DWORD
	s_mov_b64 s[4:5], 0
	s_and_saveexec_b64 s[8:9], s[6:7]
	s_xor_b64 s[6:7], exec, s[8:9]
	s_cbranch_execnz .LBB9_3849
; %bb.1801:
	s_or_saveexec_b64 s[6:7], s[6:7]
	v_mov_b32_e32 v18, s10
	s_xor_b64 exec, exec, s[6:7]
	s_cbranch_execnz .LBB9_3852
.LBB9_1802:
	s_or_b64 exec, exec, s[6:7]
	s_and_saveexec_b64 s[6:7], s[4:5]
	s_cbranch_execz .LBB9_1804
.LBB9_1803:
	v_bfe_u32 v18, v12, 8, 3
	v_ffbh_u32_e32 v21, v18
	v_min_u32_e32 v21, 32, v21
	v_lshrrev_b16_e32 v20, 3, v19
	v_subrev_u32_e32 v22, 28, v21
	v_and_b32_e32 v20, 15, v20
	v_lshlrev_b32_e32 v19, v22, v19
	v_sub_u32_e32 v21, 29, v21
	v_and_b32_e32 v19, 7, v19
	v_cmp_eq_u16_e32 vcc, 0, v20
	v_cndmask_b32_e32 v18, v18, v19, vcc
	v_cndmask_b32_e32 v19, v20, v21, vcc
	v_lshlrev_b32_e32 v20, 16, v12
	v_mov_b32_e32 v21, 0x3b800000
	v_lshlrev_b32_e32 v18, 20, v18
	v_and_b32_e32 v20, 0x80000000, v20
	v_lshl_add_u32 v19, v19, 23, v21
	v_or3_b32 v18, v20, v19, v18
.LBB9_1804:
	s_or_b64 exec, exec, s[6:7]
	v_lshrrev_b32_e32 v19, 8, v8
	s_movk_i32 s4, 0x7f
	v_cmp_gt_i16_sdwa s[6:7], v19, s4 src0_sel:BYTE_0 src1_sel:DWORD
	s_mov_b64 s[4:5], 0
                                        ; implicit-def: $sgpr10
	s_and_saveexec_b64 s[8:9], s[6:7]
	s_xor_b64 s[6:7], exec, s[8:9]
	s_cbranch_execnz .LBB9_3853
; %bb.1805:
	s_or_saveexec_b64 s[6:7], s[6:7]
	v_mov_b32_e32 v20, s10
	s_xor_b64 exec, exec, s[6:7]
	s_cbranch_execnz .LBB9_3856
.LBB9_1806:
	s_or_b64 exec, exec, s[6:7]
	s_and_saveexec_b64 s[6:7], s[4:5]
	s_cbranch_execz .LBB9_1808
.LBB9_1807:
	v_bfe_u32 v20, v8, 8, 3
	v_ffbh_u32_e32 v22, v20
	v_min_u32_e32 v22, 32, v22
	v_lshrrev_b16_e32 v21, 3, v19
	v_subrev_u32_e32 v23, 28, v22
	v_and_b32_e32 v21, 15, v21
	v_lshlrev_b32_e32 v19, v23, v19
	v_sub_u32_e32 v22, 29, v22
	v_and_b32_e32 v19, 7, v19
	v_cmp_eq_u16_e32 vcc, 0, v21
	v_cndmask_b32_e32 v19, v20, v19, vcc
	v_cndmask_b32_e32 v20, v21, v22, vcc
	v_lshlrev_b32_e32 v21, 16, v8
	v_mov_b32_e32 v22, 0x3b800000
	v_lshlrev_b32_e32 v19, 20, v19
	v_and_b32_e32 v21, 0x80000000, v21
	v_lshl_add_u32 v20, v20, 23, v22
	v_or3_b32 v20, v21, v20, v19
.LBB9_1808:
	s_or_b64 exec, exec, s[6:7]
	s_nop 0
	v_mfma_f32_16x16x4f32 a[0:3], v18, v20, a[0:3]
	s_movk_i32 s4, 0xff
	v_and_b32_sdwa v19, v12, s4 dst_sel:DWORD dst_unused:UNUSED_PAD src0_sel:WORD_1 src1_sel:DWORD
	s_movk_i32 s4, 0x7f
	v_cmp_lt_i16_e32 vcc, s4, v19
	s_mov_b64 s[4:5], 0
                                        ; implicit-def: $sgpr10
	s_and_saveexec_b64 s[6:7], vcc
	s_xor_b64 s[6:7], exec, s[6:7]
	s_cbranch_execnz .LBB9_3857
; %bb.1809:
	s_or_saveexec_b64 s[6:7], s[6:7]
	v_mov_b32_e32 v18, s10
	s_xor_b64 exec, exec, s[6:7]
	s_cbranch_execnz .LBB9_3860
.LBB9_1810:
	s_or_b64 exec, exec, s[6:7]
	s_and_saveexec_b64 s[6:7], s[4:5]
	s_cbranch_execz .LBB9_1812
.LBB9_1811:
	v_bfe_u32 v18, v12, 16, 3
	v_ffbh_u32_e32 v21, v18
	v_min_u32_e32 v21, 32, v21
	v_lshrrev_b32_e32 v19, 19, v12
	v_subrev_u32_e32 v22, 28, v21
	v_and_b32_e32 v19, 15, v19
	v_lshlrev_b32_sdwa v22, v22, v12 dst_sel:DWORD dst_unused:UNUSED_PAD src0_sel:DWORD src1_sel:WORD_1
	v_bfe_u32 v20, v12, 19, 4
	v_sub_u32_e32 v21, 29, v21
	v_and_b32_e32 v22, 7, v22
	v_cmp_eq_u16_e32 vcc, 0, v19
	v_cndmask_b32_e32 v18, v18, v22, vcc
	v_cndmask_b32_e32 v19, v20, v21, vcc
	v_lshlrev_b32_e32 v20, 8, v12
	v_mov_b32_e32 v21, 0x3b800000
	v_lshlrev_b32_e32 v18, 20, v18
	v_and_b32_e32 v20, 0x80000000, v20
	v_lshl_add_u32 v19, v19, 23, v21
	v_or3_b32 v18, v20, v19, v18
.LBB9_1812:
	s_or_b64 exec, exec, s[6:7]
	s_movk_i32 s4, 0xff
	v_and_b32_sdwa v19, v8, s4 dst_sel:DWORD dst_unused:UNUSED_PAD src0_sel:WORD_1 src1_sel:DWORD
	s_movk_i32 s4, 0x7f
	v_cmp_lt_i16_e32 vcc, s4, v19
	s_mov_b64 s[4:5], 0
                                        ; implicit-def: $sgpr10
	s_and_saveexec_b64 s[6:7], vcc
	s_xor_b64 s[6:7], exec, s[6:7]
	s_cbranch_execnz .LBB9_3861
; %bb.1813:
	s_or_saveexec_b64 s[6:7], s[6:7]
	v_mov_b32_e32 v20, s10
	s_xor_b64 exec, exec, s[6:7]
	s_cbranch_execnz .LBB9_3864
.LBB9_1814:
	s_or_b64 exec, exec, s[6:7]
	s_and_saveexec_b64 s[6:7], s[4:5]
	s_cbranch_execz .LBB9_1816
.LBB9_1815:
	v_bfe_u32 v19, v8, 16, 3
	v_ffbh_u32_e32 v22, v19
	v_min_u32_e32 v22, 32, v22
	v_lshrrev_b32_e32 v20, 19, v8
	v_subrev_u32_e32 v23, 28, v22
	v_and_b32_e32 v20, 15, v20
	v_lshlrev_b32_sdwa v23, v23, v8 dst_sel:DWORD dst_unused:UNUSED_PAD src0_sel:DWORD src1_sel:WORD_1
	v_bfe_u32 v21, v8, 19, 4
	v_sub_u32_e32 v22, 29, v22
	v_and_b32_e32 v23, 7, v23
	v_cmp_eq_u16_e32 vcc, 0, v20
	v_cndmask_b32_e32 v19, v19, v23, vcc
	v_cndmask_b32_e32 v20, v21, v22, vcc
	v_lshlrev_b32_e32 v21, 8, v8
	v_mov_b32_e32 v22, 0x3b800000
	v_lshlrev_b32_e32 v19, 20, v19
	v_and_b32_e32 v21, 0x80000000, v21
	v_lshl_add_u32 v20, v20, 23, v22
	v_or3_b32 v20, v21, v20, v19
.LBB9_1816:
	s_or_b64 exec, exec, s[6:7]
	s_nop 0
	v_mfma_f32_16x16x4f32 a[0:3], v18, v20, a[0:3]
	s_movk_i32 s4, 0x7f
	v_cmp_gt_i16_sdwa s[6:7], v12, s4 src0_sel:BYTE_3 src1_sel:DWORD
	s_mov_b64 s[4:5], 0
                                        ; implicit-def: $sgpr10
	s_and_saveexec_b64 s[8:9], s[6:7]
	s_xor_b64 s[6:7], exec, s[8:9]
	s_cbranch_execnz .LBB9_3865
; %bb.1817:
	s_or_saveexec_b64 s[6:7], s[6:7]
	v_mov_b32_e32 v18, s10
	s_xor_b64 exec, exec, s[6:7]
	s_cbranch_execnz .LBB9_3868
.LBB9_1818:
	s_or_b64 exec, exec, s[6:7]
	s_and_saveexec_b64 s[6:7], s[4:5]
	s_cbranch_execz .LBB9_1820
.LBB9_1819:
	v_bfe_u32 v18, v12, 24, 3
	v_ffbh_u32_e32 v22, v18
	v_min_u32_e32 v22, 32, v22
	v_lshrrev_b32_e32 v20, 27, v12
	v_subrev_u32_e32 v23, 28, v22
	v_and_b32_e32 v19, 0x80000000, v12
	v_and_b32_e32 v20, 15, v20
	v_bfe_u32 v21, v12, 27, 4
	v_lshlrev_b32_sdwa v12, v23, v12 dst_sel:DWORD dst_unused:UNUSED_PAD src0_sel:DWORD src1_sel:BYTE_3
	v_sub_u32_e32 v22, 29, v22
	v_and_b32_e32 v12, 7, v12
	v_cmp_eq_u16_e32 vcc, 0, v20
	v_cndmask_b32_e32 v12, v18, v12, vcc
	v_cndmask_b32_e32 v18, v21, v22, vcc
	v_mov_b32_e32 v20, 0x3b800000
	v_lshlrev_b32_e32 v12, 20, v12
	v_lshl_add_u32 v18, v18, 23, v20
	v_or3_b32 v18, v19, v18, v12
.LBB9_1820:
	s_or_b64 exec, exec, s[6:7]
	s_movk_i32 s4, 0x7f
	v_cmp_gt_i16_sdwa s[6:7], v8, s4 src0_sel:BYTE_3 src1_sel:DWORD
	s_mov_b64 s[4:5], 0
                                        ; implicit-def: $sgpr10
	s_and_saveexec_b64 s[8:9], s[6:7]
	s_xor_b64 s[6:7], exec, s[8:9]
	s_cbranch_execnz .LBB9_3869
; %bb.1821:
	s_or_saveexec_b64 s[6:7], s[6:7]
	v_mov_b32_e32 v12, s10
	s_xor_b64 exec, exec, s[6:7]
	s_cbranch_execnz .LBB9_3872
.LBB9_1822:
	s_or_b64 exec, exec, s[6:7]
	s_and_saveexec_b64 s[6:7], s[4:5]
	s_cbranch_execz .LBB9_1824
.LBB9_1823:
	v_bfe_u32 v12, v8, 24, 3
	v_ffbh_u32_e32 v22, v12
	v_min_u32_e32 v22, 32, v22
	v_lshrrev_b32_e32 v20, 27, v8
	v_subrev_u32_e32 v23, 28, v22
	v_and_b32_e32 v19, 0x80000000, v8
	v_and_b32_e32 v20, 15, v20
	v_bfe_u32 v21, v8, 27, 4
	v_lshlrev_b32_sdwa v8, v23, v8 dst_sel:DWORD dst_unused:UNUSED_PAD src0_sel:DWORD src1_sel:BYTE_3
	v_sub_u32_e32 v22, 29, v22
	v_and_b32_e32 v8, 7, v8
	v_cmp_eq_u16_e32 vcc, 0, v20
	v_cndmask_b32_e32 v8, v12, v8, vcc
	v_cndmask_b32_e32 v12, v21, v22, vcc
	v_mov_b32_e32 v20, 0x3b800000
	v_lshlrev_b32_e32 v8, 20, v8
	v_lshl_add_u32 v12, v12, 23, v20
	v_or3_b32 v12, v19, v12, v8
.LBB9_1824:
	s_or_b64 exec, exec, s[6:7]
	s_nop 0
	v_mfma_f32_16x16x4f32 a[0:3], v18, v12, a[0:3]
	s_movk_i32 s4, 0x7f
	v_cmp_gt_i16_sdwa s[6:7], v13, s4 src0_sel:BYTE_0 src1_sel:DWORD
	s_mov_b64 s[4:5], 0
                                        ; implicit-def: $sgpr10
	s_and_saveexec_b64 s[8:9], s[6:7]
	s_xor_b64 s[6:7], exec, s[8:9]
	s_cbranch_execnz .LBB9_3873
; %bb.1825:
	s_or_saveexec_b64 s[6:7], s[6:7]
	v_mov_b32_e32 v8, s10
	s_xor_b64 exec, exec, s[6:7]
	s_cbranch_execnz .LBB9_3876
.LBB9_1826:
	s_or_b64 exec, exec, s[6:7]
	s_and_saveexec_b64 s[6:7], s[4:5]
	s_cbranch_execz .LBB9_1828
.LBB9_1827:
	v_and_b32_e32 v8, 7, v13
	v_ffbh_u32_e32 v18, v8
	v_min_u32_e32 v18, 32, v18
	v_lshrrev_b16_e32 v12, 3, v13
	v_subrev_u32_e32 v19, 28, v18
	v_and_b32_e32 v12, 15, v12
	v_lshlrev_b32_e32 v19, v19, v13
	v_sub_u32_e32 v18, 29, v18
	v_and_b32_e32 v19, 7, v19
	v_cmp_eq_u16_e32 vcc, 0, v12
	v_cndmask_b32_e32 v8, v8, v19, vcc
	v_cndmask_b32_e32 v12, v12, v18, vcc
	v_lshlrev_b32_e32 v18, 24, v13
	v_mov_b32_e32 v19, 0x3b800000
	v_lshlrev_b32_e32 v8, 20, v8
	v_and_b32_e32 v18, 0x80000000, v18
	v_lshl_add_u32 v12, v12, 23, v19
	v_or3_b32 v8, v18, v12, v8
.LBB9_1828:
	s_or_b64 exec, exec, s[6:7]
	s_movk_i32 s4, 0x7f
	v_cmp_gt_i16_sdwa s[6:7], v9, s4 src0_sel:BYTE_0 src1_sel:DWORD
	s_mov_b64 s[4:5], 0
                                        ; implicit-def: $sgpr10
	s_and_saveexec_b64 s[8:9], s[6:7]
	s_xor_b64 s[6:7], exec, s[8:9]
	s_cbranch_execnz .LBB9_3877
; %bb.1829:
	s_or_saveexec_b64 s[6:7], s[6:7]
	v_mov_b32_e32 v12, s10
	s_xor_b64 exec, exec, s[6:7]
	s_cbranch_execnz .LBB9_3880
.LBB9_1830:
	s_or_b64 exec, exec, s[6:7]
	s_and_saveexec_b64 s[6:7], s[4:5]
	s_cbranch_execz .LBB9_1832
.LBB9_1831:
	v_and_b32_e32 v12, 7, v9
	v_ffbh_u32_e32 v19, v12
	v_min_u32_e32 v19, 32, v19
	v_lshrrev_b16_e32 v18, 3, v9
	v_subrev_u32_e32 v20, 28, v19
	v_and_b32_e32 v18, 15, v18
	v_lshlrev_b32_e32 v20, v20, v9
	v_sub_u32_e32 v19, 29, v19
	v_and_b32_e32 v20, 7, v20
	v_cmp_eq_u16_e32 vcc, 0, v18
	v_cndmask_b32_e32 v12, v12, v20, vcc
	v_cndmask_b32_e32 v18, v18, v19, vcc
	v_lshlrev_b32_e32 v19, 24, v9
	v_mov_b32_e32 v20, 0x3b800000
	v_lshlrev_b32_e32 v12, 20, v12
	v_and_b32_e32 v19, 0x80000000, v19
	v_lshl_add_u32 v18, v18, 23, v20
	v_or3_b32 v12, v19, v18, v12
.LBB9_1832:
	s_or_b64 exec, exec, s[6:7]
	s_nop 0
	v_mfma_f32_16x16x4f32 a[0:3], v8, v12, a[0:3]
	v_lshrrev_b32_e32 v12, 8, v13
	s_movk_i32 s4, 0x7f
	v_cmp_gt_i16_sdwa s[6:7], v12, s4 src0_sel:BYTE_0 src1_sel:DWORD
	s_mov_b64 s[4:5], 0
                                        ; implicit-def: $sgpr10
	s_and_saveexec_b64 s[8:9], s[6:7]
	s_xor_b64 s[6:7], exec, s[8:9]
	s_cbranch_execnz .LBB9_3881
; %bb.1833:
	s_or_saveexec_b64 s[6:7], s[6:7]
	v_mov_b32_e32 v8, s10
	s_xor_b64 exec, exec, s[6:7]
	s_cbranch_execnz .LBB9_3884
.LBB9_1834:
	s_or_b64 exec, exec, s[6:7]
	s_and_saveexec_b64 s[6:7], s[4:5]
	s_cbranch_execz .LBB9_1836
.LBB9_1835:
	v_bfe_u32 v8, v13, 8, 3
	v_ffbh_u32_e32 v19, v8
	v_min_u32_e32 v19, 32, v19
	v_lshrrev_b16_e32 v18, 3, v12
	v_subrev_u32_e32 v20, 28, v19
	v_and_b32_e32 v18, 15, v18
	v_lshlrev_b32_e32 v12, v20, v12
	v_sub_u32_e32 v19, 29, v19
	v_and_b32_e32 v12, 7, v12
	v_cmp_eq_u16_e32 vcc, 0, v18
	v_cndmask_b32_e32 v8, v8, v12, vcc
	v_cndmask_b32_e32 v12, v18, v19, vcc
	v_lshlrev_b32_e32 v18, 16, v13
	v_mov_b32_e32 v19, 0x3b800000
	v_lshlrev_b32_e32 v8, 20, v8
	v_and_b32_e32 v18, 0x80000000, v18
	v_lshl_add_u32 v12, v12, 23, v19
	v_or3_b32 v8, v18, v12, v8
.LBB9_1836:
	s_or_b64 exec, exec, s[6:7]
	v_lshrrev_b32_e32 v12, 8, v9
	s_movk_i32 s4, 0x7f
	v_cmp_gt_i16_sdwa s[6:7], v12, s4 src0_sel:BYTE_0 src1_sel:DWORD
	s_mov_b64 s[4:5], 0
                                        ; implicit-def: $sgpr10
	s_and_saveexec_b64 s[8:9], s[6:7]
	s_xor_b64 s[6:7], exec, s[8:9]
	s_cbranch_execnz .LBB9_3885
; %bb.1837:
	s_or_saveexec_b64 s[6:7], s[6:7]
	v_mov_b32_e32 v18, s10
	s_xor_b64 exec, exec, s[6:7]
	s_cbranch_execnz .LBB9_3888
.LBB9_1838:
	s_or_b64 exec, exec, s[6:7]
	s_and_saveexec_b64 s[6:7], s[4:5]
	s_cbranch_execz .LBB9_1840
.LBB9_1839:
	v_bfe_u32 v18, v9, 8, 3
	v_ffbh_u32_e32 v20, v18
	v_min_u32_e32 v20, 32, v20
	v_lshrrev_b16_e32 v19, 3, v12
	v_subrev_u32_e32 v21, 28, v20
	v_and_b32_e32 v19, 15, v19
	v_lshlrev_b32_e32 v12, v21, v12
	v_sub_u32_e32 v20, 29, v20
	v_and_b32_e32 v12, 7, v12
	v_cmp_eq_u16_e32 vcc, 0, v19
	v_cndmask_b32_e32 v12, v18, v12, vcc
	v_cndmask_b32_e32 v18, v19, v20, vcc
	v_lshlrev_b32_e32 v19, 16, v9
	v_mov_b32_e32 v20, 0x3b800000
	v_lshlrev_b32_e32 v12, 20, v12
	v_and_b32_e32 v19, 0x80000000, v19
	v_lshl_add_u32 v18, v18, 23, v20
	v_or3_b32 v18, v19, v18, v12
.LBB9_1840:
	s_or_b64 exec, exec, s[6:7]
	s_nop 0
	v_mfma_f32_16x16x4f32 a[0:3], v8, v18, a[0:3]
	s_movk_i32 s4, 0xff
	v_and_b32_sdwa v12, v13, s4 dst_sel:DWORD dst_unused:UNUSED_PAD src0_sel:WORD_1 src1_sel:DWORD
	s_movk_i32 s4, 0x7f
	v_cmp_lt_i16_e32 vcc, s4, v12
	s_mov_b64 s[4:5], 0
                                        ; implicit-def: $sgpr10
	s_and_saveexec_b64 s[6:7], vcc
	s_xor_b64 s[6:7], exec, s[6:7]
	s_cbranch_execnz .LBB9_3889
; %bb.1841:
	s_or_saveexec_b64 s[6:7], s[6:7]
	v_mov_b32_e32 v8, s10
	s_xor_b64 exec, exec, s[6:7]
	s_cbranch_execnz .LBB9_3892
.LBB9_1842:
	s_or_b64 exec, exec, s[6:7]
	s_and_saveexec_b64 s[6:7], s[4:5]
	s_cbranch_execz .LBB9_1844
.LBB9_1843:
	v_bfe_u32 v8, v13, 16, 3
	v_ffbh_u32_e32 v19, v8
	v_min_u32_e32 v19, 32, v19
	v_lshrrev_b32_e32 v12, 19, v13
	v_subrev_u32_e32 v20, 28, v19
	v_and_b32_e32 v12, 15, v12
	v_lshlrev_b32_sdwa v20, v20, v13 dst_sel:DWORD dst_unused:UNUSED_PAD src0_sel:DWORD src1_sel:WORD_1
	v_bfe_u32 v18, v13, 19, 4
	v_sub_u32_e32 v19, 29, v19
	v_and_b32_e32 v20, 7, v20
	v_cmp_eq_u16_e32 vcc, 0, v12
	v_cndmask_b32_e32 v8, v8, v20, vcc
	v_cndmask_b32_e32 v12, v18, v19, vcc
	v_lshlrev_b32_e32 v18, 8, v13
	v_mov_b32_e32 v19, 0x3b800000
	v_lshlrev_b32_e32 v8, 20, v8
	v_and_b32_e32 v18, 0x80000000, v18
	v_lshl_add_u32 v12, v12, 23, v19
	v_or3_b32 v8, v18, v12, v8
.LBB9_1844:
	s_or_b64 exec, exec, s[6:7]
	s_movk_i32 s4, 0xff
	v_and_b32_sdwa v12, v9, s4 dst_sel:DWORD dst_unused:UNUSED_PAD src0_sel:WORD_1 src1_sel:DWORD
	s_movk_i32 s4, 0x7f
	v_cmp_lt_i16_e32 vcc, s4, v12
	s_mov_b64 s[4:5], 0
                                        ; implicit-def: $sgpr10
	s_and_saveexec_b64 s[6:7], vcc
	s_xor_b64 s[6:7], exec, s[6:7]
	s_cbranch_execnz .LBB9_3893
; %bb.1845:
	s_or_saveexec_b64 s[6:7], s[6:7]
	v_mov_b32_e32 v18, s10
	s_xor_b64 exec, exec, s[6:7]
	s_cbranch_execnz .LBB9_3896
.LBB9_1846:
	s_or_b64 exec, exec, s[6:7]
	s_and_saveexec_b64 s[6:7], s[4:5]
	s_cbranch_execz .LBB9_1848
.LBB9_1847:
	v_bfe_u32 v12, v9, 16, 3
	v_ffbh_u32_e32 v20, v12
	v_min_u32_e32 v20, 32, v20
	v_lshrrev_b32_e32 v18, 19, v9
	v_subrev_u32_e32 v21, 28, v20
	v_and_b32_e32 v18, 15, v18
	v_lshlrev_b32_sdwa v21, v21, v9 dst_sel:DWORD dst_unused:UNUSED_PAD src0_sel:DWORD src1_sel:WORD_1
	v_bfe_u32 v19, v9, 19, 4
	v_sub_u32_e32 v20, 29, v20
	v_and_b32_e32 v21, 7, v21
	v_cmp_eq_u16_e32 vcc, 0, v18
	v_cndmask_b32_e32 v12, v12, v21, vcc
	v_cndmask_b32_e32 v18, v19, v20, vcc
	v_lshlrev_b32_e32 v19, 8, v9
	v_mov_b32_e32 v20, 0x3b800000
	v_lshlrev_b32_e32 v12, 20, v12
	v_and_b32_e32 v19, 0x80000000, v19
	v_lshl_add_u32 v18, v18, 23, v20
	v_or3_b32 v18, v19, v18, v12
.LBB9_1848:
	s_or_b64 exec, exec, s[6:7]
	s_nop 0
	v_mfma_f32_16x16x4f32 a[0:3], v8, v18, a[0:3]
	s_movk_i32 s4, 0x7f
	v_cmp_gt_i16_sdwa s[6:7], v13, s4 src0_sel:BYTE_3 src1_sel:DWORD
	s_mov_b64 s[4:5], 0
                                        ; implicit-def: $sgpr10
	s_and_saveexec_b64 s[8:9], s[6:7]
	s_xor_b64 s[6:7], exec, s[8:9]
	s_cbranch_execnz .LBB9_3897
; %bb.1849:
	s_or_saveexec_b64 s[6:7], s[6:7]
	v_mov_b32_e32 v8, s10
	s_xor_b64 exec, exec, s[6:7]
	s_cbranch_execnz .LBB9_3900
.LBB9_1850:
	s_or_b64 exec, exec, s[6:7]
	s_and_saveexec_b64 s[6:7], s[4:5]
	s_cbranch_execz .LBB9_1852
.LBB9_1851:
	v_bfe_u32 v8, v13, 24, 3
	v_ffbh_u32_e32 v20, v8
	v_min_u32_e32 v20, 32, v20
	v_lshrrev_b32_e32 v18, 27, v13
	v_subrev_u32_e32 v21, 28, v20
	v_and_b32_e32 v12, 0x80000000, v13
	v_and_b32_e32 v18, 15, v18
	v_bfe_u32 v19, v13, 27, 4
	v_lshlrev_b32_sdwa v13, v21, v13 dst_sel:DWORD dst_unused:UNUSED_PAD src0_sel:DWORD src1_sel:BYTE_3
	v_sub_u32_e32 v20, 29, v20
	v_and_b32_e32 v13, 7, v13
	v_cmp_eq_u16_e32 vcc, 0, v18
	v_cndmask_b32_e32 v8, v8, v13, vcc
	v_cndmask_b32_e32 v13, v19, v20, vcc
	v_mov_b32_e32 v18, 0x3b800000
	v_lshlrev_b32_e32 v8, 20, v8
	v_lshl_add_u32 v13, v13, 23, v18
	v_or3_b32 v8, v12, v13, v8
.LBB9_1852:
	s_or_b64 exec, exec, s[6:7]
	s_movk_i32 s4, 0x7f
	v_cmp_gt_i16_sdwa s[6:7], v9, s4 src0_sel:BYTE_3 src1_sel:DWORD
	s_mov_b64 s[4:5], 0
                                        ; implicit-def: $sgpr10
	s_and_saveexec_b64 s[8:9], s[6:7]
	s_xor_b64 s[6:7], exec, s[8:9]
	s_cbranch_execnz .LBB9_3901
; %bb.1853:
	s_or_saveexec_b64 s[6:7], s[6:7]
	v_mov_b32_e32 v12, s10
	s_xor_b64 exec, exec, s[6:7]
	s_cbranch_execnz .LBB9_3904
.LBB9_1854:
	s_or_b64 exec, exec, s[6:7]
	s_and_saveexec_b64 s[6:7], s[4:5]
	s_cbranch_execz .LBB9_1856
.LBB9_1855:
	v_bfe_u32 v12, v9, 24, 3
	v_ffbh_u32_e32 v20, v12
	v_min_u32_e32 v20, 32, v20
	v_lshrrev_b32_e32 v18, 27, v9
	v_subrev_u32_e32 v21, 28, v20
	v_and_b32_e32 v13, 0x80000000, v9
	v_and_b32_e32 v18, 15, v18
	v_bfe_u32 v19, v9, 27, 4
	v_lshlrev_b32_sdwa v9, v21, v9 dst_sel:DWORD dst_unused:UNUSED_PAD src0_sel:DWORD src1_sel:BYTE_3
	v_sub_u32_e32 v20, 29, v20
	v_and_b32_e32 v9, 7, v9
	v_cmp_eq_u16_e32 vcc, 0, v18
	v_cndmask_b32_e32 v9, v12, v9, vcc
	v_cndmask_b32_e32 v12, v19, v20, vcc
	v_mov_b32_e32 v18, 0x3b800000
	v_lshlrev_b32_e32 v9, 20, v9
	v_lshl_add_u32 v12, v12, 23, v18
	v_or3_b32 v12, v13, v12, v9
.LBB9_1856:
	s_or_b64 exec, exec, s[6:7]
	s_nop 0
	v_mfma_f32_16x16x4f32 a[0:3], v8, v12, a[0:3]
	s_movk_i32 s4, 0x7f
	v_cmp_gt_i16_sdwa s[6:7], v14, s4 src0_sel:BYTE_0 src1_sel:DWORD
	s_mov_b64 s[4:5], 0
                                        ; implicit-def: $sgpr10
	s_and_saveexec_b64 s[8:9], s[6:7]
	s_xor_b64 s[6:7], exec, s[8:9]
	s_cbranch_execnz .LBB9_3905
; %bb.1857:
	s_or_saveexec_b64 s[6:7], s[6:7]
	v_mov_b32_e32 v8, s10
	s_xor_b64 exec, exec, s[6:7]
	s_cbranch_execnz .LBB9_3908
.LBB9_1858:
	s_or_b64 exec, exec, s[6:7]
	s_and_saveexec_b64 s[6:7], s[4:5]
	s_cbranch_execz .LBB9_1860
.LBB9_1859:
	v_and_b32_e32 v8, 7, v14
	v_ffbh_u32_e32 v12, v8
	v_min_u32_e32 v12, 32, v12
	v_lshrrev_b16_e32 v9, 3, v14
	v_subrev_u32_e32 v13, 28, v12
	v_and_b32_e32 v9, 15, v9
	v_lshlrev_b32_e32 v13, v13, v14
	v_sub_u32_e32 v12, 29, v12
	v_and_b32_e32 v13, 7, v13
	v_cmp_eq_u16_e32 vcc, 0, v9
	v_cndmask_b32_e32 v8, v8, v13, vcc
	v_cndmask_b32_e32 v9, v9, v12, vcc
	v_lshlrev_b32_e32 v12, 24, v14
	v_mov_b32_e32 v13, 0x3b800000
	v_lshlrev_b32_e32 v8, 20, v8
	v_and_b32_e32 v12, 0x80000000, v12
	v_lshl_add_u32 v9, v9, 23, v13
	v_or3_b32 v8, v12, v9, v8
.LBB9_1860:
	s_or_b64 exec, exec, s[6:7]
	s_movk_i32 s4, 0x7f
	v_cmp_gt_i16_sdwa s[6:7], v10, s4 src0_sel:BYTE_0 src1_sel:DWORD
	s_mov_b64 s[4:5], 0
                                        ; implicit-def: $sgpr10
	s_and_saveexec_b64 s[8:9], s[6:7]
	s_xor_b64 s[6:7], exec, s[8:9]
	s_cbranch_execnz .LBB9_3909
; %bb.1861:
	s_or_saveexec_b64 s[6:7], s[6:7]
	v_mov_b32_e32 v9, s10
	s_xor_b64 exec, exec, s[6:7]
	s_cbranch_execnz .LBB9_3912
.LBB9_1862:
	s_or_b64 exec, exec, s[6:7]
	s_and_saveexec_b64 s[6:7], s[4:5]
	s_cbranch_execz .LBB9_1864
.LBB9_1863:
	v_and_b32_e32 v9, 7, v10
	v_ffbh_u32_e32 v13, v9
	v_min_u32_e32 v13, 32, v13
	v_lshrrev_b16_e32 v12, 3, v10
	v_subrev_u32_e32 v18, 28, v13
	v_and_b32_e32 v12, 15, v12
	v_lshlrev_b32_e32 v18, v18, v10
	v_sub_u32_e32 v13, 29, v13
	v_and_b32_e32 v18, 7, v18
	v_cmp_eq_u16_e32 vcc, 0, v12
	v_cndmask_b32_e32 v9, v9, v18, vcc
	v_cndmask_b32_e32 v12, v12, v13, vcc
	v_lshlrev_b32_e32 v13, 24, v10
	v_mov_b32_e32 v18, 0x3b800000
	v_lshlrev_b32_e32 v9, 20, v9
	v_and_b32_e32 v13, 0x80000000, v13
	v_lshl_add_u32 v12, v12, 23, v18
	v_or3_b32 v9, v13, v12, v9
.LBB9_1864:
	s_or_b64 exec, exec, s[6:7]
	s_nop 0
	v_mfma_f32_16x16x4f32 a[0:3], v8, v9, a[0:3]
	v_lshrrev_b32_e32 v9, 8, v14
	s_movk_i32 s4, 0x7f
	v_cmp_gt_i16_sdwa s[6:7], v9, s4 src0_sel:BYTE_0 src1_sel:DWORD
	s_mov_b64 s[4:5], 0
                                        ; implicit-def: $sgpr10
	s_and_saveexec_b64 s[8:9], s[6:7]
	s_xor_b64 s[6:7], exec, s[8:9]
	s_cbranch_execnz .LBB9_3913
; %bb.1865:
	s_or_saveexec_b64 s[6:7], s[6:7]
	v_mov_b32_e32 v8, s10
	s_xor_b64 exec, exec, s[6:7]
	s_cbranch_execnz .LBB9_3916
.LBB9_1866:
	s_or_b64 exec, exec, s[6:7]
	s_and_saveexec_b64 s[6:7], s[4:5]
	s_cbranch_execz .LBB9_1868
.LBB9_1867:
	v_bfe_u32 v8, v14, 8, 3
	v_ffbh_u32_e32 v13, v8
	v_min_u32_e32 v13, 32, v13
	v_lshrrev_b16_e32 v12, 3, v9
	v_subrev_u32_e32 v18, 28, v13
	v_and_b32_e32 v12, 15, v12
	v_lshlrev_b32_e32 v9, v18, v9
	v_sub_u32_e32 v13, 29, v13
	v_and_b32_e32 v9, 7, v9
	v_cmp_eq_u16_e32 vcc, 0, v12
	v_cndmask_b32_e32 v8, v8, v9, vcc
	v_cndmask_b32_e32 v9, v12, v13, vcc
	v_lshlrev_b32_e32 v12, 16, v14
	v_mov_b32_e32 v13, 0x3b800000
	v_lshlrev_b32_e32 v8, 20, v8
	v_and_b32_e32 v12, 0x80000000, v12
	v_lshl_add_u32 v9, v9, 23, v13
	v_or3_b32 v8, v12, v9, v8
.LBB9_1868:
	s_or_b64 exec, exec, s[6:7]
	v_lshrrev_b32_e32 v9, 8, v10
	s_movk_i32 s4, 0x7f
	v_cmp_gt_i16_sdwa s[6:7], v9, s4 src0_sel:BYTE_0 src1_sel:DWORD
	s_mov_b64 s[4:5], 0
                                        ; implicit-def: $sgpr10
	s_and_saveexec_b64 s[8:9], s[6:7]
	s_xor_b64 s[6:7], exec, s[8:9]
	s_cbranch_execnz .LBB9_3917
; %bb.1869:
	s_or_saveexec_b64 s[6:7], s[6:7]
	v_mov_b32_e32 v12, s10
	s_xor_b64 exec, exec, s[6:7]
	s_cbranch_execnz .LBB9_3920
.LBB9_1870:
	s_or_b64 exec, exec, s[6:7]
	s_and_saveexec_b64 s[6:7], s[4:5]
	s_cbranch_execz .LBB9_1872
.LBB9_1871:
	v_bfe_u32 v12, v10, 8, 3
	v_ffbh_u32_e32 v18, v12
	v_min_u32_e32 v18, 32, v18
	v_lshrrev_b16_e32 v13, 3, v9
	v_subrev_u32_e32 v19, 28, v18
	v_and_b32_e32 v13, 15, v13
	v_lshlrev_b32_e32 v9, v19, v9
	v_sub_u32_e32 v18, 29, v18
	v_and_b32_e32 v9, 7, v9
	v_cmp_eq_u16_e32 vcc, 0, v13
	v_cndmask_b32_e32 v9, v12, v9, vcc
	v_cndmask_b32_e32 v12, v13, v18, vcc
	v_lshlrev_b32_e32 v13, 16, v10
	v_mov_b32_e32 v18, 0x3b800000
	v_lshlrev_b32_e32 v9, 20, v9
	v_and_b32_e32 v13, 0x80000000, v13
	v_lshl_add_u32 v12, v12, 23, v18
	v_or3_b32 v12, v13, v12, v9
.LBB9_1872:
	s_or_b64 exec, exec, s[6:7]
	s_nop 0
	v_mfma_f32_16x16x4f32 a[0:3], v8, v12, a[0:3]
	s_movk_i32 s4, 0xff
	v_and_b32_sdwa v9, v14, s4 dst_sel:DWORD dst_unused:UNUSED_PAD src0_sel:WORD_1 src1_sel:DWORD
	s_movk_i32 s4, 0x7f
	v_cmp_lt_i16_e32 vcc, s4, v9
	s_mov_b64 s[4:5], 0
                                        ; implicit-def: $sgpr10
	s_and_saveexec_b64 s[6:7], vcc
	s_xor_b64 s[6:7], exec, s[6:7]
	s_cbranch_execnz .LBB9_3921
; %bb.1873:
	s_or_saveexec_b64 s[6:7], s[6:7]
	v_mov_b32_e32 v8, s10
	s_xor_b64 exec, exec, s[6:7]
	s_cbranch_execnz .LBB9_3924
.LBB9_1874:
	s_or_b64 exec, exec, s[6:7]
	s_and_saveexec_b64 s[6:7], s[4:5]
	s_cbranch_execz .LBB9_1876
.LBB9_1875:
	v_bfe_u32 v8, v14, 16, 3
	v_ffbh_u32_e32 v13, v8
	v_min_u32_e32 v13, 32, v13
	v_lshrrev_b32_e32 v9, 19, v14
	v_subrev_u32_e32 v18, 28, v13
	v_and_b32_e32 v9, 15, v9
	v_lshlrev_b32_sdwa v18, v18, v14 dst_sel:DWORD dst_unused:UNUSED_PAD src0_sel:DWORD src1_sel:WORD_1
	v_bfe_u32 v12, v14, 19, 4
	v_sub_u32_e32 v13, 29, v13
	v_and_b32_e32 v18, 7, v18
	v_cmp_eq_u16_e32 vcc, 0, v9
	v_cndmask_b32_e32 v8, v8, v18, vcc
	v_cndmask_b32_e32 v9, v12, v13, vcc
	v_lshlrev_b32_e32 v12, 8, v14
	v_mov_b32_e32 v13, 0x3b800000
	v_lshlrev_b32_e32 v8, 20, v8
	v_and_b32_e32 v12, 0x80000000, v12
	v_lshl_add_u32 v9, v9, 23, v13
	v_or3_b32 v8, v12, v9, v8
.LBB9_1876:
	s_or_b64 exec, exec, s[6:7]
	s_movk_i32 s4, 0xff
	v_and_b32_sdwa v9, v10, s4 dst_sel:DWORD dst_unused:UNUSED_PAD src0_sel:WORD_1 src1_sel:DWORD
	s_movk_i32 s4, 0x7f
	v_cmp_lt_i16_e32 vcc, s4, v9
	s_mov_b64 s[4:5], 0
                                        ; implicit-def: $sgpr10
	s_and_saveexec_b64 s[6:7], vcc
	s_xor_b64 s[6:7], exec, s[6:7]
	s_cbranch_execnz .LBB9_3925
; %bb.1877:
	s_or_saveexec_b64 s[6:7], s[6:7]
	v_mov_b32_e32 v12, s10
	s_xor_b64 exec, exec, s[6:7]
	s_cbranch_execnz .LBB9_3928
.LBB9_1878:
	s_or_b64 exec, exec, s[6:7]
	s_and_saveexec_b64 s[6:7], s[4:5]
	s_cbranch_execz .LBB9_1880
.LBB9_1879:
	v_bfe_u32 v9, v10, 16, 3
	v_ffbh_u32_e32 v18, v9
	v_min_u32_e32 v18, 32, v18
	v_lshrrev_b32_e32 v12, 19, v10
	v_subrev_u32_e32 v19, 28, v18
	v_and_b32_e32 v12, 15, v12
	v_lshlrev_b32_sdwa v19, v19, v10 dst_sel:DWORD dst_unused:UNUSED_PAD src0_sel:DWORD src1_sel:WORD_1
	v_bfe_u32 v13, v10, 19, 4
	v_sub_u32_e32 v18, 29, v18
	v_and_b32_e32 v19, 7, v19
	v_cmp_eq_u16_e32 vcc, 0, v12
	v_cndmask_b32_e32 v9, v9, v19, vcc
	v_cndmask_b32_e32 v12, v13, v18, vcc
	v_lshlrev_b32_e32 v13, 8, v10
	v_mov_b32_e32 v18, 0x3b800000
	v_lshlrev_b32_e32 v9, 20, v9
	v_and_b32_e32 v13, 0x80000000, v13
	v_lshl_add_u32 v12, v12, 23, v18
	v_or3_b32 v12, v13, v12, v9
.LBB9_1880:
	s_or_b64 exec, exec, s[6:7]
	s_nop 0
	v_mfma_f32_16x16x4f32 a[0:3], v8, v12, a[0:3]
	s_movk_i32 s4, 0x7f
	v_cmp_gt_i16_sdwa s[6:7], v14, s4 src0_sel:BYTE_3 src1_sel:DWORD
	s_mov_b64 s[4:5], 0
                                        ; implicit-def: $sgpr10
	s_and_saveexec_b64 s[8:9], s[6:7]
	s_xor_b64 s[6:7], exec, s[8:9]
	s_cbranch_execnz .LBB9_3929
; %bb.1881:
	s_or_saveexec_b64 s[6:7], s[6:7]
	v_mov_b32_e32 v8, s10
	s_xor_b64 exec, exec, s[6:7]
	s_cbranch_execnz .LBB9_3932
.LBB9_1882:
	s_or_b64 exec, exec, s[6:7]
	s_and_saveexec_b64 s[6:7], s[4:5]
	s_cbranch_execz .LBB9_1884
.LBB9_1883:
	v_bfe_u32 v8, v14, 24, 3
	v_ffbh_u32_e32 v18, v8
	v_min_u32_e32 v18, 32, v18
	v_lshrrev_b32_e32 v12, 27, v14
	v_subrev_u32_e32 v19, 28, v18
	v_and_b32_e32 v9, 0x80000000, v14
	v_and_b32_e32 v12, 15, v12
	v_bfe_u32 v13, v14, 27, 4
	v_lshlrev_b32_sdwa v14, v19, v14 dst_sel:DWORD dst_unused:UNUSED_PAD src0_sel:DWORD src1_sel:BYTE_3
	v_sub_u32_e32 v18, 29, v18
	v_and_b32_e32 v14, 7, v14
	v_cmp_eq_u16_e32 vcc, 0, v12
	v_cndmask_b32_e32 v8, v8, v14, vcc
	v_cndmask_b32_e32 v12, v13, v18, vcc
	v_mov_b32_e32 v13, 0x3b800000
	v_lshlrev_b32_e32 v8, 20, v8
	v_lshl_add_u32 v12, v12, 23, v13
	v_or3_b32 v8, v9, v12, v8
.LBB9_1884:
	s_or_b64 exec, exec, s[6:7]
	s_movk_i32 s4, 0x7f
	v_cmp_gt_i16_sdwa s[6:7], v10, s4 src0_sel:BYTE_3 src1_sel:DWORD
	s_mov_b64 s[4:5], 0
                                        ; implicit-def: $sgpr10
	s_and_saveexec_b64 s[8:9], s[6:7]
	s_xor_b64 s[6:7], exec, s[8:9]
	s_cbranch_execnz .LBB9_3933
; %bb.1885:
	s_or_saveexec_b64 s[6:7], s[6:7]
	v_mov_b32_e32 v9, s10
	s_xor_b64 exec, exec, s[6:7]
	s_cbranch_execnz .LBB9_3936
.LBB9_1886:
	s_or_b64 exec, exec, s[6:7]
	s_and_saveexec_b64 s[6:7], s[4:5]
	s_cbranch_execz .LBB9_1888
.LBB9_1887:
	v_bfe_u32 v9, v10, 24, 3
	v_ffbh_u32_e32 v18, v9
	v_min_u32_e32 v18, 32, v18
	v_lshrrev_b32_e32 v13, 27, v10
	v_subrev_u32_e32 v19, 28, v18
	v_and_b32_e32 v12, 0x80000000, v10
	v_and_b32_e32 v13, 15, v13
	v_bfe_u32 v14, v10, 27, 4
	v_lshlrev_b32_sdwa v10, v19, v10 dst_sel:DWORD dst_unused:UNUSED_PAD src0_sel:DWORD src1_sel:BYTE_3
	v_sub_u32_e32 v18, 29, v18
	v_and_b32_e32 v10, 7, v10
	v_cmp_eq_u16_e32 vcc, 0, v13
	v_cndmask_b32_e32 v9, v9, v10, vcc
	v_cndmask_b32_e32 v10, v14, v18, vcc
	v_mov_b32_e32 v13, 0x3b800000
	v_lshlrev_b32_e32 v9, 20, v9
	v_lshl_add_u32 v10, v10, 23, v13
	v_or3_b32 v9, v12, v10, v9
.LBB9_1888:
	s_or_b64 exec, exec, s[6:7]
	s_nop 0
	v_mfma_f32_16x16x4f32 a[0:3], v8, v9, a[0:3]
	s_movk_i32 s4, 0x7f
	v_cmp_gt_i16_sdwa s[6:7], v15, s4 src0_sel:BYTE_0 src1_sel:DWORD
	s_mov_b64 s[4:5], 0
                                        ; implicit-def: $sgpr10
	s_and_saveexec_b64 s[8:9], s[6:7]
	s_xor_b64 s[6:7], exec, s[8:9]
	s_cbranch_execnz .LBB9_3937
; %bb.1889:
	s_or_saveexec_b64 s[6:7], s[6:7]
	v_mov_b32_e32 v8, s10
	s_xor_b64 exec, exec, s[6:7]
	s_cbranch_execnz .LBB9_3940
.LBB9_1890:
	s_or_b64 exec, exec, s[6:7]
	s_and_saveexec_b64 s[6:7], s[4:5]
	s_cbranch_execz .LBB9_1892
.LBB9_1891:
	v_and_b32_e32 v8, 7, v15
	v_ffbh_u32_e32 v10, v8
	v_min_u32_e32 v10, 32, v10
	v_lshrrev_b16_e32 v9, 3, v15
	v_subrev_u32_e32 v12, 28, v10
	v_and_b32_e32 v9, 15, v9
	v_lshlrev_b32_e32 v12, v12, v15
	v_sub_u32_e32 v10, 29, v10
	v_and_b32_e32 v12, 7, v12
	v_cmp_eq_u16_e32 vcc, 0, v9
	v_cndmask_b32_e32 v8, v8, v12, vcc
	v_cndmask_b32_e32 v9, v9, v10, vcc
	v_lshlrev_b32_e32 v10, 24, v15
	v_mov_b32_e32 v12, 0x3b800000
	v_lshlrev_b32_e32 v8, 20, v8
	v_and_b32_e32 v10, 0x80000000, v10
	v_lshl_add_u32 v9, v9, 23, v12
	v_or3_b32 v8, v10, v9, v8
.LBB9_1892:
	s_or_b64 exec, exec, s[6:7]
	s_movk_i32 s4, 0x7f
	v_cmp_gt_i16_sdwa s[6:7], v11, s4 src0_sel:BYTE_0 src1_sel:DWORD
	s_mov_b64 s[4:5], 0
                                        ; implicit-def: $sgpr10
	s_and_saveexec_b64 s[8:9], s[6:7]
	s_xor_b64 s[6:7], exec, s[8:9]
	s_cbranch_execnz .LBB9_3941
; %bb.1893:
	s_or_saveexec_b64 s[6:7], s[6:7]
	v_mov_b32_e32 v9, s10
	s_xor_b64 exec, exec, s[6:7]
	s_cbranch_execnz .LBB9_3944
.LBB9_1894:
	s_or_b64 exec, exec, s[6:7]
	s_and_saveexec_b64 s[6:7], s[4:5]
	s_cbranch_execz .LBB9_1896
.LBB9_1895:
	v_and_b32_e32 v9, 7, v11
	v_ffbh_u32_e32 v12, v9
	v_min_u32_e32 v12, 32, v12
	v_lshrrev_b16_e32 v10, 3, v11
	v_subrev_u32_e32 v13, 28, v12
	v_and_b32_e32 v10, 15, v10
	v_lshlrev_b32_e32 v13, v13, v11
	v_sub_u32_e32 v12, 29, v12
	v_and_b32_e32 v13, 7, v13
	v_cmp_eq_u16_e32 vcc, 0, v10
	v_cndmask_b32_e32 v9, v9, v13, vcc
	v_cndmask_b32_e32 v10, v10, v12, vcc
	v_lshlrev_b32_e32 v12, 24, v11
	v_mov_b32_e32 v13, 0x3b800000
	v_lshlrev_b32_e32 v9, 20, v9
	v_and_b32_e32 v12, 0x80000000, v12
	v_lshl_add_u32 v10, v10, 23, v13
	v_or3_b32 v9, v12, v10, v9
.LBB9_1896:
	s_or_b64 exec, exec, s[6:7]
	s_nop 0
	v_mfma_f32_16x16x4f32 a[0:3], v8, v9, a[0:3]
	v_lshrrev_b32_e32 v9, 8, v15
	s_movk_i32 s4, 0x7f
	v_cmp_gt_i16_sdwa s[6:7], v9, s4 src0_sel:BYTE_0 src1_sel:DWORD
	s_mov_b64 s[4:5], 0
                                        ; implicit-def: $sgpr10
	s_and_saveexec_b64 s[8:9], s[6:7]
	s_xor_b64 s[6:7], exec, s[8:9]
	s_cbranch_execnz .LBB9_3945
; %bb.1897:
	s_or_saveexec_b64 s[6:7], s[6:7]
	v_mov_b32_e32 v8, s10
	s_xor_b64 exec, exec, s[6:7]
	s_cbranch_execnz .LBB9_3948
.LBB9_1898:
	s_or_b64 exec, exec, s[6:7]
	s_and_saveexec_b64 s[6:7], s[4:5]
	s_cbranch_execz .LBB9_1900
.LBB9_1899:
	v_bfe_u32 v8, v15, 8, 3
	v_ffbh_u32_e32 v12, v8
	v_min_u32_e32 v12, 32, v12
	v_lshrrev_b16_e32 v10, 3, v9
	v_subrev_u32_e32 v13, 28, v12
	v_and_b32_e32 v10, 15, v10
	v_lshlrev_b32_e32 v9, v13, v9
	v_sub_u32_e32 v12, 29, v12
	v_and_b32_e32 v9, 7, v9
	v_cmp_eq_u16_e32 vcc, 0, v10
	v_cndmask_b32_e32 v8, v8, v9, vcc
	v_cndmask_b32_e32 v9, v10, v12, vcc
	v_lshlrev_b32_e32 v10, 16, v15
	v_mov_b32_e32 v12, 0x3b800000
	v_lshlrev_b32_e32 v8, 20, v8
	v_and_b32_e32 v10, 0x80000000, v10
	v_lshl_add_u32 v9, v9, 23, v12
	v_or3_b32 v8, v10, v9, v8
.LBB9_1900:
	s_or_b64 exec, exec, s[6:7]
	v_lshrrev_b32_e32 v9, 8, v11
	s_movk_i32 s4, 0x7f
	v_cmp_gt_i16_sdwa s[6:7], v9, s4 src0_sel:BYTE_0 src1_sel:DWORD
	s_mov_b64 s[4:5], 0
                                        ; implicit-def: $sgpr10
	s_and_saveexec_b64 s[8:9], s[6:7]
	s_xor_b64 s[6:7], exec, s[8:9]
	s_cbranch_execnz .LBB9_3949
; %bb.1901:
	s_or_saveexec_b64 s[6:7], s[6:7]
	v_mov_b32_e32 v10, s10
	s_xor_b64 exec, exec, s[6:7]
	s_cbranch_execnz .LBB9_3952
.LBB9_1902:
	s_or_b64 exec, exec, s[6:7]
	s_and_saveexec_b64 s[6:7], s[4:5]
	s_cbranch_execz .LBB9_1904
.LBB9_1903:
	v_bfe_u32 v10, v11, 8, 3
	v_ffbh_u32_e32 v13, v10
	v_min_u32_e32 v13, 32, v13
	v_lshrrev_b16_e32 v12, 3, v9
	v_subrev_u32_e32 v14, 28, v13
	v_and_b32_e32 v12, 15, v12
	v_lshlrev_b32_e32 v9, v14, v9
	v_sub_u32_e32 v13, 29, v13
	v_and_b32_e32 v9, 7, v9
	v_cmp_eq_u16_e32 vcc, 0, v12
	v_cndmask_b32_e32 v9, v10, v9, vcc
	v_cndmask_b32_e32 v10, v12, v13, vcc
	v_lshlrev_b32_e32 v12, 16, v11
	v_mov_b32_e32 v13, 0x3b800000
	v_lshlrev_b32_e32 v9, 20, v9
	v_and_b32_e32 v12, 0x80000000, v12
	v_lshl_add_u32 v10, v10, 23, v13
	v_or3_b32 v10, v12, v10, v9
.LBB9_1904:
	s_or_b64 exec, exec, s[6:7]
	s_nop 0
	v_mfma_f32_16x16x4f32 a[0:3], v8, v10, a[0:3]
	s_movk_i32 s4, 0xff
	v_and_b32_sdwa v9, v15, s4 dst_sel:DWORD dst_unused:UNUSED_PAD src0_sel:WORD_1 src1_sel:DWORD
	s_movk_i32 s4, 0x7f
	v_cmp_lt_i16_e32 vcc, s4, v9
	s_mov_b64 s[4:5], 0
                                        ; implicit-def: $sgpr10
	s_and_saveexec_b64 s[6:7], vcc
	s_xor_b64 s[6:7], exec, s[6:7]
	s_cbranch_execnz .LBB9_3953
; %bb.1905:
	s_or_saveexec_b64 s[6:7], s[6:7]
	v_mov_b32_e32 v8, s10
	s_xor_b64 exec, exec, s[6:7]
	s_cbranch_execnz .LBB9_3956
.LBB9_1906:
	s_or_b64 exec, exec, s[6:7]
	s_and_saveexec_b64 s[6:7], s[4:5]
	s_cbranch_execz .LBB9_1908
.LBB9_1907:
	v_bfe_u32 v8, v15, 16, 3
	v_ffbh_u32_e32 v12, v8
	v_min_u32_e32 v12, 32, v12
	v_lshrrev_b32_e32 v9, 19, v15
	v_subrev_u32_e32 v13, 28, v12
	v_and_b32_e32 v9, 15, v9
	v_lshlrev_b32_sdwa v13, v13, v15 dst_sel:DWORD dst_unused:UNUSED_PAD src0_sel:DWORD src1_sel:WORD_1
	v_bfe_u32 v10, v15, 19, 4
	v_sub_u32_e32 v12, 29, v12
	v_and_b32_e32 v13, 7, v13
	v_cmp_eq_u16_e32 vcc, 0, v9
	v_cndmask_b32_e32 v8, v8, v13, vcc
	v_cndmask_b32_e32 v9, v10, v12, vcc
	v_lshlrev_b32_e32 v10, 8, v15
	v_mov_b32_e32 v12, 0x3b800000
	v_lshlrev_b32_e32 v8, 20, v8
	v_and_b32_e32 v10, 0x80000000, v10
	v_lshl_add_u32 v9, v9, 23, v12
	v_or3_b32 v8, v10, v9, v8
.LBB9_1908:
	s_or_b64 exec, exec, s[6:7]
	s_movk_i32 s4, 0xff
	v_and_b32_sdwa v9, v11, s4 dst_sel:DWORD dst_unused:UNUSED_PAD src0_sel:WORD_1 src1_sel:DWORD
	s_movk_i32 s4, 0x7f
	v_cmp_lt_i16_e32 vcc, s4, v9
	s_mov_b64 s[4:5], 0
                                        ; implicit-def: $sgpr10
	s_and_saveexec_b64 s[6:7], vcc
	s_xor_b64 s[6:7], exec, s[6:7]
	s_cbranch_execnz .LBB9_3957
; %bb.1909:
	s_or_saveexec_b64 s[6:7], s[6:7]
	v_mov_b32_e32 v10, s10
	s_xor_b64 exec, exec, s[6:7]
	s_cbranch_execnz .LBB9_3960
.LBB9_1910:
	s_or_b64 exec, exec, s[6:7]
	s_and_saveexec_b64 s[6:7], s[4:5]
	s_cbranch_execz .LBB9_1912
.LBB9_1911:
	v_bfe_u32 v9, v11, 16, 3
	v_ffbh_u32_e32 v13, v9
	v_min_u32_e32 v13, 32, v13
	v_lshrrev_b32_e32 v10, 19, v11
	v_subrev_u32_e32 v14, 28, v13
	v_and_b32_e32 v10, 15, v10
	v_lshlrev_b32_sdwa v14, v14, v11 dst_sel:DWORD dst_unused:UNUSED_PAD src0_sel:DWORD src1_sel:WORD_1
	v_bfe_u32 v12, v11, 19, 4
	v_sub_u32_e32 v13, 29, v13
	v_and_b32_e32 v14, 7, v14
	v_cmp_eq_u16_e32 vcc, 0, v10
	v_cndmask_b32_e32 v9, v9, v14, vcc
	v_cndmask_b32_e32 v10, v12, v13, vcc
	v_lshlrev_b32_e32 v12, 8, v11
	v_mov_b32_e32 v13, 0x3b800000
	v_lshlrev_b32_e32 v9, 20, v9
	v_and_b32_e32 v12, 0x80000000, v12
	v_lshl_add_u32 v10, v10, 23, v13
	v_or3_b32 v10, v12, v10, v9
.LBB9_1912:
	s_or_b64 exec, exec, s[6:7]
	s_nop 0
	v_mfma_f32_16x16x4f32 a[0:3], v8, v10, a[0:3]
	s_movk_i32 s4, 0x7f
	v_cmp_gt_i16_sdwa s[6:7], v15, s4 src0_sel:BYTE_3 src1_sel:DWORD
	s_mov_b64 s[4:5], 0
                                        ; implicit-def: $sgpr10
	s_and_saveexec_b64 s[8:9], s[6:7]
	s_xor_b64 s[6:7], exec, s[8:9]
	s_cbranch_execnz .LBB9_3961
; %bb.1913:
	s_or_saveexec_b64 s[6:7], s[6:7]
	v_mov_b32_e32 v8, s10
	s_xor_b64 exec, exec, s[6:7]
	s_cbranch_execnz .LBB9_3964
.LBB9_1914:
	s_or_b64 exec, exec, s[6:7]
	s_and_saveexec_b64 s[6:7], s[4:5]
	s_cbranch_execz .LBB9_1916
.LBB9_1915:
	v_bfe_u32 v8, v15, 24, 3
	v_ffbh_u32_e32 v13, v8
	v_min_u32_e32 v13, 32, v13
	v_lshrrev_b32_e32 v10, 27, v15
	v_subrev_u32_e32 v14, 28, v13
	v_and_b32_e32 v10, 15, v10
	v_lshlrev_b32_sdwa v14, v14, v15 dst_sel:DWORD dst_unused:UNUSED_PAD src0_sel:DWORD src1_sel:BYTE_3
	v_bfe_u32 v12, v15, 27, 4
	v_sub_u32_e32 v13, 29, v13
	v_and_b32_e32 v14, 7, v14
	v_cmp_eq_u16_e32 vcc, 0, v10
	v_cndmask_b32_e32 v8, v8, v14, vcc
	v_cndmask_b32_e32 v10, v12, v13, vcc
	v_mov_b32_e32 v12, 0x3b800000
	v_and_b32_e32 v9, 0x80000000, v15
	v_lshlrev_b32_e32 v8, 20, v8
	v_lshl_add_u32 v10, v10, 23, v12
	v_or3_b32 v8, v9, v10, v8
.LBB9_1916:
	s_or_b64 exec, exec, s[6:7]
	s_movk_i32 s4, 0x7f
	v_cmp_gt_i16_sdwa s[6:7], v11, s4 src0_sel:BYTE_3 src1_sel:DWORD
	s_mov_b64 s[4:5], 0
                                        ; implicit-def: $sgpr10
	s_and_saveexec_b64 s[8:9], s[6:7]
	s_xor_b64 s[6:7], exec, s[8:9]
	s_cbranch_execnz .LBB9_3965
; %bb.1917:
	s_or_saveexec_b64 s[6:7], s[6:7]
	v_mov_b32_e32 v9, s10
	s_xor_b64 exec, exec, s[6:7]
	s_cbranch_execnz .LBB9_3968
.LBB9_1918:
	s_or_b64 exec, exec, s[6:7]
	s_and_saveexec_b64 s[6:7], s[4:5]
	s_cbranch_execz .LBB9_1920
.LBB9_1919:
	v_bfe_u32 v9, v11, 24, 3
	v_ffbh_u32_e32 v14, v9
	v_min_u32_e32 v14, 32, v14
	v_lshrrev_b32_e32 v12, 27, v11
	v_subrev_u32_e32 v15, 28, v14
	v_and_b32_e32 v10, 0x80000000, v11
	v_and_b32_e32 v12, 15, v12
	v_bfe_u32 v13, v11, 27, 4
	v_lshlrev_b32_sdwa v11, v15, v11 dst_sel:DWORD dst_unused:UNUSED_PAD src0_sel:DWORD src1_sel:BYTE_3
	v_sub_u32_e32 v14, 29, v14
	v_and_b32_e32 v11, 7, v11
	v_cmp_eq_u16_e32 vcc, 0, v12
	v_cndmask_b32_e32 v9, v9, v11, vcc
	v_cndmask_b32_e32 v11, v13, v14, vcc
	v_mov_b32_e32 v12, 0x3b800000
	v_lshlrev_b32_e32 v9, 20, v9
	v_lshl_add_u32 v11, v11, 23, v12
	v_or3_b32 v9, v10, v11, v9
.LBB9_1920:
	s_or_b64 exec, exec, s[6:7]
	s_nop 0
	v_mfma_f32_16x16x4f32 a[0:3], v8, v9, a[0:3]
	s_movk_i32 s4, 0x7f
	v_cmp_gt_i16_sdwa s[6:7], v4, s4 src0_sel:BYTE_0 src1_sel:DWORD
	s_mov_b64 s[4:5], 0
                                        ; implicit-def: $sgpr10
	s_and_saveexec_b64 s[8:9], s[6:7]
	s_xor_b64 s[6:7], exec, s[8:9]
	s_cbranch_execnz .LBB9_3969
; %bb.1921:
	s_or_saveexec_b64 s[6:7], s[6:7]
	v_mov_b32_e32 v8, s10
	s_xor_b64 exec, exec, s[6:7]
	s_cbranch_execnz .LBB9_3972
.LBB9_1922:
	s_or_b64 exec, exec, s[6:7]
	s_and_saveexec_b64 s[6:7], s[4:5]
	s_cbranch_execz .LBB9_1924
.LBB9_1923:
	v_and_b32_e32 v8, 7, v4
	v_ffbh_u32_e32 v10, v8
	v_min_u32_e32 v10, 32, v10
	v_lshrrev_b16_e32 v9, 3, v4
	v_subrev_u32_e32 v11, 28, v10
	v_and_b32_e32 v9, 15, v9
	v_lshlrev_b32_e32 v11, v11, v4
	v_sub_u32_e32 v10, 29, v10
	v_and_b32_e32 v11, 7, v11
	v_cmp_eq_u16_e32 vcc, 0, v9
	v_cndmask_b32_e32 v8, v8, v11, vcc
	v_cndmask_b32_e32 v9, v9, v10, vcc
	v_lshlrev_b32_e32 v10, 24, v4
	v_mov_b32_e32 v11, 0x3b800000
	v_lshlrev_b32_e32 v8, 20, v8
	v_and_b32_e32 v10, 0x80000000, v10
	v_lshl_add_u32 v9, v9, 23, v11
	v_or3_b32 v8, v10, v9, v8
.LBB9_1924:
	s_or_b64 exec, exec, s[6:7]
	s_movk_i32 s4, 0x7f
	v_cmp_gt_i16_sdwa s[6:7], v0, s4 src0_sel:BYTE_0 src1_sel:DWORD
	s_mov_b64 s[4:5], 0
                                        ; implicit-def: $sgpr10
	s_and_saveexec_b64 s[8:9], s[6:7]
	s_xor_b64 s[6:7], exec, s[8:9]
	s_cbranch_execnz .LBB9_3973
; %bb.1925:
	s_or_saveexec_b64 s[6:7], s[6:7]
	v_mov_b32_e32 v9, s10
	s_xor_b64 exec, exec, s[6:7]
	s_cbranch_execnz .LBB9_3976
.LBB9_1926:
	s_or_b64 exec, exec, s[6:7]
	s_and_saveexec_b64 s[6:7], s[4:5]
	s_cbranch_execz .LBB9_1928
.LBB9_1927:
	v_and_b32_e32 v9, 7, v0
	v_ffbh_u32_e32 v11, v9
	v_min_u32_e32 v11, 32, v11
	v_lshrrev_b16_e32 v10, 3, v0
	v_subrev_u32_e32 v12, 28, v11
	v_and_b32_e32 v10, 15, v10
	v_lshlrev_b32_e32 v12, v12, v0
	v_sub_u32_e32 v11, 29, v11
	v_and_b32_e32 v12, 7, v12
	v_cmp_eq_u16_e32 vcc, 0, v10
	v_cndmask_b32_e32 v9, v9, v12, vcc
	v_cndmask_b32_e32 v10, v10, v11, vcc
	v_lshlrev_b32_e32 v11, 24, v0
	v_mov_b32_e32 v12, 0x3b800000
	v_lshlrev_b32_e32 v9, 20, v9
	v_and_b32_e32 v11, 0x80000000, v11
	v_lshl_add_u32 v10, v10, 23, v12
	v_or3_b32 v9, v11, v10, v9
.LBB9_1928:
	s_or_b64 exec, exec, s[6:7]
	s_nop 0
	v_mfma_f32_16x16x4f32 a[0:3], v8, v9, a[0:3]
	v_lshrrev_b32_e32 v9, 8, v4
	s_movk_i32 s4, 0x7f
	v_cmp_gt_i16_sdwa s[6:7], v9, s4 src0_sel:BYTE_0 src1_sel:DWORD
	s_mov_b64 s[4:5], 0
                                        ; implicit-def: $sgpr10
	s_and_saveexec_b64 s[8:9], s[6:7]
	s_xor_b64 s[6:7], exec, s[8:9]
	s_cbranch_execnz .LBB9_3977
; %bb.1929:
	s_or_saveexec_b64 s[6:7], s[6:7]
	v_mov_b32_e32 v8, s10
	s_xor_b64 exec, exec, s[6:7]
	s_cbranch_execnz .LBB9_3980
.LBB9_1930:
	s_or_b64 exec, exec, s[6:7]
	s_and_saveexec_b64 s[6:7], s[4:5]
	s_cbranch_execz .LBB9_1932
.LBB9_1931:
	v_bfe_u32 v8, v4, 8, 3
	v_ffbh_u32_e32 v11, v8
	v_min_u32_e32 v11, 32, v11
	v_lshrrev_b16_e32 v10, 3, v9
	v_subrev_u32_e32 v12, 28, v11
	v_and_b32_e32 v10, 15, v10
	v_lshlrev_b32_e32 v9, v12, v9
	v_sub_u32_e32 v11, 29, v11
	v_and_b32_e32 v9, 7, v9
	v_cmp_eq_u16_e32 vcc, 0, v10
	v_cndmask_b32_e32 v8, v8, v9, vcc
	v_cndmask_b32_e32 v9, v10, v11, vcc
	v_lshlrev_b32_e32 v10, 16, v4
	v_mov_b32_e32 v11, 0x3b800000
	v_lshlrev_b32_e32 v8, 20, v8
	v_and_b32_e32 v10, 0x80000000, v10
	v_lshl_add_u32 v9, v9, 23, v11
	v_or3_b32 v8, v10, v9, v8
.LBB9_1932:
	s_or_b64 exec, exec, s[6:7]
	v_lshrrev_b32_e32 v9, 8, v0
	s_movk_i32 s4, 0x7f
	v_cmp_gt_i16_sdwa s[6:7], v9, s4 src0_sel:BYTE_0 src1_sel:DWORD
	s_mov_b64 s[4:5], 0
                                        ; implicit-def: $sgpr10
	s_and_saveexec_b64 s[8:9], s[6:7]
	s_xor_b64 s[6:7], exec, s[8:9]
	s_cbranch_execnz .LBB9_3981
; %bb.1933:
	s_or_saveexec_b64 s[6:7], s[6:7]
	v_mov_b32_e32 v10, s10
	s_xor_b64 exec, exec, s[6:7]
	s_cbranch_execnz .LBB9_3984
.LBB9_1934:
	s_or_b64 exec, exec, s[6:7]
	s_and_saveexec_b64 s[6:7], s[4:5]
	s_cbranch_execz .LBB9_1936
.LBB9_1935:
	v_bfe_u32 v10, v0, 8, 3
	v_ffbh_u32_e32 v12, v10
	v_min_u32_e32 v12, 32, v12
	v_lshrrev_b16_e32 v11, 3, v9
	v_subrev_u32_e32 v13, 28, v12
	v_and_b32_e32 v11, 15, v11
	v_lshlrev_b32_e32 v9, v13, v9
	v_sub_u32_e32 v12, 29, v12
	v_and_b32_e32 v9, 7, v9
	v_cmp_eq_u16_e32 vcc, 0, v11
	v_cndmask_b32_e32 v9, v10, v9, vcc
	v_cndmask_b32_e32 v10, v11, v12, vcc
	v_lshlrev_b32_e32 v11, 16, v0
	v_mov_b32_e32 v12, 0x3b800000
	v_lshlrev_b32_e32 v9, 20, v9
	v_and_b32_e32 v11, 0x80000000, v11
	v_lshl_add_u32 v10, v10, 23, v12
	v_or3_b32 v10, v11, v10, v9
.LBB9_1936:
	s_or_b64 exec, exec, s[6:7]
	s_nop 0
	v_mfma_f32_16x16x4f32 a[0:3], v8, v10, a[0:3]
	s_movk_i32 s4, 0xff
	v_and_b32_sdwa v9, v4, s4 dst_sel:DWORD dst_unused:UNUSED_PAD src0_sel:WORD_1 src1_sel:DWORD
	s_movk_i32 s4, 0x7f
	v_cmp_lt_i16_e32 vcc, s4, v9
	s_mov_b64 s[4:5], 0
                                        ; implicit-def: $sgpr10
	s_and_saveexec_b64 s[6:7], vcc
	s_xor_b64 s[6:7], exec, s[6:7]
	s_cbranch_execnz .LBB9_3985
; %bb.1937:
	s_or_saveexec_b64 s[6:7], s[6:7]
	v_mov_b32_e32 v8, s10
	s_xor_b64 exec, exec, s[6:7]
	s_cbranch_execnz .LBB9_3988
.LBB9_1938:
	s_or_b64 exec, exec, s[6:7]
	s_and_saveexec_b64 s[6:7], s[4:5]
	s_cbranch_execz .LBB9_1940
.LBB9_1939:
	v_bfe_u32 v8, v4, 16, 3
	v_ffbh_u32_e32 v11, v8
	v_min_u32_e32 v11, 32, v11
	v_lshrrev_b32_e32 v9, 19, v4
	v_subrev_u32_e32 v12, 28, v11
	v_and_b32_e32 v9, 15, v9
	v_lshlrev_b32_sdwa v12, v12, v4 dst_sel:DWORD dst_unused:UNUSED_PAD src0_sel:DWORD src1_sel:WORD_1
	v_bfe_u32 v10, v4, 19, 4
	v_sub_u32_e32 v11, 29, v11
	v_and_b32_e32 v12, 7, v12
	v_cmp_eq_u16_e32 vcc, 0, v9
	v_cndmask_b32_e32 v8, v8, v12, vcc
	v_cndmask_b32_e32 v9, v10, v11, vcc
	v_lshlrev_b32_e32 v10, 8, v4
	v_mov_b32_e32 v11, 0x3b800000
	v_lshlrev_b32_e32 v8, 20, v8
	v_and_b32_e32 v10, 0x80000000, v10
	v_lshl_add_u32 v9, v9, 23, v11
	v_or3_b32 v8, v10, v9, v8
.LBB9_1940:
	s_or_b64 exec, exec, s[6:7]
	s_movk_i32 s4, 0xff
	v_and_b32_sdwa v9, v0, s4 dst_sel:DWORD dst_unused:UNUSED_PAD src0_sel:WORD_1 src1_sel:DWORD
	s_movk_i32 s4, 0x7f
	v_cmp_lt_i16_e32 vcc, s4, v9
	s_mov_b64 s[4:5], 0
                                        ; implicit-def: $sgpr10
	s_and_saveexec_b64 s[6:7], vcc
	s_xor_b64 s[6:7], exec, s[6:7]
	s_cbranch_execnz .LBB9_3989
; %bb.1941:
	s_or_saveexec_b64 s[6:7], s[6:7]
	v_mov_b32_e32 v10, s10
	s_xor_b64 exec, exec, s[6:7]
	s_cbranch_execnz .LBB9_3992
.LBB9_1942:
	s_or_b64 exec, exec, s[6:7]
	s_and_saveexec_b64 s[6:7], s[4:5]
	s_cbranch_execz .LBB9_1944
.LBB9_1943:
	v_bfe_u32 v9, v0, 16, 3
	v_ffbh_u32_e32 v12, v9
	v_min_u32_e32 v12, 32, v12
	v_lshrrev_b32_e32 v10, 19, v0
	v_subrev_u32_e32 v13, 28, v12
	v_and_b32_e32 v10, 15, v10
	v_lshlrev_b32_sdwa v13, v13, v0 dst_sel:DWORD dst_unused:UNUSED_PAD src0_sel:DWORD src1_sel:WORD_1
	v_bfe_u32 v11, v0, 19, 4
	v_sub_u32_e32 v12, 29, v12
	v_and_b32_e32 v13, 7, v13
	v_cmp_eq_u16_e32 vcc, 0, v10
	v_cndmask_b32_e32 v9, v9, v13, vcc
	v_cndmask_b32_e32 v10, v11, v12, vcc
	v_lshlrev_b32_e32 v11, 8, v0
	v_mov_b32_e32 v12, 0x3b800000
	v_lshlrev_b32_e32 v9, 20, v9
	v_and_b32_e32 v11, 0x80000000, v11
	v_lshl_add_u32 v10, v10, 23, v12
	v_or3_b32 v10, v11, v10, v9
.LBB9_1944:
	s_or_b64 exec, exec, s[6:7]
	s_nop 0
	v_mfma_f32_16x16x4f32 a[0:3], v8, v10, a[0:3]
	s_movk_i32 s4, 0x7f
	v_cmp_gt_i16_sdwa s[6:7], v4, s4 src0_sel:BYTE_3 src1_sel:DWORD
	s_mov_b64 s[4:5], 0
                                        ; implicit-def: $sgpr10
	s_and_saveexec_b64 s[8:9], s[6:7]
	s_xor_b64 s[6:7], exec, s[8:9]
	s_cbranch_execnz .LBB9_3993
; %bb.1945:
	s_or_saveexec_b64 s[6:7], s[6:7]
	v_mov_b32_e32 v8, s10
	s_xor_b64 exec, exec, s[6:7]
	s_cbranch_execnz .LBB9_3996
.LBB9_1946:
	s_or_b64 exec, exec, s[6:7]
	s_and_saveexec_b64 s[6:7], s[4:5]
	s_cbranch_execz .LBB9_1948
.LBB9_1947:
	v_bfe_u32 v8, v4, 24, 3
	v_ffbh_u32_e32 v12, v8
	v_min_u32_e32 v12, 32, v12
	v_lshrrev_b32_e32 v10, 27, v4
	v_subrev_u32_e32 v13, 28, v12
	v_and_b32_e32 v9, 0x80000000, v4
	v_and_b32_e32 v10, 15, v10
	v_bfe_u32 v11, v4, 27, 4
	v_lshlrev_b32_sdwa v4, v13, v4 dst_sel:DWORD dst_unused:UNUSED_PAD src0_sel:DWORD src1_sel:BYTE_3
	v_sub_u32_e32 v12, 29, v12
	v_and_b32_e32 v4, 7, v4
	v_cmp_eq_u16_e32 vcc, 0, v10
	v_cndmask_b32_e32 v4, v8, v4, vcc
	v_cndmask_b32_e32 v8, v11, v12, vcc
	v_mov_b32_e32 v10, 0x3b800000
	v_lshlrev_b32_e32 v4, 20, v4
	v_lshl_add_u32 v8, v8, 23, v10
	v_or3_b32 v8, v9, v8, v4
.LBB9_1948:
	s_or_b64 exec, exec, s[6:7]
	s_movk_i32 s4, 0x7f
	v_cmp_gt_i16_sdwa s[6:7], v0, s4 src0_sel:BYTE_3 src1_sel:DWORD
	s_mov_b64 s[4:5], 0
                                        ; implicit-def: $sgpr10
	s_and_saveexec_b64 s[8:9], s[6:7]
	s_xor_b64 s[6:7], exec, s[8:9]
	s_cbranch_execnz .LBB9_3997
; %bb.1949:
	s_or_saveexec_b64 s[6:7], s[6:7]
	v_mov_b32_e32 v4, s10
	s_xor_b64 exec, exec, s[6:7]
	s_cbranch_execnz .LBB9_4000
.LBB9_1950:
	s_or_b64 exec, exec, s[6:7]
	s_and_saveexec_b64 s[6:7], s[4:5]
	s_cbranch_execz .LBB9_1952
.LBB9_1951:
	v_bfe_u32 v4, v0, 24, 3
	v_ffbh_u32_e32 v12, v4
	v_min_u32_e32 v12, 32, v12
	v_lshrrev_b32_e32 v10, 27, v0
	v_subrev_u32_e32 v13, 28, v12
	v_and_b32_e32 v9, 0x80000000, v0
	v_and_b32_e32 v10, 15, v10
	v_bfe_u32 v11, v0, 27, 4
	v_lshlrev_b32_sdwa v0, v13, v0 dst_sel:DWORD dst_unused:UNUSED_PAD src0_sel:DWORD src1_sel:BYTE_3
	v_sub_u32_e32 v12, 29, v12
	v_and_b32_e32 v0, 7, v0
	v_cmp_eq_u16_e32 vcc, 0, v10
	v_cndmask_b32_e32 v0, v4, v0, vcc
	v_cndmask_b32_e32 v4, v11, v12, vcc
	v_mov_b32_e32 v10, 0x3b800000
	v_lshlrev_b32_e32 v0, 20, v0
	v_lshl_add_u32 v4, v4, 23, v10
	v_or3_b32 v4, v9, v4, v0
.LBB9_1952:
	s_or_b64 exec, exec, s[6:7]
	s_nop 0
	v_mfma_f32_16x16x4f32 a[0:3], v8, v4, a[0:3]
	s_movk_i32 s4, 0x7f
	v_cmp_gt_i16_sdwa s[6:7], v5, s4 src0_sel:BYTE_0 src1_sel:DWORD
	s_mov_b64 s[4:5], 0
                                        ; implicit-def: $sgpr10
	s_and_saveexec_b64 s[8:9], s[6:7]
	s_xor_b64 s[6:7], exec, s[8:9]
	s_cbranch_execnz .LBB9_4001
; %bb.1953:
	s_or_saveexec_b64 s[6:7], s[6:7]
	v_mov_b32_e32 v0, s10
	s_xor_b64 exec, exec, s[6:7]
	s_cbranch_execnz .LBB9_4004
.LBB9_1954:
	s_or_b64 exec, exec, s[6:7]
	s_and_saveexec_b64 s[6:7], s[4:5]
	s_cbranch_execz .LBB9_1956
.LBB9_1955:
	v_and_b32_e32 v0, 7, v5
	v_ffbh_u32_e32 v8, v0
	v_min_u32_e32 v8, 32, v8
	v_lshrrev_b16_e32 v4, 3, v5
	v_subrev_u32_e32 v9, 28, v8
	v_and_b32_e32 v4, 15, v4
	v_lshlrev_b32_e32 v9, v9, v5
	v_sub_u32_e32 v8, 29, v8
	v_and_b32_e32 v9, 7, v9
	v_cmp_eq_u16_e32 vcc, 0, v4
	v_cndmask_b32_e32 v0, v0, v9, vcc
	v_cndmask_b32_e32 v4, v4, v8, vcc
	v_lshlrev_b32_e32 v8, 24, v5
	v_mov_b32_e32 v9, 0x3b800000
	v_lshlrev_b32_e32 v0, 20, v0
	v_and_b32_e32 v8, 0x80000000, v8
	v_lshl_add_u32 v4, v4, 23, v9
	v_or3_b32 v0, v8, v4, v0
.LBB9_1956:
	s_or_b64 exec, exec, s[6:7]
	s_movk_i32 s4, 0x7f
	v_cmp_gt_i16_sdwa s[6:7], v1, s4 src0_sel:BYTE_0 src1_sel:DWORD
	s_mov_b64 s[4:5], 0
                                        ; implicit-def: $sgpr10
	s_and_saveexec_b64 s[8:9], s[6:7]
	s_xor_b64 s[6:7], exec, s[8:9]
	s_cbranch_execnz .LBB9_4005
; %bb.1957:
	s_or_saveexec_b64 s[6:7], s[6:7]
	v_mov_b32_e32 v4, s10
	s_xor_b64 exec, exec, s[6:7]
	s_cbranch_execnz .LBB9_4008
.LBB9_1958:
	s_or_b64 exec, exec, s[6:7]
	s_and_saveexec_b64 s[6:7], s[4:5]
	s_cbranch_execz .LBB9_1960
.LBB9_1959:
	v_and_b32_e32 v4, 7, v1
	v_ffbh_u32_e32 v9, v4
	v_min_u32_e32 v9, 32, v9
	v_lshrrev_b16_e32 v8, 3, v1
	v_subrev_u32_e32 v10, 28, v9
	v_and_b32_e32 v8, 15, v8
	v_lshlrev_b32_e32 v10, v10, v1
	v_sub_u32_e32 v9, 29, v9
	v_and_b32_e32 v10, 7, v10
	v_cmp_eq_u16_e32 vcc, 0, v8
	v_cndmask_b32_e32 v4, v4, v10, vcc
	v_cndmask_b32_e32 v8, v8, v9, vcc
	v_lshlrev_b32_e32 v9, 24, v1
	v_mov_b32_e32 v10, 0x3b800000
	v_lshlrev_b32_e32 v4, 20, v4
	v_and_b32_e32 v9, 0x80000000, v9
	v_lshl_add_u32 v8, v8, 23, v10
	v_or3_b32 v4, v9, v8, v4
.LBB9_1960:
	s_or_b64 exec, exec, s[6:7]
	s_nop 0
	v_mfma_f32_16x16x4f32 a[0:3], v0, v4, a[0:3]
	v_lshrrev_b32_e32 v4, 8, v5
	s_movk_i32 s4, 0x7f
	v_cmp_gt_i16_sdwa s[6:7], v4, s4 src0_sel:BYTE_0 src1_sel:DWORD
	s_mov_b64 s[4:5], 0
                                        ; implicit-def: $sgpr10
	s_and_saveexec_b64 s[8:9], s[6:7]
	s_xor_b64 s[6:7], exec, s[8:9]
	s_cbranch_execnz .LBB9_4009
; %bb.1961:
	s_or_saveexec_b64 s[6:7], s[6:7]
	v_mov_b32_e32 v0, s10
	s_xor_b64 exec, exec, s[6:7]
	s_cbranch_execnz .LBB9_4012
.LBB9_1962:
	s_or_b64 exec, exec, s[6:7]
	s_and_saveexec_b64 s[6:7], s[4:5]
	s_cbranch_execz .LBB9_1964
.LBB9_1963:
	v_bfe_u32 v0, v5, 8, 3
	v_ffbh_u32_e32 v9, v0
	v_min_u32_e32 v9, 32, v9
	v_lshrrev_b16_e32 v8, 3, v4
	v_subrev_u32_e32 v10, 28, v9
	v_and_b32_e32 v8, 15, v8
	v_lshlrev_b32_e32 v4, v10, v4
	v_sub_u32_e32 v9, 29, v9
	v_and_b32_e32 v4, 7, v4
	v_cmp_eq_u16_e32 vcc, 0, v8
	v_cndmask_b32_e32 v0, v0, v4, vcc
	v_cndmask_b32_e32 v4, v8, v9, vcc
	v_lshlrev_b32_e32 v8, 16, v5
	v_mov_b32_e32 v9, 0x3b800000
	v_lshlrev_b32_e32 v0, 20, v0
	v_and_b32_e32 v8, 0x80000000, v8
	v_lshl_add_u32 v4, v4, 23, v9
	v_or3_b32 v0, v8, v4, v0
.LBB9_1964:
	s_or_b64 exec, exec, s[6:7]
	v_lshrrev_b32_e32 v4, 8, v1
	s_movk_i32 s4, 0x7f
	v_cmp_gt_i16_sdwa s[6:7], v4, s4 src0_sel:BYTE_0 src1_sel:DWORD
	s_mov_b64 s[4:5], 0
                                        ; implicit-def: $sgpr10
	s_and_saveexec_b64 s[8:9], s[6:7]
	s_xor_b64 s[6:7], exec, s[8:9]
	s_cbranch_execnz .LBB9_4013
; %bb.1965:
	s_or_saveexec_b64 s[6:7], s[6:7]
	v_mov_b32_e32 v8, s10
	s_xor_b64 exec, exec, s[6:7]
	s_cbranch_execnz .LBB9_4016
.LBB9_1966:
	s_or_b64 exec, exec, s[6:7]
	s_and_saveexec_b64 s[6:7], s[4:5]
	s_cbranch_execz .LBB9_1968
.LBB9_1967:
	v_bfe_u32 v8, v1, 8, 3
	v_ffbh_u32_e32 v10, v8
	v_min_u32_e32 v10, 32, v10
	v_lshrrev_b16_e32 v9, 3, v4
	v_subrev_u32_e32 v11, 28, v10
	v_and_b32_e32 v9, 15, v9
	v_lshlrev_b32_e32 v4, v11, v4
	v_sub_u32_e32 v10, 29, v10
	v_and_b32_e32 v4, 7, v4
	v_cmp_eq_u16_e32 vcc, 0, v9
	v_cndmask_b32_e32 v4, v8, v4, vcc
	v_cndmask_b32_e32 v8, v9, v10, vcc
	v_lshlrev_b32_e32 v9, 16, v1
	v_mov_b32_e32 v10, 0x3b800000
	v_lshlrev_b32_e32 v4, 20, v4
	v_and_b32_e32 v9, 0x80000000, v9
	v_lshl_add_u32 v8, v8, 23, v10
	v_or3_b32 v8, v9, v8, v4
.LBB9_1968:
	s_or_b64 exec, exec, s[6:7]
	s_nop 0
	v_mfma_f32_16x16x4f32 a[0:3], v0, v8, a[0:3]
	s_movk_i32 s4, 0xff
	v_and_b32_sdwa v4, v5, s4 dst_sel:DWORD dst_unused:UNUSED_PAD src0_sel:WORD_1 src1_sel:DWORD
	s_movk_i32 s4, 0x7f
	v_cmp_lt_i16_e32 vcc, s4, v4
	s_mov_b64 s[4:5], 0
                                        ; implicit-def: $sgpr10
	s_and_saveexec_b64 s[6:7], vcc
	s_xor_b64 s[6:7], exec, s[6:7]
	s_cbranch_execnz .LBB9_4017
; %bb.1969:
	s_or_saveexec_b64 s[6:7], s[6:7]
	v_mov_b32_e32 v0, s10
	s_xor_b64 exec, exec, s[6:7]
	s_cbranch_execnz .LBB9_4020
.LBB9_1970:
	s_or_b64 exec, exec, s[6:7]
	s_and_saveexec_b64 s[6:7], s[4:5]
	s_cbranch_execz .LBB9_1972
.LBB9_1971:
	v_bfe_u32 v0, v5, 16, 3
	v_ffbh_u32_e32 v9, v0
	v_min_u32_e32 v9, 32, v9
	v_lshrrev_b32_e32 v4, 19, v5
	v_subrev_u32_e32 v10, 28, v9
	v_and_b32_e32 v4, 15, v4
	v_lshlrev_b32_sdwa v10, v10, v5 dst_sel:DWORD dst_unused:UNUSED_PAD src0_sel:DWORD src1_sel:WORD_1
	v_bfe_u32 v8, v5, 19, 4
	v_sub_u32_e32 v9, 29, v9
	v_and_b32_e32 v10, 7, v10
	v_cmp_eq_u16_e32 vcc, 0, v4
	v_cndmask_b32_e32 v0, v0, v10, vcc
	v_cndmask_b32_e32 v4, v8, v9, vcc
	v_lshlrev_b32_e32 v8, 8, v5
	v_mov_b32_e32 v9, 0x3b800000
	v_lshlrev_b32_e32 v0, 20, v0
	v_and_b32_e32 v8, 0x80000000, v8
	v_lshl_add_u32 v4, v4, 23, v9
	v_or3_b32 v0, v8, v4, v0
.LBB9_1972:
	s_or_b64 exec, exec, s[6:7]
	s_movk_i32 s4, 0xff
	v_and_b32_sdwa v4, v1, s4 dst_sel:DWORD dst_unused:UNUSED_PAD src0_sel:WORD_1 src1_sel:DWORD
	s_movk_i32 s4, 0x7f
	v_cmp_lt_i16_e32 vcc, s4, v4
	s_mov_b64 s[4:5], 0
                                        ; implicit-def: $sgpr10
	s_and_saveexec_b64 s[6:7], vcc
	s_xor_b64 s[6:7], exec, s[6:7]
	s_cbranch_execnz .LBB9_4021
; %bb.1973:
	s_or_saveexec_b64 s[6:7], s[6:7]
	v_mov_b32_e32 v8, s10
	s_xor_b64 exec, exec, s[6:7]
	s_cbranch_execnz .LBB9_4024
.LBB9_1974:
	s_or_b64 exec, exec, s[6:7]
	s_and_saveexec_b64 s[6:7], s[4:5]
	s_cbranch_execz .LBB9_1976
.LBB9_1975:
	v_bfe_u32 v4, v1, 16, 3
	v_ffbh_u32_e32 v10, v4
	v_min_u32_e32 v10, 32, v10
	v_lshrrev_b32_e32 v8, 19, v1
	v_subrev_u32_e32 v11, 28, v10
	v_and_b32_e32 v8, 15, v8
	v_lshlrev_b32_sdwa v11, v11, v1 dst_sel:DWORD dst_unused:UNUSED_PAD src0_sel:DWORD src1_sel:WORD_1
	v_bfe_u32 v9, v1, 19, 4
	v_sub_u32_e32 v10, 29, v10
	v_and_b32_e32 v11, 7, v11
	v_cmp_eq_u16_e32 vcc, 0, v8
	v_cndmask_b32_e32 v4, v4, v11, vcc
	v_cndmask_b32_e32 v8, v9, v10, vcc
	v_lshlrev_b32_e32 v9, 8, v1
	v_mov_b32_e32 v10, 0x3b800000
	v_lshlrev_b32_e32 v4, 20, v4
	v_and_b32_e32 v9, 0x80000000, v9
	v_lshl_add_u32 v8, v8, 23, v10
	v_or3_b32 v8, v9, v8, v4
.LBB9_1976:
	s_or_b64 exec, exec, s[6:7]
	s_nop 0
	v_mfma_f32_16x16x4f32 a[0:3], v0, v8, a[0:3]
	s_movk_i32 s4, 0x7f
	v_cmp_gt_i16_sdwa s[6:7], v5, s4 src0_sel:BYTE_3 src1_sel:DWORD
	s_mov_b64 s[4:5], 0
                                        ; implicit-def: $sgpr10
	s_and_saveexec_b64 s[8:9], s[6:7]
	s_xor_b64 s[6:7], exec, s[8:9]
	s_cbranch_execnz .LBB9_4025
; %bb.1977:
	s_or_saveexec_b64 s[6:7], s[6:7]
	v_mov_b32_e32 v0, s10
	s_xor_b64 exec, exec, s[6:7]
	s_cbranch_execnz .LBB9_4028
.LBB9_1978:
	s_or_b64 exec, exec, s[6:7]
	s_and_saveexec_b64 s[6:7], s[4:5]
	s_cbranch_execz .LBB9_1980
.LBB9_1979:
	v_bfe_u32 v0, v5, 24, 3
	v_ffbh_u32_e32 v10, v0
	v_min_u32_e32 v10, 32, v10
	v_lshrrev_b32_e32 v8, 27, v5
	v_subrev_u32_e32 v11, 28, v10
	v_and_b32_e32 v4, 0x80000000, v5
	v_and_b32_e32 v8, 15, v8
	v_bfe_u32 v9, v5, 27, 4
	v_lshlrev_b32_sdwa v5, v11, v5 dst_sel:DWORD dst_unused:UNUSED_PAD src0_sel:DWORD src1_sel:BYTE_3
	v_sub_u32_e32 v10, 29, v10
	v_and_b32_e32 v5, 7, v5
	v_cmp_eq_u16_e32 vcc, 0, v8
	v_cndmask_b32_e32 v0, v0, v5, vcc
	v_cndmask_b32_e32 v5, v9, v10, vcc
	v_mov_b32_e32 v8, 0x3b800000
	v_lshlrev_b32_e32 v0, 20, v0
	v_lshl_add_u32 v5, v5, 23, v8
	v_or3_b32 v0, v4, v5, v0
.LBB9_1980:
	s_or_b64 exec, exec, s[6:7]
	s_movk_i32 s4, 0x7f
	v_cmp_gt_i16_sdwa s[6:7], v1, s4 src0_sel:BYTE_3 src1_sel:DWORD
	s_mov_b64 s[4:5], 0
                                        ; implicit-def: $sgpr10
	s_and_saveexec_b64 s[8:9], s[6:7]
	s_xor_b64 s[6:7], exec, s[8:9]
	s_cbranch_execnz .LBB9_4029
; %bb.1981:
	s_or_saveexec_b64 s[6:7], s[6:7]
	v_mov_b32_e32 v4, s10
	s_xor_b64 exec, exec, s[6:7]
	s_cbranch_execnz .LBB9_4032
.LBB9_1982:
	s_or_b64 exec, exec, s[6:7]
	s_and_saveexec_b64 s[6:7], s[4:5]
	s_cbranch_execz .LBB9_1984
.LBB9_1983:
	v_bfe_u32 v4, v1, 24, 3
	v_ffbh_u32_e32 v10, v4
	v_min_u32_e32 v10, 32, v10
	v_lshrrev_b32_e32 v8, 27, v1
	v_subrev_u32_e32 v11, 28, v10
	v_and_b32_e32 v5, 0x80000000, v1
	v_and_b32_e32 v8, 15, v8
	v_bfe_u32 v9, v1, 27, 4
	v_lshlrev_b32_sdwa v1, v11, v1 dst_sel:DWORD dst_unused:UNUSED_PAD src0_sel:DWORD src1_sel:BYTE_3
	v_sub_u32_e32 v10, 29, v10
	v_and_b32_e32 v1, 7, v1
	v_cmp_eq_u16_e32 vcc, 0, v8
	v_cndmask_b32_e32 v1, v4, v1, vcc
	v_cndmask_b32_e32 v4, v9, v10, vcc
	v_mov_b32_e32 v8, 0x3b800000
	v_lshlrev_b32_e32 v1, 20, v1
	v_lshl_add_u32 v4, v4, 23, v8
	v_or3_b32 v4, v5, v4, v1
.LBB9_1984:
	s_or_b64 exec, exec, s[6:7]
	s_nop 0
	v_mfma_f32_16x16x4f32 a[0:3], v0, v4, a[0:3]
	s_movk_i32 s4, 0x7f
	v_cmp_gt_i16_sdwa s[6:7], v6, s4 src0_sel:BYTE_0 src1_sel:DWORD
	s_mov_b64 s[4:5], 0
                                        ; implicit-def: $sgpr10
	s_and_saveexec_b64 s[8:9], s[6:7]
	s_xor_b64 s[6:7], exec, s[8:9]
	s_cbranch_execnz .LBB9_4033
; %bb.1985:
	s_or_saveexec_b64 s[6:7], s[6:7]
	v_mov_b32_e32 v0, s10
	s_xor_b64 exec, exec, s[6:7]
	s_cbranch_execnz .LBB9_4036
.LBB9_1986:
	s_or_b64 exec, exec, s[6:7]
	s_and_saveexec_b64 s[6:7], s[4:5]
	s_cbranch_execz .LBB9_1988
.LBB9_1987:
	v_and_b32_e32 v0, 7, v6
	v_ffbh_u32_e32 v4, v0
	v_min_u32_e32 v4, 32, v4
	v_lshrrev_b16_e32 v1, 3, v6
	v_subrev_u32_e32 v5, 28, v4
	v_and_b32_e32 v1, 15, v1
	v_lshlrev_b32_e32 v5, v5, v6
	v_sub_u32_e32 v4, 29, v4
	v_and_b32_e32 v5, 7, v5
	v_cmp_eq_u16_e32 vcc, 0, v1
	v_cndmask_b32_e32 v0, v0, v5, vcc
	v_cndmask_b32_e32 v1, v1, v4, vcc
	v_lshlrev_b32_e32 v4, 24, v6
	v_mov_b32_e32 v5, 0x3b800000
	v_lshlrev_b32_e32 v0, 20, v0
	v_and_b32_e32 v4, 0x80000000, v4
	v_lshl_add_u32 v1, v1, 23, v5
	v_or3_b32 v0, v4, v1, v0
.LBB9_1988:
	s_or_b64 exec, exec, s[6:7]
	s_movk_i32 s4, 0x7f
	v_cmp_gt_i16_sdwa s[6:7], v2, s4 src0_sel:BYTE_0 src1_sel:DWORD
	s_mov_b64 s[4:5], 0
                                        ; implicit-def: $sgpr10
	s_and_saveexec_b64 s[8:9], s[6:7]
	s_xor_b64 s[6:7], exec, s[8:9]
	s_cbranch_execnz .LBB9_4037
; %bb.1989:
	s_or_saveexec_b64 s[6:7], s[6:7]
	v_mov_b32_e32 v1, s10
	s_xor_b64 exec, exec, s[6:7]
	s_cbranch_execnz .LBB9_4040
.LBB9_1990:
	s_or_b64 exec, exec, s[6:7]
	s_and_saveexec_b64 s[6:7], s[4:5]
	s_cbranch_execz .LBB9_1992
.LBB9_1991:
	v_and_b32_e32 v1, 7, v2
	v_ffbh_u32_e32 v5, v1
	v_min_u32_e32 v5, 32, v5
	v_lshrrev_b16_e32 v4, 3, v2
	v_subrev_u32_e32 v8, 28, v5
	v_and_b32_e32 v4, 15, v4
	v_lshlrev_b32_e32 v8, v8, v2
	v_sub_u32_e32 v5, 29, v5
	v_and_b32_e32 v8, 7, v8
	v_cmp_eq_u16_e32 vcc, 0, v4
	v_cndmask_b32_e32 v1, v1, v8, vcc
	v_cndmask_b32_e32 v4, v4, v5, vcc
	v_lshlrev_b32_e32 v5, 24, v2
	v_mov_b32_e32 v8, 0x3b800000
	v_lshlrev_b32_e32 v1, 20, v1
	v_and_b32_e32 v5, 0x80000000, v5
	v_lshl_add_u32 v4, v4, 23, v8
	v_or3_b32 v1, v5, v4, v1
.LBB9_1992:
	s_or_b64 exec, exec, s[6:7]
	s_nop 0
	v_mfma_f32_16x16x4f32 a[0:3], v0, v1, a[0:3]
	v_lshrrev_b32_e32 v1, 8, v6
	s_movk_i32 s4, 0x7f
	v_cmp_gt_i16_sdwa s[6:7], v1, s4 src0_sel:BYTE_0 src1_sel:DWORD
	s_mov_b64 s[4:5], 0
                                        ; implicit-def: $sgpr10
	s_and_saveexec_b64 s[8:9], s[6:7]
	s_xor_b64 s[6:7], exec, s[8:9]
	s_cbranch_execnz .LBB9_4041
; %bb.1993:
	s_or_saveexec_b64 s[6:7], s[6:7]
	v_mov_b32_e32 v0, s10
	s_xor_b64 exec, exec, s[6:7]
	s_cbranch_execnz .LBB9_4044
.LBB9_1994:
	s_or_b64 exec, exec, s[6:7]
	s_and_saveexec_b64 s[6:7], s[4:5]
	s_cbranch_execz .LBB9_1996
.LBB9_1995:
	v_bfe_u32 v0, v6, 8, 3
	v_ffbh_u32_e32 v5, v0
	v_min_u32_e32 v5, 32, v5
	v_lshrrev_b16_e32 v4, 3, v1
	v_subrev_u32_e32 v8, 28, v5
	v_and_b32_e32 v4, 15, v4
	v_lshlrev_b32_e32 v1, v8, v1
	v_sub_u32_e32 v5, 29, v5
	v_and_b32_e32 v1, 7, v1
	v_cmp_eq_u16_e32 vcc, 0, v4
	v_cndmask_b32_e32 v0, v0, v1, vcc
	v_cndmask_b32_e32 v1, v4, v5, vcc
	v_lshlrev_b32_e32 v4, 16, v6
	v_mov_b32_e32 v5, 0x3b800000
	v_lshlrev_b32_e32 v0, 20, v0
	v_and_b32_e32 v4, 0x80000000, v4
	v_lshl_add_u32 v1, v1, 23, v5
	v_or3_b32 v0, v4, v1, v0
.LBB9_1996:
	s_or_b64 exec, exec, s[6:7]
	v_lshrrev_b32_e32 v1, 8, v2
	s_movk_i32 s4, 0x7f
	v_cmp_gt_i16_sdwa s[6:7], v1, s4 src0_sel:BYTE_0 src1_sel:DWORD
	s_mov_b64 s[4:5], 0
                                        ; implicit-def: $sgpr10
	s_and_saveexec_b64 s[8:9], s[6:7]
	s_xor_b64 s[6:7], exec, s[8:9]
	s_cbranch_execnz .LBB9_4045
; %bb.1997:
	s_or_saveexec_b64 s[6:7], s[6:7]
	v_mov_b32_e32 v4, s10
	s_xor_b64 exec, exec, s[6:7]
	s_cbranch_execnz .LBB9_4048
.LBB9_1998:
	s_or_b64 exec, exec, s[6:7]
	s_and_saveexec_b64 s[6:7], s[4:5]
	s_cbranch_execz .LBB9_2000
.LBB9_1999:
	v_bfe_u32 v4, v2, 8, 3
	v_ffbh_u32_e32 v8, v4
	v_min_u32_e32 v8, 32, v8
	v_lshrrev_b16_e32 v5, 3, v1
	v_subrev_u32_e32 v9, 28, v8
	v_and_b32_e32 v5, 15, v5
	v_lshlrev_b32_e32 v1, v9, v1
	v_sub_u32_e32 v8, 29, v8
	v_and_b32_e32 v1, 7, v1
	v_cmp_eq_u16_e32 vcc, 0, v5
	v_cndmask_b32_e32 v1, v4, v1, vcc
	v_cndmask_b32_e32 v4, v5, v8, vcc
	v_lshlrev_b32_e32 v5, 16, v2
	v_mov_b32_e32 v8, 0x3b800000
	v_lshlrev_b32_e32 v1, 20, v1
	v_and_b32_e32 v5, 0x80000000, v5
	v_lshl_add_u32 v4, v4, 23, v8
	v_or3_b32 v4, v5, v4, v1
.LBB9_2000:
	s_or_b64 exec, exec, s[6:7]
	s_nop 0
	v_mfma_f32_16x16x4f32 a[0:3], v0, v4, a[0:3]
	s_movk_i32 s4, 0xff
	v_and_b32_sdwa v1, v6, s4 dst_sel:DWORD dst_unused:UNUSED_PAD src0_sel:WORD_1 src1_sel:DWORD
	s_movk_i32 s4, 0x7f
	v_cmp_lt_i16_e32 vcc, s4, v1
	s_mov_b64 s[4:5], 0
                                        ; implicit-def: $sgpr10
	s_and_saveexec_b64 s[6:7], vcc
	s_xor_b64 s[6:7], exec, s[6:7]
	s_cbranch_execnz .LBB9_4049
; %bb.2001:
	s_or_saveexec_b64 s[6:7], s[6:7]
	v_mov_b32_e32 v0, s10
	s_xor_b64 exec, exec, s[6:7]
	s_cbranch_execnz .LBB9_4052
.LBB9_2002:
	s_or_b64 exec, exec, s[6:7]
	s_and_saveexec_b64 s[6:7], s[4:5]
	s_cbranch_execz .LBB9_2004
.LBB9_2003:
	v_bfe_u32 v0, v6, 16, 3
	v_ffbh_u32_e32 v5, v0
	v_min_u32_e32 v5, 32, v5
	v_lshrrev_b32_e32 v1, 19, v6
	v_subrev_u32_e32 v8, 28, v5
	v_and_b32_e32 v1, 15, v1
	v_lshlrev_b32_sdwa v8, v8, v6 dst_sel:DWORD dst_unused:UNUSED_PAD src0_sel:DWORD src1_sel:WORD_1
	v_bfe_u32 v4, v6, 19, 4
	v_sub_u32_e32 v5, 29, v5
	v_and_b32_e32 v8, 7, v8
	v_cmp_eq_u16_e32 vcc, 0, v1
	v_cndmask_b32_e32 v0, v0, v8, vcc
	v_cndmask_b32_e32 v1, v4, v5, vcc
	v_lshlrev_b32_e32 v4, 8, v6
	v_mov_b32_e32 v5, 0x3b800000
	v_lshlrev_b32_e32 v0, 20, v0
	v_and_b32_e32 v4, 0x80000000, v4
	v_lshl_add_u32 v1, v1, 23, v5
	v_or3_b32 v0, v4, v1, v0
.LBB9_2004:
	s_or_b64 exec, exec, s[6:7]
	s_movk_i32 s4, 0xff
	v_and_b32_sdwa v1, v2, s4 dst_sel:DWORD dst_unused:UNUSED_PAD src0_sel:WORD_1 src1_sel:DWORD
	s_movk_i32 s4, 0x7f
	v_cmp_lt_i16_e32 vcc, s4, v1
	s_mov_b64 s[4:5], 0
                                        ; implicit-def: $sgpr10
	s_and_saveexec_b64 s[6:7], vcc
	s_xor_b64 s[6:7], exec, s[6:7]
	s_cbranch_execnz .LBB9_4053
; %bb.2005:
	s_or_saveexec_b64 s[6:7], s[6:7]
	v_mov_b32_e32 v4, s10
	s_xor_b64 exec, exec, s[6:7]
	s_cbranch_execnz .LBB9_4056
.LBB9_2006:
	s_or_b64 exec, exec, s[6:7]
	s_and_saveexec_b64 s[6:7], s[4:5]
	s_cbranch_execz .LBB9_2008
.LBB9_2007:
	v_bfe_u32 v1, v2, 16, 3
	v_ffbh_u32_e32 v8, v1
	v_min_u32_e32 v8, 32, v8
	v_lshrrev_b32_e32 v4, 19, v2
	v_subrev_u32_e32 v9, 28, v8
	v_and_b32_e32 v4, 15, v4
	v_lshlrev_b32_sdwa v9, v9, v2 dst_sel:DWORD dst_unused:UNUSED_PAD src0_sel:DWORD src1_sel:WORD_1
	v_bfe_u32 v5, v2, 19, 4
	v_sub_u32_e32 v8, 29, v8
	v_and_b32_e32 v9, 7, v9
	v_cmp_eq_u16_e32 vcc, 0, v4
	v_cndmask_b32_e32 v1, v1, v9, vcc
	v_cndmask_b32_e32 v4, v5, v8, vcc
	v_lshlrev_b32_e32 v5, 8, v2
	v_mov_b32_e32 v8, 0x3b800000
	v_lshlrev_b32_e32 v1, 20, v1
	v_and_b32_e32 v5, 0x80000000, v5
	v_lshl_add_u32 v4, v4, 23, v8
	v_or3_b32 v4, v5, v4, v1
.LBB9_2008:
	s_or_b64 exec, exec, s[6:7]
	s_nop 0
	v_mfma_f32_16x16x4f32 a[0:3], v0, v4, a[0:3]
	s_movk_i32 s4, 0x7f
	v_cmp_gt_i16_sdwa s[6:7], v6, s4 src0_sel:BYTE_3 src1_sel:DWORD
	s_mov_b64 s[4:5], 0
                                        ; implicit-def: $sgpr10
	s_and_saveexec_b64 s[8:9], s[6:7]
	s_xor_b64 s[6:7], exec, s[8:9]
	s_cbranch_execnz .LBB9_4057
; %bb.2009:
	s_or_saveexec_b64 s[6:7], s[6:7]
	v_mov_b32_e32 v0, s10
	s_xor_b64 exec, exec, s[6:7]
	s_cbranch_execnz .LBB9_4060
.LBB9_2010:
	s_or_b64 exec, exec, s[6:7]
	s_and_saveexec_b64 s[6:7], s[4:5]
	s_cbranch_execz .LBB9_2012
.LBB9_2011:
	v_bfe_u32 v0, v6, 24, 3
	v_ffbh_u32_e32 v8, v0
	v_min_u32_e32 v8, 32, v8
	v_lshrrev_b32_e32 v4, 27, v6
	v_subrev_u32_e32 v9, 28, v8
	v_and_b32_e32 v1, 0x80000000, v6
	v_and_b32_e32 v4, 15, v4
	v_bfe_u32 v5, v6, 27, 4
	v_lshlrev_b32_sdwa v6, v9, v6 dst_sel:DWORD dst_unused:UNUSED_PAD src0_sel:DWORD src1_sel:BYTE_3
	v_sub_u32_e32 v8, 29, v8
	v_and_b32_e32 v6, 7, v6
	v_cmp_eq_u16_e32 vcc, 0, v4
	v_cndmask_b32_e32 v0, v0, v6, vcc
	v_cndmask_b32_e32 v4, v5, v8, vcc
	v_mov_b32_e32 v5, 0x3b800000
	v_lshlrev_b32_e32 v0, 20, v0
	v_lshl_add_u32 v4, v4, 23, v5
	v_or3_b32 v0, v1, v4, v0
.LBB9_2012:
	s_or_b64 exec, exec, s[6:7]
	s_movk_i32 s4, 0x7f
	v_cmp_gt_i16_sdwa s[6:7], v2, s4 src0_sel:BYTE_3 src1_sel:DWORD
	s_mov_b64 s[4:5], 0
                                        ; implicit-def: $sgpr10
	s_and_saveexec_b64 s[8:9], s[6:7]
	s_xor_b64 s[6:7], exec, s[8:9]
	s_cbranch_execnz .LBB9_4061
; %bb.2013:
	s_or_saveexec_b64 s[6:7], s[6:7]
	v_mov_b32_e32 v1, s10
	s_xor_b64 exec, exec, s[6:7]
	s_cbranch_execnz .LBB9_4064
.LBB9_2014:
	s_or_b64 exec, exec, s[6:7]
	s_and_saveexec_b64 s[6:7], s[4:5]
	s_cbranch_execz .LBB9_2016
.LBB9_2015:
	v_bfe_u32 v1, v2, 24, 3
	v_ffbh_u32_e32 v8, v1
	v_min_u32_e32 v8, 32, v8
	v_lshrrev_b32_e32 v5, 27, v2
	v_subrev_u32_e32 v9, 28, v8
	v_and_b32_e32 v4, 0x80000000, v2
	v_and_b32_e32 v5, 15, v5
	v_bfe_u32 v6, v2, 27, 4
	v_lshlrev_b32_sdwa v2, v9, v2 dst_sel:DWORD dst_unused:UNUSED_PAD src0_sel:DWORD src1_sel:BYTE_3
	v_sub_u32_e32 v8, 29, v8
	v_and_b32_e32 v2, 7, v2
	v_cmp_eq_u16_e32 vcc, 0, v5
	v_cndmask_b32_e32 v1, v1, v2, vcc
	v_cndmask_b32_e32 v2, v6, v8, vcc
	v_mov_b32_e32 v5, 0x3b800000
	v_lshlrev_b32_e32 v1, 20, v1
	v_lshl_add_u32 v2, v2, 23, v5
	v_or3_b32 v1, v4, v2, v1
.LBB9_2016:
	s_or_b64 exec, exec, s[6:7]
	s_nop 0
	v_mfma_f32_16x16x4f32 a[0:3], v0, v1, a[0:3]
	s_movk_i32 s4, 0x7f
	v_cmp_gt_i16_sdwa s[6:7], v7, s4 src0_sel:BYTE_0 src1_sel:DWORD
	s_mov_b64 s[4:5], 0
                                        ; implicit-def: $sgpr10
	s_and_saveexec_b64 s[8:9], s[6:7]
	s_xor_b64 s[6:7], exec, s[8:9]
	s_cbranch_execnz .LBB9_4065
; %bb.2017:
	s_or_saveexec_b64 s[6:7], s[6:7]
	v_mov_b32_e32 v0, s10
	s_xor_b64 exec, exec, s[6:7]
	s_cbranch_execnz .LBB9_4068
.LBB9_2018:
	s_or_b64 exec, exec, s[6:7]
	s_and_saveexec_b64 s[6:7], s[4:5]
	s_cbranch_execz .LBB9_2020
.LBB9_2019:
	v_mov_b32_e32 v0, 8
	v_and_b32_e32 v1, 7, v7
	v_lshrrev_b32_sdwa v0, v0, v7 dst_sel:BYTE_1 dst_unused:UNUSED_PAD src0_sel:DWORD src1_sel:DWORD
	v_ffbh_u32_e32 v2, v1
	v_or_b32_sdwa v0, v7, v0 dst_sel:DWORD dst_unused:UNUSED_PAD src0_sel:BYTE_0 src1_sel:DWORD
	v_min_u32_e32 v2, 32, v2
	v_lshrrev_b16_e32 v0, 3, v0
	v_subrev_u32_e32 v4, 28, v2
	v_and_b32_e32 v0, 15, v0
	v_lshlrev_b32_e32 v4, v4, v7
	v_sub_u32_e32 v2, 29, v2
	v_and_b32_e32 v4, 7, v4
	v_cmp_eq_u16_e32 vcc, 0, v0
	v_cndmask_b32_e32 v1, v1, v4, vcc
	v_cndmask_b32_e32 v0, v0, v2, vcc
	v_lshlrev_b32_e32 v2, 24, v7
	v_mov_b32_e32 v4, 0x3b800000
	v_lshlrev_b32_e32 v1, 20, v1
	v_and_b32_e32 v2, 0x80000000, v2
	v_lshl_add_u32 v0, v0, 23, v4
	v_or3_b32 v0, v2, v0, v1
.LBB9_2020:
	s_or_b64 exec, exec, s[6:7]
	s_movk_i32 s4, 0x7f
	v_cmp_gt_i16_sdwa s[6:7], v3, s4 src0_sel:BYTE_0 src1_sel:DWORD
	s_mov_b64 s[4:5], 0
                                        ; implicit-def: $sgpr10
	s_and_saveexec_b64 s[8:9], s[6:7]
	s_xor_b64 s[6:7], exec, s[8:9]
	s_cbranch_execnz .LBB9_4069
; %bb.2021:
	s_or_saveexec_b64 s[6:7], s[6:7]
	v_mov_b32_e32 v1, s10
	s_xor_b64 exec, exec, s[6:7]
	s_cbranch_execnz .LBB9_4072
.LBB9_2022:
	s_or_b64 exec, exec, s[6:7]
	s_and_saveexec_b64 s[6:7], s[4:5]
	s_cbranch_execz .LBB9_2024
.LBB9_2023:
	v_mov_b32_e32 v1, 8
	v_and_b32_e32 v2, 7, v3
	v_lshrrev_b32_sdwa v1, v1, v3 dst_sel:BYTE_1 dst_unused:UNUSED_PAD src0_sel:DWORD src1_sel:DWORD
	v_ffbh_u32_e32 v4, v2
	v_or_b32_sdwa v1, v3, v1 dst_sel:DWORD dst_unused:UNUSED_PAD src0_sel:BYTE_0 src1_sel:DWORD
	v_min_u32_e32 v4, 32, v4
	v_lshrrev_b16_e32 v1, 3, v1
	v_subrev_u32_e32 v5, 28, v4
	v_and_b32_e32 v1, 15, v1
	v_lshlrev_b32_e32 v5, v5, v3
	v_sub_u32_e32 v4, 29, v4
	v_and_b32_e32 v5, 7, v5
	v_cmp_eq_u16_e32 vcc, 0, v1
	v_cndmask_b32_e32 v2, v2, v5, vcc
	v_cndmask_b32_e32 v1, v1, v4, vcc
	v_lshlrev_b32_e32 v4, 24, v3
	v_mov_b32_e32 v5, 0x3b800000
	v_lshlrev_b32_e32 v2, 20, v2
	v_and_b32_e32 v4, 0x80000000, v4
	v_lshl_add_u32 v1, v1, 23, v5
	v_or3_b32 v1, v4, v1, v2
.LBB9_2024:
	s_or_b64 exec, exec, s[6:7]
	s_nop 0
	v_mfma_f32_16x16x4f32 a[0:3], v0, v1, a[0:3]
	v_lshrrev_b32_e32 v1, 8, v7
	s_movk_i32 s4, 0x7f
	v_cmp_gt_i16_sdwa s[6:7], v1, s4 src0_sel:BYTE_0 src1_sel:DWORD
	s_mov_b64 s[4:5], 0
                                        ; implicit-def: $sgpr10
	s_and_saveexec_b64 s[8:9], s[6:7]
	s_xor_b64 s[6:7], exec, s[8:9]
	s_cbranch_execnz .LBB9_4073
; %bb.2025:
	s_or_saveexec_b64 s[6:7], s[6:7]
	v_mov_b32_e32 v0, s10
	s_xor_b64 exec, exec, s[6:7]
	s_cbranch_execnz .LBB9_4076
.LBB9_2026:
	s_or_b64 exec, exec, s[6:7]
	s_and_saveexec_b64 s[6:7], s[4:5]
	s_cbranch_execz .LBB9_2028
.LBB9_2027:
	v_bfe_u32 v0, v7, 8, 3
	v_ffbh_u32_e32 v4, v0
	v_min_u32_e32 v4, 32, v4
	v_lshrrev_b16_e32 v2, 3, v1
	v_subrev_u32_e32 v5, 28, v4
	v_and_b32_e32 v2, 15, v2
	v_lshlrev_b32_e32 v1, v5, v1
	v_sub_u32_e32 v4, 29, v4
	v_and_b32_e32 v1, 7, v1
	v_cmp_eq_u16_e32 vcc, 0, v2
	v_cndmask_b32_e32 v0, v0, v1, vcc
	v_cndmask_b32_e32 v1, v2, v4, vcc
	v_lshlrev_b32_e32 v2, 16, v7
	v_mov_b32_e32 v4, 0x3b800000
	v_lshlrev_b32_e32 v0, 20, v0
	v_and_b32_e32 v2, 0x80000000, v2
	v_lshl_add_u32 v1, v1, 23, v4
	v_or3_b32 v0, v2, v1, v0
.LBB9_2028:
	s_or_b64 exec, exec, s[6:7]
	v_lshrrev_b32_e32 v1, 8, v3
	s_movk_i32 s4, 0x7f
	v_cmp_gt_i16_sdwa s[6:7], v1, s4 src0_sel:BYTE_0 src1_sel:DWORD
	s_mov_b64 s[4:5], 0
                                        ; implicit-def: $sgpr10
	s_and_saveexec_b64 s[8:9], s[6:7]
	s_xor_b64 s[6:7], exec, s[8:9]
	s_cbranch_execnz .LBB9_4077
; %bb.2029:
	s_or_saveexec_b64 s[6:7], s[6:7]
	v_mov_b32_e32 v2, s10
	s_xor_b64 exec, exec, s[6:7]
	s_cbranch_execnz .LBB9_4080
.LBB9_2030:
	s_or_b64 exec, exec, s[6:7]
	s_and_saveexec_b64 s[6:7], s[4:5]
	s_cbranch_execz .LBB9_2032
.LBB9_2031:
	v_bfe_u32 v2, v3, 8, 3
	v_ffbh_u32_e32 v5, v2
	v_min_u32_e32 v5, 32, v5
	v_lshrrev_b16_e32 v4, 3, v1
	v_subrev_u32_e32 v6, 28, v5
	v_and_b32_e32 v4, 15, v4
	v_lshlrev_b32_e32 v1, v6, v1
	v_sub_u32_e32 v5, 29, v5
	v_and_b32_e32 v1, 7, v1
	v_cmp_eq_u16_e32 vcc, 0, v4
	v_cndmask_b32_e32 v1, v2, v1, vcc
	v_cndmask_b32_e32 v2, v4, v5, vcc
	v_lshlrev_b32_e32 v4, 16, v3
	v_mov_b32_e32 v5, 0x3b800000
	v_lshlrev_b32_e32 v1, 20, v1
	v_and_b32_e32 v4, 0x80000000, v4
	v_lshl_add_u32 v2, v2, 23, v5
	v_or3_b32 v2, v4, v2, v1
.LBB9_2032:
	s_or_b64 exec, exec, s[6:7]
	s_nop 0
	v_mfma_f32_16x16x4f32 a[0:3], v0, v2, a[0:3]
	s_movk_i32 s4, 0xff
	v_and_b32_sdwa v1, v7, s4 dst_sel:DWORD dst_unused:UNUSED_PAD src0_sel:WORD_1 src1_sel:DWORD
	s_movk_i32 s4, 0x7f
	v_cmp_lt_i16_e32 vcc, s4, v1
	s_mov_b64 s[4:5], 0
                                        ; implicit-def: $sgpr10
	s_and_saveexec_b64 s[6:7], vcc
	s_xor_b64 s[6:7], exec, s[6:7]
	s_cbranch_execnz .LBB9_4081
; %bb.2033:
	s_or_saveexec_b64 s[6:7], s[6:7]
	v_mov_b32_e32 v0, s10
	s_xor_b64 exec, exec, s[6:7]
	s_cbranch_execnz .LBB9_4084
.LBB9_2034:
	s_or_b64 exec, exec, s[6:7]
	s_and_saveexec_b64 s[6:7], s[4:5]
	s_cbranch_execz .LBB9_2036
.LBB9_2035:
	v_bfe_u32 v0, v7, 16, 3
	v_ffbh_u32_e32 v4, v0
	v_min_u32_e32 v4, 32, v4
	v_lshrrev_b32_e32 v1, 19, v7
	v_subrev_u32_e32 v5, 28, v4
	v_and_b32_e32 v1, 15, v1
	v_lshlrev_b32_sdwa v5, v5, v7 dst_sel:DWORD dst_unused:UNUSED_PAD src0_sel:DWORD src1_sel:WORD_1
	v_bfe_u32 v2, v7, 19, 4
	v_sub_u32_e32 v4, 29, v4
	v_and_b32_e32 v5, 7, v5
	v_cmp_eq_u16_e32 vcc, 0, v1
	v_cndmask_b32_e32 v0, v0, v5, vcc
	v_cndmask_b32_e32 v1, v2, v4, vcc
	v_lshlrev_b32_e32 v2, 8, v7
	v_mov_b32_e32 v4, 0x3b800000
	v_lshlrev_b32_e32 v0, 20, v0
	v_and_b32_e32 v2, 0x80000000, v2
	v_lshl_add_u32 v1, v1, 23, v4
	v_or3_b32 v0, v2, v1, v0
.LBB9_2036:
	s_or_b64 exec, exec, s[6:7]
	s_movk_i32 s4, 0xff
	v_and_b32_sdwa v1, v3, s4 dst_sel:DWORD dst_unused:UNUSED_PAD src0_sel:WORD_1 src1_sel:DWORD
	s_movk_i32 s4, 0x7f
	v_cmp_lt_i16_e32 vcc, s4, v1
	s_mov_b64 s[4:5], 0
                                        ; implicit-def: $sgpr10
	s_and_saveexec_b64 s[6:7], vcc
	s_xor_b64 s[6:7], exec, s[6:7]
	s_cbranch_execnz .LBB9_4085
; %bb.2037:
	s_or_saveexec_b64 s[6:7], s[6:7]
	v_mov_b32_e32 v2, s10
	s_xor_b64 exec, exec, s[6:7]
	s_cbranch_execnz .LBB9_4088
.LBB9_2038:
	s_or_b64 exec, exec, s[6:7]
	s_and_saveexec_b64 s[6:7], s[4:5]
	s_cbranch_execz .LBB9_2040
.LBB9_2039:
	v_bfe_u32 v1, v3, 16, 3
	v_ffbh_u32_e32 v5, v1
	v_min_u32_e32 v5, 32, v5
	v_lshrrev_b32_e32 v2, 19, v3
	v_subrev_u32_e32 v6, 28, v5
	v_and_b32_e32 v2, 15, v2
	v_lshlrev_b32_sdwa v6, v6, v3 dst_sel:DWORD dst_unused:UNUSED_PAD src0_sel:DWORD src1_sel:WORD_1
	v_bfe_u32 v4, v3, 19, 4
	v_sub_u32_e32 v5, 29, v5
	v_and_b32_e32 v6, 7, v6
	v_cmp_eq_u16_e32 vcc, 0, v2
	v_cndmask_b32_e32 v1, v1, v6, vcc
	v_cndmask_b32_e32 v2, v4, v5, vcc
	v_lshlrev_b32_e32 v4, 8, v3
	v_mov_b32_e32 v5, 0x3b800000
	v_lshlrev_b32_e32 v1, 20, v1
	v_and_b32_e32 v4, 0x80000000, v4
	v_lshl_add_u32 v2, v2, 23, v5
	v_or3_b32 v2, v4, v2, v1
.LBB9_2040:
	s_or_b64 exec, exec, s[6:7]
	s_nop 0
	v_mfma_f32_16x16x4f32 a[0:3], v0, v2, a[0:3]
	s_movk_i32 s4, 0x7f
	v_cmp_gt_i16_sdwa s[6:7], v7, s4 src0_sel:BYTE_3 src1_sel:DWORD
	s_mov_b64 s[4:5], 0
                                        ; implicit-def: $sgpr10
	s_and_saveexec_b64 s[8:9], s[6:7]
	s_xor_b64 s[6:7], exec, s[8:9]
	s_cbranch_execnz .LBB9_4089
; %bb.2041:
	s_or_saveexec_b64 s[6:7], s[6:7]
	v_mov_b32_e32 v0, s10
	s_xor_b64 exec, exec, s[6:7]
	s_cbranch_execnz .LBB9_4092
.LBB9_2042:
	s_or_b64 exec, exec, s[6:7]
	s_and_saveexec_b64 s[6:7], s[4:5]
	s_cbranch_execz .LBB9_2044
.LBB9_2043:
	v_bfe_u32 v0, v7, 24, 3
	v_ffbh_u32_e32 v5, v0
	v_min_u32_e32 v5, 32, v5
	v_lshrrev_b32_e32 v2, 27, v7
	v_subrev_u32_e32 v6, 28, v5
	v_and_b32_e32 v2, 15, v2
	v_lshlrev_b32_sdwa v6, v6, v7 dst_sel:DWORD dst_unused:UNUSED_PAD src0_sel:DWORD src1_sel:BYTE_3
	v_bfe_u32 v4, v7, 27, 4
	v_sub_u32_e32 v5, 29, v5
	v_and_b32_e32 v6, 7, v6
	v_cmp_eq_u16_e32 vcc, 0, v2
	v_cndmask_b32_e32 v0, v0, v6, vcc
	v_cndmask_b32_e32 v2, v4, v5, vcc
	v_mov_b32_e32 v4, 0x3b800000
	v_and_b32_e32 v1, 0x80000000, v7
	v_lshlrev_b32_e32 v0, 20, v0
	v_lshl_add_u32 v2, v2, 23, v4
	v_or3_b32 v0, v1, v2, v0
.LBB9_2044:
	s_or_b64 exec, exec, s[6:7]
	s_movk_i32 s4, 0x7f
	v_cmp_gt_i16_sdwa s[6:7], v3, s4 src0_sel:BYTE_3 src1_sel:DWORD
	s_mov_b64 s[4:5], 0
                                        ; implicit-def: $sgpr10
	s_and_saveexec_b64 s[8:9], s[6:7]
	s_xor_b64 s[6:7], exec, s[8:9]
	s_cbranch_execnz .LBB9_4093
; %bb.2045:
	s_or_saveexec_b64 s[6:7], s[6:7]
	v_mov_b32_e32 v1, s10
	s_xor_b64 exec, exec, s[6:7]
	s_cbranch_execnz .LBB9_4096
.LBB9_2046:
	s_or_b64 exec, exec, s[6:7]
	s_and_saveexec_b64 s[6:7], s[4:5]
	s_cbranch_execz .LBB9_2048
.LBB9_2047:
	v_bfe_u32 v1, v3, 24, 3
	v_ffbh_u32_e32 v6, v1
	v_min_u32_e32 v6, 32, v6
	v_lshrrev_b32_e32 v4, 27, v3
	v_subrev_u32_e32 v7, 28, v6
	v_and_b32_e32 v2, 0x80000000, v3
	v_and_b32_e32 v4, 15, v4
	v_bfe_u32 v5, v3, 27, 4
	v_lshlrev_b32_sdwa v3, v7, v3 dst_sel:DWORD dst_unused:UNUSED_PAD src0_sel:DWORD src1_sel:BYTE_3
	v_sub_u32_e32 v6, 29, v6
	v_and_b32_e32 v3, 7, v3
	v_cmp_eq_u16_e32 vcc, 0, v4
	v_cndmask_b32_e32 v1, v1, v3, vcc
	v_cndmask_b32_e32 v3, v5, v6, vcc
	v_mov_b32_e32 v4, 0x3b800000
	v_lshlrev_b32_e32 v1, 20, v1
	v_lshl_add_u32 v3, v3, 23, v4
	v_or3_b32 v1, v2, v3, v1
.LBB9_2048:
	s_or_b64 exec, exec, s[6:7]
	s_nop 0
	v_mfma_f32_16x16x4f32 a[0:3], v0, v1, a[0:3]
	s_nop 7
	s_nop 2
	flat_store_dwordx4 v[16:17], a[0:3] offset:1008
	s_waitcnt vmcnt(0) lgkmcnt(0)
	s_setpc_b64 s[30:31]
.LBB9_2049:
	s_movk_i32 s4, 0x80
	v_cmp_eq_u16_sdwa s[12:13], v14, s4 src0_sel:BYTE_0 src1_sel:DWORD
	s_mov_b64 s[4:5], -1
                                        ; implicit-def: $sgpr10
	s_and_saveexec_b64 s[8:9], s[12:13]
; %bb.2050:
	s_mov_b32 s10, 0x7f800001
	s_xor_b64 s[4:5], exec, -1
; %bb.2051:
	s_or_b64 exec, exec, s[8:9]
	s_and_b64 s[4:5], s[4:5], exec
	s_or_saveexec_b64 s[6:7], s[6:7]
	v_mov_b32_e32 v20, s10
	s_xor_b64 exec, exec, s[6:7]
	s_cbranch_execz .LBB9_2
.LBB9_2052:
	v_mov_b32_e32 v20, 0
	v_cmp_ne_u16_sdwa s[8:9], v14, v20 src0_sel:BYTE_0 src1_sel:DWORD
	s_andn2_b64 s[4:5], s[4:5], exec
	s_and_b64 s[8:9], s[8:9], exec
	s_or_b64 s[4:5], s[4:5], s[8:9]
	s_or_b64 exec, exec, s[6:7]
	s_and_saveexec_b64 s[6:7], s[4:5]
	s_cbranch_execnz .LBB9_3
	s_branch .LBB9_4
.LBB9_2053:
	s_movk_i32 s4, 0x80
	v_cmp_eq_u16_sdwa s[12:13], v10, s4 src0_sel:BYTE_0 src1_sel:DWORD
	s_mov_b64 s[4:5], -1
                                        ; implicit-def: $sgpr10
	s_and_saveexec_b64 s[8:9], s[12:13]
; %bb.2054:
	s_mov_b32 s10, 0x7f800001
	s_xor_b64 s[4:5], exec, -1
; %bb.2055:
	s_or_b64 exec, exec, s[8:9]
	s_and_b64 s[4:5], s[4:5], exec
	s_or_saveexec_b64 s[6:7], s[6:7]
	v_mov_b32_e32 v21, s10
	s_xor_b64 exec, exec, s[6:7]
	s_cbranch_execz .LBB9_6
.LBB9_2056:
	v_mov_b32_e32 v21, 0
	v_cmp_ne_u16_sdwa s[8:9], v10, v21 src0_sel:BYTE_0 src1_sel:DWORD
	s_andn2_b64 s[4:5], s[4:5], exec
	s_and_b64 s[8:9], s[8:9], exec
	s_or_b64 s[4:5], s[4:5], s[8:9]
	s_or_b64 exec, exec, s[6:7]
	s_and_saveexec_b64 s[6:7], s[4:5]
	s_cbranch_execnz .LBB9_7
	s_branch .LBB9_8
.LBB9_2057:
	s_movk_i32 s4, 0x80
	v_cmp_eq_u16_sdwa s[12:13], v21, s4 src0_sel:BYTE_0 src1_sel:DWORD
	s_mov_b64 s[4:5], -1
                                        ; implicit-def: $sgpr10
	s_and_saveexec_b64 s[8:9], s[12:13]
; %bb.2058:
	s_mov_b32 s10, 0x7f800001
	s_xor_b64 s[4:5], exec, -1
; %bb.2059:
	s_or_b64 exec, exec, s[8:9]
	s_and_b64 s[4:5], s[4:5], exec
	s_or_saveexec_b64 s[6:7], s[6:7]
	v_mov_b32_e32 v20, s10
	s_xor_b64 exec, exec, s[6:7]
	s_cbranch_execz .LBB9_10
.LBB9_2060:
	v_mov_b32_e32 v20, 0
	v_cmp_ne_u16_sdwa s[8:9], v21, v20 src0_sel:BYTE_0 src1_sel:DWORD
	s_andn2_b64 s[4:5], s[4:5], exec
	s_and_b64 s[8:9], s[8:9], exec
	s_or_b64 s[4:5], s[4:5], s[8:9]
	s_or_b64 exec, exec, s[6:7]
	s_and_saveexec_b64 s[6:7], s[4:5]
	s_cbranch_execnz .LBB9_11
	s_branch .LBB9_12
.LBB9_2061:
	s_movk_i32 s4, 0x80
	v_cmp_eq_u16_sdwa s[12:13], v21, s4 src0_sel:BYTE_0 src1_sel:DWORD
	s_mov_b64 s[4:5], -1
                                        ; implicit-def: $sgpr10
	s_and_saveexec_b64 s[8:9], s[12:13]
; %bb.2062:
	s_mov_b32 s10, 0x7f800001
	s_xor_b64 s[4:5], exec, -1
; %bb.2063:
	s_or_b64 exec, exec, s[8:9]
	s_and_b64 s[4:5], s[4:5], exec
	s_or_saveexec_b64 s[6:7], s[6:7]
	v_mov_b32_e32 v22, s10
	s_xor_b64 exec, exec, s[6:7]
	s_cbranch_execz .LBB9_14
.LBB9_2064:
	v_mov_b32_e32 v22, 0
	v_cmp_ne_u16_sdwa s[8:9], v21, v22 src0_sel:BYTE_0 src1_sel:DWORD
	s_andn2_b64 s[4:5], s[4:5], exec
	s_and_b64 s[8:9], s[8:9], exec
	s_or_b64 s[4:5], s[4:5], s[8:9]
	s_or_b64 exec, exec, s[6:7]
	s_and_saveexec_b64 s[6:7], s[4:5]
	s_cbranch_execnz .LBB9_15
	s_branch .LBB9_16
.LBB9_2065:
	s_movk_i32 s4, 0x80
	v_cmp_eq_u16_e32 vcc, s4, v21
	s_mov_b64 s[4:5], -1
                                        ; implicit-def: $sgpr10
	s_and_saveexec_b64 s[8:9], vcc
; %bb.2066:
	s_mov_b32 s10, 0x7f800001
	s_xor_b64 s[4:5], exec, -1
; %bb.2067:
	s_or_b64 exec, exec, s[8:9]
	s_and_b64 s[4:5], s[4:5], exec
                                        ; implicit-def: $vgpr21
	s_or_saveexec_b64 s[6:7], s[6:7]
	v_mov_b32_e32 v20, s10
	s_xor_b64 exec, exec, s[6:7]
	s_cbranch_execz .LBB9_18
.LBB9_2068:
	v_cmp_ne_u16_e32 vcc, 0, v21
	s_andn2_b64 s[4:5], s[4:5], exec
	s_and_b64 s[8:9], vcc, exec
	v_mov_b32_e32 v20, 0
	s_or_b64 s[4:5], s[4:5], s[8:9]
	s_or_b64 exec, exec, s[6:7]
	s_and_saveexec_b64 s[6:7], s[4:5]
	s_cbranch_execnz .LBB9_19
	s_branch .LBB9_20
.LBB9_2069:
	s_movk_i32 s4, 0x80
	v_cmp_eq_u16_e32 vcc, s4, v21
	s_mov_b64 s[4:5], -1
                                        ; implicit-def: $sgpr10
	s_and_saveexec_b64 s[8:9], vcc
; %bb.2070:
	s_mov_b32 s10, 0x7f800001
	s_xor_b64 s[4:5], exec, -1
; %bb.2071:
	s_or_b64 exec, exec, s[8:9]
	s_and_b64 s[4:5], s[4:5], exec
                                        ; implicit-def: $vgpr21
	s_or_saveexec_b64 s[6:7], s[6:7]
	v_mov_b32_e32 v22, s10
	s_xor_b64 exec, exec, s[6:7]
	s_cbranch_execz .LBB9_22
.LBB9_2072:
	v_cmp_ne_u16_e32 vcc, 0, v21
	s_andn2_b64 s[4:5], s[4:5], exec
	s_and_b64 s[8:9], vcc, exec
	v_mov_b32_e32 v22, 0
	s_or_b64 s[4:5], s[4:5], s[8:9]
	s_or_b64 exec, exec, s[6:7]
	s_and_saveexec_b64 s[6:7], s[4:5]
	s_cbranch_execnz .LBB9_23
	s_branch .LBB9_24
.LBB9_2073:
	s_movk_i32 s4, 0x80
	v_cmp_eq_u16_sdwa s[12:13], v14, s4 src0_sel:BYTE_3 src1_sel:DWORD
	s_mov_b64 s[4:5], -1
                                        ; implicit-def: $sgpr10
	s_and_saveexec_b64 s[8:9], s[12:13]
; %bb.2074:
	s_mov_b32 s10, 0x7f800001
	s_xor_b64 s[4:5], exec, -1
; %bb.2075:
	s_or_b64 exec, exec, s[8:9]
	s_and_b64 s[4:5], s[4:5], exec
	s_or_saveexec_b64 s[6:7], s[6:7]
	v_mov_b32_e32 v20, s10
	s_xor_b64 exec, exec, s[6:7]
	s_cbranch_execz .LBB9_26
.LBB9_2076:
	v_mov_b32_e32 v20, 0
	v_cmp_ne_u16_sdwa s[8:9], v14, v20 src0_sel:BYTE_3 src1_sel:DWORD
	s_andn2_b64 s[4:5], s[4:5], exec
	s_and_b64 s[8:9], s[8:9], exec
	s_or_b64 s[4:5], s[4:5], s[8:9]
	s_or_b64 exec, exec, s[6:7]
	s_and_saveexec_b64 s[6:7], s[4:5]
	s_cbranch_execnz .LBB9_27
	s_branch .LBB9_28
.LBB9_2077:
	s_movk_i32 s4, 0x80
	v_cmp_eq_u16_sdwa s[12:13], v10, s4 src0_sel:BYTE_3 src1_sel:DWORD
	s_mov_b64 s[4:5], -1
                                        ; implicit-def: $sgpr10
	s_and_saveexec_b64 s[8:9], s[12:13]
; %bb.2078:
	s_mov_b32 s10, 0x7f800001
	s_xor_b64 s[4:5], exec, -1
; %bb.2079:
	s_or_b64 exec, exec, s[8:9]
	s_and_b64 s[4:5], s[4:5], exec
	s_or_saveexec_b64 s[6:7], s[6:7]
	v_mov_b32_e32 v14, s10
	s_xor_b64 exec, exec, s[6:7]
	s_cbranch_execz .LBB9_30
.LBB9_2080:
	v_mov_b32_e32 v14, 0
	v_cmp_ne_u16_sdwa s[8:9], v10, v14 src0_sel:BYTE_3 src1_sel:DWORD
	s_andn2_b64 s[4:5], s[4:5], exec
	s_and_b64 s[8:9], s[8:9], exec
	s_or_b64 s[4:5], s[4:5], s[8:9]
	s_or_b64 exec, exec, s[6:7]
	s_and_saveexec_b64 s[6:7], s[4:5]
	s_cbranch_execnz .LBB9_31
	s_branch .LBB9_32
.LBB9_2081:
	s_movk_i32 s4, 0x80
	v_cmp_eq_u16_sdwa s[12:13], v15, s4 src0_sel:BYTE_0 src1_sel:DWORD
	s_mov_b64 s[4:5], -1
                                        ; implicit-def: $sgpr10
	s_and_saveexec_b64 s[8:9], s[12:13]
; %bb.2082:
	s_mov_b32 s10, 0x7f800001
	s_xor_b64 s[4:5], exec, -1
; %bb.2083:
	s_or_b64 exec, exec, s[8:9]
	s_and_b64 s[4:5], s[4:5], exec
	s_or_saveexec_b64 s[6:7], s[6:7]
	v_mov_b32_e32 v10, s10
	s_xor_b64 exec, exec, s[6:7]
	s_cbranch_execz .LBB9_34
.LBB9_2084:
	v_mov_b32_e32 v10, 0
	v_cmp_ne_u16_sdwa s[8:9], v15, v10 src0_sel:BYTE_0 src1_sel:DWORD
	s_andn2_b64 s[4:5], s[4:5], exec
	s_and_b64 s[8:9], s[8:9], exec
	s_or_b64 s[4:5], s[4:5], s[8:9]
	s_or_b64 exec, exec, s[6:7]
	s_and_saveexec_b64 s[6:7], s[4:5]
	s_cbranch_execnz .LBB9_35
	s_branch .LBB9_36
.LBB9_2085:
	s_movk_i32 s4, 0x80
	v_cmp_eq_u16_sdwa s[12:13], v11, s4 src0_sel:BYTE_0 src1_sel:DWORD
	s_mov_b64 s[4:5], -1
                                        ; implicit-def: $sgpr10
	s_and_saveexec_b64 s[8:9], s[12:13]
; %bb.2086:
	s_mov_b32 s10, 0x7f800001
	s_xor_b64 s[4:5], exec, -1
; %bb.2087:
	s_or_b64 exec, exec, s[8:9]
	s_and_b64 s[4:5], s[4:5], exec
	s_or_saveexec_b64 s[6:7], s[6:7]
	v_mov_b32_e32 v14, s10
	s_xor_b64 exec, exec, s[6:7]
	s_cbranch_execz .LBB9_38
.LBB9_2088:
	v_mov_b32_e32 v14, 0
	v_cmp_ne_u16_sdwa s[8:9], v11, v14 src0_sel:BYTE_0 src1_sel:DWORD
	s_andn2_b64 s[4:5], s[4:5], exec
	s_and_b64 s[8:9], s[8:9], exec
	s_or_b64 s[4:5], s[4:5], s[8:9]
	s_or_b64 exec, exec, s[6:7]
	s_and_saveexec_b64 s[6:7], s[4:5]
	s_cbranch_execnz .LBB9_39
	s_branch .LBB9_40
.LBB9_2089:
	s_movk_i32 s4, 0x80
	v_cmp_eq_u16_sdwa s[12:13], v14, s4 src0_sel:BYTE_0 src1_sel:DWORD
	s_mov_b64 s[4:5], -1
                                        ; implicit-def: $sgpr10
	s_and_saveexec_b64 s[8:9], s[12:13]
; %bb.2090:
	s_mov_b32 s10, 0x7f800001
	s_xor_b64 s[4:5], exec, -1
; %bb.2091:
	s_or_b64 exec, exec, s[8:9]
	s_and_b64 s[4:5], s[4:5], exec
	s_or_saveexec_b64 s[6:7], s[6:7]
	v_mov_b32_e32 v10, s10
	s_xor_b64 exec, exec, s[6:7]
	s_cbranch_execz .LBB9_42
.LBB9_2092:
	v_mov_b32_e32 v10, 0
	v_cmp_ne_u16_sdwa s[8:9], v14, v10 src0_sel:BYTE_0 src1_sel:DWORD
	s_andn2_b64 s[4:5], s[4:5], exec
	s_and_b64 s[8:9], s[8:9], exec
	s_or_b64 s[4:5], s[4:5], s[8:9]
	s_or_b64 exec, exec, s[6:7]
	s_and_saveexec_b64 s[6:7], s[4:5]
	s_cbranch_execnz .LBB9_43
	s_branch .LBB9_44
.LBB9_2093:
	s_movk_i32 s4, 0x80
	v_cmp_eq_u16_sdwa s[12:13], v14, s4 src0_sel:BYTE_0 src1_sel:DWORD
	s_mov_b64 s[4:5], -1
                                        ; implicit-def: $sgpr10
	s_and_saveexec_b64 s[8:9], s[12:13]
; %bb.2094:
	s_mov_b32 s10, 0x7f800001
	s_xor_b64 s[4:5], exec, -1
; %bb.2095:
	s_or_b64 exec, exec, s[8:9]
	s_and_b64 s[4:5], s[4:5], exec
	s_or_saveexec_b64 s[6:7], s[6:7]
	v_mov_b32_e32 v20, s10
	s_xor_b64 exec, exec, s[6:7]
	s_cbranch_execz .LBB9_46
.LBB9_2096:
	v_mov_b32_e32 v20, 0
	v_cmp_ne_u16_sdwa s[8:9], v14, v20 src0_sel:BYTE_0 src1_sel:DWORD
	s_andn2_b64 s[4:5], s[4:5], exec
	s_and_b64 s[8:9], s[8:9], exec
	s_or_b64 s[4:5], s[4:5], s[8:9]
	s_or_b64 exec, exec, s[6:7]
	s_and_saveexec_b64 s[6:7], s[4:5]
	s_cbranch_execnz .LBB9_47
	s_branch .LBB9_48
.LBB9_2097:
	s_movk_i32 s4, 0x80
	v_cmp_eq_u16_e32 vcc, s4, v14
	s_mov_b64 s[4:5], -1
                                        ; implicit-def: $sgpr10
	s_and_saveexec_b64 s[8:9], vcc
; %bb.2098:
	s_mov_b32 s10, 0x7f800001
	s_xor_b64 s[4:5], exec, -1
; %bb.2099:
	s_or_b64 exec, exec, s[8:9]
	s_and_b64 s[4:5], s[4:5], exec
                                        ; implicit-def: $vgpr14
	s_or_saveexec_b64 s[6:7], s[6:7]
	v_mov_b32_e32 v10, s10
	s_xor_b64 exec, exec, s[6:7]
	s_cbranch_execz .LBB9_50
.LBB9_2100:
	v_cmp_ne_u16_e32 vcc, 0, v14
	s_andn2_b64 s[4:5], s[4:5], exec
	s_and_b64 s[8:9], vcc, exec
	v_mov_b32_e32 v10, 0
	s_or_b64 s[4:5], s[4:5], s[8:9]
	s_or_b64 exec, exec, s[6:7]
	s_and_saveexec_b64 s[6:7], s[4:5]
	s_cbranch_execnz .LBB9_51
	s_branch .LBB9_52
.LBB9_2101:
	s_movk_i32 s4, 0x80
	v_cmp_eq_u16_e32 vcc, s4, v14
	s_mov_b64 s[4:5], -1
                                        ; implicit-def: $sgpr10
	s_and_saveexec_b64 s[8:9], vcc
; %bb.2102:
	s_mov_b32 s10, 0x7f800001
	s_xor_b64 s[4:5], exec, -1
; %bb.2103:
	s_or_b64 exec, exec, s[8:9]
	s_and_b64 s[4:5], s[4:5], exec
                                        ; implicit-def: $vgpr14
	s_or_saveexec_b64 s[6:7], s[6:7]
	v_mov_b32_e32 v20, s10
	s_xor_b64 exec, exec, s[6:7]
	s_cbranch_execz .LBB9_54
.LBB9_2104:
	v_cmp_ne_u16_e32 vcc, 0, v14
	s_andn2_b64 s[4:5], s[4:5], exec
	s_and_b64 s[8:9], vcc, exec
	v_mov_b32_e32 v20, 0
	s_or_b64 s[4:5], s[4:5], s[8:9]
	s_or_b64 exec, exec, s[6:7]
	s_and_saveexec_b64 s[6:7], s[4:5]
	s_cbranch_execnz .LBB9_55
	s_branch .LBB9_56
.LBB9_2105:
	s_movk_i32 s4, 0x80
	v_cmp_eq_u16_sdwa s[12:13], v15, s4 src0_sel:BYTE_3 src1_sel:DWORD
	s_mov_b64 s[4:5], -1
                                        ; implicit-def: $sgpr10
	s_and_saveexec_b64 s[8:9], s[12:13]
; %bb.2106:
	s_mov_b32 s10, 0x7f800001
	s_xor_b64 s[4:5], exec, -1
; %bb.2107:
	s_or_b64 exec, exec, s[8:9]
	s_and_b64 s[4:5], s[4:5], exec
	s_or_saveexec_b64 s[6:7], s[6:7]
	v_mov_b32_e32 v10, s10
	s_xor_b64 exec, exec, s[6:7]
	s_cbranch_execz .LBB9_58
.LBB9_2108:
	v_mov_b32_e32 v10, 0
	v_cmp_ne_u16_sdwa s[8:9], v15, v10 src0_sel:BYTE_3 src1_sel:DWORD
	s_andn2_b64 s[4:5], s[4:5], exec
	s_and_b64 s[8:9], s[8:9], exec
	s_or_b64 s[4:5], s[4:5], s[8:9]
	s_or_b64 exec, exec, s[6:7]
	s_and_saveexec_b64 s[6:7], s[4:5]
	s_cbranch_execnz .LBB9_59
	s_branch .LBB9_60
.LBB9_2109:
	s_movk_i32 s4, 0x80
	v_cmp_eq_u16_sdwa s[12:13], v11, s4 src0_sel:BYTE_3 src1_sel:DWORD
	s_mov_b64 s[4:5], -1
                                        ; implicit-def: $sgpr10
	s_and_saveexec_b64 s[8:9], s[12:13]
; %bb.2110:
	s_mov_b32 s10, 0x7f800001
	s_xor_b64 s[4:5], exec, -1
; %bb.2111:
	s_or_b64 exec, exec, s[8:9]
	s_and_b64 s[4:5], s[4:5], exec
	s_or_saveexec_b64 s[6:7], s[6:7]
	v_mov_b32_e32 v14, s10
	s_xor_b64 exec, exec, s[6:7]
	s_cbranch_execz .LBB9_62
.LBB9_2112:
	v_mov_b32_e32 v14, 0
	v_cmp_ne_u16_sdwa s[8:9], v11, v14 src0_sel:BYTE_3 src1_sel:DWORD
	s_andn2_b64 s[4:5], s[4:5], exec
	s_and_b64 s[8:9], s[8:9], exec
	s_or_b64 s[4:5], s[4:5], s[8:9]
	s_or_b64 exec, exec, s[6:7]
	s_and_saveexec_b64 s[6:7], s[4:5]
	s_cbranch_execnz .LBB9_63
	s_branch .LBB9_64
.LBB9_2113:
	s_movk_i32 s4, 0x80
	v_cmp_eq_u16_sdwa s[12:13], v16, s4 src0_sel:BYTE_0 src1_sel:DWORD
	s_mov_b64 s[4:5], -1
                                        ; implicit-def: $sgpr10
	s_and_saveexec_b64 s[8:9], s[12:13]
; %bb.2114:
	s_mov_b32 s10, 0x7f800001
	s_xor_b64 s[4:5], exec, -1
; %bb.2115:
	s_or_b64 exec, exec, s[8:9]
	s_and_b64 s[4:5], s[4:5], exec
	s_or_saveexec_b64 s[6:7], s[6:7]
	v_mov_b32_e32 v10, s10
	s_xor_b64 exec, exec, s[6:7]
	s_cbranch_execz .LBB9_66
.LBB9_2116:
	v_mov_b32_e32 v10, 0
	v_cmp_ne_u16_sdwa s[8:9], v16, v10 src0_sel:BYTE_0 src1_sel:DWORD
	s_andn2_b64 s[4:5], s[4:5], exec
	s_and_b64 s[8:9], s[8:9], exec
	s_or_b64 s[4:5], s[4:5], s[8:9]
	s_or_b64 exec, exec, s[6:7]
	s_and_saveexec_b64 s[6:7], s[4:5]
	s_cbranch_execnz .LBB9_67
	s_branch .LBB9_68
.LBB9_2117:
	s_movk_i32 s4, 0x80
	v_cmp_eq_u16_sdwa s[12:13], v12, s4 src0_sel:BYTE_0 src1_sel:DWORD
	s_mov_b64 s[4:5], -1
                                        ; implicit-def: $sgpr10
	s_and_saveexec_b64 s[8:9], s[12:13]
; %bb.2118:
	s_mov_b32 s10, 0x7f800001
	s_xor_b64 s[4:5], exec, -1
; %bb.2119:
	s_or_b64 exec, exec, s[8:9]
	s_and_b64 s[4:5], s[4:5], exec
	s_or_saveexec_b64 s[6:7], s[6:7]
	v_mov_b32_e32 v11, s10
	s_xor_b64 exec, exec, s[6:7]
	s_cbranch_execz .LBB9_70
.LBB9_2120:
	v_mov_b32_e32 v11, 0
	v_cmp_ne_u16_sdwa s[8:9], v12, v11 src0_sel:BYTE_0 src1_sel:DWORD
	s_andn2_b64 s[4:5], s[4:5], exec
	s_and_b64 s[8:9], s[8:9], exec
	s_or_b64 s[4:5], s[4:5], s[8:9]
	s_or_b64 exec, exec, s[6:7]
	s_and_saveexec_b64 s[6:7], s[4:5]
	s_cbranch_execnz .LBB9_71
	s_branch .LBB9_72
.LBB9_2121:
	s_movk_i32 s4, 0x80
	v_cmp_eq_u16_sdwa s[12:13], v11, s4 src0_sel:BYTE_0 src1_sel:DWORD
	s_mov_b64 s[4:5], -1
                                        ; implicit-def: $sgpr10
	s_and_saveexec_b64 s[8:9], s[12:13]
; %bb.2122:
	s_mov_b32 s10, 0x7f800001
	s_xor_b64 s[4:5], exec, -1
; %bb.2123:
	s_or_b64 exec, exec, s[8:9]
	s_and_b64 s[4:5], s[4:5], exec
	s_or_saveexec_b64 s[6:7], s[6:7]
	v_mov_b32_e32 v10, s10
	s_xor_b64 exec, exec, s[6:7]
	s_cbranch_execz .LBB9_74
.LBB9_2124:
	v_mov_b32_e32 v10, 0
	v_cmp_ne_u16_sdwa s[8:9], v11, v10 src0_sel:BYTE_0 src1_sel:DWORD
	s_andn2_b64 s[4:5], s[4:5], exec
	s_and_b64 s[8:9], s[8:9], exec
	s_or_b64 s[4:5], s[4:5], s[8:9]
	s_or_b64 exec, exec, s[6:7]
	s_and_saveexec_b64 s[6:7], s[4:5]
	s_cbranch_execnz .LBB9_75
	s_branch .LBB9_76
.LBB9_2125:
	s_movk_i32 s4, 0x80
	v_cmp_eq_u16_sdwa s[12:13], v11, s4 src0_sel:BYTE_0 src1_sel:DWORD
	s_mov_b64 s[4:5], -1
                                        ; implicit-def: $sgpr10
	s_and_saveexec_b64 s[8:9], s[12:13]
; %bb.2126:
	s_mov_b32 s10, 0x7f800001
	s_xor_b64 s[4:5], exec, -1
; %bb.2127:
	s_or_b64 exec, exec, s[8:9]
	s_and_b64 s[4:5], s[4:5], exec
	s_or_saveexec_b64 s[6:7], s[6:7]
	v_mov_b32_e32 v14, s10
	s_xor_b64 exec, exec, s[6:7]
	s_cbranch_execz .LBB9_78
.LBB9_2128:
	v_mov_b32_e32 v14, 0
	v_cmp_ne_u16_sdwa s[8:9], v11, v14 src0_sel:BYTE_0 src1_sel:DWORD
	s_andn2_b64 s[4:5], s[4:5], exec
	s_and_b64 s[8:9], s[8:9], exec
	s_or_b64 s[4:5], s[4:5], s[8:9]
	s_or_b64 exec, exec, s[6:7]
	s_and_saveexec_b64 s[6:7], s[4:5]
	s_cbranch_execnz .LBB9_79
	s_branch .LBB9_80
.LBB9_2129:
	s_movk_i32 s4, 0x80
	v_cmp_eq_u16_e32 vcc, s4, v11
	s_mov_b64 s[4:5], -1
                                        ; implicit-def: $sgpr10
	s_and_saveexec_b64 s[8:9], vcc
; %bb.2130:
	s_mov_b32 s10, 0x7f800001
	s_xor_b64 s[4:5], exec, -1
; %bb.2131:
	s_or_b64 exec, exec, s[8:9]
	s_and_b64 s[4:5], s[4:5], exec
                                        ; implicit-def: $vgpr11
	s_or_saveexec_b64 s[6:7], s[6:7]
	v_mov_b32_e32 v10, s10
	s_xor_b64 exec, exec, s[6:7]
	s_cbranch_execz .LBB9_82
.LBB9_2132:
	v_cmp_ne_u16_e32 vcc, 0, v11
	s_andn2_b64 s[4:5], s[4:5], exec
	s_and_b64 s[8:9], vcc, exec
	v_mov_b32_e32 v10, 0
	s_or_b64 s[4:5], s[4:5], s[8:9]
	s_or_b64 exec, exec, s[6:7]
	s_and_saveexec_b64 s[6:7], s[4:5]
	s_cbranch_execnz .LBB9_83
	s_branch .LBB9_84
.LBB9_2133:
	s_movk_i32 s4, 0x80
	v_cmp_eq_u16_e32 vcc, s4, v11
	s_mov_b64 s[4:5], -1
                                        ; implicit-def: $sgpr10
	s_and_saveexec_b64 s[8:9], vcc
; %bb.2134:
	s_mov_b32 s10, 0x7f800001
	s_xor_b64 s[4:5], exec, -1
; %bb.2135:
	s_or_b64 exec, exec, s[8:9]
	s_and_b64 s[4:5], s[4:5], exec
                                        ; implicit-def: $vgpr11
	s_or_saveexec_b64 s[6:7], s[6:7]
	v_mov_b32_e32 v14, s10
	s_xor_b64 exec, exec, s[6:7]
	s_cbranch_execz .LBB9_86
.LBB9_2136:
	v_cmp_ne_u16_e32 vcc, 0, v11
	s_andn2_b64 s[4:5], s[4:5], exec
	s_and_b64 s[8:9], vcc, exec
	v_mov_b32_e32 v14, 0
	s_or_b64 s[4:5], s[4:5], s[8:9]
	s_or_b64 exec, exec, s[6:7]
	s_and_saveexec_b64 s[6:7], s[4:5]
	s_cbranch_execnz .LBB9_87
	s_branch .LBB9_88
.LBB9_2137:
	s_movk_i32 s4, 0x80
	v_cmp_eq_u16_sdwa s[12:13], v16, s4 src0_sel:BYTE_3 src1_sel:DWORD
	s_mov_b64 s[4:5], -1
                                        ; implicit-def: $sgpr10
	s_and_saveexec_b64 s[8:9], s[12:13]
; %bb.2138:
	s_mov_b32 s10, 0x7f800001
	s_xor_b64 s[4:5], exec, -1
; %bb.2139:
	s_or_b64 exec, exec, s[8:9]
	s_and_b64 s[4:5], s[4:5], exec
	s_or_saveexec_b64 s[6:7], s[6:7]
	v_mov_b32_e32 v10, s10
	s_xor_b64 exec, exec, s[6:7]
	s_cbranch_execz .LBB9_90
.LBB9_2140:
	v_mov_b32_e32 v10, 0
	v_cmp_ne_u16_sdwa s[8:9], v16, v10 src0_sel:BYTE_3 src1_sel:DWORD
	s_andn2_b64 s[4:5], s[4:5], exec
	s_and_b64 s[8:9], s[8:9], exec
	s_or_b64 s[4:5], s[4:5], s[8:9]
	s_or_b64 exec, exec, s[6:7]
	s_and_saveexec_b64 s[6:7], s[4:5]
	s_cbranch_execnz .LBB9_91
	s_branch .LBB9_92
.LBB9_2141:
	s_movk_i32 s4, 0x80
	v_cmp_eq_u16_sdwa s[12:13], v12, s4 src0_sel:BYTE_3 src1_sel:DWORD
	s_mov_b64 s[4:5], -1
                                        ; implicit-def: $sgpr10
	s_and_saveexec_b64 s[8:9], s[12:13]
; %bb.2142:
	s_mov_b32 s10, 0x7f800001
	s_xor_b64 s[4:5], exec, -1
; %bb.2143:
	s_or_b64 exec, exec, s[8:9]
	s_and_b64 s[4:5], s[4:5], exec
	s_or_saveexec_b64 s[6:7], s[6:7]
	v_mov_b32_e32 v11, s10
	s_xor_b64 exec, exec, s[6:7]
	s_cbranch_execz .LBB9_94
.LBB9_2144:
	v_mov_b32_e32 v11, 0
	v_cmp_ne_u16_sdwa s[8:9], v12, v11 src0_sel:BYTE_3 src1_sel:DWORD
	s_andn2_b64 s[4:5], s[4:5], exec
	s_and_b64 s[8:9], s[8:9], exec
	s_or_b64 s[4:5], s[4:5], s[8:9]
	s_or_b64 exec, exec, s[6:7]
	s_and_saveexec_b64 s[6:7], s[4:5]
	s_cbranch_execnz .LBB9_95
	s_branch .LBB9_96
.LBB9_2145:
	s_movk_i32 s4, 0x80
	v_cmp_eq_u16_sdwa s[12:13], v17, s4 src0_sel:BYTE_0 src1_sel:DWORD
	s_mov_b64 s[4:5], -1
                                        ; implicit-def: $sgpr10
	s_and_saveexec_b64 s[8:9], s[12:13]
; %bb.2146:
	s_mov_b32 s10, 0x7f800001
	s_xor_b64 s[4:5], exec, -1
; %bb.2147:
	s_or_b64 exec, exec, s[8:9]
	s_and_b64 s[4:5], s[4:5], exec
	s_or_saveexec_b64 s[6:7], s[6:7]
	v_mov_b32_e32 v10, s10
	s_xor_b64 exec, exec, s[6:7]
	s_cbranch_execz .LBB9_98
.LBB9_2148:
	v_mov_b32_e32 v10, 0
	v_cmp_ne_u16_sdwa s[8:9], v17, v10 src0_sel:BYTE_0 src1_sel:DWORD
	s_andn2_b64 s[4:5], s[4:5], exec
	s_and_b64 s[8:9], s[8:9], exec
	s_or_b64 s[4:5], s[4:5], s[8:9]
	s_or_b64 exec, exec, s[6:7]
	s_and_saveexec_b64 s[6:7], s[4:5]
	s_cbranch_execnz .LBB9_99
	s_branch .LBB9_100
.LBB9_2149:
	s_movk_i32 s4, 0x80
	v_cmp_eq_u16_sdwa s[12:13], v13, s4 src0_sel:BYTE_0 src1_sel:DWORD
	s_mov_b64 s[4:5], -1
                                        ; implicit-def: $sgpr10
	s_and_saveexec_b64 s[8:9], s[12:13]
; %bb.2150:
	s_mov_b32 s10, 0x7f800001
	s_xor_b64 s[4:5], exec, -1
; %bb.2151:
	s_or_b64 exec, exec, s[8:9]
	s_and_b64 s[4:5], s[4:5], exec
	s_or_saveexec_b64 s[6:7], s[6:7]
	v_mov_b32_e32 v11, s10
	s_xor_b64 exec, exec, s[6:7]
	s_cbranch_execz .LBB9_102
.LBB9_2152:
	v_mov_b32_e32 v11, 0
	v_cmp_ne_u16_sdwa s[8:9], v13, v11 src0_sel:BYTE_0 src1_sel:DWORD
	s_andn2_b64 s[4:5], s[4:5], exec
	s_and_b64 s[8:9], s[8:9], exec
	s_or_b64 s[4:5], s[4:5], s[8:9]
	s_or_b64 exec, exec, s[6:7]
	s_and_saveexec_b64 s[6:7], s[4:5]
	s_cbranch_execnz .LBB9_103
	s_branch .LBB9_104
.LBB9_2153:
	s_movk_i32 s4, 0x80
	v_cmp_eq_u16_sdwa s[12:13], v11, s4 src0_sel:BYTE_0 src1_sel:DWORD
	s_mov_b64 s[4:5], -1
                                        ; implicit-def: $sgpr10
	s_and_saveexec_b64 s[8:9], s[12:13]
; %bb.2154:
	s_mov_b32 s10, 0x7f800001
	s_xor_b64 s[4:5], exec, -1
; %bb.2155:
	s_or_b64 exec, exec, s[8:9]
	s_and_b64 s[4:5], s[4:5], exec
	s_or_saveexec_b64 s[6:7], s[6:7]
	v_mov_b32_e32 v10, s10
	s_xor_b64 exec, exec, s[6:7]
	s_cbranch_execz .LBB9_106
.LBB9_2156:
	v_mov_b32_e32 v10, 0
	v_cmp_ne_u16_sdwa s[8:9], v11, v10 src0_sel:BYTE_0 src1_sel:DWORD
	s_andn2_b64 s[4:5], s[4:5], exec
	s_and_b64 s[8:9], s[8:9], exec
	s_or_b64 s[4:5], s[4:5], s[8:9]
	s_or_b64 exec, exec, s[6:7]
	s_and_saveexec_b64 s[6:7], s[4:5]
	s_cbranch_execnz .LBB9_107
	s_branch .LBB9_108
.LBB9_2157:
	s_movk_i32 s4, 0x80
	v_cmp_eq_u16_sdwa s[12:13], v11, s4 src0_sel:BYTE_0 src1_sel:DWORD
	s_mov_b64 s[4:5], -1
                                        ; implicit-def: $sgpr10
	s_and_saveexec_b64 s[8:9], s[12:13]
; %bb.2158:
	s_mov_b32 s10, 0x7f800001
	s_xor_b64 s[4:5], exec, -1
; %bb.2159:
	s_or_b64 exec, exec, s[8:9]
	s_and_b64 s[4:5], s[4:5], exec
	s_or_saveexec_b64 s[6:7], s[6:7]
	v_mov_b32_e32 v12, s10
	s_xor_b64 exec, exec, s[6:7]
	s_cbranch_execz .LBB9_110
.LBB9_2160:
	v_mov_b32_e32 v12, 0
	v_cmp_ne_u16_sdwa s[8:9], v11, v12 src0_sel:BYTE_0 src1_sel:DWORD
	s_andn2_b64 s[4:5], s[4:5], exec
	s_and_b64 s[8:9], s[8:9], exec
	s_or_b64 s[4:5], s[4:5], s[8:9]
	s_or_b64 exec, exec, s[6:7]
	s_and_saveexec_b64 s[6:7], s[4:5]
	s_cbranch_execnz .LBB9_111
	s_branch .LBB9_112
.LBB9_2161:
	s_movk_i32 s4, 0x80
	v_cmp_eq_u16_e32 vcc, s4, v11
	s_mov_b64 s[4:5], -1
                                        ; implicit-def: $sgpr10
	s_and_saveexec_b64 s[8:9], vcc
; %bb.2162:
	s_mov_b32 s10, 0x7f800001
	s_xor_b64 s[4:5], exec, -1
; %bb.2163:
	s_or_b64 exec, exec, s[8:9]
	s_and_b64 s[4:5], s[4:5], exec
                                        ; implicit-def: $vgpr11
	s_or_saveexec_b64 s[6:7], s[6:7]
	v_mov_b32_e32 v10, s10
	s_xor_b64 exec, exec, s[6:7]
	s_cbranch_execz .LBB9_114
.LBB9_2164:
	v_cmp_ne_u16_e32 vcc, 0, v11
	s_andn2_b64 s[4:5], s[4:5], exec
	s_and_b64 s[8:9], vcc, exec
	v_mov_b32_e32 v10, 0
	s_or_b64 s[4:5], s[4:5], s[8:9]
	s_or_b64 exec, exec, s[6:7]
	s_and_saveexec_b64 s[6:7], s[4:5]
	s_cbranch_execnz .LBB9_115
	s_branch .LBB9_116
.LBB9_2165:
	s_movk_i32 s4, 0x80
	v_cmp_eq_u16_e32 vcc, s4, v11
	s_mov_b64 s[4:5], -1
                                        ; implicit-def: $sgpr10
	s_and_saveexec_b64 s[8:9], vcc
; %bb.2166:
	s_mov_b32 s10, 0x7f800001
	s_xor_b64 s[4:5], exec, -1
; %bb.2167:
	s_or_b64 exec, exec, s[8:9]
	s_and_b64 s[4:5], s[4:5], exec
                                        ; implicit-def: $vgpr11
	s_or_saveexec_b64 s[6:7], s[6:7]
	v_mov_b32_e32 v12, s10
	s_xor_b64 exec, exec, s[6:7]
	s_cbranch_execz .LBB9_118
.LBB9_2168:
	v_cmp_ne_u16_e32 vcc, 0, v11
	s_andn2_b64 s[4:5], s[4:5], exec
	s_and_b64 s[8:9], vcc, exec
	v_mov_b32_e32 v12, 0
	s_or_b64 s[4:5], s[4:5], s[8:9]
	s_or_b64 exec, exec, s[6:7]
	s_and_saveexec_b64 s[6:7], s[4:5]
	s_cbranch_execnz .LBB9_119
	s_branch .LBB9_120
.LBB9_2169:
	s_movk_i32 s4, 0x80
	v_cmp_eq_u16_sdwa s[12:13], v17, s4 src0_sel:BYTE_3 src1_sel:DWORD
	s_mov_b64 s[4:5], -1
                                        ; implicit-def: $sgpr10
	s_and_saveexec_b64 s[8:9], s[12:13]
; %bb.2170:
	s_mov_b32 s10, 0x7f800001
	s_xor_b64 s[4:5], exec, -1
; %bb.2171:
	s_or_b64 exec, exec, s[8:9]
	s_and_b64 s[4:5], s[4:5], exec
	s_or_saveexec_b64 s[6:7], s[6:7]
	v_mov_b32_e32 v10, s10
	s_xor_b64 exec, exec, s[6:7]
	s_cbranch_execz .LBB9_122
.LBB9_2172:
	v_mov_b32_e32 v10, 0
	v_cmp_ne_u16_sdwa s[8:9], v17, v10 src0_sel:BYTE_3 src1_sel:DWORD
	s_andn2_b64 s[4:5], s[4:5], exec
	s_and_b64 s[8:9], s[8:9], exec
	s_or_b64 s[4:5], s[4:5], s[8:9]
	s_or_b64 exec, exec, s[6:7]
	s_and_saveexec_b64 s[6:7], s[4:5]
	s_cbranch_execnz .LBB9_123
	s_branch .LBB9_124
.LBB9_2173:
	s_movk_i32 s4, 0x80
	v_cmp_eq_u16_sdwa s[12:13], v13, s4 src0_sel:BYTE_3 src1_sel:DWORD
	s_mov_b64 s[4:5], -1
                                        ; implicit-def: $sgpr10
	s_and_saveexec_b64 s[8:9], s[12:13]
; %bb.2174:
	s_mov_b32 s10, 0x7f800001
	s_xor_b64 s[4:5], exec, -1
; %bb.2175:
	s_or_b64 exec, exec, s[8:9]
	s_and_b64 s[4:5], s[4:5], exec
	s_or_saveexec_b64 s[6:7], s[6:7]
	v_mov_b32_e32 v11, s10
	s_xor_b64 exec, exec, s[6:7]
	s_cbranch_execz .LBB9_126
.LBB9_2176:
	v_mov_b32_e32 v11, 0
	v_cmp_ne_u16_sdwa s[8:9], v13, v11 src0_sel:BYTE_3 src1_sel:DWORD
	s_andn2_b64 s[4:5], s[4:5], exec
	s_and_b64 s[8:9], s[8:9], exec
	s_or_b64 s[4:5], s[4:5], s[8:9]
	s_or_b64 exec, exec, s[6:7]
	s_and_saveexec_b64 s[6:7], s[4:5]
	s_cbranch_execnz .LBB9_127
	s_branch .LBB9_128
.LBB9_2177:
	s_movk_i32 s4, 0x80
	v_cmp_eq_u16_sdwa s[12:13], v6, s4 src0_sel:BYTE_0 src1_sel:DWORD
	s_mov_b64 s[4:5], -1
                                        ; implicit-def: $sgpr10
	s_and_saveexec_b64 s[8:9], s[12:13]
; %bb.2178:
	s_mov_b32 s10, 0x7f800001
	s_xor_b64 s[4:5], exec, -1
; %bb.2179:
	s_or_b64 exec, exec, s[8:9]
	s_and_b64 s[4:5], s[4:5], exec
	s_or_saveexec_b64 s[6:7], s[6:7]
	v_mov_b32_e32 v10, s10
	s_xor_b64 exec, exec, s[6:7]
	s_cbranch_execz .LBB9_130
.LBB9_2180:
	v_mov_b32_e32 v10, 0
	v_cmp_ne_u16_sdwa s[8:9], v6, v10 src0_sel:BYTE_0 src1_sel:DWORD
	s_andn2_b64 s[4:5], s[4:5], exec
	s_and_b64 s[8:9], s[8:9], exec
	s_or_b64 s[4:5], s[4:5], s[8:9]
	s_or_b64 exec, exec, s[6:7]
	s_and_saveexec_b64 s[6:7], s[4:5]
	s_cbranch_execnz .LBB9_131
	s_branch .LBB9_132
.LBB9_2181:
	s_movk_i32 s4, 0x80
	v_cmp_eq_u16_sdwa s[12:13], v2, s4 src0_sel:BYTE_0 src1_sel:DWORD
	s_mov_b64 s[4:5], -1
                                        ; implicit-def: $sgpr10
	s_and_saveexec_b64 s[8:9], s[12:13]
; %bb.2182:
	s_mov_b32 s10, 0x7f800001
	s_xor_b64 s[4:5], exec, -1
; %bb.2183:
	s_or_b64 exec, exec, s[8:9]
	s_and_b64 s[4:5], s[4:5], exec
	s_or_saveexec_b64 s[6:7], s[6:7]
	v_mov_b32_e32 v11, s10
	s_xor_b64 exec, exec, s[6:7]
	s_cbranch_execz .LBB9_134
.LBB9_2184:
	v_mov_b32_e32 v11, 0
	v_cmp_ne_u16_sdwa s[8:9], v2, v11 src0_sel:BYTE_0 src1_sel:DWORD
	s_andn2_b64 s[4:5], s[4:5], exec
	s_and_b64 s[8:9], s[8:9], exec
	s_or_b64 s[4:5], s[4:5], s[8:9]
	s_or_b64 exec, exec, s[6:7]
	s_and_saveexec_b64 s[6:7], s[4:5]
	s_cbranch_execnz .LBB9_135
	s_branch .LBB9_136
.LBB9_2185:
	s_movk_i32 s4, 0x80
	v_cmp_eq_u16_sdwa s[12:13], v11, s4 src0_sel:BYTE_0 src1_sel:DWORD
	s_mov_b64 s[4:5], -1
                                        ; implicit-def: $sgpr10
	s_and_saveexec_b64 s[8:9], s[12:13]
; %bb.2186:
	s_mov_b32 s10, 0x7f800001
	s_xor_b64 s[4:5], exec, -1
; %bb.2187:
	s_or_b64 exec, exec, s[8:9]
	s_and_b64 s[4:5], s[4:5], exec
	s_or_saveexec_b64 s[6:7], s[6:7]
	v_mov_b32_e32 v10, s10
	s_xor_b64 exec, exec, s[6:7]
	s_cbranch_execz .LBB9_138
.LBB9_2188:
	v_mov_b32_e32 v10, 0
	v_cmp_ne_u16_sdwa s[8:9], v11, v10 src0_sel:BYTE_0 src1_sel:DWORD
	s_andn2_b64 s[4:5], s[4:5], exec
	s_and_b64 s[8:9], s[8:9], exec
	s_or_b64 s[4:5], s[4:5], s[8:9]
	s_or_b64 exec, exec, s[6:7]
	s_and_saveexec_b64 s[6:7], s[4:5]
	s_cbranch_execnz .LBB9_139
	s_branch .LBB9_140
.LBB9_2189:
	s_movk_i32 s4, 0x80
	v_cmp_eq_u16_sdwa s[12:13], v11, s4 src0_sel:BYTE_0 src1_sel:DWORD
	s_mov_b64 s[4:5], -1
                                        ; implicit-def: $sgpr10
	s_and_saveexec_b64 s[8:9], s[12:13]
; %bb.2190:
	s_mov_b32 s10, 0x7f800001
	s_xor_b64 s[4:5], exec, -1
; %bb.2191:
	s_or_b64 exec, exec, s[8:9]
	s_and_b64 s[4:5], s[4:5], exec
	s_or_saveexec_b64 s[6:7], s[6:7]
	v_mov_b32_e32 v12, s10
	s_xor_b64 exec, exec, s[6:7]
	s_cbranch_execz .LBB9_142
.LBB9_2192:
	v_mov_b32_e32 v12, 0
	v_cmp_ne_u16_sdwa s[8:9], v11, v12 src0_sel:BYTE_0 src1_sel:DWORD
	s_andn2_b64 s[4:5], s[4:5], exec
	s_and_b64 s[8:9], s[8:9], exec
	s_or_b64 s[4:5], s[4:5], s[8:9]
	s_or_b64 exec, exec, s[6:7]
	s_and_saveexec_b64 s[6:7], s[4:5]
	s_cbranch_execnz .LBB9_143
	s_branch .LBB9_144
.LBB9_2193:
	s_movk_i32 s4, 0x80
	v_cmp_eq_u16_e32 vcc, s4, v11
	s_mov_b64 s[4:5], -1
                                        ; implicit-def: $sgpr10
	s_and_saveexec_b64 s[8:9], vcc
; %bb.2194:
	s_mov_b32 s10, 0x7f800001
	s_xor_b64 s[4:5], exec, -1
; %bb.2195:
	s_or_b64 exec, exec, s[8:9]
	s_and_b64 s[4:5], s[4:5], exec
                                        ; implicit-def: $vgpr11
	s_or_saveexec_b64 s[6:7], s[6:7]
	v_mov_b32_e32 v10, s10
	s_xor_b64 exec, exec, s[6:7]
	s_cbranch_execz .LBB9_146
.LBB9_2196:
	v_cmp_ne_u16_e32 vcc, 0, v11
	s_andn2_b64 s[4:5], s[4:5], exec
	s_and_b64 s[8:9], vcc, exec
	v_mov_b32_e32 v10, 0
	s_or_b64 s[4:5], s[4:5], s[8:9]
	s_or_b64 exec, exec, s[6:7]
	s_and_saveexec_b64 s[6:7], s[4:5]
	s_cbranch_execnz .LBB9_147
	s_branch .LBB9_148
.LBB9_2197:
	s_movk_i32 s4, 0x80
	v_cmp_eq_u16_e32 vcc, s4, v11
	s_mov_b64 s[4:5], -1
                                        ; implicit-def: $sgpr10
	s_and_saveexec_b64 s[8:9], vcc
; %bb.2198:
	s_mov_b32 s10, 0x7f800001
	s_xor_b64 s[4:5], exec, -1
; %bb.2199:
	s_or_b64 exec, exec, s[8:9]
	s_and_b64 s[4:5], s[4:5], exec
                                        ; implicit-def: $vgpr11
	s_or_saveexec_b64 s[6:7], s[6:7]
	v_mov_b32_e32 v12, s10
	s_xor_b64 exec, exec, s[6:7]
	s_cbranch_execz .LBB9_150
.LBB9_2200:
	v_cmp_ne_u16_e32 vcc, 0, v11
	s_andn2_b64 s[4:5], s[4:5], exec
	s_and_b64 s[8:9], vcc, exec
	v_mov_b32_e32 v12, 0
	s_or_b64 s[4:5], s[4:5], s[8:9]
	s_or_b64 exec, exec, s[6:7]
	s_and_saveexec_b64 s[6:7], s[4:5]
	s_cbranch_execnz .LBB9_151
	s_branch .LBB9_152
.LBB9_2201:
	s_movk_i32 s4, 0x80
	v_cmp_eq_u16_sdwa s[12:13], v6, s4 src0_sel:BYTE_3 src1_sel:DWORD
	s_mov_b64 s[4:5], -1
                                        ; implicit-def: $sgpr10
	s_and_saveexec_b64 s[8:9], s[12:13]
; %bb.2202:
	s_mov_b32 s10, 0x7f800001
	s_xor_b64 s[4:5], exec, -1
; %bb.2203:
	s_or_b64 exec, exec, s[8:9]
	s_and_b64 s[4:5], s[4:5], exec
	s_or_saveexec_b64 s[6:7], s[6:7]
	v_mov_b32_e32 v10, s10
	s_xor_b64 exec, exec, s[6:7]
	s_cbranch_execz .LBB9_154
.LBB9_2204:
	v_mov_b32_e32 v10, 0
	v_cmp_ne_u16_sdwa s[8:9], v6, v10 src0_sel:BYTE_3 src1_sel:DWORD
	s_andn2_b64 s[4:5], s[4:5], exec
	s_and_b64 s[8:9], s[8:9], exec
	s_or_b64 s[4:5], s[4:5], s[8:9]
	s_or_b64 exec, exec, s[6:7]
	s_and_saveexec_b64 s[6:7], s[4:5]
	s_cbranch_execnz .LBB9_155
	s_branch .LBB9_156
.LBB9_2205:
	s_movk_i32 s4, 0x80
	v_cmp_eq_u16_sdwa s[12:13], v2, s4 src0_sel:BYTE_3 src1_sel:DWORD
	s_mov_b64 s[4:5], -1
                                        ; implicit-def: $sgpr10
	s_and_saveexec_b64 s[8:9], s[12:13]
; %bb.2206:
	s_mov_b32 s10, 0x7f800001
	s_xor_b64 s[4:5], exec, -1
; %bb.2207:
	s_or_b64 exec, exec, s[8:9]
	s_and_b64 s[4:5], s[4:5], exec
	s_or_saveexec_b64 s[6:7], s[6:7]
	v_mov_b32_e32 v6, s10
	s_xor_b64 exec, exec, s[6:7]
	s_cbranch_execz .LBB9_158
.LBB9_2208:
	v_mov_b32_e32 v6, 0
	v_cmp_ne_u16_sdwa s[8:9], v2, v6 src0_sel:BYTE_3 src1_sel:DWORD
	s_andn2_b64 s[4:5], s[4:5], exec
	s_and_b64 s[8:9], s[8:9], exec
	s_or_b64 s[4:5], s[4:5], s[8:9]
	s_or_b64 exec, exec, s[6:7]
	s_and_saveexec_b64 s[6:7], s[4:5]
	s_cbranch_execnz .LBB9_159
	s_branch .LBB9_160
.LBB9_2209:
	s_movk_i32 s4, 0x80
	v_cmp_eq_u16_sdwa s[12:13], v7, s4 src0_sel:BYTE_0 src1_sel:DWORD
	s_mov_b64 s[4:5], -1
                                        ; implicit-def: $sgpr10
	s_and_saveexec_b64 s[8:9], s[12:13]
; %bb.2210:
	s_mov_b32 s10, 0x7f800001
	s_xor_b64 s[4:5], exec, -1
; %bb.2211:
	s_or_b64 exec, exec, s[8:9]
	s_and_b64 s[4:5], s[4:5], exec
	s_or_saveexec_b64 s[6:7], s[6:7]
	v_mov_b32_e32 v2, s10
	s_xor_b64 exec, exec, s[6:7]
	s_cbranch_execz .LBB9_162
.LBB9_2212:
	v_mov_b32_e32 v2, 0
	v_cmp_ne_u16_sdwa s[8:9], v7, v2 src0_sel:BYTE_0 src1_sel:DWORD
	s_andn2_b64 s[4:5], s[4:5], exec
	s_and_b64 s[8:9], s[8:9], exec
	s_or_b64 s[4:5], s[4:5], s[8:9]
	s_or_b64 exec, exec, s[6:7]
	s_and_saveexec_b64 s[6:7], s[4:5]
	s_cbranch_execnz .LBB9_163
	s_branch .LBB9_164
.LBB9_2213:
	s_movk_i32 s4, 0x80
	v_cmp_eq_u16_sdwa s[12:13], v3, s4 src0_sel:BYTE_0 src1_sel:DWORD
	s_mov_b64 s[4:5], -1
                                        ; implicit-def: $sgpr10
	s_and_saveexec_b64 s[8:9], s[12:13]
; %bb.2214:
	s_mov_b32 s10, 0x7f800001
	s_xor_b64 s[4:5], exec, -1
; %bb.2215:
	s_or_b64 exec, exec, s[8:9]
	s_and_b64 s[4:5], s[4:5], exec
	s_or_saveexec_b64 s[6:7], s[6:7]
	v_mov_b32_e32 v6, s10
	s_xor_b64 exec, exec, s[6:7]
	s_cbranch_execz .LBB9_166
.LBB9_2216:
	v_mov_b32_e32 v6, 0
	v_cmp_ne_u16_sdwa s[8:9], v3, v6 src0_sel:BYTE_0 src1_sel:DWORD
	s_andn2_b64 s[4:5], s[4:5], exec
	s_and_b64 s[8:9], s[8:9], exec
	s_or_b64 s[4:5], s[4:5], s[8:9]
	s_or_b64 exec, exec, s[6:7]
	s_and_saveexec_b64 s[6:7], s[4:5]
	s_cbranch_execnz .LBB9_167
	s_branch .LBB9_168
.LBB9_2217:
	s_movk_i32 s4, 0x80
	v_cmp_eq_u16_sdwa s[12:13], v6, s4 src0_sel:BYTE_0 src1_sel:DWORD
	s_mov_b64 s[4:5], -1
                                        ; implicit-def: $sgpr10
	s_and_saveexec_b64 s[8:9], s[12:13]
; %bb.2218:
	s_mov_b32 s10, 0x7f800001
	s_xor_b64 s[4:5], exec, -1
; %bb.2219:
	s_or_b64 exec, exec, s[8:9]
	s_and_b64 s[4:5], s[4:5], exec
	s_or_saveexec_b64 s[6:7], s[6:7]
	v_mov_b32_e32 v2, s10
	s_xor_b64 exec, exec, s[6:7]
	s_cbranch_execz .LBB9_170
.LBB9_2220:
	v_mov_b32_e32 v2, 0
	v_cmp_ne_u16_sdwa s[8:9], v6, v2 src0_sel:BYTE_0 src1_sel:DWORD
	s_andn2_b64 s[4:5], s[4:5], exec
	s_and_b64 s[8:9], s[8:9], exec
	s_or_b64 s[4:5], s[4:5], s[8:9]
	s_or_b64 exec, exec, s[6:7]
	s_and_saveexec_b64 s[6:7], s[4:5]
	s_cbranch_execnz .LBB9_171
	s_branch .LBB9_172
.LBB9_2221:
	s_movk_i32 s4, 0x80
	v_cmp_eq_u16_sdwa s[12:13], v6, s4 src0_sel:BYTE_0 src1_sel:DWORD
	s_mov_b64 s[4:5], -1
                                        ; implicit-def: $sgpr10
	s_and_saveexec_b64 s[8:9], s[12:13]
; %bb.2222:
	s_mov_b32 s10, 0x7f800001
	s_xor_b64 s[4:5], exec, -1
; %bb.2223:
	s_or_b64 exec, exec, s[8:9]
	s_and_b64 s[4:5], s[4:5], exec
	s_or_saveexec_b64 s[6:7], s[6:7]
	v_mov_b32_e32 v10, s10
	s_xor_b64 exec, exec, s[6:7]
	s_cbranch_execz .LBB9_174
.LBB9_2224:
	v_mov_b32_e32 v10, 0
	v_cmp_ne_u16_sdwa s[8:9], v6, v10 src0_sel:BYTE_0 src1_sel:DWORD
	s_andn2_b64 s[4:5], s[4:5], exec
	s_and_b64 s[8:9], s[8:9], exec
	s_or_b64 s[4:5], s[4:5], s[8:9]
	s_or_b64 exec, exec, s[6:7]
	s_and_saveexec_b64 s[6:7], s[4:5]
	s_cbranch_execnz .LBB9_175
	s_branch .LBB9_176
.LBB9_2225:
	s_movk_i32 s4, 0x80
	v_cmp_eq_u16_e32 vcc, s4, v6
	s_mov_b64 s[4:5], -1
                                        ; implicit-def: $sgpr10
	s_and_saveexec_b64 s[8:9], vcc
; %bb.2226:
	s_mov_b32 s10, 0x7f800001
	s_xor_b64 s[4:5], exec, -1
; %bb.2227:
	s_or_b64 exec, exec, s[8:9]
	s_and_b64 s[4:5], s[4:5], exec
                                        ; implicit-def: $vgpr6
	s_or_saveexec_b64 s[6:7], s[6:7]
	v_mov_b32_e32 v2, s10
	s_xor_b64 exec, exec, s[6:7]
	s_cbranch_execz .LBB9_178
.LBB9_2228:
	v_cmp_ne_u16_e32 vcc, 0, v6
	s_andn2_b64 s[4:5], s[4:5], exec
	s_and_b64 s[8:9], vcc, exec
	v_mov_b32_e32 v2, 0
	s_or_b64 s[4:5], s[4:5], s[8:9]
	s_or_b64 exec, exec, s[6:7]
	s_and_saveexec_b64 s[6:7], s[4:5]
	s_cbranch_execnz .LBB9_179
	s_branch .LBB9_180
.LBB9_2229:
	s_movk_i32 s4, 0x80
	v_cmp_eq_u16_e32 vcc, s4, v6
	s_mov_b64 s[4:5], -1
                                        ; implicit-def: $sgpr10
	s_and_saveexec_b64 s[8:9], vcc
; %bb.2230:
	s_mov_b32 s10, 0x7f800001
	s_xor_b64 s[4:5], exec, -1
; %bb.2231:
	s_or_b64 exec, exec, s[8:9]
	s_and_b64 s[4:5], s[4:5], exec
                                        ; implicit-def: $vgpr6
	s_or_saveexec_b64 s[6:7], s[6:7]
	v_mov_b32_e32 v10, s10
	s_xor_b64 exec, exec, s[6:7]
	s_cbranch_execz .LBB9_182
.LBB9_2232:
	v_cmp_ne_u16_e32 vcc, 0, v6
	s_andn2_b64 s[4:5], s[4:5], exec
	s_and_b64 s[8:9], vcc, exec
	v_mov_b32_e32 v10, 0
	s_or_b64 s[4:5], s[4:5], s[8:9]
	s_or_b64 exec, exec, s[6:7]
	s_and_saveexec_b64 s[6:7], s[4:5]
	s_cbranch_execnz .LBB9_183
	s_branch .LBB9_184
.LBB9_2233:
	s_movk_i32 s4, 0x80
	v_cmp_eq_u16_sdwa s[12:13], v7, s4 src0_sel:BYTE_3 src1_sel:DWORD
	s_mov_b64 s[4:5], -1
                                        ; implicit-def: $sgpr10
	s_and_saveexec_b64 s[8:9], s[12:13]
; %bb.2234:
	s_mov_b32 s10, 0x7f800001
	s_xor_b64 s[4:5], exec, -1
; %bb.2235:
	s_or_b64 exec, exec, s[8:9]
	s_and_b64 s[4:5], s[4:5], exec
	s_or_saveexec_b64 s[6:7], s[6:7]
	v_mov_b32_e32 v2, s10
	s_xor_b64 exec, exec, s[6:7]
	s_cbranch_execz .LBB9_186
.LBB9_2236:
	v_mov_b32_e32 v2, 0
	v_cmp_ne_u16_sdwa s[8:9], v7, v2 src0_sel:BYTE_3 src1_sel:DWORD
	s_andn2_b64 s[4:5], s[4:5], exec
	s_and_b64 s[8:9], s[8:9], exec
	s_or_b64 s[4:5], s[4:5], s[8:9]
	s_or_b64 exec, exec, s[6:7]
	s_and_saveexec_b64 s[6:7], s[4:5]
	s_cbranch_execnz .LBB9_187
	s_branch .LBB9_188
.LBB9_2237:
	s_movk_i32 s4, 0x80
	v_cmp_eq_u16_sdwa s[12:13], v3, s4 src0_sel:BYTE_3 src1_sel:DWORD
	s_mov_b64 s[4:5], -1
                                        ; implicit-def: $sgpr10
	s_and_saveexec_b64 s[8:9], s[12:13]
; %bb.2238:
	s_mov_b32 s10, 0x7f800001
	s_xor_b64 s[4:5], exec, -1
; %bb.2239:
	s_or_b64 exec, exec, s[8:9]
	s_and_b64 s[4:5], s[4:5], exec
	s_or_saveexec_b64 s[6:7], s[6:7]
	v_mov_b32_e32 v6, s10
	s_xor_b64 exec, exec, s[6:7]
	s_cbranch_execz .LBB9_190
.LBB9_2240:
	v_mov_b32_e32 v6, 0
	v_cmp_ne_u16_sdwa s[8:9], v3, v6 src0_sel:BYTE_3 src1_sel:DWORD
	s_andn2_b64 s[4:5], s[4:5], exec
	s_and_b64 s[8:9], s[8:9], exec
	s_or_b64 s[4:5], s[4:5], s[8:9]
	s_or_b64 exec, exec, s[6:7]
	s_and_saveexec_b64 s[6:7], s[4:5]
	s_cbranch_execnz .LBB9_191
	s_branch .LBB9_192
.LBB9_2241:
	s_movk_i32 s4, 0x80
	v_cmp_eq_u16_sdwa s[12:13], v8, s4 src0_sel:BYTE_0 src1_sel:DWORD
	s_mov_b64 s[4:5], -1
                                        ; implicit-def: $sgpr10
	s_and_saveexec_b64 s[8:9], s[12:13]
; %bb.2242:
	s_mov_b32 s10, 0x7f800001
	s_xor_b64 s[4:5], exec, -1
; %bb.2243:
	s_or_b64 exec, exec, s[8:9]
	s_and_b64 s[4:5], s[4:5], exec
	s_or_saveexec_b64 s[6:7], s[6:7]
	v_mov_b32_e32 v2, s10
	s_xor_b64 exec, exec, s[6:7]
	s_cbranch_execz .LBB9_194
.LBB9_2244:
	v_mov_b32_e32 v2, 0
	v_cmp_ne_u16_sdwa s[8:9], v8, v2 src0_sel:BYTE_0 src1_sel:DWORD
	s_andn2_b64 s[4:5], s[4:5], exec
	s_and_b64 s[8:9], s[8:9], exec
	s_or_b64 s[4:5], s[4:5], s[8:9]
	s_or_b64 exec, exec, s[6:7]
	s_and_saveexec_b64 s[6:7], s[4:5]
	s_cbranch_execnz .LBB9_195
	s_branch .LBB9_196
.LBB9_2245:
	s_movk_i32 s4, 0x80
	v_cmp_eq_u16_sdwa s[12:13], v4, s4 src0_sel:BYTE_0 src1_sel:DWORD
	s_mov_b64 s[4:5], -1
                                        ; implicit-def: $sgpr10
	s_and_saveexec_b64 s[8:9], s[12:13]
; %bb.2246:
	s_mov_b32 s10, 0x7f800001
	s_xor_b64 s[4:5], exec, -1
; %bb.2247:
	s_or_b64 exec, exec, s[8:9]
	s_and_b64 s[4:5], s[4:5], exec
	s_or_saveexec_b64 s[6:7], s[6:7]
	v_mov_b32_e32 v3, s10
	s_xor_b64 exec, exec, s[6:7]
	s_cbranch_execz .LBB9_198
.LBB9_2248:
	v_mov_b32_e32 v3, 0
	v_cmp_ne_u16_sdwa s[8:9], v4, v3 src0_sel:BYTE_0 src1_sel:DWORD
	s_andn2_b64 s[4:5], s[4:5], exec
	s_and_b64 s[8:9], s[8:9], exec
	s_or_b64 s[4:5], s[4:5], s[8:9]
	s_or_b64 exec, exec, s[6:7]
	s_and_saveexec_b64 s[6:7], s[4:5]
	s_cbranch_execnz .LBB9_199
	s_branch .LBB9_200
.LBB9_2249:
	s_movk_i32 s4, 0x80
	v_cmp_eq_u16_sdwa s[12:13], v3, s4 src0_sel:BYTE_0 src1_sel:DWORD
	s_mov_b64 s[4:5], -1
                                        ; implicit-def: $sgpr10
	s_and_saveexec_b64 s[8:9], s[12:13]
; %bb.2250:
	s_mov_b32 s10, 0x7f800001
	s_xor_b64 s[4:5], exec, -1
; %bb.2251:
	s_or_b64 exec, exec, s[8:9]
	s_and_b64 s[4:5], s[4:5], exec
	s_or_saveexec_b64 s[6:7], s[6:7]
	v_mov_b32_e32 v2, s10
	s_xor_b64 exec, exec, s[6:7]
	s_cbranch_execz .LBB9_202
.LBB9_2252:
	v_mov_b32_e32 v2, 0
	v_cmp_ne_u16_sdwa s[8:9], v3, v2 src0_sel:BYTE_0 src1_sel:DWORD
	s_andn2_b64 s[4:5], s[4:5], exec
	s_and_b64 s[8:9], s[8:9], exec
	s_or_b64 s[4:5], s[4:5], s[8:9]
	s_or_b64 exec, exec, s[6:7]
	s_and_saveexec_b64 s[6:7], s[4:5]
	s_cbranch_execnz .LBB9_203
	s_branch .LBB9_204
.LBB9_2253:
	s_movk_i32 s4, 0x80
	v_cmp_eq_u16_sdwa s[12:13], v3, s4 src0_sel:BYTE_0 src1_sel:DWORD
	s_mov_b64 s[4:5], -1
                                        ; implicit-def: $sgpr10
	s_and_saveexec_b64 s[8:9], s[12:13]
; %bb.2254:
	s_mov_b32 s10, 0x7f800001
	s_xor_b64 s[4:5], exec, -1
; %bb.2255:
	s_or_b64 exec, exec, s[8:9]
	s_and_b64 s[4:5], s[4:5], exec
	s_or_saveexec_b64 s[6:7], s[6:7]
	v_mov_b32_e32 v6, s10
	s_xor_b64 exec, exec, s[6:7]
	s_cbranch_execz .LBB9_206
.LBB9_2256:
	v_mov_b32_e32 v6, 0
	v_cmp_ne_u16_sdwa s[8:9], v3, v6 src0_sel:BYTE_0 src1_sel:DWORD
	s_andn2_b64 s[4:5], s[4:5], exec
	s_and_b64 s[8:9], s[8:9], exec
	s_or_b64 s[4:5], s[4:5], s[8:9]
	s_or_b64 exec, exec, s[6:7]
	s_and_saveexec_b64 s[6:7], s[4:5]
	s_cbranch_execnz .LBB9_207
	s_branch .LBB9_208
.LBB9_2257:
	s_movk_i32 s4, 0x80
	v_cmp_eq_u16_e32 vcc, s4, v3
	s_mov_b64 s[4:5], -1
                                        ; implicit-def: $sgpr10
	s_and_saveexec_b64 s[8:9], vcc
; %bb.2258:
	s_mov_b32 s10, 0x7f800001
	s_xor_b64 s[4:5], exec, -1
; %bb.2259:
	s_or_b64 exec, exec, s[8:9]
	s_and_b64 s[4:5], s[4:5], exec
                                        ; implicit-def: $vgpr3
	s_or_saveexec_b64 s[6:7], s[6:7]
	v_mov_b32_e32 v2, s10
	s_xor_b64 exec, exec, s[6:7]
	s_cbranch_execz .LBB9_210
.LBB9_2260:
	v_cmp_ne_u16_e32 vcc, 0, v3
	s_andn2_b64 s[4:5], s[4:5], exec
	s_and_b64 s[8:9], vcc, exec
	v_mov_b32_e32 v2, 0
	s_or_b64 s[4:5], s[4:5], s[8:9]
	s_or_b64 exec, exec, s[6:7]
	s_and_saveexec_b64 s[6:7], s[4:5]
	s_cbranch_execnz .LBB9_211
	s_branch .LBB9_212
.LBB9_2261:
	s_movk_i32 s4, 0x80
	v_cmp_eq_u16_e32 vcc, s4, v3
	s_mov_b64 s[4:5], -1
                                        ; implicit-def: $sgpr10
	s_and_saveexec_b64 s[8:9], vcc
; %bb.2262:
	s_mov_b32 s10, 0x7f800001
	s_xor_b64 s[4:5], exec, -1
; %bb.2263:
	s_or_b64 exec, exec, s[8:9]
	s_and_b64 s[4:5], s[4:5], exec
                                        ; implicit-def: $vgpr3
	s_or_saveexec_b64 s[6:7], s[6:7]
	v_mov_b32_e32 v6, s10
	s_xor_b64 exec, exec, s[6:7]
	s_cbranch_execz .LBB9_214
.LBB9_2264:
	v_cmp_ne_u16_e32 vcc, 0, v3
	s_andn2_b64 s[4:5], s[4:5], exec
	s_and_b64 s[8:9], vcc, exec
	v_mov_b32_e32 v6, 0
	s_or_b64 s[4:5], s[4:5], s[8:9]
	s_or_b64 exec, exec, s[6:7]
	s_and_saveexec_b64 s[6:7], s[4:5]
	s_cbranch_execnz .LBB9_215
	s_branch .LBB9_216
.LBB9_2265:
	s_movk_i32 s4, 0x80
	v_cmp_eq_u16_sdwa s[12:13], v8, s4 src0_sel:BYTE_3 src1_sel:DWORD
	s_mov_b64 s[4:5], -1
                                        ; implicit-def: $sgpr10
	s_and_saveexec_b64 s[8:9], s[12:13]
; %bb.2266:
	s_mov_b32 s10, 0x7f800001
	s_xor_b64 s[4:5], exec, -1
; %bb.2267:
	s_or_b64 exec, exec, s[8:9]
	s_and_b64 s[4:5], s[4:5], exec
	s_or_saveexec_b64 s[6:7], s[6:7]
	v_mov_b32_e32 v2, s10
	s_xor_b64 exec, exec, s[6:7]
	s_cbranch_execz .LBB9_218
.LBB9_2268:
	v_mov_b32_e32 v2, 0
	v_cmp_ne_u16_sdwa s[8:9], v8, v2 src0_sel:BYTE_3 src1_sel:DWORD
	s_andn2_b64 s[4:5], s[4:5], exec
	s_and_b64 s[8:9], s[8:9], exec
	s_or_b64 s[4:5], s[4:5], s[8:9]
	s_or_b64 exec, exec, s[6:7]
	s_and_saveexec_b64 s[6:7], s[4:5]
	s_cbranch_execnz .LBB9_219
	s_branch .LBB9_220
.LBB9_2269:
	s_movk_i32 s4, 0x80
	v_cmp_eq_u16_sdwa s[12:13], v4, s4 src0_sel:BYTE_3 src1_sel:DWORD
	s_mov_b64 s[4:5], -1
                                        ; implicit-def: $sgpr10
	s_and_saveexec_b64 s[8:9], s[12:13]
; %bb.2270:
	s_mov_b32 s10, 0x7f800001
	s_xor_b64 s[4:5], exec, -1
; %bb.2271:
	s_or_b64 exec, exec, s[8:9]
	s_and_b64 s[4:5], s[4:5], exec
	s_or_saveexec_b64 s[6:7], s[6:7]
	v_mov_b32_e32 v3, s10
	s_xor_b64 exec, exec, s[6:7]
	s_cbranch_execz .LBB9_222
.LBB9_2272:
	v_mov_b32_e32 v3, 0
	v_cmp_ne_u16_sdwa s[8:9], v4, v3 src0_sel:BYTE_3 src1_sel:DWORD
	s_andn2_b64 s[4:5], s[4:5], exec
	s_and_b64 s[8:9], s[8:9], exec
	s_or_b64 s[4:5], s[4:5], s[8:9]
	s_or_b64 exec, exec, s[6:7]
	s_and_saveexec_b64 s[6:7], s[4:5]
	s_cbranch_execnz .LBB9_223
	s_branch .LBB9_224
.LBB9_2273:
	s_movk_i32 s4, 0x80
	v_cmp_eq_u16_sdwa s[12:13], v9, s4 src0_sel:BYTE_0 src1_sel:DWORD
	s_mov_b64 s[4:5], -1
                                        ; implicit-def: $sgpr10
	s_and_saveexec_b64 s[8:9], s[12:13]
; %bb.2274:
	s_mov_b32 s10, 0x7f800001
	s_xor_b64 s[4:5], exec, -1
; %bb.2275:
	s_or_b64 exec, exec, s[8:9]
	s_and_b64 s[4:5], s[4:5], exec
	s_or_saveexec_b64 s[6:7], s[6:7]
	v_mov_b32_e32 v2, s10
	s_xor_b64 exec, exec, s[6:7]
	s_cbranch_execz .LBB9_226
.LBB9_2276:
	v_mov_b32_e32 v2, 0
	v_cmp_ne_u16_sdwa s[8:9], v9, v2 src0_sel:BYTE_0 src1_sel:DWORD
	s_andn2_b64 s[4:5], s[4:5], exec
	s_and_b64 s[8:9], s[8:9], exec
	s_or_b64 s[4:5], s[4:5], s[8:9]
	s_or_b64 exec, exec, s[6:7]
	s_and_saveexec_b64 s[6:7], s[4:5]
	s_cbranch_execnz .LBB9_227
	s_branch .LBB9_228
.LBB9_2277:
	s_movk_i32 s4, 0x80
	v_cmp_eq_u16_sdwa s[12:13], v5, s4 src0_sel:BYTE_0 src1_sel:DWORD
	s_mov_b64 s[4:5], -1
                                        ; implicit-def: $sgpr10
	s_and_saveexec_b64 s[8:9], s[12:13]
; %bb.2278:
	s_mov_b32 s10, 0x7f800001
	s_xor_b64 s[4:5], exec, -1
; %bb.2279:
	s_or_b64 exec, exec, s[8:9]
	s_and_b64 s[4:5], s[4:5], exec
	s_or_saveexec_b64 s[6:7], s[6:7]
	v_mov_b32_e32 v3, s10
	s_xor_b64 exec, exec, s[6:7]
	s_cbranch_execz .LBB9_230
.LBB9_2280:
	v_mov_b32_e32 v3, 0
	v_cmp_ne_u16_sdwa s[8:9], v5, v3 src0_sel:BYTE_0 src1_sel:DWORD
	s_andn2_b64 s[4:5], s[4:5], exec
	s_and_b64 s[8:9], s[8:9], exec
	s_or_b64 s[4:5], s[4:5], s[8:9]
	s_or_b64 exec, exec, s[6:7]
	s_and_saveexec_b64 s[6:7], s[4:5]
	s_cbranch_execnz .LBB9_231
	s_branch .LBB9_232
.LBB9_2281:
	s_movk_i32 s4, 0x80
	v_cmp_eq_u16_sdwa s[12:13], v3, s4 src0_sel:BYTE_0 src1_sel:DWORD
	s_mov_b64 s[4:5], -1
                                        ; implicit-def: $sgpr10
	s_and_saveexec_b64 s[8:9], s[12:13]
; %bb.2282:
	s_mov_b32 s10, 0x7f800001
	s_xor_b64 s[4:5], exec, -1
; %bb.2283:
	s_or_b64 exec, exec, s[8:9]
	s_and_b64 s[4:5], s[4:5], exec
	s_or_saveexec_b64 s[6:7], s[6:7]
	v_mov_b32_e32 v2, s10
	s_xor_b64 exec, exec, s[6:7]
	s_cbranch_execz .LBB9_234
.LBB9_2284:
	v_mov_b32_e32 v2, 0
	v_cmp_ne_u16_sdwa s[8:9], v3, v2 src0_sel:BYTE_0 src1_sel:DWORD
	s_andn2_b64 s[4:5], s[4:5], exec
	s_and_b64 s[8:9], s[8:9], exec
	s_or_b64 s[4:5], s[4:5], s[8:9]
	s_or_b64 exec, exec, s[6:7]
	s_and_saveexec_b64 s[6:7], s[4:5]
	s_cbranch_execnz .LBB9_235
	s_branch .LBB9_236
.LBB9_2285:
	s_movk_i32 s4, 0x80
	v_cmp_eq_u16_sdwa s[12:13], v3, s4 src0_sel:BYTE_0 src1_sel:DWORD
	s_mov_b64 s[4:5], -1
                                        ; implicit-def: $sgpr10
	s_and_saveexec_b64 s[8:9], s[12:13]
; %bb.2286:
	s_mov_b32 s10, 0x7f800001
	s_xor_b64 s[4:5], exec, -1
; %bb.2287:
	s_or_b64 exec, exec, s[8:9]
	s_and_b64 s[4:5], s[4:5], exec
	s_or_saveexec_b64 s[6:7], s[6:7]
	v_mov_b32_e32 v4, s10
	s_xor_b64 exec, exec, s[6:7]
	s_cbranch_execz .LBB9_238
.LBB9_2288:
	v_mov_b32_e32 v4, 0
	v_cmp_ne_u16_sdwa s[8:9], v3, v4 src0_sel:BYTE_0 src1_sel:DWORD
	s_andn2_b64 s[4:5], s[4:5], exec
	s_and_b64 s[8:9], s[8:9], exec
	s_or_b64 s[4:5], s[4:5], s[8:9]
	s_or_b64 exec, exec, s[6:7]
	s_and_saveexec_b64 s[6:7], s[4:5]
	s_cbranch_execnz .LBB9_239
	s_branch .LBB9_240
.LBB9_2289:
	s_movk_i32 s4, 0x80
	v_cmp_eq_u16_e32 vcc, s4, v3
	s_mov_b64 s[4:5], -1
                                        ; implicit-def: $sgpr10
	s_and_saveexec_b64 s[8:9], vcc
; %bb.2290:
	s_mov_b32 s10, 0x7f800001
	s_xor_b64 s[4:5], exec, -1
; %bb.2291:
	s_or_b64 exec, exec, s[8:9]
	s_and_b64 s[4:5], s[4:5], exec
                                        ; implicit-def: $vgpr3
	s_or_saveexec_b64 s[6:7], s[6:7]
	v_mov_b32_e32 v2, s10
	s_xor_b64 exec, exec, s[6:7]
	s_cbranch_execz .LBB9_242
.LBB9_2292:
	v_cmp_ne_u16_e32 vcc, 0, v3
	s_andn2_b64 s[4:5], s[4:5], exec
	s_and_b64 s[8:9], vcc, exec
	v_mov_b32_e32 v2, 0
	s_or_b64 s[4:5], s[4:5], s[8:9]
	s_or_b64 exec, exec, s[6:7]
	s_and_saveexec_b64 s[6:7], s[4:5]
	s_cbranch_execnz .LBB9_243
	s_branch .LBB9_244
.LBB9_2293:
	s_movk_i32 s4, 0x80
	v_cmp_eq_u16_e32 vcc, s4, v3
	s_mov_b64 s[4:5], -1
                                        ; implicit-def: $sgpr10
	s_and_saveexec_b64 s[8:9], vcc
; %bb.2294:
	s_mov_b32 s10, 0x7f800001
	s_xor_b64 s[4:5], exec, -1
; %bb.2295:
	s_or_b64 exec, exec, s[8:9]
	s_and_b64 s[4:5], s[4:5], exec
                                        ; implicit-def: $vgpr3
	s_or_saveexec_b64 s[6:7], s[6:7]
	v_mov_b32_e32 v4, s10
	s_xor_b64 exec, exec, s[6:7]
	s_cbranch_execz .LBB9_246
.LBB9_2296:
	v_cmp_ne_u16_e32 vcc, 0, v3
	s_andn2_b64 s[4:5], s[4:5], exec
	s_and_b64 s[8:9], vcc, exec
	v_mov_b32_e32 v4, 0
	s_or_b64 s[4:5], s[4:5], s[8:9]
	s_or_b64 exec, exec, s[6:7]
	s_and_saveexec_b64 s[6:7], s[4:5]
	s_cbranch_execnz .LBB9_247
	s_branch .LBB9_248
.LBB9_2297:
	s_movk_i32 s4, 0x80
	v_cmp_eq_u16_sdwa s[12:13], v9, s4 src0_sel:BYTE_3 src1_sel:DWORD
	s_mov_b64 s[4:5], -1
                                        ; implicit-def: $sgpr10
	s_and_saveexec_b64 s[8:9], s[12:13]
; %bb.2298:
	s_mov_b32 s10, 0x7f800001
	s_xor_b64 s[4:5], exec, -1
; %bb.2299:
	s_or_b64 exec, exec, s[8:9]
	s_and_b64 s[4:5], s[4:5], exec
	s_or_saveexec_b64 s[6:7], s[6:7]
	v_mov_b32_e32 v2, s10
	s_xor_b64 exec, exec, s[6:7]
	s_cbranch_execz .LBB9_250
.LBB9_2300:
	v_mov_b32_e32 v2, 0
	v_cmp_ne_u16_sdwa s[8:9], v9, v2 src0_sel:BYTE_3 src1_sel:DWORD
	s_andn2_b64 s[4:5], s[4:5], exec
	s_and_b64 s[8:9], s[8:9], exec
	s_or_b64 s[4:5], s[4:5], s[8:9]
	s_or_b64 exec, exec, s[6:7]
	s_and_saveexec_b64 s[6:7], s[4:5]
	s_cbranch_execnz .LBB9_251
	s_branch .LBB9_252
.LBB9_2301:
	s_movk_i32 s4, 0x80
	v_cmp_eq_u16_sdwa s[12:13], v5, s4 src0_sel:BYTE_3 src1_sel:DWORD
	s_mov_b64 s[4:5], -1
                                        ; implicit-def: $sgpr10
	s_and_saveexec_b64 s[8:9], s[12:13]
; %bb.2302:
	s_mov_b32 s10, 0x7f800001
	s_xor_b64 s[4:5], exec, -1
; %bb.2303:
	s_or_b64 exec, exec, s[8:9]
	s_and_b64 s[4:5], s[4:5], exec
	s_or_saveexec_b64 s[6:7], s[6:7]
	v_mov_b32_e32 v3, s10
	s_xor_b64 exec, exec, s[6:7]
	s_cbranch_execz .LBB9_254
.LBB9_2304:
	v_mov_b32_e32 v3, 0
	v_cmp_ne_u16_sdwa s[8:9], v5, v3 src0_sel:BYTE_3 src1_sel:DWORD
	s_andn2_b64 s[4:5], s[4:5], exec
	s_and_b64 s[8:9], s[8:9], exec
	s_or_b64 s[4:5], s[4:5], s[8:9]
	s_or_b64 exec, exec, s[6:7]
	s_and_saveexec_b64 s[6:7], s[4:5]
	s_cbranch_execnz .LBB9_255
	s_branch .LBB9_256
.LBB9_2305:
	s_movk_i32 s4, 0x80
	v_cmp_eq_u16_sdwa s[12:13], v14, s4 src0_sel:BYTE_0 src1_sel:DWORD
	s_mov_b64 s[4:5], -1
                                        ; implicit-def: $sgpr10
	s_and_saveexec_b64 s[8:9], s[12:13]
; %bb.2306:
	s_mov_b32 s10, 0x7f800001
	s_xor_b64 s[4:5], exec, -1
; %bb.2307:
	s_or_b64 exec, exec, s[8:9]
	s_and_b64 s[4:5], s[4:5], exec
	s_or_saveexec_b64 s[6:7], s[6:7]
	v_mov_b32_e32 v20, s10
	s_xor_b64 exec, exec, s[6:7]
	s_cbranch_execz .LBB9_258
.LBB9_2308:
	v_mov_b32_e32 v20, 0
	v_cmp_ne_u16_sdwa s[8:9], v14, v20 src0_sel:BYTE_0 src1_sel:DWORD
	s_andn2_b64 s[4:5], s[4:5], exec
	s_and_b64 s[8:9], s[8:9], exec
	s_or_b64 s[4:5], s[4:5], s[8:9]
	s_or_b64 exec, exec, s[6:7]
	s_and_saveexec_b64 s[6:7], s[4:5]
	s_cbranch_execnz .LBB9_259
	s_branch .LBB9_260
.LBB9_2309:
	s_movk_i32 s4, 0x80
	v_cmp_eq_u16_sdwa s[12:13], v10, s4 src0_sel:BYTE_0 src1_sel:DWORD
	s_mov_b64 s[4:5], -1
                                        ; implicit-def: $sgpr10
	s_and_saveexec_b64 s[8:9], s[12:13]
; %bb.2310:
	s_mov_b32 s10, 0x7f800001
	s_xor_b64 s[4:5], exec, -1
; %bb.2311:
	s_or_b64 exec, exec, s[8:9]
	s_and_b64 s[4:5], s[4:5], exec
	s_or_saveexec_b64 s[6:7], s[6:7]
	v_mov_b32_e32 v21, s10
	s_xor_b64 exec, exec, s[6:7]
	s_cbranch_execz .LBB9_262
.LBB9_2312:
	v_mov_b32_e32 v21, 0
	v_cmp_ne_u16_sdwa s[8:9], v10, v21 src0_sel:BYTE_0 src1_sel:DWORD
	s_andn2_b64 s[4:5], s[4:5], exec
	s_and_b64 s[8:9], s[8:9], exec
	s_or_b64 s[4:5], s[4:5], s[8:9]
	s_or_b64 exec, exec, s[6:7]
	s_and_saveexec_b64 s[6:7], s[4:5]
	s_cbranch_execnz .LBB9_263
	s_branch .LBB9_264
.LBB9_2313:
	s_movk_i32 s4, 0x80
	v_cmp_eq_u16_sdwa s[12:13], v21, s4 src0_sel:BYTE_0 src1_sel:DWORD
	s_mov_b64 s[4:5], -1
                                        ; implicit-def: $sgpr10
	s_and_saveexec_b64 s[8:9], s[12:13]
; %bb.2314:
	s_mov_b32 s10, 0x7f800001
	s_xor_b64 s[4:5], exec, -1
; %bb.2315:
	s_or_b64 exec, exec, s[8:9]
	s_and_b64 s[4:5], s[4:5], exec
	s_or_saveexec_b64 s[6:7], s[6:7]
	v_mov_b32_e32 v20, s10
	s_xor_b64 exec, exec, s[6:7]
	s_cbranch_execz .LBB9_266
.LBB9_2316:
	v_mov_b32_e32 v20, 0
	v_cmp_ne_u16_sdwa s[8:9], v21, v20 src0_sel:BYTE_0 src1_sel:DWORD
	s_andn2_b64 s[4:5], s[4:5], exec
	s_and_b64 s[8:9], s[8:9], exec
	s_or_b64 s[4:5], s[4:5], s[8:9]
	s_or_b64 exec, exec, s[6:7]
	s_and_saveexec_b64 s[6:7], s[4:5]
	s_cbranch_execnz .LBB9_267
	s_branch .LBB9_268
.LBB9_2317:
	s_movk_i32 s4, 0x80
	v_cmp_eq_u16_sdwa s[12:13], v21, s4 src0_sel:BYTE_0 src1_sel:DWORD
	s_mov_b64 s[4:5], -1
                                        ; implicit-def: $sgpr10
	s_and_saveexec_b64 s[8:9], s[12:13]
; %bb.2318:
	s_mov_b32 s10, 0x7f800001
	s_xor_b64 s[4:5], exec, -1
; %bb.2319:
	s_or_b64 exec, exec, s[8:9]
	s_and_b64 s[4:5], s[4:5], exec
	s_or_saveexec_b64 s[6:7], s[6:7]
	v_mov_b32_e32 v22, s10
	s_xor_b64 exec, exec, s[6:7]
	s_cbranch_execz .LBB9_270
.LBB9_2320:
	v_mov_b32_e32 v22, 0
	v_cmp_ne_u16_sdwa s[8:9], v21, v22 src0_sel:BYTE_0 src1_sel:DWORD
	s_andn2_b64 s[4:5], s[4:5], exec
	s_and_b64 s[8:9], s[8:9], exec
	s_or_b64 s[4:5], s[4:5], s[8:9]
	s_or_b64 exec, exec, s[6:7]
	s_and_saveexec_b64 s[6:7], s[4:5]
	s_cbranch_execnz .LBB9_271
	s_branch .LBB9_272
.LBB9_2321:
	s_movk_i32 s4, 0x80
	v_cmp_eq_u16_e32 vcc, s4, v21
	s_mov_b64 s[4:5], -1
                                        ; implicit-def: $sgpr10
	s_and_saveexec_b64 s[8:9], vcc
; %bb.2322:
	s_mov_b32 s10, 0x7f800001
	s_xor_b64 s[4:5], exec, -1
; %bb.2323:
	s_or_b64 exec, exec, s[8:9]
	s_and_b64 s[4:5], s[4:5], exec
                                        ; implicit-def: $vgpr21
	s_or_saveexec_b64 s[6:7], s[6:7]
	v_mov_b32_e32 v20, s10
	s_xor_b64 exec, exec, s[6:7]
	s_cbranch_execz .LBB9_274
.LBB9_2324:
	v_cmp_ne_u16_e32 vcc, 0, v21
	s_andn2_b64 s[4:5], s[4:5], exec
	s_and_b64 s[8:9], vcc, exec
	v_mov_b32_e32 v20, 0
	s_or_b64 s[4:5], s[4:5], s[8:9]
	s_or_b64 exec, exec, s[6:7]
	s_and_saveexec_b64 s[6:7], s[4:5]
	s_cbranch_execnz .LBB9_275
	s_branch .LBB9_276
.LBB9_2325:
	s_movk_i32 s4, 0x80
	v_cmp_eq_u16_e32 vcc, s4, v21
	s_mov_b64 s[4:5], -1
                                        ; implicit-def: $sgpr10
	s_and_saveexec_b64 s[8:9], vcc
; %bb.2326:
	s_mov_b32 s10, 0x7f800001
	s_xor_b64 s[4:5], exec, -1
; %bb.2327:
	s_or_b64 exec, exec, s[8:9]
	s_and_b64 s[4:5], s[4:5], exec
                                        ; implicit-def: $vgpr21
	s_or_saveexec_b64 s[6:7], s[6:7]
	v_mov_b32_e32 v22, s10
	s_xor_b64 exec, exec, s[6:7]
	s_cbranch_execz .LBB9_278
.LBB9_2328:
	v_cmp_ne_u16_e32 vcc, 0, v21
	s_andn2_b64 s[4:5], s[4:5], exec
	s_and_b64 s[8:9], vcc, exec
	v_mov_b32_e32 v22, 0
	s_or_b64 s[4:5], s[4:5], s[8:9]
	s_or_b64 exec, exec, s[6:7]
	s_and_saveexec_b64 s[6:7], s[4:5]
	s_cbranch_execnz .LBB9_279
	s_branch .LBB9_280
.LBB9_2329:
	s_movk_i32 s4, 0x80
	v_cmp_eq_u16_sdwa s[12:13], v14, s4 src0_sel:BYTE_3 src1_sel:DWORD
	s_mov_b64 s[4:5], -1
                                        ; implicit-def: $sgpr10
	s_and_saveexec_b64 s[8:9], s[12:13]
; %bb.2330:
	s_mov_b32 s10, 0x7f800001
	s_xor_b64 s[4:5], exec, -1
; %bb.2331:
	s_or_b64 exec, exec, s[8:9]
	s_and_b64 s[4:5], s[4:5], exec
	s_or_saveexec_b64 s[6:7], s[6:7]
	v_mov_b32_e32 v20, s10
	s_xor_b64 exec, exec, s[6:7]
	s_cbranch_execz .LBB9_282
.LBB9_2332:
	v_mov_b32_e32 v20, 0
	v_cmp_ne_u16_sdwa s[8:9], v14, v20 src0_sel:BYTE_3 src1_sel:DWORD
	s_andn2_b64 s[4:5], s[4:5], exec
	s_and_b64 s[8:9], s[8:9], exec
	s_or_b64 s[4:5], s[4:5], s[8:9]
	s_or_b64 exec, exec, s[6:7]
	s_and_saveexec_b64 s[6:7], s[4:5]
	s_cbranch_execnz .LBB9_283
	s_branch .LBB9_284
.LBB9_2333:
	s_movk_i32 s4, 0x80
	v_cmp_eq_u16_sdwa s[12:13], v10, s4 src0_sel:BYTE_3 src1_sel:DWORD
	s_mov_b64 s[4:5], -1
                                        ; implicit-def: $sgpr10
	s_and_saveexec_b64 s[8:9], s[12:13]
; %bb.2334:
	s_mov_b32 s10, 0x7f800001
	s_xor_b64 s[4:5], exec, -1
; %bb.2335:
	s_or_b64 exec, exec, s[8:9]
	s_and_b64 s[4:5], s[4:5], exec
	s_or_saveexec_b64 s[6:7], s[6:7]
	v_mov_b32_e32 v14, s10
	s_xor_b64 exec, exec, s[6:7]
	s_cbranch_execz .LBB9_286
.LBB9_2336:
	v_mov_b32_e32 v14, 0
	v_cmp_ne_u16_sdwa s[8:9], v10, v14 src0_sel:BYTE_3 src1_sel:DWORD
	s_andn2_b64 s[4:5], s[4:5], exec
	s_and_b64 s[8:9], s[8:9], exec
	s_or_b64 s[4:5], s[4:5], s[8:9]
	s_or_b64 exec, exec, s[6:7]
	s_and_saveexec_b64 s[6:7], s[4:5]
	s_cbranch_execnz .LBB9_287
	s_branch .LBB9_288
.LBB9_2337:
	s_movk_i32 s4, 0x80
	v_cmp_eq_u16_sdwa s[12:13], v15, s4 src0_sel:BYTE_0 src1_sel:DWORD
	s_mov_b64 s[4:5], -1
                                        ; implicit-def: $sgpr10
	s_and_saveexec_b64 s[8:9], s[12:13]
; %bb.2338:
	s_mov_b32 s10, 0x7f800001
	s_xor_b64 s[4:5], exec, -1
; %bb.2339:
	s_or_b64 exec, exec, s[8:9]
	s_and_b64 s[4:5], s[4:5], exec
	s_or_saveexec_b64 s[6:7], s[6:7]
	v_mov_b32_e32 v10, s10
	s_xor_b64 exec, exec, s[6:7]
	s_cbranch_execz .LBB9_290
.LBB9_2340:
	v_mov_b32_e32 v10, 0
	v_cmp_ne_u16_sdwa s[8:9], v15, v10 src0_sel:BYTE_0 src1_sel:DWORD
	s_andn2_b64 s[4:5], s[4:5], exec
	s_and_b64 s[8:9], s[8:9], exec
	s_or_b64 s[4:5], s[4:5], s[8:9]
	s_or_b64 exec, exec, s[6:7]
	s_and_saveexec_b64 s[6:7], s[4:5]
	s_cbranch_execnz .LBB9_291
	s_branch .LBB9_292
.LBB9_2341:
	s_movk_i32 s4, 0x80
	v_cmp_eq_u16_sdwa s[12:13], v11, s4 src0_sel:BYTE_0 src1_sel:DWORD
	s_mov_b64 s[4:5], -1
                                        ; implicit-def: $sgpr10
	s_and_saveexec_b64 s[8:9], s[12:13]
; %bb.2342:
	s_mov_b32 s10, 0x7f800001
	s_xor_b64 s[4:5], exec, -1
; %bb.2343:
	s_or_b64 exec, exec, s[8:9]
	s_and_b64 s[4:5], s[4:5], exec
	s_or_saveexec_b64 s[6:7], s[6:7]
	v_mov_b32_e32 v14, s10
	s_xor_b64 exec, exec, s[6:7]
	s_cbranch_execz .LBB9_294
.LBB9_2344:
	v_mov_b32_e32 v14, 0
	v_cmp_ne_u16_sdwa s[8:9], v11, v14 src0_sel:BYTE_0 src1_sel:DWORD
	s_andn2_b64 s[4:5], s[4:5], exec
	s_and_b64 s[8:9], s[8:9], exec
	s_or_b64 s[4:5], s[4:5], s[8:9]
	s_or_b64 exec, exec, s[6:7]
	s_and_saveexec_b64 s[6:7], s[4:5]
	s_cbranch_execnz .LBB9_295
	s_branch .LBB9_296
.LBB9_2345:
	s_movk_i32 s4, 0x80
	v_cmp_eq_u16_sdwa s[12:13], v14, s4 src0_sel:BYTE_0 src1_sel:DWORD
	s_mov_b64 s[4:5], -1
                                        ; implicit-def: $sgpr10
	s_and_saveexec_b64 s[8:9], s[12:13]
; %bb.2346:
	s_mov_b32 s10, 0x7f800001
	s_xor_b64 s[4:5], exec, -1
; %bb.2347:
	s_or_b64 exec, exec, s[8:9]
	s_and_b64 s[4:5], s[4:5], exec
	s_or_saveexec_b64 s[6:7], s[6:7]
	v_mov_b32_e32 v10, s10
	s_xor_b64 exec, exec, s[6:7]
	s_cbranch_execz .LBB9_298
.LBB9_2348:
	v_mov_b32_e32 v10, 0
	v_cmp_ne_u16_sdwa s[8:9], v14, v10 src0_sel:BYTE_0 src1_sel:DWORD
	s_andn2_b64 s[4:5], s[4:5], exec
	s_and_b64 s[8:9], s[8:9], exec
	s_or_b64 s[4:5], s[4:5], s[8:9]
	s_or_b64 exec, exec, s[6:7]
	s_and_saveexec_b64 s[6:7], s[4:5]
	s_cbranch_execnz .LBB9_299
	s_branch .LBB9_300
.LBB9_2349:
	s_movk_i32 s4, 0x80
	v_cmp_eq_u16_sdwa s[12:13], v14, s4 src0_sel:BYTE_0 src1_sel:DWORD
	s_mov_b64 s[4:5], -1
                                        ; implicit-def: $sgpr10
	s_and_saveexec_b64 s[8:9], s[12:13]
; %bb.2350:
	s_mov_b32 s10, 0x7f800001
	s_xor_b64 s[4:5], exec, -1
; %bb.2351:
	s_or_b64 exec, exec, s[8:9]
	s_and_b64 s[4:5], s[4:5], exec
	s_or_saveexec_b64 s[6:7], s[6:7]
	v_mov_b32_e32 v20, s10
	s_xor_b64 exec, exec, s[6:7]
	s_cbranch_execz .LBB9_302
.LBB9_2352:
	v_mov_b32_e32 v20, 0
	v_cmp_ne_u16_sdwa s[8:9], v14, v20 src0_sel:BYTE_0 src1_sel:DWORD
	s_andn2_b64 s[4:5], s[4:5], exec
	s_and_b64 s[8:9], s[8:9], exec
	s_or_b64 s[4:5], s[4:5], s[8:9]
	s_or_b64 exec, exec, s[6:7]
	s_and_saveexec_b64 s[6:7], s[4:5]
	s_cbranch_execnz .LBB9_303
	s_branch .LBB9_304
.LBB9_2353:
	s_movk_i32 s4, 0x80
	v_cmp_eq_u16_e32 vcc, s4, v14
	s_mov_b64 s[4:5], -1
                                        ; implicit-def: $sgpr10
	s_and_saveexec_b64 s[8:9], vcc
; %bb.2354:
	s_mov_b32 s10, 0x7f800001
	s_xor_b64 s[4:5], exec, -1
; %bb.2355:
	s_or_b64 exec, exec, s[8:9]
	s_and_b64 s[4:5], s[4:5], exec
                                        ; implicit-def: $vgpr14
	s_or_saveexec_b64 s[6:7], s[6:7]
	v_mov_b32_e32 v10, s10
	s_xor_b64 exec, exec, s[6:7]
	s_cbranch_execz .LBB9_306
.LBB9_2356:
	v_cmp_ne_u16_e32 vcc, 0, v14
	s_andn2_b64 s[4:5], s[4:5], exec
	s_and_b64 s[8:9], vcc, exec
	v_mov_b32_e32 v10, 0
	s_or_b64 s[4:5], s[4:5], s[8:9]
	s_or_b64 exec, exec, s[6:7]
	s_and_saveexec_b64 s[6:7], s[4:5]
	s_cbranch_execnz .LBB9_307
	s_branch .LBB9_308
.LBB9_2357:
	s_movk_i32 s4, 0x80
	v_cmp_eq_u16_e32 vcc, s4, v14
	s_mov_b64 s[4:5], -1
                                        ; implicit-def: $sgpr10
	s_and_saveexec_b64 s[8:9], vcc
; %bb.2358:
	s_mov_b32 s10, 0x7f800001
	s_xor_b64 s[4:5], exec, -1
; %bb.2359:
	s_or_b64 exec, exec, s[8:9]
	s_and_b64 s[4:5], s[4:5], exec
                                        ; implicit-def: $vgpr14
	s_or_saveexec_b64 s[6:7], s[6:7]
	v_mov_b32_e32 v20, s10
	s_xor_b64 exec, exec, s[6:7]
	s_cbranch_execz .LBB9_310
.LBB9_2360:
	v_cmp_ne_u16_e32 vcc, 0, v14
	s_andn2_b64 s[4:5], s[4:5], exec
	s_and_b64 s[8:9], vcc, exec
	v_mov_b32_e32 v20, 0
	s_or_b64 s[4:5], s[4:5], s[8:9]
	s_or_b64 exec, exec, s[6:7]
	s_and_saveexec_b64 s[6:7], s[4:5]
	s_cbranch_execnz .LBB9_311
	s_branch .LBB9_312
.LBB9_2361:
	s_movk_i32 s4, 0x80
	v_cmp_eq_u16_sdwa s[12:13], v15, s4 src0_sel:BYTE_3 src1_sel:DWORD
	s_mov_b64 s[4:5], -1
                                        ; implicit-def: $sgpr10
	s_and_saveexec_b64 s[8:9], s[12:13]
; %bb.2362:
	s_mov_b32 s10, 0x7f800001
	s_xor_b64 s[4:5], exec, -1
; %bb.2363:
	s_or_b64 exec, exec, s[8:9]
	s_and_b64 s[4:5], s[4:5], exec
	s_or_saveexec_b64 s[6:7], s[6:7]
	v_mov_b32_e32 v10, s10
	s_xor_b64 exec, exec, s[6:7]
	s_cbranch_execz .LBB9_314
.LBB9_2364:
	v_mov_b32_e32 v10, 0
	v_cmp_ne_u16_sdwa s[8:9], v15, v10 src0_sel:BYTE_3 src1_sel:DWORD
	s_andn2_b64 s[4:5], s[4:5], exec
	s_and_b64 s[8:9], s[8:9], exec
	s_or_b64 s[4:5], s[4:5], s[8:9]
	s_or_b64 exec, exec, s[6:7]
	s_and_saveexec_b64 s[6:7], s[4:5]
	s_cbranch_execnz .LBB9_315
	s_branch .LBB9_316
.LBB9_2365:
	s_movk_i32 s4, 0x80
	v_cmp_eq_u16_sdwa s[12:13], v11, s4 src0_sel:BYTE_3 src1_sel:DWORD
	s_mov_b64 s[4:5], -1
                                        ; implicit-def: $sgpr10
	s_and_saveexec_b64 s[8:9], s[12:13]
; %bb.2366:
	s_mov_b32 s10, 0x7f800001
	s_xor_b64 s[4:5], exec, -1
; %bb.2367:
	s_or_b64 exec, exec, s[8:9]
	s_and_b64 s[4:5], s[4:5], exec
	s_or_saveexec_b64 s[6:7], s[6:7]
	v_mov_b32_e32 v14, s10
	s_xor_b64 exec, exec, s[6:7]
	s_cbranch_execz .LBB9_318
.LBB9_2368:
	v_mov_b32_e32 v14, 0
	v_cmp_ne_u16_sdwa s[8:9], v11, v14 src0_sel:BYTE_3 src1_sel:DWORD
	s_andn2_b64 s[4:5], s[4:5], exec
	s_and_b64 s[8:9], s[8:9], exec
	s_or_b64 s[4:5], s[4:5], s[8:9]
	s_or_b64 exec, exec, s[6:7]
	s_and_saveexec_b64 s[6:7], s[4:5]
	s_cbranch_execnz .LBB9_319
	s_branch .LBB9_320
.LBB9_2369:
	s_movk_i32 s4, 0x80
	v_cmp_eq_u16_sdwa s[12:13], v16, s4 src0_sel:BYTE_0 src1_sel:DWORD
	s_mov_b64 s[4:5], -1
                                        ; implicit-def: $sgpr10
	s_and_saveexec_b64 s[8:9], s[12:13]
; %bb.2370:
	s_mov_b32 s10, 0x7f800001
	s_xor_b64 s[4:5], exec, -1
; %bb.2371:
	s_or_b64 exec, exec, s[8:9]
	s_and_b64 s[4:5], s[4:5], exec
	s_or_saveexec_b64 s[6:7], s[6:7]
	v_mov_b32_e32 v10, s10
	s_xor_b64 exec, exec, s[6:7]
	s_cbranch_execz .LBB9_322
.LBB9_2372:
	v_mov_b32_e32 v10, 0
	v_cmp_ne_u16_sdwa s[8:9], v16, v10 src0_sel:BYTE_0 src1_sel:DWORD
	s_andn2_b64 s[4:5], s[4:5], exec
	s_and_b64 s[8:9], s[8:9], exec
	s_or_b64 s[4:5], s[4:5], s[8:9]
	s_or_b64 exec, exec, s[6:7]
	s_and_saveexec_b64 s[6:7], s[4:5]
	s_cbranch_execnz .LBB9_323
	s_branch .LBB9_324
.LBB9_2373:
	s_movk_i32 s4, 0x80
	v_cmp_eq_u16_sdwa s[12:13], v12, s4 src0_sel:BYTE_0 src1_sel:DWORD
	s_mov_b64 s[4:5], -1
                                        ; implicit-def: $sgpr10
	s_and_saveexec_b64 s[8:9], s[12:13]
; %bb.2374:
	s_mov_b32 s10, 0x7f800001
	s_xor_b64 s[4:5], exec, -1
; %bb.2375:
	s_or_b64 exec, exec, s[8:9]
	s_and_b64 s[4:5], s[4:5], exec
	s_or_saveexec_b64 s[6:7], s[6:7]
	v_mov_b32_e32 v11, s10
	s_xor_b64 exec, exec, s[6:7]
	s_cbranch_execz .LBB9_326
.LBB9_2376:
	v_mov_b32_e32 v11, 0
	v_cmp_ne_u16_sdwa s[8:9], v12, v11 src0_sel:BYTE_0 src1_sel:DWORD
	s_andn2_b64 s[4:5], s[4:5], exec
	s_and_b64 s[8:9], s[8:9], exec
	s_or_b64 s[4:5], s[4:5], s[8:9]
	s_or_b64 exec, exec, s[6:7]
	s_and_saveexec_b64 s[6:7], s[4:5]
	s_cbranch_execnz .LBB9_327
	s_branch .LBB9_328
.LBB9_2377:
	s_movk_i32 s4, 0x80
	v_cmp_eq_u16_sdwa s[12:13], v11, s4 src0_sel:BYTE_0 src1_sel:DWORD
	s_mov_b64 s[4:5], -1
                                        ; implicit-def: $sgpr10
	s_and_saveexec_b64 s[8:9], s[12:13]
; %bb.2378:
	s_mov_b32 s10, 0x7f800001
	s_xor_b64 s[4:5], exec, -1
; %bb.2379:
	s_or_b64 exec, exec, s[8:9]
	s_and_b64 s[4:5], s[4:5], exec
	s_or_saveexec_b64 s[6:7], s[6:7]
	v_mov_b32_e32 v10, s10
	s_xor_b64 exec, exec, s[6:7]
	s_cbranch_execz .LBB9_330
.LBB9_2380:
	v_mov_b32_e32 v10, 0
	v_cmp_ne_u16_sdwa s[8:9], v11, v10 src0_sel:BYTE_0 src1_sel:DWORD
	s_andn2_b64 s[4:5], s[4:5], exec
	s_and_b64 s[8:9], s[8:9], exec
	s_or_b64 s[4:5], s[4:5], s[8:9]
	s_or_b64 exec, exec, s[6:7]
	s_and_saveexec_b64 s[6:7], s[4:5]
	s_cbranch_execnz .LBB9_331
	s_branch .LBB9_332
.LBB9_2381:
	s_movk_i32 s4, 0x80
	v_cmp_eq_u16_sdwa s[12:13], v11, s4 src0_sel:BYTE_0 src1_sel:DWORD
	s_mov_b64 s[4:5], -1
                                        ; implicit-def: $sgpr10
	s_and_saveexec_b64 s[8:9], s[12:13]
; %bb.2382:
	s_mov_b32 s10, 0x7f800001
	s_xor_b64 s[4:5], exec, -1
; %bb.2383:
	s_or_b64 exec, exec, s[8:9]
	s_and_b64 s[4:5], s[4:5], exec
	s_or_saveexec_b64 s[6:7], s[6:7]
	v_mov_b32_e32 v14, s10
	s_xor_b64 exec, exec, s[6:7]
	s_cbranch_execz .LBB9_334
.LBB9_2384:
	v_mov_b32_e32 v14, 0
	v_cmp_ne_u16_sdwa s[8:9], v11, v14 src0_sel:BYTE_0 src1_sel:DWORD
	s_andn2_b64 s[4:5], s[4:5], exec
	s_and_b64 s[8:9], s[8:9], exec
	s_or_b64 s[4:5], s[4:5], s[8:9]
	s_or_b64 exec, exec, s[6:7]
	s_and_saveexec_b64 s[6:7], s[4:5]
	s_cbranch_execnz .LBB9_335
	s_branch .LBB9_336
.LBB9_2385:
	s_movk_i32 s4, 0x80
	v_cmp_eq_u16_e32 vcc, s4, v11
	s_mov_b64 s[4:5], -1
                                        ; implicit-def: $sgpr10
	s_and_saveexec_b64 s[8:9], vcc
; %bb.2386:
	s_mov_b32 s10, 0x7f800001
	s_xor_b64 s[4:5], exec, -1
; %bb.2387:
	s_or_b64 exec, exec, s[8:9]
	s_and_b64 s[4:5], s[4:5], exec
                                        ; implicit-def: $vgpr11
	s_or_saveexec_b64 s[6:7], s[6:7]
	v_mov_b32_e32 v10, s10
	s_xor_b64 exec, exec, s[6:7]
	s_cbranch_execz .LBB9_338
.LBB9_2388:
	v_cmp_ne_u16_e32 vcc, 0, v11
	s_andn2_b64 s[4:5], s[4:5], exec
	s_and_b64 s[8:9], vcc, exec
	v_mov_b32_e32 v10, 0
	s_or_b64 s[4:5], s[4:5], s[8:9]
	s_or_b64 exec, exec, s[6:7]
	s_and_saveexec_b64 s[6:7], s[4:5]
	s_cbranch_execnz .LBB9_339
	s_branch .LBB9_340
.LBB9_2389:
	s_movk_i32 s4, 0x80
	v_cmp_eq_u16_e32 vcc, s4, v11
	s_mov_b64 s[4:5], -1
                                        ; implicit-def: $sgpr10
	s_and_saveexec_b64 s[8:9], vcc
; %bb.2390:
	s_mov_b32 s10, 0x7f800001
	s_xor_b64 s[4:5], exec, -1
; %bb.2391:
	s_or_b64 exec, exec, s[8:9]
	s_and_b64 s[4:5], s[4:5], exec
                                        ; implicit-def: $vgpr11
	s_or_saveexec_b64 s[6:7], s[6:7]
	v_mov_b32_e32 v14, s10
	s_xor_b64 exec, exec, s[6:7]
	s_cbranch_execz .LBB9_342
.LBB9_2392:
	v_cmp_ne_u16_e32 vcc, 0, v11
	s_andn2_b64 s[4:5], s[4:5], exec
	s_and_b64 s[8:9], vcc, exec
	v_mov_b32_e32 v14, 0
	s_or_b64 s[4:5], s[4:5], s[8:9]
	s_or_b64 exec, exec, s[6:7]
	s_and_saveexec_b64 s[6:7], s[4:5]
	s_cbranch_execnz .LBB9_343
	s_branch .LBB9_344
.LBB9_2393:
	s_movk_i32 s4, 0x80
	v_cmp_eq_u16_sdwa s[12:13], v16, s4 src0_sel:BYTE_3 src1_sel:DWORD
	s_mov_b64 s[4:5], -1
                                        ; implicit-def: $sgpr10
	s_and_saveexec_b64 s[8:9], s[12:13]
; %bb.2394:
	s_mov_b32 s10, 0x7f800001
	s_xor_b64 s[4:5], exec, -1
; %bb.2395:
	s_or_b64 exec, exec, s[8:9]
	s_and_b64 s[4:5], s[4:5], exec
	s_or_saveexec_b64 s[6:7], s[6:7]
	v_mov_b32_e32 v10, s10
	s_xor_b64 exec, exec, s[6:7]
	s_cbranch_execz .LBB9_346
.LBB9_2396:
	v_mov_b32_e32 v10, 0
	v_cmp_ne_u16_sdwa s[8:9], v16, v10 src0_sel:BYTE_3 src1_sel:DWORD
	s_andn2_b64 s[4:5], s[4:5], exec
	s_and_b64 s[8:9], s[8:9], exec
	s_or_b64 s[4:5], s[4:5], s[8:9]
	s_or_b64 exec, exec, s[6:7]
	s_and_saveexec_b64 s[6:7], s[4:5]
	s_cbranch_execnz .LBB9_347
	s_branch .LBB9_348
.LBB9_2397:
	s_movk_i32 s4, 0x80
	v_cmp_eq_u16_sdwa s[12:13], v12, s4 src0_sel:BYTE_3 src1_sel:DWORD
	s_mov_b64 s[4:5], -1
                                        ; implicit-def: $sgpr10
	s_and_saveexec_b64 s[8:9], s[12:13]
; %bb.2398:
	s_mov_b32 s10, 0x7f800001
	s_xor_b64 s[4:5], exec, -1
; %bb.2399:
	s_or_b64 exec, exec, s[8:9]
	s_and_b64 s[4:5], s[4:5], exec
	s_or_saveexec_b64 s[6:7], s[6:7]
	v_mov_b32_e32 v11, s10
	s_xor_b64 exec, exec, s[6:7]
	s_cbranch_execz .LBB9_350
.LBB9_2400:
	v_mov_b32_e32 v11, 0
	v_cmp_ne_u16_sdwa s[8:9], v12, v11 src0_sel:BYTE_3 src1_sel:DWORD
	s_andn2_b64 s[4:5], s[4:5], exec
	s_and_b64 s[8:9], s[8:9], exec
	s_or_b64 s[4:5], s[4:5], s[8:9]
	s_or_b64 exec, exec, s[6:7]
	s_and_saveexec_b64 s[6:7], s[4:5]
	s_cbranch_execnz .LBB9_351
	s_branch .LBB9_352
.LBB9_2401:
	s_movk_i32 s4, 0x80
	v_cmp_eq_u16_sdwa s[12:13], v17, s4 src0_sel:BYTE_0 src1_sel:DWORD
	s_mov_b64 s[4:5], -1
                                        ; implicit-def: $sgpr10
	s_and_saveexec_b64 s[8:9], s[12:13]
; %bb.2402:
	s_mov_b32 s10, 0x7f800001
	s_xor_b64 s[4:5], exec, -1
; %bb.2403:
	s_or_b64 exec, exec, s[8:9]
	s_and_b64 s[4:5], s[4:5], exec
	s_or_saveexec_b64 s[6:7], s[6:7]
	v_mov_b32_e32 v10, s10
	s_xor_b64 exec, exec, s[6:7]
	s_cbranch_execz .LBB9_354
.LBB9_2404:
	v_mov_b32_e32 v10, 0
	v_cmp_ne_u16_sdwa s[8:9], v17, v10 src0_sel:BYTE_0 src1_sel:DWORD
	s_andn2_b64 s[4:5], s[4:5], exec
	s_and_b64 s[8:9], s[8:9], exec
	s_or_b64 s[4:5], s[4:5], s[8:9]
	s_or_b64 exec, exec, s[6:7]
	s_and_saveexec_b64 s[6:7], s[4:5]
	s_cbranch_execnz .LBB9_355
	s_branch .LBB9_356
.LBB9_2405:
	s_movk_i32 s4, 0x80
	v_cmp_eq_u16_sdwa s[12:13], v13, s4 src0_sel:BYTE_0 src1_sel:DWORD
	s_mov_b64 s[4:5], -1
                                        ; implicit-def: $sgpr10
	s_and_saveexec_b64 s[8:9], s[12:13]
; %bb.2406:
	s_mov_b32 s10, 0x7f800001
	s_xor_b64 s[4:5], exec, -1
; %bb.2407:
	s_or_b64 exec, exec, s[8:9]
	s_and_b64 s[4:5], s[4:5], exec
	s_or_saveexec_b64 s[6:7], s[6:7]
	v_mov_b32_e32 v11, s10
	s_xor_b64 exec, exec, s[6:7]
	s_cbranch_execz .LBB9_358
.LBB9_2408:
	v_mov_b32_e32 v11, 0
	v_cmp_ne_u16_sdwa s[8:9], v13, v11 src0_sel:BYTE_0 src1_sel:DWORD
	s_andn2_b64 s[4:5], s[4:5], exec
	s_and_b64 s[8:9], s[8:9], exec
	s_or_b64 s[4:5], s[4:5], s[8:9]
	s_or_b64 exec, exec, s[6:7]
	s_and_saveexec_b64 s[6:7], s[4:5]
	s_cbranch_execnz .LBB9_359
	s_branch .LBB9_360
.LBB9_2409:
	s_movk_i32 s4, 0x80
	v_cmp_eq_u16_sdwa s[12:13], v11, s4 src0_sel:BYTE_0 src1_sel:DWORD
	s_mov_b64 s[4:5], -1
                                        ; implicit-def: $sgpr10
	s_and_saveexec_b64 s[8:9], s[12:13]
; %bb.2410:
	s_mov_b32 s10, 0x7f800001
	s_xor_b64 s[4:5], exec, -1
; %bb.2411:
	s_or_b64 exec, exec, s[8:9]
	s_and_b64 s[4:5], s[4:5], exec
	s_or_saveexec_b64 s[6:7], s[6:7]
	v_mov_b32_e32 v10, s10
	s_xor_b64 exec, exec, s[6:7]
	s_cbranch_execz .LBB9_362
.LBB9_2412:
	v_mov_b32_e32 v10, 0
	v_cmp_ne_u16_sdwa s[8:9], v11, v10 src0_sel:BYTE_0 src1_sel:DWORD
	s_andn2_b64 s[4:5], s[4:5], exec
	s_and_b64 s[8:9], s[8:9], exec
	s_or_b64 s[4:5], s[4:5], s[8:9]
	s_or_b64 exec, exec, s[6:7]
	s_and_saveexec_b64 s[6:7], s[4:5]
	s_cbranch_execnz .LBB9_363
	s_branch .LBB9_364
.LBB9_2413:
	s_movk_i32 s4, 0x80
	v_cmp_eq_u16_sdwa s[12:13], v11, s4 src0_sel:BYTE_0 src1_sel:DWORD
	s_mov_b64 s[4:5], -1
                                        ; implicit-def: $sgpr10
	s_and_saveexec_b64 s[8:9], s[12:13]
; %bb.2414:
	s_mov_b32 s10, 0x7f800001
	s_xor_b64 s[4:5], exec, -1
; %bb.2415:
	s_or_b64 exec, exec, s[8:9]
	s_and_b64 s[4:5], s[4:5], exec
	s_or_saveexec_b64 s[6:7], s[6:7]
	v_mov_b32_e32 v12, s10
	s_xor_b64 exec, exec, s[6:7]
	s_cbranch_execz .LBB9_366
.LBB9_2416:
	v_mov_b32_e32 v12, 0
	v_cmp_ne_u16_sdwa s[8:9], v11, v12 src0_sel:BYTE_0 src1_sel:DWORD
	s_andn2_b64 s[4:5], s[4:5], exec
	s_and_b64 s[8:9], s[8:9], exec
	s_or_b64 s[4:5], s[4:5], s[8:9]
	s_or_b64 exec, exec, s[6:7]
	s_and_saveexec_b64 s[6:7], s[4:5]
	s_cbranch_execnz .LBB9_367
	s_branch .LBB9_368
.LBB9_2417:
	s_movk_i32 s4, 0x80
	v_cmp_eq_u16_e32 vcc, s4, v11
	s_mov_b64 s[4:5], -1
                                        ; implicit-def: $sgpr10
	s_and_saveexec_b64 s[8:9], vcc
; %bb.2418:
	s_mov_b32 s10, 0x7f800001
	s_xor_b64 s[4:5], exec, -1
; %bb.2419:
	s_or_b64 exec, exec, s[8:9]
	s_and_b64 s[4:5], s[4:5], exec
                                        ; implicit-def: $vgpr11
	s_or_saveexec_b64 s[6:7], s[6:7]
	v_mov_b32_e32 v10, s10
	s_xor_b64 exec, exec, s[6:7]
	s_cbranch_execz .LBB9_370
.LBB9_2420:
	v_cmp_ne_u16_e32 vcc, 0, v11
	s_andn2_b64 s[4:5], s[4:5], exec
	s_and_b64 s[8:9], vcc, exec
	v_mov_b32_e32 v10, 0
	s_or_b64 s[4:5], s[4:5], s[8:9]
	s_or_b64 exec, exec, s[6:7]
	s_and_saveexec_b64 s[6:7], s[4:5]
	s_cbranch_execnz .LBB9_371
	s_branch .LBB9_372
.LBB9_2421:
	s_movk_i32 s4, 0x80
	v_cmp_eq_u16_e32 vcc, s4, v11
	s_mov_b64 s[4:5], -1
                                        ; implicit-def: $sgpr10
	s_and_saveexec_b64 s[8:9], vcc
; %bb.2422:
	s_mov_b32 s10, 0x7f800001
	s_xor_b64 s[4:5], exec, -1
; %bb.2423:
	s_or_b64 exec, exec, s[8:9]
	s_and_b64 s[4:5], s[4:5], exec
                                        ; implicit-def: $vgpr11
	s_or_saveexec_b64 s[6:7], s[6:7]
	v_mov_b32_e32 v12, s10
	s_xor_b64 exec, exec, s[6:7]
	s_cbranch_execz .LBB9_374
.LBB9_2424:
	v_cmp_ne_u16_e32 vcc, 0, v11
	s_andn2_b64 s[4:5], s[4:5], exec
	s_and_b64 s[8:9], vcc, exec
	v_mov_b32_e32 v12, 0
	s_or_b64 s[4:5], s[4:5], s[8:9]
	s_or_b64 exec, exec, s[6:7]
	s_and_saveexec_b64 s[6:7], s[4:5]
	s_cbranch_execnz .LBB9_375
	s_branch .LBB9_376
.LBB9_2425:
	s_movk_i32 s4, 0x80
	v_cmp_eq_u16_sdwa s[12:13], v17, s4 src0_sel:BYTE_3 src1_sel:DWORD
	s_mov_b64 s[4:5], -1
                                        ; implicit-def: $sgpr10
	s_and_saveexec_b64 s[8:9], s[12:13]
; %bb.2426:
	s_mov_b32 s10, 0x7f800001
	s_xor_b64 s[4:5], exec, -1
; %bb.2427:
	s_or_b64 exec, exec, s[8:9]
	s_and_b64 s[4:5], s[4:5], exec
	s_or_saveexec_b64 s[6:7], s[6:7]
	v_mov_b32_e32 v10, s10
	s_xor_b64 exec, exec, s[6:7]
	s_cbranch_execz .LBB9_378
.LBB9_2428:
	v_mov_b32_e32 v10, 0
	v_cmp_ne_u16_sdwa s[8:9], v17, v10 src0_sel:BYTE_3 src1_sel:DWORD
	s_andn2_b64 s[4:5], s[4:5], exec
	s_and_b64 s[8:9], s[8:9], exec
	s_or_b64 s[4:5], s[4:5], s[8:9]
	s_or_b64 exec, exec, s[6:7]
	s_and_saveexec_b64 s[6:7], s[4:5]
	s_cbranch_execnz .LBB9_379
	s_branch .LBB9_380
.LBB9_2429:
	s_movk_i32 s4, 0x80
	v_cmp_eq_u16_sdwa s[12:13], v13, s4 src0_sel:BYTE_3 src1_sel:DWORD
	s_mov_b64 s[4:5], -1
                                        ; implicit-def: $sgpr10
	s_and_saveexec_b64 s[8:9], s[12:13]
; %bb.2430:
	s_mov_b32 s10, 0x7f800001
	s_xor_b64 s[4:5], exec, -1
; %bb.2431:
	s_or_b64 exec, exec, s[8:9]
	s_and_b64 s[4:5], s[4:5], exec
	s_or_saveexec_b64 s[6:7], s[6:7]
	v_mov_b32_e32 v11, s10
	s_xor_b64 exec, exec, s[6:7]
	s_cbranch_execz .LBB9_382
.LBB9_2432:
	v_mov_b32_e32 v11, 0
	v_cmp_ne_u16_sdwa s[8:9], v13, v11 src0_sel:BYTE_3 src1_sel:DWORD
	s_andn2_b64 s[4:5], s[4:5], exec
	s_and_b64 s[8:9], s[8:9], exec
	s_or_b64 s[4:5], s[4:5], s[8:9]
	s_or_b64 exec, exec, s[6:7]
	s_and_saveexec_b64 s[6:7], s[4:5]
	s_cbranch_execnz .LBB9_383
	s_branch .LBB9_384
.LBB9_2433:
	s_movk_i32 s4, 0x80
	v_cmp_eq_u16_sdwa s[12:13], v6, s4 src0_sel:BYTE_0 src1_sel:DWORD
	s_mov_b64 s[4:5], -1
                                        ; implicit-def: $sgpr10
	s_and_saveexec_b64 s[8:9], s[12:13]
; %bb.2434:
	s_mov_b32 s10, 0x7f800001
	s_xor_b64 s[4:5], exec, -1
; %bb.2435:
	s_or_b64 exec, exec, s[8:9]
	s_and_b64 s[4:5], s[4:5], exec
	s_or_saveexec_b64 s[6:7], s[6:7]
	v_mov_b32_e32 v10, s10
	s_xor_b64 exec, exec, s[6:7]
	s_cbranch_execz .LBB9_386
.LBB9_2436:
	v_mov_b32_e32 v10, 0
	v_cmp_ne_u16_sdwa s[8:9], v6, v10 src0_sel:BYTE_0 src1_sel:DWORD
	s_andn2_b64 s[4:5], s[4:5], exec
	s_and_b64 s[8:9], s[8:9], exec
	s_or_b64 s[4:5], s[4:5], s[8:9]
	s_or_b64 exec, exec, s[6:7]
	s_and_saveexec_b64 s[6:7], s[4:5]
	s_cbranch_execnz .LBB9_387
	s_branch .LBB9_388
.LBB9_2437:
	s_movk_i32 s4, 0x80
	v_cmp_eq_u16_sdwa s[12:13], v2, s4 src0_sel:BYTE_0 src1_sel:DWORD
	s_mov_b64 s[4:5], -1
                                        ; implicit-def: $sgpr10
	s_and_saveexec_b64 s[8:9], s[12:13]
; %bb.2438:
	s_mov_b32 s10, 0x7f800001
	s_xor_b64 s[4:5], exec, -1
; %bb.2439:
	s_or_b64 exec, exec, s[8:9]
	s_and_b64 s[4:5], s[4:5], exec
	s_or_saveexec_b64 s[6:7], s[6:7]
	v_mov_b32_e32 v11, s10
	s_xor_b64 exec, exec, s[6:7]
	s_cbranch_execz .LBB9_390
.LBB9_2440:
	v_mov_b32_e32 v11, 0
	v_cmp_ne_u16_sdwa s[8:9], v2, v11 src0_sel:BYTE_0 src1_sel:DWORD
	s_andn2_b64 s[4:5], s[4:5], exec
	s_and_b64 s[8:9], s[8:9], exec
	s_or_b64 s[4:5], s[4:5], s[8:9]
	s_or_b64 exec, exec, s[6:7]
	s_and_saveexec_b64 s[6:7], s[4:5]
	s_cbranch_execnz .LBB9_391
	s_branch .LBB9_392
.LBB9_2441:
	s_movk_i32 s4, 0x80
	v_cmp_eq_u16_sdwa s[12:13], v11, s4 src0_sel:BYTE_0 src1_sel:DWORD
	s_mov_b64 s[4:5], -1
                                        ; implicit-def: $sgpr10
	s_and_saveexec_b64 s[8:9], s[12:13]
; %bb.2442:
	s_mov_b32 s10, 0x7f800001
	s_xor_b64 s[4:5], exec, -1
; %bb.2443:
	s_or_b64 exec, exec, s[8:9]
	s_and_b64 s[4:5], s[4:5], exec
	s_or_saveexec_b64 s[6:7], s[6:7]
	v_mov_b32_e32 v10, s10
	s_xor_b64 exec, exec, s[6:7]
	s_cbranch_execz .LBB9_394
.LBB9_2444:
	v_mov_b32_e32 v10, 0
	v_cmp_ne_u16_sdwa s[8:9], v11, v10 src0_sel:BYTE_0 src1_sel:DWORD
	s_andn2_b64 s[4:5], s[4:5], exec
	s_and_b64 s[8:9], s[8:9], exec
	s_or_b64 s[4:5], s[4:5], s[8:9]
	s_or_b64 exec, exec, s[6:7]
	s_and_saveexec_b64 s[6:7], s[4:5]
	s_cbranch_execnz .LBB9_395
	s_branch .LBB9_396
.LBB9_2445:
	s_movk_i32 s4, 0x80
	v_cmp_eq_u16_sdwa s[12:13], v11, s4 src0_sel:BYTE_0 src1_sel:DWORD
	s_mov_b64 s[4:5], -1
                                        ; implicit-def: $sgpr10
	s_and_saveexec_b64 s[8:9], s[12:13]
; %bb.2446:
	s_mov_b32 s10, 0x7f800001
	s_xor_b64 s[4:5], exec, -1
; %bb.2447:
	s_or_b64 exec, exec, s[8:9]
	s_and_b64 s[4:5], s[4:5], exec
	s_or_saveexec_b64 s[6:7], s[6:7]
	v_mov_b32_e32 v12, s10
	s_xor_b64 exec, exec, s[6:7]
	s_cbranch_execz .LBB9_398
.LBB9_2448:
	v_mov_b32_e32 v12, 0
	v_cmp_ne_u16_sdwa s[8:9], v11, v12 src0_sel:BYTE_0 src1_sel:DWORD
	s_andn2_b64 s[4:5], s[4:5], exec
	s_and_b64 s[8:9], s[8:9], exec
	s_or_b64 s[4:5], s[4:5], s[8:9]
	s_or_b64 exec, exec, s[6:7]
	s_and_saveexec_b64 s[6:7], s[4:5]
	s_cbranch_execnz .LBB9_399
	s_branch .LBB9_400
.LBB9_2449:
	s_movk_i32 s4, 0x80
	v_cmp_eq_u16_e32 vcc, s4, v11
	s_mov_b64 s[4:5], -1
                                        ; implicit-def: $sgpr10
	s_and_saveexec_b64 s[8:9], vcc
; %bb.2450:
	s_mov_b32 s10, 0x7f800001
	s_xor_b64 s[4:5], exec, -1
; %bb.2451:
	s_or_b64 exec, exec, s[8:9]
	s_and_b64 s[4:5], s[4:5], exec
                                        ; implicit-def: $vgpr11
	s_or_saveexec_b64 s[6:7], s[6:7]
	v_mov_b32_e32 v10, s10
	s_xor_b64 exec, exec, s[6:7]
	s_cbranch_execz .LBB9_402
.LBB9_2452:
	v_cmp_ne_u16_e32 vcc, 0, v11
	s_andn2_b64 s[4:5], s[4:5], exec
	s_and_b64 s[8:9], vcc, exec
	v_mov_b32_e32 v10, 0
	s_or_b64 s[4:5], s[4:5], s[8:9]
	s_or_b64 exec, exec, s[6:7]
	s_and_saveexec_b64 s[6:7], s[4:5]
	s_cbranch_execnz .LBB9_403
	s_branch .LBB9_404
.LBB9_2453:
	s_movk_i32 s4, 0x80
	v_cmp_eq_u16_e32 vcc, s4, v11
	s_mov_b64 s[4:5], -1
                                        ; implicit-def: $sgpr10
	s_and_saveexec_b64 s[8:9], vcc
; %bb.2454:
	s_mov_b32 s10, 0x7f800001
	s_xor_b64 s[4:5], exec, -1
; %bb.2455:
	s_or_b64 exec, exec, s[8:9]
	s_and_b64 s[4:5], s[4:5], exec
                                        ; implicit-def: $vgpr11
	s_or_saveexec_b64 s[6:7], s[6:7]
	v_mov_b32_e32 v12, s10
	s_xor_b64 exec, exec, s[6:7]
	s_cbranch_execz .LBB9_406
.LBB9_2456:
	v_cmp_ne_u16_e32 vcc, 0, v11
	s_andn2_b64 s[4:5], s[4:5], exec
	s_and_b64 s[8:9], vcc, exec
	v_mov_b32_e32 v12, 0
	s_or_b64 s[4:5], s[4:5], s[8:9]
	s_or_b64 exec, exec, s[6:7]
	s_and_saveexec_b64 s[6:7], s[4:5]
	s_cbranch_execnz .LBB9_407
	s_branch .LBB9_408
.LBB9_2457:
	s_movk_i32 s4, 0x80
	v_cmp_eq_u16_sdwa s[12:13], v6, s4 src0_sel:BYTE_3 src1_sel:DWORD
	s_mov_b64 s[4:5], -1
                                        ; implicit-def: $sgpr10
	s_and_saveexec_b64 s[8:9], s[12:13]
; %bb.2458:
	s_mov_b32 s10, 0x7f800001
	s_xor_b64 s[4:5], exec, -1
; %bb.2459:
	s_or_b64 exec, exec, s[8:9]
	s_and_b64 s[4:5], s[4:5], exec
	s_or_saveexec_b64 s[6:7], s[6:7]
	v_mov_b32_e32 v10, s10
	s_xor_b64 exec, exec, s[6:7]
	s_cbranch_execz .LBB9_410
.LBB9_2460:
	v_mov_b32_e32 v10, 0
	v_cmp_ne_u16_sdwa s[8:9], v6, v10 src0_sel:BYTE_3 src1_sel:DWORD
	s_andn2_b64 s[4:5], s[4:5], exec
	s_and_b64 s[8:9], s[8:9], exec
	s_or_b64 s[4:5], s[4:5], s[8:9]
	s_or_b64 exec, exec, s[6:7]
	s_and_saveexec_b64 s[6:7], s[4:5]
	s_cbranch_execnz .LBB9_411
	s_branch .LBB9_412
.LBB9_2461:
	s_movk_i32 s4, 0x80
	v_cmp_eq_u16_sdwa s[12:13], v2, s4 src0_sel:BYTE_3 src1_sel:DWORD
	s_mov_b64 s[4:5], -1
                                        ; implicit-def: $sgpr10
	s_and_saveexec_b64 s[8:9], s[12:13]
; %bb.2462:
	s_mov_b32 s10, 0x7f800001
	s_xor_b64 s[4:5], exec, -1
; %bb.2463:
	s_or_b64 exec, exec, s[8:9]
	s_and_b64 s[4:5], s[4:5], exec
	s_or_saveexec_b64 s[6:7], s[6:7]
	v_mov_b32_e32 v6, s10
	s_xor_b64 exec, exec, s[6:7]
	s_cbranch_execz .LBB9_414
.LBB9_2464:
	v_mov_b32_e32 v6, 0
	v_cmp_ne_u16_sdwa s[8:9], v2, v6 src0_sel:BYTE_3 src1_sel:DWORD
	s_andn2_b64 s[4:5], s[4:5], exec
	s_and_b64 s[8:9], s[8:9], exec
	s_or_b64 s[4:5], s[4:5], s[8:9]
	s_or_b64 exec, exec, s[6:7]
	s_and_saveexec_b64 s[6:7], s[4:5]
	s_cbranch_execnz .LBB9_415
	s_branch .LBB9_416
.LBB9_2465:
	s_movk_i32 s4, 0x80
	v_cmp_eq_u16_sdwa s[12:13], v7, s4 src0_sel:BYTE_0 src1_sel:DWORD
	s_mov_b64 s[4:5], -1
                                        ; implicit-def: $sgpr10
	s_and_saveexec_b64 s[8:9], s[12:13]
; %bb.2466:
	s_mov_b32 s10, 0x7f800001
	s_xor_b64 s[4:5], exec, -1
; %bb.2467:
	s_or_b64 exec, exec, s[8:9]
	s_and_b64 s[4:5], s[4:5], exec
	s_or_saveexec_b64 s[6:7], s[6:7]
	v_mov_b32_e32 v2, s10
	s_xor_b64 exec, exec, s[6:7]
	s_cbranch_execz .LBB9_418
.LBB9_2468:
	v_mov_b32_e32 v2, 0
	v_cmp_ne_u16_sdwa s[8:9], v7, v2 src0_sel:BYTE_0 src1_sel:DWORD
	s_andn2_b64 s[4:5], s[4:5], exec
	s_and_b64 s[8:9], s[8:9], exec
	s_or_b64 s[4:5], s[4:5], s[8:9]
	s_or_b64 exec, exec, s[6:7]
	s_and_saveexec_b64 s[6:7], s[4:5]
	s_cbranch_execnz .LBB9_419
	s_branch .LBB9_420
.LBB9_2469:
	s_movk_i32 s4, 0x80
	v_cmp_eq_u16_sdwa s[12:13], v3, s4 src0_sel:BYTE_0 src1_sel:DWORD
	s_mov_b64 s[4:5], -1
                                        ; implicit-def: $sgpr10
	s_and_saveexec_b64 s[8:9], s[12:13]
; %bb.2470:
	s_mov_b32 s10, 0x7f800001
	s_xor_b64 s[4:5], exec, -1
; %bb.2471:
	s_or_b64 exec, exec, s[8:9]
	s_and_b64 s[4:5], s[4:5], exec
	s_or_saveexec_b64 s[6:7], s[6:7]
	v_mov_b32_e32 v6, s10
	s_xor_b64 exec, exec, s[6:7]
	s_cbranch_execz .LBB9_422
.LBB9_2472:
	v_mov_b32_e32 v6, 0
	v_cmp_ne_u16_sdwa s[8:9], v3, v6 src0_sel:BYTE_0 src1_sel:DWORD
	s_andn2_b64 s[4:5], s[4:5], exec
	s_and_b64 s[8:9], s[8:9], exec
	s_or_b64 s[4:5], s[4:5], s[8:9]
	s_or_b64 exec, exec, s[6:7]
	s_and_saveexec_b64 s[6:7], s[4:5]
	s_cbranch_execnz .LBB9_423
	s_branch .LBB9_424
.LBB9_2473:
	s_movk_i32 s4, 0x80
	v_cmp_eq_u16_sdwa s[12:13], v6, s4 src0_sel:BYTE_0 src1_sel:DWORD
	s_mov_b64 s[4:5], -1
                                        ; implicit-def: $sgpr10
	s_and_saveexec_b64 s[8:9], s[12:13]
; %bb.2474:
	s_mov_b32 s10, 0x7f800001
	s_xor_b64 s[4:5], exec, -1
; %bb.2475:
	s_or_b64 exec, exec, s[8:9]
	s_and_b64 s[4:5], s[4:5], exec
	s_or_saveexec_b64 s[6:7], s[6:7]
	v_mov_b32_e32 v2, s10
	s_xor_b64 exec, exec, s[6:7]
	s_cbranch_execz .LBB9_426
.LBB9_2476:
	v_mov_b32_e32 v2, 0
	v_cmp_ne_u16_sdwa s[8:9], v6, v2 src0_sel:BYTE_0 src1_sel:DWORD
	s_andn2_b64 s[4:5], s[4:5], exec
	s_and_b64 s[8:9], s[8:9], exec
	s_or_b64 s[4:5], s[4:5], s[8:9]
	s_or_b64 exec, exec, s[6:7]
	s_and_saveexec_b64 s[6:7], s[4:5]
	s_cbranch_execnz .LBB9_427
	s_branch .LBB9_428
.LBB9_2477:
	s_movk_i32 s4, 0x80
	v_cmp_eq_u16_sdwa s[12:13], v6, s4 src0_sel:BYTE_0 src1_sel:DWORD
	s_mov_b64 s[4:5], -1
                                        ; implicit-def: $sgpr10
	s_and_saveexec_b64 s[8:9], s[12:13]
; %bb.2478:
	s_mov_b32 s10, 0x7f800001
	s_xor_b64 s[4:5], exec, -1
; %bb.2479:
	s_or_b64 exec, exec, s[8:9]
	s_and_b64 s[4:5], s[4:5], exec
	s_or_saveexec_b64 s[6:7], s[6:7]
	v_mov_b32_e32 v10, s10
	s_xor_b64 exec, exec, s[6:7]
	s_cbranch_execz .LBB9_430
.LBB9_2480:
	v_mov_b32_e32 v10, 0
	v_cmp_ne_u16_sdwa s[8:9], v6, v10 src0_sel:BYTE_0 src1_sel:DWORD
	s_andn2_b64 s[4:5], s[4:5], exec
	s_and_b64 s[8:9], s[8:9], exec
	s_or_b64 s[4:5], s[4:5], s[8:9]
	s_or_b64 exec, exec, s[6:7]
	s_and_saveexec_b64 s[6:7], s[4:5]
	s_cbranch_execnz .LBB9_431
	s_branch .LBB9_432
.LBB9_2481:
	s_movk_i32 s4, 0x80
	v_cmp_eq_u16_e32 vcc, s4, v6
	s_mov_b64 s[4:5], -1
                                        ; implicit-def: $sgpr10
	s_and_saveexec_b64 s[8:9], vcc
; %bb.2482:
	s_mov_b32 s10, 0x7f800001
	s_xor_b64 s[4:5], exec, -1
; %bb.2483:
	s_or_b64 exec, exec, s[8:9]
	s_and_b64 s[4:5], s[4:5], exec
                                        ; implicit-def: $vgpr6
	s_or_saveexec_b64 s[6:7], s[6:7]
	v_mov_b32_e32 v2, s10
	s_xor_b64 exec, exec, s[6:7]
	s_cbranch_execz .LBB9_434
.LBB9_2484:
	v_cmp_ne_u16_e32 vcc, 0, v6
	s_andn2_b64 s[4:5], s[4:5], exec
	s_and_b64 s[8:9], vcc, exec
	v_mov_b32_e32 v2, 0
	s_or_b64 s[4:5], s[4:5], s[8:9]
	s_or_b64 exec, exec, s[6:7]
	s_and_saveexec_b64 s[6:7], s[4:5]
	s_cbranch_execnz .LBB9_435
	s_branch .LBB9_436
.LBB9_2485:
	s_movk_i32 s4, 0x80
	v_cmp_eq_u16_e32 vcc, s4, v6
	s_mov_b64 s[4:5], -1
                                        ; implicit-def: $sgpr10
	s_and_saveexec_b64 s[8:9], vcc
; %bb.2486:
	s_mov_b32 s10, 0x7f800001
	s_xor_b64 s[4:5], exec, -1
; %bb.2487:
	s_or_b64 exec, exec, s[8:9]
	s_and_b64 s[4:5], s[4:5], exec
                                        ; implicit-def: $vgpr6
	s_or_saveexec_b64 s[6:7], s[6:7]
	v_mov_b32_e32 v10, s10
	s_xor_b64 exec, exec, s[6:7]
	s_cbranch_execz .LBB9_438
.LBB9_2488:
	v_cmp_ne_u16_e32 vcc, 0, v6
	s_andn2_b64 s[4:5], s[4:5], exec
	s_and_b64 s[8:9], vcc, exec
	v_mov_b32_e32 v10, 0
	s_or_b64 s[4:5], s[4:5], s[8:9]
	s_or_b64 exec, exec, s[6:7]
	s_and_saveexec_b64 s[6:7], s[4:5]
	s_cbranch_execnz .LBB9_439
	s_branch .LBB9_440
.LBB9_2489:
	s_movk_i32 s4, 0x80
	v_cmp_eq_u16_sdwa s[12:13], v7, s4 src0_sel:BYTE_3 src1_sel:DWORD
	s_mov_b64 s[4:5], -1
                                        ; implicit-def: $sgpr10
	s_and_saveexec_b64 s[8:9], s[12:13]
; %bb.2490:
	s_mov_b32 s10, 0x7f800001
	s_xor_b64 s[4:5], exec, -1
; %bb.2491:
	s_or_b64 exec, exec, s[8:9]
	s_and_b64 s[4:5], s[4:5], exec
	s_or_saveexec_b64 s[6:7], s[6:7]
	v_mov_b32_e32 v2, s10
	s_xor_b64 exec, exec, s[6:7]
	s_cbranch_execz .LBB9_442
.LBB9_2492:
	v_mov_b32_e32 v2, 0
	v_cmp_ne_u16_sdwa s[8:9], v7, v2 src0_sel:BYTE_3 src1_sel:DWORD
	s_andn2_b64 s[4:5], s[4:5], exec
	s_and_b64 s[8:9], s[8:9], exec
	s_or_b64 s[4:5], s[4:5], s[8:9]
	s_or_b64 exec, exec, s[6:7]
	s_and_saveexec_b64 s[6:7], s[4:5]
	s_cbranch_execnz .LBB9_443
	s_branch .LBB9_444
.LBB9_2493:
	s_movk_i32 s4, 0x80
	v_cmp_eq_u16_sdwa s[12:13], v3, s4 src0_sel:BYTE_3 src1_sel:DWORD
	s_mov_b64 s[4:5], -1
                                        ; implicit-def: $sgpr10
	s_and_saveexec_b64 s[8:9], s[12:13]
; %bb.2494:
	s_mov_b32 s10, 0x7f800001
	s_xor_b64 s[4:5], exec, -1
; %bb.2495:
	s_or_b64 exec, exec, s[8:9]
	s_and_b64 s[4:5], s[4:5], exec
	s_or_saveexec_b64 s[6:7], s[6:7]
	v_mov_b32_e32 v6, s10
	s_xor_b64 exec, exec, s[6:7]
	s_cbranch_execz .LBB9_446
.LBB9_2496:
	v_mov_b32_e32 v6, 0
	v_cmp_ne_u16_sdwa s[8:9], v3, v6 src0_sel:BYTE_3 src1_sel:DWORD
	s_andn2_b64 s[4:5], s[4:5], exec
	s_and_b64 s[8:9], s[8:9], exec
	s_or_b64 s[4:5], s[4:5], s[8:9]
	s_or_b64 exec, exec, s[6:7]
	s_and_saveexec_b64 s[6:7], s[4:5]
	s_cbranch_execnz .LBB9_447
	s_branch .LBB9_448
.LBB9_2497:
	s_movk_i32 s4, 0x80
	v_cmp_eq_u16_sdwa s[12:13], v8, s4 src0_sel:BYTE_0 src1_sel:DWORD
	s_mov_b64 s[4:5], -1
                                        ; implicit-def: $sgpr10
	s_and_saveexec_b64 s[8:9], s[12:13]
; %bb.2498:
	s_mov_b32 s10, 0x7f800001
	s_xor_b64 s[4:5], exec, -1
; %bb.2499:
	s_or_b64 exec, exec, s[8:9]
	s_and_b64 s[4:5], s[4:5], exec
	s_or_saveexec_b64 s[6:7], s[6:7]
	v_mov_b32_e32 v2, s10
	s_xor_b64 exec, exec, s[6:7]
	s_cbranch_execz .LBB9_450
.LBB9_2500:
	v_mov_b32_e32 v2, 0
	v_cmp_ne_u16_sdwa s[8:9], v8, v2 src0_sel:BYTE_0 src1_sel:DWORD
	s_andn2_b64 s[4:5], s[4:5], exec
	s_and_b64 s[8:9], s[8:9], exec
	s_or_b64 s[4:5], s[4:5], s[8:9]
	s_or_b64 exec, exec, s[6:7]
	s_and_saveexec_b64 s[6:7], s[4:5]
	s_cbranch_execnz .LBB9_451
	s_branch .LBB9_452
.LBB9_2501:
	s_movk_i32 s4, 0x80
	v_cmp_eq_u16_sdwa s[12:13], v4, s4 src0_sel:BYTE_0 src1_sel:DWORD
	s_mov_b64 s[4:5], -1
                                        ; implicit-def: $sgpr10
	s_and_saveexec_b64 s[8:9], s[12:13]
; %bb.2502:
	s_mov_b32 s10, 0x7f800001
	s_xor_b64 s[4:5], exec, -1
; %bb.2503:
	s_or_b64 exec, exec, s[8:9]
	s_and_b64 s[4:5], s[4:5], exec
	s_or_saveexec_b64 s[6:7], s[6:7]
	v_mov_b32_e32 v3, s10
	s_xor_b64 exec, exec, s[6:7]
	s_cbranch_execz .LBB9_454
.LBB9_2504:
	v_mov_b32_e32 v3, 0
	v_cmp_ne_u16_sdwa s[8:9], v4, v3 src0_sel:BYTE_0 src1_sel:DWORD
	s_andn2_b64 s[4:5], s[4:5], exec
	s_and_b64 s[8:9], s[8:9], exec
	s_or_b64 s[4:5], s[4:5], s[8:9]
	s_or_b64 exec, exec, s[6:7]
	s_and_saveexec_b64 s[6:7], s[4:5]
	s_cbranch_execnz .LBB9_455
	s_branch .LBB9_456
.LBB9_2505:
	s_movk_i32 s4, 0x80
	v_cmp_eq_u16_sdwa s[12:13], v3, s4 src0_sel:BYTE_0 src1_sel:DWORD
	s_mov_b64 s[4:5], -1
                                        ; implicit-def: $sgpr10
	s_and_saveexec_b64 s[8:9], s[12:13]
; %bb.2506:
	s_mov_b32 s10, 0x7f800001
	s_xor_b64 s[4:5], exec, -1
; %bb.2507:
	s_or_b64 exec, exec, s[8:9]
	s_and_b64 s[4:5], s[4:5], exec
	s_or_saveexec_b64 s[6:7], s[6:7]
	v_mov_b32_e32 v2, s10
	s_xor_b64 exec, exec, s[6:7]
	s_cbranch_execz .LBB9_458
.LBB9_2508:
	v_mov_b32_e32 v2, 0
	v_cmp_ne_u16_sdwa s[8:9], v3, v2 src0_sel:BYTE_0 src1_sel:DWORD
	s_andn2_b64 s[4:5], s[4:5], exec
	s_and_b64 s[8:9], s[8:9], exec
	s_or_b64 s[4:5], s[4:5], s[8:9]
	s_or_b64 exec, exec, s[6:7]
	s_and_saveexec_b64 s[6:7], s[4:5]
	s_cbranch_execnz .LBB9_459
	s_branch .LBB9_460
.LBB9_2509:
	s_movk_i32 s4, 0x80
	v_cmp_eq_u16_sdwa s[12:13], v3, s4 src0_sel:BYTE_0 src1_sel:DWORD
	s_mov_b64 s[4:5], -1
                                        ; implicit-def: $sgpr10
	s_and_saveexec_b64 s[8:9], s[12:13]
; %bb.2510:
	s_mov_b32 s10, 0x7f800001
	s_xor_b64 s[4:5], exec, -1
; %bb.2511:
	s_or_b64 exec, exec, s[8:9]
	s_and_b64 s[4:5], s[4:5], exec
	s_or_saveexec_b64 s[6:7], s[6:7]
	v_mov_b32_e32 v6, s10
	s_xor_b64 exec, exec, s[6:7]
	s_cbranch_execz .LBB9_462
.LBB9_2512:
	v_mov_b32_e32 v6, 0
	v_cmp_ne_u16_sdwa s[8:9], v3, v6 src0_sel:BYTE_0 src1_sel:DWORD
	s_andn2_b64 s[4:5], s[4:5], exec
	s_and_b64 s[8:9], s[8:9], exec
	s_or_b64 s[4:5], s[4:5], s[8:9]
	s_or_b64 exec, exec, s[6:7]
	s_and_saveexec_b64 s[6:7], s[4:5]
	s_cbranch_execnz .LBB9_463
	s_branch .LBB9_464
.LBB9_2513:
	s_movk_i32 s4, 0x80
	v_cmp_eq_u16_e32 vcc, s4, v3
	s_mov_b64 s[4:5], -1
                                        ; implicit-def: $sgpr10
	s_and_saveexec_b64 s[8:9], vcc
; %bb.2514:
	s_mov_b32 s10, 0x7f800001
	s_xor_b64 s[4:5], exec, -1
; %bb.2515:
	s_or_b64 exec, exec, s[8:9]
	s_and_b64 s[4:5], s[4:5], exec
                                        ; implicit-def: $vgpr3
	s_or_saveexec_b64 s[6:7], s[6:7]
	v_mov_b32_e32 v2, s10
	s_xor_b64 exec, exec, s[6:7]
	s_cbranch_execz .LBB9_466
.LBB9_2516:
	v_cmp_ne_u16_e32 vcc, 0, v3
	s_andn2_b64 s[4:5], s[4:5], exec
	s_and_b64 s[8:9], vcc, exec
	v_mov_b32_e32 v2, 0
	s_or_b64 s[4:5], s[4:5], s[8:9]
	s_or_b64 exec, exec, s[6:7]
	s_and_saveexec_b64 s[6:7], s[4:5]
	s_cbranch_execnz .LBB9_467
	s_branch .LBB9_468
.LBB9_2517:
	s_movk_i32 s4, 0x80
	v_cmp_eq_u16_e32 vcc, s4, v3
	s_mov_b64 s[4:5], -1
                                        ; implicit-def: $sgpr10
	s_and_saveexec_b64 s[8:9], vcc
; %bb.2518:
	s_mov_b32 s10, 0x7f800001
	s_xor_b64 s[4:5], exec, -1
; %bb.2519:
	s_or_b64 exec, exec, s[8:9]
	s_and_b64 s[4:5], s[4:5], exec
                                        ; implicit-def: $vgpr3
	s_or_saveexec_b64 s[6:7], s[6:7]
	v_mov_b32_e32 v6, s10
	s_xor_b64 exec, exec, s[6:7]
	s_cbranch_execz .LBB9_470
.LBB9_2520:
	v_cmp_ne_u16_e32 vcc, 0, v3
	s_andn2_b64 s[4:5], s[4:5], exec
	s_and_b64 s[8:9], vcc, exec
	v_mov_b32_e32 v6, 0
	s_or_b64 s[4:5], s[4:5], s[8:9]
	s_or_b64 exec, exec, s[6:7]
	s_and_saveexec_b64 s[6:7], s[4:5]
	s_cbranch_execnz .LBB9_471
	s_branch .LBB9_472
.LBB9_2521:
	s_movk_i32 s4, 0x80
	v_cmp_eq_u16_sdwa s[12:13], v8, s4 src0_sel:BYTE_3 src1_sel:DWORD
	s_mov_b64 s[4:5], -1
                                        ; implicit-def: $sgpr10
	s_and_saveexec_b64 s[8:9], s[12:13]
; %bb.2522:
	s_mov_b32 s10, 0x7f800001
	s_xor_b64 s[4:5], exec, -1
; %bb.2523:
	s_or_b64 exec, exec, s[8:9]
	s_and_b64 s[4:5], s[4:5], exec
	s_or_saveexec_b64 s[6:7], s[6:7]
	v_mov_b32_e32 v2, s10
	s_xor_b64 exec, exec, s[6:7]
	s_cbranch_execz .LBB9_474
.LBB9_2524:
	v_mov_b32_e32 v2, 0
	v_cmp_ne_u16_sdwa s[8:9], v8, v2 src0_sel:BYTE_3 src1_sel:DWORD
	s_andn2_b64 s[4:5], s[4:5], exec
	s_and_b64 s[8:9], s[8:9], exec
	s_or_b64 s[4:5], s[4:5], s[8:9]
	s_or_b64 exec, exec, s[6:7]
	s_and_saveexec_b64 s[6:7], s[4:5]
	s_cbranch_execnz .LBB9_475
	s_branch .LBB9_476
.LBB9_2525:
	s_movk_i32 s4, 0x80
	v_cmp_eq_u16_sdwa s[12:13], v4, s4 src0_sel:BYTE_3 src1_sel:DWORD
	s_mov_b64 s[4:5], -1
                                        ; implicit-def: $sgpr10
	s_and_saveexec_b64 s[8:9], s[12:13]
; %bb.2526:
	s_mov_b32 s10, 0x7f800001
	s_xor_b64 s[4:5], exec, -1
; %bb.2527:
	s_or_b64 exec, exec, s[8:9]
	s_and_b64 s[4:5], s[4:5], exec
	s_or_saveexec_b64 s[6:7], s[6:7]
	v_mov_b32_e32 v3, s10
	s_xor_b64 exec, exec, s[6:7]
	s_cbranch_execz .LBB9_478
.LBB9_2528:
	v_mov_b32_e32 v3, 0
	v_cmp_ne_u16_sdwa s[8:9], v4, v3 src0_sel:BYTE_3 src1_sel:DWORD
	s_andn2_b64 s[4:5], s[4:5], exec
	s_and_b64 s[8:9], s[8:9], exec
	s_or_b64 s[4:5], s[4:5], s[8:9]
	s_or_b64 exec, exec, s[6:7]
	s_and_saveexec_b64 s[6:7], s[4:5]
	s_cbranch_execnz .LBB9_479
	s_branch .LBB9_480
.LBB9_2529:
	s_movk_i32 s4, 0x80
	v_cmp_eq_u16_sdwa s[12:13], v9, s4 src0_sel:BYTE_0 src1_sel:DWORD
	s_mov_b64 s[4:5], -1
                                        ; implicit-def: $sgpr10
	s_and_saveexec_b64 s[8:9], s[12:13]
; %bb.2530:
	s_mov_b32 s10, 0x7f800001
	s_xor_b64 s[4:5], exec, -1
; %bb.2531:
	s_or_b64 exec, exec, s[8:9]
	s_and_b64 s[4:5], s[4:5], exec
	s_or_saveexec_b64 s[6:7], s[6:7]
	v_mov_b32_e32 v2, s10
	s_xor_b64 exec, exec, s[6:7]
	s_cbranch_execz .LBB9_482
.LBB9_2532:
	v_mov_b32_e32 v2, 0
	v_cmp_ne_u16_sdwa s[8:9], v9, v2 src0_sel:BYTE_0 src1_sel:DWORD
	s_andn2_b64 s[4:5], s[4:5], exec
	s_and_b64 s[8:9], s[8:9], exec
	s_or_b64 s[4:5], s[4:5], s[8:9]
	s_or_b64 exec, exec, s[6:7]
	s_and_saveexec_b64 s[6:7], s[4:5]
	s_cbranch_execnz .LBB9_483
	s_branch .LBB9_484
.LBB9_2533:
	s_movk_i32 s4, 0x80
	v_cmp_eq_u16_sdwa s[12:13], v5, s4 src0_sel:BYTE_0 src1_sel:DWORD
	s_mov_b64 s[4:5], -1
                                        ; implicit-def: $sgpr10
	s_and_saveexec_b64 s[8:9], s[12:13]
; %bb.2534:
	s_mov_b32 s10, 0x7f800001
	s_xor_b64 s[4:5], exec, -1
; %bb.2535:
	s_or_b64 exec, exec, s[8:9]
	s_and_b64 s[4:5], s[4:5], exec
	s_or_saveexec_b64 s[6:7], s[6:7]
	v_mov_b32_e32 v3, s10
	s_xor_b64 exec, exec, s[6:7]
	s_cbranch_execz .LBB9_486
.LBB9_2536:
	v_mov_b32_e32 v3, 0
	v_cmp_ne_u16_sdwa s[8:9], v5, v3 src0_sel:BYTE_0 src1_sel:DWORD
	s_andn2_b64 s[4:5], s[4:5], exec
	s_and_b64 s[8:9], s[8:9], exec
	s_or_b64 s[4:5], s[4:5], s[8:9]
	s_or_b64 exec, exec, s[6:7]
	s_and_saveexec_b64 s[6:7], s[4:5]
	s_cbranch_execnz .LBB9_487
	s_branch .LBB9_488
.LBB9_2537:
	s_movk_i32 s4, 0x80
	v_cmp_eq_u16_sdwa s[12:13], v3, s4 src0_sel:BYTE_0 src1_sel:DWORD
	s_mov_b64 s[4:5], -1
                                        ; implicit-def: $sgpr10
	s_and_saveexec_b64 s[8:9], s[12:13]
; %bb.2538:
	s_mov_b32 s10, 0x7f800001
	s_xor_b64 s[4:5], exec, -1
; %bb.2539:
	s_or_b64 exec, exec, s[8:9]
	s_and_b64 s[4:5], s[4:5], exec
	s_or_saveexec_b64 s[6:7], s[6:7]
	v_mov_b32_e32 v2, s10
	s_xor_b64 exec, exec, s[6:7]
	s_cbranch_execz .LBB9_490
.LBB9_2540:
	v_mov_b32_e32 v2, 0
	v_cmp_ne_u16_sdwa s[8:9], v3, v2 src0_sel:BYTE_0 src1_sel:DWORD
	s_andn2_b64 s[4:5], s[4:5], exec
	s_and_b64 s[8:9], s[8:9], exec
	s_or_b64 s[4:5], s[4:5], s[8:9]
	s_or_b64 exec, exec, s[6:7]
	s_and_saveexec_b64 s[6:7], s[4:5]
	s_cbranch_execnz .LBB9_491
	s_branch .LBB9_492
.LBB9_2541:
	s_movk_i32 s4, 0x80
	v_cmp_eq_u16_sdwa s[12:13], v3, s4 src0_sel:BYTE_0 src1_sel:DWORD
	s_mov_b64 s[4:5], -1
                                        ; implicit-def: $sgpr10
	s_and_saveexec_b64 s[8:9], s[12:13]
; %bb.2542:
	s_mov_b32 s10, 0x7f800001
	s_xor_b64 s[4:5], exec, -1
; %bb.2543:
	s_or_b64 exec, exec, s[8:9]
	s_and_b64 s[4:5], s[4:5], exec
	s_or_saveexec_b64 s[6:7], s[6:7]
	v_mov_b32_e32 v4, s10
	s_xor_b64 exec, exec, s[6:7]
	s_cbranch_execz .LBB9_494
.LBB9_2544:
	v_mov_b32_e32 v4, 0
	v_cmp_ne_u16_sdwa s[8:9], v3, v4 src0_sel:BYTE_0 src1_sel:DWORD
	s_andn2_b64 s[4:5], s[4:5], exec
	s_and_b64 s[8:9], s[8:9], exec
	s_or_b64 s[4:5], s[4:5], s[8:9]
	s_or_b64 exec, exec, s[6:7]
	s_and_saveexec_b64 s[6:7], s[4:5]
	s_cbranch_execnz .LBB9_495
	s_branch .LBB9_496
.LBB9_2545:
	s_movk_i32 s4, 0x80
	v_cmp_eq_u16_e32 vcc, s4, v3
	s_mov_b64 s[4:5], -1
                                        ; implicit-def: $sgpr10
	s_and_saveexec_b64 s[8:9], vcc
; %bb.2546:
	s_mov_b32 s10, 0x7f800001
	s_xor_b64 s[4:5], exec, -1
; %bb.2547:
	s_or_b64 exec, exec, s[8:9]
	s_and_b64 s[4:5], s[4:5], exec
                                        ; implicit-def: $vgpr3
	s_or_saveexec_b64 s[6:7], s[6:7]
	v_mov_b32_e32 v2, s10
	s_xor_b64 exec, exec, s[6:7]
	s_cbranch_execz .LBB9_498
.LBB9_2548:
	v_cmp_ne_u16_e32 vcc, 0, v3
	s_andn2_b64 s[4:5], s[4:5], exec
	s_and_b64 s[8:9], vcc, exec
	v_mov_b32_e32 v2, 0
	s_or_b64 s[4:5], s[4:5], s[8:9]
	s_or_b64 exec, exec, s[6:7]
	s_and_saveexec_b64 s[6:7], s[4:5]
	s_cbranch_execnz .LBB9_499
	s_branch .LBB9_500
.LBB9_2549:
	s_movk_i32 s4, 0x80
	v_cmp_eq_u16_e32 vcc, s4, v3
	s_mov_b64 s[4:5], -1
                                        ; implicit-def: $sgpr10
	s_and_saveexec_b64 s[8:9], vcc
; %bb.2550:
	s_mov_b32 s10, 0x7f800001
	s_xor_b64 s[4:5], exec, -1
; %bb.2551:
	s_or_b64 exec, exec, s[8:9]
	s_and_b64 s[4:5], s[4:5], exec
                                        ; implicit-def: $vgpr3
	s_or_saveexec_b64 s[6:7], s[6:7]
	v_mov_b32_e32 v4, s10
	s_xor_b64 exec, exec, s[6:7]
	s_cbranch_execz .LBB9_502
.LBB9_2552:
	v_cmp_ne_u16_e32 vcc, 0, v3
	s_andn2_b64 s[4:5], s[4:5], exec
	s_and_b64 s[8:9], vcc, exec
	v_mov_b32_e32 v4, 0
	s_or_b64 s[4:5], s[4:5], s[8:9]
	s_or_b64 exec, exec, s[6:7]
	s_and_saveexec_b64 s[6:7], s[4:5]
	s_cbranch_execnz .LBB9_503
	s_branch .LBB9_504
.LBB9_2553:
	s_movk_i32 s4, 0x80
	v_cmp_eq_u16_sdwa s[12:13], v9, s4 src0_sel:BYTE_3 src1_sel:DWORD
	s_mov_b64 s[4:5], -1
                                        ; implicit-def: $sgpr10
	s_and_saveexec_b64 s[8:9], s[12:13]
; %bb.2554:
	s_mov_b32 s10, 0x7f800001
	s_xor_b64 s[4:5], exec, -1
; %bb.2555:
	s_or_b64 exec, exec, s[8:9]
	s_and_b64 s[4:5], s[4:5], exec
	s_or_saveexec_b64 s[6:7], s[6:7]
	v_mov_b32_e32 v2, s10
	s_xor_b64 exec, exec, s[6:7]
	s_cbranch_execz .LBB9_506
.LBB9_2556:
	v_mov_b32_e32 v2, 0
	v_cmp_ne_u16_sdwa s[8:9], v9, v2 src0_sel:BYTE_3 src1_sel:DWORD
	s_andn2_b64 s[4:5], s[4:5], exec
	s_and_b64 s[8:9], s[8:9], exec
	s_or_b64 s[4:5], s[4:5], s[8:9]
	s_or_b64 exec, exec, s[6:7]
	s_and_saveexec_b64 s[6:7], s[4:5]
	s_cbranch_execnz .LBB9_507
	s_branch .LBB9_508
.LBB9_2557:
	s_movk_i32 s4, 0x80
	v_cmp_eq_u16_sdwa s[12:13], v5, s4 src0_sel:BYTE_3 src1_sel:DWORD
	s_mov_b64 s[4:5], -1
                                        ; implicit-def: $sgpr10
	s_and_saveexec_b64 s[8:9], s[12:13]
; %bb.2558:
	s_mov_b32 s10, 0x7f800001
	s_xor_b64 s[4:5], exec, -1
; %bb.2559:
	s_or_b64 exec, exec, s[8:9]
	s_and_b64 s[4:5], s[4:5], exec
	s_or_saveexec_b64 s[6:7], s[6:7]
	v_mov_b32_e32 v3, s10
	s_xor_b64 exec, exec, s[6:7]
	s_cbranch_execz .LBB9_510
.LBB9_2560:
	v_mov_b32_e32 v3, 0
	v_cmp_ne_u16_sdwa s[8:9], v5, v3 src0_sel:BYTE_3 src1_sel:DWORD
	s_andn2_b64 s[4:5], s[4:5], exec
	s_and_b64 s[8:9], s[8:9], exec
	s_or_b64 s[4:5], s[4:5], s[8:9]
	s_or_b64 exec, exec, s[6:7]
	s_and_saveexec_b64 s[6:7], s[4:5]
	s_cbranch_execnz .LBB9_511
	s_branch .LBB9_512
.LBB9_2561:
	s_movk_i32 s4, 0x80
	v_cmp_eq_u16_sdwa s[12:13], v14, s4 src0_sel:BYTE_0 src1_sel:DWORD
	s_mov_b64 s[4:5], -1
                                        ; implicit-def: $sgpr10
	s_and_saveexec_b64 s[8:9], s[12:13]
; %bb.2562:
	s_mov_b32 s10, 0x7f800001
	s_xor_b64 s[4:5], exec, -1
; %bb.2563:
	s_or_b64 exec, exec, s[8:9]
	s_and_b64 s[4:5], s[4:5], exec
	s_or_saveexec_b64 s[6:7], s[6:7]
	v_mov_b32_e32 v20, s10
	s_xor_b64 exec, exec, s[6:7]
	s_cbranch_execz .LBB9_514
.LBB9_2564:
	v_mov_b32_e32 v20, 0
	v_cmp_ne_u16_sdwa s[8:9], v14, v20 src0_sel:BYTE_0 src1_sel:DWORD
	s_andn2_b64 s[4:5], s[4:5], exec
	s_and_b64 s[8:9], s[8:9], exec
	s_or_b64 s[4:5], s[4:5], s[8:9]
	s_or_b64 exec, exec, s[6:7]
	s_and_saveexec_b64 s[6:7], s[4:5]
	s_cbranch_execnz .LBB9_515
	s_branch .LBB9_516
.LBB9_2565:
	s_movk_i32 s4, 0x80
	v_cmp_eq_u16_sdwa s[12:13], v10, s4 src0_sel:BYTE_0 src1_sel:DWORD
	s_mov_b64 s[4:5], -1
                                        ; implicit-def: $sgpr10
	s_and_saveexec_b64 s[8:9], s[12:13]
; %bb.2566:
	s_mov_b32 s10, 0x7f800001
	s_xor_b64 s[4:5], exec, -1
; %bb.2567:
	s_or_b64 exec, exec, s[8:9]
	s_and_b64 s[4:5], s[4:5], exec
	s_or_saveexec_b64 s[6:7], s[6:7]
	v_mov_b32_e32 v21, s10
	s_xor_b64 exec, exec, s[6:7]
	s_cbranch_execz .LBB9_518
.LBB9_2568:
	v_mov_b32_e32 v21, 0
	v_cmp_ne_u16_sdwa s[8:9], v10, v21 src0_sel:BYTE_0 src1_sel:DWORD
	s_andn2_b64 s[4:5], s[4:5], exec
	s_and_b64 s[8:9], s[8:9], exec
	s_or_b64 s[4:5], s[4:5], s[8:9]
	s_or_b64 exec, exec, s[6:7]
	s_and_saveexec_b64 s[6:7], s[4:5]
	s_cbranch_execnz .LBB9_519
	s_branch .LBB9_520
.LBB9_2569:
	s_movk_i32 s4, 0x80
	v_cmp_eq_u16_sdwa s[12:13], v21, s4 src0_sel:BYTE_0 src1_sel:DWORD
	s_mov_b64 s[4:5], -1
                                        ; implicit-def: $sgpr10
	s_and_saveexec_b64 s[8:9], s[12:13]
; %bb.2570:
	s_mov_b32 s10, 0x7f800001
	s_xor_b64 s[4:5], exec, -1
; %bb.2571:
	s_or_b64 exec, exec, s[8:9]
	s_and_b64 s[4:5], s[4:5], exec
	s_or_saveexec_b64 s[6:7], s[6:7]
	v_mov_b32_e32 v20, s10
	s_xor_b64 exec, exec, s[6:7]
	s_cbranch_execz .LBB9_522
.LBB9_2572:
	v_mov_b32_e32 v20, 0
	v_cmp_ne_u16_sdwa s[8:9], v21, v20 src0_sel:BYTE_0 src1_sel:DWORD
	s_andn2_b64 s[4:5], s[4:5], exec
	s_and_b64 s[8:9], s[8:9], exec
	s_or_b64 s[4:5], s[4:5], s[8:9]
	s_or_b64 exec, exec, s[6:7]
	s_and_saveexec_b64 s[6:7], s[4:5]
	s_cbranch_execnz .LBB9_523
	s_branch .LBB9_524
.LBB9_2573:
	s_movk_i32 s4, 0x80
	v_cmp_eq_u16_sdwa s[12:13], v21, s4 src0_sel:BYTE_0 src1_sel:DWORD
	s_mov_b64 s[4:5], -1
                                        ; implicit-def: $sgpr10
	s_and_saveexec_b64 s[8:9], s[12:13]
; %bb.2574:
	s_mov_b32 s10, 0x7f800001
	s_xor_b64 s[4:5], exec, -1
; %bb.2575:
	s_or_b64 exec, exec, s[8:9]
	s_and_b64 s[4:5], s[4:5], exec
	s_or_saveexec_b64 s[6:7], s[6:7]
	v_mov_b32_e32 v22, s10
	s_xor_b64 exec, exec, s[6:7]
	s_cbranch_execz .LBB9_526
.LBB9_2576:
	v_mov_b32_e32 v22, 0
	v_cmp_ne_u16_sdwa s[8:9], v21, v22 src0_sel:BYTE_0 src1_sel:DWORD
	s_andn2_b64 s[4:5], s[4:5], exec
	s_and_b64 s[8:9], s[8:9], exec
	s_or_b64 s[4:5], s[4:5], s[8:9]
	s_or_b64 exec, exec, s[6:7]
	s_and_saveexec_b64 s[6:7], s[4:5]
	s_cbranch_execnz .LBB9_527
	s_branch .LBB9_528
.LBB9_2577:
	s_movk_i32 s4, 0x80
	v_cmp_eq_u16_e32 vcc, s4, v21
	s_mov_b64 s[4:5], -1
                                        ; implicit-def: $sgpr10
	s_and_saveexec_b64 s[8:9], vcc
; %bb.2578:
	s_mov_b32 s10, 0x7f800001
	s_xor_b64 s[4:5], exec, -1
; %bb.2579:
	s_or_b64 exec, exec, s[8:9]
	s_and_b64 s[4:5], s[4:5], exec
                                        ; implicit-def: $vgpr21
	s_or_saveexec_b64 s[6:7], s[6:7]
	v_mov_b32_e32 v20, s10
	s_xor_b64 exec, exec, s[6:7]
	s_cbranch_execz .LBB9_530
.LBB9_2580:
	v_cmp_ne_u16_e32 vcc, 0, v21
	s_andn2_b64 s[4:5], s[4:5], exec
	s_and_b64 s[8:9], vcc, exec
	v_mov_b32_e32 v20, 0
	s_or_b64 s[4:5], s[4:5], s[8:9]
	s_or_b64 exec, exec, s[6:7]
	s_and_saveexec_b64 s[6:7], s[4:5]
	s_cbranch_execnz .LBB9_531
	s_branch .LBB9_532
.LBB9_2581:
	s_movk_i32 s4, 0x80
	v_cmp_eq_u16_e32 vcc, s4, v21
	s_mov_b64 s[4:5], -1
                                        ; implicit-def: $sgpr10
	s_and_saveexec_b64 s[8:9], vcc
; %bb.2582:
	s_mov_b32 s10, 0x7f800001
	s_xor_b64 s[4:5], exec, -1
; %bb.2583:
	s_or_b64 exec, exec, s[8:9]
	s_and_b64 s[4:5], s[4:5], exec
                                        ; implicit-def: $vgpr21
	s_or_saveexec_b64 s[6:7], s[6:7]
	v_mov_b32_e32 v22, s10
	s_xor_b64 exec, exec, s[6:7]
	s_cbranch_execz .LBB9_534
.LBB9_2584:
	v_cmp_ne_u16_e32 vcc, 0, v21
	s_andn2_b64 s[4:5], s[4:5], exec
	s_and_b64 s[8:9], vcc, exec
	v_mov_b32_e32 v22, 0
	s_or_b64 s[4:5], s[4:5], s[8:9]
	s_or_b64 exec, exec, s[6:7]
	s_and_saveexec_b64 s[6:7], s[4:5]
	s_cbranch_execnz .LBB9_535
	s_branch .LBB9_536
.LBB9_2585:
	s_movk_i32 s4, 0x80
	v_cmp_eq_u16_sdwa s[12:13], v14, s4 src0_sel:BYTE_3 src1_sel:DWORD
	s_mov_b64 s[4:5], -1
                                        ; implicit-def: $sgpr10
	s_and_saveexec_b64 s[8:9], s[12:13]
; %bb.2586:
	s_mov_b32 s10, 0x7f800001
	s_xor_b64 s[4:5], exec, -1
; %bb.2587:
	s_or_b64 exec, exec, s[8:9]
	s_and_b64 s[4:5], s[4:5], exec
	s_or_saveexec_b64 s[6:7], s[6:7]
	v_mov_b32_e32 v20, s10
	s_xor_b64 exec, exec, s[6:7]
	s_cbranch_execz .LBB9_538
.LBB9_2588:
	v_mov_b32_e32 v20, 0
	v_cmp_ne_u16_sdwa s[8:9], v14, v20 src0_sel:BYTE_3 src1_sel:DWORD
	s_andn2_b64 s[4:5], s[4:5], exec
	s_and_b64 s[8:9], s[8:9], exec
	s_or_b64 s[4:5], s[4:5], s[8:9]
	s_or_b64 exec, exec, s[6:7]
	s_and_saveexec_b64 s[6:7], s[4:5]
	s_cbranch_execnz .LBB9_539
	s_branch .LBB9_540
.LBB9_2589:
	s_movk_i32 s4, 0x80
	v_cmp_eq_u16_sdwa s[12:13], v10, s4 src0_sel:BYTE_3 src1_sel:DWORD
	s_mov_b64 s[4:5], -1
                                        ; implicit-def: $sgpr10
	s_and_saveexec_b64 s[8:9], s[12:13]
; %bb.2590:
	s_mov_b32 s10, 0x7f800001
	s_xor_b64 s[4:5], exec, -1
; %bb.2591:
	s_or_b64 exec, exec, s[8:9]
	s_and_b64 s[4:5], s[4:5], exec
	s_or_saveexec_b64 s[6:7], s[6:7]
	v_mov_b32_e32 v14, s10
	s_xor_b64 exec, exec, s[6:7]
	s_cbranch_execz .LBB9_542
.LBB9_2592:
	v_mov_b32_e32 v14, 0
	v_cmp_ne_u16_sdwa s[8:9], v10, v14 src0_sel:BYTE_3 src1_sel:DWORD
	s_andn2_b64 s[4:5], s[4:5], exec
	s_and_b64 s[8:9], s[8:9], exec
	s_or_b64 s[4:5], s[4:5], s[8:9]
	s_or_b64 exec, exec, s[6:7]
	s_and_saveexec_b64 s[6:7], s[4:5]
	s_cbranch_execnz .LBB9_543
	s_branch .LBB9_544
.LBB9_2593:
	s_movk_i32 s4, 0x80
	v_cmp_eq_u16_sdwa s[12:13], v15, s4 src0_sel:BYTE_0 src1_sel:DWORD
	s_mov_b64 s[4:5], -1
                                        ; implicit-def: $sgpr10
	s_and_saveexec_b64 s[8:9], s[12:13]
; %bb.2594:
	s_mov_b32 s10, 0x7f800001
	s_xor_b64 s[4:5], exec, -1
; %bb.2595:
	s_or_b64 exec, exec, s[8:9]
	s_and_b64 s[4:5], s[4:5], exec
	s_or_saveexec_b64 s[6:7], s[6:7]
	v_mov_b32_e32 v10, s10
	s_xor_b64 exec, exec, s[6:7]
	s_cbranch_execz .LBB9_546
.LBB9_2596:
	v_mov_b32_e32 v10, 0
	v_cmp_ne_u16_sdwa s[8:9], v15, v10 src0_sel:BYTE_0 src1_sel:DWORD
	s_andn2_b64 s[4:5], s[4:5], exec
	s_and_b64 s[8:9], s[8:9], exec
	s_or_b64 s[4:5], s[4:5], s[8:9]
	s_or_b64 exec, exec, s[6:7]
	s_and_saveexec_b64 s[6:7], s[4:5]
	s_cbranch_execnz .LBB9_547
	s_branch .LBB9_548
.LBB9_2597:
	s_movk_i32 s4, 0x80
	v_cmp_eq_u16_sdwa s[12:13], v11, s4 src0_sel:BYTE_0 src1_sel:DWORD
	s_mov_b64 s[4:5], -1
                                        ; implicit-def: $sgpr10
	s_and_saveexec_b64 s[8:9], s[12:13]
; %bb.2598:
	s_mov_b32 s10, 0x7f800001
	s_xor_b64 s[4:5], exec, -1
; %bb.2599:
	s_or_b64 exec, exec, s[8:9]
	s_and_b64 s[4:5], s[4:5], exec
	s_or_saveexec_b64 s[6:7], s[6:7]
	v_mov_b32_e32 v14, s10
	s_xor_b64 exec, exec, s[6:7]
	s_cbranch_execz .LBB9_550
.LBB9_2600:
	v_mov_b32_e32 v14, 0
	v_cmp_ne_u16_sdwa s[8:9], v11, v14 src0_sel:BYTE_0 src1_sel:DWORD
	s_andn2_b64 s[4:5], s[4:5], exec
	s_and_b64 s[8:9], s[8:9], exec
	s_or_b64 s[4:5], s[4:5], s[8:9]
	s_or_b64 exec, exec, s[6:7]
	s_and_saveexec_b64 s[6:7], s[4:5]
	s_cbranch_execnz .LBB9_551
	s_branch .LBB9_552
.LBB9_2601:
	s_movk_i32 s4, 0x80
	v_cmp_eq_u16_sdwa s[12:13], v14, s4 src0_sel:BYTE_0 src1_sel:DWORD
	s_mov_b64 s[4:5], -1
                                        ; implicit-def: $sgpr10
	s_and_saveexec_b64 s[8:9], s[12:13]
; %bb.2602:
	s_mov_b32 s10, 0x7f800001
	s_xor_b64 s[4:5], exec, -1
; %bb.2603:
	s_or_b64 exec, exec, s[8:9]
	s_and_b64 s[4:5], s[4:5], exec
	s_or_saveexec_b64 s[6:7], s[6:7]
	v_mov_b32_e32 v10, s10
	s_xor_b64 exec, exec, s[6:7]
	s_cbranch_execz .LBB9_554
.LBB9_2604:
	v_mov_b32_e32 v10, 0
	v_cmp_ne_u16_sdwa s[8:9], v14, v10 src0_sel:BYTE_0 src1_sel:DWORD
	s_andn2_b64 s[4:5], s[4:5], exec
	s_and_b64 s[8:9], s[8:9], exec
	s_or_b64 s[4:5], s[4:5], s[8:9]
	s_or_b64 exec, exec, s[6:7]
	s_and_saveexec_b64 s[6:7], s[4:5]
	s_cbranch_execnz .LBB9_555
	s_branch .LBB9_556
.LBB9_2605:
	s_movk_i32 s4, 0x80
	v_cmp_eq_u16_sdwa s[12:13], v14, s4 src0_sel:BYTE_0 src1_sel:DWORD
	s_mov_b64 s[4:5], -1
                                        ; implicit-def: $sgpr10
	s_and_saveexec_b64 s[8:9], s[12:13]
; %bb.2606:
	s_mov_b32 s10, 0x7f800001
	s_xor_b64 s[4:5], exec, -1
; %bb.2607:
	s_or_b64 exec, exec, s[8:9]
	s_and_b64 s[4:5], s[4:5], exec
	s_or_saveexec_b64 s[6:7], s[6:7]
	v_mov_b32_e32 v20, s10
	s_xor_b64 exec, exec, s[6:7]
	s_cbranch_execz .LBB9_558
.LBB9_2608:
	v_mov_b32_e32 v20, 0
	v_cmp_ne_u16_sdwa s[8:9], v14, v20 src0_sel:BYTE_0 src1_sel:DWORD
	s_andn2_b64 s[4:5], s[4:5], exec
	s_and_b64 s[8:9], s[8:9], exec
	s_or_b64 s[4:5], s[4:5], s[8:9]
	s_or_b64 exec, exec, s[6:7]
	s_and_saveexec_b64 s[6:7], s[4:5]
	s_cbranch_execnz .LBB9_559
	s_branch .LBB9_560
.LBB9_2609:
	s_movk_i32 s4, 0x80
	v_cmp_eq_u16_e32 vcc, s4, v14
	s_mov_b64 s[4:5], -1
                                        ; implicit-def: $sgpr10
	s_and_saveexec_b64 s[8:9], vcc
; %bb.2610:
	s_mov_b32 s10, 0x7f800001
	s_xor_b64 s[4:5], exec, -1
; %bb.2611:
	s_or_b64 exec, exec, s[8:9]
	s_and_b64 s[4:5], s[4:5], exec
                                        ; implicit-def: $vgpr14
	s_or_saveexec_b64 s[6:7], s[6:7]
	v_mov_b32_e32 v10, s10
	s_xor_b64 exec, exec, s[6:7]
	s_cbranch_execz .LBB9_562
.LBB9_2612:
	v_cmp_ne_u16_e32 vcc, 0, v14
	s_andn2_b64 s[4:5], s[4:5], exec
	s_and_b64 s[8:9], vcc, exec
	v_mov_b32_e32 v10, 0
	s_or_b64 s[4:5], s[4:5], s[8:9]
	s_or_b64 exec, exec, s[6:7]
	s_and_saveexec_b64 s[6:7], s[4:5]
	s_cbranch_execnz .LBB9_563
	s_branch .LBB9_564
.LBB9_2613:
	s_movk_i32 s4, 0x80
	v_cmp_eq_u16_e32 vcc, s4, v14
	s_mov_b64 s[4:5], -1
                                        ; implicit-def: $sgpr10
	s_and_saveexec_b64 s[8:9], vcc
; %bb.2614:
	s_mov_b32 s10, 0x7f800001
	s_xor_b64 s[4:5], exec, -1
; %bb.2615:
	s_or_b64 exec, exec, s[8:9]
	s_and_b64 s[4:5], s[4:5], exec
                                        ; implicit-def: $vgpr14
	s_or_saveexec_b64 s[6:7], s[6:7]
	v_mov_b32_e32 v20, s10
	s_xor_b64 exec, exec, s[6:7]
	s_cbranch_execz .LBB9_566
.LBB9_2616:
	v_cmp_ne_u16_e32 vcc, 0, v14
	s_andn2_b64 s[4:5], s[4:5], exec
	s_and_b64 s[8:9], vcc, exec
	v_mov_b32_e32 v20, 0
	s_or_b64 s[4:5], s[4:5], s[8:9]
	s_or_b64 exec, exec, s[6:7]
	s_and_saveexec_b64 s[6:7], s[4:5]
	s_cbranch_execnz .LBB9_567
	s_branch .LBB9_568
.LBB9_2617:
	s_movk_i32 s4, 0x80
	v_cmp_eq_u16_sdwa s[12:13], v15, s4 src0_sel:BYTE_3 src1_sel:DWORD
	s_mov_b64 s[4:5], -1
                                        ; implicit-def: $sgpr10
	s_and_saveexec_b64 s[8:9], s[12:13]
; %bb.2618:
	s_mov_b32 s10, 0x7f800001
	s_xor_b64 s[4:5], exec, -1
; %bb.2619:
	s_or_b64 exec, exec, s[8:9]
	s_and_b64 s[4:5], s[4:5], exec
	s_or_saveexec_b64 s[6:7], s[6:7]
	v_mov_b32_e32 v10, s10
	s_xor_b64 exec, exec, s[6:7]
	s_cbranch_execz .LBB9_570
.LBB9_2620:
	v_mov_b32_e32 v10, 0
	v_cmp_ne_u16_sdwa s[8:9], v15, v10 src0_sel:BYTE_3 src1_sel:DWORD
	s_andn2_b64 s[4:5], s[4:5], exec
	s_and_b64 s[8:9], s[8:9], exec
	s_or_b64 s[4:5], s[4:5], s[8:9]
	s_or_b64 exec, exec, s[6:7]
	s_and_saveexec_b64 s[6:7], s[4:5]
	s_cbranch_execnz .LBB9_571
	s_branch .LBB9_572
.LBB9_2621:
	s_movk_i32 s4, 0x80
	v_cmp_eq_u16_sdwa s[12:13], v11, s4 src0_sel:BYTE_3 src1_sel:DWORD
	s_mov_b64 s[4:5], -1
                                        ; implicit-def: $sgpr10
	s_and_saveexec_b64 s[8:9], s[12:13]
; %bb.2622:
	s_mov_b32 s10, 0x7f800001
	s_xor_b64 s[4:5], exec, -1
; %bb.2623:
	s_or_b64 exec, exec, s[8:9]
	s_and_b64 s[4:5], s[4:5], exec
	s_or_saveexec_b64 s[6:7], s[6:7]
	v_mov_b32_e32 v14, s10
	s_xor_b64 exec, exec, s[6:7]
	s_cbranch_execz .LBB9_574
.LBB9_2624:
	v_mov_b32_e32 v14, 0
	v_cmp_ne_u16_sdwa s[8:9], v11, v14 src0_sel:BYTE_3 src1_sel:DWORD
	s_andn2_b64 s[4:5], s[4:5], exec
	s_and_b64 s[8:9], s[8:9], exec
	s_or_b64 s[4:5], s[4:5], s[8:9]
	s_or_b64 exec, exec, s[6:7]
	s_and_saveexec_b64 s[6:7], s[4:5]
	s_cbranch_execnz .LBB9_575
	s_branch .LBB9_576
.LBB9_2625:
	s_movk_i32 s4, 0x80
	v_cmp_eq_u16_sdwa s[12:13], v16, s4 src0_sel:BYTE_0 src1_sel:DWORD
	s_mov_b64 s[4:5], -1
                                        ; implicit-def: $sgpr10
	s_and_saveexec_b64 s[8:9], s[12:13]
; %bb.2626:
	s_mov_b32 s10, 0x7f800001
	s_xor_b64 s[4:5], exec, -1
; %bb.2627:
	s_or_b64 exec, exec, s[8:9]
	s_and_b64 s[4:5], s[4:5], exec
	s_or_saveexec_b64 s[6:7], s[6:7]
	v_mov_b32_e32 v10, s10
	s_xor_b64 exec, exec, s[6:7]
	s_cbranch_execz .LBB9_578
.LBB9_2628:
	v_mov_b32_e32 v10, 0
	v_cmp_ne_u16_sdwa s[8:9], v16, v10 src0_sel:BYTE_0 src1_sel:DWORD
	s_andn2_b64 s[4:5], s[4:5], exec
	s_and_b64 s[8:9], s[8:9], exec
	s_or_b64 s[4:5], s[4:5], s[8:9]
	s_or_b64 exec, exec, s[6:7]
	s_and_saveexec_b64 s[6:7], s[4:5]
	s_cbranch_execnz .LBB9_579
	s_branch .LBB9_580
.LBB9_2629:
	s_movk_i32 s4, 0x80
	v_cmp_eq_u16_sdwa s[12:13], v12, s4 src0_sel:BYTE_0 src1_sel:DWORD
	s_mov_b64 s[4:5], -1
                                        ; implicit-def: $sgpr10
	s_and_saveexec_b64 s[8:9], s[12:13]
; %bb.2630:
	s_mov_b32 s10, 0x7f800001
	s_xor_b64 s[4:5], exec, -1
; %bb.2631:
	s_or_b64 exec, exec, s[8:9]
	s_and_b64 s[4:5], s[4:5], exec
	s_or_saveexec_b64 s[6:7], s[6:7]
	v_mov_b32_e32 v11, s10
	s_xor_b64 exec, exec, s[6:7]
	s_cbranch_execz .LBB9_582
.LBB9_2632:
	v_mov_b32_e32 v11, 0
	v_cmp_ne_u16_sdwa s[8:9], v12, v11 src0_sel:BYTE_0 src1_sel:DWORD
	s_andn2_b64 s[4:5], s[4:5], exec
	s_and_b64 s[8:9], s[8:9], exec
	s_or_b64 s[4:5], s[4:5], s[8:9]
	s_or_b64 exec, exec, s[6:7]
	s_and_saveexec_b64 s[6:7], s[4:5]
	s_cbranch_execnz .LBB9_583
	s_branch .LBB9_584
.LBB9_2633:
	s_movk_i32 s4, 0x80
	v_cmp_eq_u16_sdwa s[12:13], v11, s4 src0_sel:BYTE_0 src1_sel:DWORD
	s_mov_b64 s[4:5], -1
                                        ; implicit-def: $sgpr10
	s_and_saveexec_b64 s[8:9], s[12:13]
; %bb.2634:
	s_mov_b32 s10, 0x7f800001
	s_xor_b64 s[4:5], exec, -1
; %bb.2635:
	s_or_b64 exec, exec, s[8:9]
	s_and_b64 s[4:5], s[4:5], exec
	s_or_saveexec_b64 s[6:7], s[6:7]
	v_mov_b32_e32 v10, s10
	s_xor_b64 exec, exec, s[6:7]
	s_cbranch_execz .LBB9_586
.LBB9_2636:
	v_mov_b32_e32 v10, 0
	v_cmp_ne_u16_sdwa s[8:9], v11, v10 src0_sel:BYTE_0 src1_sel:DWORD
	s_andn2_b64 s[4:5], s[4:5], exec
	s_and_b64 s[8:9], s[8:9], exec
	s_or_b64 s[4:5], s[4:5], s[8:9]
	s_or_b64 exec, exec, s[6:7]
	s_and_saveexec_b64 s[6:7], s[4:5]
	s_cbranch_execnz .LBB9_587
	s_branch .LBB9_588
.LBB9_2637:
	s_movk_i32 s4, 0x80
	v_cmp_eq_u16_sdwa s[12:13], v11, s4 src0_sel:BYTE_0 src1_sel:DWORD
	s_mov_b64 s[4:5], -1
                                        ; implicit-def: $sgpr10
	s_and_saveexec_b64 s[8:9], s[12:13]
; %bb.2638:
	s_mov_b32 s10, 0x7f800001
	s_xor_b64 s[4:5], exec, -1
; %bb.2639:
	s_or_b64 exec, exec, s[8:9]
	s_and_b64 s[4:5], s[4:5], exec
	s_or_saveexec_b64 s[6:7], s[6:7]
	v_mov_b32_e32 v14, s10
	s_xor_b64 exec, exec, s[6:7]
	s_cbranch_execz .LBB9_590
.LBB9_2640:
	v_mov_b32_e32 v14, 0
	v_cmp_ne_u16_sdwa s[8:9], v11, v14 src0_sel:BYTE_0 src1_sel:DWORD
	s_andn2_b64 s[4:5], s[4:5], exec
	s_and_b64 s[8:9], s[8:9], exec
	s_or_b64 s[4:5], s[4:5], s[8:9]
	s_or_b64 exec, exec, s[6:7]
	s_and_saveexec_b64 s[6:7], s[4:5]
	s_cbranch_execnz .LBB9_591
	s_branch .LBB9_592
.LBB9_2641:
	s_movk_i32 s4, 0x80
	v_cmp_eq_u16_e32 vcc, s4, v11
	s_mov_b64 s[4:5], -1
                                        ; implicit-def: $sgpr10
	s_and_saveexec_b64 s[8:9], vcc
; %bb.2642:
	s_mov_b32 s10, 0x7f800001
	s_xor_b64 s[4:5], exec, -1
; %bb.2643:
	s_or_b64 exec, exec, s[8:9]
	s_and_b64 s[4:5], s[4:5], exec
                                        ; implicit-def: $vgpr11
	s_or_saveexec_b64 s[6:7], s[6:7]
	v_mov_b32_e32 v10, s10
	s_xor_b64 exec, exec, s[6:7]
	s_cbranch_execz .LBB9_594
.LBB9_2644:
	v_cmp_ne_u16_e32 vcc, 0, v11
	s_andn2_b64 s[4:5], s[4:5], exec
	s_and_b64 s[8:9], vcc, exec
	v_mov_b32_e32 v10, 0
	s_or_b64 s[4:5], s[4:5], s[8:9]
	s_or_b64 exec, exec, s[6:7]
	s_and_saveexec_b64 s[6:7], s[4:5]
	s_cbranch_execnz .LBB9_595
	s_branch .LBB9_596
.LBB9_2645:
	s_movk_i32 s4, 0x80
	v_cmp_eq_u16_e32 vcc, s4, v11
	s_mov_b64 s[4:5], -1
                                        ; implicit-def: $sgpr10
	s_and_saveexec_b64 s[8:9], vcc
; %bb.2646:
	s_mov_b32 s10, 0x7f800001
	s_xor_b64 s[4:5], exec, -1
; %bb.2647:
	s_or_b64 exec, exec, s[8:9]
	s_and_b64 s[4:5], s[4:5], exec
                                        ; implicit-def: $vgpr11
	s_or_saveexec_b64 s[6:7], s[6:7]
	v_mov_b32_e32 v14, s10
	s_xor_b64 exec, exec, s[6:7]
	s_cbranch_execz .LBB9_598
.LBB9_2648:
	v_cmp_ne_u16_e32 vcc, 0, v11
	s_andn2_b64 s[4:5], s[4:5], exec
	s_and_b64 s[8:9], vcc, exec
	v_mov_b32_e32 v14, 0
	s_or_b64 s[4:5], s[4:5], s[8:9]
	s_or_b64 exec, exec, s[6:7]
	s_and_saveexec_b64 s[6:7], s[4:5]
	s_cbranch_execnz .LBB9_599
	s_branch .LBB9_600
.LBB9_2649:
	s_movk_i32 s4, 0x80
	v_cmp_eq_u16_sdwa s[12:13], v16, s4 src0_sel:BYTE_3 src1_sel:DWORD
	s_mov_b64 s[4:5], -1
                                        ; implicit-def: $sgpr10
	s_and_saveexec_b64 s[8:9], s[12:13]
; %bb.2650:
	s_mov_b32 s10, 0x7f800001
	s_xor_b64 s[4:5], exec, -1
; %bb.2651:
	s_or_b64 exec, exec, s[8:9]
	s_and_b64 s[4:5], s[4:5], exec
	s_or_saveexec_b64 s[6:7], s[6:7]
	v_mov_b32_e32 v10, s10
	s_xor_b64 exec, exec, s[6:7]
	s_cbranch_execz .LBB9_602
.LBB9_2652:
	v_mov_b32_e32 v10, 0
	v_cmp_ne_u16_sdwa s[8:9], v16, v10 src0_sel:BYTE_3 src1_sel:DWORD
	s_andn2_b64 s[4:5], s[4:5], exec
	s_and_b64 s[8:9], s[8:9], exec
	s_or_b64 s[4:5], s[4:5], s[8:9]
	s_or_b64 exec, exec, s[6:7]
	s_and_saveexec_b64 s[6:7], s[4:5]
	s_cbranch_execnz .LBB9_603
	s_branch .LBB9_604
.LBB9_2653:
	s_movk_i32 s4, 0x80
	v_cmp_eq_u16_sdwa s[12:13], v12, s4 src0_sel:BYTE_3 src1_sel:DWORD
	s_mov_b64 s[4:5], -1
                                        ; implicit-def: $sgpr10
	s_and_saveexec_b64 s[8:9], s[12:13]
; %bb.2654:
	s_mov_b32 s10, 0x7f800001
	s_xor_b64 s[4:5], exec, -1
; %bb.2655:
	s_or_b64 exec, exec, s[8:9]
	s_and_b64 s[4:5], s[4:5], exec
	s_or_saveexec_b64 s[6:7], s[6:7]
	v_mov_b32_e32 v11, s10
	s_xor_b64 exec, exec, s[6:7]
	s_cbranch_execz .LBB9_606
.LBB9_2656:
	v_mov_b32_e32 v11, 0
	v_cmp_ne_u16_sdwa s[8:9], v12, v11 src0_sel:BYTE_3 src1_sel:DWORD
	s_andn2_b64 s[4:5], s[4:5], exec
	s_and_b64 s[8:9], s[8:9], exec
	s_or_b64 s[4:5], s[4:5], s[8:9]
	s_or_b64 exec, exec, s[6:7]
	s_and_saveexec_b64 s[6:7], s[4:5]
	s_cbranch_execnz .LBB9_607
	s_branch .LBB9_608
.LBB9_2657:
	s_movk_i32 s4, 0x80
	v_cmp_eq_u16_sdwa s[12:13], v17, s4 src0_sel:BYTE_0 src1_sel:DWORD
	s_mov_b64 s[4:5], -1
                                        ; implicit-def: $sgpr10
	s_and_saveexec_b64 s[8:9], s[12:13]
; %bb.2658:
	s_mov_b32 s10, 0x7f800001
	s_xor_b64 s[4:5], exec, -1
; %bb.2659:
	s_or_b64 exec, exec, s[8:9]
	s_and_b64 s[4:5], s[4:5], exec
	s_or_saveexec_b64 s[6:7], s[6:7]
	v_mov_b32_e32 v10, s10
	s_xor_b64 exec, exec, s[6:7]
	s_cbranch_execz .LBB9_610
.LBB9_2660:
	v_mov_b32_e32 v10, 0
	v_cmp_ne_u16_sdwa s[8:9], v17, v10 src0_sel:BYTE_0 src1_sel:DWORD
	s_andn2_b64 s[4:5], s[4:5], exec
	s_and_b64 s[8:9], s[8:9], exec
	s_or_b64 s[4:5], s[4:5], s[8:9]
	s_or_b64 exec, exec, s[6:7]
	s_and_saveexec_b64 s[6:7], s[4:5]
	s_cbranch_execnz .LBB9_611
	s_branch .LBB9_612
.LBB9_2661:
	s_movk_i32 s4, 0x80
	v_cmp_eq_u16_sdwa s[12:13], v13, s4 src0_sel:BYTE_0 src1_sel:DWORD
	s_mov_b64 s[4:5], -1
                                        ; implicit-def: $sgpr10
	s_and_saveexec_b64 s[8:9], s[12:13]
; %bb.2662:
	s_mov_b32 s10, 0x7f800001
	s_xor_b64 s[4:5], exec, -1
; %bb.2663:
	s_or_b64 exec, exec, s[8:9]
	s_and_b64 s[4:5], s[4:5], exec
	s_or_saveexec_b64 s[6:7], s[6:7]
	v_mov_b32_e32 v11, s10
	s_xor_b64 exec, exec, s[6:7]
	s_cbranch_execz .LBB9_614
.LBB9_2664:
	v_mov_b32_e32 v11, 0
	v_cmp_ne_u16_sdwa s[8:9], v13, v11 src0_sel:BYTE_0 src1_sel:DWORD
	s_andn2_b64 s[4:5], s[4:5], exec
	s_and_b64 s[8:9], s[8:9], exec
	s_or_b64 s[4:5], s[4:5], s[8:9]
	s_or_b64 exec, exec, s[6:7]
	s_and_saveexec_b64 s[6:7], s[4:5]
	s_cbranch_execnz .LBB9_615
	s_branch .LBB9_616
.LBB9_2665:
	s_movk_i32 s4, 0x80
	v_cmp_eq_u16_sdwa s[12:13], v11, s4 src0_sel:BYTE_0 src1_sel:DWORD
	s_mov_b64 s[4:5], -1
                                        ; implicit-def: $sgpr10
	s_and_saveexec_b64 s[8:9], s[12:13]
; %bb.2666:
	s_mov_b32 s10, 0x7f800001
	s_xor_b64 s[4:5], exec, -1
; %bb.2667:
	s_or_b64 exec, exec, s[8:9]
	s_and_b64 s[4:5], s[4:5], exec
	s_or_saveexec_b64 s[6:7], s[6:7]
	v_mov_b32_e32 v10, s10
	s_xor_b64 exec, exec, s[6:7]
	s_cbranch_execz .LBB9_618
.LBB9_2668:
	v_mov_b32_e32 v10, 0
	v_cmp_ne_u16_sdwa s[8:9], v11, v10 src0_sel:BYTE_0 src1_sel:DWORD
	s_andn2_b64 s[4:5], s[4:5], exec
	s_and_b64 s[8:9], s[8:9], exec
	s_or_b64 s[4:5], s[4:5], s[8:9]
	s_or_b64 exec, exec, s[6:7]
	s_and_saveexec_b64 s[6:7], s[4:5]
	s_cbranch_execnz .LBB9_619
	s_branch .LBB9_620
.LBB9_2669:
	s_movk_i32 s4, 0x80
	v_cmp_eq_u16_sdwa s[12:13], v11, s4 src0_sel:BYTE_0 src1_sel:DWORD
	s_mov_b64 s[4:5], -1
                                        ; implicit-def: $sgpr10
	s_and_saveexec_b64 s[8:9], s[12:13]
; %bb.2670:
	s_mov_b32 s10, 0x7f800001
	s_xor_b64 s[4:5], exec, -1
; %bb.2671:
	s_or_b64 exec, exec, s[8:9]
	s_and_b64 s[4:5], s[4:5], exec
	s_or_saveexec_b64 s[6:7], s[6:7]
	v_mov_b32_e32 v12, s10
	s_xor_b64 exec, exec, s[6:7]
	s_cbranch_execz .LBB9_622
.LBB9_2672:
	v_mov_b32_e32 v12, 0
	v_cmp_ne_u16_sdwa s[8:9], v11, v12 src0_sel:BYTE_0 src1_sel:DWORD
	s_andn2_b64 s[4:5], s[4:5], exec
	s_and_b64 s[8:9], s[8:9], exec
	s_or_b64 s[4:5], s[4:5], s[8:9]
	s_or_b64 exec, exec, s[6:7]
	s_and_saveexec_b64 s[6:7], s[4:5]
	s_cbranch_execnz .LBB9_623
	s_branch .LBB9_624
.LBB9_2673:
	s_movk_i32 s4, 0x80
	v_cmp_eq_u16_e32 vcc, s4, v11
	s_mov_b64 s[4:5], -1
                                        ; implicit-def: $sgpr10
	s_and_saveexec_b64 s[8:9], vcc
; %bb.2674:
	s_mov_b32 s10, 0x7f800001
	s_xor_b64 s[4:5], exec, -1
; %bb.2675:
	s_or_b64 exec, exec, s[8:9]
	s_and_b64 s[4:5], s[4:5], exec
                                        ; implicit-def: $vgpr11
	s_or_saveexec_b64 s[6:7], s[6:7]
	v_mov_b32_e32 v10, s10
	s_xor_b64 exec, exec, s[6:7]
	s_cbranch_execz .LBB9_626
.LBB9_2676:
	v_cmp_ne_u16_e32 vcc, 0, v11
	s_andn2_b64 s[4:5], s[4:5], exec
	s_and_b64 s[8:9], vcc, exec
	v_mov_b32_e32 v10, 0
	s_or_b64 s[4:5], s[4:5], s[8:9]
	s_or_b64 exec, exec, s[6:7]
	s_and_saveexec_b64 s[6:7], s[4:5]
	s_cbranch_execnz .LBB9_627
	s_branch .LBB9_628
.LBB9_2677:
	s_movk_i32 s4, 0x80
	v_cmp_eq_u16_e32 vcc, s4, v11
	s_mov_b64 s[4:5], -1
                                        ; implicit-def: $sgpr10
	s_and_saveexec_b64 s[8:9], vcc
; %bb.2678:
	s_mov_b32 s10, 0x7f800001
	s_xor_b64 s[4:5], exec, -1
; %bb.2679:
	s_or_b64 exec, exec, s[8:9]
	s_and_b64 s[4:5], s[4:5], exec
                                        ; implicit-def: $vgpr11
	s_or_saveexec_b64 s[6:7], s[6:7]
	v_mov_b32_e32 v12, s10
	s_xor_b64 exec, exec, s[6:7]
	s_cbranch_execz .LBB9_630
.LBB9_2680:
	v_cmp_ne_u16_e32 vcc, 0, v11
	s_andn2_b64 s[4:5], s[4:5], exec
	s_and_b64 s[8:9], vcc, exec
	v_mov_b32_e32 v12, 0
	s_or_b64 s[4:5], s[4:5], s[8:9]
	s_or_b64 exec, exec, s[6:7]
	s_and_saveexec_b64 s[6:7], s[4:5]
	s_cbranch_execnz .LBB9_631
	s_branch .LBB9_632
.LBB9_2681:
	s_movk_i32 s4, 0x80
	v_cmp_eq_u16_sdwa s[12:13], v17, s4 src0_sel:BYTE_3 src1_sel:DWORD
	s_mov_b64 s[4:5], -1
                                        ; implicit-def: $sgpr10
	s_and_saveexec_b64 s[8:9], s[12:13]
; %bb.2682:
	s_mov_b32 s10, 0x7f800001
	s_xor_b64 s[4:5], exec, -1
; %bb.2683:
	s_or_b64 exec, exec, s[8:9]
	s_and_b64 s[4:5], s[4:5], exec
	s_or_saveexec_b64 s[6:7], s[6:7]
	v_mov_b32_e32 v10, s10
	s_xor_b64 exec, exec, s[6:7]
	s_cbranch_execz .LBB9_634
.LBB9_2684:
	v_mov_b32_e32 v10, 0
	v_cmp_ne_u16_sdwa s[8:9], v17, v10 src0_sel:BYTE_3 src1_sel:DWORD
	s_andn2_b64 s[4:5], s[4:5], exec
	s_and_b64 s[8:9], s[8:9], exec
	s_or_b64 s[4:5], s[4:5], s[8:9]
	s_or_b64 exec, exec, s[6:7]
	s_and_saveexec_b64 s[6:7], s[4:5]
	s_cbranch_execnz .LBB9_635
	s_branch .LBB9_636
.LBB9_2685:
	s_movk_i32 s4, 0x80
	v_cmp_eq_u16_sdwa s[12:13], v13, s4 src0_sel:BYTE_3 src1_sel:DWORD
	s_mov_b64 s[4:5], -1
                                        ; implicit-def: $sgpr10
	s_and_saveexec_b64 s[8:9], s[12:13]
; %bb.2686:
	s_mov_b32 s10, 0x7f800001
	s_xor_b64 s[4:5], exec, -1
; %bb.2687:
	s_or_b64 exec, exec, s[8:9]
	s_and_b64 s[4:5], s[4:5], exec
	s_or_saveexec_b64 s[6:7], s[6:7]
	v_mov_b32_e32 v11, s10
	s_xor_b64 exec, exec, s[6:7]
	s_cbranch_execz .LBB9_638
.LBB9_2688:
	v_mov_b32_e32 v11, 0
	v_cmp_ne_u16_sdwa s[8:9], v13, v11 src0_sel:BYTE_3 src1_sel:DWORD
	s_andn2_b64 s[4:5], s[4:5], exec
	s_and_b64 s[8:9], s[8:9], exec
	s_or_b64 s[4:5], s[4:5], s[8:9]
	s_or_b64 exec, exec, s[6:7]
	s_and_saveexec_b64 s[6:7], s[4:5]
	s_cbranch_execnz .LBB9_639
	s_branch .LBB9_640
.LBB9_2689:
	s_movk_i32 s4, 0x80
	v_cmp_eq_u16_sdwa s[12:13], v6, s4 src0_sel:BYTE_0 src1_sel:DWORD
	s_mov_b64 s[4:5], -1
                                        ; implicit-def: $sgpr10
	s_and_saveexec_b64 s[8:9], s[12:13]
; %bb.2690:
	s_mov_b32 s10, 0x7f800001
	s_xor_b64 s[4:5], exec, -1
; %bb.2691:
	s_or_b64 exec, exec, s[8:9]
	s_and_b64 s[4:5], s[4:5], exec
	s_or_saveexec_b64 s[6:7], s[6:7]
	v_mov_b32_e32 v10, s10
	s_xor_b64 exec, exec, s[6:7]
	s_cbranch_execz .LBB9_642
.LBB9_2692:
	v_mov_b32_e32 v10, 0
	v_cmp_ne_u16_sdwa s[8:9], v6, v10 src0_sel:BYTE_0 src1_sel:DWORD
	s_andn2_b64 s[4:5], s[4:5], exec
	s_and_b64 s[8:9], s[8:9], exec
	s_or_b64 s[4:5], s[4:5], s[8:9]
	s_or_b64 exec, exec, s[6:7]
	s_and_saveexec_b64 s[6:7], s[4:5]
	s_cbranch_execnz .LBB9_643
	s_branch .LBB9_644
.LBB9_2693:
	s_movk_i32 s4, 0x80
	v_cmp_eq_u16_sdwa s[12:13], v2, s4 src0_sel:BYTE_0 src1_sel:DWORD
	s_mov_b64 s[4:5], -1
                                        ; implicit-def: $sgpr10
	s_and_saveexec_b64 s[8:9], s[12:13]
; %bb.2694:
	s_mov_b32 s10, 0x7f800001
	s_xor_b64 s[4:5], exec, -1
; %bb.2695:
	s_or_b64 exec, exec, s[8:9]
	s_and_b64 s[4:5], s[4:5], exec
	s_or_saveexec_b64 s[6:7], s[6:7]
	v_mov_b32_e32 v11, s10
	s_xor_b64 exec, exec, s[6:7]
	s_cbranch_execz .LBB9_646
.LBB9_2696:
	v_mov_b32_e32 v11, 0
	v_cmp_ne_u16_sdwa s[8:9], v2, v11 src0_sel:BYTE_0 src1_sel:DWORD
	s_andn2_b64 s[4:5], s[4:5], exec
	s_and_b64 s[8:9], s[8:9], exec
	s_or_b64 s[4:5], s[4:5], s[8:9]
	s_or_b64 exec, exec, s[6:7]
	s_and_saveexec_b64 s[6:7], s[4:5]
	s_cbranch_execnz .LBB9_647
	s_branch .LBB9_648
.LBB9_2697:
	s_movk_i32 s4, 0x80
	v_cmp_eq_u16_sdwa s[12:13], v11, s4 src0_sel:BYTE_0 src1_sel:DWORD
	s_mov_b64 s[4:5], -1
                                        ; implicit-def: $sgpr10
	s_and_saveexec_b64 s[8:9], s[12:13]
; %bb.2698:
	s_mov_b32 s10, 0x7f800001
	s_xor_b64 s[4:5], exec, -1
; %bb.2699:
	s_or_b64 exec, exec, s[8:9]
	s_and_b64 s[4:5], s[4:5], exec
	s_or_saveexec_b64 s[6:7], s[6:7]
	v_mov_b32_e32 v10, s10
	s_xor_b64 exec, exec, s[6:7]
	s_cbranch_execz .LBB9_650
.LBB9_2700:
	v_mov_b32_e32 v10, 0
	v_cmp_ne_u16_sdwa s[8:9], v11, v10 src0_sel:BYTE_0 src1_sel:DWORD
	s_andn2_b64 s[4:5], s[4:5], exec
	s_and_b64 s[8:9], s[8:9], exec
	s_or_b64 s[4:5], s[4:5], s[8:9]
	s_or_b64 exec, exec, s[6:7]
	s_and_saveexec_b64 s[6:7], s[4:5]
	s_cbranch_execnz .LBB9_651
	s_branch .LBB9_652
.LBB9_2701:
	s_movk_i32 s4, 0x80
	v_cmp_eq_u16_sdwa s[12:13], v11, s4 src0_sel:BYTE_0 src1_sel:DWORD
	s_mov_b64 s[4:5], -1
                                        ; implicit-def: $sgpr10
	s_and_saveexec_b64 s[8:9], s[12:13]
; %bb.2702:
	s_mov_b32 s10, 0x7f800001
	s_xor_b64 s[4:5], exec, -1
; %bb.2703:
	s_or_b64 exec, exec, s[8:9]
	s_and_b64 s[4:5], s[4:5], exec
	s_or_saveexec_b64 s[6:7], s[6:7]
	v_mov_b32_e32 v12, s10
	s_xor_b64 exec, exec, s[6:7]
	s_cbranch_execz .LBB9_654
.LBB9_2704:
	v_mov_b32_e32 v12, 0
	v_cmp_ne_u16_sdwa s[8:9], v11, v12 src0_sel:BYTE_0 src1_sel:DWORD
	s_andn2_b64 s[4:5], s[4:5], exec
	s_and_b64 s[8:9], s[8:9], exec
	s_or_b64 s[4:5], s[4:5], s[8:9]
	s_or_b64 exec, exec, s[6:7]
	s_and_saveexec_b64 s[6:7], s[4:5]
	s_cbranch_execnz .LBB9_655
	s_branch .LBB9_656
.LBB9_2705:
	s_movk_i32 s4, 0x80
	v_cmp_eq_u16_e32 vcc, s4, v11
	s_mov_b64 s[4:5], -1
                                        ; implicit-def: $sgpr10
	s_and_saveexec_b64 s[8:9], vcc
; %bb.2706:
	s_mov_b32 s10, 0x7f800001
	s_xor_b64 s[4:5], exec, -1
; %bb.2707:
	s_or_b64 exec, exec, s[8:9]
	s_and_b64 s[4:5], s[4:5], exec
                                        ; implicit-def: $vgpr11
	s_or_saveexec_b64 s[6:7], s[6:7]
	v_mov_b32_e32 v10, s10
	s_xor_b64 exec, exec, s[6:7]
	s_cbranch_execz .LBB9_658
.LBB9_2708:
	v_cmp_ne_u16_e32 vcc, 0, v11
	s_andn2_b64 s[4:5], s[4:5], exec
	s_and_b64 s[8:9], vcc, exec
	v_mov_b32_e32 v10, 0
	s_or_b64 s[4:5], s[4:5], s[8:9]
	s_or_b64 exec, exec, s[6:7]
	s_and_saveexec_b64 s[6:7], s[4:5]
	s_cbranch_execnz .LBB9_659
	s_branch .LBB9_660
.LBB9_2709:
	s_movk_i32 s4, 0x80
	v_cmp_eq_u16_e32 vcc, s4, v11
	s_mov_b64 s[4:5], -1
                                        ; implicit-def: $sgpr10
	s_and_saveexec_b64 s[8:9], vcc
; %bb.2710:
	s_mov_b32 s10, 0x7f800001
	s_xor_b64 s[4:5], exec, -1
; %bb.2711:
	s_or_b64 exec, exec, s[8:9]
	s_and_b64 s[4:5], s[4:5], exec
                                        ; implicit-def: $vgpr11
	s_or_saveexec_b64 s[6:7], s[6:7]
	v_mov_b32_e32 v12, s10
	s_xor_b64 exec, exec, s[6:7]
	s_cbranch_execz .LBB9_662
.LBB9_2712:
	v_cmp_ne_u16_e32 vcc, 0, v11
	s_andn2_b64 s[4:5], s[4:5], exec
	s_and_b64 s[8:9], vcc, exec
	v_mov_b32_e32 v12, 0
	s_or_b64 s[4:5], s[4:5], s[8:9]
	s_or_b64 exec, exec, s[6:7]
	s_and_saveexec_b64 s[6:7], s[4:5]
	s_cbranch_execnz .LBB9_663
	s_branch .LBB9_664
.LBB9_2713:
	s_movk_i32 s4, 0x80
	v_cmp_eq_u16_sdwa s[12:13], v6, s4 src0_sel:BYTE_3 src1_sel:DWORD
	s_mov_b64 s[4:5], -1
                                        ; implicit-def: $sgpr10
	s_and_saveexec_b64 s[8:9], s[12:13]
; %bb.2714:
	s_mov_b32 s10, 0x7f800001
	s_xor_b64 s[4:5], exec, -1
; %bb.2715:
	s_or_b64 exec, exec, s[8:9]
	s_and_b64 s[4:5], s[4:5], exec
	s_or_saveexec_b64 s[6:7], s[6:7]
	v_mov_b32_e32 v10, s10
	s_xor_b64 exec, exec, s[6:7]
	s_cbranch_execz .LBB9_666
.LBB9_2716:
	v_mov_b32_e32 v10, 0
	v_cmp_ne_u16_sdwa s[8:9], v6, v10 src0_sel:BYTE_3 src1_sel:DWORD
	s_andn2_b64 s[4:5], s[4:5], exec
	s_and_b64 s[8:9], s[8:9], exec
	s_or_b64 s[4:5], s[4:5], s[8:9]
	s_or_b64 exec, exec, s[6:7]
	s_and_saveexec_b64 s[6:7], s[4:5]
	s_cbranch_execnz .LBB9_667
	s_branch .LBB9_668
.LBB9_2717:
	s_movk_i32 s4, 0x80
	v_cmp_eq_u16_sdwa s[12:13], v2, s4 src0_sel:BYTE_3 src1_sel:DWORD
	s_mov_b64 s[4:5], -1
                                        ; implicit-def: $sgpr10
	s_and_saveexec_b64 s[8:9], s[12:13]
; %bb.2718:
	s_mov_b32 s10, 0x7f800001
	s_xor_b64 s[4:5], exec, -1
; %bb.2719:
	s_or_b64 exec, exec, s[8:9]
	s_and_b64 s[4:5], s[4:5], exec
	s_or_saveexec_b64 s[6:7], s[6:7]
	v_mov_b32_e32 v6, s10
	s_xor_b64 exec, exec, s[6:7]
	s_cbranch_execz .LBB9_670
.LBB9_2720:
	v_mov_b32_e32 v6, 0
	v_cmp_ne_u16_sdwa s[8:9], v2, v6 src0_sel:BYTE_3 src1_sel:DWORD
	s_andn2_b64 s[4:5], s[4:5], exec
	s_and_b64 s[8:9], s[8:9], exec
	s_or_b64 s[4:5], s[4:5], s[8:9]
	s_or_b64 exec, exec, s[6:7]
	s_and_saveexec_b64 s[6:7], s[4:5]
	s_cbranch_execnz .LBB9_671
	s_branch .LBB9_672
.LBB9_2721:
	s_movk_i32 s4, 0x80
	v_cmp_eq_u16_sdwa s[12:13], v7, s4 src0_sel:BYTE_0 src1_sel:DWORD
	s_mov_b64 s[4:5], -1
                                        ; implicit-def: $sgpr10
	s_and_saveexec_b64 s[8:9], s[12:13]
; %bb.2722:
	s_mov_b32 s10, 0x7f800001
	s_xor_b64 s[4:5], exec, -1
; %bb.2723:
	s_or_b64 exec, exec, s[8:9]
	s_and_b64 s[4:5], s[4:5], exec
	s_or_saveexec_b64 s[6:7], s[6:7]
	v_mov_b32_e32 v2, s10
	s_xor_b64 exec, exec, s[6:7]
	s_cbranch_execz .LBB9_674
.LBB9_2724:
	v_mov_b32_e32 v2, 0
	v_cmp_ne_u16_sdwa s[8:9], v7, v2 src0_sel:BYTE_0 src1_sel:DWORD
	s_andn2_b64 s[4:5], s[4:5], exec
	s_and_b64 s[8:9], s[8:9], exec
	s_or_b64 s[4:5], s[4:5], s[8:9]
	s_or_b64 exec, exec, s[6:7]
	s_and_saveexec_b64 s[6:7], s[4:5]
	s_cbranch_execnz .LBB9_675
	s_branch .LBB9_676
.LBB9_2725:
	s_movk_i32 s4, 0x80
	v_cmp_eq_u16_sdwa s[12:13], v3, s4 src0_sel:BYTE_0 src1_sel:DWORD
	s_mov_b64 s[4:5], -1
                                        ; implicit-def: $sgpr10
	s_and_saveexec_b64 s[8:9], s[12:13]
; %bb.2726:
	s_mov_b32 s10, 0x7f800001
	s_xor_b64 s[4:5], exec, -1
; %bb.2727:
	s_or_b64 exec, exec, s[8:9]
	s_and_b64 s[4:5], s[4:5], exec
	s_or_saveexec_b64 s[6:7], s[6:7]
	v_mov_b32_e32 v6, s10
	s_xor_b64 exec, exec, s[6:7]
	s_cbranch_execz .LBB9_678
.LBB9_2728:
	v_mov_b32_e32 v6, 0
	v_cmp_ne_u16_sdwa s[8:9], v3, v6 src0_sel:BYTE_0 src1_sel:DWORD
	s_andn2_b64 s[4:5], s[4:5], exec
	s_and_b64 s[8:9], s[8:9], exec
	s_or_b64 s[4:5], s[4:5], s[8:9]
	s_or_b64 exec, exec, s[6:7]
	s_and_saveexec_b64 s[6:7], s[4:5]
	s_cbranch_execnz .LBB9_679
	s_branch .LBB9_680
.LBB9_2729:
	s_movk_i32 s4, 0x80
	v_cmp_eq_u16_sdwa s[12:13], v6, s4 src0_sel:BYTE_0 src1_sel:DWORD
	s_mov_b64 s[4:5], -1
                                        ; implicit-def: $sgpr10
	s_and_saveexec_b64 s[8:9], s[12:13]
; %bb.2730:
	s_mov_b32 s10, 0x7f800001
	s_xor_b64 s[4:5], exec, -1
; %bb.2731:
	s_or_b64 exec, exec, s[8:9]
	s_and_b64 s[4:5], s[4:5], exec
	s_or_saveexec_b64 s[6:7], s[6:7]
	v_mov_b32_e32 v2, s10
	s_xor_b64 exec, exec, s[6:7]
	s_cbranch_execz .LBB9_682
.LBB9_2732:
	v_mov_b32_e32 v2, 0
	v_cmp_ne_u16_sdwa s[8:9], v6, v2 src0_sel:BYTE_0 src1_sel:DWORD
	s_andn2_b64 s[4:5], s[4:5], exec
	s_and_b64 s[8:9], s[8:9], exec
	s_or_b64 s[4:5], s[4:5], s[8:9]
	s_or_b64 exec, exec, s[6:7]
	s_and_saveexec_b64 s[6:7], s[4:5]
	s_cbranch_execnz .LBB9_683
	s_branch .LBB9_684
.LBB9_2733:
	s_movk_i32 s4, 0x80
	v_cmp_eq_u16_sdwa s[12:13], v6, s4 src0_sel:BYTE_0 src1_sel:DWORD
	s_mov_b64 s[4:5], -1
                                        ; implicit-def: $sgpr10
	s_and_saveexec_b64 s[8:9], s[12:13]
; %bb.2734:
	s_mov_b32 s10, 0x7f800001
	s_xor_b64 s[4:5], exec, -1
; %bb.2735:
	s_or_b64 exec, exec, s[8:9]
	s_and_b64 s[4:5], s[4:5], exec
	s_or_saveexec_b64 s[6:7], s[6:7]
	v_mov_b32_e32 v10, s10
	s_xor_b64 exec, exec, s[6:7]
	s_cbranch_execz .LBB9_686
.LBB9_2736:
	v_mov_b32_e32 v10, 0
	v_cmp_ne_u16_sdwa s[8:9], v6, v10 src0_sel:BYTE_0 src1_sel:DWORD
	s_andn2_b64 s[4:5], s[4:5], exec
	s_and_b64 s[8:9], s[8:9], exec
	s_or_b64 s[4:5], s[4:5], s[8:9]
	s_or_b64 exec, exec, s[6:7]
	s_and_saveexec_b64 s[6:7], s[4:5]
	s_cbranch_execnz .LBB9_687
	s_branch .LBB9_688
.LBB9_2737:
	s_movk_i32 s4, 0x80
	v_cmp_eq_u16_e32 vcc, s4, v6
	s_mov_b64 s[4:5], -1
                                        ; implicit-def: $sgpr10
	s_and_saveexec_b64 s[8:9], vcc
; %bb.2738:
	s_mov_b32 s10, 0x7f800001
	s_xor_b64 s[4:5], exec, -1
; %bb.2739:
	s_or_b64 exec, exec, s[8:9]
	s_and_b64 s[4:5], s[4:5], exec
                                        ; implicit-def: $vgpr6
	s_or_saveexec_b64 s[6:7], s[6:7]
	v_mov_b32_e32 v2, s10
	s_xor_b64 exec, exec, s[6:7]
	s_cbranch_execz .LBB9_690
.LBB9_2740:
	v_cmp_ne_u16_e32 vcc, 0, v6
	s_andn2_b64 s[4:5], s[4:5], exec
	s_and_b64 s[8:9], vcc, exec
	v_mov_b32_e32 v2, 0
	s_or_b64 s[4:5], s[4:5], s[8:9]
	s_or_b64 exec, exec, s[6:7]
	s_and_saveexec_b64 s[6:7], s[4:5]
	s_cbranch_execnz .LBB9_691
	s_branch .LBB9_692
.LBB9_2741:
	s_movk_i32 s4, 0x80
	v_cmp_eq_u16_e32 vcc, s4, v6
	s_mov_b64 s[4:5], -1
                                        ; implicit-def: $sgpr10
	s_and_saveexec_b64 s[8:9], vcc
; %bb.2742:
	s_mov_b32 s10, 0x7f800001
	s_xor_b64 s[4:5], exec, -1
; %bb.2743:
	s_or_b64 exec, exec, s[8:9]
	s_and_b64 s[4:5], s[4:5], exec
                                        ; implicit-def: $vgpr6
	s_or_saveexec_b64 s[6:7], s[6:7]
	v_mov_b32_e32 v10, s10
	s_xor_b64 exec, exec, s[6:7]
	s_cbranch_execz .LBB9_694
.LBB9_2744:
	v_cmp_ne_u16_e32 vcc, 0, v6
	s_andn2_b64 s[4:5], s[4:5], exec
	s_and_b64 s[8:9], vcc, exec
	v_mov_b32_e32 v10, 0
	s_or_b64 s[4:5], s[4:5], s[8:9]
	s_or_b64 exec, exec, s[6:7]
	s_and_saveexec_b64 s[6:7], s[4:5]
	s_cbranch_execnz .LBB9_695
	s_branch .LBB9_696
.LBB9_2745:
	s_movk_i32 s4, 0x80
	v_cmp_eq_u16_sdwa s[12:13], v7, s4 src0_sel:BYTE_3 src1_sel:DWORD
	s_mov_b64 s[4:5], -1
                                        ; implicit-def: $sgpr10
	s_and_saveexec_b64 s[8:9], s[12:13]
; %bb.2746:
	s_mov_b32 s10, 0x7f800001
	s_xor_b64 s[4:5], exec, -1
; %bb.2747:
	s_or_b64 exec, exec, s[8:9]
	s_and_b64 s[4:5], s[4:5], exec
	s_or_saveexec_b64 s[6:7], s[6:7]
	v_mov_b32_e32 v2, s10
	s_xor_b64 exec, exec, s[6:7]
	s_cbranch_execz .LBB9_698
.LBB9_2748:
	v_mov_b32_e32 v2, 0
	v_cmp_ne_u16_sdwa s[8:9], v7, v2 src0_sel:BYTE_3 src1_sel:DWORD
	s_andn2_b64 s[4:5], s[4:5], exec
	s_and_b64 s[8:9], s[8:9], exec
	s_or_b64 s[4:5], s[4:5], s[8:9]
	s_or_b64 exec, exec, s[6:7]
	s_and_saveexec_b64 s[6:7], s[4:5]
	s_cbranch_execnz .LBB9_699
	s_branch .LBB9_700
.LBB9_2749:
	s_movk_i32 s4, 0x80
	v_cmp_eq_u16_sdwa s[12:13], v3, s4 src0_sel:BYTE_3 src1_sel:DWORD
	s_mov_b64 s[4:5], -1
                                        ; implicit-def: $sgpr10
	s_and_saveexec_b64 s[8:9], s[12:13]
; %bb.2750:
	s_mov_b32 s10, 0x7f800001
	s_xor_b64 s[4:5], exec, -1
; %bb.2751:
	s_or_b64 exec, exec, s[8:9]
	s_and_b64 s[4:5], s[4:5], exec
	s_or_saveexec_b64 s[6:7], s[6:7]
	v_mov_b32_e32 v6, s10
	s_xor_b64 exec, exec, s[6:7]
	s_cbranch_execz .LBB9_702
.LBB9_2752:
	v_mov_b32_e32 v6, 0
	v_cmp_ne_u16_sdwa s[8:9], v3, v6 src0_sel:BYTE_3 src1_sel:DWORD
	s_andn2_b64 s[4:5], s[4:5], exec
	s_and_b64 s[8:9], s[8:9], exec
	s_or_b64 s[4:5], s[4:5], s[8:9]
	s_or_b64 exec, exec, s[6:7]
	s_and_saveexec_b64 s[6:7], s[4:5]
	s_cbranch_execnz .LBB9_703
	s_branch .LBB9_704
.LBB9_2753:
	s_movk_i32 s4, 0x80
	v_cmp_eq_u16_sdwa s[12:13], v8, s4 src0_sel:BYTE_0 src1_sel:DWORD
	s_mov_b64 s[4:5], -1
                                        ; implicit-def: $sgpr10
	s_and_saveexec_b64 s[8:9], s[12:13]
; %bb.2754:
	s_mov_b32 s10, 0x7f800001
	s_xor_b64 s[4:5], exec, -1
; %bb.2755:
	s_or_b64 exec, exec, s[8:9]
	s_and_b64 s[4:5], s[4:5], exec
	s_or_saveexec_b64 s[6:7], s[6:7]
	v_mov_b32_e32 v2, s10
	s_xor_b64 exec, exec, s[6:7]
	s_cbranch_execz .LBB9_706
.LBB9_2756:
	v_mov_b32_e32 v2, 0
	v_cmp_ne_u16_sdwa s[8:9], v8, v2 src0_sel:BYTE_0 src1_sel:DWORD
	s_andn2_b64 s[4:5], s[4:5], exec
	s_and_b64 s[8:9], s[8:9], exec
	s_or_b64 s[4:5], s[4:5], s[8:9]
	s_or_b64 exec, exec, s[6:7]
	s_and_saveexec_b64 s[6:7], s[4:5]
	s_cbranch_execnz .LBB9_707
	s_branch .LBB9_708
.LBB9_2757:
	s_movk_i32 s4, 0x80
	v_cmp_eq_u16_sdwa s[12:13], v4, s4 src0_sel:BYTE_0 src1_sel:DWORD
	s_mov_b64 s[4:5], -1
                                        ; implicit-def: $sgpr10
	s_and_saveexec_b64 s[8:9], s[12:13]
; %bb.2758:
	s_mov_b32 s10, 0x7f800001
	s_xor_b64 s[4:5], exec, -1
; %bb.2759:
	s_or_b64 exec, exec, s[8:9]
	s_and_b64 s[4:5], s[4:5], exec
	s_or_saveexec_b64 s[6:7], s[6:7]
	v_mov_b32_e32 v3, s10
	s_xor_b64 exec, exec, s[6:7]
	s_cbranch_execz .LBB9_710
.LBB9_2760:
	v_mov_b32_e32 v3, 0
	v_cmp_ne_u16_sdwa s[8:9], v4, v3 src0_sel:BYTE_0 src1_sel:DWORD
	s_andn2_b64 s[4:5], s[4:5], exec
	s_and_b64 s[8:9], s[8:9], exec
	s_or_b64 s[4:5], s[4:5], s[8:9]
	s_or_b64 exec, exec, s[6:7]
	s_and_saveexec_b64 s[6:7], s[4:5]
	s_cbranch_execnz .LBB9_711
	s_branch .LBB9_712
.LBB9_2761:
	s_movk_i32 s4, 0x80
	v_cmp_eq_u16_sdwa s[12:13], v3, s4 src0_sel:BYTE_0 src1_sel:DWORD
	s_mov_b64 s[4:5], -1
                                        ; implicit-def: $sgpr10
	s_and_saveexec_b64 s[8:9], s[12:13]
; %bb.2762:
	s_mov_b32 s10, 0x7f800001
	s_xor_b64 s[4:5], exec, -1
; %bb.2763:
	s_or_b64 exec, exec, s[8:9]
	s_and_b64 s[4:5], s[4:5], exec
	s_or_saveexec_b64 s[6:7], s[6:7]
	v_mov_b32_e32 v2, s10
	s_xor_b64 exec, exec, s[6:7]
	s_cbranch_execz .LBB9_714
.LBB9_2764:
	v_mov_b32_e32 v2, 0
	v_cmp_ne_u16_sdwa s[8:9], v3, v2 src0_sel:BYTE_0 src1_sel:DWORD
	s_andn2_b64 s[4:5], s[4:5], exec
	s_and_b64 s[8:9], s[8:9], exec
	s_or_b64 s[4:5], s[4:5], s[8:9]
	s_or_b64 exec, exec, s[6:7]
	s_and_saveexec_b64 s[6:7], s[4:5]
	s_cbranch_execnz .LBB9_715
	s_branch .LBB9_716
.LBB9_2765:
	s_movk_i32 s4, 0x80
	v_cmp_eq_u16_sdwa s[12:13], v3, s4 src0_sel:BYTE_0 src1_sel:DWORD
	s_mov_b64 s[4:5], -1
                                        ; implicit-def: $sgpr10
	s_and_saveexec_b64 s[8:9], s[12:13]
; %bb.2766:
	s_mov_b32 s10, 0x7f800001
	s_xor_b64 s[4:5], exec, -1
; %bb.2767:
	s_or_b64 exec, exec, s[8:9]
	s_and_b64 s[4:5], s[4:5], exec
	s_or_saveexec_b64 s[6:7], s[6:7]
	v_mov_b32_e32 v6, s10
	s_xor_b64 exec, exec, s[6:7]
	s_cbranch_execz .LBB9_718
.LBB9_2768:
	v_mov_b32_e32 v6, 0
	v_cmp_ne_u16_sdwa s[8:9], v3, v6 src0_sel:BYTE_0 src1_sel:DWORD
	s_andn2_b64 s[4:5], s[4:5], exec
	s_and_b64 s[8:9], s[8:9], exec
	s_or_b64 s[4:5], s[4:5], s[8:9]
	s_or_b64 exec, exec, s[6:7]
	s_and_saveexec_b64 s[6:7], s[4:5]
	s_cbranch_execnz .LBB9_719
	s_branch .LBB9_720
.LBB9_2769:
	s_movk_i32 s4, 0x80
	v_cmp_eq_u16_e32 vcc, s4, v3
	s_mov_b64 s[4:5], -1
                                        ; implicit-def: $sgpr10
	s_and_saveexec_b64 s[8:9], vcc
; %bb.2770:
	s_mov_b32 s10, 0x7f800001
	s_xor_b64 s[4:5], exec, -1
; %bb.2771:
	s_or_b64 exec, exec, s[8:9]
	s_and_b64 s[4:5], s[4:5], exec
                                        ; implicit-def: $vgpr3
	s_or_saveexec_b64 s[6:7], s[6:7]
	v_mov_b32_e32 v2, s10
	s_xor_b64 exec, exec, s[6:7]
	s_cbranch_execz .LBB9_722
.LBB9_2772:
	v_cmp_ne_u16_e32 vcc, 0, v3
	s_andn2_b64 s[4:5], s[4:5], exec
	s_and_b64 s[8:9], vcc, exec
	v_mov_b32_e32 v2, 0
	s_or_b64 s[4:5], s[4:5], s[8:9]
	s_or_b64 exec, exec, s[6:7]
	s_and_saveexec_b64 s[6:7], s[4:5]
	s_cbranch_execnz .LBB9_723
	s_branch .LBB9_724
.LBB9_2773:
	s_movk_i32 s4, 0x80
	v_cmp_eq_u16_e32 vcc, s4, v3
	s_mov_b64 s[4:5], -1
                                        ; implicit-def: $sgpr10
	s_and_saveexec_b64 s[8:9], vcc
; %bb.2774:
	s_mov_b32 s10, 0x7f800001
	s_xor_b64 s[4:5], exec, -1
; %bb.2775:
	s_or_b64 exec, exec, s[8:9]
	s_and_b64 s[4:5], s[4:5], exec
                                        ; implicit-def: $vgpr3
	s_or_saveexec_b64 s[6:7], s[6:7]
	v_mov_b32_e32 v6, s10
	s_xor_b64 exec, exec, s[6:7]
	s_cbranch_execz .LBB9_726
.LBB9_2776:
	v_cmp_ne_u16_e32 vcc, 0, v3
	s_andn2_b64 s[4:5], s[4:5], exec
	s_and_b64 s[8:9], vcc, exec
	v_mov_b32_e32 v6, 0
	s_or_b64 s[4:5], s[4:5], s[8:9]
	s_or_b64 exec, exec, s[6:7]
	s_and_saveexec_b64 s[6:7], s[4:5]
	s_cbranch_execnz .LBB9_727
	s_branch .LBB9_728
.LBB9_2777:
	s_movk_i32 s4, 0x80
	v_cmp_eq_u16_sdwa s[12:13], v8, s4 src0_sel:BYTE_3 src1_sel:DWORD
	s_mov_b64 s[4:5], -1
                                        ; implicit-def: $sgpr10
	s_and_saveexec_b64 s[8:9], s[12:13]
; %bb.2778:
	s_mov_b32 s10, 0x7f800001
	s_xor_b64 s[4:5], exec, -1
; %bb.2779:
	s_or_b64 exec, exec, s[8:9]
	s_and_b64 s[4:5], s[4:5], exec
	s_or_saveexec_b64 s[6:7], s[6:7]
	v_mov_b32_e32 v2, s10
	s_xor_b64 exec, exec, s[6:7]
	s_cbranch_execz .LBB9_730
.LBB9_2780:
	v_mov_b32_e32 v2, 0
	v_cmp_ne_u16_sdwa s[8:9], v8, v2 src0_sel:BYTE_3 src1_sel:DWORD
	s_andn2_b64 s[4:5], s[4:5], exec
	s_and_b64 s[8:9], s[8:9], exec
	s_or_b64 s[4:5], s[4:5], s[8:9]
	s_or_b64 exec, exec, s[6:7]
	s_and_saveexec_b64 s[6:7], s[4:5]
	s_cbranch_execnz .LBB9_731
	s_branch .LBB9_732
.LBB9_2781:
	s_movk_i32 s4, 0x80
	v_cmp_eq_u16_sdwa s[12:13], v4, s4 src0_sel:BYTE_3 src1_sel:DWORD
	s_mov_b64 s[4:5], -1
                                        ; implicit-def: $sgpr10
	s_and_saveexec_b64 s[8:9], s[12:13]
; %bb.2782:
	s_mov_b32 s10, 0x7f800001
	s_xor_b64 s[4:5], exec, -1
; %bb.2783:
	s_or_b64 exec, exec, s[8:9]
	s_and_b64 s[4:5], s[4:5], exec
	s_or_saveexec_b64 s[6:7], s[6:7]
	v_mov_b32_e32 v3, s10
	s_xor_b64 exec, exec, s[6:7]
	s_cbranch_execz .LBB9_734
.LBB9_2784:
	v_mov_b32_e32 v3, 0
	v_cmp_ne_u16_sdwa s[8:9], v4, v3 src0_sel:BYTE_3 src1_sel:DWORD
	s_andn2_b64 s[4:5], s[4:5], exec
	s_and_b64 s[8:9], s[8:9], exec
	s_or_b64 s[4:5], s[4:5], s[8:9]
	s_or_b64 exec, exec, s[6:7]
	s_and_saveexec_b64 s[6:7], s[4:5]
	s_cbranch_execnz .LBB9_735
	s_branch .LBB9_736
.LBB9_2785:
	s_movk_i32 s4, 0x80
	v_cmp_eq_u16_sdwa s[12:13], v9, s4 src0_sel:BYTE_0 src1_sel:DWORD
	s_mov_b64 s[4:5], -1
                                        ; implicit-def: $sgpr10
	s_and_saveexec_b64 s[8:9], s[12:13]
; %bb.2786:
	s_mov_b32 s10, 0x7f800001
	s_xor_b64 s[4:5], exec, -1
; %bb.2787:
	s_or_b64 exec, exec, s[8:9]
	s_and_b64 s[4:5], s[4:5], exec
	s_or_saveexec_b64 s[6:7], s[6:7]
	v_mov_b32_e32 v2, s10
	s_xor_b64 exec, exec, s[6:7]
	s_cbranch_execz .LBB9_738
.LBB9_2788:
	v_mov_b32_e32 v2, 0
	v_cmp_ne_u16_sdwa s[8:9], v9, v2 src0_sel:BYTE_0 src1_sel:DWORD
	s_andn2_b64 s[4:5], s[4:5], exec
	s_and_b64 s[8:9], s[8:9], exec
	s_or_b64 s[4:5], s[4:5], s[8:9]
	s_or_b64 exec, exec, s[6:7]
	s_and_saveexec_b64 s[6:7], s[4:5]
	s_cbranch_execnz .LBB9_739
	s_branch .LBB9_740
.LBB9_2789:
	s_movk_i32 s4, 0x80
	v_cmp_eq_u16_sdwa s[12:13], v5, s4 src0_sel:BYTE_0 src1_sel:DWORD
	s_mov_b64 s[4:5], -1
                                        ; implicit-def: $sgpr10
	s_and_saveexec_b64 s[8:9], s[12:13]
; %bb.2790:
	s_mov_b32 s10, 0x7f800001
	s_xor_b64 s[4:5], exec, -1
; %bb.2791:
	s_or_b64 exec, exec, s[8:9]
	s_and_b64 s[4:5], s[4:5], exec
	s_or_saveexec_b64 s[6:7], s[6:7]
	v_mov_b32_e32 v3, s10
	s_xor_b64 exec, exec, s[6:7]
	s_cbranch_execz .LBB9_742
.LBB9_2792:
	v_mov_b32_e32 v3, 0
	v_cmp_ne_u16_sdwa s[8:9], v5, v3 src0_sel:BYTE_0 src1_sel:DWORD
	s_andn2_b64 s[4:5], s[4:5], exec
	s_and_b64 s[8:9], s[8:9], exec
	s_or_b64 s[4:5], s[4:5], s[8:9]
	s_or_b64 exec, exec, s[6:7]
	s_and_saveexec_b64 s[6:7], s[4:5]
	s_cbranch_execnz .LBB9_743
	s_branch .LBB9_744
.LBB9_2793:
	s_movk_i32 s4, 0x80
	v_cmp_eq_u16_sdwa s[12:13], v3, s4 src0_sel:BYTE_0 src1_sel:DWORD
	s_mov_b64 s[4:5], -1
                                        ; implicit-def: $sgpr10
	s_and_saveexec_b64 s[8:9], s[12:13]
; %bb.2794:
	s_mov_b32 s10, 0x7f800001
	s_xor_b64 s[4:5], exec, -1
; %bb.2795:
	s_or_b64 exec, exec, s[8:9]
	s_and_b64 s[4:5], s[4:5], exec
	s_or_saveexec_b64 s[6:7], s[6:7]
	v_mov_b32_e32 v2, s10
	s_xor_b64 exec, exec, s[6:7]
	s_cbranch_execz .LBB9_746
.LBB9_2796:
	v_mov_b32_e32 v2, 0
	v_cmp_ne_u16_sdwa s[8:9], v3, v2 src0_sel:BYTE_0 src1_sel:DWORD
	s_andn2_b64 s[4:5], s[4:5], exec
	s_and_b64 s[8:9], s[8:9], exec
	s_or_b64 s[4:5], s[4:5], s[8:9]
	s_or_b64 exec, exec, s[6:7]
	s_and_saveexec_b64 s[6:7], s[4:5]
	s_cbranch_execnz .LBB9_747
	s_branch .LBB9_748
.LBB9_2797:
	s_movk_i32 s4, 0x80
	v_cmp_eq_u16_sdwa s[12:13], v3, s4 src0_sel:BYTE_0 src1_sel:DWORD
	s_mov_b64 s[4:5], -1
                                        ; implicit-def: $sgpr10
	s_and_saveexec_b64 s[8:9], s[12:13]
; %bb.2798:
	s_mov_b32 s10, 0x7f800001
	s_xor_b64 s[4:5], exec, -1
; %bb.2799:
	s_or_b64 exec, exec, s[8:9]
	s_and_b64 s[4:5], s[4:5], exec
	s_or_saveexec_b64 s[6:7], s[6:7]
	v_mov_b32_e32 v4, s10
	s_xor_b64 exec, exec, s[6:7]
	s_cbranch_execz .LBB9_750
.LBB9_2800:
	v_mov_b32_e32 v4, 0
	v_cmp_ne_u16_sdwa s[8:9], v3, v4 src0_sel:BYTE_0 src1_sel:DWORD
	s_andn2_b64 s[4:5], s[4:5], exec
	s_and_b64 s[8:9], s[8:9], exec
	s_or_b64 s[4:5], s[4:5], s[8:9]
	s_or_b64 exec, exec, s[6:7]
	s_and_saveexec_b64 s[6:7], s[4:5]
	s_cbranch_execnz .LBB9_751
	s_branch .LBB9_752
.LBB9_2801:
	s_movk_i32 s4, 0x80
	v_cmp_eq_u16_e32 vcc, s4, v3
	s_mov_b64 s[4:5], -1
                                        ; implicit-def: $sgpr10
	s_and_saveexec_b64 s[8:9], vcc
; %bb.2802:
	s_mov_b32 s10, 0x7f800001
	s_xor_b64 s[4:5], exec, -1
; %bb.2803:
	s_or_b64 exec, exec, s[8:9]
	s_and_b64 s[4:5], s[4:5], exec
                                        ; implicit-def: $vgpr3
	s_or_saveexec_b64 s[6:7], s[6:7]
	v_mov_b32_e32 v2, s10
	s_xor_b64 exec, exec, s[6:7]
	s_cbranch_execz .LBB9_754
.LBB9_2804:
	v_cmp_ne_u16_e32 vcc, 0, v3
	s_andn2_b64 s[4:5], s[4:5], exec
	s_and_b64 s[8:9], vcc, exec
	v_mov_b32_e32 v2, 0
	s_or_b64 s[4:5], s[4:5], s[8:9]
	s_or_b64 exec, exec, s[6:7]
	s_and_saveexec_b64 s[6:7], s[4:5]
	s_cbranch_execnz .LBB9_755
	s_branch .LBB9_756
.LBB9_2805:
	s_movk_i32 s4, 0x80
	v_cmp_eq_u16_e32 vcc, s4, v3
	s_mov_b64 s[4:5], -1
                                        ; implicit-def: $sgpr10
	s_and_saveexec_b64 s[8:9], vcc
; %bb.2806:
	s_mov_b32 s10, 0x7f800001
	s_xor_b64 s[4:5], exec, -1
; %bb.2807:
	s_or_b64 exec, exec, s[8:9]
	s_and_b64 s[4:5], s[4:5], exec
                                        ; implicit-def: $vgpr3
	s_or_saveexec_b64 s[6:7], s[6:7]
	v_mov_b32_e32 v4, s10
	s_xor_b64 exec, exec, s[6:7]
	s_cbranch_execz .LBB9_758
.LBB9_2808:
	v_cmp_ne_u16_e32 vcc, 0, v3
	s_andn2_b64 s[4:5], s[4:5], exec
	s_and_b64 s[8:9], vcc, exec
	v_mov_b32_e32 v4, 0
	s_or_b64 s[4:5], s[4:5], s[8:9]
	s_or_b64 exec, exec, s[6:7]
	s_and_saveexec_b64 s[6:7], s[4:5]
	s_cbranch_execnz .LBB9_759
	s_branch .LBB9_760
.LBB9_2809:
	s_movk_i32 s4, 0x80
	v_cmp_eq_u16_sdwa s[12:13], v9, s4 src0_sel:BYTE_3 src1_sel:DWORD
	s_mov_b64 s[4:5], -1
                                        ; implicit-def: $sgpr10
	s_and_saveexec_b64 s[8:9], s[12:13]
; %bb.2810:
	s_mov_b32 s10, 0x7f800001
	s_xor_b64 s[4:5], exec, -1
; %bb.2811:
	s_or_b64 exec, exec, s[8:9]
	s_and_b64 s[4:5], s[4:5], exec
	s_or_saveexec_b64 s[6:7], s[6:7]
	v_mov_b32_e32 v2, s10
	s_xor_b64 exec, exec, s[6:7]
	s_cbranch_execz .LBB9_762
.LBB9_2812:
	v_mov_b32_e32 v2, 0
	v_cmp_ne_u16_sdwa s[8:9], v9, v2 src0_sel:BYTE_3 src1_sel:DWORD
	s_andn2_b64 s[4:5], s[4:5], exec
	s_and_b64 s[8:9], s[8:9], exec
	s_or_b64 s[4:5], s[4:5], s[8:9]
	s_or_b64 exec, exec, s[6:7]
	s_and_saveexec_b64 s[6:7], s[4:5]
	s_cbranch_execnz .LBB9_763
	s_branch .LBB9_764
.LBB9_2813:
	s_movk_i32 s4, 0x80
	v_cmp_eq_u16_sdwa s[12:13], v5, s4 src0_sel:BYTE_3 src1_sel:DWORD
	s_mov_b64 s[4:5], -1
                                        ; implicit-def: $sgpr10
	s_and_saveexec_b64 s[8:9], s[12:13]
; %bb.2814:
	s_mov_b32 s10, 0x7f800001
	s_xor_b64 s[4:5], exec, -1
; %bb.2815:
	s_or_b64 exec, exec, s[8:9]
	s_and_b64 s[4:5], s[4:5], exec
	s_or_saveexec_b64 s[6:7], s[6:7]
	v_mov_b32_e32 v3, s10
	s_xor_b64 exec, exec, s[6:7]
	s_cbranch_execz .LBB9_766
.LBB9_2816:
	v_mov_b32_e32 v3, 0
	v_cmp_ne_u16_sdwa s[8:9], v5, v3 src0_sel:BYTE_3 src1_sel:DWORD
	s_andn2_b64 s[4:5], s[4:5], exec
	s_and_b64 s[8:9], s[8:9], exec
	s_or_b64 s[4:5], s[4:5], s[8:9]
	s_or_b64 exec, exec, s[6:7]
	s_and_saveexec_b64 s[6:7], s[4:5]
	s_cbranch_execnz .LBB9_767
	s_branch .LBB9_768
.LBB9_2817:
	s_movk_i32 s4, 0x80
	v_cmp_eq_u16_sdwa s[12:13], v14, s4 src0_sel:BYTE_0 src1_sel:DWORD
	s_mov_b64 s[4:5], -1
                                        ; implicit-def: $sgpr10
	s_and_saveexec_b64 s[8:9], s[12:13]
; %bb.2818:
	s_mov_b32 s10, 0x7f800001
	s_xor_b64 s[4:5], exec, -1
; %bb.2819:
	s_or_b64 exec, exec, s[8:9]
	s_and_b64 s[4:5], s[4:5], exec
	s_or_saveexec_b64 s[6:7], s[6:7]
	v_mov_b32_e32 v20, s10
	s_xor_b64 exec, exec, s[6:7]
	s_cbranch_execz .LBB9_770
.LBB9_2820:
	v_mov_b32_e32 v20, 0
	v_cmp_ne_u16_sdwa s[8:9], v14, v20 src0_sel:BYTE_0 src1_sel:DWORD
	s_andn2_b64 s[4:5], s[4:5], exec
	s_and_b64 s[8:9], s[8:9], exec
	s_or_b64 s[4:5], s[4:5], s[8:9]
	s_or_b64 exec, exec, s[6:7]
	s_and_saveexec_b64 s[6:7], s[4:5]
	s_cbranch_execnz .LBB9_771
	s_branch .LBB9_772
.LBB9_2821:
	s_movk_i32 s4, 0x80
	v_cmp_eq_u16_sdwa s[12:13], v10, s4 src0_sel:BYTE_0 src1_sel:DWORD
	s_mov_b64 s[4:5], -1
                                        ; implicit-def: $sgpr10
	s_and_saveexec_b64 s[8:9], s[12:13]
; %bb.2822:
	s_mov_b32 s10, 0x7f800001
	s_xor_b64 s[4:5], exec, -1
; %bb.2823:
	s_or_b64 exec, exec, s[8:9]
	s_and_b64 s[4:5], s[4:5], exec
	s_or_saveexec_b64 s[6:7], s[6:7]
	v_mov_b32_e32 v21, s10
	s_xor_b64 exec, exec, s[6:7]
	s_cbranch_execz .LBB9_774
.LBB9_2824:
	v_mov_b32_e32 v21, 0
	v_cmp_ne_u16_sdwa s[8:9], v10, v21 src0_sel:BYTE_0 src1_sel:DWORD
	s_andn2_b64 s[4:5], s[4:5], exec
	s_and_b64 s[8:9], s[8:9], exec
	s_or_b64 s[4:5], s[4:5], s[8:9]
	s_or_b64 exec, exec, s[6:7]
	s_and_saveexec_b64 s[6:7], s[4:5]
	s_cbranch_execnz .LBB9_775
	s_branch .LBB9_776
.LBB9_2825:
	s_movk_i32 s4, 0x80
	v_cmp_eq_u16_sdwa s[12:13], v21, s4 src0_sel:BYTE_0 src1_sel:DWORD
	s_mov_b64 s[4:5], -1
                                        ; implicit-def: $sgpr10
	s_and_saveexec_b64 s[8:9], s[12:13]
; %bb.2826:
	s_mov_b32 s10, 0x7f800001
	s_xor_b64 s[4:5], exec, -1
; %bb.2827:
	s_or_b64 exec, exec, s[8:9]
	s_and_b64 s[4:5], s[4:5], exec
	s_or_saveexec_b64 s[6:7], s[6:7]
	v_mov_b32_e32 v20, s10
	s_xor_b64 exec, exec, s[6:7]
	s_cbranch_execz .LBB9_778
.LBB9_2828:
	v_mov_b32_e32 v20, 0
	v_cmp_ne_u16_sdwa s[8:9], v21, v20 src0_sel:BYTE_0 src1_sel:DWORD
	s_andn2_b64 s[4:5], s[4:5], exec
	s_and_b64 s[8:9], s[8:9], exec
	s_or_b64 s[4:5], s[4:5], s[8:9]
	s_or_b64 exec, exec, s[6:7]
	s_and_saveexec_b64 s[6:7], s[4:5]
	s_cbranch_execnz .LBB9_779
	s_branch .LBB9_780
.LBB9_2829:
	s_movk_i32 s4, 0x80
	v_cmp_eq_u16_sdwa s[12:13], v21, s4 src0_sel:BYTE_0 src1_sel:DWORD
	s_mov_b64 s[4:5], -1
                                        ; implicit-def: $sgpr10
	s_and_saveexec_b64 s[8:9], s[12:13]
; %bb.2830:
	s_mov_b32 s10, 0x7f800001
	s_xor_b64 s[4:5], exec, -1
; %bb.2831:
	s_or_b64 exec, exec, s[8:9]
	s_and_b64 s[4:5], s[4:5], exec
	s_or_saveexec_b64 s[6:7], s[6:7]
	v_mov_b32_e32 v22, s10
	s_xor_b64 exec, exec, s[6:7]
	s_cbranch_execz .LBB9_782
.LBB9_2832:
	v_mov_b32_e32 v22, 0
	v_cmp_ne_u16_sdwa s[8:9], v21, v22 src0_sel:BYTE_0 src1_sel:DWORD
	s_andn2_b64 s[4:5], s[4:5], exec
	s_and_b64 s[8:9], s[8:9], exec
	s_or_b64 s[4:5], s[4:5], s[8:9]
	s_or_b64 exec, exec, s[6:7]
	s_and_saveexec_b64 s[6:7], s[4:5]
	s_cbranch_execnz .LBB9_783
	s_branch .LBB9_784
.LBB9_2833:
	s_movk_i32 s4, 0x80
	v_cmp_eq_u16_e32 vcc, s4, v21
	s_mov_b64 s[4:5], -1
                                        ; implicit-def: $sgpr10
	s_and_saveexec_b64 s[8:9], vcc
; %bb.2834:
	s_mov_b32 s10, 0x7f800001
	s_xor_b64 s[4:5], exec, -1
; %bb.2835:
	s_or_b64 exec, exec, s[8:9]
	s_and_b64 s[4:5], s[4:5], exec
                                        ; implicit-def: $vgpr21
	s_or_saveexec_b64 s[6:7], s[6:7]
	v_mov_b32_e32 v20, s10
	s_xor_b64 exec, exec, s[6:7]
	s_cbranch_execz .LBB9_786
.LBB9_2836:
	v_cmp_ne_u16_e32 vcc, 0, v21
	s_andn2_b64 s[4:5], s[4:5], exec
	s_and_b64 s[8:9], vcc, exec
	v_mov_b32_e32 v20, 0
	s_or_b64 s[4:5], s[4:5], s[8:9]
	s_or_b64 exec, exec, s[6:7]
	s_and_saveexec_b64 s[6:7], s[4:5]
	s_cbranch_execnz .LBB9_787
	s_branch .LBB9_788
.LBB9_2837:
	s_movk_i32 s4, 0x80
	v_cmp_eq_u16_e32 vcc, s4, v21
	s_mov_b64 s[4:5], -1
                                        ; implicit-def: $sgpr10
	s_and_saveexec_b64 s[8:9], vcc
; %bb.2838:
	s_mov_b32 s10, 0x7f800001
	s_xor_b64 s[4:5], exec, -1
; %bb.2839:
	s_or_b64 exec, exec, s[8:9]
	s_and_b64 s[4:5], s[4:5], exec
                                        ; implicit-def: $vgpr21
	s_or_saveexec_b64 s[6:7], s[6:7]
	v_mov_b32_e32 v22, s10
	s_xor_b64 exec, exec, s[6:7]
	s_cbranch_execz .LBB9_790
.LBB9_2840:
	v_cmp_ne_u16_e32 vcc, 0, v21
	s_andn2_b64 s[4:5], s[4:5], exec
	s_and_b64 s[8:9], vcc, exec
	v_mov_b32_e32 v22, 0
	s_or_b64 s[4:5], s[4:5], s[8:9]
	s_or_b64 exec, exec, s[6:7]
	s_and_saveexec_b64 s[6:7], s[4:5]
	s_cbranch_execnz .LBB9_791
	s_branch .LBB9_792
.LBB9_2841:
	s_movk_i32 s4, 0x80
	v_cmp_eq_u16_sdwa s[12:13], v14, s4 src0_sel:BYTE_3 src1_sel:DWORD
	s_mov_b64 s[4:5], -1
                                        ; implicit-def: $sgpr10
	s_and_saveexec_b64 s[8:9], s[12:13]
; %bb.2842:
	s_mov_b32 s10, 0x7f800001
	s_xor_b64 s[4:5], exec, -1
; %bb.2843:
	s_or_b64 exec, exec, s[8:9]
	s_and_b64 s[4:5], s[4:5], exec
	s_or_saveexec_b64 s[6:7], s[6:7]
	v_mov_b32_e32 v20, s10
	s_xor_b64 exec, exec, s[6:7]
	s_cbranch_execz .LBB9_794
.LBB9_2844:
	v_mov_b32_e32 v20, 0
	v_cmp_ne_u16_sdwa s[8:9], v14, v20 src0_sel:BYTE_3 src1_sel:DWORD
	s_andn2_b64 s[4:5], s[4:5], exec
	s_and_b64 s[8:9], s[8:9], exec
	s_or_b64 s[4:5], s[4:5], s[8:9]
	s_or_b64 exec, exec, s[6:7]
	s_and_saveexec_b64 s[6:7], s[4:5]
	s_cbranch_execnz .LBB9_795
	s_branch .LBB9_796
.LBB9_2845:
	s_movk_i32 s4, 0x80
	v_cmp_eq_u16_sdwa s[12:13], v10, s4 src0_sel:BYTE_3 src1_sel:DWORD
	s_mov_b64 s[4:5], -1
                                        ; implicit-def: $sgpr10
	s_and_saveexec_b64 s[8:9], s[12:13]
; %bb.2846:
	s_mov_b32 s10, 0x7f800001
	s_xor_b64 s[4:5], exec, -1
; %bb.2847:
	s_or_b64 exec, exec, s[8:9]
	s_and_b64 s[4:5], s[4:5], exec
	s_or_saveexec_b64 s[6:7], s[6:7]
	v_mov_b32_e32 v14, s10
	s_xor_b64 exec, exec, s[6:7]
	s_cbranch_execz .LBB9_798
.LBB9_2848:
	v_mov_b32_e32 v14, 0
	v_cmp_ne_u16_sdwa s[8:9], v10, v14 src0_sel:BYTE_3 src1_sel:DWORD
	s_andn2_b64 s[4:5], s[4:5], exec
	s_and_b64 s[8:9], s[8:9], exec
	s_or_b64 s[4:5], s[4:5], s[8:9]
	s_or_b64 exec, exec, s[6:7]
	s_and_saveexec_b64 s[6:7], s[4:5]
	s_cbranch_execnz .LBB9_799
	s_branch .LBB9_800
.LBB9_2849:
	s_movk_i32 s4, 0x80
	v_cmp_eq_u16_sdwa s[12:13], v15, s4 src0_sel:BYTE_0 src1_sel:DWORD
	s_mov_b64 s[4:5], -1
                                        ; implicit-def: $sgpr10
	s_and_saveexec_b64 s[8:9], s[12:13]
; %bb.2850:
	s_mov_b32 s10, 0x7f800001
	s_xor_b64 s[4:5], exec, -1
; %bb.2851:
	s_or_b64 exec, exec, s[8:9]
	s_and_b64 s[4:5], s[4:5], exec
	s_or_saveexec_b64 s[6:7], s[6:7]
	v_mov_b32_e32 v10, s10
	s_xor_b64 exec, exec, s[6:7]
	s_cbranch_execz .LBB9_802
.LBB9_2852:
	v_mov_b32_e32 v10, 0
	v_cmp_ne_u16_sdwa s[8:9], v15, v10 src0_sel:BYTE_0 src1_sel:DWORD
	s_andn2_b64 s[4:5], s[4:5], exec
	s_and_b64 s[8:9], s[8:9], exec
	s_or_b64 s[4:5], s[4:5], s[8:9]
	s_or_b64 exec, exec, s[6:7]
	s_and_saveexec_b64 s[6:7], s[4:5]
	s_cbranch_execnz .LBB9_803
	s_branch .LBB9_804
.LBB9_2853:
	s_movk_i32 s4, 0x80
	v_cmp_eq_u16_sdwa s[12:13], v11, s4 src0_sel:BYTE_0 src1_sel:DWORD
	s_mov_b64 s[4:5], -1
                                        ; implicit-def: $sgpr10
	s_and_saveexec_b64 s[8:9], s[12:13]
; %bb.2854:
	s_mov_b32 s10, 0x7f800001
	s_xor_b64 s[4:5], exec, -1
; %bb.2855:
	s_or_b64 exec, exec, s[8:9]
	s_and_b64 s[4:5], s[4:5], exec
	s_or_saveexec_b64 s[6:7], s[6:7]
	v_mov_b32_e32 v14, s10
	s_xor_b64 exec, exec, s[6:7]
	s_cbranch_execz .LBB9_806
.LBB9_2856:
	v_mov_b32_e32 v14, 0
	v_cmp_ne_u16_sdwa s[8:9], v11, v14 src0_sel:BYTE_0 src1_sel:DWORD
	s_andn2_b64 s[4:5], s[4:5], exec
	s_and_b64 s[8:9], s[8:9], exec
	s_or_b64 s[4:5], s[4:5], s[8:9]
	s_or_b64 exec, exec, s[6:7]
	s_and_saveexec_b64 s[6:7], s[4:5]
	s_cbranch_execnz .LBB9_807
	s_branch .LBB9_808
.LBB9_2857:
	s_movk_i32 s4, 0x80
	v_cmp_eq_u16_sdwa s[12:13], v14, s4 src0_sel:BYTE_0 src1_sel:DWORD
	s_mov_b64 s[4:5], -1
                                        ; implicit-def: $sgpr10
	s_and_saveexec_b64 s[8:9], s[12:13]
; %bb.2858:
	s_mov_b32 s10, 0x7f800001
	s_xor_b64 s[4:5], exec, -1
; %bb.2859:
	s_or_b64 exec, exec, s[8:9]
	s_and_b64 s[4:5], s[4:5], exec
	s_or_saveexec_b64 s[6:7], s[6:7]
	v_mov_b32_e32 v10, s10
	s_xor_b64 exec, exec, s[6:7]
	s_cbranch_execz .LBB9_810
.LBB9_2860:
	v_mov_b32_e32 v10, 0
	v_cmp_ne_u16_sdwa s[8:9], v14, v10 src0_sel:BYTE_0 src1_sel:DWORD
	s_andn2_b64 s[4:5], s[4:5], exec
	s_and_b64 s[8:9], s[8:9], exec
	s_or_b64 s[4:5], s[4:5], s[8:9]
	s_or_b64 exec, exec, s[6:7]
	s_and_saveexec_b64 s[6:7], s[4:5]
	s_cbranch_execnz .LBB9_811
	s_branch .LBB9_812
.LBB9_2861:
	s_movk_i32 s4, 0x80
	v_cmp_eq_u16_sdwa s[12:13], v14, s4 src0_sel:BYTE_0 src1_sel:DWORD
	s_mov_b64 s[4:5], -1
                                        ; implicit-def: $sgpr10
	s_and_saveexec_b64 s[8:9], s[12:13]
; %bb.2862:
	s_mov_b32 s10, 0x7f800001
	s_xor_b64 s[4:5], exec, -1
; %bb.2863:
	s_or_b64 exec, exec, s[8:9]
	s_and_b64 s[4:5], s[4:5], exec
	s_or_saveexec_b64 s[6:7], s[6:7]
	v_mov_b32_e32 v20, s10
	s_xor_b64 exec, exec, s[6:7]
	s_cbranch_execz .LBB9_814
.LBB9_2864:
	v_mov_b32_e32 v20, 0
	v_cmp_ne_u16_sdwa s[8:9], v14, v20 src0_sel:BYTE_0 src1_sel:DWORD
	s_andn2_b64 s[4:5], s[4:5], exec
	s_and_b64 s[8:9], s[8:9], exec
	s_or_b64 s[4:5], s[4:5], s[8:9]
	s_or_b64 exec, exec, s[6:7]
	s_and_saveexec_b64 s[6:7], s[4:5]
	s_cbranch_execnz .LBB9_815
	s_branch .LBB9_816
.LBB9_2865:
	s_movk_i32 s4, 0x80
	v_cmp_eq_u16_e32 vcc, s4, v14
	s_mov_b64 s[4:5], -1
                                        ; implicit-def: $sgpr10
	s_and_saveexec_b64 s[8:9], vcc
; %bb.2866:
	s_mov_b32 s10, 0x7f800001
	s_xor_b64 s[4:5], exec, -1
; %bb.2867:
	s_or_b64 exec, exec, s[8:9]
	s_and_b64 s[4:5], s[4:5], exec
                                        ; implicit-def: $vgpr14
	s_or_saveexec_b64 s[6:7], s[6:7]
	v_mov_b32_e32 v10, s10
	s_xor_b64 exec, exec, s[6:7]
	s_cbranch_execz .LBB9_818
.LBB9_2868:
	v_cmp_ne_u16_e32 vcc, 0, v14
	s_andn2_b64 s[4:5], s[4:5], exec
	s_and_b64 s[8:9], vcc, exec
	v_mov_b32_e32 v10, 0
	s_or_b64 s[4:5], s[4:5], s[8:9]
	s_or_b64 exec, exec, s[6:7]
	s_and_saveexec_b64 s[6:7], s[4:5]
	s_cbranch_execnz .LBB9_819
	s_branch .LBB9_820
.LBB9_2869:
	s_movk_i32 s4, 0x80
	v_cmp_eq_u16_e32 vcc, s4, v14
	s_mov_b64 s[4:5], -1
                                        ; implicit-def: $sgpr10
	s_and_saveexec_b64 s[8:9], vcc
; %bb.2870:
	s_mov_b32 s10, 0x7f800001
	s_xor_b64 s[4:5], exec, -1
; %bb.2871:
	s_or_b64 exec, exec, s[8:9]
	s_and_b64 s[4:5], s[4:5], exec
                                        ; implicit-def: $vgpr14
	s_or_saveexec_b64 s[6:7], s[6:7]
	v_mov_b32_e32 v20, s10
	s_xor_b64 exec, exec, s[6:7]
	s_cbranch_execz .LBB9_822
.LBB9_2872:
	v_cmp_ne_u16_e32 vcc, 0, v14
	s_andn2_b64 s[4:5], s[4:5], exec
	s_and_b64 s[8:9], vcc, exec
	v_mov_b32_e32 v20, 0
	s_or_b64 s[4:5], s[4:5], s[8:9]
	s_or_b64 exec, exec, s[6:7]
	s_and_saveexec_b64 s[6:7], s[4:5]
	s_cbranch_execnz .LBB9_823
	s_branch .LBB9_824
.LBB9_2873:
	s_movk_i32 s4, 0x80
	v_cmp_eq_u16_sdwa s[12:13], v15, s4 src0_sel:BYTE_3 src1_sel:DWORD
	s_mov_b64 s[4:5], -1
                                        ; implicit-def: $sgpr10
	s_and_saveexec_b64 s[8:9], s[12:13]
; %bb.2874:
	s_mov_b32 s10, 0x7f800001
	s_xor_b64 s[4:5], exec, -1
; %bb.2875:
	s_or_b64 exec, exec, s[8:9]
	s_and_b64 s[4:5], s[4:5], exec
	s_or_saveexec_b64 s[6:7], s[6:7]
	v_mov_b32_e32 v10, s10
	s_xor_b64 exec, exec, s[6:7]
	s_cbranch_execz .LBB9_826
.LBB9_2876:
	v_mov_b32_e32 v10, 0
	v_cmp_ne_u16_sdwa s[8:9], v15, v10 src0_sel:BYTE_3 src1_sel:DWORD
	s_andn2_b64 s[4:5], s[4:5], exec
	s_and_b64 s[8:9], s[8:9], exec
	s_or_b64 s[4:5], s[4:5], s[8:9]
	s_or_b64 exec, exec, s[6:7]
	s_and_saveexec_b64 s[6:7], s[4:5]
	s_cbranch_execnz .LBB9_827
	s_branch .LBB9_828
.LBB9_2877:
	s_movk_i32 s4, 0x80
	v_cmp_eq_u16_sdwa s[12:13], v11, s4 src0_sel:BYTE_3 src1_sel:DWORD
	s_mov_b64 s[4:5], -1
                                        ; implicit-def: $sgpr10
	s_and_saveexec_b64 s[8:9], s[12:13]
; %bb.2878:
	s_mov_b32 s10, 0x7f800001
	s_xor_b64 s[4:5], exec, -1
; %bb.2879:
	s_or_b64 exec, exec, s[8:9]
	s_and_b64 s[4:5], s[4:5], exec
	s_or_saveexec_b64 s[6:7], s[6:7]
	v_mov_b32_e32 v14, s10
	s_xor_b64 exec, exec, s[6:7]
	s_cbranch_execz .LBB9_830
.LBB9_2880:
	v_mov_b32_e32 v14, 0
	v_cmp_ne_u16_sdwa s[8:9], v11, v14 src0_sel:BYTE_3 src1_sel:DWORD
	s_andn2_b64 s[4:5], s[4:5], exec
	s_and_b64 s[8:9], s[8:9], exec
	s_or_b64 s[4:5], s[4:5], s[8:9]
	s_or_b64 exec, exec, s[6:7]
	s_and_saveexec_b64 s[6:7], s[4:5]
	s_cbranch_execnz .LBB9_831
	s_branch .LBB9_832
.LBB9_2881:
	s_movk_i32 s4, 0x80
	v_cmp_eq_u16_sdwa s[12:13], v16, s4 src0_sel:BYTE_0 src1_sel:DWORD
	s_mov_b64 s[4:5], -1
                                        ; implicit-def: $sgpr10
	s_and_saveexec_b64 s[8:9], s[12:13]
; %bb.2882:
	s_mov_b32 s10, 0x7f800001
	s_xor_b64 s[4:5], exec, -1
; %bb.2883:
	s_or_b64 exec, exec, s[8:9]
	s_and_b64 s[4:5], s[4:5], exec
	s_or_saveexec_b64 s[6:7], s[6:7]
	v_mov_b32_e32 v10, s10
	s_xor_b64 exec, exec, s[6:7]
	s_cbranch_execz .LBB9_834
.LBB9_2884:
	v_mov_b32_e32 v10, 0
	v_cmp_ne_u16_sdwa s[8:9], v16, v10 src0_sel:BYTE_0 src1_sel:DWORD
	s_andn2_b64 s[4:5], s[4:5], exec
	s_and_b64 s[8:9], s[8:9], exec
	s_or_b64 s[4:5], s[4:5], s[8:9]
	s_or_b64 exec, exec, s[6:7]
	s_and_saveexec_b64 s[6:7], s[4:5]
	s_cbranch_execnz .LBB9_835
	s_branch .LBB9_836
.LBB9_2885:
	s_movk_i32 s4, 0x80
	v_cmp_eq_u16_sdwa s[12:13], v12, s4 src0_sel:BYTE_0 src1_sel:DWORD
	s_mov_b64 s[4:5], -1
                                        ; implicit-def: $sgpr10
	s_and_saveexec_b64 s[8:9], s[12:13]
; %bb.2886:
	s_mov_b32 s10, 0x7f800001
	s_xor_b64 s[4:5], exec, -1
; %bb.2887:
	s_or_b64 exec, exec, s[8:9]
	s_and_b64 s[4:5], s[4:5], exec
	s_or_saveexec_b64 s[6:7], s[6:7]
	v_mov_b32_e32 v11, s10
	s_xor_b64 exec, exec, s[6:7]
	s_cbranch_execz .LBB9_838
.LBB9_2888:
	v_mov_b32_e32 v11, 0
	v_cmp_ne_u16_sdwa s[8:9], v12, v11 src0_sel:BYTE_0 src1_sel:DWORD
	s_andn2_b64 s[4:5], s[4:5], exec
	s_and_b64 s[8:9], s[8:9], exec
	s_or_b64 s[4:5], s[4:5], s[8:9]
	s_or_b64 exec, exec, s[6:7]
	s_and_saveexec_b64 s[6:7], s[4:5]
	s_cbranch_execnz .LBB9_839
	s_branch .LBB9_840
.LBB9_2889:
	s_movk_i32 s4, 0x80
	v_cmp_eq_u16_sdwa s[12:13], v11, s4 src0_sel:BYTE_0 src1_sel:DWORD
	s_mov_b64 s[4:5], -1
                                        ; implicit-def: $sgpr10
	s_and_saveexec_b64 s[8:9], s[12:13]
; %bb.2890:
	s_mov_b32 s10, 0x7f800001
	s_xor_b64 s[4:5], exec, -1
; %bb.2891:
	s_or_b64 exec, exec, s[8:9]
	s_and_b64 s[4:5], s[4:5], exec
	s_or_saveexec_b64 s[6:7], s[6:7]
	v_mov_b32_e32 v10, s10
	s_xor_b64 exec, exec, s[6:7]
	s_cbranch_execz .LBB9_842
.LBB9_2892:
	v_mov_b32_e32 v10, 0
	v_cmp_ne_u16_sdwa s[8:9], v11, v10 src0_sel:BYTE_0 src1_sel:DWORD
	s_andn2_b64 s[4:5], s[4:5], exec
	s_and_b64 s[8:9], s[8:9], exec
	s_or_b64 s[4:5], s[4:5], s[8:9]
	s_or_b64 exec, exec, s[6:7]
	s_and_saveexec_b64 s[6:7], s[4:5]
	s_cbranch_execnz .LBB9_843
	s_branch .LBB9_844
.LBB9_2893:
	s_movk_i32 s4, 0x80
	v_cmp_eq_u16_sdwa s[12:13], v11, s4 src0_sel:BYTE_0 src1_sel:DWORD
	s_mov_b64 s[4:5], -1
                                        ; implicit-def: $sgpr10
	s_and_saveexec_b64 s[8:9], s[12:13]
; %bb.2894:
	s_mov_b32 s10, 0x7f800001
	s_xor_b64 s[4:5], exec, -1
; %bb.2895:
	s_or_b64 exec, exec, s[8:9]
	s_and_b64 s[4:5], s[4:5], exec
	s_or_saveexec_b64 s[6:7], s[6:7]
	v_mov_b32_e32 v14, s10
	s_xor_b64 exec, exec, s[6:7]
	s_cbranch_execz .LBB9_846
.LBB9_2896:
	v_mov_b32_e32 v14, 0
	v_cmp_ne_u16_sdwa s[8:9], v11, v14 src0_sel:BYTE_0 src1_sel:DWORD
	s_andn2_b64 s[4:5], s[4:5], exec
	s_and_b64 s[8:9], s[8:9], exec
	s_or_b64 s[4:5], s[4:5], s[8:9]
	s_or_b64 exec, exec, s[6:7]
	s_and_saveexec_b64 s[6:7], s[4:5]
	s_cbranch_execnz .LBB9_847
	s_branch .LBB9_848
.LBB9_2897:
	s_movk_i32 s4, 0x80
	v_cmp_eq_u16_e32 vcc, s4, v11
	s_mov_b64 s[4:5], -1
                                        ; implicit-def: $sgpr10
	s_and_saveexec_b64 s[8:9], vcc
; %bb.2898:
	s_mov_b32 s10, 0x7f800001
	s_xor_b64 s[4:5], exec, -1
; %bb.2899:
	s_or_b64 exec, exec, s[8:9]
	s_and_b64 s[4:5], s[4:5], exec
                                        ; implicit-def: $vgpr11
	s_or_saveexec_b64 s[6:7], s[6:7]
	v_mov_b32_e32 v10, s10
	s_xor_b64 exec, exec, s[6:7]
	s_cbranch_execz .LBB9_850
.LBB9_2900:
	v_cmp_ne_u16_e32 vcc, 0, v11
	s_andn2_b64 s[4:5], s[4:5], exec
	s_and_b64 s[8:9], vcc, exec
	v_mov_b32_e32 v10, 0
	s_or_b64 s[4:5], s[4:5], s[8:9]
	s_or_b64 exec, exec, s[6:7]
	s_and_saveexec_b64 s[6:7], s[4:5]
	s_cbranch_execnz .LBB9_851
	s_branch .LBB9_852
.LBB9_2901:
	s_movk_i32 s4, 0x80
	v_cmp_eq_u16_e32 vcc, s4, v11
	s_mov_b64 s[4:5], -1
                                        ; implicit-def: $sgpr10
	s_and_saveexec_b64 s[8:9], vcc
; %bb.2902:
	s_mov_b32 s10, 0x7f800001
	s_xor_b64 s[4:5], exec, -1
; %bb.2903:
	s_or_b64 exec, exec, s[8:9]
	s_and_b64 s[4:5], s[4:5], exec
                                        ; implicit-def: $vgpr11
	s_or_saveexec_b64 s[6:7], s[6:7]
	v_mov_b32_e32 v14, s10
	s_xor_b64 exec, exec, s[6:7]
	s_cbranch_execz .LBB9_854
.LBB9_2904:
	v_cmp_ne_u16_e32 vcc, 0, v11
	s_andn2_b64 s[4:5], s[4:5], exec
	s_and_b64 s[8:9], vcc, exec
	v_mov_b32_e32 v14, 0
	s_or_b64 s[4:5], s[4:5], s[8:9]
	s_or_b64 exec, exec, s[6:7]
	s_and_saveexec_b64 s[6:7], s[4:5]
	s_cbranch_execnz .LBB9_855
	s_branch .LBB9_856
.LBB9_2905:
	s_movk_i32 s4, 0x80
	v_cmp_eq_u16_sdwa s[12:13], v16, s4 src0_sel:BYTE_3 src1_sel:DWORD
	s_mov_b64 s[4:5], -1
                                        ; implicit-def: $sgpr10
	s_and_saveexec_b64 s[8:9], s[12:13]
; %bb.2906:
	s_mov_b32 s10, 0x7f800001
	s_xor_b64 s[4:5], exec, -1
; %bb.2907:
	s_or_b64 exec, exec, s[8:9]
	s_and_b64 s[4:5], s[4:5], exec
	s_or_saveexec_b64 s[6:7], s[6:7]
	v_mov_b32_e32 v10, s10
	s_xor_b64 exec, exec, s[6:7]
	s_cbranch_execz .LBB9_858
.LBB9_2908:
	v_mov_b32_e32 v10, 0
	v_cmp_ne_u16_sdwa s[8:9], v16, v10 src0_sel:BYTE_3 src1_sel:DWORD
	s_andn2_b64 s[4:5], s[4:5], exec
	s_and_b64 s[8:9], s[8:9], exec
	s_or_b64 s[4:5], s[4:5], s[8:9]
	s_or_b64 exec, exec, s[6:7]
	s_and_saveexec_b64 s[6:7], s[4:5]
	s_cbranch_execnz .LBB9_859
	s_branch .LBB9_860
.LBB9_2909:
	s_movk_i32 s4, 0x80
	v_cmp_eq_u16_sdwa s[12:13], v12, s4 src0_sel:BYTE_3 src1_sel:DWORD
	s_mov_b64 s[4:5], -1
                                        ; implicit-def: $sgpr10
	s_and_saveexec_b64 s[8:9], s[12:13]
; %bb.2910:
	s_mov_b32 s10, 0x7f800001
	s_xor_b64 s[4:5], exec, -1
; %bb.2911:
	s_or_b64 exec, exec, s[8:9]
	s_and_b64 s[4:5], s[4:5], exec
	s_or_saveexec_b64 s[6:7], s[6:7]
	v_mov_b32_e32 v11, s10
	s_xor_b64 exec, exec, s[6:7]
	s_cbranch_execz .LBB9_862
.LBB9_2912:
	v_mov_b32_e32 v11, 0
	v_cmp_ne_u16_sdwa s[8:9], v12, v11 src0_sel:BYTE_3 src1_sel:DWORD
	s_andn2_b64 s[4:5], s[4:5], exec
	s_and_b64 s[8:9], s[8:9], exec
	s_or_b64 s[4:5], s[4:5], s[8:9]
	s_or_b64 exec, exec, s[6:7]
	s_and_saveexec_b64 s[6:7], s[4:5]
	s_cbranch_execnz .LBB9_863
	s_branch .LBB9_864
.LBB9_2913:
	s_movk_i32 s4, 0x80
	v_cmp_eq_u16_sdwa s[12:13], v17, s4 src0_sel:BYTE_0 src1_sel:DWORD
	s_mov_b64 s[4:5], -1
                                        ; implicit-def: $sgpr10
	s_and_saveexec_b64 s[8:9], s[12:13]
; %bb.2914:
	s_mov_b32 s10, 0x7f800001
	s_xor_b64 s[4:5], exec, -1
; %bb.2915:
	s_or_b64 exec, exec, s[8:9]
	s_and_b64 s[4:5], s[4:5], exec
	s_or_saveexec_b64 s[6:7], s[6:7]
	v_mov_b32_e32 v10, s10
	s_xor_b64 exec, exec, s[6:7]
	s_cbranch_execz .LBB9_866
.LBB9_2916:
	v_mov_b32_e32 v10, 0
	v_cmp_ne_u16_sdwa s[8:9], v17, v10 src0_sel:BYTE_0 src1_sel:DWORD
	s_andn2_b64 s[4:5], s[4:5], exec
	s_and_b64 s[8:9], s[8:9], exec
	s_or_b64 s[4:5], s[4:5], s[8:9]
	s_or_b64 exec, exec, s[6:7]
	s_and_saveexec_b64 s[6:7], s[4:5]
	s_cbranch_execnz .LBB9_867
	s_branch .LBB9_868
.LBB9_2917:
	s_movk_i32 s4, 0x80
	v_cmp_eq_u16_sdwa s[12:13], v13, s4 src0_sel:BYTE_0 src1_sel:DWORD
	s_mov_b64 s[4:5], -1
                                        ; implicit-def: $sgpr10
	s_and_saveexec_b64 s[8:9], s[12:13]
; %bb.2918:
	s_mov_b32 s10, 0x7f800001
	s_xor_b64 s[4:5], exec, -1
; %bb.2919:
	s_or_b64 exec, exec, s[8:9]
	s_and_b64 s[4:5], s[4:5], exec
	s_or_saveexec_b64 s[6:7], s[6:7]
	v_mov_b32_e32 v11, s10
	s_xor_b64 exec, exec, s[6:7]
	s_cbranch_execz .LBB9_870
.LBB9_2920:
	v_mov_b32_e32 v11, 0
	v_cmp_ne_u16_sdwa s[8:9], v13, v11 src0_sel:BYTE_0 src1_sel:DWORD
	s_andn2_b64 s[4:5], s[4:5], exec
	s_and_b64 s[8:9], s[8:9], exec
	s_or_b64 s[4:5], s[4:5], s[8:9]
	s_or_b64 exec, exec, s[6:7]
	s_and_saveexec_b64 s[6:7], s[4:5]
	s_cbranch_execnz .LBB9_871
	s_branch .LBB9_872
.LBB9_2921:
	s_movk_i32 s4, 0x80
	v_cmp_eq_u16_sdwa s[12:13], v11, s4 src0_sel:BYTE_0 src1_sel:DWORD
	s_mov_b64 s[4:5], -1
                                        ; implicit-def: $sgpr10
	s_and_saveexec_b64 s[8:9], s[12:13]
; %bb.2922:
	s_mov_b32 s10, 0x7f800001
	s_xor_b64 s[4:5], exec, -1
; %bb.2923:
	s_or_b64 exec, exec, s[8:9]
	s_and_b64 s[4:5], s[4:5], exec
	s_or_saveexec_b64 s[6:7], s[6:7]
	v_mov_b32_e32 v10, s10
	s_xor_b64 exec, exec, s[6:7]
	s_cbranch_execz .LBB9_874
.LBB9_2924:
	v_mov_b32_e32 v10, 0
	v_cmp_ne_u16_sdwa s[8:9], v11, v10 src0_sel:BYTE_0 src1_sel:DWORD
	s_andn2_b64 s[4:5], s[4:5], exec
	s_and_b64 s[8:9], s[8:9], exec
	s_or_b64 s[4:5], s[4:5], s[8:9]
	s_or_b64 exec, exec, s[6:7]
	s_and_saveexec_b64 s[6:7], s[4:5]
	s_cbranch_execnz .LBB9_875
	s_branch .LBB9_876
.LBB9_2925:
	s_movk_i32 s4, 0x80
	v_cmp_eq_u16_sdwa s[12:13], v11, s4 src0_sel:BYTE_0 src1_sel:DWORD
	s_mov_b64 s[4:5], -1
                                        ; implicit-def: $sgpr10
	s_and_saveexec_b64 s[8:9], s[12:13]
; %bb.2926:
	s_mov_b32 s10, 0x7f800001
	s_xor_b64 s[4:5], exec, -1
; %bb.2927:
	s_or_b64 exec, exec, s[8:9]
	s_and_b64 s[4:5], s[4:5], exec
	s_or_saveexec_b64 s[6:7], s[6:7]
	v_mov_b32_e32 v12, s10
	s_xor_b64 exec, exec, s[6:7]
	s_cbranch_execz .LBB9_878
.LBB9_2928:
	v_mov_b32_e32 v12, 0
	v_cmp_ne_u16_sdwa s[8:9], v11, v12 src0_sel:BYTE_0 src1_sel:DWORD
	s_andn2_b64 s[4:5], s[4:5], exec
	s_and_b64 s[8:9], s[8:9], exec
	s_or_b64 s[4:5], s[4:5], s[8:9]
	s_or_b64 exec, exec, s[6:7]
	s_and_saveexec_b64 s[6:7], s[4:5]
	s_cbranch_execnz .LBB9_879
	s_branch .LBB9_880
.LBB9_2929:
	s_movk_i32 s4, 0x80
	v_cmp_eq_u16_e32 vcc, s4, v11
	s_mov_b64 s[4:5], -1
                                        ; implicit-def: $sgpr10
	s_and_saveexec_b64 s[8:9], vcc
; %bb.2930:
	s_mov_b32 s10, 0x7f800001
	s_xor_b64 s[4:5], exec, -1
; %bb.2931:
	s_or_b64 exec, exec, s[8:9]
	s_and_b64 s[4:5], s[4:5], exec
                                        ; implicit-def: $vgpr11
	s_or_saveexec_b64 s[6:7], s[6:7]
	v_mov_b32_e32 v10, s10
	s_xor_b64 exec, exec, s[6:7]
	s_cbranch_execz .LBB9_882
.LBB9_2932:
	v_cmp_ne_u16_e32 vcc, 0, v11
	s_andn2_b64 s[4:5], s[4:5], exec
	s_and_b64 s[8:9], vcc, exec
	v_mov_b32_e32 v10, 0
	s_or_b64 s[4:5], s[4:5], s[8:9]
	s_or_b64 exec, exec, s[6:7]
	s_and_saveexec_b64 s[6:7], s[4:5]
	s_cbranch_execnz .LBB9_883
	s_branch .LBB9_884
.LBB9_2933:
	s_movk_i32 s4, 0x80
	v_cmp_eq_u16_e32 vcc, s4, v11
	s_mov_b64 s[4:5], -1
                                        ; implicit-def: $sgpr10
	s_and_saveexec_b64 s[8:9], vcc
; %bb.2934:
	s_mov_b32 s10, 0x7f800001
	s_xor_b64 s[4:5], exec, -1
; %bb.2935:
	s_or_b64 exec, exec, s[8:9]
	s_and_b64 s[4:5], s[4:5], exec
                                        ; implicit-def: $vgpr11
	s_or_saveexec_b64 s[6:7], s[6:7]
	v_mov_b32_e32 v12, s10
	s_xor_b64 exec, exec, s[6:7]
	s_cbranch_execz .LBB9_886
.LBB9_2936:
	v_cmp_ne_u16_e32 vcc, 0, v11
	s_andn2_b64 s[4:5], s[4:5], exec
	s_and_b64 s[8:9], vcc, exec
	v_mov_b32_e32 v12, 0
	s_or_b64 s[4:5], s[4:5], s[8:9]
	s_or_b64 exec, exec, s[6:7]
	s_and_saveexec_b64 s[6:7], s[4:5]
	s_cbranch_execnz .LBB9_887
	s_branch .LBB9_888
.LBB9_2937:
	s_movk_i32 s4, 0x80
	v_cmp_eq_u16_sdwa s[12:13], v17, s4 src0_sel:BYTE_3 src1_sel:DWORD
	s_mov_b64 s[4:5], -1
                                        ; implicit-def: $sgpr10
	s_and_saveexec_b64 s[8:9], s[12:13]
; %bb.2938:
	s_mov_b32 s10, 0x7f800001
	s_xor_b64 s[4:5], exec, -1
; %bb.2939:
	s_or_b64 exec, exec, s[8:9]
	s_and_b64 s[4:5], s[4:5], exec
	s_or_saveexec_b64 s[6:7], s[6:7]
	v_mov_b32_e32 v10, s10
	s_xor_b64 exec, exec, s[6:7]
	s_cbranch_execz .LBB9_890
.LBB9_2940:
	v_mov_b32_e32 v10, 0
	v_cmp_ne_u16_sdwa s[8:9], v17, v10 src0_sel:BYTE_3 src1_sel:DWORD
	s_andn2_b64 s[4:5], s[4:5], exec
	s_and_b64 s[8:9], s[8:9], exec
	s_or_b64 s[4:5], s[4:5], s[8:9]
	s_or_b64 exec, exec, s[6:7]
	s_and_saveexec_b64 s[6:7], s[4:5]
	s_cbranch_execnz .LBB9_891
	s_branch .LBB9_892
.LBB9_2941:
	s_movk_i32 s4, 0x80
	v_cmp_eq_u16_sdwa s[12:13], v13, s4 src0_sel:BYTE_3 src1_sel:DWORD
	s_mov_b64 s[4:5], -1
                                        ; implicit-def: $sgpr10
	s_and_saveexec_b64 s[8:9], s[12:13]
; %bb.2942:
	s_mov_b32 s10, 0x7f800001
	s_xor_b64 s[4:5], exec, -1
; %bb.2943:
	s_or_b64 exec, exec, s[8:9]
	s_and_b64 s[4:5], s[4:5], exec
	s_or_saveexec_b64 s[6:7], s[6:7]
	v_mov_b32_e32 v11, s10
	s_xor_b64 exec, exec, s[6:7]
	s_cbranch_execz .LBB9_894
.LBB9_2944:
	v_mov_b32_e32 v11, 0
	v_cmp_ne_u16_sdwa s[8:9], v13, v11 src0_sel:BYTE_3 src1_sel:DWORD
	s_andn2_b64 s[4:5], s[4:5], exec
	s_and_b64 s[8:9], s[8:9], exec
	s_or_b64 s[4:5], s[4:5], s[8:9]
	s_or_b64 exec, exec, s[6:7]
	s_and_saveexec_b64 s[6:7], s[4:5]
	s_cbranch_execnz .LBB9_895
	s_branch .LBB9_896
.LBB9_2945:
	s_movk_i32 s4, 0x80
	v_cmp_eq_u16_sdwa s[12:13], v6, s4 src0_sel:BYTE_0 src1_sel:DWORD
	s_mov_b64 s[4:5], -1
                                        ; implicit-def: $sgpr10
	s_and_saveexec_b64 s[8:9], s[12:13]
; %bb.2946:
	s_mov_b32 s10, 0x7f800001
	s_xor_b64 s[4:5], exec, -1
; %bb.2947:
	s_or_b64 exec, exec, s[8:9]
	s_and_b64 s[4:5], s[4:5], exec
	s_or_saveexec_b64 s[6:7], s[6:7]
	v_mov_b32_e32 v10, s10
	s_xor_b64 exec, exec, s[6:7]
	s_cbranch_execz .LBB9_898
.LBB9_2948:
	v_mov_b32_e32 v10, 0
	v_cmp_ne_u16_sdwa s[8:9], v6, v10 src0_sel:BYTE_0 src1_sel:DWORD
	s_andn2_b64 s[4:5], s[4:5], exec
	s_and_b64 s[8:9], s[8:9], exec
	s_or_b64 s[4:5], s[4:5], s[8:9]
	s_or_b64 exec, exec, s[6:7]
	s_and_saveexec_b64 s[6:7], s[4:5]
	s_cbranch_execnz .LBB9_899
	s_branch .LBB9_900
.LBB9_2949:
	s_movk_i32 s4, 0x80
	v_cmp_eq_u16_sdwa s[12:13], v2, s4 src0_sel:BYTE_0 src1_sel:DWORD
	s_mov_b64 s[4:5], -1
                                        ; implicit-def: $sgpr10
	s_and_saveexec_b64 s[8:9], s[12:13]
; %bb.2950:
	s_mov_b32 s10, 0x7f800001
	s_xor_b64 s[4:5], exec, -1
; %bb.2951:
	s_or_b64 exec, exec, s[8:9]
	s_and_b64 s[4:5], s[4:5], exec
	s_or_saveexec_b64 s[6:7], s[6:7]
	v_mov_b32_e32 v11, s10
	s_xor_b64 exec, exec, s[6:7]
	s_cbranch_execz .LBB9_902
.LBB9_2952:
	v_mov_b32_e32 v11, 0
	v_cmp_ne_u16_sdwa s[8:9], v2, v11 src0_sel:BYTE_0 src1_sel:DWORD
	s_andn2_b64 s[4:5], s[4:5], exec
	s_and_b64 s[8:9], s[8:9], exec
	s_or_b64 s[4:5], s[4:5], s[8:9]
	s_or_b64 exec, exec, s[6:7]
	s_and_saveexec_b64 s[6:7], s[4:5]
	s_cbranch_execnz .LBB9_903
	s_branch .LBB9_904
.LBB9_2953:
	s_movk_i32 s4, 0x80
	v_cmp_eq_u16_sdwa s[12:13], v11, s4 src0_sel:BYTE_0 src1_sel:DWORD
	s_mov_b64 s[4:5], -1
                                        ; implicit-def: $sgpr10
	s_and_saveexec_b64 s[8:9], s[12:13]
; %bb.2954:
	s_mov_b32 s10, 0x7f800001
	s_xor_b64 s[4:5], exec, -1
; %bb.2955:
	s_or_b64 exec, exec, s[8:9]
	s_and_b64 s[4:5], s[4:5], exec
	s_or_saveexec_b64 s[6:7], s[6:7]
	v_mov_b32_e32 v10, s10
	s_xor_b64 exec, exec, s[6:7]
	s_cbranch_execz .LBB9_906
.LBB9_2956:
	v_mov_b32_e32 v10, 0
	v_cmp_ne_u16_sdwa s[8:9], v11, v10 src0_sel:BYTE_0 src1_sel:DWORD
	s_andn2_b64 s[4:5], s[4:5], exec
	s_and_b64 s[8:9], s[8:9], exec
	s_or_b64 s[4:5], s[4:5], s[8:9]
	s_or_b64 exec, exec, s[6:7]
	s_and_saveexec_b64 s[6:7], s[4:5]
	s_cbranch_execnz .LBB9_907
	s_branch .LBB9_908
.LBB9_2957:
	s_movk_i32 s4, 0x80
	v_cmp_eq_u16_sdwa s[12:13], v11, s4 src0_sel:BYTE_0 src1_sel:DWORD
	s_mov_b64 s[4:5], -1
                                        ; implicit-def: $sgpr10
	s_and_saveexec_b64 s[8:9], s[12:13]
; %bb.2958:
	s_mov_b32 s10, 0x7f800001
	s_xor_b64 s[4:5], exec, -1
; %bb.2959:
	s_or_b64 exec, exec, s[8:9]
	s_and_b64 s[4:5], s[4:5], exec
	s_or_saveexec_b64 s[6:7], s[6:7]
	v_mov_b32_e32 v12, s10
	s_xor_b64 exec, exec, s[6:7]
	s_cbranch_execz .LBB9_910
.LBB9_2960:
	v_mov_b32_e32 v12, 0
	v_cmp_ne_u16_sdwa s[8:9], v11, v12 src0_sel:BYTE_0 src1_sel:DWORD
	s_andn2_b64 s[4:5], s[4:5], exec
	s_and_b64 s[8:9], s[8:9], exec
	s_or_b64 s[4:5], s[4:5], s[8:9]
	s_or_b64 exec, exec, s[6:7]
	s_and_saveexec_b64 s[6:7], s[4:5]
	s_cbranch_execnz .LBB9_911
	s_branch .LBB9_912
.LBB9_2961:
	s_movk_i32 s4, 0x80
	v_cmp_eq_u16_e32 vcc, s4, v11
	s_mov_b64 s[4:5], -1
                                        ; implicit-def: $sgpr10
	s_and_saveexec_b64 s[8:9], vcc
; %bb.2962:
	s_mov_b32 s10, 0x7f800001
	s_xor_b64 s[4:5], exec, -1
; %bb.2963:
	s_or_b64 exec, exec, s[8:9]
	s_and_b64 s[4:5], s[4:5], exec
                                        ; implicit-def: $vgpr11
	s_or_saveexec_b64 s[6:7], s[6:7]
	v_mov_b32_e32 v10, s10
	s_xor_b64 exec, exec, s[6:7]
	s_cbranch_execz .LBB9_914
.LBB9_2964:
	v_cmp_ne_u16_e32 vcc, 0, v11
	s_andn2_b64 s[4:5], s[4:5], exec
	s_and_b64 s[8:9], vcc, exec
	v_mov_b32_e32 v10, 0
	s_or_b64 s[4:5], s[4:5], s[8:9]
	s_or_b64 exec, exec, s[6:7]
	s_and_saveexec_b64 s[6:7], s[4:5]
	s_cbranch_execnz .LBB9_915
	s_branch .LBB9_916
.LBB9_2965:
	s_movk_i32 s4, 0x80
	v_cmp_eq_u16_e32 vcc, s4, v11
	s_mov_b64 s[4:5], -1
                                        ; implicit-def: $sgpr10
	s_and_saveexec_b64 s[8:9], vcc
; %bb.2966:
	s_mov_b32 s10, 0x7f800001
	s_xor_b64 s[4:5], exec, -1
; %bb.2967:
	s_or_b64 exec, exec, s[8:9]
	s_and_b64 s[4:5], s[4:5], exec
                                        ; implicit-def: $vgpr11
	s_or_saveexec_b64 s[6:7], s[6:7]
	v_mov_b32_e32 v12, s10
	s_xor_b64 exec, exec, s[6:7]
	s_cbranch_execz .LBB9_918
.LBB9_2968:
	v_cmp_ne_u16_e32 vcc, 0, v11
	s_andn2_b64 s[4:5], s[4:5], exec
	s_and_b64 s[8:9], vcc, exec
	v_mov_b32_e32 v12, 0
	s_or_b64 s[4:5], s[4:5], s[8:9]
	s_or_b64 exec, exec, s[6:7]
	s_and_saveexec_b64 s[6:7], s[4:5]
	s_cbranch_execnz .LBB9_919
	s_branch .LBB9_920
.LBB9_2969:
	s_movk_i32 s4, 0x80
	v_cmp_eq_u16_sdwa s[12:13], v6, s4 src0_sel:BYTE_3 src1_sel:DWORD
	s_mov_b64 s[4:5], -1
                                        ; implicit-def: $sgpr10
	s_and_saveexec_b64 s[8:9], s[12:13]
; %bb.2970:
	s_mov_b32 s10, 0x7f800001
	s_xor_b64 s[4:5], exec, -1
; %bb.2971:
	s_or_b64 exec, exec, s[8:9]
	s_and_b64 s[4:5], s[4:5], exec
	s_or_saveexec_b64 s[6:7], s[6:7]
	v_mov_b32_e32 v10, s10
	s_xor_b64 exec, exec, s[6:7]
	s_cbranch_execz .LBB9_922
.LBB9_2972:
	v_mov_b32_e32 v10, 0
	v_cmp_ne_u16_sdwa s[8:9], v6, v10 src0_sel:BYTE_3 src1_sel:DWORD
	s_andn2_b64 s[4:5], s[4:5], exec
	s_and_b64 s[8:9], s[8:9], exec
	s_or_b64 s[4:5], s[4:5], s[8:9]
	s_or_b64 exec, exec, s[6:7]
	s_and_saveexec_b64 s[6:7], s[4:5]
	s_cbranch_execnz .LBB9_923
	s_branch .LBB9_924
.LBB9_2973:
	s_movk_i32 s4, 0x80
	v_cmp_eq_u16_sdwa s[12:13], v2, s4 src0_sel:BYTE_3 src1_sel:DWORD
	s_mov_b64 s[4:5], -1
                                        ; implicit-def: $sgpr10
	s_and_saveexec_b64 s[8:9], s[12:13]
; %bb.2974:
	s_mov_b32 s10, 0x7f800001
	s_xor_b64 s[4:5], exec, -1
; %bb.2975:
	s_or_b64 exec, exec, s[8:9]
	s_and_b64 s[4:5], s[4:5], exec
	s_or_saveexec_b64 s[6:7], s[6:7]
	v_mov_b32_e32 v6, s10
	s_xor_b64 exec, exec, s[6:7]
	s_cbranch_execz .LBB9_926
.LBB9_2976:
	v_mov_b32_e32 v6, 0
	v_cmp_ne_u16_sdwa s[8:9], v2, v6 src0_sel:BYTE_3 src1_sel:DWORD
	s_andn2_b64 s[4:5], s[4:5], exec
	s_and_b64 s[8:9], s[8:9], exec
	s_or_b64 s[4:5], s[4:5], s[8:9]
	s_or_b64 exec, exec, s[6:7]
	s_and_saveexec_b64 s[6:7], s[4:5]
	s_cbranch_execnz .LBB9_927
	s_branch .LBB9_928
.LBB9_2977:
	s_movk_i32 s4, 0x80
	v_cmp_eq_u16_sdwa s[12:13], v7, s4 src0_sel:BYTE_0 src1_sel:DWORD
	s_mov_b64 s[4:5], -1
                                        ; implicit-def: $sgpr10
	s_and_saveexec_b64 s[8:9], s[12:13]
; %bb.2978:
	s_mov_b32 s10, 0x7f800001
	s_xor_b64 s[4:5], exec, -1
; %bb.2979:
	s_or_b64 exec, exec, s[8:9]
	s_and_b64 s[4:5], s[4:5], exec
	s_or_saveexec_b64 s[6:7], s[6:7]
	v_mov_b32_e32 v2, s10
	s_xor_b64 exec, exec, s[6:7]
	s_cbranch_execz .LBB9_930
.LBB9_2980:
	v_mov_b32_e32 v2, 0
	v_cmp_ne_u16_sdwa s[8:9], v7, v2 src0_sel:BYTE_0 src1_sel:DWORD
	s_andn2_b64 s[4:5], s[4:5], exec
	s_and_b64 s[8:9], s[8:9], exec
	s_or_b64 s[4:5], s[4:5], s[8:9]
	s_or_b64 exec, exec, s[6:7]
	s_and_saveexec_b64 s[6:7], s[4:5]
	s_cbranch_execnz .LBB9_931
	s_branch .LBB9_932
.LBB9_2981:
	s_movk_i32 s4, 0x80
	v_cmp_eq_u16_sdwa s[12:13], v3, s4 src0_sel:BYTE_0 src1_sel:DWORD
	s_mov_b64 s[4:5], -1
                                        ; implicit-def: $sgpr10
	s_and_saveexec_b64 s[8:9], s[12:13]
; %bb.2982:
	s_mov_b32 s10, 0x7f800001
	s_xor_b64 s[4:5], exec, -1
; %bb.2983:
	s_or_b64 exec, exec, s[8:9]
	s_and_b64 s[4:5], s[4:5], exec
	s_or_saveexec_b64 s[6:7], s[6:7]
	v_mov_b32_e32 v6, s10
	s_xor_b64 exec, exec, s[6:7]
	s_cbranch_execz .LBB9_934
.LBB9_2984:
	v_mov_b32_e32 v6, 0
	v_cmp_ne_u16_sdwa s[8:9], v3, v6 src0_sel:BYTE_0 src1_sel:DWORD
	s_andn2_b64 s[4:5], s[4:5], exec
	s_and_b64 s[8:9], s[8:9], exec
	s_or_b64 s[4:5], s[4:5], s[8:9]
	s_or_b64 exec, exec, s[6:7]
	s_and_saveexec_b64 s[6:7], s[4:5]
	s_cbranch_execnz .LBB9_935
	s_branch .LBB9_936
.LBB9_2985:
	s_movk_i32 s4, 0x80
	v_cmp_eq_u16_sdwa s[12:13], v6, s4 src0_sel:BYTE_0 src1_sel:DWORD
	s_mov_b64 s[4:5], -1
                                        ; implicit-def: $sgpr10
	s_and_saveexec_b64 s[8:9], s[12:13]
; %bb.2986:
	s_mov_b32 s10, 0x7f800001
	s_xor_b64 s[4:5], exec, -1
; %bb.2987:
	s_or_b64 exec, exec, s[8:9]
	s_and_b64 s[4:5], s[4:5], exec
	s_or_saveexec_b64 s[6:7], s[6:7]
	v_mov_b32_e32 v2, s10
	s_xor_b64 exec, exec, s[6:7]
	s_cbranch_execz .LBB9_938
.LBB9_2988:
	v_mov_b32_e32 v2, 0
	v_cmp_ne_u16_sdwa s[8:9], v6, v2 src0_sel:BYTE_0 src1_sel:DWORD
	s_andn2_b64 s[4:5], s[4:5], exec
	s_and_b64 s[8:9], s[8:9], exec
	s_or_b64 s[4:5], s[4:5], s[8:9]
	s_or_b64 exec, exec, s[6:7]
	s_and_saveexec_b64 s[6:7], s[4:5]
	s_cbranch_execnz .LBB9_939
	s_branch .LBB9_940
.LBB9_2989:
	s_movk_i32 s4, 0x80
	v_cmp_eq_u16_sdwa s[12:13], v6, s4 src0_sel:BYTE_0 src1_sel:DWORD
	s_mov_b64 s[4:5], -1
                                        ; implicit-def: $sgpr10
	s_and_saveexec_b64 s[8:9], s[12:13]
; %bb.2990:
	s_mov_b32 s10, 0x7f800001
	s_xor_b64 s[4:5], exec, -1
; %bb.2991:
	s_or_b64 exec, exec, s[8:9]
	s_and_b64 s[4:5], s[4:5], exec
	s_or_saveexec_b64 s[6:7], s[6:7]
	v_mov_b32_e32 v10, s10
	s_xor_b64 exec, exec, s[6:7]
	s_cbranch_execz .LBB9_942
.LBB9_2992:
	v_mov_b32_e32 v10, 0
	v_cmp_ne_u16_sdwa s[8:9], v6, v10 src0_sel:BYTE_0 src1_sel:DWORD
	s_andn2_b64 s[4:5], s[4:5], exec
	s_and_b64 s[8:9], s[8:9], exec
	s_or_b64 s[4:5], s[4:5], s[8:9]
	s_or_b64 exec, exec, s[6:7]
	s_and_saveexec_b64 s[6:7], s[4:5]
	s_cbranch_execnz .LBB9_943
	s_branch .LBB9_944
.LBB9_2993:
	s_movk_i32 s4, 0x80
	v_cmp_eq_u16_e32 vcc, s4, v6
	s_mov_b64 s[4:5], -1
                                        ; implicit-def: $sgpr10
	s_and_saveexec_b64 s[8:9], vcc
; %bb.2994:
	s_mov_b32 s10, 0x7f800001
	s_xor_b64 s[4:5], exec, -1
; %bb.2995:
	s_or_b64 exec, exec, s[8:9]
	s_and_b64 s[4:5], s[4:5], exec
                                        ; implicit-def: $vgpr6
	s_or_saveexec_b64 s[6:7], s[6:7]
	v_mov_b32_e32 v2, s10
	s_xor_b64 exec, exec, s[6:7]
	s_cbranch_execz .LBB9_946
.LBB9_2996:
	v_cmp_ne_u16_e32 vcc, 0, v6
	s_andn2_b64 s[4:5], s[4:5], exec
	s_and_b64 s[8:9], vcc, exec
	v_mov_b32_e32 v2, 0
	s_or_b64 s[4:5], s[4:5], s[8:9]
	s_or_b64 exec, exec, s[6:7]
	s_and_saveexec_b64 s[6:7], s[4:5]
	s_cbranch_execnz .LBB9_947
	s_branch .LBB9_948
.LBB9_2997:
	s_movk_i32 s4, 0x80
	v_cmp_eq_u16_e32 vcc, s4, v6
	s_mov_b64 s[4:5], -1
                                        ; implicit-def: $sgpr10
	s_and_saveexec_b64 s[8:9], vcc
; %bb.2998:
	s_mov_b32 s10, 0x7f800001
	s_xor_b64 s[4:5], exec, -1
; %bb.2999:
	s_or_b64 exec, exec, s[8:9]
	s_and_b64 s[4:5], s[4:5], exec
                                        ; implicit-def: $vgpr6
	s_or_saveexec_b64 s[6:7], s[6:7]
	v_mov_b32_e32 v10, s10
	s_xor_b64 exec, exec, s[6:7]
	s_cbranch_execz .LBB9_950
.LBB9_3000:
	v_cmp_ne_u16_e32 vcc, 0, v6
	s_andn2_b64 s[4:5], s[4:5], exec
	s_and_b64 s[8:9], vcc, exec
	v_mov_b32_e32 v10, 0
	s_or_b64 s[4:5], s[4:5], s[8:9]
	s_or_b64 exec, exec, s[6:7]
	s_and_saveexec_b64 s[6:7], s[4:5]
	s_cbranch_execnz .LBB9_951
	s_branch .LBB9_952
.LBB9_3001:
	s_movk_i32 s4, 0x80
	v_cmp_eq_u16_sdwa s[12:13], v7, s4 src0_sel:BYTE_3 src1_sel:DWORD
	s_mov_b64 s[4:5], -1
                                        ; implicit-def: $sgpr10
	s_and_saveexec_b64 s[8:9], s[12:13]
; %bb.3002:
	s_mov_b32 s10, 0x7f800001
	s_xor_b64 s[4:5], exec, -1
; %bb.3003:
	s_or_b64 exec, exec, s[8:9]
	s_and_b64 s[4:5], s[4:5], exec
	s_or_saveexec_b64 s[6:7], s[6:7]
	v_mov_b32_e32 v2, s10
	s_xor_b64 exec, exec, s[6:7]
	s_cbranch_execz .LBB9_954
.LBB9_3004:
	v_mov_b32_e32 v2, 0
	v_cmp_ne_u16_sdwa s[8:9], v7, v2 src0_sel:BYTE_3 src1_sel:DWORD
	s_andn2_b64 s[4:5], s[4:5], exec
	s_and_b64 s[8:9], s[8:9], exec
	s_or_b64 s[4:5], s[4:5], s[8:9]
	s_or_b64 exec, exec, s[6:7]
	s_and_saveexec_b64 s[6:7], s[4:5]
	s_cbranch_execnz .LBB9_955
	s_branch .LBB9_956
.LBB9_3005:
	s_movk_i32 s4, 0x80
	v_cmp_eq_u16_sdwa s[12:13], v3, s4 src0_sel:BYTE_3 src1_sel:DWORD
	s_mov_b64 s[4:5], -1
                                        ; implicit-def: $sgpr10
	s_and_saveexec_b64 s[8:9], s[12:13]
; %bb.3006:
	s_mov_b32 s10, 0x7f800001
	s_xor_b64 s[4:5], exec, -1
; %bb.3007:
	s_or_b64 exec, exec, s[8:9]
	s_and_b64 s[4:5], s[4:5], exec
	s_or_saveexec_b64 s[6:7], s[6:7]
	v_mov_b32_e32 v6, s10
	s_xor_b64 exec, exec, s[6:7]
	s_cbranch_execz .LBB9_958
.LBB9_3008:
	v_mov_b32_e32 v6, 0
	v_cmp_ne_u16_sdwa s[8:9], v3, v6 src0_sel:BYTE_3 src1_sel:DWORD
	s_andn2_b64 s[4:5], s[4:5], exec
	s_and_b64 s[8:9], s[8:9], exec
	s_or_b64 s[4:5], s[4:5], s[8:9]
	s_or_b64 exec, exec, s[6:7]
	s_and_saveexec_b64 s[6:7], s[4:5]
	s_cbranch_execnz .LBB9_959
	s_branch .LBB9_960
.LBB9_3009:
	s_movk_i32 s4, 0x80
	v_cmp_eq_u16_sdwa s[12:13], v8, s4 src0_sel:BYTE_0 src1_sel:DWORD
	s_mov_b64 s[4:5], -1
                                        ; implicit-def: $sgpr10
	s_and_saveexec_b64 s[8:9], s[12:13]
; %bb.3010:
	s_mov_b32 s10, 0x7f800001
	s_xor_b64 s[4:5], exec, -1
; %bb.3011:
	s_or_b64 exec, exec, s[8:9]
	s_and_b64 s[4:5], s[4:5], exec
	s_or_saveexec_b64 s[6:7], s[6:7]
	v_mov_b32_e32 v2, s10
	s_xor_b64 exec, exec, s[6:7]
	s_cbranch_execz .LBB9_962
.LBB9_3012:
	v_mov_b32_e32 v2, 0
	v_cmp_ne_u16_sdwa s[8:9], v8, v2 src0_sel:BYTE_0 src1_sel:DWORD
	s_andn2_b64 s[4:5], s[4:5], exec
	s_and_b64 s[8:9], s[8:9], exec
	s_or_b64 s[4:5], s[4:5], s[8:9]
	s_or_b64 exec, exec, s[6:7]
	s_and_saveexec_b64 s[6:7], s[4:5]
	s_cbranch_execnz .LBB9_963
	s_branch .LBB9_964
.LBB9_3013:
	s_movk_i32 s4, 0x80
	v_cmp_eq_u16_sdwa s[12:13], v4, s4 src0_sel:BYTE_0 src1_sel:DWORD
	s_mov_b64 s[4:5], -1
                                        ; implicit-def: $sgpr10
	s_and_saveexec_b64 s[8:9], s[12:13]
; %bb.3014:
	s_mov_b32 s10, 0x7f800001
	s_xor_b64 s[4:5], exec, -1
; %bb.3015:
	s_or_b64 exec, exec, s[8:9]
	s_and_b64 s[4:5], s[4:5], exec
	s_or_saveexec_b64 s[6:7], s[6:7]
	v_mov_b32_e32 v3, s10
	s_xor_b64 exec, exec, s[6:7]
	s_cbranch_execz .LBB9_966
.LBB9_3016:
	v_mov_b32_e32 v3, 0
	v_cmp_ne_u16_sdwa s[8:9], v4, v3 src0_sel:BYTE_0 src1_sel:DWORD
	s_andn2_b64 s[4:5], s[4:5], exec
	s_and_b64 s[8:9], s[8:9], exec
	s_or_b64 s[4:5], s[4:5], s[8:9]
	s_or_b64 exec, exec, s[6:7]
	s_and_saveexec_b64 s[6:7], s[4:5]
	s_cbranch_execnz .LBB9_967
	s_branch .LBB9_968
.LBB9_3017:
	s_movk_i32 s4, 0x80
	v_cmp_eq_u16_sdwa s[12:13], v3, s4 src0_sel:BYTE_0 src1_sel:DWORD
	s_mov_b64 s[4:5], -1
                                        ; implicit-def: $sgpr10
	s_and_saveexec_b64 s[8:9], s[12:13]
; %bb.3018:
	s_mov_b32 s10, 0x7f800001
	s_xor_b64 s[4:5], exec, -1
; %bb.3019:
	s_or_b64 exec, exec, s[8:9]
	s_and_b64 s[4:5], s[4:5], exec
	s_or_saveexec_b64 s[6:7], s[6:7]
	v_mov_b32_e32 v2, s10
	s_xor_b64 exec, exec, s[6:7]
	s_cbranch_execz .LBB9_970
.LBB9_3020:
	v_mov_b32_e32 v2, 0
	v_cmp_ne_u16_sdwa s[8:9], v3, v2 src0_sel:BYTE_0 src1_sel:DWORD
	s_andn2_b64 s[4:5], s[4:5], exec
	s_and_b64 s[8:9], s[8:9], exec
	s_or_b64 s[4:5], s[4:5], s[8:9]
	s_or_b64 exec, exec, s[6:7]
	s_and_saveexec_b64 s[6:7], s[4:5]
	s_cbranch_execnz .LBB9_971
	s_branch .LBB9_972
.LBB9_3021:
	s_movk_i32 s4, 0x80
	v_cmp_eq_u16_sdwa s[12:13], v3, s4 src0_sel:BYTE_0 src1_sel:DWORD
	s_mov_b64 s[4:5], -1
                                        ; implicit-def: $sgpr10
	s_and_saveexec_b64 s[8:9], s[12:13]
; %bb.3022:
	s_mov_b32 s10, 0x7f800001
	s_xor_b64 s[4:5], exec, -1
; %bb.3023:
	s_or_b64 exec, exec, s[8:9]
	s_and_b64 s[4:5], s[4:5], exec
	s_or_saveexec_b64 s[6:7], s[6:7]
	v_mov_b32_e32 v6, s10
	s_xor_b64 exec, exec, s[6:7]
	s_cbranch_execz .LBB9_974
.LBB9_3024:
	v_mov_b32_e32 v6, 0
	v_cmp_ne_u16_sdwa s[8:9], v3, v6 src0_sel:BYTE_0 src1_sel:DWORD
	s_andn2_b64 s[4:5], s[4:5], exec
	s_and_b64 s[8:9], s[8:9], exec
	s_or_b64 s[4:5], s[4:5], s[8:9]
	s_or_b64 exec, exec, s[6:7]
	s_and_saveexec_b64 s[6:7], s[4:5]
	s_cbranch_execnz .LBB9_975
	s_branch .LBB9_976
.LBB9_3025:
	s_movk_i32 s4, 0x80
	v_cmp_eq_u16_e32 vcc, s4, v3
	s_mov_b64 s[4:5], -1
                                        ; implicit-def: $sgpr10
	s_and_saveexec_b64 s[8:9], vcc
; %bb.3026:
	s_mov_b32 s10, 0x7f800001
	s_xor_b64 s[4:5], exec, -1
; %bb.3027:
	s_or_b64 exec, exec, s[8:9]
	s_and_b64 s[4:5], s[4:5], exec
                                        ; implicit-def: $vgpr3
	s_or_saveexec_b64 s[6:7], s[6:7]
	v_mov_b32_e32 v2, s10
	s_xor_b64 exec, exec, s[6:7]
	s_cbranch_execz .LBB9_978
.LBB9_3028:
	v_cmp_ne_u16_e32 vcc, 0, v3
	s_andn2_b64 s[4:5], s[4:5], exec
	s_and_b64 s[8:9], vcc, exec
	v_mov_b32_e32 v2, 0
	s_or_b64 s[4:5], s[4:5], s[8:9]
	s_or_b64 exec, exec, s[6:7]
	s_and_saveexec_b64 s[6:7], s[4:5]
	s_cbranch_execnz .LBB9_979
	s_branch .LBB9_980
.LBB9_3029:
	s_movk_i32 s4, 0x80
	v_cmp_eq_u16_e32 vcc, s4, v3
	s_mov_b64 s[4:5], -1
                                        ; implicit-def: $sgpr10
	s_and_saveexec_b64 s[8:9], vcc
; %bb.3030:
	s_mov_b32 s10, 0x7f800001
	s_xor_b64 s[4:5], exec, -1
; %bb.3031:
	s_or_b64 exec, exec, s[8:9]
	s_and_b64 s[4:5], s[4:5], exec
                                        ; implicit-def: $vgpr3
	s_or_saveexec_b64 s[6:7], s[6:7]
	v_mov_b32_e32 v6, s10
	s_xor_b64 exec, exec, s[6:7]
	s_cbranch_execz .LBB9_982
.LBB9_3032:
	v_cmp_ne_u16_e32 vcc, 0, v3
	s_andn2_b64 s[4:5], s[4:5], exec
	s_and_b64 s[8:9], vcc, exec
	v_mov_b32_e32 v6, 0
	s_or_b64 s[4:5], s[4:5], s[8:9]
	s_or_b64 exec, exec, s[6:7]
	s_and_saveexec_b64 s[6:7], s[4:5]
	s_cbranch_execnz .LBB9_983
	s_branch .LBB9_984
.LBB9_3033:
	s_movk_i32 s4, 0x80
	v_cmp_eq_u16_sdwa s[12:13], v8, s4 src0_sel:BYTE_3 src1_sel:DWORD
	s_mov_b64 s[4:5], -1
                                        ; implicit-def: $sgpr10
	s_and_saveexec_b64 s[8:9], s[12:13]
; %bb.3034:
	s_mov_b32 s10, 0x7f800001
	s_xor_b64 s[4:5], exec, -1
; %bb.3035:
	s_or_b64 exec, exec, s[8:9]
	s_and_b64 s[4:5], s[4:5], exec
	s_or_saveexec_b64 s[6:7], s[6:7]
	v_mov_b32_e32 v2, s10
	s_xor_b64 exec, exec, s[6:7]
	s_cbranch_execz .LBB9_986
.LBB9_3036:
	v_mov_b32_e32 v2, 0
	v_cmp_ne_u16_sdwa s[8:9], v8, v2 src0_sel:BYTE_3 src1_sel:DWORD
	s_andn2_b64 s[4:5], s[4:5], exec
	s_and_b64 s[8:9], s[8:9], exec
	s_or_b64 s[4:5], s[4:5], s[8:9]
	s_or_b64 exec, exec, s[6:7]
	s_and_saveexec_b64 s[6:7], s[4:5]
	s_cbranch_execnz .LBB9_987
	s_branch .LBB9_988
.LBB9_3037:
	s_movk_i32 s4, 0x80
	v_cmp_eq_u16_sdwa s[12:13], v4, s4 src0_sel:BYTE_3 src1_sel:DWORD
	s_mov_b64 s[4:5], -1
                                        ; implicit-def: $sgpr10
	s_and_saveexec_b64 s[8:9], s[12:13]
; %bb.3038:
	s_mov_b32 s10, 0x7f800001
	s_xor_b64 s[4:5], exec, -1
; %bb.3039:
	s_or_b64 exec, exec, s[8:9]
	s_and_b64 s[4:5], s[4:5], exec
	s_or_saveexec_b64 s[6:7], s[6:7]
	v_mov_b32_e32 v3, s10
	s_xor_b64 exec, exec, s[6:7]
	s_cbranch_execz .LBB9_990
.LBB9_3040:
	v_mov_b32_e32 v3, 0
	v_cmp_ne_u16_sdwa s[8:9], v4, v3 src0_sel:BYTE_3 src1_sel:DWORD
	s_andn2_b64 s[4:5], s[4:5], exec
	s_and_b64 s[8:9], s[8:9], exec
	s_or_b64 s[4:5], s[4:5], s[8:9]
	s_or_b64 exec, exec, s[6:7]
	s_and_saveexec_b64 s[6:7], s[4:5]
	s_cbranch_execnz .LBB9_991
	s_branch .LBB9_992
.LBB9_3041:
	s_movk_i32 s4, 0x80
	v_cmp_eq_u16_sdwa s[12:13], v9, s4 src0_sel:BYTE_0 src1_sel:DWORD
	s_mov_b64 s[4:5], -1
                                        ; implicit-def: $sgpr10
	s_and_saveexec_b64 s[8:9], s[12:13]
; %bb.3042:
	s_mov_b32 s10, 0x7f800001
	s_xor_b64 s[4:5], exec, -1
; %bb.3043:
	s_or_b64 exec, exec, s[8:9]
	s_and_b64 s[4:5], s[4:5], exec
	s_or_saveexec_b64 s[6:7], s[6:7]
	v_mov_b32_e32 v2, s10
	s_xor_b64 exec, exec, s[6:7]
	s_cbranch_execz .LBB9_994
.LBB9_3044:
	v_mov_b32_e32 v2, 0
	v_cmp_ne_u16_sdwa s[8:9], v9, v2 src0_sel:BYTE_0 src1_sel:DWORD
	s_andn2_b64 s[4:5], s[4:5], exec
	s_and_b64 s[8:9], s[8:9], exec
	s_or_b64 s[4:5], s[4:5], s[8:9]
	s_or_b64 exec, exec, s[6:7]
	s_and_saveexec_b64 s[6:7], s[4:5]
	s_cbranch_execnz .LBB9_995
	s_branch .LBB9_996
.LBB9_3045:
	s_movk_i32 s4, 0x80
	v_cmp_eq_u16_sdwa s[12:13], v5, s4 src0_sel:BYTE_0 src1_sel:DWORD
	s_mov_b64 s[4:5], -1
                                        ; implicit-def: $sgpr10
	s_and_saveexec_b64 s[8:9], s[12:13]
; %bb.3046:
	s_mov_b32 s10, 0x7f800001
	s_xor_b64 s[4:5], exec, -1
; %bb.3047:
	s_or_b64 exec, exec, s[8:9]
	s_and_b64 s[4:5], s[4:5], exec
	s_or_saveexec_b64 s[6:7], s[6:7]
	v_mov_b32_e32 v3, s10
	s_xor_b64 exec, exec, s[6:7]
	s_cbranch_execz .LBB9_998
.LBB9_3048:
	v_mov_b32_e32 v3, 0
	v_cmp_ne_u16_sdwa s[8:9], v5, v3 src0_sel:BYTE_0 src1_sel:DWORD
	s_andn2_b64 s[4:5], s[4:5], exec
	s_and_b64 s[8:9], s[8:9], exec
	s_or_b64 s[4:5], s[4:5], s[8:9]
	s_or_b64 exec, exec, s[6:7]
	s_and_saveexec_b64 s[6:7], s[4:5]
	s_cbranch_execnz .LBB9_999
	s_branch .LBB9_1000
.LBB9_3049:
	s_movk_i32 s4, 0x80
	v_cmp_eq_u16_sdwa s[12:13], v3, s4 src0_sel:BYTE_0 src1_sel:DWORD
	s_mov_b64 s[4:5], -1
                                        ; implicit-def: $sgpr10
	s_and_saveexec_b64 s[8:9], s[12:13]
; %bb.3050:
	s_mov_b32 s10, 0x7f800001
	s_xor_b64 s[4:5], exec, -1
; %bb.3051:
	s_or_b64 exec, exec, s[8:9]
	s_and_b64 s[4:5], s[4:5], exec
	s_or_saveexec_b64 s[6:7], s[6:7]
	v_mov_b32_e32 v2, s10
	s_xor_b64 exec, exec, s[6:7]
	s_cbranch_execz .LBB9_1002
.LBB9_3052:
	v_mov_b32_e32 v2, 0
	v_cmp_ne_u16_sdwa s[8:9], v3, v2 src0_sel:BYTE_0 src1_sel:DWORD
	s_andn2_b64 s[4:5], s[4:5], exec
	s_and_b64 s[8:9], s[8:9], exec
	s_or_b64 s[4:5], s[4:5], s[8:9]
	s_or_b64 exec, exec, s[6:7]
	s_and_saveexec_b64 s[6:7], s[4:5]
	s_cbranch_execnz .LBB9_1003
	s_branch .LBB9_1004
.LBB9_3053:
	s_movk_i32 s4, 0x80
	v_cmp_eq_u16_sdwa s[12:13], v3, s4 src0_sel:BYTE_0 src1_sel:DWORD
	s_mov_b64 s[4:5], -1
                                        ; implicit-def: $sgpr10
	s_and_saveexec_b64 s[8:9], s[12:13]
; %bb.3054:
	s_mov_b32 s10, 0x7f800001
	s_xor_b64 s[4:5], exec, -1
; %bb.3055:
	s_or_b64 exec, exec, s[8:9]
	s_and_b64 s[4:5], s[4:5], exec
	s_or_saveexec_b64 s[6:7], s[6:7]
	v_mov_b32_e32 v4, s10
	s_xor_b64 exec, exec, s[6:7]
	s_cbranch_execz .LBB9_1006
.LBB9_3056:
	v_mov_b32_e32 v4, 0
	v_cmp_ne_u16_sdwa s[8:9], v3, v4 src0_sel:BYTE_0 src1_sel:DWORD
	s_andn2_b64 s[4:5], s[4:5], exec
	s_and_b64 s[8:9], s[8:9], exec
	s_or_b64 s[4:5], s[4:5], s[8:9]
	s_or_b64 exec, exec, s[6:7]
	s_and_saveexec_b64 s[6:7], s[4:5]
	s_cbranch_execnz .LBB9_1007
	s_branch .LBB9_1008
.LBB9_3057:
	s_movk_i32 s4, 0x80
	v_cmp_eq_u16_e32 vcc, s4, v3
	s_mov_b64 s[4:5], -1
                                        ; implicit-def: $sgpr10
	s_and_saveexec_b64 s[8:9], vcc
; %bb.3058:
	s_mov_b32 s10, 0x7f800001
	s_xor_b64 s[4:5], exec, -1
; %bb.3059:
	s_or_b64 exec, exec, s[8:9]
	s_and_b64 s[4:5], s[4:5], exec
                                        ; implicit-def: $vgpr3
	s_or_saveexec_b64 s[6:7], s[6:7]
	v_mov_b32_e32 v2, s10
	s_xor_b64 exec, exec, s[6:7]
	s_cbranch_execz .LBB9_1010
.LBB9_3060:
	v_cmp_ne_u16_e32 vcc, 0, v3
	s_andn2_b64 s[4:5], s[4:5], exec
	s_and_b64 s[8:9], vcc, exec
	v_mov_b32_e32 v2, 0
	s_or_b64 s[4:5], s[4:5], s[8:9]
	s_or_b64 exec, exec, s[6:7]
	s_and_saveexec_b64 s[6:7], s[4:5]
	s_cbranch_execnz .LBB9_1011
	s_branch .LBB9_1012
.LBB9_3061:
	s_movk_i32 s4, 0x80
	v_cmp_eq_u16_e32 vcc, s4, v3
	s_mov_b64 s[4:5], -1
                                        ; implicit-def: $sgpr10
	s_and_saveexec_b64 s[8:9], vcc
; %bb.3062:
	s_mov_b32 s10, 0x7f800001
	s_xor_b64 s[4:5], exec, -1
; %bb.3063:
	s_or_b64 exec, exec, s[8:9]
	s_and_b64 s[4:5], s[4:5], exec
                                        ; implicit-def: $vgpr3
	s_or_saveexec_b64 s[6:7], s[6:7]
	v_mov_b32_e32 v4, s10
	s_xor_b64 exec, exec, s[6:7]
	s_cbranch_execz .LBB9_1014
.LBB9_3064:
	v_cmp_ne_u16_e32 vcc, 0, v3
	s_andn2_b64 s[4:5], s[4:5], exec
	s_and_b64 s[8:9], vcc, exec
	v_mov_b32_e32 v4, 0
	s_or_b64 s[4:5], s[4:5], s[8:9]
	s_or_b64 exec, exec, s[6:7]
	s_and_saveexec_b64 s[6:7], s[4:5]
	s_cbranch_execnz .LBB9_1015
	s_branch .LBB9_1016
.LBB9_3065:
	s_movk_i32 s4, 0x80
	v_cmp_eq_u16_sdwa s[12:13], v9, s4 src0_sel:BYTE_3 src1_sel:DWORD
	s_mov_b64 s[4:5], -1
                                        ; implicit-def: $sgpr10
	s_and_saveexec_b64 s[8:9], s[12:13]
; %bb.3066:
	s_mov_b32 s10, 0x7f800001
	s_xor_b64 s[4:5], exec, -1
; %bb.3067:
	s_or_b64 exec, exec, s[8:9]
	s_and_b64 s[4:5], s[4:5], exec
	s_or_saveexec_b64 s[6:7], s[6:7]
	v_mov_b32_e32 v2, s10
	s_xor_b64 exec, exec, s[6:7]
	s_cbranch_execz .LBB9_1018
.LBB9_3068:
	v_mov_b32_e32 v2, 0
	v_cmp_ne_u16_sdwa s[8:9], v9, v2 src0_sel:BYTE_3 src1_sel:DWORD
	s_andn2_b64 s[4:5], s[4:5], exec
	s_and_b64 s[8:9], s[8:9], exec
	s_or_b64 s[4:5], s[4:5], s[8:9]
	s_or_b64 exec, exec, s[6:7]
	s_and_saveexec_b64 s[6:7], s[4:5]
	s_cbranch_execnz .LBB9_1019
	s_branch .LBB9_1020
.LBB9_3069:
	s_movk_i32 s4, 0x80
	v_cmp_eq_u16_sdwa s[12:13], v5, s4 src0_sel:BYTE_3 src1_sel:DWORD
	s_mov_b64 s[4:5], -1
                                        ; implicit-def: $sgpr10
	s_and_saveexec_b64 s[8:9], s[12:13]
; %bb.3070:
	s_mov_b32 s10, 0x7f800001
	s_xor_b64 s[4:5], exec, -1
; %bb.3071:
	s_or_b64 exec, exec, s[8:9]
	s_and_b64 s[4:5], s[4:5], exec
	s_or_saveexec_b64 s[6:7], s[6:7]
	v_mov_b32_e32 v3, s10
	s_xor_b64 exec, exec, s[6:7]
	s_cbranch_execz .LBB9_1022
.LBB9_3072:
	v_mov_b32_e32 v3, 0
	v_cmp_ne_u16_sdwa s[8:9], v5, v3 src0_sel:BYTE_3 src1_sel:DWORD
	s_andn2_b64 s[4:5], s[4:5], exec
	s_and_b64 s[8:9], s[8:9], exec
	s_or_b64 s[4:5], s[4:5], s[8:9]
	s_or_b64 exec, exec, s[6:7]
	s_and_saveexec_b64 s[6:7], s[4:5]
	s_cbranch_execnz .LBB9_1023
	s_branch .LBB9_1024
.LBB9_3073:
	s_movk_i32 s4, 0x80
	v_cmp_eq_u16_sdwa s[12:13], v14, s4 src0_sel:BYTE_0 src1_sel:DWORD
	s_mov_b64 s[4:5], -1
                                        ; implicit-def: $sgpr10
	s_and_saveexec_b64 s[8:9], s[12:13]
; %bb.3074:
	s_mov_b32 s10, 0x7f800001
	s_xor_b64 s[4:5], exec, -1
; %bb.3075:
	s_or_b64 exec, exec, s[8:9]
	s_and_b64 s[4:5], s[4:5], exec
	s_or_saveexec_b64 s[6:7], s[6:7]
	v_mov_b32_e32 v20, s10
	s_xor_b64 exec, exec, s[6:7]
	s_cbranch_execz .LBB9_1026
.LBB9_3076:
	v_mov_b32_e32 v20, 0
	v_cmp_ne_u16_sdwa s[8:9], v14, v20 src0_sel:BYTE_0 src1_sel:DWORD
	s_andn2_b64 s[4:5], s[4:5], exec
	s_and_b64 s[8:9], s[8:9], exec
	s_or_b64 s[4:5], s[4:5], s[8:9]
	s_or_b64 exec, exec, s[6:7]
	s_and_saveexec_b64 s[6:7], s[4:5]
	s_cbranch_execnz .LBB9_1027
	s_branch .LBB9_1028
.LBB9_3077:
	s_movk_i32 s4, 0x80
	v_cmp_eq_u16_sdwa s[12:13], v10, s4 src0_sel:BYTE_0 src1_sel:DWORD
	s_mov_b64 s[4:5], -1
                                        ; implicit-def: $sgpr10
	s_and_saveexec_b64 s[8:9], s[12:13]
; %bb.3078:
	s_mov_b32 s10, 0x7f800001
	s_xor_b64 s[4:5], exec, -1
; %bb.3079:
	s_or_b64 exec, exec, s[8:9]
	s_and_b64 s[4:5], s[4:5], exec
	s_or_saveexec_b64 s[6:7], s[6:7]
	v_mov_b32_e32 v21, s10
	s_xor_b64 exec, exec, s[6:7]
	s_cbranch_execz .LBB9_1030
.LBB9_3080:
	v_mov_b32_e32 v21, 0
	v_cmp_ne_u16_sdwa s[8:9], v10, v21 src0_sel:BYTE_0 src1_sel:DWORD
	s_andn2_b64 s[4:5], s[4:5], exec
	s_and_b64 s[8:9], s[8:9], exec
	s_or_b64 s[4:5], s[4:5], s[8:9]
	s_or_b64 exec, exec, s[6:7]
	s_and_saveexec_b64 s[6:7], s[4:5]
	s_cbranch_execnz .LBB9_1031
	s_branch .LBB9_1032
.LBB9_3081:
	s_movk_i32 s4, 0x80
	v_cmp_eq_u16_sdwa s[12:13], v21, s4 src0_sel:BYTE_0 src1_sel:DWORD
	s_mov_b64 s[4:5], -1
                                        ; implicit-def: $sgpr10
	s_and_saveexec_b64 s[8:9], s[12:13]
; %bb.3082:
	s_mov_b32 s10, 0x7f800001
	s_xor_b64 s[4:5], exec, -1
; %bb.3083:
	s_or_b64 exec, exec, s[8:9]
	s_and_b64 s[4:5], s[4:5], exec
	s_or_saveexec_b64 s[6:7], s[6:7]
	v_mov_b32_e32 v20, s10
	s_xor_b64 exec, exec, s[6:7]
	s_cbranch_execz .LBB9_1034
.LBB9_3084:
	v_mov_b32_e32 v20, 0
	v_cmp_ne_u16_sdwa s[8:9], v21, v20 src0_sel:BYTE_0 src1_sel:DWORD
	s_andn2_b64 s[4:5], s[4:5], exec
	s_and_b64 s[8:9], s[8:9], exec
	s_or_b64 s[4:5], s[4:5], s[8:9]
	s_or_b64 exec, exec, s[6:7]
	s_and_saveexec_b64 s[6:7], s[4:5]
	s_cbranch_execnz .LBB9_1035
	s_branch .LBB9_1036
.LBB9_3085:
	s_movk_i32 s4, 0x80
	v_cmp_eq_u16_sdwa s[12:13], v21, s4 src0_sel:BYTE_0 src1_sel:DWORD
	s_mov_b64 s[4:5], -1
                                        ; implicit-def: $sgpr10
	s_and_saveexec_b64 s[8:9], s[12:13]
; %bb.3086:
	s_mov_b32 s10, 0x7f800001
	s_xor_b64 s[4:5], exec, -1
; %bb.3087:
	s_or_b64 exec, exec, s[8:9]
	s_and_b64 s[4:5], s[4:5], exec
	s_or_saveexec_b64 s[6:7], s[6:7]
	v_mov_b32_e32 v22, s10
	s_xor_b64 exec, exec, s[6:7]
	s_cbranch_execz .LBB9_1038
.LBB9_3088:
	v_mov_b32_e32 v22, 0
	v_cmp_ne_u16_sdwa s[8:9], v21, v22 src0_sel:BYTE_0 src1_sel:DWORD
	s_andn2_b64 s[4:5], s[4:5], exec
	s_and_b64 s[8:9], s[8:9], exec
	s_or_b64 s[4:5], s[4:5], s[8:9]
	s_or_b64 exec, exec, s[6:7]
	s_and_saveexec_b64 s[6:7], s[4:5]
	s_cbranch_execnz .LBB9_1039
	s_branch .LBB9_1040
.LBB9_3089:
	s_movk_i32 s4, 0x80
	v_cmp_eq_u16_e32 vcc, s4, v21
	s_mov_b64 s[4:5], -1
                                        ; implicit-def: $sgpr10
	s_and_saveexec_b64 s[8:9], vcc
; %bb.3090:
	s_mov_b32 s10, 0x7f800001
	s_xor_b64 s[4:5], exec, -1
; %bb.3091:
	s_or_b64 exec, exec, s[8:9]
	s_and_b64 s[4:5], s[4:5], exec
                                        ; implicit-def: $vgpr21
	s_or_saveexec_b64 s[6:7], s[6:7]
	v_mov_b32_e32 v20, s10
	s_xor_b64 exec, exec, s[6:7]
	s_cbranch_execz .LBB9_1042
.LBB9_3092:
	v_cmp_ne_u16_e32 vcc, 0, v21
	s_andn2_b64 s[4:5], s[4:5], exec
	s_and_b64 s[8:9], vcc, exec
	v_mov_b32_e32 v20, 0
	s_or_b64 s[4:5], s[4:5], s[8:9]
	s_or_b64 exec, exec, s[6:7]
	s_and_saveexec_b64 s[6:7], s[4:5]
	s_cbranch_execnz .LBB9_1043
	s_branch .LBB9_1044
.LBB9_3093:
	s_movk_i32 s4, 0x80
	v_cmp_eq_u16_e32 vcc, s4, v21
	s_mov_b64 s[4:5], -1
                                        ; implicit-def: $sgpr10
	s_and_saveexec_b64 s[8:9], vcc
; %bb.3094:
	s_mov_b32 s10, 0x7f800001
	s_xor_b64 s[4:5], exec, -1
; %bb.3095:
	s_or_b64 exec, exec, s[8:9]
	s_and_b64 s[4:5], s[4:5], exec
                                        ; implicit-def: $vgpr21
	s_or_saveexec_b64 s[6:7], s[6:7]
	v_mov_b32_e32 v22, s10
	s_xor_b64 exec, exec, s[6:7]
	s_cbranch_execz .LBB9_1046
.LBB9_3096:
	v_cmp_ne_u16_e32 vcc, 0, v21
	s_andn2_b64 s[4:5], s[4:5], exec
	s_and_b64 s[8:9], vcc, exec
	v_mov_b32_e32 v22, 0
	s_or_b64 s[4:5], s[4:5], s[8:9]
	s_or_b64 exec, exec, s[6:7]
	s_and_saveexec_b64 s[6:7], s[4:5]
	s_cbranch_execnz .LBB9_1047
	s_branch .LBB9_1048
.LBB9_3097:
	s_movk_i32 s4, 0x80
	v_cmp_eq_u16_sdwa s[12:13], v14, s4 src0_sel:BYTE_3 src1_sel:DWORD
	s_mov_b64 s[4:5], -1
                                        ; implicit-def: $sgpr10
	s_and_saveexec_b64 s[8:9], s[12:13]
; %bb.3098:
	s_mov_b32 s10, 0x7f800001
	s_xor_b64 s[4:5], exec, -1
; %bb.3099:
	s_or_b64 exec, exec, s[8:9]
	s_and_b64 s[4:5], s[4:5], exec
	s_or_saveexec_b64 s[6:7], s[6:7]
	v_mov_b32_e32 v20, s10
	s_xor_b64 exec, exec, s[6:7]
	s_cbranch_execz .LBB9_1050
.LBB9_3100:
	v_mov_b32_e32 v20, 0
	v_cmp_ne_u16_sdwa s[8:9], v14, v20 src0_sel:BYTE_3 src1_sel:DWORD
	s_andn2_b64 s[4:5], s[4:5], exec
	s_and_b64 s[8:9], s[8:9], exec
	s_or_b64 s[4:5], s[4:5], s[8:9]
	s_or_b64 exec, exec, s[6:7]
	s_and_saveexec_b64 s[6:7], s[4:5]
	s_cbranch_execnz .LBB9_1051
	s_branch .LBB9_1052
.LBB9_3101:
	s_movk_i32 s4, 0x80
	v_cmp_eq_u16_sdwa s[12:13], v10, s4 src0_sel:BYTE_3 src1_sel:DWORD
	s_mov_b64 s[4:5], -1
                                        ; implicit-def: $sgpr10
	s_and_saveexec_b64 s[8:9], s[12:13]
; %bb.3102:
	s_mov_b32 s10, 0x7f800001
	s_xor_b64 s[4:5], exec, -1
; %bb.3103:
	s_or_b64 exec, exec, s[8:9]
	s_and_b64 s[4:5], s[4:5], exec
	s_or_saveexec_b64 s[6:7], s[6:7]
	v_mov_b32_e32 v14, s10
	s_xor_b64 exec, exec, s[6:7]
	s_cbranch_execz .LBB9_1054
.LBB9_3104:
	v_mov_b32_e32 v14, 0
	v_cmp_ne_u16_sdwa s[8:9], v10, v14 src0_sel:BYTE_3 src1_sel:DWORD
	s_andn2_b64 s[4:5], s[4:5], exec
	s_and_b64 s[8:9], s[8:9], exec
	s_or_b64 s[4:5], s[4:5], s[8:9]
	s_or_b64 exec, exec, s[6:7]
	s_and_saveexec_b64 s[6:7], s[4:5]
	s_cbranch_execnz .LBB9_1055
	s_branch .LBB9_1056
.LBB9_3105:
	s_movk_i32 s4, 0x80
	v_cmp_eq_u16_sdwa s[12:13], v15, s4 src0_sel:BYTE_0 src1_sel:DWORD
	s_mov_b64 s[4:5], -1
                                        ; implicit-def: $sgpr10
	s_and_saveexec_b64 s[8:9], s[12:13]
; %bb.3106:
	s_mov_b32 s10, 0x7f800001
	s_xor_b64 s[4:5], exec, -1
; %bb.3107:
	s_or_b64 exec, exec, s[8:9]
	s_and_b64 s[4:5], s[4:5], exec
	s_or_saveexec_b64 s[6:7], s[6:7]
	v_mov_b32_e32 v10, s10
	s_xor_b64 exec, exec, s[6:7]
	s_cbranch_execz .LBB9_1058
.LBB9_3108:
	v_mov_b32_e32 v10, 0
	v_cmp_ne_u16_sdwa s[8:9], v15, v10 src0_sel:BYTE_0 src1_sel:DWORD
	s_andn2_b64 s[4:5], s[4:5], exec
	s_and_b64 s[8:9], s[8:9], exec
	s_or_b64 s[4:5], s[4:5], s[8:9]
	s_or_b64 exec, exec, s[6:7]
	s_and_saveexec_b64 s[6:7], s[4:5]
	s_cbranch_execnz .LBB9_1059
	s_branch .LBB9_1060
.LBB9_3109:
	s_movk_i32 s4, 0x80
	v_cmp_eq_u16_sdwa s[12:13], v11, s4 src0_sel:BYTE_0 src1_sel:DWORD
	s_mov_b64 s[4:5], -1
                                        ; implicit-def: $sgpr10
	s_and_saveexec_b64 s[8:9], s[12:13]
; %bb.3110:
	s_mov_b32 s10, 0x7f800001
	s_xor_b64 s[4:5], exec, -1
; %bb.3111:
	s_or_b64 exec, exec, s[8:9]
	s_and_b64 s[4:5], s[4:5], exec
	s_or_saveexec_b64 s[6:7], s[6:7]
	v_mov_b32_e32 v14, s10
	s_xor_b64 exec, exec, s[6:7]
	s_cbranch_execz .LBB9_1062
.LBB9_3112:
	v_mov_b32_e32 v14, 0
	v_cmp_ne_u16_sdwa s[8:9], v11, v14 src0_sel:BYTE_0 src1_sel:DWORD
	s_andn2_b64 s[4:5], s[4:5], exec
	s_and_b64 s[8:9], s[8:9], exec
	s_or_b64 s[4:5], s[4:5], s[8:9]
	s_or_b64 exec, exec, s[6:7]
	s_and_saveexec_b64 s[6:7], s[4:5]
	s_cbranch_execnz .LBB9_1063
	s_branch .LBB9_1064
.LBB9_3113:
	s_movk_i32 s4, 0x80
	v_cmp_eq_u16_sdwa s[12:13], v14, s4 src0_sel:BYTE_0 src1_sel:DWORD
	s_mov_b64 s[4:5], -1
                                        ; implicit-def: $sgpr10
	s_and_saveexec_b64 s[8:9], s[12:13]
; %bb.3114:
	s_mov_b32 s10, 0x7f800001
	s_xor_b64 s[4:5], exec, -1
; %bb.3115:
	s_or_b64 exec, exec, s[8:9]
	s_and_b64 s[4:5], s[4:5], exec
	s_or_saveexec_b64 s[6:7], s[6:7]
	v_mov_b32_e32 v10, s10
	s_xor_b64 exec, exec, s[6:7]
	s_cbranch_execz .LBB9_1066
.LBB9_3116:
	v_mov_b32_e32 v10, 0
	v_cmp_ne_u16_sdwa s[8:9], v14, v10 src0_sel:BYTE_0 src1_sel:DWORD
	s_andn2_b64 s[4:5], s[4:5], exec
	s_and_b64 s[8:9], s[8:9], exec
	s_or_b64 s[4:5], s[4:5], s[8:9]
	s_or_b64 exec, exec, s[6:7]
	s_and_saveexec_b64 s[6:7], s[4:5]
	s_cbranch_execnz .LBB9_1067
	s_branch .LBB9_1068
.LBB9_3117:
	s_movk_i32 s4, 0x80
	v_cmp_eq_u16_sdwa s[12:13], v14, s4 src0_sel:BYTE_0 src1_sel:DWORD
	s_mov_b64 s[4:5], -1
                                        ; implicit-def: $sgpr10
	s_and_saveexec_b64 s[8:9], s[12:13]
; %bb.3118:
	s_mov_b32 s10, 0x7f800001
	s_xor_b64 s[4:5], exec, -1
; %bb.3119:
	s_or_b64 exec, exec, s[8:9]
	s_and_b64 s[4:5], s[4:5], exec
	s_or_saveexec_b64 s[6:7], s[6:7]
	v_mov_b32_e32 v20, s10
	s_xor_b64 exec, exec, s[6:7]
	s_cbranch_execz .LBB9_1070
.LBB9_3120:
	v_mov_b32_e32 v20, 0
	v_cmp_ne_u16_sdwa s[8:9], v14, v20 src0_sel:BYTE_0 src1_sel:DWORD
	s_andn2_b64 s[4:5], s[4:5], exec
	s_and_b64 s[8:9], s[8:9], exec
	s_or_b64 s[4:5], s[4:5], s[8:9]
	s_or_b64 exec, exec, s[6:7]
	s_and_saveexec_b64 s[6:7], s[4:5]
	s_cbranch_execnz .LBB9_1071
	s_branch .LBB9_1072
.LBB9_3121:
	s_movk_i32 s4, 0x80
	v_cmp_eq_u16_e32 vcc, s4, v14
	s_mov_b64 s[4:5], -1
                                        ; implicit-def: $sgpr10
	s_and_saveexec_b64 s[8:9], vcc
; %bb.3122:
	s_mov_b32 s10, 0x7f800001
	s_xor_b64 s[4:5], exec, -1
; %bb.3123:
	s_or_b64 exec, exec, s[8:9]
	s_and_b64 s[4:5], s[4:5], exec
                                        ; implicit-def: $vgpr14
	s_or_saveexec_b64 s[6:7], s[6:7]
	v_mov_b32_e32 v10, s10
	s_xor_b64 exec, exec, s[6:7]
	s_cbranch_execz .LBB9_1074
.LBB9_3124:
	v_cmp_ne_u16_e32 vcc, 0, v14
	s_andn2_b64 s[4:5], s[4:5], exec
	s_and_b64 s[8:9], vcc, exec
	v_mov_b32_e32 v10, 0
	s_or_b64 s[4:5], s[4:5], s[8:9]
	s_or_b64 exec, exec, s[6:7]
	s_and_saveexec_b64 s[6:7], s[4:5]
	s_cbranch_execnz .LBB9_1075
	s_branch .LBB9_1076
.LBB9_3125:
	s_movk_i32 s4, 0x80
	v_cmp_eq_u16_e32 vcc, s4, v14
	s_mov_b64 s[4:5], -1
                                        ; implicit-def: $sgpr10
	s_and_saveexec_b64 s[8:9], vcc
; %bb.3126:
	s_mov_b32 s10, 0x7f800001
	s_xor_b64 s[4:5], exec, -1
; %bb.3127:
	s_or_b64 exec, exec, s[8:9]
	s_and_b64 s[4:5], s[4:5], exec
                                        ; implicit-def: $vgpr14
	s_or_saveexec_b64 s[6:7], s[6:7]
	v_mov_b32_e32 v20, s10
	s_xor_b64 exec, exec, s[6:7]
	s_cbranch_execz .LBB9_1078
.LBB9_3128:
	v_cmp_ne_u16_e32 vcc, 0, v14
	s_andn2_b64 s[4:5], s[4:5], exec
	s_and_b64 s[8:9], vcc, exec
	v_mov_b32_e32 v20, 0
	s_or_b64 s[4:5], s[4:5], s[8:9]
	s_or_b64 exec, exec, s[6:7]
	s_and_saveexec_b64 s[6:7], s[4:5]
	s_cbranch_execnz .LBB9_1079
	s_branch .LBB9_1080
.LBB9_3129:
	s_movk_i32 s4, 0x80
	v_cmp_eq_u16_sdwa s[12:13], v15, s4 src0_sel:BYTE_3 src1_sel:DWORD
	s_mov_b64 s[4:5], -1
                                        ; implicit-def: $sgpr10
	s_and_saveexec_b64 s[8:9], s[12:13]
; %bb.3130:
	s_mov_b32 s10, 0x7f800001
	s_xor_b64 s[4:5], exec, -1
; %bb.3131:
	s_or_b64 exec, exec, s[8:9]
	s_and_b64 s[4:5], s[4:5], exec
	s_or_saveexec_b64 s[6:7], s[6:7]
	v_mov_b32_e32 v10, s10
	s_xor_b64 exec, exec, s[6:7]
	s_cbranch_execz .LBB9_1082
.LBB9_3132:
	v_mov_b32_e32 v10, 0
	v_cmp_ne_u16_sdwa s[8:9], v15, v10 src0_sel:BYTE_3 src1_sel:DWORD
	s_andn2_b64 s[4:5], s[4:5], exec
	s_and_b64 s[8:9], s[8:9], exec
	s_or_b64 s[4:5], s[4:5], s[8:9]
	s_or_b64 exec, exec, s[6:7]
	s_and_saveexec_b64 s[6:7], s[4:5]
	s_cbranch_execnz .LBB9_1083
	s_branch .LBB9_1084
.LBB9_3133:
	s_movk_i32 s4, 0x80
	v_cmp_eq_u16_sdwa s[12:13], v11, s4 src0_sel:BYTE_3 src1_sel:DWORD
	s_mov_b64 s[4:5], -1
                                        ; implicit-def: $sgpr10
	s_and_saveexec_b64 s[8:9], s[12:13]
; %bb.3134:
	s_mov_b32 s10, 0x7f800001
	s_xor_b64 s[4:5], exec, -1
; %bb.3135:
	s_or_b64 exec, exec, s[8:9]
	s_and_b64 s[4:5], s[4:5], exec
	s_or_saveexec_b64 s[6:7], s[6:7]
	v_mov_b32_e32 v14, s10
	s_xor_b64 exec, exec, s[6:7]
	s_cbranch_execz .LBB9_1086
.LBB9_3136:
	v_mov_b32_e32 v14, 0
	v_cmp_ne_u16_sdwa s[8:9], v11, v14 src0_sel:BYTE_3 src1_sel:DWORD
	s_andn2_b64 s[4:5], s[4:5], exec
	s_and_b64 s[8:9], s[8:9], exec
	s_or_b64 s[4:5], s[4:5], s[8:9]
	s_or_b64 exec, exec, s[6:7]
	s_and_saveexec_b64 s[6:7], s[4:5]
	s_cbranch_execnz .LBB9_1087
	s_branch .LBB9_1088
.LBB9_3137:
	s_movk_i32 s4, 0x80
	v_cmp_eq_u16_sdwa s[12:13], v16, s4 src0_sel:BYTE_0 src1_sel:DWORD
	s_mov_b64 s[4:5], -1
                                        ; implicit-def: $sgpr10
	s_and_saveexec_b64 s[8:9], s[12:13]
; %bb.3138:
	s_mov_b32 s10, 0x7f800001
	s_xor_b64 s[4:5], exec, -1
; %bb.3139:
	s_or_b64 exec, exec, s[8:9]
	s_and_b64 s[4:5], s[4:5], exec
	s_or_saveexec_b64 s[6:7], s[6:7]
	v_mov_b32_e32 v10, s10
	s_xor_b64 exec, exec, s[6:7]
	s_cbranch_execz .LBB9_1090
.LBB9_3140:
	v_mov_b32_e32 v10, 0
	v_cmp_ne_u16_sdwa s[8:9], v16, v10 src0_sel:BYTE_0 src1_sel:DWORD
	s_andn2_b64 s[4:5], s[4:5], exec
	s_and_b64 s[8:9], s[8:9], exec
	s_or_b64 s[4:5], s[4:5], s[8:9]
	s_or_b64 exec, exec, s[6:7]
	s_and_saveexec_b64 s[6:7], s[4:5]
	s_cbranch_execnz .LBB9_1091
	s_branch .LBB9_1092
.LBB9_3141:
	s_movk_i32 s4, 0x80
	v_cmp_eq_u16_sdwa s[12:13], v12, s4 src0_sel:BYTE_0 src1_sel:DWORD
	s_mov_b64 s[4:5], -1
                                        ; implicit-def: $sgpr10
	s_and_saveexec_b64 s[8:9], s[12:13]
; %bb.3142:
	s_mov_b32 s10, 0x7f800001
	s_xor_b64 s[4:5], exec, -1
; %bb.3143:
	s_or_b64 exec, exec, s[8:9]
	s_and_b64 s[4:5], s[4:5], exec
	s_or_saveexec_b64 s[6:7], s[6:7]
	v_mov_b32_e32 v11, s10
	s_xor_b64 exec, exec, s[6:7]
	s_cbranch_execz .LBB9_1094
.LBB9_3144:
	v_mov_b32_e32 v11, 0
	v_cmp_ne_u16_sdwa s[8:9], v12, v11 src0_sel:BYTE_0 src1_sel:DWORD
	s_andn2_b64 s[4:5], s[4:5], exec
	s_and_b64 s[8:9], s[8:9], exec
	s_or_b64 s[4:5], s[4:5], s[8:9]
	s_or_b64 exec, exec, s[6:7]
	s_and_saveexec_b64 s[6:7], s[4:5]
	s_cbranch_execnz .LBB9_1095
	s_branch .LBB9_1096
.LBB9_3145:
	s_movk_i32 s4, 0x80
	v_cmp_eq_u16_sdwa s[12:13], v11, s4 src0_sel:BYTE_0 src1_sel:DWORD
	s_mov_b64 s[4:5], -1
                                        ; implicit-def: $sgpr10
	s_and_saveexec_b64 s[8:9], s[12:13]
; %bb.3146:
	s_mov_b32 s10, 0x7f800001
	s_xor_b64 s[4:5], exec, -1
; %bb.3147:
	s_or_b64 exec, exec, s[8:9]
	s_and_b64 s[4:5], s[4:5], exec
	s_or_saveexec_b64 s[6:7], s[6:7]
	v_mov_b32_e32 v10, s10
	s_xor_b64 exec, exec, s[6:7]
	s_cbranch_execz .LBB9_1098
.LBB9_3148:
	v_mov_b32_e32 v10, 0
	v_cmp_ne_u16_sdwa s[8:9], v11, v10 src0_sel:BYTE_0 src1_sel:DWORD
	s_andn2_b64 s[4:5], s[4:5], exec
	s_and_b64 s[8:9], s[8:9], exec
	s_or_b64 s[4:5], s[4:5], s[8:9]
	s_or_b64 exec, exec, s[6:7]
	s_and_saveexec_b64 s[6:7], s[4:5]
	s_cbranch_execnz .LBB9_1099
	s_branch .LBB9_1100
.LBB9_3149:
	s_movk_i32 s4, 0x80
	v_cmp_eq_u16_sdwa s[12:13], v11, s4 src0_sel:BYTE_0 src1_sel:DWORD
	s_mov_b64 s[4:5], -1
                                        ; implicit-def: $sgpr10
	s_and_saveexec_b64 s[8:9], s[12:13]
; %bb.3150:
	s_mov_b32 s10, 0x7f800001
	s_xor_b64 s[4:5], exec, -1
; %bb.3151:
	s_or_b64 exec, exec, s[8:9]
	s_and_b64 s[4:5], s[4:5], exec
	s_or_saveexec_b64 s[6:7], s[6:7]
	v_mov_b32_e32 v14, s10
	s_xor_b64 exec, exec, s[6:7]
	s_cbranch_execz .LBB9_1102
.LBB9_3152:
	v_mov_b32_e32 v14, 0
	v_cmp_ne_u16_sdwa s[8:9], v11, v14 src0_sel:BYTE_0 src1_sel:DWORD
	s_andn2_b64 s[4:5], s[4:5], exec
	s_and_b64 s[8:9], s[8:9], exec
	s_or_b64 s[4:5], s[4:5], s[8:9]
	s_or_b64 exec, exec, s[6:7]
	s_and_saveexec_b64 s[6:7], s[4:5]
	s_cbranch_execnz .LBB9_1103
	s_branch .LBB9_1104
.LBB9_3153:
	s_movk_i32 s4, 0x80
	v_cmp_eq_u16_e32 vcc, s4, v11
	s_mov_b64 s[4:5], -1
                                        ; implicit-def: $sgpr10
	s_and_saveexec_b64 s[8:9], vcc
; %bb.3154:
	s_mov_b32 s10, 0x7f800001
	s_xor_b64 s[4:5], exec, -1
; %bb.3155:
	s_or_b64 exec, exec, s[8:9]
	s_and_b64 s[4:5], s[4:5], exec
                                        ; implicit-def: $vgpr11
	s_or_saveexec_b64 s[6:7], s[6:7]
	v_mov_b32_e32 v10, s10
	s_xor_b64 exec, exec, s[6:7]
	s_cbranch_execz .LBB9_1106
.LBB9_3156:
	v_cmp_ne_u16_e32 vcc, 0, v11
	s_andn2_b64 s[4:5], s[4:5], exec
	s_and_b64 s[8:9], vcc, exec
	v_mov_b32_e32 v10, 0
	s_or_b64 s[4:5], s[4:5], s[8:9]
	s_or_b64 exec, exec, s[6:7]
	s_and_saveexec_b64 s[6:7], s[4:5]
	s_cbranch_execnz .LBB9_1107
	s_branch .LBB9_1108
.LBB9_3157:
	s_movk_i32 s4, 0x80
	v_cmp_eq_u16_e32 vcc, s4, v11
	s_mov_b64 s[4:5], -1
                                        ; implicit-def: $sgpr10
	s_and_saveexec_b64 s[8:9], vcc
; %bb.3158:
	s_mov_b32 s10, 0x7f800001
	s_xor_b64 s[4:5], exec, -1
; %bb.3159:
	s_or_b64 exec, exec, s[8:9]
	s_and_b64 s[4:5], s[4:5], exec
                                        ; implicit-def: $vgpr11
	s_or_saveexec_b64 s[6:7], s[6:7]
	v_mov_b32_e32 v14, s10
	s_xor_b64 exec, exec, s[6:7]
	s_cbranch_execz .LBB9_1110
.LBB9_3160:
	v_cmp_ne_u16_e32 vcc, 0, v11
	s_andn2_b64 s[4:5], s[4:5], exec
	s_and_b64 s[8:9], vcc, exec
	v_mov_b32_e32 v14, 0
	s_or_b64 s[4:5], s[4:5], s[8:9]
	s_or_b64 exec, exec, s[6:7]
	s_and_saveexec_b64 s[6:7], s[4:5]
	s_cbranch_execnz .LBB9_1111
	s_branch .LBB9_1112
.LBB9_3161:
	s_movk_i32 s4, 0x80
	v_cmp_eq_u16_sdwa s[12:13], v16, s4 src0_sel:BYTE_3 src1_sel:DWORD
	s_mov_b64 s[4:5], -1
                                        ; implicit-def: $sgpr10
	s_and_saveexec_b64 s[8:9], s[12:13]
; %bb.3162:
	s_mov_b32 s10, 0x7f800001
	s_xor_b64 s[4:5], exec, -1
; %bb.3163:
	s_or_b64 exec, exec, s[8:9]
	s_and_b64 s[4:5], s[4:5], exec
	s_or_saveexec_b64 s[6:7], s[6:7]
	v_mov_b32_e32 v10, s10
	s_xor_b64 exec, exec, s[6:7]
	s_cbranch_execz .LBB9_1114
.LBB9_3164:
	v_mov_b32_e32 v10, 0
	v_cmp_ne_u16_sdwa s[8:9], v16, v10 src0_sel:BYTE_3 src1_sel:DWORD
	s_andn2_b64 s[4:5], s[4:5], exec
	s_and_b64 s[8:9], s[8:9], exec
	s_or_b64 s[4:5], s[4:5], s[8:9]
	s_or_b64 exec, exec, s[6:7]
	s_and_saveexec_b64 s[6:7], s[4:5]
	s_cbranch_execnz .LBB9_1115
	s_branch .LBB9_1116
.LBB9_3165:
	s_movk_i32 s4, 0x80
	v_cmp_eq_u16_sdwa s[12:13], v12, s4 src0_sel:BYTE_3 src1_sel:DWORD
	s_mov_b64 s[4:5], -1
                                        ; implicit-def: $sgpr10
	s_and_saveexec_b64 s[8:9], s[12:13]
; %bb.3166:
	s_mov_b32 s10, 0x7f800001
	s_xor_b64 s[4:5], exec, -1
; %bb.3167:
	s_or_b64 exec, exec, s[8:9]
	s_and_b64 s[4:5], s[4:5], exec
	s_or_saveexec_b64 s[6:7], s[6:7]
	v_mov_b32_e32 v11, s10
	s_xor_b64 exec, exec, s[6:7]
	s_cbranch_execz .LBB9_1118
.LBB9_3168:
	v_mov_b32_e32 v11, 0
	v_cmp_ne_u16_sdwa s[8:9], v12, v11 src0_sel:BYTE_3 src1_sel:DWORD
	s_andn2_b64 s[4:5], s[4:5], exec
	s_and_b64 s[8:9], s[8:9], exec
	s_or_b64 s[4:5], s[4:5], s[8:9]
	s_or_b64 exec, exec, s[6:7]
	s_and_saveexec_b64 s[6:7], s[4:5]
	s_cbranch_execnz .LBB9_1119
	s_branch .LBB9_1120
.LBB9_3169:
	s_movk_i32 s4, 0x80
	v_cmp_eq_u16_sdwa s[12:13], v17, s4 src0_sel:BYTE_0 src1_sel:DWORD
	s_mov_b64 s[4:5], -1
                                        ; implicit-def: $sgpr10
	s_and_saveexec_b64 s[8:9], s[12:13]
; %bb.3170:
	s_mov_b32 s10, 0x7f800001
	s_xor_b64 s[4:5], exec, -1
; %bb.3171:
	s_or_b64 exec, exec, s[8:9]
	s_and_b64 s[4:5], s[4:5], exec
	s_or_saveexec_b64 s[6:7], s[6:7]
	v_mov_b32_e32 v10, s10
	s_xor_b64 exec, exec, s[6:7]
	s_cbranch_execz .LBB9_1122
.LBB9_3172:
	v_mov_b32_e32 v10, 0
	v_cmp_ne_u16_sdwa s[8:9], v17, v10 src0_sel:BYTE_0 src1_sel:DWORD
	s_andn2_b64 s[4:5], s[4:5], exec
	s_and_b64 s[8:9], s[8:9], exec
	s_or_b64 s[4:5], s[4:5], s[8:9]
	s_or_b64 exec, exec, s[6:7]
	s_and_saveexec_b64 s[6:7], s[4:5]
	s_cbranch_execnz .LBB9_1123
	s_branch .LBB9_1124
.LBB9_3173:
	s_movk_i32 s4, 0x80
	v_cmp_eq_u16_sdwa s[12:13], v13, s4 src0_sel:BYTE_0 src1_sel:DWORD
	s_mov_b64 s[4:5], -1
                                        ; implicit-def: $sgpr10
	s_and_saveexec_b64 s[8:9], s[12:13]
; %bb.3174:
	s_mov_b32 s10, 0x7f800001
	s_xor_b64 s[4:5], exec, -1
; %bb.3175:
	s_or_b64 exec, exec, s[8:9]
	s_and_b64 s[4:5], s[4:5], exec
	s_or_saveexec_b64 s[6:7], s[6:7]
	v_mov_b32_e32 v11, s10
	s_xor_b64 exec, exec, s[6:7]
	s_cbranch_execz .LBB9_1126
.LBB9_3176:
	v_mov_b32_e32 v11, 0
	v_cmp_ne_u16_sdwa s[8:9], v13, v11 src0_sel:BYTE_0 src1_sel:DWORD
	s_andn2_b64 s[4:5], s[4:5], exec
	s_and_b64 s[8:9], s[8:9], exec
	s_or_b64 s[4:5], s[4:5], s[8:9]
	s_or_b64 exec, exec, s[6:7]
	s_and_saveexec_b64 s[6:7], s[4:5]
	s_cbranch_execnz .LBB9_1127
	s_branch .LBB9_1128
.LBB9_3177:
	s_movk_i32 s4, 0x80
	v_cmp_eq_u16_sdwa s[12:13], v11, s4 src0_sel:BYTE_0 src1_sel:DWORD
	s_mov_b64 s[4:5], -1
                                        ; implicit-def: $sgpr10
	s_and_saveexec_b64 s[8:9], s[12:13]
; %bb.3178:
	s_mov_b32 s10, 0x7f800001
	s_xor_b64 s[4:5], exec, -1
; %bb.3179:
	s_or_b64 exec, exec, s[8:9]
	s_and_b64 s[4:5], s[4:5], exec
	s_or_saveexec_b64 s[6:7], s[6:7]
	v_mov_b32_e32 v10, s10
	s_xor_b64 exec, exec, s[6:7]
	s_cbranch_execz .LBB9_1130
.LBB9_3180:
	v_mov_b32_e32 v10, 0
	v_cmp_ne_u16_sdwa s[8:9], v11, v10 src0_sel:BYTE_0 src1_sel:DWORD
	s_andn2_b64 s[4:5], s[4:5], exec
	s_and_b64 s[8:9], s[8:9], exec
	s_or_b64 s[4:5], s[4:5], s[8:9]
	s_or_b64 exec, exec, s[6:7]
	s_and_saveexec_b64 s[6:7], s[4:5]
	s_cbranch_execnz .LBB9_1131
	s_branch .LBB9_1132
.LBB9_3181:
	s_movk_i32 s4, 0x80
	v_cmp_eq_u16_sdwa s[12:13], v11, s4 src0_sel:BYTE_0 src1_sel:DWORD
	s_mov_b64 s[4:5], -1
                                        ; implicit-def: $sgpr10
	s_and_saveexec_b64 s[8:9], s[12:13]
; %bb.3182:
	s_mov_b32 s10, 0x7f800001
	s_xor_b64 s[4:5], exec, -1
; %bb.3183:
	s_or_b64 exec, exec, s[8:9]
	s_and_b64 s[4:5], s[4:5], exec
	s_or_saveexec_b64 s[6:7], s[6:7]
	v_mov_b32_e32 v12, s10
	s_xor_b64 exec, exec, s[6:7]
	s_cbranch_execz .LBB9_1134
.LBB9_3184:
	v_mov_b32_e32 v12, 0
	v_cmp_ne_u16_sdwa s[8:9], v11, v12 src0_sel:BYTE_0 src1_sel:DWORD
	s_andn2_b64 s[4:5], s[4:5], exec
	s_and_b64 s[8:9], s[8:9], exec
	s_or_b64 s[4:5], s[4:5], s[8:9]
	s_or_b64 exec, exec, s[6:7]
	s_and_saveexec_b64 s[6:7], s[4:5]
	s_cbranch_execnz .LBB9_1135
	s_branch .LBB9_1136
.LBB9_3185:
	s_movk_i32 s4, 0x80
	v_cmp_eq_u16_e32 vcc, s4, v11
	s_mov_b64 s[4:5], -1
                                        ; implicit-def: $sgpr10
	s_and_saveexec_b64 s[8:9], vcc
; %bb.3186:
	s_mov_b32 s10, 0x7f800001
	s_xor_b64 s[4:5], exec, -1
; %bb.3187:
	s_or_b64 exec, exec, s[8:9]
	s_and_b64 s[4:5], s[4:5], exec
                                        ; implicit-def: $vgpr11
	s_or_saveexec_b64 s[6:7], s[6:7]
	v_mov_b32_e32 v10, s10
	s_xor_b64 exec, exec, s[6:7]
	s_cbranch_execz .LBB9_1138
.LBB9_3188:
	v_cmp_ne_u16_e32 vcc, 0, v11
	s_andn2_b64 s[4:5], s[4:5], exec
	s_and_b64 s[8:9], vcc, exec
	v_mov_b32_e32 v10, 0
	s_or_b64 s[4:5], s[4:5], s[8:9]
	s_or_b64 exec, exec, s[6:7]
	s_and_saveexec_b64 s[6:7], s[4:5]
	s_cbranch_execnz .LBB9_1139
	s_branch .LBB9_1140
.LBB9_3189:
	s_movk_i32 s4, 0x80
	v_cmp_eq_u16_e32 vcc, s4, v11
	s_mov_b64 s[4:5], -1
                                        ; implicit-def: $sgpr10
	s_and_saveexec_b64 s[8:9], vcc
; %bb.3190:
	s_mov_b32 s10, 0x7f800001
	s_xor_b64 s[4:5], exec, -1
; %bb.3191:
	s_or_b64 exec, exec, s[8:9]
	s_and_b64 s[4:5], s[4:5], exec
                                        ; implicit-def: $vgpr11
	s_or_saveexec_b64 s[6:7], s[6:7]
	v_mov_b32_e32 v12, s10
	s_xor_b64 exec, exec, s[6:7]
	s_cbranch_execz .LBB9_1142
.LBB9_3192:
	v_cmp_ne_u16_e32 vcc, 0, v11
	s_andn2_b64 s[4:5], s[4:5], exec
	s_and_b64 s[8:9], vcc, exec
	v_mov_b32_e32 v12, 0
	s_or_b64 s[4:5], s[4:5], s[8:9]
	s_or_b64 exec, exec, s[6:7]
	s_and_saveexec_b64 s[6:7], s[4:5]
	s_cbranch_execnz .LBB9_1143
	s_branch .LBB9_1144
.LBB9_3193:
	s_movk_i32 s4, 0x80
	v_cmp_eq_u16_sdwa s[12:13], v17, s4 src0_sel:BYTE_3 src1_sel:DWORD
	s_mov_b64 s[4:5], -1
                                        ; implicit-def: $sgpr10
	s_and_saveexec_b64 s[8:9], s[12:13]
; %bb.3194:
	s_mov_b32 s10, 0x7f800001
	s_xor_b64 s[4:5], exec, -1
; %bb.3195:
	s_or_b64 exec, exec, s[8:9]
	s_and_b64 s[4:5], s[4:5], exec
	s_or_saveexec_b64 s[6:7], s[6:7]
	v_mov_b32_e32 v10, s10
	s_xor_b64 exec, exec, s[6:7]
	s_cbranch_execz .LBB9_1146
.LBB9_3196:
	v_mov_b32_e32 v10, 0
	v_cmp_ne_u16_sdwa s[8:9], v17, v10 src0_sel:BYTE_3 src1_sel:DWORD
	s_andn2_b64 s[4:5], s[4:5], exec
	s_and_b64 s[8:9], s[8:9], exec
	s_or_b64 s[4:5], s[4:5], s[8:9]
	s_or_b64 exec, exec, s[6:7]
	s_and_saveexec_b64 s[6:7], s[4:5]
	s_cbranch_execnz .LBB9_1147
	s_branch .LBB9_1148
.LBB9_3197:
	s_movk_i32 s4, 0x80
	v_cmp_eq_u16_sdwa s[12:13], v13, s4 src0_sel:BYTE_3 src1_sel:DWORD
	s_mov_b64 s[4:5], -1
                                        ; implicit-def: $sgpr10
	s_and_saveexec_b64 s[8:9], s[12:13]
; %bb.3198:
	s_mov_b32 s10, 0x7f800001
	s_xor_b64 s[4:5], exec, -1
; %bb.3199:
	s_or_b64 exec, exec, s[8:9]
	s_and_b64 s[4:5], s[4:5], exec
	s_or_saveexec_b64 s[6:7], s[6:7]
	v_mov_b32_e32 v11, s10
	s_xor_b64 exec, exec, s[6:7]
	s_cbranch_execz .LBB9_1150
.LBB9_3200:
	v_mov_b32_e32 v11, 0
	v_cmp_ne_u16_sdwa s[8:9], v13, v11 src0_sel:BYTE_3 src1_sel:DWORD
	s_andn2_b64 s[4:5], s[4:5], exec
	s_and_b64 s[8:9], s[8:9], exec
	s_or_b64 s[4:5], s[4:5], s[8:9]
	s_or_b64 exec, exec, s[6:7]
	s_and_saveexec_b64 s[6:7], s[4:5]
	s_cbranch_execnz .LBB9_1151
	s_branch .LBB9_1152
.LBB9_3201:
	s_movk_i32 s4, 0x80
	v_cmp_eq_u16_sdwa s[12:13], v6, s4 src0_sel:BYTE_0 src1_sel:DWORD
	s_mov_b64 s[4:5], -1
                                        ; implicit-def: $sgpr10
	s_and_saveexec_b64 s[8:9], s[12:13]
; %bb.3202:
	s_mov_b32 s10, 0x7f800001
	s_xor_b64 s[4:5], exec, -1
; %bb.3203:
	s_or_b64 exec, exec, s[8:9]
	s_and_b64 s[4:5], s[4:5], exec
	s_or_saveexec_b64 s[6:7], s[6:7]
	v_mov_b32_e32 v10, s10
	s_xor_b64 exec, exec, s[6:7]
	s_cbranch_execz .LBB9_1154
.LBB9_3204:
	v_mov_b32_e32 v10, 0
	v_cmp_ne_u16_sdwa s[8:9], v6, v10 src0_sel:BYTE_0 src1_sel:DWORD
	s_andn2_b64 s[4:5], s[4:5], exec
	s_and_b64 s[8:9], s[8:9], exec
	s_or_b64 s[4:5], s[4:5], s[8:9]
	s_or_b64 exec, exec, s[6:7]
	s_and_saveexec_b64 s[6:7], s[4:5]
	s_cbranch_execnz .LBB9_1155
	s_branch .LBB9_1156
.LBB9_3205:
	s_movk_i32 s4, 0x80
	v_cmp_eq_u16_sdwa s[12:13], v2, s4 src0_sel:BYTE_0 src1_sel:DWORD
	s_mov_b64 s[4:5], -1
                                        ; implicit-def: $sgpr10
	s_and_saveexec_b64 s[8:9], s[12:13]
; %bb.3206:
	s_mov_b32 s10, 0x7f800001
	s_xor_b64 s[4:5], exec, -1
; %bb.3207:
	s_or_b64 exec, exec, s[8:9]
	s_and_b64 s[4:5], s[4:5], exec
	s_or_saveexec_b64 s[6:7], s[6:7]
	v_mov_b32_e32 v11, s10
	s_xor_b64 exec, exec, s[6:7]
	s_cbranch_execz .LBB9_1158
.LBB9_3208:
	v_mov_b32_e32 v11, 0
	v_cmp_ne_u16_sdwa s[8:9], v2, v11 src0_sel:BYTE_0 src1_sel:DWORD
	s_andn2_b64 s[4:5], s[4:5], exec
	s_and_b64 s[8:9], s[8:9], exec
	s_or_b64 s[4:5], s[4:5], s[8:9]
	s_or_b64 exec, exec, s[6:7]
	s_and_saveexec_b64 s[6:7], s[4:5]
	s_cbranch_execnz .LBB9_1159
	s_branch .LBB9_1160
.LBB9_3209:
	s_movk_i32 s4, 0x80
	v_cmp_eq_u16_sdwa s[12:13], v11, s4 src0_sel:BYTE_0 src1_sel:DWORD
	s_mov_b64 s[4:5], -1
                                        ; implicit-def: $sgpr10
	s_and_saveexec_b64 s[8:9], s[12:13]
; %bb.3210:
	s_mov_b32 s10, 0x7f800001
	s_xor_b64 s[4:5], exec, -1
; %bb.3211:
	s_or_b64 exec, exec, s[8:9]
	s_and_b64 s[4:5], s[4:5], exec
	s_or_saveexec_b64 s[6:7], s[6:7]
	v_mov_b32_e32 v10, s10
	s_xor_b64 exec, exec, s[6:7]
	s_cbranch_execz .LBB9_1162
.LBB9_3212:
	v_mov_b32_e32 v10, 0
	v_cmp_ne_u16_sdwa s[8:9], v11, v10 src0_sel:BYTE_0 src1_sel:DWORD
	s_andn2_b64 s[4:5], s[4:5], exec
	s_and_b64 s[8:9], s[8:9], exec
	s_or_b64 s[4:5], s[4:5], s[8:9]
	s_or_b64 exec, exec, s[6:7]
	s_and_saveexec_b64 s[6:7], s[4:5]
	s_cbranch_execnz .LBB9_1163
	s_branch .LBB9_1164
.LBB9_3213:
	s_movk_i32 s4, 0x80
	v_cmp_eq_u16_sdwa s[12:13], v11, s4 src0_sel:BYTE_0 src1_sel:DWORD
	s_mov_b64 s[4:5], -1
                                        ; implicit-def: $sgpr10
	s_and_saveexec_b64 s[8:9], s[12:13]
; %bb.3214:
	s_mov_b32 s10, 0x7f800001
	s_xor_b64 s[4:5], exec, -1
; %bb.3215:
	s_or_b64 exec, exec, s[8:9]
	s_and_b64 s[4:5], s[4:5], exec
	s_or_saveexec_b64 s[6:7], s[6:7]
	v_mov_b32_e32 v12, s10
	s_xor_b64 exec, exec, s[6:7]
	s_cbranch_execz .LBB9_1166
.LBB9_3216:
	v_mov_b32_e32 v12, 0
	v_cmp_ne_u16_sdwa s[8:9], v11, v12 src0_sel:BYTE_0 src1_sel:DWORD
	s_andn2_b64 s[4:5], s[4:5], exec
	s_and_b64 s[8:9], s[8:9], exec
	s_or_b64 s[4:5], s[4:5], s[8:9]
	s_or_b64 exec, exec, s[6:7]
	s_and_saveexec_b64 s[6:7], s[4:5]
	s_cbranch_execnz .LBB9_1167
	s_branch .LBB9_1168
.LBB9_3217:
	s_movk_i32 s4, 0x80
	v_cmp_eq_u16_e32 vcc, s4, v11
	s_mov_b64 s[4:5], -1
                                        ; implicit-def: $sgpr10
	s_and_saveexec_b64 s[8:9], vcc
; %bb.3218:
	s_mov_b32 s10, 0x7f800001
	s_xor_b64 s[4:5], exec, -1
; %bb.3219:
	s_or_b64 exec, exec, s[8:9]
	s_and_b64 s[4:5], s[4:5], exec
                                        ; implicit-def: $vgpr11
	s_or_saveexec_b64 s[6:7], s[6:7]
	v_mov_b32_e32 v10, s10
	s_xor_b64 exec, exec, s[6:7]
	s_cbranch_execz .LBB9_1170
.LBB9_3220:
	v_cmp_ne_u16_e32 vcc, 0, v11
	s_andn2_b64 s[4:5], s[4:5], exec
	s_and_b64 s[8:9], vcc, exec
	v_mov_b32_e32 v10, 0
	s_or_b64 s[4:5], s[4:5], s[8:9]
	s_or_b64 exec, exec, s[6:7]
	s_and_saveexec_b64 s[6:7], s[4:5]
	s_cbranch_execnz .LBB9_1171
	s_branch .LBB9_1172
.LBB9_3221:
	s_movk_i32 s4, 0x80
	v_cmp_eq_u16_e32 vcc, s4, v11
	s_mov_b64 s[4:5], -1
                                        ; implicit-def: $sgpr10
	s_and_saveexec_b64 s[8:9], vcc
; %bb.3222:
	s_mov_b32 s10, 0x7f800001
	s_xor_b64 s[4:5], exec, -1
; %bb.3223:
	s_or_b64 exec, exec, s[8:9]
	s_and_b64 s[4:5], s[4:5], exec
                                        ; implicit-def: $vgpr11
	s_or_saveexec_b64 s[6:7], s[6:7]
	v_mov_b32_e32 v12, s10
	s_xor_b64 exec, exec, s[6:7]
	s_cbranch_execz .LBB9_1174
.LBB9_3224:
	v_cmp_ne_u16_e32 vcc, 0, v11
	s_andn2_b64 s[4:5], s[4:5], exec
	s_and_b64 s[8:9], vcc, exec
	v_mov_b32_e32 v12, 0
	s_or_b64 s[4:5], s[4:5], s[8:9]
	s_or_b64 exec, exec, s[6:7]
	s_and_saveexec_b64 s[6:7], s[4:5]
	s_cbranch_execnz .LBB9_1175
	s_branch .LBB9_1176
.LBB9_3225:
	s_movk_i32 s4, 0x80
	v_cmp_eq_u16_sdwa s[12:13], v6, s4 src0_sel:BYTE_3 src1_sel:DWORD
	s_mov_b64 s[4:5], -1
                                        ; implicit-def: $sgpr10
	s_and_saveexec_b64 s[8:9], s[12:13]
; %bb.3226:
	s_mov_b32 s10, 0x7f800001
	s_xor_b64 s[4:5], exec, -1
; %bb.3227:
	s_or_b64 exec, exec, s[8:9]
	s_and_b64 s[4:5], s[4:5], exec
	s_or_saveexec_b64 s[6:7], s[6:7]
	v_mov_b32_e32 v10, s10
	s_xor_b64 exec, exec, s[6:7]
	s_cbranch_execz .LBB9_1178
.LBB9_3228:
	v_mov_b32_e32 v10, 0
	v_cmp_ne_u16_sdwa s[8:9], v6, v10 src0_sel:BYTE_3 src1_sel:DWORD
	s_andn2_b64 s[4:5], s[4:5], exec
	s_and_b64 s[8:9], s[8:9], exec
	s_or_b64 s[4:5], s[4:5], s[8:9]
	s_or_b64 exec, exec, s[6:7]
	s_and_saveexec_b64 s[6:7], s[4:5]
	s_cbranch_execnz .LBB9_1179
	s_branch .LBB9_1180
.LBB9_3229:
	s_movk_i32 s4, 0x80
	v_cmp_eq_u16_sdwa s[12:13], v2, s4 src0_sel:BYTE_3 src1_sel:DWORD
	s_mov_b64 s[4:5], -1
                                        ; implicit-def: $sgpr10
	s_and_saveexec_b64 s[8:9], s[12:13]
; %bb.3230:
	s_mov_b32 s10, 0x7f800001
	s_xor_b64 s[4:5], exec, -1
; %bb.3231:
	s_or_b64 exec, exec, s[8:9]
	s_and_b64 s[4:5], s[4:5], exec
	s_or_saveexec_b64 s[6:7], s[6:7]
	v_mov_b32_e32 v6, s10
	s_xor_b64 exec, exec, s[6:7]
	s_cbranch_execz .LBB9_1182
.LBB9_3232:
	v_mov_b32_e32 v6, 0
	v_cmp_ne_u16_sdwa s[8:9], v2, v6 src0_sel:BYTE_3 src1_sel:DWORD
	s_andn2_b64 s[4:5], s[4:5], exec
	s_and_b64 s[8:9], s[8:9], exec
	s_or_b64 s[4:5], s[4:5], s[8:9]
	s_or_b64 exec, exec, s[6:7]
	s_and_saveexec_b64 s[6:7], s[4:5]
	s_cbranch_execnz .LBB9_1183
	s_branch .LBB9_1184
.LBB9_3233:
	s_movk_i32 s4, 0x80
	v_cmp_eq_u16_sdwa s[12:13], v7, s4 src0_sel:BYTE_0 src1_sel:DWORD
	s_mov_b64 s[4:5], -1
                                        ; implicit-def: $sgpr10
	s_and_saveexec_b64 s[8:9], s[12:13]
; %bb.3234:
	s_mov_b32 s10, 0x7f800001
	s_xor_b64 s[4:5], exec, -1
; %bb.3235:
	s_or_b64 exec, exec, s[8:9]
	s_and_b64 s[4:5], s[4:5], exec
	s_or_saveexec_b64 s[6:7], s[6:7]
	v_mov_b32_e32 v2, s10
	s_xor_b64 exec, exec, s[6:7]
	s_cbranch_execz .LBB9_1186
.LBB9_3236:
	v_mov_b32_e32 v2, 0
	v_cmp_ne_u16_sdwa s[8:9], v7, v2 src0_sel:BYTE_0 src1_sel:DWORD
	s_andn2_b64 s[4:5], s[4:5], exec
	s_and_b64 s[8:9], s[8:9], exec
	s_or_b64 s[4:5], s[4:5], s[8:9]
	s_or_b64 exec, exec, s[6:7]
	s_and_saveexec_b64 s[6:7], s[4:5]
	s_cbranch_execnz .LBB9_1187
	s_branch .LBB9_1188
.LBB9_3237:
	s_movk_i32 s4, 0x80
	v_cmp_eq_u16_sdwa s[12:13], v3, s4 src0_sel:BYTE_0 src1_sel:DWORD
	s_mov_b64 s[4:5], -1
                                        ; implicit-def: $sgpr10
	s_and_saveexec_b64 s[8:9], s[12:13]
; %bb.3238:
	s_mov_b32 s10, 0x7f800001
	s_xor_b64 s[4:5], exec, -1
; %bb.3239:
	s_or_b64 exec, exec, s[8:9]
	s_and_b64 s[4:5], s[4:5], exec
	s_or_saveexec_b64 s[6:7], s[6:7]
	v_mov_b32_e32 v6, s10
	s_xor_b64 exec, exec, s[6:7]
	s_cbranch_execz .LBB9_1190
.LBB9_3240:
	v_mov_b32_e32 v6, 0
	v_cmp_ne_u16_sdwa s[8:9], v3, v6 src0_sel:BYTE_0 src1_sel:DWORD
	s_andn2_b64 s[4:5], s[4:5], exec
	s_and_b64 s[8:9], s[8:9], exec
	s_or_b64 s[4:5], s[4:5], s[8:9]
	s_or_b64 exec, exec, s[6:7]
	s_and_saveexec_b64 s[6:7], s[4:5]
	s_cbranch_execnz .LBB9_1191
	s_branch .LBB9_1192
.LBB9_3241:
	s_movk_i32 s4, 0x80
	v_cmp_eq_u16_sdwa s[12:13], v6, s4 src0_sel:BYTE_0 src1_sel:DWORD
	s_mov_b64 s[4:5], -1
                                        ; implicit-def: $sgpr10
	s_and_saveexec_b64 s[8:9], s[12:13]
; %bb.3242:
	s_mov_b32 s10, 0x7f800001
	s_xor_b64 s[4:5], exec, -1
; %bb.3243:
	s_or_b64 exec, exec, s[8:9]
	s_and_b64 s[4:5], s[4:5], exec
	s_or_saveexec_b64 s[6:7], s[6:7]
	v_mov_b32_e32 v2, s10
	s_xor_b64 exec, exec, s[6:7]
	s_cbranch_execz .LBB9_1194
.LBB9_3244:
	v_mov_b32_e32 v2, 0
	v_cmp_ne_u16_sdwa s[8:9], v6, v2 src0_sel:BYTE_0 src1_sel:DWORD
	s_andn2_b64 s[4:5], s[4:5], exec
	s_and_b64 s[8:9], s[8:9], exec
	s_or_b64 s[4:5], s[4:5], s[8:9]
	s_or_b64 exec, exec, s[6:7]
	s_and_saveexec_b64 s[6:7], s[4:5]
	s_cbranch_execnz .LBB9_1195
	s_branch .LBB9_1196
.LBB9_3245:
	s_movk_i32 s4, 0x80
	v_cmp_eq_u16_sdwa s[12:13], v6, s4 src0_sel:BYTE_0 src1_sel:DWORD
	s_mov_b64 s[4:5], -1
                                        ; implicit-def: $sgpr10
	s_and_saveexec_b64 s[8:9], s[12:13]
; %bb.3246:
	s_mov_b32 s10, 0x7f800001
	s_xor_b64 s[4:5], exec, -1
; %bb.3247:
	s_or_b64 exec, exec, s[8:9]
	s_and_b64 s[4:5], s[4:5], exec
	s_or_saveexec_b64 s[6:7], s[6:7]
	v_mov_b32_e32 v10, s10
	s_xor_b64 exec, exec, s[6:7]
	s_cbranch_execz .LBB9_1198
.LBB9_3248:
	v_mov_b32_e32 v10, 0
	v_cmp_ne_u16_sdwa s[8:9], v6, v10 src0_sel:BYTE_0 src1_sel:DWORD
	s_andn2_b64 s[4:5], s[4:5], exec
	s_and_b64 s[8:9], s[8:9], exec
	s_or_b64 s[4:5], s[4:5], s[8:9]
	s_or_b64 exec, exec, s[6:7]
	s_and_saveexec_b64 s[6:7], s[4:5]
	s_cbranch_execnz .LBB9_1199
	s_branch .LBB9_1200
.LBB9_3249:
	s_movk_i32 s4, 0x80
	v_cmp_eq_u16_e32 vcc, s4, v6
	s_mov_b64 s[4:5], -1
                                        ; implicit-def: $sgpr10
	s_and_saveexec_b64 s[8:9], vcc
; %bb.3250:
	s_mov_b32 s10, 0x7f800001
	s_xor_b64 s[4:5], exec, -1
; %bb.3251:
	s_or_b64 exec, exec, s[8:9]
	s_and_b64 s[4:5], s[4:5], exec
                                        ; implicit-def: $vgpr6
	s_or_saveexec_b64 s[6:7], s[6:7]
	v_mov_b32_e32 v2, s10
	s_xor_b64 exec, exec, s[6:7]
	s_cbranch_execz .LBB9_1202
.LBB9_3252:
	v_cmp_ne_u16_e32 vcc, 0, v6
	s_andn2_b64 s[4:5], s[4:5], exec
	s_and_b64 s[8:9], vcc, exec
	v_mov_b32_e32 v2, 0
	s_or_b64 s[4:5], s[4:5], s[8:9]
	s_or_b64 exec, exec, s[6:7]
	s_and_saveexec_b64 s[6:7], s[4:5]
	s_cbranch_execnz .LBB9_1203
	s_branch .LBB9_1204
.LBB9_3253:
	s_movk_i32 s4, 0x80
	v_cmp_eq_u16_e32 vcc, s4, v6
	s_mov_b64 s[4:5], -1
                                        ; implicit-def: $sgpr10
	s_and_saveexec_b64 s[8:9], vcc
; %bb.3254:
	s_mov_b32 s10, 0x7f800001
	s_xor_b64 s[4:5], exec, -1
; %bb.3255:
	s_or_b64 exec, exec, s[8:9]
	s_and_b64 s[4:5], s[4:5], exec
                                        ; implicit-def: $vgpr6
	s_or_saveexec_b64 s[6:7], s[6:7]
	v_mov_b32_e32 v10, s10
	s_xor_b64 exec, exec, s[6:7]
	s_cbranch_execz .LBB9_1206
.LBB9_3256:
	v_cmp_ne_u16_e32 vcc, 0, v6
	s_andn2_b64 s[4:5], s[4:5], exec
	s_and_b64 s[8:9], vcc, exec
	v_mov_b32_e32 v10, 0
	s_or_b64 s[4:5], s[4:5], s[8:9]
	s_or_b64 exec, exec, s[6:7]
	s_and_saveexec_b64 s[6:7], s[4:5]
	s_cbranch_execnz .LBB9_1207
	s_branch .LBB9_1208
.LBB9_3257:
	s_movk_i32 s4, 0x80
	v_cmp_eq_u16_sdwa s[12:13], v7, s4 src0_sel:BYTE_3 src1_sel:DWORD
	s_mov_b64 s[4:5], -1
                                        ; implicit-def: $sgpr10
	s_and_saveexec_b64 s[8:9], s[12:13]
; %bb.3258:
	s_mov_b32 s10, 0x7f800001
	s_xor_b64 s[4:5], exec, -1
; %bb.3259:
	s_or_b64 exec, exec, s[8:9]
	s_and_b64 s[4:5], s[4:5], exec
	s_or_saveexec_b64 s[6:7], s[6:7]
	v_mov_b32_e32 v2, s10
	s_xor_b64 exec, exec, s[6:7]
	s_cbranch_execz .LBB9_1210
.LBB9_3260:
	v_mov_b32_e32 v2, 0
	v_cmp_ne_u16_sdwa s[8:9], v7, v2 src0_sel:BYTE_3 src1_sel:DWORD
	s_andn2_b64 s[4:5], s[4:5], exec
	s_and_b64 s[8:9], s[8:9], exec
	s_or_b64 s[4:5], s[4:5], s[8:9]
	s_or_b64 exec, exec, s[6:7]
	s_and_saveexec_b64 s[6:7], s[4:5]
	s_cbranch_execnz .LBB9_1211
	s_branch .LBB9_1212
.LBB9_3261:
	s_movk_i32 s4, 0x80
	v_cmp_eq_u16_sdwa s[12:13], v3, s4 src0_sel:BYTE_3 src1_sel:DWORD
	s_mov_b64 s[4:5], -1
                                        ; implicit-def: $sgpr10
	s_and_saveexec_b64 s[8:9], s[12:13]
; %bb.3262:
	s_mov_b32 s10, 0x7f800001
	s_xor_b64 s[4:5], exec, -1
; %bb.3263:
	s_or_b64 exec, exec, s[8:9]
	s_and_b64 s[4:5], s[4:5], exec
	s_or_saveexec_b64 s[6:7], s[6:7]
	v_mov_b32_e32 v6, s10
	s_xor_b64 exec, exec, s[6:7]
	s_cbranch_execz .LBB9_1214
.LBB9_3264:
	v_mov_b32_e32 v6, 0
	v_cmp_ne_u16_sdwa s[8:9], v3, v6 src0_sel:BYTE_3 src1_sel:DWORD
	s_andn2_b64 s[4:5], s[4:5], exec
	s_and_b64 s[8:9], s[8:9], exec
	s_or_b64 s[4:5], s[4:5], s[8:9]
	s_or_b64 exec, exec, s[6:7]
	s_and_saveexec_b64 s[6:7], s[4:5]
	s_cbranch_execnz .LBB9_1215
	s_branch .LBB9_1216
.LBB9_3265:
	s_movk_i32 s4, 0x80
	v_cmp_eq_u16_sdwa s[12:13], v8, s4 src0_sel:BYTE_0 src1_sel:DWORD
	s_mov_b64 s[4:5], -1
                                        ; implicit-def: $sgpr10
	s_and_saveexec_b64 s[8:9], s[12:13]
; %bb.3266:
	s_mov_b32 s10, 0x7f800001
	s_xor_b64 s[4:5], exec, -1
; %bb.3267:
	s_or_b64 exec, exec, s[8:9]
	s_and_b64 s[4:5], s[4:5], exec
	s_or_saveexec_b64 s[6:7], s[6:7]
	v_mov_b32_e32 v2, s10
	s_xor_b64 exec, exec, s[6:7]
	s_cbranch_execz .LBB9_1218
.LBB9_3268:
	v_mov_b32_e32 v2, 0
	v_cmp_ne_u16_sdwa s[8:9], v8, v2 src0_sel:BYTE_0 src1_sel:DWORD
	s_andn2_b64 s[4:5], s[4:5], exec
	s_and_b64 s[8:9], s[8:9], exec
	s_or_b64 s[4:5], s[4:5], s[8:9]
	s_or_b64 exec, exec, s[6:7]
	s_and_saveexec_b64 s[6:7], s[4:5]
	s_cbranch_execnz .LBB9_1219
	s_branch .LBB9_1220
.LBB9_3269:
	s_movk_i32 s4, 0x80
	v_cmp_eq_u16_sdwa s[12:13], v4, s4 src0_sel:BYTE_0 src1_sel:DWORD
	s_mov_b64 s[4:5], -1
                                        ; implicit-def: $sgpr10
	s_and_saveexec_b64 s[8:9], s[12:13]
; %bb.3270:
	s_mov_b32 s10, 0x7f800001
	s_xor_b64 s[4:5], exec, -1
; %bb.3271:
	s_or_b64 exec, exec, s[8:9]
	s_and_b64 s[4:5], s[4:5], exec
	s_or_saveexec_b64 s[6:7], s[6:7]
	v_mov_b32_e32 v3, s10
	s_xor_b64 exec, exec, s[6:7]
	s_cbranch_execz .LBB9_1222
.LBB9_3272:
	v_mov_b32_e32 v3, 0
	v_cmp_ne_u16_sdwa s[8:9], v4, v3 src0_sel:BYTE_0 src1_sel:DWORD
	s_andn2_b64 s[4:5], s[4:5], exec
	s_and_b64 s[8:9], s[8:9], exec
	s_or_b64 s[4:5], s[4:5], s[8:9]
	s_or_b64 exec, exec, s[6:7]
	s_and_saveexec_b64 s[6:7], s[4:5]
	s_cbranch_execnz .LBB9_1223
	s_branch .LBB9_1224
.LBB9_3273:
	s_movk_i32 s4, 0x80
	v_cmp_eq_u16_sdwa s[12:13], v3, s4 src0_sel:BYTE_0 src1_sel:DWORD
	s_mov_b64 s[4:5], -1
                                        ; implicit-def: $sgpr10
	s_and_saveexec_b64 s[8:9], s[12:13]
; %bb.3274:
	s_mov_b32 s10, 0x7f800001
	s_xor_b64 s[4:5], exec, -1
; %bb.3275:
	s_or_b64 exec, exec, s[8:9]
	s_and_b64 s[4:5], s[4:5], exec
	s_or_saveexec_b64 s[6:7], s[6:7]
	v_mov_b32_e32 v2, s10
	s_xor_b64 exec, exec, s[6:7]
	s_cbranch_execz .LBB9_1226
.LBB9_3276:
	v_mov_b32_e32 v2, 0
	v_cmp_ne_u16_sdwa s[8:9], v3, v2 src0_sel:BYTE_0 src1_sel:DWORD
	s_andn2_b64 s[4:5], s[4:5], exec
	s_and_b64 s[8:9], s[8:9], exec
	s_or_b64 s[4:5], s[4:5], s[8:9]
	s_or_b64 exec, exec, s[6:7]
	s_and_saveexec_b64 s[6:7], s[4:5]
	s_cbranch_execnz .LBB9_1227
	s_branch .LBB9_1228
.LBB9_3277:
	s_movk_i32 s4, 0x80
	v_cmp_eq_u16_sdwa s[12:13], v3, s4 src0_sel:BYTE_0 src1_sel:DWORD
	s_mov_b64 s[4:5], -1
                                        ; implicit-def: $sgpr10
	s_and_saveexec_b64 s[8:9], s[12:13]
; %bb.3278:
	s_mov_b32 s10, 0x7f800001
	s_xor_b64 s[4:5], exec, -1
; %bb.3279:
	s_or_b64 exec, exec, s[8:9]
	s_and_b64 s[4:5], s[4:5], exec
	s_or_saveexec_b64 s[6:7], s[6:7]
	v_mov_b32_e32 v6, s10
	s_xor_b64 exec, exec, s[6:7]
	s_cbranch_execz .LBB9_1230
.LBB9_3280:
	v_mov_b32_e32 v6, 0
	v_cmp_ne_u16_sdwa s[8:9], v3, v6 src0_sel:BYTE_0 src1_sel:DWORD
	s_andn2_b64 s[4:5], s[4:5], exec
	s_and_b64 s[8:9], s[8:9], exec
	s_or_b64 s[4:5], s[4:5], s[8:9]
	s_or_b64 exec, exec, s[6:7]
	s_and_saveexec_b64 s[6:7], s[4:5]
	s_cbranch_execnz .LBB9_1231
	s_branch .LBB9_1232
.LBB9_3281:
	s_movk_i32 s4, 0x80
	v_cmp_eq_u16_e32 vcc, s4, v3
	s_mov_b64 s[4:5], -1
                                        ; implicit-def: $sgpr10
	s_and_saveexec_b64 s[8:9], vcc
; %bb.3282:
	s_mov_b32 s10, 0x7f800001
	s_xor_b64 s[4:5], exec, -1
; %bb.3283:
	s_or_b64 exec, exec, s[8:9]
	s_and_b64 s[4:5], s[4:5], exec
                                        ; implicit-def: $vgpr3
	s_or_saveexec_b64 s[6:7], s[6:7]
	v_mov_b32_e32 v2, s10
	s_xor_b64 exec, exec, s[6:7]
	s_cbranch_execz .LBB9_1234
.LBB9_3284:
	v_cmp_ne_u16_e32 vcc, 0, v3
	s_andn2_b64 s[4:5], s[4:5], exec
	s_and_b64 s[8:9], vcc, exec
	v_mov_b32_e32 v2, 0
	s_or_b64 s[4:5], s[4:5], s[8:9]
	s_or_b64 exec, exec, s[6:7]
	s_and_saveexec_b64 s[6:7], s[4:5]
	s_cbranch_execnz .LBB9_1235
	s_branch .LBB9_1236
.LBB9_3285:
	s_movk_i32 s4, 0x80
	v_cmp_eq_u16_e32 vcc, s4, v3
	s_mov_b64 s[4:5], -1
                                        ; implicit-def: $sgpr10
	s_and_saveexec_b64 s[8:9], vcc
; %bb.3286:
	s_mov_b32 s10, 0x7f800001
	s_xor_b64 s[4:5], exec, -1
; %bb.3287:
	s_or_b64 exec, exec, s[8:9]
	s_and_b64 s[4:5], s[4:5], exec
                                        ; implicit-def: $vgpr3
	s_or_saveexec_b64 s[6:7], s[6:7]
	v_mov_b32_e32 v6, s10
	s_xor_b64 exec, exec, s[6:7]
	s_cbranch_execz .LBB9_1238
.LBB9_3288:
	v_cmp_ne_u16_e32 vcc, 0, v3
	s_andn2_b64 s[4:5], s[4:5], exec
	s_and_b64 s[8:9], vcc, exec
	v_mov_b32_e32 v6, 0
	s_or_b64 s[4:5], s[4:5], s[8:9]
	s_or_b64 exec, exec, s[6:7]
	s_and_saveexec_b64 s[6:7], s[4:5]
	s_cbranch_execnz .LBB9_1239
	s_branch .LBB9_1240
.LBB9_3289:
	s_movk_i32 s4, 0x80
	v_cmp_eq_u16_sdwa s[12:13], v8, s4 src0_sel:BYTE_3 src1_sel:DWORD
	s_mov_b64 s[4:5], -1
                                        ; implicit-def: $sgpr10
	s_and_saveexec_b64 s[8:9], s[12:13]
; %bb.3290:
	s_mov_b32 s10, 0x7f800001
	s_xor_b64 s[4:5], exec, -1
; %bb.3291:
	s_or_b64 exec, exec, s[8:9]
	s_and_b64 s[4:5], s[4:5], exec
	s_or_saveexec_b64 s[6:7], s[6:7]
	v_mov_b32_e32 v2, s10
	s_xor_b64 exec, exec, s[6:7]
	s_cbranch_execz .LBB9_1242
.LBB9_3292:
	v_mov_b32_e32 v2, 0
	v_cmp_ne_u16_sdwa s[8:9], v8, v2 src0_sel:BYTE_3 src1_sel:DWORD
	s_andn2_b64 s[4:5], s[4:5], exec
	s_and_b64 s[8:9], s[8:9], exec
	s_or_b64 s[4:5], s[4:5], s[8:9]
	s_or_b64 exec, exec, s[6:7]
	s_and_saveexec_b64 s[6:7], s[4:5]
	s_cbranch_execnz .LBB9_1243
	s_branch .LBB9_1244
.LBB9_3293:
	s_movk_i32 s4, 0x80
	v_cmp_eq_u16_sdwa s[12:13], v4, s4 src0_sel:BYTE_3 src1_sel:DWORD
	s_mov_b64 s[4:5], -1
                                        ; implicit-def: $sgpr10
	s_and_saveexec_b64 s[8:9], s[12:13]
; %bb.3294:
	s_mov_b32 s10, 0x7f800001
	s_xor_b64 s[4:5], exec, -1
; %bb.3295:
	s_or_b64 exec, exec, s[8:9]
	s_and_b64 s[4:5], s[4:5], exec
	s_or_saveexec_b64 s[6:7], s[6:7]
	v_mov_b32_e32 v3, s10
	s_xor_b64 exec, exec, s[6:7]
	s_cbranch_execz .LBB9_1246
.LBB9_3296:
	v_mov_b32_e32 v3, 0
	v_cmp_ne_u16_sdwa s[8:9], v4, v3 src0_sel:BYTE_3 src1_sel:DWORD
	s_andn2_b64 s[4:5], s[4:5], exec
	s_and_b64 s[8:9], s[8:9], exec
	s_or_b64 s[4:5], s[4:5], s[8:9]
	s_or_b64 exec, exec, s[6:7]
	s_and_saveexec_b64 s[6:7], s[4:5]
	s_cbranch_execnz .LBB9_1247
	s_branch .LBB9_1248
.LBB9_3297:
	s_movk_i32 s4, 0x80
	v_cmp_eq_u16_sdwa s[12:13], v9, s4 src0_sel:BYTE_0 src1_sel:DWORD
	s_mov_b64 s[4:5], -1
                                        ; implicit-def: $sgpr10
	s_and_saveexec_b64 s[8:9], s[12:13]
; %bb.3298:
	s_mov_b32 s10, 0x7f800001
	s_xor_b64 s[4:5], exec, -1
; %bb.3299:
	s_or_b64 exec, exec, s[8:9]
	s_and_b64 s[4:5], s[4:5], exec
	s_or_saveexec_b64 s[6:7], s[6:7]
	v_mov_b32_e32 v2, s10
	s_xor_b64 exec, exec, s[6:7]
	s_cbranch_execz .LBB9_1250
.LBB9_3300:
	v_mov_b32_e32 v2, 0
	v_cmp_ne_u16_sdwa s[8:9], v9, v2 src0_sel:BYTE_0 src1_sel:DWORD
	s_andn2_b64 s[4:5], s[4:5], exec
	s_and_b64 s[8:9], s[8:9], exec
	s_or_b64 s[4:5], s[4:5], s[8:9]
	s_or_b64 exec, exec, s[6:7]
	s_and_saveexec_b64 s[6:7], s[4:5]
	s_cbranch_execnz .LBB9_1251
	s_branch .LBB9_1252
.LBB9_3301:
	s_movk_i32 s4, 0x80
	v_cmp_eq_u16_sdwa s[12:13], v5, s4 src0_sel:BYTE_0 src1_sel:DWORD
	s_mov_b64 s[4:5], -1
                                        ; implicit-def: $sgpr10
	s_and_saveexec_b64 s[8:9], s[12:13]
; %bb.3302:
	s_mov_b32 s10, 0x7f800001
	s_xor_b64 s[4:5], exec, -1
; %bb.3303:
	s_or_b64 exec, exec, s[8:9]
	s_and_b64 s[4:5], s[4:5], exec
	s_or_saveexec_b64 s[6:7], s[6:7]
	v_mov_b32_e32 v3, s10
	s_xor_b64 exec, exec, s[6:7]
	s_cbranch_execz .LBB9_1254
.LBB9_3304:
	v_mov_b32_e32 v3, 0
	v_cmp_ne_u16_sdwa s[8:9], v5, v3 src0_sel:BYTE_0 src1_sel:DWORD
	s_andn2_b64 s[4:5], s[4:5], exec
	s_and_b64 s[8:9], s[8:9], exec
	s_or_b64 s[4:5], s[4:5], s[8:9]
	s_or_b64 exec, exec, s[6:7]
	s_and_saveexec_b64 s[6:7], s[4:5]
	s_cbranch_execnz .LBB9_1255
	s_branch .LBB9_1256
.LBB9_3305:
	s_movk_i32 s4, 0x80
	v_cmp_eq_u16_sdwa s[12:13], v3, s4 src0_sel:BYTE_0 src1_sel:DWORD
	s_mov_b64 s[4:5], -1
                                        ; implicit-def: $sgpr10
	s_and_saveexec_b64 s[8:9], s[12:13]
; %bb.3306:
	s_mov_b32 s10, 0x7f800001
	s_xor_b64 s[4:5], exec, -1
; %bb.3307:
	s_or_b64 exec, exec, s[8:9]
	s_and_b64 s[4:5], s[4:5], exec
	s_or_saveexec_b64 s[6:7], s[6:7]
	v_mov_b32_e32 v2, s10
	s_xor_b64 exec, exec, s[6:7]
	s_cbranch_execz .LBB9_1258
.LBB9_3308:
	v_mov_b32_e32 v2, 0
	v_cmp_ne_u16_sdwa s[8:9], v3, v2 src0_sel:BYTE_0 src1_sel:DWORD
	s_andn2_b64 s[4:5], s[4:5], exec
	s_and_b64 s[8:9], s[8:9], exec
	s_or_b64 s[4:5], s[4:5], s[8:9]
	s_or_b64 exec, exec, s[6:7]
	s_and_saveexec_b64 s[6:7], s[4:5]
	s_cbranch_execnz .LBB9_1259
	s_branch .LBB9_1260
.LBB9_3309:
	s_movk_i32 s4, 0x80
	v_cmp_eq_u16_sdwa s[12:13], v3, s4 src0_sel:BYTE_0 src1_sel:DWORD
	s_mov_b64 s[4:5], -1
                                        ; implicit-def: $sgpr10
	s_and_saveexec_b64 s[8:9], s[12:13]
; %bb.3310:
	s_mov_b32 s10, 0x7f800001
	s_xor_b64 s[4:5], exec, -1
; %bb.3311:
	s_or_b64 exec, exec, s[8:9]
	s_and_b64 s[4:5], s[4:5], exec
	s_or_saveexec_b64 s[6:7], s[6:7]
	v_mov_b32_e32 v4, s10
	s_xor_b64 exec, exec, s[6:7]
	s_cbranch_execz .LBB9_1262
.LBB9_3312:
	v_mov_b32_e32 v4, 0
	v_cmp_ne_u16_sdwa s[8:9], v3, v4 src0_sel:BYTE_0 src1_sel:DWORD
	s_andn2_b64 s[4:5], s[4:5], exec
	s_and_b64 s[8:9], s[8:9], exec
	s_or_b64 s[4:5], s[4:5], s[8:9]
	s_or_b64 exec, exec, s[6:7]
	s_and_saveexec_b64 s[6:7], s[4:5]
	s_cbranch_execnz .LBB9_1263
	s_branch .LBB9_1264
.LBB9_3313:
	s_movk_i32 s4, 0x80
	v_cmp_eq_u16_e32 vcc, s4, v3
	s_mov_b64 s[4:5], -1
                                        ; implicit-def: $sgpr10
	s_and_saveexec_b64 s[8:9], vcc
; %bb.3314:
	s_mov_b32 s10, 0x7f800001
	s_xor_b64 s[4:5], exec, -1
; %bb.3315:
	s_or_b64 exec, exec, s[8:9]
	s_and_b64 s[4:5], s[4:5], exec
                                        ; implicit-def: $vgpr3
	s_or_saveexec_b64 s[6:7], s[6:7]
	v_mov_b32_e32 v2, s10
	s_xor_b64 exec, exec, s[6:7]
	s_cbranch_execz .LBB9_1266
.LBB9_3316:
	v_cmp_ne_u16_e32 vcc, 0, v3
	s_andn2_b64 s[4:5], s[4:5], exec
	s_and_b64 s[8:9], vcc, exec
	v_mov_b32_e32 v2, 0
	s_or_b64 s[4:5], s[4:5], s[8:9]
	s_or_b64 exec, exec, s[6:7]
	s_and_saveexec_b64 s[6:7], s[4:5]
	s_cbranch_execnz .LBB9_1267
	s_branch .LBB9_1268
.LBB9_3317:
	s_movk_i32 s4, 0x80
	v_cmp_eq_u16_e32 vcc, s4, v3
	s_mov_b64 s[4:5], -1
                                        ; implicit-def: $sgpr10
	s_and_saveexec_b64 s[8:9], vcc
; %bb.3318:
	s_mov_b32 s10, 0x7f800001
	s_xor_b64 s[4:5], exec, -1
; %bb.3319:
	s_or_b64 exec, exec, s[8:9]
	s_and_b64 s[4:5], s[4:5], exec
                                        ; implicit-def: $vgpr3
	s_or_saveexec_b64 s[6:7], s[6:7]
	v_mov_b32_e32 v4, s10
	s_xor_b64 exec, exec, s[6:7]
	s_cbranch_execz .LBB9_1270
.LBB9_3320:
	v_cmp_ne_u16_e32 vcc, 0, v3
	s_andn2_b64 s[4:5], s[4:5], exec
	s_and_b64 s[8:9], vcc, exec
	v_mov_b32_e32 v4, 0
	s_or_b64 s[4:5], s[4:5], s[8:9]
	s_or_b64 exec, exec, s[6:7]
	s_and_saveexec_b64 s[6:7], s[4:5]
	s_cbranch_execnz .LBB9_1271
	s_branch .LBB9_1272
.LBB9_3321:
	s_movk_i32 s4, 0x80
	v_cmp_eq_u16_sdwa s[12:13], v9, s4 src0_sel:BYTE_3 src1_sel:DWORD
	s_mov_b64 s[4:5], -1
                                        ; implicit-def: $sgpr10
	s_and_saveexec_b64 s[8:9], s[12:13]
; %bb.3322:
	s_mov_b32 s10, 0x7f800001
	s_xor_b64 s[4:5], exec, -1
; %bb.3323:
	s_or_b64 exec, exec, s[8:9]
	s_and_b64 s[4:5], s[4:5], exec
	s_or_saveexec_b64 s[6:7], s[6:7]
	v_mov_b32_e32 v2, s10
	s_xor_b64 exec, exec, s[6:7]
	s_cbranch_execz .LBB9_1274
.LBB9_3324:
	v_mov_b32_e32 v2, 0
	v_cmp_ne_u16_sdwa s[8:9], v9, v2 src0_sel:BYTE_3 src1_sel:DWORD
	s_andn2_b64 s[4:5], s[4:5], exec
	s_and_b64 s[8:9], s[8:9], exec
	s_or_b64 s[4:5], s[4:5], s[8:9]
	s_or_b64 exec, exec, s[6:7]
	s_and_saveexec_b64 s[6:7], s[4:5]
	s_cbranch_execnz .LBB9_1275
	s_branch .LBB9_1276
.LBB9_3325:
	s_movk_i32 s4, 0x80
	v_cmp_eq_u16_sdwa s[12:13], v5, s4 src0_sel:BYTE_3 src1_sel:DWORD
	s_mov_b64 s[4:5], -1
                                        ; implicit-def: $sgpr10
	s_and_saveexec_b64 s[8:9], s[12:13]
; %bb.3326:
	s_mov_b32 s10, 0x7f800001
	s_xor_b64 s[4:5], exec, -1
; %bb.3327:
	s_or_b64 exec, exec, s[8:9]
	s_and_b64 s[4:5], s[4:5], exec
	s_or_saveexec_b64 s[6:7], s[6:7]
	v_mov_b32_e32 v3, s10
	s_xor_b64 exec, exec, s[6:7]
	s_cbranch_execz .LBB9_1278
.LBB9_3328:
	v_mov_b32_e32 v3, 0
	v_cmp_ne_u16_sdwa s[8:9], v5, v3 src0_sel:BYTE_3 src1_sel:DWORD
	s_andn2_b64 s[4:5], s[4:5], exec
	s_and_b64 s[8:9], s[8:9], exec
	s_or_b64 s[4:5], s[4:5], s[8:9]
	s_or_b64 exec, exec, s[6:7]
	s_and_saveexec_b64 s[6:7], s[4:5]
	s_cbranch_execnz .LBB9_1279
	s_branch .LBB9_1280
.LBB9_3329:
	s_movk_i32 s4, 0x80
	v_cmp_eq_u16_sdwa s[12:13], v14, s4 src0_sel:BYTE_0 src1_sel:DWORD
	s_mov_b64 s[4:5], -1
                                        ; implicit-def: $sgpr10
	s_and_saveexec_b64 s[8:9], s[12:13]
; %bb.3330:
	s_mov_b32 s10, 0x7f800001
	s_xor_b64 s[4:5], exec, -1
; %bb.3331:
	s_or_b64 exec, exec, s[8:9]
	s_and_b64 s[4:5], s[4:5], exec
	s_or_saveexec_b64 s[6:7], s[6:7]
	v_mov_b32_e32 v20, s10
	s_xor_b64 exec, exec, s[6:7]
	s_cbranch_execz .LBB9_1282
.LBB9_3332:
	v_mov_b32_e32 v20, 0
	v_cmp_ne_u16_sdwa s[8:9], v14, v20 src0_sel:BYTE_0 src1_sel:DWORD
	s_andn2_b64 s[4:5], s[4:5], exec
	s_and_b64 s[8:9], s[8:9], exec
	s_or_b64 s[4:5], s[4:5], s[8:9]
	s_or_b64 exec, exec, s[6:7]
	s_and_saveexec_b64 s[6:7], s[4:5]
	s_cbranch_execnz .LBB9_1283
	s_branch .LBB9_1284
.LBB9_3333:
	s_movk_i32 s4, 0x80
	v_cmp_eq_u16_sdwa s[12:13], v10, s4 src0_sel:BYTE_0 src1_sel:DWORD
	s_mov_b64 s[4:5], -1
                                        ; implicit-def: $sgpr10
	s_and_saveexec_b64 s[8:9], s[12:13]
; %bb.3334:
	s_mov_b32 s10, 0x7f800001
	s_xor_b64 s[4:5], exec, -1
; %bb.3335:
	s_or_b64 exec, exec, s[8:9]
	s_and_b64 s[4:5], s[4:5], exec
	s_or_saveexec_b64 s[6:7], s[6:7]
	v_mov_b32_e32 v21, s10
	s_xor_b64 exec, exec, s[6:7]
	s_cbranch_execz .LBB9_1286
.LBB9_3336:
	v_mov_b32_e32 v21, 0
	v_cmp_ne_u16_sdwa s[8:9], v10, v21 src0_sel:BYTE_0 src1_sel:DWORD
	s_andn2_b64 s[4:5], s[4:5], exec
	s_and_b64 s[8:9], s[8:9], exec
	s_or_b64 s[4:5], s[4:5], s[8:9]
	s_or_b64 exec, exec, s[6:7]
	s_and_saveexec_b64 s[6:7], s[4:5]
	s_cbranch_execnz .LBB9_1287
	s_branch .LBB9_1288
.LBB9_3337:
	s_movk_i32 s4, 0x80
	v_cmp_eq_u16_sdwa s[12:13], v21, s4 src0_sel:BYTE_0 src1_sel:DWORD
	s_mov_b64 s[4:5], -1
                                        ; implicit-def: $sgpr10
	s_and_saveexec_b64 s[8:9], s[12:13]
; %bb.3338:
	s_mov_b32 s10, 0x7f800001
	s_xor_b64 s[4:5], exec, -1
; %bb.3339:
	s_or_b64 exec, exec, s[8:9]
	s_and_b64 s[4:5], s[4:5], exec
	s_or_saveexec_b64 s[6:7], s[6:7]
	v_mov_b32_e32 v20, s10
	s_xor_b64 exec, exec, s[6:7]
	s_cbranch_execz .LBB9_1290
.LBB9_3340:
	v_mov_b32_e32 v20, 0
	v_cmp_ne_u16_sdwa s[8:9], v21, v20 src0_sel:BYTE_0 src1_sel:DWORD
	s_andn2_b64 s[4:5], s[4:5], exec
	s_and_b64 s[8:9], s[8:9], exec
	s_or_b64 s[4:5], s[4:5], s[8:9]
	s_or_b64 exec, exec, s[6:7]
	s_and_saveexec_b64 s[6:7], s[4:5]
	s_cbranch_execnz .LBB9_1291
	s_branch .LBB9_1292
.LBB9_3341:
	s_movk_i32 s4, 0x80
	v_cmp_eq_u16_sdwa s[12:13], v21, s4 src0_sel:BYTE_0 src1_sel:DWORD
	s_mov_b64 s[4:5], -1
                                        ; implicit-def: $sgpr10
	s_and_saveexec_b64 s[8:9], s[12:13]
; %bb.3342:
	s_mov_b32 s10, 0x7f800001
	s_xor_b64 s[4:5], exec, -1
; %bb.3343:
	s_or_b64 exec, exec, s[8:9]
	s_and_b64 s[4:5], s[4:5], exec
	s_or_saveexec_b64 s[6:7], s[6:7]
	v_mov_b32_e32 v22, s10
	s_xor_b64 exec, exec, s[6:7]
	s_cbranch_execz .LBB9_1294
.LBB9_3344:
	v_mov_b32_e32 v22, 0
	v_cmp_ne_u16_sdwa s[8:9], v21, v22 src0_sel:BYTE_0 src1_sel:DWORD
	s_andn2_b64 s[4:5], s[4:5], exec
	s_and_b64 s[8:9], s[8:9], exec
	s_or_b64 s[4:5], s[4:5], s[8:9]
	s_or_b64 exec, exec, s[6:7]
	s_and_saveexec_b64 s[6:7], s[4:5]
	s_cbranch_execnz .LBB9_1295
	s_branch .LBB9_1296
.LBB9_3345:
	s_movk_i32 s4, 0x80
	v_cmp_eq_u16_e32 vcc, s4, v21
	s_mov_b64 s[4:5], -1
                                        ; implicit-def: $sgpr10
	s_and_saveexec_b64 s[8:9], vcc
; %bb.3346:
	s_mov_b32 s10, 0x7f800001
	s_xor_b64 s[4:5], exec, -1
; %bb.3347:
	s_or_b64 exec, exec, s[8:9]
	s_and_b64 s[4:5], s[4:5], exec
                                        ; implicit-def: $vgpr21
	s_or_saveexec_b64 s[6:7], s[6:7]
	v_mov_b32_e32 v20, s10
	s_xor_b64 exec, exec, s[6:7]
	s_cbranch_execz .LBB9_1298
.LBB9_3348:
	v_cmp_ne_u16_e32 vcc, 0, v21
	s_andn2_b64 s[4:5], s[4:5], exec
	s_and_b64 s[8:9], vcc, exec
	v_mov_b32_e32 v20, 0
	s_or_b64 s[4:5], s[4:5], s[8:9]
	s_or_b64 exec, exec, s[6:7]
	s_and_saveexec_b64 s[6:7], s[4:5]
	s_cbranch_execnz .LBB9_1299
	s_branch .LBB9_1300
.LBB9_3349:
	s_movk_i32 s4, 0x80
	v_cmp_eq_u16_e32 vcc, s4, v21
	s_mov_b64 s[4:5], -1
                                        ; implicit-def: $sgpr10
	s_and_saveexec_b64 s[8:9], vcc
; %bb.3350:
	s_mov_b32 s10, 0x7f800001
	s_xor_b64 s[4:5], exec, -1
; %bb.3351:
	s_or_b64 exec, exec, s[8:9]
	s_and_b64 s[4:5], s[4:5], exec
                                        ; implicit-def: $vgpr21
	s_or_saveexec_b64 s[6:7], s[6:7]
	v_mov_b32_e32 v22, s10
	s_xor_b64 exec, exec, s[6:7]
	s_cbranch_execz .LBB9_1302
.LBB9_3352:
	v_cmp_ne_u16_e32 vcc, 0, v21
	s_andn2_b64 s[4:5], s[4:5], exec
	s_and_b64 s[8:9], vcc, exec
	v_mov_b32_e32 v22, 0
	s_or_b64 s[4:5], s[4:5], s[8:9]
	s_or_b64 exec, exec, s[6:7]
	s_and_saveexec_b64 s[6:7], s[4:5]
	s_cbranch_execnz .LBB9_1303
	s_branch .LBB9_1304
.LBB9_3353:
	s_movk_i32 s4, 0x80
	v_cmp_eq_u16_sdwa s[12:13], v14, s4 src0_sel:BYTE_3 src1_sel:DWORD
	s_mov_b64 s[4:5], -1
                                        ; implicit-def: $sgpr10
	s_and_saveexec_b64 s[8:9], s[12:13]
; %bb.3354:
	s_mov_b32 s10, 0x7f800001
	s_xor_b64 s[4:5], exec, -1
; %bb.3355:
	s_or_b64 exec, exec, s[8:9]
	s_and_b64 s[4:5], s[4:5], exec
	s_or_saveexec_b64 s[6:7], s[6:7]
	v_mov_b32_e32 v20, s10
	s_xor_b64 exec, exec, s[6:7]
	s_cbranch_execz .LBB9_1306
.LBB9_3356:
	v_mov_b32_e32 v20, 0
	v_cmp_ne_u16_sdwa s[8:9], v14, v20 src0_sel:BYTE_3 src1_sel:DWORD
	s_andn2_b64 s[4:5], s[4:5], exec
	s_and_b64 s[8:9], s[8:9], exec
	s_or_b64 s[4:5], s[4:5], s[8:9]
	s_or_b64 exec, exec, s[6:7]
	s_and_saveexec_b64 s[6:7], s[4:5]
	s_cbranch_execnz .LBB9_1307
	s_branch .LBB9_1308
.LBB9_3357:
	s_movk_i32 s4, 0x80
	v_cmp_eq_u16_sdwa s[12:13], v10, s4 src0_sel:BYTE_3 src1_sel:DWORD
	s_mov_b64 s[4:5], -1
                                        ; implicit-def: $sgpr10
	s_and_saveexec_b64 s[8:9], s[12:13]
; %bb.3358:
	s_mov_b32 s10, 0x7f800001
	s_xor_b64 s[4:5], exec, -1
; %bb.3359:
	s_or_b64 exec, exec, s[8:9]
	s_and_b64 s[4:5], s[4:5], exec
	s_or_saveexec_b64 s[6:7], s[6:7]
	v_mov_b32_e32 v14, s10
	s_xor_b64 exec, exec, s[6:7]
	s_cbranch_execz .LBB9_1310
.LBB9_3360:
	v_mov_b32_e32 v14, 0
	v_cmp_ne_u16_sdwa s[8:9], v10, v14 src0_sel:BYTE_3 src1_sel:DWORD
	s_andn2_b64 s[4:5], s[4:5], exec
	s_and_b64 s[8:9], s[8:9], exec
	s_or_b64 s[4:5], s[4:5], s[8:9]
	s_or_b64 exec, exec, s[6:7]
	s_and_saveexec_b64 s[6:7], s[4:5]
	s_cbranch_execnz .LBB9_1311
	s_branch .LBB9_1312
.LBB9_3361:
	s_movk_i32 s4, 0x80
	v_cmp_eq_u16_sdwa s[12:13], v15, s4 src0_sel:BYTE_0 src1_sel:DWORD
	s_mov_b64 s[4:5], -1
                                        ; implicit-def: $sgpr10
	s_and_saveexec_b64 s[8:9], s[12:13]
; %bb.3362:
	s_mov_b32 s10, 0x7f800001
	s_xor_b64 s[4:5], exec, -1
; %bb.3363:
	s_or_b64 exec, exec, s[8:9]
	s_and_b64 s[4:5], s[4:5], exec
	s_or_saveexec_b64 s[6:7], s[6:7]
	v_mov_b32_e32 v10, s10
	s_xor_b64 exec, exec, s[6:7]
	s_cbranch_execz .LBB9_1314
.LBB9_3364:
	v_mov_b32_e32 v10, 0
	v_cmp_ne_u16_sdwa s[8:9], v15, v10 src0_sel:BYTE_0 src1_sel:DWORD
	s_andn2_b64 s[4:5], s[4:5], exec
	s_and_b64 s[8:9], s[8:9], exec
	s_or_b64 s[4:5], s[4:5], s[8:9]
	s_or_b64 exec, exec, s[6:7]
	s_and_saveexec_b64 s[6:7], s[4:5]
	s_cbranch_execnz .LBB9_1315
	s_branch .LBB9_1316
.LBB9_3365:
	s_movk_i32 s4, 0x80
	v_cmp_eq_u16_sdwa s[12:13], v11, s4 src0_sel:BYTE_0 src1_sel:DWORD
	s_mov_b64 s[4:5], -1
                                        ; implicit-def: $sgpr10
	s_and_saveexec_b64 s[8:9], s[12:13]
; %bb.3366:
	s_mov_b32 s10, 0x7f800001
	s_xor_b64 s[4:5], exec, -1
; %bb.3367:
	s_or_b64 exec, exec, s[8:9]
	s_and_b64 s[4:5], s[4:5], exec
	s_or_saveexec_b64 s[6:7], s[6:7]
	v_mov_b32_e32 v14, s10
	s_xor_b64 exec, exec, s[6:7]
	s_cbranch_execz .LBB9_1318
.LBB9_3368:
	v_mov_b32_e32 v14, 0
	v_cmp_ne_u16_sdwa s[8:9], v11, v14 src0_sel:BYTE_0 src1_sel:DWORD
	s_andn2_b64 s[4:5], s[4:5], exec
	s_and_b64 s[8:9], s[8:9], exec
	s_or_b64 s[4:5], s[4:5], s[8:9]
	s_or_b64 exec, exec, s[6:7]
	s_and_saveexec_b64 s[6:7], s[4:5]
	s_cbranch_execnz .LBB9_1319
	s_branch .LBB9_1320
.LBB9_3369:
	s_movk_i32 s4, 0x80
	v_cmp_eq_u16_sdwa s[12:13], v14, s4 src0_sel:BYTE_0 src1_sel:DWORD
	s_mov_b64 s[4:5], -1
                                        ; implicit-def: $sgpr10
	s_and_saveexec_b64 s[8:9], s[12:13]
; %bb.3370:
	s_mov_b32 s10, 0x7f800001
	s_xor_b64 s[4:5], exec, -1
; %bb.3371:
	s_or_b64 exec, exec, s[8:9]
	s_and_b64 s[4:5], s[4:5], exec
	s_or_saveexec_b64 s[6:7], s[6:7]
	v_mov_b32_e32 v10, s10
	s_xor_b64 exec, exec, s[6:7]
	s_cbranch_execz .LBB9_1322
.LBB9_3372:
	v_mov_b32_e32 v10, 0
	v_cmp_ne_u16_sdwa s[8:9], v14, v10 src0_sel:BYTE_0 src1_sel:DWORD
	s_andn2_b64 s[4:5], s[4:5], exec
	s_and_b64 s[8:9], s[8:9], exec
	s_or_b64 s[4:5], s[4:5], s[8:9]
	s_or_b64 exec, exec, s[6:7]
	s_and_saveexec_b64 s[6:7], s[4:5]
	s_cbranch_execnz .LBB9_1323
	s_branch .LBB9_1324
.LBB9_3373:
	s_movk_i32 s4, 0x80
	v_cmp_eq_u16_sdwa s[12:13], v14, s4 src0_sel:BYTE_0 src1_sel:DWORD
	s_mov_b64 s[4:5], -1
                                        ; implicit-def: $sgpr10
	s_and_saveexec_b64 s[8:9], s[12:13]
; %bb.3374:
	s_mov_b32 s10, 0x7f800001
	s_xor_b64 s[4:5], exec, -1
; %bb.3375:
	s_or_b64 exec, exec, s[8:9]
	s_and_b64 s[4:5], s[4:5], exec
	s_or_saveexec_b64 s[6:7], s[6:7]
	v_mov_b32_e32 v20, s10
	s_xor_b64 exec, exec, s[6:7]
	s_cbranch_execz .LBB9_1326
.LBB9_3376:
	v_mov_b32_e32 v20, 0
	v_cmp_ne_u16_sdwa s[8:9], v14, v20 src0_sel:BYTE_0 src1_sel:DWORD
	s_andn2_b64 s[4:5], s[4:5], exec
	s_and_b64 s[8:9], s[8:9], exec
	s_or_b64 s[4:5], s[4:5], s[8:9]
	s_or_b64 exec, exec, s[6:7]
	s_and_saveexec_b64 s[6:7], s[4:5]
	s_cbranch_execnz .LBB9_1327
	s_branch .LBB9_1328
.LBB9_3377:
	s_movk_i32 s4, 0x80
	v_cmp_eq_u16_e32 vcc, s4, v14
	s_mov_b64 s[4:5], -1
                                        ; implicit-def: $sgpr10
	s_and_saveexec_b64 s[8:9], vcc
; %bb.3378:
	s_mov_b32 s10, 0x7f800001
	s_xor_b64 s[4:5], exec, -1
; %bb.3379:
	s_or_b64 exec, exec, s[8:9]
	s_and_b64 s[4:5], s[4:5], exec
                                        ; implicit-def: $vgpr14
	s_or_saveexec_b64 s[6:7], s[6:7]
	v_mov_b32_e32 v10, s10
	s_xor_b64 exec, exec, s[6:7]
	s_cbranch_execz .LBB9_1330
.LBB9_3380:
	v_cmp_ne_u16_e32 vcc, 0, v14
	s_andn2_b64 s[4:5], s[4:5], exec
	s_and_b64 s[8:9], vcc, exec
	v_mov_b32_e32 v10, 0
	s_or_b64 s[4:5], s[4:5], s[8:9]
	s_or_b64 exec, exec, s[6:7]
	s_and_saveexec_b64 s[6:7], s[4:5]
	s_cbranch_execnz .LBB9_1331
	s_branch .LBB9_1332
.LBB9_3381:
	s_movk_i32 s4, 0x80
	v_cmp_eq_u16_e32 vcc, s4, v14
	s_mov_b64 s[4:5], -1
                                        ; implicit-def: $sgpr10
	s_and_saveexec_b64 s[8:9], vcc
; %bb.3382:
	s_mov_b32 s10, 0x7f800001
	s_xor_b64 s[4:5], exec, -1
; %bb.3383:
	s_or_b64 exec, exec, s[8:9]
	s_and_b64 s[4:5], s[4:5], exec
                                        ; implicit-def: $vgpr14
	s_or_saveexec_b64 s[6:7], s[6:7]
	v_mov_b32_e32 v20, s10
	s_xor_b64 exec, exec, s[6:7]
	s_cbranch_execz .LBB9_1334
.LBB9_3384:
	v_cmp_ne_u16_e32 vcc, 0, v14
	s_andn2_b64 s[4:5], s[4:5], exec
	s_and_b64 s[8:9], vcc, exec
	v_mov_b32_e32 v20, 0
	s_or_b64 s[4:5], s[4:5], s[8:9]
	s_or_b64 exec, exec, s[6:7]
	s_and_saveexec_b64 s[6:7], s[4:5]
	s_cbranch_execnz .LBB9_1335
	s_branch .LBB9_1336
.LBB9_3385:
	s_movk_i32 s4, 0x80
	v_cmp_eq_u16_sdwa s[12:13], v15, s4 src0_sel:BYTE_3 src1_sel:DWORD
	s_mov_b64 s[4:5], -1
                                        ; implicit-def: $sgpr10
	s_and_saveexec_b64 s[8:9], s[12:13]
; %bb.3386:
	s_mov_b32 s10, 0x7f800001
	s_xor_b64 s[4:5], exec, -1
; %bb.3387:
	s_or_b64 exec, exec, s[8:9]
	s_and_b64 s[4:5], s[4:5], exec
	s_or_saveexec_b64 s[6:7], s[6:7]
	v_mov_b32_e32 v10, s10
	s_xor_b64 exec, exec, s[6:7]
	s_cbranch_execz .LBB9_1338
.LBB9_3388:
	v_mov_b32_e32 v10, 0
	v_cmp_ne_u16_sdwa s[8:9], v15, v10 src0_sel:BYTE_3 src1_sel:DWORD
	s_andn2_b64 s[4:5], s[4:5], exec
	s_and_b64 s[8:9], s[8:9], exec
	s_or_b64 s[4:5], s[4:5], s[8:9]
	s_or_b64 exec, exec, s[6:7]
	s_and_saveexec_b64 s[6:7], s[4:5]
	s_cbranch_execnz .LBB9_1339
	s_branch .LBB9_1340
.LBB9_3389:
	s_movk_i32 s4, 0x80
	v_cmp_eq_u16_sdwa s[12:13], v11, s4 src0_sel:BYTE_3 src1_sel:DWORD
	s_mov_b64 s[4:5], -1
                                        ; implicit-def: $sgpr10
	s_and_saveexec_b64 s[8:9], s[12:13]
; %bb.3390:
	s_mov_b32 s10, 0x7f800001
	s_xor_b64 s[4:5], exec, -1
; %bb.3391:
	s_or_b64 exec, exec, s[8:9]
	s_and_b64 s[4:5], s[4:5], exec
	s_or_saveexec_b64 s[6:7], s[6:7]
	v_mov_b32_e32 v14, s10
	s_xor_b64 exec, exec, s[6:7]
	s_cbranch_execz .LBB9_1342
.LBB9_3392:
	v_mov_b32_e32 v14, 0
	v_cmp_ne_u16_sdwa s[8:9], v11, v14 src0_sel:BYTE_3 src1_sel:DWORD
	s_andn2_b64 s[4:5], s[4:5], exec
	s_and_b64 s[8:9], s[8:9], exec
	s_or_b64 s[4:5], s[4:5], s[8:9]
	s_or_b64 exec, exec, s[6:7]
	s_and_saveexec_b64 s[6:7], s[4:5]
	s_cbranch_execnz .LBB9_1343
	s_branch .LBB9_1344
.LBB9_3393:
	s_movk_i32 s4, 0x80
	v_cmp_eq_u16_sdwa s[12:13], v16, s4 src0_sel:BYTE_0 src1_sel:DWORD
	s_mov_b64 s[4:5], -1
                                        ; implicit-def: $sgpr10
	s_and_saveexec_b64 s[8:9], s[12:13]
; %bb.3394:
	s_mov_b32 s10, 0x7f800001
	s_xor_b64 s[4:5], exec, -1
; %bb.3395:
	s_or_b64 exec, exec, s[8:9]
	s_and_b64 s[4:5], s[4:5], exec
	s_or_saveexec_b64 s[6:7], s[6:7]
	v_mov_b32_e32 v10, s10
	s_xor_b64 exec, exec, s[6:7]
	s_cbranch_execz .LBB9_1346
.LBB9_3396:
	v_mov_b32_e32 v10, 0
	v_cmp_ne_u16_sdwa s[8:9], v16, v10 src0_sel:BYTE_0 src1_sel:DWORD
	s_andn2_b64 s[4:5], s[4:5], exec
	s_and_b64 s[8:9], s[8:9], exec
	s_or_b64 s[4:5], s[4:5], s[8:9]
	s_or_b64 exec, exec, s[6:7]
	s_and_saveexec_b64 s[6:7], s[4:5]
	s_cbranch_execnz .LBB9_1347
	s_branch .LBB9_1348
.LBB9_3397:
	s_movk_i32 s4, 0x80
	v_cmp_eq_u16_sdwa s[12:13], v12, s4 src0_sel:BYTE_0 src1_sel:DWORD
	s_mov_b64 s[4:5], -1
                                        ; implicit-def: $sgpr10
	s_and_saveexec_b64 s[8:9], s[12:13]
; %bb.3398:
	s_mov_b32 s10, 0x7f800001
	s_xor_b64 s[4:5], exec, -1
; %bb.3399:
	s_or_b64 exec, exec, s[8:9]
	s_and_b64 s[4:5], s[4:5], exec
	s_or_saveexec_b64 s[6:7], s[6:7]
	v_mov_b32_e32 v11, s10
	s_xor_b64 exec, exec, s[6:7]
	s_cbranch_execz .LBB9_1350
.LBB9_3400:
	v_mov_b32_e32 v11, 0
	v_cmp_ne_u16_sdwa s[8:9], v12, v11 src0_sel:BYTE_0 src1_sel:DWORD
	s_andn2_b64 s[4:5], s[4:5], exec
	s_and_b64 s[8:9], s[8:9], exec
	s_or_b64 s[4:5], s[4:5], s[8:9]
	s_or_b64 exec, exec, s[6:7]
	s_and_saveexec_b64 s[6:7], s[4:5]
	s_cbranch_execnz .LBB9_1351
	s_branch .LBB9_1352
.LBB9_3401:
	s_movk_i32 s4, 0x80
	v_cmp_eq_u16_sdwa s[12:13], v11, s4 src0_sel:BYTE_0 src1_sel:DWORD
	s_mov_b64 s[4:5], -1
                                        ; implicit-def: $sgpr10
	s_and_saveexec_b64 s[8:9], s[12:13]
; %bb.3402:
	s_mov_b32 s10, 0x7f800001
	s_xor_b64 s[4:5], exec, -1
; %bb.3403:
	s_or_b64 exec, exec, s[8:9]
	s_and_b64 s[4:5], s[4:5], exec
	s_or_saveexec_b64 s[6:7], s[6:7]
	v_mov_b32_e32 v10, s10
	s_xor_b64 exec, exec, s[6:7]
	s_cbranch_execz .LBB9_1354
.LBB9_3404:
	v_mov_b32_e32 v10, 0
	v_cmp_ne_u16_sdwa s[8:9], v11, v10 src0_sel:BYTE_0 src1_sel:DWORD
	s_andn2_b64 s[4:5], s[4:5], exec
	s_and_b64 s[8:9], s[8:9], exec
	s_or_b64 s[4:5], s[4:5], s[8:9]
	s_or_b64 exec, exec, s[6:7]
	s_and_saveexec_b64 s[6:7], s[4:5]
	s_cbranch_execnz .LBB9_1355
	s_branch .LBB9_1356
.LBB9_3405:
	s_movk_i32 s4, 0x80
	v_cmp_eq_u16_sdwa s[12:13], v11, s4 src0_sel:BYTE_0 src1_sel:DWORD
	s_mov_b64 s[4:5], -1
                                        ; implicit-def: $sgpr10
	s_and_saveexec_b64 s[8:9], s[12:13]
; %bb.3406:
	s_mov_b32 s10, 0x7f800001
	s_xor_b64 s[4:5], exec, -1
; %bb.3407:
	s_or_b64 exec, exec, s[8:9]
	s_and_b64 s[4:5], s[4:5], exec
	s_or_saveexec_b64 s[6:7], s[6:7]
	v_mov_b32_e32 v14, s10
	s_xor_b64 exec, exec, s[6:7]
	s_cbranch_execz .LBB9_1358
.LBB9_3408:
	v_mov_b32_e32 v14, 0
	v_cmp_ne_u16_sdwa s[8:9], v11, v14 src0_sel:BYTE_0 src1_sel:DWORD
	s_andn2_b64 s[4:5], s[4:5], exec
	s_and_b64 s[8:9], s[8:9], exec
	s_or_b64 s[4:5], s[4:5], s[8:9]
	s_or_b64 exec, exec, s[6:7]
	s_and_saveexec_b64 s[6:7], s[4:5]
	s_cbranch_execnz .LBB9_1359
	s_branch .LBB9_1360
.LBB9_3409:
	s_movk_i32 s4, 0x80
	v_cmp_eq_u16_e32 vcc, s4, v11
	s_mov_b64 s[4:5], -1
                                        ; implicit-def: $sgpr10
	s_and_saveexec_b64 s[8:9], vcc
; %bb.3410:
	s_mov_b32 s10, 0x7f800001
	s_xor_b64 s[4:5], exec, -1
; %bb.3411:
	s_or_b64 exec, exec, s[8:9]
	s_and_b64 s[4:5], s[4:5], exec
                                        ; implicit-def: $vgpr11
	s_or_saveexec_b64 s[6:7], s[6:7]
	v_mov_b32_e32 v10, s10
	s_xor_b64 exec, exec, s[6:7]
	s_cbranch_execz .LBB9_1362
.LBB9_3412:
	v_cmp_ne_u16_e32 vcc, 0, v11
	s_andn2_b64 s[4:5], s[4:5], exec
	s_and_b64 s[8:9], vcc, exec
	v_mov_b32_e32 v10, 0
	s_or_b64 s[4:5], s[4:5], s[8:9]
	s_or_b64 exec, exec, s[6:7]
	s_and_saveexec_b64 s[6:7], s[4:5]
	s_cbranch_execnz .LBB9_1363
	s_branch .LBB9_1364
.LBB9_3413:
	s_movk_i32 s4, 0x80
	v_cmp_eq_u16_e32 vcc, s4, v11
	s_mov_b64 s[4:5], -1
                                        ; implicit-def: $sgpr10
	s_and_saveexec_b64 s[8:9], vcc
; %bb.3414:
	s_mov_b32 s10, 0x7f800001
	s_xor_b64 s[4:5], exec, -1
; %bb.3415:
	s_or_b64 exec, exec, s[8:9]
	s_and_b64 s[4:5], s[4:5], exec
                                        ; implicit-def: $vgpr11
	s_or_saveexec_b64 s[6:7], s[6:7]
	v_mov_b32_e32 v14, s10
	s_xor_b64 exec, exec, s[6:7]
	s_cbranch_execz .LBB9_1366
.LBB9_3416:
	v_cmp_ne_u16_e32 vcc, 0, v11
	s_andn2_b64 s[4:5], s[4:5], exec
	s_and_b64 s[8:9], vcc, exec
	v_mov_b32_e32 v14, 0
	s_or_b64 s[4:5], s[4:5], s[8:9]
	s_or_b64 exec, exec, s[6:7]
	s_and_saveexec_b64 s[6:7], s[4:5]
	s_cbranch_execnz .LBB9_1367
	s_branch .LBB9_1368
.LBB9_3417:
	s_movk_i32 s4, 0x80
	v_cmp_eq_u16_sdwa s[12:13], v16, s4 src0_sel:BYTE_3 src1_sel:DWORD
	s_mov_b64 s[4:5], -1
                                        ; implicit-def: $sgpr10
	s_and_saveexec_b64 s[8:9], s[12:13]
; %bb.3418:
	s_mov_b32 s10, 0x7f800001
	s_xor_b64 s[4:5], exec, -1
; %bb.3419:
	s_or_b64 exec, exec, s[8:9]
	s_and_b64 s[4:5], s[4:5], exec
	s_or_saveexec_b64 s[6:7], s[6:7]
	v_mov_b32_e32 v10, s10
	s_xor_b64 exec, exec, s[6:7]
	s_cbranch_execz .LBB9_1370
.LBB9_3420:
	v_mov_b32_e32 v10, 0
	v_cmp_ne_u16_sdwa s[8:9], v16, v10 src0_sel:BYTE_3 src1_sel:DWORD
	s_andn2_b64 s[4:5], s[4:5], exec
	s_and_b64 s[8:9], s[8:9], exec
	s_or_b64 s[4:5], s[4:5], s[8:9]
	s_or_b64 exec, exec, s[6:7]
	s_and_saveexec_b64 s[6:7], s[4:5]
	s_cbranch_execnz .LBB9_1371
	s_branch .LBB9_1372
.LBB9_3421:
	s_movk_i32 s4, 0x80
	v_cmp_eq_u16_sdwa s[12:13], v12, s4 src0_sel:BYTE_3 src1_sel:DWORD
	s_mov_b64 s[4:5], -1
                                        ; implicit-def: $sgpr10
	s_and_saveexec_b64 s[8:9], s[12:13]
; %bb.3422:
	s_mov_b32 s10, 0x7f800001
	s_xor_b64 s[4:5], exec, -1
; %bb.3423:
	s_or_b64 exec, exec, s[8:9]
	s_and_b64 s[4:5], s[4:5], exec
	s_or_saveexec_b64 s[6:7], s[6:7]
	v_mov_b32_e32 v11, s10
	s_xor_b64 exec, exec, s[6:7]
	s_cbranch_execz .LBB9_1374
.LBB9_3424:
	v_mov_b32_e32 v11, 0
	v_cmp_ne_u16_sdwa s[8:9], v12, v11 src0_sel:BYTE_3 src1_sel:DWORD
	s_andn2_b64 s[4:5], s[4:5], exec
	s_and_b64 s[8:9], s[8:9], exec
	s_or_b64 s[4:5], s[4:5], s[8:9]
	s_or_b64 exec, exec, s[6:7]
	s_and_saveexec_b64 s[6:7], s[4:5]
	s_cbranch_execnz .LBB9_1375
	s_branch .LBB9_1376
.LBB9_3425:
	s_movk_i32 s4, 0x80
	v_cmp_eq_u16_sdwa s[12:13], v17, s4 src0_sel:BYTE_0 src1_sel:DWORD
	s_mov_b64 s[4:5], -1
                                        ; implicit-def: $sgpr10
	s_and_saveexec_b64 s[8:9], s[12:13]
; %bb.3426:
	s_mov_b32 s10, 0x7f800001
	s_xor_b64 s[4:5], exec, -1
; %bb.3427:
	s_or_b64 exec, exec, s[8:9]
	s_and_b64 s[4:5], s[4:5], exec
	s_or_saveexec_b64 s[6:7], s[6:7]
	v_mov_b32_e32 v10, s10
	s_xor_b64 exec, exec, s[6:7]
	s_cbranch_execz .LBB9_1378
.LBB9_3428:
	v_mov_b32_e32 v10, 0
	v_cmp_ne_u16_sdwa s[8:9], v17, v10 src0_sel:BYTE_0 src1_sel:DWORD
	s_andn2_b64 s[4:5], s[4:5], exec
	s_and_b64 s[8:9], s[8:9], exec
	s_or_b64 s[4:5], s[4:5], s[8:9]
	s_or_b64 exec, exec, s[6:7]
	s_and_saveexec_b64 s[6:7], s[4:5]
	s_cbranch_execnz .LBB9_1379
	s_branch .LBB9_1380
.LBB9_3429:
	s_movk_i32 s4, 0x80
	v_cmp_eq_u16_sdwa s[12:13], v13, s4 src0_sel:BYTE_0 src1_sel:DWORD
	s_mov_b64 s[4:5], -1
                                        ; implicit-def: $sgpr10
	s_and_saveexec_b64 s[8:9], s[12:13]
; %bb.3430:
	s_mov_b32 s10, 0x7f800001
	s_xor_b64 s[4:5], exec, -1
; %bb.3431:
	s_or_b64 exec, exec, s[8:9]
	s_and_b64 s[4:5], s[4:5], exec
	s_or_saveexec_b64 s[6:7], s[6:7]
	v_mov_b32_e32 v11, s10
	s_xor_b64 exec, exec, s[6:7]
	s_cbranch_execz .LBB9_1382
.LBB9_3432:
	v_mov_b32_e32 v11, 0
	v_cmp_ne_u16_sdwa s[8:9], v13, v11 src0_sel:BYTE_0 src1_sel:DWORD
	s_andn2_b64 s[4:5], s[4:5], exec
	s_and_b64 s[8:9], s[8:9], exec
	s_or_b64 s[4:5], s[4:5], s[8:9]
	s_or_b64 exec, exec, s[6:7]
	s_and_saveexec_b64 s[6:7], s[4:5]
	s_cbranch_execnz .LBB9_1383
	s_branch .LBB9_1384
.LBB9_3433:
	s_movk_i32 s4, 0x80
	v_cmp_eq_u16_sdwa s[12:13], v11, s4 src0_sel:BYTE_0 src1_sel:DWORD
	s_mov_b64 s[4:5], -1
                                        ; implicit-def: $sgpr10
	s_and_saveexec_b64 s[8:9], s[12:13]
; %bb.3434:
	s_mov_b32 s10, 0x7f800001
	s_xor_b64 s[4:5], exec, -1
; %bb.3435:
	s_or_b64 exec, exec, s[8:9]
	s_and_b64 s[4:5], s[4:5], exec
	s_or_saveexec_b64 s[6:7], s[6:7]
	v_mov_b32_e32 v10, s10
	s_xor_b64 exec, exec, s[6:7]
	s_cbranch_execz .LBB9_1386
.LBB9_3436:
	v_mov_b32_e32 v10, 0
	v_cmp_ne_u16_sdwa s[8:9], v11, v10 src0_sel:BYTE_0 src1_sel:DWORD
	s_andn2_b64 s[4:5], s[4:5], exec
	s_and_b64 s[8:9], s[8:9], exec
	s_or_b64 s[4:5], s[4:5], s[8:9]
	s_or_b64 exec, exec, s[6:7]
	s_and_saveexec_b64 s[6:7], s[4:5]
	s_cbranch_execnz .LBB9_1387
	s_branch .LBB9_1388
.LBB9_3437:
	s_movk_i32 s4, 0x80
	v_cmp_eq_u16_sdwa s[12:13], v11, s4 src0_sel:BYTE_0 src1_sel:DWORD
	s_mov_b64 s[4:5], -1
                                        ; implicit-def: $sgpr10
	s_and_saveexec_b64 s[8:9], s[12:13]
; %bb.3438:
	s_mov_b32 s10, 0x7f800001
	s_xor_b64 s[4:5], exec, -1
; %bb.3439:
	s_or_b64 exec, exec, s[8:9]
	s_and_b64 s[4:5], s[4:5], exec
	s_or_saveexec_b64 s[6:7], s[6:7]
	v_mov_b32_e32 v12, s10
	s_xor_b64 exec, exec, s[6:7]
	s_cbranch_execz .LBB9_1390
.LBB9_3440:
	v_mov_b32_e32 v12, 0
	v_cmp_ne_u16_sdwa s[8:9], v11, v12 src0_sel:BYTE_0 src1_sel:DWORD
	s_andn2_b64 s[4:5], s[4:5], exec
	s_and_b64 s[8:9], s[8:9], exec
	s_or_b64 s[4:5], s[4:5], s[8:9]
	s_or_b64 exec, exec, s[6:7]
	s_and_saveexec_b64 s[6:7], s[4:5]
	s_cbranch_execnz .LBB9_1391
	s_branch .LBB9_1392
.LBB9_3441:
	s_movk_i32 s4, 0x80
	v_cmp_eq_u16_e32 vcc, s4, v11
	s_mov_b64 s[4:5], -1
                                        ; implicit-def: $sgpr10
	s_and_saveexec_b64 s[8:9], vcc
; %bb.3442:
	s_mov_b32 s10, 0x7f800001
	s_xor_b64 s[4:5], exec, -1
; %bb.3443:
	s_or_b64 exec, exec, s[8:9]
	s_and_b64 s[4:5], s[4:5], exec
                                        ; implicit-def: $vgpr11
	s_or_saveexec_b64 s[6:7], s[6:7]
	v_mov_b32_e32 v10, s10
	s_xor_b64 exec, exec, s[6:7]
	s_cbranch_execz .LBB9_1394
.LBB9_3444:
	v_cmp_ne_u16_e32 vcc, 0, v11
	s_andn2_b64 s[4:5], s[4:5], exec
	s_and_b64 s[8:9], vcc, exec
	v_mov_b32_e32 v10, 0
	s_or_b64 s[4:5], s[4:5], s[8:9]
	s_or_b64 exec, exec, s[6:7]
	s_and_saveexec_b64 s[6:7], s[4:5]
	s_cbranch_execnz .LBB9_1395
	s_branch .LBB9_1396
.LBB9_3445:
	s_movk_i32 s4, 0x80
	v_cmp_eq_u16_e32 vcc, s4, v11
	s_mov_b64 s[4:5], -1
                                        ; implicit-def: $sgpr10
	s_and_saveexec_b64 s[8:9], vcc
; %bb.3446:
	s_mov_b32 s10, 0x7f800001
	s_xor_b64 s[4:5], exec, -1
; %bb.3447:
	s_or_b64 exec, exec, s[8:9]
	s_and_b64 s[4:5], s[4:5], exec
                                        ; implicit-def: $vgpr11
	s_or_saveexec_b64 s[6:7], s[6:7]
	v_mov_b32_e32 v12, s10
	s_xor_b64 exec, exec, s[6:7]
	s_cbranch_execz .LBB9_1398
.LBB9_3448:
	v_cmp_ne_u16_e32 vcc, 0, v11
	s_andn2_b64 s[4:5], s[4:5], exec
	s_and_b64 s[8:9], vcc, exec
	v_mov_b32_e32 v12, 0
	s_or_b64 s[4:5], s[4:5], s[8:9]
	s_or_b64 exec, exec, s[6:7]
	s_and_saveexec_b64 s[6:7], s[4:5]
	s_cbranch_execnz .LBB9_1399
	s_branch .LBB9_1400
.LBB9_3449:
	s_movk_i32 s4, 0x80
	v_cmp_eq_u16_sdwa s[12:13], v17, s4 src0_sel:BYTE_3 src1_sel:DWORD
	s_mov_b64 s[4:5], -1
                                        ; implicit-def: $sgpr10
	s_and_saveexec_b64 s[8:9], s[12:13]
; %bb.3450:
	s_mov_b32 s10, 0x7f800001
	s_xor_b64 s[4:5], exec, -1
; %bb.3451:
	s_or_b64 exec, exec, s[8:9]
	s_and_b64 s[4:5], s[4:5], exec
	s_or_saveexec_b64 s[6:7], s[6:7]
	v_mov_b32_e32 v10, s10
	s_xor_b64 exec, exec, s[6:7]
	s_cbranch_execz .LBB9_1402
.LBB9_3452:
	v_mov_b32_e32 v10, 0
	v_cmp_ne_u16_sdwa s[8:9], v17, v10 src0_sel:BYTE_3 src1_sel:DWORD
	s_andn2_b64 s[4:5], s[4:5], exec
	s_and_b64 s[8:9], s[8:9], exec
	s_or_b64 s[4:5], s[4:5], s[8:9]
	s_or_b64 exec, exec, s[6:7]
	s_and_saveexec_b64 s[6:7], s[4:5]
	s_cbranch_execnz .LBB9_1403
	s_branch .LBB9_1404
.LBB9_3453:
	s_movk_i32 s4, 0x80
	v_cmp_eq_u16_sdwa s[12:13], v13, s4 src0_sel:BYTE_3 src1_sel:DWORD
	s_mov_b64 s[4:5], -1
                                        ; implicit-def: $sgpr10
	s_and_saveexec_b64 s[8:9], s[12:13]
; %bb.3454:
	s_mov_b32 s10, 0x7f800001
	s_xor_b64 s[4:5], exec, -1
; %bb.3455:
	s_or_b64 exec, exec, s[8:9]
	s_and_b64 s[4:5], s[4:5], exec
	s_or_saveexec_b64 s[6:7], s[6:7]
	v_mov_b32_e32 v11, s10
	s_xor_b64 exec, exec, s[6:7]
	s_cbranch_execz .LBB9_1406
.LBB9_3456:
	v_mov_b32_e32 v11, 0
	v_cmp_ne_u16_sdwa s[8:9], v13, v11 src0_sel:BYTE_3 src1_sel:DWORD
	s_andn2_b64 s[4:5], s[4:5], exec
	s_and_b64 s[8:9], s[8:9], exec
	s_or_b64 s[4:5], s[4:5], s[8:9]
	s_or_b64 exec, exec, s[6:7]
	s_and_saveexec_b64 s[6:7], s[4:5]
	s_cbranch_execnz .LBB9_1407
	s_branch .LBB9_1408
.LBB9_3457:
	s_movk_i32 s4, 0x80
	v_cmp_eq_u16_sdwa s[12:13], v6, s4 src0_sel:BYTE_0 src1_sel:DWORD
	s_mov_b64 s[4:5], -1
                                        ; implicit-def: $sgpr10
	s_and_saveexec_b64 s[8:9], s[12:13]
; %bb.3458:
	s_mov_b32 s10, 0x7f800001
	s_xor_b64 s[4:5], exec, -1
; %bb.3459:
	s_or_b64 exec, exec, s[8:9]
	s_and_b64 s[4:5], s[4:5], exec
	s_or_saveexec_b64 s[6:7], s[6:7]
	v_mov_b32_e32 v10, s10
	s_xor_b64 exec, exec, s[6:7]
	s_cbranch_execz .LBB9_1410
.LBB9_3460:
	v_mov_b32_e32 v10, 0
	v_cmp_ne_u16_sdwa s[8:9], v6, v10 src0_sel:BYTE_0 src1_sel:DWORD
	s_andn2_b64 s[4:5], s[4:5], exec
	s_and_b64 s[8:9], s[8:9], exec
	s_or_b64 s[4:5], s[4:5], s[8:9]
	s_or_b64 exec, exec, s[6:7]
	s_and_saveexec_b64 s[6:7], s[4:5]
	s_cbranch_execnz .LBB9_1411
	s_branch .LBB9_1412
.LBB9_3461:
	s_movk_i32 s4, 0x80
	v_cmp_eq_u16_sdwa s[12:13], v2, s4 src0_sel:BYTE_0 src1_sel:DWORD
	s_mov_b64 s[4:5], -1
                                        ; implicit-def: $sgpr10
	s_and_saveexec_b64 s[8:9], s[12:13]
; %bb.3462:
	s_mov_b32 s10, 0x7f800001
	s_xor_b64 s[4:5], exec, -1
; %bb.3463:
	s_or_b64 exec, exec, s[8:9]
	s_and_b64 s[4:5], s[4:5], exec
	s_or_saveexec_b64 s[6:7], s[6:7]
	v_mov_b32_e32 v11, s10
	s_xor_b64 exec, exec, s[6:7]
	s_cbranch_execz .LBB9_1414
.LBB9_3464:
	v_mov_b32_e32 v11, 0
	v_cmp_ne_u16_sdwa s[8:9], v2, v11 src0_sel:BYTE_0 src1_sel:DWORD
	s_andn2_b64 s[4:5], s[4:5], exec
	s_and_b64 s[8:9], s[8:9], exec
	s_or_b64 s[4:5], s[4:5], s[8:9]
	s_or_b64 exec, exec, s[6:7]
	s_and_saveexec_b64 s[6:7], s[4:5]
	s_cbranch_execnz .LBB9_1415
	s_branch .LBB9_1416
.LBB9_3465:
	s_movk_i32 s4, 0x80
	v_cmp_eq_u16_sdwa s[12:13], v11, s4 src0_sel:BYTE_0 src1_sel:DWORD
	s_mov_b64 s[4:5], -1
                                        ; implicit-def: $sgpr10
	s_and_saveexec_b64 s[8:9], s[12:13]
; %bb.3466:
	s_mov_b32 s10, 0x7f800001
	s_xor_b64 s[4:5], exec, -1
; %bb.3467:
	s_or_b64 exec, exec, s[8:9]
	s_and_b64 s[4:5], s[4:5], exec
	s_or_saveexec_b64 s[6:7], s[6:7]
	v_mov_b32_e32 v10, s10
	s_xor_b64 exec, exec, s[6:7]
	s_cbranch_execz .LBB9_1418
.LBB9_3468:
	v_mov_b32_e32 v10, 0
	v_cmp_ne_u16_sdwa s[8:9], v11, v10 src0_sel:BYTE_0 src1_sel:DWORD
	s_andn2_b64 s[4:5], s[4:5], exec
	s_and_b64 s[8:9], s[8:9], exec
	s_or_b64 s[4:5], s[4:5], s[8:9]
	s_or_b64 exec, exec, s[6:7]
	s_and_saveexec_b64 s[6:7], s[4:5]
	s_cbranch_execnz .LBB9_1419
	s_branch .LBB9_1420
.LBB9_3469:
	s_movk_i32 s4, 0x80
	v_cmp_eq_u16_sdwa s[12:13], v11, s4 src0_sel:BYTE_0 src1_sel:DWORD
	s_mov_b64 s[4:5], -1
                                        ; implicit-def: $sgpr10
	s_and_saveexec_b64 s[8:9], s[12:13]
; %bb.3470:
	s_mov_b32 s10, 0x7f800001
	s_xor_b64 s[4:5], exec, -1
; %bb.3471:
	s_or_b64 exec, exec, s[8:9]
	s_and_b64 s[4:5], s[4:5], exec
	s_or_saveexec_b64 s[6:7], s[6:7]
	v_mov_b32_e32 v12, s10
	s_xor_b64 exec, exec, s[6:7]
	s_cbranch_execz .LBB9_1422
.LBB9_3472:
	v_mov_b32_e32 v12, 0
	v_cmp_ne_u16_sdwa s[8:9], v11, v12 src0_sel:BYTE_0 src1_sel:DWORD
	s_andn2_b64 s[4:5], s[4:5], exec
	s_and_b64 s[8:9], s[8:9], exec
	s_or_b64 s[4:5], s[4:5], s[8:9]
	s_or_b64 exec, exec, s[6:7]
	s_and_saveexec_b64 s[6:7], s[4:5]
	s_cbranch_execnz .LBB9_1423
	s_branch .LBB9_1424
.LBB9_3473:
	s_movk_i32 s4, 0x80
	v_cmp_eq_u16_e32 vcc, s4, v11
	s_mov_b64 s[4:5], -1
                                        ; implicit-def: $sgpr10
	s_and_saveexec_b64 s[8:9], vcc
; %bb.3474:
	s_mov_b32 s10, 0x7f800001
	s_xor_b64 s[4:5], exec, -1
; %bb.3475:
	s_or_b64 exec, exec, s[8:9]
	s_and_b64 s[4:5], s[4:5], exec
                                        ; implicit-def: $vgpr11
	s_or_saveexec_b64 s[6:7], s[6:7]
	v_mov_b32_e32 v10, s10
	s_xor_b64 exec, exec, s[6:7]
	s_cbranch_execz .LBB9_1426
.LBB9_3476:
	v_cmp_ne_u16_e32 vcc, 0, v11
	s_andn2_b64 s[4:5], s[4:5], exec
	s_and_b64 s[8:9], vcc, exec
	v_mov_b32_e32 v10, 0
	s_or_b64 s[4:5], s[4:5], s[8:9]
	s_or_b64 exec, exec, s[6:7]
	s_and_saveexec_b64 s[6:7], s[4:5]
	s_cbranch_execnz .LBB9_1427
	s_branch .LBB9_1428
.LBB9_3477:
	s_movk_i32 s4, 0x80
	v_cmp_eq_u16_e32 vcc, s4, v11
	s_mov_b64 s[4:5], -1
                                        ; implicit-def: $sgpr10
	s_and_saveexec_b64 s[8:9], vcc
; %bb.3478:
	s_mov_b32 s10, 0x7f800001
	s_xor_b64 s[4:5], exec, -1
; %bb.3479:
	s_or_b64 exec, exec, s[8:9]
	s_and_b64 s[4:5], s[4:5], exec
                                        ; implicit-def: $vgpr11
	s_or_saveexec_b64 s[6:7], s[6:7]
	v_mov_b32_e32 v12, s10
	s_xor_b64 exec, exec, s[6:7]
	s_cbranch_execz .LBB9_1430
.LBB9_3480:
	v_cmp_ne_u16_e32 vcc, 0, v11
	s_andn2_b64 s[4:5], s[4:5], exec
	s_and_b64 s[8:9], vcc, exec
	v_mov_b32_e32 v12, 0
	s_or_b64 s[4:5], s[4:5], s[8:9]
	s_or_b64 exec, exec, s[6:7]
	s_and_saveexec_b64 s[6:7], s[4:5]
	s_cbranch_execnz .LBB9_1431
	s_branch .LBB9_1432
.LBB9_3481:
	s_movk_i32 s4, 0x80
	v_cmp_eq_u16_sdwa s[12:13], v6, s4 src0_sel:BYTE_3 src1_sel:DWORD
	s_mov_b64 s[4:5], -1
                                        ; implicit-def: $sgpr10
	s_and_saveexec_b64 s[8:9], s[12:13]
; %bb.3482:
	s_mov_b32 s10, 0x7f800001
	s_xor_b64 s[4:5], exec, -1
; %bb.3483:
	s_or_b64 exec, exec, s[8:9]
	s_and_b64 s[4:5], s[4:5], exec
	s_or_saveexec_b64 s[6:7], s[6:7]
	v_mov_b32_e32 v10, s10
	s_xor_b64 exec, exec, s[6:7]
	s_cbranch_execz .LBB9_1434
.LBB9_3484:
	v_mov_b32_e32 v10, 0
	v_cmp_ne_u16_sdwa s[8:9], v6, v10 src0_sel:BYTE_3 src1_sel:DWORD
	s_andn2_b64 s[4:5], s[4:5], exec
	s_and_b64 s[8:9], s[8:9], exec
	s_or_b64 s[4:5], s[4:5], s[8:9]
	s_or_b64 exec, exec, s[6:7]
	s_and_saveexec_b64 s[6:7], s[4:5]
	s_cbranch_execnz .LBB9_1435
	s_branch .LBB9_1436
.LBB9_3485:
	s_movk_i32 s4, 0x80
	v_cmp_eq_u16_sdwa s[12:13], v2, s4 src0_sel:BYTE_3 src1_sel:DWORD
	s_mov_b64 s[4:5], -1
                                        ; implicit-def: $sgpr10
	s_and_saveexec_b64 s[8:9], s[12:13]
; %bb.3486:
	s_mov_b32 s10, 0x7f800001
	s_xor_b64 s[4:5], exec, -1
; %bb.3487:
	s_or_b64 exec, exec, s[8:9]
	s_and_b64 s[4:5], s[4:5], exec
	s_or_saveexec_b64 s[6:7], s[6:7]
	v_mov_b32_e32 v6, s10
	s_xor_b64 exec, exec, s[6:7]
	s_cbranch_execz .LBB9_1438
.LBB9_3488:
	v_mov_b32_e32 v6, 0
	v_cmp_ne_u16_sdwa s[8:9], v2, v6 src0_sel:BYTE_3 src1_sel:DWORD
	s_andn2_b64 s[4:5], s[4:5], exec
	s_and_b64 s[8:9], s[8:9], exec
	s_or_b64 s[4:5], s[4:5], s[8:9]
	s_or_b64 exec, exec, s[6:7]
	s_and_saveexec_b64 s[6:7], s[4:5]
	s_cbranch_execnz .LBB9_1439
	s_branch .LBB9_1440
.LBB9_3489:
	s_movk_i32 s4, 0x80
	v_cmp_eq_u16_sdwa s[12:13], v7, s4 src0_sel:BYTE_0 src1_sel:DWORD
	s_mov_b64 s[4:5], -1
                                        ; implicit-def: $sgpr10
	s_and_saveexec_b64 s[8:9], s[12:13]
; %bb.3490:
	s_mov_b32 s10, 0x7f800001
	s_xor_b64 s[4:5], exec, -1
; %bb.3491:
	s_or_b64 exec, exec, s[8:9]
	s_and_b64 s[4:5], s[4:5], exec
	s_or_saveexec_b64 s[6:7], s[6:7]
	v_mov_b32_e32 v2, s10
	s_xor_b64 exec, exec, s[6:7]
	s_cbranch_execz .LBB9_1442
.LBB9_3492:
	v_mov_b32_e32 v2, 0
	v_cmp_ne_u16_sdwa s[8:9], v7, v2 src0_sel:BYTE_0 src1_sel:DWORD
	s_andn2_b64 s[4:5], s[4:5], exec
	s_and_b64 s[8:9], s[8:9], exec
	s_or_b64 s[4:5], s[4:5], s[8:9]
	s_or_b64 exec, exec, s[6:7]
	s_and_saveexec_b64 s[6:7], s[4:5]
	s_cbranch_execnz .LBB9_1443
	s_branch .LBB9_1444
.LBB9_3493:
	s_movk_i32 s4, 0x80
	v_cmp_eq_u16_sdwa s[12:13], v3, s4 src0_sel:BYTE_0 src1_sel:DWORD
	s_mov_b64 s[4:5], -1
                                        ; implicit-def: $sgpr10
	s_and_saveexec_b64 s[8:9], s[12:13]
; %bb.3494:
	s_mov_b32 s10, 0x7f800001
	s_xor_b64 s[4:5], exec, -1
; %bb.3495:
	s_or_b64 exec, exec, s[8:9]
	s_and_b64 s[4:5], s[4:5], exec
	s_or_saveexec_b64 s[6:7], s[6:7]
	v_mov_b32_e32 v6, s10
	s_xor_b64 exec, exec, s[6:7]
	s_cbranch_execz .LBB9_1446
.LBB9_3496:
	v_mov_b32_e32 v6, 0
	v_cmp_ne_u16_sdwa s[8:9], v3, v6 src0_sel:BYTE_0 src1_sel:DWORD
	s_andn2_b64 s[4:5], s[4:5], exec
	s_and_b64 s[8:9], s[8:9], exec
	s_or_b64 s[4:5], s[4:5], s[8:9]
	s_or_b64 exec, exec, s[6:7]
	s_and_saveexec_b64 s[6:7], s[4:5]
	s_cbranch_execnz .LBB9_1447
	s_branch .LBB9_1448
.LBB9_3497:
	s_movk_i32 s4, 0x80
	v_cmp_eq_u16_sdwa s[12:13], v6, s4 src0_sel:BYTE_0 src1_sel:DWORD
	s_mov_b64 s[4:5], -1
                                        ; implicit-def: $sgpr10
	s_and_saveexec_b64 s[8:9], s[12:13]
; %bb.3498:
	s_mov_b32 s10, 0x7f800001
	s_xor_b64 s[4:5], exec, -1
; %bb.3499:
	s_or_b64 exec, exec, s[8:9]
	s_and_b64 s[4:5], s[4:5], exec
	s_or_saveexec_b64 s[6:7], s[6:7]
	v_mov_b32_e32 v2, s10
	s_xor_b64 exec, exec, s[6:7]
	s_cbranch_execz .LBB9_1450
.LBB9_3500:
	v_mov_b32_e32 v2, 0
	v_cmp_ne_u16_sdwa s[8:9], v6, v2 src0_sel:BYTE_0 src1_sel:DWORD
	s_andn2_b64 s[4:5], s[4:5], exec
	s_and_b64 s[8:9], s[8:9], exec
	s_or_b64 s[4:5], s[4:5], s[8:9]
	s_or_b64 exec, exec, s[6:7]
	s_and_saveexec_b64 s[6:7], s[4:5]
	s_cbranch_execnz .LBB9_1451
	s_branch .LBB9_1452
.LBB9_3501:
	s_movk_i32 s4, 0x80
	v_cmp_eq_u16_sdwa s[12:13], v6, s4 src0_sel:BYTE_0 src1_sel:DWORD
	s_mov_b64 s[4:5], -1
                                        ; implicit-def: $sgpr10
	s_and_saveexec_b64 s[8:9], s[12:13]
; %bb.3502:
	s_mov_b32 s10, 0x7f800001
	s_xor_b64 s[4:5], exec, -1
; %bb.3503:
	s_or_b64 exec, exec, s[8:9]
	s_and_b64 s[4:5], s[4:5], exec
	s_or_saveexec_b64 s[6:7], s[6:7]
	v_mov_b32_e32 v10, s10
	s_xor_b64 exec, exec, s[6:7]
	s_cbranch_execz .LBB9_1454
.LBB9_3504:
	v_mov_b32_e32 v10, 0
	v_cmp_ne_u16_sdwa s[8:9], v6, v10 src0_sel:BYTE_0 src1_sel:DWORD
	s_andn2_b64 s[4:5], s[4:5], exec
	s_and_b64 s[8:9], s[8:9], exec
	s_or_b64 s[4:5], s[4:5], s[8:9]
	s_or_b64 exec, exec, s[6:7]
	s_and_saveexec_b64 s[6:7], s[4:5]
	s_cbranch_execnz .LBB9_1455
	s_branch .LBB9_1456
.LBB9_3505:
	s_movk_i32 s4, 0x80
	v_cmp_eq_u16_e32 vcc, s4, v6
	s_mov_b64 s[4:5], -1
                                        ; implicit-def: $sgpr10
	s_and_saveexec_b64 s[8:9], vcc
; %bb.3506:
	s_mov_b32 s10, 0x7f800001
	s_xor_b64 s[4:5], exec, -1
; %bb.3507:
	s_or_b64 exec, exec, s[8:9]
	s_and_b64 s[4:5], s[4:5], exec
                                        ; implicit-def: $vgpr6
	s_or_saveexec_b64 s[6:7], s[6:7]
	v_mov_b32_e32 v2, s10
	s_xor_b64 exec, exec, s[6:7]
	s_cbranch_execz .LBB9_1458
.LBB9_3508:
	v_cmp_ne_u16_e32 vcc, 0, v6
	s_andn2_b64 s[4:5], s[4:5], exec
	s_and_b64 s[8:9], vcc, exec
	v_mov_b32_e32 v2, 0
	s_or_b64 s[4:5], s[4:5], s[8:9]
	s_or_b64 exec, exec, s[6:7]
	s_and_saveexec_b64 s[6:7], s[4:5]
	s_cbranch_execnz .LBB9_1459
	s_branch .LBB9_1460
.LBB9_3509:
	s_movk_i32 s4, 0x80
	v_cmp_eq_u16_e32 vcc, s4, v6
	s_mov_b64 s[4:5], -1
                                        ; implicit-def: $sgpr10
	s_and_saveexec_b64 s[8:9], vcc
; %bb.3510:
	s_mov_b32 s10, 0x7f800001
	s_xor_b64 s[4:5], exec, -1
; %bb.3511:
	s_or_b64 exec, exec, s[8:9]
	s_and_b64 s[4:5], s[4:5], exec
                                        ; implicit-def: $vgpr6
	s_or_saveexec_b64 s[6:7], s[6:7]
	v_mov_b32_e32 v10, s10
	s_xor_b64 exec, exec, s[6:7]
	s_cbranch_execz .LBB9_1462
.LBB9_3512:
	v_cmp_ne_u16_e32 vcc, 0, v6
	s_andn2_b64 s[4:5], s[4:5], exec
	s_and_b64 s[8:9], vcc, exec
	v_mov_b32_e32 v10, 0
	s_or_b64 s[4:5], s[4:5], s[8:9]
	s_or_b64 exec, exec, s[6:7]
	s_and_saveexec_b64 s[6:7], s[4:5]
	s_cbranch_execnz .LBB9_1463
	s_branch .LBB9_1464
.LBB9_3513:
	s_movk_i32 s4, 0x80
	v_cmp_eq_u16_sdwa s[12:13], v7, s4 src0_sel:BYTE_3 src1_sel:DWORD
	s_mov_b64 s[4:5], -1
                                        ; implicit-def: $sgpr10
	s_and_saveexec_b64 s[8:9], s[12:13]
; %bb.3514:
	s_mov_b32 s10, 0x7f800001
	s_xor_b64 s[4:5], exec, -1
; %bb.3515:
	s_or_b64 exec, exec, s[8:9]
	s_and_b64 s[4:5], s[4:5], exec
	s_or_saveexec_b64 s[6:7], s[6:7]
	v_mov_b32_e32 v2, s10
	s_xor_b64 exec, exec, s[6:7]
	s_cbranch_execz .LBB9_1466
.LBB9_3516:
	v_mov_b32_e32 v2, 0
	v_cmp_ne_u16_sdwa s[8:9], v7, v2 src0_sel:BYTE_3 src1_sel:DWORD
	s_andn2_b64 s[4:5], s[4:5], exec
	s_and_b64 s[8:9], s[8:9], exec
	s_or_b64 s[4:5], s[4:5], s[8:9]
	s_or_b64 exec, exec, s[6:7]
	s_and_saveexec_b64 s[6:7], s[4:5]
	s_cbranch_execnz .LBB9_1467
	s_branch .LBB9_1468
.LBB9_3517:
	s_movk_i32 s4, 0x80
	v_cmp_eq_u16_sdwa s[12:13], v3, s4 src0_sel:BYTE_3 src1_sel:DWORD
	s_mov_b64 s[4:5], -1
                                        ; implicit-def: $sgpr10
	s_and_saveexec_b64 s[8:9], s[12:13]
; %bb.3518:
	s_mov_b32 s10, 0x7f800001
	s_xor_b64 s[4:5], exec, -1
; %bb.3519:
	s_or_b64 exec, exec, s[8:9]
	s_and_b64 s[4:5], s[4:5], exec
	s_or_saveexec_b64 s[6:7], s[6:7]
	v_mov_b32_e32 v6, s10
	s_xor_b64 exec, exec, s[6:7]
	s_cbranch_execz .LBB9_1470
.LBB9_3520:
	v_mov_b32_e32 v6, 0
	v_cmp_ne_u16_sdwa s[8:9], v3, v6 src0_sel:BYTE_3 src1_sel:DWORD
	s_andn2_b64 s[4:5], s[4:5], exec
	s_and_b64 s[8:9], s[8:9], exec
	s_or_b64 s[4:5], s[4:5], s[8:9]
	s_or_b64 exec, exec, s[6:7]
	s_and_saveexec_b64 s[6:7], s[4:5]
	s_cbranch_execnz .LBB9_1471
	s_branch .LBB9_1472
.LBB9_3521:
	s_movk_i32 s4, 0x80
	v_cmp_eq_u16_sdwa s[12:13], v8, s4 src0_sel:BYTE_0 src1_sel:DWORD
	s_mov_b64 s[4:5], -1
                                        ; implicit-def: $sgpr10
	s_and_saveexec_b64 s[8:9], s[12:13]
; %bb.3522:
	s_mov_b32 s10, 0x7f800001
	s_xor_b64 s[4:5], exec, -1
; %bb.3523:
	s_or_b64 exec, exec, s[8:9]
	s_and_b64 s[4:5], s[4:5], exec
	s_or_saveexec_b64 s[6:7], s[6:7]
	v_mov_b32_e32 v2, s10
	s_xor_b64 exec, exec, s[6:7]
	s_cbranch_execz .LBB9_1474
.LBB9_3524:
	v_mov_b32_e32 v2, 0
	v_cmp_ne_u16_sdwa s[8:9], v8, v2 src0_sel:BYTE_0 src1_sel:DWORD
	s_andn2_b64 s[4:5], s[4:5], exec
	s_and_b64 s[8:9], s[8:9], exec
	s_or_b64 s[4:5], s[4:5], s[8:9]
	s_or_b64 exec, exec, s[6:7]
	s_and_saveexec_b64 s[6:7], s[4:5]
	s_cbranch_execnz .LBB9_1475
	s_branch .LBB9_1476
.LBB9_3525:
	s_movk_i32 s4, 0x80
	v_cmp_eq_u16_sdwa s[12:13], v4, s4 src0_sel:BYTE_0 src1_sel:DWORD
	s_mov_b64 s[4:5], -1
                                        ; implicit-def: $sgpr10
	s_and_saveexec_b64 s[8:9], s[12:13]
; %bb.3526:
	s_mov_b32 s10, 0x7f800001
	s_xor_b64 s[4:5], exec, -1
; %bb.3527:
	s_or_b64 exec, exec, s[8:9]
	s_and_b64 s[4:5], s[4:5], exec
	s_or_saveexec_b64 s[6:7], s[6:7]
	v_mov_b32_e32 v3, s10
	s_xor_b64 exec, exec, s[6:7]
	s_cbranch_execz .LBB9_1478
.LBB9_3528:
	v_mov_b32_e32 v3, 0
	v_cmp_ne_u16_sdwa s[8:9], v4, v3 src0_sel:BYTE_0 src1_sel:DWORD
	s_andn2_b64 s[4:5], s[4:5], exec
	s_and_b64 s[8:9], s[8:9], exec
	s_or_b64 s[4:5], s[4:5], s[8:9]
	s_or_b64 exec, exec, s[6:7]
	s_and_saveexec_b64 s[6:7], s[4:5]
	s_cbranch_execnz .LBB9_1479
	s_branch .LBB9_1480
.LBB9_3529:
	s_movk_i32 s4, 0x80
	v_cmp_eq_u16_sdwa s[12:13], v3, s4 src0_sel:BYTE_0 src1_sel:DWORD
	s_mov_b64 s[4:5], -1
                                        ; implicit-def: $sgpr10
	s_and_saveexec_b64 s[8:9], s[12:13]
; %bb.3530:
	s_mov_b32 s10, 0x7f800001
	s_xor_b64 s[4:5], exec, -1
; %bb.3531:
	s_or_b64 exec, exec, s[8:9]
	s_and_b64 s[4:5], s[4:5], exec
	s_or_saveexec_b64 s[6:7], s[6:7]
	v_mov_b32_e32 v2, s10
	s_xor_b64 exec, exec, s[6:7]
	s_cbranch_execz .LBB9_1482
.LBB9_3532:
	v_mov_b32_e32 v2, 0
	v_cmp_ne_u16_sdwa s[8:9], v3, v2 src0_sel:BYTE_0 src1_sel:DWORD
	s_andn2_b64 s[4:5], s[4:5], exec
	s_and_b64 s[8:9], s[8:9], exec
	s_or_b64 s[4:5], s[4:5], s[8:9]
	s_or_b64 exec, exec, s[6:7]
	s_and_saveexec_b64 s[6:7], s[4:5]
	s_cbranch_execnz .LBB9_1483
	s_branch .LBB9_1484
.LBB9_3533:
	s_movk_i32 s4, 0x80
	v_cmp_eq_u16_sdwa s[12:13], v3, s4 src0_sel:BYTE_0 src1_sel:DWORD
	s_mov_b64 s[4:5], -1
                                        ; implicit-def: $sgpr10
	s_and_saveexec_b64 s[8:9], s[12:13]
; %bb.3534:
	s_mov_b32 s10, 0x7f800001
	s_xor_b64 s[4:5], exec, -1
; %bb.3535:
	s_or_b64 exec, exec, s[8:9]
	s_and_b64 s[4:5], s[4:5], exec
	s_or_saveexec_b64 s[6:7], s[6:7]
	v_mov_b32_e32 v6, s10
	s_xor_b64 exec, exec, s[6:7]
	s_cbranch_execz .LBB9_1486
.LBB9_3536:
	v_mov_b32_e32 v6, 0
	v_cmp_ne_u16_sdwa s[8:9], v3, v6 src0_sel:BYTE_0 src1_sel:DWORD
	s_andn2_b64 s[4:5], s[4:5], exec
	s_and_b64 s[8:9], s[8:9], exec
	s_or_b64 s[4:5], s[4:5], s[8:9]
	s_or_b64 exec, exec, s[6:7]
	s_and_saveexec_b64 s[6:7], s[4:5]
	s_cbranch_execnz .LBB9_1487
	s_branch .LBB9_1488
.LBB9_3537:
	s_movk_i32 s4, 0x80
	v_cmp_eq_u16_e32 vcc, s4, v3
	s_mov_b64 s[4:5], -1
                                        ; implicit-def: $sgpr10
	s_and_saveexec_b64 s[8:9], vcc
; %bb.3538:
	s_mov_b32 s10, 0x7f800001
	s_xor_b64 s[4:5], exec, -1
; %bb.3539:
	s_or_b64 exec, exec, s[8:9]
	s_and_b64 s[4:5], s[4:5], exec
                                        ; implicit-def: $vgpr3
	s_or_saveexec_b64 s[6:7], s[6:7]
	v_mov_b32_e32 v2, s10
	s_xor_b64 exec, exec, s[6:7]
	s_cbranch_execz .LBB9_1490
.LBB9_3540:
	v_cmp_ne_u16_e32 vcc, 0, v3
	s_andn2_b64 s[4:5], s[4:5], exec
	s_and_b64 s[8:9], vcc, exec
	v_mov_b32_e32 v2, 0
	s_or_b64 s[4:5], s[4:5], s[8:9]
	s_or_b64 exec, exec, s[6:7]
	s_and_saveexec_b64 s[6:7], s[4:5]
	s_cbranch_execnz .LBB9_1491
	s_branch .LBB9_1492
.LBB9_3541:
	s_movk_i32 s4, 0x80
	v_cmp_eq_u16_e32 vcc, s4, v3
	s_mov_b64 s[4:5], -1
                                        ; implicit-def: $sgpr10
	s_and_saveexec_b64 s[8:9], vcc
; %bb.3542:
	s_mov_b32 s10, 0x7f800001
	s_xor_b64 s[4:5], exec, -1
; %bb.3543:
	s_or_b64 exec, exec, s[8:9]
	s_and_b64 s[4:5], s[4:5], exec
                                        ; implicit-def: $vgpr3
	s_or_saveexec_b64 s[6:7], s[6:7]
	v_mov_b32_e32 v6, s10
	s_xor_b64 exec, exec, s[6:7]
	s_cbranch_execz .LBB9_1494
.LBB9_3544:
	v_cmp_ne_u16_e32 vcc, 0, v3
	s_andn2_b64 s[4:5], s[4:5], exec
	s_and_b64 s[8:9], vcc, exec
	v_mov_b32_e32 v6, 0
	s_or_b64 s[4:5], s[4:5], s[8:9]
	s_or_b64 exec, exec, s[6:7]
	s_and_saveexec_b64 s[6:7], s[4:5]
	s_cbranch_execnz .LBB9_1495
	s_branch .LBB9_1496
.LBB9_3545:
	s_movk_i32 s4, 0x80
	v_cmp_eq_u16_sdwa s[12:13], v8, s4 src0_sel:BYTE_3 src1_sel:DWORD
	s_mov_b64 s[4:5], -1
                                        ; implicit-def: $sgpr10
	s_and_saveexec_b64 s[8:9], s[12:13]
; %bb.3546:
	s_mov_b32 s10, 0x7f800001
	s_xor_b64 s[4:5], exec, -1
; %bb.3547:
	s_or_b64 exec, exec, s[8:9]
	s_and_b64 s[4:5], s[4:5], exec
	s_or_saveexec_b64 s[6:7], s[6:7]
	v_mov_b32_e32 v2, s10
	s_xor_b64 exec, exec, s[6:7]
	s_cbranch_execz .LBB9_1498
.LBB9_3548:
	v_mov_b32_e32 v2, 0
	v_cmp_ne_u16_sdwa s[8:9], v8, v2 src0_sel:BYTE_3 src1_sel:DWORD
	s_andn2_b64 s[4:5], s[4:5], exec
	s_and_b64 s[8:9], s[8:9], exec
	s_or_b64 s[4:5], s[4:5], s[8:9]
	s_or_b64 exec, exec, s[6:7]
	s_and_saveexec_b64 s[6:7], s[4:5]
	s_cbranch_execnz .LBB9_1499
	s_branch .LBB9_1500
.LBB9_3549:
	s_movk_i32 s4, 0x80
	v_cmp_eq_u16_sdwa s[12:13], v4, s4 src0_sel:BYTE_3 src1_sel:DWORD
	s_mov_b64 s[4:5], -1
                                        ; implicit-def: $sgpr10
	s_and_saveexec_b64 s[8:9], s[12:13]
; %bb.3550:
	s_mov_b32 s10, 0x7f800001
	s_xor_b64 s[4:5], exec, -1
; %bb.3551:
	s_or_b64 exec, exec, s[8:9]
	s_and_b64 s[4:5], s[4:5], exec
	s_or_saveexec_b64 s[6:7], s[6:7]
	v_mov_b32_e32 v3, s10
	s_xor_b64 exec, exec, s[6:7]
	s_cbranch_execz .LBB9_1502
.LBB9_3552:
	v_mov_b32_e32 v3, 0
	v_cmp_ne_u16_sdwa s[8:9], v4, v3 src0_sel:BYTE_3 src1_sel:DWORD
	s_andn2_b64 s[4:5], s[4:5], exec
	s_and_b64 s[8:9], s[8:9], exec
	s_or_b64 s[4:5], s[4:5], s[8:9]
	s_or_b64 exec, exec, s[6:7]
	s_and_saveexec_b64 s[6:7], s[4:5]
	s_cbranch_execnz .LBB9_1503
	s_branch .LBB9_1504
.LBB9_3553:
	s_movk_i32 s4, 0x80
	v_cmp_eq_u16_sdwa s[12:13], v9, s4 src0_sel:BYTE_0 src1_sel:DWORD
	s_mov_b64 s[4:5], -1
                                        ; implicit-def: $sgpr10
	s_and_saveexec_b64 s[8:9], s[12:13]
; %bb.3554:
	s_mov_b32 s10, 0x7f800001
	s_xor_b64 s[4:5], exec, -1
; %bb.3555:
	s_or_b64 exec, exec, s[8:9]
	s_and_b64 s[4:5], s[4:5], exec
	s_or_saveexec_b64 s[6:7], s[6:7]
	v_mov_b32_e32 v2, s10
	s_xor_b64 exec, exec, s[6:7]
	s_cbranch_execz .LBB9_1506
.LBB9_3556:
	v_mov_b32_e32 v2, 0
	v_cmp_ne_u16_sdwa s[8:9], v9, v2 src0_sel:BYTE_0 src1_sel:DWORD
	s_andn2_b64 s[4:5], s[4:5], exec
	s_and_b64 s[8:9], s[8:9], exec
	s_or_b64 s[4:5], s[4:5], s[8:9]
	s_or_b64 exec, exec, s[6:7]
	s_and_saveexec_b64 s[6:7], s[4:5]
	s_cbranch_execnz .LBB9_1507
	s_branch .LBB9_1508
.LBB9_3557:
	s_movk_i32 s4, 0x80
	v_cmp_eq_u16_sdwa s[12:13], v5, s4 src0_sel:BYTE_0 src1_sel:DWORD
	s_mov_b64 s[4:5], -1
                                        ; implicit-def: $sgpr10
	s_and_saveexec_b64 s[8:9], s[12:13]
; %bb.3558:
	s_mov_b32 s10, 0x7f800001
	s_xor_b64 s[4:5], exec, -1
; %bb.3559:
	s_or_b64 exec, exec, s[8:9]
	s_and_b64 s[4:5], s[4:5], exec
	s_or_saveexec_b64 s[6:7], s[6:7]
	v_mov_b32_e32 v3, s10
	s_xor_b64 exec, exec, s[6:7]
	s_cbranch_execz .LBB9_1510
.LBB9_3560:
	v_mov_b32_e32 v3, 0
	v_cmp_ne_u16_sdwa s[8:9], v5, v3 src0_sel:BYTE_0 src1_sel:DWORD
	s_andn2_b64 s[4:5], s[4:5], exec
	s_and_b64 s[8:9], s[8:9], exec
	s_or_b64 s[4:5], s[4:5], s[8:9]
	s_or_b64 exec, exec, s[6:7]
	s_and_saveexec_b64 s[6:7], s[4:5]
	s_cbranch_execnz .LBB9_1511
	s_branch .LBB9_1512
.LBB9_3561:
	s_movk_i32 s4, 0x80
	v_cmp_eq_u16_sdwa s[12:13], v3, s4 src0_sel:BYTE_0 src1_sel:DWORD
	s_mov_b64 s[4:5], -1
                                        ; implicit-def: $sgpr10
	s_and_saveexec_b64 s[8:9], s[12:13]
; %bb.3562:
	s_mov_b32 s10, 0x7f800001
	s_xor_b64 s[4:5], exec, -1
; %bb.3563:
	s_or_b64 exec, exec, s[8:9]
	s_and_b64 s[4:5], s[4:5], exec
	s_or_saveexec_b64 s[6:7], s[6:7]
	v_mov_b32_e32 v2, s10
	s_xor_b64 exec, exec, s[6:7]
	s_cbranch_execz .LBB9_1514
.LBB9_3564:
	v_mov_b32_e32 v2, 0
	v_cmp_ne_u16_sdwa s[8:9], v3, v2 src0_sel:BYTE_0 src1_sel:DWORD
	s_andn2_b64 s[4:5], s[4:5], exec
	s_and_b64 s[8:9], s[8:9], exec
	s_or_b64 s[4:5], s[4:5], s[8:9]
	s_or_b64 exec, exec, s[6:7]
	s_and_saveexec_b64 s[6:7], s[4:5]
	s_cbranch_execnz .LBB9_1515
	s_branch .LBB9_1516
.LBB9_3565:
	s_movk_i32 s4, 0x80
	v_cmp_eq_u16_sdwa s[12:13], v3, s4 src0_sel:BYTE_0 src1_sel:DWORD
	s_mov_b64 s[4:5], -1
                                        ; implicit-def: $sgpr10
	s_and_saveexec_b64 s[8:9], s[12:13]
; %bb.3566:
	s_mov_b32 s10, 0x7f800001
	s_xor_b64 s[4:5], exec, -1
; %bb.3567:
	s_or_b64 exec, exec, s[8:9]
	s_and_b64 s[4:5], s[4:5], exec
	s_or_saveexec_b64 s[6:7], s[6:7]
	v_mov_b32_e32 v4, s10
	s_xor_b64 exec, exec, s[6:7]
	s_cbranch_execz .LBB9_1518
.LBB9_3568:
	v_mov_b32_e32 v4, 0
	v_cmp_ne_u16_sdwa s[8:9], v3, v4 src0_sel:BYTE_0 src1_sel:DWORD
	s_andn2_b64 s[4:5], s[4:5], exec
	s_and_b64 s[8:9], s[8:9], exec
	s_or_b64 s[4:5], s[4:5], s[8:9]
	s_or_b64 exec, exec, s[6:7]
	s_and_saveexec_b64 s[6:7], s[4:5]
	s_cbranch_execnz .LBB9_1519
	s_branch .LBB9_1520
.LBB9_3569:
	s_movk_i32 s4, 0x80
	v_cmp_eq_u16_e32 vcc, s4, v3
	s_mov_b64 s[4:5], -1
                                        ; implicit-def: $sgpr10
	s_and_saveexec_b64 s[8:9], vcc
; %bb.3570:
	s_mov_b32 s10, 0x7f800001
	s_xor_b64 s[4:5], exec, -1
; %bb.3571:
	s_or_b64 exec, exec, s[8:9]
	s_and_b64 s[4:5], s[4:5], exec
                                        ; implicit-def: $vgpr3
	s_or_saveexec_b64 s[6:7], s[6:7]
	v_mov_b32_e32 v2, s10
	s_xor_b64 exec, exec, s[6:7]
	s_cbranch_execz .LBB9_1522
.LBB9_3572:
	v_cmp_ne_u16_e32 vcc, 0, v3
	s_andn2_b64 s[4:5], s[4:5], exec
	s_and_b64 s[8:9], vcc, exec
	v_mov_b32_e32 v2, 0
	s_or_b64 s[4:5], s[4:5], s[8:9]
	s_or_b64 exec, exec, s[6:7]
	s_and_saveexec_b64 s[6:7], s[4:5]
	s_cbranch_execnz .LBB9_1523
	s_branch .LBB9_1524
.LBB9_3573:
	s_movk_i32 s4, 0x80
	v_cmp_eq_u16_e32 vcc, s4, v3
	s_mov_b64 s[4:5], -1
                                        ; implicit-def: $sgpr10
	s_and_saveexec_b64 s[8:9], vcc
; %bb.3574:
	s_mov_b32 s10, 0x7f800001
	s_xor_b64 s[4:5], exec, -1
; %bb.3575:
	s_or_b64 exec, exec, s[8:9]
	s_and_b64 s[4:5], s[4:5], exec
                                        ; implicit-def: $vgpr3
	s_or_saveexec_b64 s[6:7], s[6:7]
	v_mov_b32_e32 v4, s10
	s_xor_b64 exec, exec, s[6:7]
	s_cbranch_execz .LBB9_1526
.LBB9_3576:
	v_cmp_ne_u16_e32 vcc, 0, v3
	s_andn2_b64 s[4:5], s[4:5], exec
	s_and_b64 s[8:9], vcc, exec
	v_mov_b32_e32 v4, 0
	s_or_b64 s[4:5], s[4:5], s[8:9]
	s_or_b64 exec, exec, s[6:7]
	s_and_saveexec_b64 s[6:7], s[4:5]
	s_cbranch_execnz .LBB9_1527
	s_branch .LBB9_1528
.LBB9_3577:
	s_movk_i32 s4, 0x80
	v_cmp_eq_u16_sdwa s[12:13], v9, s4 src0_sel:BYTE_3 src1_sel:DWORD
	s_mov_b64 s[4:5], -1
                                        ; implicit-def: $sgpr10
	s_and_saveexec_b64 s[8:9], s[12:13]
; %bb.3578:
	s_mov_b32 s10, 0x7f800001
	s_xor_b64 s[4:5], exec, -1
; %bb.3579:
	s_or_b64 exec, exec, s[8:9]
	s_and_b64 s[4:5], s[4:5], exec
	s_or_saveexec_b64 s[6:7], s[6:7]
	v_mov_b32_e32 v2, s10
	s_xor_b64 exec, exec, s[6:7]
	s_cbranch_execz .LBB9_1530
.LBB9_3580:
	v_mov_b32_e32 v2, 0
	v_cmp_ne_u16_sdwa s[8:9], v9, v2 src0_sel:BYTE_3 src1_sel:DWORD
	s_andn2_b64 s[4:5], s[4:5], exec
	s_and_b64 s[8:9], s[8:9], exec
	s_or_b64 s[4:5], s[4:5], s[8:9]
	s_or_b64 exec, exec, s[6:7]
	s_and_saveexec_b64 s[6:7], s[4:5]
	s_cbranch_execnz .LBB9_1531
	s_branch .LBB9_1532
.LBB9_3581:
	s_movk_i32 s4, 0x80
	v_cmp_eq_u16_sdwa s[12:13], v5, s4 src0_sel:BYTE_3 src1_sel:DWORD
	s_mov_b64 s[4:5], -1
                                        ; implicit-def: $sgpr10
	s_and_saveexec_b64 s[8:9], s[12:13]
; %bb.3582:
	s_mov_b32 s10, 0x7f800001
	s_xor_b64 s[4:5], exec, -1
; %bb.3583:
	s_or_b64 exec, exec, s[8:9]
	s_and_b64 s[4:5], s[4:5], exec
	s_or_saveexec_b64 s[6:7], s[6:7]
	v_mov_b32_e32 v3, s10
	s_xor_b64 exec, exec, s[6:7]
	s_cbranch_execz .LBB9_1534
.LBB9_3584:
	v_mov_b32_e32 v3, 0
	v_cmp_ne_u16_sdwa s[8:9], v5, v3 src0_sel:BYTE_3 src1_sel:DWORD
	s_andn2_b64 s[4:5], s[4:5], exec
	s_and_b64 s[8:9], s[8:9], exec
	s_or_b64 s[4:5], s[4:5], s[8:9]
	s_or_b64 exec, exec, s[6:7]
	s_and_saveexec_b64 s[6:7], s[4:5]
	s_cbranch_execnz .LBB9_1535
	s_branch .LBB9_1536
.LBB9_3585:
	s_movk_i32 s4, 0x80
	v_cmp_eq_u16_sdwa s[12:13], v14, s4 src0_sel:BYTE_0 src1_sel:DWORD
	s_mov_b64 s[4:5], -1
                                        ; implicit-def: $sgpr10
	s_and_saveexec_b64 s[8:9], s[12:13]
; %bb.3586:
	s_mov_b32 s10, 0x7f800001
	s_xor_b64 s[4:5], exec, -1
; %bb.3587:
	s_or_b64 exec, exec, s[8:9]
	s_and_b64 s[4:5], s[4:5], exec
	s_or_saveexec_b64 s[6:7], s[6:7]
	v_mov_b32_e32 v20, s10
	s_xor_b64 exec, exec, s[6:7]
	s_cbranch_execz .LBB9_1538
.LBB9_3588:
	v_mov_b32_e32 v20, 0
	v_cmp_ne_u16_sdwa s[8:9], v14, v20 src0_sel:BYTE_0 src1_sel:DWORD
	s_andn2_b64 s[4:5], s[4:5], exec
	s_and_b64 s[8:9], s[8:9], exec
	s_or_b64 s[4:5], s[4:5], s[8:9]
	s_or_b64 exec, exec, s[6:7]
	s_and_saveexec_b64 s[6:7], s[4:5]
	s_cbranch_execnz .LBB9_1539
	s_branch .LBB9_1540
.LBB9_3589:
	s_movk_i32 s4, 0x80
	v_cmp_eq_u16_sdwa s[12:13], v10, s4 src0_sel:BYTE_0 src1_sel:DWORD
	s_mov_b64 s[4:5], -1
                                        ; implicit-def: $sgpr10
	s_and_saveexec_b64 s[8:9], s[12:13]
; %bb.3590:
	s_mov_b32 s10, 0x7f800001
	s_xor_b64 s[4:5], exec, -1
; %bb.3591:
	s_or_b64 exec, exec, s[8:9]
	s_and_b64 s[4:5], s[4:5], exec
	s_or_saveexec_b64 s[6:7], s[6:7]
	v_mov_b32_e32 v21, s10
	s_xor_b64 exec, exec, s[6:7]
	s_cbranch_execz .LBB9_1542
.LBB9_3592:
	v_mov_b32_e32 v21, 0
	v_cmp_ne_u16_sdwa s[8:9], v10, v21 src0_sel:BYTE_0 src1_sel:DWORD
	s_andn2_b64 s[4:5], s[4:5], exec
	s_and_b64 s[8:9], s[8:9], exec
	s_or_b64 s[4:5], s[4:5], s[8:9]
	s_or_b64 exec, exec, s[6:7]
	s_and_saveexec_b64 s[6:7], s[4:5]
	s_cbranch_execnz .LBB9_1543
	s_branch .LBB9_1544
.LBB9_3593:
	s_movk_i32 s4, 0x80
	v_cmp_eq_u16_sdwa s[12:13], v21, s4 src0_sel:BYTE_0 src1_sel:DWORD
	s_mov_b64 s[4:5], -1
                                        ; implicit-def: $sgpr10
	s_and_saveexec_b64 s[8:9], s[12:13]
; %bb.3594:
	s_mov_b32 s10, 0x7f800001
	s_xor_b64 s[4:5], exec, -1
; %bb.3595:
	s_or_b64 exec, exec, s[8:9]
	s_and_b64 s[4:5], s[4:5], exec
	s_or_saveexec_b64 s[6:7], s[6:7]
	v_mov_b32_e32 v20, s10
	s_xor_b64 exec, exec, s[6:7]
	s_cbranch_execz .LBB9_1546
.LBB9_3596:
	v_mov_b32_e32 v20, 0
	v_cmp_ne_u16_sdwa s[8:9], v21, v20 src0_sel:BYTE_0 src1_sel:DWORD
	s_andn2_b64 s[4:5], s[4:5], exec
	s_and_b64 s[8:9], s[8:9], exec
	s_or_b64 s[4:5], s[4:5], s[8:9]
	s_or_b64 exec, exec, s[6:7]
	s_and_saveexec_b64 s[6:7], s[4:5]
	s_cbranch_execnz .LBB9_1547
	s_branch .LBB9_1548
.LBB9_3597:
	s_movk_i32 s4, 0x80
	v_cmp_eq_u16_sdwa s[12:13], v21, s4 src0_sel:BYTE_0 src1_sel:DWORD
	s_mov_b64 s[4:5], -1
                                        ; implicit-def: $sgpr10
	s_and_saveexec_b64 s[8:9], s[12:13]
; %bb.3598:
	s_mov_b32 s10, 0x7f800001
	s_xor_b64 s[4:5], exec, -1
; %bb.3599:
	s_or_b64 exec, exec, s[8:9]
	s_and_b64 s[4:5], s[4:5], exec
	s_or_saveexec_b64 s[6:7], s[6:7]
	v_mov_b32_e32 v22, s10
	s_xor_b64 exec, exec, s[6:7]
	s_cbranch_execz .LBB9_1550
.LBB9_3600:
	v_mov_b32_e32 v22, 0
	v_cmp_ne_u16_sdwa s[8:9], v21, v22 src0_sel:BYTE_0 src1_sel:DWORD
	s_andn2_b64 s[4:5], s[4:5], exec
	s_and_b64 s[8:9], s[8:9], exec
	s_or_b64 s[4:5], s[4:5], s[8:9]
	s_or_b64 exec, exec, s[6:7]
	s_and_saveexec_b64 s[6:7], s[4:5]
	s_cbranch_execnz .LBB9_1551
	s_branch .LBB9_1552
.LBB9_3601:
	s_movk_i32 s4, 0x80
	v_cmp_eq_u16_e32 vcc, s4, v21
	s_mov_b64 s[4:5], -1
                                        ; implicit-def: $sgpr10
	s_and_saveexec_b64 s[8:9], vcc
; %bb.3602:
	s_mov_b32 s10, 0x7f800001
	s_xor_b64 s[4:5], exec, -1
; %bb.3603:
	s_or_b64 exec, exec, s[8:9]
	s_and_b64 s[4:5], s[4:5], exec
                                        ; implicit-def: $vgpr21
	s_or_saveexec_b64 s[6:7], s[6:7]
	v_mov_b32_e32 v20, s10
	s_xor_b64 exec, exec, s[6:7]
	s_cbranch_execz .LBB9_1554
.LBB9_3604:
	v_cmp_ne_u16_e32 vcc, 0, v21
	s_andn2_b64 s[4:5], s[4:5], exec
	s_and_b64 s[8:9], vcc, exec
	v_mov_b32_e32 v20, 0
	s_or_b64 s[4:5], s[4:5], s[8:9]
	s_or_b64 exec, exec, s[6:7]
	s_and_saveexec_b64 s[6:7], s[4:5]
	s_cbranch_execnz .LBB9_1555
	s_branch .LBB9_1556
.LBB9_3605:
	s_movk_i32 s4, 0x80
	v_cmp_eq_u16_e32 vcc, s4, v21
	s_mov_b64 s[4:5], -1
                                        ; implicit-def: $sgpr10
	s_and_saveexec_b64 s[8:9], vcc
; %bb.3606:
	s_mov_b32 s10, 0x7f800001
	s_xor_b64 s[4:5], exec, -1
; %bb.3607:
	s_or_b64 exec, exec, s[8:9]
	s_and_b64 s[4:5], s[4:5], exec
                                        ; implicit-def: $vgpr21
	s_or_saveexec_b64 s[6:7], s[6:7]
	v_mov_b32_e32 v22, s10
	s_xor_b64 exec, exec, s[6:7]
	s_cbranch_execz .LBB9_1558
.LBB9_3608:
	v_cmp_ne_u16_e32 vcc, 0, v21
	s_andn2_b64 s[4:5], s[4:5], exec
	s_and_b64 s[8:9], vcc, exec
	v_mov_b32_e32 v22, 0
	s_or_b64 s[4:5], s[4:5], s[8:9]
	s_or_b64 exec, exec, s[6:7]
	s_and_saveexec_b64 s[6:7], s[4:5]
	s_cbranch_execnz .LBB9_1559
	s_branch .LBB9_1560
.LBB9_3609:
	s_movk_i32 s4, 0x80
	v_cmp_eq_u16_sdwa s[12:13], v14, s4 src0_sel:BYTE_3 src1_sel:DWORD
	s_mov_b64 s[4:5], -1
                                        ; implicit-def: $sgpr10
	s_and_saveexec_b64 s[8:9], s[12:13]
; %bb.3610:
	s_mov_b32 s10, 0x7f800001
	s_xor_b64 s[4:5], exec, -1
; %bb.3611:
	s_or_b64 exec, exec, s[8:9]
	s_and_b64 s[4:5], s[4:5], exec
	s_or_saveexec_b64 s[6:7], s[6:7]
	v_mov_b32_e32 v20, s10
	s_xor_b64 exec, exec, s[6:7]
	s_cbranch_execz .LBB9_1562
.LBB9_3612:
	v_mov_b32_e32 v20, 0
	v_cmp_ne_u16_sdwa s[8:9], v14, v20 src0_sel:BYTE_3 src1_sel:DWORD
	s_andn2_b64 s[4:5], s[4:5], exec
	s_and_b64 s[8:9], s[8:9], exec
	s_or_b64 s[4:5], s[4:5], s[8:9]
	s_or_b64 exec, exec, s[6:7]
	s_and_saveexec_b64 s[6:7], s[4:5]
	s_cbranch_execnz .LBB9_1563
	s_branch .LBB9_1564
.LBB9_3613:
	s_movk_i32 s4, 0x80
	v_cmp_eq_u16_sdwa s[12:13], v10, s4 src0_sel:BYTE_3 src1_sel:DWORD
	s_mov_b64 s[4:5], -1
                                        ; implicit-def: $sgpr10
	s_and_saveexec_b64 s[8:9], s[12:13]
; %bb.3614:
	s_mov_b32 s10, 0x7f800001
	s_xor_b64 s[4:5], exec, -1
; %bb.3615:
	s_or_b64 exec, exec, s[8:9]
	s_and_b64 s[4:5], s[4:5], exec
	s_or_saveexec_b64 s[6:7], s[6:7]
	v_mov_b32_e32 v14, s10
	s_xor_b64 exec, exec, s[6:7]
	s_cbranch_execz .LBB9_1566
.LBB9_3616:
	v_mov_b32_e32 v14, 0
	v_cmp_ne_u16_sdwa s[8:9], v10, v14 src0_sel:BYTE_3 src1_sel:DWORD
	s_andn2_b64 s[4:5], s[4:5], exec
	s_and_b64 s[8:9], s[8:9], exec
	s_or_b64 s[4:5], s[4:5], s[8:9]
	s_or_b64 exec, exec, s[6:7]
	s_and_saveexec_b64 s[6:7], s[4:5]
	s_cbranch_execnz .LBB9_1567
	s_branch .LBB9_1568
.LBB9_3617:
	s_movk_i32 s4, 0x80
	v_cmp_eq_u16_sdwa s[12:13], v15, s4 src0_sel:BYTE_0 src1_sel:DWORD
	s_mov_b64 s[4:5], -1
                                        ; implicit-def: $sgpr10
	s_and_saveexec_b64 s[8:9], s[12:13]
; %bb.3618:
	s_mov_b32 s10, 0x7f800001
	s_xor_b64 s[4:5], exec, -1
; %bb.3619:
	s_or_b64 exec, exec, s[8:9]
	s_and_b64 s[4:5], s[4:5], exec
	s_or_saveexec_b64 s[6:7], s[6:7]
	v_mov_b32_e32 v10, s10
	s_xor_b64 exec, exec, s[6:7]
	s_cbranch_execz .LBB9_1570
.LBB9_3620:
	v_mov_b32_e32 v10, 0
	v_cmp_ne_u16_sdwa s[8:9], v15, v10 src0_sel:BYTE_0 src1_sel:DWORD
	s_andn2_b64 s[4:5], s[4:5], exec
	s_and_b64 s[8:9], s[8:9], exec
	s_or_b64 s[4:5], s[4:5], s[8:9]
	s_or_b64 exec, exec, s[6:7]
	s_and_saveexec_b64 s[6:7], s[4:5]
	s_cbranch_execnz .LBB9_1571
	s_branch .LBB9_1572
.LBB9_3621:
	s_movk_i32 s4, 0x80
	v_cmp_eq_u16_sdwa s[12:13], v11, s4 src0_sel:BYTE_0 src1_sel:DWORD
	s_mov_b64 s[4:5], -1
                                        ; implicit-def: $sgpr10
	s_and_saveexec_b64 s[8:9], s[12:13]
; %bb.3622:
	s_mov_b32 s10, 0x7f800001
	s_xor_b64 s[4:5], exec, -1
; %bb.3623:
	s_or_b64 exec, exec, s[8:9]
	s_and_b64 s[4:5], s[4:5], exec
	s_or_saveexec_b64 s[6:7], s[6:7]
	v_mov_b32_e32 v14, s10
	s_xor_b64 exec, exec, s[6:7]
	s_cbranch_execz .LBB9_1574
.LBB9_3624:
	v_mov_b32_e32 v14, 0
	v_cmp_ne_u16_sdwa s[8:9], v11, v14 src0_sel:BYTE_0 src1_sel:DWORD
	s_andn2_b64 s[4:5], s[4:5], exec
	s_and_b64 s[8:9], s[8:9], exec
	s_or_b64 s[4:5], s[4:5], s[8:9]
	s_or_b64 exec, exec, s[6:7]
	s_and_saveexec_b64 s[6:7], s[4:5]
	s_cbranch_execnz .LBB9_1575
	s_branch .LBB9_1576
.LBB9_3625:
	s_movk_i32 s4, 0x80
	v_cmp_eq_u16_sdwa s[12:13], v14, s4 src0_sel:BYTE_0 src1_sel:DWORD
	s_mov_b64 s[4:5], -1
                                        ; implicit-def: $sgpr10
	s_and_saveexec_b64 s[8:9], s[12:13]
; %bb.3626:
	s_mov_b32 s10, 0x7f800001
	s_xor_b64 s[4:5], exec, -1
; %bb.3627:
	s_or_b64 exec, exec, s[8:9]
	s_and_b64 s[4:5], s[4:5], exec
	s_or_saveexec_b64 s[6:7], s[6:7]
	v_mov_b32_e32 v10, s10
	s_xor_b64 exec, exec, s[6:7]
	s_cbranch_execz .LBB9_1578
.LBB9_3628:
	v_mov_b32_e32 v10, 0
	v_cmp_ne_u16_sdwa s[8:9], v14, v10 src0_sel:BYTE_0 src1_sel:DWORD
	s_andn2_b64 s[4:5], s[4:5], exec
	s_and_b64 s[8:9], s[8:9], exec
	s_or_b64 s[4:5], s[4:5], s[8:9]
	s_or_b64 exec, exec, s[6:7]
	s_and_saveexec_b64 s[6:7], s[4:5]
	s_cbranch_execnz .LBB9_1579
	s_branch .LBB9_1580
.LBB9_3629:
	s_movk_i32 s4, 0x80
	v_cmp_eq_u16_sdwa s[12:13], v14, s4 src0_sel:BYTE_0 src1_sel:DWORD
	s_mov_b64 s[4:5], -1
                                        ; implicit-def: $sgpr10
	s_and_saveexec_b64 s[8:9], s[12:13]
; %bb.3630:
	s_mov_b32 s10, 0x7f800001
	s_xor_b64 s[4:5], exec, -1
; %bb.3631:
	s_or_b64 exec, exec, s[8:9]
	s_and_b64 s[4:5], s[4:5], exec
	s_or_saveexec_b64 s[6:7], s[6:7]
	v_mov_b32_e32 v20, s10
	s_xor_b64 exec, exec, s[6:7]
	s_cbranch_execz .LBB9_1582
.LBB9_3632:
	v_mov_b32_e32 v20, 0
	v_cmp_ne_u16_sdwa s[8:9], v14, v20 src0_sel:BYTE_0 src1_sel:DWORD
	s_andn2_b64 s[4:5], s[4:5], exec
	s_and_b64 s[8:9], s[8:9], exec
	s_or_b64 s[4:5], s[4:5], s[8:9]
	s_or_b64 exec, exec, s[6:7]
	s_and_saveexec_b64 s[6:7], s[4:5]
	s_cbranch_execnz .LBB9_1583
	s_branch .LBB9_1584
.LBB9_3633:
	s_movk_i32 s4, 0x80
	v_cmp_eq_u16_e32 vcc, s4, v14
	s_mov_b64 s[4:5], -1
                                        ; implicit-def: $sgpr10
	s_and_saveexec_b64 s[8:9], vcc
; %bb.3634:
	s_mov_b32 s10, 0x7f800001
	s_xor_b64 s[4:5], exec, -1
; %bb.3635:
	s_or_b64 exec, exec, s[8:9]
	s_and_b64 s[4:5], s[4:5], exec
                                        ; implicit-def: $vgpr14
	s_or_saveexec_b64 s[6:7], s[6:7]
	v_mov_b32_e32 v10, s10
	s_xor_b64 exec, exec, s[6:7]
	s_cbranch_execz .LBB9_1586
.LBB9_3636:
	v_cmp_ne_u16_e32 vcc, 0, v14
	s_andn2_b64 s[4:5], s[4:5], exec
	s_and_b64 s[8:9], vcc, exec
	v_mov_b32_e32 v10, 0
	s_or_b64 s[4:5], s[4:5], s[8:9]
	s_or_b64 exec, exec, s[6:7]
	s_and_saveexec_b64 s[6:7], s[4:5]
	s_cbranch_execnz .LBB9_1587
	s_branch .LBB9_1588
.LBB9_3637:
	s_movk_i32 s4, 0x80
	v_cmp_eq_u16_e32 vcc, s4, v14
	s_mov_b64 s[4:5], -1
                                        ; implicit-def: $sgpr10
	s_and_saveexec_b64 s[8:9], vcc
; %bb.3638:
	s_mov_b32 s10, 0x7f800001
	s_xor_b64 s[4:5], exec, -1
; %bb.3639:
	s_or_b64 exec, exec, s[8:9]
	s_and_b64 s[4:5], s[4:5], exec
                                        ; implicit-def: $vgpr14
	s_or_saveexec_b64 s[6:7], s[6:7]
	v_mov_b32_e32 v20, s10
	s_xor_b64 exec, exec, s[6:7]
	s_cbranch_execz .LBB9_1590
.LBB9_3640:
	v_cmp_ne_u16_e32 vcc, 0, v14
	s_andn2_b64 s[4:5], s[4:5], exec
	s_and_b64 s[8:9], vcc, exec
	v_mov_b32_e32 v20, 0
	s_or_b64 s[4:5], s[4:5], s[8:9]
	s_or_b64 exec, exec, s[6:7]
	s_and_saveexec_b64 s[6:7], s[4:5]
	s_cbranch_execnz .LBB9_1591
	s_branch .LBB9_1592
.LBB9_3641:
	s_movk_i32 s4, 0x80
	v_cmp_eq_u16_sdwa s[12:13], v15, s4 src0_sel:BYTE_3 src1_sel:DWORD
	s_mov_b64 s[4:5], -1
                                        ; implicit-def: $sgpr10
	s_and_saveexec_b64 s[8:9], s[12:13]
; %bb.3642:
	s_mov_b32 s10, 0x7f800001
	s_xor_b64 s[4:5], exec, -1
; %bb.3643:
	s_or_b64 exec, exec, s[8:9]
	s_and_b64 s[4:5], s[4:5], exec
	s_or_saveexec_b64 s[6:7], s[6:7]
	v_mov_b32_e32 v10, s10
	s_xor_b64 exec, exec, s[6:7]
	s_cbranch_execz .LBB9_1594
.LBB9_3644:
	v_mov_b32_e32 v10, 0
	v_cmp_ne_u16_sdwa s[8:9], v15, v10 src0_sel:BYTE_3 src1_sel:DWORD
	s_andn2_b64 s[4:5], s[4:5], exec
	s_and_b64 s[8:9], s[8:9], exec
	s_or_b64 s[4:5], s[4:5], s[8:9]
	s_or_b64 exec, exec, s[6:7]
	s_and_saveexec_b64 s[6:7], s[4:5]
	s_cbranch_execnz .LBB9_1595
	s_branch .LBB9_1596
.LBB9_3645:
	s_movk_i32 s4, 0x80
	v_cmp_eq_u16_sdwa s[12:13], v11, s4 src0_sel:BYTE_3 src1_sel:DWORD
	s_mov_b64 s[4:5], -1
                                        ; implicit-def: $sgpr10
	s_and_saveexec_b64 s[8:9], s[12:13]
; %bb.3646:
	s_mov_b32 s10, 0x7f800001
	s_xor_b64 s[4:5], exec, -1
; %bb.3647:
	s_or_b64 exec, exec, s[8:9]
	s_and_b64 s[4:5], s[4:5], exec
	s_or_saveexec_b64 s[6:7], s[6:7]
	v_mov_b32_e32 v14, s10
	s_xor_b64 exec, exec, s[6:7]
	s_cbranch_execz .LBB9_1598
.LBB9_3648:
	v_mov_b32_e32 v14, 0
	v_cmp_ne_u16_sdwa s[8:9], v11, v14 src0_sel:BYTE_3 src1_sel:DWORD
	s_andn2_b64 s[4:5], s[4:5], exec
	s_and_b64 s[8:9], s[8:9], exec
	s_or_b64 s[4:5], s[4:5], s[8:9]
	s_or_b64 exec, exec, s[6:7]
	s_and_saveexec_b64 s[6:7], s[4:5]
	s_cbranch_execnz .LBB9_1599
	s_branch .LBB9_1600
.LBB9_3649:
	s_movk_i32 s4, 0x80
	v_cmp_eq_u16_sdwa s[12:13], v16, s4 src0_sel:BYTE_0 src1_sel:DWORD
	s_mov_b64 s[4:5], -1
                                        ; implicit-def: $sgpr10
	s_and_saveexec_b64 s[8:9], s[12:13]
; %bb.3650:
	s_mov_b32 s10, 0x7f800001
	s_xor_b64 s[4:5], exec, -1
; %bb.3651:
	s_or_b64 exec, exec, s[8:9]
	s_and_b64 s[4:5], s[4:5], exec
	s_or_saveexec_b64 s[6:7], s[6:7]
	v_mov_b32_e32 v10, s10
	s_xor_b64 exec, exec, s[6:7]
	s_cbranch_execz .LBB9_1602
.LBB9_3652:
	v_mov_b32_e32 v10, 0
	v_cmp_ne_u16_sdwa s[8:9], v16, v10 src0_sel:BYTE_0 src1_sel:DWORD
	s_andn2_b64 s[4:5], s[4:5], exec
	s_and_b64 s[8:9], s[8:9], exec
	s_or_b64 s[4:5], s[4:5], s[8:9]
	s_or_b64 exec, exec, s[6:7]
	s_and_saveexec_b64 s[6:7], s[4:5]
	s_cbranch_execnz .LBB9_1603
	s_branch .LBB9_1604
.LBB9_3653:
	s_movk_i32 s4, 0x80
	v_cmp_eq_u16_sdwa s[12:13], v12, s4 src0_sel:BYTE_0 src1_sel:DWORD
	s_mov_b64 s[4:5], -1
                                        ; implicit-def: $sgpr10
	s_and_saveexec_b64 s[8:9], s[12:13]
; %bb.3654:
	s_mov_b32 s10, 0x7f800001
	s_xor_b64 s[4:5], exec, -1
; %bb.3655:
	s_or_b64 exec, exec, s[8:9]
	s_and_b64 s[4:5], s[4:5], exec
	s_or_saveexec_b64 s[6:7], s[6:7]
	v_mov_b32_e32 v11, s10
	s_xor_b64 exec, exec, s[6:7]
	s_cbranch_execz .LBB9_1606
.LBB9_3656:
	v_mov_b32_e32 v11, 0
	v_cmp_ne_u16_sdwa s[8:9], v12, v11 src0_sel:BYTE_0 src1_sel:DWORD
	s_andn2_b64 s[4:5], s[4:5], exec
	s_and_b64 s[8:9], s[8:9], exec
	s_or_b64 s[4:5], s[4:5], s[8:9]
	s_or_b64 exec, exec, s[6:7]
	s_and_saveexec_b64 s[6:7], s[4:5]
	s_cbranch_execnz .LBB9_1607
	s_branch .LBB9_1608
.LBB9_3657:
	s_movk_i32 s4, 0x80
	v_cmp_eq_u16_sdwa s[12:13], v11, s4 src0_sel:BYTE_0 src1_sel:DWORD
	s_mov_b64 s[4:5], -1
                                        ; implicit-def: $sgpr10
	s_and_saveexec_b64 s[8:9], s[12:13]
; %bb.3658:
	s_mov_b32 s10, 0x7f800001
	s_xor_b64 s[4:5], exec, -1
; %bb.3659:
	s_or_b64 exec, exec, s[8:9]
	s_and_b64 s[4:5], s[4:5], exec
	s_or_saveexec_b64 s[6:7], s[6:7]
	v_mov_b32_e32 v10, s10
	s_xor_b64 exec, exec, s[6:7]
	s_cbranch_execz .LBB9_1610
.LBB9_3660:
	v_mov_b32_e32 v10, 0
	v_cmp_ne_u16_sdwa s[8:9], v11, v10 src0_sel:BYTE_0 src1_sel:DWORD
	s_andn2_b64 s[4:5], s[4:5], exec
	s_and_b64 s[8:9], s[8:9], exec
	s_or_b64 s[4:5], s[4:5], s[8:9]
	s_or_b64 exec, exec, s[6:7]
	s_and_saveexec_b64 s[6:7], s[4:5]
	s_cbranch_execnz .LBB9_1611
	s_branch .LBB9_1612
.LBB9_3661:
	s_movk_i32 s4, 0x80
	v_cmp_eq_u16_sdwa s[12:13], v11, s4 src0_sel:BYTE_0 src1_sel:DWORD
	s_mov_b64 s[4:5], -1
                                        ; implicit-def: $sgpr10
	s_and_saveexec_b64 s[8:9], s[12:13]
; %bb.3662:
	s_mov_b32 s10, 0x7f800001
	s_xor_b64 s[4:5], exec, -1
; %bb.3663:
	s_or_b64 exec, exec, s[8:9]
	s_and_b64 s[4:5], s[4:5], exec
	s_or_saveexec_b64 s[6:7], s[6:7]
	v_mov_b32_e32 v14, s10
	s_xor_b64 exec, exec, s[6:7]
	s_cbranch_execz .LBB9_1614
.LBB9_3664:
	v_mov_b32_e32 v14, 0
	v_cmp_ne_u16_sdwa s[8:9], v11, v14 src0_sel:BYTE_0 src1_sel:DWORD
	s_andn2_b64 s[4:5], s[4:5], exec
	s_and_b64 s[8:9], s[8:9], exec
	s_or_b64 s[4:5], s[4:5], s[8:9]
	s_or_b64 exec, exec, s[6:7]
	s_and_saveexec_b64 s[6:7], s[4:5]
	s_cbranch_execnz .LBB9_1615
	s_branch .LBB9_1616
.LBB9_3665:
	s_movk_i32 s4, 0x80
	v_cmp_eq_u16_e32 vcc, s4, v11
	s_mov_b64 s[4:5], -1
                                        ; implicit-def: $sgpr10
	s_and_saveexec_b64 s[8:9], vcc
; %bb.3666:
	s_mov_b32 s10, 0x7f800001
	s_xor_b64 s[4:5], exec, -1
; %bb.3667:
	s_or_b64 exec, exec, s[8:9]
	s_and_b64 s[4:5], s[4:5], exec
                                        ; implicit-def: $vgpr11
	s_or_saveexec_b64 s[6:7], s[6:7]
	v_mov_b32_e32 v10, s10
	s_xor_b64 exec, exec, s[6:7]
	s_cbranch_execz .LBB9_1618
.LBB9_3668:
	v_cmp_ne_u16_e32 vcc, 0, v11
	s_andn2_b64 s[4:5], s[4:5], exec
	s_and_b64 s[8:9], vcc, exec
	v_mov_b32_e32 v10, 0
	s_or_b64 s[4:5], s[4:5], s[8:9]
	s_or_b64 exec, exec, s[6:7]
	s_and_saveexec_b64 s[6:7], s[4:5]
	s_cbranch_execnz .LBB9_1619
	s_branch .LBB9_1620
.LBB9_3669:
	s_movk_i32 s4, 0x80
	v_cmp_eq_u16_e32 vcc, s4, v11
	s_mov_b64 s[4:5], -1
                                        ; implicit-def: $sgpr10
	s_and_saveexec_b64 s[8:9], vcc
; %bb.3670:
	s_mov_b32 s10, 0x7f800001
	s_xor_b64 s[4:5], exec, -1
; %bb.3671:
	s_or_b64 exec, exec, s[8:9]
	s_and_b64 s[4:5], s[4:5], exec
                                        ; implicit-def: $vgpr11
	s_or_saveexec_b64 s[6:7], s[6:7]
	v_mov_b32_e32 v14, s10
	s_xor_b64 exec, exec, s[6:7]
	s_cbranch_execz .LBB9_1622
.LBB9_3672:
	v_cmp_ne_u16_e32 vcc, 0, v11
	s_andn2_b64 s[4:5], s[4:5], exec
	s_and_b64 s[8:9], vcc, exec
	v_mov_b32_e32 v14, 0
	s_or_b64 s[4:5], s[4:5], s[8:9]
	s_or_b64 exec, exec, s[6:7]
	s_and_saveexec_b64 s[6:7], s[4:5]
	s_cbranch_execnz .LBB9_1623
	s_branch .LBB9_1624
.LBB9_3673:
	s_movk_i32 s4, 0x80
	v_cmp_eq_u16_sdwa s[12:13], v16, s4 src0_sel:BYTE_3 src1_sel:DWORD
	s_mov_b64 s[4:5], -1
                                        ; implicit-def: $sgpr10
	s_and_saveexec_b64 s[8:9], s[12:13]
; %bb.3674:
	s_mov_b32 s10, 0x7f800001
	s_xor_b64 s[4:5], exec, -1
; %bb.3675:
	s_or_b64 exec, exec, s[8:9]
	s_and_b64 s[4:5], s[4:5], exec
	s_or_saveexec_b64 s[6:7], s[6:7]
	v_mov_b32_e32 v10, s10
	s_xor_b64 exec, exec, s[6:7]
	s_cbranch_execz .LBB9_1626
.LBB9_3676:
	v_mov_b32_e32 v10, 0
	v_cmp_ne_u16_sdwa s[8:9], v16, v10 src0_sel:BYTE_3 src1_sel:DWORD
	s_andn2_b64 s[4:5], s[4:5], exec
	s_and_b64 s[8:9], s[8:9], exec
	s_or_b64 s[4:5], s[4:5], s[8:9]
	s_or_b64 exec, exec, s[6:7]
	s_and_saveexec_b64 s[6:7], s[4:5]
	s_cbranch_execnz .LBB9_1627
	s_branch .LBB9_1628
.LBB9_3677:
	s_movk_i32 s4, 0x80
	v_cmp_eq_u16_sdwa s[12:13], v12, s4 src0_sel:BYTE_3 src1_sel:DWORD
	s_mov_b64 s[4:5], -1
                                        ; implicit-def: $sgpr10
	s_and_saveexec_b64 s[8:9], s[12:13]
; %bb.3678:
	s_mov_b32 s10, 0x7f800001
	s_xor_b64 s[4:5], exec, -1
; %bb.3679:
	s_or_b64 exec, exec, s[8:9]
	s_and_b64 s[4:5], s[4:5], exec
	s_or_saveexec_b64 s[6:7], s[6:7]
	v_mov_b32_e32 v11, s10
	s_xor_b64 exec, exec, s[6:7]
	s_cbranch_execz .LBB9_1630
.LBB9_3680:
	v_mov_b32_e32 v11, 0
	v_cmp_ne_u16_sdwa s[8:9], v12, v11 src0_sel:BYTE_3 src1_sel:DWORD
	s_andn2_b64 s[4:5], s[4:5], exec
	s_and_b64 s[8:9], s[8:9], exec
	s_or_b64 s[4:5], s[4:5], s[8:9]
	s_or_b64 exec, exec, s[6:7]
	s_and_saveexec_b64 s[6:7], s[4:5]
	s_cbranch_execnz .LBB9_1631
	s_branch .LBB9_1632
.LBB9_3681:
	s_movk_i32 s4, 0x80
	v_cmp_eq_u16_sdwa s[12:13], v17, s4 src0_sel:BYTE_0 src1_sel:DWORD
	s_mov_b64 s[4:5], -1
                                        ; implicit-def: $sgpr10
	s_and_saveexec_b64 s[8:9], s[12:13]
; %bb.3682:
	s_mov_b32 s10, 0x7f800001
	s_xor_b64 s[4:5], exec, -1
; %bb.3683:
	s_or_b64 exec, exec, s[8:9]
	s_and_b64 s[4:5], s[4:5], exec
	s_or_saveexec_b64 s[6:7], s[6:7]
	v_mov_b32_e32 v10, s10
	s_xor_b64 exec, exec, s[6:7]
	s_cbranch_execz .LBB9_1634
.LBB9_3684:
	v_mov_b32_e32 v10, 0
	v_cmp_ne_u16_sdwa s[8:9], v17, v10 src0_sel:BYTE_0 src1_sel:DWORD
	s_andn2_b64 s[4:5], s[4:5], exec
	s_and_b64 s[8:9], s[8:9], exec
	s_or_b64 s[4:5], s[4:5], s[8:9]
	s_or_b64 exec, exec, s[6:7]
	s_and_saveexec_b64 s[6:7], s[4:5]
	s_cbranch_execnz .LBB9_1635
	s_branch .LBB9_1636
.LBB9_3685:
	s_movk_i32 s4, 0x80
	v_cmp_eq_u16_sdwa s[12:13], v13, s4 src0_sel:BYTE_0 src1_sel:DWORD
	s_mov_b64 s[4:5], -1
                                        ; implicit-def: $sgpr10
	s_and_saveexec_b64 s[8:9], s[12:13]
; %bb.3686:
	s_mov_b32 s10, 0x7f800001
	s_xor_b64 s[4:5], exec, -1
; %bb.3687:
	s_or_b64 exec, exec, s[8:9]
	s_and_b64 s[4:5], s[4:5], exec
	s_or_saveexec_b64 s[6:7], s[6:7]
	v_mov_b32_e32 v11, s10
	s_xor_b64 exec, exec, s[6:7]
	s_cbranch_execz .LBB9_1638
.LBB9_3688:
	v_mov_b32_e32 v11, 0
	v_cmp_ne_u16_sdwa s[8:9], v13, v11 src0_sel:BYTE_0 src1_sel:DWORD
	s_andn2_b64 s[4:5], s[4:5], exec
	s_and_b64 s[8:9], s[8:9], exec
	s_or_b64 s[4:5], s[4:5], s[8:9]
	s_or_b64 exec, exec, s[6:7]
	s_and_saveexec_b64 s[6:7], s[4:5]
	s_cbranch_execnz .LBB9_1639
	s_branch .LBB9_1640
.LBB9_3689:
	s_movk_i32 s4, 0x80
	v_cmp_eq_u16_sdwa s[12:13], v11, s4 src0_sel:BYTE_0 src1_sel:DWORD
	s_mov_b64 s[4:5], -1
                                        ; implicit-def: $sgpr10
	s_and_saveexec_b64 s[8:9], s[12:13]
; %bb.3690:
	s_mov_b32 s10, 0x7f800001
	s_xor_b64 s[4:5], exec, -1
; %bb.3691:
	s_or_b64 exec, exec, s[8:9]
	s_and_b64 s[4:5], s[4:5], exec
	s_or_saveexec_b64 s[6:7], s[6:7]
	v_mov_b32_e32 v10, s10
	s_xor_b64 exec, exec, s[6:7]
	s_cbranch_execz .LBB9_1642
.LBB9_3692:
	v_mov_b32_e32 v10, 0
	v_cmp_ne_u16_sdwa s[8:9], v11, v10 src0_sel:BYTE_0 src1_sel:DWORD
	s_andn2_b64 s[4:5], s[4:5], exec
	s_and_b64 s[8:9], s[8:9], exec
	s_or_b64 s[4:5], s[4:5], s[8:9]
	s_or_b64 exec, exec, s[6:7]
	s_and_saveexec_b64 s[6:7], s[4:5]
	s_cbranch_execnz .LBB9_1643
	s_branch .LBB9_1644
.LBB9_3693:
	s_movk_i32 s4, 0x80
	v_cmp_eq_u16_sdwa s[12:13], v11, s4 src0_sel:BYTE_0 src1_sel:DWORD
	s_mov_b64 s[4:5], -1
                                        ; implicit-def: $sgpr10
	s_and_saveexec_b64 s[8:9], s[12:13]
; %bb.3694:
	s_mov_b32 s10, 0x7f800001
	s_xor_b64 s[4:5], exec, -1
; %bb.3695:
	s_or_b64 exec, exec, s[8:9]
	s_and_b64 s[4:5], s[4:5], exec
	s_or_saveexec_b64 s[6:7], s[6:7]
	v_mov_b32_e32 v12, s10
	s_xor_b64 exec, exec, s[6:7]
	s_cbranch_execz .LBB9_1646
.LBB9_3696:
	v_mov_b32_e32 v12, 0
	v_cmp_ne_u16_sdwa s[8:9], v11, v12 src0_sel:BYTE_0 src1_sel:DWORD
	s_andn2_b64 s[4:5], s[4:5], exec
	s_and_b64 s[8:9], s[8:9], exec
	s_or_b64 s[4:5], s[4:5], s[8:9]
	s_or_b64 exec, exec, s[6:7]
	s_and_saveexec_b64 s[6:7], s[4:5]
	s_cbranch_execnz .LBB9_1647
	s_branch .LBB9_1648
.LBB9_3697:
	s_movk_i32 s4, 0x80
	v_cmp_eq_u16_e32 vcc, s4, v11
	s_mov_b64 s[4:5], -1
                                        ; implicit-def: $sgpr10
	s_and_saveexec_b64 s[8:9], vcc
; %bb.3698:
	s_mov_b32 s10, 0x7f800001
	s_xor_b64 s[4:5], exec, -1
; %bb.3699:
	s_or_b64 exec, exec, s[8:9]
	s_and_b64 s[4:5], s[4:5], exec
                                        ; implicit-def: $vgpr11
	s_or_saveexec_b64 s[6:7], s[6:7]
	v_mov_b32_e32 v10, s10
	s_xor_b64 exec, exec, s[6:7]
	s_cbranch_execz .LBB9_1650
.LBB9_3700:
	v_cmp_ne_u16_e32 vcc, 0, v11
	s_andn2_b64 s[4:5], s[4:5], exec
	s_and_b64 s[8:9], vcc, exec
	v_mov_b32_e32 v10, 0
	s_or_b64 s[4:5], s[4:5], s[8:9]
	s_or_b64 exec, exec, s[6:7]
	s_and_saveexec_b64 s[6:7], s[4:5]
	s_cbranch_execnz .LBB9_1651
	s_branch .LBB9_1652
.LBB9_3701:
	s_movk_i32 s4, 0x80
	v_cmp_eq_u16_e32 vcc, s4, v11
	s_mov_b64 s[4:5], -1
                                        ; implicit-def: $sgpr10
	s_and_saveexec_b64 s[8:9], vcc
; %bb.3702:
	s_mov_b32 s10, 0x7f800001
	s_xor_b64 s[4:5], exec, -1
; %bb.3703:
	s_or_b64 exec, exec, s[8:9]
	s_and_b64 s[4:5], s[4:5], exec
                                        ; implicit-def: $vgpr11
	s_or_saveexec_b64 s[6:7], s[6:7]
	v_mov_b32_e32 v12, s10
	s_xor_b64 exec, exec, s[6:7]
	s_cbranch_execz .LBB9_1654
.LBB9_3704:
	v_cmp_ne_u16_e32 vcc, 0, v11
	s_andn2_b64 s[4:5], s[4:5], exec
	s_and_b64 s[8:9], vcc, exec
	v_mov_b32_e32 v12, 0
	s_or_b64 s[4:5], s[4:5], s[8:9]
	s_or_b64 exec, exec, s[6:7]
	s_and_saveexec_b64 s[6:7], s[4:5]
	s_cbranch_execnz .LBB9_1655
	s_branch .LBB9_1656
.LBB9_3705:
	s_movk_i32 s4, 0x80
	v_cmp_eq_u16_sdwa s[12:13], v17, s4 src0_sel:BYTE_3 src1_sel:DWORD
	s_mov_b64 s[4:5], -1
                                        ; implicit-def: $sgpr10
	s_and_saveexec_b64 s[8:9], s[12:13]
; %bb.3706:
	s_mov_b32 s10, 0x7f800001
	s_xor_b64 s[4:5], exec, -1
; %bb.3707:
	s_or_b64 exec, exec, s[8:9]
	s_and_b64 s[4:5], s[4:5], exec
	s_or_saveexec_b64 s[6:7], s[6:7]
	v_mov_b32_e32 v10, s10
	s_xor_b64 exec, exec, s[6:7]
	s_cbranch_execz .LBB9_1658
.LBB9_3708:
	v_mov_b32_e32 v10, 0
	v_cmp_ne_u16_sdwa s[8:9], v17, v10 src0_sel:BYTE_3 src1_sel:DWORD
	s_andn2_b64 s[4:5], s[4:5], exec
	s_and_b64 s[8:9], s[8:9], exec
	s_or_b64 s[4:5], s[4:5], s[8:9]
	s_or_b64 exec, exec, s[6:7]
	s_and_saveexec_b64 s[6:7], s[4:5]
	s_cbranch_execnz .LBB9_1659
	s_branch .LBB9_1660
.LBB9_3709:
	s_movk_i32 s4, 0x80
	v_cmp_eq_u16_sdwa s[12:13], v13, s4 src0_sel:BYTE_3 src1_sel:DWORD
	s_mov_b64 s[4:5], -1
                                        ; implicit-def: $sgpr10
	s_and_saveexec_b64 s[8:9], s[12:13]
; %bb.3710:
	s_mov_b32 s10, 0x7f800001
	s_xor_b64 s[4:5], exec, -1
; %bb.3711:
	s_or_b64 exec, exec, s[8:9]
	s_and_b64 s[4:5], s[4:5], exec
	s_or_saveexec_b64 s[6:7], s[6:7]
	v_mov_b32_e32 v11, s10
	s_xor_b64 exec, exec, s[6:7]
	s_cbranch_execz .LBB9_1662
.LBB9_3712:
	v_mov_b32_e32 v11, 0
	v_cmp_ne_u16_sdwa s[8:9], v13, v11 src0_sel:BYTE_3 src1_sel:DWORD
	s_andn2_b64 s[4:5], s[4:5], exec
	s_and_b64 s[8:9], s[8:9], exec
	s_or_b64 s[4:5], s[4:5], s[8:9]
	s_or_b64 exec, exec, s[6:7]
	s_and_saveexec_b64 s[6:7], s[4:5]
	s_cbranch_execnz .LBB9_1663
	s_branch .LBB9_1664
.LBB9_3713:
	s_movk_i32 s4, 0x80
	v_cmp_eq_u16_sdwa s[12:13], v6, s4 src0_sel:BYTE_0 src1_sel:DWORD
	s_mov_b64 s[4:5], -1
                                        ; implicit-def: $sgpr10
	s_and_saveexec_b64 s[8:9], s[12:13]
; %bb.3714:
	s_mov_b32 s10, 0x7f800001
	s_xor_b64 s[4:5], exec, -1
; %bb.3715:
	s_or_b64 exec, exec, s[8:9]
	s_and_b64 s[4:5], s[4:5], exec
	s_or_saveexec_b64 s[6:7], s[6:7]
	v_mov_b32_e32 v10, s10
	s_xor_b64 exec, exec, s[6:7]
	s_cbranch_execz .LBB9_1666
.LBB9_3716:
	v_mov_b32_e32 v10, 0
	v_cmp_ne_u16_sdwa s[8:9], v6, v10 src0_sel:BYTE_0 src1_sel:DWORD
	s_andn2_b64 s[4:5], s[4:5], exec
	s_and_b64 s[8:9], s[8:9], exec
	s_or_b64 s[4:5], s[4:5], s[8:9]
	s_or_b64 exec, exec, s[6:7]
	s_and_saveexec_b64 s[6:7], s[4:5]
	s_cbranch_execnz .LBB9_1667
	s_branch .LBB9_1668
.LBB9_3717:
	s_movk_i32 s4, 0x80
	v_cmp_eq_u16_sdwa s[12:13], v2, s4 src0_sel:BYTE_0 src1_sel:DWORD
	s_mov_b64 s[4:5], -1
                                        ; implicit-def: $sgpr10
	s_and_saveexec_b64 s[8:9], s[12:13]
; %bb.3718:
	s_mov_b32 s10, 0x7f800001
	s_xor_b64 s[4:5], exec, -1
; %bb.3719:
	s_or_b64 exec, exec, s[8:9]
	s_and_b64 s[4:5], s[4:5], exec
	s_or_saveexec_b64 s[6:7], s[6:7]
	v_mov_b32_e32 v11, s10
	s_xor_b64 exec, exec, s[6:7]
	s_cbranch_execz .LBB9_1670
.LBB9_3720:
	v_mov_b32_e32 v11, 0
	v_cmp_ne_u16_sdwa s[8:9], v2, v11 src0_sel:BYTE_0 src1_sel:DWORD
	s_andn2_b64 s[4:5], s[4:5], exec
	s_and_b64 s[8:9], s[8:9], exec
	s_or_b64 s[4:5], s[4:5], s[8:9]
	s_or_b64 exec, exec, s[6:7]
	s_and_saveexec_b64 s[6:7], s[4:5]
	s_cbranch_execnz .LBB9_1671
	s_branch .LBB9_1672
.LBB9_3721:
	s_movk_i32 s4, 0x80
	v_cmp_eq_u16_sdwa s[12:13], v11, s4 src0_sel:BYTE_0 src1_sel:DWORD
	s_mov_b64 s[4:5], -1
                                        ; implicit-def: $sgpr10
	s_and_saveexec_b64 s[8:9], s[12:13]
; %bb.3722:
	s_mov_b32 s10, 0x7f800001
	s_xor_b64 s[4:5], exec, -1
; %bb.3723:
	s_or_b64 exec, exec, s[8:9]
	s_and_b64 s[4:5], s[4:5], exec
	s_or_saveexec_b64 s[6:7], s[6:7]
	v_mov_b32_e32 v10, s10
	s_xor_b64 exec, exec, s[6:7]
	s_cbranch_execz .LBB9_1674
.LBB9_3724:
	v_mov_b32_e32 v10, 0
	v_cmp_ne_u16_sdwa s[8:9], v11, v10 src0_sel:BYTE_0 src1_sel:DWORD
	s_andn2_b64 s[4:5], s[4:5], exec
	s_and_b64 s[8:9], s[8:9], exec
	s_or_b64 s[4:5], s[4:5], s[8:9]
	s_or_b64 exec, exec, s[6:7]
	s_and_saveexec_b64 s[6:7], s[4:5]
	s_cbranch_execnz .LBB9_1675
	s_branch .LBB9_1676
.LBB9_3725:
	s_movk_i32 s4, 0x80
	v_cmp_eq_u16_sdwa s[12:13], v11, s4 src0_sel:BYTE_0 src1_sel:DWORD
	s_mov_b64 s[4:5], -1
                                        ; implicit-def: $sgpr10
	s_and_saveexec_b64 s[8:9], s[12:13]
; %bb.3726:
	s_mov_b32 s10, 0x7f800001
	s_xor_b64 s[4:5], exec, -1
; %bb.3727:
	s_or_b64 exec, exec, s[8:9]
	s_and_b64 s[4:5], s[4:5], exec
	s_or_saveexec_b64 s[6:7], s[6:7]
	v_mov_b32_e32 v12, s10
	s_xor_b64 exec, exec, s[6:7]
	s_cbranch_execz .LBB9_1678
.LBB9_3728:
	v_mov_b32_e32 v12, 0
	v_cmp_ne_u16_sdwa s[8:9], v11, v12 src0_sel:BYTE_0 src1_sel:DWORD
	s_andn2_b64 s[4:5], s[4:5], exec
	s_and_b64 s[8:9], s[8:9], exec
	s_or_b64 s[4:5], s[4:5], s[8:9]
	s_or_b64 exec, exec, s[6:7]
	s_and_saveexec_b64 s[6:7], s[4:5]
	s_cbranch_execnz .LBB9_1679
	s_branch .LBB9_1680
.LBB9_3729:
	s_movk_i32 s4, 0x80
	v_cmp_eq_u16_e32 vcc, s4, v11
	s_mov_b64 s[4:5], -1
                                        ; implicit-def: $sgpr10
	s_and_saveexec_b64 s[8:9], vcc
; %bb.3730:
	s_mov_b32 s10, 0x7f800001
	s_xor_b64 s[4:5], exec, -1
; %bb.3731:
	s_or_b64 exec, exec, s[8:9]
	s_and_b64 s[4:5], s[4:5], exec
                                        ; implicit-def: $vgpr11
	s_or_saveexec_b64 s[6:7], s[6:7]
	v_mov_b32_e32 v10, s10
	s_xor_b64 exec, exec, s[6:7]
	s_cbranch_execz .LBB9_1682
.LBB9_3732:
	v_cmp_ne_u16_e32 vcc, 0, v11
	s_andn2_b64 s[4:5], s[4:5], exec
	s_and_b64 s[8:9], vcc, exec
	v_mov_b32_e32 v10, 0
	s_or_b64 s[4:5], s[4:5], s[8:9]
	s_or_b64 exec, exec, s[6:7]
	s_and_saveexec_b64 s[6:7], s[4:5]
	s_cbranch_execnz .LBB9_1683
	s_branch .LBB9_1684
.LBB9_3733:
	s_movk_i32 s4, 0x80
	v_cmp_eq_u16_e32 vcc, s4, v11
	s_mov_b64 s[4:5], -1
                                        ; implicit-def: $sgpr10
	s_and_saveexec_b64 s[8:9], vcc
; %bb.3734:
	s_mov_b32 s10, 0x7f800001
	s_xor_b64 s[4:5], exec, -1
; %bb.3735:
	s_or_b64 exec, exec, s[8:9]
	s_and_b64 s[4:5], s[4:5], exec
                                        ; implicit-def: $vgpr11
	s_or_saveexec_b64 s[6:7], s[6:7]
	v_mov_b32_e32 v12, s10
	s_xor_b64 exec, exec, s[6:7]
	s_cbranch_execz .LBB9_1686
.LBB9_3736:
	v_cmp_ne_u16_e32 vcc, 0, v11
	s_andn2_b64 s[4:5], s[4:5], exec
	s_and_b64 s[8:9], vcc, exec
	v_mov_b32_e32 v12, 0
	s_or_b64 s[4:5], s[4:5], s[8:9]
	s_or_b64 exec, exec, s[6:7]
	s_and_saveexec_b64 s[6:7], s[4:5]
	s_cbranch_execnz .LBB9_1687
	s_branch .LBB9_1688
.LBB9_3737:
	s_movk_i32 s4, 0x80
	v_cmp_eq_u16_sdwa s[12:13], v6, s4 src0_sel:BYTE_3 src1_sel:DWORD
	s_mov_b64 s[4:5], -1
                                        ; implicit-def: $sgpr10
	s_and_saveexec_b64 s[8:9], s[12:13]
; %bb.3738:
	s_mov_b32 s10, 0x7f800001
	s_xor_b64 s[4:5], exec, -1
; %bb.3739:
	s_or_b64 exec, exec, s[8:9]
	s_and_b64 s[4:5], s[4:5], exec
	s_or_saveexec_b64 s[6:7], s[6:7]
	v_mov_b32_e32 v10, s10
	s_xor_b64 exec, exec, s[6:7]
	s_cbranch_execz .LBB9_1690
.LBB9_3740:
	v_mov_b32_e32 v10, 0
	v_cmp_ne_u16_sdwa s[8:9], v6, v10 src0_sel:BYTE_3 src1_sel:DWORD
	s_andn2_b64 s[4:5], s[4:5], exec
	s_and_b64 s[8:9], s[8:9], exec
	s_or_b64 s[4:5], s[4:5], s[8:9]
	s_or_b64 exec, exec, s[6:7]
	s_and_saveexec_b64 s[6:7], s[4:5]
	s_cbranch_execnz .LBB9_1691
	s_branch .LBB9_1692
.LBB9_3741:
	s_movk_i32 s4, 0x80
	v_cmp_eq_u16_sdwa s[12:13], v2, s4 src0_sel:BYTE_3 src1_sel:DWORD
	s_mov_b64 s[4:5], -1
                                        ; implicit-def: $sgpr10
	s_and_saveexec_b64 s[8:9], s[12:13]
; %bb.3742:
	s_mov_b32 s10, 0x7f800001
	s_xor_b64 s[4:5], exec, -1
; %bb.3743:
	s_or_b64 exec, exec, s[8:9]
	s_and_b64 s[4:5], s[4:5], exec
	s_or_saveexec_b64 s[6:7], s[6:7]
	v_mov_b32_e32 v6, s10
	s_xor_b64 exec, exec, s[6:7]
	s_cbranch_execz .LBB9_1694
.LBB9_3744:
	v_mov_b32_e32 v6, 0
	v_cmp_ne_u16_sdwa s[8:9], v2, v6 src0_sel:BYTE_3 src1_sel:DWORD
	s_andn2_b64 s[4:5], s[4:5], exec
	s_and_b64 s[8:9], s[8:9], exec
	s_or_b64 s[4:5], s[4:5], s[8:9]
	s_or_b64 exec, exec, s[6:7]
	s_and_saveexec_b64 s[6:7], s[4:5]
	s_cbranch_execnz .LBB9_1695
	s_branch .LBB9_1696
.LBB9_3745:
	s_movk_i32 s4, 0x80
	v_cmp_eq_u16_sdwa s[12:13], v7, s4 src0_sel:BYTE_0 src1_sel:DWORD
	s_mov_b64 s[4:5], -1
                                        ; implicit-def: $sgpr10
	s_and_saveexec_b64 s[8:9], s[12:13]
; %bb.3746:
	s_mov_b32 s10, 0x7f800001
	s_xor_b64 s[4:5], exec, -1
; %bb.3747:
	s_or_b64 exec, exec, s[8:9]
	s_and_b64 s[4:5], s[4:5], exec
	s_or_saveexec_b64 s[6:7], s[6:7]
	v_mov_b32_e32 v2, s10
	s_xor_b64 exec, exec, s[6:7]
	s_cbranch_execz .LBB9_1698
.LBB9_3748:
	v_mov_b32_e32 v2, 0
	v_cmp_ne_u16_sdwa s[8:9], v7, v2 src0_sel:BYTE_0 src1_sel:DWORD
	s_andn2_b64 s[4:5], s[4:5], exec
	s_and_b64 s[8:9], s[8:9], exec
	s_or_b64 s[4:5], s[4:5], s[8:9]
	s_or_b64 exec, exec, s[6:7]
	s_and_saveexec_b64 s[6:7], s[4:5]
	s_cbranch_execnz .LBB9_1699
	s_branch .LBB9_1700
.LBB9_3749:
	s_movk_i32 s4, 0x80
	v_cmp_eq_u16_sdwa s[12:13], v3, s4 src0_sel:BYTE_0 src1_sel:DWORD
	s_mov_b64 s[4:5], -1
                                        ; implicit-def: $sgpr10
	s_and_saveexec_b64 s[8:9], s[12:13]
; %bb.3750:
	s_mov_b32 s10, 0x7f800001
	s_xor_b64 s[4:5], exec, -1
; %bb.3751:
	s_or_b64 exec, exec, s[8:9]
	s_and_b64 s[4:5], s[4:5], exec
	s_or_saveexec_b64 s[6:7], s[6:7]
	v_mov_b32_e32 v6, s10
	s_xor_b64 exec, exec, s[6:7]
	s_cbranch_execz .LBB9_1702
.LBB9_3752:
	v_mov_b32_e32 v6, 0
	v_cmp_ne_u16_sdwa s[8:9], v3, v6 src0_sel:BYTE_0 src1_sel:DWORD
	s_andn2_b64 s[4:5], s[4:5], exec
	s_and_b64 s[8:9], s[8:9], exec
	s_or_b64 s[4:5], s[4:5], s[8:9]
	s_or_b64 exec, exec, s[6:7]
	s_and_saveexec_b64 s[6:7], s[4:5]
	s_cbranch_execnz .LBB9_1703
	s_branch .LBB9_1704
.LBB9_3753:
	s_movk_i32 s4, 0x80
	v_cmp_eq_u16_sdwa s[12:13], v6, s4 src0_sel:BYTE_0 src1_sel:DWORD
	s_mov_b64 s[4:5], -1
                                        ; implicit-def: $sgpr10
	s_and_saveexec_b64 s[8:9], s[12:13]
; %bb.3754:
	s_mov_b32 s10, 0x7f800001
	s_xor_b64 s[4:5], exec, -1
; %bb.3755:
	s_or_b64 exec, exec, s[8:9]
	s_and_b64 s[4:5], s[4:5], exec
	s_or_saveexec_b64 s[6:7], s[6:7]
	v_mov_b32_e32 v2, s10
	s_xor_b64 exec, exec, s[6:7]
	s_cbranch_execz .LBB9_1706
.LBB9_3756:
	v_mov_b32_e32 v2, 0
	v_cmp_ne_u16_sdwa s[8:9], v6, v2 src0_sel:BYTE_0 src1_sel:DWORD
	s_andn2_b64 s[4:5], s[4:5], exec
	s_and_b64 s[8:9], s[8:9], exec
	s_or_b64 s[4:5], s[4:5], s[8:9]
	s_or_b64 exec, exec, s[6:7]
	s_and_saveexec_b64 s[6:7], s[4:5]
	s_cbranch_execnz .LBB9_1707
	s_branch .LBB9_1708
.LBB9_3757:
	s_movk_i32 s4, 0x80
	v_cmp_eq_u16_sdwa s[12:13], v6, s4 src0_sel:BYTE_0 src1_sel:DWORD
	s_mov_b64 s[4:5], -1
                                        ; implicit-def: $sgpr10
	s_and_saveexec_b64 s[8:9], s[12:13]
; %bb.3758:
	s_mov_b32 s10, 0x7f800001
	s_xor_b64 s[4:5], exec, -1
; %bb.3759:
	s_or_b64 exec, exec, s[8:9]
	s_and_b64 s[4:5], s[4:5], exec
	s_or_saveexec_b64 s[6:7], s[6:7]
	v_mov_b32_e32 v10, s10
	s_xor_b64 exec, exec, s[6:7]
	s_cbranch_execz .LBB9_1710
.LBB9_3760:
	v_mov_b32_e32 v10, 0
	v_cmp_ne_u16_sdwa s[8:9], v6, v10 src0_sel:BYTE_0 src1_sel:DWORD
	s_andn2_b64 s[4:5], s[4:5], exec
	s_and_b64 s[8:9], s[8:9], exec
	s_or_b64 s[4:5], s[4:5], s[8:9]
	s_or_b64 exec, exec, s[6:7]
	s_and_saveexec_b64 s[6:7], s[4:5]
	s_cbranch_execnz .LBB9_1711
	s_branch .LBB9_1712
.LBB9_3761:
	s_movk_i32 s4, 0x80
	v_cmp_eq_u16_e32 vcc, s4, v6
	s_mov_b64 s[4:5], -1
                                        ; implicit-def: $sgpr10
	s_and_saveexec_b64 s[8:9], vcc
; %bb.3762:
	s_mov_b32 s10, 0x7f800001
	s_xor_b64 s[4:5], exec, -1
; %bb.3763:
	s_or_b64 exec, exec, s[8:9]
	s_and_b64 s[4:5], s[4:5], exec
                                        ; implicit-def: $vgpr6
	s_or_saveexec_b64 s[6:7], s[6:7]
	v_mov_b32_e32 v2, s10
	s_xor_b64 exec, exec, s[6:7]
	s_cbranch_execz .LBB9_1714
.LBB9_3764:
	v_cmp_ne_u16_e32 vcc, 0, v6
	s_andn2_b64 s[4:5], s[4:5], exec
	s_and_b64 s[8:9], vcc, exec
	v_mov_b32_e32 v2, 0
	s_or_b64 s[4:5], s[4:5], s[8:9]
	s_or_b64 exec, exec, s[6:7]
	s_and_saveexec_b64 s[6:7], s[4:5]
	s_cbranch_execnz .LBB9_1715
	s_branch .LBB9_1716
.LBB9_3765:
	s_movk_i32 s4, 0x80
	v_cmp_eq_u16_e32 vcc, s4, v6
	s_mov_b64 s[4:5], -1
                                        ; implicit-def: $sgpr10
	s_and_saveexec_b64 s[8:9], vcc
; %bb.3766:
	s_mov_b32 s10, 0x7f800001
	s_xor_b64 s[4:5], exec, -1
; %bb.3767:
	s_or_b64 exec, exec, s[8:9]
	s_and_b64 s[4:5], s[4:5], exec
                                        ; implicit-def: $vgpr6
	s_or_saveexec_b64 s[6:7], s[6:7]
	v_mov_b32_e32 v10, s10
	s_xor_b64 exec, exec, s[6:7]
	s_cbranch_execz .LBB9_1718
.LBB9_3768:
	v_cmp_ne_u16_e32 vcc, 0, v6
	s_andn2_b64 s[4:5], s[4:5], exec
	s_and_b64 s[8:9], vcc, exec
	v_mov_b32_e32 v10, 0
	s_or_b64 s[4:5], s[4:5], s[8:9]
	s_or_b64 exec, exec, s[6:7]
	s_and_saveexec_b64 s[6:7], s[4:5]
	s_cbranch_execnz .LBB9_1719
	s_branch .LBB9_1720
.LBB9_3769:
	s_movk_i32 s4, 0x80
	v_cmp_eq_u16_sdwa s[12:13], v7, s4 src0_sel:BYTE_3 src1_sel:DWORD
	s_mov_b64 s[4:5], -1
                                        ; implicit-def: $sgpr10
	s_and_saveexec_b64 s[8:9], s[12:13]
; %bb.3770:
	s_mov_b32 s10, 0x7f800001
	s_xor_b64 s[4:5], exec, -1
; %bb.3771:
	s_or_b64 exec, exec, s[8:9]
	s_and_b64 s[4:5], s[4:5], exec
	s_or_saveexec_b64 s[6:7], s[6:7]
	v_mov_b32_e32 v2, s10
	s_xor_b64 exec, exec, s[6:7]
	s_cbranch_execz .LBB9_1722
.LBB9_3772:
	v_mov_b32_e32 v2, 0
	v_cmp_ne_u16_sdwa s[8:9], v7, v2 src0_sel:BYTE_3 src1_sel:DWORD
	s_andn2_b64 s[4:5], s[4:5], exec
	s_and_b64 s[8:9], s[8:9], exec
	s_or_b64 s[4:5], s[4:5], s[8:9]
	s_or_b64 exec, exec, s[6:7]
	s_and_saveexec_b64 s[6:7], s[4:5]
	s_cbranch_execnz .LBB9_1723
	s_branch .LBB9_1724
.LBB9_3773:
	s_movk_i32 s4, 0x80
	v_cmp_eq_u16_sdwa s[12:13], v3, s4 src0_sel:BYTE_3 src1_sel:DWORD
	s_mov_b64 s[4:5], -1
                                        ; implicit-def: $sgpr10
	s_and_saveexec_b64 s[8:9], s[12:13]
; %bb.3774:
	s_mov_b32 s10, 0x7f800001
	s_xor_b64 s[4:5], exec, -1
; %bb.3775:
	s_or_b64 exec, exec, s[8:9]
	s_and_b64 s[4:5], s[4:5], exec
	s_or_saveexec_b64 s[6:7], s[6:7]
	v_mov_b32_e32 v6, s10
	s_xor_b64 exec, exec, s[6:7]
	s_cbranch_execz .LBB9_1726
.LBB9_3776:
	v_mov_b32_e32 v6, 0
	v_cmp_ne_u16_sdwa s[8:9], v3, v6 src0_sel:BYTE_3 src1_sel:DWORD
	s_andn2_b64 s[4:5], s[4:5], exec
	s_and_b64 s[8:9], s[8:9], exec
	s_or_b64 s[4:5], s[4:5], s[8:9]
	s_or_b64 exec, exec, s[6:7]
	s_and_saveexec_b64 s[6:7], s[4:5]
	s_cbranch_execnz .LBB9_1727
	s_branch .LBB9_1728
.LBB9_3777:
	s_movk_i32 s4, 0x80
	v_cmp_eq_u16_sdwa s[12:13], v8, s4 src0_sel:BYTE_0 src1_sel:DWORD
	s_mov_b64 s[4:5], -1
                                        ; implicit-def: $sgpr10
	s_and_saveexec_b64 s[8:9], s[12:13]
; %bb.3778:
	s_mov_b32 s10, 0x7f800001
	s_xor_b64 s[4:5], exec, -1
; %bb.3779:
	s_or_b64 exec, exec, s[8:9]
	s_and_b64 s[4:5], s[4:5], exec
	s_or_saveexec_b64 s[6:7], s[6:7]
	v_mov_b32_e32 v2, s10
	s_xor_b64 exec, exec, s[6:7]
	s_cbranch_execz .LBB9_1730
.LBB9_3780:
	v_mov_b32_e32 v2, 0
	v_cmp_ne_u16_sdwa s[8:9], v8, v2 src0_sel:BYTE_0 src1_sel:DWORD
	s_andn2_b64 s[4:5], s[4:5], exec
	s_and_b64 s[8:9], s[8:9], exec
	s_or_b64 s[4:5], s[4:5], s[8:9]
	s_or_b64 exec, exec, s[6:7]
	s_and_saveexec_b64 s[6:7], s[4:5]
	s_cbranch_execnz .LBB9_1731
	s_branch .LBB9_1732
.LBB9_3781:
	s_movk_i32 s4, 0x80
	v_cmp_eq_u16_sdwa s[12:13], v4, s4 src0_sel:BYTE_0 src1_sel:DWORD
	s_mov_b64 s[4:5], -1
                                        ; implicit-def: $sgpr10
	s_and_saveexec_b64 s[8:9], s[12:13]
; %bb.3782:
	s_mov_b32 s10, 0x7f800001
	s_xor_b64 s[4:5], exec, -1
; %bb.3783:
	s_or_b64 exec, exec, s[8:9]
	s_and_b64 s[4:5], s[4:5], exec
	s_or_saveexec_b64 s[6:7], s[6:7]
	v_mov_b32_e32 v3, s10
	s_xor_b64 exec, exec, s[6:7]
	s_cbranch_execz .LBB9_1734
.LBB9_3784:
	v_mov_b32_e32 v3, 0
	v_cmp_ne_u16_sdwa s[8:9], v4, v3 src0_sel:BYTE_0 src1_sel:DWORD
	s_andn2_b64 s[4:5], s[4:5], exec
	s_and_b64 s[8:9], s[8:9], exec
	s_or_b64 s[4:5], s[4:5], s[8:9]
	s_or_b64 exec, exec, s[6:7]
	s_and_saveexec_b64 s[6:7], s[4:5]
	s_cbranch_execnz .LBB9_1735
	s_branch .LBB9_1736
.LBB9_3785:
	s_movk_i32 s4, 0x80
	v_cmp_eq_u16_sdwa s[12:13], v3, s4 src0_sel:BYTE_0 src1_sel:DWORD
	s_mov_b64 s[4:5], -1
                                        ; implicit-def: $sgpr10
	s_and_saveexec_b64 s[8:9], s[12:13]
; %bb.3786:
	s_mov_b32 s10, 0x7f800001
	s_xor_b64 s[4:5], exec, -1
; %bb.3787:
	s_or_b64 exec, exec, s[8:9]
	s_and_b64 s[4:5], s[4:5], exec
	s_or_saveexec_b64 s[6:7], s[6:7]
	v_mov_b32_e32 v2, s10
	s_xor_b64 exec, exec, s[6:7]
	s_cbranch_execz .LBB9_1738
.LBB9_3788:
	v_mov_b32_e32 v2, 0
	v_cmp_ne_u16_sdwa s[8:9], v3, v2 src0_sel:BYTE_0 src1_sel:DWORD
	s_andn2_b64 s[4:5], s[4:5], exec
	s_and_b64 s[8:9], s[8:9], exec
	s_or_b64 s[4:5], s[4:5], s[8:9]
	s_or_b64 exec, exec, s[6:7]
	s_and_saveexec_b64 s[6:7], s[4:5]
	s_cbranch_execnz .LBB9_1739
	s_branch .LBB9_1740
.LBB9_3789:
	s_movk_i32 s4, 0x80
	v_cmp_eq_u16_sdwa s[12:13], v3, s4 src0_sel:BYTE_0 src1_sel:DWORD
	s_mov_b64 s[4:5], -1
                                        ; implicit-def: $sgpr10
	s_and_saveexec_b64 s[8:9], s[12:13]
; %bb.3790:
	s_mov_b32 s10, 0x7f800001
	s_xor_b64 s[4:5], exec, -1
; %bb.3791:
	s_or_b64 exec, exec, s[8:9]
	s_and_b64 s[4:5], s[4:5], exec
	s_or_saveexec_b64 s[6:7], s[6:7]
	v_mov_b32_e32 v6, s10
	s_xor_b64 exec, exec, s[6:7]
	s_cbranch_execz .LBB9_1742
.LBB9_3792:
	v_mov_b32_e32 v6, 0
	v_cmp_ne_u16_sdwa s[8:9], v3, v6 src0_sel:BYTE_0 src1_sel:DWORD
	s_andn2_b64 s[4:5], s[4:5], exec
	s_and_b64 s[8:9], s[8:9], exec
	s_or_b64 s[4:5], s[4:5], s[8:9]
	s_or_b64 exec, exec, s[6:7]
	s_and_saveexec_b64 s[6:7], s[4:5]
	s_cbranch_execnz .LBB9_1743
	s_branch .LBB9_1744
.LBB9_3793:
	s_movk_i32 s4, 0x80
	v_cmp_eq_u16_e32 vcc, s4, v3
	s_mov_b64 s[4:5], -1
                                        ; implicit-def: $sgpr10
	s_and_saveexec_b64 s[8:9], vcc
; %bb.3794:
	s_mov_b32 s10, 0x7f800001
	s_xor_b64 s[4:5], exec, -1
; %bb.3795:
	s_or_b64 exec, exec, s[8:9]
	s_and_b64 s[4:5], s[4:5], exec
                                        ; implicit-def: $vgpr3
	s_or_saveexec_b64 s[6:7], s[6:7]
	v_mov_b32_e32 v2, s10
	s_xor_b64 exec, exec, s[6:7]
	s_cbranch_execz .LBB9_1746
.LBB9_3796:
	v_cmp_ne_u16_e32 vcc, 0, v3
	s_andn2_b64 s[4:5], s[4:5], exec
	s_and_b64 s[8:9], vcc, exec
	v_mov_b32_e32 v2, 0
	s_or_b64 s[4:5], s[4:5], s[8:9]
	s_or_b64 exec, exec, s[6:7]
	s_and_saveexec_b64 s[6:7], s[4:5]
	s_cbranch_execnz .LBB9_1747
	s_branch .LBB9_1748
.LBB9_3797:
	s_movk_i32 s4, 0x80
	v_cmp_eq_u16_e32 vcc, s4, v3
	s_mov_b64 s[4:5], -1
                                        ; implicit-def: $sgpr10
	s_and_saveexec_b64 s[8:9], vcc
; %bb.3798:
	s_mov_b32 s10, 0x7f800001
	s_xor_b64 s[4:5], exec, -1
; %bb.3799:
	s_or_b64 exec, exec, s[8:9]
	s_and_b64 s[4:5], s[4:5], exec
                                        ; implicit-def: $vgpr3
	s_or_saveexec_b64 s[6:7], s[6:7]
	v_mov_b32_e32 v6, s10
	s_xor_b64 exec, exec, s[6:7]
	s_cbranch_execz .LBB9_1750
.LBB9_3800:
	v_cmp_ne_u16_e32 vcc, 0, v3
	s_andn2_b64 s[4:5], s[4:5], exec
	s_and_b64 s[8:9], vcc, exec
	v_mov_b32_e32 v6, 0
	s_or_b64 s[4:5], s[4:5], s[8:9]
	s_or_b64 exec, exec, s[6:7]
	s_and_saveexec_b64 s[6:7], s[4:5]
	s_cbranch_execnz .LBB9_1751
	s_branch .LBB9_1752
.LBB9_3801:
	s_movk_i32 s4, 0x80
	v_cmp_eq_u16_sdwa s[12:13], v8, s4 src0_sel:BYTE_3 src1_sel:DWORD
	s_mov_b64 s[4:5], -1
                                        ; implicit-def: $sgpr10
	s_and_saveexec_b64 s[8:9], s[12:13]
; %bb.3802:
	s_mov_b32 s10, 0x7f800001
	s_xor_b64 s[4:5], exec, -1
; %bb.3803:
	s_or_b64 exec, exec, s[8:9]
	s_and_b64 s[4:5], s[4:5], exec
	s_or_saveexec_b64 s[6:7], s[6:7]
	v_mov_b32_e32 v2, s10
	s_xor_b64 exec, exec, s[6:7]
	s_cbranch_execz .LBB9_1754
.LBB9_3804:
	v_mov_b32_e32 v2, 0
	v_cmp_ne_u16_sdwa s[8:9], v8, v2 src0_sel:BYTE_3 src1_sel:DWORD
	s_andn2_b64 s[4:5], s[4:5], exec
	s_and_b64 s[8:9], s[8:9], exec
	s_or_b64 s[4:5], s[4:5], s[8:9]
	s_or_b64 exec, exec, s[6:7]
	s_and_saveexec_b64 s[6:7], s[4:5]
	s_cbranch_execnz .LBB9_1755
	s_branch .LBB9_1756
.LBB9_3805:
	s_movk_i32 s4, 0x80
	v_cmp_eq_u16_sdwa s[12:13], v4, s4 src0_sel:BYTE_3 src1_sel:DWORD
	s_mov_b64 s[4:5], -1
                                        ; implicit-def: $sgpr10
	s_and_saveexec_b64 s[8:9], s[12:13]
; %bb.3806:
	s_mov_b32 s10, 0x7f800001
	s_xor_b64 s[4:5], exec, -1
; %bb.3807:
	s_or_b64 exec, exec, s[8:9]
	s_and_b64 s[4:5], s[4:5], exec
	s_or_saveexec_b64 s[6:7], s[6:7]
	v_mov_b32_e32 v3, s10
	s_xor_b64 exec, exec, s[6:7]
	s_cbranch_execz .LBB9_1758
.LBB9_3808:
	v_mov_b32_e32 v3, 0
	v_cmp_ne_u16_sdwa s[8:9], v4, v3 src0_sel:BYTE_3 src1_sel:DWORD
	s_andn2_b64 s[4:5], s[4:5], exec
	s_and_b64 s[8:9], s[8:9], exec
	s_or_b64 s[4:5], s[4:5], s[8:9]
	s_or_b64 exec, exec, s[6:7]
	s_and_saveexec_b64 s[6:7], s[4:5]
	s_cbranch_execnz .LBB9_1759
	s_branch .LBB9_1760
.LBB9_3809:
	s_movk_i32 s4, 0x80
	v_cmp_eq_u16_sdwa s[12:13], v9, s4 src0_sel:BYTE_0 src1_sel:DWORD
	s_mov_b64 s[4:5], -1
                                        ; implicit-def: $sgpr10
	s_and_saveexec_b64 s[8:9], s[12:13]
; %bb.3810:
	s_mov_b32 s10, 0x7f800001
	s_xor_b64 s[4:5], exec, -1
; %bb.3811:
	s_or_b64 exec, exec, s[8:9]
	s_and_b64 s[4:5], s[4:5], exec
	s_or_saveexec_b64 s[6:7], s[6:7]
	v_mov_b32_e32 v2, s10
	s_xor_b64 exec, exec, s[6:7]
	s_cbranch_execz .LBB9_1762
.LBB9_3812:
	v_mov_b32_e32 v2, 0
	v_cmp_ne_u16_sdwa s[8:9], v9, v2 src0_sel:BYTE_0 src1_sel:DWORD
	s_andn2_b64 s[4:5], s[4:5], exec
	s_and_b64 s[8:9], s[8:9], exec
	s_or_b64 s[4:5], s[4:5], s[8:9]
	s_or_b64 exec, exec, s[6:7]
	s_and_saveexec_b64 s[6:7], s[4:5]
	s_cbranch_execnz .LBB9_1763
	s_branch .LBB9_1764
.LBB9_3813:
	s_movk_i32 s4, 0x80
	v_cmp_eq_u16_sdwa s[12:13], v5, s4 src0_sel:BYTE_0 src1_sel:DWORD
	s_mov_b64 s[4:5], -1
                                        ; implicit-def: $sgpr10
	s_and_saveexec_b64 s[8:9], s[12:13]
; %bb.3814:
	s_mov_b32 s10, 0x7f800001
	s_xor_b64 s[4:5], exec, -1
; %bb.3815:
	s_or_b64 exec, exec, s[8:9]
	s_and_b64 s[4:5], s[4:5], exec
	s_or_saveexec_b64 s[6:7], s[6:7]
	v_mov_b32_e32 v3, s10
	s_xor_b64 exec, exec, s[6:7]
	s_cbranch_execz .LBB9_1766
.LBB9_3816:
	v_mov_b32_e32 v3, 0
	v_cmp_ne_u16_sdwa s[8:9], v5, v3 src0_sel:BYTE_0 src1_sel:DWORD
	s_andn2_b64 s[4:5], s[4:5], exec
	s_and_b64 s[8:9], s[8:9], exec
	s_or_b64 s[4:5], s[4:5], s[8:9]
	s_or_b64 exec, exec, s[6:7]
	s_and_saveexec_b64 s[6:7], s[4:5]
	s_cbranch_execnz .LBB9_1767
	s_branch .LBB9_1768
.LBB9_3817:
	s_movk_i32 s4, 0x80
	v_cmp_eq_u16_sdwa s[12:13], v3, s4 src0_sel:BYTE_0 src1_sel:DWORD
	s_mov_b64 s[4:5], -1
                                        ; implicit-def: $sgpr10
	s_and_saveexec_b64 s[8:9], s[12:13]
; %bb.3818:
	s_mov_b32 s10, 0x7f800001
	s_xor_b64 s[4:5], exec, -1
; %bb.3819:
	s_or_b64 exec, exec, s[8:9]
	s_and_b64 s[4:5], s[4:5], exec
	s_or_saveexec_b64 s[6:7], s[6:7]
	v_mov_b32_e32 v2, s10
	s_xor_b64 exec, exec, s[6:7]
	s_cbranch_execz .LBB9_1770
.LBB9_3820:
	v_mov_b32_e32 v2, 0
	v_cmp_ne_u16_sdwa s[8:9], v3, v2 src0_sel:BYTE_0 src1_sel:DWORD
	s_andn2_b64 s[4:5], s[4:5], exec
	s_and_b64 s[8:9], s[8:9], exec
	s_or_b64 s[4:5], s[4:5], s[8:9]
	s_or_b64 exec, exec, s[6:7]
	s_and_saveexec_b64 s[6:7], s[4:5]
	s_cbranch_execnz .LBB9_1771
	s_branch .LBB9_1772
.LBB9_3821:
	s_movk_i32 s4, 0x80
	v_cmp_eq_u16_sdwa s[12:13], v3, s4 src0_sel:BYTE_0 src1_sel:DWORD
	s_mov_b64 s[4:5], -1
                                        ; implicit-def: $sgpr10
	s_and_saveexec_b64 s[8:9], s[12:13]
; %bb.3822:
	s_mov_b32 s10, 0x7f800001
	s_xor_b64 s[4:5], exec, -1
; %bb.3823:
	s_or_b64 exec, exec, s[8:9]
	s_and_b64 s[4:5], s[4:5], exec
	s_or_saveexec_b64 s[6:7], s[6:7]
	v_mov_b32_e32 v4, s10
	s_xor_b64 exec, exec, s[6:7]
	s_cbranch_execz .LBB9_1774
.LBB9_3824:
	v_mov_b32_e32 v4, 0
	v_cmp_ne_u16_sdwa s[8:9], v3, v4 src0_sel:BYTE_0 src1_sel:DWORD
	s_andn2_b64 s[4:5], s[4:5], exec
	s_and_b64 s[8:9], s[8:9], exec
	s_or_b64 s[4:5], s[4:5], s[8:9]
	s_or_b64 exec, exec, s[6:7]
	s_and_saveexec_b64 s[6:7], s[4:5]
	s_cbranch_execnz .LBB9_1775
	s_branch .LBB9_1776
.LBB9_3825:
	s_movk_i32 s4, 0x80
	v_cmp_eq_u16_e32 vcc, s4, v3
	s_mov_b64 s[4:5], -1
                                        ; implicit-def: $sgpr10
	s_and_saveexec_b64 s[8:9], vcc
; %bb.3826:
	s_mov_b32 s10, 0x7f800001
	s_xor_b64 s[4:5], exec, -1
; %bb.3827:
	s_or_b64 exec, exec, s[8:9]
	s_and_b64 s[4:5], s[4:5], exec
                                        ; implicit-def: $vgpr3
	s_or_saveexec_b64 s[6:7], s[6:7]
	v_mov_b32_e32 v2, s10
	s_xor_b64 exec, exec, s[6:7]
	s_cbranch_execz .LBB9_1778
.LBB9_3828:
	v_cmp_ne_u16_e32 vcc, 0, v3
	s_andn2_b64 s[4:5], s[4:5], exec
	s_and_b64 s[8:9], vcc, exec
	v_mov_b32_e32 v2, 0
	s_or_b64 s[4:5], s[4:5], s[8:9]
	s_or_b64 exec, exec, s[6:7]
	s_and_saveexec_b64 s[6:7], s[4:5]
	s_cbranch_execnz .LBB9_1779
	s_branch .LBB9_1780
.LBB9_3829:
	s_movk_i32 s4, 0x80
	v_cmp_eq_u16_e32 vcc, s4, v3
	s_mov_b64 s[4:5], -1
                                        ; implicit-def: $sgpr10
	s_and_saveexec_b64 s[8:9], vcc
; %bb.3830:
	s_mov_b32 s10, 0x7f800001
	s_xor_b64 s[4:5], exec, -1
; %bb.3831:
	s_or_b64 exec, exec, s[8:9]
	s_and_b64 s[4:5], s[4:5], exec
                                        ; implicit-def: $vgpr3
	s_or_saveexec_b64 s[6:7], s[6:7]
	v_mov_b32_e32 v4, s10
	s_xor_b64 exec, exec, s[6:7]
	s_cbranch_execz .LBB9_1782
.LBB9_3832:
	v_cmp_ne_u16_e32 vcc, 0, v3
	s_andn2_b64 s[4:5], s[4:5], exec
	s_and_b64 s[8:9], vcc, exec
	v_mov_b32_e32 v4, 0
	s_or_b64 s[4:5], s[4:5], s[8:9]
	s_or_b64 exec, exec, s[6:7]
	s_and_saveexec_b64 s[6:7], s[4:5]
	s_cbranch_execnz .LBB9_1783
	s_branch .LBB9_1784
.LBB9_3833:
	s_movk_i32 s4, 0x80
	v_cmp_eq_u16_sdwa s[12:13], v9, s4 src0_sel:BYTE_3 src1_sel:DWORD
	s_mov_b64 s[4:5], -1
                                        ; implicit-def: $sgpr10
	s_and_saveexec_b64 s[8:9], s[12:13]
; %bb.3834:
	s_mov_b32 s10, 0x7f800001
	s_xor_b64 s[4:5], exec, -1
; %bb.3835:
	s_or_b64 exec, exec, s[8:9]
	s_and_b64 s[4:5], s[4:5], exec
	s_or_saveexec_b64 s[6:7], s[6:7]
	v_mov_b32_e32 v2, s10
	s_xor_b64 exec, exec, s[6:7]
	s_cbranch_execz .LBB9_1786
.LBB9_3836:
	v_mov_b32_e32 v2, 0
	v_cmp_ne_u16_sdwa s[8:9], v9, v2 src0_sel:BYTE_3 src1_sel:DWORD
	s_andn2_b64 s[4:5], s[4:5], exec
	s_and_b64 s[8:9], s[8:9], exec
	s_or_b64 s[4:5], s[4:5], s[8:9]
	s_or_b64 exec, exec, s[6:7]
	s_and_saveexec_b64 s[6:7], s[4:5]
	s_cbranch_execnz .LBB9_1787
	s_branch .LBB9_1788
.LBB9_3837:
	s_movk_i32 s4, 0x80
	v_cmp_eq_u16_sdwa s[12:13], v5, s4 src0_sel:BYTE_3 src1_sel:DWORD
	s_mov_b64 s[4:5], -1
                                        ; implicit-def: $sgpr10
	s_and_saveexec_b64 s[8:9], s[12:13]
; %bb.3838:
	s_mov_b32 s10, 0x7f800001
	s_xor_b64 s[4:5], exec, -1
; %bb.3839:
	s_or_b64 exec, exec, s[8:9]
	s_and_b64 s[4:5], s[4:5], exec
	s_or_saveexec_b64 s[6:7], s[6:7]
	v_mov_b32_e32 v3, s10
	s_xor_b64 exec, exec, s[6:7]
	s_cbranch_execz .LBB9_1790
.LBB9_3840:
	v_mov_b32_e32 v3, 0
	v_cmp_ne_u16_sdwa s[8:9], v5, v3 src0_sel:BYTE_3 src1_sel:DWORD
	s_andn2_b64 s[4:5], s[4:5], exec
	s_and_b64 s[8:9], s[8:9], exec
	s_or_b64 s[4:5], s[4:5], s[8:9]
	s_or_b64 exec, exec, s[6:7]
	s_and_saveexec_b64 s[6:7], s[4:5]
	s_cbranch_execnz .LBB9_1791
	s_branch .LBB9_1792
.LBB9_3841:
	s_movk_i32 s4, 0x80
	v_cmp_eq_u16_sdwa s[12:13], v12, s4 src0_sel:BYTE_0 src1_sel:DWORD
	s_mov_b64 s[4:5], -1
                                        ; implicit-def: $sgpr10
	s_and_saveexec_b64 s[8:9], s[12:13]
; %bb.3842:
	s_mov_b32 s10, 0x7f800001
	s_xor_b64 s[4:5], exec, -1
; %bb.3843:
	s_or_b64 exec, exec, s[8:9]
	s_and_b64 s[4:5], s[4:5], exec
	s_or_saveexec_b64 s[6:7], s[6:7]
	v_mov_b32_e32 v18, s10
	s_xor_b64 exec, exec, s[6:7]
	s_cbranch_execz .LBB9_1794
.LBB9_3844:
	v_mov_b32_e32 v18, 0
	v_cmp_ne_u16_sdwa s[8:9], v12, v18 src0_sel:BYTE_0 src1_sel:DWORD
	s_andn2_b64 s[4:5], s[4:5], exec
	s_and_b64 s[8:9], s[8:9], exec
	s_or_b64 s[4:5], s[4:5], s[8:9]
	s_or_b64 exec, exec, s[6:7]
	s_and_saveexec_b64 s[6:7], s[4:5]
	s_cbranch_execnz .LBB9_1795
	s_branch .LBB9_1796
.LBB9_3845:
	s_movk_i32 s4, 0x80
	v_cmp_eq_u16_sdwa s[12:13], v8, s4 src0_sel:BYTE_0 src1_sel:DWORD
	s_mov_b64 s[4:5], -1
                                        ; implicit-def: $sgpr10
	s_and_saveexec_b64 s[8:9], s[12:13]
; %bb.3846:
	s_mov_b32 s10, 0x7f800001
	s_xor_b64 s[4:5], exec, -1
; %bb.3847:
	s_or_b64 exec, exec, s[8:9]
	s_and_b64 s[4:5], s[4:5], exec
	s_or_saveexec_b64 s[6:7], s[6:7]
	v_mov_b32_e32 v19, s10
	s_xor_b64 exec, exec, s[6:7]
	s_cbranch_execz .LBB9_1798
.LBB9_3848:
	v_mov_b32_e32 v19, 0
	v_cmp_ne_u16_sdwa s[8:9], v8, v19 src0_sel:BYTE_0 src1_sel:DWORD
	s_andn2_b64 s[4:5], s[4:5], exec
	s_and_b64 s[8:9], s[8:9], exec
	s_or_b64 s[4:5], s[4:5], s[8:9]
	s_or_b64 exec, exec, s[6:7]
	s_and_saveexec_b64 s[6:7], s[4:5]
	s_cbranch_execnz .LBB9_1799
	s_branch .LBB9_1800
.LBB9_3849:
	s_movk_i32 s4, 0x80
	v_cmp_eq_u16_sdwa s[12:13], v19, s4 src0_sel:BYTE_0 src1_sel:DWORD
	s_mov_b64 s[4:5], -1
                                        ; implicit-def: $sgpr10
	s_and_saveexec_b64 s[8:9], s[12:13]
; %bb.3850:
	s_mov_b32 s10, 0x7f800001
	s_xor_b64 s[4:5], exec, -1
; %bb.3851:
	s_or_b64 exec, exec, s[8:9]
	s_and_b64 s[4:5], s[4:5], exec
	s_or_saveexec_b64 s[6:7], s[6:7]
	v_mov_b32_e32 v18, s10
	s_xor_b64 exec, exec, s[6:7]
	s_cbranch_execz .LBB9_1802
.LBB9_3852:
	v_mov_b32_e32 v18, 0
	v_cmp_ne_u16_sdwa s[8:9], v19, v18 src0_sel:BYTE_0 src1_sel:DWORD
	s_andn2_b64 s[4:5], s[4:5], exec
	s_and_b64 s[8:9], s[8:9], exec
	s_or_b64 s[4:5], s[4:5], s[8:9]
	s_or_b64 exec, exec, s[6:7]
	s_and_saveexec_b64 s[6:7], s[4:5]
	s_cbranch_execnz .LBB9_1803
	s_branch .LBB9_1804
.LBB9_3853:
	s_movk_i32 s4, 0x80
	v_cmp_eq_u16_sdwa s[12:13], v19, s4 src0_sel:BYTE_0 src1_sel:DWORD
	s_mov_b64 s[4:5], -1
                                        ; implicit-def: $sgpr10
	s_and_saveexec_b64 s[8:9], s[12:13]
; %bb.3854:
	s_mov_b32 s10, 0x7f800001
	s_xor_b64 s[4:5], exec, -1
; %bb.3855:
	s_or_b64 exec, exec, s[8:9]
	s_and_b64 s[4:5], s[4:5], exec
	s_or_saveexec_b64 s[6:7], s[6:7]
	v_mov_b32_e32 v20, s10
	s_xor_b64 exec, exec, s[6:7]
	s_cbranch_execz .LBB9_1806
.LBB9_3856:
	v_mov_b32_e32 v20, 0
	v_cmp_ne_u16_sdwa s[8:9], v19, v20 src0_sel:BYTE_0 src1_sel:DWORD
	s_andn2_b64 s[4:5], s[4:5], exec
	s_and_b64 s[8:9], s[8:9], exec
	s_or_b64 s[4:5], s[4:5], s[8:9]
	s_or_b64 exec, exec, s[6:7]
	s_and_saveexec_b64 s[6:7], s[4:5]
	s_cbranch_execnz .LBB9_1807
	s_branch .LBB9_1808
.LBB9_3857:
	s_movk_i32 s4, 0x80
	v_cmp_eq_u16_e32 vcc, s4, v19
	s_mov_b64 s[4:5], -1
                                        ; implicit-def: $sgpr10
	s_and_saveexec_b64 s[8:9], vcc
; %bb.3858:
	s_mov_b32 s10, 0x7f800001
	s_xor_b64 s[4:5], exec, -1
; %bb.3859:
	s_or_b64 exec, exec, s[8:9]
	s_and_b64 s[4:5], s[4:5], exec
                                        ; implicit-def: $vgpr19
	s_or_saveexec_b64 s[6:7], s[6:7]
	v_mov_b32_e32 v18, s10
	s_xor_b64 exec, exec, s[6:7]
	s_cbranch_execz .LBB9_1810
.LBB9_3860:
	v_cmp_ne_u16_e32 vcc, 0, v19
	s_andn2_b64 s[4:5], s[4:5], exec
	s_and_b64 s[8:9], vcc, exec
	v_mov_b32_e32 v18, 0
	s_or_b64 s[4:5], s[4:5], s[8:9]
	s_or_b64 exec, exec, s[6:7]
	s_and_saveexec_b64 s[6:7], s[4:5]
	s_cbranch_execnz .LBB9_1811
	s_branch .LBB9_1812
.LBB9_3861:
	s_movk_i32 s4, 0x80
	v_cmp_eq_u16_e32 vcc, s4, v19
	s_mov_b64 s[4:5], -1
                                        ; implicit-def: $sgpr10
	s_and_saveexec_b64 s[8:9], vcc
; %bb.3862:
	s_mov_b32 s10, 0x7f800001
	s_xor_b64 s[4:5], exec, -1
; %bb.3863:
	s_or_b64 exec, exec, s[8:9]
	s_and_b64 s[4:5], s[4:5], exec
                                        ; implicit-def: $vgpr19
	s_or_saveexec_b64 s[6:7], s[6:7]
	v_mov_b32_e32 v20, s10
	s_xor_b64 exec, exec, s[6:7]
	s_cbranch_execz .LBB9_1814
.LBB9_3864:
	v_cmp_ne_u16_e32 vcc, 0, v19
	s_andn2_b64 s[4:5], s[4:5], exec
	s_and_b64 s[8:9], vcc, exec
	v_mov_b32_e32 v20, 0
	s_or_b64 s[4:5], s[4:5], s[8:9]
	s_or_b64 exec, exec, s[6:7]
	s_and_saveexec_b64 s[6:7], s[4:5]
	s_cbranch_execnz .LBB9_1815
	s_branch .LBB9_1816
.LBB9_3865:
	s_movk_i32 s4, 0x80
	v_cmp_eq_u16_sdwa s[12:13], v12, s4 src0_sel:BYTE_3 src1_sel:DWORD
	s_mov_b64 s[4:5], -1
                                        ; implicit-def: $sgpr10
	s_and_saveexec_b64 s[8:9], s[12:13]
; %bb.3866:
	s_mov_b32 s10, 0x7f800001
	s_xor_b64 s[4:5], exec, -1
; %bb.3867:
	s_or_b64 exec, exec, s[8:9]
	s_and_b64 s[4:5], s[4:5], exec
	s_or_saveexec_b64 s[6:7], s[6:7]
	v_mov_b32_e32 v18, s10
	s_xor_b64 exec, exec, s[6:7]
	s_cbranch_execz .LBB9_1818
.LBB9_3868:
	v_mov_b32_e32 v18, 0
	v_cmp_ne_u16_sdwa s[8:9], v12, v18 src0_sel:BYTE_3 src1_sel:DWORD
	s_andn2_b64 s[4:5], s[4:5], exec
	s_and_b64 s[8:9], s[8:9], exec
	s_or_b64 s[4:5], s[4:5], s[8:9]
	s_or_b64 exec, exec, s[6:7]
	s_and_saveexec_b64 s[6:7], s[4:5]
	s_cbranch_execnz .LBB9_1819
	s_branch .LBB9_1820
.LBB9_3869:
	s_movk_i32 s4, 0x80
	v_cmp_eq_u16_sdwa s[12:13], v8, s4 src0_sel:BYTE_3 src1_sel:DWORD
	s_mov_b64 s[4:5], -1
                                        ; implicit-def: $sgpr10
	s_and_saveexec_b64 s[8:9], s[12:13]
; %bb.3870:
	s_mov_b32 s10, 0x7f800001
	s_xor_b64 s[4:5], exec, -1
; %bb.3871:
	s_or_b64 exec, exec, s[8:9]
	s_and_b64 s[4:5], s[4:5], exec
	s_or_saveexec_b64 s[6:7], s[6:7]
	v_mov_b32_e32 v12, s10
	s_xor_b64 exec, exec, s[6:7]
	s_cbranch_execz .LBB9_1822
.LBB9_3872:
	v_mov_b32_e32 v12, 0
	v_cmp_ne_u16_sdwa s[8:9], v8, v12 src0_sel:BYTE_3 src1_sel:DWORD
	s_andn2_b64 s[4:5], s[4:5], exec
	s_and_b64 s[8:9], s[8:9], exec
	s_or_b64 s[4:5], s[4:5], s[8:9]
	s_or_b64 exec, exec, s[6:7]
	s_and_saveexec_b64 s[6:7], s[4:5]
	s_cbranch_execnz .LBB9_1823
	s_branch .LBB9_1824
.LBB9_3873:
	s_movk_i32 s4, 0x80
	v_cmp_eq_u16_sdwa s[12:13], v13, s4 src0_sel:BYTE_0 src1_sel:DWORD
	s_mov_b64 s[4:5], -1
                                        ; implicit-def: $sgpr10
	s_and_saveexec_b64 s[8:9], s[12:13]
; %bb.3874:
	s_mov_b32 s10, 0x7f800001
	s_xor_b64 s[4:5], exec, -1
; %bb.3875:
	s_or_b64 exec, exec, s[8:9]
	s_and_b64 s[4:5], s[4:5], exec
	s_or_saveexec_b64 s[6:7], s[6:7]
	v_mov_b32_e32 v8, s10
	s_xor_b64 exec, exec, s[6:7]
	s_cbranch_execz .LBB9_1826
.LBB9_3876:
	v_mov_b32_e32 v8, 0
	v_cmp_ne_u16_sdwa s[8:9], v13, v8 src0_sel:BYTE_0 src1_sel:DWORD
	s_andn2_b64 s[4:5], s[4:5], exec
	s_and_b64 s[8:9], s[8:9], exec
	s_or_b64 s[4:5], s[4:5], s[8:9]
	s_or_b64 exec, exec, s[6:7]
	s_and_saveexec_b64 s[6:7], s[4:5]
	s_cbranch_execnz .LBB9_1827
	s_branch .LBB9_1828
.LBB9_3877:
	s_movk_i32 s4, 0x80
	v_cmp_eq_u16_sdwa s[12:13], v9, s4 src0_sel:BYTE_0 src1_sel:DWORD
	s_mov_b64 s[4:5], -1
                                        ; implicit-def: $sgpr10
	s_and_saveexec_b64 s[8:9], s[12:13]
; %bb.3878:
	s_mov_b32 s10, 0x7f800001
	s_xor_b64 s[4:5], exec, -1
; %bb.3879:
	s_or_b64 exec, exec, s[8:9]
	s_and_b64 s[4:5], s[4:5], exec
	s_or_saveexec_b64 s[6:7], s[6:7]
	v_mov_b32_e32 v12, s10
	s_xor_b64 exec, exec, s[6:7]
	s_cbranch_execz .LBB9_1830
.LBB9_3880:
	v_mov_b32_e32 v12, 0
	v_cmp_ne_u16_sdwa s[8:9], v9, v12 src0_sel:BYTE_0 src1_sel:DWORD
	s_andn2_b64 s[4:5], s[4:5], exec
	s_and_b64 s[8:9], s[8:9], exec
	s_or_b64 s[4:5], s[4:5], s[8:9]
	s_or_b64 exec, exec, s[6:7]
	s_and_saveexec_b64 s[6:7], s[4:5]
	s_cbranch_execnz .LBB9_1831
	s_branch .LBB9_1832
.LBB9_3881:
	s_movk_i32 s4, 0x80
	v_cmp_eq_u16_sdwa s[12:13], v12, s4 src0_sel:BYTE_0 src1_sel:DWORD
	s_mov_b64 s[4:5], -1
                                        ; implicit-def: $sgpr10
	s_and_saveexec_b64 s[8:9], s[12:13]
; %bb.3882:
	s_mov_b32 s10, 0x7f800001
	s_xor_b64 s[4:5], exec, -1
; %bb.3883:
	s_or_b64 exec, exec, s[8:9]
	s_and_b64 s[4:5], s[4:5], exec
	s_or_saveexec_b64 s[6:7], s[6:7]
	v_mov_b32_e32 v8, s10
	s_xor_b64 exec, exec, s[6:7]
	s_cbranch_execz .LBB9_1834
.LBB9_3884:
	v_mov_b32_e32 v8, 0
	v_cmp_ne_u16_sdwa s[8:9], v12, v8 src0_sel:BYTE_0 src1_sel:DWORD
	s_andn2_b64 s[4:5], s[4:5], exec
	s_and_b64 s[8:9], s[8:9], exec
	s_or_b64 s[4:5], s[4:5], s[8:9]
	s_or_b64 exec, exec, s[6:7]
	s_and_saveexec_b64 s[6:7], s[4:5]
	s_cbranch_execnz .LBB9_1835
	s_branch .LBB9_1836
.LBB9_3885:
	s_movk_i32 s4, 0x80
	v_cmp_eq_u16_sdwa s[12:13], v12, s4 src0_sel:BYTE_0 src1_sel:DWORD
	s_mov_b64 s[4:5], -1
                                        ; implicit-def: $sgpr10
	s_and_saveexec_b64 s[8:9], s[12:13]
; %bb.3886:
	s_mov_b32 s10, 0x7f800001
	s_xor_b64 s[4:5], exec, -1
; %bb.3887:
	s_or_b64 exec, exec, s[8:9]
	s_and_b64 s[4:5], s[4:5], exec
	s_or_saveexec_b64 s[6:7], s[6:7]
	v_mov_b32_e32 v18, s10
	s_xor_b64 exec, exec, s[6:7]
	s_cbranch_execz .LBB9_1838
.LBB9_3888:
	v_mov_b32_e32 v18, 0
	v_cmp_ne_u16_sdwa s[8:9], v12, v18 src0_sel:BYTE_0 src1_sel:DWORD
	s_andn2_b64 s[4:5], s[4:5], exec
	s_and_b64 s[8:9], s[8:9], exec
	s_or_b64 s[4:5], s[4:5], s[8:9]
	s_or_b64 exec, exec, s[6:7]
	s_and_saveexec_b64 s[6:7], s[4:5]
	s_cbranch_execnz .LBB9_1839
	s_branch .LBB9_1840
.LBB9_3889:
	s_movk_i32 s4, 0x80
	v_cmp_eq_u16_e32 vcc, s4, v12
	s_mov_b64 s[4:5], -1
                                        ; implicit-def: $sgpr10
	s_and_saveexec_b64 s[8:9], vcc
; %bb.3890:
	s_mov_b32 s10, 0x7f800001
	s_xor_b64 s[4:5], exec, -1
; %bb.3891:
	s_or_b64 exec, exec, s[8:9]
	s_and_b64 s[4:5], s[4:5], exec
                                        ; implicit-def: $vgpr12
	s_or_saveexec_b64 s[6:7], s[6:7]
	v_mov_b32_e32 v8, s10
	s_xor_b64 exec, exec, s[6:7]
	s_cbranch_execz .LBB9_1842
.LBB9_3892:
	v_cmp_ne_u16_e32 vcc, 0, v12
	s_andn2_b64 s[4:5], s[4:5], exec
	s_and_b64 s[8:9], vcc, exec
	v_mov_b32_e32 v8, 0
	s_or_b64 s[4:5], s[4:5], s[8:9]
	s_or_b64 exec, exec, s[6:7]
	s_and_saveexec_b64 s[6:7], s[4:5]
	s_cbranch_execnz .LBB9_1843
	s_branch .LBB9_1844
.LBB9_3893:
	s_movk_i32 s4, 0x80
	v_cmp_eq_u16_e32 vcc, s4, v12
	s_mov_b64 s[4:5], -1
                                        ; implicit-def: $sgpr10
	s_and_saveexec_b64 s[8:9], vcc
; %bb.3894:
	s_mov_b32 s10, 0x7f800001
	s_xor_b64 s[4:5], exec, -1
; %bb.3895:
	s_or_b64 exec, exec, s[8:9]
	s_and_b64 s[4:5], s[4:5], exec
                                        ; implicit-def: $vgpr12
	s_or_saveexec_b64 s[6:7], s[6:7]
	v_mov_b32_e32 v18, s10
	s_xor_b64 exec, exec, s[6:7]
	s_cbranch_execz .LBB9_1846
.LBB9_3896:
	v_cmp_ne_u16_e32 vcc, 0, v12
	s_andn2_b64 s[4:5], s[4:5], exec
	s_and_b64 s[8:9], vcc, exec
	v_mov_b32_e32 v18, 0
	s_or_b64 s[4:5], s[4:5], s[8:9]
	s_or_b64 exec, exec, s[6:7]
	s_and_saveexec_b64 s[6:7], s[4:5]
	s_cbranch_execnz .LBB9_1847
	s_branch .LBB9_1848
.LBB9_3897:
	s_movk_i32 s4, 0x80
	v_cmp_eq_u16_sdwa s[12:13], v13, s4 src0_sel:BYTE_3 src1_sel:DWORD
	s_mov_b64 s[4:5], -1
                                        ; implicit-def: $sgpr10
	s_and_saveexec_b64 s[8:9], s[12:13]
; %bb.3898:
	s_mov_b32 s10, 0x7f800001
	s_xor_b64 s[4:5], exec, -1
; %bb.3899:
	s_or_b64 exec, exec, s[8:9]
	s_and_b64 s[4:5], s[4:5], exec
	s_or_saveexec_b64 s[6:7], s[6:7]
	v_mov_b32_e32 v8, s10
	s_xor_b64 exec, exec, s[6:7]
	s_cbranch_execz .LBB9_1850
.LBB9_3900:
	v_mov_b32_e32 v8, 0
	v_cmp_ne_u16_sdwa s[8:9], v13, v8 src0_sel:BYTE_3 src1_sel:DWORD
	s_andn2_b64 s[4:5], s[4:5], exec
	s_and_b64 s[8:9], s[8:9], exec
	s_or_b64 s[4:5], s[4:5], s[8:9]
	s_or_b64 exec, exec, s[6:7]
	s_and_saveexec_b64 s[6:7], s[4:5]
	s_cbranch_execnz .LBB9_1851
	s_branch .LBB9_1852
.LBB9_3901:
	s_movk_i32 s4, 0x80
	v_cmp_eq_u16_sdwa s[12:13], v9, s4 src0_sel:BYTE_3 src1_sel:DWORD
	s_mov_b64 s[4:5], -1
                                        ; implicit-def: $sgpr10
	s_and_saveexec_b64 s[8:9], s[12:13]
; %bb.3902:
	s_mov_b32 s10, 0x7f800001
	s_xor_b64 s[4:5], exec, -1
; %bb.3903:
	s_or_b64 exec, exec, s[8:9]
	s_and_b64 s[4:5], s[4:5], exec
	s_or_saveexec_b64 s[6:7], s[6:7]
	v_mov_b32_e32 v12, s10
	s_xor_b64 exec, exec, s[6:7]
	s_cbranch_execz .LBB9_1854
.LBB9_3904:
	v_mov_b32_e32 v12, 0
	v_cmp_ne_u16_sdwa s[8:9], v9, v12 src0_sel:BYTE_3 src1_sel:DWORD
	s_andn2_b64 s[4:5], s[4:5], exec
	s_and_b64 s[8:9], s[8:9], exec
	s_or_b64 s[4:5], s[4:5], s[8:9]
	s_or_b64 exec, exec, s[6:7]
	s_and_saveexec_b64 s[6:7], s[4:5]
	s_cbranch_execnz .LBB9_1855
	s_branch .LBB9_1856
.LBB9_3905:
	s_movk_i32 s4, 0x80
	v_cmp_eq_u16_sdwa s[12:13], v14, s4 src0_sel:BYTE_0 src1_sel:DWORD
	s_mov_b64 s[4:5], -1
                                        ; implicit-def: $sgpr10
	s_and_saveexec_b64 s[8:9], s[12:13]
; %bb.3906:
	s_mov_b32 s10, 0x7f800001
	s_xor_b64 s[4:5], exec, -1
; %bb.3907:
	s_or_b64 exec, exec, s[8:9]
	s_and_b64 s[4:5], s[4:5], exec
	s_or_saveexec_b64 s[6:7], s[6:7]
	v_mov_b32_e32 v8, s10
	s_xor_b64 exec, exec, s[6:7]
	s_cbranch_execz .LBB9_1858
.LBB9_3908:
	v_mov_b32_e32 v8, 0
	v_cmp_ne_u16_sdwa s[8:9], v14, v8 src0_sel:BYTE_0 src1_sel:DWORD
	s_andn2_b64 s[4:5], s[4:5], exec
	s_and_b64 s[8:9], s[8:9], exec
	s_or_b64 s[4:5], s[4:5], s[8:9]
	s_or_b64 exec, exec, s[6:7]
	s_and_saveexec_b64 s[6:7], s[4:5]
	s_cbranch_execnz .LBB9_1859
	s_branch .LBB9_1860
.LBB9_3909:
	s_movk_i32 s4, 0x80
	v_cmp_eq_u16_sdwa s[12:13], v10, s4 src0_sel:BYTE_0 src1_sel:DWORD
	s_mov_b64 s[4:5], -1
                                        ; implicit-def: $sgpr10
	s_and_saveexec_b64 s[8:9], s[12:13]
; %bb.3910:
	s_mov_b32 s10, 0x7f800001
	s_xor_b64 s[4:5], exec, -1
; %bb.3911:
	s_or_b64 exec, exec, s[8:9]
	s_and_b64 s[4:5], s[4:5], exec
	s_or_saveexec_b64 s[6:7], s[6:7]
	v_mov_b32_e32 v9, s10
	s_xor_b64 exec, exec, s[6:7]
	s_cbranch_execz .LBB9_1862
.LBB9_3912:
	v_mov_b32_e32 v9, 0
	v_cmp_ne_u16_sdwa s[8:9], v10, v9 src0_sel:BYTE_0 src1_sel:DWORD
	s_andn2_b64 s[4:5], s[4:5], exec
	s_and_b64 s[8:9], s[8:9], exec
	s_or_b64 s[4:5], s[4:5], s[8:9]
	s_or_b64 exec, exec, s[6:7]
	s_and_saveexec_b64 s[6:7], s[4:5]
	s_cbranch_execnz .LBB9_1863
	s_branch .LBB9_1864
.LBB9_3913:
	s_movk_i32 s4, 0x80
	v_cmp_eq_u16_sdwa s[12:13], v9, s4 src0_sel:BYTE_0 src1_sel:DWORD
	s_mov_b64 s[4:5], -1
                                        ; implicit-def: $sgpr10
	s_and_saveexec_b64 s[8:9], s[12:13]
; %bb.3914:
	s_mov_b32 s10, 0x7f800001
	s_xor_b64 s[4:5], exec, -1
; %bb.3915:
	s_or_b64 exec, exec, s[8:9]
	s_and_b64 s[4:5], s[4:5], exec
	s_or_saveexec_b64 s[6:7], s[6:7]
	v_mov_b32_e32 v8, s10
	s_xor_b64 exec, exec, s[6:7]
	s_cbranch_execz .LBB9_1866
.LBB9_3916:
	v_mov_b32_e32 v8, 0
	v_cmp_ne_u16_sdwa s[8:9], v9, v8 src0_sel:BYTE_0 src1_sel:DWORD
	s_andn2_b64 s[4:5], s[4:5], exec
	s_and_b64 s[8:9], s[8:9], exec
	s_or_b64 s[4:5], s[4:5], s[8:9]
	s_or_b64 exec, exec, s[6:7]
	s_and_saveexec_b64 s[6:7], s[4:5]
	s_cbranch_execnz .LBB9_1867
	s_branch .LBB9_1868
.LBB9_3917:
	s_movk_i32 s4, 0x80
	v_cmp_eq_u16_sdwa s[12:13], v9, s4 src0_sel:BYTE_0 src1_sel:DWORD
	s_mov_b64 s[4:5], -1
                                        ; implicit-def: $sgpr10
	s_and_saveexec_b64 s[8:9], s[12:13]
; %bb.3918:
	s_mov_b32 s10, 0x7f800001
	s_xor_b64 s[4:5], exec, -1
; %bb.3919:
	s_or_b64 exec, exec, s[8:9]
	s_and_b64 s[4:5], s[4:5], exec
	s_or_saveexec_b64 s[6:7], s[6:7]
	v_mov_b32_e32 v12, s10
	s_xor_b64 exec, exec, s[6:7]
	s_cbranch_execz .LBB9_1870
.LBB9_3920:
	v_mov_b32_e32 v12, 0
	v_cmp_ne_u16_sdwa s[8:9], v9, v12 src0_sel:BYTE_0 src1_sel:DWORD
	s_andn2_b64 s[4:5], s[4:5], exec
	s_and_b64 s[8:9], s[8:9], exec
	s_or_b64 s[4:5], s[4:5], s[8:9]
	s_or_b64 exec, exec, s[6:7]
	s_and_saveexec_b64 s[6:7], s[4:5]
	s_cbranch_execnz .LBB9_1871
	s_branch .LBB9_1872
.LBB9_3921:
	s_movk_i32 s4, 0x80
	v_cmp_eq_u16_e32 vcc, s4, v9
	s_mov_b64 s[4:5], -1
                                        ; implicit-def: $sgpr10
	s_and_saveexec_b64 s[8:9], vcc
; %bb.3922:
	s_mov_b32 s10, 0x7f800001
	s_xor_b64 s[4:5], exec, -1
; %bb.3923:
	s_or_b64 exec, exec, s[8:9]
	s_and_b64 s[4:5], s[4:5], exec
                                        ; implicit-def: $vgpr9
	s_or_saveexec_b64 s[6:7], s[6:7]
	v_mov_b32_e32 v8, s10
	s_xor_b64 exec, exec, s[6:7]
	s_cbranch_execz .LBB9_1874
.LBB9_3924:
	v_cmp_ne_u16_e32 vcc, 0, v9
	s_andn2_b64 s[4:5], s[4:5], exec
	s_and_b64 s[8:9], vcc, exec
	v_mov_b32_e32 v8, 0
	s_or_b64 s[4:5], s[4:5], s[8:9]
	s_or_b64 exec, exec, s[6:7]
	s_and_saveexec_b64 s[6:7], s[4:5]
	s_cbranch_execnz .LBB9_1875
	s_branch .LBB9_1876
.LBB9_3925:
	s_movk_i32 s4, 0x80
	v_cmp_eq_u16_e32 vcc, s4, v9
	s_mov_b64 s[4:5], -1
                                        ; implicit-def: $sgpr10
	s_and_saveexec_b64 s[8:9], vcc
; %bb.3926:
	s_mov_b32 s10, 0x7f800001
	s_xor_b64 s[4:5], exec, -1
; %bb.3927:
	s_or_b64 exec, exec, s[8:9]
	s_and_b64 s[4:5], s[4:5], exec
                                        ; implicit-def: $vgpr9
	s_or_saveexec_b64 s[6:7], s[6:7]
	v_mov_b32_e32 v12, s10
	s_xor_b64 exec, exec, s[6:7]
	s_cbranch_execz .LBB9_1878
.LBB9_3928:
	v_cmp_ne_u16_e32 vcc, 0, v9
	s_andn2_b64 s[4:5], s[4:5], exec
	s_and_b64 s[8:9], vcc, exec
	v_mov_b32_e32 v12, 0
	s_or_b64 s[4:5], s[4:5], s[8:9]
	s_or_b64 exec, exec, s[6:7]
	s_and_saveexec_b64 s[6:7], s[4:5]
	s_cbranch_execnz .LBB9_1879
	s_branch .LBB9_1880
.LBB9_3929:
	s_movk_i32 s4, 0x80
	v_cmp_eq_u16_sdwa s[12:13], v14, s4 src0_sel:BYTE_3 src1_sel:DWORD
	s_mov_b64 s[4:5], -1
                                        ; implicit-def: $sgpr10
	s_and_saveexec_b64 s[8:9], s[12:13]
; %bb.3930:
	s_mov_b32 s10, 0x7f800001
	s_xor_b64 s[4:5], exec, -1
; %bb.3931:
	s_or_b64 exec, exec, s[8:9]
	s_and_b64 s[4:5], s[4:5], exec
	s_or_saveexec_b64 s[6:7], s[6:7]
	v_mov_b32_e32 v8, s10
	s_xor_b64 exec, exec, s[6:7]
	s_cbranch_execz .LBB9_1882
.LBB9_3932:
	v_mov_b32_e32 v8, 0
	v_cmp_ne_u16_sdwa s[8:9], v14, v8 src0_sel:BYTE_3 src1_sel:DWORD
	s_andn2_b64 s[4:5], s[4:5], exec
	s_and_b64 s[8:9], s[8:9], exec
	s_or_b64 s[4:5], s[4:5], s[8:9]
	s_or_b64 exec, exec, s[6:7]
	s_and_saveexec_b64 s[6:7], s[4:5]
	s_cbranch_execnz .LBB9_1883
	s_branch .LBB9_1884
.LBB9_3933:
	s_movk_i32 s4, 0x80
	v_cmp_eq_u16_sdwa s[12:13], v10, s4 src0_sel:BYTE_3 src1_sel:DWORD
	s_mov_b64 s[4:5], -1
                                        ; implicit-def: $sgpr10
	s_and_saveexec_b64 s[8:9], s[12:13]
; %bb.3934:
	s_mov_b32 s10, 0x7f800001
	s_xor_b64 s[4:5], exec, -1
; %bb.3935:
	s_or_b64 exec, exec, s[8:9]
	s_and_b64 s[4:5], s[4:5], exec
	s_or_saveexec_b64 s[6:7], s[6:7]
	v_mov_b32_e32 v9, s10
	s_xor_b64 exec, exec, s[6:7]
	s_cbranch_execz .LBB9_1886
.LBB9_3936:
	v_mov_b32_e32 v9, 0
	v_cmp_ne_u16_sdwa s[8:9], v10, v9 src0_sel:BYTE_3 src1_sel:DWORD
	s_andn2_b64 s[4:5], s[4:5], exec
	s_and_b64 s[8:9], s[8:9], exec
	s_or_b64 s[4:5], s[4:5], s[8:9]
	s_or_b64 exec, exec, s[6:7]
	s_and_saveexec_b64 s[6:7], s[4:5]
	s_cbranch_execnz .LBB9_1887
	s_branch .LBB9_1888
.LBB9_3937:
	s_movk_i32 s4, 0x80
	v_cmp_eq_u16_sdwa s[12:13], v15, s4 src0_sel:BYTE_0 src1_sel:DWORD
	s_mov_b64 s[4:5], -1
                                        ; implicit-def: $sgpr10
	s_and_saveexec_b64 s[8:9], s[12:13]
; %bb.3938:
	s_mov_b32 s10, 0x7f800001
	s_xor_b64 s[4:5], exec, -1
; %bb.3939:
	s_or_b64 exec, exec, s[8:9]
	s_and_b64 s[4:5], s[4:5], exec
	s_or_saveexec_b64 s[6:7], s[6:7]
	v_mov_b32_e32 v8, s10
	s_xor_b64 exec, exec, s[6:7]
	s_cbranch_execz .LBB9_1890
.LBB9_3940:
	v_mov_b32_e32 v8, 0
	v_cmp_ne_u16_sdwa s[8:9], v15, v8 src0_sel:BYTE_0 src1_sel:DWORD
	s_andn2_b64 s[4:5], s[4:5], exec
	s_and_b64 s[8:9], s[8:9], exec
	s_or_b64 s[4:5], s[4:5], s[8:9]
	s_or_b64 exec, exec, s[6:7]
	s_and_saveexec_b64 s[6:7], s[4:5]
	s_cbranch_execnz .LBB9_1891
	s_branch .LBB9_1892
.LBB9_3941:
	s_movk_i32 s4, 0x80
	v_cmp_eq_u16_sdwa s[12:13], v11, s4 src0_sel:BYTE_0 src1_sel:DWORD
	s_mov_b64 s[4:5], -1
                                        ; implicit-def: $sgpr10
	s_and_saveexec_b64 s[8:9], s[12:13]
; %bb.3942:
	s_mov_b32 s10, 0x7f800001
	s_xor_b64 s[4:5], exec, -1
; %bb.3943:
	s_or_b64 exec, exec, s[8:9]
	s_and_b64 s[4:5], s[4:5], exec
	s_or_saveexec_b64 s[6:7], s[6:7]
	v_mov_b32_e32 v9, s10
	s_xor_b64 exec, exec, s[6:7]
	s_cbranch_execz .LBB9_1894
.LBB9_3944:
	v_mov_b32_e32 v9, 0
	v_cmp_ne_u16_sdwa s[8:9], v11, v9 src0_sel:BYTE_0 src1_sel:DWORD
	s_andn2_b64 s[4:5], s[4:5], exec
	s_and_b64 s[8:9], s[8:9], exec
	s_or_b64 s[4:5], s[4:5], s[8:9]
	s_or_b64 exec, exec, s[6:7]
	s_and_saveexec_b64 s[6:7], s[4:5]
	s_cbranch_execnz .LBB9_1895
	s_branch .LBB9_1896
.LBB9_3945:
	s_movk_i32 s4, 0x80
	v_cmp_eq_u16_sdwa s[12:13], v9, s4 src0_sel:BYTE_0 src1_sel:DWORD
	s_mov_b64 s[4:5], -1
                                        ; implicit-def: $sgpr10
	s_and_saveexec_b64 s[8:9], s[12:13]
; %bb.3946:
	s_mov_b32 s10, 0x7f800001
	s_xor_b64 s[4:5], exec, -1
; %bb.3947:
	s_or_b64 exec, exec, s[8:9]
	s_and_b64 s[4:5], s[4:5], exec
	s_or_saveexec_b64 s[6:7], s[6:7]
	v_mov_b32_e32 v8, s10
	s_xor_b64 exec, exec, s[6:7]
	s_cbranch_execz .LBB9_1898
.LBB9_3948:
	v_mov_b32_e32 v8, 0
	v_cmp_ne_u16_sdwa s[8:9], v9, v8 src0_sel:BYTE_0 src1_sel:DWORD
	s_andn2_b64 s[4:5], s[4:5], exec
	s_and_b64 s[8:9], s[8:9], exec
	s_or_b64 s[4:5], s[4:5], s[8:9]
	s_or_b64 exec, exec, s[6:7]
	s_and_saveexec_b64 s[6:7], s[4:5]
	s_cbranch_execnz .LBB9_1899
	s_branch .LBB9_1900
.LBB9_3949:
	s_movk_i32 s4, 0x80
	v_cmp_eq_u16_sdwa s[12:13], v9, s4 src0_sel:BYTE_0 src1_sel:DWORD
	s_mov_b64 s[4:5], -1
                                        ; implicit-def: $sgpr10
	s_and_saveexec_b64 s[8:9], s[12:13]
; %bb.3950:
	s_mov_b32 s10, 0x7f800001
	s_xor_b64 s[4:5], exec, -1
; %bb.3951:
	s_or_b64 exec, exec, s[8:9]
	s_and_b64 s[4:5], s[4:5], exec
	s_or_saveexec_b64 s[6:7], s[6:7]
	v_mov_b32_e32 v10, s10
	s_xor_b64 exec, exec, s[6:7]
	s_cbranch_execz .LBB9_1902
.LBB9_3952:
	v_mov_b32_e32 v10, 0
	v_cmp_ne_u16_sdwa s[8:9], v9, v10 src0_sel:BYTE_0 src1_sel:DWORD
	s_andn2_b64 s[4:5], s[4:5], exec
	s_and_b64 s[8:9], s[8:9], exec
	s_or_b64 s[4:5], s[4:5], s[8:9]
	s_or_b64 exec, exec, s[6:7]
	s_and_saveexec_b64 s[6:7], s[4:5]
	s_cbranch_execnz .LBB9_1903
	s_branch .LBB9_1904
.LBB9_3953:
	s_movk_i32 s4, 0x80
	v_cmp_eq_u16_e32 vcc, s4, v9
	s_mov_b64 s[4:5], -1
                                        ; implicit-def: $sgpr10
	s_and_saveexec_b64 s[8:9], vcc
; %bb.3954:
	s_mov_b32 s10, 0x7f800001
	s_xor_b64 s[4:5], exec, -1
; %bb.3955:
	s_or_b64 exec, exec, s[8:9]
	s_and_b64 s[4:5], s[4:5], exec
                                        ; implicit-def: $vgpr9
	s_or_saveexec_b64 s[6:7], s[6:7]
	v_mov_b32_e32 v8, s10
	s_xor_b64 exec, exec, s[6:7]
	s_cbranch_execz .LBB9_1906
.LBB9_3956:
	v_cmp_ne_u16_e32 vcc, 0, v9
	s_andn2_b64 s[4:5], s[4:5], exec
	s_and_b64 s[8:9], vcc, exec
	v_mov_b32_e32 v8, 0
	s_or_b64 s[4:5], s[4:5], s[8:9]
	s_or_b64 exec, exec, s[6:7]
	s_and_saveexec_b64 s[6:7], s[4:5]
	s_cbranch_execnz .LBB9_1907
	s_branch .LBB9_1908
.LBB9_3957:
	s_movk_i32 s4, 0x80
	v_cmp_eq_u16_e32 vcc, s4, v9
	s_mov_b64 s[4:5], -1
                                        ; implicit-def: $sgpr10
	s_and_saveexec_b64 s[8:9], vcc
; %bb.3958:
	s_mov_b32 s10, 0x7f800001
	s_xor_b64 s[4:5], exec, -1
; %bb.3959:
	s_or_b64 exec, exec, s[8:9]
	s_and_b64 s[4:5], s[4:5], exec
                                        ; implicit-def: $vgpr9
	s_or_saveexec_b64 s[6:7], s[6:7]
	v_mov_b32_e32 v10, s10
	s_xor_b64 exec, exec, s[6:7]
	s_cbranch_execz .LBB9_1910
.LBB9_3960:
	v_cmp_ne_u16_e32 vcc, 0, v9
	s_andn2_b64 s[4:5], s[4:5], exec
	s_and_b64 s[8:9], vcc, exec
	v_mov_b32_e32 v10, 0
	s_or_b64 s[4:5], s[4:5], s[8:9]
	s_or_b64 exec, exec, s[6:7]
	s_and_saveexec_b64 s[6:7], s[4:5]
	s_cbranch_execnz .LBB9_1911
	s_branch .LBB9_1912
.LBB9_3961:
	s_movk_i32 s4, 0x80
	v_cmp_eq_u16_sdwa s[12:13], v15, s4 src0_sel:BYTE_3 src1_sel:DWORD
	s_mov_b64 s[4:5], -1
                                        ; implicit-def: $sgpr10
	s_and_saveexec_b64 s[8:9], s[12:13]
; %bb.3962:
	s_mov_b32 s10, 0x7f800001
	s_xor_b64 s[4:5], exec, -1
; %bb.3963:
	s_or_b64 exec, exec, s[8:9]
	s_and_b64 s[4:5], s[4:5], exec
	s_or_saveexec_b64 s[6:7], s[6:7]
	v_mov_b32_e32 v8, s10
	s_xor_b64 exec, exec, s[6:7]
	s_cbranch_execz .LBB9_1914
.LBB9_3964:
	v_mov_b32_e32 v8, 0
	v_cmp_ne_u16_sdwa s[8:9], v15, v8 src0_sel:BYTE_3 src1_sel:DWORD
	s_andn2_b64 s[4:5], s[4:5], exec
	s_and_b64 s[8:9], s[8:9], exec
	s_or_b64 s[4:5], s[4:5], s[8:9]
	s_or_b64 exec, exec, s[6:7]
	s_and_saveexec_b64 s[6:7], s[4:5]
	s_cbranch_execnz .LBB9_1915
	s_branch .LBB9_1916
.LBB9_3965:
	s_movk_i32 s4, 0x80
	v_cmp_eq_u16_sdwa s[12:13], v11, s4 src0_sel:BYTE_3 src1_sel:DWORD
	s_mov_b64 s[4:5], -1
                                        ; implicit-def: $sgpr10
	s_and_saveexec_b64 s[8:9], s[12:13]
; %bb.3966:
	s_mov_b32 s10, 0x7f800001
	s_xor_b64 s[4:5], exec, -1
; %bb.3967:
	s_or_b64 exec, exec, s[8:9]
	s_and_b64 s[4:5], s[4:5], exec
	s_or_saveexec_b64 s[6:7], s[6:7]
	v_mov_b32_e32 v9, s10
	s_xor_b64 exec, exec, s[6:7]
	s_cbranch_execz .LBB9_1918
.LBB9_3968:
	v_mov_b32_e32 v9, 0
	v_cmp_ne_u16_sdwa s[8:9], v11, v9 src0_sel:BYTE_3 src1_sel:DWORD
	s_andn2_b64 s[4:5], s[4:5], exec
	s_and_b64 s[8:9], s[8:9], exec
	s_or_b64 s[4:5], s[4:5], s[8:9]
	s_or_b64 exec, exec, s[6:7]
	s_and_saveexec_b64 s[6:7], s[4:5]
	s_cbranch_execnz .LBB9_1919
	s_branch .LBB9_1920
.LBB9_3969:
	s_movk_i32 s4, 0x80
	v_cmp_eq_u16_sdwa s[12:13], v4, s4 src0_sel:BYTE_0 src1_sel:DWORD
	s_mov_b64 s[4:5], -1
                                        ; implicit-def: $sgpr10
	s_and_saveexec_b64 s[8:9], s[12:13]
; %bb.3970:
	s_mov_b32 s10, 0x7f800001
	s_xor_b64 s[4:5], exec, -1
; %bb.3971:
	s_or_b64 exec, exec, s[8:9]
	s_and_b64 s[4:5], s[4:5], exec
	s_or_saveexec_b64 s[6:7], s[6:7]
	v_mov_b32_e32 v8, s10
	s_xor_b64 exec, exec, s[6:7]
	s_cbranch_execz .LBB9_1922
.LBB9_3972:
	v_mov_b32_e32 v8, 0
	v_cmp_ne_u16_sdwa s[8:9], v4, v8 src0_sel:BYTE_0 src1_sel:DWORD
	s_andn2_b64 s[4:5], s[4:5], exec
	s_and_b64 s[8:9], s[8:9], exec
	s_or_b64 s[4:5], s[4:5], s[8:9]
	s_or_b64 exec, exec, s[6:7]
	s_and_saveexec_b64 s[6:7], s[4:5]
	s_cbranch_execnz .LBB9_1923
	s_branch .LBB9_1924
.LBB9_3973:
	s_movk_i32 s4, 0x80
	v_cmp_eq_u16_sdwa s[12:13], v0, s4 src0_sel:BYTE_0 src1_sel:DWORD
	s_mov_b64 s[4:5], -1
                                        ; implicit-def: $sgpr10
	s_and_saveexec_b64 s[8:9], s[12:13]
; %bb.3974:
	s_mov_b32 s10, 0x7f800001
	s_xor_b64 s[4:5], exec, -1
; %bb.3975:
	s_or_b64 exec, exec, s[8:9]
	s_and_b64 s[4:5], s[4:5], exec
	s_or_saveexec_b64 s[6:7], s[6:7]
	v_mov_b32_e32 v9, s10
	s_xor_b64 exec, exec, s[6:7]
	s_cbranch_execz .LBB9_1926
.LBB9_3976:
	v_mov_b32_e32 v9, 0
	v_cmp_ne_u16_sdwa s[8:9], v0, v9 src0_sel:BYTE_0 src1_sel:DWORD
	s_andn2_b64 s[4:5], s[4:5], exec
	s_and_b64 s[8:9], s[8:9], exec
	s_or_b64 s[4:5], s[4:5], s[8:9]
	s_or_b64 exec, exec, s[6:7]
	s_and_saveexec_b64 s[6:7], s[4:5]
	s_cbranch_execnz .LBB9_1927
	s_branch .LBB9_1928
.LBB9_3977:
	s_movk_i32 s4, 0x80
	v_cmp_eq_u16_sdwa s[12:13], v9, s4 src0_sel:BYTE_0 src1_sel:DWORD
	s_mov_b64 s[4:5], -1
                                        ; implicit-def: $sgpr10
	s_and_saveexec_b64 s[8:9], s[12:13]
; %bb.3978:
	s_mov_b32 s10, 0x7f800001
	s_xor_b64 s[4:5], exec, -1
; %bb.3979:
	s_or_b64 exec, exec, s[8:9]
	s_and_b64 s[4:5], s[4:5], exec
	s_or_saveexec_b64 s[6:7], s[6:7]
	v_mov_b32_e32 v8, s10
	s_xor_b64 exec, exec, s[6:7]
	s_cbranch_execz .LBB9_1930
.LBB9_3980:
	v_mov_b32_e32 v8, 0
	v_cmp_ne_u16_sdwa s[8:9], v9, v8 src0_sel:BYTE_0 src1_sel:DWORD
	s_andn2_b64 s[4:5], s[4:5], exec
	s_and_b64 s[8:9], s[8:9], exec
	s_or_b64 s[4:5], s[4:5], s[8:9]
	s_or_b64 exec, exec, s[6:7]
	s_and_saveexec_b64 s[6:7], s[4:5]
	s_cbranch_execnz .LBB9_1931
	s_branch .LBB9_1932
.LBB9_3981:
	s_movk_i32 s4, 0x80
	v_cmp_eq_u16_sdwa s[12:13], v9, s4 src0_sel:BYTE_0 src1_sel:DWORD
	s_mov_b64 s[4:5], -1
                                        ; implicit-def: $sgpr10
	s_and_saveexec_b64 s[8:9], s[12:13]
; %bb.3982:
	s_mov_b32 s10, 0x7f800001
	s_xor_b64 s[4:5], exec, -1
; %bb.3983:
	s_or_b64 exec, exec, s[8:9]
	s_and_b64 s[4:5], s[4:5], exec
	s_or_saveexec_b64 s[6:7], s[6:7]
	v_mov_b32_e32 v10, s10
	s_xor_b64 exec, exec, s[6:7]
	s_cbranch_execz .LBB9_1934
.LBB9_3984:
	v_mov_b32_e32 v10, 0
	v_cmp_ne_u16_sdwa s[8:9], v9, v10 src0_sel:BYTE_0 src1_sel:DWORD
	s_andn2_b64 s[4:5], s[4:5], exec
	s_and_b64 s[8:9], s[8:9], exec
	s_or_b64 s[4:5], s[4:5], s[8:9]
	s_or_b64 exec, exec, s[6:7]
	s_and_saveexec_b64 s[6:7], s[4:5]
	s_cbranch_execnz .LBB9_1935
	s_branch .LBB9_1936
.LBB9_3985:
	s_movk_i32 s4, 0x80
	v_cmp_eq_u16_e32 vcc, s4, v9
	s_mov_b64 s[4:5], -1
                                        ; implicit-def: $sgpr10
	s_and_saveexec_b64 s[8:9], vcc
; %bb.3986:
	s_mov_b32 s10, 0x7f800001
	s_xor_b64 s[4:5], exec, -1
; %bb.3987:
	s_or_b64 exec, exec, s[8:9]
	s_and_b64 s[4:5], s[4:5], exec
                                        ; implicit-def: $vgpr9
	s_or_saveexec_b64 s[6:7], s[6:7]
	v_mov_b32_e32 v8, s10
	s_xor_b64 exec, exec, s[6:7]
	s_cbranch_execz .LBB9_1938
.LBB9_3988:
	v_cmp_ne_u16_e32 vcc, 0, v9
	s_andn2_b64 s[4:5], s[4:5], exec
	s_and_b64 s[8:9], vcc, exec
	v_mov_b32_e32 v8, 0
	s_or_b64 s[4:5], s[4:5], s[8:9]
	s_or_b64 exec, exec, s[6:7]
	s_and_saveexec_b64 s[6:7], s[4:5]
	s_cbranch_execnz .LBB9_1939
	s_branch .LBB9_1940
.LBB9_3989:
	s_movk_i32 s4, 0x80
	v_cmp_eq_u16_e32 vcc, s4, v9
	s_mov_b64 s[4:5], -1
                                        ; implicit-def: $sgpr10
	s_and_saveexec_b64 s[8:9], vcc
; %bb.3990:
	s_mov_b32 s10, 0x7f800001
	s_xor_b64 s[4:5], exec, -1
; %bb.3991:
	s_or_b64 exec, exec, s[8:9]
	s_and_b64 s[4:5], s[4:5], exec
                                        ; implicit-def: $vgpr9
	s_or_saveexec_b64 s[6:7], s[6:7]
	v_mov_b32_e32 v10, s10
	s_xor_b64 exec, exec, s[6:7]
	s_cbranch_execz .LBB9_1942
.LBB9_3992:
	v_cmp_ne_u16_e32 vcc, 0, v9
	s_andn2_b64 s[4:5], s[4:5], exec
	s_and_b64 s[8:9], vcc, exec
	v_mov_b32_e32 v10, 0
	s_or_b64 s[4:5], s[4:5], s[8:9]
	s_or_b64 exec, exec, s[6:7]
	s_and_saveexec_b64 s[6:7], s[4:5]
	s_cbranch_execnz .LBB9_1943
	s_branch .LBB9_1944
.LBB9_3993:
	s_movk_i32 s4, 0x80
	v_cmp_eq_u16_sdwa s[12:13], v4, s4 src0_sel:BYTE_3 src1_sel:DWORD
	s_mov_b64 s[4:5], -1
                                        ; implicit-def: $sgpr10
	s_and_saveexec_b64 s[8:9], s[12:13]
; %bb.3994:
	s_mov_b32 s10, 0x7f800001
	s_xor_b64 s[4:5], exec, -1
; %bb.3995:
	s_or_b64 exec, exec, s[8:9]
	s_and_b64 s[4:5], s[4:5], exec
	s_or_saveexec_b64 s[6:7], s[6:7]
	v_mov_b32_e32 v8, s10
	s_xor_b64 exec, exec, s[6:7]
	s_cbranch_execz .LBB9_1946
.LBB9_3996:
	v_mov_b32_e32 v8, 0
	v_cmp_ne_u16_sdwa s[8:9], v4, v8 src0_sel:BYTE_3 src1_sel:DWORD
	s_andn2_b64 s[4:5], s[4:5], exec
	s_and_b64 s[8:9], s[8:9], exec
	s_or_b64 s[4:5], s[4:5], s[8:9]
	s_or_b64 exec, exec, s[6:7]
	s_and_saveexec_b64 s[6:7], s[4:5]
	s_cbranch_execnz .LBB9_1947
	s_branch .LBB9_1948
.LBB9_3997:
	s_movk_i32 s4, 0x80
	v_cmp_eq_u16_sdwa s[12:13], v0, s4 src0_sel:BYTE_3 src1_sel:DWORD
	s_mov_b64 s[4:5], -1
                                        ; implicit-def: $sgpr10
	s_and_saveexec_b64 s[8:9], s[12:13]
; %bb.3998:
	s_mov_b32 s10, 0x7f800001
	s_xor_b64 s[4:5], exec, -1
; %bb.3999:
	s_or_b64 exec, exec, s[8:9]
	s_and_b64 s[4:5], s[4:5], exec
	s_or_saveexec_b64 s[6:7], s[6:7]
	v_mov_b32_e32 v4, s10
	s_xor_b64 exec, exec, s[6:7]
	s_cbranch_execz .LBB9_1950
.LBB9_4000:
	v_mov_b32_e32 v4, 0
	v_cmp_ne_u16_sdwa s[8:9], v0, v4 src0_sel:BYTE_3 src1_sel:DWORD
	s_andn2_b64 s[4:5], s[4:5], exec
	s_and_b64 s[8:9], s[8:9], exec
	s_or_b64 s[4:5], s[4:5], s[8:9]
	s_or_b64 exec, exec, s[6:7]
	s_and_saveexec_b64 s[6:7], s[4:5]
	s_cbranch_execnz .LBB9_1951
	s_branch .LBB9_1952
.LBB9_4001:
	s_movk_i32 s4, 0x80
	v_cmp_eq_u16_sdwa s[12:13], v5, s4 src0_sel:BYTE_0 src1_sel:DWORD
	s_mov_b64 s[4:5], -1
                                        ; implicit-def: $sgpr10
	s_and_saveexec_b64 s[8:9], s[12:13]
; %bb.4002:
	s_mov_b32 s10, 0x7f800001
	s_xor_b64 s[4:5], exec, -1
; %bb.4003:
	s_or_b64 exec, exec, s[8:9]
	s_and_b64 s[4:5], s[4:5], exec
	s_or_saveexec_b64 s[6:7], s[6:7]
	v_mov_b32_e32 v0, s10
	s_xor_b64 exec, exec, s[6:7]
	s_cbranch_execz .LBB9_1954
.LBB9_4004:
	v_mov_b32_e32 v0, 0
	v_cmp_ne_u16_sdwa s[8:9], v5, v0 src0_sel:BYTE_0 src1_sel:DWORD
	s_andn2_b64 s[4:5], s[4:5], exec
	s_and_b64 s[8:9], s[8:9], exec
	s_or_b64 s[4:5], s[4:5], s[8:9]
	s_or_b64 exec, exec, s[6:7]
	s_and_saveexec_b64 s[6:7], s[4:5]
	s_cbranch_execnz .LBB9_1955
	s_branch .LBB9_1956
.LBB9_4005:
	s_movk_i32 s4, 0x80
	v_cmp_eq_u16_sdwa s[12:13], v1, s4 src0_sel:BYTE_0 src1_sel:DWORD
	s_mov_b64 s[4:5], -1
                                        ; implicit-def: $sgpr10
	s_and_saveexec_b64 s[8:9], s[12:13]
; %bb.4006:
	s_mov_b32 s10, 0x7f800001
	s_xor_b64 s[4:5], exec, -1
; %bb.4007:
	s_or_b64 exec, exec, s[8:9]
	s_and_b64 s[4:5], s[4:5], exec
	s_or_saveexec_b64 s[6:7], s[6:7]
	v_mov_b32_e32 v4, s10
	s_xor_b64 exec, exec, s[6:7]
	s_cbranch_execz .LBB9_1958
.LBB9_4008:
	v_mov_b32_e32 v4, 0
	v_cmp_ne_u16_sdwa s[8:9], v1, v4 src0_sel:BYTE_0 src1_sel:DWORD
	s_andn2_b64 s[4:5], s[4:5], exec
	s_and_b64 s[8:9], s[8:9], exec
	s_or_b64 s[4:5], s[4:5], s[8:9]
	s_or_b64 exec, exec, s[6:7]
	s_and_saveexec_b64 s[6:7], s[4:5]
	s_cbranch_execnz .LBB9_1959
	s_branch .LBB9_1960
.LBB9_4009:
	s_movk_i32 s4, 0x80
	v_cmp_eq_u16_sdwa s[12:13], v4, s4 src0_sel:BYTE_0 src1_sel:DWORD
	s_mov_b64 s[4:5], -1
                                        ; implicit-def: $sgpr10
	s_and_saveexec_b64 s[8:9], s[12:13]
; %bb.4010:
	s_mov_b32 s10, 0x7f800001
	s_xor_b64 s[4:5], exec, -1
; %bb.4011:
	s_or_b64 exec, exec, s[8:9]
	s_and_b64 s[4:5], s[4:5], exec
	s_or_saveexec_b64 s[6:7], s[6:7]
	v_mov_b32_e32 v0, s10
	s_xor_b64 exec, exec, s[6:7]
	s_cbranch_execz .LBB9_1962
.LBB9_4012:
	v_mov_b32_e32 v0, 0
	v_cmp_ne_u16_sdwa s[8:9], v4, v0 src0_sel:BYTE_0 src1_sel:DWORD
	s_andn2_b64 s[4:5], s[4:5], exec
	s_and_b64 s[8:9], s[8:9], exec
	s_or_b64 s[4:5], s[4:5], s[8:9]
	s_or_b64 exec, exec, s[6:7]
	s_and_saveexec_b64 s[6:7], s[4:5]
	s_cbranch_execnz .LBB9_1963
	s_branch .LBB9_1964
.LBB9_4013:
	s_movk_i32 s4, 0x80
	v_cmp_eq_u16_sdwa s[12:13], v4, s4 src0_sel:BYTE_0 src1_sel:DWORD
	s_mov_b64 s[4:5], -1
                                        ; implicit-def: $sgpr10
	s_and_saveexec_b64 s[8:9], s[12:13]
; %bb.4014:
	s_mov_b32 s10, 0x7f800001
	s_xor_b64 s[4:5], exec, -1
; %bb.4015:
	s_or_b64 exec, exec, s[8:9]
	s_and_b64 s[4:5], s[4:5], exec
	s_or_saveexec_b64 s[6:7], s[6:7]
	v_mov_b32_e32 v8, s10
	s_xor_b64 exec, exec, s[6:7]
	s_cbranch_execz .LBB9_1966
.LBB9_4016:
	v_mov_b32_e32 v8, 0
	v_cmp_ne_u16_sdwa s[8:9], v4, v8 src0_sel:BYTE_0 src1_sel:DWORD
	s_andn2_b64 s[4:5], s[4:5], exec
	s_and_b64 s[8:9], s[8:9], exec
	s_or_b64 s[4:5], s[4:5], s[8:9]
	s_or_b64 exec, exec, s[6:7]
	s_and_saveexec_b64 s[6:7], s[4:5]
	s_cbranch_execnz .LBB9_1967
	s_branch .LBB9_1968
.LBB9_4017:
	s_movk_i32 s4, 0x80
	v_cmp_eq_u16_e32 vcc, s4, v4
	s_mov_b64 s[4:5], -1
                                        ; implicit-def: $sgpr10
	s_and_saveexec_b64 s[8:9], vcc
; %bb.4018:
	s_mov_b32 s10, 0x7f800001
	s_xor_b64 s[4:5], exec, -1
; %bb.4019:
	s_or_b64 exec, exec, s[8:9]
	s_and_b64 s[4:5], s[4:5], exec
                                        ; implicit-def: $vgpr4
	s_or_saveexec_b64 s[6:7], s[6:7]
	v_mov_b32_e32 v0, s10
	s_xor_b64 exec, exec, s[6:7]
	s_cbranch_execz .LBB9_1970
.LBB9_4020:
	v_cmp_ne_u16_e32 vcc, 0, v4
	s_andn2_b64 s[4:5], s[4:5], exec
	s_and_b64 s[8:9], vcc, exec
	v_mov_b32_e32 v0, 0
	s_or_b64 s[4:5], s[4:5], s[8:9]
	s_or_b64 exec, exec, s[6:7]
	s_and_saveexec_b64 s[6:7], s[4:5]
	s_cbranch_execnz .LBB9_1971
	s_branch .LBB9_1972
.LBB9_4021:
	s_movk_i32 s4, 0x80
	v_cmp_eq_u16_e32 vcc, s4, v4
	s_mov_b64 s[4:5], -1
                                        ; implicit-def: $sgpr10
	s_and_saveexec_b64 s[8:9], vcc
; %bb.4022:
	s_mov_b32 s10, 0x7f800001
	s_xor_b64 s[4:5], exec, -1
; %bb.4023:
	s_or_b64 exec, exec, s[8:9]
	s_and_b64 s[4:5], s[4:5], exec
                                        ; implicit-def: $vgpr4
	s_or_saveexec_b64 s[6:7], s[6:7]
	v_mov_b32_e32 v8, s10
	s_xor_b64 exec, exec, s[6:7]
	s_cbranch_execz .LBB9_1974
.LBB9_4024:
	v_cmp_ne_u16_e32 vcc, 0, v4
	s_andn2_b64 s[4:5], s[4:5], exec
	s_and_b64 s[8:9], vcc, exec
	v_mov_b32_e32 v8, 0
	s_or_b64 s[4:5], s[4:5], s[8:9]
	s_or_b64 exec, exec, s[6:7]
	s_and_saveexec_b64 s[6:7], s[4:5]
	s_cbranch_execnz .LBB9_1975
	s_branch .LBB9_1976
.LBB9_4025:
	s_movk_i32 s4, 0x80
	v_cmp_eq_u16_sdwa s[12:13], v5, s4 src0_sel:BYTE_3 src1_sel:DWORD
	s_mov_b64 s[4:5], -1
                                        ; implicit-def: $sgpr10
	s_and_saveexec_b64 s[8:9], s[12:13]
; %bb.4026:
	s_mov_b32 s10, 0x7f800001
	s_xor_b64 s[4:5], exec, -1
; %bb.4027:
	s_or_b64 exec, exec, s[8:9]
	s_and_b64 s[4:5], s[4:5], exec
	s_or_saveexec_b64 s[6:7], s[6:7]
	v_mov_b32_e32 v0, s10
	s_xor_b64 exec, exec, s[6:7]
	s_cbranch_execz .LBB9_1978
.LBB9_4028:
	v_mov_b32_e32 v0, 0
	v_cmp_ne_u16_sdwa s[8:9], v5, v0 src0_sel:BYTE_3 src1_sel:DWORD
	s_andn2_b64 s[4:5], s[4:5], exec
	s_and_b64 s[8:9], s[8:9], exec
	s_or_b64 s[4:5], s[4:5], s[8:9]
	s_or_b64 exec, exec, s[6:7]
	s_and_saveexec_b64 s[6:7], s[4:5]
	s_cbranch_execnz .LBB9_1979
	s_branch .LBB9_1980
.LBB9_4029:
	s_movk_i32 s4, 0x80
	v_cmp_eq_u16_sdwa s[12:13], v1, s4 src0_sel:BYTE_3 src1_sel:DWORD
	s_mov_b64 s[4:5], -1
                                        ; implicit-def: $sgpr10
	s_and_saveexec_b64 s[8:9], s[12:13]
; %bb.4030:
	s_mov_b32 s10, 0x7f800001
	s_xor_b64 s[4:5], exec, -1
; %bb.4031:
	s_or_b64 exec, exec, s[8:9]
	s_and_b64 s[4:5], s[4:5], exec
	s_or_saveexec_b64 s[6:7], s[6:7]
	v_mov_b32_e32 v4, s10
	s_xor_b64 exec, exec, s[6:7]
	s_cbranch_execz .LBB9_1982
.LBB9_4032:
	v_mov_b32_e32 v4, 0
	v_cmp_ne_u16_sdwa s[8:9], v1, v4 src0_sel:BYTE_3 src1_sel:DWORD
	s_andn2_b64 s[4:5], s[4:5], exec
	s_and_b64 s[8:9], s[8:9], exec
	s_or_b64 s[4:5], s[4:5], s[8:9]
	s_or_b64 exec, exec, s[6:7]
	s_and_saveexec_b64 s[6:7], s[4:5]
	s_cbranch_execnz .LBB9_1983
	s_branch .LBB9_1984
.LBB9_4033:
	s_movk_i32 s4, 0x80
	v_cmp_eq_u16_sdwa s[12:13], v6, s4 src0_sel:BYTE_0 src1_sel:DWORD
	s_mov_b64 s[4:5], -1
                                        ; implicit-def: $sgpr10
	s_and_saveexec_b64 s[8:9], s[12:13]
; %bb.4034:
	s_mov_b32 s10, 0x7f800001
	s_xor_b64 s[4:5], exec, -1
; %bb.4035:
	s_or_b64 exec, exec, s[8:9]
	s_and_b64 s[4:5], s[4:5], exec
	s_or_saveexec_b64 s[6:7], s[6:7]
	v_mov_b32_e32 v0, s10
	s_xor_b64 exec, exec, s[6:7]
	s_cbranch_execz .LBB9_1986
.LBB9_4036:
	v_mov_b32_e32 v0, 0
	v_cmp_ne_u16_sdwa s[8:9], v6, v0 src0_sel:BYTE_0 src1_sel:DWORD
	s_andn2_b64 s[4:5], s[4:5], exec
	s_and_b64 s[8:9], s[8:9], exec
	s_or_b64 s[4:5], s[4:5], s[8:9]
	s_or_b64 exec, exec, s[6:7]
	s_and_saveexec_b64 s[6:7], s[4:5]
	s_cbranch_execnz .LBB9_1987
	s_branch .LBB9_1988
.LBB9_4037:
	s_movk_i32 s4, 0x80
	v_cmp_eq_u16_sdwa s[12:13], v2, s4 src0_sel:BYTE_0 src1_sel:DWORD
	s_mov_b64 s[4:5], -1
                                        ; implicit-def: $sgpr10
	s_and_saveexec_b64 s[8:9], s[12:13]
; %bb.4038:
	s_mov_b32 s10, 0x7f800001
	s_xor_b64 s[4:5], exec, -1
; %bb.4039:
	s_or_b64 exec, exec, s[8:9]
	s_and_b64 s[4:5], s[4:5], exec
	s_or_saveexec_b64 s[6:7], s[6:7]
	v_mov_b32_e32 v1, s10
	s_xor_b64 exec, exec, s[6:7]
	s_cbranch_execz .LBB9_1990
.LBB9_4040:
	v_mov_b32_e32 v1, 0
	v_cmp_ne_u16_sdwa s[8:9], v2, v1 src0_sel:BYTE_0 src1_sel:DWORD
	s_andn2_b64 s[4:5], s[4:5], exec
	s_and_b64 s[8:9], s[8:9], exec
	s_or_b64 s[4:5], s[4:5], s[8:9]
	s_or_b64 exec, exec, s[6:7]
	s_and_saveexec_b64 s[6:7], s[4:5]
	s_cbranch_execnz .LBB9_1991
	s_branch .LBB9_1992
.LBB9_4041:
	s_movk_i32 s4, 0x80
	v_cmp_eq_u16_sdwa s[12:13], v1, s4 src0_sel:BYTE_0 src1_sel:DWORD
	s_mov_b64 s[4:5], -1
                                        ; implicit-def: $sgpr10
	s_and_saveexec_b64 s[8:9], s[12:13]
; %bb.4042:
	s_mov_b32 s10, 0x7f800001
	s_xor_b64 s[4:5], exec, -1
; %bb.4043:
	s_or_b64 exec, exec, s[8:9]
	s_and_b64 s[4:5], s[4:5], exec
	s_or_saveexec_b64 s[6:7], s[6:7]
	v_mov_b32_e32 v0, s10
	s_xor_b64 exec, exec, s[6:7]
	s_cbranch_execz .LBB9_1994
.LBB9_4044:
	v_mov_b32_e32 v0, 0
	v_cmp_ne_u16_sdwa s[8:9], v1, v0 src0_sel:BYTE_0 src1_sel:DWORD
	s_andn2_b64 s[4:5], s[4:5], exec
	s_and_b64 s[8:9], s[8:9], exec
	s_or_b64 s[4:5], s[4:5], s[8:9]
	s_or_b64 exec, exec, s[6:7]
	s_and_saveexec_b64 s[6:7], s[4:5]
	s_cbranch_execnz .LBB9_1995
	s_branch .LBB9_1996
.LBB9_4045:
	s_movk_i32 s4, 0x80
	v_cmp_eq_u16_sdwa s[12:13], v1, s4 src0_sel:BYTE_0 src1_sel:DWORD
	s_mov_b64 s[4:5], -1
                                        ; implicit-def: $sgpr10
	s_and_saveexec_b64 s[8:9], s[12:13]
; %bb.4046:
	s_mov_b32 s10, 0x7f800001
	s_xor_b64 s[4:5], exec, -1
; %bb.4047:
	s_or_b64 exec, exec, s[8:9]
	s_and_b64 s[4:5], s[4:5], exec
	s_or_saveexec_b64 s[6:7], s[6:7]
	v_mov_b32_e32 v4, s10
	s_xor_b64 exec, exec, s[6:7]
	s_cbranch_execz .LBB9_1998
.LBB9_4048:
	v_mov_b32_e32 v4, 0
	v_cmp_ne_u16_sdwa s[8:9], v1, v4 src0_sel:BYTE_0 src1_sel:DWORD
	s_andn2_b64 s[4:5], s[4:5], exec
	s_and_b64 s[8:9], s[8:9], exec
	s_or_b64 s[4:5], s[4:5], s[8:9]
	s_or_b64 exec, exec, s[6:7]
	s_and_saveexec_b64 s[6:7], s[4:5]
	s_cbranch_execnz .LBB9_1999
	s_branch .LBB9_2000
.LBB9_4049:
	s_movk_i32 s4, 0x80
	v_cmp_eq_u16_e32 vcc, s4, v1
	s_mov_b64 s[4:5], -1
                                        ; implicit-def: $sgpr10
	s_and_saveexec_b64 s[8:9], vcc
; %bb.4050:
	s_mov_b32 s10, 0x7f800001
	s_xor_b64 s[4:5], exec, -1
; %bb.4051:
	s_or_b64 exec, exec, s[8:9]
	s_and_b64 s[4:5], s[4:5], exec
                                        ; implicit-def: $vgpr1
	s_or_saveexec_b64 s[6:7], s[6:7]
	v_mov_b32_e32 v0, s10
	s_xor_b64 exec, exec, s[6:7]
	s_cbranch_execz .LBB9_2002
.LBB9_4052:
	v_cmp_ne_u16_e32 vcc, 0, v1
	s_andn2_b64 s[4:5], s[4:5], exec
	s_and_b64 s[8:9], vcc, exec
	v_mov_b32_e32 v0, 0
	s_or_b64 s[4:5], s[4:5], s[8:9]
	s_or_b64 exec, exec, s[6:7]
	s_and_saveexec_b64 s[6:7], s[4:5]
	s_cbranch_execnz .LBB9_2003
	s_branch .LBB9_2004
.LBB9_4053:
	s_movk_i32 s4, 0x80
	v_cmp_eq_u16_e32 vcc, s4, v1
	s_mov_b64 s[4:5], -1
                                        ; implicit-def: $sgpr10
	s_and_saveexec_b64 s[8:9], vcc
; %bb.4054:
	s_mov_b32 s10, 0x7f800001
	s_xor_b64 s[4:5], exec, -1
; %bb.4055:
	s_or_b64 exec, exec, s[8:9]
	s_and_b64 s[4:5], s[4:5], exec
                                        ; implicit-def: $vgpr1
	s_or_saveexec_b64 s[6:7], s[6:7]
	v_mov_b32_e32 v4, s10
	s_xor_b64 exec, exec, s[6:7]
	s_cbranch_execz .LBB9_2006
.LBB9_4056:
	v_cmp_ne_u16_e32 vcc, 0, v1
	s_andn2_b64 s[4:5], s[4:5], exec
	s_and_b64 s[8:9], vcc, exec
	v_mov_b32_e32 v4, 0
	s_or_b64 s[4:5], s[4:5], s[8:9]
	s_or_b64 exec, exec, s[6:7]
	s_and_saveexec_b64 s[6:7], s[4:5]
	s_cbranch_execnz .LBB9_2007
	s_branch .LBB9_2008
.LBB9_4057:
	s_movk_i32 s4, 0x80
	v_cmp_eq_u16_sdwa s[12:13], v6, s4 src0_sel:BYTE_3 src1_sel:DWORD
	s_mov_b64 s[4:5], -1
                                        ; implicit-def: $sgpr10
	s_and_saveexec_b64 s[8:9], s[12:13]
; %bb.4058:
	s_mov_b32 s10, 0x7f800001
	s_xor_b64 s[4:5], exec, -1
; %bb.4059:
	s_or_b64 exec, exec, s[8:9]
	s_and_b64 s[4:5], s[4:5], exec
	s_or_saveexec_b64 s[6:7], s[6:7]
	v_mov_b32_e32 v0, s10
	s_xor_b64 exec, exec, s[6:7]
	s_cbranch_execz .LBB9_2010
.LBB9_4060:
	v_mov_b32_e32 v0, 0
	v_cmp_ne_u16_sdwa s[8:9], v6, v0 src0_sel:BYTE_3 src1_sel:DWORD
	s_andn2_b64 s[4:5], s[4:5], exec
	s_and_b64 s[8:9], s[8:9], exec
	s_or_b64 s[4:5], s[4:5], s[8:9]
	s_or_b64 exec, exec, s[6:7]
	s_and_saveexec_b64 s[6:7], s[4:5]
	s_cbranch_execnz .LBB9_2011
	s_branch .LBB9_2012
.LBB9_4061:
	s_movk_i32 s4, 0x80
	v_cmp_eq_u16_sdwa s[12:13], v2, s4 src0_sel:BYTE_3 src1_sel:DWORD
	s_mov_b64 s[4:5], -1
                                        ; implicit-def: $sgpr10
	s_and_saveexec_b64 s[8:9], s[12:13]
; %bb.4062:
	s_mov_b32 s10, 0x7f800001
	s_xor_b64 s[4:5], exec, -1
; %bb.4063:
	s_or_b64 exec, exec, s[8:9]
	s_and_b64 s[4:5], s[4:5], exec
	s_or_saveexec_b64 s[6:7], s[6:7]
	v_mov_b32_e32 v1, s10
	s_xor_b64 exec, exec, s[6:7]
	s_cbranch_execz .LBB9_2014
.LBB9_4064:
	v_mov_b32_e32 v1, 0
	v_cmp_ne_u16_sdwa s[8:9], v2, v1 src0_sel:BYTE_3 src1_sel:DWORD
	s_andn2_b64 s[4:5], s[4:5], exec
	s_and_b64 s[8:9], s[8:9], exec
	s_or_b64 s[4:5], s[4:5], s[8:9]
	s_or_b64 exec, exec, s[6:7]
	s_and_saveexec_b64 s[6:7], s[4:5]
	s_cbranch_execnz .LBB9_2015
	s_branch .LBB9_2016
.LBB9_4065:
	s_movk_i32 s4, 0x80
	v_cmp_eq_u16_sdwa s[12:13], v7, s4 src0_sel:BYTE_0 src1_sel:DWORD
	s_mov_b64 s[4:5], -1
                                        ; implicit-def: $sgpr10
	s_and_saveexec_b64 s[8:9], s[12:13]
; %bb.4066:
	s_mov_b32 s10, 0x7f800001
	s_xor_b64 s[4:5], exec, -1
; %bb.4067:
	s_or_b64 exec, exec, s[8:9]
	s_and_b64 s[4:5], s[4:5], exec
	s_or_saveexec_b64 s[6:7], s[6:7]
	v_mov_b32_e32 v0, s10
	s_xor_b64 exec, exec, s[6:7]
	s_cbranch_execz .LBB9_2018
.LBB9_4068:
	v_mov_b32_e32 v0, 0
	v_cmp_ne_u16_sdwa s[8:9], v7, v0 src0_sel:BYTE_0 src1_sel:DWORD
	s_andn2_b64 s[4:5], s[4:5], exec
	s_and_b64 s[8:9], s[8:9], exec
	s_or_b64 s[4:5], s[4:5], s[8:9]
	s_or_b64 exec, exec, s[6:7]
	s_and_saveexec_b64 s[6:7], s[4:5]
	s_cbranch_execnz .LBB9_2019
	s_branch .LBB9_2020
.LBB9_4069:
	s_movk_i32 s4, 0x80
	v_cmp_eq_u16_sdwa s[12:13], v3, s4 src0_sel:BYTE_0 src1_sel:DWORD
	s_mov_b64 s[4:5], -1
                                        ; implicit-def: $sgpr10
	s_and_saveexec_b64 s[8:9], s[12:13]
; %bb.4070:
	s_mov_b32 s10, 0x7f800001
	s_xor_b64 s[4:5], exec, -1
; %bb.4071:
	s_or_b64 exec, exec, s[8:9]
	s_and_b64 s[4:5], s[4:5], exec
	s_or_saveexec_b64 s[6:7], s[6:7]
	v_mov_b32_e32 v1, s10
	s_xor_b64 exec, exec, s[6:7]
	s_cbranch_execz .LBB9_2022
.LBB9_4072:
	v_mov_b32_e32 v1, 0
	v_cmp_ne_u16_sdwa s[8:9], v3, v1 src0_sel:BYTE_0 src1_sel:DWORD
	s_andn2_b64 s[4:5], s[4:5], exec
	s_and_b64 s[8:9], s[8:9], exec
	s_or_b64 s[4:5], s[4:5], s[8:9]
	s_or_b64 exec, exec, s[6:7]
	s_and_saveexec_b64 s[6:7], s[4:5]
	s_cbranch_execnz .LBB9_2023
	s_branch .LBB9_2024
.LBB9_4073:
	s_movk_i32 s4, 0x80
	v_cmp_eq_u16_sdwa s[12:13], v1, s4 src0_sel:BYTE_0 src1_sel:DWORD
	s_mov_b64 s[4:5], -1
                                        ; implicit-def: $sgpr10
	s_and_saveexec_b64 s[8:9], s[12:13]
; %bb.4074:
	s_mov_b32 s10, 0x7f800001
	s_xor_b64 s[4:5], exec, -1
; %bb.4075:
	s_or_b64 exec, exec, s[8:9]
	s_and_b64 s[4:5], s[4:5], exec
	s_or_saveexec_b64 s[6:7], s[6:7]
	v_mov_b32_e32 v0, s10
	s_xor_b64 exec, exec, s[6:7]
	s_cbranch_execz .LBB9_2026
.LBB9_4076:
	v_mov_b32_e32 v0, 0
	v_cmp_ne_u16_sdwa s[8:9], v1, v0 src0_sel:BYTE_0 src1_sel:DWORD
	s_andn2_b64 s[4:5], s[4:5], exec
	s_and_b64 s[8:9], s[8:9], exec
	s_or_b64 s[4:5], s[4:5], s[8:9]
	s_or_b64 exec, exec, s[6:7]
	s_and_saveexec_b64 s[6:7], s[4:5]
	s_cbranch_execnz .LBB9_2027
	s_branch .LBB9_2028
.LBB9_4077:
	s_movk_i32 s4, 0x80
	v_cmp_eq_u16_sdwa s[12:13], v1, s4 src0_sel:BYTE_0 src1_sel:DWORD
	s_mov_b64 s[4:5], -1
                                        ; implicit-def: $sgpr10
	s_and_saveexec_b64 s[8:9], s[12:13]
; %bb.4078:
	s_mov_b32 s10, 0x7f800001
	s_xor_b64 s[4:5], exec, -1
; %bb.4079:
	s_or_b64 exec, exec, s[8:9]
	s_and_b64 s[4:5], s[4:5], exec
	s_or_saveexec_b64 s[6:7], s[6:7]
	v_mov_b32_e32 v2, s10
	s_xor_b64 exec, exec, s[6:7]
	s_cbranch_execz .LBB9_2030
.LBB9_4080:
	v_mov_b32_e32 v2, 0
	v_cmp_ne_u16_sdwa s[8:9], v1, v2 src0_sel:BYTE_0 src1_sel:DWORD
	s_andn2_b64 s[4:5], s[4:5], exec
	s_and_b64 s[8:9], s[8:9], exec
	s_or_b64 s[4:5], s[4:5], s[8:9]
	s_or_b64 exec, exec, s[6:7]
	s_and_saveexec_b64 s[6:7], s[4:5]
	s_cbranch_execnz .LBB9_2031
	s_branch .LBB9_2032
.LBB9_4081:
	s_movk_i32 s4, 0x80
	v_cmp_eq_u16_e32 vcc, s4, v1
	s_mov_b64 s[4:5], -1
                                        ; implicit-def: $sgpr10
	s_and_saveexec_b64 s[8:9], vcc
; %bb.4082:
	s_mov_b32 s10, 0x7f800001
	s_xor_b64 s[4:5], exec, -1
; %bb.4083:
	s_or_b64 exec, exec, s[8:9]
	s_and_b64 s[4:5], s[4:5], exec
                                        ; implicit-def: $vgpr1
	s_or_saveexec_b64 s[6:7], s[6:7]
	v_mov_b32_e32 v0, s10
	s_xor_b64 exec, exec, s[6:7]
	s_cbranch_execz .LBB9_2034
.LBB9_4084:
	v_cmp_ne_u16_e32 vcc, 0, v1
	s_andn2_b64 s[4:5], s[4:5], exec
	s_and_b64 s[8:9], vcc, exec
	v_mov_b32_e32 v0, 0
	s_or_b64 s[4:5], s[4:5], s[8:9]
	s_or_b64 exec, exec, s[6:7]
	s_and_saveexec_b64 s[6:7], s[4:5]
	s_cbranch_execnz .LBB9_2035
	s_branch .LBB9_2036
.LBB9_4085:
	s_movk_i32 s4, 0x80
	v_cmp_eq_u16_e32 vcc, s4, v1
	s_mov_b64 s[4:5], -1
                                        ; implicit-def: $sgpr10
	s_and_saveexec_b64 s[8:9], vcc
; %bb.4086:
	s_mov_b32 s10, 0x7f800001
	s_xor_b64 s[4:5], exec, -1
; %bb.4087:
	s_or_b64 exec, exec, s[8:9]
	s_and_b64 s[4:5], s[4:5], exec
                                        ; implicit-def: $vgpr1
	s_or_saveexec_b64 s[6:7], s[6:7]
	v_mov_b32_e32 v2, s10
	s_xor_b64 exec, exec, s[6:7]
	s_cbranch_execz .LBB9_2038
.LBB9_4088:
	v_cmp_ne_u16_e32 vcc, 0, v1
	s_andn2_b64 s[4:5], s[4:5], exec
	s_and_b64 s[8:9], vcc, exec
	v_mov_b32_e32 v2, 0
	s_or_b64 s[4:5], s[4:5], s[8:9]
	s_or_b64 exec, exec, s[6:7]
	s_and_saveexec_b64 s[6:7], s[4:5]
	s_cbranch_execnz .LBB9_2039
	s_branch .LBB9_2040
.LBB9_4089:
	s_movk_i32 s4, 0x80
	v_cmp_eq_u16_sdwa s[12:13], v7, s4 src0_sel:BYTE_3 src1_sel:DWORD
	s_mov_b64 s[4:5], -1
                                        ; implicit-def: $sgpr10
	s_and_saveexec_b64 s[8:9], s[12:13]
; %bb.4090:
	s_mov_b32 s10, 0x7f800001
	s_xor_b64 s[4:5], exec, -1
; %bb.4091:
	s_or_b64 exec, exec, s[8:9]
	s_and_b64 s[4:5], s[4:5], exec
	s_or_saveexec_b64 s[6:7], s[6:7]
	v_mov_b32_e32 v0, s10
	s_xor_b64 exec, exec, s[6:7]
	s_cbranch_execz .LBB9_2042
.LBB9_4092:
	v_mov_b32_e32 v0, 0
	v_cmp_ne_u16_sdwa s[8:9], v7, v0 src0_sel:BYTE_3 src1_sel:DWORD
	s_andn2_b64 s[4:5], s[4:5], exec
	s_and_b64 s[8:9], s[8:9], exec
	s_or_b64 s[4:5], s[4:5], s[8:9]
	s_or_b64 exec, exec, s[6:7]
	s_and_saveexec_b64 s[6:7], s[4:5]
	s_cbranch_execnz .LBB9_2043
	s_branch .LBB9_2044
.LBB9_4093:
	s_movk_i32 s4, 0x80
	v_cmp_eq_u16_sdwa s[12:13], v3, s4 src0_sel:BYTE_3 src1_sel:DWORD
	s_mov_b64 s[4:5], -1
                                        ; implicit-def: $sgpr10
	s_and_saveexec_b64 s[8:9], s[12:13]
; %bb.4094:
	s_mov_b32 s10, 0x7f800001
	s_xor_b64 s[4:5], exec, -1
; %bb.4095:
	s_or_b64 exec, exec, s[8:9]
	s_and_b64 s[4:5], s[4:5], exec
	s_or_saveexec_b64 s[6:7], s[6:7]
	v_mov_b32_e32 v1, s10
	s_xor_b64 exec, exec, s[6:7]
	s_cbranch_execz .LBB9_2046
.LBB9_4096:
	v_mov_b32_e32 v1, 0
	v_cmp_ne_u16_sdwa s[8:9], v3, v1 src0_sel:BYTE_3 src1_sel:DWORD
	s_andn2_b64 s[4:5], s[4:5], exec
	s_and_b64 s[8:9], s[8:9], exec
	s_or_b64 s[4:5], s[4:5], s[8:9]
	s_or_b64 exec, exec, s[6:7]
	s_and_saveexec_b64 s[6:7], s[4:5]
	s_cbranch_execnz .LBB9_2047
	s_branch .LBB9_2048
.Lfunc_end9:
	.size	_ZNK2ck6detail7applierIiJLi0ELi1ELi2ELi3ELi4ELi5ELi6ELi7EEEclIZNKS_11static_fordINS_8SequenceIJLi1ELi8EEEENS5_IJLi0ELi1EEEEEclIZZZNKS_52BlockwiseGemmXdlops_pipeline_bpreshuffle_bdequant_v3ILNS_26BlockGemmPipelineSchedulerE0ELi256ENS_9f8_fnuz_tENS_7pk_i4_tESC_fNS_16TensorDescriptorINS_5TupleIJNS_5EmbedINSF_IJNS_17integral_constantIiLi8EEENSH_IiLi256EEENSH_IiLi16EEEEEENSF_IJSK_NSH_IiLi128EEENSH_IiLi1EEEEEELb0EEENS_3XorINSF_IJSJ_SI_EEELb1EEENS_11PassThroughISK_EENS_7UnMergeINSF_IJSI_SN_EEELb0EEENST_ISJ_EESU_NST_ISI_EENS_21Merge_v3_division_modINSF_IJSJ_SN_EEEEESU_EEENSF_IJNS5_IJLi0EEEENS5_IJLi2ELi1EEEENS5_IJLi3EEEENS5_IJLi5EEEENS5_IJLi4EEEENS5_IJLi6EEEENS5_IJLi7EEEENS5_IJLi9ELi8EEEENS5_IJLi10EEEEEEENSF_IJNS5_IJLi1ELi2ELi3EEEENS5_IJLi4ELi5EEEES19_NS5_IJLi7ELi8EEEENS5_IJLi9EEEES1C_NS5_IJLi11EEEENS5_IJLi12EEEENS5_IJLi13EEEEEEENS5_IJLi11ELi12ELi13EEEENSH_IlLl32768EEEEENSE_INSF_IJNSV_INSF_IJSI_SN_SN_NSH_IiLi32EEEEEELb0EEEEEENSF_IJS14_EEENSF_IJNS5_IJLi1ELi2ELi3ELi4EEEEEEES1U_NSH_IlLl256EEEEENSE_INSF_IJSP_SS_SU_SX_SY_SU_SZ_S12_SU_NS10_INSF_IJSI_SK_EEEEENSV_INSF_IJSI_NSH_IiLi2EEESK_EEELb0EEEEEENSF_IJS14_S15_S16_S17_S18_S19_S1A_S1B_S1C_NS5_IJLi11ELi13EEEES1J_EEENSF_IJS1E_S1F_S19_S1G_S1H_S1C_S1I_S1J_S1K_NS5_IJLi14EEEENS5_IJLi15ELi16ELi17EEEEEEENS5_IJLi15ELi16ELi17ELi14EEEES1N_EENSE_INSF_IJS1R_NS10_ISW_EES22_EEENSF_IJS14_NS5_IJLi1ELi3EEEENS5_IJLi2EEEEEEENSF_IJS1U_S17_NS5_IJLi6ELi7ELi8EEEEEEENS5_IJLi6ELi7ELi8ELi5EEEES1W_EELi16ELi32ELi256ELi256ELi128ELi16ELi16ELi8ELi8ELi32ELb0EE3RunILb1ELNS_10TailNumberE0ENSE_INSF_IJNSG_INSF_IJiiEEENSF_IJiSN_EEELb0EEENSV_IS2N_Lb0EEENST_IiEEEEENSF_IJS14_S2E_NS5_IJLi1EEEEEEENSF_IJNS5_IJLi1ELi2EEEENS5_IJLi3ELi4EEEES17_EEENS5_IJLi3ELi5ELi4EEEElEES1O_NS_35ThreadGroupTensorSliceTransfer_v4r1INS_15ThisThreadBlockILi256EEENS_16tensor_operation12element_wise11PassThroughES35_LNS_25InMemoryDataOperationEnumE0ENS5_IJLi8ELi256ELi16EEEENS5_IJLi8ELi32ELi1EEEENS5_IJLi1ELi0ELi2EEEESC_SC_RKS2Z_KS1O_S39_NS5_IJLi0ELi1ELi2EEEELi2ELi2ELi16ELi16ELi1ELi1ELb0ELb1ELi2EiEENS_13DynamicBufferILNS_16AddressSpaceEnumE1EKSC_lLb1ELNS_22AmdBufferCoherenceEnumE0EiEENSF_IJNS3F_ILS3G_2ESC_S1N_Lb1ELS3I_0EiEES3K_EEENSF_IJiiiEEENSE_INSF_IJNSG_INSF_IJiiiiEEENSF_IJiiiSN_EEELb0EEEEEES1T_S1V_S1U_lEENS_32ThreadwiseTensorSliceTransfer_v2ISD_SD_RKS3R_KS1X_NS5_IJLi8ELi1ELi1ELi32EEEENS5_IJLi1ELi2ELi0ELi3EEEELi3ELi32ELi0ELb1ELb0ELb0EEENS3F_ILS3G_1EKSD_lLb1ELS3I_0EiEENSF_IJNS_12StaticBufferILS3G_4ESD_Li256ELb1EEES42_EEES3N_NS_25StaticBufferTupleOfVectorILS3G_4EfLi64ELi4ELb1ELb0EEEEEvRKT1_RKT2_RT3_RKT4_RT5_RKT6_RKT7_RT8_RKT9_RT10_RKT11_RT12_iENKUlT_T0_E_clINSH_IiLi0EEESN_EEDaS51_S52_ENKUlS51_E_clINSH_IiLi7EEEEEDaS51_EUlS51_E_EEvS51_EUlS51_E_EEvS51_, .Lfunc_end9-_ZNK2ck6detail7applierIiJLi0ELi1ELi2ELi3ELi4ELi5ELi6ELi7EEEclIZNKS_11static_fordINS_8SequenceIJLi1ELi8EEEENS5_IJLi0ELi1EEEEEclIZZZNKS_52BlockwiseGemmXdlops_pipeline_bpreshuffle_bdequant_v3ILNS_26BlockGemmPipelineSchedulerE0ELi256ENS_9f8_fnuz_tENS_7pk_i4_tESC_fNS_16TensorDescriptorINS_5TupleIJNS_5EmbedINSF_IJNS_17integral_constantIiLi8EEENSH_IiLi256EEENSH_IiLi16EEEEEENSF_IJSK_NSH_IiLi128EEENSH_IiLi1EEEEEELb0EEENS_3XorINSF_IJSJ_SI_EEELb1EEENS_11PassThroughISK_EENS_7UnMergeINSF_IJSI_SN_EEELb0EEENST_ISJ_EESU_NST_ISI_EENS_21Merge_v3_division_modINSF_IJSJ_SN_EEEEESU_EEENSF_IJNS5_IJLi0EEEENS5_IJLi2ELi1EEEENS5_IJLi3EEEENS5_IJLi5EEEENS5_IJLi4EEEENS5_IJLi6EEEENS5_IJLi7EEEENS5_IJLi9ELi8EEEENS5_IJLi10EEEEEEENSF_IJNS5_IJLi1ELi2ELi3EEEENS5_IJLi4ELi5EEEES19_NS5_IJLi7ELi8EEEENS5_IJLi9EEEES1C_NS5_IJLi11EEEENS5_IJLi12EEEENS5_IJLi13EEEEEEENS5_IJLi11ELi12ELi13EEEENSH_IlLl32768EEEEENSE_INSF_IJNSV_INSF_IJSI_SN_SN_NSH_IiLi32EEEEEELb0EEEEEENSF_IJS14_EEENSF_IJNS5_IJLi1ELi2ELi3ELi4EEEEEEES1U_NSH_IlLl256EEEEENSE_INSF_IJSP_SS_SU_SX_SY_SU_SZ_S12_SU_NS10_INSF_IJSI_SK_EEEEENSV_INSF_IJSI_NSH_IiLi2EEESK_EEELb0EEEEEENSF_IJS14_S15_S16_S17_S18_S19_S1A_S1B_S1C_NS5_IJLi11ELi13EEEES1J_EEENSF_IJS1E_S1F_S19_S1G_S1H_S1C_S1I_S1J_S1K_NS5_IJLi14EEEENS5_IJLi15ELi16ELi17EEEEEEENS5_IJLi15ELi16ELi17ELi14EEEES1N_EENSE_INSF_IJS1R_NS10_ISW_EES22_EEENSF_IJS14_NS5_IJLi1ELi3EEEENS5_IJLi2EEEEEEENSF_IJS1U_S17_NS5_IJLi6ELi7ELi8EEEEEEENS5_IJLi6ELi7ELi8ELi5EEEES1W_EELi16ELi32ELi256ELi256ELi128ELi16ELi16ELi8ELi8ELi32ELb0EE3RunILb1ELNS_10TailNumberE0ENSE_INSF_IJNSG_INSF_IJiiEEENSF_IJiSN_EEELb0EEENSV_IS2N_Lb0EEENST_IiEEEEENSF_IJS14_S2E_NS5_IJLi1EEEEEEENSF_IJNS5_IJLi1ELi2EEEENS5_IJLi3ELi4EEEES17_EEENS5_IJLi3ELi5ELi4EEEElEES1O_NS_35ThreadGroupTensorSliceTransfer_v4r1INS_15ThisThreadBlockILi256EEENS_16tensor_operation12element_wise11PassThroughES35_LNS_25InMemoryDataOperationEnumE0ENS5_IJLi8ELi256ELi16EEEENS5_IJLi8ELi32ELi1EEEENS5_IJLi1ELi0ELi2EEEESC_SC_RKS2Z_KS1O_S39_NS5_IJLi0ELi1ELi2EEEELi2ELi2ELi16ELi16ELi1ELi1ELb0ELb1ELi2EiEENS_13DynamicBufferILNS_16AddressSpaceEnumE1EKSC_lLb1ELNS_22AmdBufferCoherenceEnumE0EiEENSF_IJNS3F_ILS3G_2ESC_S1N_Lb1ELS3I_0EiEES3K_EEENSF_IJiiiEEENSE_INSF_IJNSG_INSF_IJiiiiEEENSF_IJiiiSN_EEELb0EEEEEES1T_S1V_S1U_lEENS_32ThreadwiseTensorSliceTransfer_v2ISD_SD_RKS3R_KS1X_NS5_IJLi8ELi1ELi1ELi32EEEENS5_IJLi1ELi2ELi0ELi3EEEELi3ELi32ELi0ELb1ELb0ELb0EEENS3F_ILS3G_1EKSD_lLb1ELS3I_0EiEENSF_IJNS_12StaticBufferILS3G_4ESD_Li256ELb1EEES42_EEES3N_NS_25StaticBufferTupleOfVectorILS3G_4EfLi64ELi4ELb1ELb0EEEEEvRKT1_RKT2_RT3_RKT4_RT5_RKT6_RKT7_RT8_RKT9_RT10_RKT11_RT12_iENKUlT_T0_E_clINSH_IiLi0EEESN_EEDaS51_S52_ENKUlS51_E_clINSH_IiLi7EEEEEDaS51_EUlS51_E_EEvS51_EUlS51_E_EEvS51_
                                        ; -- End function
	.section	.AMDGPU.csdata,"",@progbits
; Function info:
; codeLenInByte = 133608
; NumSgprs: 36
; NumVgprs: 26
; NumAgprs: 4
; TotalNumVgprs: 32
; ScratchSize: 0
; MemoryBound: 1
	.text
	.p2align	2                               ; -- Begin function _ZNK2ck6detail7applierIiJLi0ELi1ELi2ELi3ELi4ELi5ELi6ELi7EEEclIZNKS_11static_fordINS_8SequenceIJLi1ELi8EEEENS5_IJLi0ELi1EEEEEclIZZZNKS_52BlockwiseGemmXdlops_pipeline_bpreshuffle_bdequant_v3ILNS_26BlockGemmPipelineSchedulerE0ELi256ENS_9f8_fnuz_tENS_7pk_i4_tESC_fNS_16TensorDescriptorINS_5TupleIJNS_5EmbedINSF_IJNS_17integral_constantIiLi8EEENSH_IiLi256EEENSH_IiLi16EEEEEENSF_IJSK_NSH_IiLi128EEENSH_IiLi1EEEEEELb0EEENS_3XorINSF_IJSJ_SI_EEELb1EEENS_11PassThroughISK_EENS_7UnMergeINSF_IJSI_SN_EEELb0EEENST_ISJ_EESU_NST_ISI_EENS_21Merge_v3_division_modINSF_IJSJ_SN_EEEEESU_EEENSF_IJNS5_IJLi0EEEENS5_IJLi2ELi1EEEENS5_IJLi3EEEENS5_IJLi5EEEENS5_IJLi4EEEENS5_IJLi6EEEENS5_IJLi7EEEENS5_IJLi9ELi8EEEENS5_IJLi10EEEEEEENSF_IJNS5_IJLi1ELi2ELi3EEEENS5_IJLi4ELi5EEEES19_NS5_IJLi7ELi8EEEENS5_IJLi9EEEES1C_NS5_IJLi11EEEENS5_IJLi12EEEENS5_IJLi13EEEEEEENS5_IJLi11ELi12ELi13EEEENSH_IlLl32768EEEEENSE_INSF_IJNSV_INSF_IJSI_SN_SN_NSH_IiLi32EEEEEELb0EEEEEENSF_IJS14_EEENSF_IJNS5_IJLi1ELi2ELi3ELi4EEEEEEES1U_NSH_IlLl256EEEEENSE_INSF_IJSP_SS_SU_SX_SY_SU_SZ_S12_SU_NS10_INSF_IJSI_SK_EEEEENSV_INSF_IJSI_NSH_IiLi2EEESK_EEELb0EEEEEENSF_IJS14_S15_S16_S17_S18_S19_S1A_S1B_S1C_NS5_IJLi11ELi13EEEES1J_EEENSF_IJS1E_S1F_S19_S1G_S1H_S1C_S1I_S1J_S1K_NS5_IJLi14EEEENS5_IJLi15ELi16ELi17EEEEEEENS5_IJLi15ELi16ELi17ELi14EEEES1N_EENSE_INSF_IJS1R_NS10_ISW_EES22_EEENSF_IJS14_NS5_IJLi1ELi3EEEENS5_IJLi2EEEEEEENSF_IJS1U_S17_NS5_IJLi6ELi7ELi8EEEEEEENS5_IJLi6ELi7ELi8ELi5EEEES1W_EELi16ELi32ELi256ELi256ELi128ELi16ELi16ELi8ELi8ELi32ELb0EE3RunILb1ELNS_10TailNumberE0ENSE_INSF_IJNSG_INSF_IJiiEEENSF_IJiSN_EEELb0EEENSV_IS2N_Lb0EEENST_IiEEEEENSF_IJS14_S2E_NS5_IJLi1EEEEEEENSF_IJNS5_IJLi1ELi2EEEENS5_IJLi3ELi4EEEES17_EEENS5_IJLi3ELi5ELi4EEEElEES1O_NS_35ThreadGroupTensorSliceTransfer_v4r1INS_15ThisThreadBlockILi256EEENS_16tensor_operation12element_wise11PassThroughES35_LNS_25InMemoryDataOperationEnumE0ENS5_IJLi8ELi256ELi16EEEENS5_IJLi8ELi32ELi1EEEENS5_IJLi1ELi0ELi2EEEESC_SC_RKS2Z_KS1O_S39_NS5_IJLi0ELi1ELi2EEEELi2ELi2ELi16ELi16ELi1ELi1ELb0ELb1ELi2EiEENS_13DynamicBufferILNS_16AddressSpaceEnumE1EKSC_lLb1ELNS_22AmdBufferCoherenceEnumE0EiEENSF_IJNS3F_ILS3G_2ESC_S1N_Lb1ELS3I_0EiEES3K_EEENSF_IJiiiEEENSE_INSF_IJNSG_INSF_IJiiiiEEENSF_IJiiiSN_EEELb0EEEEEES1T_S1V_S1U_lEENS_32ThreadwiseTensorSliceTransfer_v2ISD_SD_RKS3R_KS1X_NS5_IJLi8ELi1ELi1ELi32EEEENS5_IJLi1ELi2ELi0ELi3EEEELi3ELi32ELi0ELb1ELb0ELb0EEENS3F_ILS3G_1EKSD_lLb1ELS3I_0EiEENSF_IJNS_12StaticBufferILS3G_4ESD_Li256ELb1EEES42_EEES3N_NS_25StaticBufferTupleOfVectorILS3G_4EfLi64ELi4ELb1ELb0EEEEEvRKT1_RKT2_RT3_RKT4_RT5_RKT6_RKT7_RT8_RKT9_RT10_RKT11_RT12_iENKUlT_T0_E_clISN_NSH_IiLi0EEEEEDaS51_S52_ENKUlS51_E_clIS55_EEDaS51_EUlS51_E_EEvS51_EUlS51_E_EEvS51_
	.type	_ZNK2ck6detail7applierIiJLi0ELi1ELi2ELi3ELi4ELi5ELi6ELi7EEEclIZNKS_11static_fordINS_8SequenceIJLi1ELi8EEEENS5_IJLi0ELi1EEEEEclIZZZNKS_52BlockwiseGemmXdlops_pipeline_bpreshuffle_bdequant_v3ILNS_26BlockGemmPipelineSchedulerE0ELi256ENS_9f8_fnuz_tENS_7pk_i4_tESC_fNS_16TensorDescriptorINS_5TupleIJNS_5EmbedINSF_IJNS_17integral_constantIiLi8EEENSH_IiLi256EEENSH_IiLi16EEEEEENSF_IJSK_NSH_IiLi128EEENSH_IiLi1EEEEEELb0EEENS_3XorINSF_IJSJ_SI_EEELb1EEENS_11PassThroughISK_EENS_7UnMergeINSF_IJSI_SN_EEELb0EEENST_ISJ_EESU_NST_ISI_EENS_21Merge_v3_division_modINSF_IJSJ_SN_EEEEESU_EEENSF_IJNS5_IJLi0EEEENS5_IJLi2ELi1EEEENS5_IJLi3EEEENS5_IJLi5EEEENS5_IJLi4EEEENS5_IJLi6EEEENS5_IJLi7EEEENS5_IJLi9ELi8EEEENS5_IJLi10EEEEEEENSF_IJNS5_IJLi1ELi2ELi3EEEENS5_IJLi4ELi5EEEES19_NS5_IJLi7ELi8EEEENS5_IJLi9EEEES1C_NS5_IJLi11EEEENS5_IJLi12EEEENS5_IJLi13EEEEEEENS5_IJLi11ELi12ELi13EEEENSH_IlLl32768EEEEENSE_INSF_IJNSV_INSF_IJSI_SN_SN_NSH_IiLi32EEEEEELb0EEEEEENSF_IJS14_EEENSF_IJNS5_IJLi1ELi2ELi3ELi4EEEEEEES1U_NSH_IlLl256EEEEENSE_INSF_IJSP_SS_SU_SX_SY_SU_SZ_S12_SU_NS10_INSF_IJSI_SK_EEEEENSV_INSF_IJSI_NSH_IiLi2EEESK_EEELb0EEEEEENSF_IJS14_S15_S16_S17_S18_S19_S1A_S1B_S1C_NS5_IJLi11ELi13EEEES1J_EEENSF_IJS1E_S1F_S19_S1G_S1H_S1C_S1I_S1J_S1K_NS5_IJLi14EEEENS5_IJLi15ELi16ELi17EEEEEEENS5_IJLi15ELi16ELi17ELi14EEEES1N_EENSE_INSF_IJS1R_NS10_ISW_EES22_EEENSF_IJS14_NS5_IJLi1ELi3EEEENS5_IJLi2EEEEEEENSF_IJS1U_S17_NS5_IJLi6ELi7ELi8EEEEEEENS5_IJLi6ELi7ELi8ELi5EEEES1W_EELi16ELi32ELi256ELi256ELi128ELi16ELi16ELi8ELi8ELi32ELb0EE3RunILb1ELNS_10TailNumberE0ENSE_INSF_IJNSG_INSF_IJiiEEENSF_IJiSN_EEELb0EEENSV_IS2N_Lb0EEENST_IiEEEEENSF_IJS14_S2E_NS5_IJLi1EEEEEEENSF_IJNS5_IJLi1ELi2EEEENS5_IJLi3ELi4EEEES17_EEENS5_IJLi3ELi5ELi4EEEElEES1O_NS_35ThreadGroupTensorSliceTransfer_v4r1INS_15ThisThreadBlockILi256EEENS_16tensor_operation12element_wise11PassThroughES35_LNS_25InMemoryDataOperationEnumE0ENS5_IJLi8ELi256ELi16EEEENS5_IJLi8ELi32ELi1EEEENS5_IJLi1ELi0ELi2EEEESC_SC_RKS2Z_KS1O_S39_NS5_IJLi0ELi1ELi2EEEELi2ELi2ELi16ELi16ELi1ELi1ELb0ELb1ELi2EiEENS_13DynamicBufferILNS_16AddressSpaceEnumE1EKSC_lLb1ELNS_22AmdBufferCoherenceEnumE0EiEENSF_IJNS3F_ILS3G_2ESC_S1N_Lb1ELS3I_0EiEES3K_EEENSF_IJiiiEEENSE_INSF_IJNSG_INSF_IJiiiiEEENSF_IJiiiSN_EEELb0EEEEEES1T_S1V_S1U_lEENS_32ThreadwiseTensorSliceTransfer_v2ISD_SD_RKS3R_KS1X_NS5_IJLi8ELi1ELi1ELi32EEEENS5_IJLi1ELi2ELi0ELi3EEEELi3ELi32ELi0ELb1ELb0ELb0EEENS3F_ILS3G_1EKSD_lLb1ELS3I_0EiEENSF_IJNS_12StaticBufferILS3G_4ESD_Li256ELb1EEES42_EEES3N_NS_25StaticBufferTupleOfVectorILS3G_4EfLi64ELi4ELb1ELb0EEEEEvRKT1_RKT2_RT3_RKT4_RT5_RKT6_RKT7_RT8_RKT9_RT10_RKT11_RT12_iENKUlT_T0_E_clISN_NSH_IiLi0EEEEEDaS51_S52_ENKUlS51_E_clIS55_EEDaS51_EUlS51_E_EEvS51_EUlS51_E_EEvS51_,@function
_ZNK2ck6detail7applierIiJLi0ELi1ELi2ELi3ELi4ELi5ELi6ELi7EEEclIZNKS_11static_fordINS_8SequenceIJLi1ELi8EEEENS5_IJLi0ELi1EEEEEclIZZZNKS_52BlockwiseGemmXdlops_pipeline_bpreshuffle_bdequant_v3ILNS_26BlockGemmPipelineSchedulerE0ELi256ENS_9f8_fnuz_tENS_7pk_i4_tESC_fNS_16TensorDescriptorINS_5TupleIJNS_5EmbedINSF_IJNS_17integral_constantIiLi8EEENSH_IiLi256EEENSH_IiLi16EEEEEENSF_IJSK_NSH_IiLi128EEENSH_IiLi1EEEEEELb0EEENS_3XorINSF_IJSJ_SI_EEELb1EEENS_11PassThroughISK_EENS_7UnMergeINSF_IJSI_SN_EEELb0EEENST_ISJ_EESU_NST_ISI_EENS_21Merge_v3_division_modINSF_IJSJ_SN_EEEEESU_EEENSF_IJNS5_IJLi0EEEENS5_IJLi2ELi1EEEENS5_IJLi3EEEENS5_IJLi5EEEENS5_IJLi4EEEENS5_IJLi6EEEENS5_IJLi7EEEENS5_IJLi9ELi8EEEENS5_IJLi10EEEEEEENSF_IJNS5_IJLi1ELi2ELi3EEEENS5_IJLi4ELi5EEEES19_NS5_IJLi7ELi8EEEENS5_IJLi9EEEES1C_NS5_IJLi11EEEENS5_IJLi12EEEENS5_IJLi13EEEEEEENS5_IJLi11ELi12ELi13EEEENSH_IlLl32768EEEEENSE_INSF_IJNSV_INSF_IJSI_SN_SN_NSH_IiLi32EEEEEELb0EEEEEENSF_IJS14_EEENSF_IJNS5_IJLi1ELi2ELi3ELi4EEEEEEES1U_NSH_IlLl256EEEEENSE_INSF_IJSP_SS_SU_SX_SY_SU_SZ_S12_SU_NS10_INSF_IJSI_SK_EEEEENSV_INSF_IJSI_NSH_IiLi2EEESK_EEELb0EEEEEENSF_IJS14_S15_S16_S17_S18_S19_S1A_S1B_S1C_NS5_IJLi11ELi13EEEES1J_EEENSF_IJS1E_S1F_S19_S1G_S1H_S1C_S1I_S1J_S1K_NS5_IJLi14EEEENS5_IJLi15ELi16ELi17EEEEEEENS5_IJLi15ELi16ELi17ELi14EEEES1N_EENSE_INSF_IJS1R_NS10_ISW_EES22_EEENSF_IJS14_NS5_IJLi1ELi3EEEENS5_IJLi2EEEEEEENSF_IJS1U_S17_NS5_IJLi6ELi7ELi8EEEEEEENS5_IJLi6ELi7ELi8ELi5EEEES1W_EELi16ELi32ELi256ELi256ELi128ELi16ELi16ELi8ELi8ELi32ELb0EE3RunILb1ELNS_10TailNumberE0ENSE_INSF_IJNSG_INSF_IJiiEEENSF_IJiSN_EEELb0EEENSV_IS2N_Lb0EEENST_IiEEEEENSF_IJS14_S2E_NS5_IJLi1EEEEEEENSF_IJNS5_IJLi1ELi2EEEENS5_IJLi3ELi4EEEES17_EEENS5_IJLi3ELi5ELi4EEEElEES1O_NS_35ThreadGroupTensorSliceTransfer_v4r1INS_15ThisThreadBlockILi256EEENS_16tensor_operation12element_wise11PassThroughES35_LNS_25InMemoryDataOperationEnumE0ENS5_IJLi8ELi256ELi16EEEENS5_IJLi8ELi32ELi1EEEENS5_IJLi1ELi0ELi2EEEESC_SC_RKS2Z_KS1O_S39_NS5_IJLi0ELi1ELi2EEEELi2ELi2ELi16ELi16ELi1ELi1ELb0ELb1ELi2EiEENS_13DynamicBufferILNS_16AddressSpaceEnumE1EKSC_lLb1ELNS_22AmdBufferCoherenceEnumE0EiEENSF_IJNS3F_ILS3G_2ESC_S1N_Lb1ELS3I_0EiEES3K_EEENSF_IJiiiEEENSE_INSF_IJNSG_INSF_IJiiiiEEENSF_IJiiiSN_EEELb0EEEEEES1T_S1V_S1U_lEENS_32ThreadwiseTensorSliceTransfer_v2ISD_SD_RKS3R_KS1X_NS5_IJLi8ELi1ELi1ELi32EEEENS5_IJLi1ELi2ELi0ELi3EEEELi3ELi32ELi0ELb1ELb0ELb0EEENS3F_ILS3G_1EKSD_lLb1ELS3I_0EiEENSF_IJNS_12StaticBufferILS3G_4ESD_Li256ELb1EEES42_EEES3N_NS_25StaticBufferTupleOfVectorILS3G_4EfLi64ELi4ELb1ELb0EEEEEvRKT1_RKT2_RT3_RKT4_RT5_RKT6_RKT7_RT8_RKT9_RT10_RKT11_RT12_iENKUlT_T0_E_clISN_NSH_IiLi0EEEEEDaS51_S52_ENKUlS51_E_clIS55_EEDaS51_EUlS51_E_EEvS51_EUlS51_E_EEvS51_: ; @_ZNK2ck6detail7applierIiJLi0ELi1ELi2ELi3ELi4ELi5ELi6ELi7EEEclIZNKS_11static_fordINS_8SequenceIJLi1ELi8EEEENS5_IJLi0ELi1EEEEEclIZZZNKS_52BlockwiseGemmXdlops_pipeline_bpreshuffle_bdequant_v3ILNS_26BlockGemmPipelineSchedulerE0ELi256ENS_9f8_fnuz_tENS_7pk_i4_tESC_fNS_16TensorDescriptorINS_5TupleIJNS_5EmbedINSF_IJNS_17integral_constantIiLi8EEENSH_IiLi256EEENSH_IiLi16EEEEEENSF_IJSK_NSH_IiLi128EEENSH_IiLi1EEEEEELb0EEENS_3XorINSF_IJSJ_SI_EEELb1EEENS_11PassThroughISK_EENS_7UnMergeINSF_IJSI_SN_EEELb0EEENST_ISJ_EESU_NST_ISI_EENS_21Merge_v3_division_modINSF_IJSJ_SN_EEEEESU_EEENSF_IJNS5_IJLi0EEEENS5_IJLi2ELi1EEEENS5_IJLi3EEEENS5_IJLi5EEEENS5_IJLi4EEEENS5_IJLi6EEEENS5_IJLi7EEEENS5_IJLi9ELi8EEEENS5_IJLi10EEEEEEENSF_IJNS5_IJLi1ELi2ELi3EEEENS5_IJLi4ELi5EEEES19_NS5_IJLi7ELi8EEEENS5_IJLi9EEEES1C_NS5_IJLi11EEEENS5_IJLi12EEEENS5_IJLi13EEEEEEENS5_IJLi11ELi12ELi13EEEENSH_IlLl32768EEEEENSE_INSF_IJNSV_INSF_IJSI_SN_SN_NSH_IiLi32EEEEEELb0EEEEEENSF_IJS14_EEENSF_IJNS5_IJLi1ELi2ELi3ELi4EEEEEEES1U_NSH_IlLl256EEEEENSE_INSF_IJSP_SS_SU_SX_SY_SU_SZ_S12_SU_NS10_INSF_IJSI_SK_EEEEENSV_INSF_IJSI_NSH_IiLi2EEESK_EEELb0EEEEEENSF_IJS14_S15_S16_S17_S18_S19_S1A_S1B_S1C_NS5_IJLi11ELi13EEEES1J_EEENSF_IJS1E_S1F_S19_S1G_S1H_S1C_S1I_S1J_S1K_NS5_IJLi14EEEENS5_IJLi15ELi16ELi17EEEEEEENS5_IJLi15ELi16ELi17ELi14EEEES1N_EENSE_INSF_IJS1R_NS10_ISW_EES22_EEENSF_IJS14_NS5_IJLi1ELi3EEEENS5_IJLi2EEEEEEENSF_IJS1U_S17_NS5_IJLi6ELi7ELi8EEEEEEENS5_IJLi6ELi7ELi8ELi5EEEES1W_EELi16ELi32ELi256ELi256ELi128ELi16ELi16ELi8ELi8ELi32ELb0EE3RunILb1ELNS_10TailNumberE0ENSE_INSF_IJNSG_INSF_IJiiEEENSF_IJiSN_EEELb0EEENSV_IS2N_Lb0EEENST_IiEEEEENSF_IJS14_S2E_NS5_IJLi1EEEEEEENSF_IJNS5_IJLi1ELi2EEEENS5_IJLi3ELi4EEEES17_EEENS5_IJLi3ELi5ELi4EEEElEES1O_NS_35ThreadGroupTensorSliceTransfer_v4r1INS_15ThisThreadBlockILi256EEENS_16tensor_operation12element_wise11PassThroughES35_LNS_25InMemoryDataOperationEnumE0ENS5_IJLi8ELi256ELi16EEEENS5_IJLi8ELi32ELi1EEEENS5_IJLi1ELi0ELi2EEEESC_SC_RKS2Z_KS1O_S39_NS5_IJLi0ELi1ELi2EEEELi2ELi2ELi16ELi16ELi1ELi1ELb0ELb1ELi2EiEENS_13DynamicBufferILNS_16AddressSpaceEnumE1EKSC_lLb1ELNS_22AmdBufferCoherenceEnumE0EiEENSF_IJNS3F_ILS3G_2ESC_S1N_Lb1ELS3I_0EiEES3K_EEENSF_IJiiiEEENSE_INSF_IJNSG_INSF_IJiiiiEEENSF_IJiiiSN_EEELb0EEEEEES1T_S1V_S1U_lEENS_32ThreadwiseTensorSliceTransfer_v2ISD_SD_RKS3R_KS1X_NS5_IJLi8ELi1ELi1ELi32EEEENS5_IJLi1ELi2ELi0ELi3EEEELi3ELi32ELi0ELb1ELb0ELb0EEENS3F_ILS3G_1EKSD_lLb1ELS3I_0EiEENSF_IJNS_12StaticBufferILS3G_4ESD_Li256ELb1EEES42_EEES3N_NS_25StaticBufferTupleOfVectorILS3G_4EfLi64ELi4ELb1ELb0EEEEEvRKT1_RKT2_RT3_RKT4_RT5_RKT6_RKT7_RT8_RKT9_RT10_RKT11_RT12_iENKUlT_T0_E_clISN_NSH_IiLi0EEEEEDaS51_S52_ENKUlS51_E_clIS55_EEDaS51_EUlS51_E_EEvS51_EUlS51_E_EEvS51_
; %bb.0:
	s_waitcnt vmcnt(0) expcnt(0) lgkmcnt(0)
	flat_load_dwordx4 v[20:23], v[0:1] offset:16
	flat_load_dwordx2 v[18:19], v[0:1] offset:32
	s_movk_i32 s4, 0x7f
                                        ; implicit-def: $sgpr10
	s_waitcnt vmcnt(0) lgkmcnt(0)
	flat_load_dwordx4 v[14:17], v[20:21]
	flat_load_dwordx4 v[6:9], v[20:21] offset:16
	flat_load_dwordx4 v[10:13], v[22:23] offset:256
	;; [unrolled: 1-line block ×3, first 2 shown]
	s_waitcnt vmcnt(0) lgkmcnt(0)
	v_cmp_gt_i16_sdwa s[6:7], v14, s4 src0_sel:BYTE_0 src1_sel:DWORD
	s_mov_b64 s[4:5], 0
	s_and_saveexec_b64 s[8:9], s[6:7]
	s_xor_b64 s[6:7], exec, s[8:9]
	s_cbranch_execnz .LBB10_2049
; %bb.1:
	s_or_saveexec_b64 s[6:7], s[6:7]
	v_mov_b32_e32 v20, s10
	s_xor_b64 exec, exec, s[6:7]
	s_cbranch_execnz .LBB10_2052
.LBB10_2:
	s_or_b64 exec, exec, s[6:7]
	s_and_saveexec_b64 s[6:7], s[4:5]
	s_cbranch_execz .LBB10_4
.LBB10_3:
	v_and_b32_e32 v20, 7, v14
	v_ffbh_u32_e32 v22, v20
	v_min_u32_e32 v22, 32, v22
	v_lshrrev_b16_e32 v21, 3, v14
	v_subrev_u32_e32 v23, 28, v22
	v_and_b32_e32 v21, 15, v21
	v_lshlrev_b32_e32 v23, v23, v14
	v_sub_u32_e32 v22, 29, v22
	v_and_b32_e32 v23, 7, v23
	v_cmp_eq_u16_e32 vcc, 0, v21
	v_cndmask_b32_e32 v20, v20, v23, vcc
	v_cndmask_b32_e32 v21, v21, v22, vcc
	v_lshlrev_b32_e32 v22, 24, v14
	v_mov_b32_e32 v23, 0x3b800000
	v_lshlrev_b32_e32 v20, 20, v20
	v_and_b32_e32 v22, 0x80000000, v22
	v_lshl_add_u32 v21, v21, 23, v23
	v_or3_b32 v20, v22, v21, v20
.LBB10_4:
	s_or_b64 exec, exec, s[6:7]
	s_movk_i32 s4, 0x7f
	v_cmp_gt_i16_sdwa s[6:7], v10, s4 src0_sel:BYTE_0 src1_sel:DWORD
	s_mov_b64 s[4:5], 0
                                        ; implicit-def: $sgpr10
	s_and_saveexec_b64 s[8:9], s[6:7]
	s_xor_b64 s[6:7], exec, s[8:9]
	s_cbranch_execnz .LBB10_2053
; %bb.5:
	s_or_saveexec_b64 s[6:7], s[6:7]
	v_mov_b32_e32 v21, s10
	s_xor_b64 exec, exec, s[6:7]
	s_cbranch_execnz .LBB10_2056
.LBB10_6:
	s_or_b64 exec, exec, s[6:7]
	s_and_saveexec_b64 s[6:7], s[4:5]
	s_cbranch_execz .LBB10_8
.LBB10_7:
	v_and_b32_e32 v21, 7, v10
	v_ffbh_u32_e32 v23, v21
	v_min_u32_e32 v23, 32, v23
	v_lshrrev_b16_e32 v22, 3, v10
	v_subrev_u32_e32 v24, 28, v23
	v_and_b32_e32 v22, 15, v22
	v_lshlrev_b32_e32 v24, v24, v10
	v_sub_u32_e32 v23, 29, v23
	v_and_b32_e32 v24, 7, v24
	v_cmp_eq_u16_e32 vcc, 0, v22
	v_cndmask_b32_e32 v21, v21, v24, vcc
	v_cndmask_b32_e32 v22, v22, v23, vcc
	v_lshlrev_b32_e32 v23, 24, v10
	v_mov_b32_e32 v24, 0x3b800000
	v_lshlrev_b32_e32 v21, 20, v21
	v_and_b32_e32 v23, 0x80000000, v23
	v_lshl_add_u32 v22, v22, 23, v24
	v_or3_b32 v21, v23, v22, v21
.LBB10_8:
	s_or_b64 exec, exec, s[6:7]
	flat_load_dwordx4 a[0:3], v[18:19]
	s_movk_i32 s4, 0x7f
                                        ; implicit-def: $sgpr10
	s_waitcnt vmcnt(0) lgkmcnt(0)
	v_mfma_f32_16x16x4f32 a[0:3], v20, v21, a[0:3]
	v_lshrrev_b32_e32 v21, 8, v14
	v_cmp_gt_i16_sdwa s[6:7], v21, s4 src0_sel:BYTE_0 src1_sel:DWORD
	s_mov_b64 s[4:5], 0
	s_and_saveexec_b64 s[8:9], s[6:7]
	s_xor_b64 s[6:7], exec, s[8:9]
	s_cbranch_execnz .LBB10_2057
; %bb.9:
	s_or_saveexec_b64 s[6:7], s[6:7]
	v_mov_b32_e32 v20, s10
	s_xor_b64 exec, exec, s[6:7]
	s_cbranch_execnz .LBB10_2060
.LBB10_10:
	s_or_b64 exec, exec, s[6:7]
	s_and_saveexec_b64 s[6:7], s[4:5]
	s_cbranch_execz .LBB10_12
.LBB10_11:
	v_bfe_u32 v20, v14, 8, 3
	v_ffbh_u32_e32 v23, v20
	v_min_u32_e32 v23, 32, v23
	v_lshrrev_b16_e32 v22, 3, v21
	v_subrev_u32_e32 v24, 28, v23
	v_and_b32_e32 v22, 15, v22
	v_lshlrev_b32_e32 v21, v24, v21
	v_sub_u32_e32 v23, 29, v23
	v_and_b32_e32 v21, 7, v21
	v_cmp_eq_u16_e32 vcc, 0, v22
	v_cndmask_b32_e32 v20, v20, v21, vcc
	v_cndmask_b32_e32 v21, v22, v23, vcc
	v_lshlrev_b32_e32 v22, 16, v14
	v_mov_b32_e32 v23, 0x3b800000
	v_lshlrev_b32_e32 v20, 20, v20
	v_and_b32_e32 v22, 0x80000000, v22
	v_lshl_add_u32 v21, v21, 23, v23
	v_or3_b32 v20, v22, v21, v20
.LBB10_12:
	s_or_b64 exec, exec, s[6:7]
	v_lshrrev_b32_e32 v21, 8, v10
	s_movk_i32 s4, 0x7f
	v_cmp_gt_i16_sdwa s[6:7], v21, s4 src0_sel:BYTE_0 src1_sel:DWORD
	s_mov_b64 s[4:5], 0
                                        ; implicit-def: $sgpr10
	s_and_saveexec_b64 s[8:9], s[6:7]
	s_xor_b64 s[6:7], exec, s[8:9]
	s_cbranch_execnz .LBB10_2061
; %bb.13:
	s_or_saveexec_b64 s[6:7], s[6:7]
	v_mov_b32_e32 v22, s10
	s_xor_b64 exec, exec, s[6:7]
	s_cbranch_execnz .LBB10_2064
.LBB10_14:
	s_or_b64 exec, exec, s[6:7]
	s_and_saveexec_b64 s[6:7], s[4:5]
	s_cbranch_execz .LBB10_16
.LBB10_15:
	v_bfe_u32 v22, v10, 8, 3
	v_ffbh_u32_e32 v24, v22
	v_min_u32_e32 v24, 32, v24
	v_lshrrev_b16_e32 v23, 3, v21
	v_subrev_u32_e32 v25, 28, v24
	v_and_b32_e32 v23, 15, v23
	v_lshlrev_b32_e32 v21, v25, v21
	v_sub_u32_e32 v24, 29, v24
	v_and_b32_e32 v21, 7, v21
	v_cmp_eq_u16_e32 vcc, 0, v23
	v_cndmask_b32_e32 v21, v22, v21, vcc
	v_cndmask_b32_e32 v22, v23, v24, vcc
	v_lshlrev_b32_e32 v23, 16, v10
	v_mov_b32_e32 v24, 0x3b800000
	v_lshlrev_b32_e32 v21, 20, v21
	v_and_b32_e32 v23, 0x80000000, v23
	v_lshl_add_u32 v22, v22, 23, v24
	v_or3_b32 v22, v23, v22, v21
.LBB10_16:
	s_or_b64 exec, exec, s[6:7]
	s_nop 0
	v_mfma_f32_16x16x4f32 a[0:3], v20, v22, a[0:3]
	s_movk_i32 s4, 0xff
	v_and_b32_sdwa v21, v14, s4 dst_sel:DWORD dst_unused:UNUSED_PAD src0_sel:WORD_1 src1_sel:DWORD
	s_movk_i32 s4, 0x7f
	v_cmp_lt_i16_e32 vcc, s4, v21
	s_mov_b64 s[4:5], 0
                                        ; implicit-def: $sgpr10
	s_and_saveexec_b64 s[6:7], vcc
	s_xor_b64 s[6:7], exec, s[6:7]
	s_cbranch_execnz .LBB10_2065
; %bb.17:
	s_or_saveexec_b64 s[6:7], s[6:7]
	v_mov_b32_e32 v20, s10
	s_xor_b64 exec, exec, s[6:7]
	s_cbranch_execnz .LBB10_2068
.LBB10_18:
	s_or_b64 exec, exec, s[6:7]
	s_and_saveexec_b64 s[6:7], s[4:5]
	s_cbranch_execz .LBB10_20
.LBB10_19:
	v_bfe_u32 v20, v14, 16, 3
	v_ffbh_u32_e32 v23, v20
	v_min_u32_e32 v23, 32, v23
	v_lshrrev_b32_e32 v21, 19, v14
	v_subrev_u32_e32 v24, 28, v23
	v_and_b32_e32 v21, 15, v21
	v_lshlrev_b32_sdwa v24, v24, v14 dst_sel:DWORD dst_unused:UNUSED_PAD src0_sel:DWORD src1_sel:WORD_1
	v_bfe_u32 v22, v14, 19, 4
	v_sub_u32_e32 v23, 29, v23
	v_and_b32_e32 v24, 7, v24
	v_cmp_eq_u16_e32 vcc, 0, v21
	v_cndmask_b32_e32 v20, v20, v24, vcc
	v_cndmask_b32_e32 v21, v22, v23, vcc
	v_lshlrev_b32_e32 v22, 8, v14
	v_mov_b32_e32 v23, 0x3b800000
	v_lshlrev_b32_e32 v20, 20, v20
	v_and_b32_e32 v22, 0x80000000, v22
	v_lshl_add_u32 v21, v21, 23, v23
	v_or3_b32 v20, v22, v21, v20
.LBB10_20:
	s_or_b64 exec, exec, s[6:7]
	s_movk_i32 s4, 0xff
	v_and_b32_sdwa v21, v10, s4 dst_sel:DWORD dst_unused:UNUSED_PAD src0_sel:WORD_1 src1_sel:DWORD
	s_movk_i32 s4, 0x7f
	v_cmp_lt_i16_e32 vcc, s4, v21
	s_mov_b64 s[4:5], 0
                                        ; implicit-def: $sgpr10
	s_and_saveexec_b64 s[6:7], vcc
	s_xor_b64 s[6:7], exec, s[6:7]
	s_cbranch_execnz .LBB10_2069
; %bb.21:
	s_or_saveexec_b64 s[6:7], s[6:7]
	v_mov_b32_e32 v22, s10
	s_xor_b64 exec, exec, s[6:7]
	s_cbranch_execnz .LBB10_2072
.LBB10_22:
	s_or_b64 exec, exec, s[6:7]
	s_and_saveexec_b64 s[6:7], s[4:5]
	s_cbranch_execz .LBB10_24
.LBB10_23:
	v_bfe_u32 v21, v10, 16, 3
	v_ffbh_u32_e32 v24, v21
	v_min_u32_e32 v24, 32, v24
	v_lshrrev_b32_e32 v22, 19, v10
	v_subrev_u32_e32 v25, 28, v24
	v_and_b32_e32 v22, 15, v22
	v_lshlrev_b32_sdwa v25, v25, v10 dst_sel:DWORD dst_unused:UNUSED_PAD src0_sel:DWORD src1_sel:WORD_1
	v_bfe_u32 v23, v10, 19, 4
	v_sub_u32_e32 v24, 29, v24
	v_and_b32_e32 v25, 7, v25
	v_cmp_eq_u16_e32 vcc, 0, v22
	v_cndmask_b32_e32 v21, v21, v25, vcc
	v_cndmask_b32_e32 v22, v23, v24, vcc
	v_lshlrev_b32_e32 v23, 8, v10
	v_mov_b32_e32 v24, 0x3b800000
	v_lshlrev_b32_e32 v21, 20, v21
	v_and_b32_e32 v23, 0x80000000, v23
	v_lshl_add_u32 v22, v22, 23, v24
	v_or3_b32 v22, v23, v22, v21
.LBB10_24:
	s_or_b64 exec, exec, s[6:7]
	s_nop 0
	v_mfma_f32_16x16x4f32 a[0:3], v20, v22, a[0:3]
	s_movk_i32 s4, 0x7f
	v_cmp_gt_i16_sdwa s[6:7], v14, s4 src0_sel:BYTE_3 src1_sel:DWORD
	s_mov_b64 s[4:5], 0
                                        ; implicit-def: $sgpr10
	s_and_saveexec_b64 s[8:9], s[6:7]
	s_xor_b64 s[6:7], exec, s[8:9]
	s_cbranch_execnz .LBB10_2073
; %bb.25:
	s_or_saveexec_b64 s[6:7], s[6:7]
	v_mov_b32_e32 v20, s10
	s_xor_b64 exec, exec, s[6:7]
	s_cbranch_execnz .LBB10_2076
.LBB10_26:
	s_or_b64 exec, exec, s[6:7]
	s_and_saveexec_b64 s[6:7], s[4:5]
	s_cbranch_execz .LBB10_28
.LBB10_27:
	v_bfe_u32 v20, v14, 24, 3
	v_ffbh_u32_e32 v24, v20
	v_min_u32_e32 v24, 32, v24
	v_lshrrev_b32_e32 v22, 27, v14
	v_subrev_u32_e32 v25, 28, v24
	v_and_b32_e32 v21, 0x80000000, v14
	v_and_b32_e32 v22, 15, v22
	v_bfe_u32 v23, v14, 27, 4
	v_lshlrev_b32_sdwa v14, v25, v14 dst_sel:DWORD dst_unused:UNUSED_PAD src0_sel:DWORD src1_sel:BYTE_3
	v_sub_u32_e32 v24, 29, v24
	v_and_b32_e32 v14, 7, v14
	v_cmp_eq_u16_e32 vcc, 0, v22
	v_cndmask_b32_e32 v14, v20, v14, vcc
	v_cndmask_b32_e32 v20, v23, v24, vcc
	v_mov_b32_e32 v22, 0x3b800000
	v_lshlrev_b32_e32 v14, 20, v14
	v_lshl_add_u32 v20, v20, 23, v22
	v_or3_b32 v20, v21, v20, v14
.LBB10_28:
	s_or_b64 exec, exec, s[6:7]
	s_movk_i32 s4, 0x7f
	v_cmp_gt_i16_sdwa s[6:7], v10, s4 src0_sel:BYTE_3 src1_sel:DWORD
	s_mov_b64 s[4:5], 0
                                        ; implicit-def: $sgpr10
	s_and_saveexec_b64 s[8:9], s[6:7]
	s_xor_b64 s[6:7], exec, s[8:9]
	s_cbranch_execnz .LBB10_2077
; %bb.29:
	s_or_saveexec_b64 s[6:7], s[6:7]
	v_mov_b32_e32 v14, s10
	s_xor_b64 exec, exec, s[6:7]
	s_cbranch_execnz .LBB10_2080
.LBB10_30:
	s_or_b64 exec, exec, s[6:7]
	s_and_saveexec_b64 s[6:7], s[4:5]
	s_cbranch_execz .LBB10_32
.LBB10_31:
	v_bfe_u32 v14, v10, 24, 3
	v_ffbh_u32_e32 v24, v14
	v_min_u32_e32 v24, 32, v24
	v_lshrrev_b32_e32 v22, 27, v10
	v_subrev_u32_e32 v25, 28, v24
	v_and_b32_e32 v21, 0x80000000, v10
	v_and_b32_e32 v22, 15, v22
	v_bfe_u32 v23, v10, 27, 4
	v_lshlrev_b32_sdwa v10, v25, v10 dst_sel:DWORD dst_unused:UNUSED_PAD src0_sel:DWORD src1_sel:BYTE_3
	v_sub_u32_e32 v24, 29, v24
	v_and_b32_e32 v10, 7, v10
	v_cmp_eq_u16_e32 vcc, 0, v22
	v_cndmask_b32_e32 v10, v14, v10, vcc
	v_cndmask_b32_e32 v14, v23, v24, vcc
	v_mov_b32_e32 v22, 0x3b800000
	v_lshlrev_b32_e32 v10, 20, v10
	v_lshl_add_u32 v14, v14, 23, v22
	v_or3_b32 v14, v21, v14, v10
.LBB10_32:
	s_or_b64 exec, exec, s[6:7]
	s_nop 0
	v_mfma_f32_16x16x4f32 a[0:3], v20, v14, a[0:3]
	s_movk_i32 s4, 0x7f
	v_cmp_gt_i16_sdwa s[6:7], v15, s4 src0_sel:BYTE_0 src1_sel:DWORD
	s_mov_b64 s[4:5], 0
                                        ; implicit-def: $sgpr10
	s_and_saveexec_b64 s[8:9], s[6:7]
	s_xor_b64 s[6:7], exec, s[8:9]
	s_cbranch_execnz .LBB10_2081
; %bb.33:
	s_or_saveexec_b64 s[6:7], s[6:7]
	v_mov_b32_e32 v10, s10
	s_xor_b64 exec, exec, s[6:7]
	s_cbranch_execnz .LBB10_2084
.LBB10_34:
	s_or_b64 exec, exec, s[6:7]
	s_and_saveexec_b64 s[6:7], s[4:5]
	s_cbranch_execz .LBB10_36
.LBB10_35:
	v_and_b32_e32 v10, 7, v15
	v_ffbh_u32_e32 v20, v10
	v_min_u32_e32 v20, 32, v20
	v_lshrrev_b16_e32 v14, 3, v15
	v_subrev_u32_e32 v21, 28, v20
	v_and_b32_e32 v14, 15, v14
	v_lshlrev_b32_e32 v21, v21, v15
	v_sub_u32_e32 v20, 29, v20
	v_and_b32_e32 v21, 7, v21
	v_cmp_eq_u16_e32 vcc, 0, v14
	v_cndmask_b32_e32 v10, v10, v21, vcc
	v_cndmask_b32_e32 v14, v14, v20, vcc
	v_lshlrev_b32_e32 v20, 24, v15
	v_mov_b32_e32 v21, 0x3b800000
	v_lshlrev_b32_e32 v10, 20, v10
	v_and_b32_e32 v20, 0x80000000, v20
	v_lshl_add_u32 v14, v14, 23, v21
	v_or3_b32 v10, v20, v14, v10
.LBB10_36:
	s_or_b64 exec, exec, s[6:7]
	s_movk_i32 s4, 0x7f
	v_cmp_gt_i16_sdwa s[6:7], v11, s4 src0_sel:BYTE_0 src1_sel:DWORD
	s_mov_b64 s[4:5], 0
                                        ; implicit-def: $sgpr10
	s_and_saveexec_b64 s[8:9], s[6:7]
	s_xor_b64 s[6:7], exec, s[8:9]
	s_cbranch_execnz .LBB10_2085
; %bb.37:
	s_or_saveexec_b64 s[6:7], s[6:7]
	v_mov_b32_e32 v14, s10
	s_xor_b64 exec, exec, s[6:7]
	s_cbranch_execnz .LBB10_2088
.LBB10_38:
	s_or_b64 exec, exec, s[6:7]
	s_and_saveexec_b64 s[6:7], s[4:5]
	s_cbranch_execz .LBB10_40
.LBB10_39:
	v_and_b32_e32 v14, 7, v11
	v_ffbh_u32_e32 v21, v14
	v_min_u32_e32 v21, 32, v21
	v_lshrrev_b16_e32 v20, 3, v11
	v_subrev_u32_e32 v22, 28, v21
	v_and_b32_e32 v20, 15, v20
	v_lshlrev_b32_e32 v22, v22, v11
	v_sub_u32_e32 v21, 29, v21
	v_and_b32_e32 v22, 7, v22
	v_cmp_eq_u16_e32 vcc, 0, v20
	v_cndmask_b32_e32 v14, v14, v22, vcc
	v_cndmask_b32_e32 v20, v20, v21, vcc
	v_lshlrev_b32_e32 v21, 24, v11
	v_mov_b32_e32 v22, 0x3b800000
	v_lshlrev_b32_e32 v14, 20, v14
	v_and_b32_e32 v21, 0x80000000, v21
	v_lshl_add_u32 v20, v20, 23, v22
	v_or3_b32 v14, v21, v20, v14
.LBB10_40:
	s_or_b64 exec, exec, s[6:7]
	s_nop 0
	v_mfma_f32_16x16x4f32 a[0:3], v10, v14, a[0:3]
	v_lshrrev_b32_e32 v14, 8, v15
	s_movk_i32 s4, 0x7f
	v_cmp_gt_i16_sdwa s[6:7], v14, s4 src0_sel:BYTE_0 src1_sel:DWORD
	s_mov_b64 s[4:5], 0
                                        ; implicit-def: $sgpr10
	s_and_saveexec_b64 s[8:9], s[6:7]
	s_xor_b64 s[6:7], exec, s[8:9]
	s_cbranch_execnz .LBB10_2089
; %bb.41:
	s_or_saveexec_b64 s[6:7], s[6:7]
	v_mov_b32_e32 v10, s10
	s_xor_b64 exec, exec, s[6:7]
	s_cbranch_execnz .LBB10_2092
.LBB10_42:
	s_or_b64 exec, exec, s[6:7]
	s_and_saveexec_b64 s[6:7], s[4:5]
	s_cbranch_execz .LBB10_44
.LBB10_43:
	v_bfe_u32 v10, v15, 8, 3
	v_ffbh_u32_e32 v21, v10
	v_min_u32_e32 v21, 32, v21
	v_lshrrev_b16_e32 v20, 3, v14
	v_subrev_u32_e32 v22, 28, v21
	v_and_b32_e32 v20, 15, v20
	v_lshlrev_b32_e32 v14, v22, v14
	v_sub_u32_e32 v21, 29, v21
	v_and_b32_e32 v14, 7, v14
	v_cmp_eq_u16_e32 vcc, 0, v20
	v_cndmask_b32_e32 v10, v10, v14, vcc
	v_cndmask_b32_e32 v14, v20, v21, vcc
	v_lshlrev_b32_e32 v20, 16, v15
	v_mov_b32_e32 v21, 0x3b800000
	v_lshlrev_b32_e32 v10, 20, v10
	v_and_b32_e32 v20, 0x80000000, v20
	v_lshl_add_u32 v14, v14, 23, v21
	v_or3_b32 v10, v20, v14, v10
.LBB10_44:
	s_or_b64 exec, exec, s[6:7]
	v_lshrrev_b32_e32 v14, 8, v11
	s_movk_i32 s4, 0x7f
	v_cmp_gt_i16_sdwa s[6:7], v14, s4 src0_sel:BYTE_0 src1_sel:DWORD
	s_mov_b64 s[4:5], 0
                                        ; implicit-def: $sgpr10
	s_and_saveexec_b64 s[8:9], s[6:7]
	s_xor_b64 s[6:7], exec, s[8:9]
	s_cbranch_execnz .LBB10_2093
; %bb.45:
	s_or_saveexec_b64 s[6:7], s[6:7]
	v_mov_b32_e32 v20, s10
	s_xor_b64 exec, exec, s[6:7]
	s_cbranch_execnz .LBB10_2096
.LBB10_46:
	s_or_b64 exec, exec, s[6:7]
	s_and_saveexec_b64 s[6:7], s[4:5]
	s_cbranch_execz .LBB10_48
.LBB10_47:
	v_bfe_u32 v20, v11, 8, 3
	v_ffbh_u32_e32 v22, v20
	v_min_u32_e32 v22, 32, v22
	v_lshrrev_b16_e32 v21, 3, v14
	v_subrev_u32_e32 v23, 28, v22
	v_and_b32_e32 v21, 15, v21
	v_lshlrev_b32_e32 v14, v23, v14
	v_sub_u32_e32 v22, 29, v22
	v_and_b32_e32 v14, 7, v14
	v_cmp_eq_u16_e32 vcc, 0, v21
	v_cndmask_b32_e32 v14, v20, v14, vcc
	v_cndmask_b32_e32 v20, v21, v22, vcc
	v_lshlrev_b32_e32 v21, 16, v11
	v_mov_b32_e32 v22, 0x3b800000
	v_lshlrev_b32_e32 v14, 20, v14
	v_and_b32_e32 v21, 0x80000000, v21
	v_lshl_add_u32 v20, v20, 23, v22
	v_or3_b32 v20, v21, v20, v14
.LBB10_48:
	s_or_b64 exec, exec, s[6:7]
	s_nop 0
	v_mfma_f32_16x16x4f32 a[0:3], v10, v20, a[0:3]
	s_movk_i32 s4, 0xff
	v_and_b32_sdwa v14, v15, s4 dst_sel:DWORD dst_unused:UNUSED_PAD src0_sel:WORD_1 src1_sel:DWORD
	s_movk_i32 s4, 0x7f
	v_cmp_lt_i16_e32 vcc, s4, v14
	s_mov_b64 s[4:5], 0
                                        ; implicit-def: $sgpr10
	s_and_saveexec_b64 s[6:7], vcc
	s_xor_b64 s[6:7], exec, s[6:7]
	s_cbranch_execnz .LBB10_2097
; %bb.49:
	s_or_saveexec_b64 s[6:7], s[6:7]
	v_mov_b32_e32 v10, s10
	s_xor_b64 exec, exec, s[6:7]
	s_cbranch_execnz .LBB10_2100
.LBB10_50:
	s_or_b64 exec, exec, s[6:7]
	s_and_saveexec_b64 s[6:7], s[4:5]
	s_cbranch_execz .LBB10_52
.LBB10_51:
	v_bfe_u32 v10, v15, 16, 3
	v_ffbh_u32_e32 v21, v10
	v_min_u32_e32 v21, 32, v21
	v_lshrrev_b32_e32 v14, 19, v15
	v_subrev_u32_e32 v22, 28, v21
	v_and_b32_e32 v14, 15, v14
	v_lshlrev_b32_sdwa v22, v22, v15 dst_sel:DWORD dst_unused:UNUSED_PAD src0_sel:DWORD src1_sel:WORD_1
	v_bfe_u32 v20, v15, 19, 4
	v_sub_u32_e32 v21, 29, v21
	v_and_b32_e32 v22, 7, v22
	v_cmp_eq_u16_e32 vcc, 0, v14
	v_cndmask_b32_e32 v10, v10, v22, vcc
	v_cndmask_b32_e32 v14, v20, v21, vcc
	v_lshlrev_b32_e32 v20, 8, v15
	v_mov_b32_e32 v21, 0x3b800000
	v_lshlrev_b32_e32 v10, 20, v10
	v_and_b32_e32 v20, 0x80000000, v20
	v_lshl_add_u32 v14, v14, 23, v21
	v_or3_b32 v10, v20, v14, v10
.LBB10_52:
	s_or_b64 exec, exec, s[6:7]
	s_movk_i32 s4, 0xff
	v_and_b32_sdwa v14, v11, s4 dst_sel:DWORD dst_unused:UNUSED_PAD src0_sel:WORD_1 src1_sel:DWORD
	s_movk_i32 s4, 0x7f
	v_cmp_lt_i16_e32 vcc, s4, v14
	s_mov_b64 s[4:5], 0
                                        ; implicit-def: $sgpr10
	s_and_saveexec_b64 s[6:7], vcc
	s_xor_b64 s[6:7], exec, s[6:7]
	s_cbranch_execnz .LBB10_2101
; %bb.53:
	s_or_saveexec_b64 s[6:7], s[6:7]
	v_mov_b32_e32 v20, s10
	s_xor_b64 exec, exec, s[6:7]
	s_cbranch_execnz .LBB10_2104
.LBB10_54:
	s_or_b64 exec, exec, s[6:7]
	s_and_saveexec_b64 s[6:7], s[4:5]
	s_cbranch_execz .LBB10_56
.LBB10_55:
	v_bfe_u32 v14, v11, 16, 3
	v_ffbh_u32_e32 v22, v14
	v_min_u32_e32 v22, 32, v22
	v_lshrrev_b32_e32 v20, 19, v11
	v_subrev_u32_e32 v23, 28, v22
	v_and_b32_e32 v20, 15, v20
	v_lshlrev_b32_sdwa v23, v23, v11 dst_sel:DWORD dst_unused:UNUSED_PAD src0_sel:DWORD src1_sel:WORD_1
	v_bfe_u32 v21, v11, 19, 4
	v_sub_u32_e32 v22, 29, v22
	v_and_b32_e32 v23, 7, v23
	v_cmp_eq_u16_e32 vcc, 0, v20
	v_cndmask_b32_e32 v14, v14, v23, vcc
	v_cndmask_b32_e32 v20, v21, v22, vcc
	v_lshlrev_b32_e32 v21, 8, v11
	v_mov_b32_e32 v22, 0x3b800000
	v_lshlrev_b32_e32 v14, 20, v14
	v_and_b32_e32 v21, 0x80000000, v21
	v_lshl_add_u32 v20, v20, 23, v22
	v_or3_b32 v20, v21, v20, v14
.LBB10_56:
	s_or_b64 exec, exec, s[6:7]
	s_nop 0
	v_mfma_f32_16x16x4f32 a[0:3], v10, v20, a[0:3]
	s_movk_i32 s4, 0x7f
	v_cmp_gt_i16_sdwa s[6:7], v15, s4 src0_sel:BYTE_3 src1_sel:DWORD
	s_mov_b64 s[4:5], 0
                                        ; implicit-def: $sgpr10
	s_and_saveexec_b64 s[8:9], s[6:7]
	s_xor_b64 s[6:7], exec, s[8:9]
	s_cbranch_execnz .LBB10_2105
; %bb.57:
	s_or_saveexec_b64 s[6:7], s[6:7]
	v_mov_b32_e32 v10, s10
	s_xor_b64 exec, exec, s[6:7]
	s_cbranch_execnz .LBB10_2108
.LBB10_58:
	s_or_b64 exec, exec, s[6:7]
	s_and_saveexec_b64 s[6:7], s[4:5]
	s_cbranch_execz .LBB10_60
.LBB10_59:
	v_bfe_u32 v10, v15, 24, 3
	v_ffbh_u32_e32 v22, v10
	v_min_u32_e32 v22, 32, v22
	v_lshrrev_b32_e32 v20, 27, v15
	v_subrev_u32_e32 v23, 28, v22
	v_and_b32_e32 v14, 0x80000000, v15
	v_and_b32_e32 v20, 15, v20
	v_bfe_u32 v21, v15, 27, 4
	v_lshlrev_b32_sdwa v15, v23, v15 dst_sel:DWORD dst_unused:UNUSED_PAD src0_sel:DWORD src1_sel:BYTE_3
	v_sub_u32_e32 v22, 29, v22
	v_and_b32_e32 v15, 7, v15
	v_cmp_eq_u16_e32 vcc, 0, v20
	v_cndmask_b32_e32 v10, v10, v15, vcc
	v_cndmask_b32_e32 v15, v21, v22, vcc
	v_mov_b32_e32 v20, 0x3b800000
	v_lshlrev_b32_e32 v10, 20, v10
	v_lshl_add_u32 v15, v15, 23, v20
	v_or3_b32 v10, v14, v15, v10
.LBB10_60:
	s_or_b64 exec, exec, s[6:7]
	s_movk_i32 s4, 0x7f
	v_cmp_gt_i16_sdwa s[6:7], v11, s4 src0_sel:BYTE_3 src1_sel:DWORD
	s_mov_b64 s[4:5], 0
                                        ; implicit-def: $sgpr10
	s_and_saveexec_b64 s[8:9], s[6:7]
	s_xor_b64 s[6:7], exec, s[8:9]
	s_cbranch_execnz .LBB10_2109
; %bb.61:
	s_or_saveexec_b64 s[6:7], s[6:7]
	v_mov_b32_e32 v14, s10
	s_xor_b64 exec, exec, s[6:7]
	s_cbranch_execnz .LBB10_2112
.LBB10_62:
	s_or_b64 exec, exec, s[6:7]
	s_and_saveexec_b64 s[6:7], s[4:5]
	s_cbranch_execz .LBB10_64
.LBB10_63:
	v_bfe_u32 v14, v11, 24, 3
	v_ffbh_u32_e32 v22, v14
	v_min_u32_e32 v22, 32, v22
	v_lshrrev_b32_e32 v20, 27, v11
	v_subrev_u32_e32 v23, 28, v22
	v_and_b32_e32 v15, 0x80000000, v11
	v_and_b32_e32 v20, 15, v20
	v_bfe_u32 v21, v11, 27, 4
	v_lshlrev_b32_sdwa v11, v23, v11 dst_sel:DWORD dst_unused:UNUSED_PAD src0_sel:DWORD src1_sel:BYTE_3
	v_sub_u32_e32 v22, 29, v22
	v_and_b32_e32 v11, 7, v11
	v_cmp_eq_u16_e32 vcc, 0, v20
	v_cndmask_b32_e32 v11, v14, v11, vcc
	v_cndmask_b32_e32 v14, v21, v22, vcc
	v_mov_b32_e32 v20, 0x3b800000
	v_lshlrev_b32_e32 v11, 20, v11
	v_lshl_add_u32 v14, v14, 23, v20
	v_or3_b32 v14, v15, v14, v11
.LBB10_64:
	s_or_b64 exec, exec, s[6:7]
	s_nop 0
	v_mfma_f32_16x16x4f32 a[0:3], v10, v14, a[0:3]
	s_movk_i32 s4, 0x7f
	v_cmp_gt_i16_sdwa s[6:7], v16, s4 src0_sel:BYTE_0 src1_sel:DWORD
	s_mov_b64 s[4:5], 0
                                        ; implicit-def: $sgpr10
	s_and_saveexec_b64 s[8:9], s[6:7]
	s_xor_b64 s[6:7], exec, s[8:9]
	s_cbranch_execnz .LBB10_2113
; %bb.65:
	s_or_saveexec_b64 s[6:7], s[6:7]
	v_mov_b32_e32 v10, s10
	s_xor_b64 exec, exec, s[6:7]
	s_cbranch_execnz .LBB10_2116
.LBB10_66:
	s_or_b64 exec, exec, s[6:7]
	s_and_saveexec_b64 s[6:7], s[4:5]
	s_cbranch_execz .LBB10_68
.LBB10_67:
	v_and_b32_e32 v10, 7, v16
	v_ffbh_u32_e32 v14, v10
	v_min_u32_e32 v14, 32, v14
	v_lshrrev_b16_e32 v11, 3, v16
	v_subrev_u32_e32 v15, 28, v14
	v_and_b32_e32 v11, 15, v11
	v_lshlrev_b32_e32 v15, v15, v16
	v_sub_u32_e32 v14, 29, v14
	v_and_b32_e32 v15, 7, v15
	v_cmp_eq_u16_e32 vcc, 0, v11
	v_cndmask_b32_e32 v10, v10, v15, vcc
	v_cndmask_b32_e32 v11, v11, v14, vcc
	v_lshlrev_b32_e32 v14, 24, v16
	v_mov_b32_e32 v15, 0x3b800000
	v_lshlrev_b32_e32 v10, 20, v10
	v_and_b32_e32 v14, 0x80000000, v14
	v_lshl_add_u32 v11, v11, 23, v15
	v_or3_b32 v10, v14, v11, v10
.LBB10_68:
	s_or_b64 exec, exec, s[6:7]
	s_movk_i32 s4, 0x7f
	v_cmp_gt_i16_sdwa s[6:7], v12, s4 src0_sel:BYTE_0 src1_sel:DWORD
	s_mov_b64 s[4:5], 0
                                        ; implicit-def: $sgpr10
	s_and_saveexec_b64 s[8:9], s[6:7]
	s_xor_b64 s[6:7], exec, s[8:9]
	s_cbranch_execnz .LBB10_2117
; %bb.69:
	s_or_saveexec_b64 s[6:7], s[6:7]
	v_mov_b32_e32 v11, s10
	s_xor_b64 exec, exec, s[6:7]
	s_cbranch_execnz .LBB10_2120
.LBB10_70:
	s_or_b64 exec, exec, s[6:7]
	s_and_saveexec_b64 s[6:7], s[4:5]
	s_cbranch_execz .LBB10_72
.LBB10_71:
	v_and_b32_e32 v11, 7, v12
	v_ffbh_u32_e32 v15, v11
	v_min_u32_e32 v15, 32, v15
	v_lshrrev_b16_e32 v14, 3, v12
	v_subrev_u32_e32 v20, 28, v15
	v_and_b32_e32 v14, 15, v14
	v_lshlrev_b32_e32 v20, v20, v12
	v_sub_u32_e32 v15, 29, v15
	v_and_b32_e32 v20, 7, v20
	v_cmp_eq_u16_e32 vcc, 0, v14
	v_cndmask_b32_e32 v11, v11, v20, vcc
	v_cndmask_b32_e32 v14, v14, v15, vcc
	v_lshlrev_b32_e32 v15, 24, v12
	v_mov_b32_e32 v20, 0x3b800000
	v_lshlrev_b32_e32 v11, 20, v11
	v_and_b32_e32 v15, 0x80000000, v15
	v_lshl_add_u32 v14, v14, 23, v20
	v_or3_b32 v11, v15, v14, v11
.LBB10_72:
	s_or_b64 exec, exec, s[6:7]
	s_nop 0
	v_mfma_f32_16x16x4f32 a[0:3], v10, v11, a[0:3]
	v_lshrrev_b32_e32 v11, 8, v16
	s_movk_i32 s4, 0x7f
	v_cmp_gt_i16_sdwa s[6:7], v11, s4 src0_sel:BYTE_0 src1_sel:DWORD
	s_mov_b64 s[4:5], 0
                                        ; implicit-def: $sgpr10
	s_and_saveexec_b64 s[8:9], s[6:7]
	s_xor_b64 s[6:7], exec, s[8:9]
	s_cbranch_execnz .LBB10_2121
; %bb.73:
	s_or_saveexec_b64 s[6:7], s[6:7]
	v_mov_b32_e32 v10, s10
	s_xor_b64 exec, exec, s[6:7]
	s_cbranch_execnz .LBB10_2124
.LBB10_74:
	s_or_b64 exec, exec, s[6:7]
	s_and_saveexec_b64 s[6:7], s[4:5]
	s_cbranch_execz .LBB10_76
.LBB10_75:
	v_bfe_u32 v10, v16, 8, 3
	v_ffbh_u32_e32 v15, v10
	v_min_u32_e32 v15, 32, v15
	v_lshrrev_b16_e32 v14, 3, v11
	v_subrev_u32_e32 v20, 28, v15
	v_and_b32_e32 v14, 15, v14
	v_lshlrev_b32_e32 v11, v20, v11
	v_sub_u32_e32 v15, 29, v15
	v_and_b32_e32 v11, 7, v11
	v_cmp_eq_u16_e32 vcc, 0, v14
	v_cndmask_b32_e32 v10, v10, v11, vcc
	v_cndmask_b32_e32 v11, v14, v15, vcc
	v_lshlrev_b32_e32 v14, 16, v16
	v_mov_b32_e32 v15, 0x3b800000
	v_lshlrev_b32_e32 v10, 20, v10
	v_and_b32_e32 v14, 0x80000000, v14
	v_lshl_add_u32 v11, v11, 23, v15
	v_or3_b32 v10, v14, v11, v10
.LBB10_76:
	s_or_b64 exec, exec, s[6:7]
	v_lshrrev_b32_e32 v11, 8, v12
	s_movk_i32 s4, 0x7f
	v_cmp_gt_i16_sdwa s[6:7], v11, s4 src0_sel:BYTE_0 src1_sel:DWORD
	s_mov_b64 s[4:5], 0
                                        ; implicit-def: $sgpr10
	s_and_saveexec_b64 s[8:9], s[6:7]
	s_xor_b64 s[6:7], exec, s[8:9]
	s_cbranch_execnz .LBB10_2125
; %bb.77:
	s_or_saveexec_b64 s[6:7], s[6:7]
	v_mov_b32_e32 v14, s10
	s_xor_b64 exec, exec, s[6:7]
	s_cbranch_execnz .LBB10_2128
.LBB10_78:
	s_or_b64 exec, exec, s[6:7]
	s_and_saveexec_b64 s[6:7], s[4:5]
	s_cbranch_execz .LBB10_80
.LBB10_79:
	v_bfe_u32 v14, v12, 8, 3
	v_ffbh_u32_e32 v20, v14
	v_min_u32_e32 v20, 32, v20
	v_lshrrev_b16_e32 v15, 3, v11
	v_subrev_u32_e32 v21, 28, v20
	v_and_b32_e32 v15, 15, v15
	v_lshlrev_b32_e32 v11, v21, v11
	v_sub_u32_e32 v20, 29, v20
	v_and_b32_e32 v11, 7, v11
	v_cmp_eq_u16_e32 vcc, 0, v15
	v_cndmask_b32_e32 v11, v14, v11, vcc
	v_cndmask_b32_e32 v14, v15, v20, vcc
	v_lshlrev_b32_e32 v15, 16, v12
	v_mov_b32_e32 v20, 0x3b800000
	v_lshlrev_b32_e32 v11, 20, v11
	v_and_b32_e32 v15, 0x80000000, v15
	v_lshl_add_u32 v14, v14, 23, v20
	v_or3_b32 v14, v15, v14, v11
.LBB10_80:
	s_or_b64 exec, exec, s[6:7]
	s_nop 0
	v_mfma_f32_16x16x4f32 a[0:3], v10, v14, a[0:3]
	s_movk_i32 s4, 0xff
	v_and_b32_sdwa v11, v16, s4 dst_sel:DWORD dst_unused:UNUSED_PAD src0_sel:WORD_1 src1_sel:DWORD
	s_movk_i32 s4, 0x7f
	v_cmp_lt_i16_e32 vcc, s4, v11
	s_mov_b64 s[4:5], 0
                                        ; implicit-def: $sgpr10
	s_and_saveexec_b64 s[6:7], vcc
	s_xor_b64 s[6:7], exec, s[6:7]
	s_cbranch_execnz .LBB10_2129
; %bb.81:
	s_or_saveexec_b64 s[6:7], s[6:7]
	v_mov_b32_e32 v10, s10
	s_xor_b64 exec, exec, s[6:7]
	s_cbranch_execnz .LBB10_2132
.LBB10_82:
	s_or_b64 exec, exec, s[6:7]
	s_and_saveexec_b64 s[6:7], s[4:5]
	s_cbranch_execz .LBB10_84
.LBB10_83:
	v_bfe_u32 v10, v16, 16, 3
	v_ffbh_u32_e32 v15, v10
	v_min_u32_e32 v15, 32, v15
	v_lshrrev_b32_e32 v11, 19, v16
	v_subrev_u32_e32 v20, 28, v15
	v_and_b32_e32 v11, 15, v11
	v_lshlrev_b32_sdwa v20, v20, v16 dst_sel:DWORD dst_unused:UNUSED_PAD src0_sel:DWORD src1_sel:WORD_1
	v_bfe_u32 v14, v16, 19, 4
	v_sub_u32_e32 v15, 29, v15
	v_and_b32_e32 v20, 7, v20
	v_cmp_eq_u16_e32 vcc, 0, v11
	v_cndmask_b32_e32 v10, v10, v20, vcc
	v_cndmask_b32_e32 v11, v14, v15, vcc
	v_lshlrev_b32_e32 v14, 8, v16
	v_mov_b32_e32 v15, 0x3b800000
	v_lshlrev_b32_e32 v10, 20, v10
	v_and_b32_e32 v14, 0x80000000, v14
	v_lshl_add_u32 v11, v11, 23, v15
	v_or3_b32 v10, v14, v11, v10
.LBB10_84:
	s_or_b64 exec, exec, s[6:7]
	s_movk_i32 s4, 0xff
	v_and_b32_sdwa v11, v12, s4 dst_sel:DWORD dst_unused:UNUSED_PAD src0_sel:WORD_1 src1_sel:DWORD
	s_movk_i32 s4, 0x7f
	v_cmp_lt_i16_e32 vcc, s4, v11
	s_mov_b64 s[4:5], 0
                                        ; implicit-def: $sgpr10
	s_and_saveexec_b64 s[6:7], vcc
	s_xor_b64 s[6:7], exec, s[6:7]
	s_cbranch_execnz .LBB10_2133
; %bb.85:
	s_or_saveexec_b64 s[6:7], s[6:7]
	v_mov_b32_e32 v14, s10
	s_xor_b64 exec, exec, s[6:7]
	s_cbranch_execnz .LBB10_2136
.LBB10_86:
	s_or_b64 exec, exec, s[6:7]
	s_and_saveexec_b64 s[6:7], s[4:5]
	s_cbranch_execz .LBB10_88
.LBB10_87:
	v_bfe_u32 v11, v12, 16, 3
	v_ffbh_u32_e32 v20, v11
	v_min_u32_e32 v20, 32, v20
	v_lshrrev_b32_e32 v14, 19, v12
	v_subrev_u32_e32 v21, 28, v20
	v_and_b32_e32 v14, 15, v14
	v_lshlrev_b32_sdwa v21, v21, v12 dst_sel:DWORD dst_unused:UNUSED_PAD src0_sel:DWORD src1_sel:WORD_1
	v_bfe_u32 v15, v12, 19, 4
	v_sub_u32_e32 v20, 29, v20
	v_and_b32_e32 v21, 7, v21
	v_cmp_eq_u16_e32 vcc, 0, v14
	v_cndmask_b32_e32 v11, v11, v21, vcc
	v_cndmask_b32_e32 v14, v15, v20, vcc
	v_lshlrev_b32_e32 v15, 8, v12
	v_mov_b32_e32 v20, 0x3b800000
	v_lshlrev_b32_e32 v11, 20, v11
	v_and_b32_e32 v15, 0x80000000, v15
	v_lshl_add_u32 v14, v14, 23, v20
	v_or3_b32 v14, v15, v14, v11
.LBB10_88:
	s_or_b64 exec, exec, s[6:7]
	s_nop 0
	v_mfma_f32_16x16x4f32 a[0:3], v10, v14, a[0:3]
	s_movk_i32 s4, 0x7f
	v_cmp_gt_i16_sdwa s[6:7], v16, s4 src0_sel:BYTE_3 src1_sel:DWORD
	s_mov_b64 s[4:5], 0
                                        ; implicit-def: $sgpr10
	s_and_saveexec_b64 s[8:9], s[6:7]
	s_xor_b64 s[6:7], exec, s[8:9]
	s_cbranch_execnz .LBB10_2137
; %bb.89:
	s_or_saveexec_b64 s[6:7], s[6:7]
	v_mov_b32_e32 v10, s10
	s_xor_b64 exec, exec, s[6:7]
	s_cbranch_execnz .LBB10_2140
.LBB10_90:
	s_or_b64 exec, exec, s[6:7]
	s_and_saveexec_b64 s[6:7], s[4:5]
	s_cbranch_execz .LBB10_92
.LBB10_91:
	v_bfe_u32 v10, v16, 24, 3
	v_ffbh_u32_e32 v20, v10
	v_min_u32_e32 v20, 32, v20
	v_lshrrev_b32_e32 v14, 27, v16
	v_subrev_u32_e32 v21, 28, v20
	v_and_b32_e32 v11, 0x80000000, v16
	v_and_b32_e32 v14, 15, v14
	v_bfe_u32 v15, v16, 27, 4
	v_lshlrev_b32_sdwa v16, v21, v16 dst_sel:DWORD dst_unused:UNUSED_PAD src0_sel:DWORD src1_sel:BYTE_3
	v_sub_u32_e32 v20, 29, v20
	v_and_b32_e32 v16, 7, v16
	v_cmp_eq_u16_e32 vcc, 0, v14
	v_cndmask_b32_e32 v10, v10, v16, vcc
	v_cndmask_b32_e32 v14, v15, v20, vcc
	v_mov_b32_e32 v15, 0x3b800000
	v_lshlrev_b32_e32 v10, 20, v10
	v_lshl_add_u32 v14, v14, 23, v15
	v_or3_b32 v10, v11, v14, v10
.LBB10_92:
	s_or_b64 exec, exec, s[6:7]
	s_movk_i32 s4, 0x7f
	v_cmp_gt_i16_sdwa s[6:7], v12, s4 src0_sel:BYTE_3 src1_sel:DWORD
	s_mov_b64 s[4:5], 0
                                        ; implicit-def: $sgpr10
	s_and_saveexec_b64 s[8:9], s[6:7]
	s_xor_b64 s[6:7], exec, s[8:9]
	s_cbranch_execnz .LBB10_2141
; %bb.93:
	s_or_saveexec_b64 s[6:7], s[6:7]
	v_mov_b32_e32 v11, s10
	s_xor_b64 exec, exec, s[6:7]
	s_cbranch_execnz .LBB10_2144
.LBB10_94:
	s_or_b64 exec, exec, s[6:7]
	s_and_saveexec_b64 s[6:7], s[4:5]
	s_cbranch_execz .LBB10_96
.LBB10_95:
	v_bfe_u32 v11, v12, 24, 3
	v_ffbh_u32_e32 v20, v11
	v_min_u32_e32 v20, 32, v20
	v_lshrrev_b32_e32 v15, 27, v12
	v_subrev_u32_e32 v21, 28, v20
	v_and_b32_e32 v14, 0x80000000, v12
	v_and_b32_e32 v15, 15, v15
	v_bfe_u32 v16, v12, 27, 4
	v_lshlrev_b32_sdwa v12, v21, v12 dst_sel:DWORD dst_unused:UNUSED_PAD src0_sel:DWORD src1_sel:BYTE_3
	v_sub_u32_e32 v20, 29, v20
	v_and_b32_e32 v12, 7, v12
	v_cmp_eq_u16_e32 vcc, 0, v15
	v_cndmask_b32_e32 v11, v11, v12, vcc
	v_cndmask_b32_e32 v12, v16, v20, vcc
	v_mov_b32_e32 v15, 0x3b800000
	v_lshlrev_b32_e32 v11, 20, v11
	v_lshl_add_u32 v12, v12, 23, v15
	v_or3_b32 v11, v14, v12, v11
.LBB10_96:
	s_or_b64 exec, exec, s[6:7]
	s_nop 0
	v_mfma_f32_16x16x4f32 a[0:3], v10, v11, a[0:3]
	s_movk_i32 s4, 0x7f
	v_cmp_gt_i16_sdwa s[6:7], v17, s4 src0_sel:BYTE_0 src1_sel:DWORD
	s_mov_b64 s[4:5], 0
                                        ; implicit-def: $sgpr10
	s_and_saveexec_b64 s[8:9], s[6:7]
	s_xor_b64 s[6:7], exec, s[8:9]
	s_cbranch_execnz .LBB10_2145
; %bb.97:
	s_or_saveexec_b64 s[6:7], s[6:7]
	v_mov_b32_e32 v10, s10
	s_xor_b64 exec, exec, s[6:7]
	s_cbranch_execnz .LBB10_2148
.LBB10_98:
	s_or_b64 exec, exec, s[6:7]
	s_and_saveexec_b64 s[6:7], s[4:5]
	s_cbranch_execz .LBB10_100
.LBB10_99:
	v_and_b32_e32 v10, 7, v17
	v_ffbh_u32_e32 v12, v10
	v_min_u32_e32 v12, 32, v12
	v_lshrrev_b16_e32 v11, 3, v17
	v_subrev_u32_e32 v14, 28, v12
	v_and_b32_e32 v11, 15, v11
	v_lshlrev_b32_e32 v14, v14, v17
	v_sub_u32_e32 v12, 29, v12
	v_and_b32_e32 v14, 7, v14
	v_cmp_eq_u16_e32 vcc, 0, v11
	v_cndmask_b32_e32 v10, v10, v14, vcc
	v_cndmask_b32_e32 v11, v11, v12, vcc
	v_lshlrev_b32_e32 v12, 24, v17
	v_mov_b32_e32 v14, 0x3b800000
	v_lshlrev_b32_e32 v10, 20, v10
	v_and_b32_e32 v12, 0x80000000, v12
	v_lshl_add_u32 v11, v11, 23, v14
	v_or3_b32 v10, v12, v11, v10
.LBB10_100:
	s_or_b64 exec, exec, s[6:7]
	s_movk_i32 s4, 0x7f
	v_cmp_gt_i16_sdwa s[6:7], v13, s4 src0_sel:BYTE_0 src1_sel:DWORD
	s_mov_b64 s[4:5], 0
                                        ; implicit-def: $sgpr10
	s_and_saveexec_b64 s[8:9], s[6:7]
	s_xor_b64 s[6:7], exec, s[8:9]
	s_cbranch_execnz .LBB10_2149
; %bb.101:
	s_or_saveexec_b64 s[6:7], s[6:7]
	v_mov_b32_e32 v11, s10
	s_xor_b64 exec, exec, s[6:7]
	s_cbranch_execnz .LBB10_2152
.LBB10_102:
	s_or_b64 exec, exec, s[6:7]
	s_and_saveexec_b64 s[6:7], s[4:5]
	s_cbranch_execz .LBB10_104
.LBB10_103:
	v_and_b32_e32 v11, 7, v13
	v_ffbh_u32_e32 v14, v11
	v_min_u32_e32 v14, 32, v14
	v_lshrrev_b16_e32 v12, 3, v13
	v_subrev_u32_e32 v15, 28, v14
	v_and_b32_e32 v12, 15, v12
	v_lshlrev_b32_e32 v15, v15, v13
	v_sub_u32_e32 v14, 29, v14
	v_and_b32_e32 v15, 7, v15
	v_cmp_eq_u16_e32 vcc, 0, v12
	v_cndmask_b32_e32 v11, v11, v15, vcc
	v_cndmask_b32_e32 v12, v12, v14, vcc
	v_lshlrev_b32_e32 v14, 24, v13
	v_mov_b32_e32 v15, 0x3b800000
	v_lshlrev_b32_e32 v11, 20, v11
	v_and_b32_e32 v14, 0x80000000, v14
	v_lshl_add_u32 v12, v12, 23, v15
	v_or3_b32 v11, v14, v12, v11
.LBB10_104:
	s_or_b64 exec, exec, s[6:7]
	s_nop 0
	v_mfma_f32_16x16x4f32 a[0:3], v10, v11, a[0:3]
	v_lshrrev_b32_e32 v11, 8, v17
	s_movk_i32 s4, 0x7f
	v_cmp_gt_i16_sdwa s[6:7], v11, s4 src0_sel:BYTE_0 src1_sel:DWORD
	s_mov_b64 s[4:5], 0
                                        ; implicit-def: $sgpr10
	s_and_saveexec_b64 s[8:9], s[6:7]
	s_xor_b64 s[6:7], exec, s[8:9]
	s_cbranch_execnz .LBB10_2153
; %bb.105:
	s_or_saveexec_b64 s[6:7], s[6:7]
	v_mov_b32_e32 v10, s10
	s_xor_b64 exec, exec, s[6:7]
	s_cbranch_execnz .LBB10_2156
.LBB10_106:
	s_or_b64 exec, exec, s[6:7]
	s_and_saveexec_b64 s[6:7], s[4:5]
	s_cbranch_execz .LBB10_108
.LBB10_107:
	v_bfe_u32 v10, v17, 8, 3
	v_ffbh_u32_e32 v14, v10
	v_min_u32_e32 v14, 32, v14
	v_lshrrev_b16_e32 v12, 3, v11
	v_subrev_u32_e32 v15, 28, v14
	v_and_b32_e32 v12, 15, v12
	v_lshlrev_b32_e32 v11, v15, v11
	v_sub_u32_e32 v14, 29, v14
	v_and_b32_e32 v11, 7, v11
	v_cmp_eq_u16_e32 vcc, 0, v12
	v_cndmask_b32_e32 v10, v10, v11, vcc
	v_cndmask_b32_e32 v11, v12, v14, vcc
	v_lshlrev_b32_e32 v12, 16, v17
	v_mov_b32_e32 v14, 0x3b800000
	v_lshlrev_b32_e32 v10, 20, v10
	v_and_b32_e32 v12, 0x80000000, v12
	v_lshl_add_u32 v11, v11, 23, v14
	v_or3_b32 v10, v12, v11, v10
.LBB10_108:
	s_or_b64 exec, exec, s[6:7]
	v_lshrrev_b32_e32 v11, 8, v13
	s_movk_i32 s4, 0x7f
	v_cmp_gt_i16_sdwa s[6:7], v11, s4 src0_sel:BYTE_0 src1_sel:DWORD
	s_mov_b64 s[4:5], 0
                                        ; implicit-def: $sgpr10
	s_and_saveexec_b64 s[8:9], s[6:7]
	s_xor_b64 s[6:7], exec, s[8:9]
	s_cbranch_execnz .LBB10_2157
; %bb.109:
	s_or_saveexec_b64 s[6:7], s[6:7]
	v_mov_b32_e32 v12, s10
	s_xor_b64 exec, exec, s[6:7]
	s_cbranch_execnz .LBB10_2160
.LBB10_110:
	s_or_b64 exec, exec, s[6:7]
	s_and_saveexec_b64 s[6:7], s[4:5]
	s_cbranch_execz .LBB10_112
.LBB10_111:
	v_bfe_u32 v12, v13, 8, 3
	v_ffbh_u32_e32 v15, v12
	v_min_u32_e32 v15, 32, v15
	v_lshrrev_b16_e32 v14, 3, v11
	v_subrev_u32_e32 v16, 28, v15
	v_and_b32_e32 v14, 15, v14
	v_lshlrev_b32_e32 v11, v16, v11
	v_sub_u32_e32 v15, 29, v15
	v_and_b32_e32 v11, 7, v11
	v_cmp_eq_u16_e32 vcc, 0, v14
	v_cndmask_b32_e32 v11, v12, v11, vcc
	v_cndmask_b32_e32 v12, v14, v15, vcc
	v_lshlrev_b32_e32 v14, 16, v13
	v_mov_b32_e32 v15, 0x3b800000
	v_lshlrev_b32_e32 v11, 20, v11
	v_and_b32_e32 v14, 0x80000000, v14
	v_lshl_add_u32 v12, v12, 23, v15
	v_or3_b32 v12, v14, v12, v11
.LBB10_112:
	s_or_b64 exec, exec, s[6:7]
	s_nop 0
	v_mfma_f32_16x16x4f32 a[0:3], v10, v12, a[0:3]
	s_movk_i32 s4, 0xff
	v_and_b32_sdwa v11, v17, s4 dst_sel:DWORD dst_unused:UNUSED_PAD src0_sel:WORD_1 src1_sel:DWORD
	s_movk_i32 s4, 0x7f
	v_cmp_lt_i16_e32 vcc, s4, v11
	s_mov_b64 s[4:5], 0
                                        ; implicit-def: $sgpr10
	s_and_saveexec_b64 s[6:7], vcc
	s_xor_b64 s[6:7], exec, s[6:7]
	s_cbranch_execnz .LBB10_2161
; %bb.113:
	s_or_saveexec_b64 s[6:7], s[6:7]
	v_mov_b32_e32 v10, s10
	s_xor_b64 exec, exec, s[6:7]
	s_cbranch_execnz .LBB10_2164
.LBB10_114:
	s_or_b64 exec, exec, s[6:7]
	s_and_saveexec_b64 s[6:7], s[4:5]
	s_cbranch_execz .LBB10_116
.LBB10_115:
	v_bfe_u32 v10, v17, 16, 3
	v_ffbh_u32_e32 v14, v10
	v_min_u32_e32 v14, 32, v14
	v_lshrrev_b32_e32 v11, 19, v17
	v_subrev_u32_e32 v15, 28, v14
	v_and_b32_e32 v11, 15, v11
	v_lshlrev_b32_sdwa v15, v15, v17 dst_sel:DWORD dst_unused:UNUSED_PAD src0_sel:DWORD src1_sel:WORD_1
	v_bfe_u32 v12, v17, 19, 4
	v_sub_u32_e32 v14, 29, v14
	v_and_b32_e32 v15, 7, v15
	v_cmp_eq_u16_e32 vcc, 0, v11
	v_cndmask_b32_e32 v10, v10, v15, vcc
	v_cndmask_b32_e32 v11, v12, v14, vcc
	v_lshlrev_b32_e32 v12, 8, v17
	v_mov_b32_e32 v14, 0x3b800000
	v_lshlrev_b32_e32 v10, 20, v10
	v_and_b32_e32 v12, 0x80000000, v12
	v_lshl_add_u32 v11, v11, 23, v14
	v_or3_b32 v10, v12, v11, v10
.LBB10_116:
	s_or_b64 exec, exec, s[6:7]
	s_movk_i32 s4, 0xff
	v_and_b32_sdwa v11, v13, s4 dst_sel:DWORD dst_unused:UNUSED_PAD src0_sel:WORD_1 src1_sel:DWORD
	s_movk_i32 s4, 0x7f
	v_cmp_lt_i16_e32 vcc, s4, v11
	s_mov_b64 s[4:5], 0
                                        ; implicit-def: $sgpr10
	s_and_saveexec_b64 s[6:7], vcc
	s_xor_b64 s[6:7], exec, s[6:7]
	s_cbranch_execnz .LBB10_2165
; %bb.117:
	s_or_saveexec_b64 s[6:7], s[6:7]
	v_mov_b32_e32 v12, s10
	s_xor_b64 exec, exec, s[6:7]
	s_cbranch_execnz .LBB10_2168
.LBB10_118:
	s_or_b64 exec, exec, s[6:7]
	s_and_saveexec_b64 s[6:7], s[4:5]
	s_cbranch_execz .LBB10_120
.LBB10_119:
	v_bfe_u32 v11, v13, 16, 3
	v_ffbh_u32_e32 v15, v11
	v_min_u32_e32 v15, 32, v15
	v_lshrrev_b32_e32 v12, 19, v13
	v_subrev_u32_e32 v16, 28, v15
	v_and_b32_e32 v12, 15, v12
	v_lshlrev_b32_sdwa v16, v16, v13 dst_sel:DWORD dst_unused:UNUSED_PAD src0_sel:DWORD src1_sel:WORD_1
	v_bfe_u32 v14, v13, 19, 4
	v_sub_u32_e32 v15, 29, v15
	v_and_b32_e32 v16, 7, v16
	v_cmp_eq_u16_e32 vcc, 0, v12
	v_cndmask_b32_e32 v11, v11, v16, vcc
	v_cndmask_b32_e32 v12, v14, v15, vcc
	v_lshlrev_b32_e32 v14, 8, v13
	v_mov_b32_e32 v15, 0x3b800000
	v_lshlrev_b32_e32 v11, 20, v11
	v_and_b32_e32 v14, 0x80000000, v14
	v_lshl_add_u32 v12, v12, 23, v15
	v_or3_b32 v12, v14, v12, v11
.LBB10_120:
	s_or_b64 exec, exec, s[6:7]
	s_nop 0
	v_mfma_f32_16x16x4f32 a[0:3], v10, v12, a[0:3]
	s_movk_i32 s4, 0x7f
	v_cmp_gt_i16_sdwa s[6:7], v17, s4 src0_sel:BYTE_3 src1_sel:DWORD
	s_mov_b64 s[4:5], 0
                                        ; implicit-def: $sgpr10
	s_and_saveexec_b64 s[8:9], s[6:7]
	s_xor_b64 s[6:7], exec, s[8:9]
	s_cbranch_execnz .LBB10_2169
; %bb.121:
	s_or_saveexec_b64 s[6:7], s[6:7]
	v_mov_b32_e32 v10, s10
	s_xor_b64 exec, exec, s[6:7]
	s_cbranch_execnz .LBB10_2172
.LBB10_122:
	s_or_b64 exec, exec, s[6:7]
	s_and_saveexec_b64 s[6:7], s[4:5]
	s_cbranch_execz .LBB10_124
.LBB10_123:
	v_bfe_u32 v10, v17, 24, 3
	v_ffbh_u32_e32 v15, v10
	v_min_u32_e32 v15, 32, v15
	v_lshrrev_b32_e32 v12, 27, v17
	v_subrev_u32_e32 v16, 28, v15
	v_and_b32_e32 v12, 15, v12
	v_lshlrev_b32_sdwa v16, v16, v17 dst_sel:DWORD dst_unused:UNUSED_PAD src0_sel:DWORD src1_sel:BYTE_3
	v_bfe_u32 v14, v17, 27, 4
	v_sub_u32_e32 v15, 29, v15
	v_and_b32_e32 v16, 7, v16
	v_cmp_eq_u16_e32 vcc, 0, v12
	v_cndmask_b32_e32 v10, v10, v16, vcc
	v_cndmask_b32_e32 v12, v14, v15, vcc
	v_mov_b32_e32 v14, 0x3b800000
	v_and_b32_e32 v11, 0x80000000, v17
	v_lshlrev_b32_e32 v10, 20, v10
	v_lshl_add_u32 v12, v12, 23, v14
	v_or3_b32 v10, v11, v12, v10
.LBB10_124:
	s_or_b64 exec, exec, s[6:7]
	s_movk_i32 s4, 0x7f
	v_cmp_gt_i16_sdwa s[6:7], v13, s4 src0_sel:BYTE_3 src1_sel:DWORD
	s_mov_b64 s[4:5], 0
                                        ; implicit-def: $sgpr10
	s_and_saveexec_b64 s[8:9], s[6:7]
	s_xor_b64 s[6:7], exec, s[8:9]
	s_cbranch_execnz .LBB10_2173
; %bb.125:
	s_or_saveexec_b64 s[6:7], s[6:7]
	v_mov_b32_e32 v11, s10
	s_xor_b64 exec, exec, s[6:7]
	s_cbranch_execnz .LBB10_2176
.LBB10_126:
	s_or_b64 exec, exec, s[6:7]
	s_and_saveexec_b64 s[6:7], s[4:5]
	s_cbranch_execz .LBB10_128
.LBB10_127:
	v_bfe_u32 v11, v13, 24, 3
	v_ffbh_u32_e32 v16, v11
	v_min_u32_e32 v16, 32, v16
	v_lshrrev_b32_e32 v14, 27, v13
	v_subrev_u32_e32 v17, 28, v16
	v_and_b32_e32 v12, 0x80000000, v13
	v_and_b32_e32 v14, 15, v14
	v_bfe_u32 v15, v13, 27, 4
	v_lshlrev_b32_sdwa v13, v17, v13 dst_sel:DWORD dst_unused:UNUSED_PAD src0_sel:DWORD src1_sel:BYTE_3
	v_sub_u32_e32 v16, 29, v16
	v_and_b32_e32 v13, 7, v13
	v_cmp_eq_u16_e32 vcc, 0, v14
	v_cndmask_b32_e32 v11, v11, v13, vcc
	v_cndmask_b32_e32 v13, v15, v16, vcc
	v_mov_b32_e32 v14, 0x3b800000
	v_lshlrev_b32_e32 v11, 20, v11
	v_lshl_add_u32 v13, v13, 23, v14
	v_or3_b32 v11, v12, v13, v11
.LBB10_128:
	s_or_b64 exec, exec, s[6:7]
	s_nop 0
	v_mfma_f32_16x16x4f32 a[0:3], v10, v11, a[0:3]
	s_movk_i32 s4, 0x7f
	v_cmp_gt_i16_sdwa s[6:7], v6, s4 src0_sel:BYTE_0 src1_sel:DWORD
	s_mov_b64 s[4:5], 0
                                        ; implicit-def: $sgpr10
	s_and_saveexec_b64 s[8:9], s[6:7]
	s_xor_b64 s[6:7], exec, s[8:9]
	s_cbranch_execnz .LBB10_2177
; %bb.129:
	s_or_saveexec_b64 s[6:7], s[6:7]
	v_mov_b32_e32 v10, s10
	s_xor_b64 exec, exec, s[6:7]
	s_cbranch_execnz .LBB10_2180
.LBB10_130:
	s_or_b64 exec, exec, s[6:7]
	s_and_saveexec_b64 s[6:7], s[4:5]
	s_cbranch_execz .LBB10_132
.LBB10_131:
	v_and_b32_e32 v10, 7, v6
	v_ffbh_u32_e32 v12, v10
	v_min_u32_e32 v12, 32, v12
	v_lshrrev_b16_e32 v11, 3, v6
	v_subrev_u32_e32 v13, 28, v12
	v_and_b32_e32 v11, 15, v11
	v_lshlrev_b32_e32 v13, v13, v6
	v_sub_u32_e32 v12, 29, v12
	v_and_b32_e32 v13, 7, v13
	v_cmp_eq_u16_e32 vcc, 0, v11
	v_cndmask_b32_e32 v10, v10, v13, vcc
	v_cndmask_b32_e32 v11, v11, v12, vcc
	v_lshlrev_b32_e32 v12, 24, v6
	v_mov_b32_e32 v13, 0x3b800000
	v_lshlrev_b32_e32 v10, 20, v10
	v_and_b32_e32 v12, 0x80000000, v12
	v_lshl_add_u32 v11, v11, 23, v13
	v_or3_b32 v10, v12, v11, v10
.LBB10_132:
	s_or_b64 exec, exec, s[6:7]
	s_movk_i32 s4, 0x7f
	v_cmp_gt_i16_sdwa s[6:7], v2, s4 src0_sel:BYTE_0 src1_sel:DWORD
	s_mov_b64 s[4:5], 0
                                        ; implicit-def: $sgpr10
	s_and_saveexec_b64 s[8:9], s[6:7]
	s_xor_b64 s[6:7], exec, s[8:9]
	s_cbranch_execnz .LBB10_2181
; %bb.133:
	s_or_saveexec_b64 s[6:7], s[6:7]
	v_mov_b32_e32 v11, s10
	s_xor_b64 exec, exec, s[6:7]
	s_cbranch_execnz .LBB10_2184
.LBB10_134:
	s_or_b64 exec, exec, s[6:7]
	s_and_saveexec_b64 s[6:7], s[4:5]
	s_cbranch_execz .LBB10_136
.LBB10_135:
	v_and_b32_e32 v11, 7, v2
	v_ffbh_u32_e32 v13, v11
	v_min_u32_e32 v13, 32, v13
	v_lshrrev_b16_e32 v12, 3, v2
	v_subrev_u32_e32 v14, 28, v13
	v_and_b32_e32 v12, 15, v12
	v_lshlrev_b32_e32 v14, v14, v2
	v_sub_u32_e32 v13, 29, v13
	v_and_b32_e32 v14, 7, v14
	v_cmp_eq_u16_e32 vcc, 0, v12
	v_cndmask_b32_e32 v11, v11, v14, vcc
	v_cndmask_b32_e32 v12, v12, v13, vcc
	v_lshlrev_b32_e32 v13, 24, v2
	v_mov_b32_e32 v14, 0x3b800000
	v_lshlrev_b32_e32 v11, 20, v11
	v_and_b32_e32 v13, 0x80000000, v13
	v_lshl_add_u32 v12, v12, 23, v14
	v_or3_b32 v11, v13, v12, v11
.LBB10_136:
	s_or_b64 exec, exec, s[6:7]
	s_nop 0
	v_mfma_f32_16x16x4f32 a[0:3], v10, v11, a[0:3]
	v_lshrrev_b32_e32 v11, 8, v6
	s_movk_i32 s4, 0x7f
	v_cmp_gt_i16_sdwa s[6:7], v11, s4 src0_sel:BYTE_0 src1_sel:DWORD
	s_mov_b64 s[4:5], 0
                                        ; implicit-def: $sgpr10
	s_and_saveexec_b64 s[8:9], s[6:7]
	s_xor_b64 s[6:7], exec, s[8:9]
	s_cbranch_execnz .LBB10_2185
; %bb.137:
	s_or_saveexec_b64 s[6:7], s[6:7]
	v_mov_b32_e32 v10, s10
	s_xor_b64 exec, exec, s[6:7]
	s_cbranch_execnz .LBB10_2188
.LBB10_138:
	s_or_b64 exec, exec, s[6:7]
	s_and_saveexec_b64 s[6:7], s[4:5]
	s_cbranch_execz .LBB10_140
.LBB10_139:
	v_bfe_u32 v10, v6, 8, 3
	v_ffbh_u32_e32 v13, v10
	v_min_u32_e32 v13, 32, v13
	v_lshrrev_b16_e32 v12, 3, v11
	v_subrev_u32_e32 v14, 28, v13
	v_and_b32_e32 v12, 15, v12
	v_lshlrev_b32_e32 v11, v14, v11
	v_sub_u32_e32 v13, 29, v13
	v_and_b32_e32 v11, 7, v11
	v_cmp_eq_u16_e32 vcc, 0, v12
	v_cndmask_b32_e32 v10, v10, v11, vcc
	v_cndmask_b32_e32 v11, v12, v13, vcc
	v_lshlrev_b32_e32 v12, 16, v6
	v_mov_b32_e32 v13, 0x3b800000
	v_lshlrev_b32_e32 v10, 20, v10
	v_and_b32_e32 v12, 0x80000000, v12
	v_lshl_add_u32 v11, v11, 23, v13
	v_or3_b32 v10, v12, v11, v10
.LBB10_140:
	s_or_b64 exec, exec, s[6:7]
	v_lshrrev_b32_e32 v11, 8, v2
	s_movk_i32 s4, 0x7f
	v_cmp_gt_i16_sdwa s[6:7], v11, s4 src0_sel:BYTE_0 src1_sel:DWORD
	s_mov_b64 s[4:5], 0
                                        ; implicit-def: $sgpr10
	s_and_saveexec_b64 s[8:9], s[6:7]
	s_xor_b64 s[6:7], exec, s[8:9]
	s_cbranch_execnz .LBB10_2189
; %bb.141:
	s_or_saveexec_b64 s[6:7], s[6:7]
	v_mov_b32_e32 v12, s10
	s_xor_b64 exec, exec, s[6:7]
	s_cbranch_execnz .LBB10_2192
.LBB10_142:
	s_or_b64 exec, exec, s[6:7]
	s_and_saveexec_b64 s[6:7], s[4:5]
	s_cbranch_execz .LBB10_144
.LBB10_143:
	v_bfe_u32 v12, v2, 8, 3
	v_ffbh_u32_e32 v14, v12
	v_min_u32_e32 v14, 32, v14
	v_lshrrev_b16_e32 v13, 3, v11
	v_subrev_u32_e32 v15, 28, v14
	v_and_b32_e32 v13, 15, v13
	v_lshlrev_b32_e32 v11, v15, v11
	v_sub_u32_e32 v14, 29, v14
	v_and_b32_e32 v11, 7, v11
	v_cmp_eq_u16_e32 vcc, 0, v13
	v_cndmask_b32_e32 v11, v12, v11, vcc
	v_cndmask_b32_e32 v12, v13, v14, vcc
	v_lshlrev_b32_e32 v13, 16, v2
	v_mov_b32_e32 v14, 0x3b800000
	v_lshlrev_b32_e32 v11, 20, v11
	v_and_b32_e32 v13, 0x80000000, v13
	v_lshl_add_u32 v12, v12, 23, v14
	v_or3_b32 v12, v13, v12, v11
.LBB10_144:
	s_or_b64 exec, exec, s[6:7]
	s_nop 0
	v_mfma_f32_16x16x4f32 a[0:3], v10, v12, a[0:3]
	s_movk_i32 s4, 0xff
	v_and_b32_sdwa v11, v6, s4 dst_sel:DWORD dst_unused:UNUSED_PAD src0_sel:WORD_1 src1_sel:DWORD
	s_movk_i32 s4, 0x7f
	v_cmp_lt_i16_e32 vcc, s4, v11
	s_mov_b64 s[4:5], 0
                                        ; implicit-def: $sgpr10
	s_and_saveexec_b64 s[6:7], vcc
	s_xor_b64 s[6:7], exec, s[6:7]
	s_cbranch_execnz .LBB10_2193
; %bb.145:
	s_or_saveexec_b64 s[6:7], s[6:7]
	v_mov_b32_e32 v10, s10
	s_xor_b64 exec, exec, s[6:7]
	s_cbranch_execnz .LBB10_2196
.LBB10_146:
	s_or_b64 exec, exec, s[6:7]
	s_and_saveexec_b64 s[6:7], s[4:5]
	s_cbranch_execz .LBB10_148
.LBB10_147:
	v_bfe_u32 v10, v6, 16, 3
	v_ffbh_u32_e32 v13, v10
	v_min_u32_e32 v13, 32, v13
	v_lshrrev_b32_e32 v11, 19, v6
	v_subrev_u32_e32 v14, 28, v13
	v_and_b32_e32 v11, 15, v11
	v_lshlrev_b32_sdwa v14, v14, v6 dst_sel:DWORD dst_unused:UNUSED_PAD src0_sel:DWORD src1_sel:WORD_1
	v_bfe_u32 v12, v6, 19, 4
	v_sub_u32_e32 v13, 29, v13
	v_and_b32_e32 v14, 7, v14
	v_cmp_eq_u16_e32 vcc, 0, v11
	v_cndmask_b32_e32 v10, v10, v14, vcc
	v_cndmask_b32_e32 v11, v12, v13, vcc
	v_lshlrev_b32_e32 v12, 8, v6
	v_mov_b32_e32 v13, 0x3b800000
	v_lshlrev_b32_e32 v10, 20, v10
	v_and_b32_e32 v12, 0x80000000, v12
	v_lshl_add_u32 v11, v11, 23, v13
	v_or3_b32 v10, v12, v11, v10
.LBB10_148:
	s_or_b64 exec, exec, s[6:7]
	s_movk_i32 s4, 0xff
	v_and_b32_sdwa v11, v2, s4 dst_sel:DWORD dst_unused:UNUSED_PAD src0_sel:WORD_1 src1_sel:DWORD
	s_movk_i32 s4, 0x7f
	v_cmp_lt_i16_e32 vcc, s4, v11
	s_mov_b64 s[4:5], 0
                                        ; implicit-def: $sgpr10
	s_and_saveexec_b64 s[6:7], vcc
	s_xor_b64 s[6:7], exec, s[6:7]
	s_cbranch_execnz .LBB10_2197
; %bb.149:
	s_or_saveexec_b64 s[6:7], s[6:7]
	v_mov_b32_e32 v12, s10
	s_xor_b64 exec, exec, s[6:7]
	s_cbranch_execnz .LBB10_2200
.LBB10_150:
	s_or_b64 exec, exec, s[6:7]
	s_and_saveexec_b64 s[6:7], s[4:5]
	s_cbranch_execz .LBB10_152
.LBB10_151:
	v_bfe_u32 v11, v2, 16, 3
	v_ffbh_u32_e32 v14, v11
	v_min_u32_e32 v14, 32, v14
	v_lshrrev_b32_e32 v12, 19, v2
	v_subrev_u32_e32 v15, 28, v14
	v_and_b32_e32 v12, 15, v12
	v_lshlrev_b32_sdwa v15, v15, v2 dst_sel:DWORD dst_unused:UNUSED_PAD src0_sel:DWORD src1_sel:WORD_1
	v_bfe_u32 v13, v2, 19, 4
	v_sub_u32_e32 v14, 29, v14
	v_and_b32_e32 v15, 7, v15
	v_cmp_eq_u16_e32 vcc, 0, v12
	v_cndmask_b32_e32 v11, v11, v15, vcc
	v_cndmask_b32_e32 v12, v13, v14, vcc
	v_lshlrev_b32_e32 v13, 8, v2
	v_mov_b32_e32 v14, 0x3b800000
	v_lshlrev_b32_e32 v11, 20, v11
	v_and_b32_e32 v13, 0x80000000, v13
	v_lshl_add_u32 v12, v12, 23, v14
	v_or3_b32 v12, v13, v12, v11
.LBB10_152:
	s_or_b64 exec, exec, s[6:7]
	s_nop 0
	v_mfma_f32_16x16x4f32 a[0:3], v10, v12, a[0:3]
	s_movk_i32 s4, 0x7f
	v_cmp_gt_i16_sdwa s[6:7], v6, s4 src0_sel:BYTE_3 src1_sel:DWORD
	s_mov_b64 s[4:5], 0
                                        ; implicit-def: $sgpr10
	s_and_saveexec_b64 s[8:9], s[6:7]
	s_xor_b64 s[6:7], exec, s[8:9]
	s_cbranch_execnz .LBB10_2201
; %bb.153:
	s_or_saveexec_b64 s[6:7], s[6:7]
	v_mov_b32_e32 v10, s10
	s_xor_b64 exec, exec, s[6:7]
	s_cbranch_execnz .LBB10_2204
.LBB10_154:
	s_or_b64 exec, exec, s[6:7]
	s_and_saveexec_b64 s[6:7], s[4:5]
	s_cbranch_execz .LBB10_156
.LBB10_155:
	v_bfe_u32 v10, v6, 24, 3
	v_ffbh_u32_e32 v14, v10
	v_min_u32_e32 v14, 32, v14
	v_lshrrev_b32_e32 v12, 27, v6
	v_subrev_u32_e32 v15, 28, v14
	v_and_b32_e32 v11, 0x80000000, v6
	v_and_b32_e32 v12, 15, v12
	v_bfe_u32 v13, v6, 27, 4
	v_lshlrev_b32_sdwa v6, v15, v6 dst_sel:DWORD dst_unused:UNUSED_PAD src0_sel:DWORD src1_sel:BYTE_3
	v_sub_u32_e32 v14, 29, v14
	v_and_b32_e32 v6, 7, v6
	v_cmp_eq_u16_e32 vcc, 0, v12
	v_cndmask_b32_e32 v6, v10, v6, vcc
	v_cndmask_b32_e32 v10, v13, v14, vcc
	v_mov_b32_e32 v12, 0x3b800000
	v_lshlrev_b32_e32 v6, 20, v6
	v_lshl_add_u32 v10, v10, 23, v12
	v_or3_b32 v10, v11, v10, v6
.LBB10_156:
	s_or_b64 exec, exec, s[6:7]
	s_movk_i32 s4, 0x7f
	v_cmp_gt_i16_sdwa s[6:7], v2, s4 src0_sel:BYTE_3 src1_sel:DWORD
	s_mov_b64 s[4:5], 0
                                        ; implicit-def: $sgpr10
	s_and_saveexec_b64 s[8:9], s[6:7]
	s_xor_b64 s[6:7], exec, s[8:9]
	s_cbranch_execnz .LBB10_2205
; %bb.157:
	s_or_saveexec_b64 s[6:7], s[6:7]
	v_mov_b32_e32 v6, s10
	s_xor_b64 exec, exec, s[6:7]
	s_cbranch_execnz .LBB10_2208
.LBB10_158:
	s_or_b64 exec, exec, s[6:7]
	s_and_saveexec_b64 s[6:7], s[4:5]
	s_cbranch_execz .LBB10_160
.LBB10_159:
	v_bfe_u32 v6, v2, 24, 3
	v_ffbh_u32_e32 v14, v6
	v_min_u32_e32 v14, 32, v14
	v_lshrrev_b32_e32 v12, 27, v2
	v_subrev_u32_e32 v15, 28, v14
	v_and_b32_e32 v11, 0x80000000, v2
	v_and_b32_e32 v12, 15, v12
	v_bfe_u32 v13, v2, 27, 4
	v_lshlrev_b32_sdwa v2, v15, v2 dst_sel:DWORD dst_unused:UNUSED_PAD src0_sel:DWORD src1_sel:BYTE_3
	v_sub_u32_e32 v14, 29, v14
	v_and_b32_e32 v2, 7, v2
	v_cmp_eq_u16_e32 vcc, 0, v12
	v_cndmask_b32_e32 v2, v6, v2, vcc
	v_cndmask_b32_e32 v6, v13, v14, vcc
	v_mov_b32_e32 v12, 0x3b800000
	v_lshlrev_b32_e32 v2, 20, v2
	v_lshl_add_u32 v6, v6, 23, v12
	v_or3_b32 v6, v11, v6, v2
.LBB10_160:
	s_or_b64 exec, exec, s[6:7]
	s_nop 0
	v_mfma_f32_16x16x4f32 a[0:3], v10, v6, a[0:3]
	s_movk_i32 s4, 0x7f
	v_cmp_gt_i16_sdwa s[6:7], v7, s4 src0_sel:BYTE_0 src1_sel:DWORD
	s_mov_b64 s[4:5], 0
                                        ; implicit-def: $sgpr10
	s_and_saveexec_b64 s[8:9], s[6:7]
	s_xor_b64 s[6:7], exec, s[8:9]
	s_cbranch_execnz .LBB10_2209
; %bb.161:
	s_or_saveexec_b64 s[6:7], s[6:7]
	v_mov_b32_e32 v2, s10
	s_xor_b64 exec, exec, s[6:7]
	s_cbranch_execnz .LBB10_2212
.LBB10_162:
	s_or_b64 exec, exec, s[6:7]
	s_and_saveexec_b64 s[6:7], s[4:5]
	s_cbranch_execz .LBB10_164
.LBB10_163:
	v_and_b32_e32 v2, 7, v7
	v_ffbh_u32_e32 v10, v2
	v_min_u32_e32 v10, 32, v10
	v_lshrrev_b16_e32 v6, 3, v7
	v_subrev_u32_e32 v11, 28, v10
	v_and_b32_e32 v6, 15, v6
	v_lshlrev_b32_e32 v11, v11, v7
	v_sub_u32_e32 v10, 29, v10
	v_and_b32_e32 v11, 7, v11
	v_cmp_eq_u16_e32 vcc, 0, v6
	v_cndmask_b32_e32 v2, v2, v11, vcc
	v_cndmask_b32_e32 v6, v6, v10, vcc
	v_lshlrev_b32_e32 v10, 24, v7
	v_mov_b32_e32 v11, 0x3b800000
	v_lshlrev_b32_e32 v2, 20, v2
	v_and_b32_e32 v10, 0x80000000, v10
	v_lshl_add_u32 v6, v6, 23, v11
	v_or3_b32 v2, v10, v6, v2
.LBB10_164:
	s_or_b64 exec, exec, s[6:7]
	s_movk_i32 s4, 0x7f
	v_cmp_gt_i16_sdwa s[6:7], v3, s4 src0_sel:BYTE_0 src1_sel:DWORD
	s_mov_b64 s[4:5], 0
                                        ; implicit-def: $sgpr10
	s_and_saveexec_b64 s[8:9], s[6:7]
	s_xor_b64 s[6:7], exec, s[8:9]
	s_cbranch_execnz .LBB10_2213
; %bb.165:
	s_or_saveexec_b64 s[6:7], s[6:7]
	v_mov_b32_e32 v6, s10
	s_xor_b64 exec, exec, s[6:7]
	s_cbranch_execnz .LBB10_2216
.LBB10_166:
	s_or_b64 exec, exec, s[6:7]
	s_and_saveexec_b64 s[6:7], s[4:5]
	s_cbranch_execz .LBB10_168
.LBB10_167:
	v_and_b32_e32 v6, 7, v3
	v_ffbh_u32_e32 v11, v6
	v_min_u32_e32 v11, 32, v11
	v_lshrrev_b16_e32 v10, 3, v3
	v_subrev_u32_e32 v12, 28, v11
	v_and_b32_e32 v10, 15, v10
	v_lshlrev_b32_e32 v12, v12, v3
	v_sub_u32_e32 v11, 29, v11
	v_and_b32_e32 v12, 7, v12
	v_cmp_eq_u16_e32 vcc, 0, v10
	v_cndmask_b32_e32 v6, v6, v12, vcc
	v_cndmask_b32_e32 v10, v10, v11, vcc
	v_lshlrev_b32_e32 v11, 24, v3
	v_mov_b32_e32 v12, 0x3b800000
	v_lshlrev_b32_e32 v6, 20, v6
	v_and_b32_e32 v11, 0x80000000, v11
	v_lshl_add_u32 v10, v10, 23, v12
	v_or3_b32 v6, v11, v10, v6
.LBB10_168:
	s_or_b64 exec, exec, s[6:7]
	s_nop 0
	v_mfma_f32_16x16x4f32 a[0:3], v2, v6, a[0:3]
	v_lshrrev_b32_e32 v6, 8, v7
	s_movk_i32 s4, 0x7f
	v_cmp_gt_i16_sdwa s[6:7], v6, s4 src0_sel:BYTE_0 src1_sel:DWORD
	s_mov_b64 s[4:5], 0
                                        ; implicit-def: $sgpr10
	s_and_saveexec_b64 s[8:9], s[6:7]
	s_xor_b64 s[6:7], exec, s[8:9]
	s_cbranch_execnz .LBB10_2217
; %bb.169:
	s_or_saveexec_b64 s[6:7], s[6:7]
	v_mov_b32_e32 v2, s10
	s_xor_b64 exec, exec, s[6:7]
	s_cbranch_execnz .LBB10_2220
.LBB10_170:
	s_or_b64 exec, exec, s[6:7]
	s_and_saveexec_b64 s[6:7], s[4:5]
	s_cbranch_execz .LBB10_172
.LBB10_171:
	v_bfe_u32 v2, v7, 8, 3
	v_ffbh_u32_e32 v11, v2
	v_min_u32_e32 v11, 32, v11
	v_lshrrev_b16_e32 v10, 3, v6
	v_subrev_u32_e32 v12, 28, v11
	v_and_b32_e32 v10, 15, v10
	v_lshlrev_b32_e32 v6, v12, v6
	v_sub_u32_e32 v11, 29, v11
	v_and_b32_e32 v6, 7, v6
	v_cmp_eq_u16_e32 vcc, 0, v10
	v_cndmask_b32_e32 v2, v2, v6, vcc
	v_cndmask_b32_e32 v6, v10, v11, vcc
	v_lshlrev_b32_e32 v10, 16, v7
	v_mov_b32_e32 v11, 0x3b800000
	v_lshlrev_b32_e32 v2, 20, v2
	v_and_b32_e32 v10, 0x80000000, v10
	v_lshl_add_u32 v6, v6, 23, v11
	v_or3_b32 v2, v10, v6, v2
.LBB10_172:
	s_or_b64 exec, exec, s[6:7]
	v_lshrrev_b32_e32 v6, 8, v3
	s_movk_i32 s4, 0x7f
	v_cmp_gt_i16_sdwa s[6:7], v6, s4 src0_sel:BYTE_0 src1_sel:DWORD
	s_mov_b64 s[4:5], 0
                                        ; implicit-def: $sgpr10
	s_and_saveexec_b64 s[8:9], s[6:7]
	s_xor_b64 s[6:7], exec, s[8:9]
	s_cbranch_execnz .LBB10_2221
; %bb.173:
	s_or_saveexec_b64 s[6:7], s[6:7]
	v_mov_b32_e32 v10, s10
	s_xor_b64 exec, exec, s[6:7]
	s_cbranch_execnz .LBB10_2224
.LBB10_174:
	s_or_b64 exec, exec, s[6:7]
	s_and_saveexec_b64 s[6:7], s[4:5]
	s_cbranch_execz .LBB10_176
.LBB10_175:
	v_bfe_u32 v10, v3, 8, 3
	v_ffbh_u32_e32 v12, v10
	v_min_u32_e32 v12, 32, v12
	v_lshrrev_b16_e32 v11, 3, v6
	v_subrev_u32_e32 v13, 28, v12
	v_and_b32_e32 v11, 15, v11
	v_lshlrev_b32_e32 v6, v13, v6
	v_sub_u32_e32 v12, 29, v12
	v_and_b32_e32 v6, 7, v6
	v_cmp_eq_u16_e32 vcc, 0, v11
	v_cndmask_b32_e32 v6, v10, v6, vcc
	v_cndmask_b32_e32 v10, v11, v12, vcc
	v_lshlrev_b32_e32 v11, 16, v3
	v_mov_b32_e32 v12, 0x3b800000
	v_lshlrev_b32_e32 v6, 20, v6
	v_and_b32_e32 v11, 0x80000000, v11
	v_lshl_add_u32 v10, v10, 23, v12
	v_or3_b32 v10, v11, v10, v6
.LBB10_176:
	s_or_b64 exec, exec, s[6:7]
	s_nop 0
	v_mfma_f32_16x16x4f32 a[0:3], v2, v10, a[0:3]
	s_movk_i32 s4, 0xff
	v_and_b32_sdwa v6, v7, s4 dst_sel:DWORD dst_unused:UNUSED_PAD src0_sel:WORD_1 src1_sel:DWORD
	s_movk_i32 s4, 0x7f
	v_cmp_lt_i16_e32 vcc, s4, v6
	s_mov_b64 s[4:5], 0
                                        ; implicit-def: $sgpr10
	s_and_saveexec_b64 s[6:7], vcc
	s_xor_b64 s[6:7], exec, s[6:7]
	s_cbranch_execnz .LBB10_2225
; %bb.177:
	s_or_saveexec_b64 s[6:7], s[6:7]
	v_mov_b32_e32 v2, s10
	s_xor_b64 exec, exec, s[6:7]
	s_cbranch_execnz .LBB10_2228
.LBB10_178:
	s_or_b64 exec, exec, s[6:7]
	s_and_saveexec_b64 s[6:7], s[4:5]
	s_cbranch_execz .LBB10_180
.LBB10_179:
	v_bfe_u32 v2, v7, 16, 3
	v_ffbh_u32_e32 v11, v2
	v_min_u32_e32 v11, 32, v11
	v_lshrrev_b32_e32 v6, 19, v7
	v_subrev_u32_e32 v12, 28, v11
	v_and_b32_e32 v6, 15, v6
	v_lshlrev_b32_sdwa v12, v12, v7 dst_sel:DWORD dst_unused:UNUSED_PAD src0_sel:DWORD src1_sel:WORD_1
	v_bfe_u32 v10, v7, 19, 4
	v_sub_u32_e32 v11, 29, v11
	v_and_b32_e32 v12, 7, v12
	v_cmp_eq_u16_e32 vcc, 0, v6
	v_cndmask_b32_e32 v2, v2, v12, vcc
	v_cndmask_b32_e32 v6, v10, v11, vcc
	v_lshlrev_b32_e32 v10, 8, v7
	v_mov_b32_e32 v11, 0x3b800000
	v_lshlrev_b32_e32 v2, 20, v2
	v_and_b32_e32 v10, 0x80000000, v10
	v_lshl_add_u32 v6, v6, 23, v11
	v_or3_b32 v2, v10, v6, v2
.LBB10_180:
	s_or_b64 exec, exec, s[6:7]
	s_movk_i32 s4, 0xff
	v_and_b32_sdwa v6, v3, s4 dst_sel:DWORD dst_unused:UNUSED_PAD src0_sel:WORD_1 src1_sel:DWORD
	s_movk_i32 s4, 0x7f
	v_cmp_lt_i16_e32 vcc, s4, v6
	s_mov_b64 s[4:5], 0
                                        ; implicit-def: $sgpr10
	s_and_saveexec_b64 s[6:7], vcc
	s_xor_b64 s[6:7], exec, s[6:7]
	s_cbranch_execnz .LBB10_2229
; %bb.181:
	s_or_saveexec_b64 s[6:7], s[6:7]
	v_mov_b32_e32 v10, s10
	s_xor_b64 exec, exec, s[6:7]
	s_cbranch_execnz .LBB10_2232
.LBB10_182:
	s_or_b64 exec, exec, s[6:7]
	s_and_saveexec_b64 s[6:7], s[4:5]
	s_cbranch_execz .LBB10_184
.LBB10_183:
	v_bfe_u32 v6, v3, 16, 3
	v_ffbh_u32_e32 v12, v6
	v_min_u32_e32 v12, 32, v12
	v_lshrrev_b32_e32 v10, 19, v3
	v_subrev_u32_e32 v13, 28, v12
	v_and_b32_e32 v10, 15, v10
	v_lshlrev_b32_sdwa v13, v13, v3 dst_sel:DWORD dst_unused:UNUSED_PAD src0_sel:DWORD src1_sel:WORD_1
	v_bfe_u32 v11, v3, 19, 4
	v_sub_u32_e32 v12, 29, v12
	v_and_b32_e32 v13, 7, v13
	v_cmp_eq_u16_e32 vcc, 0, v10
	v_cndmask_b32_e32 v6, v6, v13, vcc
	v_cndmask_b32_e32 v10, v11, v12, vcc
	v_lshlrev_b32_e32 v11, 8, v3
	v_mov_b32_e32 v12, 0x3b800000
	v_lshlrev_b32_e32 v6, 20, v6
	v_and_b32_e32 v11, 0x80000000, v11
	v_lshl_add_u32 v10, v10, 23, v12
	v_or3_b32 v10, v11, v10, v6
.LBB10_184:
	s_or_b64 exec, exec, s[6:7]
	s_nop 0
	v_mfma_f32_16x16x4f32 a[0:3], v2, v10, a[0:3]
	s_movk_i32 s4, 0x7f
	v_cmp_gt_i16_sdwa s[6:7], v7, s4 src0_sel:BYTE_3 src1_sel:DWORD
	s_mov_b64 s[4:5], 0
                                        ; implicit-def: $sgpr10
	s_and_saveexec_b64 s[8:9], s[6:7]
	s_xor_b64 s[6:7], exec, s[8:9]
	s_cbranch_execnz .LBB10_2233
; %bb.185:
	s_or_saveexec_b64 s[6:7], s[6:7]
	v_mov_b32_e32 v2, s10
	s_xor_b64 exec, exec, s[6:7]
	s_cbranch_execnz .LBB10_2236
.LBB10_186:
	s_or_b64 exec, exec, s[6:7]
	s_and_saveexec_b64 s[6:7], s[4:5]
	s_cbranch_execz .LBB10_188
.LBB10_187:
	v_bfe_u32 v2, v7, 24, 3
	v_ffbh_u32_e32 v12, v2
	v_min_u32_e32 v12, 32, v12
	v_lshrrev_b32_e32 v10, 27, v7
	v_subrev_u32_e32 v13, 28, v12
	v_and_b32_e32 v6, 0x80000000, v7
	v_and_b32_e32 v10, 15, v10
	v_bfe_u32 v11, v7, 27, 4
	v_lshlrev_b32_sdwa v7, v13, v7 dst_sel:DWORD dst_unused:UNUSED_PAD src0_sel:DWORD src1_sel:BYTE_3
	v_sub_u32_e32 v12, 29, v12
	v_and_b32_e32 v7, 7, v7
	v_cmp_eq_u16_e32 vcc, 0, v10
	v_cndmask_b32_e32 v2, v2, v7, vcc
	v_cndmask_b32_e32 v7, v11, v12, vcc
	v_mov_b32_e32 v10, 0x3b800000
	v_lshlrev_b32_e32 v2, 20, v2
	v_lshl_add_u32 v7, v7, 23, v10
	v_or3_b32 v2, v6, v7, v2
.LBB10_188:
	s_or_b64 exec, exec, s[6:7]
	s_movk_i32 s4, 0x7f
	v_cmp_gt_i16_sdwa s[6:7], v3, s4 src0_sel:BYTE_3 src1_sel:DWORD
	s_mov_b64 s[4:5], 0
                                        ; implicit-def: $sgpr10
	s_and_saveexec_b64 s[8:9], s[6:7]
	s_xor_b64 s[6:7], exec, s[8:9]
	s_cbranch_execnz .LBB10_2237
; %bb.189:
	s_or_saveexec_b64 s[6:7], s[6:7]
	v_mov_b32_e32 v6, s10
	s_xor_b64 exec, exec, s[6:7]
	s_cbranch_execnz .LBB10_2240
.LBB10_190:
	s_or_b64 exec, exec, s[6:7]
	s_and_saveexec_b64 s[6:7], s[4:5]
	s_cbranch_execz .LBB10_192
.LBB10_191:
	v_bfe_u32 v6, v3, 24, 3
	v_ffbh_u32_e32 v12, v6
	v_min_u32_e32 v12, 32, v12
	v_lshrrev_b32_e32 v10, 27, v3
	v_subrev_u32_e32 v13, 28, v12
	v_and_b32_e32 v7, 0x80000000, v3
	v_and_b32_e32 v10, 15, v10
	v_bfe_u32 v11, v3, 27, 4
	v_lshlrev_b32_sdwa v3, v13, v3 dst_sel:DWORD dst_unused:UNUSED_PAD src0_sel:DWORD src1_sel:BYTE_3
	v_sub_u32_e32 v12, 29, v12
	v_and_b32_e32 v3, 7, v3
	v_cmp_eq_u16_e32 vcc, 0, v10
	v_cndmask_b32_e32 v3, v6, v3, vcc
	v_cndmask_b32_e32 v6, v11, v12, vcc
	v_mov_b32_e32 v10, 0x3b800000
	v_lshlrev_b32_e32 v3, 20, v3
	v_lshl_add_u32 v6, v6, 23, v10
	v_or3_b32 v6, v7, v6, v3
.LBB10_192:
	s_or_b64 exec, exec, s[6:7]
	s_nop 0
	v_mfma_f32_16x16x4f32 a[0:3], v2, v6, a[0:3]
	s_movk_i32 s4, 0x7f
	v_cmp_gt_i16_sdwa s[6:7], v8, s4 src0_sel:BYTE_0 src1_sel:DWORD
	s_mov_b64 s[4:5], 0
                                        ; implicit-def: $sgpr10
	s_and_saveexec_b64 s[8:9], s[6:7]
	s_xor_b64 s[6:7], exec, s[8:9]
	s_cbranch_execnz .LBB10_2241
; %bb.193:
	s_or_saveexec_b64 s[6:7], s[6:7]
	v_mov_b32_e32 v2, s10
	s_xor_b64 exec, exec, s[6:7]
	s_cbranch_execnz .LBB10_2244
.LBB10_194:
	s_or_b64 exec, exec, s[6:7]
	s_and_saveexec_b64 s[6:7], s[4:5]
	s_cbranch_execz .LBB10_196
.LBB10_195:
	v_and_b32_e32 v2, 7, v8
	v_ffbh_u32_e32 v6, v2
	v_min_u32_e32 v6, 32, v6
	v_lshrrev_b16_e32 v3, 3, v8
	v_subrev_u32_e32 v7, 28, v6
	v_and_b32_e32 v3, 15, v3
	v_lshlrev_b32_e32 v7, v7, v8
	v_sub_u32_e32 v6, 29, v6
	v_and_b32_e32 v7, 7, v7
	v_cmp_eq_u16_e32 vcc, 0, v3
	v_cndmask_b32_e32 v2, v2, v7, vcc
	v_cndmask_b32_e32 v3, v3, v6, vcc
	v_lshlrev_b32_e32 v6, 24, v8
	v_mov_b32_e32 v7, 0x3b800000
	v_lshlrev_b32_e32 v2, 20, v2
	v_and_b32_e32 v6, 0x80000000, v6
	v_lshl_add_u32 v3, v3, 23, v7
	v_or3_b32 v2, v6, v3, v2
.LBB10_196:
	s_or_b64 exec, exec, s[6:7]
	s_movk_i32 s4, 0x7f
	v_cmp_gt_i16_sdwa s[6:7], v4, s4 src0_sel:BYTE_0 src1_sel:DWORD
	s_mov_b64 s[4:5], 0
                                        ; implicit-def: $sgpr10
	s_and_saveexec_b64 s[8:9], s[6:7]
	s_xor_b64 s[6:7], exec, s[8:9]
	s_cbranch_execnz .LBB10_2245
; %bb.197:
	s_or_saveexec_b64 s[6:7], s[6:7]
	v_mov_b32_e32 v3, s10
	s_xor_b64 exec, exec, s[6:7]
	s_cbranch_execnz .LBB10_2248
.LBB10_198:
	s_or_b64 exec, exec, s[6:7]
	s_and_saveexec_b64 s[6:7], s[4:5]
	s_cbranch_execz .LBB10_200
.LBB10_199:
	v_and_b32_e32 v3, 7, v4
	v_ffbh_u32_e32 v7, v3
	v_min_u32_e32 v7, 32, v7
	v_lshrrev_b16_e32 v6, 3, v4
	v_subrev_u32_e32 v10, 28, v7
	v_and_b32_e32 v6, 15, v6
	v_lshlrev_b32_e32 v10, v10, v4
	v_sub_u32_e32 v7, 29, v7
	v_and_b32_e32 v10, 7, v10
	v_cmp_eq_u16_e32 vcc, 0, v6
	v_cndmask_b32_e32 v3, v3, v10, vcc
	v_cndmask_b32_e32 v6, v6, v7, vcc
	v_lshlrev_b32_e32 v7, 24, v4
	v_mov_b32_e32 v10, 0x3b800000
	v_lshlrev_b32_e32 v3, 20, v3
	v_and_b32_e32 v7, 0x80000000, v7
	v_lshl_add_u32 v6, v6, 23, v10
	v_or3_b32 v3, v7, v6, v3
.LBB10_200:
	s_or_b64 exec, exec, s[6:7]
	s_nop 0
	v_mfma_f32_16x16x4f32 a[0:3], v2, v3, a[0:3]
	v_lshrrev_b32_e32 v3, 8, v8
	s_movk_i32 s4, 0x7f
	v_cmp_gt_i16_sdwa s[6:7], v3, s4 src0_sel:BYTE_0 src1_sel:DWORD
	s_mov_b64 s[4:5], 0
                                        ; implicit-def: $sgpr10
	s_and_saveexec_b64 s[8:9], s[6:7]
	s_xor_b64 s[6:7], exec, s[8:9]
	s_cbranch_execnz .LBB10_2249
; %bb.201:
	s_or_saveexec_b64 s[6:7], s[6:7]
	v_mov_b32_e32 v2, s10
	s_xor_b64 exec, exec, s[6:7]
	s_cbranch_execnz .LBB10_2252
.LBB10_202:
	s_or_b64 exec, exec, s[6:7]
	s_and_saveexec_b64 s[6:7], s[4:5]
	s_cbranch_execz .LBB10_204
.LBB10_203:
	v_bfe_u32 v2, v8, 8, 3
	v_ffbh_u32_e32 v7, v2
	v_min_u32_e32 v7, 32, v7
	v_lshrrev_b16_e32 v6, 3, v3
	v_subrev_u32_e32 v10, 28, v7
	v_and_b32_e32 v6, 15, v6
	v_lshlrev_b32_e32 v3, v10, v3
	v_sub_u32_e32 v7, 29, v7
	v_and_b32_e32 v3, 7, v3
	v_cmp_eq_u16_e32 vcc, 0, v6
	v_cndmask_b32_e32 v2, v2, v3, vcc
	v_cndmask_b32_e32 v3, v6, v7, vcc
	v_lshlrev_b32_e32 v6, 16, v8
	v_mov_b32_e32 v7, 0x3b800000
	v_lshlrev_b32_e32 v2, 20, v2
	v_and_b32_e32 v6, 0x80000000, v6
	v_lshl_add_u32 v3, v3, 23, v7
	v_or3_b32 v2, v6, v3, v2
.LBB10_204:
	s_or_b64 exec, exec, s[6:7]
	v_lshrrev_b32_e32 v3, 8, v4
	s_movk_i32 s4, 0x7f
	v_cmp_gt_i16_sdwa s[6:7], v3, s4 src0_sel:BYTE_0 src1_sel:DWORD
	s_mov_b64 s[4:5], 0
                                        ; implicit-def: $sgpr10
	s_and_saveexec_b64 s[8:9], s[6:7]
	s_xor_b64 s[6:7], exec, s[8:9]
	s_cbranch_execnz .LBB10_2253
; %bb.205:
	s_or_saveexec_b64 s[6:7], s[6:7]
	v_mov_b32_e32 v6, s10
	s_xor_b64 exec, exec, s[6:7]
	s_cbranch_execnz .LBB10_2256
.LBB10_206:
	s_or_b64 exec, exec, s[6:7]
	s_and_saveexec_b64 s[6:7], s[4:5]
	s_cbranch_execz .LBB10_208
.LBB10_207:
	v_bfe_u32 v6, v4, 8, 3
	v_ffbh_u32_e32 v10, v6
	v_min_u32_e32 v10, 32, v10
	v_lshrrev_b16_e32 v7, 3, v3
	v_subrev_u32_e32 v11, 28, v10
	v_and_b32_e32 v7, 15, v7
	v_lshlrev_b32_e32 v3, v11, v3
	v_sub_u32_e32 v10, 29, v10
	v_and_b32_e32 v3, 7, v3
	v_cmp_eq_u16_e32 vcc, 0, v7
	v_cndmask_b32_e32 v3, v6, v3, vcc
	v_cndmask_b32_e32 v6, v7, v10, vcc
	v_lshlrev_b32_e32 v7, 16, v4
	v_mov_b32_e32 v10, 0x3b800000
	v_lshlrev_b32_e32 v3, 20, v3
	v_and_b32_e32 v7, 0x80000000, v7
	v_lshl_add_u32 v6, v6, 23, v10
	v_or3_b32 v6, v7, v6, v3
.LBB10_208:
	s_or_b64 exec, exec, s[6:7]
	s_nop 0
	v_mfma_f32_16x16x4f32 a[0:3], v2, v6, a[0:3]
	s_movk_i32 s4, 0xff
	v_and_b32_sdwa v3, v8, s4 dst_sel:DWORD dst_unused:UNUSED_PAD src0_sel:WORD_1 src1_sel:DWORD
	s_movk_i32 s4, 0x7f
	v_cmp_lt_i16_e32 vcc, s4, v3
	s_mov_b64 s[4:5], 0
                                        ; implicit-def: $sgpr10
	s_and_saveexec_b64 s[6:7], vcc
	s_xor_b64 s[6:7], exec, s[6:7]
	s_cbranch_execnz .LBB10_2257
; %bb.209:
	s_or_saveexec_b64 s[6:7], s[6:7]
	v_mov_b32_e32 v2, s10
	s_xor_b64 exec, exec, s[6:7]
	s_cbranch_execnz .LBB10_2260
.LBB10_210:
	s_or_b64 exec, exec, s[6:7]
	s_and_saveexec_b64 s[6:7], s[4:5]
	s_cbranch_execz .LBB10_212
.LBB10_211:
	v_bfe_u32 v2, v8, 16, 3
	v_ffbh_u32_e32 v7, v2
	v_min_u32_e32 v7, 32, v7
	v_lshrrev_b32_e32 v3, 19, v8
	v_subrev_u32_e32 v10, 28, v7
	v_and_b32_e32 v3, 15, v3
	v_lshlrev_b32_sdwa v10, v10, v8 dst_sel:DWORD dst_unused:UNUSED_PAD src0_sel:DWORD src1_sel:WORD_1
	v_bfe_u32 v6, v8, 19, 4
	v_sub_u32_e32 v7, 29, v7
	v_and_b32_e32 v10, 7, v10
	v_cmp_eq_u16_e32 vcc, 0, v3
	v_cndmask_b32_e32 v2, v2, v10, vcc
	v_cndmask_b32_e32 v3, v6, v7, vcc
	v_lshlrev_b32_e32 v6, 8, v8
	v_mov_b32_e32 v7, 0x3b800000
	v_lshlrev_b32_e32 v2, 20, v2
	v_and_b32_e32 v6, 0x80000000, v6
	v_lshl_add_u32 v3, v3, 23, v7
	v_or3_b32 v2, v6, v3, v2
.LBB10_212:
	s_or_b64 exec, exec, s[6:7]
	s_movk_i32 s4, 0xff
	v_and_b32_sdwa v3, v4, s4 dst_sel:DWORD dst_unused:UNUSED_PAD src0_sel:WORD_1 src1_sel:DWORD
	s_movk_i32 s4, 0x7f
	v_cmp_lt_i16_e32 vcc, s4, v3
	s_mov_b64 s[4:5], 0
                                        ; implicit-def: $sgpr10
	s_and_saveexec_b64 s[6:7], vcc
	s_xor_b64 s[6:7], exec, s[6:7]
	s_cbranch_execnz .LBB10_2261
; %bb.213:
	s_or_saveexec_b64 s[6:7], s[6:7]
	v_mov_b32_e32 v6, s10
	s_xor_b64 exec, exec, s[6:7]
	s_cbranch_execnz .LBB10_2264
.LBB10_214:
	s_or_b64 exec, exec, s[6:7]
	s_and_saveexec_b64 s[6:7], s[4:5]
	s_cbranch_execz .LBB10_216
.LBB10_215:
	v_bfe_u32 v3, v4, 16, 3
	v_ffbh_u32_e32 v10, v3
	v_min_u32_e32 v10, 32, v10
	v_lshrrev_b32_e32 v6, 19, v4
	v_subrev_u32_e32 v11, 28, v10
	v_and_b32_e32 v6, 15, v6
	v_lshlrev_b32_sdwa v11, v11, v4 dst_sel:DWORD dst_unused:UNUSED_PAD src0_sel:DWORD src1_sel:WORD_1
	v_bfe_u32 v7, v4, 19, 4
	v_sub_u32_e32 v10, 29, v10
	v_and_b32_e32 v11, 7, v11
	v_cmp_eq_u16_e32 vcc, 0, v6
	v_cndmask_b32_e32 v3, v3, v11, vcc
	v_cndmask_b32_e32 v6, v7, v10, vcc
	v_lshlrev_b32_e32 v7, 8, v4
	v_mov_b32_e32 v10, 0x3b800000
	v_lshlrev_b32_e32 v3, 20, v3
	v_and_b32_e32 v7, 0x80000000, v7
	v_lshl_add_u32 v6, v6, 23, v10
	v_or3_b32 v6, v7, v6, v3
.LBB10_216:
	s_or_b64 exec, exec, s[6:7]
	s_nop 0
	v_mfma_f32_16x16x4f32 a[0:3], v2, v6, a[0:3]
	s_movk_i32 s4, 0x7f
	v_cmp_gt_i16_sdwa s[6:7], v8, s4 src0_sel:BYTE_3 src1_sel:DWORD
	s_mov_b64 s[4:5], 0
                                        ; implicit-def: $sgpr10
	s_and_saveexec_b64 s[8:9], s[6:7]
	s_xor_b64 s[6:7], exec, s[8:9]
	s_cbranch_execnz .LBB10_2265
; %bb.217:
	s_or_saveexec_b64 s[6:7], s[6:7]
	v_mov_b32_e32 v2, s10
	s_xor_b64 exec, exec, s[6:7]
	s_cbranch_execnz .LBB10_2268
.LBB10_218:
	s_or_b64 exec, exec, s[6:7]
	s_and_saveexec_b64 s[6:7], s[4:5]
	s_cbranch_execz .LBB10_220
.LBB10_219:
	v_bfe_u32 v2, v8, 24, 3
	v_ffbh_u32_e32 v10, v2
	v_min_u32_e32 v10, 32, v10
	v_lshrrev_b32_e32 v6, 27, v8
	v_subrev_u32_e32 v11, 28, v10
	v_and_b32_e32 v3, 0x80000000, v8
	v_and_b32_e32 v6, 15, v6
	v_bfe_u32 v7, v8, 27, 4
	v_lshlrev_b32_sdwa v8, v11, v8 dst_sel:DWORD dst_unused:UNUSED_PAD src0_sel:DWORD src1_sel:BYTE_3
	v_sub_u32_e32 v10, 29, v10
	v_and_b32_e32 v8, 7, v8
	v_cmp_eq_u16_e32 vcc, 0, v6
	v_cndmask_b32_e32 v2, v2, v8, vcc
	v_cndmask_b32_e32 v6, v7, v10, vcc
	v_mov_b32_e32 v7, 0x3b800000
	v_lshlrev_b32_e32 v2, 20, v2
	v_lshl_add_u32 v6, v6, 23, v7
	v_or3_b32 v2, v3, v6, v2
.LBB10_220:
	s_or_b64 exec, exec, s[6:7]
	s_movk_i32 s4, 0x7f
	v_cmp_gt_i16_sdwa s[6:7], v4, s4 src0_sel:BYTE_3 src1_sel:DWORD
	s_mov_b64 s[4:5], 0
                                        ; implicit-def: $sgpr10
	s_and_saveexec_b64 s[8:9], s[6:7]
	s_xor_b64 s[6:7], exec, s[8:9]
	s_cbranch_execnz .LBB10_2269
; %bb.221:
	s_or_saveexec_b64 s[6:7], s[6:7]
	v_mov_b32_e32 v3, s10
	s_xor_b64 exec, exec, s[6:7]
	s_cbranch_execnz .LBB10_2272
.LBB10_222:
	s_or_b64 exec, exec, s[6:7]
	s_and_saveexec_b64 s[6:7], s[4:5]
	s_cbranch_execz .LBB10_224
.LBB10_223:
	v_bfe_u32 v3, v4, 24, 3
	v_ffbh_u32_e32 v10, v3
	v_min_u32_e32 v10, 32, v10
	v_lshrrev_b32_e32 v7, 27, v4
	v_subrev_u32_e32 v11, 28, v10
	v_and_b32_e32 v6, 0x80000000, v4
	v_and_b32_e32 v7, 15, v7
	v_bfe_u32 v8, v4, 27, 4
	v_lshlrev_b32_sdwa v4, v11, v4 dst_sel:DWORD dst_unused:UNUSED_PAD src0_sel:DWORD src1_sel:BYTE_3
	v_sub_u32_e32 v10, 29, v10
	v_and_b32_e32 v4, 7, v4
	v_cmp_eq_u16_e32 vcc, 0, v7
	v_cndmask_b32_e32 v3, v3, v4, vcc
	v_cndmask_b32_e32 v4, v8, v10, vcc
	v_mov_b32_e32 v7, 0x3b800000
	v_lshlrev_b32_e32 v3, 20, v3
	v_lshl_add_u32 v4, v4, 23, v7
	v_or3_b32 v3, v6, v4, v3
.LBB10_224:
	s_or_b64 exec, exec, s[6:7]
	s_nop 0
	v_mfma_f32_16x16x4f32 a[0:3], v2, v3, a[0:3]
	s_movk_i32 s4, 0x7f
	v_cmp_gt_i16_sdwa s[6:7], v9, s4 src0_sel:BYTE_0 src1_sel:DWORD
	s_mov_b64 s[4:5], 0
                                        ; implicit-def: $sgpr10
	s_and_saveexec_b64 s[8:9], s[6:7]
	s_xor_b64 s[6:7], exec, s[8:9]
	s_cbranch_execnz .LBB10_2273
; %bb.225:
	s_or_saveexec_b64 s[6:7], s[6:7]
	v_mov_b32_e32 v2, s10
	s_xor_b64 exec, exec, s[6:7]
	s_cbranch_execnz .LBB10_2276
.LBB10_226:
	s_or_b64 exec, exec, s[6:7]
	s_and_saveexec_b64 s[6:7], s[4:5]
	s_cbranch_execz .LBB10_228
.LBB10_227:
	v_mov_b32_e32 v2, 8
	v_and_b32_e32 v3, 7, v9
	v_lshrrev_b32_sdwa v2, v2, v9 dst_sel:BYTE_1 dst_unused:UNUSED_PAD src0_sel:DWORD src1_sel:DWORD
	v_ffbh_u32_e32 v4, v3
	v_or_b32_sdwa v2, v9, v2 dst_sel:DWORD dst_unused:UNUSED_PAD src0_sel:BYTE_0 src1_sel:DWORD
	v_min_u32_e32 v4, 32, v4
	v_lshrrev_b16_e32 v2, 3, v2
	v_subrev_u32_e32 v6, 28, v4
	v_and_b32_e32 v2, 15, v2
	v_lshlrev_b32_e32 v6, v6, v9
	v_sub_u32_e32 v4, 29, v4
	v_and_b32_e32 v6, 7, v6
	v_cmp_eq_u16_e32 vcc, 0, v2
	v_cndmask_b32_e32 v3, v3, v6, vcc
	v_cndmask_b32_e32 v2, v2, v4, vcc
	v_lshlrev_b32_e32 v4, 24, v9
	v_mov_b32_e32 v6, 0x3b800000
	v_lshlrev_b32_e32 v3, 20, v3
	v_and_b32_e32 v4, 0x80000000, v4
	v_lshl_add_u32 v2, v2, 23, v6
	v_or3_b32 v2, v4, v2, v3
.LBB10_228:
	s_or_b64 exec, exec, s[6:7]
	s_movk_i32 s4, 0x7f
	v_cmp_gt_i16_sdwa s[6:7], v5, s4 src0_sel:BYTE_0 src1_sel:DWORD
	s_mov_b64 s[4:5], 0
                                        ; implicit-def: $sgpr10
	s_and_saveexec_b64 s[8:9], s[6:7]
	s_xor_b64 s[6:7], exec, s[8:9]
	s_cbranch_execnz .LBB10_2277
; %bb.229:
	s_or_saveexec_b64 s[6:7], s[6:7]
	v_mov_b32_e32 v3, s10
	s_xor_b64 exec, exec, s[6:7]
	s_cbranch_execnz .LBB10_2280
.LBB10_230:
	s_or_b64 exec, exec, s[6:7]
	s_and_saveexec_b64 s[6:7], s[4:5]
	s_cbranch_execz .LBB10_232
.LBB10_231:
	v_mov_b32_e32 v3, 8
	v_and_b32_e32 v4, 7, v5
	v_lshrrev_b32_sdwa v3, v3, v5 dst_sel:BYTE_1 dst_unused:UNUSED_PAD src0_sel:DWORD src1_sel:DWORD
	v_ffbh_u32_e32 v6, v4
	v_or_b32_sdwa v3, v5, v3 dst_sel:DWORD dst_unused:UNUSED_PAD src0_sel:BYTE_0 src1_sel:DWORD
	v_min_u32_e32 v6, 32, v6
	v_lshrrev_b16_e32 v3, 3, v3
	v_subrev_u32_e32 v7, 28, v6
	v_and_b32_e32 v3, 15, v3
	v_lshlrev_b32_e32 v7, v7, v5
	v_sub_u32_e32 v6, 29, v6
	v_and_b32_e32 v7, 7, v7
	v_cmp_eq_u16_e32 vcc, 0, v3
	v_cndmask_b32_e32 v4, v4, v7, vcc
	v_cndmask_b32_e32 v3, v3, v6, vcc
	v_lshlrev_b32_e32 v6, 24, v5
	v_mov_b32_e32 v7, 0x3b800000
	v_lshlrev_b32_e32 v4, 20, v4
	v_and_b32_e32 v6, 0x80000000, v6
	v_lshl_add_u32 v3, v3, 23, v7
	v_or3_b32 v3, v6, v3, v4
.LBB10_232:
	s_or_b64 exec, exec, s[6:7]
	s_nop 0
	v_mfma_f32_16x16x4f32 a[0:3], v2, v3, a[0:3]
	v_lshrrev_b32_e32 v3, 8, v9
	s_movk_i32 s4, 0x7f
	v_cmp_gt_i16_sdwa s[6:7], v3, s4 src0_sel:BYTE_0 src1_sel:DWORD
	s_mov_b64 s[4:5], 0
                                        ; implicit-def: $sgpr10
	s_and_saveexec_b64 s[8:9], s[6:7]
	s_xor_b64 s[6:7], exec, s[8:9]
	s_cbranch_execnz .LBB10_2281
; %bb.233:
	s_or_saveexec_b64 s[6:7], s[6:7]
	v_mov_b32_e32 v2, s10
	s_xor_b64 exec, exec, s[6:7]
	s_cbranch_execnz .LBB10_2284
.LBB10_234:
	s_or_b64 exec, exec, s[6:7]
	s_and_saveexec_b64 s[6:7], s[4:5]
	s_cbranch_execz .LBB10_236
.LBB10_235:
	v_bfe_u32 v2, v9, 8, 3
	v_ffbh_u32_e32 v6, v2
	v_min_u32_e32 v6, 32, v6
	v_lshrrev_b16_e32 v4, 3, v3
	v_subrev_u32_e32 v7, 28, v6
	v_and_b32_e32 v4, 15, v4
	v_lshlrev_b32_e32 v3, v7, v3
	v_sub_u32_e32 v6, 29, v6
	v_and_b32_e32 v3, 7, v3
	v_cmp_eq_u16_e32 vcc, 0, v4
	v_cndmask_b32_e32 v2, v2, v3, vcc
	v_cndmask_b32_e32 v3, v4, v6, vcc
	v_lshlrev_b32_e32 v4, 16, v9
	v_mov_b32_e32 v6, 0x3b800000
	v_lshlrev_b32_e32 v2, 20, v2
	v_and_b32_e32 v4, 0x80000000, v4
	v_lshl_add_u32 v3, v3, 23, v6
	v_or3_b32 v2, v4, v3, v2
.LBB10_236:
	s_or_b64 exec, exec, s[6:7]
	v_lshrrev_b32_e32 v3, 8, v5
	s_movk_i32 s4, 0x7f
	v_cmp_gt_i16_sdwa s[6:7], v3, s4 src0_sel:BYTE_0 src1_sel:DWORD
	s_mov_b64 s[4:5], 0
                                        ; implicit-def: $sgpr10
	s_and_saveexec_b64 s[8:9], s[6:7]
	s_xor_b64 s[6:7], exec, s[8:9]
	s_cbranch_execnz .LBB10_2285
; %bb.237:
	s_or_saveexec_b64 s[6:7], s[6:7]
	v_mov_b32_e32 v4, s10
	s_xor_b64 exec, exec, s[6:7]
	s_cbranch_execnz .LBB10_2288
.LBB10_238:
	s_or_b64 exec, exec, s[6:7]
	s_and_saveexec_b64 s[6:7], s[4:5]
	s_cbranch_execz .LBB10_240
.LBB10_239:
	v_bfe_u32 v4, v5, 8, 3
	v_ffbh_u32_e32 v7, v4
	v_min_u32_e32 v7, 32, v7
	v_lshrrev_b16_e32 v6, 3, v3
	v_subrev_u32_e32 v8, 28, v7
	v_and_b32_e32 v6, 15, v6
	v_lshlrev_b32_e32 v3, v8, v3
	v_sub_u32_e32 v7, 29, v7
	v_and_b32_e32 v3, 7, v3
	v_cmp_eq_u16_e32 vcc, 0, v6
	v_cndmask_b32_e32 v3, v4, v3, vcc
	v_cndmask_b32_e32 v4, v6, v7, vcc
	v_lshlrev_b32_e32 v6, 16, v5
	v_mov_b32_e32 v7, 0x3b800000
	v_lshlrev_b32_e32 v3, 20, v3
	v_and_b32_e32 v6, 0x80000000, v6
	v_lshl_add_u32 v4, v4, 23, v7
	v_or3_b32 v4, v6, v4, v3
.LBB10_240:
	s_or_b64 exec, exec, s[6:7]
	s_nop 0
	v_mfma_f32_16x16x4f32 a[0:3], v2, v4, a[0:3]
	s_movk_i32 s4, 0xff
	v_and_b32_sdwa v3, v9, s4 dst_sel:DWORD dst_unused:UNUSED_PAD src0_sel:WORD_1 src1_sel:DWORD
	s_movk_i32 s4, 0x7f
	v_cmp_lt_i16_e32 vcc, s4, v3
	s_mov_b64 s[4:5], 0
                                        ; implicit-def: $sgpr10
	s_and_saveexec_b64 s[6:7], vcc
	s_xor_b64 s[6:7], exec, s[6:7]
	s_cbranch_execnz .LBB10_2289
; %bb.241:
	s_or_saveexec_b64 s[6:7], s[6:7]
	v_mov_b32_e32 v2, s10
	s_xor_b64 exec, exec, s[6:7]
	s_cbranch_execnz .LBB10_2292
.LBB10_242:
	s_or_b64 exec, exec, s[6:7]
	s_and_saveexec_b64 s[6:7], s[4:5]
	s_cbranch_execz .LBB10_244
.LBB10_243:
	v_bfe_u32 v2, v9, 16, 3
	v_ffbh_u32_e32 v6, v2
	v_min_u32_e32 v6, 32, v6
	v_lshrrev_b32_e32 v3, 19, v9
	v_subrev_u32_e32 v7, 28, v6
	v_and_b32_e32 v3, 15, v3
	v_lshlrev_b32_sdwa v7, v7, v9 dst_sel:DWORD dst_unused:UNUSED_PAD src0_sel:DWORD src1_sel:WORD_1
	v_bfe_u32 v4, v9, 19, 4
	v_sub_u32_e32 v6, 29, v6
	v_and_b32_e32 v7, 7, v7
	v_cmp_eq_u16_e32 vcc, 0, v3
	v_cndmask_b32_e32 v2, v2, v7, vcc
	v_cndmask_b32_e32 v3, v4, v6, vcc
	v_lshlrev_b32_e32 v4, 8, v9
	v_mov_b32_e32 v6, 0x3b800000
	v_lshlrev_b32_e32 v2, 20, v2
	v_and_b32_e32 v4, 0x80000000, v4
	v_lshl_add_u32 v3, v3, 23, v6
	v_or3_b32 v2, v4, v3, v2
.LBB10_244:
	s_or_b64 exec, exec, s[6:7]
	s_movk_i32 s4, 0xff
	v_and_b32_sdwa v3, v5, s4 dst_sel:DWORD dst_unused:UNUSED_PAD src0_sel:WORD_1 src1_sel:DWORD
	s_movk_i32 s4, 0x7f
	v_cmp_lt_i16_e32 vcc, s4, v3
	s_mov_b64 s[4:5], 0
                                        ; implicit-def: $sgpr10
	s_and_saveexec_b64 s[6:7], vcc
	s_xor_b64 s[6:7], exec, s[6:7]
	s_cbranch_execnz .LBB10_2293
; %bb.245:
	s_or_saveexec_b64 s[6:7], s[6:7]
	v_mov_b32_e32 v4, s10
	s_xor_b64 exec, exec, s[6:7]
	s_cbranch_execnz .LBB10_2296
.LBB10_246:
	s_or_b64 exec, exec, s[6:7]
	s_and_saveexec_b64 s[6:7], s[4:5]
	s_cbranch_execz .LBB10_248
.LBB10_247:
	v_bfe_u32 v3, v5, 16, 3
	v_ffbh_u32_e32 v7, v3
	v_min_u32_e32 v7, 32, v7
	v_lshrrev_b32_e32 v4, 19, v5
	v_subrev_u32_e32 v8, 28, v7
	v_and_b32_e32 v4, 15, v4
	v_lshlrev_b32_sdwa v8, v8, v5 dst_sel:DWORD dst_unused:UNUSED_PAD src0_sel:DWORD src1_sel:WORD_1
	v_bfe_u32 v6, v5, 19, 4
	v_sub_u32_e32 v7, 29, v7
	v_and_b32_e32 v8, 7, v8
	v_cmp_eq_u16_e32 vcc, 0, v4
	v_cndmask_b32_e32 v3, v3, v8, vcc
	v_cndmask_b32_e32 v4, v6, v7, vcc
	v_lshlrev_b32_e32 v6, 8, v5
	v_mov_b32_e32 v7, 0x3b800000
	v_lshlrev_b32_e32 v3, 20, v3
	v_and_b32_e32 v6, 0x80000000, v6
	v_lshl_add_u32 v4, v4, 23, v7
	v_or3_b32 v4, v6, v4, v3
.LBB10_248:
	s_or_b64 exec, exec, s[6:7]
	s_nop 0
	v_mfma_f32_16x16x4f32 a[0:3], v2, v4, a[0:3]
	s_movk_i32 s4, 0x7f
	v_cmp_gt_i16_sdwa s[6:7], v9, s4 src0_sel:BYTE_3 src1_sel:DWORD
	s_mov_b64 s[4:5], 0
                                        ; implicit-def: $sgpr10
	s_and_saveexec_b64 s[8:9], s[6:7]
	s_xor_b64 s[6:7], exec, s[8:9]
	s_cbranch_execnz .LBB10_2297
; %bb.249:
	s_or_saveexec_b64 s[6:7], s[6:7]
	v_mov_b32_e32 v2, s10
	s_xor_b64 exec, exec, s[6:7]
	s_cbranch_execnz .LBB10_2300
.LBB10_250:
	s_or_b64 exec, exec, s[6:7]
	s_and_saveexec_b64 s[6:7], s[4:5]
	s_cbranch_execz .LBB10_252
.LBB10_251:
	v_bfe_u32 v2, v9, 24, 3
	v_ffbh_u32_e32 v7, v2
	v_min_u32_e32 v7, 32, v7
	v_lshrrev_b32_e32 v4, 27, v9
	v_subrev_u32_e32 v8, 28, v7
	v_and_b32_e32 v4, 15, v4
	v_lshlrev_b32_sdwa v8, v8, v9 dst_sel:DWORD dst_unused:UNUSED_PAD src0_sel:DWORD src1_sel:BYTE_3
	v_bfe_u32 v6, v9, 27, 4
	v_sub_u32_e32 v7, 29, v7
	v_and_b32_e32 v8, 7, v8
	v_cmp_eq_u16_e32 vcc, 0, v4
	v_cndmask_b32_e32 v2, v2, v8, vcc
	v_cndmask_b32_e32 v4, v6, v7, vcc
	v_mov_b32_e32 v6, 0x3b800000
	v_and_b32_e32 v3, 0x80000000, v9
	v_lshlrev_b32_e32 v2, 20, v2
	v_lshl_add_u32 v4, v4, 23, v6
	v_or3_b32 v2, v3, v4, v2
.LBB10_252:
	s_or_b64 exec, exec, s[6:7]
	s_movk_i32 s4, 0x7f
	v_cmp_gt_i16_sdwa s[6:7], v5, s4 src0_sel:BYTE_3 src1_sel:DWORD
	s_mov_b64 s[4:5], 0
                                        ; implicit-def: $sgpr10
	s_and_saveexec_b64 s[8:9], s[6:7]
	s_xor_b64 s[6:7], exec, s[8:9]
	s_cbranch_execnz .LBB10_2301
; %bb.253:
	s_or_saveexec_b64 s[6:7], s[6:7]
	v_mov_b32_e32 v3, s10
	s_xor_b64 exec, exec, s[6:7]
	s_cbranch_execnz .LBB10_2304
.LBB10_254:
	s_or_b64 exec, exec, s[6:7]
	s_and_saveexec_b64 s[6:7], s[4:5]
	s_cbranch_execz .LBB10_256
.LBB10_255:
	v_bfe_u32 v3, v5, 24, 3
	v_ffbh_u32_e32 v8, v3
	v_min_u32_e32 v8, 32, v8
	v_lshrrev_b32_e32 v6, 27, v5
	v_subrev_u32_e32 v9, 28, v8
	v_and_b32_e32 v4, 0x80000000, v5
	v_and_b32_e32 v6, 15, v6
	v_bfe_u32 v7, v5, 27, 4
	v_lshlrev_b32_sdwa v5, v9, v5 dst_sel:DWORD dst_unused:UNUSED_PAD src0_sel:DWORD src1_sel:BYTE_3
	v_sub_u32_e32 v8, 29, v8
	v_and_b32_e32 v5, 7, v5
	v_cmp_eq_u16_e32 vcc, 0, v6
	v_cndmask_b32_e32 v3, v3, v5, vcc
	v_cndmask_b32_e32 v5, v7, v8, vcc
	v_mov_b32_e32 v6, 0x3b800000
	v_lshlrev_b32_e32 v3, 20, v3
	v_lshl_add_u32 v5, v5, 23, v6
	v_or3_b32 v3, v4, v5, v3
.LBB10_256:
	s_or_b64 exec, exec, s[6:7]
	s_nop 0
	v_mfma_f32_16x16x4f32 a[0:3], v2, v3, a[0:3]
	s_movk_i32 s4, 0x7f
                                        ; implicit-def: $sgpr10
	s_nop 7
	s_nop 1
	flat_store_dwordx4 v[18:19], a[0:3]
	flat_load_dwordx4 v[20:23], v[0:1] offset:16
	s_nop 0
	flat_load_dwordx2 v[18:19], v[0:1] offset:32
	s_waitcnt vmcnt(0) lgkmcnt(0)
	flat_load_dwordx4 v[14:17], v[20:21]
	flat_load_dwordx4 v[6:9], v[20:21] offset:16
	flat_load_dwordx4 v[10:13], v[22:23] offset:288
	;; [unrolled: 1-line block ×3, first 2 shown]
	s_waitcnt vmcnt(0) lgkmcnt(0)
	v_cmp_gt_i16_sdwa s[6:7], v14, s4 src0_sel:BYTE_0 src1_sel:DWORD
	s_mov_b64 s[4:5], 0
	s_and_saveexec_b64 s[8:9], s[6:7]
	s_xor_b64 s[6:7], exec, s[8:9]
	s_cbranch_execnz .LBB10_2305
; %bb.257:
	s_or_saveexec_b64 s[6:7], s[6:7]
	v_mov_b32_e32 v20, s10
	s_xor_b64 exec, exec, s[6:7]
	s_cbranch_execnz .LBB10_2308
.LBB10_258:
	s_or_b64 exec, exec, s[6:7]
	s_and_saveexec_b64 s[6:7], s[4:5]
	s_cbranch_execz .LBB10_260
.LBB10_259:
	v_and_b32_e32 v20, 7, v14
	v_ffbh_u32_e32 v22, v20
	v_min_u32_e32 v22, 32, v22
	v_lshrrev_b16_e32 v21, 3, v14
	v_subrev_u32_e32 v23, 28, v22
	v_and_b32_e32 v21, 15, v21
	v_lshlrev_b32_e32 v23, v23, v14
	v_sub_u32_e32 v22, 29, v22
	v_and_b32_e32 v23, 7, v23
	v_cmp_eq_u16_e32 vcc, 0, v21
	v_cndmask_b32_e32 v20, v20, v23, vcc
	v_cndmask_b32_e32 v21, v21, v22, vcc
	v_lshlrev_b32_e32 v22, 24, v14
	v_mov_b32_e32 v23, 0x3b800000
	v_lshlrev_b32_e32 v20, 20, v20
	v_and_b32_e32 v22, 0x80000000, v22
	v_lshl_add_u32 v21, v21, 23, v23
	v_or3_b32 v20, v22, v21, v20
.LBB10_260:
	s_or_b64 exec, exec, s[6:7]
	s_movk_i32 s4, 0x7f
	v_cmp_gt_i16_sdwa s[6:7], v10, s4 src0_sel:BYTE_0 src1_sel:DWORD
	s_mov_b64 s[4:5], 0
                                        ; implicit-def: $sgpr10
	s_and_saveexec_b64 s[8:9], s[6:7]
	s_xor_b64 s[6:7], exec, s[8:9]
	s_cbranch_execnz .LBB10_2309
; %bb.261:
	s_or_saveexec_b64 s[6:7], s[6:7]
	v_mov_b32_e32 v21, s10
	s_xor_b64 exec, exec, s[6:7]
	s_cbranch_execnz .LBB10_2312
.LBB10_262:
	s_or_b64 exec, exec, s[6:7]
	s_and_saveexec_b64 s[6:7], s[4:5]
	s_cbranch_execz .LBB10_264
.LBB10_263:
	v_and_b32_e32 v21, 7, v10
	v_ffbh_u32_e32 v23, v21
	v_min_u32_e32 v23, 32, v23
	v_lshrrev_b16_e32 v22, 3, v10
	v_subrev_u32_e32 v24, 28, v23
	v_and_b32_e32 v22, 15, v22
	v_lshlrev_b32_e32 v24, v24, v10
	v_sub_u32_e32 v23, 29, v23
	v_and_b32_e32 v24, 7, v24
	v_cmp_eq_u16_e32 vcc, 0, v22
	v_cndmask_b32_e32 v21, v21, v24, vcc
	v_cndmask_b32_e32 v22, v22, v23, vcc
	v_lshlrev_b32_e32 v23, 24, v10
	v_mov_b32_e32 v24, 0x3b800000
	v_lshlrev_b32_e32 v21, 20, v21
	v_and_b32_e32 v23, 0x80000000, v23
	v_lshl_add_u32 v22, v22, 23, v24
	v_or3_b32 v21, v23, v22, v21
.LBB10_264:
	s_or_b64 exec, exec, s[6:7]
	flat_load_dwordx4 a[0:3], v[18:19] offset:16
	s_movk_i32 s4, 0x7f
                                        ; implicit-def: $sgpr10
	s_waitcnt vmcnt(0) lgkmcnt(0)
	v_mfma_f32_16x16x4f32 a[0:3], v20, v21, a[0:3]
	v_lshrrev_b32_e32 v21, 8, v14
	v_cmp_gt_i16_sdwa s[6:7], v21, s4 src0_sel:BYTE_0 src1_sel:DWORD
	s_mov_b64 s[4:5], 0
	s_and_saveexec_b64 s[8:9], s[6:7]
	s_xor_b64 s[6:7], exec, s[8:9]
	s_cbranch_execnz .LBB10_2313
; %bb.265:
	s_or_saveexec_b64 s[6:7], s[6:7]
	v_mov_b32_e32 v20, s10
	s_xor_b64 exec, exec, s[6:7]
	s_cbranch_execnz .LBB10_2316
.LBB10_266:
	s_or_b64 exec, exec, s[6:7]
	s_and_saveexec_b64 s[6:7], s[4:5]
	s_cbranch_execz .LBB10_268
.LBB10_267:
	v_bfe_u32 v20, v14, 8, 3
	v_ffbh_u32_e32 v23, v20
	v_min_u32_e32 v23, 32, v23
	v_lshrrev_b16_e32 v22, 3, v21
	v_subrev_u32_e32 v24, 28, v23
	v_and_b32_e32 v22, 15, v22
	v_lshlrev_b32_e32 v21, v24, v21
	v_sub_u32_e32 v23, 29, v23
	v_and_b32_e32 v21, 7, v21
	v_cmp_eq_u16_e32 vcc, 0, v22
	v_cndmask_b32_e32 v20, v20, v21, vcc
	v_cndmask_b32_e32 v21, v22, v23, vcc
	v_lshlrev_b32_e32 v22, 16, v14
	v_mov_b32_e32 v23, 0x3b800000
	v_lshlrev_b32_e32 v20, 20, v20
	v_and_b32_e32 v22, 0x80000000, v22
	v_lshl_add_u32 v21, v21, 23, v23
	v_or3_b32 v20, v22, v21, v20
.LBB10_268:
	s_or_b64 exec, exec, s[6:7]
	v_lshrrev_b32_e32 v21, 8, v10
	s_movk_i32 s4, 0x7f
	v_cmp_gt_i16_sdwa s[6:7], v21, s4 src0_sel:BYTE_0 src1_sel:DWORD
	s_mov_b64 s[4:5], 0
                                        ; implicit-def: $sgpr10
	s_and_saveexec_b64 s[8:9], s[6:7]
	s_xor_b64 s[6:7], exec, s[8:9]
	s_cbranch_execnz .LBB10_2317
; %bb.269:
	s_or_saveexec_b64 s[6:7], s[6:7]
	v_mov_b32_e32 v22, s10
	s_xor_b64 exec, exec, s[6:7]
	s_cbranch_execnz .LBB10_2320
.LBB10_270:
	s_or_b64 exec, exec, s[6:7]
	s_and_saveexec_b64 s[6:7], s[4:5]
	s_cbranch_execz .LBB10_272
.LBB10_271:
	v_bfe_u32 v22, v10, 8, 3
	v_ffbh_u32_e32 v24, v22
	v_min_u32_e32 v24, 32, v24
	v_lshrrev_b16_e32 v23, 3, v21
	v_subrev_u32_e32 v25, 28, v24
	v_and_b32_e32 v23, 15, v23
	v_lshlrev_b32_e32 v21, v25, v21
	v_sub_u32_e32 v24, 29, v24
	v_and_b32_e32 v21, 7, v21
	v_cmp_eq_u16_e32 vcc, 0, v23
	v_cndmask_b32_e32 v21, v22, v21, vcc
	v_cndmask_b32_e32 v22, v23, v24, vcc
	v_lshlrev_b32_e32 v23, 16, v10
	v_mov_b32_e32 v24, 0x3b800000
	v_lshlrev_b32_e32 v21, 20, v21
	v_and_b32_e32 v23, 0x80000000, v23
	v_lshl_add_u32 v22, v22, 23, v24
	v_or3_b32 v22, v23, v22, v21
.LBB10_272:
	s_or_b64 exec, exec, s[6:7]
	s_nop 0
	v_mfma_f32_16x16x4f32 a[0:3], v20, v22, a[0:3]
	s_movk_i32 s4, 0xff
	v_and_b32_sdwa v21, v14, s4 dst_sel:DWORD dst_unused:UNUSED_PAD src0_sel:WORD_1 src1_sel:DWORD
	s_movk_i32 s4, 0x7f
	v_cmp_lt_i16_e32 vcc, s4, v21
	s_mov_b64 s[4:5], 0
                                        ; implicit-def: $sgpr10
	s_and_saveexec_b64 s[6:7], vcc
	s_xor_b64 s[6:7], exec, s[6:7]
	s_cbranch_execnz .LBB10_2321
; %bb.273:
	s_or_saveexec_b64 s[6:7], s[6:7]
	v_mov_b32_e32 v20, s10
	s_xor_b64 exec, exec, s[6:7]
	s_cbranch_execnz .LBB10_2324
.LBB10_274:
	s_or_b64 exec, exec, s[6:7]
	s_and_saveexec_b64 s[6:7], s[4:5]
	s_cbranch_execz .LBB10_276
.LBB10_275:
	v_bfe_u32 v20, v14, 16, 3
	v_ffbh_u32_e32 v23, v20
	v_min_u32_e32 v23, 32, v23
	v_lshrrev_b32_e32 v21, 19, v14
	v_subrev_u32_e32 v24, 28, v23
	v_and_b32_e32 v21, 15, v21
	v_lshlrev_b32_sdwa v24, v24, v14 dst_sel:DWORD dst_unused:UNUSED_PAD src0_sel:DWORD src1_sel:WORD_1
	v_bfe_u32 v22, v14, 19, 4
	v_sub_u32_e32 v23, 29, v23
	v_and_b32_e32 v24, 7, v24
	v_cmp_eq_u16_e32 vcc, 0, v21
	v_cndmask_b32_e32 v20, v20, v24, vcc
	v_cndmask_b32_e32 v21, v22, v23, vcc
	v_lshlrev_b32_e32 v22, 8, v14
	v_mov_b32_e32 v23, 0x3b800000
	v_lshlrev_b32_e32 v20, 20, v20
	v_and_b32_e32 v22, 0x80000000, v22
	v_lshl_add_u32 v21, v21, 23, v23
	v_or3_b32 v20, v22, v21, v20
.LBB10_276:
	s_or_b64 exec, exec, s[6:7]
	s_movk_i32 s4, 0xff
	v_and_b32_sdwa v21, v10, s4 dst_sel:DWORD dst_unused:UNUSED_PAD src0_sel:WORD_1 src1_sel:DWORD
	s_movk_i32 s4, 0x7f
	v_cmp_lt_i16_e32 vcc, s4, v21
	s_mov_b64 s[4:5], 0
                                        ; implicit-def: $sgpr10
	s_and_saveexec_b64 s[6:7], vcc
	s_xor_b64 s[6:7], exec, s[6:7]
	s_cbranch_execnz .LBB10_2325
; %bb.277:
	s_or_saveexec_b64 s[6:7], s[6:7]
	v_mov_b32_e32 v22, s10
	s_xor_b64 exec, exec, s[6:7]
	s_cbranch_execnz .LBB10_2328
.LBB10_278:
	s_or_b64 exec, exec, s[6:7]
	s_and_saveexec_b64 s[6:7], s[4:5]
	s_cbranch_execz .LBB10_280
.LBB10_279:
	v_bfe_u32 v21, v10, 16, 3
	v_ffbh_u32_e32 v24, v21
	v_min_u32_e32 v24, 32, v24
	v_lshrrev_b32_e32 v22, 19, v10
	v_subrev_u32_e32 v25, 28, v24
	v_and_b32_e32 v22, 15, v22
	v_lshlrev_b32_sdwa v25, v25, v10 dst_sel:DWORD dst_unused:UNUSED_PAD src0_sel:DWORD src1_sel:WORD_1
	v_bfe_u32 v23, v10, 19, 4
	v_sub_u32_e32 v24, 29, v24
	v_and_b32_e32 v25, 7, v25
	v_cmp_eq_u16_e32 vcc, 0, v22
	v_cndmask_b32_e32 v21, v21, v25, vcc
	v_cndmask_b32_e32 v22, v23, v24, vcc
	v_lshlrev_b32_e32 v23, 8, v10
	v_mov_b32_e32 v24, 0x3b800000
	v_lshlrev_b32_e32 v21, 20, v21
	v_and_b32_e32 v23, 0x80000000, v23
	v_lshl_add_u32 v22, v22, 23, v24
	v_or3_b32 v22, v23, v22, v21
.LBB10_280:
	s_or_b64 exec, exec, s[6:7]
	s_nop 0
	v_mfma_f32_16x16x4f32 a[0:3], v20, v22, a[0:3]
	s_movk_i32 s4, 0x7f
	v_cmp_gt_i16_sdwa s[6:7], v14, s4 src0_sel:BYTE_3 src1_sel:DWORD
	s_mov_b64 s[4:5], 0
                                        ; implicit-def: $sgpr10
	s_and_saveexec_b64 s[8:9], s[6:7]
	s_xor_b64 s[6:7], exec, s[8:9]
	s_cbranch_execnz .LBB10_2329
; %bb.281:
	s_or_saveexec_b64 s[6:7], s[6:7]
	v_mov_b32_e32 v20, s10
	s_xor_b64 exec, exec, s[6:7]
	s_cbranch_execnz .LBB10_2332
.LBB10_282:
	s_or_b64 exec, exec, s[6:7]
	s_and_saveexec_b64 s[6:7], s[4:5]
	s_cbranch_execz .LBB10_284
.LBB10_283:
	v_bfe_u32 v20, v14, 24, 3
	v_ffbh_u32_e32 v24, v20
	v_min_u32_e32 v24, 32, v24
	v_lshrrev_b32_e32 v22, 27, v14
	v_subrev_u32_e32 v25, 28, v24
	v_and_b32_e32 v21, 0x80000000, v14
	v_and_b32_e32 v22, 15, v22
	v_bfe_u32 v23, v14, 27, 4
	v_lshlrev_b32_sdwa v14, v25, v14 dst_sel:DWORD dst_unused:UNUSED_PAD src0_sel:DWORD src1_sel:BYTE_3
	v_sub_u32_e32 v24, 29, v24
	v_and_b32_e32 v14, 7, v14
	v_cmp_eq_u16_e32 vcc, 0, v22
	v_cndmask_b32_e32 v14, v20, v14, vcc
	v_cndmask_b32_e32 v20, v23, v24, vcc
	v_mov_b32_e32 v22, 0x3b800000
	v_lshlrev_b32_e32 v14, 20, v14
	v_lshl_add_u32 v20, v20, 23, v22
	v_or3_b32 v20, v21, v20, v14
.LBB10_284:
	s_or_b64 exec, exec, s[6:7]
	s_movk_i32 s4, 0x7f
	v_cmp_gt_i16_sdwa s[6:7], v10, s4 src0_sel:BYTE_3 src1_sel:DWORD
	s_mov_b64 s[4:5], 0
                                        ; implicit-def: $sgpr10
	s_and_saveexec_b64 s[8:9], s[6:7]
	s_xor_b64 s[6:7], exec, s[8:9]
	s_cbranch_execnz .LBB10_2333
; %bb.285:
	s_or_saveexec_b64 s[6:7], s[6:7]
	v_mov_b32_e32 v14, s10
	s_xor_b64 exec, exec, s[6:7]
	s_cbranch_execnz .LBB10_2336
.LBB10_286:
	s_or_b64 exec, exec, s[6:7]
	s_and_saveexec_b64 s[6:7], s[4:5]
	s_cbranch_execz .LBB10_288
.LBB10_287:
	v_bfe_u32 v14, v10, 24, 3
	v_ffbh_u32_e32 v24, v14
	v_min_u32_e32 v24, 32, v24
	v_lshrrev_b32_e32 v22, 27, v10
	v_subrev_u32_e32 v25, 28, v24
	v_and_b32_e32 v21, 0x80000000, v10
	v_and_b32_e32 v22, 15, v22
	v_bfe_u32 v23, v10, 27, 4
	v_lshlrev_b32_sdwa v10, v25, v10 dst_sel:DWORD dst_unused:UNUSED_PAD src0_sel:DWORD src1_sel:BYTE_3
	v_sub_u32_e32 v24, 29, v24
	v_and_b32_e32 v10, 7, v10
	v_cmp_eq_u16_e32 vcc, 0, v22
	v_cndmask_b32_e32 v10, v14, v10, vcc
	v_cndmask_b32_e32 v14, v23, v24, vcc
	v_mov_b32_e32 v22, 0x3b800000
	v_lshlrev_b32_e32 v10, 20, v10
	v_lshl_add_u32 v14, v14, 23, v22
	v_or3_b32 v14, v21, v14, v10
.LBB10_288:
	s_or_b64 exec, exec, s[6:7]
	s_nop 0
	v_mfma_f32_16x16x4f32 a[0:3], v20, v14, a[0:3]
	s_movk_i32 s4, 0x7f
	v_cmp_gt_i16_sdwa s[6:7], v15, s4 src0_sel:BYTE_0 src1_sel:DWORD
	s_mov_b64 s[4:5], 0
                                        ; implicit-def: $sgpr10
	s_and_saveexec_b64 s[8:9], s[6:7]
	s_xor_b64 s[6:7], exec, s[8:9]
	s_cbranch_execnz .LBB10_2337
; %bb.289:
	s_or_saveexec_b64 s[6:7], s[6:7]
	v_mov_b32_e32 v10, s10
	s_xor_b64 exec, exec, s[6:7]
	s_cbranch_execnz .LBB10_2340
.LBB10_290:
	s_or_b64 exec, exec, s[6:7]
	s_and_saveexec_b64 s[6:7], s[4:5]
	s_cbranch_execz .LBB10_292
.LBB10_291:
	v_and_b32_e32 v10, 7, v15
	v_ffbh_u32_e32 v20, v10
	v_min_u32_e32 v20, 32, v20
	v_lshrrev_b16_e32 v14, 3, v15
	v_subrev_u32_e32 v21, 28, v20
	v_and_b32_e32 v14, 15, v14
	v_lshlrev_b32_e32 v21, v21, v15
	v_sub_u32_e32 v20, 29, v20
	v_and_b32_e32 v21, 7, v21
	v_cmp_eq_u16_e32 vcc, 0, v14
	v_cndmask_b32_e32 v10, v10, v21, vcc
	v_cndmask_b32_e32 v14, v14, v20, vcc
	v_lshlrev_b32_e32 v20, 24, v15
	v_mov_b32_e32 v21, 0x3b800000
	v_lshlrev_b32_e32 v10, 20, v10
	v_and_b32_e32 v20, 0x80000000, v20
	v_lshl_add_u32 v14, v14, 23, v21
	v_or3_b32 v10, v20, v14, v10
.LBB10_292:
	s_or_b64 exec, exec, s[6:7]
	s_movk_i32 s4, 0x7f
	v_cmp_gt_i16_sdwa s[6:7], v11, s4 src0_sel:BYTE_0 src1_sel:DWORD
	s_mov_b64 s[4:5], 0
                                        ; implicit-def: $sgpr10
	s_and_saveexec_b64 s[8:9], s[6:7]
	s_xor_b64 s[6:7], exec, s[8:9]
	s_cbranch_execnz .LBB10_2341
; %bb.293:
	s_or_saveexec_b64 s[6:7], s[6:7]
	v_mov_b32_e32 v14, s10
	s_xor_b64 exec, exec, s[6:7]
	s_cbranch_execnz .LBB10_2344
.LBB10_294:
	s_or_b64 exec, exec, s[6:7]
	s_and_saveexec_b64 s[6:7], s[4:5]
	s_cbranch_execz .LBB10_296
.LBB10_295:
	v_and_b32_e32 v14, 7, v11
	v_ffbh_u32_e32 v21, v14
	v_min_u32_e32 v21, 32, v21
	v_lshrrev_b16_e32 v20, 3, v11
	v_subrev_u32_e32 v22, 28, v21
	v_and_b32_e32 v20, 15, v20
	v_lshlrev_b32_e32 v22, v22, v11
	v_sub_u32_e32 v21, 29, v21
	v_and_b32_e32 v22, 7, v22
	v_cmp_eq_u16_e32 vcc, 0, v20
	v_cndmask_b32_e32 v14, v14, v22, vcc
	v_cndmask_b32_e32 v20, v20, v21, vcc
	v_lshlrev_b32_e32 v21, 24, v11
	v_mov_b32_e32 v22, 0x3b800000
	v_lshlrev_b32_e32 v14, 20, v14
	v_and_b32_e32 v21, 0x80000000, v21
	v_lshl_add_u32 v20, v20, 23, v22
	v_or3_b32 v14, v21, v20, v14
.LBB10_296:
	s_or_b64 exec, exec, s[6:7]
	s_nop 0
	v_mfma_f32_16x16x4f32 a[0:3], v10, v14, a[0:3]
	v_lshrrev_b32_e32 v14, 8, v15
	s_movk_i32 s4, 0x7f
	v_cmp_gt_i16_sdwa s[6:7], v14, s4 src0_sel:BYTE_0 src1_sel:DWORD
	s_mov_b64 s[4:5], 0
                                        ; implicit-def: $sgpr10
	s_and_saveexec_b64 s[8:9], s[6:7]
	s_xor_b64 s[6:7], exec, s[8:9]
	s_cbranch_execnz .LBB10_2345
; %bb.297:
	s_or_saveexec_b64 s[6:7], s[6:7]
	v_mov_b32_e32 v10, s10
	s_xor_b64 exec, exec, s[6:7]
	s_cbranch_execnz .LBB10_2348
.LBB10_298:
	s_or_b64 exec, exec, s[6:7]
	s_and_saveexec_b64 s[6:7], s[4:5]
	s_cbranch_execz .LBB10_300
.LBB10_299:
	v_bfe_u32 v10, v15, 8, 3
	v_ffbh_u32_e32 v21, v10
	v_min_u32_e32 v21, 32, v21
	v_lshrrev_b16_e32 v20, 3, v14
	v_subrev_u32_e32 v22, 28, v21
	v_and_b32_e32 v20, 15, v20
	v_lshlrev_b32_e32 v14, v22, v14
	v_sub_u32_e32 v21, 29, v21
	v_and_b32_e32 v14, 7, v14
	v_cmp_eq_u16_e32 vcc, 0, v20
	v_cndmask_b32_e32 v10, v10, v14, vcc
	v_cndmask_b32_e32 v14, v20, v21, vcc
	v_lshlrev_b32_e32 v20, 16, v15
	v_mov_b32_e32 v21, 0x3b800000
	v_lshlrev_b32_e32 v10, 20, v10
	v_and_b32_e32 v20, 0x80000000, v20
	v_lshl_add_u32 v14, v14, 23, v21
	v_or3_b32 v10, v20, v14, v10
.LBB10_300:
	s_or_b64 exec, exec, s[6:7]
	v_lshrrev_b32_e32 v14, 8, v11
	s_movk_i32 s4, 0x7f
	v_cmp_gt_i16_sdwa s[6:7], v14, s4 src0_sel:BYTE_0 src1_sel:DWORD
	s_mov_b64 s[4:5], 0
                                        ; implicit-def: $sgpr10
	s_and_saveexec_b64 s[8:9], s[6:7]
	s_xor_b64 s[6:7], exec, s[8:9]
	s_cbranch_execnz .LBB10_2349
; %bb.301:
	s_or_saveexec_b64 s[6:7], s[6:7]
	v_mov_b32_e32 v20, s10
	s_xor_b64 exec, exec, s[6:7]
	s_cbranch_execnz .LBB10_2352
.LBB10_302:
	s_or_b64 exec, exec, s[6:7]
	s_and_saveexec_b64 s[6:7], s[4:5]
	s_cbranch_execz .LBB10_304
.LBB10_303:
	v_bfe_u32 v20, v11, 8, 3
	v_ffbh_u32_e32 v22, v20
	v_min_u32_e32 v22, 32, v22
	v_lshrrev_b16_e32 v21, 3, v14
	v_subrev_u32_e32 v23, 28, v22
	v_and_b32_e32 v21, 15, v21
	v_lshlrev_b32_e32 v14, v23, v14
	v_sub_u32_e32 v22, 29, v22
	v_and_b32_e32 v14, 7, v14
	v_cmp_eq_u16_e32 vcc, 0, v21
	v_cndmask_b32_e32 v14, v20, v14, vcc
	v_cndmask_b32_e32 v20, v21, v22, vcc
	v_lshlrev_b32_e32 v21, 16, v11
	v_mov_b32_e32 v22, 0x3b800000
	v_lshlrev_b32_e32 v14, 20, v14
	v_and_b32_e32 v21, 0x80000000, v21
	v_lshl_add_u32 v20, v20, 23, v22
	v_or3_b32 v20, v21, v20, v14
.LBB10_304:
	s_or_b64 exec, exec, s[6:7]
	s_nop 0
	v_mfma_f32_16x16x4f32 a[0:3], v10, v20, a[0:3]
	s_movk_i32 s4, 0xff
	v_and_b32_sdwa v14, v15, s4 dst_sel:DWORD dst_unused:UNUSED_PAD src0_sel:WORD_1 src1_sel:DWORD
	s_movk_i32 s4, 0x7f
	v_cmp_lt_i16_e32 vcc, s4, v14
	s_mov_b64 s[4:5], 0
                                        ; implicit-def: $sgpr10
	s_and_saveexec_b64 s[6:7], vcc
	s_xor_b64 s[6:7], exec, s[6:7]
	s_cbranch_execnz .LBB10_2353
; %bb.305:
	s_or_saveexec_b64 s[6:7], s[6:7]
	v_mov_b32_e32 v10, s10
	s_xor_b64 exec, exec, s[6:7]
	s_cbranch_execnz .LBB10_2356
.LBB10_306:
	s_or_b64 exec, exec, s[6:7]
	s_and_saveexec_b64 s[6:7], s[4:5]
	s_cbranch_execz .LBB10_308
.LBB10_307:
	v_bfe_u32 v10, v15, 16, 3
	v_ffbh_u32_e32 v21, v10
	v_min_u32_e32 v21, 32, v21
	v_lshrrev_b32_e32 v14, 19, v15
	v_subrev_u32_e32 v22, 28, v21
	v_and_b32_e32 v14, 15, v14
	v_lshlrev_b32_sdwa v22, v22, v15 dst_sel:DWORD dst_unused:UNUSED_PAD src0_sel:DWORD src1_sel:WORD_1
	v_bfe_u32 v20, v15, 19, 4
	v_sub_u32_e32 v21, 29, v21
	v_and_b32_e32 v22, 7, v22
	v_cmp_eq_u16_e32 vcc, 0, v14
	v_cndmask_b32_e32 v10, v10, v22, vcc
	v_cndmask_b32_e32 v14, v20, v21, vcc
	v_lshlrev_b32_e32 v20, 8, v15
	v_mov_b32_e32 v21, 0x3b800000
	v_lshlrev_b32_e32 v10, 20, v10
	v_and_b32_e32 v20, 0x80000000, v20
	v_lshl_add_u32 v14, v14, 23, v21
	v_or3_b32 v10, v20, v14, v10
.LBB10_308:
	s_or_b64 exec, exec, s[6:7]
	s_movk_i32 s4, 0xff
	v_and_b32_sdwa v14, v11, s4 dst_sel:DWORD dst_unused:UNUSED_PAD src0_sel:WORD_1 src1_sel:DWORD
	s_movk_i32 s4, 0x7f
	v_cmp_lt_i16_e32 vcc, s4, v14
	s_mov_b64 s[4:5], 0
                                        ; implicit-def: $sgpr10
	s_and_saveexec_b64 s[6:7], vcc
	s_xor_b64 s[6:7], exec, s[6:7]
	s_cbranch_execnz .LBB10_2357
; %bb.309:
	s_or_saveexec_b64 s[6:7], s[6:7]
	v_mov_b32_e32 v20, s10
	s_xor_b64 exec, exec, s[6:7]
	s_cbranch_execnz .LBB10_2360
.LBB10_310:
	s_or_b64 exec, exec, s[6:7]
	s_and_saveexec_b64 s[6:7], s[4:5]
	s_cbranch_execz .LBB10_312
.LBB10_311:
	v_bfe_u32 v14, v11, 16, 3
	v_ffbh_u32_e32 v22, v14
	v_min_u32_e32 v22, 32, v22
	v_lshrrev_b32_e32 v20, 19, v11
	v_subrev_u32_e32 v23, 28, v22
	v_and_b32_e32 v20, 15, v20
	v_lshlrev_b32_sdwa v23, v23, v11 dst_sel:DWORD dst_unused:UNUSED_PAD src0_sel:DWORD src1_sel:WORD_1
	v_bfe_u32 v21, v11, 19, 4
	v_sub_u32_e32 v22, 29, v22
	v_and_b32_e32 v23, 7, v23
	v_cmp_eq_u16_e32 vcc, 0, v20
	v_cndmask_b32_e32 v14, v14, v23, vcc
	v_cndmask_b32_e32 v20, v21, v22, vcc
	v_lshlrev_b32_e32 v21, 8, v11
	v_mov_b32_e32 v22, 0x3b800000
	v_lshlrev_b32_e32 v14, 20, v14
	v_and_b32_e32 v21, 0x80000000, v21
	v_lshl_add_u32 v20, v20, 23, v22
	v_or3_b32 v20, v21, v20, v14
.LBB10_312:
	s_or_b64 exec, exec, s[6:7]
	s_nop 0
	v_mfma_f32_16x16x4f32 a[0:3], v10, v20, a[0:3]
	s_movk_i32 s4, 0x7f
	v_cmp_gt_i16_sdwa s[6:7], v15, s4 src0_sel:BYTE_3 src1_sel:DWORD
	s_mov_b64 s[4:5], 0
                                        ; implicit-def: $sgpr10
	s_and_saveexec_b64 s[8:9], s[6:7]
	s_xor_b64 s[6:7], exec, s[8:9]
	s_cbranch_execnz .LBB10_2361
; %bb.313:
	s_or_saveexec_b64 s[6:7], s[6:7]
	v_mov_b32_e32 v10, s10
	s_xor_b64 exec, exec, s[6:7]
	s_cbranch_execnz .LBB10_2364
.LBB10_314:
	s_or_b64 exec, exec, s[6:7]
	s_and_saveexec_b64 s[6:7], s[4:5]
	s_cbranch_execz .LBB10_316
.LBB10_315:
	v_bfe_u32 v10, v15, 24, 3
	v_ffbh_u32_e32 v22, v10
	v_min_u32_e32 v22, 32, v22
	v_lshrrev_b32_e32 v20, 27, v15
	v_subrev_u32_e32 v23, 28, v22
	v_and_b32_e32 v14, 0x80000000, v15
	v_and_b32_e32 v20, 15, v20
	v_bfe_u32 v21, v15, 27, 4
	v_lshlrev_b32_sdwa v15, v23, v15 dst_sel:DWORD dst_unused:UNUSED_PAD src0_sel:DWORD src1_sel:BYTE_3
	v_sub_u32_e32 v22, 29, v22
	v_and_b32_e32 v15, 7, v15
	v_cmp_eq_u16_e32 vcc, 0, v20
	v_cndmask_b32_e32 v10, v10, v15, vcc
	v_cndmask_b32_e32 v15, v21, v22, vcc
	v_mov_b32_e32 v20, 0x3b800000
	v_lshlrev_b32_e32 v10, 20, v10
	v_lshl_add_u32 v15, v15, 23, v20
	v_or3_b32 v10, v14, v15, v10
.LBB10_316:
	s_or_b64 exec, exec, s[6:7]
	s_movk_i32 s4, 0x7f
	v_cmp_gt_i16_sdwa s[6:7], v11, s4 src0_sel:BYTE_3 src1_sel:DWORD
	s_mov_b64 s[4:5], 0
                                        ; implicit-def: $sgpr10
	s_and_saveexec_b64 s[8:9], s[6:7]
	s_xor_b64 s[6:7], exec, s[8:9]
	s_cbranch_execnz .LBB10_2365
; %bb.317:
	s_or_saveexec_b64 s[6:7], s[6:7]
	v_mov_b32_e32 v14, s10
	s_xor_b64 exec, exec, s[6:7]
	s_cbranch_execnz .LBB10_2368
.LBB10_318:
	s_or_b64 exec, exec, s[6:7]
	s_and_saveexec_b64 s[6:7], s[4:5]
	s_cbranch_execz .LBB10_320
.LBB10_319:
	v_bfe_u32 v14, v11, 24, 3
	v_ffbh_u32_e32 v22, v14
	v_min_u32_e32 v22, 32, v22
	v_lshrrev_b32_e32 v20, 27, v11
	v_subrev_u32_e32 v23, 28, v22
	v_and_b32_e32 v15, 0x80000000, v11
	v_and_b32_e32 v20, 15, v20
	v_bfe_u32 v21, v11, 27, 4
	v_lshlrev_b32_sdwa v11, v23, v11 dst_sel:DWORD dst_unused:UNUSED_PAD src0_sel:DWORD src1_sel:BYTE_3
	v_sub_u32_e32 v22, 29, v22
	v_and_b32_e32 v11, 7, v11
	v_cmp_eq_u16_e32 vcc, 0, v20
	v_cndmask_b32_e32 v11, v14, v11, vcc
	v_cndmask_b32_e32 v14, v21, v22, vcc
	v_mov_b32_e32 v20, 0x3b800000
	v_lshlrev_b32_e32 v11, 20, v11
	v_lshl_add_u32 v14, v14, 23, v20
	v_or3_b32 v14, v15, v14, v11
.LBB10_320:
	s_or_b64 exec, exec, s[6:7]
	s_nop 0
	v_mfma_f32_16x16x4f32 a[0:3], v10, v14, a[0:3]
	s_movk_i32 s4, 0x7f
	v_cmp_gt_i16_sdwa s[6:7], v16, s4 src0_sel:BYTE_0 src1_sel:DWORD
	s_mov_b64 s[4:5], 0
                                        ; implicit-def: $sgpr10
	s_and_saveexec_b64 s[8:9], s[6:7]
	s_xor_b64 s[6:7], exec, s[8:9]
	s_cbranch_execnz .LBB10_2369
; %bb.321:
	s_or_saveexec_b64 s[6:7], s[6:7]
	v_mov_b32_e32 v10, s10
	s_xor_b64 exec, exec, s[6:7]
	s_cbranch_execnz .LBB10_2372
.LBB10_322:
	s_or_b64 exec, exec, s[6:7]
	s_and_saveexec_b64 s[6:7], s[4:5]
	s_cbranch_execz .LBB10_324
.LBB10_323:
	v_and_b32_e32 v10, 7, v16
	v_ffbh_u32_e32 v14, v10
	v_min_u32_e32 v14, 32, v14
	v_lshrrev_b16_e32 v11, 3, v16
	v_subrev_u32_e32 v15, 28, v14
	v_and_b32_e32 v11, 15, v11
	v_lshlrev_b32_e32 v15, v15, v16
	v_sub_u32_e32 v14, 29, v14
	v_and_b32_e32 v15, 7, v15
	v_cmp_eq_u16_e32 vcc, 0, v11
	v_cndmask_b32_e32 v10, v10, v15, vcc
	v_cndmask_b32_e32 v11, v11, v14, vcc
	v_lshlrev_b32_e32 v14, 24, v16
	v_mov_b32_e32 v15, 0x3b800000
	v_lshlrev_b32_e32 v10, 20, v10
	v_and_b32_e32 v14, 0x80000000, v14
	v_lshl_add_u32 v11, v11, 23, v15
	v_or3_b32 v10, v14, v11, v10
.LBB10_324:
	s_or_b64 exec, exec, s[6:7]
	s_movk_i32 s4, 0x7f
	v_cmp_gt_i16_sdwa s[6:7], v12, s4 src0_sel:BYTE_0 src1_sel:DWORD
	s_mov_b64 s[4:5], 0
                                        ; implicit-def: $sgpr10
	s_and_saveexec_b64 s[8:9], s[6:7]
	s_xor_b64 s[6:7], exec, s[8:9]
	s_cbranch_execnz .LBB10_2373
; %bb.325:
	s_or_saveexec_b64 s[6:7], s[6:7]
	v_mov_b32_e32 v11, s10
	s_xor_b64 exec, exec, s[6:7]
	s_cbranch_execnz .LBB10_2376
.LBB10_326:
	s_or_b64 exec, exec, s[6:7]
	s_and_saveexec_b64 s[6:7], s[4:5]
	s_cbranch_execz .LBB10_328
.LBB10_327:
	v_and_b32_e32 v11, 7, v12
	v_ffbh_u32_e32 v15, v11
	v_min_u32_e32 v15, 32, v15
	v_lshrrev_b16_e32 v14, 3, v12
	v_subrev_u32_e32 v20, 28, v15
	v_and_b32_e32 v14, 15, v14
	v_lshlrev_b32_e32 v20, v20, v12
	v_sub_u32_e32 v15, 29, v15
	v_and_b32_e32 v20, 7, v20
	v_cmp_eq_u16_e32 vcc, 0, v14
	v_cndmask_b32_e32 v11, v11, v20, vcc
	v_cndmask_b32_e32 v14, v14, v15, vcc
	v_lshlrev_b32_e32 v15, 24, v12
	v_mov_b32_e32 v20, 0x3b800000
	v_lshlrev_b32_e32 v11, 20, v11
	v_and_b32_e32 v15, 0x80000000, v15
	v_lshl_add_u32 v14, v14, 23, v20
	v_or3_b32 v11, v15, v14, v11
.LBB10_328:
	s_or_b64 exec, exec, s[6:7]
	s_nop 0
	v_mfma_f32_16x16x4f32 a[0:3], v10, v11, a[0:3]
	v_lshrrev_b32_e32 v11, 8, v16
	s_movk_i32 s4, 0x7f
	v_cmp_gt_i16_sdwa s[6:7], v11, s4 src0_sel:BYTE_0 src1_sel:DWORD
	s_mov_b64 s[4:5], 0
                                        ; implicit-def: $sgpr10
	s_and_saveexec_b64 s[8:9], s[6:7]
	s_xor_b64 s[6:7], exec, s[8:9]
	s_cbranch_execnz .LBB10_2377
; %bb.329:
	s_or_saveexec_b64 s[6:7], s[6:7]
	v_mov_b32_e32 v10, s10
	s_xor_b64 exec, exec, s[6:7]
	s_cbranch_execnz .LBB10_2380
.LBB10_330:
	s_or_b64 exec, exec, s[6:7]
	s_and_saveexec_b64 s[6:7], s[4:5]
	s_cbranch_execz .LBB10_332
.LBB10_331:
	v_bfe_u32 v10, v16, 8, 3
	v_ffbh_u32_e32 v15, v10
	v_min_u32_e32 v15, 32, v15
	v_lshrrev_b16_e32 v14, 3, v11
	v_subrev_u32_e32 v20, 28, v15
	v_and_b32_e32 v14, 15, v14
	v_lshlrev_b32_e32 v11, v20, v11
	v_sub_u32_e32 v15, 29, v15
	v_and_b32_e32 v11, 7, v11
	v_cmp_eq_u16_e32 vcc, 0, v14
	v_cndmask_b32_e32 v10, v10, v11, vcc
	v_cndmask_b32_e32 v11, v14, v15, vcc
	v_lshlrev_b32_e32 v14, 16, v16
	v_mov_b32_e32 v15, 0x3b800000
	v_lshlrev_b32_e32 v10, 20, v10
	v_and_b32_e32 v14, 0x80000000, v14
	v_lshl_add_u32 v11, v11, 23, v15
	v_or3_b32 v10, v14, v11, v10
.LBB10_332:
	s_or_b64 exec, exec, s[6:7]
	v_lshrrev_b32_e32 v11, 8, v12
	s_movk_i32 s4, 0x7f
	v_cmp_gt_i16_sdwa s[6:7], v11, s4 src0_sel:BYTE_0 src1_sel:DWORD
	s_mov_b64 s[4:5], 0
                                        ; implicit-def: $sgpr10
	s_and_saveexec_b64 s[8:9], s[6:7]
	s_xor_b64 s[6:7], exec, s[8:9]
	s_cbranch_execnz .LBB10_2381
; %bb.333:
	s_or_saveexec_b64 s[6:7], s[6:7]
	v_mov_b32_e32 v14, s10
	s_xor_b64 exec, exec, s[6:7]
	s_cbranch_execnz .LBB10_2384
.LBB10_334:
	s_or_b64 exec, exec, s[6:7]
	s_and_saveexec_b64 s[6:7], s[4:5]
	s_cbranch_execz .LBB10_336
.LBB10_335:
	v_bfe_u32 v14, v12, 8, 3
	v_ffbh_u32_e32 v20, v14
	v_min_u32_e32 v20, 32, v20
	v_lshrrev_b16_e32 v15, 3, v11
	v_subrev_u32_e32 v21, 28, v20
	v_and_b32_e32 v15, 15, v15
	v_lshlrev_b32_e32 v11, v21, v11
	v_sub_u32_e32 v20, 29, v20
	v_and_b32_e32 v11, 7, v11
	v_cmp_eq_u16_e32 vcc, 0, v15
	v_cndmask_b32_e32 v11, v14, v11, vcc
	v_cndmask_b32_e32 v14, v15, v20, vcc
	v_lshlrev_b32_e32 v15, 16, v12
	v_mov_b32_e32 v20, 0x3b800000
	v_lshlrev_b32_e32 v11, 20, v11
	v_and_b32_e32 v15, 0x80000000, v15
	v_lshl_add_u32 v14, v14, 23, v20
	v_or3_b32 v14, v15, v14, v11
.LBB10_336:
	s_or_b64 exec, exec, s[6:7]
	s_nop 0
	v_mfma_f32_16x16x4f32 a[0:3], v10, v14, a[0:3]
	s_movk_i32 s4, 0xff
	v_and_b32_sdwa v11, v16, s4 dst_sel:DWORD dst_unused:UNUSED_PAD src0_sel:WORD_1 src1_sel:DWORD
	s_movk_i32 s4, 0x7f
	v_cmp_lt_i16_e32 vcc, s4, v11
	s_mov_b64 s[4:5], 0
                                        ; implicit-def: $sgpr10
	s_and_saveexec_b64 s[6:7], vcc
	s_xor_b64 s[6:7], exec, s[6:7]
	s_cbranch_execnz .LBB10_2385
; %bb.337:
	s_or_saveexec_b64 s[6:7], s[6:7]
	v_mov_b32_e32 v10, s10
	s_xor_b64 exec, exec, s[6:7]
	s_cbranch_execnz .LBB10_2388
.LBB10_338:
	s_or_b64 exec, exec, s[6:7]
	s_and_saveexec_b64 s[6:7], s[4:5]
	s_cbranch_execz .LBB10_340
.LBB10_339:
	v_bfe_u32 v10, v16, 16, 3
	v_ffbh_u32_e32 v15, v10
	v_min_u32_e32 v15, 32, v15
	v_lshrrev_b32_e32 v11, 19, v16
	v_subrev_u32_e32 v20, 28, v15
	v_and_b32_e32 v11, 15, v11
	v_lshlrev_b32_sdwa v20, v20, v16 dst_sel:DWORD dst_unused:UNUSED_PAD src0_sel:DWORD src1_sel:WORD_1
	v_bfe_u32 v14, v16, 19, 4
	v_sub_u32_e32 v15, 29, v15
	v_and_b32_e32 v20, 7, v20
	v_cmp_eq_u16_e32 vcc, 0, v11
	v_cndmask_b32_e32 v10, v10, v20, vcc
	v_cndmask_b32_e32 v11, v14, v15, vcc
	v_lshlrev_b32_e32 v14, 8, v16
	v_mov_b32_e32 v15, 0x3b800000
	v_lshlrev_b32_e32 v10, 20, v10
	v_and_b32_e32 v14, 0x80000000, v14
	v_lshl_add_u32 v11, v11, 23, v15
	v_or3_b32 v10, v14, v11, v10
.LBB10_340:
	s_or_b64 exec, exec, s[6:7]
	s_movk_i32 s4, 0xff
	v_and_b32_sdwa v11, v12, s4 dst_sel:DWORD dst_unused:UNUSED_PAD src0_sel:WORD_1 src1_sel:DWORD
	s_movk_i32 s4, 0x7f
	v_cmp_lt_i16_e32 vcc, s4, v11
	s_mov_b64 s[4:5], 0
                                        ; implicit-def: $sgpr10
	s_and_saveexec_b64 s[6:7], vcc
	s_xor_b64 s[6:7], exec, s[6:7]
	s_cbranch_execnz .LBB10_2389
; %bb.341:
	s_or_saveexec_b64 s[6:7], s[6:7]
	v_mov_b32_e32 v14, s10
	s_xor_b64 exec, exec, s[6:7]
	s_cbranch_execnz .LBB10_2392
.LBB10_342:
	s_or_b64 exec, exec, s[6:7]
	s_and_saveexec_b64 s[6:7], s[4:5]
	s_cbranch_execz .LBB10_344
.LBB10_343:
	v_bfe_u32 v11, v12, 16, 3
	v_ffbh_u32_e32 v20, v11
	v_min_u32_e32 v20, 32, v20
	v_lshrrev_b32_e32 v14, 19, v12
	v_subrev_u32_e32 v21, 28, v20
	v_and_b32_e32 v14, 15, v14
	v_lshlrev_b32_sdwa v21, v21, v12 dst_sel:DWORD dst_unused:UNUSED_PAD src0_sel:DWORD src1_sel:WORD_1
	v_bfe_u32 v15, v12, 19, 4
	v_sub_u32_e32 v20, 29, v20
	v_and_b32_e32 v21, 7, v21
	v_cmp_eq_u16_e32 vcc, 0, v14
	v_cndmask_b32_e32 v11, v11, v21, vcc
	v_cndmask_b32_e32 v14, v15, v20, vcc
	v_lshlrev_b32_e32 v15, 8, v12
	v_mov_b32_e32 v20, 0x3b800000
	v_lshlrev_b32_e32 v11, 20, v11
	v_and_b32_e32 v15, 0x80000000, v15
	v_lshl_add_u32 v14, v14, 23, v20
	v_or3_b32 v14, v15, v14, v11
.LBB10_344:
	s_or_b64 exec, exec, s[6:7]
	s_nop 0
	v_mfma_f32_16x16x4f32 a[0:3], v10, v14, a[0:3]
	s_movk_i32 s4, 0x7f
	v_cmp_gt_i16_sdwa s[6:7], v16, s4 src0_sel:BYTE_3 src1_sel:DWORD
	s_mov_b64 s[4:5], 0
                                        ; implicit-def: $sgpr10
	s_and_saveexec_b64 s[8:9], s[6:7]
	s_xor_b64 s[6:7], exec, s[8:9]
	s_cbranch_execnz .LBB10_2393
; %bb.345:
	s_or_saveexec_b64 s[6:7], s[6:7]
	v_mov_b32_e32 v10, s10
	s_xor_b64 exec, exec, s[6:7]
	s_cbranch_execnz .LBB10_2396
.LBB10_346:
	s_or_b64 exec, exec, s[6:7]
	s_and_saveexec_b64 s[6:7], s[4:5]
	s_cbranch_execz .LBB10_348
.LBB10_347:
	v_bfe_u32 v10, v16, 24, 3
	v_ffbh_u32_e32 v20, v10
	v_min_u32_e32 v20, 32, v20
	v_lshrrev_b32_e32 v14, 27, v16
	v_subrev_u32_e32 v21, 28, v20
	v_and_b32_e32 v11, 0x80000000, v16
	v_and_b32_e32 v14, 15, v14
	v_bfe_u32 v15, v16, 27, 4
	v_lshlrev_b32_sdwa v16, v21, v16 dst_sel:DWORD dst_unused:UNUSED_PAD src0_sel:DWORD src1_sel:BYTE_3
	v_sub_u32_e32 v20, 29, v20
	v_and_b32_e32 v16, 7, v16
	v_cmp_eq_u16_e32 vcc, 0, v14
	v_cndmask_b32_e32 v10, v10, v16, vcc
	v_cndmask_b32_e32 v14, v15, v20, vcc
	v_mov_b32_e32 v15, 0x3b800000
	v_lshlrev_b32_e32 v10, 20, v10
	v_lshl_add_u32 v14, v14, 23, v15
	v_or3_b32 v10, v11, v14, v10
.LBB10_348:
	s_or_b64 exec, exec, s[6:7]
	s_movk_i32 s4, 0x7f
	v_cmp_gt_i16_sdwa s[6:7], v12, s4 src0_sel:BYTE_3 src1_sel:DWORD
	s_mov_b64 s[4:5], 0
                                        ; implicit-def: $sgpr10
	s_and_saveexec_b64 s[8:9], s[6:7]
	s_xor_b64 s[6:7], exec, s[8:9]
	s_cbranch_execnz .LBB10_2397
; %bb.349:
	s_or_saveexec_b64 s[6:7], s[6:7]
	v_mov_b32_e32 v11, s10
	s_xor_b64 exec, exec, s[6:7]
	s_cbranch_execnz .LBB10_2400
.LBB10_350:
	s_or_b64 exec, exec, s[6:7]
	s_and_saveexec_b64 s[6:7], s[4:5]
	s_cbranch_execz .LBB10_352
.LBB10_351:
	v_bfe_u32 v11, v12, 24, 3
	v_ffbh_u32_e32 v20, v11
	v_min_u32_e32 v20, 32, v20
	v_lshrrev_b32_e32 v15, 27, v12
	v_subrev_u32_e32 v21, 28, v20
	v_and_b32_e32 v14, 0x80000000, v12
	v_and_b32_e32 v15, 15, v15
	v_bfe_u32 v16, v12, 27, 4
	v_lshlrev_b32_sdwa v12, v21, v12 dst_sel:DWORD dst_unused:UNUSED_PAD src0_sel:DWORD src1_sel:BYTE_3
	v_sub_u32_e32 v20, 29, v20
	v_and_b32_e32 v12, 7, v12
	v_cmp_eq_u16_e32 vcc, 0, v15
	v_cndmask_b32_e32 v11, v11, v12, vcc
	v_cndmask_b32_e32 v12, v16, v20, vcc
	v_mov_b32_e32 v15, 0x3b800000
	v_lshlrev_b32_e32 v11, 20, v11
	v_lshl_add_u32 v12, v12, 23, v15
	v_or3_b32 v11, v14, v12, v11
.LBB10_352:
	s_or_b64 exec, exec, s[6:7]
	s_nop 0
	v_mfma_f32_16x16x4f32 a[0:3], v10, v11, a[0:3]
	s_movk_i32 s4, 0x7f
	v_cmp_gt_i16_sdwa s[6:7], v17, s4 src0_sel:BYTE_0 src1_sel:DWORD
	s_mov_b64 s[4:5], 0
                                        ; implicit-def: $sgpr10
	s_and_saveexec_b64 s[8:9], s[6:7]
	s_xor_b64 s[6:7], exec, s[8:9]
	s_cbranch_execnz .LBB10_2401
; %bb.353:
	s_or_saveexec_b64 s[6:7], s[6:7]
	v_mov_b32_e32 v10, s10
	s_xor_b64 exec, exec, s[6:7]
	s_cbranch_execnz .LBB10_2404
.LBB10_354:
	s_or_b64 exec, exec, s[6:7]
	s_and_saveexec_b64 s[6:7], s[4:5]
	s_cbranch_execz .LBB10_356
.LBB10_355:
	v_and_b32_e32 v10, 7, v17
	v_ffbh_u32_e32 v12, v10
	v_min_u32_e32 v12, 32, v12
	v_lshrrev_b16_e32 v11, 3, v17
	v_subrev_u32_e32 v14, 28, v12
	v_and_b32_e32 v11, 15, v11
	v_lshlrev_b32_e32 v14, v14, v17
	v_sub_u32_e32 v12, 29, v12
	v_and_b32_e32 v14, 7, v14
	v_cmp_eq_u16_e32 vcc, 0, v11
	v_cndmask_b32_e32 v10, v10, v14, vcc
	v_cndmask_b32_e32 v11, v11, v12, vcc
	v_lshlrev_b32_e32 v12, 24, v17
	v_mov_b32_e32 v14, 0x3b800000
	v_lshlrev_b32_e32 v10, 20, v10
	v_and_b32_e32 v12, 0x80000000, v12
	v_lshl_add_u32 v11, v11, 23, v14
	v_or3_b32 v10, v12, v11, v10
.LBB10_356:
	s_or_b64 exec, exec, s[6:7]
	s_movk_i32 s4, 0x7f
	v_cmp_gt_i16_sdwa s[6:7], v13, s4 src0_sel:BYTE_0 src1_sel:DWORD
	s_mov_b64 s[4:5], 0
                                        ; implicit-def: $sgpr10
	s_and_saveexec_b64 s[8:9], s[6:7]
	s_xor_b64 s[6:7], exec, s[8:9]
	s_cbranch_execnz .LBB10_2405
; %bb.357:
	s_or_saveexec_b64 s[6:7], s[6:7]
	v_mov_b32_e32 v11, s10
	s_xor_b64 exec, exec, s[6:7]
	s_cbranch_execnz .LBB10_2408
.LBB10_358:
	s_or_b64 exec, exec, s[6:7]
	s_and_saveexec_b64 s[6:7], s[4:5]
	s_cbranch_execz .LBB10_360
.LBB10_359:
	v_and_b32_e32 v11, 7, v13
	v_ffbh_u32_e32 v14, v11
	v_min_u32_e32 v14, 32, v14
	v_lshrrev_b16_e32 v12, 3, v13
	v_subrev_u32_e32 v15, 28, v14
	v_and_b32_e32 v12, 15, v12
	v_lshlrev_b32_e32 v15, v15, v13
	v_sub_u32_e32 v14, 29, v14
	v_and_b32_e32 v15, 7, v15
	v_cmp_eq_u16_e32 vcc, 0, v12
	v_cndmask_b32_e32 v11, v11, v15, vcc
	v_cndmask_b32_e32 v12, v12, v14, vcc
	v_lshlrev_b32_e32 v14, 24, v13
	v_mov_b32_e32 v15, 0x3b800000
	v_lshlrev_b32_e32 v11, 20, v11
	v_and_b32_e32 v14, 0x80000000, v14
	v_lshl_add_u32 v12, v12, 23, v15
	v_or3_b32 v11, v14, v12, v11
.LBB10_360:
	s_or_b64 exec, exec, s[6:7]
	s_nop 0
	v_mfma_f32_16x16x4f32 a[0:3], v10, v11, a[0:3]
	v_lshrrev_b32_e32 v11, 8, v17
	s_movk_i32 s4, 0x7f
	v_cmp_gt_i16_sdwa s[6:7], v11, s4 src0_sel:BYTE_0 src1_sel:DWORD
	s_mov_b64 s[4:5], 0
                                        ; implicit-def: $sgpr10
	s_and_saveexec_b64 s[8:9], s[6:7]
	s_xor_b64 s[6:7], exec, s[8:9]
	s_cbranch_execnz .LBB10_2409
; %bb.361:
	s_or_saveexec_b64 s[6:7], s[6:7]
	v_mov_b32_e32 v10, s10
	s_xor_b64 exec, exec, s[6:7]
	s_cbranch_execnz .LBB10_2412
.LBB10_362:
	s_or_b64 exec, exec, s[6:7]
	s_and_saveexec_b64 s[6:7], s[4:5]
	s_cbranch_execz .LBB10_364
.LBB10_363:
	v_bfe_u32 v10, v17, 8, 3
	v_ffbh_u32_e32 v14, v10
	v_min_u32_e32 v14, 32, v14
	v_lshrrev_b16_e32 v12, 3, v11
	v_subrev_u32_e32 v15, 28, v14
	v_and_b32_e32 v12, 15, v12
	v_lshlrev_b32_e32 v11, v15, v11
	v_sub_u32_e32 v14, 29, v14
	v_and_b32_e32 v11, 7, v11
	v_cmp_eq_u16_e32 vcc, 0, v12
	v_cndmask_b32_e32 v10, v10, v11, vcc
	v_cndmask_b32_e32 v11, v12, v14, vcc
	v_lshlrev_b32_e32 v12, 16, v17
	v_mov_b32_e32 v14, 0x3b800000
	v_lshlrev_b32_e32 v10, 20, v10
	v_and_b32_e32 v12, 0x80000000, v12
	v_lshl_add_u32 v11, v11, 23, v14
	v_or3_b32 v10, v12, v11, v10
.LBB10_364:
	s_or_b64 exec, exec, s[6:7]
	v_lshrrev_b32_e32 v11, 8, v13
	s_movk_i32 s4, 0x7f
	v_cmp_gt_i16_sdwa s[6:7], v11, s4 src0_sel:BYTE_0 src1_sel:DWORD
	s_mov_b64 s[4:5], 0
                                        ; implicit-def: $sgpr10
	s_and_saveexec_b64 s[8:9], s[6:7]
	s_xor_b64 s[6:7], exec, s[8:9]
	s_cbranch_execnz .LBB10_2413
; %bb.365:
	s_or_saveexec_b64 s[6:7], s[6:7]
	v_mov_b32_e32 v12, s10
	s_xor_b64 exec, exec, s[6:7]
	s_cbranch_execnz .LBB10_2416
.LBB10_366:
	s_or_b64 exec, exec, s[6:7]
	s_and_saveexec_b64 s[6:7], s[4:5]
	s_cbranch_execz .LBB10_368
.LBB10_367:
	v_bfe_u32 v12, v13, 8, 3
	v_ffbh_u32_e32 v15, v12
	v_min_u32_e32 v15, 32, v15
	v_lshrrev_b16_e32 v14, 3, v11
	v_subrev_u32_e32 v16, 28, v15
	v_and_b32_e32 v14, 15, v14
	v_lshlrev_b32_e32 v11, v16, v11
	v_sub_u32_e32 v15, 29, v15
	v_and_b32_e32 v11, 7, v11
	v_cmp_eq_u16_e32 vcc, 0, v14
	v_cndmask_b32_e32 v11, v12, v11, vcc
	v_cndmask_b32_e32 v12, v14, v15, vcc
	v_lshlrev_b32_e32 v14, 16, v13
	v_mov_b32_e32 v15, 0x3b800000
	v_lshlrev_b32_e32 v11, 20, v11
	v_and_b32_e32 v14, 0x80000000, v14
	v_lshl_add_u32 v12, v12, 23, v15
	v_or3_b32 v12, v14, v12, v11
.LBB10_368:
	s_or_b64 exec, exec, s[6:7]
	s_nop 0
	v_mfma_f32_16x16x4f32 a[0:3], v10, v12, a[0:3]
	s_movk_i32 s4, 0xff
	v_and_b32_sdwa v11, v17, s4 dst_sel:DWORD dst_unused:UNUSED_PAD src0_sel:WORD_1 src1_sel:DWORD
	s_movk_i32 s4, 0x7f
	v_cmp_lt_i16_e32 vcc, s4, v11
	s_mov_b64 s[4:5], 0
                                        ; implicit-def: $sgpr10
	s_and_saveexec_b64 s[6:7], vcc
	s_xor_b64 s[6:7], exec, s[6:7]
	s_cbranch_execnz .LBB10_2417
; %bb.369:
	s_or_saveexec_b64 s[6:7], s[6:7]
	v_mov_b32_e32 v10, s10
	s_xor_b64 exec, exec, s[6:7]
	s_cbranch_execnz .LBB10_2420
.LBB10_370:
	s_or_b64 exec, exec, s[6:7]
	s_and_saveexec_b64 s[6:7], s[4:5]
	s_cbranch_execz .LBB10_372
.LBB10_371:
	v_bfe_u32 v10, v17, 16, 3
	v_ffbh_u32_e32 v14, v10
	v_min_u32_e32 v14, 32, v14
	v_lshrrev_b32_e32 v11, 19, v17
	v_subrev_u32_e32 v15, 28, v14
	v_and_b32_e32 v11, 15, v11
	v_lshlrev_b32_sdwa v15, v15, v17 dst_sel:DWORD dst_unused:UNUSED_PAD src0_sel:DWORD src1_sel:WORD_1
	v_bfe_u32 v12, v17, 19, 4
	v_sub_u32_e32 v14, 29, v14
	v_and_b32_e32 v15, 7, v15
	v_cmp_eq_u16_e32 vcc, 0, v11
	v_cndmask_b32_e32 v10, v10, v15, vcc
	v_cndmask_b32_e32 v11, v12, v14, vcc
	v_lshlrev_b32_e32 v12, 8, v17
	v_mov_b32_e32 v14, 0x3b800000
	v_lshlrev_b32_e32 v10, 20, v10
	v_and_b32_e32 v12, 0x80000000, v12
	v_lshl_add_u32 v11, v11, 23, v14
	v_or3_b32 v10, v12, v11, v10
.LBB10_372:
	s_or_b64 exec, exec, s[6:7]
	s_movk_i32 s4, 0xff
	v_and_b32_sdwa v11, v13, s4 dst_sel:DWORD dst_unused:UNUSED_PAD src0_sel:WORD_1 src1_sel:DWORD
	s_movk_i32 s4, 0x7f
	v_cmp_lt_i16_e32 vcc, s4, v11
	s_mov_b64 s[4:5], 0
                                        ; implicit-def: $sgpr10
	s_and_saveexec_b64 s[6:7], vcc
	s_xor_b64 s[6:7], exec, s[6:7]
	s_cbranch_execnz .LBB10_2421
; %bb.373:
	s_or_saveexec_b64 s[6:7], s[6:7]
	v_mov_b32_e32 v12, s10
	s_xor_b64 exec, exec, s[6:7]
	s_cbranch_execnz .LBB10_2424
.LBB10_374:
	s_or_b64 exec, exec, s[6:7]
	s_and_saveexec_b64 s[6:7], s[4:5]
	s_cbranch_execz .LBB10_376
.LBB10_375:
	v_bfe_u32 v11, v13, 16, 3
	v_ffbh_u32_e32 v15, v11
	v_min_u32_e32 v15, 32, v15
	v_lshrrev_b32_e32 v12, 19, v13
	v_subrev_u32_e32 v16, 28, v15
	v_and_b32_e32 v12, 15, v12
	v_lshlrev_b32_sdwa v16, v16, v13 dst_sel:DWORD dst_unused:UNUSED_PAD src0_sel:DWORD src1_sel:WORD_1
	v_bfe_u32 v14, v13, 19, 4
	v_sub_u32_e32 v15, 29, v15
	v_and_b32_e32 v16, 7, v16
	v_cmp_eq_u16_e32 vcc, 0, v12
	v_cndmask_b32_e32 v11, v11, v16, vcc
	v_cndmask_b32_e32 v12, v14, v15, vcc
	v_lshlrev_b32_e32 v14, 8, v13
	v_mov_b32_e32 v15, 0x3b800000
	v_lshlrev_b32_e32 v11, 20, v11
	v_and_b32_e32 v14, 0x80000000, v14
	v_lshl_add_u32 v12, v12, 23, v15
	v_or3_b32 v12, v14, v12, v11
.LBB10_376:
	s_or_b64 exec, exec, s[6:7]
	s_nop 0
	v_mfma_f32_16x16x4f32 a[0:3], v10, v12, a[0:3]
	s_movk_i32 s4, 0x7f
	v_cmp_gt_i16_sdwa s[6:7], v17, s4 src0_sel:BYTE_3 src1_sel:DWORD
	s_mov_b64 s[4:5], 0
                                        ; implicit-def: $sgpr10
	s_and_saveexec_b64 s[8:9], s[6:7]
	s_xor_b64 s[6:7], exec, s[8:9]
	s_cbranch_execnz .LBB10_2425
; %bb.377:
	s_or_saveexec_b64 s[6:7], s[6:7]
	v_mov_b32_e32 v10, s10
	s_xor_b64 exec, exec, s[6:7]
	s_cbranch_execnz .LBB10_2428
.LBB10_378:
	s_or_b64 exec, exec, s[6:7]
	s_and_saveexec_b64 s[6:7], s[4:5]
	s_cbranch_execz .LBB10_380
.LBB10_379:
	v_bfe_u32 v10, v17, 24, 3
	v_ffbh_u32_e32 v15, v10
	v_min_u32_e32 v15, 32, v15
	v_lshrrev_b32_e32 v12, 27, v17
	v_subrev_u32_e32 v16, 28, v15
	v_and_b32_e32 v12, 15, v12
	v_lshlrev_b32_sdwa v16, v16, v17 dst_sel:DWORD dst_unused:UNUSED_PAD src0_sel:DWORD src1_sel:BYTE_3
	v_bfe_u32 v14, v17, 27, 4
	v_sub_u32_e32 v15, 29, v15
	v_and_b32_e32 v16, 7, v16
	v_cmp_eq_u16_e32 vcc, 0, v12
	v_cndmask_b32_e32 v10, v10, v16, vcc
	v_cndmask_b32_e32 v12, v14, v15, vcc
	v_mov_b32_e32 v14, 0x3b800000
	v_and_b32_e32 v11, 0x80000000, v17
	v_lshlrev_b32_e32 v10, 20, v10
	v_lshl_add_u32 v12, v12, 23, v14
	v_or3_b32 v10, v11, v12, v10
.LBB10_380:
	s_or_b64 exec, exec, s[6:7]
	s_movk_i32 s4, 0x7f
	v_cmp_gt_i16_sdwa s[6:7], v13, s4 src0_sel:BYTE_3 src1_sel:DWORD
	s_mov_b64 s[4:5], 0
                                        ; implicit-def: $sgpr10
	s_and_saveexec_b64 s[8:9], s[6:7]
	s_xor_b64 s[6:7], exec, s[8:9]
	s_cbranch_execnz .LBB10_2429
; %bb.381:
	s_or_saveexec_b64 s[6:7], s[6:7]
	v_mov_b32_e32 v11, s10
	s_xor_b64 exec, exec, s[6:7]
	s_cbranch_execnz .LBB10_2432
.LBB10_382:
	s_or_b64 exec, exec, s[6:7]
	s_and_saveexec_b64 s[6:7], s[4:5]
	s_cbranch_execz .LBB10_384
.LBB10_383:
	v_bfe_u32 v11, v13, 24, 3
	v_ffbh_u32_e32 v16, v11
	v_min_u32_e32 v16, 32, v16
	v_lshrrev_b32_e32 v14, 27, v13
	v_subrev_u32_e32 v17, 28, v16
	v_and_b32_e32 v12, 0x80000000, v13
	v_and_b32_e32 v14, 15, v14
	v_bfe_u32 v15, v13, 27, 4
	v_lshlrev_b32_sdwa v13, v17, v13 dst_sel:DWORD dst_unused:UNUSED_PAD src0_sel:DWORD src1_sel:BYTE_3
	v_sub_u32_e32 v16, 29, v16
	v_and_b32_e32 v13, 7, v13
	v_cmp_eq_u16_e32 vcc, 0, v14
	v_cndmask_b32_e32 v11, v11, v13, vcc
	v_cndmask_b32_e32 v13, v15, v16, vcc
	v_mov_b32_e32 v14, 0x3b800000
	v_lshlrev_b32_e32 v11, 20, v11
	v_lshl_add_u32 v13, v13, 23, v14
	v_or3_b32 v11, v12, v13, v11
.LBB10_384:
	s_or_b64 exec, exec, s[6:7]
	s_nop 0
	v_mfma_f32_16x16x4f32 a[0:3], v10, v11, a[0:3]
	s_movk_i32 s4, 0x7f
	v_cmp_gt_i16_sdwa s[6:7], v6, s4 src0_sel:BYTE_0 src1_sel:DWORD
	s_mov_b64 s[4:5], 0
                                        ; implicit-def: $sgpr10
	s_and_saveexec_b64 s[8:9], s[6:7]
	s_xor_b64 s[6:7], exec, s[8:9]
	s_cbranch_execnz .LBB10_2433
; %bb.385:
	s_or_saveexec_b64 s[6:7], s[6:7]
	v_mov_b32_e32 v10, s10
	s_xor_b64 exec, exec, s[6:7]
	s_cbranch_execnz .LBB10_2436
.LBB10_386:
	s_or_b64 exec, exec, s[6:7]
	s_and_saveexec_b64 s[6:7], s[4:5]
	s_cbranch_execz .LBB10_388
.LBB10_387:
	v_and_b32_e32 v10, 7, v6
	v_ffbh_u32_e32 v12, v10
	v_min_u32_e32 v12, 32, v12
	v_lshrrev_b16_e32 v11, 3, v6
	v_subrev_u32_e32 v13, 28, v12
	v_and_b32_e32 v11, 15, v11
	v_lshlrev_b32_e32 v13, v13, v6
	v_sub_u32_e32 v12, 29, v12
	v_and_b32_e32 v13, 7, v13
	v_cmp_eq_u16_e32 vcc, 0, v11
	v_cndmask_b32_e32 v10, v10, v13, vcc
	v_cndmask_b32_e32 v11, v11, v12, vcc
	v_lshlrev_b32_e32 v12, 24, v6
	v_mov_b32_e32 v13, 0x3b800000
	v_lshlrev_b32_e32 v10, 20, v10
	v_and_b32_e32 v12, 0x80000000, v12
	v_lshl_add_u32 v11, v11, 23, v13
	v_or3_b32 v10, v12, v11, v10
.LBB10_388:
	s_or_b64 exec, exec, s[6:7]
	s_movk_i32 s4, 0x7f
	v_cmp_gt_i16_sdwa s[6:7], v2, s4 src0_sel:BYTE_0 src1_sel:DWORD
	s_mov_b64 s[4:5], 0
                                        ; implicit-def: $sgpr10
	s_and_saveexec_b64 s[8:9], s[6:7]
	s_xor_b64 s[6:7], exec, s[8:9]
	s_cbranch_execnz .LBB10_2437
; %bb.389:
	s_or_saveexec_b64 s[6:7], s[6:7]
	v_mov_b32_e32 v11, s10
	s_xor_b64 exec, exec, s[6:7]
	s_cbranch_execnz .LBB10_2440
.LBB10_390:
	s_or_b64 exec, exec, s[6:7]
	s_and_saveexec_b64 s[6:7], s[4:5]
	s_cbranch_execz .LBB10_392
.LBB10_391:
	v_and_b32_e32 v11, 7, v2
	v_ffbh_u32_e32 v13, v11
	v_min_u32_e32 v13, 32, v13
	v_lshrrev_b16_e32 v12, 3, v2
	v_subrev_u32_e32 v14, 28, v13
	v_and_b32_e32 v12, 15, v12
	v_lshlrev_b32_e32 v14, v14, v2
	v_sub_u32_e32 v13, 29, v13
	v_and_b32_e32 v14, 7, v14
	v_cmp_eq_u16_e32 vcc, 0, v12
	v_cndmask_b32_e32 v11, v11, v14, vcc
	v_cndmask_b32_e32 v12, v12, v13, vcc
	v_lshlrev_b32_e32 v13, 24, v2
	v_mov_b32_e32 v14, 0x3b800000
	v_lshlrev_b32_e32 v11, 20, v11
	v_and_b32_e32 v13, 0x80000000, v13
	v_lshl_add_u32 v12, v12, 23, v14
	v_or3_b32 v11, v13, v12, v11
.LBB10_392:
	s_or_b64 exec, exec, s[6:7]
	s_nop 0
	v_mfma_f32_16x16x4f32 a[0:3], v10, v11, a[0:3]
	v_lshrrev_b32_e32 v11, 8, v6
	s_movk_i32 s4, 0x7f
	v_cmp_gt_i16_sdwa s[6:7], v11, s4 src0_sel:BYTE_0 src1_sel:DWORD
	s_mov_b64 s[4:5], 0
                                        ; implicit-def: $sgpr10
	s_and_saveexec_b64 s[8:9], s[6:7]
	s_xor_b64 s[6:7], exec, s[8:9]
	s_cbranch_execnz .LBB10_2441
; %bb.393:
	s_or_saveexec_b64 s[6:7], s[6:7]
	v_mov_b32_e32 v10, s10
	s_xor_b64 exec, exec, s[6:7]
	s_cbranch_execnz .LBB10_2444
.LBB10_394:
	s_or_b64 exec, exec, s[6:7]
	s_and_saveexec_b64 s[6:7], s[4:5]
	s_cbranch_execz .LBB10_396
.LBB10_395:
	v_bfe_u32 v10, v6, 8, 3
	v_ffbh_u32_e32 v13, v10
	v_min_u32_e32 v13, 32, v13
	v_lshrrev_b16_e32 v12, 3, v11
	v_subrev_u32_e32 v14, 28, v13
	v_and_b32_e32 v12, 15, v12
	v_lshlrev_b32_e32 v11, v14, v11
	v_sub_u32_e32 v13, 29, v13
	v_and_b32_e32 v11, 7, v11
	v_cmp_eq_u16_e32 vcc, 0, v12
	v_cndmask_b32_e32 v10, v10, v11, vcc
	v_cndmask_b32_e32 v11, v12, v13, vcc
	v_lshlrev_b32_e32 v12, 16, v6
	v_mov_b32_e32 v13, 0x3b800000
	v_lshlrev_b32_e32 v10, 20, v10
	v_and_b32_e32 v12, 0x80000000, v12
	v_lshl_add_u32 v11, v11, 23, v13
	v_or3_b32 v10, v12, v11, v10
.LBB10_396:
	s_or_b64 exec, exec, s[6:7]
	v_lshrrev_b32_e32 v11, 8, v2
	s_movk_i32 s4, 0x7f
	v_cmp_gt_i16_sdwa s[6:7], v11, s4 src0_sel:BYTE_0 src1_sel:DWORD
	s_mov_b64 s[4:5], 0
                                        ; implicit-def: $sgpr10
	s_and_saveexec_b64 s[8:9], s[6:7]
	s_xor_b64 s[6:7], exec, s[8:9]
	s_cbranch_execnz .LBB10_2445
; %bb.397:
	s_or_saveexec_b64 s[6:7], s[6:7]
	v_mov_b32_e32 v12, s10
	s_xor_b64 exec, exec, s[6:7]
	s_cbranch_execnz .LBB10_2448
.LBB10_398:
	s_or_b64 exec, exec, s[6:7]
	s_and_saveexec_b64 s[6:7], s[4:5]
	s_cbranch_execz .LBB10_400
.LBB10_399:
	v_bfe_u32 v12, v2, 8, 3
	v_ffbh_u32_e32 v14, v12
	v_min_u32_e32 v14, 32, v14
	v_lshrrev_b16_e32 v13, 3, v11
	v_subrev_u32_e32 v15, 28, v14
	v_and_b32_e32 v13, 15, v13
	v_lshlrev_b32_e32 v11, v15, v11
	v_sub_u32_e32 v14, 29, v14
	v_and_b32_e32 v11, 7, v11
	v_cmp_eq_u16_e32 vcc, 0, v13
	v_cndmask_b32_e32 v11, v12, v11, vcc
	v_cndmask_b32_e32 v12, v13, v14, vcc
	v_lshlrev_b32_e32 v13, 16, v2
	v_mov_b32_e32 v14, 0x3b800000
	v_lshlrev_b32_e32 v11, 20, v11
	v_and_b32_e32 v13, 0x80000000, v13
	v_lshl_add_u32 v12, v12, 23, v14
	v_or3_b32 v12, v13, v12, v11
.LBB10_400:
	s_or_b64 exec, exec, s[6:7]
	s_nop 0
	v_mfma_f32_16x16x4f32 a[0:3], v10, v12, a[0:3]
	s_movk_i32 s4, 0xff
	v_and_b32_sdwa v11, v6, s4 dst_sel:DWORD dst_unused:UNUSED_PAD src0_sel:WORD_1 src1_sel:DWORD
	s_movk_i32 s4, 0x7f
	v_cmp_lt_i16_e32 vcc, s4, v11
	s_mov_b64 s[4:5], 0
                                        ; implicit-def: $sgpr10
	s_and_saveexec_b64 s[6:7], vcc
	s_xor_b64 s[6:7], exec, s[6:7]
	s_cbranch_execnz .LBB10_2449
; %bb.401:
	s_or_saveexec_b64 s[6:7], s[6:7]
	v_mov_b32_e32 v10, s10
	s_xor_b64 exec, exec, s[6:7]
	s_cbranch_execnz .LBB10_2452
.LBB10_402:
	s_or_b64 exec, exec, s[6:7]
	s_and_saveexec_b64 s[6:7], s[4:5]
	s_cbranch_execz .LBB10_404
.LBB10_403:
	v_bfe_u32 v10, v6, 16, 3
	v_ffbh_u32_e32 v13, v10
	v_min_u32_e32 v13, 32, v13
	v_lshrrev_b32_e32 v11, 19, v6
	v_subrev_u32_e32 v14, 28, v13
	v_and_b32_e32 v11, 15, v11
	v_lshlrev_b32_sdwa v14, v14, v6 dst_sel:DWORD dst_unused:UNUSED_PAD src0_sel:DWORD src1_sel:WORD_1
	v_bfe_u32 v12, v6, 19, 4
	v_sub_u32_e32 v13, 29, v13
	v_and_b32_e32 v14, 7, v14
	v_cmp_eq_u16_e32 vcc, 0, v11
	v_cndmask_b32_e32 v10, v10, v14, vcc
	v_cndmask_b32_e32 v11, v12, v13, vcc
	v_lshlrev_b32_e32 v12, 8, v6
	v_mov_b32_e32 v13, 0x3b800000
	v_lshlrev_b32_e32 v10, 20, v10
	v_and_b32_e32 v12, 0x80000000, v12
	v_lshl_add_u32 v11, v11, 23, v13
	v_or3_b32 v10, v12, v11, v10
.LBB10_404:
	s_or_b64 exec, exec, s[6:7]
	s_movk_i32 s4, 0xff
	v_and_b32_sdwa v11, v2, s4 dst_sel:DWORD dst_unused:UNUSED_PAD src0_sel:WORD_1 src1_sel:DWORD
	s_movk_i32 s4, 0x7f
	v_cmp_lt_i16_e32 vcc, s4, v11
	s_mov_b64 s[4:5], 0
                                        ; implicit-def: $sgpr10
	s_and_saveexec_b64 s[6:7], vcc
	s_xor_b64 s[6:7], exec, s[6:7]
	s_cbranch_execnz .LBB10_2453
; %bb.405:
	s_or_saveexec_b64 s[6:7], s[6:7]
	v_mov_b32_e32 v12, s10
	s_xor_b64 exec, exec, s[6:7]
	s_cbranch_execnz .LBB10_2456
.LBB10_406:
	s_or_b64 exec, exec, s[6:7]
	s_and_saveexec_b64 s[6:7], s[4:5]
	s_cbranch_execz .LBB10_408
.LBB10_407:
	v_bfe_u32 v11, v2, 16, 3
	v_ffbh_u32_e32 v14, v11
	v_min_u32_e32 v14, 32, v14
	v_lshrrev_b32_e32 v12, 19, v2
	v_subrev_u32_e32 v15, 28, v14
	v_and_b32_e32 v12, 15, v12
	v_lshlrev_b32_sdwa v15, v15, v2 dst_sel:DWORD dst_unused:UNUSED_PAD src0_sel:DWORD src1_sel:WORD_1
	v_bfe_u32 v13, v2, 19, 4
	v_sub_u32_e32 v14, 29, v14
	v_and_b32_e32 v15, 7, v15
	v_cmp_eq_u16_e32 vcc, 0, v12
	v_cndmask_b32_e32 v11, v11, v15, vcc
	v_cndmask_b32_e32 v12, v13, v14, vcc
	v_lshlrev_b32_e32 v13, 8, v2
	v_mov_b32_e32 v14, 0x3b800000
	v_lshlrev_b32_e32 v11, 20, v11
	v_and_b32_e32 v13, 0x80000000, v13
	v_lshl_add_u32 v12, v12, 23, v14
	v_or3_b32 v12, v13, v12, v11
.LBB10_408:
	s_or_b64 exec, exec, s[6:7]
	s_nop 0
	v_mfma_f32_16x16x4f32 a[0:3], v10, v12, a[0:3]
	s_movk_i32 s4, 0x7f
	v_cmp_gt_i16_sdwa s[6:7], v6, s4 src0_sel:BYTE_3 src1_sel:DWORD
	s_mov_b64 s[4:5], 0
                                        ; implicit-def: $sgpr10
	s_and_saveexec_b64 s[8:9], s[6:7]
	s_xor_b64 s[6:7], exec, s[8:9]
	s_cbranch_execnz .LBB10_2457
; %bb.409:
	s_or_saveexec_b64 s[6:7], s[6:7]
	v_mov_b32_e32 v10, s10
	s_xor_b64 exec, exec, s[6:7]
	s_cbranch_execnz .LBB10_2460
.LBB10_410:
	s_or_b64 exec, exec, s[6:7]
	s_and_saveexec_b64 s[6:7], s[4:5]
	s_cbranch_execz .LBB10_412
.LBB10_411:
	v_bfe_u32 v10, v6, 24, 3
	v_ffbh_u32_e32 v14, v10
	v_min_u32_e32 v14, 32, v14
	v_lshrrev_b32_e32 v12, 27, v6
	v_subrev_u32_e32 v15, 28, v14
	v_and_b32_e32 v11, 0x80000000, v6
	v_and_b32_e32 v12, 15, v12
	v_bfe_u32 v13, v6, 27, 4
	v_lshlrev_b32_sdwa v6, v15, v6 dst_sel:DWORD dst_unused:UNUSED_PAD src0_sel:DWORD src1_sel:BYTE_3
	v_sub_u32_e32 v14, 29, v14
	v_and_b32_e32 v6, 7, v6
	v_cmp_eq_u16_e32 vcc, 0, v12
	v_cndmask_b32_e32 v6, v10, v6, vcc
	v_cndmask_b32_e32 v10, v13, v14, vcc
	v_mov_b32_e32 v12, 0x3b800000
	v_lshlrev_b32_e32 v6, 20, v6
	v_lshl_add_u32 v10, v10, 23, v12
	v_or3_b32 v10, v11, v10, v6
.LBB10_412:
	s_or_b64 exec, exec, s[6:7]
	s_movk_i32 s4, 0x7f
	v_cmp_gt_i16_sdwa s[6:7], v2, s4 src0_sel:BYTE_3 src1_sel:DWORD
	s_mov_b64 s[4:5], 0
                                        ; implicit-def: $sgpr10
	s_and_saveexec_b64 s[8:9], s[6:7]
	s_xor_b64 s[6:7], exec, s[8:9]
	s_cbranch_execnz .LBB10_2461
; %bb.413:
	s_or_saveexec_b64 s[6:7], s[6:7]
	v_mov_b32_e32 v6, s10
	s_xor_b64 exec, exec, s[6:7]
	s_cbranch_execnz .LBB10_2464
.LBB10_414:
	s_or_b64 exec, exec, s[6:7]
	s_and_saveexec_b64 s[6:7], s[4:5]
	s_cbranch_execz .LBB10_416
.LBB10_415:
	v_bfe_u32 v6, v2, 24, 3
	v_ffbh_u32_e32 v14, v6
	v_min_u32_e32 v14, 32, v14
	v_lshrrev_b32_e32 v12, 27, v2
	v_subrev_u32_e32 v15, 28, v14
	v_and_b32_e32 v11, 0x80000000, v2
	v_and_b32_e32 v12, 15, v12
	v_bfe_u32 v13, v2, 27, 4
	v_lshlrev_b32_sdwa v2, v15, v2 dst_sel:DWORD dst_unused:UNUSED_PAD src0_sel:DWORD src1_sel:BYTE_3
	v_sub_u32_e32 v14, 29, v14
	v_and_b32_e32 v2, 7, v2
	v_cmp_eq_u16_e32 vcc, 0, v12
	v_cndmask_b32_e32 v2, v6, v2, vcc
	v_cndmask_b32_e32 v6, v13, v14, vcc
	v_mov_b32_e32 v12, 0x3b800000
	v_lshlrev_b32_e32 v2, 20, v2
	v_lshl_add_u32 v6, v6, 23, v12
	v_or3_b32 v6, v11, v6, v2
.LBB10_416:
	s_or_b64 exec, exec, s[6:7]
	s_nop 0
	v_mfma_f32_16x16x4f32 a[0:3], v10, v6, a[0:3]
	s_movk_i32 s4, 0x7f
	v_cmp_gt_i16_sdwa s[6:7], v7, s4 src0_sel:BYTE_0 src1_sel:DWORD
	s_mov_b64 s[4:5], 0
                                        ; implicit-def: $sgpr10
	s_and_saveexec_b64 s[8:9], s[6:7]
	s_xor_b64 s[6:7], exec, s[8:9]
	s_cbranch_execnz .LBB10_2465
; %bb.417:
	s_or_saveexec_b64 s[6:7], s[6:7]
	v_mov_b32_e32 v2, s10
	s_xor_b64 exec, exec, s[6:7]
	s_cbranch_execnz .LBB10_2468
.LBB10_418:
	s_or_b64 exec, exec, s[6:7]
	s_and_saveexec_b64 s[6:7], s[4:5]
	s_cbranch_execz .LBB10_420
.LBB10_419:
	v_and_b32_e32 v2, 7, v7
	v_ffbh_u32_e32 v10, v2
	v_min_u32_e32 v10, 32, v10
	v_lshrrev_b16_e32 v6, 3, v7
	v_subrev_u32_e32 v11, 28, v10
	v_and_b32_e32 v6, 15, v6
	v_lshlrev_b32_e32 v11, v11, v7
	v_sub_u32_e32 v10, 29, v10
	v_and_b32_e32 v11, 7, v11
	v_cmp_eq_u16_e32 vcc, 0, v6
	v_cndmask_b32_e32 v2, v2, v11, vcc
	v_cndmask_b32_e32 v6, v6, v10, vcc
	v_lshlrev_b32_e32 v10, 24, v7
	v_mov_b32_e32 v11, 0x3b800000
	v_lshlrev_b32_e32 v2, 20, v2
	v_and_b32_e32 v10, 0x80000000, v10
	v_lshl_add_u32 v6, v6, 23, v11
	v_or3_b32 v2, v10, v6, v2
.LBB10_420:
	s_or_b64 exec, exec, s[6:7]
	s_movk_i32 s4, 0x7f
	v_cmp_gt_i16_sdwa s[6:7], v3, s4 src0_sel:BYTE_0 src1_sel:DWORD
	s_mov_b64 s[4:5], 0
                                        ; implicit-def: $sgpr10
	s_and_saveexec_b64 s[8:9], s[6:7]
	s_xor_b64 s[6:7], exec, s[8:9]
	s_cbranch_execnz .LBB10_2469
; %bb.421:
	s_or_saveexec_b64 s[6:7], s[6:7]
	v_mov_b32_e32 v6, s10
	s_xor_b64 exec, exec, s[6:7]
	s_cbranch_execnz .LBB10_2472
.LBB10_422:
	s_or_b64 exec, exec, s[6:7]
	s_and_saveexec_b64 s[6:7], s[4:5]
	s_cbranch_execz .LBB10_424
.LBB10_423:
	v_and_b32_e32 v6, 7, v3
	v_ffbh_u32_e32 v11, v6
	v_min_u32_e32 v11, 32, v11
	v_lshrrev_b16_e32 v10, 3, v3
	v_subrev_u32_e32 v12, 28, v11
	v_and_b32_e32 v10, 15, v10
	v_lshlrev_b32_e32 v12, v12, v3
	v_sub_u32_e32 v11, 29, v11
	v_and_b32_e32 v12, 7, v12
	v_cmp_eq_u16_e32 vcc, 0, v10
	v_cndmask_b32_e32 v6, v6, v12, vcc
	v_cndmask_b32_e32 v10, v10, v11, vcc
	v_lshlrev_b32_e32 v11, 24, v3
	v_mov_b32_e32 v12, 0x3b800000
	v_lshlrev_b32_e32 v6, 20, v6
	v_and_b32_e32 v11, 0x80000000, v11
	v_lshl_add_u32 v10, v10, 23, v12
	v_or3_b32 v6, v11, v10, v6
.LBB10_424:
	s_or_b64 exec, exec, s[6:7]
	s_nop 0
	v_mfma_f32_16x16x4f32 a[0:3], v2, v6, a[0:3]
	v_lshrrev_b32_e32 v6, 8, v7
	s_movk_i32 s4, 0x7f
	v_cmp_gt_i16_sdwa s[6:7], v6, s4 src0_sel:BYTE_0 src1_sel:DWORD
	s_mov_b64 s[4:5], 0
                                        ; implicit-def: $sgpr10
	s_and_saveexec_b64 s[8:9], s[6:7]
	s_xor_b64 s[6:7], exec, s[8:9]
	s_cbranch_execnz .LBB10_2473
; %bb.425:
	s_or_saveexec_b64 s[6:7], s[6:7]
	v_mov_b32_e32 v2, s10
	s_xor_b64 exec, exec, s[6:7]
	s_cbranch_execnz .LBB10_2476
.LBB10_426:
	s_or_b64 exec, exec, s[6:7]
	s_and_saveexec_b64 s[6:7], s[4:5]
	s_cbranch_execz .LBB10_428
.LBB10_427:
	v_bfe_u32 v2, v7, 8, 3
	v_ffbh_u32_e32 v11, v2
	v_min_u32_e32 v11, 32, v11
	v_lshrrev_b16_e32 v10, 3, v6
	v_subrev_u32_e32 v12, 28, v11
	v_and_b32_e32 v10, 15, v10
	v_lshlrev_b32_e32 v6, v12, v6
	v_sub_u32_e32 v11, 29, v11
	v_and_b32_e32 v6, 7, v6
	v_cmp_eq_u16_e32 vcc, 0, v10
	v_cndmask_b32_e32 v2, v2, v6, vcc
	v_cndmask_b32_e32 v6, v10, v11, vcc
	v_lshlrev_b32_e32 v10, 16, v7
	v_mov_b32_e32 v11, 0x3b800000
	v_lshlrev_b32_e32 v2, 20, v2
	v_and_b32_e32 v10, 0x80000000, v10
	v_lshl_add_u32 v6, v6, 23, v11
	v_or3_b32 v2, v10, v6, v2
.LBB10_428:
	s_or_b64 exec, exec, s[6:7]
	v_lshrrev_b32_e32 v6, 8, v3
	s_movk_i32 s4, 0x7f
	v_cmp_gt_i16_sdwa s[6:7], v6, s4 src0_sel:BYTE_0 src1_sel:DWORD
	s_mov_b64 s[4:5], 0
                                        ; implicit-def: $sgpr10
	s_and_saveexec_b64 s[8:9], s[6:7]
	s_xor_b64 s[6:7], exec, s[8:9]
	s_cbranch_execnz .LBB10_2477
; %bb.429:
	s_or_saveexec_b64 s[6:7], s[6:7]
	v_mov_b32_e32 v10, s10
	s_xor_b64 exec, exec, s[6:7]
	s_cbranch_execnz .LBB10_2480
.LBB10_430:
	s_or_b64 exec, exec, s[6:7]
	s_and_saveexec_b64 s[6:7], s[4:5]
	s_cbranch_execz .LBB10_432
.LBB10_431:
	v_bfe_u32 v10, v3, 8, 3
	v_ffbh_u32_e32 v12, v10
	v_min_u32_e32 v12, 32, v12
	v_lshrrev_b16_e32 v11, 3, v6
	v_subrev_u32_e32 v13, 28, v12
	v_and_b32_e32 v11, 15, v11
	v_lshlrev_b32_e32 v6, v13, v6
	v_sub_u32_e32 v12, 29, v12
	v_and_b32_e32 v6, 7, v6
	v_cmp_eq_u16_e32 vcc, 0, v11
	v_cndmask_b32_e32 v6, v10, v6, vcc
	v_cndmask_b32_e32 v10, v11, v12, vcc
	v_lshlrev_b32_e32 v11, 16, v3
	v_mov_b32_e32 v12, 0x3b800000
	v_lshlrev_b32_e32 v6, 20, v6
	v_and_b32_e32 v11, 0x80000000, v11
	v_lshl_add_u32 v10, v10, 23, v12
	v_or3_b32 v10, v11, v10, v6
.LBB10_432:
	s_or_b64 exec, exec, s[6:7]
	s_nop 0
	v_mfma_f32_16x16x4f32 a[0:3], v2, v10, a[0:3]
	s_movk_i32 s4, 0xff
	v_and_b32_sdwa v6, v7, s4 dst_sel:DWORD dst_unused:UNUSED_PAD src0_sel:WORD_1 src1_sel:DWORD
	s_movk_i32 s4, 0x7f
	v_cmp_lt_i16_e32 vcc, s4, v6
	s_mov_b64 s[4:5], 0
                                        ; implicit-def: $sgpr10
	s_and_saveexec_b64 s[6:7], vcc
	s_xor_b64 s[6:7], exec, s[6:7]
	s_cbranch_execnz .LBB10_2481
; %bb.433:
	s_or_saveexec_b64 s[6:7], s[6:7]
	v_mov_b32_e32 v2, s10
	s_xor_b64 exec, exec, s[6:7]
	s_cbranch_execnz .LBB10_2484
.LBB10_434:
	s_or_b64 exec, exec, s[6:7]
	s_and_saveexec_b64 s[6:7], s[4:5]
	s_cbranch_execz .LBB10_436
.LBB10_435:
	v_bfe_u32 v2, v7, 16, 3
	v_ffbh_u32_e32 v11, v2
	v_min_u32_e32 v11, 32, v11
	v_lshrrev_b32_e32 v6, 19, v7
	v_subrev_u32_e32 v12, 28, v11
	v_and_b32_e32 v6, 15, v6
	v_lshlrev_b32_sdwa v12, v12, v7 dst_sel:DWORD dst_unused:UNUSED_PAD src0_sel:DWORD src1_sel:WORD_1
	v_bfe_u32 v10, v7, 19, 4
	v_sub_u32_e32 v11, 29, v11
	v_and_b32_e32 v12, 7, v12
	v_cmp_eq_u16_e32 vcc, 0, v6
	v_cndmask_b32_e32 v2, v2, v12, vcc
	v_cndmask_b32_e32 v6, v10, v11, vcc
	v_lshlrev_b32_e32 v10, 8, v7
	v_mov_b32_e32 v11, 0x3b800000
	v_lshlrev_b32_e32 v2, 20, v2
	v_and_b32_e32 v10, 0x80000000, v10
	v_lshl_add_u32 v6, v6, 23, v11
	v_or3_b32 v2, v10, v6, v2
.LBB10_436:
	s_or_b64 exec, exec, s[6:7]
	s_movk_i32 s4, 0xff
	v_and_b32_sdwa v6, v3, s4 dst_sel:DWORD dst_unused:UNUSED_PAD src0_sel:WORD_1 src1_sel:DWORD
	s_movk_i32 s4, 0x7f
	v_cmp_lt_i16_e32 vcc, s4, v6
	s_mov_b64 s[4:5], 0
                                        ; implicit-def: $sgpr10
	s_and_saveexec_b64 s[6:7], vcc
	s_xor_b64 s[6:7], exec, s[6:7]
	s_cbranch_execnz .LBB10_2485
; %bb.437:
	s_or_saveexec_b64 s[6:7], s[6:7]
	v_mov_b32_e32 v10, s10
	s_xor_b64 exec, exec, s[6:7]
	s_cbranch_execnz .LBB10_2488
.LBB10_438:
	s_or_b64 exec, exec, s[6:7]
	s_and_saveexec_b64 s[6:7], s[4:5]
	s_cbranch_execz .LBB10_440
.LBB10_439:
	v_bfe_u32 v6, v3, 16, 3
	v_ffbh_u32_e32 v12, v6
	v_min_u32_e32 v12, 32, v12
	v_lshrrev_b32_e32 v10, 19, v3
	v_subrev_u32_e32 v13, 28, v12
	v_and_b32_e32 v10, 15, v10
	v_lshlrev_b32_sdwa v13, v13, v3 dst_sel:DWORD dst_unused:UNUSED_PAD src0_sel:DWORD src1_sel:WORD_1
	v_bfe_u32 v11, v3, 19, 4
	v_sub_u32_e32 v12, 29, v12
	v_and_b32_e32 v13, 7, v13
	v_cmp_eq_u16_e32 vcc, 0, v10
	v_cndmask_b32_e32 v6, v6, v13, vcc
	v_cndmask_b32_e32 v10, v11, v12, vcc
	v_lshlrev_b32_e32 v11, 8, v3
	v_mov_b32_e32 v12, 0x3b800000
	v_lshlrev_b32_e32 v6, 20, v6
	v_and_b32_e32 v11, 0x80000000, v11
	v_lshl_add_u32 v10, v10, 23, v12
	v_or3_b32 v10, v11, v10, v6
.LBB10_440:
	s_or_b64 exec, exec, s[6:7]
	s_nop 0
	v_mfma_f32_16x16x4f32 a[0:3], v2, v10, a[0:3]
	s_movk_i32 s4, 0x7f
	v_cmp_gt_i16_sdwa s[6:7], v7, s4 src0_sel:BYTE_3 src1_sel:DWORD
	s_mov_b64 s[4:5], 0
                                        ; implicit-def: $sgpr10
	s_and_saveexec_b64 s[8:9], s[6:7]
	s_xor_b64 s[6:7], exec, s[8:9]
	s_cbranch_execnz .LBB10_2489
; %bb.441:
	s_or_saveexec_b64 s[6:7], s[6:7]
	v_mov_b32_e32 v2, s10
	s_xor_b64 exec, exec, s[6:7]
	s_cbranch_execnz .LBB10_2492
.LBB10_442:
	s_or_b64 exec, exec, s[6:7]
	s_and_saveexec_b64 s[6:7], s[4:5]
	s_cbranch_execz .LBB10_444
.LBB10_443:
	v_bfe_u32 v2, v7, 24, 3
	v_ffbh_u32_e32 v12, v2
	v_min_u32_e32 v12, 32, v12
	v_lshrrev_b32_e32 v10, 27, v7
	v_subrev_u32_e32 v13, 28, v12
	v_and_b32_e32 v6, 0x80000000, v7
	v_and_b32_e32 v10, 15, v10
	v_bfe_u32 v11, v7, 27, 4
	v_lshlrev_b32_sdwa v7, v13, v7 dst_sel:DWORD dst_unused:UNUSED_PAD src0_sel:DWORD src1_sel:BYTE_3
	v_sub_u32_e32 v12, 29, v12
	v_and_b32_e32 v7, 7, v7
	v_cmp_eq_u16_e32 vcc, 0, v10
	v_cndmask_b32_e32 v2, v2, v7, vcc
	v_cndmask_b32_e32 v7, v11, v12, vcc
	v_mov_b32_e32 v10, 0x3b800000
	v_lshlrev_b32_e32 v2, 20, v2
	v_lshl_add_u32 v7, v7, 23, v10
	v_or3_b32 v2, v6, v7, v2
.LBB10_444:
	s_or_b64 exec, exec, s[6:7]
	s_movk_i32 s4, 0x7f
	v_cmp_gt_i16_sdwa s[6:7], v3, s4 src0_sel:BYTE_3 src1_sel:DWORD
	s_mov_b64 s[4:5], 0
                                        ; implicit-def: $sgpr10
	s_and_saveexec_b64 s[8:9], s[6:7]
	s_xor_b64 s[6:7], exec, s[8:9]
	s_cbranch_execnz .LBB10_2493
; %bb.445:
	s_or_saveexec_b64 s[6:7], s[6:7]
	v_mov_b32_e32 v6, s10
	s_xor_b64 exec, exec, s[6:7]
	s_cbranch_execnz .LBB10_2496
.LBB10_446:
	s_or_b64 exec, exec, s[6:7]
	s_and_saveexec_b64 s[6:7], s[4:5]
	s_cbranch_execz .LBB10_448
.LBB10_447:
	v_bfe_u32 v6, v3, 24, 3
	v_ffbh_u32_e32 v12, v6
	v_min_u32_e32 v12, 32, v12
	v_lshrrev_b32_e32 v10, 27, v3
	v_subrev_u32_e32 v13, 28, v12
	v_and_b32_e32 v7, 0x80000000, v3
	v_and_b32_e32 v10, 15, v10
	v_bfe_u32 v11, v3, 27, 4
	v_lshlrev_b32_sdwa v3, v13, v3 dst_sel:DWORD dst_unused:UNUSED_PAD src0_sel:DWORD src1_sel:BYTE_3
	v_sub_u32_e32 v12, 29, v12
	v_and_b32_e32 v3, 7, v3
	v_cmp_eq_u16_e32 vcc, 0, v10
	v_cndmask_b32_e32 v3, v6, v3, vcc
	v_cndmask_b32_e32 v6, v11, v12, vcc
	v_mov_b32_e32 v10, 0x3b800000
	v_lshlrev_b32_e32 v3, 20, v3
	v_lshl_add_u32 v6, v6, 23, v10
	v_or3_b32 v6, v7, v6, v3
.LBB10_448:
	s_or_b64 exec, exec, s[6:7]
	s_nop 0
	v_mfma_f32_16x16x4f32 a[0:3], v2, v6, a[0:3]
	s_movk_i32 s4, 0x7f
	v_cmp_gt_i16_sdwa s[6:7], v8, s4 src0_sel:BYTE_0 src1_sel:DWORD
	s_mov_b64 s[4:5], 0
                                        ; implicit-def: $sgpr10
	s_and_saveexec_b64 s[8:9], s[6:7]
	s_xor_b64 s[6:7], exec, s[8:9]
	s_cbranch_execnz .LBB10_2497
; %bb.449:
	s_or_saveexec_b64 s[6:7], s[6:7]
	v_mov_b32_e32 v2, s10
	s_xor_b64 exec, exec, s[6:7]
	s_cbranch_execnz .LBB10_2500
.LBB10_450:
	s_or_b64 exec, exec, s[6:7]
	s_and_saveexec_b64 s[6:7], s[4:5]
	s_cbranch_execz .LBB10_452
.LBB10_451:
	v_and_b32_e32 v2, 7, v8
	v_ffbh_u32_e32 v6, v2
	v_min_u32_e32 v6, 32, v6
	v_lshrrev_b16_e32 v3, 3, v8
	v_subrev_u32_e32 v7, 28, v6
	v_and_b32_e32 v3, 15, v3
	v_lshlrev_b32_e32 v7, v7, v8
	v_sub_u32_e32 v6, 29, v6
	v_and_b32_e32 v7, 7, v7
	v_cmp_eq_u16_e32 vcc, 0, v3
	v_cndmask_b32_e32 v2, v2, v7, vcc
	v_cndmask_b32_e32 v3, v3, v6, vcc
	v_lshlrev_b32_e32 v6, 24, v8
	v_mov_b32_e32 v7, 0x3b800000
	v_lshlrev_b32_e32 v2, 20, v2
	v_and_b32_e32 v6, 0x80000000, v6
	v_lshl_add_u32 v3, v3, 23, v7
	v_or3_b32 v2, v6, v3, v2
.LBB10_452:
	s_or_b64 exec, exec, s[6:7]
	s_movk_i32 s4, 0x7f
	v_cmp_gt_i16_sdwa s[6:7], v4, s4 src0_sel:BYTE_0 src1_sel:DWORD
	s_mov_b64 s[4:5], 0
                                        ; implicit-def: $sgpr10
	s_and_saveexec_b64 s[8:9], s[6:7]
	s_xor_b64 s[6:7], exec, s[8:9]
	s_cbranch_execnz .LBB10_2501
; %bb.453:
	s_or_saveexec_b64 s[6:7], s[6:7]
	v_mov_b32_e32 v3, s10
	s_xor_b64 exec, exec, s[6:7]
	s_cbranch_execnz .LBB10_2504
.LBB10_454:
	s_or_b64 exec, exec, s[6:7]
	s_and_saveexec_b64 s[6:7], s[4:5]
	s_cbranch_execz .LBB10_456
.LBB10_455:
	v_and_b32_e32 v3, 7, v4
	v_ffbh_u32_e32 v7, v3
	v_min_u32_e32 v7, 32, v7
	v_lshrrev_b16_e32 v6, 3, v4
	v_subrev_u32_e32 v10, 28, v7
	v_and_b32_e32 v6, 15, v6
	v_lshlrev_b32_e32 v10, v10, v4
	v_sub_u32_e32 v7, 29, v7
	v_and_b32_e32 v10, 7, v10
	v_cmp_eq_u16_e32 vcc, 0, v6
	v_cndmask_b32_e32 v3, v3, v10, vcc
	v_cndmask_b32_e32 v6, v6, v7, vcc
	v_lshlrev_b32_e32 v7, 24, v4
	v_mov_b32_e32 v10, 0x3b800000
	v_lshlrev_b32_e32 v3, 20, v3
	v_and_b32_e32 v7, 0x80000000, v7
	v_lshl_add_u32 v6, v6, 23, v10
	v_or3_b32 v3, v7, v6, v3
.LBB10_456:
	s_or_b64 exec, exec, s[6:7]
	s_nop 0
	v_mfma_f32_16x16x4f32 a[0:3], v2, v3, a[0:3]
	v_lshrrev_b32_e32 v3, 8, v8
	s_movk_i32 s4, 0x7f
	v_cmp_gt_i16_sdwa s[6:7], v3, s4 src0_sel:BYTE_0 src1_sel:DWORD
	s_mov_b64 s[4:5], 0
                                        ; implicit-def: $sgpr10
	s_and_saveexec_b64 s[8:9], s[6:7]
	s_xor_b64 s[6:7], exec, s[8:9]
	s_cbranch_execnz .LBB10_2505
; %bb.457:
	s_or_saveexec_b64 s[6:7], s[6:7]
	v_mov_b32_e32 v2, s10
	s_xor_b64 exec, exec, s[6:7]
	s_cbranch_execnz .LBB10_2508
.LBB10_458:
	s_or_b64 exec, exec, s[6:7]
	s_and_saveexec_b64 s[6:7], s[4:5]
	s_cbranch_execz .LBB10_460
.LBB10_459:
	v_bfe_u32 v2, v8, 8, 3
	v_ffbh_u32_e32 v7, v2
	v_min_u32_e32 v7, 32, v7
	v_lshrrev_b16_e32 v6, 3, v3
	v_subrev_u32_e32 v10, 28, v7
	v_and_b32_e32 v6, 15, v6
	v_lshlrev_b32_e32 v3, v10, v3
	v_sub_u32_e32 v7, 29, v7
	v_and_b32_e32 v3, 7, v3
	v_cmp_eq_u16_e32 vcc, 0, v6
	v_cndmask_b32_e32 v2, v2, v3, vcc
	v_cndmask_b32_e32 v3, v6, v7, vcc
	v_lshlrev_b32_e32 v6, 16, v8
	v_mov_b32_e32 v7, 0x3b800000
	v_lshlrev_b32_e32 v2, 20, v2
	v_and_b32_e32 v6, 0x80000000, v6
	v_lshl_add_u32 v3, v3, 23, v7
	v_or3_b32 v2, v6, v3, v2
.LBB10_460:
	s_or_b64 exec, exec, s[6:7]
	v_lshrrev_b32_e32 v3, 8, v4
	s_movk_i32 s4, 0x7f
	v_cmp_gt_i16_sdwa s[6:7], v3, s4 src0_sel:BYTE_0 src1_sel:DWORD
	s_mov_b64 s[4:5], 0
                                        ; implicit-def: $sgpr10
	s_and_saveexec_b64 s[8:9], s[6:7]
	s_xor_b64 s[6:7], exec, s[8:9]
	s_cbranch_execnz .LBB10_2509
; %bb.461:
	s_or_saveexec_b64 s[6:7], s[6:7]
	v_mov_b32_e32 v6, s10
	s_xor_b64 exec, exec, s[6:7]
	s_cbranch_execnz .LBB10_2512
.LBB10_462:
	s_or_b64 exec, exec, s[6:7]
	s_and_saveexec_b64 s[6:7], s[4:5]
	s_cbranch_execz .LBB10_464
.LBB10_463:
	v_bfe_u32 v6, v4, 8, 3
	v_ffbh_u32_e32 v10, v6
	v_min_u32_e32 v10, 32, v10
	v_lshrrev_b16_e32 v7, 3, v3
	v_subrev_u32_e32 v11, 28, v10
	v_and_b32_e32 v7, 15, v7
	v_lshlrev_b32_e32 v3, v11, v3
	v_sub_u32_e32 v10, 29, v10
	v_and_b32_e32 v3, 7, v3
	v_cmp_eq_u16_e32 vcc, 0, v7
	v_cndmask_b32_e32 v3, v6, v3, vcc
	v_cndmask_b32_e32 v6, v7, v10, vcc
	v_lshlrev_b32_e32 v7, 16, v4
	v_mov_b32_e32 v10, 0x3b800000
	v_lshlrev_b32_e32 v3, 20, v3
	v_and_b32_e32 v7, 0x80000000, v7
	v_lshl_add_u32 v6, v6, 23, v10
	v_or3_b32 v6, v7, v6, v3
.LBB10_464:
	s_or_b64 exec, exec, s[6:7]
	s_nop 0
	v_mfma_f32_16x16x4f32 a[0:3], v2, v6, a[0:3]
	s_movk_i32 s4, 0xff
	v_and_b32_sdwa v3, v8, s4 dst_sel:DWORD dst_unused:UNUSED_PAD src0_sel:WORD_1 src1_sel:DWORD
	s_movk_i32 s4, 0x7f
	v_cmp_lt_i16_e32 vcc, s4, v3
	s_mov_b64 s[4:5], 0
                                        ; implicit-def: $sgpr10
	s_and_saveexec_b64 s[6:7], vcc
	s_xor_b64 s[6:7], exec, s[6:7]
	s_cbranch_execnz .LBB10_2513
; %bb.465:
	s_or_saveexec_b64 s[6:7], s[6:7]
	v_mov_b32_e32 v2, s10
	s_xor_b64 exec, exec, s[6:7]
	s_cbranch_execnz .LBB10_2516
.LBB10_466:
	s_or_b64 exec, exec, s[6:7]
	s_and_saveexec_b64 s[6:7], s[4:5]
	s_cbranch_execz .LBB10_468
.LBB10_467:
	v_bfe_u32 v2, v8, 16, 3
	v_ffbh_u32_e32 v7, v2
	v_min_u32_e32 v7, 32, v7
	v_lshrrev_b32_e32 v3, 19, v8
	v_subrev_u32_e32 v10, 28, v7
	v_and_b32_e32 v3, 15, v3
	v_lshlrev_b32_sdwa v10, v10, v8 dst_sel:DWORD dst_unused:UNUSED_PAD src0_sel:DWORD src1_sel:WORD_1
	v_bfe_u32 v6, v8, 19, 4
	v_sub_u32_e32 v7, 29, v7
	v_and_b32_e32 v10, 7, v10
	v_cmp_eq_u16_e32 vcc, 0, v3
	v_cndmask_b32_e32 v2, v2, v10, vcc
	v_cndmask_b32_e32 v3, v6, v7, vcc
	v_lshlrev_b32_e32 v6, 8, v8
	v_mov_b32_e32 v7, 0x3b800000
	v_lshlrev_b32_e32 v2, 20, v2
	v_and_b32_e32 v6, 0x80000000, v6
	v_lshl_add_u32 v3, v3, 23, v7
	v_or3_b32 v2, v6, v3, v2
.LBB10_468:
	s_or_b64 exec, exec, s[6:7]
	s_movk_i32 s4, 0xff
	v_and_b32_sdwa v3, v4, s4 dst_sel:DWORD dst_unused:UNUSED_PAD src0_sel:WORD_1 src1_sel:DWORD
	s_movk_i32 s4, 0x7f
	v_cmp_lt_i16_e32 vcc, s4, v3
	s_mov_b64 s[4:5], 0
                                        ; implicit-def: $sgpr10
	s_and_saveexec_b64 s[6:7], vcc
	s_xor_b64 s[6:7], exec, s[6:7]
	s_cbranch_execnz .LBB10_2517
; %bb.469:
	s_or_saveexec_b64 s[6:7], s[6:7]
	v_mov_b32_e32 v6, s10
	s_xor_b64 exec, exec, s[6:7]
	s_cbranch_execnz .LBB10_2520
.LBB10_470:
	s_or_b64 exec, exec, s[6:7]
	s_and_saveexec_b64 s[6:7], s[4:5]
	s_cbranch_execz .LBB10_472
.LBB10_471:
	v_bfe_u32 v3, v4, 16, 3
	v_ffbh_u32_e32 v10, v3
	v_min_u32_e32 v10, 32, v10
	v_lshrrev_b32_e32 v6, 19, v4
	v_subrev_u32_e32 v11, 28, v10
	v_and_b32_e32 v6, 15, v6
	v_lshlrev_b32_sdwa v11, v11, v4 dst_sel:DWORD dst_unused:UNUSED_PAD src0_sel:DWORD src1_sel:WORD_1
	v_bfe_u32 v7, v4, 19, 4
	v_sub_u32_e32 v10, 29, v10
	v_and_b32_e32 v11, 7, v11
	v_cmp_eq_u16_e32 vcc, 0, v6
	v_cndmask_b32_e32 v3, v3, v11, vcc
	v_cndmask_b32_e32 v6, v7, v10, vcc
	v_lshlrev_b32_e32 v7, 8, v4
	v_mov_b32_e32 v10, 0x3b800000
	v_lshlrev_b32_e32 v3, 20, v3
	v_and_b32_e32 v7, 0x80000000, v7
	v_lshl_add_u32 v6, v6, 23, v10
	v_or3_b32 v6, v7, v6, v3
.LBB10_472:
	s_or_b64 exec, exec, s[6:7]
	s_nop 0
	v_mfma_f32_16x16x4f32 a[0:3], v2, v6, a[0:3]
	s_movk_i32 s4, 0x7f
	v_cmp_gt_i16_sdwa s[6:7], v8, s4 src0_sel:BYTE_3 src1_sel:DWORD
	s_mov_b64 s[4:5], 0
                                        ; implicit-def: $sgpr10
	s_and_saveexec_b64 s[8:9], s[6:7]
	s_xor_b64 s[6:7], exec, s[8:9]
	s_cbranch_execnz .LBB10_2521
; %bb.473:
	s_or_saveexec_b64 s[6:7], s[6:7]
	v_mov_b32_e32 v2, s10
	s_xor_b64 exec, exec, s[6:7]
	s_cbranch_execnz .LBB10_2524
.LBB10_474:
	s_or_b64 exec, exec, s[6:7]
	s_and_saveexec_b64 s[6:7], s[4:5]
	s_cbranch_execz .LBB10_476
.LBB10_475:
	v_bfe_u32 v2, v8, 24, 3
	v_ffbh_u32_e32 v10, v2
	v_min_u32_e32 v10, 32, v10
	v_lshrrev_b32_e32 v6, 27, v8
	v_subrev_u32_e32 v11, 28, v10
	v_and_b32_e32 v3, 0x80000000, v8
	v_and_b32_e32 v6, 15, v6
	v_bfe_u32 v7, v8, 27, 4
	v_lshlrev_b32_sdwa v8, v11, v8 dst_sel:DWORD dst_unused:UNUSED_PAD src0_sel:DWORD src1_sel:BYTE_3
	v_sub_u32_e32 v10, 29, v10
	v_and_b32_e32 v8, 7, v8
	v_cmp_eq_u16_e32 vcc, 0, v6
	v_cndmask_b32_e32 v2, v2, v8, vcc
	v_cndmask_b32_e32 v6, v7, v10, vcc
	v_mov_b32_e32 v7, 0x3b800000
	v_lshlrev_b32_e32 v2, 20, v2
	v_lshl_add_u32 v6, v6, 23, v7
	v_or3_b32 v2, v3, v6, v2
.LBB10_476:
	s_or_b64 exec, exec, s[6:7]
	s_movk_i32 s4, 0x7f
	v_cmp_gt_i16_sdwa s[6:7], v4, s4 src0_sel:BYTE_3 src1_sel:DWORD
	s_mov_b64 s[4:5], 0
                                        ; implicit-def: $sgpr10
	s_and_saveexec_b64 s[8:9], s[6:7]
	s_xor_b64 s[6:7], exec, s[8:9]
	s_cbranch_execnz .LBB10_2525
; %bb.477:
	s_or_saveexec_b64 s[6:7], s[6:7]
	v_mov_b32_e32 v3, s10
	s_xor_b64 exec, exec, s[6:7]
	s_cbranch_execnz .LBB10_2528
.LBB10_478:
	s_or_b64 exec, exec, s[6:7]
	s_and_saveexec_b64 s[6:7], s[4:5]
	s_cbranch_execz .LBB10_480
.LBB10_479:
	v_bfe_u32 v3, v4, 24, 3
	v_ffbh_u32_e32 v10, v3
	v_min_u32_e32 v10, 32, v10
	v_lshrrev_b32_e32 v7, 27, v4
	v_subrev_u32_e32 v11, 28, v10
	v_and_b32_e32 v6, 0x80000000, v4
	v_and_b32_e32 v7, 15, v7
	v_bfe_u32 v8, v4, 27, 4
	v_lshlrev_b32_sdwa v4, v11, v4 dst_sel:DWORD dst_unused:UNUSED_PAD src0_sel:DWORD src1_sel:BYTE_3
	v_sub_u32_e32 v10, 29, v10
	v_and_b32_e32 v4, 7, v4
	v_cmp_eq_u16_e32 vcc, 0, v7
	v_cndmask_b32_e32 v3, v3, v4, vcc
	v_cndmask_b32_e32 v4, v8, v10, vcc
	v_mov_b32_e32 v7, 0x3b800000
	v_lshlrev_b32_e32 v3, 20, v3
	v_lshl_add_u32 v4, v4, 23, v7
	v_or3_b32 v3, v6, v4, v3
.LBB10_480:
	s_or_b64 exec, exec, s[6:7]
	s_nop 0
	v_mfma_f32_16x16x4f32 a[0:3], v2, v3, a[0:3]
	s_movk_i32 s4, 0x7f
	v_cmp_gt_i16_sdwa s[6:7], v9, s4 src0_sel:BYTE_0 src1_sel:DWORD
	s_mov_b64 s[4:5], 0
                                        ; implicit-def: $sgpr10
	s_and_saveexec_b64 s[8:9], s[6:7]
	s_xor_b64 s[6:7], exec, s[8:9]
	s_cbranch_execnz .LBB10_2529
; %bb.481:
	s_or_saveexec_b64 s[6:7], s[6:7]
	v_mov_b32_e32 v2, s10
	s_xor_b64 exec, exec, s[6:7]
	s_cbranch_execnz .LBB10_2532
.LBB10_482:
	s_or_b64 exec, exec, s[6:7]
	s_and_saveexec_b64 s[6:7], s[4:5]
	s_cbranch_execz .LBB10_484
.LBB10_483:
	v_mov_b32_e32 v2, 8
	v_and_b32_e32 v3, 7, v9
	v_lshrrev_b32_sdwa v2, v2, v9 dst_sel:BYTE_1 dst_unused:UNUSED_PAD src0_sel:DWORD src1_sel:DWORD
	v_ffbh_u32_e32 v4, v3
	v_or_b32_sdwa v2, v9, v2 dst_sel:DWORD dst_unused:UNUSED_PAD src0_sel:BYTE_0 src1_sel:DWORD
	v_min_u32_e32 v4, 32, v4
	v_lshrrev_b16_e32 v2, 3, v2
	v_subrev_u32_e32 v6, 28, v4
	v_and_b32_e32 v2, 15, v2
	v_lshlrev_b32_e32 v6, v6, v9
	v_sub_u32_e32 v4, 29, v4
	v_and_b32_e32 v6, 7, v6
	v_cmp_eq_u16_e32 vcc, 0, v2
	v_cndmask_b32_e32 v3, v3, v6, vcc
	v_cndmask_b32_e32 v2, v2, v4, vcc
	v_lshlrev_b32_e32 v4, 24, v9
	v_mov_b32_e32 v6, 0x3b800000
	v_lshlrev_b32_e32 v3, 20, v3
	v_and_b32_e32 v4, 0x80000000, v4
	v_lshl_add_u32 v2, v2, 23, v6
	v_or3_b32 v2, v4, v2, v3
.LBB10_484:
	s_or_b64 exec, exec, s[6:7]
	s_movk_i32 s4, 0x7f
	v_cmp_gt_i16_sdwa s[6:7], v5, s4 src0_sel:BYTE_0 src1_sel:DWORD
	s_mov_b64 s[4:5], 0
                                        ; implicit-def: $sgpr10
	s_and_saveexec_b64 s[8:9], s[6:7]
	s_xor_b64 s[6:7], exec, s[8:9]
	s_cbranch_execnz .LBB10_2533
; %bb.485:
	s_or_saveexec_b64 s[6:7], s[6:7]
	v_mov_b32_e32 v3, s10
	s_xor_b64 exec, exec, s[6:7]
	s_cbranch_execnz .LBB10_2536
.LBB10_486:
	s_or_b64 exec, exec, s[6:7]
	s_and_saveexec_b64 s[6:7], s[4:5]
	s_cbranch_execz .LBB10_488
.LBB10_487:
	v_mov_b32_e32 v3, 8
	v_and_b32_e32 v4, 7, v5
	v_lshrrev_b32_sdwa v3, v3, v5 dst_sel:BYTE_1 dst_unused:UNUSED_PAD src0_sel:DWORD src1_sel:DWORD
	v_ffbh_u32_e32 v6, v4
	v_or_b32_sdwa v3, v5, v3 dst_sel:DWORD dst_unused:UNUSED_PAD src0_sel:BYTE_0 src1_sel:DWORD
	v_min_u32_e32 v6, 32, v6
	v_lshrrev_b16_e32 v3, 3, v3
	v_subrev_u32_e32 v7, 28, v6
	v_and_b32_e32 v3, 15, v3
	v_lshlrev_b32_e32 v7, v7, v5
	v_sub_u32_e32 v6, 29, v6
	v_and_b32_e32 v7, 7, v7
	v_cmp_eq_u16_e32 vcc, 0, v3
	v_cndmask_b32_e32 v4, v4, v7, vcc
	v_cndmask_b32_e32 v3, v3, v6, vcc
	v_lshlrev_b32_e32 v6, 24, v5
	v_mov_b32_e32 v7, 0x3b800000
	v_lshlrev_b32_e32 v4, 20, v4
	v_and_b32_e32 v6, 0x80000000, v6
	v_lshl_add_u32 v3, v3, 23, v7
	v_or3_b32 v3, v6, v3, v4
.LBB10_488:
	s_or_b64 exec, exec, s[6:7]
	s_nop 0
	v_mfma_f32_16x16x4f32 a[0:3], v2, v3, a[0:3]
	v_lshrrev_b32_e32 v3, 8, v9
	s_movk_i32 s4, 0x7f
	v_cmp_gt_i16_sdwa s[6:7], v3, s4 src0_sel:BYTE_0 src1_sel:DWORD
	s_mov_b64 s[4:5], 0
                                        ; implicit-def: $sgpr10
	s_and_saveexec_b64 s[8:9], s[6:7]
	s_xor_b64 s[6:7], exec, s[8:9]
	s_cbranch_execnz .LBB10_2537
; %bb.489:
	s_or_saveexec_b64 s[6:7], s[6:7]
	v_mov_b32_e32 v2, s10
	s_xor_b64 exec, exec, s[6:7]
	s_cbranch_execnz .LBB10_2540
.LBB10_490:
	s_or_b64 exec, exec, s[6:7]
	s_and_saveexec_b64 s[6:7], s[4:5]
	s_cbranch_execz .LBB10_492
.LBB10_491:
	v_bfe_u32 v2, v9, 8, 3
	v_ffbh_u32_e32 v6, v2
	v_min_u32_e32 v6, 32, v6
	v_lshrrev_b16_e32 v4, 3, v3
	v_subrev_u32_e32 v7, 28, v6
	v_and_b32_e32 v4, 15, v4
	v_lshlrev_b32_e32 v3, v7, v3
	v_sub_u32_e32 v6, 29, v6
	v_and_b32_e32 v3, 7, v3
	v_cmp_eq_u16_e32 vcc, 0, v4
	v_cndmask_b32_e32 v2, v2, v3, vcc
	v_cndmask_b32_e32 v3, v4, v6, vcc
	v_lshlrev_b32_e32 v4, 16, v9
	v_mov_b32_e32 v6, 0x3b800000
	v_lshlrev_b32_e32 v2, 20, v2
	v_and_b32_e32 v4, 0x80000000, v4
	v_lshl_add_u32 v3, v3, 23, v6
	v_or3_b32 v2, v4, v3, v2
.LBB10_492:
	s_or_b64 exec, exec, s[6:7]
	v_lshrrev_b32_e32 v3, 8, v5
	s_movk_i32 s4, 0x7f
	v_cmp_gt_i16_sdwa s[6:7], v3, s4 src0_sel:BYTE_0 src1_sel:DWORD
	s_mov_b64 s[4:5], 0
                                        ; implicit-def: $sgpr10
	s_and_saveexec_b64 s[8:9], s[6:7]
	s_xor_b64 s[6:7], exec, s[8:9]
	s_cbranch_execnz .LBB10_2541
; %bb.493:
	s_or_saveexec_b64 s[6:7], s[6:7]
	v_mov_b32_e32 v4, s10
	s_xor_b64 exec, exec, s[6:7]
	s_cbranch_execnz .LBB10_2544
.LBB10_494:
	s_or_b64 exec, exec, s[6:7]
	s_and_saveexec_b64 s[6:7], s[4:5]
	s_cbranch_execz .LBB10_496
.LBB10_495:
	v_bfe_u32 v4, v5, 8, 3
	v_ffbh_u32_e32 v7, v4
	v_min_u32_e32 v7, 32, v7
	v_lshrrev_b16_e32 v6, 3, v3
	v_subrev_u32_e32 v8, 28, v7
	v_and_b32_e32 v6, 15, v6
	v_lshlrev_b32_e32 v3, v8, v3
	v_sub_u32_e32 v7, 29, v7
	v_and_b32_e32 v3, 7, v3
	v_cmp_eq_u16_e32 vcc, 0, v6
	v_cndmask_b32_e32 v3, v4, v3, vcc
	v_cndmask_b32_e32 v4, v6, v7, vcc
	v_lshlrev_b32_e32 v6, 16, v5
	v_mov_b32_e32 v7, 0x3b800000
	v_lshlrev_b32_e32 v3, 20, v3
	v_and_b32_e32 v6, 0x80000000, v6
	v_lshl_add_u32 v4, v4, 23, v7
	v_or3_b32 v4, v6, v4, v3
.LBB10_496:
	s_or_b64 exec, exec, s[6:7]
	s_nop 0
	v_mfma_f32_16x16x4f32 a[0:3], v2, v4, a[0:3]
	s_movk_i32 s4, 0xff
	v_and_b32_sdwa v3, v9, s4 dst_sel:DWORD dst_unused:UNUSED_PAD src0_sel:WORD_1 src1_sel:DWORD
	s_movk_i32 s4, 0x7f
	v_cmp_lt_i16_e32 vcc, s4, v3
	s_mov_b64 s[4:5], 0
                                        ; implicit-def: $sgpr10
	s_and_saveexec_b64 s[6:7], vcc
	s_xor_b64 s[6:7], exec, s[6:7]
	s_cbranch_execnz .LBB10_2545
; %bb.497:
	s_or_saveexec_b64 s[6:7], s[6:7]
	v_mov_b32_e32 v2, s10
	s_xor_b64 exec, exec, s[6:7]
	s_cbranch_execnz .LBB10_2548
.LBB10_498:
	s_or_b64 exec, exec, s[6:7]
	s_and_saveexec_b64 s[6:7], s[4:5]
	s_cbranch_execz .LBB10_500
.LBB10_499:
	v_bfe_u32 v2, v9, 16, 3
	v_ffbh_u32_e32 v6, v2
	v_min_u32_e32 v6, 32, v6
	v_lshrrev_b32_e32 v3, 19, v9
	v_subrev_u32_e32 v7, 28, v6
	v_and_b32_e32 v3, 15, v3
	v_lshlrev_b32_sdwa v7, v7, v9 dst_sel:DWORD dst_unused:UNUSED_PAD src0_sel:DWORD src1_sel:WORD_1
	v_bfe_u32 v4, v9, 19, 4
	v_sub_u32_e32 v6, 29, v6
	v_and_b32_e32 v7, 7, v7
	v_cmp_eq_u16_e32 vcc, 0, v3
	v_cndmask_b32_e32 v2, v2, v7, vcc
	v_cndmask_b32_e32 v3, v4, v6, vcc
	v_lshlrev_b32_e32 v4, 8, v9
	v_mov_b32_e32 v6, 0x3b800000
	v_lshlrev_b32_e32 v2, 20, v2
	v_and_b32_e32 v4, 0x80000000, v4
	v_lshl_add_u32 v3, v3, 23, v6
	v_or3_b32 v2, v4, v3, v2
.LBB10_500:
	s_or_b64 exec, exec, s[6:7]
	s_movk_i32 s4, 0xff
	v_and_b32_sdwa v3, v5, s4 dst_sel:DWORD dst_unused:UNUSED_PAD src0_sel:WORD_1 src1_sel:DWORD
	s_movk_i32 s4, 0x7f
	v_cmp_lt_i16_e32 vcc, s4, v3
	s_mov_b64 s[4:5], 0
                                        ; implicit-def: $sgpr10
	s_and_saveexec_b64 s[6:7], vcc
	s_xor_b64 s[6:7], exec, s[6:7]
	s_cbranch_execnz .LBB10_2549
; %bb.501:
	s_or_saveexec_b64 s[6:7], s[6:7]
	v_mov_b32_e32 v4, s10
	s_xor_b64 exec, exec, s[6:7]
	s_cbranch_execnz .LBB10_2552
.LBB10_502:
	s_or_b64 exec, exec, s[6:7]
	s_and_saveexec_b64 s[6:7], s[4:5]
	s_cbranch_execz .LBB10_504
.LBB10_503:
	v_bfe_u32 v3, v5, 16, 3
	v_ffbh_u32_e32 v7, v3
	v_min_u32_e32 v7, 32, v7
	v_lshrrev_b32_e32 v4, 19, v5
	v_subrev_u32_e32 v8, 28, v7
	v_and_b32_e32 v4, 15, v4
	v_lshlrev_b32_sdwa v8, v8, v5 dst_sel:DWORD dst_unused:UNUSED_PAD src0_sel:DWORD src1_sel:WORD_1
	v_bfe_u32 v6, v5, 19, 4
	v_sub_u32_e32 v7, 29, v7
	v_and_b32_e32 v8, 7, v8
	v_cmp_eq_u16_e32 vcc, 0, v4
	v_cndmask_b32_e32 v3, v3, v8, vcc
	v_cndmask_b32_e32 v4, v6, v7, vcc
	v_lshlrev_b32_e32 v6, 8, v5
	v_mov_b32_e32 v7, 0x3b800000
	v_lshlrev_b32_e32 v3, 20, v3
	v_and_b32_e32 v6, 0x80000000, v6
	v_lshl_add_u32 v4, v4, 23, v7
	v_or3_b32 v4, v6, v4, v3
.LBB10_504:
	s_or_b64 exec, exec, s[6:7]
	s_nop 0
	v_mfma_f32_16x16x4f32 a[0:3], v2, v4, a[0:3]
	s_movk_i32 s4, 0x7f
	v_cmp_gt_i16_sdwa s[6:7], v9, s4 src0_sel:BYTE_3 src1_sel:DWORD
	s_mov_b64 s[4:5], 0
                                        ; implicit-def: $sgpr10
	s_and_saveexec_b64 s[8:9], s[6:7]
	s_xor_b64 s[6:7], exec, s[8:9]
	s_cbranch_execnz .LBB10_2553
; %bb.505:
	s_or_saveexec_b64 s[6:7], s[6:7]
	v_mov_b32_e32 v2, s10
	s_xor_b64 exec, exec, s[6:7]
	s_cbranch_execnz .LBB10_2556
.LBB10_506:
	s_or_b64 exec, exec, s[6:7]
	s_and_saveexec_b64 s[6:7], s[4:5]
	s_cbranch_execz .LBB10_508
.LBB10_507:
	v_bfe_u32 v2, v9, 24, 3
	v_ffbh_u32_e32 v7, v2
	v_min_u32_e32 v7, 32, v7
	v_lshrrev_b32_e32 v4, 27, v9
	v_subrev_u32_e32 v8, 28, v7
	v_and_b32_e32 v4, 15, v4
	v_lshlrev_b32_sdwa v8, v8, v9 dst_sel:DWORD dst_unused:UNUSED_PAD src0_sel:DWORD src1_sel:BYTE_3
	v_bfe_u32 v6, v9, 27, 4
	v_sub_u32_e32 v7, 29, v7
	v_and_b32_e32 v8, 7, v8
	v_cmp_eq_u16_e32 vcc, 0, v4
	v_cndmask_b32_e32 v2, v2, v8, vcc
	v_cndmask_b32_e32 v4, v6, v7, vcc
	v_mov_b32_e32 v6, 0x3b800000
	v_and_b32_e32 v3, 0x80000000, v9
	v_lshlrev_b32_e32 v2, 20, v2
	v_lshl_add_u32 v4, v4, 23, v6
	v_or3_b32 v2, v3, v4, v2
.LBB10_508:
	s_or_b64 exec, exec, s[6:7]
	s_movk_i32 s4, 0x7f
	v_cmp_gt_i16_sdwa s[6:7], v5, s4 src0_sel:BYTE_3 src1_sel:DWORD
	s_mov_b64 s[4:5], 0
                                        ; implicit-def: $sgpr10
	s_and_saveexec_b64 s[8:9], s[6:7]
	s_xor_b64 s[6:7], exec, s[8:9]
	s_cbranch_execnz .LBB10_2557
; %bb.509:
	s_or_saveexec_b64 s[6:7], s[6:7]
	v_mov_b32_e32 v3, s10
	s_xor_b64 exec, exec, s[6:7]
	s_cbranch_execnz .LBB10_2560
.LBB10_510:
	s_or_b64 exec, exec, s[6:7]
	s_and_saveexec_b64 s[6:7], s[4:5]
	s_cbranch_execz .LBB10_512
.LBB10_511:
	v_bfe_u32 v3, v5, 24, 3
	v_ffbh_u32_e32 v8, v3
	v_min_u32_e32 v8, 32, v8
	v_lshrrev_b32_e32 v6, 27, v5
	v_subrev_u32_e32 v9, 28, v8
	v_and_b32_e32 v4, 0x80000000, v5
	v_and_b32_e32 v6, 15, v6
	v_bfe_u32 v7, v5, 27, 4
	v_lshlrev_b32_sdwa v5, v9, v5 dst_sel:DWORD dst_unused:UNUSED_PAD src0_sel:DWORD src1_sel:BYTE_3
	v_sub_u32_e32 v8, 29, v8
	v_and_b32_e32 v5, 7, v5
	v_cmp_eq_u16_e32 vcc, 0, v6
	v_cndmask_b32_e32 v3, v3, v5, vcc
	v_cndmask_b32_e32 v5, v7, v8, vcc
	v_mov_b32_e32 v6, 0x3b800000
	v_lshlrev_b32_e32 v3, 20, v3
	v_lshl_add_u32 v5, v5, 23, v6
	v_or3_b32 v3, v4, v5, v3
.LBB10_512:
	s_or_b64 exec, exec, s[6:7]
	s_nop 0
	v_mfma_f32_16x16x4f32 a[0:3], v2, v3, a[0:3]
	s_movk_i32 s4, 0x7f
                                        ; implicit-def: $sgpr10
	s_nop 7
	s_nop 1
	flat_store_dwordx4 v[18:19], a[0:3] offset:16
	flat_load_dwordx4 v[20:23], v[0:1] offset:16
	s_nop 0
	flat_load_dwordx2 v[18:19], v[0:1] offset:32
	s_waitcnt vmcnt(0) lgkmcnt(0)
	flat_load_dwordx4 v[14:17], v[20:21]
	flat_load_dwordx4 v[6:9], v[20:21] offset:16
	flat_load_dwordx4 v[10:13], v[22:23] offset:320
	flat_load_dwordx4 v[2:5], v[22:23] offset:336
	s_waitcnt vmcnt(0) lgkmcnt(0)
	v_cmp_gt_i16_sdwa s[6:7], v14, s4 src0_sel:BYTE_0 src1_sel:DWORD
	s_mov_b64 s[4:5], 0
	s_and_saveexec_b64 s[8:9], s[6:7]
	s_xor_b64 s[6:7], exec, s[8:9]
	s_cbranch_execnz .LBB10_2561
; %bb.513:
	s_or_saveexec_b64 s[6:7], s[6:7]
	v_mov_b32_e32 v20, s10
	s_xor_b64 exec, exec, s[6:7]
	s_cbranch_execnz .LBB10_2564
.LBB10_514:
	s_or_b64 exec, exec, s[6:7]
	s_and_saveexec_b64 s[6:7], s[4:5]
	s_cbranch_execz .LBB10_516
.LBB10_515:
	v_and_b32_e32 v20, 7, v14
	v_ffbh_u32_e32 v22, v20
	v_min_u32_e32 v22, 32, v22
	v_lshrrev_b16_e32 v21, 3, v14
	v_subrev_u32_e32 v23, 28, v22
	v_and_b32_e32 v21, 15, v21
	v_lshlrev_b32_e32 v23, v23, v14
	v_sub_u32_e32 v22, 29, v22
	v_and_b32_e32 v23, 7, v23
	v_cmp_eq_u16_e32 vcc, 0, v21
	v_cndmask_b32_e32 v20, v20, v23, vcc
	v_cndmask_b32_e32 v21, v21, v22, vcc
	v_lshlrev_b32_e32 v22, 24, v14
	v_mov_b32_e32 v23, 0x3b800000
	v_lshlrev_b32_e32 v20, 20, v20
	v_and_b32_e32 v22, 0x80000000, v22
	v_lshl_add_u32 v21, v21, 23, v23
	v_or3_b32 v20, v22, v21, v20
.LBB10_516:
	s_or_b64 exec, exec, s[6:7]
	s_movk_i32 s4, 0x7f
	v_cmp_gt_i16_sdwa s[6:7], v10, s4 src0_sel:BYTE_0 src1_sel:DWORD
	s_mov_b64 s[4:5], 0
                                        ; implicit-def: $sgpr10
	s_and_saveexec_b64 s[8:9], s[6:7]
	s_xor_b64 s[6:7], exec, s[8:9]
	s_cbranch_execnz .LBB10_2565
; %bb.517:
	s_or_saveexec_b64 s[6:7], s[6:7]
	v_mov_b32_e32 v21, s10
	s_xor_b64 exec, exec, s[6:7]
	s_cbranch_execnz .LBB10_2568
.LBB10_518:
	s_or_b64 exec, exec, s[6:7]
	s_and_saveexec_b64 s[6:7], s[4:5]
	s_cbranch_execz .LBB10_520
.LBB10_519:
	v_and_b32_e32 v21, 7, v10
	v_ffbh_u32_e32 v23, v21
	v_min_u32_e32 v23, 32, v23
	v_lshrrev_b16_e32 v22, 3, v10
	v_subrev_u32_e32 v24, 28, v23
	v_and_b32_e32 v22, 15, v22
	v_lshlrev_b32_e32 v24, v24, v10
	v_sub_u32_e32 v23, 29, v23
	v_and_b32_e32 v24, 7, v24
	v_cmp_eq_u16_e32 vcc, 0, v22
	v_cndmask_b32_e32 v21, v21, v24, vcc
	v_cndmask_b32_e32 v22, v22, v23, vcc
	v_lshlrev_b32_e32 v23, 24, v10
	v_mov_b32_e32 v24, 0x3b800000
	v_lshlrev_b32_e32 v21, 20, v21
	v_and_b32_e32 v23, 0x80000000, v23
	v_lshl_add_u32 v22, v22, 23, v24
	v_or3_b32 v21, v23, v22, v21
.LBB10_520:
	s_or_b64 exec, exec, s[6:7]
	flat_load_dwordx4 a[0:3], v[18:19] offset:32
	s_movk_i32 s4, 0x7f
                                        ; implicit-def: $sgpr10
	s_waitcnt vmcnt(0) lgkmcnt(0)
	v_mfma_f32_16x16x4f32 a[0:3], v20, v21, a[0:3]
	v_lshrrev_b32_e32 v21, 8, v14
	v_cmp_gt_i16_sdwa s[6:7], v21, s4 src0_sel:BYTE_0 src1_sel:DWORD
	s_mov_b64 s[4:5], 0
	s_and_saveexec_b64 s[8:9], s[6:7]
	s_xor_b64 s[6:7], exec, s[8:9]
	s_cbranch_execnz .LBB10_2569
; %bb.521:
	s_or_saveexec_b64 s[6:7], s[6:7]
	v_mov_b32_e32 v20, s10
	s_xor_b64 exec, exec, s[6:7]
	s_cbranch_execnz .LBB10_2572
.LBB10_522:
	s_or_b64 exec, exec, s[6:7]
	s_and_saveexec_b64 s[6:7], s[4:5]
	s_cbranch_execz .LBB10_524
.LBB10_523:
	v_bfe_u32 v20, v14, 8, 3
	v_ffbh_u32_e32 v23, v20
	v_min_u32_e32 v23, 32, v23
	v_lshrrev_b16_e32 v22, 3, v21
	v_subrev_u32_e32 v24, 28, v23
	v_and_b32_e32 v22, 15, v22
	v_lshlrev_b32_e32 v21, v24, v21
	v_sub_u32_e32 v23, 29, v23
	v_and_b32_e32 v21, 7, v21
	v_cmp_eq_u16_e32 vcc, 0, v22
	v_cndmask_b32_e32 v20, v20, v21, vcc
	v_cndmask_b32_e32 v21, v22, v23, vcc
	v_lshlrev_b32_e32 v22, 16, v14
	v_mov_b32_e32 v23, 0x3b800000
	v_lshlrev_b32_e32 v20, 20, v20
	v_and_b32_e32 v22, 0x80000000, v22
	v_lshl_add_u32 v21, v21, 23, v23
	v_or3_b32 v20, v22, v21, v20
.LBB10_524:
	s_or_b64 exec, exec, s[6:7]
	v_lshrrev_b32_e32 v21, 8, v10
	s_movk_i32 s4, 0x7f
	v_cmp_gt_i16_sdwa s[6:7], v21, s4 src0_sel:BYTE_0 src1_sel:DWORD
	s_mov_b64 s[4:5], 0
                                        ; implicit-def: $sgpr10
	s_and_saveexec_b64 s[8:9], s[6:7]
	s_xor_b64 s[6:7], exec, s[8:9]
	s_cbranch_execnz .LBB10_2573
; %bb.525:
	s_or_saveexec_b64 s[6:7], s[6:7]
	v_mov_b32_e32 v22, s10
	s_xor_b64 exec, exec, s[6:7]
	s_cbranch_execnz .LBB10_2576
.LBB10_526:
	s_or_b64 exec, exec, s[6:7]
	s_and_saveexec_b64 s[6:7], s[4:5]
	s_cbranch_execz .LBB10_528
.LBB10_527:
	v_bfe_u32 v22, v10, 8, 3
	v_ffbh_u32_e32 v24, v22
	v_min_u32_e32 v24, 32, v24
	v_lshrrev_b16_e32 v23, 3, v21
	v_subrev_u32_e32 v25, 28, v24
	v_and_b32_e32 v23, 15, v23
	v_lshlrev_b32_e32 v21, v25, v21
	v_sub_u32_e32 v24, 29, v24
	v_and_b32_e32 v21, 7, v21
	v_cmp_eq_u16_e32 vcc, 0, v23
	v_cndmask_b32_e32 v21, v22, v21, vcc
	v_cndmask_b32_e32 v22, v23, v24, vcc
	v_lshlrev_b32_e32 v23, 16, v10
	v_mov_b32_e32 v24, 0x3b800000
	v_lshlrev_b32_e32 v21, 20, v21
	v_and_b32_e32 v23, 0x80000000, v23
	v_lshl_add_u32 v22, v22, 23, v24
	v_or3_b32 v22, v23, v22, v21
.LBB10_528:
	s_or_b64 exec, exec, s[6:7]
	s_nop 0
	v_mfma_f32_16x16x4f32 a[0:3], v20, v22, a[0:3]
	s_movk_i32 s4, 0xff
	v_and_b32_sdwa v21, v14, s4 dst_sel:DWORD dst_unused:UNUSED_PAD src0_sel:WORD_1 src1_sel:DWORD
	s_movk_i32 s4, 0x7f
	v_cmp_lt_i16_e32 vcc, s4, v21
	s_mov_b64 s[4:5], 0
                                        ; implicit-def: $sgpr10
	s_and_saveexec_b64 s[6:7], vcc
	s_xor_b64 s[6:7], exec, s[6:7]
	s_cbranch_execnz .LBB10_2577
; %bb.529:
	s_or_saveexec_b64 s[6:7], s[6:7]
	v_mov_b32_e32 v20, s10
	s_xor_b64 exec, exec, s[6:7]
	s_cbranch_execnz .LBB10_2580
.LBB10_530:
	s_or_b64 exec, exec, s[6:7]
	s_and_saveexec_b64 s[6:7], s[4:5]
	s_cbranch_execz .LBB10_532
.LBB10_531:
	v_bfe_u32 v20, v14, 16, 3
	v_ffbh_u32_e32 v23, v20
	v_min_u32_e32 v23, 32, v23
	v_lshrrev_b32_e32 v21, 19, v14
	v_subrev_u32_e32 v24, 28, v23
	v_and_b32_e32 v21, 15, v21
	v_lshlrev_b32_sdwa v24, v24, v14 dst_sel:DWORD dst_unused:UNUSED_PAD src0_sel:DWORD src1_sel:WORD_1
	v_bfe_u32 v22, v14, 19, 4
	v_sub_u32_e32 v23, 29, v23
	v_and_b32_e32 v24, 7, v24
	v_cmp_eq_u16_e32 vcc, 0, v21
	v_cndmask_b32_e32 v20, v20, v24, vcc
	v_cndmask_b32_e32 v21, v22, v23, vcc
	v_lshlrev_b32_e32 v22, 8, v14
	v_mov_b32_e32 v23, 0x3b800000
	v_lshlrev_b32_e32 v20, 20, v20
	v_and_b32_e32 v22, 0x80000000, v22
	v_lshl_add_u32 v21, v21, 23, v23
	v_or3_b32 v20, v22, v21, v20
.LBB10_532:
	s_or_b64 exec, exec, s[6:7]
	s_movk_i32 s4, 0xff
	v_and_b32_sdwa v21, v10, s4 dst_sel:DWORD dst_unused:UNUSED_PAD src0_sel:WORD_1 src1_sel:DWORD
	s_movk_i32 s4, 0x7f
	v_cmp_lt_i16_e32 vcc, s4, v21
	s_mov_b64 s[4:5], 0
                                        ; implicit-def: $sgpr10
	s_and_saveexec_b64 s[6:7], vcc
	s_xor_b64 s[6:7], exec, s[6:7]
	s_cbranch_execnz .LBB10_2581
; %bb.533:
	s_or_saveexec_b64 s[6:7], s[6:7]
	v_mov_b32_e32 v22, s10
	s_xor_b64 exec, exec, s[6:7]
	s_cbranch_execnz .LBB10_2584
.LBB10_534:
	s_or_b64 exec, exec, s[6:7]
	s_and_saveexec_b64 s[6:7], s[4:5]
	s_cbranch_execz .LBB10_536
.LBB10_535:
	v_bfe_u32 v21, v10, 16, 3
	v_ffbh_u32_e32 v24, v21
	v_min_u32_e32 v24, 32, v24
	v_lshrrev_b32_e32 v22, 19, v10
	v_subrev_u32_e32 v25, 28, v24
	v_and_b32_e32 v22, 15, v22
	v_lshlrev_b32_sdwa v25, v25, v10 dst_sel:DWORD dst_unused:UNUSED_PAD src0_sel:DWORD src1_sel:WORD_1
	v_bfe_u32 v23, v10, 19, 4
	v_sub_u32_e32 v24, 29, v24
	v_and_b32_e32 v25, 7, v25
	v_cmp_eq_u16_e32 vcc, 0, v22
	v_cndmask_b32_e32 v21, v21, v25, vcc
	v_cndmask_b32_e32 v22, v23, v24, vcc
	v_lshlrev_b32_e32 v23, 8, v10
	v_mov_b32_e32 v24, 0x3b800000
	v_lshlrev_b32_e32 v21, 20, v21
	v_and_b32_e32 v23, 0x80000000, v23
	v_lshl_add_u32 v22, v22, 23, v24
	v_or3_b32 v22, v23, v22, v21
.LBB10_536:
	s_or_b64 exec, exec, s[6:7]
	s_nop 0
	v_mfma_f32_16x16x4f32 a[0:3], v20, v22, a[0:3]
	s_movk_i32 s4, 0x7f
	v_cmp_gt_i16_sdwa s[6:7], v14, s4 src0_sel:BYTE_3 src1_sel:DWORD
	s_mov_b64 s[4:5], 0
                                        ; implicit-def: $sgpr10
	s_and_saveexec_b64 s[8:9], s[6:7]
	s_xor_b64 s[6:7], exec, s[8:9]
	s_cbranch_execnz .LBB10_2585
; %bb.537:
	s_or_saveexec_b64 s[6:7], s[6:7]
	v_mov_b32_e32 v20, s10
	s_xor_b64 exec, exec, s[6:7]
	s_cbranch_execnz .LBB10_2588
.LBB10_538:
	s_or_b64 exec, exec, s[6:7]
	s_and_saveexec_b64 s[6:7], s[4:5]
	s_cbranch_execz .LBB10_540
.LBB10_539:
	v_bfe_u32 v20, v14, 24, 3
	v_ffbh_u32_e32 v24, v20
	v_min_u32_e32 v24, 32, v24
	v_lshrrev_b32_e32 v22, 27, v14
	v_subrev_u32_e32 v25, 28, v24
	v_and_b32_e32 v21, 0x80000000, v14
	v_and_b32_e32 v22, 15, v22
	v_bfe_u32 v23, v14, 27, 4
	v_lshlrev_b32_sdwa v14, v25, v14 dst_sel:DWORD dst_unused:UNUSED_PAD src0_sel:DWORD src1_sel:BYTE_3
	v_sub_u32_e32 v24, 29, v24
	v_and_b32_e32 v14, 7, v14
	v_cmp_eq_u16_e32 vcc, 0, v22
	v_cndmask_b32_e32 v14, v20, v14, vcc
	v_cndmask_b32_e32 v20, v23, v24, vcc
	v_mov_b32_e32 v22, 0x3b800000
	v_lshlrev_b32_e32 v14, 20, v14
	v_lshl_add_u32 v20, v20, 23, v22
	v_or3_b32 v20, v21, v20, v14
.LBB10_540:
	s_or_b64 exec, exec, s[6:7]
	s_movk_i32 s4, 0x7f
	v_cmp_gt_i16_sdwa s[6:7], v10, s4 src0_sel:BYTE_3 src1_sel:DWORD
	s_mov_b64 s[4:5], 0
                                        ; implicit-def: $sgpr10
	s_and_saveexec_b64 s[8:9], s[6:7]
	s_xor_b64 s[6:7], exec, s[8:9]
	s_cbranch_execnz .LBB10_2589
; %bb.541:
	s_or_saveexec_b64 s[6:7], s[6:7]
	v_mov_b32_e32 v14, s10
	s_xor_b64 exec, exec, s[6:7]
	s_cbranch_execnz .LBB10_2592
.LBB10_542:
	s_or_b64 exec, exec, s[6:7]
	s_and_saveexec_b64 s[6:7], s[4:5]
	s_cbranch_execz .LBB10_544
.LBB10_543:
	v_bfe_u32 v14, v10, 24, 3
	v_ffbh_u32_e32 v24, v14
	v_min_u32_e32 v24, 32, v24
	v_lshrrev_b32_e32 v22, 27, v10
	v_subrev_u32_e32 v25, 28, v24
	v_and_b32_e32 v21, 0x80000000, v10
	v_and_b32_e32 v22, 15, v22
	v_bfe_u32 v23, v10, 27, 4
	v_lshlrev_b32_sdwa v10, v25, v10 dst_sel:DWORD dst_unused:UNUSED_PAD src0_sel:DWORD src1_sel:BYTE_3
	v_sub_u32_e32 v24, 29, v24
	v_and_b32_e32 v10, 7, v10
	v_cmp_eq_u16_e32 vcc, 0, v22
	v_cndmask_b32_e32 v10, v14, v10, vcc
	v_cndmask_b32_e32 v14, v23, v24, vcc
	v_mov_b32_e32 v22, 0x3b800000
	v_lshlrev_b32_e32 v10, 20, v10
	v_lshl_add_u32 v14, v14, 23, v22
	v_or3_b32 v14, v21, v14, v10
.LBB10_544:
	s_or_b64 exec, exec, s[6:7]
	s_nop 0
	v_mfma_f32_16x16x4f32 a[0:3], v20, v14, a[0:3]
	s_movk_i32 s4, 0x7f
	v_cmp_gt_i16_sdwa s[6:7], v15, s4 src0_sel:BYTE_0 src1_sel:DWORD
	s_mov_b64 s[4:5], 0
                                        ; implicit-def: $sgpr10
	s_and_saveexec_b64 s[8:9], s[6:7]
	s_xor_b64 s[6:7], exec, s[8:9]
	s_cbranch_execnz .LBB10_2593
; %bb.545:
	s_or_saveexec_b64 s[6:7], s[6:7]
	v_mov_b32_e32 v10, s10
	s_xor_b64 exec, exec, s[6:7]
	s_cbranch_execnz .LBB10_2596
.LBB10_546:
	s_or_b64 exec, exec, s[6:7]
	s_and_saveexec_b64 s[6:7], s[4:5]
	s_cbranch_execz .LBB10_548
.LBB10_547:
	v_and_b32_e32 v10, 7, v15
	v_ffbh_u32_e32 v20, v10
	v_min_u32_e32 v20, 32, v20
	v_lshrrev_b16_e32 v14, 3, v15
	v_subrev_u32_e32 v21, 28, v20
	v_and_b32_e32 v14, 15, v14
	v_lshlrev_b32_e32 v21, v21, v15
	v_sub_u32_e32 v20, 29, v20
	v_and_b32_e32 v21, 7, v21
	v_cmp_eq_u16_e32 vcc, 0, v14
	v_cndmask_b32_e32 v10, v10, v21, vcc
	v_cndmask_b32_e32 v14, v14, v20, vcc
	v_lshlrev_b32_e32 v20, 24, v15
	v_mov_b32_e32 v21, 0x3b800000
	v_lshlrev_b32_e32 v10, 20, v10
	v_and_b32_e32 v20, 0x80000000, v20
	v_lshl_add_u32 v14, v14, 23, v21
	v_or3_b32 v10, v20, v14, v10
.LBB10_548:
	s_or_b64 exec, exec, s[6:7]
	s_movk_i32 s4, 0x7f
	v_cmp_gt_i16_sdwa s[6:7], v11, s4 src0_sel:BYTE_0 src1_sel:DWORD
	s_mov_b64 s[4:5], 0
                                        ; implicit-def: $sgpr10
	s_and_saveexec_b64 s[8:9], s[6:7]
	s_xor_b64 s[6:7], exec, s[8:9]
	s_cbranch_execnz .LBB10_2597
; %bb.549:
	s_or_saveexec_b64 s[6:7], s[6:7]
	v_mov_b32_e32 v14, s10
	s_xor_b64 exec, exec, s[6:7]
	s_cbranch_execnz .LBB10_2600
.LBB10_550:
	s_or_b64 exec, exec, s[6:7]
	s_and_saveexec_b64 s[6:7], s[4:5]
	s_cbranch_execz .LBB10_552
.LBB10_551:
	v_and_b32_e32 v14, 7, v11
	v_ffbh_u32_e32 v21, v14
	v_min_u32_e32 v21, 32, v21
	v_lshrrev_b16_e32 v20, 3, v11
	v_subrev_u32_e32 v22, 28, v21
	v_and_b32_e32 v20, 15, v20
	v_lshlrev_b32_e32 v22, v22, v11
	v_sub_u32_e32 v21, 29, v21
	v_and_b32_e32 v22, 7, v22
	v_cmp_eq_u16_e32 vcc, 0, v20
	v_cndmask_b32_e32 v14, v14, v22, vcc
	v_cndmask_b32_e32 v20, v20, v21, vcc
	v_lshlrev_b32_e32 v21, 24, v11
	v_mov_b32_e32 v22, 0x3b800000
	v_lshlrev_b32_e32 v14, 20, v14
	v_and_b32_e32 v21, 0x80000000, v21
	v_lshl_add_u32 v20, v20, 23, v22
	v_or3_b32 v14, v21, v20, v14
.LBB10_552:
	s_or_b64 exec, exec, s[6:7]
	s_nop 0
	v_mfma_f32_16x16x4f32 a[0:3], v10, v14, a[0:3]
	v_lshrrev_b32_e32 v14, 8, v15
	s_movk_i32 s4, 0x7f
	v_cmp_gt_i16_sdwa s[6:7], v14, s4 src0_sel:BYTE_0 src1_sel:DWORD
	s_mov_b64 s[4:5], 0
                                        ; implicit-def: $sgpr10
	s_and_saveexec_b64 s[8:9], s[6:7]
	s_xor_b64 s[6:7], exec, s[8:9]
	s_cbranch_execnz .LBB10_2601
; %bb.553:
	s_or_saveexec_b64 s[6:7], s[6:7]
	v_mov_b32_e32 v10, s10
	s_xor_b64 exec, exec, s[6:7]
	s_cbranch_execnz .LBB10_2604
.LBB10_554:
	s_or_b64 exec, exec, s[6:7]
	s_and_saveexec_b64 s[6:7], s[4:5]
	s_cbranch_execz .LBB10_556
.LBB10_555:
	v_bfe_u32 v10, v15, 8, 3
	v_ffbh_u32_e32 v21, v10
	v_min_u32_e32 v21, 32, v21
	v_lshrrev_b16_e32 v20, 3, v14
	v_subrev_u32_e32 v22, 28, v21
	v_and_b32_e32 v20, 15, v20
	v_lshlrev_b32_e32 v14, v22, v14
	v_sub_u32_e32 v21, 29, v21
	v_and_b32_e32 v14, 7, v14
	v_cmp_eq_u16_e32 vcc, 0, v20
	v_cndmask_b32_e32 v10, v10, v14, vcc
	v_cndmask_b32_e32 v14, v20, v21, vcc
	v_lshlrev_b32_e32 v20, 16, v15
	v_mov_b32_e32 v21, 0x3b800000
	v_lshlrev_b32_e32 v10, 20, v10
	v_and_b32_e32 v20, 0x80000000, v20
	v_lshl_add_u32 v14, v14, 23, v21
	v_or3_b32 v10, v20, v14, v10
.LBB10_556:
	s_or_b64 exec, exec, s[6:7]
	v_lshrrev_b32_e32 v14, 8, v11
	s_movk_i32 s4, 0x7f
	v_cmp_gt_i16_sdwa s[6:7], v14, s4 src0_sel:BYTE_0 src1_sel:DWORD
	s_mov_b64 s[4:5], 0
                                        ; implicit-def: $sgpr10
	s_and_saveexec_b64 s[8:9], s[6:7]
	s_xor_b64 s[6:7], exec, s[8:9]
	s_cbranch_execnz .LBB10_2605
; %bb.557:
	s_or_saveexec_b64 s[6:7], s[6:7]
	v_mov_b32_e32 v20, s10
	s_xor_b64 exec, exec, s[6:7]
	s_cbranch_execnz .LBB10_2608
.LBB10_558:
	s_or_b64 exec, exec, s[6:7]
	s_and_saveexec_b64 s[6:7], s[4:5]
	s_cbranch_execz .LBB10_560
.LBB10_559:
	v_bfe_u32 v20, v11, 8, 3
	v_ffbh_u32_e32 v22, v20
	v_min_u32_e32 v22, 32, v22
	v_lshrrev_b16_e32 v21, 3, v14
	v_subrev_u32_e32 v23, 28, v22
	v_and_b32_e32 v21, 15, v21
	v_lshlrev_b32_e32 v14, v23, v14
	v_sub_u32_e32 v22, 29, v22
	v_and_b32_e32 v14, 7, v14
	v_cmp_eq_u16_e32 vcc, 0, v21
	v_cndmask_b32_e32 v14, v20, v14, vcc
	v_cndmask_b32_e32 v20, v21, v22, vcc
	v_lshlrev_b32_e32 v21, 16, v11
	v_mov_b32_e32 v22, 0x3b800000
	v_lshlrev_b32_e32 v14, 20, v14
	v_and_b32_e32 v21, 0x80000000, v21
	v_lshl_add_u32 v20, v20, 23, v22
	v_or3_b32 v20, v21, v20, v14
.LBB10_560:
	s_or_b64 exec, exec, s[6:7]
	s_nop 0
	v_mfma_f32_16x16x4f32 a[0:3], v10, v20, a[0:3]
	s_movk_i32 s4, 0xff
	v_and_b32_sdwa v14, v15, s4 dst_sel:DWORD dst_unused:UNUSED_PAD src0_sel:WORD_1 src1_sel:DWORD
	s_movk_i32 s4, 0x7f
	v_cmp_lt_i16_e32 vcc, s4, v14
	s_mov_b64 s[4:5], 0
                                        ; implicit-def: $sgpr10
	s_and_saveexec_b64 s[6:7], vcc
	s_xor_b64 s[6:7], exec, s[6:7]
	s_cbranch_execnz .LBB10_2609
; %bb.561:
	s_or_saveexec_b64 s[6:7], s[6:7]
	v_mov_b32_e32 v10, s10
	s_xor_b64 exec, exec, s[6:7]
	s_cbranch_execnz .LBB10_2612
.LBB10_562:
	s_or_b64 exec, exec, s[6:7]
	s_and_saveexec_b64 s[6:7], s[4:5]
	s_cbranch_execz .LBB10_564
.LBB10_563:
	v_bfe_u32 v10, v15, 16, 3
	v_ffbh_u32_e32 v21, v10
	v_min_u32_e32 v21, 32, v21
	v_lshrrev_b32_e32 v14, 19, v15
	v_subrev_u32_e32 v22, 28, v21
	v_and_b32_e32 v14, 15, v14
	v_lshlrev_b32_sdwa v22, v22, v15 dst_sel:DWORD dst_unused:UNUSED_PAD src0_sel:DWORD src1_sel:WORD_1
	v_bfe_u32 v20, v15, 19, 4
	v_sub_u32_e32 v21, 29, v21
	v_and_b32_e32 v22, 7, v22
	v_cmp_eq_u16_e32 vcc, 0, v14
	v_cndmask_b32_e32 v10, v10, v22, vcc
	v_cndmask_b32_e32 v14, v20, v21, vcc
	v_lshlrev_b32_e32 v20, 8, v15
	v_mov_b32_e32 v21, 0x3b800000
	v_lshlrev_b32_e32 v10, 20, v10
	v_and_b32_e32 v20, 0x80000000, v20
	v_lshl_add_u32 v14, v14, 23, v21
	v_or3_b32 v10, v20, v14, v10
.LBB10_564:
	s_or_b64 exec, exec, s[6:7]
	s_movk_i32 s4, 0xff
	v_and_b32_sdwa v14, v11, s4 dst_sel:DWORD dst_unused:UNUSED_PAD src0_sel:WORD_1 src1_sel:DWORD
	s_movk_i32 s4, 0x7f
	v_cmp_lt_i16_e32 vcc, s4, v14
	s_mov_b64 s[4:5], 0
                                        ; implicit-def: $sgpr10
	s_and_saveexec_b64 s[6:7], vcc
	s_xor_b64 s[6:7], exec, s[6:7]
	s_cbranch_execnz .LBB10_2613
; %bb.565:
	s_or_saveexec_b64 s[6:7], s[6:7]
	v_mov_b32_e32 v20, s10
	s_xor_b64 exec, exec, s[6:7]
	s_cbranch_execnz .LBB10_2616
.LBB10_566:
	s_or_b64 exec, exec, s[6:7]
	s_and_saveexec_b64 s[6:7], s[4:5]
	s_cbranch_execz .LBB10_568
.LBB10_567:
	v_bfe_u32 v14, v11, 16, 3
	v_ffbh_u32_e32 v22, v14
	v_min_u32_e32 v22, 32, v22
	v_lshrrev_b32_e32 v20, 19, v11
	v_subrev_u32_e32 v23, 28, v22
	v_and_b32_e32 v20, 15, v20
	v_lshlrev_b32_sdwa v23, v23, v11 dst_sel:DWORD dst_unused:UNUSED_PAD src0_sel:DWORD src1_sel:WORD_1
	v_bfe_u32 v21, v11, 19, 4
	v_sub_u32_e32 v22, 29, v22
	v_and_b32_e32 v23, 7, v23
	v_cmp_eq_u16_e32 vcc, 0, v20
	v_cndmask_b32_e32 v14, v14, v23, vcc
	v_cndmask_b32_e32 v20, v21, v22, vcc
	v_lshlrev_b32_e32 v21, 8, v11
	v_mov_b32_e32 v22, 0x3b800000
	v_lshlrev_b32_e32 v14, 20, v14
	v_and_b32_e32 v21, 0x80000000, v21
	v_lshl_add_u32 v20, v20, 23, v22
	v_or3_b32 v20, v21, v20, v14
.LBB10_568:
	s_or_b64 exec, exec, s[6:7]
	s_nop 0
	v_mfma_f32_16x16x4f32 a[0:3], v10, v20, a[0:3]
	s_movk_i32 s4, 0x7f
	v_cmp_gt_i16_sdwa s[6:7], v15, s4 src0_sel:BYTE_3 src1_sel:DWORD
	s_mov_b64 s[4:5], 0
                                        ; implicit-def: $sgpr10
	s_and_saveexec_b64 s[8:9], s[6:7]
	s_xor_b64 s[6:7], exec, s[8:9]
	s_cbranch_execnz .LBB10_2617
; %bb.569:
	s_or_saveexec_b64 s[6:7], s[6:7]
	v_mov_b32_e32 v10, s10
	s_xor_b64 exec, exec, s[6:7]
	s_cbranch_execnz .LBB10_2620
.LBB10_570:
	s_or_b64 exec, exec, s[6:7]
	s_and_saveexec_b64 s[6:7], s[4:5]
	s_cbranch_execz .LBB10_572
.LBB10_571:
	v_bfe_u32 v10, v15, 24, 3
	v_ffbh_u32_e32 v22, v10
	v_min_u32_e32 v22, 32, v22
	v_lshrrev_b32_e32 v20, 27, v15
	v_subrev_u32_e32 v23, 28, v22
	v_and_b32_e32 v14, 0x80000000, v15
	v_and_b32_e32 v20, 15, v20
	v_bfe_u32 v21, v15, 27, 4
	v_lshlrev_b32_sdwa v15, v23, v15 dst_sel:DWORD dst_unused:UNUSED_PAD src0_sel:DWORD src1_sel:BYTE_3
	v_sub_u32_e32 v22, 29, v22
	v_and_b32_e32 v15, 7, v15
	v_cmp_eq_u16_e32 vcc, 0, v20
	v_cndmask_b32_e32 v10, v10, v15, vcc
	v_cndmask_b32_e32 v15, v21, v22, vcc
	v_mov_b32_e32 v20, 0x3b800000
	v_lshlrev_b32_e32 v10, 20, v10
	v_lshl_add_u32 v15, v15, 23, v20
	v_or3_b32 v10, v14, v15, v10
.LBB10_572:
	s_or_b64 exec, exec, s[6:7]
	s_movk_i32 s4, 0x7f
	v_cmp_gt_i16_sdwa s[6:7], v11, s4 src0_sel:BYTE_3 src1_sel:DWORD
	s_mov_b64 s[4:5], 0
                                        ; implicit-def: $sgpr10
	s_and_saveexec_b64 s[8:9], s[6:7]
	s_xor_b64 s[6:7], exec, s[8:9]
	s_cbranch_execnz .LBB10_2621
; %bb.573:
	s_or_saveexec_b64 s[6:7], s[6:7]
	v_mov_b32_e32 v14, s10
	s_xor_b64 exec, exec, s[6:7]
	s_cbranch_execnz .LBB10_2624
.LBB10_574:
	s_or_b64 exec, exec, s[6:7]
	s_and_saveexec_b64 s[6:7], s[4:5]
	s_cbranch_execz .LBB10_576
.LBB10_575:
	v_bfe_u32 v14, v11, 24, 3
	v_ffbh_u32_e32 v22, v14
	v_min_u32_e32 v22, 32, v22
	v_lshrrev_b32_e32 v20, 27, v11
	v_subrev_u32_e32 v23, 28, v22
	v_and_b32_e32 v15, 0x80000000, v11
	v_and_b32_e32 v20, 15, v20
	v_bfe_u32 v21, v11, 27, 4
	v_lshlrev_b32_sdwa v11, v23, v11 dst_sel:DWORD dst_unused:UNUSED_PAD src0_sel:DWORD src1_sel:BYTE_3
	v_sub_u32_e32 v22, 29, v22
	v_and_b32_e32 v11, 7, v11
	v_cmp_eq_u16_e32 vcc, 0, v20
	v_cndmask_b32_e32 v11, v14, v11, vcc
	v_cndmask_b32_e32 v14, v21, v22, vcc
	v_mov_b32_e32 v20, 0x3b800000
	v_lshlrev_b32_e32 v11, 20, v11
	v_lshl_add_u32 v14, v14, 23, v20
	v_or3_b32 v14, v15, v14, v11
.LBB10_576:
	s_or_b64 exec, exec, s[6:7]
	s_nop 0
	v_mfma_f32_16x16x4f32 a[0:3], v10, v14, a[0:3]
	s_movk_i32 s4, 0x7f
	v_cmp_gt_i16_sdwa s[6:7], v16, s4 src0_sel:BYTE_0 src1_sel:DWORD
	s_mov_b64 s[4:5], 0
                                        ; implicit-def: $sgpr10
	s_and_saveexec_b64 s[8:9], s[6:7]
	s_xor_b64 s[6:7], exec, s[8:9]
	s_cbranch_execnz .LBB10_2625
; %bb.577:
	s_or_saveexec_b64 s[6:7], s[6:7]
	v_mov_b32_e32 v10, s10
	s_xor_b64 exec, exec, s[6:7]
	s_cbranch_execnz .LBB10_2628
.LBB10_578:
	s_or_b64 exec, exec, s[6:7]
	s_and_saveexec_b64 s[6:7], s[4:5]
	s_cbranch_execz .LBB10_580
.LBB10_579:
	v_and_b32_e32 v10, 7, v16
	v_ffbh_u32_e32 v14, v10
	v_min_u32_e32 v14, 32, v14
	v_lshrrev_b16_e32 v11, 3, v16
	v_subrev_u32_e32 v15, 28, v14
	v_and_b32_e32 v11, 15, v11
	v_lshlrev_b32_e32 v15, v15, v16
	v_sub_u32_e32 v14, 29, v14
	v_and_b32_e32 v15, 7, v15
	v_cmp_eq_u16_e32 vcc, 0, v11
	v_cndmask_b32_e32 v10, v10, v15, vcc
	v_cndmask_b32_e32 v11, v11, v14, vcc
	v_lshlrev_b32_e32 v14, 24, v16
	v_mov_b32_e32 v15, 0x3b800000
	v_lshlrev_b32_e32 v10, 20, v10
	v_and_b32_e32 v14, 0x80000000, v14
	v_lshl_add_u32 v11, v11, 23, v15
	v_or3_b32 v10, v14, v11, v10
.LBB10_580:
	s_or_b64 exec, exec, s[6:7]
	s_movk_i32 s4, 0x7f
	v_cmp_gt_i16_sdwa s[6:7], v12, s4 src0_sel:BYTE_0 src1_sel:DWORD
	s_mov_b64 s[4:5], 0
                                        ; implicit-def: $sgpr10
	s_and_saveexec_b64 s[8:9], s[6:7]
	s_xor_b64 s[6:7], exec, s[8:9]
	s_cbranch_execnz .LBB10_2629
; %bb.581:
	s_or_saveexec_b64 s[6:7], s[6:7]
	v_mov_b32_e32 v11, s10
	s_xor_b64 exec, exec, s[6:7]
	s_cbranch_execnz .LBB10_2632
.LBB10_582:
	s_or_b64 exec, exec, s[6:7]
	s_and_saveexec_b64 s[6:7], s[4:5]
	s_cbranch_execz .LBB10_584
.LBB10_583:
	v_and_b32_e32 v11, 7, v12
	v_ffbh_u32_e32 v15, v11
	v_min_u32_e32 v15, 32, v15
	v_lshrrev_b16_e32 v14, 3, v12
	v_subrev_u32_e32 v20, 28, v15
	v_and_b32_e32 v14, 15, v14
	v_lshlrev_b32_e32 v20, v20, v12
	v_sub_u32_e32 v15, 29, v15
	v_and_b32_e32 v20, 7, v20
	v_cmp_eq_u16_e32 vcc, 0, v14
	v_cndmask_b32_e32 v11, v11, v20, vcc
	v_cndmask_b32_e32 v14, v14, v15, vcc
	v_lshlrev_b32_e32 v15, 24, v12
	v_mov_b32_e32 v20, 0x3b800000
	v_lshlrev_b32_e32 v11, 20, v11
	v_and_b32_e32 v15, 0x80000000, v15
	v_lshl_add_u32 v14, v14, 23, v20
	v_or3_b32 v11, v15, v14, v11
.LBB10_584:
	s_or_b64 exec, exec, s[6:7]
	s_nop 0
	v_mfma_f32_16x16x4f32 a[0:3], v10, v11, a[0:3]
	v_lshrrev_b32_e32 v11, 8, v16
	s_movk_i32 s4, 0x7f
	v_cmp_gt_i16_sdwa s[6:7], v11, s4 src0_sel:BYTE_0 src1_sel:DWORD
	s_mov_b64 s[4:5], 0
                                        ; implicit-def: $sgpr10
	s_and_saveexec_b64 s[8:9], s[6:7]
	s_xor_b64 s[6:7], exec, s[8:9]
	s_cbranch_execnz .LBB10_2633
; %bb.585:
	s_or_saveexec_b64 s[6:7], s[6:7]
	v_mov_b32_e32 v10, s10
	s_xor_b64 exec, exec, s[6:7]
	s_cbranch_execnz .LBB10_2636
.LBB10_586:
	s_or_b64 exec, exec, s[6:7]
	s_and_saveexec_b64 s[6:7], s[4:5]
	s_cbranch_execz .LBB10_588
.LBB10_587:
	v_bfe_u32 v10, v16, 8, 3
	v_ffbh_u32_e32 v15, v10
	v_min_u32_e32 v15, 32, v15
	v_lshrrev_b16_e32 v14, 3, v11
	v_subrev_u32_e32 v20, 28, v15
	v_and_b32_e32 v14, 15, v14
	v_lshlrev_b32_e32 v11, v20, v11
	v_sub_u32_e32 v15, 29, v15
	v_and_b32_e32 v11, 7, v11
	v_cmp_eq_u16_e32 vcc, 0, v14
	v_cndmask_b32_e32 v10, v10, v11, vcc
	v_cndmask_b32_e32 v11, v14, v15, vcc
	v_lshlrev_b32_e32 v14, 16, v16
	v_mov_b32_e32 v15, 0x3b800000
	v_lshlrev_b32_e32 v10, 20, v10
	v_and_b32_e32 v14, 0x80000000, v14
	v_lshl_add_u32 v11, v11, 23, v15
	v_or3_b32 v10, v14, v11, v10
.LBB10_588:
	s_or_b64 exec, exec, s[6:7]
	v_lshrrev_b32_e32 v11, 8, v12
	s_movk_i32 s4, 0x7f
	v_cmp_gt_i16_sdwa s[6:7], v11, s4 src0_sel:BYTE_0 src1_sel:DWORD
	s_mov_b64 s[4:5], 0
                                        ; implicit-def: $sgpr10
	s_and_saveexec_b64 s[8:9], s[6:7]
	s_xor_b64 s[6:7], exec, s[8:9]
	s_cbranch_execnz .LBB10_2637
; %bb.589:
	s_or_saveexec_b64 s[6:7], s[6:7]
	v_mov_b32_e32 v14, s10
	s_xor_b64 exec, exec, s[6:7]
	s_cbranch_execnz .LBB10_2640
.LBB10_590:
	s_or_b64 exec, exec, s[6:7]
	s_and_saveexec_b64 s[6:7], s[4:5]
	s_cbranch_execz .LBB10_592
.LBB10_591:
	v_bfe_u32 v14, v12, 8, 3
	v_ffbh_u32_e32 v20, v14
	v_min_u32_e32 v20, 32, v20
	v_lshrrev_b16_e32 v15, 3, v11
	v_subrev_u32_e32 v21, 28, v20
	v_and_b32_e32 v15, 15, v15
	v_lshlrev_b32_e32 v11, v21, v11
	v_sub_u32_e32 v20, 29, v20
	v_and_b32_e32 v11, 7, v11
	v_cmp_eq_u16_e32 vcc, 0, v15
	v_cndmask_b32_e32 v11, v14, v11, vcc
	v_cndmask_b32_e32 v14, v15, v20, vcc
	v_lshlrev_b32_e32 v15, 16, v12
	v_mov_b32_e32 v20, 0x3b800000
	v_lshlrev_b32_e32 v11, 20, v11
	v_and_b32_e32 v15, 0x80000000, v15
	v_lshl_add_u32 v14, v14, 23, v20
	v_or3_b32 v14, v15, v14, v11
.LBB10_592:
	s_or_b64 exec, exec, s[6:7]
	s_nop 0
	v_mfma_f32_16x16x4f32 a[0:3], v10, v14, a[0:3]
	s_movk_i32 s4, 0xff
	v_and_b32_sdwa v11, v16, s4 dst_sel:DWORD dst_unused:UNUSED_PAD src0_sel:WORD_1 src1_sel:DWORD
	s_movk_i32 s4, 0x7f
	v_cmp_lt_i16_e32 vcc, s4, v11
	s_mov_b64 s[4:5], 0
                                        ; implicit-def: $sgpr10
	s_and_saveexec_b64 s[6:7], vcc
	s_xor_b64 s[6:7], exec, s[6:7]
	s_cbranch_execnz .LBB10_2641
; %bb.593:
	s_or_saveexec_b64 s[6:7], s[6:7]
	v_mov_b32_e32 v10, s10
	s_xor_b64 exec, exec, s[6:7]
	s_cbranch_execnz .LBB10_2644
.LBB10_594:
	s_or_b64 exec, exec, s[6:7]
	s_and_saveexec_b64 s[6:7], s[4:5]
	s_cbranch_execz .LBB10_596
.LBB10_595:
	v_bfe_u32 v10, v16, 16, 3
	v_ffbh_u32_e32 v15, v10
	v_min_u32_e32 v15, 32, v15
	v_lshrrev_b32_e32 v11, 19, v16
	v_subrev_u32_e32 v20, 28, v15
	v_and_b32_e32 v11, 15, v11
	v_lshlrev_b32_sdwa v20, v20, v16 dst_sel:DWORD dst_unused:UNUSED_PAD src0_sel:DWORD src1_sel:WORD_1
	v_bfe_u32 v14, v16, 19, 4
	v_sub_u32_e32 v15, 29, v15
	v_and_b32_e32 v20, 7, v20
	v_cmp_eq_u16_e32 vcc, 0, v11
	v_cndmask_b32_e32 v10, v10, v20, vcc
	v_cndmask_b32_e32 v11, v14, v15, vcc
	v_lshlrev_b32_e32 v14, 8, v16
	v_mov_b32_e32 v15, 0x3b800000
	v_lshlrev_b32_e32 v10, 20, v10
	v_and_b32_e32 v14, 0x80000000, v14
	v_lshl_add_u32 v11, v11, 23, v15
	v_or3_b32 v10, v14, v11, v10
.LBB10_596:
	s_or_b64 exec, exec, s[6:7]
	s_movk_i32 s4, 0xff
	v_and_b32_sdwa v11, v12, s4 dst_sel:DWORD dst_unused:UNUSED_PAD src0_sel:WORD_1 src1_sel:DWORD
	s_movk_i32 s4, 0x7f
	v_cmp_lt_i16_e32 vcc, s4, v11
	s_mov_b64 s[4:5], 0
                                        ; implicit-def: $sgpr10
	s_and_saveexec_b64 s[6:7], vcc
	s_xor_b64 s[6:7], exec, s[6:7]
	s_cbranch_execnz .LBB10_2645
; %bb.597:
	s_or_saveexec_b64 s[6:7], s[6:7]
	v_mov_b32_e32 v14, s10
	s_xor_b64 exec, exec, s[6:7]
	s_cbranch_execnz .LBB10_2648
.LBB10_598:
	s_or_b64 exec, exec, s[6:7]
	s_and_saveexec_b64 s[6:7], s[4:5]
	s_cbranch_execz .LBB10_600
.LBB10_599:
	v_bfe_u32 v11, v12, 16, 3
	v_ffbh_u32_e32 v20, v11
	v_min_u32_e32 v20, 32, v20
	v_lshrrev_b32_e32 v14, 19, v12
	v_subrev_u32_e32 v21, 28, v20
	v_and_b32_e32 v14, 15, v14
	v_lshlrev_b32_sdwa v21, v21, v12 dst_sel:DWORD dst_unused:UNUSED_PAD src0_sel:DWORD src1_sel:WORD_1
	v_bfe_u32 v15, v12, 19, 4
	v_sub_u32_e32 v20, 29, v20
	v_and_b32_e32 v21, 7, v21
	v_cmp_eq_u16_e32 vcc, 0, v14
	v_cndmask_b32_e32 v11, v11, v21, vcc
	v_cndmask_b32_e32 v14, v15, v20, vcc
	v_lshlrev_b32_e32 v15, 8, v12
	v_mov_b32_e32 v20, 0x3b800000
	v_lshlrev_b32_e32 v11, 20, v11
	v_and_b32_e32 v15, 0x80000000, v15
	v_lshl_add_u32 v14, v14, 23, v20
	v_or3_b32 v14, v15, v14, v11
.LBB10_600:
	s_or_b64 exec, exec, s[6:7]
	s_nop 0
	v_mfma_f32_16x16x4f32 a[0:3], v10, v14, a[0:3]
	s_movk_i32 s4, 0x7f
	v_cmp_gt_i16_sdwa s[6:7], v16, s4 src0_sel:BYTE_3 src1_sel:DWORD
	s_mov_b64 s[4:5], 0
                                        ; implicit-def: $sgpr10
	s_and_saveexec_b64 s[8:9], s[6:7]
	s_xor_b64 s[6:7], exec, s[8:9]
	s_cbranch_execnz .LBB10_2649
; %bb.601:
	s_or_saveexec_b64 s[6:7], s[6:7]
	v_mov_b32_e32 v10, s10
	s_xor_b64 exec, exec, s[6:7]
	s_cbranch_execnz .LBB10_2652
.LBB10_602:
	s_or_b64 exec, exec, s[6:7]
	s_and_saveexec_b64 s[6:7], s[4:5]
	s_cbranch_execz .LBB10_604
.LBB10_603:
	v_bfe_u32 v10, v16, 24, 3
	v_ffbh_u32_e32 v20, v10
	v_min_u32_e32 v20, 32, v20
	v_lshrrev_b32_e32 v14, 27, v16
	v_subrev_u32_e32 v21, 28, v20
	v_and_b32_e32 v11, 0x80000000, v16
	v_and_b32_e32 v14, 15, v14
	v_bfe_u32 v15, v16, 27, 4
	v_lshlrev_b32_sdwa v16, v21, v16 dst_sel:DWORD dst_unused:UNUSED_PAD src0_sel:DWORD src1_sel:BYTE_3
	v_sub_u32_e32 v20, 29, v20
	v_and_b32_e32 v16, 7, v16
	v_cmp_eq_u16_e32 vcc, 0, v14
	v_cndmask_b32_e32 v10, v10, v16, vcc
	v_cndmask_b32_e32 v14, v15, v20, vcc
	v_mov_b32_e32 v15, 0x3b800000
	v_lshlrev_b32_e32 v10, 20, v10
	v_lshl_add_u32 v14, v14, 23, v15
	v_or3_b32 v10, v11, v14, v10
.LBB10_604:
	s_or_b64 exec, exec, s[6:7]
	s_movk_i32 s4, 0x7f
	v_cmp_gt_i16_sdwa s[6:7], v12, s4 src0_sel:BYTE_3 src1_sel:DWORD
	s_mov_b64 s[4:5], 0
                                        ; implicit-def: $sgpr10
	s_and_saveexec_b64 s[8:9], s[6:7]
	s_xor_b64 s[6:7], exec, s[8:9]
	s_cbranch_execnz .LBB10_2653
; %bb.605:
	s_or_saveexec_b64 s[6:7], s[6:7]
	v_mov_b32_e32 v11, s10
	s_xor_b64 exec, exec, s[6:7]
	s_cbranch_execnz .LBB10_2656
.LBB10_606:
	s_or_b64 exec, exec, s[6:7]
	s_and_saveexec_b64 s[6:7], s[4:5]
	s_cbranch_execz .LBB10_608
.LBB10_607:
	v_bfe_u32 v11, v12, 24, 3
	v_ffbh_u32_e32 v20, v11
	v_min_u32_e32 v20, 32, v20
	v_lshrrev_b32_e32 v15, 27, v12
	v_subrev_u32_e32 v21, 28, v20
	v_and_b32_e32 v14, 0x80000000, v12
	v_and_b32_e32 v15, 15, v15
	v_bfe_u32 v16, v12, 27, 4
	v_lshlrev_b32_sdwa v12, v21, v12 dst_sel:DWORD dst_unused:UNUSED_PAD src0_sel:DWORD src1_sel:BYTE_3
	v_sub_u32_e32 v20, 29, v20
	v_and_b32_e32 v12, 7, v12
	v_cmp_eq_u16_e32 vcc, 0, v15
	v_cndmask_b32_e32 v11, v11, v12, vcc
	v_cndmask_b32_e32 v12, v16, v20, vcc
	v_mov_b32_e32 v15, 0x3b800000
	v_lshlrev_b32_e32 v11, 20, v11
	v_lshl_add_u32 v12, v12, 23, v15
	v_or3_b32 v11, v14, v12, v11
.LBB10_608:
	s_or_b64 exec, exec, s[6:7]
	s_nop 0
	v_mfma_f32_16x16x4f32 a[0:3], v10, v11, a[0:3]
	s_movk_i32 s4, 0x7f
	v_cmp_gt_i16_sdwa s[6:7], v17, s4 src0_sel:BYTE_0 src1_sel:DWORD
	s_mov_b64 s[4:5], 0
                                        ; implicit-def: $sgpr10
	s_and_saveexec_b64 s[8:9], s[6:7]
	s_xor_b64 s[6:7], exec, s[8:9]
	s_cbranch_execnz .LBB10_2657
; %bb.609:
	s_or_saveexec_b64 s[6:7], s[6:7]
	v_mov_b32_e32 v10, s10
	s_xor_b64 exec, exec, s[6:7]
	s_cbranch_execnz .LBB10_2660
.LBB10_610:
	s_or_b64 exec, exec, s[6:7]
	s_and_saveexec_b64 s[6:7], s[4:5]
	s_cbranch_execz .LBB10_612
.LBB10_611:
	v_and_b32_e32 v10, 7, v17
	v_ffbh_u32_e32 v12, v10
	v_min_u32_e32 v12, 32, v12
	v_lshrrev_b16_e32 v11, 3, v17
	v_subrev_u32_e32 v14, 28, v12
	v_and_b32_e32 v11, 15, v11
	v_lshlrev_b32_e32 v14, v14, v17
	v_sub_u32_e32 v12, 29, v12
	v_and_b32_e32 v14, 7, v14
	v_cmp_eq_u16_e32 vcc, 0, v11
	v_cndmask_b32_e32 v10, v10, v14, vcc
	v_cndmask_b32_e32 v11, v11, v12, vcc
	v_lshlrev_b32_e32 v12, 24, v17
	v_mov_b32_e32 v14, 0x3b800000
	v_lshlrev_b32_e32 v10, 20, v10
	v_and_b32_e32 v12, 0x80000000, v12
	v_lshl_add_u32 v11, v11, 23, v14
	v_or3_b32 v10, v12, v11, v10
.LBB10_612:
	s_or_b64 exec, exec, s[6:7]
	s_movk_i32 s4, 0x7f
	v_cmp_gt_i16_sdwa s[6:7], v13, s4 src0_sel:BYTE_0 src1_sel:DWORD
	s_mov_b64 s[4:5], 0
                                        ; implicit-def: $sgpr10
	s_and_saveexec_b64 s[8:9], s[6:7]
	s_xor_b64 s[6:7], exec, s[8:9]
	s_cbranch_execnz .LBB10_2661
; %bb.613:
	s_or_saveexec_b64 s[6:7], s[6:7]
	v_mov_b32_e32 v11, s10
	s_xor_b64 exec, exec, s[6:7]
	s_cbranch_execnz .LBB10_2664
.LBB10_614:
	s_or_b64 exec, exec, s[6:7]
	s_and_saveexec_b64 s[6:7], s[4:5]
	s_cbranch_execz .LBB10_616
.LBB10_615:
	v_and_b32_e32 v11, 7, v13
	v_ffbh_u32_e32 v14, v11
	v_min_u32_e32 v14, 32, v14
	v_lshrrev_b16_e32 v12, 3, v13
	v_subrev_u32_e32 v15, 28, v14
	v_and_b32_e32 v12, 15, v12
	v_lshlrev_b32_e32 v15, v15, v13
	v_sub_u32_e32 v14, 29, v14
	v_and_b32_e32 v15, 7, v15
	v_cmp_eq_u16_e32 vcc, 0, v12
	v_cndmask_b32_e32 v11, v11, v15, vcc
	v_cndmask_b32_e32 v12, v12, v14, vcc
	v_lshlrev_b32_e32 v14, 24, v13
	v_mov_b32_e32 v15, 0x3b800000
	v_lshlrev_b32_e32 v11, 20, v11
	v_and_b32_e32 v14, 0x80000000, v14
	v_lshl_add_u32 v12, v12, 23, v15
	v_or3_b32 v11, v14, v12, v11
.LBB10_616:
	s_or_b64 exec, exec, s[6:7]
	s_nop 0
	v_mfma_f32_16x16x4f32 a[0:3], v10, v11, a[0:3]
	v_lshrrev_b32_e32 v11, 8, v17
	s_movk_i32 s4, 0x7f
	v_cmp_gt_i16_sdwa s[6:7], v11, s4 src0_sel:BYTE_0 src1_sel:DWORD
	s_mov_b64 s[4:5], 0
                                        ; implicit-def: $sgpr10
	s_and_saveexec_b64 s[8:9], s[6:7]
	s_xor_b64 s[6:7], exec, s[8:9]
	s_cbranch_execnz .LBB10_2665
; %bb.617:
	s_or_saveexec_b64 s[6:7], s[6:7]
	v_mov_b32_e32 v10, s10
	s_xor_b64 exec, exec, s[6:7]
	s_cbranch_execnz .LBB10_2668
.LBB10_618:
	s_or_b64 exec, exec, s[6:7]
	s_and_saveexec_b64 s[6:7], s[4:5]
	s_cbranch_execz .LBB10_620
.LBB10_619:
	v_bfe_u32 v10, v17, 8, 3
	v_ffbh_u32_e32 v14, v10
	v_min_u32_e32 v14, 32, v14
	v_lshrrev_b16_e32 v12, 3, v11
	v_subrev_u32_e32 v15, 28, v14
	v_and_b32_e32 v12, 15, v12
	v_lshlrev_b32_e32 v11, v15, v11
	v_sub_u32_e32 v14, 29, v14
	v_and_b32_e32 v11, 7, v11
	v_cmp_eq_u16_e32 vcc, 0, v12
	v_cndmask_b32_e32 v10, v10, v11, vcc
	v_cndmask_b32_e32 v11, v12, v14, vcc
	v_lshlrev_b32_e32 v12, 16, v17
	v_mov_b32_e32 v14, 0x3b800000
	v_lshlrev_b32_e32 v10, 20, v10
	v_and_b32_e32 v12, 0x80000000, v12
	v_lshl_add_u32 v11, v11, 23, v14
	v_or3_b32 v10, v12, v11, v10
.LBB10_620:
	s_or_b64 exec, exec, s[6:7]
	v_lshrrev_b32_e32 v11, 8, v13
	s_movk_i32 s4, 0x7f
	v_cmp_gt_i16_sdwa s[6:7], v11, s4 src0_sel:BYTE_0 src1_sel:DWORD
	s_mov_b64 s[4:5], 0
                                        ; implicit-def: $sgpr10
	s_and_saveexec_b64 s[8:9], s[6:7]
	s_xor_b64 s[6:7], exec, s[8:9]
	s_cbranch_execnz .LBB10_2669
; %bb.621:
	s_or_saveexec_b64 s[6:7], s[6:7]
	v_mov_b32_e32 v12, s10
	s_xor_b64 exec, exec, s[6:7]
	s_cbranch_execnz .LBB10_2672
.LBB10_622:
	s_or_b64 exec, exec, s[6:7]
	s_and_saveexec_b64 s[6:7], s[4:5]
	s_cbranch_execz .LBB10_624
.LBB10_623:
	v_bfe_u32 v12, v13, 8, 3
	v_ffbh_u32_e32 v15, v12
	v_min_u32_e32 v15, 32, v15
	v_lshrrev_b16_e32 v14, 3, v11
	v_subrev_u32_e32 v16, 28, v15
	v_and_b32_e32 v14, 15, v14
	v_lshlrev_b32_e32 v11, v16, v11
	v_sub_u32_e32 v15, 29, v15
	v_and_b32_e32 v11, 7, v11
	v_cmp_eq_u16_e32 vcc, 0, v14
	v_cndmask_b32_e32 v11, v12, v11, vcc
	v_cndmask_b32_e32 v12, v14, v15, vcc
	v_lshlrev_b32_e32 v14, 16, v13
	v_mov_b32_e32 v15, 0x3b800000
	v_lshlrev_b32_e32 v11, 20, v11
	v_and_b32_e32 v14, 0x80000000, v14
	v_lshl_add_u32 v12, v12, 23, v15
	v_or3_b32 v12, v14, v12, v11
.LBB10_624:
	s_or_b64 exec, exec, s[6:7]
	s_nop 0
	v_mfma_f32_16x16x4f32 a[0:3], v10, v12, a[0:3]
	s_movk_i32 s4, 0xff
	v_and_b32_sdwa v11, v17, s4 dst_sel:DWORD dst_unused:UNUSED_PAD src0_sel:WORD_1 src1_sel:DWORD
	s_movk_i32 s4, 0x7f
	v_cmp_lt_i16_e32 vcc, s4, v11
	s_mov_b64 s[4:5], 0
                                        ; implicit-def: $sgpr10
	s_and_saveexec_b64 s[6:7], vcc
	s_xor_b64 s[6:7], exec, s[6:7]
	s_cbranch_execnz .LBB10_2673
; %bb.625:
	s_or_saveexec_b64 s[6:7], s[6:7]
	v_mov_b32_e32 v10, s10
	s_xor_b64 exec, exec, s[6:7]
	s_cbranch_execnz .LBB10_2676
.LBB10_626:
	s_or_b64 exec, exec, s[6:7]
	s_and_saveexec_b64 s[6:7], s[4:5]
	s_cbranch_execz .LBB10_628
.LBB10_627:
	v_bfe_u32 v10, v17, 16, 3
	v_ffbh_u32_e32 v14, v10
	v_min_u32_e32 v14, 32, v14
	v_lshrrev_b32_e32 v11, 19, v17
	v_subrev_u32_e32 v15, 28, v14
	v_and_b32_e32 v11, 15, v11
	v_lshlrev_b32_sdwa v15, v15, v17 dst_sel:DWORD dst_unused:UNUSED_PAD src0_sel:DWORD src1_sel:WORD_1
	v_bfe_u32 v12, v17, 19, 4
	v_sub_u32_e32 v14, 29, v14
	v_and_b32_e32 v15, 7, v15
	v_cmp_eq_u16_e32 vcc, 0, v11
	v_cndmask_b32_e32 v10, v10, v15, vcc
	v_cndmask_b32_e32 v11, v12, v14, vcc
	v_lshlrev_b32_e32 v12, 8, v17
	v_mov_b32_e32 v14, 0x3b800000
	v_lshlrev_b32_e32 v10, 20, v10
	v_and_b32_e32 v12, 0x80000000, v12
	v_lshl_add_u32 v11, v11, 23, v14
	v_or3_b32 v10, v12, v11, v10
.LBB10_628:
	s_or_b64 exec, exec, s[6:7]
	s_movk_i32 s4, 0xff
	v_and_b32_sdwa v11, v13, s4 dst_sel:DWORD dst_unused:UNUSED_PAD src0_sel:WORD_1 src1_sel:DWORD
	s_movk_i32 s4, 0x7f
	v_cmp_lt_i16_e32 vcc, s4, v11
	s_mov_b64 s[4:5], 0
                                        ; implicit-def: $sgpr10
	s_and_saveexec_b64 s[6:7], vcc
	s_xor_b64 s[6:7], exec, s[6:7]
	s_cbranch_execnz .LBB10_2677
; %bb.629:
	s_or_saveexec_b64 s[6:7], s[6:7]
	v_mov_b32_e32 v12, s10
	s_xor_b64 exec, exec, s[6:7]
	s_cbranch_execnz .LBB10_2680
.LBB10_630:
	s_or_b64 exec, exec, s[6:7]
	s_and_saveexec_b64 s[6:7], s[4:5]
	s_cbranch_execz .LBB10_632
.LBB10_631:
	v_bfe_u32 v11, v13, 16, 3
	v_ffbh_u32_e32 v15, v11
	v_min_u32_e32 v15, 32, v15
	v_lshrrev_b32_e32 v12, 19, v13
	v_subrev_u32_e32 v16, 28, v15
	v_and_b32_e32 v12, 15, v12
	v_lshlrev_b32_sdwa v16, v16, v13 dst_sel:DWORD dst_unused:UNUSED_PAD src0_sel:DWORD src1_sel:WORD_1
	v_bfe_u32 v14, v13, 19, 4
	v_sub_u32_e32 v15, 29, v15
	v_and_b32_e32 v16, 7, v16
	v_cmp_eq_u16_e32 vcc, 0, v12
	v_cndmask_b32_e32 v11, v11, v16, vcc
	v_cndmask_b32_e32 v12, v14, v15, vcc
	v_lshlrev_b32_e32 v14, 8, v13
	v_mov_b32_e32 v15, 0x3b800000
	v_lshlrev_b32_e32 v11, 20, v11
	v_and_b32_e32 v14, 0x80000000, v14
	v_lshl_add_u32 v12, v12, 23, v15
	v_or3_b32 v12, v14, v12, v11
.LBB10_632:
	s_or_b64 exec, exec, s[6:7]
	s_nop 0
	v_mfma_f32_16x16x4f32 a[0:3], v10, v12, a[0:3]
	s_movk_i32 s4, 0x7f
	v_cmp_gt_i16_sdwa s[6:7], v17, s4 src0_sel:BYTE_3 src1_sel:DWORD
	s_mov_b64 s[4:5], 0
                                        ; implicit-def: $sgpr10
	s_and_saveexec_b64 s[8:9], s[6:7]
	s_xor_b64 s[6:7], exec, s[8:9]
	s_cbranch_execnz .LBB10_2681
; %bb.633:
	s_or_saveexec_b64 s[6:7], s[6:7]
	v_mov_b32_e32 v10, s10
	s_xor_b64 exec, exec, s[6:7]
	s_cbranch_execnz .LBB10_2684
.LBB10_634:
	s_or_b64 exec, exec, s[6:7]
	s_and_saveexec_b64 s[6:7], s[4:5]
	s_cbranch_execz .LBB10_636
.LBB10_635:
	v_bfe_u32 v10, v17, 24, 3
	v_ffbh_u32_e32 v15, v10
	v_min_u32_e32 v15, 32, v15
	v_lshrrev_b32_e32 v12, 27, v17
	v_subrev_u32_e32 v16, 28, v15
	v_and_b32_e32 v12, 15, v12
	v_lshlrev_b32_sdwa v16, v16, v17 dst_sel:DWORD dst_unused:UNUSED_PAD src0_sel:DWORD src1_sel:BYTE_3
	v_bfe_u32 v14, v17, 27, 4
	v_sub_u32_e32 v15, 29, v15
	v_and_b32_e32 v16, 7, v16
	v_cmp_eq_u16_e32 vcc, 0, v12
	v_cndmask_b32_e32 v10, v10, v16, vcc
	v_cndmask_b32_e32 v12, v14, v15, vcc
	v_mov_b32_e32 v14, 0x3b800000
	v_and_b32_e32 v11, 0x80000000, v17
	v_lshlrev_b32_e32 v10, 20, v10
	v_lshl_add_u32 v12, v12, 23, v14
	v_or3_b32 v10, v11, v12, v10
.LBB10_636:
	s_or_b64 exec, exec, s[6:7]
	s_movk_i32 s4, 0x7f
	v_cmp_gt_i16_sdwa s[6:7], v13, s4 src0_sel:BYTE_3 src1_sel:DWORD
	s_mov_b64 s[4:5], 0
                                        ; implicit-def: $sgpr10
	s_and_saveexec_b64 s[8:9], s[6:7]
	s_xor_b64 s[6:7], exec, s[8:9]
	s_cbranch_execnz .LBB10_2685
; %bb.637:
	s_or_saveexec_b64 s[6:7], s[6:7]
	v_mov_b32_e32 v11, s10
	s_xor_b64 exec, exec, s[6:7]
	s_cbranch_execnz .LBB10_2688
.LBB10_638:
	s_or_b64 exec, exec, s[6:7]
	s_and_saveexec_b64 s[6:7], s[4:5]
	s_cbranch_execz .LBB10_640
.LBB10_639:
	v_bfe_u32 v11, v13, 24, 3
	v_ffbh_u32_e32 v16, v11
	v_min_u32_e32 v16, 32, v16
	v_lshrrev_b32_e32 v14, 27, v13
	v_subrev_u32_e32 v17, 28, v16
	v_and_b32_e32 v12, 0x80000000, v13
	v_and_b32_e32 v14, 15, v14
	v_bfe_u32 v15, v13, 27, 4
	v_lshlrev_b32_sdwa v13, v17, v13 dst_sel:DWORD dst_unused:UNUSED_PAD src0_sel:DWORD src1_sel:BYTE_3
	v_sub_u32_e32 v16, 29, v16
	v_and_b32_e32 v13, 7, v13
	v_cmp_eq_u16_e32 vcc, 0, v14
	v_cndmask_b32_e32 v11, v11, v13, vcc
	v_cndmask_b32_e32 v13, v15, v16, vcc
	v_mov_b32_e32 v14, 0x3b800000
	v_lshlrev_b32_e32 v11, 20, v11
	v_lshl_add_u32 v13, v13, 23, v14
	v_or3_b32 v11, v12, v13, v11
.LBB10_640:
	s_or_b64 exec, exec, s[6:7]
	s_nop 0
	v_mfma_f32_16x16x4f32 a[0:3], v10, v11, a[0:3]
	s_movk_i32 s4, 0x7f
	v_cmp_gt_i16_sdwa s[6:7], v6, s4 src0_sel:BYTE_0 src1_sel:DWORD
	s_mov_b64 s[4:5], 0
                                        ; implicit-def: $sgpr10
	s_and_saveexec_b64 s[8:9], s[6:7]
	s_xor_b64 s[6:7], exec, s[8:9]
	s_cbranch_execnz .LBB10_2689
; %bb.641:
	s_or_saveexec_b64 s[6:7], s[6:7]
	v_mov_b32_e32 v10, s10
	s_xor_b64 exec, exec, s[6:7]
	s_cbranch_execnz .LBB10_2692
.LBB10_642:
	s_or_b64 exec, exec, s[6:7]
	s_and_saveexec_b64 s[6:7], s[4:5]
	s_cbranch_execz .LBB10_644
.LBB10_643:
	v_and_b32_e32 v10, 7, v6
	v_ffbh_u32_e32 v12, v10
	v_min_u32_e32 v12, 32, v12
	v_lshrrev_b16_e32 v11, 3, v6
	v_subrev_u32_e32 v13, 28, v12
	v_and_b32_e32 v11, 15, v11
	v_lshlrev_b32_e32 v13, v13, v6
	v_sub_u32_e32 v12, 29, v12
	v_and_b32_e32 v13, 7, v13
	v_cmp_eq_u16_e32 vcc, 0, v11
	v_cndmask_b32_e32 v10, v10, v13, vcc
	v_cndmask_b32_e32 v11, v11, v12, vcc
	v_lshlrev_b32_e32 v12, 24, v6
	v_mov_b32_e32 v13, 0x3b800000
	v_lshlrev_b32_e32 v10, 20, v10
	v_and_b32_e32 v12, 0x80000000, v12
	v_lshl_add_u32 v11, v11, 23, v13
	v_or3_b32 v10, v12, v11, v10
.LBB10_644:
	s_or_b64 exec, exec, s[6:7]
	s_movk_i32 s4, 0x7f
	v_cmp_gt_i16_sdwa s[6:7], v2, s4 src0_sel:BYTE_0 src1_sel:DWORD
	s_mov_b64 s[4:5], 0
                                        ; implicit-def: $sgpr10
	s_and_saveexec_b64 s[8:9], s[6:7]
	s_xor_b64 s[6:7], exec, s[8:9]
	s_cbranch_execnz .LBB10_2693
; %bb.645:
	s_or_saveexec_b64 s[6:7], s[6:7]
	v_mov_b32_e32 v11, s10
	s_xor_b64 exec, exec, s[6:7]
	s_cbranch_execnz .LBB10_2696
.LBB10_646:
	s_or_b64 exec, exec, s[6:7]
	s_and_saveexec_b64 s[6:7], s[4:5]
	s_cbranch_execz .LBB10_648
.LBB10_647:
	v_and_b32_e32 v11, 7, v2
	v_ffbh_u32_e32 v13, v11
	v_min_u32_e32 v13, 32, v13
	v_lshrrev_b16_e32 v12, 3, v2
	v_subrev_u32_e32 v14, 28, v13
	v_and_b32_e32 v12, 15, v12
	v_lshlrev_b32_e32 v14, v14, v2
	v_sub_u32_e32 v13, 29, v13
	v_and_b32_e32 v14, 7, v14
	v_cmp_eq_u16_e32 vcc, 0, v12
	v_cndmask_b32_e32 v11, v11, v14, vcc
	v_cndmask_b32_e32 v12, v12, v13, vcc
	v_lshlrev_b32_e32 v13, 24, v2
	v_mov_b32_e32 v14, 0x3b800000
	v_lshlrev_b32_e32 v11, 20, v11
	v_and_b32_e32 v13, 0x80000000, v13
	v_lshl_add_u32 v12, v12, 23, v14
	v_or3_b32 v11, v13, v12, v11
.LBB10_648:
	s_or_b64 exec, exec, s[6:7]
	s_nop 0
	v_mfma_f32_16x16x4f32 a[0:3], v10, v11, a[0:3]
	v_lshrrev_b32_e32 v11, 8, v6
	s_movk_i32 s4, 0x7f
	v_cmp_gt_i16_sdwa s[6:7], v11, s4 src0_sel:BYTE_0 src1_sel:DWORD
	s_mov_b64 s[4:5], 0
                                        ; implicit-def: $sgpr10
	s_and_saveexec_b64 s[8:9], s[6:7]
	s_xor_b64 s[6:7], exec, s[8:9]
	s_cbranch_execnz .LBB10_2697
; %bb.649:
	s_or_saveexec_b64 s[6:7], s[6:7]
	v_mov_b32_e32 v10, s10
	s_xor_b64 exec, exec, s[6:7]
	s_cbranch_execnz .LBB10_2700
.LBB10_650:
	s_or_b64 exec, exec, s[6:7]
	s_and_saveexec_b64 s[6:7], s[4:5]
	s_cbranch_execz .LBB10_652
.LBB10_651:
	v_bfe_u32 v10, v6, 8, 3
	v_ffbh_u32_e32 v13, v10
	v_min_u32_e32 v13, 32, v13
	v_lshrrev_b16_e32 v12, 3, v11
	v_subrev_u32_e32 v14, 28, v13
	v_and_b32_e32 v12, 15, v12
	v_lshlrev_b32_e32 v11, v14, v11
	v_sub_u32_e32 v13, 29, v13
	v_and_b32_e32 v11, 7, v11
	v_cmp_eq_u16_e32 vcc, 0, v12
	v_cndmask_b32_e32 v10, v10, v11, vcc
	v_cndmask_b32_e32 v11, v12, v13, vcc
	v_lshlrev_b32_e32 v12, 16, v6
	v_mov_b32_e32 v13, 0x3b800000
	v_lshlrev_b32_e32 v10, 20, v10
	v_and_b32_e32 v12, 0x80000000, v12
	v_lshl_add_u32 v11, v11, 23, v13
	v_or3_b32 v10, v12, v11, v10
.LBB10_652:
	s_or_b64 exec, exec, s[6:7]
	v_lshrrev_b32_e32 v11, 8, v2
	s_movk_i32 s4, 0x7f
	v_cmp_gt_i16_sdwa s[6:7], v11, s4 src0_sel:BYTE_0 src1_sel:DWORD
	s_mov_b64 s[4:5], 0
                                        ; implicit-def: $sgpr10
	s_and_saveexec_b64 s[8:9], s[6:7]
	s_xor_b64 s[6:7], exec, s[8:9]
	s_cbranch_execnz .LBB10_2701
; %bb.653:
	s_or_saveexec_b64 s[6:7], s[6:7]
	v_mov_b32_e32 v12, s10
	s_xor_b64 exec, exec, s[6:7]
	s_cbranch_execnz .LBB10_2704
.LBB10_654:
	s_or_b64 exec, exec, s[6:7]
	s_and_saveexec_b64 s[6:7], s[4:5]
	s_cbranch_execz .LBB10_656
.LBB10_655:
	v_bfe_u32 v12, v2, 8, 3
	v_ffbh_u32_e32 v14, v12
	v_min_u32_e32 v14, 32, v14
	v_lshrrev_b16_e32 v13, 3, v11
	v_subrev_u32_e32 v15, 28, v14
	v_and_b32_e32 v13, 15, v13
	v_lshlrev_b32_e32 v11, v15, v11
	v_sub_u32_e32 v14, 29, v14
	v_and_b32_e32 v11, 7, v11
	v_cmp_eq_u16_e32 vcc, 0, v13
	v_cndmask_b32_e32 v11, v12, v11, vcc
	v_cndmask_b32_e32 v12, v13, v14, vcc
	v_lshlrev_b32_e32 v13, 16, v2
	v_mov_b32_e32 v14, 0x3b800000
	v_lshlrev_b32_e32 v11, 20, v11
	v_and_b32_e32 v13, 0x80000000, v13
	v_lshl_add_u32 v12, v12, 23, v14
	v_or3_b32 v12, v13, v12, v11
.LBB10_656:
	s_or_b64 exec, exec, s[6:7]
	s_nop 0
	v_mfma_f32_16x16x4f32 a[0:3], v10, v12, a[0:3]
	s_movk_i32 s4, 0xff
	v_and_b32_sdwa v11, v6, s4 dst_sel:DWORD dst_unused:UNUSED_PAD src0_sel:WORD_1 src1_sel:DWORD
	s_movk_i32 s4, 0x7f
	v_cmp_lt_i16_e32 vcc, s4, v11
	s_mov_b64 s[4:5], 0
                                        ; implicit-def: $sgpr10
	s_and_saveexec_b64 s[6:7], vcc
	s_xor_b64 s[6:7], exec, s[6:7]
	s_cbranch_execnz .LBB10_2705
; %bb.657:
	s_or_saveexec_b64 s[6:7], s[6:7]
	v_mov_b32_e32 v10, s10
	s_xor_b64 exec, exec, s[6:7]
	s_cbranch_execnz .LBB10_2708
.LBB10_658:
	s_or_b64 exec, exec, s[6:7]
	s_and_saveexec_b64 s[6:7], s[4:5]
	s_cbranch_execz .LBB10_660
.LBB10_659:
	v_bfe_u32 v10, v6, 16, 3
	v_ffbh_u32_e32 v13, v10
	v_min_u32_e32 v13, 32, v13
	v_lshrrev_b32_e32 v11, 19, v6
	v_subrev_u32_e32 v14, 28, v13
	v_and_b32_e32 v11, 15, v11
	v_lshlrev_b32_sdwa v14, v14, v6 dst_sel:DWORD dst_unused:UNUSED_PAD src0_sel:DWORD src1_sel:WORD_1
	v_bfe_u32 v12, v6, 19, 4
	v_sub_u32_e32 v13, 29, v13
	v_and_b32_e32 v14, 7, v14
	v_cmp_eq_u16_e32 vcc, 0, v11
	v_cndmask_b32_e32 v10, v10, v14, vcc
	v_cndmask_b32_e32 v11, v12, v13, vcc
	v_lshlrev_b32_e32 v12, 8, v6
	v_mov_b32_e32 v13, 0x3b800000
	v_lshlrev_b32_e32 v10, 20, v10
	v_and_b32_e32 v12, 0x80000000, v12
	v_lshl_add_u32 v11, v11, 23, v13
	v_or3_b32 v10, v12, v11, v10
.LBB10_660:
	s_or_b64 exec, exec, s[6:7]
	s_movk_i32 s4, 0xff
	v_and_b32_sdwa v11, v2, s4 dst_sel:DWORD dst_unused:UNUSED_PAD src0_sel:WORD_1 src1_sel:DWORD
	s_movk_i32 s4, 0x7f
	v_cmp_lt_i16_e32 vcc, s4, v11
	s_mov_b64 s[4:5], 0
                                        ; implicit-def: $sgpr10
	s_and_saveexec_b64 s[6:7], vcc
	s_xor_b64 s[6:7], exec, s[6:7]
	s_cbranch_execnz .LBB10_2709
; %bb.661:
	s_or_saveexec_b64 s[6:7], s[6:7]
	v_mov_b32_e32 v12, s10
	s_xor_b64 exec, exec, s[6:7]
	s_cbranch_execnz .LBB10_2712
.LBB10_662:
	s_or_b64 exec, exec, s[6:7]
	s_and_saveexec_b64 s[6:7], s[4:5]
	s_cbranch_execz .LBB10_664
.LBB10_663:
	v_bfe_u32 v11, v2, 16, 3
	v_ffbh_u32_e32 v14, v11
	v_min_u32_e32 v14, 32, v14
	v_lshrrev_b32_e32 v12, 19, v2
	v_subrev_u32_e32 v15, 28, v14
	v_and_b32_e32 v12, 15, v12
	v_lshlrev_b32_sdwa v15, v15, v2 dst_sel:DWORD dst_unused:UNUSED_PAD src0_sel:DWORD src1_sel:WORD_1
	v_bfe_u32 v13, v2, 19, 4
	v_sub_u32_e32 v14, 29, v14
	v_and_b32_e32 v15, 7, v15
	v_cmp_eq_u16_e32 vcc, 0, v12
	v_cndmask_b32_e32 v11, v11, v15, vcc
	v_cndmask_b32_e32 v12, v13, v14, vcc
	v_lshlrev_b32_e32 v13, 8, v2
	v_mov_b32_e32 v14, 0x3b800000
	v_lshlrev_b32_e32 v11, 20, v11
	v_and_b32_e32 v13, 0x80000000, v13
	v_lshl_add_u32 v12, v12, 23, v14
	v_or3_b32 v12, v13, v12, v11
.LBB10_664:
	s_or_b64 exec, exec, s[6:7]
	s_nop 0
	v_mfma_f32_16x16x4f32 a[0:3], v10, v12, a[0:3]
	s_movk_i32 s4, 0x7f
	v_cmp_gt_i16_sdwa s[6:7], v6, s4 src0_sel:BYTE_3 src1_sel:DWORD
	s_mov_b64 s[4:5], 0
                                        ; implicit-def: $sgpr10
	s_and_saveexec_b64 s[8:9], s[6:7]
	s_xor_b64 s[6:7], exec, s[8:9]
	s_cbranch_execnz .LBB10_2713
; %bb.665:
	s_or_saveexec_b64 s[6:7], s[6:7]
	v_mov_b32_e32 v10, s10
	s_xor_b64 exec, exec, s[6:7]
	s_cbranch_execnz .LBB10_2716
.LBB10_666:
	s_or_b64 exec, exec, s[6:7]
	s_and_saveexec_b64 s[6:7], s[4:5]
	s_cbranch_execz .LBB10_668
.LBB10_667:
	v_bfe_u32 v10, v6, 24, 3
	v_ffbh_u32_e32 v14, v10
	v_min_u32_e32 v14, 32, v14
	v_lshrrev_b32_e32 v12, 27, v6
	v_subrev_u32_e32 v15, 28, v14
	v_and_b32_e32 v11, 0x80000000, v6
	v_and_b32_e32 v12, 15, v12
	v_bfe_u32 v13, v6, 27, 4
	v_lshlrev_b32_sdwa v6, v15, v6 dst_sel:DWORD dst_unused:UNUSED_PAD src0_sel:DWORD src1_sel:BYTE_3
	v_sub_u32_e32 v14, 29, v14
	v_and_b32_e32 v6, 7, v6
	v_cmp_eq_u16_e32 vcc, 0, v12
	v_cndmask_b32_e32 v6, v10, v6, vcc
	v_cndmask_b32_e32 v10, v13, v14, vcc
	v_mov_b32_e32 v12, 0x3b800000
	v_lshlrev_b32_e32 v6, 20, v6
	v_lshl_add_u32 v10, v10, 23, v12
	v_or3_b32 v10, v11, v10, v6
.LBB10_668:
	s_or_b64 exec, exec, s[6:7]
	s_movk_i32 s4, 0x7f
	v_cmp_gt_i16_sdwa s[6:7], v2, s4 src0_sel:BYTE_3 src1_sel:DWORD
	s_mov_b64 s[4:5], 0
                                        ; implicit-def: $sgpr10
	s_and_saveexec_b64 s[8:9], s[6:7]
	s_xor_b64 s[6:7], exec, s[8:9]
	s_cbranch_execnz .LBB10_2717
; %bb.669:
	s_or_saveexec_b64 s[6:7], s[6:7]
	v_mov_b32_e32 v6, s10
	s_xor_b64 exec, exec, s[6:7]
	s_cbranch_execnz .LBB10_2720
.LBB10_670:
	s_or_b64 exec, exec, s[6:7]
	s_and_saveexec_b64 s[6:7], s[4:5]
	s_cbranch_execz .LBB10_672
.LBB10_671:
	v_bfe_u32 v6, v2, 24, 3
	v_ffbh_u32_e32 v14, v6
	v_min_u32_e32 v14, 32, v14
	v_lshrrev_b32_e32 v12, 27, v2
	v_subrev_u32_e32 v15, 28, v14
	v_and_b32_e32 v11, 0x80000000, v2
	v_and_b32_e32 v12, 15, v12
	v_bfe_u32 v13, v2, 27, 4
	v_lshlrev_b32_sdwa v2, v15, v2 dst_sel:DWORD dst_unused:UNUSED_PAD src0_sel:DWORD src1_sel:BYTE_3
	v_sub_u32_e32 v14, 29, v14
	v_and_b32_e32 v2, 7, v2
	v_cmp_eq_u16_e32 vcc, 0, v12
	v_cndmask_b32_e32 v2, v6, v2, vcc
	v_cndmask_b32_e32 v6, v13, v14, vcc
	v_mov_b32_e32 v12, 0x3b800000
	v_lshlrev_b32_e32 v2, 20, v2
	v_lshl_add_u32 v6, v6, 23, v12
	v_or3_b32 v6, v11, v6, v2
.LBB10_672:
	s_or_b64 exec, exec, s[6:7]
	s_nop 0
	v_mfma_f32_16x16x4f32 a[0:3], v10, v6, a[0:3]
	s_movk_i32 s4, 0x7f
	v_cmp_gt_i16_sdwa s[6:7], v7, s4 src0_sel:BYTE_0 src1_sel:DWORD
	s_mov_b64 s[4:5], 0
                                        ; implicit-def: $sgpr10
	s_and_saveexec_b64 s[8:9], s[6:7]
	s_xor_b64 s[6:7], exec, s[8:9]
	s_cbranch_execnz .LBB10_2721
; %bb.673:
	s_or_saveexec_b64 s[6:7], s[6:7]
	v_mov_b32_e32 v2, s10
	s_xor_b64 exec, exec, s[6:7]
	s_cbranch_execnz .LBB10_2724
.LBB10_674:
	s_or_b64 exec, exec, s[6:7]
	s_and_saveexec_b64 s[6:7], s[4:5]
	s_cbranch_execz .LBB10_676
.LBB10_675:
	v_and_b32_e32 v2, 7, v7
	v_ffbh_u32_e32 v10, v2
	v_min_u32_e32 v10, 32, v10
	v_lshrrev_b16_e32 v6, 3, v7
	v_subrev_u32_e32 v11, 28, v10
	v_and_b32_e32 v6, 15, v6
	v_lshlrev_b32_e32 v11, v11, v7
	v_sub_u32_e32 v10, 29, v10
	v_and_b32_e32 v11, 7, v11
	v_cmp_eq_u16_e32 vcc, 0, v6
	v_cndmask_b32_e32 v2, v2, v11, vcc
	v_cndmask_b32_e32 v6, v6, v10, vcc
	v_lshlrev_b32_e32 v10, 24, v7
	v_mov_b32_e32 v11, 0x3b800000
	v_lshlrev_b32_e32 v2, 20, v2
	v_and_b32_e32 v10, 0x80000000, v10
	v_lshl_add_u32 v6, v6, 23, v11
	v_or3_b32 v2, v10, v6, v2
.LBB10_676:
	s_or_b64 exec, exec, s[6:7]
	s_movk_i32 s4, 0x7f
	v_cmp_gt_i16_sdwa s[6:7], v3, s4 src0_sel:BYTE_0 src1_sel:DWORD
	s_mov_b64 s[4:5], 0
                                        ; implicit-def: $sgpr10
	s_and_saveexec_b64 s[8:9], s[6:7]
	s_xor_b64 s[6:7], exec, s[8:9]
	s_cbranch_execnz .LBB10_2725
; %bb.677:
	s_or_saveexec_b64 s[6:7], s[6:7]
	v_mov_b32_e32 v6, s10
	s_xor_b64 exec, exec, s[6:7]
	s_cbranch_execnz .LBB10_2728
.LBB10_678:
	s_or_b64 exec, exec, s[6:7]
	s_and_saveexec_b64 s[6:7], s[4:5]
	s_cbranch_execz .LBB10_680
.LBB10_679:
	v_and_b32_e32 v6, 7, v3
	v_ffbh_u32_e32 v11, v6
	v_min_u32_e32 v11, 32, v11
	v_lshrrev_b16_e32 v10, 3, v3
	v_subrev_u32_e32 v12, 28, v11
	v_and_b32_e32 v10, 15, v10
	v_lshlrev_b32_e32 v12, v12, v3
	v_sub_u32_e32 v11, 29, v11
	v_and_b32_e32 v12, 7, v12
	v_cmp_eq_u16_e32 vcc, 0, v10
	v_cndmask_b32_e32 v6, v6, v12, vcc
	v_cndmask_b32_e32 v10, v10, v11, vcc
	v_lshlrev_b32_e32 v11, 24, v3
	v_mov_b32_e32 v12, 0x3b800000
	v_lshlrev_b32_e32 v6, 20, v6
	v_and_b32_e32 v11, 0x80000000, v11
	v_lshl_add_u32 v10, v10, 23, v12
	v_or3_b32 v6, v11, v10, v6
.LBB10_680:
	s_or_b64 exec, exec, s[6:7]
	s_nop 0
	v_mfma_f32_16x16x4f32 a[0:3], v2, v6, a[0:3]
	v_lshrrev_b32_e32 v6, 8, v7
	s_movk_i32 s4, 0x7f
	v_cmp_gt_i16_sdwa s[6:7], v6, s4 src0_sel:BYTE_0 src1_sel:DWORD
	s_mov_b64 s[4:5], 0
                                        ; implicit-def: $sgpr10
	s_and_saveexec_b64 s[8:9], s[6:7]
	s_xor_b64 s[6:7], exec, s[8:9]
	s_cbranch_execnz .LBB10_2729
; %bb.681:
	s_or_saveexec_b64 s[6:7], s[6:7]
	v_mov_b32_e32 v2, s10
	s_xor_b64 exec, exec, s[6:7]
	s_cbranch_execnz .LBB10_2732
.LBB10_682:
	s_or_b64 exec, exec, s[6:7]
	s_and_saveexec_b64 s[6:7], s[4:5]
	s_cbranch_execz .LBB10_684
.LBB10_683:
	v_bfe_u32 v2, v7, 8, 3
	v_ffbh_u32_e32 v11, v2
	v_min_u32_e32 v11, 32, v11
	v_lshrrev_b16_e32 v10, 3, v6
	v_subrev_u32_e32 v12, 28, v11
	v_and_b32_e32 v10, 15, v10
	v_lshlrev_b32_e32 v6, v12, v6
	v_sub_u32_e32 v11, 29, v11
	v_and_b32_e32 v6, 7, v6
	v_cmp_eq_u16_e32 vcc, 0, v10
	v_cndmask_b32_e32 v2, v2, v6, vcc
	v_cndmask_b32_e32 v6, v10, v11, vcc
	v_lshlrev_b32_e32 v10, 16, v7
	v_mov_b32_e32 v11, 0x3b800000
	v_lshlrev_b32_e32 v2, 20, v2
	v_and_b32_e32 v10, 0x80000000, v10
	v_lshl_add_u32 v6, v6, 23, v11
	v_or3_b32 v2, v10, v6, v2
.LBB10_684:
	s_or_b64 exec, exec, s[6:7]
	v_lshrrev_b32_e32 v6, 8, v3
	s_movk_i32 s4, 0x7f
	v_cmp_gt_i16_sdwa s[6:7], v6, s4 src0_sel:BYTE_0 src1_sel:DWORD
	s_mov_b64 s[4:5], 0
                                        ; implicit-def: $sgpr10
	s_and_saveexec_b64 s[8:9], s[6:7]
	s_xor_b64 s[6:7], exec, s[8:9]
	s_cbranch_execnz .LBB10_2733
; %bb.685:
	s_or_saveexec_b64 s[6:7], s[6:7]
	v_mov_b32_e32 v10, s10
	s_xor_b64 exec, exec, s[6:7]
	s_cbranch_execnz .LBB10_2736
.LBB10_686:
	s_or_b64 exec, exec, s[6:7]
	s_and_saveexec_b64 s[6:7], s[4:5]
	s_cbranch_execz .LBB10_688
.LBB10_687:
	v_bfe_u32 v10, v3, 8, 3
	v_ffbh_u32_e32 v12, v10
	v_min_u32_e32 v12, 32, v12
	v_lshrrev_b16_e32 v11, 3, v6
	v_subrev_u32_e32 v13, 28, v12
	v_and_b32_e32 v11, 15, v11
	v_lshlrev_b32_e32 v6, v13, v6
	v_sub_u32_e32 v12, 29, v12
	v_and_b32_e32 v6, 7, v6
	v_cmp_eq_u16_e32 vcc, 0, v11
	v_cndmask_b32_e32 v6, v10, v6, vcc
	v_cndmask_b32_e32 v10, v11, v12, vcc
	v_lshlrev_b32_e32 v11, 16, v3
	v_mov_b32_e32 v12, 0x3b800000
	v_lshlrev_b32_e32 v6, 20, v6
	v_and_b32_e32 v11, 0x80000000, v11
	v_lshl_add_u32 v10, v10, 23, v12
	v_or3_b32 v10, v11, v10, v6
.LBB10_688:
	s_or_b64 exec, exec, s[6:7]
	s_nop 0
	v_mfma_f32_16x16x4f32 a[0:3], v2, v10, a[0:3]
	s_movk_i32 s4, 0xff
	v_and_b32_sdwa v6, v7, s4 dst_sel:DWORD dst_unused:UNUSED_PAD src0_sel:WORD_1 src1_sel:DWORD
	s_movk_i32 s4, 0x7f
	v_cmp_lt_i16_e32 vcc, s4, v6
	s_mov_b64 s[4:5], 0
                                        ; implicit-def: $sgpr10
	s_and_saveexec_b64 s[6:7], vcc
	s_xor_b64 s[6:7], exec, s[6:7]
	s_cbranch_execnz .LBB10_2737
; %bb.689:
	s_or_saveexec_b64 s[6:7], s[6:7]
	v_mov_b32_e32 v2, s10
	s_xor_b64 exec, exec, s[6:7]
	s_cbranch_execnz .LBB10_2740
.LBB10_690:
	s_or_b64 exec, exec, s[6:7]
	s_and_saveexec_b64 s[6:7], s[4:5]
	s_cbranch_execz .LBB10_692
.LBB10_691:
	v_bfe_u32 v2, v7, 16, 3
	v_ffbh_u32_e32 v11, v2
	v_min_u32_e32 v11, 32, v11
	v_lshrrev_b32_e32 v6, 19, v7
	v_subrev_u32_e32 v12, 28, v11
	v_and_b32_e32 v6, 15, v6
	v_lshlrev_b32_sdwa v12, v12, v7 dst_sel:DWORD dst_unused:UNUSED_PAD src0_sel:DWORD src1_sel:WORD_1
	v_bfe_u32 v10, v7, 19, 4
	v_sub_u32_e32 v11, 29, v11
	v_and_b32_e32 v12, 7, v12
	v_cmp_eq_u16_e32 vcc, 0, v6
	v_cndmask_b32_e32 v2, v2, v12, vcc
	v_cndmask_b32_e32 v6, v10, v11, vcc
	v_lshlrev_b32_e32 v10, 8, v7
	v_mov_b32_e32 v11, 0x3b800000
	v_lshlrev_b32_e32 v2, 20, v2
	v_and_b32_e32 v10, 0x80000000, v10
	v_lshl_add_u32 v6, v6, 23, v11
	v_or3_b32 v2, v10, v6, v2
.LBB10_692:
	s_or_b64 exec, exec, s[6:7]
	s_movk_i32 s4, 0xff
	v_and_b32_sdwa v6, v3, s4 dst_sel:DWORD dst_unused:UNUSED_PAD src0_sel:WORD_1 src1_sel:DWORD
	s_movk_i32 s4, 0x7f
	v_cmp_lt_i16_e32 vcc, s4, v6
	s_mov_b64 s[4:5], 0
                                        ; implicit-def: $sgpr10
	s_and_saveexec_b64 s[6:7], vcc
	s_xor_b64 s[6:7], exec, s[6:7]
	s_cbranch_execnz .LBB10_2741
; %bb.693:
	s_or_saveexec_b64 s[6:7], s[6:7]
	v_mov_b32_e32 v10, s10
	s_xor_b64 exec, exec, s[6:7]
	s_cbranch_execnz .LBB10_2744
.LBB10_694:
	s_or_b64 exec, exec, s[6:7]
	s_and_saveexec_b64 s[6:7], s[4:5]
	s_cbranch_execz .LBB10_696
.LBB10_695:
	v_bfe_u32 v6, v3, 16, 3
	v_ffbh_u32_e32 v12, v6
	v_min_u32_e32 v12, 32, v12
	v_lshrrev_b32_e32 v10, 19, v3
	v_subrev_u32_e32 v13, 28, v12
	v_and_b32_e32 v10, 15, v10
	v_lshlrev_b32_sdwa v13, v13, v3 dst_sel:DWORD dst_unused:UNUSED_PAD src0_sel:DWORD src1_sel:WORD_1
	v_bfe_u32 v11, v3, 19, 4
	v_sub_u32_e32 v12, 29, v12
	v_and_b32_e32 v13, 7, v13
	v_cmp_eq_u16_e32 vcc, 0, v10
	v_cndmask_b32_e32 v6, v6, v13, vcc
	v_cndmask_b32_e32 v10, v11, v12, vcc
	v_lshlrev_b32_e32 v11, 8, v3
	v_mov_b32_e32 v12, 0x3b800000
	v_lshlrev_b32_e32 v6, 20, v6
	v_and_b32_e32 v11, 0x80000000, v11
	v_lshl_add_u32 v10, v10, 23, v12
	v_or3_b32 v10, v11, v10, v6
.LBB10_696:
	s_or_b64 exec, exec, s[6:7]
	s_nop 0
	v_mfma_f32_16x16x4f32 a[0:3], v2, v10, a[0:3]
	s_movk_i32 s4, 0x7f
	v_cmp_gt_i16_sdwa s[6:7], v7, s4 src0_sel:BYTE_3 src1_sel:DWORD
	s_mov_b64 s[4:5], 0
                                        ; implicit-def: $sgpr10
	s_and_saveexec_b64 s[8:9], s[6:7]
	s_xor_b64 s[6:7], exec, s[8:9]
	s_cbranch_execnz .LBB10_2745
; %bb.697:
	s_or_saveexec_b64 s[6:7], s[6:7]
	v_mov_b32_e32 v2, s10
	s_xor_b64 exec, exec, s[6:7]
	s_cbranch_execnz .LBB10_2748
.LBB10_698:
	s_or_b64 exec, exec, s[6:7]
	s_and_saveexec_b64 s[6:7], s[4:5]
	s_cbranch_execz .LBB10_700
.LBB10_699:
	v_bfe_u32 v2, v7, 24, 3
	v_ffbh_u32_e32 v12, v2
	v_min_u32_e32 v12, 32, v12
	v_lshrrev_b32_e32 v10, 27, v7
	v_subrev_u32_e32 v13, 28, v12
	v_and_b32_e32 v6, 0x80000000, v7
	v_and_b32_e32 v10, 15, v10
	v_bfe_u32 v11, v7, 27, 4
	v_lshlrev_b32_sdwa v7, v13, v7 dst_sel:DWORD dst_unused:UNUSED_PAD src0_sel:DWORD src1_sel:BYTE_3
	v_sub_u32_e32 v12, 29, v12
	v_and_b32_e32 v7, 7, v7
	v_cmp_eq_u16_e32 vcc, 0, v10
	v_cndmask_b32_e32 v2, v2, v7, vcc
	v_cndmask_b32_e32 v7, v11, v12, vcc
	v_mov_b32_e32 v10, 0x3b800000
	v_lshlrev_b32_e32 v2, 20, v2
	v_lshl_add_u32 v7, v7, 23, v10
	v_or3_b32 v2, v6, v7, v2
.LBB10_700:
	s_or_b64 exec, exec, s[6:7]
	s_movk_i32 s4, 0x7f
	v_cmp_gt_i16_sdwa s[6:7], v3, s4 src0_sel:BYTE_3 src1_sel:DWORD
	s_mov_b64 s[4:5], 0
                                        ; implicit-def: $sgpr10
	s_and_saveexec_b64 s[8:9], s[6:7]
	s_xor_b64 s[6:7], exec, s[8:9]
	s_cbranch_execnz .LBB10_2749
; %bb.701:
	s_or_saveexec_b64 s[6:7], s[6:7]
	v_mov_b32_e32 v6, s10
	s_xor_b64 exec, exec, s[6:7]
	s_cbranch_execnz .LBB10_2752
.LBB10_702:
	s_or_b64 exec, exec, s[6:7]
	s_and_saveexec_b64 s[6:7], s[4:5]
	s_cbranch_execz .LBB10_704
.LBB10_703:
	v_bfe_u32 v6, v3, 24, 3
	v_ffbh_u32_e32 v12, v6
	v_min_u32_e32 v12, 32, v12
	v_lshrrev_b32_e32 v10, 27, v3
	v_subrev_u32_e32 v13, 28, v12
	v_and_b32_e32 v7, 0x80000000, v3
	v_and_b32_e32 v10, 15, v10
	v_bfe_u32 v11, v3, 27, 4
	v_lshlrev_b32_sdwa v3, v13, v3 dst_sel:DWORD dst_unused:UNUSED_PAD src0_sel:DWORD src1_sel:BYTE_3
	v_sub_u32_e32 v12, 29, v12
	v_and_b32_e32 v3, 7, v3
	v_cmp_eq_u16_e32 vcc, 0, v10
	v_cndmask_b32_e32 v3, v6, v3, vcc
	v_cndmask_b32_e32 v6, v11, v12, vcc
	v_mov_b32_e32 v10, 0x3b800000
	v_lshlrev_b32_e32 v3, 20, v3
	v_lshl_add_u32 v6, v6, 23, v10
	v_or3_b32 v6, v7, v6, v3
.LBB10_704:
	s_or_b64 exec, exec, s[6:7]
	s_nop 0
	v_mfma_f32_16x16x4f32 a[0:3], v2, v6, a[0:3]
	s_movk_i32 s4, 0x7f
	v_cmp_gt_i16_sdwa s[6:7], v8, s4 src0_sel:BYTE_0 src1_sel:DWORD
	s_mov_b64 s[4:5], 0
                                        ; implicit-def: $sgpr10
	s_and_saveexec_b64 s[8:9], s[6:7]
	s_xor_b64 s[6:7], exec, s[8:9]
	s_cbranch_execnz .LBB10_2753
; %bb.705:
	s_or_saveexec_b64 s[6:7], s[6:7]
	v_mov_b32_e32 v2, s10
	s_xor_b64 exec, exec, s[6:7]
	s_cbranch_execnz .LBB10_2756
.LBB10_706:
	s_or_b64 exec, exec, s[6:7]
	s_and_saveexec_b64 s[6:7], s[4:5]
	s_cbranch_execz .LBB10_708
.LBB10_707:
	v_and_b32_e32 v2, 7, v8
	v_ffbh_u32_e32 v6, v2
	v_min_u32_e32 v6, 32, v6
	v_lshrrev_b16_e32 v3, 3, v8
	v_subrev_u32_e32 v7, 28, v6
	v_and_b32_e32 v3, 15, v3
	v_lshlrev_b32_e32 v7, v7, v8
	v_sub_u32_e32 v6, 29, v6
	v_and_b32_e32 v7, 7, v7
	v_cmp_eq_u16_e32 vcc, 0, v3
	v_cndmask_b32_e32 v2, v2, v7, vcc
	v_cndmask_b32_e32 v3, v3, v6, vcc
	v_lshlrev_b32_e32 v6, 24, v8
	v_mov_b32_e32 v7, 0x3b800000
	v_lshlrev_b32_e32 v2, 20, v2
	v_and_b32_e32 v6, 0x80000000, v6
	v_lshl_add_u32 v3, v3, 23, v7
	v_or3_b32 v2, v6, v3, v2
.LBB10_708:
	s_or_b64 exec, exec, s[6:7]
	s_movk_i32 s4, 0x7f
	v_cmp_gt_i16_sdwa s[6:7], v4, s4 src0_sel:BYTE_0 src1_sel:DWORD
	s_mov_b64 s[4:5], 0
                                        ; implicit-def: $sgpr10
	s_and_saveexec_b64 s[8:9], s[6:7]
	s_xor_b64 s[6:7], exec, s[8:9]
	s_cbranch_execnz .LBB10_2757
; %bb.709:
	s_or_saveexec_b64 s[6:7], s[6:7]
	v_mov_b32_e32 v3, s10
	s_xor_b64 exec, exec, s[6:7]
	s_cbranch_execnz .LBB10_2760
.LBB10_710:
	s_or_b64 exec, exec, s[6:7]
	s_and_saveexec_b64 s[6:7], s[4:5]
	s_cbranch_execz .LBB10_712
.LBB10_711:
	v_and_b32_e32 v3, 7, v4
	v_ffbh_u32_e32 v7, v3
	v_min_u32_e32 v7, 32, v7
	v_lshrrev_b16_e32 v6, 3, v4
	v_subrev_u32_e32 v10, 28, v7
	v_and_b32_e32 v6, 15, v6
	v_lshlrev_b32_e32 v10, v10, v4
	v_sub_u32_e32 v7, 29, v7
	v_and_b32_e32 v10, 7, v10
	v_cmp_eq_u16_e32 vcc, 0, v6
	v_cndmask_b32_e32 v3, v3, v10, vcc
	v_cndmask_b32_e32 v6, v6, v7, vcc
	v_lshlrev_b32_e32 v7, 24, v4
	v_mov_b32_e32 v10, 0x3b800000
	v_lshlrev_b32_e32 v3, 20, v3
	v_and_b32_e32 v7, 0x80000000, v7
	v_lshl_add_u32 v6, v6, 23, v10
	v_or3_b32 v3, v7, v6, v3
.LBB10_712:
	s_or_b64 exec, exec, s[6:7]
	s_nop 0
	v_mfma_f32_16x16x4f32 a[0:3], v2, v3, a[0:3]
	v_lshrrev_b32_e32 v3, 8, v8
	s_movk_i32 s4, 0x7f
	v_cmp_gt_i16_sdwa s[6:7], v3, s4 src0_sel:BYTE_0 src1_sel:DWORD
	s_mov_b64 s[4:5], 0
                                        ; implicit-def: $sgpr10
	s_and_saveexec_b64 s[8:9], s[6:7]
	s_xor_b64 s[6:7], exec, s[8:9]
	s_cbranch_execnz .LBB10_2761
; %bb.713:
	s_or_saveexec_b64 s[6:7], s[6:7]
	v_mov_b32_e32 v2, s10
	s_xor_b64 exec, exec, s[6:7]
	s_cbranch_execnz .LBB10_2764
.LBB10_714:
	s_or_b64 exec, exec, s[6:7]
	s_and_saveexec_b64 s[6:7], s[4:5]
	s_cbranch_execz .LBB10_716
.LBB10_715:
	v_bfe_u32 v2, v8, 8, 3
	v_ffbh_u32_e32 v7, v2
	v_min_u32_e32 v7, 32, v7
	v_lshrrev_b16_e32 v6, 3, v3
	v_subrev_u32_e32 v10, 28, v7
	v_and_b32_e32 v6, 15, v6
	v_lshlrev_b32_e32 v3, v10, v3
	v_sub_u32_e32 v7, 29, v7
	v_and_b32_e32 v3, 7, v3
	v_cmp_eq_u16_e32 vcc, 0, v6
	v_cndmask_b32_e32 v2, v2, v3, vcc
	v_cndmask_b32_e32 v3, v6, v7, vcc
	v_lshlrev_b32_e32 v6, 16, v8
	v_mov_b32_e32 v7, 0x3b800000
	v_lshlrev_b32_e32 v2, 20, v2
	v_and_b32_e32 v6, 0x80000000, v6
	v_lshl_add_u32 v3, v3, 23, v7
	v_or3_b32 v2, v6, v3, v2
.LBB10_716:
	s_or_b64 exec, exec, s[6:7]
	v_lshrrev_b32_e32 v3, 8, v4
	s_movk_i32 s4, 0x7f
	v_cmp_gt_i16_sdwa s[6:7], v3, s4 src0_sel:BYTE_0 src1_sel:DWORD
	s_mov_b64 s[4:5], 0
                                        ; implicit-def: $sgpr10
	s_and_saveexec_b64 s[8:9], s[6:7]
	s_xor_b64 s[6:7], exec, s[8:9]
	s_cbranch_execnz .LBB10_2765
; %bb.717:
	s_or_saveexec_b64 s[6:7], s[6:7]
	v_mov_b32_e32 v6, s10
	s_xor_b64 exec, exec, s[6:7]
	s_cbranch_execnz .LBB10_2768
.LBB10_718:
	s_or_b64 exec, exec, s[6:7]
	s_and_saveexec_b64 s[6:7], s[4:5]
	s_cbranch_execz .LBB10_720
.LBB10_719:
	v_bfe_u32 v6, v4, 8, 3
	v_ffbh_u32_e32 v10, v6
	v_min_u32_e32 v10, 32, v10
	v_lshrrev_b16_e32 v7, 3, v3
	v_subrev_u32_e32 v11, 28, v10
	v_and_b32_e32 v7, 15, v7
	v_lshlrev_b32_e32 v3, v11, v3
	v_sub_u32_e32 v10, 29, v10
	v_and_b32_e32 v3, 7, v3
	v_cmp_eq_u16_e32 vcc, 0, v7
	v_cndmask_b32_e32 v3, v6, v3, vcc
	v_cndmask_b32_e32 v6, v7, v10, vcc
	v_lshlrev_b32_e32 v7, 16, v4
	v_mov_b32_e32 v10, 0x3b800000
	v_lshlrev_b32_e32 v3, 20, v3
	v_and_b32_e32 v7, 0x80000000, v7
	v_lshl_add_u32 v6, v6, 23, v10
	v_or3_b32 v6, v7, v6, v3
.LBB10_720:
	s_or_b64 exec, exec, s[6:7]
	s_nop 0
	v_mfma_f32_16x16x4f32 a[0:3], v2, v6, a[0:3]
	s_movk_i32 s4, 0xff
	v_and_b32_sdwa v3, v8, s4 dst_sel:DWORD dst_unused:UNUSED_PAD src0_sel:WORD_1 src1_sel:DWORD
	s_movk_i32 s4, 0x7f
	v_cmp_lt_i16_e32 vcc, s4, v3
	s_mov_b64 s[4:5], 0
                                        ; implicit-def: $sgpr10
	s_and_saveexec_b64 s[6:7], vcc
	s_xor_b64 s[6:7], exec, s[6:7]
	s_cbranch_execnz .LBB10_2769
; %bb.721:
	s_or_saveexec_b64 s[6:7], s[6:7]
	v_mov_b32_e32 v2, s10
	s_xor_b64 exec, exec, s[6:7]
	s_cbranch_execnz .LBB10_2772
.LBB10_722:
	s_or_b64 exec, exec, s[6:7]
	s_and_saveexec_b64 s[6:7], s[4:5]
	s_cbranch_execz .LBB10_724
.LBB10_723:
	v_bfe_u32 v2, v8, 16, 3
	v_ffbh_u32_e32 v7, v2
	v_min_u32_e32 v7, 32, v7
	v_lshrrev_b32_e32 v3, 19, v8
	v_subrev_u32_e32 v10, 28, v7
	v_and_b32_e32 v3, 15, v3
	v_lshlrev_b32_sdwa v10, v10, v8 dst_sel:DWORD dst_unused:UNUSED_PAD src0_sel:DWORD src1_sel:WORD_1
	v_bfe_u32 v6, v8, 19, 4
	v_sub_u32_e32 v7, 29, v7
	v_and_b32_e32 v10, 7, v10
	v_cmp_eq_u16_e32 vcc, 0, v3
	v_cndmask_b32_e32 v2, v2, v10, vcc
	v_cndmask_b32_e32 v3, v6, v7, vcc
	v_lshlrev_b32_e32 v6, 8, v8
	v_mov_b32_e32 v7, 0x3b800000
	v_lshlrev_b32_e32 v2, 20, v2
	v_and_b32_e32 v6, 0x80000000, v6
	v_lshl_add_u32 v3, v3, 23, v7
	v_or3_b32 v2, v6, v3, v2
.LBB10_724:
	s_or_b64 exec, exec, s[6:7]
	s_movk_i32 s4, 0xff
	v_and_b32_sdwa v3, v4, s4 dst_sel:DWORD dst_unused:UNUSED_PAD src0_sel:WORD_1 src1_sel:DWORD
	s_movk_i32 s4, 0x7f
	v_cmp_lt_i16_e32 vcc, s4, v3
	s_mov_b64 s[4:5], 0
                                        ; implicit-def: $sgpr10
	s_and_saveexec_b64 s[6:7], vcc
	s_xor_b64 s[6:7], exec, s[6:7]
	s_cbranch_execnz .LBB10_2773
; %bb.725:
	s_or_saveexec_b64 s[6:7], s[6:7]
	v_mov_b32_e32 v6, s10
	s_xor_b64 exec, exec, s[6:7]
	s_cbranch_execnz .LBB10_2776
.LBB10_726:
	s_or_b64 exec, exec, s[6:7]
	s_and_saveexec_b64 s[6:7], s[4:5]
	s_cbranch_execz .LBB10_728
.LBB10_727:
	v_bfe_u32 v3, v4, 16, 3
	v_ffbh_u32_e32 v10, v3
	v_min_u32_e32 v10, 32, v10
	v_lshrrev_b32_e32 v6, 19, v4
	v_subrev_u32_e32 v11, 28, v10
	v_and_b32_e32 v6, 15, v6
	v_lshlrev_b32_sdwa v11, v11, v4 dst_sel:DWORD dst_unused:UNUSED_PAD src0_sel:DWORD src1_sel:WORD_1
	v_bfe_u32 v7, v4, 19, 4
	v_sub_u32_e32 v10, 29, v10
	v_and_b32_e32 v11, 7, v11
	v_cmp_eq_u16_e32 vcc, 0, v6
	v_cndmask_b32_e32 v3, v3, v11, vcc
	v_cndmask_b32_e32 v6, v7, v10, vcc
	v_lshlrev_b32_e32 v7, 8, v4
	v_mov_b32_e32 v10, 0x3b800000
	v_lshlrev_b32_e32 v3, 20, v3
	v_and_b32_e32 v7, 0x80000000, v7
	v_lshl_add_u32 v6, v6, 23, v10
	v_or3_b32 v6, v7, v6, v3
.LBB10_728:
	s_or_b64 exec, exec, s[6:7]
	s_nop 0
	v_mfma_f32_16x16x4f32 a[0:3], v2, v6, a[0:3]
	s_movk_i32 s4, 0x7f
	v_cmp_gt_i16_sdwa s[6:7], v8, s4 src0_sel:BYTE_3 src1_sel:DWORD
	s_mov_b64 s[4:5], 0
                                        ; implicit-def: $sgpr10
	s_and_saveexec_b64 s[8:9], s[6:7]
	s_xor_b64 s[6:7], exec, s[8:9]
	s_cbranch_execnz .LBB10_2777
; %bb.729:
	s_or_saveexec_b64 s[6:7], s[6:7]
	v_mov_b32_e32 v2, s10
	s_xor_b64 exec, exec, s[6:7]
	s_cbranch_execnz .LBB10_2780
.LBB10_730:
	s_or_b64 exec, exec, s[6:7]
	s_and_saveexec_b64 s[6:7], s[4:5]
	s_cbranch_execz .LBB10_732
.LBB10_731:
	v_bfe_u32 v2, v8, 24, 3
	v_ffbh_u32_e32 v10, v2
	v_min_u32_e32 v10, 32, v10
	v_lshrrev_b32_e32 v6, 27, v8
	v_subrev_u32_e32 v11, 28, v10
	v_and_b32_e32 v3, 0x80000000, v8
	v_and_b32_e32 v6, 15, v6
	v_bfe_u32 v7, v8, 27, 4
	v_lshlrev_b32_sdwa v8, v11, v8 dst_sel:DWORD dst_unused:UNUSED_PAD src0_sel:DWORD src1_sel:BYTE_3
	v_sub_u32_e32 v10, 29, v10
	v_and_b32_e32 v8, 7, v8
	v_cmp_eq_u16_e32 vcc, 0, v6
	v_cndmask_b32_e32 v2, v2, v8, vcc
	v_cndmask_b32_e32 v6, v7, v10, vcc
	v_mov_b32_e32 v7, 0x3b800000
	v_lshlrev_b32_e32 v2, 20, v2
	v_lshl_add_u32 v6, v6, 23, v7
	v_or3_b32 v2, v3, v6, v2
.LBB10_732:
	s_or_b64 exec, exec, s[6:7]
	s_movk_i32 s4, 0x7f
	v_cmp_gt_i16_sdwa s[6:7], v4, s4 src0_sel:BYTE_3 src1_sel:DWORD
	s_mov_b64 s[4:5], 0
                                        ; implicit-def: $sgpr10
	s_and_saveexec_b64 s[8:9], s[6:7]
	s_xor_b64 s[6:7], exec, s[8:9]
	s_cbranch_execnz .LBB10_2781
; %bb.733:
	s_or_saveexec_b64 s[6:7], s[6:7]
	v_mov_b32_e32 v3, s10
	s_xor_b64 exec, exec, s[6:7]
	s_cbranch_execnz .LBB10_2784
.LBB10_734:
	s_or_b64 exec, exec, s[6:7]
	s_and_saveexec_b64 s[6:7], s[4:5]
	s_cbranch_execz .LBB10_736
.LBB10_735:
	v_bfe_u32 v3, v4, 24, 3
	v_ffbh_u32_e32 v10, v3
	v_min_u32_e32 v10, 32, v10
	v_lshrrev_b32_e32 v7, 27, v4
	v_subrev_u32_e32 v11, 28, v10
	v_and_b32_e32 v6, 0x80000000, v4
	v_and_b32_e32 v7, 15, v7
	v_bfe_u32 v8, v4, 27, 4
	v_lshlrev_b32_sdwa v4, v11, v4 dst_sel:DWORD dst_unused:UNUSED_PAD src0_sel:DWORD src1_sel:BYTE_3
	v_sub_u32_e32 v10, 29, v10
	v_and_b32_e32 v4, 7, v4
	v_cmp_eq_u16_e32 vcc, 0, v7
	v_cndmask_b32_e32 v3, v3, v4, vcc
	v_cndmask_b32_e32 v4, v8, v10, vcc
	v_mov_b32_e32 v7, 0x3b800000
	v_lshlrev_b32_e32 v3, 20, v3
	v_lshl_add_u32 v4, v4, 23, v7
	v_or3_b32 v3, v6, v4, v3
.LBB10_736:
	s_or_b64 exec, exec, s[6:7]
	s_nop 0
	v_mfma_f32_16x16x4f32 a[0:3], v2, v3, a[0:3]
	s_movk_i32 s4, 0x7f
	v_cmp_gt_i16_sdwa s[6:7], v9, s4 src0_sel:BYTE_0 src1_sel:DWORD
	s_mov_b64 s[4:5], 0
                                        ; implicit-def: $sgpr10
	s_and_saveexec_b64 s[8:9], s[6:7]
	s_xor_b64 s[6:7], exec, s[8:9]
	s_cbranch_execnz .LBB10_2785
; %bb.737:
	s_or_saveexec_b64 s[6:7], s[6:7]
	v_mov_b32_e32 v2, s10
	s_xor_b64 exec, exec, s[6:7]
	s_cbranch_execnz .LBB10_2788
.LBB10_738:
	s_or_b64 exec, exec, s[6:7]
	s_and_saveexec_b64 s[6:7], s[4:5]
	s_cbranch_execz .LBB10_740
.LBB10_739:
	v_mov_b32_e32 v2, 8
	v_and_b32_e32 v3, 7, v9
	v_lshrrev_b32_sdwa v2, v2, v9 dst_sel:BYTE_1 dst_unused:UNUSED_PAD src0_sel:DWORD src1_sel:DWORD
	v_ffbh_u32_e32 v4, v3
	v_or_b32_sdwa v2, v9, v2 dst_sel:DWORD dst_unused:UNUSED_PAD src0_sel:BYTE_0 src1_sel:DWORD
	v_min_u32_e32 v4, 32, v4
	v_lshrrev_b16_e32 v2, 3, v2
	v_subrev_u32_e32 v6, 28, v4
	v_and_b32_e32 v2, 15, v2
	v_lshlrev_b32_e32 v6, v6, v9
	v_sub_u32_e32 v4, 29, v4
	v_and_b32_e32 v6, 7, v6
	v_cmp_eq_u16_e32 vcc, 0, v2
	v_cndmask_b32_e32 v3, v3, v6, vcc
	v_cndmask_b32_e32 v2, v2, v4, vcc
	v_lshlrev_b32_e32 v4, 24, v9
	v_mov_b32_e32 v6, 0x3b800000
	v_lshlrev_b32_e32 v3, 20, v3
	v_and_b32_e32 v4, 0x80000000, v4
	v_lshl_add_u32 v2, v2, 23, v6
	v_or3_b32 v2, v4, v2, v3
.LBB10_740:
	s_or_b64 exec, exec, s[6:7]
	s_movk_i32 s4, 0x7f
	v_cmp_gt_i16_sdwa s[6:7], v5, s4 src0_sel:BYTE_0 src1_sel:DWORD
	s_mov_b64 s[4:5], 0
                                        ; implicit-def: $sgpr10
	s_and_saveexec_b64 s[8:9], s[6:7]
	s_xor_b64 s[6:7], exec, s[8:9]
	s_cbranch_execnz .LBB10_2789
; %bb.741:
	s_or_saveexec_b64 s[6:7], s[6:7]
	v_mov_b32_e32 v3, s10
	s_xor_b64 exec, exec, s[6:7]
	s_cbranch_execnz .LBB10_2792
.LBB10_742:
	s_or_b64 exec, exec, s[6:7]
	s_and_saveexec_b64 s[6:7], s[4:5]
	s_cbranch_execz .LBB10_744
.LBB10_743:
	v_mov_b32_e32 v3, 8
	v_and_b32_e32 v4, 7, v5
	v_lshrrev_b32_sdwa v3, v3, v5 dst_sel:BYTE_1 dst_unused:UNUSED_PAD src0_sel:DWORD src1_sel:DWORD
	v_ffbh_u32_e32 v6, v4
	v_or_b32_sdwa v3, v5, v3 dst_sel:DWORD dst_unused:UNUSED_PAD src0_sel:BYTE_0 src1_sel:DWORD
	v_min_u32_e32 v6, 32, v6
	v_lshrrev_b16_e32 v3, 3, v3
	v_subrev_u32_e32 v7, 28, v6
	v_and_b32_e32 v3, 15, v3
	v_lshlrev_b32_e32 v7, v7, v5
	v_sub_u32_e32 v6, 29, v6
	v_and_b32_e32 v7, 7, v7
	v_cmp_eq_u16_e32 vcc, 0, v3
	v_cndmask_b32_e32 v4, v4, v7, vcc
	v_cndmask_b32_e32 v3, v3, v6, vcc
	v_lshlrev_b32_e32 v6, 24, v5
	v_mov_b32_e32 v7, 0x3b800000
	v_lshlrev_b32_e32 v4, 20, v4
	v_and_b32_e32 v6, 0x80000000, v6
	v_lshl_add_u32 v3, v3, 23, v7
	v_or3_b32 v3, v6, v3, v4
.LBB10_744:
	s_or_b64 exec, exec, s[6:7]
	s_nop 0
	v_mfma_f32_16x16x4f32 a[0:3], v2, v3, a[0:3]
	v_lshrrev_b32_e32 v3, 8, v9
	s_movk_i32 s4, 0x7f
	v_cmp_gt_i16_sdwa s[6:7], v3, s4 src0_sel:BYTE_0 src1_sel:DWORD
	s_mov_b64 s[4:5], 0
                                        ; implicit-def: $sgpr10
	s_and_saveexec_b64 s[8:9], s[6:7]
	s_xor_b64 s[6:7], exec, s[8:9]
	s_cbranch_execnz .LBB10_2793
; %bb.745:
	s_or_saveexec_b64 s[6:7], s[6:7]
	v_mov_b32_e32 v2, s10
	s_xor_b64 exec, exec, s[6:7]
	s_cbranch_execnz .LBB10_2796
.LBB10_746:
	s_or_b64 exec, exec, s[6:7]
	s_and_saveexec_b64 s[6:7], s[4:5]
	s_cbranch_execz .LBB10_748
.LBB10_747:
	v_bfe_u32 v2, v9, 8, 3
	v_ffbh_u32_e32 v6, v2
	v_min_u32_e32 v6, 32, v6
	v_lshrrev_b16_e32 v4, 3, v3
	v_subrev_u32_e32 v7, 28, v6
	v_and_b32_e32 v4, 15, v4
	v_lshlrev_b32_e32 v3, v7, v3
	v_sub_u32_e32 v6, 29, v6
	v_and_b32_e32 v3, 7, v3
	v_cmp_eq_u16_e32 vcc, 0, v4
	v_cndmask_b32_e32 v2, v2, v3, vcc
	v_cndmask_b32_e32 v3, v4, v6, vcc
	v_lshlrev_b32_e32 v4, 16, v9
	v_mov_b32_e32 v6, 0x3b800000
	v_lshlrev_b32_e32 v2, 20, v2
	v_and_b32_e32 v4, 0x80000000, v4
	v_lshl_add_u32 v3, v3, 23, v6
	v_or3_b32 v2, v4, v3, v2
.LBB10_748:
	s_or_b64 exec, exec, s[6:7]
	v_lshrrev_b32_e32 v3, 8, v5
	s_movk_i32 s4, 0x7f
	v_cmp_gt_i16_sdwa s[6:7], v3, s4 src0_sel:BYTE_0 src1_sel:DWORD
	s_mov_b64 s[4:5], 0
                                        ; implicit-def: $sgpr10
	s_and_saveexec_b64 s[8:9], s[6:7]
	s_xor_b64 s[6:7], exec, s[8:9]
	s_cbranch_execnz .LBB10_2797
; %bb.749:
	s_or_saveexec_b64 s[6:7], s[6:7]
	v_mov_b32_e32 v4, s10
	s_xor_b64 exec, exec, s[6:7]
	s_cbranch_execnz .LBB10_2800
.LBB10_750:
	s_or_b64 exec, exec, s[6:7]
	s_and_saveexec_b64 s[6:7], s[4:5]
	s_cbranch_execz .LBB10_752
.LBB10_751:
	v_bfe_u32 v4, v5, 8, 3
	v_ffbh_u32_e32 v7, v4
	v_min_u32_e32 v7, 32, v7
	v_lshrrev_b16_e32 v6, 3, v3
	v_subrev_u32_e32 v8, 28, v7
	v_and_b32_e32 v6, 15, v6
	v_lshlrev_b32_e32 v3, v8, v3
	v_sub_u32_e32 v7, 29, v7
	v_and_b32_e32 v3, 7, v3
	v_cmp_eq_u16_e32 vcc, 0, v6
	v_cndmask_b32_e32 v3, v4, v3, vcc
	v_cndmask_b32_e32 v4, v6, v7, vcc
	v_lshlrev_b32_e32 v6, 16, v5
	v_mov_b32_e32 v7, 0x3b800000
	v_lshlrev_b32_e32 v3, 20, v3
	v_and_b32_e32 v6, 0x80000000, v6
	v_lshl_add_u32 v4, v4, 23, v7
	v_or3_b32 v4, v6, v4, v3
.LBB10_752:
	s_or_b64 exec, exec, s[6:7]
	s_nop 0
	v_mfma_f32_16x16x4f32 a[0:3], v2, v4, a[0:3]
	s_movk_i32 s4, 0xff
	v_and_b32_sdwa v3, v9, s4 dst_sel:DWORD dst_unused:UNUSED_PAD src0_sel:WORD_1 src1_sel:DWORD
	s_movk_i32 s4, 0x7f
	v_cmp_lt_i16_e32 vcc, s4, v3
	s_mov_b64 s[4:5], 0
                                        ; implicit-def: $sgpr10
	s_and_saveexec_b64 s[6:7], vcc
	s_xor_b64 s[6:7], exec, s[6:7]
	s_cbranch_execnz .LBB10_2801
; %bb.753:
	s_or_saveexec_b64 s[6:7], s[6:7]
	v_mov_b32_e32 v2, s10
	s_xor_b64 exec, exec, s[6:7]
	s_cbranch_execnz .LBB10_2804
.LBB10_754:
	s_or_b64 exec, exec, s[6:7]
	s_and_saveexec_b64 s[6:7], s[4:5]
	s_cbranch_execz .LBB10_756
.LBB10_755:
	v_bfe_u32 v2, v9, 16, 3
	v_ffbh_u32_e32 v6, v2
	v_min_u32_e32 v6, 32, v6
	v_lshrrev_b32_e32 v3, 19, v9
	v_subrev_u32_e32 v7, 28, v6
	v_and_b32_e32 v3, 15, v3
	v_lshlrev_b32_sdwa v7, v7, v9 dst_sel:DWORD dst_unused:UNUSED_PAD src0_sel:DWORD src1_sel:WORD_1
	v_bfe_u32 v4, v9, 19, 4
	v_sub_u32_e32 v6, 29, v6
	v_and_b32_e32 v7, 7, v7
	v_cmp_eq_u16_e32 vcc, 0, v3
	v_cndmask_b32_e32 v2, v2, v7, vcc
	v_cndmask_b32_e32 v3, v4, v6, vcc
	v_lshlrev_b32_e32 v4, 8, v9
	v_mov_b32_e32 v6, 0x3b800000
	v_lshlrev_b32_e32 v2, 20, v2
	v_and_b32_e32 v4, 0x80000000, v4
	v_lshl_add_u32 v3, v3, 23, v6
	v_or3_b32 v2, v4, v3, v2
.LBB10_756:
	s_or_b64 exec, exec, s[6:7]
	s_movk_i32 s4, 0xff
	v_and_b32_sdwa v3, v5, s4 dst_sel:DWORD dst_unused:UNUSED_PAD src0_sel:WORD_1 src1_sel:DWORD
	s_movk_i32 s4, 0x7f
	v_cmp_lt_i16_e32 vcc, s4, v3
	s_mov_b64 s[4:5], 0
                                        ; implicit-def: $sgpr10
	s_and_saveexec_b64 s[6:7], vcc
	s_xor_b64 s[6:7], exec, s[6:7]
	s_cbranch_execnz .LBB10_2805
; %bb.757:
	s_or_saveexec_b64 s[6:7], s[6:7]
	v_mov_b32_e32 v4, s10
	s_xor_b64 exec, exec, s[6:7]
	s_cbranch_execnz .LBB10_2808
.LBB10_758:
	s_or_b64 exec, exec, s[6:7]
	s_and_saveexec_b64 s[6:7], s[4:5]
	s_cbranch_execz .LBB10_760
.LBB10_759:
	v_bfe_u32 v3, v5, 16, 3
	v_ffbh_u32_e32 v7, v3
	v_min_u32_e32 v7, 32, v7
	v_lshrrev_b32_e32 v4, 19, v5
	v_subrev_u32_e32 v8, 28, v7
	v_and_b32_e32 v4, 15, v4
	v_lshlrev_b32_sdwa v8, v8, v5 dst_sel:DWORD dst_unused:UNUSED_PAD src0_sel:DWORD src1_sel:WORD_1
	v_bfe_u32 v6, v5, 19, 4
	v_sub_u32_e32 v7, 29, v7
	v_and_b32_e32 v8, 7, v8
	v_cmp_eq_u16_e32 vcc, 0, v4
	v_cndmask_b32_e32 v3, v3, v8, vcc
	v_cndmask_b32_e32 v4, v6, v7, vcc
	v_lshlrev_b32_e32 v6, 8, v5
	v_mov_b32_e32 v7, 0x3b800000
	v_lshlrev_b32_e32 v3, 20, v3
	v_and_b32_e32 v6, 0x80000000, v6
	v_lshl_add_u32 v4, v4, 23, v7
	v_or3_b32 v4, v6, v4, v3
.LBB10_760:
	s_or_b64 exec, exec, s[6:7]
	s_nop 0
	v_mfma_f32_16x16x4f32 a[0:3], v2, v4, a[0:3]
	s_movk_i32 s4, 0x7f
	v_cmp_gt_i16_sdwa s[6:7], v9, s4 src0_sel:BYTE_3 src1_sel:DWORD
	s_mov_b64 s[4:5], 0
                                        ; implicit-def: $sgpr10
	s_and_saveexec_b64 s[8:9], s[6:7]
	s_xor_b64 s[6:7], exec, s[8:9]
	s_cbranch_execnz .LBB10_2809
; %bb.761:
	s_or_saveexec_b64 s[6:7], s[6:7]
	v_mov_b32_e32 v2, s10
	s_xor_b64 exec, exec, s[6:7]
	s_cbranch_execnz .LBB10_2812
.LBB10_762:
	s_or_b64 exec, exec, s[6:7]
	s_and_saveexec_b64 s[6:7], s[4:5]
	s_cbranch_execz .LBB10_764
.LBB10_763:
	v_bfe_u32 v2, v9, 24, 3
	v_ffbh_u32_e32 v7, v2
	v_min_u32_e32 v7, 32, v7
	v_lshrrev_b32_e32 v4, 27, v9
	v_subrev_u32_e32 v8, 28, v7
	v_and_b32_e32 v4, 15, v4
	v_lshlrev_b32_sdwa v8, v8, v9 dst_sel:DWORD dst_unused:UNUSED_PAD src0_sel:DWORD src1_sel:BYTE_3
	v_bfe_u32 v6, v9, 27, 4
	v_sub_u32_e32 v7, 29, v7
	v_and_b32_e32 v8, 7, v8
	v_cmp_eq_u16_e32 vcc, 0, v4
	v_cndmask_b32_e32 v2, v2, v8, vcc
	v_cndmask_b32_e32 v4, v6, v7, vcc
	v_mov_b32_e32 v6, 0x3b800000
	v_and_b32_e32 v3, 0x80000000, v9
	v_lshlrev_b32_e32 v2, 20, v2
	v_lshl_add_u32 v4, v4, 23, v6
	v_or3_b32 v2, v3, v4, v2
.LBB10_764:
	s_or_b64 exec, exec, s[6:7]
	s_movk_i32 s4, 0x7f
	v_cmp_gt_i16_sdwa s[6:7], v5, s4 src0_sel:BYTE_3 src1_sel:DWORD
	s_mov_b64 s[4:5], 0
                                        ; implicit-def: $sgpr10
	s_and_saveexec_b64 s[8:9], s[6:7]
	s_xor_b64 s[6:7], exec, s[8:9]
	s_cbranch_execnz .LBB10_2813
; %bb.765:
	s_or_saveexec_b64 s[6:7], s[6:7]
	v_mov_b32_e32 v3, s10
	s_xor_b64 exec, exec, s[6:7]
	s_cbranch_execnz .LBB10_2816
.LBB10_766:
	s_or_b64 exec, exec, s[6:7]
	s_and_saveexec_b64 s[6:7], s[4:5]
	s_cbranch_execz .LBB10_768
.LBB10_767:
	v_bfe_u32 v3, v5, 24, 3
	v_ffbh_u32_e32 v8, v3
	v_min_u32_e32 v8, 32, v8
	v_lshrrev_b32_e32 v6, 27, v5
	v_subrev_u32_e32 v9, 28, v8
	v_and_b32_e32 v4, 0x80000000, v5
	v_and_b32_e32 v6, 15, v6
	v_bfe_u32 v7, v5, 27, 4
	v_lshlrev_b32_sdwa v5, v9, v5 dst_sel:DWORD dst_unused:UNUSED_PAD src0_sel:DWORD src1_sel:BYTE_3
	v_sub_u32_e32 v8, 29, v8
	v_and_b32_e32 v5, 7, v5
	v_cmp_eq_u16_e32 vcc, 0, v6
	v_cndmask_b32_e32 v3, v3, v5, vcc
	v_cndmask_b32_e32 v5, v7, v8, vcc
	v_mov_b32_e32 v6, 0x3b800000
	v_lshlrev_b32_e32 v3, 20, v3
	v_lshl_add_u32 v5, v5, 23, v6
	v_or3_b32 v3, v4, v5, v3
.LBB10_768:
	s_or_b64 exec, exec, s[6:7]
	s_nop 0
	v_mfma_f32_16x16x4f32 a[0:3], v2, v3, a[0:3]
	s_movk_i32 s4, 0x7f
                                        ; implicit-def: $sgpr10
	s_nop 7
	s_nop 1
	flat_store_dwordx4 v[18:19], a[0:3] offset:32
	flat_load_dwordx4 v[20:23], v[0:1] offset:16
	s_nop 0
	flat_load_dwordx2 v[18:19], v[0:1] offset:32
	s_waitcnt vmcnt(0) lgkmcnt(0)
	flat_load_dwordx4 v[14:17], v[20:21]
	flat_load_dwordx4 v[6:9], v[20:21] offset:16
	flat_load_dwordx4 v[10:13], v[22:23] offset:352
	;; [unrolled: 1-line block ×3, first 2 shown]
	s_waitcnt vmcnt(0) lgkmcnt(0)
	v_cmp_gt_i16_sdwa s[6:7], v14, s4 src0_sel:BYTE_0 src1_sel:DWORD
	s_mov_b64 s[4:5], 0
	s_and_saveexec_b64 s[8:9], s[6:7]
	s_xor_b64 s[6:7], exec, s[8:9]
	s_cbranch_execnz .LBB10_2817
; %bb.769:
	s_or_saveexec_b64 s[6:7], s[6:7]
	v_mov_b32_e32 v20, s10
	s_xor_b64 exec, exec, s[6:7]
	s_cbranch_execnz .LBB10_2820
.LBB10_770:
	s_or_b64 exec, exec, s[6:7]
	s_and_saveexec_b64 s[6:7], s[4:5]
	s_cbranch_execz .LBB10_772
.LBB10_771:
	v_and_b32_e32 v20, 7, v14
	v_ffbh_u32_e32 v22, v20
	v_min_u32_e32 v22, 32, v22
	v_lshrrev_b16_e32 v21, 3, v14
	v_subrev_u32_e32 v23, 28, v22
	v_and_b32_e32 v21, 15, v21
	v_lshlrev_b32_e32 v23, v23, v14
	v_sub_u32_e32 v22, 29, v22
	v_and_b32_e32 v23, 7, v23
	v_cmp_eq_u16_e32 vcc, 0, v21
	v_cndmask_b32_e32 v20, v20, v23, vcc
	v_cndmask_b32_e32 v21, v21, v22, vcc
	v_lshlrev_b32_e32 v22, 24, v14
	v_mov_b32_e32 v23, 0x3b800000
	v_lshlrev_b32_e32 v20, 20, v20
	v_and_b32_e32 v22, 0x80000000, v22
	v_lshl_add_u32 v21, v21, 23, v23
	v_or3_b32 v20, v22, v21, v20
.LBB10_772:
	s_or_b64 exec, exec, s[6:7]
	s_movk_i32 s4, 0x7f
	v_cmp_gt_i16_sdwa s[6:7], v10, s4 src0_sel:BYTE_0 src1_sel:DWORD
	s_mov_b64 s[4:5], 0
                                        ; implicit-def: $sgpr10
	s_and_saveexec_b64 s[8:9], s[6:7]
	s_xor_b64 s[6:7], exec, s[8:9]
	s_cbranch_execnz .LBB10_2821
; %bb.773:
	s_or_saveexec_b64 s[6:7], s[6:7]
	v_mov_b32_e32 v21, s10
	s_xor_b64 exec, exec, s[6:7]
	s_cbranch_execnz .LBB10_2824
.LBB10_774:
	s_or_b64 exec, exec, s[6:7]
	s_and_saveexec_b64 s[6:7], s[4:5]
	s_cbranch_execz .LBB10_776
.LBB10_775:
	v_and_b32_e32 v21, 7, v10
	v_ffbh_u32_e32 v23, v21
	v_min_u32_e32 v23, 32, v23
	v_lshrrev_b16_e32 v22, 3, v10
	v_subrev_u32_e32 v24, 28, v23
	v_and_b32_e32 v22, 15, v22
	v_lshlrev_b32_e32 v24, v24, v10
	v_sub_u32_e32 v23, 29, v23
	v_and_b32_e32 v24, 7, v24
	v_cmp_eq_u16_e32 vcc, 0, v22
	v_cndmask_b32_e32 v21, v21, v24, vcc
	v_cndmask_b32_e32 v22, v22, v23, vcc
	v_lshlrev_b32_e32 v23, 24, v10
	v_mov_b32_e32 v24, 0x3b800000
	v_lshlrev_b32_e32 v21, 20, v21
	v_and_b32_e32 v23, 0x80000000, v23
	v_lshl_add_u32 v22, v22, 23, v24
	v_or3_b32 v21, v23, v22, v21
.LBB10_776:
	s_or_b64 exec, exec, s[6:7]
	flat_load_dwordx4 a[0:3], v[18:19] offset:48
	s_movk_i32 s4, 0x7f
                                        ; implicit-def: $sgpr10
	s_waitcnt vmcnt(0) lgkmcnt(0)
	v_mfma_f32_16x16x4f32 a[0:3], v20, v21, a[0:3]
	v_lshrrev_b32_e32 v21, 8, v14
	v_cmp_gt_i16_sdwa s[6:7], v21, s4 src0_sel:BYTE_0 src1_sel:DWORD
	s_mov_b64 s[4:5], 0
	s_and_saveexec_b64 s[8:9], s[6:7]
	s_xor_b64 s[6:7], exec, s[8:9]
	s_cbranch_execnz .LBB10_2825
; %bb.777:
	s_or_saveexec_b64 s[6:7], s[6:7]
	v_mov_b32_e32 v20, s10
	s_xor_b64 exec, exec, s[6:7]
	s_cbranch_execnz .LBB10_2828
.LBB10_778:
	s_or_b64 exec, exec, s[6:7]
	s_and_saveexec_b64 s[6:7], s[4:5]
	s_cbranch_execz .LBB10_780
.LBB10_779:
	v_bfe_u32 v20, v14, 8, 3
	v_ffbh_u32_e32 v23, v20
	v_min_u32_e32 v23, 32, v23
	v_lshrrev_b16_e32 v22, 3, v21
	v_subrev_u32_e32 v24, 28, v23
	v_and_b32_e32 v22, 15, v22
	v_lshlrev_b32_e32 v21, v24, v21
	v_sub_u32_e32 v23, 29, v23
	v_and_b32_e32 v21, 7, v21
	v_cmp_eq_u16_e32 vcc, 0, v22
	v_cndmask_b32_e32 v20, v20, v21, vcc
	v_cndmask_b32_e32 v21, v22, v23, vcc
	v_lshlrev_b32_e32 v22, 16, v14
	v_mov_b32_e32 v23, 0x3b800000
	v_lshlrev_b32_e32 v20, 20, v20
	v_and_b32_e32 v22, 0x80000000, v22
	v_lshl_add_u32 v21, v21, 23, v23
	v_or3_b32 v20, v22, v21, v20
.LBB10_780:
	s_or_b64 exec, exec, s[6:7]
	v_lshrrev_b32_e32 v21, 8, v10
	s_movk_i32 s4, 0x7f
	v_cmp_gt_i16_sdwa s[6:7], v21, s4 src0_sel:BYTE_0 src1_sel:DWORD
	s_mov_b64 s[4:5], 0
                                        ; implicit-def: $sgpr10
	s_and_saveexec_b64 s[8:9], s[6:7]
	s_xor_b64 s[6:7], exec, s[8:9]
	s_cbranch_execnz .LBB10_2829
; %bb.781:
	s_or_saveexec_b64 s[6:7], s[6:7]
	v_mov_b32_e32 v22, s10
	s_xor_b64 exec, exec, s[6:7]
	s_cbranch_execnz .LBB10_2832
.LBB10_782:
	s_or_b64 exec, exec, s[6:7]
	s_and_saveexec_b64 s[6:7], s[4:5]
	s_cbranch_execz .LBB10_784
.LBB10_783:
	v_bfe_u32 v22, v10, 8, 3
	v_ffbh_u32_e32 v24, v22
	v_min_u32_e32 v24, 32, v24
	v_lshrrev_b16_e32 v23, 3, v21
	v_subrev_u32_e32 v25, 28, v24
	v_and_b32_e32 v23, 15, v23
	v_lshlrev_b32_e32 v21, v25, v21
	v_sub_u32_e32 v24, 29, v24
	v_and_b32_e32 v21, 7, v21
	v_cmp_eq_u16_e32 vcc, 0, v23
	v_cndmask_b32_e32 v21, v22, v21, vcc
	v_cndmask_b32_e32 v22, v23, v24, vcc
	v_lshlrev_b32_e32 v23, 16, v10
	v_mov_b32_e32 v24, 0x3b800000
	v_lshlrev_b32_e32 v21, 20, v21
	v_and_b32_e32 v23, 0x80000000, v23
	v_lshl_add_u32 v22, v22, 23, v24
	v_or3_b32 v22, v23, v22, v21
.LBB10_784:
	s_or_b64 exec, exec, s[6:7]
	s_nop 0
	v_mfma_f32_16x16x4f32 a[0:3], v20, v22, a[0:3]
	s_movk_i32 s4, 0xff
	v_and_b32_sdwa v21, v14, s4 dst_sel:DWORD dst_unused:UNUSED_PAD src0_sel:WORD_1 src1_sel:DWORD
	s_movk_i32 s4, 0x7f
	v_cmp_lt_i16_e32 vcc, s4, v21
	s_mov_b64 s[4:5], 0
                                        ; implicit-def: $sgpr10
	s_and_saveexec_b64 s[6:7], vcc
	s_xor_b64 s[6:7], exec, s[6:7]
	s_cbranch_execnz .LBB10_2833
; %bb.785:
	s_or_saveexec_b64 s[6:7], s[6:7]
	v_mov_b32_e32 v20, s10
	s_xor_b64 exec, exec, s[6:7]
	s_cbranch_execnz .LBB10_2836
.LBB10_786:
	s_or_b64 exec, exec, s[6:7]
	s_and_saveexec_b64 s[6:7], s[4:5]
	s_cbranch_execz .LBB10_788
.LBB10_787:
	v_bfe_u32 v20, v14, 16, 3
	v_ffbh_u32_e32 v23, v20
	v_min_u32_e32 v23, 32, v23
	v_lshrrev_b32_e32 v21, 19, v14
	v_subrev_u32_e32 v24, 28, v23
	v_and_b32_e32 v21, 15, v21
	v_lshlrev_b32_sdwa v24, v24, v14 dst_sel:DWORD dst_unused:UNUSED_PAD src0_sel:DWORD src1_sel:WORD_1
	v_bfe_u32 v22, v14, 19, 4
	v_sub_u32_e32 v23, 29, v23
	v_and_b32_e32 v24, 7, v24
	v_cmp_eq_u16_e32 vcc, 0, v21
	v_cndmask_b32_e32 v20, v20, v24, vcc
	v_cndmask_b32_e32 v21, v22, v23, vcc
	v_lshlrev_b32_e32 v22, 8, v14
	v_mov_b32_e32 v23, 0x3b800000
	v_lshlrev_b32_e32 v20, 20, v20
	v_and_b32_e32 v22, 0x80000000, v22
	v_lshl_add_u32 v21, v21, 23, v23
	v_or3_b32 v20, v22, v21, v20
.LBB10_788:
	s_or_b64 exec, exec, s[6:7]
	s_movk_i32 s4, 0xff
	v_and_b32_sdwa v21, v10, s4 dst_sel:DWORD dst_unused:UNUSED_PAD src0_sel:WORD_1 src1_sel:DWORD
	s_movk_i32 s4, 0x7f
	v_cmp_lt_i16_e32 vcc, s4, v21
	s_mov_b64 s[4:5], 0
                                        ; implicit-def: $sgpr10
	s_and_saveexec_b64 s[6:7], vcc
	s_xor_b64 s[6:7], exec, s[6:7]
	s_cbranch_execnz .LBB10_2837
; %bb.789:
	s_or_saveexec_b64 s[6:7], s[6:7]
	v_mov_b32_e32 v22, s10
	s_xor_b64 exec, exec, s[6:7]
	s_cbranch_execnz .LBB10_2840
.LBB10_790:
	s_or_b64 exec, exec, s[6:7]
	s_and_saveexec_b64 s[6:7], s[4:5]
	s_cbranch_execz .LBB10_792
.LBB10_791:
	v_bfe_u32 v21, v10, 16, 3
	v_ffbh_u32_e32 v24, v21
	v_min_u32_e32 v24, 32, v24
	v_lshrrev_b32_e32 v22, 19, v10
	v_subrev_u32_e32 v25, 28, v24
	v_and_b32_e32 v22, 15, v22
	v_lshlrev_b32_sdwa v25, v25, v10 dst_sel:DWORD dst_unused:UNUSED_PAD src0_sel:DWORD src1_sel:WORD_1
	v_bfe_u32 v23, v10, 19, 4
	v_sub_u32_e32 v24, 29, v24
	v_and_b32_e32 v25, 7, v25
	v_cmp_eq_u16_e32 vcc, 0, v22
	v_cndmask_b32_e32 v21, v21, v25, vcc
	v_cndmask_b32_e32 v22, v23, v24, vcc
	v_lshlrev_b32_e32 v23, 8, v10
	v_mov_b32_e32 v24, 0x3b800000
	v_lshlrev_b32_e32 v21, 20, v21
	v_and_b32_e32 v23, 0x80000000, v23
	v_lshl_add_u32 v22, v22, 23, v24
	v_or3_b32 v22, v23, v22, v21
.LBB10_792:
	s_or_b64 exec, exec, s[6:7]
	s_nop 0
	v_mfma_f32_16x16x4f32 a[0:3], v20, v22, a[0:3]
	s_movk_i32 s4, 0x7f
	v_cmp_gt_i16_sdwa s[6:7], v14, s4 src0_sel:BYTE_3 src1_sel:DWORD
	s_mov_b64 s[4:5], 0
                                        ; implicit-def: $sgpr10
	s_and_saveexec_b64 s[8:9], s[6:7]
	s_xor_b64 s[6:7], exec, s[8:9]
	s_cbranch_execnz .LBB10_2841
; %bb.793:
	s_or_saveexec_b64 s[6:7], s[6:7]
	v_mov_b32_e32 v20, s10
	s_xor_b64 exec, exec, s[6:7]
	s_cbranch_execnz .LBB10_2844
.LBB10_794:
	s_or_b64 exec, exec, s[6:7]
	s_and_saveexec_b64 s[6:7], s[4:5]
	s_cbranch_execz .LBB10_796
.LBB10_795:
	v_bfe_u32 v20, v14, 24, 3
	v_ffbh_u32_e32 v24, v20
	v_min_u32_e32 v24, 32, v24
	v_lshrrev_b32_e32 v22, 27, v14
	v_subrev_u32_e32 v25, 28, v24
	v_and_b32_e32 v21, 0x80000000, v14
	v_and_b32_e32 v22, 15, v22
	v_bfe_u32 v23, v14, 27, 4
	v_lshlrev_b32_sdwa v14, v25, v14 dst_sel:DWORD dst_unused:UNUSED_PAD src0_sel:DWORD src1_sel:BYTE_3
	v_sub_u32_e32 v24, 29, v24
	v_and_b32_e32 v14, 7, v14
	v_cmp_eq_u16_e32 vcc, 0, v22
	v_cndmask_b32_e32 v14, v20, v14, vcc
	v_cndmask_b32_e32 v20, v23, v24, vcc
	v_mov_b32_e32 v22, 0x3b800000
	v_lshlrev_b32_e32 v14, 20, v14
	v_lshl_add_u32 v20, v20, 23, v22
	v_or3_b32 v20, v21, v20, v14
.LBB10_796:
	s_or_b64 exec, exec, s[6:7]
	s_movk_i32 s4, 0x7f
	v_cmp_gt_i16_sdwa s[6:7], v10, s4 src0_sel:BYTE_3 src1_sel:DWORD
	s_mov_b64 s[4:5], 0
                                        ; implicit-def: $sgpr10
	s_and_saveexec_b64 s[8:9], s[6:7]
	s_xor_b64 s[6:7], exec, s[8:9]
	s_cbranch_execnz .LBB10_2845
; %bb.797:
	s_or_saveexec_b64 s[6:7], s[6:7]
	v_mov_b32_e32 v14, s10
	s_xor_b64 exec, exec, s[6:7]
	s_cbranch_execnz .LBB10_2848
.LBB10_798:
	s_or_b64 exec, exec, s[6:7]
	s_and_saveexec_b64 s[6:7], s[4:5]
	s_cbranch_execz .LBB10_800
.LBB10_799:
	v_bfe_u32 v14, v10, 24, 3
	v_ffbh_u32_e32 v24, v14
	v_min_u32_e32 v24, 32, v24
	v_lshrrev_b32_e32 v22, 27, v10
	v_subrev_u32_e32 v25, 28, v24
	v_and_b32_e32 v21, 0x80000000, v10
	v_and_b32_e32 v22, 15, v22
	v_bfe_u32 v23, v10, 27, 4
	v_lshlrev_b32_sdwa v10, v25, v10 dst_sel:DWORD dst_unused:UNUSED_PAD src0_sel:DWORD src1_sel:BYTE_3
	v_sub_u32_e32 v24, 29, v24
	v_and_b32_e32 v10, 7, v10
	v_cmp_eq_u16_e32 vcc, 0, v22
	v_cndmask_b32_e32 v10, v14, v10, vcc
	v_cndmask_b32_e32 v14, v23, v24, vcc
	v_mov_b32_e32 v22, 0x3b800000
	v_lshlrev_b32_e32 v10, 20, v10
	v_lshl_add_u32 v14, v14, 23, v22
	v_or3_b32 v14, v21, v14, v10
.LBB10_800:
	s_or_b64 exec, exec, s[6:7]
	s_nop 0
	v_mfma_f32_16x16x4f32 a[0:3], v20, v14, a[0:3]
	s_movk_i32 s4, 0x7f
	v_cmp_gt_i16_sdwa s[6:7], v15, s4 src0_sel:BYTE_0 src1_sel:DWORD
	s_mov_b64 s[4:5], 0
                                        ; implicit-def: $sgpr10
	s_and_saveexec_b64 s[8:9], s[6:7]
	s_xor_b64 s[6:7], exec, s[8:9]
	s_cbranch_execnz .LBB10_2849
; %bb.801:
	s_or_saveexec_b64 s[6:7], s[6:7]
	v_mov_b32_e32 v10, s10
	s_xor_b64 exec, exec, s[6:7]
	s_cbranch_execnz .LBB10_2852
.LBB10_802:
	s_or_b64 exec, exec, s[6:7]
	s_and_saveexec_b64 s[6:7], s[4:5]
	s_cbranch_execz .LBB10_804
.LBB10_803:
	v_and_b32_e32 v10, 7, v15
	v_ffbh_u32_e32 v20, v10
	v_min_u32_e32 v20, 32, v20
	v_lshrrev_b16_e32 v14, 3, v15
	v_subrev_u32_e32 v21, 28, v20
	v_and_b32_e32 v14, 15, v14
	v_lshlrev_b32_e32 v21, v21, v15
	v_sub_u32_e32 v20, 29, v20
	v_and_b32_e32 v21, 7, v21
	v_cmp_eq_u16_e32 vcc, 0, v14
	v_cndmask_b32_e32 v10, v10, v21, vcc
	v_cndmask_b32_e32 v14, v14, v20, vcc
	v_lshlrev_b32_e32 v20, 24, v15
	v_mov_b32_e32 v21, 0x3b800000
	v_lshlrev_b32_e32 v10, 20, v10
	v_and_b32_e32 v20, 0x80000000, v20
	v_lshl_add_u32 v14, v14, 23, v21
	v_or3_b32 v10, v20, v14, v10
.LBB10_804:
	s_or_b64 exec, exec, s[6:7]
	s_movk_i32 s4, 0x7f
	v_cmp_gt_i16_sdwa s[6:7], v11, s4 src0_sel:BYTE_0 src1_sel:DWORD
	s_mov_b64 s[4:5], 0
                                        ; implicit-def: $sgpr10
	s_and_saveexec_b64 s[8:9], s[6:7]
	s_xor_b64 s[6:7], exec, s[8:9]
	s_cbranch_execnz .LBB10_2853
; %bb.805:
	s_or_saveexec_b64 s[6:7], s[6:7]
	v_mov_b32_e32 v14, s10
	s_xor_b64 exec, exec, s[6:7]
	s_cbranch_execnz .LBB10_2856
.LBB10_806:
	s_or_b64 exec, exec, s[6:7]
	s_and_saveexec_b64 s[6:7], s[4:5]
	s_cbranch_execz .LBB10_808
.LBB10_807:
	v_and_b32_e32 v14, 7, v11
	v_ffbh_u32_e32 v21, v14
	v_min_u32_e32 v21, 32, v21
	v_lshrrev_b16_e32 v20, 3, v11
	v_subrev_u32_e32 v22, 28, v21
	v_and_b32_e32 v20, 15, v20
	v_lshlrev_b32_e32 v22, v22, v11
	v_sub_u32_e32 v21, 29, v21
	v_and_b32_e32 v22, 7, v22
	v_cmp_eq_u16_e32 vcc, 0, v20
	v_cndmask_b32_e32 v14, v14, v22, vcc
	v_cndmask_b32_e32 v20, v20, v21, vcc
	v_lshlrev_b32_e32 v21, 24, v11
	v_mov_b32_e32 v22, 0x3b800000
	v_lshlrev_b32_e32 v14, 20, v14
	v_and_b32_e32 v21, 0x80000000, v21
	v_lshl_add_u32 v20, v20, 23, v22
	v_or3_b32 v14, v21, v20, v14
.LBB10_808:
	s_or_b64 exec, exec, s[6:7]
	s_nop 0
	v_mfma_f32_16x16x4f32 a[0:3], v10, v14, a[0:3]
	v_lshrrev_b32_e32 v14, 8, v15
	s_movk_i32 s4, 0x7f
	v_cmp_gt_i16_sdwa s[6:7], v14, s4 src0_sel:BYTE_0 src1_sel:DWORD
	s_mov_b64 s[4:5], 0
                                        ; implicit-def: $sgpr10
	s_and_saveexec_b64 s[8:9], s[6:7]
	s_xor_b64 s[6:7], exec, s[8:9]
	s_cbranch_execnz .LBB10_2857
; %bb.809:
	s_or_saveexec_b64 s[6:7], s[6:7]
	v_mov_b32_e32 v10, s10
	s_xor_b64 exec, exec, s[6:7]
	s_cbranch_execnz .LBB10_2860
.LBB10_810:
	s_or_b64 exec, exec, s[6:7]
	s_and_saveexec_b64 s[6:7], s[4:5]
	s_cbranch_execz .LBB10_812
.LBB10_811:
	v_bfe_u32 v10, v15, 8, 3
	v_ffbh_u32_e32 v21, v10
	v_min_u32_e32 v21, 32, v21
	v_lshrrev_b16_e32 v20, 3, v14
	v_subrev_u32_e32 v22, 28, v21
	v_and_b32_e32 v20, 15, v20
	v_lshlrev_b32_e32 v14, v22, v14
	v_sub_u32_e32 v21, 29, v21
	v_and_b32_e32 v14, 7, v14
	v_cmp_eq_u16_e32 vcc, 0, v20
	v_cndmask_b32_e32 v10, v10, v14, vcc
	v_cndmask_b32_e32 v14, v20, v21, vcc
	v_lshlrev_b32_e32 v20, 16, v15
	v_mov_b32_e32 v21, 0x3b800000
	v_lshlrev_b32_e32 v10, 20, v10
	v_and_b32_e32 v20, 0x80000000, v20
	v_lshl_add_u32 v14, v14, 23, v21
	v_or3_b32 v10, v20, v14, v10
.LBB10_812:
	s_or_b64 exec, exec, s[6:7]
	v_lshrrev_b32_e32 v14, 8, v11
	s_movk_i32 s4, 0x7f
	v_cmp_gt_i16_sdwa s[6:7], v14, s4 src0_sel:BYTE_0 src1_sel:DWORD
	s_mov_b64 s[4:5], 0
                                        ; implicit-def: $sgpr10
	s_and_saveexec_b64 s[8:9], s[6:7]
	s_xor_b64 s[6:7], exec, s[8:9]
	s_cbranch_execnz .LBB10_2861
; %bb.813:
	s_or_saveexec_b64 s[6:7], s[6:7]
	v_mov_b32_e32 v20, s10
	s_xor_b64 exec, exec, s[6:7]
	s_cbranch_execnz .LBB10_2864
.LBB10_814:
	s_or_b64 exec, exec, s[6:7]
	s_and_saveexec_b64 s[6:7], s[4:5]
	s_cbranch_execz .LBB10_816
.LBB10_815:
	v_bfe_u32 v20, v11, 8, 3
	v_ffbh_u32_e32 v22, v20
	v_min_u32_e32 v22, 32, v22
	v_lshrrev_b16_e32 v21, 3, v14
	v_subrev_u32_e32 v23, 28, v22
	v_and_b32_e32 v21, 15, v21
	v_lshlrev_b32_e32 v14, v23, v14
	v_sub_u32_e32 v22, 29, v22
	v_and_b32_e32 v14, 7, v14
	v_cmp_eq_u16_e32 vcc, 0, v21
	v_cndmask_b32_e32 v14, v20, v14, vcc
	v_cndmask_b32_e32 v20, v21, v22, vcc
	v_lshlrev_b32_e32 v21, 16, v11
	v_mov_b32_e32 v22, 0x3b800000
	v_lshlrev_b32_e32 v14, 20, v14
	v_and_b32_e32 v21, 0x80000000, v21
	v_lshl_add_u32 v20, v20, 23, v22
	v_or3_b32 v20, v21, v20, v14
.LBB10_816:
	s_or_b64 exec, exec, s[6:7]
	s_nop 0
	v_mfma_f32_16x16x4f32 a[0:3], v10, v20, a[0:3]
	s_movk_i32 s4, 0xff
	v_and_b32_sdwa v14, v15, s4 dst_sel:DWORD dst_unused:UNUSED_PAD src0_sel:WORD_1 src1_sel:DWORD
	s_movk_i32 s4, 0x7f
	v_cmp_lt_i16_e32 vcc, s4, v14
	s_mov_b64 s[4:5], 0
                                        ; implicit-def: $sgpr10
	s_and_saveexec_b64 s[6:7], vcc
	s_xor_b64 s[6:7], exec, s[6:7]
	s_cbranch_execnz .LBB10_2865
; %bb.817:
	s_or_saveexec_b64 s[6:7], s[6:7]
	v_mov_b32_e32 v10, s10
	s_xor_b64 exec, exec, s[6:7]
	s_cbranch_execnz .LBB10_2868
.LBB10_818:
	s_or_b64 exec, exec, s[6:7]
	s_and_saveexec_b64 s[6:7], s[4:5]
	s_cbranch_execz .LBB10_820
.LBB10_819:
	v_bfe_u32 v10, v15, 16, 3
	v_ffbh_u32_e32 v21, v10
	v_min_u32_e32 v21, 32, v21
	v_lshrrev_b32_e32 v14, 19, v15
	v_subrev_u32_e32 v22, 28, v21
	v_and_b32_e32 v14, 15, v14
	v_lshlrev_b32_sdwa v22, v22, v15 dst_sel:DWORD dst_unused:UNUSED_PAD src0_sel:DWORD src1_sel:WORD_1
	v_bfe_u32 v20, v15, 19, 4
	v_sub_u32_e32 v21, 29, v21
	v_and_b32_e32 v22, 7, v22
	v_cmp_eq_u16_e32 vcc, 0, v14
	v_cndmask_b32_e32 v10, v10, v22, vcc
	v_cndmask_b32_e32 v14, v20, v21, vcc
	v_lshlrev_b32_e32 v20, 8, v15
	v_mov_b32_e32 v21, 0x3b800000
	v_lshlrev_b32_e32 v10, 20, v10
	v_and_b32_e32 v20, 0x80000000, v20
	v_lshl_add_u32 v14, v14, 23, v21
	v_or3_b32 v10, v20, v14, v10
.LBB10_820:
	s_or_b64 exec, exec, s[6:7]
	s_movk_i32 s4, 0xff
	v_and_b32_sdwa v14, v11, s4 dst_sel:DWORD dst_unused:UNUSED_PAD src0_sel:WORD_1 src1_sel:DWORD
	s_movk_i32 s4, 0x7f
	v_cmp_lt_i16_e32 vcc, s4, v14
	s_mov_b64 s[4:5], 0
                                        ; implicit-def: $sgpr10
	s_and_saveexec_b64 s[6:7], vcc
	s_xor_b64 s[6:7], exec, s[6:7]
	s_cbranch_execnz .LBB10_2869
; %bb.821:
	s_or_saveexec_b64 s[6:7], s[6:7]
	v_mov_b32_e32 v20, s10
	s_xor_b64 exec, exec, s[6:7]
	s_cbranch_execnz .LBB10_2872
.LBB10_822:
	s_or_b64 exec, exec, s[6:7]
	s_and_saveexec_b64 s[6:7], s[4:5]
	s_cbranch_execz .LBB10_824
.LBB10_823:
	v_bfe_u32 v14, v11, 16, 3
	v_ffbh_u32_e32 v22, v14
	v_min_u32_e32 v22, 32, v22
	v_lshrrev_b32_e32 v20, 19, v11
	v_subrev_u32_e32 v23, 28, v22
	v_and_b32_e32 v20, 15, v20
	v_lshlrev_b32_sdwa v23, v23, v11 dst_sel:DWORD dst_unused:UNUSED_PAD src0_sel:DWORD src1_sel:WORD_1
	v_bfe_u32 v21, v11, 19, 4
	v_sub_u32_e32 v22, 29, v22
	v_and_b32_e32 v23, 7, v23
	v_cmp_eq_u16_e32 vcc, 0, v20
	v_cndmask_b32_e32 v14, v14, v23, vcc
	v_cndmask_b32_e32 v20, v21, v22, vcc
	v_lshlrev_b32_e32 v21, 8, v11
	v_mov_b32_e32 v22, 0x3b800000
	v_lshlrev_b32_e32 v14, 20, v14
	v_and_b32_e32 v21, 0x80000000, v21
	v_lshl_add_u32 v20, v20, 23, v22
	v_or3_b32 v20, v21, v20, v14
.LBB10_824:
	s_or_b64 exec, exec, s[6:7]
	s_nop 0
	v_mfma_f32_16x16x4f32 a[0:3], v10, v20, a[0:3]
	s_movk_i32 s4, 0x7f
	v_cmp_gt_i16_sdwa s[6:7], v15, s4 src0_sel:BYTE_3 src1_sel:DWORD
	s_mov_b64 s[4:5], 0
                                        ; implicit-def: $sgpr10
	s_and_saveexec_b64 s[8:9], s[6:7]
	s_xor_b64 s[6:7], exec, s[8:9]
	s_cbranch_execnz .LBB10_2873
; %bb.825:
	s_or_saveexec_b64 s[6:7], s[6:7]
	v_mov_b32_e32 v10, s10
	s_xor_b64 exec, exec, s[6:7]
	s_cbranch_execnz .LBB10_2876
.LBB10_826:
	s_or_b64 exec, exec, s[6:7]
	s_and_saveexec_b64 s[6:7], s[4:5]
	s_cbranch_execz .LBB10_828
.LBB10_827:
	v_bfe_u32 v10, v15, 24, 3
	v_ffbh_u32_e32 v22, v10
	v_min_u32_e32 v22, 32, v22
	v_lshrrev_b32_e32 v20, 27, v15
	v_subrev_u32_e32 v23, 28, v22
	v_and_b32_e32 v14, 0x80000000, v15
	v_and_b32_e32 v20, 15, v20
	v_bfe_u32 v21, v15, 27, 4
	v_lshlrev_b32_sdwa v15, v23, v15 dst_sel:DWORD dst_unused:UNUSED_PAD src0_sel:DWORD src1_sel:BYTE_3
	v_sub_u32_e32 v22, 29, v22
	v_and_b32_e32 v15, 7, v15
	v_cmp_eq_u16_e32 vcc, 0, v20
	v_cndmask_b32_e32 v10, v10, v15, vcc
	v_cndmask_b32_e32 v15, v21, v22, vcc
	v_mov_b32_e32 v20, 0x3b800000
	v_lshlrev_b32_e32 v10, 20, v10
	v_lshl_add_u32 v15, v15, 23, v20
	v_or3_b32 v10, v14, v15, v10
.LBB10_828:
	s_or_b64 exec, exec, s[6:7]
	s_movk_i32 s4, 0x7f
	v_cmp_gt_i16_sdwa s[6:7], v11, s4 src0_sel:BYTE_3 src1_sel:DWORD
	s_mov_b64 s[4:5], 0
                                        ; implicit-def: $sgpr10
	s_and_saveexec_b64 s[8:9], s[6:7]
	s_xor_b64 s[6:7], exec, s[8:9]
	s_cbranch_execnz .LBB10_2877
; %bb.829:
	s_or_saveexec_b64 s[6:7], s[6:7]
	v_mov_b32_e32 v14, s10
	s_xor_b64 exec, exec, s[6:7]
	s_cbranch_execnz .LBB10_2880
.LBB10_830:
	s_or_b64 exec, exec, s[6:7]
	s_and_saveexec_b64 s[6:7], s[4:5]
	s_cbranch_execz .LBB10_832
.LBB10_831:
	v_bfe_u32 v14, v11, 24, 3
	v_ffbh_u32_e32 v22, v14
	v_min_u32_e32 v22, 32, v22
	v_lshrrev_b32_e32 v20, 27, v11
	v_subrev_u32_e32 v23, 28, v22
	v_and_b32_e32 v15, 0x80000000, v11
	v_and_b32_e32 v20, 15, v20
	v_bfe_u32 v21, v11, 27, 4
	v_lshlrev_b32_sdwa v11, v23, v11 dst_sel:DWORD dst_unused:UNUSED_PAD src0_sel:DWORD src1_sel:BYTE_3
	v_sub_u32_e32 v22, 29, v22
	v_and_b32_e32 v11, 7, v11
	v_cmp_eq_u16_e32 vcc, 0, v20
	v_cndmask_b32_e32 v11, v14, v11, vcc
	v_cndmask_b32_e32 v14, v21, v22, vcc
	v_mov_b32_e32 v20, 0x3b800000
	v_lshlrev_b32_e32 v11, 20, v11
	v_lshl_add_u32 v14, v14, 23, v20
	v_or3_b32 v14, v15, v14, v11
.LBB10_832:
	s_or_b64 exec, exec, s[6:7]
	s_nop 0
	v_mfma_f32_16x16x4f32 a[0:3], v10, v14, a[0:3]
	s_movk_i32 s4, 0x7f
	v_cmp_gt_i16_sdwa s[6:7], v16, s4 src0_sel:BYTE_0 src1_sel:DWORD
	s_mov_b64 s[4:5], 0
                                        ; implicit-def: $sgpr10
	s_and_saveexec_b64 s[8:9], s[6:7]
	s_xor_b64 s[6:7], exec, s[8:9]
	s_cbranch_execnz .LBB10_2881
; %bb.833:
	s_or_saveexec_b64 s[6:7], s[6:7]
	v_mov_b32_e32 v10, s10
	s_xor_b64 exec, exec, s[6:7]
	s_cbranch_execnz .LBB10_2884
.LBB10_834:
	s_or_b64 exec, exec, s[6:7]
	s_and_saveexec_b64 s[6:7], s[4:5]
	s_cbranch_execz .LBB10_836
.LBB10_835:
	v_and_b32_e32 v10, 7, v16
	v_ffbh_u32_e32 v14, v10
	v_min_u32_e32 v14, 32, v14
	v_lshrrev_b16_e32 v11, 3, v16
	v_subrev_u32_e32 v15, 28, v14
	v_and_b32_e32 v11, 15, v11
	v_lshlrev_b32_e32 v15, v15, v16
	v_sub_u32_e32 v14, 29, v14
	v_and_b32_e32 v15, 7, v15
	v_cmp_eq_u16_e32 vcc, 0, v11
	v_cndmask_b32_e32 v10, v10, v15, vcc
	v_cndmask_b32_e32 v11, v11, v14, vcc
	v_lshlrev_b32_e32 v14, 24, v16
	v_mov_b32_e32 v15, 0x3b800000
	v_lshlrev_b32_e32 v10, 20, v10
	v_and_b32_e32 v14, 0x80000000, v14
	v_lshl_add_u32 v11, v11, 23, v15
	v_or3_b32 v10, v14, v11, v10
.LBB10_836:
	s_or_b64 exec, exec, s[6:7]
	s_movk_i32 s4, 0x7f
	v_cmp_gt_i16_sdwa s[6:7], v12, s4 src0_sel:BYTE_0 src1_sel:DWORD
	s_mov_b64 s[4:5], 0
                                        ; implicit-def: $sgpr10
	s_and_saveexec_b64 s[8:9], s[6:7]
	s_xor_b64 s[6:7], exec, s[8:9]
	s_cbranch_execnz .LBB10_2885
; %bb.837:
	s_or_saveexec_b64 s[6:7], s[6:7]
	v_mov_b32_e32 v11, s10
	s_xor_b64 exec, exec, s[6:7]
	s_cbranch_execnz .LBB10_2888
.LBB10_838:
	s_or_b64 exec, exec, s[6:7]
	s_and_saveexec_b64 s[6:7], s[4:5]
	s_cbranch_execz .LBB10_840
.LBB10_839:
	v_and_b32_e32 v11, 7, v12
	v_ffbh_u32_e32 v15, v11
	v_min_u32_e32 v15, 32, v15
	v_lshrrev_b16_e32 v14, 3, v12
	v_subrev_u32_e32 v20, 28, v15
	v_and_b32_e32 v14, 15, v14
	v_lshlrev_b32_e32 v20, v20, v12
	v_sub_u32_e32 v15, 29, v15
	v_and_b32_e32 v20, 7, v20
	v_cmp_eq_u16_e32 vcc, 0, v14
	v_cndmask_b32_e32 v11, v11, v20, vcc
	v_cndmask_b32_e32 v14, v14, v15, vcc
	v_lshlrev_b32_e32 v15, 24, v12
	v_mov_b32_e32 v20, 0x3b800000
	v_lshlrev_b32_e32 v11, 20, v11
	v_and_b32_e32 v15, 0x80000000, v15
	v_lshl_add_u32 v14, v14, 23, v20
	v_or3_b32 v11, v15, v14, v11
.LBB10_840:
	s_or_b64 exec, exec, s[6:7]
	s_nop 0
	v_mfma_f32_16x16x4f32 a[0:3], v10, v11, a[0:3]
	v_lshrrev_b32_e32 v11, 8, v16
	s_movk_i32 s4, 0x7f
	v_cmp_gt_i16_sdwa s[6:7], v11, s4 src0_sel:BYTE_0 src1_sel:DWORD
	s_mov_b64 s[4:5], 0
                                        ; implicit-def: $sgpr10
	s_and_saveexec_b64 s[8:9], s[6:7]
	s_xor_b64 s[6:7], exec, s[8:9]
	s_cbranch_execnz .LBB10_2889
; %bb.841:
	s_or_saveexec_b64 s[6:7], s[6:7]
	v_mov_b32_e32 v10, s10
	s_xor_b64 exec, exec, s[6:7]
	s_cbranch_execnz .LBB10_2892
.LBB10_842:
	s_or_b64 exec, exec, s[6:7]
	s_and_saveexec_b64 s[6:7], s[4:5]
	s_cbranch_execz .LBB10_844
.LBB10_843:
	v_bfe_u32 v10, v16, 8, 3
	v_ffbh_u32_e32 v15, v10
	v_min_u32_e32 v15, 32, v15
	v_lshrrev_b16_e32 v14, 3, v11
	v_subrev_u32_e32 v20, 28, v15
	v_and_b32_e32 v14, 15, v14
	v_lshlrev_b32_e32 v11, v20, v11
	v_sub_u32_e32 v15, 29, v15
	v_and_b32_e32 v11, 7, v11
	v_cmp_eq_u16_e32 vcc, 0, v14
	v_cndmask_b32_e32 v10, v10, v11, vcc
	v_cndmask_b32_e32 v11, v14, v15, vcc
	v_lshlrev_b32_e32 v14, 16, v16
	v_mov_b32_e32 v15, 0x3b800000
	v_lshlrev_b32_e32 v10, 20, v10
	v_and_b32_e32 v14, 0x80000000, v14
	v_lshl_add_u32 v11, v11, 23, v15
	v_or3_b32 v10, v14, v11, v10
.LBB10_844:
	s_or_b64 exec, exec, s[6:7]
	v_lshrrev_b32_e32 v11, 8, v12
	s_movk_i32 s4, 0x7f
	v_cmp_gt_i16_sdwa s[6:7], v11, s4 src0_sel:BYTE_0 src1_sel:DWORD
	s_mov_b64 s[4:5], 0
                                        ; implicit-def: $sgpr10
	s_and_saveexec_b64 s[8:9], s[6:7]
	s_xor_b64 s[6:7], exec, s[8:9]
	s_cbranch_execnz .LBB10_2893
; %bb.845:
	s_or_saveexec_b64 s[6:7], s[6:7]
	v_mov_b32_e32 v14, s10
	s_xor_b64 exec, exec, s[6:7]
	s_cbranch_execnz .LBB10_2896
.LBB10_846:
	s_or_b64 exec, exec, s[6:7]
	s_and_saveexec_b64 s[6:7], s[4:5]
	s_cbranch_execz .LBB10_848
.LBB10_847:
	v_bfe_u32 v14, v12, 8, 3
	v_ffbh_u32_e32 v20, v14
	v_min_u32_e32 v20, 32, v20
	v_lshrrev_b16_e32 v15, 3, v11
	v_subrev_u32_e32 v21, 28, v20
	v_and_b32_e32 v15, 15, v15
	v_lshlrev_b32_e32 v11, v21, v11
	v_sub_u32_e32 v20, 29, v20
	v_and_b32_e32 v11, 7, v11
	v_cmp_eq_u16_e32 vcc, 0, v15
	v_cndmask_b32_e32 v11, v14, v11, vcc
	v_cndmask_b32_e32 v14, v15, v20, vcc
	v_lshlrev_b32_e32 v15, 16, v12
	v_mov_b32_e32 v20, 0x3b800000
	v_lshlrev_b32_e32 v11, 20, v11
	v_and_b32_e32 v15, 0x80000000, v15
	v_lshl_add_u32 v14, v14, 23, v20
	v_or3_b32 v14, v15, v14, v11
.LBB10_848:
	s_or_b64 exec, exec, s[6:7]
	s_nop 0
	v_mfma_f32_16x16x4f32 a[0:3], v10, v14, a[0:3]
	s_movk_i32 s4, 0xff
	v_and_b32_sdwa v11, v16, s4 dst_sel:DWORD dst_unused:UNUSED_PAD src0_sel:WORD_1 src1_sel:DWORD
	s_movk_i32 s4, 0x7f
	v_cmp_lt_i16_e32 vcc, s4, v11
	s_mov_b64 s[4:5], 0
                                        ; implicit-def: $sgpr10
	s_and_saveexec_b64 s[6:7], vcc
	s_xor_b64 s[6:7], exec, s[6:7]
	s_cbranch_execnz .LBB10_2897
; %bb.849:
	s_or_saveexec_b64 s[6:7], s[6:7]
	v_mov_b32_e32 v10, s10
	s_xor_b64 exec, exec, s[6:7]
	s_cbranch_execnz .LBB10_2900
.LBB10_850:
	s_or_b64 exec, exec, s[6:7]
	s_and_saveexec_b64 s[6:7], s[4:5]
	s_cbranch_execz .LBB10_852
.LBB10_851:
	v_bfe_u32 v10, v16, 16, 3
	v_ffbh_u32_e32 v15, v10
	v_min_u32_e32 v15, 32, v15
	v_lshrrev_b32_e32 v11, 19, v16
	v_subrev_u32_e32 v20, 28, v15
	v_and_b32_e32 v11, 15, v11
	v_lshlrev_b32_sdwa v20, v20, v16 dst_sel:DWORD dst_unused:UNUSED_PAD src0_sel:DWORD src1_sel:WORD_1
	v_bfe_u32 v14, v16, 19, 4
	v_sub_u32_e32 v15, 29, v15
	v_and_b32_e32 v20, 7, v20
	v_cmp_eq_u16_e32 vcc, 0, v11
	v_cndmask_b32_e32 v10, v10, v20, vcc
	v_cndmask_b32_e32 v11, v14, v15, vcc
	v_lshlrev_b32_e32 v14, 8, v16
	v_mov_b32_e32 v15, 0x3b800000
	v_lshlrev_b32_e32 v10, 20, v10
	v_and_b32_e32 v14, 0x80000000, v14
	v_lshl_add_u32 v11, v11, 23, v15
	v_or3_b32 v10, v14, v11, v10
.LBB10_852:
	s_or_b64 exec, exec, s[6:7]
	s_movk_i32 s4, 0xff
	v_and_b32_sdwa v11, v12, s4 dst_sel:DWORD dst_unused:UNUSED_PAD src0_sel:WORD_1 src1_sel:DWORD
	s_movk_i32 s4, 0x7f
	v_cmp_lt_i16_e32 vcc, s4, v11
	s_mov_b64 s[4:5], 0
                                        ; implicit-def: $sgpr10
	s_and_saveexec_b64 s[6:7], vcc
	s_xor_b64 s[6:7], exec, s[6:7]
	s_cbranch_execnz .LBB10_2901
; %bb.853:
	s_or_saveexec_b64 s[6:7], s[6:7]
	v_mov_b32_e32 v14, s10
	s_xor_b64 exec, exec, s[6:7]
	s_cbranch_execnz .LBB10_2904
.LBB10_854:
	s_or_b64 exec, exec, s[6:7]
	s_and_saveexec_b64 s[6:7], s[4:5]
	s_cbranch_execz .LBB10_856
.LBB10_855:
	v_bfe_u32 v11, v12, 16, 3
	v_ffbh_u32_e32 v20, v11
	v_min_u32_e32 v20, 32, v20
	v_lshrrev_b32_e32 v14, 19, v12
	v_subrev_u32_e32 v21, 28, v20
	v_and_b32_e32 v14, 15, v14
	v_lshlrev_b32_sdwa v21, v21, v12 dst_sel:DWORD dst_unused:UNUSED_PAD src0_sel:DWORD src1_sel:WORD_1
	v_bfe_u32 v15, v12, 19, 4
	v_sub_u32_e32 v20, 29, v20
	v_and_b32_e32 v21, 7, v21
	v_cmp_eq_u16_e32 vcc, 0, v14
	v_cndmask_b32_e32 v11, v11, v21, vcc
	v_cndmask_b32_e32 v14, v15, v20, vcc
	v_lshlrev_b32_e32 v15, 8, v12
	v_mov_b32_e32 v20, 0x3b800000
	v_lshlrev_b32_e32 v11, 20, v11
	v_and_b32_e32 v15, 0x80000000, v15
	v_lshl_add_u32 v14, v14, 23, v20
	v_or3_b32 v14, v15, v14, v11
.LBB10_856:
	s_or_b64 exec, exec, s[6:7]
	s_nop 0
	v_mfma_f32_16x16x4f32 a[0:3], v10, v14, a[0:3]
	s_movk_i32 s4, 0x7f
	v_cmp_gt_i16_sdwa s[6:7], v16, s4 src0_sel:BYTE_3 src1_sel:DWORD
	s_mov_b64 s[4:5], 0
                                        ; implicit-def: $sgpr10
	s_and_saveexec_b64 s[8:9], s[6:7]
	s_xor_b64 s[6:7], exec, s[8:9]
	s_cbranch_execnz .LBB10_2905
; %bb.857:
	s_or_saveexec_b64 s[6:7], s[6:7]
	v_mov_b32_e32 v10, s10
	s_xor_b64 exec, exec, s[6:7]
	s_cbranch_execnz .LBB10_2908
.LBB10_858:
	s_or_b64 exec, exec, s[6:7]
	s_and_saveexec_b64 s[6:7], s[4:5]
	s_cbranch_execz .LBB10_860
.LBB10_859:
	v_bfe_u32 v10, v16, 24, 3
	v_ffbh_u32_e32 v20, v10
	v_min_u32_e32 v20, 32, v20
	v_lshrrev_b32_e32 v14, 27, v16
	v_subrev_u32_e32 v21, 28, v20
	v_and_b32_e32 v11, 0x80000000, v16
	v_and_b32_e32 v14, 15, v14
	v_bfe_u32 v15, v16, 27, 4
	v_lshlrev_b32_sdwa v16, v21, v16 dst_sel:DWORD dst_unused:UNUSED_PAD src0_sel:DWORD src1_sel:BYTE_3
	v_sub_u32_e32 v20, 29, v20
	v_and_b32_e32 v16, 7, v16
	v_cmp_eq_u16_e32 vcc, 0, v14
	v_cndmask_b32_e32 v10, v10, v16, vcc
	v_cndmask_b32_e32 v14, v15, v20, vcc
	v_mov_b32_e32 v15, 0x3b800000
	v_lshlrev_b32_e32 v10, 20, v10
	v_lshl_add_u32 v14, v14, 23, v15
	v_or3_b32 v10, v11, v14, v10
.LBB10_860:
	s_or_b64 exec, exec, s[6:7]
	s_movk_i32 s4, 0x7f
	v_cmp_gt_i16_sdwa s[6:7], v12, s4 src0_sel:BYTE_3 src1_sel:DWORD
	s_mov_b64 s[4:5], 0
                                        ; implicit-def: $sgpr10
	s_and_saveexec_b64 s[8:9], s[6:7]
	s_xor_b64 s[6:7], exec, s[8:9]
	s_cbranch_execnz .LBB10_2909
; %bb.861:
	s_or_saveexec_b64 s[6:7], s[6:7]
	v_mov_b32_e32 v11, s10
	s_xor_b64 exec, exec, s[6:7]
	s_cbranch_execnz .LBB10_2912
.LBB10_862:
	s_or_b64 exec, exec, s[6:7]
	s_and_saveexec_b64 s[6:7], s[4:5]
	s_cbranch_execz .LBB10_864
.LBB10_863:
	v_bfe_u32 v11, v12, 24, 3
	v_ffbh_u32_e32 v20, v11
	v_min_u32_e32 v20, 32, v20
	v_lshrrev_b32_e32 v15, 27, v12
	v_subrev_u32_e32 v21, 28, v20
	v_and_b32_e32 v14, 0x80000000, v12
	v_and_b32_e32 v15, 15, v15
	v_bfe_u32 v16, v12, 27, 4
	v_lshlrev_b32_sdwa v12, v21, v12 dst_sel:DWORD dst_unused:UNUSED_PAD src0_sel:DWORD src1_sel:BYTE_3
	v_sub_u32_e32 v20, 29, v20
	v_and_b32_e32 v12, 7, v12
	v_cmp_eq_u16_e32 vcc, 0, v15
	v_cndmask_b32_e32 v11, v11, v12, vcc
	v_cndmask_b32_e32 v12, v16, v20, vcc
	v_mov_b32_e32 v15, 0x3b800000
	v_lshlrev_b32_e32 v11, 20, v11
	v_lshl_add_u32 v12, v12, 23, v15
	v_or3_b32 v11, v14, v12, v11
.LBB10_864:
	s_or_b64 exec, exec, s[6:7]
	s_nop 0
	v_mfma_f32_16x16x4f32 a[0:3], v10, v11, a[0:3]
	s_movk_i32 s4, 0x7f
	v_cmp_gt_i16_sdwa s[6:7], v17, s4 src0_sel:BYTE_0 src1_sel:DWORD
	s_mov_b64 s[4:5], 0
                                        ; implicit-def: $sgpr10
	s_and_saveexec_b64 s[8:9], s[6:7]
	s_xor_b64 s[6:7], exec, s[8:9]
	s_cbranch_execnz .LBB10_2913
; %bb.865:
	s_or_saveexec_b64 s[6:7], s[6:7]
	v_mov_b32_e32 v10, s10
	s_xor_b64 exec, exec, s[6:7]
	s_cbranch_execnz .LBB10_2916
.LBB10_866:
	s_or_b64 exec, exec, s[6:7]
	s_and_saveexec_b64 s[6:7], s[4:5]
	s_cbranch_execz .LBB10_868
.LBB10_867:
	v_and_b32_e32 v10, 7, v17
	v_ffbh_u32_e32 v12, v10
	v_min_u32_e32 v12, 32, v12
	v_lshrrev_b16_e32 v11, 3, v17
	v_subrev_u32_e32 v14, 28, v12
	v_and_b32_e32 v11, 15, v11
	v_lshlrev_b32_e32 v14, v14, v17
	v_sub_u32_e32 v12, 29, v12
	v_and_b32_e32 v14, 7, v14
	v_cmp_eq_u16_e32 vcc, 0, v11
	v_cndmask_b32_e32 v10, v10, v14, vcc
	v_cndmask_b32_e32 v11, v11, v12, vcc
	v_lshlrev_b32_e32 v12, 24, v17
	v_mov_b32_e32 v14, 0x3b800000
	v_lshlrev_b32_e32 v10, 20, v10
	v_and_b32_e32 v12, 0x80000000, v12
	v_lshl_add_u32 v11, v11, 23, v14
	v_or3_b32 v10, v12, v11, v10
.LBB10_868:
	s_or_b64 exec, exec, s[6:7]
	s_movk_i32 s4, 0x7f
	v_cmp_gt_i16_sdwa s[6:7], v13, s4 src0_sel:BYTE_0 src1_sel:DWORD
	s_mov_b64 s[4:5], 0
                                        ; implicit-def: $sgpr10
	s_and_saveexec_b64 s[8:9], s[6:7]
	s_xor_b64 s[6:7], exec, s[8:9]
	s_cbranch_execnz .LBB10_2917
; %bb.869:
	s_or_saveexec_b64 s[6:7], s[6:7]
	v_mov_b32_e32 v11, s10
	s_xor_b64 exec, exec, s[6:7]
	s_cbranch_execnz .LBB10_2920
.LBB10_870:
	s_or_b64 exec, exec, s[6:7]
	s_and_saveexec_b64 s[6:7], s[4:5]
	s_cbranch_execz .LBB10_872
.LBB10_871:
	v_and_b32_e32 v11, 7, v13
	v_ffbh_u32_e32 v14, v11
	v_min_u32_e32 v14, 32, v14
	v_lshrrev_b16_e32 v12, 3, v13
	v_subrev_u32_e32 v15, 28, v14
	v_and_b32_e32 v12, 15, v12
	v_lshlrev_b32_e32 v15, v15, v13
	v_sub_u32_e32 v14, 29, v14
	v_and_b32_e32 v15, 7, v15
	v_cmp_eq_u16_e32 vcc, 0, v12
	v_cndmask_b32_e32 v11, v11, v15, vcc
	v_cndmask_b32_e32 v12, v12, v14, vcc
	v_lshlrev_b32_e32 v14, 24, v13
	v_mov_b32_e32 v15, 0x3b800000
	v_lshlrev_b32_e32 v11, 20, v11
	v_and_b32_e32 v14, 0x80000000, v14
	v_lshl_add_u32 v12, v12, 23, v15
	v_or3_b32 v11, v14, v12, v11
.LBB10_872:
	s_or_b64 exec, exec, s[6:7]
	s_nop 0
	v_mfma_f32_16x16x4f32 a[0:3], v10, v11, a[0:3]
	v_lshrrev_b32_e32 v11, 8, v17
	s_movk_i32 s4, 0x7f
	v_cmp_gt_i16_sdwa s[6:7], v11, s4 src0_sel:BYTE_0 src1_sel:DWORD
	s_mov_b64 s[4:5], 0
                                        ; implicit-def: $sgpr10
	s_and_saveexec_b64 s[8:9], s[6:7]
	s_xor_b64 s[6:7], exec, s[8:9]
	s_cbranch_execnz .LBB10_2921
; %bb.873:
	s_or_saveexec_b64 s[6:7], s[6:7]
	v_mov_b32_e32 v10, s10
	s_xor_b64 exec, exec, s[6:7]
	s_cbranch_execnz .LBB10_2924
.LBB10_874:
	s_or_b64 exec, exec, s[6:7]
	s_and_saveexec_b64 s[6:7], s[4:5]
	s_cbranch_execz .LBB10_876
.LBB10_875:
	v_bfe_u32 v10, v17, 8, 3
	v_ffbh_u32_e32 v14, v10
	v_min_u32_e32 v14, 32, v14
	v_lshrrev_b16_e32 v12, 3, v11
	v_subrev_u32_e32 v15, 28, v14
	v_and_b32_e32 v12, 15, v12
	v_lshlrev_b32_e32 v11, v15, v11
	v_sub_u32_e32 v14, 29, v14
	v_and_b32_e32 v11, 7, v11
	v_cmp_eq_u16_e32 vcc, 0, v12
	v_cndmask_b32_e32 v10, v10, v11, vcc
	v_cndmask_b32_e32 v11, v12, v14, vcc
	v_lshlrev_b32_e32 v12, 16, v17
	v_mov_b32_e32 v14, 0x3b800000
	v_lshlrev_b32_e32 v10, 20, v10
	v_and_b32_e32 v12, 0x80000000, v12
	v_lshl_add_u32 v11, v11, 23, v14
	v_or3_b32 v10, v12, v11, v10
.LBB10_876:
	s_or_b64 exec, exec, s[6:7]
	v_lshrrev_b32_e32 v11, 8, v13
	s_movk_i32 s4, 0x7f
	v_cmp_gt_i16_sdwa s[6:7], v11, s4 src0_sel:BYTE_0 src1_sel:DWORD
	s_mov_b64 s[4:5], 0
                                        ; implicit-def: $sgpr10
	s_and_saveexec_b64 s[8:9], s[6:7]
	s_xor_b64 s[6:7], exec, s[8:9]
	s_cbranch_execnz .LBB10_2925
; %bb.877:
	s_or_saveexec_b64 s[6:7], s[6:7]
	v_mov_b32_e32 v12, s10
	s_xor_b64 exec, exec, s[6:7]
	s_cbranch_execnz .LBB10_2928
.LBB10_878:
	s_or_b64 exec, exec, s[6:7]
	s_and_saveexec_b64 s[6:7], s[4:5]
	s_cbranch_execz .LBB10_880
.LBB10_879:
	v_bfe_u32 v12, v13, 8, 3
	v_ffbh_u32_e32 v15, v12
	v_min_u32_e32 v15, 32, v15
	v_lshrrev_b16_e32 v14, 3, v11
	v_subrev_u32_e32 v16, 28, v15
	v_and_b32_e32 v14, 15, v14
	v_lshlrev_b32_e32 v11, v16, v11
	v_sub_u32_e32 v15, 29, v15
	v_and_b32_e32 v11, 7, v11
	v_cmp_eq_u16_e32 vcc, 0, v14
	v_cndmask_b32_e32 v11, v12, v11, vcc
	v_cndmask_b32_e32 v12, v14, v15, vcc
	v_lshlrev_b32_e32 v14, 16, v13
	v_mov_b32_e32 v15, 0x3b800000
	v_lshlrev_b32_e32 v11, 20, v11
	v_and_b32_e32 v14, 0x80000000, v14
	v_lshl_add_u32 v12, v12, 23, v15
	v_or3_b32 v12, v14, v12, v11
.LBB10_880:
	s_or_b64 exec, exec, s[6:7]
	s_nop 0
	v_mfma_f32_16x16x4f32 a[0:3], v10, v12, a[0:3]
	s_movk_i32 s4, 0xff
	v_and_b32_sdwa v11, v17, s4 dst_sel:DWORD dst_unused:UNUSED_PAD src0_sel:WORD_1 src1_sel:DWORD
	s_movk_i32 s4, 0x7f
	v_cmp_lt_i16_e32 vcc, s4, v11
	s_mov_b64 s[4:5], 0
                                        ; implicit-def: $sgpr10
	s_and_saveexec_b64 s[6:7], vcc
	s_xor_b64 s[6:7], exec, s[6:7]
	s_cbranch_execnz .LBB10_2929
; %bb.881:
	s_or_saveexec_b64 s[6:7], s[6:7]
	v_mov_b32_e32 v10, s10
	s_xor_b64 exec, exec, s[6:7]
	s_cbranch_execnz .LBB10_2932
.LBB10_882:
	s_or_b64 exec, exec, s[6:7]
	s_and_saveexec_b64 s[6:7], s[4:5]
	s_cbranch_execz .LBB10_884
.LBB10_883:
	v_bfe_u32 v10, v17, 16, 3
	v_ffbh_u32_e32 v14, v10
	v_min_u32_e32 v14, 32, v14
	v_lshrrev_b32_e32 v11, 19, v17
	v_subrev_u32_e32 v15, 28, v14
	v_and_b32_e32 v11, 15, v11
	v_lshlrev_b32_sdwa v15, v15, v17 dst_sel:DWORD dst_unused:UNUSED_PAD src0_sel:DWORD src1_sel:WORD_1
	v_bfe_u32 v12, v17, 19, 4
	v_sub_u32_e32 v14, 29, v14
	v_and_b32_e32 v15, 7, v15
	v_cmp_eq_u16_e32 vcc, 0, v11
	v_cndmask_b32_e32 v10, v10, v15, vcc
	v_cndmask_b32_e32 v11, v12, v14, vcc
	v_lshlrev_b32_e32 v12, 8, v17
	v_mov_b32_e32 v14, 0x3b800000
	v_lshlrev_b32_e32 v10, 20, v10
	v_and_b32_e32 v12, 0x80000000, v12
	v_lshl_add_u32 v11, v11, 23, v14
	v_or3_b32 v10, v12, v11, v10
.LBB10_884:
	s_or_b64 exec, exec, s[6:7]
	s_movk_i32 s4, 0xff
	v_and_b32_sdwa v11, v13, s4 dst_sel:DWORD dst_unused:UNUSED_PAD src0_sel:WORD_1 src1_sel:DWORD
	s_movk_i32 s4, 0x7f
	v_cmp_lt_i16_e32 vcc, s4, v11
	s_mov_b64 s[4:5], 0
                                        ; implicit-def: $sgpr10
	s_and_saveexec_b64 s[6:7], vcc
	s_xor_b64 s[6:7], exec, s[6:7]
	s_cbranch_execnz .LBB10_2933
; %bb.885:
	s_or_saveexec_b64 s[6:7], s[6:7]
	v_mov_b32_e32 v12, s10
	s_xor_b64 exec, exec, s[6:7]
	s_cbranch_execnz .LBB10_2936
.LBB10_886:
	s_or_b64 exec, exec, s[6:7]
	s_and_saveexec_b64 s[6:7], s[4:5]
	s_cbranch_execz .LBB10_888
.LBB10_887:
	v_bfe_u32 v11, v13, 16, 3
	v_ffbh_u32_e32 v15, v11
	v_min_u32_e32 v15, 32, v15
	v_lshrrev_b32_e32 v12, 19, v13
	v_subrev_u32_e32 v16, 28, v15
	v_and_b32_e32 v12, 15, v12
	v_lshlrev_b32_sdwa v16, v16, v13 dst_sel:DWORD dst_unused:UNUSED_PAD src0_sel:DWORD src1_sel:WORD_1
	v_bfe_u32 v14, v13, 19, 4
	v_sub_u32_e32 v15, 29, v15
	v_and_b32_e32 v16, 7, v16
	v_cmp_eq_u16_e32 vcc, 0, v12
	v_cndmask_b32_e32 v11, v11, v16, vcc
	v_cndmask_b32_e32 v12, v14, v15, vcc
	v_lshlrev_b32_e32 v14, 8, v13
	v_mov_b32_e32 v15, 0x3b800000
	v_lshlrev_b32_e32 v11, 20, v11
	v_and_b32_e32 v14, 0x80000000, v14
	v_lshl_add_u32 v12, v12, 23, v15
	v_or3_b32 v12, v14, v12, v11
.LBB10_888:
	s_or_b64 exec, exec, s[6:7]
	s_nop 0
	v_mfma_f32_16x16x4f32 a[0:3], v10, v12, a[0:3]
	s_movk_i32 s4, 0x7f
	v_cmp_gt_i16_sdwa s[6:7], v17, s4 src0_sel:BYTE_3 src1_sel:DWORD
	s_mov_b64 s[4:5], 0
                                        ; implicit-def: $sgpr10
	s_and_saveexec_b64 s[8:9], s[6:7]
	s_xor_b64 s[6:7], exec, s[8:9]
	s_cbranch_execnz .LBB10_2937
; %bb.889:
	s_or_saveexec_b64 s[6:7], s[6:7]
	v_mov_b32_e32 v10, s10
	s_xor_b64 exec, exec, s[6:7]
	s_cbranch_execnz .LBB10_2940
.LBB10_890:
	s_or_b64 exec, exec, s[6:7]
	s_and_saveexec_b64 s[6:7], s[4:5]
	s_cbranch_execz .LBB10_892
.LBB10_891:
	v_bfe_u32 v10, v17, 24, 3
	v_ffbh_u32_e32 v15, v10
	v_min_u32_e32 v15, 32, v15
	v_lshrrev_b32_e32 v12, 27, v17
	v_subrev_u32_e32 v16, 28, v15
	v_and_b32_e32 v12, 15, v12
	v_lshlrev_b32_sdwa v16, v16, v17 dst_sel:DWORD dst_unused:UNUSED_PAD src0_sel:DWORD src1_sel:BYTE_3
	v_bfe_u32 v14, v17, 27, 4
	v_sub_u32_e32 v15, 29, v15
	v_and_b32_e32 v16, 7, v16
	v_cmp_eq_u16_e32 vcc, 0, v12
	v_cndmask_b32_e32 v10, v10, v16, vcc
	v_cndmask_b32_e32 v12, v14, v15, vcc
	v_mov_b32_e32 v14, 0x3b800000
	v_and_b32_e32 v11, 0x80000000, v17
	v_lshlrev_b32_e32 v10, 20, v10
	v_lshl_add_u32 v12, v12, 23, v14
	v_or3_b32 v10, v11, v12, v10
.LBB10_892:
	s_or_b64 exec, exec, s[6:7]
	s_movk_i32 s4, 0x7f
	v_cmp_gt_i16_sdwa s[6:7], v13, s4 src0_sel:BYTE_3 src1_sel:DWORD
	s_mov_b64 s[4:5], 0
                                        ; implicit-def: $sgpr10
	s_and_saveexec_b64 s[8:9], s[6:7]
	s_xor_b64 s[6:7], exec, s[8:9]
	s_cbranch_execnz .LBB10_2941
; %bb.893:
	s_or_saveexec_b64 s[6:7], s[6:7]
	v_mov_b32_e32 v11, s10
	s_xor_b64 exec, exec, s[6:7]
	s_cbranch_execnz .LBB10_2944
.LBB10_894:
	s_or_b64 exec, exec, s[6:7]
	s_and_saveexec_b64 s[6:7], s[4:5]
	s_cbranch_execz .LBB10_896
.LBB10_895:
	v_bfe_u32 v11, v13, 24, 3
	v_ffbh_u32_e32 v16, v11
	v_min_u32_e32 v16, 32, v16
	v_lshrrev_b32_e32 v14, 27, v13
	v_subrev_u32_e32 v17, 28, v16
	v_and_b32_e32 v12, 0x80000000, v13
	v_and_b32_e32 v14, 15, v14
	v_bfe_u32 v15, v13, 27, 4
	v_lshlrev_b32_sdwa v13, v17, v13 dst_sel:DWORD dst_unused:UNUSED_PAD src0_sel:DWORD src1_sel:BYTE_3
	v_sub_u32_e32 v16, 29, v16
	v_and_b32_e32 v13, 7, v13
	v_cmp_eq_u16_e32 vcc, 0, v14
	v_cndmask_b32_e32 v11, v11, v13, vcc
	v_cndmask_b32_e32 v13, v15, v16, vcc
	v_mov_b32_e32 v14, 0x3b800000
	v_lshlrev_b32_e32 v11, 20, v11
	v_lshl_add_u32 v13, v13, 23, v14
	v_or3_b32 v11, v12, v13, v11
.LBB10_896:
	s_or_b64 exec, exec, s[6:7]
	s_nop 0
	v_mfma_f32_16x16x4f32 a[0:3], v10, v11, a[0:3]
	s_movk_i32 s4, 0x7f
	v_cmp_gt_i16_sdwa s[6:7], v6, s4 src0_sel:BYTE_0 src1_sel:DWORD
	s_mov_b64 s[4:5], 0
                                        ; implicit-def: $sgpr10
	s_and_saveexec_b64 s[8:9], s[6:7]
	s_xor_b64 s[6:7], exec, s[8:9]
	s_cbranch_execnz .LBB10_2945
; %bb.897:
	s_or_saveexec_b64 s[6:7], s[6:7]
	v_mov_b32_e32 v10, s10
	s_xor_b64 exec, exec, s[6:7]
	s_cbranch_execnz .LBB10_2948
.LBB10_898:
	s_or_b64 exec, exec, s[6:7]
	s_and_saveexec_b64 s[6:7], s[4:5]
	s_cbranch_execz .LBB10_900
.LBB10_899:
	v_and_b32_e32 v10, 7, v6
	v_ffbh_u32_e32 v12, v10
	v_min_u32_e32 v12, 32, v12
	v_lshrrev_b16_e32 v11, 3, v6
	v_subrev_u32_e32 v13, 28, v12
	v_and_b32_e32 v11, 15, v11
	v_lshlrev_b32_e32 v13, v13, v6
	v_sub_u32_e32 v12, 29, v12
	v_and_b32_e32 v13, 7, v13
	v_cmp_eq_u16_e32 vcc, 0, v11
	v_cndmask_b32_e32 v10, v10, v13, vcc
	v_cndmask_b32_e32 v11, v11, v12, vcc
	v_lshlrev_b32_e32 v12, 24, v6
	v_mov_b32_e32 v13, 0x3b800000
	v_lshlrev_b32_e32 v10, 20, v10
	v_and_b32_e32 v12, 0x80000000, v12
	v_lshl_add_u32 v11, v11, 23, v13
	v_or3_b32 v10, v12, v11, v10
.LBB10_900:
	s_or_b64 exec, exec, s[6:7]
	s_movk_i32 s4, 0x7f
	v_cmp_gt_i16_sdwa s[6:7], v2, s4 src0_sel:BYTE_0 src1_sel:DWORD
	s_mov_b64 s[4:5], 0
                                        ; implicit-def: $sgpr10
	s_and_saveexec_b64 s[8:9], s[6:7]
	s_xor_b64 s[6:7], exec, s[8:9]
	s_cbranch_execnz .LBB10_2949
; %bb.901:
	s_or_saveexec_b64 s[6:7], s[6:7]
	v_mov_b32_e32 v11, s10
	s_xor_b64 exec, exec, s[6:7]
	s_cbranch_execnz .LBB10_2952
.LBB10_902:
	s_or_b64 exec, exec, s[6:7]
	s_and_saveexec_b64 s[6:7], s[4:5]
	s_cbranch_execz .LBB10_904
.LBB10_903:
	v_and_b32_e32 v11, 7, v2
	v_ffbh_u32_e32 v13, v11
	v_min_u32_e32 v13, 32, v13
	v_lshrrev_b16_e32 v12, 3, v2
	v_subrev_u32_e32 v14, 28, v13
	v_and_b32_e32 v12, 15, v12
	v_lshlrev_b32_e32 v14, v14, v2
	v_sub_u32_e32 v13, 29, v13
	v_and_b32_e32 v14, 7, v14
	v_cmp_eq_u16_e32 vcc, 0, v12
	v_cndmask_b32_e32 v11, v11, v14, vcc
	v_cndmask_b32_e32 v12, v12, v13, vcc
	v_lshlrev_b32_e32 v13, 24, v2
	v_mov_b32_e32 v14, 0x3b800000
	v_lshlrev_b32_e32 v11, 20, v11
	v_and_b32_e32 v13, 0x80000000, v13
	v_lshl_add_u32 v12, v12, 23, v14
	v_or3_b32 v11, v13, v12, v11
.LBB10_904:
	s_or_b64 exec, exec, s[6:7]
	s_nop 0
	v_mfma_f32_16x16x4f32 a[0:3], v10, v11, a[0:3]
	v_lshrrev_b32_e32 v11, 8, v6
	s_movk_i32 s4, 0x7f
	v_cmp_gt_i16_sdwa s[6:7], v11, s4 src0_sel:BYTE_0 src1_sel:DWORD
	s_mov_b64 s[4:5], 0
                                        ; implicit-def: $sgpr10
	s_and_saveexec_b64 s[8:9], s[6:7]
	s_xor_b64 s[6:7], exec, s[8:9]
	s_cbranch_execnz .LBB10_2953
; %bb.905:
	s_or_saveexec_b64 s[6:7], s[6:7]
	v_mov_b32_e32 v10, s10
	s_xor_b64 exec, exec, s[6:7]
	s_cbranch_execnz .LBB10_2956
.LBB10_906:
	s_or_b64 exec, exec, s[6:7]
	s_and_saveexec_b64 s[6:7], s[4:5]
	s_cbranch_execz .LBB10_908
.LBB10_907:
	v_bfe_u32 v10, v6, 8, 3
	v_ffbh_u32_e32 v13, v10
	v_min_u32_e32 v13, 32, v13
	v_lshrrev_b16_e32 v12, 3, v11
	v_subrev_u32_e32 v14, 28, v13
	v_and_b32_e32 v12, 15, v12
	v_lshlrev_b32_e32 v11, v14, v11
	v_sub_u32_e32 v13, 29, v13
	v_and_b32_e32 v11, 7, v11
	v_cmp_eq_u16_e32 vcc, 0, v12
	v_cndmask_b32_e32 v10, v10, v11, vcc
	v_cndmask_b32_e32 v11, v12, v13, vcc
	v_lshlrev_b32_e32 v12, 16, v6
	v_mov_b32_e32 v13, 0x3b800000
	v_lshlrev_b32_e32 v10, 20, v10
	v_and_b32_e32 v12, 0x80000000, v12
	v_lshl_add_u32 v11, v11, 23, v13
	v_or3_b32 v10, v12, v11, v10
.LBB10_908:
	s_or_b64 exec, exec, s[6:7]
	v_lshrrev_b32_e32 v11, 8, v2
	s_movk_i32 s4, 0x7f
	v_cmp_gt_i16_sdwa s[6:7], v11, s4 src0_sel:BYTE_0 src1_sel:DWORD
	s_mov_b64 s[4:5], 0
                                        ; implicit-def: $sgpr10
	s_and_saveexec_b64 s[8:9], s[6:7]
	s_xor_b64 s[6:7], exec, s[8:9]
	s_cbranch_execnz .LBB10_2957
; %bb.909:
	s_or_saveexec_b64 s[6:7], s[6:7]
	v_mov_b32_e32 v12, s10
	s_xor_b64 exec, exec, s[6:7]
	s_cbranch_execnz .LBB10_2960
.LBB10_910:
	s_or_b64 exec, exec, s[6:7]
	s_and_saveexec_b64 s[6:7], s[4:5]
	s_cbranch_execz .LBB10_912
.LBB10_911:
	v_bfe_u32 v12, v2, 8, 3
	v_ffbh_u32_e32 v14, v12
	v_min_u32_e32 v14, 32, v14
	v_lshrrev_b16_e32 v13, 3, v11
	v_subrev_u32_e32 v15, 28, v14
	v_and_b32_e32 v13, 15, v13
	v_lshlrev_b32_e32 v11, v15, v11
	v_sub_u32_e32 v14, 29, v14
	v_and_b32_e32 v11, 7, v11
	v_cmp_eq_u16_e32 vcc, 0, v13
	v_cndmask_b32_e32 v11, v12, v11, vcc
	v_cndmask_b32_e32 v12, v13, v14, vcc
	v_lshlrev_b32_e32 v13, 16, v2
	v_mov_b32_e32 v14, 0x3b800000
	v_lshlrev_b32_e32 v11, 20, v11
	v_and_b32_e32 v13, 0x80000000, v13
	v_lshl_add_u32 v12, v12, 23, v14
	v_or3_b32 v12, v13, v12, v11
.LBB10_912:
	s_or_b64 exec, exec, s[6:7]
	s_nop 0
	v_mfma_f32_16x16x4f32 a[0:3], v10, v12, a[0:3]
	s_movk_i32 s4, 0xff
	v_and_b32_sdwa v11, v6, s4 dst_sel:DWORD dst_unused:UNUSED_PAD src0_sel:WORD_1 src1_sel:DWORD
	s_movk_i32 s4, 0x7f
	v_cmp_lt_i16_e32 vcc, s4, v11
	s_mov_b64 s[4:5], 0
                                        ; implicit-def: $sgpr10
	s_and_saveexec_b64 s[6:7], vcc
	s_xor_b64 s[6:7], exec, s[6:7]
	s_cbranch_execnz .LBB10_2961
; %bb.913:
	s_or_saveexec_b64 s[6:7], s[6:7]
	v_mov_b32_e32 v10, s10
	s_xor_b64 exec, exec, s[6:7]
	s_cbranch_execnz .LBB10_2964
.LBB10_914:
	s_or_b64 exec, exec, s[6:7]
	s_and_saveexec_b64 s[6:7], s[4:5]
	s_cbranch_execz .LBB10_916
.LBB10_915:
	v_bfe_u32 v10, v6, 16, 3
	v_ffbh_u32_e32 v13, v10
	v_min_u32_e32 v13, 32, v13
	v_lshrrev_b32_e32 v11, 19, v6
	v_subrev_u32_e32 v14, 28, v13
	v_and_b32_e32 v11, 15, v11
	v_lshlrev_b32_sdwa v14, v14, v6 dst_sel:DWORD dst_unused:UNUSED_PAD src0_sel:DWORD src1_sel:WORD_1
	v_bfe_u32 v12, v6, 19, 4
	v_sub_u32_e32 v13, 29, v13
	v_and_b32_e32 v14, 7, v14
	v_cmp_eq_u16_e32 vcc, 0, v11
	v_cndmask_b32_e32 v10, v10, v14, vcc
	v_cndmask_b32_e32 v11, v12, v13, vcc
	v_lshlrev_b32_e32 v12, 8, v6
	v_mov_b32_e32 v13, 0x3b800000
	v_lshlrev_b32_e32 v10, 20, v10
	v_and_b32_e32 v12, 0x80000000, v12
	v_lshl_add_u32 v11, v11, 23, v13
	v_or3_b32 v10, v12, v11, v10
.LBB10_916:
	s_or_b64 exec, exec, s[6:7]
	s_movk_i32 s4, 0xff
	v_and_b32_sdwa v11, v2, s4 dst_sel:DWORD dst_unused:UNUSED_PAD src0_sel:WORD_1 src1_sel:DWORD
	s_movk_i32 s4, 0x7f
	v_cmp_lt_i16_e32 vcc, s4, v11
	s_mov_b64 s[4:5], 0
                                        ; implicit-def: $sgpr10
	s_and_saveexec_b64 s[6:7], vcc
	s_xor_b64 s[6:7], exec, s[6:7]
	s_cbranch_execnz .LBB10_2965
; %bb.917:
	s_or_saveexec_b64 s[6:7], s[6:7]
	v_mov_b32_e32 v12, s10
	s_xor_b64 exec, exec, s[6:7]
	s_cbranch_execnz .LBB10_2968
.LBB10_918:
	s_or_b64 exec, exec, s[6:7]
	s_and_saveexec_b64 s[6:7], s[4:5]
	s_cbranch_execz .LBB10_920
.LBB10_919:
	v_bfe_u32 v11, v2, 16, 3
	v_ffbh_u32_e32 v14, v11
	v_min_u32_e32 v14, 32, v14
	v_lshrrev_b32_e32 v12, 19, v2
	v_subrev_u32_e32 v15, 28, v14
	v_and_b32_e32 v12, 15, v12
	v_lshlrev_b32_sdwa v15, v15, v2 dst_sel:DWORD dst_unused:UNUSED_PAD src0_sel:DWORD src1_sel:WORD_1
	v_bfe_u32 v13, v2, 19, 4
	v_sub_u32_e32 v14, 29, v14
	v_and_b32_e32 v15, 7, v15
	v_cmp_eq_u16_e32 vcc, 0, v12
	v_cndmask_b32_e32 v11, v11, v15, vcc
	v_cndmask_b32_e32 v12, v13, v14, vcc
	v_lshlrev_b32_e32 v13, 8, v2
	v_mov_b32_e32 v14, 0x3b800000
	v_lshlrev_b32_e32 v11, 20, v11
	v_and_b32_e32 v13, 0x80000000, v13
	v_lshl_add_u32 v12, v12, 23, v14
	v_or3_b32 v12, v13, v12, v11
.LBB10_920:
	s_or_b64 exec, exec, s[6:7]
	s_nop 0
	v_mfma_f32_16x16x4f32 a[0:3], v10, v12, a[0:3]
	s_movk_i32 s4, 0x7f
	v_cmp_gt_i16_sdwa s[6:7], v6, s4 src0_sel:BYTE_3 src1_sel:DWORD
	s_mov_b64 s[4:5], 0
                                        ; implicit-def: $sgpr10
	s_and_saveexec_b64 s[8:9], s[6:7]
	s_xor_b64 s[6:7], exec, s[8:9]
	s_cbranch_execnz .LBB10_2969
; %bb.921:
	s_or_saveexec_b64 s[6:7], s[6:7]
	v_mov_b32_e32 v10, s10
	s_xor_b64 exec, exec, s[6:7]
	s_cbranch_execnz .LBB10_2972
.LBB10_922:
	s_or_b64 exec, exec, s[6:7]
	s_and_saveexec_b64 s[6:7], s[4:5]
	s_cbranch_execz .LBB10_924
.LBB10_923:
	v_bfe_u32 v10, v6, 24, 3
	v_ffbh_u32_e32 v14, v10
	v_min_u32_e32 v14, 32, v14
	v_lshrrev_b32_e32 v12, 27, v6
	v_subrev_u32_e32 v15, 28, v14
	v_and_b32_e32 v11, 0x80000000, v6
	v_and_b32_e32 v12, 15, v12
	v_bfe_u32 v13, v6, 27, 4
	v_lshlrev_b32_sdwa v6, v15, v6 dst_sel:DWORD dst_unused:UNUSED_PAD src0_sel:DWORD src1_sel:BYTE_3
	v_sub_u32_e32 v14, 29, v14
	v_and_b32_e32 v6, 7, v6
	v_cmp_eq_u16_e32 vcc, 0, v12
	v_cndmask_b32_e32 v6, v10, v6, vcc
	v_cndmask_b32_e32 v10, v13, v14, vcc
	v_mov_b32_e32 v12, 0x3b800000
	v_lshlrev_b32_e32 v6, 20, v6
	v_lshl_add_u32 v10, v10, 23, v12
	v_or3_b32 v10, v11, v10, v6
.LBB10_924:
	s_or_b64 exec, exec, s[6:7]
	s_movk_i32 s4, 0x7f
	v_cmp_gt_i16_sdwa s[6:7], v2, s4 src0_sel:BYTE_3 src1_sel:DWORD
	s_mov_b64 s[4:5], 0
                                        ; implicit-def: $sgpr10
	s_and_saveexec_b64 s[8:9], s[6:7]
	s_xor_b64 s[6:7], exec, s[8:9]
	s_cbranch_execnz .LBB10_2973
; %bb.925:
	s_or_saveexec_b64 s[6:7], s[6:7]
	v_mov_b32_e32 v6, s10
	s_xor_b64 exec, exec, s[6:7]
	s_cbranch_execnz .LBB10_2976
.LBB10_926:
	s_or_b64 exec, exec, s[6:7]
	s_and_saveexec_b64 s[6:7], s[4:5]
	s_cbranch_execz .LBB10_928
.LBB10_927:
	v_bfe_u32 v6, v2, 24, 3
	v_ffbh_u32_e32 v14, v6
	v_min_u32_e32 v14, 32, v14
	v_lshrrev_b32_e32 v12, 27, v2
	v_subrev_u32_e32 v15, 28, v14
	v_and_b32_e32 v11, 0x80000000, v2
	v_and_b32_e32 v12, 15, v12
	v_bfe_u32 v13, v2, 27, 4
	v_lshlrev_b32_sdwa v2, v15, v2 dst_sel:DWORD dst_unused:UNUSED_PAD src0_sel:DWORD src1_sel:BYTE_3
	v_sub_u32_e32 v14, 29, v14
	v_and_b32_e32 v2, 7, v2
	v_cmp_eq_u16_e32 vcc, 0, v12
	v_cndmask_b32_e32 v2, v6, v2, vcc
	v_cndmask_b32_e32 v6, v13, v14, vcc
	v_mov_b32_e32 v12, 0x3b800000
	v_lshlrev_b32_e32 v2, 20, v2
	v_lshl_add_u32 v6, v6, 23, v12
	v_or3_b32 v6, v11, v6, v2
.LBB10_928:
	s_or_b64 exec, exec, s[6:7]
	s_nop 0
	v_mfma_f32_16x16x4f32 a[0:3], v10, v6, a[0:3]
	s_movk_i32 s4, 0x7f
	v_cmp_gt_i16_sdwa s[6:7], v7, s4 src0_sel:BYTE_0 src1_sel:DWORD
	s_mov_b64 s[4:5], 0
                                        ; implicit-def: $sgpr10
	s_and_saveexec_b64 s[8:9], s[6:7]
	s_xor_b64 s[6:7], exec, s[8:9]
	s_cbranch_execnz .LBB10_2977
; %bb.929:
	s_or_saveexec_b64 s[6:7], s[6:7]
	v_mov_b32_e32 v2, s10
	s_xor_b64 exec, exec, s[6:7]
	s_cbranch_execnz .LBB10_2980
.LBB10_930:
	s_or_b64 exec, exec, s[6:7]
	s_and_saveexec_b64 s[6:7], s[4:5]
	s_cbranch_execz .LBB10_932
.LBB10_931:
	v_and_b32_e32 v2, 7, v7
	v_ffbh_u32_e32 v10, v2
	v_min_u32_e32 v10, 32, v10
	v_lshrrev_b16_e32 v6, 3, v7
	v_subrev_u32_e32 v11, 28, v10
	v_and_b32_e32 v6, 15, v6
	v_lshlrev_b32_e32 v11, v11, v7
	v_sub_u32_e32 v10, 29, v10
	v_and_b32_e32 v11, 7, v11
	v_cmp_eq_u16_e32 vcc, 0, v6
	v_cndmask_b32_e32 v2, v2, v11, vcc
	v_cndmask_b32_e32 v6, v6, v10, vcc
	v_lshlrev_b32_e32 v10, 24, v7
	v_mov_b32_e32 v11, 0x3b800000
	v_lshlrev_b32_e32 v2, 20, v2
	v_and_b32_e32 v10, 0x80000000, v10
	v_lshl_add_u32 v6, v6, 23, v11
	v_or3_b32 v2, v10, v6, v2
.LBB10_932:
	s_or_b64 exec, exec, s[6:7]
	s_movk_i32 s4, 0x7f
	v_cmp_gt_i16_sdwa s[6:7], v3, s4 src0_sel:BYTE_0 src1_sel:DWORD
	s_mov_b64 s[4:5], 0
                                        ; implicit-def: $sgpr10
	s_and_saveexec_b64 s[8:9], s[6:7]
	s_xor_b64 s[6:7], exec, s[8:9]
	s_cbranch_execnz .LBB10_2981
; %bb.933:
	s_or_saveexec_b64 s[6:7], s[6:7]
	v_mov_b32_e32 v6, s10
	s_xor_b64 exec, exec, s[6:7]
	s_cbranch_execnz .LBB10_2984
.LBB10_934:
	s_or_b64 exec, exec, s[6:7]
	s_and_saveexec_b64 s[6:7], s[4:5]
	s_cbranch_execz .LBB10_936
.LBB10_935:
	v_and_b32_e32 v6, 7, v3
	v_ffbh_u32_e32 v11, v6
	v_min_u32_e32 v11, 32, v11
	v_lshrrev_b16_e32 v10, 3, v3
	v_subrev_u32_e32 v12, 28, v11
	v_and_b32_e32 v10, 15, v10
	v_lshlrev_b32_e32 v12, v12, v3
	v_sub_u32_e32 v11, 29, v11
	v_and_b32_e32 v12, 7, v12
	v_cmp_eq_u16_e32 vcc, 0, v10
	v_cndmask_b32_e32 v6, v6, v12, vcc
	v_cndmask_b32_e32 v10, v10, v11, vcc
	v_lshlrev_b32_e32 v11, 24, v3
	v_mov_b32_e32 v12, 0x3b800000
	v_lshlrev_b32_e32 v6, 20, v6
	v_and_b32_e32 v11, 0x80000000, v11
	v_lshl_add_u32 v10, v10, 23, v12
	v_or3_b32 v6, v11, v10, v6
.LBB10_936:
	s_or_b64 exec, exec, s[6:7]
	s_nop 0
	v_mfma_f32_16x16x4f32 a[0:3], v2, v6, a[0:3]
	v_lshrrev_b32_e32 v6, 8, v7
	s_movk_i32 s4, 0x7f
	v_cmp_gt_i16_sdwa s[6:7], v6, s4 src0_sel:BYTE_0 src1_sel:DWORD
	s_mov_b64 s[4:5], 0
                                        ; implicit-def: $sgpr10
	s_and_saveexec_b64 s[8:9], s[6:7]
	s_xor_b64 s[6:7], exec, s[8:9]
	s_cbranch_execnz .LBB10_2985
; %bb.937:
	s_or_saveexec_b64 s[6:7], s[6:7]
	v_mov_b32_e32 v2, s10
	s_xor_b64 exec, exec, s[6:7]
	s_cbranch_execnz .LBB10_2988
.LBB10_938:
	s_or_b64 exec, exec, s[6:7]
	s_and_saveexec_b64 s[6:7], s[4:5]
	s_cbranch_execz .LBB10_940
.LBB10_939:
	v_bfe_u32 v2, v7, 8, 3
	v_ffbh_u32_e32 v11, v2
	v_min_u32_e32 v11, 32, v11
	v_lshrrev_b16_e32 v10, 3, v6
	v_subrev_u32_e32 v12, 28, v11
	v_and_b32_e32 v10, 15, v10
	v_lshlrev_b32_e32 v6, v12, v6
	v_sub_u32_e32 v11, 29, v11
	v_and_b32_e32 v6, 7, v6
	v_cmp_eq_u16_e32 vcc, 0, v10
	v_cndmask_b32_e32 v2, v2, v6, vcc
	v_cndmask_b32_e32 v6, v10, v11, vcc
	v_lshlrev_b32_e32 v10, 16, v7
	v_mov_b32_e32 v11, 0x3b800000
	v_lshlrev_b32_e32 v2, 20, v2
	v_and_b32_e32 v10, 0x80000000, v10
	v_lshl_add_u32 v6, v6, 23, v11
	v_or3_b32 v2, v10, v6, v2
.LBB10_940:
	s_or_b64 exec, exec, s[6:7]
	v_lshrrev_b32_e32 v6, 8, v3
	s_movk_i32 s4, 0x7f
	v_cmp_gt_i16_sdwa s[6:7], v6, s4 src0_sel:BYTE_0 src1_sel:DWORD
	s_mov_b64 s[4:5], 0
                                        ; implicit-def: $sgpr10
	s_and_saveexec_b64 s[8:9], s[6:7]
	s_xor_b64 s[6:7], exec, s[8:9]
	s_cbranch_execnz .LBB10_2989
; %bb.941:
	s_or_saveexec_b64 s[6:7], s[6:7]
	v_mov_b32_e32 v10, s10
	s_xor_b64 exec, exec, s[6:7]
	s_cbranch_execnz .LBB10_2992
.LBB10_942:
	s_or_b64 exec, exec, s[6:7]
	s_and_saveexec_b64 s[6:7], s[4:5]
	s_cbranch_execz .LBB10_944
.LBB10_943:
	v_bfe_u32 v10, v3, 8, 3
	v_ffbh_u32_e32 v12, v10
	v_min_u32_e32 v12, 32, v12
	v_lshrrev_b16_e32 v11, 3, v6
	v_subrev_u32_e32 v13, 28, v12
	v_and_b32_e32 v11, 15, v11
	v_lshlrev_b32_e32 v6, v13, v6
	v_sub_u32_e32 v12, 29, v12
	v_and_b32_e32 v6, 7, v6
	v_cmp_eq_u16_e32 vcc, 0, v11
	v_cndmask_b32_e32 v6, v10, v6, vcc
	v_cndmask_b32_e32 v10, v11, v12, vcc
	v_lshlrev_b32_e32 v11, 16, v3
	v_mov_b32_e32 v12, 0x3b800000
	v_lshlrev_b32_e32 v6, 20, v6
	v_and_b32_e32 v11, 0x80000000, v11
	v_lshl_add_u32 v10, v10, 23, v12
	v_or3_b32 v10, v11, v10, v6
.LBB10_944:
	s_or_b64 exec, exec, s[6:7]
	s_nop 0
	v_mfma_f32_16x16x4f32 a[0:3], v2, v10, a[0:3]
	s_movk_i32 s4, 0xff
	v_and_b32_sdwa v6, v7, s4 dst_sel:DWORD dst_unused:UNUSED_PAD src0_sel:WORD_1 src1_sel:DWORD
	s_movk_i32 s4, 0x7f
	v_cmp_lt_i16_e32 vcc, s4, v6
	s_mov_b64 s[4:5], 0
                                        ; implicit-def: $sgpr10
	s_and_saveexec_b64 s[6:7], vcc
	s_xor_b64 s[6:7], exec, s[6:7]
	s_cbranch_execnz .LBB10_2993
; %bb.945:
	s_or_saveexec_b64 s[6:7], s[6:7]
	v_mov_b32_e32 v2, s10
	s_xor_b64 exec, exec, s[6:7]
	s_cbranch_execnz .LBB10_2996
.LBB10_946:
	s_or_b64 exec, exec, s[6:7]
	s_and_saveexec_b64 s[6:7], s[4:5]
	s_cbranch_execz .LBB10_948
.LBB10_947:
	v_bfe_u32 v2, v7, 16, 3
	v_ffbh_u32_e32 v11, v2
	v_min_u32_e32 v11, 32, v11
	v_lshrrev_b32_e32 v6, 19, v7
	v_subrev_u32_e32 v12, 28, v11
	v_and_b32_e32 v6, 15, v6
	v_lshlrev_b32_sdwa v12, v12, v7 dst_sel:DWORD dst_unused:UNUSED_PAD src0_sel:DWORD src1_sel:WORD_1
	v_bfe_u32 v10, v7, 19, 4
	v_sub_u32_e32 v11, 29, v11
	v_and_b32_e32 v12, 7, v12
	v_cmp_eq_u16_e32 vcc, 0, v6
	v_cndmask_b32_e32 v2, v2, v12, vcc
	v_cndmask_b32_e32 v6, v10, v11, vcc
	v_lshlrev_b32_e32 v10, 8, v7
	v_mov_b32_e32 v11, 0x3b800000
	v_lshlrev_b32_e32 v2, 20, v2
	v_and_b32_e32 v10, 0x80000000, v10
	v_lshl_add_u32 v6, v6, 23, v11
	v_or3_b32 v2, v10, v6, v2
.LBB10_948:
	s_or_b64 exec, exec, s[6:7]
	s_movk_i32 s4, 0xff
	v_and_b32_sdwa v6, v3, s4 dst_sel:DWORD dst_unused:UNUSED_PAD src0_sel:WORD_1 src1_sel:DWORD
	s_movk_i32 s4, 0x7f
	v_cmp_lt_i16_e32 vcc, s4, v6
	s_mov_b64 s[4:5], 0
                                        ; implicit-def: $sgpr10
	s_and_saveexec_b64 s[6:7], vcc
	s_xor_b64 s[6:7], exec, s[6:7]
	s_cbranch_execnz .LBB10_2997
; %bb.949:
	s_or_saveexec_b64 s[6:7], s[6:7]
	v_mov_b32_e32 v10, s10
	s_xor_b64 exec, exec, s[6:7]
	s_cbranch_execnz .LBB10_3000
.LBB10_950:
	s_or_b64 exec, exec, s[6:7]
	s_and_saveexec_b64 s[6:7], s[4:5]
	s_cbranch_execz .LBB10_952
.LBB10_951:
	v_bfe_u32 v6, v3, 16, 3
	v_ffbh_u32_e32 v12, v6
	v_min_u32_e32 v12, 32, v12
	v_lshrrev_b32_e32 v10, 19, v3
	v_subrev_u32_e32 v13, 28, v12
	v_and_b32_e32 v10, 15, v10
	v_lshlrev_b32_sdwa v13, v13, v3 dst_sel:DWORD dst_unused:UNUSED_PAD src0_sel:DWORD src1_sel:WORD_1
	v_bfe_u32 v11, v3, 19, 4
	v_sub_u32_e32 v12, 29, v12
	v_and_b32_e32 v13, 7, v13
	v_cmp_eq_u16_e32 vcc, 0, v10
	v_cndmask_b32_e32 v6, v6, v13, vcc
	v_cndmask_b32_e32 v10, v11, v12, vcc
	v_lshlrev_b32_e32 v11, 8, v3
	v_mov_b32_e32 v12, 0x3b800000
	v_lshlrev_b32_e32 v6, 20, v6
	v_and_b32_e32 v11, 0x80000000, v11
	v_lshl_add_u32 v10, v10, 23, v12
	v_or3_b32 v10, v11, v10, v6
.LBB10_952:
	s_or_b64 exec, exec, s[6:7]
	s_nop 0
	v_mfma_f32_16x16x4f32 a[0:3], v2, v10, a[0:3]
	s_movk_i32 s4, 0x7f
	v_cmp_gt_i16_sdwa s[6:7], v7, s4 src0_sel:BYTE_3 src1_sel:DWORD
	s_mov_b64 s[4:5], 0
                                        ; implicit-def: $sgpr10
	s_and_saveexec_b64 s[8:9], s[6:7]
	s_xor_b64 s[6:7], exec, s[8:9]
	s_cbranch_execnz .LBB10_3001
; %bb.953:
	s_or_saveexec_b64 s[6:7], s[6:7]
	v_mov_b32_e32 v2, s10
	s_xor_b64 exec, exec, s[6:7]
	s_cbranch_execnz .LBB10_3004
.LBB10_954:
	s_or_b64 exec, exec, s[6:7]
	s_and_saveexec_b64 s[6:7], s[4:5]
	s_cbranch_execz .LBB10_956
.LBB10_955:
	v_bfe_u32 v2, v7, 24, 3
	v_ffbh_u32_e32 v12, v2
	v_min_u32_e32 v12, 32, v12
	v_lshrrev_b32_e32 v10, 27, v7
	v_subrev_u32_e32 v13, 28, v12
	v_and_b32_e32 v6, 0x80000000, v7
	v_and_b32_e32 v10, 15, v10
	v_bfe_u32 v11, v7, 27, 4
	v_lshlrev_b32_sdwa v7, v13, v7 dst_sel:DWORD dst_unused:UNUSED_PAD src0_sel:DWORD src1_sel:BYTE_3
	v_sub_u32_e32 v12, 29, v12
	v_and_b32_e32 v7, 7, v7
	v_cmp_eq_u16_e32 vcc, 0, v10
	v_cndmask_b32_e32 v2, v2, v7, vcc
	v_cndmask_b32_e32 v7, v11, v12, vcc
	v_mov_b32_e32 v10, 0x3b800000
	v_lshlrev_b32_e32 v2, 20, v2
	v_lshl_add_u32 v7, v7, 23, v10
	v_or3_b32 v2, v6, v7, v2
.LBB10_956:
	s_or_b64 exec, exec, s[6:7]
	s_movk_i32 s4, 0x7f
	v_cmp_gt_i16_sdwa s[6:7], v3, s4 src0_sel:BYTE_3 src1_sel:DWORD
	s_mov_b64 s[4:5], 0
                                        ; implicit-def: $sgpr10
	s_and_saveexec_b64 s[8:9], s[6:7]
	s_xor_b64 s[6:7], exec, s[8:9]
	s_cbranch_execnz .LBB10_3005
; %bb.957:
	s_or_saveexec_b64 s[6:7], s[6:7]
	v_mov_b32_e32 v6, s10
	s_xor_b64 exec, exec, s[6:7]
	s_cbranch_execnz .LBB10_3008
.LBB10_958:
	s_or_b64 exec, exec, s[6:7]
	s_and_saveexec_b64 s[6:7], s[4:5]
	s_cbranch_execz .LBB10_960
.LBB10_959:
	v_bfe_u32 v6, v3, 24, 3
	v_ffbh_u32_e32 v12, v6
	v_min_u32_e32 v12, 32, v12
	v_lshrrev_b32_e32 v10, 27, v3
	v_subrev_u32_e32 v13, 28, v12
	v_and_b32_e32 v7, 0x80000000, v3
	v_and_b32_e32 v10, 15, v10
	v_bfe_u32 v11, v3, 27, 4
	v_lshlrev_b32_sdwa v3, v13, v3 dst_sel:DWORD dst_unused:UNUSED_PAD src0_sel:DWORD src1_sel:BYTE_3
	v_sub_u32_e32 v12, 29, v12
	v_and_b32_e32 v3, 7, v3
	v_cmp_eq_u16_e32 vcc, 0, v10
	v_cndmask_b32_e32 v3, v6, v3, vcc
	v_cndmask_b32_e32 v6, v11, v12, vcc
	v_mov_b32_e32 v10, 0x3b800000
	v_lshlrev_b32_e32 v3, 20, v3
	v_lshl_add_u32 v6, v6, 23, v10
	v_or3_b32 v6, v7, v6, v3
.LBB10_960:
	s_or_b64 exec, exec, s[6:7]
	s_nop 0
	v_mfma_f32_16x16x4f32 a[0:3], v2, v6, a[0:3]
	s_movk_i32 s4, 0x7f
	v_cmp_gt_i16_sdwa s[6:7], v8, s4 src0_sel:BYTE_0 src1_sel:DWORD
	s_mov_b64 s[4:5], 0
                                        ; implicit-def: $sgpr10
	s_and_saveexec_b64 s[8:9], s[6:7]
	s_xor_b64 s[6:7], exec, s[8:9]
	s_cbranch_execnz .LBB10_3009
; %bb.961:
	s_or_saveexec_b64 s[6:7], s[6:7]
	v_mov_b32_e32 v2, s10
	s_xor_b64 exec, exec, s[6:7]
	s_cbranch_execnz .LBB10_3012
.LBB10_962:
	s_or_b64 exec, exec, s[6:7]
	s_and_saveexec_b64 s[6:7], s[4:5]
	s_cbranch_execz .LBB10_964
.LBB10_963:
	v_and_b32_e32 v2, 7, v8
	v_ffbh_u32_e32 v6, v2
	v_min_u32_e32 v6, 32, v6
	v_lshrrev_b16_e32 v3, 3, v8
	v_subrev_u32_e32 v7, 28, v6
	v_and_b32_e32 v3, 15, v3
	v_lshlrev_b32_e32 v7, v7, v8
	v_sub_u32_e32 v6, 29, v6
	v_and_b32_e32 v7, 7, v7
	v_cmp_eq_u16_e32 vcc, 0, v3
	v_cndmask_b32_e32 v2, v2, v7, vcc
	v_cndmask_b32_e32 v3, v3, v6, vcc
	v_lshlrev_b32_e32 v6, 24, v8
	v_mov_b32_e32 v7, 0x3b800000
	v_lshlrev_b32_e32 v2, 20, v2
	v_and_b32_e32 v6, 0x80000000, v6
	v_lshl_add_u32 v3, v3, 23, v7
	v_or3_b32 v2, v6, v3, v2
.LBB10_964:
	s_or_b64 exec, exec, s[6:7]
	s_movk_i32 s4, 0x7f
	v_cmp_gt_i16_sdwa s[6:7], v4, s4 src0_sel:BYTE_0 src1_sel:DWORD
	s_mov_b64 s[4:5], 0
                                        ; implicit-def: $sgpr10
	s_and_saveexec_b64 s[8:9], s[6:7]
	s_xor_b64 s[6:7], exec, s[8:9]
	s_cbranch_execnz .LBB10_3013
; %bb.965:
	s_or_saveexec_b64 s[6:7], s[6:7]
	v_mov_b32_e32 v3, s10
	s_xor_b64 exec, exec, s[6:7]
	s_cbranch_execnz .LBB10_3016
.LBB10_966:
	s_or_b64 exec, exec, s[6:7]
	s_and_saveexec_b64 s[6:7], s[4:5]
	s_cbranch_execz .LBB10_968
.LBB10_967:
	v_and_b32_e32 v3, 7, v4
	v_ffbh_u32_e32 v7, v3
	v_min_u32_e32 v7, 32, v7
	v_lshrrev_b16_e32 v6, 3, v4
	v_subrev_u32_e32 v10, 28, v7
	v_and_b32_e32 v6, 15, v6
	v_lshlrev_b32_e32 v10, v10, v4
	v_sub_u32_e32 v7, 29, v7
	v_and_b32_e32 v10, 7, v10
	v_cmp_eq_u16_e32 vcc, 0, v6
	v_cndmask_b32_e32 v3, v3, v10, vcc
	v_cndmask_b32_e32 v6, v6, v7, vcc
	v_lshlrev_b32_e32 v7, 24, v4
	v_mov_b32_e32 v10, 0x3b800000
	v_lshlrev_b32_e32 v3, 20, v3
	v_and_b32_e32 v7, 0x80000000, v7
	v_lshl_add_u32 v6, v6, 23, v10
	v_or3_b32 v3, v7, v6, v3
.LBB10_968:
	s_or_b64 exec, exec, s[6:7]
	s_nop 0
	v_mfma_f32_16x16x4f32 a[0:3], v2, v3, a[0:3]
	v_lshrrev_b32_e32 v3, 8, v8
	s_movk_i32 s4, 0x7f
	v_cmp_gt_i16_sdwa s[6:7], v3, s4 src0_sel:BYTE_0 src1_sel:DWORD
	s_mov_b64 s[4:5], 0
                                        ; implicit-def: $sgpr10
	s_and_saveexec_b64 s[8:9], s[6:7]
	s_xor_b64 s[6:7], exec, s[8:9]
	s_cbranch_execnz .LBB10_3017
; %bb.969:
	s_or_saveexec_b64 s[6:7], s[6:7]
	v_mov_b32_e32 v2, s10
	s_xor_b64 exec, exec, s[6:7]
	s_cbranch_execnz .LBB10_3020
.LBB10_970:
	s_or_b64 exec, exec, s[6:7]
	s_and_saveexec_b64 s[6:7], s[4:5]
	s_cbranch_execz .LBB10_972
.LBB10_971:
	v_bfe_u32 v2, v8, 8, 3
	v_ffbh_u32_e32 v7, v2
	v_min_u32_e32 v7, 32, v7
	v_lshrrev_b16_e32 v6, 3, v3
	v_subrev_u32_e32 v10, 28, v7
	v_and_b32_e32 v6, 15, v6
	v_lshlrev_b32_e32 v3, v10, v3
	v_sub_u32_e32 v7, 29, v7
	v_and_b32_e32 v3, 7, v3
	v_cmp_eq_u16_e32 vcc, 0, v6
	v_cndmask_b32_e32 v2, v2, v3, vcc
	v_cndmask_b32_e32 v3, v6, v7, vcc
	v_lshlrev_b32_e32 v6, 16, v8
	v_mov_b32_e32 v7, 0x3b800000
	v_lshlrev_b32_e32 v2, 20, v2
	v_and_b32_e32 v6, 0x80000000, v6
	v_lshl_add_u32 v3, v3, 23, v7
	v_or3_b32 v2, v6, v3, v2
.LBB10_972:
	s_or_b64 exec, exec, s[6:7]
	v_lshrrev_b32_e32 v3, 8, v4
	s_movk_i32 s4, 0x7f
	v_cmp_gt_i16_sdwa s[6:7], v3, s4 src0_sel:BYTE_0 src1_sel:DWORD
	s_mov_b64 s[4:5], 0
                                        ; implicit-def: $sgpr10
	s_and_saveexec_b64 s[8:9], s[6:7]
	s_xor_b64 s[6:7], exec, s[8:9]
	s_cbranch_execnz .LBB10_3021
; %bb.973:
	s_or_saveexec_b64 s[6:7], s[6:7]
	v_mov_b32_e32 v6, s10
	s_xor_b64 exec, exec, s[6:7]
	s_cbranch_execnz .LBB10_3024
.LBB10_974:
	s_or_b64 exec, exec, s[6:7]
	s_and_saveexec_b64 s[6:7], s[4:5]
	s_cbranch_execz .LBB10_976
.LBB10_975:
	v_bfe_u32 v6, v4, 8, 3
	v_ffbh_u32_e32 v10, v6
	v_min_u32_e32 v10, 32, v10
	v_lshrrev_b16_e32 v7, 3, v3
	v_subrev_u32_e32 v11, 28, v10
	v_and_b32_e32 v7, 15, v7
	v_lshlrev_b32_e32 v3, v11, v3
	v_sub_u32_e32 v10, 29, v10
	v_and_b32_e32 v3, 7, v3
	v_cmp_eq_u16_e32 vcc, 0, v7
	v_cndmask_b32_e32 v3, v6, v3, vcc
	v_cndmask_b32_e32 v6, v7, v10, vcc
	v_lshlrev_b32_e32 v7, 16, v4
	v_mov_b32_e32 v10, 0x3b800000
	v_lshlrev_b32_e32 v3, 20, v3
	v_and_b32_e32 v7, 0x80000000, v7
	v_lshl_add_u32 v6, v6, 23, v10
	v_or3_b32 v6, v7, v6, v3
.LBB10_976:
	s_or_b64 exec, exec, s[6:7]
	s_nop 0
	v_mfma_f32_16x16x4f32 a[0:3], v2, v6, a[0:3]
	s_movk_i32 s4, 0xff
	v_and_b32_sdwa v3, v8, s4 dst_sel:DWORD dst_unused:UNUSED_PAD src0_sel:WORD_1 src1_sel:DWORD
	s_movk_i32 s4, 0x7f
	v_cmp_lt_i16_e32 vcc, s4, v3
	s_mov_b64 s[4:5], 0
                                        ; implicit-def: $sgpr10
	s_and_saveexec_b64 s[6:7], vcc
	s_xor_b64 s[6:7], exec, s[6:7]
	s_cbranch_execnz .LBB10_3025
; %bb.977:
	s_or_saveexec_b64 s[6:7], s[6:7]
	v_mov_b32_e32 v2, s10
	s_xor_b64 exec, exec, s[6:7]
	s_cbranch_execnz .LBB10_3028
.LBB10_978:
	s_or_b64 exec, exec, s[6:7]
	s_and_saveexec_b64 s[6:7], s[4:5]
	s_cbranch_execz .LBB10_980
.LBB10_979:
	v_bfe_u32 v2, v8, 16, 3
	v_ffbh_u32_e32 v7, v2
	v_min_u32_e32 v7, 32, v7
	v_lshrrev_b32_e32 v3, 19, v8
	v_subrev_u32_e32 v10, 28, v7
	v_and_b32_e32 v3, 15, v3
	v_lshlrev_b32_sdwa v10, v10, v8 dst_sel:DWORD dst_unused:UNUSED_PAD src0_sel:DWORD src1_sel:WORD_1
	v_bfe_u32 v6, v8, 19, 4
	v_sub_u32_e32 v7, 29, v7
	v_and_b32_e32 v10, 7, v10
	v_cmp_eq_u16_e32 vcc, 0, v3
	v_cndmask_b32_e32 v2, v2, v10, vcc
	v_cndmask_b32_e32 v3, v6, v7, vcc
	v_lshlrev_b32_e32 v6, 8, v8
	v_mov_b32_e32 v7, 0x3b800000
	v_lshlrev_b32_e32 v2, 20, v2
	v_and_b32_e32 v6, 0x80000000, v6
	v_lshl_add_u32 v3, v3, 23, v7
	v_or3_b32 v2, v6, v3, v2
.LBB10_980:
	s_or_b64 exec, exec, s[6:7]
	s_movk_i32 s4, 0xff
	v_and_b32_sdwa v3, v4, s4 dst_sel:DWORD dst_unused:UNUSED_PAD src0_sel:WORD_1 src1_sel:DWORD
	s_movk_i32 s4, 0x7f
	v_cmp_lt_i16_e32 vcc, s4, v3
	s_mov_b64 s[4:5], 0
                                        ; implicit-def: $sgpr10
	s_and_saveexec_b64 s[6:7], vcc
	s_xor_b64 s[6:7], exec, s[6:7]
	s_cbranch_execnz .LBB10_3029
; %bb.981:
	s_or_saveexec_b64 s[6:7], s[6:7]
	v_mov_b32_e32 v6, s10
	s_xor_b64 exec, exec, s[6:7]
	s_cbranch_execnz .LBB10_3032
.LBB10_982:
	s_or_b64 exec, exec, s[6:7]
	s_and_saveexec_b64 s[6:7], s[4:5]
	s_cbranch_execz .LBB10_984
.LBB10_983:
	v_bfe_u32 v3, v4, 16, 3
	v_ffbh_u32_e32 v10, v3
	v_min_u32_e32 v10, 32, v10
	v_lshrrev_b32_e32 v6, 19, v4
	v_subrev_u32_e32 v11, 28, v10
	v_and_b32_e32 v6, 15, v6
	v_lshlrev_b32_sdwa v11, v11, v4 dst_sel:DWORD dst_unused:UNUSED_PAD src0_sel:DWORD src1_sel:WORD_1
	v_bfe_u32 v7, v4, 19, 4
	v_sub_u32_e32 v10, 29, v10
	v_and_b32_e32 v11, 7, v11
	v_cmp_eq_u16_e32 vcc, 0, v6
	v_cndmask_b32_e32 v3, v3, v11, vcc
	v_cndmask_b32_e32 v6, v7, v10, vcc
	v_lshlrev_b32_e32 v7, 8, v4
	v_mov_b32_e32 v10, 0x3b800000
	v_lshlrev_b32_e32 v3, 20, v3
	v_and_b32_e32 v7, 0x80000000, v7
	v_lshl_add_u32 v6, v6, 23, v10
	v_or3_b32 v6, v7, v6, v3
.LBB10_984:
	s_or_b64 exec, exec, s[6:7]
	s_nop 0
	v_mfma_f32_16x16x4f32 a[0:3], v2, v6, a[0:3]
	s_movk_i32 s4, 0x7f
	v_cmp_gt_i16_sdwa s[6:7], v8, s4 src0_sel:BYTE_3 src1_sel:DWORD
	s_mov_b64 s[4:5], 0
                                        ; implicit-def: $sgpr10
	s_and_saveexec_b64 s[8:9], s[6:7]
	s_xor_b64 s[6:7], exec, s[8:9]
	s_cbranch_execnz .LBB10_3033
; %bb.985:
	s_or_saveexec_b64 s[6:7], s[6:7]
	v_mov_b32_e32 v2, s10
	s_xor_b64 exec, exec, s[6:7]
	s_cbranch_execnz .LBB10_3036
.LBB10_986:
	s_or_b64 exec, exec, s[6:7]
	s_and_saveexec_b64 s[6:7], s[4:5]
	s_cbranch_execz .LBB10_988
.LBB10_987:
	v_bfe_u32 v2, v8, 24, 3
	v_ffbh_u32_e32 v10, v2
	v_min_u32_e32 v10, 32, v10
	v_lshrrev_b32_e32 v6, 27, v8
	v_subrev_u32_e32 v11, 28, v10
	v_and_b32_e32 v3, 0x80000000, v8
	v_and_b32_e32 v6, 15, v6
	v_bfe_u32 v7, v8, 27, 4
	v_lshlrev_b32_sdwa v8, v11, v8 dst_sel:DWORD dst_unused:UNUSED_PAD src0_sel:DWORD src1_sel:BYTE_3
	v_sub_u32_e32 v10, 29, v10
	v_and_b32_e32 v8, 7, v8
	v_cmp_eq_u16_e32 vcc, 0, v6
	v_cndmask_b32_e32 v2, v2, v8, vcc
	v_cndmask_b32_e32 v6, v7, v10, vcc
	v_mov_b32_e32 v7, 0x3b800000
	v_lshlrev_b32_e32 v2, 20, v2
	v_lshl_add_u32 v6, v6, 23, v7
	v_or3_b32 v2, v3, v6, v2
.LBB10_988:
	s_or_b64 exec, exec, s[6:7]
	s_movk_i32 s4, 0x7f
	v_cmp_gt_i16_sdwa s[6:7], v4, s4 src0_sel:BYTE_3 src1_sel:DWORD
	s_mov_b64 s[4:5], 0
                                        ; implicit-def: $sgpr10
	s_and_saveexec_b64 s[8:9], s[6:7]
	s_xor_b64 s[6:7], exec, s[8:9]
	s_cbranch_execnz .LBB10_3037
; %bb.989:
	s_or_saveexec_b64 s[6:7], s[6:7]
	v_mov_b32_e32 v3, s10
	s_xor_b64 exec, exec, s[6:7]
	s_cbranch_execnz .LBB10_3040
.LBB10_990:
	s_or_b64 exec, exec, s[6:7]
	s_and_saveexec_b64 s[6:7], s[4:5]
	s_cbranch_execz .LBB10_992
.LBB10_991:
	v_bfe_u32 v3, v4, 24, 3
	v_ffbh_u32_e32 v10, v3
	v_min_u32_e32 v10, 32, v10
	v_lshrrev_b32_e32 v7, 27, v4
	v_subrev_u32_e32 v11, 28, v10
	v_and_b32_e32 v6, 0x80000000, v4
	v_and_b32_e32 v7, 15, v7
	v_bfe_u32 v8, v4, 27, 4
	v_lshlrev_b32_sdwa v4, v11, v4 dst_sel:DWORD dst_unused:UNUSED_PAD src0_sel:DWORD src1_sel:BYTE_3
	v_sub_u32_e32 v10, 29, v10
	v_and_b32_e32 v4, 7, v4
	v_cmp_eq_u16_e32 vcc, 0, v7
	v_cndmask_b32_e32 v3, v3, v4, vcc
	v_cndmask_b32_e32 v4, v8, v10, vcc
	v_mov_b32_e32 v7, 0x3b800000
	v_lshlrev_b32_e32 v3, 20, v3
	v_lshl_add_u32 v4, v4, 23, v7
	v_or3_b32 v3, v6, v4, v3
.LBB10_992:
	s_or_b64 exec, exec, s[6:7]
	s_nop 0
	v_mfma_f32_16x16x4f32 a[0:3], v2, v3, a[0:3]
	s_movk_i32 s4, 0x7f
	v_cmp_gt_i16_sdwa s[6:7], v9, s4 src0_sel:BYTE_0 src1_sel:DWORD
	s_mov_b64 s[4:5], 0
                                        ; implicit-def: $sgpr10
	s_and_saveexec_b64 s[8:9], s[6:7]
	s_xor_b64 s[6:7], exec, s[8:9]
	s_cbranch_execnz .LBB10_3041
; %bb.993:
	s_or_saveexec_b64 s[6:7], s[6:7]
	v_mov_b32_e32 v2, s10
	s_xor_b64 exec, exec, s[6:7]
	s_cbranch_execnz .LBB10_3044
.LBB10_994:
	s_or_b64 exec, exec, s[6:7]
	s_and_saveexec_b64 s[6:7], s[4:5]
	s_cbranch_execz .LBB10_996
.LBB10_995:
	v_mov_b32_e32 v2, 8
	v_and_b32_e32 v3, 7, v9
	v_lshrrev_b32_sdwa v2, v2, v9 dst_sel:BYTE_1 dst_unused:UNUSED_PAD src0_sel:DWORD src1_sel:DWORD
	v_ffbh_u32_e32 v4, v3
	v_or_b32_sdwa v2, v9, v2 dst_sel:DWORD dst_unused:UNUSED_PAD src0_sel:BYTE_0 src1_sel:DWORD
	v_min_u32_e32 v4, 32, v4
	v_lshrrev_b16_e32 v2, 3, v2
	v_subrev_u32_e32 v6, 28, v4
	v_and_b32_e32 v2, 15, v2
	v_lshlrev_b32_e32 v6, v6, v9
	v_sub_u32_e32 v4, 29, v4
	v_and_b32_e32 v6, 7, v6
	v_cmp_eq_u16_e32 vcc, 0, v2
	v_cndmask_b32_e32 v3, v3, v6, vcc
	v_cndmask_b32_e32 v2, v2, v4, vcc
	v_lshlrev_b32_e32 v4, 24, v9
	v_mov_b32_e32 v6, 0x3b800000
	v_lshlrev_b32_e32 v3, 20, v3
	v_and_b32_e32 v4, 0x80000000, v4
	v_lshl_add_u32 v2, v2, 23, v6
	v_or3_b32 v2, v4, v2, v3
.LBB10_996:
	s_or_b64 exec, exec, s[6:7]
	s_movk_i32 s4, 0x7f
	v_cmp_gt_i16_sdwa s[6:7], v5, s4 src0_sel:BYTE_0 src1_sel:DWORD
	s_mov_b64 s[4:5], 0
                                        ; implicit-def: $sgpr10
	s_and_saveexec_b64 s[8:9], s[6:7]
	s_xor_b64 s[6:7], exec, s[8:9]
	s_cbranch_execnz .LBB10_3045
; %bb.997:
	s_or_saveexec_b64 s[6:7], s[6:7]
	v_mov_b32_e32 v3, s10
	s_xor_b64 exec, exec, s[6:7]
	s_cbranch_execnz .LBB10_3048
.LBB10_998:
	s_or_b64 exec, exec, s[6:7]
	s_and_saveexec_b64 s[6:7], s[4:5]
	s_cbranch_execz .LBB10_1000
.LBB10_999:
	v_mov_b32_e32 v3, 8
	v_and_b32_e32 v4, 7, v5
	v_lshrrev_b32_sdwa v3, v3, v5 dst_sel:BYTE_1 dst_unused:UNUSED_PAD src0_sel:DWORD src1_sel:DWORD
	v_ffbh_u32_e32 v6, v4
	v_or_b32_sdwa v3, v5, v3 dst_sel:DWORD dst_unused:UNUSED_PAD src0_sel:BYTE_0 src1_sel:DWORD
	v_min_u32_e32 v6, 32, v6
	v_lshrrev_b16_e32 v3, 3, v3
	v_subrev_u32_e32 v7, 28, v6
	v_and_b32_e32 v3, 15, v3
	v_lshlrev_b32_e32 v7, v7, v5
	v_sub_u32_e32 v6, 29, v6
	v_and_b32_e32 v7, 7, v7
	v_cmp_eq_u16_e32 vcc, 0, v3
	v_cndmask_b32_e32 v4, v4, v7, vcc
	v_cndmask_b32_e32 v3, v3, v6, vcc
	v_lshlrev_b32_e32 v6, 24, v5
	v_mov_b32_e32 v7, 0x3b800000
	v_lshlrev_b32_e32 v4, 20, v4
	v_and_b32_e32 v6, 0x80000000, v6
	v_lshl_add_u32 v3, v3, 23, v7
	v_or3_b32 v3, v6, v3, v4
.LBB10_1000:
	s_or_b64 exec, exec, s[6:7]
	s_nop 0
	v_mfma_f32_16x16x4f32 a[0:3], v2, v3, a[0:3]
	v_lshrrev_b32_e32 v3, 8, v9
	s_movk_i32 s4, 0x7f
	v_cmp_gt_i16_sdwa s[6:7], v3, s4 src0_sel:BYTE_0 src1_sel:DWORD
	s_mov_b64 s[4:5], 0
                                        ; implicit-def: $sgpr10
	s_and_saveexec_b64 s[8:9], s[6:7]
	s_xor_b64 s[6:7], exec, s[8:9]
	s_cbranch_execnz .LBB10_3049
; %bb.1001:
	s_or_saveexec_b64 s[6:7], s[6:7]
	v_mov_b32_e32 v2, s10
	s_xor_b64 exec, exec, s[6:7]
	s_cbranch_execnz .LBB10_3052
.LBB10_1002:
	s_or_b64 exec, exec, s[6:7]
	s_and_saveexec_b64 s[6:7], s[4:5]
	s_cbranch_execz .LBB10_1004
.LBB10_1003:
	v_bfe_u32 v2, v9, 8, 3
	v_ffbh_u32_e32 v6, v2
	v_min_u32_e32 v6, 32, v6
	v_lshrrev_b16_e32 v4, 3, v3
	v_subrev_u32_e32 v7, 28, v6
	v_and_b32_e32 v4, 15, v4
	v_lshlrev_b32_e32 v3, v7, v3
	v_sub_u32_e32 v6, 29, v6
	v_and_b32_e32 v3, 7, v3
	v_cmp_eq_u16_e32 vcc, 0, v4
	v_cndmask_b32_e32 v2, v2, v3, vcc
	v_cndmask_b32_e32 v3, v4, v6, vcc
	v_lshlrev_b32_e32 v4, 16, v9
	v_mov_b32_e32 v6, 0x3b800000
	v_lshlrev_b32_e32 v2, 20, v2
	v_and_b32_e32 v4, 0x80000000, v4
	v_lshl_add_u32 v3, v3, 23, v6
	v_or3_b32 v2, v4, v3, v2
.LBB10_1004:
	s_or_b64 exec, exec, s[6:7]
	v_lshrrev_b32_e32 v3, 8, v5
	s_movk_i32 s4, 0x7f
	v_cmp_gt_i16_sdwa s[6:7], v3, s4 src0_sel:BYTE_0 src1_sel:DWORD
	s_mov_b64 s[4:5], 0
                                        ; implicit-def: $sgpr10
	s_and_saveexec_b64 s[8:9], s[6:7]
	s_xor_b64 s[6:7], exec, s[8:9]
	s_cbranch_execnz .LBB10_3053
; %bb.1005:
	s_or_saveexec_b64 s[6:7], s[6:7]
	v_mov_b32_e32 v4, s10
	s_xor_b64 exec, exec, s[6:7]
	s_cbranch_execnz .LBB10_3056
.LBB10_1006:
	s_or_b64 exec, exec, s[6:7]
	s_and_saveexec_b64 s[6:7], s[4:5]
	s_cbranch_execz .LBB10_1008
.LBB10_1007:
	v_bfe_u32 v4, v5, 8, 3
	v_ffbh_u32_e32 v7, v4
	v_min_u32_e32 v7, 32, v7
	v_lshrrev_b16_e32 v6, 3, v3
	v_subrev_u32_e32 v8, 28, v7
	v_and_b32_e32 v6, 15, v6
	v_lshlrev_b32_e32 v3, v8, v3
	v_sub_u32_e32 v7, 29, v7
	v_and_b32_e32 v3, 7, v3
	v_cmp_eq_u16_e32 vcc, 0, v6
	v_cndmask_b32_e32 v3, v4, v3, vcc
	v_cndmask_b32_e32 v4, v6, v7, vcc
	v_lshlrev_b32_e32 v6, 16, v5
	v_mov_b32_e32 v7, 0x3b800000
	v_lshlrev_b32_e32 v3, 20, v3
	v_and_b32_e32 v6, 0x80000000, v6
	v_lshl_add_u32 v4, v4, 23, v7
	v_or3_b32 v4, v6, v4, v3
.LBB10_1008:
	s_or_b64 exec, exec, s[6:7]
	s_nop 0
	v_mfma_f32_16x16x4f32 a[0:3], v2, v4, a[0:3]
	s_movk_i32 s4, 0xff
	v_and_b32_sdwa v3, v9, s4 dst_sel:DWORD dst_unused:UNUSED_PAD src0_sel:WORD_1 src1_sel:DWORD
	s_movk_i32 s4, 0x7f
	v_cmp_lt_i16_e32 vcc, s4, v3
	s_mov_b64 s[4:5], 0
                                        ; implicit-def: $sgpr10
	s_and_saveexec_b64 s[6:7], vcc
	s_xor_b64 s[6:7], exec, s[6:7]
	s_cbranch_execnz .LBB10_3057
; %bb.1009:
	s_or_saveexec_b64 s[6:7], s[6:7]
	v_mov_b32_e32 v2, s10
	s_xor_b64 exec, exec, s[6:7]
	s_cbranch_execnz .LBB10_3060
.LBB10_1010:
	s_or_b64 exec, exec, s[6:7]
	s_and_saveexec_b64 s[6:7], s[4:5]
	s_cbranch_execz .LBB10_1012
.LBB10_1011:
	v_bfe_u32 v2, v9, 16, 3
	v_ffbh_u32_e32 v6, v2
	v_min_u32_e32 v6, 32, v6
	v_lshrrev_b32_e32 v3, 19, v9
	v_subrev_u32_e32 v7, 28, v6
	v_and_b32_e32 v3, 15, v3
	v_lshlrev_b32_sdwa v7, v7, v9 dst_sel:DWORD dst_unused:UNUSED_PAD src0_sel:DWORD src1_sel:WORD_1
	v_bfe_u32 v4, v9, 19, 4
	v_sub_u32_e32 v6, 29, v6
	v_and_b32_e32 v7, 7, v7
	v_cmp_eq_u16_e32 vcc, 0, v3
	v_cndmask_b32_e32 v2, v2, v7, vcc
	v_cndmask_b32_e32 v3, v4, v6, vcc
	v_lshlrev_b32_e32 v4, 8, v9
	v_mov_b32_e32 v6, 0x3b800000
	v_lshlrev_b32_e32 v2, 20, v2
	v_and_b32_e32 v4, 0x80000000, v4
	v_lshl_add_u32 v3, v3, 23, v6
	v_or3_b32 v2, v4, v3, v2
.LBB10_1012:
	s_or_b64 exec, exec, s[6:7]
	s_movk_i32 s4, 0xff
	v_and_b32_sdwa v3, v5, s4 dst_sel:DWORD dst_unused:UNUSED_PAD src0_sel:WORD_1 src1_sel:DWORD
	s_movk_i32 s4, 0x7f
	v_cmp_lt_i16_e32 vcc, s4, v3
	s_mov_b64 s[4:5], 0
                                        ; implicit-def: $sgpr10
	s_and_saveexec_b64 s[6:7], vcc
	s_xor_b64 s[6:7], exec, s[6:7]
	s_cbranch_execnz .LBB10_3061
; %bb.1013:
	s_or_saveexec_b64 s[6:7], s[6:7]
	v_mov_b32_e32 v4, s10
	s_xor_b64 exec, exec, s[6:7]
	s_cbranch_execnz .LBB10_3064
.LBB10_1014:
	s_or_b64 exec, exec, s[6:7]
	s_and_saveexec_b64 s[6:7], s[4:5]
	s_cbranch_execz .LBB10_1016
.LBB10_1015:
	v_bfe_u32 v3, v5, 16, 3
	v_ffbh_u32_e32 v7, v3
	v_min_u32_e32 v7, 32, v7
	v_lshrrev_b32_e32 v4, 19, v5
	v_subrev_u32_e32 v8, 28, v7
	v_and_b32_e32 v4, 15, v4
	v_lshlrev_b32_sdwa v8, v8, v5 dst_sel:DWORD dst_unused:UNUSED_PAD src0_sel:DWORD src1_sel:WORD_1
	v_bfe_u32 v6, v5, 19, 4
	v_sub_u32_e32 v7, 29, v7
	v_and_b32_e32 v8, 7, v8
	v_cmp_eq_u16_e32 vcc, 0, v4
	v_cndmask_b32_e32 v3, v3, v8, vcc
	v_cndmask_b32_e32 v4, v6, v7, vcc
	v_lshlrev_b32_e32 v6, 8, v5
	v_mov_b32_e32 v7, 0x3b800000
	v_lshlrev_b32_e32 v3, 20, v3
	v_and_b32_e32 v6, 0x80000000, v6
	v_lshl_add_u32 v4, v4, 23, v7
	v_or3_b32 v4, v6, v4, v3
.LBB10_1016:
	s_or_b64 exec, exec, s[6:7]
	s_nop 0
	v_mfma_f32_16x16x4f32 a[0:3], v2, v4, a[0:3]
	s_movk_i32 s4, 0x7f
	v_cmp_gt_i16_sdwa s[6:7], v9, s4 src0_sel:BYTE_3 src1_sel:DWORD
	s_mov_b64 s[4:5], 0
                                        ; implicit-def: $sgpr10
	s_and_saveexec_b64 s[8:9], s[6:7]
	s_xor_b64 s[6:7], exec, s[8:9]
	s_cbranch_execnz .LBB10_3065
; %bb.1017:
	s_or_saveexec_b64 s[6:7], s[6:7]
	v_mov_b32_e32 v2, s10
	s_xor_b64 exec, exec, s[6:7]
	s_cbranch_execnz .LBB10_3068
.LBB10_1018:
	s_or_b64 exec, exec, s[6:7]
	s_and_saveexec_b64 s[6:7], s[4:5]
	s_cbranch_execz .LBB10_1020
.LBB10_1019:
	v_bfe_u32 v2, v9, 24, 3
	v_ffbh_u32_e32 v7, v2
	v_min_u32_e32 v7, 32, v7
	v_lshrrev_b32_e32 v4, 27, v9
	v_subrev_u32_e32 v8, 28, v7
	v_and_b32_e32 v4, 15, v4
	v_lshlrev_b32_sdwa v8, v8, v9 dst_sel:DWORD dst_unused:UNUSED_PAD src0_sel:DWORD src1_sel:BYTE_3
	v_bfe_u32 v6, v9, 27, 4
	v_sub_u32_e32 v7, 29, v7
	v_and_b32_e32 v8, 7, v8
	v_cmp_eq_u16_e32 vcc, 0, v4
	v_cndmask_b32_e32 v2, v2, v8, vcc
	v_cndmask_b32_e32 v4, v6, v7, vcc
	v_mov_b32_e32 v6, 0x3b800000
	v_and_b32_e32 v3, 0x80000000, v9
	v_lshlrev_b32_e32 v2, 20, v2
	v_lshl_add_u32 v4, v4, 23, v6
	v_or3_b32 v2, v3, v4, v2
.LBB10_1020:
	s_or_b64 exec, exec, s[6:7]
	s_movk_i32 s4, 0x7f
	v_cmp_gt_i16_sdwa s[6:7], v5, s4 src0_sel:BYTE_3 src1_sel:DWORD
	s_mov_b64 s[4:5], 0
                                        ; implicit-def: $sgpr10
	s_and_saveexec_b64 s[8:9], s[6:7]
	s_xor_b64 s[6:7], exec, s[8:9]
	s_cbranch_execnz .LBB10_3069
; %bb.1021:
	s_or_saveexec_b64 s[6:7], s[6:7]
	v_mov_b32_e32 v3, s10
	s_xor_b64 exec, exec, s[6:7]
	s_cbranch_execnz .LBB10_3072
.LBB10_1022:
	s_or_b64 exec, exec, s[6:7]
	s_and_saveexec_b64 s[6:7], s[4:5]
	s_cbranch_execz .LBB10_1024
.LBB10_1023:
	v_bfe_u32 v3, v5, 24, 3
	v_ffbh_u32_e32 v8, v3
	v_min_u32_e32 v8, 32, v8
	v_lshrrev_b32_e32 v6, 27, v5
	v_subrev_u32_e32 v9, 28, v8
	v_and_b32_e32 v4, 0x80000000, v5
	v_and_b32_e32 v6, 15, v6
	v_bfe_u32 v7, v5, 27, 4
	v_lshlrev_b32_sdwa v5, v9, v5 dst_sel:DWORD dst_unused:UNUSED_PAD src0_sel:DWORD src1_sel:BYTE_3
	v_sub_u32_e32 v8, 29, v8
	v_and_b32_e32 v5, 7, v5
	v_cmp_eq_u16_e32 vcc, 0, v6
	v_cndmask_b32_e32 v3, v3, v5, vcc
	v_cndmask_b32_e32 v5, v7, v8, vcc
	v_mov_b32_e32 v6, 0x3b800000
	v_lshlrev_b32_e32 v3, 20, v3
	v_lshl_add_u32 v5, v5, 23, v6
	v_or3_b32 v3, v4, v5, v3
.LBB10_1024:
	s_or_b64 exec, exec, s[6:7]
	s_nop 0
	v_mfma_f32_16x16x4f32 a[0:3], v2, v3, a[0:3]
	s_movk_i32 s4, 0x7f
                                        ; implicit-def: $sgpr10
	s_nop 7
	s_nop 1
	flat_store_dwordx4 v[18:19], a[0:3] offset:48
	flat_load_dwordx4 v[20:23], v[0:1] offset:16
	s_nop 0
	flat_load_dwordx2 v[18:19], v[0:1] offset:32
	s_waitcnt vmcnt(0) lgkmcnt(0)
	flat_load_dwordx4 v[14:17], v[20:21]
	flat_load_dwordx4 v[6:9], v[20:21] offset:16
	flat_load_dwordx4 v[10:13], v[22:23] offset:384
	;; [unrolled: 1-line block ×3, first 2 shown]
	s_waitcnt vmcnt(0) lgkmcnt(0)
	v_cmp_gt_i16_sdwa s[6:7], v14, s4 src0_sel:BYTE_0 src1_sel:DWORD
	s_mov_b64 s[4:5], 0
	s_and_saveexec_b64 s[8:9], s[6:7]
	s_xor_b64 s[6:7], exec, s[8:9]
	s_cbranch_execnz .LBB10_3073
; %bb.1025:
	s_or_saveexec_b64 s[6:7], s[6:7]
	v_mov_b32_e32 v20, s10
	s_xor_b64 exec, exec, s[6:7]
	s_cbranch_execnz .LBB10_3076
.LBB10_1026:
	s_or_b64 exec, exec, s[6:7]
	s_and_saveexec_b64 s[6:7], s[4:5]
	s_cbranch_execz .LBB10_1028
.LBB10_1027:
	v_and_b32_e32 v20, 7, v14
	v_ffbh_u32_e32 v22, v20
	v_min_u32_e32 v22, 32, v22
	v_lshrrev_b16_e32 v21, 3, v14
	v_subrev_u32_e32 v23, 28, v22
	v_and_b32_e32 v21, 15, v21
	v_lshlrev_b32_e32 v23, v23, v14
	v_sub_u32_e32 v22, 29, v22
	v_and_b32_e32 v23, 7, v23
	v_cmp_eq_u16_e32 vcc, 0, v21
	v_cndmask_b32_e32 v20, v20, v23, vcc
	v_cndmask_b32_e32 v21, v21, v22, vcc
	v_lshlrev_b32_e32 v22, 24, v14
	v_mov_b32_e32 v23, 0x3b800000
	v_lshlrev_b32_e32 v20, 20, v20
	v_and_b32_e32 v22, 0x80000000, v22
	v_lshl_add_u32 v21, v21, 23, v23
	v_or3_b32 v20, v22, v21, v20
.LBB10_1028:
	s_or_b64 exec, exec, s[6:7]
	s_movk_i32 s4, 0x7f
	v_cmp_gt_i16_sdwa s[6:7], v10, s4 src0_sel:BYTE_0 src1_sel:DWORD
	s_mov_b64 s[4:5], 0
                                        ; implicit-def: $sgpr10
	s_and_saveexec_b64 s[8:9], s[6:7]
	s_xor_b64 s[6:7], exec, s[8:9]
	s_cbranch_execnz .LBB10_3077
; %bb.1029:
	s_or_saveexec_b64 s[6:7], s[6:7]
	v_mov_b32_e32 v21, s10
	s_xor_b64 exec, exec, s[6:7]
	s_cbranch_execnz .LBB10_3080
.LBB10_1030:
	s_or_b64 exec, exec, s[6:7]
	s_and_saveexec_b64 s[6:7], s[4:5]
	s_cbranch_execz .LBB10_1032
.LBB10_1031:
	v_and_b32_e32 v21, 7, v10
	v_ffbh_u32_e32 v23, v21
	v_min_u32_e32 v23, 32, v23
	v_lshrrev_b16_e32 v22, 3, v10
	v_subrev_u32_e32 v24, 28, v23
	v_and_b32_e32 v22, 15, v22
	v_lshlrev_b32_e32 v24, v24, v10
	v_sub_u32_e32 v23, 29, v23
	v_and_b32_e32 v24, 7, v24
	v_cmp_eq_u16_e32 vcc, 0, v22
	v_cndmask_b32_e32 v21, v21, v24, vcc
	v_cndmask_b32_e32 v22, v22, v23, vcc
	v_lshlrev_b32_e32 v23, 24, v10
	v_mov_b32_e32 v24, 0x3b800000
	v_lshlrev_b32_e32 v21, 20, v21
	v_and_b32_e32 v23, 0x80000000, v23
	v_lshl_add_u32 v22, v22, 23, v24
	v_or3_b32 v21, v23, v22, v21
.LBB10_1032:
	s_or_b64 exec, exec, s[6:7]
	flat_load_dwordx4 a[0:3], v[18:19] offset:64
	s_movk_i32 s4, 0x7f
                                        ; implicit-def: $sgpr10
	s_waitcnt vmcnt(0) lgkmcnt(0)
	v_mfma_f32_16x16x4f32 a[0:3], v20, v21, a[0:3]
	v_lshrrev_b32_e32 v21, 8, v14
	v_cmp_gt_i16_sdwa s[6:7], v21, s4 src0_sel:BYTE_0 src1_sel:DWORD
	s_mov_b64 s[4:5], 0
	s_and_saveexec_b64 s[8:9], s[6:7]
	s_xor_b64 s[6:7], exec, s[8:9]
	s_cbranch_execnz .LBB10_3081
; %bb.1033:
	s_or_saveexec_b64 s[6:7], s[6:7]
	v_mov_b32_e32 v20, s10
	s_xor_b64 exec, exec, s[6:7]
	s_cbranch_execnz .LBB10_3084
.LBB10_1034:
	s_or_b64 exec, exec, s[6:7]
	s_and_saveexec_b64 s[6:7], s[4:5]
	s_cbranch_execz .LBB10_1036
.LBB10_1035:
	v_bfe_u32 v20, v14, 8, 3
	v_ffbh_u32_e32 v23, v20
	v_min_u32_e32 v23, 32, v23
	v_lshrrev_b16_e32 v22, 3, v21
	v_subrev_u32_e32 v24, 28, v23
	v_and_b32_e32 v22, 15, v22
	v_lshlrev_b32_e32 v21, v24, v21
	v_sub_u32_e32 v23, 29, v23
	v_and_b32_e32 v21, 7, v21
	v_cmp_eq_u16_e32 vcc, 0, v22
	v_cndmask_b32_e32 v20, v20, v21, vcc
	v_cndmask_b32_e32 v21, v22, v23, vcc
	v_lshlrev_b32_e32 v22, 16, v14
	v_mov_b32_e32 v23, 0x3b800000
	v_lshlrev_b32_e32 v20, 20, v20
	v_and_b32_e32 v22, 0x80000000, v22
	v_lshl_add_u32 v21, v21, 23, v23
	v_or3_b32 v20, v22, v21, v20
.LBB10_1036:
	s_or_b64 exec, exec, s[6:7]
	v_lshrrev_b32_e32 v21, 8, v10
	s_movk_i32 s4, 0x7f
	v_cmp_gt_i16_sdwa s[6:7], v21, s4 src0_sel:BYTE_0 src1_sel:DWORD
	s_mov_b64 s[4:5], 0
                                        ; implicit-def: $sgpr10
	s_and_saveexec_b64 s[8:9], s[6:7]
	s_xor_b64 s[6:7], exec, s[8:9]
	s_cbranch_execnz .LBB10_3085
; %bb.1037:
	s_or_saveexec_b64 s[6:7], s[6:7]
	v_mov_b32_e32 v22, s10
	s_xor_b64 exec, exec, s[6:7]
	s_cbranch_execnz .LBB10_3088
.LBB10_1038:
	s_or_b64 exec, exec, s[6:7]
	s_and_saveexec_b64 s[6:7], s[4:5]
	s_cbranch_execz .LBB10_1040
.LBB10_1039:
	v_bfe_u32 v22, v10, 8, 3
	v_ffbh_u32_e32 v24, v22
	v_min_u32_e32 v24, 32, v24
	v_lshrrev_b16_e32 v23, 3, v21
	v_subrev_u32_e32 v25, 28, v24
	v_and_b32_e32 v23, 15, v23
	v_lshlrev_b32_e32 v21, v25, v21
	v_sub_u32_e32 v24, 29, v24
	v_and_b32_e32 v21, 7, v21
	v_cmp_eq_u16_e32 vcc, 0, v23
	v_cndmask_b32_e32 v21, v22, v21, vcc
	v_cndmask_b32_e32 v22, v23, v24, vcc
	v_lshlrev_b32_e32 v23, 16, v10
	v_mov_b32_e32 v24, 0x3b800000
	v_lshlrev_b32_e32 v21, 20, v21
	v_and_b32_e32 v23, 0x80000000, v23
	v_lshl_add_u32 v22, v22, 23, v24
	v_or3_b32 v22, v23, v22, v21
.LBB10_1040:
	s_or_b64 exec, exec, s[6:7]
	s_nop 0
	v_mfma_f32_16x16x4f32 a[0:3], v20, v22, a[0:3]
	s_movk_i32 s4, 0xff
	v_and_b32_sdwa v21, v14, s4 dst_sel:DWORD dst_unused:UNUSED_PAD src0_sel:WORD_1 src1_sel:DWORD
	s_movk_i32 s4, 0x7f
	v_cmp_lt_i16_e32 vcc, s4, v21
	s_mov_b64 s[4:5], 0
                                        ; implicit-def: $sgpr10
	s_and_saveexec_b64 s[6:7], vcc
	s_xor_b64 s[6:7], exec, s[6:7]
	s_cbranch_execnz .LBB10_3089
; %bb.1041:
	s_or_saveexec_b64 s[6:7], s[6:7]
	v_mov_b32_e32 v20, s10
	s_xor_b64 exec, exec, s[6:7]
	s_cbranch_execnz .LBB10_3092
.LBB10_1042:
	s_or_b64 exec, exec, s[6:7]
	s_and_saveexec_b64 s[6:7], s[4:5]
	s_cbranch_execz .LBB10_1044
.LBB10_1043:
	v_bfe_u32 v20, v14, 16, 3
	v_ffbh_u32_e32 v23, v20
	v_min_u32_e32 v23, 32, v23
	v_lshrrev_b32_e32 v21, 19, v14
	v_subrev_u32_e32 v24, 28, v23
	v_and_b32_e32 v21, 15, v21
	v_lshlrev_b32_sdwa v24, v24, v14 dst_sel:DWORD dst_unused:UNUSED_PAD src0_sel:DWORD src1_sel:WORD_1
	v_bfe_u32 v22, v14, 19, 4
	v_sub_u32_e32 v23, 29, v23
	v_and_b32_e32 v24, 7, v24
	v_cmp_eq_u16_e32 vcc, 0, v21
	v_cndmask_b32_e32 v20, v20, v24, vcc
	v_cndmask_b32_e32 v21, v22, v23, vcc
	v_lshlrev_b32_e32 v22, 8, v14
	v_mov_b32_e32 v23, 0x3b800000
	v_lshlrev_b32_e32 v20, 20, v20
	v_and_b32_e32 v22, 0x80000000, v22
	v_lshl_add_u32 v21, v21, 23, v23
	v_or3_b32 v20, v22, v21, v20
.LBB10_1044:
	s_or_b64 exec, exec, s[6:7]
	s_movk_i32 s4, 0xff
	v_and_b32_sdwa v21, v10, s4 dst_sel:DWORD dst_unused:UNUSED_PAD src0_sel:WORD_1 src1_sel:DWORD
	s_movk_i32 s4, 0x7f
	v_cmp_lt_i16_e32 vcc, s4, v21
	s_mov_b64 s[4:5], 0
                                        ; implicit-def: $sgpr10
	s_and_saveexec_b64 s[6:7], vcc
	s_xor_b64 s[6:7], exec, s[6:7]
	s_cbranch_execnz .LBB10_3093
; %bb.1045:
	s_or_saveexec_b64 s[6:7], s[6:7]
	v_mov_b32_e32 v22, s10
	s_xor_b64 exec, exec, s[6:7]
	s_cbranch_execnz .LBB10_3096
.LBB10_1046:
	s_or_b64 exec, exec, s[6:7]
	s_and_saveexec_b64 s[6:7], s[4:5]
	s_cbranch_execz .LBB10_1048
.LBB10_1047:
	v_bfe_u32 v21, v10, 16, 3
	v_ffbh_u32_e32 v24, v21
	v_min_u32_e32 v24, 32, v24
	v_lshrrev_b32_e32 v22, 19, v10
	v_subrev_u32_e32 v25, 28, v24
	v_and_b32_e32 v22, 15, v22
	v_lshlrev_b32_sdwa v25, v25, v10 dst_sel:DWORD dst_unused:UNUSED_PAD src0_sel:DWORD src1_sel:WORD_1
	v_bfe_u32 v23, v10, 19, 4
	v_sub_u32_e32 v24, 29, v24
	v_and_b32_e32 v25, 7, v25
	v_cmp_eq_u16_e32 vcc, 0, v22
	v_cndmask_b32_e32 v21, v21, v25, vcc
	v_cndmask_b32_e32 v22, v23, v24, vcc
	v_lshlrev_b32_e32 v23, 8, v10
	v_mov_b32_e32 v24, 0x3b800000
	v_lshlrev_b32_e32 v21, 20, v21
	v_and_b32_e32 v23, 0x80000000, v23
	v_lshl_add_u32 v22, v22, 23, v24
	v_or3_b32 v22, v23, v22, v21
.LBB10_1048:
	s_or_b64 exec, exec, s[6:7]
	s_nop 0
	v_mfma_f32_16x16x4f32 a[0:3], v20, v22, a[0:3]
	s_movk_i32 s4, 0x7f
	v_cmp_gt_i16_sdwa s[6:7], v14, s4 src0_sel:BYTE_3 src1_sel:DWORD
	s_mov_b64 s[4:5], 0
                                        ; implicit-def: $sgpr10
	s_and_saveexec_b64 s[8:9], s[6:7]
	s_xor_b64 s[6:7], exec, s[8:9]
	s_cbranch_execnz .LBB10_3097
; %bb.1049:
	s_or_saveexec_b64 s[6:7], s[6:7]
	v_mov_b32_e32 v20, s10
	s_xor_b64 exec, exec, s[6:7]
	s_cbranch_execnz .LBB10_3100
.LBB10_1050:
	s_or_b64 exec, exec, s[6:7]
	s_and_saveexec_b64 s[6:7], s[4:5]
	s_cbranch_execz .LBB10_1052
.LBB10_1051:
	v_bfe_u32 v20, v14, 24, 3
	v_ffbh_u32_e32 v24, v20
	v_min_u32_e32 v24, 32, v24
	v_lshrrev_b32_e32 v22, 27, v14
	v_subrev_u32_e32 v25, 28, v24
	v_and_b32_e32 v21, 0x80000000, v14
	v_and_b32_e32 v22, 15, v22
	v_bfe_u32 v23, v14, 27, 4
	v_lshlrev_b32_sdwa v14, v25, v14 dst_sel:DWORD dst_unused:UNUSED_PAD src0_sel:DWORD src1_sel:BYTE_3
	v_sub_u32_e32 v24, 29, v24
	v_and_b32_e32 v14, 7, v14
	v_cmp_eq_u16_e32 vcc, 0, v22
	v_cndmask_b32_e32 v14, v20, v14, vcc
	v_cndmask_b32_e32 v20, v23, v24, vcc
	v_mov_b32_e32 v22, 0x3b800000
	v_lshlrev_b32_e32 v14, 20, v14
	v_lshl_add_u32 v20, v20, 23, v22
	v_or3_b32 v20, v21, v20, v14
.LBB10_1052:
	s_or_b64 exec, exec, s[6:7]
	s_movk_i32 s4, 0x7f
	v_cmp_gt_i16_sdwa s[6:7], v10, s4 src0_sel:BYTE_3 src1_sel:DWORD
	s_mov_b64 s[4:5], 0
                                        ; implicit-def: $sgpr10
	s_and_saveexec_b64 s[8:9], s[6:7]
	s_xor_b64 s[6:7], exec, s[8:9]
	s_cbranch_execnz .LBB10_3101
; %bb.1053:
	s_or_saveexec_b64 s[6:7], s[6:7]
	v_mov_b32_e32 v14, s10
	s_xor_b64 exec, exec, s[6:7]
	s_cbranch_execnz .LBB10_3104
.LBB10_1054:
	s_or_b64 exec, exec, s[6:7]
	s_and_saveexec_b64 s[6:7], s[4:5]
	s_cbranch_execz .LBB10_1056
.LBB10_1055:
	v_bfe_u32 v14, v10, 24, 3
	v_ffbh_u32_e32 v24, v14
	v_min_u32_e32 v24, 32, v24
	v_lshrrev_b32_e32 v22, 27, v10
	v_subrev_u32_e32 v25, 28, v24
	v_and_b32_e32 v21, 0x80000000, v10
	v_and_b32_e32 v22, 15, v22
	v_bfe_u32 v23, v10, 27, 4
	v_lshlrev_b32_sdwa v10, v25, v10 dst_sel:DWORD dst_unused:UNUSED_PAD src0_sel:DWORD src1_sel:BYTE_3
	v_sub_u32_e32 v24, 29, v24
	v_and_b32_e32 v10, 7, v10
	v_cmp_eq_u16_e32 vcc, 0, v22
	v_cndmask_b32_e32 v10, v14, v10, vcc
	v_cndmask_b32_e32 v14, v23, v24, vcc
	v_mov_b32_e32 v22, 0x3b800000
	v_lshlrev_b32_e32 v10, 20, v10
	v_lshl_add_u32 v14, v14, 23, v22
	v_or3_b32 v14, v21, v14, v10
.LBB10_1056:
	s_or_b64 exec, exec, s[6:7]
	s_nop 0
	v_mfma_f32_16x16x4f32 a[0:3], v20, v14, a[0:3]
	s_movk_i32 s4, 0x7f
	v_cmp_gt_i16_sdwa s[6:7], v15, s4 src0_sel:BYTE_0 src1_sel:DWORD
	s_mov_b64 s[4:5], 0
                                        ; implicit-def: $sgpr10
	s_and_saveexec_b64 s[8:9], s[6:7]
	s_xor_b64 s[6:7], exec, s[8:9]
	s_cbranch_execnz .LBB10_3105
; %bb.1057:
	s_or_saveexec_b64 s[6:7], s[6:7]
	v_mov_b32_e32 v10, s10
	s_xor_b64 exec, exec, s[6:7]
	s_cbranch_execnz .LBB10_3108
.LBB10_1058:
	s_or_b64 exec, exec, s[6:7]
	s_and_saveexec_b64 s[6:7], s[4:5]
	s_cbranch_execz .LBB10_1060
.LBB10_1059:
	v_and_b32_e32 v10, 7, v15
	v_ffbh_u32_e32 v20, v10
	v_min_u32_e32 v20, 32, v20
	v_lshrrev_b16_e32 v14, 3, v15
	v_subrev_u32_e32 v21, 28, v20
	v_and_b32_e32 v14, 15, v14
	v_lshlrev_b32_e32 v21, v21, v15
	v_sub_u32_e32 v20, 29, v20
	v_and_b32_e32 v21, 7, v21
	v_cmp_eq_u16_e32 vcc, 0, v14
	v_cndmask_b32_e32 v10, v10, v21, vcc
	v_cndmask_b32_e32 v14, v14, v20, vcc
	v_lshlrev_b32_e32 v20, 24, v15
	v_mov_b32_e32 v21, 0x3b800000
	v_lshlrev_b32_e32 v10, 20, v10
	v_and_b32_e32 v20, 0x80000000, v20
	v_lshl_add_u32 v14, v14, 23, v21
	v_or3_b32 v10, v20, v14, v10
.LBB10_1060:
	s_or_b64 exec, exec, s[6:7]
	s_movk_i32 s4, 0x7f
	v_cmp_gt_i16_sdwa s[6:7], v11, s4 src0_sel:BYTE_0 src1_sel:DWORD
	s_mov_b64 s[4:5], 0
                                        ; implicit-def: $sgpr10
	s_and_saveexec_b64 s[8:9], s[6:7]
	s_xor_b64 s[6:7], exec, s[8:9]
	s_cbranch_execnz .LBB10_3109
; %bb.1061:
	s_or_saveexec_b64 s[6:7], s[6:7]
	v_mov_b32_e32 v14, s10
	s_xor_b64 exec, exec, s[6:7]
	s_cbranch_execnz .LBB10_3112
.LBB10_1062:
	s_or_b64 exec, exec, s[6:7]
	s_and_saveexec_b64 s[6:7], s[4:5]
	s_cbranch_execz .LBB10_1064
.LBB10_1063:
	v_and_b32_e32 v14, 7, v11
	v_ffbh_u32_e32 v21, v14
	v_min_u32_e32 v21, 32, v21
	v_lshrrev_b16_e32 v20, 3, v11
	v_subrev_u32_e32 v22, 28, v21
	v_and_b32_e32 v20, 15, v20
	v_lshlrev_b32_e32 v22, v22, v11
	v_sub_u32_e32 v21, 29, v21
	v_and_b32_e32 v22, 7, v22
	v_cmp_eq_u16_e32 vcc, 0, v20
	v_cndmask_b32_e32 v14, v14, v22, vcc
	v_cndmask_b32_e32 v20, v20, v21, vcc
	v_lshlrev_b32_e32 v21, 24, v11
	v_mov_b32_e32 v22, 0x3b800000
	v_lshlrev_b32_e32 v14, 20, v14
	v_and_b32_e32 v21, 0x80000000, v21
	v_lshl_add_u32 v20, v20, 23, v22
	v_or3_b32 v14, v21, v20, v14
.LBB10_1064:
	s_or_b64 exec, exec, s[6:7]
	s_nop 0
	v_mfma_f32_16x16x4f32 a[0:3], v10, v14, a[0:3]
	v_lshrrev_b32_e32 v14, 8, v15
	s_movk_i32 s4, 0x7f
	v_cmp_gt_i16_sdwa s[6:7], v14, s4 src0_sel:BYTE_0 src1_sel:DWORD
	s_mov_b64 s[4:5], 0
                                        ; implicit-def: $sgpr10
	s_and_saveexec_b64 s[8:9], s[6:7]
	s_xor_b64 s[6:7], exec, s[8:9]
	s_cbranch_execnz .LBB10_3113
; %bb.1065:
	s_or_saveexec_b64 s[6:7], s[6:7]
	v_mov_b32_e32 v10, s10
	s_xor_b64 exec, exec, s[6:7]
	s_cbranch_execnz .LBB10_3116
.LBB10_1066:
	s_or_b64 exec, exec, s[6:7]
	s_and_saveexec_b64 s[6:7], s[4:5]
	s_cbranch_execz .LBB10_1068
.LBB10_1067:
	v_bfe_u32 v10, v15, 8, 3
	v_ffbh_u32_e32 v21, v10
	v_min_u32_e32 v21, 32, v21
	v_lshrrev_b16_e32 v20, 3, v14
	v_subrev_u32_e32 v22, 28, v21
	v_and_b32_e32 v20, 15, v20
	v_lshlrev_b32_e32 v14, v22, v14
	v_sub_u32_e32 v21, 29, v21
	v_and_b32_e32 v14, 7, v14
	v_cmp_eq_u16_e32 vcc, 0, v20
	v_cndmask_b32_e32 v10, v10, v14, vcc
	v_cndmask_b32_e32 v14, v20, v21, vcc
	v_lshlrev_b32_e32 v20, 16, v15
	v_mov_b32_e32 v21, 0x3b800000
	v_lshlrev_b32_e32 v10, 20, v10
	v_and_b32_e32 v20, 0x80000000, v20
	v_lshl_add_u32 v14, v14, 23, v21
	v_or3_b32 v10, v20, v14, v10
.LBB10_1068:
	s_or_b64 exec, exec, s[6:7]
	v_lshrrev_b32_e32 v14, 8, v11
	s_movk_i32 s4, 0x7f
	v_cmp_gt_i16_sdwa s[6:7], v14, s4 src0_sel:BYTE_0 src1_sel:DWORD
	s_mov_b64 s[4:5], 0
                                        ; implicit-def: $sgpr10
	s_and_saveexec_b64 s[8:9], s[6:7]
	s_xor_b64 s[6:7], exec, s[8:9]
	s_cbranch_execnz .LBB10_3117
; %bb.1069:
	s_or_saveexec_b64 s[6:7], s[6:7]
	v_mov_b32_e32 v20, s10
	s_xor_b64 exec, exec, s[6:7]
	s_cbranch_execnz .LBB10_3120
.LBB10_1070:
	s_or_b64 exec, exec, s[6:7]
	s_and_saveexec_b64 s[6:7], s[4:5]
	s_cbranch_execz .LBB10_1072
.LBB10_1071:
	v_bfe_u32 v20, v11, 8, 3
	v_ffbh_u32_e32 v22, v20
	v_min_u32_e32 v22, 32, v22
	v_lshrrev_b16_e32 v21, 3, v14
	v_subrev_u32_e32 v23, 28, v22
	v_and_b32_e32 v21, 15, v21
	v_lshlrev_b32_e32 v14, v23, v14
	v_sub_u32_e32 v22, 29, v22
	v_and_b32_e32 v14, 7, v14
	v_cmp_eq_u16_e32 vcc, 0, v21
	v_cndmask_b32_e32 v14, v20, v14, vcc
	v_cndmask_b32_e32 v20, v21, v22, vcc
	v_lshlrev_b32_e32 v21, 16, v11
	v_mov_b32_e32 v22, 0x3b800000
	v_lshlrev_b32_e32 v14, 20, v14
	v_and_b32_e32 v21, 0x80000000, v21
	v_lshl_add_u32 v20, v20, 23, v22
	v_or3_b32 v20, v21, v20, v14
.LBB10_1072:
	s_or_b64 exec, exec, s[6:7]
	s_nop 0
	v_mfma_f32_16x16x4f32 a[0:3], v10, v20, a[0:3]
	s_movk_i32 s4, 0xff
	v_and_b32_sdwa v14, v15, s4 dst_sel:DWORD dst_unused:UNUSED_PAD src0_sel:WORD_1 src1_sel:DWORD
	s_movk_i32 s4, 0x7f
	v_cmp_lt_i16_e32 vcc, s4, v14
	s_mov_b64 s[4:5], 0
                                        ; implicit-def: $sgpr10
	s_and_saveexec_b64 s[6:7], vcc
	s_xor_b64 s[6:7], exec, s[6:7]
	s_cbranch_execnz .LBB10_3121
; %bb.1073:
	s_or_saveexec_b64 s[6:7], s[6:7]
	v_mov_b32_e32 v10, s10
	s_xor_b64 exec, exec, s[6:7]
	s_cbranch_execnz .LBB10_3124
.LBB10_1074:
	s_or_b64 exec, exec, s[6:7]
	s_and_saveexec_b64 s[6:7], s[4:5]
	s_cbranch_execz .LBB10_1076
.LBB10_1075:
	v_bfe_u32 v10, v15, 16, 3
	v_ffbh_u32_e32 v21, v10
	v_min_u32_e32 v21, 32, v21
	v_lshrrev_b32_e32 v14, 19, v15
	v_subrev_u32_e32 v22, 28, v21
	v_and_b32_e32 v14, 15, v14
	v_lshlrev_b32_sdwa v22, v22, v15 dst_sel:DWORD dst_unused:UNUSED_PAD src0_sel:DWORD src1_sel:WORD_1
	v_bfe_u32 v20, v15, 19, 4
	v_sub_u32_e32 v21, 29, v21
	v_and_b32_e32 v22, 7, v22
	v_cmp_eq_u16_e32 vcc, 0, v14
	v_cndmask_b32_e32 v10, v10, v22, vcc
	v_cndmask_b32_e32 v14, v20, v21, vcc
	v_lshlrev_b32_e32 v20, 8, v15
	v_mov_b32_e32 v21, 0x3b800000
	v_lshlrev_b32_e32 v10, 20, v10
	v_and_b32_e32 v20, 0x80000000, v20
	v_lshl_add_u32 v14, v14, 23, v21
	v_or3_b32 v10, v20, v14, v10
.LBB10_1076:
	s_or_b64 exec, exec, s[6:7]
	s_movk_i32 s4, 0xff
	v_and_b32_sdwa v14, v11, s4 dst_sel:DWORD dst_unused:UNUSED_PAD src0_sel:WORD_1 src1_sel:DWORD
	s_movk_i32 s4, 0x7f
	v_cmp_lt_i16_e32 vcc, s4, v14
	s_mov_b64 s[4:5], 0
                                        ; implicit-def: $sgpr10
	s_and_saveexec_b64 s[6:7], vcc
	s_xor_b64 s[6:7], exec, s[6:7]
	s_cbranch_execnz .LBB10_3125
; %bb.1077:
	s_or_saveexec_b64 s[6:7], s[6:7]
	v_mov_b32_e32 v20, s10
	s_xor_b64 exec, exec, s[6:7]
	s_cbranch_execnz .LBB10_3128
.LBB10_1078:
	s_or_b64 exec, exec, s[6:7]
	s_and_saveexec_b64 s[6:7], s[4:5]
	s_cbranch_execz .LBB10_1080
.LBB10_1079:
	v_bfe_u32 v14, v11, 16, 3
	v_ffbh_u32_e32 v22, v14
	v_min_u32_e32 v22, 32, v22
	v_lshrrev_b32_e32 v20, 19, v11
	v_subrev_u32_e32 v23, 28, v22
	v_and_b32_e32 v20, 15, v20
	v_lshlrev_b32_sdwa v23, v23, v11 dst_sel:DWORD dst_unused:UNUSED_PAD src0_sel:DWORD src1_sel:WORD_1
	v_bfe_u32 v21, v11, 19, 4
	v_sub_u32_e32 v22, 29, v22
	v_and_b32_e32 v23, 7, v23
	v_cmp_eq_u16_e32 vcc, 0, v20
	v_cndmask_b32_e32 v14, v14, v23, vcc
	v_cndmask_b32_e32 v20, v21, v22, vcc
	v_lshlrev_b32_e32 v21, 8, v11
	v_mov_b32_e32 v22, 0x3b800000
	v_lshlrev_b32_e32 v14, 20, v14
	v_and_b32_e32 v21, 0x80000000, v21
	v_lshl_add_u32 v20, v20, 23, v22
	v_or3_b32 v20, v21, v20, v14
.LBB10_1080:
	s_or_b64 exec, exec, s[6:7]
	s_nop 0
	v_mfma_f32_16x16x4f32 a[0:3], v10, v20, a[0:3]
	s_movk_i32 s4, 0x7f
	v_cmp_gt_i16_sdwa s[6:7], v15, s4 src0_sel:BYTE_3 src1_sel:DWORD
	s_mov_b64 s[4:5], 0
                                        ; implicit-def: $sgpr10
	s_and_saveexec_b64 s[8:9], s[6:7]
	s_xor_b64 s[6:7], exec, s[8:9]
	s_cbranch_execnz .LBB10_3129
; %bb.1081:
	s_or_saveexec_b64 s[6:7], s[6:7]
	v_mov_b32_e32 v10, s10
	s_xor_b64 exec, exec, s[6:7]
	s_cbranch_execnz .LBB10_3132
.LBB10_1082:
	s_or_b64 exec, exec, s[6:7]
	s_and_saveexec_b64 s[6:7], s[4:5]
	s_cbranch_execz .LBB10_1084
.LBB10_1083:
	v_bfe_u32 v10, v15, 24, 3
	v_ffbh_u32_e32 v22, v10
	v_min_u32_e32 v22, 32, v22
	v_lshrrev_b32_e32 v20, 27, v15
	v_subrev_u32_e32 v23, 28, v22
	v_and_b32_e32 v14, 0x80000000, v15
	v_and_b32_e32 v20, 15, v20
	v_bfe_u32 v21, v15, 27, 4
	v_lshlrev_b32_sdwa v15, v23, v15 dst_sel:DWORD dst_unused:UNUSED_PAD src0_sel:DWORD src1_sel:BYTE_3
	v_sub_u32_e32 v22, 29, v22
	v_and_b32_e32 v15, 7, v15
	v_cmp_eq_u16_e32 vcc, 0, v20
	v_cndmask_b32_e32 v10, v10, v15, vcc
	v_cndmask_b32_e32 v15, v21, v22, vcc
	v_mov_b32_e32 v20, 0x3b800000
	v_lshlrev_b32_e32 v10, 20, v10
	v_lshl_add_u32 v15, v15, 23, v20
	v_or3_b32 v10, v14, v15, v10
.LBB10_1084:
	s_or_b64 exec, exec, s[6:7]
	s_movk_i32 s4, 0x7f
	v_cmp_gt_i16_sdwa s[6:7], v11, s4 src0_sel:BYTE_3 src1_sel:DWORD
	s_mov_b64 s[4:5], 0
                                        ; implicit-def: $sgpr10
	s_and_saveexec_b64 s[8:9], s[6:7]
	s_xor_b64 s[6:7], exec, s[8:9]
	s_cbranch_execnz .LBB10_3133
; %bb.1085:
	s_or_saveexec_b64 s[6:7], s[6:7]
	v_mov_b32_e32 v14, s10
	s_xor_b64 exec, exec, s[6:7]
	s_cbranch_execnz .LBB10_3136
.LBB10_1086:
	s_or_b64 exec, exec, s[6:7]
	s_and_saveexec_b64 s[6:7], s[4:5]
	s_cbranch_execz .LBB10_1088
.LBB10_1087:
	v_bfe_u32 v14, v11, 24, 3
	v_ffbh_u32_e32 v22, v14
	v_min_u32_e32 v22, 32, v22
	v_lshrrev_b32_e32 v20, 27, v11
	v_subrev_u32_e32 v23, 28, v22
	v_and_b32_e32 v15, 0x80000000, v11
	v_and_b32_e32 v20, 15, v20
	v_bfe_u32 v21, v11, 27, 4
	v_lshlrev_b32_sdwa v11, v23, v11 dst_sel:DWORD dst_unused:UNUSED_PAD src0_sel:DWORD src1_sel:BYTE_3
	v_sub_u32_e32 v22, 29, v22
	v_and_b32_e32 v11, 7, v11
	v_cmp_eq_u16_e32 vcc, 0, v20
	v_cndmask_b32_e32 v11, v14, v11, vcc
	v_cndmask_b32_e32 v14, v21, v22, vcc
	v_mov_b32_e32 v20, 0x3b800000
	v_lshlrev_b32_e32 v11, 20, v11
	v_lshl_add_u32 v14, v14, 23, v20
	v_or3_b32 v14, v15, v14, v11
.LBB10_1088:
	s_or_b64 exec, exec, s[6:7]
	s_nop 0
	v_mfma_f32_16x16x4f32 a[0:3], v10, v14, a[0:3]
	s_movk_i32 s4, 0x7f
	v_cmp_gt_i16_sdwa s[6:7], v16, s4 src0_sel:BYTE_0 src1_sel:DWORD
	s_mov_b64 s[4:5], 0
                                        ; implicit-def: $sgpr10
	s_and_saveexec_b64 s[8:9], s[6:7]
	s_xor_b64 s[6:7], exec, s[8:9]
	s_cbranch_execnz .LBB10_3137
; %bb.1089:
	s_or_saveexec_b64 s[6:7], s[6:7]
	v_mov_b32_e32 v10, s10
	s_xor_b64 exec, exec, s[6:7]
	s_cbranch_execnz .LBB10_3140
.LBB10_1090:
	s_or_b64 exec, exec, s[6:7]
	s_and_saveexec_b64 s[6:7], s[4:5]
	s_cbranch_execz .LBB10_1092
.LBB10_1091:
	v_and_b32_e32 v10, 7, v16
	v_ffbh_u32_e32 v14, v10
	v_min_u32_e32 v14, 32, v14
	v_lshrrev_b16_e32 v11, 3, v16
	v_subrev_u32_e32 v15, 28, v14
	v_and_b32_e32 v11, 15, v11
	v_lshlrev_b32_e32 v15, v15, v16
	v_sub_u32_e32 v14, 29, v14
	v_and_b32_e32 v15, 7, v15
	v_cmp_eq_u16_e32 vcc, 0, v11
	v_cndmask_b32_e32 v10, v10, v15, vcc
	v_cndmask_b32_e32 v11, v11, v14, vcc
	v_lshlrev_b32_e32 v14, 24, v16
	v_mov_b32_e32 v15, 0x3b800000
	v_lshlrev_b32_e32 v10, 20, v10
	v_and_b32_e32 v14, 0x80000000, v14
	v_lshl_add_u32 v11, v11, 23, v15
	v_or3_b32 v10, v14, v11, v10
.LBB10_1092:
	s_or_b64 exec, exec, s[6:7]
	s_movk_i32 s4, 0x7f
	v_cmp_gt_i16_sdwa s[6:7], v12, s4 src0_sel:BYTE_0 src1_sel:DWORD
	s_mov_b64 s[4:5], 0
                                        ; implicit-def: $sgpr10
	s_and_saveexec_b64 s[8:9], s[6:7]
	s_xor_b64 s[6:7], exec, s[8:9]
	s_cbranch_execnz .LBB10_3141
; %bb.1093:
	s_or_saveexec_b64 s[6:7], s[6:7]
	v_mov_b32_e32 v11, s10
	s_xor_b64 exec, exec, s[6:7]
	s_cbranch_execnz .LBB10_3144
.LBB10_1094:
	s_or_b64 exec, exec, s[6:7]
	s_and_saveexec_b64 s[6:7], s[4:5]
	s_cbranch_execz .LBB10_1096
.LBB10_1095:
	v_and_b32_e32 v11, 7, v12
	v_ffbh_u32_e32 v15, v11
	v_min_u32_e32 v15, 32, v15
	v_lshrrev_b16_e32 v14, 3, v12
	v_subrev_u32_e32 v20, 28, v15
	v_and_b32_e32 v14, 15, v14
	v_lshlrev_b32_e32 v20, v20, v12
	v_sub_u32_e32 v15, 29, v15
	v_and_b32_e32 v20, 7, v20
	v_cmp_eq_u16_e32 vcc, 0, v14
	v_cndmask_b32_e32 v11, v11, v20, vcc
	v_cndmask_b32_e32 v14, v14, v15, vcc
	v_lshlrev_b32_e32 v15, 24, v12
	v_mov_b32_e32 v20, 0x3b800000
	v_lshlrev_b32_e32 v11, 20, v11
	v_and_b32_e32 v15, 0x80000000, v15
	v_lshl_add_u32 v14, v14, 23, v20
	v_or3_b32 v11, v15, v14, v11
.LBB10_1096:
	s_or_b64 exec, exec, s[6:7]
	s_nop 0
	v_mfma_f32_16x16x4f32 a[0:3], v10, v11, a[0:3]
	v_lshrrev_b32_e32 v11, 8, v16
	s_movk_i32 s4, 0x7f
	v_cmp_gt_i16_sdwa s[6:7], v11, s4 src0_sel:BYTE_0 src1_sel:DWORD
	s_mov_b64 s[4:5], 0
                                        ; implicit-def: $sgpr10
	s_and_saveexec_b64 s[8:9], s[6:7]
	s_xor_b64 s[6:7], exec, s[8:9]
	s_cbranch_execnz .LBB10_3145
; %bb.1097:
	s_or_saveexec_b64 s[6:7], s[6:7]
	v_mov_b32_e32 v10, s10
	s_xor_b64 exec, exec, s[6:7]
	s_cbranch_execnz .LBB10_3148
.LBB10_1098:
	s_or_b64 exec, exec, s[6:7]
	s_and_saveexec_b64 s[6:7], s[4:5]
	s_cbranch_execz .LBB10_1100
.LBB10_1099:
	v_bfe_u32 v10, v16, 8, 3
	v_ffbh_u32_e32 v15, v10
	v_min_u32_e32 v15, 32, v15
	v_lshrrev_b16_e32 v14, 3, v11
	v_subrev_u32_e32 v20, 28, v15
	v_and_b32_e32 v14, 15, v14
	v_lshlrev_b32_e32 v11, v20, v11
	v_sub_u32_e32 v15, 29, v15
	v_and_b32_e32 v11, 7, v11
	v_cmp_eq_u16_e32 vcc, 0, v14
	v_cndmask_b32_e32 v10, v10, v11, vcc
	v_cndmask_b32_e32 v11, v14, v15, vcc
	v_lshlrev_b32_e32 v14, 16, v16
	v_mov_b32_e32 v15, 0x3b800000
	v_lshlrev_b32_e32 v10, 20, v10
	v_and_b32_e32 v14, 0x80000000, v14
	v_lshl_add_u32 v11, v11, 23, v15
	v_or3_b32 v10, v14, v11, v10
.LBB10_1100:
	s_or_b64 exec, exec, s[6:7]
	v_lshrrev_b32_e32 v11, 8, v12
	s_movk_i32 s4, 0x7f
	v_cmp_gt_i16_sdwa s[6:7], v11, s4 src0_sel:BYTE_0 src1_sel:DWORD
	s_mov_b64 s[4:5], 0
                                        ; implicit-def: $sgpr10
	s_and_saveexec_b64 s[8:9], s[6:7]
	s_xor_b64 s[6:7], exec, s[8:9]
	s_cbranch_execnz .LBB10_3149
; %bb.1101:
	s_or_saveexec_b64 s[6:7], s[6:7]
	v_mov_b32_e32 v14, s10
	s_xor_b64 exec, exec, s[6:7]
	s_cbranch_execnz .LBB10_3152
.LBB10_1102:
	s_or_b64 exec, exec, s[6:7]
	s_and_saveexec_b64 s[6:7], s[4:5]
	s_cbranch_execz .LBB10_1104
.LBB10_1103:
	v_bfe_u32 v14, v12, 8, 3
	v_ffbh_u32_e32 v20, v14
	v_min_u32_e32 v20, 32, v20
	v_lshrrev_b16_e32 v15, 3, v11
	v_subrev_u32_e32 v21, 28, v20
	v_and_b32_e32 v15, 15, v15
	v_lshlrev_b32_e32 v11, v21, v11
	v_sub_u32_e32 v20, 29, v20
	v_and_b32_e32 v11, 7, v11
	v_cmp_eq_u16_e32 vcc, 0, v15
	v_cndmask_b32_e32 v11, v14, v11, vcc
	v_cndmask_b32_e32 v14, v15, v20, vcc
	v_lshlrev_b32_e32 v15, 16, v12
	v_mov_b32_e32 v20, 0x3b800000
	v_lshlrev_b32_e32 v11, 20, v11
	v_and_b32_e32 v15, 0x80000000, v15
	v_lshl_add_u32 v14, v14, 23, v20
	v_or3_b32 v14, v15, v14, v11
.LBB10_1104:
	s_or_b64 exec, exec, s[6:7]
	s_nop 0
	v_mfma_f32_16x16x4f32 a[0:3], v10, v14, a[0:3]
	s_movk_i32 s4, 0xff
	v_and_b32_sdwa v11, v16, s4 dst_sel:DWORD dst_unused:UNUSED_PAD src0_sel:WORD_1 src1_sel:DWORD
	s_movk_i32 s4, 0x7f
	v_cmp_lt_i16_e32 vcc, s4, v11
	s_mov_b64 s[4:5], 0
                                        ; implicit-def: $sgpr10
	s_and_saveexec_b64 s[6:7], vcc
	s_xor_b64 s[6:7], exec, s[6:7]
	s_cbranch_execnz .LBB10_3153
; %bb.1105:
	s_or_saveexec_b64 s[6:7], s[6:7]
	v_mov_b32_e32 v10, s10
	s_xor_b64 exec, exec, s[6:7]
	s_cbranch_execnz .LBB10_3156
.LBB10_1106:
	s_or_b64 exec, exec, s[6:7]
	s_and_saveexec_b64 s[6:7], s[4:5]
	s_cbranch_execz .LBB10_1108
.LBB10_1107:
	v_bfe_u32 v10, v16, 16, 3
	v_ffbh_u32_e32 v15, v10
	v_min_u32_e32 v15, 32, v15
	v_lshrrev_b32_e32 v11, 19, v16
	v_subrev_u32_e32 v20, 28, v15
	v_and_b32_e32 v11, 15, v11
	v_lshlrev_b32_sdwa v20, v20, v16 dst_sel:DWORD dst_unused:UNUSED_PAD src0_sel:DWORD src1_sel:WORD_1
	v_bfe_u32 v14, v16, 19, 4
	v_sub_u32_e32 v15, 29, v15
	v_and_b32_e32 v20, 7, v20
	v_cmp_eq_u16_e32 vcc, 0, v11
	v_cndmask_b32_e32 v10, v10, v20, vcc
	v_cndmask_b32_e32 v11, v14, v15, vcc
	v_lshlrev_b32_e32 v14, 8, v16
	v_mov_b32_e32 v15, 0x3b800000
	v_lshlrev_b32_e32 v10, 20, v10
	v_and_b32_e32 v14, 0x80000000, v14
	v_lshl_add_u32 v11, v11, 23, v15
	v_or3_b32 v10, v14, v11, v10
.LBB10_1108:
	s_or_b64 exec, exec, s[6:7]
	s_movk_i32 s4, 0xff
	v_and_b32_sdwa v11, v12, s4 dst_sel:DWORD dst_unused:UNUSED_PAD src0_sel:WORD_1 src1_sel:DWORD
	s_movk_i32 s4, 0x7f
	v_cmp_lt_i16_e32 vcc, s4, v11
	s_mov_b64 s[4:5], 0
                                        ; implicit-def: $sgpr10
	s_and_saveexec_b64 s[6:7], vcc
	s_xor_b64 s[6:7], exec, s[6:7]
	s_cbranch_execnz .LBB10_3157
; %bb.1109:
	s_or_saveexec_b64 s[6:7], s[6:7]
	v_mov_b32_e32 v14, s10
	s_xor_b64 exec, exec, s[6:7]
	s_cbranch_execnz .LBB10_3160
.LBB10_1110:
	s_or_b64 exec, exec, s[6:7]
	s_and_saveexec_b64 s[6:7], s[4:5]
	s_cbranch_execz .LBB10_1112
.LBB10_1111:
	v_bfe_u32 v11, v12, 16, 3
	v_ffbh_u32_e32 v20, v11
	v_min_u32_e32 v20, 32, v20
	v_lshrrev_b32_e32 v14, 19, v12
	v_subrev_u32_e32 v21, 28, v20
	v_and_b32_e32 v14, 15, v14
	v_lshlrev_b32_sdwa v21, v21, v12 dst_sel:DWORD dst_unused:UNUSED_PAD src0_sel:DWORD src1_sel:WORD_1
	v_bfe_u32 v15, v12, 19, 4
	v_sub_u32_e32 v20, 29, v20
	v_and_b32_e32 v21, 7, v21
	v_cmp_eq_u16_e32 vcc, 0, v14
	v_cndmask_b32_e32 v11, v11, v21, vcc
	v_cndmask_b32_e32 v14, v15, v20, vcc
	v_lshlrev_b32_e32 v15, 8, v12
	v_mov_b32_e32 v20, 0x3b800000
	v_lshlrev_b32_e32 v11, 20, v11
	v_and_b32_e32 v15, 0x80000000, v15
	v_lshl_add_u32 v14, v14, 23, v20
	v_or3_b32 v14, v15, v14, v11
.LBB10_1112:
	s_or_b64 exec, exec, s[6:7]
	s_nop 0
	v_mfma_f32_16x16x4f32 a[0:3], v10, v14, a[0:3]
	s_movk_i32 s4, 0x7f
	v_cmp_gt_i16_sdwa s[6:7], v16, s4 src0_sel:BYTE_3 src1_sel:DWORD
	s_mov_b64 s[4:5], 0
                                        ; implicit-def: $sgpr10
	s_and_saveexec_b64 s[8:9], s[6:7]
	s_xor_b64 s[6:7], exec, s[8:9]
	s_cbranch_execnz .LBB10_3161
; %bb.1113:
	s_or_saveexec_b64 s[6:7], s[6:7]
	v_mov_b32_e32 v10, s10
	s_xor_b64 exec, exec, s[6:7]
	s_cbranch_execnz .LBB10_3164
.LBB10_1114:
	s_or_b64 exec, exec, s[6:7]
	s_and_saveexec_b64 s[6:7], s[4:5]
	s_cbranch_execz .LBB10_1116
.LBB10_1115:
	v_bfe_u32 v10, v16, 24, 3
	v_ffbh_u32_e32 v20, v10
	v_min_u32_e32 v20, 32, v20
	v_lshrrev_b32_e32 v14, 27, v16
	v_subrev_u32_e32 v21, 28, v20
	v_and_b32_e32 v11, 0x80000000, v16
	v_and_b32_e32 v14, 15, v14
	v_bfe_u32 v15, v16, 27, 4
	v_lshlrev_b32_sdwa v16, v21, v16 dst_sel:DWORD dst_unused:UNUSED_PAD src0_sel:DWORD src1_sel:BYTE_3
	v_sub_u32_e32 v20, 29, v20
	v_and_b32_e32 v16, 7, v16
	v_cmp_eq_u16_e32 vcc, 0, v14
	v_cndmask_b32_e32 v10, v10, v16, vcc
	v_cndmask_b32_e32 v14, v15, v20, vcc
	v_mov_b32_e32 v15, 0x3b800000
	v_lshlrev_b32_e32 v10, 20, v10
	v_lshl_add_u32 v14, v14, 23, v15
	v_or3_b32 v10, v11, v14, v10
.LBB10_1116:
	s_or_b64 exec, exec, s[6:7]
	s_movk_i32 s4, 0x7f
	v_cmp_gt_i16_sdwa s[6:7], v12, s4 src0_sel:BYTE_3 src1_sel:DWORD
	s_mov_b64 s[4:5], 0
                                        ; implicit-def: $sgpr10
	s_and_saveexec_b64 s[8:9], s[6:7]
	s_xor_b64 s[6:7], exec, s[8:9]
	s_cbranch_execnz .LBB10_3165
; %bb.1117:
	s_or_saveexec_b64 s[6:7], s[6:7]
	v_mov_b32_e32 v11, s10
	s_xor_b64 exec, exec, s[6:7]
	s_cbranch_execnz .LBB10_3168
.LBB10_1118:
	s_or_b64 exec, exec, s[6:7]
	s_and_saveexec_b64 s[6:7], s[4:5]
	s_cbranch_execz .LBB10_1120
.LBB10_1119:
	v_bfe_u32 v11, v12, 24, 3
	v_ffbh_u32_e32 v20, v11
	v_min_u32_e32 v20, 32, v20
	v_lshrrev_b32_e32 v15, 27, v12
	v_subrev_u32_e32 v21, 28, v20
	v_and_b32_e32 v14, 0x80000000, v12
	v_and_b32_e32 v15, 15, v15
	v_bfe_u32 v16, v12, 27, 4
	v_lshlrev_b32_sdwa v12, v21, v12 dst_sel:DWORD dst_unused:UNUSED_PAD src0_sel:DWORD src1_sel:BYTE_3
	v_sub_u32_e32 v20, 29, v20
	v_and_b32_e32 v12, 7, v12
	v_cmp_eq_u16_e32 vcc, 0, v15
	v_cndmask_b32_e32 v11, v11, v12, vcc
	v_cndmask_b32_e32 v12, v16, v20, vcc
	v_mov_b32_e32 v15, 0x3b800000
	v_lshlrev_b32_e32 v11, 20, v11
	v_lshl_add_u32 v12, v12, 23, v15
	v_or3_b32 v11, v14, v12, v11
.LBB10_1120:
	s_or_b64 exec, exec, s[6:7]
	s_nop 0
	v_mfma_f32_16x16x4f32 a[0:3], v10, v11, a[0:3]
	s_movk_i32 s4, 0x7f
	v_cmp_gt_i16_sdwa s[6:7], v17, s4 src0_sel:BYTE_0 src1_sel:DWORD
	s_mov_b64 s[4:5], 0
                                        ; implicit-def: $sgpr10
	s_and_saveexec_b64 s[8:9], s[6:7]
	s_xor_b64 s[6:7], exec, s[8:9]
	s_cbranch_execnz .LBB10_3169
; %bb.1121:
	s_or_saveexec_b64 s[6:7], s[6:7]
	v_mov_b32_e32 v10, s10
	s_xor_b64 exec, exec, s[6:7]
	s_cbranch_execnz .LBB10_3172
.LBB10_1122:
	s_or_b64 exec, exec, s[6:7]
	s_and_saveexec_b64 s[6:7], s[4:5]
	s_cbranch_execz .LBB10_1124
.LBB10_1123:
	v_and_b32_e32 v10, 7, v17
	v_ffbh_u32_e32 v12, v10
	v_min_u32_e32 v12, 32, v12
	v_lshrrev_b16_e32 v11, 3, v17
	v_subrev_u32_e32 v14, 28, v12
	v_and_b32_e32 v11, 15, v11
	v_lshlrev_b32_e32 v14, v14, v17
	v_sub_u32_e32 v12, 29, v12
	v_and_b32_e32 v14, 7, v14
	v_cmp_eq_u16_e32 vcc, 0, v11
	v_cndmask_b32_e32 v10, v10, v14, vcc
	v_cndmask_b32_e32 v11, v11, v12, vcc
	v_lshlrev_b32_e32 v12, 24, v17
	v_mov_b32_e32 v14, 0x3b800000
	v_lshlrev_b32_e32 v10, 20, v10
	v_and_b32_e32 v12, 0x80000000, v12
	v_lshl_add_u32 v11, v11, 23, v14
	v_or3_b32 v10, v12, v11, v10
.LBB10_1124:
	s_or_b64 exec, exec, s[6:7]
	s_movk_i32 s4, 0x7f
	v_cmp_gt_i16_sdwa s[6:7], v13, s4 src0_sel:BYTE_0 src1_sel:DWORD
	s_mov_b64 s[4:5], 0
                                        ; implicit-def: $sgpr10
	s_and_saveexec_b64 s[8:9], s[6:7]
	s_xor_b64 s[6:7], exec, s[8:9]
	s_cbranch_execnz .LBB10_3173
; %bb.1125:
	s_or_saveexec_b64 s[6:7], s[6:7]
	v_mov_b32_e32 v11, s10
	s_xor_b64 exec, exec, s[6:7]
	s_cbranch_execnz .LBB10_3176
.LBB10_1126:
	s_or_b64 exec, exec, s[6:7]
	s_and_saveexec_b64 s[6:7], s[4:5]
	s_cbranch_execz .LBB10_1128
.LBB10_1127:
	v_and_b32_e32 v11, 7, v13
	v_ffbh_u32_e32 v14, v11
	v_min_u32_e32 v14, 32, v14
	v_lshrrev_b16_e32 v12, 3, v13
	v_subrev_u32_e32 v15, 28, v14
	v_and_b32_e32 v12, 15, v12
	v_lshlrev_b32_e32 v15, v15, v13
	v_sub_u32_e32 v14, 29, v14
	v_and_b32_e32 v15, 7, v15
	v_cmp_eq_u16_e32 vcc, 0, v12
	v_cndmask_b32_e32 v11, v11, v15, vcc
	v_cndmask_b32_e32 v12, v12, v14, vcc
	v_lshlrev_b32_e32 v14, 24, v13
	v_mov_b32_e32 v15, 0x3b800000
	v_lshlrev_b32_e32 v11, 20, v11
	v_and_b32_e32 v14, 0x80000000, v14
	v_lshl_add_u32 v12, v12, 23, v15
	v_or3_b32 v11, v14, v12, v11
.LBB10_1128:
	s_or_b64 exec, exec, s[6:7]
	s_nop 0
	v_mfma_f32_16x16x4f32 a[0:3], v10, v11, a[0:3]
	v_lshrrev_b32_e32 v11, 8, v17
	s_movk_i32 s4, 0x7f
	v_cmp_gt_i16_sdwa s[6:7], v11, s4 src0_sel:BYTE_0 src1_sel:DWORD
	s_mov_b64 s[4:5], 0
                                        ; implicit-def: $sgpr10
	s_and_saveexec_b64 s[8:9], s[6:7]
	s_xor_b64 s[6:7], exec, s[8:9]
	s_cbranch_execnz .LBB10_3177
; %bb.1129:
	s_or_saveexec_b64 s[6:7], s[6:7]
	v_mov_b32_e32 v10, s10
	s_xor_b64 exec, exec, s[6:7]
	s_cbranch_execnz .LBB10_3180
.LBB10_1130:
	s_or_b64 exec, exec, s[6:7]
	s_and_saveexec_b64 s[6:7], s[4:5]
	s_cbranch_execz .LBB10_1132
.LBB10_1131:
	v_bfe_u32 v10, v17, 8, 3
	v_ffbh_u32_e32 v14, v10
	v_min_u32_e32 v14, 32, v14
	v_lshrrev_b16_e32 v12, 3, v11
	v_subrev_u32_e32 v15, 28, v14
	v_and_b32_e32 v12, 15, v12
	v_lshlrev_b32_e32 v11, v15, v11
	v_sub_u32_e32 v14, 29, v14
	v_and_b32_e32 v11, 7, v11
	v_cmp_eq_u16_e32 vcc, 0, v12
	v_cndmask_b32_e32 v10, v10, v11, vcc
	v_cndmask_b32_e32 v11, v12, v14, vcc
	v_lshlrev_b32_e32 v12, 16, v17
	v_mov_b32_e32 v14, 0x3b800000
	v_lshlrev_b32_e32 v10, 20, v10
	v_and_b32_e32 v12, 0x80000000, v12
	v_lshl_add_u32 v11, v11, 23, v14
	v_or3_b32 v10, v12, v11, v10
.LBB10_1132:
	s_or_b64 exec, exec, s[6:7]
	v_lshrrev_b32_e32 v11, 8, v13
	s_movk_i32 s4, 0x7f
	v_cmp_gt_i16_sdwa s[6:7], v11, s4 src0_sel:BYTE_0 src1_sel:DWORD
	s_mov_b64 s[4:5], 0
                                        ; implicit-def: $sgpr10
	s_and_saveexec_b64 s[8:9], s[6:7]
	s_xor_b64 s[6:7], exec, s[8:9]
	s_cbranch_execnz .LBB10_3181
; %bb.1133:
	s_or_saveexec_b64 s[6:7], s[6:7]
	v_mov_b32_e32 v12, s10
	s_xor_b64 exec, exec, s[6:7]
	s_cbranch_execnz .LBB10_3184
.LBB10_1134:
	s_or_b64 exec, exec, s[6:7]
	s_and_saveexec_b64 s[6:7], s[4:5]
	s_cbranch_execz .LBB10_1136
.LBB10_1135:
	v_bfe_u32 v12, v13, 8, 3
	v_ffbh_u32_e32 v15, v12
	v_min_u32_e32 v15, 32, v15
	v_lshrrev_b16_e32 v14, 3, v11
	v_subrev_u32_e32 v16, 28, v15
	v_and_b32_e32 v14, 15, v14
	v_lshlrev_b32_e32 v11, v16, v11
	v_sub_u32_e32 v15, 29, v15
	v_and_b32_e32 v11, 7, v11
	v_cmp_eq_u16_e32 vcc, 0, v14
	v_cndmask_b32_e32 v11, v12, v11, vcc
	v_cndmask_b32_e32 v12, v14, v15, vcc
	v_lshlrev_b32_e32 v14, 16, v13
	v_mov_b32_e32 v15, 0x3b800000
	v_lshlrev_b32_e32 v11, 20, v11
	v_and_b32_e32 v14, 0x80000000, v14
	v_lshl_add_u32 v12, v12, 23, v15
	v_or3_b32 v12, v14, v12, v11
.LBB10_1136:
	s_or_b64 exec, exec, s[6:7]
	s_nop 0
	v_mfma_f32_16x16x4f32 a[0:3], v10, v12, a[0:3]
	s_movk_i32 s4, 0xff
	v_and_b32_sdwa v11, v17, s4 dst_sel:DWORD dst_unused:UNUSED_PAD src0_sel:WORD_1 src1_sel:DWORD
	s_movk_i32 s4, 0x7f
	v_cmp_lt_i16_e32 vcc, s4, v11
	s_mov_b64 s[4:5], 0
                                        ; implicit-def: $sgpr10
	s_and_saveexec_b64 s[6:7], vcc
	s_xor_b64 s[6:7], exec, s[6:7]
	s_cbranch_execnz .LBB10_3185
; %bb.1137:
	s_or_saveexec_b64 s[6:7], s[6:7]
	v_mov_b32_e32 v10, s10
	s_xor_b64 exec, exec, s[6:7]
	s_cbranch_execnz .LBB10_3188
.LBB10_1138:
	s_or_b64 exec, exec, s[6:7]
	s_and_saveexec_b64 s[6:7], s[4:5]
	s_cbranch_execz .LBB10_1140
.LBB10_1139:
	v_bfe_u32 v10, v17, 16, 3
	v_ffbh_u32_e32 v14, v10
	v_min_u32_e32 v14, 32, v14
	v_lshrrev_b32_e32 v11, 19, v17
	v_subrev_u32_e32 v15, 28, v14
	v_and_b32_e32 v11, 15, v11
	v_lshlrev_b32_sdwa v15, v15, v17 dst_sel:DWORD dst_unused:UNUSED_PAD src0_sel:DWORD src1_sel:WORD_1
	v_bfe_u32 v12, v17, 19, 4
	v_sub_u32_e32 v14, 29, v14
	v_and_b32_e32 v15, 7, v15
	v_cmp_eq_u16_e32 vcc, 0, v11
	v_cndmask_b32_e32 v10, v10, v15, vcc
	v_cndmask_b32_e32 v11, v12, v14, vcc
	v_lshlrev_b32_e32 v12, 8, v17
	v_mov_b32_e32 v14, 0x3b800000
	v_lshlrev_b32_e32 v10, 20, v10
	v_and_b32_e32 v12, 0x80000000, v12
	v_lshl_add_u32 v11, v11, 23, v14
	v_or3_b32 v10, v12, v11, v10
.LBB10_1140:
	s_or_b64 exec, exec, s[6:7]
	s_movk_i32 s4, 0xff
	v_and_b32_sdwa v11, v13, s4 dst_sel:DWORD dst_unused:UNUSED_PAD src0_sel:WORD_1 src1_sel:DWORD
	s_movk_i32 s4, 0x7f
	v_cmp_lt_i16_e32 vcc, s4, v11
	s_mov_b64 s[4:5], 0
                                        ; implicit-def: $sgpr10
	s_and_saveexec_b64 s[6:7], vcc
	s_xor_b64 s[6:7], exec, s[6:7]
	s_cbranch_execnz .LBB10_3189
; %bb.1141:
	s_or_saveexec_b64 s[6:7], s[6:7]
	v_mov_b32_e32 v12, s10
	s_xor_b64 exec, exec, s[6:7]
	s_cbranch_execnz .LBB10_3192
.LBB10_1142:
	s_or_b64 exec, exec, s[6:7]
	s_and_saveexec_b64 s[6:7], s[4:5]
	s_cbranch_execz .LBB10_1144
.LBB10_1143:
	v_bfe_u32 v11, v13, 16, 3
	v_ffbh_u32_e32 v15, v11
	v_min_u32_e32 v15, 32, v15
	v_lshrrev_b32_e32 v12, 19, v13
	v_subrev_u32_e32 v16, 28, v15
	v_and_b32_e32 v12, 15, v12
	v_lshlrev_b32_sdwa v16, v16, v13 dst_sel:DWORD dst_unused:UNUSED_PAD src0_sel:DWORD src1_sel:WORD_1
	v_bfe_u32 v14, v13, 19, 4
	v_sub_u32_e32 v15, 29, v15
	v_and_b32_e32 v16, 7, v16
	v_cmp_eq_u16_e32 vcc, 0, v12
	v_cndmask_b32_e32 v11, v11, v16, vcc
	v_cndmask_b32_e32 v12, v14, v15, vcc
	v_lshlrev_b32_e32 v14, 8, v13
	v_mov_b32_e32 v15, 0x3b800000
	v_lshlrev_b32_e32 v11, 20, v11
	v_and_b32_e32 v14, 0x80000000, v14
	v_lshl_add_u32 v12, v12, 23, v15
	v_or3_b32 v12, v14, v12, v11
.LBB10_1144:
	s_or_b64 exec, exec, s[6:7]
	s_nop 0
	v_mfma_f32_16x16x4f32 a[0:3], v10, v12, a[0:3]
	s_movk_i32 s4, 0x7f
	v_cmp_gt_i16_sdwa s[6:7], v17, s4 src0_sel:BYTE_3 src1_sel:DWORD
	s_mov_b64 s[4:5], 0
                                        ; implicit-def: $sgpr10
	s_and_saveexec_b64 s[8:9], s[6:7]
	s_xor_b64 s[6:7], exec, s[8:9]
	s_cbranch_execnz .LBB10_3193
; %bb.1145:
	s_or_saveexec_b64 s[6:7], s[6:7]
	v_mov_b32_e32 v10, s10
	s_xor_b64 exec, exec, s[6:7]
	s_cbranch_execnz .LBB10_3196
.LBB10_1146:
	s_or_b64 exec, exec, s[6:7]
	s_and_saveexec_b64 s[6:7], s[4:5]
	s_cbranch_execz .LBB10_1148
.LBB10_1147:
	v_bfe_u32 v10, v17, 24, 3
	v_ffbh_u32_e32 v15, v10
	v_min_u32_e32 v15, 32, v15
	v_lshrrev_b32_e32 v12, 27, v17
	v_subrev_u32_e32 v16, 28, v15
	v_and_b32_e32 v12, 15, v12
	v_lshlrev_b32_sdwa v16, v16, v17 dst_sel:DWORD dst_unused:UNUSED_PAD src0_sel:DWORD src1_sel:BYTE_3
	v_bfe_u32 v14, v17, 27, 4
	v_sub_u32_e32 v15, 29, v15
	v_and_b32_e32 v16, 7, v16
	v_cmp_eq_u16_e32 vcc, 0, v12
	v_cndmask_b32_e32 v10, v10, v16, vcc
	v_cndmask_b32_e32 v12, v14, v15, vcc
	v_mov_b32_e32 v14, 0x3b800000
	v_and_b32_e32 v11, 0x80000000, v17
	v_lshlrev_b32_e32 v10, 20, v10
	v_lshl_add_u32 v12, v12, 23, v14
	v_or3_b32 v10, v11, v12, v10
.LBB10_1148:
	s_or_b64 exec, exec, s[6:7]
	s_movk_i32 s4, 0x7f
	v_cmp_gt_i16_sdwa s[6:7], v13, s4 src0_sel:BYTE_3 src1_sel:DWORD
	s_mov_b64 s[4:5], 0
                                        ; implicit-def: $sgpr10
	s_and_saveexec_b64 s[8:9], s[6:7]
	s_xor_b64 s[6:7], exec, s[8:9]
	s_cbranch_execnz .LBB10_3197
; %bb.1149:
	s_or_saveexec_b64 s[6:7], s[6:7]
	v_mov_b32_e32 v11, s10
	s_xor_b64 exec, exec, s[6:7]
	s_cbranch_execnz .LBB10_3200
.LBB10_1150:
	s_or_b64 exec, exec, s[6:7]
	s_and_saveexec_b64 s[6:7], s[4:5]
	s_cbranch_execz .LBB10_1152
.LBB10_1151:
	v_bfe_u32 v11, v13, 24, 3
	v_ffbh_u32_e32 v16, v11
	v_min_u32_e32 v16, 32, v16
	v_lshrrev_b32_e32 v14, 27, v13
	v_subrev_u32_e32 v17, 28, v16
	v_and_b32_e32 v12, 0x80000000, v13
	v_and_b32_e32 v14, 15, v14
	v_bfe_u32 v15, v13, 27, 4
	v_lshlrev_b32_sdwa v13, v17, v13 dst_sel:DWORD dst_unused:UNUSED_PAD src0_sel:DWORD src1_sel:BYTE_3
	v_sub_u32_e32 v16, 29, v16
	v_and_b32_e32 v13, 7, v13
	v_cmp_eq_u16_e32 vcc, 0, v14
	v_cndmask_b32_e32 v11, v11, v13, vcc
	v_cndmask_b32_e32 v13, v15, v16, vcc
	v_mov_b32_e32 v14, 0x3b800000
	v_lshlrev_b32_e32 v11, 20, v11
	v_lshl_add_u32 v13, v13, 23, v14
	v_or3_b32 v11, v12, v13, v11
.LBB10_1152:
	s_or_b64 exec, exec, s[6:7]
	s_nop 0
	v_mfma_f32_16x16x4f32 a[0:3], v10, v11, a[0:3]
	s_movk_i32 s4, 0x7f
	v_cmp_gt_i16_sdwa s[6:7], v6, s4 src0_sel:BYTE_0 src1_sel:DWORD
	s_mov_b64 s[4:5], 0
                                        ; implicit-def: $sgpr10
	s_and_saveexec_b64 s[8:9], s[6:7]
	s_xor_b64 s[6:7], exec, s[8:9]
	s_cbranch_execnz .LBB10_3201
; %bb.1153:
	s_or_saveexec_b64 s[6:7], s[6:7]
	v_mov_b32_e32 v10, s10
	s_xor_b64 exec, exec, s[6:7]
	s_cbranch_execnz .LBB10_3204
.LBB10_1154:
	s_or_b64 exec, exec, s[6:7]
	s_and_saveexec_b64 s[6:7], s[4:5]
	s_cbranch_execz .LBB10_1156
.LBB10_1155:
	v_and_b32_e32 v10, 7, v6
	v_ffbh_u32_e32 v12, v10
	v_min_u32_e32 v12, 32, v12
	v_lshrrev_b16_e32 v11, 3, v6
	v_subrev_u32_e32 v13, 28, v12
	v_and_b32_e32 v11, 15, v11
	v_lshlrev_b32_e32 v13, v13, v6
	v_sub_u32_e32 v12, 29, v12
	v_and_b32_e32 v13, 7, v13
	v_cmp_eq_u16_e32 vcc, 0, v11
	v_cndmask_b32_e32 v10, v10, v13, vcc
	v_cndmask_b32_e32 v11, v11, v12, vcc
	v_lshlrev_b32_e32 v12, 24, v6
	v_mov_b32_e32 v13, 0x3b800000
	v_lshlrev_b32_e32 v10, 20, v10
	v_and_b32_e32 v12, 0x80000000, v12
	v_lshl_add_u32 v11, v11, 23, v13
	v_or3_b32 v10, v12, v11, v10
.LBB10_1156:
	s_or_b64 exec, exec, s[6:7]
	s_movk_i32 s4, 0x7f
	v_cmp_gt_i16_sdwa s[6:7], v2, s4 src0_sel:BYTE_0 src1_sel:DWORD
	s_mov_b64 s[4:5], 0
                                        ; implicit-def: $sgpr10
	s_and_saveexec_b64 s[8:9], s[6:7]
	s_xor_b64 s[6:7], exec, s[8:9]
	s_cbranch_execnz .LBB10_3205
; %bb.1157:
	s_or_saveexec_b64 s[6:7], s[6:7]
	v_mov_b32_e32 v11, s10
	s_xor_b64 exec, exec, s[6:7]
	s_cbranch_execnz .LBB10_3208
.LBB10_1158:
	s_or_b64 exec, exec, s[6:7]
	s_and_saveexec_b64 s[6:7], s[4:5]
	s_cbranch_execz .LBB10_1160
.LBB10_1159:
	v_and_b32_e32 v11, 7, v2
	v_ffbh_u32_e32 v13, v11
	v_min_u32_e32 v13, 32, v13
	v_lshrrev_b16_e32 v12, 3, v2
	v_subrev_u32_e32 v14, 28, v13
	v_and_b32_e32 v12, 15, v12
	v_lshlrev_b32_e32 v14, v14, v2
	v_sub_u32_e32 v13, 29, v13
	v_and_b32_e32 v14, 7, v14
	v_cmp_eq_u16_e32 vcc, 0, v12
	v_cndmask_b32_e32 v11, v11, v14, vcc
	v_cndmask_b32_e32 v12, v12, v13, vcc
	v_lshlrev_b32_e32 v13, 24, v2
	v_mov_b32_e32 v14, 0x3b800000
	v_lshlrev_b32_e32 v11, 20, v11
	v_and_b32_e32 v13, 0x80000000, v13
	v_lshl_add_u32 v12, v12, 23, v14
	v_or3_b32 v11, v13, v12, v11
.LBB10_1160:
	s_or_b64 exec, exec, s[6:7]
	s_nop 0
	v_mfma_f32_16x16x4f32 a[0:3], v10, v11, a[0:3]
	v_lshrrev_b32_e32 v11, 8, v6
	s_movk_i32 s4, 0x7f
	v_cmp_gt_i16_sdwa s[6:7], v11, s4 src0_sel:BYTE_0 src1_sel:DWORD
	s_mov_b64 s[4:5], 0
                                        ; implicit-def: $sgpr10
	s_and_saveexec_b64 s[8:9], s[6:7]
	s_xor_b64 s[6:7], exec, s[8:9]
	s_cbranch_execnz .LBB10_3209
; %bb.1161:
	s_or_saveexec_b64 s[6:7], s[6:7]
	v_mov_b32_e32 v10, s10
	s_xor_b64 exec, exec, s[6:7]
	s_cbranch_execnz .LBB10_3212
.LBB10_1162:
	s_or_b64 exec, exec, s[6:7]
	s_and_saveexec_b64 s[6:7], s[4:5]
	s_cbranch_execz .LBB10_1164
.LBB10_1163:
	v_bfe_u32 v10, v6, 8, 3
	v_ffbh_u32_e32 v13, v10
	v_min_u32_e32 v13, 32, v13
	v_lshrrev_b16_e32 v12, 3, v11
	v_subrev_u32_e32 v14, 28, v13
	v_and_b32_e32 v12, 15, v12
	v_lshlrev_b32_e32 v11, v14, v11
	v_sub_u32_e32 v13, 29, v13
	v_and_b32_e32 v11, 7, v11
	v_cmp_eq_u16_e32 vcc, 0, v12
	v_cndmask_b32_e32 v10, v10, v11, vcc
	v_cndmask_b32_e32 v11, v12, v13, vcc
	v_lshlrev_b32_e32 v12, 16, v6
	v_mov_b32_e32 v13, 0x3b800000
	v_lshlrev_b32_e32 v10, 20, v10
	v_and_b32_e32 v12, 0x80000000, v12
	v_lshl_add_u32 v11, v11, 23, v13
	v_or3_b32 v10, v12, v11, v10
.LBB10_1164:
	s_or_b64 exec, exec, s[6:7]
	v_lshrrev_b32_e32 v11, 8, v2
	s_movk_i32 s4, 0x7f
	v_cmp_gt_i16_sdwa s[6:7], v11, s4 src0_sel:BYTE_0 src1_sel:DWORD
	s_mov_b64 s[4:5], 0
                                        ; implicit-def: $sgpr10
	s_and_saveexec_b64 s[8:9], s[6:7]
	s_xor_b64 s[6:7], exec, s[8:9]
	s_cbranch_execnz .LBB10_3213
; %bb.1165:
	s_or_saveexec_b64 s[6:7], s[6:7]
	v_mov_b32_e32 v12, s10
	s_xor_b64 exec, exec, s[6:7]
	s_cbranch_execnz .LBB10_3216
.LBB10_1166:
	s_or_b64 exec, exec, s[6:7]
	s_and_saveexec_b64 s[6:7], s[4:5]
	s_cbranch_execz .LBB10_1168
.LBB10_1167:
	v_bfe_u32 v12, v2, 8, 3
	v_ffbh_u32_e32 v14, v12
	v_min_u32_e32 v14, 32, v14
	v_lshrrev_b16_e32 v13, 3, v11
	v_subrev_u32_e32 v15, 28, v14
	v_and_b32_e32 v13, 15, v13
	v_lshlrev_b32_e32 v11, v15, v11
	v_sub_u32_e32 v14, 29, v14
	v_and_b32_e32 v11, 7, v11
	v_cmp_eq_u16_e32 vcc, 0, v13
	v_cndmask_b32_e32 v11, v12, v11, vcc
	v_cndmask_b32_e32 v12, v13, v14, vcc
	v_lshlrev_b32_e32 v13, 16, v2
	v_mov_b32_e32 v14, 0x3b800000
	v_lshlrev_b32_e32 v11, 20, v11
	v_and_b32_e32 v13, 0x80000000, v13
	v_lshl_add_u32 v12, v12, 23, v14
	v_or3_b32 v12, v13, v12, v11
.LBB10_1168:
	s_or_b64 exec, exec, s[6:7]
	s_nop 0
	v_mfma_f32_16x16x4f32 a[0:3], v10, v12, a[0:3]
	s_movk_i32 s4, 0xff
	v_and_b32_sdwa v11, v6, s4 dst_sel:DWORD dst_unused:UNUSED_PAD src0_sel:WORD_1 src1_sel:DWORD
	s_movk_i32 s4, 0x7f
	v_cmp_lt_i16_e32 vcc, s4, v11
	s_mov_b64 s[4:5], 0
                                        ; implicit-def: $sgpr10
	s_and_saveexec_b64 s[6:7], vcc
	s_xor_b64 s[6:7], exec, s[6:7]
	s_cbranch_execnz .LBB10_3217
; %bb.1169:
	s_or_saveexec_b64 s[6:7], s[6:7]
	v_mov_b32_e32 v10, s10
	s_xor_b64 exec, exec, s[6:7]
	s_cbranch_execnz .LBB10_3220
.LBB10_1170:
	s_or_b64 exec, exec, s[6:7]
	s_and_saveexec_b64 s[6:7], s[4:5]
	s_cbranch_execz .LBB10_1172
.LBB10_1171:
	v_bfe_u32 v10, v6, 16, 3
	v_ffbh_u32_e32 v13, v10
	v_min_u32_e32 v13, 32, v13
	v_lshrrev_b32_e32 v11, 19, v6
	v_subrev_u32_e32 v14, 28, v13
	v_and_b32_e32 v11, 15, v11
	v_lshlrev_b32_sdwa v14, v14, v6 dst_sel:DWORD dst_unused:UNUSED_PAD src0_sel:DWORD src1_sel:WORD_1
	v_bfe_u32 v12, v6, 19, 4
	v_sub_u32_e32 v13, 29, v13
	v_and_b32_e32 v14, 7, v14
	v_cmp_eq_u16_e32 vcc, 0, v11
	v_cndmask_b32_e32 v10, v10, v14, vcc
	v_cndmask_b32_e32 v11, v12, v13, vcc
	v_lshlrev_b32_e32 v12, 8, v6
	v_mov_b32_e32 v13, 0x3b800000
	v_lshlrev_b32_e32 v10, 20, v10
	v_and_b32_e32 v12, 0x80000000, v12
	v_lshl_add_u32 v11, v11, 23, v13
	v_or3_b32 v10, v12, v11, v10
.LBB10_1172:
	s_or_b64 exec, exec, s[6:7]
	s_movk_i32 s4, 0xff
	v_and_b32_sdwa v11, v2, s4 dst_sel:DWORD dst_unused:UNUSED_PAD src0_sel:WORD_1 src1_sel:DWORD
	s_movk_i32 s4, 0x7f
	v_cmp_lt_i16_e32 vcc, s4, v11
	s_mov_b64 s[4:5], 0
                                        ; implicit-def: $sgpr10
	s_and_saveexec_b64 s[6:7], vcc
	s_xor_b64 s[6:7], exec, s[6:7]
	s_cbranch_execnz .LBB10_3221
; %bb.1173:
	s_or_saveexec_b64 s[6:7], s[6:7]
	v_mov_b32_e32 v12, s10
	s_xor_b64 exec, exec, s[6:7]
	s_cbranch_execnz .LBB10_3224
.LBB10_1174:
	s_or_b64 exec, exec, s[6:7]
	s_and_saveexec_b64 s[6:7], s[4:5]
	s_cbranch_execz .LBB10_1176
.LBB10_1175:
	v_bfe_u32 v11, v2, 16, 3
	v_ffbh_u32_e32 v14, v11
	v_min_u32_e32 v14, 32, v14
	v_lshrrev_b32_e32 v12, 19, v2
	v_subrev_u32_e32 v15, 28, v14
	v_and_b32_e32 v12, 15, v12
	v_lshlrev_b32_sdwa v15, v15, v2 dst_sel:DWORD dst_unused:UNUSED_PAD src0_sel:DWORD src1_sel:WORD_1
	v_bfe_u32 v13, v2, 19, 4
	v_sub_u32_e32 v14, 29, v14
	v_and_b32_e32 v15, 7, v15
	v_cmp_eq_u16_e32 vcc, 0, v12
	v_cndmask_b32_e32 v11, v11, v15, vcc
	v_cndmask_b32_e32 v12, v13, v14, vcc
	v_lshlrev_b32_e32 v13, 8, v2
	v_mov_b32_e32 v14, 0x3b800000
	v_lshlrev_b32_e32 v11, 20, v11
	v_and_b32_e32 v13, 0x80000000, v13
	v_lshl_add_u32 v12, v12, 23, v14
	v_or3_b32 v12, v13, v12, v11
.LBB10_1176:
	s_or_b64 exec, exec, s[6:7]
	s_nop 0
	v_mfma_f32_16x16x4f32 a[0:3], v10, v12, a[0:3]
	s_movk_i32 s4, 0x7f
	v_cmp_gt_i16_sdwa s[6:7], v6, s4 src0_sel:BYTE_3 src1_sel:DWORD
	s_mov_b64 s[4:5], 0
                                        ; implicit-def: $sgpr10
	s_and_saveexec_b64 s[8:9], s[6:7]
	s_xor_b64 s[6:7], exec, s[8:9]
	s_cbranch_execnz .LBB10_3225
; %bb.1177:
	s_or_saveexec_b64 s[6:7], s[6:7]
	v_mov_b32_e32 v10, s10
	s_xor_b64 exec, exec, s[6:7]
	s_cbranch_execnz .LBB10_3228
.LBB10_1178:
	s_or_b64 exec, exec, s[6:7]
	s_and_saveexec_b64 s[6:7], s[4:5]
	s_cbranch_execz .LBB10_1180
.LBB10_1179:
	v_bfe_u32 v10, v6, 24, 3
	v_ffbh_u32_e32 v14, v10
	v_min_u32_e32 v14, 32, v14
	v_lshrrev_b32_e32 v12, 27, v6
	v_subrev_u32_e32 v15, 28, v14
	v_and_b32_e32 v11, 0x80000000, v6
	v_and_b32_e32 v12, 15, v12
	v_bfe_u32 v13, v6, 27, 4
	v_lshlrev_b32_sdwa v6, v15, v6 dst_sel:DWORD dst_unused:UNUSED_PAD src0_sel:DWORD src1_sel:BYTE_3
	v_sub_u32_e32 v14, 29, v14
	v_and_b32_e32 v6, 7, v6
	v_cmp_eq_u16_e32 vcc, 0, v12
	v_cndmask_b32_e32 v6, v10, v6, vcc
	v_cndmask_b32_e32 v10, v13, v14, vcc
	v_mov_b32_e32 v12, 0x3b800000
	v_lshlrev_b32_e32 v6, 20, v6
	v_lshl_add_u32 v10, v10, 23, v12
	v_or3_b32 v10, v11, v10, v6
.LBB10_1180:
	s_or_b64 exec, exec, s[6:7]
	s_movk_i32 s4, 0x7f
	v_cmp_gt_i16_sdwa s[6:7], v2, s4 src0_sel:BYTE_3 src1_sel:DWORD
	s_mov_b64 s[4:5], 0
                                        ; implicit-def: $sgpr10
	s_and_saveexec_b64 s[8:9], s[6:7]
	s_xor_b64 s[6:7], exec, s[8:9]
	s_cbranch_execnz .LBB10_3229
; %bb.1181:
	s_or_saveexec_b64 s[6:7], s[6:7]
	v_mov_b32_e32 v6, s10
	s_xor_b64 exec, exec, s[6:7]
	s_cbranch_execnz .LBB10_3232
.LBB10_1182:
	s_or_b64 exec, exec, s[6:7]
	s_and_saveexec_b64 s[6:7], s[4:5]
	s_cbranch_execz .LBB10_1184
.LBB10_1183:
	v_bfe_u32 v6, v2, 24, 3
	v_ffbh_u32_e32 v14, v6
	v_min_u32_e32 v14, 32, v14
	v_lshrrev_b32_e32 v12, 27, v2
	v_subrev_u32_e32 v15, 28, v14
	v_and_b32_e32 v11, 0x80000000, v2
	v_and_b32_e32 v12, 15, v12
	v_bfe_u32 v13, v2, 27, 4
	v_lshlrev_b32_sdwa v2, v15, v2 dst_sel:DWORD dst_unused:UNUSED_PAD src0_sel:DWORD src1_sel:BYTE_3
	v_sub_u32_e32 v14, 29, v14
	v_and_b32_e32 v2, 7, v2
	v_cmp_eq_u16_e32 vcc, 0, v12
	v_cndmask_b32_e32 v2, v6, v2, vcc
	v_cndmask_b32_e32 v6, v13, v14, vcc
	v_mov_b32_e32 v12, 0x3b800000
	v_lshlrev_b32_e32 v2, 20, v2
	v_lshl_add_u32 v6, v6, 23, v12
	v_or3_b32 v6, v11, v6, v2
.LBB10_1184:
	s_or_b64 exec, exec, s[6:7]
	s_nop 0
	v_mfma_f32_16x16x4f32 a[0:3], v10, v6, a[0:3]
	s_movk_i32 s4, 0x7f
	v_cmp_gt_i16_sdwa s[6:7], v7, s4 src0_sel:BYTE_0 src1_sel:DWORD
	s_mov_b64 s[4:5], 0
                                        ; implicit-def: $sgpr10
	s_and_saveexec_b64 s[8:9], s[6:7]
	s_xor_b64 s[6:7], exec, s[8:9]
	s_cbranch_execnz .LBB10_3233
; %bb.1185:
	s_or_saveexec_b64 s[6:7], s[6:7]
	v_mov_b32_e32 v2, s10
	s_xor_b64 exec, exec, s[6:7]
	s_cbranch_execnz .LBB10_3236
.LBB10_1186:
	s_or_b64 exec, exec, s[6:7]
	s_and_saveexec_b64 s[6:7], s[4:5]
	s_cbranch_execz .LBB10_1188
.LBB10_1187:
	v_and_b32_e32 v2, 7, v7
	v_ffbh_u32_e32 v10, v2
	v_min_u32_e32 v10, 32, v10
	v_lshrrev_b16_e32 v6, 3, v7
	v_subrev_u32_e32 v11, 28, v10
	v_and_b32_e32 v6, 15, v6
	v_lshlrev_b32_e32 v11, v11, v7
	v_sub_u32_e32 v10, 29, v10
	v_and_b32_e32 v11, 7, v11
	v_cmp_eq_u16_e32 vcc, 0, v6
	v_cndmask_b32_e32 v2, v2, v11, vcc
	v_cndmask_b32_e32 v6, v6, v10, vcc
	v_lshlrev_b32_e32 v10, 24, v7
	v_mov_b32_e32 v11, 0x3b800000
	v_lshlrev_b32_e32 v2, 20, v2
	v_and_b32_e32 v10, 0x80000000, v10
	v_lshl_add_u32 v6, v6, 23, v11
	v_or3_b32 v2, v10, v6, v2
.LBB10_1188:
	s_or_b64 exec, exec, s[6:7]
	s_movk_i32 s4, 0x7f
	v_cmp_gt_i16_sdwa s[6:7], v3, s4 src0_sel:BYTE_0 src1_sel:DWORD
	s_mov_b64 s[4:5], 0
                                        ; implicit-def: $sgpr10
	s_and_saveexec_b64 s[8:9], s[6:7]
	s_xor_b64 s[6:7], exec, s[8:9]
	s_cbranch_execnz .LBB10_3237
; %bb.1189:
	s_or_saveexec_b64 s[6:7], s[6:7]
	v_mov_b32_e32 v6, s10
	s_xor_b64 exec, exec, s[6:7]
	s_cbranch_execnz .LBB10_3240
.LBB10_1190:
	s_or_b64 exec, exec, s[6:7]
	s_and_saveexec_b64 s[6:7], s[4:5]
	s_cbranch_execz .LBB10_1192
.LBB10_1191:
	v_and_b32_e32 v6, 7, v3
	v_ffbh_u32_e32 v11, v6
	v_min_u32_e32 v11, 32, v11
	v_lshrrev_b16_e32 v10, 3, v3
	v_subrev_u32_e32 v12, 28, v11
	v_and_b32_e32 v10, 15, v10
	v_lshlrev_b32_e32 v12, v12, v3
	v_sub_u32_e32 v11, 29, v11
	v_and_b32_e32 v12, 7, v12
	v_cmp_eq_u16_e32 vcc, 0, v10
	v_cndmask_b32_e32 v6, v6, v12, vcc
	v_cndmask_b32_e32 v10, v10, v11, vcc
	v_lshlrev_b32_e32 v11, 24, v3
	v_mov_b32_e32 v12, 0x3b800000
	v_lshlrev_b32_e32 v6, 20, v6
	v_and_b32_e32 v11, 0x80000000, v11
	v_lshl_add_u32 v10, v10, 23, v12
	v_or3_b32 v6, v11, v10, v6
.LBB10_1192:
	s_or_b64 exec, exec, s[6:7]
	s_nop 0
	v_mfma_f32_16x16x4f32 a[0:3], v2, v6, a[0:3]
	v_lshrrev_b32_e32 v6, 8, v7
	s_movk_i32 s4, 0x7f
	v_cmp_gt_i16_sdwa s[6:7], v6, s4 src0_sel:BYTE_0 src1_sel:DWORD
	s_mov_b64 s[4:5], 0
                                        ; implicit-def: $sgpr10
	s_and_saveexec_b64 s[8:9], s[6:7]
	s_xor_b64 s[6:7], exec, s[8:9]
	s_cbranch_execnz .LBB10_3241
; %bb.1193:
	s_or_saveexec_b64 s[6:7], s[6:7]
	v_mov_b32_e32 v2, s10
	s_xor_b64 exec, exec, s[6:7]
	s_cbranch_execnz .LBB10_3244
.LBB10_1194:
	s_or_b64 exec, exec, s[6:7]
	s_and_saveexec_b64 s[6:7], s[4:5]
	s_cbranch_execz .LBB10_1196
.LBB10_1195:
	v_bfe_u32 v2, v7, 8, 3
	v_ffbh_u32_e32 v11, v2
	v_min_u32_e32 v11, 32, v11
	v_lshrrev_b16_e32 v10, 3, v6
	v_subrev_u32_e32 v12, 28, v11
	v_and_b32_e32 v10, 15, v10
	v_lshlrev_b32_e32 v6, v12, v6
	v_sub_u32_e32 v11, 29, v11
	v_and_b32_e32 v6, 7, v6
	v_cmp_eq_u16_e32 vcc, 0, v10
	v_cndmask_b32_e32 v2, v2, v6, vcc
	v_cndmask_b32_e32 v6, v10, v11, vcc
	v_lshlrev_b32_e32 v10, 16, v7
	v_mov_b32_e32 v11, 0x3b800000
	v_lshlrev_b32_e32 v2, 20, v2
	v_and_b32_e32 v10, 0x80000000, v10
	v_lshl_add_u32 v6, v6, 23, v11
	v_or3_b32 v2, v10, v6, v2
.LBB10_1196:
	s_or_b64 exec, exec, s[6:7]
	v_lshrrev_b32_e32 v6, 8, v3
	s_movk_i32 s4, 0x7f
	v_cmp_gt_i16_sdwa s[6:7], v6, s4 src0_sel:BYTE_0 src1_sel:DWORD
	s_mov_b64 s[4:5], 0
                                        ; implicit-def: $sgpr10
	s_and_saveexec_b64 s[8:9], s[6:7]
	s_xor_b64 s[6:7], exec, s[8:9]
	s_cbranch_execnz .LBB10_3245
; %bb.1197:
	s_or_saveexec_b64 s[6:7], s[6:7]
	v_mov_b32_e32 v10, s10
	s_xor_b64 exec, exec, s[6:7]
	s_cbranch_execnz .LBB10_3248
.LBB10_1198:
	s_or_b64 exec, exec, s[6:7]
	s_and_saveexec_b64 s[6:7], s[4:5]
	s_cbranch_execz .LBB10_1200
.LBB10_1199:
	v_bfe_u32 v10, v3, 8, 3
	v_ffbh_u32_e32 v12, v10
	v_min_u32_e32 v12, 32, v12
	v_lshrrev_b16_e32 v11, 3, v6
	v_subrev_u32_e32 v13, 28, v12
	v_and_b32_e32 v11, 15, v11
	v_lshlrev_b32_e32 v6, v13, v6
	v_sub_u32_e32 v12, 29, v12
	v_and_b32_e32 v6, 7, v6
	v_cmp_eq_u16_e32 vcc, 0, v11
	v_cndmask_b32_e32 v6, v10, v6, vcc
	v_cndmask_b32_e32 v10, v11, v12, vcc
	v_lshlrev_b32_e32 v11, 16, v3
	v_mov_b32_e32 v12, 0x3b800000
	v_lshlrev_b32_e32 v6, 20, v6
	v_and_b32_e32 v11, 0x80000000, v11
	v_lshl_add_u32 v10, v10, 23, v12
	v_or3_b32 v10, v11, v10, v6
.LBB10_1200:
	s_or_b64 exec, exec, s[6:7]
	s_nop 0
	v_mfma_f32_16x16x4f32 a[0:3], v2, v10, a[0:3]
	s_movk_i32 s4, 0xff
	v_and_b32_sdwa v6, v7, s4 dst_sel:DWORD dst_unused:UNUSED_PAD src0_sel:WORD_1 src1_sel:DWORD
	s_movk_i32 s4, 0x7f
	v_cmp_lt_i16_e32 vcc, s4, v6
	s_mov_b64 s[4:5], 0
                                        ; implicit-def: $sgpr10
	s_and_saveexec_b64 s[6:7], vcc
	s_xor_b64 s[6:7], exec, s[6:7]
	s_cbranch_execnz .LBB10_3249
; %bb.1201:
	s_or_saveexec_b64 s[6:7], s[6:7]
	v_mov_b32_e32 v2, s10
	s_xor_b64 exec, exec, s[6:7]
	s_cbranch_execnz .LBB10_3252
.LBB10_1202:
	s_or_b64 exec, exec, s[6:7]
	s_and_saveexec_b64 s[6:7], s[4:5]
	s_cbranch_execz .LBB10_1204
.LBB10_1203:
	v_bfe_u32 v2, v7, 16, 3
	v_ffbh_u32_e32 v11, v2
	v_min_u32_e32 v11, 32, v11
	v_lshrrev_b32_e32 v6, 19, v7
	v_subrev_u32_e32 v12, 28, v11
	v_and_b32_e32 v6, 15, v6
	v_lshlrev_b32_sdwa v12, v12, v7 dst_sel:DWORD dst_unused:UNUSED_PAD src0_sel:DWORD src1_sel:WORD_1
	v_bfe_u32 v10, v7, 19, 4
	v_sub_u32_e32 v11, 29, v11
	v_and_b32_e32 v12, 7, v12
	v_cmp_eq_u16_e32 vcc, 0, v6
	v_cndmask_b32_e32 v2, v2, v12, vcc
	v_cndmask_b32_e32 v6, v10, v11, vcc
	v_lshlrev_b32_e32 v10, 8, v7
	v_mov_b32_e32 v11, 0x3b800000
	v_lshlrev_b32_e32 v2, 20, v2
	v_and_b32_e32 v10, 0x80000000, v10
	v_lshl_add_u32 v6, v6, 23, v11
	v_or3_b32 v2, v10, v6, v2
.LBB10_1204:
	s_or_b64 exec, exec, s[6:7]
	s_movk_i32 s4, 0xff
	v_and_b32_sdwa v6, v3, s4 dst_sel:DWORD dst_unused:UNUSED_PAD src0_sel:WORD_1 src1_sel:DWORD
	s_movk_i32 s4, 0x7f
	v_cmp_lt_i16_e32 vcc, s4, v6
	s_mov_b64 s[4:5], 0
                                        ; implicit-def: $sgpr10
	s_and_saveexec_b64 s[6:7], vcc
	s_xor_b64 s[6:7], exec, s[6:7]
	s_cbranch_execnz .LBB10_3253
; %bb.1205:
	s_or_saveexec_b64 s[6:7], s[6:7]
	v_mov_b32_e32 v10, s10
	s_xor_b64 exec, exec, s[6:7]
	s_cbranch_execnz .LBB10_3256
.LBB10_1206:
	s_or_b64 exec, exec, s[6:7]
	s_and_saveexec_b64 s[6:7], s[4:5]
	s_cbranch_execz .LBB10_1208
.LBB10_1207:
	v_bfe_u32 v6, v3, 16, 3
	v_ffbh_u32_e32 v12, v6
	v_min_u32_e32 v12, 32, v12
	v_lshrrev_b32_e32 v10, 19, v3
	v_subrev_u32_e32 v13, 28, v12
	v_and_b32_e32 v10, 15, v10
	v_lshlrev_b32_sdwa v13, v13, v3 dst_sel:DWORD dst_unused:UNUSED_PAD src0_sel:DWORD src1_sel:WORD_1
	v_bfe_u32 v11, v3, 19, 4
	v_sub_u32_e32 v12, 29, v12
	v_and_b32_e32 v13, 7, v13
	v_cmp_eq_u16_e32 vcc, 0, v10
	v_cndmask_b32_e32 v6, v6, v13, vcc
	v_cndmask_b32_e32 v10, v11, v12, vcc
	v_lshlrev_b32_e32 v11, 8, v3
	v_mov_b32_e32 v12, 0x3b800000
	v_lshlrev_b32_e32 v6, 20, v6
	v_and_b32_e32 v11, 0x80000000, v11
	v_lshl_add_u32 v10, v10, 23, v12
	v_or3_b32 v10, v11, v10, v6
.LBB10_1208:
	s_or_b64 exec, exec, s[6:7]
	s_nop 0
	v_mfma_f32_16x16x4f32 a[0:3], v2, v10, a[0:3]
	s_movk_i32 s4, 0x7f
	v_cmp_gt_i16_sdwa s[6:7], v7, s4 src0_sel:BYTE_3 src1_sel:DWORD
	s_mov_b64 s[4:5], 0
                                        ; implicit-def: $sgpr10
	s_and_saveexec_b64 s[8:9], s[6:7]
	s_xor_b64 s[6:7], exec, s[8:9]
	s_cbranch_execnz .LBB10_3257
; %bb.1209:
	s_or_saveexec_b64 s[6:7], s[6:7]
	v_mov_b32_e32 v2, s10
	s_xor_b64 exec, exec, s[6:7]
	s_cbranch_execnz .LBB10_3260
.LBB10_1210:
	s_or_b64 exec, exec, s[6:7]
	s_and_saveexec_b64 s[6:7], s[4:5]
	s_cbranch_execz .LBB10_1212
.LBB10_1211:
	v_bfe_u32 v2, v7, 24, 3
	v_ffbh_u32_e32 v12, v2
	v_min_u32_e32 v12, 32, v12
	v_lshrrev_b32_e32 v10, 27, v7
	v_subrev_u32_e32 v13, 28, v12
	v_and_b32_e32 v6, 0x80000000, v7
	v_and_b32_e32 v10, 15, v10
	v_bfe_u32 v11, v7, 27, 4
	v_lshlrev_b32_sdwa v7, v13, v7 dst_sel:DWORD dst_unused:UNUSED_PAD src0_sel:DWORD src1_sel:BYTE_3
	v_sub_u32_e32 v12, 29, v12
	v_and_b32_e32 v7, 7, v7
	v_cmp_eq_u16_e32 vcc, 0, v10
	v_cndmask_b32_e32 v2, v2, v7, vcc
	v_cndmask_b32_e32 v7, v11, v12, vcc
	v_mov_b32_e32 v10, 0x3b800000
	v_lshlrev_b32_e32 v2, 20, v2
	v_lshl_add_u32 v7, v7, 23, v10
	v_or3_b32 v2, v6, v7, v2
.LBB10_1212:
	s_or_b64 exec, exec, s[6:7]
	s_movk_i32 s4, 0x7f
	v_cmp_gt_i16_sdwa s[6:7], v3, s4 src0_sel:BYTE_3 src1_sel:DWORD
	s_mov_b64 s[4:5], 0
                                        ; implicit-def: $sgpr10
	s_and_saveexec_b64 s[8:9], s[6:7]
	s_xor_b64 s[6:7], exec, s[8:9]
	s_cbranch_execnz .LBB10_3261
; %bb.1213:
	s_or_saveexec_b64 s[6:7], s[6:7]
	v_mov_b32_e32 v6, s10
	s_xor_b64 exec, exec, s[6:7]
	s_cbranch_execnz .LBB10_3264
.LBB10_1214:
	s_or_b64 exec, exec, s[6:7]
	s_and_saveexec_b64 s[6:7], s[4:5]
	s_cbranch_execz .LBB10_1216
.LBB10_1215:
	v_bfe_u32 v6, v3, 24, 3
	v_ffbh_u32_e32 v12, v6
	v_min_u32_e32 v12, 32, v12
	v_lshrrev_b32_e32 v10, 27, v3
	v_subrev_u32_e32 v13, 28, v12
	v_and_b32_e32 v7, 0x80000000, v3
	v_and_b32_e32 v10, 15, v10
	v_bfe_u32 v11, v3, 27, 4
	v_lshlrev_b32_sdwa v3, v13, v3 dst_sel:DWORD dst_unused:UNUSED_PAD src0_sel:DWORD src1_sel:BYTE_3
	v_sub_u32_e32 v12, 29, v12
	v_and_b32_e32 v3, 7, v3
	v_cmp_eq_u16_e32 vcc, 0, v10
	v_cndmask_b32_e32 v3, v6, v3, vcc
	v_cndmask_b32_e32 v6, v11, v12, vcc
	v_mov_b32_e32 v10, 0x3b800000
	v_lshlrev_b32_e32 v3, 20, v3
	v_lshl_add_u32 v6, v6, 23, v10
	v_or3_b32 v6, v7, v6, v3
.LBB10_1216:
	s_or_b64 exec, exec, s[6:7]
	s_nop 0
	v_mfma_f32_16x16x4f32 a[0:3], v2, v6, a[0:3]
	s_movk_i32 s4, 0x7f
	v_cmp_gt_i16_sdwa s[6:7], v8, s4 src0_sel:BYTE_0 src1_sel:DWORD
	s_mov_b64 s[4:5], 0
                                        ; implicit-def: $sgpr10
	s_and_saveexec_b64 s[8:9], s[6:7]
	s_xor_b64 s[6:7], exec, s[8:9]
	s_cbranch_execnz .LBB10_3265
; %bb.1217:
	s_or_saveexec_b64 s[6:7], s[6:7]
	v_mov_b32_e32 v2, s10
	s_xor_b64 exec, exec, s[6:7]
	s_cbranch_execnz .LBB10_3268
.LBB10_1218:
	s_or_b64 exec, exec, s[6:7]
	s_and_saveexec_b64 s[6:7], s[4:5]
	s_cbranch_execz .LBB10_1220
.LBB10_1219:
	v_and_b32_e32 v2, 7, v8
	v_ffbh_u32_e32 v6, v2
	v_min_u32_e32 v6, 32, v6
	v_lshrrev_b16_e32 v3, 3, v8
	v_subrev_u32_e32 v7, 28, v6
	v_and_b32_e32 v3, 15, v3
	v_lshlrev_b32_e32 v7, v7, v8
	v_sub_u32_e32 v6, 29, v6
	v_and_b32_e32 v7, 7, v7
	v_cmp_eq_u16_e32 vcc, 0, v3
	v_cndmask_b32_e32 v2, v2, v7, vcc
	v_cndmask_b32_e32 v3, v3, v6, vcc
	v_lshlrev_b32_e32 v6, 24, v8
	v_mov_b32_e32 v7, 0x3b800000
	v_lshlrev_b32_e32 v2, 20, v2
	v_and_b32_e32 v6, 0x80000000, v6
	v_lshl_add_u32 v3, v3, 23, v7
	v_or3_b32 v2, v6, v3, v2
.LBB10_1220:
	s_or_b64 exec, exec, s[6:7]
	s_movk_i32 s4, 0x7f
	v_cmp_gt_i16_sdwa s[6:7], v4, s4 src0_sel:BYTE_0 src1_sel:DWORD
	s_mov_b64 s[4:5], 0
                                        ; implicit-def: $sgpr10
	s_and_saveexec_b64 s[8:9], s[6:7]
	s_xor_b64 s[6:7], exec, s[8:9]
	s_cbranch_execnz .LBB10_3269
; %bb.1221:
	s_or_saveexec_b64 s[6:7], s[6:7]
	v_mov_b32_e32 v3, s10
	s_xor_b64 exec, exec, s[6:7]
	s_cbranch_execnz .LBB10_3272
.LBB10_1222:
	s_or_b64 exec, exec, s[6:7]
	s_and_saveexec_b64 s[6:7], s[4:5]
	s_cbranch_execz .LBB10_1224
.LBB10_1223:
	v_and_b32_e32 v3, 7, v4
	v_ffbh_u32_e32 v7, v3
	v_min_u32_e32 v7, 32, v7
	v_lshrrev_b16_e32 v6, 3, v4
	v_subrev_u32_e32 v10, 28, v7
	v_and_b32_e32 v6, 15, v6
	v_lshlrev_b32_e32 v10, v10, v4
	v_sub_u32_e32 v7, 29, v7
	v_and_b32_e32 v10, 7, v10
	v_cmp_eq_u16_e32 vcc, 0, v6
	v_cndmask_b32_e32 v3, v3, v10, vcc
	v_cndmask_b32_e32 v6, v6, v7, vcc
	v_lshlrev_b32_e32 v7, 24, v4
	v_mov_b32_e32 v10, 0x3b800000
	v_lshlrev_b32_e32 v3, 20, v3
	v_and_b32_e32 v7, 0x80000000, v7
	v_lshl_add_u32 v6, v6, 23, v10
	v_or3_b32 v3, v7, v6, v3
.LBB10_1224:
	s_or_b64 exec, exec, s[6:7]
	s_nop 0
	v_mfma_f32_16x16x4f32 a[0:3], v2, v3, a[0:3]
	v_lshrrev_b32_e32 v3, 8, v8
	s_movk_i32 s4, 0x7f
	v_cmp_gt_i16_sdwa s[6:7], v3, s4 src0_sel:BYTE_0 src1_sel:DWORD
	s_mov_b64 s[4:5], 0
                                        ; implicit-def: $sgpr10
	s_and_saveexec_b64 s[8:9], s[6:7]
	s_xor_b64 s[6:7], exec, s[8:9]
	s_cbranch_execnz .LBB10_3273
; %bb.1225:
	s_or_saveexec_b64 s[6:7], s[6:7]
	v_mov_b32_e32 v2, s10
	s_xor_b64 exec, exec, s[6:7]
	s_cbranch_execnz .LBB10_3276
.LBB10_1226:
	s_or_b64 exec, exec, s[6:7]
	s_and_saveexec_b64 s[6:7], s[4:5]
	s_cbranch_execz .LBB10_1228
.LBB10_1227:
	v_bfe_u32 v2, v8, 8, 3
	v_ffbh_u32_e32 v7, v2
	v_min_u32_e32 v7, 32, v7
	v_lshrrev_b16_e32 v6, 3, v3
	v_subrev_u32_e32 v10, 28, v7
	v_and_b32_e32 v6, 15, v6
	v_lshlrev_b32_e32 v3, v10, v3
	v_sub_u32_e32 v7, 29, v7
	v_and_b32_e32 v3, 7, v3
	v_cmp_eq_u16_e32 vcc, 0, v6
	v_cndmask_b32_e32 v2, v2, v3, vcc
	v_cndmask_b32_e32 v3, v6, v7, vcc
	v_lshlrev_b32_e32 v6, 16, v8
	v_mov_b32_e32 v7, 0x3b800000
	v_lshlrev_b32_e32 v2, 20, v2
	v_and_b32_e32 v6, 0x80000000, v6
	v_lshl_add_u32 v3, v3, 23, v7
	v_or3_b32 v2, v6, v3, v2
.LBB10_1228:
	s_or_b64 exec, exec, s[6:7]
	v_lshrrev_b32_e32 v3, 8, v4
	s_movk_i32 s4, 0x7f
	v_cmp_gt_i16_sdwa s[6:7], v3, s4 src0_sel:BYTE_0 src1_sel:DWORD
	s_mov_b64 s[4:5], 0
                                        ; implicit-def: $sgpr10
	s_and_saveexec_b64 s[8:9], s[6:7]
	s_xor_b64 s[6:7], exec, s[8:9]
	s_cbranch_execnz .LBB10_3277
; %bb.1229:
	s_or_saveexec_b64 s[6:7], s[6:7]
	v_mov_b32_e32 v6, s10
	s_xor_b64 exec, exec, s[6:7]
	s_cbranch_execnz .LBB10_3280
.LBB10_1230:
	s_or_b64 exec, exec, s[6:7]
	s_and_saveexec_b64 s[6:7], s[4:5]
	s_cbranch_execz .LBB10_1232
.LBB10_1231:
	v_bfe_u32 v6, v4, 8, 3
	v_ffbh_u32_e32 v10, v6
	v_min_u32_e32 v10, 32, v10
	v_lshrrev_b16_e32 v7, 3, v3
	v_subrev_u32_e32 v11, 28, v10
	v_and_b32_e32 v7, 15, v7
	v_lshlrev_b32_e32 v3, v11, v3
	v_sub_u32_e32 v10, 29, v10
	v_and_b32_e32 v3, 7, v3
	v_cmp_eq_u16_e32 vcc, 0, v7
	v_cndmask_b32_e32 v3, v6, v3, vcc
	v_cndmask_b32_e32 v6, v7, v10, vcc
	v_lshlrev_b32_e32 v7, 16, v4
	v_mov_b32_e32 v10, 0x3b800000
	v_lshlrev_b32_e32 v3, 20, v3
	v_and_b32_e32 v7, 0x80000000, v7
	v_lshl_add_u32 v6, v6, 23, v10
	v_or3_b32 v6, v7, v6, v3
.LBB10_1232:
	s_or_b64 exec, exec, s[6:7]
	s_nop 0
	v_mfma_f32_16x16x4f32 a[0:3], v2, v6, a[0:3]
	s_movk_i32 s4, 0xff
	v_and_b32_sdwa v3, v8, s4 dst_sel:DWORD dst_unused:UNUSED_PAD src0_sel:WORD_1 src1_sel:DWORD
	s_movk_i32 s4, 0x7f
	v_cmp_lt_i16_e32 vcc, s4, v3
	s_mov_b64 s[4:5], 0
                                        ; implicit-def: $sgpr10
	s_and_saveexec_b64 s[6:7], vcc
	s_xor_b64 s[6:7], exec, s[6:7]
	s_cbranch_execnz .LBB10_3281
; %bb.1233:
	s_or_saveexec_b64 s[6:7], s[6:7]
	v_mov_b32_e32 v2, s10
	s_xor_b64 exec, exec, s[6:7]
	s_cbranch_execnz .LBB10_3284
.LBB10_1234:
	s_or_b64 exec, exec, s[6:7]
	s_and_saveexec_b64 s[6:7], s[4:5]
	s_cbranch_execz .LBB10_1236
.LBB10_1235:
	v_bfe_u32 v2, v8, 16, 3
	v_ffbh_u32_e32 v7, v2
	v_min_u32_e32 v7, 32, v7
	v_lshrrev_b32_e32 v3, 19, v8
	v_subrev_u32_e32 v10, 28, v7
	v_and_b32_e32 v3, 15, v3
	v_lshlrev_b32_sdwa v10, v10, v8 dst_sel:DWORD dst_unused:UNUSED_PAD src0_sel:DWORD src1_sel:WORD_1
	v_bfe_u32 v6, v8, 19, 4
	v_sub_u32_e32 v7, 29, v7
	v_and_b32_e32 v10, 7, v10
	v_cmp_eq_u16_e32 vcc, 0, v3
	v_cndmask_b32_e32 v2, v2, v10, vcc
	v_cndmask_b32_e32 v3, v6, v7, vcc
	v_lshlrev_b32_e32 v6, 8, v8
	v_mov_b32_e32 v7, 0x3b800000
	v_lshlrev_b32_e32 v2, 20, v2
	v_and_b32_e32 v6, 0x80000000, v6
	v_lshl_add_u32 v3, v3, 23, v7
	v_or3_b32 v2, v6, v3, v2
.LBB10_1236:
	s_or_b64 exec, exec, s[6:7]
	s_movk_i32 s4, 0xff
	v_and_b32_sdwa v3, v4, s4 dst_sel:DWORD dst_unused:UNUSED_PAD src0_sel:WORD_1 src1_sel:DWORD
	s_movk_i32 s4, 0x7f
	v_cmp_lt_i16_e32 vcc, s4, v3
	s_mov_b64 s[4:5], 0
                                        ; implicit-def: $sgpr10
	s_and_saveexec_b64 s[6:7], vcc
	s_xor_b64 s[6:7], exec, s[6:7]
	s_cbranch_execnz .LBB10_3285
; %bb.1237:
	s_or_saveexec_b64 s[6:7], s[6:7]
	v_mov_b32_e32 v6, s10
	s_xor_b64 exec, exec, s[6:7]
	s_cbranch_execnz .LBB10_3288
.LBB10_1238:
	s_or_b64 exec, exec, s[6:7]
	s_and_saveexec_b64 s[6:7], s[4:5]
	s_cbranch_execz .LBB10_1240
.LBB10_1239:
	v_bfe_u32 v3, v4, 16, 3
	v_ffbh_u32_e32 v10, v3
	v_min_u32_e32 v10, 32, v10
	v_lshrrev_b32_e32 v6, 19, v4
	v_subrev_u32_e32 v11, 28, v10
	v_and_b32_e32 v6, 15, v6
	v_lshlrev_b32_sdwa v11, v11, v4 dst_sel:DWORD dst_unused:UNUSED_PAD src0_sel:DWORD src1_sel:WORD_1
	v_bfe_u32 v7, v4, 19, 4
	v_sub_u32_e32 v10, 29, v10
	v_and_b32_e32 v11, 7, v11
	v_cmp_eq_u16_e32 vcc, 0, v6
	v_cndmask_b32_e32 v3, v3, v11, vcc
	v_cndmask_b32_e32 v6, v7, v10, vcc
	v_lshlrev_b32_e32 v7, 8, v4
	v_mov_b32_e32 v10, 0x3b800000
	v_lshlrev_b32_e32 v3, 20, v3
	v_and_b32_e32 v7, 0x80000000, v7
	v_lshl_add_u32 v6, v6, 23, v10
	v_or3_b32 v6, v7, v6, v3
.LBB10_1240:
	s_or_b64 exec, exec, s[6:7]
	s_nop 0
	v_mfma_f32_16x16x4f32 a[0:3], v2, v6, a[0:3]
	s_movk_i32 s4, 0x7f
	v_cmp_gt_i16_sdwa s[6:7], v8, s4 src0_sel:BYTE_3 src1_sel:DWORD
	s_mov_b64 s[4:5], 0
                                        ; implicit-def: $sgpr10
	s_and_saveexec_b64 s[8:9], s[6:7]
	s_xor_b64 s[6:7], exec, s[8:9]
	s_cbranch_execnz .LBB10_3289
; %bb.1241:
	s_or_saveexec_b64 s[6:7], s[6:7]
	v_mov_b32_e32 v2, s10
	s_xor_b64 exec, exec, s[6:7]
	s_cbranch_execnz .LBB10_3292
.LBB10_1242:
	s_or_b64 exec, exec, s[6:7]
	s_and_saveexec_b64 s[6:7], s[4:5]
	s_cbranch_execz .LBB10_1244
.LBB10_1243:
	v_bfe_u32 v2, v8, 24, 3
	v_ffbh_u32_e32 v10, v2
	v_min_u32_e32 v10, 32, v10
	v_lshrrev_b32_e32 v6, 27, v8
	v_subrev_u32_e32 v11, 28, v10
	v_and_b32_e32 v3, 0x80000000, v8
	v_and_b32_e32 v6, 15, v6
	v_bfe_u32 v7, v8, 27, 4
	v_lshlrev_b32_sdwa v8, v11, v8 dst_sel:DWORD dst_unused:UNUSED_PAD src0_sel:DWORD src1_sel:BYTE_3
	v_sub_u32_e32 v10, 29, v10
	v_and_b32_e32 v8, 7, v8
	v_cmp_eq_u16_e32 vcc, 0, v6
	v_cndmask_b32_e32 v2, v2, v8, vcc
	v_cndmask_b32_e32 v6, v7, v10, vcc
	v_mov_b32_e32 v7, 0x3b800000
	v_lshlrev_b32_e32 v2, 20, v2
	v_lshl_add_u32 v6, v6, 23, v7
	v_or3_b32 v2, v3, v6, v2
.LBB10_1244:
	s_or_b64 exec, exec, s[6:7]
	s_movk_i32 s4, 0x7f
	v_cmp_gt_i16_sdwa s[6:7], v4, s4 src0_sel:BYTE_3 src1_sel:DWORD
	s_mov_b64 s[4:5], 0
                                        ; implicit-def: $sgpr10
	s_and_saveexec_b64 s[8:9], s[6:7]
	s_xor_b64 s[6:7], exec, s[8:9]
	s_cbranch_execnz .LBB10_3293
; %bb.1245:
	s_or_saveexec_b64 s[6:7], s[6:7]
	v_mov_b32_e32 v3, s10
	s_xor_b64 exec, exec, s[6:7]
	s_cbranch_execnz .LBB10_3296
.LBB10_1246:
	s_or_b64 exec, exec, s[6:7]
	s_and_saveexec_b64 s[6:7], s[4:5]
	s_cbranch_execz .LBB10_1248
.LBB10_1247:
	v_bfe_u32 v3, v4, 24, 3
	v_ffbh_u32_e32 v10, v3
	v_min_u32_e32 v10, 32, v10
	v_lshrrev_b32_e32 v7, 27, v4
	v_subrev_u32_e32 v11, 28, v10
	v_and_b32_e32 v6, 0x80000000, v4
	v_and_b32_e32 v7, 15, v7
	v_bfe_u32 v8, v4, 27, 4
	v_lshlrev_b32_sdwa v4, v11, v4 dst_sel:DWORD dst_unused:UNUSED_PAD src0_sel:DWORD src1_sel:BYTE_3
	v_sub_u32_e32 v10, 29, v10
	v_and_b32_e32 v4, 7, v4
	v_cmp_eq_u16_e32 vcc, 0, v7
	v_cndmask_b32_e32 v3, v3, v4, vcc
	v_cndmask_b32_e32 v4, v8, v10, vcc
	v_mov_b32_e32 v7, 0x3b800000
	v_lshlrev_b32_e32 v3, 20, v3
	v_lshl_add_u32 v4, v4, 23, v7
	v_or3_b32 v3, v6, v4, v3
.LBB10_1248:
	s_or_b64 exec, exec, s[6:7]
	s_nop 0
	v_mfma_f32_16x16x4f32 a[0:3], v2, v3, a[0:3]
	s_movk_i32 s4, 0x7f
	v_cmp_gt_i16_sdwa s[6:7], v9, s4 src0_sel:BYTE_0 src1_sel:DWORD
	s_mov_b64 s[4:5], 0
                                        ; implicit-def: $sgpr10
	s_and_saveexec_b64 s[8:9], s[6:7]
	s_xor_b64 s[6:7], exec, s[8:9]
	s_cbranch_execnz .LBB10_3297
; %bb.1249:
	s_or_saveexec_b64 s[6:7], s[6:7]
	v_mov_b32_e32 v2, s10
	s_xor_b64 exec, exec, s[6:7]
	s_cbranch_execnz .LBB10_3300
.LBB10_1250:
	s_or_b64 exec, exec, s[6:7]
	s_and_saveexec_b64 s[6:7], s[4:5]
	s_cbranch_execz .LBB10_1252
.LBB10_1251:
	v_mov_b32_e32 v2, 8
	v_and_b32_e32 v3, 7, v9
	v_lshrrev_b32_sdwa v2, v2, v9 dst_sel:BYTE_1 dst_unused:UNUSED_PAD src0_sel:DWORD src1_sel:DWORD
	v_ffbh_u32_e32 v4, v3
	v_or_b32_sdwa v2, v9, v2 dst_sel:DWORD dst_unused:UNUSED_PAD src0_sel:BYTE_0 src1_sel:DWORD
	v_min_u32_e32 v4, 32, v4
	v_lshrrev_b16_e32 v2, 3, v2
	v_subrev_u32_e32 v6, 28, v4
	v_and_b32_e32 v2, 15, v2
	v_lshlrev_b32_e32 v6, v6, v9
	v_sub_u32_e32 v4, 29, v4
	v_and_b32_e32 v6, 7, v6
	v_cmp_eq_u16_e32 vcc, 0, v2
	v_cndmask_b32_e32 v3, v3, v6, vcc
	v_cndmask_b32_e32 v2, v2, v4, vcc
	v_lshlrev_b32_e32 v4, 24, v9
	v_mov_b32_e32 v6, 0x3b800000
	v_lshlrev_b32_e32 v3, 20, v3
	v_and_b32_e32 v4, 0x80000000, v4
	v_lshl_add_u32 v2, v2, 23, v6
	v_or3_b32 v2, v4, v2, v3
.LBB10_1252:
	s_or_b64 exec, exec, s[6:7]
	s_movk_i32 s4, 0x7f
	v_cmp_gt_i16_sdwa s[6:7], v5, s4 src0_sel:BYTE_0 src1_sel:DWORD
	s_mov_b64 s[4:5], 0
                                        ; implicit-def: $sgpr10
	s_and_saveexec_b64 s[8:9], s[6:7]
	s_xor_b64 s[6:7], exec, s[8:9]
	s_cbranch_execnz .LBB10_3301
; %bb.1253:
	s_or_saveexec_b64 s[6:7], s[6:7]
	v_mov_b32_e32 v3, s10
	s_xor_b64 exec, exec, s[6:7]
	s_cbranch_execnz .LBB10_3304
.LBB10_1254:
	s_or_b64 exec, exec, s[6:7]
	s_and_saveexec_b64 s[6:7], s[4:5]
	s_cbranch_execz .LBB10_1256
.LBB10_1255:
	v_mov_b32_e32 v3, 8
	v_and_b32_e32 v4, 7, v5
	v_lshrrev_b32_sdwa v3, v3, v5 dst_sel:BYTE_1 dst_unused:UNUSED_PAD src0_sel:DWORD src1_sel:DWORD
	v_ffbh_u32_e32 v6, v4
	v_or_b32_sdwa v3, v5, v3 dst_sel:DWORD dst_unused:UNUSED_PAD src0_sel:BYTE_0 src1_sel:DWORD
	v_min_u32_e32 v6, 32, v6
	v_lshrrev_b16_e32 v3, 3, v3
	v_subrev_u32_e32 v7, 28, v6
	v_and_b32_e32 v3, 15, v3
	v_lshlrev_b32_e32 v7, v7, v5
	v_sub_u32_e32 v6, 29, v6
	v_and_b32_e32 v7, 7, v7
	v_cmp_eq_u16_e32 vcc, 0, v3
	v_cndmask_b32_e32 v4, v4, v7, vcc
	v_cndmask_b32_e32 v3, v3, v6, vcc
	v_lshlrev_b32_e32 v6, 24, v5
	v_mov_b32_e32 v7, 0x3b800000
	v_lshlrev_b32_e32 v4, 20, v4
	v_and_b32_e32 v6, 0x80000000, v6
	v_lshl_add_u32 v3, v3, 23, v7
	v_or3_b32 v3, v6, v3, v4
.LBB10_1256:
	s_or_b64 exec, exec, s[6:7]
	s_nop 0
	v_mfma_f32_16x16x4f32 a[0:3], v2, v3, a[0:3]
	v_lshrrev_b32_e32 v3, 8, v9
	s_movk_i32 s4, 0x7f
	v_cmp_gt_i16_sdwa s[6:7], v3, s4 src0_sel:BYTE_0 src1_sel:DWORD
	s_mov_b64 s[4:5], 0
                                        ; implicit-def: $sgpr10
	s_and_saveexec_b64 s[8:9], s[6:7]
	s_xor_b64 s[6:7], exec, s[8:9]
	s_cbranch_execnz .LBB10_3305
; %bb.1257:
	s_or_saveexec_b64 s[6:7], s[6:7]
	v_mov_b32_e32 v2, s10
	s_xor_b64 exec, exec, s[6:7]
	s_cbranch_execnz .LBB10_3308
.LBB10_1258:
	s_or_b64 exec, exec, s[6:7]
	s_and_saveexec_b64 s[6:7], s[4:5]
	s_cbranch_execz .LBB10_1260
.LBB10_1259:
	v_bfe_u32 v2, v9, 8, 3
	v_ffbh_u32_e32 v6, v2
	v_min_u32_e32 v6, 32, v6
	v_lshrrev_b16_e32 v4, 3, v3
	v_subrev_u32_e32 v7, 28, v6
	v_and_b32_e32 v4, 15, v4
	v_lshlrev_b32_e32 v3, v7, v3
	v_sub_u32_e32 v6, 29, v6
	v_and_b32_e32 v3, 7, v3
	v_cmp_eq_u16_e32 vcc, 0, v4
	v_cndmask_b32_e32 v2, v2, v3, vcc
	v_cndmask_b32_e32 v3, v4, v6, vcc
	v_lshlrev_b32_e32 v4, 16, v9
	v_mov_b32_e32 v6, 0x3b800000
	v_lshlrev_b32_e32 v2, 20, v2
	v_and_b32_e32 v4, 0x80000000, v4
	v_lshl_add_u32 v3, v3, 23, v6
	v_or3_b32 v2, v4, v3, v2
.LBB10_1260:
	s_or_b64 exec, exec, s[6:7]
	v_lshrrev_b32_e32 v3, 8, v5
	s_movk_i32 s4, 0x7f
	v_cmp_gt_i16_sdwa s[6:7], v3, s4 src0_sel:BYTE_0 src1_sel:DWORD
	s_mov_b64 s[4:5], 0
                                        ; implicit-def: $sgpr10
	s_and_saveexec_b64 s[8:9], s[6:7]
	s_xor_b64 s[6:7], exec, s[8:9]
	s_cbranch_execnz .LBB10_3309
; %bb.1261:
	s_or_saveexec_b64 s[6:7], s[6:7]
	v_mov_b32_e32 v4, s10
	s_xor_b64 exec, exec, s[6:7]
	s_cbranch_execnz .LBB10_3312
.LBB10_1262:
	s_or_b64 exec, exec, s[6:7]
	s_and_saveexec_b64 s[6:7], s[4:5]
	s_cbranch_execz .LBB10_1264
.LBB10_1263:
	v_bfe_u32 v4, v5, 8, 3
	v_ffbh_u32_e32 v7, v4
	v_min_u32_e32 v7, 32, v7
	v_lshrrev_b16_e32 v6, 3, v3
	v_subrev_u32_e32 v8, 28, v7
	v_and_b32_e32 v6, 15, v6
	v_lshlrev_b32_e32 v3, v8, v3
	v_sub_u32_e32 v7, 29, v7
	v_and_b32_e32 v3, 7, v3
	v_cmp_eq_u16_e32 vcc, 0, v6
	v_cndmask_b32_e32 v3, v4, v3, vcc
	v_cndmask_b32_e32 v4, v6, v7, vcc
	v_lshlrev_b32_e32 v6, 16, v5
	v_mov_b32_e32 v7, 0x3b800000
	v_lshlrev_b32_e32 v3, 20, v3
	v_and_b32_e32 v6, 0x80000000, v6
	v_lshl_add_u32 v4, v4, 23, v7
	v_or3_b32 v4, v6, v4, v3
.LBB10_1264:
	s_or_b64 exec, exec, s[6:7]
	s_nop 0
	v_mfma_f32_16x16x4f32 a[0:3], v2, v4, a[0:3]
	s_movk_i32 s4, 0xff
	v_and_b32_sdwa v3, v9, s4 dst_sel:DWORD dst_unused:UNUSED_PAD src0_sel:WORD_1 src1_sel:DWORD
	s_movk_i32 s4, 0x7f
	v_cmp_lt_i16_e32 vcc, s4, v3
	s_mov_b64 s[4:5], 0
                                        ; implicit-def: $sgpr10
	s_and_saveexec_b64 s[6:7], vcc
	s_xor_b64 s[6:7], exec, s[6:7]
	s_cbranch_execnz .LBB10_3313
; %bb.1265:
	s_or_saveexec_b64 s[6:7], s[6:7]
	v_mov_b32_e32 v2, s10
	s_xor_b64 exec, exec, s[6:7]
	s_cbranch_execnz .LBB10_3316
.LBB10_1266:
	s_or_b64 exec, exec, s[6:7]
	s_and_saveexec_b64 s[6:7], s[4:5]
	s_cbranch_execz .LBB10_1268
.LBB10_1267:
	v_bfe_u32 v2, v9, 16, 3
	v_ffbh_u32_e32 v6, v2
	v_min_u32_e32 v6, 32, v6
	v_lshrrev_b32_e32 v3, 19, v9
	v_subrev_u32_e32 v7, 28, v6
	v_and_b32_e32 v3, 15, v3
	v_lshlrev_b32_sdwa v7, v7, v9 dst_sel:DWORD dst_unused:UNUSED_PAD src0_sel:DWORD src1_sel:WORD_1
	v_bfe_u32 v4, v9, 19, 4
	v_sub_u32_e32 v6, 29, v6
	v_and_b32_e32 v7, 7, v7
	v_cmp_eq_u16_e32 vcc, 0, v3
	v_cndmask_b32_e32 v2, v2, v7, vcc
	v_cndmask_b32_e32 v3, v4, v6, vcc
	v_lshlrev_b32_e32 v4, 8, v9
	v_mov_b32_e32 v6, 0x3b800000
	v_lshlrev_b32_e32 v2, 20, v2
	v_and_b32_e32 v4, 0x80000000, v4
	v_lshl_add_u32 v3, v3, 23, v6
	v_or3_b32 v2, v4, v3, v2
.LBB10_1268:
	s_or_b64 exec, exec, s[6:7]
	s_movk_i32 s4, 0xff
	v_and_b32_sdwa v3, v5, s4 dst_sel:DWORD dst_unused:UNUSED_PAD src0_sel:WORD_1 src1_sel:DWORD
	s_movk_i32 s4, 0x7f
	v_cmp_lt_i16_e32 vcc, s4, v3
	s_mov_b64 s[4:5], 0
                                        ; implicit-def: $sgpr10
	s_and_saveexec_b64 s[6:7], vcc
	s_xor_b64 s[6:7], exec, s[6:7]
	s_cbranch_execnz .LBB10_3317
; %bb.1269:
	s_or_saveexec_b64 s[6:7], s[6:7]
	v_mov_b32_e32 v4, s10
	s_xor_b64 exec, exec, s[6:7]
	s_cbranch_execnz .LBB10_3320
.LBB10_1270:
	s_or_b64 exec, exec, s[6:7]
	s_and_saveexec_b64 s[6:7], s[4:5]
	s_cbranch_execz .LBB10_1272
.LBB10_1271:
	v_bfe_u32 v3, v5, 16, 3
	v_ffbh_u32_e32 v7, v3
	v_min_u32_e32 v7, 32, v7
	v_lshrrev_b32_e32 v4, 19, v5
	v_subrev_u32_e32 v8, 28, v7
	v_and_b32_e32 v4, 15, v4
	v_lshlrev_b32_sdwa v8, v8, v5 dst_sel:DWORD dst_unused:UNUSED_PAD src0_sel:DWORD src1_sel:WORD_1
	v_bfe_u32 v6, v5, 19, 4
	v_sub_u32_e32 v7, 29, v7
	v_and_b32_e32 v8, 7, v8
	v_cmp_eq_u16_e32 vcc, 0, v4
	v_cndmask_b32_e32 v3, v3, v8, vcc
	v_cndmask_b32_e32 v4, v6, v7, vcc
	v_lshlrev_b32_e32 v6, 8, v5
	v_mov_b32_e32 v7, 0x3b800000
	v_lshlrev_b32_e32 v3, 20, v3
	v_and_b32_e32 v6, 0x80000000, v6
	v_lshl_add_u32 v4, v4, 23, v7
	v_or3_b32 v4, v6, v4, v3
.LBB10_1272:
	s_or_b64 exec, exec, s[6:7]
	s_nop 0
	v_mfma_f32_16x16x4f32 a[0:3], v2, v4, a[0:3]
	s_movk_i32 s4, 0x7f
	v_cmp_gt_i16_sdwa s[6:7], v9, s4 src0_sel:BYTE_3 src1_sel:DWORD
	s_mov_b64 s[4:5], 0
                                        ; implicit-def: $sgpr10
	s_and_saveexec_b64 s[8:9], s[6:7]
	s_xor_b64 s[6:7], exec, s[8:9]
	s_cbranch_execnz .LBB10_3321
; %bb.1273:
	s_or_saveexec_b64 s[6:7], s[6:7]
	v_mov_b32_e32 v2, s10
	s_xor_b64 exec, exec, s[6:7]
	s_cbranch_execnz .LBB10_3324
.LBB10_1274:
	s_or_b64 exec, exec, s[6:7]
	s_and_saveexec_b64 s[6:7], s[4:5]
	s_cbranch_execz .LBB10_1276
.LBB10_1275:
	v_bfe_u32 v2, v9, 24, 3
	v_ffbh_u32_e32 v7, v2
	v_min_u32_e32 v7, 32, v7
	v_lshrrev_b32_e32 v4, 27, v9
	v_subrev_u32_e32 v8, 28, v7
	v_and_b32_e32 v4, 15, v4
	v_lshlrev_b32_sdwa v8, v8, v9 dst_sel:DWORD dst_unused:UNUSED_PAD src0_sel:DWORD src1_sel:BYTE_3
	v_bfe_u32 v6, v9, 27, 4
	v_sub_u32_e32 v7, 29, v7
	v_and_b32_e32 v8, 7, v8
	v_cmp_eq_u16_e32 vcc, 0, v4
	v_cndmask_b32_e32 v2, v2, v8, vcc
	v_cndmask_b32_e32 v4, v6, v7, vcc
	v_mov_b32_e32 v6, 0x3b800000
	v_and_b32_e32 v3, 0x80000000, v9
	v_lshlrev_b32_e32 v2, 20, v2
	v_lshl_add_u32 v4, v4, 23, v6
	v_or3_b32 v2, v3, v4, v2
.LBB10_1276:
	s_or_b64 exec, exec, s[6:7]
	s_movk_i32 s4, 0x7f
	v_cmp_gt_i16_sdwa s[6:7], v5, s4 src0_sel:BYTE_3 src1_sel:DWORD
	s_mov_b64 s[4:5], 0
                                        ; implicit-def: $sgpr10
	s_and_saveexec_b64 s[8:9], s[6:7]
	s_xor_b64 s[6:7], exec, s[8:9]
	s_cbranch_execnz .LBB10_3325
; %bb.1277:
	s_or_saveexec_b64 s[6:7], s[6:7]
	v_mov_b32_e32 v3, s10
	s_xor_b64 exec, exec, s[6:7]
	s_cbranch_execnz .LBB10_3328
.LBB10_1278:
	s_or_b64 exec, exec, s[6:7]
	s_and_saveexec_b64 s[6:7], s[4:5]
	s_cbranch_execz .LBB10_1280
.LBB10_1279:
	v_bfe_u32 v3, v5, 24, 3
	v_ffbh_u32_e32 v8, v3
	v_min_u32_e32 v8, 32, v8
	v_lshrrev_b32_e32 v6, 27, v5
	v_subrev_u32_e32 v9, 28, v8
	v_and_b32_e32 v4, 0x80000000, v5
	v_and_b32_e32 v6, 15, v6
	v_bfe_u32 v7, v5, 27, 4
	v_lshlrev_b32_sdwa v5, v9, v5 dst_sel:DWORD dst_unused:UNUSED_PAD src0_sel:DWORD src1_sel:BYTE_3
	v_sub_u32_e32 v8, 29, v8
	v_and_b32_e32 v5, 7, v5
	v_cmp_eq_u16_e32 vcc, 0, v6
	v_cndmask_b32_e32 v3, v3, v5, vcc
	v_cndmask_b32_e32 v5, v7, v8, vcc
	v_mov_b32_e32 v6, 0x3b800000
	v_lshlrev_b32_e32 v3, 20, v3
	v_lshl_add_u32 v5, v5, 23, v6
	v_or3_b32 v3, v4, v5, v3
.LBB10_1280:
	s_or_b64 exec, exec, s[6:7]
	s_nop 0
	v_mfma_f32_16x16x4f32 a[0:3], v2, v3, a[0:3]
	s_movk_i32 s4, 0x7f
                                        ; implicit-def: $sgpr10
	s_nop 7
	s_nop 1
	flat_store_dwordx4 v[18:19], a[0:3] offset:64
	flat_load_dwordx4 v[20:23], v[0:1] offset:16
	s_nop 0
	flat_load_dwordx2 v[18:19], v[0:1] offset:32
	s_waitcnt vmcnt(0) lgkmcnt(0)
	flat_load_dwordx4 v[14:17], v[20:21]
	flat_load_dwordx4 v[6:9], v[20:21] offset:16
	flat_load_dwordx4 v[10:13], v[22:23] offset:416
	;; [unrolled: 1-line block ×3, first 2 shown]
	s_waitcnt vmcnt(0) lgkmcnt(0)
	v_cmp_gt_i16_sdwa s[6:7], v14, s4 src0_sel:BYTE_0 src1_sel:DWORD
	s_mov_b64 s[4:5], 0
	s_and_saveexec_b64 s[8:9], s[6:7]
	s_xor_b64 s[6:7], exec, s[8:9]
	s_cbranch_execnz .LBB10_3329
; %bb.1281:
	s_or_saveexec_b64 s[6:7], s[6:7]
	v_mov_b32_e32 v20, s10
	s_xor_b64 exec, exec, s[6:7]
	s_cbranch_execnz .LBB10_3332
.LBB10_1282:
	s_or_b64 exec, exec, s[6:7]
	s_and_saveexec_b64 s[6:7], s[4:5]
	s_cbranch_execz .LBB10_1284
.LBB10_1283:
	v_and_b32_e32 v20, 7, v14
	v_ffbh_u32_e32 v22, v20
	v_min_u32_e32 v22, 32, v22
	v_lshrrev_b16_e32 v21, 3, v14
	v_subrev_u32_e32 v23, 28, v22
	v_and_b32_e32 v21, 15, v21
	v_lshlrev_b32_e32 v23, v23, v14
	v_sub_u32_e32 v22, 29, v22
	v_and_b32_e32 v23, 7, v23
	v_cmp_eq_u16_e32 vcc, 0, v21
	v_cndmask_b32_e32 v20, v20, v23, vcc
	v_cndmask_b32_e32 v21, v21, v22, vcc
	v_lshlrev_b32_e32 v22, 24, v14
	v_mov_b32_e32 v23, 0x3b800000
	v_lshlrev_b32_e32 v20, 20, v20
	v_and_b32_e32 v22, 0x80000000, v22
	v_lshl_add_u32 v21, v21, 23, v23
	v_or3_b32 v20, v22, v21, v20
.LBB10_1284:
	s_or_b64 exec, exec, s[6:7]
	s_movk_i32 s4, 0x7f
	v_cmp_gt_i16_sdwa s[6:7], v10, s4 src0_sel:BYTE_0 src1_sel:DWORD
	s_mov_b64 s[4:5], 0
                                        ; implicit-def: $sgpr10
	s_and_saveexec_b64 s[8:9], s[6:7]
	s_xor_b64 s[6:7], exec, s[8:9]
	s_cbranch_execnz .LBB10_3333
; %bb.1285:
	s_or_saveexec_b64 s[6:7], s[6:7]
	v_mov_b32_e32 v21, s10
	s_xor_b64 exec, exec, s[6:7]
	s_cbranch_execnz .LBB10_3336
.LBB10_1286:
	s_or_b64 exec, exec, s[6:7]
	s_and_saveexec_b64 s[6:7], s[4:5]
	s_cbranch_execz .LBB10_1288
.LBB10_1287:
	v_and_b32_e32 v21, 7, v10
	v_ffbh_u32_e32 v23, v21
	v_min_u32_e32 v23, 32, v23
	v_lshrrev_b16_e32 v22, 3, v10
	v_subrev_u32_e32 v24, 28, v23
	v_and_b32_e32 v22, 15, v22
	v_lshlrev_b32_e32 v24, v24, v10
	v_sub_u32_e32 v23, 29, v23
	v_and_b32_e32 v24, 7, v24
	v_cmp_eq_u16_e32 vcc, 0, v22
	v_cndmask_b32_e32 v21, v21, v24, vcc
	v_cndmask_b32_e32 v22, v22, v23, vcc
	v_lshlrev_b32_e32 v23, 24, v10
	v_mov_b32_e32 v24, 0x3b800000
	v_lshlrev_b32_e32 v21, 20, v21
	v_and_b32_e32 v23, 0x80000000, v23
	v_lshl_add_u32 v22, v22, 23, v24
	v_or3_b32 v21, v23, v22, v21
.LBB10_1288:
	s_or_b64 exec, exec, s[6:7]
	flat_load_dwordx4 a[0:3], v[18:19] offset:80
	s_movk_i32 s4, 0x7f
                                        ; implicit-def: $sgpr10
	s_waitcnt vmcnt(0) lgkmcnt(0)
	v_mfma_f32_16x16x4f32 a[0:3], v20, v21, a[0:3]
	v_lshrrev_b32_e32 v21, 8, v14
	v_cmp_gt_i16_sdwa s[6:7], v21, s4 src0_sel:BYTE_0 src1_sel:DWORD
	s_mov_b64 s[4:5], 0
	s_and_saveexec_b64 s[8:9], s[6:7]
	s_xor_b64 s[6:7], exec, s[8:9]
	s_cbranch_execnz .LBB10_3337
; %bb.1289:
	s_or_saveexec_b64 s[6:7], s[6:7]
	v_mov_b32_e32 v20, s10
	s_xor_b64 exec, exec, s[6:7]
	s_cbranch_execnz .LBB10_3340
.LBB10_1290:
	s_or_b64 exec, exec, s[6:7]
	s_and_saveexec_b64 s[6:7], s[4:5]
	s_cbranch_execz .LBB10_1292
.LBB10_1291:
	v_bfe_u32 v20, v14, 8, 3
	v_ffbh_u32_e32 v23, v20
	v_min_u32_e32 v23, 32, v23
	v_lshrrev_b16_e32 v22, 3, v21
	v_subrev_u32_e32 v24, 28, v23
	v_and_b32_e32 v22, 15, v22
	v_lshlrev_b32_e32 v21, v24, v21
	v_sub_u32_e32 v23, 29, v23
	v_and_b32_e32 v21, 7, v21
	v_cmp_eq_u16_e32 vcc, 0, v22
	v_cndmask_b32_e32 v20, v20, v21, vcc
	v_cndmask_b32_e32 v21, v22, v23, vcc
	v_lshlrev_b32_e32 v22, 16, v14
	v_mov_b32_e32 v23, 0x3b800000
	v_lshlrev_b32_e32 v20, 20, v20
	v_and_b32_e32 v22, 0x80000000, v22
	v_lshl_add_u32 v21, v21, 23, v23
	v_or3_b32 v20, v22, v21, v20
.LBB10_1292:
	s_or_b64 exec, exec, s[6:7]
	v_lshrrev_b32_e32 v21, 8, v10
	s_movk_i32 s4, 0x7f
	v_cmp_gt_i16_sdwa s[6:7], v21, s4 src0_sel:BYTE_0 src1_sel:DWORD
	s_mov_b64 s[4:5], 0
                                        ; implicit-def: $sgpr10
	s_and_saveexec_b64 s[8:9], s[6:7]
	s_xor_b64 s[6:7], exec, s[8:9]
	s_cbranch_execnz .LBB10_3341
; %bb.1293:
	s_or_saveexec_b64 s[6:7], s[6:7]
	v_mov_b32_e32 v22, s10
	s_xor_b64 exec, exec, s[6:7]
	s_cbranch_execnz .LBB10_3344
.LBB10_1294:
	s_or_b64 exec, exec, s[6:7]
	s_and_saveexec_b64 s[6:7], s[4:5]
	s_cbranch_execz .LBB10_1296
.LBB10_1295:
	v_bfe_u32 v22, v10, 8, 3
	v_ffbh_u32_e32 v24, v22
	v_min_u32_e32 v24, 32, v24
	v_lshrrev_b16_e32 v23, 3, v21
	v_subrev_u32_e32 v25, 28, v24
	v_and_b32_e32 v23, 15, v23
	v_lshlrev_b32_e32 v21, v25, v21
	v_sub_u32_e32 v24, 29, v24
	v_and_b32_e32 v21, 7, v21
	v_cmp_eq_u16_e32 vcc, 0, v23
	v_cndmask_b32_e32 v21, v22, v21, vcc
	v_cndmask_b32_e32 v22, v23, v24, vcc
	v_lshlrev_b32_e32 v23, 16, v10
	v_mov_b32_e32 v24, 0x3b800000
	v_lshlrev_b32_e32 v21, 20, v21
	v_and_b32_e32 v23, 0x80000000, v23
	v_lshl_add_u32 v22, v22, 23, v24
	v_or3_b32 v22, v23, v22, v21
.LBB10_1296:
	s_or_b64 exec, exec, s[6:7]
	s_nop 0
	v_mfma_f32_16x16x4f32 a[0:3], v20, v22, a[0:3]
	s_movk_i32 s4, 0xff
	v_and_b32_sdwa v21, v14, s4 dst_sel:DWORD dst_unused:UNUSED_PAD src0_sel:WORD_1 src1_sel:DWORD
	s_movk_i32 s4, 0x7f
	v_cmp_lt_i16_e32 vcc, s4, v21
	s_mov_b64 s[4:5], 0
                                        ; implicit-def: $sgpr10
	s_and_saveexec_b64 s[6:7], vcc
	s_xor_b64 s[6:7], exec, s[6:7]
	s_cbranch_execnz .LBB10_3345
; %bb.1297:
	s_or_saveexec_b64 s[6:7], s[6:7]
	v_mov_b32_e32 v20, s10
	s_xor_b64 exec, exec, s[6:7]
	s_cbranch_execnz .LBB10_3348
.LBB10_1298:
	s_or_b64 exec, exec, s[6:7]
	s_and_saveexec_b64 s[6:7], s[4:5]
	s_cbranch_execz .LBB10_1300
.LBB10_1299:
	v_bfe_u32 v20, v14, 16, 3
	v_ffbh_u32_e32 v23, v20
	v_min_u32_e32 v23, 32, v23
	v_lshrrev_b32_e32 v21, 19, v14
	v_subrev_u32_e32 v24, 28, v23
	v_and_b32_e32 v21, 15, v21
	v_lshlrev_b32_sdwa v24, v24, v14 dst_sel:DWORD dst_unused:UNUSED_PAD src0_sel:DWORD src1_sel:WORD_1
	v_bfe_u32 v22, v14, 19, 4
	v_sub_u32_e32 v23, 29, v23
	v_and_b32_e32 v24, 7, v24
	v_cmp_eq_u16_e32 vcc, 0, v21
	v_cndmask_b32_e32 v20, v20, v24, vcc
	v_cndmask_b32_e32 v21, v22, v23, vcc
	v_lshlrev_b32_e32 v22, 8, v14
	v_mov_b32_e32 v23, 0x3b800000
	v_lshlrev_b32_e32 v20, 20, v20
	v_and_b32_e32 v22, 0x80000000, v22
	v_lshl_add_u32 v21, v21, 23, v23
	v_or3_b32 v20, v22, v21, v20
.LBB10_1300:
	s_or_b64 exec, exec, s[6:7]
	s_movk_i32 s4, 0xff
	v_and_b32_sdwa v21, v10, s4 dst_sel:DWORD dst_unused:UNUSED_PAD src0_sel:WORD_1 src1_sel:DWORD
	s_movk_i32 s4, 0x7f
	v_cmp_lt_i16_e32 vcc, s4, v21
	s_mov_b64 s[4:5], 0
                                        ; implicit-def: $sgpr10
	s_and_saveexec_b64 s[6:7], vcc
	s_xor_b64 s[6:7], exec, s[6:7]
	s_cbranch_execnz .LBB10_3349
; %bb.1301:
	s_or_saveexec_b64 s[6:7], s[6:7]
	v_mov_b32_e32 v22, s10
	s_xor_b64 exec, exec, s[6:7]
	s_cbranch_execnz .LBB10_3352
.LBB10_1302:
	s_or_b64 exec, exec, s[6:7]
	s_and_saveexec_b64 s[6:7], s[4:5]
	s_cbranch_execz .LBB10_1304
.LBB10_1303:
	v_bfe_u32 v21, v10, 16, 3
	v_ffbh_u32_e32 v24, v21
	v_min_u32_e32 v24, 32, v24
	v_lshrrev_b32_e32 v22, 19, v10
	v_subrev_u32_e32 v25, 28, v24
	v_and_b32_e32 v22, 15, v22
	v_lshlrev_b32_sdwa v25, v25, v10 dst_sel:DWORD dst_unused:UNUSED_PAD src0_sel:DWORD src1_sel:WORD_1
	v_bfe_u32 v23, v10, 19, 4
	v_sub_u32_e32 v24, 29, v24
	v_and_b32_e32 v25, 7, v25
	v_cmp_eq_u16_e32 vcc, 0, v22
	v_cndmask_b32_e32 v21, v21, v25, vcc
	v_cndmask_b32_e32 v22, v23, v24, vcc
	v_lshlrev_b32_e32 v23, 8, v10
	v_mov_b32_e32 v24, 0x3b800000
	v_lshlrev_b32_e32 v21, 20, v21
	v_and_b32_e32 v23, 0x80000000, v23
	v_lshl_add_u32 v22, v22, 23, v24
	v_or3_b32 v22, v23, v22, v21
.LBB10_1304:
	s_or_b64 exec, exec, s[6:7]
	s_nop 0
	v_mfma_f32_16x16x4f32 a[0:3], v20, v22, a[0:3]
	s_movk_i32 s4, 0x7f
	v_cmp_gt_i16_sdwa s[6:7], v14, s4 src0_sel:BYTE_3 src1_sel:DWORD
	s_mov_b64 s[4:5], 0
                                        ; implicit-def: $sgpr10
	s_and_saveexec_b64 s[8:9], s[6:7]
	s_xor_b64 s[6:7], exec, s[8:9]
	s_cbranch_execnz .LBB10_3353
; %bb.1305:
	s_or_saveexec_b64 s[6:7], s[6:7]
	v_mov_b32_e32 v20, s10
	s_xor_b64 exec, exec, s[6:7]
	s_cbranch_execnz .LBB10_3356
.LBB10_1306:
	s_or_b64 exec, exec, s[6:7]
	s_and_saveexec_b64 s[6:7], s[4:5]
	s_cbranch_execz .LBB10_1308
.LBB10_1307:
	v_bfe_u32 v20, v14, 24, 3
	v_ffbh_u32_e32 v24, v20
	v_min_u32_e32 v24, 32, v24
	v_lshrrev_b32_e32 v22, 27, v14
	v_subrev_u32_e32 v25, 28, v24
	v_and_b32_e32 v21, 0x80000000, v14
	v_and_b32_e32 v22, 15, v22
	v_bfe_u32 v23, v14, 27, 4
	v_lshlrev_b32_sdwa v14, v25, v14 dst_sel:DWORD dst_unused:UNUSED_PAD src0_sel:DWORD src1_sel:BYTE_3
	v_sub_u32_e32 v24, 29, v24
	v_and_b32_e32 v14, 7, v14
	v_cmp_eq_u16_e32 vcc, 0, v22
	v_cndmask_b32_e32 v14, v20, v14, vcc
	v_cndmask_b32_e32 v20, v23, v24, vcc
	v_mov_b32_e32 v22, 0x3b800000
	v_lshlrev_b32_e32 v14, 20, v14
	v_lshl_add_u32 v20, v20, 23, v22
	v_or3_b32 v20, v21, v20, v14
.LBB10_1308:
	s_or_b64 exec, exec, s[6:7]
	s_movk_i32 s4, 0x7f
	v_cmp_gt_i16_sdwa s[6:7], v10, s4 src0_sel:BYTE_3 src1_sel:DWORD
	s_mov_b64 s[4:5], 0
                                        ; implicit-def: $sgpr10
	s_and_saveexec_b64 s[8:9], s[6:7]
	s_xor_b64 s[6:7], exec, s[8:9]
	s_cbranch_execnz .LBB10_3357
; %bb.1309:
	s_or_saveexec_b64 s[6:7], s[6:7]
	v_mov_b32_e32 v14, s10
	s_xor_b64 exec, exec, s[6:7]
	s_cbranch_execnz .LBB10_3360
.LBB10_1310:
	s_or_b64 exec, exec, s[6:7]
	s_and_saveexec_b64 s[6:7], s[4:5]
	s_cbranch_execz .LBB10_1312
.LBB10_1311:
	v_bfe_u32 v14, v10, 24, 3
	v_ffbh_u32_e32 v24, v14
	v_min_u32_e32 v24, 32, v24
	v_lshrrev_b32_e32 v22, 27, v10
	v_subrev_u32_e32 v25, 28, v24
	v_and_b32_e32 v21, 0x80000000, v10
	v_and_b32_e32 v22, 15, v22
	v_bfe_u32 v23, v10, 27, 4
	v_lshlrev_b32_sdwa v10, v25, v10 dst_sel:DWORD dst_unused:UNUSED_PAD src0_sel:DWORD src1_sel:BYTE_3
	v_sub_u32_e32 v24, 29, v24
	v_and_b32_e32 v10, 7, v10
	v_cmp_eq_u16_e32 vcc, 0, v22
	v_cndmask_b32_e32 v10, v14, v10, vcc
	v_cndmask_b32_e32 v14, v23, v24, vcc
	v_mov_b32_e32 v22, 0x3b800000
	v_lshlrev_b32_e32 v10, 20, v10
	v_lshl_add_u32 v14, v14, 23, v22
	v_or3_b32 v14, v21, v14, v10
.LBB10_1312:
	s_or_b64 exec, exec, s[6:7]
	s_nop 0
	v_mfma_f32_16x16x4f32 a[0:3], v20, v14, a[0:3]
	s_movk_i32 s4, 0x7f
	v_cmp_gt_i16_sdwa s[6:7], v15, s4 src0_sel:BYTE_0 src1_sel:DWORD
	s_mov_b64 s[4:5], 0
                                        ; implicit-def: $sgpr10
	s_and_saveexec_b64 s[8:9], s[6:7]
	s_xor_b64 s[6:7], exec, s[8:9]
	s_cbranch_execnz .LBB10_3361
; %bb.1313:
	s_or_saveexec_b64 s[6:7], s[6:7]
	v_mov_b32_e32 v10, s10
	s_xor_b64 exec, exec, s[6:7]
	s_cbranch_execnz .LBB10_3364
.LBB10_1314:
	s_or_b64 exec, exec, s[6:7]
	s_and_saveexec_b64 s[6:7], s[4:5]
	s_cbranch_execz .LBB10_1316
.LBB10_1315:
	v_and_b32_e32 v10, 7, v15
	v_ffbh_u32_e32 v20, v10
	v_min_u32_e32 v20, 32, v20
	v_lshrrev_b16_e32 v14, 3, v15
	v_subrev_u32_e32 v21, 28, v20
	v_and_b32_e32 v14, 15, v14
	v_lshlrev_b32_e32 v21, v21, v15
	v_sub_u32_e32 v20, 29, v20
	v_and_b32_e32 v21, 7, v21
	v_cmp_eq_u16_e32 vcc, 0, v14
	v_cndmask_b32_e32 v10, v10, v21, vcc
	v_cndmask_b32_e32 v14, v14, v20, vcc
	v_lshlrev_b32_e32 v20, 24, v15
	v_mov_b32_e32 v21, 0x3b800000
	v_lshlrev_b32_e32 v10, 20, v10
	v_and_b32_e32 v20, 0x80000000, v20
	v_lshl_add_u32 v14, v14, 23, v21
	v_or3_b32 v10, v20, v14, v10
.LBB10_1316:
	s_or_b64 exec, exec, s[6:7]
	s_movk_i32 s4, 0x7f
	v_cmp_gt_i16_sdwa s[6:7], v11, s4 src0_sel:BYTE_0 src1_sel:DWORD
	s_mov_b64 s[4:5], 0
                                        ; implicit-def: $sgpr10
	s_and_saveexec_b64 s[8:9], s[6:7]
	s_xor_b64 s[6:7], exec, s[8:9]
	s_cbranch_execnz .LBB10_3365
; %bb.1317:
	s_or_saveexec_b64 s[6:7], s[6:7]
	v_mov_b32_e32 v14, s10
	s_xor_b64 exec, exec, s[6:7]
	s_cbranch_execnz .LBB10_3368
.LBB10_1318:
	s_or_b64 exec, exec, s[6:7]
	s_and_saveexec_b64 s[6:7], s[4:5]
	s_cbranch_execz .LBB10_1320
.LBB10_1319:
	v_and_b32_e32 v14, 7, v11
	v_ffbh_u32_e32 v21, v14
	v_min_u32_e32 v21, 32, v21
	v_lshrrev_b16_e32 v20, 3, v11
	v_subrev_u32_e32 v22, 28, v21
	v_and_b32_e32 v20, 15, v20
	v_lshlrev_b32_e32 v22, v22, v11
	v_sub_u32_e32 v21, 29, v21
	v_and_b32_e32 v22, 7, v22
	v_cmp_eq_u16_e32 vcc, 0, v20
	v_cndmask_b32_e32 v14, v14, v22, vcc
	v_cndmask_b32_e32 v20, v20, v21, vcc
	v_lshlrev_b32_e32 v21, 24, v11
	v_mov_b32_e32 v22, 0x3b800000
	v_lshlrev_b32_e32 v14, 20, v14
	v_and_b32_e32 v21, 0x80000000, v21
	v_lshl_add_u32 v20, v20, 23, v22
	v_or3_b32 v14, v21, v20, v14
.LBB10_1320:
	s_or_b64 exec, exec, s[6:7]
	s_nop 0
	v_mfma_f32_16x16x4f32 a[0:3], v10, v14, a[0:3]
	v_lshrrev_b32_e32 v14, 8, v15
	s_movk_i32 s4, 0x7f
	v_cmp_gt_i16_sdwa s[6:7], v14, s4 src0_sel:BYTE_0 src1_sel:DWORD
	s_mov_b64 s[4:5], 0
                                        ; implicit-def: $sgpr10
	s_and_saveexec_b64 s[8:9], s[6:7]
	s_xor_b64 s[6:7], exec, s[8:9]
	s_cbranch_execnz .LBB10_3369
; %bb.1321:
	s_or_saveexec_b64 s[6:7], s[6:7]
	v_mov_b32_e32 v10, s10
	s_xor_b64 exec, exec, s[6:7]
	s_cbranch_execnz .LBB10_3372
.LBB10_1322:
	s_or_b64 exec, exec, s[6:7]
	s_and_saveexec_b64 s[6:7], s[4:5]
	s_cbranch_execz .LBB10_1324
.LBB10_1323:
	v_bfe_u32 v10, v15, 8, 3
	v_ffbh_u32_e32 v21, v10
	v_min_u32_e32 v21, 32, v21
	v_lshrrev_b16_e32 v20, 3, v14
	v_subrev_u32_e32 v22, 28, v21
	v_and_b32_e32 v20, 15, v20
	v_lshlrev_b32_e32 v14, v22, v14
	v_sub_u32_e32 v21, 29, v21
	v_and_b32_e32 v14, 7, v14
	v_cmp_eq_u16_e32 vcc, 0, v20
	v_cndmask_b32_e32 v10, v10, v14, vcc
	v_cndmask_b32_e32 v14, v20, v21, vcc
	v_lshlrev_b32_e32 v20, 16, v15
	v_mov_b32_e32 v21, 0x3b800000
	v_lshlrev_b32_e32 v10, 20, v10
	v_and_b32_e32 v20, 0x80000000, v20
	v_lshl_add_u32 v14, v14, 23, v21
	v_or3_b32 v10, v20, v14, v10
.LBB10_1324:
	s_or_b64 exec, exec, s[6:7]
	v_lshrrev_b32_e32 v14, 8, v11
	s_movk_i32 s4, 0x7f
	v_cmp_gt_i16_sdwa s[6:7], v14, s4 src0_sel:BYTE_0 src1_sel:DWORD
	s_mov_b64 s[4:5], 0
                                        ; implicit-def: $sgpr10
	s_and_saveexec_b64 s[8:9], s[6:7]
	s_xor_b64 s[6:7], exec, s[8:9]
	s_cbranch_execnz .LBB10_3373
; %bb.1325:
	s_or_saveexec_b64 s[6:7], s[6:7]
	v_mov_b32_e32 v20, s10
	s_xor_b64 exec, exec, s[6:7]
	s_cbranch_execnz .LBB10_3376
.LBB10_1326:
	s_or_b64 exec, exec, s[6:7]
	s_and_saveexec_b64 s[6:7], s[4:5]
	s_cbranch_execz .LBB10_1328
.LBB10_1327:
	v_bfe_u32 v20, v11, 8, 3
	v_ffbh_u32_e32 v22, v20
	v_min_u32_e32 v22, 32, v22
	v_lshrrev_b16_e32 v21, 3, v14
	v_subrev_u32_e32 v23, 28, v22
	v_and_b32_e32 v21, 15, v21
	v_lshlrev_b32_e32 v14, v23, v14
	v_sub_u32_e32 v22, 29, v22
	v_and_b32_e32 v14, 7, v14
	v_cmp_eq_u16_e32 vcc, 0, v21
	v_cndmask_b32_e32 v14, v20, v14, vcc
	v_cndmask_b32_e32 v20, v21, v22, vcc
	v_lshlrev_b32_e32 v21, 16, v11
	v_mov_b32_e32 v22, 0x3b800000
	v_lshlrev_b32_e32 v14, 20, v14
	v_and_b32_e32 v21, 0x80000000, v21
	v_lshl_add_u32 v20, v20, 23, v22
	v_or3_b32 v20, v21, v20, v14
.LBB10_1328:
	s_or_b64 exec, exec, s[6:7]
	s_nop 0
	v_mfma_f32_16x16x4f32 a[0:3], v10, v20, a[0:3]
	s_movk_i32 s4, 0xff
	v_and_b32_sdwa v14, v15, s4 dst_sel:DWORD dst_unused:UNUSED_PAD src0_sel:WORD_1 src1_sel:DWORD
	s_movk_i32 s4, 0x7f
	v_cmp_lt_i16_e32 vcc, s4, v14
	s_mov_b64 s[4:5], 0
                                        ; implicit-def: $sgpr10
	s_and_saveexec_b64 s[6:7], vcc
	s_xor_b64 s[6:7], exec, s[6:7]
	s_cbranch_execnz .LBB10_3377
; %bb.1329:
	s_or_saveexec_b64 s[6:7], s[6:7]
	v_mov_b32_e32 v10, s10
	s_xor_b64 exec, exec, s[6:7]
	s_cbranch_execnz .LBB10_3380
.LBB10_1330:
	s_or_b64 exec, exec, s[6:7]
	s_and_saveexec_b64 s[6:7], s[4:5]
	s_cbranch_execz .LBB10_1332
.LBB10_1331:
	v_bfe_u32 v10, v15, 16, 3
	v_ffbh_u32_e32 v21, v10
	v_min_u32_e32 v21, 32, v21
	v_lshrrev_b32_e32 v14, 19, v15
	v_subrev_u32_e32 v22, 28, v21
	v_and_b32_e32 v14, 15, v14
	v_lshlrev_b32_sdwa v22, v22, v15 dst_sel:DWORD dst_unused:UNUSED_PAD src0_sel:DWORD src1_sel:WORD_1
	v_bfe_u32 v20, v15, 19, 4
	v_sub_u32_e32 v21, 29, v21
	v_and_b32_e32 v22, 7, v22
	v_cmp_eq_u16_e32 vcc, 0, v14
	v_cndmask_b32_e32 v10, v10, v22, vcc
	v_cndmask_b32_e32 v14, v20, v21, vcc
	v_lshlrev_b32_e32 v20, 8, v15
	v_mov_b32_e32 v21, 0x3b800000
	v_lshlrev_b32_e32 v10, 20, v10
	v_and_b32_e32 v20, 0x80000000, v20
	v_lshl_add_u32 v14, v14, 23, v21
	v_or3_b32 v10, v20, v14, v10
.LBB10_1332:
	s_or_b64 exec, exec, s[6:7]
	s_movk_i32 s4, 0xff
	v_and_b32_sdwa v14, v11, s4 dst_sel:DWORD dst_unused:UNUSED_PAD src0_sel:WORD_1 src1_sel:DWORD
	s_movk_i32 s4, 0x7f
	v_cmp_lt_i16_e32 vcc, s4, v14
	s_mov_b64 s[4:5], 0
                                        ; implicit-def: $sgpr10
	s_and_saveexec_b64 s[6:7], vcc
	s_xor_b64 s[6:7], exec, s[6:7]
	s_cbranch_execnz .LBB10_3381
; %bb.1333:
	s_or_saveexec_b64 s[6:7], s[6:7]
	v_mov_b32_e32 v20, s10
	s_xor_b64 exec, exec, s[6:7]
	s_cbranch_execnz .LBB10_3384
.LBB10_1334:
	s_or_b64 exec, exec, s[6:7]
	s_and_saveexec_b64 s[6:7], s[4:5]
	s_cbranch_execz .LBB10_1336
.LBB10_1335:
	v_bfe_u32 v14, v11, 16, 3
	v_ffbh_u32_e32 v22, v14
	v_min_u32_e32 v22, 32, v22
	v_lshrrev_b32_e32 v20, 19, v11
	v_subrev_u32_e32 v23, 28, v22
	v_and_b32_e32 v20, 15, v20
	v_lshlrev_b32_sdwa v23, v23, v11 dst_sel:DWORD dst_unused:UNUSED_PAD src0_sel:DWORD src1_sel:WORD_1
	v_bfe_u32 v21, v11, 19, 4
	v_sub_u32_e32 v22, 29, v22
	v_and_b32_e32 v23, 7, v23
	v_cmp_eq_u16_e32 vcc, 0, v20
	v_cndmask_b32_e32 v14, v14, v23, vcc
	v_cndmask_b32_e32 v20, v21, v22, vcc
	v_lshlrev_b32_e32 v21, 8, v11
	v_mov_b32_e32 v22, 0x3b800000
	v_lshlrev_b32_e32 v14, 20, v14
	v_and_b32_e32 v21, 0x80000000, v21
	v_lshl_add_u32 v20, v20, 23, v22
	v_or3_b32 v20, v21, v20, v14
.LBB10_1336:
	s_or_b64 exec, exec, s[6:7]
	s_nop 0
	v_mfma_f32_16x16x4f32 a[0:3], v10, v20, a[0:3]
	s_movk_i32 s4, 0x7f
	v_cmp_gt_i16_sdwa s[6:7], v15, s4 src0_sel:BYTE_3 src1_sel:DWORD
	s_mov_b64 s[4:5], 0
                                        ; implicit-def: $sgpr10
	s_and_saveexec_b64 s[8:9], s[6:7]
	s_xor_b64 s[6:7], exec, s[8:9]
	s_cbranch_execnz .LBB10_3385
; %bb.1337:
	s_or_saveexec_b64 s[6:7], s[6:7]
	v_mov_b32_e32 v10, s10
	s_xor_b64 exec, exec, s[6:7]
	s_cbranch_execnz .LBB10_3388
.LBB10_1338:
	s_or_b64 exec, exec, s[6:7]
	s_and_saveexec_b64 s[6:7], s[4:5]
	s_cbranch_execz .LBB10_1340
.LBB10_1339:
	v_bfe_u32 v10, v15, 24, 3
	v_ffbh_u32_e32 v22, v10
	v_min_u32_e32 v22, 32, v22
	v_lshrrev_b32_e32 v20, 27, v15
	v_subrev_u32_e32 v23, 28, v22
	v_and_b32_e32 v14, 0x80000000, v15
	v_and_b32_e32 v20, 15, v20
	v_bfe_u32 v21, v15, 27, 4
	v_lshlrev_b32_sdwa v15, v23, v15 dst_sel:DWORD dst_unused:UNUSED_PAD src0_sel:DWORD src1_sel:BYTE_3
	v_sub_u32_e32 v22, 29, v22
	v_and_b32_e32 v15, 7, v15
	v_cmp_eq_u16_e32 vcc, 0, v20
	v_cndmask_b32_e32 v10, v10, v15, vcc
	v_cndmask_b32_e32 v15, v21, v22, vcc
	v_mov_b32_e32 v20, 0x3b800000
	v_lshlrev_b32_e32 v10, 20, v10
	v_lshl_add_u32 v15, v15, 23, v20
	v_or3_b32 v10, v14, v15, v10
.LBB10_1340:
	s_or_b64 exec, exec, s[6:7]
	s_movk_i32 s4, 0x7f
	v_cmp_gt_i16_sdwa s[6:7], v11, s4 src0_sel:BYTE_3 src1_sel:DWORD
	s_mov_b64 s[4:5], 0
                                        ; implicit-def: $sgpr10
	s_and_saveexec_b64 s[8:9], s[6:7]
	s_xor_b64 s[6:7], exec, s[8:9]
	s_cbranch_execnz .LBB10_3389
; %bb.1341:
	s_or_saveexec_b64 s[6:7], s[6:7]
	v_mov_b32_e32 v14, s10
	s_xor_b64 exec, exec, s[6:7]
	s_cbranch_execnz .LBB10_3392
.LBB10_1342:
	s_or_b64 exec, exec, s[6:7]
	s_and_saveexec_b64 s[6:7], s[4:5]
	s_cbranch_execz .LBB10_1344
.LBB10_1343:
	v_bfe_u32 v14, v11, 24, 3
	v_ffbh_u32_e32 v22, v14
	v_min_u32_e32 v22, 32, v22
	v_lshrrev_b32_e32 v20, 27, v11
	v_subrev_u32_e32 v23, 28, v22
	v_and_b32_e32 v15, 0x80000000, v11
	v_and_b32_e32 v20, 15, v20
	v_bfe_u32 v21, v11, 27, 4
	v_lshlrev_b32_sdwa v11, v23, v11 dst_sel:DWORD dst_unused:UNUSED_PAD src0_sel:DWORD src1_sel:BYTE_3
	v_sub_u32_e32 v22, 29, v22
	v_and_b32_e32 v11, 7, v11
	v_cmp_eq_u16_e32 vcc, 0, v20
	v_cndmask_b32_e32 v11, v14, v11, vcc
	v_cndmask_b32_e32 v14, v21, v22, vcc
	v_mov_b32_e32 v20, 0x3b800000
	v_lshlrev_b32_e32 v11, 20, v11
	v_lshl_add_u32 v14, v14, 23, v20
	v_or3_b32 v14, v15, v14, v11
.LBB10_1344:
	s_or_b64 exec, exec, s[6:7]
	s_nop 0
	v_mfma_f32_16x16x4f32 a[0:3], v10, v14, a[0:3]
	s_movk_i32 s4, 0x7f
	v_cmp_gt_i16_sdwa s[6:7], v16, s4 src0_sel:BYTE_0 src1_sel:DWORD
	s_mov_b64 s[4:5], 0
                                        ; implicit-def: $sgpr10
	s_and_saveexec_b64 s[8:9], s[6:7]
	s_xor_b64 s[6:7], exec, s[8:9]
	s_cbranch_execnz .LBB10_3393
; %bb.1345:
	s_or_saveexec_b64 s[6:7], s[6:7]
	v_mov_b32_e32 v10, s10
	s_xor_b64 exec, exec, s[6:7]
	s_cbranch_execnz .LBB10_3396
.LBB10_1346:
	s_or_b64 exec, exec, s[6:7]
	s_and_saveexec_b64 s[6:7], s[4:5]
	s_cbranch_execz .LBB10_1348
.LBB10_1347:
	v_and_b32_e32 v10, 7, v16
	v_ffbh_u32_e32 v14, v10
	v_min_u32_e32 v14, 32, v14
	v_lshrrev_b16_e32 v11, 3, v16
	v_subrev_u32_e32 v15, 28, v14
	v_and_b32_e32 v11, 15, v11
	v_lshlrev_b32_e32 v15, v15, v16
	v_sub_u32_e32 v14, 29, v14
	v_and_b32_e32 v15, 7, v15
	v_cmp_eq_u16_e32 vcc, 0, v11
	v_cndmask_b32_e32 v10, v10, v15, vcc
	v_cndmask_b32_e32 v11, v11, v14, vcc
	v_lshlrev_b32_e32 v14, 24, v16
	v_mov_b32_e32 v15, 0x3b800000
	v_lshlrev_b32_e32 v10, 20, v10
	v_and_b32_e32 v14, 0x80000000, v14
	v_lshl_add_u32 v11, v11, 23, v15
	v_or3_b32 v10, v14, v11, v10
.LBB10_1348:
	s_or_b64 exec, exec, s[6:7]
	s_movk_i32 s4, 0x7f
	v_cmp_gt_i16_sdwa s[6:7], v12, s4 src0_sel:BYTE_0 src1_sel:DWORD
	s_mov_b64 s[4:5], 0
                                        ; implicit-def: $sgpr10
	s_and_saveexec_b64 s[8:9], s[6:7]
	s_xor_b64 s[6:7], exec, s[8:9]
	s_cbranch_execnz .LBB10_3397
; %bb.1349:
	s_or_saveexec_b64 s[6:7], s[6:7]
	v_mov_b32_e32 v11, s10
	s_xor_b64 exec, exec, s[6:7]
	s_cbranch_execnz .LBB10_3400
.LBB10_1350:
	s_or_b64 exec, exec, s[6:7]
	s_and_saveexec_b64 s[6:7], s[4:5]
	s_cbranch_execz .LBB10_1352
.LBB10_1351:
	v_and_b32_e32 v11, 7, v12
	v_ffbh_u32_e32 v15, v11
	v_min_u32_e32 v15, 32, v15
	v_lshrrev_b16_e32 v14, 3, v12
	v_subrev_u32_e32 v20, 28, v15
	v_and_b32_e32 v14, 15, v14
	v_lshlrev_b32_e32 v20, v20, v12
	v_sub_u32_e32 v15, 29, v15
	v_and_b32_e32 v20, 7, v20
	v_cmp_eq_u16_e32 vcc, 0, v14
	v_cndmask_b32_e32 v11, v11, v20, vcc
	v_cndmask_b32_e32 v14, v14, v15, vcc
	v_lshlrev_b32_e32 v15, 24, v12
	v_mov_b32_e32 v20, 0x3b800000
	v_lshlrev_b32_e32 v11, 20, v11
	v_and_b32_e32 v15, 0x80000000, v15
	v_lshl_add_u32 v14, v14, 23, v20
	v_or3_b32 v11, v15, v14, v11
.LBB10_1352:
	s_or_b64 exec, exec, s[6:7]
	s_nop 0
	v_mfma_f32_16x16x4f32 a[0:3], v10, v11, a[0:3]
	v_lshrrev_b32_e32 v11, 8, v16
	s_movk_i32 s4, 0x7f
	v_cmp_gt_i16_sdwa s[6:7], v11, s4 src0_sel:BYTE_0 src1_sel:DWORD
	s_mov_b64 s[4:5], 0
                                        ; implicit-def: $sgpr10
	s_and_saveexec_b64 s[8:9], s[6:7]
	s_xor_b64 s[6:7], exec, s[8:9]
	s_cbranch_execnz .LBB10_3401
; %bb.1353:
	s_or_saveexec_b64 s[6:7], s[6:7]
	v_mov_b32_e32 v10, s10
	s_xor_b64 exec, exec, s[6:7]
	s_cbranch_execnz .LBB10_3404
.LBB10_1354:
	s_or_b64 exec, exec, s[6:7]
	s_and_saveexec_b64 s[6:7], s[4:5]
	s_cbranch_execz .LBB10_1356
.LBB10_1355:
	v_bfe_u32 v10, v16, 8, 3
	v_ffbh_u32_e32 v15, v10
	v_min_u32_e32 v15, 32, v15
	v_lshrrev_b16_e32 v14, 3, v11
	v_subrev_u32_e32 v20, 28, v15
	v_and_b32_e32 v14, 15, v14
	v_lshlrev_b32_e32 v11, v20, v11
	v_sub_u32_e32 v15, 29, v15
	v_and_b32_e32 v11, 7, v11
	v_cmp_eq_u16_e32 vcc, 0, v14
	v_cndmask_b32_e32 v10, v10, v11, vcc
	v_cndmask_b32_e32 v11, v14, v15, vcc
	v_lshlrev_b32_e32 v14, 16, v16
	v_mov_b32_e32 v15, 0x3b800000
	v_lshlrev_b32_e32 v10, 20, v10
	v_and_b32_e32 v14, 0x80000000, v14
	v_lshl_add_u32 v11, v11, 23, v15
	v_or3_b32 v10, v14, v11, v10
.LBB10_1356:
	s_or_b64 exec, exec, s[6:7]
	v_lshrrev_b32_e32 v11, 8, v12
	s_movk_i32 s4, 0x7f
	v_cmp_gt_i16_sdwa s[6:7], v11, s4 src0_sel:BYTE_0 src1_sel:DWORD
	s_mov_b64 s[4:5], 0
                                        ; implicit-def: $sgpr10
	s_and_saveexec_b64 s[8:9], s[6:7]
	s_xor_b64 s[6:7], exec, s[8:9]
	s_cbranch_execnz .LBB10_3405
; %bb.1357:
	s_or_saveexec_b64 s[6:7], s[6:7]
	v_mov_b32_e32 v14, s10
	s_xor_b64 exec, exec, s[6:7]
	s_cbranch_execnz .LBB10_3408
.LBB10_1358:
	s_or_b64 exec, exec, s[6:7]
	s_and_saveexec_b64 s[6:7], s[4:5]
	s_cbranch_execz .LBB10_1360
.LBB10_1359:
	v_bfe_u32 v14, v12, 8, 3
	v_ffbh_u32_e32 v20, v14
	v_min_u32_e32 v20, 32, v20
	v_lshrrev_b16_e32 v15, 3, v11
	v_subrev_u32_e32 v21, 28, v20
	v_and_b32_e32 v15, 15, v15
	v_lshlrev_b32_e32 v11, v21, v11
	v_sub_u32_e32 v20, 29, v20
	v_and_b32_e32 v11, 7, v11
	v_cmp_eq_u16_e32 vcc, 0, v15
	v_cndmask_b32_e32 v11, v14, v11, vcc
	v_cndmask_b32_e32 v14, v15, v20, vcc
	v_lshlrev_b32_e32 v15, 16, v12
	v_mov_b32_e32 v20, 0x3b800000
	v_lshlrev_b32_e32 v11, 20, v11
	v_and_b32_e32 v15, 0x80000000, v15
	v_lshl_add_u32 v14, v14, 23, v20
	v_or3_b32 v14, v15, v14, v11
.LBB10_1360:
	s_or_b64 exec, exec, s[6:7]
	s_nop 0
	v_mfma_f32_16x16x4f32 a[0:3], v10, v14, a[0:3]
	s_movk_i32 s4, 0xff
	v_and_b32_sdwa v11, v16, s4 dst_sel:DWORD dst_unused:UNUSED_PAD src0_sel:WORD_1 src1_sel:DWORD
	s_movk_i32 s4, 0x7f
	v_cmp_lt_i16_e32 vcc, s4, v11
	s_mov_b64 s[4:5], 0
                                        ; implicit-def: $sgpr10
	s_and_saveexec_b64 s[6:7], vcc
	s_xor_b64 s[6:7], exec, s[6:7]
	s_cbranch_execnz .LBB10_3409
; %bb.1361:
	s_or_saveexec_b64 s[6:7], s[6:7]
	v_mov_b32_e32 v10, s10
	s_xor_b64 exec, exec, s[6:7]
	s_cbranch_execnz .LBB10_3412
.LBB10_1362:
	s_or_b64 exec, exec, s[6:7]
	s_and_saveexec_b64 s[6:7], s[4:5]
	s_cbranch_execz .LBB10_1364
.LBB10_1363:
	v_bfe_u32 v10, v16, 16, 3
	v_ffbh_u32_e32 v15, v10
	v_min_u32_e32 v15, 32, v15
	v_lshrrev_b32_e32 v11, 19, v16
	v_subrev_u32_e32 v20, 28, v15
	v_and_b32_e32 v11, 15, v11
	v_lshlrev_b32_sdwa v20, v20, v16 dst_sel:DWORD dst_unused:UNUSED_PAD src0_sel:DWORD src1_sel:WORD_1
	v_bfe_u32 v14, v16, 19, 4
	v_sub_u32_e32 v15, 29, v15
	v_and_b32_e32 v20, 7, v20
	v_cmp_eq_u16_e32 vcc, 0, v11
	v_cndmask_b32_e32 v10, v10, v20, vcc
	v_cndmask_b32_e32 v11, v14, v15, vcc
	v_lshlrev_b32_e32 v14, 8, v16
	v_mov_b32_e32 v15, 0x3b800000
	v_lshlrev_b32_e32 v10, 20, v10
	v_and_b32_e32 v14, 0x80000000, v14
	v_lshl_add_u32 v11, v11, 23, v15
	v_or3_b32 v10, v14, v11, v10
.LBB10_1364:
	s_or_b64 exec, exec, s[6:7]
	s_movk_i32 s4, 0xff
	v_and_b32_sdwa v11, v12, s4 dst_sel:DWORD dst_unused:UNUSED_PAD src0_sel:WORD_1 src1_sel:DWORD
	s_movk_i32 s4, 0x7f
	v_cmp_lt_i16_e32 vcc, s4, v11
	s_mov_b64 s[4:5], 0
                                        ; implicit-def: $sgpr10
	s_and_saveexec_b64 s[6:7], vcc
	s_xor_b64 s[6:7], exec, s[6:7]
	s_cbranch_execnz .LBB10_3413
; %bb.1365:
	s_or_saveexec_b64 s[6:7], s[6:7]
	v_mov_b32_e32 v14, s10
	s_xor_b64 exec, exec, s[6:7]
	s_cbranch_execnz .LBB10_3416
.LBB10_1366:
	s_or_b64 exec, exec, s[6:7]
	s_and_saveexec_b64 s[6:7], s[4:5]
	s_cbranch_execz .LBB10_1368
.LBB10_1367:
	v_bfe_u32 v11, v12, 16, 3
	v_ffbh_u32_e32 v20, v11
	v_min_u32_e32 v20, 32, v20
	v_lshrrev_b32_e32 v14, 19, v12
	v_subrev_u32_e32 v21, 28, v20
	v_and_b32_e32 v14, 15, v14
	v_lshlrev_b32_sdwa v21, v21, v12 dst_sel:DWORD dst_unused:UNUSED_PAD src0_sel:DWORD src1_sel:WORD_1
	v_bfe_u32 v15, v12, 19, 4
	v_sub_u32_e32 v20, 29, v20
	v_and_b32_e32 v21, 7, v21
	v_cmp_eq_u16_e32 vcc, 0, v14
	v_cndmask_b32_e32 v11, v11, v21, vcc
	v_cndmask_b32_e32 v14, v15, v20, vcc
	v_lshlrev_b32_e32 v15, 8, v12
	v_mov_b32_e32 v20, 0x3b800000
	v_lshlrev_b32_e32 v11, 20, v11
	v_and_b32_e32 v15, 0x80000000, v15
	v_lshl_add_u32 v14, v14, 23, v20
	v_or3_b32 v14, v15, v14, v11
.LBB10_1368:
	s_or_b64 exec, exec, s[6:7]
	s_nop 0
	v_mfma_f32_16x16x4f32 a[0:3], v10, v14, a[0:3]
	s_movk_i32 s4, 0x7f
	v_cmp_gt_i16_sdwa s[6:7], v16, s4 src0_sel:BYTE_3 src1_sel:DWORD
	s_mov_b64 s[4:5], 0
                                        ; implicit-def: $sgpr10
	s_and_saveexec_b64 s[8:9], s[6:7]
	s_xor_b64 s[6:7], exec, s[8:9]
	s_cbranch_execnz .LBB10_3417
; %bb.1369:
	s_or_saveexec_b64 s[6:7], s[6:7]
	v_mov_b32_e32 v10, s10
	s_xor_b64 exec, exec, s[6:7]
	s_cbranch_execnz .LBB10_3420
.LBB10_1370:
	s_or_b64 exec, exec, s[6:7]
	s_and_saveexec_b64 s[6:7], s[4:5]
	s_cbranch_execz .LBB10_1372
.LBB10_1371:
	v_bfe_u32 v10, v16, 24, 3
	v_ffbh_u32_e32 v20, v10
	v_min_u32_e32 v20, 32, v20
	v_lshrrev_b32_e32 v14, 27, v16
	v_subrev_u32_e32 v21, 28, v20
	v_and_b32_e32 v11, 0x80000000, v16
	v_and_b32_e32 v14, 15, v14
	v_bfe_u32 v15, v16, 27, 4
	v_lshlrev_b32_sdwa v16, v21, v16 dst_sel:DWORD dst_unused:UNUSED_PAD src0_sel:DWORD src1_sel:BYTE_3
	v_sub_u32_e32 v20, 29, v20
	v_and_b32_e32 v16, 7, v16
	v_cmp_eq_u16_e32 vcc, 0, v14
	v_cndmask_b32_e32 v10, v10, v16, vcc
	v_cndmask_b32_e32 v14, v15, v20, vcc
	v_mov_b32_e32 v15, 0x3b800000
	v_lshlrev_b32_e32 v10, 20, v10
	v_lshl_add_u32 v14, v14, 23, v15
	v_or3_b32 v10, v11, v14, v10
.LBB10_1372:
	s_or_b64 exec, exec, s[6:7]
	s_movk_i32 s4, 0x7f
	v_cmp_gt_i16_sdwa s[6:7], v12, s4 src0_sel:BYTE_3 src1_sel:DWORD
	s_mov_b64 s[4:5], 0
                                        ; implicit-def: $sgpr10
	s_and_saveexec_b64 s[8:9], s[6:7]
	s_xor_b64 s[6:7], exec, s[8:9]
	s_cbranch_execnz .LBB10_3421
; %bb.1373:
	s_or_saveexec_b64 s[6:7], s[6:7]
	v_mov_b32_e32 v11, s10
	s_xor_b64 exec, exec, s[6:7]
	s_cbranch_execnz .LBB10_3424
.LBB10_1374:
	s_or_b64 exec, exec, s[6:7]
	s_and_saveexec_b64 s[6:7], s[4:5]
	s_cbranch_execz .LBB10_1376
.LBB10_1375:
	v_bfe_u32 v11, v12, 24, 3
	v_ffbh_u32_e32 v20, v11
	v_min_u32_e32 v20, 32, v20
	v_lshrrev_b32_e32 v15, 27, v12
	v_subrev_u32_e32 v21, 28, v20
	v_and_b32_e32 v14, 0x80000000, v12
	v_and_b32_e32 v15, 15, v15
	v_bfe_u32 v16, v12, 27, 4
	v_lshlrev_b32_sdwa v12, v21, v12 dst_sel:DWORD dst_unused:UNUSED_PAD src0_sel:DWORD src1_sel:BYTE_3
	v_sub_u32_e32 v20, 29, v20
	v_and_b32_e32 v12, 7, v12
	v_cmp_eq_u16_e32 vcc, 0, v15
	v_cndmask_b32_e32 v11, v11, v12, vcc
	v_cndmask_b32_e32 v12, v16, v20, vcc
	v_mov_b32_e32 v15, 0x3b800000
	v_lshlrev_b32_e32 v11, 20, v11
	v_lshl_add_u32 v12, v12, 23, v15
	v_or3_b32 v11, v14, v12, v11
.LBB10_1376:
	s_or_b64 exec, exec, s[6:7]
	s_nop 0
	v_mfma_f32_16x16x4f32 a[0:3], v10, v11, a[0:3]
	s_movk_i32 s4, 0x7f
	v_cmp_gt_i16_sdwa s[6:7], v17, s4 src0_sel:BYTE_0 src1_sel:DWORD
	s_mov_b64 s[4:5], 0
                                        ; implicit-def: $sgpr10
	s_and_saveexec_b64 s[8:9], s[6:7]
	s_xor_b64 s[6:7], exec, s[8:9]
	s_cbranch_execnz .LBB10_3425
; %bb.1377:
	s_or_saveexec_b64 s[6:7], s[6:7]
	v_mov_b32_e32 v10, s10
	s_xor_b64 exec, exec, s[6:7]
	s_cbranch_execnz .LBB10_3428
.LBB10_1378:
	s_or_b64 exec, exec, s[6:7]
	s_and_saveexec_b64 s[6:7], s[4:5]
	s_cbranch_execz .LBB10_1380
.LBB10_1379:
	v_and_b32_e32 v10, 7, v17
	v_ffbh_u32_e32 v12, v10
	v_min_u32_e32 v12, 32, v12
	v_lshrrev_b16_e32 v11, 3, v17
	v_subrev_u32_e32 v14, 28, v12
	v_and_b32_e32 v11, 15, v11
	v_lshlrev_b32_e32 v14, v14, v17
	v_sub_u32_e32 v12, 29, v12
	v_and_b32_e32 v14, 7, v14
	v_cmp_eq_u16_e32 vcc, 0, v11
	v_cndmask_b32_e32 v10, v10, v14, vcc
	v_cndmask_b32_e32 v11, v11, v12, vcc
	v_lshlrev_b32_e32 v12, 24, v17
	v_mov_b32_e32 v14, 0x3b800000
	v_lshlrev_b32_e32 v10, 20, v10
	v_and_b32_e32 v12, 0x80000000, v12
	v_lshl_add_u32 v11, v11, 23, v14
	v_or3_b32 v10, v12, v11, v10
.LBB10_1380:
	s_or_b64 exec, exec, s[6:7]
	s_movk_i32 s4, 0x7f
	v_cmp_gt_i16_sdwa s[6:7], v13, s4 src0_sel:BYTE_0 src1_sel:DWORD
	s_mov_b64 s[4:5], 0
                                        ; implicit-def: $sgpr10
	s_and_saveexec_b64 s[8:9], s[6:7]
	s_xor_b64 s[6:7], exec, s[8:9]
	s_cbranch_execnz .LBB10_3429
; %bb.1381:
	s_or_saveexec_b64 s[6:7], s[6:7]
	v_mov_b32_e32 v11, s10
	s_xor_b64 exec, exec, s[6:7]
	s_cbranch_execnz .LBB10_3432
.LBB10_1382:
	s_or_b64 exec, exec, s[6:7]
	s_and_saveexec_b64 s[6:7], s[4:5]
	s_cbranch_execz .LBB10_1384
.LBB10_1383:
	v_and_b32_e32 v11, 7, v13
	v_ffbh_u32_e32 v14, v11
	v_min_u32_e32 v14, 32, v14
	v_lshrrev_b16_e32 v12, 3, v13
	v_subrev_u32_e32 v15, 28, v14
	v_and_b32_e32 v12, 15, v12
	v_lshlrev_b32_e32 v15, v15, v13
	v_sub_u32_e32 v14, 29, v14
	v_and_b32_e32 v15, 7, v15
	v_cmp_eq_u16_e32 vcc, 0, v12
	v_cndmask_b32_e32 v11, v11, v15, vcc
	v_cndmask_b32_e32 v12, v12, v14, vcc
	v_lshlrev_b32_e32 v14, 24, v13
	v_mov_b32_e32 v15, 0x3b800000
	v_lshlrev_b32_e32 v11, 20, v11
	v_and_b32_e32 v14, 0x80000000, v14
	v_lshl_add_u32 v12, v12, 23, v15
	v_or3_b32 v11, v14, v12, v11
.LBB10_1384:
	s_or_b64 exec, exec, s[6:7]
	s_nop 0
	v_mfma_f32_16x16x4f32 a[0:3], v10, v11, a[0:3]
	v_lshrrev_b32_e32 v11, 8, v17
	s_movk_i32 s4, 0x7f
	v_cmp_gt_i16_sdwa s[6:7], v11, s4 src0_sel:BYTE_0 src1_sel:DWORD
	s_mov_b64 s[4:5], 0
                                        ; implicit-def: $sgpr10
	s_and_saveexec_b64 s[8:9], s[6:7]
	s_xor_b64 s[6:7], exec, s[8:9]
	s_cbranch_execnz .LBB10_3433
; %bb.1385:
	s_or_saveexec_b64 s[6:7], s[6:7]
	v_mov_b32_e32 v10, s10
	s_xor_b64 exec, exec, s[6:7]
	s_cbranch_execnz .LBB10_3436
.LBB10_1386:
	s_or_b64 exec, exec, s[6:7]
	s_and_saveexec_b64 s[6:7], s[4:5]
	s_cbranch_execz .LBB10_1388
.LBB10_1387:
	v_bfe_u32 v10, v17, 8, 3
	v_ffbh_u32_e32 v14, v10
	v_min_u32_e32 v14, 32, v14
	v_lshrrev_b16_e32 v12, 3, v11
	v_subrev_u32_e32 v15, 28, v14
	v_and_b32_e32 v12, 15, v12
	v_lshlrev_b32_e32 v11, v15, v11
	v_sub_u32_e32 v14, 29, v14
	v_and_b32_e32 v11, 7, v11
	v_cmp_eq_u16_e32 vcc, 0, v12
	v_cndmask_b32_e32 v10, v10, v11, vcc
	v_cndmask_b32_e32 v11, v12, v14, vcc
	v_lshlrev_b32_e32 v12, 16, v17
	v_mov_b32_e32 v14, 0x3b800000
	v_lshlrev_b32_e32 v10, 20, v10
	v_and_b32_e32 v12, 0x80000000, v12
	v_lshl_add_u32 v11, v11, 23, v14
	v_or3_b32 v10, v12, v11, v10
.LBB10_1388:
	s_or_b64 exec, exec, s[6:7]
	v_lshrrev_b32_e32 v11, 8, v13
	s_movk_i32 s4, 0x7f
	v_cmp_gt_i16_sdwa s[6:7], v11, s4 src0_sel:BYTE_0 src1_sel:DWORD
	s_mov_b64 s[4:5], 0
                                        ; implicit-def: $sgpr10
	s_and_saveexec_b64 s[8:9], s[6:7]
	s_xor_b64 s[6:7], exec, s[8:9]
	s_cbranch_execnz .LBB10_3437
; %bb.1389:
	s_or_saveexec_b64 s[6:7], s[6:7]
	v_mov_b32_e32 v12, s10
	s_xor_b64 exec, exec, s[6:7]
	s_cbranch_execnz .LBB10_3440
.LBB10_1390:
	s_or_b64 exec, exec, s[6:7]
	s_and_saveexec_b64 s[6:7], s[4:5]
	s_cbranch_execz .LBB10_1392
.LBB10_1391:
	v_bfe_u32 v12, v13, 8, 3
	v_ffbh_u32_e32 v15, v12
	v_min_u32_e32 v15, 32, v15
	v_lshrrev_b16_e32 v14, 3, v11
	v_subrev_u32_e32 v16, 28, v15
	v_and_b32_e32 v14, 15, v14
	v_lshlrev_b32_e32 v11, v16, v11
	v_sub_u32_e32 v15, 29, v15
	v_and_b32_e32 v11, 7, v11
	v_cmp_eq_u16_e32 vcc, 0, v14
	v_cndmask_b32_e32 v11, v12, v11, vcc
	v_cndmask_b32_e32 v12, v14, v15, vcc
	v_lshlrev_b32_e32 v14, 16, v13
	v_mov_b32_e32 v15, 0x3b800000
	v_lshlrev_b32_e32 v11, 20, v11
	v_and_b32_e32 v14, 0x80000000, v14
	v_lshl_add_u32 v12, v12, 23, v15
	v_or3_b32 v12, v14, v12, v11
.LBB10_1392:
	s_or_b64 exec, exec, s[6:7]
	s_nop 0
	v_mfma_f32_16x16x4f32 a[0:3], v10, v12, a[0:3]
	s_movk_i32 s4, 0xff
	v_and_b32_sdwa v11, v17, s4 dst_sel:DWORD dst_unused:UNUSED_PAD src0_sel:WORD_1 src1_sel:DWORD
	s_movk_i32 s4, 0x7f
	v_cmp_lt_i16_e32 vcc, s4, v11
	s_mov_b64 s[4:5], 0
                                        ; implicit-def: $sgpr10
	s_and_saveexec_b64 s[6:7], vcc
	s_xor_b64 s[6:7], exec, s[6:7]
	s_cbranch_execnz .LBB10_3441
; %bb.1393:
	s_or_saveexec_b64 s[6:7], s[6:7]
	v_mov_b32_e32 v10, s10
	s_xor_b64 exec, exec, s[6:7]
	s_cbranch_execnz .LBB10_3444
.LBB10_1394:
	s_or_b64 exec, exec, s[6:7]
	s_and_saveexec_b64 s[6:7], s[4:5]
	s_cbranch_execz .LBB10_1396
.LBB10_1395:
	v_bfe_u32 v10, v17, 16, 3
	v_ffbh_u32_e32 v14, v10
	v_min_u32_e32 v14, 32, v14
	v_lshrrev_b32_e32 v11, 19, v17
	v_subrev_u32_e32 v15, 28, v14
	v_and_b32_e32 v11, 15, v11
	v_lshlrev_b32_sdwa v15, v15, v17 dst_sel:DWORD dst_unused:UNUSED_PAD src0_sel:DWORD src1_sel:WORD_1
	v_bfe_u32 v12, v17, 19, 4
	v_sub_u32_e32 v14, 29, v14
	v_and_b32_e32 v15, 7, v15
	v_cmp_eq_u16_e32 vcc, 0, v11
	v_cndmask_b32_e32 v10, v10, v15, vcc
	v_cndmask_b32_e32 v11, v12, v14, vcc
	v_lshlrev_b32_e32 v12, 8, v17
	v_mov_b32_e32 v14, 0x3b800000
	v_lshlrev_b32_e32 v10, 20, v10
	v_and_b32_e32 v12, 0x80000000, v12
	v_lshl_add_u32 v11, v11, 23, v14
	v_or3_b32 v10, v12, v11, v10
.LBB10_1396:
	s_or_b64 exec, exec, s[6:7]
	s_movk_i32 s4, 0xff
	v_and_b32_sdwa v11, v13, s4 dst_sel:DWORD dst_unused:UNUSED_PAD src0_sel:WORD_1 src1_sel:DWORD
	s_movk_i32 s4, 0x7f
	v_cmp_lt_i16_e32 vcc, s4, v11
	s_mov_b64 s[4:5], 0
                                        ; implicit-def: $sgpr10
	s_and_saveexec_b64 s[6:7], vcc
	s_xor_b64 s[6:7], exec, s[6:7]
	s_cbranch_execnz .LBB10_3445
; %bb.1397:
	s_or_saveexec_b64 s[6:7], s[6:7]
	v_mov_b32_e32 v12, s10
	s_xor_b64 exec, exec, s[6:7]
	s_cbranch_execnz .LBB10_3448
.LBB10_1398:
	s_or_b64 exec, exec, s[6:7]
	s_and_saveexec_b64 s[6:7], s[4:5]
	s_cbranch_execz .LBB10_1400
.LBB10_1399:
	v_bfe_u32 v11, v13, 16, 3
	v_ffbh_u32_e32 v15, v11
	v_min_u32_e32 v15, 32, v15
	v_lshrrev_b32_e32 v12, 19, v13
	v_subrev_u32_e32 v16, 28, v15
	v_and_b32_e32 v12, 15, v12
	v_lshlrev_b32_sdwa v16, v16, v13 dst_sel:DWORD dst_unused:UNUSED_PAD src0_sel:DWORD src1_sel:WORD_1
	v_bfe_u32 v14, v13, 19, 4
	v_sub_u32_e32 v15, 29, v15
	v_and_b32_e32 v16, 7, v16
	v_cmp_eq_u16_e32 vcc, 0, v12
	v_cndmask_b32_e32 v11, v11, v16, vcc
	v_cndmask_b32_e32 v12, v14, v15, vcc
	v_lshlrev_b32_e32 v14, 8, v13
	v_mov_b32_e32 v15, 0x3b800000
	v_lshlrev_b32_e32 v11, 20, v11
	v_and_b32_e32 v14, 0x80000000, v14
	v_lshl_add_u32 v12, v12, 23, v15
	v_or3_b32 v12, v14, v12, v11
.LBB10_1400:
	s_or_b64 exec, exec, s[6:7]
	s_nop 0
	v_mfma_f32_16x16x4f32 a[0:3], v10, v12, a[0:3]
	s_movk_i32 s4, 0x7f
	v_cmp_gt_i16_sdwa s[6:7], v17, s4 src0_sel:BYTE_3 src1_sel:DWORD
	s_mov_b64 s[4:5], 0
                                        ; implicit-def: $sgpr10
	s_and_saveexec_b64 s[8:9], s[6:7]
	s_xor_b64 s[6:7], exec, s[8:9]
	s_cbranch_execnz .LBB10_3449
; %bb.1401:
	s_or_saveexec_b64 s[6:7], s[6:7]
	v_mov_b32_e32 v10, s10
	s_xor_b64 exec, exec, s[6:7]
	s_cbranch_execnz .LBB10_3452
.LBB10_1402:
	s_or_b64 exec, exec, s[6:7]
	s_and_saveexec_b64 s[6:7], s[4:5]
	s_cbranch_execz .LBB10_1404
.LBB10_1403:
	v_bfe_u32 v10, v17, 24, 3
	v_ffbh_u32_e32 v15, v10
	v_min_u32_e32 v15, 32, v15
	v_lshrrev_b32_e32 v12, 27, v17
	v_subrev_u32_e32 v16, 28, v15
	v_and_b32_e32 v12, 15, v12
	v_lshlrev_b32_sdwa v16, v16, v17 dst_sel:DWORD dst_unused:UNUSED_PAD src0_sel:DWORD src1_sel:BYTE_3
	v_bfe_u32 v14, v17, 27, 4
	v_sub_u32_e32 v15, 29, v15
	v_and_b32_e32 v16, 7, v16
	v_cmp_eq_u16_e32 vcc, 0, v12
	v_cndmask_b32_e32 v10, v10, v16, vcc
	v_cndmask_b32_e32 v12, v14, v15, vcc
	v_mov_b32_e32 v14, 0x3b800000
	v_and_b32_e32 v11, 0x80000000, v17
	v_lshlrev_b32_e32 v10, 20, v10
	v_lshl_add_u32 v12, v12, 23, v14
	v_or3_b32 v10, v11, v12, v10
.LBB10_1404:
	s_or_b64 exec, exec, s[6:7]
	s_movk_i32 s4, 0x7f
	v_cmp_gt_i16_sdwa s[6:7], v13, s4 src0_sel:BYTE_3 src1_sel:DWORD
	s_mov_b64 s[4:5], 0
                                        ; implicit-def: $sgpr10
	s_and_saveexec_b64 s[8:9], s[6:7]
	s_xor_b64 s[6:7], exec, s[8:9]
	s_cbranch_execnz .LBB10_3453
; %bb.1405:
	s_or_saveexec_b64 s[6:7], s[6:7]
	v_mov_b32_e32 v11, s10
	s_xor_b64 exec, exec, s[6:7]
	s_cbranch_execnz .LBB10_3456
.LBB10_1406:
	s_or_b64 exec, exec, s[6:7]
	s_and_saveexec_b64 s[6:7], s[4:5]
	s_cbranch_execz .LBB10_1408
.LBB10_1407:
	v_bfe_u32 v11, v13, 24, 3
	v_ffbh_u32_e32 v16, v11
	v_min_u32_e32 v16, 32, v16
	v_lshrrev_b32_e32 v14, 27, v13
	v_subrev_u32_e32 v17, 28, v16
	v_and_b32_e32 v12, 0x80000000, v13
	v_and_b32_e32 v14, 15, v14
	v_bfe_u32 v15, v13, 27, 4
	v_lshlrev_b32_sdwa v13, v17, v13 dst_sel:DWORD dst_unused:UNUSED_PAD src0_sel:DWORD src1_sel:BYTE_3
	v_sub_u32_e32 v16, 29, v16
	v_and_b32_e32 v13, 7, v13
	v_cmp_eq_u16_e32 vcc, 0, v14
	v_cndmask_b32_e32 v11, v11, v13, vcc
	v_cndmask_b32_e32 v13, v15, v16, vcc
	v_mov_b32_e32 v14, 0x3b800000
	v_lshlrev_b32_e32 v11, 20, v11
	v_lshl_add_u32 v13, v13, 23, v14
	v_or3_b32 v11, v12, v13, v11
.LBB10_1408:
	s_or_b64 exec, exec, s[6:7]
	s_nop 0
	v_mfma_f32_16x16x4f32 a[0:3], v10, v11, a[0:3]
	s_movk_i32 s4, 0x7f
	v_cmp_gt_i16_sdwa s[6:7], v6, s4 src0_sel:BYTE_0 src1_sel:DWORD
	s_mov_b64 s[4:5], 0
                                        ; implicit-def: $sgpr10
	s_and_saveexec_b64 s[8:9], s[6:7]
	s_xor_b64 s[6:7], exec, s[8:9]
	s_cbranch_execnz .LBB10_3457
; %bb.1409:
	s_or_saveexec_b64 s[6:7], s[6:7]
	v_mov_b32_e32 v10, s10
	s_xor_b64 exec, exec, s[6:7]
	s_cbranch_execnz .LBB10_3460
.LBB10_1410:
	s_or_b64 exec, exec, s[6:7]
	s_and_saveexec_b64 s[6:7], s[4:5]
	s_cbranch_execz .LBB10_1412
.LBB10_1411:
	v_and_b32_e32 v10, 7, v6
	v_ffbh_u32_e32 v12, v10
	v_min_u32_e32 v12, 32, v12
	v_lshrrev_b16_e32 v11, 3, v6
	v_subrev_u32_e32 v13, 28, v12
	v_and_b32_e32 v11, 15, v11
	v_lshlrev_b32_e32 v13, v13, v6
	v_sub_u32_e32 v12, 29, v12
	v_and_b32_e32 v13, 7, v13
	v_cmp_eq_u16_e32 vcc, 0, v11
	v_cndmask_b32_e32 v10, v10, v13, vcc
	v_cndmask_b32_e32 v11, v11, v12, vcc
	v_lshlrev_b32_e32 v12, 24, v6
	v_mov_b32_e32 v13, 0x3b800000
	v_lshlrev_b32_e32 v10, 20, v10
	v_and_b32_e32 v12, 0x80000000, v12
	v_lshl_add_u32 v11, v11, 23, v13
	v_or3_b32 v10, v12, v11, v10
.LBB10_1412:
	s_or_b64 exec, exec, s[6:7]
	s_movk_i32 s4, 0x7f
	v_cmp_gt_i16_sdwa s[6:7], v2, s4 src0_sel:BYTE_0 src1_sel:DWORD
	s_mov_b64 s[4:5], 0
                                        ; implicit-def: $sgpr10
	s_and_saveexec_b64 s[8:9], s[6:7]
	s_xor_b64 s[6:7], exec, s[8:9]
	s_cbranch_execnz .LBB10_3461
; %bb.1413:
	s_or_saveexec_b64 s[6:7], s[6:7]
	v_mov_b32_e32 v11, s10
	s_xor_b64 exec, exec, s[6:7]
	s_cbranch_execnz .LBB10_3464
.LBB10_1414:
	s_or_b64 exec, exec, s[6:7]
	s_and_saveexec_b64 s[6:7], s[4:5]
	s_cbranch_execz .LBB10_1416
.LBB10_1415:
	v_and_b32_e32 v11, 7, v2
	v_ffbh_u32_e32 v13, v11
	v_min_u32_e32 v13, 32, v13
	v_lshrrev_b16_e32 v12, 3, v2
	v_subrev_u32_e32 v14, 28, v13
	v_and_b32_e32 v12, 15, v12
	v_lshlrev_b32_e32 v14, v14, v2
	v_sub_u32_e32 v13, 29, v13
	v_and_b32_e32 v14, 7, v14
	v_cmp_eq_u16_e32 vcc, 0, v12
	v_cndmask_b32_e32 v11, v11, v14, vcc
	v_cndmask_b32_e32 v12, v12, v13, vcc
	v_lshlrev_b32_e32 v13, 24, v2
	v_mov_b32_e32 v14, 0x3b800000
	v_lshlrev_b32_e32 v11, 20, v11
	v_and_b32_e32 v13, 0x80000000, v13
	v_lshl_add_u32 v12, v12, 23, v14
	v_or3_b32 v11, v13, v12, v11
.LBB10_1416:
	s_or_b64 exec, exec, s[6:7]
	s_nop 0
	v_mfma_f32_16x16x4f32 a[0:3], v10, v11, a[0:3]
	v_lshrrev_b32_e32 v11, 8, v6
	s_movk_i32 s4, 0x7f
	v_cmp_gt_i16_sdwa s[6:7], v11, s4 src0_sel:BYTE_0 src1_sel:DWORD
	s_mov_b64 s[4:5], 0
                                        ; implicit-def: $sgpr10
	s_and_saveexec_b64 s[8:9], s[6:7]
	s_xor_b64 s[6:7], exec, s[8:9]
	s_cbranch_execnz .LBB10_3465
; %bb.1417:
	s_or_saveexec_b64 s[6:7], s[6:7]
	v_mov_b32_e32 v10, s10
	s_xor_b64 exec, exec, s[6:7]
	s_cbranch_execnz .LBB10_3468
.LBB10_1418:
	s_or_b64 exec, exec, s[6:7]
	s_and_saveexec_b64 s[6:7], s[4:5]
	s_cbranch_execz .LBB10_1420
.LBB10_1419:
	v_bfe_u32 v10, v6, 8, 3
	v_ffbh_u32_e32 v13, v10
	v_min_u32_e32 v13, 32, v13
	v_lshrrev_b16_e32 v12, 3, v11
	v_subrev_u32_e32 v14, 28, v13
	v_and_b32_e32 v12, 15, v12
	v_lshlrev_b32_e32 v11, v14, v11
	v_sub_u32_e32 v13, 29, v13
	v_and_b32_e32 v11, 7, v11
	v_cmp_eq_u16_e32 vcc, 0, v12
	v_cndmask_b32_e32 v10, v10, v11, vcc
	v_cndmask_b32_e32 v11, v12, v13, vcc
	v_lshlrev_b32_e32 v12, 16, v6
	v_mov_b32_e32 v13, 0x3b800000
	v_lshlrev_b32_e32 v10, 20, v10
	v_and_b32_e32 v12, 0x80000000, v12
	v_lshl_add_u32 v11, v11, 23, v13
	v_or3_b32 v10, v12, v11, v10
.LBB10_1420:
	s_or_b64 exec, exec, s[6:7]
	v_lshrrev_b32_e32 v11, 8, v2
	s_movk_i32 s4, 0x7f
	v_cmp_gt_i16_sdwa s[6:7], v11, s4 src0_sel:BYTE_0 src1_sel:DWORD
	s_mov_b64 s[4:5], 0
                                        ; implicit-def: $sgpr10
	s_and_saveexec_b64 s[8:9], s[6:7]
	s_xor_b64 s[6:7], exec, s[8:9]
	s_cbranch_execnz .LBB10_3469
; %bb.1421:
	s_or_saveexec_b64 s[6:7], s[6:7]
	v_mov_b32_e32 v12, s10
	s_xor_b64 exec, exec, s[6:7]
	s_cbranch_execnz .LBB10_3472
.LBB10_1422:
	s_or_b64 exec, exec, s[6:7]
	s_and_saveexec_b64 s[6:7], s[4:5]
	s_cbranch_execz .LBB10_1424
.LBB10_1423:
	v_bfe_u32 v12, v2, 8, 3
	v_ffbh_u32_e32 v14, v12
	v_min_u32_e32 v14, 32, v14
	v_lshrrev_b16_e32 v13, 3, v11
	v_subrev_u32_e32 v15, 28, v14
	v_and_b32_e32 v13, 15, v13
	v_lshlrev_b32_e32 v11, v15, v11
	v_sub_u32_e32 v14, 29, v14
	v_and_b32_e32 v11, 7, v11
	v_cmp_eq_u16_e32 vcc, 0, v13
	v_cndmask_b32_e32 v11, v12, v11, vcc
	v_cndmask_b32_e32 v12, v13, v14, vcc
	v_lshlrev_b32_e32 v13, 16, v2
	v_mov_b32_e32 v14, 0x3b800000
	v_lshlrev_b32_e32 v11, 20, v11
	v_and_b32_e32 v13, 0x80000000, v13
	v_lshl_add_u32 v12, v12, 23, v14
	v_or3_b32 v12, v13, v12, v11
.LBB10_1424:
	s_or_b64 exec, exec, s[6:7]
	s_nop 0
	v_mfma_f32_16x16x4f32 a[0:3], v10, v12, a[0:3]
	s_movk_i32 s4, 0xff
	v_and_b32_sdwa v11, v6, s4 dst_sel:DWORD dst_unused:UNUSED_PAD src0_sel:WORD_1 src1_sel:DWORD
	s_movk_i32 s4, 0x7f
	v_cmp_lt_i16_e32 vcc, s4, v11
	s_mov_b64 s[4:5], 0
                                        ; implicit-def: $sgpr10
	s_and_saveexec_b64 s[6:7], vcc
	s_xor_b64 s[6:7], exec, s[6:7]
	s_cbranch_execnz .LBB10_3473
; %bb.1425:
	s_or_saveexec_b64 s[6:7], s[6:7]
	v_mov_b32_e32 v10, s10
	s_xor_b64 exec, exec, s[6:7]
	s_cbranch_execnz .LBB10_3476
.LBB10_1426:
	s_or_b64 exec, exec, s[6:7]
	s_and_saveexec_b64 s[6:7], s[4:5]
	s_cbranch_execz .LBB10_1428
.LBB10_1427:
	v_bfe_u32 v10, v6, 16, 3
	v_ffbh_u32_e32 v13, v10
	v_min_u32_e32 v13, 32, v13
	v_lshrrev_b32_e32 v11, 19, v6
	v_subrev_u32_e32 v14, 28, v13
	v_and_b32_e32 v11, 15, v11
	v_lshlrev_b32_sdwa v14, v14, v6 dst_sel:DWORD dst_unused:UNUSED_PAD src0_sel:DWORD src1_sel:WORD_1
	v_bfe_u32 v12, v6, 19, 4
	v_sub_u32_e32 v13, 29, v13
	v_and_b32_e32 v14, 7, v14
	v_cmp_eq_u16_e32 vcc, 0, v11
	v_cndmask_b32_e32 v10, v10, v14, vcc
	v_cndmask_b32_e32 v11, v12, v13, vcc
	v_lshlrev_b32_e32 v12, 8, v6
	v_mov_b32_e32 v13, 0x3b800000
	v_lshlrev_b32_e32 v10, 20, v10
	v_and_b32_e32 v12, 0x80000000, v12
	v_lshl_add_u32 v11, v11, 23, v13
	v_or3_b32 v10, v12, v11, v10
.LBB10_1428:
	s_or_b64 exec, exec, s[6:7]
	s_movk_i32 s4, 0xff
	v_and_b32_sdwa v11, v2, s4 dst_sel:DWORD dst_unused:UNUSED_PAD src0_sel:WORD_1 src1_sel:DWORD
	s_movk_i32 s4, 0x7f
	v_cmp_lt_i16_e32 vcc, s4, v11
	s_mov_b64 s[4:5], 0
                                        ; implicit-def: $sgpr10
	s_and_saveexec_b64 s[6:7], vcc
	s_xor_b64 s[6:7], exec, s[6:7]
	s_cbranch_execnz .LBB10_3477
; %bb.1429:
	s_or_saveexec_b64 s[6:7], s[6:7]
	v_mov_b32_e32 v12, s10
	s_xor_b64 exec, exec, s[6:7]
	s_cbranch_execnz .LBB10_3480
.LBB10_1430:
	s_or_b64 exec, exec, s[6:7]
	s_and_saveexec_b64 s[6:7], s[4:5]
	s_cbranch_execz .LBB10_1432
.LBB10_1431:
	v_bfe_u32 v11, v2, 16, 3
	v_ffbh_u32_e32 v14, v11
	v_min_u32_e32 v14, 32, v14
	v_lshrrev_b32_e32 v12, 19, v2
	v_subrev_u32_e32 v15, 28, v14
	v_and_b32_e32 v12, 15, v12
	v_lshlrev_b32_sdwa v15, v15, v2 dst_sel:DWORD dst_unused:UNUSED_PAD src0_sel:DWORD src1_sel:WORD_1
	v_bfe_u32 v13, v2, 19, 4
	v_sub_u32_e32 v14, 29, v14
	v_and_b32_e32 v15, 7, v15
	v_cmp_eq_u16_e32 vcc, 0, v12
	v_cndmask_b32_e32 v11, v11, v15, vcc
	v_cndmask_b32_e32 v12, v13, v14, vcc
	v_lshlrev_b32_e32 v13, 8, v2
	v_mov_b32_e32 v14, 0x3b800000
	v_lshlrev_b32_e32 v11, 20, v11
	v_and_b32_e32 v13, 0x80000000, v13
	v_lshl_add_u32 v12, v12, 23, v14
	v_or3_b32 v12, v13, v12, v11
.LBB10_1432:
	s_or_b64 exec, exec, s[6:7]
	s_nop 0
	v_mfma_f32_16x16x4f32 a[0:3], v10, v12, a[0:3]
	s_movk_i32 s4, 0x7f
	v_cmp_gt_i16_sdwa s[6:7], v6, s4 src0_sel:BYTE_3 src1_sel:DWORD
	s_mov_b64 s[4:5], 0
                                        ; implicit-def: $sgpr10
	s_and_saveexec_b64 s[8:9], s[6:7]
	s_xor_b64 s[6:7], exec, s[8:9]
	s_cbranch_execnz .LBB10_3481
; %bb.1433:
	s_or_saveexec_b64 s[6:7], s[6:7]
	v_mov_b32_e32 v10, s10
	s_xor_b64 exec, exec, s[6:7]
	s_cbranch_execnz .LBB10_3484
.LBB10_1434:
	s_or_b64 exec, exec, s[6:7]
	s_and_saveexec_b64 s[6:7], s[4:5]
	s_cbranch_execz .LBB10_1436
.LBB10_1435:
	v_bfe_u32 v10, v6, 24, 3
	v_ffbh_u32_e32 v14, v10
	v_min_u32_e32 v14, 32, v14
	v_lshrrev_b32_e32 v12, 27, v6
	v_subrev_u32_e32 v15, 28, v14
	v_and_b32_e32 v11, 0x80000000, v6
	v_and_b32_e32 v12, 15, v12
	v_bfe_u32 v13, v6, 27, 4
	v_lshlrev_b32_sdwa v6, v15, v6 dst_sel:DWORD dst_unused:UNUSED_PAD src0_sel:DWORD src1_sel:BYTE_3
	v_sub_u32_e32 v14, 29, v14
	v_and_b32_e32 v6, 7, v6
	v_cmp_eq_u16_e32 vcc, 0, v12
	v_cndmask_b32_e32 v6, v10, v6, vcc
	v_cndmask_b32_e32 v10, v13, v14, vcc
	v_mov_b32_e32 v12, 0x3b800000
	v_lshlrev_b32_e32 v6, 20, v6
	v_lshl_add_u32 v10, v10, 23, v12
	v_or3_b32 v10, v11, v10, v6
.LBB10_1436:
	s_or_b64 exec, exec, s[6:7]
	s_movk_i32 s4, 0x7f
	v_cmp_gt_i16_sdwa s[6:7], v2, s4 src0_sel:BYTE_3 src1_sel:DWORD
	s_mov_b64 s[4:5], 0
                                        ; implicit-def: $sgpr10
	s_and_saveexec_b64 s[8:9], s[6:7]
	s_xor_b64 s[6:7], exec, s[8:9]
	s_cbranch_execnz .LBB10_3485
; %bb.1437:
	s_or_saveexec_b64 s[6:7], s[6:7]
	v_mov_b32_e32 v6, s10
	s_xor_b64 exec, exec, s[6:7]
	s_cbranch_execnz .LBB10_3488
.LBB10_1438:
	s_or_b64 exec, exec, s[6:7]
	s_and_saveexec_b64 s[6:7], s[4:5]
	s_cbranch_execz .LBB10_1440
.LBB10_1439:
	v_bfe_u32 v6, v2, 24, 3
	v_ffbh_u32_e32 v14, v6
	v_min_u32_e32 v14, 32, v14
	v_lshrrev_b32_e32 v12, 27, v2
	v_subrev_u32_e32 v15, 28, v14
	v_and_b32_e32 v11, 0x80000000, v2
	v_and_b32_e32 v12, 15, v12
	v_bfe_u32 v13, v2, 27, 4
	v_lshlrev_b32_sdwa v2, v15, v2 dst_sel:DWORD dst_unused:UNUSED_PAD src0_sel:DWORD src1_sel:BYTE_3
	v_sub_u32_e32 v14, 29, v14
	v_and_b32_e32 v2, 7, v2
	v_cmp_eq_u16_e32 vcc, 0, v12
	v_cndmask_b32_e32 v2, v6, v2, vcc
	v_cndmask_b32_e32 v6, v13, v14, vcc
	v_mov_b32_e32 v12, 0x3b800000
	v_lshlrev_b32_e32 v2, 20, v2
	v_lshl_add_u32 v6, v6, 23, v12
	v_or3_b32 v6, v11, v6, v2
.LBB10_1440:
	s_or_b64 exec, exec, s[6:7]
	s_nop 0
	v_mfma_f32_16x16x4f32 a[0:3], v10, v6, a[0:3]
	s_movk_i32 s4, 0x7f
	v_cmp_gt_i16_sdwa s[6:7], v7, s4 src0_sel:BYTE_0 src1_sel:DWORD
	s_mov_b64 s[4:5], 0
                                        ; implicit-def: $sgpr10
	s_and_saveexec_b64 s[8:9], s[6:7]
	s_xor_b64 s[6:7], exec, s[8:9]
	s_cbranch_execnz .LBB10_3489
; %bb.1441:
	s_or_saveexec_b64 s[6:7], s[6:7]
	v_mov_b32_e32 v2, s10
	s_xor_b64 exec, exec, s[6:7]
	s_cbranch_execnz .LBB10_3492
.LBB10_1442:
	s_or_b64 exec, exec, s[6:7]
	s_and_saveexec_b64 s[6:7], s[4:5]
	s_cbranch_execz .LBB10_1444
.LBB10_1443:
	v_and_b32_e32 v2, 7, v7
	v_ffbh_u32_e32 v10, v2
	v_min_u32_e32 v10, 32, v10
	v_lshrrev_b16_e32 v6, 3, v7
	v_subrev_u32_e32 v11, 28, v10
	v_and_b32_e32 v6, 15, v6
	v_lshlrev_b32_e32 v11, v11, v7
	v_sub_u32_e32 v10, 29, v10
	v_and_b32_e32 v11, 7, v11
	v_cmp_eq_u16_e32 vcc, 0, v6
	v_cndmask_b32_e32 v2, v2, v11, vcc
	v_cndmask_b32_e32 v6, v6, v10, vcc
	v_lshlrev_b32_e32 v10, 24, v7
	v_mov_b32_e32 v11, 0x3b800000
	v_lshlrev_b32_e32 v2, 20, v2
	v_and_b32_e32 v10, 0x80000000, v10
	v_lshl_add_u32 v6, v6, 23, v11
	v_or3_b32 v2, v10, v6, v2
.LBB10_1444:
	s_or_b64 exec, exec, s[6:7]
	s_movk_i32 s4, 0x7f
	v_cmp_gt_i16_sdwa s[6:7], v3, s4 src0_sel:BYTE_0 src1_sel:DWORD
	s_mov_b64 s[4:5], 0
                                        ; implicit-def: $sgpr10
	s_and_saveexec_b64 s[8:9], s[6:7]
	s_xor_b64 s[6:7], exec, s[8:9]
	s_cbranch_execnz .LBB10_3493
; %bb.1445:
	s_or_saveexec_b64 s[6:7], s[6:7]
	v_mov_b32_e32 v6, s10
	s_xor_b64 exec, exec, s[6:7]
	s_cbranch_execnz .LBB10_3496
.LBB10_1446:
	s_or_b64 exec, exec, s[6:7]
	s_and_saveexec_b64 s[6:7], s[4:5]
	s_cbranch_execz .LBB10_1448
.LBB10_1447:
	v_and_b32_e32 v6, 7, v3
	v_ffbh_u32_e32 v11, v6
	v_min_u32_e32 v11, 32, v11
	v_lshrrev_b16_e32 v10, 3, v3
	v_subrev_u32_e32 v12, 28, v11
	v_and_b32_e32 v10, 15, v10
	v_lshlrev_b32_e32 v12, v12, v3
	v_sub_u32_e32 v11, 29, v11
	v_and_b32_e32 v12, 7, v12
	v_cmp_eq_u16_e32 vcc, 0, v10
	v_cndmask_b32_e32 v6, v6, v12, vcc
	v_cndmask_b32_e32 v10, v10, v11, vcc
	v_lshlrev_b32_e32 v11, 24, v3
	v_mov_b32_e32 v12, 0x3b800000
	v_lshlrev_b32_e32 v6, 20, v6
	v_and_b32_e32 v11, 0x80000000, v11
	v_lshl_add_u32 v10, v10, 23, v12
	v_or3_b32 v6, v11, v10, v6
.LBB10_1448:
	s_or_b64 exec, exec, s[6:7]
	s_nop 0
	v_mfma_f32_16x16x4f32 a[0:3], v2, v6, a[0:3]
	v_lshrrev_b32_e32 v6, 8, v7
	s_movk_i32 s4, 0x7f
	v_cmp_gt_i16_sdwa s[6:7], v6, s4 src0_sel:BYTE_0 src1_sel:DWORD
	s_mov_b64 s[4:5], 0
                                        ; implicit-def: $sgpr10
	s_and_saveexec_b64 s[8:9], s[6:7]
	s_xor_b64 s[6:7], exec, s[8:9]
	s_cbranch_execnz .LBB10_3497
; %bb.1449:
	s_or_saveexec_b64 s[6:7], s[6:7]
	v_mov_b32_e32 v2, s10
	s_xor_b64 exec, exec, s[6:7]
	s_cbranch_execnz .LBB10_3500
.LBB10_1450:
	s_or_b64 exec, exec, s[6:7]
	s_and_saveexec_b64 s[6:7], s[4:5]
	s_cbranch_execz .LBB10_1452
.LBB10_1451:
	v_bfe_u32 v2, v7, 8, 3
	v_ffbh_u32_e32 v11, v2
	v_min_u32_e32 v11, 32, v11
	v_lshrrev_b16_e32 v10, 3, v6
	v_subrev_u32_e32 v12, 28, v11
	v_and_b32_e32 v10, 15, v10
	v_lshlrev_b32_e32 v6, v12, v6
	v_sub_u32_e32 v11, 29, v11
	v_and_b32_e32 v6, 7, v6
	v_cmp_eq_u16_e32 vcc, 0, v10
	v_cndmask_b32_e32 v2, v2, v6, vcc
	v_cndmask_b32_e32 v6, v10, v11, vcc
	v_lshlrev_b32_e32 v10, 16, v7
	v_mov_b32_e32 v11, 0x3b800000
	v_lshlrev_b32_e32 v2, 20, v2
	v_and_b32_e32 v10, 0x80000000, v10
	v_lshl_add_u32 v6, v6, 23, v11
	v_or3_b32 v2, v10, v6, v2
.LBB10_1452:
	s_or_b64 exec, exec, s[6:7]
	v_lshrrev_b32_e32 v6, 8, v3
	s_movk_i32 s4, 0x7f
	v_cmp_gt_i16_sdwa s[6:7], v6, s4 src0_sel:BYTE_0 src1_sel:DWORD
	s_mov_b64 s[4:5], 0
                                        ; implicit-def: $sgpr10
	s_and_saveexec_b64 s[8:9], s[6:7]
	s_xor_b64 s[6:7], exec, s[8:9]
	s_cbranch_execnz .LBB10_3501
; %bb.1453:
	s_or_saveexec_b64 s[6:7], s[6:7]
	v_mov_b32_e32 v10, s10
	s_xor_b64 exec, exec, s[6:7]
	s_cbranch_execnz .LBB10_3504
.LBB10_1454:
	s_or_b64 exec, exec, s[6:7]
	s_and_saveexec_b64 s[6:7], s[4:5]
	s_cbranch_execz .LBB10_1456
.LBB10_1455:
	v_bfe_u32 v10, v3, 8, 3
	v_ffbh_u32_e32 v12, v10
	v_min_u32_e32 v12, 32, v12
	v_lshrrev_b16_e32 v11, 3, v6
	v_subrev_u32_e32 v13, 28, v12
	v_and_b32_e32 v11, 15, v11
	v_lshlrev_b32_e32 v6, v13, v6
	v_sub_u32_e32 v12, 29, v12
	v_and_b32_e32 v6, 7, v6
	v_cmp_eq_u16_e32 vcc, 0, v11
	v_cndmask_b32_e32 v6, v10, v6, vcc
	v_cndmask_b32_e32 v10, v11, v12, vcc
	v_lshlrev_b32_e32 v11, 16, v3
	v_mov_b32_e32 v12, 0x3b800000
	v_lshlrev_b32_e32 v6, 20, v6
	v_and_b32_e32 v11, 0x80000000, v11
	v_lshl_add_u32 v10, v10, 23, v12
	v_or3_b32 v10, v11, v10, v6
.LBB10_1456:
	s_or_b64 exec, exec, s[6:7]
	s_nop 0
	v_mfma_f32_16x16x4f32 a[0:3], v2, v10, a[0:3]
	s_movk_i32 s4, 0xff
	v_and_b32_sdwa v6, v7, s4 dst_sel:DWORD dst_unused:UNUSED_PAD src0_sel:WORD_1 src1_sel:DWORD
	s_movk_i32 s4, 0x7f
	v_cmp_lt_i16_e32 vcc, s4, v6
	s_mov_b64 s[4:5], 0
                                        ; implicit-def: $sgpr10
	s_and_saveexec_b64 s[6:7], vcc
	s_xor_b64 s[6:7], exec, s[6:7]
	s_cbranch_execnz .LBB10_3505
; %bb.1457:
	s_or_saveexec_b64 s[6:7], s[6:7]
	v_mov_b32_e32 v2, s10
	s_xor_b64 exec, exec, s[6:7]
	s_cbranch_execnz .LBB10_3508
.LBB10_1458:
	s_or_b64 exec, exec, s[6:7]
	s_and_saveexec_b64 s[6:7], s[4:5]
	s_cbranch_execz .LBB10_1460
.LBB10_1459:
	v_bfe_u32 v2, v7, 16, 3
	v_ffbh_u32_e32 v11, v2
	v_min_u32_e32 v11, 32, v11
	v_lshrrev_b32_e32 v6, 19, v7
	v_subrev_u32_e32 v12, 28, v11
	v_and_b32_e32 v6, 15, v6
	v_lshlrev_b32_sdwa v12, v12, v7 dst_sel:DWORD dst_unused:UNUSED_PAD src0_sel:DWORD src1_sel:WORD_1
	v_bfe_u32 v10, v7, 19, 4
	v_sub_u32_e32 v11, 29, v11
	v_and_b32_e32 v12, 7, v12
	v_cmp_eq_u16_e32 vcc, 0, v6
	v_cndmask_b32_e32 v2, v2, v12, vcc
	v_cndmask_b32_e32 v6, v10, v11, vcc
	v_lshlrev_b32_e32 v10, 8, v7
	v_mov_b32_e32 v11, 0x3b800000
	v_lshlrev_b32_e32 v2, 20, v2
	v_and_b32_e32 v10, 0x80000000, v10
	v_lshl_add_u32 v6, v6, 23, v11
	v_or3_b32 v2, v10, v6, v2
.LBB10_1460:
	s_or_b64 exec, exec, s[6:7]
	s_movk_i32 s4, 0xff
	v_and_b32_sdwa v6, v3, s4 dst_sel:DWORD dst_unused:UNUSED_PAD src0_sel:WORD_1 src1_sel:DWORD
	s_movk_i32 s4, 0x7f
	v_cmp_lt_i16_e32 vcc, s4, v6
	s_mov_b64 s[4:5], 0
                                        ; implicit-def: $sgpr10
	s_and_saveexec_b64 s[6:7], vcc
	s_xor_b64 s[6:7], exec, s[6:7]
	s_cbranch_execnz .LBB10_3509
; %bb.1461:
	s_or_saveexec_b64 s[6:7], s[6:7]
	v_mov_b32_e32 v10, s10
	s_xor_b64 exec, exec, s[6:7]
	s_cbranch_execnz .LBB10_3512
.LBB10_1462:
	s_or_b64 exec, exec, s[6:7]
	s_and_saveexec_b64 s[6:7], s[4:5]
	s_cbranch_execz .LBB10_1464
.LBB10_1463:
	v_bfe_u32 v6, v3, 16, 3
	v_ffbh_u32_e32 v12, v6
	v_min_u32_e32 v12, 32, v12
	v_lshrrev_b32_e32 v10, 19, v3
	v_subrev_u32_e32 v13, 28, v12
	v_and_b32_e32 v10, 15, v10
	v_lshlrev_b32_sdwa v13, v13, v3 dst_sel:DWORD dst_unused:UNUSED_PAD src0_sel:DWORD src1_sel:WORD_1
	v_bfe_u32 v11, v3, 19, 4
	v_sub_u32_e32 v12, 29, v12
	v_and_b32_e32 v13, 7, v13
	v_cmp_eq_u16_e32 vcc, 0, v10
	v_cndmask_b32_e32 v6, v6, v13, vcc
	v_cndmask_b32_e32 v10, v11, v12, vcc
	v_lshlrev_b32_e32 v11, 8, v3
	v_mov_b32_e32 v12, 0x3b800000
	v_lshlrev_b32_e32 v6, 20, v6
	v_and_b32_e32 v11, 0x80000000, v11
	v_lshl_add_u32 v10, v10, 23, v12
	v_or3_b32 v10, v11, v10, v6
.LBB10_1464:
	s_or_b64 exec, exec, s[6:7]
	s_nop 0
	v_mfma_f32_16x16x4f32 a[0:3], v2, v10, a[0:3]
	s_movk_i32 s4, 0x7f
	v_cmp_gt_i16_sdwa s[6:7], v7, s4 src0_sel:BYTE_3 src1_sel:DWORD
	s_mov_b64 s[4:5], 0
                                        ; implicit-def: $sgpr10
	s_and_saveexec_b64 s[8:9], s[6:7]
	s_xor_b64 s[6:7], exec, s[8:9]
	s_cbranch_execnz .LBB10_3513
; %bb.1465:
	s_or_saveexec_b64 s[6:7], s[6:7]
	v_mov_b32_e32 v2, s10
	s_xor_b64 exec, exec, s[6:7]
	s_cbranch_execnz .LBB10_3516
.LBB10_1466:
	s_or_b64 exec, exec, s[6:7]
	s_and_saveexec_b64 s[6:7], s[4:5]
	s_cbranch_execz .LBB10_1468
.LBB10_1467:
	v_bfe_u32 v2, v7, 24, 3
	v_ffbh_u32_e32 v12, v2
	v_min_u32_e32 v12, 32, v12
	v_lshrrev_b32_e32 v10, 27, v7
	v_subrev_u32_e32 v13, 28, v12
	v_and_b32_e32 v6, 0x80000000, v7
	v_and_b32_e32 v10, 15, v10
	v_bfe_u32 v11, v7, 27, 4
	v_lshlrev_b32_sdwa v7, v13, v7 dst_sel:DWORD dst_unused:UNUSED_PAD src0_sel:DWORD src1_sel:BYTE_3
	v_sub_u32_e32 v12, 29, v12
	v_and_b32_e32 v7, 7, v7
	v_cmp_eq_u16_e32 vcc, 0, v10
	v_cndmask_b32_e32 v2, v2, v7, vcc
	v_cndmask_b32_e32 v7, v11, v12, vcc
	v_mov_b32_e32 v10, 0x3b800000
	v_lshlrev_b32_e32 v2, 20, v2
	v_lshl_add_u32 v7, v7, 23, v10
	v_or3_b32 v2, v6, v7, v2
.LBB10_1468:
	s_or_b64 exec, exec, s[6:7]
	s_movk_i32 s4, 0x7f
	v_cmp_gt_i16_sdwa s[6:7], v3, s4 src0_sel:BYTE_3 src1_sel:DWORD
	s_mov_b64 s[4:5], 0
                                        ; implicit-def: $sgpr10
	s_and_saveexec_b64 s[8:9], s[6:7]
	s_xor_b64 s[6:7], exec, s[8:9]
	s_cbranch_execnz .LBB10_3517
; %bb.1469:
	s_or_saveexec_b64 s[6:7], s[6:7]
	v_mov_b32_e32 v6, s10
	s_xor_b64 exec, exec, s[6:7]
	s_cbranch_execnz .LBB10_3520
.LBB10_1470:
	s_or_b64 exec, exec, s[6:7]
	s_and_saveexec_b64 s[6:7], s[4:5]
	s_cbranch_execz .LBB10_1472
.LBB10_1471:
	v_bfe_u32 v6, v3, 24, 3
	v_ffbh_u32_e32 v12, v6
	v_min_u32_e32 v12, 32, v12
	v_lshrrev_b32_e32 v10, 27, v3
	v_subrev_u32_e32 v13, 28, v12
	v_and_b32_e32 v7, 0x80000000, v3
	v_and_b32_e32 v10, 15, v10
	v_bfe_u32 v11, v3, 27, 4
	v_lshlrev_b32_sdwa v3, v13, v3 dst_sel:DWORD dst_unused:UNUSED_PAD src0_sel:DWORD src1_sel:BYTE_3
	v_sub_u32_e32 v12, 29, v12
	v_and_b32_e32 v3, 7, v3
	v_cmp_eq_u16_e32 vcc, 0, v10
	v_cndmask_b32_e32 v3, v6, v3, vcc
	v_cndmask_b32_e32 v6, v11, v12, vcc
	v_mov_b32_e32 v10, 0x3b800000
	v_lshlrev_b32_e32 v3, 20, v3
	v_lshl_add_u32 v6, v6, 23, v10
	v_or3_b32 v6, v7, v6, v3
.LBB10_1472:
	s_or_b64 exec, exec, s[6:7]
	s_nop 0
	v_mfma_f32_16x16x4f32 a[0:3], v2, v6, a[0:3]
	s_movk_i32 s4, 0x7f
	v_cmp_gt_i16_sdwa s[6:7], v8, s4 src0_sel:BYTE_0 src1_sel:DWORD
	s_mov_b64 s[4:5], 0
                                        ; implicit-def: $sgpr10
	s_and_saveexec_b64 s[8:9], s[6:7]
	s_xor_b64 s[6:7], exec, s[8:9]
	s_cbranch_execnz .LBB10_3521
; %bb.1473:
	s_or_saveexec_b64 s[6:7], s[6:7]
	v_mov_b32_e32 v2, s10
	s_xor_b64 exec, exec, s[6:7]
	s_cbranch_execnz .LBB10_3524
.LBB10_1474:
	s_or_b64 exec, exec, s[6:7]
	s_and_saveexec_b64 s[6:7], s[4:5]
	s_cbranch_execz .LBB10_1476
.LBB10_1475:
	v_and_b32_e32 v2, 7, v8
	v_ffbh_u32_e32 v6, v2
	v_min_u32_e32 v6, 32, v6
	v_lshrrev_b16_e32 v3, 3, v8
	v_subrev_u32_e32 v7, 28, v6
	v_and_b32_e32 v3, 15, v3
	v_lshlrev_b32_e32 v7, v7, v8
	v_sub_u32_e32 v6, 29, v6
	v_and_b32_e32 v7, 7, v7
	v_cmp_eq_u16_e32 vcc, 0, v3
	v_cndmask_b32_e32 v2, v2, v7, vcc
	v_cndmask_b32_e32 v3, v3, v6, vcc
	v_lshlrev_b32_e32 v6, 24, v8
	v_mov_b32_e32 v7, 0x3b800000
	v_lshlrev_b32_e32 v2, 20, v2
	v_and_b32_e32 v6, 0x80000000, v6
	v_lshl_add_u32 v3, v3, 23, v7
	v_or3_b32 v2, v6, v3, v2
.LBB10_1476:
	s_or_b64 exec, exec, s[6:7]
	s_movk_i32 s4, 0x7f
	v_cmp_gt_i16_sdwa s[6:7], v4, s4 src0_sel:BYTE_0 src1_sel:DWORD
	s_mov_b64 s[4:5], 0
                                        ; implicit-def: $sgpr10
	s_and_saveexec_b64 s[8:9], s[6:7]
	s_xor_b64 s[6:7], exec, s[8:9]
	s_cbranch_execnz .LBB10_3525
; %bb.1477:
	s_or_saveexec_b64 s[6:7], s[6:7]
	v_mov_b32_e32 v3, s10
	s_xor_b64 exec, exec, s[6:7]
	s_cbranch_execnz .LBB10_3528
.LBB10_1478:
	s_or_b64 exec, exec, s[6:7]
	s_and_saveexec_b64 s[6:7], s[4:5]
	s_cbranch_execz .LBB10_1480
.LBB10_1479:
	v_and_b32_e32 v3, 7, v4
	v_ffbh_u32_e32 v7, v3
	v_min_u32_e32 v7, 32, v7
	v_lshrrev_b16_e32 v6, 3, v4
	v_subrev_u32_e32 v10, 28, v7
	v_and_b32_e32 v6, 15, v6
	v_lshlrev_b32_e32 v10, v10, v4
	v_sub_u32_e32 v7, 29, v7
	v_and_b32_e32 v10, 7, v10
	v_cmp_eq_u16_e32 vcc, 0, v6
	v_cndmask_b32_e32 v3, v3, v10, vcc
	v_cndmask_b32_e32 v6, v6, v7, vcc
	v_lshlrev_b32_e32 v7, 24, v4
	v_mov_b32_e32 v10, 0x3b800000
	v_lshlrev_b32_e32 v3, 20, v3
	v_and_b32_e32 v7, 0x80000000, v7
	v_lshl_add_u32 v6, v6, 23, v10
	v_or3_b32 v3, v7, v6, v3
.LBB10_1480:
	s_or_b64 exec, exec, s[6:7]
	s_nop 0
	v_mfma_f32_16x16x4f32 a[0:3], v2, v3, a[0:3]
	v_lshrrev_b32_e32 v3, 8, v8
	s_movk_i32 s4, 0x7f
	v_cmp_gt_i16_sdwa s[6:7], v3, s4 src0_sel:BYTE_0 src1_sel:DWORD
	s_mov_b64 s[4:5], 0
                                        ; implicit-def: $sgpr10
	s_and_saveexec_b64 s[8:9], s[6:7]
	s_xor_b64 s[6:7], exec, s[8:9]
	s_cbranch_execnz .LBB10_3529
; %bb.1481:
	s_or_saveexec_b64 s[6:7], s[6:7]
	v_mov_b32_e32 v2, s10
	s_xor_b64 exec, exec, s[6:7]
	s_cbranch_execnz .LBB10_3532
.LBB10_1482:
	s_or_b64 exec, exec, s[6:7]
	s_and_saveexec_b64 s[6:7], s[4:5]
	s_cbranch_execz .LBB10_1484
.LBB10_1483:
	v_bfe_u32 v2, v8, 8, 3
	v_ffbh_u32_e32 v7, v2
	v_min_u32_e32 v7, 32, v7
	v_lshrrev_b16_e32 v6, 3, v3
	v_subrev_u32_e32 v10, 28, v7
	v_and_b32_e32 v6, 15, v6
	v_lshlrev_b32_e32 v3, v10, v3
	v_sub_u32_e32 v7, 29, v7
	v_and_b32_e32 v3, 7, v3
	v_cmp_eq_u16_e32 vcc, 0, v6
	v_cndmask_b32_e32 v2, v2, v3, vcc
	v_cndmask_b32_e32 v3, v6, v7, vcc
	v_lshlrev_b32_e32 v6, 16, v8
	v_mov_b32_e32 v7, 0x3b800000
	v_lshlrev_b32_e32 v2, 20, v2
	v_and_b32_e32 v6, 0x80000000, v6
	v_lshl_add_u32 v3, v3, 23, v7
	v_or3_b32 v2, v6, v3, v2
.LBB10_1484:
	s_or_b64 exec, exec, s[6:7]
	v_lshrrev_b32_e32 v3, 8, v4
	s_movk_i32 s4, 0x7f
	v_cmp_gt_i16_sdwa s[6:7], v3, s4 src0_sel:BYTE_0 src1_sel:DWORD
	s_mov_b64 s[4:5], 0
                                        ; implicit-def: $sgpr10
	s_and_saveexec_b64 s[8:9], s[6:7]
	s_xor_b64 s[6:7], exec, s[8:9]
	s_cbranch_execnz .LBB10_3533
; %bb.1485:
	s_or_saveexec_b64 s[6:7], s[6:7]
	v_mov_b32_e32 v6, s10
	s_xor_b64 exec, exec, s[6:7]
	s_cbranch_execnz .LBB10_3536
.LBB10_1486:
	s_or_b64 exec, exec, s[6:7]
	s_and_saveexec_b64 s[6:7], s[4:5]
	s_cbranch_execz .LBB10_1488
.LBB10_1487:
	v_bfe_u32 v6, v4, 8, 3
	v_ffbh_u32_e32 v10, v6
	v_min_u32_e32 v10, 32, v10
	v_lshrrev_b16_e32 v7, 3, v3
	v_subrev_u32_e32 v11, 28, v10
	v_and_b32_e32 v7, 15, v7
	v_lshlrev_b32_e32 v3, v11, v3
	v_sub_u32_e32 v10, 29, v10
	v_and_b32_e32 v3, 7, v3
	v_cmp_eq_u16_e32 vcc, 0, v7
	v_cndmask_b32_e32 v3, v6, v3, vcc
	v_cndmask_b32_e32 v6, v7, v10, vcc
	v_lshlrev_b32_e32 v7, 16, v4
	v_mov_b32_e32 v10, 0x3b800000
	v_lshlrev_b32_e32 v3, 20, v3
	v_and_b32_e32 v7, 0x80000000, v7
	v_lshl_add_u32 v6, v6, 23, v10
	v_or3_b32 v6, v7, v6, v3
.LBB10_1488:
	s_or_b64 exec, exec, s[6:7]
	s_nop 0
	v_mfma_f32_16x16x4f32 a[0:3], v2, v6, a[0:3]
	s_movk_i32 s4, 0xff
	v_and_b32_sdwa v3, v8, s4 dst_sel:DWORD dst_unused:UNUSED_PAD src0_sel:WORD_1 src1_sel:DWORD
	s_movk_i32 s4, 0x7f
	v_cmp_lt_i16_e32 vcc, s4, v3
	s_mov_b64 s[4:5], 0
                                        ; implicit-def: $sgpr10
	s_and_saveexec_b64 s[6:7], vcc
	s_xor_b64 s[6:7], exec, s[6:7]
	s_cbranch_execnz .LBB10_3537
; %bb.1489:
	s_or_saveexec_b64 s[6:7], s[6:7]
	v_mov_b32_e32 v2, s10
	s_xor_b64 exec, exec, s[6:7]
	s_cbranch_execnz .LBB10_3540
.LBB10_1490:
	s_or_b64 exec, exec, s[6:7]
	s_and_saveexec_b64 s[6:7], s[4:5]
	s_cbranch_execz .LBB10_1492
.LBB10_1491:
	v_bfe_u32 v2, v8, 16, 3
	v_ffbh_u32_e32 v7, v2
	v_min_u32_e32 v7, 32, v7
	v_lshrrev_b32_e32 v3, 19, v8
	v_subrev_u32_e32 v10, 28, v7
	v_and_b32_e32 v3, 15, v3
	v_lshlrev_b32_sdwa v10, v10, v8 dst_sel:DWORD dst_unused:UNUSED_PAD src0_sel:DWORD src1_sel:WORD_1
	v_bfe_u32 v6, v8, 19, 4
	v_sub_u32_e32 v7, 29, v7
	v_and_b32_e32 v10, 7, v10
	v_cmp_eq_u16_e32 vcc, 0, v3
	v_cndmask_b32_e32 v2, v2, v10, vcc
	v_cndmask_b32_e32 v3, v6, v7, vcc
	v_lshlrev_b32_e32 v6, 8, v8
	v_mov_b32_e32 v7, 0x3b800000
	v_lshlrev_b32_e32 v2, 20, v2
	v_and_b32_e32 v6, 0x80000000, v6
	v_lshl_add_u32 v3, v3, 23, v7
	v_or3_b32 v2, v6, v3, v2
.LBB10_1492:
	s_or_b64 exec, exec, s[6:7]
	s_movk_i32 s4, 0xff
	v_and_b32_sdwa v3, v4, s4 dst_sel:DWORD dst_unused:UNUSED_PAD src0_sel:WORD_1 src1_sel:DWORD
	s_movk_i32 s4, 0x7f
	v_cmp_lt_i16_e32 vcc, s4, v3
	s_mov_b64 s[4:5], 0
                                        ; implicit-def: $sgpr10
	s_and_saveexec_b64 s[6:7], vcc
	s_xor_b64 s[6:7], exec, s[6:7]
	s_cbranch_execnz .LBB10_3541
; %bb.1493:
	s_or_saveexec_b64 s[6:7], s[6:7]
	v_mov_b32_e32 v6, s10
	s_xor_b64 exec, exec, s[6:7]
	s_cbranch_execnz .LBB10_3544
.LBB10_1494:
	s_or_b64 exec, exec, s[6:7]
	s_and_saveexec_b64 s[6:7], s[4:5]
	s_cbranch_execz .LBB10_1496
.LBB10_1495:
	v_bfe_u32 v3, v4, 16, 3
	v_ffbh_u32_e32 v10, v3
	v_min_u32_e32 v10, 32, v10
	v_lshrrev_b32_e32 v6, 19, v4
	v_subrev_u32_e32 v11, 28, v10
	v_and_b32_e32 v6, 15, v6
	v_lshlrev_b32_sdwa v11, v11, v4 dst_sel:DWORD dst_unused:UNUSED_PAD src0_sel:DWORD src1_sel:WORD_1
	v_bfe_u32 v7, v4, 19, 4
	v_sub_u32_e32 v10, 29, v10
	v_and_b32_e32 v11, 7, v11
	v_cmp_eq_u16_e32 vcc, 0, v6
	v_cndmask_b32_e32 v3, v3, v11, vcc
	v_cndmask_b32_e32 v6, v7, v10, vcc
	v_lshlrev_b32_e32 v7, 8, v4
	v_mov_b32_e32 v10, 0x3b800000
	v_lshlrev_b32_e32 v3, 20, v3
	v_and_b32_e32 v7, 0x80000000, v7
	v_lshl_add_u32 v6, v6, 23, v10
	v_or3_b32 v6, v7, v6, v3
.LBB10_1496:
	s_or_b64 exec, exec, s[6:7]
	s_nop 0
	v_mfma_f32_16x16x4f32 a[0:3], v2, v6, a[0:3]
	s_movk_i32 s4, 0x7f
	v_cmp_gt_i16_sdwa s[6:7], v8, s4 src0_sel:BYTE_3 src1_sel:DWORD
	s_mov_b64 s[4:5], 0
                                        ; implicit-def: $sgpr10
	s_and_saveexec_b64 s[8:9], s[6:7]
	s_xor_b64 s[6:7], exec, s[8:9]
	s_cbranch_execnz .LBB10_3545
; %bb.1497:
	s_or_saveexec_b64 s[6:7], s[6:7]
	v_mov_b32_e32 v2, s10
	s_xor_b64 exec, exec, s[6:7]
	s_cbranch_execnz .LBB10_3548
.LBB10_1498:
	s_or_b64 exec, exec, s[6:7]
	s_and_saveexec_b64 s[6:7], s[4:5]
	s_cbranch_execz .LBB10_1500
.LBB10_1499:
	v_bfe_u32 v2, v8, 24, 3
	v_ffbh_u32_e32 v10, v2
	v_min_u32_e32 v10, 32, v10
	v_lshrrev_b32_e32 v6, 27, v8
	v_subrev_u32_e32 v11, 28, v10
	v_and_b32_e32 v3, 0x80000000, v8
	v_and_b32_e32 v6, 15, v6
	v_bfe_u32 v7, v8, 27, 4
	v_lshlrev_b32_sdwa v8, v11, v8 dst_sel:DWORD dst_unused:UNUSED_PAD src0_sel:DWORD src1_sel:BYTE_3
	v_sub_u32_e32 v10, 29, v10
	v_and_b32_e32 v8, 7, v8
	v_cmp_eq_u16_e32 vcc, 0, v6
	v_cndmask_b32_e32 v2, v2, v8, vcc
	v_cndmask_b32_e32 v6, v7, v10, vcc
	v_mov_b32_e32 v7, 0x3b800000
	v_lshlrev_b32_e32 v2, 20, v2
	v_lshl_add_u32 v6, v6, 23, v7
	v_or3_b32 v2, v3, v6, v2
.LBB10_1500:
	s_or_b64 exec, exec, s[6:7]
	s_movk_i32 s4, 0x7f
	v_cmp_gt_i16_sdwa s[6:7], v4, s4 src0_sel:BYTE_3 src1_sel:DWORD
	s_mov_b64 s[4:5], 0
                                        ; implicit-def: $sgpr10
	s_and_saveexec_b64 s[8:9], s[6:7]
	s_xor_b64 s[6:7], exec, s[8:9]
	s_cbranch_execnz .LBB10_3549
; %bb.1501:
	s_or_saveexec_b64 s[6:7], s[6:7]
	v_mov_b32_e32 v3, s10
	s_xor_b64 exec, exec, s[6:7]
	s_cbranch_execnz .LBB10_3552
.LBB10_1502:
	s_or_b64 exec, exec, s[6:7]
	s_and_saveexec_b64 s[6:7], s[4:5]
	s_cbranch_execz .LBB10_1504
.LBB10_1503:
	v_bfe_u32 v3, v4, 24, 3
	v_ffbh_u32_e32 v10, v3
	v_min_u32_e32 v10, 32, v10
	v_lshrrev_b32_e32 v7, 27, v4
	v_subrev_u32_e32 v11, 28, v10
	v_and_b32_e32 v6, 0x80000000, v4
	v_and_b32_e32 v7, 15, v7
	v_bfe_u32 v8, v4, 27, 4
	v_lshlrev_b32_sdwa v4, v11, v4 dst_sel:DWORD dst_unused:UNUSED_PAD src0_sel:DWORD src1_sel:BYTE_3
	v_sub_u32_e32 v10, 29, v10
	v_and_b32_e32 v4, 7, v4
	v_cmp_eq_u16_e32 vcc, 0, v7
	v_cndmask_b32_e32 v3, v3, v4, vcc
	v_cndmask_b32_e32 v4, v8, v10, vcc
	v_mov_b32_e32 v7, 0x3b800000
	v_lshlrev_b32_e32 v3, 20, v3
	v_lshl_add_u32 v4, v4, 23, v7
	v_or3_b32 v3, v6, v4, v3
.LBB10_1504:
	s_or_b64 exec, exec, s[6:7]
	s_nop 0
	v_mfma_f32_16x16x4f32 a[0:3], v2, v3, a[0:3]
	s_movk_i32 s4, 0x7f
	v_cmp_gt_i16_sdwa s[6:7], v9, s4 src0_sel:BYTE_0 src1_sel:DWORD
	s_mov_b64 s[4:5], 0
                                        ; implicit-def: $sgpr10
	s_and_saveexec_b64 s[8:9], s[6:7]
	s_xor_b64 s[6:7], exec, s[8:9]
	s_cbranch_execnz .LBB10_3553
; %bb.1505:
	s_or_saveexec_b64 s[6:7], s[6:7]
	v_mov_b32_e32 v2, s10
	s_xor_b64 exec, exec, s[6:7]
	s_cbranch_execnz .LBB10_3556
.LBB10_1506:
	s_or_b64 exec, exec, s[6:7]
	s_and_saveexec_b64 s[6:7], s[4:5]
	s_cbranch_execz .LBB10_1508
.LBB10_1507:
	v_mov_b32_e32 v2, 8
	v_and_b32_e32 v3, 7, v9
	v_lshrrev_b32_sdwa v2, v2, v9 dst_sel:BYTE_1 dst_unused:UNUSED_PAD src0_sel:DWORD src1_sel:DWORD
	v_ffbh_u32_e32 v4, v3
	v_or_b32_sdwa v2, v9, v2 dst_sel:DWORD dst_unused:UNUSED_PAD src0_sel:BYTE_0 src1_sel:DWORD
	v_min_u32_e32 v4, 32, v4
	v_lshrrev_b16_e32 v2, 3, v2
	v_subrev_u32_e32 v6, 28, v4
	v_and_b32_e32 v2, 15, v2
	v_lshlrev_b32_e32 v6, v6, v9
	v_sub_u32_e32 v4, 29, v4
	v_and_b32_e32 v6, 7, v6
	v_cmp_eq_u16_e32 vcc, 0, v2
	v_cndmask_b32_e32 v3, v3, v6, vcc
	v_cndmask_b32_e32 v2, v2, v4, vcc
	v_lshlrev_b32_e32 v4, 24, v9
	v_mov_b32_e32 v6, 0x3b800000
	v_lshlrev_b32_e32 v3, 20, v3
	v_and_b32_e32 v4, 0x80000000, v4
	v_lshl_add_u32 v2, v2, 23, v6
	v_or3_b32 v2, v4, v2, v3
.LBB10_1508:
	s_or_b64 exec, exec, s[6:7]
	s_movk_i32 s4, 0x7f
	v_cmp_gt_i16_sdwa s[6:7], v5, s4 src0_sel:BYTE_0 src1_sel:DWORD
	s_mov_b64 s[4:5], 0
                                        ; implicit-def: $sgpr10
	s_and_saveexec_b64 s[8:9], s[6:7]
	s_xor_b64 s[6:7], exec, s[8:9]
	s_cbranch_execnz .LBB10_3557
; %bb.1509:
	s_or_saveexec_b64 s[6:7], s[6:7]
	v_mov_b32_e32 v3, s10
	s_xor_b64 exec, exec, s[6:7]
	s_cbranch_execnz .LBB10_3560
.LBB10_1510:
	s_or_b64 exec, exec, s[6:7]
	s_and_saveexec_b64 s[6:7], s[4:5]
	s_cbranch_execz .LBB10_1512
.LBB10_1511:
	v_mov_b32_e32 v3, 8
	v_and_b32_e32 v4, 7, v5
	v_lshrrev_b32_sdwa v3, v3, v5 dst_sel:BYTE_1 dst_unused:UNUSED_PAD src0_sel:DWORD src1_sel:DWORD
	v_ffbh_u32_e32 v6, v4
	v_or_b32_sdwa v3, v5, v3 dst_sel:DWORD dst_unused:UNUSED_PAD src0_sel:BYTE_0 src1_sel:DWORD
	v_min_u32_e32 v6, 32, v6
	v_lshrrev_b16_e32 v3, 3, v3
	v_subrev_u32_e32 v7, 28, v6
	v_and_b32_e32 v3, 15, v3
	v_lshlrev_b32_e32 v7, v7, v5
	v_sub_u32_e32 v6, 29, v6
	v_and_b32_e32 v7, 7, v7
	v_cmp_eq_u16_e32 vcc, 0, v3
	v_cndmask_b32_e32 v4, v4, v7, vcc
	v_cndmask_b32_e32 v3, v3, v6, vcc
	v_lshlrev_b32_e32 v6, 24, v5
	v_mov_b32_e32 v7, 0x3b800000
	v_lshlrev_b32_e32 v4, 20, v4
	v_and_b32_e32 v6, 0x80000000, v6
	v_lshl_add_u32 v3, v3, 23, v7
	v_or3_b32 v3, v6, v3, v4
.LBB10_1512:
	s_or_b64 exec, exec, s[6:7]
	s_nop 0
	v_mfma_f32_16x16x4f32 a[0:3], v2, v3, a[0:3]
	v_lshrrev_b32_e32 v3, 8, v9
	s_movk_i32 s4, 0x7f
	v_cmp_gt_i16_sdwa s[6:7], v3, s4 src0_sel:BYTE_0 src1_sel:DWORD
	s_mov_b64 s[4:5], 0
                                        ; implicit-def: $sgpr10
	s_and_saveexec_b64 s[8:9], s[6:7]
	s_xor_b64 s[6:7], exec, s[8:9]
	s_cbranch_execnz .LBB10_3561
; %bb.1513:
	s_or_saveexec_b64 s[6:7], s[6:7]
	v_mov_b32_e32 v2, s10
	s_xor_b64 exec, exec, s[6:7]
	s_cbranch_execnz .LBB10_3564
.LBB10_1514:
	s_or_b64 exec, exec, s[6:7]
	s_and_saveexec_b64 s[6:7], s[4:5]
	s_cbranch_execz .LBB10_1516
.LBB10_1515:
	v_bfe_u32 v2, v9, 8, 3
	v_ffbh_u32_e32 v6, v2
	v_min_u32_e32 v6, 32, v6
	v_lshrrev_b16_e32 v4, 3, v3
	v_subrev_u32_e32 v7, 28, v6
	v_and_b32_e32 v4, 15, v4
	v_lshlrev_b32_e32 v3, v7, v3
	v_sub_u32_e32 v6, 29, v6
	v_and_b32_e32 v3, 7, v3
	v_cmp_eq_u16_e32 vcc, 0, v4
	v_cndmask_b32_e32 v2, v2, v3, vcc
	v_cndmask_b32_e32 v3, v4, v6, vcc
	v_lshlrev_b32_e32 v4, 16, v9
	v_mov_b32_e32 v6, 0x3b800000
	v_lshlrev_b32_e32 v2, 20, v2
	v_and_b32_e32 v4, 0x80000000, v4
	v_lshl_add_u32 v3, v3, 23, v6
	v_or3_b32 v2, v4, v3, v2
.LBB10_1516:
	s_or_b64 exec, exec, s[6:7]
	v_lshrrev_b32_e32 v3, 8, v5
	s_movk_i32 s4, 0x7f
	v_cmp_gt_i16_sdwa s[6:7], v3, s4 src0_sel:BYTE_0 src1_sel:DWORD
	s_mov_b64 s[4:5], 0
                                        ; implicit-def: $sgpr10
	s_and_saveexec_b64 s[8:9], s[6:7]
	s_xor_b64 s[6:7], exec, s[8:9]
	s_cbranch_execnz .LBB10_3565
; %bb.1517:
	s_or_saveexec_b64 s[6:7], s[6:7]
	v_mov_b32_e32 v4, s10
	s_xor_b64 exec, exec, s[6:7]
	s_cbranch_execnz .LBB10_3568
.LBB10_1518:
	s_or_b64 exec, exec, s[6:7]
	s_and_saveexec_b64 s[6:7], s[4:5]
	s_cbranch_execz .LBB10_1520
.LBB10_1519:
	v_bfe_u32 v4, v5, 8, 3
	v_ffbh_u32_e32 v7, v4
	v_min_u32_e32 v7, 32, v7
	v_lshrrev_b16_e32 v6, 3, v3
	v_subrev_u32_e32 v8, 28, v7
	v_and_b32_e32 v6, 15, v6
	v_lshlrev_b32_e32 v3, v8, v3
	v_sub_u32_e32 v7, 29, v7
	v_and_b32_e32 v3, 7, v3
	v_cmp_eq_u16_e32 vcc, 0, v6
	v_cndmask_b32_e32 v3, v4, v3, vcc
	v_cndmask_b32_e32 v4, v6, v7, vcc
	v_lshlrev_b32_e32 v6, 16, v5
	v_mov_b32_e32 v7, 0x3b800000
	v_lshlrev_b32_e32 v3, 20, v3
	v_and_b32_e32 v6, 0x80000000, v6
	v_lshl_add_u32 v4, v4, 23, v7
	v_or3_b32 v4, v6, v4, v3
.LBB10_1520:
	s_or_b64 exec, exec, s[6:7]
	s_nop 0
	v_mfma_f32_16x16x4f32 a[0:3], v2, v4, a[0:3]
	s_movk_i32 s4, 0xff
	v_and_b32_sdwa v3, v9, s4 dst_sel:DWORD dst_unused:UNUSED_PAD src0_sel:WORD_1 src1_sel:DWORD
	s_movk_i32 s4, 0x7f
	v_cmp_lt_i16_e32 vcc, s4, v3
	s_mov_b64 s[4:5], 0
                                        ; implicit-def: $sgpr10
	s_and_saveexec_b64 s[6:7], vcc
	s_xor_b64 s[6:7], exec, s[6:7]
	s_cbranch_execnz .LBB10_3569
; %bb.1521:
	s_or_saveexec_b64 s[6:7], s[6:7]
	v_mov_b32_e32 v2, s10
	s_xor_b64 exec, exec, s[6:7]
	s_cbranch_execnz .LBB10_3572
.LBB10_1522:
	s_or_b64 exec, exec, s[6:7]
	s_and_saveexec_b64 s[6:7], s[4:5]
	s_cbranch_execz .LBB10_1524
.LBB10_1523:
	v_bfe_u32 v2, v9, 16, 3
	v_ffbh_u32_e32 v6, v2
	v_min_u32_e32 v6, 32, v6
	v_lshrrev_b32_e32 v3, 19, v9
	v_subrev_u32_e32 v7, 28, v6
	v_and_b32_e32 v3, 15, v3
	v_lshlrev_b32_sdwa v7, v7, v9 dst_sel:DWORD dst_unused:UNUSED_PAD src0_sel:DWORD src1_sel:WORD_1
	v_bfe_u32 v4, v9, 19, 4
	v_sub_u32_e32 v6, 29, v6
	v_and_b32_e32 v7, 7, v7
	v_cmp_eq_u16_e32 vcc, 0, v3
	v_cndmask_b32_e32 v2, v2, v7, vcc
	v_cndmask_b32_e32 v3, v4, v6, vcc
	v_lshlrev_b32_e32 v4, 8, v9
	v_mov_b32_e32 v6, 0x3b800000
	v_lshlrev_b32_e32 v2, 20, v2
	v_and_b32_e32 v4, 0x80000000, v4
	v_lshl_add_u32 v3, v3, 23, v6
	v_or3_b32 v2, v4, v3, v2
.LBB10_1524:
	s_or_b64 exec, exec, s[6:7]
	s_movk_i32 s4, 0xff
	v_and_b32_sdwa v3, v5, s4 dst_sel:DWORD dst_unused:UNUSED_PAD src0_sel:WORD_1 src1_sel:DWORD
	s_movk_i32 s4, 0x7f
	v_cmp_lt_i16_e32 vcc, s4, v3
	s_mov_b64 s[4:5], 0
                                        ; implicit-def: $sgpr10
	s_and_saveexec_b64 s[6:7], vcc
	s_xor_b64 s[6:7], exec, s[6:7]
	s_cbranch_execnz .LBB10_3573
; %bb.1525:
	s_or_saveexec_b64 s[6:7], s[6:7]
	v_mov_b32_e32 v4, s10
	s_xor_b64 exec, exec, s[6:7]
	s_cbranch_execnz .LBB10_3576
.LBB10_1526:
	s_or_b64 exec, exec, s[6:7]
	s_and_saveexec_b64 s[6:7], s[4:5]
	s_cbranch_execz .LBB10_1528
.LBB10_1527:
	v_bfe_u32 v3, v5, 16, 3
	v_ffbh_u32_e32 v7, v3
	v_min_u32_e32 v7, 32, v7
	v_lshrrev_b32_e32 v4, 19, v5
	v_subrev_u32_e32 v8, 28, v7
	v_and_b32_e32 v4, 15, v4
	v_lshlrev_b32_sdwa v8, v8, v5 dst_sel:DWORD dst_unused:UNUSED_PAD src0_sel:DWORD src1_sel:WORD_1
	v_bfe_u32 v6, v5, 19, 4
	v_sub_u32_e32 v7, 29, v7
	v_and_b32_e32 v8, 7, v8
	v_cmp_eq_u16_e32 vcc, 0, v4
	v_cndmask_b32_e32 v3, v3, v8, vcc
	v_cndmask_b32_e32 v4, v6, v7, vcc
	v_lshlrev_b32_e32 v6, 8, v5
	v_mov_b32_e32 v7, 0x3b800000
	v_lshlrev_b32_e32 v3, 20, v3
	v_and_b32_e32 v6, 0x80000000, v6
	v_lshl_add_u32 v4, v4, 23, v7
	v_or3_b32 v4, v6, v4, v3
.LBB10_1528:
	s_or_b64 exec, exec, s[6:7]
	s_nop 0
	v_mfma_f32_16x16x4f32 a[0:3], v2, v4, a[0:3]
	s_movk_i32 s4, 0x7f
	v_cmp_gt_i16_sdwa s[6:7], v9, s4 src0_sel:BYTE_3 src1_sel:DWORD
	s_mov_b64 s[4:5], 0
                                        ; implicit-def: $sgpr10
	s_and_saveexec_b64 s[8:9], s[6:7]
	s_xor_b64 s[6:7], exec, s[8:9]
	s_cbranch_execnz .LBB10_3577
; %bb.1529:
	s_or_saveexec_b64 s[6:7], s[6:7]
	v_mov_b32_e32 v2, s10
	s_xor_b64 exec, exec, s[6:7]
	s_cbranch_execnz .LBB10_3580
.LBB10_1530:
	s_or_b64 exec, exec, s[6:7]
	s_and_saveexec_b64 s[6:7], s[4:5]
	s_cbranch_execz .LBB10_1532
.LBB10_1531:
	v_bfe_u32 v2, v9, 24, 3
	v_ffbh_u32_e32 v7, v2
	v_min_u32_e32 v7, 32, v7
	v_lshrrev_b32_e32 v4, 27, v9
	v_subrev_u32_e32 v8, 28, v7
	v_and_b32_e32 v4, 15, v4
	v_lshlrev_b32_sdwa v8, v8, v9 dst_sel:DWORD dst_unused:UNUSED_PAD src0_sel:DWORD src1_sel:BYTE_3
	v_bfe_u32 v6, v9, 27, 4
	v_sub_u32_e32 v7, 29, v7
	v_and_b32_e32 v8, 7, v8
	v_cmp_eq_u16_e32 vcc, 0, v4
	v_cndmask_b32_e32 v2, v2, v8, vcc
	v_cndmask_b32_e32 v4, v6, v7, vcc
	v_mov_b32_e32 v6, 0x3b800000
	v_and_b32_e32 v3, 0x80000000, v9
	v_lshlrev_b32_e32 v2, 20, v2
	v_lshl_add_u32 v4, v4, 23, v6
	v_or3_b32 v2, v3, v4, v2
.LBB10_1532:
	s_or_b64 exec, exec, s[6:7]
	s_movk_i32 s4, 0x7f
	v_cmp_gt_i16_sdwa s[6:7], v5, s4 src0_sel:BYTE_3 src1_sel:DWORD
	s_mov_b64 s[4:5], 0
                                        ; implicit-def: $sgpr10
	s_and_saveexec_b64 s[8:9], s[6:7]
	s_xor_b64 s[6:7], exec, s[8:9]
	s_cbranch_execnz .LBB10_3581
; %bb.1533:
	s_or_saveexec_b64 s[6:7], s[6:7]
	v_mov_b32_e32 v3, s10
	s_xor_b64 exec, exec, s[6:7]
	s_cbranch_execnz .LBB10_3584
.LBB10_1534:
	s_or_b64 exec, exec, s[6:7]
	s_and_saveexec_b64 s[6:7], s[4:5]
	s_cbranch_execz .LBB10_1536
.LBB10_1535:
	v_bfe_u32 v3, v5, 24, 3
	v_ffbh_u32_e32 v8, v3
	v_min_u32_e32 v8, 32, v8
	v_lshrrev_b32_e32 v6, 27, v5
	v_subrev_u32_e32 v9, 28, v8
	v_and_b32_e32 v4, 0x80000000, v5
	v_and_b32_e32 v6, 15, v6
	v_bfe_u32 v7, v5, 27, 4
	v_lshlrev_b32_sdwa v5, v9, v5 dst_sel:DWORD dst_unused:UNUSED_PAD src0_sel:DWORD src1_sel:BYTE_3
	v_sub_u32_e32 v8, 29, v8
	v_and_b32_e32 v5, 7, v5
	v_cmp_eq_u16_e32 vcc, 0, v6
	v_cndmask_b32_e32 v3, v3, v5, vcc
	v_cndmask_b32_e32 v5, v7, v8, vcc
	v_mov_b32_e32 v6, 0x3b800000
	v_lshlrev_b32_e32 v3, 20, v3
	v_lshl_add_u32 v5, v5, 23, v6
	v_or3_b32 v3, v4, v5, v3
.LBB10_1536:
	s_or_b64 exec, exec, s[6:7]
	s_nop 0
	v_mfma_f32_16x16x4f32 a[0:3], v2, v3, a[0:3]
	s_movk_i32 s4, 0x7f
                                        ; implicit-def: $sgpr10
	s_nop 7
	s_nop 1
	flat_store_dwordx4 v[18:19], a[0:3] offset:80
	flat_load_dwordx4 v[20:23], v[0:1] offset:16
	s_nop 0
	flat_load_dwordx2 v[18:19], v[0:1] offset:32
	s_waitcnt vmcnt(0) lgkmcnt(0)
	flat_load_dwordx4 v[14:17], v[20:21]
	flat_load_dwordx4 v[6:9], v[20:21] offset:16
	flat_load_dwordx4 v[10:13], v[22:23] offset:448
	;; [unrolled: 1-line block ×3, first 2 shown]
	s_waitcnt vmcnt(0) lgkmcnt(0)
	v_cmp_gt_i16_sdwa s[6:7], v14, s4 src0_sel:BYTE_0 src1_sel:DWORD
	s_mov_b64 s[4:5], 0
	s_and_saveexec_b64 s[8:9], s[6:7]
	s_xor_b64 s[6:7], exec, s[8:9]
	s_cbranch_execnz .LBB10_3585
; %bb.1537:
	s_or_saveexec_b64 s[6:7], s[6:7]
	v_mov_b32_e32 v20, s10
	s_xor_b64 exec, exec, s[6:7]
	s_cbranch_execnz .LBB10_3588
.LBB10_1538:
	s_or_b64 exec, exec, s[6:7]
	s_and_saveexec_b64 s[6:7], s[4:5]
	s_cbranch_execz .LBB10_1540
.LBB10_1539:
	v_and_b32_e32 v20, 7, v14
	v_ffbh_u32_e32 v22, v20
	v_min_u32_e32 v22, 32, v22
	v_lshrrev_b16_e32 v21, 3, v14
	v_subrev_u32_e32 v23, 28, v22
	v_and_b32_e32 v21, 15, v21
	v_lshlrev_b32_e32 v23, v23, v14
	v_sub_u32_e32 v22, 29, v22
	v_and_b32_e32 v23, 7, v23
	v_cmp_eq_u16_e32 vcc, 0, v21
	v_cndmask_b32_e32 v20, v20, v23, vcc
	v_cndmask_b32_e32 v21, v21, v22, vcc
	v_lshlrev_b32_e32 v22, 24, v14
	v_mov_b32_e32 v23, 0x3b800000
	v_lshlrev_b32_e32 v20, 20, v20
	v_and_b32_e32 v22, 0x80000000, v22
	v_lshl_add_u32 v21, v21, 23, v23
	v_or3_b32 v20, v22, v21, v20
.LBB10_1540:
	s_or_b64 exec, exec, s[6:7]
	s_movk_i32 s4, 0x7f
	v_cmp_gt_i16_sdwa s[6:7], v10, s4 src0_sel:BYTE_0 src1_sel:DWORD
	s_mov_b64 s[4:5], 0
                                        ; implicit-def: $sgpr10
	s_and_saveexec_b64 s[8:9], s[6:7]
	s_xor_b64 s[6:7], exec, s[8:9]
	s_cbranch_execnz .LBB10_3589
; %bb.1541:
	s_or_saveexec_b64 s[6:7], s[6:7]
	v_mov_b32_e32 v21, s10
	s_xor_b64 exec, exec, s[6:7]
	s_cbranch_execnz .LBB10_3592
.LBB10_1542:
	s_or_b64 exec, exec, s[6:7]
	s_and_saveexec_b64 s[6:7], s[4:5]
	s_cbranch_execz .LBB10_1544
.LBB10_1543:
	v_and_b32_e32 v21, 7, v10
	v_ffbh_u32_e32 v23, v21
	v_min_u32_e32 v23, 32, v23
	v_lshrrev_b16_e32 v22, 3, v10
	v_subrev_u32_e32 v24, 28, v23
	v_and_b32_e32 v22, 15, v22
	v_lshlrev_b32_e32 v24, v24, v10
	v_sub_u32_e32 v23, 29, v23
	v_and_b32_e32 v24, 7, v24
	v_cmp_eq_u16_e32 vcc, 0, v22
	v_cndmask_b32_e32 v21, v21, v24, vcc
	v_cndmask_b32_e32 v22, v22, v23, vcc
	v_lshlrev_b32_e32 v23, 24, v10
	v_mov_b32_e32 v24, 0x3b800000
	v_lshlrev_b32_e32 v21, 20, v21
	v_and_b32_e32 v23, 0x80000000, v23
	v_lshl_add_u32 v22, v22, 23, v24
	v_or3_b32 v21, v23, v22, v21
.LBB10_1544:
	s_or_b64 exec, exec, s[6:7]
	flat_load_dwordx4 a[0:3], v[18:19] offset:96
	s_movk_i32 s4, 0x7f
                                        ; implicit-def: $sgpr10
	s_waitcnt vmcnt(0) lgkmcnt(0)
	v_mfma_f32_16x16x4f32 a[0:3], v20, v21, a[0:3]
	v_lshrrev_b32_e32 v21, 8, v14
	v_cmp_gt_i16_sdwa s[6:7], v21, s4 src0_sel:BYTE_0 src1_sel:DWORD
	s_mov_b64 s[4:5], 0
	s_and_saveexec_b64 s[8:9], s[6:7]
	s_xor_b64 s[6:7], exec, s[8:9]
	s_cbranch_execnz .LBB10_3593
; %bb.1545:
	s_or_saveexec_b64 s[6:7], s[6:7]
	v_mov_b32_e32 v20, s10
	s_xor_b64 exec, exec, s[6:7]
	s_cbranch_execnz .LBB10_3596
.LBB10_1546:
	s_or_b64 exec, exec, s[6:7]
	s_and_saveexec_b64 s[6:7], s[4:5]
	s_cbranch_execz .LBB10_1548
.LBB10_1547:
	v_bfe_u32 v20, v14, 8, 3
	v_ffbh_u32_e32 v23, v20
	v_min_u32_e32 v23, 32, v23
	v_lshrrev_b16_e32 v22, 3, v21
	v_subrev_u32_e32 v24, 28, v23
	v_and_b32_e32 v22, 15, v22
	v_lshlrev_b32_e32 v21, v24, v21
	v_sub_u32_e32 v23, 29, v23
	v_and_b32_e32 v21, 7, v21
	v_cmp_eq_u16_e32 vcc, 0, v22
	v_cndmask_b32_e32 v20, v20, v21, vcc
	v_cndmask_b32_e32 v21, v22, v23, vcc
	v_lshlrev_b32_e32 v22, 16, v14
	v_mov_b32_e32 v23, 0x3b800000
	v_lshlrev_b32_e32 v20, 20, v20
	v_and_b32_e32 v22, 0x80000000, v22
	v_lshl_add_u32 v21, v21, 23, v23
	v_or3_b32 v20, v22, v21, v20
.LBB10_1548:
	s_or_b64 exec, exec, s[6:7]
	v_lshrrev_b32_e32 v21, 8, v10
	s_movk_i32 s4, 0x7f
	v_cmp_gt_i16_sdwa s[6:7], v21, s4 src0_sel:BYTE_0 src1_sel:DWORD
	s_mov_b64 s[4:5], 0
                                        ; implicit-def: $sgpr10
	s_and_saveexec_b64 s[8:9], s[6:7]
	s_xor_b64 s[6:7], exec, s[8:9]
	s_cbranch_execnz .LBB10_3597
; %bb.1549:
	s_or_saveexec_b64 s[6:7], s[6:7]
	v_mov_b32_e32 v22, s10
	s_xor_b64 exec, exec, s[6:7]
	s_cbranch_execnz .LBB10_3600
.LBB10_1550:
	s_or_b64 exec, exec, s[6:7]
	s_and_saveexec_b64 s[6:7], s[4:5]
	s_cbranch_execz .LBB10_1552
.LBB10_1551:
	v_bfe_u32 v22, v10, 8, 3
	v_ffbh_u32_e32 v24, v22
	v_min_u32_e32 v24, 32, v24
	v_lshrrev_b16_e32 v23, 3, v21
	v_subrev_u32_e32 v25, 28, v24
	v_and_b32_e32 v23, 15, v23
	v_lshlrev_b32_e32 v21, v25, v21
	v_sub_u32_e32 v24, 29, v24
	v_and_b32_e32 v21, 7, v21
	v_cmp_eq_u16_e32 vcc, 0, v23
	v_cndmask_b32_e32 v21, v22, v21, vcc
	v_cndmask_b32_e32 v22, v23, v24, vcc
	v_lshlrev_b32_e32 v23, 16, v10
	v_mov_b32_e32 v24, 0x3b800000
	v_lshlrev_b32_e32 v21, 20, v21
	v_and_b32_e32 v23, 0x80000000, v23
	v_lshl_add_u32 v22, v22, 23, v24
	v_or3_b32 v22, v23, v22, v21
.LBB10_1552:
	s_or_b64 exec, exec, s[6:7]
	s_nop 0
	v_mfma_f32_16x16x4f32 a[0:3], v20, v22, a[0:3]
	s_movk_i32 s4, 0xff
	v_and_b32_sdwa v21, v14, s4 dst_sel:DWORD dst_unused:UNUSED_PAD src0_sel:WORD_1 src1_sel:DWORD
	s_movk_i32 s4, 0x7f
	v_cmp_lt_i16_e32 vcc, s4, v21
	s_mov_b64 s[4:5], 0
                                        ; implicit-def: $sgpr10
	s_and_saveexec_b64 s[6:7], vcc
	s_xor_b64 s[6:7], exec, s[6:7]
	s_cbranch_execnz .LBB10_3601
; %bb.1553:
	s_or_saveexec_b64 s[6:7], s[6:7]
	v_mov_b32_e32 v20, s10
	s_xor_b64 exec, exec, s[6:7]
	s_cbranch_execnz .LBB10_3604
.LBB10_1554:
	s_or_b64 exec, exec, s[6:7]
	s_and_saveexec_b64 s[6:7], s[4:5]
	s_cbranch_execz .LBB10_1556
.LBB10_1555:
	v_bfe_u32 v20, v14, 16, 3
	v_ffbh_u32_e32 v23, v20
	v_min_u32_e32 v23, 32, v23
	v_lshrrev_b32_e32 v21, 19, v14
	v_subrev_u32_e32 v24, 28, v23
	v_and_b32_e32 v21, 15, v21
	v_lshlrev_b32_sdwa v24, v24, v14 dst_sel:DWORD dst_unused:UNUSED_PAD src0_sel:DWORD src1_sel:WORD_1
	v_bfe_u32 v22, v14, 19, 4
	v_sub_u32_e32 v23, 29, v23
	v_and_b32_e32 v24, 7, v24
	v_cmp_eq_u16_e32 vcc, 0, v21
	v_cndmask_b32_e32 v20, v20, v24, vcc
	v_cndmask_b32_e32 v21, v22, v23, vcc
	v_lshlrev_b32_e32 v22, 8, v14
	v_mov_b32_e32 v23, 0x3b800000
	v_lshlrev_b32_e32 v20, 20, v20
	v_and_b32_e32 v22, 0x80000000, v22
	v_lshl_add_u32 v21, v21, 23, v23
	v_or3_b32 v20, v22, v21, v20
.LBB10_1556:
	s_or_b64 exec, exec, s[6:7]
	s_movk_i32 s4, 0xff
	v_and_b32_sdwa v21, v10, s4 dst_sel:DWORD dst_unused:UNUSED_PAD src0_sel:WORD_1 src1_sel:DWORD
	s_movk_i32 s4, 0x7f
	v_cmp_lt_i16_e32 vcc, s4, v21
	s_mov_b64 s[4:5], 0
                                        ; implicit-def: $sgpr10
	s_and_saveexec_b64 s[6:7], vcc
	s_xor_b64 s[6:7], exec, s[6:7]
	s_cbranch_execnz .LBB10_3605
; %bb.1557:
	s_or_saveexec_b64 s[6:7], s[6:7]
	v_mov_b32_e32 v22, s10
	s_xor_b64 exec, exec, s[6:7]
	s_cbranch_execnz .LBB10_3608
.LBB10_1558:
	s_or_b64 exec, exec, s[6:7]
	s_and_saveexec_b64 s[6:7], s[4:5]
	s_cbranch_execz .LBB10_1560
.LBB10_1559:
	v_bfe_u32 v21, v10, 16, 3
	v_ffbh_u32_e32 v24, v21
	v_min_u32_e32 v24, 32, v24
	v_lshrrev_b32_e32 v22, 19, v10
	v_subrev_u32_e32 v25, 28, v24
	v_and_b32_e32 v22, 15, v22
	v_lshlrev_b32_sdwa v25, v25, v10 dst_sel:DWORD dst_unused:UNUSED_PAD src0_sel:DWORD src1_sel:WORD_1
	v_bfe_u32 v23, v10, 19, 4
	v_sub_u32_e32 v24, 29, v24
	v_and_b32_e32 v25, 7, v25
	v_cmp_eq_u16_e32 vcc, 0, v22
	v_cndmask_b32_e32 v21, v21, v25, vcc
	v_cndmask_b32_e32 v22, v23, v24, vcc
	v_lshlrev_b32_e32 v23, 8, v10
	v_mov_b32_e32 v24, 0x3b800000
	v_lshlrev_b32_e32 v21, 20, v21
	v_and_b32_e32 v23, 0x80000000, v23
	v_lshl_add_u32 v22, v22, 23, v24
	v_or3_b32 v22, v23, v22, v21
.LBB10_1560:
	s_or_b64 exec, exec, s[6:7]
	s_nop 0
	v_mfma_f32_16x16x4f32 a[0:3], v20, v22, a[0:3]
	s_movk_i32 s4, 0x7f
	v_cmp_gt_i16_sdwa s[6:7], v14, s4 src0_sel:BYTE_3 src1_sel:DWORD
	s_mov_b64 s[4:5], 0
                                        ; implicit-def: $sgpr10
	s_and_saveexec_b64 s[8:9], s[6:7]
	s_xor_b64 s[6:7], exec, s[8:9]
	s_cbranch_execnz .LBB10_3609
; %bb.1561:
	s_or_saveexec_b64 s[6:7], s[6:7]
	v_mov_b32_e32 v20, s10
	s_xor_b64 exec, exec, s[6:7]
	s_cbranch_execnz .LBB10_3612
.LBB10_1562:
	s_or_b64 exec, exec, s[6:7]
	s_and_saveexec_b64 s[6:7], s[4:5]
	s_cbranch_execz .LBB10_1564
.LBB10_1563:
	v_bfe_u32 v20, v14, 24, 3
	v_ffbh_u32_e32 v24, v20
	v_min_u32_e32 v24, 32, v24
	v_lshrrev_b32_e32 v22, 27, v14
	v_subrev_u32_e32 v25, 28, v24
	v_and_b32_e32 v21, 0x80000000, v14
	v_and_b32_e32 v22, 15, v22
	v_bfe_u32 v23, v14, 27, 4
	v_lshlrev_b32_sdwa v14, v25, v14 dst_sel:DWORD dst_unused:UNUSED_PAD src0_sel:DWORD src1_sel:BYTE_3
	v_sub_u32_e32 v24, 29, v24
	v_and_b32_e32 v14, 7, v14
	v_cmp_eq_u16_e32 vcc, 0, v22
	v_cndmask_b32_e32 v14, v20, v14, vcc
	v_cndmask_b32_e32 v20, v23, v24, vcc
	v_mov_b32_e32 v22, 0x3b800000
	v_lshlrev_b32_e32 v14, 20, v14
	v_lshl_add_u32 v20, v20, 23, v22
	v_or3_b32 v20, v21, v20, v14
.LBB10_1564:
	s_or_b64 exec, exec, s[6:7]
	s_movk_i32 s4, 0x7f
	v_cmp_gt_i16_sdwa s[6:7], v10, s4 src0_sel:BYTE_3 src1_sel:DWORD
	s_mov_b64 s[4:5], 0
                                        ; implicit-def: $sgpr10
	s_and_saveexec_b64 s[8:9], s[6:7]
	s_xor_b64 s[6:7], exec, s[8:9]
	s_cbranch_execnz .LBB10_3613
; %bb.1565:
	s_or_saveexec_b64 s[6:7], s[6:7]
	v_mov_b32_e32 v14, s10
	s_xor_b64 exec, exec, s[6:7]
	s_cbranch_execnz .LBB10_3616
.LBB10_1566:
	s_or_b64 exec, exec, s[6:7]
	s_and_saveexec_b64 s[6:7], s[4:5]
	s_cbranch_execz .LBB10_1568
.LBB10_1567:
	v_bfe_u32 v14, v10, 24, 3
	v_ffbh_u32_e32 v24, v14
	v_min_u32_e32 v24, 32, v24
	v_lshrrev_b32_e32 v22, 27, v10
	v_subrev_u32_e32 v25, 28, v24
	v_and_b32_e32 v21, 0x80000000, v10
	v_and_b32_e32 v22, 15, v22
	v_bfe_u32 v23, v10, 27, 4
	v_lshlrev_b32_sdwa v10, v25, v10 dst_sel:DWORD dst_unused:UNUSED_PAD src0_sel:DWORD src1_sel:BYTE_3
	v_sub_u32_e32 v24, 29, v24
	v_and_b32_e32 v10, 7, v10
	v_cmp_eq_u16_e32 vcc, 0, v22
	v_cndmask_b32_e32 v10, v14, v10, vcc
	v_cndmask_b32_e32 v14, v23, v24, vcc
	v_mov_b32_e32 v22, 0x3b800000
	v_lshlrev_b32_e32 v10, 20, v10
	v_lshl_add_u32 v14, v14, 23, v22
	v_or3_b32 v14, v21, v14, v10
.LBB10_1568:
	s_or_b64 exec, exec, s[6:7]
	s_nop 0
	v_mfma_f32_16x16x4f32 a[0:3], v20, v14, a[0:3]
	s_movk_i32 s4, 0x7f
	v_cmp_gt_i16_sdwa s[6:7], v15, s4 src0_sel:BYTE_0 src1_sel:DWORD
	s_mov_b64 s[4:5], 0
                                        ; implicit-def: $sgpr10
	s_and_saveexec_b64 s[8:9], s[6:7]
	s_xor_b64 s[6:7], exec, s[8:9]
	s_cbranch_execnz .LBB10_3617
; %bb.1569:
	s_or_saveexec_b64 s[6:7], s[6:7]
	v_mov_b32_e32 v10, s10
	s_xor_b64 exec, exec, s[6:7]
	s_cbranch_execnz .LBB10_3620
.LBB10_1570:
	s_or_b64 exec, exec, s[6:7]
	s_and_saveexec_b64 s[6:7], s[4:5]
	s_cbranch_execz .LBB10_1572
.LBB10_1571:
	v_and_b32_e32 v10, 7, v15
	v_ffbh_u32_e32 v20, v10
	v_min_u32_e32 v20, 32, v20
	v_lshrrev_b16_e32 v14, 3, v15
	v_subrev_u32_e32 v21, 28, v20
	v_and_b32_e32 v14, 15, v14
	v_lshlrev_b32_e32 v21, v21, v15
	v_sub_u32_e32 v20, 29, v20
	v_and_b32_e32 v21, 7, v21
	v_cmp_eq_u16_e32 vcc, 0, v14
	v_cndmask_b32_e32 v10, v10, v21, vcc
	v_cndmask_b32_e32 v14, v14, v20, vcc
	v_lshlrev_b32_e32 v20, 24, v15
	v_mov_b32_e32 v21, 0x3b800000
	v_lshlrev_b32_e32 v10, 20, v10
	v_and_b32_e32 v20, 0x80000000, v20
	v_lshl_add_u32 v14, v14, 23, v21
	v_or3_b32 v10, v20, v14, v10
.LBB10_1572:
	s_or_b64 exec, exec, s[6:7]
	s_movk_i32 s4, 0x7f
	v_cmp_gt_i16_sdwa s[6:7], v11, s4 src0_sel:BYTE_0 src1_sel:DWORD
	s_mov_b64 s[4:5], 0
                                        ; implicit-def: $sgpr10
	s_and_saveexec_b64 s[8:9], s[6:7]
	s_xor_b64 s[6:7], exec, s[8:9]
	s_cbranch_execnz .LBB10_3621
; %bb.1573:
	s_or_saveexec_b64 s[6:7], s[6:7]
	v_mov_b32_e32 v14, s10
	s_xor_b64 exec, exec, s[6:7]
	s_cbranch_execnz .LBB10_3624
.LBB10_1574:
	s_or_b64 exec, exec, s[6:7]
	s_and_saveexec_b64 s[6:7], s[4:5]
	s_cbranch_execz .LBB10_1576
.LBB10_1575:
	v_and_b32_e32 v14, 7, v11
	v_ffbh_u32_e32 v21, v14
	v_min_u32_e32 v21, 32, v21
	v_lshrrev_b16_e32 v20, 3, v11
	v_subrev_u32_e32 v22, 28, v21
	v_and_b32_e32 v20, 15, v20
	v_lshlrev_b32_e32 v22, v22, v11
	v_sub_u32_e32 v21, 29, v21
	v_and_b32_e32 v22, 7, v22
	v_cmp_eq_u16_e32 vcc, 0, v20
	v_cndmask_b32_e32 v14, v14, v22, vcc
	v_cndmask_b32_e32 v20, v20, v21, vcc
	v_lshlrev_b32_e32 v21, 24, v11
	v_mov_b32_e32 v22, 0x3b800000
	v_lshlrev_b32_e32 v14, 20, v14
	v_and_b32_e32 v21, 0x80000000, v21
	v_lshl_add_u32 v20, v20, 23, v22
	v_or3_b32 v14, v21, v20, v14
.LBB10_1576:
	s_or_b64 exec, exec, s[6:7]
	s_nop 0
	v_mfma_f32_16x16x4f32 a[0:3], v10, v14, a[0:3]
	v_lshrrev_b32_e32 v14, 8, v15
	s_movk_i32 s4, 0x7f
	v_cmp_gt_i16_sdwa s[6:7], v14, s4 src0_sel:BYTE_0 src1_sel:DWORD
	s_mov_b64 s[4:5], 0
                                        ; implicit-def: $sgpr10
	s_and_saveexec_b64 s[8:9], s[6:7]
	s_xor_b64 s[6:7], exec, s[8:9]
	s_cbranch_execnz .LBB10_3625
; %bb.1577:
	s_or_saveexec_b64 s[6:7], s[6:7]
	v_mov_b32_e32 v10, s10
	s_xor_b64 exec, exec, s[6:7]
	s_cbranch_execnz .LBB10_3628
.LBB10_1578:
	s_or_b64 exec, exec, s[6:7]
	s_and_saveexec_b64 s[6:7], s[4:5]
	s_cbranch_execz .LBB10_1580
.LBB10_1579:
	v_bfe_u32 v10, v15, 8, 3
	v_ffbh_u32_e32 v21, v10
	v_min_u32_e32 v21, 32, v21
	v_lshrrev_b16_e32 v20, 3, v14
	v_subrev_u32_e32 v22, 28, v21
	v_and_b32_e32 v20, 15, v20
	v_lshlrev_b32_e32 v14, v22, v14
	v_sub_u32_e32 v21, 29, v21
	v_and_b32_e32 v14, 7, v14
	v_cmp_eq_u16_e32 vcc, 0, v20
	v_cndmask_b32_e32 v10, v10, v14, vcc
	v_cndmask_b32_e32 v14, v20, v21, vcc
	v_lshlrev_b32_e32 v20, 16, v15
	v_mov_b32_e32 v21, 0x3b800000
	v_lshlrev_b32_e32 v10, 20, v10
	v_and_b32_e32 v20, 0x80000000, v20
	v_lshl_add_u32 v14, v14, 23, v21
	v_or3_b32 v10, v20, v14, v10
.LBB10_1580:
	s_or_b64 exec, exec, s[6:7]
	v_lshrrev_b32_e32 v14, 8, v11
	s_movk_i32 s4, 0x7f
	v_cmp_gt_i16_sdwa s[6:7], v14, s4 src0_sel:BYTE_0 src1_sel:DWORD
	s_mov_b64 s[4:5], 0
                                        ; implicit-def: $sgpr10
	s_and_saveexec_b64 s[8:9], s[6:7]
	s_xor_b64 s[6:7], exec, s[8:9]
	s_cbranch_execnz .LBB10_3629
; %bb.1581:
	s_or_saveexec_b64 s[6:7], s[6:7]
	v_mov_b32_e32 v20, s10
	s_xor_b64 exec, exec, s[6:7]
	s_cbranch_execnz .LBB10_3632
.LBB10_1582:
	s_or_b64 exec, exec, s[6:7]
	s_and_saveexec_b64 s[6:7], s[4:5]
	s_cbranch_execz .LBB10_1584
.LBB10_1583:
	v_bfe_u32 v20, v11, 8, 3
	v_ffbh_u32_e32 v22, v20
	v_min_u32_e32 v22, 32, v22
	v_lshrrev_b16_e32 v21, 3, v14
	v_subrev_u32_e32 v23, 28, v22
	v_and_b32_e32 v21, 15, v21
	v_lshlrev_b32_e32 v14, v23, v14
	v_sub_u32_e32 v22, 29, v22
	v_and_b32_e32 v14, 7, v14
	v_cmp_eq_u16_e32 vcc, 0, v21
	v_cndmask_b32_e32 v14, v20, v14, vcc
	v_cndmask_b32_e32 v20, v21, v22, vcc
	v_lshlrev_b32_e32 v21, 16, v11
	v_mov_b32_e32 v22, 0x3b800000
	v_lshlrev_b32_e32 v14, 20, v14
	v_and_b32_e32 v21, 0x80000000, v21
	v_lshl_add_u32 v20, v20, 23, v22
	v_or3_b32 v20, v21, v20, v14
.LBB10_1584:
	s_or_b64 exec, exec, s[6:7]
	s_nop 0
	v_mfma_f32_16x16x4f32 a[0:3], v10, v20, a[0:3]
	s_movk_i32 s4, 0xff
	v_and_b32_sdwa v14, v15, s4 dst_sel:DWORD dst_unused:UNUSED_PAD src0_sel:WORD_1 src1_sel:DWORD
	s_movk_i32 s4, 0x7f
	v_cmp_lt_i16_e32 vcc, s4, v14
	s_mov_b64 s[4:5], 0
                                        ; implicit-def: $sgpr10
	s_and_saveexec_b64 s[6:7], vcc
	s_xor_b64 s[6:7], exec, s[6:7]
	s_cbranch_execnz .LBB10_3633
; %bb.1585:
	s_or_saveexec_b64 s[6:7], s[6:7]
	v_mov_b32_e32 v10, s10
	s_xor_b64 exec, exec, s[6:7]
	s_cbranch_execnz .LBB10_3636
.LBB10_1586:
	s_or_b64 exec, exec, s[6:7]
	s_and_saveexec_b64 s[6:7], s[4:5]
	s_cbranch_execz .LBB10_1588
.LBB10_1587:
	v_bfe_u32 v10, v15, 16, 3
	v_ffbh_u32_e32 v21, v10
	v_min_u32_e32 v21, 32, v21
	v_lshrrev_b32_e32 v14, 19, v15
	v_subrev_u32_e32 v22, 28, v21
	v_and_b32_e32 v14, 15, v14
	v_lshlrev_b32_sdwa v22, v22, v15 dst_sel:DWORD dst_unused:UNUSED_PAD src0_sel:DWORD src1_sel:WORD_1
	v_bfe_u32 v20, v15, 19, 4
	v_sub_u32_e32 v21, 29, v21
	v_and_b32_e32 v22, 7, v22
	v_cmp_eq_u16_e32 vcc, 0, v14
	v_cndmask_b32_e32 v10, v10, v22, vcc
	v_cndmask_b32_e32 v14, v20, v21, vcc
	v_lshlrev_b32_e32 v20, 8, v15
	v_mov_b32_e32 v21, 0x3b800000
	v_lshlrev_b32_e32 v10, 20, v10
	v_and_b32_e32 v20, 0x80000000, v20
	v_lshl_add_u32 v14, v14, 23, v21
	v_or3_b32 v10, v20, v14, v10
.LBB10_1588:
	s_or_b64 exec, exec, s[6:7]
	s_movk_i32 s4, 0xff
	v_and_b32_sdwa v14, v11, s4 dst_sel:DWORD dst_unused:UNUSED_PAD src0_sel:WORD_1 src1_sel:DWORD
	s_movk_i32 s4, 0x7f
	v_cmp_lt_i16_e32 vcc, s4, v14
	s_mov_b64 s[4:5], 0
                                        ; implicit-def: $sgpr10
	s_and_saveexec_b64 s[6:7], vcc
	s_xor_b64 s[6:7], exec, s[6:7]
	s_cbranch_execnz .LBB10_3637
; %bb.1589:
	s_or_saveexec_b64 s[6:7], s[6:7]
	v_mov_b32_e32 v20, s10
	s_xor_b64 exec, exec, s[6:7]
	s_cbranch_execnz .LBB10_3640
.LBB10_1590:
	s_or_b64 exec, exec, s[6:7]
	s_and_saveexec_b64 s[6:7], s[4:5]
	s_cbranch_execz .LBB10_1592
.LBB10_1591:
	v_bfe_u32 v14, v11, 16, 3
	v_ffbh_u32_e32 v22, v14
	v_min_u32_e32 v22, 32, v22
	v_lshrrev_b32_e32 v20, 19, v11
	v_subrev_u32_e32 v23, 28, v22
	v_and_b32_e32 v20, 15, v20
	v_lshlrev_b32_sdwa v23, v23, v11 dst_sel:DWORD dst_unused:UNUSED_PAD src0_sel:DWORD src1_sel:WORD_1
	v_bfe_u32 v21, v11, 19, 4
	v_sub_u32_e32 v22, 29, v22
	v_and_b32_e32 v23, 7, v23
	v_cmp_eq_u16_e32 vcc, 0, v20
	v_cndmask_b32_e32 v14, v14, v23, vcc
	v_cndmask_b32_e32 v20, v21, v22, vcc
	v_lshlrev_b32_e32 v21, 8, v11
	v_mov_b32_e32 v22, 0x3b800000
	v_lshlrev_b32_e32 v14, 20, v14
	v_and_b32_e32 v21, 0x80000000, v21
	v_lshl_add_u32 v20, v20, 23, v22
	v_or3_b32 v20, v21, v20, v14
.LBB10_1592:
	s_or_b64 exec, exec, s[6:7]
	s_nop 0
	v_mfma_f32_16x16x4f32 a[0:3], v10, v20, a[0:3]
	s_movk_i32 s4, 0x7f
	v_cmp_gt_i16_sdwa s[6:7], v15, s4 src0_sel:BYTE_3 src1_sel:DWORD
	s_mov_b64 s[4:5], 0
                                        ; implicit-def: $sgpr10
	s_and_saveexec_b64 s[8:9], s[6:7]
	s_xor_b64 s[6:7], exec, s[8:9]
	s_cbranch_execnz .LBB10_3641
; %bb.1593:
	s_or_saveexec_b64 s[6:7], s[6:7]
	v_mov_b32_e32 v10, s10
	s_xor_b64 exec, exec, s[6:7]
	s_cbranch_execnz .LBB10_3644
.LBB10_1594:
	s_or_b64 exec, exec, s[6:7]
	s_and_saveexec_b64 s[6:7], s[4:5]
	s_cbranch_execz .LBB10_1596
.LBB10_1595:
	v_bfe_u32 v10, v15, 24, 3
	v_ffbh_u32_e32 v22, v10
	v_min_u32_e32 v22, 32, v22
	v_lshrrev_b32_e32 v20, 27, v15
	v_subrev_u32_e32 v23, 28, v22
	v_and_b32_e32 v14, 0x80000000, v15
	v_and_b32_e32 v20, 15, v20
	v_bfe_u32 v21, v15, 27, 4
	v_lshlrev_b32_sdwa v15, v23, v15 dst_sel:DWORD dst_unused:UNUSED_PAD src0_sel:DWORD src1_sel:BYTE_3
	v_sub_u32_e32 v22, 29, v22
	v_and_b32_e32 v15, 7, v15
	v_cmp_eq_u16_e32 vcc, 0, v20
	v_cndmask_b32_e32 v10, v10, v15, vcc
	v_cndmask_b32_e32 v15, v21, v22, vcc
	v_mov_b32_e32 v20, 0x3b800000
	v_lshlrev_b32_e32 v10, 20, v10
	v_lshl_add_u32 v15, v15, 23, v20
	v_or3_b32 v10, v14, v15, v10
.LBB10_1596:
	s_or_b64 exec, exec, s[6:7]
	s_movk_i32 s4, 0x7f
	v_cmp_gt_i16_sdwa s[6:7], v11, s4 src0_sel:BYTE_3 src1_sel:DWORD
	s_mov_b64 s[4:5], 0
                                        ; implicit-def: $sgpr10
	s_and_saveexec_b64 s[8:9], s[6:7]
	s_xor_b64 s[6:7], exec, s[8:9]
	s_cbranch_execnz .LBB10_3645
; %bb.1597:
	s_or_saveexec_b64 s[6:7], s[6:7]
	v_mov_b32_e32 v14, s10
	s_xor_b64 exec, exec, s[6:7]
	s_cbranch_execnz .LBB10_3648
.LBB10_1598:
	s_or_b64 exec, exec, s[6:7]
	s_and_saveexec_b64 s[6:7], s[4:5]
	s_cbranch_execz .LBB10_1600
.LBB10_1599:
	v_bfe_u32 v14, v11, 24, 3
	v_ffbh_u32_e32 v22, v14
	v_min_u32_e32 v22, 32, v22
	v_lshrrev_b32_e32 v20, 27, v11
	v_subrev_u32_e32 v23, 28, v22
	v_and_b32_e32 v15, 0x80000000, v11
	v_and_b32_e32 v20, 15, v20
	v_bfe_u32 v21, v11, 27, 4
	v_lshlrev_b32_sdwa v11, v23, v11 dst_sel:DWORD dst_unused:UNUSED_PAD src0_sel:DWORD src1_sel:BYTE_3
	v_sub_u32_e32 v22, 29, v22
	v_and_b32_e32 v11, 7, v11
	v_cmp_eq_u16_e32 vcc, 0, v20
	v_cndmask_b32_e32 v11, v14, v11, vcc
	v_cndmask_b32_e32 v14, v21, v22, vcc
	v_mov_b32_e32 v20, 0x3b800000
	v_lshlrev_b32_e32 v11, 20, v11
	v_lshl_add_u32 v14, v14, 23, v20
	v_or3_b32 v14, v15, v14, v11
.LBB10_1600:
	s_or_b64 exec, exec, s[6:7]
	s_nop 0
	v_mfma_f32_16x16x4f32 a[0:3], v10, v14, a[0:3]
	s_movk_i32 s4, 0x7f
	v_cmp_gt_i16_sdwa s[6:7], v16, s4 src0_sel:BYTE_0 src1_sel:DWORD
	s_mov_b64 s[4:5], 0
                                        ; implicit-def: $sgpr10
	s_and_saveexec_b64 s[8:9], s[6:7]
	s_xor_b64 s[6:7], exec, s[8:9]
	s_cbranch_execnz .LBB10_3649
; %bb.1601:
	s_or_saveexec_b64 s[6:7], s[6:7]
	v_mov_b32_e32 v10, s10
	s_xor_b64 exec, exec, s[6:7]
	s_cbranch_execnz .LBB10_3652
.LBB10_1602:
	s_or_b64 exec, exec, s[6:7]
	s_and_saveexec_b64 s[6:7], s[4:5]
	s_cbranch_execz .LBB10_1604
.LBB10_1603:
	v_and_b32_e32 v10, 7, v16
	v_ffbh_u32_e32 v14, v10
	v_min_u32_e32 v14, 32, v14
	v_lshrrev_b16_e32 v11, 3, v16
	v_subrev_u32_e32 v15, 28, v14
	v_and_b32_e32 v11, 15, v11
	v_lshlrev_b32_e32 v15, v15, v16
	v_sub_u32_e32 v14, 29, v14
	v_and_b32_e32 v15, 7, v15
	v_cmp_eq_u16_e32 vcc, 0, v11
	v_cndmask_b32_e32 v10, v10, v15, vcc
	v_cndmask_b32_e32 v11, v11, v14, vcc
	v_lshlrev_b32_e32 v14, 24, v16
	v_mov_b32_e32 v15, 0x3b800000
	v_lshlrev_b32_e32 v10, 20, v10
	v_and_b32_e32 v14, 0x80000000, v14
	v_lshl_add_u32 v11, v11, 23, v15
	v_or3_b32 v10, v14, v11, v10
.LBB10_1604:
	s_or_b64 exec, exec, s[6:7]
	s_movk_i32 s4, 0x7f
	v_cmp_gt_i16_sdwa s[6:7], v12, s4 src0_sel:BYTE_0 src1_sel:DWORD
	s_mov_b64 s[4:5], 0
                                        ; implicit-def: $sgpr10
	s_and_saveexec_b64 s[8:9], s[6:7]
	s_xor_b64 s[6:7], exec, s[8:9]
	s_cbranch_execnz .LBB10_3653
; %bb.1605:
	s_or_saveexec_b64 s[6:7], s[6:7]
	v_mov_b32_e32 v11, s10
	s_xor_b64 exec, exec, s[6:7]
	s_cbranch_execnz .LBB10_3656
.LBB10_1606:
	s_or_b64 exec, exec, s[6:7]
	s_and_saveexec_b64 s[6:7], s[4:5]
	s_cbranch_execz .LBB10_1608
.LBB10_1607:
	v_and_b32_e32 v11, 7, v12
	v_ffbh_u32_e32 v15, v11
	v_min_u32_e32 v15, 32, v15
	v_lshrrev_b16_e32 v14, 3, v12
	v_subrev_u32_e32 v20, 28, v15
	v_and_b32_e32 v14, 15, v14
	v_lshlrev_b32_e32 v20, v20, v12
	v_sub_u32_e32 v15, 29, v15
	v_and_b32_e32 v20, 7, v20
	v_cmp_eq_u16_e32 vcc, 0, v14
	v_cndmask_b32_e32 v11, v11, v20, vcc
	v_cndmask_b32_e32 v14, v14, v15, vcc
	v_lshlrev_b32_e32 v15, 24, v12
	v_mov_b32_e32 v20, 0x3b800000
	v_lshlrev_b32_e32 v11, 20, v11
	v_and_b32_e32 v15, 0x80000000, v15
	v_lshl_add_u32 v14, v14, 23, v20
	v_or3_b32 v11, v15, v14, v11
.LBB10_1608:
	s_or_b64 exec, exec, s[6:7]
	s_nop 0
	v_mfma_f32_16x16x4f32 a[0:3], v10, v11, a[0:3]
	v_lshrrev_b32_e32 v11, 8, v16
	s_movk_i32 s4, 0x7f
	v_cmp_gt_i16_sdwa s[6:7], v11, s4 src0_sel:BYTE_0 src1_sel:DWORD
	s_mov_b64 s[4:5], 0
                                        ; implicit-def: $sgpr10
	s_and_saveexec_b64 s[8:9], s[6:7]
	s_xor_b64 s[6:7], exec, s[8:9]
	s_cbranch_execnz .LBB10_3657
; %bb.1609:
	s_or_saveexec_b64 s[6:7], s[6:7]
	v_mov_b32_e32 v10, s10
	s_xor_b64 exec, exec, s[6:7]
	s_cbranch_execnz .LBB10_3660
.LBB10_1610:
	s_or_b64 exec, exec, s[6:7]
	s_and_saveexec_b64 s[6:7], s[4:5]
	s_cbranch_execz .LBB10_1612
.LBB10_1611:
	v_bfe_u32 v10, v16, 8, 3
	v_ffbh_u32_e32 v15, v10
	v_min_u32_e32 v15, 32, v15
	v_lshrrev_b16_e32 v14, 3, v11
	v_subrev_u32_e32 v20, 28, v15
	v_and_b32_e32 v14, 15, v14
	v_lshlrev_b32_e32 v11, v20, v11
	v_sub_u32_e32 v15, 29, v15
	v_and_b32_e32 v11, 7, v11
	v_cmp_eq_u16_e32 vcc, 0, v14
	v_cndmask_b32_e32 v10, v10, v11, vcc
	v_cndmask_b32_e32 v11, v14, v15, vcc
	v_lshlrev_b32_e32 v14, 16, v16
	v_mov_b32_e32 v15, 0x3b800000
	v_lshlrev_b32_e32 v10, 20, v10
	v_and_b32_e32 v14, 0x80000000, v14
	v_lshl_add_u32 v11, v11, 23, v15
	v_or3_b32 v10, v14, v11, v10
.LBB10_1612:
	s_or_b64 exec, exec, s[6:7]
	v_lshrrev_b32_e32 v11, 8, v12
	s_movk_i32 s4, 0x7f
	v_cmp_gt_i16_sdwa s[6:7], v11, s4 src0_sel:BYTE_0 src1_sel:DWORD
	s_mov_b64 s[4:5], 0
                                        ; implicit-def: $sgpr10
	s_and_saveexec_b64 s[8:9], s[6:7]
	s_xor_b64 s[6:7], exec, s[8:9]
	s_cbranch_execnz .LBB10_3661
; %bb.1613:
	s_or_saveexec_b64 s[6:7], s[6:7]
	v_mov_b32_e32 v14, s10
	s_xor_b64 exec, exec, s[6:7]
	s_cbranch_execnz .LBB10_3664
.LBB10_1614:
	s_or_b64 exec, exec, s[6:7]
	s_and_saveexec_b64 s[6:7], s[4:5]
	s_cbranch_execz .LBB10_1616
.LBB10_1615:
	v_bfe_u32 v14, v12, 8, 3
	v_ffbh_u32_e32 v20, v14
	v_min_u32_e32 v20, 32, v20
	v_lshrrev_b16_e32 v15, 3, v11
	v_subrev_u32_e32 v21, 28, v20
	v_and_b32_e32 v15, 15, v15
	v_lshlrev_b32_e32 v11, v21, v11
	v_sub_u32_e32 v20, 29, v20
	v_and_b32_e32 v11, 7, v11
	v_cmp_eq_u16_e32 vcc, 0, v15
	v_cndmask_b32_e32 v11, v14, v11, vcc
	v_cndmask_b32_e32 v14, v15, v20, vcc
	v_lshlrev_b32_e32 v15, 16, v12
	v_mov_b32_e32 v20, 0x3b800000
	v_lshlrev_b32_e32 v11, 20, v11
	v_and_b32_e32 v15, 0x80000000, v15
	v_lshl_add_u32 v14, v14, 23, v20
	v_or3_b32 v14, v15, v14, v11
.LBB10_1616:
	s_or_b64 exec, exec, s[6:7]
	s_nop 0
	v_mfma_f32_16x16x4f32 a[0:3], v10, v14, a[0:3]
	s_movk_i32 s4, 0xff
	v_and_b32_sdwa v11, v16, s4 dst_sel:DWORD dst_unused:UNUSED_PAD src0_sel:WORD_1 src1_sel:DWORD
	s_movk_i32 s4, 0x7f
	v_cmp_lt_i16_e32 vcc, s4, v11
	s_mov_b64 s[4:5], 0
                                        ; implicit-def: $sgpr10
	s_and_saveexec_b64 s[6:7], vcc
	s_xor_b64 s[6:7], exec, s[6:7]
	s_cbranch_execnz .LBB10_3665
; %bb.1617:
	s_or_saveexec_b64 s[6:7], s[6:7]
	v_mov_b32_e32 v10, s10
	s_xor_b64 exec, exec, s[6:7]
	s_cbranch_execnz .LBB10_3668
.LBB10_1618:
	s_or_b64 exec, exec, s[6:7]
	s_and_saveexec_b64 s[6:7], s[4:5]
	s_cbranch_execz .LBB10_1620
.LBB10_1619:
	v_bfe_u32 v10, v16, 16, 3
	v_ffbh_u32_e32 v15, v10
	v_min_u32_e32 v15, 32, v15
	v_lshrrev_b32_e32 v11, 19, v16
	v_subrev_u32_e32 v20, 28, v15
	v_and_b32_e32 v11, 15, v11
	v_lshlrev_b32_sdwa v20, v20, v16 dst_sel:DWORD dst_unused:UNUSED_PAD src0_sel:DWORD src1_sel:WORD_1
	v_bfe_u32 v14, v16, 19, 4
	v_sub_u32_e32 v15, 29, v15
	v_and_b32_e32 v20, 7, v20
	v_cmp_eq_u16_e32 vcc, 0, v11
	v_cndmask_b32_e32 v10, v10, v20, vcc
	v_cndmask_b32_e32 v11, v14, v15, vcc
	v_lshlrev_b32_e32 v14, 8, v16
	v_mov_b32_e32 v15, 0x3b800000
	v_lshlrev_b32_e32 v10, 20, v10
	v_and_b32_e32 v14, 0x80000000, v14
	v_lshl_add_u32 v11, v11, 23, v15
	v_or3_b32 v10, v14, v11, v10
.LBB10_1620:
	s_or_b64 exec, exec, s[6:7]
	s_movk_i32 s4, 0xff
	v_and_b32_sdwa v11, v12, s4 dst_sel:DWORD dst_unused:UNUSED_PAD src0_sel:WORD_1 src1_sel:DWORD
	s_movk_i32 s4, 0x7f
	v_cmp_lt_i16_e32 vcc, s4, v11
	s_mov_b64 s[4:5], 0
                                        ; implicit-def: $sgpr10
	s_and_saveexec_b64 s[6:7], vcc
	s_xor_b64 s[6:7], exec, s[6:7]
	s_cbranch_execnz .LBB10_3669
; %bb.1621:
	s_or_saveexec_b64 s[6:7], s[6:7]
	v_mov_b32_e32 v14, s10
	s_xor_b64 exec, exec, s[6:7]
	s_cbranch_execnz .LBB10_3672
.LBB10_1622:
	s_or_b64 exec, exec, s[6:7]
	s_and_saveexec_b64 s[6:7], s[4:5]
	s_cbranch_execz .LBB10_1624
.LBB10_1623:
	v_bfe_u32 v11, v12, 16, 3
	v_ffbh_u32_e32 v20, v11
	v_min_u32_e32 v20, 32, v20
	v_lshrrev_b32_e32 v14, 19, v12
	v_subrev_u32_e32 v21, 28, v20
	v_and_b32_e32 v14, 15, v14
	v_lshlrev_b32_sdwa v21, v21, v12 dst_sel:DWORD dst_unused:UNUSED_PAD src0_sel:DWORD src1_sel:WORD_1
	v_bfe_u32 v15, v12, 19, 4
	v_sub_u32_e32 v20, 29, v20
	v_and_b32_e32 v21, 7, v21
	v_cmp_eq_u16_e32 vcc, 0, v14
	v_cndmask_b32_e32 v11, v11, v21, vcc
	v_cndmask_b32_e32 v14, v15, v20, vcc
	v_lshlrev_b32_e32 v15, 8, v12
	v_mov_b32_e32 v20, 0x3b800000
	v_lshlrev_b32_e32 v11, 20, v11
	v_and_b32_e32 v15, 0x80000000, v15
	v_lshl_add_u32 v14, v14, 23, v20
	v_or3_b32 v14, v15, v14, v11
.LBB10_1624:
	s_or_b64 exec, exec, s[6:7]
	s_nop 0
	v_mfma_f32_16x16x4f32 a[0:3], v10, v14, a[0:3]
	s_movk_i32 s4, 0x7f
	v_cmp_gt_i16_sdwa s[6:7], v16, s4 src0_sel:BYTE_3 src1_sel:DWORD
	s_mov_b64 s[4:5], 0
                                        ; implicit-def: $sgpr10
	s_and_saveexec_b64 s[8:9], s[6:7]
	s_xor_b64 s[6:7], exec, s[8:9]
	s_cbranch_execnz .LBB10_3673
; %bb.1625:
	s_or_saveexec_b64 s[6:7], s[6:7]
	v_mov_b32_e32 v10, s10
	s_xor_b64 exec, exec, s[6:7]
	s_cbranch_execnz .LBB10_3676
.LBB10_1626:
	s_or_b64 exec, exec, s[6:7]
	s_and_saveexec_b64 s[6:7], s[4:5]
	s_cbranch_execz .LBB10_1628
.LBB10_1627:
	v_bfe_u32 v10, v16, 24, 3
	v_ffbh_u32_e32 v20, v10
	v_min_u32_e32 v20, 32, v20
	v_lshrrev_b32_e32 v14, 27, v16
	v_subrev_u32_e32 v21, 28, v20
	v_and_b32_e32 v11, 0x80000000, v16
	v_and_b32_e32 v14, 15, v14
	v_bfe_u32 v15, v16, 27, 4
	v_lshlrev_b32_sdwa v16, v21, v16 dst_sel:DWORD dst_unused:UNUSED_PAD src0_sel:DWORD src1_sel:BYTE_3
	v_sub_u32_e32 v20, 29, v20
	v_and_b32_e32 v16, 7, v16
	v_cmp_eq_u16_e32 vcc, 0, v14
	v_cndmask_b32_e32 v10, v10, v16, vcc
	v_cndmask_b32_e32 v14, v15, v20, vcc
	v_mov_b32_e32 v15, 0x3b800000
	v_lshlrev_b32_e32 v10, 20, v10
	v_lshl_add_u32 v14, v14, 23, v15
	v_or3_b32 v10, v11, v14, v10
.LBB10_1628:
	s_or_b64 exec, exec, s[6:7]
	s_movk_i32 s4, 0x7f
	v_cmp_gt_i16_sdwa s[6:7], v12, s4 src0_sel:BYTE_3 src1_sel:DWORD
	s_mov_b64 s[4:5], 0
                                        ; implicit-def: $sgpr10
	s_and_saveexec_b64 s[8:9], s[6:7]
	s_xor_b64 s[6:7], exec, s[8:9]
	s_cbranch_execnz .LBB10_3677
; %bb.1629:
	s_or_saveexec_b64 s[6:7], s[6:7]
	v_mov_b32_e32 v11, s10
	s_xor_b64 exec, exec, s[6:7]
	s_cbranch_execnz .LBB10_3680
.LBB10_1630:
	s_or_b64 exec, exec, s[6:7]
	s_and_saveexec_b64 s[6:7], s[4:5]
	s_cbranch_execz .LBB10_1632
.LBB10_1631:
	v_bfe_u32 v11, v12, 24, 3
	v_ffbh_u32_e32 v20, v11
	v_min_u32_e32 v20, 32, v20
	v_lshrrev_b32_e32 v15, 27, v12
	v_subrev_u32_e32 v21, 28, v20
	v_and_b32_e32 v14, 0x80000000, v12
	v_and_b32_e32 v15, 15, v15
	v_bfe_u32 v16, v12, 27, 4
	v_lshlrev_b32_sdwa v12, v21, v12 dst_sel:DWORD dst_unused:UNUSED_PAD src0_sel:DWORD src1_sel:BYTE_3
	v_sub_u32_e32 v20, 29, v20
	v_and_b32_e32 v12, 7, v12
	v_cmp_eq_u16_e32 vcc, 0, v15
	v_cndmask_b32_e32 v11, v11, v12, vcc
	v_cndmask_b32_e32 v12, v16, v20, vcc
	v_mov_b32_e32 v15, 0x3b800000
	v_lshlrev_b32_e32 v11, 20, v11
	v_lshl_add_u32 v12, v12, 23, v15
	v_or3_b32 v11, v14, v12, v11
.LBB10_1632:
	s_or_b64 exec, exec, s[6:7]
	s_nop 0
	v_mfma_f32_16x16x4f32 a[0:3], v10, v11, a[0:3]
	s_movk_i32 s4, 0x7f
	v_cmp_gt_i16_sdwa s[6:7], v17, s4 src0_sel:BYTE_0 src1_sel:DWORD
	s_mov_b64 s[4:5], 0
                                        ; implicit-def: $sgpr10
	s_and_saveexec_b64 s[8:9], s[6:7]
	s_xor_b64 s[6:7], exec, s[8:9]
	s_cbranch_execnz .LBB10_3681
; %bb.1633:
	s_or_saveexec_b64 s[6:7], s[6:7]
	v_mov_b32_e32 v10, s10
	s_xor_b64 exec, exec, s[6:7]
	s_cbranch_execnz .LBB10_3684
.LBB10_1634:
	s_or_b64 exec, exec, s[6:7]
	s_and_saveexec_b64 s[6:7], s[4:5]
	s_cbranch_execz .LBB10_1636
.LBB10_1635:
	v_and_b32_e32 v10, 7, v17
	v_ffbh_u32_e32 v12, v10
	v_min_u32_e32 v12, 32, v12
	v_lshrrev_b16_e32 v11, 3, v17
	v_subrev_u32_e32 v14, 28, v12
	v_and_b32_e32 v11, 15, v11
	v_lshlrev_b32_e32 v14, v14, v17
	v_sub_u32_e32 v12, 29, v12
	v_and_b32_e32 v14, 7, v14
	v_cmp_eq_u16_e32 vcc, 0, v11
	v_cndmask_b32_e32 v10, v10, v14, vcc
	v_cndmask_b32_e32 v11, v11, v12, vcc
	v_lshlrev_b32_e32 v12, 24, v17
	v_mov_b32_e32 v14, 0x3b800000
	v_lshlrev_b32_e32 v10, 20, v10
	v_and_b32_e32 v12, 0x80000000, v12
	v_lshl_add_u32 v11, v11, 23, v14
	v_or3_b32 v10, v12, v11, v10
.LBB10_1636:
	s_or_b64 exec, exec, s[6:7]
	s_movk_i32 s4, 0x7f
	v_cmp_gt_i16_sdwa s[6:7], v13, s4 src0_sel:BYTE_0 src1_sel:DWORD
	s_mov_b64 s[4:5], 0
                                        ; implicit-def: $sgpr10
	s_and_saveexec_b64 s[8:9], s[6:7]
	s_xor_b64 s[6:7], exec, s[8:9]
	s_cbranch_execnz .LBB10_3685
; %bb.1637:
	s_or_saveexec_b64 s[6:7], s[6:7]
	v_mov_b32_e32 v11, s10
	s_xor_b64 exec, exec, s[6:7]
	s_cbranch_execnz .LBB10_3688
.LBB10_1638:
	s_or_b64 exec, exec, s[6:7]
	s_and_saveexec_b64 s[6:7], s[4:5]
	s_cbranch_execz .LBB10_1640
.LBB10_1639:
	v_and_b32_e32 v11, 7, v13
	v_ffbh_u32_e32 v14, v11
	v_min_u32_e32 v14, 32, v14
	v_lshrrev_b16_e32 v12, 3, v13
	v_subrev_u32_e32 v15, 28, v14
	v_and_b32_e32 v12, 15, v12
	v_lshlrev_b32_e32 v15, v15, v13
	v_sub_u32_e32 v14, 29, v14
	v_and_b32_e32 v15, 7, v15
	v_cmp_eq_u16_e32 vcc, 0, v12
	v_cndmask_b32_e32 v11, v11, v15, vcc
	v_cndmask_b32_e32 v12, v12, v14, vcc
	v_lshlrev_b32_e32 v14, 24, v13
	v_mov_b32_e32 v15, 0x3b800000
	v_lshlrev_b32_e32 v11, 20, v11
	v_and_b32_e32 v14, 0x80000000, v14
	v_lshl_add_u32 v12, v12, 23, v15
	v_or3_b32 v11, v14, v12, v11
.LBB10_1640:
	s_or_b64 exec, exec, s[6:7]
	s_nop 0
	v_mfma_f32_16x16x4f32 a[0:3], v10, v11, a[0:3]
	v_lshrrev_b32_e32 v11, 8, v17
	s_movk_i32 s4, 0x7f
	v_cmp_gt_i16_sdwa s[6:7], v11, s4 src0_sel:BYTE_0 src1_sel:DWORD
	s_mov_b64 s[4:5], 0
                                        ; implicit-def: $sgpr10
	s_and_saveexec_b64 s[8:9], s[6:7]
	s_xor_b64 s[6:7], exec, s[8:9]
	s_cbranch_execnz .LBB10_3689
; %bb.1641:
	s_or_saveexec_b64 s[6:7], s[6:7]
	v_mov_b32_e32 v10, s10
	s_xor_b64 exec, exec, s[6:7]
	s_cbranch_execnz .LBB10_3692
.LBB10_1642:
	s_or_b64 exec, exec, s[6:7]
	s_and_saveexec_b64 s[6:7], s[4:5]
	s_cbranch_execz .LBB10_1644
.LBB10_1643:
	v_bfe_u32 v10, v17, 8, 3
	v_ffbh_u32_e32 v14, v10
	v_min_u32_e32 v14, 32, v14
	v_lshrrev_b16_e32 v12, 3, v11
	v_subrev_u32_e32 v15, 28, v14
	v_and_b32_e32 v12, 15, v12
	v_lshlrev_b32_e32 v11, v15, v11
	v_sub_u32_e32 v14, 29, v14
	v_and_b32_e32 v11, 7, v11
	v_cmp_eq_u16_e32 vcc, 0, v12
	v_cndmask_b32_e32 v10, v10, v11, vcc
	v_cndmask_b32_e32 v11, v12, v14, vcc
	v_lshlrev_b32_e32 v12, 16, v17
	v_mov_b32_e32 v14, 0x3b800000
	v_lshlrev_b32_e32 v10, 20, v10
	v_and_b32_e32 v12, 0x80000000, v12
	v_lshl_add_u32 v11, v11, 23, v14
	v_or3_b32 v10, v12, v11, v10
.LBB10_1644:
	s_or_b64 exec, exec, s[6:7]
	v_lshrrev_b32_e32 v11, 8, v13
	s_movk_i32 s4, 0x7f
	v_cmp_gt_i16_sdwa s[6:7], v11, s4 src0_sel:BYTE_0 src1_sel:DWORD
	s_mov_b64 s[4:5], 0
                                        ; implicit-def: $sgpr10
	s_and_saveexec_b64 s[8:9], s[6:7]
	s_xor_b64 s[6:7], exec, s[8:9]
	s_cbranch_execnz .LBB10_3693
; %bb.1645:
	s_or_saveexec_b64 s[6:7], s[6:7]
	v_mov_b32_e32 v12, s10
	s_xor_b64 exec, exec, s[6:7]
	s_cbranch_execnz .LBB10_3696
.LBB10_1646:
	s_or_b64 exec, exec, s[6:7]
	s_and_saveexec_b64 s[6:7], s[4:5]
	s_cbranch_execz .LBB10_1648
.LBB10_1647:
	v_bfe_u32 v12, v13, 8, 3
	v_ffbh_u32_e32 v15, v12
	v_min_u32_e32 v15, 32, v15
	v_lshrrev_b16_e32 v14, 3, v11
	v_subrev_u32_e32 v16, 28, v15
	v_and_b32_e32 v14, 15, v14
	v_lshlrev_b32_e32 v11, v16, v11
	v_sub_u32_e32 v15, 29, v15
	v_and_b32_e32 v11, 7, v11
	v_cmp_eq_u16_e32 vcc, 0, v14
	v_cndmask_b32_e32 v11, v12, v11, vcc
	v_cndmask_b32_e32 v12, v14, v15, vcc
	v_lshlrev_b32_e32 v14, 16, v13
	v_mov_b32_e32 v15, 0x3b800000
	v_lshlrev_b32_e32 v11, 20, v11
	v_and_b32_e32 v14, 0x80000000, v14
	v_lshl_add_u32 v12, v12, 23, v15
	v_or3_b32 v12, v14, v12, v11
.LBB10_1648:
	s_or_b64 exec, exec, s[6:7]
	s_nop 0
	v_mfma_f32_16x16x4f32 a[0:3], v10, v12, a[0:3]
	s_movk_i32 s4, 0xff
	v_and_b32_sdwa v11, v17, s4 dst_sel:DWORD dst_unused:UNUSED_PAD src0_sel:WORD_1 src1_sel:DWORD
	s_movk_i32 s4, 0x7f
	v_cmp_lt_i16_e32 vcc, s4, v11
	s_mov_b64 s[4:5], 0
                                        ; implicit-def: $sgpr10
	s_and_saveexec_b64 s[6:7], vcc
	s_xor_b64 s[6:7], exec, s[6:7]
	s_cbranch_execnz .LBB10_3697
; %bb.1649:
	s_or_saveexec_b64 s[6:7], s[6:7]
	v_mov_b32_e32 v10, s10
	s_xor_b64 exec, exec, s[6:7]
	s_cbranch_execnz .LBB10_3700
.LBB10_1650:
	s_or_b64 exec, exec, s[6:7]
	s_and_saveexec_b64 s[6:7], s[4:5]
	s_cbranch_execz .LBB10_1652
.LBB10_1651:
	v_bfe_u32 v10, v17, 16, 3
	v_ffbh_u32_e32 v14, v10
	v_min_u32_e32 v14, 32, v14
	v_lshrrev_b32_e32 v11, 19, v17
	v_subrev_u32_e32 v15, 28, v14
	v_and_b32_e32 v11, 15, v11
	v_lshlrev_b32_sdwa v15, v15, v17 dst_sel:DWORD dst_unused:UNUSED_PAD src0_sel:DWORD src1_sel:WORD_1
	v_bfe_u32 v12, v17, 19, 4
	v_sub_u32_e32 v14, 29, v14
	v_and_b32_e32 v15, 7, v15
	v_cmp_eq_u16_e32 vcc, 0, v11
	v_cndmask_b32_e32 v10, v10, v15, vcc
	v_cndmask_b32_e32 v11, v12, v14, vcc
	v_lshlrev_b32_e32 v12, 8, v17
	v_mov_b32_e32 v14, 0x3b800000
	v_lshlrev_b32_e32 v10, 20, v10
	v_and_b32_e32 v12, 0x80000000, v12
	v_lshl_add_u32 v11, v11, 23, v14
	v_or3_b32 v10, v12, v11, v10
.LBB10_1652:
	s_or_b64 exec, exec, s[6:7]
	s_movk_i32 s4, 0xff
	v_and_b32_sdwa v11, v13, s4 dst_sel:DWORD dst_unused:UNUSED_PAD src0_sel:WORD_1 src1_sel:DWORD
	s_movk_i32 s4, 0x7f
	v_cmp_lt_i16_e32 vcc, s4, v11
	s_mov_b64 s[4:5], 0
                                        ; implicit-def: $sgpr10
	s_and_saveexec_b64 s[6:7], vcc
	s_xor_b64 s[6:7], exec, s[6:7]
	s_cbranch_execnz .LBB10_3701
; %bb.1653:
	s_or_saveexec_b64 s[6:7], s[6:7]
	v_mov_b32_e32 v12, s10
	s_xor_b64 exec, exec, s[6:7]
	s_cbranch_execnz .LBB10_3704
.LBB10_1654:
	s_or_b64 exec, exec, s[6:7]
	s_and_saveexec_b64 s[6:7], s[4:5]
	s_cbranch_execz .LBB10_1656
.LBB10_1655:
	v_bfe_u32 v11, v13, 16, 3
	v_ffbh_u32_e32 v15, v11
	v_min_u32_e32 v15, 32, v15
	v_lshrrev_b32_e32 v12, 19, v13
	v_subrev_u32_e32 v16, 28, v15
	v_and_b32_e32 v12, 15, v12
	v_lshlrev_b32_sdwa v16, v16, v13 dst_sel:DWORD dst_unused:UNUSED_PAD src0_sel:DWORD src1_sel:WORD_1
	v_bfe_u32 v14, v13, 19, 4
	v_sub_u32_e32 v15, 29, v15
	v_and_b32_e32 v16, 7, v16
	v_cmp_eq_u16_e32 vcc, 0, v12
	v_cndmask_b32_e32 v11, v11, v16, vcc
	v_cndmask_b32_e32 v12, v14, v15, vcc
	v_lshlrev_b32_e32 v14, 8, v13
	v_mov_b32_e32 v15, 0x3b800000
	v_lshlrev_b32_e32 v11, 20, v11
	v_and_b32_e32 v14, 0x80000000, v14
	v_lshl_add_u32 v12, v12, 23, v15
	v_or3_b32 v12, v14, v12, v11
.LBB10_1656:
	s_or_b64 exec, exec, s[6:7]
	s_nop 0
	v_mfma_f32_16x16x4f32 a[0:3], v10, v12, a[0:3]
	s_movk_i32 s4, 0x7f
	v_cmp_gt_i16_sdwa s[6:7], v17, s4 src0_sel:BYTE_3 src1_sel:DWORD
	s_mov_b64 s[4:5], 0
                                        ; implicit-def: $sgpr10
	s_and_saveexec_b64 s[8:9], s[6:7]
	s_xor_b64 s[6:7], exec, s[8:9]
	s_cbranch_execnz .LBB10_3705
; %bb.1657:
	s_or_saveexec_b64 s[6:7], s[6:7]
	v_mov_b32_e32 v10, s10
	s_xor_b64 exec, exec, s[6:7]
	s_cbranch_execnz .LBB10_3708
.LBB10_1658:
	s_or_b64 exec, exec, s[6:7]
	s_and_saveexec_b64 s[6:7], s[4:5]
	s_cbranch_execz .LBB10_1660
.LBB10_1659:
	v_bfe_u32 v10, v17, 24, 3
	v_ffbh_u32_e32 v15, v10
	v_min_u32_e32 v15, 32, v15
	v_lshrrev_b32_e32 v12, 27, v17
	v_subrev_u32_e32 v16, 28, v15
	v_and_b32_e32 v12, 15, v12
	v_lshlrev_b32_sdwa v16, v16, v17 dst_sel:DWORD dst_unused:UNUSED_PAD src0_sel:DWORD src1_sel:BYTE_3
	v_bfe_u32 v14, v17, 27, 4
	v_sub_u32_e32 v15, 29, v15
	v_and_b32_e32 v16, 7, v16
	v_cmp_eq_u16_e32 vcc, 0, v12
	v_cndmask_b32_e32 v10, v10, v16, vcc
	v_cndmask_b32_e32 v12, v14, v15, vcc
	v_mov_b32_e32 v14, 0x3b800000
	v_and_b32_e32 v11, 0x80000000, v17
	v_lshlrev_b32_e32 v10, 20, v10
	v_lshl_add_u32 v12, v12, 23, v14
	v_or3_b32 v10, v11, v12, v10
.LBB10_1660:
	s_or_b64 exec, exec, s[6:7]
	s_movk_i32 s4, 0x7f
	v_cmp_gt_i16_sdwa s[6:7], v13, s4 src0_sel:BYTE_3 src1_sel:DWORD
	s_mov_b64 s[4:5], 0
                                        ; implicit-def: $sgpr10
	s_and_saveexec_b64 s[8:9], s[6:7]
	s_xor_b64 s[6:7], exec, s[8:9]
	s_cbranch_execnz .LBB10_3709
; %bb.1661:
	s_or_saveexec_b64 s[6:7], s[6:7]
	v_mov_b32_e32 v11, s10
	s_xor_b64 exec, exec, s[6:7]
	s_cbranch_execnz .LBB10_3712
.LBB10_1662:
	s_or_b64 exec, exec, s[6:7]
	s_and_saveexec_b64 s[6:7], s[4:5]
	s_cbranch_execz .LBB10_1664
.LBB10_1663:
	v_bfe_u32 v11, v13, 24, 3
	v_ffbh_u32_e32 v16, v11
	v_min_u32_e32 v16, 32, v16
	v_lshrrev_b32_e32 v14, 27, v13
	v_subrev_u32_e32 v17, 28, v16
	v_and_b32_e32 v12, 0x80000000, v13
	v_and_b32_e32 v14, 15, v14
	v_bfe_u32 v15, v13, 27, 4
	v_lshlrev_b32_sdwa v13, v17, v13 dst_sel:DWORD dst_unused:UNUSED_PAD src0_sel:DWORD src1_sel:BYTE_3
	v_sub_u32_e32 v16, 29, v16
	v_and_b32_e32 v13, 7, v13
	v_cmp_eq_u16_e32 vcc, 0, v14
	v_cndmask_b32_e32 v11, v11, v13, vcc
	v_cndmask_b32_e32 v13, v15, v16, vcc
	v_mov_b32_e32 v14, 0x3b800000
	v_lshlrev_b32_e32 v11, 20, v11
	v_lshl_add_u32 v13, v13, 23, v14
	v_or3_b32 v11, v12, v13, v11
.LBB10_1664:
	s_or_b64 exec, exec, s[6:7]
	s_nop 0
	v_mfma_f32_16x16x4f32 a[0:3], v10, v11, a[0:3]
	s_movk_i32 s4, 0x7f
	v_cmp_gt_i16_sdwa s[6:7], v6, s4 src0_sel:BYTE_0 src1_sel:DWORD
	s_mov_b64 s[4:5], 0
                                        ; implicit-def: $sgpr10
	s_and_saveexec_b64 s[8:9], s[6:7]
	s_xor_b64 s[6:7], exec, s[8:9]
	s_cbranch_execnz .LBB10_3713
; %bb.1665:
	s_or_saveexec_b64 s[6:7], s[6:7]
	v_mov_b32_e32 v10, s10
	s_xor_b64 exec, exec, s[6:7]
	s_cbranch_execnz .LBB10_3716
.LBB10_1666:
	s_or_b64 exec, exec, s[6:7]
	s_and_saveexec_b64 s[6:7], s[4:5]
	s_cbranch_execz .LBB10_1668
.LBB10_1667:
	v_and_b32_e32 v10, 7, v6
	v_ffbh_u32_e32 v12, v10
	v_min_u32_e32 v12, 32, v12
	v_lshrrev_b16_e32 v11, 3, v6
	v_subrev_u32_e32 v13, 28, v12
	v_and_b32_e32 v11, 15, v11
	v_lshlrev_b32_e32 v13, v13, v6
	v_sub_u32_e32 v12, 29, v12
	v_and_b32_e32 v13, 7, v13
	v_cmp_eq_u16_e32 vcc, 0, v11
	v_cndmask_b32_e32 v10, v10, v13, vcc
	v_cndmask_b32_e32 v11, v11, v12, vcc
	v_lshlrev_b32_e32 v12, 24, v6
	v_mov_b32_e32 v13, 0x3b800000
	v_lshlrev_b32_e32 v10, 20, v10
	v_and_b32_e32 v12, 0x80000000, v12
	v_lshl_add_u32 v11, v11, 23, v13
	v_or3_b32 v10, v12, v11, v10
.LBB10_1668:
	s_or_b64 exec, exec, s[6:7]
	s_movk_i32 s4, 0x7f
	v_cmp_gt_i16_sdwa s[6:7], v2, s4 src0_sel:BYTE_0 src1_sel:DWORD
	s_mov_b64 s[4:5], 0
                                        ; implicit-def: $sgpr10
	s_and_saveexec_b64 s[8:9], s[6:7]
	s_xor_b64 s[6:7], exec, s[8:9]
	s_cbranch_execnz .LBB10_3717
; %bb.1669:
	s_or_saveexec_b64 s[6:7], s[6:7]
	v_mov_b32_e32 v11, s10
	s_xor_b64 exec, exec, s[6:7]
	s_cbranch_execnz .LBB10_3720
.LBB10_1670:
	s_or_b64 exec, exec, s[6:7]
	s_and_saveexec_b64 s[6:7], s[4:5]
	s_cbranch_execz .LBB10_1672
.LBB10_1671:
	v_and_b32_e32 v11, 7, v2
	v_ffbh_u32_e32 v13, v11
	v_min_u32_e32 v13, 32, v13
	v_lshrrev_b16_e32 v12, 3, v2
	v_subrev_u32_e32 v14, 28, v13
	v_and_b32_e32 v12, 15, v12
	v_lshlrev_b32_e32 v14, v14, v2
	v_sub_u32_e32 v13, 29, v13
	v_and_b32_e32 v14, 7, v14
	v_cmp_eq_u16_e32 vcc, 0, v12
	v_cndmask_b32_e32 v11, v11, v14, vcc
	v_cndmask_b32_e32 v12, v12, v13, vcc
	v_lshlrev_b32_e32 v13, 24, v2
	v_mov_b32_e32 v14, 0x3b800000
	v_lshlrev_b32_e32 v11, 20, v11
	v_and_b32_e32 v13, 0x80000000, v13
	v_lshl_add_u32 v12, v12, 23, v14
	v_or3_b32 v11, v13, v12, v11
.LBB10_1672:
	s_or_b64 exec, exec, s[6:7]
	s_nop 0
	v_mfma_f32_16x16x4f32 a[0:3], v10, v11, a[0:3]
	v_lshrrev_b32_e32 v11, 8, v6
	s_movk_i32 s4, 0x7f
	v_cmp_gt_i16_sdwa s[6:7], v11, s4 src0_sel:BYTE_0 src1_sel:DWORD
	s_mov_b64 s[4:5], 0
                                        ; implicit-def: $sgpr10
	s_and_saveexec_b64 s[8:9], s[6:7]
	s_xor_b64 s[6:7], exec, s[8:9]
	s_cbranch_execnz .LBB10_3721
; %bb.1673:
	s_or_saveexec_b64 s[6:7], s[6:7]
	v_mov_b32_e32 v10, s10
	s_xor_b64 exec, exec, s[6:7]
	s_cbranch_execnz .LBB10_3724
.LBB10_1674:
	s_or_b64 exec, exec, s[6:7]
	s_and_saveexec_b64 s[6:7], s[4:5]
	s_cbranch_execz .LBB10_1676
.LBB10_1675:
	v_bfe_u32 v10, v6, 8, 3
	v_ffbh_u32_e32 v13, v10
	v_min_u32_e32 v13, 32, v13
	v_lshrrev_b16_e32 v12, 3, v11
	v_subrev_u32_e32 v14, 28, v13
	v_and_b32_e32 v12, 15, v12
	v_lshlrev_b32_e32 v11, v14, v11
	v_sub_u32_e32 v13, 29, v13
	v_and_b32_e32 v11, 7, v11
	v_cmp_eq_u16_e32 vcc, 0, v12
	v_cndmask_b32_e32 v10, v10, v11, vcc
	v_cndmask_b32_e32 v11, v12, v13, vcc
	v_lshlrev_b32_e32 v12, 16, v6
	v_mov_b32_e32 v13, 0x3b800000
	v_lshlrev_b32_e32 v10, 20, v10
	v_and_b32_e32 v12, 0x80000000, v12
	v_lshl_add_u32 v11, v11, 23, v13
	v_or3_b32 v10, v12, v11, v10
.LBB10_1676:
	s_or_b64 exec, exec, s[6:7]
	v_lshrrev_b32_e32 v11, 8, v2
	s_movk_i32 s4, 0x7f
	v_cmp_gt_i16_sdwa s[6:7], v11, s4 src0_sel:BYTE_0 src1_sel:DWORD
	s_mov_b64 s[4:5], 0
                                        ; implicit-def: $sgpr10
	s_and_saveexec_b64 s[8:9], s[6:7]
	s_xor_b64 s[6:7], exec, s[8:9]
	s_cbranch_execnz .LBB10_3725
; %bb.1677:
	s_or_saveexec_b64 s[6:7], s[6:7]
	v_mov_b32_e32 v12, s10
	s_xor_b64 exec, exec, s[6:7]
	s_cbranch_execnz .LBB10_3728
.LBB10_1678:
	s_or_b64 exec, exec, s[6:7]
	s_and_saveexec_b64 s[6:7], s[4:5]
	s_cbranch_execz .LBB10_1680
.LBB10_1679:
	v_bfe_u32 v12, v2, 8, 3
	v_ffbh_u32_e32 v14, v12
	v_min_u32_e32 v14, 32, v14
	v_lshrrev_b16_e32 v13, 3, v11
	v_subrev_u32_e32 v15, 28, v14
	v_and_b32_e32 v13, 15, v13
	v_lshlrev_b32_e32 v11, v15, v11
	v_sub_u32_e32 v14, 29, v14
	v_and_b32_e32 v11, 7, v11
	v_cmp_eq_u16_e32 vcc, 0, v13
	v_cndmask_b32_e32 v11, v12, v11, vcc
	v_cndmask_b32_e32 v12, v13, v14, vcc
	v_lshlrev_b32_e32 v13, 16, v2
	v_mov_b32_e32 v14, 0x3b800000
	v_lshlrev_b32_e32 v11, 20, v11
	v_and_b32_e32 v13, 0x80000000, v13
	v_lshl_add_u32 v12, v12, 23, v14
	v_or3_b32 v12, v13, v12, v11
.LBB10_1680:
	s_or_b64 exec, exec, s[6:7]
	s_nop 0
	v_mfma_f32_16x16x4f32 a[0:3], v10, v12, a[0:3]
	s_movk_i32 s4, 0xff
	v_and_b32_sdwa v11, v6, s4 dst_sel:DWORD dst_unused:UNUSED_PAD src0_sel:WORD_1 src1_sel:DWORD
	s_movk_i32 s4, 0x7f
	v_cmp_lt_i16_e32 vcc, s4, v11
	s_mov_b64 s[4:5], 0
                                        ; implicit-def: $sgpr10
	s_and_saveexec_b64 s[6:7], vcc
	s_xor_b64 s[6:7], exec, s[6:7]
	s_cbranch_execnz .LBB10_3729
; %bb.1681:
	s_or_saveexec_b64 s[6:7], s[6:7]
	v_mov_b32_e32 v10, s10
	s_xor_b64 exec, exec, s[6:7]
	s_cbranch_execnz .LBB10_3732
.LBB10_1682:
	s_or_b64 exec, exec, s[6:7]
	s_and_saveexec_b64 s[6:7], s[4:5]
	s_cbranch_execz .LBB10_1684
.LBB10_1683:
	v_bfe_u32 v10, v6, 16, 3
	v_ffbh_u32_e32 v13, v10
	v_min_u32_e32 v13, 32, v13
	v_lshrrev_b32_e32 v11, 19, v6
	v_subrev_u32_e32 v14, 28, v13
	v_and_b32_e32 v11, 15, v11
	v_lshlrev_b32_sdwa v14, v14, v6 dst_sel:DWORD dst_unused:UNUSED_PAD src0_sel:DWORD src1_sel:WORD_1
	v_bfe_u32 v12, v6, 19, 4
	v_sub_u32_e32 v13, 29, v13
	v_and_b32_e32 v14, 7, v14
	v_cmp_eq_u16_e32 vcc, 0, v11
	v_cndmask_b32_e32 v10, v10, v14, vcc
	v_cndmask_b32_e32 v11, v12, v13, vcc
	v_lshlrev_b32_e32 v12, 8, v6
	v_mov_b32_e32 v13, 0x3b800000
	v_lshlrev_b32_e32 v10, 20, v10
	v_and_b32_e32 v12, 0x80000000, v12
	v_lshl_add_u32 v11, v11, 23, v13
	v_or3_b32 v10, v12, v11, v10
.LBB10_1684:
	s_or_b64 exec, exec, s[6:7]
	s_movk_i32 s4, 0xff
	v_and_b32_sdwa v11, v2, s4 dst_sel:DWORD dst_unused:UNUSED_PAD src0_sel:WORD_1 src1_sel:DWORD
	s_movk_i32 s4, 0x7f
	v_cmp_lt_i16_e32 vcc, s4, v11
	s_mov_b64 s[4:5], 0
                                        ; implicit-def: $sgpr10
	s_and_saveexec_b64 s[6:7], vcc
	s_xor_b64 s[6:7], exec, s[6:7]
	s_cbranch_execnz .LBB10_3733
; %bb.1685:
	s_or_saveexec_b64 s[6:7], s[6:7]
	v_mov_b32_e32 v12, s10
	s_xor_b64 exec, exec, s[6:7]
	s_cbranch_execnz .LBB10_3736
.LBB10_1686:
	s_or_b64 exec, exec, s[6:7]
	s_and_saveexec_b64 s[6:7], s[4:5]
	s_cbranch_execz .LBB10_1688
.LBB10_1687:
	v_bfe_u32 v11, v2, 16, 3
	v_ffbh_u32_e32 v14, v11
	v_min_u32_e32 v14, 32, v14
	v_lshrrev_b32_e32 v12, 19, v2
	v_subrev_u32_e32 v15, 28, v14
	v_and_b32_e32 v12, 15, v12
	v_lshlrev_b32_sdwa v15, v15, v2 dst_sel:DWORD dst_unused:UNUSED_PAD src0_sel:DWORD src1_sel:WORD_1
	v_bfe_u32 v13, v2, 19, 4
	v_sub_u32_e32 v14, 29, v14
	v_and_b32_e32 v15, 7, v15
	v_cmp_eq_u16_e32 vcc, 0, v12
	v_cndmask_b32_e32 v11, v11, v15, vcc
	v_cndmask_b32_e32 v12, v13, v14, vcc
	v_lshlrev_b32_e32 v13, 8, v2
	v_mov_b32_e32 v14, 0x3b800000
	v_lshlrev_b32_e32 v11, 20, v11
	v_and_b32_e32 v13, 0x80000000, v13
	v_lshl_add_u32 v12, v12, 23, v14
	v_or3_b32 v12, v13, v12, v11
.LBB10_1688:
	s_or_b64 exec, exec, s[6:7]
	s_nop 0
	v_mfma_f32_16x16x4f32 a[0:3], v10, v12, a[0:3]
	s_movk_i32 s4, 0x7f
	v_cmp_gt_i16_sdwa s[6:7], v6, s4 src0_sel:BYTE_3 src1_sel:DWORD
	s_mov_b64 s[4:5], 0
                                        ; implicit-def: $sgpr10
	s_and_saveexec_b64 s[8:9], s[6:7]
	s_xor_b64 s[6:7], exec, s[8:9]
	s_cbranch_execnz .LBB10_3737
; %bb.1689:
	s_or_saveexec_b64 s[6:7], s[6:7]
	v_mov_b32_e32 v10, s10
	s_xor_b64 exec, exec, s[6:7]
	s_cbranch_execnz .LBB10_3740
.LBB10_1690:
	s_or_b64 exec, exec, s[6:7]
	s_and_saveexec_b64 s[6:7], s[4:5]
	s_cbranch_execz .LBB10_1692
.LBB10_1691:
	v_bfe_u32 v10, v6, 24, 3
	v_ffbh_u32_e32 v14, v10
	v_min_u32_e32 v14, 32, v14
	v_lshrrev_b32_e32 v12, 27, v6
	v_subrev_u32_e32 v15, 28, v14
	v_and_b32_e32 v11, 0x80000000, v6
	v_and_b32_e32 v12, 15, v12
	v_bfe_u32 v13, v6, 27, 4
	v_lshlrev_b32_sdwa v6, v15, v6 dst_sel:DWORD dst_unused:UNUSED_PAD src0_sel:DWORD src1_sel:BYTE_3
	v_sub_u32_e32 v14, 29, v14
	v_and_b32_e32 v6, 7, v6
	v_cmp_eq_u16_e32 vcc, 0, v12
	v_cndmask_b32_e32 v6, v10, v6, vcc
	v_cndmask_b32_e32 v10, v13, v14, vcc
	v_mov_b32_e32 v12, 0x3b800000
	v_lshlrev_b32_e32 v6, 20, v6
	v_lshl_add_u32 v10, v10, 23, v12
	v_or3_b32 v10, v11, v10, v6
.LBB10_1692:
	s_or_b64 exec, exec, s[6:7]
	s_movk_i32 s4, 0x7f
	v_cmp_gt_i16_sdwa s[6:7], v2, s4 src0_sel:BYTE_3 src1_sel:DWORD
	s_mov_b64 s[4:5], 0
                                        ; implicit-def: $sgpr10
	s_and_saveexec_b64 s[8:9], s[6:7]
	s_xor_b64 s[6:7], exec, s[8:9]
	s_cbranch_execnz .LBB10_3741
; %bb.1693:
	s_or_saveexec_b64 s[6:7], s[6:7]
	v_mov_b32_e32 v6, s10
	s_xor_b64 exec, exec, s[6:7]
	s_cbranch_execnz .LBB10_3744
.LBB10_1694:
	s_or_b64 exec, exec, s[6:7]
	s_and_saveexec_b64 s[6:7], s[4:5]
	s_cbranch_execz .LBB10_1696
.LBB10_1695:
	v_bfe_u32 v6, v2, 24, 3
	v_ffbh_u32_e32 v14, v6
	v_min_u32_e32 v14, 32, v14
	v_lshrrev_b32_e32 v12, 27, v2
	v_subrev_u32_e32 v15, 28, v14
	v_and_b32_e32 v11, 0x80000000, v2
	v_and_b32_e32 v12, 15, v12
	v_bfe_u32 v13, v2, 27, 4
	v_lshlrev_b32_sdwa v2, v15, v2 dst_sel:DWORD dst_unused:UNUSED_PAD src0_sel:DWORD src1_sel:BYTE_3
	v_sub_u32_e32 v14, 29, v14
	v_and_b32_e32 v2, 7, v2
	v_cmp_eq_u16_e32 vcc, 0, v12
	v_cndmask_b32_e32 v2, v6, v2, vcc
	v_cndmask_b32_e32 v6, v13, v14, vcc
	v_mov_b32_e32 v12, 0x3b800000
	v_lshlrev_b32_e32 v2, 20, v2
	v_lshl_add_u32 v6, v6, 23, v12
	v_or3_b32 v6, v11, v6, v2
.LBB10_1696:
	s_or_b64 exec, exec, s[6:7]
	s_nop 0
	v_mfma_f32_16x16x4f32 a[0:3], v10, v6, a[0:3]
	s_movk_i32 s4, 0x7f
	v_cmp_gt_i16_sdwa s[6:7], v7, s4 src0_sel:BYTE_0 src1_sel:DWORD
	s_mov_b64 s[4:5], 0
                                        ; implicit-def: $sgpr10
	s_and_saveexec_b64 s[8:9], s[6:7]
	s_xor_b64 s[6:7], exec, s[8:9]
	s_cbranch_execnz .LBB10_3745
; %bb.1697:
	s_or_saveexec_b64 s[6:7], s[6:7]
	v_mov_b32_e32 v2, s10
	s_xor_b64 exec, exec, s[6:7]
	s_cbranch_execnz .LBB10_3748
.LBB10_1698:
	s_or_b64 exec, exec, s[6:7]
	s_and_saveexec_b64 s[6:7], s[4:5]
	s_cbranch_execz .LBB10_1700
.LBB10_1699:
	v_and_b32_e32 v2, 7, v7
	v_ffbh_u32_e32 v10, v2
	v_min_u32_e32 v10, 32, v10
	v_lshrrev_b16_e32 v6, 3, v7
	v_subrev_u32_e32 v11, 28, v10
	v_and_b32_e32 v6, 15, v6
	v_lshlrev_b32_e32 v11, v11, v7
	v_sub_u32_e32 v10, 29, v10
	v_and_b32_e32 v11, 7, v11
	v_cmp_eq_u16_e32 vcc, 0, v6
	v_cndmask_b32_e32 v2, v2, v11, vcc
	v_cndmask_b32_e32 v6, v6, v10, vcc
	v_lshlrev_b32_e32 v10, 24, v7
	v_mov_b32_e32 v11, 0x3b800000
	v_lshlrev_b32_e32 v2, 20, v2
	v_and_b32_e32 v10, 0x80000000, v10
	v_lshl_add_u32 v6, v6, 23, v11
	v_or3_b32 v2, v10, v6, v2
.LBB10_1700:
	s_or_b64 exec, exec, s[6:7]
	s_movk_i32 s4, 0x7f
	v_cmp_gt_i16_sdwa s[6:7], v3, s4 src0_sel:BYTE_0 src1_sel:DWORD
	s_mov_b64 s[4:5], 0
                                        ; implicit-def: $sgpr10
	s_and_saveexec_b64 s[8:9], s[6:7]
	s_xor_b64 s[6:7], exec, s[8:9]
	s_cbranch_execnz .LBB10_3749
; %bb.1701:
	s_or_saveexec_b64 s[6:7], s[6:7]
	v_mov_b32_e32 v6, s10
	s_xor_b64 exec, exec, s[6:7]
	s_cbranch_execnz .LBB10_3752
.LBB10_1702:
	s_or_b64 exec, exec, s[6:7]
	s_and_saveexec_b64 s[6:7], s[4:5]
	s_cbranch_execz .LBB10_1704
.LBB10_1703:
	v_and_b32_e32 v6, 7, v3
	v_ffbh_u32_e32 v11, v6
	v_min_u32_e32 v11, 32, v11
	v_lshrrev_b16_e32 v10, 3, v3
	v_subrev_u32_e32 v12, 28, v11
	v_and_b32_e32 v10, 15, v10
	v_lshlrev_b32_e32 v12, v12, v3
	v_sub_u32_e32 v11, 29, v11
	v_and_b32_e32 v12, 7, v12
	v_cmp_eq_u16_e32 vcc, 0, v10
	v_cndmask_b32_e32 v6, v6, v12, vcc
	v_cndmask_b32_e32 v10, v10, v11, vcc
	v_lshlrev_b32_e32 v11, 24, v3
	v_mov_b32_e32 v12, 0x3b800000
	v_lshlrev_b32_e32 v6, 20, v6
	v_and_b32_e32 v11, 0x80000000, v11
	v_lshl_add_u32 v10, v10, 23, v12
	v_or3_b32 v6, v11, v10, v6
.LBB10_1704:
	s_or_b64 exec, exec, s[6:7]
	s_nop 0
	v_mfma_f32_16x16x4f32 a[0:3], v2, v6, a[0:3]
	v_lshrrev_b32_e32 v6, 8, v7
	s_movk_i32 s4, 0x7f
	v_cmp_gt_i16_sdwa s[6:7], v6, s4 src0_sel:BYTE_0 src1_sel:DWORD
	s_mov_b64 s[4:5], 0
                                        ; implicit-def: $sgpr10
	s_and_saveexec_b64 s[8:9], s[6:7]
	s_xor_b64 s[6:7], exec, s[8:9]
	s_cbranch_execnz .LBB10_3753
; %bb.1705:
	s_or_saveexec_b64 s[6:7], s[6:7]
	v_mov_b32_e32 v2, s10
	s_xor_b64 exec, exec, s[6:7]
	s_cbranch_execnz .LBB10_3756
.LBB10_1706:
	s_or_b64 exec, exec, s[6:7]
	s_and_saveexec_b64 s[6:7], s[4:5]
	s_cbranch_execz .LBB10_1708
.LBB10_1707:
	v_bfe_u32 v2, v7, 8, 3
	v_ffbh_u32_e32 v11, v2
	v_min_u32_e32 v11, 32, v11
	v_lshrrev_b16_e32 v10, 3, v6
	v_subrev_u32_e32 v12, 28, v11
	v_and_b32_e32 v10, 15, v10
	v_lshlrev_b32_e32 v6, v12, v6
	v_sub_u32_e32 v11, 29, v11
	v_and_b32_e32 v6, 7, v6
	v_cmp_eq_u16_e32 vcc, 0, v10
	v_cndmask_b32_e32 v2, v2, v6, vcc
	v_cndmask_b32_e32 v6, v10, v11, vcc
	v_lshlrev_b32_e32 v10, 16, v7
	v_mov_b32_e32 v11, 0x3b800000
	v_lshlrev_b32_e32 v2, 20, v2
	v_and_b32_e32 v10, 0x80000000, v10
	v_lshl_add_u32 v6, v6, 23, v11
	v_or3_b32 v2, v10, v6, v2
.LBB10_1708:
	s_or_b64 exec, exec, s[6:7]
	v_lshrrev_b32_e32 v6, 8, v3
	s_movk_i32 s4, 0x7f
	v_cmp_gt_i16_sdwa s[6:7], v6, s4 src0_sel:BYTE_0 src1_sel:DWORD
	s_mov_b64 s[4:5], 0
                                        ; implicit-def: $sgpr10
	s_and_saveexec_b64 s[8:9], s[6:7]
	s_xor_b64 s[6:7], exec, s[8:9]
	s_cbranch_execnz .LBB10_3757
; %bb.1709:
	s_or_saveexec_b64 s[6:7], s[6:7]
	v_mov_b32_e32 v10, s10
	s_xor_b64 exec, exec, s[6:7]
	s_cbranch_execnz .LBB10_3760
.LBB10_1710:
	s_or_b64 exec, exec, s[6:7]
	s_and_saveexec_b64 s[6:7], s[4:5]
	s_cbranch_execz .LBB10_1712
.LBB10_1711:
	v_bfe_u32 v10, v3, 8, 3
	v_ffbh_u32_e32 v12, v10
	v_min_u32_e32 v12, 32, v12
	v_lshrrev_b16_e32 v11, 3, v6
	v_subrev_u32_e32 v13, 28, v12
	v_and_b32_e32 v11, 15, v11
	v_lshlrev_b32_e32 v6, v13, v6
	v_sub_u32_e32 v12, 29, v12
	v_and_b32_e32 v6, 7, v6
	v_cmp_eq_u16_e32 vcc, 0, v11
	v_cndmask_b32_e32 v6, v10, v6, vcc
	v_cndmask_b32_e32 v10, v11, v12, vcc
	v_lshlrev_b32_e32 v11, 16, v3
	v_mov_b32_e32 v12, 0x3b800000
	v_lshlrev_b32_e32 v6, 20, v6
	v_and_b32_e32 v11, 0x80000000, v11
	v_lshl_add_u32 v10, v10, 23, v12
	v_or3_b32 v10, v11, v10, v6
.LBB10_1712:
	s_or_b64 exec, exec, s[6:7]
	s_nop 0
	v_mfma_f32_16x16x4f32 a[0:3], v2, v10, a[0:3]
	s_movk_i32 s4, 0xff
	v_and_b32_sdwa v6, v7, s4 dst_sel:DWORD dst_unused:UNUSED_PAD src0_sel:WORD_1 src1_sel:DWORD
	s_movk_i32 s4, 0x7f
	v_cmp_lt_i16_e32 vcc, s4, v6
	s_mov_b64 s[4:5], 0
                                        ; implicit-def: $sgpr10
	s_and_saveexec_b64 s[6:7], vcc
	s_xor_b64 s[6:7], exec, s[6:7]
	s_cbranch_execnz .LBB10_3761
; %bb.1713:
	s_or_saveexec_b64 s[6:7], s[6:7]
	v_mov_b32_e32 v2, s10
	s_xor_b64 exec, exec, s[6:7]
	s_cbranch_execnz .LBB10_3764
.LBB10_1714:
	s_or_b64 exec, exec, s[6:7]
	s_and_saveexec_b64 s[6:7], s[4:5]
	s_cbranch_execz .LBB10_1716
.LBB10_1715:
	v_bfe_u32 v2, v7, 16, 3
	v_ffbh_u32_e32 v11, v2
	v_min_u32_e32 v11, 32, v11
	v_lshrrev_b32_e32 v6, 19, v7
	v_subrev_u32_e32 v12, 28, v11
	v_and_b32_e32 v6, 15, v6
	v_lshlrev_b32_sdwa v12, v12, v7 dst_sel:DWORD dst_unused:UNUSED_PAD src0_sel:DWORD src1_sel:WORD_1
	v_bfe_u32 v10, v7, 19, 4
	v_sub_u32_e32 v11, 29, v11
	v_and_b32_e32 v12, 7, v12
	v_cmp_eq_u16_e32 vcc, 0, v6
	v_cndmask_b32_e32 v2, v2, v12, vcc
	v_cndmask_b32_e32 v6, v10, v11, vcc
	v_lshlrev_b32_e32 v10, 8, v7
	v_mov_b32_e32 v11, 0x3b800000
	v_lshlrev_b32_e32 v2, 20, v2
	v_and_b32_e32 v10, 0x80000000, v10
	v_lshl_add_u32 v6, v6, 23, v11
	v_or3_b32 v2, v10, v6, v2
.LBB10_1716:
	s_or_b64 exec, exec, s[6:7]
	s_movk_i32 s4, 0xff
	v_and_b32_sdwa v6, v3, s4 dst_sel:DWORD dst_unused:UNUSED_PAD src0_sel:WORD_1 src1_sel:DWORD
	s_movk_i32 s4, 0x7f
	v_cmp_lt_i16_e32 vcc, s4, v6
	s_mov_b64 s[4:5], 0
                                        ; implicit-def: $sgpr10
	s_and_saveexec_b64 s[6:7], vcc
	s_xor_b64 s[6:7], exec, s[6:7]
	s_cbranch_execnz .LBB10_3765
; %bb.1717:
	s_or_saveexec_b64 s[6:7], s[6:7]
	v_mov_b32_e32 v10, s10
	s_xor_b64 exec, exec, s[6:7]
	s_cbranch_execnz .LBB10_3768
.LBB10_1718:
	s_or_b64 exec, exec, s[6:7]
	s_and_saveexec_b64 s[6:7], s[4:5]
	s_cbranch_execz .LBB10_1720
.LBB10_1719:
	v_bfe_u32 v6, v3, 16, 3
	v_ffbh_u32_e32 v12, v6
	v_min_u32_e32 v12, 32, v12
	v_lshrrev_b32_e32 v10, 19, v3
	v_subrev_u32_e32 v13, 28, v12
	v_and_b32_e32 v10, 15, v10
	v_lshlrev_b32_sdwa v13, v13, v3 dst_sel:DWORD dst_unused:UNUSED_PAD src0_sel:DWORD src1_sel:WORD_1
	v_bfe_u32 v11, v3, 19, 4
	v_sub_u32_e32 v12, 29, v12
	v_and_b32_e32 v13, 7, v13
	v_cmp_eq_u16_e32 vcc, 0, v10
	v_cndmask_b32_e32 v6, v6, v13, vcc
	v_cndmask_b32_e32 v10, v11, v12, vcc
	v_lshlrev_b32_e32 v11, 8, v3
	v_mov_b32_e32 v12, 0x3b800000
	v_lshlrev_b32_e32 v6, 20, v6
	v_and_b32_e32 v11, 0x80000000, v11
	v_lshl_add_u32 v10, v10, 23, v12
	v_or3_b32 v10, v11, v10, v6
.LBB10_1720:
	s_or_b64 exec, exec, s[6:7]
	s_nop 0
	v_mfma_f32_16x16x4f32 a[0:3], v2, v10, a[0:3]
	s_movk_i32 s4, 0x7f
	v_cmp_gt_i16_sdwa s[6:7], v7, s4 src0_sel:BYTE_3 src1_sel:DWORD
	s_mov_b64 s[4:5], 0
                                        ; implicit-def: $sgpr10
	s_and_saveexec_b64 s[8:9], s[6:7]
	s_xor_b64 s[6:7], exec, s[8:9]
	s_cbranch_execnz .LBB10_3769
; %bb.1721:
	s_or_saveexec_b64 s[6:7], s[6:7]
	v_mov_b32_e32 v2, s10
	s_xor_b64 exec, exec, s[6:7]
	s_cbranch_execnz .LBB10_3772
.LBB10_1722:
	s_or_b64 exec, exec, s[6:7]
	s_and_saveexec_b64 s[6:7], s[4:5]
	s_cbranch_execz .LBB10_1724
.LBB10_1723:
	v_bfe_u32 v2, v7, 24, 3
	v_ffbh_u32_e32 v12, v2
	v_min_u32_e32 v12, 32, v12
	v_lshrrev_b32_e32 v10, 27, v7
	v_subrev_u32_e32 v13, 28, v12
	v_and_b32_e32 v6, 0x80000000, v7
	v_and_b32_e32 v10, 15, v10
	v_bfe_u32 v11, v7, 27, 4
	v_lshlrev_b32_sdwa v7, v13, v7 dst_sel:DWORD dst_unused:UNUSED_PAD src0_sel:DWORD src1_sel:BYTE_3
	v_sub_u32_e32 v12, 29, v12
	v_and_b32_e32 v7, 7, v7
	v_cmp_eq_u16_e32 vcc, 0, v10
	v_cndmask_b32_e32 v2, v2, v7, vcc
	v_cndmask_b32_e32 v7, v11, v12, vcc
	v_mov_b32_e32 v10, 0x3b800000
	v_lshlrev_b32_e32 v2, 20, v2
	v_lshl_add_u32 v7, v7, 23, v10
	v_or3_b32 v2, v6, v7, v2
.LBB10_1724:
	s_or_b64 exec, exec, s[6:7]
	s_movk_i32 s4, 0x7f
	v_cmp_gt_i16_sdwa s[6:7], v3, s4 src0_sel:BYTE_3 src1_sel:DWORD
	s_mov_b64 s[4:5], 0
                                        ; implicit-def: $sgpr10
	s_and_saveexec_b64 s[8:9], s[6:7]
	s_xor_b64 s[6:7], exec, s[8:9]
	s_cbranch_execnz .LBB10_3773
; %bb.1725:
	s_or_saveexec_b64 s[6:7], s[6:7]
	v_mov_b32_e32 v6, s10
	s_xor_b64 exec, exec, s[6:7]
	s_cbranch_execnz .LBB10_3776
.LBB10_1726:
	s_or_b64 exec, exec, s[6:7]
	s_and_saveexec_b64 s[6:7], s[4:5]
	s_cbranch_execz .LBB10_1728
.LBB10_1727:
	v_bfe_u32 v6, v3, 24, 3
	v_ffbh_u32_e32 v12, v6
	v_min_u32_e32 v12, 32, v12
	v_lshrrev_b32_e32 v10, 27, v3
	v_subrev_u32_e32 v13, 28, v12
	v_and_b32_e32 v7, 0x80000000, v3
	v_and_b32_e32 v10, 15, v10
	v_bfe_u32 v11, v3, 27, 4
	v_lshlrev_b32_sdwa v3, v13, v3 dst_sel:DWORD dst_unused:UNUSED_PAD src0_sel:DWORD src1_sel:BYTE_3
	v_sub_u32_e32 v12, 29, v12
	v_and_b32_e32 v3, 7, v3
	v_cmp_eq_u16_e32 vcc, 0, v10
	v_cndmask_b32_e32 v3, v6, v3, vcc
	v_cndmask_b32_e32 v6, v11, v12, vcc
	v_mov_b32_e32 v10, 0x3b800000
	v_lshlrev_b32_e32 v3, 20, v3
	v_lshl_add_u32 v6, v6, 23, v10
	v_or3_b32 v6, v7, v6, v3
.LBB10_1728:
	s_or_b64 exec, exec, s[6:7]
	s_nop 0
	v_mfma_f32_16x16x4f32 a[0:3], v2, v6, a[0:3]
	s_movk_i32 s4, 0x7f
	v_cmp_gt_i16_sdwa s[6:7], v8, s4 src0_sel:BYTE_0 src1_sel:DWORD
	s_mov_b64 s[4:5], 0
                                        ; implicit-def: $sgpr10
	s_and_saveexec_b64 s[8:9], s[6:7]
	s_xor_b64 s[6:7], exec, s[8:9]
	s_cbranch_execnz .LBB10_3777
; %bb.1729:
	s_or_saveexec_b64 s[6:7], s[6:7]
	v_mov_b32_e32 v2, s10
	s_xor_b64 exec, exec, s[6:7]
	s_cbranch_execnz .LBB10_3780
.LBB10_1730:
	s_or_b64 exec, exec, s[6:7]
	s_and_saveexec_b64 s[6:7], s[4:5]
	s_cbranch_execz .LBB10_1732
.LBB10_1731:
	v_and_b32_e32 v2, 7, v8
	v_ffbh_u32_e32 v6, v2
	v_min_u32_e32 v6, 32, v6
	v_lshrrev_b16_e32 v3, 3, v8
	v_subrev_u32_e32 v7, 28, v6
	v_and_b32_e32 v3, 15, v3
	v_lshlrev_b32_e32 v7, v7, v8
	v_sub_u32_e32 v6, 29, v6
	v_and_b32_e32 v7, 7, v7
	v_cmp_eq_u16_e32 vcc, 0, v3
	v_cndmask_b32_e32 v2, v2, v7, vcc
	v_cndmask_b32_e32 v3, v3, v6, vcc
	v_lshlrev_b32_e32 v6, 24, v8
	v_mov_b32_e32 v7, 0x3b800000
	v_lshlrev_b32_e32 v2, 20, v2
	v_and_b32_e32 v6, 0x80000000, v6
	v_lshl_add_u32 v3, v3, 23, v7
	v_or3_b32 v2, v6, v3, v2
.LBB10_1732:
	s_or_b64 exec, exec, s[6:7]
	s_movk_i32 s4, 0x7f
	v_cmp_gt_i16_sdwa s[6:7], v4, s4 src0_sel:BYTE_0 src1_sel:DWORD
	s_mov_b64 s[4:5], 0
                                        ; implicit-def: $sgpr10
	s_and_saveexec_b64 s[8:9], s[6:7]
	s_xor_b64 s[6:7], exec, s[8:9]
	s_cbranch_execnz .LBB10_3781
; %bb.1733:
	s_or_saveexec_b64 s[6:7], s[6:7]
	v_mov_b32_e32 v3, s10
	s_xor_b64 exec, exec, s[6:7]
	s_cbranch_execnz .LBB10_3784
.LBB10_1734:
	s_or_b64 exec, exec, s[6:7]
	s_and_saveexec_b64 s[6:7], s[4:5]
	s_cbranch_execz .LBB10_1736
.LBB10_1735:
	v_and_b32_e32 v3, 7, v4
	v_ffbh_u32_e32 v7, v3
	v_min_u32_e32 v7, 32, v7
	v_lshrrev_b16_e32 v6, 3, v4
	v_subrev_u32_e32 v10, 28, v7
	v_and_b32_e32 v6, 15, v6
	v_lshlrev_b32_e32 v10, v10, v4
	v_sub_u32_e32 v7, 29, v7
	v_and_b32_e32 v10, 7, v10
	v_cmp_eq_u16_e32 vcc, 0, v6
	v_cndmask_b32_e32 v3, v3, v10, vcc
	v_cndmask_b32_e32 v6, v6, v7, vcc
	v_lshlrev_b32_e32 v7, 24, v4
	v_mov_b32_e32 v10, 0x3b800000
	v_lshlrev_b32_e32 v3, 20, v3
	v_and_b32_e32 v7, 0x80000000, v7
	v_lshl_add_u32 v6, v6, 23, v10
	v_or3_b32 v3, v7, v6, v3
.LBB10_1736:
	s_or_b64 exec, exec, s[6:7]
	s_nop 0
	v_mfma_f32_16x16x4f32 a[0:3], v2, v3, a[0:3]
	v_lshrrev_b32_e32 v3, 8, v8
	s_movk_i32 s4, 0x7f
	v_cmp_gt_i16_sdwa s[6:7], v3, s4 src0_sel:BYTE_0 src1_sel:DWORD
	s_mov_b64 s[4:5], 0
                                        ; implicit-def: $sgpr10
	s_and_saveexec_b64 s[8:9], s[6:7]
	s_xor_b64 s[6:7], exec, s[8:9]
	s_cbranch_execnz .LBB10_3785
; %bb.1737:
	s_or_saveexec_b64 s[6:7], s[6:7]
	v_mov_b32_e32 v2, s10
	s_xor_b64 exec, exec, s[6:7]
	s_cbranch_execnz .LBB10_3788
.LBB10_1738:
	s_or_b64 exec, exec, s[6:7]
	s_and_saveexec_b64 s[6:7], s[4:5]
	s_cbranch_execz .LBB10_1740
.LBB10_1739:
	v_bfe_u32 v2, v8, 8, 3
	v_ffbh_u32_e32 v7, v2
	v_min_u32_e32 v7, 32, v7
	v_lshrrev_b16_e32 v6, 3, v3
	v_subrev_u32_e32 v10, 28, v7
	v_and_b32_e32 v6, 15, v6
	v_lshlrev_b32_e32 v3, v10, v3
	v_sub_u32_e32 v7, 29, v7
	v_and_b32_e32 v3, 7, v3
	v_cmp_eq_u16_e32 vcc, 0, v6
	v_cndmask_b32_e32 v2, v2, v3, vcc
	v_cndmask_b32_e32 v3, v6, v7, vcc
	v_lshlrev_b32_e32 v6, 16, v8
	v_mov_b32_e32 v7, 0x3b800000
	v_lshlrev_b32_e32 v2, 20, v2
	v_and_b32_e32 v6, 0x80000000, v6
	v_lshl_add_u32 v3, v3, 23, v7
	v_or3_b32 v2, v6, v3, v2
.LBB10_1740:
	s_or_b64 exec, exec, s[6:7]
	v_lshrrev_b32_e32 v3, 8, v4
	s_movk_i32 s4, 0x7f
	v_cmp_gt_i16_sdwa s[6:7], v3, s4 src0_sel:BYTE_0 src1_sel:DWORD
	s_mov_b64 s[4:5], 0
                                        ; implicit-def: $sgpr10
	s_and_saveexec_b64 s[8:9], s[6:7]
	s_xor_b64 s[6:7], exec, s[8:9]
	s_cbranch_execnz .LBB10_3789
; %bb.1741:
	s_or_saveexec_b64 s[6:7], s[6:7]
	v_mov_b32_e32 v6, s10
	s_xor_b64 exec, exec, s[6:7]
	s_cbranch_execnz .LBB10_3792
.LBB10_1742:
	s_or_b64 exec, exec, s[6:7]
	s_and_saveexec_b64 s[6:7], s[4:5]
	s_cbranch_execz .LBB10_1744
.LBB10_1743:
	v_bfe_u32 v6, v4, 8, 3
	v_ffbh_u32_e32 v10, v6
	v_min_u32_e32 v10, 32, v10
	v_lshrrev_b16_e32 v7, 3, v3
	v_subrev_u32_e32 v11, 28, v10
	v_and_b32_e32 v7, 15, v7
	v_lshlrev_b32_e32 v3, v11, v3
	v_sub_u32_e32 v10, 29, v10
	v_and_b32_e32 v3, 7, v3
	v_cmp_eq_u16_e32 vcc, 0, v7
	v_cndmask_b32_e32 v3, v6, v3, vcc
	v_cndmask_b32_e32 v6, v7, v10, vcc
	v_lshlrev_b32_e32 v7, 16, v4
	v_mov_b32_e32 v10, 0x3b800000
	v_lshlrev_b32_e32 v3, 20, v3
	v_and_b32_e32 v7, 0x80000000, v7
	v_lshl_add_u32 v6, v6, 23, v10
	v_or3_b32 v6, v7, v6, v3
.LBB10_1744:
	s_or_b64 exec, exec, s[6:7]
	s_nop 0
	v_mfma_f32_16x16x4f32 a[0:3], v2, v6, a[0:3]
	s_movk_i32 s4, 0xff
	v_and_b32_sdwa v3, v8, s4 dst_sel:DWORD dst_unused:UNUSED_PAD src0_sel:WORD_1 src1_sel:DWORD
	s_movk_i32 s4, 0x7f
	v_cmp_lt_i16_e32 vcc, s4, v3
	s_mov_b64 s[4:5], 0
                                        ; implicit-def: $sgpr10
	s_and_saveexec_b64 s[6:7], vcc
	s_xor_b64 s[6:7], exec, s[6:7]
	s_cbranch_execnz .LBB10_3793
; %bb.1745:
	s_or_saveexec_b64 s[6:7], s[6:7]
	v_mov_b32_e32 v2, s10
	s_xor_b64 exec, exec, s[6:7]
	s_cbranch_execnz .LBB10_3796
.LBB10_1746:
	s_or_b64 exec, exec, s[6:7]
	s_and_saveexec_b64 s[6:7], s[4:5]
	s_cbranch_execz .LBB10_1748
.LBB10_1747:
	v_bfe_u32 v2, v8, 16, 3
	v_ffbh_u32_e32 v7, v2
	v_min_u32_e32 v7, 32, v7
	v_lshrrev_b32_e32 v3, 19, v8
	v_subrev_u32_e32 v10, 28, v7
	v_and_b32_e32 v3, 15, v3
	v_lshlrev_b32_sdwa v10, v10, v8 dst_sel:DWORD dst_unused:UNUSED_PAD src0_sel:DWORD src1_sel:WORD_1
	v_bfe_u32 v6, v8, 19, 4
	v_sub_u32_e32 v7, 29, v7
	v_and_b32_e32 v10, 7, v10
	v_cmp_eq_u16_e32 vcc, 0, v3
	v_cndmask_b32_e32 v2, v2, v10, vcc
	v_cndmask_b32_e32 v3, v6, v7, vcc
	v_lshlrev_b32_e32 v6, 8, v8
	v_mov_b32_e32 v7, 0x3b800000
	v_lshlrev_b32_e32 v2, 20, v2
	v_and_b32_e32 v6, 0x80000000, v6
	v_lshl_add_u32 v3, v3, 23, v7
	v_or3_b32 v2, v6, v3, v2
.LBB10_1748:
	s_or_b64 exec, exec, s[6:7]
	s_movk_i32 s4, 0xff
	v_and_b32_sdwa v3, v4, s4 dst_sel:DWORD dst_unused:UNUSED_PAD src0_sel:WORD_1 src1_sel:DWORD
	s_movk_i32 s4, 0x7f
	v_cmp_lt_i16_e32 vcc, s4, v3
	s_mov_b64 s[4:5], 0
                                        ; implicit-def: $sgpr10
	s_and_saveexec_b64 s[6:7], vcc
	s_xor_b64 s[6:7], exec, s[6:7]
	s_cbranch_execnz .LBB10_3797
; %bb.1749:
	s_or_saveexec_b64 s[6:7], s[6:7]
	v_mov_b32_e32 v6, s10
	s_xor_b64 exec, exec, s[6:7]
	s_cbranch_execnz .LBB10_3800
.LBB10_1750:
	s_or_b64 exec, exec, s[6:7]
	s_and_saveexec_b64 s[6:7], s[4:5]
	s_cbranch_execz .LBB10_1752
.LBB10_1751:
	v_bfe_u32 v3, v4, 16, 3
	v_ffbh_u32_e32 v10, v3
	v_min_u32_e32 v10, 32, v10
	v_lshrrev_b32_e32 v6, 19, v4
	v_subrev_u32_e32 v11, 28, v10
	v_and_b32_e32 v6, 15, v6
	v_lshlrev_b32_sdwa v11, v11, v4 dst_sel:DWORD dst_unused:UNUSED_PAD src0_sel:DWORD src1_sel:WORD_1
	v_bfe_u32 v7, v4, 19, 4
	v_sub_u32_e32 v10, 29, v10
	v_and_b32_e32 v11, 7, v11
	v_cmp_eq_u16_e32 vcc, 0, v6
	v_cndmask_b32_e32 v3, v3, v11, vcc
	v_cndmask_b32_e32 v6, v7, v10, vcc
	v_lshlrev_b32_e32 v7, 8, v4
	v_mov_b32_e32 v10, 0x3b800000
	v_lshlrev_b32_e32 v3, 20, v3
	v_and_b32_e32 v7, 0x80000000, v7
	v_lshl_add_u32 v6, v6, 23, v10
	v_or3_b32 v6, v7, v6, v3
.LBB10_1752:
	s_or_b64 exec, exec, s[6:7]
	s_nop 0
	v_mfma_f32_16x16x4f32 a[0:3], v2, v6, a[0:3]
	s_movk_i32 s4, 0x7f
	v_cmp_gt_i16_sdwa s[6:7], v8, s4 src0_sel:BYTE_3 src1_sel:DWORD
	s_mov_b64 s[4:5], 0
                                        ; implicit-def: $sgpr10
	s_and_saveexec_b64 s[8:9], s[6:7]
	s_xor_b64 s[6:7], exec, s[8:9]
	s_cbranch_execnz .LBB10_3801
; %bb.1753:
	s_or_saveexec_b64 s[6:7], s[6:7]
	v_mov_b32_e32 v2, s10
	s_xor_b64 exec, exec, s[6:7]
	s_cbranch_execnz .LBB10_3804
.LBB10_1754:
	s_or_b64 exec, exec, s[6:7]
	s_and_saveexec_b64 s[6:7], s[4:5]
	s_cbranch_execz .LBB10_1756
.LBB10_1755:
	v_bfe_u32 v2, v8, 24, 3
	v_ffbh_u32_e32 v10, v2
	v_min_u32_e32 v10, 32, v10
	v_lshrrev_b32_e32 v6, 27, v8
	v_subrev_u32_e32 v11, 28, v10
	v_and_b32_e32 v3, 0x80000000, v8
	v_and_b32_e32 v6, 15, v6
	v_bfe_u32 v7, v8, 27, 4
	v_lshlrev_b32_sdwa v8, v11, v8 dst_sel:DWORD dst_unused:UNUSED_PAD src0_sel:DWORD src1_sel:BYTE_3
	v_sub_u32_e32 v10, 29, v10
	v_and_b32_e32 v8, 7, v8
	v_cmp_eq_u16_e32 vcc, 0, v6
	v_cndmask_b32_e32 v2, v2, v8, vcc
	v_cndmask_b32_e32 v6, v7, v10, vcc
	v_mov_b32_e32 v7, 0x3b800000
	v_lshlrev_b32_e32 v2, 20, v2
	v_lshl_add_u32 v6, v6, 23, v7
	v_or3_b32 v2, v3, v6, v2
.LBB10_1756:
	s_or_b64 exec, exec, s[6:7]
	s_movk_i32 s4, 0x7f
	v_cmp_gt_i16_sdwa s[6:7], v4, s4 src0_sel:BYTE_3 src1_sel:DWORD
	s_mov_b64 s[4:5], 0
                                        ; implicit-def: $sgpr10
	s_and_saveexec_b64 s[8:9], s[6:7]
	s_xor_b64 s[6:7], exec, s[8:9]
	s_cbranch_execnz .LBB10_3805
; %bb.1757:
	s_or_saveexec_b64 s[6:7], s[6:7]
	v_mov_b32_e32 v3, s10
	s_xor_b64 exec, exec, s[6:7]
	s_cbranch_execnz .LBB10_3808
.LBB10_1758:
	s_or_b64 exec, exec, s[6:7]
	s_and_saveexec_b64 s[6:7], s[4:5]
	s_cbranch_execz .LBB10_1760
.LBB10_1759:
	v_bfe_u32 v3, v4, 24, 3
	v_ffbh_u32_e32 v10, v3
	v_min_u32_e32 v10, 32, v10
	v_lshrrev_b32_e32 v7, 27, v4
	v_subrev_u32_e32 v11, 28, v10
	v_and_b32_e32 v6, 0x80000000, v4
	v_and_b32_e32 v7, 15, v7
	v_bfe_u32 v8, v4, 27, 4
	v_lshlrev_b32_sdwa v4, v11, v4 dst_sel:DWORD dst_unused:UNUSED_PAD src0_sel:DWORD src1_sel:BYTE_3
	v_sub_u32_e32 v10, 29, v10
	v_and_b32_e32 v4, 7, v4
	v_cmp_eq_u16_e32 vcc, 0, v7
	v_cndmask_b32_e32 v3, v3, v4, vcc
	v_cndmask_b32_e32 v4, v8, v10, vcc
	v_mov_b32_e32 v7, 0x3b800000
	v_lshlrev_b32_e32 v3, 20, v3
	v_lshl_add_u32 v4, v4, 23, v7
	v_or3_b32 v3, v6, v4, v3
.LBB10_1760:
	s_or_b64 exec, exec, s[6:7]
	s_nop 0
	v_mfma_f32_16x16x4f32 a[0:3], v2, v3, a[0:3]
	s_movk_i32 s4, 0x7f
	v_cmp_gt_i16_sdwa s[6:7], v9, s4 src0_sel:BYTE_0 src1_sel:DWORD
	s_mov_b64 s[4:5], 0
                                        ; implicit-def: $sgpr10
	s_and_saveexec_b64 s[8:9], s[6:7]
	s_xor_b64 s[6:7], exec, s[8:9]
	s_cbranch_execnz .LBB10_3809
; %bb.1761:
	s_or_saveexec_b64 s[6:7], s[6:7]
	v_mov_b32_e32 v2, s10
	s_xor_b64 exec, exec, s[6:7]
	s_cbranch_execnz .LBB10_3812
.LBB10_1762:
	s_or_b64 exec, exec, s[6:7]
	s_and_saveexec_b64 s[6:7], s[4:5]
	s_cbranch_execz .LBB10_1764
.LBB10_1763:
	v_mov_b32_e32 v2, 8
	v_and_b32_e32 v3, 7, v9
	v_lshrrev_b32_sdwa v2, v2, v9 dst_sel:BYTE_1 dst_unused:UNUSED_PAD src0_sel:DWORD src1_sel:DWORD
	v_ffbh_u32_e32 v4, v3
	v_or_b32_sdwa v2, v9, v2 dst_sel:DWORD dst_unused:UNUSED_PAD src0_sel:BYTE_0 src1_sel:DWORD
	v_min_u32_e32 v4, 32, v4
	v_lshrrev_b16_e32 v2, 3, v2
	v_subrev_u32_e32 v6, 28, v4
	v_and_b32_e32 v2, 15, v2
	v_lshlrev_b32_e32 v6, v6, v9
	v_sub_u32_e32 v4, 29, v4
	v_and_b32_e32 v6, 7, v6
	v_cmp_eq_u16_e32 vcc, 0, v2
	v_cndmask_b32_e32 v3, v3, v6, vcc
	v_cndmask_b32_e32 v2, v2, v4, vcc
	v_lshlrev_b32_e32 v4, 24, v9
	v_mov_b32_e32 v6, 0x3b800000
	v_lshlrev_b32_e32 v3, 20, v3
	v_and_b32_e32 v4, 0x80000000, v4
	v_lshl_add_u32 v2, v2, 23, v6
	v_or3_b32 v2, v4, v2, v3
.LBB10_1764:
	s_or_b64 exec, exec, s[6:7]
	s_movk_i32 s4, 0x7f
	v_cmp_gt_i16_sdwa s[6:7], v5, s4 src0_sel:BYTE_0 src1_sel:DWORD
	s_mov_b64 s[4:5], 0
                                        ; implicit-def: $sgpr10
	s_and_saveexec_b64 s[8:9], s[6:7]
	s_xor_b64 s[6:7], exec, s[8:9]
	s_cbranch_execnz .LBB10_3813
; %bb.1765:
	s_or_saveexec_b64 s[6:7], s[6:7]
	v_mov_b32_e32 v3, s10
	s_xor_b64 exec, exec, s[6:7]
	s_cbranch_execnz .LBB10_3816
.LBB10_1766:
	s_or_b64 exec, exec, s[6:7]
	s_and_saveexec_b64 s[6:7], s[4:5]
	s_cbranch_execz .LBB10_1768
.LBB10_1767:
	v_mov_b32_e32 v3, 8
	v_and_b32_e32 v4, 7, v5
	v_lshrrev_b32_sdwa v3, v3, v5 dst_sel:BYTE_1 dst_unused:UNUSED_PAD src0_sel:DWORD src1_sel:DWORD
	v_ffbh_u32_e32 v6, v4
	v_or_b32_sdwa v3, v5, v3 dst_sel:DWORD dst_unused:UNUSED_PAD src0_sel:BYTE_0 src1_sel:DWORD
	v_min_u32_e32 v6, 32, v6
	v_lshrrev_b16_e32 v3, 3, v3
	v_subrev_u32_e32 v7, 28, v6
	v_and_b32_e32 v3, 15, v3
	v_lshlrev_b32_e32 v7, v7, v5
	v_sub_u32_e32 v6, 29, v6
	v_and_b32_e32 v7, 7, v7
	v_cmp_eq_u16_e32 vcc, 0, v3
	v_cndmask_b32_e32 v4, v4, v7, vcc
	v_cndmask_b32_e32 v3, v3, v6, vcc
	v_lshlrev_b32_e32 v6, 24, v5
	v_mov_b32_e32 v7, 0x3b800000
	v_lshlrev_b32_e32 v4, 20, v4
	v_and_b32_e32 v6, 0x80000000, v6
	v_lshl_add_u32 v3, v3, 23, v7
	v_or3_b32 v3, v6, v3, v4
.LBB10_1768:
	s_or_b64 exec, exec, s[6:7]
	s_nop 0
	v_mfma_f32_16x16x4f32 a[0:3], v2, v3, a[0:3]
	v_lshrrev_b32_e32 v3, 8, v9
	s_movk_i32 s4, 0x7f
	v_cmp_gt_i16_sdwa s[6:7], v3, s4 src0_sel:BYTE_0 src1_sel:DWORD
	s_mov_b64 s[4:5], 0
                                        ; implicit-def: $sgpr10
	s_and_saveexec_b64 s[8:9], s[6:7]
	s_xor_b64 s[6:7], exec, s[8:9]
	s_cbranch_execnz .LBB10_3817
; %bb.1769:
	s_or_saveexec_b64 s[6:7], s[6:7]
	v_mov_b32_e32 v2, s10
	s_xor_b64 exec, exec, s[6:7]
	s_cbranch_execnz .LBB10_3820
.LBB10_1770:
	s_or_b64 exec, exec, s[6:7]
	s_and_saveexec_b64 s[6:7], s[4:5]
	s_cbranch_execz .LBB10_1772
.LBB10_1771:
	v_bfe_u32 v2, v9, 8, 3
	v_ffbh_u32_e32 v6, v2
	v_min_u32_e32 v6, 32, v6
	v_lshrrev_b16_e32 v4, 3, v3
	v_subrev_u32_e32 v7, 28, v6
	v_and_b32_e32 v4, 15, v4
	v_lshlrev_b32_e32 v3, v7, v3
	v_sub_u32_e32 v6, 29, v6
	v_and_b32_e32 v3, 7, v3
	v_cmp_eq_u16_e32 vcc, 0, v4
	v_cndmask_b32_e32 v2, v2, v3, vcc
	v_cndmask_b32_e32 v3, v4, v6, vcc
	v_lshlrev_b32_e32 v4, 16, v9
	v_mov_b32_e32 v6, 0x3b800000
	v_lshlrev_b32_e32 v2, 20, v2
	v_and_b32_e32 v4, 0x80000000, v4
	v_lshl_add_u32 v3, v3, 23, v6
	v_or3_b32 v2, v4, v3, v2
.LBB10_1772:
	s_or_b64 exec, exec, s[6:7]
	v_lshrrev_b32_e32 v3, 8, v5
	s_movk_i32 s4, 0x7f
	v_cmp_gt_i16_sdwa s[6:7], v3, s4 src0_sel:BYTE_0 src1_sel:DWORD
	s_mov_b64 s[4:5], 0
                                        ; implicit-def: $sgpr10
	s_and_saveexec_b64 s[8:9], s[6:7]
	s_xor_b64 s[6:7], exec, s[8:9]
	s_cbranch_execnz .LBB10_3821
; %bb.1773:
	s_or_saveexec_b64 s[6:7], s[6:7]
	v_mov_b32_e32 v4, s10
	s_xor_b64 exec, exec, s[6:7]
	s_cbranch_execnz .LBB10_3824
.LBB10_1774:
	s_or_b64 exec, exec, s[6:7]
	s_and_saveexec_b64 s[6:7], s[4:5]
	s_cbranch_execz .LBB10_1776
.LBB10_1775:
	v_bfe_u32 v4, v5, 8, 3
	v_ffbh_u32_e32 v7, v4
	v_min_u32_e32 v7, 32, v7
	v_lshrrev_b16_e32 v6, 3, v3
	v_subrev_u32_e32 v8, 28, v7
	v_and_b32_e32 v6, 15, v6
	v_lshlrev_b32_e32 v3, v8, v3
	v_sub_u32_e32 v7, 29, v7
	v_and_b32_e32 v3, 7, v3
	v_cmp_eq_u16_e32 vcc, 0, v6
	v_cndmask_b32_e32 v3, v4, v3, vcc
	v_cndmask_b32_e32 v4, v6, v7, vcc
	v_lshlrev_b32_e32 v6, 16, v5
	v_mov_b32_e32 v7, 0x3b800000
	v_lshlrev_b32_e32 v3, 20, v3
	v_and_b32_e32 v6, 0x80000000, v6
	v_lshl_add_u32 v4, v4, 23, v7
	v_or3_b32 v4, v6, v4, v3
.LBB10_1776:
	s_or_b64 exec, exec, s[6:7]
	s_nop 0
	v_mfma_f32_16x16x4f32 a[0:3], v2, v4, a[0:3]
	s_movk_i32 s4, 0xff
	v_and_b32_sdwa v3, v9, s4 dst_sel:DWORD dst_unused:UNUSED_PAD src0_sel:WORD_1 src1_sel:DWORD
	s_movk_i32 s4, 0x7f
	v_cmp_lt_i16_e32 vcc, s4, v3
	s_mov_b64 s[4:5], 0
                                        ; implicit-def: $sgpr10
	s_and_saveexec_b64 s[6:7], vcc
	s_xor_b64 s[6:7], exec, s[6:7]
	s_cbranch_execnz .LBB10_3825
; %bb.1777:
	s_or_saveexec_b64 s[6:7], s[6:7]
	v_mov_b32_e32 v2, s10
	s_xor_b64 exec, exec, s[6:7]
	s_cbranch_execnz .LBB10_3828
.LBB10_1778:
	s_or_b64 exec, exec, s[6:7]
	s_and_saveexec_b64 s[6:7], s[4:5]
	s_cbranch_execz .LBB10_1780
.LBB10_1779:
	v_bfe_u32 v2, v9, 16, 3
	v_ffbh_u32_e32 v6, v2
	v_min_u32_e32 v6, 32, v6
	v_lshrrev_b32_e32 v3, 19, v9
	v_subrev_u32_e32 v7, 28, v6
	v_and_b32_e32 v3, 15, v3
	v_lshlrev_b32_sdwa v7, v7, v9 dst_sel:DWORD dst_unused:UNUSED_PAD src0_sel:DWORD src1_sel:WORD_1
	v_bfe_u32 v4, v9, 19, 4
	v_sub_u32_e32 v6, 29, v6
	v_and_b32_e32 v7, 7, v7
	v_cmp_eq_u16_e32 vcc, 0, v3
	v_cndmask_b32_e32 v2, v2, v7, vcc
	v_cndmask_b32_e32 v3, v4, v6, vcc
	v_lshlrev_b32_e32 v4, 8, v9
	v_mov_b32_e32 v6, 0x3b800000
	v_lshlrev_b32_e32 v2, 20, v2
	v_and_b32_e32 v4, 0x80000000, v4
	v_lshl_add_u32 v3, v3, 23, v6
	v_or3_b32 v2, v4, v3, v2
.LBB10_1780:
	s_or_b64 exec, exec, s[6:7]
	s_movk_i32 s4, 0xff
	v_and_b32_sdwa v3, v5, s4 dst_sel:DWORD dst_unused:UNUSED_PAD src0_sel:WORD_1 src1_sel:DWORD
	s_movk_i32 s4, 0x7f
	v_cmp_lt_i16_e32 vcc, s4, v3
	s_mov_b64 s[4:5], 0
                                        ; implicit-def: $sgpr10
	s_and_saveexec_b64 s[6:7], vcc
	s_xor_b64 s[6:7], exec, s[6:7]
	s_cbranch_execnz .LBB10_3829
; %bb.1781:
	s_or_saveexec_b64 s[6:7], s[6:7]
	v_mov_b32_e32 v4, s10
	s_xor_b64 exec, exec, s[6:7]
	s_cbranch_execnz .LBB10_3832
.LBB10_1782:
	s_or_b64 exec, exec, s[6:7]
	s_and_saveexec_b64 s[6:7], s[4:5]
	s_cbranch_execz .LBB10_1784
.LBB10_1783:
	v_bfe_u32 v3, v5, 16, 3
	v_ffbh_u32_e32 v7, v3
	v_min_u32_e32 v7, 32, v7
	v_lshrrev_b32_e32 v4, 19, v5
	v_subrev_u32_e32 v8, 28, v7
	v_and_b32_e32 v4, 15, v4
	v_lshlrev_b32_sdwa v8, v8, v5 dst_sel:DWORD dst_unused:UNUSED_PAD src0_sel:DWORD src1_sel:WORD_1
	v_bfe_u32 v6, v5, 19, 4
	v_sub_u32_e32 v7, 29, v7
	v_and_b32_e32 v8, 7, v8
	v_cmp_eq_u16_e32 vcc, 0, v4
	v_cndmask_b32_e32 v3, v3, v8, vcc
	v_cndmask_b32_e32 v4, v6, v7, vcc
	v_lshlrev_b32_e32 v6, 8, v5
	v_mov_b32_e32 v7, 0x3b800000
	v_lshlrev_b32_e32 v3, 20, v3
	v_and_b32_e32 v6, 0x80000000, v6
	v_lshl_add_u32 v4, v4, 23, v7
	v_or3_b32 v4, v6, v4, v3
.LBB10_1784:
	s_or_b64 exec, exec, s[6:7]
	s_nop 0
	v_mfma_f32_16x16x4f32 a[0:3], v2, v4, a[0:3]
	s_movk_i32 s4, 0x7f
	v_cmp_gt_i16_sdwa s[6:7], v9, s4 src0_sel:BYTE_3 src1_sel:DWORD
	s_mov_b64 s[4:5], 0
                                        ; implicit-def: $sgpr10
	s_and_saveexec_b64 s[8:9], s[6:7]
	s_xor_b64 s[6:7], exec, s[8:9]
	s_cbranch_execnz .LBB10_3833
; %bb.1785:
	s_or_saveexec_b64 s[6:7], s[6:7]
	v_mov_b32_e32 v2, s10
	s_xor_b64 exec, exec, s[6:7]
	s_cbranch_execnz .LBB10_3836
.LBB10_1786:
	s_or_b64 exec, exec, s[6:7]
	s_and_saveexec_b64 s[6:7], s[4:5]
	s_cbranch_execz .LBB10_1788
.LBB10_1787:
	v_bfe_u32 v2, v9, 24, 3
	v_ffbh_u32_e32 v7, v2
	v_min_u32_e32 v7, 32, v7
	v_lshrrev_b32_e32 v4, 27, v9
	v_subrev_u32_e32 v8, 28, v7
	v_and_b32_e32 v4, 15, v4
	v_lshlrev_b32_sdwa v8, v8, v9 dst_sel:DWORD dst_unused:UNUSED_PAD src0_sel:DWORD src1_sel:BYTE_3
	v_bfe_u32 v6, v9, 27, 4
	v_sub_u32_e32 v7, 29, v7
	v_and_b32_e32 v8, 7, v8
	v_cmp_eq_u16_e32 vcc, 0, v4
	v_cndmask_b32_e32 v2, v2, v8, vcc
	v_cndmask_b32_e32 v4, v6, v7, vcc
	v_mov_b32_e32 v6, 0x3b800000
	v_and_b32_e32 v3, 0x80000000, v9
	v_lshlrev_b32_e32 v2, 20, v2
	v_lshl_add_u32 v4, v4, 23, v6
	v_or3_b32 v2, v3, v4, v2
.LBB10_1788:
	s_or_b64 exec, exec, s[6:7]
	s_movk_i32 s4, 0x7f
	v_cmp_gt_i16_sdwa s[6:7], v5, s4 src0_sel:BYTE_3 src1_sel:DWORD
	s_mov_b64 s[4:5], 0
                                        ; implicit-def: $sgpr10
	s_and_saveexec_b64 s[8:9], s[6:7]
	s_xor_b64 s[6:7], exec, s[8:9]
	s_cbranch_execnz .LBB10_3837
; %bb.1789:
	s_or_saveexec_b64 s[6:7], s[6:7]
	v_mov_b32_e32 v3, s10
	s_xor_b64 exec, exec, s[6:7]
	s_cbranch_execnz .LBB10_3840
.LBB10_1790:
	s_or_b64 exec, exec, s[6:7]
	s_and_saveexec_b64 s[6:7], s[4:5]
	s_cbranch_execz .LBB10_1792
.LBB10_1791:
	v_bfe_u32 v3, v5, 24, 3
	v_ffbh_u32_e32 v8, v3
	v_min_u32_e32 v8, 32, v8
	v_lshrrev_b32_e32 v6, 27, v5
	v_subrev_u32_e32 v9, 28, v8
	v_and_b32_e32 v4, 0x80000000, v5
	v_and_b32_e32 v6, 15, v6
	v_bfe_u32 v7, v5, 27, 4
	v_lshlrev_b32_sdwa v5, v9, v5 dst_sel:DWORD dst_unused:UNUSED_PAD src0_sel:DWORD src1_sel:BYTE_3
	v_sub_u32_e32 v8, 29, v8
	v_and_b32_e32 v5, 7, v5
	v_cmp_eq_u16_e32 vcc, 0, v6
	v_cndmask_b32_e32 v3, v3, v5, vcc
	v_cndmask_b32_e32 v5, v7, v8, vcc
	v_mov_b32_e32 v6, 0x3b800000
	v_lshlrev_b32_e32 v3, 20, v3
	v_lshl_add_u32 v5, v5, 23, v6
	v_or3_b32 v3, v4, v5, v3
.LBB10_1792:
	s_or_b64 exec, exec, s[6:7]
	s_nop 0
	v_mfma_f32_16x16x4f32 a[0:3], v2, v3, a[0:3]
	s_movk_i32 s4, 0x7f
                                        ; implicit-def: $sgpr10
	s_nop 7
	s_nop 1
	flat_store_dwordx4 v[18:19], a[0:3] offset:96
	flat_load_dwordx4 v[18:21], v[0:1] offset:16
	s_nop 0
	flat_load_dwordx2 v[16:17], v[0:1] offset:32
	s_waitcnt vmcnt(0) lgkmcnt(0)
	flat_load_dwordx4 v[12:15], v[18:19]
	flat_load_dwordx4 v[4:7], v[18:19] offset:16
	flat_load_dwordx4 v[8:11], v[20:21] offset:480
	;; [unrolled: 1-line block ×3, first 2 shown]
	s_waitcnt vmcnt(0) lgkmcnt(0)
	v_cmp_gt_i16_sdwa s[6:7], v12, s4 src0_sel:BYTE_0 src1_sel:DWORD
	s_mov_b64 s[4:5], 0
	s_and_saveexec_b64 s[8:9], s[6:7]
	s_xor_b64 s[6:7], exec, s[8:9]
	s_cbranch_execnz .LBB10_3841
; %bb.1793:
	s_or_saveexec_b64 s[6:7], s[6:7]
	v_mov_b32_e32 v18, s10
	s_xor_b64 exec, exec, s[6:7]
	s_cbranch_execnz .LBB10_3844
.LBB10_1794:
	s_or_b64 exec, exec, s[6:7]
	s_and_saveexec_b64 s[6:7], s[4:5]
	s_cbranch_execz .LBB10_1796
.LBB10_1795:
	v_and_b32_e32 v18, 7, v12
	v_ffbh_u32_e32 v20, v18
	v_min_u32_e32 v20, 32, v20
	v_lshrrev_b16_e32 v19, 3, v12
	v_subrev_u32_e32 v21, 28, v20
	v_and_b32_e32 v19, 15, v19
	v_lshlrev_b32_e32 v21, v21, v12
	v_sub_u32_e32 v20, 29, v20
	v_and_b32_e32 v21, 7, v21
	v_cmp_eq_u16_e32 vcc, 0, v19
	v_cndmask_b32_e32 v18, v18, v21, vcc
	v_cndmask_b32_e32 v19, v19, v20, vcc
	v_lshlrev_b32_e32 v20, 24, v12
	v_mov_b32_e32 v21, 0x3b800000
	v_lshlrev_b32_e32 v18, 20, v18
	v_and_b32_e32 v20, 0x80000000, v20
	v_lshl_add_u32 v19, v19, 23, v21
	v_or3_b32 v18, v20, v19, v18
.LBB10_1796:
	s_or_b64 exec, exec, s[6:7]
	s_movk_i32 s4, 0x7f
	v_cmp_gt_i16_sdwa s[6:7], v8, s4 src0_sel:BYTE_0 src1_sel:DWORD
	s_mov_b64 s[4:5], 0
                                        ; implicit-def: $sgpr10
	s_and_saveexec_b64 s[8:9], s[6:7]
	s_xor_b64 s[6:7], exec, s[8:9]
	s_cbranch_execnz .LBB10_3845
; %bb.1797:
	s_or_saveexec_b64 s[6:7], s[6:7]
	v_mov_b32_e32 v19, s10
	s_xor_b64 exec, exec, s[6:7]
	s_cbranch_execnz .LBB10_3848
.LBB10_1798:
	s_or_b64 exec, exec, s[6:7]
	s_and_saveexec_b64 s[6:7], s[4:5]
	s_cbranch_execz .LBB10_1800
.LBB10_1799:
	v_and_b32_e32 v19, 7, v8
	v_ffbh_u32_e32 v21, v19
	v_min_u32_e32 v21, 32, v21
	v_lshrrev_b16_e32 v20, 3, v8
	v_subrev_u32_e32 v22, 28, v21
	v_and_b32_e32 v20, 15, v20
	v_lshlrev_b32_e32 v22, v22, v8
	v_sub_u32_e32 v21, 29, v21
	v_and_b32_e32 v22, 7, v22
	v_cmp_eq_u16_e32 vcc, 0, v20
	v_cndmask_b32_e32 v19, v19, v22, vcc
	v_cndmask_b32_e32 v20, v20, v21, vcc
	v_lshlrev_b32_e32 v21, 24, v8
	v_mov_b32_e32 v22, 0x3b800000
	v_lshlrev_b32_e32 v19, 20, v19
	v_and_b32_e32 v21, 0x80000000, v21
	v_lshl_add_u32 v20, v20, 23, v22
	v_or3_b32 v19, v21, v20, v19
.LBB10_1800:
	s_or_b64 exec, exec, s[6:7]
	flat_load_dwordx4 a[0:3], v[16:17] offset:112
	s_movk_i32 s4, 0x7f
                                        ; implicit-def: $sgpr10
	s_waitcnt vmcnt(0) lgkmcnt(0)
	v_mfma_f32_16x16x4f32 a[0:3], v18, v19, a[0:3]
	v_lshrrev_b32_e32 v19, 8, v12
	v_cmp_gt_i16_sdwa s[6:7], v19, s4 src0_sel:BYTE_0 src1_sel:DWORD
	s_mov_b64 s[4:5], 0
	s_and_saveexec_b64 s[8:9], s[6:7]
	s_xor_b64 s[6:7], exec, s[8:9]
	s_cbranch_execnz .LBB10_3849
; %bb.1801:
	s_or_saveexec_b64 s[6:7], s[6:7]
	v_mov_b32_e32 v18, s10
	s_xor_b64 exec, exec, s[6:7]
	s_cbranch_execnz .LBB10_3852
.LBB10_1802:
	s_or_b64 exec, exec, s[6:7]
	s_and_saveexec_b64 s[6:7], s[4:5]
	s_cbranch_execz .LBB10_1804
.LBB10_1803:
	v_bfe_u32 v18, v12, 8, 3
	v_ffbh_u32_e32 v21, v18
	v_min_u32_e32 v21, 32, v21
	v_lshrrev_b16_e32 v20, 3, v19
	v_subrev_u32_e32 v22, 28, v21
	v_and_b32_e32 v20, 15, v20
	v_lshlrev_b32_e32 v19, v22, v19
	v_sub_u32_e32 v21, 29, v21
	v_and_b32_e32 v19, 7, v19
	v_cmp_eq_u16_e32 vcc, 0, v20
	v_cndmask_b32_e32 v18, v18, v19, vcc
	v_cndmask_b32_e32 v19, v20, v21, vcc
	v_lshlrev_b32_e32 v20, 16, v12
	v_mov_b32_e32 v21, 0x3b800000
	v_lshlrev_b32_e32 v18, 20, v18
	v_and_b32_e32 v20, 0x80000000, v20
	v_lshl_add_u32 v19, v19, 23, v21
	v_or3_b32 v18, v20, v19, v18
.LBB10_1804:
	s_or_b64 exec, exec, s[6:7]
	v_lshrrev_b32_e32 v19, 8, v8
	s_movk_i32 s4, 0x7f
	v_cmp_gt_i16_sdwa s[6:7], v19, s4 src0_sel:BYTE_0 src1_sel:DWORD
	s_mov_b64 s[4:5], 0
                                        ; implicit-def: $sgpr10
	s_and_saveexec_b64 s[8:9], s[6:7]
	s_xor_b64 s[6:7], exec, s[8:9]
	s_cbranch_execnz .LBB10_3853
; %bb.1805:
	s_or_saveexec_b64 s[6:7], s[6:7]
	v_mov_b32_e32 v20, s10
	s_xor_b64 exec, exec, s[6:7]
	s_cbranch_execnz .LBB10_3856
.LBB10_1806:
	s_or_b64 exec, exec, s[6:7]
	s_and_saveexec_b64 s[6:7], s[4:5]
	s_cbranch_execz .LBB10_1808
.LBB10_1807:
	v_bfe_u32 v20, v8, 8, 3
	v_ffbh_u32_e32 v22, v20
	v_min_u32_e32 v22, 32, v22
	v_lshrrev_b16_e32 v21, 3, v19
	v_subrev_u32_e32 v23, 28, v22
	v_and_b32_e32 v21, 15, v21
	v_lshlrev_b32_e32 v19, v23, v19
	v_sub_u32_e32 v22, 29, v22
	v_and_b32_e32 v19, 7, v19
	v_cmp_eq_u16_e32 vcc, 0, v21
	v_cndmask_b32_e32 v19, v20, v19, vcc
	v_cndmask_b32_e32 v20, v21, v22, vcc
	v_lshlrev_b32_e32 v21, 16, v8
	v_mov_b32_e32 v22, 0x3b800000
	v_lshlrev_b32_e32 v19, 20, v19
	v_and_b32_e32 v21, 0x80000000, v21
	v_lshl_add_u32 v20, v20, 23, v22
	v_or3_b32 v20, v21, v20, v19
.LBB10_1808:
	s_or_b64 exec, exec, s[6:7]
	s_nop 0
	v_mfma_f32_16x16x4f32 a[0:3], v18, v20, a[0:3]
	s_movk_i32 s4, 0xff
	v_and_b32_sdwa v19, v12, s4 dst_sel:DWORD dst_unused:UNUSED_PAD src0_sel:WORD_1 src1_sel:DWORD
	s_movk_i32 s4, 0x7f
	v_cmp_lt_i16_e32 vcc, s4, v19
	s_mov_b64 s[4:5], 0
                                        ; implicit-def: $sgpr10
	s_and_saveexec_b64 s[6:7], vcc
	s_xor_b64 s[6:7], exec, s[6:7]
	s_cbranch_execnz .LBB10_3857
; %bb.1809:
	s_or_saveexec_b64 s[6:7], s[6:7]
	v_mov_b32_e32 v18, s10
	s_xor_b64 exec, exec, s[6:7]
	s_cbranch_execnz .LBB10_3860
.LBB10_1810:
	s_or_b64 exec, exec, s[6:7]
	s_and_saveexec_b64 s[6:7], s[4:5]
	s_cbranch_execz .LBB10_1812
.LBB10_1811:
	v_bfe_u32 v18, v12, 16, 3
	v_ffbh_u32_e32 v21, v18
	v_min_u32_e32 v21, 32, v21
	v_lshrrev_b32_e32 v19, 19, v12
	v_subrev_u32_e32 v22, 28, v21
	v_and_b32_e32 v19, 15, v19
	v_lshlrev_b32_sdwa v22, v22, v12 dst_sel:DWORD dst_unused:UNUSED_PAD src0_sel:DWORD src1_sel:WORD_1
	v_bfe_u32 v20, v12, 19, 4
	v_sub_u32_e32 v21, 29, v21
	v_and_b32_e32 v22, 7, v22
	v_cmp_eq_u16_e32 vcc, 0, v19
	v_cndmask_b32_e32 v18, v18, v22, vcc
	v_cndmask_b32_e32 v19, v20, v21, vcc
	v_lshlrev_b32_e32 v20, 8, v12
	v_mov_b32_e32 v21, 0x3b800000
	v_lshlrev_b32_e32 v18, 20, v18
	v_and_b32_e32 v20, 0x80000000, v20
	v_lshl_add_u32 v19, v19, 23, v21
	v_or3_b32 v18, v20, v19, v18
.LBB10_1812:
	s_or_b64 exec, exec, s[6:7]
	s_movk_i32 s4, 0xff
	v_and_b32_sdwa v19, v8, s4 dst_sel:DWORD dst_unused:UNUSED_PAD src0_sel:WORD_1 src1_sel:DWORD
	s_movk_i32 s4, 0x7f
	v_cmp_lt_i16_e32 vcc, s4, v19
	s_mov_b64 s[4:5], 0
                                        ; implicit-def: $sgpr10
	s_and_saveexec_b64 s[6:7], vcc
	s_xor_b64 s[6:7], exec, s[6:7]
	s_cbranch_execnz .LBB10_3861
; %bb.1813:
	s_or_saveexec_b64 s[6:7], s[6:7]
	v_mov_b32_e32 v20, s10
	s_xor_b64 exec, exec, s[6:7]
	s_cbranch_execnz .LBB10_3864
.LBB10_1814:
	s_or_b64 exec, exec, s[6:7]
	s_and_saveexec_b64 s[6:7], s[4:5]
	s_cbranch_execz .LBB10_1816
.LBB10_1815:
	v_bfe_u32 v19, v8, 16, 3
	v_ffbh_u32_e32 v22, v19
	v_min_u32_e32 v22, 32, v22
	v_lshrrev_b32_e32 v20, 19, v8
	v_subrev_u32_e32 v23, 28, v22
	v_and_b32_e32 v20, 15, v20
	v_lshlrev_b32_sdwa v23, v23, v8 dst_sel:DWORD dst_unused:UNUSED_PAD src0_sel:DWORD src1_sel:WORD_1
	v_bfe_u32 v21, v8, 19, 4
	v_sub_u32_e32 v22, 29, v22
	v_and_b32_e32 v23, 7, v23
	v_cmp_eq_u16_e32 vcc, 0, v20
	v_cndmask_b32_e32 v19, v19, v23, vcc
	v_cndmask_b32_e32 v20, v21, v22, vcc
	v_lshlrev_b32_e32 v21, 8, v8
	v_mov_b32_e32 v22, 0x3b800000
	v_lshlrev_b32_e32 v19, 20, v19
	v_and_b32_e32 v21, 0x80000000, v21
	v_lshl_add_u32 v20, v20, 23, v22
	v_or3_b32 v20, v21, v20, v19
.LBB10_1816:
	s_or_b64 exec, exec, s[6:7]
	s_nop 0
	v_mfma_f32_16x16x4f32 a[0:3], v18, v20, a[0:3]
	s_movk_i32 s4, 0x7f
	v_cmp_gt_i16_sdwa s[6:7], v12, s4 src0_sel:BYTE_3 src1_sel:DWORD
	s_mov_b64 s[4:5], 0
                                        ; implicit-def: $sgpr10
	s_and_saveexec_b64 s[8:9], s[6:7]
	s_xor_b64 s[6:7], exec, s[8:9]
	s_cbranch_execnz .LBB10_3865
; %bb.1817:
	s_or_saveexec_b64 s[6:7], s[6:7]
	v_mov_b32_e32 v18, s10
	s_xor_b64 exec, exec, s[6:7]
	s_cbranch_execnz .LBB10_3868
.LBB10_1818:
	s_or_b64 exec, exec, s[6:7]
	s_and_saveexec_b64 s[6:7], s[4:5]
	s_cbranch_execz .LBB10_1820
.LBB10_1819:
	v_bfe_u32 v18, v12, 24, 3
	v_ffbh_u32_e32 v22, v18
	v_min_u32_e32 v22, 32, v22
	v_lshrrev_b32_e32 v20, 27, v12
	v_subrev_u32_e32 v23, 28, v22
	v_and_b32_e32 v19, 0x80000000, v12
	v_and_b32_e32 v20, 15, v20
	v_bfe_u32 v21, v12, 27, 4
	v_lshlrev_b32_sdwa v12, v23, v12 dst_sel:DWORD dst_unused:UNUSED_PAD src0_sel:DWORD src1_sel:BYTE_3
	v_sub_u32_e32 v22, 29, v22
	v_and_b32_e32 v12, 7, v12
	v_cmp_eq_u16_e32 vcc, 0, v20
	v_cndmask_b32_e32 v12, v18, v12, vcc
	v_cndmask_b32_e32 v18, v21, v22, vcc
	v_mov_b32_e32 v20, 0x3b800000
	v_lshlrev_b32_e32 v12, 20, v12
	v_lshl_add_u32 v18, v18, 23, v20
	v_or3_b32 v18, v19, v18, v12
.LBB10_1820:
	s_or_b64 exec, exec, s[6:7]
	s_movk_i32 s4, 0x7f
	v_cmp_gt_i16_sdwa s[6:7], v8, s4 src0_sel:BYTE_3 src1_sel:DWORD
	s_mov_b64 s[4:5], 0
                                        ; implicit-def: $sgpr10
	s_and_saveexec_b64 s[8:9], s[6:7]
	s_xor_b64 s[6:7], exec, s[8:9]
	s_cbranch_execnz .LBB10_3869
; %bb.1821:
	s_or_saveexec_b64 s[6:7], s[6:7]
	v_mov_b32_e32 v12, s10
	s_xor_b64 exec, exec, s[6:7]
	s_cbranch_execnz .LBB10_3872
.LBB10_1822:
	s_or_b64 exec, exec, s[6:7]
	s_and_saveexec_b64 s[6:7], s[4:5]
	s_cbranch_execz .LBB10_1824
.LBB10_1823:
	v_bfe_u32 v12, v8, 24, 3
	v_ffbh_u32_e32 v22, v12
	v_min_u32_e32 v22, 32, v22
	v_lshrrev_b32_e32 v20, 27, v8
	v_subrev_u32_e32 v23, 28, v22
	v_and_b32_e32 v19, 0x80000000, v8
	v_and_b32_e32 v20, 15, v20
	v_bfe_u32 v21, v8, 27, 4
	v_lshlrev_b32_sdwa v8, v23, v8 dst_sel:DWORD dst_unused:UNUSED_PAD src0_sel:DWORD src1_sel:BYTE_3
	v_sub_u32_e32 v22, 29, v22
	v_and_b32_e32 v8, 7, v8
	v_cmp_eq_u16_e32 vcc, 0, v20
	v_cndmask_b32_e32 v8, v12, v8, vcc
	v_cndmask_b32_e32 v12, v21, v22, vcc
	v_mov_b32_e32 v20, 0x3b800000
	v_lshlrev_b32_e32 v8, 20, v8
	v_lshl_add_u32 v12, v12, 23, v20
	v_or3_b32 v12, v19, v12, v8
.LBB10_1824:
	s_or_b64 exec, exec, s[6:7]
	s_nop 0
	v_mfma_f32_16x16x4f32 a[0:3], v18, v12, a[0:3]
	s_movk_i32 s4, 0x7f
	v_cmp_gt_i16_sdwa s[6:7], v13, s4 src0_sel:BYTE_0 src1_sel:DWORD
	s_mov_b64 s[4:5], 0
                                        ; implicit-def: $sgpr10
	s_and_saveexec_b64 s[8:9], s[6:7]
	s_xor_b64 s[6:7], exec, s[8:9]
	s_cbranch_execnz .LBB10_3873
; %bb.1825:
	s_or_saveexec_b64 s[6:7], s[6:7]
	v_mov_b32_e32 v8, s10
	s_xor_b64 exec, exec, s[6:7]
	s_cbranch_execnz .LBB10_3876
.LBB10_1826:
	s_or_b64 exec, exec, s[6:7]
	s_and_saveexec_b64 s[6:7], s[4:5]
	s_cbranch_execz .LBB10_1828
.LBB10_1827:
	v_and_b32_e32 v8, 7, v13
	v_ffbh_u32_e32 v18, v8
	v_min_u32_e32 v18, 32, v18
	v_lshrrev_b16_e32 v12, 3, v13
	v_subrev_u32_e32 v19, 28, v18
	v_and_b32_e32 v12, 15, v12
	v_lshlrev_b32_e32 v19, v19, v13
	v_sub_u32_e32 v18, 29, v18
	v_and_b32_e32 v19, 7, v19
	v_cmp_eq_u16_e32 vcc, 0, v12
	v_cndmask_b32_e32 v8, v8, v19, vcc
	v_cndmask_b32_e32 v12, v12, v18, vcc
	v_lshlrev_b32_e32 v18, 24, v13
	v_mov_b32_e32 v19, 0x3b800000
	v_lshlrev_b32_e32 v8, 20, v8
	v_and_b32_e32 v18, 0x80000000, v18
	v_lshl_add_u32 v12, v12, 23, v19
	v_or3_b32 v8, v18, v12, v8
.LBB10_1828:
	s_or_b64 exec, exec, s[6:7]
	s_movk_i32 s4, 0x7f
	v_cmp_gt_i16_sdwa s[6:7], v9, s4 src0_sel:BYTE_0 src1_sel:DWORD
	s_mov_b64 s[4:5], 0
                                        ; implicit-def: $sgpr10
	s_and_saveexec_b64 s[8:9], s[6:7]
	s_xor_b64 s[6:7], exec, s[8:9]
	s_cbranch_execnz .LBB10_3877
; %bb.1829:
	s_or_saveexec_b64 s[6:7], s[6:7]
	v_mov_b32_e32 v12, s10
	s_xor_b64 exec, exec, s[6:7]
	s_cbranch_execnz .LBB10_3880
.LBB10_1830:
	s_or_b64 exec, exec, s[6:7]
	s_and_saveexec_b64 s[6:7], s[4:5]
	s_cbranch_execz .LBB10_1832
.LBB10_1831:
	v_and_b32_e32 v12, 7, v9
	v_ffbh_u32_e32 v19, v12
	v_min_u32_e32 v19, 32, v19
	v_lshrrev_b16_e32 v18, 3, v9
	v_subrev_u32_e32 v20, 28, v19
	v_and_b32_e32 v18, 15, v18
	v_lshlrev_b32_e32 v20, v20, v9
	v_sub_u32_e32 v19, 29, v19
	v_and_b32_e32 v20, 7, v20
	v_cmp_eq_u16_e32 vcc, 0, v18
	v_cndmask_b32_e32 v12, v12, v20, vcc
	v_cndmask_b32_e32 v18, v18, v19, vcc
	v_lshlrev_b32_e32 v19, 24, v9
	v_mov_b32_e32 v20, 0x3b800000
	v_lshlrev_b32_e32 v12, 20, v12
	v_and_b32_e32 v19, 0x80000000, v19
	v_lshl_add_u32 v18, v18, 23, v20
	v_or3_b32 v12, v19, v18, v12
.LBB10_1832:
	s_or_b64 exec, exec, s[6:7]
	s_nop 0
	v_mfma_f32_16x16x4f32 a[0:3], v8, v12, a[0:3]
	v_lshrrev_b32_e32 v12, 8, v13
	s_movk_i32 s4, 0x7f
	v_cmp_gt_i16_sdwa s[6:7], v12, s4 src0_sel:BYTE_0 src1_sel:DWORD
	s_mov_b64 s[4:5], 0
                                        ; implicit-def: $sgpr10
	s_and_saveexec_b64 s[8:9], s[6:7]
	s_xor_b64 s[6:7], exec, s[8:9]
	s_cbranch_execnz .LBB10_3881
; %bb.1833:
	s_or_saveexec_b64 s[6:7], s[6:7]
	v_mov_b32_e32 v8, s10
	s_xor_b64 exec, exec, s[6:7]
	s_cbranch_execnz .LBB10_3884
.LBB10_1834:
	s_or_b64 exec, exec, s[6:7]
	s_and_saveexec_b64 s[6:7], s[4:5]
	s_cbranch_execz .LBB10_1836
.LBB10_1835:
	v_bfe_u32 v8, v13, 8, 3
	v_ffbh_u32_e32 v19, v8
	v_min_u32_e32 v19, 32, v19
	v_lshrrev_b16_e32 v18, 3, v12
	v_subrev_u32_e32 v20, 28, v19
	v_and_b32_e32 v18, 15, v18
	v_lshlrev_b32_e32 v12, v20, v12
	v_sub_u32_e32 v19, 29, v19
	v_and_b32_e32 v12, 7, v12
	v_cmp_eq_u16_e32 vcc, 0, v18
	v_cndmask_b32_e32 v8, v8, v12, vcc
	v_cndmask_b32_e32 v12, v18, v19, vcc
	v_lshlrev_b32_e32 v18, 16, v13
	v_mov_b32_e32 v19, 0x3b800000
	v_lshlrev_b32_e32 v8, 20, v8
	v_and_b32_e32 v18, 0x80000000, v18
	v_lshl_add_u32 v12, v12, 23, v19
	v_or3_b32 v8, v18, v12, v8
.LBB10_1836:
	s_or_b64 exec, exec, s[6:7]
	v_lshrrev_b32_e32 v12, 8, v9
	s_movk_i32 s4, 0x7f
	v_cmp_gt_i16_sdwa s[6:7], v12, s4 src0_sel:BYTE_0 src1_sel:DWORD
	s_mov_b64 s[4:5], 0
                                        ; implicit-def: $sgpr10
	s_and_saveexec_b64 s[8:9], s[6:7]
	s_xor_b64 s[6:7], exec, s[8:9]
	s_cbranch_execnz .LBB10_3885
; %bb.1837:
	s_or_saveexec_b64 s[6:7], s[6:7]
	v_mov_b32_e32 v18, s10
	s_xor_b64 exec, exec, s[6:7]
	s_cbranch_execnz .LBB10_3888
.LBB10_1838:
	s_or_b64 exec, exec, s[6:7]
	s_and_saveexec_b64 s[6:7], s[4:5]
	s_cbranch_execz .LBB10_1840
.LBB10_1839:
	v_bfe_u32 v18, v9, 8, 3
	v_ffbh_u32_e32 v20, v18
	v_min_u32_e32 v20, 32, v20
	v_lshrrev_b16_e32 v19, 3, v12
	v_subrev_u32_e32 v21, 28, v20
	v_and_b32_e32 v19, 15, v19
	v_lshlrev_b32_e32 v12, v21, v12
	v_sub_u32_e32 v20, 29, v20
	v_and_b32_e32 v12, 7, v12
	v_cmp_eq_u16_e32 vcc, 0, v19
	v_cndmask_b32_e32 v12, v18, v12, vcc
	v_cndmask_b32_e32 v18, v19, v20, vcc
	v_lshlrev_b32_e32 v19, 16, v9
	v_mov_b32_e32 v20, 0x3b800000
	v_lshlrev_b32_e32 v12, 20, v12
	v_and_b32_e32 v19, 0x80000000, v19
	v_lshl_add_u32 v18, v18, 23, v20
	v_or3_b32 v18, v19, v18, v12
.LBB10_1840:
	s_or_b64 exec, exec, s[6:7]
	s_nop 0
	v_mfma_f32_16x16x4f32 a[0:3], v8, v18, a[0:3]
	s_movk_i32 s4, 0xff
	v_and_b32_sdwa v12, v13, s4 dst_sel:DWORD dst_unused:UNUSED_PAD src0_sel:WORD_1 src1_sel:DWORD
	s_movk_i32 s4, 0x7f
	v_cmp_lt_i16_e32 vcc, s4, v12
	s_mov_b64 s[4:5], 0
                                        ; implicit-def: $sgpr10
	s_and_saveexec_b64 s[6:7], vcc
	s_xor_b64 s[6:7], exec, s[6:7]
	s_cbranch_execnz .LBB10_3889
; %bb.1841:
	s_or_saveexec_b64 s[6:7], s[6:7]
	v_mov_b32_e32 v8, s10
	s_xor_b64 exec, exec, s[6:7]
	s_cbranch_execnz .LBB10_3892
.LBB10_1842:
	s_or_b64 exec, exec, s[6:7]
	s_and_saveexec_b64 s[6:7], s[4:5]
	s_cbranch_execz .LBB10_1844
.LBB10_1843:
	v_bfe_u32 v8, v13, 16, 3
	v_ffbh_u32_e32 v19, v8
	v_min_u32_e32 v19, 32, v19
	v_lshrrev_b32_e32 v12, 19, v13
	v_subrev_u32_e32 v20, 28, v19
	v_and_b32_e32 v12, 15, v12
	v_lshlrev_b32_sdwa v20, v20, v13 dst_sel:DWORD dst_unused:UNUSED_PAD src0_sel:DWORD src1_sel:WORD_1
	v_bfe_u32 v18, v13, 19, 4
	v_sub_u32_e32 v19, 29, v19
	v_and_b32_e32 v20, 7, v20
	v_cmp_eq_u16_e32 vcc, 0, v12
	v_cndmask_b32_e32 v8, v8, v20, vcc
	v_cndmask_b32_e32 v12, v18, v19, vcc
	v_lshlrev_b32_e32 v18, 8, v13
	v_mov_b32_e32 v19, 0x3b800000
	v_lshlrev_b32_e32 v8, 20, v8
	v_and_b32_e32 v18, 0x80000000, v18
	v_lshl_add_u32 v12, v12, 23, v19
	v_or3_b32 v8, v18, v12, v8
.LBB10_1844:
	s_or_b64 exec, exec, s[6:7]
	s_movk_i32 s4, 0xff
	v_and_b32_sdwa v12, v9, s4 dst_sel:DWORD dst_unused:UNUSED_PAD src0_sel:WORD_1 src1_sel:DWORD
	s_movk_i32 s4, 0x7f
	v_cmp_lt_i16_e32 vcc, s4, v12
	s_mov_b64 s[4:5], 0
                                        ; implicit-def: $sgpr10
	s_and_saveexec_b64 s[6:7], vcc
	s_xor_b64 s[6:7], exec, s[6:7]
	s_cbranch_execnz .LBB10_3893
; %bb.1845:
	s_or_saveexec_b64 s[6:7], s[6:7]
	v_mov_b32_e32 v18, s10
	s_xor_b64 exec, exec, s[6:7]
	s_cbranch_execnz .LBB10_3896
.LBB10_1846:
	s_or_b64 exec, exec, s[6:7]
	s_and_saveexec_b64 s[6:7], s[4:5]
	s_cbranch_execz .LBB10_1848
.LBB10_1847:
	v_bfe_u32 v12, v9, 16, 3
	v_ffbh_u32_e32 v20, v12
	v_min_u32_e32 v20, 32, v20
	v_lshrrev_b32_e32 v18, 19, v9
	v_subrev_u32_e32 v21, 28, v20
	v_and_b32_e32 v18, 15, v18
	v_lshlrev_b32_sdwa v21, v21, v9 dst_sel:DWORD dst_unused:UNUSED_PAD src0_sel:DWORD src1_sel:WORD_1
	v_bfe_u32 v19, v9, 19, 4
	v_sub_u32_e32 v20, 29, v20
	v_and_b32_e32 v21, 7, v21
	v_cmp_eq_u16_e32 vcc, 0, v18
	v_cndmask_b32_e32 v12, v12, v21, vcc
	v_cndmask_b32_e32 v18, v19, v20, vcc
	v_lshlrev_b32_e32 v19, 8, v9
	v_mov_b32_e32 v20, 0x3b800000
	v_lshlrev_b32_e32 v12, 20, v12
	v_and_b32_e32 v19, 0x80000000, v19
	v_lshl_add_u32 v18, v18, 23, v20
	v_or3_b32 v18, v19, v18, v12
.LBB10_1848:
	s_or_b64 exec, exec, s[6:7]
	s_nop 0
	v_mfma_f32_16x16x4f32 a[0:3], v8, v18, a[0:3]
	s_movk_i32 s4, 0x7f
	v_cmp_gt_i16_sdwa s[6:7], v13, s4 src0_sel:BYTE_3 src1_sel:DWORD
	s_mov_b64 s[4:5], 0
                                        ; implicit-def: $sgpr10
	s_and_saveexec_b64 s[8:9], s[6:7]
	s_xor_b64 s[6:7], exec, s[8:9]
	s_cbranch_execnz .LBB10_3897
; %bb.1849:
	s_or_saveexec_b64 s[6:7], s[6:7]
	v_mov_b32_e32 v8, s10
	s_xor_b64 exec, exec, s[6:7]
	s_cbranch_execnz .LBB10_3900
.LBB10_1850:
	s_or_b64 exec, exec, s[6:7]
	s_and_saveexec_b64 s[6:7], s[4:5]
	s_cbranch_execz .LBB10_1852
.LBB10_1851:
	v_bfe_u32 v8, v13, 24, 3
	v_ffbh_u32_e32 v20, v8
	v_min_u32_e32 v20, 32, v20
	v_lshrrev_b32_e32 v18, 27, v13
	v_subrev_u32_e32 v21, 28, v20
	v_and_b32_e32 v12, 0x80000000, v13
	v_and_b32_e32 v18, 15, v18
	v_bfe_u32 v19, v13, 27, 4
	v_lshlrev_b32_sdwa v13, v21, v13 dst_sel:DWORD dst_unused:UNUSED_PAD src0_sel:DWORD src1_sel:BYTE_3
	v_sub_u32_e32 v20, 29, v20
	v_and_b32_e32 v13, 7, v13
	v_cmp_eq_u16_e32 vcc, 0, v18
	v_cndmask_b32_e32 v8, v8, v13, vcc
	v_cndmask_b32_e32 v13, v19, v20, vcc
	v_mov_b32_e32 v18, 0x3b800000
	v_lshlrev_b32_e32 v8, 20, v8
	v_lshl_add_u32 v13, v13, 23, v18
	v_or3_b32 v8, v12, v13, v8
.LBB10_1852:
	s_or_b64 exec, exec, s[6:7]
	s_movk_i32 s4, 0x7f
	v_cmp_gt_i16_sdwa s[6:7], v9, s4 src0_sel:BYTE_3 src1_sel:DWORD
	s_mov_b64 s[4:5], 0
                                        ; implicit-def: $sgpr10
	s_and_saveexec_b64 s[8:9], s[6:7]
	s_xor_b64 s[6:7], exec, s[8:9]
	s_cbranch_execnz .LBB10_3901
; %bb.1853:
	s_or_saveexec_b64 s[6:7], s[6:7]
	v_mov_b32_e32 v12, s10
	s_xor_b64 exec, exec, s[6:7]
	s_cbranch_execnz .LBB10_3904
.LBB10_1854:
	s_or_b64 exec, exec, s[6:7]
	s_and_saveexec_b64 s[6:7], s[4:5]
	s_cbranch_execz .LBB10_1856
.LBB10_1855:
	v_bfe_u32 v12, v9, 24, 3
	v_ffbh_u32_e32 v20, v12
	v_min_u32_e32 v20, 32, v20
	v_lshrrev_b32_e32 v18, 27, v9
	v_subrev_u32_e32 v21, 28, v20
	v_and_b32_e32 v13, 0x80000000, v9
	v_and_b32_e32 v18, 15, v18
	v_bfe_u32 v19, v9, 27, 4
	v_lshlrev_b32_sdwa v9, v21, v9 dst_sel:DWORD dst_unused:UNUSED_PAD src0_sel:DWORD src1_sel:BYTE_3
	v_sub_u32_e32 v20, 29, v20
	v_and_b32_e32 v9, 7, v9
	v_cmp_eq_u16_e32 vcc, 0, v18
	v_cndmask_b32_e32 v9, v12, v9, vcc
	v_cndmask_b32_e32 v12, v19, v20, vcc
	v_mov_b32_e32 v18, 0x3b800000
	v_lshlrev_b32_e32 v9, 20, v9
	v_lshl_add_u32 v12, v12, 23, v18
	v_or3_b32 v12, v13, v12, v9
.LBB10_1856:
	s_or_b64 exec, exec, s[6:7]
	s_nop 0
	v_mfma_f32_16x16x4f32 a[0:3], v8, v12, a[0:3]
	s_movk_i32 s4, 0x7f
	v_cmp_gt_i16_sdwa s[6:7], v14, s4 src0_sel:BYTE_0 src1_sel:DWORD
	s_mov_b64 s[4:5], 0
                                        ; implicit-def: $sgpr10
	s_and_saveexec_b64 s[8:9], s[6:7]
	s_xor_b64 s[6:7], exec, s[8:9]
	s_cbranch_execnz .LBB10_3905
; %bb.1857:
	s_or_saveexec_b64 s[6:7], s[6:7]
	v_mov_b32_e32 v8, s10
	s_xor_b64 exec, exec, s[6:7]
	s_cbranch_execnz .LBB10_3908
.LBB10_1858:
	s_or_b64 exec, exec, s[6:7]
	s_and_saveexec_b64 s[6:7], s[4:5]
	s_cbranch_execz .LBB10_1860
.LBB10_1859:
	v_and_b32_e32 v8, 7, v14
	v_ffbh_u32_e32 v12, v8
	v_min_u32_e32 v12, 32, v12
	v_lshrrev_b16_e32 v9, 3, v14
	v_subrev_u32_e32 v13, 28, v12
	v_and_b32_e32 v9, 15, v9
	v_lshlrev_b32_e32 v13, v13, v14
	v_sub_u32_e32 v12, 29, v12
	v_and_b32_e32 v13, 7, v13
	v_cmp_eq_u16_e32 vcc, 0, v9
	v_cndmask_b32_e32 v8, v8, v13, vcc
	v_cndmask_b32_e32 v9, v9, v12, vcc
	v_lshlrev_b32_e32 v12, 24, v14
	v_mov_b32_e32 v13, 0x3b800000
	v_lshlrev_b32_e32 v8, 20, v8
	v_and_b32_e32 v12, 0x80000000, v12
	v_lshl_add_u32 v9, v9, 23, v13
	v_or3_b32 v8, v12, v9, v8
.LBB10_1860:
	s_or_b64 exec, exec, s[6:7]
	s_movk_i32 s4, 0x7f
	v_cmp_gt_i16_sdwa s[6:7], v10, s4 src0_sel:BYTE_0 src1_sel:DWORD
	s_mov_b64 s[4:5], 0
                                        ; implicit-def: $sgpr10
	s_and_saveexec_b64 s[8:9], s[6:7]
	s_xor_b64 s[6:7], exec, s[8:9]
	s_cbranch_execnz .LBB10_3909
; %bb.1861:
	s_or_saveexec_b64 s[6:7], s[6:7]
	v_mov_b32_e32 v9, s10
	s_xor_b64 exec, exec, s[6:7]
	s_cbranch_execnz .LBB10_3912
.LBB10_1862:
	s_or_b64 exec, exec, s[6:7]
	s_and_saveexec_b64 s[6:7], s[4:5]
	s_cbranch_execz .LBB10_1864
.LBB10_1863:
	v_and_b32_e32 v9, 7, v10
	v_ffbh_u32_e32 v13, v9
	v_min_u32_e32 v13, 32, v13
	v_lshrrev_b16_e32 v12, 3, v10
	v_subrev_u32_e32 v18, 28, v13
	v_and_b32_e32 v12, 15, v12
	v_lshlrev_b32_e32 v18, v18, v10
	v_sub_u32_e32 v13, 29, v13
	v_and_b32_e32 v18, 7, v18
	v_cmp_eq_u16_e32 vcc, 0, v12
	v_cndmask_b32_e32 v9, v9, v18, vcc
	v_cndmask_b32_e32 v12, v12, v13, vcc
	v_lshlrev_b32_e32 v13, 24, v10
	v_mov_b32_e32 v18, 0x3b800000
	v_lshlrev_b32_e32 v9, 20, v9
	v_and_b32_e32 v13, 0x80000000, v13
	v_lshl_add_u32 v12, v12, 23, v18
	v_or3_b32 v9, v13, v12, v9
.LBB10_1864:
	s_or_b64 exec, exec, s[6:7]
	s_nop 0
	v_mfma_f32_16x16x4f32 a[0:3], v8, v9, a[0:3]
	v_lshrrev_b32_e32 v9, 8, v14
	s_movk_i32 s4, 0x7f
	v_cmp_gt_i16_sdwa s[6:7], v9, s4 src0_sel:BYTE_0 src1_sel:DWORD
	s_mov_b64 s[4:5], 0
                                        ; implicit-def: $sgpr10
	s_and_saveexec_b64 s[8:9], s[6:7]
	s_xor_b64 s[6:7], exec, s[8:9]
	s_cbranch_execnz .LBB10_3913
; %bb.1865:
	s_or_saveexec_b64 s[6:7], s[6:7]
	v_mov_b32_e32 v8, s10
	s_xor_b64 exec, exec, s[6:7]
	s_cbranch_execnz .LBB10_3916
.LBB10_1866:
	s_or_b64 exec, exec, s[6:7]
	s_and_saveexec_b64 s[6:7], s[4:5]
	s_cbranch_execz .LBB10_1868
.LBB10_1867:
	v_bfe_u32 v8, v14, 8, 3
	v_ffbh_u32_e32 v13, v8
	v_min_u32_e32 v13, 32, v13
	v_lshrrev_b16_e32 v12, 3, v9
	v_subrev_u32_e32 v18, 28, v13
	v_and_b32_e32 v12, 15, v12
	v_lshlrev_b32_e32 v9, v18, v9
	v_sub_u32_e32 v13, 29, v13
	v_and_b32_e32 v9, 7, v9
	v_cmp_eq_u16_e32 vcc, 0, v12
	v_cndmask_b32_e32 v8, v8, v9, vcc
	v_cndmask_b32_e32 v9, v12, v13, vcc
	v_lshlrev_b32_e32 v12, 16, v14
	v_mov_b32_e32 v13, 0x3b800000
	v_lshlrev_b32_e32 v8, 20, v8
	v_and_b32_e32 v12, 0x80000000, v12
	v_lshl_add_u32 v9, v9, 23, v13
	v_or3_b32 v8, v12, v9, v8
.LBB10_1868:
	s_or_b64 exec, exec, s[6:7]
	v_lshrrev_b32_e32 v9, 8, v10
	s_movk_i32 s4, 0x7f
	v_cmp_gt_i16_sdwa s[6:7], v9, s4 src0_sel:BYTE_0 src1_sel:DWORD
	s_mov_b64 s[4:5], 0
                                        ; implicit-def: $sgpr10
	s_and_saveexec_b64 s[8:9], s[6:7]
	s_xor_b64 s[6:7], exec, s[8:9]
	s_cbranch_execnz .LBB10_3917
; %bb.1869:
	s_or_saveexec_b64 s[6:7], s[6:7]
	v_mov_b32_e32 v12, s10
	s_xor_b64 exec, exec, s[6:7]
	s_cbranch_execnz .LBB10_3920
.LBB10_1870:
	s_or_b64 exec, exec, s[6:7]
	s_and_saveexec_b64 s[6:7], s[4:5]
	s_cbranch_execz .LBB10_1872
.LBB10_1871:
	v_bfe_u32 v12, v10, 8, 3
	v_ffbh_u32_e32 v18, v12
	v_min_u32_e32 v18, 32, v18
	v_lshrrev_b16_e32 v13, 3, v9
	v_subrev_u32_e32 v19, 28, v18
	v_and_b32_e32 v13, 15, v13
	v_lshlrev_b32_e32 v9, v19, v9
	v_sub_u32_e32 v18, 29, v18
	v_and_b32_e32 v9, 7, v9
	v_cmp_eq_u16_e32 vcc, 0, v13
	v_cndmask_b32_e32 v9, v12, v9, vcc
	v_cndmask_b32_e32 v12, v13, v18, vcc
	v_lshlrev_b32_e32 v13, 16, v10
	v_mov_b32_e32 v18, 0x3b800000
	v_lshlrev_b32_e32 v9, 20, v9
	v_and_b32_e32 v13, 0x80000000, v13
	v_lshl_add_u32 v12, v12, 23, v18
	v_or3_b32 v12, v13, v12, v9
.LBB10_1872:
	s_or_b64 exec, exec, s[6:7]
	s_nop 0
	v_mfma_f32_16x16x4f32 a[0:3], v8, v12, a[0:3]
	s_movk_i32 s4, 0xff
	v_and_b32_sdwa v9, v14, s4 dst_sel:DWORD dst_unused:UNUSED_PAD src0_sel:WORD_1 src1_sel:DWORD
	s_movk_i32 s4, 0x7f
	v_cmp_lt_i16_e32 vcc, s4, v9
	s_mov_b64 s[4:5], 0
                                        ; implicit-def: $sgpr10
	s_and_saveexec_b64 s[6:7], vcc
	s_xor_b64 s[6:7], exec, s[6:7]
	s_cbranch_execnz .LBB10_3921
; %bb.1873:
	s_or_saveexec_b64 s[6:7], s[6:7]
	v_mov_b32_e32 v8, s10
	s_xor_b64 exec, exec, s[6:7]
	s_cbranch_execnz .LBB10_3924
.LBB10_1874:
	s_or_b64 exec, exec, s[6:7]
	s_and_saveexec_b64 s[6:7], s[4:5]
	s_cbranch_execz .LBB10_1876
.LBB10_1875:
	v_bfe_u32 v8, v14, 16, 3
	v_ffbh_u32_e32 v13, v8
	v_min_u32_e32 v13, 32, v13
	v_lshrrev_b32_e32 v9, 19, v14
	v_subrev_u32_e32 v18, 28, v13
	v_and_b32_e32 v9, 15, v9
	v_lshlrev_b32_sdwa v18, v18, v14 dst_sel:DWORD dst_unused:UNUSED_PAD src0_sel:DWORD src1_sel:WORD_1
	v_bfe_u32 v12, v14, 19, 4
	v_sub_u32_e32 v13, 29, v13
	v_and_b32_e32 v18, 7, v18
	v_cmp_eq_u16_e32 vcc, 0, v9
	v_cndmask_b32_e32 v8, v8, v18, vcc
	v_cndmask_b32_e32 v9, v12, v13, vcc
	v_lshlrev_b32_e32 v12, 8, v14
	v_mov_b32_e32 v13, 0x3b800000
	v_lshlrev_b32_e32 v8, 20, v8
	v_and_b32_e32 v12, 0x80000000, v12
	v_lshl_add_u32 v9, v9, 23, v13
	v_or3_b32 v8, v12, v9, v8
.LBB10_1876:
	s_or_b64 exec, exec, s[6:7]
	s_movk_i32 s4, 0xff
	v_and_b32_sdwa v9, v10, s4 dst_sel:DWORD dst_unused:UNUSED_PAD src0_sel:WORD_1 src1_sel:DWORD
	s_movk_i32 s4, 0x7f
	v_cmp_lt_i16_e32 vcc, s4, v9
	s_mov_b64 s[4:5], 0
                                        ; implicit-def: $sgpr10
	s_and_saveexec_b64 s[6:7], vcc
	s_xor_b64 s[6:7], exec, s[6:7]
	s_cbranch_execnz .LBB10_3925
; %bb.1877:
	s_or_saveexec_b64 s[6:7], s[6:7]
	v_mov_b32_e32 v12, s10
	s_xor_b64 exec, exec, s[6:7]
	s_cbranch_execnz .LBB10_3928
.LBB10_1878:
	s_or_b64 exec, exec, s[6:7]
	s_and_saveexec_b64 s[6:7], s[4:5]
	s_cbranch_execz .LBB10_1880
.LBB10_1879:
	v_bfe_u32 v9, v10, 16, 3
	v_ffbh_u32_e32 v18, v9
	v_min_u32_e32 v18, 32, v18
	v_lshrrev_b32_e32 v12, 19, v10
	v_subrev_u32_e32 v19, 28, v18
	v_and_b32_e32 v12, 15, v12
	v_lshlrev_b32_sdwa v19, v19, v10 dst_sel:DWORD dst_unused:UNUSED_PAD src0_sel:DWORD src1_sel:WORD_1
	v_bfe_u32 v13, v10, 19, 4
	v_sub_u32_e32 v18, 29, v18
	v_and_b32_e32 v19, 7, v19
	v_cmp_eq_u16_e32 vcc, 0, v12
	v_cndmask_b32_e32 v9, v9, v19, vcc
	v_cndmask_b32_e32 v12, v13, v18, vcc
	v_lshlrev_b32_e32 v13, 8, v10
	v_mov_b32_e32 v18, 0x3b800000
	v_lshlrev_b32_e32 v9, 20, v9
	v_and_b32_e32 v13, 0x80000000, v13
	v_lshl_add_u32 v12, v12, 23, v18
	v_or3_b32 v12, v13, v12, v9
.LBB10_1880:
	s_or_b64 exec, exec, s[6:7]
	s_nop 0
	v_mfma_f32_16x16x4f32 a[0:3], v8, v12, a[0:3]
	s_movk_i32 s4, 0x7f
	v_cmp_gt_i16_sdwa s[6:7], v14, s4 src0_sel:BYTE_3 src1_sel:DWORD
	s_mov_b64 s[4:5], 0
                                        ; implicit-def: $sgpr10
	s_and_saveexec_b64 s[8:9], s[6:7]
	s_xor_b64 s[6:7], exec, s[8:9]
	s_cbranch_execnz .LBB10_3929
; %bb.1881:
	s_or_saveexec_b64 s[6:7], s[6:7]
	v_mov_b32_e32 v8, s10
	s_xor_b64 exec, exec, s[6:7]
	s_cbranch_execnz .LBB10_3932
.LBB10_1882:
	s_or_b64 exec, exec, s[6:7]
	s_and_saveexec_b64 s[6:7], s[4:5]
	s_cbranch_execz .LBB10_1884
.LBB10_1883:
	v_bfe_u32 v8, v14, 24, 3
	v_ffbh_u32_e32 v18, v8
	v_min_u32_e32 v18, 32, v18
	v_lshrrev_b32_e32 v12, 27, v14
	v_subrev_u32_e32 v19, 28, v18
	v_and_b32_e32 v9, 0x80000000, v14
	v_and_b32_e32 v12, 15, v12
	v_bfe_u32 v13, v14, 27, 4
	v_lshlrev_b32_sdwa v14, v19, v14 dst_sel:DWORD dst_unused:UNUSED_PAD src0_sel:DWORD src1_sel:BYTE_3
	v_sub_u32_e32 v18, 29, v18
	v_and_b32_e32 v14, 7, v14
	v_cmp_eq_u16_e32 vcc, 0, v12
	v_cndmask_b32_e32 v8, v8, v14, vcc
	v_cndmask_b32_e32 v12, v13, v18, vcc
	v_mov_b32_e32 v13, 0x3b800000
	v_lshlrev_b32_e32 v8, 20, v8
	v_lshl_add_u32 v12, v12, 23, v13
	v_or3_b32 v8, v9, v12, v8
.LBB10_1884:
	s_or_b64 exec, exec, s[6:7]
	s_movk_i32 s4, 0x7f
	v_cmp_gt_i16_sdwa s[6:7], v10, s4 src0_sel:BYTE_3 src1_sel:DWORD
	s_mov_b64 s[4:5], 0
                                        ; implicit-def: $sgpr10
	s_and_saveexec_b64 s[8:9], s[6:7]
	s_xor_b64 s[6:7], exec, s[8:9]
	s_cbranch_execnz .LBB10_3933
; %bb.1885:
	s_or_saveexec_b64 s[6:7], s[6:7]
	v_mov_b32_e32 v9, s10
	s_xor_b64 exec, exec, s[6:7]
	s_cbranch_execnz .LBB10_3936
.LBB10_1886:
	s_or_b64 exec, exec, s[6:7]
	s_and_saveexec_b64 s[6:7], s[4:5]
	s_cbranch_execz .LBB10_1888
.LBB10_1887:
	v_bfe_u32 v9, v10, 24, 3
	v_ffbh_u32_e32 v18, v9
	v_min_u32_e32 v18, 32, v18
	v_lshrrev_b32_e32 v13, 27, v10
	v_subrev_u32_e32 v19, 28, v18
	v_and_b32_e32 v12, 0x80000000, v10
	v_and_b32_e32 v13, 15, v13
	v_bfe_u32 v14, v10, 27, 4
	v_lshlrev_b32_sdwa v10, v19, v10 dst_sel:DWORD dst_unused:UNUSED_PAD src0_sel:DWORD src1_sel:BYTE_3
	v_sub_u32_e32 v18, 29, v18
	v_and_b32_e32 v10, 7, v10
	v_cmp_eq_u16_e32 vcc, 0, v13
	v_cndmask_b32_e32 v9, v9, v10, vcc
	v_cndmask_b32_e32 v10, v14, v18, vcc
	v_mov_b32_e32 v13, 0x3b800000
	v_lshlrev_b32_e32 v9, 20, v9
	v_lshl_add_u32 v10, v10, 23, v13
	v_or3_b32 v9, v12, v10, v9
.LBB10_1888:
	s_or_b64 exec, exec, s[6:7]
	s_nop 0
	v_mfma_f32_16x16x4f32 a[0:3], v8, v9, a[0:3]
	s_movk_i32 s4, 0x7f
	v_cmp_gt_i16_sdwa s[6:7], v15, s4 src0_sel:BYTE_0 src1_sel:DWORD
	s_mov_b64 s[4:5], 0
                                        ; implicit-def: $sgpr10
	s_and_saveexec_b64 s[8:9], s[6:7]
	s_xor_b64 s[6:7], exec, s[8:9]
	s_cbranch_execnz .LBB10_3937
; %bb.1889:
	s_or_saveexec_b64 s[6:7], s[6:7]
	v_mov_b32_e32 v8, s10
	s_xor_b64 exec, exec, s[6:7]
	s_cbranch_execnz .LBB10_3940
.LBB10_1890:
	s_or_b64 exec, exec, s[6:7]
	s_and_saveexec_b64 s[6:7], s[4:5]
	s_cbranch_execz .LBB10_1892
.LBB10_1891:
	v_and_b32_e32 v8, 7, v15
	v_ffbh_u32_e32 v10, v8
	v_min_u32_e32 v10, 32, v10
	v_lshrrev_b16_e32 v9, 3, v15
	v_subrev_u32_e32 v12, 28, v10
	v_and_b32_e32 v9, 15, v9
	v_lshlrev_b32_e32 v12, v12, v15
	v_sub_u32_e32 v10, 29, v10
	v_and_b32_e32 v12, 7, v12
	v_cmp_eq_u16_e32 vcc, 0, v9
	v_cndmask_b32_e32 v8, v8, v12, vcc
	v_cndmask_b32_e32 v9, v9, v10, vcc
	v_lshlrev_b32_e32 v10, 24, v15
	v_mov_b32_e32 v12, 0x3b800000
	v_lshlrev_b32_e32 v8, 20, v8
	v_and_b32_e32 v10, 0x80000000, v10
	v_lshl_add_u32 v9, v9, 23, v12
	v_or3_b32 v8, v10, v9, v8
.LBB10_1892:
	s_or_b64 exec, exec, s[6:7]
	s_movk_i32 s4, 0x7f
	v_cmp_gt_i16_sdwa s[6:7], v11, s4 src0_sel:BYTE_0 src1_sel:DWORD
	s_mov_b64 s[4:5], 0
                                        ; implicit-def: $sgpr10
	s_and_saveexec_b64 s[8:9], s[6:7]
	s_xor_b64 s[6:7], exec, s[8:9]
	s_cbranch_execnz .LBB10_3941
; %bb.1893:
	s_or_saveexec_b64 s[6:7], s[6:7]
	v_mov_b32_e32 v9, s10
	s_xor_b64 exec, exec, s[6:7]
	s_cbranch_execnz .LBB10_3944
.LBB10_1894:
	s_or_b64 exec, exec, s[6:7]
	s_and_saveexec_b64 s[6:7], s[4:5]
	s_cbranch_execz .LBB10_1896
.LBB10_1895:
	v_and_b32_e32 v9, 7, v11
	v_ffbh_u32_e32 v12, v9
	v_min_u32_e32 v12, 32, v12
	v_lshrrev_b16_e32 v10, 3, v11
	v_subrev_u32_e32 v13, 28, v12
	v_and_b32_e32 v10, 15, v10
	v_lshlrev_b32_e32 v13, v13, v11
	v_sub_u32_e32 v12, 29, v12
	v_and_b32_e32 v13, 7, v13
	v_cmp_eq_u16_e32 vcc, 0, v10
	v_cndmask_b32_e32 v9, v9, v13, vcc
	v_cndmask_b32_e32 v10, v10, v12, vcc
	v_lshlrev_b32_e32 v12, 24, v11
	v_mov_b32_e32 v13, 0x3b800000
	v_lshlrev_b32_e32 v9, 20, v9
	v_and_b32_e32 v12, 0x80000000, v12
	v_lshl_add_u32 v10, v10, 23, v13
	v_or3_b32 v9, v12, v10, v9
.LBB10_1896:
	s_or_b64 exec, exec, s[6:7]
	s_nop 0
	v_mfma_f32_16x16x4f32 a[0:3], v8, v9, a[0:3]
	v_lshrrev_b32_e32 v9, 8, v15
	s_movk_i32 s4, 0x7f
	v_cmp_gt_i16_sdwa s[6:7], v9, s4 src0_sel:BYTE_0 src1_sel:DWORD
	s_mov_b64 s[4:5], 0
                                        ; implicit-def: $sgpr10
	s_and_saveexec_b64 s[8:9], s[6:7]
	s_xor_b64 s[6:7], exec, s[8:9]
	s_cbranch_execnz .LBB10_3945
; %bb.1897:
	s_or_saveexec_b64 s[6:7], s[6:7]
	v_mov_b32_e32 v8, s10
	s_xor_b64 exec, exec, s[6:7]
	s_cbranch_execnz .LBB10_3948
.LBB10_1898:
	s_or_b64 exec, exec, s[6:7]
	s_and_saveexec_b64 s[6:7], s[4:5]
	s_cbranch_execz .LBB10_1900
.LBB10_1899:
	v_bfe_u32 v8, v15, 8, 3
	v_ffbh_u32_e32 v12, v8
	v_min_u32_e32 v12, 32, v12
	v_lshrrev_b16_e32 v10, 3, v9
	v_subrev_u32_e32 v13, 28, v12
	v_and_b32_e32 v10, 15, v10
	v_lshlrev_b32_e32 v9, v13, v9
	v_sub_u32_e32 v12, 29, v12
	v_and_b32_e32 v9, 7, v9
	v_cmp_eq_u16_e32 vcc, 0, v10
	v_cndmask_b32_e32 v8, v8, v9, vcc
	v_cndmask_b32_e32 v9, v10, v12, vcc
	v_lshlrev_b32_e32 v10, 16, v15
	v_mov_b32_e32 v12, 0x3b800000
	v_lshlrev_b32_e32 v8, 20, v8
	v_and_b32_e32 v10, 0x80000000, v10
	v_lshl_add_u32 v9, v9, 23, v12
	v_or3_b32 v8, v10, v9, v8
.LBB10_1900:
	s_or_b64 exec, exec, s[6:7]
	v_lshrrev_b32_e32 v9, 8, v11
	s_movk_i32 s4, 0x7f
	v_cmp_gt_i16_sdwa s[6:7], v9, s4 src0_sel:BYTE_0 src1_sel:DWORD
	s_mov_b64 s[4:5], 0
                                        ; implicit-def: $sgpr10
	s_and_saveexec_b64 s[8:9], s[6:7]
	s_xor_b64 s[6:7], exec, s[8:9]
	s_cbranch_execnz .LBB10_3949
; %bb.1901:
	s_or_saveexec_b64 s[6:7], s[6:7]
	v_mov_b32_e32 v10, s10
	s_xor_b64 exec, exec, s[6:7]
	s_cbranch_execnz .LBB10_3952
.LBB10_1902:
	s_or_b64 exec, exec, s[6:7]
	s_and_saveexec_b64 s[6:7], s[4:5]
	s_cbranch_execz .LBB10_1904
.LBB10_1903:
	v_bfe_u32 v10, v11, 8, 3
	v_ffbh_u32_e32 v13, v10
	v_min_u32_e32 v13, 32, v13
	v_lshrrev_b16_e32 v12, 3, v9
	v_subrev_u32_e32 v14, 28, v13
	v_and_b32_e32 v12, 15, v12
	v_lshlrev_b32_e32 v9, v14, v9
	v_sub_u32_e32 v13, 29, v13
	v_and_b32_e32 v9, 7, v9
	v_cmp_eq_u16_e32 vcc, 0, v12
	v_cndmask_b32_e32 v9, v10, v9, vcc
	v_cndmask_b32_e32 v10, v12, v13, vcc
	v_lshlrev_b32_e32 v12, 16, v11
	v_mov_b32_e32 v13, 0x3b800000
	v_lshlrev_b32_e32 v9, 20, v9
	v_and_b32_e32 v12, 0x80000000, v12
	v_lshl_add_u32 v10, v10, 23, v13
	v_or3_b32 v10, v12, v10, v9
.LBB10_1904:
	s_or_b64 exec, exec, s[6:7]
	s_nop 0
	v_mfma_f32_16x16x4f32 a[0:3], v8, v10, a[0:3]
	s_movk_i32 s4, 0xff
	v_and_b32_sdwa v9, v15, s4 dst_sel:DWORD dst_unused:UNUSED_PAD src0_sel:WORD_1 src1_sel:DWORD
	s_movk_i32 s4, 0x7f
	v_cmp_lt_i16_e32 vcc, s4, v9
	s_mov_b64 s[4:5], 0
                                        ; implicit-def: $sgpr10
	s_and_saveexec_b64 s[6:7], vcc
	s_xor_b64 s[6:7], exec, s[6:7]
	s_cbranch_execnz .LBB10_3953
; %bb.1905:
	s_or_saveexec_b64 s[6:7], s[6:7]
	v_mov_b32_e32 v8, s10
	s_xor_b64 exec, exec, s[6:7]
	s_cbranch_execnz .LBB10_3956
.LBB10_1906:
	s_or_b64 exec, exec, s[6:7]
	s_and_saveexec_b64 s[6:7], s[4:5]
	s_cbranch_execz .LBB10_1908
.LBB10_1907:
	v_bfe_u32 v8, v15, 16, 3
	v_ffbh_u32_e32 v12, v8
	v_min_u32_e32 v12, 32, v12
	v_lshrrev_b32_e32 v9, 19, v15
	v_subrev_u32_e32 v13, 28, v12
	v_and_b32_e32 v9, 15, v9
	v_lshlrev_b32_sdwa v13, v13, v15 dst_sel:DWORD dst_unused:UNUSED_PAD src0_sel:DWORD src1_sel:WORD_1
	v_bfe_u32 v10, v15, 19, 4
	v_sub_u32_e32 v12, 29, v12
	v_and_b32_e32 v13, 7, v13
	v_cmp_eq_u16_e32 vcc, 0, v9
	v_cndmask_b32_e32 v8, v8, v13, vcc
	v_cndmask_b32_e32 v9, v10, v12, vcc
	v_lshlrev_b32_e32 v10, 8, v15
	v_mov_b32_e32 v12, 0x3b800000
	v_lshlrev_b32_e32 v8, 20, v8
	v_and_b32_e32 v10, 0x80000000, v10
	v_lshl_add_u32 v9, v9, 23, v12
	v_or3_b32 v8, v10, v9, v8
.LBB10_1908:
	s_or_b64 exec, exec, s[6:7]
	s_movk_i32 s4, 0xff
	v_and_b32_sdwa v9, v11, s4 dst_sel:DWORD dst_unused:UNUSED_PAD src0_sel:WORD_1 src1_sel:DWORD
	s_movk_i32 s4, 0x7f
	v_cmp_lt_i16_e32 vcc, s4, v9
	s_mov_b64 s[4:5], 0
                                        ; implicit-def: $sgpr10
	s_and_saveexec_b64 s[6:7], vcc
	s_xor_b64 s[6:7], exec, s[6:7]
	s_cbranch_execnz .LBB10_3957
; %bb.1909:
	s_or_saveexec_b64 s[6:7], s[6:7]
	v_mov_b32_e32 v10, s10
	s_xor_b64 exec, exec, s[6:7]
	s_cbranch_execnz .LBB10_3960
.LBB10_1910:
	s_or_b64 exec, exec, s[6:7]
	s_and_saveexec_b64 s[6:7], s[4:5]
	s_cbranch_execz .LBB10_1912
.LBB10_1911:
	v_bfe_u32 v9, v11, 16, 3
	v_ffbh_u32_e32 v13, v9
	v_min_u32_e32 v13, 32, v13
	v_lshrrev_b32_e32 v10, 19, v11
	v_subrev_u32_e32 v14, 28, v13
	v_and_b32_e32 v10, 15, v10
	v_lshlrev_b32_sdwa v14, v14, v11 dst_sel:DWORD dst_unused:UNUSED_PAD src0_sel:DWORD src1_sel:WORD_1
	v_bfe_u32 v12, v11, 19, 4
	v_sub_u32_e32 v13, 29, v13
	v_and_b32_e32 v14, 7, v14
	v_cmp_eq_u16_e32 vcc, 0, v10
	v_cndmask_b32_e32 v9, v9, v14, vcc
	v_cndmask_b32_e32 v10, v12, v13, vcc
	v_lshlrev_b32_e32 v12, 8, v11
	v_mov_b32_e32 v13, 0x3b800000
	v_lshlrev_b32_e32 v9, 20, v9
	v_and_b32_e32 v12, 0x80000000, v12
	v_lshl_add_u32 v10, v10, 23, v13
	v_or3_b32 v10, v12, v10, v9
.LBB10_1912:
	s_or_b64 exec, exec, s[6:7]
	s_nop 0
	v_mfma_f32_16x16x4f32 a[0:3], v8, v10, a[0:3]
	s_movk_i32 s4, 0x7f
	v_cmp_gt_i16_sdwa s[6:7], v15, s4 src0_sel:BYTE_3 src1_sel:DWORD
	s_mov_b64 s[4:5], 0
                                        ; implicit-def: $sgpr10
	s_and_saveexec_b64 s[8:9], s[6:7]
	s_xor_b64 s[6:7], exec, s[8:9]
	s_cbranch_execnz .LBB10_3961
; %bb.1913:
	s_or_saveexec_b64 s[6:7], s[6:7]
	v_mov_b32_e32 v8, s10
	s_xor_b64 exec, exec, s[6:7]
	s_cbranch_execnz .LBB10_3964
.LBB10_1914:
	s_or_b64 exec, exec, s[6:7]
	s_and_saveexec_b64 s[6:7], s[4:5]
	s_cbranch_execz .LBB10_1916
.LBB10_1915:
	v_bfe_u32 v8, v15, 24, 3
	v_ffbh_u32_e32 v13, v8
	v_min_u32_e32 v13, 32, v13
	v_lshrrev_b32_e32 v10, 27, v15
	v_subrev_u32_e32 v14, 28, v13
	v_and_b32_e32 v10, 15, v10
	v_lshlrev_b32_sdwa v14, v14, v15 dst_sel:DWORD dst_unused:UNUSED_PAD src0_sel:DWORD src1_sel:BYTE_3
	v_bfe_u32 v12, v15, 27, 4
	v_sub_u32_e32 v13, 29, v13
	v_and_b32_e32 v14, 7, v14
	v_cmp_eq_u16_e32 vcc, 0, v10
	v_cndmask_b32_e32 v8, v8, v14, vcc
	v_cndmask_b32_e32 v10, v12, v13, vcc
	v_mov_b32_e32 v12, 0x3b800000
	v_and_b32_e32 v9, 0x80000000, v15
	v_lshlrev_b32_e32 v8, 20, v8
	v_lshl_add_u32 v10, v10, 23, v12
	v_or3_b32 v8, v9, v10, v8
.LBB10_1916:
	s_or_b64 exec, exec, s[6:7]
	s_movk_i32 s4, 0x7f
	v_cmp_gt_i16_sdwa s[6:7], v11, s4 src0_sel:BYTE_3 src1_sel:DWORD
	s_mov_b64 s[4:5], 0
                                        ; implicit-def: $sgpr10
	s_and_saveexec_b64 s[8:9], s[6:7]
	s_xor_b64 s[6:7], exec, s[8:9]
	s_cbranch_execnz .LBB10_3965
; %bb.1917:
	s_or_saveexec_b64 s[6:7], s[6:7]
	v_mov_b32_e32 v9, s10
	s_xor_b64 exec, exec, s[6:7]
	s_cbranch_execnz .LBB10_3968
.LBB10_1918:
	s_or_b64 exec, exec, s[6:7]
	s_and_saveexec_b64 s[6:7], s[4:5]
	s_cbranch_execz .LBB10_1920
.LBB10_1919:
	v_bfe_u32 v9, v11, 24, 3
	v_ffbh_u32_e32 v14, v9
	v_min_u32_e32 v14, 32, v14
	v_lshrrev_b32_e32 v12, 27, v11
	v_subrev_u32_e32 v15, 28, v14
	v_and_b32_e32 v10, 0x80000000, v11
	v_and_b32_e32 v12, 15, v12
	v_bfe_u32 v13, v11, 27, 4
	v_lshlrev_b32_sdwa v11, v15, v11 dst_sel:DWORD dst_unused:UNUSED_PAD src0_sel:DWORD src1_sel:BYTE_3
	v_sub_u32_e32 v14, 29, v14
	v_and_b32_e32 v11, 7, v11
	v_cmp_eq_u16_e32 vcc, 0, v12
	v_cndmask_b32_e32 v9, v9, v11, vcc
	v_cndmask_b32_e32 v11, v13, v14, vcc
	v_mov_b32_e32 v12, 0x3b800000
	v_lshlrev_b32_e32 v9, 20, v9
	v_lshl_add_u32 v11, v11, 23, v12
	v_or3_b32 v9, v10, v11, v9
.LBB10_1920:
	s_or_b64 exec, exec, s[6:7]
	s_nop 0
	v_mfma_f32_16x16x4f32 a[0:3], v8, v9, a[0:3]
	s_movk_i32 s4, 0x7f
	v_cmp_gt_i16_sdwa s[6:7], v4, s4 src0_sel:BYTE_0 src1_sel:DWORD
	s_mov_b64 s[4:5], 0
                                        ; implicit-def: $sgpr10
	s_and_saveexec_b64 s[8:9], s[6:7]
	s_xor_b64 s[6:7], exec, s[8:9]
	s_cbranch_execnz .LBB10_3969
; %bb.1921:
	s_or_saveexec_b64 s[6:7], s[6:7]
	v_mov_b32_e32 v8, s10
	s_xor_b64 exec, exec, s[6:7]
	s_cbranch_execnz .LBB10_3972
.LBB10_1922:
	s_or_b64 exec, exec, s[6:7]
	s_and_saveexec_b64 s[6:7], s[4:5]
	s_cbranch_execz .LBB10_1924
.LBB10_1923:
	v_and_b32_e32 v8, 7, v4
	v_ffbh_u32_e32 v10, v8
	v_min_u32_e32 v10, 32, v10
	v_lshrrev_b16_e32 v9, 3, v4
	v_subrev_u32_e32 v11, 28, v10
	v_and_b32_e32 v9, 15, v9
	v_lshlrev_b32_e32 v11, v11, v4
	v_sub_u32_e32 v10, 29, v10
	v_and_b32_e32 v11, 7, v11
	v_cmp_eq_u16_e32 vcc, 0, v9
	v_cndmask_b32_e32 v8, v8, v11, vcc
	v_cndmask_b32_e32 v9, v9, v10, vcc
	v_lshlrev_b32_e32 v10, 24, v4
	v_mov_b32_e32 v11, 0x3b800000
	v_lshlrev_b32_e32 v8, 20, v8
	v_and_b32_e32 v10, 0x80000000, v10
	v_lshl_add_u32 v9, v9, 23, v11
	v_or3_b32 v8, v10, v9, v8
.LBB10_1924:
	s_or_b64 exec, exec, s[6:7]
	s_movk_i32 s4, 0x7f
	v_cmp_gt_i16_sdwa s[6:7], v0, s4 src0_sel:BYTE_0 src1_sel:DWORD
	s_mov_b64 s[4:5], 0
                                        ; implicit-def: $sgpr10
	s_and_saveexec_b64 s[8:9], s[6:7]
	s_xor_b64 s[6:7], exec, s[8:9]
	s_cbranch_execnz .LBB10_3973
; %bb.1925:
	s_or_saveexec_b64 s[6:7], s[6:7]
	v_mov_b32_e32 v9, s10
	s_xor_b64 exec, exec, s[6:7]
	s_cbranch_execnz .LBB10_3976
.LBB10_1926:
	s_or_b64 exec, exec, s[6:7]
	s_and_saveexec_b64 s[6:7], s[4:5]
	s_cbranch_execz .LBB10_1928
.LBB10_1927:
	v_and_b32_e32 v9, 7, v0
	v_ffbh_u32_e32 v11, v9
	v_min_u32_e32 v11, 32, v11
	v_lshrrev_b16_e32 v10, 3, v0
	v_subrev_u32_e32 v12, 28, v11
	v_and_b32_e32 v10, 15, v10
	v_lshlrev_b32_e32 v12, v12, v0
	v_sub_u32_e32 v11, 29, v11
	v_and_b32_e32 v12, 7, v12
	v_cmp_eq_u16_e32 vcc, 0, v10
	v_cndmask_b32_e32 v9, v9, v12, vcc
	v_cndmask_b32_e32 v10, v10, v11, vcc
	v_lshlrev_b32_e32 v11, 24, v0
	v_mov_b32_e32 v12, 0x3b800000
	v_lshlrev_b32_e32 v9, 20, v9
	v_and_b32_e32 v11, 0x80000000, v11
	v_lshl_add_u32 v10, v10, 23, v12
	v_or3_b32 v9, v11, v10, v9
.LBB10_1928:
	s_or_b64 exec, exec, s[6:7]
	s_nop 0
	v_mfma_f32_16x16x4f32 a[0:3], v8, v9, a[0:3]
	v_lshrrev_b32_e32 v9, 8, v4
	s_movk_i32 s4, 0x7f
	v_cmp_gt_i16_sdwa s[6:7], v9, s4 src0_sel:BYTE_0 src1_sel:DWORD
	s_mov_b64 s[4:5], 0
                                        ; implicit-def: $sgpr10
	s_and_saveexec_b64 s[8:9], s[6:7]
	s_xor_b64 s[6:7], exec, s[8:9]
	s_cbranch_execnz .LBB10_3977
; %bb.1929:
	s_or_saveexec_b64 s[6:7], s[6:7]
	v_mov_b32_e32 v8, s10
	s_xor_b64 exec, exec, s[6:7]
	s_cbranch_execnz .LBB10_3980
.LBB10_1930:
	s_or_b64 exec, exec, s[6:7]
	s_and_saveexec_b64 s[6:7], s[4:5]
	s_cbranch_execz .LBB10_1932
.LBB10_1931:
	v_bfe_u32 v8, v4, 8, 3
	v_ffbh_u32_e32 v11, v8
	v_min_u32_e32 v11, 32, v11
	v_lshrrev_b16_e32 v10, 3, v9
	v_subrev_u32_e32 v12, 28, v11
	v_and_b32_e32 v10, 15, v10
	v_lshlrev_b32_e32 v9, v12, v9
	v_sub_u32_e32 v11, 29, v11
	v_and_b32_e32 v9, 7, v9
	v_cmp_eq_u16_e32 vcc, 0, v10
	v_cndmask_b32_e32 v8, v8, v9, vcc
	v_cndmask_b32_e32 v9, v10, v11, vcc
	v_lshlrev_b32_e32 v10, 16, v4
	v_mov_b32_e32 v11, 0x3b800000
	v_lshlrev_b32_e32 v8, 20, v8
	v_and_b32_e32 v10, 0x80000000, v10
	v_lshl_add_u32 v9, v9, 23, v11
	v_or3_b32 v8, v10, v9, v8
.LBB10_1932:
	s_or_b64 exec, exec, s[6:7]
	v_lshrrev_b32_e32 v9, 8, v0
	s_movk_i32 s4, 0x7f
	v_cmp_gt_i16_sdwa s[6:7], v9, s4 src0_sel:BYTE_0 src1_sel:DWORD
	s_mov_b64 s[4:5], 0
                                        ; implicit-def: $sgpr10
	s_and_saveexec_b64 s[8:9], s[6:7]
	s_xor_b64 s[6:7], exec, s[8:9]
	s_cbranch_execnz .LBB10_3981
; %bb.1933:
	s_or_saveexec_b64 s[6:7], s[6:7]
	v_mov_b32_e32 v10, s10
	s_xor_b64 exec, exec, s[6:7]
	s_cbranch_execnz .LBB10_3984
.LBB10_1934:
	s_or_b64 exec, exec, s[6:7]
	s_and_saveexec_b64 s[6:7], s[4:5]
	s_cbranch_execz .LBB10_1936
.LBB10_1935:
	v_bfe_u32 v10, v0, 8, 3
	v_ffbh_u32_e32 v12, v10
	v_min_u32_e32 v12, 32, v12
	v_lshrrev_b16_e32 v11, 3, v9
	v_subrev_u32_e32 v13, 28, v12
	v_and_b32_e32 v11, 15, v11
	v_lshlrev_b32_e32 v9, v13, v9
	v_sub_u32_e32 v12, 29, v12
	v_and_b32_e32 v9, 7, v9
	v_cmp_eq_u16_e32 vcc, 0, v11
	v_cndmask_b32_e32 v9, v10, v9, vcc
	v_cndmask_b32_e32 v10, v11, v12, vcc
	v_lshlrev_b32_e32 v11, 16, v0
	v_mov_b32_e32 v12, 0x3b800000
	v_lshlrev_b32_e32 v9, 20, v9
	v_and_b32_e32 v11, 0x80000000, v11
	v_lshl_add_u32 v10, v10, 23, v12
	v_or3_b32 v10, v11, v10, v9
.LBB10_1936:
	s_or_b64 exec, exec, s[6:7]
	s_nop 0
	v_mfma_f32_16x16x4f32 a[0:3], v8, v10, a[0:3]
	s_movk_i32 s4, 0xff
	v_and_b32_sdwa v9, v4, s4 dst_sel:DWORD dst_unused:UNUSED_PAD src0_sel:WORD_1 src1_sel:DWORD
	s_movk_i32 s4, 0x7f
	v_cmp_lt_i16_e32 vcc, s4, v9
	s_mov_b64 s[4:5], 0
                                        ; implicit-def: $sgpr10
	s_and_saveexec_b64 s[6:7], vcc
	s_xor_b64 s[6:7], exec, s[6:7]
	s_cbranch_execnz .LBB10_3985
; %bb.1937:
	s_or_saveexec_b64 s[6:7], s[6:7]
	v_mov_b32_e32 v8, s10
	s_xor_b64 exec, exec, s[6:7]
	s_cbranch_execnz .LBB10_3988
.LBB10_1938:
	s_or_b64 exec, exec, s[6:7]
	s_and_saveexec_b64 s[6:7], s[4:5]
	s_cbranch_execz .LBB10_1940
.LBB10_1939:
	v_bfe_u32 v8, v4, 16, 3
	v_ffbh_u32_e32 v11, v8
	v_min_u32_e32 v11, 32, v11
	v_lshrrev_b32_e32 v9, 19, v4
	v_subrev_u32_e32 v12, 28, v11
	v_and_b32_e32 v9, 15, v9
	v_lshlrev_b32_sdwa v12, v12, v4 dst_sel:DWORD dst_unused:UNUSED_PAD src0_sel:DWORD src1_sel:WORD_1
	v_bfe_u32 v10, v4, 19, 4
	v_sub_u32_e32 v11, 29, v11
	v_and_b32_e32 v12, 7, v12
	v_cmp_eq_u16_e32 vcc, 0, v9
	v_cndmask_b32_e32 v8, v8, v12, vcc
	v_cndmask_b32_e32 v9, v10, v11, vcc
	v_lshlrev_b32_e32 v10, 8, v4
	v_mov_b32_e32 v11, 0x3b800000
	v_lshlrev_b32_e32 v8, 20, v8
	v_and_b32_e32 v10, 0x80000000, v10
	v_lshl_add_u32 v9, v9, 23, v11
	v_or3_b32 v8, v10, v9, v8
.LBB10_1940:
	s_or_b64 exec, exec, s[6:7]
	s_movk_i32 s4, 0xff
	v_and_b32_sdwa v9, v0, s4 dst_sel:DWORD dst_unused:UNUSED_PAD src0_sel:WORD_1 src1_sel:DWORD
	s_movk_i32 s4, 0x7f
	v_cmp_lt_i16_e32 vcc, s4, v9
	s_mov_b64 s[4:5], 0
                                        ; implicit-def: $sgpr10
	s_and_saveexec_b64 s[6:7], vcc
	s_xor_b64 s[6:7], exec, s[6:7]
	s_cbranch_execnz .LBB10_3989
; %bb.1941:
	s_or_saveexec_b64 s[6:7], s[6:7]
	v_mov_b32_e32 v10, s10
	s_xor_b64 exec, exec, s[6:7]
	s_cbranch_execnz .LBB10_3992
.LBB10_1942:
	s_or_b64 exec, exec, s[6:7]
	s_and_saveexec_b64 s[6:7], s[4:5]
	s_cbranch_execz .LBB10_1944
.LBB10_1943:
	v_bfe_u32 v9, v0, 16, 3
	v_ffbh_u32_e32 v12, v9
	v_min_u32_e32 v12, 32, v12
	v_lshrrev_b32_e32 v10, 19, v0
	v_subrev_u32_e32 v13, 28, v12
	v_and_b32_e32 v10, 15, v10
	v_lshlrev_b32_sdwa v13, v13, v0 dst_sel:DWORD dst_unused:UNUSED_PAD src0_sel:DWORD src1_sel:WORD_1
	v_bfe_u32 v11, v0, 19, 4
	v_sub_u32_e32 v12, 29, v12
	v_and_b32_e32 v13, 7, v13
	v_cmp_eq_u16_e32 vcc, 0, v10
	v_cndmask_b32_e32 v9, v9, v13, vcc
	v_cndmask_b32_e32 v10, v11, v12, vcc
	v_lshlrev_b32_e32 v11, 8, v0
	v_mov_b32_e32 v12, 0x3b800000
	v_lshlrev_b32_e32 v9, 20, v9
	v_and_b32_e32 v11, 0x80000000, v11
	v_lshl_add_u32 v10, v10, 23, v12
	v_or3_b32 v10, v11, v10, v9
.LBB10_1944:
	s_or_b64 exec, exec, s[6:7]
	s_nop 0
	v_mfma_f32_16x16x4f32 a[0:3], v8, v10, a[0:3]
	s_movk_i32 s4, 0x7f
	v_cmp_gt_i16_sdwa s[6:7], v4, s4 src0_sel:BYTE_3 src1_sel:DWORD
	s_mov_b64 s[4:5], 0
                                        ; implicit-def: $sgpr10
	s_and_saveexec_b64 s[8:9], s[6:7]
	s_xor_b64 s[6:7], exec, s[8:9]
	s_cbranch_execnz .LBB10_3993
; %bb.1945:
	s_or_saveexec_b64 s[6:7], s[6:7]
	v_mov_b32_e32 v8, s10
	s_xor_b64 exec, exec, s[6:7]
	s_cbranch_execnz .LBB10_3996
.LBB10_1946:
	s_or_b64 exec, exec, s[6:7]
	s_and_saveexec_b64 s[6:7], s[4:5]
	s_cbranch_execz .LBB10_1948
.LBB10_1947:
	v_bfe_u32 v8, v4, 24, 3
	v_ffbh_u32_e32 v12, v8
	v_min_u32_e32 v12, 32, v12
	v_lshrrev_b32_e32 v10, 27, v4
	v_subrev_u32_e32 v13, 28, v12
	v_and_b32_e32 v9, 0x80000000, v4
	v_and_b32_e32 v10, 15, v10
	v_bfe_u32 v11, v4, 27, 4
	v_lshlrev_b32_sdwa v4, v13, v4 dst_sel:DWORD dst_unused:UNUSED_PAD src0_sel:DWORD src1_sel:BYTE_3
	v_sub_u32_e32 v12, 29, v12
	v_and_b32_e32 v4, 7, v4
	v_cmp_eq_u16_e32 vcc, 0, v10
	v_cndmask_b32_e32 v4, v8, v4, vcc
	v_cndmask_b32_e32 v8, v11, v12, vcc
	v_mov_b32_e32 v10, 0x3b800000
	v_lshlrev_b32_e32 v4, 20, v4
	v_lshl_add_u32 v8, v8, 23, v10
	v_or3_b32 v8, v9, v8, v4
.LBB10_1948:
	s_or_b64 exec, exec, s[6:7]
	s_movk_i32 s4, 0x7f
	v_cmp_gt_i16_sdwa s[6:7], v0, s4 src0_sel:BYTE_3 src1_sel:DWORD
	s_mov_b64 s[4:5], 0
                                        ; implicit-def: $sgpr10
	s_and_saveexec_b64 s[8:9], s[6:7]
	s_xor_b64 s[6:7], exec, s[8:9]
	s_cbranch_execnz .LBB10_3997
; %bb.1949:
	s_or_saveexec_b64 s[6:7], s[6:7]
	v_mov_b32_e32 v4, s10
	s_xor_b64 exec, exec, s[6:7]
	s_cbranch_execnz .LBB10_4000
.LBB10_1950:
	s_or_b64 exec, exec, s[6:7]
	s_and_saveexec_b64 s[6:7], s[4:5]
	s_cbranch_execz .LBB10_1952
.LBB10_1951:
	v_bfe_u32 v4, v0, 24, 3
	v_ffbh_u32_e32 v12, v4
	v_min_u32_e32 v12, 32, v12
	v_lshrrev_b32_e32 v10, 27, v0
	v_subrev_u32_e32 v13, 28, v12
	v_and_b32_e32 v9, 0x80000000, v0
	v_and_b32_e32 v10, 15, v10
	v_bfe_u32 v11, v0, 27, 4
	v_lshlrev_b32_sdwa v0, v13, v0 dst_sel:DWORD dst_unused:UNUSED_PAD src0_sel:DWORD src1_sel:BYTE_3
	v_sub_u32_e32 v12, 29, v12
	v_and_b32_e32 v0, 7, v0
	v_cmp_eq_u16_e32 vcc, 0, v10
	v_cndmask_b32_e32 v0, v4, v0, vcc
	v_cndmask_b32_e32 v4, v11, v12, vcc
	v_mov_b32_e32 v10, 0x3b800000
	v_lshlrev_b32_e32 v0, 20, v0
	v_lshl_add_u32 v4, v4, 23, v10
	v_or3_b32 v4, v9, v4, v0
.LBB10_1952:
	s_or_b64 exec, exec, s[6:7]
	s_nop 0
	v_mfma_f32_16x16x4f32 a[0:3], v8, v4, a[0:3]
	s_movk_i32 s4, 0x7f
	v_cmp_gt_i16_sdwa s[6:7], v5, s4 src0_sel:BYTE_0 src1_sel:DWORD
	s_mov_b64 s[4:5], 0
                                        ; implicit-def: $sgpr10
	s_and_saveexec_b64 s[8:9], s[6:7]
	s_xor_b64 s[6:7], exec, s[8:9]
	s_cbranch_execnz .LBB10_4001
; %bb.1953:
	s_or_saveexec_b64 s[6:7], s[6:7]
	v_mov_b32_e32 v0, s10
	s_xor_b64 exec, exec, s[6:7]
	s_cbranch_execnz .LBB10_4004
.LBB10_1954:
	s_or_b64 exec, exec, s[6:7]
	s_and_saveexec_b64 s[6:7], s[4:5]
	s_cbranch_execz .LBB10_1956
.LBB10_1955:
	v_and_b32_e32 v0, 7, v5
	v_ffbh_u32_e32 v8, v0
	v_min_u32_e32 v8, 32, v8
	v_lshrrev_b16_e32 v4, 3, v5
	v_subrev_u32_e32 v9, 28, v8
	v_and_b32_e32 v4, 15, v4
	v_lshlrev_b32_e32 v9, v9, v5
	v_sub_u32_e32 v8, 29, v8
	v_and_b32_e32 v9, 7, v9
	v_cmp_eq_u16_e32 vcc, 0, v4
	v_cndmask_b32_e32 v0, v0, v9, vcc
	v_cndmask_b32_e32 v4, v4, v8, vcc
	v_lshlrev_b32_e32 v8, 24, v5
	v_mov_b32_e32 v9, 0x3b800000
	v_lshlrev_b32_e32 v0, 20, v0
	v_and_b32_e32 v8, 0x80000000, v8
	v_lshl_add_u32 v4, v4, 23, v9
	v_or3_b32 v0, v8, v4, v0
.LBB10_1956:
	s_or_b64 exec, exec, s[6:7]
	s_movk_i32 s4, 0x7f
	v_cmp_gt_i16_sdwa s[6:7], v1, s4 src0_sel:BYTE_0 src1_sel:DWORD
	s_mov_b64 s[4:5], 0
                                        ; implicit-def: $sgpr10
	s_and_saveexec_b64 s[8:9], s[6:7]
	s_xor_b64 s[6:7], exec, s[8:9]
	s_cbranch_execnz .LBB10_4005
; %bb.1957:
	s_or_saveexec_b64 s[6:7], s[6:7]
	v_mov_b32_e32 v4, s10
	s_xor_b64 exec, exec, s[6:7]
	s_cbranch_execnz .LBB10_4008
.LBB10_1958:
	s_or_b64 exec, exec, s[6:7]
	s_and_saveexec_b64 s[6:7], s[4:5]
	s_cbranch_execz .LBB10_1960
.LBB10_1959:
	v_and_b32_e32 v4, 7, v1
	v_ffbh_u32_e32 v9, v4
	v_min_u32_e32 v9, 32, v9
	v_lshrrev_b16_e32 v8, 3, v1
	v_subrev_u32_e32 v10, 28, v9
	v_and_b32_e32 v8, 15, v8
	v_lshlrev_b32_e32 v10, v10, v1
	v_sub_u32_e32 v9, 29, v9
	v_and_b32_e32 v10, 7, v10
	v_cmp_eq_u16_e32 vcc, 0, v8
	v_cndmask_b32_e32 v4, v4, v10, vcc
	v_cndmask_b32_e32 v8, v8, v9, vcc
	v_lshlrev_b32_e32 v9, 24, v1
	v_mov_b32_e32 v10, 0x3b800000
	v_lshlrev_b32_e32 v4, 20, v4
	v_and_b32_e32 v9, 0x80000000, v9
	v_lshl_add_u32 v8, v8, 23, v10
	v_or3_b32 v4, v9, v8, v4
.LBB10_1960:
	s_or_b64 exec, exec, s[6:7]
	s_nop 0
	v_mfma_f32_16x16x4f32 a[0:3], v0, v4, a[0:3]
	v_lshrrev_b32_e32 v4, 8, v5
	s_movk_i32 s4, 0x7f
	v_cmp_gt_i16_sdwa s[6:7], v4, s4 src0_sel:BYTE_0 src1_sel:DWORD
	s_mov_b64 s[4:5], 0
                                        ; implicit-def: $sgpr10
	s_and_saveexec_b64 s[8:9], s[6:7]
	s_xor_b64 s[6:7], exec, s[8:9]
	s_cbranch_execnz .LBB10_4009
; %bb.1961:
	s_or_saveexec_b64 s[6:7], s[6:7]
	v_mov_b32_e32 v0, s10
	s_xor_b64 exec, exec, s[6:7]
	s_cbranch_execnz .LBB10_4012
.LBB10_1962:
	s_or_b64 exec, exec, s[6:7]
	s_and_saveexec_b64 s[6:7], s[4:5]
	s_cbranch_execz .LBB10_1964
.LBB10_1963:
	v_bfe_u32 v0, v5, 8, 3
	v_ffbh_u32_e32 v9, v0
	v_min_u32_e32 v9, 32, v9
	v_lshrrev_b16_e32 v8, 3, v4
	v_subrev_u32_e32 v10, 28, v9
	v_and_b32_e32 v8, 15, v8
	v_lshlrev_b32_e32 v4, v10, v4
	v_sub_u32_e32 v9, 29, v9
	v_and_b32_e32 v4, 7, v4
	v_cmp_eq_u16_e32 vcc, 0, v8
	v_cndmask_b32_e32 v0, v0, v4, vcc
	v_cndmask_b32_e32 v4, v8, v9, vcc
	v_lshlrev_b32_e32 v8, 16, v5
	v_mov_b32_e32 v9, 0x3b800000
	v_lshlrev_b32_e32 v0, 20, v0
	v_and_b32_e32 v8, 0x80000000, v8
	v_lshl_add_u32 v4, v4, 23, v9
	v_or3_b32 v0, v8, v4, v0
.LBB10_1964:
	s_or_b64 exec, exec, s[6:7]
	v_lshrrev_b32_e32 v4, 8, v1
	s_movk_i32 s4, 0x7f
	v_cmp_gt_i16_sdwa s[6:7], v4, s4 src0_sel:BYTE_0 src1_sel:DWORD
	s_mov_b64 s[4:5], 0
                                        ; implicit-def: $sgpr10
	s_and_saveexec_b64 s[8:9], s[6:7]
	s_xor_b64 s[6:7], exec, s[8:9]
	s_cbranch_execnz .LBB10_4013
; %bb.1965:
	s_or_saveexec_b64 s[6:7], s[6:7]
	v_mov_b32_e32 v8, s10
	s_xor_b64 exec, exec, s[6:7]
	s_cbranch_execnz .LBB10_4016
.LBB10_1966:
	s_or_b64 exec, exec, s[6:7]
	s_and_saveexec_b64 s[6:7], s[4:5]
	s_cbranch_execz .LBB10_1968
.LBB10_1967:
	v_bfe_u32 v8, v1, 8, 3
	v_ffbh_u32_e32 v10, v8
	v_min_u32_e32 v10, 32, v10
	v_lshrrev_b16_e32 v9, 3, v4
	v_subrev_u32_e32 v11, 28, v10
	v_and_b32_e32 v9, 15, v9
	v_lshlrev_b32_e32 v4, v11, v4
	v_sub_u32_e32 v10, 29, v10
	v_and_b32_e32 v4, 7, v4
	v_cmp_eq_u16_e32 vcc, 0, v9
	v_cndmask_b32_e32 v4, v8, v4, vcc
	v_cndmask_b32_e32 v8, v9, v10, vcc
	v_lshlrev_b32_e32 v9, 16, v1
	v_mov_b32_e32 v10, 0x3b800000
	v_lshlrev_b32_e32 v4, 20, v4
	v_and_b32_e32 v9, 0x80000000, v9
	v_lshl_add_u32 v8, v8, 23, v10
	v_or3_b32 v8, v9, v8, v4
.LBB10_1968:
	s_or_b64 exec, exec, s[6:7]
	s_nop 0
	v_mfma_f32_16x16x4f32 a[0:3], v0, v8, a[0:3]
	s_movk_i32 s4, 0xff
	v_and_b32_sdwa v4, v5, s4 dst_sel:DWORD dst_unused:UNUSED_PAD src0_sel:WORD_1 src1_sel:DWORD
	s_movk_i32 s4, 0x7f
	v_cmp_lt_i16_e32 vcc, s4, v4
	s_mov_b64 s[4:5], 0
                                        ; implicit-def: $sgpr10
	s_and_saveexec_b64 s[6:7], vcc
	s_xor_b64 s[6:7], exec, s[6:7]
	s_cbranch_execnz .LBB10_4017
; %bb.1969:
	s_or_saveexec_b64 s[6:7], s[6:7]
	v_mov_b32_e32 v0, s10
	s_xor_b64 exec, exec, s[6:7]
	s_cbranch_execnz .LBB10_4020
.LBB10_1970:
	s_or_b64 exec, exec, s[6:7]
	s_and_saveexec_b64 s[6:7], s[4:5]
	s_cbranch_execz .LBB10_1972
.LBB10_1971:
	v_bfe_u32 v0, v5, 16, 3
	v_ffbh_u32_e32 v9, v0
	v_min_u32_e32 v9, 32, v9
	v_lshrrev_b32_e32 v4, 19, v5
	v_subrev_u32_e32 v10, 28, v9
	v_and_b32_e32 v4, 15, v4
	v_lshlrev_b32_sdwa v10, v10, v5 dst_sel:DWORD dst_unused:UNUSED_PAD src0_sel:DWORD src1_sel:WORD_1
	v_bfe_u32 v8, v5, 19, 4
	v_sub_u32_e32 v9, 29, v9
	v_and_b32_e32 v10, 7, v10
	v_cmp_eq_u16_e32 vcc, 0, v4
	v_cndmask_b32_e32 v0, v0, v10, vcc
	v_cndmask_b32_e32 v4, v8, v9, vcc
	v_lshlrev_b32_e32 v8, 8, v5
	v_mov_b32_e32 v9, 0x3b800000
	v_lshlrev_b32_e32 v0, 20, v0
	v_and_b32_e32 v8, 0x80000000, v8
	v_lshl_add_u32 v4, v4, 23, v9
	v_or3_b32 v0, v8, v4, v0
.LBB10_1972:
	s_or_b64 exec, exec, s[6:7]
	s_movk_i32 s4, 0xff
	v_and_b32_sdwa v4, v1, s4 dst_sel:DWORD dst_unused:UNUSED_PAD src0_sel:WORD_1 src1_sel:DWORD
	s_movk_i32 s4, 0x7f
	v_cmp_lt_i16_e32 vcc, s4, v4
	s_mov_b64 s[4:5], 0
                                        ; implicit-def: $sgpr10
	s_and_saveexec_b64 s[6:7], vcc
	s_xor_b64 s[6:7], exec, s[6:7]
	s_cbranch_execnz .LBB10_4021
; %bb.1973:
	s_or_saveexec_b64 s[6:7], s[6:7]
	v_mov_b32_e32 v8, s10
	s_xor_b64 exec, exec, s[6:7]
	s_cbranch_execnz .LBB10_4024
.LBB10_1974:
	s_or_b64 exec, exec, s[6:7]
	s_and_saveexec_b64 s[6:7], s[4:5]
	s_cbranch_execz .LBB10_1976
.LBB10_1975:
	v_bfe_u32 v4, v1, 16, 3
	v_ffbh_u32_e32 v10, v4
	v_min_u32_e32 v10, 32, v10
	v_lshrrev_b32_e32 v8, 19, v1
	v_subrev_u32_e32 v11, 28, v10
	v_and_b32_e32 v8, 15, v8
	v_lshlrev_b32_sdwa v11, v11, v1 dst_sel:DWORD dst_unused:UNUSED_PAD src0_sel:DWORD src1_sel:WORD_1
	v_bfe_u32 v9, v1, 19, 4
	v_sub_u32_e32 v10, 29, v10
	v_and_b32_e32 v11, 7, v11
	v_cmp_eq_u16_e32 vcc, 0, v8
	v_cndmask_b32_e32 v4, v4, v11, vcc
	v_cndmask_b32_e32 v8, v9, v10, vcc
	v_lshlrev_b32_e32 v9, 8, v1
	v_mov_b32_e32 v10, 0x3b800000
	v_lshlrev_b32_e32 v4, 20, v4
	v_and_b32_e32 v9, 0x80000000, v9
	v_lshl_add_u32 v8, v8, 23, v10
	v_or3_b32 v8, v9, v8, v4
.LBB10_1976:
	s_or_b64 exec, exec, s[6:7]
	s_nop 0
	v_mfma_f32_16x16x4f32 a[0:3], v0, v8, a[0:3]
	s_movk_i32 s4, 0x7f
	v_cmp_gt_i16_sdwa s[6:7], v5, s4 src0_sel:BYTE_3 src1_sel:DWORD
	s_mov_b64 s[4:5], 0
                                        ; implicit-def: $sgpr10
	s_and_saveexec_b64 s[8:9], s[6:7]
	s_xor_b64 s[6:7], exec, s[8:9]
	s_cbranch_execnz .LBB10_4025
; %bb.1977:
	s_or_saveexec_b64 s[6:7], s[6:7]
	v_mov_b32_e32 v0, s10
	s_xor_b64 exec, exec, s[6:7]
	s_cbranch_execnz .LBB10_4028
.LBB10_1978:
	s_or_b64 exec, exec, s[6:7]
	s_and_saveexec_b64 s[6:7], s[4:5]
	s_cbranch_execz .LBB10_1980
.LBB10_1979:
	v_bfe_u32 v0, v5, 24, 3
	v_ffbh_u32_e32 v10, v0
	v_min_u32_e32 v10, 32, v10
	v_lshrrev_b32_e32 v8, 27, v5
	v_subrev_u32_e32 v11, 28, v10
	v_and_b32_e32 v4, 0x80000000, v5
	v_and_b32_e32 v8, 15, v8
	v_bfe_u32 v9, v5, 27, 4
	v_lshlrev_b32_sdwa v5, v11, v5 dst_sel:DWORD dst_unused:UNUSED_PAD src0_sel:DWORD src1_sel:BYTE_3
	v_sub_u32_e32 v10, 29, v10
	v_and_b32_e32 v5, 7, v5
	v_cmp_eq_u16_e32 vcc, 0, v8
	v_cndmask_b32_e32 v0, v0, v5, vcc
	v_cndmask_b32_e32 v5, v9, v10, vcc
	v_mov_b32_e32 v8, 0x3b800000
	v_lshlrev_b32_e32 v0, 20, v0
	v_lshl_add_u32 v5, v5, 23, v8
	v_or3_b32 v0, v4, v5, v0
.LBB10_1980:
	s_or_b64 exec, exec, s[6:7]
	s_movk_i32 s4, 0x7f
	v_cmp_gt_i16_sdwa s[6:7], v1, s4 src0_sel:BYTE_3 src1_sel:DWORD
	s_mov_b64 s[4:5], 0
                                        ; implicit-def: $sgpr10
	s_and_saveexec_b64 s[8:9], s[6:7]
	s_xor_b64 s[6:7], exec, s[8:9]
	s_cbranch_execnz .LBB10_4029
; %bb.1981:
	s_or_saveexec_b64 s[6:7], s[6:7]
	v_mov_b32_e32 v4, s10
	s_xor_b64 exec, exec, s[6:7]
	s_cbranch_execnz .LBB10_4032
.LBB10_1982:
	s_or_b64 exec, exec, s[6:7]
	s_and_saveexec_b64 s[6:7], s[4:5]
	s_cbranch_execz .LBB10_1984
.LBB10_1983:
	v_bfe_u32 v4, v1, 24, 3
	v_ffbh_u32_e32 v10, v4
	v_min_u32_e32 v10, 32, v10
	v_lshrrev_b32_e32 v8, 27, v1
	v_subrev_u32_e32 v11, 28, v10
	v_and_b32_e32 v5, 0x80000000, v1
	v_and_b32_e32 v8, 15, v8
	v_bfe_u32 v9, v1, 27, 4
	v_lshlrev_b32_sdwa v1, v11, v1 dst_sel:DWORD dst_unused:UNUSED_PAD src0_sel:DWORD src1_sel:BYTE_3
	v_sub_u32_e32 v10, 29, v10
	v_and_b32_e32 v1, 7, v1
	v_cmp_eq_u16_e32 vcc, 0, v8
	v_cndmask_b32_e32 v1, v4, v1, vcc
	v_cndmask_b32_e32 v4, v9, v10, vcc
	v_mov_b32_e32 v8, 0x3b800000
	v_lshlrev_b32_e32 v1, 20, v1
	v_lshl_add_u32 v4, v4, 23, v8
	v_or3_b32 v4, v5, v4, v1
.LBB10_1984:
	s_or_b64 exec, exec, s[6:7]
	s_nop 0
	v_mfma_f32_16x16x4f32 a[0:3], v0, v4, a[0:3]
	s_movk_i32 s4, 0x7f
	v_cmp_gt_i16_sdwa s[6:7], v6, s4 src0_sel:BYTE_0 src1_sel:DWORD
	s_mov_b64 s[4:5], 0
                                        ; implicit-def: $sgpr10
	s_and_saveexec_b64 s[8:9], s[6:7]
	s_xor_b64 s[6:7], exec, s[8:9]
	s_cbranch_execnz .LBB10_4033
; %bb.1985:
	s_or_saveexec_b64 s[6:7], s[6:7]
	v_mov_b32_e32 v0, s10
	s_xor_b64 exec, exec, s[6:7]
	s_cbranch_execnz .LBB10_4036
.LBB10_1986:
	s_or_b64 exec, exec, s[6:7]
	s_and_saveexec_b64 s[6:7], s[4:5]
	s_cbranch_execz .LBB10_1988
.LBB10_1987:
	v_and_b32_e32 v0, 7, v6
	v_ffbh_u32_e32 v4, v0
	v_min_u32_e32 v4, 32, v4
	v_lshrrev_b16_e32 v1, 3, v6
	v_subrev_u32_e32 v5, 28, v4
	v_and_b32_e32 v1, 15, v1
	v_lshlrev_b32_e32 v5, v5, v6
	v_sub_u32_e32 v4, 29, v4
	v_and_b32_e32 v5, 7, v5
	v_cmp_eq_u16_e32 vcc, 0, v1
	v_cndmask_b32_e32 v0, v0, v5, vcc
	v_cndmask_b32_e32 v1, v1, v4, vcc
	v_lshlrev_b32_e32 v4, 24, v6
	v_mov_b32_e32 v5, 0x3b800000
	v_lshlrev_b32_e32 v0, 20, v0
	v_and_b32_e32 v4, 0x80000000, v4
	v_lshl_add_u32 v1, v1, 23, v5
	v_or3_b32 v0, v4, v1, v0
.LBB10_1988:
	s_or_b64 exec, exec, s[6:7]
	s_movk_i32 s4, 0x7f
	v_cmp_gt_i16_sdwa s[6:7], v2, s4 src0_sel:BYTE_0 src1_sel:DWORD
	s_mov_b64 s[4:5], 0
                                        ; implicit-def: $sgpr10
	s_and_saveexec_b64 s[8:9], s[6:7]
	s_xor_b64 s[6:7], exec, s[8:9]
	s_cbranch_execnz .LBB10_4037
; %bb.1989:
	s_or_saveexec_b64 s[6:7], s[6:7]
	v_mov_b32_e32 v1, s10
	s_xor_b64 exec, exec, s[6:7]
	s_cbranch_execnz .LBB10_4040
.LBB10_1990:
	s_or_b64 exec, exec, s[6:7]
	s_and_saveexec_b64 s[6:7], s[4:5]
	s_cbranch_execz .LBB10_1992
.LBB10_1991:
	v_and_b32_e32 v1, 7, v2
	v_ffbh_u32_e32 v5, v1
	v_min_u32_e32 v5, 32, v5
	v_lshrrev_b16_e32 v4, 3, v2
	v_subrev_u32_e32 v8, 28, v5
	v_and_b32_e32 v4, 15, v4
	v_lshlrev_b32_e32 v8, v8, v2
	v_sub_u32_e32 v5, 29, v5
	v_and_b32_e32 v8, 7, v8
	v_cmp_eq_u16_e32 vcc, 0, v4
	v_cndmask_b32_e32 v1, v1, v8, vcc
	v_cndmask_b32_e32 v4, v4, v5, vcc
	v_lshlrev_b32_e32 v5, 24, v2
	v_mov_b32_e32 v8, 0x3b800000
	v_lshlrev_b32_e32 v1, 20, v1
	v_and_b32_e32 v5, 0x80000000, v5
	v_lshl_add_u32 v4, v4, 23, v8
	v_or3_b32 v1, v5, v4, v1
.LBB10_1992:
	s_or_b64 exec, exec, s[6:7]
	s_nop 0
	v_mfma_f32_16x16x4f32 a[0:3], v0, v1, a[0:3]
	v_lshrrev_b32_e32 v1, 8, v6
	s_movk_i32 s4, 0x7f
	v_cmp_gt_i16_sdwa s[6:7], v1, s4 src0_sel:BYTE_0 src1_sel:DWORD
	s_mov_b64 s[4:5], 0
                                        ; implicit-def: $sgpr10
	s_and_saveexec_b64 s[8:9], s[6:7]
	s_xor_b64 s[6:7], exec, s[8:9]
	s_cbranch_execnz .LBB10_4041
; %bb.1993:
	s_or_saveexec_b64 s[6:7], s[6:7]
	v_mov_b32_e32 v0, s10
	s_xor_b64 exec, exec, s[6:7]
	s_cbranch_execnz .LBB10_4044
.LBB10_1994:
	s_or_b64 exec, exec, s[6:7]
	s_and_saveexec_b64 s[6:7], s[4:5]
	s_cbranch_execz .LBB10_1996
.LBB10_1995:
	v_bfe_u32 v0, v6, 8, 3
	v_ffbh_u32_e32 v5, v0
	v_min_u32_e32 v5, 32, v5
	v_lshrrev_b16_e32 v4, 3, v1
	v_subrev_u32_e32 v8, 28, v5
	v_and_b32_e32 v4, 15, v4
	v_lshlrev_b32_e32 v1, v8, v1
	v_sub_u32_e32 v5, 29, v5
	v_and_b32_e32 v1, 7, v1
	v_cmp_eq_u16_e32 vcc, 0, v4
	v_cndmask_b32_e32 v0, v0, v1, vcc
	v_cndmask_b32_e32 v1, v4, v5, vcc
	v_lshlrev_b32_e32 v4, 16, v6
	v_mov_b32_e32 v5, 0x3b800000
	v_lshlrev_b32_e32 v0, 20, v0
	v_and_b32_e32 v4, 0x80000000, v4
	v_lshl_add_u32 v1, v1, 23, v5
	v_or3_b32 v0, v4, v1, v0
.LBB10_1996:
	s_or_b64 exec, exec, s[6:7]
	v_lshrrev_b32_e32 v1, 8, v2
	s_movk_i32 s4, 0x7f
	v_cmp_gt_i16_sdwa s[6:7], v1, s4 src0_sel:BYTE_0 src1_sel:DWORD
	s_mov_b64 s[4:5], 0
                                        ; implicit-def: $sgpr10
	s_and_saveexec_b64 s[8:9], s[6:7]
	s_xor_b64 s[6:7], exec, s[8:9]
	s_cbranch_execnz .LBB10_4045
; %bb.1997:
	s_or_saveexec_b64 s[6:7], s[6:7]
	v_mov_b32_e32 v4, s10
	s_xor_b64 exec, exec, s[6:7]
	s_cbranch_execnz .LBB10_4048
.LBB10_1998:
	s_or_b64 exec, exec, s[6:7]
	s_and_saveexec_b64 s[6:7], s[4:5]
	s_cbranch_execz .LBB10_2000
.LBB10_1999:
	v_bfe_u32 v4, v2, 8, 3
	v_ffbh_u32_e32 v8, v4
	v_min_u32_e32 v8, 32, v8
	v_lshrrev_b16_e32 v5, 3, v1
	v_subrev_u32_e32 v9, 28, v8
	v_and_b32_e32 v5, 15, v5
	v_lshlrev_b32_e32 v1, v9, v1
	v_sub_u32_e32 v8, 29, v8
	v_and_b32_e32 v1, 7, v1
	v_cmp_eq_u16_e32 vcc, 0, v5
	v_cndmask_b32_e32 v1, v4, v1, vcc
	v_cndmask_b32_e32 v4, v5, v8, vcc
	v_lshlrev_b32_e32 v5, 16, v2
	v_mov_b32_e32 v8, 0x3b800000
	v_lshlrev_b32_e32 v1, 20, v1
	v_and_b32_e32 v5, 0x80000000, v5
	v_lshl_add_u32 v4, v4, 23, v8
	v_or3_b32 v4, v5, v4, v1
.LBB10_2000:
	s_or_b64 exec, exec, s[6:7]
	s_nop 0
	v_mfma_f32_16x16x4f32 a[0:3], v0, v4, a[0:3]
	s_movk_i32 s4, 0xff
	v_and_b32_sdwa v1, v6, s4 dst_sel:DWORD dst_unused:UNUSED_PAD src0_sel:WORD_1 src1_sel:DWORD
	s_movk_i32 s4, 0x7f
	v_cmp_lt_i16_e32 vcc, s4, v1
	s_mov_b64 s[4:5], 0
                                        ; implicit-def: $sgpr10
	s_and_saveexec_b64 s[6:7], vcc
	s_xor_b64 s[6:7], exec, s[6:7]
	s_cbranch_execnz .LBB10_4049
; %bb.2001:
	s_or_saveexec_b64 s[6:7], s[6:7]
	v_mov_b32_e32 v0, s10
	s_xor_b64 exec, exec, s[6:7]
	s_cbranch_execnz .LBB10_4052
.LBB10_2002:
	s_or_b64 exec, exec, s[6:7]
	s_and_saveexec_b64 s[6:7], s[4:5]
	s_cbranch_execz .LBB10_2004
.LBB10_2003:
	v_bfe_u32 v0, v6, 16, 3
	v_ffbh_u32_e32 v5, v0
	v_min_u32_e32 v5, 32, v5
	v_lshrrev_b32_e32 v1, 19, v6
	v_subrev_u32_e32 v8, 28, v5
	v_and_b32_e32 v1, 15, v1
	v_lshlrev_b32_sdwa v8, v8, v6 dst_sel:DWORD dst_unused:UNUSED_PAD src0_sel:DWORD src1_sel:WORD_1
	v_bfe_u32 v4, v6, 19, 4
	v_sub_u32_e32 v5, 29, v5
	v_and_b32_e32 v8, 7, v8
	v_cmp_eq_u16_e32 vcc, 0, v1
	v_cndmask_b32_e32 v0, v0, v8, vcc
	v_cndmask_b32_e32 v1, v4, v5, vcc
	v_lshlrev_b32_e32 v4, 8, v6
	v_mov_b32_e32 v5, 0x3b800000
	v_lshlrev_b32_e32 v0, 20, v0
	v_and_b32_e32 v4, 0x80000000, v4
	v_lshl_add_u32 v1, v1, 23, v5
	v_or3_b32 v0, v4, v1, v0
.LBB10_2004:
	s_or_b64 exec, exec, s[6:7]
	s_movk_i32 s4, 0xff
	v_and_b32_sdwa v1, v2, s4 dst_sel:DWORD dst_unused:UNUSED_PAD src0_sel:WORD_1 src1_sel:DWORD
	s_movk_i32 s4, 0x7f
	v_cmp_lt_i16_e32 vcc, s4, v1
	s_mov_b64 s[4:5], 0
                                        ; implicit-def: $sgpr10
	s_and_saveexec_b64 s[6:7], vcc
	s_xor_b64 s[6:7], exec, s[6:7]
	s_cbranch_execnz .LBB10_4053
; %bb.2005:
	s_or_saveexec_b64 s[6:7], s[6:7]
	v_mov_b32_e32 v4, s10
	s_xor_b64 exec, exec, s[6:7]
	s_cbranch_execnz .LBB10_4056
.LBB10_2006:
	s_or_b64 exec, exec, s[6:7]
	s_and_saveexec_b64 s[6:7], s[4:5]
	s_cbranch_execz .LBB10_2008
.LBB10_2007:
	v_bfe_u32 v1, v2, 16, 3
	v_ffbh_u32_e32 v8, v1
	v_min_u32_e32 v8, 32, v8
	v_lshrrev_b32_e32 v4, 19, v2
	v_subrev_u32_e32 v9, 28, v8
	v_and_b32_e32 v4, 15, v4
	v_lshlrev_b32_sdwa v9, v9, v2 dst_sel:DWORD dst_unused:UNUSED_PAD src0_sel:DWORD src1_sel:WORD_1
	v_bfe_u32 v5, v2, 19, 4
	v_sub_u32_e32 v8, 29, v8
	v_and_b32_e32 v9, 7, v9
	v_cmp_eq_u16_e32 vcc, 0, v4
	v_cndmask_b32_e32 v1, v1, v9, vcc
	v_cndmask_b32_e32 v4, v5, v8, vcc
	v_lshlrev_b32_e32 v5, 8, v2
	v_mov_b32_e32 v8, 0x3b800000
	v_lshlrev_b32_e32 v1, 20, v1
	v_and_b32_e32 v5, 0x80000000, v5
	v_lshl_add_u32 v4, v4, 23, v8
	v_or3_b32 v4, v5, v4, v1
.LBB10_2008:
	s_or_b64 exec, exec, s[6:7]
	s_nop 0
	v_mfma_f32_16x16x4f32 a[0:3], v0, v4, a[0:3]
	s_movk_i32 s4, 0x7f
	v_cmp_gt_i16_sdwa s[6:7], v6, s4 src0_sel:BYTE_3 src1_sel:DWORD
	s_mov_b64 s[4:5], 0
                                        ; implicit-def: $sgpr10
	s_and_saveexec_b64 s[8:9], s[6:7]
	s_xor_b64 s[6:7], exec, s[8:9]
	s_cbranch_execnz .LBB10_4057
; %bb.2009:
	s_or_saveexec_b64 s[6:7], s[6:7]
	v_mov_b32_e32 v0, s10
	s_xor_b64 exec, exec, s[6:7]
	s_cbranch_execnz .LBB10_4060
.LBB10_2010:
	s_or_b64 exec, exec, s[6:7]
	s_and_saveexec_b64 s[6:7], s[4:5]
	s_cbranch_execz .LBB10_2012
.LBB10_2011:
	v_bfe_u32 v0, v6, 24, 3
	v_ffbh_u32_e32 v8, v0
	v_min_u32_e32 v8, 32, v8
	v_lshrrev_b32_e32 v4, 27, v6
	v_subrev_u32_e32 v9, 28, v8
	v_and_b32_e32 v1, 0x80000000, v6
	v_and_b32_e32 v4, 15, v4
	v_bfe_u32 v5, v6, 27, 4
	v_lshlrev_b32_sdwa v6, v9, v6 dst_sel:DWORD dst_unused:UNUSED_PAD src0_sel:DWORD src1_sel:BYTE_3
	v_sub_u32_e32 v8, 29, v8
	v_and_b32_e32 v6, 7, v6
	v_cmp_eq_u16_e32 vcc, 0, v4
	v_cndmask_b32_e32 v0, v0, v6, vcc
	v_cndmask_b32_e32 v4, v5, v8, vcc
	v_mov_b32_e32 v5, 0x3b800000
	v_lshlrev_b32_e32 v0, 20, v0
	v_lshl_add_u32 v4, v4, 23, v5
	v_or3_b32 v0, v1, v4, v0
.LBB10_2012:
	s_or_b64 exec, exec, s[6:7]
	s_movk_i32 s4, 0x7f
	v_cmp_gt_i16_sdwa s[6:7], v2, s4 src0_sel:BYTE_3 src1_sel:DWORD
	s_mov_b64 s[4:5], 0
                                        ; implicit-def: $sgpr10
	s_and_saveexec_b64 s[8:9], s[6:7]
	s_xor_b64 s[6:7], exec, s[8:9]
	s_cbranch_execnz .LBB10_4061
; %bb.2013:
	s_or_saveexec_b64 s[6:7], s[6:7]
	v_mov_b32_e32 v1, s10
	s_xor_b64 exec, exec, s[6:7]
	s_cbranch_execnz .LBB10_4064
.LBB10_2014:
	s_or_b64 exec, exec, s[6:7]
	s_and_saveexec_b64 s[6:7], s[4:5]
	s_cbranch_execz .LBB10_2016
.LBB10_2015:
	v_bfe_u32 v1, v2, 24, 3
	v_ffbh_u32_e32 v8, v1
	v_min_u32_e32 v8, 32, v8
	v_lshrrev_b32_e32 v5, 27, v2
	v_subrev_u32_e32 v9, 28, v8
	v_and_b32_e32 v4, 0x80000000, v2
	v_and_b32_e32 v5, 15, v5
	v_bfe_u32 v6, v2, 27, 4
	v_lshlrev_b32_sdwa v2, v9, v2 dst_sel:DWORD dst_unused:UNUSED_PAD src0_sel:DWORD src1_sel:BYTE_3
	v_sub_u32_e32 v8, 29, v8
	v_and_b32_e32 v2, 7, v2
	v_cmp_eq_u16_e32 vcc, 0, v5
	v_cndmask_b32_e32 v1, v1, v2, vcc
	v_cndmask_b32_e32 v2, v6, v8, vcc
	v_mov_b32_e32 v5, 0x3b800000
	v_lshlrev_b32_e32 v1, 20, v1
	v_lshl_add_u32 v2, v2, 23, v5
	v_or3_b32 v1, v4, v2, v1
.LBB10_2016:
	s_or_b64 exec, exec, s[6:7]
	s_nop 0
	v_mfma_f32_16x16x4f32 a[0:3], v0, v1, a[0:3]
	s_movk_i32 s4, 0x7f
	v_cmp_gt_i16_sdwa s[6:7], v7, s4 src0_sel:BYTE_0 src1_sel:DWORD
	s_mov_b64 s[4:5], 0
                                        ; implicit-def: $sgpr10
	s_and_saveexec_b64 s[8:9], s[6:7]
	s_xor_b64 s[6:7], exec, s[8:9]
	s_cbranch_execnz .LBB10_4065
; %bb.2017:
	s_or_saveexec_b64 s[6:7], s[6:7]
	v_mov_b32_e32 v0, s10
	s_xor_b64 exec, exec, s[6:7]
	s_cbranch_execnz .LBB10_4068
.LBB10_2018:
	s_or_b64 exec, exec, s[6:7]
	s_and_saveexec_b64 s[6:7], s[4:5]
	s_cbranch_execz .LBB10_2020
.LBB10_2019:
	v_mov_b32_e32 v0, 8
	v_and_b32_e32 v1, 7, v7
	v_lshrrev_b32_sdwa v0, v0, v7 dst_sel:BYTE_1 dst_unused:UNUSED_PAD src0_sel:DWORD src1_sel:DWORD
	v_ffbh_u32_e32 v2, v1
	v_or_b32_sdwa v0, v7, v0 dst_sel:DWORD dst_unused:UNUSED_PAD src0_sel:BYTE_0 src1_sel:DWORD
	v_min_u32_e32 v2, 32, v2
	v_lshrrev_b16_e32 v0, 3, v0
	v_subrev_u32_e32 v4, 28, v2
	v_and_b32_e32 v0, 15, v0
	v_lshlrev_b32_e32 v4, v4, v7
	v_sub_u32_e32 v2, 29, v2
	v_and_b32_e32 v4, 7, v4
	v_cmp_eq_u16_e32 vcc, 0, v0
	v_cndmask_b32_e32 v1, v1, v4, vcc
	v_cndmask_b32_e32 v0, v0, v2, vcc
	v_lshlrev_b32_e32 v2, 24, v7
	v_mov_b32_e32 v4, 0x3b800000
	v_lshlrev_b32_e32 v1, 20, v1
	v_and_b32_e32 v2, 0x80000000, v2
	v_lshl_add_u32 v0, v0, 23, v4
	v_or3_b32 v0, v2, v0, v1
.LBB10_2020:
	s_or_b64 exec, exec, s[6:7]
	s_movk_i32 s4, 0x7f
	v_cmp_gt_i16_sdwa s[6:7], v3, s4 src0_sel:BYTE_0 src1_sel:DWORD
	s_mov_b64 s[4:5], 0
                                        ; implicit-def: $sgpr10
	s_and_saveexec_b64 s[8:9], s[6:7]
	s_xor_b64 s[6:7], exec, s[8:9]
	s_cbranch_execnz .LBB10_4069
; %bb.2021:
	s_or_saveexec_b64 s[6:7], s[6:7]
	v_mov_b32_e32 v1, s10
	s_xor_b64 exec, exec, s[6:7]
	s_cbranch_execnz .LBB10_4072
.LBB10_2022:
	s_or_b64 exec, exec, s[6:7]
	s_and_saveexec_b64 s[6:7], s[4:5]
	s_cbranch_execz .LBB10_2024
.LBB10_2023:
	v_mov_b32_e32 v1, 8
	v_and_b32_e32 v2, 7, v3
	v_lshrrev_b32_sdwa v1, v1, v3 dst_sel:BYTE_1 dst_unused:UNUSED_PAD src0_sel:DWORD src1_sel:DWORD
	v_ffbh_u32_e32 v4, v2
	v_or_b32_sdwa v1, v3, v1 dst_sel:DWORD dst_unused:UNUSED_PAD src0_sel:BYTE_0 src1_sel:DWORD
	v_min_u32_e32 v4, 32, v4
	v_lshrrev_b16_e32 v1, 3, v1
	v_subrev_u32_e32 v5, 28, v4
	v_and_b32_e32 v1, 15, v1
	v_lshlrev_b32_e32 v5, v5, v3
	v_sub_u32_e32 v4, 29, v4
	v_and_b32_e32 v5, 7, v5
	v_cmp_eq_u16_e32 vcc, 0, v1
	v_cndmask_b32_e32 v2, v2, v5, vcc
	v_cndmask_b32_e32 v1, v1, v4, vcc
	v_lshlrev_b32_e32 v4, 24, v3
	v_mov_b32_e32 v5, 0x3b800000
	v_lshlrev_b32_e32 v2, 20, v2
	v_and_b32_e32 v4, 0x80000000, v4
	v_lshl_add_u32 v1, v1, 23, v5
	v_or3_b32 v1, v4, v1, v2
.LBB10_2024:
	s_or_b64 exec, exec, s[6:7]
	s_nop 0
	v_mfma_f32_16x16x4f32 a[0:3], v0, v1, a[0:3]
	v_lshrrev_b32_e32 v1, 8, v7
	s_movk_i32 s4, 0x7f
	v_cmp_gt_i16_sdwa s[6:7], v1, s4 src0_sel:BYTE_0 src1_sel:DWORD
	s_mov_b64 s[4:5], 0
                                        ; implicit-def: $sgpr10
	s_and_saveexec_b64 s[8:9], s[6:7]
	s_xor_b64 s[6:7], exec, s[8:9]
	s_cbranch_execnz .LBB10_4073
; %bb.2025:
	s_or_saveexec_b64 s[6:7], s[6:7]
	v_mov_b32_e32 v0, s10
	s_xor_b64 exec, exec, s[6:7]
	s_cbranch_execnz .LBB10_4076
.LBB10_2026:
	s_or_b64 exec, exec, s[6:7]
	s_and_saveexec_b64 s[6:7], s[4:5]
	s_cbranch_execz .LBB10_2028
.LBB10_2027:
	v_bfe_u32 v0, v7, 8, 3
	v_ffbh_u32_e32 v4, v0
	v_min_u32_e32 v4, 32, v4
	v_lshrrev_b16_e32 v2, 3, v1
	v_subrev_u32_e32 v5, 28, v4
	v_and_b32_e32 v2, 15, v2
	v_lshlrev_b32_e32 v1, v5, v1
	v_sub_u32_e32 v4, 29, v4
	v_and_b32_e32 v1, 7, v1
	v_cmp_eq_u16_e32 vcc, 0, v2
	v_cndmask_b32_e32 v0, v0, v1, vcc
	v_cndmask_b32_e32 v1, v2, v4, vcc
	v_lshlrev_b32_e32 v2, 16, v7
	v_mov_b32_e32 v4, 0x3b800000
	v_lshlrev_b32_e32 v0, 20, v0
	v_and_b32_e32 v2, 0x80000000, v2
	v_lshl_add_u32 v1, v1, 23, v4
	v_or3_b32 v0, v2, v1, v0
.LBB10_2028:
	s_or_b64 exec, exec, s[6:7]
	v_lshrrev_b32_e32 v1, 8, v3
	s_movk_i32 s4, 0x7f
	v_cmp_gt_i16_sdwa s[6:7], v1, s4 src0_sel:BYTE_0 src1_sel:DWORD
	s_mov_b64 s[4:5], 0
                                        ; implicit-def: $sgpr10
	s_and_saveexec_b64 s[8:9], s[6:7]
	s_xor_b64 s[6:7], exec, s[8:9]
	s_cbranch_execnz .LBB10_4077
; %bb.2029:
	s_or_saveexec_b64 s[6:7], s[6:7]
	v_mov_b32_e32 v2, s10
	s_xor_b64 exec, exec, s[6:7]
	s_cbranch_execnz .LBB10_4080
.LBB10_2030:
	s_or_b64 exec, exec, s[6:7]
	s_and_saveexec_b64 s[6:7], s[4:5]
	s_cbranch_execz .LBB10_2032
.LBB10_2031:
	v_bfe_u32 v2, v3, 8, 3
	v_ffbh_u32_e32 v5, v2
	v_min_u32_e32 v5, 32, v5
	v_lshrrev_b16_e32 v4, 3, v1
	v_subrev_u32_e32 v6, 28, v5
	v_and_b32_e32 v4, 15, v4
	v_lshlrev_b32_e32 v1, v6, v1
	v_sub_u32_e32 v5, 29, v5
	v_and_b32_e32 v1, 7, v1
	v_cmp_eq_u16_e32 vcc, 0, v4
	v_cndmask_b32_e32 v1, v2, v1, vcc
	v_cndmask_b32_e32 v2, v4, v5, vcc
	v_lshlrev_b32_e32 v4, 16, v3
	v_mov_b32_e32 v5, 0x3b800000
	v_lshlrev_b32_e32 v1, 20, v1
	v_and_b32_e32 v4, 0x80000000, v4
	v_lshl_add_u32 v2, v2, 23, v5
	v_or3_b32 v2, v4, v2, v1
.LBB10_2032:
	s_or_b64 exec, exec, s[6:7]
	s_nop 0
	v_mfma_f32_16x16x4f32 a[0:3], v0, v2, a[0:3]
	s_movk_i32 s4, 0xff
	v_and_b32_sdwa v1, v7, s4 dst_sel:DWORD dst_unused:UNUSED_PAD src0_sel:WORD_1 src1_sel:DWORD
	s_movk_i32 s4, 0x7f
	v_cmp_lt_i16_e32 vcc, s4, v1
	s_mov_b64 s[4:5], 0
                                        ; implicit-def: $sgpr10
	s_and_saveexec_b64 s[6:7], vcc
	s_xor_b64 s[6:7], exec, s[6:7]
	s_cbranch_execnz .LBB10_4081
; %bb.2033:
	s_or_saveexec_b64 s[6:7], s[6:7]
	v_mov_b32_e32 v0, s10
	s_xor_b64 exec, exec, s[6:7]
	s_cbranch_execnz .LBB10_4084
.LBB10_2034:
	s_or_b64 exec, exec, s[6:7]
	s_and_saveexec_b64 s[6:7], s[4:5]
	s_cbranch_execz .LBB10_2036
.LBB10_2035:
	v_bfe_u32 v0, v7, 16, 3
	v_ffbh_u32_e32 v4, v0
	v_min_u32_e32 v4, 32, v4
	v_lshrrev_b32_e32 v1, 19, v7
	v_subrev_u32_e32 v5, 28, v4
	v_and_b32_e32 v1, 15, v1
	v_lshlrev_b32_sdwa v5, v5, v7 dst_sel:DWORD dst_unused:UNUSED_PAD src0_sel:DWORD src1_sel:WORD_1
	v_bfe_u32 v2, v7, 19, 4
	v_sub_u32_e32 v4, 29, v4
	v_and_b32_e32 v5, 7, v5
	v_cmp_eq_u16_e32 vcc, 0, v1
	v_cndmask_b32_e32 v0, v0, v5, vcc
	v_cndmask_b32_e32 v1, v2, v4, vcc
	v_lshlrev_b32_e32 v2, 8, v7
	v_mov_b32_e32 v4, 0x3b800000
	v_lshlrev_b32_e32 v0, 20, v0
	v_and_b32_e32 v2, 0x80000000, v2
	v_lshl_add_u32 v1, v1, 23, v4
	v_or3_b32 v0, v2, v1, v0
.LBB10_2036:
	s_or_b64 exec, exec, s[6:7]
	s_movk_i32 s4, 0xff
	v_and_b32_sdwa v1, v3, s4 dst_sel:DWORD dst_unused:UNUSED_PAD src0_sel:WORD_1 src1_sel:DWORD
	s_movk_i32 s4, 0x7f
	v_cmp_lt_i16_e32 vcc, s4, v1
	s_mov_b64 s[4:5], 0
                                        ; implicit-def: $sgpr10
	s_and_saveexec_b64 s[6:7], vcc
	s_xor_b64 s[6:7], exec, s[6:7]
	s_cbranch_execnz .LBB10_4085
; %bb.2037:
	s_or_saveexec_b64 s[6:7], s[6:7]
	v_mov_b32_e32 v2, s10
	s_xor_b64 exec, exec, s[6:7]
	s_cbranch_execnz .LBB10_4088
.LBB10_2038:
	s_or_b64 exec, exec, s[6:7]
	s_and_saveexec_b64 s[6:7], s[4:5]
	s_cbranch_execz .LBB10_2040
.LBB10_2039:
	v_bfe_u32 v1, v3, 16, 3
	v_ffbh_u32_e32 v5, v1
	v_min_u32_e32 v5, 32, v5
	v_lshrrev_b32_e32 v2, 19, v3
	v_subrev_u32_e32 v6, 28, v5
	v_and_b32_e32 v2, 15, v2
	v_lshlrev_b32_sdwa v6, v6, v3 dst_sel:DWORD dst_unused:UNUSED_PAD src0_sel:DWORD src1_sel:WORD_1
	v_bfe_u32 v4, v3, 19, 4
	v_sub_u32_e32 v5, 29, v5
	v_and_b32_e32 v6, 7, v6
	v_cmp_eq_u16_e32 vcc, 0, v2
	v_cndmask_b32_e32 v1, v1, v6, vcc
	v_cndmask_b32_e32 v2, v4, v5, vcc
	v_lshlrev_b32_e32 v4, 8, v3
	v_mov_b32_e32 v5, 0x3b800000
	v_lshlrev_b32_e32 v1, 20, v1
	v_and_b32_e32 v4, 0x80000000, v4
	v_lshl_add_u32 v2, v2, 23, v5
	v_or3_b32 v2, v4, v2, v1
.LBB10_2040:
	s_or_b64 exec, exec, s[6:7]
	s_nop 0
	v_mfma_f32_16x16x4f32 a[0:3], v0, v2, a[0:3]
	s_movk_i32 s4, 0x7f
	v_cmp_gt_i16_sdwa s[6:7], v7, s4 src0_sel:BYTE_3 src1_sel:DWORD
	s_mov_b64 s[4:5], 0
                                        ; implicit-def: $sgpr10
	s_and_saveexec_b64 s[8:9], s[6:7]
	s_xor_b64 s[6:7], exec, s[8:9]
	s_cbranch_execnz .LBB10_4089
; %bb.2041:
	s_or_saveexec_b64 s[6:7], s[6:7]
	v_mov_b32_e32 v0, s10
	s_xor_b64 exec, exec, s[6:7]
	s_cbranch_execnz .LBB10_4092
.LBB10_2042:
	s_or_b64 exec, exec, s[6:7]
	s_and_saveexec_b64 s[6:7], s[4:5]
	s_cbranch_execz .LBB10_2044
.LBB10_2043:
	v_bfe_u32 v0, v7, 24, 3
	v_ffbh_u32_e32 v5, v0
	v_min_u32_e32 v5, 32, v5
	v_lshrrev_b32_e32 v2, 27, v7
	v_subrev_u32_e32 v6, 28, v5
	v_and_b32_e32 v2, 15, v2
	v_lshlrev_b32_sdwa v6, v6, v7 dst_sel:DWORD dst_unused:UNUSED_PAD src0_sel:DWORD src1_sel:BYTE_3
	v_bfe_u32 v4, v7, 27, 4
	v_sub_u32_e32 v5, 29, v5
	v_and_b32_e32 v6, 7, v6
	v_cmp_eq_u16_e32 vcc, 0, v2
	v_cndmask_b32_e32 v0, v0, v6, vcc
	v_cndmask_b32_e32 v2, v4, v5, vcc
	v_mov_b32_e32 v4, 0x3b800000
	v_and_b32_e32 v1, 0x80000000, v7
	v_lshlrev_b32_e32 v0, 20, v0
	v_lshl_add_u32 v2, v2, 23, v4
	v_or3_b32 v0, v1, v2, v0
.LBB10_2044:
	s_or_b64 exec, exec, s[6:7]
	s_movk_i32 s4, 0x7f
	v_cmp_gt_i16_sdwa s[6:7], v3, s4 src0_sel:BYTE_3 src1_sel:DWORD
	s_mov_b64 s[4:5], 0
                                        ; implicit-def: $sgpr10
	s_and_saveexec_b64 s[8:9], s[6:7]
	s_xor_b64 s[6:7], exec, s[8:9]
	s_cbranch_execnz .LBB10_4093
; %bb.2045:
	s_or_saveexec_b64 s[6:7], s[6:7]
	v_mov_b32_e32 v1, s10
	s_xor_b64 exec, exec, s[6:7]
	s_cbranch_execnz .LBB10_4096
.LBB10_2046:
	s_or_b64 exec, exec, s[6:7]
	s_and_saveexec_b64 s[6:7], s[4:5]
	s_cbranch_execz .LBB10_2048
.LBB10_2047:
	v_bfe_u32 v1, v3, 24, 3
	v_ffbh_u32_e32 v6, v1
	v_min_u32_e32 v6, 32, v6
	v_lshrrev_b32_e32 v4, 27, v3
	v_subrev_u32_e32 v7, 28, v6
	v_and_b32_e32 v2, 0x80000000, v3
	v_and_b32_e32 v4, 15, v4
	v_bfe_u32 v5, v3, 27, 4
	v_lshlrev_b32_sdwa v3, v7, v3 dst_sel:DWORD dst_unused:UNUSED_PAD src0_sel:DWORD src1_sel:BYTE_3
	v_sub_u32_e32 v6, 29, v6
	v_and_b32_e32 v3, 7, v3
	v_cmp_eq_u16_e32 vcc, 0, v4
	v_cndmask_b32_e32 v1, v1, v3, vcc
	v_cndmask_b32_e32 v3, v5, v6, vcc
	v_mov_b32_e32 v4, 0x3b800000
	v_lshlrev_b32_e32 v1, 20, v1
	v_lshl_add_u32 v3, v3, 23, v4
	v_or3_b32 v1, v2, v3, v1
.LBB10_2048:
	s_or_b64 exec, exec, s[6:7]
	s_nop 0
	v_mfma_f32_16x16x4f32 a[0:3], v0, v1, a[0:3]
	s_nop 7
	s_nop 2
	flat_store_dwordx4 v[16:17], a[0:3] offset:112
	s_waitcnt vmcnt(0) lgkmcnt(0)
	s_setpc_b64 s[30:31]
.LBB10_2049:
	s_movk_i32 s4, 0x80
	v_cmp_eq_u16_sdwa s[12:13], v14, s4 src0_sel:BYTE_0 src1_sel:DWORD
	s_mov_b64 s[4:5], -1
                                        ; implicit-def: $sgpr10
	s_and_saveexec_b64 s[8:9], s[12:13]
; %bb.2050:
	s_mov_b32 s10, 0x7f800001
	s_xor_b64 s[4:5], exec, -1
; %bb.2051:
	s_or_b64 exec, exec, s[8:9]
	s_and_b64 s[4:5], s[4:5], exec
	s_or_saveexec_b64 s[6:7], s[6:7]
	v_mov_b32_e32 v20, s10
	s_xor_b64 exec, exec, s[6:7]
	s_cbranch_execz .LBB10_2
.LBB10_2052:
	v_mov_b32_e32 v20, 0
	v_cmp_ne_u16_sdwa s[8:9], v14, v20 src0_sel:BYTE_0 src1_sel:DWORD
	s_andn2_b64 s[4:5], s[4:5], exec
	s_and_b64 s[8:9], s[8:9], exec
	s_or_b64 s[4:5], s[4:5], s[8:9]
	s_or_b64 exec, exec, s[6:7]
	s_and_saveexec_b64 s[6:7], s[4:5]
	s_cbranch_execnz .LBB10_3
	s_branch .LBB10_4
.LBB10_2053:
	s_movk_i32 s4, 0x80
	v_cmp_eq_u16_sdwa s[12:13], v10, s4 src0_sel:BYTE_0 src1_sel:DWORD
	s_mov_b64 s[4:5], -1
                                        ; implicit-def: $sgpr10
	s_and_saveexec_b64 s[8:9], s[12:13]
; %bb.2054:
	s_mov_b32 s10, 0x7f800001
	s_xor_b64 s[4:5], exec, -1
; %bb.2055:
	s_or_b64 exec, exec, s[8:9]
	s_and_b64 s[4:5], s[4:5], exec
	s_or_saveexec_b64 s[6:7], s[6:7]
	v_mov_b32_e32 v21, s10
	s_xor_b64 exec, exec, s[6:7]
	s_cbranch_execz .LBB10_6
.LBB10_2056:
	v_mov_b32_e32 v21, 0
	v_cmp_ne_u16_sdwa s[8:9], v10, v21 src0_sel:BYTE_0 src1_sel:DWORD
	s_andn2_b64 s[4:5], s[4:5], exec
	s_and_b64 s[8:9], s[8:9], exec
	s_or_b64 s[4:5], s[4:5], s[8:9]
	s_or_b64 exec, exec, s[6:7]
	s_and_saveexec_b64 s[6:7], s[4:5]
	s_cbranch_execnz .LBB10_7
	s_branch .LBB10_8
.LBB10_2057:
	s_movk_i32 s4, 0x80
	v_cmp_eq_u16_sdwa s[12:13], v21, s4 src0_sel:BYTE_0 src1_sel:DWORD
	s_mov_b64 s[4:5], -1
                                        ; implicit-def: $sgpr10
	s_and_saveexec_b64 s[8:9], s[12:13]
; %bb.2058:
	s_mov_b32 s10, 0x7f800001
	s_xor_b64 s[4:5], exec, -1
; %bb.2059:
	s_or_b64 exec, exec, s[8:9]
	s_and_b64 s[4:5], s[4:5], exec
	s_or_saveexec_b64 s[6:7], s[6:7]
	v_mov_b32_e32 v20, s10
	s_xor_b64 exec, exec, s[6:7]
	s_cbranch_execz .LBB10_10
.LBB10_2060:
	v_mov_b32_e32 v20, 0
	v_cmp_ne_u16_sdwa s[8:9], v21, v20 src0_sel:BYTE_0 src1_sel:DWORD
	s_andn2_b64 s[4:5], s[4:5], exec
	s_and_b64 s[8:9], s[8:9], exec
	s_or_b64 s[4:5], s[4:5], s[8:9]
	s_or_b64 exec, exec, s[6:7]
	s_and_saveexec_b64 s[6:7], s[4:5]
	s_cbranch_execnz .LBB10_11
	s_branch .LBB10_12
.LBB10_2061:
	s_movk_i32 s4, 0x80
	v_cmp_eq_u16_sdwa s[12:13], v21, s4 src0_sel:BYTE_0 src1_sel:DWORD
	s_mov_b64 s[4:5], -1
                                        ; implicit-def: $sgpr10
	s_and_saveexec_b64 s[8:9], s[12:13]
; %bb.2062:
	s_mov_b32 s10, 0x7f800001
	s_xor_b64 s[4:5], exec, -1
; %bb.2063:
	s_or_b64 exec, exec, s[8:9]
	s_and_b64 s[4:5], s[4:5], exec
	s_or_saveexec_b64 s[6:7], s[6:7]
	v_mov_b32_e32 v22, s10
	s_xor_b64 exec, exec, s[6:7]
	s_cbranch_execz .LBB10_14
.LBB10_2064:
	v_mov_b32_e32 v22, 0
	v_cmp_ne_u16_sdwa s[8:9], v21, v22 src0_sel:BYTE_0 src1_sel:DWORD
	s_andn2_b64 s[4:5], s[4:5], exec
	s_and_b64 s[8:9], s[8:9], exec
	s_or_b64 s[4:5], s[4:5], s[8:9]
	s_or_b64 exec, exec, s[6:7]
	s_and_saveexec_b64 s[6:7], s[4:5]
	s_cbranch_execnz .LBB10_15
	s_branch .LBB10_16
.LBB10_2065:
	s_movk_i32 s4, 0x80
	v_cmp_eq_u16_e32 vcc, s4, v21
	s_mov_b64 s[4:5], -1
                                        ; implicit-def: $sgpr10
	s_and_saveexec_b64 s[8:9], vcc
; %bb.2066:
	s_mov_b32 s10, 0x7f800001
	s_xor_b64 s[4:5], exec, -1
; %bb.2067:
	s_or_b64 exec, exec, s[8:9]
	s_and_b64 s[4:5], s[4:5], exec
                                        ; implicit-def: $vgpr21
	s_or_saveexec_b64 s[6:7], s[6:7]
	v_mov_b32_e32 v20, s10
	s_xor_b64 exec, exec, s[6:7]
	s_cbranch_execz .LBB10_18
.LBB10_2068:
	v_cmp_ne_u16_e32 vcc, 0, v21
	s_andn2_b64 s[4:5], s[4:5], exec
	s_and_b64 s[8:9], vcc, exec
	v_mov_b32_e32 v20, 0
	s_or_b64 s[4:5], s[4:5], s[8:9]
	s_or_b64 exec, exec, s[6:7]
	s_and_saveexec_b64 s[6:7], s[4:5]
	s_cbranch_execnz .LBB10_19
	s_branch .LBB10_20
.LBB10_2069:
	s_movk_i32 s4, 0x80
	v_cmp_eq_u16_e32 vcc, s4, v21
	s_mov_b64 s[4:5], -1
                                        ; implicit-def: $sgpr10
	s_and_saveexec_b64 s[8:9], vcc
; %bb.2070:
	s_mov_b32 s10, 0x7f800001
	s_xor_b64 s[4:5], exec, -1
; %bb.2071:
	s_or_b64 exec, exec, s[8:9]
	s_and_b64 s[4:5], s[4:5], exec
                                        ; implicit-def: $vgpr21
	s_or_saveexec_b64 s[6:7], s[6:7]
	v_mov_b32_e32 v22, s10
	s_xor_b64 exec, exec, s[6:7]
	s_cbranch_execz .LBB10_22
.LBB10_2072:
	v_cmp_ne_u16_e32 vcc, 0, v21
	s_andn2_b64 s[4:5], s[4:5], exec
	s_and_b64 s[8:9], vcc, exec
	v_mov_b32_e32 v22, 0
	s_or_b64 s[4:5], s[4:5], s[8:9]
	s_or_b64 exec, exec, s[6:7]
	s_and_saveexec_b64 s[6:7], s[4:5]
	s_cbranch_execnz .LBB10_23
	s_branch .LBB10_24
.LBB10_2073:
	s_movk_i32 s4, 0x80
	v_cmp_eq_u16_sdwa s[12:13], v14, s4 src0_sel:BYTE_3 src1_sel:DWORD
	s_mov_b64 s[4:5], -1
                                        ; implicit-def: $sgpr10
	s_and_saveexec_b64 s[8:9], s[12:13]
; %bb.2074:
	s_mov_b32 s10, 0x7f800001
	s_xor_b64 s[4:5], exec, -1
; %bb.2075:
	s_or_b64 exec, exec, s[8:9]
	s_and_b64 s[4:5], s[4:5], exec
	s_or_saveexec_b64 s[6:7], s[6:7]
	v_mov_b32_e32 v20, s10
	s_xor_b64 exec, exec, s[6:7]
	s_cbranch_execz .LBB10_26
.LBB10_2076:
	v_mov_b32_e32 v20, 0
	v_cmp_ne_u16_sdwa s[8:9], v14, v20 src0_sel:BYTE_3 src1_sel:DWORD
	s_andn2_b64 s[4:5], s[4:5], exec
	s_and_b64 s[8:9], s[8:9], exec
	s_or_b64 s[4:5], s[4:5], s[8:9]
	s_or_b64 exec, exec, s[6:7]
	s_and_saveexec_b64 s[6:7], s[4:5]
	s_cbranch_execnz .LBB10_27
	s_branch .LBB10_28
.LBB10_2077:
	s_movk_i32 s4, 0x80
	v_cmp_eq_u16_sdwa s[12:13], v10, s4 src0_sel:BYTE_3 src1_sel:DWORD
	s_mov_b64 s[4:5], -1
                                        ; implicit-def: $sgpr10
	s_and_saveexec_b64 s[8:9], s[12:13]
; %bb.2078:
	s_mov_b32 s10, 0x7f800001
	s_xor_b64 s[4:5], exec, -1
; %bb.2079:
	s_or_b64 exec, exec, s[8:9]
	s_and_b64 s[4:5], s[4:5], exec
	s_or_saveexec_b64 s[6:7], s[6:7]
	v_mov_b32_e32 v14, s10
	s_xor_b64 exec, exec, s[6:7]
	s_cbranch_execz .LBB10_30
.LBB10_2080:
	v_mov_b32_e32 v14, 0
	v_cmp_ne_u16_sdwa s[8:9], v10, v14 src0_sel:BYTE_3 src1_sel:DWORD
	s_andn2_b64 s[4:5], s[4:5], exec
	s_and_b64 s[8:9], s[8:9], exec
	s_or_b64 s[4:5], s[4:5], s[8:9]
	s_or_b64 exec, exec, s[6:7]
	s_and_saveexec_b64 s[6:7], s[4:5]
	s_cbranch_execnz .LBB10_31
	s_branch .LBB10_32
.LBB10_2081:
	s_movk_i32 s4, 0x80
	v_cmp_eq_u16_sdwa s[12:13], v15, s4 src0_sel:BYTE_0 src1_sel:DWORD
	s_mov_b64 s[4:5], -1
                                        ; implicit-def: $sgpr10
	s_and_saveexec_b64 s[8:9], s[12:13]
; %bb.2082:
	s_mov_b32 s10, 0x7f800001
	s_xor_b64 s[4:5], exec, -1
; %bb.2083:
	s_or_b64 exec, exec, s[8:9]
	s_and_b64 s[4:5], s[4:5], exec
	s_or_saveexec_b64 s[6:7], s[6:7]
	v_mov_b32_e32 v10, s10
	s_xor_b64 exec, exec, s[6:7]
	s_cbranch_execz .LBB10_34
.LBB10_2084:
	v_mov_b32_e32 v10, 0
	v_cmp_ne_u16_sdwa s[8:9], v15, v10 src0_sel:BYTE_0 src1_sel:DWORD
	s_andn2_b64 s[4:5], s[4:5], exec
	s_and_b64 s[8:9], s[8:9], exec
	s_or_b64 s[4:5], s[4:5], s[8:9]
	s_or_b64 exec, exec, s[6:7]
	s_and_saveexec_b64 s[6:7], s[4:5]
	s_cbranch_execnz .LBB10_35
	s_branch .LBB10_36
.LBB10_2085:
	s_movk_i32 s4, 0x80
	v_cmp_eq_u16_sdwa s[12:13], v11, s4 src0_sel:BYTE_0 src1_sel:DWORD
	s_mov_b64 s[4:5], -1
                                        ; implicit-def: $sgpr10
	s_and_saveexec_b64 s[8:9], s[12:13]
; %bb.2086:
	s_mov_b32 s10, 0x7f800001
	s_xor_b64 s[4:5], exec, -1
; %bb.2087:
	s_or_b64 exec, exec, s[8:9]
	s_and_b64 s[4:5], s[4:5], exec
	s_or_saveexec_b64 s[6:7], s[6:7]
	v_mov_b32_e32 v14, s10
	s_xor_b64 exec, exec, s[6:7]
	s_cbranch_execz .LBB10_38
.LBB10_2088:
	v_mov_b32_e32 v14, 0
	v_cmp_ne_u16_sdwa s[8:9], v11, v14 src0_sel:BYTE_0 src1_sel:DWORD
	s_andn2_b64 s[4:5], s[4:5], exec
	s_and_b64 s[8:9], s[8:9], exec
	s_or_b64 s[4:5], s[4:5], s[8:9]
	s_or_b64 exec, exec, s[6:7]
	s_and_saveexec_b64 s[6:7], s[4:5]
	s_cbranch_execnz .LBB10_39
	s_branch .LBB10_40
.LBB10_2089:
	s_movk_i32 s4, 0x80
	v_cmp_eq_u16_sdwa s[12:13], v14, s4 src0_sel:BYTE_0 src1_sel:DWORD
	s_mov_b64 s[4:5], -1
                                        ; implicit-def: $sgpr10
	s_and_saveexec_b64 s[8:9], s[12:13]
; %bb.2090:
	s_mov_b32 s10, 0x7f800001
	s_xor_b64 s[4:5], exec, -1
; %bb.2091:
	s_or_b64 exec, exec, s[8:9]
	s_and_b64 s[4:5], s[4:5], exec
	s_or_saveexec_b64 s[6:7], s[6:7]
	v_mov_b32_e32 v10, s10
	s_xor_b64 exec, exec, s[6:7]
	s_cbranch_execz .LBB10_42
.LBB10_2092:
	v_mov_b32_e32 v10, 0
	v_cmp_ne_u16_sdwa s[8:9], v14, v10 src0_sel:BYTE_0 src1_sel:DWORD
	s_andn2_b64 s[4:5], s[4:5], exec
	s_and_b64 s[8:9], s[8:9], exec
	s_or_b64 s[4:5], s[4:5], s[8:9]
	s_or_b64 exec, exec, s[6:7]
	s_and_saveexec_b64 s[6:7], s[4:5]
	s_cbranch_execnz .LBB10_43
	s_branch .LBB10_44
.LBB10_2093:
	s_movk_i32 s4, 0x80
	v_cmp_eq_u16_sdwa s[12:13], v14, s4 src0_sel:BYTE_0 src1_sel:DWORD
	s_mov_b64 s[4:5], -1
                                        ; implicit-def: $sgpr10
	s_and_saveexec_b64 s[8:9], s[12:13]
; %bb.2094:
	s_mov_b32 s10, 0x7f800001
	s_xor_b64 s[4:5], exec, -1
; %bb.2095:
	s_or_b64 exec, exec, s[8:9]
	s_and_b64 s[4:5], s[4:5], exec
	s_or_saveexec_b64 s[6:7], s[6:7]
	v_mov_b32_e32 v20, s10
	s_xor_b64 exec, exec, s[6:7]
	s_cbranch_execz .LBB10_46
.LBB10_2096:
	v_mov_b32_e32 v20, 0
	v_cmp_ne_u16_sdwa s[8:9], v14, v20 src0_sel:BYTE_0 src1_sel:DWORD
	s_andn2_b64 s[4:5], s[4:5], exec
	s_and_b64 s[8:9], s[8:9], exec
	s_or_b64 s[4:5], s[4:5], s[8:9]
	s_or_b64 exec, exec, s[6:7]
	s_and_saveexec_b64 s[6:7], s[4:5]
	s_cbranch_execnz .LBB10_47
	s_branch .LBB10_48
.LBB10_2097:
	s_movk_i32 s4, 0x80
	v_cmp_eq_u16_e32 vcc, s4, v14
	s_mov_b64 s[4:5], -1
                                        ; implicit-def: $sgpr10
	s_and_saveexec_b64 s[8:9], vcc
; %bb.2098:
	s_mov_b32 s10, 0x7f800001
	s_xor_b64 s[4:5], exec, -1
; %bb.2099:
	s_or_b64 exec, exec, s[8:9]
	s_and_b64 s[4:5], s[4:5], exec
                                        ; implicit-def: $vgpr14
	s_or_saveexec_b64 s[6:7], s[6:7]
	v_mov_b32_e32 v10, s10
	s_xor_b64 exec, exec, s[6:7]
	s_cbranch_execz .LBB10_50
.LBB10_2100:
	v_cmp_ne_u16_e32 vcc, 0, v14
	s_andn2_b64 s[4:5], s[4:5], exec
	s_and_b64 s[8:9], vcc, exec
	v_mov_b32_e32 v10, 0
	s_or_b64 s[4:5], s[4:5], s[8:9]
	s_or_b64 exec, exec, s[6:7]
	s_and_saveexec_b64 s[6:7], s[4:5]
	s_cbranch_execnz .LBB10_51
	s_branch .LBB10_52
.LBB10_2101:
	s_movk_i32 s4, 0x80
	v_cmp_eq_u16_e32 vcc, s4, v14
	s_mov_b64 s[4:5], -1
                                        ; implicit-def: $sgpr10
	s_and_saveexec_b64 s[8:9], vcc
; %bb.2102:
	s_mov_b32 s10, 0x7f800001
	s_xor_b64 s[4:5], exec, -1
; %bb.2103:
	s_or_b64 exec, exec, s[8:9]
	s_and_b64 s[4:5], s[4:5], exec
                                        ; implicit-def: $vgpr14
	s_or_saveexec_b64 s[6:7], s[6:7]
	v_mov_b32_e32 v20, s10
	s_xor_b64 exec, exec, s[6:7]
	s_cbranch_execz .LBB10_54
.LBB10_2104:
	v_cmp_ne_u16_e32 vcc, 0, v14
	s_andn2_b64 s[4:5], s[4:5], exec
	s_and_b64 s[8:9], vcc, exec
	v_mov_b32_e32 v20, 0
	s_or_b64 s[4:5], s[4:5], s[8:9]
	s_or_b64 exec, exec, s[6:7]
	s_and_saveexec_b64 s[6:7], s[4:5]
	s_cbranch_execnz .LBB10_55
	s_branch .LBB10_56
.LBB10_2105:
	s_movk_i32 s4, 0x80
	v_cmp_eq_u16_sdwa s[12:13], v15, s4 src0_sel:BYTE_3 src1_sel:DWORD
	s_mov_b64 s[4:5], -1
                                        ; implicit-def: $sgpr10
	s_and_saveexec_b64 s[8:9], s[12:13]
; %bb.2106:
	s_mov_b32 s10, 0x7f800001
	s_xor_b64 s[4:5], exec, -1
; %bb.2107:
	s_or_b64 exec, exec, s[8:9]
	s_and_b64 s[4:5], s[4:5], exec
	s_or_saveexec_b64 s[6:7], s[6:7]
	v_mov_b32_e32 v10, s10
	s_xor_b64 exec, exec, s[6:7]
	s_cbranch_execz .LBB10_58
.LBB10_2108:
	v_mov_b32_e32 v10, 0
	v_cmp_ne_u16_sdwa s[8:9], v15, v10 src0_sel:BYTE_3 src1_sel:DWORD
	s_andn2_b64 s[4:5], s[4:5], exec
	s_and_b64 s[8:9], s[8:9], exec
	s_or_b64 s[4:5], s[4:5], s[8:9]
	s_or_b64 exec, exec, s[6:7]
	s_and_saveexec_b64 s[6:7], s[4:5]
	s_cbranch_execnz .LBB10_59
	s_branch .LBB10_60
.LBB10_2109:
	s_movk_i32 s4, 0x80
	v_cmp_eq_u16_sdwa s[12:13], v11, s4 src0_sel:BYTE_3 src1_sel:DWORD
	s_mov_b64 s[4:5], -1
                                        ; implicit-def: $sgpr10
	s_and_saveexec_b64 s[8:9], s[12:13]
; %bb.2110:
	s_mov_b32 s10, 0x7f800001
	s_xor_b64 s[4:5], exec, -1
; %bb.2111:
	s_or_b64 exec, exec, s[8:9]
	s_and_b64 s[4:5], s[4:5], exec
	s_or_saveexec_b64 s[6:7], s[6:7]
	v_mov_b32_e32 v14, s10
	s_xor_b64 exec, exec, s[6:7]
	s_cbranch_execz .LBB10_62
.LBB10_2112:
	v_mov_b32_e32 v14, 0
	v_cmp_ne_u16_sdwa s[8:9], v11, v14 src0_sel:BYTE_3 src1_sel:DWORD
	s_andn2_b64 s[4:5], s[4:5], exec
	s_and_b64 s[8:9], s[8:9], exec
	s_or_b64 s[4:5], s[4:5], s[8:9]
	s_or_b64 exec, exec, s[6:7]
	s_and_saveexec_b64 s[6:7], s[4:5]
	s_cbranch_execnz .LBB10_63
	s_branch .LBB10_64
.LBB10_2113:
	s_movk_i32 s4, 0x80
	v_cmp_eq_u16_sdwa s[12:13], v16, s4 src0_sel:BYTE_0 src1_sel:DWORD
	s_mov_b64 s[4:5], -1
                                        ; implicit-def: $sgpr10
	s_and_saveexec_b64 s[8:9], s[12:13]
; %bb.2114:
	s_mov_b32 s10, 0x7f800001
	s_xor_b64 s[4:5], exec, -1
; %bb.2115:
	s_or_b64 exec, exec, s[8:9]
	s_and_b64 s[4:5], s[4:5], exec
	s_or_saveexec_b64 s[6:7], s[6:7]
	v_mov_b32_e32 v10, s10
	s_xor_b64 exec, exec, s[6:7]
	s_cbranch_execz .LBB10_66
.LBB10_2116:
	v_mov_b32_e32 v10, 0
	v_cmp_ne_u16_sdwa s[8:9], v16, v10 src0_sel:BYTE_0 src1_sel:DWORD
	s_andn2_b64 s[4:5], s[4:5], exec
	s_and_b64 s[8:9], s[8:9], exec
	s_or_b64 s[4:5], s[4:5], s[8:9]
	s_or_b64 exec, exec, s[6:7]
	s_and_saveexec_b64 s[6:7], s[4:5]
	s_cbranch_execnz .LBB10_67
	s_branch .LBB10_68
.LBB10_2117:
	s_movk_i32 s4, 0x80
	v_cmp_eq_u16_sdwa s[12:13], v12, s4 src0_sel:BYTE_0 src1_sel:DWORD
	s_mov_b64 s[4:5], -1
                                        ; implicit-def: $sgpr10
	s_and_saveexec_b64 s[8:9], s[12:13]
; %bb.2118:
	s_mov_b32 s10, 0x7f800001
	s_xor_b64 s[4:5], exec, -1
; %bb.2119:
	s_or_b64 exec, exec, s[8:9]
	s_and_b64 s[4:5], s[4:5], exec
	s_or_saveexec_b64 s[6:7], s[6:7]
	v_mov_b32_e32 v11, s10
	s_xor_b64 exec, exec, s[6:7]
	s_cbranch_execz .LBB10_70
.LBB10_2120:
	v_mov_b32_e32 v11, 0
	v_cmp_ne_u16_sdwa s[8:9], v12, v11 src0_sel:BYTE_0 src1_sel:DWORD
	s_andn2_b64 s[4:5], s[4:5], exec
	s_and_b64 s[8:9], s[8:9], exec
	s_or_b64 s[4:5], s[4:5], s[8:9]
	s_or_b64 exec, exec, s[6:7]
	s_and_saveexec_b64 s[6:7], s[4:5]
	s_cbranch_execnz .LBB10_71
	s_branch .LBB10_72
.LBB10_2121:
	s_movk_i32 s4, 0x80
	v_cmp_eq_u16_sdwa s[12:13], v11, s4 src0_sel:BYTE_0 src1_sel:DWORD
	s_mov_b64 s[4:5], -1
                                        ; implicit-def: $sgpr10
	s_and_saveexec_b64 s[8:9], s[12:13]
; %bb.2122:
	s_mov_b32 s10, 0x7f800001
	s_xor_b64 s[4:5], exec, -1
; %bb.2123:
	s_or_b64 exec, exec, s[8:9]
	s_and_b64 s[4:5], s[4:5], exec
	s_or_saveexec_b64 s[6:7], s[6:7]
	v_mov_b32_e32 v10, s10
	s_xor_b64 exec, exec, s[6:7]
	s_cbranch_execz .LBB10_74
.LBB10_2124:
	v_mov_b32_e32 v10, 0
	v_cmp_ne_u16_sdwa s[8:9], v11, v10 src0_sel:BYTE_0 src1_sel:DWORD
	s_andn2_b64 s[4:5], s[4:5], exec
	s_and_b64 s[8:9], s[8:9], exec
	s_or_b64 s[4:5], s[4:5], s[8:9]
	s_or_b64 exec, exec, s[6:7]
	s_and_saveexec_b64 s[6:7], s[4:5]
	s_cbranch_execnz .LBB10_75
	s_branch .LBB10_76
.LBB10_2125:
	s_movk_i32 s4, 0x80
	v_cmp_eq_u16_sdwa s[12:13], v11, s4 src0_sel:BYTE_0 src1_sel:DWORD
	s_mov_b64 s[4:5], -1
                                        ; implicit-def: $sgpr10
	s_and_saveexec_b64 s[8:9], s[12:13]
; %bb.2126:
	s_mov_b32 s10, 0x7f800001
	s_xor_b64 s[4:5], exec, -1
; %bb.2127:
	s_or_b64 exec, exec, s[8:9]
	s_and_b64 s[4:5], s[4:5], exec
	s_or_saveexec_b64 s[6:7], s[6:7]
	v_mov_b32_e32 v14, s10
	s_xor_b64 exec, exec, s[6:7]
	s_cbranch_execz .LBB10_78
.LBB10_2128:
	v_mov_b32_e32 v14, 0
	v_cmp_ne_u16_sdwa s[8:9], v11, v14 src0_sel:BYTE_0 src1_sel:DWORD
	s_andn2_b64 s[4:5], s[4:5], exec
	s_and_b64 s[8:9], s[8:9], exec
	s_or_b64 s[4:5], s[4:5], s[8:9]
	s_or_b64 exec, exec, s[6:7]
	s_and_saveexec_b64 s[6:7], s[4:5]
	s_cbranch_execnz .LBB10_79
	s_branch .LBB10_80
.LBB10_2129:
	s_movk_i32 s4, 0x80
	v_cmp_eq_u16_e32 vcc, s4, v11
	s_mov_b64 s[4:5], -1
                                        ; implicit-def: $sgpr10
	s_and_saveexec_b64 s[8:9], vcc
; %bb.2130:
	s_mov_b32 s10, 0x7f800001
	s_xor_b64 s[4:5], exec, -1
; %bb.2131:
	s_or_b64 exec, exec, s[8:9]
	s_and_b64 s[4:5], s[4:5], exec
                                        ; implicit-def: $vgpr11
	s_or_saveexec_b64 s[6:7], s[6:7]
	v_mov_b32_e32 v10, s10
	s_xor_b64 exec, exec, s[6:7]
	s_cbranch_execz .LBB10_82
.LBB10_2132:
	v_cmp_ne_u16_e32 vcc, 0, v11
	s_andn2_b64 s[4:5], s[4:5], exec
	s_and_b64 s[8:9], vcc, exec
	v_mov_b32_e32 v10, 0
	s_or_b64 s[4:5], s[4:5], s[8:9]
	s_or_b64 exec, exec, s[6:7]
	s_and_saveexec_b64 s[6:7], s[4:5]
	s_cbranch_execnz .LBB10_83
	s_branch .LBB10_84
.LBB10_2133:
	s_movk_i32 s4, 0x80
	v_cmp_eq_u16_e32 vcc, s4, v11
	s_mov_b64 s[4:5], -1
                                        ; implicit-def: $sgpr10
	s_and_saveexec_b64 s[8:9], vcc
; %bb.2134:
	s_mov_b32 s10, 0x7f800001
	s_xor_b64 s[4:5], exec, -1
; %bb.2135:
	s_or_b64 exec, exec, s[8:9]
	s_and_b64 s[4:5], s[4:5], exec
                                        ; implicit-def: $vgpr11
	s_or_saveexec_b64 s[6:7], s[6:7]
	v_mov_b32_e32 v14, s10
	s_xor_b64 exec, exec, s[6:7]
	s_cbranch_execz .LBB10_86
.LBB10_2136:
	v_cmp_ne_u16_e32 vcc, 0, v11
	s_andn2_b64 s[4:5], s[4:5], exec
	s_and_b64 s[8:9], vcc, exec
	v_mov_b32_e32 v14, 0
	s_or_b64 s[4:5], s[4:5], s[8:9]
	s_or_b64 exec, exec, s[6:7]
	s_and_saveexec_b64 s[6:7], s[4:5]
	s_cbranch_execnz .LBB10_87
	s_branch .LBB10_88
.LBB10_2137:
	s_movk_i32 s4, 0x80
	v_cmp_eq_u16_sdwa s[12:13], v16, s4 src0_sel:BYTE_3 src1_sel:DWORD
	s_mov_b64 s[4:5], -1
                                        ; implicit-def: $sgpr10
	s_and_saveexec_b64 s[8:9], s[12:13]
; %bb.2138:
	s_mov_b32 s10, 0x7f800001
	s_xor_b64 s[4:5], exec, -1
; %bb.2139:
	s_or_b64 exec, exec, s[8:9]
	s_and_b64 s[4:5], s[4:5], exec
	s_or_saveexec_b64 s[6:7], s[6:7]
	v_mov_b32_e32 v10, s10
	s_xor_b64 exec, exec, s[6:7]
	s_cbranch_execz .LBB10_90
.LBB10_2140:
	v_mov_b32_e32 v10, 0
	v_cmp_ne_u16_sdwa s[8:9], v16, v10 src0_sel:BYTE_3 src1_sel:DWORD
	s_andn2_b64 s[4:5], s[4:5], exec
	s_and_b64 s[8:9], s[8:9], exec
	s_or_b64 s[4:5], s[4:5], s[8:9]
	s_or_b64 exec, exec, s[6:7]
	s_and_saveexec_b64 s[6:7], s[4:5]
	s_cbranch_execnz .LBB10_91
	s_branch .LBB10_92
.LBB10_2141:
	s_movk_i32 s4, 0x80
	v_cmp_eq_u16_sdwa s[12:13], v12, s4 src0_sel:BYTE_3 src1_sel:DWORD
	s_mov_b64 s[4:5], -1
                                        ; implicit-def: $sgpr10
	s_and_saveexec_b64 s[8:9], s[12:13]
; %bb.2142:
	s_mov_b32 s10, 0x7f800001
	s_xor_b64 s[4:5], exec, -1
; %bb.2143:
	s_or_b64 exec, exec, s[8:9]
	s_and_b64 s[4:5], s[4:5], exec
	s_or_saveexec_b64 s[6:7], s[6:7]
	v_mov_b32_e32 v11, s10
	s_xor_b64 exec, exec, s[6:7]
	s_cbranch_execz .LBB10_94
.LBB10_2144:
	v_mov_b32_e32 v11, 0
	v_cmp_ne_u16_sdwa s[8:9], v12, v11 src0_sel:BYTE_3 src1_sel:DWORD
	s_andn2_b64 s[4:5], s[4:5], exec
	s_and_b64 s[8:9], s[8:9], exec
	s_or_b64 s[4:5], s[4:5], s[8:9]
	s_or_b64 exec, exec, s[6:7]
	s_and_saveexec_b64 s[6:7], s[4:5]
	s_cbranch_execnz .LBB10_95
	s_branch .LBB10_96
.LBB10_2145:
	s_movk_i32 s4, 0x80
	v_cmp_eq_u16_sdwa s[12:13], v17, s4 src0_sel:BYTE_0 src1_sel:DWORD
	s_mov_b64 s[4:5], -1
                                        ; implicit-def: $sgpr10
	s_and_saveexec_b64 s[8:9], s[12:13]
; %bb.2146:
	s_mov_b32 s10, 0x7f800001
	s_xor_b64 s[4:5], exec, -1
; %bb.2147:
	s_or_b64 exec, exec, s[8:9]
	s_and_b64 s[4:5], s[4:5], exec
	s_or_saveexec_b64 s[6:7], s[6:7]
	v_mov_b32_e32 v10, s10
	s_xor_b64 exec, exec, s[6:7]
	s_cbranch_execz .LBB10_98
.LBB10_2148:
	v_mov_b32_e32 v10, 0
	v_cmp_ne_u16_sdwa s[8:9], v17, v10 src0_sel:BYTE_0 src1_sel:DWORD
	s_andn2_b64 s[4:5], s[4:5], exec
	s_and_b64 s[8:9], s[8:9], exec
	s_or_b64 s[4:5], s[4:5], s[8:9]
	s_or_b64 exec, exec, s[6:7]
	s_and_saveexec_b64 s[6:7], s[4:5]
	s_cbranch_execnz .LBB10_99
	s_branch .LBB10_100
.LBB10_2149:
	s_movk_i32 s4, 0x80
	v_cmp_eq_u16_sdwa s[12:13], v13, s4 src0_sel:BYTE_0 src1_sel:DWORD
	s_mov_b64 s[4:5], -1
                                        ; implicit-def: $sgpr10
	s_and_saveexec_b64 s[8:9], s[12:13]
; %bb.2150:
	s_mov_b32 s10, 0x7f800001
	s_xor_b64 s[4:5], exec, -1
; %bb.2151:
	s_or_b64 exec, exec, s[8:9]
	s_and_b64 s[4:5], s[4:5], exec
	s_or_saveexec_b64 s[6:7], s[6:7]
	v_mov_b32_e32 v11, s10
	s_xor_b64 exec, exec, s[6:7]
	s_cbranch_execz .LBB10_102
.LBB10_2152:
	v_mov_b32_e32 v11, 0
	v_cmp_ne_u16_sdwa s[8:9], v13, v11 src0_sel:BYTE_0 src1_sel:DWORD
	s_andn2_b64 s[4:5], s[4:5], exec
	s_and_b64 s[8:9], s[8:9], exec
	s_or_b64 s[4:5], s[4:5], s[8:9]
	s_or_b64 exec, exec, s[6:7]
	s_and_saveexec_b64 s[6:7], s[4:5]
	s_cbranch_execnz .LBB10_103
	s_branch .LBB10_104
.LBB10_2153:
	s_movk_i32 s4, 0x80
	v_cmp_eq_u16_sdwa s[12:13], v11, s4 src0_sel:BYTE_0 src1_sel:DWORD
	s_mov_b64 s[4:5], -1
                                        ; implicit-def: $sgpr10
	s_and_saveexec_b64 s[8:9], s[12:13]
; %bb.2154:
	s_mov_b32 s10, 0x7f800001
	s_xor_b64 s[4:5], exec, -1
; %bb.2155:
	s_or_b64 exec, exec, s[8:9]
	s_and_b64 s[4:5], s[4:5], exec
	s_or_saveexec_b64 s[6:7], s[6:7]
	v_mov_b32_e32 v10, s10
	s_xor_b64 exec, exec, s[6:7]
	s_cbranch_execz .LBB10_106
.LBB10_2156:
	v_mov_b32_e32 v10, 0
	v_cmp_ne_u16_sdwa s[8:9], v11, v10 src0_sel:BYTE_0 src1_sel:DWORD
	s_andn2_b64 s[4:5], s[4:5], exec
	s_and_b64 s[8:9], s[8:9], exec
	s_or_b64 s[4:5], s[4:5], s[8:9]
	s_or_b64 exec, exec, s[6:7]
	s_and_saveexec_b64 s[6:7], s[4:5]
	s_cbranch_execnz .LBB10_107
	s_branch .LBB10_108
.LBB10_2157:
	s_movk_i32 s4, 0x80
	v_cmp_eq_u16_sdwa s[12:13], v11, s4 src0_sel:BYTE_0 src1_sel:DWORD
	s_mov_b64 s[4:5], -1
                                        ; implicit-def: $sgpr10
	s_and_saveexec_b64 s[8:9], s[12:13]
; %bb.2158:
	s_mov_b32 s10, 0x7f800001
	s_xor_b64 s[4:5], exec, -1
; %bb.2159:
	s_or_b64 exec, exec, s[8:9]
	s_and_b64 s[4:5], s[4:5], exec
	s_or_saveexec_b64 s[6:7], s[6:7]
	v_mov_b32_e32 v12, s10
	s_xor_b64 exec, exec, s[6:7]
	s_cbranch_execz .LBB10_110
.LBB10_2160:
	v_mov_b32_e32 v12, 0
	v_cmp_ne_u16_sdwa s[8:9], v11, v12 src0_sel:BYTE_0 src1_sel:DWORD
	s_andn2_b64 s[4:5], s[4:5], exec
	s_and_b64 s[8:9], s[8:9], exec
	s_or_b64 s[4:5], s[4:5], s[8:9]
	s_or_b64 exec, exec, s[6:7]
	s_and_saveexec_b64 s[6:7], s[4:5]
	s_cbranch_execnz .LBB10_111
	s_branch .LBB10_112
.LBB10_2161:
	s_movk_i32 s4, 0x80
	v_cmp_eq_u16_e32 vcc, s4, v11
	s_mov_b64 s[4:5], -1
                                        ; implicit-def: $sgpr10
	s_and_saveexec_b64 s[8:9], vcc
; %bb.2162:
	s_mov_b32 s10, 0x7f800001
	s_xor_b64 s[4:5], exec, -1
; %bb.2163:
	s_or_b64 exec, exec, s[8:9]
	s_and_b64 s[4:5], s[4:5], exec
                                        ; implicit-def: $vgpr11
	s_or_saveexec_b64 s[6:7], s[6:7]
	v_mov_b32_e32 v10, s10
	s_xor_b64 exec, exec, s[6:7]
	s_cbranch_execz .LBB10_114
.LBB10_2164:
	v_cmp_ne_u16_e32 vcc, 0, v11
	s_andn2_b64 s[4:5], s[4:5], exec
	s_and_b64 s[8:9], vcc, exec
	v_mov_b32_e32 v10, 0
	s_or_b64 s[4:5], s[4:5], s[8:9]
	s_or_b64 exec, exec, s[6:7]
	s_and_saveexec_b64 s[6:7], s[4:5]
	s_cbranch_execnz .LBB10_115
	s_branch .LBB10_116
.LBB10_2165:
	s_movk_i32 s4, 0x80
	v_cmp_eq_u16_e32 vcc, s4, v11
	s_mov_b64 s[4:5], -1
                                        ; implicit-def: $sgpr10
	s_and_saveexec_b64 s[8:9], vcc
; %bb.2166:
	s_mov_b32 s10, 0x7f800001
	s_xor_b64 s[4:5], exec, -1
; %bb.2167:
	s_or_b64 exec, exec, s[8:9]
	s_and_b64 s[4:5], s[4:5], exec
                                        ; implicit-def: $vgpr11
	s_or_saveexec_b64 s[6:7], s[6:7]
	v_mov_b32_e32 v12, s10
	s_xor_b64 exec, exec, s[6:7]
	s_cbranch_execz .LBB10_118
.LBB10_2168:
	v_cmp_ne_u16_e32 vcc, 0, v11
	s_andn2_b64 s[4:5], s[4:5], exec
	s_and_b64 s[8:9], vcc, exec
	v_mov_b32_e32 v12, 0
	s_or_b64 s[4:5], s[4:5], s[8:9]
	s_or_b64 exec, exec, s[6:7]
	s_and_saveexec_b64 s[6:7], s[4:5]
	s_cbranch_execnz .LBB10_119
	s_branch .LBB10_120
.LBB10_2169:
	s_movk_i32 s4, 0x80
	v_cmp_eq_u16_sdwa s[12:13], v17, s4 src0_sel:BYTE_3 src1_sel:DWORD
	s_mov_b64 s[4:5], -1
                                        ; implicit-def: $sgpr10
	s_and_saveexec_b64 s[8:9], s[12:13]
; %bb.2170:
	s_mov_b32 s10, 0x7f800001
	s_xor_b64 s[4:5], exec, -1
; %bb.2171:
	s_or_b64 exec, exec, s[8:9]
	s_and_b64 s[4:5], s[4:5], exec
	s_or_saveexec_b64 s[6:7], s[6:7]
	v_mov_b32_e32 v10, s10
	s_xor_b64 exec, exec, s[6:7]
	s_cbranch_execz .LBB10_122
.LBB10_2172:
	v_mov_b32_e32 v10, 0
	v_cmp_ne_u16_sdwa s[8:9], v17, v10 src0_sel:BYTE_3 src1_sel:DWORD
	s_andn2_b64 s[4:5], s[4:5], exec
	s_and_b64 s[8:9], s[8:9], exec
	s_or_b64 s[4:5], s[4:5], s[8:9]
	s_or_b64 exec, exec, s[6:7]
	s_and_saveexec_b64 s[6:7], s[4:5]
	s_cbranch_execnz .LBB10_123
	s_branch .LBB10_124
.LBB10_2173:
	s_movk_i32 s4, 0x80
	v_cmp_eq_u16_sdwa s[12:13], v13, s4 src0_sel:BYTE_3 src1_sel:DWORD
	s_mov_b64 s[4:5], -1
                                        ; implicit-def: $sgpr10
	s_and_saveexec_b64 s[8:9], s[12:13]
; %bb.2174:
	s_mov_b32 s10, 0x7f800001
	s_xor_b64 s[4:5], exec, -1
; %bb.2175:
	s_or_b64 exec, exec, s[8:9]
	s_and_b64 s[4:5], s[4:5], exec
	s_or_saveexec_b64 s[6:7], s[6:7]
	v_mov_b32_e32 v11, s10
	s_xor_b64 exec, exec, s[6:7]
	s_cbranch_execz .LBB10_126
.LBB10_2176:
	v_mov_b32_e32 v11, 0
	v_cmp_ne_u16_sdwa s[8:9], v13, v11 src0_sel:BYTE_3 src1_sel:DWORD
	s_andn2_b64 s[4:5], s[4:5], exec
	s_and_b64 s[8:9], s[8:9], exec
	s_or_b64 s[4:5], s[4:5], s[8:9]
	s_or_b64 exec, exec, s[6:7]
	s_and_saveexec_b64 s[6:7], s[4:5]
	s_cbranch_execnz .LBB10_127
	s_branch .LBB10_128
.LBB10_2177:
	s_movk_i32 s4, 0x80
	v_cmp_eq_u16_sdwa s[12:13], v6, s4 src0_sel:BYTE_0 src1_sel:DWORD
	s_mov_b64 s[4:5], -1
                                        ; implicit-def: $sgpr10
	s_and_saveexec_b64 s[8:9], s[12:13]
; %bb.2178:
	s_mov_b32 s10, 0x7f800001
	s_xor_b64 s[4:5], exec, -1
; %bb.2179:
	s_or_b64 exec, exec, s[8:9]
	s_and_b64 s[4:5], s[4:5], exec
	s_or_saveexec_b64 s[6:7], s[6:7]
	v_mov_b32_e32 v10, s10
	s_xor_b64 exec, exec, s[6:7]
	s_cbranch_execz .LBB10_130
.LBB10_2180:
	v_mov_b32_e32 v10, 0
	v_cmp_ne_u16_sdwa s[8:9], v6, v10 src0_sel:BYTE_0 src1_sel:DWORD
	s_andn2_b64 s[4:5], s[4:5], exec
	s_and_b64 s[8:9], s[8:9], exec
	s_or_b64 s[4:5], s[4:5], s[8:9]
	s_or_b64 exec, exec, s[6:7]
	s_and_saveexec_b64 s[6:7], s[4:5]
	s_cbranch_execnz .LBB10_131
	s_branch .LBB10_132
.LBB10_2181:
	s_movk_i32 s4, 0x80
	v_cmp_eq_u16_sdwa s[12:13], v2, s4 src0_sel:BYTE_0 src1_sel:DWORD
	s_mov_b64 s[4:5], -1
                                        ; implicit-def: $sgpr10
	s_and_saveexec_b64 s[8:9], s[12:13]
; %bb.2182:
	s_mov_b32 s10, 0x7f800001
	s_xor_b64 s[4:5], exec, -1
; %bb.2183:
	s_or_b64 exec, exec, s[8:9]
	s_and_b64 s[4:5], s[4:5], exec
	s_or_saveexec_b64 s[6:7], s[6:7]
	v_mov_b32_e32 v11, s10
	s_xor_b64 exec, exec, s[6:7]
	s_cbranch_execz .LBB10_134
.LBB10_2184:
	v_mov_b32_e32 v11, 0
	v_cmp_ne_u16_sdwa s[8:9], v2, v11 src0_sel:BYTE_0 src1_sel:DWORD
	s_andn2_b64 s[4:5], s[4:5], exec
	s_and_b64 s[8:9], s[8:9], exec
	s_or_b64 s[4:5], s[4:5], s[8:9]
	s_or_b64 exec, exec, s[6:7]
	s_and_saveexec_b64 s[6:7], s[4:5]
	s_cbranch_execnz .LBB10_135
	s_branch .LBB10_136
.LBB10_2185:
	s_movk_i32 s4, 0x80
	v_cmp_eq_u16_sdwa s[12:13], v11, s4 src0_sel:BYTE_0 src1_sel:DWORD
	s_mov_b64 s[4:5], -1
                                        ; implicit-def: $sgpr10
	s_and_saveexec_b64 s[8:9], s[12:13]
; %bb.2186:
	s_mov_b32 s10, 0x7f800001
	s_xor_b64 s[4:5], exec, -1
; %bb.2187:
	s_or_b64 exec, exec, s[8:9]
	s_and_b64 s[4:5], s[4:5], exec
	s_or_saveexec_b64 s[6:7], s[6:7]
	v_mov_b32_e32 v10, s10
	s_xor_b64 exec, exec, s[6:7]
	s_cbranch_execz .LBB10_138
.LBB10_2188:
	v_mov_b32_e32 v10, 0
	v_cmp_ne_u16_sdwa s[8:9], v11, v10 src0_sel:BYTE_0 src1_sel:DWORD
	s_andn2_b64 s[4:5], s[4:5], exec
	s_and_b64 s[8:9], s[8:9], exec
	s_or_b64 s[4:5], s[4:5], s[8:9]
	s_or_b64 exec, exec, s[6:7]
	s_and_saveexec_b64 s[6:7], s[4:5]
	s_cbranch_execnz .LBB10_139
	s_branch .LBB10_140
.LBB10_2189:
	s_movk_i32 s4, 0x80
	v_cmp_eq_u16_sdwa s[12:13], v11, s4 src0_sel:BYTE_0 src1_sel:DWORD
	s_mov_b64 s[4:5], -1
                                        ; implicit-def: $sgpr10
	s_and_saveexec_b64 s[8:9], s[12:13]
; %bb.2190:
	s_mov_b32 s10, 0x7f800001
	s_xor_b64 s[4:5], exec, -1
; %bb.2191:
	s_or_b64 exec, exec, s[8:9]
	s_and_b64 s[4:5], s[4:5], exec
	s_or_saveexec_b64 s[6:7], s[6:7]
	v_mov_b32_e32 v12, s10
	s_xor_b64 exec, exec, s[6:7]
	s_cbranch_execz .LBB10_142
.LBB10_2192:
	v_mov_b32_e32 v12, 0
	v_cmp_ne_u16_sdwa s[8:9], v11, v12 src0_sel:BYTE_0 src1_sel:DWORD
	s_andn2_b64 s[4:5], s[4:5], exec
	s_and_b64 s[8:9], s[8:9], exec
	s_or_b64 s[4:5], s[4:5], s[8:9]
	s_or_b64 exec, exec, s[6:7]
	s_and_saveexec_b64 s[6:7], s[4:5]
	s_cbranch_execnz .LBB10_143
	s_branch .LBB10_144
.LBB10_2193:
	s_movk_i32 s4, 0x80
	v_cmp_eq_u16_e32 vcc, s4, v11
	s_mov_b64 s[4:5], -1
                                        ; implicit-def: $sgpr10
	s_and_saveexec_b64 s[8:9], vcc
; %bb.2194:
	s_mov_b32 s10, 0x7f800001
	s_xor_b64 s[4:5], exec, -1
; %bb.2195:
	s_or_b64 exec, exec, s[8:9]
	s_and_b64 s[4:5], s[4:5], exec
                                        ; implicit-def: $vgpr11
	s_or_saveexec_b64 s[6:7], s[6:7]
	v_mov_b32_e32 v10, s10
	s_xor_b64 exec, exec, s[6:7]
	s_cbranch_execz .LBB10_146
.LBB10_2196:
	v_cmp_ne_u16_e32 vcc, 0, v11
	s_andn2_b64 s[4:5], s[4:5], exec
	s_and_b64 s[8:9], vcc, exec
	v_mov_b32_e32 v10, 0
	s_or_b64 s[4:5], s[4:5], s[8:9]
	s_or_b64 exec, exec, s[6:7]
	s_and_saveexec_b64 s[6:7], s[4:5]
	s_cbranch_execnz .LBB10_147
	s_branch .LBB10_148
.LBB10_2197:
	s_movk_i32 s4, 0x80
	v_cmp_eq_u16_e32 vcc, s4, v11
	s_mov_b64 s[4:5], -1
                                        ; implicit-def: $sgpr10
	s_and_saveexec_b64 s[8:9], vcc
; %bb.2198:
	s_mov_b32 s10, 0x7f800001
	s_xor_b64 s[4:5], exec, -1
; %bb.2199:
	s_or_b64 exec, exec, s[8:9]
	s_and_b64 s[4:5], s[4:5], exec
                                        ; implicit-def: $vgpr11
	s_or_saveexec_b64 s[6:7], s[6:7]
	v_mov_b32_e32 v12, s10
	s_xor_b64 exec, exec, s[6:7]
	s_cbranch_execz .LBB10_150
.LBB10_2200:
	v_cmp_ne_u16_e32 vcc, 0, v11
	s_andn2_b64 s[4:5], s[4:5], exec
	s_and_b64 s[8:9], vcc, exec
	v_mov_b32_e32 v12, 0
	s_or_b64 s[4:5], s[4:5], s[8:9]
	s_or_b64 exec, exec, s[6:7]
	s_and_saveexec_b64 s[6:7], s[4:5]
	s_cbranch_execnz .LBB10_151
	s_branch .LBB10_152
.LBB10_2201:
	s_movk_i32 s4, 0x80
	v_cmp_eq_u16_sdwa s[12:13], v6, s4 src0_sel:BYTE_3 src1_sel:DWORD
	s_mov_b64 s[4:5], -1
                                        ; implicit-def: $sgpr10
	s_and_saveexec_b64 s[8:9], s[12:13]
; %bb.2202:
	s_mov_b32 s10, 0x7f800001
	s_xor_b64 s[4:5], exec, -1
; %bb.2203:
	s_or_b64 exec, exec, s[8:9]
	s_and_b64 s[4:5], s[4:5], exec
	s_or_saveexec_b64 s[6:7], s[6:7]
	v_mov_b32_e32 v10, s10
	s_xor_b64 exec, exec, s[6:7]
	s_cbranch_execz .LBB10_154
.LBB10_2204:
	v_mov_b32_e32 v10, 0
	v_cmp_ne_u16_sdwa s[8:9], v6, v10 src0_sel:BYTE_3 src1_sel:DWORD
	s_andn2_b64 s[4:5], s[4:5], exec
	s_and_b64 s[8:9], s[8:9], exec
	s_or_b64 s[4:5], s[4:5], s[8:9]
	s_or_b64 exec, exec, s[6:7]
	s_and_saveexec_b64 s[6:7], s[4:5]
	s_cbranch_execnz .LBB10_155
	s_branch .LBB10_156
.LBB10_2205:
	s_movk_i32 s4, 0x80
	v_cmp_eq_u16_sdwa s[12:13], v2, s4 src0_sel:BYTE_3 src1_sel:DWORD
	s_mov_b64 s[4:5], -1
                                        ; implicit-def: $sgpr10
	s_and_saveexec_b64 s[8:9], s[12:13]
; %bb.2206:
	s_mov_b32 s10, 0x7f800001
	s_xor_b64 s[4:5], exec, -1
; %bb.2207:
	s_or_b64 exec, exec, s[8:9]
	s_and_b64 s[4:5], s[4:5], exec
	s_or_saveexec_b64 s[6:7], s[6:7]
	v_mov_b32_e32 v6, s10
	s_xor_b64 exec, exec, s[6:7]
	s_cbranch_execz .LBB10_158
.LBB10_2208:
	v_mov_b32_e32 v6, 0
	v_cmp_ne_u16_sdwa s[8:9], v2, v6 src0_sel:BYTE_3 src1_sel:DWORD
	s_andn2_b64 s[4:5], s[4:5], exec
	s_and_b64 s[8:9], s[8:9], exec
	s_or_b64 s[4:5], s[4:5], s[8:9]
	s_or_b64 exec, exec, s[6:7]
	s_and_saveexec_b64 s[6:7], s[4:5]
	s_cbranch_execnz .LBB10_159
	s_branch .LBB10_160
.LBB10_2209:
	s_movk_i32 s4, 0x80
	v_cmp_eq_u16_sdwa s[12:13], v7, s4 src0_sel:BYTE_0 src1_sel:DWORD
	s_mov_b64 s[4:5], -1
                                        ; implicit-def: $sgpr10
	s_and_saveexec_b64 s[8:9], s[12:13]
; %bb.2210:
	s_mov_b32 s10, 0x7f800001
	s_xor_b64 s[4:5], exec, -1
; %bb.2211:
	s_or_b64 exec, exec, s[8:9]
	s_and_b64 s[4:5], s[4:5], exec
	s_or_saveexec_b64 s[6:7], s[6:7]
	v_mov_b32_e32 v2, s10
	s_xor_b64 exec, exec, s[6:7]
	s_cbranch_execz .LBB10_162
.LBB10_2212:
	v_mov_b32_e32 v2, 0
	v_cmp_ne_u16_sdwa s[8:9], v7, v2 src0_sel:BYTE_0 src1_sel:DWORD
	s_andn2_b64 s[4:5], s[4:5], exec
	s_and_b64 s[8:9], s[8:9], exec
	s_or_b64 s[4:5], s[4:5], s[8:9]
	s_or_b64 exec, exec, s[6:7]
	s_and_saveexec_b64 s[6:7], s[4:5]
	s_cbranch_execnz .LBB10_163
	s_branch .LBB10_164
.LBB10_2213:
	s_movk_i32 s4, 0x80
	v_cmp_eq_u16_sdwa s[12:13], v3, s4 src0_sel:BYTE_0 src1_sel:DWORD
	s_mov_b64 s[4:5], -1
                                        ; implicit-def: $sgpr10
	s_and_saveexec_b64 s[8:9], s[12:13]
; %bb.2214:
	s_mov_b32 s10, 0x7f800001
	s_xor_b64 s[4:5], exec, -1
; %bb.2215:
	s_or_b64 exec, exec, s[8:9]
	s_and_b64 s[4:5], s[4:5], exec
	s_or_saveexec_b64 s[6:7], s[6:7]
	v_mov_b32_e32 v6, s10
	s_xor_b64 exec, exec, s[6:7]
	s_cbranch_execz .LBB10_166
.LBB10_2216:
	v_mov_b32_e32 v6, 0
	v_cmp_ne_u16_sdwa s[8:9], v3, v6 src0_sel:BYTE_0 src1_sel:DWORD
	s_andn2_b64 s[4:5], s[4:5], exec
	s_and_b64 s[8:9], s[8:9], exec
	s_or_b64 s[4:5], s[4:5], s[8:9]
	s_or_b64 exec, exec, s[6:7]
	s_and_saveexec_b64 s[6:7], s[4:5]
	s_cbranch_execnz .LBB10_167
	s_branch .LBB10_168
.LBB10_2217:
	s_movk_i32 s4, 0x80
	v_cmp_eq_u16_sdwa s[12:13], v6, s4 src0_sel:BYTE_0 src1_sel:DWORD
	s_mov_b64 s[4:5], -1
                                        ; implicit-def: $sgpr10
	s_and_saveexec_b64 s[8:9], s[12:13]
; %bb.2218:
	s_mov_b32 s10, 0x7f800001
	s_xor_b64 s[4:5], exec, -1
; %bb.2219:
	s_or_b64 exec, exec, s[8:9]
	s_and_b64 s[4:5], s[4:5], exec
	s_or_saveexec_b64 s[6:7], s[6:7]
	v_mov_b32_e32 v2, s10
	s_xor_b64 exec, exec, s[6:7]
	s_cbranch_execz .LBB10_170
.LBB10_2220:
	v_mov_b32_e32 v2, 0
	v_cmp_ne_u16_sdwa s[8:9], v6, v2 src0_sel:BYTE_0 src1_sel:DWORD
	s_andn2_b64 s[4:5], s[4:5], exec
	s_and_b64 s[8:9], s[8:9], exec
	s_or_b64 s[4:5], s[4:5], s[8:9]
	s_or_b64 exec, exec, s[6:7]
	s_and_saveexec_b64 s[6:7], s[4:5]
	s_cbranch_execnz .LBB10_171
	s_branch .LBB10_172
.LBB10_2221:
	s_movk_i32 s4, 0x80
	v_cmp_eq_u16_sdwa s[12:13], v6, s4 src0_sel:BYTE_0 src1_sel:DWORD
	s_mov_b64 s[4:5], -1
                                        ; implicit-def: $sgpr10
	s_and_saveexec_b64 s[8:9], s[12:13]
; %bb.2222:
	s_mov_b32 s10, 0x7f800001
	s_xor_b64 s[4:5], exec, -1
; %bb.2223:
	s_or_b64 exec, exec, s[8:9]
	s_and_b64 s[4:5], s[4:5], exec
	s_or_saveexec_b64 s[6:7], s[6:7]
	v_mov_b32_e32 v10, s10
	s_xor_b64 exec, exec, s[6:7]
	s_cbranch_execz .LBB10_174
.LBB10_2224:
	v_mov_b32_e32 v10, 0
	v_cmp_ne_u16_sdwa s[8:9], v6, v10 src0_sel:BYTE_0 src1_sel:DWORD
	s_andn2_b64 s[4:5], s[4:5], exec
	s_and_b64 s[8:9], s[8:9], exec
	s_or_b64 s[4:5], s[4:5], s[8:9]
	s_or_b64 exec, exec, s[6:7]
	s_and_saveexec_b64 s[6:7], s[4:5]
	s_cbranch_execnz .LBB10_175
	s_branch .LBB10_176
.LBB10_2225:
	s_movk_i32 s4, 0x80
	v_cmp_eq_u16_e32 vcc, s4, v6
	s_mov_b64 s[4:5], -1
                                        ; implicit-def: $sgpr10
	s_and_saveexec_b64 s[8:9], vcc
; %bb.2226:
	s_mov_b32 s10, 0x7f800001
	s_xor_b64 s[4:5], exec, -1
; %bb.2227:
	s_or_b64 exec, exec, s[8:9]
	s_and_b64 s[4:5], s[4:5], exec
                                        ; implicit-def: $vgpr6
	s_or_saveexec_b64 s[6:7], s[6:7]
	v_mov_b32_e32 v2, s10
	s_xor_b64 exec, exec, s[6:7]
	s_cbranch_execz .LBB10_178
.LBB10_2228:
	v_cmp_ne_u16_e32 vcc, 0, v6
	s_andn2_b64 s[4:5], s[4:5], exec
	s_and_b64 s[8:9], vcc, exec
	v_mov_b32_e32 v2, 0
	s_or_b64 s[4:5], s[4:5], s[8:9]
	s_or_b64 exec, exec, s[6:7]
	s_and_saveexec_b64 s[6:7], s[4:5]
	s_cbranch_execnz .LBB10_179
	s_branch .LBB10_180
.LBB10_2229:
	s_movk_i32 s4, 0x80
	v_cmp_eq_u16_e32 vcc, s4, v6
	s_mov_b64 s[4:5], -1
                                        ; implicit-def: $sgpr10
	s_and_saveexec_b64 s[8:9], vcc
; %bb.2230:
	s_mov_b32 s10, 0x7f800001
	s_xor_b64 s[4:5], exec, -1
; %bb.2231:
	s_or_b64 exec, exec, s[8:9]
	s_and_b64 s[4:5], s[4:5], exec
                                        ; implicit-def: $vgpr6
	s_or_saveexec_b64 s[6:7], s[6:7]
	v_mov_b32_e32 v10, s10
	s_xor_b64 exec, exec, s[6:7]
	s_cbranch_execz .LBB10_182
.LBB10_2232:
	v_cmp_ne_u16_e32 vcc, 0, v6
	s_andn2_b64 s[4:5], s[4:5], exec
	s_and_b64 s[8:9], vcc, exec
	v_mov_b32_e32 v10, 0
	s_or_b64 s[4:5], s[4:5], s[8:9]
	s_or_b64 exec, exec, s[6:7]
	s_and_saveexec_b64 s[6:7], s[4:5]
	s_cbranch_execnz .LBB10_183
	s_branch .LBB10_184
.LBB10_2233:
	s_movk_i32 s4, 0x80
	v_cmp_eq_u16_sdwa s[12:13], v7, s4 src0_sel:BYTE_3 src1_sel:DWORD
	s_mov_b64 s[4:5], -1
                                        ; implicit-def: $sgpr10
	s_and_saveexec_b64 s[8:9], s[12:13]
; %bb.2234:
	s_mov_b32 s10, 0x7f800001
	s_xor_b64 s[4:5], exec, -1
; %bb.2235:
	s_or_b64 exec, exec, s[8:9]
	s_and_b64 s[4:5], s[4:5], exec
	s_or_saveexec_b64 s[6:7], s[6:7]
	v_mov_b32_e32 v2, s10
	s_xor_b64 exec, exec, s[6:7]
	s_cbranch_execz .LBB10_186
.LBB10_2236:
	v_mov_b32_e32 v2, 0
	v_cmp_ne_u16_sdwa s[8:9], v7, v2 src0_sel:BYTE_3 src1_sel:DWORD
	s_andn2_b64 s[4:5], s[4:5], exec
	s_and_b64 s[8:9], s[8:9], exec
	s_or_b64 s[4:5], s[4:5], s[8:9]
	s_or_b64 exec, exec, s[6:7]
	s_and_saveexec_b64 s[6:7], s[4:5]
	s_cbranch_execnz .LBB10_187
	s_branch .LBB10_188
.LBB10_2237:
	s_movk_i32 s4, 0x80
	v_cmp_eq_u16_sdwa s[12:13], v3, s4 src0_sel:BYTE_3 src1_sel:DWORD
	s_mov_b64 s[4:5], -1
                                        ; implicit-def: $sgpr10
	s_and_saveexec_b64 s[8:9], s[12:13]
; %bb.2238:
	s_mov_b32 s10, 0x7f800001
	s_xor_b64 s[4:5], exec, -1
; %bb.2239:
	s_or_b64 exec, exec, s[8:9]
	s_and_b64 s[4:5], s[4:5], exec
	s_or_saveexec_b64 s[6:7], s[6:7]
	v_mov_b32_e32 v6, s10
	s_xor_b64 exec, exec, s[6:7]
	s_cbranch_execz .LBB10_190
.LBB10_2240:
	v_mov_b32_e32 v6, 0
	v_cmp_ne_u16_sdwa s[8:9], v3, v6 src0_sel:BYTE_3 src1_sel:DWORD
	s_andn2_b64 s[4:5], s[4:5], exec
	s_and_b64 s[8:9], s[8:9], exec
	s_or_b64 s[4:5], s[4:5], s[8:9]
	s_or_b64 exec, exec, s[6:7]
	s_and_saveexec_b64 s[6:7], s[4:5]
	s_cbranch_execnz .LBB10_191
	s_branch .LBB10_192
.LBB10_2241:
	s_movk_i32 s4, 0x80
	v_cmp_eq_u16_sdwa s[12:13], v8, s4 src0_sel:BYTE_0 src1_sel:DWORD
	s_mov_b64 s[4:5], -1
                                        ; implicit-def: $sgpr10
	s_and_saveexec_b64 s[8:9], s[12:13]
; %bb.2242:
	s_mov_b32 s10, 0x7f800001
	s_xor_b64 s[4:5], exec, -1
; %bb.2243:
	s_or_b64 exec, exec, s[8:9]
	s_and_b64 s[4:5], s[4:5], exec
	s_or_saveexec_b64 s[6:7], s[6:7]
	v_mov_b32_e32 v2, s10
	s_xor_b64 exec, exec, s[6:7]
	s_cbranch_execz .LBB10_194
.LBB10_2244:
	v_mov_b32_e32 v2, 0
	v_cmp_ne_u16_sdwa s[8:9], v8, v2 src0_sel:BYTE_0 src1_sel:DWORD
	s_andn2_b64 s[4:5], s[4:5], exec
	s_and_b64 s[8:9], s[8:9], exec
	s_or_b64 s[4:5], s[4:5], s[8:9]
	s_or_b64 exec, exec, s[6:7]
	s_and_saveexec_b64 s[6:7], s[4:5]
	s_cbranch_execnz .LBB10_195
	s_branch .LBB10_196
.LBB10_2245:
	s_movk_i32 s4, 0x80
	v_cmp_eq_u16_sdwa s[12:13], v4, s4 src0_sel:BYTE_0 src1_sel:DWORD
	s_mov_b64 s[4:5], -1
                                        ; implicit-def: $sgpr10
	s_and_saveexec_b64 s[8:9], s[12:13]
; %bb.2246:
	s_mov_b32 s10, 0x7f800001
	s_xor_b64 s[4:5], exec, -1
; %bb.2247:
	s_or_b64 exec, exec, s[8:9]
	s_and_b64 s[4:5], s[4:5], exec
	s_or_saveexec_b64 s[6:7], s[6:7]
	v_mov_b32_e32 v3, s10
	s_xor_b64 exec, exec, s[6:7]
	s_cbranch_execz .LBB10_198
.LBB10_2248:
	v_mov_b32_e32 v3, 0
	v_cmp_ne_u16_sdwa s[8:9], v4, v3 src0_sel:BYTE_0 src1_sel:DWORD
	s_andn2_b64 s[4:5], s[4:5], exec
	s_and_b64 s[8:9], s[8:9], exec
	s_or_b64 s[4:5], s[4:5], s[8:9]
	s_or_b64 exec, exec, s[6:7]
	s_and_saveexec_b64 s[6:7], s[4:5]
	s_cbranch_execnz .LBB10_199
	s_branch .LBB10_200
.LBB10_2249:
	s_movk_i32 s4, 0x80
	v_cmp_eq_u16_sdwa s[12:13], v3, s4 src0_sel:BYTE_0 src1_sel:DWORD
	s_mov_b64 s[4:5], -1
                                        ; implicit-def: $sgpr10
	s_and_saveexec_b64 s[8:9], s[12:13]
; %bb.2250:
	s_mov_b32 s10, 0x7f800001
	s_xor_b64 s[4:5], exec, -1
; %bb.2251:
	s_or_b64 exec, exec, s[8:9]
	s_and_b64 s[4:5], s[4:5], exec
	s_or_saveexec_b64 s[6:7], s[6:7]
	v_mov_b32_e32 v2, s10
	s_xor_b64 exec, exec, s[6:7]
	s_cbranch_execz .LBB10_202
.LBB10_2252:
	v_mov_b32_e32 v2, 0
	v_cmp_ne_u16_sdwa s[8:9], v3, v2 src0_sel:BYTE_0 src1_sel:DWORD
	s_andn2_b64 s[4:5], s[4:5], exec
	s_and_b64 s[8:9], s[8:9], exec
	s_or_b64 s[4:5], s[4:5], s[8:9]
	s_or_b64 exec, exec, s[6:7]
	s_and_saveexec_b64 s[6:7], s[4:5]
	s_cbranch_execnz .LBB10_203
	s_branch .LBB10_204
.LBB10_2253:
	s_movk_i32 s4, 0x80
	v_cmp_eq_u16_sdwa s[12:13], v3, s4 src0_sel:BYTE_0 src1_sel:DWORD
	s_mov_b64 s[4:5], -1
                                        ; implicit-def: $sgpr10
	s_and_saveexec_b64 s[8:9], s[12:13]
; %bb.2254:
	s_mov_b32 s10, 0x7f800001
	s_xor_b64 s[4:5], exec, -1
; %bb.2255:
	s_or_b64 exec, exec, s[8:9]
	s_and_b64 s[4:5], s[4:5], exec
	s_or_saveexec_b64 s[6:7], s[6:7]
	v_mov_b32_e32 v6, s10
	s_xor_b64 exec, exec, s[6:7]
	s_cbranch_execz .LBB10_206
.LBB10_2256:
	v_mov_b32_e32 v6, 0
	v_cmp_ne_u16_sdwa s[8:9], v3, v6 src0_sel:BYTE_0 src1_sel:DWORD
	s_andn2_b64 s[4:5], s[4:5], exec
	s_and_b64 s[8:9], s[8:9], exec
	s_or_b64 s[4:5], s[4:5], s[8:9]
	s_or_b64 exec, exec, s[6:7]
	s_and_saveexec_b64 s[6:7], s[4:5]
	s_cbranch_execnz .LBB10_207
	s_branch .LBB10_208
.LBB10_2257:
	s_movk_i32 s4, 0x80
	v_cmp_eq_u16_e32 vcc, s4, v3
	s_mov_b64 s[4:5], -1
                                        ; implicit-def: $sgpr10
	s_and_saveexec_b64 s[8:9], vcc
; %bb.2258:
	s_mov_b32 s10, 0x7f800001
	s_xor_b64 s[4:5], exec, -1
; %bb.2259:
	s_or_b64 exec, exec, s[8:9]
	s_and_b64 s[4:5], s[4:5], exec
                                        ; implicit-def: $vgpr3
	s_or_saveexec_b64 s[6:7], s[6:7]
	v_mov_b32_e32 v2, s10
	s_xor_b64 exec, exec, s[6:7]
	s_cbranch_execz .LBB10_210
.LBB10_2260:
	v_cmp_ne_u16_e32 vcc, 0, v3
	s_andn2_b64 s[4:5], s[4:5], exec
	s_and_b64 s[8:9], vcc, exec
	v_mov_b32_e32 v2, 0
	s_or_b64 s[4:5], s[4:5], s[8:9]
	s_or_b64 exec, exec, s[6:7]
	s_and_saveexec_b64 s[6:7], s[4:5]
	s_cbranch_execnz .LBB10_211
	s_branch .LBB10_212
.LBB10_2261:
	s_movk_i32 s4, 0x80
	v_cmp_eq_u16_e32 vcc, s4, v3
	s_mov_b64 s[4:5], -1
                                        ; implicit-def: $sgpr10
	s_and_saveexec_b64 s[8:9], vcc
; %bb.2262:
	s_mov_b32 s10, 0x7f800001
	s_xor_b64 s[4:5], exec, -1
; %bb.2263:
	s_or_b64 exec, exec, s[8:9]
	s_and_b64 s[4:5], s[4:5], exec
                                        ; implicit-def: $vgpr3
	s_or_saveexec_b64 s[6:7], s[6:7]
	v_mov_b32_e32 v6, s10
	s_xor_b64 exec, exec, s[6:7]
	s_cbranch_execz .LBB10_214
.LBB10_2264:
	v_cmp_ne_u16_e32 vcc, 0, v3
	s_andn2_b64 s[4:5], s[4:5], exec
	s_and_b64 s[8:9], vcc, exec
	v_mov_b32_e32 v6, 0
	s_or_b64 s[4:5], s[4:5], s[8:9]
	s_or_b64 exec, exec, s[6:7]
	s_and_saveexec_b64 s[6:7], s[4:5]
	s_cbranch_execnz .LBB10_215
	s_branch .LBB10_216
.LBB10_2265:
	s_movk_i32 s4, 0x80
	v_cmp_eq_u16_sdwa s[12:13], v8, s4 src0_sel:BYTE_3 src1_sel:DWORD
	s_mov_b64 s[4:5], -1
                                        ; implicit-def: $sgpr10
	s_and_saveexec_b64 s[8:9], s[12:13]
; %bb.2266:
	s_mov_b32 s10, 0x7f800001
	s_xor_b64 s[4:5], exec, -1
; %bb.2267:
	s_or_b64 exec, exec, s[8:9]
	s_and_b64 s[4:5], s[4:5], exec
	s_or_saveexec_b64 s[6:7], s[6:7]
	v_mov_b32_e32 v2, s10
	s_xor_b64 exec, exec, s[6:7]
	s_cbranch_execz .LBB10_218
.LBB10_2268:
	v_mov_b32_e32 v2, 0
	v_cmp_ne_u16_sdwa s[8:9], v8, v2 src0_sel:BYTE_3 src1_sel:DWORD
	s_andn2_b64 s[4:5], s[4:5], exec
	s_and_b64 s[8:9], s[8:9], exec
	s_or_b64 s[4:5], s[4:5], s[8:9]
	s_or_b64 exec, exec, s[6:7]
	s_and_saveexec_b64 s[6:7], s[4:5]
	s_cbranch_execnz .LBB10_219
	s_branch .LBB10_220
.LBB10_2269:
	s_movk_i32 s4, 0x80
	v_cmp_eq_u16_sdwa s[12:13], v4, s4 src0_sel:BYTE_3 src1_sel:DWORD
	s_mov_b64 s[4:5], -1
                                        ; implicit-def: $sgpr10
	s_and_saveexec_b64 s[8:9], s[12:13]
; %bb.2270:
	s_mov_b32 s10, 0x7f800001
	s_xor_b64 s[4:5], exec, -1
; %bb.2271:
	s_or_b64 exec, exec, s[8:9]
	s_and_b64 s[4:5], s[4:5], exec
	s_or_saveexec_b64 s[6:7], s[6:7]
	v_mov_b32_e32 v3, s10
	s_xor_b64 exec, exec, s[6:7]
	s_cbranch_execz .LBB10_222
.LBB10_2272:
	v_mov_b32_e32 v3, 0
	v_cmp_ne_u16_sdwa s[8:9], v4, v3 src0_sel:BYTE_3 src1_sel:DWORD
	s_andn2_b64 s[4:5], s[4:5], exec
	s_and_b64 s[8:9], s[8:9], exec
	s_or_b64 s[4:5], s[4:5], s[8:9]
	s_or_b64 exec, exec, s[6:7]
	s_and_saveexec_b64 s[6:7], s[4:5]
	s_cbranch_execnz .LBB10_223
	s_branch .LBB10_224
.LBB10_2273:
	s_movk_i32 s4, 0x80
	v_cmp_eq_u16_sdwa s[12:13], v9, s4 src0_sel:BYTE_0 src1_sel:DWORD
	s_mov_b64 s[4:5], -1
                                        ; implicit-def: $sgpr10
	s_and_saveexec_b64 s[8:9], s[12:13]
; %bb.2274:
	s_mov_b32 s10, 0x7f800001
	s_xor_b64 s[4:5], exec, -1
; %bb.2275:
	s_or_b64 exec, exec, s[8:9]
	s_and_b64 s[4:5], s[4:5], exec
	s_or_saveexec_b64 s[6:7], s[6:7]
	v_mov_b32_e32 v2, s10
	s_xor_b64 exec, exec, s[6:7]
	s_cbranch_execz .LBB10_226
.LBB10_2276:
	v_mov_b32_e32 v2, 0
	v_cmp_ne_u16_sdwa s[8:9], v9, v2 src0_sel:BYTE_0 src1_sel:DWORD
	s_andn2_b64 s[4:5], s[4:5], exec
	s_and_b64 s[8:9], s[8:9], exec
	s_or_b64 s[4:5], s[4:5], s[8:9]
	s_or_b64 exec, exec, s[6:7]
	s_and_saveexec_b64 s[6:7], s[4:5]
	s_cbranch_execnz .LBB10_227
	s_branch .LBB10_228
.LBB10_2277:
	s_movk_i32 s4, 0x80
	v_cmp_eq_u16_sdwa s[12:13], v5, s4 src0_sel:BYTE_0 src1_sel:DWORD
	s_mov_b64 s[4:5], -1
                                        ; implicit-def: $sgpr10
	s_and_saveexec_b64 s[8:9], s[12:13]
; %bb.2278:
	s_mov_b32 s10, 0x7f800001
	s_xor_b64 s[4:5], exec, -1
; %bb.2279:
	s_or_b64 exec, exec, s[8:9]
	s_and_b64 s[4:5], s[4:5], exec
	s_or_saveexec_b64 s[6:7], s[6:7]
	v_mov_b32_e32 v3, s10
	s_xor_b64 exec, exec, s[6:7]
	s_cbranch_execz .LBB10_230
.LBB10_2280:
	v_mov_b32_e32 v3, 0
	v_cmp_ne_u16_sdwa s[8:9], v5, v3 src0_sel:BYTE_0 src1_sel:DWORD
	s_andn2_b64 s[4:5], s[4:5], exec
	s_and_b64 s[8:9], s[8:9], exec
	s_or_b64 s[4:5], s[4:5], s[8:9]
	s_or_b64 exec, exec, s[6:7]
	s_and_saveexec_b64 s[6:7], s[4:5]
	s_cbranch_execnz .LBB10_231
	s_branch .LBB10_232
.LBB10_2281:
	s_movk_i32 s4, 0x80
	v_cmp_eq_u16_sdwa s[12:13], v3, s4 src0_sel:BYTE_0 src1_sel:DWORD
	s_mov_b64 s[4:5], -1
                                        ; implicit-def: $sgpr10
	s_and_saveexec_b64 s[8:9], s[12:13]
; %bb.2282:
	s_mov_b32 s10, 0x7f800001
	s_xor_b64 s[4:5], exec, -1
; %bb.2283:
	s_or_b64 exec, exec, s[8:9]
	s_and_b64 s[4:5], s[4:5], exec
	s_or_saveexec_b64 s[6:7], s[6:7]
	v_mov_b32_e32 v2, s10
	s_xor_b64 exec, exec, s[6:7]
	s_cbranch_execz .LBB10_234
.LBB10_2284:
	v_mov_b32_e32 v2, 0
	v_cmp_ne_u16_sdwa s[8:9], v3, v2 src0_sel:BYTE_0 src1_sel:DWORD
	s_andn2_b64 s[4:5], s[4:5], exec
	s_and_b64 s[8:9], s[8:9], exec
	s_or_b64 s[4:5], s[4:5], s[8:9]
	s_or_b64 exec, exec, s[6:7]
	s_and_saveexec_b64 s[6:7], s[4:5]
	s_cbranch_execnz .LBB10_235
	s_branch .LBB10_236
.LBB10_2285:
	s_movk_i32 s4, 0x80
	v_cmp_eq_u16_sdwa s[12:13], v3, s4 src0_sel:BYTE_0 src1_sel:DWORD
	s_mov_b64 s[4:5], -1
                                        ; implicit-def: $sgpr10
	s_and_saveexec_b64 s[8:9], s[12:13]
; %bb.2286:
	s_mov_b32 s10, 0x7f800001
	s_xor_b64 s[4:5], exec, -1
; %bb.2287:
	s_or_b64 exec, exec, s[8:9]
	s_and_b64 s[4:5], s[4:5], exec
	s_or_saveexec_b64 s[6:7], s[6:7]
	v_mov_b32_e32 v4, s10
	s_xor_b64 exec, exec, s[6:7]
	s_cbranch_execz .LBB10_238
.LBB10_2288:
	v_mov_b32_e32 v4, 0
	v_cmp_ne_u16_sdwa s[8:9], v3, v4 src0_sel:BYTE_0 src1_sel:DWORD
	s_andn2_b64 s[4:5], s[4:5], exec
	s_and_b64 s[8:9], s[8:9], exec
	s_or_b64 s[4:5], s[4:5], s[8:9]
	s_or_b64 exec, exec, s[6:7]
	s_and_saveexec_b64 s[6:7], s[4:5]
	s_cbranch_execnz .LBB10_239
	s_branch .LBB10_240
.LBB10_2289:
	s_movk_i32 s4, 0x80
	v_cmp_eq_u16_e32 vcc, s4, v3
	s_mov_b64 s[4:5], -1
                                        ; implicit-def: $sgpr10
	s_and_saveexec_b64 s[8:9], vcc
; %bb.2290:
	s_mov_b32 s10, 0x7f800001
	s_xor_b64 s[4:5], exec, -1
; %bb.2291:
	s_or_b64 exec, exec, s[8:9]
	s_and_b64 s[4:5], s[4:5], exec
                                        ; implicit-def: $vgpr3
	s_or_saveexec_b64 s[6:7], s[6:7]
	v_mov_b32_e32 v2, s10
	s_xor_b64 exec, exec, s[6:7]
	s_cbranch_execz .LBB10_242
.LBB10_2292:
	v_cmp_ne_u16_e32 vcc, 0, v3
	s_andn2_b64 s[4:5], s[4:5], exec
	s_and_b64 s[8:9], vcc, exec
	v_mov_b32_e32 v2, 0
	s_or_b64 s[4:5], s[4:5], s[8:9]
	s_or_b64 exec, exec, s[6:7]
	s_and_saveexec_b64 s[6:7], s[4:5]
	s_cbranch_execnz .LBB10_243
	s_branch .LBB10_244
.LBB10_2293:
	s_movk_i32 s4, 0x80
	v_cmp_eq_u16_e32 vcc, s4, v3
	s_mov_b64 s[4:5], -1
                                        ; implicit-def: $sgpr10
	s_and_saveexec_b64 s[8:9], vcc
; %bb.2294:
	s_mov_b32 s10, 0x7f800001
	s_xor_b64 s[4:5], exec, -1
; %bb.2295:
	s_or_b64 exec, exec, s[8:9]
	s_and_b64 s[4:5], s[4:5], exec
                                        ; implicit-def: $vgpr3
	s_or_saveexec_b64 s[6:7], s[6:7]
	v_mov_b32_e32 v4, s10
	s_xor_b64 exec, exec, s[6:7]
	s_cbranch_execz .LBB10_246
.LBB10_2296:
	v_cmp_ne_u16_e32 vcc, 0, v3
	s_andn2_b64 s[4:5], s[4:5], exec
	s_and_b64 s[8:9], vcc, exec
	v_mov_b32_e32 v4, 0
	s_or_b64 s[4:5], s[4:5], s[8:9]
	s_or_b64 exec, exec, s[6:7]
	s_and_saveexec_b64 s[6:7], s[4:5]
	s_cbranch_execnz .LBB10_247
	s_branch .LBB10_248
.LBB10_2297:
	s_movk_i32 s4, 0x80
	v_cmp_eq_u16_sdwa s[12:13], v9, s4 src0_sel:BYTE_3 src1_sel:DWORD
	s_mov_b64 s[4:5], -1
                                        ; implicit-def: $sgpr10
	s_and_saveexec_b64 s[8:9], s[12:13]
; %bb.2298:
	s_mov_b32 s10, 0x7f800001
	s_xor_b64 s[4:5], exec, -1
; %bb.2299:
	s_or_b64 exec, exec, s[8:9]
	s_and_b64 s[4:5], s[4:5], exec
	s_or_saveexec_b64 s[6:7], s[6:7]
	v_mov_b32_e32 v2, s10
	s_xor_b64 exec, exec, s[6:7]
	s_cbranch_execz .LBB10_250
.LBB10_2300:
	v_mov_b32_e32 v2, 0
	v_cmp_ne_u16_sdwa s[8:9], v9, v2 src0_sel:BYTE_3 src1_sel:DWORD
	s_andn2_b64 s[4:5], s[4:5], exec
	s_and_b64 s[8:9], s[8:9], exec
	s_or_b64 s[4:5], s[4:5], s[8:9]
	s_or_b64 exec, exec, s[6:7]
	s_and_saveexec_b64 s[6:7], s[4:5]
	s_cbranch_execnz .LBB10_251
	s_branch .LBB10_252
.LBB10_2301:
	s_movk_i32 s4, 0x80
	v_cmp_eq_u16_sdwa s[12:13], v5, s4 src0_sel:BYTE_3 src1_sel:DWORD
	s_mov_b64 s[4:5], -1
                                        ; implicit-def: $sgpr10
	s_and_saveexec_b64 s[8:9], s[12:13]
; %bb.2302:
	s_mov_b32 s10, 0x7f800001
	s_xor_b64 s[4:5], exec, -1
; %bb.2303:
	s_or_b64 exec, exec, s[8:9]
	s_and_b64 s[4:5], s[4:5], exec
	s_or_saveexec_b64 s[6:7], s[6:7]
	v_mov_b32_e32 v3, s10
	s_xor_b64 exec, exec, s[6:7]
	s_cbranch_execz .LBB10_254
.LBB10_2304:
	v_mov_b32_e32 v3, 0
	v_cmp_ne_u16_sdwa s[8:9], v5, v3 src0_sel:BYTE_3 src1_sel:DWORD
	s_andn2_b64 s[4:5], s[4:5], exec
	s_and_b64 s[8:9], s[8:9], exec
	s_or_b64 s[4:5], s[4:5], s[8:9]
	s_or_b64 exec, exec, s[6:7]
	s_and_saveexec_b64 s[6:7], s[4:5]
	s_cbranch_execnz .LBB10_255
	s_branch .LBB10_256
.LBB10_2305:
	s_movk_i32 s4, 0x80
	v_cmp_eq_u16_sdwa s[12:13], v14, s4 src0_sel:BYTE_0 src1_sel:DWORD
	s_mov_b64 s[4:5], -1
                                        ; implicit-def: $sgpr10
	s_and_saveexec_b64 s[8:9], s[12:13]
; %bb.2306:
	s_mov_b32 s10, 0x7f800001
	s_xor_b64 s[4:5], exec, -1
; %bb.2307:
	s_or_b64 exec, exec, s[8:9]
	s_and_b64 s[4:5], s[4:5], exec
	s_or_saveexec_b64 s[6:7], s[6:7]
	v_mov_b32_e32 v20, s10
	s_xor_b64 exec, exec, s[6:7]
	s_cbranch_execz .LBB10_258
.LBB10_2308:
	v_mov_b32_e32 v20, 0
	v_cmp_ne_u16_sdwa s[8:9], v14, v20 src0_sel:BYTE_0 src1_sel:DWORD
	s_andn2_b64 s[4:5], s[4:5], exec
	s_and_b64 s[8:9], s[8:9], exec
	s_or_b64 s[4:5], s[4:5], s[8:9]
	s_or_b64 exec, exec, s[6:7]
	s_and_saveexec_b64 s[6:7], s[4:5]
	s_cbranch_execnz .LBB10_259
	s_branch .LBB10_260
.LBB10_2309:
	s_movk_i32 s4, 0x80
	v_cmp_eq_u16_sdwa s[12:13], v10, s4 src0_sel:BYTE_0 src1_sel:DWORD
	s_mov_b64 s[4:5], -1
                                        ; implicit-def: $sgpr10
	s_and_saveexec_b64 s[8:9], s[12:13]
; %bb.2310:
	s_mov_b32 s10, 0x7f800001
	s_xor_b64 s[4:5], exec, -1
; %bb.2311:
	s_or_b64 exec, exec, s[8:9]
	s_and_b64 s[4:5], s[4:5], exec
	s_or_saveexec_b64 s[6:7], s[6:7]
	v_mov_b32_e32 v21, s10
	s_xor_b64 exec, exec, s[6:7]
	s_cbranch_execz .LBB10_262
.LBB10_2312:
	v_mov_b32_e32 v21, 0
	v_cmp_ne_u16_sdwa s[8:9], v10, v21 src0_sel:BYTE_0 src1_sel:DWORD
	s_andn2_b64 s[4:5], s[4:5], exec
	s_and_b64 s[8:9], s[8:9], exec
	s_or_b64 s[4:5], s[4:5], s[8:9]
	s_or_b64 exec, exec, s[6:7]
	s_and_saveexec_b64 s[6:7], s[4:5]
	s_cbranch_execnz .LBB10_263
	s_branch .LBB10_264
.LBB10_2313:
	s_movk_i32 s4, 0x80
	v_cmp_eq_u16_sdwa s[12:13], v21, s4 src0_sel:BYTE_0 src1_sel:DWORD
	s_mov_b64 s[4:5], -1
                                        ; implicit-def: $sgpr10
	s_and_saveexec_b64 s[8:9], s[12:13]
; %bb.2314:
	s_mov_b32 s10, 0x7f800001
	s_xor_b64 s[4:5], exec, -1
; %bb.2315:
	s_or_b64 exec, exec, s[8:9]
	s_and_b64 s[4:5], s[4:5], exec
	s_or_saveexec_b64 s[6:7], s[6:7]
	v_mov_b32_e32 v20, s10
	s_xor_b64 exec, exec, s[6:7]
	s_cbranch_execz .LBB10_266
.LBB10_2316:
	v_mov_b32_e32 v20, 0
	v_cmp_ne_u16_sdwa s[8:9], v21, v20 src0_sel:BYTE_0 src1_sel:DWORD
	s_andn2_b64 s[4:5], s[4:5], exec
	s_and_b64 s[8:9], s[8:9], exec
	s_or_b64 s[4:5], s[4:5], s[8:9]
	s_or_b64 exec, exec, s[6:7]
	s_and_saveexec_b64 s[6:7], s[4:5]
	s_cbranch_execnz .LBB10_267
	s_branch .LBB10_268
.LBB10_2317:
	s_movk_i32 s4, 0x80
	v_cmp_eq_u16_sdwa s[12:13], v21, s4 src0_sel:BYTE_0 src1_sel:DWORD
	s_mov_b64 s[4:5], -1
                                        ; implicit-def: $sgpr10
	s_and_saveexec_b64 s[8:9], s[12:13]
; %bb.2318:
	s_mov_b32 s10, 0x7f800001
	s_xor_b64 s[4:5], exec, -1
; %bb.2319:
	s_or_b64 exec, exec, s[8:9]
	s_and_b64 s[4:5], s[4:5], exec
	s_or_saveexec_b64 s[6:7], s[6:7]
	v_mov_b32_e32 v22, s10
	s_xor_b64 exec, exec, s[6:7]
	s_cbranch_execz .LBB10_270
.LBB10_2320:
	v_mov_b32_e32 v22, 0
	v_cmp_ne_u16_sdwa s[8:9], v21, v22 src0_sel:BYTE_0 src1_sel:DWORD
	s_andn2_b64 s[4:5], s[4:5], exec
	s_and_b64 s[8:9], s[8:9], exec
	s_or_b64 s[4:5], s[4:5], s[8:9]
	s_or_b64 exec, exec, s[6:7]
	s_and_saveexec_b64 s[6:7], s[4:5]
	s_cbranch_execnz .LBB10_271
	s_branch .LBB10_272
.LBB10_2321:
	s_movk_i32 s4, 0x80
	v_cmp_eq_u16_e32 vcc, s4, v21
	s_mov_b64 s[4:5], -1
                                        ; implicit-def: $sgpr10
	s_and_saveexec_b64 s[8:9], vcc
; %bb.2322:
	s_mov_b32 s10, 0x7f800001
	s_xor_b64 s[4:5], exec, -1
; %bb.2323:
	s_or_b64 exec, exec, s[8:9]
	s_and_b64 s[4:5], s[4:5], exec
                                        ; implicit-def: $vgpr21
	s_or_saveexec_b64 s[6:7], s[6:7]
	v_mov_b32_e32 v20, s10
	s_xor_b64 exec, exec, s[6:7]
	s_cbranch_execz .LBB10_274
.LBB10_2324:
	v_cmp_ne_u16_e32 vcc, 0, v21
	s_andn2_b64 s[4:5], s[4:5], exec
	s_and_b64 s[8:9], vcc, exec
	v_mov_b32_e32 v20, 0
	s_or_b64 s[4:5], s[4:5], s[8:9]
	s_or_b64 exec, exec, s[6:7]
	s_and_saveexec_b64 s[6:7], s[4:5]
	s_cbranch_execnz .LBB10_275
	s_branch .LBB10_276
.LBB10_2325:
	s_movk_i32 s4, 0x80
	v_cmp_eq_u16_e32 vcc, s4, v21
	s_mov_b64 s[4:5], -1
                                        ; implicit-def: $sgpr10
	s_and_saveexec_b64 s[8:9], vcc
; %bb.2326:
	s_mov_b32 s10, 0x7f800001
	s_xor_b64 s[4:5], exec, -1
; %bb.2327:
	s_or_b64 exec, exec, s[8:9]
	s_and_b64 s[4:5], s[4:5], exec
                                        ; implicit-def: $vgpr21
	s_or_saveexec_b64 s[6:7], s[6:7]
	v_mov_b32_e32 v22, s10
	s_xor_b64 exec, exec, s[6:7]
	s_cbranch_execz .LBB10_278
.LBB10_2328:
	v_cmp_ne_u16_e32 vcc, 0, v21
	s_andn2_b64 s[4:5], s[4:5], exec
	s_and_b64 s[8:9], vcc, exec
	v_mov_b32_e32 v22, 0
	s_or_b64 s[4:5], s[4:5], s[8:9]
	s_or_b64 exec, exec, s[6:7]
	s_and_saveexec_b64 s[6:7], s[4:5]
	s_cbranch_execnz .LBB10_279
	s_branch .LBB10_280
.LBB10_2329:
	s_movk_i32 s4, 0x80
	v_cmp_eq_u16_sdwa s[12:13], v14, s4 src0_sel:BYTE_3 src1_sel:DWORD
	s_mov_b64 s[4:5], -1
                                        ; implicit-def: $sgpr10
	s_and_saveexec_b64 s[8:9], s[12:13]
; %bb.2330:
	s_mov_b32 s10, 0x7f800001
	s_xor_b64 s[4:5], exec, -1
; %bb.2331:
	s_or_b64 exec, exec, s[8:9]
	s_and_b64 s[4:5], s[4:5], exec
	s_or_saveexec_b64 s[6:7], s[6:7]
	v_mov_b32_e32 v20, s10
	s_xor_b64 exec, exec, s[6:7]
	s_cbranch_execz .LBB10_282
.LBB10_2332:
	v_mov_b32_e32 v20, 0
	v_cmp_ne_u16_sdwa s[8:9], v14, v20 src0_sel:BYTE_3 src1_sel:DWORD
	s_andn2_b64 s[4:5], s[4:5], exec
	s_and_b64 s[8:9], s[8:9], exec
	s_or_b64 s[4:5], s[4:5], s[8:9]
	s_or_b64 exec, exec, s[6:7]
	s_and_saveexec_b64 s[6:7], s[4:5]
	s_cbranch_execnz .LBB10_283
	s_branch .LBB10_284
.LBB10_2333:
	s_movk_i32 s4, 0x80
	v_cmp_eq_u16_sdwa s[12:13], v10, s4 src0_sel:BYTE_3 src1_sel:DWORD
	s_mov_b64 s[4:5], -1
                                        ; implicit-def: $sgpr10
	s_and_saveexec_b64 s[8:9], s[12:13]
; %bb.2334:
	s_mov_b32 s10, 0x7f800001
	s_xor_b64 s[4:5], exec, -1
; %bb.2335:
	s_or_b64 exec, exec, s[8:9]
	s_and_b64 s[4:5], s[4:5], exec
	s_or_saveexec_b64 s[6:7], s[6:7]
	v_mov_b32_e32 v14, s10
	s_xor_b64 exec, exec, s[6:7]
	s_cbranch_execz .LBB10_286
.LBB10_2336:
	v_mov_b32_e32 v14, 0
	v_cmp_ne_u16_sdwa s[8:9], v10, v14 src0_sel:BYTE_3 src1_sel:DWORD
	s_andn2_b64 s[4:5], s[4:5], exec
	s_and_b64 s[8:9], s[8:9], exec
	s_or_b64 s[4:5], s[4:5], s[8:9]
	s_or_b64 exec, exec, s[6:7]
	s_and_saveexec_b64 s[6:7], s[4:5]
	s_cbranch_execnz .LBB10_287
	s_branch .LBB10_288
.LBB10_2337:
	s_movk_i32 s4, 0x80
	v_cmp_eq_u16_sdwa s[12:13], v15, s4 src0_sel:BYTE_0 src1_sel:DWORD
	s_mov_b64 s[4:5], -1
                                        ; implicit-def: $sgpr10
	s_and_saveexec_b64 s[8:9], s[12:13]
; %bb.2338:
	s_mov_b32 s10, 0x7f800001
	s_xor_b64 s[4:5], exec, -1
; %bb.2339:
	s_or_b64 exec, exec, s[8:9]
	s_and_b64 s[4:5], s[4:5], exec
	s_or_saveexec_b64 s[6:7], s[6:7]
	v_mov_b32_e32 v10, s10
	s_xor_b64 exec, exec, s[6:7]
	s_cbranch_execz .LBB10_290
.LBB10_2340:
	v_mov_b32_e32 v10, 0
	v_cmp_ne_u16_sdwa s[8:9], v15, v10 src0_sel:BYTE_0 src1_sel:DWORD
	s_andn2_b64 s[4:5], s[4:5], exec
	s_and_b64 s[8:9], s[8:9], exec
	s_or_b64 s[4:5], s[4:5], s[8:9]
	s_or_b64 exec, exec, s[6:7]
	s_and_saveexec_b64 s[6:7], s[4:5]
	s_cbranch_execnz .LBB10_291
	s_branch .LBB10_292
.LBB10_2341:
	s_movk_i32 s4, 0x80
	v_cmp_eq_u16_sdwa s[12:13], v11, s4 src0_sel:BYTE_0 src1_sel:DWORD
	s_mov_b64 s[4:5], -1
                                        ; implicit-def: $sgpr10
	s_and_saveexec_b64 s[8:9], s[12:13]
; %bb.2342:
	s_mov_b32 s10, 0x7f800001
	s_xor_b64 s[4:5], exec, -1
; %bb.2343:
	s_or_b64 exec, exec, s[8:9]
	s_and_b64 s[4:5], s[4:5], exec
	s_or_saveexec_b64 s[6:7], s[6:7]
	v_mov_b32_e32 v14, s10
	s_xor_b64 exec, exec, s[6:7]
	s_cbranch_execz .LBB10_294
.LBB10_2344:
	v_mov_b32_e32 v14, 0
	v_cmp_ne_u16_sdwa s[8:9], v11, v14 src0_sel:BYTE_0 src1_sel:DWORD
	s_andn2_b64 s[4:5], s[4:5], exec
	s_and_b64 s[8:9], s[8:9], exec
	s_or_b64 s[4:5], s[4:5], s[8:9]
	s_or_b64 exec, exec, s[6:7]
	s_and_saveexec_b64 s[6:7], s[4:5]
	s_cbranch_execnz .LBB10_295
	s_branch .LBB10_296
.LBB10_2345:
	s_movk_i32 s4, 0x80
	v_cmp_eq_u16_sdwa s[12:13], v14, s4 src0_sel:BYTE_0 src1_sel:DWORD
	s_mov_b64 s[4:5], -1
                                        ; implicit-def: $sgpr10
	s_and_saveexec_b64 s[8:9], s[12:13]
; %bb.2346:
	s_mov_b32 s10, 0x7f800001
	s_xor_b64 s[4:5], exec, -1
; %bb.2347:
	s_or_b64 exec, exec, s[8:9]
	s_and_b64 s[4:5], s[4:5], exec
	s_or_saveexec_b64 s[6:7], s[6:7]
	v_mov_b32_e32 v10, s10
	s_xor_b64 exec, exec, s[6:7]
	s_cbranch_execz .LBB10_298
.LBB10_2348:
	v_mov_b32_e32 v10, 0
	v_cmp_ne_u16_sdwa s[8:9], v14, v10 src0_sel:BYTE_0 src1_sel:DWORD
	s_andn2_b64 s[4:5], s[4:5], exec
	s_and_b64 s[8:9], s[8:9], exec
	s_or_b64 s[4:5], s[4:5], s[8:9]
	s_or_b64 exec, exec, s[6:7]
	s_and_saveexec_b64 s[6:7], s[4:5]
	s_cbranch_execnz .LBB10_299
	s_branch .LBB10_300
.LBB10_2349:
	s_movk_i32 s4, 0x80
	v_cmp_eq_u16_sdwa s[12:13], v14, s4 src0_sel:BYTE_0 src1_sel:DWORD
	s_mov_b64 s[4:5], -1
                                        ; implicit-def: $sgpr10
	s_and_saveexec_b64 s[8:9], s[12:13]
; %bb.2350:
	s_mov_b32 s10, 0x7f800001
	s_xor_b64 s[4:5], exec, -1
; %bb.2351:
	s_or_b64 exec, exec, s[8:9]
	s_and_b64 s[4:5], s[4:5], exec
	s_or_saveexec_b64 s[6:7], s[6:7]
	v_mov_b32_e32 v20, s10
	s_xor_b64 exec, exec, s[6:7]
	s_cbranch_execz .LBB10_302
.LBB10_2352:
	v_mov_b32_e32 v20, 0
	v_cmp_ne_u16_sdwa s[8:9], v14, v20 src0_sel:BYTE_0 src1_sel:DWORD
	s_andn2_b64 s[4:5], s[4:5], exec
	s_and_b64 s[8:9], s[8:9], exec
	s_or_b64 s[4:5], s[4:5], s[8:9]
	s_or_b64 exec, exec, s[6:7]
	s_and_saveexec_b64 s[6:7], s[4:5]
	s_cbranch_execnz .LBB10_303
	s_branch .LBB10_304
.LBB10_2353:
	s_movk_i32 s4, 0x80
	v_cmp_eq_u16_e32 vcc, s4, v14
	s_mov_b64 s[4:5], -1
                                        ; implicit-def: $sgpr10
	s_and_saveexec_b64 s[8:9], vcc
; %bb.2354:
	s_mov_b32 s10, 0x7f800001
	s_xor_b64 s[4:5], exec, -1
; %bb.2355:
	s_or_b64 exec, exec, s[8:9]
	s_and_b64 s[4:5], s[4:5], exec
                                        ; implicit-def: $vgpr14
	s_or_saveexec_b64 s[6:7], s[6:7]
	v_mov_b32_e32 v10, s10
	s_xor_b64 exec, exec, s[6:7]
	s_cbranch_execz .LBB10_306
.LBB10_2356:
	v_cmp_ne_u16_e32 vcc, 0, v14
	s_andn2_b64 s[4:5], s[4:5], exec
	s_and_b64 s[8:9], vcc, exec
	v_mov_b32_e32 v10, 0
	s_or_b64 s[4:5], s[4:5], s[8:9]
	s_or_b64 exec, exec, s[6:7]
	s_and_saveexec_b64 s[6:7], s[4:5]
	s_cbranch_execnz .LBB10_307
	s_branch .LBB10_308
.LBB10_2357:
	s_movk_i32 s4, 0x80
	v_cmp_eq_u16_e32 vcc, s4, v14
	s_mov_b64 s[4:5], -1
                                        ; implicit-def: $sgpr10
	s_and_saveexec_b64 s[8:9], vcc
; %bb.2358:
	s_mov_b32 s10, 0x7f800001
	s_xor_b64 s[4:5], exec, -1
; %bb.2359:
	s_or_b64 exec, exec, s[8:9]
	s_and_b64 s[4:5], s[4:5], exec
                                        ; implicit-def: $vgpr14
	s_or_saveexec_b64 s[6:7], s[6:7]
	v_mov_b32_e32 v20, s10
	s_xor_b64 exec, exec, s[6:7]
	s_cbranch_execz .LBB10_310
.LBB10_2360:
	v_cmp_ne_u16_e32 vcc, 0, v14
	s_andn2_b64 s[4:5], s[4:5], exec
	s_and_b64 s[8:9], vcc, exec
	v_mov_b32_e32 v20, 0
	s_or_b64 s[4:5], s[4:5], s[8:9]
	s_or_b64 exec, exec, s[6:7]
	s_and_saveexec_b64 s[6:7], s[4:5]
	s_cbranch_execnz .LBB10_311
	s_branch .LBB10_312
.LBB10_2361:
	s_movk_i32 s4, 0x80
	v_cmp_eq_u16_sdwa s[12:13], v15, s4 src0_sel:BYTE_3 src1_sel:DWORD
	s_mov_b64 s[4:5], -1
                                        ; implicit-def: $sgpr10
	s_and_saveexec_b64 s[8:9], s[12:13]
; %bb.2362:
	s_mov_b32 s10, 0x7f800001
	s_xor_b64 s[4:5], exec, -1
; %bb.2363:
	s_or_b64 exec, exec, s[8:9]
	s_and_b64 s[4:5], s[4:5], exec
	s_or_saveexec_b64 s[6:7], s[6:7]
	v_mov_b32_e32 v10, s10
	s_xor_b64 exec, exec, s[6:7]
	s_cbranch_execz .LBB10_314
.LBB10_2364:
	v_mov_b32_e32 v10, 0
	v_cmp_ne_u16_sdwa s[8:9], v15, v10 src0_sel:BYTE_3 src1_sel:DWORD
	s_andn2_b64 s[4:5], s[4:5], exec
	s_and_b64 s[8:9], s[8:9], exec
	s_or_b64 s[4:5], s[4:5], s[8:9]
	s_or_b64 exec, exec, s[6:7]
	s_and_saveexec_b64 s[6:7], s[4:5]
	s_cbranch_execnz .LBB10_315
	s_branch .LBB10_316
.LBB10_2365:
	s_movk_i32 s4, 0x80
	v_cmp_eq_u16_sdwa s[12:13], v11, s4 src0_sel:BYTE_3 src1_sel:DWORD
	s_mov_b64 s[4:5], -1
                                        ; implicit-def: $sgpr10
	s_and_saveexec_b64 s[8:9], s[12:13]
; %bb.2366:
	s_mov_b32 s10, 0x7f800001
	s_xor_b64 s[4:5], exec, -1
; %bb.2367:
	s_or_b64 exec, exec, s[8:9]
	s_and_b64 s[4:5], s[4:5], exec
	s_or_saveexec_b64 s[6:7], s[6:7]
	v_mov_b32_e32 v14, s10
	s_xor_b64 exec, exec, s[6:7]
	s_cbranch_execz .LBB10_318
.LBB10_2368:
	v_mov_b32_e32 v14, 0
	v_cmp_ne_u16_sdwa s[8:9], v11, v14 src0_sel:BYTE_3 src1_sel:DWORD
	s_andn2_b64 s[4:5], s[4:5], exec
	s_and_b64 s[8:9], s[8:9], exec
	s_or_b64 s[4:5], s[4:5], s[8:9]
	s_or_b64 exec, exec, s[6:7]
	s_and_saveexec_b64 s[6:7], s[4:5]
	s_cbranch_execnz .LBB10_319
	s_branch .LBB10_320
.LBB10_2369:
	s_movk_i32 s4, 0x80
	v_cmp_eq_u16_sdwa s[12:13], v16, s4 src0_sel:BYTE_0 src1_sel:DWORD
	s_mov_b64 s[4:5], -1
                                        ; implicit-def: $sgpr10
	s_and_saveexec_b64 s[8:9], s[12:13]
; %bb.2370:
	s_mov_b32 s10, 0x7f800001
	s_xor_b64 s[4:5], exec, -1
; %bb.2371:
	s_or_b64 exec, exec, s[8:9]
	s_and_b64 s[4:5], s[4:5], exec
	s_or_saveexec_b64 s[6:7], s[6:7]
	v_mov_b32_e32 v10, s10
	s_xor_b64 exec, exec, s[6:7]
	s_cbranch_execz .LBB10_322
.LBB10_2372:
	v_mov_b32_e32 v10, 0
	v_cmp_ne_u16_sdwa s[8:9], v16, v10 src0_sel:BYTE_0 src1_sel:DWORD
	s_andn2_b64 s[4:5], s[4:5], exec
	s_and_b64 s[8:9], s[8:9], exec
	s_or_b64 s[4:5], s[4:5], s[8:9]
	s_or_b64 exec, exec, s[6:7]
	s_and_saveexec_b64 s[6:7], s[4:5]
	s_cbranch_execnz .LBB10_323
	s_branch .LBB10_324
.LBB10_2373:
	s_movk_i32 s4, 0x80
	v_cmp_eq_u16_sdwa s[12:13], v12, s4 src0_sel:BYTE_0 src1_sel:DWORD
	s_mov_b64 s[4:5], -1
                                        ; implicit-def: $sgpr10
	s_and_saveexec_b64 s[8:9], s[12:13]
; %bb.2374:
	s_mov_b32 s10, 0x7f800001
	s_xor_b64 s[4:5], exec, -1
; %bb.2375:
	s_or_b64 exec, exec, s[8:9]
	s_and_b64 s[4:5], s[4:5], exec
	s_or_saveexec_b64 s[6:7], s[6:7]
	v_mov_b32_e32 v11, s10
	s_xor_b64 exec, exec, s[6:7]
	s_cbranch_execz .LBB10_326
.LBB10_2376:
	v_mov_b32_e32 v11, 0
	v_cmp_ne_u16_sdwa s[8:9], v12, v11 src0_sel:BYTE_0 src1_sel:DWORD
	s_andn2_b64 s[4:5], s[4:5], exec
	s_and_b64 s[8:9], s[8:9], exec
	s_or_b64 s[4:5], s[4:5], s[8:9]
	s_or_b64 exec, exec, s[6:7]
	s_and_saveexec_b64 s[6:7], s[4:5]
	s_cbranch_execnz .LBB10_327
	s_branch .LBB10_328
.LBB10_2377:
	s_movk_i32 s4, 0x80
	v_cmp_eq_u16_sdwa s[12:13], v11, s4 src0_sel:BYTE_0 src1_sel:DWORD
	s_mov_b64 s[4:5], -1
                                        ; implicit-def: $sgpr10
	s_and_saveexec_b64 s[8:9], s[12:13]
; %bb.2378:
	s_mov_b32 s10, 0x7f800001
	s_xor_b64 s[4:5], exec, -1
; %bb.2379:
	s_or_b64 exec, exec, s[8:9]
	s_and_b64 s[4:5], s[4:5], exec
	s_or_saveexec_b64 s[6:7], s[6:7]
	v_mov_b32_e32 v10, s10
	s_xor_b64 exec, exec, s[6:7]
	s_cbranch_execz .LBB10_330
.LBB10_2380:
	v_mov_b32_e32 v10, 0
	v_cmp_ne_u16_sdwa s[8:9], v11, v10 src0_sel:BYTE_0 src1_sel:DWORD
	s_andn2_b64 s[4:5], s[4:5], exec
	s_and_b64 s[8:9], s[8:9], exec
	s_or_b64 s[4:5], s[4:5], s[8:9]
	s_or_b64 exec, exec, s[6:7]
	s_and_saveexec_b64 s[6:7], s[4:5]
	s_cbranch_execnz .LBB10_331
	s_branch .LBB10_332
.LBB10_2381:
	s_movk_i32 s4, 0x80
	v_cmp_eq_u16_sdwa s[12:13], v11, s4 src0_sel:BYTE_0 src1_sel:DWORD
	s_mov_b64 s[4:5], -1
                                        ; implicit-def: $sgpr10
	s_and_saveexec_b64 s[8:9], s[12:13]
; %bb.2382:
	s_mov_b32 s10, 0x7f800001
	s_xor_b64 s[4:5], exec, -1
; %bb.2383:
	s_or_b64 exec, exec, s[8:9]
	s_and_b64 s[4:5], s[4:5], exec
	s_or_saveexec_b64 s[6:7], s[6:7]
	v_mov_b32_e32 v14, s10
	s_xor_b64 exec, exec, s[6:7]
	s_cbranch_execz .LBB10_334
.LBB10_2384:
	v_mov_b32_e32 v14, 0
	v_cmp_ne_u16_sdwa s[8:9], v11, v14 src0_sel:BYTE_0 src1_sel:DWORD
	s_andn2_b64 s[4:5], s[4:5], exec
	s_and_b64 s[8:9], s[8:9], exec
	s_or_b64 s[4:5], s[4:5], s[8:9]
	s_or_b64 exec, exec, s[6:7]
	s_and_saveexec_b64 s[6:7], s[4:5]
	s_cbranch_execnz .LBB10_335
	s_branch .LBB10_336
.LBB10_2385:
	s_movk_i32 s4, 0x80
	v_cmp_eq_u16_e32 vcc, s4, v11
	s_mov_b64 s[4:5], -1
                                        ; implicit-def: $sgpr10
	s_and_saveexec_b64 s[8:9], vcc
; %bb.2386:
	s_mov_b32 s10, 0x7f800001
	s_xor_b64 s[4:5], exec, -1
; %bb.2387:
	s_or_b64 exec, exec, s[8:9]
	s_and_b64 s[4:5], s[4:5], exec
                                        ; implicit-def: $vgpr11
	s_or_saveexec_b64 s[6:7], s[6:7]
	v_mov_b32_e32 v10, s10
	s_xor_b64 exec, exec, s[6:7]
	s_cbranch_execz .LBB10_338
.LBB10_2388:
	v_cmp_ne_u16_e32 vcc, 0, v11
	s_andn2_b64 s[4:5], s[4:5], exec
	s_and_b64 s[8:9], vcc, exec
	v_mov_b32_e32 v10, 0
	s_or_b64 s[4:5], s[4:5], s[8:9]
	s_or_b64 exec, exec, s[6:7]
	s_and_saveexec_b64 s[6:7], s[4:5]
	s_cbranch_execnz .LBB10_339
	s_branch .LBB10_340
.LBB10_2389:
	s_movk_i32 s4, 0x80
	v_cmp_eq_u16_e32 vcc, s4, v11
	s_mov_b64 s[4:5], -1
                                        ; implicit-def: $sgpr10
	s_and_saveexec_b64 s[8:9], vcc
; %bb.2390:
	s_mov_b32 s10, 0x7f800001
	s_xor_b64 s[4:5], exec, -1
; %bb.2391:
	s_or_b64 exec, exec, s[8:9]
	s_and_b64 s[4:5], s[4:5], exec
                                        ; implicit-def: $vgpr11
	s_or_saveexec_b64 s[6:7], s[6:7]
	v_mov_b32_e32 v14, s10
	s_xor_b64 exec, exec, s[6:7]
	s_cbranch_execz .LBB10_342
.LBB10_2392:
	v_cmp_ne_u16_e32 vcc, 0, v11
	s_andn2_b64 s[4:5], s[4:5], exec
	s_and_b64 s[8:9], vcc, exec
	v_mov_b32_e32 v14, 0
	s_or_b64 s[4:5], s[4:5], s[8:9]
	s_or_b64 exec, exec, s[6:7]
	s_and_saveexec_b64 s[6:7], s[4:5]
	s_cbranch_execnz .LBB10_343
	s_branch .LBB10_344
.LBB10_2393:
	s_movk_i32 s4, 0x80
	v_cmp_eq_u16_sdwa s[12:13], v16, s4 src0_sel:BYTE_3 src1_sel:DWORD
	s_mov_b64 s[4:5], -1
                                        ; implicit-def: $sgpr10
	s_and_saveexec_b64 s[8:9], s[12:13]
; %bb.2394:
	s_mov_b32 s10, 0x7f800001
	s_xor_b64 s[4:5], exec, -1
; %bb.2395:
	s_or_b64 exec, exec, s[8:9]
	s_and_b64 s[4:5], s[4:5], exec
	s_or_saveexec_b64 s[6:7], s[6:7]
	v_mov_b32_e32 v10, s10
	s_xor_b64 exec, exec, s[6:7]
	s_cbranch_execz .LBB10_346
.LBB10_2396:
	v_mov_b32_e32 v10, 0
	v_cmp_ne_u16_sdwa s[8:9], v16, v10 src0_sel:BYTE_3 src1_sel:DWORD
	s_andn2_b64 s[4:5], s[4:5], exec
	s_and_b64 s[8:9], s[8:9], exec
	s_or_b64 s[4:5], s[4:5], s[8:9]
	s_or_b64 exec, exec, s[6:7]
	s_and_saveexec_b64 s[6:7], s[4:5]
	s_cbranch_execnz .LBB10_347
	s_branch .LBB10_348
.LBB10_2397:
	s_movk_i32 s4, 0x80
	v_cmp_eq_u16_sdwa s[12:13], v12, s4 src0_sel:BYTE_3 src1_sel:DWORD
	s_mov_b64 s[4:5], -1
                                        ; implicit-def: $sgpr10
	s_and_saveexec_b64 s[8:9], s[12:13]
; %bb.2398:
	s_mov_b32 s10, 0x7f800001
	s_xor_b64 s[4:5], exec, -1
; %bb.2399:
	s_or_b64 exec, exec, s[8:9]
	s_and_b64 s[4:5], s[4:5], exec
	s_or_saveexec_b64 s[6:7], s[6:7]
	v_mov_b32_e32 v11, s10
	s_xor_b64 exec, exec, s[6:7]
	s_cbranch_execz .LBB10_350
.LBB10_2400:
	v_mov_b32_e32 v11, 0
	v_cmp_ne_u16_sdwa s[8:9], v12, v11 src0_sel:BYTE_3 src1_sel:DWORD
	s_andn2_b64 s[4:5], s[4:5], exec
	s_and_b64 s[8:9], s[8:9], exec
	s_or_b64 s[4:5], s[4:5], s[8:9]
	s_or_b64 exec, exec, s[6:7]
	s_and_saveexec_b64 s[6:7], s[4:5]
	s_cbranch_execnz .LBB10_351
	s_branch .LBB10_352
.LBB10_2401:
	s_movk_i32 s4, 0x80
	v_cmp_eq_u16_sdwa s[12:13], v17, s4 src0_sel:BYTE_0 src1_sel:DWORD
	s_mov_b64 s[4:5], -1
                                        ; implicit-def: $sgpr10
	s_and_saveexec_b64 s[8:9], s[12:13]
; %bb.2402:
	s_mov_b32 s10, 0x7f800001
	s_xor_b64 s[4:5], exec, -1
; %bb.2403:
	s_or_b64 exec, exec, s[8:9]
	s_and_b64 s[4:5], s[4:5], exec
	s_or_saveexec_b64 s[6:7], s[6:7]
	v_mov_b32_e32 v10, s10
	s_xor_b64 exec, exec, s[6:7]
	s_cbranch_execz .LBB10_354
.LBB10_2404:
	v_mov_b32_e32 v10, 0
	v_cmp_ne_u16_sdwa s[8:9], v17, v10 src0_sel:BYTE_0 src1_sel:DWORD
	s_andn2_b64 s[4:5], s[4:5], exec
	s_and_b64 s[8:9], s[8:9], exec
	s_or_b64 s[4:5], s[4:5], s[8:9]
	s_or_b64 exec, exec, s[6:7]
	s_and_saveexec_b64 s[6:7], s[4:5]
	s_cbranch_execnz .LBB10_355
	s_branch .LBB10_356
.LBB10_2405:
	s_movk_i32 s4, 0x80
	v_cmp_eq_u16_sdwa s[12:13], v13, s4 src0_sel:BYTE_0 src1_sel:DWORD
	s_mov_b64 s[4:5], -1
                                        ; implicit-def: $sgpr10
	s_and_saveexec_b64 s[8:9], s[12:13]
; %bb.2406:
	s_mov_b32 s10, 0x7f800001
	s_xor_b64 s[4:5], exec, -1
; %bb.2407:
	s_or_b64 exec, exec, s[8:9]
	s_and_b64 s[4:5], s[4:5], exec
	s_or_saveexec_b64 s[6:7], s[6:7]
	v_mov_b32_e32 v11, s10
	s_xor_b64 exec, exec, s[6:7]
	s_cbranch_execz .LBB10_358
.LBB10_2408:
	v_mov_b32_e32 v11, 0
	v_cmp_ne_u16_sdwa s[8:9], v13, v11 src0_sel:BYTE_0 src1_sel:DWORD
	s_andn2_b64 s[4:5], s[4:5], exec
	s_and_b64 s[8:9], s[8:9], exec
	s_or_b64 s[4:5], s[4:5], s[8:9]
	s_or_b64 exec, exec, s[6:7]
	s_and_saveexec_b64 s[6:7], s[4:5]
	s_cbranch_execnz .LBB10_359
	s_branch .LBB10_360
.LBB10_2409:
	s_movk_i32 s4, 0x80
	v_cmp_eq_u16_sdwa s[12:13], v11, s4 src0_sel:BYTE_0 src1_sel:DWORD
	s_mov_b64 s[4:5], -1
                                        ; implicit-def: $sgpr10
	s_and_saveexec_b64 s[8:9], s[12:13]
; %bb.2410:
	s_mov_b32 s10, 0x7f800001
	s_xor_b64 s[4:5], exec, -1
; %bb.2411:
	s_or_b64 exec, exec, s[8:9]
	s_and_b64 s[4:5], s[4:5], exec
	s_or_saveexec_b64 s[6:7], s[6:7]
	v_mov_b32_e32 v10, s10
	s_xor_b64 exec, exec, s[6:7]
	s_cbranch_execz .LBB10_362
.LBB10_2412:
	v_mov_b32_e32 v10, 0
	v_cmp_ne_u16_sdwa s[8:9], v11, v10 src0_sel:BYTE_0 src1_sel:DWORD
	s_andn2_b64 s[4:5], s[4:5], exec
	s_and_b64 s[8:9], s[8:9], exec
	s_or_b64 s[4:5], s[4:5], s[8:9]
	s_or_b64 exec, exec, s[6:7]
	s_and_saveexec_b64 s[6:7], s[4:5]
	s_cbranch_execnz .LBB10_363
	s_branch .LBB10_364
.LBB10_2413:
	s_movk_i32 s4, 0x80
	v_cmp_eq_u16_sdwa s[12:13], v11, s4 src0_sel:BYTE_0 src1_sel:DWORD
	s_mov_b64 s[4:5], -1
                                        ; implicit-def: $sgpr10
	s_and_saveexec_b64 s[8:9], s[12:13]
; %bb.2414:
	s_mov_b32 s10, 0x7f800001
	s_xor_b64 s[4:5], exec, -1
; %bb.2415:
	s_or_b64 exec, exec, s[8:9]
	s_and_b64 s[4:5], s[4:5], exec
	s_or_saveexec_b64 s[6:7], s[6:7]
	v_mov_b32_e32 v12, s10
	s_xor_b64 exec, exec, s[6:7]
	s_cbranch_execz .LBB10_366
.LBB10_2416:
	v_mov_b32_e32 v12, 0
	v_cmp_ne_u16_sdwa s[8:9], v11, v12 src0_sel:BYTE_0 src1_sel:DWORD
	s_andn2_b64 s[4:5], s[4:5], exec
	s_and_b64 s[8:9], s[8:9], exec
	s_or_b64 s[4:5], s[4:5], s[8:9]
	s_or_b64 exec, exec, s[6:7]
	s_and_saveexec_b64 s[6:7], s[4:5]
	s_cbranch_execnz .LBB10_367
	s_branch .LBB10_368
.LBB10_2417:
	s_movk_i32 s4, 0x80
	v_cmp_eq_u16_e32 vcc, s4, v11
	s_mov_b64 s[4:5], -1
                                        ; implicit-def: $sgpr10
	s_and_saveexec_b64 s[8:9], vcc
; %bb.2418:
	s_mov_b32 s10, 0x7f800001
	s_xor_b64 s[4:5], exec, -1
; %bb.2419:
	s_or_b64 exec, exec, s[8:9]
	s_and_b64 s[4:5], s[4:5], exec
                                        ; implicit-def: $vgpr11
	s_or_saveexec_b64 s[6:7], s[6:7]
	v_mov_b32_e32 v10, s10
	s_xor_b64 exec, exec, s[6:7]
	s_cbranch_execz .LBB10_370
.LBB10_2420:
	v_cmp_ne_u16_e32 vcc, 0, v11
	s_andn2_b64 s[4:5], s[4:5], exec
	s_and_b64 s[8:9], vcc, exec
	v_mov_b32_e32 v10, 0
	s_or_b64 s[4:5], s[4:5], s[8:9]
	s_or_b64 exec, exec, s[6:7]
	s_and_saveexec_b64 s[6:7], s[4:5]
	s_cbranch_execnz .LBB10_371
	s_branch .LBB10_372
.LBB10_2421:
	s_movk_i32 s4, 0x80
	v_cmp_eq_u16_e32 vcc, s4, v11
	s_mov_b64 s[4:5], -1
                                        ; implicit-def: $sgpr10
	s_and_saveexec_b64 s[8:9], vcc
; %bb.2422:
	s_mov_b32 s10, 0x7f800001
	s_xor_b64 s[4:5], exec, -1
; %bb.2423:
	s_or_b64 exec, exec, s[8:9]
	s_and_b64 s[4:5], s[4:5], exec
                                        ; implicit-def: $vgpr11
	s_or_saveexec_b64 s[6:7], s[6:7]
	v_mov_b32_e32 v12, s10
	s_xor_b64 exec, exec, s[6:7]
	s_cbranch_execz .LBB10_374
.LBB10_2424:
	v_cmp_ne_u16_e32 vcc, 0, v11
	s_andn2_b64 s[4:5], s[4:5], exec
	s_and_b64 s[8:9], vcc, exec
	v_mov_b32_e32 v12, 0
	s_or_b64 s[4:5], s[4:5], s[8:9]
	s_or_b64 exec, exec, s[6:7]
	s_and_saveexec_b64 s[6:7], s[4:5]
	s_cbranch_execnz .LBB10_375
	s_branch .LBB10_376
.LBB10_2425:
	s_movk_i32 s4, 0x80
	v_cmp_eq_u16_sdwa s[12:13], v17, s4 src0_sel:BYTE_3 src1_sel:DWORD
	s_mov_b64 s[4:5], -1
                                        ; implicit-def: $sgpr10
	s_and_saveexec_b64 s[8:9], s[12:13]
; %bb.2426:
	s_mov_b32 s10, 0x7f800001
	s_xor_b64 s[4:5], exec, -1
; %bb.2427:
	s_or_b64 exec, exec, s[8:9]
	s_and_b64 s[4:5], s[4:5], exec
	s_or_saveexec_b64 s[6:7], s[6:7]
	v_mov_b32_e32 v10, s10
	s_xor_b64 exec, exec, s[6:7]
	s_cbranch_execz .LBB10_378
.LBB10_2428:
	v_mov_b32_e32 v10, 0
	v_cmp_ne_u16_sdwa s[8:9], v17, v10 src0_sel:BYTE_3 src1_sel:DWORD
	s_andn2_b64 s[4:5], s[4:5], exec
	s_and_b64 s[8:9], s[8:9], exec
	s_or_b64 s[4:5], s[4:5], s[8:9]
	s_or_b64 exec, exec, s[6:7]
	s_and_saveexec_b64 s[6:7], s[4:5]
	s_cbranch_execnz .LBB10_379
	s_branch .LBB10_380
.LBB10_2429:
	s_movk_i32 s4, 0x80
	v_cmp_eq_u16_sdwa s[12:13], v13, s4 src0_sel:BYTE_3 src1_sel:DWORD
	s_mov_b64 s[4:5], -1
                                        ; implicit-def: $sgpr10
	s_and_saveexec_b64 s[8:9], s[12:13]
; %bb.2430:
	s_mov_b32 s10, 0x7f800001
	s_xor_b64 s[4:5], exec, -1
; %bb.2431:
	s_or_b64 exec, exec, s[8:9]
	s_and_b64 s[4:5], s[4:5], exec
	s_or_saveexec_b64 s[6:7], s[6:7]
	v_mov_b32_e32 v11, s10
	s_xor_b64 exec, exec, s[6:7]
	s_cbranch_execz .LBB10_382
.LBB10_2432:
	v_mov_b32_e32 v11, 0
	v_cmp_ne_u16_sdwa s[8:9], v13, v11 src0_sel:BYTE_3 src1_sel:DWORD
	s_andn2_b64 s[4:5], s[4:5], exec
	s_and_b64 s[8:9], s[8:9], exec
	s_or_b64 s[4:5], s[4:5], s[8:9]
	s_or_b64 exec, exec, s[6:7]
	s_and_saveexec_b64 s[6:7], s[4:5]
	s_cbranch_execnz .LBB10_383
	s_branch .LBB10_384
.LBB10_2433:
	s_movk_i32 s4, 0x80
	v_cmp_eq_u16_sdwa s[12:13], v6, s4 src0_sel:BYTE_0 src1_sel:DWORD
	s_mov_b64 s[4:5], -1
                                        ; implicit-def: $sgpr10
	s_and_saveexec_b64 s[8:9], s[12:13]
; %bb.2434:
	s_mov_b32 s10, 0x7f800001
	s_xor_b64 s[4:5], exec, -1
; %bb.2435:
	s_or_b64 exec, exec, s[8:9]
	s_and_b64 s[4:5], s[4:5], exec
	s_or_saveexec_b64 s[6:7], s[6:7]
	v_mov_b32_e32 v10, s10
	s_xor_b64 exec, exec, s[6:7]
	s_cbranch_execz .LBB10_386
.LBB10_2436:
	v_mov_b32_e32 v10, 0
	v_cmp_ne_u16_sdwa s[8:9], v6, v10 src0_sel:BYTE_0 src1_sel:DWORD
	s_andn2_b64 s[4:5], s[4:5], exec
	s_and_b64 s[8:9], s[8:9], exec
	s_or_b64 s[4:5], s[4:5], s[8:9]
	s_or_b64 exec, exec, s[6:7]
	s_and_saveexec_b64 s[6:7], s[4:5]
	s_cbranch_execnz .LBB10_387
	s_branch .LBB10_388
.LBB10_2437:
	s_movk_i32 s4, 0x80
	v_cmp_eq_u16_sdwa s[12:13], v2, s4 src0_sel:BYTE_0 src1_sel:DWORD
	s_mov_b64 s[4:5], -1
                                        ; implicit-def: $sgpr10
	s_and_saveexec_b64 s[8:9], s[12:13]
; %bb.2438:
	s_mov_b32 s10, 0x7f800001
	s_xor_b64 s[4:5], exec, -1
; %bb.2439:
	s_or_b64 exec, exec, s[8:9]
	s_and_b64 s[4:5], s[4:5], exec
	s_or_saveexec_b64 s[6:7], s[6:7]
	v_mov_b32_e32 v11, s10
	s_xor_b64 exec, exec, s[6:7]
	s_cbranch_execz .LBB10_390
.LBB10_2440:
	v_mov_b32_e32 v11, 0
	v_cmp_ne_u16_sdwa s[8:9], v2, v11 src0_sel:BYTE_0 src1_sel:DWORD
	s_andn2_b64 s[4:5], s[4:5], exec
	s_and_b64 s[8:9], s[8:9], exec
	s_or_b64 s[4:5], s[4:5], s[8:9]
	s_or_b64 exec, exec, s[6:7]
	s_and_saveexec_b64 s[6:7], s[4:5]
	s_cbranch_execnz .LBB10_391
	s_branch .LBB10_392
.LBB10_2441:
	s_movk_i32 s4, 0x80
	v_cmp_eq_u16_sdwa s[12:13], v11, s4 src0_sel:BYTE_0 src1_sel:DWORD
	s_mov_b64 s[4:5], -1
                                        ; implicit-def: $sgpr10
	s_and_saveexec_b64 s[8:9], s[12:13]
; %bb.2442:
	s_mov_b32 s10, 0x7f800001
	s_xor_b64 s[4:5], exec, -1
; %bb.2443:
	s_or_b64 exec, exec, s[8:9]
	s_and_b64 s[4:5], s[4:5], exec
	s_or_saveexec_b64 s[6:7], s[6:7]
	v_mov_b32_e32 v10, s10
	s_xor_b64 exec, exec, s[6:7]
	s_cbranch_execz .LBB10_394
.LBB10_2444:
	v_mov_b32_e32 v10, 0
	v_cmp_ne_u16_sdwa s[8:9], v11, v10 src0_sel:BYTE_0 src1_sel:DWORD
	s_andn2_b64 s[4:5], s[4:5], exec
	s_and_b64 s[8:9], s[8:9], exec
	s_or_b64 s[4:5], s[4:5], s[8:9]
	s_or_b64 exec, exec, s[6:7]
	s_and_saveexec_b64 s[6:7], s[4:5]
	s_cbranch_execnz .LBB10_395
	s_branch .LBB10_396
.LBB10_2445:
	s_movk_i32 s4, 0x80
	v_cmp_eq_u16_sdwa s[12:13], v11, s4 src0_sel:BYTE_0 src1_sel:DWORD
	s_mov_b64 s[4:5], -1
                                        ; implicit-def: $sgpr10
	s_and_saveexec_b64 s[8:9], s[12:13]
; %bb.2446:
	s_mov_b32 s10, 0x7f800001
	s_xor_b64 s[4:5], exec, -1
; %bb.2447:
	s_or_b64 exec, exec, s[8:9]
	s_and_b64 s[4:5], s[4:5], exec
	s_or_saveexec_b64 s[6:7], s[6:7]
	v_mov_b32_e32 v12, s10
	s_xor_b64 exec, exec, s[6:7]
	s_cbranch_execz .LBB10_398
.LBB10_2448:
	v_mov_b32_e32 v12, 0
	v_cmp_ne_u16_sdwa s[8:9], v11, v12 src0_sel:BYTE_0 src1_sel:DWORD
	s_andn2_b64 s[4:5], s[4:5], exec
	s_and_b64 s[8:9], s[8:9], exec
	s_or_b64 s[4:5], s[4:5], s[8:9]
	s_or_b64 exec, exec, s[6:7]
	s_and_saveexec_b64 s[6:7], s[4:5]
	s_cbranch_execnz .LBB10_399
	s_branch .LBB10_400
.LBB10_2449:
	s_movk_i32 s4, 0x80
	v_cmp_eq_u16_e32 vcc, s4, v11
	s_mov_b64 s[4:5], -1
                                        ; implicit-def: $sgpr10
	s_and_saveexec_b64 s[8:9], vcc
; %bb.2450:
	s_mov_b32 s10, 0x7f800001
	s_xor_b64 s[4:5], exec, -1
; %bb.2451:
	s_or_b64 exec, exec, s[8:9]
	s_and_b64 s[4:5], s[4:5], exec
                                        ; implicit-def: $vgpr11
	s_or_saveexec_b64 s[6:7], s[6:7]
	v_mov_b32_e32 v10, s10
	s_xor_b64 exec, exec, s[6:7]
	s_cbranch_execz .LBB10_402
.LBB10_2452:
	v_cmp_ne_u16_e32 vcc, 0, v11
	s_andn2_b64 s[4:5], s[4:5], exec
	s_and_b64 s[8:9], vcc, exec
	v_mov_b32_e32 v10, 0
	s_or_b64 s[4:5], s[4:5], s[8:9]
	s_or_b64 exec, exec, s[6:7]
	s_and_saveexec_b64 s[6:7], s[4:5]
	s_cbranch_execnz .LBB10_403
	s_branch .LBB10_404
.LBB10_2453:
	s_movk_i32 s4, 0x80
	v_cmp_eq_u16_e32 vcc, s4, v11
	s_mov_b64 s[4:5], -1
                                        ; implicit-def: $sgpr10
	s_and_saveexec_b64 s[8:9], vcc
; %bb.2454:
	s_mov_b32 s10, 0x7f800001
	s_xor_b64 s[4:5], exec, -1
; %bb.2455:
	s_or_b64 exec, exec, s[8:9]
	s_and_b64 s[4:5], s[4:5], exec
                                        ; implicit-def: $vgpr11
	s_or_saveexec_b64 s[6:7], s[6:7]
	v_mov_b32_e32 v12, s10
	s_xor_b64 exec, exec, s[6:7]
	s_cbranch_execz .LBB10_406
.LBB10_2456:
	v_cmp_ne_u16_e32 vcc, 0, v11
	s_andn2_b64 s[4:5], s[4:5], exec
	s_and_b64 s[8:9], vcc, exec
	v_mov_b32_e32 v12, 0
	s_or_b64 s[4:5], s[4:5], s[8:9]
	s_or_b64 exec, exec, s[6:7]
	s_and_saveexec_b64 s[6:7], s[4:5]
	s_cbranch_execnz .LBB10_407
	s_branch .LBB10_408
.LBB10_2457:
	s_movk_i32 s4, 0x80
	v_cmp_eq_u16_sdwa s[12:13], v6, s4 src0_sel:BYTE_3 src1_sel:DWORD
	s_mov_b64 s[4:5], -1
                                        ; implicit-def: $sgpr10
	s_and_saveexec_b64 s[8:9], s[12:13]
; %bb.2458:
	s_mov_b32 s10, 0x7f800001
	s_xor_b64 s[4:5], exec, -1
; %bb.2459:
	s_or_b64 exec, exec, s[8:9]
	s_and_b64 s[4:5], s[4:5], exec
	s_or_saveexec_b64 s[6:7], s[6:7]
	v_mov_b32_e32 v10, s10
	s_xor_b64 exec, exec, s[6:7]
	s_cbranch_execz .LBB10_410
.LBB10_2460:
	v_mov_b32_e32 v10, 0
	v_cmp_ne_u16_sdwa s[8:9], v6, v10 src0_sel:BYTE_3 src1_sel:DWORD
	s_andn2_b64 s[4:5], s[4:5], exec
	s_and_b64 s[8:9], s[8:9], exec
	s_or_b64 s[4:5], s[4:5], s[8:9]
	s_or_b64 exec, exec, s[6:7]
	s_and_saveexec_b64 s[6:7], s[4:5]
	s_cbranch_execnz .LBB10_411
	s_branch .LBB10_412
.LBB10_2461:
	s_movk_i32 s4, 0x80
	v_cmp_eq_u16_sdwa s[12:13], v2, s4 src0_sel:BYTE_3 src1_sel:DWORD
	s_mov_b64 s[4:5], -1
                                        ; implicit-def: $sgpr10
	s_and_saveexec_b64 s[8:9], s[12:13]
; %bb.2462:
	s_mov_b32 s10, 0x7f800001
	s_xor_b64 s[4:5], exec, -1
; %bb.2463:
	s_or_b64 exec, exec, s[8:9]
	s_and_b64 s[4:5], s[4:5], exec
	s_or_saveexec_b64 s[6:7], s[6:7]
	v_mov_b32_e32 v6, s10
	s_xor_b64 exec, exec, s[6:7]
	s_cbranch_execz .LBB10_414
.LBB10_2464:
	v_mov_b32_e32 v6, 0
	v_cmp_ne_u16_sdwa s[8:9], v2, v6 src0_sel:BYTE_3 src1_sel:DWORD
	s_andn2_b64 s[4:5], s[4:5], exec
	s_and_b64 s[8:9], s[8:9], exec
	s_or_b64 s[4:5], s[4:5], s[8:9]
	s_or_b64 exec, exec, s[6:7]
	s_and_saveexec_b64 s[6:7], s[4:5]
	s_cbranch_execnz .LBB10_415
	s_branch .LBB10_416
.LBB10_2465:
	s_movk_i32 s4, 0x80
	v_cmp_eq_u16_sdwa s[12:13], v7, s4 src0_sel:BYTE_0 src1_sel:DWORD
	s_mov_b64 s[4:5], -1
                                        ; implicit-def: $sgpr10
	s_and_saveexec_b64 s[8:9], s[12:13]
; %bb.2466:
	s_mov_b32 s10, 0x7f800001
	s_xor_b64 s[4:5], exec, -1
; %bb.2467:
	s_or_b64 exec, exec, s[8:9]
	s_and_b64 s[4:5], s[4:5], exec
	s_or_saveexec_b64 s[6:7], s[6:7]
	v_mov_b32_e32 v2, s10
	s_xor_b64 exec, exec, s[6:7]
	s_cbranch_execz .LBB10_418
.LBB10_2468:
	v_mov_b32_e32 v2, 0
	v_cmp_ne_u16_sdwa s[8:9], v7, v2 src0_sel:BYTE_0 src1_sel:DWORD
	s_andn2_b64 s[4:5], s[4:5], exec
	s_and_b64 s[8:9], s[8:9], exec
	s_or_b64 s[4:5], s[4:5], s[8:9]
	s_or_b64 exec, exec, s[6:7]
	s_and_saveexec_b64 s[6:7], s[4:5]
	s_cbranch_execnz .LBB10_419
	s_branch .LBB10_420
.LBB10_2469:
	s_movk_i32 s4, 0x80
	v_cmp_eq_u16_sdwa s[12:13], v3, s4 src0_sel:BYTE_0 src1_sel:DWORD
	s_mov_b64 s[4:5], -1
                                        ; implicit-def: $sgpr10
	s_and_saveexec_b64 s[8:9], s[12:13]
; %bb.2470:
	s_mov_b32 s10, 0x7f800001
	s_xor_b64 s[4:5], exec, -1
; %bb.2471:
	s_or_b64 exec, exec, s[8:9]
	s_and_b64 s[4:5], s[4:5], exec
	s_or_saveexec_b64 s[6:7], s[6:7]
	v_mov_b32_e32 v6, s10
	s_xor_b64 exec, exec, s[6:7]
	s_cbranch_execz .LBB10_422
.LBB10_2472:
	v_mov_b32_e32 v6, 0
	v_cmp_ne_u16_sdwa s[8:9], v3, v6 src0_sel:BYTE_0 src1_sel:DWORD
	s_andn2_b64 s[4:5], s[4:5], exec
	s_and_b64 s[8:9], s[8:9], exec
	s_or_b64 s[4:5], s[4:5], s[8:9]
	s_or_b64 exec, exec, s[6:7]
	s_and_saveexec_b64 s[6:7], s[4:5]
	s_cbranch_execnz .LBB10_423
	s_branch .LBB10_424
.LBB10_2473:
	s_movk_i32 s4, 0x80
	v_cmp_eq_u16_sdwa s[12:13], v6, s4 src0_sel:BYTE_0 src1_sel:DWORD
	s_mov_b64 s[4:5], -1
                                        ; implicit-def: $sgpr10
	s_and_saveexec_b64 s[8:9], s[12:13]
; %bb.2474:
	s_mov_b32 s10, 0x7f800001
	s_xor_b64 s[4:5], exec, -1
; %bb.2475:
	s_or_b64 exec, exec, s[8:9]
	s_and_b64 s[4:5], s[4:5], exec
	s_or_saveexec_b64 s[6:7], s[6:7]
	v_mov_b32_e32 v2, s10
	s_xor_b64 exec, exec, s[6:7]
	s_cbranch_execz .LBB10_426
.LBB10_2476:
	v_mov_b32_e32 v2, 0
	v_cmp_ne_u16_sdwa s[8:9], v6, v2 src0_sel:BYTE_0 src1_sel:DWORD
	s_andn2_b64 s[4:5], s[4:5], exec
	s_and_b64 s[8:9], s[8:9], exec
	s_or_b64 s[4:5], s[4:5], s[8:9]
	s_or_b64 exec, exec, s[6:7]
	s_and_saveexec_b64 s[6:7], s[4:5]
	s_cbranch_execnz .LBB10_427
	s_branch .LBB10_428
.LBB10_2477:
	s_movk_i32 s4, 0x80
	v_cmp_eq_u16_sdwa s[12:13], v6, s4 src0_sel:BYTE_0 src1_sel:DWORD
	s_mov_b64 s[4:5], -1
                                        ; implicit-def: $sgpr10
	s_and_saveexec_b64 s[8:9], s[12:13]
; %bb.2478:
	s_mov_b32 s10, 0x7f800001
	s_xor_b64 s[4:5], exec, -1
; %bb.2479:
	s_or_b64 exec, exec, s[8:9]
	s_and_b64 s[4:5], s[4:5], exec
	s_or_saveexec_b64 s[6:7], s[6:7]
	v_mov_b32_e32 v10, s10
	s_xor_b64 exec, exec, s[6:7]
	s_cbranch_execz .LBB10_430
.LBB10_2480:
	v_mov_b32_e32 v10, 0
	v_cmp_ne_u16_sdwa s[8:9], v6, v10 src0_sel:BYTE_0 src1_sel:DWORD
	s_andn2_b64 s[4:5], s[4:5], exec
	s_and_b64 s[8:9], s[8:9], exec
	s_or_b64 s[4:5], s[4:5], s[8:9]
	s_or_b64 exec, exec, s[6:7]
	s_and_saveexec_b64 s[6:7], s[4:5]
	s_cbranch_execnz .LBB10_431
	s_branch .LBB10_432
.LBB10_2481:
	s_movk_i32 s4, 0x80
	v_cmp_eq_u16_e32 vcc, s4, v6
	s_mov_b64 s[4:5], -1
                                        ; implicit-def: $sgpr10
	s_and_saveexec_b64 s[8:9], vcc
; %bb.2482:
	s_mov_b32 s10, 0x7f800001
	s_xor_b64 s[4:5], exec, -1
; %bb.2483:
	s_or_b64 exec, exec, s[8:9]
	s_and_b64 s[4:5], s[4:5], exec
                                        ; implicit-def: $vgpr6
	s_or_saveexec_b64 s[6:7], s[6:7]
	v_mov_b32_e32 v2, s10
	s_xor_b64 exec, exec, s[6:7]
	s_cbranch_execz .LBB10_434
.LBB10_2484:
	v_cmp_ne_u16_e32 vcc, 0, v6
	s_andn2_b64 s[4:5], s[4:5], exec
	s_and_b64 s[8:9], vcc, exec
	v_mov_b32_e32 v2, 0
	s_or_b64 s[4:5], s[4:5], s[8:9]
	s_or_b64 exec, exec, s[6:7]
	s_and_saveexec_b64 s[6:7], s[4:5]
	s_cbranch_execnz .LBB10_435
	s_branch .LBB10_436
.LBB10_2485:
	s_movk_i32 s4, 0x80
	v_cmp_eq_u16_e32 vcc, s4, v6
	s_mov_b64 s[4:5], -1
                                        ; implicit-def: $sgpr10
	s_and_saveexec_b64 s[8:9], vcc
; %bb.2486:
	s_mov_b32 s10, 0x7f800001
	s_xor_b64 s[4:5], exec, -1
; %bb.2487:
	s_or_b64 exec, exec, s[8:9]
	s_and_b64 s[4:5], s[4:5], exec
                                        ; implicit-def: $vgpr6
	s_or_saveexec_b64 s[6:7], s[6:7]
	v_mov_b32_e32 v10, s10
	s_xor_b64 exec, exec, s[6:7]
	s_cbranch_execz .LBB10_438
.LBB10_2488:
	v_cmp_ne_u16_e32 vcc, 0, v6
	s_andn2_b64 s[4:5], s[4:5], exec
	s_and_b64 s[8:9], vcc, exec
	v_mov_b32_e32 v10, 0
	s_or_b64 s[4:5], s[4:5], s[8:9]
	s_or_b64 exec, exec, s[6:7]
	s_and_saveexec_b64 s[6:7], s[4:5]
	s_cbranch_execnz .LBB10_439
	s_branch .LBB10_440
.LBB10_2489:
	s_movk_i32 s4, 0x80
	v_cmp_eq_u16_sdwa s[12:13], v7, s4 src0_sel:BYTE_3 src1_sel:DWORD
	s_mov_b64 s[4:5], -1
                                        ; implicit-def: $sgpr10
	s_and_saveexec_b64 s[8:9], s[12:13]
; %bb.2490:
	s_mov_b32 s10, 0x7f800001
	s_xor_b64 s[4:5], exec, -1
; %bb.2491:
	s_or_b64 exec, exec, s[8:9]
	s_and_b64 s[4:5], s[4:5], exec
	s_or_saveexec_b64 s[6:7], s[6:7]
	v_mov_b32_e32 v2, s10
	s_xor_b64 exec, exec, s[6:7]
	s_cbranch_execz .LBB10_442
.LBB10_2492:
	v_mov_b32_e32 v2, 0
	v_cmp_ne_u16_sdwa s[8:9], v7, v2 src0_sel:BYTE_3 src1_sel:DWORD
	s_andn2_b64 s[4:5], s[4:5], exec
	s_and_b64 s[8:9], s[8:9], exec
	s_or_b64 s[4:5], s[4:5], s[8:9]
	s_or_b64 exec, exec, s[6:7]
	s_and_saveexec_b64 s[6:7], s[4:5]
	s_cbranch_execnz .LBB10_443
	s_branch .LBB10_444
.LBB10_2493:
	s_movk_i32 s4, 0x80
	v_cmp_eq_u16_sdwa s[12:13], v3, s4 src0_sel:BYTE_3 src1_sel:DWORD
	s_mov_b64 s[4:5], -1
                                        ; implicit-def: $sgpr10
	s_and_saveexec_b64 s[8:9], s[12:13]
; %bb.2494:
	s_mov_b32 s10, 0x7f800001
	s_xor_b64 s[4:5], exec, -1
; %bb.2495:
	s_or_b64 exec, exec, s[8:9]
	s_and_b64 s[4:5], s[4:5], exec
	s_or_saveexec_b64 s[6:7], s[6:7]
	v_mov_b32_e32 v6, s10
	s_xor_b64 exec, exec, s[6:7]
	s_cbranch_execz .LBB10_446
.LBB10_2496:
	v_mov_b32_e32 v6, 0
	v_cmp_ne_u16_sdwa s[8:9], v3, v6 src0_sel:BYTE_3 src1_sel:DWORD
	s_andn2_b64 s[4:5], s[4:5], exec
	s_and_b64 s[8:9], s[8:9], exec
	s_or_b64 s[4:5], s[4:5], s[8:9]
	s_or_b64 exec, exec, s[6:7]
	s_and_saveexec_b64 s[6:7], s[4:5]
	s_cbranch_execnz .LBB10_447
	s_branch .LBB10_448
.LBB10_2497:
	s_movk_i32 s4, 0x80
	v_cmp_eq_u16_sdwa s[12:13], v8, s4 src0_sel:BYTE_0 src1_sel:DWORD
	s_mov_b64 s[4:5], -1
                                        ; implicit-def: $sgpr10
	s_and_saveexec_b64 s[8:9], s[12:13]
; %bb.2498:
	s_mov_b32 s10, 0x7f800001
	s_xor_b64 s[4:5], exec, -1
; %bb.2499:
	s_or_b64 exec, exec, s[8:9]
	s_and_b64 s[4:5], s[4:5], exec
	s_or_saveexec_b64 s[6:7], s[6:7]
	v_mov_b32_e32 v2, s10
	s_xor_b64 exec, exec, s[6:7]
	s_cbranch_execz .LBB10_450
.LBB10_2500:
	v_mov_b32_e32 v2, 0
	v_cmp_ne_u16_sdwa s[8:9], v8, v2 src0_sel:BYTE_0 src1_sel:DWORD
	s_andn2_b64 s[4:5], s[4:5], exec
	s_and_b64 s[8:9], s[8:9], exec
	s_or_b64 s[4:5], s[4:5], s[8:9]
	s_or_b64 exec, exec, s[6:7]
	s_and_saveexec_b64 s[6:7], s[4:5]
	s_cbranch_execnz .LBB10_451
	s_branch .LBB10_452
.LBB10_2501:
	s_movk_i32 s4, 0x80
	v_cmp_eq_u16_sdwa s[12:13], v4, s4 src0_sel:BYTE_0 src1_sel:DWORD
	s_mov_b64 s[4:5], -1
                                        ; implicit-def: $sgpr10
	s_and_saveexec_b64 s[8:9], s[12:13]
; %bb.2502:
	s_mov_b32 s10, 0x7f800001
	s_xor_b64 s[4:5], exec, -1
; %bb.2503:
	s_or_b64 exec, exec, s[8:9]
	s_and_b64 s[4:5], s[4:5], exec
	s_or_saveexec_b64 s[6:7], s[6:7]
	v_mov_b32_e32 v3, s10
	s_xor_b64 exec, exec, s[6:7]
	s_cbranch_execz .LBB10_454
.LBB10_2504:
	v_mov_b32_e32 v3, 0
	v_cmp_ne_u16_sdwa s[8:9], v4, v3 src0_sel:BYTE_0 src1_sel:DWORD
	s_andn2_b64 s[4:5], s[4:5], exec
	s_and_b64 s[8:9], s[8:9], exec
	s_or_b64 s[4:5], s[4:5], s[8:9]
	s_or_b64 exec, exec, s[6:7]
	s_and_saveexec_b64 s[6:7], s[4:5]
	s_cbranch_execnz .LBB10_455
	s_branch .LBB10_456
.LBB10_2505:
	s_movk_i32 s4, 0x80
	v_cmp_eq_u16_sdwa s[12:13], v3, s4 src0_sel:BYTE_0 src1_sel:DWORD
	s_mov_b64 s[4:5], -1
                                        ; implicit-def: $sgpr10
	s_and_saveexec_b64 s[8:9], s[12:13]
; %bb.2506:
	s_mov_b32 s10, 0x7f800001
	s_xor_b64 s[4:5], exec, -1
; %bb.2507:
	s_or_b64 exec, exec, s[8:9]
	s_and_b64 s[4:5], s[4:5], exec
	s_or_saveexec_b64 s[6:7], s[6:7]
	v_mov_b32_e32 v2, s10
	s_xor_b64 exec, exec, s[6:7]
	s_cbranch_execz .LBB10_458
.LBB10_2508:
	v_mov_b32_e32 v2, 0
	v_cmp_ne_u16_sdwa s[8:9], v3, v2 src0_sel:BYTE_0 src1_sel:DWORD
	s_andn2_b64 s[4:5], s[4:5], exec
	s_and_b64 s[8:9], s[8:9], exec
	s_or_b64 s[4:5], s[4:5], s[8:9]
	s_or_b64 exec, exec, s[6:7]
	s_and_saveexec_b64 s[6:7], s[4:5]
	s_cbranch_execnz .LBB10_459
	s_branch .LBB10_460
.LBB10_2509:
	s_movk_i32 s4, 0x80
	v_cmp_eq_u16_sdwa s[12:13], v3, s4 src0_sel:BYTE_0 src1_sel:DWORD
	s_mov_b64 s[4:5], -1
                                        ; implicit-def: $sgpr10
	s_and_saveexec_b64 s[8:9], s[12:13]
; %bb.2510:
	s_mov_b32 s10, 0x7f800001
	s_xor_b64 s[4:5], exec, -1
; %bb.2511:
	s_or_b64 exec, exec, s[8:9]
	s_and_b64 s[4:5], s[4:5], exec
	s_or_saveexec_b64 s[6:7], s[6:7]
	v_mov_b32_e32 v6, s10
	s_xor_b64 exec, exec, s[6:7]
	s_cbranch_execz .LBB10_462
.LBB10_2512:
	v_mov_b32_e32 v6, 0
	v_cmp_ne_u16_sdwa s[8:9], v3, v6 src0_sel:BYTE_0 src1_sel:DWORD
	s_andn2_b64 s[4:5], s[4:5], exec
	s_and_b64 s[8:9], s[8:9], exec
	s_or_b64 s[4:5], s[4:5], s[8:9]
	s_or_b64 exec, exec, s[6:7]
	s_and_saveexec_b64 s[6:7], s[4:5]
	s_cbranch_execnz .LBB10_463
	s_branch .LBB10_464
.LBB10_2513:
	s_movk_i32 s4, 0x80
	v_cmp_eq_u16_e32 vcc, s4, v3
	s_mov_b64 s[4:5], -1
                                        ; implicit-def: $sgpr10
	s_and_saveexec_b64 s[8:9], vcc
; %bb.2514:
	s_mov_b32 s10, 0x7f800001
	s_xor_b64 s[4:5], exec, -1
; %bb.2515:
	s_or_b64 exec, exec, s[8:9]
	s_and_b64 s[4:5], s[4:5], exec
                                        ; implicit-def: $vgpr3
	s_or_saveexec_b64 s[6:7], s[6:7]
	v_mov_b32_e32 v2, s10
	s_xor_b64 exec, exec, s[6:7]
	s_cbranch_execz .LBB10_466
.LBB10_2516:
	v_cmp_ne_u16_e32 vcc, 0, v3
	s_andn2_b64 s[4:5], s[4:5], exec
	s_and_b64 s[8:9], vcc, exec
	v_mov_b32_e32 v2, 0
	s_or_b64 s[4:5], s[4:5], s[8:9]
	s_or_b64 exec, exec, s[6:7]
	s_and_saveexec_b64 s[6:7], s[4:5]
	s_cbranch_execnz .LBB10_467
	s_branch .LBB10_468
.LBB10_2517:
	s_movk_i32 s4, 0x80
	v_cmp_eq_u16_e32 vcc, s4, v3
	s_mov_b64 s[4:5], -1
                                        ; implicit-def: $sgpr10
	s_and_saveexec_b64 s[8:9], vcc
; %bb.2518:
	s_mov_b32 s10, 0x7f800001
	s_xor_b64 s[4:5], exec, -1
; %bb.2519:
	s_or_b64 exec, exec, s[8:9]
	s_and_b64 s[4:5], s[4:5], exec
                                        ; implicit-def: $vgpr3
	s_or_saveexec_b64 s[6:7], s[6:7]
	v_mov_b32_e32 v6, s10
	s_xor_b64 exec, exec, s[6:7]
	s_cbranch_execz .LBB10_470
.LBB10_2520:
	v_cmp_ne_u16_e32 vcc, 0, v3
	s_andn2_b64 s[4:5], s[4:5], exec
	s_and_b64 s[8:9], vcc, exec
	v_mov_b32_e32 v6, 0
	s_or_b64 s[4:5], s[4:5], s[8:9]
	s_or_b64 exec, exec, s[6:7]
	s_and_saveexec_b64 s[6:7], s[4:5]
	s_cbranch_execnz .LBB10_471
	s_branch .LBB10_472
.LBB10_2521:
	s_movk_i32 s4, 0x80
	v_cmp_eq_u16_sdwa s[12:13], v8, s4 src0_sel:BYTE_3 src1_sel:DWORD
	s_mov_b64 s[4:5], -1
                                        ; implicit-def: $sgpr10
	s_and_saveexec_b64 s[8:9], s[12:13]
; %bb.2522:
	s_mov_b32 s10, 0x7f800001
	s_xor_b64 s[4:5], exec, -1
; %bb.2523:
	s_or_b64 exec, exec, s[8:9]
	s_and_b64 s[4:5], s[4:5], exec
	s_or_saveexec_b64 s[6:7], s[6:7]
	v_mov_b32_e32 v2, s10
	s_xor_b64 exec, exec, s[6:7]
	s_cbranch_execz .LBB10_474
.LBB10_2524:
	v_mov_b32_e32 v2, 0
	v_cmp_ne_u16_sdwa s[8:9], v8, v2 src0_sel:BYTE_3 src1_sel:DWORD
	s_andn2_b64 s[4:5], s[4:5], exec
	s_and_b64 s[8:9], s[8:9], exec
	s_or_b64 s[4:5], s[4:5], s[8:9]
	s_or_b64 exec, exec, s[6:7]
	s_and_saveexec_b64 s[6:7], s[4:5]
	s_cbranch_execnz .LBB10_475
	s_branch .LBB10_476
.LBB10_2525:
	s_movk_i32 s4, 0x80
	v_cmp_eq_u16_sdwa s[12:13], v4, s4 src0_sel:BYTE_3 src1_sel:DWORD
	s_mov_b64 s[4:5], -1
                                        ; implicit-def: $sgpr10
	s_and_saveexec_b64 s[8:9], s[12:13]
; %bb.2526:
	s_mov_b32 s10, 0x7f800001
	s_xor_b64 s[4:5], exec, -1
; %bb.2527:
	s_or_b64 exec, exec, s[8:9]
	s_and_b64 s[4:5], s[4:5], exec
	s_or_saveexec_b64 s[6:7], s[6:7]
	v_mov_b32_e32 v3, s10
	s_xor_b64 exec, exec, s[6:7]
	s_cbranch_execz .LBB10_478
.LBB10_2528:
	v_mov_b32_e32 v3, 0
	v_cmp_ne_u16_sdwa s[8:9], v4, v3 src0_sel:BYTE_3 src1_sel:DWORD
	s_andn2_b64 s[4:5], s[4:5], exec
	s_and_b64 s[8:9], s[8:9], exec
	s_or_b64 s[4:5], s[4:5], s[8:9]
	s_or_b64 exec, exec, s[6:7]
	s_and_saveexec_b64 s[6:7], s[4:5]
	s_cbranch_execnz .LBB10_479
	s_branch .LBB10_480
.LBB10_2529:
	s_movk_i32 s4, 0x80
	v_cmp_eq_u16_sdwa s[12:13], v9, s4 src0_sel:BYTE_0 src1_sel:DWORD
	s_mov_b64 s[4:5], -1
                                        ; implicit-def: $sgpr10
	s_and_saveexec_b64 s[8:9], s[12:13]
; %bb.2530:
	s_mov_b32 s10, 0x7f800001
	s_xor_b64 s[4:5], exec, -1
; %bb.2531:
	s_or_b64 exec, exec, s[8:9]
	s_and_b64 s[4:5], s[4:5], exec
	s_or_saveexec_b64 s[6:7], s[6:7]
	v_mov_b32_e32 v2, s10
	s_xor_b64 exec, exec, s[6:7]
	s_cbranch_execz .LBB10_482
.LBB10_2532:
	v_mov_b32_e32 v2, 0
	v_cmp_ne_u16_sdwa s[8:9], v9, v2 src0_sel:BYTE_0 src1_sel:DWORD
	s_andn2_b64 s[4:5], s[4:5], exec
	s_and_b64 s[8:9], s[8:9], exec
	s_or_b64 s[4:5], s[4:5], s[8:9]
	s_or_b64 exec, exec, s[6:7]
	s_and_saveexec_b64 s[6:7], s[4:5]
	s_cbranch_execnz .LBB10_483
	s_branch .LBB10_484
.LBB10_2533:
	s_movk_i32 s4, 0x80
	v_cmp_eq_u16_sdwa s[12:13], v5, s4 src0_sel:BYTE_0 src1_sel:DWORD
	s_mov_b64 s[4:5], -1
                                        ; implicit-def: $sgpr10
	s_and_saveexec_b64 s[8:9], s[12:13]
; %bb.2534:
	s_mov_b32 s10, 0x7f800001
	s_xor_b64 s[4:5], exec, -1
; %bb.2535:
	s_or_b64 exec, exec, s[8:9]
	s_and_b64 s[4:5], s[4:5], exec
	s_or_saveexec_b64 s[6:7], s[6:7]
	v_mov_b32_e32 v3, s10
	s_xor_b64 exec, exec, s[6:7]
	s_cbranch_execz .LBB10_486
.LBB10_2536:
	v_mov_b32_e32 v3, 0
	v_cmp_ne_u16_sdwa s[8:9], v5, v3 src0_sel:BYTE_0 src1_sel:DWORD
	s_andn2_b64 s[4:5], s[4:5], exec
	s_and_b64 s[8:9], s[8:9], exec
	s_or_b64 s[4:5], s[4:5], s[8:9]
	s_or_b64 exec, exec, s[6:7]
	s_and_saveexec_b64 s[6:7], s[4:5]
	s_cbranch_execnz .LBB10_487
	s_branch .LBB10_488
.LBB10_2537:
	s_movk_i32 s4, 0x80
	v_cmp_eq_u16_sdwa s[12:13], v3, s4 src0_sel:BYTE_0 src1_sel:DWORD
	s_mov_b64 s[4:5], -1
                                        ; implicit-def: $sgpr10
	s_and_saveexec_b64 s[8:9], s[12:13]
; %bb.2538:
	s_mov_b32 s10, 0x7f800001
	s_xor_b64 s[4:5], exec, -1
; %bb.2539:
	s_or_b64 exec, exec, s[8:9]
	s_and_b64 s[4:5], s[4:5], exec
	s_or_saveexec_b64 s[6:7], s[6:7]
	v_mov_b32_e32 v2, s10
	s_xor_b64 exec, exec, s[6:7]
	s_cbranch_execz .LBB10_490
.LBB10_2540:
	v_mov_b32_e32 v2, 0
	v_cmp_ne_u16_sdwa s[8:9], v3, v2 src0_sel:BYTE_0 src1_sel:DWORD
	s_andn2_b64 s[4:5], s[4:5], exec
	s_and_b64 s[8:9], s[8:9], exec
	s_or_b64 s[4:5], s[4:5], s[8:9]
	s_or_b64 exec, exec, s[6:7]
	s_and_saveexec_b64 s[6:7], s[4:5]
	s_cbranch_execnz .LBB10_491
	s_branch .LBB10_492
.LBB10_2541:
	s_movk_i32 s4, 0x80
	v_cmp_eq_u16_sdwa s[12:13], v3, s4 src0_sel:BYTE_0 src1_sel:DWORD
	s_mov_b64 s[4:5], -1
                                        ; implicit-def: $sgpr10
	s_and_saveexec_b64 s[8:9], s[12:13]
; %bb.2542:
	s_mov_b32 s10, 0x7f800001
	s_xor_b64 s[4:5], exec, -1
; %bb.2543:
	s_or_b64 exec, exec, s[8:9]
	s_and_b64 s[4:5], s[4:5], exec
	s_or_saveexec_b64 s[6:7], s[6:7]
	v_mov_b32_e32 v4, s10
	s_xor_b64 exec, exec, s[6:7]
	s_cbranch_execz .LBB10_494
.LBB10_2544:
	v_mov_b32_e32 v4, 0
	v_cmp_ne_u16_sdwa s[8:9], v3, v4 src0_sel:BYTE_0 src1_sel:DWORD
	s_andn2_b64 s[4:5], s[4:5], exec
	s_and_b64 s[8:9], s[8:9], exec
	s_or_b64 s[4:5], s[4:5], s[8:9]
	s_or_b64 exec, exec, s[6:7]
	s_and_saveexec_b64 s[6:7], s[4:5]
	s_cbranch_execnz .LBB10_495
	s_branch .LBB10_496
.LBB10_2545:
	s_movk_i32 s4, 0x80
	v_cmp_eq_u16_e32 vcc, s4, v3
	s_mov_b64 s[4:5], -1
                                        ; implicit-def: $sgpr10
	s_and_saveexec_b64 s[8:9], vcc
; %bb.2546:
	s_mov_b32 s10, 0x7f800001
	s_xor_b64 s[4:5], exec, -1
; %bb.2547:
	s_or_b64 exec, exec, s[8:9]
	s_and_b64 s[4:5], s[4:5], exec
                                        ; implicit-def: $vgpr3
	s_or_saveexec_b64 s[6:7], s[6:7]
	v_mov_b32_e32 v2, s10
	s_xor_b64 exec, exec, s[6:7]
	s_cbranch_execz .LBB10_498
.LBB10_2548:
	v_cmp_ne_u16_e32 vcc, 0, v3
	s_andn2_b64 s[4:5], s[4:5], exec
	s_and_b64 s[8:9], vcc, exec
	v_mov_b32_e32 v2, 0
	s_or_b64 s[4:5], s[4:5], s[8:9]
	s_or_b64 exec, exec, s[6:7]
	s_and_saveexec_b64 s[6:7], s[4:5]
	s_cbranch_execnz .LBB10_499
	s_branch .LBB10_500
.LBB10_2549:
	s_movk_i32 s4, 0x80
	v_cmp_eq_u16_e32 vcc, s4, v3
	s_mov_b64 s[4:5], -1
                                        ; implicit-def: $sgpr10
	s_and_saveexec_b64 s[8:9], vcc
; %bb.2550:
	s_mov_b32 s10, 0x7f800001
	s_xor_b64 s[4:5], exec, -1
; %bb.2551:
	s_or_b64 exec, exec, s[8:9]
	s_and_b64 s[4:5], s[4:5], exec
                                        ; implicit-def: $vgpr3
	s_or_saveexec_b64 s[6:7], s[6:7]
	v_mov_b32_e32 v4, s10
	s_xor_b64 exec, exec, s[6:7]
	s_cbranch_execz .LBB10_502
.LBB10_2552:
	v_cmp_ne_u16_e32 vcc, 0, v3
	s_andn2_b64 s[4:5], s[4:5], exec
	s_and_b64 s[8:9], vcc, exec
	v_mov_b32_e32 v4, 0
	s_or_b64 s[4:5], s[4:5], s[8:9]
	s_or_b64 exec, exec, s[6:7]
	s_and_saveexec_b64 s[6:7], s[4:5]
	s_cbranch_execnz .LBB10_503
	s_branch .LBB10_504
.LBB10_2553:
	s_movk_i32 s4, 0x80
	v_cmp_eq_u16_sdwa s[12:13], v9, s4 src0_sel:BYTE_3 src1_sel:DWORD
	s_mov_b64 s[4:5], -1
                                        ; implicit-def: $sgpr10
	s_and_saveexec_b64 s[8:9], s[12:13]
; %bb.2554:
	s_mov_b32 s10, 0x7f800001
	s_xor_b64 s[4:5], exec, -1
; %bb.2555:
	s_or_b64 exec, exec, s[8:9]
	s_and_b64 s[4:5], s[4:5], exec
	s_or_saveexec_b64 s[6:7], s[6:7]
	v_mov_b32_e32 v2, s10
	s_xor_b64 exec, exec, s[6:7]
	s_cbranch_execz .LBB10_506
.LBB10_2556:
	v_mov_b32_e32 v2, 0
	v_cmp_ne_u16_sdwa s[8:9], v9, v2 src0_sel:BYTE_3 src1_sel:DWORD
	s_andn2_b64 s[4:5], s[4:5], exec
	s_and_b64 s[8:9], s[8:9], exec
	s_or_b64 s[4:5], s[4:5], s[8:9]
	s_or_b64 exec, exec, s[6:7]
	s_and_saveexec_b64 s[6:7], s[4:5]
	s_cbranch_execnz .LBB10_507
	s_branch .LBB10_508
.LBB10_2557:
	s_movk_i32 s4, 0x80
	v_cmp_eq_u16_sdwa s[12:13], v5, s4 src0_sel:BYTE_3 src1_sel:DWORD
	s_mov_b64 s[4:5], -1
                                        ; implicit-def: $sgpr10
	s_and_saveexec_b64 s[8:9], s[12:13]
; %bb.2558:
	s_mov_b32 s10, 0x7f800001
	s_xor_b64 s[4:5], exec, -1
; %bb.2559:
	s_or_b64 exec, exec, s[8:9]
	s_and_b64 s[4:5], s[4:5], exec
	s_or_saveexec_b64 s[6:7], s[6:7]
	v_mov_b32_e32 v3, s10
	s_xor_b64 exec, exec, s[6:7]
	s_cbranch_execz .LBB10_510
.LBB10_2560:
	v_mov_b32_e32 v3, 0
	v_cmp_ne_u16_sdwa s[8:9], v5, v3 src0_sel:BYTE_3 src1_sel:DWORD
	s_andn2_b64 s[4:5], s[4:5], exec
	s_and_b64 s[8:9], s[8:9], exec
	s_or_b64 s[4:5], s[4:5], s[8:9]
	s_or_b64 exec, exec, s[6:7]
	s_and_saveexec_b64 s[6:7], s[4:5]
	s_cbranch_execnz .LBB10_511
	s_branch .LBB10_512
.LBB10_2561:
	s_movk_i32 s4, 0x80
	v_cmp_eq_u16_sdwa s[12:13], v14, s4 src0_sel:BYTE_0 src1_sel:DWORD
	s_mov_b64 s[4:5], -1
                                        ; implicit-def: $sgpr10
	s_and_saveexec_b64 s[8:9], s[12:13]
; %bb.2562:
	s_mov_b32 s10, 0x7f800001
	s_xor_b64 s[4:5], exec, -1
; %bb.2563:
	s_or_b64 exec, exec, s[8:9]
	s_and_b64 s[4:5], s[4:5], exec
	s_or_saveexec_b64 s[6:7], s[6:7]
	v_mov_b32_e32 v20, s10
	s_xor_b64 exec, exec, s[6:7]
	s_cbranch_execz .LBB10_514
.LBB10_2564:
	v_mov_b32_e32 v20, 0
	v_cmp_ne_u16_sdwa s[8:9], v14, v20 src0_sel:BYTE_0 src1_sel:DWORD
	s_andn2_b64 s[4:5], s[4:5], exec
	s_and_b64 s[8:9], s[8:9], exec
	s_or_b64 s[4:5], s[4:5], s[8:9]
	s_or_b64 exec, exec, s[6:7]
	s_and_saveexec_b64 s[6:7], s[4:5]
	s_cbranch_execnz .LBB10_515
	s_branch .LBB10_516
.LBB10_2565:
	s_movk_i32 s4, 0x80
	v_cmp_eq_u16_sdwa s[12:13], v10, s4 src0_sel:BYTE_0 src1_sel:DWORD
	s_mov_b64 s[4:5], -1
                                        ; implicit-def: $sgpr10
	s_and_saveexec_b64 s[8:9], s[12:13]
; %bb.2566:
	s_mov_b32 s10, 0x7f800001
	s_xor_b64 s[4:5], exec, -1
; %bb.2567:
	s_or_b64 exec, exec, s[8:9]
	s_and_b64 s[4:5], s[4:5], exec
	s_or_saveexec_b64 s[6:7], s[6:7]
	v_mov_b32_e32 v21, s10
	s_xor_b64 exec, exec, s[6:7]
	s_cbranch_execz .LBB10_518
.LBB10_2568:
	v_mov_b32_e32 v21, 0
	v_cmp_ne_u16_sdwa s[8:9], v10, v21 src0_sel:BYTE_0 src1_sel:DWORD
	s_andn2_b64 s[4:5], s[4:5], exec
	s_and_b64 s[8:9], s[8:9], exec
	s_or_b64 s[4:5], s[4:5], s[8:9]
	s_or_b64 exec, exec, s[6:7]
	s_and_saveexec_b64 s[6:7], s[4:5]
	s_cbranch_execnz .LBB10_519
	s_branch .LBB10_520
.LBB10_2569:
	s_movk_i32 s4, 0x80
	v_cmp_eq_u16_sdwa s[12:13], v21, s4 src0_sel:BYTE_0 src1_sel:DWORD
	s_mov_b64 s[4:5], -1
                                        ; implicit-def: $sgpr10
	s_and_saveexec_b64 s[8:9], s[12:13]
; %bb.2570:
	s_mov_b32 s10, 0x7f800001
	s_xor_b64 s[4:5], exec, -1
; %bb.2571:
	s_or_b64 exec, exec, s[8:9]
	s_and_b64 s[4:5], s[4:5], exec
	s_or_saveexec_b64 s[6:7], s[6:7]
	v_mov_b32_e32 v20, s10
	s_xor_b64 exec, exec, s[6:7]
	s_cbranch_execz .LBB10_522
.LBB10_2572:
	v_mov_b32_e32 v20, 0
	v_cmp_ne_u16_sdwa s[8:9], v21, v20 src0_sel:BYTE_0 src1_sel:DWORD
	s_andn2_b64 s[4:5], s[4:5], exec
	s_and_b64 s[8:9], s[8:9], exec
	s_or_b64 s[4:5], s[4:5], s[8:9]
	s_or_b64 exec, exec, s[6:7]
	s_and_saveexec_b64 s[6:7], s[4:5]
	s_cbranch_execnz .LBB10_523
	s_branch .LBB10_524
.LBB10_2573:
	s_movk_i32 s4, 0x80
	v_cmp_eq_u16_sdwa s[12:13], v21, s4 src0_sel:BYTE_0 src1_sel:DWORD
	s_mov_b64 s[4:5], -1
                                        ; implicit-def: $sgpr10
	s_and_saveexec_b64 s[8:9], s[12:13]
; %bb.2574:
	s_mov_b32 s10, 0x7f800001
	s_xor_b64 s[4:5], exec, -1
; %bb.2575:
	s_or_b64 exec, exec, s[8:9]
	s_and_b64 s[4:5], s[4:5], exec
	s_or_saveexec_b64 s[6:7], s[6:7]
	v_mov_b32_e32 v22, s10
	s_xor_b64 exec, exec, s[6:7]
	s_cbranch_execz .LBB10_526
.LBB10_2576:
	v_mov_b32_e32 v22, 0
	v_cmp_ne_u16_sdwa s[8:9], v21, v22 src0_sel:BYTE_0 src1_sel:DWORD
	s_andn2_b64 s[4:5], s[4:5], exec
	s_and_b64 s[8:9], s[8:9], exec
	s_or_b64 s[4:5], s[4:5], s[8:9]
	s_or_b64 exec, exec, s[6:7]
	s_and_saveexec_b64 s[6:7], s[4:5]
	s_cbranch_execnz .LBB10_527
	s_branch .LBB10_528
.LBB10_2577:
	s_movk_i32 s4, 0x80
	v_cmp_eq_u16_e32 vcc, s4, v21
	s_mov_b64 s[4:5], -1
                                        ; implicit-def: $sgpr10
	s_and_saveexec_b64 s[8:9], vcc
; %bb.2578:
	s_mov_b32 s10, 0x7f800001
	s_xor_b64 s[4:5], exec, -1
; %bb.2579:
	s_or_b64 exec, exec, s[8:9]
	s_and_b64 s[4:5], s[4:5], exec
                                        ; implicit-def: $vgpr21
	s_or_saveexec_b64 s[6:7], s[6:7]
	v_mov_b32_e32 v20, s10
	s_xor_b64 exec, exec, s[6:7]
	s_cbranch_execz .LBB10_530
.LBB10_2580:
	v_cmp_ne_u16_e32 vcc, 0, v21
	s_andn2_b64 s[4:5], s[4:5], exec
	s_and_b64 s[8:9], vcc, exec
	v_mov_b32_e32 v20, 0
	s_or_b64 s[4:5], s[4:5], s[8:9]
	s_or_b64 exec, exec, s[6:7]
	s_and_saveexec_b64 s[6:7], s[4:5]
	s_cbranch_execnz .LBB10_531
	s_branch .LBB10_532
.LBB10_2581:
	s_movk_i32 s4, 0x80
	v_cmp_eq_u16_e32 vcc, s4, v21
	s_mov_b64 s[4:5], -1
                                        ; implicit-def: $sgpr10
	s_and_saveexec_b64 s[8:9], vcc
; %bb.2582:
	s_mov_b32 s10, 0x7f800001
	s_xor_b64 s[4:5], exec, -1
; %bb.2583:
	s_or_b64 exec, exec, s[8:9]
	s_and_b64 s[4:5], s[4:5], exec
                                        ; implicit-def: $vgpr21
	s_or_saveexec_b64 s[6:7], s[6:7]
	v_mov_b32_e32 v22, s10
	s_xor_b64 exec, exec, s[6:7]
	s_cbranch_execz .LBB10_534
.LBB10_2584:
	v_cmp_ne_u16_e32 vcc, 0, v21
	s_andn2_b64 s[4:5], s[4:5], exec
	s_and_b64 s[8:9], vcc, exec
	v_mov_b32_e32 v22, 0
	s_or_b64 s[4:5], s[4:5], s[8:9]
	s_or_b64 exec, exec, s[6:7]
	s_and_saveexec_b64 s[6:7], s[4:5]
	s_cbranch_execnz .LBB10_535
	s_branch .LBB10_536
.LBB10_2585:
	s_movk_i32 s4, 0x80
	v_cmp_eq_u16_sdwa s[12:13], v14, s4 src0_sel:BYTE_3 src1_sel:DWORD
	s_mov_b64 s[4:5], -1
                                        ; implicit-def: $sgpr10
	s_and_saveexec_b64 s[8:9], s[12:13]
; %bb.2586:
	s_mov_b32 s10, 0x7f800001
	s_xor_b64 s[4:5], exec, -1
; %bb.2587:
	s_or_b64 exec, exec, s[8:9]
	s_and_b64 s[4:5], s[4:5], exec
	s_or_saveexec_b64 s[6:7], s[6:7]
	v_mov_b32_e32 v20, s10
	s_xor_b64 exec, exec, s[6:7]
	s_cbranch_execz .LBB10_538
.LBB10_2588:
	v_mov_b32_e32 v20, 0
	v_cmp_ne_u16_sdwa s[8:9], v14, v20 src0_sel:BYTE_3 src1_sel:DWORD
	s_andn2_b64 s[4:5], s[4:5], exec
	s_and_b64 s[8:9], s[8:9], exec
	s_or_b64 s[4:5], s[4:5], s[8:9]
	s_or_b64 exec, exec, s[6:7]
	s_and_saveexec_b64 s[6:7], s[4:5]
	s_cbranch_execnz .LBB10_539
	s_branch .LBB10_540
.LBB10_2589:
	s_movk_i32 s4, 0x80
	v_cmp_eq_u16_sdwa s[12:13], v10, s4 src0_sel:BYTE_3 src1_sel:DWORD
	s_mov_b64 s[4:5], -1
                                        ; implicit-def: $sgpr10
	s_and_saveexec_b64 s[8:9], s[12:13]
; %bb.2590:
	s_mov_b32 s10, 0x7f800001
	s_xor_b64 s[4:5], exec, -1
; %bb.2591:
	s_or_b64 exec, exec, s[8:9]
	s_and_b64 s[4:5], s[4:5], exec
	s_or_saveexec_b64 s[6:7], s[6:7]
	v_mov_b32_e32 v14, s10
	s_xor_b64 exec, exec, s[6:7]
	s_cbranch_execz .LBB10_542
.LBB10_2592:
	v_mov_b32_e32 v14, 0
	v_cmp_ne_u16_sdwa s[8:9], v10, v14 src0_sel:BYTE_3 src1_sel:DWORD
	s_andn2_b64 s[4:5], s[4:5], exec
	s_and_b64 s[8:9], s[8:9], exec
	s_or_b64 s[4:5], s[4:5], s[8:9]
	s_or_b64 exec, exec, s[6:7]
	s_and_saveexec_b64 s[6:7], s[4:5]
	s_cbranch_execnz .LBB10_543
	s_branch .LBB10_544
.LBB10_2593:
	s_movk_i32 s4, 0x80
	v_cmp_eq_u16_sdwa s[12:13], v15, s4 src0_sel:BYTE_0 src1_sel:DWORD
	s_mov_b64 s[4:5], -1
                                        ; implicit-def: $sgpr10
	s_and_saveexec_b64 s[8:9], s[12:13]
; %bb.2594:
	s_mov_b32 s10, 0x7f800001
	s_xor_b64 s[4:5], exec, -1
; %bb.2595:
	s_or_b64 exec, exec, s[8:9]
	s_and_b64 s[4:5], s[4:5], exec
	s_or_saveexec_b64 s[6:7], s[6:7]
	v_mov_b32_e32 v10, s10
	s_xor_b64 exec, exec, s[6:7]
	s_cbranch_execz .LBB10_546
.LBB10_2596:
	v_mov_b32_e32 v10, 0
	v_cmp_ne_u16_sdwa s[8:9], v15, v10 src0_sel:BYTE_0 src1_sel:DWORD
	s_andn2_b64 s[4:5], s[4:5], exec
	s_and_b64 s[8:9], s[8:9], exec
	s_or_b64 s[4:5], s[4:5], s[8:9]
	s_or_b64 exec, exec, s[6:7]
	s_and_saveexec_b64 s[6:7], s[4:5]
	s_cbranch_execnz .LBB10_547
	s_branch .LBB10_548
.LBB10_2597:
	s_movk_i32 s4, 0x80
	v_cmp_eq_u16_sdwa s[12:13], v11, s4 src0_sel:BYTE_0 src1_sel:DWORD
	s_mov_b64 s[4:5], -1
                                        ; implicit-def: $sgpr10
	s_and_saveexec_b64 s[8:9], s[12:13]
; %bb.2598:
	s_mov_b32 s10, 0x7f800001
	s_xor_b64 s[4:5], exec, -1
; %bb.2599:
	s_or_b64 exec, exec, s[8:9]
	s_and_b64 s[4:5], s[4:5], exec
	s_or_saveexec_b64 s[6:7], s[6:7]
	v_mov_b32_e32 v14, s10
	s_xor_b64 exec, exec, s[6:7]
	s_cbranch_execz .LBB10_550
.LBB10_2600:
	v_mov_b32_e32 v14, 0
	v_cmp_ne_u16_sdwa s[8:9], v11, v14 src0_sel:BYTE_0 src1_sel:DWORD
	s_andn2_b64 s[4:5], s[4:5], exec
	s_and_b64 s[8:9], s[8:9], exec
	s_or_b64 s[4:5], s[4:5], s[8:9]
	s_or_b64 exec, exec, s[6:7]
	s_and_saveexec_b64 s[6:7], s[4:5]
	s_cbranch_execnz .LBB10_551
	s_branch .LBB10_552
.LBB10_2601:
	s_movk_i32 s4, 0x80
	v_cmp_eq_u16_sdwa s[12:13], v14, s4 src0_sel:BYTE_0 src1_sel:DWORD
	s_mov_b64 s[4:5], -1
                                        ; implicit-def: $sgpr10
	s_and_saveexec_b64 s[8:9], s[12:13]
; %bb.2602:
	s_mov_b32 s10, 0x7f800001
	s_xor_b64 s[4:5], exec, -1
; %bb.2603:
	s_or_b64 exec, exec, s[8:9]
	s_and_b64 s[4:5], s[4:5], exec
	s_or_saveexec_b64 s[6:7], s[6:7]
	v_mov_b32_e32 v10, s10
	s_xor_b64 exec, exec, s[6:7]
	s_cbranch_execz .LBB10_554
.LBB10_2604:
	v_mov_b32_e32 v10, 0
	v_cmp_ne_u16_sdwa s[8:9], v14, v10 src0_sel:BYTE_0 src1_sel:DWORD
	s_andn2_b64 s[4:5], s[4:5], exec
	s_and_b64 s[8:9], s[8:9], exec
	s_or_b64 s[4:5], s[4:5], s[8:9]
	s_or_b64 exec, exec, s[6:7]
	s_and_saveexec_b64 s[6:7], s[4:5]
	s_cbranch_execnz .LBB10_555
	s_branch .LBB10_556
.LBB10_2605:
	s_movk_i32 s4, 0x80
	v_cmp_eq_u16_sdwa s[12:13], v14, s4 src0_sel:BYTE_0 src1_sel:DWORD
	s_mov_b64 s[4:5], -1
                                        ; implicit-def: $sgpr10
	s_and_saveexec_b64 s[8:9], s[12:13]
; %bb.2606:
	s_mov_b32 s10, 0x7f800001
	s_xor_b64 s[4:5], exec, -1
; %bb.2607:
	s_or_b64 exec, exec, s[8:9]
	s_and_b64 s[4:5], s[4:5], exec
	s_or_saveexec_b64 s[6:7], s[6:7]
	v_mov_b32_e32 v20, s10
	s_xor_b64 exec, exec, s[6:7]
	s_cbranch_execz .LBB10_558
.LBB10_2608:
	v_mov_b32_e32 v20, 0
	v_cmp_ne_u16_sdwa s[8:9], v14, v20 src0_sel:BYTE_0 src1_sel:DWORD
	s_andn2_b64 s[4:5], s[4:5], exec
	s_and_b64 s[8:9], s[8:9], exec
	s_or_b64 s[4:5], s[4:5], s[8:9]
	s_or_b64 exec, exec, s[6:7]
	s_and_saveexec_b64 s[6:7], s[4:5]
	s_cbranch_execnz .LBB10_559
	s_branch .LBB10_560
.LBB10_2609:
	s_movk_i32 s4, 0x80
	v_cmp_eq_u16_e32 vcc, s4, v14
	s_mov_b64 s[4:5], -1
                                        ; implicit-def: $sgpr10
	s_and_saveexec_b64 s[8:9], vcc
; %bb.2610:
	s_mov_b32 s10, 0x7f800001
	s_xor_b64 s[4:5], exec, -1
; %bb.2611:
	s_or_b64 exec, exec, s[8:9]
	s_and_b64 s[4:5], s[4:5], exec
                                        ; implicit-def: $vgpr14
	s_or_saveexec_b64 s[6:7], s[6:7]
	v_mov_b32_e32 v10, s10
	s_xor_b64 exec, exec, s[6:7]
	s_cbranch_execz .LBB10_562
.LBB10_2612:
	v_cmp_ne_u16_e32 vcc, 0, v14
	s_andn2_b64 s[4:5], s[4:5], exec
	s_and_b64 s[8:9], vcc, exec
	v_mov_b32_e32 v10, 0
	s_or_b64 s[4:5], s[4:5], s[8:9]
	s_or_b64 exec, exec, s[6:7]
	s_and_saveexec_b64 s[6:7], s[4:5]
	s_cbranch_execnz .LBB10_563
	s_branch .LBB10_564
.LBB10_2613:
	s_movk_i32 s4, 0x80
	v_cmp_eq_u16_e32 vcc, s4, v14
	s_mov_b64 s[4:5], -1
                                        ; implicit-def: $sgpr10
	s_and_saveexec_b64 s[8:9], vcc
; %bb.2614:
	s_mov_b32 s10, 0x7f800001
	s_xor_b64 s[4:5], exec, -1
; %bb.2615:
	s_or_b64 exec, exec, s[8:9]
	s_and_b64 s[4:5], s[4:5], exec
                                        ; implicit-def: $vgpr14
	s_or_saveexec_b64 s[6:7], s[6:7]
	v_mov_b32_e32 v20, s10
	s_xor_b64 exec, exec, s[6:7]
	s_cbranch_execz .LBB10_566
.LBB10_2616:
	v_cmp_ne_u16_e32 vcc, 0, v14
	s_andn2_b64 s[4:5], s[4:5], exec
	s_and_b64 s[8:9], vcc, exec
	v_mov_b32_e32 v20, 0
	s_or_b64 s[4:5], s[4:5], s[8:9]
	s_or_b64 exec, exec, s[6:7]
	s_and_saveexec_b64 s[6:7], s[4:5]
	s_cbranch_execnz .LBB10_567
	s_branch .LBB10_568
.LBB10_2617:
	s_movk_i32 s4, 0x80
	v_cmp_eq_u16_sdwa s[12:13], v15, s4 src0_sel:BYTE_3 src1_sel:DWORD
	s_mov_b64 s[4:5], -1
                                        ; implicit-def: $sgpr10
	s_and_saveexec_b64 s[8:9], s[12:13]
; %bb.2618:
	s_mov_b32 s10, 0x7f800001
	s_xor_b64 s[4:5], exec, -1
; %bb.2619:
	s_or_b64 exec, exec, s[8:9]
	s_and_b64 s[4:5], s[4:5], exec
	s_or_saveexec_b64 s[6:7], s[6:7]
	v_mov_b32_e32 v10, s10
	s_xor_b64 exec, exec, s[6:7]
	s_cbranch_execz .LBB10_570
.LBB10_2620:
	v_mov_b32_e32 v10, 0
	v_cmp_ne_u16_sdwa s[8:9], v15, v10 src0_sel:BYTE_3 src1_sel:DWORD
	s_andn2_b64 s[4:5], s[4:5], exec
	s_and_b64 s[8:9], s[8:9], exec
	s_or_b64 s[4:5], s[4:5], s[8:9]
	s_or_b64 exec, exec, s[6:7]
	s_and_saveexec_b64 s[6:7], s[4:5]
	s_cbranch_execnz .LBB10_571
	s_branch .LBB10_572
.LBB10_2621:
	s_movk_i32 s4, 0x80
	v_cmp_eq_u16_sdwa s[12:13], v11, s4 src0_sel:BYTE_3 src1_sel:DWORD
	s_mov_b64 s[4:5], -1
                                        ; implicit-def: $sgpr10
	s_and_saveexec_b64 s[8:9], s[12:13]
; %bb.2622:
	s_mov_b32 s10, 0x7f800001
	s_xor_b64 s[4:5], exec, -1
; %bb.2623:
	s_or_b64 exec, exec, s[8:9]
	s_and_b64 s[4:5], s[4:5], exec
	s_or_saveexec_b64 s[6:7], s[6:7]
	v_mov_b32_e32 v14, s10
	s_xor_b64 exec, exec, s[6:7]
	s_cbranch_execz .LBB10_574
.LBB10_2624:
	v_mov_b32_e32 v14, 0
	v_cmp_ne_u16_sdwa s[8:9], v11, v14 src0_sel:BYTE_3 src1_sel:DWORD
	s_andn2_b64 s[4:5], s[4:5], exec
	s_and_b64 s[8:9], s[8:9], exec
	s_or_b64 s[4:5], s[4:5], s[8:9]
	s_or_b64 exec, exec, s[6:7]
	s_and_saveexec_b64 s[6:7], s[4:5]
	s_cbranch_execnz .LBB10_575
	s_branch .LBB10_576
.LBB10_2625:
	s_movk_i32 s4, 0x80
	v_cmp_eq_u16_sdwa s[12:13], v16, s4 src0_sel:BYTE_0 src1_sel:DWORD
	s_mov_b64 s[4:5], -1
                                        ; implicit-def: $sgpr10
	s_and_saveexec_b64 s[8:9], s[12:13]
; %bb.2626:
	s_mov_b32 s10, 0x7f800001
	s_xor_b64 s[4:5], exec, -1
; %bb.2627:
	s_or_b64 exec, exec, s[8:9]
	s_and_b64 s[4:5], s[4:5], exec
	s_or_saveexec_b64 s[6:7], s[6:7]
	v_mov_b32_e32 v10, s10
	s_xor_b64 exec, exec, s[6:7]
	s_cbranch_execz .LBB10_578
.LBB10_2628:
	v_mov_b32_e32 v10, 0
	v_cmp_ne_u16_sdwa s[8:9], v16, v10 src0_sel:BYTE_0 src1_sel:DWORD
	s_andn2_b64 s[4:5], s[4:5], exec
	s_and_b64 s[8:9], s[8:9], exec
	s_or_b64 s[4:5], s[4:5], s[8:9]
	s_or_b64 exec, exec, s[6:7]
	s_and_saveexec_b64 s[6:7], s[4:5]
	s_cbranch_execnz .LBB10_579
	s_branch .LBB10_580
.LBB10_2629:
	s_movk_i32 s4, 0x80
	v_cmp_eq_u16_sdwa s[12:13], v12, s4 src0_sel:BYTE_0 src1_sel:DWORD
	s_mov_b64 s[4:5], -1
                                        ; implicit-def: $sgpr10
	s_and_saveexec_b64 s[8:9], s[12:13]
; %bb.2630:
	s_mov_b32 s10, 0x7f800001
	s_xor_b64 s[4:5], exec, -1
; %bb.2631:
	s_or_b64 exec, exec, s[8:9]
	s_and_b64 s[4:5], s[4:5], exec
	s_or_saveexec_b64 s[6:7], s[6:7]
	v_mov_b32_e32 v11, s10
	s_xor_b64 exec, exec, s[6:7]
	s_cbranch_execz .LBB10_582
.LBB10_2632:
	v_mov_b32_e32 v11, 0
	v_cmp_ne_u16_sdwa s[8:9], v12, v11 src0_sel:BYTE_0 src1_sel:DWORD
	s_andn2_b64 s[4:5], s[4:5], exec
	s_and_b64 s[8:9], s[8:9], exec
	s_or_b64 s[4:5], s[4:5], s[8:9]
	s_or_b64 exec, exec, s[6:7]
	s_and_saveexec_b64 s[6:7], s[4:5]
	s_cbranch_execnz .LBB10_583
	s_branch .LBB10_584
.LBB10_2633:
	s_movk_i32 s4, 0x80
	v_cmp_eq_u16_sdwa s[12:13], v11, s4 src0_sel:BYTE_0 src1_sel:DWORD
	s_mov_b64 s[4:5], -1
                                        ; implicit-def: $sgpr10
	s_and_saveexec_b64 s[8:9], s[12:13]
; %bb.2634:
	s_mov_b32 s10, 0x7f800001
	s_xor_b64 s[4:5], exec, -1
; %bb.2635:
	s_or_b64 exec, exec, s[8:9]
	s_and_b64 s[4:5], s[4:5], exec
	s_or_saveexec_b64 s[6:7], s[6:7]
	v_mov_b32_e32 v10, s10
	s_xor_b64 exec, exec, s[6:7]
	s_cbranch_execz .LBB10_586
.LBB10_2636:
	v_mov_b32_e32 v10, 0
	v_cmp_ne_u16_sdwa s[8:9], v11, v10 src0_sel:BYTE_0 src1_sel:DWORD
	s_andn2_b64 s[4:5], s[4:5], exec
	s_and_b64 s[8:9], s[8:9], exec
	s_or_b64 s[4:5], s[4:5], s[8:9]
	s_or_b64 exec, exec, s[6:7]
	s_and_saveexec_b64 s[6:7], s[4:5]
	s_cbranch_execnz .LBB10_587
	s_branch .LBB10_588
.LBB10_2637:
	s_movk_i32 s4, 0x80
	v_cmp_eq_u16_sdwa s[12:13], v11, s4 src0_sel:BYTE_0 src1_sel:DWORD
	s_mov_b64 s[4:5], -1
                                        ; implicit-def: $sgpr10
	s_and_saveexec_b64 s[8:9], s[12:13]
; %bb.2638:
	s_mov_b32 s10, 0x7f800001
	s_xor_b64 s[4:5], exec, -1
; %bb.2639:
	s_or_b64 exec, exec, s[8:9]
	s_and_b64 s[4:5], s[4:5], exec
	s_or_saveexec_b64 s[6:7], s[6:7]
	v_mov_b32_e32 v14, s10
	s_xor_b64 exec, exec, s[6:7]
	s_cbranch_execz .LBB10_590
.LBB10_2640:
	v_mov_b32_e32 v14, 0
	v_cmp_ne_u16_sdwa s[8:9], v11, v14 src0_sel:BYTE_0 src1_sel:DWORD
	s_andn2_b64 s[4:5], s[4:5], exec
	s_and_b64 s[8:9], s[8:9], exec
	s_or_b64 s[4:5], s[4:5], s[8:9]
	s_or_b64 exec, exec, s[6:7]
	s_and_saveexec_b64 s[6:7], s[4:5]
	s_cbranch_execnz .LBB10_591
	s_branch .LBB10_592
.LBB10_2641:
	s_movk_i32 s4, 0x80
	v_cmp_eq_u16_e32 vcc, s4, v11
	s_mov_b64 s[4:5], -1
                                        ; implicit-def: $sgpr10
	s_and_saveexec_b64 s[8:9], vcc
; %bb.2642:
	s_mov_b32 s10, 0x7f800001
	s_xor_b64 s[4:5], exec, -1
; %bb.2643:
	s_or_b64 exec, exec, s[8:9]
	s_and_b64 s[4:5], s[4:5], exec
                                        ; implicit-def: $vgpr11
	s_or_saveexec_b64 s[6:7], s[6:7]
	v_mov_b32_e32 v10, s10
	s_xor_b64 exec, exec, s[6:7]
	s_cbranch_execz .LBB10_594
.LBB10_2644:
	v_cmp_ne_u16_e32 vcc, 0, v11
	s_andn2_b64 s[4:5], s[4:5], exec
	s_and_b64 s[8:9], vcc, exec
	v_mov_b32_e32 v10, 0
	s_or_b64 s[4:5], s[4:5], s[8:9]
	s_or_b64 exec, exec, s[6:7]
	s_and_saveexec_b64 s[6:7], s[4:5]
	s_cbranch_execnz .LBB10_595
	s_branch .LBB10_596
.LBB10_2645:
	s_movk_i32 s4, 0x80
	v_cmp_eq_u16_e32 vcc, s4, v11
	s_mov_b64 s[4:5], -1
                                        ; implicit-def: $sgpr10
	s_and_saveexec_b64 s[8:9], vcc
; %bb.2646:
	s_mov_b32 s10, 0x7f800001
	s_xor_b64 s[4:5], exec, -1
; %bb.2647:
	s_or_b64 exec, exec, s[8:9]
	s_and_b64 s[4:5], s[4:5], exec
                                        ; implicit-def: $vgpr11
	s_or_saveexec_b64 s[6:7], s[6:7]
	v_mov_b32_e32 v14, s10
	s_xor_b64 exec, exec, s[6:7]
	s_cbranch_execz .LBB10_598
.LBB10_2648:
	v_cmp_ne_u16_e32 vcc, 0, v11
	s_andn2_b64 s[4:5], s[4:5], exec
	s_and_b64 s[8:9], vcc, exec
	v_mov_b32_e32 v14, 0
	s_or_b64 s[4:5], s[4:5], s[8:9]
	s_or_b64 exec, exec, s[6:7]
	s_and_saveexec_b64 s[6:7], s[4:5]
	s_cbranch_execnz .LBB10_599
	s_branch .LBB10_600
.LBB10_2649:
	s_movk_i32 s4, 0x80
	v_cmp_eq_u16_sdwa s[12:13], v16, s4 src0_sel:BYTE_3 src1_sel:DWORD
	s_mov_b64 s[4:5], -1
                                        ; implicit-def: $sgpr10
	s_and_saveexec_b64 s[8:9], s[12:13]
; %bb.2650:
	s_mov_b32 s10, 0x7f800001
	s_xor_b64 s[4:5], exec, -1
; %bb.2651:
	s_or_b64 exec, exec, s[8:9]
	s_and_b64 s[4:5], s[4:5], exec
	s_or_saveexec_b64 s[6:7], s[6:7]
	v_mov_b32_e32 v10, s10
	s_xor_b64 exec, exec, s[6:7]
	s_cbranch_execz .LBB10_602
.LBB10_2652:
	v_mov_b32_e32 v10, 0
	v_cmp_ne_u16_sdwa s[8:9], v16, v10 src0_sel:BYTE_3 src1_sel:DWORD
	s_andn2_b64 s[4:5], s[4:5], exec
	s_and_b64 s[8:9], s[8:9], exec
	s_or_b64 s[4:5], s[4:5], s[8:9]
	s_or_b64 exec, exec, s[6:7]
	s_and_saveexec_b64 s[6:7], s[4:5]
	s_cbranch_execnz .LBB10_603
	s_branch .LBB10_604
.LBB10_2653:
	s_movk_i32 s4, 0x80
	v_cmp_eq_u16_sdwa s[12:13], v12, s4 src0_sel:BYTE_3 src1_sel:DWORD
	s_mov_b64 s[4:5], -1
                                        ; implicit-def: $sgpr10
	s_and_saveexec_b64 s[8:9], s[12:13]
; %bb.2654:
	s_mov_b32 s10, 0x7f800001
	s_xor_b64 s[4:5], exec, -1
; %bb.2655:
	s_or_b64 exec, exec, s[8:9]
	s_and_b64 s[4:5], s[4:5], exec
	s_or_saveexec_b64 s[6:7], s[6:7]
	v_mov_b32_e32 v11, s10
	s_xor_b64 exec, exec, s[6:7]
	s_cbranch_execz .LBB10_606
.LBB10_2656:
	v_mov_b32_e32 v11, 0
	v_cmp_ne_u16_sdwa s[8:9], v12, v11 src0_sel:BYTE_3 src1_sel:DWORD
	s_andn2_b64 s[4:5], s[4:5], exec
	s_and_b64 s[8:9], s[8:9], exec
	s_or_b64 s[4:5], s[4:5], s[8:9]
	s_or_b64 exec, exec, s[6:7]
	s_and_saveexec_b64 s[6:7], s[4:5]
	s_cbranch_execnz .LBB10_607
	s_branch .LBB10_608
.LBB10_2657:
	s_movk_i32 s4, 0x80
	v_cmp_eq_u16_sdwa s[12:13], v17, s4 src0_sel:BYTE_0 src1_sel:DWORD
	s_mov_b64 s[4:5], -1
                                        ; implicit-def: $sgpr10
	s_and_saveexec_b64 s[8:9], s[12:13]
; %bb.2658:
	s_mov_b32 s10, 0x7f800001
	s_xor_b64 s[4:5], exec, -1
; %bb.2659:
	s_or_b64 exec, exec, s[8:9]
	s_and_b64 s[4:5], s[4:5], exec
	s_or_saveexec_b64 s[6:7], s[6:7]
	v_mov_b32_e32 v10, s10
	s_xor_b64 exec, exec, s[6:7]
	s_cbranch_execz .LBB10_610
.LBB10_2660:
	v_mov_b32_e32 v10, 0
	v_cmp_ne_u16_sdwa s[8:9], v17, v10 src0_sel:BYTE_0 src1_sel:DWORD
	s_andn2_b64 s[4:5], s[4:5], exec
	s_and_b64 s[8:9], s[8:9], exec
	s_or_b64 s[4:5], s[4:5], s[8:9]
	s_or_b64 exec, exec, s[6:7]
	s_and_saveexec_b64 s[6:7], s[4:5]
	s_cbranch_execnz .LBB10_611
	s_branch .LBB10_612
.LBB10_2661:
	s_movk_i32 s4, 0x80
	v_cmp_eq_u16_sdwa s[12:13], v13, s4 src0_sel:BYTE_0 src1_sel:DWORD
	s_mov_b64 s[4:5], -1
                                        ; implicit-def: $sgpr10
	s_and_saveexec_b64 s[8:9], s[12:13]
; %bb.2662:
	s_mov_b32 s10, 0x7f800001
	s_xor_b64 s[4:5], exec, -1
; %bb.2663:
	s_or_b64 exec, exec, s[8:9]
	s_and_b64 s[4:5], s[4:5], exec
	s_or_saveexec_b64 s[6:7], s[6:7]
	v_mov_b32_e32 v11, s10
	s_xor_b64 exec, exec, s[6:7]
	s_cbranch_execz .LBB10_614
.LBB10_2664:
	v_mov_b32_e32 v11, 0
	v_cmp_ne_u16_sdwa s[8:9], v13, v11 src0_sel:BYTE_0 src1_sel:DWORD
	s_andn2_b64 s[4:5], s[4:5], exec
	s_and_b64 s[8:9], s[8:9], exec
	s_or_b64 s[4:5], s[4:5], s[8:9]
	s_or_b64 exec, exec, s[6:7]
	s_and_saveexec_b64 s[6:7], s[4:5]
	s_cbranch_execnz .LBB10_615
	s_branch .LBB10_616
.LBB10_2665:
	s_movk_i32 s4, 0x80
	v_cmp_eq_u16_sdwa s[12:13], v11, s4 src0_sel:BYTE_0 src1_sel:DWORD
	s_mov_b64 s[4:5], -1
                                        ; implicit-def: $sgpr10
	s_and_saveexec_b64 s[8:9], s[12:13]
; %bb.2666:
	s_mov_b32 s10, 0x7f800001
	s_xor_b64 s[4:5], exec, -1
; %bb.2667:
	s_or_b64 exec, exec, s[8:9]
	s_and_b64 s[4:5], s[4:5], exec
	s_or_saveexec_b64 s[6:7], s[6:7]
	v_mov_b32_e32 v10, s10
	s_xor_b64 exec, exec, s[6:7]
	s_cbranch_execz .LBB10_618
.LBB10_2668:
	v_mov_b32_e32 v10, 0
	v_cmp_ne_u16_sdwa s[8:9], v11, v10 src0_sel:BYTE_0 src1_sel:DWORD
	s_andn2_b64 s[4:5], s[4:5], exec
	s_and_b64 s[8:9], s[8:9], exec
	s_or_b64 s[4:5], s[4:5], s[8:9]
	s_or_b64 exec, exec, s[6:7]
	s_and_saveexec_b64 s[6:7], s[4:5]
	s_cbranch_execnz .LBB10_619
	s_branch .LBB10_620
.LBB10_2669:
	s_movk_i32 s4, 0x80
	v_cmp_eq_u16_sdwa s[12:13], v11, s4 src0_sel:BYTE_0 src1_sel:DWORD
	s_mov_b64 s[4:5], -1
                                        ; implicit-def: $sgpr10
	s_and_saveexec_b64 s[8:9], s[12:13]
; %bb.2670:
	s_mov_b32 s10, 0x7f800001
	s_xor_b64 s[4:5], exec, -1
; %bb.2671:
	s_or_b64 exec, exec, s[8:9]
	s_and_b64 s[4:5], s[4:5], exec
	s_or_saveexec_b64 s[6:7], s[6:7]
	v_mov_b32_e32 v12, s10
	s_xor_b64 exec, exec, s[6:7]
	s_cbranch_execz .LBB10_622
.LBB10_2672:
	v_mov_b32_e32 v12, 0
	v_cmp_ne_u16_sdwa s[8:9], v11, v12 src0_sel:BYTE_0 src1_sel:DWORD
	s_andn2_b64 s[4:5], s[4:5], exec
	s_and_b64 s[8:9], s[8:9], exec
	s_or_b64 s[4:5], s[4:5], s[8:9]
	s_or_b64 exec, exec, s[6:7]
	s_and_saveexec_b64 s[6:7], s[4:5]
	s_cbranch_execnz .LBB10_623
	s_branch .LBB10_624
.LBB10_2673:
	s_movk_i32 s4, 0x80
	v_cmp_eq_u16_e32 vcc, s4, v11
	s_mov_b64 s[4:5], -1
                                        ; implicit-def: $sgpr10
	s_and_saveexec_b64 s[8:9], vcc
; %bb.2674:
	s_mov_b32 s10, 0x7f800001
	s_xor_b64 s[4:5], exec, -1
; %bb.2675:
	s_or_b64 exec, exec, s[8:9]
	s_and_b64 s[4:5], s[4:5], exec
                                        ; implicit-def: $vgpr11
	s_or_saveexec_b64 s[6:7], s[6:7]
	v_mov_b32_e32 v10, s10
	s_xor_b64 exec, exec, s[6:7]
	s_cbranch_execz .LBB10_626
.LBB10_2676:
	v_cmp_ne_u16_e32 vcc, 0, v11
	s_andn2_b64 s[4:5], s[4:5], exec
	s_and_b64 s[8:9], vcc, exec
	v_mov_b32_e32 v10, 0
	s_or_b64 s[4:5], s[4:5], s[8:9]
	s_or_b64 exec, exec, s[6:7]
	s_and_saveexec_b64 s[6:7], s[4:5]
	s_cbranch_execnz .LBB10_627
	s_branch .LBB10_628
.LBB10_2677:
	s_movk_i32 s4, 0x80
	v_cmp_eq_u16_e32 vcc, s4, v11
	s_mov_b64 s[4:5], -1
                                        ; implicit-def: $sgpr10
	s_and_saveexec_b64 s[8:9], vcc
; %bb.2678:
	s_mov_b32 s10, 0x7f800001
	s_xor_b64 s[4:5], exec, -1
; %bb.2679:
	s_or_b64 exec, exec, s[8:9]
	s_and_b64 s[4:5], s[4:5], exec
                                        ; implicit-def: $vgpr11
	s_or_saveexec_b64 s[6:7], s[6:7]
	v_mov_b32_e32 v12, s10
	s_xor_b64 exec, exec, s[6:7]
	s_cbranch_execz .LBB10_630
.LBB10_2680:
	v_cmp_ne_u16_e32 vcc, 0, v11
	s_andn2_b64 s[4:5], s[4:5], exec
	s_and_b64 s[8:9], vcc, exec
	v_mov_b32_e32 v12, 0
	s_or_b64 s[4:5], s[4:5], s[8:9]
	s_or_b64 exec, exec, s[6:7]
	s_and_saveexec_b64 s[6:7], s[4:5]
	s_cbranch_execnz .LBB10_631
	s_branch .LBB10_632
.LBB10_2681:
	s_movk_i32 s4, 0x80
	v_cmp_eq_u16_sdwa s[12:13], v17, s4 src0_sel:BYTE_3 src1_sel:DWORD
	s_mov_b64 s[4:5], -1
                                        ; implicit-def: $sgpr10
	s_and_saveexec_b64 s[8:9], s[12:13]
; %bb.2682:
	s_mov_b32 s10, 0x7f800001
	s_xor_b64 s[4:5], exec, -1
; %bb.2683:
	s_or_b64 exec, exec, s[8:9]
	s_and_b64 s[4:5], s[4:5], exec
	s_or_saveexec_b64 s[6:7], s[6:7]
	v_mov_b32_e32 v10, s10
	s_xor_b64 exec, exec, s[6:7]
	s_cbranch_execz .LBB10_634
.LBB10_2684:
	v_mov_b32_e32 v10, 0
	v_cmp_ne_u16_sdwa s[8:9], v17, v10 src0_sel:BYTE_3 src1_sel:DWORD
	s_andn2_b64 s[4:5], s[4:5], exec
	s_and_b64 s[8:9], s[8:9], exec
	s_or_b64 s[4:5], s[4:5], s[8:9]
	s_or_b64 exec, exec, s[6:7]
	s_and_saveexec_b64 s[6:7], s[4:5]
	s_cbranch_execnz .LBB10_635
	s_branch .LBB10_636
.LBB10_2685:
	s_movk_i32 s4, 0x80
	v_cmp_eq_u16_sdwa s[12:13], v13, s4 src0_sel:BYTE_3 src1_sel:DWORD
	s_mov_b64 s[4:5], -1
                                        ; implicit-def: $sgpr10
	s_and_saveexec_b64 s[8:9], s[12:13]
; %bb.2686:
	s_mov_b32 s10, 0x7f800001
	s_xor_b64 s[4:5], exec, -1
; %bb.2687:
	s_or_b64 exec, exec, s[8:9]
	s_and_b64 s[4:5], s[4:5], exec
	s_or_saveexec_b64 s[6:7], s[6:7]
	v_mov_b32_e32 v11, s10
	s_xor_b64 exec, exec, s[6:7]
	s_cbranch_execz .LBB10_638
.LBB10_2688:
	v_mov_b32_e32 v11, 0
	v_cmp_ne_u16_sdwa s[8:9], v13, v11 src0_sel:BYTE_3 src1_sel:DWORD
	s_andn2_b64 s[4:5], s[4:5], exec
	s_and_b64 s[8:9], s[8:9], exec
	s_or_b64 s[4:5], s[4:5], s[8:9]
	s_or_b64 exec, exec, s[6:7]
	s_and_saveexec_b64 s[6:7], s[4:5]
	s_cbranch_execnz .LBB10_639
	s_branch .LBB10_640
.LBB10_2689:
	s_movk_i32 s4, 0x80
	v_cmp_eq_u16_sdwa s[12:13], v6, s4 src0_sel:BYTE_0 src1_sel:DWORD
	s_mov_b64 s[4:5], -1
                                        ; implicit-def: $sgpr10
	s_and_saveexec_b64 s[8:9], s[12:13]
; %bb.2690:
	s_mov_b32 s10, 0x7f800001
	s_xor_b64 s[4:5], exec, -1
; %bb.2691:
	s_or_b64 exec, exec, s[8:9]
	s_and_b64 s[4:5], s[4:5], exec
	s_or_saveexec_b64 s[6:7], s[6:7]
	v_mov_b32_e32 v10, s10
	s_xor_b64 exec, exec, s[6:7]
	s_cbranch_execz .LBB10_642
.LBB10_2692:
	v_mov_b32_e32 v10, 0
	v_cmp_ne_u16_sdwa s[8:9], v6, v10 src0_sel:BYTE_0 src1_sel:DWORD
	s_andn2_b64 s[4:5], s[4:5], exec
	s_and_b64 s[8:9], s[8:9], exec
	s_or_b64 s[4:5], s[4:5], s[8:9]
	s_or_b64 exec, exec, s[6:7]
	s_and_saveexec_b64 s[6:7], s[4:5]
	s_cbranch_execnz .LBB10_643
	s_branch .LBB10_644
.LBB10_2693:
	s_movk_i32 s4, 0x80
	v_cmp_eq_u16_sdwa s[12:13], v2, s4 src0_sel:BYTE_0 src1_sel:DWORD
	s_mov_b64 s[4:5], -1
                                        ; implicit-def: $sgpr10
	s_and_saveexec_b64 s[8:9], s[12:13]
; %bb.2694:
	s_mov_b32 s10, 0x7f800001
	s_xor_b64 s[4:5], exec, -1
; %bb.2695:
	s_or_b64 exec, exec, s[8:9]
	s_and_b64 s[4:5], s[4:5], exec
	s_or_saveexec_b64 s[6:7], s[6:7]
	v_mov_b32_e32 v11, s10
	s_xor_b64 exec, exec, s[6:7]
	s_cbranch_execz .LBB10_646
.LBB10_2696:
	v_mov_b32_e32 v11, 0
	v_cmp_ne_u16_sdwa s[8:9], v2, v11 src0_sel:BYTE_0 src1_sel:DWORD
	s_andn2_b64 s[4:5], s[4:5], exec
	s_and_b64 s[8:9], s[8:9], exec
	s_or_b64 s[4:5], s[4:5], s[8:9]
	s_or_b64 exec, exec, s[6:7]
	s_and_saveexec_b64 s[6:7], s[4:5]
	s_cbranch_execnz .LBB10_647
	s_branch .LBB10_648
.LBB10_2697:
	s_movk_i32 s4, 0x80
	v_cmp_eq_u16_sdwa s[12:13], v11, s4 src0_sel:BYTE_0 src1_sel:DWORD
	s_mov_b64 s[4:5], -1
                                        ; implicit-def: $sgpr10
	s_and_saveexec_b64 s[8:9], s[12:13]
; %bb.2698:
	s_mov_b32 s10, 0x7f800001
	s_xor_b64 s[4:5], exec, -1
; %bb.2699:
	s_or_b64 exec, exec, s[8:9]
	s_and_b64 s[4:5], s[4:5], exec
	s_or_saveexec_b64 s[6:7], s[6:7]
	v_mov_b32_e32 v10, s10
	s_xor_b64 exec, exec, s[6:7]
	s_cbranch_execz .LBB10_650
.LBB10_2700:
	v_mov_b32_e32 v10, 0
	v_cmp_ne_u16_sdwa s[8:9], v11, v10 src0_sel:BYTE_0 src1_sel:DWORD
	s_andn2_b64 s[4:5], s[4:5], exec
	s_and_b64 s[8:9], s[8:9], exec
	s_or_b64 s[4:5], s[4:5], s[8:9]
	s_or_b64 exec, exec, s[6:7]
	s_and_saveexec_b64 s[6:7], s[4:5]
	s_cbranch_execnz .LBB10_651
	s_branch .LBB10_652
.LBB10_2701:
	s_movk_i32 s4, 0x80
	v_cmp_eq_u16_sdwa s[12:13], v11, s4 src0_sel:BYTE_0 src1_sel:DWORD
	s_mov_b64 s[4:5], -1
                                        ; implicit-def: $sgpr10
	s_and_saveexec_b64 s[8:9], s[12:13]
; %bb.2702:
	s_mov_b32 s10, 0x7f800001
	s_xor_b64 s[4:5], exec, -1
; %bb.2703:
	s_or_b64 exec, exec, s[8:9]
	s_and_b64 s[4:5], s[4:5], exec
	s_or_saveexec_b64 s[6:7], s[6:7]
	v_mov_b32_e32 v12, s10
	s_xor_b64 exec, exec, s[6:7]
	s_cbranch_execz .LBB10_654
.LBB10_2704:
	v_mov_b32_e32 v12, 0
	v_cmp_ne_u16_sdwa s[8:9], v11, v12 src0_sel:BYTE_0 src1_sel:DWORD
	s_andn2_b64 s[4:5], s[4:5], exec
	s_and_b64 s[8:9], s[8:9], exec
	s_or_b64 s[4:5], s[4:5], s[8:9]
	s_or_b64 exec, exec, s[6:7]
	s_and_saveexec_b64 s[6:7], s[4:5]
	s_cbranch_execnz .LBB10_655
	s_branch .LBB10_656
.LBB10_2705:
	s_movk_i32 s4, 0x80
	v_cmp_eq_u16_e32 vcc, s4, v11
	s_mov_b64 s[4:5], -1
                                        ; implicit-def: $sgpr10
	s_and_saveexec_b64 s[8:9], vcc
; %bb.2706:
	s_mov_b32 s10, 0x7f800001
	s_xor_b64 s[4:5], exec, -1
; %bb.2707:
	s_or_b64 exec, exec, s[8:9]
	s_and_b64 s[4:5], s[4:5], exec
                                        ; implicit-def: $vgpr11
	s_or_saveexec_b64 s[6:7], s[6:7]
	v_mov_b32_e32 v10, s10
	s_xor_b64 exec, exec, s[6:7]
	s_cbranch_execz .LBB10_658
.LBB10_2708:
	v_cmp_ne_u16_e32 vcc, 0, v11
	s_andn2_b64 s[4:5], s[4:5], exec
	s_and_b64 s[8:9], vcc, exec
	v_mov_b32_e32 v10, 0
	s_or_b64 s[4:5], s[4:5], s[8:9]
	s_or_b64 exec, exec, s[6:7]
	s_and_saveexec_b64 s[6:7], s[4:5]
	s_cbranch_execnz .LBB10_659
	s_branch .LBB10_660
.LBB10_2709:
	s_movk_i32 s4, 0x80
	v_cmp_eq_u16_e32 vcc, s4, v11
	s_mov_b64 s[4:5], -1
                                        ; implicit-def: $sgpr10
	s_and_saveexec_b64 s[8:9], vcc
; %bb.2710:
	s_mov_b32 s10, 0x7f800001
	s_xor_b64 s[4:5], exec, -1
; %bb.2711:
	s_or_b64 exec, exec, s[8:9]
	s_and_b64 s[4:5], s[4:5], exec
                                        ; implicit-def: $vgpr11
	s_or_saveexec_b64 s[6:7], s[6:7]
	v_mov_b32_e32 v12, s10
	s_xor_b64 exec, exec, s[6:7]
	s_cbranch_execz .LBB10_662
.LBB10_2712:
	v_cmp_ne_u16_e32 vcc, 0, v11
	s_andn2_b64 s[4:5], s[4:5], exec
	s_and_b64 s[8:9], vcc, exec
	v_mov_b32_e32 v12, 0
	s_or_b64 s[4:5], s[4:5], s[8:9]
	s_or_b64 exec, exec, s[6:7]
	s_and_saveexec_b64 s[6:7], s[4:5]
	s_cbranch_execnz .LBB10_663
	s_branch .LBB10_664
.LBB10_2713:
	s_movk_i32 s4, 0x80
	v_cmp_eq_u16_sdwa s[12:13], v6, s4 src0_sel:BYTE_3 src1_sel:DWORD
	s_mov_b64 s[4:5], -1
                                        ; implicit-def: $sgpr10
	s_and_saveexec_b64 s[8:9], s[12:13]
; %bb.2714:
	s_mov_b32 s10, 0x7f800001
	s_xor_b64 s[4:5], exec, -1
; %bb.2715:
	s_or_b64 exec, exec, s[8:9]
	s_and_b64 s[4:5], s[4:5], exec
	s_or_saveexec_b64 s[6:7], s[6:7]
	v_mov_b32_e32 v10, s10
	s_xor_b64 exec, exec, s[6:7]
	s_cbranch_execz .LBB10_666
.LBB10_2716:
	v_mov_b32_e32 v10, 0
	v_cmp_ne_u16_sdwa s[8:9], v6, v10 src0_sel:BYTE_3 src1_sel:DWORD
	s_andn2_b64 s[4:5], s[4:5], exec
	s_and_b64 s[8:9], s[8:9], exec
	s_or_b64 s[4:5], s[4:5], s[8:9]
	s_or_b64 exec, exec, s[6:7]
	s_and_saveexec_b64 s[6:7], s[4:5]
	s_cbranch_execnz .LBB10_667
	s_branch .LBB10_668
.LBB10_2717:
	s_movk_i32 s4, 0x80
	v_cmp_eq_u16_sdwa s[12:13], v2, s4 src0_sel:BYTE_3 src1_sel:DWORD
	s_mov_b64 s[4:5], -1
                                        ; implicit-def: $sgpr10
	s_and_saveexec_b64 s[8:9], s[12:13]
; %bb.2718:
	s_mov_b32 s10, 0x7f800001
	s_xor_b64 s[4:5], exec, -1
; %bb.2719:
	s_or_b64 exec, exec, s[8:9]
	s_and_b64 s[4:5], s[4:5], exec
	s_or_saveexec_b64 s[6:7], s[6:7]
	v_mov_b32_e32 v6, s10
	s_xor_b64 exec, exec, s[6:7]
	s_cbranch_execz .LBB10_670
.LBB10_2720:
	v_mov_b32_e32 v6, 0
	v_cmp_ne_u16_sdwa s[8:9], v2, v6 src0_sel:BYTE_3 src1_sel:DWORD
	s_andn2_b64 s[4:5], s[4:5], exec
	s_and_b64 s[8:9], s[8:9], exec
	s_or_b64 s[4:5], s[4:5], s[8:9]
	s_or_b64 exec, exec, s[6:7]
	s_and_saveexec_b64 s[6:7], s[4:5]
	s_cbranch_execnz .LBB10_671
	s_branch .LBB10_672
.LBB10_2721:
	s_movk_i32 s4, 0x80
	v_cmp_eq_u16_sdwa s[12:13], v7, s4 src0_sel:BYTE_0 src1_sel:DWORD
	s_mov_b64 s[4:5], -1
                                        ; implicit-def: $sgpr10
	s_and_saveexec_b64 s[8:9], s[12:13]
; %bb.2722:
	s_mov_b32 s10, 0x7f800001
	s_xor_b64 s[4:5], exec, -1
; %bb.2723:
	s_or_b64 exec, exec, s[8:9]
	s_and_b64 s[4:5], s[4:5], exec
	s_or_saveexec_b64 s[6:7], s[6:7]
	v_mov_b32_e32 v2, s10
	s_xor_b64 exec, exec, s[6:7]
	s_cbranch_execz .LBB10_674
.LBB10_2724:
	v_mov_b32_e32 v2, 0
	v_cmp_ne_u16_sdwa s[8:9], v7, v2 src0_sel:BYTE_0 src1_sel:DWORD
	s_andn2_b64 s[4:5], s[4:5], exec
	s_and_b64 s[8:9], s[8:9], exec
	s_or_b64 s[4:5], s[4:5], s[8:9]
	s_or_b64 exec, exec, s[6:7]
	s_and_saveexec_b64 s[6:7], s[4:5]
	s_cbranch_execnz .LBB10_675
	s_branch .LBB10_676
.LBB10_2725:
	s_movk_i32 s4, 0x80
	v_cmp_eq_u16_sdwa s[12:13], v3, s4 src0_sel:BYTE_0 src1_sel:DWORD
	s_mov_b64 s[4:5], -1
                                        ; implicit-def: $sgpr10
	s_and_saveexec_b64 s[8:9], s[12:13]
; %bb.2726:
	s_mov_b32 s10, 0x7f800001
	s_xor_b64 s[4:5], exec, -1
; %bb.2727:
	s_or_b64 exec, exec, s[8:9]
	s_and_b64 s[4:5], s[4:5], exec
	s_or_saveexec_b64 s[6:7], s[6:7]
	v_mov_b32_e32 v6, s10
	s_xor_b64 exec, exec, s[6:7]
	s_cbranch_execz .LBB10_678
.LBB10_2728:
	v_mov_b32_e32 v6, 0
	v_cmp_ne_u16_sdwa s[8:9], v3, v6 src0_sel:BYTE_0 src1_sel:DWORD
	s_andn2_b64 s[4:5], s[4:5], exec
	s_and_b64 s[8:9], s[8:9], exec
	s_or_b64 s[4:5], s[4:5], s[8:9]
	s_or_b64 exec, exec, s[6:7]
	s_and_saveexec_b64 s[6:7], s[4:5]
	s_cbranch_execnz .LBB10_679
	s_branch .LBB10_680
.LBB10_2729:
	s_movk_i32 s4, 0x80
	v_cmp_eq_u16_sdwa s[12:13], v6, s4 src0_sel:BYTE_0 src1_sel:DWORD
	s_mov_b64 s[4:5], -1
                                        ; implicit-def: $sgpr10
	s_and_saveexec_b64 s[8:9], s[12:13]
; %bb.2730:
	s_mov_b32 s10, 0x7f800001
	s_xor_b64 s[4:5], exec, -1
; %bb.2731:
	s_or_b64 exec, exec, s[8:9]
	s_and_b64 s[4:5], s[4:5], exec
	s_or_saveexec_b64 s[6:7], s[6:7]
	v_mov_b32_e32 v2, s10
	s_xor_b64 exec, exec, s[6:7]
	s_cbranch_execz .LBB10_682
.LBB10_2732:
	v_mov_b32_e32 v2, 0
	v_cmp_ne_u16_sdwa s[8:9], v6, v2 src0_sel:BYTE_0 src1_sel:DWORD
	s_andn2_b64 s[4:5], s[4:5], exec
	s_and_b64 s[8:9], s[8:9], exec
	s_or_b64 s[4:5], s[4:5], s[8:9]
	s_or_b64 exec, exec, s[6:7]
	s_and_saveexec_b64 s[6:7], s[4:5]
	s_cbranch_execnz .LBB10_683
	s_branch .LBB10_684
.LBB10_2733:
	s_movk_i32 s4, 0x80
	v_cmp_eq_u16_sdwa s[12:13], v6, s4 src0_sel:BYTE_0 src1_sel:DWORD
	s_mov_b64 s[4:5], -1
                                        ; implicit-def: $sgpr10
	s_and_saveexec_b64 s[8:9], s[12:13]
; %bb.2734:
	s_mov_b32 s10, 0x7f800001
	s_xor_b64 s[4:5], exec, -1
; %bb.2735:
	s_or_b64 exec, exec, s[8:9]
	s_and_b64 s[4:5], s[4:5], exec
	s_or_saveexec_b64 s[6:7], s[6:7]
	v_mov_b32_e32 v10, s10
	s_xor_b64 exec, exec, s[6:7]
	s_cbranch_execz .LBB10_686
.LBB10_2736:
	v_mov_b32_e32 v10, 0
	v_cmp_ne_u16_sdwa s[8:9], v6, v10 src0_sel:BYTE_0 src1_sel:DWORD
	s_andn2_b64 s[4:5], s[4:5], exec
	s_and_b64 s[8:9], s[8:9], exec
	s_or_b64 s[4:5], s[4:5], s[8:9]
	s_or_b64 exec, exec, s[6:7]
	s_and_saveexec_b64 s[6:7], s[4:5]
	s_cbranch_execnz .LBB10_687
	s_branch .LBB10_688
.LBB10_2737:
	s_movk_i32 s4, 0x80
	v_cmp_eq_u16_e32 vcc, s4, v6
	s_mov_b64 s[4:5], -1
                                        ; implicit-def: $sgpr10
	s_and_saveexec_b64 s[8:9], vcc
; %bb.2738:
	s_mov_b32 s10, 0x7f800001
	s_xor_b64 s[4:5], exec, -1
; %bb.2739:
	s_or_b64 exec, exec, s[8:9]
	s_and_b64 s[4:5], s[4:5], exec
                                        ; implicit-def: $vgpr6
	s_or_saveexec_b64 s[6:7], s[6:7]
	v_mov_b32_e32 v2, s10
	s_xor_b64 exec, exec, s[6:7]
	s_cbranch_execz .LBB10_690
.LBB10_2740:
	v_cmp_ne_u16_e32 vcc, 0, v6
	s_andn2_b64 s[4:5], s[4:5], exec
	s_and_b64 s[8:9], vcc, exec
	v_mov_b32_e32 v2, 0
	s_or_b64 s[4:5], s[4:5], s[8:9]
	s_or_b64 exec, exec, s[6:7]
	s_and_saveexec_b64 s[6:7], s[4:5]
	s_cbranch_execnz .LBB10_691
	s_branch .LBB10_692
.LBB10_2741:
	s_movk_i32 s4, 0x80
	v_cmp_eq_u16_e32 vcc, s4, v6
	s_mov_b64 s[4:5], -1
                                        ; implicit-def: $sgpr10
	s_and_saveexec_b64 s[8:9], vcc
; %bb.2742:
	s_mov_b32 s10, 0x7f800001
	s_xor_b64 s[4:5], exec, -1
; %bb.2743:
	s_or_b64 exec, exec, s[8:9]
	s_and_b64 s[4:5], s[4:5], exec
                                        ; implicit-def: $vgpr6
	s_or_saveexec_b64 s[6:7], s[6:7]
	v_mov_b32_e32 v10, s10
	s_xor_b64 exec, exec, s[6:7]
	s_cbranch_execz .LBB10_694
.LBB10_2744:
	v_cmp_ne_u16_e32 vcc, 0, v6
	s_andn2_b64 s[4:5], s[4:5], exec
	s_and_b64 s[8:9], vcc, exec
	v_mov_b32_e32 v10, 0
	s_or_b64 s[4:5], s[4:5], s[8:9]
	s_or_b64 exec, exec, s[6:7]
	s_and_saveexec_b64 s[6:7], s[4:5]
	s_cbranch_execnz .LBB10_695
	s_branch .LBB10_696
.LBB10_2745:
	s_movk_i32 s4, 0x80
	v_cmp_eq_u16_sdwa s[12:13], v7, s4 src0_sel:BYTE_3 src1_sel:DWORD
	s_mov_b64 s[4:5], -1
                                        ; implicit-def: $sgpr10
	s_and_saveexec_b64 s[8:9], s[12:13]
; %bb.2746:
	s_mov_b32 s10, 0x7f800001
	s_xor_b64 s[4:5], exec, -1
; %bb.2747:
	s_or_b64 exec, exec, s[8:9]
	s_and_b64 s[4:5], s[4:5], exec
	s_or_saveexec_b64 s[6:7], s[6:7]
	v_mov_b32_e32 v2, s10
	s_xor_b64 exec, exec, s[6:7]
	s_cbranch_execz .LBB10_698
.LBB10_2748:
	v_mov_b32_e32 v2, 0
	v_cmp_ne_u16_sdwa s[8:9], v7, v2 src0_sel:BYTE_3 src1_sel:DWORD
	s_andn2_b64 s[4:5], s[4:5], exec
	s_and_b64 s[8:9], s[8:9], exec
	s_or_b64 s[4:5], s[4:5], s[8:9]
	s_or_b64 exec, exec, s[6:7]
	s_and_saveexec_b64 s[6:7], s[4:5]
	s_cbranch_execnz .LBB10_699
	s_branch .LBB10_700
.LBB10_2749:
	s_movk_i32 s4, 0x80
	v_cmp_eq_u16_sdwa s[12:13], v3, s4 src0_sel:BYTE_3 src1_sel:DWORD
	s_mov_b64 s[4:5], -1
                                        ; implicit-def: $sgpr10
	s_and_saveexec_b64 s[8:9], s[12:13]
; %bb.2750:
	s_mov_b32 s10, 0x7f800001
	s_xor_b64 s[4:5], exec, -1
; %bb.2751:
	s_or_b64 exec, exec, s[8:9]
	s_and_b64 s[4:5], s[4:5], exec
	s_or_saveexec_b64 s[6:7], s[6:7]
	v_mov_b32_e32 v6, s10
	s_xor_b64 exec, exec, s[6:7]
	s_cbranch_execz .LBB10_702
.LBB10_2752:
	v_mov_b32_e32 v6, 0
	v_cmp_ne_u16_sdwa s[8:9], v3, v6 src0_sel:BYTE_3 src1_sel:DWORD
	s_andn2_b64 s[4:5], s[4:5], exec
	s_and_b64 s[8:9], s[8:9], exec
	s_or_b64 s[4:5], s[4:5], s[8:9]
	s_or_b64 exec, exec, s[6:7]
	s_and_saveexec_b64 s[6:7], s[4:5]
	s_cbranch_execnz .LBB10_703
	s_branch .LBB10_704
.LBB10_2753:
	s_movk_i32 s4, 0x80
	v_cmp_eq_u16_sdwa s[12:13], v8, s4 src0_sel:BYTE_0 src1_sel:DWORD
	s_mov_b64 s[4:5], -1
                                        ; implicit-def: $sgpr10
	s_and_saveexec_b64 s[8:9], s[12:13]
; %bb.2754:
	s_mov_b32 s10, 0x7f800001
	s_xor_b64 s[4:5], exec, -1
; %bb.2755:
	s_or_b64 exec, exec, s[8:9]
	s_and_b64 s[4:5], s[4:5], exec
	s_or_saveexec_b64 s[6:7], s[6:7]
	v_mov_b32_e32 v2, s10
	s_xor_b64 exec, exec, s[6:7]
	s_cbranch_execz .LBB10_706
.LBB10_2756:
	v_mov_b32_e32 v2, 0
	v_cmp_ne_u16_sdwa s[8:9], v8, v2 src0_sel:BYTE_0 src1_sel:DWORD
	s_andn2_b64 s[4:5], s[4:5], exec
	s_and_b64 s[8:9], s[8:9], exec
	s_or_b64 s[4:5], s[4:5], s[8:9]
	s_or_b64 exec, exec, s[6:7]
	s_and_saveexec_b64 s[6:7], s[4:5]
	s_cbranch_execnz .LBB10_707
	s_branch .LBB10_708
.LBB10_2757:
	s_movk_i32 s4, 0x80
	v_cmp_eq_u16_sdwa s[12:13], v4, s4 src0_sel:BYTE_0 src1_sel:DWORD
	s_mov_b64 s[4:5], -1
                                        ; implicit-def: $sgpr10
	s_and_saveexec_b64 s[8:9], s[12:13]
; %bb.2758:
	s_mov_b32 s10, 0x7f800001
	s_xor_b64 s[4:5], exec, -1
; %bb.2759:
	s_or_b64 exec, exec, s[8:9]
	s_and_b64 s[4:5], s[4:5], exec
	s_or_saveexec_b64 s[6:7], s[6:7]
	v_mov_b32_e32 v3, s10
	s_xor_b64 exec, exec, s[6:7]
	s_cbranch_execz .LBB10_710
.LBB10_2760:
	v_mov_b32_e32 v3, 0
	v_cmp_ne_u16_sdwa s[8:9], v4, v3 src0_sel:BYTE_0 src1_sel:DWORD
	s_andn2_b64 s[4:5], s[4:5], exec
	s_and_b64 s[8:9], s[8:9], exec
	s_or_b64 s[4:5], s[4:5], s[8:9]
	s_or_b64 exec, exec, s[6:7]
	s_and_saveexec_b64 s[6:7], s[4:5]
	s_cbranch_execnz .LBB10_711
	s_branch .LBB10_712
.LBB10_2761:
	s_movk_i32 s4, 0x80
	v_cmp_eq_u16_sdwa s[12:13], v3, s4 src0_sel:BYTE_0 src1_sel:DWORD
	s_mov_b64 s[4:5], -1
                                        ; implicit-def: $sgpr10
	s_and_saveexec_b64 s[8:9], s[12:13]
; %bb.2762:
	s_mov_b32 s10, 0x7f800001
	s_xor_b64 s[4:5], exec, -1
; %bb.2763:
	s_or_b64 exec, exec, s[8:9]
	s_and_b64 s[4:5], s[4:5], exec
	s_or_saveexec_b64 s[6:7], s[6:7]
	v_mov_b32_e32 v2, s10
	s_xor_b64 exec, exec, s[6:7]
	s_cbranch_execz .LBB10_714
.LBB10_2764:
	v_mov_b32_e32 v2, 0
	v_cmp_ne_u16_sdwa s[8:9], v3, v2 src0_sel:BYTE_0 src1_sel:DWORD
	s_andn2_b64 s[4:5], s[4:5], exec
	s_and_b64 s[8:9], s[8:9], exec
	s_or_b64 s[4:5], s[4:5], s[8:9]
	s_or_b64 exec, exec, s[6:7]
	s_and_saveexec_b64 s[6:7], s[4:5]
	s_cbranch_execnz .LBB10_715
	s_branch .LBB10_716
.LBB10_2765:
	s_movk_i32 s4, 0x80
	v_cmp_eq_u16_sdwa s[12:13], v3, s4 src0_sel:BYTE_0 src1_sel:DWORD
	s_mov_b64 s[4:5], -1
                                        ; implicit-def: $sgpr10
	s_and_saveexec_b64 s[8:9], s[12:13]
; %bb.2766:
	s_mov_b32 s10, 0x7f800001
	s_xor_b64 s[4:5], exec, -1
; %bb.2767:
	s_or_b64 exec, exec, s[8:9]
	s_and_b64 s[4:5], s[4:5], exec
	s_or_saveexec_b64 s[6:7], s[6:7]
	v_mov_b32_e32 v6, s10
	s_xor_b64 exec, exec, s[6:7]
	s_cbranch_execz .LBB10_718
.LBB10_2768:
	v_mov_b32_e32 v6, 0
	v_cmp_ne_u16_sdwa s[8:9], v3, v6 src0_sel:BYTE_0 src1_sel:DWORD
	s_andn2_b64 s[4:5], s[4:5], exec
	s_and_b64 s[8:9], s[8:9], exec
	s_or_b64 s[4:5], s[4:5], s[8:9]
	s_or_b64 exec, exec, s[6:7]
	s_and_saveexec_b64 s[6:7], s[4:5]
	s_cbranch_execnz .LBB10_719
	s_branch .LBB10_720
.LBB10_2769:
	s_movk_i32 s4, 0x80
	v_cmp_eq_u16_e32 vcc, s4, v3
	s_mov_b64 s[4:5], -1
                                        ; implicit-def: $sgpr10
	s_and_saveexec_b64 s[8:9], vcc
; %bb.2770:
	s_mov_b32 s10, 0x7f800001
	s_xor_b64 s[4:5], exec, -1
; %bb.2771:
	s_or_b64 exec, exec, s[8:9]
	s_and_b64 s[4:5], s[4:5], exec
                                        ; implicit-def: $vgpr3
	s_or_saveexec_b64 s[6:7], s[6:7]
	v_mov_b32_e32 v2, s10
	s_xor_b64 exec, exec, s[6:7]
	s_cbranch_execz .LBB10_722
.LBB10_2772:
	v_cmp_ne_u16_e32 vcc, 0, v3
	s_andn2_b64 s[4:5], s[4:5], exec
	s_and_b64 s[8:9], vcc, exec
	v_mov_b32_e32 v2, 0
	s_or_b64 s[4:5], s[4:5], s[8:9]
	s_or_b64 exec, exec, s[6:7]
	s_and_saveexec_b64 s[6:7], s[4:5]
	s_cbranch_execnz .LBB10_723
	s_branch .LBB10_724
.LBB10_2773:
	s_movk_i32 s4, 0x80
	v_cmp_eq_u16_e32 vcc, s4, v3
	s_mov_b64 s[4:5], -1
                                        ; implicit-def: $sgpr10
	s_and_saveexec_b64 s[8:9], vcc
; %bb.2774:
	s_mov_b32 s10, 0x7f800001
	s_xor_b64 s[4:5], exec, -1
; %bb.2775:
	s_or_b64 exec, exec, s[8:9]
	s_and_b64 s[4:5], s[4:5], exec
                                        ; implicit-def: $vgpr3
	s_or_saveexec_b64 s[6:7], s[6:7]
	v_mov_b32_e32 v6, s10
	s_xor_b64 exec, exec, s[6:7]
	s_cbranch_execz .LBB10_726
.LBB10_2776:
	v_cmp_ne_u16_e32 vcc, 0, v3
	s_andn2_b64 s[4:5], s[4:5], exec
	s_and_b64 s[8:9], vcc, exec
	v_mov_b32_e32 v6, 0
	s_or_b64 s[4:5], s[4:5], s[8:9]
	s_or_b64 exec, exec, s[6:7]
	s_and_saveexec_b64 s[6:7], s[4:5]
	s_cbranch_execnz .LBB10_727
	s_branch .LBB10_728
.LBB10_2777:
	s_movk_i32 s4, 0x80
	v_cmp_eq_u16_sdwa s[12:13], v8, s4 src0_sel:BYTE_3 src1_sel:DWORD
	s_mov_b64 s[4:5], -1
                                        ; implicit-def: $sgpr10
	s_and_saveexec_b64 s[8:9], s[12:13]
; %bb.2778:
	s_mov_b32 s10, 0x7f800001
	s_xor_b64 s[4:5], exec, -1
; %bb.2779:
	s_or_b64 exec, exec, s[8:9]
	s_and_b64 s[4:5], s[4:5], exec
	s_or_saveexec_b64 s[6:7], s[6:7]
	v_mov_b32_e32 v2, s10
	s_xor_b64 exec, exec, s[6:7]
	s_cbranch_execz .LBB10_730
.LBB10_2780:
	v_mov_b32_e32 v2, 0
	v_cmp_ne_u16_sdwa s[8:9], v8, v2 src0_sel:BYTE_3 src1_sel:DWORD
	s_andn2_b64 s[4:5], s[4:5], exec
	s_and_b64 s[8:9], s[8:9], exec
	s_or_b64 s[4:5], s[4:5], s[8:9]
	s_or_b64 exec, exec, s[6:7]
	s_and_saveexec_b64 s[6:7], s[4:5]
	s_cbranch_execnz .LBB10_731
	s_branch .LBB10_732
.LBB10_2781:
	s_movk_i32 s4, 0x80
	v_cmp_eq_u16_sdwa s[12:13], v4, s4 src0_sel:BYTE_3 src1_sel:DWORD
	s_mov_b64 s[4:5], -1
                                        ; implicit-def: $sgpr10
	s_and_saveexec_b64 s[8:9], s[12:13]
; %bb.2782:
	s_mov_b32 s10, 0x7f800001
	s_xor_b64 s[4:5], exec, -1
; %bb.2783:
	s_or_b64 exec, exec, s[8:9]
	s_and_b64 s[4:5], s[4:5], exec
	s_or_saveexec_b64 s[6:7], s[6:7]
	v_mov_b32_e32 v3, s10
	s_xor_b64 exec, exec, s[6:7]
	s_cbranch_execz .LBB10_734
.LBB10_2784:
	v_mov_b32_e32 v3, 0
	v_cmp_ne_u16_sdwa s[8:9], v4, v3 src0_sel:BYTE_3 src1_sel:DWORD
	s_andn2_b64 s[4:5], s[4:5], exec
	s_and_b64 s[8:9], s[8:9], exec
	s_or_b64 s[4:5], s[4:5], s[8:9]
	s_or_b64 exec, exec, s[6:7]
	s_and_saveexec_b64 s[6:7], s[4:5]
	s_cbranch_execnz .LBB10_735
	s_branch .LBB10_736
.LBB10_2785:
	s_movk_i32 s4, 0x80
	v_cmp_eq_u16_sdwa s[12:13], v9, s4 src0_sel:BYTE_0 src1_sel:DWORD
	s_mov_b64 s[4:5], -1
                                        ; implicit-def: $sgpr10
	s_and_saveexec_b64 s[8:9], s[12:13]
; %bb.2786:
	s_mov_b32 s10, 0x7f800001
	s_xor_b64 s[4:5], exec, -1
; %bb.2787:
	s_or_b64 exec, exec, s[8:9]
	s_and_b64 s[4:5], s[4:5], exec
	s_or_saveexec_b64 s[6:7], s[6:7]
	v_mov_b32_e32 v2, s10
	s_xor_b64 exec, exec, s[6:7]
	s_cbranch_execz .LBB10_738
.LBB10_2788:
	v_mov_b32_e32 v2, 0
	v_cmp_ne_u16_sdwa s[8:9], v9, v2 src0_sel:BYTE_0 src1_sel:DWORD
	s_andn2_b64 s[4:5], s[4:5], exec
	s_and_b64 s[8:9], s[8:9], exec
	s_or_b64 s[4:5], s[4:5], s[8:9]
	s_or_b64 exec, exec, s[6:7]
	s_and_saveexec_b64 s[6:7], s[4:5]
	s_cbranch_execnz .LBB10_739
	s_branch .LBB10_740
.LBB10_2789:
	s_movk_i32 s4, 0x80
	v_cmp_eq_u16_sdwa s[12:13], v5, s4 src0_sel:BYTE_0 src1_sel:DWORD
	s_mov_b64 s[4:5], -1
                                        ; implicit-def: $sgpr10
	s_and_saveexec_b64 s[8:9], s[12:13]
; %bb.2790:
	s_mov_b32 s10, 0x7f800001
	s_xor_b64 s[4:5], exec, -1
; %bb.2791:
	s_or_b64 exec, exec, s[8:9]
	s_and_b64 s[4:5], s[4:5], exec
	s_or_saveexec_b64 s[6:7], s[6:7]
	v_mov_b32_e32 v3, s10
	s_xor_b64 exec, exec, s[6:7]
	s_cbranch_execz .LBB10_742
.LBB10_2792:
	v_mov_b32_e32 v3, 0
	v_cmp_ne_u16_sdwa s[8:9], v5, v3 src0_sel:BYTE_0 src1_sel:DWORD
	s_andn2_b64 s[4:5], s[4:5], exec
	s_and_b64 s[8:9], s[8:9], exec
	s_or_b64 s[4:5], s[4:5], s[8:9]
	s_or_b64 exec, exec, s[6:7]
	s_and_saveexec_b64 s[6:7], s[4:5]
	s_cbranch_execnz .LBB10_743
	s_branch .LBB10_744
.LBB10_2793:
	s_movk_i32 s4, 0x80
	v_cmp_eq_u16_sdwa s[12:13], v3, s4 src0_sel:BYTE_0 src1_sel:DWORD
	s_mov_b64 s[4:5], -1
                                        ; implicit-def: $sgpr10
	s_and_saveexec_b64 s[8:9], s[12:13]
; %bb.2794:
	s_mov_b32 s10, 0x7f800001
	s_xor_b64 s[4:5], exec, -1
; %bb.2795:
	s_or_b64 exec, exec, s[8:9]
	s_and_b64 s[4:5], s[4:5], exec
	s_or_saveexec_b64 s[6:7], s[6:7]
	v_mov_b32_e32 v2, s10
	s_xor_b64 exec, exec, s[6:7]
	s_cbranch_execz .LBB10_746
.LBB10_2796:
	v_mov_b32_e32 v2, 0
	v_cmp_ne_u16_sdwa s[8:9], v3, v2 src0_sel:BYTE_0 src1_sel:DWORD
	s_andn2_b64 s[4:5], s[4:5], exec
	s_and_b64 s[8:9], s[8:9], exec
	s_or_b64 s[4:5], s[4:5], s[8:9]
	s_or_b64 exec, exec, s[6:7]
	s_and_saveexec_b64 s[6:7], s[4:5]
	s_cbranch_execnz .LBB10_747
	s_branch .LBB10_748
.LBB10_2797:
	s_movk_i32 s4, 0x80
	v_cmp_eq_u16_sdwa s[12:13], v3, s4 src0_sel:BYTE_0 src1_sel:DWORD
	s_mov_b64 s[4:5], -1
                                        ; implicit-def: $sgpr10
	s_and_saveexec_b64 s[8:9], s[12:13]
; %bb.2798:
	s_mov_b32 s10, 0x7f800001
	s_xor_b64 s[4:5], exec, -1
; %bb.2799:
	s_or_b64 exec, exec, s[8:9]
	s_and_b64 s[4:5], s[4:5], exec
	s_or_saveexec_b64 s[6:7], s[6:7]
	v_mov_b32_e32 v4, s10
	s_xor_b64 exec, exec, s[6:7]
	s_cbranch_execz .LBB10_750
.LBB10_2800:
	v_mov_b32_e32 v4, 0
	v_cmp_ne_u16_sdwa s[8:9], v3, v4 src0_sel:BYTE_0 src1_sel:DWORD
	s_andn2_b64 s[4:5], s[4:5], exec
	s_and_b64 s[8:9], s[8:9], exec
	s_or_b64 s[4:5], s[4:5], s[8:9]
	s_or_b64 exec, exec, s[6:7]
	s_and_saveexec_b64 s[6:7], s[4:5]
	s_cbranch_execnz .LBB10_751
	s_branch .LBB10_752
.LBB10_2801:
	s_movk_i32 s4, 0x80
	v_cmp_eq_u16_e32 vcc, s4, v3
	s_mov_b64 s[4:5], -1
                                        ; implicit-def: $sgpr10
	s_and_saveexec_b64 s[8:9], vcc
; %bb.2802:
	s_mov_b32 s10, 0x7f800001
	s_xor_b64 s[4:5], exec, -1
; %bb.2803:
	s_or_b64 exec, exec, s[8:9]
	s_and_b64 s[4:5], s[4:5], exec
                                        ; implicit-def: $vgpr3
	s_or_saveexec_b64 s[6:7], s[6:7]
	v_mov_b32_e32 v2, s10
	s_xor_b64 exec, exec, s[6:7]
	s_cbranch_execz .LBB10_754
.LBB10_2804:
	v_cmp_ne_u16_e32 vcc, 0, v3
	s_andn2_b64 s[4:5], s[4:5], exec
	s_and_b64 s[8:9], vcc, exec
	v_mov_b32_e32 v2, 0
	s_or_b64 s[4:5], s[4:5], s[8:9]
	s_or_b64 exec, exec, s[6:7]
	s_and_saveexec_b64 s[6:7], s[4:5]
	s_cbranch_execnz .LBB10_755
	s_branch .LBB10_756
.LBB10_2805:
	s_movk_i32 s4, 0x80
	v_cmp_eq_u16_e32 vcc, s4, v3
	s_mov_b64 s[4:5], -1
                                        ; implicit-def: $sgpr10
	s_and_saveexec_b64 s[8:9], vcc
; %bb.2806:
	s_mov_b32 s10, 0x7f800001
	s_xor_b64 s[4:5], exec, -1
; %bb.2807:
	s_or_b64 exec, exec, s[8:9]
	s_and_b64 s[4:5], s[4:5], exec
                                        ; implicit-def: $vgpr3
	s_or_saveexec_b64 s[6:7], s[6:7]
	v_mov_b32_e32 v4, s10
	s_xor_b64 exec, exec, s[6:7]
	s_cbranch_execz .LBB10_758
.LBB10_2808:
	v_cmp_ne_u16_e32 vcc, 0, v3
	s_andn2_b64 s[4:5], s[4:5], exec
	s_and_b64 s[8:9], vcc, exec
	v_mov_b32_e32 v4, 0
	s_or_b64 s[4:5], s[4:5], s[8:9]
	s_or_b64 exec, exec, s[6:7]
	s_and_saveexec_b64 s[6:7], s[4:5]
	s_cbranch_execnz .LBB10_759
	s_branch .LBB10_760
.LBB10_2809:
	s_movk_i32 s4, 0x80
	v_cmp_eq_u16_sdwa s[12:13], v9, s4 src0_sel:BYTE_3 src1_sel:DWORD
	s_mov_b64 s[4:5], -1
                                        ; implicit-def: $sgpr10
	s_and_saveexec_b64 s[8:9], s[12:13]
; %bb.2810:
	s_mov_b32 s10, 0x7f800001
	s_xor_b64 s[4:5], exec, -1
; %bb.2811:
	s_or_b64 exec, exec, s[8:9]
	s_and_b64 s[4:5], s[4:5], exec
	s_or_saveexec_b64 s[6:7], s[6:7]
	v_mov_b32_e32 v2, s10
	s_xor_b64 exec, exec, s[6:7]
	s_cbranch_execz .LBB10_762
.LBB10_2812:
	v_mov_b32_e32 v2, 0
	v_cmp_ne_u16_sdwa s[8:9], v9, v2 src0_sel:BYTE_3 src1_sel:DWORD
	s_andn2_b64 s[4:5], s[4:5], exec
	s_and_b64 s[8:9], s[8:9], exec
	s_or_b64 s[4:5], s[4:5], s[8:9]
	s_or_b64 exec, exec, s[6:7]
	s_and_saveexec_b64 s[6:7], s[4:5]
	s_cbranch_execnz .LBB10_763
	s_branch .LBB10_764
.LBB10_2813:
	s_movk_i32 s4, 0x80
	v_cmp_eq_u16_sdwa s[12:13], v5, s4 src0_sel:BYTE_3 src1_sel:DWORD
	s_mov_b64 s[4:5], -1
                                        ; implicit-def: $sgpr10
	s_and_saveexec_b64 s[8:9], s[12:13]
; %bb.2814:
	s_mov_b32 s10, 0x7f800001
	s_xor_b64 s[4:5], exec, -1
; %bb.2815:
	s_or_b64 exec, exec, s[8:9]
	s_and_b64 s[4:5], s[4:5], exec
	s_or_saveexec_b64 s[6:7], s[6:7]
	v_mov_b32_e32 v3, s10
	s_xor_b64 exec, exec, s[6:7]
	s_cbranch_execz .LBB10_766
.LBB10_2816:
	v_mov_b32_e32 v3, 0
	v_cmp_ne_u16_sdwa s[8:9], v5, v3 src0_sel:BYTE_3 src1_sel:DWORD
	s_andn2_b64 s[4:5], s[4:5], exec
	s_and_b64 s[8:9], s[8:9], exec
	s_or_b64 s[4:5], s[4:5], s[8:9]
	s_or_b64 exec, exec, s[6:7]
	s_and_saveexec_b64 s[6:7], s[4:5]
	s_cbranch_execnz .LBB10_767
	s_branch .LBB10_768
.LBB10_2817:
	s_movk_i32 s4, 0x80
	v_cmp_eq_u16_sdwa s[12:13], v14, s4 src0_sel:BYTE_0 src1_sel:DWORD
	s_mov_b64 s[4:5], -1
                                        ; implicit-def: $sgpr10
	s_and_saveexec_b64 s[8:9], s[12:13]
; %bb.2818:
	s_mov_b32 s10, 0x7f800001
	s_xor_b64 s[4:5], exec, -1
; %bb.2819:
	s_or_b64 exec, exec, s[8:9]
	s_and_b64 s[4:5], s[4:5], exec
	s_or_saveexec_b64 s[6:7], s[6:7]
	v_mov_b32_e32 v20, s10
	s_xor_b64 exec, exec, s[6:7]
	s_cbranch_execz .LBB10_770
.LBB10_2820:
	v_mov_b32_e32 v20, 0
	v_cmp_ne_u16_sdwa s[8:9], v14, v20 src0_sel:BYTE_0 src1_sel:DWORD
	s_andn2_b64 s[4:5], s[4:5], exec
	s_and_b64 s[8:9], s[8:9], exec
	s_or_b64 s[4:5], s[4:5], s[8:9]
	s_or_b64 exec, exec, s[6:7]
	s_and_saveexec_b64 s[6:7], s[4:5]
	s_cbranch_execnz .LBB10_771
	s_branch .LBB10_772
.LBB10_2821:
	s_movk_i32 s4, 0x80
	v_cmp_eq_u16_sdwa s[12:13], v10, s4 src0_sel:BYTE_0 src1_sel:DWORD
	s_mov_b64 s[4:5], -1
                                        ; implicit-def: $sgpr10
	s_and_saveexec_b64 s[8:9], s[12:13]
; %bb.2822:
	s_mov_b32 s10, 0x7f800001
	s_xor_b64 s[4:5], exec, -1
; %bb.2823:
	s_or_b64 exec, exec, s[8:9]
	s_and_b64 s[4:5], s[4:5], exec
	s_or_saveexec_b64 s[6:7], s[6:7]
	v_mov_b32_e32 v21, s10
	s_xor_b64 exec, exec, s[6:7]
	s_cbranch_execz .LBB10_774
.LBB10_2824:
	v_mov_b32_e32 v21, 0
	v_cmp_ne_u16_sdwa s[8:9], v10, v21 src0_sel:BYTE_0 src1_sel:DWORD
	s_andn2_b64 s[4:5], s[4:5], exec
	s_and_b64 s[8:9], s[8:9], exec
	s_or_b64 s[4:5], s[4:5], s[8:9]
	s_or_b64 exec, exec, s[6:7]
	s_and_saveexec_b64 s[6:7], s[4:5]
	s_cbranch_execnz .LBB10_775
	s_branch .LBB10_776
.LBB10_2825:
	s_movk_i32 s4, 0x80
	v_cmp_eq_u16_sdwa s[12:13], v21, s4 src0_sel:BYTE_0 src1_sel:DWORD
	s_mov_b64 s[4:5], -1
                                        ; implicit-def: $sgpr10
	s_and_saveexec_b64 s[8:9], s[12:13]
; %bb.2826:
	s_mov_b32 s10, 0x7f800001
	s_xor_b64 s[4:5], exec, -1
; %bb.2827:
	s_or_b64 exec, exec, s[8:9]
	s_and_b64 s[4:5], s[4:5], exec
	s_or_saveexec_b64 s[6:7], s[6:7]
	v_mov_b32_e32 v20, s10
	s_xor_b64 exec, exec, s[6:7]
	s_cbranch_execz .LBB10_778
.LBB10_2828:
	v_mov_b32_e32 v20, 0
	v_cmp_ne_u16_sdwa s[8:9], v21, v20 src0_sel:BYTE_0 src1_sel:DWORD
	s_andn2_b64 s[4:5], s[4:5], exec
	s_and_b64 s[8:9], s[8:9], exec
	s_or_b64 s[4:5], s[4:5], s[8:9]
	s_or_b64 exec, exec, s[6:7]
	s_and_saveexec_b64 s[6:7], s[4:5]
	s_cbranch_execnz .LBB10_779
	s_branch .LBB10_780
.LBB10_2829:
	s_movk_i32 s4, 0x80
	v_cmp_eq_u16_sdwa s[12:13], v21, s4 src0_sel:BYTE_0 src1_sel:DWORD
	s_mov_b64 s[4:5], -1
                                        ; implicit-def: $sgpr10
	s_and_saveexec_b64 s[8:9], s[12:13]
; %bb.2830:
	s_mov_b32 s10, 0x7f800001
	s_xor_b64 s[4:5], exec, -1
; %bb.2831:
	s_or_b64 exec, exec, s[8:9]
	s_and_b64 s[4:5], s[4:5], exec
	s_or_saveexec_b64 s[6:7], s[6:7]
	v_mov_b32_e32 v22, s10
	s_xor_b64 exec, exec, s[6:7]
	s_cbranch_execz .LBB10_782
.LBB10_2832:
	v_mov_b32_e32 v22, 0
	v_cmp_ne_u16_sdwa s[8:9], v21, v22 src0_sel:BYTE_0 src1_sel:DWORD
	s_andn2_b64 s[4:5], s[4:5], exec
	s_and_b64 s[8:9], s[8:9], exec
	s_or_b64 s[4:5], s[4:5], s[8:9]
	s_or_b64 exec, exec, s[6:7]
	s_and_saveexec_b64 s[6:7], s[4:5]
	s_cbranch_execnz .LBB10_783
	s_branch .LBB10_784
.LBB10_2833:
	s_movk_i32 s4, 0x80
	v_cmp_eq_u16_e32 vcc, s4, v21
	s_mov_b64 s[4:5], -1
                                        ; implicit-def: $sgpr10
	s_and_saveexec_b64 s[8:9], vcc
; %bb.2834:
	s_mov_b32 s10, 0x7f800001
	s_xor_b64 s[4:5], exec, -1
; %bb.2835:
	s_or_b64 exec, exec, s[8:9]
	s_and_b64 s[4:5], s[4:5], exec
                                        ; implicit-def: $vgpr21
	s_or_saveexec_b64 s[6:7], s[6:7]
	v_mov_b32_e32 v20, s10
	s_xor_b64 exec, exec, s[6:7]
	s_cbranch_execz .LBB10_786
.LBB10_2836:
	v_cmp_ne_u16_e32 vcc, 0, v21
	s_andn2_b64 s[4:5], s[4:5], exec
	s_and_b64 s[8:9], vcc, exec
	v_mov_b32_e32 v20, 0
	s_or_b64 s[4:5], s[4:5], s[8:9]
	s_or_b64 exec, exec, s[6:7]
	s_and_saveexec_b64 s[6:7], s[4:5]
	s_cbranch_execnz .LBB10_787
	s_branch .LBB10_788
.LBB10_2837:
	s_movk_i32 s4, 0x80
	v_cmp_eq_u16_e32 vcc, s4, v21
	s_mov_b64 s[4:5], -1
                                        ; implicit-def: $sgpr10
	s_and_saveexec_b64 s[8:9], vcc
; %bb.2838:
	s_mov_b32 s10, 0x7f800001
	s_xor_b64 s[4:5], exec, -1
; %bb.2839:
	s_or_b64 exec, exec, s[8:9]
	s_and_b64 s[4:5], s[4:5], exec
                                        ; implicit-def: $vgpr21
	s_or_saveexec_b64 s[6:7], s[6:7]
	v_mov_b32_e32 v22, s10
	s_xor_b64 exec, exec, s[6:7]
	s_cbranch_execz .LBB10_790
.LBB10_2840:
	v_cmp_ne_u16_e32 vcc, 0, v21
	s_andn2_b64 s[4:5], s[4:5], exec
	s_and_b64 s[8:9], vcc, exec
	v_mov_b32_e32 v22, 0
	s_or_b64 s[4:5], s[4:5], s[8:9]
	s_or_b64 exec, exec, s[6:7]
	s_and_saveexec_b64 s[6:7], s[4:5]
	s_cbranch_execnz .LBB10_791
	s_branch .LBB10_792
.LBB10_2841:
	s_movk_i32 s4, 0x80
	v_cmp_eq_u16_sdwa s[12:13], v14, s4 src0_sel:BYTE_3 src1_sel:DWORD
	s_mov_b64 s[4:5], -1
                                        ; implicit-def: $sgpr10
	s_and_saveexec_b64 s[8:9], s[12:13]
; %bb.2842:
	s_mov_b32 s10, 0x7f800001
	s_xor_b64 s[4:5], exec, -1
; %bb.2843:
	s_or_b64 exec, exec, s[8:9]
	s_and_b64 s[4:5], s[4:5], exec
	s_or_saveexec_b64 s[6:7], s[6:7]
	v_mov_b32_e32 v20, s10
	s_xor_b64 exec, exec, s[6:7]
	s_cbranch_execz .LBB10_794
.LBB10_2844:
	v_mov_b32_e32 v20, 0
	v_cmp_ne_u16_sdwa s[8:9], v14, v20 src0_sel:BYTE_3 src1_sel:DWORD
	s_andn2_b64 s[4:5], s[4:5], exec
	s_and_b64 s[8:9], s[8:9], exec
	s_or_b64 s[4:5], s[4:5], s[8:9]
	s_or_b64 exec, exec, s[6:7]
	s_and_saveexec_b64 s[6:7], s[4:5]
	s_cbranch_execnz .LBB10_795
	s_branch .LBB10_796
.LBB10_2845:
	s_movk_i32 s4, 0x80
	v_cmp_eq_u16_sdwa s[12:13], v10, s4 src0_sel:BYTE_3 src1_sel:DWORD
	s_mov_b64 s[4:5], -1
                                        ; implicit-def: $sgpr10
	s_and_saveexec_b64 s[8:9], s[12:13]
; %bb.2846:
	s_mov_b32 s10, 0x7f800001
	s_xor_b64 s[4:5], exec, -1
; %bb.2847:
	s_or_b64 exec, exec, s[8:9]
	s_and_b64 s[4:5], s[4:5], exec
	s_or_saveexec_b64 s[6:7], s[6:7]
	v_mov_b32_e32 v14, s10
	s_xor_b64 exec, exec, s[6:7]
	s_cbranch_execz .LBB10_798
.LBB10_2848:
	v_mov_b32_e32 v14, 0
	v_cmp_ne_u16_sdwa s[8:9], v10, v14 src0_sel:BYTE_3 src1_sel:DWORD
	s_andn2_b64 s[4:5], s[4:5], exec
	s_and_b64 s[8:9], s[8:9], exec
	s_or_b64 s[4:5], s[4:5], s[8:9]
	s_or_b64 exec, exec, s[6:7]
	s_and_saveexec_b64 s[6:7], s[4:5]
	s_cbranch_execnz .LBB10_799
	s_branch .LBB10_800
.LBB10_2849:
	s_movk_i32 s4, 0x80
	v_cmp_eq_u16_sdwa s[12:13], v15, s4 src0_sel:BYTE_0 src1_sel:DWORD
	s_mov_b64 s[4:5], -1
                                        ; implicit-def: $sgpr10
	s_and_saveexec_b64 s[8:9], s[12:13]
; %bb.2850:
	s_mov_b32 s10, 0x7f800001
	s_xor_b64 s[4:5], exec, -1
; %bb.2851:
	s_or_b64 exec, exec, s[8:9]
	s_and_b64 s[4:5], s[4:5], exec
	s_or_saveexec_b64 s[6:7], s[6:7]
	v_mov_b32_e32 v10, s10
	s_xor_b64 exec, exec, s[6:7]
	s_cbranch_execz .LBB10_802
.LBB10_2852:
	v_mov_b32_e32 v10, 0
	v_cmp_ne_u16_sdwa s[8:9], v15, v10 src0_sel:BYTE_0 src1_sel:DWORD
	s_andn2_b64 s[4:5], s[4:5], exec
	s_and_b64 s[8:9], s[8:9], exec
	s_or_b64 s[4:5], s[4:5], s[8:9]
	s_or_b64 exec, exec, s[6:7]
	s_and_saveexec_b64 s[6:7], s[4:5]
	s_cbranch_execnz .LBB10_803
	s_branch .LBB10_804
.LBB10_2853:
	s_movk_i32 s4, 0x80
	v_cmp_eq_u16_sdwa s[12:13], v11, s4 src0_sel:BYTE_0 src1_sel:DWORD
	s_mov_b64 s[4:5], -1
                                        ; implicit-def: $sgpr10
	s_and_saveexec_b64 s[8:9], s[12:13]
; %bb.2854:
	s_mov_b32 s10, 0x7f800001
	s_xor_b64 s[4:5], exec, -1
; %bb.2855:
	s_or_b64 exec, exec, s[8:9]
	s_and_b64 s[4:5], s[4:5], exec
	s_or_saveexec_b64 s[6:7], s[6:7]
	v_mov_b32_e32 v14, s10
	s_xor_b64 exec, exec, s[6:7]
	s_cbranch_execz .LBB10_806
.LBB10_2856:
	v_mov_b32_e32 v14, 0
	v_cmp_ne_u16_sdwa s[8:9], v11, v14 src0_sel:BYTE_0 src1_sel:DWORD
	s_andn2_b64 s[4:5], s[4:5], exec
	s_and_b64 s[8:9], s[8:9], exec
	s_or_b64 s[4:5], s[4:5], s[8:9]
	s_or_b64 exec, exec, s[6:7]
	s_and_saveexec_b64 s[6:7], s[4:5]
	s_cbranch_execnz .LBB10_807
	s_branch .LBB10_808
.LBB10_2857:
	s_movk_i32 s4, 0x80
	v_cmp_eq_u16_sdwa s[12:13], v14, s4 src0_sel:BYTE_0 src1_sel:DWORD
	s_mov_b64 s[4:5], -1
                                        ; implicit-def: $sgpr10
	s_and_saveexec_b64 s[8:9], s[12:13]
; %bb.2858:
	s_mov_b32 s10, 0x7f800001
	s_xor_b64 s[4:5], exec, -1
; %bb.2859:
	s_or_b64 exec, exec, s[8:9]
	s_and_b64 s[4:5], s[4:5], exec
	s_or_saveexec_b64 s[6:7], s[6:7]
	v_mov_b32_e32 v10, s10
	s_xor_b64 exec, exec, s[6:7]
	s_cbranch_execz .LBB10_810
.LBB10_2860:
	v_mov_b32_e32 v10, 0
	v_cmp_ne_u16_sdwa s[8:9], v14, v10 src0_sel:BYTE_0 src1_sel:DWORD
	s_andn2_b64 s[4:5], s[4:5], exec
	s_and_b64 s[8:9], s[8:9], exec
	s_or_b64 s[4:5], s[4:5], s[8:9]
	s_or_b64 exec, exec, s[6:7]
	s_and_saveexec_b64 s[6:7], s[4:5]
	s_cbranch_execnz .LBB10_811
	s_branch .LBB10_812
.LBB10_2861:
	s_movk_i32 s4, 0x80
	v_cmp_eq_u16_sdwa s[12:13], v14, s4 src0_sel:BYTE_0 src1_sel:DWORD
	s_mov_b64 s[4:5], -1
                                        ; implicit-def: $sgpr10
	s_and_saveexec_b64 s[8:9], s[12:13]
; %bb.2862:
	s_mov_b32 s10, 0x7f800001
	s_xor_b64 s[4:5], exec, -1
; %bb.2863:
	s_or_b64 exec, exec, s[8:9]
	s_and_b64 s[4:5], s[4:5], exec
	s_or_saveexec_b64 s[6:7], s[6:7]
	v_mov_b32_e32 v20, s10
	s_xor_b64 exec, exec, s[6:7]
	s_cbranch_execz .LBB10_814
.LBB10_2864:
	v_mov_b32_e32 v20, 0
	v_cmp_ne_u16_sdwa s[8:9], v14, v20 src0_sel:BYTE_0 src1_sel:DWORD
	s_andn2_b64 s[4:5], s[4:5], exec
	s_and_b64 s[8:9], s[8:9], exec
	s_or_b64 s[4:5], s[4:5], s[8:9]
	s_or_b64 exec, exec, s[6:7]
	s_and_saveexec_b64 s[6:7], s[4:5]
	s_cbranch_execnz .LBB10_815
	s_branch .LBB10_816
.LBB10_2865:
	s_movk_i32 s4, 0x80
	v_cmp_eq_u16_e32 vcc, s4, v14
	s_mov_b64 s[4:5], -1
                                        ; implicit-def: $sgpr10
	s_and_saveexec_b64 s[8:9], vcc
; %bb.2866:
	s_mov_b32 s10, 0x7f800001
	s_xor_b64 s[4:5], exec, -1
; %bb.2867:
	s_or_b64 exec, exec, s[8:9]
	s_and_b64 s[4:5], s[4:5], exec
                                        ; implicit-def: $vgpr14
	s_or_saveexec_b64 s[6:7], s[6:7]
	v_mov_b32_e32 v10, s10
	s_xor_b64 exec, exec, s[6:7]
	s_cbranch_execz .LBB10_818
.LBB10_2868:
	v_cmp_ne_u16_e32 vcc, 0, v14
	s_andn2_b64 s[4:5], s[4:5], exec
	s_and_b64 s[8:9], vcc, exec
	v_mov_b32_e32 v10, 0
	s_or_b64 s[4:5], s[4:5], s[8:9]
	s_or_b64 exec, exec, s[6:7]
	s_and_saveexec_b64 s[6:7], s[4:5]
	s_cbranch_execnz .LBB10_819
	s_branch .LBB10_820
.LBB10_2869:
	s_movk_i32 s4, 0x80
	v_cmp_eq_u16_e32 vcc, s4, v14
	s_mov_b64 s[4:5], -1
                                        ; implicit-def: $sgpr10
	s_and_saveexec_b64 s[8:9], vcc
; %bb.2870:
	s_mov_b32 s10, 0x7f800001
	s_xor_b64 s[4:5], exec, -1
; %bb.2871:
	s_or_b64 exec, exec, s[8:9]
	s_and_b64 s[4:5], s[4:5], exec
                                        ; implicit-def: $vgpr14
	s_or_saveexec_b64 s[6:7], s[6:7]
	v_mov_b32_e32 v20, s10
	s_xor_b64 exec, exec, s[6:7]
	s_cbranch_execz .LBB10_822
.LBB10_2872:
	v_cmp_ne_u16_e32 vcc, 0, v14
	s_andn2_b64 s[4:5], s[4:5], exec
	s_and_b64 s[8:9], vcc, exec
	v_mov_b32_e32 v20, 0
	s_or_b64 s[4:5], s[4:5], s[8:9]
	s_or_b64 exec, exec, s[6:7]
	s_and_saveexec_b64 s[6:7], s[4:5]
	s_cbranch_execnz .LBB10_823
	s_branch .LBB10_824
.LBB10_2873:
	s_movk_i32 s4, 0x80
	v_cmp_eq_u16_sdwa s[12:13], v15, s4 src0_sel:BYTE_3 src1_sel:DWORD
	s_mov_b64 s[4:5], -1
                                        ; implicit-def: $sgpr10
	s_and_saveexec_b64 s[8:9], s[12:13]
; %bb.2874:
	s_mov_b32 s10, 0x7f800001
	s_xor_b64 s[4:5], exec, -1
; %bb.2875:
	s_or_b64 exec, exec, s[8:9]
	s_and_b64 s[4:5], s[4:5], exec
	s_or_saveexec_b64 s[6:7], s[6:7]
	v_mov_b32_e32 v10, s10
	s_xor_b64 exec, exec, s[6:7]
	s_cbranch_execz .LBB10_826
.LBB10_2876:
	v_mov_b32_e32 v10, 0
	v_cmp_ne_u16_sdwa s[8:9], v15, v10 src0_sel:BYTE_3 src1_sel:DWORD
	s_andn2_b64 s[4:5], s[4:5], exec
	s_and_b64 s[8:9], s[8:9], exec
	s_or_b64 s[4:5], s[4:5], s[8:9]
	s_or_b64 exec, exec, s[6:7]
	s_and_saveexec_b64 s[6:7], s[4:5]
	s_cbranch_execnz .LBB10_827
	s_branch .LBB10_828
.LBB10_2877:
	s_movk_i32 s4, 0x80
	v_cmp_eq_u16_sdwa s[12:13], v11, s4 src0_sel:BYTE_3 src1_sel:DWORD
	s_mov_b64 s[4:5], -1
                                        ; implicit-def: $sgpr10
	s_and_saveexec_b64 s[8:9], s[12:13]
; %bb.2878:
	s_mov_b32 s10, 0x7f800001
	s_xor_b64 s[4:5], exec, -1
; %bb.2879:
	s_or_b64 exec, exec, s[8:9]
	s_and_b64 s[4:5], s[4:5], exec
	s_or_saveexec_b64 s[6:7], s[6:7]
	v_mov_b32_e32 v14, s10
	s_xor_b64 exec, exec, s[6:7]
	s_cbranch_execz .LBB10_830
.LBB10_2880:
	v_mov_b32_e32 v14, 0
	v_cmp_ne_u16_sdwa s[8:9], v11, v14 src0_sel:BYTE_3 src1_sel:DWORD
	s_andn2_b64 s[4:5], s[4:5], exec
	s_and_b64 s[8:9], s[8:9], exec
	s_or_b64 s[4:5], s[4:5], s[8:9]
	s_or_b64 exec, exec, s[6:7]
	s_and_saveexec_b64 s[6:7], s[4:5]
	s_cbranch_execnz .LBB10_831
	s_branch .LBB10_832
.LBB10_2881:
	s_movk_i32 s4, 0x80
	v_cmp_eq_u16_sdwa s[12:13], v16, s4 src0_sel:BYTE_0 src1_sel:DWORD
	s_mov_b64 s[4:5], -1
                                        ; implicit-def: $sgpr10
	s_and_saveexec_b64 s[8:9], s[12:13]
; %bb.2882:
	s_mov_b32 s10, 0x7f800001
	s_xor_b64 s[4:5], exec, -1
; %bb.2883:
	s_or_b64 exec, exec, s[8:9]
	s_and_b64 s[4:5], s[4:5], exec
	s_or_saveexec_b64 s[6:7], s[6:7]
	v_mov_b32_e32 v10, s10
	s_xor_b64 exec, exec, s[6:7]
	s_cbranch_execz .LBB10_834
.LBB10_2884:
	v_mov_b32_e32 v10, 0
	v_cmp_ne_u16_sdwa s[8:9], v16, v10 src0_sel:BYTE_0 src1_sel:DWORD
	s_andn2_b64 s[4:5], s[4:5], exec
	s_and_b64 s[8:9], s[8:9], exec
	s_or_b64 s[4:5], s[4:5], s[8:9]
	s_or_b64 exec, exec, s[6:7]
	s_and_saveexec_b64 s[6:7], s[4:5]
	s_cbranch_execnz .LBB10_835
	s_branch .LBB10_836
.LBB10_2885:
	s_movk_i32 s4, 0x80
	v_cmp_eq_u16_sdwa s[12:13], v12, s4 src0_sel:BYTE_0 src1_sel:DWORD
	s_mov_b64 s[4:5], -1
                                        ; implicit-def: $sgpr10
	s_and_saveexec_b64 s[8:9], s[12:13]
; %bb.2886:
	s_mov_b32 s10, 0x7f800001
	s_xor_b64 s[4:5], exec, -1
; %bb.2887:
	s_or_b64 exec, exec, s[8:9]
	s_and_b64 s[4:5], s[4:5], exec
	s_or_saveexec_b64 s[6:7], s[6:7]
	v_mov_b32_e32 v11, s10
	s_xor_b64 exec, exec, s[6:7]
	s_cbranch_execz .LBB10_838
.LBB10_2888:
	v_mov_b32_e32 v11, 0
	v_cmp_ne_u16_sdwa s[8:9], v12, v11 src0_sel:BYTE_0 src1_sel:DWORD
	s_andn2_b64 s[4:5], s[4:5], exec
	s_and_b64 s[8:9], s[8:9], exec
	s_or_b64 s[4:5], s[4:5], s[8:9]
	s_or_b64 exec, exec, s[6:7]
	s_and_saveexec_b64 s[6:7], s[4:5]
	s_cbranch_execnz .LBB10_839
	s_branch .LBB10_840
.LBB10_2889:
	s_movk_i32 s4, 0x80
	v_cmp_eq_u16_sdwa s[12:13], v11, s4 src0_sel:BYTE_0 src1_sel:DWORD
	s_mov_b64 s[4:5], -1
                                        ; implicit-def: $sgpr10
	s_and_saveexec_b64 s[8:9], s[12:13]
; %bb.2890:
	s_mov_b32 s10, 0x7f800001
	s_xor_b64 s[4:5], exec, -1
; %bb.2891:
	s_or_b64 exec, exec, s[8:9]
	s_and_b64 s[4:5], s[4:5], exec
	s_or_saveexec_b64 s[6:7], s[6:7]
	v_mov_b32_e32 v10, s10
	s_xor_b64 exec, exec, s[6:7]
	s_cbranch_execz .LBB10_842
.LBB10_2892:
	v_mov_b32_e32 v10, 0
	v_cmp_ne_u16_sdwa s[8:9], v11, v10 src0_sel:BYTE_0 src1_sel:DWORD
	s_andn2_b64 s[4:5], s[4:5], exec
	s_and_b64 s[8:9], s[8:9], exec
	s_or_b64 s[4:5], s[4:5], s[8:9]
	s_or_b64 exec, exec, s[6:7]
	s_and_saveexec_b64 s[6:7], s[4:5]
	s_cbranch_execnz .LBB10_843
	s_branch .LBB10_844
.LBB10_2893:
	s_movk_i32 s4, 0x80
	v_cmp_eq_u16_sdwa s[12:13], v11, s4 src0_sel:BYTE_0 src1_sel:DWORD
	s_mov_b64 s[4:5], -1
                                        ; implicit-def: $sgpr10
	s_and_saveexec_b64 s[8:9], s[12:13]
; %bb.2894:
	s_mov_b32 s10, 0x7f800001
	s_xor_b64 s[4:5], exec, -1
; %bb.2895:
	s_or_b64 exec, exec, s[8:9]
	s_and_b64 s[4:5], s[4:5], exec
	s_or_saveexec_b64 s[6:7], s[6:7]
	v_mov_b32_e32 v14, s10
	s_xor_b64 exec, exec, s[6:7]
	s_cbranch_execz .LBB10_846
.LBB10_2896:
	v_mov_b32_e32 v14, 0
	v_cmp_ne_u16_sdwa s[8:9], v11, v14 src0_sel:BYTE_0 src1_sel:DWORD
	s_andn2_b64 s[4:5], s[4:5], exec
	s_and_b64 s[8:9], s[8:9], exec
	s_or_b64 s[4:5], s[4:5], s[8:9]
	s_or_b64 exec, exec, s[6:7]
	s_and_saveexec_b64 s[6:7], s[4:5]
	s_cbranch_execnz .LBB10_847
	s_branch .LBB10_848
.LBB10_2897:
	s_movk_i32 s4, 0x80
	v_cmp_eq_u16_e32 vcc, s4, v11
	s_mov_b64 s[4:5], -1
                                        ; implicit-def: $sgpr10
	s_and_saveexec_b64 s[8:9], vcc
; %bb.2898:
	s_mov_b32 s10, 0x7f800001
	s_xor_b64 s[4:5], exec, -1
; %bb.2899:
	s_or_b64 exec, exec, s[8:9]
	s_and_b64 s[4:5], s[4:5], exec
                                        ; implicit-def: $vgpr11
	s_or_saveexec_b64 s[6:7], s[6:7]
	v_mov_b32_e32 v10, s10
	s_xor_b64 exec, exec, s[6:7]
	s_cbranch_execz .LBB10_850
.LBB10_2900:
	v_cmp_ne_u16_e32 vcc, 0, v11
	s_andn2_b64 s[4:5], s[4:5], exec
	s_and_b64 s[8:9], vcc, exec
	v_mov_b32_e32 v10, 0
	s_or_b64 s[4:5], s[4:5], s[8:9]
	s_or_b64 exec, exec, s[6:7]
	s_and_saveexec_b64 s[6:7], s[4:5]
	s_cbranch_execnz .LBB10_851
	s_branch .LBB10_852
.LBB10_2901:
	s_movk_i32 s4, 0x80
	v_cmp_eq_u16_e32 vcc, s4, v11
	s_mov_b64 s[4:5], -1
                                        ; implicit-def: $sgpr10
	s_and_saveexec_b64 s[8:9], vcc
; %bb.2902:
	s_mov_b32 s10, 0x7f800001
	s_xor_b64 s[4:5], exec, -1
; %bb.2903:
	s_or_b64 exec, exec, s[8:9]
	s_and_b64 s[4:5], s[4:5], exec
                                        ; implicit-def: $vgpr11
	s_or_saveexec_b64 s[6:7], s[6:7]
	v_mov_b32_e32 v14, s10
	s_xor_b64 exec, exec, s[6:7]
	s_cbranch_execz .LBB10_854
.LBB10_2904:
	v_cmp_ne_u16_e32 vcc, 0, v11
	s_andn2_b64 s[4:5], s[4:5], exec
	s_and_b64 s[8:9], vcc, exec
	v_mov_b32_e32 v14, 0
	s_or_b64 s[4:5], s[4:5], s[8:9]
	s_or_b64 exec, exec, s[6:7]
	s_and_saveexec_b64 s[6:7], s[4:5]
	s_cbranch_execnz .LBB10_855
	s_branch .LBB10_856
.LBB10_2905:
	s_movk_i32 s4, 0x80
	v_cmp_eq_u16_sdwa s[12:13], v16, s4 src0_sel:BYTE_3 src1_sel:DWORD
	s_mov_b64 s[4:5], -1
                                        ; implicit-def: $sgpr10
	s_and_saveexec_b64 s[8:9], s[12:13]
; %bb.2906:
	s_mov_b32 s10, 0x7f800001
	s_xor_b64 s[4:5], exec, -1
; %bb.2907:
	s_or_b64 exec, exec, s[8:9]
	s_and_b64 s[4:5], s[4:5], exec
	s_or_saveexec_b64 s[6:7], s[6:7]
	v_mov_b32_e32 v10, s10
	s_xor_b64 exec, exec, s[6:7]
	s_cbranch_execz .LBB10_858
.LBB10_2908:
	v_mov_b32_e32 v10, 0
	v_cmp_ne_u16_sdwa s[8:9], v16, v10 src0_sel:BYTE_3 src1_sel:DWORD
	s_andn2_b64 s[4:5], s[4:5], exec
	s_and_b64 s[8:9], s[8:9], exec
	s_or_b64 s[4:5], s[4:5], s[8:9]
	s_or_b64 exec, exec, s[6:7]
	s_and_saveexec_b64 s[6:7], s[4:5]
	s_cbranch_execnz .LBB10_859
	s_branch .LBB10_860
.LBB10_2909:
	s_movk_i32 s4, 0x80
	v_cmp_eq_u16_sdwa s[12:13], v12, s4 src0_sel:BYTE_3 src1_sel:DWORD
	s_mov_b64 s[4:5], -1
                                        ; implicit-def: $sgpr10
	s_and_saveexec_b64 s[8:9], s[12:13]
; %bb.2910:
	s_mov_b32 s10, 0x7f800001
	s_xor_b64 s[4:5], exec, -1
; %bb.2911:
	s_or_b64 exec, exec, s[8:9]
	s_and_b64 s[4:5], s[4:5], exec
	s_or_saveexec_b64 s[6:7], s[6:7]
	v_mov_b32_e32 v11, s10
	s_xor_b64 exec, exec, s[6:7]
	s_cbranch_execz .LBB10_862
.LBB10_2912:
	v_mov_b32_e32 v11, 0
	v_cmp_ne_u16_sdwa s[8:9], v12, v11 src0_sel:BYTE_3 src1_sel:DWORD
	s_andn2_b64 s[4:5], s[4:5], exec
	s_and_b64 s[8:9], s[8:9], exec
	s_or_b64 s[4:5], s[4:5], s[8:9]
	s_or_b64 exec, exec, s[6:7]
	s_and_saveexec_b64 s[6:7], s[4:5]
	s_cbranch_execnz .LBB10_863
	s_branch .LBB10_864
.LBB10_2913:
	s_movk_i32 s4, 0x80
	v_cmp_eq_u16_sdwa s[12:13], v17, s4 src0_sel:BYTE_0 src1_sel:DWORD
	s_mov_b64 s[4:5], -1
                                        ; implicit-def: $sgpr10
	s_and_saveexec_b64 s[8:9], s[12:13]
; %bb.2914:
	s_mov_b32 s10, 0x7f800001
	s_xor_b64 s[4:5], exec, -1
; %bb.2915:
	s_or_b64 exec, exec, s[8:9]
	s_and_b64 s[4:5], s[4:5], exec
	s_or_saveexec_b64 s[6:7], s[6:7]
	v_mov_b32_e32 v10, s10
	s_xor_b64 exec, exec, s[6:7]
	s_cbranch_execz .LBB10_866
.LBB10_2916:
	v_mov_b32_e32 v10, 0
	v_cmp_ne_u16_sdwa s[8:9], v17, v10 src0_sel:BYTE_0 src1_sel:DWORD
	s_andn2_b64 s[4:5], s[4:5], exec
	s_and_b64 s[8:9], s[8:9], exec
	s_or_b64 s[4:5], s[4:5], s[8:9]
	s_or_b64 exec, exec, s[6:7]
	s_and_saveexec_b64 s[6:7], s[4:5]
	s_cbranch_execnz .LBB10_867
	s_branch .LBB10_868
.LBB10_2917:
	s_movk_i32 s4, 0x80
	v_cmp_eq_u16_sdwa s[12:13], v13, s4 src0_sel:BYTE_0 src1_sel:DWORD
	s_mov_b64 s[4:5], -1
                                        ; implicit-def: $sgpr10
	s_and_saveexec_b64 s[8:9], s[12:13]
; %bb.2918:
	s_mov_b32 s10, 0x7f800001
	s_xor_b64 s[4:5], exec, -1
; %bb.2919:
	s_or_b64 exec, exec, s[8:9]
	s_and_b64 s[4:5], s[4:5], exec
	s_or_saveexec_b64 s[6:7], s[6:7]
	v_mov_b32_e32 v11, s10
	s_xor_b64 exec, exec, s[6:7]
	s_cbranch_execz .LBB10_870
.LBB10_2920:
	v_mov_b32_e32 v11, 0
	v_cmp_ne_u16_sdwa s[8:9], v13, v11 src0_sel:BYTE_0 src1_sel:DWORD
	s_andn2_b64 s[4:5], s[4:5], exec
	s_and_b64 s[8:9], s[8:9], exec
	s_or_b64 s[4:5], s[4:5], s[8:9]
	s_or_b64 exec, exec, s[6:7]
	s_and_saveexec_b64 s[6:7], s[4:5]
	s_cbranch_execnz .LBB10_871
	s_branch .LBB10_872
.LBB10_2921:
	s_movk_i32 s4, 0x80
	v_cmp_eq_u16_sdwa s[12:13], v11, s4 src0_sel:BYTE_0 src1_sel:DWORD
	s_mov_b64 s[4:5], -1
                                        ; implicit-def: $sgpr10
	s_and_saveexec_b64 s[8:9], s[12:13]
; %bb.2922:
	s_mov_b32 s10, 0x7f800001
	s_xor_b64 s[4:5], exec, -1
; %bb.2923:
	s_or_b64 exec, exec, s[8:9]
	s_and_b64 s[4:5], s[4:5], exec
	s_or_saveexec_b64 s[6:7], s[6:7]
	v_mov_b32_e32 v10, s10
	s_xor_b64 exec, exec, s[6:7]
	s_cbranch_execz .LBB10_874
.LBB10_2924:
	v_mov_b32_e32 v10, 0
	v_cmp_ne_u16_sdwa s[8:9], v11, v10 src0_sel:BYTE_0 src1_sel:DWORD
	s_andn2_b64 s[4:5], s[4:5], exec
	s_and_b64 s[8:9], s[8:9], exec
	s_or_b64 s[4:5], s[4:5], s[8:9]
	s_or_b64 exec, exec, s[6:7]
	s_and_saveexec_b64 s[6:7], s[4:5]
	s_cbranch_execnz .LBB10_875
	s_branch .LBB10_876
.LBB10_2925:
	s_movk_i32 s4, 0x80
	v_cmp_eq_u16_sdwa s[12:13], v11, s4 src0_sel:BYTE_0 src1_sel:DWORD
	s_mov_b64 s[4:5], -1
                                        ; implicit-def: $sgpr10
	s_and_saveexec_b64 s[8:9], s[12:13]
; %bb.2926:
	s_mov_b32 s10, 0x7f800001
	s_xor_b64 s[4:5], exec, -1
; %bb.2927:
	s_or_b64 exec, exec, s[8:9]
	s_and_b64 s[4:5], s[4:5], exec
	s_or_saveexec_b64 s[6:7], s[6:7]
	v_mov_b32_e32 v12, s10
	s_xor_b64 exec, exec, s[6:7]
	s_cbranch_execz .LBB10_878
.LBB10_2928:
	v_mov_b32_e32 v12, 0
	v_cmp_ne_u16_sdwa s[8:9], v11, v12 src0_sel:BYTE_0 src1_sel:DWORD
	s_andn2_b64 s[4:5], s[4:5], exec
	s_and_b64 s[8:9], s[8:9], exec
	s_or_b64 s[4:5], s[4:5], s[8:9]
	s_or_b64 exec, exec, s[6:7]
	s_and_saveexec_b64 s[6:7], s[4:5]
	s_cbranch_execnz .LBB10_879
	s_branch .LBB10_880
.LBB10_2929:
	s_movk_i32 s4, 0x80
	v_cmp_eq_u16_e32 vcc, s4, v11
	s_mov_b64 s[4:5], -1
                                        ; implicit-def: $sgpr10
	s_and_saveexec_b64 s[8:9], vcc
; %bb.2930:
	s_mov_b32 s10, 0x7f800001
	s_xor_b64 s[4:5], exec, -1
; %bb.2931:
	s_or_b64 exec, exec, s[8:9]
	s_and_b64 s[4:5], s[4:5], exec
                                        ; implicit-def: $vgpr11
	s_or_saveexec_b64 s[6:7], s[6:7]
	v_mov_b32_e32 v10, s10
	s_xor_b64 exec, exec, s[6:7]
	s_cbranch_execz .LBB10_882
.LBB10_2932:
	v_cmp_ne_u16_e32 vcc, 0, v11
	s_andn2_b64 s[4:5], s[4:5], exec
	s_and_b64 s[8:9], vcc, exec
	v_mov_b32_e32 v10, 0
	s_or_b64 s[4:5], s[4:5], s[8:9]
	s_or_b64 exec, exec, s[6:7]
	s_and_saveexec_b64 s[6:7], s[4:5]
	s_cbranch_execnz .LBB10_883
	s_branch .LBB10_884
.LBB10_2933:
	s_movk_i32 s4, 0x80
	v_cmp_eq_u16_e32 vcc, s4, v11
	s_mov_b64 s[4:5], -1
                                        ; implicit-def: $sgpr10
	s_and_saveexec_b64 s[8:9], vcc
; %bb.2934:
	s_mov_b32 s10, 0x7f800001
	s_xor_b64 s[4:5], exec, -1
; %bb.2935:
	s_or_b64 exec, exec, s[8:9]
	s_and_b64 s[4:5], s[4:5], exec
                                        ; implicit-def: $vgpr11
	s_or_saveexec_b64 s[6:7], s[6:7]
	v_mov_b32_e32 v12, s10
	s_xor_b64 exec, exec, s[6:7]
	s_cbranch_execz .LBB10_886
.LBB10_2936:
	v_cmp_ne_u16_e32 vcc, 0, v11
	s_andn2_b64 s[4:5], s[4:5], exec
	s_and_b64 s[8:9], vcc, exec
	v_mov_b32_e32 v12, 0
	s_or_b64 s[4:5], s[4:5], s[8:9]
	s_or_b64 exec, exec, s[6:7]
	s_and_saveexec_b64 s[6:7], s[4:5]
	s_cbranch_execnz .LBB10_887
	s_branch .LBB10_888
.LBB10_2937:
	s_movk_i32 s4, 0x80
	v_cmp_eq_u16_sdwa s[12:13], v17, s4 src0_sel:BYTE_3 src1_sel:DWORD
	s_mov_b64 s[4:5], -1
                                        ; implicit-def: $sgpr10
	s_and_saveexec_b64 s[8:9], s[12:13]
; %bb.2938:
	s_mov_b32 s10, 0x7f800001
	s_xor_b64 s[4:5], exec, -1
; %bb.2939:
	s_or_b64 exec, exec, s[8:9]
	s_and_b64 s[4:5], s[4:5], exec
	s_or_saveexec_b64 s[6:7], s[6:7]
	v_mov_b32_e32 v10, s10
	s_xor_b64 exec, exec, s[6:7]
	s_cbranch_execz .LBB10_890
.LBB10_2940:
	v_mov_b32_e32 v10, 0
	v_cmp_ne_u16_sdwa s[8:9], v17, v10 src0_sel:BYTE_3 src1_sel:DWORD
	s_andn2_b64 s[4:5], s[4:5], exec
	s_and_b64 s[8:9], s[8:9], exec
	s_or_b64 s[4:5], s[4:5], s[8:9]
	s_or_b64 exec, exec, s[6:7]
	s_and_saveexec_b64 s[6:7], s[4:5]
	s_cbranch_execnz .LBB10_891
	s_branch .LBB10_892
.LBB10_2941:
	s_movk_i32 s4, 0x80
	v_cmp_eq_u16_sdwa s[12:13], v13, s4 src0_sel:BYTE_3 src1_sel:DWORD
	s_mov_b64 s[4:5], -1
                                        ; implicit-def: $sgpr10
	s_and_saveexec_b64 s[8:9], s[12:13]
; %bb.2942:
	s_mov_b32 s10, 0x7f800001
	s_xor_b64 s[4:5], exec, -1
; %bb.2943:
	s_or_b64 exec, exec, s[8:9]
	s_and_b64 s[4:5], s[4:5], exec
	s_or_saveexec_b64 s[6:7], s[6:7]
	v_mov_b32_e32 v11, s10
	s_xor_b64 exec, exec, s[6:7]
	s_cbranch_execz .LBB10_894
.LBB10_2944:
	v_mov_b32_e32 v11, 0
	v_cmp_ne_u16_sdwa s[8:9], v13, v11 src0_sel:BYTE_3 src1_sel:DWORD
	s_andn2_b64 s[4:5], s[4:5], exec
	s_and_b64 s[8:9], s[8:9], exec
	s_or_b64 s[4:5], s[4:5], s[8:9]
	s_or_b64 exec, exec, s[6:7]
	s_and_saveexec_b64 s[6:7], s[4:5]
	s_cbranch_execnz .LBB10_895
	s_branch .LBB10_896
.LBB10_2945:
	s_movk_i32 s4, 0x80
	v_cmp_eq_u16_sdwa s[12:13], v6, s4 src0_sel:BYTE_0 src1_sel:DWORD
	s_mov_b64 s[4:5], -1
                                        ; implicit-def: $sgpr10
	s_and_saveexec_b64 s[8:9], s[12:13]
; %bb.2946:
	s_mov_b32 s10, 0x7f800001
	s_xor_b64 s[4:5], exec, -1
; %bb.2947:
	s_or_b64 exec, exec, s[8:9]
	s_and_b64 s[4:5], s[4:5], exec
	s_or_saveexec_b64 s[6:7], s[6:7]
	v_mov_b32_e32 v10, s10
	s_xor_b64 exec, exec, s[6:7]
	s_cbranch_execz .LBB10_898
.LBB10_2948:
	v_mov_b32_e32 v10, 0
	v_cmp_ne_u16_sdwa s[8:9], v6, v10 src0_sel:BYTE_0 src1_sel:DWORD
	s_andn2_b64 s[4:5], s[4:5], exec
	s_and_b64 s[8:9], s[8:9], exec
	s_or_b64 s[4:5], s[4:5], s[8:9]
	s_or_b64 exec, exec, s[6:7]
	s_and_saveexec_b64 s[6:7], s[4:5]
	s_cbranch_execnz .LBB10_899
	s_branch .LBB10_900
.LBB10_2949:
	s_movk_i32 s4, 0x80
	v_cmp_eq_u16_sdwa s[12:13], v2, s4 src0_sel:BYTE_0 src1_sel:DWORD
	s_mov_b64 s[4:5], -1
                                        ; implicit-def: $sgpr10
	s_and_saveexec_b64 s[8:9], s[12:13]
; %bb.2950:
	s_mov_b32 s10, 0x7f800001
	s_xor_b64 s[4:5], exec, -1
; %bb.2951:
	s_or_b64 exec, exec, s[8:9]
	s_and_b64 s[4:5], s[4:5], exec
	s_or_saveexec_b64 s[6:7], s[6:7]
	v_mov_b32_e32 v11, s10
	s_xor_b64 exec, exec, s[6:7]
	s_cbranch_execz .LBB10_902
.LBB10_2952:
	v_mov_b32_e32 v11, 0
	v_cmp_ne_u16_sdwa s[8:9], v2, v11 src0_sel:BYTE_0 src1_sel:DWORD
	s_andn2_b64 s[4:5], s[4:5], exec
	s_and_b64 s[8:9], s[8:9], exec
	s_or_b64 s[4:5], s[4:5], s[8:9]
	s_or_b64 exec, exec, s[6:7]
	s_and_saveexec_b64 s[6:7], s[4:5]
	s_cbranch_execnz .LBB10_903
	s_branch .LBB10_904
.LBB10_2953:
	s_movk_i32 s4, 0x80
	v_cmp_eq_u16_sdwa s[12:13], v11, s4 src0_sel:BYTE_0 src1_sel:DWORD
	s_mov_b64 s[4:5], -1
                                        ; implicit-def: $sgpr10
	s_and_saveexec_b64 s[8:9], s[12:13]
; %bb.2954:
	s_mov_b32 s10, 0x7f800001
	s_xor_b64 s[4:5], exec, -1
; %bb.2955:
	s_or_b64 exec, exec, s[8:9]
	s_and_b64 s[4:5], s[4:5], exec
	s_or_saveexec_b64 s[6:7], s[6:7]
	v_mov_b32_e32 v10, s10
	s_xor_b64 exec, exec, s[6:7]
	s_cbranch_execz .LBB10_906
.LBB10_2956:
	v_mov_b32_e32 v10, 0
	v_cmp_ne_u16_sdwa s[8:9], v11, v10 src0_sel:BYTE_0 src1_sel:DWORD
	s_andn2_b64 s[4:5], s[4:5], exec
	s_and_b64 s[8:9], s[8:9], exec
	s_or_b64 s[4:5], s[4:5], s[8:9]
	s_or_b64 exec, exec, s[6:7]
	s_and_saveexec_b64 s[6:7], s[4:5]
	s_cbranch_execnz .LBB10_907
	s_branch .LBB10_908
.LBB10_2957:
	s_movk_i32 s4, 0x80
	v_cmp_eq_u16_sdwa s[12:13], v11, s4 src0_sel:BYTE_0 src1_sel:DWORD
	s_mov_b64 s[4:5], -1
                                        ; implicit-def: $sgpr10
	s_and_saveexec_b64 s[8:9], s[12:13]
; %bb.2958:
	s_mov_b32 s10, 0x7f800001
	s_xor_b64 s[4:5], exec, -1
; %bb.2959:
	s_or_b64 exec, exec, s[8:9]
	s_and_b64 s[4:5], s[4:5], exec
	s_or_saveexec_b64 s[6:7], s[6:7]
	v_mov_b32_e32 v12, s10
	s_xor_b64 exec, exec, s[6:7]
	s_cbranch_execz .LBB10_910
.LBB10_2960:
	v_mov_b32_e32 v12, 0
	v_cmp_ne_u16_sdwa s[8:9], v11, v12 src0_sel:BYTE_0 src1_sel:DWORD
	s_andn2_b64 s[4:5], s[4:5], exec
	s_and_b64 s[8:9], s[8:9], exec
	s_or_b64 s[4:5], s[4:5], s[8:9]
	s_or_b64 exec, exec, s[6:7]
	s_and_saveexec_b64 s[6:7], s[4:5]
	s_cbranch_execnz .LBB10_911
	s_branch .LBB10_912
.LBB10_2961:
	s_movk_i32 s4, 0x80
	v_cmp_eq_u16_e32 vcc, s4, v11
	s_mov_b64 s[4:5], -1
                                        ; implicit-def: $sgpr10
	s_and_saveexec_b64 s[8:9], vcc
; %bb.2962:
	s_mov_b32 s10, 0x7f800001
	s_xor_b64 s[4:5], exec, -1
; %bb.2963:
	s_or_b64 exec, exec, s[8:9]
	s_and_b64 s[4:5], s[4:5], exec
                                        ; implicit-def: $vgpr11
	s_or_saveexec_b64 s[6:7], s[6:7]
	v_mov_b32_e32 v10, s10
	s_xor_b64 exec, exec, s[6:7]
	s_cbranch_execz .LBB10_914
.LBB10_2964:
	v_cmp_ne_u16_e32 vcc, 0, v11
	s_andn2_b64 s[4:5], s[4:5], exec
	s_and_b64 s[8:9], vcc, exec
	v_mov_b32_e32 v10, 0
	s_or_b64 s[4:5], s[4:5], s[8:9]
	s_or_b64 exec, exec, s[6:7]
	s_and_saveexec_b64 s[6:7], s[4:5]
	s_cbranch_execnz .LBB10_915
	s_branch .LBB10_916
.LBB10_2965:
	s_movk_i32 s4, 0x80
	v_cmp_eq_u16_e32 vcc, s4, v11
	s_mov_b64 s[4:5], -1
                                        ; implicit-def: $sgpr10
	s_and_saveexec_b64 s[8:9], vcc
; %bb.2966:
	s_mov_b32 s10, 0x7f800001
	s_xor_b64 s[4:5], exec, -1
; %bb.2967:
	s_or_b64 exec, exec, s[8:9]
	s_and_b64 s[4:5], s[4:5], exec
                                        ; implicit-def: $vgpr11
	s_or_saveexec_b64 s[6:7], s[6:7]
	v_mov_b32_e32 v12, s10
	s_xor_b64 exec, exec, s[6:7]
	s_cbranch_execz .LBB10_918
.LBB10_2968:
	v_cmp_ne_u16_e32 vcc, 0, v11
	s_andn2_b64 s[4:5], s[4:5], exec
	s_and_b64 s[8:9], vcc, exec
	v_mov_b32_e32 v12, 0
	s_or_b64 s[4:5], s[4:5], s[8:9]
	s_or_b64 exec, exec, s[6:7]
	s_and_saveexec_b64 s[6:7], s[4:5]
	s_cbranch_execnz .LBB10_919
	s_branch .LBB10_920
.LBB10_2969:
	s_movk_i32 s4, 0x80
	v_cmp_eq_u16_sdwa s[12:13], v6, s4 src0_sel:BYTE_3 src1_sel:DWORD
	s_mov_b64 s[4:5], -1
                                        ; implicit-def: $sgpr10
	s_and_saveexec_b64 s[8:9], s[12:13]
; %bb.2970:
	s_mov_b32 s10, 0x7f800001
	s_xor_b64 s[4:5], exec, -1
; %bb.2971:
	s_or_b64 exec, exec, s[8:9]
	s_and_b64 s[4:5], s[4:5], exec
	s_or_saveexec_b64 s[6:7], s[6:7]
	v_mov_b32_e32 v10, s10
	s_xor_b64 exec, exec, s[6:7]
	s_cbranch_execz .LBB10_922
.LBB10_2972:
	v_mov_b32_e32 v10, 0
	v_cmp_ne_u16_sdwa s[8:9], v6, v10 src0_sel:BYTE_3 src1_sel:DWORD
	s_andn2_b64 s[4:5], s[4:5], exec
	s_and_b64 s[8:9], s[8:9], exec
	s_or_b64 s[4:5], s[4:5], s[8:9]
	s_or_b64 exec, exec, s[6:7]
	s_and_saveexec_b64 s[6:7], s[4:5]
	s_cbranch_execnz .LBB10_923
	s_branch .LBB10_924
.LBB10_2973:
	s_movk_i32 s4, 0x80
	v_cmp_eq_u16_sdwa s[12:13], v2, s4 src0_sel:BYTE_3 src1_sel:DWORD
	s_mov_b64 s[4:5], -1
                                        ; implicit-def: $sgpr10
	s_and_saveexec_b64 s[8:9], s[12:13]
; %bb.2974:
	s_mov_b32 s10, 0x7f800001
	s_xor_b64 s[4:5], exec, -1
; %bb.2975:
	s_or_b64 exec, exec, s[8:9]
	s_and_b64 s[4:5], s[4:5], exec
	s_or_saveexec_b64 s[6:7], s[6:7]
	v_mov_b32_e32 v6, s10
	s_xor_b64 exec, exec, s[6:7]
	s_cbranch_execz .LBB10_926
.LBB10_2976:
	v_mov_b32_e32 v6, 0
	v_cmp_ne_u16_sdwa s[8:9], v2, v6 src0_sel:BYTE_3 src1_sel:DWORD
	s_andn2_b64 s[4:5], s[4:5], exec
	s_and_b64 s[8:9], s[8:9], exec
	s_or_b64 s[4:5], s[4:5], s[8:9]
	s_or_b64 exec, exec, s[6:7]
	s_and_saveexec_b64 s[6:7], s[4:5]
	s_cbranch_execnz .LBB10_927
	s_branch .LBB10_928
.LBB10_2977:
	s_movk_i32 s4, 0x80
	v_cmp_eq_u16_sdwa s[12:13], v7, s4 src0_sel:BYTE_0 src1_sel:DWORD
	s_mov_b64 s[4:5], -1
                                        ; implicit-def: $sgpr10
	s_and_saveexec_b64 s[8:9], s[12:13]
; %bb.2978:
	s_mov_b32 s10, 0x7f800001
	s_xor_b64 s[4:5], exec, -1
; %bb.2979:
	s_or_b64 exec, exec, s[8:9]
	s_and_b64 s[4:5], s[4:5], exec
	s_or_saveexec_b64 s[6:7], s[6:7]
	v_mov_b32_e32 v2, s10
	s_xor_b64 exec, exec, s[6:7]
	s_cbranch_execz .LBB10_930
.LBB10_2980:
	v_mov_b32_e32 v2, 0
	v_cmp_ne_u16_sdwa s[8:9], v7, v2 src0_sel:BYTE_0 src1_sel:DWORD
	s_andn2_b64 s[4:5], s[4:5], exec
	s_and_b64 s[8:9], s[8:9], exec
	s_or_b64 s[4:5], s[4:5], s[8:9]
	s_or_b64 exec, exec, s[6:7]
	s_and_saveexec_b64 s[6:7], s[4:5]
	s_cbranch_execnz .LBB10_931
	s_branch .LBB10_932
.LBB10_2981:
	s_movk_i32 s4, 0x80
	v_cmp_eq_u16_sdwa s[12:13], v3, s4 src0_sel:BYTE_0 src1_sel:DWORD
	s_mov_b64 s[4:5], -1
                                        ; implicit-def: $sgpr10
	s_and_saveexec_b64 s[8:9], s[12:13]
; %bb.2982:
	s_mov_b32 s10, 0x7f800001
	s_xor_b64 s[4:5], exec, -1
; %bb.2983:
	s_or_b64 exec, exec, s[8:9]
	s_and_b64 s[4:5], s[4:5], exec
	s_or_saveexec_b64 s[6:7], s[6:7]
	v_mov_b32_e32 v6, s10
	s_xor_b64 exec, exec, s[6:7]
	s_cbranch_execz .LBB10_934
.LBB10_2984:
	v_mov_b32_e32 v6, 0
	v_cmp_ne_u16_sdwa s[8:9], v3, v6 src0_sel:BYTE_0 src1_sel:DWORD
	s_andn2_b64 s[4:5], s[4:5], exec
	s_and_b64 s[8:9], s[8:9], exec
	s_or_b64 s[4:5], s[4:5], s[8:9]
	s_or_b64 exec, exec, s[6:7]
	s_and_saveexec_b64 s[6:7], s[4:5]
	s_cbranch_execnz .LBB10_935
	s_branch .LBB10_936
.LBB10_2985:
	s_movk_i32 s4, 0x80
	v_cmp_eq_u16_sdwa s[12:13], v6, s4 src0_sel:BYTE_0 src1_sel:DWORD
	s_mov_b64 s[4:5], -1
                                        ; implicit-def: $sgpr10
	s_and_saveexec_b64 s[8:9], s[12:13]
; %bb.2986:
	s_mov_b32 s10, 0x7f800001
	s_xor_b64 s[4:5], exec, -1
; %bb.2987:
	s_or_b64 exec, exec, s[8:9]
	s_and_b64 s[4:5], s[4:5], exec
	s_or_saveexec_b64 s[6:7], s[6:7]
	v_mov_b32_e32 v2, s10
	s_xor_b64 exec, exec, s[6:7]
	s_cbranch_execz .LBB10_938
.LBB10_2988:
	v_mov_b32_e32 v2, 0
	v_cmp_ne_u16_sdwa s[8:9], v6, v2 src0_sel:BYTE_0 src1_sel:DWORD
	s_andn2_b64 s[4:5], s[4:5], exec
	s_and_b64 s[8:9], s[8:9], exec
	s_or_b64 s[4:5], s[4:5], s[8:9]
	s_or_b64 exec, exec, s[6:7]
	s_and_saveexec_b64 s[6:7], s[4:5]
	s_cbranch_execnz .LBB10_939
	s_branch .LBB10_940
.LBB10_2989:
	s_movk_i32 s4, 0x80
	v_cmp_eq_u16_sdwa s[12:13], v6, s4 src0_sel:BYTE_0 src1_sel:DWORD
	s_mov_b64 s[4:5], -1
                                        ; implicit-def: $sgpr10
	s_and_saveexec_b64 s[8:9], s[12:13]
; %bb.2990:
	s_mov_b32 s10, 0x7f800001
	s_xor_b64 s[4:5], exec, -1
; %bb.2991:
	s_or_b64 exec, exec, s[8:9]
	s_and_b64 s[4:5], s[4:5], exec
	s_or_saveexec_b64 s[6:7], s[6:7]
	v_mov_b32_e32 v10, s10
	s_xor_b64 exec, exec, s[6:7]
	s_cbranch_execz .LBB10_942
.LBB10_2992:
	v_mov_b32_e32 v10, 0
	v_cmp_ne_u16_sdwa s[8:9], v6, v10 src0_sel:BYTE_0 src1_sel:DWORD
	s_andn2_b64 s[4:5], s[4:5], exec
	s_and_b64 s[8:9], s[8:9], exec
	s_or_b64 s[4:5], s[4:5], s[8:9]
	s_or_b64 exec, exec, s[6:7]
	s_and_saveexec_b64 s[6:7], s[4:5]
	s_cbranch_execnz .LBB10_943
	s_branch .LBB10_944
.LBB10_2993:
	s_movk_i32 s4, 0x80
	v_cmp_eq_u16_e32 vcc, s4, v6
	s_mov_b64 s[4:5], -1
                                        ; implicit-def: $sgpr10
	s_and_saveexec_b64 s[8:9], vcc
; %bb.2994:
	s_mov_b32 s10, 0x7f800001
	s_xor_b64 s[4:5], exec, -1
; %bb.2995:
	s_or_b64 exec, exec, s[8:9]
	s_and_b64 s[4:5], s[4:5], exec
                                        ; implicit-def: $vgpr6
	s_or_saveexec_b64 s[6:7], s[6:7]
	v_mov_b32_e32 v2, s10
	s_xor_b64 exec, exec, s[6:7]
	s_cbranch_execz .LBB10_946
.LBB10_2996:
	v_cmp_ne_u16_e32 vcc, 0, v6
	s_andn2_b64 s[4:5], s[4:5], exec
	s_and_b64 s[8:9], vcc, exec
	v_mov_b32_e32 v2, 0
	s_or_b64 s[4:5], s[4:5], s[8:9]
	s_or_b64 exec, exec, s[6:7]
	s_and_saveexec_b64 s[6:7], s[4:5]
	s_cbranch_execnz .LBB10_947
	s_branch .LBB10_948
.LBB10_2997:
	s_movk_i32 s4, 0x80
	v_cmp_eq_u16_e32 vcc, s4, v6
	s_mov_b64 s[4:5], -1
                                        ; implicit-def: $sgpr10
	s_and_saveexec_b64 s[8:9], vcc
; %bb.2998:
	s_mov_b32 s10, 0x7f800001
	s_xor_b64 s[4:5], exec, -1
; %bb.2999:
	s_or_b64 exec, exec, s[8:9]
	s_and_b64 s[4:5], s[4:5], exec
                                        ; implicit-def: $vgpr6
	s_or_saveexec_b64 s[6:7], s[6:7]
	v_mov_b32_e32 v10, s10
	s_xor_b64 exec, exec, s[6:7]
	s_cbranch_execz .LBB10_950
.LBB10_3000:
	v_cmp_ne_u16_e32 vcc, 0, v6
	s_andn2_b64 s[4:5], s[4:5], exec
	s_and_b64 s[8:9], vcc, exec
	v_mov_b32_e32 v10, 0
	s_or_b64 s[4:5], s[4:5], s[8:9]
	s_or_b64 exec, exec, s[6:7]
	s_and_saveexec_b64 s[6:7], s[4:5]
	s_cbranch_execnz .LBB10_951
	s_branch .LBB10_952
.LBB10_3001:
	s_movk_i32 s4, 0x80
	v_cmp_eq_u16_sdwa s[12:13], v7, s4 src0_sel:BYTE_3 src1_sel:DWORD
	s_mov_b64 s[4:5], -1
                                        ; implicit-def: $sgpr10
	s_and_saveexec_b64 s[8:9], s[12:13]
; %bb.3002:
	s_mov_b32 s10, 0x7f800001
	s_xor_b64 s[4:5], exec, -1
; %bb.3003:
	s_or_b64 exec, exec, s[8:9]
	s_and_b64 s[4:5], s[4:5], exec
	s_or_saveexec_b64 s[6:7], s[6:7]
	v_mov_b32_e32 v2, s10
	s_xor_b64 exec, exec, s[6:7]
	s_cbranch_execz .LBB10_954
.LBB10_3004:
	v_mov_b32_e32 v2, 0
	v_cmp_ne_u16_sdwa s[8:9], v7, v2 src0_sel:BYTE_3 src1_sel:DWORD
	s_andn2_b64 s[4:5], s[4:5], exec
	s_and_b64 s[8:9], s[8:9], exec
	s_or_b64 s[4:5], s[4:5], s[8:9]
	s_or_b64 exec, exec, s[6:7]
	s_and_saveexec_b64 s[6:7], s[4:5]
	s_cbranch_execnz .LBB10_955
	s_branch .LBB10_956
.LBB10_3005:
	s_movk_i32 s4, 0x80
	v_cmp_eq_u16_sdwa s[12:13], v3, s4 src0_sel:BYTE_3 src1_sel:DWORD
	s_mov_b64 s[4:5], -1
                                        ; implicit-def: $sgpr10
	s_and_saveexec_b64 s[8:9], s[12:13]
; %bb.3006:
	s_mov_b32 s10, 0x7f800001
	s_xor_b64 s[4:5], exec, -1
; %bb.3007:
	s_or_b64 exec, exec, s[8:9]
	s_and_b64 s[4:5], s[4:5], exec
	s_or_saveexec_b64 s[6:7], s[6:7]
	v_mov_b32_e32 v6, s10
	s_xor_b64 exec, exec, s[6:7]
	s_cbranch_execz .LBB10_958
.LBB10_3008:
	v_mov_b32_e32 v6, 0
	v_cmp_ne_u16_sdwa s[8:9], v3, v6 src0_sel:BYTE_3 src1_sel:DWORD
	s_andn2_b64 s[4:5], s[4:5], exec
	s_and_b64 s[8:9], s[8:9], exec
	s_or_b64 s[4:5], s[4:5], s[8:9]
	s_or_b64 exec, exec, s[6:7]
	s_and_saveexec_b64 s[6:7], s[4:5]
	s_cbranch_execnz .LBB10_959
	s_branch .LBB10_960
.LBB10_3009:
	s_movk_i32 s4, 0x80
	v_cmp_eq_u16_sdwa s[12:13], v8, s4 src0_sel:BYTE_0 src1_sel:DWORD
	s_mov_b64 s[4:5], -1
                                        ; implicit-def: $sgpr10
	s_and_saveexec_b64 s[8:9], s[12:13]
; %bb.3010:
	s_mov_b32 s10, 0x7f800001
	s_xor_b64 s[4:5], exec, -1
; %bb.3011:
	s_or_b64 exec, exec, s[8:9]
	s_and_b64 s[4:5], s[4:5], exec
	s_or_saveexec_b64 s[6:7], s[6:7]
	v_mov_b32_e32 v2, s10
	s_xor_b64 exec, exec, s[6:7]
	s_cbranch_execz .LBB10_962
.LBB10_3012:
	v_mov_b32_e32 v2, 0
	v_cmp_ne_u16_sdwa s[8:9], v8, v2 src0_sel:BYTE_0 src1_sel:DWORD
	s_andn2_b64 s[4:5], s[4:5], exec
	s_and_b64 s[8:9], s[8:9], exec
	s_or_b64 s[4:5], s[4:5], s[8:9]
	s_or_b64 exec, exec, s[6:7]
	s_and_saveexec_b64 s[6:7], s[4:5]
	s_cbranch_execnz .LBB10_963
	s_branch .LBB10_964
.LBB10_3013:
	s_movk_i32 s4, 0x80
	v_cmp_eq_u16_sdwa s[12:13], v4, s4 src0_sel:BYTE_0 src1_sel:DWORD
	s_mov_b64 s[4:5], -1
                                        ; implicit-def: $sgpr10
	s_and_saveexec_b64 s[8:9], s[12:13]
; %bb.3014:
	s_mov_b32 s10, 0x7f800001
	s_xor_b64 s[4:5], exec, -1
; %bb.3015:
	s_or_b64 exec, exec, s[8:9]
	s_and_b64 s[4:5], s[4:5], exec
	s_or_saveexec_b64 s[6:7], s[6:7]
	v_mov_b32_e32 v3, s10
	s_xor_b64 exec, exec, s[6:7]
	s_cbranch_execz .LBB10_966
.LBB10_3016:
	v_mov_b32_e32 v3, 0
	v_cmp_ne_u16_sdwa s[8:9], v4, v3 src0_sel:BYTE_0 src1_sel:DWORD
	s_andn2_b64 s[4:5], s[4:5], exec
	s_and_b64 s[8:9], s[8:9], exec
	s_or_b64 s[4:5], s[4:5], s[8:9]
	s_or_b64 exec, exec, s[6:7]
	s_and_saveexec_b64 s[6:7], s[4:5]
	s_cbranch_execnz .LBB10_967
	s_branch .LBB10_968
.LBB10_3017:
	s_movk_i32 s4, 0x80
	v_cmp_eq_u16_sdwa s[12:13], v3, s4 src0_sel:BYTE_0 src1_sel:DWORD
	s_mov_b64 s[4:5], -1
                                        ; implicit-def: $sgpr10
	s_and_saveexec_b64 s[8:9], s[12:13]
; %bb.3018:
	s_mov_b32 s10, 0x7f800001
	s_xor_b64 s[4:5], exec, -1
; %bb.3019:
	s_or_b64 exec, exec, s[8:9]
	s_and_b64 s[4:5], s[4:5], exec
	s_or_saveexec_b64 s[6:7], s[6:7]
	v_mov_b32_e32 v2, s10
	s_xor_b64 exec, exec, s[6:7]
	s_cbranch_execz .LBB10_970
.LBB10_3020:
	v_mov_b32_e32 v2, 0
	v_cmp_ne_u16_sdwa s[8:9], v3, v2 src0_sel:BYTE_0 src1_sel:DWORD
	s_andn2_b64 s[4:5], s[4:5], exec
	s_and_b64 s[8:9], s[8:9], exec
	s_or_b64 s[4:5], s[4:5], s[8:9]
	s_or_b64 exec, exec, s[6:7]
	s_and_saveexec_b64 s[6:7], s[4:5]
	s_cbranch_execnz .LBB10_971
	s_branch .LBB10_972
.LBB10_3021:
	s_movk_i32 s4, 0x80
	v_cmp_eq_u16_sdwa s[12:13], v3, s4 src0_sel:BYTE_0 src1_sel:DWORD
	s_mov_b64 s[4:5], -1
                                        ; implicit-def: $sgpr10
	s_and_saveexec_b64 s[8:9], s[12:13]
; %bb.3022:
	s_mov_b32 s10, 0x7f800001
	s_xor_b64 s[4:5], exec, -1
; %bb.3023:
	s_or_b64 exec, exec, s[8:9]
	s_and_b64 s[4:5], s[4:5], exec
	s_or_saveexec_b64 s[6:7], s[6:7]
	v_mov_b32_e32 v6, s10
	s_xor_b64 exec, exec, s[6:7]
	s_cbranch_execz .LBB10_974
.LBB10_3024:
	v_mov_b32_e32 v6, 0
	v_cmp_ne_u16_sdwa s[8:9], v3, v6 src0_sel:BYTE_0 src1_sel:DWORD
	s_andn2_b64 s[4:5], s[4:5], exec
	s_and_b64 s[8:9], s[8:9], exec
	s_or_b64 s[4:5], s[4:5], s[8:9]
	s_or_b64 exec, exec, s[6:7]
	s_and_saveexec_b64 s[6:7], s[4:5]
	s_cbranch_execnz .LBB10_975
	s_branch .LBB10_976
.LBB10_3025:
	s_movk_i32 s4, 0x80
	v_cmp_eq_u16_e32 vcc, s4, v3
	s_mov_b64 s[4:5], -1
                                        ; implicit-def: $sgpr10
	s_and_saveexec_b64 s[8:9], vcc
; %bb.3026:
	s_mov_b32 s10, 0x7f800001
	s_xor_b64 s[4:5], exec, -1
; %bb.3027:
	s_or_b64 exec, exec, s[8:9]
	s_and_b64 s[4:5], s[4:5], exec
                                        ; implicit-def: $vgpr3
	s_or_saveexec_b64 s[6:7], s[6:7]
	v_mov_b32_e32 v2, s10
	s_xor_b64 exec, exec, s[6:7]
	s_cbranch_execz .LBB10_978
.LBB10_3028:
	v_cmp_ne_u16_e32 vcc, 0, v3
	s_andn2_b64 s[4:5], s[4:5], exec
	s_and_b64 s[8:9], vcc, exec
	v_mov_b32_e32 v2, 0
	s_or_b64 s[4:5], s[4:5], s[8:9]
	s_or_b64 exec, exec, s[6:7]
	s_and_saveexec_b64 s[6:7], s[4:5]
	s_cbranch_execnz .LBB10_979
	s_branch .LBB10_980
.LBB10_3029:
	s_movk_i32 s4, 0x80
	v_cmp_eq_u16_e32 vcc, s4, v3
	s_mov_b64 s[4:5], -1
                                        ; implicit-def: $sgpr10
	s_and_saveexec_b64 s[8:9], vcc
; %bb.3030:
	s_mov_b32 s10, 0x7f800001
	s_xor_b64 s[4:5], exec, -1
; %bb.3031:
	s_or_b64 exec, exec, s[8:9]
	s_and_b64 s[4:5], s[4:5], exec
                                        ; implicit-def: $vgpr3
	s_or_saveexec_b64 s[6:7], s[6:7]
	v_mov_b32_e32 v6, s10
	s_xor_b64 exec, exec, s[6:7]
	s_cbranch_execz .LBB10_982
.LBB10_3032:
	v_cmp_ne_u16_e32 vcc, 0, v3
	s_andn2_b64 s[4:5], s[4:5], exec
	s_and_b64 s[8:9], vcc, exec
	v_mov_b32_e32 v6, 0
	s_or_b64 s[4:5], s[4:5], s[8:9]
	s_or_b64 exec, exec, s[6:7]
	s_and_saveexec_b64 s[6:7], s[4:5]
	s_cbranch_execnz .LBB10_983
	s_branch .LBB10_984
.LBB10_3033:
	s_movk_i32 s4, 0x80
	v_cmp_eq_u16_sdwa s[12:13], v8, s4 src0_sel:BYTE_3 src1_sel:DWORD
	s_mov_b64 s[4:5], -1
                                        ; implicit-def: $sgpr10
	s_and_saveexec_b64 s[8:9], s[12:13]
; %bb.3034:
	s_mov_b32 s10, 0x7f800001
	s_xor_b64 s[4:5], exec, -1
; %bb.3035:
	s_or_b64 exec, exec, s[8:9]
	s_and_b64 s[4:5], s[4:5], exec
	s_or_saveexec_b64 s[6:7], s[6:7]
	v_mov_b32_e32 v2, s10
	s_xor_b64 exec, exec, s[6:7]
	s_cbranch_execz .LBB10_986
.LBB10_3036:
	v_mov_b32_e32 v2, 0
	v_cmp_ne_u16_sdwa s[8:9], v8, v2 src0_sel:BYTE_3 src1_sel:DWORD
	s_andn2_b64 s[4:5], s[4:5], exec
	s_and_b64 s[8:9], s[8:9], exec
	s_or_b64 s[4:5], s[4:5], s[8:9]
	s_or_b64 exec, exec, s[6:7]
	s_and_saveexec_b64 s[6:7], s[4:5]
	s_cbranch_execnz .LBB10_987
	s_branch .LBB10_988
.LBB10_3037:
	s_movk_i32 s4, 0x80
	v_cmp_eq_u16_sdwa s[12:13], v4, s4 src0_sel:BYTE_3 src1_sel:DWORD
	s_mov_b64 s[4:5], -1
                                        ; implicit-def: $sgpr10
	s_and_saveexec_b64 s[8:9], s[12:13]
; %bb.3038:
	s_mov_b32 s10, 0x7f800001
	s_xor_b64 s[4:5], exec, -1
; %bb.3039:
	s_or_b64 exec, exec, s[8:9]
	s_and_b64 s[4:5], s[4:5], exec
	s_or_saveexec_b64 s[6:7], s[6:7]
	v_mov_b32_e32 v3, s10
	s_xor_b64 exec, exec, s[6:7]
	s_cbranch_execz .LBB10_990
.LBB10_3040:
	v_mov_b32_e32 v3, 0
	v_cmp_ne_u16_sdwa s[8:9], v4, v3 src0_sel:BYTE_3 src1_sel:DWORD
	s_andn2_b64 s[4:5], s[4:5], exec
	s_and_b64 s[8:9], s[8:9], exec
	s_or_b64 s[4:5], s[4:5], s[8:9]
	s_or_b64 exec, exec, s[6:7]
	s_and_saveexec_b64 s[6:7], s[4:5]
	s_cbranch_execnz .LBB10_991
	s_branch .LBB10_992
.LBB10_3041:
	s_movk_i32 s4, 0x80
	v_cmp_eq_u16_sdwa s[12:13], v9, s4 src0_sel:BYTE_0 src1_sel:DWORD
	s_mov_b64 s[4:5], -1
                                        ; implicit-def: $sgpr10
	s_and_saveexec_b64 s[8:9], s[12:13]
; %bb.3042:
	s_mov_b32 s10, 0x7f800001
	s_xor_b64 s[4:5], exec, -1
; %bb.3043:
	s_or_b64 exec, exec, s[8:9]
	s_and_b64 s[4:5], s[4:5], exec
	s_or_saveexec_b64 s[6:7], s[6:7]
	v_mov_b32_e32 v2, s10
	s_xor_b64 exec, exec, s[6:7]
	s_cbranch_execz .LBB10_994
.LBB10_3044:
	v_mov_b32_e32 v2, 0
	v_cmp_ne_u16_sdwa s[8:9], v9, v2 src0_sel:BYTE_0 src1_sel:DWORD
	s_andn2_b64 s[4:5], s[4:5], exec
	s_and_b64 s[8:9], s[8:9], exec
	s_or_b64 s[4:5], s[4:5], s[8:9]
	s_or_b64 exec, exec, s[6:7]
	s_and_saveexec_b64 s[6:7], s[4:5]
	s_cbranch_execnz .LBB10_995
	s_branch .LBB10_996
.LBB10_3045:
	s_movk_i32 s4, 0x80
	v_cmp_eq_u16_sdwa s[12:13], v5, s4 src0_sel:BYTE_0 src1_sel:DWORD
	s_mov_b64 s[4:5], -1
                                        ; implicit-def: $sgpr10
	s_and_saveexec_b64 s[8:9], s[12:13]
; %bb.3046:
	s_mov_b32 s10, 0x7f800001
	s_xor_b64 s[4:5], exec, -1
; %bb.3047:
	s_or_b64 exec, exec, s[8:9]
	s_and_b64 s[4:5], s[4:5], exec
	s_or_saveexec_b64 s[6:7], s[6:7]
	v_mov_b32_e32 v3, s10
	s_xor_b64 exec, exec, s[6:7]
	s_cbranch_execz .LBB10_998
.LBB10_3048:
	v_mov_b32_e32 v3, 0
	v_cmp_ne_u16_sdwa s[8:9], v5, v3 src0_sel:BYTE_0 src1_sel:DWORD
	s_andn2_b64 s[4:5], s[4:5], exec
	s_and_b64 s[8:9], s[8:9], exec
	s_or_b64 s[4:5], s[4:5], s[8:9]
	s_or_b64 exec, exec, s[6:7]
	s_and_saveexec_b64 s[6:7], s[4:5]
	s_cbranch_execnz .LBB10_999
	s_branch .LBB10_1000
.LBB10_3049:
	s_movk_i32 s4, 0x80
	v_cmp_eq_u16_sdwa s[12:13], v3, s4 src0_sel:BYTE_0 src1_sel:DWORD
	s_mov_b64 s[4:5], -1
                                        ; implicit-def: $sgpr10
	s_and_saveexec_b64 s[8:9], s[12:13]
; %bb.3050:
	s_mov_b32 s10, 0x7f800001
	s_xor_b64 s[4:5], exec, -1
; %bb.3051:
	s_or_b64 exec, exec, s[8:9]
	s_and_b64 s[4:5], s[4:5], exec
	s_or_saveexec_b64 s[6:7], s[6:7]
	v_mov_b32_e32 v2, s10
	s_xor_b64 exec, exec, s[6:7]
	s_cbranch_execz .LBB10_1002
.LBB10_3052:
	v_mov_b32_e32 v2, 0
	v_cmp_ne_u16_sdwa s[8:9], v3, v2 src0_sel:BYTE_0 src1_sel:DWORD
	s_andn2_b64 s[4:5], s[4:5], exec
	s_and_b64 s[8:9], s[8:9], exec
	s_or_b64 s[4:5], s[4:5], s[8:9]
	s_or_b64 exec, exec, s[6:7]
	s_and_saveexec_b64 s[6:7], s[4:5]
	s_cbranch_execnz .LBB10_1003
	s_branch .LBB10_1004
.LBB10_3053:
	s_movk_i32 s4, 0x80
	v_cmp_eq_u16_sdwa s[12:13], v3, s4 src0_sel:BYTE_0 src1_sel:DWORD
	s_mov_b64 s[4:5], -1
                                        ; implicit-def: $sgpr10
	s_and_saveexec_b64 s[8:9], s[12:13]
; %bb.3054:
	s_mov_b32 s10, 0x7f800001
	s_xor_b64 s[4:5], exec, -1
; %bb.3055:
	s_or_b64 exec, exec, s[8:9]
	s_and_b64 s[4:5], s[4:5], exec
	s_or_saveexec_b64 s[6:7], s[6:7]
	v_mov_b32_e32 v4, s10
	s_xor_b64 exec, exec, s[6:7]
	s_cbranch_execz .LBB10_1006
.LBB10_3056:
	v_mov_b32_e32 v4, 0
	v_cmp_ne_u16_sdwa s[8:9], v3, v4 src0_sel:BYTE_0 src1_sel:DWORD
	s_andn2_b64 s[4:5], s[4:5], exec
	s_and_b64 s[8:9], s[8:9], exec
	s_or_b64 s[4:5], s[4:5], s[8:9]
	s_or_b64 exec, exec, s[6:7]
	s_and_saveexec_b64 s[6:7], s[4:5]
	s_cbranch_execnz .LBB10_1007
	s_branch .LBB10_1008
.LBB10_3057:
	s_movk_i32 s4, 0x80
	v_cmp_eq_u16_e32 vcc, s4, v3
	s_mov_b64 s[4:5], -1
                                        ; implicit-def: $sgpr10
	s_and_saveexec_b64 s[8:9], vcc
; %bb.3058:
	s_mov_b32 s10, 0x7f800001
	s_xor_b64 s[4:5], exec, -1
; %bb.3059:
	s_or_b64 exec, exec, s[8:9]
	s_and_b64 s[4:5], s[4:5], exec
                                        ; implicit-def: $vgpr3
	s_or_saveexec_b64 s[6:7], s[6:7]
	v_mov_b32_e32 v2, s10
	s_xor_b64 exec, exec, s[6:7]
	s_cbranch_execz .LBB10_1010
.LBB10_3060:
	v_cmp_ne_u16_e32 vcc, 0, v3
	s_andn2_b64 s[4:5], s[4:5], exec
	s_and_b64 s[8:9], vcc, exec
	v_mov_b32_e32 v2, 0
	s_or_b64 s[4:5], s[4:5], s[8:9]
	s_or_b64 exec, exec, s[6:7]
	s_and_saveexec_b64 s[6:7], s[4:5]
	s_cbranch_execnz .LBB10_1011
	s_branch .LBB10_1012
.LBB10_3061:
	s_movk_i32 s4, 0x80
	v_cmp_eq_u16_e32 vcc, s4, v3
	s_mov_b64 s[4:5], -1
                                        ; implicit-def: $sgpr10
	s_and_saveexec_b64 s[8:9], vcc
; %bb.3062:
	s_mov_b32 s10, 0x7f800001
	s_xor_b64 s[4:5], exec, -1
; %bb.3063:
	s_or_b64 exec, exec, s[8:9]
	s_and_b64 s[4:5], s[4:5], exec
                                        ; implicit-def: $vgpr3
	s_or_saveexec_b64 s[6:7], s[6:7]
	v_mov_b32_e32 v4, s10
	s_xor_b64 exec, exec, s[6:7]
	s_cbranch_execz .LBB10_1014
.LBB10_3064:
	v_cmp_ne_u16_e32 vcc, 0, v3
	s_andn2_b64 s[4:5], s[4:5], exec
	s_and_b64 s[8:9], vcc, exec
	v_mov_b32_e32 v4, 0
	s_or_b64 s[4:5], s[4:5], s[8:9]
	s_or_b64 exec, exec, s[6:7]
	s_and_saveexec_b64 s[6:7], s[4:5]
	s_cbranch_execnz .LBB10_1015
	s_branch .LBB10_1016
.LBB10_3065:
	s_movk_i32 s4, 0x80
	v_cmp_eq_u16_sdwa s[12:13], v9, s4 src0_sel:BYTE_3 src1_sel:DWORD
	s_mov_b64 s[4:5], -1
                                        ; implicit-def: $sgpr10
	s_and_saveexec_b64 s[8:9], s[12:13]
; %bb.3066:
	s_mov_b32 s10, 0x7f800001
	s_xor_b64 s[4:5], exec, -1
; %bb.3067:
	s_or_b64 exec, exec, s[8:9]
	s_and_b64 s[4:5], s[4:5], exec
	s_or_saveexec_b64 s[6:7], s[6:7]
	v_mov_b32_e32 v2, s10
	s_xor_b64 exec, exec, s[6:7]
	s_cbranch_execz .LBB10_1018
.LBB10_3068:
	v_mov_b32_e32 v2, 0
	v_cmp_ne_u16_sdwa s[8:9], v9, v2 src0_sel:BYTE_3 src1_sel:DWORD
	s_andn2_b64 s[4:5], s[4:5], exec
	s_and_b64 s[8:9], s[8:9], exec
	s_or_b64 s[4:5], s[4:5], s[8:9]
	s_or_b64 exec, exec, s[6:7]
	s_and_saveexec_b64 s[6:7], s[4:5]
	s_cbranch_execnz .LBB10_1019
	s_branch .LBB10_1020
.LBB10_3069:
	s_movk_i32 s4, 0x80
	v_cmp_eq_u16_sdwa s[12:13], v5, s4 src0_sel:BYTE_3 src1_sel:DWORD
	s_mov_b64 s[4:5], -1
                                        ; implicit-def: $sgpr10
	s_and_saveexec_b64 s[8:9], s[12:13]
; %bb.3070:
	s_mov_b32 s10, 0x7f800001
	s_xor_b64 s[4:5], exec, -1
; %bb.3071:
	s_or_b64 exec, exec, s[8:9]
	s_and_b64 s[4:5], s[4:5], exec
	s_or_saveexec_b64 s[6:7], s[6:7]
	v_mov_b32_e32 v3, s10
	s_xor_b64 exec, exec, s[6:7]
	s_cbranch_execz .LBB10_1022
.LBB10_3072:
	v_mov_b32_e32 v3, 0
	v_cmp_ne_u16_sdwa s[8:9], v5, v3 src0_sel:BYTE_3 src1_sel:DWORD
	s_andn2_b64 s[4:5], s[4:5], exec
	s_and_b64 s[8:9], s[8:9], exec
	s_or_b64 s[4:5], s[4:5], s[8:9]
	s_or_b64 exec, exec, s[6:7]
	s_and_saveexec_b64 s[6:7], s[4:5]
	s_cbranch_execnz .LBB10_1023
	s_branch .LBB10_1024
.LBB10_3073:
	s_movk_i32 s4, 0x80
	v_cmp_eq_u16_sdwa s[12:13], v14, s4 src0_sel:BYTE_0 src1_sel:DWORD
	s_mov_b64 s[4:5], -1
                                        ; implicit-def: $sgpr10
	s_and_saveexec_b64 s[8:9], s[12:13]
; %bb.3074:
	s_mov_b32 s10, 0x7f800001
	s_xor_b64 s[4:5], exec, -1
; %bb.3075:
	s_or_b64 exec, exec, s[8:9]
	s_and_b64 s[4:5], s[4:5], exec
	s_or_saveexec_b64 s[6:7], s[6:7]
	v_mov_b32_e32 v20, s10
	s_xor_b64 exec, exec, s[6:7]
	s_cbranch_execz .LBB10_1026
.LBB10_3076:
	v_mov_b32_e32 v20, 0
	v_cmp_ne_u16_sdwa s[8:9], v14, v20 src0_sel:BYTE_0 src1_sel:DWORD
	s_andn2_b64 s[4:5], s[4:5], exec
	s_and_b64 s[8:9], s[8:9], exec
	s_or_b64 s[4:5], s[4:5], s[8:9]
	s_or_b64 exec, exec, s[6:7]
	s_and_saveexec_b64 s[6:7], s[4:5]
	s_cbranch_execnz .LBB10_1027
	s_branch .LBB10_1028
.LBB10_3077:
	s_movk_i32 s4, 0x80
	v_cmp_eq_u16_sdwa s[12:13], v10, s4 src0_sel:BYTE_0 src1_sel:DWORD
	s_mov_b64 s[4:5], -1
                                        ; implicit-def: $sgpr10
	s_and_saveexec_b64 s[8:9], s[12:13]
; %bb.3078:
	s_mov_b32 s10, 0x7f800001
	s_xor_b64 s[4:5], exec, -1
; %bb.3079:
	s_or_b64 exec, exec, s[8:9]
	s_and_b64 s[4:5], s[4:5], exec
	s_or_saveexec_b64 s[6:7], s[6:7]
	v_mov_b32_e32 v21, s10
	s_xor_b64 exec, exec, s[6:7]
	s_cbranch_execz .LBB10_1030
.LBB10_3080:
	v_mov_b32_e32 v21, 0
	v_cmp_ne_u16_sdwa s[8:9], v10, v21 src0_sel:BYTE_0 src1_sel:DWORD
	s_andn2_b64 s[4:5], s[4:5], exec
	s_and_b64 s[8:9], s[8:9], exec
	s_or_b64 s[4:5], s[4:5], s[8:9]
	s_or_b64 exec, exec, s[6:7]
	s_and_saveexec_b64 s[6:7], s[4:5]
	s_cbranch_execnz .LBB10_1031
	s_branch .LBB10_1032
.LBB10_3081:
	s_movk_i32 s4, 0x80
	v_cmp_eq_u16_sdwa s[12:13], v21, s4 src0_sel:BYTE_0 src1_sel:DWORD
	s_mov_b64 s[4:5], -1
                                        ; implicit-def: $sgpr10
	s_and_saveexec_b64 s[8:9], s[12:13]
; %bb.3082:
	s_mov_b32 s10, 0x7f800001
	s_xor_b64 s[4:5], exec, -1
; %bb.3083:
	s_or_b64 exec, exec, s[8:9]
	s_and_b64 s[4:5], s[4:5], exec
	s_or_saveexec_b64 s[6:7], s[6:7]
	v_mov_b32_e32 v20, s10
	s_xor_b64 exec, exec, s[6:7]
	s_cbranch_execz .LBB10_1034
.LBB10_3084:
	v_mov_b32_e32 v20, 0
	v_cmp_ne_u16_sdwa s[8:9], v21, v20 src0_sel:BYTE_0 src1_sel:DWORD
	s_andn2_b64 s[4:5], s[4:5], exec
	s_and_b64 s[8:9], s[8:9], exec
	s_or_b64 s[4:5], s[4:5], s[8:9]
	s_or_b64 exec, exec, s[6:7]
	s_and_saveexec_b64 s[6:7], s[4:5]
	s_cbranch_execnz .LBB10_1035
	s_branch .LBB10_1036
.LBB10_3085:
	s_movk_i32 s4, 0x80
	v_cmp_eq_u16_sdwa s[12:13], v21, s4 src0_sel:BYTE_0 src1_sel:DWORD
	s_mov_b64 s[4:5], -1
                                        ; implicit-def: $sgpr10
	s_and_saveexec_b64 s[8:9], s[12:13]
; %bb.3086:
	s_mov_b32 s10, 0x7f800001
	s_xor_b64 s[4:5], exec, -1
; %bb.3087:
	s_or_b64 exec, exec, s[8:9]
	s_and_b64 s[4:5], s[4:5], exec
	s_or_saveexec_b64 s[6:7], s[6:7]
	v_mov_b32_e32 v22, s10
	s_xor_b64 exec, exec, s[6:7]
	s_cbranch_execz .LBB10_1038
.LBB10_3088:
	v_mov_b32_e32 v22, 0
	v_cmp_ne_u16_sdwa s[8:9], v21, v22 src0_sel:BYTE_0 src1_sel:DWORD
	s_andn2_b64 s[4:5], s[4:5], exec
	s_and_b64 s[8:9], s[8:9], exec
	s_or_b64 s[4:5], s[4:5], s[8:9]
	s_or_b64 exec, exec, s[6:7]
	s_and_saveexec_b64 s[6:7], s[4:5]
	s_cbranch_execnz .LBB10_1039
	s_branch .LBB10_1040
.LBB10_3089:
	s_movk_i32 s4, 0x80
	v_cmp_eq_u16_e32 vcc, s4, v21
	s_mov_b64 s[4:5], -1
                                        ; implicit-def: $sgpr10
	s_and_saveexec_b64 s[8:9], vcc
; %bb.3090:
	s_mov_b32 s10, 0x7f800001
	s_xor_b64 s[4:5], exec, -1
; %bb.3091:
	s_or_b64 exec, exec, s[8:9]
	s_and_b64 s[4:5], s[4:5], exec
                                        ; implicit-def: $vgpr21
	s_or_saveexec_b64 s[6:7], s[6:7]
	v_mov_b32_e32 v20, s10
	s_xor_b64 exec, exec, s[6:7]
	s_cbranch_execz .LBB10_1042
.LBB10_3092:
	v_cmp_ne_u16_e32 vcc, 0, v21
	s_andn2_b64 s[4:5], s[4:5], exec
	s_and_b64 s[8:9], vcc, exec
	v_mov_b32_e32 v20, 0
	s_or_b64 s[4:5], s[4:5], s[8:9]
	s_or_b64 exec, exec, s[6:7]
	s_and_saveexec_b64 s[6:7], s[4:5]
	s_cbranch_execnz .LBB10_1043
	s_branch .LBB10_1044
.LBB10_3093:
	s_movk_i32 s4, 0x80
	v_cmp_eq_u16_e32 vcc, s4, v21
	s_mov_b64 s[4:5], -1
                                        ; implicit-def: $sgpr10
	s_and_saveexec_b64 s[8:9], vcc
; %bb.3094:
	s_mov_b32 s10, 0x7f800001
	s_xor_b64 s[4:5], exec, -1
; %bb.3095:
	s_or_b64 exec, exec, s[8:9]
	s_and_b64 s[4:5], s[4:5], exec
                                        ; implicit-def: $vgpr21
	s_or_saveexec_b64 s[6:7], s[6:7]
	v_mov_b32_e32 v22, s10
	s_xor_b64 exec, exec, s[6:7]
	s_cbranch_execz .LBB10_1046
.LBB10_3096:
	v_cmp_ne_u16_e32 vcc, 0, v21
	s_andn2_b64 s[4:5], s[4:5], exec
	s_and_b64 s[8:9], vcc, exec
	v_mov_b32_e32 v22, 0
	s_or_b64 s[4:5], s[4:5], s[8:9]
	s_or_b64 exec, exec, s[6:7]
	s_and_saveexec_b64 s[6:7], s[4:5]
	s_cbranch_execnz .LBB10_1047
	s_branch .LBB10_1048
.LBB10_3097:
	s_movk_i32 s4, 0x80
	v_cmp_eq_u16_sdwa s[12:13], v14, s4 src0_sel:BYTE_3 src1_sel:DWORD
	s_mov_b64 s[4:5], -1
                                        ; implicit-def: $sgpr10
	s_and_saveexec_b64 s[8:9], s[12:13]
; %bb.3098:
	s_mov_b32 s10, 0x7f800001
	s_xor_b64 s[4:5], exec, -1
; %bb.3099:
	s_or_b64 exec, exec, s[8:9]
	s_and_b64 s[4:5], s[4:5], exec
	s_or_saveexec_b64 s[6:7], s[6:7]
	v_mov_b32_e32 v20, s10
	s_xor_b64 exec, exec, s[6:7]
	s_cbranch_execz .LBB10_1050
.LBB10_3100:
	v_mov_b32_e32 v20, 0
	v_cmp_ne_u16_sdwa s[8:9], v14, v20 src0_sel:BYTE_3 src1_sel:DWORD
	s_andn2_b64 s[4:5], s[4:5], exec
	s_and_b64 s[8:9], s[8:9], exec
	s_or_b64 s[4:5], s[4:5], s[8:9]
	s_or_b64 exec, exec, s[6:7]
	s_and_saveexec_b64 s[6:7], s[4:5]
	s_cbranch_execnz .LBB10_1051
	s_branch .LBB10_1052
.LBB10_3101:
	s_movk_i32 s4, 0x80
	v_cmp_eq_u16_sdwa s[12:13], v10, s4 src0_sel:BYTE_3 src1_sel:DWORD
	s_mov_b64 s[4:5], -1
                                        ; implicit-def: $sgpr10
	s_and_saveexec_b64 s[8:9], s[12:13]
; %bb.3102:
	s_mov_b32 s10, 0x7f800001
	s_xor_b64 s[4:5], exec, -1
; %bb.3103:
	s_or_b64 exec, exec, s[8:9]
	s_and_b64 s[4:5], s[4:5], exec
	s_or_saveexec_b64 s[6:7], s[6:7]
	v_mov_b32_e32 v14, s10
	s_xor_b64 exec, exec, s[6:7]
	s_cbranch_execz .LBB10_1054
.LBB10_3104:
	v_mov_b32_e32 v14, 0
	v_cmp_ne_u16_sdwa s[8:9], v10, v14 src0_sel:BYTE_3 src1_sel:DWORD
	s_andn2_b64 s[4:5], s[4:5], exec
	s_and_b64 s[8:9], s[8:9], exec
	s_or_b64 s[4:5], s[4:5], s[8:9]
	s_or_b64 exec, exec, s[6:7]
	s_and_saveexec_b64 s[6:7], s[4:5]
	s_cbranch_execnz .LBB10_1055
	s_branch .LBB10_1056
.LBB10_3105:
	s_movk_i32 s4, 0x80
	v_cmp_eq_u16_sdwa s[12:13], v15, s4 src0_sel:BYTE_0 src1_sel:DWORD
	s_mov_b64 s[4:5], -1
                                        ; implicit-def: $sgpr10
	s_and_saveexec_b64 s[8:9], s[12:13]
; %bb.3106:
	s_mov_b32 s10, 0x7f800001
	s_xor_b64 s[4:5], exec, -1
; %bb.3107:
	s_or_b64 exec, exec, s[8:9]
	s_and_b64 s[4:5], s[4:5], exec
	s_or_saveexec_b64 s[6:7], s[6:7]
	v_mov_b32_e32 v10, s10
	s_xor_b64 exec, exec, s[6:7]
	s_cbranch_execz .LBB10_1058
.LBB10_3108:
	v_mov_b32_e32 v10, 0
	v_cmp_ne_u16_sdwa s[8:9], v15, v10 src0_sel:BYTE_0 src1_sel:DWORD
	s_andn2_b64 s[4:5], s[4:5], exec
	s_and_b64 s[8:9], s[8:9], exec
	s_or_b64 s[4:5], s[4:5], s[8:9]
	s_or_b64 exec, exec, s[6:7]
	s_and_saveexec_b64 s[6:7], s[4:5]
	s_cbranch_execnz .LBB10_1059
	s_branch .LBB10_1060
.LBB10_3109:
	s_movk_i32 s4, 0x80
	v_cmp_eq_u16_sdwa s[12:13], v11, s4 src0_sel:BYTE_0 src1_sel:DWORD
	s_mov_b64 s[4:5], -1
                                        ; implicit-def: $sgpr10
	s_and_saveexec_b64 s[8:9], s[12:13]
; %bb.3110:
	s_mov_b32 s10, 0x7f800001
	s_xor_b64 s[4:5], exec, -1
; %bb.3111:
	s_or_b64 exec, exec, s[8:9]
	s_and_b64 s[4:5], s[4:5], exec
	s_or_saveexec_b64 s[6:7], s[6:7]
	v_mov_b32_e32 v14, s10
	s_xor_b64 exec, exec, s[6:7]
	s_cbranch_execz .LBB10_1062
.LBB10_3112:
	v_mov_b32_e32 v14, 0
	v_cmp_ne_u16_sdwa s[8:9], v11, v14 src0_sel:BYTE_0 src1_sel:DWORD
	s_andn2_b64 s[4:5], s[4:5], exec
	s_and_b64 s[8:9], s[8:9], exec
	s_or_b64 s[4:5], s[4:5], s[8:9]
	s_or_b64 exec, exec, s[6:7]
	s_and_saveexec_b64 s[6:7], s[4:5]
	s_cbranch_execnz .LBB10_1063
	s_branch .LBB10_1064
.LBB10_3113:
	s_movk_i32 s4, 0x80
	v_cmp_eq_u16_sdwa s[12:13], v14, s4 src0_sel:BYTE_0 src1_sel:DWORD
	s_mov_b64 s[4:5], -1
                                        ; implicit-def: $sgpr10
	s_and_saveexec_b64 s[8:9], s[12:13]
; %bb.3114:
	s_mov_b32 s10, 0x7f800001
	s_xor_b64 s[4:5], exec, -1
; %bb.3115:
	s_or_b64 exec, exec, s[8:9]
	s_and_b64 s[4:5], s[4:5], exec
	s_or_saveexec_b64 s[6:7], s[6:7]
	v_mov_b32_e32 v10, s10
	s_xor_b64 exec, exec, s[6:7]
	s_cbranch_execz .LBB10_1066
.LBB10_3116:
	v_mov_b32_e32 v10, 0
	v_cmp_ne_u16_sdwa s[8:9], v14, v10 src0_sel:BYTE_0 src1_sel:DWORD
	s_andn2_b64 s[4:5], s[4:5], exec
	s_and_b64 s[8:9], s[8:9], exec
	s_or_b64 s[4:5], s[4:5], s[8:9]
	s_or_b64 exec, exec, s[6:7]
	s_and_saveexec_b64 s[6:7], s[4:5]
	s_cbranch_execnz .LBB10_1067
	s_branch .LBB10_1068
.LBB10_3117:
	s_movk_i32 s4, 0x80
	v_cmp_eq_u16_sdwa s[12:13], v14, s4 src0_sel:BYTE_0 src1_sel:DWORD
	s_mov_b64 s[4:5], -1
                                        ; implicit-def: $sgpr10
	s_and_saveexec_b64 s[8:9], s[12:13]
; %bb.3118:
	s_mov_b32 s10, 0x7f800001
	s_xor_b64 s[4:5], exec, -1
; %bb.3119:
	s_or_b64 exec, exec, s[8:9]
	s_and_b64 s[4:5], s[4:5], exec
	s_or_saveexec_b64 s[6:7], s[6:7]
	v_mov_b32_e32 v20, s10
	s_xor_b64 exec, exec, s[6:7]
	s_cbranch_execz .LBB10_1070
.LBB10_3120:
	v_mov_b32_e32 v20, 0
	v_cmp_ne_u16_sdwa s[8:9], v14, v20 src0_sel:BYTE_0 src1_sel:DWORD
	s_andn2_b64 s[4:5], s[4:5], exec
	s_and_b64 s[8:9], s[8:9], exec
	s_or_b64 s[4:5], s[4:5], s[8:9]
	s_or_b64 exec, exec, s[6:7]
	s_and_saveexec_b64 s[6:7], s[4:5]
	s_cbranch_execnz .LBB10_1071
	s_branch .LBB10_1072
.LBB10_3121:
	s_movk_i32 s4, 0x80
	v_cmp_eq_u16_e32 vcc, s4, v14
	s_mov_b64 s[4:5], -1
                                        ; implicit-def: $sgpr10
	s_and_saveexec_b64 s[8:9], vcc
; %bb.3122:
	s_mov_b32 s10, 0x7f800001
	s_xor_b64 s[4:5], exec, -1
; %bb.3123:
	s_or_b64 exec, exec, s[8:9]
	s_and_b64 s[4:5], s[4:5], exec
                                        ; implicit-def: $vgpr14
	s_or_saveexec_b64 s[6:7], s[6:7]
	v_mov_b32_e32 v10, s10
	s_xor_b64 exec, exec, s[6:7]
	s_cbranch_execz .LBB10_1074
.LBB10_3124:
	v_cmp_ne_u16_e32 vcc, 0, v14
	s_andn2_b64 s[4:5], s[4:5], exec
	s_and_b64 s[8:9], vcc, exec
	v_mov_b32_e32 v10, 0
	s_or_b64 s[4:5], s[4:5], s[8:9]
	s_or_b64 exec, exec, s[6:7]
	s_and_saveexec_b64 s[6:7], s[4:5]
	s_cbranch_execnz .LBB10_1075
	s_branch .LBB10_1076
.LBB10_3125:
	s_movk_i32 s4, 0x80
	v_cmp_eq_u16_e32 vcc, s4, v14
	s_mov_b64 s[4:5], -1
                                        ; implicit-def: $sgpr10
	s_and_saveexec_b64 s[8:9], vcc
; %bb.3126:
	s_mov_b32 s10, 0x7f800001
	s_xor_b64 s[4:5], exec, -1
; %bb.3127:
	s_or_b64 exec, exec, s[8:9]
	s_and_b64 s[4:5], s[4:5], exec
                                        ; implicit-def: $vgpr14
	s_or_saveexec_b64 s[6:7], s[6:7]
	v_mov_b32_e32 v20, s10
	s_xor_b64 exec, exec, s[6:7]
	s_cbranch_execz .LBB10_1078
.LBB10_3128:
	v_cmp_ne_u16_e32 vcc, 0, v14
	s_andn2_b64 s[4:5], s[4:5], exec
	s_and_b64 s[8:9], vcc, exec
	v_mov_b32_e32 v20, 0
	s_or_b64 s[4:5], s[4:5], s[8:9]
	s_or_b64 exec, exec, s[6:7]
	s_and_saveexec_b64 s[6:7], s[4:5]
	s_cbranch_execnz .LBB10_1079
	s_branch .LBB10_1080
.LBB10_3129:
	s_movk_i32 s4, 0x80
	v_cmp_eq_u16_sdwa s[12:13], v15, s4 src0_sel:BYTE_3 src1_sel:DWORD
	s_mov_b64 s[4:5], -1
                                        ; implicit-def: $sgpr10
	s_and_saveexec_b64 s[8:9], s[12:13]
; %bb.3130:
	s_mov_b32 s10, 0x7f800001
	s_xor_b64 s[4:5], exec, -1
; %bb.3131:
	s_or_b64 exec, exec, s[8:9]
	s_and_b64 s[4:5], s[4:5], exec
	s_or_saveexec_b64 s[6:7], s[6:7]
	v_mov_b32_e32 v10, s10
	s_xor_b64 exec, exec, s[6:7]
	s_cbranch_execz .LBB10_1082
.LBB10_3132:
	v_mov_b32_e32 v10, 0
	v_cmp_ne_u16_sdwa s[8:9], v15, v10 src0_sel:BYTE_3 src1_sel:DWORD
	s_andn2_b64 s[4:5], s[4:5], exec
	s_and_b64 s[8:9], s[8:9], exec
	s_or_b64 s[4:5], s[4:5], s[8:9]
	s_or_b64 exec, exec, s[6:7]
	s_and_saveexec_b64 s[6:7], s[4:5]
	s_cbranch_execnz .LBB10_1083
	s_branch .LBB10_1084
.LBB10_3133:
	s_movk_i32 s4, 0x80
	v_cmp_eq_u16_sdwa s[12:13], v11, s4 src0_sel:BYTE_3 src1_sel:DWORD
	s_mov_b64 s[4:5], -1
                                        ; implicit-def: $sgpr10
	s_and_saveexec_b64 s[8:9], s[12:13]
; %bb.3134:
	s_mov_b32 s10, 0x7f800001
	s_xor_b64 s[4:5], exec, -1
; %bb.3135:
	s_or_b64 exec, exec, s[8:9]
	s_and_b64 s[4:5], s[4:5], exec
	s_or_saveexec_b64 s[6:7], s[6:7]
	v_mov_b32_e32 v14, s10
	s_xor_b64 exec, exec, s[6:7]
	s_cbranch_execz .LBB10_1086
.LBB10_3136:
	v_mov_b32_e32 v14, 0
	v_cmp_ne_u16_sdwa s[8:9], v11, v14 src0_sel:BYTE_3 src1_sel:DWORD
	s_andn2_b64 s[4:5], s[4:5], exec
	s_and_b64 s[8:9], s[8:9], exec
	s_or_b64 s[4:5], s[4:5], s[8:9]
	s_or_b64 exec, exec, s[6:7]
	s_and_saveexec_b64 s[6:7], s[4:5]
	s_cbranch_execnz .LBB10_1087
	s_branch .LBB10_1088
.LBB10_3137:
	s_movk_i32 s4, 0x80
	v_cmp_eq_u16_sdwa s[12:13], v16, s4 src0_sel:BYTE_0 src1_sel:DWORD
	s_mov_b64 s[4:5], -1
                                        ; implicit-def: $sgpr10
	s_and_saveexec_b64 s[8:9], s[12:13]
; %bb.3138:
	s_mov_b32 s10, 0x7f800001
	s_xor_b64 s[4:5], exec, -1
; %bb.3139:
	s_or_b64 exec, exec, s[8:9]
	s_and_b64 s[4:5], s[4:5], exec
	s_or_saveexec_b64 s[6:7], s[6:7]
	v_mov_b32_e32 v10, s10
	s_xor_b64 exec, exec, s[6:7]
	s_cbranch_execz .LBB10_1090
.LBB10_3140:
	v_mov_b32_e32 v10, 0
	v_cmp_ne_u16_sdwa s[8:9], v16, v10 src0_sel:BYTE_0 src1_sel:DWORD
	s_andn2_b64 s[4:5], s[4:5], exec
	s_and_b64 s[8:9], s[8:9], exec
	s_or_b64 s[4:5], s[4:5], s[8:9]
	s_or_b64 exec, exec, s[6:7]
	s_and_saveexec_b64 s[6:7], s[4:5]
	s_cbranch_execnz .LBB10_1091
	s_branch .LBB10_1092
.LBB10_3141:
	s_movk_i32 s4, 0x80
	v_cmp_eq_u16_sdwa s[12:13], v12, s4 src0_sel:BYTE_0 src1_sel:DWORD
	s_mov_b64 s[4:5], -1
                                        ; implicit-def: $sgpr10
	s_and_saveexec_b64 s[8:9], s[12:13]
; %bb.3142:
	s_mov_b32 s10, 0x7f800001
	s_xor_b64 s[4:5], exec, -1
; %bb.3143:
	s_or_b64 exec, exec, s[8:9]
	s_and_b64 s[4:5], s[4:5], exec
	s_or_saveexec_b64 s[6:7], s[6:7]
	v_mov_b32_e32 v11, s10
	s_xor_b64 exec, exec, s[6:7]
	s_cbranch_execz .LBB10_1094
.LBB10_3144:
	v_mov_b32_e32 v11, 0
	v_cmp_ne_u16_sdwa s[8:9], v12, v11 src0_sel:BYTE_0 src1_sel:DWORD
	s_andn2_b64 s[4:5], s[4:5], exec
	s_and_b64 s[8:9], s[8:9], exec
	s_or_b64 s[4:5], s[4:5], s[8:9]
	s_or_b64 exec, exec, s[6:7]
	s_and_saveexec_b64 s[6:7], s[4:5]
	s_cbranch_execnz .LBB10_1095
	s_branch .LBB10_1096
.LBB10_3145:
	s_movk_i32 s4, 0x80
	v_cmp_eq_u16_sdwa s[12:13], v11, s4 src0_sel:BYTE_0 src1_sel:DWORD
	s_mov_b64 s[4:5], -1
                                        ; implicit-def: $sgpr10
	s_and_saveexec_b64 s[8:9], s[12:13]
; %bb.3146:
	s_mov_b32 s10, 0x7f800001
	s_xor_b64 s[4:5], exec, -1
; %bb.3147:
	s_or_b64 exec, exec, s[8:9]
	s_and_b64 s[4:5], s[4:5], exec
	s_or_saveexec_b64 s[6:7], s[6:7]
	v_mov_b32_e32 v10, s10
	s_xor_b64 exec, exec, s[6:7]
	s_cbranch_execz .LBB10_1098
.LBB10_3148:
	v_mov_b32_e32 v10, 0
	v_cmp_ne_u16_sdwa s[8:9], v11, v10 src0_sel:BYTE_0 src1_sel:DWORD
	s_andn2_b64 s[4:5], s[4:5], exec
	s_and_b64 s[8:9], s[8:9], exec
	s_or_b64 s[4:5], s[4:5], s[8:9]
	s_or_b64 exec, exec, s[6:7]
	s_and_saveexec_b64 s[6:7], s[4:5]
	s_cbranch_execnz .LBB10_1099
	s_branch .LBB10_1100
.LBB10_3149:
	s_movk_i32 s4, 0x80
	v_cmp_eq_u16_sdwa s[12:13], v11, s4 src0_sel:BYTE_0 src1_sel:DWORD
	s_mov_b64 s[4:5], -1
                                        ; implicit-def: $sgpr10
	s_and_saveexec_b64 s[8:9], s[12:13]
; %bb.3150:
	s_mov_b32 s10, 0x7f800001
	s_xor_b64 s[4:5], exec, -1
; %bb.3151:
	s_or_b64 exec, exec, s[8:9]
	s_and_b64 s[4:5], s[4:5], exec
	s_or_saveexec_b64 s[6:7], s[6:7]
	v_mov_b32_e32 v14, s10
	s_xor_b64 exec, exec, s[6:7]
	s_cbranch_execz .LBB10_1102
.LBB10_3152:
	v_mov_b32_e32 v14, 0
	v_cmp_ne_u16_sdwa s[8:9], v11, v14 src0_sel:BYTE_0 src1_sel:DWORD
	s_andn2_b64 s[4:5], s[4:5], exec
	s_and_b64 s[8:9], s[8:9], exec
	s_or_b64 s[4:5], s[4:5], s[8:9]
	s_or_b64 exec, exec, s[6:7]
	s_and_saveexec_b64 s[6:7], s[4:5]
	s_cbranch_execnz .LBB10_1103
	s_branch .LBB10_1104
.LBB10_3153:
	s_movk_i32 s4, 0x80
	v_cmp_eq_u16_e32 vcc, s4, v11
	s_mov_b64 s[4:5], -1
                                        ; implicit-def: $sgpr10
	s_and_saveexec_b64 s[8:9], vcc
; %bb.3154:
	s_mov_b32 s10, 0x7f800001
	s_xor_b64 s[4:5], exec, -1
; %bb.3155:
	s_or_b64 exec, exec, s[8:9]
	s_and_b64 s[4:5], s[4:5], exec
                                        ; implicit-def: $vgpr11
	s_or_saveexec_b64 s[6:7], s[6:7]
	v_mov_b32_e32 v10, s10
	s_xor_b64 exec, exec, s[6:7]
	s_cbranch_execz .LBB10_1106
.LBB10_3156:
	v_cmp_ne_u16_e32 vcc, 0, v11
	s_andn2_b64 s[4:5], s[4:5], exec
	s_and_b64 s[8:9], vcc, exec
	v_mov_b32_e32 v10, 0
	s_or_b64 s[4:5], s[4:5], s[8:9]
	s_or_b64 exec, exec, s[6:7]
	s_and_saveexec_b64 s[6:7], s[4:5]
	s_cbranch_execnz .LBB10_1107
	s_branch .LBB10_1108
.LBB10_3157:
	s_movk_i32 s4, 0x80
	v_cmp_eq_u16_e32 vcc, s4, v11
	s_mov_b64 s[4:5], -1
                                        ; implicit-def: $sgpr10
	s_and_saveexec_b64 s[8:9], vcc
; %bb.3158:
	s_mov_b32 s10, 0x7f800001
	s_xor_b64 s[4:5], exec, -1
; %bb.3159:
	s_or_b64 exec, exec, s[8:9]
	s_and_b64 s[4:5], s[4:5], exec
                                        ; implicit-def: $vgpr11
	s_or_saveexec_b64 s[6:7], s[6:7]
	v_mov_b32_e32 v14, s10
	s_xor_b64 exec, exec, s[6:7]
	s_cbranch_execz .LBB10_1110
.LBB10_3160:
	v_cmp_ne_u16_e32 vcc, 0, v11
	s_andn2_b64 s[4:5], s[4:5], exec
	s_and_b64 s[8:9], vcc, exec
	v_mov_b32_e32 v14, 0
	s_or_b64 s[4:5], s[4:5], s[8:9]
	s_or_b64 exec, exec, s[6:7]
	s_and_saveexec_b64 s[6:7], s[4:5]
	s_cbranch_execnz .LBB10_1111
	s_branch .LBB10_1112
.LBB10_3161:
	s_movk_i32 s4, 0x80
	v_cmp_eq_u16_sdwa s[12:13], v16, s4 src0_sel:BYTE_3 src1_sel:DWORD
	s_mov_b64 s[4:5], -1
                                        ; implicit-def: $sgpr10
	s_and_saveexec_b64 s[8:9], s[12:13]
; %bb.3162:
	s_mov_b32 s10, 0x7f800001
	s_xor_b64 s[4:5], exec, -1
; %bb.3163:
	s_or_b64 exec, exec, s[8:9]
	s_and_b64 s[4:5], s[4:5], exec
	s_or_saveexec_b64 s[6:7], s[6:7]
	v_mov_b32_e32 v10, s10
	s_xor_b64 exec, exec, s[6:7]
	s_cbranch_execz .LBB10_1114
.LBB10_3164:
	v_mov_b32_e32 v10, 0
	v_cmp_ne_u16_sdwa s[8:9], v16, v10 src0_sel:BYTE_3 src1_sel:DWORD
	s_andn2_b64 s[4:5], s[4:5], exec
	s_and_b64 s[8:9], s[8:9], exec
	s_or_b64 s[4:5], s[4:5], s[8:9]
	s_or_b64 exec, exec, s[6:7]
	s_and_saveexec_b64 s[6:7], s[4:5]
	s_cbranch_execnz .LBB10_1115
	s_branch .LBB10_1116
.LBB10_3165:
	s_movk_i32 s4, 0x80
	v_cmp_eq_u16_sdwa s[12:13], v12, s4 src0_sel:BYTE_3 src1_sel:DWORD
	s_mov_b64 s[4:5], -1
                                        ; implicit-def: $sgpr10
	s_and_saveexec_b64 s[8:9], s[12:13]
; %bb.3166:
	s_mov_b32 s10, 0x7f800001
	s_xor_b64 s[4:5], exec, -1
; %bb.3167:
	s_or_b64 exec, exec, s[8:9]
	s_and_b64 s[4:5], s[4:5], exec
	s_or_saveexec_b64 s[6:7], s[6:7]
	v_mov_b32_e32 v11, s10
	s_xor_b64 exec, exec, s[6:7]
	s_cbranch_execz .LBB10_1118
.LBB10_3168:
	v_mov_b32_e32 v11, 0
	v_cmp_ne_u16_sdwa s[8:9], v12, v11 src0_sel:BYTE_3 src1_sel:DWORD
	s_andn2_b64 s[4:5], s[4:5], exec
	s_and_b64 s[8:9], s[8:9], exec
	s_or_b64 s[4:5], s[4:5], s[8:9]
	s_or_b64 exec, exec, s[6:7]
	s_and_saveexec_b64 s[6:7], s[4:5]
	s_cbranch_execnz .LBB10_1119
	s_branch .LBB10_1120
.LBB10_3169:
	s_movk_i32 s4, 0x80
	v_cmp_eq_u16_sdwa s[12:13], v17, s4 src0_sel:BYTE_0 src1_sel:DWORD
	s_mov_b64 s[4:5], -1
                                        ; implicit-def: $sgpr10
	s_and_saveexec_b64 s[8:9], s[12:13]
; %bb.3170:
	s_mov_b32 s10, 0x7f800001
	s_xor_b64 s[4:5], exec, -1
; %bb.3171:
	s_or_b64 exec, exec, s[8:9]
	s_and_b64 s[4:5], s[4:5], exec
	s_or_saveexec_b64 s[6:7], s[6:7]
	v_mov_b32_e32 v10, s10
	s_xor_b64 exec, exec, s[6:7]
	s_cbranch_execz .LBB10_1122
.LBB10_3172:
	v_mov_b32_e32 v10, 0
	v_cmp_ne_u16_sdwa s[8:9], v17, v10 src0_sel:BYTE_0 src1_sel:DWORD
	s_andn2_b64 s[4:5], s[4:5], exec
	s_and_b64 s[8:9], s[8:9], exec
	s_or_b64 s[4:5], s[4:5], s[8:9]
	s_or_b64 exec, exec, s[6:7]
	s_and_saveexec_b64 s[6:7], s[4:5]
	s_cbranch_execnz .LBB10_1123
	s_branch .LBB10_1124
.LBB10_3173:
	s_movk_i32 s4, 0x80
	v_cmp_eq_u16_sdwa s[12:13], v13, s4 src0_sel:BYTE_0 src1_sel:DWORD
	s_mov_b64 s[4:5], -1
                                        ; implicit-def: $sgpr10
	s_and_saveexec_b64 s[8:9], s[12:13]
; %bb.3174:
	s_mov_b32 s10, 0x7f800001
	s_xor_b64 s[4:5], exec, -1
; %bb.3175:
	s_or_b64 exec, exec, s[8:9]
	s_and_b64 s[4:5], s[4:5], exec
	s_or_saveexec_b64 s[6:7], s[6:7]
	v_mov_b32_e32 v11, s10
	s_xor_b64 exec, exec, s[6:7]
	s_cbranch_execz .LBB10_1126
.LBB10_3176:
	v_mov_b32_e32 v11, 0
	v_cmp_ne_u16_sdwa s[8:9], v13, v11 src0_sel:BYTE_0 src1_sel:DWORD
	s_andn2_b64 s[4:5], s[4:5], exec
	s_and_b64 s[8:9], s[8:9], exec
	s_or_b64 s[4:5], s[4:5], s[8:9]
	s_or_b64 exec, exec, s[6:7]
	s_and_saveexec_b64 s[6:7], s[4:5]
	s_cbranch_execnz .LBB10_1127
	s_branch .LBB10_1128
.LBB10_3177:
	s_movk_i32 s4, 0x80
	v_cmp_eq_u16_sdwa s[12:13], v11, s4 src0_sel:BYTE_0 src1_sel:DWORD
	s_mov_b64 s[4:5], -1
                                        ; implicit-def: $sgpr10
	s_and_saveexec_b64 s[8:9], s[12:13]
; %bb.3178:
	s_mov_b32 s10, 0x7f800001
	s_xor_b64 s[4:5], exec, -1
; %bb.3179:
	s_or_b64 exec, exec, s[8:9]
	s_and_b64 s[4:5], s[4:5], exec
	s_or_saveexec_b64 s[6:7], s[6:7]
	v_mov_b32_e32 v10, s10
	s_xor_b64 exec, exec, s[6:7]
	s_cbranch_execz .LBB10_1130
.LBB10_3180:
	v_mov_b32_e32 v10, 0
	v_cmp_ne_u16_sdwa s[8:9], v11, v10 src0_sel:BYTE_0 src1_sel:DWORD
	s_andn2_b64 s[4:5], s[4:5], exec
	s_and_b64 s[8:9], s[8:9], exec
	s_or_b64 s[4:5], s[4:5], s[8:9]
	s_or_b64 exec, exec, s[6:7]
	s_and_saveexec_b64 s[6:7], s[4:5]
	s_cbranch_execnz .LBB10_1131
	s_branch .LBB10_1132
.LBB10_3181:
	s_movk_i32 s4, 0x80
	v_cmp_eq_u16_sdwa s[12:13], v11, s4 src0_sel:BYTE_0 src1_sel:DWORD
	s_mov_b64 s[4:5], -1
                                        ; implicit-def: $sgpr10
	s_and_saveexec_b64 s[8:9], s[12:13]
; %bb.3182:
	s_mov_b32 s10, 0x7f800001
	s_xor_b64 s[4:5], exec, -1
; %bb.3183:
	s_or_b64 exec, exec, s[8:9]
	s_and_b64 s[4:5], s[4:5], exec
	s_or_saveexec_b64 s[6:7], s[6:7]
	v_mov_b32_e32 v12, s10
	s_xor_b64 exec, exec, s[6:7]
	s_cbranch_execz .LBB10_1134
.LBB10_3184:
	v_mov_b32_e32 v12, 0
	v_cmp_ne_u16_sdwa s[8:9], v11, v12 src0_sel:BYTE_0 src1_sel:DWORD
	s_andn2_b64 s[4:5], s[4:5], exec
	s_and_b64 s[8:9], s[8:9], exec
	s_or_b64 s[4:5], s[4:5], s[8:9]
	s_or_b64 exec, exec, s[6:7]
	s_and_saveexec_b64 s[6:7], s[4:5]
	s_cbranch_execnz .LBB10_1135
	s_branch .LBB10_1136
.LBB10_3185:
	s_movk_i32 s4, 0x80
	v_cmp_eq_u16_e32 vcc, s4, v11
	s_mov_b64 s[4:5], -1
                                        ; implicit-def: $sgpr10
	s_and_saveexec_b64 s[8:9], vcc
; %bb.3186:
	s_mov_b32 s10, 0x7f800001
	s_xor_b64 s[4:5], exec, -1
; %bb.3187:
	s_or_b64 exec, exec, s[8:9]
	s_and_b64 s[4:5], s[4:5], exec
                                        ; implicit-def: $vgpr11
	s_or_saveexec_b64 s[6:7], s[6:7]
	v_mov_b32_e32 v10, s10
	s_xor_b64 exec, exec, s[6:7]
	s_cbranch_execz .LBB10_1138
.LBB10_3188:
	v_cmp_ne_u16_e32 vcc, 0, v11
	s_andn2_b64 s[4:5], s[4:5], exec
	s_and_b64 s[8:9], vcc, exec
	v_mov_b32_e32 v10, 0
	s_or_b64 s[4:5], s[4:5], s[8:9]
	s_or_b64 exec, exec, s[6:7]
	s_and_saveexec_b64 s[6:7], s[4:5]
	s_cbranch_execnz .LBB10_1139
	s_branch .LBB10_1140
.LBB10_3189:
	s_movk_i32 s4, 0x80
	v_cmp_eq_u16_e32 vcc, s4, v11
	s_mov_b64 s[4:5], -1
                                        ; implicit-def: $sgpr10
	s_and_saveexec_b64 s[8:9], vcc
; %bb.3190:
	s_mov_b32 s10, 0x7f800001
	s_xor_b64 s[4:5], exec, -1
; %bb.3191:
	s_or_b64 exec, exec, s[8:9]
	s_and_b64 s[4:5], s[4:5], exec
                                        ; implicit-def: $vgpr11
	s_or_saveexec_b64 s[6:7], s[6:7]
	v_mov_b32_e32 v12, s10
	s_xor_b64 exec, exec, s[6:7]
	s_cbranch_execz .LBB10_1142
.LBB10_3192:
	v_cmp_ne_u16_e32 vcc, 0, v11
	s_andn2_b64 s[4:5], s[4:5], exec
	s_and_b64 s[8:9], vcc, exec
	v_mov_b32_e32 v12, 0
	s_or_b64 s[4:5], s[4:5], s[8:9]
	s_or_b64 exec, exec, s[6:7]
	s_and_saveexec_b64 s[6:7], s[4:5]
	s_cbranch_execnz .LBB10_1143
	s_branch .LBB10_1144
.LBB10_3193:
	s_movk_i32 s4, 0x80
	v_cmp_eq_u16_sdwa s[12:13], v17, s4 src0_sel:BYTE_3 src1_sel:DWORD
	s_mov_b64 s[4:5], -1
                                        ; implicit-def: $sgpr10
	s_and_saveexec_b64 s[8:9], s[12:13]
; %bb.3194:
	s_mov_b32 s10, 0x7f800001
	s_xor_b64 s[4:5], exec, -1
; %bb.3195:
	s_or_b64 exec, exec, s[8:9]
	s_and_b64 s[4:5], s[4:5], exec
	s_or_saveexec_b64 s[6:7], s[6:7]
	v_mov_b32_e32 v10, s10
	s_xor_b64 exec, exec, s[6:7]
	s_cbranch_execz .LBB10_1146
.LBB10_3196:
	v_mov_b32_e32 v10, 0
	v_cmp_ne_u16_sdwa s[8:9], v17, v10 src0_sel:BYTE_3 src1_sel:DWORD
	s_andn2_b64 s[4:5], s[4:5], exec
	s_and_b64 s[8:9], s[8:9], exec
	s_or_b64 s[4:5], s[4:5], s[8:9]
	s_or_b64 exec, exec, s[6:7]
	s_and_saveexec_b64 s[6:7], s[4:5]
	s_cbranch_execnz .LBB10_1147
	s_branch .LBB10_1148
.LBB10_3197:
	s_movk_i32 s4, 0x80
	v_cmp_eq_u16_sdwa s[12:13], v13, s4 src0_sel:BYTE_3 src1_sel:DWORD
	s_mov_b64 s[4:5], -1
                                        ; implicit-def: $sgpr10
	s_and_saveexec_b64 s[8:9], s[12:13]
; %bb.3198:
	s_mov_b32 s10, 0x7f800001
	s_xor_b64 s[4:5], exec, -1
; %bb.3199:
	s_or_b64 exec, exec, s[8:9]
	s_and_b64 s[4:5], s[4:5], exec
	s_or_saveexec_b64 s[6:7], s[6:7]
	v_mov_b32_e32 v11, s10
	s_xor_b64 exec, exec, s[6:7]
	s_cbranch_execz .LBB10_1150
.LBB10_3200:
	v_mov_b32_e32 v11, 0
	v_cmp_ne_u16_sdwa s[8:9], v13, v11 src0_sel:BYTE_3 src1_sel:DWORD
	s_andn2_b64 s[4:5], s[4:5], exec
	s_and_b64 s[8:9], s[8:9], exec
	s_or_b64 s[4:5], s[4:5], s[8:9]
	s_or_b64 exec, exec, s[6:7]
	s_and_saveexec_b64 s[6:7], s[4:5]
	s_cbranch_execnz .LBB10_1151
	s_branch .LBB10_1152
.LBB10_3201:
	s_movk_i32 s4, 0x80
	v_cmp_eq_u16_sdwa s[12:13], v6, s4 src0_sel:BYTE_0 src1_sel:DWORD
	s_mov_b64 s[4:5], -1
                                        ; implicit-def: $sgpr10
	s_and_saveexec_b64 s[8:9], s[12:13]
; %bb.3202:
	s_mov_b32 s10, 0x7f800001
	s_xor_b64 s[4:5], exec, -1
; %bb.3203:
	s_or_b64 exec, exec, s[8:9]
	s_and_b64 s[4:5], s[4:5], exec
	s_or_saveexec_b64 s[6:7], s[6:7]
	v_mov_b32_e32 v10, s10
	s_xor_b64 exec, exec, s[6:7]
	s_cbranch_execz .LBB10_1154
.LBB10_3204:
	v_mov_b32_e32 v10, 0
	v_cmp_ne_u16_sdwa s[8:9], v6, v10 src0_sel:BYTE_0 src1_sel:DWORD
	s_andn2_b64 s[4:5], s[4:5], exec
	s_and_b64 s[8:9], s[8:9], exec
	s_or_b64 s[4:5], s[4:5], s[8:9]
	s_or_b64 exec, exec, s[6:7]
	s_and_saveexec_b64 s[6:7], s[4:5]
	s_cbranch_execnz .LBB10_1155
	s_branch .LBB10_1156
.LBB10_3205:
	s_movk_i32 s4, 0x80
	v_cmp_eq_u16_sdwa s[12:13], v2, s4 src0_sel:BYTE_0 src1_sel:DWORD
	s_mov_b64 s[4:5], -1
                                        ; implicit-def: $sgpr10
	s_and_saveexec_b64 s[8:9], s[12:13]
; %bb.3206:
	s_mov_b32 s10, 0x7f800001
	s_xor_b64 s[4:5], exec, -1
; %bb.3207:
	s_or_b64 exec, exec, s[8:9]
	s_and_b64 s[4:5], s[4:5], exec
	s_or_saveexec_b64 s[6:7], s[6:7]
	v_mov_b32_e32 v11, s10
	s_xor_b64 exec, exec, s[6:7]
	s_cbranch_execz .LBB10_1158
.LBB10_3208:
	v_mov_b32_e32 v11, 0
	v_cmp_ne_u16_sdwa s[8:9], v2, v11 src0_sel:BYTE_0 src1_sel:DWORD
	s_andn2_b64 s[4:5], s[4:5], exec
	s_and_b64 s[8:9], s[8:9], exec
	s_or_b64 s[4:5], s[4:5], s[8:9]
	s_or_b64 exec, exec, s[6:7]
	s_and_saveexec_b64 s[6:7], s[4:5]
	s_cbranch_execnz .LBB10_1159
	s_branch .LBB10_1160
.LBB10_3209:
	s_movk_i32 s4, 0x80
	v_cmp_eq_u16_sdwa s[12:13], v11, s4 src0_sel:BYTE_0 src1_sel:DWORD
	s_mov_b64 s[4:5], -1
                                        ; implicit-def: $sgpr10
	s_and_saveexec_b64 s[8:9], s[12:13]
; %bb.3210:
	s_mov_b32 s10, 0x7f800001
	s_xor_b64 s[4:5], exec, -1
; %bb.3211:
	s_or_b64 exec, exec, s[8:9]
	s_and_b64 s[4:5], s[4:5], exec
	s_or_saveexec_b64 s[6:7], s[6:7]
	v_mov_b32_e32 v10, s10
	s_xor_b64 exec, exec, s[6:7]
	s_cbranch_execz .LBB10_1162
.LBB10_3212:
	v_mov_b32_e32 v10, 0
	v_cmp_ne_u16_sdwa s[8:9], v11, v10 src0_sel:BYTE_0 src1_sel:DWORD
	s_andn2_b64 s[4:5], s[4:5], exec
	s_and_b64 s[8:9], s[8:9], exec
	s_or_b64 s[4:5], s[4:5], s[8:9]
	s_or_b64 exec, exec, s[6:7]
	s_and_saveexec_b64 s[6:7], s[4:5]
	s_cbranch_execnz .LBB10_1163
	s_branch .LBB10_1164
.LBB10_3213:
	s_movk_i32 s4, 0x80
	v_cmp_eq_u16_sdwa s[12:13], v11, s4 src0_sel:BYTE_0 src1_sel:DWORD
	s_mov_b64 s[4:5], -1
                                        ; implicit-def: $sgpr10
	s_and_saveexec_b64 s[8:9], s[12:13]
; %bb.3214:
	s_mov_b32 s10, 0x7f800001
	s_xor_b64 s[4:5], exec, -1
; %bb.3215:
	s_or_b64 exec, exec, s[8:9]
	s_and_b64 s[4:5], s[4:5], exec
	s_or_saveexec_b64 s[6:7], s[6:7]
	v_mov_b32_e32 v12, s10
	s_xor_b64 exec, exec, s[6:7]
	s_cbranch_execz .LBB10_1166
.LBB10_3216:
	v_mov_b32_e32 v12, 0
	v_cmp_ne_u16_sdwa s[8:9], v11, v12 src0_sel:BYTE_0 src1_sel:DWORD
	s_andn2_b64 s[4:5], s[4:5], exec
	s_and_b64 s[8:9], s[8:9], exec
	s_or_b64 s[4:5], s[4:5], s[8:9]
	s_or_b64 exec, exec, s[6:7]
	s_and_saveexec_b64 s[6:7], s[4:5]
	s_cbranch_execnz .LBB10_1167
	s_branch .LBB10_1168
.LBB10_3217:
	s_movk_i32 s4, 0x80
	v_cmp_eq_u16_e32 vcc, s4, v11
	s_mov_b64 s[4:5], -1
                                        ; implicit-def: $sgpr10
	s_and_saveexec_b64 s[8:9], vcc
; %bb.3218:
	s_mov_b32 s10, 0x7f800001
	s_xor_b64 s[4:5], exec, -1
; %bb.3219:
	s_or_b64 exec, exec, s[8:9]
	s_and_b64 s[4:5], s[4:5], exec
                                        ; implicit-def: $vgpr11
	s_or_saveexec_b64 s[6:7], s[6:7]
	v_mov_b32_e32 v10, s10
	s_xor_b64 exec, exec, s[6:7]
	s_cbranch_execz .LBB10_1170
.LBB10_3220:
	v_cmp_ne_u16_e32 vcc, 0, v11
	s_andn2_b64 s[4:5], s[4:5], exec
	s_and_b64 s[8:9], vcc, exec
	v_mov_b32_e32 v10, 0
	s_or_b64 s[4:5], s[4:5], s[8:9]
	s_or_b64 exec, exec, s[6:7]
	s_and_saveexec_b64 s[6:7], s[4:5]
	s_cbranch_execnz .LBB10_1171
	s_branch .LBB10_1172
.LBB10_3221:
	s_movk_i32 s4, 0x80
	v_cmp_eq_u16_e32 vcc, s4, v11
	s_mov_b64 s[4:5], -1
                                        ; implicit-def: $sgpr10
	s_and_saveexec_b64 s[8:9], vcc
; %bb.3222:
	s_mov_b32 s10, 0x7f800001
	s_xor_b64 s[4:5], exec, -1
; %bb.3223:
	s_or_b64 exec, exec, s[8:9]
	s_and_b64 s[4:5], s[4:5], exec
                                        ; implicit-def: $vgpr11
	s_or_saveexec_b64 s[6:7], s[6:7]
	v_mov_b32_e32 v12, s10
	s_xor_b64 exec, exec, s[6:7]
	s_cbranch_execz .LBB10_1174
.LBB10_3224:
	v_cmp_ne_u16_e32 vcc, 0, v11
	s_andn2_b64 s[4:5], s[4:5], exec
	s_and_b64 s[8:9], vcc, exec
	v_mov_b32_e32 v12, 0
	s_or_b64 s[4:5], s[4:5], s[8:9]
	s_or_b64 exec, exec, s[6:7]
	s_and_saveexec_b64 s[6:7], s[4:5]
	s_cbranch_execnz .LBB10_1175
	s_branch .LBB10_1176
.LBB10_3225:
	s_movk_i32 s4, 0x80
	v_cmp_eq_u16_sdwa s[12:13], v6, s4 src0_sel:BYTE_3 src1_sel:DWORD
	s_mov_b64 s[4:5], -1
                                        ; implicit-def: $sgpr10
	s_and_saveexec_b64 s[8:9], s[12:13]
; %bb.3226:
	s_mov_b32 s10, 0x7f800001
	s_xor_b64 s[4:5], exec, -1
; %bb.3227:
	s_or_b64 exec, exec, s[8:9]
	s_and_b64 s[4:5], s[4:5], exec
	s_or_saveexec_b64 s[6:7], s[6:7]
	v_mov_b32_e32 v10, s10
	s_xor_b64 exec, exec, s[6:7]
	s_cbranch_execz .LBB10_1178
.LBB10_3228:
	v_mov_b32_e32 v10, 0
	v_cmp_ne_u16_sdwa s[8:9], v6, v10 src0_sel:BYTE_3 src1_sel:DWORD
	s_andn2_b64 s[4:5], s[4:5], exec
	s_and_b64 s[8:9], s[8:9], exec
	s_or_b64 s[4:5], s[4:5], s[8:9]
	s_or_b64 exec, exec, s[6:7]
	s_and_saveexec_b64 s[6:7], s[4:5]
	s_cbranch_execnz .LBB10_1179
	s_branch .LBB10_1180
.LBB10_3229:
	s_movk_i32 s4, 0x80
	v_cmp_eq_u16_sdwa s[12:13], v2, s4 src0_sel:BYTE_3 src1_sel:DWORD
	s_mov_b64 s[4:5], -1
                                        ; implicit-def: $sgpr10
	s_and_saveexec_b64 s[8:9], s[12:13]
; %bb.3230:
	s_mov_b32 s10, 0x7f800001
	s_xor_b64 s[4:5], exec, -1
; %bb.3231:
	s_or_b64 exec, exec, s[8:9]
	s_and_b64 s[4:5], s[4:5], exec
	s_or_saveexec_b64 s[6:7], s[6:7]
	v_mov_b32_e32 v6, s10
	s_xor_b64 exec, exec, s[6:7]
	s_cbranch_execz .LBB10_1182
.LBB10_3232:
	v_mov_b32_e32 v6, 0
	v_cmp_ne_u16_sdwa s[8:9], v2, v6 src0_sel:BYTE_3 src1_sel:DWORD
	s_andn2_b64 s[4:5], s[4:5], exec
	s_and_b64 s[8:9], s[8:9], exec
	s_or_b64 s[4:5], s[4:5], s[8:9]
	s_or_b64 exec, exec, s[6:7]
	s_and_saveexec_b64 s[6:7], s[4:5]
	s_cbranch_execnz .LBB10_1183
	s_branch .LBB10_1184
.LBB10_3233:
	s_movk_i32 s4, 0x80
	v_cmp_eq_u16_sdwa s[12:13], v7, s4 src0_sel:BYTE_0 src1_sel:DWORD
	s_mov_b64 s[4:5], -1
                                        ; implicit-def: $sgpr10
	s_and_saveexec_b64 s[8:9], s[12:13]
; %bb.3234:
	s_mov_b32 s10, 0x7f800001
	s_xor_b64 s[4:5], exec, -1
; %bb.3235:
	s_or_b64 exec, exec, s[8:9]
	s_and_b64 s[4:5], s[4:5], exec
	s_or_saveexec_b64 s[6:7], s[6:7]
	v_mov_b32_e32 v2, s10
	s_xor_b64 exec, exec, s[6:7]
	s_cbranch_execz .LBB10_1186
.LBB10_3236:
	v_mov_b32_e32 v2, 0
	v_cmp_ne_u16_sdwa s[8:9], v7, v2 src0_sel:BYTE_0 src1_sel:DWORD
	s_andn2_b64 s[4:5], s[4:5], exec
	s_and_b64 s[8:9], s[8:9], exec
	s_or_b64 s[4:5], s[4:5], s[8:9]
	s_or_b64 exec, exec, s[6:7]
	s_and_saveexec_b64 s[6:7], s[4:5]
	s_cbranch_execnz .LBB10_1187
	s_branch .LBB10_1188
.LBB10_3237:
	s_movk_i32 s4, 0x80
	v_cmp_eq_u16_sdwa s[12:13], v3, s4 src0_sel:BYTE_0 src1_sel:DWORD
	s_mov_b64 s[4:5], -1
                                        ; implicit-def: $sgpr10
	s_and_saveexec_b64 s[8:9], s[12:13]
; %bb.3238:
	s_mov_b32 s10, 0x7f800001
	s_xor_b64 s[4:5], exec, -1
; %bb.3239:
	s_or_b64 exec, exec, s[8:9]
	s_and_b64 s[4:5], s[4:5], exec
	s_or_saveexec_b64 s[6:7], s[6:7]
	v_mov_b32_e32 v6, s10
	s_xor_b64 exec, exec, s[6:7]
	s_cbranch_execz .LBB10_1190
.LBB10_3240:
	v_mov_b32_e32 v6, 0
	v_cmp_ne_u16_sdwa s[8:9], v3, v6 src0_sel:BYTE_0 src1_sel:DWORD
	s_andn2_b64 s[4:5], s[4:5], exec
	s_and_b64 s[8:9], s[8:9], exec
	s_or_b64 s[4:5], s[4:5], s[8:9]
	s_or_b64 exec, exec, s[6:7]
	s_and_saveexec_b64 s[6:7], s[4:5]
	s_cbranch_execnz .LBB10_1191
	s_branch .LBB10_1192
.LBB10_3241:
	s_movk_i32 s4, 0x80
	v_cmp_eq_u16_sdwa s[12:13], v6, s4 src0_sel:BYTE_0 src1_sel:DWORD
	s_mov_b64 s[4:5], -1
                                        ; implicit-def: $sgpr10
	s_and_saveexec_b64 s[8:9], s[12:13]
; %bb.3242:
	s_mov_b32 s10, 0x7f800001
	s_xor_b64 s[4:5], exec, -1
; %bb.3243:
	s_or_b64 exec, exec, s[8:9]
	s_and_b64 s[4:5], s[4:5], exec
	s_or_saveexec_b64 s[6:7], s[6:7]
	v_mov_b32_e32 v2, s10
	s_xor_b64 exec, exec, s[6:7]
	s_cbranch_execz .LBB10_1194
.LBB10_3244:
	v_mov_b32_e32 v2, 0
	v_cmp_ne_u16_sdwa s[8:9], v6, v2 src0_sel:BYTE_0 src1_sel:DWORD
	s_andn2_b64 s[4:5], s[4:5], exec
	s_and_b64 s[8:9], s[8:9], exec
	s_or_b64 s[4:5], s[4:5], s[8:9]
	s_or_b64 exec, exec, s[6:7]
	s_and_saveexec_b64 s[6:7], s[4:5]
	s_cbranch_execnz .LBB10_1195
	s_branch .LBB10_1196
.LBB10_3245:
	s_movk_i32 s4, 0x80
	v_cmp_eq_u16_sdwa s[12:13], v6, s4 src0_sel:BYTE_0 src1_sel:DWORD
	s_mov_b64 s[4:5], -1
                                        ; implicit-def: $sgpr10
	s_and_saveexec_b64 s[8:9], s[12:13]
; %bb.3246:
	s_mov_b32 s10, 0x7f800001
	s_xor_b64 s[4:5], exec, -1
; %bb.3247:
	s_or_b64 exec, exec, s[8:9]
	s_and_b64 s[4:5], s[4:5], exec
	s_or_saveexec_b64 s[6:7], s[6:7]
	v_mov_b32_e32 v10, s10
	s_xor_b64 exec, exec, s[6:7]
	s_cbranch_execz .LBB10_1198
.LBB10_3248:
	v_mov_b32_e32 v10, 0
	v_cmp_ne_u16_sdwa s[8:9], v6, v10 src0_sel:BYTE_0 src1_sel:DWORD
	s_andn2_b64 s[4:5], s[4:5], exec
	s_and_b64 s[8:9], s[8:9], exec
	s_or_b64 s[4:5], s[4:5], s[8:9]
	s_or_b64 exec, exec, s[6:7]
	s_and_saveexec_b64 s[6:7], s[4:5]
	s_cbranch_execnz .LBB10_1199
	s_branch .LBB10_1200
.LBB10_3249:
	s_movk_i32 s4, 0x80
	v_cmp_eq_u16_e32 vcc, s4, v6
	s_mov_b64 s[4:5], -1
                                        ; implicit-def: $sgpr10
	s_and_saveexec_b64 s[8:9], vcc
; %bb.3250:
	s_mov_b32 s10, 0x7f800001
	s_xor_b64 s[4:5], exec, -1
; %bb.3251:
	s_or_b64 exec, exec, s[8:9]
	s_and_b64 s[4:5], s[4:5], exec
                                        ; implicit-def: $vgpr6
	s_or_saveexec_b64 s[6:7], s[6:7]
	v_mov_b32_e32 v2, s10
	s_xor_b64 exec, exec, s[6:7]
	s_cbranch_execz .LBB10_1202
.LBB10_3252:
	v_cmp_ne_u16_e32 vcc, 0, v6
	s_andn2_b64 s[4:5], s[4:5], exec
	s_and_b64 s[8:9], vcc, exec
	v_mov_b32_e32 v2, 0
	s_or_b64 s[4:5], s[4:5], s[8:9]
	s_or_b64 exec, exec, s[6:7]
	s_and_saveexec_b64 s[6:7], s[4:5]
	s_cbranch_execnz .LBB10_1203
	s_branch .LBB10_1204
.LBB10_3253:
	s_movk_i32 s4, 0x80
	v_cmp_eq_u16_e32 vcc, s4, v6
	s_mov_b64 s[4:5], -1
                                        ; implicit-def: $sgpr10
	s_and_saveexec_b64 s[8:9], vcc
; %bb.3254:
	s_mov_b32 s10, 0x7f800001
	s_xor_b64 s[4:5], exec, -1
; %bb.3255:
	s_or_b64 exec, exec, s[8:9]
	s_and_b64 s[4:5], s[4:5], exec
                                        ; implicit-def: $vgpr6
	s_or_saveexec_b64 s[6:7], s[6:7]
	v_mov_b32_e32 v10, s10
	s_xor_b64 exec, exec, s[6:7]
	s_cbranch_execz .LBB10_1206
.LBB10_3256:
	v_cmp_ne_u16_e32 vcc, 0, v6
	s_andn2_b64 s[4:5], s[4:5], exec
	s_and_b64 s[8:9], vcc, exec
	v_mov_b32_e32 v10, 0
	s_or_b64 s[4:5], s[4:5], s[8:9]
	s_or_b64 exec, exec, s[6:7]
	s_and_saveexec_b64 s[6:7], s[4:5]
	s_cbranch_execnz .LBB10_1207
	s_branch .LBB10_1208
.LBB10_3257:
	s_movk_i32 s4, 0x80
	v_cmp_eq_u16_sdwa s[12:13], v7, s4 src0_sel:BYTE_3 src1_sel:DWORD
	s_mov_b64 s[4:5], -1
                                        ; implicit-def: $sgpr10
	s_and_saveexec_b64 s[8:9], s[12:13]
; %bb.3258:
	s_mov_b32 s10, 0x7f800001
	s_xor_b64 s[4:5], exec, -1
; %bb.3259:
	s_or_b64 exec, exec, s[8:9]
	s_and_b64 s[4:5], s[4:5], exec
	s_or_saveexec_b64 s[6:7], s[6:7]
	v_mov_b32_e32 v2, s10
	s_xor_b64 exec, exec, s[6:7]
	s_cbranch_execz .LBB10_1210
.LBB10_3260:
	v_mov_b32_e32 v2, 0
	v_cmp_ne_u16_sdwa s[8:9], v7, v2 src0_sel:BYTE_3 src1_sel:DWORD
	s_andn2_b64 s[4:5], s[4:5], exec
	s_and_b64 s[8:9], s[8:9], exec
	s_or_b64 s[4:5], s[4:5], s[8:9]
	s_or_b64 exec, exec, s[6:7]
	s_and_saveexec_b64 s[6:7], s[4:5]
	s_cbranch_execnz .LBB10_1211
	s_branch .LBB10_1212
.LBB10_3261:
	s_movk_i32 s4, 0x80
	v_cmp_eq_u16_sdwa s[12:13], v3, s4 src0_sel:BYTE_3 src1_sel:DWORD
	s_mov_b64 s[4:5], -1
                                        ; implicit-def: $sgpr10
	s_and_saveexec_b64 s[8:9], s[12:13]
; %bb.3262:
	s_mov_b32 s10, 0x7f800001
	s_xor_b64 s[4:5], exec, -1
; %bb.3263:
	s_or_b64 exec, exec, s[8:9]
	s_and_b64 s[4:5], s[4:5], exec
	s_or_saveexec_b64 s[6:7], s[6:7]
	v_mov_b32_e32 v6, s10
	s_xor_b64 exec, exec, s[6:7]
	s_cbranch_execz .LBB10_1214
.LBB10_3264:
	v_mov_b32_e32 v6, 0
	v_cmp_ne_u16_sdwa s[8:9], v3, v6 src0_sel:BYTE_3 src1_sel:DWORD
	s_andn2_b64 s[4:5], s[4:5], exec
	s_and_b64 s[8:9], s[8:9], exec
	s_or_b64 s[4:5], s[4:5], s[8:9]
	s_or_b64 exec, exec, s[6:7]
	s_and_saveexec_b64 s[6:7], s[4:5]
	s_cbranch_execnz .LBB10_1215
	s_branch .LBB10_1216
.LBB10_3265:
	s_movk_i32 s4, 0x80
	v_cmp_eq_u16_sdwa s[12:13], v8, s4 src0_sel:BYTE_0 src1_sel:DWORD
	s_mov_b64 s[4:5], -1
                                        ; implicit-def: $sgpr10
	s_and_saveexec_b64 s[8:9], s[12:13]
; %bb.3266:
	s_mov_b32 s10, 0x7f800001
	s_xor_b64 s[4:5], exec, -1
; %bb.3267:
	s_or_b64 exec, exec, s[8:9]
	s_and_b64 s[4:5], s[4:5], exec
	s_or_saveexec_b64 s[6:7], s[6:7]
	v_mov_b32_e32 v2, s10
	s_xor_b64 exec, exec, s[6:7]
	s_cbranch_execz .LBB10_1218
.LBB10_3268:
	v_mov_b32_e32 v2, 0
	v_cmp_ne_u16_sdwa s[8:9], v8, v2 src0_sel:BYTE_0 src1_sel:DWORD
	s_andn2_b64 s[4:5], s[4:5], exec
	s_and_b64 s[8:9], s[8:9], exec
	s_or_b64 s[4:5], s[4:5], s[8:9]
	s_or_b64 exec, exec, s[6:7]
	s_and_saveexec_b64 s[6:7], s[4:5]
	s_cbranch_execnz .LBB10_1219
	s_branch .LBB10_1220
.LBB10_3269:
	s_movk_i32 s4, 0x80
	v_cmp_eq_u16_sdwa s[12:13], v4, s4 src0_sel:BYTE_0 src1_sel:DWORD
	s_mov_b64 s[4:5], -1
                                        ; implicit-def: $sgpr10
	s_and_saveexec_b64 s[8:9], s[12:13]
; %bb.3270:
	s_mov_b32 s10, 0x7f800001
	s_xor_b64 s[4:5], exec, -1
; %bb.3271:
	s_or_b64 exec, exec, s[8:9]
	s_and_b64 s[4:5], s[4:5], exec
	s_or_saveexec_b64 s[6:7], s[6:7]
	v_mov_b32_e32 v3, s10
	s_xor_b64 exec, exec, s[6:7]
	s_cbranch_execz .LBB10_1222
.LBB10_3272:
	v_mov_b32_e32 v3, 0
	v_cmp_ne_u16_sdwa s[8:9], v4, v3 src0_sel:BYTE_0 src1_sel:DWORD
	s_andn2_b64 s[4:5], s[4:5], exec
	s_and_b64 s[8:9], s[8:9], exec
	s_or_b64 s[4:5], s[4:5], s[8:9]
	s_or_b64 exec, exec, s[6:7]
	s_and_saveexec_b64 s[6:7], s[4:5]
	s_cbranch_execnz .LBB10_1223
	s_branch .LBB10_1224
.LBB10_3273:
	s_movk_i32 s4, 0x80
	v_cmp_eq_u16_sdwa s[12:13], v3, s4 src0_sel:BYTE_0 src1_sel:DWORD
	s_mov_b64 s[4:5], -1
                                        ; implicit-def: $sgpr10
	s_and_saveexec_b64 s[8:9], s[12:13]
; %bb.3274:
	s_mov_b32 s10, 0x7f800001
	s_xor_b64 s[4:5], exec, -1
; %bb.3275:
	s_or_b64 exec, exec, s[8:9]
	s_and_b64 s[4:5], s[4:5], exec
	s_or_saveexec_b64 s[6:7], s[6:7]
	v_mov_b32_e32 v2, s10
	s_xor_b64 exec, exec, s[6:7]
	s_cbranch_execz .LBB10_1226
.LBB10_3276:
	v_mov_b32_e32 v2, 0
	v_cmp_ne_u16_sdwa s[8:9], v3, v2 src0_sel:BYTE_0 src1_sel:DWORD
	s_andn2_b64 s[4:5], s[4:5], exec
	s_and_b64 s[8:9], s[8:9], exec
	s_or_b64 s[4:5], s[4:5], s[8:9]
	s_or_b64 exec, exec, s[6:7]
	s_and_saveexec_b64 s[6:7], s[4:5]
	s_cbranch_execnz .LBB10_1227
	s_branch .LBB10_1228
.LBB10_3277:
	s_movk_i32 s4, 0x80
	v_cmp_eq_u16_sdwa s[12:13], v3, s4 src0_sel:BYTE_0 src1_sel:DWORD
	s_mov_b64 s[4:5], -1
                                        ; implicit-def: $sgpr10
	s_and_saveexec_b64 s[8:9], s[12:13]
; %bb.3278:
	s_mov_b32 s10, 0x7f800001
	s_xor_b64 s[4:5], exec, -1
; %bb.3279:
	s_or_b64 exec, exec, s[8:9]
	s_and_b64 s[4:5], s[4:5], exec
	s_or_saveexec_b64 s[6:7], s[6:7]
	v_mov_b32_e32 v6, s10
	s_xor_b64 exec, exec, s[6:7]
	s_cbranch_execz .LBB10_1230
.LBB10_3280:
	v_mov_b32_e32 v6, 0
	v_cmp_ne_u16_sdwa s[8:9], v3, v6 src0_sel:BYTE_0 src1_sel:DWORD
	s_andn2_b64 s[4:5], s[4:5], exec
	s_and_b64 s[8:9], s[8:9], exec
	s_or_b64 s[4:5], s[4:5], s[8:9]
	s_or_b64 exec, exec, s[6:7]
	s_and_saveexec_b64 s[6:7], s[4:5]
	s_cbranch_execnz .LBB10_1231
	s_branch .LBB10_1232
.LBB10_3281:
	s_movk_i32 s4, 0x80
	v_cmp_eq_u16_e32 vcc, s4, v3
	s_mov_b64 s[4:5], -1
                                        ; implicit-def: $sgpr10
	s_and_saveexec_b64 s[8:9], vcc
; %bb.3282:
	s_mov_b32 s10, 0x7f800001
	s_xor_b64 s[4:5], exec, -1
; %bb.3283:
	s_or_b64 exec, exec, s[8:9]
	s_and_b64 s[4:5], s[4:5], exec
                                        ; implicit-def: $vgpr3
	s_or_saveexec_b64 s[6:7], s[6:7]
	v_mov_b32_e32 v2, s10
	s_xor_b64 exec, exec, s[6:7]
	s_cbranch_execz .LBB10_1234
.LBB10_3284:
	v_cmp_ne_u16_e32 vcc, 0, v3
	s_andn2_b64 s[4:5], s[4:5], exec
	s_and_b64 s[8:9], vcc, exec
	v_mov_b32_e32 v2, 0
	s_or_b64 s[4:5], s[4:5], s[8:9]
	s_or_b64 exec, exec, s[6:7]
	s_and_saveexec_b64 s[6:7], s[4:5]
	s_cbranch_execnz .LBB10_1235
	s_branch .LBB10_1236
.LBB10_3285:
	s_movk_i32 s4, 0x80
	v_cmp_eq_u16_e32 vcc, s4, v3
	s_mov_b64 s[4:5], -1
                                        ; implicit-def: $sgpr10
	s_and_saveexec_b64 s[8:9], vcc
; %bb.3286:
	s_mov_b32 s10, 0x7f800001
	s_xor_b64 s[4:5], exec, -1
; %bb.3287:
	s_or_b64 exec, exec, s[8:9]
	s_and_b64 s[4:5], s[4:5], exec
                                        ; implicit-def: $vgpr3
	s_or_saveexec_b64 s[6:7], s[6:7]
	v_mov_b32_e32 v6, s10
	s_xor_b64 exec, exec, s[6:7]
	s_cbranch_execz .LBB10_1238
.LBB10_3288:
	v_cmp_ne_u16_e32 vcc, 0, v3
	s_andn2_b64 s[4:5], s[4:5], exec
	s_and_b64 s[8:9], vcc, exec
	v_mov_b32_e32 v6, 0
	s_or_b64 s[4:5], s[4:5], s[8:9]
	s_or_b64 exec, exec, s[6:7]
	s_and_saveexec_b64 s[6:7], s[4:5]
	s_cbranch_execnz .LBB10_1239
	s_branch .LBB10_1240
.LBB10_3289:
	s_movk_i32 s4, 0x80
	v_cmp_eq_u16_sdwa s[12:13], v8, s4 src0_sel:BYTE_3 src1_sel:DWORD
	s_mov_b64 s[4:5], -1
                                        ; implicit-def: $sgpr10
	s_and_saveexec_b64 s[8:9], s[12:13]
; %bb.3290:
	s_mov_b32 s10, 0x7f800001
	s_xor_b64 s[4:5], exec, -1
; %bb.3291:
	s_or_b64 exec, exec, s[8:9]
	s_and_b64 s[4:5], s[4:5], exec
	s_or_saveexec_b64 s[6:7], s[6:7]
	v_mov_b32_e32 v2, s10
	s_xor_b64 exec, exec, s[6:7]
	s_cbranch_execz .LBB10_1242
.LBB10_3292:
	v_mov_b32_e32 v2, 0
	v_cmp_ne_u16_sdwa s[8:9], v8, v2 src0_sel:BYTE_3 src1_sel:DWORD
	s_andn2_b64 s[4:5], s[4:5], exec
	s_and_b64 s[8:9], s[8:9], exec
	s_or_b64 s[4:5], s[4:5], s[8:9]
	s_or_b64 exec, exec, s[6:7]
	s_and_saveexec_b64 s[6:7], s[4:5]
	s_cbranch_execnz .LBB10_1243
	s_branch .LBB10_1244
.LBB10_3293:
	s_movk_i32 s4, 0x80
	v_cmp_eq_u16_sdwa s[12:13], v4, s4 src0_sel:BYTE_3 src1_sel:DWORD
	s_mov_b64 s[4:5], -1
                                        ; implicit-def: $sgpr10
	s_and_saveexec_b64 s[8:9], s[12:13]
; %bb.3294:
	s_mov_b32 s10, 0x7f800001
	s_xor_b64 s[4:5], exec, -1
; %bb.3295:
	s_or_b64 exec, exec, s[8:9]
	s_and_b64 s[4:5], s[4:5], exec
	s_or_saveexec_b64 s[6:7], s[6:7]
	v_mov_b32_e32 v3, s10
	s_xor_b64 exec, exec, s[6:7]
	s_cbranch_execz .LBB10_1246
.LBB10_3296:
	v_mov_b32_e32 v3, 0
	v_cmp_ne_u16_sdwa s[8:9], v4, v3 src0_sel:BYTE_3 src1_sel:DWORD
	s_andn2_b64 s[4:5], s[4:5], exec
	s_and_b64 s[8:9], s[8:9], exec
	s_or_b64 s[4:5], s[4:5], s[8:9]
	s_or_b64 exec, exec, s[6:7]
	s_and_saveexec_b64 s[6:7], s[4:5]
	s_cbranch_execnz .LBB10_1247
	s_branch .LBB10_1248
.LBB10_3297:
	s_movk_i32 s4, 0x80
	v_cmp_eq_u16_sdwa s[12:13], v9, s4 src0_sel:BYTE_0 src1_sel:DWORD
	s_mov_b64 s[4:5], -1
                                        ; implicit-def: $sgpr10
	s_and_saveexec_b64 s[8:9], s[12:13]
; %bb.3298:
	s_mov_b32 s10, 0x7f800001
	s_xor_b64 s[4:5], exec, -1
; %bb.3299:
	s_or_b64 exec, exec, s[8:9]
	s_and_b64 s[4:5], s[4:5], exec
	s_or_saveexec_b64 s[6:7], s[6:7]
	v_mov_b32_e32 v2, s10
	s_xor_b64 exec, exec, s[6:7]
	s_cbranch_execz .LBB10_1250
.LBB10_3300:
	v_mov_b32_e32 v2, 0
	v_cmp_ne_u16_sdwa s[8:9], v9, v2 src0_sel:BYTE_0 src1_sel:DWORD
	s_andn2_b64 s[4:5], s[4:5], exec
	s_and_b64 s[8:9], s[8:9], exec
	s_or_b64 s[4:5], s[4:5], s[8:9]
	s_or_b64 exec, exec, s[6:7]
	s_and_saveexec_b64 s[6:7], s[4:5]
	s_cbranch_execnz .LBB10_1251
	s_branch .LBB10_1252
.LBB10_3301:
	s_movk_i32 s4, 0x80
	v_cmp_eq_u16_sdwa s[12:13], v5, s4 src0_sel:BYTE_0 src1_sel:DWORD
	s_mov_b64 s[4:5], -1
                                        ; implicit-def: $sgpr10
	s_and_saveexec_b64 s[8:9], s[12:13]
; %bb.3302:
	s_mov_b32 s10, 0x7f800001
	s_xor_b64 s[4:5], exec, -1
; %bb.3303:
	s_or_b64 exec, exec, s[8:9]
	s_and_b64 s[4:5], s[4:5], exec
	s_or_saveexec_b64 s[6:7], s[6:7]
	v_mov_b32_e32 v3, s10
	s_xor_b64 exec, exec, s[6:7]
	s_cbranch_execz .LBB10_1254
.LBB10_3304:
	v_mov_b32_e32 v3, 0
	v_cmp_ne_u16_sdwa s[8:9], v5, v3 src0_sel:BYTE_0 src1_sel:DWORD
	s_andn2_b64 s[4:5], s[4:5], exec
	s_and_b64 s[8:9], s[8:9], exec
	s_or_b64 s[4:5], s[4:5], s[8:9]
	s_or_b64 exec, exec, s[6:7]
	s_and_saveexec_b64 s[6:7], s[4:5]
	s_cbranch_execnz .LBB10_1255
	s_branch .LBB10_1256
.LBB10_3305:
	s_movk_i32 s4, 0x80
	v_cmp_eq_u16_sdwa s[12:13], v3, s4 src0_sel:BYTE_0 src1_sel:DWORD
	s_mov_b64 s[4:5], -1
                                        ; implicit-def: $sgpr10
	s_and_saveexec_b64 s[8:9], s[12:13]
; %bb.3306:
	s_mov_b32 s10, 0x7f800001
	s_xor_b64 s[4:5], exec, -1
; %bb.3307:
	s_or_b64 exec, exec, s[8:9]
	s_and_b64 s[4:5], s[4:5], exec
	s_or_saveexec_b64 s[6:7], s[6:7]
	v_mov_b32_e32 v2, s10
	s_xor_b64 exec, exec, s[6:7]
	s_cbranch_execz .LBB10_1258
.LBB10_3308:
	v_mov_b32_e32 v2, 0
	v_cmp_ne_u16_sdwa s[8:9], v3, v2 src0_sel:BYTE_0 src1_sel:DWORD
	s_andn2_b64 s[4:5], s[4:5], exec
	s_and_b64 s[8:9], s[8:9], exec
	s_or_b64 s[4:5], s[4:5], s[8:9]
	s_or_b64 exec, exec, s[6:7]
	s_and_saveexec_b64 s[6:7], s[4:5]
	s_cbranch_execnz .LBB10_1259
	s_branch .LBB10_1260
.LBB10_3309:
	s_movk_i32 s4, 0x80
	v_cmp_eq_u16_sdwa s[12:13], v3, s4 src0_sel:BYTE_0 src1_sel:DWORD
	s_mov_b64 s[4:5], -1
                                        ; implicit-def: $sgpr10
	s_and_saveexec_b64 s[8:9], s[12:13]
; %bb.3310:
	s_mov_b32 s10, 0x7f800001
	s_xor_b64 s[4:5], exec, -1
; %bb.3311:
	s_or_b64 exec, exec, s[8:9]
	s_and_b64 s[4:5], s[4:5], exec
	s_or_saveexec_b64 s[6:7], s[6:7]
	v_mov_b32_e32 v4, s10
	s_xor_b64 exec, exec, s[6:7]
	s_cbranch_execz .LBB10_1262
.LBB10_3312:
	v_mov_b32_e32 v4, 0
	v_cmp_ne_u16_sdwa s[8:9], v3, v4 src0_sel:BYTE_0 src1_sel:DWORD
	s_andn2_b64 s[4:5], s[4:5], exec
	s_and_b64 s[8:9], s[8:9], exec
	s_or_b64 s[4:5], s[4:5], s[8:9]
	s_or_b64 exec, exec, s[6:7]
	s_and_saveexec_b64 s[6:7], s[4:5]
	s_cbranch_execnz .LBB10_1263
	s_branch .LBB10_1264
.LBB10_3313:
	s_movk_i32 s4, 0x80
	v_cmp_eq_u16_e32 vcc, s4, v3
	s_mov_b64 s[4:5], -1
                                        ; implicit-def: $sgpr10
	s_and_saveexec_b64 s[8:9], vcc
; %bb.3314:
	s_mov_b32 s10, 0x7f800001
	s_xor_b64 s[4:5], exec, -1
; %bb.3315:
	s_or_b64 exec, exec, s[8:9]
	s_and_b64 s[4:5], s[4:5], exec
                                        ; implicit-def: $vgpr3
	s_or_saveexec_b64 s[6:7], s[6:7]
	v_mov_b32_e32 v2, s10
	s_xor_b64 exec, exec, s[6:7]
	s_cbranch_execz .LBB10_1266
.LBB10_3316:
	v_cmp_ne_u16_e32 vcc, 0, v3
	s_andn2_b64 s[4:5], s[4:5], exec
	s_and_b64 s[8:9], vcc, exec
	v_mov_b32_e32 v2, 0
	s_or_b64 s[4:5], s[4:5], s[8:9]
	s_or_b64 exec, exec, s[6:7]
	s_and_saveexec_b64 s[6:7], s[4:5]
	s_cbranch_execnz .LBB10_1267
	s_branch .LBB10_1268
.LBB10_3317:
	s_movk_i32 s4, 0x80
	v_cmp_eq_u16_e32 vcc, s4, v3
	s_mov_b64 s[4:5], -1
                                        ; implicit-def: $sgpr10
	s_and_saveexec_b64 s[8:9], vcc
; %bb.3318:
	s_mov_b32 s10, 0x7f800001
	s_xor_b64 s[4:5], exec, -1
; %bb.3319:
	s_or_b64 exec, exec, s[8:9]
	s_and_b64 s[4:5], s[4:5], exec
                                        ; implicit-def: $vgpr3
	s_or_saveexec_b64 s[6:7], s[6:7]
	v_mov_b32_e32 v4, s10
	s_xor_b64 exec, exec, s[6:7]
	s_cbranch_execz .LBB10_1270
.LBB10_3320:
	v_cmp_ne_u16_e32 vcc, 0, v3
	s_andn2_b64 s[4:5], s[4:5], exec
	s_and_b64 s[8:9], vcc, exec
	v_mov_b32_e32 v4, 0
	s_or_b64 s[4:5], s[4:5], s[8:9]
	s_or_b64 exec, exec, s[6:7]
	s_and_saveexec_b64 s[6:7], s[4:5]
	s_cbranch_execnz .LBB10_1271
	s_branch .LBB10_1272
.LBB10_3321:
	s_movk_i32 s4, 0x80
	v_cmp_eq_u16_sdwa s[12:13], v9, s4 src0_sel:BYTE_3 src1_sel:DWORD
	s_mov_b64 s[4:5], -1
                                        ; implicit-def: $sgpr10
	s_and_saveexec_b64 s[8:9], s[12:13]
; %bb.3322:
	s_mov_b32 s10, 0x7f800001
	s_xor_b64 s[4:5], exec, -1
; %bb.3323:
	s_or_b64 exec, exec, s[8:9]
	s_and_b64 s[4:5], s[4:5], exec
	s_or_saveexec_b64 s[6:7], s[6:7]
	v_mov_b32_e32 v2, s10
	s_xor_b64 exec, exec, s[6:7]
	s_cbranch_execz .LBB10_1274
.LBB10_3324:
	v_mov_b32_e32 v2, 0
	v_cmp_ne_u16_sdwa s[8:9], v9, v2 src0_sel:BYTE_3 src1_sel:DWORD
	s_andn2_b64 s[4:5], s[4:5], exec
	s_and_b64 s[8:9], s[8:9], exec
	s_or_b64 s[4:5], s[4:5], s[8:9]
	s_or_b64 exec, exec, s[6:7]
	s_and_saveexec_b64 s[6:7], s[4:5]
	s_cbranch_execnz .LBB10_1275
	s_branch .LBB10_1276
.LBB10_3325:
	s_movk_i32 s4, 0x80
	v_cmp_eq_u16_sdwa s[12:13], v5, s4 src0_sel:BYTE_3 src1_sel:DWORD
	s_mov_b64 s[4:5], -1
                                        ; implicit-def: $sgpr10
	s_and_saveexec_b64 s[8:9], s[12:13]
; %bb.3326:
	s_mov_b32 s10, 0x7f800001
	s_xor_b64 s[4:5], exec, -1
; %bb.3327:
	s_or_b64 exec, exec, s[8:9]
	s_and_b64 s[4:5], s[4:5], exec
	s_or_saveexec_b64 s[6:7], s[6:7]
	v_mov_b32_e32 v3, s10
	s_xor_b64 exec, exec, s[6:7]
	s_cbranch_execz .LBB10_1278
.LBB10_3328:
	v_mov_b32_e32 v3, 0
	v_cmp_ne_u16_sdwa s[8:9], v5, v3 src0_sel:BYTE_3 src1_sel:DWORD
	s_andn2_b64 s[4:5], s[4:5], exec
	s_and_b64 s[8:9], s[8:9], exec
	s_or_b64 s[4:5], s[4:5], s[8:9]
	s_or_b64 exec, exec, s[6:7]
	s_and_saveexec_b64 s[6:7], s[4:5]
	s_cbranch_execnz .LBB10_1279
	s_branch .LBB10_1280
.LBB10_3329:
	s_movk_i32 s4, 0x80
	v_cmp_eq_u16_sdwa s[12:13], v14, s4 src0_sel:BYTE_0 src1_sel:DWORD
	s_mov_b64 s[4:5], -1
                                        ; implicit-def: $sgpr10
	s_and_saveexec_b64 s[8:9], s[12:13]
; %bb.3330:
	s_mov_b32 s10, 0x7f800001
	s_xor_b64 s[4:5], exec, -1
; %bb.3331:
	s_or_b64 exec, exec, s[8:9]
	s_and_b64 s[4:5], s[4:5], exec
	s_or_saveexec_b64 s[6:7], s[6:7]
	v_mov_b32_e32 v20, s10
	s_xor_b64 exec, exec, s[6:7]
	s_cbranch_execz .LBB10_1282
.LBB10_3332:
	v_mov_b32_e32 v20, 0
	v_cmp_ne_u16_sdwa s[8:9], v14, v20 src0_sel:BYTE_0 src1_sel:DWORD
	s_andn2_b64 s[4:5], s[4:5], exec
	s_and_b64 s[8:9], s[8:9], exec
	s_or_b64 s[4:5], s[4:5], s[8:9]
	s_or_b64 exec, exec, s[6:7]
	s_and_saveexec_b64 s[6:7], s[4:5]
	s_cbranch_execnz .LBB10_1283
	s_branch .LBB10_1284
.LBB10_3333:
	s_movk_i32 s4, 0x80
	v_cmp_eq_u16_sdwa s[12:13], v10, s4 src0_sel:BYTE_0 src1_sel:DWORD
	s_mov_b64 s[4:5], -1
                                        ; implicit-def: $sgpr10
	s_and_saveexec_b64 s[8:9], s[12:13]
; %bb.3334:
	s_mov_b32 s10, 0x7f800001
	s_xor_b64 s[4:5], exec, -1
; %bb.3335:
	s_or_b64 exec, exec, s[8:9]
	s_and_b64 s[4:5], s[4:5], exec
	s_or_saveexec_b64 s[6:7], s[6:7]
	v_mov_b32_e32 v21, s10
	s_xor_b64 exec, exec, s[6:7]
	s_cbranch_execz .LBB10_1286
.LBB10_3336:
	v_mov_b32_e32 v21, 0
	v_cmp_ne_u16_sdwa s[8:9], v10, v21 src0_sel:BYTE_0 src1_sel:DWORD
	s_andn2_b64 s[4:5], s[4:5], exec
	s_and_b64 s[8:9], s[8:9], exec
	s_or_b64 s[4:5], s[4:5], s[8:9]
	s_or_b64 exec, exec, s[6:7]
	s_and_saveexec_b64 s[6:7], s[4:5]
	s_cbranch_execnz .LBB10_1287
	s_branch .LBB10_1288
.LBB10_3337:
	s_movk_i32 s4, 0x80
	v_cmp_eq_u16_sdwa s[12:13], v21, s4 src0_sel:BYTE_0 src1_sel:DWORD
	s_mov_b64 s[4:5], -1
                                        ; implicit-def: $sgpr10
	s_and_saveexec_b64 s[8:9], s[12:13]
; %bb.3338:
	s_mov_b32 s10, 0x7f800001
	s_xor_b64 s[4:5], exec, -1
; %bb.3339:
	s_or_b64 exec, exec, s[8:9]
	s_and_b64 s[4:5], s[4:5], exec
	s_or_saveexec_b64 s[6:7], s[6:7]
	v_mov_b32_e32 v20, s10
	s_xor_b64 exec, exec, s[6:7]
	s_cbranch_execz .LBB10_1290
.LBB10_3340:
	v_mov_b32_e32 v20, 0
	v_cmp_ne_u16_sdwa s[8:9], v21, v20 src0_sel:BYTE_0 src1_sel:DWORD
	s_andn2_b64 s[4:5], s[4:5], exec
	s_and_b64 s[8:9], s[8:9], exec
	s_or_b64 s[4:5], s[4:5], s[8:9]
	s_or_b64 exec, exec, s[6:7]
	s_and_saveexec_b64 s[6:7], s[4:5]
	s_cbranch_execnz .LBB10_1291
	s_branch .LBB10_1292
.LBB10_3341:
	s_movk_i32 s4, 0x80
	v_cmp_eq_u16_sdwa s[12:13], v21, s4 src0_sel:BYTE_0 src1_sel:DWORD
	s_mov_b64 s[4:5], -1
                                        ; implicit-def: $sgpr10
	s_and_saveexec_b64 s[8:9], s[12:13]
; %bb.3342:
	s_mov_b32 s10, 0x7f800001
	s_xor_b64 s[4:5], exec, -1
; %bb.3343:
	s_or_b64 exec, exec, s[8:9]
	s_and_b64 s[4:5], s[4:5], exec
	s_or_saveexec_b64 s[6:7], s[6:7]
	v_mov_b32_e32 v22, s10
	s_xor_b64 exec, exec, s[6:7]
	s_cbranch_execz .LBB10_1294
.LBB10_3344:
	v_mov_b32_e32 v22, 0
	v_cmp_ne_u16_sdwa s[8:9], v21, v22 src0_sel:BYTE_0 src1_sel:DWORD
	s_andn2_b64 s[4:5], s[4:5], exec
	s_and_b64 s[8:9], s[8:9], exec
	s_or_b64 s[4:5], s[4:5], s[8:9]
	s_or_b64 exec, exec, s[6:7]
	s_and_saveexec_b64 s[6:7], s[4:5]
	s_cbranch_execnz .LBB10_1295
	s_branch .LBB10_1296
.LBB10_3345:
	s_movk_i32 s4, 0x80
	v_cmp_eq_u16_e32 vcc, s4, v21
	s_mov_b64 s[4:5], -1
                                        ; implicit-def: $sgpr10
	s_and_saveexec_b64 s[8:9], vcc
; %bb.3346:
	s_mov_b32 s10, 0x7f800001
	s_xor_b64 s[4:5], exec, -1
; %bb.3347:
	s_or_b64 exec, exec, s[8:9]
	s_and_b64 s[4:5], s[4:5], exec
                                        ; implicit-def: $vgpr21
	s_or_saveexec_b64 s[6:7], s[6:7]
	v_mov_b32_e32 v20, s10
	s_xor_b64 exec, exec, s[6:7]
	s_cbranch_execz .LBB10_1298
.LBB10_3348:
	v_cmp_ne_u16_e32 vcc, 0, v21
	s_andn2_b64 s[4:5], s[4:5], exec
	s_and_b64 s[8:9], vcc, exec
	v_mov_b32_e32 v20, 0
	s_or_b64 s[4:5], s[4:5], s[8:9]
	s_or_b64 exec, exec, s[6:7]
	s_and_saveexec_b64 s[6:7], s[4:5]
	s_cbranch_execnz .LBB10_1299
	s_branch .LBB10_1300
.LBB10_3349:
	s_movk_i32 s4, 0x80
	v_cmp_eq_u16_e32 vcc, s4, v21
	s_mov_b64 s[4:5], -1
                                        ; implicit-def: $sgpr10
	s_and_saveexec_b64 s[8:9], vcc
; %bb.3350:
	s_mov_b32 s10, 0x7f800001
	s_xor_b64 s[4:5], exec, -1
; %bb.3351:
	s_or_b64 exec, exec, s[8:9]
	s_and_b64 s[4:5], s[4:5], exec
                                        ; implicit-def: $vgpr21
	s_or_saveexec_b64 s[6:7], s[6:7]
	v_mov_b32_e32 v22, s10
	s_xor_b64 exec, exec, s[6:7]
	s_cbranch_execz .LBB10_1302
.LBB10_3352:
	v_cmp_ne_u16_e32 vcc, 0, v21
	s_andn2_b64 s[4:5], s[4:5], exec
	s_and_b64 s[8:9], vcc, exec
	v_mov_b32_e32 v22, 0
	s_or_b64 s[4:5], s[4:5], s[8:9]
	s_or_b64 exec, exec, s[6:7]
	s_and_saveexec_b64 s[6:7], s[4:5]
	s_cbranch_execnz .LBB10_1303
	s_branch .LBB10_1304
.LBB10_3353:
	s_movk_i32 s4, 0x80
	v_cmp_eq_u16_sdwa s[12:13], v14, s4 src0_sel:BYTE_3 src1_sel:DWORD
	s_mov_b64 s[4:5], -1
                                        ; implicit-def: $sgpr10
	s_and_saveexec_b64 s[8:9], s[12:13]
; %bb.3354:
	s_mov_b32 s10, 0x7f800001
	s_xor_b64 s[4:5], exec, -1
; %bb.3355:
	s_or_b64 exec, exec, s[8:9]
	s_and_b64 s[4:5], s[4:5], exec
	s_or_saveexec_b64 s[6:7], s[6:7]
	v_mov_b32_e32 v20, s10
	s_xor_b64 exec, exec, s[6:7]
	s_cbranch_execz .LBB10_1306
.LBB10_3356:
	v_mov_b32_e32 v20, 0
	v_cmp_ne_u16_sdwa s[8:9], v14, v20 src0_sel:BYTE_3 src1_sel:DWORD
	s_andn2_b64 s[4:5], s[4:5], exec
	s_and_b64 s[8:9], s[8:9], exec
	s_or_b64 s[4:5], s[4:5], s[8:9]
	s_or_b64 exec, exec, s[6:7]
	s_and_saveexec_b64 s[6:7], s[4:5]
	s_cbranch_execnz .LBB10_1307
	s_branch .LBB10_1308
.LBB10_3357:
	s_movk_i32 s4, 0x80
	v_cmp_eq_u16_sdwa s[12:13], v10, s4 src0_sel:BYTE_3 src1_sel:DWORD
	s_mov_b64 s[4:5], -1
                                        ; implicit-def: $sgpr10
	s_and_saveexec_b64 s[8:9], s[12:13]
; %bb.3358:
	s_mov_b32 s10, 0x7f800001
	s_xor_b64 s[4:5], exec, -1
; %bb.3359:
	s_or_b64 exec, exec, s[8:9]
	s_and_b64 s[4:5], s[4:5], exec
	s_or_saveexec_b64 s[6:7], s[6:7]
	v_mov_b32_e32 v14, s10
	s_xor_b64 exec, exec, s[6:7]
	s_cbranch_execz .LBB10_1310
.LBB10_3360:
	v_mov_b32_e32 v14, 0
	v_cmp_ne_u16_sdwa s[8:9], v10, v14 src0_sel:BYTE_3 src1_sel:DWORD
	s_andn2_b64 s[4:5], s[4:5], exec
	s_and_b64 s[8:9], s[8:9], exec
	s_or_b64 s[4:5], s[4:5], s[8:9]
	s_or_b64 exec, exec, s[6:7]
	s_and_saveexec_b64 s[6:7], s[4:5]
	s_cbranch_execnz .LBB10_1311
	s_branch .LBB10_1312
.LBB10_3361:
	s_movk_i32 s4, 0x80
	v_cmp_eq_u16_sdwa s[12:13], v15, s4 src0_sel:BYTE_0 src1_sel:DWORD
	s_mov_b64 s[4:5], -1
                                        ; implicit-def: $sgpr10
	s_and_saveexec_b64 s[8:9], s[12:13]
; %bb.3362:
	s_mov_b32 s10, 0x7f800001
	s_xor_b64 s[4:5], exec, -1
; %bb.3363:
	s_or_b64 exec, exec, s[8:9]
	s_and_b64 s[4:5], s[4:5], exec
	s_or_saveexec_b64 s[6:7], s[6:7]
	v_mov_b32_e32 v10, s10
	s_xor_b64 exec, exec, s[6:7]
	s_cbranch_execz .LBB10_1314
.LBB10_3364:
	v_mov_b32_e32 v10, 0
	v_cmp_ne_u16_sdwa s[8:9], v15, v10 src0_sel:BYTE_0 src1_sel:DWORD
	s_andn2_b64 s[4:5], s[4:5], exec
	s_and_b64 s[8:9], s[8:9], exec
	s_or_b64 s[4:5], s[4:5], s[8:9]
	s_or_b64 exec, exec, s[6:7]
	s_and_saveexec_b64 s[6:7], s[4:5]
	s_cbranch_execnz .LBB10_1315
	s_branch .LBB10_1316
.LBB10_3365:
	s_movk_i32 s4, 0x80
	v_cmp_eq_u16_sdwa s[12:13], v11, s4 src0_sel:BYTE_0 src1_sel:DWORD
	s_mov_b64 s[4:5], -1
                                        ; implicit-def: $sgpr10
	s_and_saveexec_b64 s[8:9], s[12:13]
; %bb.3366:
	s_mov_b32 s10, 0x7f800001
	s_xor_b64 s[4:5], exec, -1
; %bb.3367:
	s_or_b64 exec, exec, s[8:9]
	s_and_b64 s[4:5], s[4:5], exec
	s_or_saveexec_b64 s[6:7], s[6:7]
	v_mov_b32_e32 v14, s10
	s_xor_b64 exec, exec, s[6:7]
	s_cbranch_execz .LBB10_1318
.LBB10_3368:
	v_mov_b32_e32 v14, 0
	v_cmp_ne_u16_sdwa s[8:9], v11, v14 src0_sel:BYTE_0 src1_sel:DWORD
	s_andn2_b64 s[4:5], s[4:5], exec
	s_and_b64 s[8:9], s[8:9], exec
	s_or_b64 s[4:5], s[4:5], s[8:9]
	s_or_b64 exec, exec, s[6:7]
	s_and_saveexec_b64 s[6:7], s[4:5]
	s_cbranch_execnz .LBB10_1319
	s_branch .LBB10_1320
.LBB10_3369:
	s_movk_i32 s4, 0x80
	v_cmp_eq_u16_sdwa s[12:13], v14, s4 src0_sel:BYTE_0 src1_sel:DWORD
	s_mov_b64 s[4:5], -1
                                        ; implicit-def: $sgpr10
	s_and_saveexec_b64 s[8:9], s[12:13]
; %bb.3370:
	s_mov_b32 s10, 0x7f800001
	s_xor_b64 s[4:5], exec, -1
; %bb.3371:
	s_or_b64 exec, exec, s[8:9]
	s_and_b64 s[4:5], s[4:5], exec
	s_or_saveexec_b64 s[6:7], s[6:7]
	v_mov_b32_e32 v10, s10
	s_xor_b64 exec, exec, s[6:7]
	s_cbranch_execz .LBB10_1322
.LBB10_3372:
	v_mov_b32_e32 v10, 0
	v_cmp_ne_u16_sdwa s[8:9], v14, v10 src0_sel:BYTE_0 src1_sel:DWORD
	s_andn2_b64 s[4:5], s[4:5], exec
	s_and_b64 s[8:9], s[8:9], exec
	s_or_b64 s[4:5], s[4:5], s[8:9]
	s_or_b64 exec, exec, s[6:7]
	s_and_saveexec_b64 s[6:7], s[4:5]
	s_cbranch_execnz .LBB10_1323
	s_branch .LBB10_1324
.LBB10_3373:
	s_movk_i32 s4, 0x80
	v_cmp_eq_u16_sdwa s[12:13], v14, s4 src0_sel:BYTE_0 src1_sel:DWORD
	s_mov_b64 s[4:5], -1
                                        ; implicit-def: $sgpr10
	s_and_saveexec_b64 s[8:9], s[12:13]
; %bb.3374:
	s_mov_b32 s10, 0x7f800001
	s_xor_b64 s[4:5], exec, -1
; %bb.3375:
	s_or_b64 exec, exec, s[8:9]
	s_and_b64 s[4:5], s[4:5], exec
	s_or_saveexec_b64 s[6:7], s[6:7]
	v_mov_b32_e32 v20, s10
	s_xor_b64 exec, exec, s[6:7]
	s_cbranch_execz .LBB10_1326
.LBB10_3376:
	v_mov_b32_e32 v20, 0
	v_cmp_ne_u16_sdwa s[8:9], v14, v20 src0_sel:BYTE_0 src1_sel:DWORD
	s_andn2_b64 s[4:5], s[4:5], exec
	s_and_b64 s[8:9], s[8:9], exec
	s_or_b64 s[4:5], s[4:5], s[8:9]
	s_or_b64 exec, exec, s[6:7]
	s_and_saveexec_b64 s[6:7], s[4:5]
	s_cbranch_execnz .LBB10_1327
	s_branch .LBB10_1328
.LBB10_3377:
	s_movk_i32 s4, 0x80
	v_cmp_eq_u16_e32 vcc, s4, v14
	s_mov_b64 s[4:5], -1
                                        ; implicit-def: $sgpr10
	s_and_saveexec_b64 s[8:9], vcc
; %bb.3378:
	s_mov_b32 s10, 0x7f800001
	s_xor_b64 s[4:5], exec, -1
; %bb.3379:
	s_or_b64 exec, exec, s[8:9]
	s_and_b64 s[4:5], s[4:5], exec
                                        ; implicit-def: $vgpr14
	s_or_saveexec_b64 s[6:7], s[6:7]
	v_mov_b32_e32 v10, s10
	s_xor_b64 exec, exec, s[6:7]
	s_cbranch_execz .LBB10_1330
.LBB10_3380:
	v_cmp_ne_u16_e32 vcc, 0, v14
	s_andn2_b64 s[4:5], s[4:5], exec
	s_and_b64 s[8:9], vcc, exec
	v_mov_b32_e32 v10, 0
	s_or_b64 s[4:5], s[4:5], s[8:9]
	s_or_b64 exec, exec, s[6:7]
	s_and_saveexec_b64 s[6:7], s[4:5]
	s_cbranch_execnz .LBB10_1331
	s_branch .LBB10_1332
.LBB10_3381:
	s_movk_i32 s4, 0x80
	v_cmp_eq_u16_e32 vcc, s4, v14
	s_mov_b64 s[4:5], -1
                                        ; implicit-def: $sgpr10
	s_and_saveexec_b64 s[8:9], vcc
; %bb.3382:
	s_mov_b32 s10, 0x7f800001
	s_xor_b64 s[4:5], exec, -1
; %bb.3383:
	s_or_b64 exec, exec, s[8:9]
	s_and_b64 s[4:5], s[4:5], exec
                                        ; implicit-def: $vgpr14
	s_or_saveexec_b64 s[6:7], s[6:7]
	v_mov_b32_e32 v20, s10
	s_xor_b64 exec, exec, s[6:7]
	s_cbranch_execz .LBB10_1334
.LBB10_3384:
	v_cmp_ne_u16_e32 vcc, 0, v14
	s_andn2_b64 s[4:5], s[4:5], exec
	s_and_b64 s[8:9], vcc, exec
	v_mov_b32_e32 v20, 0
	s_or_b64 s[4:5], s[4:5], s[8:9]
	s_or_b64 exec, exec, s[6:7]
	s_and_saveexec_b64 s[6:7], s[4:5]
	s_cbranch_execnz .LBB10_1335
	s_branch .LBB10_1336
.LBB10_3385:
	s_movk_i32 s4, 0x80
	v_cmp_eq_u16_sdwa s[12:13], v15, s4 src0_sel:BYTE_3 src1_sel:DWORD
	s_mov_b64 s[4:5], -1
                                        ; implicit-def: $sgpr10
	s_and_saveexec_b64 s[8:9], s[12:13]
; %bb.3386:
	s_mov_b32 s10, 0x7f800001
	s_xor_b64 s[4:5], exec, -1
; %bb.3387:
	s_or_b64 exec, exec, s[8:9]
	s_and_b64 s[4:5], s[4:5], exec
	s_or_saveexec_b64 s[6:7], s[6:7]
	v_mov_b32_e32 v10, s10
	s_xor_b64 exec, exec, s[6:7]
	s_cbranch_execz .LBB10_1338
.LBB10_3388:
	v_mov_b32_e32 v10, 0
	v_cmp_ne_u16_sdwa s[8:9], v15, v10 src0_sel:BYTE_3 src1_sel:DWORD
	s_andn2_b64 s[4:5], s[4:5], exec
	s_and_b64 s[8:9], s[8:9], exec
	s_or_b64 s[4:5], s[4:5], s[8:9]
	s_or_b64 exec, exec, s[6:7]
	s_and_saveexec_b64 s[6:7], s[4:5]
	s_cbranch_execnz .LBB10_1339
	s_branch .LBB10_1340
.LBB10_3389:
	s_movk_i32 s4, 0x80
	v_cmp_eq_u16_sdwa s[12:13], v11, s4 src0_sel:BYTE_3 src1_sel:DWORD
	s_mov_b64 s[4:5], -1
                                        ; implicit-def: $sgpr10
	s_and_saveexec_b64 s[8:9], s[12:13]
; %bb.3390:
	s_mov_b32 s10, 0x7f800001
	s_xor_b64 s[4:5], exec, -1
; %bb.3391:
	s_or_b64 exec, exec, s[8:9]
	s_and_b64 s[4:5], s[4:5], exec
	s_or_saveexec_b64 s[6:7], s[6:7]
	v_mov_b32_e32 v14, s10
	s_xor_b64 exec, exec, s[6:7]
	s_cbranch_execz .LBB10_1342
.LBB10_3392:
	v_mov_b32_e32 v14, 0
	v_cmp_ne_u16_sdwa s[8:9], v11, v14 src0_sel:BYTE_3 src1_sel:DWORD
	s_andn2_b64 s[4:5], s[4:5], exec
	s_and_b64 s[8:9], s[8:9], exec
	s_or_b64 s[4:5], s[4:5], s[8:9]
	s_or_b64 exec, exec, s[6:7]
	s_and_saveexec_b64 s[6:7], s[4:5]
	s_cbranch_execnz .LBB10_1343
	s_branch .LBB10_1344
.LBB10_3393:
	s_movk_i32 s4, 0x80
	v_cmp_eq_u16_sdwa s[12:13], v16, s4 src0_sel:BYTE_0 src1_sel:DWORD
	s_mov_b64 s[4:5], -1
                                        ; implicit-def: $sgpr10
	s_and_saveexec_b64 s[8:9], s[12:13]
; %bb.3394:
	s_mov_b32 s10, 0x7f800001
	s_xor_b64 s[4:5], exec, -1
; %bb.3395:
	s_or_b64 exec, exec, s[8:9]
	s_and_b64 s[4:5], s[4:5], exec
	s_or_saveexec_b64 s[6:7], s[6:7]
	v_mov_b32_e32 v10, s10
	s_xor_b64 exec, exec, s[6:7]
	s_cbranch_execz .LBB10_1346
.LBB10_3396:
	v_mov_b32_e32 v10, 0
	v_cmp_ne_u16_sdwa s[8:9], v16, v10 src0_sel:BYTE_0 src1_sel:DWORD
	s_andn2_b64 s[4:5], s[4:5], exec
	s_and_b64 s[8:9], s[8:9], exec
	s_or_b64 s[4:5], s[4:5], s[8:9]
	s_or_b64 exec, exec, s[6:7]
	s_and_saveexec_b64 s[6:7], s[4:5]
	s_cbranch_execnz .LBB10_1347
	s_branch .LBB10_1348
.LBB10_3397:
	s_movk_i32 s4, 0x80
	v_cmp_eq_u16_sdwa s[12:13], v12, s4 src0_sel:BYTE_0 src1_sel:DWORD
	s_mov_b64 s[4:5], -1
                                        ; implicit-def: $sgpr10
	s_and_saveexec_b64 s[8:9], s[12:13]
; %bb.3398:
	s_mov_b32 s10, 0x7f800001
	s_xor_b64 s[4:5], exec, -1
; %bb.3399:
	s_or_b64 exec, exec, s[8:9]
	s_and_b64 s[4:5], s[4:5], exec
	s_or_saveexec_b64 s[6:7], s[6:7]
	v_mov_b32_e32 v11, s10
	s_xor_b64 exec, exec, s[6:7]
	s_cbranch_execz .LBB10_1350
.LBB10_3400:
	v_mov_b32_e32 v11, 0
	v_cmp_ne_u16_sdwa s[8:9], v12, v11 src0_sel:BYTE_0 src1_sel:DWORD
	s_andn2_b64 s[4:5], s[4:5], exec
	s_and_b64 s[8:9], s[8:9], exec
	s_or_b64 s[4:5], s[4:5], s[8:9]
	s_or_b64 exec, exec, s[6:7]
	s_and_saveexec_b64 s[6:7], s[4:5]
	s_cbranch_execnz .LBB10_1351
	s_branch .LBB10_1352
.LBB10_3401:
	s_movk_i32 s4, 0x80
	v_cmp_eq_u16_sdwa s[12:13], v11, s4 src0_sel:BYTE_0 src1_sel:DWORD
	s_mov_b64 s[4:5], -1
                                        ; implicit-def: $sgpr10
	s_and_saveexec_b64 s[8:9], s[12:13]
; %bb.3402:
	s_mov_b32 s10, 0x7f800001
	s_xor_b64 s[4:5], exec, -1
; %bb.3403:
	s_or_b64 exec, exec, s[8:9]
	s_and_b64 s[4:5], s[4:5], exec
	s_or_saveexec_b64 s[6:7], s[6:7]
	v_mov_b32_e32 v10, s10
	s_xor_b64 exec, exec, s[6:7]
	s_cbranch_execz .LBB10_1354
.LBB10_3404:
	v_mov_b32_e32 v10, 0
	v_cmp_ne_u16_sdwa s[8:9], v11, v10 src0_sel:BYTE_0 src1_sel:DWORD
	s_andn2_b64 s[4:5], s[4:5], exec
	s_and_b64 s[8:9], s[8:9], exec
	s_or_b64 s[4:5], s[4:5], s[8:9]
	s_or_b64 exec, exec, s[6:7]
	s_and_saveexec_b64 s[6:7], s[4:5]
	s_cbranch_execnz .LBB10_1355
	s_branch .LBB10_1356
.LBB10_3405:
	s_movk_i32 s4, 0x80
	v_cmp_eq_u16_sdwa s[12:13], v11, s4 src0_sel:BYTE_0 src1_sel:DWORD
	s_mov_b64 s[4:5], -1
                                        ; implicit-def: $sgpr10
	s_and_saveexec_b64 s[8:9], s[12:13]
; %bb.3406:
	s_mov_b32 s10, 0x7f800001
	s_xor_b64 s[4:5], exec, -1
; %bb.3407:
	s_or_b64 exec, exec, s[8:9]
	s_and_b64 s[4:5], s[4:5], exec
	s_or_saveexec_b64 s[6:7], s[6:7]
	v_mov_b32_e32 v14, s10
	s_xor_b64 exec, exec, s[6:7]
	s_cbranch_execz .LBB10_1358
.LBB10_3408:
	v_mov_b32_e32 v14, 0
	v_cmp_ne_u16_sdwa s[8:9], v11, v14 src0_sel:BYTE_0 src1_sel:DWORD
	s_andn2_b64 s[4:5], s[4:5], exec
	s_and_b64 s[8:9], s[8:9], exec
	s_or_b64 s[4:5], s[4:5], s[8:9]
	s_or_b64 exec, exec, s[6:7]
	s_and_saveexec_b64 s[6:7], s[4:5]
	s_cbranch_execnz .LBB10_1359
	s_branch .LBB10_1360
.LBB10_3409:
	s_movk_i32 s4, 0x80
	v_cmp_eq_u16_e32 vcc, s4, v11
	s_mov_b64 s[4:5], -1
                                        ; implicit-def: $sgpr10
	s_and_saveexec_b64 s[8:9], vcc
; %bb.3410:
	s_mov_b32 s10, 0x7f800001
	s_xor_b64 s[4:5], exec, -1
; %bb.3411:
	s_or_b64 exec, exec, s[8:9]
	s_and_b64 s[4:5], s[4:5], exec
                                        ; implicit-def: $vgpr11
	s_or_saveexec_b64 s[6:7], s[6:7]
	v_mov_b32_e32 v10, s10
	s_xor_b64 exec, exec, s[6:7]
	s_cbranch_execz .LBB10_1362
.LBB10_3412:
	v_cmp_ne_u16_e32 vcc, 0, v11
	s_andn2_b64 s[4:5], s[4:5], exec
	s_and_b64 s[8:9], vcc, exec
	v_mov_b32_e32 v10, 0
	s_or_b64 s[4:5], s[4:5], s[8:9]
	s_or_b64 exec, exec, s[6:7]
	s_and_saveexec_b64 s[6:7], s[4:5]
	s_cbranch_execnz .LBB10_1363
	s_branch .LBB10_1364
.LBB10_3413:
	s_movk_i32 s4, 0x80
	v_cmp_eq_u16_e32 vcc, s4, v11
	s_mov_b64 s[4:5], -1
                                        ; implicit-def: $sgpr10
	s_and_saveexec_b64 s[8:9], vcc
; %bb.3414:
	s_mov_b32 s10, 0x7f800001
	s_xor_b64 s[4:5], exec, -1
; %bb.3415:
	s_or_b64 exec, exec, s[8:9]
	s_and_b64 s[4:5], s[4:5], exec
                                        ; implicit-def: $vgpr11
	s_or_saveexec_b64 s[6:7], s[6:7]
	v_mov_b32_e32 v14, s10
	s_xor_b64 exec, exec, s[6:7]
	s_cbranch_execz .LBB10_1366
.LBB10_3416:
	v_cmp_ne_u16_e32 vcc, 0, v11
	s_andn2_b64 s[4:5], s[4:5], exec
	s_and_b64 s[8:9], vcc, exec
	v_mov_b32_e32 v14, 0
	s_or_b64 s[4:5], s[4:5], s[8:9]
	s_or_b64 exec, exec, s[6:7]
	s_and_saveexec_b64 s[6:7], s[4:5]
	s_cbranch_execnz .LBB10_1367
	s_branch .LBB10_1368
.LBB10_3417:
	s_movk_i32 s4, 0x80
	v_cmp_eq_u16_sdwa s[12:13], v16, s4 src0_sel:BYTE_3 src1_sel:DWORD
	s_mov_b64 s[4:5], -1
                                        ; implicit-def: $sgpr10
	s_and_saveexec_b64 s[8:9], s[12:13]
; %bb.3418:
	s_mov_b32 s10, 0x7f800001
	s_xor_b64 s[4:5], exec, -1
; %bb.3419:
	s_or_b64 exec, exec, s[8:9]
	s_and_b64 s[4:5], s[4:5], exec
	s_or_saveexec_b64 s[6:7], s[6:7]
	v_mov_b32_e32 v10, s10
	s_xor_b64 exec, exec, s[6:7]
	s_cbranch_execz .LBB10_1370
.LBB10_3420:
	v_mov_b32_e32 v10, 0
	v_cmp_ne_u16_sdwa s[8:9], v16, v10 src0_sel:BYTE_3 src1_sel:DWORD
	s_andn2_b64 s[4:5], s[4:5], exec
	s_and_b64 s[8:9], s[8:9], exec
	s_or_b64 s[4:5], s[4:5], s[8:9]
	s_or_b64 exec, exec, s[6:7]
	s_and_saveexec_b64 s[6:7], s[4:5]
	s_cbranch_execnz .LBB10_1371
	s_branch .LBB10_1372
.LBB10_3421:
	s_movk_i32 s4, 0x80
	v_cmp_eq_u16_sdwa s[12:13], v12, s4 src0_sel:BYTE_3 src1_sel:DWORD
	s_mov_b64 s[4:5], -1
                                        ; implicit-def: $sgpr10
	s_and_saveexec_b64 s[8:9], s[12:13]
; %bb.3422:
	s_mov_b32 s10, 0x7f800001
	s_xor_b64 s[4:5], exec, -1
; %bb.3423:
	s_or_b64 exec, exec, s[8:9]
	s_and_b64 s[4:5], s[4:5], exec
	s_or_saveexec_b64 s[6:7], s[6:7]
	v_mov_b32_e32 v11, s10
	s_xor_b64 exec, exec, s[6:7]
	s_cbranch_execz .LBB10_1374
.LBB10_3424:
	v_mov_b32_e32 v11, 0
	v_cmp_ne_u16_sdwa s[8:9], v12, v11 src0_sel:BYTE_3 src1_sel:DWORD
	s_andn2_b64 s[4:5], s[4:5], exec
	s_and_b64 s[8:9], s[8:9], exec
	s_or_b64 s[4:5], s[4:5], s[8:9]
	s_or_b64 exec, exec, s[6:7]
	s_and_saveexec_b64 s[6:7], s[4:5]
	s_cbranch_execnz .LBB10_1375
	s_branch .LBB10_1376
.LBB10_3425:
	s_movk_i32 s4, 0x80
	v_cmp_eq_u16_sdwa s[12:13], v17, s4 src0_sel:BYTE_0 src1_sel:DWORD
	s_mov_b64 s[4:5], -1
                                        ; implicit-def: $sgpr10
	s_and_saveexec_b64 s[8:9], s[12:13]
; %bb.3426:
	s_mov_b32 s10, 0x7f800001
	s_xor_b64 s[4:5], exec, -1
; %bb.3427:
	s_or_b64 exec, exec, s[8:9]
	s_and_b64 s[4:5], s[4:5], exec
	s_or_saveexec_b64 s[6:7], s[6:7]
	v_mov_b32_e32 v10, s10
	s_xor_b64 exec, exec, s[6:7]
	s_cbranch_execz .LBB10_1378
.LBB10_3428:
	v_mov_b32_e32 v10, 0
	v_cmp_ne_u16_sdwa s[8:9], v17, v10 src0_sel:BYTE_0 src1_sel:DWORD
	s_andn2_b64 s[4:5], s[4:5], exec
	s_and_b64 s[8:9], s[8:9], exec
	s_or_b64 s[4:5], s[4:5], s[8:9]
	s_or_b64 exec, exec, s[6:7]
	s_and_saveexec_b64 s[6:7], s[4:5]
	s_cbranch_execnz .LBB10_1379
	s_branch .LBB10_1380
.LBB10_3429:
	s_movk_i32 s4, 0x80
	v_cmp_eq_u16_sdwa s[12:13], v13, s4 src0_sel:BYTE_0 src1_sel:DWORD
	s_mov_b64 s[4:5], -1
                                        ; implicit-def: $sgpr10
	s_and_saveexec_b64 s[8:9], s[12:13]
; %bb.3430:
	s_mov_b32 s10, 0x7f800001
	s_xor_b64 s[4:5], exec, -1
; %bb.3431:
	s_or_b64 exec, exec, s[8:9]
	s_and_b64 s[4:5], s[4:5], exec
	s_or_saveexec_b64 s[6:7], s[6:7]
	v_mov_b32_e32 v11, s10
	s_xor_b64 exec, exec, s[6:7]
	s_cbranch_execz .LBB10_1382
.LBB10_3432:
	v_mov_b32_e32 v11, 0
	v_cmp_ne_u16_sdwa s[8:9], v13, v11 src0_sel:BYTE_0 src1_sel:DWORD
	s_andn2_b64 s[4:5], s[4:5], exec
	s_and_b64 s[8:9], s[8:9], exec
	s_or_b64 s[4:5], s[4:5], s[8:9]
	s_or_b64 exec, exec, s[6:7]
	s_and_saveexec_b64 s[6:7], s[4:5]
	s_cbranch_execnz .LBB10_1383
	s_branch .LBB10_1384
.LBB10_3433:
	s_movk_i32 s4, 0x80
	v_cmp_eq_u16_sdwa s[12:13], v11, s4 src0_sel:BYTE_0 src1_sel:DWORD
	s_mov_b64 s[4:5], -1
                                        ; implicit-def: $sgpr10
	s_and_saveexec_b64 s[8:9], s[12:13]
; %bb.3434:
	s_mov_b32 s10, 0x7f800001
	s_xor_b64 s[4:5], exec, -1
; %bb.3435:
	s_or_b64 exec, exec, s[8:9]
	s_and_b64 s[4:5], s[4:5], exec
	s_or_saveexec_b64 s[6:7], s[6:7]
	v_mov_b32_e32 v10, s10
	s_xor_b64 exec, exec, s[6:7]
	s_cbranch_execz .LBB10_1386
.LBB10_3436:
	v_mov_b32_e32 v10, 0
	v_cmp_ne_u16_sdwa s[8:9], v11, v10 src0_sel:BYTE_0 src1_sel:DWORD
	s_andn2_b64 s[4:5], s[4:5], exec
	s_and_b64 s[8:9], s[8:9], exec
	s_or_b64 s[4:5], s[4:5], s[8:9]
	s_or_b64 exec, exec, s[6:7]
	s_and_saveexec_b64 s[6:7], s[4:5]
	s_cbranch_execnz .LBB10_1387
	s_branch .LBB10_1388
.LBB10_3437:
	s_movk_i32 s4, 0x80
	v_cmp_eq_u16_sdwa s[12:13], v11, s4 src0_sel:BYTE_0 src1_sel:DWORD
	s_mov_b64 s[4:5], -1
                                        ; implicit-def: $sgpr10
	s_and_saveexec_b64 s[8:9], s[12:13]
; %bb.3438:
	s_mov_b32 s10, 0x7f800001
	s_xor_b64 s[4:5], exec, -1
; %bb.3439:
	s_or_b64 exec, exec, s[8:9]
	s_and_b64 s[4:5], s[4:5], exec
	s_or_saveexec_b64 s[6:7], s[6:7]
	v_mov_b32_e32 v12, s10
	s_xor_b64 exec, exec, s[6:7]
	s_cbranch_execz .LBB10_1390
.LBB10_3440:
	v_mov_b32_e32 v12, 0
	v_cmp_ne_u16_sdwa s[8:9], v11, v12 src0_sel:BYTE_0 src1_sel:DWORD
	s_andn2_b64 s[4:5], s[4:5], exec
	s_and_b64 s[8:9], s[8:9], exec
	s_or_b64 s[4:5], s[4:5], s[8:9]
	s_or_b64 exec, exec, s[6:7]
	s_and_saveexec_b64 s[6:7], s[4:5]
	s_cbranch_execnz .LBB10_1391
	s_branch .LBB10_1392
.LBB10_3441:
	s_movk_i32 s4, 0x80
	v_cmp_eq_u16_e32 vcc, s4, v11
	s_mov_b64 s[4:5], -1
                                        ; implicit-def: $sgpr10
	s_and_saveexec_b64 s[8:9], vcc
; %bb.3442:
	s_mov_b32 s10, 0x7f800001
	s_xor_b64 s[4:5], exec, -1
; %bb.3443:
	s_or_b64 exec, exec, s[8:9]
	s_and_b64 s[4:5], s[4:5], exec
                                        ; implicit-def: $vgpr11
	s_or_saveexec_b64 s[6:7], s[6:7]
	v_mov_b32_e32 v10, s10
	s_xor_b64 exec, exec, s[6:7]
	s_cbranch_execz .LBB10_1394
.LBB10_3444:
	v_cmp_ne_u16_e32 vcc, 0, v11
	s_andn2_b64 s[4:5], s[4:5], exec
	s_and_b64 s[8:9], vcc, exec
	v_mov_b32_e32 v10, 0
	s_or_b64 s[4:5], s[4:5], s[8:9]
	s_or_b64 exec, exec, s[6:7]
	s_and_saveexec_b64 s[6:7], s[4:5]
	s_cbranch_execnz .LBB10_1395
	s_branch .LBB10_1396
.LBB10_3445:
	s_movk_i32 s4, 0x80
	v_cmp_eq_u16_e32 vcc, s4, v11
	s_mov_b64 s[4:5], -1
                                        ; implicit-def: $sgpr10
	s_and_saveexec_b64 s[8:9], vcc
; %bb.3446:
	s_mov_b32 s10, 0x7f800001
	s_xor_b64 s[4:5], exec, -1
; %bb.3447:
	s_or_b64 exec, exec, s[8:9]
	s_and_b64 s[4:5], s[4:5], exec
                                        ; implicit-def: $vgpr11
	s_or_saveexec_b64 s[6:7], s[6:7]
	v_mov_b32_e32 v12, s10
	s_xor_b64 exec, exec, s[6:7]
	s_cbranch_execz .LBB10_1398
.LBB10_3448:
	v_cmp_ne_u16_e32 vcc, 0, v11
	s_andn2_b64 s[4:5], s[4:5], exec
	s_and_b64 s[8:9], vcc, exec
	v_mov_b32_e32 v12, 0
	s_or_b64 s[4:5], s[4:5], s[8:9]
	s_or_b64 exec, exec, s[6:7]
	s_and_saveexec_b64 s[6:7], s[4:5]
	s_cbranch_execnz .LBB10_1399
	s_branch .LBB10_1400
.LBB10_3449:
	s_movk_i32 s4, 0x80
	v_cmp_eq_u16_sdwa s[12:13], v17, s4 src0_sel:BYTE_3 src1_sel:DWORD
	s_mov_b64 s[4:5], -1
                                        ; implicit-def: $sgpr10
	s_and_saveexec_b64 s[8:9], s[12:13]
; %bb.3450:
	s_mov_b32 s10, 0x7f800001
	s_xor_b64 s[4:5], exec, -1
; %bb.3451:
	s_or_b64 exec, exec, s[8:9]
	s_and_b64 s[4:5], s[4:5], exec
	s_or_saveexec_b64 s[6:7], s[6:7]
	v_mov_b32_e32 v10, s10
	s_xor_b64 exec, exec, s[6:7]
	s_cbranch_execz .LBB10_1402
.LBB10_3452:
	v_mov_b32_e32 v10, 0
	v_cmp_ne_u16_sdwa s[8:9], v17, v10 src0_sel:BYTE_3 src1_sel:DWORD
	s_andn2_b64 s[4:5], s[4:5], exec
	s_and_b64 s[8:9], s[8:9], exec
	s_or_b64 s[4:5], s[4:5], s[8:9]
	s_or_b64 exec, exec, s[6:7]
	s_and_saveexec_b64 s[6:7], s[4:5]
	s_cbranch_execnz .LBB10_1403
	s_branch .LBB10_1404
.LBB10_3453:
	s_movk_i32 s4, 0x80
	v_cmp_eq_u16_sdwa s[12:13], v13, s4 src0_sel:BYTE_3 src1_sel:DWORD
	s_mov_b64 s[4:5], -1
                                        ; implicit-def: $sgpr10
	s_and_saveexec_b64 s[8:9], s[12:13]
; %bb.3454:
	s_mov_b32 s10, 0x7f800001
	s_xor_b64 s[4:5], exec, -1
; %bb.3455:
	s_or_b64 exec, exec, s[8:9]
	s_and_b64 s[4:5], s[4:5], exec
	s_or_saveexec_b64 s[6:7], s[6:7]
	v_mov_b32_e32 v11, s10
	s_xor_b64 exec, exec, s[6:7]
	s_cbranch_execz .LBB10_1406
.LBB10_3456:
	v_mov_b32_e32 v11, 0
	v_cmp_ne_u16_sdwa s[8:9], v13, v11 src0_sel:BYTE_3 src1_sel:DWORD
	s_andn2_b64 s[4:5], s[4:5], exec
	s_and_b64 s[8:9], s[8:9], exec
	s_or_b64 s[4:5], s[4:5], s[8:9]
	s_or_b64 exec, exec, s[6:7]
	s_and_saveexec_b64 s[6:7], s[4:5]
	s_cbranch_execnz .LBB10_1407
	s_branch .LBB10_1408
.LBB10_3457:
	s_movk_i32 s4, 0x80
	v_cmp_eq_u16_sdwa s[12:13], v6, s4 src0_sel:BYTE_0 src1_sel:DWORD
	s_mov_b64 s[4:5], -1
                                        ; implicit-def: $sgpr10
	s_and_saveexec_b64 s[8:9], s[12:13]
; %bb.3458:
	s_mov_b32 s10, 0x7f800001
	s_xor_b64 s[4:5], exec, -1
; %bb.3459:
	s_or_b64 exec, exec, s[8:9]
	s_and_b64 s[4:5], s[4:5], exec
	s_or_saveexec_b64 s[6:7], s[6:7]
	v_mov_b32_e32 v10, s10
	s_xor_b64 exec, exec, s[6:7]
	s_cbranch_execz .LBB10_1410
.LBB10_3460:
	v_mov_b32_e32 v10, 0
	v_cmp_ne_u16_sdwa s[8:9], v6, v10 src0_sel:BYTE_0 src1_sel:DWORD
	s_andn2_b64 s[4:5], s[4:5], exec
	s_and_b64 s[8:9], s[8:9], exec
	s_or_b64 s[4:5], s[4:5], s[8:9]
	s_or_b64 exec, exec, s[6:7]
	s_and_saveexec_b64 s[6:7], s[4:5]
	s_cbranch_execnz .LBB10_1411
	s_branch .LBB10_1412
.LBB10_3461:
	s_movk_i32 s4, 0x80
	v_cmp_eq_u16_sdwa s[12:13], v2, s4 src0_sel:BYTE_0 src1_sel:DWORD
	s_mov_b64 s[4:5], -1
                                        ; implicit-def: $sgpr10
	s_and_saveexec_b64 s[8:9], s[12:13]
; %bb.3462:
	s_mov_b32 s10, 0x7f800001
	s_xor_b64 s[4:5], exec, -1
; %bb.3463:
	s_or_b64 exec, exec, s[8:9]
	s_and_b64 s[4:5], s[4:5], exec
	s_or_saveexec_b64 s[6:7], s[6:7]
	v_mov_b32_e32 v11, s10
	s_xor_b64 exec, exec, s[6:7]
	s_cbranch_execz .LBB10_1414
.LBB10_3464:
	v_mov_b32_e32 v11, 0
	v_cmp_ne_u16_sdwa s[8:9], v2, v11 src0_sel:BYTE_0 src1_sel:DWORD
	s_andn2_b64 s[4:5], s[4:5], exec
	s_and_b64 s[8:9], s[8:9], exec
	s_or_b64 s[4:5], s[4:5], s[8:9]
	s_or_b64 exec, exec, s[6:7]
	s_and_saveexec_b64 s[6:7], s[4:5]
	s_cbranch_execnz .LBB10_1415
	s_branch .LBB10_1416
.LBB10_3465:
	s_movk_i32 s4, 0x80
	v_cmp_eq_u16_sdwa s[12:13], v11, s4 src0_sel:BYTE_0 src1_sel:DWORD
	s_mov_b64 s[4:5], -1
                                        ; implicit-def: $sgpr10
	s_and_saveexec_b64 s[8:9], s[12:13]
; %bb.3466:
	s_mov_b32 s10, 0x7f800001
	s_xor_b64 s[4:5], exec, -1
; %bb.3467:
	s_or_b64 exec, exec, s[8:9]
	s_and_b64 s[4:5], s[4:5], exec
	s_or_saveexec_b64 s[6:7], s[6:7]
	v_mov_b32_e32 v10, s10
	s_xor_b64 exec, exec, s[6:7]
	s_cbranch_execz .LBB10_1418
.LBB10_3468:
	v_mov_b32_e32 v10, 0
	v_cmp_ne_u16_sdwa s[8:9], v11, v10 src0_sel:BYTE_0 src1_sel:DWORD
	s_andn2_b64 s[4:5], s[4:5], exec
	s_and_b64 s[8:9], s[8:9], exec
	s_or_b64 s[4:5], s[4:5], s[8:9]
	s_or_b64 exec, exec, s[6:7]
	s_and_saveexec_b64 s[6:7], s[4:5]
	s_cbranch_execnz .LBB10_1419
	s_branch .LBB10_1420
.LBB10_3469:
	s_movk_i32 s4, 0x80
	v_cmp_eq_u16_sdwa s[12:13], v11, s4 src0_sel:BYTE_0 src1_sel:DWORD
	s_mov_b64 s[4:5], -1
                                        ; implicit-def: $sgpr10
	s_and_saveexec_b64 s[8:9], s[12:13]
; %bb.3470:
	s_mov_b32 s10, 0x7f800001
	s_xor_b64 s[4:5], exec, -1
; %bb.3471:
	s_or_b64 exec, exec, s[8:9]
	s_and_b64 s[4:5], s[4:5], exec
	s_or_saveexec_b64 s[6:7], s[6:7]
	v_mov_b32_e32 v12, s10
	s_xor_b64 exec, exec, s[6:7]
	s_cbranch_execz .LBB10_1422
.LBB10_3472:
	v_mov_b32_e32 v12, 0
	v_cmp_ne_u16_sdwa s[8:9], v11, v12 src0_sel:BYTE_0 src1_sel:DWORD
	s_andn2_b64 s[4:5], s[4:5], exec
	s_and_b64 s[8:9], s[8:9], exec
	s_or_b64 s[4:5], s[4:5], s[8:9]
	s_or_b64 exec, exec, s[6:7]
	s_and_saveexec_b64 s[6:7], s[4:5]
	s_cbranch_execnz .LBB10_1423
	s_branch .LBB10_1424
.LBB10_3473:
	s_movk_i32 s4, 0x80
	v_cmp_eq_u16_e32 vcc, s4, v11
	s_mov_b64 s[4:5], -1
                                        ; implicit-def: $sgpr10
	s_and_saveexec_b64 s[8:9], vcc
; %bb.3474:
	s_mov_b32 s10, 0x7f800001
	s_xor_b64 s[4:5], exec, -1
; %bb.3475:
	s_or_b64 exec, exec, s[8:9]
	s_and_b64 s[4:5], s[4:5], exec
                                        ; implicit-def: $vgpr11
	s_or_saveexec_b64 s[6:7], s[6:7]
	v_mov_b32_e32 v10, s10
	s_xor_b64 exec, exec, s[6:7]
	s_cbranch_execz .LBB10_1426
.LBB10_3476:
	v_cmp_ne_u16_e32 vcc, 0, v11
	s_andn2_b64 s[4:5], s[4:5], exec
	s_and_b64 s[8:9], vcc, exec
	v_mov_b32_e32 v10, 0
	s_or_b64 s[4:5], s[4:5], s[8:9]
	s_or_b64 exec, exec, s[6:7]
	s_and_saveexec_b64 s[6:7], s[4:5]
	s_cbranch_execnz .LBB10_1427
	s_branch .LBB10_1428
.LBB10_3477:
	s_movk_i32 s4, 0x80
	v_cmp_eq_u16_e32 vcc, s4, v11
	s_mov_b64 s[4:5], -1
                                        ; implicit-def: $sgpr10
	s_and_saveexec_b64 s[8:9], vcc
; %bb.3478:
	s_mov_b32 s10, 0x7f800001
	s_xor_b64 s[4:5], exec, -1
; %bb.3479:
	s_or_b64 exec, exec, s[8:9]
	s_and_b64 s[4:5], s[4:5], exec
                                        ; implicit-def: $vgpr11
	s_or_saveexec_b64 s[6:7], s[6:7]
	v_mov_b32_e32 v12, s10
	s_xor_b64 exec, exec, s[6:7]
	s_cbranch_execz .LBB10_1430
.LBB10_3480:
	v_cmp_ne_u16_e32 vcc, 0, v11
	s_andn2_b64 s[4:5], s[4:5], exec
	s_and_b64 s[8:9], vcc, exec
	v_mov_b32_e32 v12, 0
	s_or_b64 s[4:5], s[4:5], s[8:9]
	s_or_b64 exec, exec, s[6:7]
	s_and_saveexec_b64 s[6:7], s[4:5]
	s_cbranch_execnz .LBB10_1431
	s_branch .LBB10_1432
.LBB10_3481:
	s_movk_i32 s4, 0x80
	v_cmp_eq_u16_sdwa s[12:13], v6, s4 src0_sel:BYTE_3 src1_sel:DWORD
	s_mov_b64 s[4:5], -1
                                        ; implicit-def: $sgpr10
	s_and_saveexec_b64 s[8:9], s[12:13]
; %bb.3482:
	s_mov_b32 s10, 0x7f800001
	s_xor_b64 s[4:5], exec, -1
; %bb.3483:
	s_or_b64 exec, exec, s[8:9]
	s_and_b64 s[4:5], s[4:5], exec
	s_or_saveexec_b64 s[6:7], s[6:7]
	v_mov_b32_e32 v10, s10
	s_xor_b64 exec, exec, s[6:7]
	s_cbranch_execz .LBB10_1434
.LBB10_3484:
	v_mov_b32_e32 v10, 0
	v_cmp_ne_u16_sdwa s[8:9], v6, v10 src0_sel:BYTE_3 src1_sel:DWORD
	s_andn2_b64 s[4:5], s[4:5], exec
	s_and_b64 s[8:9], s[8:9], exec
	s_or_b64 s[4:5], s[4:5], s[8:9]
	s_or_b64 exec, exec, s[6:7]
	s_and_saveexec_b64 s[6:7], s[4:5]
	s_cbranch_execnz .LBB10_1435
	s_branch .LBB10_1436
.LBB10_3485:
	s_movk_i32 s4, 0x80
	v_cmp_eq_u16_sdwa s[12:13], v2, s4 src0_sel:BYTE_3 src1_sel:DWORD
	s_mov_b64 s[4:5], -1
                                        ; implicit-def: $sgpr10
	s_and_saveexec_b64 s[8:9], s[12:13]
; %bb.3486:
	s_mov_b32 s10, 0x7f800001
	s_xor_b64 s[4:5], exec, -1
; %bb.3487:
	s_or_b64 exec, exec, s[8:9]
	s_and_b64 s[4:5], s[4:5], exec
	s_or_saveexec_b64 s[6:7], s[6:7]
	v_mov_b32_e32 v6, s10
	s_xor_b64 exec, exec, s[6:7]
	s_cbranch_execz .LBB10_1438
.LBB10_3488:
	v_mov_b32_e32 v6, 0
	v_cmp_ne_u16_sdwa s[8:9], v2, v6 src0_sel:BYTE_3 src1_sel:DWORD
	s_andn2_b64 s[4:5], s[4:5], exec
	s_and_b64 s[8:9], s[8:9], exec
	s_or_b64 s[4:5], s[4:5], s[8:9]
	s_or_b64 exec, exec, s[6:7]
	s_and_saveexec_b64 s[6:7], s[4:5]
	s_cbranch_execnz .LBB10_1439
	s_branch .LBB10_1440
.LBB10_3489:
	s_movk_i32 s4, 0x80
	v_cmp_eq_u16_sdwa s[12:13], v7, s4 src0_sel:BYTE_0 src1_sel:DWORD
	s_mov_b64 s[4:5], -1
                                        ; implicit-def: $sgpr10
	s_and_saveexec_b64 s[8:9], s[12:13]
; %bb.3490:
	s_mov_b32 s10, 0x7f800001
	s_xor_b64 s[4:5], exec, -1
; %bb.3491:
	s_or_b64 exec, exec, s[8:9]
	s_and_b64 s[4:5], s[4:5], exec
	s_or_saveexec_b64 s[6:7], s[6:7]
	v_mov_b32_e32 v2, s10
	s_xor_b64 exec, exec, s[6:7]
	s_cbranch_execz .LBB10_1442
.LBB10_3492:
	v_mov_b32_e32 v2, 0
	v_cmp_ne_u16_sdwa s[8:9], v7, v2 src0_sel:BYTE_0 src1_sel:DWORD
	s_andn2_b64 s[4:5], s[4:5], exec
	s_and_b64 s[8:9], s[8:9], exec
	s_or_b64 s[4:5], s[4:5], s[8:9]
	s_or_b64 exec, exec, s[6:7]
	s_and_saveexec_b64 s[6:7], s[4:5]
	s_cbranch_execnz .LBB10_1443
	s_branch .LBB10_1444
.LBB10_3493:
	s_movk_i32 s4, 0x80
	v_cmp_eq_u16_sdwa s[12:13], v3, s4 src0_sel:BYTE_0 src1_sel:DWORD
	s_mov_b64 s[4:5], -1
                                        ; implicit-def: $sgpr10
	s_and_saveexec_b64 s[8:9], s[12:13]
; %bb.3494:
	s_mov_b32 s10, 0x7f800001
	s_xor_b64 s[4:5], exec, -1
; %bb.3495:
	s_or_b64 exec, exec, s[8:9]
	s_and_b64 s[4:5], s[4:5], exec
	s_or_saveexec_b64 s[6:7], s[6:7]
	v_mov_b32_e32 v6, s10
	s_xor_b64 exec, exec, s[6:7]
	s_cbranch_execz .LBB10_1446
.LBB10_3496:
	v_mov_b32_e32 v6, 0
	v_cmp_ne_u16_sdwa s[8:9], v3, v6 src0_sel:BYTE_0 src1_sel:DWORD
	s_andn2_b64 s[4:5], s[4:5], exec
	s_and_b64 s[8:9], s[8:9], exec
	s_or_b64 s[4:5], s[4:5], s[8:9]
	s_or_b64 exec, exec, s[6:7]
	s_and_saveexec_b64 s[6:7], s[4:5]
	s_cbranch_execnz .LBB10_1447
	s_branch .LBB10_1448
.LBB10_3497:
	s_movk_i32 s4, 0x80
	v_cmp_eq_u16_sdwa s[12:13], v6, s4 src0_sel:BYTE_0 src1_sel:DWORD
	s_mov_b64 s[4:5], -1
                                        ; implicit-def: $sgpr10
	s_and_saveexec_b64 s[8:9], s[12:13]
; %bb.3498:
	s_mov_b32 s10, 0x7f800001
	s_xor_b64 s[4:5], exec, -1
; %bb.3499:
	s_or_b64 exec, exec, s[8:9]
	s_and_b64 s[4:5], s[4:5], exec
	s_or_saveexec_b64 s[6:7], s[6:7]
	v_mov_b32_e32 v2, s10
	s_xor_b64 exec, exec, s[6:7]
	s_cbranch_execz .LBB10_1450
.LBB10_3500:
	v_mov_b32_e32 v2, 0
	v_cmp_ne_u16_sdwa s[8:9], v6, v2 src0_sel:BYTE_0 src1_sel:DWORD
	s_andn2_b64 s[4:5], s[4:5], exec
	s_and_b64 s[8:9], s[8:9], exec
	s_or_b64 s[4:5], s[4:5], s[8:9]
	s_or_b64 exec, exec, s[6:7]
	s_and_saveexec_b64 s[6:7], s[4:5]
	s_cbranch_execnz .LBB10_1451
	s_branch .LBB10_1452
.LBB10_3501:
	s_movk_i32 s4, 0x80
	v_cmp_eq_u16_sdwa s[12:13], v6, s4 src0_sel:BYTE_0 src1_sel:DWORD
	s_mov_b64 s[4:5], -1
                                        ; implicit-def: $sgpr10
	s_and_saveexec_b64 s[8:9], s[12:13]
; %bb.3502:
	s_mov_b32 s10, 0x7f800001
	s_xor_b64 s[4:5], exec, -1
; %bb.3503:
	s_or_b64 exec, exec, s[8:9]
	s_and_b64 s[4:5], s[4:5], exec
	s_or_saveexec_b64 s[6:7], s[6:7]
	v_mov_b32_e32 v10, s10
	s_xor_b64 exec, exec, s[6:7]
	s_cbranch_execz .LBB10_1454
.LBB10_3504:
	v_mov_b32_e32 v10, 0
	v_cmp_ne_u16_sdwa s[8:9], v6, v10 src0_sel:BYTE_0 src1_sel:DWORD
	s_andn2_b64 s[4:5], s[4:5], exec
	s_and_b64 s[8:9], s[8:9], exec
	s_or_b64 s[4:5], s[4:5], s[8:9]
	s_or_b64 exec, exec, s[6:7]
	s_and_saveexec_b64 s[6:7], s[4:5]
	s_cbranch_execnz .LBB10_1455
	s_branch .LBB10_1456
.LBB10_3505:
	s_movk_i32 s4, 0x80
	v_cmp_eq_u16_e32 vcc, s4, v6
	s_mov_b64 s[4:5], -1
                                        ; implicit-def: $sgpr10
	s_and_saveexec_b64 s[8:9], vcc
; %bb.3506:
	s_mov_b32 s10, 0x7f800001
	s_xor_b64 s[4:5], exec, -1
; %bb.3507:
	s_or_b64 exec, exec, s[8:9]
	s_and_b64 s[4:5], s[4:5], exec
                                        ; implicit-def: $vgpr6
	s_or_saveexec_b64 s[6:7], s[6:7]
	v_mov_b32_e32 v2, s10
	s_xor_b64 exec, exec, s[6:7]
	s_cbranch_execz .LBB10_1458
.LBB10_3508:
	v_cmp_ne_u16_e32 vcc, 0, v6
	s_andn2_b64 s[4:5], s[4:5], exec
	s_and_b64 s[8:9], vcc, exec
	v_mov_b32_e32 v2, 0
	s_or_b64 s[4:5], s[4:5], s[8:9]
	s_or_b64 exec, exec, s[6:7]
	s_and_saveexec_b64 s[6:7], s[4:5]
	s_cbranch_execnz .LBB10_1459
	s_branch .LBB10_1460
.LBB10_3509:
	s_movk_i32 s4, 0x80
	v_cmp_eq_u16_e32 vcc, s4, v6
	s_mov_b64 s[4:5], -1
                                        ; implicit-def: $sgpr10
	s_and_saveexec_b64 s[8:9], vcc
; %bb.3510:
	s_mov_b32 s10, 0x7f800001
	s_xor_b64 s[4:5], exec, -1
; %bb.3511:
	s_or_b64 exec, exec, s[8:9]
	s_and_b64 s[4:5], s[4:5], exec
                                        ; implicit-def: $vgpr6
	s_or_saveexec_b64 s[6:7], s[6:7]
	v_mov_b32_e32 v10, s10
	s_xor_b64 exec, exec, s[6:7]
	s_cbranch_execz .LBB10_1462
.LBB10_3512:
	v_cmp_ne_u16_e32 vcc, 0, v6
	s_andn2_b64 s[4:5], s[4:5], exec
	s_and_b64 s[8:9], vcc, exec
	v_mov_b32_e32 v10, 0
	s_or_b64 s[4:5], s[4:5], s[8:9]
	s_or_b64 exec, exec, s[6:7]
	s_and_saveexec_b64 s[6:7], s[4:5]
	s_cbranch_execnz .LBB10_1463
	s_branch .LBB10_1464
.LBB10_3513:
	s_movk_i32 s4, 0x80
	v_cmp_eq_u16_sdwa s[12:13], v7, s4 src0_sel:BYTE_3 src1_sel:DWORD
	s_mov_b64 s[4:5], -1
                                        ; implicit-def: $sgpr10
	s_and_saveexec_b64 s[8:9], s[12:13]
; %bb.3514:
	s_mov_b32 s10, 0x7f800001
	s_xor_b64 s[4:5], exec, -1
; %bb.3515:
	s_or_b64 exec, exec, s[8:9]
	s_and_b64 s[4:5], s[4:5], exec
	s_or_saveexec_b64 s[6:7], s[6:7]
	v_mov_b32_e32 v2, s10
	s_xor_b64 exec, exec, s[6:7]
	s_cbranch_execz .LBB10_1466
.LBB10_3516:
	v_mov_b32_e32 v2, 0
	v_cmp_ne_u16_sdwa s[8:9], v7, v2 src0_sel:BYTE_3 src1_sel:DWORD
	s_andn2_b64 s[4:5], s[4:5], exec
	s_and_b64 s[8:9], s[8:9], exec
	s_or_b64 s[4:5], s[4:5], s[8:9]
	s_or_b64 exec, exec, s[6:7]
	s_and_saveexec_b64 s[6:7], s[4:5]
	s_cbranch_execnz .LBB10_1467
	s_branch .LBB10_1468
.LBB10_3517:
	s_movk_i32 s4, 0x80
	v_cmp_eq_u16_sdwa s[12:13], v3, s4 src0_sel:BYTE_3 src1_sel:DWORD
	s_mov_b64 s[4:5], -1
                                        ; implicit-def: $sgpr10
	s_and_saveexec_b64 s[8:9], s[12:13]
; %bb.3518:
	s_mov_b32 s10, 0x7f800001
	s_xor_b64 s[4:5], exec, -1
; %bb.3519:
	s_or_b64 exec, exec, s[8:9]
	s_and_b64 s[4:5], s[4:5], exec
	s_or_saveexec_b64 s[6:7], s[6:7]
	v_mov_b32_e32 v6, s10
	s_xor_b64 exec, exec, s[6:7]
	s_cbranch_execz .LBB10_1470
.LBB10_3520:
	v_mov_b32_e32 v6, 0
	v_cmp_ne_u16_sdwa s[8:9], v3, v6 src0_sel:BYTE_3 src1_sel:DWORD
	s_andn2_b64 s[4:5], s[4:5], exec
	s_and_b64 s[8:9], s[8:9], exec
	s_or_b64 s[4:5], s[4:5], s[8:9]
	s_or_b64 exec, exec, s[6:7]
	s_and_saveexec_b64 s[6:7], s[4:5]
	s_cbranch_execnz .LBB10_1471
	s_branch .LBB10_1472
.LBB10_3521:
	s_movk_i32 s4, 0x80
	v_cmp_eq_u16_sdwa s[12:13], v8, s4 src0_sel:BYTE_0 src1_sel:DWORD
	s_mov_b64 s[4:5], -1
                                        ; implicit-def: $sgpr10
	s_and_saveexec_b64 s[8:9], s[12:13]
; %bb.3522:
	s_mov_b32 s10, 0x7f800001
	s_xor_b64 s[4:5], exec, -1
; %bb.3523:
	s_or_b64 exec, exec, s[8:9]
	s_and_b64 s[4:5], s[4:5], exec
	s_or_saveexec_b64 s[6:7], s[6:7]
	v_mov_b32_e32 v2, s10
	s_xor_b64 exec, exec, s[6:7]
	s_cbranch_execz .LBB10_1474
.LBB10_3524:
	v_mov_b32_e32 v2, 0
	v_cmp_ne_u16_sdwa s[8:9], v8, v2 src0_sel:BYTE_0 src1_sel:DWORD
	s_andn2_b64 s[4:5], s[4:5], exec
	s_and_b64 s[8:9], s[8:9], exec
	s_or_b64 s[4:5], s[4:5], s[8:9]
	s_or_b64 exec, exec, s[6:7]
	s_and_saveexec_b64 s[6:7], s[4:5]
	s_cbranch_execnz .LBB10_1475
	s_branch .LBB10_1476
.LBB10_3525:
	s_movk_i32 s4, 0x80
	v_cmp_eq_u16_sdwa s[12:13], v4, s4 src0_sel:BYTE_0 src1_sel:DWORD
	s_mov_b64 s[4:5], -1
                                        ; implicit-def: $sgpr10
	s_and_saveexec_b64 s[8:9], s[12:13]
; %bb.3526:
	s_mov_b32 s10, 0x7f800001
	s_xor_b64 s[4:5], exec, -1
; %bb.3527:
	s_or_b64 exec, exec, s[8:9]
	s_and_b64 s[4:5], s[4:5], exec
	s_or_saveexec_b64 s[6:7], s[6:7]
	v_mov_b32_e32 v3, s10
	s_xor_b64 exec, exec, s[6:7]
	s_cbranch_execz .LBB10_1478
.LBB10_3528:
	v_mov_b32_e32 v3, 0
	v_cmp_ne_u16_sdwa s[8:9], v4, v3 src0_sel:BYTE_0 src1_sel:DWORD
	s_andn2_b64 s[4:5], s[4:5], exec
	s_and_b64 s[8:9], s[8:9], exec
	s_or_b64 s[4:5], s[4:5], s[8:9]
	s_or_b64 exec, exec, s[6:7]
	s_and_saveexec_b64 s[6:7], s[4:5]
	s_cbranch_execnz .LBB10_1479
	s_branch .LBB10_1480
.LBB10_3529:
	s_movk_i32 s4, 0x80
	v_cmp_eq_u16_sdwa s[12:13], v3, s4 src0_sel:BYTE_0 src1_sel:DWORD
	s_mov_b64 s[4:5], -1
                                        ; implicit-def: $sgpr10
	s_and_saveexec_b64 s[8:9], s[12:13]
; %bb.3530:
	s_mov_b32 s10, 0x7f800001
	s_xor_b64 s[4:5], exec, -1
; %bb.3531:
	s_or_b64 exec, exec, s[8:9]
	s_and_b64 s[4:5], s[4:5], exec
	s_or_saveexec_b64 s[6:7], s[6:7]
	v_mov_b32_e32 v2, s10
	s_xor_b64 exec, exec, s[6:7]
	s_cbranch_execz .LBB10_1482
.LBB10_3532:
	v_mov_b32_e32 v2, 0
	v_cmp_ne_u16_sdwa s[8:9], v3, v2 src0_sel:BYTE_0 src1_sel:DWORD
	s_andn2_b64 s[4:5], s[4:5], exec
	s_and_b64 s[8:9], s[8:9], exec
	s_or_b64 s[4:5], s[4:5], s[8:9]
	s_or_b64 exec, exec, s[6:7]
	s_and_saveexec_b64 s[6:7], s[4:5]
	s_cbranch_execnz .LBB10_1483
	s_branch .LBB10_1484
.LBB10_3533:
	s_movk_i32 s4, 0x80
	v_cmp_eq_u16_sdwa s[12:13], v3, s4 src0_sel:BYTE_0 src1_sel:DWORD
	s_mov_b64 s[4:5], -1
                                        ; implicit-def: $sgpr10
	s_and_saveexec_b64 s[8:9], s[12:13]
; %bb.3534:
	s_mov_b32 s10, 0x7f800001
	s_xor_b64 s[4:5], exec, -1
; %bb.3535:
	s_or_b64 exec, exec, s[8:9]
	s_and_b64 s[4:5], s[4:5], exec
	s_or_saveexec_b64 s[6:7], s[6:7]
	v_mov_b32_e32 v6, s10
	s_xor_b64 exec, exec, s[6:7]
	s_cbranch_execz .LBB10_1486
.LBB10_3536:
	v_mov_b32_e32 v6, 0
	v_cmp_ne_u16_sdwa s[8:9], v3, v6 src0_sel:BYTE_0 src1_sel:DWORD
	s_andn2_b64 s[4:5], s[4:5], exec
	s_and_b64 s[8:9], s[8:9], exec
	s_or_b64 s[4:5], s[4:5], s[8:9]
	s_or_b64 exec, exec, s[6:7]
	s_and_saveexec_b64 s[6:7], s[4:5]
	s_cbranch_execnz .LBB10_1487
	s_branch .LBB10_1488
.LBB10_3537:
	s_movk_i32 s4, 0x80
	v_cmp_eq_u16_e32 vcc, s4, v3
	s_mov_b64 s[4:5], -1
                                        ; implicit-def: $sgpr10
	s_and_saveexec_b64 s[8:9], vcc
; %bb.3538:
	s_mov_b32 s10, 0x7f800001
	s_xor_b64 s[4:5], exec, -1
; %bb.3539:
	s_or_b64 exec, exec, s[8:9]
	s_and_b64 s[4:5], s[4:5], exec
                                        ; implicit-def: $vgpr3
	s_or_saveexec_b64 s[6:7], s[6:7]
	v_mov_b32_e32 v2, s10
	s_xor_b64 exec, exec, s[6:7]
	s_cbranch_execz .LBB10_1490
.LBB10_3540:
	v_cmp_ne_u16_e32 vcc, 0, v3
	s_andn2_b64 s[4:5], s[4:5], exec
	s_and_b64 s[8:9], vcc, exec
	v_mov_b32_e32 v2, 0
	s_or_b64 s[4:5], s[4:5], s[8:9]
	s_or_b64 exec, exec, s[6:7]
	s_and_saveexec_b64 s[6:7], s[4:5]
	s_cbranch_execnz .LBB10_1491
	s_branch .LBB10_1492
.LBB10_3541:
	s_movk_i32 s4, 0x80
	v_cmp_eq_u16_e32 vcc, s4, v3
	s_mov_b64 s[4:5], -1
                                        ; implicit-def: $sgpr10
	s_and_saveexec_b64 s[8:9], vcc
; %bb.3542:
	s_mov_b32 s10, 0x7f800001
	s_xor_b64 s[4:5], exec, -1
; %bb.3543:
	s_or_b64 exec, exec, s[8:9]
	s_and_b64 s[4:5], s[4:5], exec
                                        ; implicit-def: $vgpr3
	s_or_saveexec_b64 s[6:7], s[6:7]
	v_mov_b32_e32 v6, s10
	s_xor_b64 exec, exec, s[6:7]
	s_cbranch_execz .LBB10_1494
.LBB10_3544:
	v_cmp_ne_u16_e32 vcc, 0, v3
	s_andn2_b64 s[4:5], s[4:5], exec
	s_and_b64 s[8:9], vcc, exec
	v_mov_b32_e32 v6, 0
	s_or_b64 s[4:5], s[4:5], s[8:9]
	s_or_b64 exec, exec, s[6:7]
	s_and_saveexec_b64 s[6:7], s[4:5]
	s_cbranch_execnz .LBB10_1495
	s_branch .LBB10_1496
.LBB10_3545:
	s_movk_i32 s4, 0x80
	v_cmp_eq_u16_sdwa s[12:13], v8, s4 src0_sel:BYTE_3 src1_sel:DWORD
	s_mov_b64 s[4:5], -1
                                        ; implicit-def: $sgpr10
	s_and_saveexec_b64 s[8:9], s[12:13]
; %bb.3546:
	s_mov_b32 s10, 0x7f800001
	s_xor_b64 s[4:5], exec, -1
; %bb.3547:
	s_or_b64 exec, exec, s[8:9]
	s_and_b64 s[4:5], s[4:5], exec
	s_or_saveexec_b64 s[6:7], s[6:7]
	v_mov_b32_e32 v2, s10
	s_xor_b64 exec, exec, s[6:7]
	s_cbranch_execz .LBB10_1498
.LBB10_3548:
	v_mov_b32_e32 v2, 0
	v_cmp_ne_u16_sdwa s[8:9], v8, v2 src0_sel:BYTE_3 src1_sel:DWORD
	s_andn2_b64 s[4:5], s[4:5], exec
	s_and_b64 s[8:9], s[8:9], exec
	s_or_b64 s[4:5], s[4:5], s[8:9]
	s_or_b64 exec, exec, s[6:7]
	s_and_saveexec_b64 s[6:7], s[4:5]
	s_cbranch_execnz .LBB10_1499
	s_branch .LBB10_1500
.LBB10_3549:
	s_movk_i32 s4, 0x80
	v_cmp_eq_u16_sdwa s[12:13], v4, s4 src0_sel:BYTE_3 src1_sel:DWORD
	s_mov_b64 s[4:5], -1
                                        ; implicit-def: $sgpr10
	s_and_saveexec_b64 s[8:9], s[12:13]
; %bb.3550:
	s_mov_b32 s10, 0x7f800001
	s_xor_b64 s[4:5], exec, -1
; %bb.3551:
	s_or_b64 exec, exec, s[8:9]
	s_and_b64 s[4:5], s[4:5], exec
	s_or_saveexec_b64 s[6:7], s[6:7]
	v_mov_b32_e32 v3, s10
	s_xor_b64 exec, exec, s[6:7]
	s_cbranch_execz .LBB10_1502
.LBB10_3552:
	v_mov_b32_e32 v3, 0
	v_cmp_ne_u16_sdwa s[8:9], v4, v3 src0_sel:BYTE_3 src1_sel:DWORD
	s_andn2_b64 s[4:5], s[4:5], exec
	s_and_b64 s[8:9], s[8:9], exec
	s_or_b64 s[4:5], s[4:5], s[8:9]
	s_or_b64 exec, exec, s[6:7]
	s_and_saveexec_b64 s[6:7], s[4:5]
	s_cbranch_execnz .LBB10_1503
	s_branch .LBB10_1504
.LBB10_3553:
	s_movk_i32 s4, 0x80
	v_cmp_eq_u16_sdwa s[12:13], v9, s4 src0_sel:BYTE_0 src1_sel:DWORD
	s_mov_b64 s[4:5], -1
                                        ; implicit-def: $sgpr10
	s_and_saveexec_b64 s[8:9], s[12:13]
; %bb.3554:
	s_mov_b32 s10, 0x7f800001
	s_xor_b64 s[4:5], exec, -1
; %bb.3555:
	s_or_b64 exec, exec, s[8:9]
	s_and_b64 s[4:5], s[4:5], exec
	s_or_saveexec_b64 s[6:7], s[6:7]
	v_mov_b32_e32 v2, s10
	s_xor_b64 exec, exec, s[6:7]
	s_cbranch_execz .LBB10_1506
.LBB10_3556:
	v_mov_b32_e32 v2, 0
	v_cmp_ne_u16_sdwa s[8:9], v9, v2 src0_sel:BYTE_0 src1_sel:DWORD
	s_andn2_b64 s[4:5], s[4:5], exec
	s_and_b64 s[8:9], s[8:9], exec
	s_or_b64 s[4:5], s[4:5], s[8:9]
	s_or_b64 exec, exec, s[6:7]
	s_and_saveexec_b64 s[6:7], s[4:5]
	s_cbranch_execnz .LBB10_1507
	s_branch .LBB10_1508
.LBB10_3557:
	s_movk_i32 s4, 0x80
	v_cmp_eq_u16_sdwa s[12:13], v5, s4 src0_sel:BYTE_0 src1_sel:DWORD
	s_mov_b64 s[4:5], -1
                                        ; implicit-def: $sgpr10
	s_and_saveexec_b64 s[8:9], s[12:13]
; %bb.3558:
	s_mov_b32 s10, 0x7f800001
	s_xor_b64 s[4:5], exec, -1
; %bb.3559:
	s_or_b64 exec, exec, s[8:9]
	s_and_b64 s[4:5], s[4:5], exec
	s_or_saveexec_b64 s[6:7], s[6:7]
	v_mov_b32_e32 v3, s10
	s_xor_b64 exec, exec, s[6:7]
	s_cbranch_execz .LBB10_1510
.LBB10_3560:
	v_mov_b32_e32 v3, 0
	v_cmp_ne_u16_sdwa s[8:9], v5, v3 src0_sel:BYTE_0 src1_sel:DWORD
	s_andn2_b64 s[4:5], s[4:5], exec
	s_and_b64 s[8:9], s[8:9], exec
	s_or_b64 s[4:5], s[4:5], s[8:9]
	s_or_b64 exec, exec, s[6:7]
	s_and_saveexec_b64 s[6:7], s[4:5]
	s_cbranch_execnz .LBB10_1511
	s_branch .LBB10_1512
.LBB10_3561:
	s_movk_i32 s4, 0x80
	v_cmp_eq_u16_sdwa s[12:13], v3, s4 src0_sel:BYTE_0 src1_sel:DWORD
	s_mov_b64 s[4:5], -1
                                        ; implicit-def: $sgpr10
	s_and_saveexec_b64 s[8:9], s[12:13]
; %bb.3562:
	s_mov_b32 s10, 0x7f800001
	s_xor_b64 s[4:5], exec, -1
; %bb.3563:
	s_or_b64 exec, exec, s[8:9]
	s_and_b64 s[4:5], s[4:5], exec
	s_or_saveexec_b64 s[6:7], s[6:7]
	v_mov_b32_e32 v2, s10
	s_xor_b64 exec, exec, s[6:7]
	s_cbranch_execz .LBB10_1514
.LBB10_3564:
	v_mov_b32_e32 v2, 0
	v_cmp_ne_u16_sdwa s[8:9], v3, v2 src0_sel:BYTE_0 src1_sel:DWORD
	s_andn2_b64 s[4:5], s[4:5], exec
	s_and_b64 s[8:9], s[8:9], exec
	s_or_b64 s[4:5], s[4:5], s[8:9]
	s_or_b64 exec, exec, s[6:7]
	s_and_saveexec_b64 s[6:7], s[4:5]
	s_cbranch_execnz .LBB10_1515
	s_branch .LBB10_1516
.LBB10_3565:
	s_movk_i32 s4, 0x80
	v_cmp_eq_u16_sdwa s[12:13], v3, s4 src0_sel:BYTE_0 src1_sel:DWORD
	s_mov_b64 s[4:5], -1
                                        ; implicit-def: $sgpr10
	s_and_saveexec_b64 s[8:9], s[12:13]
; %bb.3566:
	s_mov_b32 s10, 0x7f800001
	s_xor_b64 s[4:5], exec, -1
; %bb.3567:
	s_or_b64 exec, exec, s[8:9]
	s_and_b64 s[4:5], s[4:5], exec
	s_or_saveexec_b64 s[6:7], s[6:7]
	v_mov_b32_e32 v4, s10
	s_xor_b64 exec, exec, s[6:7]
	s_cbranch_execz .LBB10_1518
.LBB10_3568:
	v_mov_b32_e32 v4, 0
	v_cmp_ne_u16_sdwa s[8:9], v3, v4 src0_sel:BYTE_0 src1_sel:DWORD
	s_andn2_b64 s[4:5], s[4:5], exec
	s_and_b64 s[8:9], s[8:9], exec
	s_or_b64 s[4:5], s[4:5], s[8:9]
	s_or_b64 exec, exec, s[6:7]
	s_and_saveexec_b64 s[6:7], s[4:5]
	s_cbranch_execnz .LBB10_1519
	s_branch .LBB10_1520
.LBB10_3569:
	s_movk_i32 s4, 0x80
	v_cmp_eq_u16_e32 vcc, s4, v3
	s_mov_b64 s[4:5], -1
                                        ; implicit-def: $sgpr10
	s_and_saveexec_b64 s[8:9], vcc
; %bb.3570:
	s_mov_b32 s10, 0x7f800001
	s_xor_b64 s[4:5], exec, -1
; %bb.3571:
	s_or_b64 exec, exec, s[8:9]
	s_and_b64 s[4:5], s[4:5], exec
                                        ; implicit-def: $vgpr3
	s_or_saveexec_b64 s[6:7], s[6:7]
	v_mov_b32_e32 v2, s10
	s_xor_b64 exec, exec, s[6:7]
	s_cbranch_execz .LBB10_1522
.LBB10_3572:
	v_cmp_ne_u16_e32 vcc, 0, v3
	s_andn2_b64 s[4:5], s[4:5], exec
	s_and_b64 s[8:9], vcc, exec
	v_mov_b32_e32 v2, 0
	s_or_b64 s[4:5], s[4:5], s[8:9]
	s_or_b64 exec, exec, s[6:7]
	s_and_saveexec_b64 s[6:7], s[4:5]
	s_cbranch_execnz .LBB10_1523
	s_branch .LBB10_1524
.LBB10_3573:
	s_movk_i32 s4, 0x80
	v_cmp_eq_u16_e32 vcc, s4, v3
	s_mov_b64 s[4:5], -1
                                        ; implicit-def: $sgpr10
	s_and_saveexec_b64 s[8:9], vcc
; %bb.3574:
	s_mov_b32 s10, 0x7f800001
	s_xor_b64 s[4:5], exec, -1
; %bb.3575:
	s_or_b64 exec, exec, s[8:9]
	s_and_b64 s[4:5], s[4:5], exec
                                        ; implicit-def: $vgpr3
	s_or_saveexec_b64 s[6:7], s[6:7]
	v_mov_b32_e32 v4, s10
	s_xor_b64 exec, exec, s[6:7]
	s_cbranch_execz .LBB10_1526
.LBB10_3576:
	v_cmp_ne_u16_e32 vcc, 0, v3
	s_andn2_b64 s[4:5], s[4:5], exec
	s_and_b64 s[8:9], vcc, exec
	v_mov_b32_e32 v4, 0
	s_or_b64 s[4:5], s[4:5], s[8:9]
	s_or_b64 exec, exec, s[6:7]
	s_and_saveexec_b64 s[6:7], s[4:5]
	s_cbranch_execnz .LBB10_1527
	s_branch .LBB10_1528
.LBB10_3577:
	s_movk_i32 s4, 0x80
	v_cmp_eq_u16_sdwa s[12:13], v9, s4 src0_sel:BYTE_3 src1_sel:DWORD
	s_mov_b64 s[4:5], -1
                                        ; implicit-def: $sgpr10
	s_and_saveexec_b64 s[8:9], s[12:13]
; %bb.3578:
	s_mov_b32 s10, 0x7f800001
	s_xor_b64 s[4:5], exec, -1
; %bb.3579:
	s_or_b64 exec, exec, s[8:9]
	s_and_b64 s[4:5], s[4:5], exec
	s_or_saveexec_b64 s[6:7], s[6:7]
	v_mov_b32_e32 v2, s10
	s_xor_b64 exec, exec, s[6:7]
	s_cbranch_execz .LBB10_1530
.LBB10_3580:
	v_mov_b32_e32 v2, 0
	v_cmp_ne_u16_sdwa s[8:9], v9, v2 src0_sel:BYTE_3 src1_sel:DWORD
	s_andn2_b64 s[4:5], s[4:5], exec
	s_and_b64 s[8:9], s[8:9], exec
	s_or_b64 s[4:5], s[4:5], s[8:9]
	s_or_b64 exec, exec, s[6:7]
	s_and_saveexec_b64 s[6:7], s[4:5]
	s_cbranch_execnz .LBB10_1531
	s_branch .LBB10_1532
.LBB10_3581:
	s_movk_i32 s4, 0x80
	v_cmp_eq_u16_sdwa s[12:13], v5, s4 src0_sel:BYTE_3 src1_sel:DWORD
	s_mov_b64 s[4:5], -1
                                        ; implicit-def: $sgpr10
	s_and_saveexec_b64 s[8:9], s[12:13]
; %bb.3582:
	s_mov_b32 s10, 0x7f800001
	s_xor_b64 s[4:5], exec, -1
; %bb.3583:
	s_or_b64 exec, exec, s[8:9]
	s_and_b64 s[4:5], s[4:5], exec
	s_or_saveexec_b64 s[6:7], s[6:7]
	v_mov_b32_e32 v3, s10
	s_xor_b64 exec, exec, s[6:7]
	s_cbranch_execz .LBB10_1534
.LBB10_3584:
	v_mov_b32_e32 v3, 0
	v_cmp_ne_u16_sdwa s[8:9], v5, v3 src0_sel:BYTE_3 src1_sel:DWORD
	s_andn2_b64 s[4:5], s[4:5], exec
	s_and_b64 s[8:9], s[8:9], exec
	s_or_b64 s[4:5], s[4:5], s[8:9]
	s_or_b64 exec, exec, s[6:7]
	s_and_saveexec_b64 s[6:7], s[4:5]
	s_cbranch_execnz .LBB10_1535
	s_branch .LBB10_1536
.LBB10_3585:
	s_movk_i32 s4, 0x80
	v_cmp_eq_u16_sdwa s[12:13], v14, s4 src0_sel:BYTE_0 src1_sel:DWORD
	s_mov_b64 s[4:5], -1
                                        ; implicit-def: $sgpr10
	s_and_saveexec_b64 s[8:9], s[12:13]
; %bb.3586:
	s_mov_b32 s10, 0x7f800001
	s_xor_b64 s[4:5], exec, -1
; %bb.3587:
	s_or_b64 exec, exec, s[8:9]
	s_and_b64 s[4:5], s[4:5], exec
	s_or_saveexec_b64 s[6:7], s[6:7]
	v_mov_b32_e32 v20, s10
	s_xor_b64 exec, exec, s[6:7]
	s_cbranch_execz .LBB10_1538
.LBB10_3588:
	v_mov_b32_e32 v20, 0
	v_cmp_ne_u16_sdwa s[8:9], v14, v20 src0_sel:BYTE_0 src1_sel:DWORD
	s_andn2_b64 s[4:5], s[4:5], exec
	s_and_b64 s[8:9], s[8:9], exec
	s_or_b64 s[4:5], s[4:5], s[8:9]
	s_or_b64 exec, exec, s[6:7]
	s_and_saveexec_b64 s[6:7], s[4:5]
	s_cbranch_execnz .LBB10_1539
	s_branch .LBB10_1540
.LBB10_3589:
	s_movk_i32 s4, 0x80
	v_cmp_eq_u16_sdwa s[12:13], v10, s4 src0_sel:BYTE_0 src1_sel:DWORD
	s_mov_b64 s[4:5], -1
                                        ; implicit-def: $sgpr10
	s_and_saveexec_b64 s[8:9], s[12:13]
; %bb.3590:
	s_mov_b32 s10, 0x7f800001
	s_xor_b64 s[4:5], exec, -1
; %bb.3591:
	s_or_b64 exec, exec, s[8:9]
	s_and_b64 s[4:5], s[4:5], exec
	s_or_saveexec_b64 s[6:7], s[6:7]
	v_mov_b32_e32 v21, s10
	s_xor_b64 exec, exec, s[6:7]
	s_cbranch_execz .LBB10_1542
.LBB10_3592:
	v_mov_b32_e32 v21, 0
	v_cmp_ne_u16_sdwa s[8:9], v10, v21 src0_sel:BYTE_0 src1_sel:DWORD
	s_andn2_b64 s[4:5], s[4:5], exec
	s_and_b64 s[8:9], s[8:9], exec
	s_or_b64 s[4:5], s[4:5], s[8:9]
	s_or_b64 exec, exec, s[6:7]
	s_and_saveexec_b64 s[6:7], s[4:5]
	s_cbranch_execnz .LBB10_1543
	s_branch .LBB10_1544
.LBB10_3593:
	s_movk_i32 s4, 0x80
	v_cmp_eq_u16_sdwa s[12:13], v21, s4 src0_sel:BYTE_0 src1_sel:DWORD
	s_mov_b64 s[4:5], -1
                                        ; implicit-def: $sgpr10
	s_and_saveexec_b64 s[8:9], s[12:13]
; %bb.3594:
	s_mov_b32 s10, 0x7f800001
	s_xor_b64 s[4:5], exec, -1
; %bb.3595:
	s_or_b64 exec, exec, s[8:9]
	s_and_b64 s[4:5], s[4:5], exec
	s_or_saveexec_b64 s[6:7], s[6:7]
	v_mov_b32_e32 v20, s10
	s_xor_b64 exec, exec, s[6:7]
	s_cbranch_execz .LBB10_1546
.LBB10_3596:
	v_mov_b32_e32 v20, 0
	v_cmp_ne_u16_sdwa s[8:9], v21, v20 src0_sel:BYTE_0 src1_sel:DWORD
	s_andn2_b64 s[4:5], s[4:5], exec
	s_and_b64 s[8:9], s[8:9], exec
	s_or_b64 s[4:5], s[4:5], s[8:9]
	s_or_b64 exec, exec, s[6:7]
	s_and_saveexec_b64 s[6:7], s[4:5]
	s_cbranch_execnz .LBB10_1547
	s_branch .LBB10_1548
.LBB10_3597:
	s_movk_i32 s4, 0x80
	v_cmp_eq_u16_sdwa s[12:13], v21, s4 src0_sel:BYTE_0 src1_sel:DWORD
	s_mov_b64 s[4:5], -1
                                        ; implicit-def: $sgpr10
	s_and_saveexec_b64 s[8:9], s[12:13]
; %bb.3598:
	s_mov_b32 s10, 0x7f800001
	s_xor_b64 s[4:5], exec, -1
; %bb.3599:
	s_or_b64 exec, exec, s[8:9]
	s_and_b64 s[4:5], s[4:5], exec
	s_or_saveexec_b64 s[6:7], s[6:7]
	v_mov_b32_e32 v22, s10
	s_xor_b64 exec, exec, s[6:7]
	s_cbranch_execz .LBB10_1550
.LBB10_3600:
	v_mov_b32_e32 v22, 0
	v_cmp_ne_u16_sdwa s[8:9], v21, v22 src0_sel:BYTE_0 src1_sel:DWORD
	s_andn2_b64 s[4:5], s[4:5], exec
	s_and_b64 s[8:9], s[8:9], exec
	s_or_b64 s[4:5], s[4:5], s[8:9]
	s_or_b64 exec, exec, s[6:7]
	s_and_saveexec_b64 s[6:7], s[4:5]
	s_cbranch_execnz .LBB10_1551
	s_branch .LBB10_1552
.LBB10_3601:
	s_movk_i32 s4, 0x80
	v_cmp_eq_u16_e32 vcc, s4, v21
	s_mov_b64 s[4:5], -1
                                        ; implicit-def: $sgpr10
	s_and_saveexec_b64 s[8:9], vcc
; %bb.3602:
	s_mov_b32 s10, 0x7f800001
	s_xor_b64 s[4:5], exec, -1
; %bb.3603:
	s_or_b64 exec, exec, s[8:9]
	s_and_b64 s[4:5], s[4:5], exec
                                        ; implicit-def: $vgpr21
	s_or_saveexec_b64 s[6:7], s[6:7]
	v_mov_b32_e32 v20, s10
	s_xor_b64 exec, exec, s[6:7]
	s_cbranch_execz .LBB10_1554
.LBB10_3604:
	v_cmp_ne_u16_e32 vcc, 0, v21
	s_andn2_b64 s[4:5], s[4:5], exec
	s_and_b64 s[8:9], vcc, exec
	v_mov_b32_e32 v20, 0
	s_or_b64 s[4:5], s[4:5], s[8:9]
	s_or_b64 exec, exec, s[6:7]
	s_and_saveexec_b64 s[6:7], s[4:5]
	s_cbranch_execnz .LBB10_1555
	s_branch .LBB10_1556
.LBB10_3605:
	s_movk_i32 s4, 0x80
	v_cmp_eq_u16_e32 vcc, s4, v21
	s_mov_b64 s[4:5], -1
                                        ; implicit-def: $sgpr10
	s_and_saveexec_b64 s[8:9], vcc
; %bb.3606:
	s_mov_b32 s10, 0x7f800001
	s_xor_b64 s[4:5], exec, -1
; %bb.3607:
	s_or_b64 exec, exec, s[8:9]
	s_and_b64 s[4:5], s[4:5], exec
                                        ; implicit-def: $vgpr21
	s_or_saveexec_b64 s[6:7], s[6:7]
	v_mov_b32_e32 v22, s10
	s_xor_b64 exec, exec, s[6:7]
	s_cbranch_execz .LBB10_1558
.LBB10_3608:
	v_cmp_ne_u16_e32 vcc, 0, v21
	s_andn2_b64 s[4:5], s[4:5], exec
	s_and_b64 s[8:9], vcc, exec
	v_mov_b32_e32 v22, 0
	s_or_b64 s[4:5], s[4:5], s[8:9]
	s_or_b64 exec, exec, s[6:7]
	s_and_saveexec_b64 s[6:7], s[4:5]
	s_cbranch_execnz .LBB10_1559
	s_branch .LBB10_1560
.LBB10_3609:
	s_movk_i32 s4, 0x80
	v_cmp_eq_u16_sdwa s[12:13], v14, s4 src0_sel:BYTE_3 src1_sel:DWORD
	s_mov_b64 s[4:5], -1
                                        ; implicit-def: $sgpr10
	s_and_saveexec_b64 s[8:9], s[12:13]
; %bb.3610:
	s_mov_b32 s10, 0x7f800001
	s_xor_b64 s[4:5], exec, -1
; %bb.3611:
	s_or_b64 exec, exec, s[8:9]
	s_and_b64 s[4:5], s[4:5], exec
	s_or_saveexec_b64 s[6:7], s[6:7]
	v_mov_b32_e32 v20, s10
	s_xor_b64 exec, exec, s[6:7]
	s_cbranch_execz .LBB10_1562
.LBB10_3612:
	v_mov_b32_e32 v20, 0
	v_cmp_ne_u16_sdwa s[8:9], v14, v20 src0_sel:BYTE_3 src1_sel:DWORD
	s_andn2_b64 s[4:5], s[4:5], exec
	s_and_b64 s[8:9], s[8:9], exec
	s_or_b64 s[4:5], s[4:5], s[8:9]
	s_or_b64 exec, exec, s[6:7]
	s_and_saveexec_b64 s[6:7], s[4:5]
	s_cbranch_execnz .LBB10_1563
	s_branch .LBB10_1564
.LBB10_3613:
	s_movk_i32 s4, 0x80
	v_cmp_eq_u16_sdwa s[12:13], v10, s4 src0_sel:BYTE_3 src1_sel:DWORD
	s_mov_b64 s[4:5], -1
                                        ; implicit-def: $sgpr10
	s_and_saveexec_b64 s[8:9], s[12:13]
; %bb.3614:
	s_mov_b32 s10, 0x7f800001
	s_xor_b64 s[4:5], exec, -1
; %bb.3615:
	s_or_b64 exec, exec, s[8:9]
	s_and_b64 s[4:5], s[4:5], exec
	s_or_saveexec_b64 s[6:7], s[6:7]
	v_mov_b32_e32 v14, s10
	s_xor_b64 exec, exec, s[6:7]
	s_cbranch_execz .LBB10_1566
.LBB10_3616:
	v_mov_b32_e32 v14, 0
	v_cmp_ne_u16_sdwa s[8:9], v10, v14 src0_sel:BYTE_3 src1_sel:DWORD
	s_andn2_b64 s[4:5], s[4:5], exec
	s_and_b64 s[8:9], s[8:9], exec
	s_or_b64 s[4:5], s[4:5], s[8:9]
	s_or_b64 exec, exec, s[6:7]
	s_and_saveexec_b64 s[6:7], s[4:5]
	s_cbranch_execnz .LBB10_1567
	s_branch .LBB10_1568
.LBB10_3617:
	s_movk_i32 s4, 0x80
	v_cmp_eq_u16_sdwa s[12:13], v15, s4 src0_sel:BYTE_0 src1_sel:DWORD
	s_mov_b64 s[4:5], -1
                                        ; implicit-def: $sgpr10
	s_and_saveexec_b64 s[8:9], s[12:13]
; %bb.3618:
	s_mov_b32 s10, 0x7f800001
	s_xor_b64 s[4:5], exec, -1
; %bb.3619:
	s_or_b64 exec, exec, s[8:9]
	s_and_b64 s[4:5], s[4:5], exec
	s_or_saveexec_b64 s[6:7], s[6:7]
	v_mov_b32_e32 v10, s10
	s_xor_b64 exec, exec, s[6:7]
	s_cbranch_execz .LBB10_1570
.LBB10_3620:
	v_mov_b32_e32 v10, 0
	v_cmp_ne_u16_sdwa s[8:9], v15, v10 src0_sel:BYTE_0 src1_sel:DWORD
	s_andn2_b64 s[4:5], s[4:5], exec
	s_and_b64 s[8:9], s[8:9], exec
	s_or_b64 s[4:5], s[4:5], s[8:9]
	s_or_b64 exec, exec, s[6:7]
	s_and_saveexec_b64 s[6:7], s[4:5]
	s_cbranch_execnz .LBB10_1571
	s_branch .LBB10_1572
.LBB10_3621:
	s_movk_i32 s4, 0x80
	v_cmp_eq_u16_sdwa s[12:13], v11, s4 src0_sel:BYTE_0 src1_sel:DWORD
	s_mov_b64 s[4:5], -1
                                        ; implicit-def: $sgpr10
	s_and_saveexec_b64 s[8:9], s[12:13]
; %bb.3622:
	s_mov_b32 s10, 0x7f800001
	s_xor_b64 s[4:5], exec, -1
; %bb.3623:
	s_or_b64 exec, exec, s[8:9]
	s_and_b64 s[4:5], s[4:5], exec
	s_or_saveexec_b64 s[6:7], s[6:7]
	v_mov_b32_e32 v14, s10
	s_xor_b64 exec, exec, s[6:7]
	s_cbranch_execz .LBB10_1574
.LBB10_3624:
	v_mov_b32_e32 v14, 0
	v_cmp_ne_u16_sdwa s[8:9], v11, v14 src0_sel:BYTE_0 src1_sel:DWORD
	s_andn2_b64 s[4:5], s[4:5], exec
	s_and_b64 s[8:9], s[8:9], exec
	s_or_b64 s[4:5], s[4:5], s[8:9]
	s_or_b64 exec, exec, s[6:7]
	s_and_saveexec_b64 s[6:7], s[4:5]
	s_cbranch_execnz .LBB10_1575
	s_branch .LBB10_1576
.LBB10_3625:
	s_movk_i32 s4, 0x80
	v_cmp_eq_u16_sdwa s[12:13], v14, s4 src0_sel:BYTE_0 src1_sel:DWORD
	s_mov_b64 s[4:5], -1
                                        ; implicit-def: $sgpr10
	s_and_saveexec_b64 s[8:9], s[12:13]
; %bb.3626:
	s_mov_b32 s10, 0x7f800001
	s_xor_b64 s[4:5], exec, -1
; %bb.3627:
	s_or_b64 exec, exec, s[8:9]
	s_and_b64 s[4:5], s[4:5], exec
	s_or_saveexec_b64 s[6:7], s[6:7]
	v_mov_b32_e32 v10, s10
	s_xor_b64 exec, exec, s[6:7]
	s_cbranch_execz .LBB10_1578
.LBB10_3628:
	v_mov_b32_e32 v10, 0
	v_cmp_ne_u16_sdwa s[8:9], v14, v10 src0_sel:BYTE_0 src1_sel:DWORD
	s_andn2_b64 s[4:5], s[4:5], exec
	s_and_b64 s[8:9], s[8:9], exec
	s_or_b64 s[4:5], s[4:5], s[8:9]
	s_or_b64 exec, exec, s[6:7]
	s_and_saveexec_b64 s[6:7], s[4:5]
	s_cbranch_execnz .LBB10_1579
	s_branch .LBB10_1580
.LBB10_3629:
	s_movk_i32 s4, 0x80
	v_cmp_eq_u16_sdwa s[12:13], v14, s4 src0_sel:BYTE_0 src1_sel:DWORD
	s_mov_b64 s[4:5], -1
                                        ; implicit-def: $sgpr10
	s_and_saveexec_b64 s[8:9], s[12:13]
; %bb.3630:
	s_mov_b32 s10, 0x7f800001
	s_xor_b64 s[4:5], exec, -1
; %bb.3631:
	s_or_b64 exec, exec, s[8:9]
	s_and_b64 s[4:5], s[4:5], exec
	s_or_saveexec_b64 s[6:7], s[6:7]
	v_mov_b32_e32 v20, s10
	s_xor_b64 exec, exec, s[6:7]
	s_cbranch_execz .LBB10_1582
.LBB10_3632:
	v_mov_b32_e32 v20, 0
	v_cmp_ne_u16_sdwa s[8:9], v14, v20 src0_sel:BYTE_0 src1_sel:DWORD
	s_andn2_b64 s[4:5], s[4:5], exec
	s_and_b64 s[8:9], s[8:9], exec
	s_or_b64 s[4:5], s[4:5], s[8:9]
	s_or_b64 exec, exec, s[6:7]
	s_and_saveexec_b64 s[6:7], s[4:5]
	s_cbranch_execnz .LBB10_1583
	s_branch .LBB10_1584
.LBB10_3633:
	s_movk_i32 s4, 0x80
	v_cmp_eq_u16_e32 vcc, s4, v14
	s_mov_b64 s[4:5], -1
                                        ; implicit-def: $sgpr10
	s_and_saveexec_b64 s[8:9], vcc
; %bb.3634:
	s_mov_b32 s10, 0x7f800001
	s_xor_b64 s[4:5], exec, -1
; %bb.3635:
	s_or_b64 exec, exec, s[8:9]
	s_and_b64 s[4:5], s[4:5], exec
                                        ; implicit-def: $vgpr14
	s_or_saveexec_b64 s[6:7], s[6:7]
	v_mov_b32_e32 v10, s10
	s_xor_b64 exec, exec, s[6:7]
	s_cbranch_execz .LBB10_1586
.LBB10_3636:
	v_cmp_ne_u16_e32 vcc, 0, v14
	s_andn2_b64 s[4:5], s[4:5], exec
	s_and_b64 s[8:9], vcc, exec
	v_mov_b32_e32 v10, 0
	s_or_b64 s[4:5], s[4:5], s[8:9]
	s_or_b64 exec, exec, s[6:7]
	s_and_saveexec_b64 s[6:7], s[4:5]
	s_cbranch_execnz .LBB10_1587
	s_branch .LBB10_1588
.LBB10_3637:
	s_movk_i32 s4, 0x80
	v_cmp_eq_u16_e32 vcc, s4, v14
	s_mov_b64 s[4:5], -1
                                        ; implicit-def: $sgpr10
	s_and_saveexec_b64 s[8:9], vcc
; %bb.3638:
	s_mov_b32 s10, 0x7f800001
	s_xor_b64 s[4:5], exec, -1
; %bb.3639:
	s_or_b64 exec, exec, s[8:9]
	s_and_b64 s[4:5], s[4:5], exec
                                        ; implicit-def: $vgpr14
	s_or_saveexec_b64 s[6:7], s[6:7]
	v_mov_b32_e32 v20, s10
	s_xor_b64 exec, exec, s[6:7]
	s_cbranch_execz .LBB10_1590
.LBB10_3640:
	v_cmp_ne_u16_e32 vcc, 0, v14
	s_andn2_b64 s[4:5], s[4:5], exec
	s_and_b64 s[8:9], vcc, exec
	v_mov_b32_e32 v20, 0
	s_or_b64 s[4:5], s[4:5], s[8:9]
	s_or_b64 exec, exec, s[6:7]
	s_and_saveexec_b64 s[6:7], s[4:5]
	s_cbranch_execnz .LBB10_1591
	s_branch .LBB10_1592
.LBB10_3641:
	s_movk_i32 s4, 0x80
	v_cmp_eq_u16_sdwa s[12:13], v15, s4 src0_sel:BYTE_3 src1_sel:DWORD
	s_mov_b64 s[4:5], -1
                                        ; implicit-def: $sgpr10
	s_and_saveexec_b64 s[8:9], s[12:13]
; %bb.3642:
	s_mov_b32 s10, 0x7f800001
	s_xor_b64 s[4:5], exec, -1
; %bb.3643:
	s_or_b64 exec, exec, s[8:9]
	s_and_b64 s[4:5], s[4:5], exec
	s_or_saveexec_b64 s[6:7], s[6:7]
	v_mov_b32_e32 v10, s10
	s_xor_b64 exec, exec, s[6:7]
	s_cbranch_execz .LBB10_1594
.LBB10_3644:
	v_mov_b32_e32 v10, 0
	v_cmp_ne_u16_sdwa s[8:9], v15, v10 src0_sel:BYTE_3 src1_sel:DWORD
	s_andn2_b64 s[4:5], s[4:5], exec
	s_and_b64 s[8:9], s[8:9], exec
	s_or_b64 s[4:5], s[4:5], s[8:9]
	s_or_b64 exec, exec, s[6:7]
	s_and_saveexec_b64 s[6:7], s[4:5]
	s_cbranch_execnz .LBB10_1595
	s_branch .LBB10_1596
.LBB10_3645:
	s_movk_i32 s4, 0x80
	v_cmp_eq_u16_sdwa s[12:13], v11, s4 src0_sel:BYTE_3 src1_sel:DWORD
	s_mov_b64 s[4:5], -1
                                        ; implicit-def: $sgpr10
	s_and_saveexec_b64 s[8:9], s[12:13]
; %bb.3646:
	s_mov_b32 s10, 0x7f800001
	s_xor_b64 s[4:5], exec, -1
; %bb.3647:
	s_or_b64 exec, exec, s[8:9]
	s_and_b64 s[4:5], s[4:5], exec
	s_or_saveexec_b64 s[6:7], s[6:7]
	v_mov_b32_e32 v14, s10
	s_xor_b64 exec, exec, s[6:7]
	s_cbranch_execz .LBB10_1598
.LBB10_3648:
	v_mov_b32_e32 v14, 0
	v_cmp_ne_u16_sdwa s[8:9], v11, v14 src0_sel:BYTE_3 src1_sel:DWORD
	s_andn2_b64 s[4:5], s[4:5], exec
	s_and_b64 s[8:9], s[8:9], exec
	s_or_b64 s[4:5], s[4:5], s[8:9]
	s_or_b64 exec, exec, s[6:7]
	s_and_saveexec_b64 s[6:7], s[4:5]
	s_cbranch_execnz .LBB10_1599
	s_branch .LBB10_1600
.LBB10_3649:
	s_movk_i32 s4, 0x80
	v_cmp_eq_u16_sdwa s[12:13], v16, s4 src0_sel:BYTE_0 src1_sel:DWORD
	s_mov_b64 s[4:5], -1
                                        ; implicit-def: $sgpr10
	s_and_saveexec_b64 s[8:9], s[12:13]
; %bb.3650:
	s_mov_b32 s10, 0x7f800001
	s_xor_b64 s[4:5], exec, -1
; %bb.3651:
	s_or_b64 exec, exec, s[8:9]
	s_and_b64 s[4:5], s[4:5], exec
	s_or_saveexec_b64 s[6:7], s[6:7]
	v_mov_b32_e32 v10, s10
	s_xor_b64 exec, exec, s[6:7]
	s_cbranch_execz .LBB10_1602
.LBB10_3652:
	v_mov_b32_e32 v10, 0
	v_cmp_ne_u16_sdwa s[8:9], v16, v10 src0_sel:BYTE_0 src1_sel:DWORD
	s_andn2_b64 s[4:5], s[4:5], exec
	s_and_b64 s[8:9], s[8:9], exec
	s_or_b64 s[4:5], s[4:5], s[8:9]
	s_or_b64 exec, exec, s[6:7]
	s_and_saveexec_b64 s[6:7], s[4:5]
	s_cbranch_execnz .LBB10_1603
	s_branch .LBB10_1604
.LBB10_3653:
	s_movk_i32 s4, 0x80
	v_cmp_eq_u16_sdwa s[12:13], v12, s4 src0_sel:BYTE_0 src1_sel:DWORD
	s_mov_b64 s[4:5], -1
                                        ; implicit-def: $sgpr10
	s_and_saveexec_b64 s[8:9], s[12:13]
; %bb.3654:
	s_mov_b32 s10, 0x7f800001
	s_xor_b64 s[4:5], exec, -1
; %bb.3655:
	s_or_b64 exec, exec, s[8:9]
	s_and_b64 s[4:5], s[4:5], exec
	s_or_saveexec_b64 s[6:7], s[6:7]
	v_mov_b32_e32 v11, s10
	s_xor_b64 exec, exec, s[6:7]
	s_cbranch_execz .LBB10_1606
.LBB10_3656:
	v_mov_b32_e32 v11, 0
	v_cmp_ne_u16_sdwa s[8:9], v12, v11 src0_sel:BYTE_0 src1_sel:DWORD
	s_andn2_b64 s[4:5], s[4:5], exec
	s_and_b64 s[8:9], s[8:9], exec
	s_or_b64 s[4:5], s[4:5], s[8:9]
	s_or_b64 exec, exec, s[6:7]
	s_and_saveexec_b64 s[6:7], s[4:5]
	s_cbranch_execnz .LBB10_1607
	s_branch .LBB10_1608
.LBB10_3657:
	s_movk_i32 s4, 0x80
	v_cmp_eq_u16_sdwa s[12:13], v11, s4 src0_sel:BYTE_0 src1_sel:DWORD
	s_mov_b64 s[4:5], -1
                                        ; implicit-def: $sgpr10
	s_and_saveexec_b64 s[8:9], s[12:13]
; %bb.3658:
	s_mov_b32 s10, 0x7f800001
	s_xor_b64 s[4:5], exec, -1
; %bb.3659:
	s_or_b64 exec, exec, s[8:9]
	s_and_b64 s[4:5], s[4:5], exec
	s_or_saveexec_b64 s[6:7], s[6:7]
	v_mov_b32_e32 v10, s10
	s_xor_b64 exec, exec, s[6:7]
	s_cbranch_execz .LBB10_1610
.LBB10_3660:
	v_mov_b32_e32 v10, 0
	v_cmp_ne_u16_sdwa s[8:9], v11, v10 src0_sel:BYTE_0 src1_sel:DWORD
	s_andn2_b64 s[4:5], s[4:5], exec
	s_and_b64 s[8:9], s[8:9], exec
	s_or_b64 s[4:5], s[4:5], s[8:9]
	s_or_b64 exec, exec, s[6:7]
	s_and_saveexec_b64 s[6:7], s[4:5]
	s_cbranch_execnz .LBB10_1611
	s_branch .LBB10_1612
.LBB10_3661:
	s_movk_i32 s4, 0x80
	v_cmp_eq_u16_sdwa s[12:13], v11, s4 src0_sel:BYTE_0 src1_sel:DWORD
	s_mov_b64 s[4:5], -1
                                        ; implicit-def: $sgpr10
	s_and_saveexec_b64 s[8:9], s[12:13]
; %bb.3662:
	s_mov_b32 s10, 0x7f800001
	s_xor_b64 s[4:5], exec, -1
; %bb.3663:
	s_or_b64 exec, exec, s[8:9]
	s_and_b64 s[4:5], s[4:5], exec
	s_or_saveexec_b64 s[6:7], s[6:7]
	v_mov_b32_e32 v14, s10
	s_xor_b64 exec, exec, s[6:7]
	s_cbranch_execz .LBB10_1614
.LBB10_3664:
	v_mov_b32_e32 v14, 0
	v_cmp_ne_u16_sdwa s[8:9], v11, v14 src0_sel:BYTE_0 src1_sel:DWORD
	s_andn2_b64 s[4:5], s[4:5], exec
	s_and_b64 s[8:9], s[8:9], exec
	s_or_b64 s[4:5], s[4:5], s[8:9]
	s_or_b64 exec, exec, s[6:7]
	s_and_saveexec_b64 s[6:7], s[4:5]
	s_cbranch_execnz .LBB10_1615
	s_branch .LBB10_1616
.LBB10_3665:
	s_movk_i32 s4, 0x80
	v_cmp_eq_u16_e32 vcc, s4, v11
	s_mov_b64 s[4:5], -1
                                        ; implicit-def: $sgpr10
	s_and_saveexec_b64 s[8:9], vcc
; %bb.3666:
	s_mov_b32 s10, 0x7f800001
	s_xor_b64 s[4:5], exec, -1
; %bb.3667:
	s_or_b64 exec, exec, s[8:9]
	s_and_b64 s[4:5], s[4:5], exec
                                        ; implicit-def: $vgpr11
	s_or_saveexec_b64 s[6:7], s[6:7]
	v_mov_b32_e32 v10, s10
	s_xor_b64 exec, exec, s[6:7]
	s_cbranch_execz .LBB10_1618
.LBB10_3668:
	v_cmp_ne_u16_e32 vcc, 0, v11
	s_andn2_b64 s[4:5], s[4:5], exec
	s_and_b64 s[8:9], vcc, exec
	v_mov_b32_e32 v10, 0
	s_or_b64 s[4:5], s[4:5], s[8:9]
	s_or_b64 exec, exec, s[6:7]
	s_and_saveexec_b64 s[6:7], s[4:5]
	s_cbranch_execnz .LBB10_1619
	s_branch .LBB10_1620
.LBB10_3669:
	s_movk_i32 s4, 0x80
	v_cmp_eq_u16_e32 vcc, s4, v11
	s_mov_b64 s[4:5], -1
                                        ; implicit-def: $sgpr10
	s_and_saveexec_b64 s[8:9], vcc
; %bb.3670:
	s_mov_b32 s10, 0x7f800001
	s_xor_b64 s[4:5], exec, -1
; %bb.3671:
	s_or_b64 exec, exec, s[8:9]
	s_and_b64 s[4:5], s[4:5], exec
                                        ; implicit-def: $vgpr11
	s_or_saveexec_b64 s[6:7], s[6:7]
	v_mov_b32_e32 v14, s10
	s_xor_b64 exec, exec, s[6:7]
	s_cbranch_execz .LBB10_1622
.LBB10_3672:
	v_cmp_ne_u16_e32 vcc, 0, v11
	s_andn2_b64 s[4:5], s[4:5], exec
	s_and_b64 s[8:9], vcc, exec
	v_mov_b32_e32 v14, 0
	s_or_b64 s[4:5], s[4:5], s[8:9]
	s_or_b64 exec, exec, s[6:7]
	s_and_saveexec_b64 s[6:7], s[4:5]
	s_cbranch_execnz .LBB10_1623
	s_branch .LBB10_1624
.LBB10_3673:
	s_movk_i32 s4, 0x80
	v_cmp_eq_u16_sdwa s[12:13], v16, s4 src0_sel:BYTE_3 src1_sel:DWORD
	s_mov_b64 s[4:5], -1
                                        ; implicit-def: $sgpr10
	s_and_saveexec_b64 s[8:9], s[12:13]
; %bb.3674:
	s_mov_b32 s10, 0x7f800001
	s_xor_b64 s[4:5], exec, -1
; %bb.3675:
	s_or_b64 exec, exec, s[8:9]
	s_and_b64 s[4:5], s[4:5], exec
	s_or_saveexec_b64 s[6:7], s[6:7]
	v_mov_b32_e32 v10, s10
	s_xor_b64 exec, exec, s[6:7]
	s_cbranch_execz .LBB10_1626
.LBB10_3676:
	v_mov_b32_e32 v10, 0
	v_cmp_ne_u16_sdwa s[8:9], v16, v10 src0_sel:BYTE_3 src1_sel:DWORD
	s_andn2_b64 s[4:5], s[4:5], exec
	s_and_b64 s[8:9], s[8:9], exec
	s_or_b64 s[4:5], s[4:5], s[8:9]
	s_or_b64 exec, exec, s[6:7]
	s_and_saveexec_b64 s[6:7], s[4:5]
	s_cbranch_execnz .LBB10_1627
	s_branch .LBB10_1628
.LBB10_3677:
	s_movk_i32 s4, 0x80
	v_cmp_eq_u16_sdwa s[12:13], v12, s4 src0_sel:BYTE_3 src1_sel:DWORD
	s_mov_b64 s[4:5], -1
                                        ; implicit-def: $sgpr10
	s_and_saveexec_b64 s[8:9], s[12:13]
; %bb.3678:
	s_mov_b32 s10, 0x7f800001
	s_xor_b64 s[4:5], exec, -1
; %bb.3679:
	s_or_b64 exec, exec, s[8:9]
	s_and_b64 s[4:5], s[4:5], exec
	s_or_saveexec_b64 s[6:7], s[6:7]
	v_mov_b32_e32 v11, s10
	s_xor_b64 exec, exec, s[6:7]
	s_cbranch_execz .LBB10_1630
.LBB10_3680:
	v_mov_b32_e32 v11, 0
	v_cmp_ne_u16_sdwa s[8:9], v12, v11 src0_sel:BYTE_3 src1_sel:DWORD
	s_andn2_b64 s[4:5], s[4:5], exec
	s_and_b64 s[8:9], s[8:9], exec
	s_or_b64 s[4:5], s[4:5], s[8:9]
	s_or_b64 exec, exec, s[6:7]
	s_and_saveexec_b64 s[6:7], s[4:5]
	s_cbranch_execnz .LBB10_1631
	s_branch .LBB10_1632
.LBB10_3681:
	s_movk_i32 s4, 0x80
	v_cmp_eq_u16_sdwa s[12:13], v17, s4 src0_sel:BYTE_0 src1_sel:DWORD
	s_mov_b64 s[4:5], -1
                                        ; implicit-def: $sgpr10
	s_and_saveexec_b64 s[8:9], s[12:13]
; %bb.3682:
	s_mov_b32 s10, 0x7f800001
	s_xor_b64 s[4:5], exec, -1
; %bb.3683:
	s_or_b64 exec, exec, s[8:9]
	s_and_b64 s[4:5], s[4:5], exec
	s_or_saveexec_b64 s[6:7], s[6:7]
	v_mov_b32_e32 v10, s10
	s_xor_b64 exec, exec, s[6:7]
	s_cbranch_execz .LBB10_1634
.LBB10_3684:
	v_mov_b32_e32 v10, 0
	v_cmp_ne_u16_sdwa s[8:9], v17, v10 src0_sel:BYTE_0 src1_sel:DWORD
	s_andn2_b64 s[4:5], s[4:5], exec
	s_and_b64 s[8:9], s[8:9], exec
	s_or_b64 s[4:5], s[4:5], s[8:9]
	s_or_b64 exec, exec, s[6:7]
	s_and_saveexec_b64 s[6:7], s[4:5]
	s_cbranch_execnz .LBB10_1635
	s_branch .LBB10_1636
.LBB10_3685:
	s_movk_i32 s4, 0x80
	v_cmp_eq_u16_sdwa s[12:13], v13, s4 src0_sel:BYTE_0 src1_sel:DWORD
	s_mov_b64 s[4:5], -1
                                        ; implicit-def: $sgpr10
	s_and_saveexec_b64 s[8:9], s[12:13]
; %bb.3686:
	s_mov_b32 s10, 0x7f800001
	s_xor_b64 s[4:5], exec, -1
; %bb.3687:
	s_or_b64 exec, exec, s[8:9]
	s_and_b64 s[4:5], s[4:5], exec
	s_or_saveexec_b64 s[6:7], s[6:7]
	v_mov_b32_e32 v11, s10
	s_xor_b64 exec, exec, s[6:7]
	s_cbranch_execz .LBB10_1638
.LBB10_3688:
	v_mov_b32_e32 v11, 0
	v_cmp_ne_u16_sdwa s[8:9], v13, v11 src0_sel:BYTE_0 src1_sel:DWORD
	s_andn2_b64 s[4:5], s[4:5], exec
	s_and_b64 s[8:9], s[8:9], exec
	s_or_b64 s[4:5], s[4:5], s[8:9]
	s_or_b64 exec, exec, s[6:7]
	s_and_saveexec_b64 s[6:7], s[4:5]
	s_cbranch_execnz .LBB10_1639
	s_branch .LBB10_1640
.LBB10_3689:
	s_movk_i32 s4, 0x80
	v_cmp_eq_u16_sdwa s[12:13], v11, s4 src0_sel:BYTE_0 src1_sel:DWORD
	s_mov_b64 s[4:5], -1
                                        ; implicit-def: $sgpr10
	s_and_saveexec_b64 s[8:9], s[12:13]
; %bb.3690:
	s_mov_b32 s10, 0x7f800001
	s_xor_b64 s[4:5], exec, -1
; %bb.3691:
	s_or_b64 exec, exec, s[8:9]
	s_and_b64 s[4:5], s[4:5], exec
	s_or_saveexec_b64 s[6:7], s[6:7]
	v_mov_b32_e32 v10, s10
	s_xor_b64 exec, exec, s[6:7]
	s_cbranch_execz .LBB10_1642
.LBB10_3692:
	v_mov_b32_e32 v10, 0
	v_cmp_ne_u16_sdwa s[8:9], v11, v10 src0_sel:BYTE_0 src1_sel:DWORD
	s_andn2_b64 s[4:5], s[4:5], exec
	s_and_b64 s[8:9], s[8:9], exec
	s_or_b64 s[4:5], s[4:5], s[8:9]
	s_or_b64 exec, exec, s[6:7]
	s_and_saveexec_b64 s[6:7], s[4:5]
	s_cbranch_execnz .LBB10_1643
	s_branch .LBB10_1644
.LBB10_3693:
	s_movk_i32 s4, 0x80
	v_cmp_eq_u16_sdwa s[12:13], v11, s4 src0_sel:BYTE_0 src1_sel:DWORD
	s_mov_b64 s[4:5], -1
                                        ; implicit-def: $sgpr10
	s_and_saveexec_b64 s[8:9], s[12:13]
; %bb.3694:
	s_mov_b32 s10, 0x7f800001
	s_xor_b64 s[4:5], exec, -1
; %bb.3695:
	s_or_b64 exec, exec, s[8:9]
	s_and_b64 s[4:5], s[4:5], exec
	s_or_saveexec_b64 s[6:7], s[6:7]
	v_mov_b32_e32 v12, s10
	s_xor_b64 exec, exec, s[6:7]
	s_cbranch_execz .LBB10_1646
.LBB10_3696:
	v_mov_b32_e32 v12, 0
	v_cmp_ne_u16_sdwa s[8:9], v11, v12 src0_sel:BYTE_0 src1_sel:DWORD
	s_andn2_b64 s[4:5], s[4:5], exec
	s_and_b64 s[8:9], s[8:9], exec
	s_or_b64 s[4:5], s[4:5], s[8:9]
	s_or_b64 exec, exec, s[6:7]
	s_and_saveexec_b64 s[6:7], s[4:5]
	s_cbranch_execnz .LBB10_1647
	s_branch .LBB10_1648
.LBB10_3697:
	s_movk_i32 s4, 0x80
	v_cmp_eq_u16_e32 vcc, s4, v11
	s_mov_b64 s[4:5], -1
                                        ; implicit-def: $sgpr10
	s_and_saveexec_b64 s[8:9], vcc
; %bb.3698:
	s_mov_b32 s10, 0x7f800001
	s_xor_b64 s[4:5], exec, -1
; %bb.3699:
	s_or_b64 exec, exec, s[8:9]
	s_and_b64 s[4:5], s[4:5], exec
                                        ; implicit-def: $vgpr11
	s_or_saveexec_b64 s[6:7], s[6:7]
	v_mov_b32_e32 v10, s10
	s_xor_b64 exec, exec, s[6:7]
	s_cbranch_execz .LBB10_1650
.LBB10_3700:
	v_cmp_ne_u16_e32 vcc, 0, v11
	s_andn2_b64 s[4:5], s[4:5], exec
	s_and_b64 s[8:9], vcc, exec
	v_mov_b32_e32 v10, 0
	s_or_b64 s[4:5], s[4:5], s[8:9]
	s_or_b64 exec, exec, s[6:7]
	s_and_saveexec_b64 s[6:7], s[4:5]
	s_cbranch_execnz .LBB10_1651
	s_branch .LBB10_1652
.LBB10_3701:
	s_movk_i32 s4, 0x80
	v_cmp_eq_u16_e32 vcc, s4, v11
	s_mov_b64 s[4:5], -1
                                        ; implicit-def: $sgpr10
	s_and_saveexec_b64 s[8:9], vcc
; %bb.3702:
	s_mov_b32 s10, 0x7f800001
	s_xor_b64 s[4:5], exec, -1
; %bb.3703:
	s_or_b64 exec, exec, s[8:9]
	s_and_b64 s[4:5], s[4:5], exec
                                        ; implicit-def: $vgpr11
	s_or_saveexec_b64 s[6:7], s[6:7]
	v_mov_b32_e32 v12, s10
	s_xor_b64 exec, exec, s[6:7]
	s_cbranch_execz .LBB10_1654
.LBB10_3704:
	v_cmp_ne_u16_e32 vcc, 0, v11
	s_andn2_b64 s[4:5], s[4:5], exec
	s_and_b64 s[8:9], vcc, exec
	v_mov_b32_e32 v12, 0
	s_or_b64 s[4:5], s[4:5], s[8:9]
	s_or_b64 exec, exec, s[6:7]
	s_and_saveexec_b64 s[6:7], s[4:5]
	s_cbranch_execnz .LBB10_1655
	s_branch .LBB10_1656
.LBB10_3705:
	s_movk_i32 s4, 0x80
	v_cmp_eq_u16_sdwa s[12:13], v17, s4 src0_sel:BYTE_3 src1_sel:DWORD
	s_mov_b64 s[4:5], -1
                                        ; implicit-def: $sgpr10
	s_and_saveexec_b64 s[8:9], s[12:13]
; %bb.3706:
	s_mov_b32 s10, 0x7f800001
	s_xor_b64 s[4:5], exec, -1
; %bb.3707:
	s_or_b64 exec, exec, s[8:9]
	s_and_b64 s[4:5], s[4:5], exec
	s_or_saveexec_b64 s[6:7], s[6:7]
	v_mov_b32_e32 v10, s10
	s_xor_b64 exec, exec, s[6:7]
	s_cbranch_execz .LBB10_1658
.LBB10_3708:
	v_mov_b32_e32 v10, 0
	v_cmp_ne_u16_sdwa s[8:9], v17, v10 src0_sel:BYTE_3 src1_sel:DWORD
	s_andn2_b64 s[4:5], s[4:5], exec
	s_and_b64 s[8:9], s[8:9], exec
	s_or_b64 s[4:5], s[4:5], s[8:9]
	s_or_b64 exec, exec, s[6:7]
	s_and_saveexec_b64 s[6:7], s[4:5]
	s_cbranch_execnz .LBB10_1659
	s_branch .LBB10_1660
.LBB10_3709:
	s_movk_i32 s4, 0x80
	v_cmp_eq_u16_sdwa s[12:13], v13, s4 src0_sel:BYTE_3 src1_sel:DWORD
	s_mov_b64 s[4:5], -1
                                        ; implicit-def: $sgpr10
	s_and_saveexec_b64 s[8:9], s[12:13]
; %bb.3710:
	s_mov_b32 s10, 0x7f800001
	s_xor_b64 s[4:5], exec, -1
; %bb.3711:
	s_or_b64 exec, exec, s[8:9]
	s_and_b64 s[4:5], s[4:5], exec
	s_or_saveexec_b64 s[6:7], s[6:7]
	v_mov_b32_e32 v11, s10
	s_xor_b64 exec, exec, s[6:7]
	s_cbranch_execz .LBB10_1662
.LBB10_3712:
	v_mov_b32_e32 v11, 0
	v_cmp_ne_u16_sdwa s[8:9], v13, v11 src0_sel:BYTE_3 src1_sel:DWORD
	s_andn2_b64 s[4:5], s[4:5], exec
	s_and_b64 s[8:9], s[8:9], exec
	s_or_b64 s[4:5], s[4:5], s[8:9]
	s_or_b64 exec, exec, s[6:7]
	s_and_saveexec_b64 s[6:7], s[4:5]
	s_cbranch_execnz .LBB10_1663
	s_branch .LBB10_1664
.LBB10_3713:
	s_movk_i32 s4, 0x80
	v_cmp_eq_u16_sdwa s[12:13], v6, s4 src0_sel:BYTE_0 src1_sel:DWORD
	s_mov_b64 s[4:5], -1
                                        ; implicit-def: $sgpr10
	s_and_saveexec_b64 s[8:9], s[12:13]
; %bb.3714:
	s_mov_b32 s10, 0x7f800001
	s_xor_b64 s[4:5], exec, -1
; %bb.3715:
	s_or_b64 exec, exec, s[8:9]
	s_and_b64 s[4:5], s[4:5], exec
	s_or_saveexec_b64 s[6:7], s[6:7]
	v_mov_b32_e32 v10, s10
	s_xor_b64 exec, exec, s[6:7]
	s_cbranch_execz .LBB10_1666
.LBB10_3716:
	v_mov_b32_e32 v10, 0
	v_cmp_ne_u16_sdwa s[8:9], v6, v10 src0_sel:BYTE_0 src1_sel:DWORD
	s_andn2_b64 s[4:5], s[4:5], exec
	s_and_b64 s[8:9], s[8:9], exec
	s_or_b64 s[4:5], s[4:5], s[8:9]
	s_or_b64 exec, exec, s[6:7]
	s_and_saveexec_b64 s[6:7], s[4:5]
	s_cbranch_execnz .LBB10_1667
	s_branch .LBB10_1668
.LBB10_3717:
	s_movk_i32 s4, 0x80
	v_cmp_eq_u16_sdwa s[12:13], v2, s4 src0_sel:BYTE_0 src1_sel:DWORD
	s_mov_b64 s[4:5], -1
                                        ; implicit-def: $sgpr10
	s_and_saveexec_b64 s[8:9], s[12:13]
; %bb.3718:
	s_mov_b32 s10, 0x7f800001
	s_xor_b64 s[4:5], exec, -1
; %bb.3719:
	s_or_b64 exec, exec, s[8:9]
	s_and_b64 s[4:5], s[4:5], exec
	s_or_saveexec_b64 s[6:7], s[6:7]
	v_mov_b32_e32 v11, s10
	s_xor_b64 exec, exec, s[6:7]
	s_cbranch_execz .LBB10_1670
.LBB10_3720:
	v_mov_b32_e32 v11, 0
	v_cmp_ne_u16_sdwa s[8:9], v2, v11 src0_sel:BYTE_0 src1_sel:DWORD
	s_andn2_b64 s[4:5], s[4:5], exec
	s_and_b64 s[8:9], s[8:9], exec
	s_or_b64 s[4:5], s[4:5], s[8:9]
	s_or_b64 exec, exec, s[6:7]
	s_and_saveexec_b64 s[6:7], s[4:5]
	s_cbranch_execnz .LBB10_1671
	s_branch .LBB10_1672
.LBB10_3721:
	s_movk_i32 s4, 0x80
	v_cmp_eq_u16_sdwa s[12:13], v11, s4 src0_sel:BYTE_0 src1_sel:DWORD
	s_mov_b64 s[4:5], -1
                                        ; implicit-def: $sgpr10
	s_and_saveexec_b64 s[8:9], s[12:13]
; %bb.3722:
	s_mov_b32 s10, 0x7f800001
	s_xor_b64 s[4:5], exec, -1
; %bb.3723:
	s_or_b64 exec, exec, s[8:9]
	s_and_b64 s[4:5], s[4:5], exec
	s_or_saveexec_b64 s[6:7], s[6:7]
	v_mov_b32_e32 v10, s10
	s_xor_b64 exec, exec, s[6:7]
	s_cbranch_execz .LBB10_1674
.LBB10_3724:
	v_mov_b32_e32 v10, 0
	v_cmp_ne_u16_sdwa s[8:9], v11, v10 src0_sel:BYTE_0 src1_sel:DWORD
	s_andn2_b64 s[4:5], s[4:5], exec
	s_and_b64 s[8:9], s[8:9], exec
	s_or_b64 s[4:5], s[4:5], s[8:9]
	s_or_b64 exec, exec, s[6:7]
	s_and_saveexec_b64 s[6:7], s[4:5]
	s_cbranch_execnz .LBB10_1675
	s_branch .LBB10_1676
.LBB10_3725:
	s_movk_i32 s4, 0x80
	v_cmp_eq_u16_sdwa s[12:13], v11, s4 src0_sel:BYTE_0 src1_sel:DWORD
	s_mov_b64 s[4:5], -1
                                        ; implicit-def: $sgpr10
	s_and_saveexec_b64 s[8:9], s[12:13]
; %bb.3726:
	s_mov_b32 s10, 0x7f800001
	s_xor_b64 s[4:5], exec, -1
; %bb.3727:
	s_or_b64 exec, exec, s[8:9]
	s_and_b64 s[4:5], s[4:5], exec
	s_or_saveexec_b64 s[6:7], s[6:7]
	v_mov_b32_e32 v12, s10
	s_xor_b64 exec, exec, s[6:7]
	s_cbranch_execz .LBB10_1678
.LBB10_3728:
	v_mov_b32_e32 v12, 0
	v_cmp_ne_u16_sdwa s[8:9], v11, v12 src0_sel:BYTE_0 src1_sel:DWORD
	s_andn2_b64 s[4:5], s[4:5], exec
	s_and_b64 s[8:9], s[8:9], exec
	s_or_b64 s[4:5], s[4:5], s[8:9]
	s_or_b64 exec, exec, s[6:7]
	s_and_saveexec_b64 s[6:7], s[4:5]
	s_cbranch_execnz .LBB10_1679
	s_branch .LBB10_1680
.LBB10_3729:
	s_movk_i32 s4, 0x80
	v_cmp_eq_u16_e32 vcc, s4, v11
	s_mov_b64 s[4:5], -1
                                        ; implicit-def: $sgpr10
	s_and_saveexec_b64 s[8:9], vcc
; %bb.3730:
	s_mov_b32 s10, 0x7f800001
	s_xor_b64 s[4:5], exec, -1
; %bb.3731:
	s_or_b64 exec, exec, s[8:9]
	s_and_b64 s[4:5], s[4:5], exec
                                        ; implicit-def: $vgpr11
	s_or_saveexec_b64 s[6:7], s[6:7]
	v_mov_b32_e32 v10, s10
	s_xor_b64 exec, exec, s[6:7]
	s_cbranch_execz .LBB10_1682
.LBB10_3732:
	v_cmp_ne_u16_e32 vcc, 0, v11
	s_andn2_b64 s[4:5], s[4:5], exec
	s_and_b64 s[8:9], vcc, exec
	v_mov_b32_e32 v10, 0
	s_or_b64 s[4:5], s[4:5], s[8:9]
	s_or_b64 exec, exec, s[6:7]
	s_and_saveexec_b64 s[6:7], s[4:5]
	s_cbranch_execnz .LBB10_1683
	s_branch .LBB10_1684
.LBB10_3733:
	s_movk_i32 s4, 0x80
	v_cmp_eq_u16_e32 vcc, s4, v11
	s_mov_b64 s[4:5], -1
                                        ; implicit-def: $sgpr10
	s_and_saveexec_b64 s[8:9], vcc
; %bb.3734:
	s_mov_b32 s10, 0x7f800001
	s_xor_b64 s[4:5], exec, -1
; %bb.3735:
	s_or_b64 exec, exec, s[8:9]
	s_and_b64 s[4:5], s[4:5], exec
                                        ; implicit-def: $vgpr11
	s_or_saveexec_b64 s[6:7], s[6:7]
	v_mov_b32_e32 v12, s10
	s_xor_b64 exec, exec, s[6:7]
	s_cbranch_execz .LBB10_1686
.LBB10_3736:
	v_cmp_ne_u16_e32 vcc, 0, v11
	s_andn2_b64 s[4:5], s[4:5], exec
	s_and_b64 s[8:9], vcc, exec
	v_mov_b32_e32 v12, 0
	s_or_b64 s[4:5], s[4:5], s[8:9]
	s_or_b64 exec, exec, s[6:7]
	s_and_saveexec_b64 s[6:7], s[4:5]
	s_cbranch_execnz .LBB10_1687
	s_branch .LBB10_1688
.LBB10_3737:
	s_movk_i32 s4, 0x80
	v_cmp_eq_u16_sdwa s[12:13], v6, s4 src0_sel:BYTE_3 src1_sel:DWORD
	s_mov_b64 s[4:5], -1
                                        ; implicit-def: $sgpr10
	s_and_saveexec_b64 s[8:9], s[12:13]
; %bb.3738:
	s_mov_b32 s10, 0x7f800001
	s_xor_b64 s[4:5], exec, -1
; %bb.3739:
	s_or_b64 exec, exec, s[8:9]
	s_and_b64 s[4:5], s[4:5], exec
	s_or_saveexec_b64 s[6:7], s[6:7]
	v_mov_b32_e32 v10, s10
	s_xor_b64 exec, exec, s[6:7]
	s_cbranch_execz .LBB10_1690
.LBB10_3740:
	v_mov_b32_e32 v10, 0
	v_cmp_ne_u16_sdwa s[8:9], v6, v10 src0_sel:BYTE_3 src1_sel:DWORD
	s_andn2_b64 s[4:5], s[4:5], exec
	s_and_b64 s[8:9], s[8:9], exec
	s_or_b64 s[4:5], s[4:5], s[8:9]
	s_or_b64 exec, exec, s[6:7]
	s_and_saveexec_b64 s[6:7], s[4:5]
	s_cbranch_execnz .LBB10_1691
	s_branch .LBB10_1692
.LBB10_3741:
	s_movk_i32 s4, 0x80
	v_cmp_eq_u16_sdwa s[12:13], v2, s4 src0_sel:BYTE_3 src1_sel:DWORD
	s_mov_b64 s[4:5], -1
                                        ; implicit-def: $sgpr10
	s_and_saveexec_b64 s[8:9], s[12:13]
; %bb.3742:
	s_mov_b32 s10, 0x7f800001
	s_xor_b64 s[4:5], exec, -1
; %bb.3743:
	s_or_b64 exec, exec, s[8:9]
	s_and_b64 s[4:5], s[4:5], exec
	s_or_saveexec_b64 s[6:7], s[6:7]
	v_mov_b32_e32 v6, s10
	s_xor_b64 exec, exec, s[6:7]
	s_cbranch_execz .LBB10_1694
.LBB10_3744:
	v_mov_b32_e32 v6, 0
	v_cmp_ne_u16_sdwa s[8:9], v2, v6 src0_sel:BYTE_3 src1_sel:DWORD
	s_andn2_b64 s[4:5], s[4:5], exec
	s_and_b64 s[8:9], s[8:9], exec
	s_or_b64 s[4:5], s[4:5], s[8:9]
	s_or_b64 exec, exec, s[6:7]
	s_and_saveexec_b64 s[6:7], s[4:5]
	s_cbranch_execnz .LBB10_1695
	s_branch .LBB10_1696
.LBB10_3745:
	s_movk_i32 s4, 0x80
	v_cmp_eq_u16_sdwa s[12:13], v7, s4 src0_sel:BYTE_0 src1_sel:DWORD
	s_mov_b64 s[4:5], -1
                                        ; implicit-def: $sgpr10
	s_and_saveexec_b64 s[8:9], s[12:13]
; %bb.3746:
	s_mov_b32 s10, 0x7f800001
	s_xor_b64 s[4:5], exec, -1
; %bb.3747:
	s_or_b64 exec, exec, s[8:9]
	s_and_b64 s[4:5], s[4:5], exec
	s_or_saveexec_b64 s[6:7], s[6:7]
	v_mov_b32_e32 v2, s10
	s_xor_b64 exec, exec, s[6:7]
	s_cbranch_execz .LBB10_1698
.LBB10_3748:
	v_mov_b32_e32 v2, 0
	v_cmp_ne_u16_sdwa s[8:9], v7, v2 src0_sel:BYTE_0 src1_sel:DWORD
	s_andn2_b64 s[4:5], s[4:5], exec
	s_and_b64 s[8:9], s[8:9], exec
	s_or_b64 s[4:5], s[4:5], s[8:9]
	s_or_b64 exec, exec, s[6:7]
	s_and_saveexec_b64 s[6:7], s[4:5]
	s_cbranch_execnz .LBB10_1699
	s_branch .LBB10_1700
.LBB10_3749:
	s_movk_i32 s4, 0x80
	v_cmp_eq_u16_sdwa s[12:13], v3, s4 src0_sel:BYTE_0 src1_sel:DWORD
	s_mov_b64 s[4:5], -1
                                        ; implicit-def: $sgpr10
	s_and_saveexec_b64 s[8:9], s[12:13]
; %bb.3750:
	s_mov_b32 s10, 0x7f800001
	s_xor_b64 s[4:5], exec, -1
; %bb.3751:
	s_or_b64 exec, exec, s[8:9]
	s_and_b64 s[4:5], s[4:5], exec
	s_or_saveexec_b64 s[6:7], s[6:7]
	v_mov_b32_e32 v6, s10
	s_xor_b64 exec, exec, s[6:7]
	s_cbranch_execz .LBB10_1702
.LBB10_3752:
	v_mov_b32_e32 v6, 0
	v_cmp_ne_u16_sdwa s[8:9], v3, v6 src0_sel:BYTE_0 src1_sel:DWORD
	s_andn2_b64 s[4:5], s[4:5], exec
	s_and_b64 s[8:9], s[8:9], exec
	s_or_b64 s[4:5], s[4:5], s[8:9]
	s_or_b64 exec, exec, s[6:7]
	s_and_saveexec_b64 s[6:7], s[4:5]
	s_cbranch_execnz .LBB10_1703
	s_branch .LBB10_1704
.LBB10_3753:
	s_movk_i32 s4, 0x80
	v_cmp_eq_u16_sdwa s[12:13], v6, s4 src0_sel:BYTE_0 src1_sel:DWORD
	s_mov_b64 s[4:5], -1
                                        ; implicit-def: $sgpr10
	s_and_saveexec_b64 s[8:9], s[12:13]
; %bb.3754:
	s_mov_b32 s10, 0x7f800001
	s_xor_b64 s[4:5], exec, -1
; %bb.3755:
	s_or_b64 exec, exec, s[8:9]
	s_and_b64 s[4:5], s[4:5], exec
	s_or_saveexec_b64 s[6:7], s[6:7]
	v_mov_b32_e32 v2, s10
	s_xor_b64 exec, exec, s[6:7]
	s_cbranch_execz .LBB10_1706
.LBB10_3756:
	v_mov_b32_e32 v2, 0
	v_cmp_ne_u16_sdwa s[8:9], v6, v2 src0_sel:BYTE_0 src1_sel:DWORD
	s_andn2_b64 s[4:5], s[4:5], exec
	s_and_b64 s[8:9], s[8:9], exec
	s_or_b64 s[4:5], s[4:5], s[8:9]
	s_or_b64 exec, exec, s[6:7]
	s_and_saveexec_b64 s[6:7], s[4:5]
	s_cbranch_execnz .LBB10_1707
	s_branch .LBB10_1708
.LBB10_3757:
	s_movk_i32 s4, 0x80
	v_cmp_eq_u16_sdwa s[12:13], v6, s4 src0_sel:BYTE_0 src1_sel:DWORD
	s_mov_b64 s[4:5], -1
                                        ; implicit-def: $sgpr10
	s_and_saveexec_b64 s[8:9], s[12:13]
; %bb.3758:
	s_mov_b32 s10, 0x7f800001
	s_xor_b64 s[4:5], exec, -1
; %bb.3759:
	s_or_b64 exec, exec, s[8:9]
	s_and_b64 s[4:5], s[4:5], exec
	s_or_saveexec_b64 s[6:7], s[6:7]
	v_mov_b32_e32 v10, s10
	s_xor_b64 exec, exec, s[6:7]
	s_cbranch_execz .LBB10_1710
.LBB10_3760:
	v_mov_b32_e32 v10, 0
	v_cmp_ne_u16_sdwa s[8:9], v6, v10 src0_sel:BYTE_0 src1_sel:DWORD
	s_andn2_b64 s[4:5], s[4:5], exec
	s_and_b64 s[8:9], s[8:9], exec
	s_or_b64 s[4:5], s[4:5], s[8:9]
	s_or_b64 exec, exec, s[6:7]
	s_and_saveexec_b64 s[6:7], s[4:5]
	s_cbranch_execnz .LBB10_1711
	s_branch .LBB10_1712
.LBB10_3761:
	s_movk_i32 s4, 0x80
	v_cmp_eq_u16_e32 vcc, s4, v6
	s_mov_b64 s[4:5], -1
                                        ; implicit-def: $sgpr10
	s_and_saveexec_b64 s[8:9], vcc
; %bb.3762:
	s_mov_b32 s10, 0x7f800001
	s_xor_b64 s[4:5], exec, -1
; %bb.3763:
	s_or_b64 exec, exec, s[8:9]
	s_and_b64 s[4:5], s[4:5], exec
                                        ; implicit-def: $vgpr6
	s_or_saveexec_b64 s[6:7], s[6:7]
	v_mov_b32_e32 v2, s10
	s_xor_b64 exec, exec, s[6:7]
	s_cbranch_execz .LBB10_1714
.LBB10_3764:
	v_cmp_ne_u16_e32 vcc, 0, v6
	s_andn2_b64 s[4:5], s[4:5], exec
	s_and_b64 s[8:9], vcc, exec
	v_mov_b32_e32 v2, 0
	s_or_b64 s[4:5], s[4:5], s[8:9]
	s_or_b64 exec, exec, s[6:7]
	s_and_saveexec_b64 s[6:7], s[4:5]
	s_cbranch_execnz .LBB10_1715
	s_branch .LBB10_1716
.LBB10_3765:
	s_movk_i32 s4, 0x80
	v_cmp_eq_u16_e32 vcc, s4, v6
	s_mov_b64 s[4:5], -1
                                        ; implicit-def: $sgpr10
	s_and_saveexec_b64 s[8:9], vcc
; %bb.3766:
	s_mov_b32 s10, 0x7f800001
	s_xor_b64 s[4:5], exec, -1
; %bb.3767:
	s_or_b64 exec, exec, s[8:9]
	s_and_b64 s[4:5], s[4:5], exec
                                        ; implicit-def: $vgpr6
	s_or_saveexec_b64 s[6:7], s[6:7]
	v_mov_b32_e32 v10, s10
	s_xor_b64 exec, exec, s[6:7]
	s_cbranch_execz .LBB10_1718
.LBB10_3768:
	v_cmp_ne_u16_e32 vcc, 0, v6
	s_andn2_b64 s[4:5], s[4:5], exec
	s_and_b64 s[8:9], vcc, exec
	v_mov_b32_e32 v10, 0
	s_or_b64 s[4:5], s[4:5], s[8:9]
	s_or_b64 exec, exec, s[6:7]
	s_and_saveexec_b64 s[6:7], s[4:5]
	s_cbranch_execnz .LBB10_1719
	s_branch .LBB10_1720
.LBB10_3769:
	s_movk_i32 s4, 0x80
	v_cmp_eq_u16_sdwa s[12:13], v7, s4 src0_sel:BYTE_3 src1_sel:DWORD
	s_mov_b64 s[4:5], -1
                                        ; implicit-def: $sgpr10
	s_and_saveexec_b64 s[8:9], s[12:13]
; %bb.3770:
	s_mov_b32 s10, 0x7f800001
	s_xor_b64 s[4:5], exec, -1
; %bb.3771:
	s_or_b64 exec, exec, s[8:9]
	s_and_b64 s[4:5], s[4:5], exec
	s_or_saveexec_b64 s[6:7], s[6:7]
	v_mov_b32_e32 v2, s10
	s_xor_b64 exec, exec, s[6:7]
	s_cbranch_execz .LBB10_1722
.LBB10_3772:
	v_mov_b32_e32 v2, 0
	v_cmp_ne_u16_sdwa s[8:9], v7, v2 src0_sel:BYTE_3 src1_sel:DWORD
	s_andn2_b64 s[4:5], s[4:5], exec
	s_and_b64 s[8:9], s[8:9], exec
	s_or_b64 s[4:5], s[4:5], s[8:9]
	s_or_b64 exec, exec, s[6:7]
	s_and_saveexec_b64 s[6:7], s[4:5]
	s_cbranch_execnz .LBB10_1723
	s_branch .LBB10_1724
.LBB10_3773:
	s_movk_i32 s4, 0x80
	v_cmp_eq_u16_sdwa s[12:13], v3, s4 src0_sel:BYTE_3 src1_sel:DWORD
	s_mov_b64 s[4:5], -1
                                        ; implicit-def: $sgpr10
	s_and_saveexec_b64 s[8:9], s[12:13]
; %bb.3774:
	s_mov_b32 s10, 0x7f800001
	s_xor_b64 s[4:5], exec, -1
; %bb.3775:
	s_or_b64 exec, exec, s[8:9]
	s_and_b64 s[4:5], s[4:5], exec
	s_or_saveexec_b64 s[6:7], s[6:7]
	v_mov_b32_e32 v6, s10
	s_xor_b64 exec, exec, s[6:7]
	s_cbranch_execz .LBB10_1726
.LBB10_3776:
	v_mov_b32_e32 v6, 0
	v_cmp_ne_u16_sdwa s[8:9], v3, v6 src0_sel:BYTE_3 src1_sel:DWORD
	s_andn2_b64 s[4:5], s[4:5], exec
	s_and_b64 s[8:9], s[8:9], exec
	s_or_b64 s[4:5], s[4:5], s[8:9]
	s_or_b64 exec, exec, s[6:7]
	s_and_saveexec_b64 s[6:7], s[4:5]
	s_cbranch_execnz .LBB10_1727
	s_branch .LBB10_1728
.LBB10_3777:
	s_movk_i32 s4, 0x80
	v_cmp_eq_u16_sdwa s[12:13], v8, s4 src0_sel:BYTE_0 src1_sel:DWORD
	s_mov_b64 s[4:5], -1
                                        ; implicit-def: $sgpr10
	s_and_saveexec_b64 s[8:9], s[12:13]
; %bb.3778:
	s_mov_b32 s10, 0x7f800001
	s_xor_b64 s[4:5], exec, -1
; %bb.3779:
	s_or_b64 exec, exec, s[8:9]
	s_and_b64 s[4:5], s[4:5], exec
	s_or_saveexec_b64 s[6:7], s[6:7]
	v_mov_b32_e32 v2, s10
	s_xor_b64 exec, exec, s[6:7]
	s_cbranch_execz .LBB10_1730
.LBB10_3780:
	v_mov_b32_e32 v2, 0
	v_cmp_ne_u16_sdwa s[8:9], v8, v2 src0_sel:BYTE_0 src1_sel:DWORD
	s_andn2_b64 s[4:5], s[4:5], exec
	s_and_b64 s[8:9], s[8:9], exec
	s_or_b64 s[4:5], s[4:5], s[8:9]
	s_or_b64 exec, exec, s[6:7]
	s_and_saveexec_b64 s[6:7], s[4:5]
	s_cbranch_execnz .LBB10_1731
	s_branch .LBB10_1732
.LBB10_3781:
	s_movk_i32 s4, 0x80
	v_cmp_eq_u16_sdwa s[12:13], v4, s4 src0_sel:BYTE_0 src1_sel:DWORD
	s_mov_b64 s[4:5], -1
                                        ; implicit-def: $sgpr10
	s_and_saveexec_b64 s[8:9], s[12:13]
; %bb.3782:
	s_mov_b32 s10, 0x7f800001
	s_xor_b64 s[4:5], exec, -1
; %bb.3783:
	s_or_b64 exec, exec, s[8:9]
	s_and_b64 s[4:5], s[4:5], exec
	s_or_saveexec_b64 s[6:7], s[6:7]
	v_mov_b32_e32 v3, s10
	s_xor_b64 exec, exec, s[6:7]
	s_cbranch_execz .LBB10_1734
.LBB10_3784:
	v_mov_b32_e32 v3, 0
	v_cmp_ne_u16_sdwa s[8:9], v4, v3 src0_sel:BYTE_0 src1_sel:DWORD
	s_andn2_b64 s[4:5], s[4:5], exec
	s_and_b64 s[8:9], s[8:9], exec
	s_or_b64 s[4:5], s[4:5], s[8:9]
	s_or_b64 exec, exec, s[6:7]
	s_and_saveexec_b64 s[6:7], s[4:5]
	s_cbranch_execnz .LBB10_1735
	s_branch .LBB10_1736
.LBB10_3785:
	s_movk_i32 s4, 0x80
	v_cmp_eq_u16_sdwa s[12:13], v3, s4 src0_sel:BYTE_0 src1_sel:DWORD
	s_mov_b64 s[4:5], -1
                                        ; implicit-def: $sgpr10
	s_and_saveexec_b64 s[8:9], s[12:13]
; %bb.3786:
	s_mov_b32 s10, 0x7f800001
	s_xor_b64 s[4:5], exec, -1
; %bb.3787:
	s_or_b64 exec, exec, s[8:9]
	s_and_b64 s[4:5], s[4:5], exec
	s_or_saveexec_b64 s[6:7], s[6:7]
	v_mov_b32_e32 v2, s10
	s_xor_b64 exec, exec, s[6:7]
	s_cbranch_execz .LBB10_1738
.LBB10_3788:
	v_mov_b32_e32 v2, 0
	v_cmp_ne_u16_sdwa s[8:9], v3, v2 src0_sel:BYTE_0 src1_sel:DWORD
	s_andn2_b64 s[4:5], s[4:5], exec
	s_and_b64 s[8:9], s[8:9], exec
	s_or_b64 s[4:5], s[4:5], s[8:9]
	s_or_b64 exec, exec, s[6:7]
	s_and_saveexec_b64 s[6:7], s[4:5]
	s_cbranch_execnz .LBB10_1739
	s_branch .LBB10_1740
.LBB10_3789:
	s_movk_i32 s4, 0x80
	v_cmp_eq_u16_sdwa s[12:13], v3, s4 src0_sel:BYTE_0 src1_sel:DWORD
	s_mov_b64 s[4:5], -1
                                        ; implicit-def: $sgpr10
	s_and_saveexec_b64 s[8:9], s[12:13]
; %bb.3790:
	s_mov_b32 s10, 0x7f800001
	s_xor_b64 s[4:5], exec, -1
; %bb.3791:
	s_or_b64 exec, exec, s[8:9]
	s_and_b64 s[4:5], s[4:5], exec
	s_or_saveexec_b64 s[6:7], s[6:7]
	v_mov_b32_e32 v6, s10
	s_xor_b64 exec, exec, s[6:7]
	s_cbranch_execz .LBB10_1742
.LBB10_3792:
	v_mov_b32_e32 v6, 0
	v_cmp_ne_u16_sdwa s[8:9], v3, v6 src0_sel:BYTE_0 src1_sel:DWORD
	s_andn2_b64 s[4:5], s[4:5], exec
	s_and_b64 s[8:9], s[8:9], exec
	s_or_b64 s[4:5], s[4:5], s[8:9]
	s_or_b64 exec, exec, s[6:7]
	s_and_saveexec_b64 s[6:7], s[4:5]
	s_cbranch_execnz .LBB10_1743
	s_branch .LBB10_1744
.LBB10_3793:
	s_movk_i32 s4, 0x80
	v_cmp_eq_u16_e32 vcc, s4, v3
	s_mov_b64 s[4:5], -1
                                        ; implicit-def: $sgpr10
	s_and_saveexec_b64 s[8:9], vcc
; %bb.3794:
	s_mov_b32 s10, 0x7f800001
	s_xor_b64 s[4:5], exec, -1
; %bb.3795:
	s_or_b64 exec, exec, s[8:9]
	s_and_b64 s[4:5], s[4:5], exec
                                        ; implicit-def: $vgpr3
	s_or_saveexec_b64 s[6:7], s[6:7]
	v_mov_b32_e32 v2, s10
	s_xor_b64 exec, exec, s[6:7]
	s_cbranch_execz .LBB10_1746
.LBB10_3796:
	v_cmp_ne_u16_e32 vcc, 0, v3
	s_andn2_b64 s[4:5], s[4:5], exec
	s_and_b64 s[8:9], vcc, exec
	v_mov_b32_e32 v2, 0
	s_or_b64 s[4:5], s[4:5], s[8:9]
	s_or_b64 exec, exec, s[6:7]
	s_and_saveexec_b64 s[6:7], s[4:5]
	s_cbranch_execnz .LBB10_1747
	s_branch .LBB10_1748
.LBB10_3797:
	s_movk_i32 s4, 0x80
	v_cmp_eq_u16_e32 vcc, s4, v3
	s_mov_b64 s[4:5], -1
                                        ; implicit-def: $sgpr10
	s_and_saveexec_b64 s[8:9], vcc
; %bb.3798:
	s_mov_b32 s10, 0x7f800001
	s_xor_b64 s[4:5], exec, -1
; %bb.3799:
	s_or_b64 exec, exec, s[8:9]
	s_and_b64 s[4:5], s[4:5], exec
                                        ; implicit-def: $vgpr3
	s_or_saveexec_b64 s[6:7], s[6:7]
	v_mov_b32_e32 v6, s10
	s_xor_b64 exec, exec, s[6:7]
	s_cbranch_execz .LBB10_1750
.LBB10_3800:
	v_cmp_ne_u16_e32 vcc, 0, v3
	s_andn2_b64 s[4:5], s[4:5], exec
	s_and_b64 s[8:9], vcc, exec
	v_mov_b32_e32 v6, 0
	s_or_b64 s[4:5], s[4:5], s[8:9]
	s_or_b64 exec, exec, s[6:7]
	s_and_saveexec_b64 s[6:7], s[4:5]
	s_cbranch_execnz .LBB10_1751
	s_branch .LBB10_1752
.LBB10_3801:
	s_movk_i32 s4, 0x80
	v_cmp_eq_u16_sdwa s[12:13], v8, s4 src0_sel:BYTE_3 src1_sel:DWORD
	s_mov_b64 s[4:5], -1
                                        ; implicit-def: $sgpr10
	s_and_saveexec_b64 s[8:9], s[12:13]
; %bb.3802:
	s_mov_b32 s10, 0x7f800001
	s_xor_b64 s[4:5], exec, -1
; %bb.3803:
	s_or_b64 exec, exec, s[8:9]
	s_and_b64 s[4:5], s[4:5], exec
	s_or_saveexec_b64 s[6:7], s[6:7]
	v_mov_b32_e32 v2, s10
	s_xor_b64 exec, exec, s[6:7]
	s_cbranch_execz .LBB10_1754
.LBB10_3804:
	v_mov_b32_e32 v2, 0
	v_cmp_ne_u16_sdwa s[8:9], v8, v2 src0_sel:BYTE_3 src1_sel:DWORD
	s_andn2_b64 s[4:5], s[4:5], exec
	s_and_b64 s[8:9], s[8:9], exec
	s_or_b64 s[4:5], s[4:5], s[8:9]
	s_or_b64 exec, exec, s[6:7]
	s_and_saveexec_b64 s[6:7], s[4:5]
	s_cbranch_execnz .LBB10_1755
	s_branch .LBB10_1756
.LBB10_3805:
	s_movk_i32 s4, 0x80
	v_cmp_eq_u16_sdwa s[12:13], v4, s4 src0_sel:BYTE_3 src1_sel:DWORD
	s_mov_b64 s[4:5], -1
                                        ; implicit-def: $sgpr10
	s_and_saveexec_b64 s[8:9], s[12:13]
; %bb.3806:
	s_mov_b32 s10, 0x7f800001
	s_xor_b64 s[4:5], exec, -1
; %bb.3807:
	s_or_b64 exec, exec, s[8:9]
	s_and_b64 s[4:5], s[4:5], exec
	s_or_saveexec_b64 s[6:7], s[6:7]
	v_mov_b32_e32 v3, s10
	s_xor_b64 exec, exec, s[6:7]
	s_cbranch_execz .LBB10_1758
.LBB10_3808:
	v_mov_b32_e32 v3, 0
	v_cmp_ne_u16_sdwa s[8:9], v4, v3 src0_sel:BYTE_3 src1_sel:DWORD
	s_andn2_b64 s[4:5], s[4:5], exec
	s_and_b64 s[8:9], s[8:9], exec
	s_or_b64 s[4:5], s[4:5], s[8:9]
	s_or_b64 exec, exec, s[6:7]
	s_and_saveexec_b64 s[6:7], s[4:5]
	s_cbranch_execnz .LBB10_1759
	s_branch .LBB10_1760
.LBB10_3809:
	s_movk_i32 s4, 0x80
	v_cmp_eq_u16_sdwa s[12:13], v9, s4 src0_sel:BYTE_0 src1_sel:DWORD
	s_mov_b64 s[4:5], -1
                                        ; implicit-def: $sgpr10
	s_and_saveexec_b64 s[8:9], s[12:13]
; %bb.3810:
	s_mov_b32 s10, 0x7f800001
	s_xor_b64 s[4:5], exec, -1
; %bb.3811:
	s_or_b64 exec, exec, s[8:9]
	s_and_b64 s[4:5], s[4:5], exec
	s_or_saveexec_b64 s[6:7], s[6:7]
	v_mov_b32_e32 v2, s10
	s_xor_b64 exec, exec, s[6:7]
	s_cbranch_execz .LBB10_1762
.LBB10_3812:
	v_mov_b32_e32 v2, 0
	v_cmp_ne_u16_sdwa s[8:9], v9, v2 src0_sel:BYTE_0 src1_sel:DWORD
	s_andn2_b64 s[4:5], s[4:5], exec
	s_and_b64 s[8:9], s[8:9], exec
	s_or_b64 s[4:5], s[4:5], s[8:9]
	s_or_b64 exec, exec, s[6:7]
	s_and_saveexec_b64 s[6:7], s[4:5]
	s_cbranch_execnz .LBB10_1763
	s_branch .LBB10_1764
.LBB10_3813:
	s_movk_i32 s4, 0x80
	v_cmp_eq_u16_sdwa s[12:13], v5, s4 src0_sel:BYTE_0 src1_sel:DWORD
	s_mov_b64 s[4:5], -1
                                        ; implicit-def: $sgpr10
	s_and_saveexec_b64 s[8:9], s[12:13]
; %bb.3814:
	s_mov_b32 s10, 0x7f800001
	s_xor_b64 s[4:5], exec, -1
; %bb.3815:
	s_or_b64 exec, exec, s[8:9]
	s_and_b64 s[4:5], s[4:5], exec
	s_or_saveexec_b64 s[6:7], s[6:7]
	v_mov_b32_e32 v3, s10
	s_xor_b64 exec, exec, s[6:7]
	s_cbranch_execz .LBB10_1766
.LBB10_3816:
	v_mov_b32_e32 v3, 0
	v_cmp_ne_u16_sdwa s[8:9], v5, v3 src0_sel:BYTE_0 src1_sel:DWORD
	s_andn2_b64 s[4:5], s[4:5], exec
	s_and_b64 s[8:9], s[8:9], exec
	s_or_b64 s[4:5], s[4:5], s[8:9]
	s_or_b64 exec, exec, s[6:7]
	s_and_saveexec_b64 s[6:7], s[4:5]
	s_cbranch_execnz .LBB10_1767
	s_branch .LBB10_1768
.LBB10_3817:
	s_movk_i32 s4, 0x80
	v_cmp_eq_u16_sdwa s[12:13], v3, s4 src0_sel:BYTE_0 src1_sel:DWORD
	s_mov_b64 s[4:5], -1
                                        ; implicit-def: $sgpr10
	s_and_saveexec_b64 s[8:9], s[12:13]
; %bb.3818:
	s_mov_b32 s10, 0x7f800001
	s_xor_b64 s[4:5], exec, -1
; %bb.3819:
	s_or_b64 exec, exec, s[8:9]
	s_and_b64 s[4:5], s[4:5], exec
	s_or_saveexec_b64 s[6:7], s[6:7]
	v_mov_b32_e32 v2, s10
	s_xor_b64 exec, exec, s[6:7]
	s_cbranch_execz .LBB10_1770
.LBB10_3820:
	v_mov_b32_e32 v2, 0
	v_cmp_ne_u16_sdwa s[8:9], v3, v2 src0_sel:BYTE_0 src1_sel:DWORD
	s_andn2_b64 s[4:5], s[4:5], exec
	s_and_b64 s[8:9], s[8:9], exec
	s_or_b64 s[4:5], s[4:5], s[8:9]
	s_or_b64 exec, exec, s[6:7]
	s_and_saveexec_b64 s[6:7], s[4:5]
	s_cbranch_execnz .LBB10_1771
	s_branch .LBB10_1772
.LBB10_3821:
	s_movk_i32 s4, 0x80
	v_cmp_eq_u16_sdwa s[12:13], v3, s4 src0_sel:BYTE_0 src1_sel:DWORD
	s_mov_b64 s[4:5], -1
                                        ; implicit-def: $sgpr10
	s_and_saveexec_b64 s[8:9], s[12:13]
; %bb.3822:
	s_mov_b32 s10, 0x7f800001
	s_xor_b64 s[4:5], exec, -1
; %bb.3823:
	s_or_b64 exec, exec, s[8:9]
	s_and_b64 s[4:5], s[4:5], exec
	s_or_saveexec_b64 s[6:7], s[6:7]
	v_mov_b32_e32 v4, s10
	s_xor_b64 exec, exec, s[6:7]
	s_cbranch_execz .LBB10_1774
.LBB10_3824:
	v_mov_b32_e32 v4, 0
	v_cmp_ne_u16_sdwa s[8:9], v3, v4 src0_sel:BYTE_0 src1_sel:DWORD
	s_andn2_b64 s[4:5], s[4:5], exec
	s_and_b64 s[8:9], s[8:9], exec
	s_or_b64 s[4:5], s[4:5], s[8:9]
	s_or_b64 exec, exec, s[6:7]
	s_and_saveexec_b64 s[6:7], s[4:5]
	s_cbranch_execnz .LBB10_1775
	s_branch .LBB10_1776
.LBB10_3825:
	s_movk_i32 s4, 0x80
	v_cmp_eq_u16_e32 vcc, s4, v3
	s_mov_b64 s[4:5], -1
                                        ; implicit-def: $sgpr10
	s_and_saveexec_b64 s[8:9], vcc
; %bb.3826:
	s_mov_b32 s10, 0x7f800001
	s_xor_b64 s[4:5], exec, -1
; %bb.3827:
	s_or_b64 exec, exec, s[8:9]
	s_and_b64 s[4:5], s[4:5], exec
                                        ; implicit-def: $vgpr3
	s_or_saveexec_b64 s[6:7], s[6:7]
	v_mov_b32_e32 v2, s10
	s_xor_b64 exec, exec, s[6:7]
	s_cbranch_execz .LBB10_1778
.LBB10_3828:
	v_cmp_ne_u16_e32 vcc, 0, v3
	s_andn2_b64 s[4:5], s[4:5], exec
	s_and_b64 s[8:9], vcc, exec
	v_mov_b32_e32 v2, 0
	s_or_b64 s[4:5], s[4:5], s[8:9]
	s_or_b64 exec, exec, s[6:7]
	s_and_saveexec_b64 s[6:7], s[4:5]
	s_cbranch_execnz .LBB10_1779
	s_branch .LBB10_1780
.LBB10_3829:
	s_movk_i32 s4, 0x80
	v_cmp_eq_u16_e32 vcc, s4, v3
	s_mov_b64 s[4:5], -1
                                        ; implicit-def: $sgpr10
	s_and_saveexec_b64 s[8:9], vcc
; %bb.3830:
	s_mov_b32 s10, 0x7f800001
	s_xor_b64 s[4:5], exec, -1
; %bb.3831:
	s_or_b64 exec, exec, s[8:9]
	s_and_b64 s[4:5], s[4:5], exec
                                        ; implicit-def: $vgpr3
	s_or_saveexec_b64 s[6:7], s[6:7]
	v_mov_b32_e32 v4, s10
	s_xor_b64 exec, exec, s[6:7]
	s_cbranch_execz .LBB10_1782
.LBB10_3832:
	v_cmp_ne_u16_e32 vcc, 0, v3
	s_andn2_b64 s[4:5], s[4:5], exec
	s_and_b64 s[8:9], vcc, exec
	v_mov_b32_e32 v4, 0
	s_or_b64 s[4:5], s[4:5], s[8:9]
	s_or_b64 exec, exec, s[6:7]
	s_and_saveexec_b64 s[6:7], s[4:5]
	s_cbranch_execnz .LBB10_1783
	s_branch .LBB10_1784
.LBB10_3833:
	s_movk_i32 s4, 0x80
	v_cmp_eq_u16_sdwa s[12:13], v9, s4 src0_sel:BYTE_3 src1_sel:DWORD
	s_mov_b64 s[4:5], -1
                                        ; implicit-def: $sgpr10
	s_and_saveexec_b64 s[8:9], s[12:13]
; %bb.3834:
	s_mov_b32 s10, 0x7f800001
	s_xor_b64 s[4:5], exec, -1
; %bb.3835:
	s_or_b64 exec, exec, s[8:9]
	s_and_b64 s[4:5], s[4:5], exec
	s_or_saveexec_b64 s[6:7], s[6:7]
	v_mov_b32_e32 v2, s10
	s_xor_b64 exec, exec, s[6:7]
	s_cbranch_execz .LBB10_1786
.LBB10_3836:
	v_mov_b32_e32 v2, 0
	v_cmp_ne_u16_sdwa s[8:9], v9, v2 src0_sel:BYTE_3 src1_sel:DWORD
	s_andn2_b64 s[4:5], s[4:5], exec
	s_and_b64 s[8:9], s[8:9], exec
	s_or_b64 s[4:5], s[4:5], s[8:9]
	s_or_b64 exec, exec, s[6:7]
	s_and_saveexec_b64 s[6:7], s[4:5]
	s_cbranch_execnz .LBB10_1787
	s_branch .LBB10_1788
.LBB10_3837:
	s_movk_i32 s4, 0x80
	v_cmp_eq_u16_sdwa s[12:13], v5, s4 src0_sel:BYTE_3 src1_sel:DWORD
	s_mov_b64 s[4:5], -1
                                        ; implicit-def: $sgpr10
	s_and_saveexec_b64 s[8:9], s[12:13]
; %bb.3838:
	s_mov_b32 s10, 0x7f800001
	s_xor_b64 s[4:5], exec, -1
; %bb.3839:
	s_or_b64 exec, exec, s[8:9]
	s_and_b64 s[4:5], s[4:5], exec
	s_or_saveexec_b64 s[6:7], s[6:7]
	v_mov_b32_e32 v3, s10
	s_xor_b64 exec, exec, s[6:7]
	s_cbranch_execz .LBB10_1790
.LBB10_3840:
	v_mov_b32_e32 v3, 0
	v_cmp_ne_u16_sdwa s[8:9], v5, v3 src0_sel:BYTE_3 src1_sel:DWORD
	s_andn2_b64 s[4:5], s[4:5], exec
	s_and_b64 s[8:9], s[8:9], exec
	s_or_b64 s[4:5], s[4:5], s[8:9]
	s_or_b64 exec, exec, s[6:7]
	s_and_saveexec_b64 s[6:7], s[4:5]
	s_cbranch_execnz .LBB10_1791
	s_branch .LBB10_1792
.LBB10_3841:
	s_movk_i32 s4, 0x80
	v_cmp_eq_u16_sdwa s[12:13], v12, s4 src0_sel:BYTE_0 src1_sel:DWORD
	s_mov_b64 s[4:5], -1
                                        ; implicit-def: $sgpr10
	s_and_saveexec_b64 s[8:9], s[12:13]
; %bb.3842:
	s_mov_b32 s10, 0x7f800001
	s_xor_b64 s[4:5], exec, -1
; %bb.3843:
	s_or_b64 exec, exec, s[8:9]
	s_and_b64 s[4:5], s[4:5], exec
	s_or_saveexec_b64 s[6:7], s[6:7]
	v_mov_b32_e32 v18, s10
	s_xor_b64 exec, exec, s[6:7]
	s_cbranch_execz .LBB10_1794
.LBB10_3844:
	v_mov_b32_e32 v18, 0
	v_cmp_ne_u16_sdwa s[8:9], v12, v18 src0_sel:BYTE_0 src1_sel:DWORD
	s_andn2_b64 s[4:5], s[4:5], exec
	s_and_b64 s[8:9], s[8:9], exec
	s_or_b64 s[4:5], s[4:5], s[8:9]
	s_or_b64 exec, exec, s[6:7]
	s_and_saveexec_b64 s[6:7], s[4:5]
	s_cbranch_execnz .LBB10_1795
	s_branch .LBB10_1796
.LBB10_3845:
	s_movk_i32 s4, 0x80
	v_cmp_eq_u16_sdwa s[12:13], v8, s4 src0_sel:BYTE_0 src1_sel:DWORD
	s_mov_b64 s[4:5], -1
                                        ; implicit-def: $sgpr10
	s_and_saveexec_b64 s[8:9], s[12:13]
; %bb.3846:
	s_mov_b32 s10, 0x7f800001
	s_xor_b64 s[4:5], exec, -1
; %bb.3847:
	s_or_b64 exec, exec, s[8:9]
	s_and_b64 s[4:5], s[4:5], exec
	s_or_saveexec_b64 s[6:7], s[6:7]
	v_mov_b32_e32 v19, s10
	s_xor_b64 exec, exec, s[6:7]
	s_cbranch_execz .LBB10_1798
.LBB10_3848:
	v_mov_b32_e32 v19, 0
	v_cmp_ne_u16_sdwa s[8:9], v8, v19 src0_sel:BYTE_0 src1_sel:DWORD
	s_andn2_b64 s[4:5], s[4:5], exec
	s_and_b64 s[8:9], s[8:9], exec
	s_or_b64 s[4:5], s[4:5], s[8:9]
	s_or_b64 exec, exec, s[6:7]
	s_and_saveexec_b64 s[6:7], s[4:5]
	s_cbranch_execnz .LBB10_1799
	s_branch .LBB10_1800
.LBB10_3849:
	s_movk_i32 s4, 0x80
	v_cmp_eq_u16_sdwa s[12:13], v19, s4 src0_sel:BYTE_0 src1_sel:DWORD
	s_mov_b64 s[4:5], -1
                                        ; implicit-def: $sgpr10
	s_and_saveexec_b64 s[8:9], s[12:13]
; %bb.3850:
	s_mov_b32 s10, 0x7f800001
	s_xor_b64 s[4:5], exec, -1
; %bb.3851:
	s_or_b64 exec, exec, s[8:9]
	s_and_b64 s[4:5], s[4:5], exec
	s_or_saveexec_b64 s[6:7], s[6:7]
	v_mov_b32_e32 v18, s10
	s_xor_b64 exec, exec, s[6:7]
	s_cbranch_execz .LBB10_1802
.LBB10_3852:
	v_mov_b32_e32 v18, 0
	v_cmp_ne_u16_sdwa s[8:9], v19, v18 src0_sel:BYTE_0 src1_sel:DWORD
	s_andn2_b64 s[4:5], s[4:5], exec
	s_and_b64 s[8:9], s[8:9], exec
	s_or_b64 s[4:5], s[4:5], s[8:9]
	s_or_b64 exec, exec, s[6:7]
	s_and_saveexec_b64 s[6:7], s[4:5]
	s_cbranch_execnz .LBB10_1803
	s_branch .LBB10_1804
.LBB10_3853:
	s_movk_i32 s4, 0x80
	v_cmp_eq_u16_sdwa s[12:13], v19, s4 src0_sel:BYTE_0 src1_sel:DWORD
	s_mov_b64 s[4:5], -1
                                        ; implicit-def: $sgpr10
	s_and_saveexec_b64 s[8:9], s[12:13]
; %bb.3854:
	s_mov_b32 s10, 0x7f800001
	s_xor_b64 s[4:5], exec, -1
; %bb.3855:
	s_or_b64 exec, exec, s[8:9]
	s_and_b64 s[4:5], s[4:5], exec
	s_or_saveexec_b64 s[6:7], s[6:7]
	v_mov_b32_e32 v20, s10
	s_xor_b64 exec, exec, s[6:7]
	s_cbranch_execz .LBB10_1806
.LBB10_3856:
	v_mov_b32_e32 v20, 0
	v_cmp_ne_u16_sdwa s[8:9], v19, v20 src0_sel:BYTE_0 src1_sel:DWORD
	s_andn2_b64 s[4:5], s[4:5], exec
	s_and_b64 s[8:9], s[8:9], exec
	s_or_b64 s[4:5], s[4:5], s[8:9]
	s_or_b64 exec, exec, s[6:7]
	s_and_saveexec_b64 s[6:7], s[4:5]
	s_cbranch_execnz .LBB10_1807
	s_branch .LBB10_1808
.LBB10_3857:
	s_movk_i32 s4, 0x80
	v_cmp_eq_u16_e32 vcc, s4, v19
	s_mov_b64 s[4:5], -1
                                        ; implicit-def: $sgpr10
	s_and_saveexec_b64 s[8:9], vcc
; %bb.3858:
	s_mov_b32 s10, 0x7f800001
	s_xor_b64 s[4:5], exec, -1
; %bb.3859:
	s_or_b64 exec, exec, s[8:9]
	s_and_b64 s[4:5], s[4:5], exec
                                        ; implicit-def: $vgpr19
	s_or_saveexec_b64 s[6:7], s[6:7]
	v_mov_b32_e32 v18, s10
	s_xor_b64 exec, exec, s[6:7]
	s_cbranch_execz .LBB10_1810
.LBB10_3860:
	v_cmp_ne_u16_e32 vcc, 0, v19
	s_andn2_b64 s[4:5], s[4:5], exec
	s_and_b64 s[8:9], vcc, exec
	v_mov_b32_e32 v18, 0
	s_or_b64 s[4:5], s[4:5], s[8:9]
	s_or_b64 exec, exec, s[6:7]
	s_and_saveexec_b64 s[6:7], s[4:5]
	s_cbranch_execnz .LBB10_1811
	s_branch .LBB10_1812
.LBB10_3861:
	s_movk_i32 s4, 0x80
	v_cmp_eq_u16_e32 vcc, s4, v19
	s_mov_b64 s[4:5], -1
                                        ; implicit-def: $sgpr10
	s_and_saveexec_b64 s[8:9], vcc
; %bb.3862:
	s_mov_b32 s10, 0x7f800001
	s_xor_b64 s[4:5], exec, -1
; %bb.3863:
	s_or_b64 exec, exec, s[8:9]
	s_and_b64 s[4:5], s[4:5], exec
                                        ; implicit-def: $vgpr19
	s_or_saveexec_b64 s[6:7], s[6:7]
	v_mov_b32_e32 v20, s10
	s_xor_b64 exec, exec, s[6:7]
	s_cbranch_execz .LBB10_1814
.LBB10_3864:
	v_cmp_ne_u16_e32 vcc, 0, v19
	s_andn2_b64 s[4:5], s[4:5], exec
	s_and_b64 s[8:9], vcc, exec
	v_mov_b32_e32 v20, 0
	s_or_b64 s[4:5], s[4:5], s[8:9]
	s_or_b64 exec, exec, s[6:7]
	s_and_saveexec_b64 s[6:7], s[4:5]
	s_cbranch_execnz .LBB10_1815
	s_branch .LBB10_1816
.LBB10_3865:
	s_movk_i32 s4, 0x80
	v_cmp_eq_u16_sdwa s[12:13], v12, s4 src0_sel:BYTE_3 src1_sel:DWORD
	s_mov_b64 s[4:5], -1
                                        ; implicit-def: $sgpr10
	s_and_saveexec_b64 s[8:9], s[12:13]
; %bb.3866:
	s_mov_b32 s10, 0x7f800001
	s_xor_b64 s[4:5], exec, -1
; %bb.3867:
	s_or_b64 exec, exec, s[8:9]
	s_and_b64 s[4:5], s[4:5], exec
	s_or_saveexec_b64 s[6:7], s[6:7]
	v_mov_b32_e32 v18, s10
	s_xor_b64 exec, exec, s[6:7]
	s_cbranch_execz .LBB10_1818
.LBB10_3868:
	v_mov_b32_e32 v18, 0
	v_cmp_ne_u16_sdwa s[8:9], v12, v18 src0_sel:BYTE_3 src1_sel:DWORD
	s_andn2_b64 s[4:5], s[4:5], exec
	s_and_b64 s[8:9], s[8:9], exec
	s_or_b64 s[4:5], s[4:5], s[8:9]
	s_or_b64 exec, exec, s[6:7]
	s_and_saveexec_b64 s[6:7], s[4:5]
	s_cbranch_execnz .LBB10_1819
	s_branch .LBB10_1820
.LBB10_3869:
	s_movk_i32 s4, 0x80
	v_cmp_eq_u16_sdwa s[12:13], v8, s4 src0_sel:BYTE_3 src1_sel:DWORD
	s_mov_b64 s[4:5], -1
                                        ; implicit-def: $sgpr10
	s_and_saveexec_b64 s[8:9], s[12:13]
; %bb.3870:
	s_mov_b32 s10, 0x7f800001
	s_xor_b64 s[4:5], exec, -1
; %bb.3871:
	s_or_b64 exec, exec, s[8:9]
	s_and_b64 s[4:5], s[4:5], exec
	s_or_saveexec_b64 s[6:7], s[6:7]
	v_mov_b32_e32 v12, s10
	s_xor_b64 exec, exec, s[6:7]
	s_cbranch_execz .LBB10_1822
.LBB10_3872:
	v_mov_b32_e32 v12, 0
	v_cmp_ne_u16_sdwa s[8:9], v8, v12 src0_sel:BYTE_3 src1_sel:DWORD
	s_andn2_b64 s[4:5], s[4:5], exec
	s_and_b64 s[8:9], s[8:9], exec
	s_or_b64 s[4:5], s[4:5], s[8:9]
	s_or_b64 exec, exec, s[6:7]
	s_and_saveexec_b64 s[6:7], s[4:5]
	s_cbranch_execnz .LBB10_1823
	s_branch .LBB10_1824
.LBB10_3873:
	s_movk_i32 s4, 0x80
	v_cmp_eq_u16_sdwa s[12:13], v13, s4 src0_sel:BYTE_0 src1_sel:DWORD
	s_mov_b64 s[4:5], -1
                                        ; implicit-def: $sgpr10
	s_and_saveexec_b64 s[8:9], s[12:13]
; %bb.3874:
	s_mov_b32 s10, 0x7f800001
	s_xor_b64 s[4:5], exec, -1
; %bb.3875:
	s_or_b64 exec, exec, s[8:9]
	s_and_b64 s[4:5], s[4:5], exec
	s_or_saveexec_b64 s[6:7], s[6:7]
	v_mov_b32_e32 v8, s10
	s_xor_b64 exec, exec, s[6:7]
	s_cbranch_execz .LBB10_1826
.LBB10_3876:
	v_mov_b32_e32 v8, 0
	v_cmp_ne_u16_sdwa s[8:9], v13, v8 src0_sel:BYTE_0 src1_sel:DWORD
	s_andn2_b64 s[4:5], s[4:5], exec
	s_and_b64 s[8:9], s[8:9], exec
	s_or_b64 s[4:5], s[4:5], s[8:9]
	s_or_b64 exec, exec, s[6:7]
	s_and_saveexec_b64 s[6:7], s[4:5]
	s_cbranch_execnz .LBB10_1827
	s_branch .LBB10_1828
.LBB10_3877:
	s_movk_i32 s4, 0x80
	v_cmp_eq_u16_sdwa s[12:13], v9, s4 src0_sel:BYTE_0 src1_sel:DWORD
	s_mov_b64 s[4:5], -1
                                        ; implicit-def: $sgpr10
	s_and_saveexec_b64 s[8:9], s[12:13]
; %bb.3878:
	s_mov_b32 s10, 0x7f800001
	s_xor_b64 s[4:5], exec, -1
; %bb.3879:
	s_or_b64 exec, exec, s[8:9]
	s_and_b64 s[4:5], s[4:5], exec
	s_or_saveexec_b64 s[6:7], s[6:7]
	v_mov_b32_e32 v12, s10
	s_xor_b64 exec, exec, s[6:7]
	s_cbranch_execz .LBB10_1830
.LBB10_3880:
	v_mov_b32_e32 v12, 0
	v_cmp_ne_u16_sdwa s[8:9], v9, v12 src0_sel:BYTE_0 src1_sel:DWORD
	s_andn2_b64 s[4:5], s[4:5], exec
	s_and_b64 s[8:9], s[8:9], exec
	s_or_b64 s[4:5], s[4:5], s[8:9]
	s_or_b64 exec, exec, s[6:7]
	s_and_saveexec_b64 s[6:7], s[4:5]
	s_cbranch_execnz .LBB10_1831
	s_branch .LBB10_1832
.LBB10_3881:
	s_movk_i32 s4, 0x80
	v_cmp_eq_u16_sdwa s[12:13], v12, s4 src0_sel:BYTE_0 src1_sel:DWORD
	s_mov_b64 s[4:5], -1
                                        ; implicit-def: $sgpr10
	s_and_saveexec_b64 s[8:9], s[12:13]
; %bb.3882:
	s_mov_b32 s10, 0x7f800001
	s_xor_b64 s[4:5], exec, -1
; %bb.3883:
	s_or_b64 exec, exec, s[8:9]
	s_and_b64 s[4:5], s[4:5], exec
	s_or_saveexec_b64 s[6:7], s[6:7]
	v_mov_b32_e32 v8, s10
	s_xor_b64 exec, exec, s[6:7]
	s_cbranch_execz .LBB10_1834
.LBB10_3884:
	v_mov_b32_e32 v8, 0
	v_cmp_ne_u16_sdwa s[8:9], v12, v8 src0_sel:BYTE_0 src1_sel:DWORD
	s_andn2_b64 s[4:5], s[4:5], exec
	s_and_b64 s[8:9], s[8:9], exec
	s_or_b64 s[4:5], s[4:5], s[8:9]
	s_or_b64 exec, exec, s[6:7]
	s_and_saveexec_b64 s[6:7], s[4:5]
	s_cbranch_execnz .LBB10_1835
	s_branch .LBB10_1836
.LBB10_3885:
	s_movk_i32 s4, 0x80
	v_cmp_eq_u16_sdwa s[12:13], v12, s4 src0_sel:BYTE_0 src1_sel:DWORD
	s_mov_b64 s[4:5], -1
                                        ; implicit-def: $sgpr10
	s_and_saveexec_b64 s[8:9], s[12:13]
; %bb.3886:
	s_mov_b32 s10, 0x7f800001
	s_xor_b64 s[4:5], exec, -1
; %bb.3887:
	s_or_b64 exec, exec, s[8:9]
	s_and_b64 s[4:5], s[4:5], exec
	s_or_saveexec_b64 s[6:7], s[6:7]
	v_mov_b32_e32 v18, s10
	s_xor_b64 exec, exec, s[6:7]
	s_cbranch_execz .LBB10_1838
.LBB10_3888:
	v_mov_b32_e32 v18, 0
	v_cmp_ne_u16_sdwa s[8:9], v12, v18 src0_sel:BYTE_0 src1_sel:DWORD
	s_andn2_b64 s[4:5], s[4:5], exec
	s_and_b64 s[8:9], s[8:9], exec
	s_or_b64 s[4:5], s[4:5], s[8:9]
	s_or_b64 exec, exec, s[6:7]
	s_and_saveexec_b64 s[6:7], s[4:5]
	s_cbranch_execnz .LBB10_1839
	s_branch .LBB10_1840
.LBB10_3889:
	s_movk_i32 s4, 0x80
	v_cmp_eq_u16_e32 vcc, s4, v12
	s_mov_b64 s[4:5], -1
                                        ; implicit-def: $sgpr10
	s_and_saveexec_b64 s[8:9], vcc
; %bb.3890:
	s_mov_b32 s10, 0x7f800001
	s_xor_b64 s[4:5], exec, -1
; %bb.3891:
	s_or_b64 exec, exec, s[8:9]
	s_and_b64 s[4:5], s[4:5], exec
                                        ; implicit-def: $vgpr12
	s_or_saveexec_b64 s[6:7], s[6:7]
	v_mov_b32_e32 v8, s10
	s_xor_b64 exec, exec, s[6:7]
	s_cbranch_execz .LBB10_1842
.LBB10_3892:
	v_cmp_ne_u16_e32 vcc, 0, v12
	s_andn2_b64 s[4:5], s[4:5], exec
	s_and_b64 s[8:9], vcc, exec
	v_mov_b32_e32 v8, 0
	s_or_b64 s[4:5], s[4:5], s[8:9]
	s_or_b64 exec, exec, s[6:7]
	s_and_saveexec_b64 s[6:7], s[4:5]
	s_cbranch_execnz .LBB10_1843
	s_branch .LBB10_1844
.LBB10_3893:
	s_movk_i32 s4, 0x80
	v_cmp_eq_u16_e32 vcc, s4, v12
	s_mov_b64 s[4:5], -1
                                        ; implicit-def: $sgpr10
	s_and_saveexec_b64 s[8:9], vcc
; %bb.3894:
	s_mov_b32 s10, 0x7f800001
	s_xor_b64 s[4:5], exec, -1
; %bb.3895:
	s_or_b64 exec, exec, s[8:9]
	s_and_b64 s[4:5], s[4:5], exec
                                        ; implicit-def: $vgpr12
	s_or_saveexec_b64 s[6:7], s[6:7]
	v_mov_b32_e32 v18, s10
	s_xor_b64 exec, exec, s[6:7]
	s_cbranch_execz .LBB10_1846
.LBB10_3896:
	v_cmp_ne_u16_e32 vcc, 0, v12
	s_andn2_b64 s[4:5], s[4:5], exec
	s_and_b64 s[8:9], vcc, exec
	v_mov_b32_e32 v18, 0
	s_or_b64 s[4:5], s[4:5], s[8:9]
	s_or_b64 exec, exec, s[6:7]
	s_and_saveexec_b64 s[6:7], s[4:5]
	s_cbranch_execnz .LBB10_1847
	s_branch .LBB10_1848
.LBB10_3897:
	s_movk_i32 s4, 0x80
	v_cmp_eq_u16_sdwa s[12:13], v13, s4 src0_sel:BYTE_3 src1_sel:DWORD
	s_mov_b64 s[4:5], -1
                                        ; implicit-def: $sgpr10
	s_and_saveexec_b64 s[8:9], s[12:13]
; %bb.3898:
	s_mov_b32 s10, 0x7f800001
	s_xor_b64 s[4:5], exec, -1
; %bb.3899:
	s_or_b64 exec, exec, s[8:9]
	s_and_b64 s[4:5], s[4:5], exec
	s_or_saveexec_b64 s[6:7], s[6:7]
	v_mov_b32_e32 v8, s10
	s_xor_b64 exec, exec, s[6:7]
	s_cbranch_execz .LBB10_1850
.LBB10_3900:
	v_mov_b32_e32 v8, 0
	v_cmp_ne_u16_sdwa s[8:9], v13, v8 src0_sel:BYTE_3 src1_sel:DWORD
	s_andn2_b64 s[4:5], s[4:5], exec
	s_and_b64 s[8:9], s[8:9], exec
	s_or_b64 s[4:5], s[4:5], s[8:9]
	s_or_b64 exec, exec, s[6:7]
	s_and_saveexec_b64 s[6:7], s[4:5]
	s_cbranch_execnz .LBB10_1851
	s_branch .LBB10_1852
.LBB10_3901:
	s_movk_i32 s4, 0x80
	v_cmp_eq_u16_sdwa s[12:13], v9, s4 src0_sel:BYTE_3 src1_sel:DWORD
	s_mov_b64 s[4:5], -1
                                        ; implicit-def: $sgpr10
	s_and_saveexec_b64 s[8:9], s[12:13]
; %bb.3902:
	s_mov_b32 s10, 0x7f800001
	s_xor_b64 s[4:5], exec, -1
; %bb.3903:
	s_or_b64 exec, exec, s[8:9]
	s_and_b64 s[4:5], s[4:5], exec
	s_or_saveexec_b64 s[6:7], s[6:7]
	v_mov_b32_e32 v12, s10
	s_xor_b64 exec, exec, s[6:7]
	s_cbranch_execz .LBB10_1854
.LBB10_3904:
	v_mov_b32_e32 v12, 0
	v_cmp_ne_u16_sdwa s[8:9], v9, v12 src0_sel:BYTE_3 src1_sel:DWORD
	s_andn2_b64 s[4:5], s[4:5], exec
	s_and_b64 s[8:9], s[8:9], exec
	s_or_b64 s[4:5], s[4:5], s[8:9]
	s_or_b64 exec, exec, s[6:7]
	s_and_saveexec_b64 s[6:7], s[4:5]
	s_cbranch_execnz .LBB10_1855
	s_branch .LBB10_1856
.LBB10_3905:
	s_movk_i32 s4, 0x80
	v_cmp_eq_u16_sdwa s[12:13], v14, s4 src0_sel:BYTE_0 src1_sel:DWORD
	s_mov_b64 s[4:5], -1
                                        ; implicit-def: $sgpr10
	s_and_saveexec_b64 s[8:9], s[12:13]
; %bb.3906:
	s_mov_b32 s10, 0x7f800001
	s_xor_b64 s[4:5], exec, -1
; %bb.3907:
	s_or_b64 exec, exec, s[8:9]
	s_and_b64 s[4:5], s[4:5], exec
	s_or_saveexec_b64 s[6:7], s[6:7]
	v_mov_b32_e32 v8, s10
	s_xor_b64 exec, exec, s[6:7]
	s_cbranch_execz .LBB10_1858
.LBB10_3908:
	v_mov_b32_e32 v8, 0
	v_cmp_ne_u16_sdwa s[8:9], v14, v8 src0_sel:BYTE_0 src1_sel:DWORD
	s_andn2_b64 s[4:5], s[4:5], exec
	s_and_b64 s[8:9], s[8:9], exec
	s_or_b64 s[4:5], s[4:5], s[8:9]
	s_or_b64 exec, exec, s[6:7]
	s_and_saveexec_b64 s[6:7], s[4:5]
	s_cbranch_execnz .LBB10_1859
	s_branch .LBB10_1860
.LBB10_3909:
	s_movk_i32 s4, 0x80
	v_cmp_eq_u16_sdwa s[12:13], v10, s4 src0_sel:BYTE_0 src1_sel:DWORD
	s_mov_b64 s[4:5], -1
                                        ; implicit-def: $sgpr10
	s_and_saveexec_b64 s[8:9], s[12:13]
; %bb.3910:
	s_mov_b32 s10, 0x7f800001
	s_xor_b64 s[4:5], exec, -1
; %bb.3911:
	s_or_b64 exec, exec, s[8:9]
	s_and_b64 s[4:5], s[4:5], exec
	s_or_saveexec_b64 s[6:7], s[6:7]
	v_mov_b32_e32 v9, s10
	s_xor_b64 exec, exec, s[6:7]
	s_cbranch_execz .LBB10_1862
.LBB10_3912:
	v_mov_b32_e32 v9, 0
	v_cmp_ne_u16_sdwa s[8:9], v10, v9 src0_sel:BYTE_0 src1_sel:DWORD
	s_andn2_b64 s[4:5], s[4:5], exec
	s_and_b64 s[8:9], s[8:9], exec
	s_or_b64 s[4:5], s[4:5], s[8:9]
	s_or_b64 exec, exec, s[6:7]
	s_and_saveexec_b64 s[6:7], s[4:5]
	s_cbranch_execnz .LBB10_1863
	s_branch .LBB10_1864
.LBB10_3913:
	s_movk_i32 s4, 0x80
	v_cmp_eq_u16_sdwa s[12:13], v9, s4 src0_sel:BYTE_0 src1_sel:DWORD
	s_mov_b64 s[4:5], -1
                                        ; implicit-def: $sgpr10
	s_and_saveexec_b64 s[8:9], s[12:13]
; %bb.3914:
	s_mov_b32 s10, 0x7f800001
	s_xor_b64 s[4:5], exec, -1
; %bb.3915:
	s_or_b64 exec, exec, s[8:9]
	s_and_b64 s[4:5], s[4:5], exec
	s_or_saveexec_b64 s[6:7], s[6:7]
	v_mov_b32_e32 v8, s10
	s_xor_b64 exec, exec, s[6:7]
	s_cbranch_execz .LBB10_1866
.LBB10_3916:
	v_mov_b32_e32 v8, 0
	v_cmp_ne_u16_sdwa s[8:9], v9, v8 src0_sel:BYTE_0 src1_sel:DWORD
	s_andn2_b64 s[4:5], s[4:5], exec
	s_and_b64 s[8:9], s[8:9], exec
	s_or_b64 s[4:5], s[4:5], s[8:9]
	s_or_b64 exec, exec, s[6:7]
	s_and_saveexec_b64 s[6:7], s[4:5]
	s_cbranch_execnz .LBB10_1867
	s_branch .LBB10_1868
.LBB10_3917:
	s_movk_i32 s4, 0x80
	v_cmp_eq_u16_sdwa s[12:13], v9, s4 src0_sel:BYTE_0 src1_sel:DWORD
	s_mov_b64 s[4:5], -1
                                        ; implicit-def: $sgpr10
	s_and_saveexec_b64 s[8:9], s[12:13]
; %bb.3918:
	s_mov_b32 s10, 0x7f800001
	s_xor_b64 s[4:5], exec, -1
; %bb.3919:
	s_or_b64 exec, exec, s[8:9]
	s_and_b64 s[4:5], s[4:5], exec
	s_or_saveexec_b64 s[6:7], s[6:7]
	v_mov_b32_e32 v12, s10
	s_xor_b64 exec, exec, s[6:7]
	s_cbranch_execz .LBB10_1870
.LBB10_3920:
	v_mov_b32_e32 v12, 0
	v_cmp_ne_u16_sdwa s[8:9], v9, v12 src0_sel:BYTE_0 src1_sel:DWORD
	s_andn2_b64 s[4:5], s[4:5], exec
	s_and_b64 s[8:9], s[8:9], exec
	s_or_b64 s[4:5], s[4:5], s[8:9]
	s_or_b64 exec, exec, s[6:7]
	s_and_saveexec_b64 s[6:7], s[4:5]
	s_cbranch_execnz .LBB10_1871
	s_branch .LBB10_1872
.LBB10_3921:
	s_movk_i32 s4, 0x80
	v_cmp_eq_u16_e32 vcc, s4, v9
	s_mov_b64 s[4:5], -1
                                        ; implicit-def: $sgpr10
	s_and_saveexec_b64 s[8:9], vcc
; %bb.3922:
	s_mov_b32 s10, 0x7f800001
	s_xor_b64 s[4:5], exec, -1
; %bb.3923:
	s_or_b64 exec, exec, s[8:9]
	s_and_b64 s[4:5], s[4:5], exec
                                        ; implicit-def: $vgpr9
	s_or_saveexec_b64 s[6:7], s[6:7]
	v_mov_b32_e32 v8, s10
	s_xor_b64 exec, exec, s[6:7]
	s_cbranch_execz .LBB10_1874
.LBB10_3924:
	v_cmp_ne_u16_e32 vcc, 0, v9
	s_andn2_b64 s[4:5], s[4:5], exec
	s_and_b64 s[8:9], vcc, exec
	v_mov_b32_e32 v8, 0
	s_or_b64 s[4:5], s[4:5], s[8:9]
	s_or_b64 exec, exec, s[6:7]
	s_and_saveexec_b64 s[6:7], s[4:5]
	s_cbranch_execnz .LBB10_1875
	s_branch .LBB10_1876
.LBB10_3925:
	s_movk_i32 s4, 0x80
	v_cmp_eq_u16_e32 vcc, s4, v9
	s_mov_b64 s[4:5], -1
                                        ; implicit-def: $sgpr10
	s_and_saveexec_b64 s[8:9], vcc
; %bb.3926:
	s_mov_b32 s10, 0x7f800001
	s_xor_b64 s[4:5], exec, -1
; %bb.3927:
	s_or_b64 exec, exec, s[8:9]
	s_and_b64 s[4:5], s[4:5], exec
                                        ; implicit-def: $vgpr9
	s_or_saveexec_b64 s[6:7], s[6:7]
	v_mov_b32_e32 v12, s10
	s_xor_b64 exec, exec, s[6:7]
	s_cbranch_execz .LBB10_1878
.LBB10_3928:
	v_cmp_ne_u16_e32 vcc, 0, v9
	s_andn2_b64 s[4:5], s[4:5], exec
	s_and_b64 s[8:9], vcc, exec
	v_mov_b32_e32 v12, 0
	s_or_b64 s[4:5], s[4:5], s[8:9]
	s_or_b64 exec, exec, s[6:7]
	s_and_saveexec_b64 s[6:7], s[4:5]
	s_cbranch_execnz .LBB10_1879
	s_branch .LBB10_1880
.LBB10_3929:
	s_movk_i32 s4, 0x80
	v_cmp_eq_u16_sdwa s[12:13], v14, s4 src0_sel:BYTE_3 src1_sel:DWORD
	s_mov_b64 s[4:5], -1
                                        ; implicit-def: $sgpr10
	s_and_saveexec_b64 s[8:9], s[12:13]
; %bb.3930:
	s_mov_b32 s10, 0x7f800001
	s_xor_b64 s[4:5], exec, -1
; %bb.3931:
	s_or_b64 exec, exec, s[8:9]
	s_and_b64 s[4:5], s[4:5], exec
	s_or_saveexec_b64 s[6:7], s[6:7]
	v_mov_b32_e32 v8, s10
	s_xor_b64 exec, exec, s[6:7]
	s_cbranch_execz .LBB10_1882
.LBB10_3932:
	v_mov_b32_e32 v8, 0
	v_cmp_ne_u16_sdwa s[8:9], v14, v8 src0_sel:BYTE_3 src1_sel:DWORD
	s_andn2_b64 s[4:5], s[4:5], exec
	s_and_b64 s[8:9], s[8:9], exec
	s_or_b64 s[4:5], s[4:5], s[8:9]
	s_or_b64 exec, exec, s[6:7]
	s_and_saveexec_b64 s[6:7], s[4:5]
	s_cbranch_execnz .LBB10_1883
	s_branch .LBB10_1884
.LBB10_3933:
	s_movk_i32 s4, 0x80
	v_cmp_eq_u16_sdwa s[12:13], v10, s4 src0_sel:BYTE_3 src1_sel:DWORD
	s_mov_b64 s[4:5], -1
                                        ; implicit-def: $sgpr10
	s_and_saveexec_b64 s[8:9], s[12:13]
; %bb.3934:
	s_mov_b32 s10, 0x7f800001
	s_xor_b64 s[4:5], exec, -1
; %bb.3935:
	s_or_b64 exec, exec, s[8:9]
	s_and_b64 s[4:5], s[4:5], exec
	s_or_saveexec_b64 s[6:7], s[6:7]
	v_mov_b32_e32 v9, s10
	s_xor_b64 exec, exec, s[6:7]
	s_cbranch_execz .LBB10_1886
.LBB10_3936:
	v_mov_b32_e32 v9, 0
	v_cmp_ne_u16_sdwa s[8:9], v10, v9 src0_sel:BYTE_3 src1_sel:DWORD
	s_andn2_b64 s[4:5], s[4:5], exec
	s_and_b64 s[8:9], s[8:9], exec
	s_or_b64 s[4:5], s[4:5], s[8:9]
	s_or_b64 exec, exec, s[6:7]
	s_and_saveexec_b64 s[6:7], s[4:5]
	s_cbranch_execnz .LBB10_1887
	s_branch .LBB10_1888
.LBB10_3937:
	s_movk_i32 s4, 0x80
	v_cmp_eq_u16_sdwa s[12:13], v15, s4 src0_sel:BYTE_0 src1_sel:DWORD
	s_mov_b64 s[4:5], -1
                                        ; implicit-def: $sgpr10
	s_and_saveexec_b64 s[8:9], s[12:13]
; %bb.3938:
	s_mov_b32 s10, 0x7f800001
	s_xor_b64 s[4:5], exec, -1
; %bb.3939:
	s_or_b64 exec, exec, s[8:9]
	s_and_b64 s[4:5], s[4:5], exec
	s_or_saveexec_b64 s[6:7], s[6:7]
	v_mov_b32_e32 v8, s10
	s_xor_b64 exec, exec, s[6:7]
	s_cbranch_execz .LBB10_1890
.LBB10_3940:
	v_mov_b32_e32 v8, 0
	v_cmp_ne_u16_sdwa s[8:9], v15, v8 src0_sel:BYTE_0 src1_sel:DWORD
	s_andn2_b64 s[4:5], s[4:5], exec
	s_and_b64 s[8:9], s[8:9], exec
	s_or_b64 s[4:5], s[4:5], s[8:9]
	s_or_b64 exec, exec, s[6:7]
	s_and_saveexec_b64 s[6:7], s[4:5]
	s_cbranch_execnz .LBB10_1891
	s_branch .LBB10_1892
.LBB10_3941:
	s_movk_i32 s4, 0x80
	v_cmp_eq_u16_sdwa s[12:13], v11, s4 src0_sel:BYTE_0 src1_sel:DWORD
	s_mov_b64 s[4:5], -1
                                        ; implicit-def: $sgpr10
	s_and_saveexec_b64 s[8:9], s[12:13]
; %bb.3942:
	s_mov_b32 s10, 0x7f800001
	s_xor_b64 s[4:5], exec, -1
; %bb.3943:
	s_or_b64 exec, exec, s[8:9]
	s_and_b64 s[4:5], s[4:5], exec
	s_or_saveexec_b64 s[6:7], s[6:7]
	v_mov_b32_e32 v9, s10
	s_xor_b64 exec, exec, s[6:7]
	s_cbranch_execz .LBB10_1894
.LBB10_3944:
	v_mov_b32_e32 v9, 0
	v_cmp_ne_u16_sdwa s[8:9], v11, v9 src0_sel:BYTE_0 src1_sel:DWORD
	s_andn2_b64 s[4:5], s[4:5], exec
	s_and_b64 s[8:9], s[8:9], exec
	s_or_b64 s[4:5], s[4:5], s[8:9]
	s_or_b64 exec, exec, s[6:7]
	s_and_saveexec_b64 s[6:7], s[4:5]
	s_cbranch_execnz .LBB10_1895
	s_branch .LBB10_1896
.LBB10_3945:
	s_movk_i32 s4, 0x80
	v_cmp_eq_u16_sdwa s[12:13], v9, s4 src0_sel:BYTE_0 src1_sel:DWORD
	s_mov_b64 s[4:5], -1
                                        ; implicit-def: $sgpr10
	s_and_saveexec_b64 s[8:9], s[12:13]
; %bb.3946:
	s_mov_b32 s10, 0x7f800001
	s_xor_b64 s[4:5], exec, -1
; %bb.3947:
	s_or_b64 exec, exec, s[8:9]
	s_and_b64 s[4:5], s[4:5], exec
	s_or_saveexec_b64 s[6:7], s[6:7]
	v_mov_b32_e32 v8, s10
	s_xor_b64 exec, exec, s[6:7]
	s_cbranch_execz .LBB10_1898
.LBB10_3948:
	v_mov_b32_e32 v8, 0
	v_cmp_ne_u16_sdwa s[8:9], v9, v8 src0_sel:BYTE_0 src1_sel:DWORD
	s_andn2_b64 s[4:5], s[4:5], exec
	s_and_b64 s[8:9], s[8:9], exec
	s_or_b64 s[4:5], s[4:5], s[8:9]
	s_or_b64 exec, exec, s[6:7]
	s_and_saveexec_b64 s[6:7], s[4:5]
	s_cbranch_execnz .LBB10_1899
	s_branch .LBB10_1900
.LBB10_3949:
	s_movk_i32 s4, 0x80
	v_cmp_eq_u16_sdwa s[12:13], v9, s4 src0_sel:BYTE_0 src1_sel:DWORD
	s_mov_b64 s[4:5], -1
                                        ; implicit-def: $sgpr10
	s_and_saveexec_b64 s[8:9], s[12:13]
; %bb.3950:
	s_mov_b32 s10, 0x7f800001
	s_xor_b64 s[4:5], exec, -1
; %bb.3951:
	s_or_b64 exec, exec, s[8:9]
	s_and_b64 s[4:5], s[4:5], exec
	s_or_saveexec_b64 s[6:7], s[6:7]
	v_mov_b32_e32 v10, s10
	s_xor_b64 exec, exec, s[6:7]
	s_cbranch_execz .LBB10_1902
.LBB10_3952:
	v_mov_b32_e32 v10, 0
	v_cmp_ne_u16_sdwa s[8:9], v9, v10 src0_sel:BYTE_0 src1_sel:DWORD
	s_andn2_b64 s[4:5], s[4:5], exec
	s_and_b64 s[8:9], s[8:9], exec
	s_or_b64 s[4:5], s[4:5], s[8:9]
	s_or_b64 exec, exec, s[6:7]
	s_and_saveexec_b64 s[6:7], s[4:5]
	s_cbranch_execnz .LBB10_1903
	s_branch .LBB10_1904
.LBB10_3953:
	s_movk_i32 s4, 0x80
	v_cmp_eq_u16_e32 vcc, s4, v9
	s_mov_b64 s[4:5], -1
                                        ; implicit-def: $sgpr10
	s_and_saveexec_b64 s[8:9], vcc
; %bb.3954:
	s_mov_b32 s10, 0x7f800001
	s_xor_b64 s[4:5], exec, -1
; %bb.3955:
	s_or_b64 exec, exec, s[8:9]
	s_and_b64 s[4:5], s[4:5], exec
                                        ; implicit-def: $vgpr9
	s_or_saveexec_b64 s[6:7], s[6:7]
	v_mov_b32_e32 v8, s10
	s_xor_b64 exec, exec, s[6:7]
	s_cbranch_execz .LBB10_1906
.LBB10_3956:
	v_cmp_ne_u16_e32 vcc, 0, v9
	s_andn2_b64 s[4:5], s[4:5], exec
	s_and_b64 s[8:9], vcc, exec
	v_mov_b32_e32 v8, 0
	s_or_b64 s[4:5], s[4:5], s[8:9]
	s_or_b64 exec, exec, s[6:7]
	s_and_saveexec_b64 s[6:7], s[4:5]
	s_cbranch_execnz .LBB10_1907
	s_branch .LBB10_1908
.LBB10_3957:
	s_movk_i32 s4, 0x80
	v_cmp_eq_u16_e32 vcc, s4, v9
	s_mov_b64 s[4:5], -1
                                        ; implicit-def: $sgpr10
	s_and_saveexec_b64 s[8:9], vcc
; %bb.3958:
	s_mov_b32 s10, 0x7f800001
	s_xor_b64 s[4:5], exec, -1
; %bb.3959:
	s_or_b64 exec, exec, s[8:9]
	s_and_b64 s[4:5], s[4:5], exec
                                        ; implicit-def: $vgpr9
	s_or_saveexec_b64 s[6:7], s[6:7]
	v_mov_b32_e32 v10, s10
	s_xor_b64 exec, exec, s[6:7]
	s_cbranch_execz .LBB10_1910
.LBB10_3960:
	v_cmp_ne_u16_e32 vcc, 0, v9
	s_andn2_b64 s[4:5], s[4:5], exec
	s_and_b64 s[8:9], vcc, exec
	v_mov_b32_e32 v10, 0
	s_or_b64 s[4:5], s[4:5], s[8:9]
	s_or_b64 exec, exec, s[6:7]
	s_and_saveexec_b64 s[6:7], s[4:5]
	s_cbranch_execnz .LBB10_1911
	s_branch .LBB10_1912
.LBB10_3961:
	s_movk_i32 s4, 0x80
	v_cmp_eq_u16_sdwa s[12:13], v15, s4 src0_sel:BYTE_3 src1_sel:DWORD
	s_mov_b64 s[4:5], -1
                                        ; implicit-def: $sgpr10
	s_and_saveexec_b64 s[8:9], s[12:13]
; %bb.3962:
	s_mov_b32 s10, 0x7f800001
	s_xor_b64 s[4:5], exec, -1
; %bb.3963:
	s_or_b64 exec, exec, s[8:9]
	s_and_b64 s[4:5], s[4:5], exec
	s_or_saveexec_b64 s[6:7], s[6:7]
	v_mov_b32_e32 v8, s10
	s_xor_b64 exec, exec, s[6:7]
	s_cbranch_execz .LBB10_1914
.LBB10_3964:
	v_mov_b32_e32 v8, 0
	v_cmp_ne_u16_sdwa s[8:9], v15, v8 src0_sel:BYTE_3 src1_sel:DWORD
	s_andn2_b64 s[4:5], s[4:5], exec
	s_and_b64 s[8:9], s[8:9], exec
	s_or_b64 s[4:5], s[4:5], s[8:9]
	s_or_b64 exec, exec, s[6:7]
	s_and_saveexec_b64 s[6:7], s[4:5]
	s_cbranch_execnz .LBB10_1915
	s_branch .LBB10_1916
.LBB10_3965:
	s_movk_i32 s4, 0x80
	v_cmp_eq_u16_sdwa s[12:13], v11, s4 src0_sel:BYTE_3 src1_sel:DWORD
	s_mov_b64 s[4:5], -1
                                        ; implicit-def: $sgpr10
	s_and_saveexec_b64 s[8:9], s[12:13]
; %bb.3966:
	s_mov_b32 s10, 0x7f800001
	s_xor_b64 s[4:5], exec, -1
; %bb.3967:
	s_or_b64 exec, exec, s[8:9]
	s_and_b64 s[4:5], s[4:5], exec
	s_or_saveexec_b64 s[6:7], s[6:7]
	v_mov_b32_e32 v9, s10
	s_xor_b64 exec, exec, s[6:7]
	s_cbranch_execz .LBB10_1918
.LBB10_3968:
	v_mov_b32_e32 v9, 0
	v_cmp_ne_u16_sdwa s[8:9], v11, v9 src0_sel:BYTE_3 src1_sel:DWORD
	s_andn2_b64 s[4:5], s[4:5], exec
	s_and_b64 s[8:9], s[8:9], exec
	s_or_b64 s[4:5], s[4:5], s[8:9]
	s_or_b64 exec, exec, s[6:7]
	s_and_saveexec_b64 s[6:7], s[4:5]
	s_cbranch_execnz .LBB10_1919
	s_branch .LBB10_1920
.LBB10_3969:
	s_movk_i32 s4, 0x80
	v_cmp_eq_u16_sdwa s[12:13], v4, s4 src0_sel:BYTE_0 src1_sel:DWORD
	s_mov_b64 s[4:5], -1
                                        ; implicit-def: $sgpr10
	s_and_saveexec_b64 s[8:9], s[12:13]
; %bb.3970:
	s_mov_b32 s10, 0x7f800001
	s_xor_b64 s[4:5], exec, -1
; %bb.3971:
	s_or_b64 exec, exec, s[8:9]
	s_and_b64 s[4:5], s[4:5], exec
	s_or_saveexec_b64 s[6:7], s[6:7]
	v_mov_b32_e32 v8, s10
	s_xor_b64 exec, exec, s[6:7]
	s_cbranch_execz .LBB10_1922
.LBB10_3972:
	v_mov_b32_e32 v8, 0
	v_cmp_ne_u16_sdwa s[8:9], v4, v8 src0_sel:BYTE_0 src1_sel:DWORD
	s_andn2_b64 s[4:5], s[4:5], exec
	s_and_b64 s[8:9], s[8:9], exec
	s_or_b64 s[4:5], s[4:5], s[8:9]
	s_or_b64 exec, exec, s[6:7]
	s_and_saveexec_b64 s[6:7], s[4:5]
	s_cbranch_execnz .LBB10_1923
	s_branch .LBB10_1924
.LBB10_3973:
	s_movk_i32 s4, 0x80
	v_cmp_eq_u16_sdwa s[12:13], v0, s4 src0_sel:BYTE_0 src1_sel:DWORD
	s_mov_b64 s[4:5], -1
                                        ; implicit-def: $sgpr10
	s_and_saveexec_b64 s[8:9], s[12:13]
; %bb.3974:
	s_mov_b32 s10, 0x7f800001
	s_xor_b64 s[4:5], exec, -1
; %bb.3975:
	s_or_b64 exec, exec, s[8:9]
	s_and_b64 s[4:5], s[4:5], exec
	s_or_saveexec_b64 s[6:7], s[6:7]
	v_mov_b32_e32 v9, s10
	s_xor_b64 exec, exec, s[6:7]
	s_cbranch_execz .LBB10_1926
.LBB10_3976:
	v_mov_b32_e32 v9, 0
	v_cmp_ne_u16_sdwa s[8:9], v0, v9 src0_sel:BYTE_0 src1_sel:DWORD
	s_andn2_b64 s[4:5], s[4:5], exec
	s_and_b64 s[8:9], s[8:9], exec
	s_or_b64 s[4:5], s[4:5], s[8:9]
	s_or_b64 exec, exec, s[6:7]
	s_and_saveexec_b64 s[6:7], s[4:5]
	s_cbranch_execnz .LBB10_1927
	s_branch .LBB10_1928
.LBB10_3977:
	s_movk_i32 s4, 0x80
	v_cmp_eq_u16_sdwa s[12:13], v9, s4 src0_sel:BYTE_0 src1_sel:DWORD
	s_mov_b64 s[4:5], -1
                                        ; implicit-def: $sgpr10
	s_and_saveexec_b64 s[8:9], s[12:13]
; %bb.3978:
	s_mov_b32 s10, 0x7f800001
	s_xor_b64 s[4:5], exec, -1
; %bb.3979:
	s_or_b64 exec, exec, s[8:9]
	s_and_b64 s[4:5], s[4:5], exec
	s_or_saveexec_b64 s[6:7], s[6:7]
	v_mov_b32_e32 v8, s10
	s_xor_b64 exec, exec, s[6:7]
	s_cbranch_execz .LBB10_1930
.LBB10_3980:
	v_mov_b32_e32 v8, 0
	v_cmp_ne_u16_sdwa s[8:9], v9, v8 src0_sel:BYTE_0 src1_sel:DWORD
	s_andn2_b64 s[4:5], s[4:5], exec
	s_and_b64 s[8:9], s[8:9], exec
	s_or_b64 s[4:5], s[4:5], s[8:9]
	s_or_b64 exec, exec, s[6:7]
	s_and_saveexec_b64 s[6:7], s[4:5]
	s_cbranch_execnz .LBB10_1931
	s_branch .LBB10_1932
.LBB10_3981:
	s_movk_i32 s4, 0x80
	v_cmp_eq_u16_sdwa s[12:13], v9, s4 src0_sel:BYTE_0 src1_sel:DWORD
	s_mov_b64 s[4:5], -1
                                        ; implicit-def: $sgpr10
	s_and_saveexec_b64 s[8:9], s[12:13]
; %bb.3982:
	s_mov_b32 s10, 0x7f800001
	s_xor_b64 s[4:5], exec, -1
; %bb.3983:
	s_or_b64 exec, exec, s[8:9]
	s_and_b64 s[4:5], s[4:5], exec
	s_or_saveexec_b64 s[6:7], s[6:7]
	v_mov_b32_e32 v10, s10
	s_xor_b64 exec, exec, s[6:7]
	s_cbranch_execz .LBB10_1934
.LBB10_3984:
	v_mov_b32_e32 v10, 0
	v_cmp_ne_u16_sdwa s[8:9], v9, v10 src0_sel:BYTE_0 src1_sel:DWORD
	s_andn2_b64 s[4:5], s[4:5], exec
	s_and_b64 s[8:9], s[8:9], exec
	s_or_b64 s[4:5], s[4:5], s[8:9]
	s_or_b64 exec, exec, s[6:7]
	s_and_saveexec_b64 s[6:7], s[4:5]
	s_cbranch_execnz .LBB10_1935
	s_branch .LBB10_1936
.LBB10_3985:
	s_movk_i32 s4, 0x80
	v_cmp_eq_u16_e32 vcc, s4, v9
	s_mov_b64 s[4:5], -1
                                        ; implicit-def: $sgpr10
	s_and_saveexec_b64 s[8:9], vcc
; %bb.3986:
	s_mov_b32 s10, 0x7f800001
	s_xor_b64 s[4:5], exec, -1
; %bb.3987:
	s_or_b64 exec, exec, s[8:9]
	s_and_b64 s[4:5], s[4:5], exec
                                        ; implicit-def: $vgpr9
	s_or_saveexec_b64 s[6:7], s[6:7]
	v_mov_b32_e32 v8, s10
	s_xor_b64 exec, exec, s[6:7]
	s_cbranch_execz .LBB10_1938
.LBB10_3988:
	v_cmp_ne_u16_e32 vcc, 0, v9
	s_andn2_b64 s[4:5], s[4:5], exec
	s_and_b64 s[8:9], vcc, exec
	v_mov_b32_e32 v8, 0
	s_or_b64 s[4:5], s[4:5], s[8:9]
	s_or_b64 exec, exec, s[6:7]
	s_and_saveexec_b64 s[6:7], s[4:5]
	s_cbranch_execnz .LBB10_1939
	s_branch .LBB10_1940
.LBB10_3989:
	s_movk_i32 s4, 0x80
	v_cmp_eq_u16_e32 vcc, s4, v9
	s_mov_b64 s[4:5], -1
                                        ; implicit-def: $sgpr10
	s_and_saveexec_b64 s[8:9], vcc
; %bb.3990:
	s_mov_b32 s10, 0x7f800001
	s_xor_b64 s[4:5], exec, -1
; %bb.3991:
	s_or_b64 exec, exec, s[8:9]
	s_and_b64 s[4:5], s[4:5], exec
                                        ; implicit-def: $vgpr9
	s_or_saveexec_b64 s[6:7], s[6:7]
	v_mov_b32_e32 v10, s10
	s_xor_b64 exec, exec, s[6:7]
	s_cbranch_execz .LBB10_1942
.LBB10_3992:
	v_cmp_ne_u16_e32 vcc, 0, v9
	s_andn2_b64 s[4:5], s[4:5], exec
	s_and_b64 s[8:9], vcc, exec
	v_mov_b32_e32 v10, 0
	s_or_b64 s[4:5], s[4:5], s[8:9]
	s_or_b64 exec, exec, s[6:7]
	s_and_saveexec_b64 s[6:7], s[4:5]
	s_cbranch_execnz .LBB10_1943
	s_branch .LBB10_1944
.LBB10_3993:
	s_movk_i32 s4, 0x80
	v_cmp_eq_u16_sdwa s[12:13], v4, s4 src0_sel:BYTE_3 src1_sel:DWORD
	s_mov_b64 s[4:5], -1
                                        ; implicit-def: $sgpr10
	s_and_saveexec_b64 s[8:9], s[12:13]
; %bb.3994:
	s_mov_b32 s10, 0x7f800001
	s_xor_b64 s[4:5], exec, -1
; %bb.3995:
	s_or_b64 exec, exec, s[8:9]
	s_and_b64 s[4:5], s[4:5], exec
	s_or_saveexec_b64 s[6:7], s[6:7]
	v_mov_b32_e32 v8, s10
	s_xor_b64 exec, exec, s[6:7]
	s_cbranch_execz .LBB10_1946
.LBB10_3996:
	v_mov_b32_e32 v8, 0
	v_cmp_ne_u16_sdwa s[8:9], v4, v8 src0_sel:BYTE_3 src1_sel:DWORD
	s_andn2_b64 s[4:5], s[4:5], exec
	s_and_b64 s[8:9], s[8:9], exec
	s_or_b64 s[4:5], s[4:5], s[8:9]
	s_or_b64 exec, exec, s[6:7]
	s_and_saveexec_b64 s[6:7], s[4:5]
	s_cbranch_execnz .LBB10_1947
	s_branch .LBB10_1948
.LBB10_3997:
	s_movk_i32 s4, 0x80
	v_cmp_eq_u16_sdwa s[12:13], v0, s4 src0_sel:BYTE_3 src1_sel:DWORD
	s_mov_b64 s[4:5], -1
                                        ; implicit-def: $sgpr10
	s_and_saveexec_b64 s[8:9], s[12:13]
; %bb.3998:
	s_mov_b32 s10, 0x7f800001
	s_xor_b64 s[4:5], exec, -1
; %bb.3999:
	s_or_b64 exec, exec, s[8:9]
	s_and_b64 s[4:5], s[4:5], exec
	s_or_saveexec_b64 s[6:7], s[6:7]
	v_mov_b32_e32 v4, s10
	s_xor_b64 exec, exec, s[6:7]
	s_cbranch_execz .LBB10_1950
.LBB10_4000:
	v_mov_b32_e32 v4, 0
	v_cmp_ne_u16_sdwa s[8:9], v0, v4 src0_sel:BYTE_3 src1_sel:DWORD
	s_andn2_b64 s[4:5], s[4:5], exec
	s_and_b64 s[8:9], s[8:9], exec
	s_or_b64 s[4:5], s[4:5], s[8:9]
	s_or_b64 exec, exec, s[6:7]
	s_and_saveexec_b64 s[6:7], s[4:5]
	s_cbranch_execnz .LBB10_1951
	s_branch .LBB10_1952
.LBB10_4001:
	s_movk_i32 s4, 0x80
	v_cmp_eq_u16_sdwa s[12:13], v5, s4 src0_sel:BYTE_0 src1_sel:DWORD
	s_mov_b64 s[4:5], -1
                                        ; implicit-def: $sgpr10
	s_and_saveexec_b64 s[8:9], s[12:13]
; %bb.4002:
	s_mov_b32 s10, 0x7f800001
	s_xor_b64 s[4:5], exec, -1
; %bb.4003:
	s_or_b64 exec, exec, s[8:9]
	s_and_b64 s[4:5], s[4:5], exec
	s_or_saveexec_b64 s[6:7], s[6:7]
	v_mov_b32_e32 v0, s10
	s_xor_b64 exec, exec, s[6:7]
	s_cbranch_execz .LBB10_1954
.LBB10_4004:
	v_mov_b32_e32 v0, 0
	v_cmp_ne_u16_sdwa s[8:9], v5, v0 src0_sel:BYTE_0 src1_sel:DWORD
	s_andn2_b64 s[4:5], s[4:5], exec
	s_and_b64 s[8:9], s[8:9], exec
	s_or_b64 s[4:5], s[4:5], s[8:9]
	s_or_b64 exec, exec, s[6:7]
	s_and_saveexec_b64 s[6:7], s[4:5]
	s_cbranch_execnz .LBB10_1955
	s_branch .LBB10_1956
.LBB10_4005:
	s_movk_i32 s4, 0x80
	v_cmp_eq_u16_sdwa s[12:13], v1, s4 src0_sel:BYTE_0 src1_sel:DWORD
	s_mov_b64 s[4:5], -1
                                        ; implicit-def: $sgpr10
	s_and_saveexec_b64 s[8:9], s[12:13]
; %bb.4006:
	s_mov_b32 s10, 0x7f800001
	s_xor_b64 s[4:5], exec, -1
; %bb.4007:
	s_or_b64 exec, exec, s[8:9]
	s_and_b64 s[4:5], s[4:5], exec
	s_or_saveexec_b64 s[6:7], s[6:7]
	v_mov_b32_e32 v4, s10
	s_xor_b64 exec, exec, s[6:7]
	s_cbranch_execz .LBB10_1958
.LBB10_4008:
	v_mov_b32_e32 v4, 0
	v_cmp_ne_u16_sdwa s[8:9], v1, v4 src0_sel:BYTE_0 src1_sel:DWORD
	s_andn2_b64 s[4:5], s[4:5], exec
	s_and_b64 s[8:9], s[8:9], exec
	s_or_b64 s[4:5], s[4:5], s[8:9]
	s_or_b64 exec, exec, s[6:7]
	s_and_saveexec_b64 s[6:7], s[4:5]
	s_cbranch_execnz .LBB10_1959
	s_branch .LBB10_1960
.LBB10_4009:
	s_movk_i32 s4, 0x80
	v_cmp_eq_u16_sdwa s[12:13], v4, s4 src0_sel:BYTE_0 src1_sel:DWORD
	s_mov_b64 s[4:5], -1
                                        ; implicit-def: $sgpr10
	s_and_saveexec_b64 s[8:9], s[12:13]
; %bb.4010:
	s_mov_b32 s10, 0x7f800001
	s_xor_b64 s[4:5], exec, -1
; %bb.4011:
	s_or_b64 exec, exec, s[8:9]
	s_and_b64 s[4:5], s[4:5], exec
	s_or_saveexec_b64 s[6:7], s[6:7]
	v_mov_b32_e32 v0, s10
	s_xor_b64 exec, exec, s[6:7]
	s_cbranch_execz .LBB10_1962
.LBB10_4012:
	v_mov_b32_e32 v0, 0
	v_cmp_ne_u16_sdwa s[8:9], v4, v0 src0_sel:BYTE_0 src1_sel:DWORD
	s_andn2_b64 s[4:5], s[4:5], exec
	s_and_b64 s[8:9], s[8:9], exec
	s_or_b64 s[4:5], s[4:5], s[8:9]
	s_or_b64 exec, exec, s[6:7]
	s_and_saveexec_b64 s[6:7], s[4:5]
	s_cbranch_execnz .LBB10_1963
	s_branch .LBB10_1964
.LBB10_4013:
	s_movk_i32 s4, 0x80
	v_cmp_eq_u16_sdwa s[12:13], v4, s4 src0_sel:BYTE_0 src1_sel:DWORD
	s_mov_b64 s[4:5], -1
                                        ; implicit-def: $sgpr10
	s_and_saveexec_b64 s[8:9], s[12:13]
; %bb.4014:
	s_mov_b32 s10, 0x7f800001
	s_xor_b64 s[4:5], exec, -1
; %bb.4015:
	s_or_b64 exec, exec, s[8:9]
	s_and_b64 s[4:5], s[4:5], exec
	s_or_saveexec_b64 s[6:7], s[6:7]
	v_mov_b32_e32 v8, s10
	s_xor_b64 exec, exec, s[6:7]
	s_cbranch_execz .LBB10_1966
.LBB10_4016:
	v_mov_b32_e32 v8, 0
	v_cmp_ne_u16_sdwa s[8:9], v4, v8 src0_sel:BYTE_0 src1_sel:DWORD
	s_andn2_b64 s[4:5], s[4:5], exec
	s_and_b64 s[8:9], s[8:9], exec
	s_or_b64 s[4:5], s[4:5], s[8:9]
	s_or_b64 exec, exec, s[6:7]
	s_and_saveexec_b64 s[6:7], s[4:5]
	s_cbranch_execnz .LBB10_1967
	s_branch .LBB10_1968
.LBB10_4017:
	s_movk_i32 s4, 0x80
	v_cmp_eq_u16_e32 vcc, s4, v4
	s_mov_b64 s[4:5], -1
                                        ; implicit-def: $sgpr10
	s_and_saveexec_b64 s[8:9], vcc
; %bb.4018:
	s_mov_b32 s10, 0x7f800001
	s_xor_b64 s[4:5], exec, -1
; %bb.4019:
	s_or_b64 exec, exec, s[8:9]
	s_and_b64 s[4:5], s[4:5], exec
                                        ; implicit-def: $vgpr4
	s_or_saveexec_b64 s[6:7], s[6:7]
	v_mov_b32_e32 v0, s10
	s_xor_b64 exec, exec, s[6:7]
	s_cbranch_execz .LBB10_1970
.LBB10_4020:
	v_cmp_ne_u16_e32 vcc, 0, v4
	s_andn2_b64 s[4:5], s[4:5], exec
	s_and_b64 s[8:9], vcc, exec
	v_mov_b32_e32 v0, 0
	s_or_b64 s[4:5], s[4:5], s[8:9]
	s_or_b64 exec, exec, s[6:7]
	s_and_saveexec_b64 s[6:7], s[4:5]
	s_cbranch_execnz .LBB10_1971
	s_branch .LBB10_1972
.LBB10_4021:
	s_movk_i32 s4, 0x80
	v_cmp_eq_u16_e32 vcc, s4, v4
	s_mov_b64 s[4:5], -1
                                        ; implicit-def: $sgpr10
	s_and_saveexec_b64 s[8:9], vcc
; %bb.4022:
	s_mov_b32 s10, 0x7f800001
	s_xor_b64 s[4:5], exec, -1
; %bb.4023:
	s_or_b64 exec, exec, s[8:9]
	s_and_b64 s[4:5], s[4:5], exec
                                        ; implicit-def: $vgpr4
	s_or_saveexec_b64 s[6:7], s[6:7]
	v_mov_b32_e32 v8, s10
	s_xor_b64 exec, exec, s[6:7]
	s_cbranch_execz .LBB10_1974
.LBB10_4024:
	v_cmp_ne_u16_e32 vcc, 0, v4
	s_andn2_b64 s[4:5], s[4:5], exec
	s_and_b64 s[8:9], vcc, exec
	v_mov_b32_e32 v8, 0
	s_or_b64 s[4:5], s[4:5], s[8:9]
	s_or_b64 exec, exec, s[6:7]
	s_and_saveexec_b64 s[6:7], s[4:5]
	s_cbranch_execnz .LBB10_1975
	s_branch .LBB10_1976
.LBB10_4025:
	s_movk_i32 s4, 0x80
	v_cmp_eq_u16_sdwa s[12:13], v5, s4 src0_sel:BYTE_3 src1_sel:DWORD
	s_mov_b64 s[4:5], -1
                                        ; implicit-def: $sgpr10
	s_and_saveexec_b64 s[8:9], s[12:13]
; %bb.4026:
	s_mov_b32 s10, 0x7f800001
	s_xor_b64 s[4:5], exec, -1
; %bb.4027:
	s_or_b64 exec, exec, s[8:9]
	s_and_b64 s[4:5], s[4:5], exec
	s_or_saveexec_b64 s[6:7], s[6:7]
	v_mov_b32_e32 v0, s10
	s_xor_b64 exec, exec, s[6:7]
	s_cbranch_execz .LBB10_1978
.LBB10_4028:
	v_mov_b32_e32 v0, 0
	v_cmp_ne_u16_sdwa s[8:9], v5, v0 src0_sel:BYTE_3 src1_sel:DWORD
	s_andn2_b64 s[4:5], s[4:5], exec
	s_and_b64 s[8:9], s[8:9], exec
	s_or_b64 s[4:5], s[4:5], s[8:9]
	s_or_b64 exec, exec, s[6:7]
	s_and_saveexec_b64 s[6:7], s[4:5]
	s_cbranch_execnz .LBB10_1979
	s_branch .LBB10_1980
.LBB10_4029:
	s_movk_i32 s4, 0x80
	v_cmp_eq_u16_sdwa s[12:13], v1, s4 src0_sel:BYTE_3 src1_sel:DWORD
	s_mov_b64 s[4:5], -1
                                        ; implicit-def: $sgpr10
	s_and_saveexec_b64 s[8:9], s[12:13]
; %bb.4030:
	s_mov_b32 s10, 0x7f800001
	s_xor_b64 s[4:5], exec, -1
; %bb.4031:
	s_or_b64 exec, exec, s[8:9]
	s_and_b64 s[4:5], s[4:5], exec
	s_or_saveexec_b64 s[6:7], s[6:7]
	v_mov_b32_e32 v4, s10
	s_xor_b64 exec, exec, s[6:7]
	s_cbranch_execz .LBB10_1982
.LBB10_4032:
	v_mov_b32_e32 v4, 0
	v_cmp_ne_u16_sdwa s[8:9], v1, v4 src0_sel:BYTE_3 src1_sel:DWORD
	s_andn2_b64 s[4:5], s[4:5], exec
	s_and_b64 s[8:9], s[8:9], exec
	s_or_b64 s[4:5], s[4:5], s[8:9]
	s_or_b64 exec, exec, s[6:7]
	s_and_saveexec_b64 s[6:7], s[4:5]
	s_cbranch_execnz .LBB10_1983
	s_branch .LBB10_1984
.LBB10_4033:
	s_movk_i32 s4, 0x80
	v_cmp_eq_u16_sdwa s[12:13], v6, s4 src0_sel:BYTE_0 src1_sel:DWORD
	s_mov_b64 s[4:5], -1
                                        ; implicit-def: $sgpr10
	s_and_saveexec_b64 s[8:9], s[12:13]
; %bb.4034:
	s_mov_b32 s10, 0x7f800001
	s_xor_b64 s[4:5], exec, -1
; %bb.4035:
	s_or_b64 exec, exec, s[8:9]
	s_and_b64 s[4:5], s[4:5], exec
	s_or_saveexec_b64 s[6:7], s[6:7]
	v_mov_b32_e32 v0, s10
	s_xor_b64 exec, exec, s[6:7]
	s_cbranch_execz .LBB10_1986
.LBB10_4036:
	v_mov_b32_e32 v0, 0
	v_cmp_ne_u16_sdwa s[8:9], v6, v0 src0_sel:BYTE_0 src1_sel:DWORD
	s_andn2_b64 s[4:5], s[4:5], exec
	s_and_b64 s[8:9], s[8:9], exec
	s_or_b64 s[4:5], s[4:5], s[8:9]
	s_or_b64 exec, exec, s[6:7]
	s_and_saveexec_b64 s[6:7], s[4:5]
	s_cbranch_execnz .LBB10_1987
	s_branch .LBB10_1988
.LBB10_4037:
	s_movk_i32 s4, 0x80
	v_cmp_eq_u16_sdwa s[12:13], v2, s4 src0_sel:BYTE_0 src1_sel:DWORD
	s_mov_b64 s[4:5], -1
                                        ; implicit-def: $sgpr10
	s_and_saveexec_b64 s[8:9], s[12:13]
; %bb.4038:
	s_mov_b32 s10, 0x7f800001
	s_xor_b64 s[4:5], exec, -1
; %bb.4039:
	s_or_b64 exec, exec, s[8:9]
	s_and_b64 s[4:5], s[4:5], exec
	s_or_saveexec_b64 s[6:7], s[6:7]
	v_mov_b32_e32 v1, s10
	s_xor_b64 exec, exec, s[6:7]
	s_cbranch_execz .LBB10_1990
.LBB10_4040:
	v_mov_b32_e32 v1, 0
	v_cmp_ne_u16_sdwa s[8:9], v2, v1 src0_sel:BYTE_0 src1_sel:DWORD
	s_andn2_b64 s[4:5], s[4:5], exec
	s_and_b64 s[8:9], s[8:9], exec
	s_or_b64 s[4:5], s[4:5], s[8:9]
	s_or_b64 exec, exec, s[6:7]
	s_and_saveexec_b64 s[6:7], s[4:5]
	s_cbranch_execnz .LBB10_1991
	s_branch .LBB10_1992
.LBB10_4041:
	s_movk_i32 s4, 0x80
	v_cmp_eq_u16_sdwa s[12:13], v1, s4 src0_sel:BYTE_0 src1_sel:DWORD
	s_mov_b64 s[4:5], -1
                                        ; implicit-def: $sgpr10
	s_and_saveexec_b64 s[8:9], s[12:13]
; %bb.4042:
	s_mov_b32 s10, 0x7f800001
	s_xor_b64 s[4:5], exec, -1
; %bb.4043:
	s_or_b64 exec, exec, s[8:9]
	s_and_b64 s[4:5], s[4:5], exec
	s_or_saveexec_b64 s[6:7], s[6:7]
	v_mov_b32_e32 v0, s10
	s_xor_b64 exec, exec, s[6:7]
	s_cbranch_execz .LBB10_1994
.LBB10_4044:
	v_mov_b32_e32 v0, 0
	v_cmp_ne_u16_sdwa s[8:9], v1, v0 src0_sel:BYTE_0 src1_sel:DWORD
	s_andn2_b64 s[4:5], s[4:5], exec
	s_and_b64 s[8:9], s[8:9], exec
	s_or_b64 s[4:5], s[4:5], s[8:9]
	s_or_b64 exec, exec, s[6:7]
	s_and_saveexec_b64 s[6:7], s[4:5]
	s_cbranch_execnz .LBB10_1995
	s_branch .LBB10_1996
.LBB10_4045:
	s_movk_i32 s4, 0x80
	v_cmp_eq_u16_sdwa s[12:13], v1, s4 src0_sel:BYTE_0 src1_sel:DWORD
	s_mov_b64 s[4:5], -1
                                        ; implicit-def: $sgpr10
	s_and_saveexec_b64 s[8:9], s[12:13]
; %bb.4046:
	s_mov_b32 s10, 0x7f800001
	s_xor_b64 s[4:5], exec, -1
; %bb.4047:
	s_or_b64 exec, exec, s[8:9]
	s_and_b64 s[4:5], s[4:5], exec
	s_or_saveexec_b64 s[6:7], s[6:7]
	v_mov_b32_e32 v4, s10
	s_xor_b64 exec, exec, s[6:7]
	s_cbranch_execz .LBB10_1998
.LBB10_4048:
	v_mov_b32_e32 v4, 0
	v_cmp_ne_u16_sdwa s[8:9], v1, v4 src0_sel:BYTE_0 src1_sel:DWORD
	s_andn2_b64 s[4:5], s[4:5], exec
	s_and_b64 s[8:9], s[8:9], exec
	s_or_b64 s[4:5], s[4:5], s[8:9]
	s_or_b64 exec, exec, s[6:7]
	s_and_saveexec_b64 s[6:7], s[4:5]
	s_cbranch_execnz .LBB10_1999
	s_branch .LBB10_2000
.LBB10_4049:
	s_movk_i32 s4, 0x80
	v_cmp_eq_u16_e32 vcc, s4, v1
	s_mov_b64 s[4:5], -1
                                        ; implicit-def: $sgpr10
	s_and_saveexec_b64 s[8:9], vcc
; %bb.4050:
	s_mov_b32 s10, 0x7f800001
	s_xor_b64 s[4:5], exec, -1
; %bb.4051:
	s_or_b64 exec, exec, s[8:9]
	s_and_b64 s[4:5], s[4:5], exec
                                        ; implicit-def: $vgpr1
	s_or_saveexec_b64 s[6:7], s[6:7]
	v_mov_b32_e32 v0, s10
	s_xor_b64 exec, exec, s[6:7]
	s_cbranch_execz .LBB10_2002
.LBB10_4052:
	v_cmp_ne_u16_e32 vcc, 0, v1
	s_andn2_b64 s[4:5], s[4:5], exec
	s_and_b64 s[8:9], vcc, exec
	v_mov_b32_e32 v0, 0
	s_or_b64 s[4:5], s[4:5], s[8:9]
	s_or_b64 exec, exec, s[6:7]
	s_and_saveexec_b64 s[6:7], s[4:5]
	s_cbranch_execnz .LBB10_2003
	s_branch .LBB10_2004
.LBB10_4053:
	s_movk_i32 s4, 0x80
	v_cmp_eq_u16_e32 vcc, s4, v1
	s_mov_b64 s[4:5], -1
                                        ; implicit-def: $sgpr10
	s_and_saveexec_b64 s[8:9], vcc
; %bb.4054:
	s_mov_b32 s10, 0x7f800001
	s_xor_b64 s[4:5], exec, -1
; %bb.4055:
	s_or_b64 exec, exec, s[8:9]
	s_and_b64 s[4:5], s[4:5], exec
                                        ; implicit-def: $vgpr1
	s_or_saveexec_b64 s[6:7], s[6:7]
	v_mov_b32_e32 v4, s10
	s_xor_b64 exec, exec, s[6:7]
	s_cbranch_execz .LBB10_2006
.LBB10_4056:
	v_cmp_ne_u16_e32 vcc, 0, v1
	s_andn2_b64 s[4:5], s[4:5], exec
	s_and_b64 s[8:9], vcc, exec
	v_mov_b32_e32 v4, 0
	s_or_b64 s[4:5], s[4:5], s[8:9]
	s_or_b64 exec, exec, s[6:7]
	s_and_saveexec_b64 s[6:7], s[4:5]
	s_cbranch_execnz .LBB10_2007
	s_branch .LBB10_2008
.LBB10_4057:
	s_movk_i32 s4, 0x80
	v_cmp_eq_u16_sdwa s[12:13], v6, s4 src0_sel:BYTE_3 src1_sel:DWORD
	s_mov_b64 s[4:5], -1
                                        ; implicit-def: $sgpr10
	s_and_saveexec_b64 s[8:9], s[12:13]
; %bb.4058:
	s_mov_b32 s10, 0x7f800001
	s_xor_b64 s[4:5], exec, -1
; %bb.4059:
	s_or_b64 exec, exec, s[8:9]
	s_and_b64 s[4:5], s[4:5], exec
	s_or_saveexec_b64 s[6:7], s[6:7]
	v_mov_b32_e32 v0, s10
	s_xor_b64 exec, exec, s[6:7]
	s_cbranch_execz .LBB10_2010
.LBB10_4060:
	v_mov_b32_e32 v0, 0
	v_cmp_ne_u16_sdwa s[8:9], v6, v0 src0_sel:BYTE_3 src1_sel:DWORD
	s_andn2_b64 s[4:5], s[4:5], exec
	s_and_b64 s[8:9], s[8:9], exec
	s_or_b64 s[4:5], s[4:5], s[8:9]
	s_or_b64 exec, exec, s[6:7]
	s_and_saveexec_b64 s[6:7], s[4:5]
	s_cbranch_execnz .LBB10_2011
	s_branch .LBB10_2012
.LBB10_4061:
	s_movk_i32 s4, 0x80
	v_cmp_eq_u16_sdwa s[12:13], v2, s4 src0_sel:BYTE_3 src1_sel:DWORD
	s_mov_b64 s[4:5], -1
                                        ; implicit-def: $sgpr10
	s_and_saveexec_b64 s[8:9], s[12:13]
; %bb.4062:
	s_mov_b32 s10, 0x7f800001
	s_xor_b64 s[4:5], exec, -1
; %bb.4063:
	s_or_b64 exec, exec, s[8:9]
	s_and_b64 s[4:5], s[4:5], exec
	s_or_saveexec_b64 s[6:7], s[6:7]
	v_mov_b32_e32 v1, s10
	s_xor_b64 exec, exec, s[6:7]
	s_cbranch_execz .LBB10_2014
.LBB10_4064:
	v_mov_b32_e32 v1, 0
	v_cmp_ne_u16_sdwa s[8:9], v2, v1 src0_sel:BYTE_3 src1_sel:DWORD
	s_andn2_b64 s[4:5], s[4:5], exec
	s_and_b64 s[8:9], s[8:9], exec
	s_or_b64 s[4:5], s[4:5], s[8:9]
	s_or_b64 exec, exec, s[6:7]
	s_and_saveexec_b64 s[6:7], s[4:5]
	s_cbranch_execnz .LBB10_2015
	s_branch .LBB10_2016
.LBB10_4065:
	s_movk_i32 s4, 0x80
	v_cmp_eq_u16_sdwa s[12:13], v7, s4 src0_sel:BYTE_0 src1_sel:DWORD
	s_mov_b64 s[4:5], -1
                                        ; implicit-def: $sgpr10
	s_and_saveexec_b64 s[8:9], s[12:13]
; %bb.4066:
	s_mov_b32 s10, 0x7f800001
	s_xor_b64 s[4:5], exec, -1
; %bb.4067:
	s_or_b64 exec, exec, s[8:9]
	s_and_b64 s[4:5], s[4:5], exec
	s_or_saveexec_b64 s[6:7], s[6:7]
	v_mov_b32_e32 v0, s10
	s_xor_b64 exec, exec, s[6:7]
	s_cbranch_execz .LBB10_2018
.LBB10_4068:
	v_mov_b32_e32 v0, 0
	v_cmp_ne_u16_sdwa s[8:9], v7, v0 src0_sel:BYTE_0 src1_sel:DWORD
	s_andn2_b64 s[4:5], s[4:5], exec
	s_and_b64 s[8:9], s[8:9], exec
	s_or_b64 s[4:5], s[4:5], s[8:9]
	s_or_b64 exec, exec, s[6:7]
	s_and_saveexec_b64 s[6:7], s[4:5]
	s_cbranch_execnz .LBB10_2019
	s_branch .LBB10_2020
.LBB10_4069:
	s_movk_i32 s4, 0x80
	v_cmp_eq_u16_sdwa s[12:13], v3, s4 src0_sel:BYTE_0 src1_sel:DWORD
	s_mov_b64 s[4:5], -1
                                        ; implicit-def: $sgpr10
	s_and_saveexec_b64 s[8:9], s[12:13]
; %bb.4070:
	s_mov_b32 s10, 0x7f800001
	s_xor_b64 s[4:5], exec, -1
; %bb.4071:
	s_or_b64 exec, exec, s[8:9]
	s_and_b64 s[4:5], s[4:5], exec
	s_or_saveexec_b64 s[6:7], s[6:7]
	v_mov_b32_e32 v1, s10
	s_xor_b64 exec, exec, s[6:7]
	s_cbranch_execz .LBB10_2022
.LBB10_4072:
	v_mov_b32_e32 v1, 0
	v_cmp_ne_u16_sdwa s[8:9], v3, v1 src0_sel:BYTE_0 src1_sel:DWORD
	s_andn2_b64 s[4:5], s[4:5], exec
	s_and_b64 s[8:9], s[8:9], exec
	s_or_b64 s[4:5], s[4:5], s[8:9]
	s_or_b64 exec, exec, s[6:7]
	s_and_saveexec_b64 s[6:7], s[4:5]
	s_cbranch_execnz .LBB10_2023
	s_branch .LBB10_2024
.LBB10_4073:
	s_movk_i32 s4, 0x80
	v_cmp_eq_u16_sdwa s[12:13], v1, s4 src0_sel:BYTE_0 src1_sel:DWORD
	s_mov_b64 s[4:5], -1
                                        ; implicit-def: $sgpr10
	s_and_saveexec_b64 s[8:9], s[12:13]
; %bb.4074:
	s_mov_b32 s10, 0x7f800001
	s_xor_b64 s[4:5], exec, -1
; %bb.4075:
	s_or_b64 exec, exec, s[8:9]
	s_and_b64 s[4:5], s[4:5], exec
	s_or_saveexec_b64 s[6:7], s[6:7]
	v_mov_b32_e32 v0, s10
	s_xor_b64 exec, exec, s[6:7]
	s_cbranch_execz .LBB10_2026
.LBB10_4076:
	v_mov_b32_e32 v0, 0
	v_cmp_ne_u16_sdwa s[8:9], v1, v0 src0_sel:BYTE_0 src1_sel:DWORD
	s_andn2_b64 s[4:5], s[4:5], exec
	s_and_b64 s[8:9], s[8:9], exec
	s_or_b64 s[4:5], s[4:5], s[8:9]
	s_or_b64 exec, exec, s[6:7]
	s_and_saveexec_b64 s[6:7], s[4:5]
	s_cbranch_execnz .LBB10_2027
	s_branch .LBB10_2028
.LBB10_4077:
	s_movk_i32 s4, 0x80
	v_cmp_eq_u16_sdwa s[12:13], v1, s4 src0_sel:BYTE_0 src1_sel:DWORD
	s_mov_b64 s[4:5], -1
                                        ; implicit-def: $sgpr10
	s_and_saveexec_b64 s[8:9], s[12:13]
; %bb.4078:
	s_mov_b32 s10, 0x7f800001
	s_xor_b64 s[4:5], exec, -1
; %bb.4079:
	s_or_b64 exec, exec, s[8:9]
	s_and_b64 s[4:5], s[4:5], exec
	s_or_saveexec_b64 s[6:7], s[6:7]
	v_mov_b32_e32 v2, s10
	s_xor_b64 exec, exec, s[6:7]
	s_cbranch_execz .LBB10_2030
.LBB10_4080:
	v_mov_b32_e32 v2, 0
	v_cmp_ne_u16_sdwa s[8:9], v1, v2 src0_sel:BYTE_0 src1_sel:DWORD
	s_andn2_b64 s[4:5], s[4:5], exec
	s_and_b64 s[8:9], s[8:9], exec
	s_or_b64 s[4:5], s[4:5], s[8:9]
	s_or_b64 exec, exec, s[6:7]
	s_and_saveexec_b64 s[6:7], s[4:5]
	s_cbranch_execnz .LBB10_2031
	s_branch .LBB10_2032
.LBB10_4081:
	s_movk_i32 s4, 0x80
	v_cmp_eq_u16_e32 vcc, s4, v1
	s_mov_b64 s[4:5], -1
                                        ; implicit-def: $sgpr10
	s_and_saveexec_b64 s[8:9], vcc
; %bb.4082:
	s_mov_b32 s10, 0x7f800001
	s_xor_b64 s[4:5], exec, -1
; %bb.4083:
	s_or_b64 exec, exec, s[8:9]
	s_and_b64 s[4:5], s[4:5], exec
                                        ; implicit-def: $vgpr1
	s_or_saveexec_b64 s[6:7], s[6:7]
	v_mov_b32_e32 v0, s10
	s_xor_b64 exec, exec, s[6:7]
	s_cbranch_execz .LBB10_2034
.LBB10_4084:
	v_cmp_ne_u16_e32 vcc, 0, v1
	s_andn2_b64 s[4:5], s[4:5], exec
	s_and_b64 s[8:9], vcc, exec
	v_mov_b32_e32 v0, 0
	s_or_b64 s[4:5], s[4:5], s[8:9]
	s_or_b64 exec, exec, s[6:7]
	s_and_saveexec_b64 s[6:7], s[4:5]
	s_cbranch_execnz .LBB10_2035
	s_branch .LBB10_2036
.LBB10_4085:
	s_movk_i32 s4, 0x80
	v_cmp_eq_u16_e32 vcc, s4, v1
	s_mov_b64 s[4:5], -1
                                        ; implicit-def: $sgpr10
	s_and_saveexec_b64 s[8:9], vcc
; %bb.4086:
	s_mov_b32 s10, 0x7f800001
	s_xor_b64 s[4:5], exec, -1
; %bb.4087:
	s_or_b64 exec, exec, s[8:9]
	s_and_b64 s[4:5], s[4:5], exec
                                        ; implicit-def: $vgpr1
	s_or_saveexec_b64 s[6:7], s[6:7]
	v_mov_b32_e32 v2, s10
	s_xor_b64 exec, exec, s[6:7]
	s_cbranch_execz .LBB10_2038
.LBB10_4088:
	v_cmp_ne_u16_e32 vcc, 0, v1
	s_andn2_b64 s[4:5], s[4:5], exec
	s_and_b64 s[8:9], vcc, exec
	v_mov_b32_e32 v2, 0
	s_or_b64 s[4:5], s[4:5], s[8:9]
	s_or_b64 exec, exec, s[6:7]
	s_and_saveexec_b64 s[6:7], s[4:5]
	s_cbranch_execnz .LBB10_2039
	s_branch .LBB10_2040
.LBB10_4089:
	s_movk_i32 s4, 0x80
	v_cmp_eq_u16_sdwa s[12:13], v7, s4 src0_sel:BYTE_3 src1_sel:DWORD
	s_mov_b64 s[4:5], -1
                                        ; implicit-def: $sgpr10
	s_and_saveexec_b64 s[8:9], s[12:13]
; %bb.4090:
	s_mov_b32 s10, 0x7f800001
	s_xor_b64 s[4:5], exec, -1
; %bb.4091:
	s_or_b64 exec, exec, s[8:9]
	s_and_b64 s[4:5], s[4:5], exec
	s_or_saveexec_b64 s[6:7], s[6:7]
	v_mov_b32_e32 v0, s10
	s_xor_b64 exec, exec, s[6:7]
	s_cbranch_execz .LBB10_2042
.LBB10_4092:
	v_mov_b32_e32 v0, 0
	v_cmp_ne_u16_sdwa s[8:9], v7, v0 src0_sel:BYTE_3 src1_sel:DWORD
	s_andn2_b64 s[4:5], s[4:5], exec
	s_and_b64 s[8:9], s[8:9], exec
	s_or_b64 s[4:5], s[4:5], s[8:9]
	s_or_b64 exec, exec, s[6:7]
	s_and_saveexec_b64 s[6:7], s[4:5]
	s_cbranch_execnz .LBB10_2043
	s_branch .LBB10_2044
.LBB10_4093:
	s_movk_i32 s4, 0x80
	v_cmp_eq_u16_sdwa s[12:13], v3, s4 src0_sel:BYTE_3 src1_sel:DWORD
	s_mov_b64 s[4:5], -1
                                        ; implicit-def: $sgpr10
	s_and_saveexec_b64 s[8:9], s[12:13]
; %bb.4094:
	s_mov_b32 s10, 0x7f800001
	s_xor_b64 s[4:5], exec, -1
; %bb.4095:
	s_or_b64 exec, exec, s[8:9]
	s_and_b64 s[4:5], s[4:5], exec
	s_or_saveexec_b64 s[6:7], s[6:7]
	v_mov_b32_e32 v1, s10
	s_xor_b64 exec, exec, s[6:7]
	s_cbranch_execz .LBB10_2046
.LBB10_4096:
	v_mov_b32_e32 v1, 0
	v_cmp_ne_u16_sdwa s[8:9], v3, v1 src0_sel:BYTE_3 src1_sel:DWORD
	s_andn2_b64 s[4:5], s[4:5], exec
	s_and_b64 s[8:9], s[8:9], exec
	s_or_b64 s[4:5], s[4:5], s[8:9]
	s_or_b64 exec, exec, s[6:7]
	s_and_saveexec_b64 s[6:7], s[4:5]
	s_cbranch_execnz .LBB10_2047
	s_branch .LBB10_2048
.Lfunc_end10:
	.size	_ZNK2ck6detail7applierIiJLi0ELi1ELi2ELi3ELi4ELi5ELi6ELi7EEEclIZNKS_11static_fordINS_8SequenceIJLi1ELi8EEEENS5_IJLi0ELi1EEEEEclIZZZNKS_52BlockwiseGemmXdlops_pipeline_bpreshuffle_bdequant_v3ILNS_26BlockGemmPipelineSchedulerE0ELi256ENS_9f8_fnuz_tENS_7pk_i4_tESC_fNS_16TensorDescriptorINS_5TupleIJNS_5EmbedINSF_IJNS_17integral_constantIiLi8EEENSH_IiLi256EEENSH_IiLi16EEEEEENSF_IJSK_NSH_IiLi128EEENSH_IiLi1EEEEEELb0EEENS_3XorINSF_IJSJ_SI_EEELb1EEENS_11PassThroughISK_EENS_7UnMergeINSF_IJSI_SN_EEELb0EEENST_ISJ_EESU_NST_ISI_EENS_21Merge_v3_division_modINSF_IJSJ_SN_EEEEESU_EEENSF_IJNS5_IJLi0EEEENS5_IJLi2ELi1EEEENS5_IJLi3EEEENS5_IJLi5EEEENS5_IJLi4EEEENS5_IJLi6EEEENS5_IJLi7EEEENS5_IJLi9ELi8EEEENS5_IJLi10EEEEEEENSF_IJNS5_IJLi1ELi2ELi3EEEENS5_IJLi4ELi5EEEES19_NS5_IJLi7ELi8EEEENS5_IJLi9EEEES1C_NS5_IJLi11EEEENS5_IJLi12EEEENS5_IJLi13EEEEEEENS5_IJLi11ELi12ELi13EEEENSH_IlLl32768EEEEENSE_INSF_IJNSV_INSF_IJSI_SN_SN_NSH_IiLi32EEEEEELb0EEEEEENSF_IJS14_EEENSF_IJNS5_IJLi1ELi2ELi3ELi4EEEEEEES1U_NSH_IlLl256EEEEENSE_INSF_IJSP_SS_SU_SX_SY_SU_SZ_S12_SU_NS10_INSF_IJSI_SK_EEEEENSV_INSF_IJSI_NSH_IiLi2EEESK_EEELb0EEEEEENSF_IJS14_S15_S16_S17_S18_S19_S1A_S1B_S1C_NS5_IJLi11ELi13EEEES1J_EEENSF_IJS1E_S1F_S19_S1G_S1H_S1C_S1I_S1J_S1K_NS5_IJLi14EEEENS5_IJLi15ELi16ELi17EEEEEEENS5_IJLi15ELi16ELi17ELi14EEEES1N_EENSE_INSF_IJS1R_NS10_ISW_EES22_EEENSF_IJS14_NS5_IJLi1ELi3EEEENS5_IJLi2EEEEEEENSF_IJS1U_S17_NS5_IJLi6ELi7ELi8EEEEEEENS5_IJLi6ELi7ELi8ELi5EEEES1W_EELi16ELi32ELi256ELi256ELi128ELi16ELi16ELi8ELi8ELi32ELb0EE3RunILb1ELNS_10TailNumberE0ENSE_INSF_IJNSG_INSF_IJiiEEENSF_IJiSN_EEELb0EEENSV_IS2N_Lb0EEENST_IiEEEEENSF_IJS14_S2E_NS5_IJLi1EEEEEEENSF_IJNS5_IJLi1ELi2EEEENS5_IJLi3ELi4EEEES17_EEENS5_IJLi3ELi5ELi4EEEElEES1O_NS_35ThreadGroupTensorSliceTransfer_v4r1INS_15ThisThreadBlockILi256EEENS_16tensor_operation12element_wise11PassThroughES35_LNS_25InMemoryDataOperationEnumE0ENS5_IJLi8ELi256ELi16EEEENS5_IJLi8ELi32ELi1EEEENS5_IJLi1ELi0ELi2EEEESC_SC_RKS2Z_KS1O_S39_NS5_IJLi0ELi1ELi2EEEELi2ELi2ELi16ELi16ELi1ELi1ELb0ELb1ELi2EiEENS_13DynamicBufferILNS_16AddressSpaceEnumE1EKSC_lLb1ELNS_22AmdBufferCoherenceEnumE0EiEENSF_IJNS3F_ILS3G_2ESC_S1N_Lb1ELS3I_0EiEES3K_EEENSF_IJiiiEEENSE_INSF_IJNSG_INSF_IJiiiiEEENSF_IJiiiSN_EEELb0EEEEEES1T_S1V_S1U_lEENS_32ThreadwiseTensorSliceTransfer_v2ISD_SD_RKS3R_KS1X_NS5_IJLi8ELi1ELi1ELi32EEEENS5_IJLi1ELi2ELi0ELi3EEEELi3ELi32ELi0ELb1ELb0ELb0EEENS3F_ILS3G_1EKSD_lLb1ELS3I_0EiEENSF_IJNS_12StaticBufferILS3G_4ESD_Li256ELb1EEES42_EEES3N_NS_25StaticBufferTupleOfVectorILS3G_4EfLi64ELi4ELb1ELb0EEEEEvRKT1_RKT2_RT3_RKT4_RT5_RKT6_RKT7_RT8_RKT9_RT10_RKT11_RT12_iENKUlT_T0_E_clISN_NSH_IiLi0EEEEEDaS51_S52_ENKUlS51_E_clIS55_EEDaS51_EUlS51_E_EEvS51_EUlS51_E_EEvS51_, .Lfunc_end10-_ZNK2ck6detail7applierIiJLi0ELi1ELi2ELi3ELi4ELi5ELi6ELi7EEEclIZNKS_11static_fordINS_8SequenceIJLi1ELi8EEEENS5_IJLi0ELi1EEEEEclIZZZNKS_52BlockwiseGemmXdlops_pipeline_bpreshuffle_bdequant_v3ILNS_26BlockGemmPipelineSchedulerE0ELi256ENS_9f8_fnuz_tENS_7pk_i4_tESC_fNS_16TensorDescriptorINS_5TupleIJNS_5EmbedINSF_IJNS_17integral_constantIiLi8EEENSH_IiLi256EEENSH_IiLi16EEEEEENSF_IJSK_NSH_IiLi128EEENSH_IiLi1EEEEEELb0EEENS_3XorINSF_IJSJ_SI_EEELb1EEENS_11PassThroughISK_EENS_7UnMergeINSF_IJSI_SN_EEELb0EEENST_ISJ_EESU_NST_ISI_EENS_21Merge_v3_division_modINSF_IJSJ_SN_EEEEESU_EEENSF_IJNS5_IJLi0EEEENS5_IJLi2ELi1EEEENS5_IJLi3EEEENS5_IJLi5EEEENS5_IJLi4EEEENS5_IJLi6EEEENS5_IJLi7EEEENS5_IJLi9ELi8EEEENS5_IJLi10EEEEEEENSF_IJNS5_IJLi1ELi2ELi3EEEENS5_IJLi4ELi5EEEES19_NS5_IJLi7ELi8EEEENS5_IJLi9EEEES1C_NS5_IJLi11EEEENS5_IJLi12EEEENS5_IJLi13EEEEEEENS5_IJLi11ELi12ELi13EEEENSH_IlLl32768EEEEENSE_INSF_IJNSV_INSF_IJSI_SN_SN_NSH_IiLi32EEEEEELb0EEEEEENSF_IJS14_EEENSF_IJNS5_IJLi1ELi2ELi3ELi4EEEEEEES1U_NSH_IlLl256EEEEENSE_INSF_IJSP_SS_SU_SX_SY_SU_SZ_S12_SU_NS10_INSF_IJSI_SK_EEEEENSV_INSF_IJSI_NSH_IiLi2EEESK_EEELb0EEEEEENSF_IJS14_S15_S16_S17_S18_S19_S1A_S1B_S1C_NS5_IJLi11ELi13EEEES1J_EEENSF_IJS1E_S1F_S19_S1G_S1H_S1C_S1I_S1J_S1K_NS5_IJLi14EEEENS5_IJLi15ELi16ELi17EEEEEEENS5_IJLi15ELi16ELi17ELi14EEEES1N_EENSE_INSF_IJS1R_NS10_ISW_EES22_EEENSF_IJS14_NS5_IJLi1ELi3EEEENS5_IJLi2EEEEEEENSF_IJS1U_S17_NS5_IJLi6ELi7ELi8EEEEEEENS5_IJLi6ELi7ELi8ELi5EEEES1W_EELi16ELi32ELi256ELi256ELi128ELi16ELi16ELi8ELi8ELi32ELb0EE3RunILb1ELNS_10TailNumberE0ENSE_INSF_IJNSG_INSF_IJiiEEENSF_IJiSN_EEELb0EEENSV_IS2N_Lb0EEENST_IiEEEEENSF_IJS14_S2E_NS5_IJLi1EEEEEEENSF_IJNS5_IJLi1ELi2EEEENS5_IJLi3ELi4EEEES17_EEENS5_IJLi3ELi5ELi4EEEElEES1O_NS_35ThreadGroupTensorSliceTransfer_v4r1INS_15ThisThreadBlockILi256EEENS_16tensor_operation12element_wise11PassThroughES35_LNS_25InMemoryDataOperationEnumE0ENS5_IJLi8ELi256ELi16EEEENS5_IJLi8ELi32ELi1EEEENS5_IJLi1ELi0ELi2EEEESC_SC_RKS2Z_KS1O_S39_NS5_IJLi0ELi1ELi2EEEELi2ELi2ELi16ELi16ELi1ELi1ELb0ELb1ELi2EiEENS_13DynamicBufferILNS_16AddressSpaceEnumE1EKSC_lLb1ELNS_22AmdBufferCoherenceEnumE0EiEENSF_IJNS3F_ILS3G_2ESC_S1N_Lb1ELS3I_0EiEES3K_EEENSF_IJiiiEEENSE_INSF_IJNSG_INSF_IJiiiiEEENSF_IJiiiSN_EEELb0EEEEEES1T_S1V_S1U_lEENS_32ThreadwiseTensorSliceTransfer_v2ISD_SD_RKS3R_KS1X_NS5_IJLi8ELi1ELi1ELi32EEEENS5_IJLi1ELi2ELi0ELi3EEEELi3ELi32ELi0ELb1ELb0ELb0EEENS3F_ILS3G_1EKSD_lLb1ELS3I_0EiEENSF_IJNS_12StaticBufferILS3G_4ESD_Li256ELb1EEES42_EEES3N_NS_25StaticBufferTupleOfVectorILS3G_4EfLi64ELi4ELb1ELb0EEEEEvRKT1_RKT2_RT3_RKT4_RT5_RKT6_RKT7_RT8_RKT9_RT10_RKT11_RT12_iENKUlT_T0_E_clISN_NSH_IiLi0EEEEEDaS51_S52_ENKUlS51_E_clIS55_EEDaS51_EUlS51_E_EEvS51_EUlS51_E_EEvS51_
                                        ; -- End function
	.section	.AMDGPU.csdata,"",@progbits
; Function info:
; codeLenInByte = 133608
; NumSgprs: 36
; NumVgprs: 26
; NumAgprs: 4
; TotalNumVgprs: 32
; ScratchSize: 0
; MemoryBound: 1
	.text
	.p2align	2                               ; -- Begin function _ZNK2ck6detail7applierIiJLi0ELi1ELi2ELi3ELi4ELi5ELi6ELi7EEEclIZNKS_11static_fordINS_8SequenceIJLi1ELi8EEEENS5_IJLi0ELi1EEEEEclIZZZNKS_52BlockwiseGemmXdlops_pipeline_bpreshuffle_bdequant_v3ILNS_26BlockGemmPipelineSchedulerE0ELi256ENS_9f8_fnuz_tENS_7pk_i4_tESC_fNS_16TensorDescriptorINS_5TupleIJNS_5EmbedINSF_IJNS_17integral_constantIiLi8EEENSH_IiLi256EEENSH_IiLi16EEEEEENSF_IJSK_NSH_IiLi128EEENSH_IiLi1EEEEEELb0EEENS_3XorINSF_IJSJ_SI_EEELb1EEENS_11PassThroughISK_EENS_7UnMergeINSF_IJSI_SN_EEELb0EEENST_ISJ_EESU_NST_ISI_EENS_21Merge_v3_division_modINSF_IJSJ_SN_EEEEESU_EEENSF_IJNS5_IJLi0EEEENS5_IJLi2ELi1EEEENS5_IJLi3EEEENS5_IJLi5EEEENS5_IJLi4EEEENS5_IJLi6EEEENS5_IJLi7EEEENS5_IJLi9ELi8EEEENS5_IJLi10EEEEEEENSF_IJNS5_IJLi1ELi2ELi3EEEENS5_IJLi4ELi5EEEES19_NS5_IJLi7ELi8EEEENS5_IJLi9EEEES1C_NS5_IJLi11EEEENS5_IJLi12EEEENS5_IJLi13EEEEEEENS5_IJLi11ELi12ELi13EEEENSH_IlLl32768EEEEENSE_INSF_IJNSV_INSF_IJSI_SN_SN_NSH_IiLi32EEEEEELb0EEEEEENSF_IJS14_EEENSF_IJNS5_IJLi1ELi2ELi3ELi4EEEEEEES1U_NSH_IlLl256EEEEENSE_INSF_IJSP_SS_SU_SX_SY_SU_SZ_S12_SU_NS10_INSF_IJSI_SK_EEEEENSV_INSF_IJSI_NSH_IiLi2EEESK_EEELb0EEEEEENSF_IJS14_S15_S16_S17_S18_S19_S1A_S1B_S1C_NS5_IJLi11ELi13EEEES1J_EEENSF_IJS1E_S1F_S19_S1G_S1H_S1C_S1I_S1J_S1K_NS5_IJLi14EEEENS5_IJLi15ELi16ELi17EEEEEEENS5_IJLi15ELi16ELi17ELi14EEEES1N_EENSE_INSF_IJS1R_NS10_ISW_EES22_EEENSF_IJS14_NS5_IJLi1ELi3EEEENS5_IJLi2EEEEEEENSF_IJS1U_S17_NS5_IJLi6ELi7ELi8EEEEEEENS5_IJLi6ELi7ELi8ELi5EEEES1W_EELi16ELi32ELi256ELi256ELi128ELi16ELi16ELi8ELi8ELi32ELb0EE3RunILb1ELNS_10TailNumberE0ENSE_INSF_IJNSG_INSF_IJiiEEENSF_IJiSN_EEELb0EEENSV_IS2N_Lb0EEENST_IiEEEEENSF_IJS14_S2E_NS5_IJLi1EEEEEEENSF_IJNS5_IJLi1ELi2EEEENS5_IJLi3ELi4EEEES17_EEENS5_IJLi3ELi5ELi4EEEElEES1O_NS_35ThreadGroupTensorSliceTransfer_v4r1INS_15ThisThreadBlockILi256EEENS_16tensor_operation12element_wise11PassThroughES35_LNS_25InMemoryDataOperationEnumE0ENS5_IJLi8ELi256ELi16EEEENS5_IJLi8ELi32ELi1EEEENS5_IJLi1ELi0ELi2EEEESC_SC_RKS2Z_KS1O_S39_NS5_IJLi0ELi1ELi2EEEELi2ELi2ELi16ELi16ELi1ELi1ELb0ELb1ELi2EiEENS_13DynamicBufferILNS_16AddressSpaceEnumE1EKSC_lLb1ELNS_22AmdBufferCoherenceEnumE0EiEENSF_IJNS3F_ILS3G_2ESC_S1N_Lb1ELS3I_0EiEES3K_EEENSF_IJiiiEEENSE_INSF_IJNSG_INSF_IJiiiiEEENSF_IJiiiSN_EEELb0EEEEEES1T_S1V_S1U_lEENS_32ThreadwiseTensorSliceTransfer_v2ISD_SD_RKS3R_KS1X_NS5_IJLi8ELi1ELi1ELi32EEEENS5_IJLi1ELi2ELi0ELi3EEEELi3ELi32ELi0ELb1ELb0ELb0EEENS3F_ILS3G_1EKSD_lLb1ELS3I_0EiEENSF_IJNS_12StaticBufferILS3G_4ESD_Li256ELb1EEES42_EEES3N_NS_25StaticBufferTupleOfVectorILS3G_4EfLi64ELi4ELb1ELb0EEEEEvRKT1_RKT2_RT3_RKT4_RT5_RKT6_RKT7_RT8_RKT9_RT10_RKT11_RT12_iENKUlT_T0_E_clISN_NSH_IiLi0EEEEEDaS51_S52_ENKUlS51_E_clISN_EEDaS51_EUlS51_E_EEvS51_EUlS51_E_EEvS51_
	.type	_ZNK2ck6detail7applierIiJLi0ELi1ELi2ELi3ELi4ELi5ELi6ELi7EEEclIZNKS_11static_fordINS_8SequenceIJLi1ELi8EEEENS5_IJLi0ELi1EEEEEclIZZZNKS_52BlockwiseGemmXdlops_pipeline_bpreshuffle_bdequant_v3ILNS_26BlockGemmPipelineSchedulerE0ELi256ENS_9f8_fnuz_tENS_7pk_i4_tESC_fNS_16TensorDescriptorINS_5TupleIJNS_5EmbedINSF_IJNS_17integral_constantIiLi8EEENSH_IiLi256EEENSH_IiLi16EEEEEENSF_IJSK_NSH_IiLi128EEENSH_IiLi1EEEEEELb0EEENS_3XorINSF_IJSJ_SI_EEELb1EEENS_11PassThroughISK_EENS_7UnMergeINSF_IJSI_SN_EEELb0EEENST_ISJ_EESU_NST_ISI_EENS_21Merge_v3_division_modINSF_IJSJ_SN_EEEEESU_EEENSF_IJNS5_IJLi0EEEENS5_IJLi2ELi1EEEENS5_IJLi3EEEENS5_IJLi5EEEENS5_IJLi4EEEENS5_IJLi6EEEENS5_IJLi7EEEENS5_IJLi9ELi8EEEENS5_IJLi10EEEEEEENSF_IJNS5_IJLi1ELi2ELi3EEEENS5_IJLi4ELi5EEEES19_NS5_IJLi7ELi8EEEENS5_IJLi9EEEES1C_NS5_IJLi11EEEENS5_IJLi12EEEENS5_IJLi13EEEEEEENS5_IJLi11ELi12ELi13EEEENSH_IlLl32768EEEEENSE_INSF_IJNSV_INSF_IJSI_SN_SN_NSH_IiLi32EEEEEELb0EEEEEENSF_IJS14_EEENSF_IJNS5_IJLi1ELi2ELi3ELi4EEEEEEES1U_NSH_IlLl256EEEEENSE_INSF_IJSP_SS_SU_SX_SY_SU_SZ_S12_SU_NS10_INSF_IJSI_SK_EEEEENSV_INSF_IJSI_NSH_IiLi2EEESK_EEELb0EEEEEENSF_IJS14_S15_S16_S17_S18_S19_S1A_S1B_S1C_NS5_IJLi11ELi13EEEES1J_EEENSF_IJS1E_S1F_S19_S1G_S1H_S1C_S1I_S1J_S1K_NS5_IJLi14EEEENS5_IJLi15ELi16ELi17EEEEEEENS5_IJLi15ELi16ELi17ELi14EEEES1N_EENSE_INSF_IJS1R_NS10_ISW_EES22_EEENSF_IJS14_NS5_IJLi1ELi3EEEENS5_IJLi2EEEEEEENSF_IJS1U_S17_NS5_IJLi6ELi7ELi8EEEEEEENS5_IJLi6ELi7ELi8ELi5EEEES1W_EELi16ELi32ELi256ELi256ELi128ELi16ELi16ELi8ELi8ELi32ELb0EE3RunILb1ELNS_10TailNumberE0ENSE_INSF_IJNSG_INSF_IJiiEEENSF_IJiSN_EEELb0EEENSV_IS2N_Lb0EEENST_IiEEEEENSF_IJS14_S2E_NS5_IJLi1EEEEEEENSF_IJNS5_IJLi1ELi2EEEENS5_IJLi3ELi4EEEES17_EEENS5_IJLi3ELi5ELi4EEEElEES1O_NS_35ThreadGroupTensorSliceTransfer_v4r1INS_15ThisThreadBlockILi256EEENS_16tensor_operation12element_wise11PassThroughES35_LNS_25InMemoryDataOperationEnumE0ENS5_IJLi8ELi256ELi16EEEENS5_IJLi8ELi32ELi1EEEENS5_IJLi1ELi0ELi2EEEESC_SC_RKS2Z_KS1O_S39_NS5_IJLi0ELi1ELi2EEEELi2ELi2ELi16ELi16ELi1ELi1ELb0ELb1ELi2EiEENS_13DynamicBufferILNS_16AddressSpaceEnumE1EKSC_lLb1ELNS_22AmdBufferCoherenceEnumE0EiEENSF_IJNS3F_ILS3G_2ESC_S1N_Lb1ELS3I_0EiEES3K_EEENSF_IJiiiEEENSE_INSF_IJNSG_INSF_IJiiiiEEENSF_IJiiiSN_EEELb0EEEEEES1T_S1V_S1U_lEENS_32ThreadwiseTensorSliceTransfer_v2ISD_SD_RKS3R_KS1X_NS5_IJLi8ELi1ELi1ELi32EEEENS5_IJLi1ELi2ELi0ELi3EEEELi3ELi32ELi0ELb1ELb0ELb0EEENS3F_ILS3G_1EKSD_lLb1ELS3I_0EiEENSF_IJNS_12StaticBufferILS3G_4ESD_Li256ELb1EEES42_EEES3N_NS_25StaticBufferTupleOfVectorILS3G_4EfLi64ELi4ELb1ELb0EEEEEvRKT1_RKT2_RT3_RKT4_RT5_RKT6_RKT7_RT8_RKT9_RT10_RKT11_RT12_iENKUlT_T0_E_clISN_NSH_IiLi0EEEEEDaS51_S52_ENKUlS51_E_clISN_EEDaS51_EUlS51_E_EEvS51_EUlS51_E_EEvS51_,@function
_ZNK2ck6detail7applierIiJLi0ELi1ELi2ELi3ELi4ELi5ELi6ELi7EEEclIZNKS_11static_fordINS_8SequenceIJLi1ELi8EEEENS5_IJLi0ELi1EEEEEclIZZZNKS_52BlockwiseGemmXdlops_pipeline_bpreshuffle_bdequant_v3ILNS_26BlockGemmPipelineSchedulerE0ELi256ENS_9f8_fnuz_tENS_7pk_i4_tESC_fNS_16TensorDescriptorINS_5TupleIJNS_5EmbedINSF_IJNS_17integral_constantIiLi8EEENSH_IiLi256EEENSH_IiLi16EEEEEENSF_IJSK_NSH_IiLi128EEENSH_IiLi1EEEEEELb0EEENS_3XorINSF_IJSJ_SI_EEELb1EEENS_11PassThroughISK_EENS_7UnMergeINSF_IJSI_SN_EEELb0EEENST_ISJ_EESU_NST_ISI_EENS_21Merge_v3_division_modINSF_IJSJ_SN_EEEEESU_EEENSF_IJNS5_IJLi0EEEENS5_IJLi2ELi1EEEENS5_IJLi3EEEENS5_IJLi5EEEENS5_IJLi4EEEENS5_IJLi6EEEENS5_IJLi7EEEENS5_IJLi9ELi8EEEENS5_IJLi10EEEEEEENSF_IJNS5_IJLi1ELi2ELi3EEEENS5_IJLi4ELi5EEEES19_NS5_IJLi7ELi8EEEENS5_IJLi9EEEES1C_NS5_IJLi11EEEENS5_IJLi12EEEENS5_IJLi13EEEEEEENS5_IJLi11ELi12ELi13EEEENSH_IlLl32768EEEEENSE_INSF_IJNSV_INSF_IJSI_SN_SN_NSH_IiLi32EEEEEELb0EEEEEENSF_IJS14_EEENSF_IJNS5_IJLi1ELi2ELi3ELi4EEEEEEES1U_NSH_IlLl256EEEEENSE_INSF_IJSP_SS_SU_SX_SY_SU_SZ_S12_SU_NS10_INSF_IJSI_SK_EEEEENSV_INSF_IJSI_NSH_IiLi2EEESK_EEELb0EEEEEENSF_IJS14_S15_S16_S17_S18_S19_S1A_S1B_S1C_NS5_IJLi11ELi13EEEES1J_EEENSF_IJS1E_S1F_S19_S1G_S1H_S1C_S1I_S1J_S1K_NS5_IJLi14EEEENS5_IJLi15ELi16ELi17EEEEEEENS5_IJLi15ELi16ELi17ELi14EEEES1N_EENSE_INSF_IJS1R_NS10_ISW_EES22_EEENSF_IJS14_NS5_IJLi1ELi3EEEENS5_IJLi2EEEEEEENSF_IJS1U_S17_NS5_IJLi6ELi7ELi8EEEEEEENS5_IJLi6ELi7ELi8ELi5EEEES1W_EELi16ELi32ELi256ELi256ELi128ELi16ELi16ELi8ELi8ELi32ELb0EE3RunILb1ELNS_10TailNumberE0ENSE_INSF_IJNSG_INSF_IJiiEEENSF_IJiSN_EEELb0EEENSV_IS2N_Lb0EEENST_IiEEEEENSF_IJS14_S2E_NS5_IJLi1EEEEEEENSF_IJNS5_IJLi1ELi2EEEENS5_IJLi3ELi4EEEES17_EEENS5_IJLi3ELi5ELi4EEEElEES1O_NS_35ThreadGroupTensorSliceTransfer_v4r1INS_15ThisThreadBlockILi256EEENS_16tensor_operation12element_wise11PassThroughES35_LNS_25InMemoryDataOperationEnumE0ENS5_IJLi8ELi256ELi16EEEENS5_IJLi8ELi32ELi1EEEENS5_IJLi1ELi0ELi2EEEESC_SC_RKS2Z_KS1O_S39_NS5_IJLi0ELi1ELi2EEEELi2ELi2ELi16ELi16ELi1ELi1ELb0ELb1ELi2EiEENS_13DynamicBufferILNS_16AddressSpaceEnumE1EKSC_lLb1ELNS_22AmdBufferCoherenceEnumE0EiEENSF_IJNS3F_ILS3G_2ESC_S1N_Lb1ELS3I_0EiEES3K_EEENSF_IJiiiEEENSE_INSF_IJNSG_INSF_IJiiiiEEENSF_IJiiiSN_EEELb0EEEEEES1T_S1V_S1U_lEENS_32ThreadwiseTensorSliceTransfer_v2ISD_SD_RKS3R_KS1X_NS5_IJLi8ELi1ELi1ELi32EEEENS5_IJLi1ELi2ELi0ELi3EEEELi3ELi32ELi0ELb1ELb0ELb0EEENS3F_ILS3G_1EKSD_lLb1ELS3I_0EiEENSF_IJNS_12StaticBufferILS3G_4ESD_Li256ELb1EEES42_EEES3N_NS_25StaticBufferTupleOfVectorILS3G_4EfLi64ELi4ELb1ELb0EEEEEvRKT1_RKT2_RT3_RKT4_RT5_RKT6_RKT7_RT8_RKT9_RT10_RKT11_RT12_iENKUlT_T0_E_clISN_NSH_IiLi0EEEEEDaS51_S52_ENKUlS51_E_clISN_EEDaS51_EUlS51_E_EEvS51_EUlS51_E_EEvS51_: ; @_ZNK2ck6detail7applierIiJLi0ELi1ELi2ELi3ELi4ELi5ELi6ELi7EEEclIZNKS_11static_fordINS_8SequenceIJLi1ELi8EEEENS5_IJLi0ELi1EEEEEclIZZZNKS_52BlockwiseGemmXdlops_pipeline_bpreshuffle_bdequant_v3ILNS_26BlockGemmPipelineSchedulerE0ELi256ENS_9f8_fnuz_tENS_7pk_i4_tESC_fNS_16TensorDescriptorINS_5TupleIJNS_5EmbedINSF_IJNS_17integral_constantIiLi8EEENSH_IiLi256EEENSH_IiLi16EEEEEENSF_IJSK_NSH_IiLi128EEENSH_IiLi1EEEEEELb0EEENS_3XorINSF_IJSJ_SI_EEELb1EEENS_11PassThroughISK_EENS_7UnMergeINSF_IJSI_SN_EEELb0EEENST_ISJ_EESU_NST_ISI_EENS_21Merge_v3_division_modINSF_IJSJ_SN_EEEEESU_EEENSF_IJNS5_IJLi0EEEENS5_IJLi2ELi1EEEENS5_IJLi3EEEENS5_IJLi5EEEENS5_IJLi4EEEENS5_IJLi6EEEENS5_IJLi7EEEENS5_IJLi9ELi8EEEENS5_IJLi10EEEEEEENSF_IJNS5_IJLi1ELi2ELi3EEEENS5_IJLi4ELi5EEEES19_NS5_IJLi7ELi8EEEENS5_IJLi9EEEES1C_NS5_IJLi11EEEENS5_IJLi12EEEENS5_IJLi13EEEEEEENS5_IJLi11ELi12ELi13EEEENSH_IlLl32768EEEEENSE_INSF_IJNSV_INSF_IJSI_SN_SN_NSH_IiLi32EEEEEELb0EEEEEENSF_IJS14_EEENSF_IJNS5_IJLi1ELi2ELi3ELi4EEEEEEES1U_NSH_IlLl256EEEEENSE_INSF_IJSP_SS_SU_SX_SY_SU_SZ_S12_SU_NS10_INSF_IJSI_SK_EEEEENSV_INSF_IJSI_NSH_IiLi2EEESK_EEELb0EEEEEENSF_IJS14_S15_S16_S17_S18_S19_S1A_S1B_S1C_NS5_IJLi11ELi13EEEES1J_EEENSF_IJS1E_S1F_S19_S1G_S1H_S1C_S1I_S1J_S1K_NS5_IJLi14EEEENS5_IJLi15ELi16ELi17EEEEEEENS5_IJLi15ELi16ELi17ELi14EEEES1N_EENSE_INSF_IJS1R_NS10_ISW_EES22_EEENSF_IJS14_NS5_IJLi1ELi3EEEENS5_IJLi2EEEEEEENSF_IJS1U_S17_NS5_IJLi6ELi7ELi8EEEEEEENS5_IJLi6ELi7ELi8ELi5EEEES1W_EELi16ELi32ELi256ELi256ELi128ELi16ELi16ELi8ELi8ELi32ELb0EE3RunILb1ELNS_10TailNumberE0ENSE_INSF_IJNSG_INSF_IJiiEEENSF_IJiSN_EEELb0EEENSV_IS2N_Lb0EEENST_IiEEEEENSF_IJS14_S2E_NS5_IJLi1EEEEEEENSF_IJNS5_IJLi1ELi2EEEENS5_IJLi3ELi4EEEES17_EEENS5_IJLi3ELi5ELi4EEEElEES1O_NS_35ThreadGroupTensorSliceTransfer_v4r1INS_15ThisThreadBlockILi256EEENS_16tensor_operation12element_wise11PassThroughES35_LNS_25InMemoryDataOperationEnumE0ENS5_IJLi8ELi256ELi16EEEENS5_IJLi8ELi32ELi1EEEENS5_IJLi1ELi0ELi2EEEESC_SC_RKS2Z_KS1O_S39_NS5_IJLi0ELi1ELi2EEEELi2ELi2ELi16ELi16ELi1ELi1ELb0ELb1ELi2EiEENS_13DynamicBufferILNS_16AddressSpaceEnumE1EKSC_lLb1ELNS_22AmdBufferCoherenceEnumE0EiEENSF_IJNS3F_ILS3G_2ESC_S1N_Lb1ELS3I_0EiEES3K_EEENSF_IJiiiEEENSE_INSF_IJNSG_INSF_IJiiiiEEENSF_IJiiiSN_EEELb0EEEEEES1T_S1V_S1U_lEENS_32ThreadwiseTensorSliceTransfer_v2ISD_SD_RKS3R_KS1X_NS5_IJLi8ELi1ELi1ELi32EEEENS5_IJLi1ELi2ELi0ELi3EEEELi3ELi32ELi0ELb1ELb0ELb0EEENS3F_ILS3G_1EKSD_lLb1ELS3I_0EiEENSF_IJNS_12StaticBufferILS3G_4ESD_Li256ELb1EEES42_EEES3N_NS_25StaticBufferTupleOfVectorILS3G_4EfLi64ELi4ELb1ELb0EEEEEvRKT1_RKT2_RT3_RKT4_RT5_RKT6_RKT7_RT8_RKT9_RT10_RKT11_RT12_iENKUlT_T0_E_clISN_NSH_IiLi0EEEEEDaS51_S52_ENKUlS51_E_clISN_EEDaS51_EUlS51_E_EEvS51_EUlS51_E_EEvS51_
; %bb.0:
	s_waitcnt vmcnt(0) expcnt(0) lgkmcnt(0)
	flat_load_dwordx4 v[20:23], v[0:1] offset:16
	flat_load_dwordx2 v[18:19], v[0:1] offset:32
	s_movk_i32 s4, 0x7f
                                        ; implicit-def: $sgpr10
	s_waitcnt vmcnt(0) lgkmcnt(0)
	flat_load_dwordx4 v[14:17], v[20:21] offset:32
	flat_load_dwordx4 v[6:9], v[20:21] offset:48
	;; [unrolled: 1-line block ×4, first 2 shown]
	s_waitcnt vmcnt(0) lgkmcnt(0)
	v_cmp_gt_i16_sdwa s[6:7], v14, s4 src0_sel:BYTE_0 src1_sel:DWORD
	s_mov_b64 s[4:5], 0
	s_and_saveexec_b64 s[8:9], s[6:7]
	s_xor_b64 s[6:7], exec, s[8:9]
	s_cbranch_execnz .LBB11_2049
; %bb.1:
	s_or_saveexec_b64 s[6:7], s[6:7]
	v_mov_b32_e32 v20, s10
	s_xor_b64 exec, exec, s[6:7]
	s_cbranch_execnz .LBB11_2052
.LBB11_2:
	s_or_b64 exec, exec, s[6:7]
	s_and_saveexec_b64 s[6:7], s[4:5]
	s_cbranch_execz .LBB11_4
.LBB11_3:
	v_and_b32_e32 v20, 7, v14
	v_ffbh_u32_e32 v22, v20
	v_min_u32_e32 v22, 32, v22
	v_lshrrev_b16_e32 v21, 3, v14
	v_subrev_u32_e32 v23, 28, v22
	v_and_b32_e32 v21, 15, v21
	v_lshlrev_b32_e32 v23, v23, v14
	v_sub_u32_e32 v22, 29, v22
	v_and_b32_e32 v23, 7, v23
	v_cmp_eq_u16_e32 vcc, 0, v21
	v_cndmask_b32_e32 v20, v20, v23, vcc
	v_cndmask_b32_e32 v21, v21, v22, vcc
	v_lshlrev_b32_e32 v22, 24, v14
	v_mov_b32_e32 v23, 0x3b800000
	v_lshlrev_b32_e32 v20, 20, v20
	v_and_b32_e32 v22, 0x80000000, v22
	v_lshl_add_u32 v21, v21, 23, v23
	v_or3_b32 v20, v22, v21, v20
.LBB11_4:
	s_or_b64 exec, exec, s[6:7]
	s_movk_i32 s4, 0x7f
	v_cmp_gt_i16_sdwa s[6:7], v10, s4 src0_sel:BYTE_0 src1_sel:DWORD
	s_mov_b64 s[4:5], 0
                                        ; implicit-def: $sgpr10
	s_and_saveexec_b64 s[8:9], s[6:7]
	s_xor_b64 s[6:7], exec, s[8:9]
	s_cbranch_execnz .LBB11_2053
; %bb.5:
	s_or_saveexec_b64 s[6:7], s[6:7]
	v_mov_b32_e32 v21, s10
	s_xor_b64 exec, exec, s[6:7]
	s_cbranch_execnz .LBB11_2056
.LBB11_6:
	s_or_b64 exec, exec, s[6:7]
	s_and_saveexec_b64 s[6:7], s[4:5]
	s_cbranch_execz .LBB11_8
.LBB11_7:
	v_and_b32_e32 v21, 7, v10
	v_ffbh_u32_e32 v23, v21
	v_min_u32_e32 v23, 32, v23
	v_lshrrev_b16_e32 v22, 3, v10
	v_subrev_u32_e32 v24, 28, v23
	v_and_b32_e32 v22, 15, v22
	v_lshlrev_b32_e32 v24, v24, v10
	v_sub_u32_e32 v23, 29, v23
	v_and_b32_e32 v24, 7, v24
	v_cmp_eq_u16_e32 vcc, 0, v22
	v_cndmask_b32_e32 v21, v21, v24, vcc
	v_cndmask_b32_e32 v22, v22, v23, vcc
	v_lshlrev_b32_e32 v23, 24, v10
	v_mov_b32_e32 v24, 0x3b800000
	v_lshlrev_b32_e32 v21, 20, v21
	v_and_b32_e32 v23, 0x80000000, v23
	v_lshl_add_u32 v22, v22, 23, v24
	v_or3_b32 v21, v23, v22, v21
.LBB11_8:
	s_or_b64 exec, exec, s[6:7]
	flat_load_dwordx4 a[0:3], v[18:19] offset:128
	s_movk_i32 s4, 0x7f
                                        ; implicit-def: $sgpr10
	s_waitcnt vmcnt(0) lgkmcnt(0)
	v_mfma_f32_16x16x4f32 a[0:3], v20, v21, a[0:3]
	v_lshrrev_b32_e32 v21, 8, v14
	v_cmp_gt_i16_sdwa s[6:7], v21, s4 src0_sel:BYTE_0 src1_sel:DWORD
	s_mov_b64 s[4:5], 0
	s_and_saveexec_b64 s[8:9], s[6:7]
	s_xor_b64 s[6:7], exec, s[8:9]
	s_cbranch_execnz .LBB11_2057
; %bb.9:
	s_or_saveexec_b64 s[6:7], s[6:7]
	v_mov_b32_e32 v20, s10
	s_xor_b64 exec, exec, s[6:7]
	s_cbranch_execnz .LBB11_2060
.LBB11_10:
	s_or_b64 exec, exec, s[6:7]
	s_and_saveexec_b64 s[6:7], s[4:5]
	s_cbranch_execz .LBB11_12
.LBB11_11:
	v_bfe_u32 v20, v14, 8, 3
	v_ffbh_u32_e32 v23, v20
	v_min_u32_e32 v23, 32, v23
	v_lshrrev_b16_e32 v22, 3, v21
	v_subrev_u32_e32 v24, 28, v23
	v_and_b32_e32 v22, 15, v22
	v_lshlrev_b32_e32 v21, v24, v21
	v_sub_u32_e32 v23, 29, v23
	v_and_b32_e32 v21, 7, v21
	v_cmp_eq_u16_e32 vcc, 0, v22
	v_cndmask_b32_e32 v20, v20, v21, vcc
	v_cndmask_b32_e32 v21, v22, v23, vcc
	v_lshlrev_b32_e32 v22, 16, v14
	v_mov_b32_e32 v23, 0x3b800000
	v_lshlrev_b32_e32 v20, 20, v20
	v_and_b32_e32 v22, 0x80000000, v22
	v_lshl_add_u32 v21, v21, 23, v23
	v_or3_b32 v20, v22, v21, v20
.LBB11_12:
	s_or_b64 exec, exec, s[6:7]
	v_lshrrev_b32_e32 v21, 8, v10
	s_movk_i32 s4, 0x7f
	v_cmp_gt_i16_sdwa s[6:7], v21, s4 src0_sel:BYTE_0 src1_sel:DWORD
	s_mov_b64 s[4:5], 0
                                        ; implicit-def: $sgpr10
	s_and_saveexec_b64 s[8:9], s[6:7]
	s_xor_b64 s[6:7], exec, s[8:9]
	s_cbranch_execnz .LBB11_2061
; %bb.13:
	s_or_saveexec_b64 s[6:7], s[6:7]
	v_mov_b32_e32 v22, s10
	s_xor_b64 exec, exec, s[6:7]
	s_cbranch_execnz .LBB11_2064
.LBB11_14:
	s_or_b64 exec, exec, s[6:7]
	s_and_saveexec_b64 s[6:7], s[4:5]
	s_cbranch_execz .LBB11_16
.LBB11_15:
	v_bfe_u32 v22, v10, 8, 3
	v_ffbh_u32_e32 v24, v22
	v_min_u32_e32 v24, 32, v24
	v_lshrrev_b16_e32 v23, 3, v21
	v_subrev_u32_e32 v25, 28, v24
	v_and_b32_e32 v23, 15, v23
	v_lshlrev_b32_e32 v21, v25, v21
	v_sub_u32_e32 v24, 29, v24
	v_and_b32_e32 v21, 7, v21
	v_cmp_eq_u16_e32 vcc, 0, v23
	v_cndmask_b32_e32 v21, v22, v21, vcc
	v_cndmask_b32_e32 v22, v23, v24, vcc
	v_lshlrev_b32_e32 v23, 16, v10
	v_mov_b32_e32 v24, 0x3b800000
	v_lshlrev_b32_e32 v21, 20, v21
	v_and_b32_e32 v23, 0x80000000, v23
	v_lshl_add_u32 v22, v22, 23, v24
	v_or3_b32 v22, v23, v22, v21
.LBB11_16:
	s_or_b64 exec, exec, s[6:7]
	s_nop 0
	v_mfma_f32_16x16x4f32 a[0:3], v20, v22, a[0:3]
	s_movk_i32 s4, 0xff
	v_and_b32_sdwa v21, v14, s4 dst_sel:DWORD dst_unused:UNUSED_PAD src0_sel:WORD_1 src1_sel:DWORD
	s_movk_i32 s4, 0x7f
	v_cmp_lt_i16_e32 vcc, s4, v21
	s_mov_b64 s[4:5], 0
                                        ; implicit-def: $sgpr10
	s_and_saveexec_b64 s[6:7], vcc
	s_xor_b64 s[6:7], exec, s[6:7]
	s_cbranch_execnz .LBB11_2065
; %bb.17:
	s_or_saveexec_b64 s[6:7], s[6:7]
	v_mov_b32_e32 v20, s10
	s_xor_b64 exec, exec, s[6:7]
	s_cbranch_execnz .LBB11_2068
.LBB11_18:
	s_or_b64 exec, exec, s[6:7]
	s_and_saveexec_b64 s[6:7], s[4:5]
	s_cbranch_execz .LBB11_20
.LBB11_19:
	v_bfe_u32 v20, v14, 16, 3
	v_ffbh_u32_e32 v23, v20
	v_min_u32_e32 v23, 32, v23
	v_lshrrev_b32_e32 v21, 19, v14
	v_subrev_u32_e32 v24, 28, v23
	v_and_b32_e32 v21, 15, v21
	v_lshlrev_b32_sdwa v24, v24, v14 dst_sel:DWORD dst_unused:UNUSED_PAD src0_sel:DWORD src1_sel:WORD_1
	v_bfe_u32 v22, v14, 19, 4
	v_sub_u32_e32 v23, 29, v23
	v_and_b32_e32 v24, 7, v24
	v_cmp_eq_u16_e32 vcc, 0, v21
	v_cndmask_b32_e32 v20, v20, v24, vcc
	v_cndmask_b32_e32 v21, v22, v23, vcc
	v_lshlrev_b32_e32 v22, 8, v14
	v_mov_b32_e32 v23, 0x3b800000
	v_lshlrev_b32_e32 v20, 20, v20
	v_and_b32_e32 v22, 0x80000000, v22
	v_lshl_add_u32 v21, v21, 23, v23
	v_or3_b32 v20, v22, v21, v20
.LBB11_20:
	s_or_b64 exec, exec, s[6:7]
	s_movk_i32 s4, 0xff
	v_and_b32_sdwa v21, v10, s4 dst_sel:DWORD dst_unused:UNUSED_PAD src0_sel:WORD_1 src1_sel:DWORD
	s_movk_i32 s4, 0x7f
	v_cmp_lt_i16_e32 vcc, s4, v21
	s_mov_b64 s[4:5], 0
                                        ; implicit-def: $sgpr10
	s_and_saveexec_b64 s[6:7], vcc
	s_xor_b64 s[6:7], exec, s[6:7]
	s_cbranch_execnz .LBB11_2069
; %bb.21:
	s_or_saveexec_b64 s[6:7], s[6:7]
	v_mov_b32_e32 v22, s10
	s_xor_b64 exec, exec, s[6:7]
	s_cbranch_execnz .LBB11_2072
.LBB11_22:
	s_or_b64 exec, exec, s[6:7]
	s_and_saveexec_b64 s[6:7], s[4:5]
	s_cbranch_execz .LBB11_24
.LBB11_23:
	v_bfe_u32 v21, v10, 16, 3
	v_ffbh_u32_e32 v24, v21
	v_min_u32_e32 v24, 32, v24
	v_lshrrev_b32_e32 v22, 19, v10
	v_subrev_u32_e32 v25, 28, v24
	v_and_b32_e32 v22, 15, v22
	v_lshlrev_b32_sdwa v25, v25, v10 dst_sel:DWORD dst_unused:UNUSED_PAD src0_sel:DWORD src1_sel:WORD_1
	v_bfe_u32 v23, v10, 19, 4
	v_sub_u32_e32 v24, 29, v24
	v_and_b32_e32 v25, 7, v25
	v_cmp_eq_u16_e32 vcc, 0, v22
	v_cndmask_b32_e32 v21, v21, v25, vcc
	v_cndmask_b32_e32 v22, v23, v24, vcc
	v_lshlrev_b32_e32 v23, 8, v10
	v_mov_b32_e32 v24, 0x3b800000
	v_lshlrev_b32_e32 v21, 20, v21
	v_and_b32_e32 v23, 0x80000000, v23
	v_lshl_add_u32 v22, v22, 23, v24
	v_or3_b32 v22, v23, v22, v21
.LBB11_24:
	s_or_b64 exec, exec, s[6:7]
	s_nop 0
	v_mfma_f32_16x16x4f32 a[0:3], v20, v22, a[0:3]
	s_movk_i32 s4, 0x7f
	v_cmp_gt_i16_sdwa s[6:7], v14, s4 src0_sel:BYTE_3 src1_sel:DWORD
	s_mov_b64 s[4:5], 0
                                        ; implicit-def: $sgpr10
	s_and_saveexec_b64 s[8:9], s[6:7]
	s_xor_b64 s[6:7], exec, s[8:9]
	s_cbranch_execnz .LBB11_2073
; %bb.25:
	s_or_saveexec_b64 s[6:7], s[6:7]
	v_mov_b32_e32 v20, s10
	s_xor_b64 exec, exec, s[6:7]
	s_cbranch_execnz .LBB11_2076
.LBB11_26:
	s_or_b64 exec, exec, s[6:7]
	s_and_saveexec_b64 s[6:7], s[4:5]
	s_cbranch_execz .LBB11_28
.LBB11_27:
	v_bfe_u32 v20, v14, 24, 3
	v_ffbh_u32_e32 v24, v20
	v_min_u32_e32 v24, 32, v24
	v_lshrrev_b32_e32 v22, 27, v14
	v_subrev_u32_e32 v25, 28, v24
	v_and_b32_e32 v21, 0x80000000, v14
	v_and_b32_e32 v22, 15, v22
	v_bfe_u32 v23, v14, 27, 4
	v_lshlrev_b32_sdwa v14, v25, v14 dst_sel:DWORD dst_unused:UNUSED_PAD src0_sel:DWORD src1_sel:BYTE_3
	v_sub_u32_e32 v24, 29, v24
	v_and_b32_e32 v14, 7, v14
	v_cmp_eq_u16_e32 vcc, 0, v22
	v_cndmask_b32_e32 v14, v20, v14, vcc
	v_cndmask_b32_e32 v20, v23, v24, vcc
	v_mov_b32_e32 v22, 0x3b800000
	v_lshlrev_b32_e32 v14, 20, v14
	v_lshl_add_u32 v20, v20, 23, v22
	v_or3_b32 v20, v21, v20, v14
.LBB11_28:
	s_or_b64 exec, exec, s[6:7]
	s_movk_i32 s4, 0x7f
	v_cmp_gt_i16_sdwa s[6:7], v10, s4 src0_sel:BYTE_3 src1_sel:DWORD
	s_mov_b64 s[4:5], 0
                                        ; implicit-def: $sgpr10
	s_and_saveexec_b64 s[8:9], s[6:7]
	s_xor_b64 s[6:7], exec, s[8:9]
	s_cbranch_execnz .LBB11_2077
; %bb.29:
	s_or_saveexec_b64 s[6:7], s[6:7]
	v_mov_b32_e32 v14, s10
	s_xor_b64 exec, exec, s[6:7]
	s_cbranch_execnz .LBB11_2080
.LBB11_30:
	s_or_b64 exec, exec, s[6:7]
	s_and_saveexec_b64 s[6:7], s[4:5]
	s_cbranch_execz .LBB11_32
.LBB11_31:
	v_bfe_u32 v14, v10, 24, 3
	v_ffbh_u32_e32 v24, v14
	v_min_u32_e32 v24, 32, v24
	v_lshrrev_b32_e32 v22, 27, v10
	v_subrev_u32_e32 v25, 28, v24
	v_and_b32_e32 v21, 0x80000000, v10
	v_and_b32_e32 v22, 15, v22
	v_bfe_u32 v23, v10, 27, 4
	v_lshlrev_b32_sdwa v10, v25, v10 dst_sel:DWORD dst_unused:UNUSED_PAD src0_sel:DWORD src1_sel:BYTE_3
	v_sub_u32_e32 v24, 29, v24
	v_and_b32_e32 v10, 7, v10
	v_cmp_eq_u16_e32 vcc, 0, v22
	v_cndmask_b32_e32 v10, v14, v10, vcc
	v_cndmask_b32_e32 v14, v23, v24, vcc
	v_mov_b32_e32 v22, 0x3b800000
	v_lshlrev_b32_e32 v10, 20, v10
	v_lshl_add_u32 v14, v14, 23, v22
	v_or3_b32 v14, v21, v14, v10
.LBB11_32:
	s_or_b64 exec, exec, s[6:7]
	s_nop 0
	v_mfma_f32_16x16x4f32 a[0:3], v20, v14, a[0:3]
	s_movk_i32 s4, 0x7f
	v_cmp_gt_i16_sdwa s[6:7], v15, s4 src0_sel:BYTE_0 src1_sel:DWORD
	s_mov_b64 s[4:5], 0
                                        ; implicit-def: $sgpr10
	s_and_saveexec_b64 s[8:9], s[6:7]
	s_xor_b64 s[6:7], exec, s[8:9]
	s_cbranch_execnz .LBB11_2081
; %bb.33:
	s_or_saveexec_b64 s[6:7], s[6:7]
	v_mov_b32_e32 v10, s10
	s_xor_b64 exec, exec, s[6:7]
	s_cbranch_execnz .LBB11_2084
.LBB11_34:
	s_or_b64 exec, exec, s[6:7]
	s_and_saveexec_b64 s[6:7], s[4:5]
	s_cbranch_execz .LBB11_36
.LBB11_35:
	v_and_b32_e32 v10, 7, v15
	v_ffbh_u32_e32 v20, v10
	v_min_u32_e32 v20, 32, v20
	v_lshrrev_b16_e32 v14, 3, v15
	v_subrev_u32_e32 v21, 28, v20
	v_and_b32_e32 v14, 15, v14
	v_lshlrev_b32_e32 v21, v21, v15
	v_sub_u32_e32 v20, 29, v20
	v_and_b32_e32 v21, 7, v21
	v_cmp_eq_u16_e32 vcc, 0, v14
	v_cndmask_b32_e32 v10, v10, v21, vcc
	v_cndmask_b32_e32 v14, v14, v20, vcc
	v_lshlrev_b32_e32 v20, 24, v15
	v_mov_b32_e32 v21, 0x3b800000
	v_lshlrev_b32_e32 v10, 20, v10
	v_and_b32_e32 v20, 0x80000000, v20
	v_lshl_add_u32 v14, v14, 23, v21
	v_or3_b32 v10, v20, v14, v10
.LBB11_36:
	s_or_b64 exec, exec, s[6:7]
	s_movk_i32 s4, 0x7f
	v_cmp_gt_i16_sdwa s[6:7], v11, s4 src0_sel:BYTE_0 src1_sel:DWORD
	s_mov_b64 s[4:5], 0
                                        ; implicit-def: $sgpr10
	s_and_saveexec_b64 s[8:9], s[6:7]
	s_xor_b64 s[6:7], exec, s[8:9]
	s_cbranch_execnz .LBB11_2085
; %bb.37:
	s_or_saveexec_b64 s[6:7], s[6:7]
	v_mov_b32_e32 v14, s10
	s_xor_b64 exec, exec, s[6:7]
	s_cbranch_execnz .LBB11_2088
.LBB11_38:
	s_or_b64 exec, exec, s[6:7]
	s_and_saveexec_b64 s[6:7], s[4:5]
	s_cbranch_execz .LBB11_40
.LBB11_39:
	v_and_b32_e32 v14, 7, v11
	v_ffbh_u32_e32 v21, v14
	v_min_u32_e32 v21, 32, v21
	v_lshrrev_b16_e32 v20, 3, v11
	v_subrev_u32_e32 v22, 28, v21
	v_and_b32_e32 v20, 15, v20
	v_lshlrev_b32_e32 v22, v22, v11
	v_sub_u32_e32 v21, 29, v21
	v_and_b32_e32 v22, 7, v22
	v_cmp_eq_u16_e32 vcc, 0, v20
	v_cndmask_b32_e32 v14, v14, v22, vcc
	v_cndmask_b32_e32 v20, v20, v21, vcc
	v_lshlrev_b32_e32 v21, 24, v11
	v_mov_b32_e32 v22, 0x3b800000
	v_lshlrev_b32_e32 v14, 20, v14
	v_and_b32_e32 v21, 0x80000000, v21
	v_lshl_add_u32 v20, v20, 23, v22
	v_or3_b32 v14, v21, v20, v14
.LBB11_40:
	s_or_b64 exec, exec, s[6:7]
	s_nop 0
	v_mfma_f32_16x16x4f32 a[0:3], v10, v14, a[0:3]
	v_lshrrev_b32_e32 v14, 8, v15
	s_movk_i32 s4, 0x7f
	v_cmp_gt_i16_sdwa s[6:7], v14, s4 src0_sel:BYTE_0 src1_sel:DWORD
	s_mov_b64 s[4:5], 0
                                        ; implicit-def: $sgpr10
	s_and_saveexec_b64 s[8:9], s[6:7]
	s_xor_b64 s[6:7], exec, s[8:9]
	s_cbranch_execnz .LBB11_2089
; %bb.41:
	s_or_saveexec_b64 s[6:7], s[6:7]
	v_mov_b32_e32 v10, s10
	s_xor_b64 exec, exec, s[6:7]
	s_cbranch_execnz .LBB11_2092
.LBB11_42:
	s_or_b64 exec, exec, s[6:7]
	s_and_saveexec_b64 s[6:7], s[4:5]
	s_cbranch_execz .LBB11_44
.LBB11_43:
	v_bfe_u32 v10, v15, 8, 3
	v_ffbh_u32_e32 v21, v10
	v_min_u32_e32 v21, 32, v21
	v_lshrrev_b16_e32 v20, 3, v14
	v_subrev_u32_e32 v22, 28, v21
	v_and_b32_e32 v20, 15, v20
	v_lshlrev_b32_e32 v14, v22, v14
	v_sub_u32_e32 v21, 29, v21
	v_and_b32_e32 v14, 7, v14
	v_cmp_eq_u16_e32 vcc, 0, v20
	v_cndmask_b32_e32 v10, v10, v14, vcc
	v_cndmask_b32_e32 v14, v20, v21, vcc
	v_lshlrev_b32_e32 v20, 16, v15
	v_mov_b32_e32 v21, 0x3b800000
	v_lshlrev_b32_e32 v10, 20, v10
	v_and_b32_e32 v20, 0x80000000, v20
	v_lshl_add_u32 v14, v14, 23, v21
	v_or3_b32 v10, v20, v14, v10
.LBB11_44:
	s_or_b64 exec, exec, s[6:7]
	v_lshrrev_b32_e32 v14, 8, v11
	s_movk_i32 s4, 0x7f
	v_cmp_gt_i16_sdwa s[6:7], v14, s4 src0_sel:BYTE_0 src1_sel:DWORD
	s_mov_b64 s[4:5], 0
                                        ; implicit-def: $sgpr10
	s_and_saveexec_b64 s[8:9], s[6:7]
	s_xor_b64 s[6:7], exec, s[8:9]
	s_cbranch_execnz .LBB11_2093
; %bb.45:
	s_or_saveexec_b64 s[6:7], s[6:7]
	v_mov_b32_e32 v20, s10
	s_xor_b64 exec, exec, s[6:7]
	s_cbranch_execnz .LBB11_2096
.LBB11_46:
	s_or_b64 exec, exec, s[6:7]
	s_and_saveexec_b64 s[6:7], s[4:5]
	s_cbranch_execz .LBB11_48
.LBB11_47:
	v_bfe_u32 v20, v11, 8, 3
	v_ffbh_u32_e32 v22, v20
	v_min_u32_e32 v22, 32, v22
	v_lshrrev_b16_e32 v21, 3, v14
	v_subrev_u32_e32 v23, 28, v22
	v_and_b32_e32 v21, 15, v21
	v_lshlrev_b32_e32 v14, v23, v14
	v_sub_u32_e32 v22, 29, v22
	v_and_b32_e32 v14, 7, v14
	v_cmp_eq_u16_e32 vcc, 0, v21
	v_cndmask_b32_e32 v14, v20, v14, vcc
	v_cndmask_b32_e32 v20, v21, v22, vcc
	v_lshlrev_b32_e32 v21, 16, v11
	v_mov_b32_e32 v22, 0x3b800000
	v_lshlrev_b32_e32 v14, 20, v14
	v_and_b32_e32 v21, 0x80000000, v21
	v_lshl_add_u32 v20, v20, 23, v22
	v_or3_b32 v20, v21, v20, v14
.LBB11_48:
	s_or_b64 exec, exec, s[6:7]
	s_nop 0
	v_mfma_f32_16x16x4f32 a[0:3], v10, v20, a[0:3]
	s_movk_i32 s4, 0xff
	v_and_b32_sdwa v14, v15, s4 dst_sel:DWORD dst_unused:UNUSED_PAD src0_sel:WORD_1 src1_sel:DWORD
	s_movk_i32 s4, 0x7f
	v_cmp_lt_i16_e32 vcc, s4, v14
	s_mov_b64 s[4:5], 0
                                        ; implicit-def: $sgpr10
	s_and_saveexec_b64 s[6:7], vcc
	s_xor_b64 s[6:7], exec, s[6:7]
	s_cbranch_execnz .LBB11_2097
; %bb.49:
	s_or_saveexec_b64 s[6:7], s[6:7]
	v_mov_b32_e32 v10, s10
	s_xor_b64 exec, exec, s[6:7]
	s_cbranch_execnz .LBB11_2100
.LBB11_50:
	s_or_b64 exec, exec, s[6:7]
	s_and_saveexec_b64 s[6:7], s[4:5]
	s_cbranch_execz .LBB11_52
.LBB11_51:
	v_bfe_u32 v10, v15, 16, 3
	v_ffbh_u32_e32 v21, v10
	v_min_u32_e32 v21, 32, v21
	v_lshrrev_b32_e32 v14, 19, v15
	v_subrev_u32_e32 v22, 28, v21
	v_and_b32_e32 v14, 15, v14
	v_lshlrev_b32_sdwa v22, v22, v15 dst_sel:DWORD dst_unused:UNUSED_PAD src0_sel:DWORD src1_sel:WORD_1
	v_bfe_u32 v20, v15, 19, 4
	v_sub_u32_e32 v21, 29, v21
	v_and_b32_e32 v22, 7, v22
	v_cmp_eq_u16_e32 vcc, 0, v14
	v_cndmask_b32_e32 v10, v10, v22, vcc
	v_cndmask_b32_e32 v14, v20, v21, vcc
	v_lshlrev_b32_e32 v20, 8, v15
	v_mov_b32_e32 v21, 0x3b800000
	v_lshlrev_b32_e32 v10, 20, v10
	v_and_b32_e32 v20, 0x80000000, v20
	v_lshl_add_u32 v14, v14, 23, v21
	v_or3_b32 v10, v20, v14, v10
.LBB11_52:
	s_or_b64 exec, exec, s[6:7]
	s_movk_i32 s4, 0xff
	v_and_b32_sdwa v14, v11, s4 dst_sel:DWORD dst_unused:UNUSED_PAD src0_sel:WORD_1 src1_sel:DWORD
	s_movk_i32 s4, 0x7f
	v_cmp_lt_i16_e32 vcc, s4, v14
	s_mov_b64 s[4:5], 0
                                        ; implicit-def: $sgpr10
	s_and_saveexec_b64 s[6:7], vcc
	s_xor_b64 s[6:7], exec, s[6:7]
	s_cbranch_execnz .LBB11_2101
; %bb.53:
	s_or_saveexec_b64 s[6:7], s[6:7]
	v_mov_b32_e32 v20, s10
	s_xor_b64 exec, exec, s[6:7]
	s_cbranch_execnz .LBB11_2104
.LBB11_54:
	s_or_b64 exec, exec, s[6:7]
	s_and_saveexec_b64 s[6:7], s[4:5]
	s_cbranch_execz .LBB11_56
.LBB11_55:
	v_bfe_u32 v14, v11, 16, 3
	v_ffbh_u32_e32 v22, v14
	v_min_u32_e32 v22, 32, v22
	v_lshrrev_b32_e32 v20, 19, v11
	v_subrev_u32_e32 v23, 28, v22
	v_and_b32_e32 v20, 15, v20
	v_lshlrev_b32_sdwa v23, v23, v11 dst_sel:DWORD dst_unused:UNUSED_PAD src0_sel:DWORD src1_sel:WORD_1
	v_bfe_u32 v21, v11, 19, 4
	v_sub_u32_e32 v22, 29, v22
	v_and_b32_e32 v23, 7, v23
	v_cmp_eq_u16_e32 vcc, 0, v20
	v_cndmask_b32_e32 v14, v14, v23, vcc
	v_cndmask_b32_e32 v20, v21, v22, vcc
	v_lshlrev_b32_e32 v21, 8, v11
	v_mov_b32_e32 v22, 0x3b800000
	v_lshlrev_b32_e32 v14, 20, v14
	v_and_b32_e32 v21, 0x80000000, v21
	v_lshl_add_u32 v20, v20, 23, v22
	v_or3_b32 v20, v21, v20, v14
.LBB11_56:
	s_or_b64 exec, exec, s[6:7]
	s_nop 0
	v_mfma_f32_16x16x4f32 a[0:3], v10, v20, a[0:3]
	s_movk_i32 s4, 0x7f
	v_cmp_gt_i16_sdwa s[6:7], v15, s4 src0_sel:BYTE_3 src1_sel:DWORD
	s_mov_b64 s[4:5], 0
                                        ; implicit-def: $sgpr10
	s_and_saveexec_b64 s[8:9], s[6:7]
	s_xor_b64 s[6:7], exec, s[8:9]
	s_cbranch_execnz .LBB11_2105
; %bb.57:
	s_or_saveexec_b64 s[6:7], s[6:7]
	v_mov_b32_e32 v10, s10
	s_xor_b64 exec, exec, s[6:7]
	s_cbranch_execnz .LBB11_2108
.LBB11_58:
	s_or_b64 exec, exec, s[6:7]
	s_and_saveexec_b64 s[6:7], s[4:5]
	s_cbranch_execz .LBB11_60
.LBB11_59:
	v_bfe_u32 v10, v15, 24, 3
	v_ffbh_u32_e32 v22, v10
	v_min_u32_e32 v22, 32, v22
	v_lshrrev_b32_e32 v20, 27, v15
	v_subrev_u32_e32 v23, 28, v22
	v_and_b32_e32 v14, 0x80000000, v15
	v_and_b32_e32 v20, 15, v20
	v_bfe_u32 v21, v15, 27, 4
	v_lshlrev_b32_sdwa v15, v23, v15 dst_sel:DWORD dst_unused:UNUSED_PAD src0_sel:DWORD src1_sel:BYTE_3
	v_sub_u32_e32 v22, 29, v22
	v_and_b32_e32 v15, 7, v15
	v_cmp_eq_u16_e32 vcc, 0, v20
	v_cndmask_b32_e32 v10, v10, v15, vcc
	v_cndmask_b32_e32 v15, v21, v22, vcc
	v_mov_b32_e32 v20, 0x3b800000
	v_lshlrev_b32_e32 v10, 20, v10
	v_lshl_add_u32 v15, v15, 23, v20
	v_or3_b32 v10, v14, v15, v10
.LBB11_60:
	s_or_b64 exec, exec, s[6:7]
	s_movk_i32 s4, 0x7f
	v_cmp_gt_i16_sdwa s[6:7], v11, s4 src0_sel:BYTE_3 src1_sel:DWORD
	s_mov_b64 s[4:5], 0
                                        ; implicit-def: $sgpr10
	s_and_saveexec_b64 s[8:9], s[6:7]
	s_xor_b64 s[6:7], exec, s[8:9]
	s_cbranch_execnz .LBB11_2109
; %bb.61:
	s_or_saveexec_b64 s[6:7], s[6:7]
	v_mov_b32_e32 v14, s10
	s_xor_b64 exec, exec, s[6:7]
	s_cbranch_execnz .LBB11_2112
.LBB11_62:
	s_or_b64 exec, exec, s[6:7]
	s_and_saveexec_b64 s[6:7], s[4:5]
	s_cbranch_execz .LBB11_64
.LBB11_63:
	v_bfe_u32 v14, v11, 24, 3
	v_ffbh_u32_e32 v22, v14
	v_min_u32_e32 v22, 32, v22
	v_lshrrev_b32_e32 v20, 27, v11
	v_subrev_u32_e32 v23, 28, v22
	v_and_b32_e32 v15, 0x80000000, v11
	v_and_b32_e32 v20, 15, v20
	v_bfe_u32 v21, v11, 27, 4
	v_lshlrev_b32_sdwa v11, v23, v11 dst_sel:DWORD dst_unused:UNUSED_PAD src0_sel:DWORD src1_sel:BYTE_3
	v_sub_u32_e32 v22, 29, v22
	v_and_b32_e32 v11, 7, v11
	v_cmp_eq_u16_e32 vcc, 0, v20
	v_cndmask_b32_e32 v11, v14, v11, vcc
	v_cndmask_b32_e32 v14, v21, v22, vcc
	v_mov_b32_e32 v20, 0x3b800000
	v_lshlrev_b32_e32 v11, 20, v11
	v_lshl_add_u32 v14, v14, 23, v20
	v_or3_b32 v14, v15, v14, v11
.LBB11_64:
	s_or_b64 exec, exec, s[6:7]
	s_nop 0
	v_mfma_f32_16x16x4f32 a[0:3], v10, v14, a[0:3]
	s_movk_i32 s4, 0x7f
	v_cmp_gt_i16_sdwa s[6:7], v16, s4 src0_sel:BYTE_0 src1_sel:DWORD
	s_mov_b64 s[4:5], 0
                                        ; implicit-def: $sgpr10
	s_and_saveexec_b64 s[8:9], s[6:7]
	s_xor_b64 s[6:7], exec, s[8:9]
	s_cbranch_execnz .LBB11_2113
; %bb.65:
	s_or_saveexec_b64 s[6:7], s[6:7]
	v_mov_b32_e32 v10, s10
	s_xor_b64 exec, exec, s[6:7]
	s_cbranch_execnz .LBB11_2116
.LBB11_66:
	s_or_b64 exec, exec, s[6:7]
	s_and_saveexec_b64 s[6:7], s[4:5]
	s_cbranch_execz .LBB11_68
.LBB11_67:
	v_and_b32_e32 v10, 7, v16
	v_ffbh_u32_e32 v14, v10
	v_min_u32_e32 v14, 32, v14
	v_lshrrev_b16_e32 v11, 3, v16
	v_subrev_u32_e32 v15, 28, v14
	v_and_b32_e32 v11, 15, v11
	v_lshlrev_b32_e32 v15, v15, v16
	v_sub_u32_e32 v14, 29, v14
	v_and_b32_e32 v15, 7, v15
	v_cmp_eq_u16_e32 vcc, 0, v11
	v_cndmask_b32_e32 v10, v10, v15, vcc
	v_cndmask_b32_e32 v11, v11, v14, vcc
	v_lshlrev_b32_e32 v14, 24, v16
	v_mov_b32_e32 v15, 0x3b800000
	v_lshlrev_b32_e32 v10, 20, v10
	v_and_b32_e32 v14, 0x80000000, v14
	v_lshl_add_u32 v11, v11, 23, v15
	v_or3_b32 v10, v14, v11, v10
.LBB11_68:
	s_or_b64 exec, exec, s[6:7]
	s_movk_i32 s4, 0x7f
	v_cmp_gt_i16_sdwa s[6:7], v12, s4 src0_sel:BYTE_0 src1_sel:DWORD
	s_mov_b64 s[4:5], 0
                                        ; implicit-def: $sgpr10
	s_and_saveexec_b64 s[8:9], s[6:7]
	s_xor_b64 s[6:7], exec, s[8:9]
	s_cbranch_execnz .LBB11_2117
; %bb.69:
	s_or_saveexec_b64 s[6:7], s[6:7]
	v_mov_b32_e32 v11, s10
	s_xor_b64 exec, exec, s[6:7]
	s_cbranch_execnz .LBB11_2120
.LBB11_70:
	s_or_b64 exec, exec, s[6:7]
	s_and_saveexec_b64 s[6:7], s[4:5]
	s_cbranch_execz .LBB11_72
.LBB11_71:
	v_and_b32_e32 v11, 7, v12
	v_ffbh_u32_e32 v15, v11
	v_min_u32_e32 v15, 32, v15
	v_lshrrev_b16_e32 v14, 3, v12
	v_subrev_u32_e32 v20, 28, v15
	v_and_b32_e32 v14, 15, v14
	v_lshlrev_b32_e32 v20, v20, v12
	v_sub_u32_e32 v15, 29, v15
	v_and_b32_e32 v20, 7, v20
	v_cmp_eq_u16_e32 vcc, 0, v14
	v_cndmask_b32_e32 v11, v11, v20, vcc
	v_cndmask_b32_e32 v14, v14, v15, vcc
	v_lshlrev_b32_e32 v15, 24, v12
	v_mov_b32_e32 v20, 0x3b800000
	v_lshlrev_b32_e32 v11, 20, v11
	v_and_b32_e32 v15, 0x80000000, v15
	v_lshl_add_u32 v14, v14, 23, v20
	v_or3_b32 v11, v15, v14, v11
.LBB11_72:
	s_or_b64 exec, exec, s[6:7]
	s_nop 0
	v_mfma_f32_16x16x4f32 a[0:3], v10, v11, a[0:3]
	v_lshrrev_b32_e32 v11, 8, v16
	s_movk_i32 s4, 0x7f
	v_cmp_gt_i16_sdwa s[6:7], v11, s4 src0_sel:BYTE_0 src1_sel:DWORD
	s_mov_b64 s[4:5], 0
                                        ; implicit-def: $sgpr10
	s_and_saveexec_b64 s[8:9], s[6:7]
	s_xor_b64 s[6:7], exec, s[8:9]
	s_cbranch_execnz .LBB11_2121
; %bb.73:
	s_or_saveexec_b64 s[6:7], s[6:7]
	v_mov_b32_e32 v10, s10
	s_xor_b64 exec, exec, s[6:7]
	s_cbranch_execnz .LBB11_2124
.LBB11_74:
	s_or_b64 exec, exec, s[6:7]
	s_and_saveexec_b64 s[6:7], s[4:5]
	s_cbranch_execz .LBB11_76
.LBB11_75:
	v_bfe_u32 v10, v16, 8, 3
	v_ffbh_u32_e32 v15, v10
	v_min_u32_e32 v15, 32, v15
	v_lshrrev_b16_e32 v14, 3, v11
	v_subrev_u32_e32 v20, 28, v15
	v_and_b32_e32 v14, 15, v14
	v_lshlrev_b32_e32 v11, v20, v11
	v_sub_u32_e32 v15, 29, v15
	v_and_b32_e32 v11, 7, v11
	v_cmp_eq_u16_e32 vcc, 0, v14
	v_cndmask_b32_e32 v10, v10, v11, vcc
	v_cndmask_b32_e32 v11, v14, v15, vcc
	v_lshlrev_b32_e32 v14, 16, v16
	v_mov_b32_e32 v15, 0x3b800000
	v_lshlrev_b32_e32 v10, 20, v10
	v_and_b32_e32 v14, 0x80000000, v14
	v_lshl_add_u32 v11, v11, 23, v15
	v_or3_b32 v10, v14, v11, v10
.LBB11_76:
	s_or_b64 exec, exec, s[6:7]
	v_lshrrev_b32_e32 v11, 8, v12
	s_movk_i32 s4, 0x7f
	v_cmp_gt_i16_sdwa s[6:7], v11, s4 src0_sel:BYTE_0 src1_sel:DWORD
	s_mov_b64 s[4:5], 0
                                        ; implicit-def: $sgpr10
	s_and_saveexec_b64 s[8:9], s[6:7]
	s_xor_b64 s[6:7], exec, s[8:9]
	s_cbranch_execnz .LBB11_2125
; %bb.77:
	s_or_saveexec_b64 s[6:7], s[6:7]
	v_mov_b32_e32 v14, s10
	s_xor_b64 exec, exec, s[6:7]
	s_cbranch_execnz .LBB11_2128
.LBB11_78:
	s_or_b64 exec, exec, s[6:7]
	s_and_saveexec_b64 s[6:7], s[4:5]
	s_cbranch_execz .LBB11_80
.LBB11_79:
	v_bfe_u32 v14, v12, 8, 3
	v_ffbh_u32_e32 v20, v14
	v_min_u32_e32 v20, 32, v20
	v_lshrrev_b16_e32 v15, 3, v11
	v_subrev_u32_e32 v21, 28, v20
	v_and_b32_e32 v15, 15, v15
	v_lshlrev_b32_e32 v11, v21, v11
	v_sub_u32_e32 v20, 29, v20
	v_and_b32_e32 v11, 7, v11
	v_cmp_eq_u16_e32 vcc, 0, v15
	v_cndmask_b32_e32 v11, v14, v11, vcc
	v_cndmask_b32_e32 v14, v15, v20, vcc
	v_lshlrev_b32_e32 v15, 16, v12
	v_mov_b32_e32 v20, 0x3b800000
	v_lshlrev_b32_e32 v11, 20, v11
	v_and_b32_e32 v15, 0x80000000, v15
	v_lshl_add_u32 v14, v14, 23, v20
	v_or3_b32 v14, v15, v14, v11
.LBB11_80:
	s_or_b64 exec, exec, s[6:7]
	s_nop 0
	v_mfma_f32_16x16x4f32 a[0:3], v10, v14, a[0:3]
	s_movk_i32 s4, 0xff
	v_and_b32_sdwa v11, v16, s4 dst_sel:DWORD dst_unused:UNUSED_PAD src0_sel:WORD_1 src1_sel:DWORD
	s_movk_i32 s4, 0x7f
	v_cmp_lt_i16_e32 vcc, s4, v11
	s_mov_b64 s[4:5], 0
                                        ; implicit-def: $sgpr10
	s_and_saveexec_b64 s[6:7], vcc
	s_xor_b64 s[6:7], exec, s[6:7]
	s_cbranch_execnz .LBB11_2129
; %bb.81:
	s_or_saveexec_b64 s[6:7], s[6:7]
	v_mov_b32_e32 v10, s10
	s_xor_b64 exec, exec, s[6:7]
	s_cbranch_execnz .LBB11_2132
.LBB11_82:
	s_or_b64 exec, exec, s[6:7]
	s_and_saveexec_b64 s[6:7], s[4:5]
	s_cbranch_execz .LBB11_84
.LBB11_83:
	v_bfe_u32 v10, v16, 16, 3
	v_ffbh_u32_e32 v15, v10
	v_min_u32_e32 v15, 32, v15
	v_lshrrev_b32_e32 v11, 19, v16
	v_subrev_u32_e32 v20, 28, v15
	v_and_b32_e32 v11, 15, v11
	v_lshlrev_b32_sdwa v20, v20, v16 dst_sel:DWORD dst_unused:UNUSED_PAD src0_sel:DWORD src1_sel:WORD_1
	v_bfe_u32 v14, v16, 19, 4
	v_sub_u32_e32 v15, 29, v15
	v_and_b32_e32 v20, 7, v20
	v_cmp_eq_u16_e32 vcc, 0, v11
	v_cndmask_b32_e32 v10, v10, v20, vcc
	v_cndmask_b32_e32 v11, v14, v15, vcc
	v_lshlrev_b32_e32 v14, 8, v16
	v_mov_b32_e32 v15, 0x3b800000
	v_lshlrev_b32_e32 v10, 20, v10
	v_and_b32_e32 v14, 0x80000000, v14
	v_lshl_add_u32 v11, v11, 23, v15
	v_or3_b32 v10, v14, v11, v10
.LBB11_84:
	s_or_b64 exec, exec, s[6:7]
	s_movk_i32 s4, 0xff
	v_and_b32_sdwa v11, v12, s4 dst_sel:DWORD dst_unused:UNUSED_PAD src0_sel:WORD_1 src1_sel:DWORD
	s_movk_i32 s4, 0x7f
	v_cmp_lt_i16_e32 vcc, s4, v11
	s_mov_b64 s[4:5], 0
                                        ; implicit-def: $sgpr10
	s_and_saveexec_b64 s[6:7], vcc
	s_xor_b64 s[6:7], exec, s[6:7]
	s_cbranch_execnz .LBB11_2133
; %bb.85:
	s_or_saveexec_b64 s[6:7], s[6:7]
	v_mov_b32_e32 v14, s10
	s_xor_b64 exec, exec, s[6:7]
	s_cbranch_execnz .LBB11_2136
.LBB11_86:
	s_or_b64 exec, exec, s[6:7]
	s_and_saveexec_b64 s[6:7], s[4:5]
	s_cbranch_execz .LBB11_88
.LBB11_87:
	v_bfe_u32 v11, v12, 16, 3
	v_ffbh_u32_e32 v20, v11
	v_min_u32_e32 v20, 32, v20
	v_lshrrev_b32_e32 v14, 19, v12
	v_subrev_u32_e32 v21, 28, v20
	v_and_b32_e32 v14, 15, v14
	v_lshlrev_b32_sdwa v21, v21, v12 dst_sel:DWORD dst_unused:UNUSED_PAD src0_sel:DWORD src1_sel:WORD_1
	v_bfe_u32 v15, v12, 19, 4
	v_sub_u32_e32 v20, 29, v20
	v_and_b32_e32 v21, 7, v21
	v_cmp_eq_u16_e32 vcc, 0, v14
	v_cndmask_b32_e32 v11, v11, v21, vcc
	v_cndmask_b32_e32 v14, v15, v20, vcc
	v_lshlrev_b32_e32 v15, 8, v12
	v_mov_b32_e32 v20, 0x3b800000
	v_lshlrev_b32_e32 v11, 20, v11
	v_and_b32_e32 v15, 0x80000000, v15
	v_lshl_add_u32 v14, v14, 23, v20
	v_or3_b32 v14, v15, v14, v11
.LBB11_88:
	s_or_b64 exec, exec, s[6:7]
	s_nop 0
	v_mfma_f32_16x16x4f32 a[0:3], v10, v14, a[0:3]
	s_movk_i32 s4, 0x7f
	v_cmp_gt_i16_sdwa s[6:7], v16, s4 src0_sel:BYTE_3 src1_sel:DWORD
	s_mov_b64 s[4:5], 0
                                        ; implicit-def: $sgpr10
	s_and_saveexec_b64 s[8:9], s[6:7]
	s_xor_b64 s[6:7], exec, s[8:9]
	s_cbranch_execnz .LBB11_2137
; %bb.89:
	s_or_saveexec_b64 s[6:7], s[6:7]
	v_mov_b32_e32 v10, s10
	s_xor_b64 exec, exec, s[6:7]
	s_cbranch_execnz .LBB11_2140
.LBB11_90:
	s_or_b64 exec, exec, s[6:7]
	s_and_saveexec_b64 s[6:7], s[4:5]
	s_cbranch_execz .LBB11_92
.LBB11_91:
	v_bfe_u32 v10, v16, 24, 3
	v_ffbh_u32_e32 v20, v10
	v_min_u32_e32 v20, 32, v20
	v_lshrrev_b32_e32 v14, 27, v16
	v_subrev_u32_e32 v21, 28, v20
	v_and_b32_e32 v11, 0x80000000, v16
	v_and_b32_e32 v14, 15, v14
	v_bfe_u32 v15, v16, 27, 4
	v_lshlrev_b32_sdwa v16, v21, v16 dst_sel:DWORD dst_unused:UNUSED_PAD src0_sel:DWORD src1_sel:BYTE_3
	v_sub_u32_e32 v20, 29, v20
	v_and_b32_e32 v16, 7, v16
	v_cmp_eq_u16_e32 vcc, 0, v14
	v_cndmask_b32_e32 v10, v10, v16, vcc
	v_cndmask_b32_e32 v14, v15, v20, vcc
	v_mov_b32_e32 v15, 0x3b800000
	v_lshlrev_b32_e32 v10, 20, v10
	v_lshl_add_u32 v14, v14, 23, v15
	v_or3_b32 v10, v11, v14, v10
.LBB11_92:
	s_or_b64 exec, exec, s[6:7]
	s_movk_i32 s4, 0x7f
	v_cmp_gt_i16_sdwa s[6:7], v12, s4 src0_sel:BYTE_3 src1_sel:DWORD
	s_mov_b64 s[4:5], 0
                                        ; implicit-def: $sgpr10
	s_and_saveexec_b64 s[8:9], s[6:7]
	s_xor_b64 s[6:7], exec, s[8:9]
	s_cbranch_execnz .LBB11_2141
; %bb.93:
	s_or_saveexec_b64 s[6:7], s[6:7]
	v_mov_b32_e32 v11, s10
	s_xor_b64 exec, exec, s[6:7]
	s_cbranch_execnz .LBB11_2144
.LBB11_94:
	s_or_b64 exec, exec, s[6:7]
	s_and_saveexec_b64 s[6:7], s[4:5]
	s_cbranch_execz .LBB11_96
.LBB11_95:
	v_bfe_u32 v11, v12, 24, 3
	v_ffbh_u32_e32 v20, v11
	v_min_u32_e32 v20, 32, v20
	v_lshrrev_b32_e32 v15, 27, v12
	v_subrev_u32_e32 v21, 28, v20
	v_and_b32_e32 v14, 0x80000000, v12
	v_and_b32_e32 v15, 15, v15
	v_bfe_u32 v16, v12, 27, 4
	v_lshlrev_b32_sdwa v12, v21, v12 dst_sel:DWORD dst_unused:UNUSED_PAD src0_sel:DWORD src1_sel:BYTE_3
	v_sub_u32_e32 v20, 29, v20
	v_and_b32_e32 v12, 7, v12
	v_cmp_eq_u16_e32 vcc, 0, v15
	v_cndmask_b32_e32 v11, v11, v12, vcc
	v_cndmask_b32_e32 v12, v16, v20, vcc
	v_mov_b32_e32 v15, 0x3b800000
	v_lshlrev_b32_e32 v11, 20, v11
	v_lshl_add_u32 v12, v12, 23, v15
	v_or3_b32 v11, v14, v12, v11
.LBB11_96:
	s_or_b64 exec, exec, s[6:7]
	s_nop 0
	v_mfma_f32_16x16x4f32 a[0:3], v10, v11, a[0:3]
	s_movk_i32 s4, 0x7f
	v_cmp_gt_i16_sdwa s[6:7], v17, s4 src0_sel:BYTE_0 src1_sel:DWORD
	s_mov_b64 s[4:5], 0
                                        ; implicit-def: $sgpr10
	s_and_saveexec_b64 s[8:9], s[6:7]
	s_xor_b64 s[6:7], exec, s[8:9]
	s_cbranch_execnz .LBB11_2145
; %bb.97:
	s_or_saveexec_b64 s[6:7], s[6:7]
	v_mov_b32_e32 v10, s10
	s_xor_b64 exec, exec, s[6:7]
	s_cbranch_execnz .LBB11_2148
.LBB11_98:
	s_or_b64 exec, exec, s[6:7]
	s_and_saveexec_b64 s[6:7], s[4:5]
	s_cbranch_execz .LBB11_100
.LBB11_99:
	v_and_b32_e32 v10, 7, v17
	v_ffbh_u32_e32 v12, v10
	v_min_u32_e32 v12, 32, v12
	v_lshrrev_b16_e32 v11, 3, v17
	v_subrev_u32_e32 v14, 28, v12
	v_and_b32_e32 v11, 15, v11
	v_lshlrev_b32_e32 v14, v14, v17
	v_sub_u32_e32 v12, 29, v12
	v_and_b32_e32 v14, 7, v14
	v_cmp_eq_u16_e32 vcc, 0, v11
	v_cndmask_b32_e32 v10, v10, v14, vcc
	v_cndmask_b32_e32 v11, v11, v12, vcc
	v_lshlrev_b32_e32 v12, 24, v17
	v_mov_b32_e32 v14, 0x3b800000
	v_lshlrev_b32_e32 v10, 20, v10
	v_and_b32_e32 v12, 0x80000000, v12
	v_lshl_add_u32 v11, v11, 23, v14
	v_or3_b32 v10, v12, v11, v10
.LBB11_100:
	s_or_b64 exec, exec, s[6:7]
	s_movk_i32 s4, 0x7f
	v_cmp_gt_i16_sdwa s[6:7], v13, s4 src0_sel:BYTE_0 src1_sel:DWORD
	s_mov_b64 s[4:5], 0
                                        ; implicit-def: $sgpr10
	s_and_saveexec_b64 s[8:9], s[6:7]
	s_xor_b64 s[6:7], exec, s[8:9]
	s_cbranch_execnz .LBB11_2149
; %bb.101:
	s_or_saveexec_b64 s[6:7], s[6:7]
	v_mov_b32_e32 v11, s10
	s_xor_b64 exec, exec, s[6:7]
	s_cbranch_execnz .LBB11_2152
.LBB11_102:
	s_or_b64 exec, exec, s[6:7]
	s_and_saveexec_b64 s[6:7], s[4:5]
	s_cbranch_execz .LBB11_104
.LBB11_103:
	v_and_b32_e32 v11, 7, v13
	v_ffbh_u32_e32 v14, v11
	v_min_u32_e32 v14, 32, v14
	v_lshrrev_b16_e32 v12, 3, v13
	v_subrev_u32_e32 v15, 28, v14
	v_and_b32_e32 v12, 15, v12
	v_lshlrev_b32_e32 v15, v15, v13
	v_sub_u32_e32 v14, 29, v14
	v_and_b32_e32 v15, 7, v15
	v_cmp_eq_u16_e32 vcc, 0, v12
	v_cndmask_b32_e32 v11, v11, v15, vcc
	v_cndmask_b32_e32 v12, v12, v14, vcc
	v_lshlrev_b32_e32 v14, 24, v13
	v_mov_b32_e32 v15, 0x3b800000
	v_lshlrev_b32_e32 v11, 20, v11
	v_and_b32_e32 v14, 0x80000000, v14
	v_lshl_add_u32 v12, v12, 23, v15
	v_or3_b32 v11, v14, v12, v11
.LBB11_104:
	s_or_b64 exec, exec, s[6:7]
	s_nop 0
	v_mfma_f32_16x16x4f32 a[0:3], v10, v11, a[0:3]
	v_lshrrev_b32_e32 v11, 8, v17
	s_movk_i32 s4, 0x7f
	v_cmp_gt_i16_sdwa s[6:7], v11, s4 src0_sel:BYTE_0 src1_sel:DWORD
	s_mov_b64 s[4:5], 0
                                        ; implicit-def: $sgpr10
	s_and_saveexec_b64 s[8:9], s[6:7]
	s_xor_b64 s[6:7], exec, s[8:9]
	s_cbranch_execnz .LBB11_2153
; %bb.105:
	s_or_saveexec_b64 s[6:7], s[6:7]
	v_mov_b32_e32 v10, s10
	s_xor_b64 exec, exec, s[6:7]
	s_cbranch_execnz .LBB11_2156
.LBB11_106:
	s_or_b64 exec, exec, s[6:7]
	s_and_saveexec_b64 s[6:7], s[4:5]
	s_cbranch_execz .LBB11_108
.LBB11_107:
	v_bfe_u32 v10, v17, 8, 3
	v_ffbh_u32_e32 v14, v10
	v_min_u32_e32 v14, 32, v14
	v_lshrrev_b16_e32 v12, 3, v11
	v_subrev_u32_e32 v15, 28, v14
	v_and_b32_e32 v12, 15, v12
	v_lshlrev_b32_e32 v11, v15, v11
	v_sub_u32_e32 v14, 29, v14
	v_and_b32_e32 v11, 7, v11
	v_cmp_eq_u16_e32 vcc, 0, v12
	v_cndmask_b32_e32 v10, v10, v11, vcc
	v_cndmask_b32_e32 v11, v12, v14, vcc
	v_lshlrev_b32_e32 v12, 16, v17
	v_mov_b32_e32 v14, 0x3b800000
	v_lshlrev_b32_e32 v10, 20, v10
	v_and_b32_e32 v12, 0x80000000, v12
	v_lshl_add_u32 v11, v11, 23, v14
	v_or3_b32 v10, v12, v11, v10
.LBB11_108:
	s_or_b64 exec, exec, s[6:7]
	v_lshrrev_b32_e32 v11, 8, v13
	s_movk_i32 s4, 0x7f
	v_cmp_gt_i16_sdwa s[6:7], v11, s4 src0_sel:BYTE_0 src1_sel:DWORD
	s_mov_b64 s[4:5], 0
                                        ; implicit-def: $sgpr10
	s_and_saveexec_b64 s[8:9], s[6:7]
	s_xor_b64 s[6:7], exec, s[8:9]
	s_cbranch_execnz .LBB11_2157
; %bb.109:
	s_or_saveexec_b64 s[6:7], s[6:7]
	v_mov_b32_e32 v12, s10
	s_xor_b64 exec, exec, s[6:7]
	s_cbranch_execnz .LBB11_2160
.LBB11_110:
	s_or_b64 exec, exec, s[6:7]
	s_and_saveexec_b64 s[6:7], s[4:5]
	s_cbranch_execz .LBB11_112
.LBB11_111:
	v_bfe_u32 v12, v13, 8, 3
	v_ffbh_u32_e32 v15, v12
	v_min_u32_e32 v15, 32, v15
	v_lshrrev_b16_e32 v14, 3, v11
	v_subrev_u32_e32 v16, 28, v15
	v_and_b32_e32 v14, 15, v14
	v_lshlrev_b32_e32 v11, v16, v11
	v_sub_u32_e32 v15, 29, v15
	v_and_b32_e32 v11, 7, v11
	v_cmp_eq_u16_e32 vcc, 0, v14
	v_cndmask_b32_e32 v11, v12, v11, vcc
	v_cndmask_b32_e32 v12, v14, v15, vcc
	v_lshlrev_b32_e32 v14, 16, v13
	v_mov_b32_e32 v15, 0x3b800000
	v_lshlrev_b32_e32 v11, 20, v11
	v_and_b32_e32 v14, 0x80000000, v14
	v_lshl_add_u32 v12, v12, 23, v15
	v_or3_b32 v12, v14, v12, v11
.LBB11_112:
	s_or_b64 exec, exec, s[6:7]
	s_nop 0
	v_mfma_f32_16x16x4f32 a[0:3], v10, v12, a[0:3]
	s_movk_i32 s4, 0xff
	v_and_b32_sdwa v11, v17, s4 dst_sel:DWORD dst_unused:UNUSED_PAD src0_sel:WORD_1 src1_sel:DWORD
	s_movk_i32 s4, 0x7f
	v_cmp_lt_i16_e32 vcc, s4, v11
	s_mov_b64 s[4:5], 0
                                        ; implicit-def: $sgpr10
	s_and_saveexec_b64 s[6:7], vcc
	s_xor_b64 s[6:7], exec, s[6:7]
	s_cbranch_execnz .LBB11_2161
; %bb.113:
	s_or_saveexec_b64 s[6:7], s[6:7]
	v_mov_b32_e32 v10, s10
	s_xor_b64 exec, exec, s[6:7]
	s_cbranch_execnz .LBB11_2164
.LBB11_114:
	s_or_b64 exec, exec, s[6:7]
	s_and_saveexec_b64 s[6:7], s[4:5]
	s_cbranch_execz .LBB11_116
.LBB11_115:
	v_bfe_u32 v10, v17, 16, 3
	v_ffbh_u32_e32 v14, v10
	v_min_u32_e32 v14, 32, v14
	v_lshrrev_b32_e32 v11, 19, v17
	v_subrev_u32_e32 v15, 28, v14
	v_and_b32_e32 v11, 15, v11
	v_lshlrev_b32_sdwa v15, v15, v17 dst_sel:DWORD dst_unused:UNUSED_PAD src0_sel:DWORD src1_sel:WORD_1
	v_bfe_u32 v12, v17, 19, 4
	v_sub_u32_e32 v14, 29, v14
	v_and_b32_e32 v15, 7, v15
	v_cmp_eq_u16_e32 vcc, 0, v11
	v_cndmask_b32_e32 v10, v10, v15, vcc
	v_cndmask_b32_e32 v11, v12, v14, vcc
	v_lshlrev_b32_e32 v12, 8, v17
	v_mov_b32_e32 v14, 0x3b800000
	v_lshlrev_b32_e32 v10, 20, v10
	v_and_b32_e32 v12, 0x80000000, v12
	v_lshl_add_u32 v11, v11, 23, v14
	v_or3_b32 v10, v12, v11, v10
.LBB11_116:
	s_or_b64 exec, exec, s[6:7]
	s_movk_i32 s4, 0xff
	v_and_b32_sdwa v11, v13, s4 dst_sel:DWORD dst_unused:UNUSED_PAD src0_sel:WORD_1 src1_sel:DWORD
	s_movk_i32 s4, 0x7f
	v_cmp_lt_i16_e32 vcc, s4, v11
	s_mov_b64 s[4:5], 0
                                        ; implicit-def: $sgpr10
	s_and_saveexec_b64 s[6:7], vcc
	s_xor_b64 s[6:7], exec, s[6:7]
	s_cbranch_execnz .LBB11_2165
; %bb.117:
	s_or_saveexec_b64 s[6:7], s[6:7]
	v_mov_b32_e32 v12, s10
	s_xor_b64 exec, exec, s[6:7]
	s_cbranch_execnz .LBB11_2168
.LBB11_118:
	s_or_b64 exec, exec, s[6:7]
	s_and_saveexec_b64 s[6:7], s[4:5]
	s_cbranch_execz .LBB11_120
.LBB11_119:
	v_bfe_u32 v11, v13, 16, 3
	v_ffbh_u32_e32 v15, v11
	v_min_u32_e32 v15, 32, v15
	v_lshrrev_b32_e32 v12, 19, v13
	v_subrev_u32_e32 v16, 28, v15
	v_and_b32_e32 v12, 15, v12
	v_lshlrev_b32_sdwa v16, v16, v13 dst_sel:DWORD dst_unused:UNUSED_PAD src0_sel:DWORD src1_sel:WORD_1
	v_bfe_u32 v14, v13, 19, 4
	v_sub_u32_e32 v15, 29, v15
	v_and_b32_e32 v16, 7, v16
	v_cmp_eq_u16_e32 vcc, 0, v12
	v_cndmask_b32_e32 v11, v11, v16, vcc
	v_cndmask_b32_e32 v12, v14, v15, vcc
	v_lshlrev_b32_e32 v14, 8, v13
	v_mov_b32_e32 v15, 0x3b800000
	v_lshlrev_b32_e32 v11, 20, v11
	v_and_b32_e32 v14, 0x80000000, v14
	v_lshl_add_u32 v12, v12, 23, v15
	v_or3_b32 v12, v14, v12, v11
.LBB11_120:
	s_or_b64 exec, exec, s[6:7]
	s_nop 0
	v_mfma_f32_16x16x4f32 a[0:3], v10, v12, a[0:3]
	s_movk_i32 s4, 0x7f
	v_cmp_gt_i16_sdwa s[6:7], v17, s4 src0_sel:BYTE_3 src1_sel:DWORD
	s_mov_b64 s[4:5], 0
                                        ; implicit-def: $sgpr10
	s_and_saveexec_b64 s[8:9], s[6:7]
	s_xor_b64 s[6:7], exec, s[8:9]
	s_cbranch_execnz .LBB11_2169
; %bb.121:
	s_or_saveexec_b64 s[6:7], s[6:7]
	v_mov_b32_e32 v10, s10
	s_xor_b64 exec, exec, s[6:7]
	s_cbranch_execnz .LBB11_2172
.LBB11_122:
	s_or_b64 exec, exec, s[6:7]
	s_and_saveexec_b64 s[6:7], s[4:5]
	s_cbranch_execz .LBB11_124
.LBB11_123:
	v_bfe_u32 v10, v17, 24, 3
	v_ffbh_u32_e32 v15, v10
	v_min_u32_e32 v15, 32, v15
	v_lshrrev_b32_e32 v12, 27, v17
	v_subrev_u32_e32 v16, 28, v15
	v_and_b32_e32 v12, 15, v12
	v_lshlrev_b32_sdwa v16, v16, v17 dst_sel:DWORD dst_unused:UNUSED_PAD src0_sel:DWORD src1_sel:BYTE_3
	v_bfe_u32 v14, v17, 27, 4
	v_sub_u32_e32 v15, 29, v15
	v_and_b32_e32 v16, 7, v16
	v_cmp_eq_u16_e32 vcc, 0, v12
	v_cndmask_b32_e32 v10, v10, v16, vcc
	v_cndmask_b32_e32 v12, v14, v15, vcc
	v_mov_b32_e32 v14, 0x3b800000
	v_and_b32_e32 v11, 0x80000000, v17
	v_lshlrev_b32_e32 v10, 20, v10
	v_lshl_add_u32 v12, v12, 23, v14
	v_or3_b32 v10, v11, v12, v10
.LBB11_124:
	s_or_b64 exec, exec, s[6:7]
	s_movk_i32 s4, 0x7f
	v_cmp_gt_i16_sdwa s[6:7], v13, s4 src0_sel:BYTE_3 src1_sel:DWORD
	s_mov_b64 s[4:5], 0
                                        ; implicit-def: $sgpr10
	s_and_saveexec_b64 s[8:9], s[6:7]
	s_xor_b64 s[6:7], exec, s[8:9]
	s_cbranch_execnz .LBB11_2173
; %bb.125:
	s_or_saveexec_b64 s[6:7], s[6:7]
	v_mov_b32_e32 v11, s10
	s_xor_b64 exec, exec, s[6:7]
	s_cbranch_execnz .LBB11_2176
.LBB11_126:
	s_or_b64 exec, exec, s[6:7]
	s_and_saveexec_b64 s[6:7], s[4:5]
	s_cbranch_execz .LBB11_128
.LBB11_127:
	v_bfe_u32 v11, v13, 24, 3
	v_ffbh_u32_e32 v16, v11
	v_min_u32_e32 v16, 32, v16
	v_lshrrev_b32_e32 v14, 27, v13
	v_subrev_u32_e32 v17, 28, v16
	v_and_b32_e32 v12, 0x80000000, v13
	v_and_b32_e32 v14, 15, v14
	v_bfe_u32 v15, v13, 27, 4
	v_lshlrev_b32_sdwa v13, v17, v13 dst_sel:DWORD dst_unused:UNUSED_PAD src0_sel:DWORD src1_sel:BYTE_3
	v_sub_u32_e32 v16, 29, v16
	v_and_b32_e32 v13, 7, v13
	v_cmp_eq_u16_e32 vcc, 0, v14
	v_cndmask_b32_e32 v11, v11, v13, vcc
	v_cndmask_b32_e32 v13, v15, v16, vcc
	v_mov_b32_e32 v14, 0x3b800000
	v_lshlrev_b32_e32 v11, 20, v11
	v_lshl_add_u32 v13, v13, 23, v14
	v_or3_b32 v11, v12, v13, v11
.LBB11_128:
	s_or_b64 exec, exec, s[6:7]
	s_nop 0
	v_mfma_f32_16x16x4f32 a[0:3], v10, v11, a[0:3]
	s_movk_i32 s4, 0x7f
	v_cmp_gt_i16_sdwa s[6:7], v6, s4 src0_sel:BYTE_0 src1_sel:DWORD
	s_mov_b64 s[4:5], 0
                                        ; implicit-def: $sgpr10
	s_and_saveexec_b64 s[8:9], s[6:7]
	s_xor_b64 s[6:7], exec, s[8:9]
	s_cbranch_execnz .LBB11_2177
; %bb.129:
	s_or_saveexec_b64 s[6:7], s[6:7]
	v_mov_b32_e32 v10, s10
	s_xor_b64 exec, exec, s[6:7]
	s_cbranch_execnz .LBB11_2180
.LBB11_130:
	s_or_b64 exec, exec, s[6:7]
	s_and_saveexec_b64 s[6:7], s[4:5]
	s_cbranch_execz .LBB11_132
.LBB11_131:
	v_and_b32_e32 v10, 7, v6
	v_ffbh_u32_e32 v12, v10
	v_min_u32_e32 v12, 32, v12
	v_lshrrev_b16_e32 v11, 3, v6
	v_subrev_u32_e32 v13, 28, v12
	v_and_b32_e32 v11, 15, v11
	v_lshlrev_b32_e32 v13, v13, v6
	v_sub_u32_e32 v12, 29, v12
	v_and_b32_e32 v13, 7, v13
	v_cmp_eq_u16_e32 vcc, 0, v11
	v_cndmask_b32_e32 v10, v10, v13, vcc
	v_cndmask_b32_e32 v11, v11, v12, vcc
	v_lshlrev_b32_e32 v12, 24, v6
	v_mov_b32_e32 v13, 0x3b800000
	v_lshlrev_b32_e32 v10, 20, v10
	v_and_b32_e32 v12, 0x80000000, v12
	v_lshl_add_u32 v11, v11, 23, v13
	v_or3_b32 v10, v12, v11, v10
.LBB11_132:
	s_or_b64 exec, exec, s[6:7]
	s_movk_i32 s4, 0x7f
	v_cmp_gt_i16_sdwa s[6:7], v2, s4 src0_sel:BYTE_0 src1_sel:DWORD
	s_mov_b64 s[4:5], 0
                                        ; implicit-def: $sgpr10
	s_and_saveexec_b64 s[8:9], s[6:7]
	s_xor_b64 s[6:7], exec, s[8:9]
	s_cbranch_execnz .LBB11_2181
; %bb.133:
	s_or_saveexec_b64 s[6:7], s[6:7]
	v_mov_b32_e32 v11, s10
	s_xor_b64 exec, exec, s[6:7]
	s_cbranch_execnz .LBB11_2184
.LBB11_134:
	s_or_b64 exec, exec, s[6:7]
	s_and_saveexec_b64 s[6:7], s[4:5]
	s_cbranch_execz .LBB11_136
.LBB11_135:
	v_and_b32_e32 v11, 7, v2
	v_ffbh_u32_e32 v13, v11
	v_min_u32_e32 v13, 32, v13
	v_lshrrev_b16_e32 v12, 3, v2
	v_subrev_u32_e32 v14, 28, v13
	v_and_b32_e32 v12, 15, v12
	v_lshlrev_b32_e32 v14, v14, v2
	v_sub_u32_e32 v13, 29, v13
	v_and_b32_e32 v14, 7, v14
	v_cmp_eq_u16_e32 vcc, 0, v12
	v_cndmask_b32_e32 v11, v11, v14, vcc
	v_cndmask_b32_e32 v12, v12, v13, vcc
	v_lshlrev_b32_e32 v13, 24, v2
	v_mov_b32_e32 v14, 0x3b800000
	v_lshlrev_b32_e32 v11, 20, v11
	v_and_b32_e32 v13, 0x80000000, v13
	v_lshl_add_u32 v12, v12, 23, v14
	v_or3_b32 v11, v13, v12, v11
.LBB11_136:
	s_or_b64 exec, exec, s[6:7]
	s_nop 0
	v_mfma_f32_16x16x4f32 a[0:3], v10, v11, a[0:3]
	v_lshrrev_b32_e32 v11, 8, v6
	s_movk_i32 s4, 0x7f
	v_cmp_gt_i16_sdwa s[6:7], v11, s4 src0_sel:BYTE_0 src1_sel:DWORD
	s_mov_b64 s[4:5], 0
                                        ; implicit-def: $sgpr10
	s_and_saveexec_b64 s[8:9], s[6:7]
	s_xor_b64 s[6:7], exec, s[8:9]
	s_cbranch_execnz .LBB11_2185
; %bb.137:
	s_or_saveexec_b64 s[6:7], s[6:7]
	v_mov_b32_e32 v10, s10
	s_xor_b64 exec, exec, s[6:7]
	s_cbranch_execnz .LBB11_2188
.LBB11_138:
	s_or_b64 exec, exec, s[6:7]
	s_and_saveexec_b64 s[6:7], s[4:5]
	s_cbranch_execz .LBB11_140
.LBB11_139:
	v_bfe_u32 v10, v6, 8, 3
	v_ffbh_u32_e32 v13, v10
	v_min_u32_e32 v13, 32, v13
	v_lshrrev_b16_e32 v12, 3, v11
	v_subrev_u32_e32 v14, 28, v13
	v_and_b32_e32 v12, 15, v12
	v_lshlrev_b32_e32 v11, v14, v11
	v_sub_u32_e32 v13, 29, v13
	v_and_b32_e32 v11, 7, v11
	v_cmp_eq_u16_e32 vcc, 0, v12
	v_cndmask_b32_e32 v10, v10, v11, vcc
	v_cndmask_b32_e32 v11, v12, v13, vcc
	v_lshlrev_b32_e32 v12, 16, v6
	v_mov_b32_e32 v13, 0x3b800000
	v_lshlrev_b32_e32 v10, 20, v10
	v_and_b32_e32 v12, 0x80000000, v12
	v_lshl_add_u32 v11, v11, 23, v13
	v_or3_b32 v10, v12, v11, v10
.LBB11_140:
	s_or_b64 exec, exec, s[6:7]
	v_lshrrev_b32_e32 v11, 8, v2
	s_movk_i32 s4, 0x7f
	v_cmp_gt_i16_sdwa s[6:7], v11, s4 src0_sel:BYTE_0 src1_sel:DWORD
	s_mov_b64 s[4:5], 0
                                        ; implicit-def: $sgpr10
	s_and_saveexec_b64 s[8:9], s[6:7]
	s_xor_b64 s[6:7], exec, s[8:9]
	s_cbranch_execnz .LBB11_2189
; %bb.141:
	s_or_saveexec_b64 s[6:7], s[6:7]
	v_mov_b32_e32 v12, s10
	s_xor_b64 exec, exec, s[6:7]
	s_cbranch_execnz .LBB11_2192
.LBB11_142:
	s_or_b64 exec, exec, s[6:7]
	s_and_saveexec_b64 s[6:7], s[4:5]
	s_cbranch_execz .LBB11_144
.LBB11_143:
	v_bfe_u32 v12, v2, 8, 3
	v_ffbh_u32_e32 v14, v12
	v_min_u32_e32 v14, 32, v14
	v_lshrrev_b16_e32 v13, 3, v11
	v_subrev_u32_e32 v15, 28, v14
	v_and_b32_e32 v13, 15, v13
	v_lshlrev_b32_e32 v11, v15, v11
	v_sub_u32_e32 v14, 29, v14
	v_and_b32_e32 v11, 7, v11
	v_cmp_eq_u16_e32 vcc, 0, v13
	v_cndmask_b32_e32 v11, v12, v11, vcc
	v_cndmask_b32_e32 v12, v13, v14, vcc
	v_lshlrev_b32_e32 v13, 16, v2
	v_mov_b32_e32 v14, 0x3b800000
	v_lshlrev_b32_e32 v11, 20, v11
	v_and_b32_e32 v13, 0x80000000, v13
	v_lshl_add_u32 v12, v12, 23, v14
	v_or3_b32 v12, v13, v12, v11
.LBB11_144:
	s_or_b64 exec, exec, s[6:7]
	s_nop 0
	v_mfma_f32_16x16x4f32 a[0:3], v10, v12, a[0:3]
	s_movk_i32 s4, 0xff
	v_and_b32_sdwa v11, v6, s4 dst_sel:DWORD dst_unused:UNUSED_PAD src0_sel:WORD_1 src1_sel:DWORD
	s_movk_i32 s4, 0x7f
	v_cmp_lt_i16_e32 vcc, s4, v11
	s_mov_b64 s[4:5], 0
                                        ; implicit-def: $sgpr10
	s_and_saveexec_b64 s[6:7], vcc
	s_xor_b64 s[6:7], exec, s[6:7]
	s_cbranch_execnz .LBB11_2193
; %bb.145:
	s_or_saveexec_b64 s[6:7], s[6:7]
	v_mov_b32_e32 v10, s10
	s_xor_b64 exec, exec, s[6:7]
	s_cbranch_execnz .LBB11_2196
.LBB11_146:
	s_or_b64 exec, exec, s[6:7]
	s_and_saveexec_b64 s[6:7], s[4:5]
	s_cbranch_execz .LBB11_148
.LBB11_147:
	v_bfe_u32 v10, v6, 16, 3
	v_ffbh_u32_e32 v13, v10
	v_min_u32_e32 v13, 32, v13
	v_lshrrev_b32_e32 v11, 19, v6
	v_subrev_u32_e32 v14, 28, v13
	v_and_b32_e32 v11, 15, v11
	v_lshlrev_b32_sdwa v14, v14, v6 dst_sel:DWORD dst_unused:UNUSED_PAD src0_sel:DWORD src1_sel:WORD_1
	v_bfe_u32 v12, v6, 19, 4
	v_sub_u32_e32 v13, 29, v13
	v_and_b32_e32 v14, 7, v14
	v_cmp_eq_u16_e32 vcc, 0, v11
	v_cndmask_b32_e32 v10, v10, v14, vcc
	v_cndmask_b32_e32 v11, v12, v13, vcc
	v_lshlrev_b32_e32 v12, 8, v6
	v_mov_b32_e32 v13, 0x3b800000
	v_lshlrev_b32_e32 v10, 20, v10
	v_and_b32_e32 v12, 0x80000000, v12
	v_lshl_add_u32 v11, v11, 23, v13
	v_or3_b32 v10, v12, v11, v10
.LBB11_148:
	s_or_b64 exec, exec, s[6:7]
	s_movk_i32 s4, 0xff
	v_and_b32_sdwa v11, v2, s4 dst_sel:DWORD dst_unused:UNUSED_PAD src0_sel:WORD_1 src1_sel:DWORD
	s_movk_i32 s4, 0x7f
	v_cmp_lt_i16_e32 vcc, s4, v11
	s_mov_b64 s[4:5], 0
                                        ; implicit-def: $sgpr10
	s_and_saveexec_b64 s[6:7], vcc
	s_xor_b64 s[6:7], exec, s[6:7]
	s_cbranch_execnz .LBB11_2197
; %bb.149:
	s_or_saveexec_b64 s[6:7], s[6:7]
	v_mov_b32_e32 v12, s10
	s_xor_b64 exec, exec, s[6:7]
	s_cbranch_execnz .LBB11_2200
.LBB11_150:
	s_or_b64 exec, exec, s[6:7]
	s_and_saveexec_b64 s[6:7], s[4:5]
	s_cbranch_execz .LBB11_152
.LBB11_151:
	v_bfe_u32 v11, v2, 16, 3
	v_ffbh_u32_e32 v14, v11
	v_min_u32_e32 v14, 32, v14
	v_lshrrev_b32_e32 v12, 19, v2
	v_subrev_u32_e32 v15, 28, v14
	v_and_b32_e32 v12, 15, v12
	v_lshlrev_b32_sdwa v15, v15, v2 dst_sel:DWORD dst_unused:UNUSED_PAD src0_sel:DWORD src1_sel:WORD_1
	v_bfe_u32 v13, v2, 19, 4
	v_sub_u32_e32 v14, 29, v14
	v_and_b32_e32 v15, 7, v15
	v_cmp_eq_u16_e32 vcc, 0, v12
	v_cndmask_b32_e32 v11, v11, v15, vcc
	v_cndmask_b32_e32 v12, v13, v14, vcc
	v_lshlrev_b32_e32 v13, 8, v2
	v_mov_b32_e32 v14, 0x3b800000
	v_lshlrev_b32_e32 v11, 20, v11
	v_and_b32_e32 v13, 0x80000000, v13
	v_lshl_add_u32 v12, v12, 23, v14
	v_or3_b32 v12, v13, v12, v11
.LBB11_152:
	s_or_b64 exec, exec, s[6:7]
	s_nop 0
	v_mfma_f32_16x16x4f32 a[0:3], v10, v12, a[0:3]
	s_movk_i32 s4, 0x7f
	v_cmp_gt_i16_sdwa s[6:7], v6, s4 src0_sel:BYTE_3 src1_sel:DWORD
	s_mov_b64 s[4:5], 0
                                        ; implicit-def: $sgpr10
	s_and_saveexec_b64 s[8:9], s[6:7]
	s_xor_b64 s[6:7], exec, s[8:9]
	s_cbranch_execnz .LBB11_2201
; %bb.153:
	s_or_saveexec_b64 s[6:7], s[6:7]
	v_mov_b32_e32 v10, s10
	s_xor_b64 exec, exec, s[6:7]
	s_cbranch_execnz .LBB11_2204
.LBB11_154:
	s_or_b64 exec, exec, s[6:7]
	s_and_saveexec_b64 s[6:7], s[4:5]
	s_cbranch_execz .LBB11_156
.LBB11_155:
	v_bfe_u32 v10, v6, 24, 3
	v_ffbh_u32_e32 v14, v10
	v_min_u32_e32 v14, 32, v14
	v_lshrrev_b32_e32 v12, 27, v6
	v_subrev_u32_e32 v15, 28, v14
	v_and_b32_e32 v11, 0x80000000, v6
	v_and_b32_e32 v12, 15, v12
	v_bfe_u32 v13, v6, 27, 4
	v_lshlrev_b32_sdwa v6, v15, v6 dst_sel:DWORD dst_unused:UNUSED_PAD src0_sel:DWORD src1_sel:BYTE_3
	v_sub_u32_e32 v14, 29, v14
	v_and_b32_e32 v6, 7, v6
	v_cmp_eq_u16_e32 vcc, 0, v12
	v_cndmask_b32_e32 v6, v10, v6, vcc
	v_cndmask_b32_e32 v10, v13, v14, vcc
	v_mov_b32_e32 v12, 0x3b800000
	v_lshlrev_b32_e32 v6, 20, v6
	v_lshl_add_u32 v10, v10, 23, v12
	v_or3_b32 v10, v11, v10, v6
.LBB11_156:
	s_or_b64 exec, exec, s[6:7]
	s_movk_i32 s4, 0x7f
	v_cmp_gt_i16_sdwa s[6:7], v2, s4 src0_sel:BYTE_3 src1_sel:DWORD
	s_mov_b64 s[4:5], 0
                                        ; implicit-def: $sgpr10
	s_and_saveexec_b64 s[8:9], s[6:7]
	s_xor_b64 s[6:7], exec, s[8:9]
	s_cbranch_execnz .LBB11_2205
; %bb.157:
	s_or_saveexec_b64 s[6:7], s[6:7]
	v_mov_b32_e32 v6, s10
	s_xor_b64 exec, exec, s[6:7]
	s_cbranch_execnz .LBB11_2208
.LBB11_158:
	s_or_b64 exec, exec, s[6:7]
	s_and_saveexec_b64 s[6:7], s[4:5]
	s_cbranch_execz .LBB11_160
.LBB11_159:
	v_bfe_u32 v6, v2, 24, 3
	v_ffbh_u32_e32 v14, v6
	v_min_u32_e32 v14, 32, v14
	v_lshrrev_b32_e32 v12, 27, v2
	v_subrev_u32_e32 v15, 28, v14
	v_and_b32_e32 v11, 0x80000000, v2
	v_and_b32_e32 v12, 15, v12
	v_bfe_u32 v13, v2, 27, 4
	v_lshlrev_b32_sdwa v2, v15, v2 dst_sel:DWORD dst_unused:UNUSED_PAD src0_sel:DWORD src1_sel:BYTE_3
	v_sub_u32_e32 v14, 29, v14
	v_and_b32_e32 v2, 7, v2
	v_cmp_eq_u16_e32 vcc, 0, v12
	v_cndmask_b32_e32 v2, v6, v2, vcc
	v_cndmask_b32_e32 v6, v13, v14, vcc
	v_mov_b32_e32 v12, 0x3b800000
	v_lshlrev_b32_e32 v2, 20, v2
	v_lshl_add_u32 v6, v6, 23, v12
	v_or3_b32 v6, v11, v6, v2
.LBB11_160:
	s_or_b64 exec, exec, s[6:7]
	s_nop 0
	v_mfma_f32_16x16x4f32 a[0:3], v10, v6, a[0:3]
	s_movk_i32 s4, 0x7f
	v_cmp_gt_i16_sdwa s[6:7], v7, s4 src0_sel:BYTE_0 src1_sel:DWORD
	s_mov_b64 s[4:5], 0
                                        ; implicit-def: $sgpr10
	s_and_saveexec_b64 s[8:9], s[6:7]
	s_xor_b64 s[6:7], exec, s[8:9]
	s_cbranch_execnz .LBB11_2209
; %bb.161:
	s_or_saveexec_b64 s[6:7], s[6:7]
	v_mov_b32_e32 v2, s10
	s_xor_b64 exec, exec, s[6:7]
	s_cbranch_execnz .LBB11_2212
.LBB11_162:
	s_or_b64 exec, exec, s[6:7]
	s_and_saveexec_b64 s[6:7], s[4:5]
	s_cbranch_execz .LBB11_164
.LBB11_163:
	v_and_b32_e32 v2, 7, v7
	v_ffbh_u32_e32 v10, v2
	v_min_u32_e32 v10, 32, v10
	v_lshrrev_b16_e32 v6, 3, v7
	v_subrev_u32_e32 v11, 28, v10
	v_and_b32_e32 v6, 15, v6
	v_lshlrev_b32_e32 v11, v11, v7
	v_sub_u32_e32 v10, 29, v10
	v_and_b32_e32 v11, 7, v11
	v_cmp_eq_u16_e32 vcc, 0, v6
	v_cndmask_b32_e32 v2, v2, v11, vcc
	v_cndmask_b32_e32 v6, v6, v10, vcc
	v_lshlrev_b32_e32 v10, 24, v7
	v_mov_b32_e32 v11, 0x3b800000
	v_lshlrev_b32_e32 v2, 20, v2
	v_and_b32_e32 v10, 0x80000000, v10
	v_lshl_add_u32 v6, v6, 23, v11
	v_or3_b32 v2, v10, v6, v2
.LBB11_164:
	s_or_b64 exec, exec, s[6:7]
	s_movk_i32 s4, 0x7f
	v_cmp_gt_i16_sdwa s[6:7], v3, s4 src0_sel:BYTE_0 src1_sel:DWORD
	s_mov_b64 s[4:5], 0
                                        ; implicit-def: $sgpr10
	s_and_saveexec_b64 s[8:9], s[6:7]
	s_xor_b64 s[6:7], exec, s[8:9]
	s_cbranch_execnz .LBB11_2213
; %bb.165:
	s_or_saveexec_b64 s[6:7], s[6:7]
	v_mov_b32_e32 v6, s10
	s_xor_b64 exec, exec, s[6:7]
	s_cbranch_execnz .LBB11_2216
.LBB11_166:
	s_or_b64 exec, exec, s[6:7]
	s_and_saveexec_b64 s[6:7], s[4:5]
	s_cbranch_execz .LBB11_168
.LBB11_167:
	v_and_b32_e32 v6, 7, v3
	v_ffbh_u32_e32 v11, v6
	v_min_u32_e32 v11, 32, v11
	v_lshrrev_b16_e32 v10, 3, v3
	v_subrev_u32_e32 v12, 28, v11
	v_and_b32_e32 v10, 15, v10
	v_lshlrev_b32_e32 v12, v12, v3
	v_sub_u32_e32 v11, 29, v11
	v_and_b32_e32 v12, 7, v12
	v_cmp_eq_u16_e32 vcc, 0, v10
	v_cndmask_b32_e32 v6, v6, v12, vcc
	v_cndmask_b32_e32 v10, v10, v11, vcc
	v_lshlrev_b32_e32 v11, 24, v3
	v_mov_b32_e32 v12, 0x3b800000
	v_lshlrev_b32_e32 v6, 20, v6
	v_and_b32_e32 v11, 0x80000000, v11
	v_lshl_add_u32 v10, v10, 23, v12
	v_or3_b32 v6, v11, v10, v6
.LBB11_168:
	s_or_b64 exec, exec, s[6:7]
	s_nop 0
	v_mfma_f32_16x16x4f32 a[0:3], v2, v6, a[0:3]
	v_lshrrev_b32_e32 v6, 8, v7
	s_movk_i32 s4, 0x7f
	v_cmp_gt_i16_sdwa s[6:7], v6, s4 src0_sel:BYTE_0 src1_sel:DWORD
	s_mov_b64 s[4:5], 0
                                        ; implicit-def: $sgpr10
	s_and_saveexec_b64 s[8:9], s[6:7]
	s_xor_b64 s[6:7], exec, s[8:9]
	s_cbranch_execnz .LBB11_2217
; %bb.169:
	s_or_saveexec_b64 s[6:7], s[6:7]
	v_mov_b32_e32 v2, s10
	s_xor_b64 exec, exec, s[6:7]
	s_cbranch_execnz .LBB11_2220
.LBB11_170:
	s_or_b64 exec, exec, s[6:7]
	s_and_saveexec_b64 s[6:7], s[4:5]
	s_cbranch_execz .LBB11_172
.LBB11_171:
	v_bfe_u32 v2, v7, 8, 3
	v_ffbh_u32_e32 v11, v2
	v_min_u32_e32 v11, 32, v11
	v_lshrrev_b16_e32 v10, 3, v6
	v_subrev_u32_e32 v12, 28, v11
	v_and_b32_e32 v10, 15, v10
	v_lshlrev_b32_e32 v6, v12, v6
	v_sub_u32_e32 v11, 29, v11
	v_and_b32_e32 v6, 7, v6
	v_cmp_eq_u16_e32 vcc, 0, v10
	v_cndmask_b32_e32 v2, v2, v6, vcc
	v_cndmask_b32_e32 v6, v10, v11, vcc
	v_lshlrev_b32_e32 v10, 16, v7
	v_mov_b32_e32 v11, 0x3b800000
	v_lshlrev_b32_e32 v2, 20, v2
	v_and_b32_e32 v10, 0x80000000, v10
	v_lshl_add_u32 v6, v6, 23, v11
	v_or3_b32 v2, v10, v6, v2
.LBB11_172:
	s_or_b64 exec, exec, s[6:7]
	v_lshrrev_b32_e32 v6, 8, v3
	s_movk_i32 s4, 0x7f
	v_cmp_gt_i16_sdwa s[6:7], v6, s4 src0_sel:BYTE_0 src1_sel:DWORD
	s_mov_b64 s[4:5], 0
                                        ; implicit-def: $sgpr10
	s_and_saveexec_b64 s[8:9], s[6:7]
	s_xor_b64 s[6:7], exec, s[8:9]
	s_cbranch_execnz .LBB11_2221
; %bb.173:
	s_or_saveexec_b64 s[6:7], s[6:7]
	v_mov_b32_e32 v10, s10
	s_xor_b64 exec, exec, s[6:7]
	s_cbranch_execnz .LBB11_2224
.LBB11_174:
	s_or_b64 exec, exec, s[6:7]
	s_and_saveexec_b64 s[6:7], s[4:5]
	s_cbranch_execz .LBB11_176
.LBB11_175:
	v_bfe_u32 v10, v3, 8, 3
	v_ffbh_u32_e32 v12, v10
	v_min_u32_e32 v12, 32, v12
	v_lshrrev_b16_e32 v11, 3, v6
	v_subrev_u32_e32 v13, 28, v12
	v_and_b32_e32 v11, 15, v11
	v_lshlrev_b32_e32 v6, v13, v6
	v_sub_u32_e32 v12, 29, v12
	v_and_b32_e32 v6, 7, v6
	v_cmp_eq_u16_e32 vcc, 0, v11
	v_cndmask_b32_e32 v6, v10, v6, vcc
	v_cndmask_b32_e32 v10, v11, v12, vcc
	v_lshlrev_b32_e32 v11, 16, v3
	v_mov_b32_e32 v12, 0x3b800000
	v_lshlrev_b32_e32 v6, 20, v6
	v_and_b32_e32 v11, 0x80000000, v11
	v_lshl_add_u32 v10, v10, 23, v12
	v_or3_b32 v10, v11, v10, v6
.LBB11_176:
	s_or_b64 exec, exec, s[6:7]
	s_nop 0
	v_mfma_f32_16x16x4f32 a[0:3], v2, v10, a[0:3]
	s_movk_i32 s4, 0xff
	v_and_b32_sdwa v6, v7, s4 dst_sel:DWORD dst_unused:UNUSED_PAD src0_sel:WORD_1 src1_sel:DWORD
	s_movk_i32 s4, 0x7f
	v_cmp_lt_i16_e32 vcc, s4, v6
	s_mov_b64 s[4:5], 0
                                        ; implicit-def: $sgpr10
	s_and_saveexec_b64 s[6:7], vcc
	s_xor_b64 s[6:7], exec, s[6:7]
	s_cbranch_execnz .LBB11_2225
; %bb.177:
	s_or_saveexec_b64 s[6:7], s[6:7]
	v_mov_b32_e32 v2, s10
	s_xor_b64 exec, exec, s[6:7]
	s_cbranch_execnz .LBB11_2228
.LBB11_178:
	s_or_b64 exec, exec, s[6:7]
	s_and_saveexec_b64 s[6:7], s[4:5]
	s_cbranch_execz .LBB11_180
.LBB11_179:
	v_bfe_u32 v2, v7, 16, 3
	v_ffbh_u32_e32 v11, v2
	v_min_u32_e32 v11, 32, v11
	v_lshrrev_b32_e32 v6, 19, v7
	v_subrev_u32_e32 v12, 28, v11
	v_and_b32_e32 v6, 15, v6
	v_lshlrev_b32_sdwa v12, v12, v7 dst_sel:DWORD dst_unused:UNUSED_PAD src0_sel:DWORD src1_sel:WORD_1
	v_bfe_u32 v10, v7, 19, 4
	v_sub_u32_e32 v11, 29, v11
	v_and_b32_e32 v12, 7, v12
	v_cmp_eq_u16_e32 vcc, 0, v6
	v_cndmask_b32_e32 v2, v2, v12, vcc
	v_cndmask_b32_e32 v6, v10, v11, vcc
	v_lshlrev_b32_e32 v10, 8, v7
	v_mov_b32_e32 v11, 0x3b800000
	v_lshlrev_b32_e32 v2, 20, v2
	v_and_b32_e32 v10, 0x80000000, v10
	v_lshl_add_u32 v6, v6, 23, v11
	v_or3_b32 v2, v10, v6, v2
.LBB11_180:
	s_or_b64 exec, exec, s[6:7]
	s_movk_i32 s4, 0xff
	v_and_b32_sdwa v6, v3, s4 dst_sel:DWORD dst_unused:UNUSED_PAD src0_sel:WORD_1 src1_sel:DWORD
	s_movk_i32 s4, 0x7f
	v_cmp_lt_i16_e32 vcc, s4, v6
	s_mov_b64 s[4:5], 0
                                        ; implicit-def: $sgpr10
	s_and_saveexec_b64 s[6:7], vcc
	s_xor_b64 s[6:7], exec, s[6:7]
	s_cbranch_execnz .LBB11_2229
; %bb.181:
	s_or_saveexec_b64 s[6:7], s[6:7]
	v_mov_b32_e32 v10, s10
	s_xor_b64 exec, exec, s[6:7]
	s_cbranch_execnz .LBB11_2232
.LBB11_182:
	s_or_b64 exec, exec, s[6:7]
	s_and_saveexec_b64 s[6:7], s[4:5]
	s_cbranch_execz .LBB11_184
.LBB11_183:
	v_bfe_u32 v6, v3, 16, 3
	v_ffbh_u32_e32 v12, v6
	v_min_u32_e32 v12, 32, v12
	v_lshrrev_b32_e32 v10, 19, v3
	v_subrev_u32_e32 v13, 28, v12
	v_and_b32_e32 v10, 15, v10
	v_lshlrev_b32_sdwa v13, v13, v3 dst_sel:DWORD dst_unused:UNUSED_PAD src0_sel:DWORD src1_sel:WORD_1
	v_bfe_u32 v11, v3, 19, 4
	v_sub_u32_e32 v12, 29, v12
	v_and_b32_e32 v13, 7, v13
	v_cmp_eq_u16_e32 vcc, 0, v10
	v_cndmask_b32_e32 v6, v6, v13, vcc
	v_cndmask_b32_e32 v10, v11, v12, vcc
	v_lshlrev_b32_e32 v11, 8, v3
	v_mov_b32_e32 v12, 0x3b800000
	v_lshlrev_b32_e32 v6, 20, v6
	v_and_b32_e32 v11, 0x80000000, v11
	v_lshl_add_u32 v10, v10, 23, v12
	v_or3_b32 v10, v11, v10, v6
.LBB11_184:
	s_or_b64 exec, exec, s[6:7]
	s_nop 0
	v_mfma_f32_16x16x4f32 a[0:3], v2, v10, a[0:3]
	s_movk_i32 s4, 0x7f
	v_cmp_gt_i16_sdwa s[6:7], v7, s4 src0_sel:BYTE_3 src1_sel:DWORD
	s_mov_b64 s[4:5], 0
                                        ; implicit-def: $sgpr10
	s_and_saveexec_b64 s[8:9], s[6:7]
	s_xor_b64 s[6:7], exec, s[8:9]
	s_cbranch_execnz .LBB11_2233
; %bb.185:
	s_or_saveexec_b64 s[6:7], s[6:7]
	v_mov_b32_e32 v2, s10
	s_xor_b64 exec, exec, s[6:7]
	s_cbranch_execnz .LBB11_2236
.LBB11_186:
	s_or_b64 exec, exec, s[6:7]
	s_and_saveexec_b64 s[6:7], s[4:5]
	s_cbranch_execz .LBB11_188
.LBB11_187:
	v_bfe_u32 v2, v7, 24, 3
	v_ffbh_u32_e32 v12, v2
	v_min_u32_e32 v12, 32, v12
	v_lshrrev_b32_e32 v10, 27, v7
	v_subrev_u32_e32 v13, 28, v12
	v_and_b32_e32 v6, 0x80000000, v7
	v_and_b32_e32 v10, 15, v10
	v_bfe_u32 v11, v7, 27, 4
	v_lshlrev_b32_sdwa v7, v13, v7 dst_sel:DWORD dst_unused:UNUSED_PAD src0_sel:DWORD src1_sel:BYTE_3
	v_sub_u32_e32 v12, 29, v12
	v_and_b32_e32 v7, 7, v7
	v_cmp_eq_u16_e32 vcc, 0, v10
	v_cndmask_b32_e32 v2, v2, v7, vcc
	v_cndmask_b32_e32 v7, v11, v12, vcc
	v_mov_b32_e32 v10, 0x3b800000
	v_lshlrev_b32_e32 v2, 20, v2
	v_lshl_add_u32 v7, v7, 23, v10
	v_or3_b32 v2, v6, v7, v2
.LBB11_188:
	s_or_b64 exec, exec, s[6:7]
	s_movk_i32 s4, 0x7f
	v_cmp_gt_i16_sdwa s[6:7], v3, s4 src0_sel:BYTE_3 src1_sel:DWORD
	s_mov_b64 s[4:5], 0
                                        ; implicit-def: $sgpr10
	s_and_saveexec_b64 s[8:9], s[6:7]
	s_xor_b64 s[6:7], exec, s[8:9]
	s_cbranch_execnz .LBB11_2237
; %bb.189:
	s_or_saveexec_b64 s[6:7], s[6:7]
	v_mov_b32_e32 v6, s10
	s_xor_b64 exec, exec, s[6:7]
	s_cbranch_execnz .LBB11_2240
.LBB11_190:
	s_or_b64 exec, exec, s[6:7]
	s_and_saveexec_b64 s[6:7], s[4:5]
	s_cbranch_execz .LBB11_192
.LBB11_191:
	v_bfe_u32 v6, v3, 24, 3
	v_ffbh_u32_e32 v12, v6
	v_min_u32_e32 v12, 32, v12
	v_lshrrev_b32_e32 v10, 27, v3
	v_subrev_u32_e32 v13, 28, v12
	v_and_b32_e32 v7, 0x80000000, v3
	v_and_b32_e32 v10, 15, v10
	v_bfe_u32 v11, v3, 27, 4
	v_lshlrev_b32_sdwa v3, v13, v3 dst_sel:DWORD dst_unused:UNUSED_PAD src0_sel:DWORD src1_sel:BYTE_3
	v_sub_u32_e32 v12, 29, v12
	v_and_b32_e32 v3, 7, v3
	v_cmp_eq_u16_e32 vcc, 0, v10
	v_cndmask_b32_e32 v3, v6, v3, vcc
	v_cndmask_b32_e32 v6, v11, v12, vcc
	v_mov_b32_e32 v10, 0x3b800000
	v_lshlrev_b32_e32 v3, 20, v3
	v_lshl_add_u32 v6, v6, 23, v10
	v_or3_b32 v6, v7, v6, v3
.LBB11_192:
	s_or_b64 exec, exec, s[6:7]
	s_nop 0
	v_mfma_f32_16x16x4f32 a[0:3], v2, v6, a[0:3]
	s_movk_i32 s4, 0x7f
	v_cmp_gt_i16_sdwa s[6:7], v8, s4 src0_sel:BYTE_0 src1_sel:DWORD
	s_mov_b64 s[4:5], 0
                                        ; implicit-def: $sgpr10
	s_and_saveexec_b64 s[8:9], s[6:7]
	s_xor_b64 s[6:7], exec, s[8:9]
	s_cbranch_execnz .LBB11_2241
; %bb.193:
	s_or_saveexec_b64 s[6:7], s[6:7]
	v_mov_b32_e32 v2, s10
	s_xor_b64 exec, exec, s[6:7]
	s_cbranch_execnz .LBB11_2244
.LBB11_194:
	s_or_b64 exec, exec, s[6:7]
	s_and_saveexec_b64 s[6:7], s[4:5]
	s_cbranch_execz .LBB11_196
.LBB11_195:
	v_and_b32_e32 v2, 7, v8
	v_ffbh_u32_e32 v6, v2
	v_min_u32_e32 v6, 32, v6
	v_lshrrev_b16_e32 v3, 3, v8
	v_subrev_u32_e32 v7, 28, v6
	v_and_b32_e32 v3, 15, v3
	v_lshlrev_b32_e32 v7, v7, v8
	v_sub_u32_e32 v6, 29, v6
	v_and_b32_e32 v7, 7, v7
	v_cmp_eq_u16_e32 vcc, 0, v3
	v_cndmask_b32_e32 v2, v2, v7, vcc
	v_cndmask_b32_e32 v3, v3, v6, vcc
	v_lshlrev_b32_e32 v6, 24, v8
	v_mov_b32_e32 v7, 0x3b800000
	v_lshlrev_b32_e32 v2, 20, v2
	v_and_b32_e32 v6, 0x80000000, v6
	v_lshl_add_u32 v3, v3, 23, v7
	v_or3_b32 v2, v6, v3, v2
.LBB11_196:
	s_or_b64 exec, exec, s[6:7]
	s_movk_i32 s4, 0x7f
	v_cmp_gt_i16_sdwa s[6:7], v4, s4 src0_sel:BYTE_0 src1_sel:DWORD
	s_mov_b64 s[4:5], 0
                                        ; implicit-def: $sgpr10
	s_and_saveexec_b64 s[8:9], s[6:7]
	s_xor_b64 s[6:7], exec, s[8:9]
	s_cbranch_execnz .LBB11_2245
; %bb.197:
	s_or_saveexec_b64 s[6:7], s[6:7]
	v_mov_b32_e32 v3, s10
	s_xor_b64 exec, exec, s[6:7]
	s_cbranch_execnz .LBB11_2248
.LBB11_198:
	s_or_b64 exec, exec, s[6:7]
	s_and_saveexec_b64 s[6:7], s[4:5]
	s_cbranch_execz .LBB11_200
.LBB11_199:
	v_and_b32_e32 v3, 7, v4
	v_ffbh_u32_e32 v7, v3
	v_min_u32_e32 v7, 32, v7
	v_lshrrev_b16_e32 v6, 3, v4
	v_subrev_u32_e32 v10, 28, v7
	v_and_b32_e32 v6, 15, v6
	v_lshlrev_b32_e32 v10, v10, v4
	v_sub_u32_e32 v7, 29, v7
	v_and_b32_e32 v10, 7, v10
	v_cmp_eq_u16_e32 vcc, 0, v6
	v_cndmask_b32_e32 v3, v3, v10, vcc
	v_cndmask_b32_e32 v6, v6, v7, vcc
	v_lshlrev_b32_e32 v7, 24, v4
	v_mov_b32_e32 v10, 0x3b800000
	v_lshlrev_b32_e32 v3, 20, v3
	v_and_b32_e32 v7, 0x80000000, v7
	v_lshl_add_u32 v6, v6, 23, v10
	v_or3_b32 v3, v7, v6, v3
.LBB11_200:
	s_or_b64 exec, exec, s[6:7]
	s_nop 0
	v_mfma_f32_16x16x4f32 a[0:3], v2, v3, a[0:3]
	v_lshrrev_b32_e32 v3, 8, v8
	s_movk_i32 s4, 0x7f
	v_cmp_gt_i16_sdwa s[6:7], v3, s4 src0_sel:BYTE_0 src1_sel:DWORD
	s_mov_b64 s[4:5], 0
                                        ; implicit-def: $sgpr10
	s_and_saveexec_b64 s[8:9], s[6:7]
	s_xor_b64 s[6:7], exec, s[8:9]
	s_cbranch_execnz .LBB11_2249
; %bb.201:
	s_or_saveexec_b64 s[6:7], s[6:7]
	v_mov_b32_e32 v2, s10
	s_xor_b64 exec, exec, s[6:7]
	s_cbranch_execnz .LBB11_2252
.LBB11_202:
	s_or_b64 exec, exec, s[6:7]
	s_and_saveexec_b64 s[6:7], s[4:5]
	s_cbranch_execz .LBB11_204
.LBB11_203:
	v_bfe_u32 v2, v8, 8, 3
	v_ffbh_u32_e32 v7, v2
	v_min_u32_e32 v7, 32, v7
	v_lshrrev_b16_e32 v6, 3, v3
	v_subrev_u32_e32 v10, 28, v7
	v_and_b32_e32 v6, 15, v6
	v_lshlrev_b32_e32 v3, v10, v3
	v_sub_u32_e32 v7, 29, v7
	v_and_b32_e32 v3, 7, v3
	v_cmp_eq_u16_e32 vcc, 0, v6
	v_cndmask_b32_e32 v2, v2, v3, vcc
	v_cndmask_b32_e32 v3, v6, v7, vcc
	v_lshlrev_b32_e32 v6, 16, v8
	v_mov_b32_e32 v7, 0x3b800000
	v_lshlrev_b32_e32 v2, 20, v2
	v_and_b32_e32 v6, 0x80000000, v6
	v_lshl_add_u32 v3, v3, 23, v7
	v_or3_b32 v2, v6, v3, v2
.LBB11_204:
	s_or_b64 exec, exec, s[6:7]
	v_lshrrev_b32_e32 v3, 8, v4
	s_movk_i32 s4, 0x7f
	v_cmp_gt_i16_sdwa s[6:7], v3, s4 src0_sel:BYTE_0 src1_sel:DWORD
	s_mov_b64 s[4:5], 0
                                        ; implicit-def: $sgpr10
	s_and_saveexec_b64 s[8:9], s[6:7]
	s_xor_b64 s[6:7], exec, s[8:9]
	s_cbranch_execnz .LBB11_2253
; %bb.205:
	s_or_saveexec_b64 s[6:7], s[6:7]
	v_mov_b32_e32 v6, s10
	s_xor_b64 exec, exec, s[6:7]
	s_cbranch_execnz .LBB11_2256
.LBB11_206:
	s_or_b64 exec, exec, s[6:7]
	s_and_saveexec_b64 s[6:7], s[4:5]
	s_cbranch_execz .LBB11_208
.LBB11_207:
	v_bfe_u32 v6, v4, 8, 3
	v_ffbh_u32_e32 v10, v6
	v_min_u32_e32 v10, 32, v10
	v_lshrrev_b16_e32 v7, 3, v3
	v_subrev_u32_e32 v11, 28, v10
	v_and_b32_e32 v7, 15, v7
	v_lshlrev_b32_e32 v3, v11, v3
	v_sub_u32_e32 v10, 29, v10
	v_and_b32_e32 v3, 7, v3
	v_cmp_eq_u16_e32 vcc, 0, v7
	v_cndmask_b32_e32 v3, v6, v3, vcc
	v_cndmask_b32_e32 v6, v7, v10, vcc
	v_lshlrev_b32_e32 v7, 16, v4
	v_mov_b32_e32 v10, 0x3b800000
	v_lshlrev_b32_e32 v3, 20, v3
	v_and_b32_e32 v7, 0x80000000, v7
	v_lshl_add_u32 v6, v6, 23, v10
	v_or3_b32 v6, v7, v6, v3
.LBB11_208:
	s_or_b64 exec, exec, s[6:7]
	s_nop 0
	v_mfma_f32_16x16x4f32 a[0:3], v2, v6, a[0:3]
	s_movk_i32 s4, 0xff
	v_and_b32_sdwa v3, v8, s4 dst_sel:DWORD dst_unused:UNUSED_PAD src0_sel:WORD_1 src1_sel:DWORD
	s_movk_i32 s4, 0x7f
	v_cmp_lt_i16_e32 vcc, s4, v3
	s_mov_b64 s[4:5], 0
                                        ; implicit-def: $sgpr10
	s_and_saveexec_b64 s[6:7], vcc
	s_xor_b64 s[6:7], exec, s[6:7]
	s_cbranch_execnz .LBB11_2257
; %bb.209:
	s_or_saveexec_b64 s[6:7], s[6:7]
	v_mov_b32_e32 v2, s10
	s_xor_b64 exec, exec, s[6:7]
	s_cbranch_execnz .LBB11_2260
.LBB11_210:
	s_or_b64 exec, exec, s[6:7]
	s_and_saveexec_b64 s[6:7], s[4:5]
	s_cbranch_execz .LBB11_212
.LBB11_211:
	v_bfe_u32 v2, v8, 16, 3
	v_ffbh_u32_e32 v7, v2
	v_min_u32_e32 v7, 32, v7
	v_lshrrev_b32_e32 v3, 19, v8
	v_subrev_u32_e32 v10, 28, v7
	v_and_b32_e32 v3, 15, v3
	v_lshlrev_b32_sdwa v10, v10, v8 dst_sel:DWORD dst_unused:UNUSED_PAD src0_sel:DWORD src1_sel:WORD_1
	v_bfe_u32 v6, v8, 19, 4
	v_sub_u32_e32 v7, 29, v7
	v_and_b32_e32 v10, 7, v10
	v_cmp_eq_u16_e32 vcc, 0, v3
	v_cndmask_b32_e32 v2, v2, v10, vcc
	v_cndmask_b32_e32 v3, v6, v7, vcc
	v_lshlrev_b32_e32 v6, 8, v8
	v_mov_b32_e32 v7, 0x3b800000
	v_lshlrev_b32_e32 v2, 20, v2
	v_and_b32_e32 v6, 0x80000000, v6
	v_lshl_add_u32 v3, v3, 23, v7
	v_or3_b32 v2, v6, v3, v2
.LBB11_212:
	s_or_b64 exec, exec, s[6:7]
	s_movk_i32 s4, 0xff
	v_and_b32_sdwa v3, v4, s4 dst_sel:DWORD dst_unused:UNUSED_PAD src0_sel:WORD_1 src1_sel:DWORD
	s_movk_i32 s4, 0x7f
	v_cmp_lt_i16_e32 vcc, s4, v3
	s_mov_b64 s[4:5], 0
                                        ; implicit-def: $sgpr10
	s_and_saveexec_b64 s[6:7], vcc
	s_xor_b64 s[6:7], exec, s[6:7]
	s_cbranch_execnz .LBB11_2261
; %bb.213:
	s_or_saveexec_b64 s[6:7], s[6:7]
	v_mov_b32_e32 v6, s10
	s_xor_b64 exec, exec, s[6:7]
	s_cbranch_execnz .LBB11_2264
.LBB11_214:
	s_or_b64 exec, exec, s[6:7]
	s_and_saveexec_b64 s[6:7], s[4:5]
	s_cbranch_execz .LBB11_216
.LBB11_215:
	v_bfe_u32 v3, v4, 16, 3
	v_ffbh_u32_e32 v10, v3
	v_min_u32_e32 v10, 32, v10
	v_lshrrev_b32_e32 v6, 19, v4
	v_subrev_u32_e32 v11, 28, v10
	v_and_b32_e32 v6, 15, v6
	v_lshlrev_b32_sdwa v11, v11, v4 dst_sel:DWORD dst_unused:UNUSED_PAD src0_sel:DWORD src1_sel:WORD_1
	v_bfe_u32 v7, v4, 19, 4
	v_sub_u32_e32 v10, 29, v10
	v_and_b32_e32 v11, 7, v11
	v_cmp_eq_u16_e32 vcc, 0, v6
	v_cndmask_b32_e32 v3, v3, v11, vcc
	v_cndmask_b32_e32 v6, v7, v10, vcc
	v_lshlrev_b32_e32 v7, 8, v4
	v_mov_b32_e32 v10, 0x3b800000
	v_lshlrev_b32_e32 v3, 20, v3
	v_and_b32_e32 v7, 0x80000000, v7
	v_lshl_add_u32 v6, v6, 23, v10
	v_or3_b32 v6, v7, v6, v3
.LBB11_216:
	s_or_b64 exec, exec, s[6:7]
	s_nop 0
	v_mfma_f32_16x16x4f32 a[0:3], v2, v6, a[0:3]
	s_movk_i32 s4, 0x7f
	v_cmp_gt_i16_sdwa s[6:7], v8, s4 src0_sel:BYTE_3 src1_sel:DWORD
	s_mov_b64 s[4:5], 0
                                        ; implicit-def: $sgpr10
	s_and_saveexec_b64 s[8:9], s[6:7]
	s_xor_b64 s[6:7], exec, s[8:9]
	s_cbranch_execnz .LBB11_2265
; %bb.217:
	s_or_saveexec_b64 s[6:7], s[6:7]
	v_mov_b32_e32 v2, s10
	s_xor_b64 exec, exec, s[6:7]
	s_cbranch_execnz .LBB11_2268
.LBB11_218:
	s_or_b64 exec, exec, s[6:7]
	s_and_saveexec_b64 s[6:7], s[4:5]
	s_cbranch_execz .LBB11_220
.LBB11_219:
	v_bfe_u32 v2, v8, 24, 3
	v_ffbh_u32_e32 v10, v2
	v_min_u32_e32 v10, 32, v10
	v_lshrrev_b32_e32 v6, 27, v8
	v_subrev_u32_e32 v11, 28, v10
	v_and_b32_e32 v3, 0x80000000, v8
	v_and_b32_e32 v6, 15, v6
	v_bfe_u32 v7, v8, 27, 4
	v_lshlrev_b32_sdwa v8, v11, v8 dst_sel:DWORD dst_unused:UNUSED_PAD src0_sel:DWORD src1_sel:BYTE_3
	v_sub_u32_e32 v10, 29, v10
	v_and_b32_e32 v8, 7, v8
	v_cmp_eq_u16_e32 vcc, 0, v6
	v_cndmask_b32_e32 v2, v2, v8, vcc
	v_cndmask_b32_e32 v6, v7, v10, vcc
	v_mov_b32_e32 v7, 0x3b800000
	v_lshlrev_b32_e32 v2, 20, v2
	v_lshl_add_u32 v6, v6, 23, v7
	v_or3_b32 v2, v3, v6, v2
.LBB11_220:
	s_or_b64 exec, exec, s[6:7]
	s_movk_i32 s4, 0x7f
	v_cmp_gt_i16_sdwa s[6:7], v4, s4 src0_sel:BYTE_3 src1_sel:DWORD
	s_mov_b64 s[4:5], 0
                                        ; implicit-def: $sgpr10
	s_and_saveexec_b64 s[8:9], s[6:7]
	s_xor_b64 s[6:7], exec, s[8:9]
	s_cbranch_execnz .LBB11_2269
; %bb.221:
	s_or_saveexec_b64 s[6:7], s[6:7]
	v_mov_b32_e32 v3, s10
	s_xor_b64 exec, exec, s[6:7]
	s_cbranch_execnz .LBB11_2272
.LBB11_222:
	s_or_b64 exec, exec, s[6:7]
	s_and_saveexec_b64 s[6:7], s[4:5]
	s_cbranch_execz .LBB11_224
.LBB11_223:
	v_bfe_u32 v3, v4, 24, 3
	v_ffbh_u32_e32 v10, v3
	v_min_u32_e32 v10, 32, v10
	v_lshrrev_b32_e32 v7, 27, v4
	v_subrev_u32_e32 v11, 28, v10
	v_and_b32_e32 v6, 0x80000000, v4
	v_and_b32_e32 v7, 15, v7
	v_bfe_u32 v8, v4, 27, 4
	v_lshlrev_b32_sdwa v4, v11, v4 dst_sel:DWORD dst_unused:UNUSED_PAD src0_sel:DWORD src1_sel:BYTE_3
	v_sub_u32_e32 v10, 29, v10
	v_and_b32_e32 v4, 7, v4
	v_cmp_eq_u16_e32 vcc, 0, v7
	v_cndmask_b32_e32 v3, v3, v4, vcc
	v_cndmask_b32_e32 v4, v8, v10, vcc
	v_mov_b32_e32 v7, 0x3b800000
	v_lshlrev_b32_e32 v3, 20, v3
	v_lshl_add_u32 v4, v4, 23, v7
	v_or3_b32 v3, v6, v4, v3
.LBB11_224:
	s_or_b64 exec, exec, s[6:7]
	s_nop 0
	v_mfma_f32_16x16x4f32 a[0:3], v2, v3, a[0:3]
	s_movk_i32 s4, 0x7f
	v_cmp_gt_i16_sdwa s[6:7], v9, s4 src0_sel:BYTE_0 src1_sel:DWORD
	s_mov_b64 s[4:5], 0
                                        ; implicit-def: $sgpr10
	s_and_saveexec_b64 s[8:9], s[6:7]
	s_xor_b64 s[6:7], exec, s[8:9]
	s_cbranch_execnz .LBB11_2273
; %bb.225:
	s_or_saveexec_b64 s[6:7], s[6:7]
	v_mov_b32_e32 v2, s10
	s_xor_b64 exec, exec, s[6:7]
	s_cbranch_execnz .LBB11_2276
.LBB11_226:
	s_or_b64 exec, exec, s[6:7]
	s_and_saveexec_b64 s[6:7], s[4:5]
	s_cbranch_execz .LBB11_228
.LBB11_227:
	v_mov_b32_e32 v2, 8
	v_and_b32_e32 v3, 7, v9
	v_lshrrev_b32_sdwa v2, v2, v9 dst_sel:BYTE_1 dst_unused:UNUSED_PAD src0_sel:DWORD src1_sel:DWORD
	v_ffbh_u32_e32 v4, v3
	v_or_b32_sdwa v2, v9, v2 dst_sel:DWORD dst_unused:UNUSED_PAD src0_sel:BYTE_0 src1_sel:DWORD
	v_min_u32_e32 v4, 32, v4
	v_lshrrev_b16_e32 v2, 3, v2
	v_subrev_u32_e32 v6, 28, v4
	v_and_b32_e32 v2, 15, v2
	v_lshlrev_b32_e32 v6, v6, v9
	v_sub_u32_e32 v4, 29, v4
	v_and_b32_e32 v6, 7, v6
	v_cmp_eq_u16_e32 vcc, 0, v2
	v_cndmask_b32_e32 v3, v3, v6, vcc
	v_cndmask_b32_e32 v2, v2, v4, vcc
	v_lshlrev_b32_e32 v4, 24, v9
	v_mov_b32_e32 v6, 0x3b800000
	v_lshlrev_b32_e32 v3, 20, v3
	v_and_b32_e32 v4, 0x80000000, v4
	v_lshl_add_u32 v2, v2, 23, v6
	v_or3_b32 v2, v4, v2, v3
.LBB11_228:
	s_or_b64 exec, exec, s[6:7]
	s_movk_i32 s4, 0x7f
	v_cmp_gt_i16_sdwa s[6:7], v5, s4 src0_sel:BYTE_0 src1_sel:DWORD
	s_mov_b64 s[4:5], 0
                                        ; implicit-def: $sgpr10
	s_and_saveexec_b64 s[8:9], s[6:7]
	s_xor_b64 s[6:7], exec, s[8:9]
	s_cbranch_execnz .LBB11_2277
; %bb.229:
	s_or_saveexec_b64 s[6:7], s[6:7]
	v_mov_b32_e32 v3, s10
	s_xor_b64 exec, exec, s[6:7]
	s_cbranch_execnz .LBB11_2280
.LBB11_230:
	s_or_b64 exec, exec, s[6:7]
	s_and_saveexec_b64 s[6:7], s[4:5]
	s_cbranch_execz .LBB11_232
.LBB11_231:
	v_mov_b32_e32 v3, 8
	v_and_b32_e32 v4, 7, v5
	v_lshrrev_b32_sdwa v3, v3, v5 dst_sel:BYTE_1 dst_unused:UNUSED_PAD src0_sel:DWORD src1_sel:DWORD
	v_ffbh_u32_e32 v6, v4
	v_or_b32_sdwa v3, v5, v3 dst_sel:DWORD dst_unused:UNUSED_PAD src0_sel:BYTE_0 src1_sel:DWORD
	v_min_u32_e32 v6, 32, v6
	v_lshrrev_b16_e32 v3, 3, v3
	v_subrev_u32_e32 v7, 28, v6
	v_and_b32_e32 v3, 15, v3
	v_lshlrev_b32_e32 v7, v7, v5
	v_sub_u32_e32 v6, 29, v6
	v_and_b32_e32 v7, 7, v7
	v_cmp_eq_u16_e32 vcc, 0, v3
	v_cndmask_b32_e32 v4, v4, v7, vcc
	v_cndmask_b32_e32 v3, v3, v6, vcc
	v_lshlrev_b32_e32 v6, 24, v5
	v_mov_b32_e32 v7, 0x3b800000
	v_lshlrev_b32_e32 v4, 20, v4
	v_and_b32_e32 v6, 0x80000000, v6
	v_lshl_add_u32 v3, v3, 23, v7
	v_or3_b32 v3, v6, v3, v4
.LBB11_232:
	s_or_b64 exec, exec, s[6:7]
	s_nop 0
	v_mfma_f32_16x16x4f32 a[0:3], v2, v3, a[0:3]
	v_lshrrev_b32_e32 v3, 8, v9
	s_movk_i32 s4, 0x7f
	v_cmp_gt_i16_sdwa s[6:7], v3, s4 src0_sel:BYTE_0 src1_sel:DWORD
	s_mov_b64 s[4:5], 0
                                        ; implicit-def: $sgpr10
	s_and_saveexec_b64 s[8:9], s[6:7]
	s_xor_b64 s[6:7], exec, s[8:9]
	s_cbranch_execnz .LBB11_2281
; %bb.233:
	s_or_saveexec_b64 s[6:7], s[6:7]
	v_mov_b32_e32 v2, s10
	s_xor_b64 exec, exec, s[6:7]
	s_cbranch_execnz .LBB11_2284
.LBB11_234:
	s_or_b64 exec, exec, s[6:7]
	s_and_saveexec_b64 s[6:7], s[4:5]
	s_cbranch_execz .LBB11_236
.LBB11_235:
	v_bfe_u32 v2, v9, 8, 3
	v_ffbh_u32_e32 v6, v2
	v_min_u32_e32 v6, 32, v6
	v_lshrrev_b16_e32 v4, 3, v3
	v_subrev_u32_e32 v7, 28, v6
	v_and_b32_e32 v4, 15, v4
	v_lshlrev_b32_e32 v3, v7, v3
	v_sub_u32_e32 v6, 29, v6
	v_and_b32_e32 v3, 7, v3
	v_cmp_eq_u16_e32 vcc, 0, v4
	v_cndmask_b32_e32 v2, v2, v3, vcc
	v_cndmask_b32_e32 v3, v4, v6, vcc
	v_lshlrev_b32_e32 v4, 16, v9
	v_mov_b32_e32 v6, 0x3b800000
	v_lshlrev_b32_e32 v2, 20, v2
	v_and_b32_e32 v4, 0x80000000, v4
	v_lshl_add_u32 v3, v3, 23, v6
	v_or3_b32 v2, v4, v3, v2
.LBB11_236:
	s_or_b64 exec, exec, s[6:7]
	v_lshrrev_b32_e32 v3, 8, v5
	s_movk_i32 s4, 0x7f
	v_cmp_gt_i16_sdwa s[6:7], v3, s4 src0_sel:BYTE_0 src1_sel:DWORD
	s_mov_b64 s[4:5], 0
                                        ; implicit-def: $sgpr10
	s_and_saveexec_b64 s[8:9], s[6:7]
	s_xor_b64 s[6:7], exec, s[8:9]
	s_cbranch_execnz .LBB11_2285
; %bb.237:
	s_or_saveexec_b64 s[6:7], s[6:7]
	v_mov_b32_e32 v4, s10
	s_xor_b64 exec, exec, s[6:7]
	s_cbranch_execnz .LBB11_2288
.LBB11_238:
	s_or_b64 exec, exec, s[6:7]
	s_and_saveexec_b64 s[6:7], s[4:5]
	s_cbranch_execz .LBB11_240
.LBB11_239:
	v_bfe_u32 v4, v5, 8, 3
	v_ffbh_u32_e32 v7, v4
	v_min_u32_e32 v7, 32, v7
	v_lshrrev_b16_e32 v6, 3, v3
	v_subrev_u32_e32 v8, 28, v7
	v_and_b32_e32 v6, 15, v6
	v_lshlrev_b32_e32 v3, v8, v3
	v_sub_u32_e32 v7, 29, v7
	v_and_b32_e32 v3, 7, v3
	v_cmp_eq_u16_e32 vcc, 0, v6
	v_cndmask_b32_e32 v3, v4, v3, vcc
	v_cndmask_b32_e32 v4, v6, v7, vcc
	v_lshlrev_b32_e32 v6, 16, v5
	v_mov_b32_e32 v7, 0x3b800000
	v_lshlrev_b32_e32 v3, 20, v3
	v_and_b32_e32 v6, 0x80000000, v6
	v_lshl_add_u32 v4, v4, 23, v7
	v_or3_b32 v4, v6, v4, v3
.LBB11_240:
	s_or_b64 exec, exec, s[6:7]
	s_nop 0
	v_mfma_f32_16x16x4f32 a[0:3], v2, v4, a[0:3]
	s_movk_i32 s4, 0xff
	v_and_b32_sdwa v3, v9, s4 dst_sel:DWORD dst_unused:UNUSED_PAD src0_sel:WORD_1 src1_sel:DWORD
	s_movk_i32 s4, 0x7f
	v_cmp_lt_i16_e32 vcc, s4, v3
	s_mov_b64 s[4:5], 0
                                        ; implicit-def: $sgpr10
	s_and_saveexec_b64 s[6:7], vcc
	s_xor_b64 s[6:7], exec, s[6:7]
	s_cbranch_execnz .LBB11_2289
; %bb.241:
	s_or_saveexec_b64 s[6:7], s[6:7]
	v_mov_b32_e32 v2, s10
	s_xor_b64 exec, exec, s[6:7]
	s_cbranch_execnz .LBB11_2292
.LBB11_242:
	s_or_b64 exec, exec, s[6:7]
	s_and_saveexec_b64 s[6:7], s[4:5]
	s_cbranch_execz .LBB11_244
.LBB11_243:
	v_bfe_u32 v2, v9, 16, 3
	v_ffbh_u32_e32 v6, v2
	v_min_u32_e32 v6, 32, v6
	v_lshrrev_b32_e32 v3, 19, v9
	v_subrev_u32_e32 v7, 28, v6
	v_and_b32_e32 v3, 15, v3
	v_lshlrev_b32_sdwa v7, v7, v9 dst_sel:DWORD dst_unused:UNUSED_PAD src0_sel:DWORD src1_sel:WORD_1
	v_bfe_u32 v4, v9, 19, 4
	v_sub_u32_e32 v6, 29, v6
	v_and_b32_e32 v7, 7, v7
	v_cmp_eq_u16_e32 vcc, 0, v3
	v_cndmask_b32_e32 v2, v2, v7, vcc
	v_cndmask_b32_e32 v3, v4, v6, vcc
	v_lshlrev_b32_e32 v4, 8, v9
	v_mov_b32_e32 v6, 0x3b800000
	v_lshlrev_b32_e32 v2, 20, v2
	v_and_b32_e32 v4, 0x80000000, v4
	v_lshl_add_u32 v3, v3, 23, v6
	v_or3_b32 v2, v4, v3, v2
.LBB11_244:
	s_or_b64 exec, exec, s[6:7]
	s_movk_i32 s4, 0xff
	v_and_b32_sdwa v3, v5, s4 dst_sel:DWORD dst_unused:UNUSED_PAD src0_sel:WORD_1 src1_sel:DWORD
	s_movk_i32 s4, 0x7f
	v_cmp_lt_i16_e32 vcc, s4, v3
	s_mov_b64 s[4:5], 0
                                        ; implicit-def: $sgpr10
	s_and_saveexec_b64 s[6:7], vcc
	s_xor_b64 s[6:7], exec, s[6:7]
	s_cbranch_execnz .LBB11_2293
; %bb.245:
	s_or_saveexec_b64 s[6:7], s[6:7]
	v_mov_b32_e32 v4, s10
	s_xor_b64 exec, exec, s[6:7]
	s_cbranch_execnz .LBB11_2296
.LBB11_246:
	s_or_b64 exec, exec, s[6:7]
	s_and_saveexec_b64 s[6:7], s[4:5]
	s_cbranch_execz .LBB11_248
.LBB11_247:
	v_bfe_u32 v3, v5, 16, 3
	v_ffbh_u32_e32 v7, v3
	v_min_u32_e32 v7, 32, v7
	v_lshrrev_b32_e32 v4, 19, v5
	v_subrev_u32_e32 v8, 28, v7
	v_and_b32_e32 v4, 15, v4
	v_lshlrev_b32_sdwa v8, v8, v5 dst_sel:DWORD dst_unused:UNUSED_PAD src0_sel:DWORD src1_sel:WORD_1
	v_bfe_u32 v6, v5, 19, 4
	v_sub_u32_e32 v7, 29, v7
	v_and_b32_e32 v8, 7, v8
	v_cmp_eq_u16_e32 vcc, 0, v4
	v_cndmask_b32_e32 v3, v3, v8, vcc
	v_cndmask_b32_e32 v4, v6, v7, vcc
	v_lshlrev_b32_e32 v6, 8, v5
	v_mov_b32_e32 v7, 0x3b800000
	v_lshlrev_b32_e32 v3, 20, v3
	v_and_b32_e32 v6, 0x80000000, v6
	v_lshl_add_u32 v4, v4, 23, v7
	v_or3_b32 v4, v6, v4, v3
.LBB11_248:
	s_or_b64 exec, exec, s[6:7]
	s_nop 0
	v_mfma_f32_16x16x4f32 a[0:3], v2, v4, a[0:3]
	s_movk_i32 s4, 0x7f
	v_cmp_gt_i16_sdwa s[6:7], v9, s4 src0_sel:BYTE_3 src1_sel:DWORD
	s_mov_b64 s[4:5], 0
                                        ; implicit-def: $sgpr10
	s_and_saveexec_b64 s[8:9], s[6:7]
	s_xor_b64 s[6:7], exec, s[8:9]
	s_cbranch_execnz .LBB11_2297
; %bb.249:
	s_or_saveexec_b64 s[6:7], s[6:7]
	v_mov_b32_e32 v2, s10
	s_xor_b64 exec, exec, s[6:7]
	s_cbranch_execnz .LBB11_2300
.LBB11_250:
	s_or_b64 exec, exec, s[6:7]
	s_and_saveexec_b64 s[6:7], s[4:5]
	s_cbranch_execz .LBB11_252
.LBB11_251:
	v_bfe_u32 v2, v9, 24, 3
	v_ffbh_u32_e32 v7, v2
	v_min_u32_e32 v7, 32, v7
	v_lshrrev_b32_e32 v4, 27, v9
	v_subrev_u32_e32 v8, 28, v7
	v_and_b32_e32 v4, 15, v4
	v_lshlrev_b32_sdwa v8, v8, v9 dst_sel:DWORD dst_unused:UNUSED_PAD src0_sel:DWORD src1_sel:BYTE_3
	v_bfe_u32 v6, v9, 27, 4
	v_sub_u32_e32 v7, 29, v7
	v_and_b32_e32 v8, 7, v8
	v_cmp_eq_u16_e32 vcc, 0, v4
	v_cndmask_b32_e32 v2, v2, v8, vcc
	v_cndmask_b32_e32 v4, v6, v7, vcc
	v_mov_b32_e32 v6, 0x3b800000
	v_and_b32_e32 v3, 0x80000000, v9
	v_lshlrev_b32_e32 v2, 20, v2
	v_lshl_add_u32 v4, v4, 23, v6
	v_or3_b32 v2, v3, v4, v2
.LBB11_252:
	s_or_b64 exec, exec, s[6:7]
	s_movk_i32 s4, 0x7f
	v_cmp_gt_i16_sdwa s[6:7], v5, s4 src0_sel:BYTE_3 src1_sel:DWORD
	s_mov_b64 s[4:5], 0
                                        ; implicit-def: $sgpr10
	s_and_saveexec_b64 s[8:9], s[6:7]
	s_xor_b64 s[6:7], exec, s[8:9]
	s_cbranch_execnz .LBB11_2301
; %bb.253:
	s_or_saveexec_b64 s[6:7], s[6:7]
	v_mov_b32_e32 v3, s10
	s_xor_b64 exec, exec, s[6:7]
	s_cbranch_execnz .LBB11_2304
.LBB11_254:
	s_or_b64 exec, exec, s[6:7]
	s_and_saveexec_b64 s[6:7], s[4:5]
	s_cbranch_execz .LBB11_256
.LBB11_255:
	v_bfe_u32 v3, v5, 24, 3
	v_ffbh_u32_e32 v8, v3
	v_min_u32_e32 v8, 32, v8
	v_lshrrev_b32_e32 v6, 27, v5
	v_subrev_u32_e32 v9, 28, v8
	v_and_b32_e32 v4, 0x80000000, v5
	v_and_b32_e32 v6, 15, v6
	v_bfe_u32 v7, v5, 27, 4
	v_lshlrev_b32_sdwa v5, v9, v5 dst_sel:DWORD dst_unused:UNUSED_PAD src0_sel:DWORD src1_sel:BYTE_3
	v_sub_u32_e32 v8, 29, v8
	v_and_b32_e32 v5, 7, v5
	v_cmp_eq_u16_e32 vcc, 0, v6
	v_cndmask_b32_e32 v3, v3, v5, vcc
	v_cndmask_b32_e32 v5, v7, v8, vcc
	v_mov_b32_e32 v6, 0x3b800000
	v_lshlrev_b32_e32 v3, 20, v3
	v_lshl_add_u32 v5, v5, 23, v6
	v_or3_b32 v3, v4, v5, v3
.LBB11_256:
	s_or_b64 exec, exec, s[6:7]
	s_nop 0
	v_mfma_f32_16x16x4f32 a[0:3], v2, v3, a[0:3]
	s_movk_i32 s4, 0x7f
                                        ; implicit-def: $sgpr10
	s_nop 7
	s_nop 1
	flat_store_dwordx4 v[18:19], a[0:3] offset:128
	flat_load_dwordx4 v[20:23], v[0:1] offset:16
	s_nop 0
	flat_load_dwordx2 v[18:19], v[0:1] offset:32
	s_waitcnt vmcnt(0) lgkmcnt(0)
	flat_load_dwordx4 v[14:17], v[20:21] offset:32
	flat_load_dwordx4 v[6:9], v[20:21] offset:48
	;; [unrolled: 1-line block ×4, first 2 shown]
	s_waitcnt vmcnt(0) lgkmcnt(0)
	v_cmp_gt_i16_sdwa s[6:7], v14, s4 src0_sel:BYTE_0 src1_sel:DWORD
	s_mov_b64 s[4:5], 0
	s_and_saveexec_b64 s[8:9], s[6:7]
	s_xor_b64 s[6:7], exec, s[8:9]
	s_cbranch_execnz .LBB11_2305
; %bb.257:
	s_or_saveexec_b64 s[6:7], s[6:7]
	v_mov_b32_e32 v20, s10
	s_xor_b64 exec, exec, s[6:7]
	s_cbranch_execnz .LBB11_2308
.LBB11_258:
	s_or_b64 exec, exec, s[6:7]
	s_and_saveexec_b64 s[6:7], s[4:5]
	s_cbranch_execz .LBB11_260
.LBB11_259:
	v_and_b32_e32 v20, 7, v14
	v_ffbh_u32_e32 v22, v20
	v_min_u32_e32 v22, 32, v22
	v_lshrrev_b16_e32 v21, 3, v14
	v_subrev_u32_e32 v23, 28, v22
	v_and_b32_e32 v21, 15, v21
	v_lshlrev_b32_e32 v23, v23, v14
	v_sub_u32_e32 v22, 29, v22
	v_and_b32_e32 v23, 7, v23
	v_cmp_eq_u16_e32 vcc, 0, v21
	v_cndmask_b32_e32 v20, v20, v23, vcc
	v_cndmask_b32_e32 v21, v21, v22, vcc
	v_lshlrev_b32_e32 v22, 24, v14
	v_mov_b32_e32 v23, 0x3b800000
	v_lshlrev_b32_e32 v20, 20, v20
	v_and_b32_e32 v22, 0x80000000, v22
	v_lshl_add_u32 v21, v21, 23, v23
	v_or3_b32 v20, v22, v21, v20
.LBB11_260:
	s_or_b64 exec, exec, s[6:7]
	s_movk_i32 s4, 0x7f
	v_cmp_gt_i16_sdwa s[6:7], v10, s4 src0_sel:BYTE_0 src1_sel:DWORD
	s_mov_b64 s[4:5], 0
                                        ; implicit-def: $sgpr10
	s_and_saveexec_b64 s[8:9], s[6:7]
	s_xor_b64 s[6:7], exec, s[8:9]
	s_cbranch_execnz .LBB11_2309
; %bb.261:
	s_or_saveexec_b64 s[6:7], s[6:7]
	v_mov_b32_e32 v21, s10
	s_xor_b64 exec, exec, s[6:7]
	s_cbranch_execnz .LBB11_2312
.LBB11_262:
	s_or_b64 exec, exec, s[6:7]
	s_and_saveexec_b64 s[6:7], s[4:5]
	s_cbranch_execz .LBB11_264
.LBB11_263:
	v_and_b32_e32 v21, 7, v10
	v_ffbh_u32_e32 v23, v21
	v_min_u32_e32 v23, 32, v23
	v_lshrrev_b16_e32 v22, 3, v10
	v_subrev_u32_e32 v24, 28, v23
	v_and_b32_e32 v22, 15, v22
	v_lshlrev_b32_e32 v24, v24, v10
	v_sub_u32_e32 v23, 29, v23
	v_and_b32_e32 v24, 7, v24
	v_cmp_eq_u16_e32 vcc, 0, v22
	v_cndmask_b32_e32 v21, v21, v24, vcc
	v_cndmask_b32_e32 v22, v22, v23, vcc
	v_lshlrev_b32_e32 v23, 24, v10
	v_mov_b32_e32 v24, 0x3b800000
	v_lshlrev_b32_e32 v21, 20, v21
	v_and_b32_e32 v23, 0x80000000, v23
	v_lshl_add_u32 v22, v22, 23, v24
	v_or3_b32 v21, v23, v22, v21
.LBB11_264:
	s_or_b64 exec, exec, s[6:7]
	flat_load_dwordx4 a[0:3], v[18:19] offset:144
	s_movk_i32 s4, 0x7f
                                        ; implicit-def: $sgpr10
	s_waitcnt vmcnt(0) lgkmcnt(0)
	v_mfma_f32_16x16x4f32 a[0:3], v20, v21, a[0:3]
	v_lshrrev_b32_e32 v21, 8, v14
	v_cmp_gt_i16_sdwa s[6:7], v21, s4 src0_sel:BYTE_0 src1_sel:DWORD
	s_mov_b64 s[4:5], 0
	s_and_saveexec_b64 s[8:9], s[6:7]
	s_xor_b64 s[6:7], exec, s[8:9]
	s_cbranch_execnz .LBB11_2313
; %bb.265:
	s_or_saveexec_b64 s[6:7], s[6:7]
	v_mov_b32_e32 v20, s10
	s_xor_b64 exec, exec, s[6:7]
	s_cbranch_execnz .LBB11_2316
.LBB11_266:
	s_or_b64 exec, exec, s[6:7]
	s_and_saveexec_b64 s[6:7], s[4:5]
	s_cbranch_execz .LBB11_268
.LBB11_267:
	v_bfe_u32 v20, v14, 8, 3
	v_ffbh_u32_e32 v23, v20
	v_min_u32_e32 v23, 32, v23
	v_lshrrev_b16_e32 v22, 3, v21
	v_subrev_u32_e32 v24, 28, v23
	v_and_b32_e32 v22, 15, v22
	v_lshlrev_b32_e32 v21, v24, v21
	v_sub_u32_e32 v23, 29, v23
	v_and_b32_e32 v21, 7, v21
	v_cmp_eq_u16_e32 vcc, 0, v22
	v_cndmask_b32_e32 v20, v20, v21, vcc
	v_cndmask_b32_e32 v21, v22, v23, vcc
	v_lshlrev_b32_e32 v22, 16, v14
	v_mov_b32_e32 v23, 0x3b800000
	v_lshlrev_b32_e32 v20, 20, v20
	v_and_b32_e32 v22, 0x80000000, v22
	v_lshl_add_u32 v21, v21, 23, v23
	v_or3_b32 v20, v22, v21, v20
.LBB11_268:
	s_or_b64 exec, exec, s[6:7]
	v_lshrrev_b32_e32 v21, 8, v10
	s_movk_i32 s4, 0x7f
	v_cmp_gt_i16_sdwa s[6:7], v21, s4 src0_sel:BYTE_0 src1_sel:DWORD
	s_mov_b64 s[4:5], 0
                                        ; implicit-def: $sgpr10
	s_and_saveexec_b64 s[8:9], s[6:7]
	s_xor_b64 s[6:7], exec, s[8:9]
	s_cbranch_execnz .LBB11_2317
; %bb.269:
	s_or_saveexec_b64 s[6:7], s[6:7]
	v_mov_b32_e32 v22, s10
	s_xor_b64 exec, exec, s[6:7]
	s_cbranch_execnz .LBB11_2320
.LBB11_270:
	s_or_b64 exec, exec, s[6:7]
	s_and_saveexec_b64 s[6:7], s[4:5]
	s_cbranch_execz .LBB11_272
.LBB11_271:
	v_bfe_u32 v22, v10, 8, 3
	v_ffbh_u32_e32 v24, v22
	v_min_u32_e32 v24, 32, v24
	v_lshrrev_b16_e32 v23, 3, v21
	v_subrev_u32_e32 v25, 28, v24
	v_and_b32_e32 v23, 15, v23
	v_lshlrev_b32_e32 v21, v25, v21
	v_sub_u32_e32 v24, 29, v24
	v_and_b32_e32 v21, 7, v21
	v_cmp_eq_u16_e32 vcc, 0, v23
	v_cndmask_b32_e32 v21, v22, v21, vcc
	v_cndmask_b32_e32 v22, v23, v24, vcc
	v_lshlrev_b32_e32 v23, 16, v10
	v_mov_b32_e32 v24, 0x3b800000
	v_lshlrev_b32_e32 v21, 20, v21
	v_and_b32_e32 v23, 0x80000000, v23
	v_lshl_add_u32 v22, v22, 23, v24
	v_or3_b32 v22, v23, v22, v21
.LBB11_272:
	s_or_b64 exec, exec, s[6:7]
	s_nop 0
	v_mfma_f32_16x16x4f32 a[0:3], v20, v22, a[0:3]
	s_movk_i32 s4, 0xff
	v_and_b32_sdwa v21, v14, s4 dst_sel:DWORD dst_unused:UNUSED_PAD src0_sel:WORD_1 src1_sel:DWORD
	s_movk_i32 s4, 0x7f
	v_cmp_lt_i16_e32 vcc, s4, v21
	s_mov_b64 s[4:5], 0
                                        ; implicit-def: $sgpr10
	s_and_saveexec_b64 s[6:7], vcc
	s_xor_b64 s[6:7], exec, s[6:7]
	s_cbranch_execnz .LBB11_2321
; %bb.273:
	s_or_saveexec_b64 s[6:7], s[6:7]
	v_mov_b32_e32 v20, s10
	s_xor_b64 exec, exec, s[6:7]
	s_cbranch_execnz .LBB11_2324
.LBB11_274:
	s_or_b64 exec, exec, s[6:7]
	s_and_saveexec_b64 s[6:7], s[4:5]
	s_cbranch_execz .LBB11_276
.LBB11_275:
	v_bfe_u32 v20, v14, 16, 3
	v_ffbh_u32_e32 v23, v20
	v_min_u32_e32 v23, 32, v23
	v_lshrrev_b32_e32 v21, 19, v14
	v_subrev_u32_e32 v24, 28, v23
	v_and_b32_e32 v21, 15, v21
	v_lshlrev_b32_sdwa v24, v24, v14 dst_sel:DWORD dst_unused:UNUSED_PAD src0_sel:DWORD src1_sel:WORD_1
	v_bfe_u32 v22, v14, 19, 4
	v_sub_u32_e32 v23, 29, v23
	v_and_b32_e32 v24, 7, v24
	v_cmp_eq_u16_e32 vcc, 0, v21
	v_cndmask_b32_e32 v20, v20, v24, vcc
	v_cndmask_b32_e32 v21, v22, v23, vcc
	v_lshlrev_b32_e32 v22, 8, v14
	v_mov_b32_e32 v23, 0x3b800000
	v_lshlrev_b32_e32 v20, 20, v20
	v_and_b32_e32 v22, 0x80000000, v22
	v_lshl_add_u32 v21, v21, 23, v23
	v_or3_b32 v20, v22, v21, v20
.LBB11_276:
	s_or_b64 exec, exec, s[6:7]
	s_movk_i32 s4, 0xff
	v_and_b32_sdwa v21, v10, s4 dst_sel:DWORD dst_unused:UNUSED_PAD src0_sel:WORD_1 src1_sel:DWORD
	s_movk_i32 s4, 0x7f
	v_cmp_lt_i16_e32 vcc, s4, v21
	s_mov_b64 s[4:5], 0
                                        ; implicit-def: $sgpr10
	s_and_saveexec_b64 s[6:7], vcc
	s_xor_b64 s[6:7], exec, s[6:7]
	s_cbranch_execnz .LBB11_2325
; %bb.277:
	s_or_saveexec_b64 s[6:7], s[6:7]
	v_mov_b32_e32 v22, s10
	s_xor_b64 exec, exec, s[6:7]
	s_cbranch_execnz .LBB11_2328
.LBB11_278:
	s_or_b64 exec, exec, s[6:7]
	s_and_saveexec_b64 s[6:7], s[4:5]
	s_cbranch_execz .LBB11_280
.LBB11_279:
	v_bfe_u32 v21, v10, 16, 3
	v_ffbh_u32_e32 v24, v21
	v_min_u32_e32 v24, 32, v24
	v_lshrrev_b32_e32 v22, 19, v10
	v_subrev_u32_e32 v25, 28, v24
	v_and_b32_e32 v22, 15, v22
	v_lshlrev_b32_sdwa v25, v25, v10 dst_sel:DWORD dst_unused:UNUSED_PAD src0_sel:DWORD src1_sel:WORD_1
	v_bfe_u32 v23, v10, 19, 4
	v_sub_u32_e32 v24, 29, v24
	v_and_b32_e32 v25, 7, v25
	v_cmp_eq_u16_e32 vcc, 0, v22
	v_cndmask_b32_e32 v21, v21, v25, vcc
	v_cndmask_b32_e32 v22, v23, v24, vcc
	v_lshlrev_b32_e32 v23, 8, v10
	v_mov_b32_e32 v24, 0x3b800000
	v_lshlrev_b32_e32 v21, 20, v21
	v_and_b32_e32 v23, 0x80000000, v23
	v_lshl_add_u32 v22, v22, 23, v24
	v_or3_b32 v22, v23, v22, v21
.LBB11_280:
	s_or_b64 exec, exec, s[6:7]
	s_nop 0
	v_mfma_f32_16x16x4f32 a[0:3], v20, v22, a[0:3]
	s_movk_i32 s4, 0x7f
	v_cmp_gt_i16_sdwa s[6:7], v14, s4 src0_sel:BYTE_3 src1_sel:DWORD
	s_mov_b64 s[4:5], 0
                                        ; implicit-def: $sgpr10
	s_and_saveexec_b64 s[8:9], s[6:7]
	s_xor_b64 s[6:7], exec, s[8:9]
	s_cbranch_execnz .LBB11_2329
; %bb.281:
	s_or_saveexec_b64 s[6:7], s[6:7]
	v_mov_b32_e32 v20, s10
	s_xor_b64 exec, exec, s[6:7]
	s_cbranch_execnz .LBB11_2332
.LBB11_282:
	s_or_b64 exec, exec, s[6:7]
	s_and_saveexec_b64 s[6:7], s[4:5]
	s_cbranch_execz .LBB11_284
.LBB11_283:
	v_bfe_u32 v20, v14, 24, 3
	v_ffbh_u32_e32 v24, v20
	v_min_u32_e32 v24, 32, v24
	v_lshrrev_b32_e32 v22, 27, v14
	v_subrev_u32_e32 v25, 28, v24
	v_and_b32_e32 v21, 0x80000000, v14
	v_and_b32_e32 v22, 15, v22
	v_bfe_u32 v23, v14, 27, 4
	v_lshlrev_b32_sdwa v14, v25, v14 dst_sel:DWORD dst_unused:UNUSED_PAD src0_sel:DWORD src1_sel:BYTE_3
	v_sub_u32_e32 v24, 29, v24
	v_and_b32_e32 v14, 7, v14
	v_cmp_eq_u16_e32 vcc, 0, v22
	v_cndmask_b32_e32 v14, v20, v14, vcc
	v_cndmask_b32_e32 v20, v23, v24, vcc
	v_mov_b32_e32 v22, 0x3b800000
	v_lshlrev_b32_e32 v14, 20, v14
	v_lshl_add_u32 v20, v20, 23, v22
	v_or3_b32 v20, v21, v20, v14
.LBB11_284:
	s_or_b64 exec, exec, s[6:7]
	s_movk_i32 s4, 0x7f
	v_cmp_gt_i16_sdwa s[6:7], v10, s4 src0_sel:BYTE_3 src1_sel:DWORD
	s_mov_b64 s[4:5], 0
                                        ; implicit-def: $sgpr10
	s_and_saveexec_b64 s[8:9], s[6:7]
	s_xor_b64 s[6:7], exec, s[8:9]
	s_cbranch_execnz .LBB11_2333
; %bb.285:
	s_or_saveexec_b64 s[6:7], s[6:7]
	v_mov_b32_e32 v14, s10
	s_xor_b64 exec, exec, s[6:7]
	s_cbranch_execnz .LBB11_2336
.LBB11_286:
	s_or_b64 exec, exec, s[6:7]
	s_and_saveexec_b64 s[6:7], s[4:5]
	s_cbranch_execz .LBB11_288
.LBB11_287:
	v_bfe_u32 v14, v10, 24, 3
	v_ffbh_u32_e32 v24, v14
	v_min_u32_e32 v24, 32, v24
	v_lshrrev_b32_e32 v22, 27, v10
	v_subrev_u32_e32 v25, 28, v24
	v_and_b32_e32 v21, 0x80000000, v10
	v_and_b32_e32 v22, 15, v22
	v_bfe_u32 v23, v10, 27, 4
	v_lshlrev_b32_sdwa v10, v25, v10 dst_sel:DWORD dst_unused:UNUSED_PAD src0_sel:DWORD src1_sel:BYTE_3
	v_sub_u32_e32 v24, 29, v24
	v_and_b32_e32 v10, 7, v10
	v_cmp_eq_u16_e32 vcc, 0, v22
	v_cndmask_b32_e32 v10, v14, v10, vcc
	v_cndmask_b32_e32 v14, v23, v24, vcc
	v_mov_b32_e32 v22, 0x3b800000
	v_lshlrev_b32_e32 v10, 20, v10
	v_lshl_add_u32 v14, v14, 23, v22
	v_or3_b32 v14, v21, v14, v10
.LBB11_288:
	s_or_b64 exec, exec, s[6:7]
	s_nop 0
	v_mfma_f32_16x16x4f32 a[0:3], v20, v14, a[0:3]
	s_movk_i32 s4, 0x7f
	v_cmp_gt_i16_sdwa s[6:7], v15, s4 src0_sel:BYTE_0 src1_sel:DWORD
	s_mov_b64 s[4:5], 0
                                        ; implicit-def: $sgpr10
	s_and_saveexec_b64 s[8:9], s[6:7]
	s_xor_b64 s[6:7], exec, s[8:9]
	s_cbranch_execnz .LBB11_2337
; %bb.289:
	s_or_saveexec_b64 s[6:7], s[6:7]
	v_mov_b32_e32 v10, s10
	s_xor_b64 exec, exec, s[6:7]
	s_cbranch_execnz .LBB11_2340
.LBB11_290:
	s_or_b64 exec, exec, s[6:7]
	s_and_saveexec_b64 s[6:7], s[4:5]
	s_cbranch_execz .LBB11_292
.LBB11_291:
	v_and_b32_e32 v10, 7, v15
	v_ffbh_u32_e32 v20, v10
	v_min_u32_e32 v20, 32, v20
	v_lshrrev_b16_e32 v14, 3, v15
	v_subrev_u32_e32 v21, 28, v20
	v_and_b32_e32 v14, 15, v14
	v_lshlrev_b32_e32 v21, v21, v15
	v_sub_u32_e32 v20, 29, v20
	v_and_b32_e32 v21, 7, v21
	v_cmp_eq_u16_e32 vcc, 0, v14
	v_cndmask_b32_e32 v10, v10, v21, vcc
	v_cndmask_b32_e32 v14, v14, v20, vcc
	v_lshlrev_b32_e32 v20, 24, v15
	v_mov_b32_e32 v21, 0x3b800000
	v_lshlrev_b32_e32 v10, 20, v10
	v_and_b32_e32 v20, 0x80000000, v20
	v_lshl_add_u32 v14, v14, 23, v21
	v_or3_b32 v10, v20, v14, v10
.LBB11_292:
	s_or_b64 exec, exec, s[6:7]
	s_movk_i32 s4, 0x7f
	v_cmp_gt_i16_sdwa s[6:7], v11, s4 src0_sel:BYTE_0 src1_sel:DWORD
	s_mov_b64 s[4:5], 0
                                        ; implicit-def: $sgpr10
	s_and_saveexec_b64 s[8:9], s[6:7]
	s_xor_b64 s[6:7], exec, s[8:9]
	s_cbranch_execnz .LBB11_2341
; %bb.293:
	s_or_saveexec_b64 s[6:7], s[6:7]
	v_mov_b32_e32 v14, s10
	s_xor_b64 exec, exec, s[6:7]
	s_cbranch_execnz .LBB11_2344
.LBB11_294:
	s_or_b64 exec, exec, s[6:7]
	s_and_saveexec_b64 s[6:7], s[4:5]
	s_cbranch_execz .LBB11_296
.LBB11_295:
	v_and_b32_e32 v14, 7, v11
	v_ffbh_u32_e32 v21, v14
	v_min_u32_e32 v21, 32, v21
	v_lshrrev_b16_e32 v20, 3, v11
	v_subrev_u32_e32 v22, 28, v21
	v_and_b32_e32 v20, 15, v20
	v_lshlrev_b32_e32 v22, v22, v11
	v_sub_u32_e32 v21, 29, v21
	v_and_b32_e32 v22, 7, v22
	v_cmp_eq_u16_e32 vcc, 0, v20
	v_cndmask_b32_e32 v14, v14, v22, vcc
	v_cndmask_b32_e32 v20, v20, v21, vcc
	v_lshlrev_b32_e32 v21, 24, v11
	v_mov_b32_e32 v22, 0x3b800000
	v_lshlrev_b32_e32 v14, 20, v14
	v_and_b32_e32 v21, 0x80000000, v21
	v_lshl_add_u32 v20, v20, 23, v22
	v_or3_b32 v14, v21, v20, v14
.LBB11_296:
	s_or_b64 exec, exec, s[6:7]
	s_nop 0
	v_mfma_f32_16x16x4f32 a[0:3], v10, v14, a[0:3]
	v_lshrrev_b32_e32 v14, 8, v15
	s_movk_i32 s4, 0x7f
	v_cmp_gt_i16_sdwa s[6:7], v14, s4 src0_sel:BYTE_0 src1_sel:DWORD
	s_mov_b64 s[4:5], 0
                                        ; implicit-def: $sgpr10
	s_and_saveexec_b64 s[8:9], s[6:7]
	s_xor_b64 s[6:7], exec, s[8:9]
	s_cbranch_execnz .LBB11_2345
; %bb.297:
	s_or_saveexec_b64 s[6:7], s[6:7]
	v_mov_b32_e32 v10, s10
	s_xor_b64 exec, exec, s[6:7]
	s_cbranch_execnz .LBB11_2348
.LBB11_298:
	s_or_b64 exec, exec, s[6:7]
	s_and_saveexec_b64 s[6:7], s[4:5]
	s_cbranch_execz .LBB11_300
.LBB11_299:
	v_bfe_u32 v10, v15, 8, 3
	v_ffbh_u32_e32 v21, v10
	v_min_u32_e32 v21, 32, v21
	v_lshrrev_b16_e32 v20, 3, v14
	v_subrev_u32_e32 v22, 28, v21
	v_and_b32_e32 v20, 15, v20
	v_lshlrev_b32_e32 v14, v22, v14
	v_sub_u32_e32 v21, 29, v21
	v_and_b32_e32 v14, 7, v14
	v_cmp_eq_u16_e32 vcc, 0, v20
	v_cndmask_b32_e32 v10, v10, v14, vcc
	v_cndmask_b32_e32 v14, v20, v21, vcc
	v_lshlrev_b32_e32 v20, 16, v15
	v_mov_b32_e32 v21, 0x3b800000
	v_lshlrev_b32_e32 v10, 20, v10
	v_and_b32_e32 v20, 0x80000000, v20
	v_lshl_add_u32 v14, v14, 23, v21
	v_or3_b32 v10, v20, v14, v10
.LBB11_300:
	s_or_b64 exec, exec, s[6:7]
	v_lshrrev_b32_e32 v14, 8, v11
	s_movk_i32 s4, 0x7f
	v_cmp_gt_i16_sdwa s[6:7], v14, s4 src0_sel:BYTE_0 src1_sel:DWORD
	s_mov_b64 s[4:5], 0
                                        ; implicit-def: $sgpr10
	s_and_saveexec_b64 s[8:9], s[6:7]
	s_xor_b64 s[6:7], exec, s[8:9]
	s_cbranch_execnz .LBB11_2349
; %bb.301:
	s_or_saveexec_b64 s[6:7], s[6:7]
	v_mov_b32_e32 v20, s10
	s_xor_b64 exec, exec, s[6:7]
	s_cbranch_execnz .LBB11_2352
.LBB11_302:
	s_or_b64 exec, exec, s[6:7]
	s_and_saveexec_b64 s[6:7], s[4:5]
	s_cbranch_execz .LBB11_304
.LBB11_303:
	v_bfe_u32 v20, v11, 8, 3
	v_ffbh_u32_e32 v22, v20
	v_min_u32_e32 v22, 32, v22
	v_lshrrev_b16_e32 v21, 3, v14
	v_subrev_u32_e32 v23, 28, v22
	v_and_b32_e32 v21, 15, v21
	v_lshlrev_b32_e32 v14, v23, v14
	v_sub_u32_e32 v22, 29, v22
	v_and_b32_e32 v14, 7, v14
	v_cmp_eq_u16_e32 vcc, 0, v21
	v_cndmask_b32_e32 v14, v20, v14, vcc
	v_cndmask_b32_e32 v20, v21, v22, vcc
	v_lshlrev_b32_e32 v21, 16, v11
	v_mov_b32_e32 v22, 0x3b800000
	v_lshlrev_b32_e32 v14, 20, v14
	v_and_b32_e32 v21, 0x80000000, v21
	v_lshl_add_u32 v20, v20, 23, v22
	v_or3_b32 v20, v21, v20, v14
.LBB11_304:
	s_or_b64 exec, exec, s[6:7]
	s_nop 0
	v_mfma_f32_16x16x4f32 a[0:3], v10, v20, a[0:3]
	s_movk_i32 s4, 0xff
	v_and_b32_sdwa v14, v15, s4 dst_sel:DWORD dst_unused:UNUSED_PAD src0_sel:WORD_1 src1_sel:DWORD
	s_movk_i32 s4, 0x7f
	v_cmp_lt_i16_e32 vcc, s4, v14
	s_mov_b64 s[4:5], 0
                                        ; implicit-def: $sgpr10
	s_and_saveexec_b64 s[6:7], vcc
	s_xor_b64 s[6:7], exec, s[6:7]
	s_cbranch_execnz .LBB11_2353
; %bb.305:
	s_or_saveexec_b64 s[6:7], s[6:7]
	v_mov_b32_e32 v10, s10
	s_xor_b64 exec, exec, s[6:7]
	s_cbranch_execnz .LBB11_2356
.LBB11_306:
	s_or_b64 exec, exec, s[6:7]
	s_and_saveexec_b64 s[6:7], s[4:5]
	s_cbranch_execz .LBB11_308
.LBB11_307:
	v_bfe_u32 v10, v15, 16, 3
	v_ffbh_u32_e32 v21, v10
	v_min_u32_e32 v21, 32, v21
	v_lshrrev_b32_e32 v14, 19, v15
	v_subrev_u32_e32 v22, 28, v21
	v_and_b32_e32 v14, 15, v14
	v_lshlrev_b32_sdwa v22, v22, v15 dst_sel:DWORD dst_unused:UNUSED_PAD src0_sel:DWORD src1_sel:WORD_1
	v_bfe_u32 v20, v15, 19, 4
	v_sub_u32_e32 v21, 29, v21
	v_and_b32_e32 v22, 7, v22
	v_cmp_eq_u16_e32 vcc, 0, v14
	v_cndmask_b32_e32 v10, v10, v22, vcc
	v_cndmask_b32_e32 v14, v20, v21, vcc
	v_lshlrev_b32_e32 v20, 8, v15
	v_mov_b32_e32 v21, 0x3b800000
	v_lshlrev_b32_e32 v10, 20, v10
	v_and_b32_e32 v20, 0x80000000, v20
	v_lshl_add_u32 v14, v14, 23, v21
	v_or3_b32 v10, v20, v14, v10
.LBB11_308:
	s_or_b64 exec, exec, s[6:7]
	s_movk_i32 s4, 0xff
	v_and_b32_sdwa v14, v11, s4 dst_sel:DWORD dst_unused:UNUSED_PAD src0_sel:WORD_1 src1_sel:DWORD
	s_movk_i32 s4, 0x7f
	v_cmp_lt_i16_e32 vcc, s4, v14
	s_mov_b64 s[4:5], 0
                                        ; implicit-def: $sgpr10
	s_and_saveexec_b64 s[6:7], vcc
	s_xor_b64 s[6:7], exec, s[6:7]
	s_cbranch_execnz .LBB11_2357
; %bb.309:
	s_or_saveexec_b64 s[6:7], s[6:7]
	v_mov_b32_e32 v20, s10
	s_xor_b64 exec, exec, s[6:7]
	s_cbranch_execnz .LBB11_2360
.LBB11_310:
	s_or_b64 exec, exec, s[6:7]
	s_and_saveexec_b64 s[6:7], s[4:5]
	s_cbranch_execz .LBB11_312
.LBB11_311:
	v_bfe_u32 v14, v11, 16, 3
	v_ffbh_u32_e32 v22, v14
	v_min_u32_e32 v22, 32, v22
	v_lshrrev_b32_e32 v20, 19, v11
	v_subrev_u32_e32 v23, 28, v22
	v_and_b32_e32 v20, 15, v20
	v_lshlrev_b32_sdwa v23, v23, v11 dst_sel:DWORD dst_unused:UNUSED_PAD src0_sel:DWORD src1_sel:WORD_1
	v_bfe_u32 v21, v11, 19, 4
	v_sub_u32_e32 v22, 29, v22
	v_and_b32_e32 v23, 7, v23
	v_cmp_eq_u16_e32 vcc, 0, v20
	v_cndmask_b32_e32 v14, v14, v23, vcc
	v_cndmask_b32_e32 v20, v21, v22, vcc
	v_lshlrev_b32_e32 v21, 8, v11
	v_mov_b32_e32 v22, 0x3b800000
	v_lshlrev_b32_e32 v14, 20, v14
	v_and_b32_e32 v21, 0x80000000, v21
	v_lshl_add_u32 v20, v20, 23, v22
	v_or3_b32 v20, v21, v20, v14
.LBB11_312:
	s_or_b64 exec, exec, s[6:7]
	s_nop 0
	v_mfma_f32_16x16x4f32 a[0:3], v10, v20, a[0:3]
	s_movk_i32 s4, 0x7f
	v_cmp_gt_i16_sdwa s[6:7], v15, s4 src0_sel:BYTE_3 src1_sel:DWORD
	s_mov_b64 s[4:5], 0
                                        ; implicit-def: $sgpr10
	s_and_saveexec_b64 s[8:9], s[6:7]
	s_xor_b64 s[6:7], exec, s[8:9]
	s_cbranch_execnz .LBB11_2361
; %bb.313:
	s_or_saveexec_b64 s[6:7], s[6:7]
	v_mov_b32_e32 v10, s10
	s_xor_b64 exec, exec, s[6:7]
	s_cbranch_execnz .LBB11_2364
.LBB11_314:
	s_or_b64 exec, exec, s[6:7]
	s_and_saveexec_b64 s[6:7], s[4:5]
	s_cbranch_execz .LBB11_316
.LBB11_315:
	v_bfe_u32 v10, v15, 24, 3
	v_ffbh_u32_e32 v22, v10
	v_min_u32_e32 v22, 32, v22
	v_lshrrev_b32_e32 v20, 27, v15
	v_subrev_u32_e32 v23, 28, v22
	v_and_b32_e32 v14, 0x80000000, v15
	v_and_b32_e32 v20, 15, v20
	v_bfe_u32 v21, v15, 27, 4
	v_lshlrev_b32_sdwa v15, v23, v15 dst_sel:DWORD dst_unused:UNUSED_PAD src0_sel:DWORD src1_sel:BYTE_3
	v_sub_u32_e32 v22, 29, v22
	v_and_b32_e32 v15, 7, v15
	v_cmp_eq_u16_e32 vcc, 0, v20
	v_cndmask_b32_e32 v10, v10, v15, vcc
	v_cndmask_b32_e32 v15, v21, v22, vcc
	v_mov_b32_e32 v20, 0x3b800000
	v_lshlrev_b32_e32 v10, 20, v10
	v_lshl_add_u32 v15, v15, 23, v20
	v_or3_b32 v10, v14, v15, v10
.LBB11_316:
	s_or_b64 exec, exec, s[6:7]
	s_movk_i32 s4, 0x7f
	v_cmp_gt_i16_sdwa s[6:7], v11, s4 src0_sel:BYTE_3 src1_sel:DWORD
	s_mov_b64 s[4:5], 0
                                        ; implicit-def: $sgpr10
	s_and_saveexec_b64 s[8:9], s[6:7]
	s_xor_b64 s[6:7], exec, s[8:9]
	s_cbranch_execnz .LBB11_2365
; %bb.317:
	s_or_saveexec_b64 s[6:7], s[6:7]
	v_mov_b32_e32 v14, s10
	s_xor_b64 exec, exec, s[6:7]
	s_cbranch_execnz .LBB11_2368
.LBB11_318:
	s_or_b64 exec, exec, s[6:7]
	s_and_saveexec_b64 s[6:7], s[4:5]
	s_cbranch_execz .LBB11_320
.LBB11_319:
	v_bfe_u32 v14, v11, 24, 3
	v_ffbh_u32_e32 v22, v14
	v_min_u32_e32 v22, 32, v22
	v_lshrrev_b32_e32 v20, 27, v11
	v_subrev_u32_e32 v23, 28, v22
	v_and_b32_e32 v15, 0x80000000, v11
	v_and_b32_e32 v20, 15, v20
	v_bfe_u32 v21, v11, 27, 4
	v_lshlrev_b32_sdwa v11, v23, v11 dst_sel:DWORD dst_unused:UNUSED_PAD src0_sel:DWORD src1_sel:BYTE_3
	v_sub_u32_e32 v22, 29, v22
	v_and_b32_e32 v11, 7, v11
	v_cmp_eq_u16_e32 vcc, 0, v20
	v_cndmask_b32_e32 v11, v14, v11, vcc
	v_cndmask_b32_e32 v14, v21, v22, vcc
	v_mov_b32_e32 v20, 0x3b800000
	v_lshlrev_b32_e32 v11, 20, v11
	v_lshl_add_u32 v14, v14, 23, v20
	v_or3_b32 v14, v15, v14, v11
.LBB11_320:
	s_or_b64 exec, exec, s[6:7]
	s_nop 0
	v_mfma_f32_16x16x4f32 a[0:3], v10, v14, a[0:3]
	s_movk_i32 s4, 0x7f
	v_cmp_gt_i16_sdwa s[6:7], v16, s4 src0_sel:BYTE_0 src1_sel:DWORD
	s_mov_b64 s[4:5], 0
                                        ; implicit-def: $sgpr10
	s_and_saveexec_b64 s[8:9], s[6:7]
	s_xor_b64 s[6:7], exec, s[8:9]
	s_cbranch_execnz .LBB11_2369
; %bb.321:
	s_or_saveexec_b64 s[6:7], s[6:7]
	v_mov_b32_e32 v10, s10
	s_xor_b64 exec, exec, s[6:7]
	s_cbranch_execnz .LBB11_2372
.LBB11_322:
	s_or_b64 exec, exec, s[6:7]
	s_and_saveexec_b64 s[6:7], s[4:5]
	s_cbranch_execz .LBB11_324
.LBB11_323:
	v_and_b32_e32 v10, 7, v16
	v_ffbh_u32_e32 v14, v10
	v_min_u32_e32 v14, 32, v14
	v_lshrrev_b16_e32 v11, 3, v16
	v_subrev_u32_e32 v15, 28, v14
	v_and_b32_e32 v11, 15, v11
	v_lshlrev_b32_e32 v15, v15, v16
	v_sub_u32_e32 v14, 29, v14
	v_and_b32_e32 v15, 7, v15
	v_cmp_eq_u16_e32 vcc, 0, v11
	v_cndmask_b32_e32 v10, v10, v15, vcc
	v_cndmask_b32_e32 v11, v11, v14, vcc
	v_lshlrev_b32_e32 v14, 24, v16
	v_mov_b32_e32 v15, 0x3b800000
	v_lshlrev_b32_e32 v10, 20, v10
	v_and_b32_e32 v14, 0x80000000, v14
	v_lshl_add_u32 v11, v11, 23, v15
	v_or3_b32 v10, v14, v11, v10
.LBB11_324:
	s_or_b64 exec, exec, s[6:7]
	s_movk_i32 s4, 0x7f
	v_cmp_gt_i16_sdwa s[6:7], v12, s4 src0_sel:BYTE_0 src1_sel:DWORD
	s_mov_b64 s[4:5], 0
                                        ; implicit-def: $sgpr10
	s_and_saveexec_b64 s[8:9], s[6:7]
	s_xor_b64 s[6:7], exec, s[8:9]
	s_cbranch_execnz .LBB11_2373
; %bb.325:
	s_or_saveexec_b64 s[6:7], s[6:7]
	v_mov_b32_e32 v11, s10
	s_xor_b64 exec, exec, s[6:7]
	s_cbranch_execnz .LBB11_2376
.LBB11_326:
	s_or_b64 exec, exec, s[6:7]
	s_and_saveexec_b64 s[6:7], s[4:5]
	s_cbranch_execz .LBB11_328
.LBB11_327:
	v_and_b32_e32 v11, 7, v12
	v_ffbh_u32_e32 v15, v11
	v_min_u32_e32 v15, 32, v15
	v_lshrrev_b16_e32 v14, 3, v12
	v_subrev_u32_e32 v20, 28, v15
	v_and_b32_e32 v14, 15, v14
	v_lshlrev_b32_e32 v20, v20, v12
	v_sub_u32_e32 v15, 29, v15
	v_and_b32_e32 v20, 7, v20
	v_cmp_eq_u16_e32 vcc, 0, v14
	v_cndmask_b32_e32 v11, v11, v20, vcc
	v_cndmask_b32_e32 v14, v14, v15, vcc
	v_lshlrev_b32_e32 v15, 24, v12
	v_mov_b32_e32 v20, 0x3b800000
	v_lshlrev_b32_e32 v11, 20, v11
	v_and_b32_e32 v15, 0x80000000, v15
	v_lshl_add_u32 v14, v14, 23, v20
	v_or3_b32 v11, v15, v14, v11
.LBB11_328:
	s_or_b64 exec, exec, s[6:7]
	s_nop 0
	v_mfma_f32_16x16x4f32 a[0:3], v10, v11, a[0:3]
	v_lshrrev_b32_e32 v11, 8, v16
	s_movk_i32 s4, 0x7f
	v_cmp_gt_i16_sdwa s[6:7], v11, s4 src0_sel:BYTE_0 src1_sel:DWORD
	s_mov_b64 s[4:5], 0
                                        ; implicit-def: $sgpr10
	s_and_saveexec_b64 s[8:9], s[6:7]
	s_xor_b64 s[6:7], exec, s[8:9]
	s_cbranch_execnz .LBB11_2377
; %bb.329:
	s_or_saveexec_b64 s[6:7], s[6:7]
	v_mov_b32_e32 v10, s10
	s_xor_b64 exec, exec, s[6:7]
	s_cbranch_execnz .LBB11_2380
.LBB11_330:
	s_or_b64 exec, exec, s[6:7]
	s_and_saveexec_b64 s[6:7], s[4:5]
	s_cbranch_execz .LBB11_332
.LBB11_331:
	v_bfe_u32 v10, v16, 8, 3
	v_ffbh_u32_e32 v15, v10
	v_min_u32_e32 v15, 32, v15
	v_lshrrev_b16_e32 v14, 3, v11
	v_subrev_u32_e32 v20, 28, v15
	v_and_b32_e32 v14, 15, v14
	v_lshlrev_b32_e32 v11, v20, v11
	v_sub_u32_e32 v15, 29, v15
	v_and_b32_e32 v11, 7, v11
	v_cmp_eq_u16_e32 vcc, 0, v14
	v_cndmask_b32_e32 v10, v10, v11, vcc
	v_cndmask_b32_e32 v11, v14, v15, vcc
	v_lshlrev_b32_e32 v14, 16, v16
	v_mov_b32_e32 v15, 0x3b800000
	v_lshlrev_b32_e32 v10, 20, v10
	v_and_b32_e32 v14, 0x80000000, v14
	v_lshl_add_u32 v11, v11, 23, v15
	v_or3_b32 v10, v14, v11, v10
.LBB11_332:
	s_or_b64 exec, exec, s[6:7]
	v_lshrrev_b32_e32 v11, 8, v12
	s_movk_i32 s4, 0x7f
	v_cmp_gt_i16_sdwa s[6:7], v11, s4 src0_sel:BYTE_0 src1_sel:DWORD
	s_mov_b64 s[4:5], 0
                                        ; implicit-def: $sgpr10
	s_and_saveexec_b64 s[8:9], s[6:7]
	s_xor_b64 s[6:7], exec, s[8:9]
	s_cbranch_execnz .LBB11_2381
; %bb.333:
	s_or_saveexec_b64 s[6:7], s[6:7]
	v_mov_b32_e32 v14, s10
	s_xor_b64 exec, exec, s[6:7]
	s_cbranch_execnz .LBB11_2384
.LBB11_334:
	s_or_b64 exec, exec, s[6:7]
	s_and_saveexec_b64 s[6:7], s[4:5]
	s_cbranch_execz .LBB11_336
.LBB11_335:
	v_bfe_u32 v14, v12, 8, 3
	v_ffbh_u32_e32 v20, v14
	v_min_u32_e32 v20, 32, v20
	v_lshrrev_b16_e32 v15, 3, v11
	v_subrev_u32_e32 v21, 28, v20
	v_and_b32_e32 v15, 15, v15
	v_lshlrev_b32_e32 v11, v21, v11
	v_sub_u32_e32 v20, 29, v20
	v_and_b32_e32 v11, 7, v11
	v_cmp_eq_u16_e32 vcc, 0, v15
	v_cndmask_b32_e32 v11, v14, v11, vcc
	v_cndmask_b32_e32 v14, v15, v20, vcc
	v_lshlrev_b32_e32 v15, 16, v12
	v_mov_b32_e32 v20, 0x3b800000
	v_lshlrev_b32_e32 v11, 20, v11
	v_and_b32_e32 v15, 0x80000000, v15
	v_lshl_add_u32 v14, v14, 23, v20
	v_or3_b32 v14, v15, v14, v11
.LBB11_336:
	s_or_b64 exec, exec, s[6:7]
	s_nop 0
	v_mfma_f32_16x16x4f32 a[0:3], v10, v14, a[0:3]
	s_movk_i32 s4, 0xff
	v_and_b32_sdwa v11, v16, s4 dst_sel:DWORD dst_unused:UNUSED_PAD src0_sel:WORD_1 src1_sel:DWORD
	s_movk_i32 s4, 0x7f
	v_cmp_lt_i16_e32 vcc, s4, v11
	s_mov_b64 s[4:5], 0
                                        ; implicit-def: $sgpr10
	s_and_saveexec_b64 s[6:7], vcc
	s_xor_b64 s[6:7], exec, s[6:7]
	s_cbranch_execnz .LBB11_2385
; %bb.337:
	s_or_saveexec_b64 s[6:7], s[6:7]
	v_mov_b32_e32 v10, s10
	s_xor_b64 exec, exec, s[6:7]
	s_cbranch_execnz .LBB11_2388
.LBB11_338:
	s_or_b64 exec, exec, s[6:7]
	s_and_saveexec_b64 s[6:7], s[4:5]
	s_cbranch_execz .LBB11_340
.LBB11_339:
	v_bfe_u32 v10, v16, 16, 3
	v_ffbh_u32_e32 v15, v10
	v_min_u32_e32 v15, 32, v15
	v_lshrrev_b32_e32 v11, 19, v16
	v_subrev_u32_e32 v20, 28, v15
	v_and_b32_e32 v11, 15, v11
	v_lshlrev_b32_sdwa v20, v20, v16 dst_sel:DWORD dst_unused:UNUSED_PAD src0_sel:DWORD src1_sel:WORD_1
	v_bfe_u32 v14, v16, 19, 4
	v_sub_u32_e32 v15, 29, v15
	v_and_b32_e32 v20, 7, v20
	v_cmp_eq_u16_e32 vcc, 0, v11
	v_cndmask_b32_e32 v10, v10, v20, vcc
	v_cndmask_b32_e32 v11, v14, v15, vcc
	v_lshlrev_b32_e32 v14, 8, v16
	v_mov_b32_e32 v15, 0x3b800000
	v_lshlrev_b32_e32 v10, 20, v10
	v_and_b32_e32 v14, 0x80000000, v14
	v_lshl_add_u32 v11, v11, 23, v15
	v_or3_b32 v10, v14, v11, v10
.LBB11_340:
	s_or_b64 exec, exec, s[6:7]
	s_movk_i32 s4, 0xff
	v_and_b32_sdwa v11, v12, s4 dst_sel:DWORD dst_unused:UNUSED_PAD src0_sel:WORD_1 src1_sel:DWORD
	s_movk_i32 s4, 0x7f
	v_cmp_lt_i16_e32 vcc, s4, v11
	s_mov_b64 s[4:5], 0
                                        ; implicit-def: $sgpr10
	s_and_saveexec_b64 s[6:7], vcc
	s_xor_b64 s[6:7], exec, s[6:7]
	s_cbranch_execnz .LBB11_2389
; %bb.341:
	s_or_saveexec_b64 s[6:7], s[6:7]
	v_mov_b32_e32 v14, s10
	s_xor_b64 exec, exec, s[6:7]
	s_cbranch_execnz .LBB11_2392
.LBB11_342:
	s_or_b64 exec, exec, s[6:7]
	s_and_saveexec_b64 s[6:7], s[4:5]
	s_cbranch_execz .LBB11_344
.LBB11_343:
	v_bfe_u32 v11, v12, 16, 3
	v_ffbh_u32_e32 v20, v11
	v_min_u32_e32 v20, 32, v20
	v_lshrrev_b32_e32 v14, 19, v12
	v_subrev_u32_e32 v21, 28, v20
	v_and_b32_e32 v14, 15, v14
	v_lshlrev_b32_sdwa v21, v21, v12 dst_sel:DWORD dst_unused:UNUSED_PAD src0_sel:DWORD src1_sel:WORD_1
	v_bfe_u32 v15, v12, 19, 4
	v_sub_u32_e32 v20, 29, v20
	v_and_b32_e32 v21, 7, v21
	v_cmp_eq_u16_e32 vcc, 0, v14
	v_cndmask_b32_e32 v11, v11, v21, vcc
	v_cndmask_b32_e32 v14, v15, v20, vcc
	v_lshlrev_b32_e32 v15, 8, v12
	v_mov_b32_e32 v20, 0x3b800000
	v_lshlrev_b32_e32 v11, 20, v11
	v_and_b32_e32 v15, 0x80000000, v15
	v_lshl_add_u32 v14, v14, 23, v20
	v_or3_b32 v14, v15, v14, v11
.LBB11_344:
	s_or_b64 exec, exec, s[6:7]
	s_nop 0
	v_mfma_f32_16x16x4f32 a[0:3], v10, v14, a[0:3]
	s_movk_i32 s4, 0x7f
	v_cmp_gt_i16_sdwa s[6:7], v16, s4 src0_sel:BYTE_3 src1_sel:DWORD
	s_mov_b64 s[4:5], 0
                                        ; implicit-def: $sgpr10
	s_and_saveexec_b64 s[8:9], s[6:7]
	s_xor_b64 s[6:7], exec, s[8:9]
	s_cbranch_execnz .LBB11_2393
; %bb.345:
	s_or_saveexec_b64 s[6:7], s[6:7]
	v_mov_b32_e32 v10, s10
	s_xor_b64 exec, exec, s[6:7]
	s_cbranch_execnz .LBB11_2396
.LBB11_346:
	s_or_b64 exec, exec, s[6:7]
	s_and_saveexec_b64 s[6:7], s[4:5]
	s_cbranch_execz .LBB11_348
.LBB11_347:
	v_bfe_u32 v10, v16, 24, 3
	v_ffbh_u32_e32 v20, v10
	v_min_u32_e32 v20, 32, v20
	v_lshrrev_b32_e32 v14, 27, v16
	v_subrev_u32_e32 v21, 28, v20
	v_and_b32_e32 v11, 0x80000000, v16
	v_and_b32_e32 v14, 15, v14
	v_bfe_u32 v15, v16, 27, 4
	v_lshlrev_b32_sdwa v16, v21, v16 dst_sel:DWORD dst_unused:UNUSED_PAD src0_sel:DWORD src1_sel:BYTE_3
	v_sub_u32_e32 v20, 29, v20
	v_and_b32_e32 v16, 7, v16
	v_cmp_eq_u16_e32 vcc, 0, v14
	v_cndmask_b32_e32 v10, v10, v16, vcc
	v_cndmask_b32_e32 v14, v15, v20, vcc
	v_mov_b32_e32 v15, 0x3b800000
	v_lshlrev_b32_e32 v10, 20, v10
	v_lshl_add_u32 v14, v14, 23, v15
	v_or3_b32 v10, v11, v14, v10
.LBB11_348:
	s_or_b64 exec, exec, s[6:7]
	s_movk_i32 s4, 0x7f
	v_cmp_gt_i16_sdwa s[6:7], v12, s4 src0_sel:BYTE_3 src1_sel:DWORD
	s_mov_b64 s[4:5], 0
                                        ; implicit-def: $sgpr10
	s_and_saveexec_b64 s[8:9], s[6:7]
	s_xor_b64 s[6:7], exec, s[8:9]
	s_cbranch_execnz .LBB11_2397
; %bb.349:
	s_or_saveexec_b64 s[6:7], s[6:7]
	v_mov_b32_e32 v11, s10
	s_xor_b64 exec, exec, s[6:7]
	s_cbranch_execnz .LBB11_2400
.LBB11_350:
	s_or_b64 exec, exec, s[6:7]
	s_and_saveexec_b64 s[6:7], s[4:5]
	s_cbranch_execz .LBB11_352
.LBB11_351:
	v_bfe_u32 v11, v12, 24, 3
	v_ffbh_u32_e32 v20, v11
	v_min_u32_e32 v20, 32, v20
	v_lshrrev_b32_e32 v15, 27, v12
	v_subrev_u32_e32 v21, 28, v20
	v_and_b32_e32 v14, 0x80000000, v12
	v_and_b32_e32 v15, 15, v15
	v_bfe_u32 v16, v12, 27, 4
	v_lshlrev_b32_sdwa v12, v21, v12 dst_sel:DWORD dst_unused:UNUSED_PAD src0_sel:DWORD src1_sel:BYTE_3
	v_sub_u32_e32 v20, 29, v20
	v_and_b32_e32 v12, 7, v12
	v_cmp_eq_u16_e32 vcc, 0, v15
	v_cndmask_b32_e32 v11, v11, v12, vcc
	v_cndmask_b32_e32 v12, v16, v20, vcc
	v_mov_b32_e32 v15, 0x3b800000
	v_lshlrev_b32_e32 v11, 20, v11
	v_lshl_add_u32 v12, v12, 23, v15
	v_or3_b32 v11, v14, v12, v11
.LBB11_352:
	s_or_b64 exec, exec, s[6:7]
	s_nop 0
	v_mfma_f32_16x16x4f32 a[0:3], v10, v11, a[0:3]
	s_movk_i32 s4, 0x7f
	v_cmp_gt_i16_sdwa s[6:7], v17, s4 src0_sel:BYTE_0 src1_sel:DWORD
	s_mov_b64 s[4:5], 0
                                        ; implicit-def: $sgpr10
	s_and_saveexec_b64 s[8:9], s[6:7]
	s_xor_b64 s[6:7], exec, s[8:9]
	s_cbranch_execnz .LBB11_2401
; %bb.353:
	s_or_saveexec_b64 s[6:7], s[6:7]
	v_mov_b32_e32 v10, s10
	s_xor_b64 exec, exec, s[6:7]
	s_cbranch_execnz .LBB11_2404
.LBB11_354:
	s_or_b64 exec, exec, s[6:7]
	s_and_saveexec_b64 s[6:7], s[4:5]
	s_cbranch_execz .LBB11_356
.LBB11_355:
	v_and_b32_e32 v10, 7, v17
	v_ffbh_u32_e32 v12, v10
	v_min_u32_e32 v12, 32, v12
	v_lshrrev_b16_e32 v11, 3, v17
	v_subrev_u32_e32 v14, 28, v12
	v_and_b32_e32 v11, 15, v11
	v_lshlrev_b32_e32 v14, v14, v17
	v_sub_u32_e32 v12, 29, v12
	v_and_b32_e32 v14, 7, v14
	v_cmp_eq_u16_e32 vcc, 0, v11
	v_cndmask_b32_e32 v10, v10, v14, vcc
	v_cndmask_b32_e32 v11, v11, v12, vcc
	v_lshlrev_b32_e32 v12, 24, v17
	v_mov_b32_e32 v14, 0x3b800000
	v_lshlrev_b32_e32 v10, 20, v10
	v_and_b32_e32 v12, 0x80000000, v12
	v_lshl_add_u32 v11, v11, 23, v14
	v_or3_b32 v10, v12, v11, v10
.LBB11_356:
	s_or_b64 exec, exec, s[6:7]
	s_movk_i32 s4, 0x7f
	v_cmp_gt_i16_sdwa s[6:7], v13, s4 src0_sel:BYTE_0 src1_sel:DWORD
	s_mov_b64 s[4:5], 0
                                        ; implicit-def: $sgpr10
	s_and_saveexec_b64 s[8:9], s[6:7]
	s_xor_b64 s[6:7], exec, s[8:9]
	s_cbranch_execnz .LBB11_2405
; %bb.357:
	s_or_saveexec_b64 s[6:7], s[6:7]
	v_mov_b32_e32 v11, s10
	s_xor_b64 exec, exec, s[6:7]
	s_cbranch_execnz .LBB11_2408
.LBB11_358:
	s_or_b64 exec, exec, s[6:7]
	s_and_saveexec_b64 s[6:7], s[4:5]
	s_cbranch_execz .LBB11_360
.LBB11_359:
	v_and_b32_e32 v11, 7, v13
	v_ffbh_u32_e32 v14, v11
	v_min_u32_e32 v14, 32, v14
	v_lshrrev_b16_e32 v12, 3, v13
	v_subrev_u32_e32 v15, 28, v14
	v_and_b32_e32 v12, 15, v12
	v_lshlrev_b32_e32 v15, v15, v13
	v_sub_u32_e32 v14, 29, v14
	v_and_b32_e32 v15, 7, v15
	v_cmp_eq_u16_e32 vcc, 0, v12
	v_cndmask_b32_e32 v11, v11, v15, vcc
	v_cndmask_b32_e32 v12, v12, v14, vcc
	v_lshlrev_b32_e32 v14, 24, v13
	v_mov_b32_e32 v15, 0x3b800000
	v_lshlrev_b32_e32 v11, 20, v11
	v_and_b32_e32 v14, 0x80000000, v14
	v_lshl_add_u32 v12, v12, 23, v15
	v_or3_b32 v11, v14, v12, v11
.LBB11_360:
	s_or_b64 exec, exec, s[6:7]
	s_nop 0
	v_mfma_f32_16x16x4f32 a[0:3], v10, v11, a[0:3]
	v_lshrrev_b32_e32 v11, 8, v17
	s_movk_i32 s4, 0x7f
	v_cmp_gt_i16_sdwa s[6:7], v11, s4 src0_sel:BYTE_0 src1_sel:DWORD
	s_mov_b64 s[4:5], 0
                                        ; implicit-def: $sgpr10
	s_and_saveexec_b64 s[8:9], s[6:7]
	s_xor_b64 s[6:7], exec, s[8:9]
	s_cbranch_execnz .LBB11_2409
; %bb.361:
	s_or_saveexec_b64 s[6:7], s[6:7]
	v_mov_b32_e32 v10, s10
	s_xor_b64 exec, exec, s[6:7]
	s_cbranch_execnz .LBB11_2412
.LBB11_362:
	s_or_b64 exec, exec, s[6:7]
	s_and_saveexec_b64 s[6:7], s[4:5]
	s_cbranch_execz .LBB11_364
.LBB11_363:
	v_bfe_u32 v10, v17, 8, 3
	v_ffbh_u32_e32 v14, v10
	v_min_u32_e32 v14, 32, v14
	v_lshrrev_b16_e32 v12, 3, v11
	v_subrev_u32_e32 v15, 28, v14
	v_and_b32_e32 v12, 15, v12
	v_lshlrev_b32_e32 v11, v15, v11
	v_sub_u32_e32 v14, 29, v14
	v_and_b32_e32 v11, 7, v11
	v_cmp_eq_u16_e32 vcc, 0, v12
	v_cndmask_b32_e32 v10, v10, v11, vcc
	v_cndmask_b32_e32 v11, v12, v14, vcc
	v_lshlrev_b32_e32 v12, 16, v17
	v_mov_b32_e32 v14, 0x3b800000
	v_lshlrev_b32_e32 v10, 20, v10
	v_and_b32_e32 v12, 0x80000000, v12
	v_lshl_add_u32 v11, v11, 23, v14
	v_or3_b32 v10, v12, v11, v10
.LBB11_364:
	s_or_b64 exec, exec, s[6:7]
	v_lshrrev_b32_e32 v11, 8, v13
	s_movk_i32 s4, 0x7f
	v_cmp_gt_i16_sdwa s[6:7], v11, s4 src0_sel:BYTE_0 src1_sel:DWORD
	s_mov_b64 s[4:5], 0
                                        ; implicit-def: $sgpr10
	s_and_saveexec_b64 s[8:9], s[6:7]
	s_xor_b64 s[6:7], exec, s[8:9]
	s_cbranch_execnz .LBB11_2413
; %bb.365:
	s_or_saveexec_b64 s[6:7], s[6:7]
	v_mov_b32_e32 v12, s10
	s_xor_b64 exec, exec, s[6:7]
	s_cbranch_execnz .LBB11_2416
.LBB11_366:
	s_or_b64 exec, exec, s[6:7]
	s_and_saveexec_b64 s[6:7], s[4:5]
	s_cbranch_execz .LBB11_368
.LBB11_367:
	v_bfe_u32 v12, v13, 8, 3
	v_ffbh_u32_e32 v15, v12
	v_min_u32_e32 v15, 32, v15
	v_lshrrev_b16_e32 v14, 3, v11
	v_subrev_u32_e32 v16, 28, v15
	v_and_b32_e32 v14, 15, v14
	v_lshlrev_b32_e32 v11, v16, v11
	v_sub_u32_e32 v15, 29, v15
	v_and_b32_e32 v11, 7, v11
	v_cmp_eq_u16_e32 vcc, 0, v14
	v_cndmask_b32_e32 v11, v12, v11, vcc
	v_cndmask_b32_e32 v12, v14, v15, vcc
	v_lshlrev_b32_e32 v14, 16, v13
	v_mov_b32_e32 v15, 0x3b800000
	v_lshlrev_b32_e32 v11, 20, v11
	v_and_b32_e32 v14, 0x80000000, v14
	v_lshl_add_u32 v12, v12, 23, v15
	v_or3_b32 v12, v14, v12, v11
.LBB11_368:
	s_or_b64 exec, exec, s[6:7]
	s_nop 0
	v_mfma_f32_16x16x4f32 a[0:3], v10, v12, a[0:3]
	s_movk_i32 s4, 0xff
	v_and_b32_sdwa v11, v17, s4 dst_sel:DWORD dst_unused:UNUSED_PAD src0_sel:WORD_1 src1_sel:DWORD
	s_movk_i32 s4, 0x7f
	v_cmp_lt_i16_e32 vcc, s4, v11
	s_mov_b64 s[4:5], 0
                                        ; implicit-def: $sgpr10
	s_and_saveexec_b64 s[6:7], vcc
	s_xor_b64 s[6:7], exec, s[6:7]
	s_cbranch_execnz .LBB11_2417
; %bb.369:
	s_or_saveexec_b64 s[6:7], s[6:7]
	v_mov_b32_e32 v10, s10
	s_xor_b64 exec, exec, s[6:7]
	s_cbranch_execnz .LBB11_2420
.LBB11_370:
	s_or_b64 exec, exec, s[6:7]
	s_and_saveexec_b64 s[6:7], s[4:5]
	s_cbranch_execz .LBB11_372
.LBB11_371:
	v_bfe_u32 v10, v17, 16, 3
	v_ffbh_u32_e32 v14, v10
	v_min_u32_e32 v14, 32, v14
	v_lshrrev_b32_e32 v11, 19, v17
	v_subrev_u32_e32 v15, 28, v14
	v_and_b32_e32 v11, 15, v11
	v_lshlrev_b32_sdwa v15, v15, v17 dst_sel:DWORD dst_unused:UNUSED_PAD src0_sel:DWORD src1_sel:WORD_1
	v_bfe_u32 v12, v17, 19, 4
	v_sub_u32_e32 v14, 29, v14
	v_and_b32_e32 v15, 7, v15
	v_cmp_eq_u16_e32 vcc, 0, v11
	v_cndmask_b32_e32 v10, v10, v15, vcc
	v_cndmask_b32_e32 v11, v12, v14, vcc
	v_lshlrev_b32_e32 v12, 8, v17
	v_mov_b32_e32 v14, 0x3b800000
	v_lshlrev_b32_e32 v10, 20, v10
	v_and_b32_e32 v12, 0x80000000, v12
	v_lshl_add_u32 v11, v11, 23, v14
	v_or3_b32 v10, v12, v11, v10
.LBB11_372:
	s_or_b64 exec, exec, s[6:7]
	s_movk_i32 s4, 0xff
	v_and_b32_sdwa v11, v13, s4 dst_sel:DWORD dst_unused:UNUSED_PAD src0_sel:WORD_1 src1_sel:DWORD
	s_movk_i32 s4, 0x7f
	v_cmp_lt_i16_e32 vcc, s4, v11
	s_mov_b64 s[4:5], 0
                                        ; implicit-def: $sgpr10
	s_and_saveexec_b64 s[6:7], vcc
	s_xor_b64 s[6:7], exec, s[6:7]
	s_cbranch_execnz .LBB11_2421
; %bb.373:
	s_or_saveexec_b64 s[6:7], s[6:7]
	v_mov_b32_e32 v12, s10
	s_xor_b64 exec, exec, s[6:7]
	s_cbranch_execnz .LBB11_2424
.LBB11_374:
	s_or_b64 exec, exec, s[6:7]
	s_and_saveexec_b64 s[6:7], s[4:5]
	s_cbranch_execz .LBB11_376
.LBB11_375:
	v_bfe_u32 v11, v13, 16, 3
	v_ffbh_u32_e32 v15, v11
	v_min_u32_e32 v15, 32, v15
	v_lshrrev_b32_e32 v12, 19, v13
	v_subrev_u32_e32 v16, 28, v15
	v_and_b32_e32 v12, 15, v12
	v_lshlrev_b32_sdwa v16, v16, v13 dst_sel:DWORD dst_unused:UNUSED_PAD src0_sel:DWORD src1_sel:WORD_1
	v_bfe_u32 v14, v13, 19, 4
	v_sub_u32_e32 v15, 29, v15
	v_and_b32_e32 v16, 7, v16
	v_cmp_eq_u16_e32 vcc, 0, v12
	v_cndmask_b32_e32 v11, v11, v16, vcc
	v_cndmask_b32_e32 v12, v14, v15, vcc
	v_lshlrev_b32_e32 v14, 8, v13
	v_mov_b32_e32 v15, 0x3b800000
	v_lshlrev_b32_e32 v11, 20, v11
	v_and_b32_e32 v14, 0x80000000, v14
	v_lshl_add_u32 v12, v12, 23, v15
	v_or3_b32 v12, v14, v12, v11
.LBB11_376:
	s_or_b64 exec, exec, s[6:7]
	s_nop 0
	v_mfma_f32_16x16x4f32 a[0:3], v10, v12, a[0:3]
	s_movk_i32 s4, 0x7f
	v_cmp_gt_i16_sdwa s[6:7], v17, s4 src0_sel:BYTE_3 src1_sel:DWORD
	s_mov_b64 s[4:5], 0
                                        ; implicit-def: $sgpr10
	s_and_saveexec_b64 s[8:9], s[6:7]
	s_xor_b64 s[6:7], exec, s[8:9]
	s_cbranch_execnz .LBB11_2425
; %bb.377:
	s_or_saveexec_b64 s[6:7], s[6:7]
	v_mov_b32_e32 v10, s10
	s_xor_b64 exec, exec, s[6:7]
	s_cbranch_execnz .LBB11_2428
.LBB11_378:
	s_or_b64 exec, exec, s[6:7]
	s_and_saveexec_b64 s[6:7], s[4:5]
	s_cbranch_execz .LBB11_380
.LBB11_379:
	v_bfe_u32 v10, v17, 24, 3
	v_ffbh_u32_e32 v15, v10
	v_min_u32_e32 v15, 32, v15
	v_lshrrev_b32_e32 v12, 27, v17
	v_subrev_u32_e32 v16, 28, v15
	v_and_b32_e32 v12, 15, v12
	v_lshlrev_b32_sdwa v16, v16, v17 dst_sel:DWORD dst_unused:UNUSED_PAD src0_sel:DWORD src1_sel:BYTE_3
	v_bfe_u32 v14, v17, 27, 4
	v_sub_u32_e32 v15, 29, v15
	v_and_b32_e32 v16, 7, v16
	v_cmp_eq_u16_e32 vcc, 0, v12
	v_cndmask_b32_e32 v10, v10, v16, vcc
	v_cndmask_b32_e32 v12, v14, v15, vcc
	v_mov_b32_e32 v14, 0x3b800000
	v_and_b32_e32 v11, 0x80000000, v17
	v_lshlrev_b32_e32 v10, 20, v10
	v_lshl_add_u32 v12, v12, 23, v14
	v_or3_b32 v10, v11, v12, v10
.LBB11_380:
	s_or_b64 exec, exec, s[6:7]
	s_movk_i32 s4, 0x7f
	v_cmp_gt_i16_sdwa s[6:7], v13, s4 src0_sel:BYTE_3 src1_sel:DWORD
	s_mov_b64 s[4:5], 0
                                        ; implicit-def: $sgpr10
	s_and_saveexec_b64 s[8:9], s[6:7]
	s_xor_b64 s[6:7], exec, s[8:9]
	s_cbranch_execnz .LBB11_2429
; %bb.381:
	s_or_saveexec_b64 s[6:7], s[6:7]
	v_mov_b32_e32 v11, s10
	s_xor_b64 exec, exec, s[6:7]
	s_cbranch_execnz .LBB11_2432
.LBB11_382:
	s_or_b64 exec, exec, s[6:7]
	s_and_saveexec_b64 s[6:7], s[4:5]
	s_cbranch_execz .LBB11_384
.LBB11_383:
	v_bfe_u32 v11, v13, 24, 3
	v_ffbh_u32_e32 v16, v11
	v_min_u32_e32 v16, 32, v16
	v_lshrrev_b32_e32 v14, 27, v13
	v_subrev_u32_e32 v17, 28, v16
	v_and_b32_e32 v12, 0x80000000, v13
	v_and_b32_e32 v14, 15, v14
	v_bfe_u32 v15, v13, 27, 4
	v_lshlrev_b32_sdwa v13, v17, v13 dst_sel:DWORD dst_unused:UNUSED_PAD src0_sel:DWORD src1_sel:BYTE_3
	v_sub_u32_e32 v16, 29, v16
	v_and_b32_e32 v13, 7, v13
	v_cmp_eq_u16_e32 vcc, 0, v14
	v_cndmask_b32_e32 v11, v11, v13, vcc
	v_cndmask_b32_e32 v13, v15, v16, vcc
	v_mov_b32_e32 v14, 0x3b800000
	v_lshlrev_b32_e32 v11, 20, v11
	v_lshl_add_u32 v13, v13, 23, v14
	v_or3_b32 v11, v12, v13, v11
.LBB11_384:
	s_or_b64 exec, exec, s[6:7]
	s_nop 0
	v_mfma_f32_16x16x4f32 a[0:3], v10, v11, a[0:3]
	s_movk_i32 s4, 0x7f
	v_cmp_gt_i16_sdwa s[6:7], v6, s4 src0_sel:BYTE_0 src1_sel:DWORD
	s_mov_b64 s[4:5], 0
                                        ; implicit-def: $sgpr10
	s_and_saveexec_b64 s[8:9], s[6:7]
	s_xor_b64 s[6:7], exec, s[8:9]
	s_cbranch_execnz .LBB11_2433
; %bb.385:
	s_or_saveexec_b64 s[6:7], s[6:7]
	v_mov_b32_e32 v10, s10
	s_xor_b64 exec, exec, s[6:7]
	s_cbranch_execnz .LBB11_2436
.LBB11_386:
	s_or_b64 exec, exec, s[6:7]
	s_and_saveexec_b64 s[6:7], s[4:5]
	s_cbranch_execz .LBB11_388
.LBB11_387:
	v_and_b32_e32 v10, 7, v6
	v_ffbh_u32_e32 v12, v10
	v_min_u32_e32 v12, 32, v12
	v_lshrrev_b16_e32 v11, 3, v6
	v_subrev_u32_e32 v13, 28, v12
	v_and_b32_e32 v11, 15, v11
	v_lshlrev_b32_e32 v13, v13, v6
	v_sub_u32_e32 v12, 29, v12
	v_and_b32_e32 v13, 7, v13
	v_cmp_eq_u16_e32 vcc, 0, v11
	v_cndmask_b32_e32 v10, v10, v13, vcc
	v_cndmask_b32_e32 v11, v11, v12, vcc
	v_lshlrev_b32_e32 v12, 24, v6
	v_mov_b32_e32 v13, 0x3b800000
	v_lshlrev_b32_e32 v10, 20, v10
	v_and_b32_e32 v12, 0x80000000, v12
	v_lshl_add_u32 v11, v11, 23, v13
	v_or3_b32 v10, v12, v11, v10
.LBB11_388:
	s_or_b64 exec, exec, s[6:7]
	s_movk_i32 s4, 0x7f
	v_cmp_gt_i16_sdwa s[6:7], v2, s4 src0_sel:BYTE_0 src1_sel:DWORD
	s_mov_b64 s[4:5], 0
                                        ; implicit-def: $sgpr10
	s_and_saveexec_b64 s[8:9], s[6:7]
	s_xor_b64 s[6:7], exec, s[8:9]
	s_cbranch_execnz .LBB11_2437
; %bb.389:
	s_or_saveexec_b64 s[6:7], s[6:7]
	v_mov_b32_e32 v11, s10
	s_xor_b64 exec, exec, s[6:7]
	s_cbranch_execnz .LBB11_2440
.LBB11_390:
	s_or_b64 exec, exec, s[6:7]
	s_and_saveexec_b64 s[6:7], s[4:5]
	s_cbranch_execz .LBB11_392
.LBB11_391:
	v_and_b32_e32 v11, 7, v2
	v_ffbh_u32_e32 v13, v11
	v_min_u32_e32 v13, 32, v13
	v_lshrrev_b16_e32 v12, 3, v2
	v_subrev_u32_e32 v14, 28, v13
	v_and_b32_e32 v12, 15, v12
	v_lshlrev_b32_e32 v14, v14, v2
	v_sub_u32_e32 v13, 29, v13
	v_and_b32_e32 v14, 7, v14
	v_cmp_eq_u16_e32 vcc, 0, v12
	v_cndmask_b32_e32 v11, v11, v14, vcc
	v_cndmask_b32_e32 v12, v12, v13, vcc
	v_lshlrev_b32_e32 v13, 24, v2
	v_mov_b32_e32 v14, 0x3b800000
	v_lshlrev_b32_e32 v11, 20, v11
	v_and_b32_e32 v13, 0x80000000, v13
	v_lshl_add_u32 v12, v12, 23, v14
	v_or3_b32 v11, v13, v12, v11
.LBB11_392:
	s_or_b64 exec, exec, s[6:7]
	s_nop 0
	v_mfma_f32_16x16x4f32 a[0:3], v10, v11, a[0:3]
	v_lshrrev_b32_e32 v11, 8, v6
	s_movk_i32 s4, 0x7f
	v_cmp_gt_i16_sdwa s[6:7], v11, s4 src0_sel:BYTE_0 src1_sel:DWORD
	s_mov_b64 s[4:5], 0
                                        ; implicit-def: $sgpr10
	s_and_saveexec_b64 s[8:9], s[6:7]
	s_xor_b64 s[6:7], exec, s[8:9]
	s_cbranch_execnz .LBB11_2441
; %bb.393:
	s_or_saveexec_b64 s[6:7], s[6:7]
	v_mov_b32_e32 v10, s10
	s_xor_b64 exec, exec, s[6:7]
	s_cbranch_execnz .LBB11_2444
.LBB11_394:
	s_or_b64 exec, exec, s[6:7]
	s_and_saveexec_b64 s[6:7], s[4:5]
	s_cbranch_execz .LBB11_396
.LBB11_395:
	v_bfe_u32 v10, v6, 8, 3
	v_ffbh_u32_e32 v13, v10
	v_min_u32_e32 v13, 32, v13
	v_lshrrev_b16_e32 v12, 3, v11
	v_subrev_u32_e32 v14, 28, v13
	v_and_b32_e32 v12, 15, v12
	v_lshlrev_b32_e32 v11, v14, v11
	v_sub_u32_e32 v13, 29, v13
	v_and_b32_e32 v11, 7, v11
	v_cmp_eq_u16_e32 vcc, 0, v12
	v_cndmask_b32_e32 v10, v10, v11, vcc
	v_cndmask_b32_e32 v11, v12, v13, vcc
	v_lshlrev_b32_e32 v12, 16, v6
	v_mov_b32_e32 v13, 0x3b800000
	v_lshlrev_b32_e32 v10, 20, v10
	v_and_b32_e32 v12, 0x80000000, v12
	v_lshl_add_u32 v11, v11, 23, v13
	v_or3_b32 v10, v12, v11, v10
.LBB11_396:
	s_or_b64 exec, exec, s[6:7]
	v_lshrrev_b32_e32 v11, 8, v2
	s_movk_i32 s4, 0x7f
	v_cmp_gt_i16_sdwa s[6:7], v11, s4 src0_sel:BYTE_0 src1_sel:DWORD
	s_mov_b64 s[4:5], 0
                                        ; implicit-def: $sgpr10
	s_and_saveexec_b64 s[8:9], s[6:7]
	s_xor_b64 s[6:7], exec, s[8:9]
	s_cbranch_execnz .LBB11_2445
; %bb.397:
	s_or_saveexec_b64 s[6:7], s[6:7]
	v_mov_b32_e32 v12, s10
	s_xor_b64 exec, exec, s[6:7]
	s_cbranch_execnz .LBB11_2448
.LBB11_398:
	s_or_b64 exec, exec, s[6:7]
	s_and_saveexec_b64 s[6:7], s[4:5]
	s_cbranch_execz .LBB11_400
.LBB11_399:
	v_bfe_u32 v12, v2, 8, 3
	v_ffbh_u32_e32 v14, v12
	v_min_u32_e32 v14, 32, v14
	v_lshrrev_b16_e32 v13, 3, v11
	v_subrev_u32_e32 v15, 28, v14
	v_and_b32_e32 v13, 15, v13
	v_lshlrev_b32_e32 v11, v15, v11
	v_sub_u32_e32 v14, 29, v14
	v_and_b32_e32 v11, 7, v11
	v_cmp_eq_u16_e32 vcc, 0, v13
	v_cndmask_b32_e32 v11, v12, v11, vcc
	v_cndmask_b32_e32 v12, v13, v14, vcc
	v_lshlrev_b32_e32 v13, 16, v2
	v_mov_b32_e32 v14, 0x3b800000
	v_lshlrev_b32_e32 v11, 20, v11
	v_and_b32_e32 v13, 0x80000000, v13
	v_lshl_add_u32 v12, v12, 23, v14
	v_or3_b32 v12, v13, v12, v11
.LBB11_400:
	s_or_b64 exec, exec, s[6:7]
	s_nop 0
	v_mfma_f32_16x16x4f32 a[0:3], v10, v12, a[0:3]
	s_movk_i32 s4, 0xff
	v_and_b32_sdwa v11, v6, s4 dst_sel:DWORD dst_unused:UNUSED_PAD src0_sel:WORD_1 src1_sel:DWORD
	s_movk_i32 s4, 0x7f
	v_cmp_lt_i16_e32 vcc, s4, v11
	s_mov_b64 s[4:5], 0
                                        ; implicit-def: $sgpr10
	s_and_saveexec_b64 s[6:7], vcc
	s_xor_b64 s[6:7], exec, s[6:7]
	s_cbranch_execnz .LBB11_2449
; %bb.401:
	s_or_saveexec_b64 s[6:7], s[6:7]
	v_mov_b32_e32 v10, s10
	s_xor_b64 exec, exec, s[6:7]
	s_cbranch_execnz .LBB11_2452
.LBB11_402:
	s_or_b64 exec, exec, s[6:7]
	s_and_saveexec_b64 s[6:7], s[4:5]
	s_cbranch_execz .LBB11_404
.LBB11_403:
	v_bfe_u32 v10, v6, 16, 3
	v_ffbh_u32_e32 v13, v10
	v_min_u32_e32 v13, 32, v13
	v_lshrrev_b32_e32 v11, 19, v6
	v_subrev_u32_e32 v14, 28, v13
	v_and_b32_e32 v11, 15, v11
	v_lshlrev_b32_sdwa v14, v14, v6 dst_sel:DWORD dst_unused:UNUSED_PAD src0_sel:DWORD src1_sel:WORD_1
	v_bfe_u32 v12, v6, 19, 4
	v_sub_u32_e32 v13, 29, v13
	v_and_b32_e32 v14, 7, v14
	v_cmp_eq_u16_e32 vcc, 0, v11
	v_cndmask_b32_e32 v10, v10, v14, vcc
	v_cndmask_b32_e32 v11, v12, v13, vcc
	v_lshlrev_b32_e32 v12, 8, v6
	v_mov_b32_e32 v13, 0x3b800000
	v_lshlrev_b32_e32 v10, 20, v10
	v_and_b32_e32 v12, 0x80000000, v12
	v_lshl_add_u32 v11, v11, 23, v13
	v_or3_b32 v10, v12, v11, v10
.LBB11_404:
	s_or_b64 exec, exec, s[6:7]
	s_movk_i32 s4, 0xff
	v_and_b32_sdwa v11, v2, s4 dst_sel:DWORD dst_unused:UNUSED_PAD src0_sel:WORD_1 src1_sel:DWORD
	s_movk_i32 s4, 0x7f
	v_cmp_lt_i16_e32 vcc, s4, v11
	s_mov_b64 s[4:5], 0
                                        ; implicit-def: $sgpr10
	s_and_saveexec_b64 s[6:7], vcc
	s_xor_b64 s[6:7], exec, s[6:7]
	s_cbranch_execnz .LBB11_2453
; %bb.405:
	s_or_saveexec_b64 s[6:7], s[6:7]
	v_mov_b32_e32 v12, s10
	s_xor_b64 exec, exec, s[6:7]
	s_cbranch_execnz .LBB11_2456
.LBB11_406:
	s_or_b64 exec, exec, s[6:7]
	s_and_saveexec_b64 s[6:7], s[4:5]
	s_cbranch_execz .LBB11_408
.LBB11_407:
	v_bfe_u32 v11, v2, 16, 3
	v_ffbh_u32_e32 v14, v11
	v_min_u32_e32 v14, 32, v14
	v_lshrrev_b32_e32 v12, 19, v2
	v_subrev_u32_e32 v15, 28, v14
	v_and_b32_e32 v12, 15, v12
	v_lshlrev_b32_sdwa v15, v15, v2 dst_sel:DWORD dst_unused:UNUSED_PAD src0_sel:DWORD src1_sel:WORD_1
	v_bfe_u32 v13, v2, 19, 4
	v_sub_u32_e32 v14, 29, v14
	v_and_b32_e32 v15, 7, v15
	v_cmp_eq_u16_e32 vcc, 0, v12
	v_cndmask_b32_e32 v11, v11, v15, vcc
	v_cndmask_b32_e32 v12, v13, v14, vcc
	v_lshlrev_b32_e32 v13, 8, v2
	v_mov_b32_e32 v14, 0x3b800000
	v_lshlrev_b32_e32 v11, 20, v11
	v_and_b32_e32 v13, 0x80000000, v13
	v_lshl_add_u32 v12, v12, 23, v14
	v_or3_b32 v12, v13, v12, v11
.LBB11_408:
	s_or_b64 exec, exec, s[6:7]
	s_nop 0
	v_mfma_f32_16x16x4f32 a[0:3], v10, v12, a[0:3]
	s_movk_i32 s4, 0x7f
	v_cmp_gt_i16_sdwa s[6:7], v6, s4 src0_sel:BYTE_3 src1_sel:DWORD
	s_mov_b64 s[4:5], 0
                                        ; implicit-def: $sgpr10
	s_and_saveexec_b64 s[8:9], s[6:7]
	s_xor_b64 s[6:7], exec, s[8:9]
	s_cbranch_execnz .LBB11_2457
; %bb.409:
	s_or_saveexec_b64 s[6:7], s[6:7]
	v_mov_b32_e32 v10, s10
	s_xor_b64 exec, exec, s[6:7]
	s_cbranch_execnz .LBB11_2460
.LBB11_410:
	s_or_b64 exec, exec, s[6:7]
	s_and_saveexec_b64 s[6:7], s[4:5]
	s_cbranch_execz .LBB11_412
.LBB11_411:
	v_bfe_u32 v10, v6, 24, 3
	v_ffbh_u32_e32 v14, v10
	v_min_u32_e32 v14, 32, v14
	v_lshrrev_b32_e32 v12, 27, v6
	v_subrev_u32_e32 v15, 28, v14
	v_and_b32_e32 v11, 0x80000000, v6
	v_and_b32_e32 v12, 15, v12
	v_bfe_u32 v13, v6, 27, 4
	v_lshlrev_b32_sdwa v6, v15, v6 dst_sel:DWORD dst_unused:UNUSED_PAD src0_sel:DWORD src1_sel:BYTE_3
	v_sub_u32_e32 v14, 29, v14
	v_and_b32_e32 v6, 7, v6
	v_cmp_eq_u16_e32 vcc, 0, v12
	v_cndmask_b32_e32 v6, v10, v6, vcc
	v_cndmask_b32_e32 v10, v13, v14, vcc
	v_mov_b32_e32 v12, 0x3b800000
	v_lshlrev_b32_e32 v6, 20, v6
	v_lshl_add_u32 v10, v10, 23, v12
	v_or3_b32 v10, v11, v10, v6
.LBB11_412:
	s_or_b64 exec, exec, s[6:7]
	s_movk_i32 s4, 0x7f
	v_cmp_gt_i16_sdwa s[6:7], v2, s4 src0_sel:BYTE_3 src1_sel:DWORD
	s_mov_b64 s[4:5], 0
                                        ; implicit-def: $sgpr10
	s_and_saveexec_b64 s[8:9], s[6:7]
	s_xor_b64 s[6:7], exec, s[8:9]
	s_cbranch_execnz .LBB11_2461
; %bb.413:
	s_or_saveexec_b64 s[6:7], s[6:7]
	v_mov_b32_e32 v6, s10
	s_xor_b64 exec, exec, s[6:7]
	s_cbranch_execnz .LBB11_2464
.LBB11_414:
	s_or_b64 exec, exec, s[6:7]
	s_and_saveexec_b64 s[6:7], s[4:5]
	s_cbranch_execz .LBB11_416
.LBB11_415:
	v_bfe_u32 v6, v2, 24, 3
	v_ffbh_u32_e32 v14, v6
	v_min_u32_e32 v14, 32, v14
	v_lshrrev_b32_e32 v12, 27, v2
	v_subrev_u32_e32 v15, 28, v14
	v_and_b32_e32 v11, 0x80000000, v2
	v_and_b32_e32 v12, 15, v12
	v_bfe_u32 v13, v2, 27, 4
	v_lshlrev_b32_sdwa v2, v15, v2 dst_sel:DWORD dst_unused:UNUSED_PAD src0_sel:DWORD src1_sel:BYTE_3
	v_sub_u32_e32 v14, 29, v14
	v_and_b32_e32 v2, 7, v2
	v_cmp_eq_u16_e32 vcc, 0, v12
	v_cndmask_b32_e32 v2, v6, v2, vcc
	v_cndmask_b32_e32 v6, v13, v14, vcc
	v_mov_b32_e32 v12, 0x3b800000
	v_lshlrev_b32_e32 v2, 20, v2
	v_lshl_add_u32 v6, v6, 23, v12
	v_or3_b32 v6, v11, v6, v2
.LBB11_416:
	s_or_b64 exec, exec, s[6:7]
	s_nop 0
	v_mfma_f32_16x16x4f32 a[0:3], v10, v6, a[0:3]
	s_movk_i32 s4, 0x7f
	v_cmp_gt_i16_sdwa s[6:7], v7, s4 src0_sel:BYTE_0 src1_sel:DWORD
	s_mov_b64 s[4:5], 0
                                        ; implicit-def: $sgpr10
	s_and_saveexec_b64 s[8:9], s[6:7]
	s_xor_b64 s[6:7], exec, s[8:9]
	s_cbranch_execnz .LBB11_2465
; %bb.417:
	s_or_saveexec_b64 s[6:7], s[6:7]
	v_mov_b32_e32 v2, s10
	s_xor_b64 exec, exec, s[6:7]
	s_cbranch_execnz .LBB11_2468
.LBB11_418:
	s_or_b64 exec, exec, s[6:7]
	s_and_saveexec_b64 s[6:7], s[4:5]
	s_cbranch_execz .LBB11_420
.LBB11_419:
	v_and_b32_e32 v2, 7, v7
	v_ffbh_u32_e32 v10, v2
	v_min_u32_e32 v10, 32, v10
	v_lshrrev_b16_e32 v6, 3, v7
	v_subrev_u32_e32 v11, 28, v10
	v_and_b32_e32 v6, 15, v6
	v_lshlrev_b32_e32 v11, v11, v7
	v_sub_u32_e32 v10, 29, v10
	v_and_b32_e32 v11, 7, v11
	v_cmp_eq_u16_e32 vcc, 0, v6
	v_cndmask_b32_e32 v2, v2, v11, vcc
	v_cndmask_b32_e32 v6, v6, v10, vcc
	v_lshlrev_b32_e32 v10, 24, v7
	v_mov_b32_e32 v11, 0x3b800000
	v_lshlrev_b32_e32 v2, 20, v2
	v_and_b32_e32 v10, 0x80000000, v10
	v_lshl_add_u32 v6, v6, 23, v11
	v_or3_b32 v2, v10, v6, v2
.LBB11_420:
	s_or_b64 exec, exec, s[6:7]
	s_movk_i32 s4, 0x7f
	v_cmp_gt_i16_sdwa s[6:7], v3, s4 src0_sel:BYTE_0 src1_sel:DWORD
	s_mov_b64 s[4:5], 0
                                        ; implicit-def: $sgpr10
	s_and_saveexec_b64 s[8:9], s[6:7]
	s_xor_b64 s[6:7], exec, s[8:9]
	s_cbranch_execnz .LBB11_2469
; %bb.421:
	s_or_saveexec_b64 s[6:7], s[6:7]
	v_mov_b32_e32 v6, s10
	s_xor_b64 exec, exec, s[6:7]
	s_cbranch_execnz .LBB11_2472
.LBB11_422:
	s_or_b64 exec, exec, s[6:7]
	s_and_saveexec_b64 s[6:7], s[4:5]
	s_cbranch_execz .LBB11_424
.LBB11_423:
	v_and_b32_e32 v6, 7, v3
	v_ffbh_u32_e32 v11, v6
	v_min_u32_e32 v11, 32, v11
	v_lshrrev_b16_e32 v10, 3, v3
	v_subrev_u32_e32 v12, 28, v11
	v_and_b32_e32 v10, 15, v10
	v_lshlrev_b32_e32 v12, v12, v3
	v_sub_u32_e32 v11, 29, v11
	v_and_b32_e32 v12, 7, v12
	v_cmp_eq_u16_e32 vcc, 0, v10
	v_cndmask_b32_e32 v6, v6, v12, vcc
	v_cndmask_b32_e32 v10, v10, v11, vcc
	v_lshlrev_b32_e32 v11, 24, v3
	v_mov_b32_e32 v12, 0x3b800000
	v_lshlrev_b32_e32 v6, 20, v6
	v_and_b32_e32 v11, 0x80000000, v11
	v_lshl_add_u32 v10, v10, 23, v12
	v_or3_b32 v6, v11, v10, v6
.LBB11_424:
	s_or_b64 exec, exec, s[6:7]
	s_nop 0
	v_mfma_f32_16x16x4f32 a[0:3], v2, v6, a[0:3]
	v_lshrrev_b32_e32 v6, 8, v7
	s_movk_i32 s4, 0x7f
	v_cmp_gt_i16_sdwa s[6:7], v6, s4 src0_sel:BYTE_0 src1_sel:DWORD
	s_mov_b64 s[4:5], 0
                                        ; implicit-def: $sgpr10
	s_and_saveexec_b64 s[8:9], s[6:7]
	s_xor_b64 s[6:7], exec, s[8:9]
	s_cbranch_execnz .LBB11_2473
; %bb.425:
	s_or_saveexec_b64 s[6:7], s[6:7]
	v_mov_b32_e32 v2, s10
	s_xor_b64 exec, exec, s[6:7]
	s_cbranch_execnz .LBB11_2476
.LBB11_426:
	s_or_b64 exec, exec, s[6:7]
	s_and_saveexec_b64 s[6:7], s[4:5]
	s_cbranch_execz .LBB11_428
.LBB11_427:
	v_bfe_u32 v2, v7, 8, 3
	v_ffbh_u32_e32 v11, v2
	v_min_u32_e32 v11, 32, v11
	v_lshrrev_b16_e32 v10, 3, v6
	v_subrev_u32_e32 v12, 28, v11
	v_and_b32_e32 v10, 15, v10
	v_lshlrev_b32_e32 v6, v12, v6
	v_sub_u32_e32 v11, 29, v11
	v_and_b32_e32 v6, 7, v6
	v_cmp_eq_u16_e32 vcc, 0, v10
	v_cndmask_b32_e32 v2, v2, v6, vcc
	v_cndmask_b32_e32 v6, v10, v11, vcc
	v_lshlrev_b32_e32 v10, 16, v7
	v_mov_b32_e32 v11, 0x3b800000
	v_lshlrev_b32_e32 v2, 20, v2
	v_and_b32_e32 v10, 0x80000000, v10
	v_lshl_add_u32 v6, v6, 23, v11
	v_or3_b32 v2, v10, v6, v2
.LBB11_428:
	s_or_b64 exec, exec, s[6:7]
	v_lshrrev_b32_e32 v6, 8, v3
	s_movk_i32 s4, 0x7f
	v_cmp_gt_i16_sdwa s[6:7], v6, s4 src0_sel:BYTE_0 src1_sel:DWORD
	s_mov_b64 s[4:5], 0
                                        ; implicit-def: $sgpr10
	s_and_saveexec_b64 s[8:9], s[6:7]
	s_xor_b64 s[6:7], exec, s[8:9]
	s_cbranch_execnz .LBB11_2477
; %bb.429:
	s_or_saveexec_b64 s[6:7], s[6:7]
	v_mov_b32_e32 v10, s10
	s_xor_b64 exec, exec, s[6:7]
	s_cbranch_execnz .LBB11_2480
.LBB11_430:
	s_or_b64 exec, exec, s[6:7]
	s_and_saveexec_b64 s[6:7], s[4:5]
	s_cbranch_execz .LBB11_432
.LBB11_431:
	v_bfe_u32 v10, v3, 8, 3
	v_ffbh_u32_e32 v12, v10
	v_min_u32_e32 v12, 32, v12
	v_lshrrev_b16_e32 v11, 3, v6
	v_subrev_u32_e32 v13, 28, v12
	v_and_b32_e32 v11, 15, v11
	v_lshlrev_b32_e32 v6, v13, v6
	v_sub_u32_e32 v12, 29, v12
	v_and_b32_e32 v6, 7, v6
	v_cmp_eq_u16_e32 vcc, 0, v11
	v_cndmask_b32_e32 v6, v10, v6, vcc
	v_cndmask_b32_e32 v10, v11, v12, vcc
	v_lshlrev_b32_e32 v11, 16, v3
	v_mov_b32_e32 v12, 0x3b800000
	v_lshlrev_b32_e32 v6, 20, v6
	v_and_b32_e32 v11, 0x80000000, v11
	v_lshl_add_u32 v10, v10, 23, v12
	v_or3_b32 v10, v11, v10, v6
.LBB11_432:
	s_or_b64 exec, exec, s[6:7]
	s_nop 0
	v_mfma_f32_16x16x4f32 a[0:3], v2, v10, a[0:3]
	s_movk_i32 s4, 0xff
	v_and_b32_sdwa v6, v7, s4 dst_sel:DWORD dst_unused:UNUSED_PAD src0_sel:WORD_1 src1_sel:DWORD
	s_movk_i32 s4, 0x7f
	v_cmp_lt_i16_e32 vcc, s4, v6
	s_mov_b64 s[4:5], 0
                                        ; implicit-def: $sgpr10
	s_and_saveexec_b64 s[6:7], vcc
	s_xor_b64 s[6:7], exec, s[6:7]
	s_cbranch_execnz .LBB11_2481
; %bb.433:
	s_or_saveexec_b64 s[6:7], s[6:7]
	v_mov_b32_e32 v2, s10
	s_xor_b64 exec, exec, s[6:7]
	s_cbranch_execnz .LBB11_2484
.LBB11_434:
	s_or_b64 exec, exec, s[6:7]
	s_and_saveexec_b64 s[6:7], s[4:5]
	s_cbranch_execz .LBB11_436
.LBB11_435:
	v_bfe_u32 v2, v7, 16, 3
	v_ffbh_u32_e32 v11, v2
	v_min_u32_e32 v11, 32, v11
	v_lshrrev_b32_e32 v6, 19, v7
	v_subrev_u32_e32 v12, 28, v11
	v_and_b32_e32 v6, 15, v6
	v_lshlrev_b32_sdwa v12, v12, v7 dst_sel:DWORD dst_unused:UNUSED_PAD src0_sel:DWORD src1_sel:WORD_1
	v_bfe_u32 v10, v7, 19, 4
	v_sub_u32_e32 v11, 29, v11
	v_and_b32_e32 v12, 7, v12
	v_cmp_eq_u16_e32 vcc, 0, v6
	v_cndmask_b32_e32 v2, v2, v12, vcc
	v_cndmask_b32_e32 v6, v10, v11, vcc
	v_lshlrev_b32_e32 v10, 8, v7
	v_mov_b32_e32 v11, 0x3b800000
	v_lshlrev_b32_e32 v2, 20, v2
	v_and_b32_e32 v10, 0x80000000, v10
	v_lshl_add_u32 v6, v6, 23, v11
	v_or3_b32 v2, v10, v6, v2
.LBB11_436:
	s_or_b64 exec, exec, s[6:7]
	s_movk_i32 s4, 0xff
	v_and_b32_sdwa v6, v3, s4 dst_sel:DWORD dst_unused:UNUSED_PAD src0_sel:WORD_1 src1_sel:DWORD
	s_movk_i32 s4, 0x7f
	v_cmp_lt_i16_e32 vcc, s4, v6
	s_mov_b64 s[4:5], 0
                                        ; implicit-def: $sgpr10
	s_and_saveexec_b64 s[6:7], vcc
	s_xor_b64 s[6:7], exec, s[6:7]
	s_cbranch_execnz .LBB11_2485
; %bb.437:
	s_or_saveexec_b64 s[6:7], s[6:7]
	v_mov_b32_e32 v10, s10
	s_xor_b64 exec, exec, s[6:7]
	s_cbranch_execnz .LBB11_2488
.LBB11_438:
	s_or_b64 exec, exec, s[6:7]
	s_and_saveexec_b64 s[6:7], s[4:5]
	s_cbranch_execz .LBB11_440
.LBB11_439:
	v_bfe_u32 v6, v3, 16, 3
	v_ffbh_u32_e32 v12, v6
	v_min_u32_e32 v12, 32, v12
	v_lshrrev_b32_e32 v10, 19, v3
	v_subrev_u32_e32 v13, 28, v12
	v_and_b32_e32 v10, 15, v10
	v_lshlrev_b32_sdwa v13, v13, v3 dst_sel:DWORD dst_unused:UNUSED_PAD src0_sel:DWORD src1_sel:WORD_1
	v_bfe_u32 v11, v3, 19, 4
	v_sub_u32_e32 v12, 29, v12
	v_and_b32_e32 v13, 7, v13
	v_cmp_eq_u16_e32 vcc, 0, v10
	v_cndmask_b32_e32 v6, v6, v13, vcc
	v_cndmask_b32_e32 v10, v11, v12, vcc
	v_lshlrev_b32_e32 v11, 8, v3
	v_mov_b32_e32 v12, 0x3b800000
	v_lshlrev_b32_e32 v6, 20, v6
	v_and_b32_e32 v11, 0x80000000, v11
	v_lshl_add_u32 v10, v10, 23, v12
	v_or3_b32 v10, v11, v10, v6
.LBB11_440:
	s_or_b64 exec, exec, s[6:7]
	s_nop 0
	v_mfma_f32_16x16x4f32 a[0:3], v2, v10, a[0:3]
	s_movk_i32 s4, 0x7f
	v_cmp_gt_i16_sdwa s[6:7], v7, s4 src0_sel:BYTE_3 src1_sel:DWORD
	s_mov_b64 s[4:5], 0
                                        ; implicit-def: $sgpr10
	s_and_saveexec_b64 s[8:9], s[6:7]
	s_xor_b64 s[6:7], exec, s[8:9]
	s_cbranch_execnz .LBB11_2489
; %bb.441:
	s_or_saveexec_b64 s[6:7], s[6:7]
	v_mov_b32_e32 v2, s10
	s_xor_b64 exec, exec, s[6:7]
	s_cbranch_execnz .LBB11_2492
.LBB11_442:
	s_or_b64 exec, exec, s[6:7]
	s_and_saveexec_b64 s[6:7], s[4:5]
	s_cbranch_execz .LBB11_444
.LBB11_443:
	v_bfe_u32 v2, v7, 24, 3
	v_ffbh_u32_e32 v12, v2
	v_min_u32_e32 v12, 32, v12
	v_lshrrev_b32_e32 v10, 27, v7
	v_subrev_u32_e32 v13, 28, v12
	v_and_b32_e32 v6, 0x80000000, v7
	v_and_b32_e32 v10, 15, v10
	v_bfe_u32 v11, v7, 27, 4
	v_lshlrev_b32_sdwa v7, v13, v7 dst_sel:DWORD dst_unused:UNUSED_PAD src0_sel:DWORD src1_sel:BYTE_3
	v_sub_u32_e32 v12, 29, v12
	v_and_b32_e32 v7, 7, v7
	v_cmp_eq_u16_e32 vcc, 0, v10
	v_cndmask_b32_e32 v2, v2, v7, vcc
	v_cndmask_b32_e32 v7, v11, v12, vcc
	v_mov_b32_e32 v10, 0x3b800000
	v_lshlrev_b32_e32 v2, 20, v2
	v_lshl_add_u32 v7, v7, 23, v10
	v_or3_b32 v2, v6, v7, v2
.LBB11_444:
	s_or_b64 exec, exec, s[6:7]
	s_movk_i32 s4, 0x7f
	v_cmp_gt_i16_sdwa s[6:7], v3, s4 src0_sel:BYTE_3 src1_sel:DWORD
	s_mov_b64 s[4:5], 0
                                        ; implicit-def: $sgpr10
	s_and_saveexec_b64 s[8:9], s[6:7]
	s_xor_b64 s[6:7], exec, s[8:9]
	s_cbranch_execnz .LBB11_2493
; %bb.445:
	s_or_saveexec_b64 s[6:7], s[6:7]
	v_mov_b32_e32 v6, s10
	s_xor_b64 exec, exec, s[6:7]
	s_cbranch_execnz .LBB11_2496
.LBB11_446:
	s_or_b64 exec, exec, s[6:7]
	s_and_saveexec_b64 s[6:7], s[4:5]
	s_cbranch_execz .LBB11_448
.LBB11_447:
	v_bfe_u32 v6, v3, 24, 3
	v_ffbh_u32_e32 v12, v6
	v_min_u32_e32 v12, 32, v12
	v_lshrrev_b32_e32 v10, 27, v3
	v_subrev_u32_e32 v13, 28, v12
	v_and_b32_e32 v7, 0x80000000, v3
	v_and_b32_e32 v10, 15, v10
	v_bfe_u32 v11, v3, 27, 4
	v_lshlrev_b32_sdwa v3, v13, v3 dst_sel:DWORD dst_unused:UNUSED_PAD src0_sel:DWORD src1_sel:BYTE_3
	v_sub_u32_e32 v12, 29, v12
	v_and_b32_e32 v3, 7, v3
	v_cmp_eq_u16_e32 vcc, 0, v10
	v_cndmask_b32_e32 v3, v6, v3, vcc
	v_cndmask_b32_e32 v6, v11, v12, vcc
	v_mov_b32_e32 v10, 0x3b800000
	v_lshlrev_b32_e32 v3, 20, v3
	v_lshl_add_u32 v6, v6, 23, v10
	v_or3_b32 v6, v7, v6, v3
.LBB11_448:
	s_or_b64 exec, exec, s[6:7]
	s_nop 0
	v_mfma_f32_16x16x4f32 a[0:3], v2, v6, a[0:3]
	s_movk_i32 s4, 0x7f
	v_cmp_gt_i16_sdwa s[6:7], v8, s4 src0_sel:BYTE_0 src1_sel:DWORD
	s_mov_b64 s[4:5], 0
                                        ; implicit-def: $sgpr10
	s_and_saveexec_b64 s[8:9], s[6:7]
	s_xor_b64 s[6:7], exec, s[8:9]
	s_cbranch_execnz .LBB11_2497
; %bb.449:
	s_or_saveexec_b64 s[6:7], s[6:7]
	v_mov_b32_e32 v2, s10
	s_xor_b64 exec, exec, s[6:7]
	s_cbranch_execnz .LBB11_2500
.LBB11_450:
	s_or_b64 exec, exec, s[6:7]
	s_and_saveexec_b64 s[6:7], s[4:5]
	s_cbranch_execz .LBB11_452
.LBB11_451:
	v_and_b32_e32 v2, 7, v8
	v_ffbh_u32_e32 v6, v2
	v_min_u32_e32 v6, 32, v6
	v_lshrrev_b16_e32 v3, 3, v8
	v_subrev_u32_e32 v7, 28, v6
	v_and_b32_e32 v3, 15, v3
	v_lshlrev_b32_e32 v7, v7, v8
	v_sub_u32_e32 v6, 29, v6
	v_and_b32_e32 v7, 7, v7
	v_cmp_eq_u16_e32 vcc, 0, v3
	v_cndmask_b32_e32 v2, v2, v7, vcc
	v_cndmask_b32_e32 v3, v3, v6, vcc
	v_lshlrev_b32_e32 v6, 24, v8
	v_mov_b32_e32 v7, 0x3b800000
	v_lshlrev_b32_e32 v2, 20, v2
	v_and_b32_e32 v6, 0x80000000, v6
	v_lshl_add_u32 v3, v3, 23, v7
	v_or3_b32 v2, v6, v3, v2
.LBB11_452:
	s_or_b64 exec, exec, s[6:7]
	s_movk_i32 s4, 0x7f
	v_cmp_gt_i16_sdwa s[6:7], v4, s4 src0_sel:BYTE_0 src1_sel:DWORD
	s_mov_b64 s[4:5], 0
                                        ; implicit-def: $sgpr10
	s_and_saveexec_b64 s[8:9], s[6:7]
	s_xor_b64 s[6:7], exec, s[8:9]
	s_cbranch_execnz .LBB11_2501
; %bb.453:
	s_or_saveexec_b64 s[6:7], s[6:7]
	v_mov_b32_e32 v3, s10
	s_xor_b64 exec, exec, s[6:7]
	s_cbranch_execnz .LBB11_2504
.LBB11_454:
	s_or_b64 exec, exec, s[6:7]
	s_and_saveexec_b64 s[6:7], s[4:5]
	s_cbranch_execz .LBB11_456
.LBB11_455:
	v_and_b32_e32 v3, 7, v4
	v_ffbh_u32_e32 v7, v3
	v_min_u32_e32 v7, 32, v7
	v_lshrrev_b16_e32 v6, 3, v4
	v_subrev_u32_e32 v10, 28, v7
	v_and_b32_e32 v6, 15, v6
	v_lshlrev_b32_e32 v10, v10, v4
	v_sub_u32_e32 v7, 29, v7
	v_and_b32_e32 v10, 7, v10
	v_cmp_eq_u16_e32 vcc, 0, v6
	v_cndmask_b32_e32 v3, v3, v10, vcc
	v_cndmask_b32_e32 v6, v6, v7, vcc
	v_lshlrev_b32_e32 v7, 24, v4
	v_mov_b32_e32 v10, 0x3b800000
	v_lshlrev_b32_e32 v3, 20, v3
	v_and_b32_e32 v7, 0x80000000, v7
	v_lshl_add_u32 v6, v6, 23, v10
	v_or3_b32 v3, v7, v6, v3
.LBB11_456:
	s_or_b64 exec, exec, s[6:7]
	s_nop 0
	v_mfma_f32_16x16x4f32 a[0:3], v2, v3, a[0:3]
	v_lshrrev_b32_e32 v3, 8, v8
	s_movk_i32 s4, 0x7f
	v_cmp_gt_i16_sdwa s[6:7], v3, s4 src0_sel:BYTE_0 src1_sel:DWORD
	s_mov_b64 s[4:5], 0
                                        ; implicit-def: $sgpr10
	s_and_saveexec_b64 s[8:9], s[6:7]
	s_xor_b64 s[6:7], exec, s[8:9]
	s_cbranch_execnz .LBB11_2505
; %bb.457:
	s_or_saveexec_b64 s[6:7], s[6:7]
	v_mov_b32_e32 v2, s10
	s_xor_b64 exec, exec, s[6:7]
	s_cbranch_execnz .LBB11_2508
.LBB11_458:
	s_or_b64 exec, exec, s[6:7]
	s_and_saveexec_b64 s[6:7], s[4:5]
	s_cbranch_execz .LBB11_460
.LBB11_459:
	v_bfe_u32 v2, v8, 8, 3
	v_ffbh_u32_e32 v7, v2
	v_min_u32_e32 v7, 32, v7
	v_lshrrev_b16_e32 v6, 3, v3
	v_subrev_u32_e32 v10, 28, v7
	v_and_b32_e32 v6, 15, v6
	v_lshlrev_b32_e32 v3, v10, v3
	v_sub_u32_e32 v7, 29, v7
	v_and_b32_e32 v3, 7, v3
	v_cmp_eq_u16_e32 vcc, 0, v6
	v_cndmask_b32_e32 v2, v2, v3, vcc
	v_cndmask_b32_e32 v3, v6, v7, vcc
	v_lshlrev_b32_e32 v6, 16, v8
	v_mov_b32_e32 v7, 0x3b800000
	v_lshlrev_b32_e32 v2, 20, v2
	v_and_b32_e32 v6, 0x80000000, v6
	v_lshl_add_u32 v3, v3, 23, v7
	v_or3_b32 v2, v6, v3, v2
.LBB11_460:
	s_or_b64 exec, exec, s[6:7]
	v_lshrrev_b32_e32 v3, 8, v4
	s_movk_i32 s4, 0x7f
	v_cmp_gt_i16_sdwa s[6:7], v3, s4 src0_sel:BYTE_0 src1_sel:DWORD
	s_mov_b64 s[4:5], 0
                                        ; implicit-def: $sgpr10
	s_and_saveexec_b64 s[8:9], s[6:7]
	s_xor_b64 s[6:7], exec, s[8:9]
	s_cbranch_execnz .LBB11_2509
; %bb.461:
	s_or_saveexec_b64 s[6:7], s[6:7]
	v_mov_b32_e32 v6, s10
	s_xor_b64 exec, exec, s[6:7]
	s_cbranch_execnz .LBB11_2512
.LBB11_462:
	s_or_b64 exec, exec, s[6:7]
	s_and_saveexec_b64 s[6:7], s[4:5]
	s_cbranch_execz .LBB11_464
.LBB11_463:
	v_bfe_u32 v6, v4, 8, 3
	v_ffbh_u32_e32 v10, v6
	v_min_u32_e32 v10, 32, v10
	v_lshrrev_b16_e32 v7, 3, v3
	v_subrev_u32_e32 v11, 28, v10
	v_and_b32_e32 v7, 15, v7
	v_lshlrev_b32_e32 v3, v11, v3
	v_sub_u32_e32 v10, 29, v10
	v_and_b32_e32 v3, 7, v3
	v_cmp_eq_u16_e32 vcc, 0, v7
	v_cndmask_b32_e32 v3, v6, v3, vcc
	v_cndmask_b32_e32 v6, v7, v10, vcc
	v_lshlrev_b32_e32 v7, 16, v4
	v_mov_b32_e32 v10, 0x3b800000
	v_lshlrev_b32_e32 v3, 20, v3
	v_and_b32_e32 v7, 0x80000000, v7
	v_lshl_add_u32 v6, v6, 23, v10
	v_or3_b32 v6, v7, v6, v3
.LBB11_464:
	s_or_b64 exec, exec, s[6:7]
	s_nop 0
	v_mfma_f32_16x16x4f32 a[0:3], v2, v6, a[0:3]
	s_movk_i32 s4, 0xff
	v_and_b32_sdwa v3, v8, s4 dst_sel:DWORD dst_unused:UNUSED_PAD src0_sel:WORD_1 src1_sel:DWORD
	s_movk_i32 s4, 0x7f
	v_cmp_lt_i16_e32 vcc, s4, v3
	s_mov_b64 s[4:5], 0
                                        ; implicit-def: $sgpr10
	s_and_saveexec_b64 s[6:7], vcc
	s_xor_b64 s[6:7], exec, s[6:7]
	s_cbranch_execnz .LBB11_2513
; %bb.465:
	s_or_saveexec_b64 s[6:7], s[6:7]
	v_mov_b32_e32 v2, s10
	s_xor_b64 exec, exec, s[6:7]
	s_cbranch_execnz .LBB11_2516
.LBB11_466:
	s_or_b64 exec, exec, s[6:7]
	s_and_saveexec_b64 s[6:7], s[4:5]
	s_cbranch_execz .LBB11_468
.LBB11_467:
	v_bfe_u32 v2, v8, 16, 3
	v_ffbh_u32_e32 v7, v2
	v_min_u32_e32 v7, 32, v7
	v_lshrrev_b32_e32 v3, 19, v8
	v_subrev_u32_e32 v10, 28, v7
	v_and_b32_e32 v3, 15, v3
	v_lshlrev_b32_sdwa v10, v10, v8 dst_sel:DWORD dst_unused:UNUSED_PAD src0_sel:DWORD src1_sel:WORD_1
	v_bfe_u32 v6, v8, 19, 4
	v_sub_u32_e32 v7, 29, v7
	v_and_b32_e32 v10, 7, v10
	v_cmp_eq_u16_e32 vcc, 0, v3
	v_cndmask_b32_e32 v2, v2, v10, vcc
	v_cndmask_b32_e32 v3, v6, v7, vcc
	v_lshlrev_b32_e32 v6, 8, v8
	v_mov_b32_e32 v7, 0x3b800000
	v_lshlrev_b32_e32 v2, 20, v2
	v_and_b32_e32 v6, 0x80000000, v6
	v_lshl_add_u32 v3, v3, 23, v7
	v_or3_b32 v2, v6, v3, v2
.LBB11_468:
	s_or_b64 exec, exec, s[6:7]
	s_movk_i32 s4, 0xff
	v_and_b32_sdwa v3, v4, s4 dst_sel:DWORD dst_unused:UNUSED_PAD src0_sel:WORD_1 src1_sel:DWORD
	s_movk_i32 s4, 0x7f
	v_cmp_lt_i16_e32 vcc, s4, v3
	s_mov_b64 s[4:5], 0
                                        ; implicit-def: $sgpr10
	s_and_saveexec_b64 s[6:7], vcc
	s_xor_b64 s[6:7], exec, s[6:7]
	s_cbranch_execnz .LBB11_2517
; %bb.469:
	s_or_saveexec_b64 s[6:7], s[6:7]
	v_mov_b32_e32 v6, s10
	s_xor_b64 exec, exec, s[6:7]
	s_cbranch_execnz .LBB11_2520
.LBB11_470:
	s_or_b64 exec, exec, s[6:7]
	s_and_saveexec_b64 s[6:7], s[4:5]
	s_cbranch_execz .LBB11_472
.LBB11_471:
	v_bfe_u32 v3, v4, 16, 3
	v_ffbh_u32_e32 v10, v3
	v_min_u32_e32 v10, 32, v10
	v_lshrrev_b32_e32 v6, 19, v4
	v_subrev_u32_e32 v11, 28, v10
	v_and_b32_e32 v6, 15, v6
	v_lshlrev_b32_sdwa v11, v11, v4 dst_sel:DWORD dst_unused:UNUSED_PAD src0_sel:DWORD src1_sel:WORD_1
	v_bfe_u32 v7, v4, 19, 4
	v_sub_u32_e32 v10, 29, v10
	v_and_b32_e32 v11, 7, v11
	v_cmp_eq_u16_e32 vcc, 0, v6
	v_cndmask_b32_e32 v3, v3, v11, vcc
	v_cndmask_b32_e32 v6, v7, v10, vcc
	v_lshlrev_b32_e32 v7, 8, v4
	v_mov_b32_e32 v10, 0x3b800000
	v_lshlrev_b32_e32 v3, 20, v3
	v_and_b32_e32 v7, 0x80000000, v7
	v_lshl_add_u32 v6, v6, 23, v10
	v_or3_b32 v6, v7, v6, v3
.LBB11_472:
	s_or_b64 exec, exec, s[6:7]
	s_nop 0
	v_mfma_f32_16x16x4f32 a[0:3], v2, v6, a[0:3]
	s_movk_i32 s4, 0x7f
	v_cmp_gt_i16_sdwa s[6:7], v8, s4 src0_sel:BYTE_3 src1_sel:DWORD
	s_mov_b64 s[4:5], 0
                                        ; implicit-def: $sgpr10
	s_and_saveexec_b64 s[8:9], s[6:7]
	s_xor_b64 s[6:7], exec, s[8:9]
	s_cbranch_execnz .LBB11_2521
; %bb.473:
	s_or_saveexec_b64 s[6:7], s[6:7]
	v_mov_b32_e32 v2, s10
	s_xor_b64 exec, exec, s[6:7]
	s_cbranch_execnz .LBB11_2524
.LBB11_474:
	s_or_b64 exec, exec, s[6:7]
	s_and_saveexec_b64 s[6:7], s[4:5]
	s_cbranch_execz .LBB11_476
.LBB11_475:
	v_bfe_u32 v2, v8, 24, 3
	v_ffbh_u32_e32 v10, v2
	v_min_u32_e32 v10, 32, v10
	v_lshrrev_b32_e32 v6, 27, v8
	v_subrev_u32_e32 v11, 28, v10
	v_and_b32_e32 v3, 0x80000000, v8
	v_and_b32_e32 v6, 15, v6
	v_bfe_u32 v7, v8, 27, 4
	v_lshlrev_b32_sdwa v8, v11, v8 dst_sel:DWORD dst_unused:UNUSED_PAD src0_sel:DWORD src1_sel:BYTE_3
	v_sub_u32_e32 v10, 29, v10
	v_and_b32_e32 v8, 7, v8
	v_cmp_eq_u16_e32 vcc, 0, v6
	v_cndmask_b32_e32 v2, v2, v8, vcc
	v_cndmask_b32_e32 v6, v7, v10, vcc
	v_mov_b32_e32 v7, 0x3b800000
	v_lshlrev_b32_e32 v2, 20, v2
	v_lshl_add_u32 v6, v6, 23, v7
	v_or3_b32 v2, v3, v6, v2
.LBB11_476:
	s_or_b64 exec, exec, s[6:7]
	s_movk_i32 s4, 0x7f
	v_cmp_gt_i16_sdwa s[6:7], v4, s4 src0_sel:BYTE_3 src1_sel:DWORD
	s_mov_b64 s[4:5], 0
                                        ; implicit-def: $sgpr10
	s_and_saveexec_b64 s[8:9], s[6:7]
	s_xor_b64 s[6:7], exec, s[8:9]
	s_cbranch_execnz .LBB11_2525
; %bb.477:
	s_or_saveexec_b64 s[6:7], s[6:7]
	v_mov_b32_e32 v3, s10
	s_xor_b64 exec, exec, s[6:7]
	s_cbranch_execnz .LBB11_2528
.LBB11_478:
	s_or_b64 exec, exec, s[6:7]
	s_and_saveexec_b64 s[6:7], s[4:5]
	s_cbranch_execz .LBB11_480
.LBB11_479:
	v_bfe_u32 v3, v4, 24, 3
	v_ffbh_u32_e32 v10, v3
	v_min_u32_e32 v10, 32, v10
	v_lshrrev_b32_e32 v7, 27, v4
	v_subrev_u32_e32 v11, 28, v10
	v_and_b32_e32 v6, 0x80000000, v4
	v_and_b32_e32 v7, 15, v7
	v_bfe_u32 v8, v4, 27, 4
	v_lshlrev_b32_sdwa v4, v11, v4 dst_sel:DWORD dst_unused:UNUSED_PAD src0_sel:DWORD src1_sel:BYTE_3
	v_sub_u32_e32 v10, 29, v10
	v_and_b32_e32 v4, 7, v4
	v_cmp_eq_u16_e32 vcc, 0, v7
	v_cndmask_b32_e32 v3, v3, v4, vcc
	v_cndmask_b32_e32 v4, v8, v10, vcc
	v_mov_b32_e32 v7, 0x3b800000
	v_lshlrev_b32_e32 v3, 20, v3
	v_lshl_add_u32 v4, v4, 23, v7
	v_or3_b32 v3, v6, v4, v3
.LBB11_480:
	s_or_b64 exec, exec, s[6:7]
	s_nop 0
	v_mfma_f32_16x16x4f32 a[0:3], v2, v3, a[0:3]
	s_movk_i32 s4, 0x7f
	v_cmp_gt_i16_sdwa s[6:7], v9, s4 src0_sel:BYTE_0 src1_sel:DWORD
	s_mov_b64 s[4:5], 0
                                        ; implicit-def: $sgpr10
	s_and_saveexec_b64 s[8:9], s[6:7]
	s_xor_b64 s[6:7], exec, s[8:9]
	s_cbranch_execnz .LBB11_2529
; %bb.481:
	s_or_saveexec_b64 s[6:7], s[6:7]
	v_mov_b32_e32 v2, s10
	s_xor_b64 exec, exec, s[6:7]
	s_cbranch_execnz .LBB11_2532
.LBB11_482:
	s_or_b64 exec, exec, s[6:7]
	s_and_saveexec_b64 s[6:7], s[4:5]
	s_cbranch_execz .LBB11_484
.LBB11_483:
	v_mov_b32_e32 v2, 8
	v_and_b32_e32 v3, 7, v9
	v_lshrrev_b32_sdwa v2, v2, v9 dst_sel:BYTE_1 dst_unused:UNUSED_PAD src0_sel:DWORD src1_sel:DWORD
	v_ffbh_u32_e32 v4, v3
	v_or_b32_sdwa v2, v9, v2 dst_sel:DWORD dst_unused:UNUSED_PAD src0_sel:BYTE_0 src1_sel:DWORD
	v_min_u32_e32 v4, 32, v4
	v_lshrrev_b16_e32 v2, 3, v2
	v_subrev_u32_e32 v6, 28, v4
	v_and_b32_e32 v2, 15, v2
	v_lshlrev_b32_e32 v6, v6, v9
	v_sub_u32_e32 v4, 29, v4
	v_and_b32_e32 v6, 7, v6
	v_cmp_eq_u16_e32 vcc, 0, v2
	v_cndmask_b32_e32 v3, v3, v6, vcc
	v_cndmask_b32_e32 v2, v2, v4, vcc
	v_lshlrev_b32_e32 v4, 24, v9
	v_mov_b32_e32 v6, 0x3b800000
	v_lshlrev_b32_e32 v3, 20, v3
	v_and_b32_e32 v4, 0x80000000, v4
	v_lshl_add_u32 v2, v2, 23, v6
	v_or3_b32 v2, v4, v2, v3
.LBB11_484:
	s_or_b64 exec, exec, s[6:7]
	s_movk_i32 s4, 0x7f
	v_cmp_gt_i16_sdwa s[6:7], v5, s4 src0_sel:BYTE_0 src1_sel:DWORD
	s_mov_b64 s[4:5], 0
                                        ; implicit-def: $sgpr10
	s_and_saveexec_b64 s[8:9], s[6:7]
	s_xor_b64 s[6:7], exec, s[8:9]
	s_cbranch_execnz .LBB11_2533
; %bb.485:
	s_or_saveexec_b64 s[6:7], s[6:7]
	v_mov_b32_e32 v3, s10
	s_xor_b64 exec, exec, s[6:7]
	s_cbranch_execnz .LBB11_2536
.LBB11_486:
	s_or_b64 exec, exec, s[6:7]
	s_and_saveexec_b64 s[6:7], s[4:5]
	s_cbranch_execz .LBB11_488
.LBB11_487:
	v_mov_b32_e32 v3, 8
	v_and_b32_e32 v4, 7, v5
	v_lshrrev_b32_sdwa v3, v3, v5 dst_sel:BYTE_1 dst_unused:UNUSED_PAD src0_sel:DWORD src1_sel:DWORD
	v_ffbh_u32_e32 v6, v4
	v_or_b32_sdwa v3, v5, v3 dst_sel:DWORD dst_unused:UNUSED_PAD src0_sel:BYTE_0 src1_sel:DWORD
	v_min_u32_e32 v6, 32, v6
	v_lshrrev_b16_e32 v3, 3, v3
	v_subrev_u32_e32 v7, 28, v6
	v_and_b32_e32 v3, 15, v3
	v_lshlrev_b32_e32 v7, v7, v5
	v_sub_u32_e32 v6, 29, v6
	v_and_b32_e32 v7, 7, v7
	v_cmp_eq_u16_e32 vcc, 0, v3
	v_cndmask_b32_e32 v4, v4, v7, vcc
	v_cndmask_b32_e32 v3, v3, v6, vcc
	v_lshlrev_b32_e32 v6, 24, v5
	v_mov_b32_e32 v7, 0x3b800000
	v_lshlrev_b32_e32 v4, 20, v4
	v_and_b32_e32 v6, 0x80000000, v6
	v_lshl_add_u32 v3, v3, 23, v7
	v_or3_b32 v3, v6, v3, v4
.LBB11_488:
	s_or_b64 exec, exec, s[6:7]
	s_nop 0
	v_mfma_f32_16x16x4f32 a[0:3], v2, v3, a[0:3]
	v_lshrrev_b32_e32 v3, 8, v9
	s_movk_i32 s4, 0x7f
	v_cmp_gt_i16_sdwa s[6:7], v3, s4 src0_sel:BYTE_0 src1_sel:DWORD
	s_mov_b64 s[4:5], 0
                                        ; implicit-def: $sgpr10
	s_and_saveexec_b64 s[8:9], s[6:7]
	s_xor_b64 s[6:7], exec, s[8:9]
	s_cbranch_execnz .LBB11_2537
; %bb.489:
	s_or_saveexec_b64 s[6:7], s[6:7]
	v_mov_b32_e32 v2, s10
	s_xor_b64 exec, exec, s[6:7]
	s_cbranch_execnz .LBB11_2540
.LBB11_490:
	s_or_b64 exec, exec, s[6:7]
	s_and_saveexec_b64 s[6:7], s[4:5]
	s_cbranch_execz .LBB11_492
.LBB11_491:
	v_bfe_u32 v2, v9, 8, 3
	v_ffbh_u32_e32 v6, v2
	v_min_u32_e32 v6, 32, v6
	v_lshrrev_b16_e32 v4, 3, v3
	v_subrev_u32_e32 v7, 28, v6
	v_and_b32_e32 v4, 15, v4
	v_lshlrev_b32_e32 v3, v7, v3
	v_sub_u32_e32 v6, 29, v6
	v_and_b32_e32 v3, 7, v3
	v_cmp_eq_u16_e32 vcc, 0, v4
	v_cndmask_b32_e32 v2, v2, v3, vcc
	v_cndmask_b32_e32 v3, v4, v6, vcc
	v_lshlrev_b32_e32 v4, 16, v9
	v_mov_b32_e32 v6, 0x3b800000
	v_lshlrev_b32_e32 v2, 20, v2
	v_and_b32_e32 v4, 0x80000000, v4
	v_lshl_add_u32 v3, v3, 23, v6
	v_or3_b32 v2, v4, v3, v2
.LBB11_492:
	s_or_b64 exec, exec, s[6:7]
	v_lshrrev_b32_e32 v3, 8, v5
	s_movk_i32 s4, 0x7f
	v_cmp_gt_i16_sdwa s[6:7], v3, s4 src0_sel:BYTE_0 src1_sel:DWORD
	s_mov_b64 s[4:5], 0
                                        ; implicit-def: $sgpr10
	s_and_saveexec_b64 s[8:9], s[6:7]
	s_xor_b64 s[6:7], exec, s[8:9]
	s_cbranch_execnz .LBB11_2541
; %bb.493:
	s_or_saveexec_b64 s[6:7], s[6:7]
	v_mov_b32_e32 v4, s10
	s_xor_b64 exec, exec, s[6:7]
	s_cbranch_execnz .LBB11_2544
.LBB11_494:
	s_or_b64 exec, exec, s[6:7]
	s_and_saveexec_b64 s[6:7], s[4:5]
	s_cbranch_execz .LBB11_496
.LBB11_495:
	v_bfe_u32 v4, v5, 8, 3
	v_ffbh_u32_e32 v7, v4
	v_min_u32_e32 v7, 32, v7
	v_lshrrev_b16_e32 v6, 3, v3
	v_subrev_u32_e32 v8, 28, v7
	v_and_b32_e32 v6, 15, v6
	v_lshlrev_b32_e32 v3, v8, v3
	v_sub_u32_e32 v7, 29, v7
	v_and_b32_e32 v3, 7, v3
	v_cmp_eq_u16_e32 vcc, 0, v6
	v_cndmask_b32_e32 v3, v4, v3, vcc
	v_cndmask_b32_e32 v4, v6, v7, vcc
	v_lshlrev_b32_e32 v6, 16, v5
	v_mov_b32_e32 v7, 0x3b800000
	v_lshlrev_b32_e32 v3, 20, v3
	v_and_b32_e32 v6, 0x80000000, v6
	v_lshl_add_u32 v4, v4, 23, v7
	v_or3_b32 v4, v6, v4, v3
.LBB11_496:
	s_or_b64 exec, exec, s[6:7]
	s_nop 0
	v_mfma_f32_16x16x4f32 a[0:3], v2, v4, a[0:3]
	s_movk_i32 s4, 0xff
	v_and_b32_sdwa v3, v9, s4 dst_sel:DWORD dst_unused:UNUSED_PAD src0_sel:WORD_1 src1_sel:DWORD
	s_movk_i32 s4, 0x7f
	v_cmp_lt_i16_e32 vcc, s4, v3
	s_mov_b64 s[4:5], 0
                                        ; implicit-def: $sgpr10
	s_and_saveexec_b64 s[6:7], vcc
	s_xor_b64 s[6:7], exec, s[6:7]
	s_cbranch_execnz .LBB11_2545
; %bb.497:
	s_or_saveexec_b64 s[6:7], s[6:7]
	v_mov_b32_e32 v2, s10
	s_xor_b64 exec, exec, s[6:7]
	s_cbranch_execnz .LBB11_2548
.LBB11_498:
	s_or_b64 exec, exec, s[6:7]
	s_and_saveexec_b64 s[6:7], s[4:5]
	s_cbranch_execz .LBB11_500
.LBB11_499:
	v_bfe_u32 v2, v9, 16, 3
	v_ffbh_u32_e32 v6, v2
	v_min_u32_e32 v6, 32, v6
	v_lshrrev_b32_e32 v3, 19, v9
	v_subrev_u32_e32 v7, 28, v6
	v_and_b32_e32 v3, 15, v3
	v_lshlrev_b32_sdwa v7, v7, v9 dst_sel:DWORD dst_unused:UNUSED_PAD src0_sel:DWORD src1_sel:WORD_1
	v_bfe_u32 v4, v9, 19, 4
	v_sub_u32_e32 v6, 29, v6
	v_and_b32_e32 v7, 7, v7
	v_cmp_eq_u16_e32 vcc, 0, v3
	v_cndmask_b32_e32 v2, v2, v7, vcc
	v_cndmask_b32_e32 v3, v4, v6, vcc
	v_lshlrev_b32_e32 v4, 8, v9
	v_mov_b32_e32 v6, 0x3b800000
	v_lshlrev_b32_e32 v2, 20, v2
	v_and_b32_e32 v4, 0x80000000, v4
	v_lshl_add_u32 v3, v3, 23, v6
	v_or3_b32 v2, v4, v3, v2
.LBB11_500:
	s_or_b64 exec, exec, s[6:7]
	s_movk_i32 s4, 0xff
	v_and_b32_sdwa v3, v5, s4 dst_sel:DWORD dst_unused:UNUSED_PAD src0_sel:WORD_1 src1_sel:DWORD
	s_movk_i32 s4, 0x7f
	v_cmp_lt_i16_e32 vcc, s4, v3
	s_mov_b64 s[4:5], 0
                                        ; implicit-def: $sgpr10
	s_and_saveexec_b64 s[6:7], vcc
	s_xor_b64 s[6:7], exec, s[6:7]
	s_cbranch_execnz .LBB11_2549
; %bb.501:
	s_or_saveexec_b64 s[6:7], s[6:7]
	v_mov_b32_e32 v4, s10
	s_xor_b64 exec, exec, s[6:7]
	s_cbranch_execnz .LBB11_2552
.LBB11_502:
	s_or_b64 exec, exec, s[6:7]
	s_and_saveexec_b64 s[6:7], s[4:5]
	s_cbranch_execz .LBB11_504
.LBB11_503:
	v_bfe_u32 v3, v5, 16, 3
	v_ffbh_u32_e32 v7, v3
	v_min_u32_e32 v7, 32, v7
	v_lshrrev_b32_e32 v4, 19, v5
	v_subrev_u32_e32 v8, 28, v7
	v_and_b32_e32 v4, 15, v4
	v_lshlrev_b32_sdwa v8, v8, v5 dst_sel:DWORD dst_unused:UNUSED_PAD src0_sel:DWORD src1_sel:WORD_1
	v_bfe_u32 v6, v5, 19, 4
	v_sub_u32_e32 v7, 29, v7
	v_and_b32_e32 v8, 7, v8
	v_cmp_eq_u16_e32 vcc, 0, v4
	v_cndmask_b32_e32 v3, v3, v8, vcc
	v_cndmask_b32_e32 v4, v6, v7, vcc
	v_lshlrev_b32_e32 v6, 8, v5
	v_mov_b32_e32 v7, 0x3b800000
	v_lshlrev_b32_e32 v3, 20, v3
	v_and_b32_e32 v6, 0x80000000, v6
	v_lshl_add_u32 v4, v4, 23, v7
	v_or3_b32 v4, v6, v4, v3
.LBB11_504:
	s_or_b64 exec, exec, s[6:7]
	s_nop 0
	v_mfma_f32_16x16x4f32 a[0:3], v2, v4, a[0:3]
	s_movk_i32 s4, 0x7f
	v_cmp_gt_i16_sdwa s[6:7], v9, s4 src0_sel:BYTE_3 src1_sel:DWORD
	s_mov_b64 s[4:5], 0
                                        ; implicit-def: $sgpr10
	s_and_saveexec_b64 s[8:9], s[6:7]
	s_xor_b64 s[6:7], exec, s[8:9]
	s_cbranch_execnz .LBB11_2553
; %bb.505:
	s_or_saveexec_b64 s[6:7], s[6:7]
	v_mov_b32_e32 v2, s10
	s_xor_b64 exec, exec, s[6:7]
	s_cbranch_execnz .LBB11_2556
.LBB11_506:
	s_or_b64 exec, exec, s[6:7]
	s_and_saveexec_b64 s[6:7], s[4:5]
	s_cbranch_execz .LBB11_508
.LBB11_507:
	v_bfe_u32 v2, v9, 24, 3
	v_ffbh_u32_e32 v7, v2
	v_min_u32_e32 v7, 32, v7
	v_lshrrev_b32_e32 v4, 27, v9
	v_subrev_u32_e32 v8, 28, v7
	v_and_b32_e32 v4, 15, v4
	v_lshlrev_b32_sdwa v8, v8, v9 dst_sel:DWORD dst_unused:UNUSED_PAD src0_sel:DWORD src1_sel:BYTE_3
	v_bfe_u32 v6, v9, 27, 4
	v_sub_u32_e32 v7, 29, v7
	v_and_b32_e32 v8, 7, v8
	v_cmp_eq_u16_e32 vcc, 0, v4
	v_cndmask_b32_e32 v2, v2, v8, vcc
	v_cndmask_b32_e32 v4, v6, v7, vcc
	v_mov_b32_e32 v6, 0x3b800000
	v_and_b32_e32 v3, 0x80000000, v9
	v_lshlrev_b32_e32 v2, 20, v2
	v_lshl_add_u32 v4, v4, 23, v6
	v_or3_b32 v2, v3, v4, v2
.LBB11_508:
	s_or_b64 exec, exec, s[6:7]
	s_movk_i32 s4, 0x7f
	v_cmp_gt_i16_sdwa s[6:7], v5, s4 src0_sel:BYTE_3 src1_sel:DWORD
	s_mov_b64 s[4:5], 0
                                        ; implicit-def: $sgpr10
	s_and_saveexec_b64 s[8:9], s[6:7]
	s_xor_b64 s[6:7], exec, s[8:9]
	s_cbranch_execnz .LBB11_2557
; %bb.509:
	s_or_saveexec_b64 s[6:7], s[6:7]
	v_mov_b32_e32 v3, s10
	s_xor_b64 exec, exec, s[6:7]
	s_cbranch_execnz .LBB11_2560
.LBB11_510:
	s_or_b64 exec, exec, s[6:7]
	s_and_saveexec_b64 s[6:7], s[4:5]
	s_cbranch_execz .LBB11_512
.LBB11_511:
	v_bfe_u32 v3, v5, 24, 3
	v_ffbh_u32_e32 v8, v3
	v_min_u32_e32 v8, 32, v8
	v_lshrrev_b32_e32 v6, 27, v5
	v_subrev_u32_e32 v9, 28, v8
	v_and_b32_e32 v4, 0x80000000, v5
	v_and_b32_e32 v6, 15, v6
	v_bfe_u32 v7, v5, 27, 4
	v_lshlrev_b32_sdwa v5, v9, v5 dst_sel:DWORD dst_unused:UNUSED_PAD src0_sel:DWORD src1_sel:BYTE_3
	v_sub_u32_e32 v8, 29, v8
	v_and_b32_e32 v5, 7, v5
	v_cmp_eq_u16_e32 vcc, 0, v6
	v_cndmask_b32_e32 v3, v3, v5, vcc
	v_cndmask_b32_e32 v5, v7, v8, vcc
	v_mov_b32_e32 v6, 0x3b800000
	v_lshlrev_b32_e32 v3, 20, v3
	v_lshl_add_u32 v5, v5, 23, v6
	v_or3_b32 v3, v4, v5, v3
.LBB11_512:
	s_or_b64 exec, exec, s[6:7]
	s_nop 0
	v_mfma_f32_16x16x4f32 a[0:3], v2, v3, a[0:3]
	s_movk_i32 s4, 0x7f
                                        ; implicit-def: $sgpr10
	s_nop 7
	s_nop 1
	flat_store_dwordx4 v[18:19], a[0:3] offset:144
	flat_load_dwordx4 v[20:23], v[0:1] offset:16
	s_nop 0
	flat_load_dwordx2 v[18:19], v[0:1] offset:32
	s_waitcnt vmcnt(0) lgkmcnt(0)
	flat_load_dwordx4 v[14:17], v[20:21] offset:32
	flat_load_dwordx4 v[6:9], v[20:21] offset:48
	;; [unrolled: 1-line block ×4, first 2 shown]
	s_waitcnt vmcnt(0) lgkmcnt(0)
	v_cmp_gt_i16_sdwa s[6:7], v14, s4 src0_sel:BYTE_0 src1_sel:DWORD
	s_mov_b64 s[4:5], 0
	s_and_saveexec_b64 s[8:9], s[6:7]
	s_xor_b64 s[6:7], exec, s[8:9]
	s_cbranch_execnz .LBB11_2561
; %bb.513:
	s_or_saveexec_b64 s[6:7], s[6:7]
	v_mov_b32_e32 v20, s10
	s_xor_b64 exec, exec, s[6:7]
	s_cbranch_execnz .LBB11_2564
.LBB11_514:
	s_or_b64 exec, exec, s[6:7]
	s_and_saveexec_b64 s[6:7], s[4:5]
	s_cbranch_execz .LBB11_516
.LBB11_515:
	v_and_b32_e32 v20, 7, v14
	v_ffbh_u32_e32 v22, v20
	v_min_u32_e32 v22, 32, v22
	v_lshrrev_b16_e32 v21, 3, v14
	v_subrev_u32_e32 v23, 28, v22
	v_and_b32_e32 v21, 15, v21
	v_lshlrev_b32_e32 v23, v23, v14
	v_sub_u32_e32 v22, 29, v22
	v_and_b32_e32 v23, 7, v23
	v_cmp_eq_u16_e32 vcc, 0, v21
	v_cndmask_b32_e32 v20, v20, v23, vcc
	v_cndmask_b32_e32 v21, v21, v22, vcc
	v_lshlrev_b32_e32 v22, 24, v14
	v_mov_b32_e32 v23, 0x3b800000
	v_lshlrev_b32_e32 v20, 20, v20
	v_and_b32_e32 v22, 0x80000000, v22
	v_lshl_add_u32 v21, v21, 23, v23
	v_or3_b32 v20, v22, v21, v20
.LBB11_516:
	s_or_b64 exec, exec, s[6:7]
	s_movk_i32 s4, 0x7f
	v_cmp_gt_i16_sdwa s[6:7], v10, s4 src0_sel:BYTE_0 src1_sel:DWORD
	s_mov_b64 s[4:5], 0
                                        ; implicit-def: $sgpr10
	s_and_saveexec_b64 s[8:9], s[6:7]
	s_xor_b64 s[6:7], exec, s[8:9]
	s_cbranch_execnz .LBB11_2565
; %bb.517:
	s_or_saveexec_b64 s[6:7], s[6:7]
	v_mov_b32_e32 v21, s10
	s_xor_b64 exec, exec, s[6:7]
	s_cbranch_execnz .LBB11_2568
.LBB11_518:
	s_or_b64 exec, exec, s[6:7]
	s_and_saveexec_b64 s[6:7], s[4:5]
	s_cbranch_execz .LBB11_520
.LBB11_519:
	v_and_b32_e32 v21, 7, v10
	v_ffbh_u32_e32 v23, v21
	v_min_u32_e32 v23, 32, v23
	v_lshrrev_b16_e32 v22, 3, v10
	v_subrev_u32_e32 v24, 28, v23
	v_and_b32_e32 v22, 15, v22
	v_lshlrev_b32_e32 v24, v24, v10
	v_sub_u32_e32 v23, 29, v23
	v_and_b32_e32 v24, 7, v24
	v_cmp_eq_u16_e32 vcc, 0, v22
	v_cndmask_b32_e32 v21, v21, v24, vcc
	v_cndmask_b32_e32 v22, v22, v23, vcc
	v_lshlrev_b32_e32 v23, 24, v10
	v_mov_b32_e32 v24, 0x3b800000
	v_lshlrev_b32_e32 v21, 20, v21
	v_and_b32_e32 v23, 0x80000000, v23
	v_lshl_add_u32 v22, v22, 23, v24
	v_or3_b32 v21, v23, v22, v21
.LBB11_520:
	s_or_b64 exec, exec, s[6:7]
	flat_load_dwordx4 a[0:3], v[18:19] offset:160
	s_movk_i32 s4, 0x7f
                                        ; implicit-def: $sgpr10
	s_waitcnt vmcnt(0) lgkmcnt(0)
	v_mfma_f32_16x16x4f32 a[0:3], v20, v21, a[0:3]
	v_lshrrev_b32_e32 v21, 8, v14
	v_cmp_gt_i16_sdwa s[6:7], v21, s4 src0_sel:BYTE_0 src1_sel:DWORD
	s_mov_b64 s[4:5], 0
	s_and_saveexec_b64 s[8:9], s[6:7]
	s_xor_b64 s[6:7], exec, s[8:9]
	s_cbranch_execnz .LBB11_2569
; %bb.521:
	s_or_saveexec_b64 s[6:7], s[6:7]
	v_mov_b32_e32 v20, s10
	s_xor_b64 exec, exec, s[6:7]
	s_cbranch_execnz .LBB11_2572
.LBB11_522:
	s_or_b64 exec, exec, s[6:7]
	s_and_saveexec_b64 s[6:7], s[4:5]
	s_cbranch_execz .LBB11_524
.LBB11_523:
	v_bfe_u32 v20, v14, 8, 3
	v_ffbh_u32_e32 v23, v20
	v_min_u32_e32 v23, 32, v23
	v_lshrrev_b16_e32 v22, 3, v21
	v_subrev_u32_e32 v24, 28, v23
	v_and_b32_e32 v22, 15, v22
	v_lshlrev_b32_e32 v21, v24, v21
	v_sub_u32_e32 v23, 29, v23
	v_and_b32_e32 v21, 7, v21
	v_cmp_eq_u16_e32 vcc, 0, v22
	v_cndmask_b32_e32 v20, v20, v21, vcc
	v_cndmask_b32_e32 v21, v22, v23, vcc
	v_lshlrev_b32_e32 v22, 16, v14
	v_mov_b32_e32 v23, 0x3b800000
	v_lshlrev_b32_e32 v20, 20, v20
	v_and_b32_e32 v22, 0x80000000, v22
	v_lshl_add_u32 v21, v21, 23, v23
	v_or3_b32 v20, v22, v21, v20
.LBB11_524:
	s_or_b64 exec, exec, s[6:7]
	v_lshrrev_b32_e32 v21, 8, v10
	s_movk_i32 s4, 0x7f
	v_cmp_gt_i16_sdwa s[6:7], v21, s4 src0_sel:BYTE_0 src1_sel:DWORD
	s_mov_b64 s[4:5], 0
                                        ; implicit-def: $sgpr10
	s_and_saveexec_b64 s[8:9], s[6:7]
	s_xor_b64 s[6:7], exec, s[8:9]
	s_cbranch_execnz .LBB11_2573
; %bb.525:
	s_or_saveexec_b64 s[6:7], s[6:7]
	v_mov_b32_e32 v22, s10
	s_xor_b64 exec, exec, s[6:7]
	s_cbranch_execnz .LBB11_2576
.LBB11_526:
	s_or_b64 exec, exec, s[6:7]
	s_and_saveexec_b64 s[6:7], s[4:5]
	s_cbranch_execz .LBB11_528
.LBB11_527:
	v_bfe_u32 v22, v10, 8, 3
	v_ffbh_u32_e32 v24, v22
	v_min_u32_e32 v24, 32, v24
	v_lshrrev_b16_e32 v23, 3, v21
	v_subrev_u32_e32 v25, 28, v24
	v_and_b32_e32 v23, 15, v23
	v_lshlrev_b32_e32 v21, v25, v21
	v_sub_u32_e32 v24, 29, v24
	v_and_b32_e32 v21, 7, v21
	v_cmp_eq_u16_e32 vcc, 0, v23
	v_cndmask_b32_e32 v21, v22, v21, vcc
	v_cndmask_b32_e32 v22, v23, v24, vcc
	v_lshlrev_b32_e32 v23, 16, v10
	v_mov_b32_e32 v24, 0x3b800000
	v_lshlrev_b32_e32 v21, 20, v21
	v_and_b32_e32 v23, 0x80000000, v23
	v_lshl_add_u32 v22, v22, 23, v24
	v_or3_b32 v22, v23, v22, v21
.LBB11_528:
	s_or_b64 exec, exec, s[6:7]
	s_nop 0
	v_mfma_f32_16x16x4f32 a[0:3], v20, v22, a[0:3]
	s_movk_i32 s4, 0xff
	v_and_b32_sdwa v21, v14, s4 dst_sel:DWORD dst_unused:UNUSED_PAD src0_sel:WORD_1 src1_sel:DWORD
	s_movk_i32 s4, 0x7f
	v_cmp_lt_i16_e32 vcc, s4, v21
	s_mov_b64 s[4:5], 0
                                        ; implicit-def: $sgpr10
	s_and_saveexec_b64 s[6:7], vcc
	s_xor_b64 s[6:7], exec, s[6:7]
	s_cbranch_execnz .LBB11_2577
; %bb.529:
	s_or_saveexec_b64 s[6:7], s[6:7]
	v_mov_b32_e32 v20, s10
	s_xor_b64 exec, exec, s[6:7]
	s_cbranch_execnz .LBB11_2580
.LBB11_530:
	s_or_b64 exec, exec, s[6:7]
	s_and_saveexec_b64 s[6:7], s[4:5]
	s_cbranch_execz .LBB11_532
.LBB11_531:
	v_bfe_u32 v20, v14, 16, 3
	v_ffbh_u32_e32 v23, v20
	v_min_u32_e32 v23, 32, v23
	v_lshrrev_b32_e32 v21, 19, v14
	v_subrev_u32_e32 v24, 28, v23
	v_and_b32_e32 v21, 15, v21
	v_lshlrev_b32_sdwa v24, v24, v14 dst_sel:DWORD dst_unused:UNUSED_PAD src0_sel:DWORD src1_sel:WORD_1
	v_bfe_u32 v22, v14, 19, 4
	v_sub_u32_e32 v23, 29, v23
	v_and_b32_e32 v24, 7, v24
	v_cmp_eq_u16_e32 vcc, 0, v21
	v_cndmask_b32_e32 v20, v20, v24, vcc
	v_cndmask_b32_e32 v21, v22, v23, vcc
	v_lshlrev_b32_e32 v22, 8, v14
	v_mov_b32_e32 v23, 0x3b800000
	v_lshlrev_b32_e32 v20, 20, v20
	v_and_b32_e32 v22, 0x80000000, v22
	v_lshl_add_u32 v21, v21, 23, v23
	v_or3_b32 v20, v22, v21, v20
.LBB11_532:
	s_or_b64 exec, exec, s[6:7]
	s_movk_i32 s4, 0xff
	v_and_b32_sdwa v21, v10, s4 dst_sel:DWORD dst_unused:UNUSED_PAD src0_sel:WORD_1 src1_sel:DWORD
	s_movk_i32 s4, 0x7f
	v_cmp_lt_i16_e32 vcc, s4, v21
	s_mov_b64 s[4:5], 0
                                        ; implicit-def: $sgpr10
	s_and_saveexec_b64 s[6:7], vcc
	s_xor_b64 s[6:7], exec, s[6:7]
	s_cbranch_execnz .LBB11_2581
; %bb.533:
	s_or_saveexec_b64 s[6:7], s[6:7]
	v_mov_b32_e32 v22, s10
	s_xor_b64 exec, exec, s[6:7]
	s_cbranch_execnz .LBB11_2584
.LBB11_534:
	s_or_b64 exec, exec, s[6:7]
	s_and_saveexec_b64 s[6:7], s[4:5]
	s_cbranch_execz .LBB11_536
.LBB11_535:
	v_bfe_u32 v21, v10, 16, 3
	v_ffbh_u32_e32 v24, v21
	v_min_u32_e32 v24, 32, v24
	v_lshrrev_b32_e32 v22, 19, v10
	v_subrev_u32_e32 v25, 28, v24
	v_and_b32_e32 v22, 15, v22
	v_lshlrev_b32_sdwa v25, v25, v10 dst_sel:DWORD dst_unused:UNUSED_PAD src0_sel:DWORD src1_sel:WORD_1
	v_bfe_u32 v23, v10, 19, 4
	v_sub_u32_e32 v24, 29, v24
	v_and_b32_e32 v25, 7, v25
	v_cmp_eq_u16_e32 vcc, 0, v22
	v_cndmask_b32_e32 v21, v21, v25, vcc
	v_cndmask_b32_e32 v22, v23, v24, vcc
	v_lshlrev_b32_e32 v23, 8, v10
	v_mov_b32_e32 v24, 0x3b800000
	v_lshlrev_b32_e32 v21, 20, v21
	v_and_b32_e32 v23, 0x80000000, v23
	v_lshl_add_u32 v22, v22, 23, v24
	v_or3_b32 v22, v23, v22, v21
.LBB11_536:
	s_or_b64 exec, exec, s[6:7]
	s_nop 0
	v_mfma_f32_16x16x4f32 a[0:3], v20, v22, a[0:3]
	s_movk_i32 s4, 0x7f
	v_cmp_gt_i16_sdwa s[6:7], v14, s4 src0_sel:BYTE_3 src1_sel:DWORD
	s_mov_b64 s[4:5], 0
                                        ; implicit-def: $sgpr10
	s_and_saveexec_b64 s[8:9], s[6:7]
	s_xor_b64 s[6:7], exec, s[8:9]
	s_cbranch_execnz .LBB11_2585
; %bb.537:
	s_or_saveexec_b64 s[6:7], s[6:7]
	v_mov_b32_e32 v20, s10
	s_xor_b64 exec, exec, s[6:7]
	s_cbranch_execnz .LBB11_2588
.LBB11_538:
	s_or_b64 exec, exec, s[6:7]
	s_and_saveexec_b64 s[6:7], s[4:5]
	s_cbranch_execz .LBB11_540
.LBB11_539:
	v_bfe_u32 v20, v14, 24, 3
	v_ffbh_u32_e32 v24, v20
	v_min_u32_e32 v24, 32, v24
	v_lshrrev_b32_e32 v22, 27, v14
	v_subrev_u32_e32 v25, 28, v24
	v_and_b32_e32 v21, 0x80000000, v14
	v_and_b32_e32 v22, 15, v22
	v_bfe_u32 v23, v14, 27, 4
	v_lshlrev_b32_sdwa v14, v25, v14 dst_sel:DWORD dst_unused:UNUSED_PAD src0_sel:DWORD src1_sel:BYTE_3
	v_sub_u32_e32 v24, 29, v24
	v_and_b32_e32 v14, 7, v14
	v_cmp_eq_u16_e32 vcc, 0, v22
	v_cndmask_b32_e32 v14, v20, v14, vcc
	v_cndmask_b32_e32 v20, v23, v24, vcc
	v_mov_b32_e32 v22, 0x3b800000
	v_lshlrev_b32_e32 v14, 20, v14
	v_lshl_add_u32 v20, v20, 23, v22
	v_or3_b32 v20, v21, v20, v14
.LBB11_540:
	s_or_b64 exec, exec, s[6:7]
	s_movk_i32 s4, 0x7f
	v_cmp_gt_i16_sdwa s[6:7], v10, s4 src0_sel:BYTE_3 src1_sel:DWORD
	s_mov_b64 s[4:5], 0
                                        ; implicit-def: $sgpr10
	s_and_saveexec_b64 s[8:9], s[6:7]
	s_xor_b64 s[6:7], exec, s[8:9]
	s_cbranch_execnz .LBB11_2589
; %bb.541:
	s_or_saveexec_b64 s[6:7], s[6:7]
	v_mov_b32_e32 v14, s10
	s_xor_b64 exec, exec, s[6:7]
	s_cbranch_execnz .LBB11_2592
.LBB11_542:
	s_or_b64 exec, exec, s[6:7]
	s_and_saveexec_b64 s[6:7], s[4:5]
	s_cbranch_execz .LBB11_544
.LBB11_543:
	v_bfe_u32 v14, v10, 24, 3
	v_ffbh_u32_e32 v24, v14
	v_min_u32_e32 v24, 32, v24
	v_lshrrev_b32_e32 v22, 27, v10
	v_subrev_u32_e32 v25, 28, v24
	v_and_b32_e32 v21, 0x80000000, v10
	v_and_b32_e32 v22, 15, v22
	v_bfe_u32 v23, v10, 27, 4
	v_lshlrev_b32_sdwa v10, v25, v10 dst_sel:DWORD dst_unused:UNUSED_PAD src0_sel:DWORD src1_sel:BYTE_3
	v_sub_u32_e32 v24, 29, v24
	v_and_b32_e32 v10, 7, v10
	v_cmp_eq_u16_e32 vcc, 0, v22
	v_cndmask_b32_e32 v10, v14, v10, vcc
	v_cndmask_b32_e32 v14, v23, v24, vcc
	v_mov_b32_e32 v22, 0x3b800000
	v_lshlrev_b32_e32 v10, 20, v10
	v_lshl_add_u32 v14, v14, 23, v22
	v_or3_b32 v14, v21, v14, v10
.LBB11_544:
	s_or_b64 exec, exec, s[6:7]
	s_nop 0
	v_mfma_f32_16x16x4f32 a[0:3], v20, v14, a[0:3]
	s_movk_i32 s4, 0x7f
	v_cmp_gt_i16_sdwa s[6:7], v15, s4 src0_sel:BYTE_0 src1_sel:DWORD
	s_mov_b64 s[4:5], 0
                                        ; implicit-def: $sgpr10
	s_and_saveexec_b64 s[8:9], s[6:7]
	s_xor_b64 s[6:7], exec, s[8:9]
	s_cbranch_execnz .LBB11_2593
; %bb.545:
	s_or_saveexec_b64 s[6:7], s[6:7]
	v_mov_b32_e32 v10, s10
	s_xor_b64 exec, exec, s[6:7]
	s_cbranch_execnz .LBB11_2596
.LBB11_546:
	s_or_b64 exec, exec, s[6:7]
	s_and_saveexec_b64 s[6:7], s[4:5]
	s_cbranch_execz .LBB11_548
.LBB11_547:
	v_and_b32_e32 v10, 7, v15
	v_ffbh_u32_e32 v20, v10
	v_min_u32_e32 v20, 32, v20
	v_lshrrev_b16_e32 v14, 3, v15
	v_subrev_u32_e32 v21, 28, v20
	v_and_b32_e32 v14, 15, v14
	v_lshlrev_b32_e32 v21, v21, v15
	v_sub_u32_e32 v20, 29, v20
	v_and_b32_e32 v21, 7, v21
	v_cmp_eq_u16_e32 vcc, 0, v14
	v_cndmask_b32_e32 v10, v10, v21, vcc
	v_cndmask_b32_e32 v14, v14, v20, vcc
	v_lshlrev_b32_e32 v20, 24, v15
	v_mov_b32_e32 v21, 0x3b800000
	v_lshlrev_b32_e32 v10, 20, v10
	v_and_b32_e32 v20, 0x80000000, v20
	v_lshl_add_u32 v14, v14, 23, v21
	v_or3_b32 v10, v20, v14, v10
.LBB11_548:
	s_or_b64 exec, exec, s[6:7]
	s_movk_i32 s4, 0x7f
	v_cmp_gt_i16_sdwa s[6:7], v11, s4 src0_sel:BYTE_0 src1_sel:DWORD
	s_mov_b64 s[4:5], 0
                                        ; implicit-def: $sgpr10
	s_and_saveexec_b64 s[8:9], s[6:7]
	s_xor_b64 s[6:7], exec, s[8:9]
	s_cbranch_execnz .LBB11_2597
; %bb.549:
	s_or_saveexec_b64 s[6:7], s[6:7]
	v_mov_b32_e32 v14, s10
	s_xor_b64 exec, exec, s[6:7]
	s_cbranch_execnz .LBB11_2600
.LBB11_550:
	s_or_b64 exec, exec, s[6:7]
	s_and_saveexec_b64 s[6:7], s[4:5]
	s_cbranch_execz .LBB11_552
.LBB11_551:
	v_and_b32_e32 v14, 7, v11
	v_ffbh_u32_e32 v21, v14
	v_min_u32_e32 v21, 32, v21
	v_lshrrev_b16_e32 v20, 3, v11
	v_subrev_u32_e32 v22, 28, v21
	v_and_b32_e32 v20, 15, v20
	v_lshlrev_b32_e32 v22, v22, v11
	v_sub_u32_e32 v21, 29, v21
	v_and_b32_e32 v22, 7, v22
	v_cmp_eq_u16_e32 vcc, 0, v20
	v_cndmask_b32_e32 v14, v14, v22, vcc
	v_cndmask_b32_e32 v20, v20, v21, vcc
	v_lshlrev_b32_e32 v21, 24, v11
	v_mov_b32_e32 v22, 0x3b800000
	v_lshlrev_b32_e32 v14, 20, v14
	v_and_b32_e32 v21, 0x80000000, v21
	v_lshl_add_u32 v20, v20, 23, v22
	v_or3_b32 v14, v21, v20, v14
.LBB11_552:
	s_or_b64 exec, exec, s[6:7]
	s_nop 0
	v_mfma_f32_16x16x4f32 a[0:3], v10, v14, a[0:3]
	v_lshrrev_b32_e32 v14, 8, v15
	s_movk_i32 s4, 0x7f
	v_cmp_gt_i16_sdwa s[6:7], v14, s4 src0_sel:BYTE_0 src1_sel:DWORD
	s_mov_b64 s[4:5], 0
                                        ; implicit-def: $sgpr10
	s_and_saveexec_b64 s[8:9], s[6:7]
	s_xor_b64 s[6:7], exec, s[8:9]
	s_cbranch_execnz .LBB11_2601
; %bb.553:
	s_or_saveexec_b64 s[6:7], s[6:7]
	v_mov_b32_e32 v10, s10
	s_xor_b64 exec, exec, s[6:7]
	s_cbranch_execnz .LBB11_2604
.LBB11_554:
	s_or_b64 exec, exec, s[6:7]
	s_and_saveexec_b64 s[6:7], s[4:5]
	s_cbranch_execz .LBB11_556
.LBB11_555:
	v_bfe_u32 v10, v15, 8, 3
	v_ffbh_u32_e32 v21, v10
	v_min_u32_e32 v21, 32, v21
	v_lshrrev_b16_e32 v20, 3, v14
	v_subrev_u32_e32 v22, 28, v21
	v_and_b32_e32 v20, 15, v20
	v_lshlrev_b32_e32 v14, v22, v14
	v_sub_u32_e32 v21, 29, v21
	v_and_b32_e32 v14, 7, v14
	v_cmp_eq_u16_e32 vcc, 0, v20
	v_cndmask_b32_e32 v10, v10, v14, vcc
	v_cndmask_b32_e32 v14, v20, v21, vcc
	v_lshlrev_b32_e32 v20, 16, v15
	v_mov_b32_e32 v21, 0x3b800000
	v_lshlrev_b32_e32 v10, 20, v10
	v_and_b32_e32 v20, 0x80000000, v20
	v_lshl_add_u32 v14, v14, 23, v21
	v_or3_b32 v10, v20, v14, v10
.LBB11_556:
	s_or_b64 exec, exec, s[6:7]
	v_lshrrev_b32_e32 v14, 8, v11
	s_movk_i32 s4, 0x7f
	v_cmp_gt_i16_sdwa s[6:7], v14, s4 src0_sel:BYTE_0 src1_sel:DWORD
	s_mov_b64 s[4:5], 0
                                        ; implicit-def: $sgpr10
	s_and_saveexec_b64 s[8:9], s[6:7]
	s_xor_b64 s[6:7], exec, s[8:9]
	s_cbranch_execnz .LBB11_2605
; %bb.557:
	s_or_saveexec_b64 s[6:7], s[6:7]
	v_mov_b32_e32 v20, s10
	s_xor_b64 exec, exec, s[6:7]
	s_cbranch_execnz .LBB11_2608
.LBB11_558:
	s_or_b64 exec, exec, s[6:7]
	s_and_saveexec_b64 s[6:7], s[4:5]
	s_cbranch_execz .LBB11_560
.LBB11_559:
	v_bfe_u32 v20, v11, 8, 3
	v_ffbh_u32_e32 v22, v20
	v_min_u32_e32 v22, 32, v22
	v_lshrrev_b16_e32 v21, 3, v14
	v_subrev_u32_e32 v23, 28, v22
	v_and_b32_e32 v21, 15, v21
	v_lshlrev_b32_e32 v14, v23, v14
	v_sub_u32_e32 v22, 29, v22
	v_and_b32_e32 v14, 7, v14
	v_cmp_eq_u16_e32 vcc, 0, v21
	v_cndmask_b32_e32 v14, v20, v14, vcc
	v_cndmask_b32_e32 v20, v21, v22, vcc
	v_lshlrev_b32_e32 v21, 16, v11
	v_mov_b32_e32 v22, 0x3b800000
	v_lshlrev_b32_e32 v14, 20, v14
	v_and_b32_e32 v21, 0x80000000, v21
	v_lshl_add_u32 v20, v20, 23, v22
	v_or3_b32 v20, v21, v20, v14
.LBB11_560:
	s_or_b64 exec, exec, s[6:7]
	s_nop 0
	v_mfma_f32_16x16x4f32 a[0:3], v10, v20, a[0:3]
	s_movk_i32 s4, 0xff
	v_and_b32_sdwa v14, v15, s4 dst_sel:DWORD dst_unused:UNUSED_PAD src0_sel:WORD_1 src1_sel:DWORD
	s_movk_i32 s4, 0x7f
	v_cmp_lt_i16_e32 vcc, s4, v14
	s_mov_b64 s[4:5], 0
                                        ; implicit-def: $sgpr10
	s_and_saveexec_b64 s[6:7], vcc
	s_xor_b64 s[6:7], exec, s[6:7]
	s_cbranch_execnz .LBB11_2609
; %bb.561:
	s_or_saveexec_b64 s[6:7], s[6:7]
	v_mov_b32_e32 v10, s10
	s_xor_b64 exec, exec, s[6:7]
	s_cbranch_execnz .LBB11_2612
.LBB11_562:
	s_or_b64 exec, exec, s[6:7]
	s_and_saveexec_b64 s[6:7], s[4:5]
	s_cbranch_execz .LBB11_564
.LBB11_563:
	v_bfe_u32 v10, v15, 16, 3
	v_ffbh_u32_e32 v21, v10
	v_min_u32_e32 v21, 32, v21
	v_lshrrev_b32_e32 v14, 19, v15
	v_subrev_u32_e32 v22, 28, v21
	v_and_b32_e32 v14, 15, v14
	v_lshlrev_b32_sdwa v22, v22, v15 dst_sel:DWORD dst_unused:UNUSED_PAD src0_sel:DWORD src1_sel:WORD_1
	v_bfe_u32 v20, v15, 19, 4
	v_sub_u32_e32 v21, 29, v21
	v_and_b32_e32 v22, 7, v22
	v_cmp_eq_u16_e32 vcc, 0, v14
	v_cndmask_b32_e32 v10, v10, v22, vcc
	v_cndmask_b32_e32 v14, v20, v21, vcc
	v_lshlrev_b32_e32 v20, 8, v15
	v_mov_b32_e32 v21, 0x3b800000
	v_lshlrev_b32_e32 v10, 20, v10
	v_and_b32_e32 v20, 0x80000000, v20
	v_lshl_add_u32 v14, v14, 23, v21
	v_or3_b32 v10, v20, v14, v10
.LBB11_564:
	s_or_b64 exec, exec, s[6:7]
	s_movk_i32 s4, 0xff
	v_and_b32_sdwa v14, v11, s4 dst_sel:DWORD dst_unused:UNUSED_PAD src0_sel:WORD_1 src1_sel:DWORD
	s_movk_i32 s4, 0x7f
	v_cmp_lt_i16_e32 vcc, s4, v14
	s_mov_b64 s[4:5], 0
                                        ; implicit-def: $sgpr10
	s_and_saveexec_b64 s[6:7], vcc
	s_xor_b64 s[6:7], exec, s[6:7]
	s_cbranch_execnz .LBB11_2613
; %bb.565:
	s_or_saveexec_b64 s[6:7], s[6:7]
	v_mov_b32_e32 v20, s10
	s_xor_b64 exec, exec, s[6:7]
	s_cbranch_execnz .LBB11_2616
.LBB11_566:
	s_or_b64 exec, exec, s[6:7]
	s_and_saveexec_b64 s[6:7], s[4:5]
	s_cbranch_execz .LBB11_568
.LBB11_567:
	v_bfe_u32 v14, v11, 16, 3
	v_ffbh_u32_e32 v22, v14
	v_min_u32_e32 v22, 32, v22
	v_lshrrev_b32_e32 v20, 19, v11
	v_subrev_u32_e32 v23, 28, v22
	v_and_b32_e32 v20, 15, v20
	v_lshlrev_b32_sdwa v23, v23, v11 dst_sel:DWORD dst_unused:UNUSED_PAD src0_sel:DWORD src1_sel:WORD_1
	v_bfe_u32 v21, v11, 19, 4
	v_sub_u32_e32 v22, 29, v22
	v_and_b32_e32 v23, 7, v23
	v_cmp_eq_u16_e32 vcc, 0, v20
	v_cndmask_b32_e32 v14, v14, v23, vcc
	v_cndmask_b32_e32 v20, v21, v22, vcc
	v_lshlrev_b32_e32 v21, 8, v11
	v_mov_b32_e32 v22, 0x3b800000
	v_lshlrev_b32_e32 v14, 20, v14
	v_and_b32_e32 v21, 0x80000000, v21
	v_lshl_add_u32 v20, v20, 23, v22
	v_or3_b32 v20, v21, v20, v14
.LBB11_568:
	s_or_b64 exec, exec, s[6:7]
	s_nop 0
	v_mfma_f32_16x16x4f32 a[0:3], v10, v20, a[0:3]
	s_movk_i32 s4, 0x7f
	v_cmp_gt_i16_sdwa s[6:7], v15, s4 src0_sel:BYTE_3 src1_sel:DWORD
	s_mov_b64 s[4:5], 0
                                        ; implicit-def: $sgpr10
	s_and_saveexec_b64 s[8:9], s[6:7]
	s_xor_b64 s[6:7], exec, s[8:9]
	s_cbranch_execnz .LBB11_2617
; %bb.569:
	s_or_saveexec_b64 s[6:7], s[6:7]
	v_mov_b32_e32 v10, s10
	s_xor_b64 exec, exec, s[6:7]
	s_cbranch_execnz .LBB11_2620
.LBB11_570:
	s_or_b64 exec, exec, s[6:7]
	s_and_saveexec_b64 s[6:7], s[4:5]
	s_cbranch_execz .LBB11_572
.LBB11_571:
	v_bfe_u32 v10, v15, 24, 3
	v_ffbh_u32_e32 v22, v10
	v_min_u32_e32 v22, 32, v22
	v_lshrrev_b32_e32 v20, 27, v15
	v_subrev_u32_e32 v23, 28, v22
	v_and_b32_e32 v14, 0x80000000, v15
	v_and_b32_e32 v20, 15, v20
	v_bfe_u32 v21, v15, 27, 4
	v_lshlrev_b32_sdwa v15, v23, v15 dst_sel:DWORD dst_unused:UNUSED_PAD src0_sel:DWORD src1_sel:BYTE_3
	v_sub_u32_e32 v22, 29, v22
	v_and_b32_e32 v15, 7, v15
	v_cmp_eq_u16_e32 vcc, 0, v20
	v_cndmask_b32_e32 v10, v10, v15, vcc
	v_cndmask_b32_e32 v15, v21, v22, vcc
	v_mov_b32_e32 v20, 0x3b800000
	v_lshlrev_b32_e32 v10, 20, v10
	v_lshl_add_u32 v15, v15, 23, v20
	v_or3_b32 v10, v14, v15, v10
.LBB11_572:
	s_or_b64 exec, exec, s[6:7]
	s_movk_i32 s4, 0x7f
	v_cmp_gt_i16_sdwa s[6:7], v11, s4 src0_sel:BYTE_3 src1_sel:DWORD
	s_mov_b64 s[4:5], 0
                                        ; implicit-def: $sgpr10
	s_and_saveexec_b64 s[8:9], s[6:7]
	s_xor_b64 s[6:7], exec, s[8:9]
	s_cbranch_execnz .LBB11_2621
; %bb.573:
	s_or_saveexec_b64 s[6:7], s[6:7]
	v_mov_b32_e32 v14, s10
	s_xor_b64 exec, exec, s[6:7]
	s_cbranch_execnz .LBB11_2624
.LBB11_574:
	s_or_b64 exec, exec, s[6:7]
	s_and_saveexec_b64 s[6:7], s[4:5]
	s_cbranch_execz .LBB11_576
.LBB11_575:
	v_bfe_u32 v14, v11, 24, 3
	v_ffbh_u32_e32 v22, v14
	v_min_u32_e32 v22, 32, v22
	v_lshrrev_b32_e32 v20, 27, v11
	v_subrev_u32_e32 v23, 28, v22
	v_and_b32_e32 v15, 0x80000000, v11
	v_and_b32_e32 v20, 15, v20
	v_bfe_u32 v21, v11, 27, 4
	v_lshlrev_b32_sdwa v11, v23, v11 dst_sel:DWORD dst_unused:UNUSED_PAD src0_sel:DWORD src1_sel:BYTE_3
	v_sub_u32_e32 v22, 29, v22
	v_and_b32_e32 v11, 7, v11
	v_cmp_eq_u16_e32 vcc, 0, v20
	v_cndmask_b32_e32 v11, v14, v11, vcc
	v_cndmask_b32_e32 v14, v21, v22, vcc
	v_mov_b32_e32 v20, 0x3b800000
	v_lshlrev_b32_e32 v11, 20, v11
	v_lshl_add_u32 v14, v14, 23, v20
	v_or3_b32 v14, v15, v14, v11
.LBB11_576:
	s_or_b64 exec, exec, s[6:7]
	s_nop 0
	v_mfma_f32_16x16x4f32 a[0:3], v10, v14, a[0:3]
	s_movk_i32 s4, 0x7f
	v_cmp_gt_i16_sdwa s[6:7], v16, s4 src0_sel:BYTE_0 src1_sel:DWORD
	s_mov_b64 s[4:5], 0
                                        ; implicit-def: $sgpr10
	s_and_saveexec_b64 s[8:9], s[6:7]
	s_xor_b64 s[6:7], exec, s[8:9]
	s_cbranch_execnz .LBB11_2625
; %bb.577:
	s_or_saveexec_b64 s[6:7], s[6:7]
	v_mov_b32_e32 v10, s10
	s_xor_b64 exec, exec, s[6:7]
	s_cbranch_execnz .LBB11_2628
.LBB11_578:
	s_or_b64 exec, exec, s[6:7]
	s_and_saveexec_b64 s[6:7], s[4:5]
	s_cbranch_execz .LBB11_580
.LBB11_579:
	v_and_b32_e32 v10, 7, v16
	v_ffbh_u32_e32 v14, v10
	v_min_u32_e32 v14, 32, v14
	v_lshrrev_b16_e32 v11, 3, v16
	v_subrev_u32_e32 v15, 28, v14
	v_and_b32_e32 v11, 15, v11
	v_lshlrev_b32_e32 v15, v15, v16
	v_sub_u32_e32 v14, 29, v14
	v_and_b32_e32 v15, 7, v15
	v_cmp_eq_u16_e32 vcc, 0, v11
	v_cndmask_b32_e32 v10, v10, v15, vcc
	v_cndmask_b32_e32 v11, v11, v14, vcc
	v_lshlrev_b32_e32 v14, 24, v16
	v_mov_b32_e32 v15, 0x3b800000
	v_lshlrev_b32_e32 v10, 20, v10
	v_and_b32_e32 v14, 0x80000000, v14
	v_lshl_add_u32 v11, v11, 23, v15
	v_or3_b32 v10, v14, v11, v10
.LBB11_580:
	s_or_b64 exec, exec, s[6:7]
	s_movk_i32 s4, 0x7f
	v_cmp_gt_i16_sdwa s[6:7], v12, s4 src0_sel:BYTE_0 src1_sel:DWORD
	s_mov_b64 s[4:5], 0
                                        ; implicit-def: $sgpr10
	s_and_saveexec_b64 s[8:9], s[6:7]
	s_xor_b64 s[6:7], exec, s[8:9]
	s_cbranch_execnz .LBB11_2629
; %bb.581:
	s_or_saveexec_b64 s[6:7], s[6:7]
	v_mov_b32_e32 v11, s10
	s_xor_b64 exec, exec, s[6:7]
	s_cbranch_execnz .LBB11_2632
.LBB11_582:
	s_or_b64 exec, exec, s[6:7]
	s_and_saveexec_b64 s[6:7], s[4:5]
	s_cbranch_execz .LBB11_584
.LBB11_583:
	v_and_b32_e32 v11, 7, v12
	v_ffbh_u32_e32 v15, v11
	v_min_u32_e32 v15, 32, v15
	v_lshrrev_b16_e32 v14, 3, v12
	v_subrev_u32_e32 v20, 28, v15
	v_and_b32_e32 v14, 15, v14
	v_lshlrev_b32_e32 v20, v20, v12
	v_sub_u32_e32 v15, 29, v15
	v_and_b32_e32 v20, 7, v20
	v_cmp_eq_u16_e32 vcc, 0, v14
	v_cndmask_b32_e32 v11, v11, v20, vcc
	v_cndmask_b32_e32 v14, v14, v15, vcc
	v_lshlrev_b32_e32 v15, 24, v12
	v_mov_b32_e32 v20, 0x3b800000
	v_lshlrev_b32_e32 v11, 20, v11
	v_and_b32_e32 v15, 0x80000000, v15
	v_lshl_add_u32 v14, v14, 23, v20
	v_or3_b32 v11, v15, v14, v11
.LBB11_584:
	s_or_b64 exec, exec, s[6:7]
	s_nop 0
	v_mfma_f32_16x16x4f32 a[0:3], v10, v11, a[0:3]
	v_lshrrev_b32_e32 v11, 8, v16
	s_movk_i32 s4, 0x7f
	v_cmp_gt_i16_sdwa s[6:7], v11, s4 src0_sel:BYTE_0 src1_sel:DWORD
	s_mov_b64 s[4:5], 0
                                        ; implicit-def: $sgpr10
	s_and_saveexec_b64 s[8:9], s[6:7]
	s_xor_b64 s[6:7], exec, s[8:9]
	s_cbranch_execnz .LBB11_2633
; %bb.585:
	s_or_saveexec_b64 s[6:7], s[6:7]
	v_mov_b32_e32 v10, s10
	s_xor_b64 exec, exec, s[6:7]
	s_cbranch_execnz .LBB11_2636
.LBB11_586:
	s_or_b64 exec, exec, s[6:7]
	s_and_saveexec_b64 s[6:7], s[4:5]
	s_cbranch_execz .LBB11_588
.LBB11_587:
	v_bfe_u32 v10, v16, 8, 3
	v_ffbh_u32_e32 v15, v10
	v_min_u32_e32 v15, 32, v15
	v_lshrrev_b16_e32 v14, 3, v11
	v_subrev_u32_e32 v20, 28, v15
	v_and_b32_e32 v14, 15, v14
	v_lshlrev_b32_e32 v11, v20, v11
	v_sub_u32_e32 v15, 29, v15
	v_and_b32_e32 v11, 7, v11
	v_cmp_eq_u16_e32 vcc, 0, v14
	v_cndmask_b32_e32 v10, v10, v11, vcc
	v_cndmask_b32_e32 v11, v14, v15, vcc
	v_lshlrev_b32_e32 v14, 16, v16
	v_mov_b32_e32 v15, 0x3b800000
	v_lshlrev_b32_e32 v10, 20, v10
	v_and_b32_e32 v14, 0x80000000, v14
	v_lshl_add_u32 v11, v11, 23, v15
	v_or3_b32 v10, v14, v11, v10
.LBB11_588:
	s_or_b64 exec, exec, s[6:7]
	v_lshrrev_b32_e32 v11, 8, v12
	s_movk_i32 s4, 0x7f
	v_cmp_gt_i16_sdwa s[6:7], v11, s4 src0_sel:BYTE_0 src1_sel:DWORD
	s_mov_b64 s[4:5], 0
                                        ; implicit-def: $sgpr10
	s_and_saveexec_b64 s[8:9], s[6:7]
	s_xor_b64 s[6:7], exec, s[8:9]
	s_cbranch_execnz .LBB11_2637
; %bb.589:
	s_or_saveexec_b64 s[6:7], s[6:7]
	v_mov_b32_e32 v14, s10
	s_xor_b64 exec, exec, s[6:7]
	s_cbranch_execnz .LBB11_2640
.LBB11_590:
	s_or_b64 exec, exec, s[6:7]
	s_and_saveexec_b64 s[6:7], s[4:5]
	s_cbranch_execz .LBB11_592
.LBB11_591:
	v_bfe_u32 v14, v12, 8, 3
	v_ffbh_u32_e32 v20, v14
	v_min_u32_e32 v20, 32, v20
	v_lshrrev_b16_e32 v15, 3, v11
	v_subrev_u32_e32 v21, 28, v20
	v_and_b32_e32 v15, 15, v15
	v_lshlrev_b32_e32 v11, v21, v11
	v_sub_u32_e32 v20, 29, v20
	v_and_b32_e32 v11, 7, v11
	v_cmp_eq_u16_e32 vcc, 0, v15
	v_cndmask_b32_e32 v11, v14, v11, vcc
	v_cndmask_b32_e32 v14, v15, v20, vcc
	v_lshlrev_b32_e32 v15, 16, v12
	v_mov_b32_e32 v20, 0x3b800000
	v_lshlrev_b32_e32 v11, 20, v11
	v_and_b32_e32 v15, 0x80000000, v15
	v_lshl_add_u32 v14, v14, 23, v20
	v_or3_b32 v14, v15, v14, v11
.LBB11_592:
	s_or_b64 exec, exec, s[6:7]
	s_nop 0
	v_mfma_f32_16x16x4f32 a[0:3], v10, v14, a[0:3]
	s_movk_i32 s4, 0xff
	v_and_b32_sdwa v11, v16, s4 dst_sel:DWORD dst_unused:UNUSED_PAD src0_sel:WORD_1 src1_sel:DWORD
	s_movk_i32 s4, 0x7f
	v_cmp_lt_i16_e32 vcc, s4, v11
	s_mov_b64 s[4:5], 0
                                        ; implicit-def: $sgpr10
	s_and_saveexec_b64 s[6:7], vcc
	s_xor_b64 s[6:7], exec, s[6:7]
	s_cbranch_execnz .LBB11_2641
; %bb.593:
	s_or_saveexec_b64 s[6:7], s[6:7]
	v_mov_b32_e32 v10, s10
	s_xor_b64 exec, exec, s[6:7]
	s_cbranch_execnz .LBB11_2644
.LBB11_594:
	s_or_b64 exec, exec, s[6:7]
	s_and_saveexec_b64 s[6:7], s[4:5]
	s_cbranch_execz .LBB11_596
.LBB11_595:
	v_bfe_u32 v10, v16, 16, 3
	v_ffbh_u32_e32 v15, v10
	v_min_u32_e32 v15, 32, v15
	v_lshrrev_b32_e32 v11, 19, v16
	v_subrev_u32_e32 v20, 28, v15
	v_and_b32_e32 v11, 15, v11
	v_lshlrev_b32_sdwa v20, v20, v16 dst_sel:DWORD dst_unused:UNUSED_PAD src0_sel:DWORD src1_sel:WORD_1
	v_bfe_u32 v14, v16, 19, 4
	v_sub_u32_e32 v15, 29, v15
	v_and_b32_e32 v20, 7, v20
	v_cmp_eq_u16_e32 vcc, 0, v11
	v_cndmask_b32_e32 v10, v10, v20, vcc
	v_cndmask_b32_e32 v11, v14, v15, vcc
	v_lshlrev_b32_e32 v14, 8, v16
	v_mov_b32_e32 v15, 0x3b800000
	v_lshlrev_b32_e32 v10, 20, v10
	v_and_b32_e32 v14, 0x80000000, v14
	v_lshl_add_u32 v11, v11, 23, v15
	v_or3_b32 v10, v14, v11, v10
.LBB11_596:
	s_or_b64 exec, exec, s[6:7]
	s_movk_i32 s4, 0xff
	v_and_b32_sdwa v11, v12, s4 dst_sel:DWORD dst_unused:UNUSED_PAD src0_sel:WORD_1 src1_sel:DWORD
	s_movk_i32 s4, 0x7f
	v_cmp_lt_i16_e32 vcc, s4, v11
	s_mov_b64 s[4:5], 0
                                        ; implicit-def: $sgpr10
	s_and_saveexec_b64 s[6:7], vcc
	s_xor_b64 s[6:7], exec, s[6:7]
	s_cbranch_execnz .LBB11_2645
; %bb.597:
	s_or_saveexec_b64 s[6:7], s[6:7]
	v_mov_b32_e32 v14, s10
	s_xor_b64 exec, exec, s[6:7]
	s_cbranch_execnz .LBB11_2648
.LBB11_598:
	s_or_b64 exec, exec, s[6:7]
	s_and_saveexec_b64 s[6:7], s[4:5]
	s_cbranch_execz .LBB11_600
.LBB11_599:
	v_bfe_u32 v11, v12, 16, 3
	v_ffbh_u32_e32 v20, v11
	v_min_u32_e32 v20, 32, v20
	v_lshrrev_b32_e32 v14, 19, v12
	v_subrev_u32_e32 v21, 28, v20
	v_and_b32_e32 v14, 15, v14
	v_lshlrev_b32_sdwa v21, v21, v12 dst_sel:DWORD dst_unused:UNUSED_PAD src0_sel:DWORD src1_sel:WORD_1
	v_bfe_u32 v15, v12, 19, 4
	v_sub_u32_e32 v20, 29, v20
	v_and_b32_e32 v21, 7, v21
	v_cmp_eq_u16_e32 vcc, 0, v14
	v_cndmask_b32_e32 v11, v11, v21, vcc
	v_cndmask_b32_e32 v14, v15, v20, vcc
	v_lshlrev_b32_e32 v15, 8, v12
	v_mov_b32_e32 v20, 0x3b800000
	v_lshlrev_b32_e32 v11, 20, v11
	v_and_b32_e32 v15, 0x80000000, v15
	v_lshl_add_u32 v14, v14, 23, v20
	v_or3_b32 v14, v15, v14, v11
.LBB11_600:
	s_or_b64 exec, exec, s[6:7]
	s_nop 0
	v_mfma_f32_16x16x4f32 a[0:3], v10, v14, a[0:3]
	s_movk_i32 s4, 0x7f
	v_cmp_gt_i16_sdwa s[6:7], v16, s4 src0_sel:BYTE_3 src1_sel:DWORD
	s_mov_b64 s[4:5], 0
                                        ; implicit-def: $sgpr10
	s_and_saveexec_b64 s[8:9], s[6:7]
	s_xor_b64 s[6:7], exec, s[8:9]
	s_cbranch_execnz .LBB11_2649
; %bb.601:
	s_or_saveexec_b64 s[6:7], s[6:7]
	v_mov_b32_e32 v10, s10
	s_xor_b64 exec, exec, s[6:7]
	s_cbranch_execnz .LBB11_2652
.LBB11_602:
	s_or_b64 exec, exec, s[6:7]
	s_and_saveexec_b64 s[6:7], s[4:5]
	s_cbranch_execz .LBB11_604
.LBB11_603:
	v_bfe_u32 v10, v16, 24, 3
	v_ffbh_u32_e32 v20, v10
	v_min_u32_e32 v20, 32, v20
	v_lshrrev_b32_e32 v14, 27, v16
	v_subrev_u32_e32 v21, 28, v20
	v_and_b32_e32 v11, 0x80000000, v16
	v_and_b32_e32 v14, 15, v14
	v_bfe_u32 v15, v16, 27, 4
	v_lshlrev_b32_sdwa v16, v21, v16 dst_sel:DWORD dst_unused:UNUSED_PAD src0_sel:DWORD src1_sel:BYTE_3
	v_sub_u32_e32 v20, 29, v20
	v_and_b32_e32 v16, 7, v16
	v_cmp_eq_u16_e32 vcc, 0, v14
	v_cndmask_b32_e32 v10, v10, v16, vcc
	v_cndmask_b32_e32 v14, v15, v20, vcc
	v_mov_b32_e32 v15, 0x3b800000
	v_lshlrev_b32_e32 v10, 20, v10
	v_lshl_add_u32 v14, v14, 23, v15
	v_or3_b32 v10, v11, v14, v10
.LBB11_604:
	s_or_b64 exec, exec, s[6:7]
	s_movk_i32 s4, 0x7f
	v_cmp_gt_i16_sdwa s[6:7], v12, s4 src0_sel:BYTE_3 src1_sel:DWORD
	s_mov_b64 s[4:5], 0
                                        ; implicit-def: $sgpr10
	s_and_saveexec_b64 s[8:9], s[6:7]
	s_xor_b64 s[6:7], exec, s[8:9]
	s_cbranch_execnz .LBB11_2653
; %bb.605:
	s_or_saveexec_b64 s[6:7], s[6:7]
	v_mov_b32_e32 v11, s10
	s_xor_b64 exec, exec, s[6:7]
	s_cbranch_execnz .LBB11_2656
.LBB11_606:
	s_or_b64 exec, exec, s[6:7]
	s_and_saveexec_b64 s[6:7], s[4:5]
	s_cbranch_execz .LBB11_608
.LBB11_607:
	v_bfe_u32 v11, v12, 24, 3
	v_ffbh_u32_e32 v20, v11
	v_min_u32_e32 v20, 32, v20
	v_lshrrev_b32_e32 v15, 27, v12
	v_subrev_u32_e32 v21, 28, v20
	v_and_b32_e32 v14, 0x80000000, v12
	v_and_b32_e32 v15, 15, v15
	v_bfe_u32 v16, v12, 27, 4
	v_lshlrev_b32_sdwa v12, v21, v12 dst_sel:DWORD dst_unused:UNUSED_PAD src0_sel:DWORD src1_sel:BYTE_3
	v_sub_u32_e32 v20, 29, v20
	v_and_b32_e32 v12, 7, v12
	v_cmp_eq_u16_e32 vcc, 0, v15
	v_cndmask_b32_e32 v11, v11, v12, vcc
	v_cndmask_b32_e32 v12, v16, v20, vcc
	v_mov_b32_e32 v15, 0x3b800000
	v_lshlrev_b32_e32 v11, 20, v11
	v_lshl_add_u32 v12, v12, 23, v15
	v_or3_b32 v11, v14, v12, v11
.LBB11_608:
	s_or_b64 exec, exec, s[6:7]
	s_nop 0
	v_mfma_f32_16x16x4f32 a[0:3], v10, v11, a[0:3]
	s_movk_i32 s4, 0x7f
	v_cmp_gt_i16_sdwa s[6:7], v17, s4 src0_sel:BYTE_0 src1_sel:DWORD
	s_mov_b64 s[4:5], 0
                                        ; implicit-def: $sgpr10
	s_and_saveexec_b64 s[8:9], s[6:7]
	s_xor_b64 s[6:7], exec, s[8:9]
	s_cbranch_execnz .LBB11_2657
; %bb.609:
	s_or_saveexec_b64 s[6:7], s[6:7]
	v_mov_b32_e32 v10, s10
	s_xor_b64 exec, exec, s[6:7]
	s_cbranch_execnz .LBB11_2660
.LBB11_610:
	s_or_b64 exec, exec, s[6:7]
	s_and_saveexec_b64 s[6:7], s[4:5]
	s_cbranch_execz .LBB11_612
.LBB11_611:
	v_and_b32_e32 v10, 7, v17
	v_ffbh_u32_e32 v12, v10
	v_min_u32_e32 v12, 32, v12
	v_lshrrev_b16_e32 v11, 3, v17
	v_subrev_u32_e32 v14, 28, v12
	v_and_b32_e32 v11, 15, v11
	v_lshlrev_b32_e32 v14, v14, v17
	v_sub_u32_e32 v12, 29, v12
	v_and_b32_e32 v14, 7, v14
	v_cmp_eq_u16_e32 vcc, 0, v11
	v_cndmask_b32_e32 v10, v10, v14, vcc
	v_cndmask_b32_e32 v11, v11, v12, vcc
	v_lshlrev_b32_e32 v12, 24, v17
	v_mov_b32_e32 v14, 0x3b800000
	v_lshlrev_b32_e32 v10, 20, v10
	v_and_b32_e32 v12, 0x80000000, v12
	v_lshl_add_u32 v11, v11, 23, v14
	v_or3_b32 v10, v12, v11, v10
.LBB11_612:
	s_or_b64 exec, exec, s[6:7]
	s_movk_i32 s4, 0x7f
	v_cmp_gt_i16_sdwa s[6:7], v13, s4 src0_sel:BYTE_0 src1_sel:DWORD
	s_mov_b64 s[4:5], 0
                                        ; implicit-def: $sgpr10
	s_and_saveexec_b64 s[8:9], s[6:7]
	s_xor_b64 s[6:7], exec, s[8:9]
	s_cbranch_execnz .LBB11_2661
; %bb.613:
	s_or_saveexec_b64 s[6:7], s[6:7]
	v_mov_b32_e32 v11, s10
	s_xor_b64 exec, exec, s[6:7]
	s_cbranch_execnz .LBB11_2664
.LBB11_614:
	s_or_b64 exec, exec, s[6:7]
	s_and_saveexec_b64 s[6:7], s[4:5]
	s_cbranch_execz .LBB11_616
.LBB11_615:
	v_and_b32_e32 v11, 7, v13
	v_ffbh_u32_e32 v14, v11
	v_min_u32_e32 v14, 32, v14
	v_lshrrev_b16_e32 v12, 3, v13
	v_subrev_u32_e32 v15, 28, v14
	v_and_b32_e32 v12, 15, v12
	v_lshlrev_b32_e32 v15, v15, v13
	v_sub_u32_e32 v14, 29, v14
	v_and_b32_e32 v15, 7, v15
	v_cmp_eq_u16_e32 vcc, 0, v12
	v_cndmask_b32_e32 v11, v11, v15, vcc
	v_cndmask_b32_e32 v12, v12, v14, vcc
	v_lshlrev_b32_e32 v14, 24, v13
	v_mov_b32_e32 v15, 0x3b800000
	v_lshlrev_b32_e32 v11, 20, v11
	v_and_b32_e32 v14, 0x80000000, v14
	v_lshl_add_u32 v12, v12, 23, v15
	v_or3_b32 v11, v14, v12, v11
.LBB11_616:
	s_or_b64 exec, exec, s[6:7]
	s_nop 0
	v_mfma_f32_16x16x4f32 a[0:3], v10, v11, a[0:3]
	v_lshrrev_b32_e32 v11, 8, v17
	s_movk_i32 s4, 0x7f
	v_cmp_gt_i16_sdwa s[6:7], v11, s4 src0_sel:BYTE_0 src1_sel:DWORD
	s_mov_b64 s[4:5], 0
                                        ; implicit-def: $sgpr10
	s_and_saveexec_b64 s[8:9], s[6:7]
	s_xor_b64 s[6:7], exec, s[8:9]
	s_cbranch_execnz .LBB11_2665
; %bb.617:
	s_or_saveexec_b64 s[6:7], s[6:7]
	v_mov_b32_e32 v10, s10
	s_xor_b64 exec, exec, s[6:7]
	s_cbranch_execnz .LBB11_2668
.LBB11_618:
	s_or_b64 exec, exec, s[6:7]
	s_and_saveexec_b64 s[6:7], s[4:5]
	s_cbranch_execz .LBB11_620
.LBB11_619:
	v_bfe_u32 v10, v17, 8, 3
	v_ffbh_u32_e32 v14, v10
	v_min_u32_e32 v14, 32, v14
	v_lshrrev_b16_e32 v12, 3, v11
	v_subrev_u32_e32 v15, 28, v14
	v_and_b32_e32 v12, 15, v12
	v_lshlrev_b32_e32 v11, v15, v11
	v_sub_u32_e32 v14, 29, v14
	v_and_b32_e32 v11, 7, v11
	v_cmp_eq_u16_e32 vcc, 0, v12
	v_cndmask_b32_e32 v10, v10, v11, vcc
	v_cndmask_b32_e32 v11, v12, v14, vcc
	v_lshlrev_b32_e32 v12, 16, v17
	v_mov_b32_e32 v14, 0x3b800000
	v_lshlrev_b32_e32 v10, 20, v10
	v_and_b32_e32 v12, 0x80000000, v12
	v_lshl_add_u32 v11, v11, 23, v14
	v_or3_b32 v10, v12, v11, v10
.LBB11_620:
	s_or_b64 exec, exec, s[6:7]
	v_lshrrev_b32_e32 v11, 8, v13
	s_movk_i32 s4, 0x7f
	v_cmp_gt_i16_sdwa s[6:7], v11, s4 src0_sel:BYTE_0 src1_sel:DWORD
	s_mov_b64 s[4:5], 0
                                        ; implicit-def: $sgpr10
	s_and_saveexec_b64 s[8:9], s[6:7]
	s_xor_b64 s[6:7], exec, s[8:9]
	s_cbranch_execnz .LBB11_2669
; %bb.621:
	s_or_saveexec_b64 s[6:7], s[6:7]
	v_mov_b32_e32 v12, s10
	s_xor_b64 exec, exec, s[6:7]
	s_cbranch_execnz .LBB11_2672
.LBB11_622:
	s_or_b64 exec, exec, s[6:7]
	s_and_saveexec_b64 s[6:7], s[4:5]
	s_cbranch_execz .LBB11_624
.LBB11_623:
	v_bfe_u32 v12, v13, 8, 3
	v_ffbh_u32_e32 v15, v12
	v_min_u32_e32 v15, 32, v15
	v_lshrrev_b16_e32 v14, 3, v11
	v_subrev_u32_e32 v16, 28, v15
	v_and_b32_e32 v14, 15, v14
	v_lshlrev_b32_e32 v11, v16, v11
	v_sub_u32_e32 v15, 29, v15
	v_and_b32_e32 v11, 7, v11
	v_cmp_eq_u16_e32 vcc, 0, v14
	v_cndmask_b32_e32 v11, v12, v11, vcc
	v_cndmask_b32_e32 v12, v14, v15, vcc
	v_lshlrev_b32_e32 v14, 16, v13
	v_mov_b32_e32 v15, 0x3b800000
	v_lshlrev_b32_e32 v11, 20, v11
	v_and_b32_e32 v14, 0x80000000, v14
	v_lshl_add_u32 v12, v12, 23, v15
	v_or3_b32 v12, v14, v12, v11
.LBB11_624:
	s_or_b64 exec, exec, s[6:7]
	s_nop 0
	v_mfma_f32_16x16x4f32 a[0:3], v10, v12, a[0:3]
	s_movk_i32 s4, 0xff
	v_and_b32_sdwa v11, v17, s4 dst_sel:DWORD dst_unused:UNUSED_PAD src0_sel:WORD_1 src1_sel:DWORD
	s_movk_i32 s4, 0x7f
	v_cmp_lt_i16_e32 vcc, s4, v11
	s_mov_b64 s[4:5], 0
                                        ; implicit-def: $sgpr10
	s_and_saveexec_b64 s[6:7], vcc
	s_xor_b64 s[6:7], exec, s[6:7]
	s_cbranch_execnz .LBB11_2673
; %bb.625:
	s_or_saveexec_b64 s[6:7], s[6:7]
	v_mov_b32_e32 v10, s10
	s_xor_b64 exec, exec, s[6:7]
	s_cbranch_execnz .LBB11_2676
.LBB11_626:
	s_or_b64 exec, exec, s[6:7]
	s_and_saveexec_b64 s[6:7], s[4:5]
	s_cbranch_execz .LBB11_628
.LBB11_627:
	v_bfe_u32 v10, v17, 16, 3
	v_ffbh_u32_e32 v14, v10
	v_min_u32_e32 v14, 32, v14
	v_lshrrev_b32_e32 v11, 19, v17
	v_subrev_u32_e32 v15, 28, v14
	v_and_b32_e32 v11, 15, v11
	v_lshlrev_b32_sdwa v15, v15, v17 dst_sel:DWORD dst_unused:UNUSED_PAD src0_sel:DWORD src1_sel:WORD_1
	v_bfe_u32 v12, v17, 19, 4
	v_sub_u32_e32 v14, 29, v14
	v_and_b32_e32 v15, 7, v15
	v_cmp_eq_u16_e32 vcc, 0, v11
	v_cndmask_b32_e32 v10, v10, v15, vcc
	v_cndmask_b32_e32 v11, v12, v14, vcc
	v_lshlrev_b32_e32 v12, 8, v17
	v_mov_b32_e32 v14, 0x3b800000
	v_lshlrev_b32_e32 v10, 20, v10
	v_and_b32_e32 v12, 0x80000000, v12
	v_lshl_add_u32 v11, v11, 23, v14
	v_or3_b32 v10, v12, v11, v10
.LBB11_628:
	s_or_b64 exec, exec, s[6:7]
	s_movk_i32 s4, 0xff
	v_and_b32_sdwa v11, v13, s4 dst_sel:DWORD dst_unused:UNUSED_PAD src0_sel:WORD_1 src1_sel:DWORD
	s_movk_i32 s4, 0x7f
	v_cmp_lt_i16_e32 vcc, s4, v11
	s_mov_b64 s[4:5], 0
                                        ; implicit-def: $sgpr10
	s_and_saveexec_b64 s[6:7], vcc
	s_xor_b64 s[6:7], exec, s[6:7]
	s_cbranch_execnz .LBB11_2677
; %bb.629:
	s_or_saveexec_b64 s[6:7], s[6:7]
	v_mov_b32_e32 v12, s10
	s_xor_b64 exec, exec, s[6:7]
	s_cbranch_execnz .LBB11_2680
.LBB11_630:
	s_or_b64 exec, exec, s[6:7]
	s_and_saveexec_b64 s[6:7], s[4:5]
	s_cbranch_execz .LBB11_632
.LBB11_631:
	v_bfe_u32 v11, v13, 16, 3
	v_ffbh_u32_e32 v15, v11
	v_min_u32_e32 v15, 32, v15
	v_lshrrev_b32_e32 v12, 19, v13
	v_subrev_u32_e32 v16, 28, v15
	v_and_b32_e32 v12, 15, v12
	v_lshlrev_b32_sdwa v16, v16, v13 dst_sel:DWORD dst_unused:UNUSED_PAD src0_sel:DWORD src1_sel:WORD_1
	v_bfe_u32 v14, v13, 19, 4
	v_sub_u32_e32 v15, 29, v15
	v_and_b32_e32 v16, 7, v16
	v_cmp_eq_u16_e32 vcc, 0, v12
	v_cndmask_b32_e32 v11, v11, v16, vcc
	v_cndmask_b32_e32 v12, v14, v15, vcc
	v_lshlrev_b32_e32 v14, 8, v13
	v_mov_b32_e32 v15, 0x3b800000
	v_lshlrev_b32_e32 v11, 20, v11
	v_and_b32_e32 v14, 0x80000000, v14
	v_lshl_add_u32 v12, v12, 23, v15
	v_or3_b32 v12, v14, v12, v11
.LBB11_632:
	s_or_b64 exec, exec, s[6:7]
	s_nop 0
	v_mfma_f32_16x16x4f32 a[0:3], v10, v12, a[0:3]
	s_movk_i32 s4, 0x7f
	v_cmp_gt_i16_sdwa s[6:7], v17, s4 src0_sel:BYTE_3 src1_sel:DWORD
	s_mov_b64 s[4:5], 0
                                        ; implicit-def: $sgpr10
	s_and_saveexec_b64 s[8:9], s[6:7]
	s_xor_b64 s[6:7], exec, s[8:9]
	s_cbranch_execnz .LBB11_2681
; %bb.633:
	s_or_saveexec_b64 s[6:7], s[6:7]
	v_mov_b32_e32 v10, s10
	s_xor_b64 exec, exec, s[6:7]
	s_cbranch_execnz .LBB11_2684
.LBB11_634:
	s_or_b64 exec, exec, s[6:7]
	s_and_saveexec_b64 s[6:7], s[4:5]
	s_cbranch_execz .LBB11_636
.LBB11_635:
	v_bfe_u32 v10, v17, 24, 3
	v_ffbh_u32_e32 v15, v10
	v_min_u32_e32 v15, 32, v15
	v_lshrrev_b32_e32 v12, 27, v17
	v_subrev_u32_e32 v16, 28, v15
	v_and_b32_e32 v12, 15, v12
	v_lshlrev_b32_sdwa v16, v16, v17 dst_sel:DWORD dst_unused:UNUSED_PAD src0_sel:DWORD src1_sel:BYTE_3
	v_bfe_u32 v14, v17, 27, 4
	v_sub_u32_e32 v15, 29, v15
	v_and_b32_e32 v16, 7, v16
	v_cmp_eq_u16_e32 vcc, 0, v12
	v_cndmask_b32_e32 v10, v10, v16, vcc
	v_cndmask_b32_e32 v12, v14, v15, vcc
	v_mov_b32_e32 v14, 0x3b800000
	v_and_b32_e32 v11, 0x80000000, v17
	v_lshlrev_b32_e32 v10, 20, v10
	v_lshl_add_u32 v12, v12, 23, v14
	v_or3_b32 v10, v11, v12, v10
.LBB11_636:
	s_or_b64 exec, exec, s[6:7]
	s_movk_i32 s4, 0x7f
	v_cmp_gt_i16_sdwa s[6:7], v13, s4 src0_sel:BYTE_3 src1_sel:DWORD
	s_mov_b64 s[4:5], 0
                                        ; implicit-def: $sgpr10
	s_and_saveexec_b64 s[8:9], s[6:7]
	s_xor_b64 s[6:7], exec, s[8:9]
	s_cbranch_execnz .LBB11_2685
; %bb.637:
	s_or_saveexec_b64 s[6:7], s[6:7]
	v_mov_b32_e32 v11, s10
	s_xor_b64 exec, exec, s[6:7]
	s_cbranch_execnz .LBB11_2688
.LBB11_638:
	s_or_b64 exec, exec, s[6:7]
	s_and_saveexec_b64 s[6:7], s[4:5]
	s_cbranch_execz .LBB11_640
.LBB11_639:
	v_bfe_u32 v11, v13, 24, 3
	v_ffbh_u32_e32 v16, v11
	v_min_u32_e32 v16, 32, v16
	v_lshrrev_b32_e32 v14, 27, v13
	v_subrev_u32_e32 v17, 28, v16
	v_and_b32_e32 v12, 0x80000000, v13
	v_and_b32_e32 v14, 15, v14
	v_bfe_u32 v15, v13, 27, 4
	v_lshlrev_b32_sdwa v13, v17, v13 dst_sel:DWORD dst_unused:UNUSED_PAD src0_sel:DWORD src1_sel:BYTE_3
	v_sub_u32_e32 v16, 29, v16
	v_and_b32_e32 v13, 7, v13
	v_cmp_eq_u16_e32 vcc, 0, v14
	v_cndmask_b32_e32 v11, v11, v13, vcc
	v_cndmask_b32_e32 v13, v15, v16, vcc
	v_mov_b32_e32 v14, 0x3b800000
	v_lshlrev_b32_e32 v11, 20, v11
	v_lshl_add_u32 v13, v13, 23, v14
	v_or3_b32 v11, v12, v13, v11
.LBB11_640:
	s_or_b64 exec, exec, s[6:7]
	s_nop 0
	v_mfma_f32_16x16x4f32 a[0:3], v10, v11, a[0:3]
	s_movk_i32 s4, 0x7f
	v_cmp_gt_i16_sdwa s[6:7], v6, s4 src0_sel:BYTE_0 src1_sel:DWORD
	s_mov_b64 s[4:5], 0
                                        ; implicit-def: $sgpr10
	s_and_saveexec_b64 s[8:9], s[6:7]
	s_xor_b64 s[6:7], exec, s[8:9]
	s_cbranch_execnz .LBB11_2689
; %bb.641:
	s_or_saveexec_b64 s[6:7], s[6:7]
	v_mov_b32_e32 v10, s10
	s_xor_b64 exec, exec, s[6:7]
	s_cbranch_execnz .LBB11_2692
.LBB11_642:
	s_or_b64 exec, exec, s[6:7]
	s_and_saveexec_b64 s[6:7], s[4:5]
	s_cbranch_execz .LBB11_644
.LBB11_643:
	v_and_b32_e32 v10, 7, v6
	v_ffbh_u32_e32 v12, v10
	v_min_u32_e32 v12, 32, v12
	v_lshrrev_b16_e32 v11, 3, v6
	v_subrev_u32_e32 v13, 28, v12
	v_and_b32_e32 v11, 15, v11
	v_lshlrev_b32_e32 v13, v13, v6
	v_sub_u32_e32 v12, 29, v12
	v_and_b32_e32 v13, 7, v13
	v_cmp_eq_u16_e32 vcc, 0, v11
	v_cndmask_b32_e32 v10, v10, v13, vcc
	v_cndmask_b32_e32 v11, v11, v12, vcc
	v_lshlrev_b32_e32 v12, 24, v6
	v_mov_b32_e32 v13, 0x3b800000
	v_lshlrev_b32_e32 v10, 20, v10
	v_and_b32_e32 v12, 0x80000000, v12
	v_lshl_add_u32 v11, v11, 23, v13
	v_or3_b32 v10, v12, v11, v10
.LBB11_644:
	s_or_b64 exec, exec, s[6:7]
	s_movk_i32 s4, 0x7f
	v_cmp_gt_i16_sdwa s[6:7], v2, s4 src0_sel:BYTE_0 src1_sel:DWORD
	s_mov_b64 s[4:5], 0
                                        ; implicit-def: $sgpr10
	s_and_saveexec_b64 s[8:9], s[6:7]
	s_xor_b64 s[6:7], exec, s[8:9]
	s_cbranch_execnz .LBB11_2693
; %bb.645:
	s_or_saveexec_b64 s[6:7], s[6:7]
	v_mov_b32_e32 v11, s10
	s_xor_b64 exec, exec, s[6:7]
	s_cbranch_execnz .LBB11_2696
.LBB11_646:
	s_or_b64 exec, exec, s[6:7]
	s_and_saveexec_b64 s[6:7], s[4:5]
	s_cbranch_execz .LBB11_648
.LBB11_647:
	v_and_b32_e32 v11, 7, v2
	v_ffbh_u32_e32 v13, v11
	v_min_u32_e32 v13, 32, v13
	v_lshrrev_b16_e32 v12, 3, v2
	v_subrev_u32_e32 v14, 28, v13
	v_and_b32_e32 v12, 15, v12
	v_lshlrev_b32_e32 v14, v14, v2
	v_sub_u32_e32 v13, 29, v13
	v_and_b32_e32 v14, 7, v14
	v_cmp_eq_u16_e32 vcc, 0, v12
	v_cndmask_b32_e32 v11, v11, v14, vcc
	v_cndmask_b32_e32 v12, v12, v13, vcc
	v_lshlrev_b32_e32 v13, 24, v2
	v_mov_b32_e32 v14, 0x3b800000
	v_lshlrev_b32_e32 v11, 20, v11
	v_and_b32_e32 v13, 0x80000000, v13
	v_lshl_add_u32 v12, v12, 23, v14
	v_or3_b32 v11, v13, v12, v11
.LBB11_648:
	s_or_b64 exec, exec, s[6:7]
	s_nop 0
	v_mfma_f32_16x16x4f32 a[0:3], v10, v11, a[0:3]
	v_lshrrev_b32_e32 v11, 8, v6
	s_movk_i32 s4, 0x7f
	v_cmp_gt_i16_sdwa s[6:7], v11, s4 src0_sel:BYTE_0 src1_sel:DWORD
	s_mov_b64 s[4:5], 0
                                        ; implicit-def: $sgpr10
	s_and_saveexec_b64 s[8:9], s[6:7]
	s_xor_b64 s[6:7], exec, s[8:9]
	s_cbranch_execnz .LBB11_2697
; %bb.649:
	s_or_saveexec_b64 s[6:7], s[6:7]
	v_mov_b32_e32 v10, s10
	s_xor_b64 exec, exec, s[6:7]
	s_cbranch_execnz .LBB11_2700
.LBB11_650:
	s_or_b64 exec, exec, s[6:7]
	s_and_saveexec_b64 s[6:7], s[4:5]
	s_cbranch_execz .LBB11_652
.LBB11_651:
	v_bfe_u32 v10, v6, 8, 3
	v_ffbh_u32_e32 v13, v10
	v_min_u32_e32 v13, 32, v13
	v_lshrrev_b16_e32 v12, 3, v11
	v_subrev_u32_e32 v14, 28, v13
	v_and_b32_e32 v12, 15, v12
	v_lshlrev_b32_e32 v11, v14, v11
	v_sub_u32_e32 v13, 29, v13
	v_and_b32_e32 v11, 7, v11
	v_cmp_eq_u16_e32 vcc, 0, v12
	v_cndmask_b32_e32 v10, v10, v11, vcc
	v_cndmask_b32_e32 v11, v12, v13, vcc
	v_lshlrev_b32_e32 v12, 16, v6
	v_mov_b32_e32 v13, 0x3b800000
	v_lshlrev_b32_e32 v10, 20, v10
	v_and_b32_e32 v12, 0x80000000, v12
	v_lshl_add_u32 v11, v11, 23, v13
	v_or3_b32 v10, v12, v11, v10
.LBB11_652:
	s_or_b64 exec, exec, s[6:7]
	v_lshrrev_b32_e32 v11, 8, v2
	s_movk_i32 s4, 0x7f
	v_cmp_gt_i16_sdwa s[6:7], v11, s4 src0_sel:BYTE_0 src1_sel:DWORD
	s_mov_b64 s[4:5], 0
                                        ; implicit-def: $sgpr10
	s_and_saveexec_b64 s[8:9], s[6:7]
	s_xor_b64 s[6:7], exec, s[8:9]
	s_cbranch_execnz .LBB11_2701
; %bb.653:
	s_or_saveexec_b64 s[6:7], s[6:7]
	v_mov_b32_e32 v12, s10
	s_xor_b64 exec, exec, s[6:7]
	s_cbranch_execnz .LBB11_2704
.LBB11_654:
	s_or_b64 exec, exec, s[6:7]
	s_and_saveexec_b64 s[6:7], s[4:5]
	s_cbranch_execz .LBB11_656
.LBB11_655:
	v_bfe_u32 v12, v2, 8, 3
	v_ffbh_u32_e32 v14, v12
	v_min_u32_e32 v14, 32, v14
	v_lshrrev_b16_e32 v13, 3, v11
	v_subrev_u32_e32 v15, 28, v14
	v_and_b32_e32 v13, 15, v13
	v_lshlrev_b32_e32 v11, v15, v11
	v_sub_u32_e32 v14, 29, v14
	v_and_b32_e32 v11, 7, v11
	v_cmp_eq_u16_e32 vcc, 0, v13
	v_cndmask_b32_e32 v11, v12, v11, vcc
	v_cndmask_b32_e32 v12, v13, v14, vcc
	v_lshlrev_b32_e32 v13, 16, v2
	v_mov_b32_e32 v14, 0x3b800000
	v_lshlrev_b32_e32 v11, 20, v11
	v_and_b32_e32 v13, 0x80000000, v13
	v_lshl_add_u32 v12, v12, 23, v14
	v_or3_b32 v12, v13, v12, v11
.LBB11_656:
	s_or_b64 exec, exec, s[6:7]
	s_nop 0
	v_mfma_f32_16x16x4f32 a[0:3], v10, v12, a[0:3]
	s_movk_i32 s4, 0xff
	v_and_b32_sdwa v11, v6, s4 dst_sel:DWORD dst_unused:UNUSED_PAD src0_sel:WORD_1 src1_sel:DWORD
	s_movk_i32 s4, 0x7f
	v_cmp_lt_i16_e32 vcc, s4, v11
	s_mov_b64 s[4:5], 0
                                        ; implicit-def: $sgpr10
	s_and_saveexec_b64 s[6:7], vcc
	s_xor_b64 s[6:7], exec, s[6:7]
	s_cbranch_execnz .LBB11_2705
; %bb.657:
	s_or_saveexec_b64 s[6:7], s[6:7]
	v_mov_b32_e32 v10, s10
	s_xor_b64 exec, exec, s[6:7]
	s_cbranch_execnz .LBB11_2708
.LBB11_658:
	s_or_b64 exec, exec, s[6:7]
	s_and_saveexec_b64 s[6:7], s[4:5]
	s_cbranch_execz .LBB11_660
.LBB11_659:
	v_bfe_u32 v10, v6, 16, 3
	v_ffbh_u32_e32 v13, v10
	v_min_u32_e32 v13, 32, v13
	v_lshrrev_b32_e32 v11, 19, v6
	v_subrev_u32_e32 v14, 28, v13
	v_and_b32_e32 v11, 15, v11
	v_lshlrev_b32_sdwa v14, v14, v6 dst_sel:DWORD dst_unused:UNUSED_PAD src0_sel:DWORD src1_sel:WORD_1
	v_bfe_u32 v12, v6, 19, 4
	v_sub_u32_e32 v13, 29, v13
	v_and_b32_e32 v14, 7, v14
	v_cmp_eq_u16_e32 vcc, 0, v11
	v_cndmask_b32_e32 v10, v10, v14, vcc
	v_cndmask_b32_e32 v11, v12, v13, vcc
	v_lshlrev_b32_e32 v12, 8, v6
	v_mov_b32_e32 v13, 0x3b800000
	v_lshlrev_b32_e32 v10, 20, v10
	v_and_b32_e32 v12, 0x80000000, v12
	v_lshl_add_u32 v11, v11, 23, v13
	v_or3_b32 v10, v12, v11, v10
.LBB11_660:
	s_or_b64 exec, exec, s[6:7]
	s_movk_i32 s4, 0xff
	v_and_b32_sdwa v11, v2, s4 dst_sel:DWORD dst_unused:UNUSED_PAD src0_sel:WORD_1 src1_sel:DWORD
	s_movk_i32 s4, 0x7f
	v_cmp_lt_i16_e32 vcc, s4, v11
	s_mov_b64 s[4:5], 0
                                        ; implicit-def: $sgpr10
	s_and_saveexec_b64 s[6:7], vcc
	s_xor_b64 s[6:7], exec, s[6:7]
	s_cbranch_execnz .LBB11_2709
; %bb.661:
	s_or_saveexec_b64 s[6:7], s[6:7]
	v_mov_b32_e32 v12, s10
	s_xor_b64 exec, exec, s[6:7]
	s_cbranch_execnz .LBB11_2712
.LBB11_662:
	s_or_b64 exec, exec, s[6:7]
	s_and_saveexec_b64 s[6:7], s[4:5]
	s_cbranch_execz .LBB11_664
.LBB11_663:
	v_bfe_u32 v11, v2, 16, 3
	v_ffbh_u32_e32 v14, v11
	v_min_u32_e32 v14, 32, v14
	v_lshrrev_b32_e32 v12, 19, v2
	v_subrev_u32_e32 v15, 28, v14
	v_and_b32_e32 v12, 15, v12
	v_lshlrev_b32_sdwa v15, v15, v2 dst_sel:DWORD dst_unused:UNUSED_PAD src0_sel:DWORD src1_sel:WORD_1
	v_bfe_u32 v13, v2, 19, 4
	v_sub_u32_e32 v14, 29, v14
	v_and_b32_e32 v15, 7, v15
	v_cmp_eq_u16_e32 vcc, 0, v12
	v_cndmask_b32_e32 v11, v11, v15, vcc
	v_cndmask_b32_e32 v12, v13, v14, vcc
	v_lshlrev_b32_e32 v13, 8, v2
	v_mov_b32_e32 v14, 0x3b800000
	v_lshlrev_b32_e32 v11, 20, v11
	v_and_b32_e32 v13, 0x80000000, v13
	v_lshl_add_u32 v12, v12, 23, v14
	v_or3_b32 v12, v13, v12, v11
.LBB11_664:
	s_or_b64 exec, exec, s[6:7]
	s_nop 0
	v_mfma_f32_16x16x4f32 a[0:3], v10, v12, a[0:3]
	s_movk_i32 s4, 0x7f
	v_cmp_gt_i16_sdwa s[6:7], v6, s4 src0_sel:BYTE_3 src1_sel:DWORD
	s_mov_b64 s[4:5], 0
                                        ; implicit-def: $sgpr10
	s_and_saveexec_b64 s[8:9], s[6:7]
	s_xor_b64 s[6:7], exec, s[8:9]
	s_cbranch_execnz .LBB11_2713
; %bb.665:
	s_or_saveexec_b64 s[6:7], s[6:7]
	v_mov_b32_e32 v10, s10
	s_xor_b64 exec, exec, s[6:7]
	s_cbranch_execnz .LBB11_2716
.LBB11_666:
	s_or_b64 exec, exec, s[6:7]
	s_and_saveexec_b64 s[6:7], s[4:5]
	s_cbranch_execz .LBB11_668
.LBB11_667:
	v_bfe_u32 v10, v6, 24, 3
	v_ffbh_u32_e32 v14, v10
	v_min_u32_e32 v14, 32, v14
	v_lshrrev_b32_e32 v12, 27, v6
	v_subrev_u32_e32 v15, 28, v14
	v_and_b32_e32 v11, 0x80000000, v6
	v_and_b32_e32 v12, 15, v12
	v_bfe_u32 v13, v6, 27, 4
	v_lshlrev_b32_sdwa v6, v15, v6 dst_sel:DWORD dst_unused:UNUSED_PAD src0_sel:DWORD src1_sel:BYTE_3
	v_sub_u32_e32 v14, 29, v14
	v_and_b32_e32 v6, 7, v6
	v_cmp_eq_u16_e32 vcc, 0, v12
	v_cndmask_b32_e32 v6, v10, v6, vcc
	v_cndmask_b32_e32 v10, v13, v14, vcc
	v_mov_b32_e32 v12, 0x3b800000
	v_lshlrev_b32_e32 v6, 20, v6
	v_lshl_add_u32 v10, v10, 23, v12
	v_or3_b32 v10, v11, v10, v6
.LBB11_668:
	s_or_b64 exec, exec, s[6:7]
	s_movk_i32 s4, 0x7f
	v_cmp_gt_i16_sdwa s[6:7], v2, s4 src0_sel:BYTE_3 src1_sel:DWORD
	s_mov_b64 s[4:5], 0
                                        ; implicit-def: $sgpr10
	s_and_saveexec_b64 s[8:9], s[6:7]
	s_xor_b64 s[6:7], exec, s[8:9]
	s_cbranch_execnz .LBB11_2717
; %bb.669:
	s_or_saveexec_b64 s[6:7], s[6:7]
	v_mov_b32_e32 v6, s10
	s_xor_b64 exec, exec, s[6:7]
	s_cbranch_execnz .LBB11_2720
.LBB11_670:
	s_or_b64 exec, exec, s[6:7]
	s_and_saveexec_b64 s[6:7], s[4:5]
	s_cbranch_execz .LBB11_672
.LBB11_671:
	v_bfe_u32 v6, v2, 24, 3
	v_ffbh_u32_e32 v14, v6
	v_min_u32_e32 v14, 32, v14
	v_lshrrev_b32_e32 v12, 27, v2
	v_subrev_u32_e32 v15, 28, v14
	v_and_b32_e32 v11, 0x80000000, v2
	v_and_b32_e32 v12, 15, v12
	v_bfe_u32 v13, v2, 27, 4
	v_lshlrev_b32_sdwa v2, v15, v2 dst_sel:DWORD dst_unused:UNUSED_PAD src0_sel:DWORD src1_sel:BYTE_3
	v_sub_u32_e32 v14, 29, v14
	v_and_b32_e32 v2, 7, v2
	v_cmp_eq_u16_e32 vcc, 0, v12
	v_cndmask_b32_e32 v2, v6, v2, vcc
	v_cndmask_b32_e32 v6, v13, v14, vcc
	v_mov_b32_e32 v12, 0x3b800000
	v_lshlrev_b32_e32 v2, 20, v2
	v_lshl_add_u32 v6, v6, 23, v12
	v_or3_b32 v6, v11, v6, v2
.LBB11_672:
	s_or_b64 exec, exec, s[6:7]
	s_nop 0
	v_mfma_f32_16x16x4f32 a[0:3], v10, v6, a[0:3]
	s_movk_i32 s4, 0x7f
	v_cmp_gt_i16_sdwa s[6:7], v7, s4 src0_sel:BYTE_0 src1_sel:DWORD
	s_mov_b64 s[4:5], 0
                                        ; implicit-def: $sgpr10
	s_and_saveexec_b64 s[8:9], s[6:7]
	s_xor_b64 s[6:7], exec, s[8:9]
	s_cbranch_execnz .LBB11_2721
; %bb.673:
	s_or_saveexec_b64 s[6:7], s[6:7]
	v_mov_b32_e32 v2, s10
	s_xor_b64 exec, exec, s[6:7]
	s_cbranch_execnz .LBB11_2724
.LBB11_674:
	s_or_b64 exec, exec, s[6:7]
	s_and_saveexec_b64 s[6:7], s[4:5]
	s_cbranch_execz .LBB11_676
.LBB11_675:
	v_and_b32_e32 v2, 7, v7
	v_ffbh_u32_e32 v10, v2
	v_min_u32_e32 v10, 32, v10
	v_lshrrev_b16_e32 v6, 3, v7
	v_subrev_u32_e32 v11, 28, v10
	v_and_b32_e32 v6, 15, v6
	v_lshlrev_b32_e32 v11, v11, v7
	v_sub_u32_e32 v10, 29, v10
	v_and_b32_e32 v11, 7, v11
	v_cmp_eq_u16_e32 vcc, 0, v6
	v_cndmask_b32_e32 v2, v2, v11, vcc
	v_cndmask_b32_e32 v6, v6, v10, vcc
	v_lshlrev_b32_e32 v10, 24, v7
	v_mov_b32_e32 v11, 0x3b800000
	v_lshlrev_b32_e32 v2, 20, v2
	v_and_b32_e32 v10, 0x80000000, v10
	v_lshl_add_u32 v6, v6, 23, v11
	v_or3_b32 v2, v10, v6, v2
.LBB11_676:
	s_or_b64 exec, exec, s[6:7]
	s_movk_i32 s4, 0x7f
	v_cmp_gt_i16_sdwa s[6:7], v3, s4 src0_sel:BYTE_0 src1_sel:DWORD
	s_mov_b64 s[4:5], 0
                                        ; implicit-def: $sgpr10
	s_and_saveexec_b64 s[8:9], s[6:7]
	s_xor_b64 s[6:7], exec, s[8:9]
	s_cbranch_execnz .LBB11_2725
; %bb.677:
	s_or_saveexec_b64 s[6:7], s[6:7]
	v_mov_b32_e32 v6, s10
	s_xor_b64 exec, exec, s[6:7]
	s_cbranch_execnz .LBB11_2728
.LBB11_678:
	s_or_b64 exec, exec, s[6:7]
	s_and_saveexec_b64 s[6:7], s[4:5]
	s_cbranch_execz .LBB11_680
.LBB11_679:
	v_and_b32_e32 v6, 7, v3
	v_ffbh_u32_e32 v11, v6
	v_min_u32_e32 v11, 32, v11
	v_lshrrev_b16_e32 v10, 3, v3
	v_subrev_u32_e32 v12, 28, v11
	v_and_b32_e32 v10, 15, v10
	v_lshlrev_b32_e32 v12, v12, v3
	v_sub_u32_e32 v11, 29, v11
	v_and_b32_e32 v12, 7, v12
	v_cmp_eq_u16_e32 vcc, 0, v10
	v_cndmask_b32_e32 v6, v6, v12, vcc
	v_cndmask_b32_e32 v10, v10, v11, vcc
	v_lshlrev_b32_e32 v11, 24, v3
	v_mov_b32_e32 v12, 0x3b800000
	v_lshlrev_b32_e32 v6, 20, v6
	v_and_b32_e32 v11, 0x80000000, v11
	v_lshl_add_u32 v10, v10, 23, v12
	v_or3_b32 v6, v11, v10, v6
.LBB11_680:
	s_or_b64 exec, exec, s[6:7]
	s_nop 0
	v_mfma_f32_16x16x4f32 a[0:3], v2, v6, a[0:3]
	v_lshrrev_b32_e32 v6, 8, v7
	s_movk_i32 s4, 0x7f
	v_cmp_gt_i16_sdwa s[6:7], v6, s4 src0_sel:BYTE_0 src1_sel:DWORD
	s_mov_b64 s[4:5], 0
                                        ; implicit-def: $sgpr10
	s_and_saveexec_b64 s[8:9], s[6:7]
	s_xor_b64 s[6:7], exec, s[8:9]
	s_cbranch_execnz .LBB11_2729
; %bb.681:
	s_or_saveexec_b64 s[6:7], s[6:7]
	v_mov_b32_e32 v2, s10
	s_xor_b64 exec, exec, s[6:7]
	s_cbranch_execnz .LBB11_2732
.LBB11_682:
	s_or_b64 exec, exec, s[6:7]
	s_and_saveexec_b64 s[6:7], s[4:5]
	s_cbranch_execz .LBB11_684
.LBB11_683:
	v_bfe_u32 v2, v7, 8, 3
	v_ffbh_u32_e32 v11, v2
	v_min_u32_e32 v11, 32, v11
	v_lshrrev_b16_e32 v10, 3, v6
	v_subrev_u32_e32 v12, 28, v11
	v_and_b32_e32 v10, 15, v10
	v_lshlrev_b32_e32 v6, v12, v6
	v_sub_u32_e32 v11, 29, v11
	v_and_b32_e32 v6, 7, v6
	v_cmp_eq_u16_e32 vcc, 0, v10
	v_cndmask_b32_e32 v2, v2, v6, vcc
	v_cndmask_b32_e32 v6, v10, v11, vcc
	v_lshlrev_b32_e32 v10, 16, v7
	v_mov_b32_e32 v11, 0x3b800000
	v_lshlrev_b32_e32 v2, 20, v2
	v_and_b32_e32 v10, 0x80000000, v10
	v_lshl_add_u32 v6, v6, 23, v11
	v_or3_b32 v2, v10, v6, v2
.LBB11_684:
	s_or_b64 exec, exec, s[6:7]
	v_lshrrev_b32_e32 v6, 8, v3
	s_movk_i32 s4, 0x7f
	v_cmp_gt_i16_sdwa s[6:7], v6, s4 src0_sel:BYTE_0 src1_sel:DWORD
	s_mov_b64 s[4:5], 0
                                        ; implicit-def: $sgpr10
	s_and_saveexec_b64 s[8:9], s[6:7]
	s_xor_b64 s[6:7], exec, s[8:9]
	s_cbranch_execnz .LBB11_2733
; %bb.685:
	s_or_saveexec_b64 s[6:7], s[6:7]
	v_mov_b32_e32 v10, s10
	s_xor_b64 exec, exec, s[6:7]
	s_cbranch_execnz .LBB11_2736
.LBB11_686:
	s_or_b64 exec, exec, s[6:7]
	s_and_saveexec_b64 s[6:7], s[4:5]
	s_cbranch_execz .LBB11_688
.LBB11_687:
	v_bfe_u32 v10, v3, 8, 3
	v_ffbh_u32_e32 v12, v10
	v_min_u32_e32 v12, 32, v12
	v_lshrrev_b16_e32 v11, 3, v6
	v_subrev_u32_e32 v13, 28, v12
	v_and_b32_e32 v11, 15, v11
	v_lshlrev_b32_e32 v6, v13, v6
	v_sub_u32_e32 v12, 29, v12
	v_and_b32_e32 v6, 7, v6
	v_cmp_eq_u16_e32 vcc, 0, v11
	v_cndmask_b32_e32 v6, v10, v6, vcc
	v_cndmask_b32_e32 v10, v11, v12, vcc
	v_lshlrev_b32_e32 v11, 16, v3
	v_mov_b32_e32 v12, 0x3b800000
	v_lshlrev_b32_e32 v6, 20, v6
	v_and_b32_e32 v11, 0x80000000, v11
	v_lshl_add_u32 v10, v10, 23, v12
	v_or3_b32 v10, v11, v10, v6
.LBB11_688:
	s_or_b64 exec, exec, s[6:7]
	s_nop 0
	v_mfma_f32_16x16x4f32 a[0:3], v2, v10, a[0:3]
	s_movk_i32 s4, 0xff
	v_and_b32_sdwa v6, v7, s4 dst_sel:DWORD dst_unused:UNUSED_PAD src0_sel:WORD_1 src1_sel:DWORD
	s_movk_i32 s4, 0x7f
	v_cmp_lt_i16_e32 vcc, s4, v6
	s_mov_b64 s[4:5], 0
                                        ; implicit-def: $sgpr10
	s_and_saveexec_b64 s[6:7], vcc
	s_xor_b64 s[6:7], exec, s[6:7]
	s_cbranch_execnz .LBB11_2737
; %bb.689:
	s_or_saveexec_b64 s[6:7], s[6:7]
	v_mov_b32_e32 v2, s10
	s_xor_b64 exec, exec, s[6:7]
	s_cbranch_execnz .LBB11_2740
.LBB11_690:
	s_or_b64 exec, exec, s[6:7]
	s_and_saveexec_b64 s[6:7], s[4:5]
	s_cbranch_execz .LBB11_692
.LBB11_691:
	v_bfe_u32 v2, v7, 16, 3
	v_ffbh_u32_e32 v11, v2
	v_min_u32_e32 v11, 32, v11
	v_lshrrev_b32_e32 v6, 19, v7
	v_subrev_u32_e32 v12, 28, v11
	v_and_b32_e32 v6, 15, v6
	v_lshlrev_b32_sdwa v12, v12, v7 dst_sel:DWORD dst_unused:UNUSED_PAD src0_sel:DWORD src1_sel:WORD_1
	v_bfe_u32 v10, v7, 19, 4
	v_sub_u32_e32 v11, 29, v11
	v_and_b32_e32 v12, 7, v12
	v_cmp_eq_u16_e32 vcc, 0, v6
	v_cndmask_b32_e32 v2, v2, v12, vcc
	v_cndmask_b32_e32 v6, v10, v11, vcc
	v_lshlrev_b32_e32 v10, 8, v7
	v_mov_b32_e32 v11, 0x3b800000
	v_lshlrev_b32_e32 v2, 20, v2
	v_and_b32_e32 v10, 0x80000000, v10
	v_lshl_add_u32 v6, v6, 23, v11
	v_or3_b32 v2, v10, v6, v2
.LBB11_692:
	s_or_b64 exec, exec, s[6:7]
	s_movk_i32 s4, 0xff
	v_and_b32_sdwa v6, v3, s4 dst_sel:DWORD dst_unused:UNUSED_PAD src0_sel:WORD_1 src1_sel:DWORD
	s_movk_i32 s4, 0x7f
	v_cmp_lt_i16_e32 vcc, s4, v6
	s_mov_b64 s[4:5], 0
                                        ; implicit-def: $sgpr10
	s_and_saveexec_b64 s[6:7], vcc
	s_xor_b64 s[6:7], exec, s[6:7]
	s_cbranch_execnz .LBB11_2741
; %bb.693:
	s_or_saveexec_b64 s[6:7], s[6:7]
	v_mov_b32_e32 v10, s10
	s_xor_b64 exec, exec, s[6:7]
	s_cbranch_execnz .LBB11_2744
.LBB11_694:
	s_or_b64 exec, exec, s[6:7]
	s_and_saveexec_b64 s[6:7], s[4:5]
	s_cbranch_execz .LBB11_696
.LBB11_695:
	v_bfe_u32 v6, v3, 16, 3
	v_ffbh_u32_e32 v12, v6
	v_min_u32_e32 v12, 32, v12
	v_lshrrev_b32_e32 v10, 19, v3
	v_subrev_u32_e32 v13, 28, v12
	v_and_b32_e32 v10, 15, v10
	v_lshlrev_b32_sdwa v13, v13, v3 dst_sel:DWORD dst_unused:UNUSED_PAD src0_sel:DWORD src1_sel:WORD_1
	v_bfe_u32 v11, v3, 19, 4
	v_sub_u32_e32 v12, 29, v12
	v_and_b32_e32 v13, 7, v13
	v_cmp_eq_u16_e32 vcc, 0, v10
	v_cndmask_b32_e32 v6, v6, v13, vcc
	v_cndmask_b32_e32 v10, v11, v12, vcc
	v_lshlrev_b32_e32 v11, 8, v3
	v_mov_b32_e32 v12, 0x3b800000
	v_lshlrev_b32_e32 v6, 20, v6
	v_and_b32_e32 v11, 0x80000000, v11
	v_lshl_add_u32 v10, v10, 23, v12
	v_or3_b32 v10, v11, v10, v6
.LBB11_696:
	s_or_b64 exec, exec, s[6:7]
	s_nop 0
	v_mfma_f32_16x16x4f32 a[0:3], v2, v10, a[0:3]
	s_movk_i32 s4, 0x7f
	v_cmp_gt_i16_sdwa s[6:7], v7, s4 src0_sel:BYTE_3 src1_sel:DWORD
	s_mov_b64 s[4:5], 0
                                        ; implicit-def: $sgpr10
	s_and_saveexec_b64 s[8:9], s[6:7]
	s_xor_b64 s[6:7], exec, s[8:9]
	s_cbranch_execnz .LBB11_2745
; %bb.697:
	s_or_saveexec_b64 s[6:7], s[6:7]
	v_mov_b32_e32 v2, s10
	s_xor_b64 exec, exec, s[6:7]
	s_cbranch_execnz .LBB11_2748
.LBB11_698:
	s_or_b64 exec, exec, s[6:7]
	s_and_saveexec_b64 s[6:7], s[4:5]
	s_cbranch_execz .LBB11_700
.LBB11_699:
	v_bfe_u32 v2, v7, 24, 3
	v_ffbh_u32_e32 v12, v2
	v_min_u32_e32 v12, 32, v12
	v_lshrrev_b32_e32 v10, 27, v7
	v_subrev_u32_e32 v13, 28, v12
	v_and_b32_e32 v6, 0x80000000, v7
	v_and_b32_e32 v10, 15, v10
	v_bfe_u32 v11, v7, 27, 4
	v_lshlrev_b32_sdwa v7, v13, v7 dst_sel:DWORD dst_unused:UNUSED_PAD src0_sel:DWORD src1_sel:BYTE_3
	v_sub_u32_e32 v12, 29, v12
	v_and_b32_e32 v7, 7, v7
	v_cmp_eq_u16_e32 vcc, 0, v10
	v_cndmask_b32_e32 v2, v2, v7, vcc
	v_cndmask_b32_e32 v7, v11, v12, vcc
	v_mov_b32_e32 v10, 0x3b800000
	v_lshlrev_b32_e32 v2, 20, v2
	v_lshl_add_u32 v7, v7, 23, v10
	v_or3_b32 v2, v6, v7, v2
.LBB11_700:
	s_or_b64 exec, exec, s[6:7]
	s_movk_i32 s4, 0x7f
	v_cmp_gt_i16_sdwa s[6:7], v3, s4 src0_sel:BYTE_3 src1_sel:DWORD
	s_mov_b64 s[4:5], 0
                                        ; implicit-def: $sgpr10
	s_and_saveexec_b64 s[8:9], s[6:7]
	s_xor_b64 s[6:7], exec, s[8:9]
	s_cbranch_execnz .LBB11_2749
; %bb.701:
	s_or_saveexec_b64 s[6:7], s[6:7]
	v_mov_b32_e32 v6, s10
	s_xor_b64 exec, exec, s[6:7]
	s_cbranch_execnz .LBB11_2752
.LBB11_702:
	s_or_b64 exec, exec, s[6:7]
	s_and_saveexec_b64 s[6:7], s[4:5]
	s_cbranch_execz .LBB11_704
.LBB11_703:
	v_bfe_u32 v6, v3, 24, 3
	v_ffbh_u32_e32 v12, v6
	v_min_u32_e32 v12, 32, v12
	v_lshrrev_b32_e32 v10, 27, v3
	v_subrev_u32_e32 v13, 28, v12
	v_and_b32_e32 v7, 0x80000000, v3
	v_and_b32_e32 v10, 15, v10
	v_bfe_u32 v11, v3, 27, 4
	v_lshlrev_b32_sdwa v3, v13, v3 dst_sel:DWORD dst_unused:UNUSED_PAD src0_sel:DWORD src1_sel:BYTE_3
	v_sub_u32_e32 v12, 29, v12
	v_and_b32_e32 v3, 7, v3
	v_cmp_eq_u16_e32 vcc, 0, v10
	v_cndmask_b32_e32 v3, v6, v3, vcc
	v_cndmask_b32_e32 v6, v11, v12, vcc
	v_mov_b32_e32 v10, 0x3b800000
	v_lshlrev_b32_e32 v3, 20, v3
	v_lshl_add_u32 v6, v6, 23, v10
	v_or3_b32 v6, v7, v6, v3
.LBB11_704:
	s_or_b64 exec, exec, s[6:7]
	s_nop 0
	v_mfma_f32_16x16x4f32 a[0:3], v2, v6, a[0:3]
	s_movk_i32 s4, 0x7f
	v_cmp_gt_i16_sdwa s[6:7], v8, s4 src0_sel:BYTE_0 src1_sel:DWORD
	s_mov_b64 s[4:5], 0
                                        ; implicit-def: $sgpr10
	s_and_saveexec_b64 s[8:9], s[6:7]
	s_xor_b64 s[6:7], exec, s[8:9]
	s_cbranch_execnz .LBB11_2753
; %bb.705:
	s_or_saveexec_b64 s[6:7], s[6:7]
	v_mov_b32_e32 v2, s10
	s_xor_b64 exec, exec, s[6:7]
	s_cbranch_execnz .LBB11_2756
.LBB11_706:
	s_or_b64 exec, exec, s[6:7]
	s_and_saveexec_b64 s[6:7], s[4:5]
	s_cbranch_execz .LBB11_708
.LBB11_707:
	v_and_b32_e32 v2, 7, v8
	v_ffbh_u32_e32 v6, v2
	v_min_u32_e32 v6, 32, v6
	v_lshrrev_b16_e32 v3, 3, v8
	v_subrev_u32_e32 v7, 28, v6
	v_and_b32_e32 v3, 15, v3
	v_lshlrev_b32_e32 v7, v7, v8
	v_sub_u32_e32 v6, 29, v6
	v_and_b32_e32 v7, 7, v7
	v_cmp_eq_u16_e32 vcc, 0, v3
	v_cndmask_b32_e32 v2, v2, v7, vcc
	v_cndmask_b32_e32 v3, v3, v6, vcc
	v_lshlrev_b32_e32 v6, 24, v8
	v_mov_b32_e32 v7, 0x3b800000
	v_lshlrev_b32_e32 v2, 20, v2
	v_and_b32_e32 v6, 0x80000000, v6
	v_lshl_add_u32 v3, v3, 23, v7
	v_or3_b32 v2, v6, v3, v2
.LBB11_708:
	s_or_b64 exec, exec, s[6:7]
	s_movk_i32 s4, 0x7f
	v_cmp_gt_i16_sdwa s[6:7], v4, s4 src0_sel:BYTE_0 src1_sel:DWORD
	s_mov_b64 s[4:5], 0
                                        ; implicit-def: $sgpr10
	s_and_saveexec_b64 s[8:9], s[6:7]
	s_xor_b64 s[6:7], exec, s[8:9]
	s_cbranch_execnz .LBB11_2757
; %bb.709:
	s_or_saveexec_b64 s[6:7], s[6:7]
	v_mov_b32_e32 v3, s10
	s_xor_b64 exec, exec, s[6:7]
	s_cbranch_execnz .LBB11_2760
.LBB11_710:
	s_or_b64 exec, exec, s[6:7]
	s_and_saveexec_b64 s[6:7], s[4:5]
	s_cbranch_execz .LBB11_712
.LBB11_711:
	v_and_b32_e32 v3, 7, v4
	v_ffbh_u32_e32 v7, v3
	v_min_u32_e32 v7, 32, v7
	v_lshrrev_b16_e32 v6, 3, v4
	v_subrev_u32_e32 v10, 28, v7
	v_and_b32_e32 v6, 15, v6
	v_lshlrev_b32_e32 v10, v10, v4
	v_sub_u32_e32 v7, 29, v7
	v_and_b32_e32 v10, 7, v10
	v_cmp_eq_u16_e32 vcc, 0, v6
	v_cndmask_b32_e32 v3, v3, v10, vcc
	v_cndmask_b32_e32 v6, v6, v7, vcc
	v_lshlrev_b32_e32 v7, 24, v4
	v_mov_b32_e32 v10, 0x3b800000
	v_lshlrev_b32_e32 v3, 20, v3
	v_and_b32_e32 v7, 0x80000000, v7
	v_lshl_add_u32 v6, v6, 23, v10
	v_or3_b32 v3, v7, v6, v3
.LBB11_712:
	s_or_b64 exec, exec, s[6:7]
	s_nop 0
	v_mfma_f32_16x16x4f32 a[0:3], v2, v3, a[0:3]
	v_lshrrev_b32_e32 v3, 8, v8
	s_movk_i32 s4, 0x7f
	v_cmp_gt_i16_sdwa s[6:7], v3, s4 src0_sel:BYTE_0 src1_sel:DWORD
	s_mov_b64 s[4:5], 0
                                        ; implicit-def: $sgpr10
	s_and_saveexec_b64 s[8:9], s[6:7]
	s_xor_b64 s[6:7], exec, s[8:9]
	s_cbranch_execnz .LBB11_2761
; %bb.713:
	s_or_saveexec_b64 s[6:7], s[6:7]
	v_mov_b32_e32 v2, s10
	s_xor_b64 exec, exec, s[6:7]
	s_cbranch_execnz .LBB11_2764
.LBB11_714:
	s_or_b64 exec, exec, s[6:7]
	s_and_saveexec_b64 s[6:7], s[4:5]
	s_cbranch_execz .LBB11_716
.LBB11_715:
	v_bfe_u32 v2, v8, 8, 3
	v_ffbh_u32_e32 v7, v2
	v_min_u32_e32 v7, 32, v7
	v_lshrrev_b16_e32 v6, 3, v3
	v_subrev_u32_e32 v10, 28, v7
	v_and_b32_e32 v6, 15, v6
	v_lshlrev_b32_e32 v3, v10, v3
	v_sub_u32_e32 v7, 29, v7
	v_and_b32_e32 v3, 7, v3
	v_cmp_eq_u16_e32 vcc, 0, v6
	v_cndmask_b32_e32 v2, v2, v3, vcc
	v_cndmask_b32_e32 v3, v6, v7, vcc
	v_lshlrev_b32_e32 v6, 16, v8
	v_mov_b32_e32 v7, 0x3b800000
	v_lshlrev_b32_e32 v2, 20, v2
	v_and_b32_e32 v6, 0x80000000, v6
	v_lshl_add_u32 v3, v3, 23, v7
	v_or3_b32 v2, v6, v3, v2
.LBB11_716:
	s_or_b64 exec, exec, s[6:7]
	v_lshrrev_b32_e32 v3, 8, v4
	s_movk_i32 s4, 0x7f
	v_cmp_gt_i16_sdwa s[6:7], v3, s4 src0_sel:BYTE_0 src1_sel:DWORD
	s_mov_b64 s[4:5], 0
                                        ; implicit-def: $sgpr10
	s_and_saveexec_b64 s[8:9], s[6:7]
	s_xor_b64 s[6:7], exec, s[8:9]
	s_cbranch_execnz .LBB11_2765
; %bb.717:
	s_or_saveexec_b64 s[6:7], s[6:7]
	v_mov_b32_e32 v6, s10
	s_xor_b64 exec, exec, s[6:7]
	s_cbranch_execnz .LBB11_2768
.LBB11_718:
	s_or_b64 exec, exec, s[6:7]
	s_and_saveexec_b64 s[6:7], s[4:5]
	s_cbranch_execz .LBB11_720
.LBB11_719:
	v_bfe_u32 v6, v4, 8, 3
	v_ffbh_u32_e32 v10, v6
	v_min_u32_e32 v10, 32, v10
	v_lshrrev_b16_e32 v7, 3, v3
	v_subrev_u32_e32 v11, 28, v10
	v_and_b32_e32 v7, 15, v7
	v_lshlrev_b32_e32 v3, v11, v3
	v_sub_u32_e32 v10, 29, v10
	v_and_b32_e32 v3, 7, v3
	v_cmp_eq_u16_e32 vcc, 0, v7
	v_cndmask_b32_e32 v3, v6, v3, vcc
	v_cndmask_b32_e32 v6, v7, v10, vcc
	v_lshlrev_b32_e32 v7, 16, v4
	v_mov_b32_e32 v10, 0x3b800000
	v_lshlrev_b32_e32 v3, 20, v3
	v_and_b32_e32 v7, 0x80000000, v7
	v_lshl_add_u32 v6, v6, 23, v10
	v_or3_b32 v6, v7, v6, v3
.LBB11_720:
	s_or_b64 exec, exec, s[6:7]
	s_nop 0
	v_mfma_f32_16x16x4f32 a[0:3], v2, v6, a[0:3]
	s_movk_i32 s4, 0xff
	v_and_b32_sdwa v3, v8, s4 dst_sel:DWORD dst_unused:UNUSED_PAD src0_sel:WORD_1 src1_sel:DWORD
	s_movk_i32 s4, 0x7f
	v_cmp_lt_i16_e32 vcc, s4, v3
	s_mov_b64 s[4:5], 0
                                        ; implicit-def: $sgpr10
	s_and_saveexec_b64 s[6:7], vcc
	s_xor_b64 s[6:7], exec, s[6:7]
	s_cbranch_execnz .LBB11_2769
; %bb.721:
	s_or_saveexec_b64 s[6:7], s[6:7]
	v_mov_b32_e32 v2, s10
	s_xor_b64 exec, exec, s[6:7]
	s_cbranch_execnz .LBB11_2772
.LBB11_722:
	s_or_b64 exec, exec, s[6:7]
	s_and_saveexec_b64 s[6:7], s[4:5]
	s_cbranch_execz .LBB11_724
.LBB11_723:
	v_bfe_u32 v2, v8, 16, 3
	v_ffbh_u32_e32 v7, v2
	v_min_u32_e32 v7, 32, v7
	v_lshrrev_b32_e32 v3, 19, v8
	v_subrev_u32_e32 v10, 28, v7
	v_and_b32_e32 v3, 15, v3
	v_lshlrev_b32_sdwa v10, v10, v8 dst_sel:DWORD dst_unused:UNUSED_PAD src0_sel:DWORD src1_sel:WORD_1
	v_bfe_u32 v6, v8, 19, 4
	v_sub_u32_e32 v7, 29, v7
	v_and_b32_e32 v10, 7, v10
	v_cmp_eq_u16_e32 vcc, 0, v3
	v_cndmask_b32_e32 v2, v2, v10, vcc
	v_cndmask_b32_e32 v3, v6, v7, vcc
	v_lshlrev_b32_e32 v6, 8, v8
	v_mov_b32_e32 v7, 0x3b800000
	v_lshlrev_b32_e32 v2, 20, v2
	v_and_b32_e32 v6, 0x80000000, v6
	v_lshl_add_u32 v3, v3, 23, v7
	v_or3_b32 v2, v6, v3, v2
.LBB11_724:
	s_or_b64 exec, exec, s[6:7]
	s_movk_i32 s4, 0xff
	v_and_b32_sdwa v3, v4, s4 dst_sel:DWORD dst_unused:UNUSED_PAD src0_sel:WORD_1 src1_sel:DWORD
	s_movk_i32 s4, 0x7f
	v_cmp_lt_i16_e32 vcc, s4, v3
	s_mov_b64 s[4:5], 0
                                        ; implicit-def: $sgpr10
	s_and_saveexec_b64 s[6:7], vcc
	s_xor_b64 s[6:7], exec, s[6:7]
	s_cbranch_execnz .LBB11_2773
; %bb.725:
	s_or_saveexec_b64 s[6:7], s[6:7]
	v_mov_b32_e32 v6, s10
	s_xor_b64 exec, exec, s[6:7]
	s_cbranch_execnz .LBB11_2776
.LBB11_726:
	s_or_b64 exec, exec, s[6:7]
	s_and_saveexec_b64 s[6:7], s[4:5]
	s_cbranch_execz .LBB11_728
.LBB11_727:
	v_bfe_u32 v3, v4, 16, 3
	v_ffbh_u32_e32 v10, v3
	v_min_u32_e32 v10, 32, v10
	v_lshrrev_b32_e32 v6, 19, v4
	v_subrev_u32_e32 v11, 28, v10
	v_and_b32_e32 v6, 15, v6
	v_lshlrev_b32_sdwa v11, v11, v4 dst_sel:DWORD dst_unused:UNUSED_PAD src0_sel:DWORD src1_sel:WORD_1
	v_bfe_u32 v7, v4, 19, 4
	v_sub_u32_e32 v10, 29, v10
	v_and_b32_e32 v11, 7, v11
	v_cmp_eq_u16_e32 vcc, 0, v6
	v_cndmask_b32_e32 v3, v3, v11, vcc
	v_cndmask_b32_e32 v6, v7, v10, vcc
	v_lshlrev_b32_e32 v7, 8, v4
	v_mov_b32_e32 v10, 0x3b800000
	v_lshlrev_b32_e32 v3, 20, v3
	v_and_b32_e32 v7, 0x80000000, v7
	v_lshl_add_u32 v6, v6, 23, v10
	v_or3_b32 v6, v7, v6, v3
.LBB11_728:
	s_or_b64 exec, exec, s[6:7]
	s_nop 0
	v_mfma_f32_16x16x4f32 a[0:3], v2, v6, a[0:3]
	s_movk_i32 s4, 0x7f
	v_cmp_gt_i16_sdwa s[6:7], v8, s4 src0_sel:BYTE_3 src1_sel:DWORD
	s_mov_b64 s[4:5], 0
                                        ; implicit-def: $sgpr10
	s_and_saveexec_b64 s[8:9], s[6:7]
	s_xor_b64 s[6:7], exec, s[8:9]
	s_cbranch_execnz .LBB11_2777
; %bb.729:
	s_or_saveexec_b64 s[6:7], s[6:7]
	v_mov_b32_e32 v2, s10
	s_xor_b64 exec, exec, s[6:7]
	s_cbranch_execnz .LBB11_2780
.LBB11_730:
	s_or_b64 exec, exec, s[6:7]
	s_and_saveexec_b64 s[6:7], s[4:5]
	s_cbranch_execz .LBB11_732
.LBB11_731:
	v_bfe_u32 v2, v8, 24, 3
	v_ffbh_u32_e32 v10, v2
	v_min_u32_e32 v10, 32, v10
	v_lshrrev_b32_e32 v6, 27, v8
	v_subrev_u32_e32 v11, 28, v10
	v_and_b32_e32 v3, 0x80000000, v8
	v_and_b32_e32 v6, 15, v6
	v_bfe_u32 v7, v8, 27, 4
	v_lshlrev_b32_sdwa v8, v11, v8 dst_sel:DWORD dst_unused:UNUSED_PAD src0_sel:DWORD src1_sel:BYTE_3
	v_sub_u32_e32 v10, 29, v10
	v_and_b32_e32 v8, 7, v8
	v_cmp_eq_u16_e32 vcc, 0, v6
	v_cndmask_b32_e32 v2, v2, v8, vcc
	v_cndmask_b32_e32 v6, v7, v10, vcc
	v_mov_b32_e32 v7, 0x3b800000
	v_lshlrev_b32_e32 v2, 20, v2
	v_lshl_add_u32 v6, v6, 23, v7
	v_or3_b32 v2, v3, v6, v2
.LBB11_732:
	s_or_b64 exec, exec, s[6:7]
	s_movk_i32 s4, 0x7f
	v_cmp_gt_i16_sdwa s[6:7], v4, s4 src0_sel:BYTE_3 src1_sel:DWORD
	s_mov_b64 s[4:5], 0
                                        ; implicit-def: $sgpr10
	s_and_saveexec_b64 s[8:9], s[6:7]
	s_xor_b64 s[6:7], exec, s[8:9]
	s_cbranch_execnz .LBB11_2781
; %bb.733:
	s_or_saveexec_b64 s[6:7], s[6:7]
	v_mov_b32_e32 v3, s10
	s_xor_b64 exec, exec, s[6:7]
	s_cbranch_execnz .LBB11_2784
.LBB11_734:
	s_or_b64 exec, exec, s[6:7]
	s_and_saveexec_b64 s[6:7], s[4:5]
	s_cbranch_execz .LBB11_736
.LBB11_735:
	v_bfe_u32 v3, v4, 24, 3
	v_ffbh_u32_e32 v10, v3
	v_min_u32_e32 v10, 32, v10
	v_lshrrev_b32_e32 v7, 27, v4
	v_subrev_u32_e32 v11, 28, v10
	v_and_b32_e32 v6, 0x80000000, v4
	v_and_b32_e32 v7, 15, v7
	v_bfe_u32 v8, v4, 27, 4
	v_lshlrev_b32_sdwa v4, v11, v4 dst_sel:DWORD dst_unused:UNUSED_PAD src0_sel:DWORD src1_sel:BYTE_3
	v_sub_u32_e32 v10, 29, v10
	v_and_b32_e32 v4, 7, v4
	v_cmp_eq_u16_e32 vcc, 0, v7
	v_cndmask_b32_e32 v3, v3, v4, vcc
	v_cndmask_b32_e32 v4, v8, v10, vcc
	v_mov_b32_e32 v7, 0x3b800000
	v_lshlrev_b32_e32 v3, 20, v3
	v_lshl_add_u32 v4, v4, 23, v7
	v_or3_b32 v3, v6, v4, v3
.LBB11_736:
	s_or_b64 exec, exec, s[6:7]
	s_nop 0
	v_mfma_f32_16x16x4f32 a[0:3], v2, v3, a[0:3]
	s_movk_i32 s4, 0x7f
	v_cmp_gt_i16_sdwa s[6:7], v9, s4 src0_sel:BYTE_0 src1_sel:DWORD
	s_mov_b64 s[4:5], 0
                                        ; implicit-def: $sgpr10
	s_and_saveexec_b64 s[8:9], s[6:7]
	s_xor_b64 s[6:7], exec, s[8:9]
	s_cbranch_execnz .LBB11_2785
; %bb.737:
	s_or_saveexec_b64 s[6:7], s[6:7]
	v_mov_b32_e32 v2, s10
	s_xor_b64 exec, exec, s[6:7]
	s_cbranch_execnz .LBB11_2788
.LBB11_738:
	s_or_b64 exec, exec, s[6:7]
	s_and_saveexec_b64 s[6:7], s[4:5]
	s_cbranch_execz .LBB11_740
.LBB11_739:
	v_mov_b32_e32 v2, 8
	v_and_b32_e32 v3, 7, v9
	v_lshrrev_b32_sdwa v2, v2, v9 dst_sel:BYTE_1 dst_unused:UNUSED_PAD src0_sel:DWORD src1_sel:DWORD
	v_ffbh_u32_e32 v4, v3
	v_or_b32_sdwa v2, v9, v2 dst_sel:DWORD dst_unused:UNUSED_PAD src0_sel:BYTE_0 src1_sel:DWORD
	v_min_u32_e32 v4, 32, v4
	v_lshrrev_b16_e32 v2, 3, v2
	v_subrev_u32_e32 v6, 28, v4
	v_and_b32_e32 v2, 15, v2
	v_lshlrev_b32_e32 v6, v6, v9
	v_sub_u32_e32 v4, 29, v4
	v_and_b32_e32 v6, 7, v6
	v_cmp_eq_u16_e32 vcc, 0, v2
	v_cndmask_b32_e32 v3, v3, v6, vcc
	v_cndmask_b32_e32 v2, v2, v4, vcc
	v_lshlrev_b32_e32 v4, 24, v9
	v_mov_b32_e32 v6, 0x3b800000
	v_lshlrev_b32_e32 v3, 20, v3
	v_and_b32_e32 v4, 0x80000000, v4
	v_lshl_add_u32 v2, v2, 23, v6
	v_or3_b32 v2, v4, v2, v3
.LBB11_740:
	s_or_b64 exec, exec, s[6:7]
	s_movk_i32 s4, 0x7f
	v_cmp_gt_i16_sdwa s[6:7], v5, s4 src0_sel:BYTE_0 src1_sel:DWORD
	s_mov_b64 s[4:5], 0
                                        ; implicit-def: $sgpr10
	s_and_saveexec_b64 s[8:9], s[6:7]
	s_xor_b64 s[6:7], exec, s[8:9]
	s_cbranch_execnz .LBB11_2789
; %bb.741:
	s_or_saveexec_b64 s[6:7], s[6:7]
	v_mov_b32_e32 v3, s10
	s_xor_b64 exec, exec, s[6:7]
	s_cbranch_execnz .LBB11_2792
.LBB11_742:
	s_or_b64 exec, exec, s[6:7]
	s_and_saveexec_b64 s[6:7], s[4:5]
	s_cbranch_execz .LBB11_744
.LBB11_743:
	v_mov_b32_e32 v3, 8
	v_and_b32_e32 v4, 7, v5
	v_lshrrev_b32_sdwa v3, v3, v5 dst_sel:BYTE_1 dst_unused:UNUSED_PAD src0_sel:DWORD src1_sel:DWORD
	v_ffbh_u32_e32 v6, v4
	v_or_b32_sdwa v3, v5, v3 dst_sel:DWORD dst_unused:UNUSED_PAD src0_sel:BYTE_0 src1_sel:DWORD
	v_min_u32_e32 v6, 32, v6
	v_lshrrev_b16_e32 v3, 3, v3
	v_subrev_u32_e32 v7, 28, v6
	v_and_b32_e32 v3, 15, v3
	v_lshlrev_b32_e32 v7, v7, v5
	v_sub_u32_e32 v6, 29, v6
	v_and_b32_e32 v7, 7, v7
	v_cmp_eq_u16_e32 vcc, 0, v3
	v_cndmask_b32_e32 v4, v4, v7, vcc
	v_cndmask_b32_e32 v3, v3, v6, vcc
	v_lshlrev_b32_e32 v6, 24, v5
	v_mov_b32_e32 v7, 0x3b800000
	v_lshlrev_b32_e32 v4, 20, v4
	v_and_b32_e32 v6, 0x80000000, v6
	v_lshl_add_u32 v3, v3, 23, v7
	v_or3_b32 v3, v6, v3, v4
.LBB11_744:
	s_or_b64 exec, exec, s[6:7]
	s_nop 0
	v_mfma_f32_16x16x4f32 a[0:3], v2, v3, a[0:3]
	v_lshrrev_b32_e32 v3, 8, v9
	s_movk_i32 s4, 0x7f
	v_cmp_gt_i16_sdwa s[6:7], v3, s4 src0_sel:BYTE_0 src1_sel:DWORD
	s_mov_b64 s[4:5], 0
                                        ; implicit-def: $sgpr10
	s_and_saveexec_b64 s[8:9], s[6:7]
	s_xor_b64 s[6:7], exec, s[8:9]
	s_cbranch_execnz .LBB11_2793
; %bb.745:
	s_or_saveexec_b64 s[6:7], s[6:7]
	v_mov_b32_e32 v2, s10
	s_xor_b64 exec, exec, s[6:7]
	s_cbranch_execnz .LBB11_2796
.LBB11_746:
	s_or_b64 exec, exec, s[6:7]
	s_and_saveexec_b64 s[6:7], s[4:5]
	s_cbranch_execz .LBB11_748
.LBB11_747:
	v_bfe_u32 v2, v9, 8, 3
	v_ffbh_u32_e32 v6, v2
	v_min_u32_e32 v6, 32, v6
	v_lshrrev_b16_e32 v4, 3, v3
	v_subrev_u32_e32 v7, 28, v6
	v_and_b32_e32 v4, 15, v4
	v_lshlrev_b32_e32 v3, v7, v3
	v_sub_u32_e32 v6, 29, v6
	v_and_b32_e32 v3, 7, v3
	v_cmp_eq_u16_e32 vcc, 0, v4
	v_cndmask_b32_e32 v2, v2, v3, vcc
	v_cndmask_b32_e32 v3, v4, v6, vcc
	v_lshlrev_b32_e32 v4, 16, v9
	v_mov_b32_e32 v6, 0x3b800000
	v_lshlrev_b32_e32 v2, 20, v2
	v_and_b32_e32 v4, 0x80000000, v4
	v_lshl_add_u32 v3, v3, 23, v6
	v_or3_b32 v2, v4, v3, v2
.LBB11_748:
	s_or_b64 exec, exec, s[6:7]
	v_lshrrev_b32_e32 v3, 8, v5
	s_movk_i32 s4, 0x7f
	v_cmp_gt_i16_sdwa s[6:7], v3, s4 src0_sel:BYTE_0 src1_sel:DWORD
	s_mov_b64 s[4:5], 0
                                        ; implicit-def: $sgpr10
	s_and_saveexec_b64 s[8:9], s[6:7]
	s_xor_b64 s[6:7], exec, s[8:9]
	s_cbranch_execnz .LBB11_2797
; %bb.749:
	s_or_saveexec_b64 s[6:7], s[6:7]
	v_mov_b32_e32 v4, s10
	s_xor_b64 exec, exec, s[6:7]
	s_cbranch_execnz .LBB11_2800
.LBB11_750:
	s_or_b64 exec, exec, s[6:7]
	s_and_saveexec_b64 s[6:7], s[4:5]
	s_cbranch_execz .LBB11_752
.LBB11_751:
	v_bfe_u32 v4, v5, 8, 3
	v_ffbh_u32_e32 v7, v4
	v_min_u32_e32 v7, 32, v7
	v_lshrrev_b16_e32 v6, 3, v3
	v_subrev_u32_e32 v8, 28, v7
	v_and_b32_e32 v6, 15, v6
	v_lshlrev_b32_e32 v3, v8, v3
	v_sub_u32_e32 v7, 29, v7
	v_and_b32_e32 v3, 7, v3
	v_cmp_eq_u16_e32 vcc, 0, v6
	v_cndmask_b32_e32 v3, v4, v3, vcc
	v_cndmask_b32_e32 v4, v6, v7, vcc
	v_lshlrev_b32_e32 v6, 16, v5
	v_mov_b32_e32 v7, 0x3b800000
	v_lshlrev_b32_e32 v3, 20, v3
	v_and_b32_e32 v6, 0x80000000, v6
	v_lshl_add_u32 v4, v4, 23, v7
	v_or3_b32 v4, v6, v4, v3
.LBB11_752:
	s_or_b64 exec, exec, s[6:7]
	s_nop 0
	v_mfma_f32_16x16x4f32 a[0:3], v2, v4, a[0:3]
	s_movk_i32 s4, 0xff
	v_and_b32_sdwa v3, v9, s4 dst_sel:DWORD dst_unused:UNUSED_PAD src0_sel:WORD_1 src1_sel:DWORD
	s_movk_i32 s4, 0x7f
	v_cmp_lt_i16_e32 vcc, s4, v3
	s_mov_b64 s[4:5], 0
                                        ; implicit-def: $sgpr10
	s_and_saveexec_b64 s[6:7], vcc
	s_xor_b64 s[6:7], exec, s[6:7]
	s_cbranch_execnz .LBB11_2801
; %bb.753:
	s_or_saveexec_b64 s[6:7], s[6:7]
	v_mov_b32_e32 v2, s10
	s_xor_b64 exec, exec, s[6:7]
	s_cbranch_execnz .LBB11_2804
.LBB11_754:
	s_or_b64 exec, exec, s[6:7]
	s_and_saveexec_b64 s[6:7], s[4:5]
	s_cbranch_execz .LBB11_756
.LBB11_755:
	v_bfe_u32 v2, v9, 16, 3
	v_ffbh_u32_e32 v6, v2
	v_min_u32_e32 v6, 32, v6
	v_lshrrev_b32_e32 v3, 19, v9
	v_subrev_u32_e32 v7, 28, v6
	v_and_b32_e32 v3, 15, v3
	v_lshlrev_b32_sdwa v7, v7, v9 dst_sel:DWORD dst_unused:UNUSED_PAD src0_sel:DWORD src1_sel:WORD_1
	v_bfe_u32 v4, v9, 19, 4
	v_sub_u32_e32 v6, 29, v6
	v_and_b32_e32 v7, 7, v7
	v_cmp_eq_u16_e32 vcc, 0, v3
	v_cndmask_b32_e32 v2, v2, v7, vcc
	v_cndmask_b32_e32 v3, v4, v6, vcc
	v_lshlrev_b32_e32 v4, 8, v9
	v_mov_b32_e32 v6, 0x3b800000
	v_lshlrev_b32_e32 v2, 20, v2
	v_and_b32_e32 v4, 0x80000000, v4
	v_lshl_add_u32 v3, v3, 23, v6
	v_or3_b32 v2, v4, v3, v2
.LBB11_756:
	s_or_b64 exec, exec, s[6:7]
	s_movk_i32 s4, 0xff
	v_and_b32_sdwa v3, v5, s4 dst_sel:DWORD dst_unused:UNUSED_PAD src0_sel:WORD_1 src1_sel:DWORD
	s_movk_i32 s4, 0x7f
	v_cmp_lt_i16_e32 vcc, s4, v3
	s_mov_b64 s[4:5], 0
                                        ; implicit-def: $sgpr10
	s_and_saveexec_b64 s[6:7], vcc
	s_xor_b64 s[6:7], exec, s[6:7]
	s_cbranch_execnz .LBB11_2805
; %bb.757:
	s_or_saveexec_b64 s[6:7], s[6:7]
	v_mov_b32_e32 v4, s10
	s_xor_b64 exec, exec, s[6:7]
	s_cbranch_execnz .LBB11_2808
.LBB11_758:
	s_or_b64 exec, exec, s[6:7]
	s_and_saveexec_b64 s[6:7], s[4:5]
	s_cbranch_execz .LBB11_760
.LBB11_759:
	v_bfe_u32 v3, v5, 16, 3
	v_ffbh_u32_e32 v7, v3
	v_min_u32_e32 v7, 32, v7
	v_lshrrev_b32_e32 v4, 19, v5
	v_subrev_u32_e32 v8, 28, v7
	v_and_b32_e32 v4, 15, v4
	v_lshlrev_b32_sdwa v8, v8, v5 dst_sel:DWORD dst_unused:UNUSED_PAD src0_sel:DWORD src1_sel:WORD_1
	v_bfe_u32 v6, v5, 19, 4
	v_sub_u32_e32 v7, 29, v7
	v_and_b32_e32 v8, 7, v8
	v_cmp_eq_u16_e32 vcc, 0, v4
	v_cndmask_b32_e32 v3, v3, v8, vcc
	v_cndmask_b32_e32 v4, v6, v7, vcc
	v_lshlrev_b32_e32 v6, 8, v5
	v_mov_b32_e32 v7, 0x3b800000
	v_lshlrev_b32_e32 v3, 20, v3
	v_and_b32_e32 v6, 0x80000000, v6
	v_lshl_add_u32 v4, v4, 23, v7
	v_or3_b32 v4, v6, v4, v3
.LBB11_760:
	s_or_b64 exec, exec, s[6:7]
	s_nop 0
	v_mfma_f32_16x16x4f32 a[0:3], v2, v4, a[0:3]
	s_movk_i32 s4, 0x7f
	v_cmp_gt_i16_sdwa s[6:7], v9, s4 src0_sel:BYTE_3 src1_sel:DWORD
	s_mov_b64 s[4:5], 0
                                        ; implicit-def: $sgpr10
	s_and_saveexec_b64 s[8:9], s[6:7]
	s_xor_b64 s[6:7], exec, s[8:9]
	s_cbranch_execnz .LBB11_2809
; %bb.761:
	s_or_saveexec_b64 s[6:7], s[6:7]
	v_mov_b32_e32 v2, s10
	s_xor_b64 exec, exec, s[6:7]
	s_cbranch_execnz .LBB11_2812
.LBB11_762:
	s_or_b64 exec, exec, s[6:7]
	s_and_saveexec_b64 s[6:7], s[4:5]
	s_cbranch_execz .LBB11_764
.LBB11_763:
	v_bfe_u32 v2, v9, 24, 3
	v_ffbh_u32_e32 v7, v2
	v_min_u32_e32 v7, 32, v7
	v_lshrrev_b32_e32 v4, 27, v9
	v_subrev_u32_e32 v8, 28, v7
	v_and_b32_e32 v4, 15, v4
	v_lshlrev_b32_sdwa v8, v8, v9 dst_sel:DWORD dst_unused:UNUSED_PAD src0_sel:DWORD src1_sel:BYTE_3
	v_bfe_u32 v6, v9, 27, 4
	v_sub_u32_e32 v7, 29, v7
	v_and_b32_e32 v8, 7, v8
	v_cmp_eq_u16_e32 vcc, 0, v4
	v_cndmask_b32_e32 v2, v2, v8, vcc
	v_cndmask_b32_e32 v4, v6, v7, vcc
	v_mov_b32_e32 v6, 0x3b800000
	v_and_b32_e32 v3, 0x80000000, v9
	v_lshlrev_b32_e32 v2, 20, v2
	v_lshl_add_u32 v4, v4, 23, v6
	v_or3_b32 v2, v3, v4, v2
.LBB11_764:
	s_or_b64 exec, exec, s[6:7]
	s_movk_i32 s4, 0x7f
	v_cmp_gt_i16_sdwa s[6:7], v5, s4 src0_sel:BYTE_3 src1_sel:DWORD
	s_mov_b64 s[4:5], 0
                                        ; implicit-def: $sgpr10
	s_and_saveexec_b64 s[8:9], s[6:7]
	s_xor_b64 s[6:7], exec, s[8:9]
	s_cbranch_execnz .LBB11_2813
; %bb.765:
	s_or_saveexec_b64 s[6:7], s[6:7]
	v_mov_b32_e32 v3, s10
	s_xor_b64 exec, exec, s[6:7]
	s_cbranch_execnz .LBB11_2816
.LBB11_766:
	s_or_b64 exec, exec, s[6:7]
	s_and_saveexec_b64 s[6:7], s[4:5]
	s_cbranch_execz .LBB11_768
.LBB11_767:
	v_bfe_u32 v3, v5, 24, 3
	v_ffbh_u32_e32 v8, v3
	v_min_u32_e32 v8, 32, v8
	v_lshrrev_b32_e32 v6, 27, v5
	v_subrev_u32_e32 v9, 28, v8
	v_and_b32_e32 v4, 0x80000000, v5
	v_and_b32_e32 v6, 15, v6
	v_bfe_u32 v7, v5, 27, 4
	v_lshlrev_b32_sdwa v5, v9, v5 dst_sel:DWORD dst_unused:UNUSED_PAD src0_sel:DWORD src1_sel:BYTE_3
	v_sub_u32_e32 v8, 29, v8
	v_and_b32_e32 v5, 7, v5
	v_cmp_eq_u16_e32 vcc, 0, v6
	v_cndmask_b32_e32 v3, v3, v5, vcc
	v_cndmask_b32_e32 v5, v7, v8, vcc
	v_mov_b32_e32 v6, 0x3b800000
	v_lshlrev_b32_e32 v3, 20, v3
	v_lshl_add_u32 v5, v5, 23, v6
	v_or3_b32 v3, v4, v5, v3
.LBB11_768:
	s_or_b64 exec, exec, s[6:7]
	s_nop 0
	v_mfma_f32_16x16x4f32 a[0:3], v2, v3, a[0:3]
	s_movk_i32 s4, 0x7f
                                        ; implicit-def: $sgpr10
	s_nop 7
	s_nop 1
	flat_store_dwordx4 v[18:19], a[0:3] offset:160
	flat_load_dwordx4 v[20:23], v[0:1] offset:16
	s_nop 0
	flat_load_dwordx2 v[18:19], v[0:1] offset:32
	s_waitcnt vmcnt(0) lgkmcnt(0)
	flat_load_dwordx4 v[14:17], v[20:21] offset:32
	flat_load_dwordx4 v[6:9], v[20:21] offset:48
	;; [unrolled: 1-line block ×4, first 2 shown]
	s_waitcnt vmcnt(0) lgkmcnt(0)
	v_cmp_gt_i16_sdwa s[6:7], v14, s4 src0_sel:BYTE_0 src1_sel:DWORD
	s_mov_b64 s[4:5], 0
	s_and_saveexec_b64 s[8:9], s[6:7]
	s_xor_b64 s[6:7], exec, s[8:9]
	s_cbranch_execnz .LBB11_2817
; %bb.769:
	s_or_saveexec_b64 s[6:7], s[6:7]
	v_mov_b32_e32 v20, s10
	s_xor_b64 exec, exec, s[6:7]
	s_cbranch_execnz .LBB11_2820
.LBB11_770:
	s_or_b64 exec, exec, s[6:7]
	s_and_saveexec_b64 s[6:7], s[4:5]
	s_cbranch_execz .LBB11_772
.LBB11_771:
	v_and_b32_e32 v20, 7, v14
	v_ffbh_u32_e32 v22, v20
	v_min_u32_e32 v22, 32, v22
	v_lshrrev_b16_e32 v21, 3, v14
	v_subrev_u32_e32 v23, 28, v22
	v_and_b32_e32 v21, 15, v21
	v_lshlrev_b32_e32 v23, v23, v14
	v_sub_u32_e32 v22, 29, v22
	v_and_b32_e32 v23, 7, v23
	v_cmp_eq_u16_e32 vcc, 0, v21
	v_cndmask_b32_e32 v20, v20, v23, vcc
	v_cndmask_b32_e32 v21, v21, v22, vcc
	v_lshlrev_b32_e32 v22, 24, v14
	v_mov_b32_e32 v23, 0x3b800000
	v_lshlrev_b32_e32 v20, 20, v20
	v_and_b32_e32 v22, 0x80000000, v22
	v_lshl_add_u32 v21, v21, 23, v23
	v_or3_b32 v20, v22, v21, v20
.LBB11_772:
	s_or_b64 exec, exec, s[6:7]
	s_movk_i32 s4, 0x7f
	v_cmp_gt_i16_sdwa s[6:7], v10, s4 src0_sel:BYTE_0 src1_sel:DWORD
	s_mov_b64 s[4:5], 0
                                        ; implicit-def: $sgpr10
	s_and_saveexec_b64 s[8:9], s[6:7]
	s_xor_b64 s[6:7], exec, s[8:9]
	s_cbranch_execnz .LBB11_2821
; %bb.773:
	s_or_saveexec_b64 s[6:7], s[6:7]
	v_mov_b32_e32 v21, s10
	s_xor_b64 exec, exec, s[6:7]
	s_cbranch_execnz .LBB11_2824
.LBB11_774:
	s_or_b64 exec, exec, s[6:7]
	s_and_saveexec_b64 s[6:7], s[4:5]
	s_cbranch_execz .LBB11_776
.LBB11_775:
	v_and_b32_e32 v21, 7, v10
	v_ffbh_u32_e32 v23, v21
	v_min_u32_e32 v23, 32, v23
	v_lshrrev_b16_e32 v22, 3, v10
	v_subrev_u32_e32 v24, 28, v23
	v_and_b32_e32 v22, 15, v22
	v_lshlrev_b32_e32 v24, v24, v10
	v_sub_u32_e32 v23, 29, v23
	v_and_b32_e32 v24, 7, v24
	v_cmp_eq_u16_e32 vcc, 0, v22
	v_cndmask_b32_e32 v21, v21, v24, vcc
	v_cndmask_b32_e32 v22, v22, v23, vcc
	v_lshlrev_b32_e32 v23, 24, v10
	v_mov_b32_e32 v24, 0x3b800000
	v_lshlrev_b32_e32 v21, 20, v21
	v_and_b32_e32 v23, 0x80000000, v23
	v_lshl_add_u32 v22, v22, 23, v24
	v_or3_b32 v21, v23, v22, v21
.LBB11_776:
	s_or_b64 exec, exec, s[6:7]
	flat_load_dwordx4 a[0:3], v[18:19] offset:176
	s_movk_i32 s4, 0x7f
                                        ; implicit-def: $sgpr10
	s_waitcnt vmcnt(0) lgkmcnt(0)
	v_mfma_f32_16x16x4f32 a[0:3], v20, v21, a[0:3]
	v_lshrrev_b32_e32 v21, 8, v14
	v_cmp_gt_i16_sdwa s[6:7], v21, s4 src0_sel:BYTE_0 src1_sel:DWORD
	s_mov_b64 s[4:5], 0
	s_and_saveexec_b64 s[8:9], s[6:7]
	s_xor_b64 s[6:7], exec, s[8:9]
	s_cbranch_execnz .LBB11_2825
; %bb.777:
	s_or_saveexec_b64 s[6:7], s[6:7]
	v_mov_b32_e32 v20, s10
	s_xor_b64 exec, exec, s[6:7]
	s_cbranch_execnz .LBB11_2828
.LBB11_778:
	s_or_b64 exec, exec, s[6:7]
	s_and_saveexec_b64 s[6:7], s[4:5]
	s_cbranch_execz .LBB11_780
.LBB11_779:
	v_bfe_u32 v20, v14, 8, 3
	v_ffbh_u32_e32 v23, v20
	v_min_u32_e32 v23, 32, v23
	v_lshrrev_b16_e32 v22, 3, v21
	v_subrev_u32_e32 v24, 28, v23
	v_and_b32_e32 v22, 15, v22
	v_lshlrev_b32_e32 v21, v24, v21
	v_sub_u32_e32 v23, 29, v23
	v_and_b32_e32 v21, 7, v21
	v_cmp_eq_u16_e32 vcc, 0, v22
	v_cndmask_b32_e32 v20, v20, v21, vcc
	v_cndmask_b32_e32 v21, v22, v23, vcc
	v_lshlrev_b32_e32 v22, 16, v14
	v_mov_b32_e32 v23, 0x3b800000
	v_lshlrev_b32_e32 v20, 20, v20
	v_and_b32_e32 v22, 0x80000000, v22
	v_lshl_add_u32 v21, v21, 23, v23
	v_or3_b32 v20, v22, v21, v20
.LBB11_780:
	s_or_b64 exec, exec, s[6:7]
	v_lshrrev_b32_e32 v21, 8, v10
	s_movk_i32 s4, 0x7f
	v_cmp_gt_i16_sdwa s[6:7], v21, s4 src0_sel:BYTE_0 src1_sel:DWORD
	s_mov_b64 s[4:5], 0
                                        ; implicit-def: $sgpr10
	s_and_saveexec_b64 s[8:9], s[6:7]
	s_xor_b64 s[6:7], exec, s[8:9]
	s_cbranch_execnz .LBB11_2829
; %bb.781:
	s_or_saveexec_b64 s[6:7], s[6:7]
	v_mov_b32_e32 v22, s10
	s_xor_b64 exec, exec, s[6:7]
	s_cbranch_execnz .LBB11_2832
.LBB11_782:
	s_or_b64 exec, exec, s[6:7]
	s_and_saveexec_b64 s[6:7], s[4:5]
	s_cbranch_execz .LBB11_784
.LBB11_783:
	v_bfe_u32 v22, v10, 8, 3
	v_ffbh_u32_e32 v24, v22
	v_min_u32_e32 v24, 32, v24
	v_lshrrev_b16_e32 v23, 3, v21
	v_subrev_u32_e32 v25, 28, v24
	v_and_b32_e32 v23, 15, v23
	v_lshlrev_b32_e32 v21, v25, v21
	v_sub_u32_e32 v24, 29, v24
	v_and_b32_e32 v21, 7, v21
	v_cmp_eq_u16_e32 vcc, 0, v23
	v_cndmask_b32_e32 v21, v22, v21, vcc
	v_cndmask_b32_e32 v22, v23, v24, vcc
	v_lshlrev_b32_e32 v23, 16, v10
	v_mov_b32_e32 v24, 0x3b800000
	v_lshlrev_b32_e32 v21, 20, v21
	v_and_b32_e32 v23, 0x80000000, v23
	v_lshl_add_u32 v22, v22, 23, v24
	v_or3_b32 v22, v23, v22, v21
.LBB11_784:
	s_or_b64 exec, exec, s[6:7]
	s_nop 0
	v_mfma_f32_16x16x4f32 a[0:3], v20, v22, a[0:3]
	s_movk_i32 s4, 0xff
	v_and_b32_sdwa v21, v14, s4 dst_sel:DWORD dst_unused:UNUSED_PAD src0_sel:WORD_1 src1_sel:DWORD
	s_movk_i32 s4, 0x7f
	v_cmp_lt_i16_e32 vcc, s4, v21
	s_mov_b64 s[4:5], 0
                                        ; implicit-def: $sgpr10
	s_and_saveexec_b64 s[6:7], vcc
	s_xor_b64 s[6:7], exec, s[6:7]
	s_cbranch_execnz .LBB11_2833
; %bb.785:
	s_or_saveexec_b64 s[6:7], s[6:7]
	v_mov_b32_e32 v20, s10
	s_xor_b64 exec, exec, s[6:7]
	s_cbranch_execnz .LBB11_2836
.LBB11_786:
	s_or_b64 exec, exec, s[6:7]
	s_and_saveexec_b64 s[6:7], s[4:5]
	s_cbranch_execz .LBB11_788
.LBB11_787:
	v_bfe_u32 v20, v14, 16, 3
	v_ffbh_u32_e32 v23, v20
	v_min_u32_e32 v23, 32, v23
	v_lshrrev_b32_e32 v21, 19, v14
	v_subrev_u32_e32 v24, 28, v23
	v_and_b32_e32 v21, 15, v21
	v_lshlrev_b32_sdwa v24, v24, v14 dst_sel:DWORD dst_unused:UNUSED_PAD src0_sel:DWORD src1_sel:WORD_1
	v_bfe_u32 v22, v14, 19, 4
	v_sub_u32_e32 v23, 29, v23
	v_and_b32_e32 v24, 7, v24
	v_cmp_eq_u16_e32 vcc, 0, v21
	v_cndmask_b32_e32 v20, v20, v24, vcc
	v_cndmask_b32_e32 v21, v22, v23, vcc
	v_lshlrev_b32_e32 v22, 8, v14
	v_mov_b32_e32 v23, 0x3b800000
	v_lshlrev_b32_e32 v20, 20, v20
	v_and_b32_e32 v22, 0x80000000, v22
	v_lshl_add_u32 v21, v21, 23, v23
	v_or3_b32 v20, v22, v21, v20
.LBB11_788:
	s_or_b64 exec, exec, s[6:7]
	s_movk_i32 s4, 0xff
	v_and_b32_sdwa v21, v10, s4 dst_sel:DWORD dst_unused:UNUSED_PAD src0_sel:WORD_1 src1_sel:DWORD
	s_movk_i32 s4, 0x7f
	v_cmp_lt_i16_e32 vcc, s4, v21
	s_mov_b64 s[4:5], 0
                                        ; implicit-def: $sgpr10
	s_and_saveexec_b64 s[6:7], vcc
	s_xor_b64 s[6:7], exec, s[6:7]
	s_cbranch_execnz .LBB11_2837
; %bb.789:
	s_or_saveexec_b64 s[6:7], s[6:7]
	v_mov_b32_e32 v22, s10
	s_xor_b64 exec, exec, s[6:7]
	s_cbranch_execnz .LBB11_2840
.LBB11_790:
	s_or_b64 exec, exec, s[6:7]
	s_and_saveexec_b64 s[6:7], s[4:5]
	s_cbranch_execz .LBB11_792
.LBB11_791:
	v_bfe_u32 v21, v10, 16, 3
	v_ffbh_u32_e32 v24, v21
	v_min_u32_e32 v24, 32, v24
	v_lshrrev_b32_e32 v22, 19, v10
	v_subrev_u32_e32 v25, 28, v24
	v_and_b32_e32 v22, 15, v22
	v_lshlrev_b32_sdwa v25, v25, v10 dst_sel:DWORD dst_unused:UNUSED_PAD src0_sel:DWORD src1_sel:WORD_1
	v_bfe_u32 v23, v10, 19, 4
	v_sub_u32_e32 v24, 29, v24
	v_and_b32_e32 v25, 7, v25
	v_cmp_eq_u16_e32 vcc, 0, v22
	v_cndmask_b32_e32 v21, v21, v25, vcc
	v_cndmask_b32_e32 v22, v23, v24, vcc
	v_lshlrev_b32_e32 v23, 8, v10
	v_mov_b32_e32 v24, 0x3b800000
	v_lshlrev_b32_e32 v21, 20, v21
	v_and_b32_e32 v23, 0x80000000, v23
	v_lshl_add_u32 v22, v22, 23, v24
	v_or3_b32 v22, v23, v22, v21
.LBB11_792:
	s_or_b64 exec, exec, s[6:7]
	s_nop 0
	v_mfma_f32_16x16x4f32 a[0:3], v20, v22, a[0:3]
	s_movk_i32 s4, 0x7f
	v_cmp_gt_i16_sdwa s[6:7], v14, s4 src0_sel:BYTE_3 src1_sel:DWORD
	s_mov_b64 s[4:5], 0
                                        ; implicit-def: $sgpr10
	s_and_saveexec_b64 s[8:9], s[6:7]
	s_xor_b64 s[6:7], exec, s[8:9]
	s_cbranch_execnz .LBB11_2841
; %bb.793:
	s_or_saveexec_b64 s[6:7], s[6:7]
	v_mov_b32_e32 v20, s10
	s_xor_b64 exec, exec, s[6:7]
	s_cbranch_execnz .LBB11_2844
.LBB11_794:
	s_or_b64 exec, exec, s[6:7]
	s_and_saveexec_b64 s[6:7], s[4:5]
	s_cbranch_execz .LBB11_796
.LBB11_795:
	v_bfe_u32 v20, v14, 24, 3
	v_ffbh_u32_e32 v24, v20
	v_min_u32_e32 v24, 32, v24
	v_lshrrev_b32_e32 v22, 27, v14
	v_subrev_u32_e32 v25, 28, v24
	v_and_b32_e32 v21, 0x80000000, v14
	v_and_b32_e32 v22, 15, v22
	v_bfe_u32 v23, v14, 27, 4
	v_lshlrev_b32_sdwa v14, v25, v14 dst_sel:DWORD dst_unused:UNUSED_PAD src0_sel:DWORD src1_sel:BYTE_3
	v_sub_u32_e32 v24, 29, v24
	v_and_b32_e32 v14, 7, v14
	v_cmp_eq_u16_e32 vcc, 0, v22
	v_cndmask_b32_e32 v14, v20, v14, vcc
	v_cndmask_b32_e32 v20, v23, v24, vcc
	v_mov_b32_e32 v22, 0x3b800000
	v_lshlrev_b32_e32 v14, 20, v14
	v_lshl_add_u32 v20, v20, 23, v22
	v_or3_b32 v20, v21, v20, v14
.LBB11_796:
	s_or_b64 exec, exec, s[6:7]
	s_movk_i32 s4, 0x7f
	v_cmp_gt_i16_sdwa s[6:7], v10, s4 src0_sel:BYTE_3 src1_sel:DWORD
	s_mov_b64 s[4:5], 0
                                        ; implicit-def: $sgpr10
	s_and_saveexec_b64 s[8:9], s[6:7]
	s_xor_b64 s[6:7], exec, s[8:9]
	s_cbranch_execnz .LBB11_2845
; %bb.797:
	s_or_saveexec_b64 s[6:7], s[6:7]
	v_mov_b32_e32 v14, s10
	s_xor_b64 exec, exec, s[6:7]
	s_cbranch_execnz .LBB11_2848
.LBB11_798:
	s_or_b64 exec, exec, s[6:7]
	s_and_saveexec_b64 s[6:7], s[4:5]
	s_cbranch_execz .LBB11_800
.LBB11_799:
	v_bfe_u32 v14, v10, 24, 3
	v_ffbh_u32_e32 v24, v14
	v_min_u32_e32 v24, 32, v24
	v_lshrrev_b32_e32 v22, 27, v10
	v_subrev_u32_e32 v25, 28, v24
	v_and_b32_e32 v21, 0x80000000, v10
	v_and_b32_e32 v22, 15, v22
	v_bfe_u32 v23, v10, 27, 4
	v_lshlrev_b32_sdwa v10, v25, v10 dst_sel:DWORD dst_unused:UNUSED_PAD src0_sel:DWORD src1_sel:BYTE_3
	v_sub_u32_e32 v24, 29, v24
	v_and_b32_e32 v10, 7, v10
	v_cmp_eq_u16_e32 vcc, 0, v22
	v_cndmask_b32_e32 v10, v14, v10, vcc
	v_cndmask_b32_e32 v14, v23, v24, vcc
	v_mov_b32_e32 v22, 0x3b800000
	v_lshlrev_b32_e32 v10, 20, v10
	v_lshl_add_u32 v14, v14, 23, v22
	v_or3_b32 v14, v21, v14, v10
.LBB11_800:
	s_or_b64 exec, exec, s[6:7]
	s_nop 0
	v_mfma_f32_16x16x4f32 a[0:3], v20, v14, a[0:3]
	s_movk_i32 s4, 0x7f
	v_cmp_gt_i16_sdwa s[6:7], v15, s4 src0_sel:BYTE_0 src1_sel:DWORD
	s_mov_b64 s[4:5], 0
                                        ; implicit-def: $sgpr10
	s_and_saveexec_b64 s[8:9], s[6:7]
	s_xor_b64 s[6:7], exec, s[8:9]
	s_cbranch_execnz .LBB11_2849
; %bb.801:
	s_or_saveexec_b64 s[6:7], s[6:7]
	v_mov_b32_e32 v10, s10
	s_xor_b64 exec, exec, s[6:7]
	s_cbranch_execnz .LBB11_2852
.LBB11_802:
	s_or_b64 exec, exec, s[6:7]
	s_and_saveexec_b64 s[6:7], s[4:5]
	s_cbranch_execz .LBB11_804
.LBB11_803:
	v_and_b32_e32 v10, 7, v15
	v_ffbh_u32_e32 v20, v10
	v_min_u32_e32 v20, 32, v20
	v_lshrrev_b16_e32 v14, 3, v15
	v_subrev_u32_e32 v21, 28, v20
	v_and_b32_e32 v14, 15, v14
	v_lshlrev_b32_e32 v21, v21, v15
	v_sub_u32_e32 v20, 29, v20
	v_and_b32_e32 v21, 7, v21
	v_cmp_eq_u16_e32 vcc, 0, v14
	v_cndmask_b32_e32 v10, v10, v21, vcc
	v_cndmask_b32_e32 v14, v14, v20, vcc
	v_lshlrev_b32_e32 v20, 24, v15
	v_mov_b32_e32 v21, 0x3b800000
	v_lshlrev_b32_e32 v10, 20, v10
	v_and_b32_e32 v20, 0x80000000, v20
	v_lshl_add_u32 v14, v14, 23, v21
	v_or3_b32 v10, v20, v14, v10
.LBB11_804:
	s_or_b64 exec, exec, s[6:7]
	s_movk_i32 s4, 0x7f
	v_cmp_gt_i16_sdwa s[6:7], v11, s4 src0_sel:BYTE_0 src1_sel:DWORD
	s_mov_b64 s[4:5], 0
                                        ; implicit-def: $sgpr10
	s_and_saveexec_b64 s[8:9], s[6:7]
	s_xor_b64 s[6:7], exec, s[8:9]
	s_cbranch_execnz .LBB11_2853
; %bb.805:
	s_or_saveexec_b64 s[6:7], s[6:7]
	v_mov_b32_e32 v14, s10
	s_xor_b64 exec, exec, s[6:7]
	s_cbranch_execnz .LBB11_2856
.LBB11_806:
	s_or_b64 exec, exec, s[6:7]
	s_and_saveexec_b64 s[6:7], s[4:5]
	s_cbranch_execz .LBB11_808
.LBB11_807:
	v_and_b32_e32 v14, 7, v11
	v_ffbh_u32_e32 v21, v14
	v_min_u32_e32 v21, 32, v21
	v_lshrrev_b16_e32 v20, 3, v11
	v_subrev_u32_e32 v22, 28, v21
	v_and_b32_e32 v20, 15, v20
	v_lshlrev_b32_e32 v22, v22, v11
	v_sub_u32_e32 v21, 29, v21
	v_and_b32_e32 v22, 7, v22
	v_cmp_eq_u16_e32 vcc, 0, v20
	v_cndmask_b32_e32 v14, v14, v22, vcc
	v_cndmask_b32_e32 v20, v20, v21, vcc
	v_lshlrev_b32_e32 v21, 24, v11
	v_mov_b32_e32 v22, 0x3b800000
	v_lshlrev_b32_e32 v14, 20, v14
	v_and_b32_e32 v21, 0x80000000, v21
	v_lshl_add_u32 v20, v20, 23, v22
	v_or3_b32 v14, v21, v20, v14
.LBB11_808:
	s_or_b64 exec, exec, s[6:7]
	s_nop 0
	v_mfma_f32_16x16x4f32 a[0:3], v10, v14, a[0:3]
	v_lshrrev_b32_e32 v14, 8, v15
	s_movk_i32 s4, 0x7f
	v_cmp_gt_i16_sdwa s[6:7], v14, s4 src0_sel:BYTE_0 src1_sel:DWORD
	s_mov_b64 s[4:5], 0
                                        ; implicit-def: $sgpr10
	s_and_saveexec_b64 s[8:9], s[6:7]
	s_xor_b64 s[6:7], exec, s[8:9]
	s_cbranch_execnz .LBB11_2857
; %bb.809:
	s_or_saveexec_b64 s[6:7], s[6:7]
	v_mov_b32_e32 v10, s10
	s_xor_b64 exec, exec, s[6:7]
	s_cbranch_execnz .LBB11_2860
.LBB11_810:
	s_or_b64 exec, exec, s[6:7]
	s_and_saveexec_b64 s[6:7], s[4:5]
	s_cbranch_execz .LBB11_812
.LBB11_811:
	v_bfe_u32 v10, v15, 8, 3
	v_ffbh_u32_e32 v21, v10
	v_min_u32_e32 v21, 32, v21
	v_lshrrev_b16_e32 v20, 3, v14
	v_subrev_u32_e32 v22, 28, v21
	v_and_b32_e32 v20, 15, v20
	v_lshlrev_b32_e32 v14, v22, v14
	v_sub_u32_e32 v21, 29, v21
	v_and_b32_e32 v14, 7, v14
	v_cmp_eq_u16_e32 vcc, 0, v20
	v_cndmask_b32_e32 v10, v10, v14, vcc
	v_cndmask_b32_e32 v14, v20, v21, vcc
	v_lshlrev_b32_e32 v20, 16, v15
	v_mov_b32_e32 v21, 0x3b800000
	v_lshlrev_b32_e32 v10, 20, v10
	v_and_b32_e32 v20, 0x80000000, v20
	v_lshl_add_u32 v14, v14, 23, v21
	v_or3_b32 v10, v20, v14, v10
.LBB11_812:
	s_or_b64 exec, exec, s[6:7]
	v_lshrrev_b32_e32 v14, 8, v11
	s_movk_i32 s4, 0x7f
	v_cmp_gt_i16_sdwa s[6:7], v14, s4 src0_sel:BYTE_0 src1_sel:DWORD
	s_mov_b64 s[4:5], 0
                                        ; implicit-def: $sgpr10
	s_and_saveexec_b64 s[8:9], s[6:7]
	s_xor_b64 s[6:7], exec, s[8:9]
	s_cbranch_execnz .LBB11_2861
; %bb.813:
	s_or_saveexec_b64 s[6:7], s[6:7]
	v_mov_b32_e32 v20, s10
	s_xor_b64 exec, exec, s[6:7]
	s_cbranch_execnz .LBB11_2864
.LBB11_814:
	s_or_b64 exec, exec, s[6:7]
	s_and_saveexec_b64 s[6:7], s[4:5]
	s_cbranch_execz .LBB11_816
.LBB11_815:
	v_bfe_u32 v20, v11, 8, 3
	v_ffbh_u32_e32 v22, v20
	v_min_u32_e32 v22, 32, v22
	v_lshrrev_b16_e32 v21, 3, v14
	v_subrev_u32_e32 v23, 28, v22
	v_and_b32_e32 v21, 15, v21
	v_lshlrev_b32_e32 v14, v23, v14
	v_sub_u32_e32 v22, 29, v22
	v_and_b32_e32 v14, 7, v14
	v_cmp_eq_u16_e32 vcc, 0, v21
	v_cndmask_b32_e32 v14, v20, v14, vcc
	v_cndmask_b32_e32 v20, v21, v22, vcc
	v_lshlrev_b32_e32 v21, 16, v11
	v_mov_b32_e32 v22, 0x3b800000
	v_lshlrev_b32_e32 v14, 20, v14
	v_and_b32_e32 v21, 0x80000000, v21
	v_lshl_add_u32 v20, v20, 23, v22
	v_or3_b32 v20, v21, v20, v14
.LBB11_816:
	s_or_b64 exec, exec, s[6:7]
	s_nop 0
	v_mfma_f32_16x16x4f32 a[0:3], v10, v20, a[0:3]
	s_movk_i32 s4, 0xff
	v_and_b32_sdwa v14, v15, s4 dst_sel:DWORD dst_unused:UNUSED_PAD src0_sel:WORD_1 src1_sel:DWORD
	s_movk_i32 s4, 0x7f
	v_cmp_lt_i16_e32 vcc, s4, v14
	s_mov_b64 s[4:5], 0
                                        ; implicit-def: $sgpr10
	s_and_saveexec_b64 s[6:7], vcc
	s_xor_b64 s[6:7], exec, s[6:7]
	s_cbranch_execnz .LBB11_2865
; %bb.817:
	s_or_saveexec_b64 s[6:7], s[6:7]
	v_mov_b32_e32 v10, s10
	s_xor_b64 exec, exec, s[6:7]
	s_cbranch_execnz .LBB11_2868
.LBB11_818:
	s_or_b64 exec, exec, s[6:7]
	s_and_saveexec_b64 s[6:7], s[4:5]
	s_cbranch_execz .LBB11_820
.LBB11_819:
	v_bfe_u32 v10, v15, 16, 3
	v_ffbh_u32_e32 v21, v10
	v_min_u32_e32 v21, 32, v21
	v_lshrrev_b32_e32 v14, 19, v15
	v_subrev_u32_e32 v22, 28, v21
	v_and_b32_e32 v14, 15, v14
	v_lshlrev_b32_sdwa v22, v22, v15 dst_sel:DWORD dst_unused:UNUSED_PAD src0_sel:DWORD src1_sel:WORD_1
	v_bfe_u32 v20, v15, 19, 4
	v_sub_u32_e32 v21, 29, v21
	v_and_b32_e32 v22, 7, v22
	v_cmp_eq_u16_e32 vcc, 0, v14
	v_cndmask_b32_e32 v10, v10, v22, vcc
	v_cndmask_b32_e32 v14, v20, v21, vcc
	v_lshlrev_b32_e32 v20, 8, v15
	v_mov_b32_e32 v21, 0x3b800000
	v_lshlrev_b32_e32 v10, 20, v10
	v_and_b32_e32 v20, 0x80000000, v20
	v_lshl_add_u32 v14, v14, 23, v21
	v_or3_b32 v10, v20, v14, v10
.LBB11_820:
	s_or_b64 exec, exec, s[6:7]
	s_movk_i32 s4, 0xff
	v_and_b32_sdwa v14, v11, s4 dst_sel:DWORD dst_unused:UNUSED_PAD src0_sel:WORD_1 src1_sel:DWORD
	s_movk_i32 s4, 0x7f
	v_cmp_lt_i16_e32 vcc, s4, v14
	s_mov_b64 s[4:5], 0
                                        ; implicit-def: $sgpr10
	s_and_saveexec_b64 s[6:7], vcc
	s_xor_b64 s[6:7], exec, s[6:7]
	s_cbranch_execnz .LBB11_2869
; %bb.821:
	s_or_saveexec_b64 s[6:7], s[6:7]
	v_mov_b32_e32 v20, s10
	s_xor_b64 exec, exec, s[6:7]
	s_cbranch_execnz .LBB11_2872
.LBB11_822:
	s_or_b64 exec, exec, s[6:7]
	s_and_saveexec_b64 s[6:7], s[4:5]
	s_cbranch_execz .LBB11_824
.LBB11_823:
	v_bfe_u32 v14, v11, 16, 3
	v_ffbh_u32_e32 v22, v14
	v_min_u32_e32 v22, 32, v22
	v_lshrrev_b32_e32 v20, 19, v11
	v_subrev_u32_e32 v23, 28, v22
	v_and_b32_e32 v20, 15, v20
	v_lshlrev_b32_sdwa v23, v23, v11 dst_sel:DWORD dst_unused:UNUSED_PAD src0_sel:DWORD src1_sel:WORD_1
	v_bfe_u32 v21, v11, 19, 4
	v_sub_u32_e32 v22, 29, v22
	v_and_b32_e32 v23, 7, v23
	v_cmp_eq_u16_e32 vcc, 0, v20
	v_cndmask_b32_e32 v14, v14, v23, vcc
	v_cndmask_b32_e32 v20, v21, v22, vcc
	v_lshlrev_b32_e32 v21, 8, v11
	v_mov_b32_e32 v22, 0x3b800000
	v_lshlrev_b32_e32 v14, 20, v14
	v_and_b32_e32 v21, 0x80000000, v21
	v_lshl_add_u32 v20, v20, 23, v22
	v_or3_b32 v20, v21, v20, v14
.LBB11_824:
	s_or_b64 exec, exec, s[6:7]
	s_nop 0
	v_mfma_f32_16x16x4f32 a[0:3], v10, v20, a[0:3]
	s_movk_i32 s4, 0x7f
	v_cmp_gt_i16_sdwa s[6:7], v15, s4 src0_sel:BYTE_3 src1_sel:DWORD
	s_mov_b64 s[4:5], 0
                                        ; implicit-def: $sgpr10
	s_and_saveexec_b64 s[8:9], s[6:7]
	s_xor_b64 s[6:7], exec, s[8:9]
	s_cbranch_execnz .LBB11_2873
; %bb.825:
	s_or_saveexec_b64 s[6:7], s[6:7]
	v_mov_b32_e32 v10, s10
	s_xor_b64 exec, exec, s[6:7]
	s_cbranch_execnz .LBB11_2876
.LBB11_826:
	s_or_b64 exec, exec, s[6:7]
	s_and_saveexec_b64 s[6:7], s[4:5]
	s_cbranch_execz .LBB11_828
.LBB11_827:
	v_bfe_u32 v10, v15, 24, 3
	v_ffbh_u32_e32 v22, v10
	v_min_u32_e32 v22, 32, v22
	v_lshrrev_b32_e32 v20, 27, v15
	v_subrev_u32_e32 v23, 28, v22
	v_and_b32_e32 v14, 0x80000000, v15
	v_and_b32_e32 v20, 15, v20
	v_bfe_u32 v21, v15, 27, 4
	v_lshlrev_b32_sdwa v15, v23, v15 dst_sel:DWORD dst_unused:UNUSED_PAD src0_sel:DWORD src1_sel:BYTE_3
	v_sub_u32_e32 v22, 29, v22
	v_and_b32_e32 v15, 7, v15
	v_cmp_eq_u16_e32 vcc, 0, v20
	v_cndmask_b32_e32 v10, v10, v15, vcc
	v_cndmask_b32_e32 v15, v21, v22, vcc
	v_mov_b32_e32 v20, 0x3b800000
	v_lshlrev_b32_e32 v10, 20, v10
	v_lshl_add_u32 v15, v15, 23, v20
	v_or3_b32 v10, v14, v15, v10
.LBB11_828:
	s_or_b64 exec, exec, s[6:7]
	s_movk_i32 s4, 0x7f
	v_cmp_gt_i16_sdwa s[6:7], v11, s4 src0_sel:BYTE_3 src1_sel:DWORD
	s_mov_b64 s[4:5], 0
                                        ; implicit-def: $sgpr10
	s_and_saveexec_b64 s[8:9], s[6:7]
	s_xor_b64 s[6:7], exec, s[8:9]
	s_cbranch_execnz .LBB11_2877
; %bb.829:
	s_or_saveexec_b64 s[6:7], s[6:7]
	v_mov_b32_e32 v14, s10
	s_xor_b64 exec, exec, s[6:7]
	s_cbranch_execnz .LBB11_2880
.LBB11_830:
	s_or_b64 exec, exec, s[6:7]
	s_and_saveexec_b64 s[6:7], s[4:5]
	s_cbranch_execz .LBB11_832
.LBB11_831:
	v_bfe_u32 v14, v11, 24, 3
	v_ffbh_u32_e32 v22, v14
	v_min_u32_e32 v22, 32, v22
	v_lshrrev_b32_e32 v20, 27, v11
	v_subrev_u32_e32 v23, 28, v22
	v_and_b32_e32 v15, 0x80000000, v11
	v_and_b32_e32 v20, 15, v20
	v_bfe_u32 v21, v11, 27, 4
	v_lshlrev_b32_sdwa v11, v23, v11 dst_sel:DWORD dst_unused:UNUSED_PAD src0_sel:DWORD src1_sel:BYTE_3
	v_sub_u32_e32 v22, 29, v22
	v_and_b32_e32 v11, 7, v11
	v_cmp_eq_u16_e32 vcc, 0, v20
	v_cndmask_b32_e32 v11, v14, v11, vcc
	v_cndmask_b32_e32 v14, v21, v22, vcc
	v_mov_b32_e32 v20, 0x3b800000
	v_lshlrev_b32_e32 v11, 20, v11
	v_lshl_add_u32 v14, v14, 23, v20
	v_or3_b32 v14, v15, v14, v11
.LBB11_832:
	s_or_b64 exec, exec, s[6:7]
	s_nop 0
	v_mfma_f32_16x16x4f32 a[0:3], v10, v14, a[0:3]
	s_movk_i32 s4, 0x7f
	v_cmp_gt_i16_sdwa s[6:7], v16, s4 src0_sel:BYTE_0 src1_sel:DWORD
	s_mov_b64 s[4:5], 0
                                        ; implicit-def: $sgpr10
	s_and_saveexec_b64 s[8:9], s[6:7]
	s_xor_b64 s[6:7], exec, s[8:9]
	s_cbranch_execnz .LBB11_2881
; %bb.833:
	s_or_saveexec_b64 s[6:7], s[6:7]
	v_mov_b32_e32 v10, s10
	s_xor_b64 exec, exec, s[6:7]
	s_cbranch_execnz .LBB11_2884
.LBB11_834:
	s_or_b64 exec, exec, s[6:7]
	s_and_saveexec_b64 s[6:7], s[4:5]
	s_cbranch_execz .LBB11_836
.LBB11_835:
	v_and_b32_e32 v10, 7, v16
	v_ffbh_u32_e32 v14, v10
	v_min_u32_e32 v14, 32, v14
	v_lshrrev_b16_e32 v11, 3, v16
	v_subrev_u32_e32 v15, 28, v14
	v_and_b32_e32 v11, 15, v11
	v_lshlrev_b32_e32 v15, v15, v16
	v_sub_u32_e32 v14, 29, v14
	v_and_b32_e32 v15, 7, v15
	v_cmp_eq_u16_e32 vcc, 0, v11
	v_cndmask_b32_e32 v10, v10, v15, vcc
	v_cndmask_b32_e32 v11, v11, v14, vcc
	v_lshlrev_b32_e32 v14, 24, v16
	v_mov_b32_e32 v15, 0x3b800000
	v_lshlrev_b32_e32 v10, 20, v10
	v_and_b32_e32 v14, 0x80000000, v14
	v_lshl_add_u32 v11, v11, 23, v15
	v_or3_b32 v10, v14, v11, v10
.LBB11_836:
	s_or_b64 exec, exec, s[6:7]
	s_movk_i32 s4, 0x7f
	v_cmp_gt_i16_sdwa s[6:7], v12, s4 src0_sel:BYTE_0 src1_sel:DWORD
	s_mov_b64 s[4:5], 0
                                        ; implicit-def: $sgpr10
	s_and_saveexec_b64 s[8:9], s[6:7]
	s_xor_b64 s[6:7], exec, s[8:9]
	s_cbranch_execnz .LBB11_2885
; %bb.837:
	s_or_saveexec_b64 s[6:7], s[6:7]
	v_mov_b32_e32 v11, s10
	s_xor_b64 exec, exec, s[6:7]
	s_cbranch_execnz .LBB11_2888
.LBB11_838:
	s_or_b64 exec, exec, s[6:7]
	s_and_saveexec_b64 s[6:7], s[4:5]
	s_cbranch_execz .LBB11_840
.LBB11_839:
	v_and_b32_e32 v11, 7, v12
	v_ffbh_u32_e32 v15, v11
	v_min_u32_e32 v15, 32, v15
	v_lshrrev_b16_e32 v14, 3, v12
	v_subrev_u32_e32 v20, 28, v15
	v_and_b32_e32 v14, 15, v14
	v_lshlrev_b32_e32 v20, v20, v12
	v_sub_u32_e32 v15, 29, v15
	v_and_b32_e32 v20, 7, v20
	v_cmp_eq_u16_e32 vcc, 0, v14
	v_cndmask_b32_e32 v11, v11, v20, vcc
	v_cndmask_b32_e32 v14, v14, v15, vcc
	v_lshlrev_b32_e32 v15, 24, v12
	v_mov_b32_e32 v20, 0x3b800000
	v_lshlrev_b32_e32 v11, 20, v11
	v_and_b32_e32 v15, 0x80000000, v15
	v_lshl_add_u32 v14, v14, 23, v20
	v_or3_b32 v11, v15, v14, v11
.LBB11_840:
	s_or_b64 exec, exec, s[6:7]
	s_nop 0
	v_mfma_f32_16x16x4f32 a[0:3], v10, v11, a[0:3]
	v_lshrrev_b32_e32 v11, 8, v16
	s_movk_i32 s4, 0x7f
	v_cmp_gt_i16_sdwa s[6:7], v11, s4 src0_sel:BYTE_0 src1_sel:DWORD
	s_mov_b64 s[4:5], 0
                                        ; implicit-def: $sgpr10
	s_and_saveexec_b64 s[8:9], s[6:7]
	s_xor_b64 s[6:7], exec, s[8:9]
	s_cbranch_execnz .LBB11_2889
; %bb.841:
	s_or_saveexec_b64 s[6:7], s[6:7]
	v_mov_b32_e32 v10, s10
	s_xor_b64 exec, exec, s[6:7]
	s_cbranch_execnz .LBB11_2892
.LBB11_842:
	s_or_b64 exec, exec, s[6:7]
	s_and_saveexec_b64 s[6:7], s[4:5]
	s_cbranch_execz .LBB11_844
.LBB11_843:
	v_bfe_u32 v10, v16, 8, 3
	v_ffbh_u32_e32 v15, v10
	v_min_u32_e32 v15, 32, v15
	v_lshrrev_b16_e32 v14, 3, v11
	v_subrev_u32_e32 v20, 28, v15
	v_and_b32_e32 v14, 15, v14
	v_lshlrev_b32_e32 v11, v20, v11
	v_sub_u32_e32 v15, 29, v15
	v_and_b32_e32 v11, 7, v11
	v_cmp_eq_u16_e32 vcc, 0, v14
	v_cndmask_b32_e32 v10, v10, v11, vcc
	v_cndmask_b32_e32 v11, v14, v15, vcc
	v_lshlrev_b32_e32 v14, 16, v16
	v_mov_b32_e32 v15, 0x3b800000
	v_lshlrev_b32_e32 v10, 20, v10
	v_and_b32_e32 v14, 0x80000000, v14
	v_lshl_add_u32 v11, v11, 23, v15
	v_or3_b32 v10, v14, v11, v10
.LBB11_844:
	s_or_b64 exec, exec, s[6:7]
	v_lshrrev_b32_e32 v11, 8, v12
	s_movk_i32 s4, 0x7f
	v_cmp_gt_i16_sdwa s[6:7], v11, s4 src0_sel:BYTE_0 src1_sel:DWORD
	s_mov_b64 s[4:5], 0
                                        ; implicit-def: $sgpr10
	s_and_saveexec_b64 s[8:9], s[6:7]
	s_xor_b64 s[6:7], exec, s[8:9]
	s_cbranch_execnz .LBB11_2893
; %bb.845:
	s_or_saveexec_b64 s[6:7], s[6:7]
	v_mov_b32_e32 v14, s10
	s_xor_b64 exec, exec, s[6:7]
	s_cbranch_execnz .LBB11_2896
.LBB11_846:
	s_or_b64 exec, exec, s[6:7]
	s_and_saveexec_b64 s[6:7], s[4:5]
	s_cbranch_execz .LBB11_848
.LBB11_847:
	v_bfe_u32 v14, v12, 8, 3
	v_ffbh_u32_e32 v20, v14
	v_min_u32_e32 v20, 32, v20
	v_lshrrev_b16_e32 v15, 3, v11
	v_subrev_u32_e32 v21, 28, v20
	v_and_b32_e32 v15, 15, v15
	v_lshlrev_b32_e32 v11, v21, v11
	v_sub_u32_e32 v20, 29, v20
	v_and_b32_e32 v11, 7, v11
	v_cmp_eq_u16_e32 vcc, 0, v15
	v_cndmask_b32_e32 v11, v14, v11, vcc
	v_cndmask_b32_e32 v14, v15, v20, vcc
	v_lshlrev_b32_e32 v15, 16, v12
	v_mov_b32_e32 v20, 0x3b800000
	v_lshlrev_b32_e32 v11, 20, v11
	v_and_b32_e32 v15, 0x80000000, v15
	v_lshl_add_u32 v14, v14, 23, v20
	v_or3_b32 v14, v15, v14, v11
.LBB11_848:
	s_or_b64 exec, exec, s[6:7]
	s_nop 0
	v_mfma_f32_16x16x4f32 a[0:3], v10, v14, a[0:3]
	s_movk_i32 s4, 0xff
	v_and_b32_sdwa v11, v16, s4 dst_sel:DWORD dst_unused:UNUSED_PAD src0_sel:WORD_1 src1_sel:DWORD
	s_movk_i32 s4, 0x7f
	v_cmp_lt_i16_e32 vcc, s4, v11
	s_mov_b64 s[4:5], 0
                                        ; implicit-def: $sgpr10
	s_and_saveexec_b64 s[6:7], vcc
	s_xor_b64 s[6:7], exec, s[6:7]
	s_cbranch_execnz .LBB11_2897
; %bb.849:
	s_or_saveexec_b64 s[6:7], s[6:7]
	v_mov_b32_e32 v10, s10
	s_xor_b64 exec, exec, s[6:7]
	s_cbranch_execnz .LBB11_2900
.LBB11_850:
	s_or_b64 exec, exec, s[6:7]
	s_and_saveexec_b64 s[6:7], s[4:5]
	s_cbranch_execz .LBB11_852
.LBB11_851:
	v_bfe_u32 v10, v16, 16, 3
	v_ffbh_u32_e32 v15, v10
	v_min_u32_e32 v15, 32, v15
	v_lshrrev_b32_e32 v11, 19, v16
	v_subrev_u32_e32 v20, 28, v15
	v_and_b32_e32 v11, 15, v11
	v_lshlrev_b32_sdwa v20, v20, v16 dst_sel:DWORD dst_unused:UNUSED_PAD src0_sel:DWORD src1_sel:WORD_1
	v_bfe_u32 v14, v16, 19, 4
	v_sub_u32_e32 v15, 29, v15
	v_and_b32_e32 v20, 7, v20
	v_cmp_eq_u16_e32 vcc, 0, v11
	v_cndmask_b32_e32 v10, v10, v20, vcc
	v_cndmask_b32_e32 v11, v14, v15, vcc
	v_lshlrev_b32_e32 v14, 8, v16
	v_mov_b32_e32 v15, 0x3b800000
	v_lshlrev_b32_e32 v10, 20, v10
	v_and_b32_e32 v14, 0x80000000, v14
	v_lshl_add_u32 v11, v11, 23, v15
	v_or3_b32 v10, v14, v11, v10
.LBB11_852:
	s_or_b64 exec, exec, s[6:7]
	s_movk_i32 s4, 0xff
	v_and_b32_sdwa v11, v12, s4 dst_sel:DWORD dst_unused:UNUSED_PAD src0_sel:WORD_1 src1_sel:DWORD
	s_movk_i32 s4, 0x7f
	v_cmp_lt_i16_e32 vcc, s4, v11
	s_mov_b64 s[4:5], 0
                                        ; implicit-def: $sgpr10
	s_and_saveexec_b64 s[6:7], vcc
	s_xor_b64 s[6:7], exec, s[6:7]
	s_cbranch_execnz .LBB11_2901
; %bb.853:
	s_or_saveexec_b64 s[6:7], s[6:7]
	v_mov_b32_e32 v14, s10
	s_xor_b64 exec, exec, s[6:7]
	s_cbranch_execnz .LBB11_2904
.LBB11_854:
	s_or_b64 exec, exec, s[6:7]
	s_and_saveexec_b64 s[6:7], s[4:5]
	s_cbranch_execz .LBB11_856
.LBB11_855:
	v_bfe_u32 v11, v12, 16, 3
	v_ffbh_u32_e32 v20, v11
	v_min_u32_e32 v20, 32, v20
	v_lshrrev_b32_e32 v14, 19, v12
	v_subrev_u32_e32 v21, 28, v20
	v_and_b32_e32 v14, 15, v14
	v_lshlrev_b32_sdwa v21, v21, v12 dst_sel:DWORD dst_unused:UNUSED_PAD src0_sel:DWORD src1_sel:WORD_1
	v_bfe_u32 v15, v12, 19, 4
	v_sub_u32_e32 v20, 29, v20
	v_and_b32_e32 v21, 7, v21
	v_cmp_eq_u16_e32 vcc, 0, v14
	v_cndmask_b32_e32 v11, v11, v21, vcc
	v_cndmask_b32_e32 v14, v15, v20, vcc
	v_lshlrev_b32_e32 v15, 8, v12
	v_mov_b32_e32 v20, 0x3b800000
	v_lshlrev_b32_e32 v11, 20, v11
	v_and_b32_e32 v15, 0x80000000, v15
	v_lshl_add_u32 v14, v14, 23, v20
	v_or3_b32 v14, v15, v14, v11
.LBB11_856:
	s_or_b64 exec, exec, s[6:7]
	s_nop 0
	v_mfma_f32_16x16x4f32 a[0:3], v10, v14, a[0:3]
	s_movk_i32 s4, 0x7f
	v_cmp_gt_i16_sdwa s[6:7], v16, s4 src0_sel:BYTE_3 src1_sel:DWORD
	s_mov_b64 s[4:5], 0
                                        ; implicit-def: $sgpr10
	s_and_saveexec_b64 s[8:9], s[6:7]
	s_xor_b64 s[6:7], exec, s[8:9]
	s_cbranch_execnz .LBB11_2905
; %bb.857:
	s_or_saveexec_b64 s[6:7], s[6:7]
	v_mov_b32_e32 v10, s10
	s_xor_b64 exec, exec, s[6:7]
	s_cbranch_execnz .LBB11_2908
.LBB11_858:
	s_or_b64 exec, exec, s[6:7]
	s_and_saveexec_b64 s[6:7], s[4:5]
	s_cbranch_execz .LBB11_860
.LBB11_859:
	v_bfe_u32 v10, v16, 24, 3
	v_ffbh_u32_e32 v20, v10
	v_min_u32_e32 v20, 32, v20
	v_lshrrev_b32_e32 v14, 27, v16
	v_subrev_u32_e32 v21, 28, v20
	v_and_b32_e32 v11, 0x80000000, v16
	v_and_b32_e32 v14, 15, v14
	v_bfe_u32 v15, v16, 27, 4
	v_lshlrev_b32_sdwa v16, v21, v16 dst_sel:DWORD dst_unused:UNUSED_PAD src0_sel:DWORD src1_sel:BYTE_3
	v_sub_u32_e32 v20, 29, v20
	v_and_b32_e32 v16, 7, v16
	v_cmp_eq_u16_e32 vcc, 0, v14
	v_cndmask_b32_e32 v10, v10, v16, vcc
	v_cndmask_b32_e32 v14, v15, v20, vcc
	v_mov_b32_e32 v15, 0x3b800000
	v_lshlrev_b32_e32 v10, 20, v10
	v_lshl_add_u32 v14, v14, 23, v15
	v_or3_b32 v10, v11, v14, v10
.LBB11_860:
	s_or_b64 exec, exec, s[6:7]
	s_movk_i32 s4, 0x7f
	v_cmp_gt_i16_sdwa s[6:7], v12, s4 src0_sel:BYTE_3 src1_sel:DWORD
	s_mov_b64 s[4:5], 0
                                        ; implicit-def: $sgpr10
	s_and_saveexec_b64 s[8:9], s[6:7]
	s_xor_b64 s[6:7], exec, s[8:9]
	s_cbranch_execnz .LBB11_2909
; %bb.861:
	s_or_saveexec_b64 s[6:7], s[6:7]
	v_mov_b32_e32 v11, s10
	s_xor_b64 exec, exec, s[6:7]
	s_cbranch_execnz .LBB11_2912
.LBB11_862:
	s_or_b64 exec, exec, s[6:7]
	s_and_saveexec_b64 s[6:7], s[4:5]
	s_cbranch_execz .LBB11_864
.LBB11_863:
	v_bfe_u32 v11, v12, 24, 3
	v_ffbh_u32_e32 v20, v11
	v_min_u32_e32 v20, 32, v20
	v_lshrrev_b32_e32 v15, 27, v12
	v_subrev_u32_e32 v21, 28, v20
	v_and_b32_e32 v14, 0x80000000, v12
	v_and_b32_e32 v15, 15, v15
	v_bfe_u32 v16, v12, 27, 4
	v_lshlrev_b32_sdwa v12, v21, v12 dst_sel:DWORD dst_unused:UNUSED_PAD src0_sel:DWORD src1_sel:BYTE_3
	v_sub_u32_e32 v20, 29, v20
	v_and_b32_e32 v12, 7, v12
	v_cmp_eq_u16_e32 vcc, 0, v15
	v_cndmask_b32_e32 v11, v11, v12, vcc
	v_cndmask_b32_e32 v12, v16, v20, vcc
	v_mov_b32_e32 v15, 0x3b800000
	v_lshlrev_b32_e32 v11, 20, v11
	v_lshl_add_u32 v12, v12, 23, v15
	v_or3_b32 v11, v14, v12, v11
.LBB11_864:
	s_or_b64 exec, exec, s[6:7]
	s_nop 0
	v_mfma_f32_16x16x4f32 a[0:3], v10, v11, a[0:3]
	s_movk_i32 s4, 0x7f
	v_cmp_gt_i16_sdwa s[6:7], v17, s4 src0_sel:BYTE_0 src1_sel:DWORD
	s_mov_b64 s[4:5], 0
                                        ; implicit-def: $sgpr10
	s_and_saveexec_b64 s[8:9], s[6:7]
	s_xor_b64 s[6:7], exec, s[8:9]
	s_cbranch_execnz .LBB11_2913
; %bb.865:
	s_or_saveexec_b64 s[6:7], s[6:7]
	v_mov_b32_e32 v10, s10
	s_xor_b64 exec, exec, s[6:7]
	s_cbranch_execnz .LBB11_2916
.LBB11_866:
	s_or_b64 exec, exec, s[6:7]
	s_and_saveexec_b64 s[6:7], s[4:5]
	s_cbranch_execz .LBB11_868
.LBB11_867:
	v_and_b32_e32 v10, 7, v17
	v_ffbh_u32_e32 v12, v10
	v_min_u32_e32 v12, 32, v12
	v_lshrrev_b16_e32 v11, 3, v17
	v_subrev_u32_e32 v14, 28, v12
	v_and_b32_e32 v11, 15, v11
	v_lshlrev_b32_e32 v14, v14, v17
	v_sub_u32_e32 v12, 29, v12
	v_and_b32_e32 v14, 7, v14
	v_cmp_eq_u16_e32 vcc, 0, v11
	v_cndmask_b32_e32 v10, v10, v14, vcc
	v_cndmask_b32_e32 v11, v11, v12, vcc
	v_lshlrev_b32_e32 v12, 24, v17
	v_mov_b32_e32 v14, 0x3b800000
	v_lshlrev_b32_e32 v10, 20, v10
	v_and_b32_e32 v12, 0x80000000, v12
	v_lshl_add_u32 v11, v11, 23, v14
	v_or3_b32 v10, v12, v11, v10
.LBB11_868:
	s_or_b64 exec, exec, s[6:7]
	s_movk_i32 s4, 0x7f
	v_cmp_gt_i16_sdwa s[6:7], v13, s4 src0_sel:BYTE_0 src1_sel:DWORD
	s_mov_b64 s[4:5], 0
                                        ; implicit-def: $sgpr10
	s_and_saveexec_b64 s[8:9], s[6:7]
	s_xor_b64 s[6:7], exec, s[8:9]
	s_cbranch_execnz .LBB11_2917
; %bb.869:
	s_or_saveexec_b64 s[6:7], s[6:7]
	v_mov_b32_e32 v11, s10
	s_xor_b64 exec, exec, s[6:7]
	s_cbranch_execnz .LBB11_2920
.LBB11_870:
	s_or_b64 exec, exec, s[6:7]
	s_and_saveexec_b64 s[6:7], s[4:5]
	s_cbranch_execz .LBB11_872
.LBB11_871:
	v_and_b32_e32 v11, 7, v13
	v_ffbh_u32_e32 v14, v11
	v_min_u32_e32 v14, 32, v14
	v_lshrrev_b16_e32 v12, 3, v13
	v_subrev_u32_e32 v15, 28, v14
	v_and_b32_e32 v12, 15, v12
	v_lshlrev_b32_e32 v15, v15, v13
	v_sub_u32_e32 v14, 29, v14
	v_and_b32_e32 v15, 7, v15
	v_cmp_eq_u16_e32 vcc, 0, v12
	v_cndmask_b32_e32 v11, v11, v15, vcc
	v_cndmask_b32_e32 v12, v12, v14, vcc
	v_lshlrev_b32_e32 v14, 24, v13
	v_mov_b32_e32 v15, 0x3b800000
	v_lshlrev_b32_e32 v11, 20, v11
	v_and_b32_e32 v14, 0x80000000, v14
	v_lshl_add_u32 v12, v12, 23, v15
	v_or3_b32 v11, v14, v12, v11
.LBB11_872:
	s_or_b64 exec, exec, s[6:7]
	s_nop 0
	v_mfma_f32_16x16x4f32 a[0:3], v10, v11, a[0:3]
	v_lshrrev_b32_e32 v11, 8, v17
	s_movk_i32 s4, 0x7f
	v_cmp_gt_i16_sdwa s[6:7], v11, s4 src0_sel:BYTE_0 src1_sel:DWORD
	s_mov_b64 s[4:5], 0
                                        ; implicit-def: $sgpr10
	s_and_saveexec_b64 s[8:9], s[6:7]
	s_xor_b64 s[6:7], exec, s[8:9]
	s_cbranch_execnz .LBB11_2921
; %bb.873:
	s_or_saveexec_b64 s[6:7], s[6:7]
	v_mov_b32_e32 v10, s10
	s_xor_b64 exec, exec, s[6:7]
	s_cbranch_execnz .LBB11_2924
.LBB11_874:
	s_or_b64 exec, exec, s[6:7]
	s_and_saveexec_b64 s[6:7], s[4:5]
	s_cbranch_execz .LBB11_876
.LBB11_875:
	v_bfe_u32 v10, v17, 8, 3
	v_ffbh_u32_e32 v14, v10
	v_min_u32_e32 v14, 32, v14
	v_lshrrev_b16_e32 v12, 3, v11
	v_subrev_u32_e32 v15, 28, v14
	v_and_b32_e32 v12, 15, v12
	v_lshlrev_b32_e32 v11, v15, v11
	v_sub_u32_e32 v14, 29, v14
	v_and_b32_e32 v11, 7, v11
	v_cmp_eq_u16_e32 vcc, 0, v12
	v_cndmask_b32_e32 v10, v10, v11, vcc
	v_cndmask_b32_e32 v11, v12, v14, vcc
	v_lshlrev_b32_e32 v12, 16, v17
	v_mov_b32_e32 v14, 0x3b800000
	v_lshlrev_b32_e32 v10, 20, v10
	v_and_b32_e32 v12, 0x80000000, v12
	v_lshl_add_u32 v11, v11, 23, v14
	v_or3_b32 v10, v12, v11, v10
.LBB11_876:
	s_or_b64 exec, exec, s[6:7]
	v_lshrrev_b32_e32 v11, 8, v13
	s_movk_i32 s4, 0x7f
	v_cmp_gt_i16_sdwa s[6:7], v11, s4 src0_sel:BYTE_0 src1_sel:DWORD
	s_mov_b64 s[4:5], 0
                                        ; implicit-def: $sgpr10
	s_and_saveexec_b64 s[8:9], s[6:7]
	s_xor_b64 s[6:7], exec, s[8:9]
	s_cbranch_execnz .LBB11_2925
; %bb.877:
	s_or_saveexec_b64 s[6:7], s[6:7]
	v_mov_b32_e32 v12, s10
	s_xor_b64 exec, exec, s[6:7]
	s_cbranch_execnz .LBB11_2928
.LBB11_878:
	s_or_b64 exec, exec, s[6:7]
	s_and_saveexec_b64 s[6:7], s[4:5]
	s_cbranch_execz .LBB11_880
.LBB11_879:
	v_bfe_u32 v12, v13, 8, 3
	v_ffbh_u32_e32 v15, v12
	v_min_u32_e32 v15, 32, v15
	v_lshrrev_b16_e32 v14, 3, v11
	v_subrev_u32_e32 v16, 28, v15
	v_and_b32_e32 v14, 15, v14
	v_lshlrev_b32_e32 v11, v16, v11
	v_sub_u32_e32 v15, 29, v15
	v_and_b32_e32 v11, 7, v11
	v_cmp_eq_u16_e32 vcc, 0, v14
	v_cndmask_b32_e32 v11, v12, v11, vcc
	v_cndmask_b32_e32 v12, v14, v15, vcc
	v_lshlrev_b32_e32 v14, 16, v13
	v_mov_b32_e32 v15, 0x3b800000
	v_lshlrev_b32_e32 v11, 20, v11
	v_and_b32_e32 v14, 0x80000000, v14
	v_lshl_add_u32 v12, v12, 23, v15
	v_or3_b32 v12, v14, v12, v11
.LBB11_880:
	s_or_b64 exec, exec, s[6:7]
	s_nop 0
	v_mfma_f32_16x16x4f32 a[0:3], v10, v12, a[0:3]
	s_movk_i32 s4, 0xff
	v_and_b32_sdwa v11, v17, s4 dst_sel:DWORD dst_unused:UNUSED_PAD src0_sel:WORD_1 src1_sel:DWORD
	s_movk_i32 s4, 0x7f
	v_cmp_lt_i16_e32 vcc, s4, v11
	s_mov_b64 s[4:5], 0
                                        ; implicit-def: $sgpr10
	s_and_saveexec_b64 s[6:7], vcc
	s_xor_b64 s[6:7], exec, s[6:7]
	s_cbranch_execnz .LBB11_2929
; %bb.881:
	s_or_saveexec_b64 s[6:7], s[6:7]
	v_mov_b32_e32 v10, s10
	s_xor_b64 exec, exec, s[6:7]
	s_cbranch_execnz .LBB11_2932
.LBB11_882:
	s_or_b64 exec, exec, s[6:7]
	s_and_saveexec_b64 s[6:7], s[4:5]
	s_cbranch_execz .LBB11_884
.LBB11_883:
	v_bfe_u32 v10, v17, 16, 3
	v_ffbh_u32_e32 v14, v10
	v_min_u32_e32 v14, 32, v14
	v_lshrrev_b32_e32 v11, 19, v17
	v_subrev_u32_e32 v15, 28, v14
	v_and_b32_e32 v11, 15, v11
	v_lshlrev_b32_sdwa v15, v15, v17 dst_sel:DWORD dst_unused:UNUSED_PAD src0_sel:DWORD src1_sel:WORD_1
	v_bfe_u32 v12, v17, 19, 4
	v_sub_u32_e32 v14, 29, v14
	v_and_b32_e32 v15, 7, v15
	v_cmp_eq_u16_e32 vcc, 0, v11
	v_cndmask_b32_e32 v10, v10, v15, vcc
	v_cndmask_b32_e32 v11, v12, v14, vcc
	v_lshlrev_b32_e32 v12, 8, v17
	v_mov_b32_e32 v14, 0x3b800000
	v_lshlrev_b32_e32 v10, 20, v10
	v_and_b32_e32 v12, 0x80000000, v12
	v_lshl_add_u32 v11, v11, 23, v14
	v_or3_b32 v10, v12, v11, v10
.LBB11_884:
	s_or_b64 exec, exec, s[6:7]
	s_movk_i32 s4, 0xff
	v_and_b32_sdwa v11, v13, s4 dst_sel:DWORD dst_unused:UNUSED_PAD src0_sel:WORD_1 src1_sel:DWORD
	s_movk_i32 s4, 0x7f
	v_cmp_lt_i16_e32 vcc, s4, v11
	s_mov_b64 s[4:5], 0
                                        ; implicit-def: $sgpr10
	s_and_saveexec_b64 s[6:7], vcc
	s_xor_b64 s[6:7], exec, s[6:7]
	s_cbranch_execnz .LBB11_2933
; %bb.885:
	s_or_saveexec_b64 s[6:7], s[6:7]
	v_mov_b32_e32 v12, s10
	s_xor_b64 exec, exec, s[6:7]
	s_cbranch_execnz .LBB11_2936
.LBB11_886:
	s_or_b64 exec, exec, s[6:7]
	s_and_saveexec_b64 s[6:7], s[4:5]
	s_cbranch_execz .LBB11_888
.LBB11_887:
	v_bfe_u32 v11, v13, 16, 3
	v_ffbh_u32_e32 v15, v11
	v_min_u32_e32 v15, 32, v15
	v_lshrrev_b32_e32 v12, 19, v13
	v_subrev_u32_e32 v16, 28, v15
	v_and_b32_e32 v12, 15, v12
	v_lshlrev_b32_sdwa v16, v16, v13 dst_sel:DWORD dst_unused:UNUSED_PAD src0_sel:DWORD src1_sel:WORD_1
	v_bfe_u32 v14, v13, 19, 4
	v_sub_u32_e32 v15, 29, v15
	v_and_b32_e32 v16, 7, v16
	v_cmp_eq_u16_e32 vcc, 0, v12
	v_cndmask_b32_e32 v11, v11, v16, vcc
	v_cndmask_b32_e32 v12, v14, v15, vcc
	v_lshlrev_b32_e32 v14, 8, v13
	v_mov_b32_e32 v15, 0x3b800000
	v_lshlrev_b32_e32 v11, 20, v11
	v_and_b32_e32 v14, 0x80000000, v14
	v_lshl_add_u32 v12, v12, 23, v15
	v_or3_b32 v12, v14, v12, v11
.LBB11_888:
	s_or_b64 exec, exec, s[6:7]
	s_nop 0
	v_mfma_f32_16x16x4f32 a[0:3], v10, v12, a[0:3]
	s_movk_i32 s4, 0x7f
	v_cmp_gt_i16_sdwa s[6:7], v17, s4 src0_sel:BYTE_3 src1_sel:DWORD
	s_mov_b64 s[4:5], 0
                                        ; implicit-def: $sgpr10
	s_and_saveexec_b64 s[8:9], s[6:7]
	s_xor_b64 s[6:7], exec, s[8:9]
	s_cbranch_execnz .LBB11_2937
; %bb.889:
	s_or_saveexec_b64 s[6:7], s[6:7]
	v_mov_b32_e32 v10, s10
	s_xor_b64 exec, exec, s[6:7]
	s_cbranch_execnz .LBB11_2940
.LBB11_890:
	s_or_b64 exec, exec, s[6:7]
	s_and_saveexec_b64 s[6:7], s[4:5]
	s_cbranch_execz .LBB11_892
.LBB11_891:
	v_bfe_u32 v10, v17, 24, 3
	v_ffbh_u32_e32 v15, v10
	v_min_u32_e32 v15, 32, v15
	v_lshrrev_b32_e32 v12, 27, v17
	v_subrev_u32_e32 v16, 28, v15
	v_and_b32_e32 v12, 15, v12
	v_lshlrev_b32_sdwa v16, v16, v17 dst_sel:DWORD dst_unused:UNUSED_PAD src0_sel:DWORD src1_sel:BYTE_3
	v_bfe_u32 v14, v17, 27, 4
	v_sub_u32_e32 v15, 29, v15
	v_and_b32_e32 v16, 7, v16
	v_cmp_eq_u16_e32 vcc, 0, v12
	v_cndmask_b32_e32 v10, v10, v16, vcc
	v_cndmask_b32_e32 v12, v14, v15, vcc
	v_mov_b32_e32 v14, 0x3b800000
	v_and_b32_e32 v11, 0x80000000, v17
	v_lshlrev_b32_e32 v10, 20, v10
	v_lshl_add_u32 v12, v12, 23, v14
	v_or3_b32 v10, v11, v12, v10
.LBB11_892:
	s_or_b64 exec, exec, s[6:7]
	s_movk_i32 s4, 0x7f
	v_cmp_gt_i16_sdwa s[6:7], v13, s4 src0_sel:BYTE_3 src1_sel:DWORD
	s_mov_b64 s[4:5], 0
                                        ; implicit-def: $sgpr10
	s_and_saveexec_b64 s[8:9], s[6:7]
	s_xor_b64 s[6:7], exec, s[8:9]
	s_cbranch_execnz .LBB11_2941
; %bb.893:
	s_or_saveexec_b64 s[6:7], s[6:7]
	v_mov_b32_e32 v11, s10
	s_xor_b64 exec, exec, s[6:7]
	s_cbranch_execnz .LBB11_2944
.LBB11_894:
	s_or_b64 exec, exec, s[6:7]
	s_and_saveexec_b64 s[6:7], s[4:5]
	s_cbranch_execz .LBB11_896
.LBB11_895:
	v_bfe_u32 v11, v13, 24, 3
	v_ffbh_u32_e32 v16, v11
	v_min_u32_e32 v16, 32, v16
	v_lshrrev_b32_e32 v14, 27, v13
	v_subrev_u32_e32 v17, 28, v16
	v_and_b32_e32 v12, 0x80000000, v13
	v_and_b32_e32 v14, 15, v14
	v_bfe_u32 v15, v13, 27, 4
	v_lshlrev_b32_sdwa v13, v17, v13 dst_sel:DWORD dst_unused:UNUSED_PAD src0_sel:DWORD src1_sel:BYTE_3
	v_sub_u32_e32 v16, 29, v16
	v_and_b32_e32 v13, 7, v13
	v_cmp_eq_u16_e32 vcc, 0, v14
	v_cndmask_b32_e32 v11, v11, v13, vcc
	v_cndmask_b32_e32 v13, v15, v16, vcc
	v_mov_b32_e32 v14, 0x3b800000
	v_lshlrev_b32_e32 v11, 20, v11
	v_lshl_add_u32 v13, v13, 23, v14
	v_or3_b32 v11, v12, v13, v11
.LBB11_896:
	s_or_b64 exec, exec, s[6:7]
	s_nop 0
	v_mfma_f32_16x16x4f32 a[0:3], v10, v11, a[0:3]
	s_movk_i32 s4, 0x7f
	v_cmp_gt_i16_sdwa s[6:7], v6, s4 src0_sel:BYTE_0 src1_sel:DWORD
	s_mov_b64 s[4:5], 0
                                        ; implicit-def: $sgpr10
	s_and_saveexec_b64 s[8:9], s[6:7]
	s_xor_b64 s[6:7], exec, s[8:9]
	s_cbranch_execnz .LBB11_2945
; %bb.897:
	s_or_saveexec_b64 s[6:7], s[6:7]
	v_mov_b32_e32 v10, s10
	s_xor_b64 exec, exec, s[6:7]
	s_cbranch_execnz .LBB11_2948
.LBB11_898:
	s_or_b64 exec, exec, s[6:7]
	s_and_saveexec_b64 s[6:7], s[4:5]
	s_cbranch_execz .LBB11_900
.LBB11_899:
	v_and_b32_e32 v10, 7, v6
	v_ffbh_u32_e32 v12, v10
	v_min_u32_e32 v12, 32, v12
	v_lshrrev_b16_e32 v11, 3, v6
	v_subrev_u32_e32 v13, 28, v12
	v_and_b32_e32 v11, 15, v11
	v_lshlrev_b32_e32 v13, v13, v6
	v_sub_u32_e32 v12, 29, v12
	v_and_b32_e32 v13, 7, v13
	v_cmp_eq_u16_e32 vcc, 0, v11
	v_cndmask_b32_e32 v10, v10, v13, vcc
	v_cndmask_b32_e32 v11, v11, v12, vcc
	v_lshlrev_b32_e32 v12, 24, v6
	v_mov_b32_e32 v13, 0x3b800000
	v_lshlrev_b32_e32 v10, 20, v10
	v_and_b32_e32 v12, 0x80000000, v12
	v_lshl_add_u32 v11, v11, 23, v13
	v_or3_b32 v10, v12, v11, v10
.LBB11_900:
	s_or_b64 exec, exec, s[6:7]
	s_movk_i32 s4, 0x7f
	v_cmp_gt_i16_sdwa s[6:7], v2, s4 src0_sel:BYTE_0 src1_sel:DWORD
	s_mov_b64 s[4:5], 0
                                        ; implicit-def: $sgpr10
	s_and_saveexec_b64 s[8:9], s[6:7]
	s_xor_b64 s[6:7], exec, s[8:9]
	s_cbranch_execnz .LBB11_2949
; %bb.901:
	s_or_saveexec_b64 s[6:7], s[6:7]
	v_mov_b32_e32 v11, s10
	s_xor_b64 exec, exec, s[6:7]
	s_cbranch_execnz .LBB11_2952
.LBB11_902:
	s_or_b64 exec, exec, s[6:7]
	s_and_saveexec_b64 s[6:7], s[4:5]
	s_cbranch_execz .LBB11_904
.LBB11_903:
	v_and_b32_e32 v11, 7, v2
	v_ffbh_u32_e32 v13, v11
	v_min_u32_e32 v13, 32, v13
	v_lshrrev_b16_e32 v12, 3, v2
	v_subrev_u32_e32 v14, 28, v13
	v_and_b32_e32 v12, 15, v12
	v_lshlrev_b32_e32 v14, v14, v2
	v_sub_u32_e32 v13, 29, v13
	v_and_b32_e32 v14, 7, v14
	v_cmp_eq_u16_e32 vcc, 0, v12
	v_cndmask_b32_e32 v11, v11, v14, vcc
	v_cndmask_b32_e32 v12, v12, v13, vcc
	v_lshlrev_b32_e32 v13, 24, v2
	v_mov_b32_e32 v14, 0x3b800000
	v_lshlrev_b32_e32 v11, 20, v11
	v_and_b32_e32 v13, 0x80000000, v13
	v_lshl_add_u32 v12, v12, 23, v14
	v_or3_b32 v11, v13, v12, v11
.LBB11_904:
	s_or_b64 exec, exec, s[6:7]
	s_nop 0
	v_mfma_f32_16x16x4f32 a[0:3], v10, v11, a[0:3]
	v_lshrrev_b32_e32 v11, 8, v6
	s_movk_i32 s4, 0x7f
	v_cmp_gt_i16_sdwa s[6:7], v11, s4 src0_sel:BYTE_0 src1_sel:DWORD
	s_mov_b64 s[4:5], 0
                                        ; implicit-def: $sgpr10
	s_and_saveexec_b64 s[8:9], s[6:7]
	s_xor_b64 s[6:7], exec, s[8:9]
	s_cbranch_execnz .LBB11_2953
; %bb.905:
	s_or_saveexec_b64 s[6:7], s[6:7]
	v_mov_b32_e32 v10, s10
	s_xor_b64 exec, exec, s[6:7]
	s_cbranch_execnz .LBB11_2956
.LBB11_906:
	s_or_b64 exec, exec, s[6:7]
	s_and_saveexec_b64 s[6:7], s[4:5]
	s_cbranch_execz .LBB11_908
.LBB11_907:
	v_bfe_u32 v10, v6, 8, 3
	v_ffbh_u32_e32 v13, v10
	v_min_u32_e32 v13, 32, v13
	v_lshrrev_b16_e32 v12, 3, v11
	v_subrev_u32_e32 v14, 28, v13
	v_and_b32_e32 v12, 15, v12
	v_lshlrev_b32_e32 v11, v14, v11
	v_sub_u32_e32 v13, 29, v13
	v_and_b32_e32 v11, 7, v11
	v_cmp_eq_u16_e32 vcc, 0, v12
	v_cndmask_b32_e32 v10, v10, v11, vcc
	v_cndmask_b32_e32 v11, v12, v13, vcc
	v_lshlrev_b32_e32 v12, 16, v6
	v_mov_b32_e32 v13, 0x3b800000
	v_lshlrev_b32_e32 v10, 20, v10
	v_and_b32_e32 v12, 0x80000000, v12
	v_lshl_add_u32 v11, v11, 23, v13
	v_or3_b32 v10, v12, v11, v10
.LBB11_908:
	s_or_b64 exec, exec, s[6:7]
	v_lshrrev_b32_e32 v11, 8, v2
	s_movk_i32 s4, 0x7f
	v_cmp_gt_i16_sdwa s[6:7], v11, s4 src0_sel:BYTE_0 src1_sel:DWORD
	s_mov_b64 s[4:5], 0
                                        ; implicit-def: $sgpr10
	s_and_saveexec_b64 s[8:9], s[6:7]
	s_xor_b64 s[6:7], exec, s[8:9]
	s_cbranch_execnz .LBB11_2957
; %bb.909:
	s_or_saveexec_b64 s[6:7], s[6:7]
	v_mov_b32_e32 v12, s10
	s_xor_b64 exec, exec, s[6:7]
	s_cbranch_execnz .LBB11_2960
.LBB11_910:
	s_or_b64 exec, exec, s[6:7]
	s_and_saveexec_b64 s[6:7], s[4:5]
	s_cbranch_execz .LBB11_912
.LBB11_911:
	v_bfe_u32 v12, v2, 8, 3
	v_ffbh_u32_e32 v14, v12
	v_min_u32_e32 v14, 32, v14
	v_lshrrev_b16_e32 v13, 3, v11
	v_subrev_u32_e32 v15, 28, v14
	v_and_b32_e32 v13, 15, v13
	v_lshlrev_b32_e32 v11, v15, v11
	v_sub_u32_e32 v14, 29, v14
	v_and_b32_e32 v11, 7, v11
	v_cmp_eq_u16_e32 vcc, 0, v13
	v_cndmask_b32_e32 v11, v12, v11, vcc
	v_cndmask_b32_e32 v12, v13, v14, vcc
	v_lshlrev_b32_e32 v13, 16, v2
	v_mov_b32_e32 v14, 0x3b800000
	v_lshlrev_b32_e32 v11, 20, v11
	v_and_b32_e32 v13, 0x80000000, v13
	v_lshl_add_u32 v12, v12, 23, v14
	v_or3_b32 v12, v13, v12, v11
.LBB11_912:
	s_or_b64 exec, exec, s[6:7]
	s_nop 0
	v_mfma_f32_16x16x4f32 a[0:3], v10, v12, a[0:3]
	s_movk_i32 s4, 0xff
	v_and_b32_sdwa v11, v6, s4 dst_sel:DWORD dst_unused:UNUSED_PAD src0_sel:WORD_1 src1_sel:DWORD
	s_movk_i32 s4, 0x7f
	v_cmp_lt_i16_e32 vcc, s4, v11
	s_mov_b64 s[4:5], 0
                                        ; implicit-def: $sgpr10
	s_and_saveexec_b64 s[6:7], vcc
	s_xor_b64 s[6:7], exec, s[6:7]
	s_cbranch_execnz .LBB11_2961
; %bb.913:
	s_or_saveexec_b64 s[6:7], s[6:7]
	v_mov_b32_e32 v10, s10
	s_xor_b64 exec, exec, s[6:7]
	s_cbranch_execnz .LBB11_2964
.LBB11_914:
	s_or_b64 exec, exec, s[6:7]
	s_and_saveexec_b64 s[6:7], s[4:5]
	s_cbranch_execz .LBB11_916
.LBB11_915:
	v_bfe_u32 v10, v6, 16, 3
	v_ffbh_u32_e32 v13, v10
	v_min_u32_e32 v13, 32, v13
	v_lshrrev_b32_e32 v11, 19, v6
	v_subrev_u32_e32 v14, 28, v13
	v_and_b32_e32 v11, 15, v11
	v_lshlrev_b32_sdwa v14, v14, v6 dst_sel:DWORD dst_unused:UNUSED_PAD src0_sel:DWORD src1_sel:WORD_1
	v_bfe_u32 v12, v6, 19, 4
	v_sub_u32_e32 v13, 29, v13
	v_and_b32_e32 v14, 7, v14
	v_cmp_eq_u16_e32 vcc, 0, v11
	v_cndmask_b32_e32 v10, v10, v14, vcc
	v_cndmask_b32_e32 v11, v12, v13, vcc
	v_lshlrev_b32_e32 v12, 8, v6
	v_mov_b32_e32 v13, 0x3b800000
	v_lshlrev_b32_e32 v10, 20, v10
	v_and_b32_e32 v12, 0x80000000, v12
	v_lshl_add_u32 v11, v11, 23, v13
	v_or3_b32 v10, v12, v11, v10
.LBB11_916:
	s_or_b64 exec, exec, s[6:7]
	s_movk_i32 s4, 0xff
	v_and_b32_sdwa v11, v2, s4 dst_sel:DWORD dst_unused:UNUSED_PAD src0_sel:WORD_1 src1_sel:DWORD
	s_movk_i32 s4, 0x7f
	v_cmp_lt_i16_e32 vcc, s4, v11
	s_mov_b64 s[4:5], 0
                                        ; implicit-def: $sgpr10
	s_and_saveexec_b64 s[6:7], vcc
	s_xor_b64 s[6:7], exec, s[6:7]
	s_cbranch_execnz .LBB11_2965
; %bb.917:
	s_or_saveexec_b64 s[6:7], s[6:7]
	v_mov_b32_e32 v12, s10
	s_xor_b64 exec, exec, s[6:7]
	s_cbranch_execnz .LBB11_2968
.LBB11_918:
	s_or_b64 exec, exec, s[6:7]
	s_and_saveexec_b64 s[6:7], s[4:5]
	s_cbranch_execz .LBB11_920
.LBB11_919:
	v_bfe_u32 v11, v2, 16, 3
	v_ffbh_u32_e32 v14, v11
	v_min_u32_e32 v14, 32, v14
	v_lshrrev_b32_e32 v12, 19, v2
	v_subrev_u32_e32 v15, 28, v14
	v_and_b32_e32 v12, 15, v12
	v_lshlrev_b32_sdwa v15, v15, v2 dst_sel:DWORD dst_unused:UNUSED_PAD src0_sel:DWORD src1_sel:WORD_1
	v_bfe_u32 v13, v2, 19, 4
	v_sub_u32_e32 v14, 29, v14
	v_and_b32_e32 v15, 7, v15
	v_cmp_eq_u16_e32 vcc, 0, v12
	v_cndmask_b32_e32 v11, v11, v15, vcc
	v_cndmask_b32_e32 v12, v13, v14, vcc
	v_lshlrev_b32_e32 v13, 8, v2
	v_mov_b32_e32 v14, 0x3b800000
	v_lshlrev_b32_e32 v11, 20, v11
	v_and_b32_e32 v13, 0x80000000, v13
	v_lshl_add_u32 v12, v12, 23, v14
	v_or3_b32 v12, v13, v12, v11
.LBB11_920:
	s_or_b64 exec, exec, s[6:7]
	s_nop 0
	v_mfma_f32_16x16x4f32 a[0:3], v10, v12, a[0:3]
	s_movk_i32 s4, 0x7f
	v_cmp_gt_i16_sdwa s[6:7], v6, s4 src0_sel:BYTE_3 src1_sel:DWORD
	s_mov_b64 s[4:5], 0
                                        ; implicit-def: $sgpr10
	s_and_saveexec_b64 s[8:9], s[6:7]
	s_xor_b64 s[6:7], exec, s[8:9]
	s_cbranch_execnz .LBB11_2969
; %bb.921:
	s_or_saveexec_b64 s[6:7], s[6:7]
	v_mov_b32_e32 v10, s10
	s_xor_b64 exec, exec, s[6:7]
	s_cbranch_execnz .LBB11_2972
.LBB11_922:
	s_or_b64 exec, exec, s[6:7]
	s_and_saveexec_b64 s[6:7], s[4:5]
	s_cbranch_execz .LBB11_924
.LBB11_923:
	v_bfe_u32 v10, v6, 24, 3
	v_ffbh_u32_e32 v14, v10
	v_min_u32_e32 v14, 32, v14
	v_lshrrev_b32_e32 v12, 27, v6
	v_subrev_u32_e32 v15, 28, v14
	v_and_b32_e32 v11, 0x80000000, v6
	v_and_b32_e32 v12, 15, v12
	v_bfe_u32 v13, v6, 27, 4
	v_lshlrev_b32_sdwa v6, v15, v6 dst_sel:DWORD dst_unused:UNUSED_PAD src0_sel:DWORD src1_sel:BYTE_3
	v_sub_u32_e32 v14, 29, v14
	v_and_b32_e32 v6, 7, v6
	v_cmp_eq_u16_e32 vcc, 0, v12
	v_cndmask_b32_e32 v6, v10, v6, vcc
	v_cndmask_b32_e32 v10, v13, v14, vcc
	v_mov_b32_e32 v12, 0x3b800000
	v_lshlrev_b32_e32 v6, 20, v6
	v_lshl_add_u32 v10, v10, 23, v12
	v_or3_b32 v10, v11, v10, v6
.LBB11_924:
	s_or_b64 exec, exec, s[6:7]
	s_movk_i32 s4, 0x7f
	v_cmp_gt_i16_sdwa s[6:7], v2, s4 src0_sel:BYTE_3 src1_sel:DWORD
	s_mov_b64 s[4:5], 0
                                        ; implicit-def: $sgpr10
	s_and_saveexec_b64 s[8:9], s[6:7]
	s_xor_b64 s[6:7], exec, s[8:9]
	s_cbranch_execnz .LBB11_2973
; %bb.925:
	s_or_saveexec_b64 s[6:7], s[6:7]
	v_mov_b32_e32 v6, s10
	s_xor_b64 exec, exec, s[6:7]
	s_cbranch_execnz .LBB11_2976
.LBB11_926:
	s_or_b64 exec, exec, s[6:7]
	s_and_saveexec_b64 s[6:7], s[4:5]
	s_cbranch_execz .LBB11_928
.LBB11_927:
	v_bfe_u32 v6, v2, 24, 3
	v_ffbh_u32_e32 v14, v6
	v_min_u32_e32 v14, 32, v14
	v_lshrrev_b32_e32 v12, 27, v2
	v_subrev_u32_e32 v15, 28, v14
	v_and_b32_e32 v11, 0x80000000, v2
	v_and_b32_e32 v12, 15, v12
	v_bfe_u32 v13, v2, 27, 4
	v_lshlrev_b32_sdwa v2, v15, v2 dst_sel:DWORD dst_unused:UNUSED_PAD src0_sel:DWORD src1_sel:BYTE_3
	v_sub_u32_e32 v14, 29, v14
	v_and_b32_e32 v2, 7, v2
	v_cmp_eq_u16_e32 vcc, 0, v12
	v_cndmask_b32_e32 v2, v6, v2, vcc
	v_cndmask_b32_e32 v6, v13, v14, vcc
	v_mov_b32_e32 v12, 0x3b800000
	v_lshlrev_b32_e32 v2, 20, v2
	v_lshl_add_u32 v6, v6, 23, v12
	v_or3_b32 v6, v11, v6, v2
.LBB11_928:
	s_or_b64 exec, exec, s[6:7]
	s_nop 0
	v_mfma_f32_16x16x4f32 a[0:3], v10, v6, a[0:3]
	s_movk_i32 s4, 0x7f
	v_cmp_gt_i16_sdwa s[6:7], v7, s4 src0_sel:BYTE_0 src1_sel:DWORD
	s_mov_b64 s[4:5], 0
                                        ; implicit-def: $sgpr10
	s_and_saveexec_b64 s[8:9], s[6:7]
	s_xor_b64 s[6:7], exec, s[8:9]
	s_cbranch_execnz .LBB11_2977
; %bb.929:
	s_or_saveexec_b64 s[6:7], s[6:7]
	v_mov_b32_e32 v2, s10
	s_xor_b64 exec, exec, s[6:7]
	s_cbranch_execnz .LBB11_2980
.LBB11_930:
	s_or_b64 exec, exec, s[6:7]
	s_and_saveexec_b64 s[6:7], s[4:5]
	s_cbranch_execz .LBB11_932
.LBB11_931:
	v_and_b32_e32 v2, 7, v7
	v_ffbh_u32_e32 v10, v2
	v_min_u32_e32 v10, 32, v10
	v_lshrrev_b16_e32 v6, 3, v7
	v_subrev_u32_e32 v11, 28, v10
	v_and_b32_e32 v6, 15, v6
	v_lshlrev_b32_e32 v11, v11, v7
	v_sub_u32_e32 v10, 29, v10
	v_and_b32_e32 v11, 7, v11
	v_cmp_eq_u16_e32 vcc, 0, v6
	v_cndmask_b32_e32 v2, v2, v11, vcc
	v_cndmask_b32_e32 v6, v6, v10, vcc
	v_lshlrev_b32_e32 v10, 24, v7
	v_mov_b32_e32 v11, 0x3b800000
	v_lshlrev_b32_e32 v2, 20, v2
	v_and_b32_e32 v10, 0x80000000, v10
	v_lshl_add_u32 v6, v6, 23, v11
	v_or3_b32 v2, v10, v6, v2
.LBB11_932:
	s_or_b64 exec, exec, s[6:7]
	s_movk_i32 s4, 0x7f
	v_cmp_gt_i16_sdwa s[6:7], v3, s4 src0_sel:BYTE_0 src1_sel:DWORD
	s_mov_b64 s[4:5], 0
                                        ; implicit-def: $sgpr10
	s_and_saveexec_b64 s[8:9], s[6:7]
	s_xor_b64 s[6:7], exec, s[8:9]
	s_cbranch_execnz .LBB11_2981
; %bb.933:
	s_or_saveexec_b64 s[6:7], s[6:7]
	v_mov_b32_e32 v6, s10
	s_xor_b64 exec, exec, s[6:7]
	s_cbranch_execnz .LBB11_2984
.LBB11_934:
	s_or_b64 exec, exec, s[6:7]
	s_and_saveexec_b64 s[6:7], s[4:5]
	s_cbranch_execz .LBB11_936
.LBB11_935:
	v_and_b32_e32 v6, 7, v3
	v_ffbh_u32_e32 v11, v6
	v_min_u32_e32 v11, 32, v11
	v_lshrrev_b16_e32 v10, 3, v3
	v_subrev_u32_e32 v12, 28, v11
	v_and_b32_e32 v10, 15, v10
	v_lshlrev_b32_e32 v12, v12, v3
	v_sub_u32_e32 v11, 29, v11
	v_and_b32_e32 v12, 7, v12
	v_cmp_eq_u16_e32 vcc, 0, v10
	v_cndmask_b32_e32 v6, v6, v12, vcc
	v_cndmask_b32_e32 v10, v10, v11, vcc
	v_lshlrev_b32_e32 v11, 24, v3
	v_mov_b32_e32 v12, 0x3b800000
	v_lshlrev_b32_e32 v6, 20, v6
	v_and_b32_e32 v11, 0x80000000, v11
	v_lshl_add_u32 v10, v10, 23, v12
	v_or3_b32 v6, v11, v10, v6
.LBB11_936:
	s_or_b64 exec, exec, s[6:7]
	s_nop 0
	v_mfma_f32_16x16x4f32 a[0:3], v2, v6, a[0:3]
	v_lshrrev_b32_e32 v6, 8, v7
	s_movk_i32 s4, 0x7f
	v_cmp_gt_i16_sdwa s[6:7], v6, s4 src0_sel:BYTE_0 src1_sel:DWORD
	s_mov_b64 s[4:5], 0
                                        ; implicit-def: $sgpr10
	s_and_saveexec_b64 s[8:9], s[6:7]
	s_xor_b64 s[6:7], exec, s[8:9]
	s_cbranch_execnz .LBB11_2985
; %bb.937:
	s_or_saveexec_b64 s[6:7], s[6:7]
	v_mov_b32_e32 v2, s10
	s_xor_b64 exec, exec, s[6:7]
	s_cbranch_execnz .LBB11_2988
.LBB11_938:
	s_or_b64 exec, exec, s[6:7]
	s_and_saveexec_b64 s[6:7], s[4:5]
	s_cbranch_execz .LBB11_940
.LBB11_939:
	v_bfe_u32 v2, v7, 8, 3
	v_ffbh_u32_e32 v11, v2
	v_min_u32_e32 v11, 32, v11
	v_lshrrev_b16_e32 v10, 3, v6
	v_subrev_u32_e32 v12, 28, v11
	v_and_b32_e32 v10, 15, v10
	v_lshlrev_b32_e32 v6, v12, v6
	v_sub_u32_e32 v11, 29, v11
	v_and_b32_e32 v6, 7, v6
	v_cmp_eq_u16_e32 vcc, 0, v10
	v_cndmask_b32_e32 v2, v2, v6, vcc
	v_cndmask_b32_e32 v6, v10, v11, vcc
	v_lshlrev_b32_e32 v10, 16, v7
	v_mov_b32_e32 v11, 0x3b800000
	v_lshlrev_b32_e32 v2, 20, v2
	v_and_b32_e32 v10, 0x80000000, v10
	v_lshl_add_u32 v6, v6, 23, v11
	v_or3_b32 v2, v10, v6, v2
.LBB11_940:
	s_or_b64 exec, exec, s[6:7]
	v_lshrrev_b32_e32 v6, 8, v3
	s_movk_i32 s4, 0x7f
	v_cmp_gt_i16_sdwa s[6:7], v6, s4 src0_sel:BYTE_0 src1_sel:DWORD
	s_mov_b64 s[4:5], 0
                                        ; implicit-def: $sgpr10
	s_and_saveexec_b64 s[8:9], s[6:7]
	s_xor_b64 s[6:7], exec, s[8:9]
	s_cbranch_execnz .LBB11_2989
; %bb.941:
	s_or_saveexec_b64 s[6:7], s[6:7]
	v_mov_b32_e32 v10, s10
	s_xor_b64 exec, exec, s[6:7]
	s_cbranch_execnz .LBB11_2992
.LBB11_942:
	s_or_b64 exec, exec, s[6:7]
	s_and_saveexec_b64 s[6:7], s[4:5]
	s_cbranch_execz .LBB11_944
.LBB11_943:
	v_bfe_u32 v10, v3, 8, 3
	v_ffbh_u32_e32 v12, v10
	v_min_u32_e32 v12, 32, v12
	v_lshrrev_b16_e32 v11, 3, v6
	v_subrev_u32_e32 v13, 28, v12
	v_and_b32_e32 v11, 15, v11
	v_lshlrev_b32_e32 v6, v13, v6
	v_sub_u32_e32 v12, 29, v12
	v_and_b32_e32 v6, 7, v6
	v_cmp_eq_u16_e32 vcc, 0, v11
	v_cndmask_b32_e32 v6, v10, v6, vcc
	v_cndmask_b32_e32 v10, v11, v12, vcc
	v_lshlrev_b32_e32 v11, 16, v3
	v_mov_b32_e32 v12, 0x3b800000
	v_lshlrev_b32_e32 v6, 20, v6
	v_and_b32_e32 v11, 0x80000000, v11
	v_lshl_add_u32 v10, v10, 23, v12
	v_or3_b32 v10, v11, v10, v6
.LBB11_944:
	s_or_b64 exec, exec, s[6:7]
	s_nop 0
	v_mfma_f32_16x16x4f32 a[0:3], v2, v10, a[0:3]
	s_movk_i32 s4, 0xff
	v_and_b32_sdwa v6, v7, s4 dst_sel:DWORD dst_unused:UNUSED_PAD src0_sel:WORD_1 src1_sel:DWORD
	s_movk_i32 s4, 0x7f
	v_cmp_lt_i16_e32 vcc, s4, v6
	s_mov_b64 s[4:5], 0
                                        ; implicit-def: $sgpr10
	s_and_saveexec_b64 s[6:7], vcc
	s_xor_b64 s[6:7], exec, s[6:7]
	s_cbranch_execnz .LBB11_2993
; %bb.945:
	s_or_saveexec_b64 s[6:7], s[6:7]
	v_mov_b32_e32 v2, s10
	s_xor_b64 exec, exec, s[6:7]
	s_cbranch_execnz .LBB11_2996
.LBB11_946:
	s_or_b64 exec, exec, s[6:7]
	s_and_saveexec_b64 s[6:7], s[4:5]
	s_cbranch_execz .LBB11_948
.LBB11_947:
	v_bfe_u32 v2, v7, 16, 3
	v_ffbh_u32_e32 v11, v2
	v_min_u32_e32 v11, 32, v11
	v_lshrrev_b32_e32 v6, 19, v7
	v_subrev_u32_e32 v12, 28, v11
	v_and_b32_e32 v6, 15, v6
	v_lshlrev_b32_sdwa v12, v12, v7 dst_sel:DWORD dst_unused:UNUSED_PAD src0_sel:DWORD src1_sel:WORD_1
	v_bfe_u32 v10, v7, 19, 4
	v_sub_u32_e32 v11, 29, v11
	v_and_b32_e32 v12, 7, v12
	v_cmp_eq_u16_e32 vcc, 0, v6
	v_cndmask_b32_e32 v2, v2, v12, vcc
	v_cndmask_b32_e32 v6, v10, v11, vcc
	v_lshlrev_b32_e32 v10, 8, v7
	v_mov_b32_e32 v11, 0x3b800000
	v_lshlrev_b32_e32 v2, 20, v2
	v_and_b32_e32 v10, 0x80000000, v10
	v_lshl_add_u32 v6, v6, 23, v11
	v_or3_b32 v2, v10, v6, v2
.LBB11_948:
	s_or_b64 exec, exec, s[6:7]
	s_movk_i32 s4, 0xff
	v_and_b32_sdwa v6, v3, s4 dst_sel:DWORD dst_unused:UNUSED_PAD src0_sel:WORD_1 src1_sel:DWORD
	s_movk_i32 s4, 0x7f
	v_cmp_lt_i16_e32 vcc, s4, v6
	s_mov_b64 s[4:5], 0
                                        ; implicit-def: $sgpr10
	s_and_saveexec_b64 s[6:7], vcc
	s_xor_b64 s[6:7], exec, s[6:7]
	s_cbranch_execnz .LBB11_2997
; %bb.949:
	s_or_saveexec_b64 s[6:7], s[6:7]
	v_mov_b32_e32 v10, s10
	s_xor_b64 exec, exec, s[6:7]
	s_cbranch_execnz .LBB11_3000
.LBB11_950:
	s_or_b64 exec, exec, s[6:7]
	s_and_saveexec_b64 s[6:7], s[4:5]
	s_cbranch_execz .LBB11_952
.LBB11_951:
	v_bfe_u32 v6, v3, 16, 3
	v_ffbh_u32_e32 v12, v6
	v_min_u32_e32 v12, 32, v12
	v_lshrrev_b32_e32 v10, 19, v3
	v_subrev_u32_e32 v13, 28, v12
	v_and_b32_e32 v10, 15, v10
	v_lshlrev_b32_sdwa v13, v13, v3 dst_sel:DWORD dst_unused:UNUSED_PAD src0_sel:DWORD src1_sel:WORD_1
	v_bfe_u32 v11, v3, 19, 4
	v_sub_u32_e32 v12, 29, v12
	v_and_b32_e32 v13, 7, v13
	v_cmp_eq_u16_e32 vcc, 0, v10
	v_cndmask_b32_e32 v6, v6, v13, vcc
	v_cndmask_b32_e32 v10, v11, v12, vcc
	v_lshlrev_b32_e32 v11, 8, v3
	v_mov_b32_e32 v12, 0x3b800000
	v_lshlrev_b32_e32 v6, 20, v6
	v_and_b32_e32 v11, 0x80000000, v11
	v_lshl_add_u32 v10, v10, 23, v12
	v_or3_b32 v10, v11, v10, v6
.LBB11_952:
	s_or_b64 exec, exec, s[6:7]
	s_nop 0
	v_mfma_f32_16x16x4f32 a[0:3], v2, v10, a[0:3]
	s_movk_i32 s4, 0x7f
	v_cmp_gt_i16_sdwa s[6:7], v7, s4 src0_sel:BYTE_3 src1_sel:DWORD
	s_mov_b64 s[4:5], 0
                                        ; implicit-def: $sgpr10
	s_and_saveexec_b64 s[8:9], s[6:7]
	s_xor_b64 s[6:7], exec, s[8:9]
	s_cbranch_execnz .LBB11_3001
; %bb.953:
	s_or_saveexec_b64 s[6:7], s[6:7]
	v_mov_b32_e32 v2, s10
	s_xor_b64 exec, exec, s[6:7]
	s_cbranch_execnz .LBB11_3004
.LBB11_954:
	s_or_b64 exec, exec, s[6:7]
	s_and_saveexec_b64 s[6:7], s[4:5]
	s_cbranch_execz .LBB11_956
.LBB11_955:
	v_bfe_u32 v2, v7, 24, 3
	v_ffbh_u32_e32 v12, v2
	v_min_u32_e32 v12, 32, v12
	v_lshrrev_b32_e32 v10, 27, v7
	v_subrev_u32_e32 v13, 28, v12
	v_and_b32_e32 v6, 0x80000000, v7
	v_and_b32_e32 v10, 15, v10
	v_bfe_u32 v11, v7, 27, 4
	v_lshlrev_b32_sdwa v7, v13, v7 dst_sel:DWORD dst_unused:UNUSED_PAD src0_sel:DWORD src1_sel:BYTE_3
	v_sub_u32_e32 v12, 29, v12
	v_and_b32_e32 v7, 7, v7
	v_cmp_eq_u16_e32 vcc, 0, v10
	v_cndmask_b32_e32 v2, v2, v7, vcc
	v_cndmask_b32_e32 v7, v11, v12, vcc
	v_mov_b32_e32 v10, 0x3b800000
	v_lshlrev_b32_e32 v2, 20, v2
	v_lshl_add_u32 v7, v7, 23, v10
	v_or3_b32 v2, v6, v7, v2
.LBB11_956:
	s_or_b64 exec, exec, s[6:7]
	s_movk_i32 s4, 0x7f
	v_cmp_gt_i16_sdwa s[6:7], v3, s4 src0_sel:BYTE_3 src1_sel:DWORD
	s_mov_b64 s[4:5], 0
                                        ; implicit-def: $sgpr10
	s_and_saveexec_b64 s[8:9], s[6:7]
	s_xor_b64 s[6:7], exec, s[8:9]
	s_cbranch_execnz .LBB11_3005
; %bb.957:
	s_or_saveexec_b64 s[6:7], s[6:7]
	v_mov_b32_e32 v6, s10
	s_xor_b64 exec, exec, s[6:7]
	s_cbranch_execnz .LBB11_3008
.LBB11_958:
	s_or_b64 exec, exec, s[6:7]
	s_and_saveexec_b64 s[6:7], s[4:5]
	s_cbranch_execz .LBB11_960
.LBB11_959:
	v_bfe_u32 v6, v3, 24, 3
	v_ffbh_u32_e32 v12, v6
	v_min_u32_e32 v12, 32, v12
	v_lshrrev_b32_e32 v10, 27, v3
	v_subrev_u32_e32 v13, 28, v12
	v_and_b32_e32 v7, 0x80000000, v3
	v_and_b32_e32 v10, 15, v10
	v_bfe_u32 v11, v3, 27, 4
	v_lshlrev_b32_sdwa v3, v13, v3 dst_sel:DWORD dst_unused:UNUSED_PAD src0_sel:DWORD src1_sel:BYTE_3
	v_sub_u32_e32 v12, 29, v12
	v_and_b32_e32 v3, 7, v3
	v_cmp_eq_u16_e32 vcc, 0, v10
	v_cndmask_b32_e32 v3, v6, v3, vcc
	v_cndmask_b32_e32 v6, v11, v12, vcc
	v_mov_b32_e32 v10, 0x3b800000
	v_lshlrev_b32_e32 v3, 20, v3
	v_lshl_add_u32 v6, v6, 23, v10
	v_or3_b32 v6, v7, v6, v3
.LBB11_960:
	s_or_b64 exec, exec, s[6:7]
	s_nop 0
	v_mfma_f32_16x16x4f32 a[0:3], v2, v6, a[0:3]
	s_movk_i32 s4, 0x7f
	v_cmp_gt_i16_sdwa s[6:7], v8, s4 src0_sel:BYTE_0 src1_sel:DWORD
	s_mov_b64 s[4:5], 0
                                        ; implicit-def: $sgpr10
	s_and_saveexec_b64 s[8:9], s[6:7]
	s_xor_b64 s[6:7], exec, s[8:9]
	s_cbranch_execnz .LBB11_3009
; %bb.961:
	s_or_saveexec_b64 s[6:7], s[6:7]
	v_mov_b32_e32 v2, s10
	s_xor_b64 exec, exec, s[6:7]
	s_cbranch_execnz .LBB11_3012
.LBB11_962:
	s_or_b64 exec, exec, s[6:7]
	s_and_saveexec_b64 s[6:7], s[4:5]
	s_cbranch_execz .LBB11_964
.LBB11_963:
	v_and_b32_e32 v2, 7, v8
	v_ffbh_u32_e32 v6, v2
	v_min_u32_e32 v6, 32, v6
	v_lshrrev_b16_e32 v3, 3, v8
	v_subrev_u32_e32 v7, 28, v6
	v_and_b32_e32 v3, 15, v3
	v_lshlrev_b32_e32 v7, v7, v8
	v_sub_u32_e32 v6, 29, v6
	v_and_b32_e32 v7, 7, v7
	v_cmp_eq_u16_e32 vcc, 0, v3
	v_cndmask_b32_e32 v2, v2, v7, vcc
	v_cndmask_b32_e32 v3, v3, v6, vcc
	v_lshlrev_b32_e32 v6, 24, v8
	v_mov_b32_e32 v7, 0x3b800000
	v_lshlrev_b32_e32 v2, 20, v2
	v_and_b32_e32 v6, 0x80000000, v6
	v_lshl_add_u32 v3, v3, 23, v7
	v_or3_b32 v2, v6, v3, v2
.LBB11_964:
	s_or_b64 exec, exec, s[6:7]
	s_movk_i32 s4, 0x7f
	v_cmp_gt_i16_sdwa s[6:7], v4, s4 src0_sel:BYTE_0 src1_sel:DWORD
	s_mov_b64 s[4:5], 0
                                        ; implicit-def: $sgpr10
	s_and_saveexec_b64 s[8:9], s[6:7]
	s_xor_b64 s[6:7], exec, s[8:9]
	s_cbranch_execnz .LBB11_3013
; %bb.965:
	s_or_saveexec_b64 s[6:7], s[6:7]
	v_mov_b32_e32 v3, s10
	s_xor_b64 exec, exec, s[6:7]
	s_cbranch_execnz .LBB11_3016
.LBB11_966:
	s_or_b64 exec, exec, s[6:7]
	s_and_saveexec_b64 s[6:7], s[4:5]
	s_cbranch_execz .LBB11_968
.LBB11_967:
	v_and_b32_e32 v3, 7, v4
	v_ffbh_u32_e32 v7, v3
	v_min_u32_e32 v7, 32, v7
	v_lshrrev_b16_e32 v6, 3, v4
	v_subrev_u32_e32 v10, 28, v7
	v_and_b32_e32 v6, 15, v6
	v_lshlrev_b32_e32 v10, v10, v4
	v_sub_u32_e32 v7, 29, v7
	v_and_b32_e32 v10, 7, v10
	v_cmp_eq_u16_e32 vcc, 0, v6
	v_cndmask_b32_e32 v3, v3, v10, vcc
	v_cndmask_b32_e32 v6, v6, v7, vcc
	v_lshlrev_b32_e32 v7, 24, v4
	v_mov_b32_e32 v10, 0x3b800000
	v_lshlrev_b32_e32 v3, 20, v3
	v_and_b32_e32 v7, 0x80000000, v7
	v_lshl_add_u32 v6, v6, 23, v10
	v_or3_b32 v3, v7, v6, v3
.LBB11_968:
	s_or_b64 exec, exec, s[6:7]
	s_nop 0
	v_mfma_f32_16x16x4f32 a[0:3], v2, v3, a[0:3]
	v_lshrrev_b32_e32 v3, 8, v8
	s_movk_i32 s4, 0x7f
	v_cmp_gt_i16_sdwa s[6:7], v3, s4 src0_sel:BYTE_0 src1_sel:DWORD
	s_mov_b64 s[4:5], 0
                                        ; implicit-def: $sgpr10
	s_and_saveexec_b64 s[8:9], s[6:7]
	s_xor_b64 s[6:7], exec, s[8:9]
	s_cbranch_execnz .LBB11_3017
; %bb.969:
	s_or_saveexec_b64 s[6:7], s[6:7]
	v_mov_b32_e32 v2, s10
	s_xor_b64 exec, exec, s[6:7]
	s_cbranch_execnz .LBB11_3020
.LBB11_970:
	s_or_b64 exec, exec, s[6:7]
	s_and_saveexec_b64 s[6:7], s[4:5]
	s_cbranch_execz .LBB11_972
.LBB11_971:
	v_bfe_u32 v2, v8, 8, 3
	v_ffbh_u32_e32 v7, v2
	v_min_u32_e32 v7, 32, v7
	v_lshrrev_b16_e32 v6, 3, v3
	v_subrev_u32_e32 v10, 28, v7
	v_and_b32_e32 v6, 15, v6
	v_lshlrev_b32_e32 v3, v10, v3
	v_sub_u32_e32 v7, 29, v7
	v_and_b32_e32 v3, 7, v3
	v_cmp_eq_u16_e32 vcc, 0, v6
	v_cndmask_b32_e32 v2, v2, v3, vcc
	v_cndmask_b32_e32 v3, v6, v7, vcc
	v_lshlrev_b32_e32 v6, 16, v8
	v_mov_b32_e32 v7, 0x3b800000
	v_lshlrev_b32_e32 v2, 20, v2
	v_and_b32_e32 v6, 0x80000000, v6
	v_lshl_add_u32 v3, v3, 23, v7
	v_or3_b32 v2, v6, v3, v2
.LBB11_972:
	s_or_b64 exec, exec, s[6:7]
	v_lshrrev_b32_e32 v3, 8, v4
	s_movk_i32 s4, 0x7f
	v_cmp_gt_i16_sdwa s[6:7], v3, s4 src0_sel:BYTE_0 src1_sel:DWORD
	s_mov_b64 s[4:5], 0
                                        ; implicit-def: $sgpr10
	s_and_saveexec_b64 s[8:9], s[6:7]
	s_xor_b64 s[6:7], exec, s[8:9]
	s_cbranch_execnz .LBB11_3021
; %bb.973:
	s_or_saveexec_b64 s[6:7], s[6:7]
	v_mov_b32_e32 v6, s10
	s_xor_b64 exec, exec, s[6:7]
	s_cbranch_execnz .LBB11_3024
.LBB11_974:
	s_or_b64 exec, exec, s[6:7]
	s_and_saveexec_b64 s[6:7], s[4:5]
	s_cbranch_execz .LBB11_976
.LBB11_975:
	v_bfe_u32 v6, v4, 8, 3
	v_ffbh_u32_e32 v10, v6
	v_min_u32_e32 v10, 32, v10
	v_lshrrev_b16_e32 v7, 3, v3
	v_subrev_u32_e32 v11, 28, v10
	v_and_b32_e32 v7, 15, v7
	v_lshlrev_b32_e32 v3, v11, v3
	v_sub_u32_e32 v10, 29, v10
	v_and_b32_e32 v3, 7, v3
	v_cmp_eq_u16_e32 vcc, 0, v7
	v_cndmask_b32_e32 v3, v6, v3, vcc
	v_cndmask_b32_e32 v6, v7, v10, vcc
	v_lshlrev_b32_e32 v7, 16, v4
	v_mov_b32_e32 v10, 0x3b800000
	v_lshlrev_b32_e32 v3, 20, v3
	v_and_b32_e32 v7, 0x80000000, v7
	v_lshl_add_u32 v6, v6, 23, v10
	v_or3_b32 v6, v7, v6, v3
.LBB11_976:
	s_or_b64 exec, exec, s[6:7]
	s_nop 0
	v_mfma_f32_16x16x4f32 a[0:3], v2, v6, a[0:3]
	s_movk_i32 s4, 0xff
	v_and_b32_sdwa v3, v8, s4 dst_sel:DWORD dst_unused:UNUSED_PAD src0_sel:WORD_1 src1_sel:DWORD
	s_movk_i32 s4, 0x7f
	v_cmp_lt_i16_e32 vcc, s4, v3
	s_mov_b64 s[4:5], 0
                                        ; implicit-def: $sgpr10
	s_and_saveexec_b64 s[6:7], vcc
	s_xor_b64 s[6:7], exec, s[6:7]
	s_cbranch_execnz .LBB11_3025
; %bb.977:
	s_or_saveexec_b64 s[6:7], s[6:7]
	v_mov_b32_e32 v2, s10
	s_xor_b64 exec, exec, s[6:7]
	s_cbranch_execnz .LBB11_3028
.LBB11_978:
	s_or_b64 exec, exec, s[6:7]
	s_and_saveexec_b64 s[6:7], s[4:5]
	s_cbranch_execz .LBB11_980
.LBB11_979:
	v_bfe_u32 v2, v8, 16, 3
	v_ffbh_u32_e32 v7, v2
	v_min_u32_e32 v7, 32, v7
	v_lshrrev_b32_e32 v3, 19, v8
	v_subrev_u32_e32 v10, 28, v7
	v_and_b32_e32 v3, 15, v3
	v_lshlrev_b32_sdwa v10, v10, v8 dst_sel:DWORD dst_unused:UNUSED_PAD src0_sel:DWORD src1_sel:WORD_1
	v_bfe_u32 v6, v8, 19, 4
	v_sub_u32_e32 v7, 29, v7
	v_and_b32_e32 v10, 7, v10
	v_cmp_eq_u16_e32 vcc, 0, v3
	v_cndmask_b32_e32 v2, v2, v10, vcc
	v_cndmask_b32_e32 v3, v6, v7, vcc
	v_lshlrev_b32_e32 v6, 8, v8
	v_mov_b32_e32 v7, 0x3b800000
	v_lshlrev_b32_e32 v2, 20, v2
	v_and_b32_e32 v6, 0x80000000, v6
	v_lshl_add_u32 v3, v3, 23, v7
	v_or3_b32 v2, v6, v3, v2
.LBB11_980:
	s_or_b64 exec, exec, s[6:7]
	s_movk_i32 s4, 0xff
	v_and_b32_sdwa v3, v4, s4 dst_sel:DWORD dst_unused:UNUSED_PAD src0_sel:WORD_1 src1_sel:DWORD
	s_movk_i32 s4, 0x7f
	v_cmp_lt_i16_e32 vcc, s4, v3
	s_mov_b64 s[4:5], 0
                                        ; implicit-def: $sgpr10
	s_and_saveexec_b64 s[6:7], vcc
	s_xor_b64 s[6:7], exec, s[6:7]
	s_cbranch_execnz .LBB11_3029
; %bb.981:
	s_or_saveexec_b64 s[6:7], s[6:7]
	v_mov_b32_e32 v6, s10
	s_xor_b64 exec, exec, s[6:7]
	s_cbranch_execnz .LBB11_3032
.LBB11_982:
	s_or_b64 exec, exec, s[6:7]
	s_and_saveexec_b64 s[6:7], s[4:5]
	s_cbranch_execz .LBB11_984
.LBB11_983:
	v_bfe_u32 v3, v4, 16, 3
	v_ffbh_u32_e32 v10, v3
	v_min_u32_e32 v10, 32, v10
	v_lshrrev_b32_e32 v6, 19, v4
	v_subrev_u32_e32 v11, 28, v10
	v_and_b32_e32 v6, 15, v6
	v_lshlrev_b32_sdwa v11, v11, v4 dst_sel:DWORD dst_unused:UNUSED_PAD src0_sel:DWORD src1_sel:WORD_1
	v_bfe_u32 v7, v4, 19, 4
	v_sub_u32_e32 v10, 29, v10
	v_and_b32_e32 v11, 7, v11
	v_cmp_eq_u16_e32 vcc, 0, v6
	v_cndmask_b32_e32 v3, v3, v11, vcc
	v_cndmask_b32_e32 v6, v7, v10, vcc
	v_lshlrev_b32_e32 v7, 8, v4
	v_mov_b32_e32 v10, 0x3b800000
	v_lshlrev_b32_e32 v3, 20, v3
	v_and_b32_e32 v7, 0x80000000, v7
	v_lshl_add_u32 v6, v6, 23, v10
	v_or3_b32 v6, v7, v6, v3
.LBB11_984:
	s_or_b64 exec, exec, s[6:7]
	s_nop 0
	v_mfma_f32_16x16x4f32 a[0:3], v2, v6, a[0:3]
	s_movk_i32 s4, 0x7f
	v_cmp_gt_i16_sdwa s[6:7], v8, s4 src0_sel:BYTE_3 src1_sel:DWORD
	s_mov_b64 s[4:5], 0
                                        ; implicit-def: $sgpr10
	s_and_saveexec_b64 s[8:9], s[6:7]
	s_xor_b64 s[6:7], exec, s[8:9]
	s_cbranch_execnz .LBB11_3033
; %bb.985:
	s_or_saveexec_b64 s[6:7], s[6:7]
	v_mov_b32_e32 v2, s10
	s_xor_b64 exec, exec, s[6:7]
	s_cbranch_execnz .LBB11_3036
.LBB11_986:
	s_or_b64 exec, exec, s[6:7]
	s_and_saveexec_b64 s[6:7], s[4:5]
	s_cbranch_execz .LBB11_988
.LBB11_987:
	v_bfe_u32 v2, v8, 24, 3
	v_ffbh_u32_e32 v10, v2
	v_min_u32_e32 v10, 32, v10
	v_lshrrev_b32_e32 v6, 27, v8
	v_subrev_u32_e32 v11, 28, v10
	v_and_b32_e32 v3, 0x80000000, v8
	v_and_b32_e32 v6, 15, v6
	v_bfe_u32 v7, v8, 27, 4
	v_lshlrev_b32_sdwa v8, v11, v8 dst_sel:DWORD dst_unused:UNUSED_PAD src0_sel:DWORD src1_sel:BYTE_3
	v_sub_u32_e32 v10, 29, v10
	v_and_b32_e32 v8, 7, v8
	v_cmp_eq_u16_e32 vcc, 0, v6
	v_cndmask_b32_e32 v2, v2, v8, vcc
	v_cndmask_b32_e32 v6, v7, v10, vcc
	v_mov_b32_e32 v7, 0x3b800000
	v_lshlrev_b32_e32 v2, 20, v2
	v_lshl_add_u32 v6, v6, 23, v7
	v_or3_b32 v2, v3, v6, v2
.LBB11_988:
	s_or_b64 exec, exec, s[6:7]
	s_movk_i32 s4, 0x7f
	v_cmp_gt_i16_sdwa s[6:7], v4, s4 src0_sel:BYTE_3 src1_sel:DWORD
	s_mov_b64 s[4:5], 0
                                        ; implicit-def: $sgpr10
	s_and_saveexec_b64 s[8:9], s[6:7]
	s_xor_b64 s[6:7], exec, s[8:9]
	s_cbranch_execnz .LBB11_3037
; %bb.989:
	s_or_saveexec_b64 s[6:7], s[6:7]
	v_mov_b32_e32 v3, s10
	s_xor_b64 exec, exec, s[6:7]
	s_cbranch_execnz .LBB11_3040
.LBB11_990:
	s_or_b64 exec, exec, s[6:7]
	s_and_saveexec_b64 s[6:7], s[4:5]
	s_cbranch_execz .LBB11_992
.LBB11_991:
	v_bfe_u32 v3, v4, 24, 3
	v_ffbh_u32_e32 v10, v3
	v_min_u32_e32 v10, 32, v10
	v_lshrrev_b32_e32 v7, 27, v4
	v_subrev_u32_e32 v11, 28, v10
	v_and_b32_e32 v6, 0x80000000, v4
	v_and_b32_e32 v7, 15, v7
	v_bfe_u32 v8, v4, 27, 4
	v_lshlrev_b32_sdwa v4, v11, v4 dst_sel:DWORD dst_unused:UNUSED_PAD src0_sel:DWORD src1_sel:BYTE_3
	v_sub_u32_e32 v10, 29, v10
	v_and_b32_e32 v4, 7, v4
	v_cmp_eq_u16_e32 vcc, 0, v7
	v_cndmask_b32_e32 v3, v3, v4, vcc
	v_cndmask_b32_e32 v4, v8, v10, vcc
	v_mov_b32_e32 v7, 0x3b800000
	v_lshlrev_b32_e32 v3, 20, v3
	v_lshl_add_u32 v4, v4, 23, v7
	v_or3_b32 v3, v6, v4, v3
.LBB11_992:
	s_or_b64 exec, exec, s[6:7]
	s_nop 0
	v_mfma_f32_16x16x4f32 a[0:3], v2, v3, a[0:3]
	s_movk_i32 s4, 0x7f
	v_cmp_gt_i16_sdwa s[6:7], v9, s4 src0_sel:BYTE_0 src1_sel:DWORD
	s_mov_b64 s[4:5], 0
                                        ; implicit-def: $sgpr10
	s_and_saveexec_b64 s[8:9], s[6:7]
	s_xor_b64 s[6:7], exec, s[8:9]
	s_cbranch_execnz .LBB11_3041
; %bb.993:
	s_or_saveexec_b64 s[6:7], s[6:7]
	v_mov_b32_e32 v2, s10
	s_xor_b64 exec, exec, s[6:7]
	s_cbranch_execnz .LBB11_3044
.LBB11_994:
	s_or_b64 exec, exec, s[6:7]
	s_and_saveexec_b64 s[6:7], s[4:5]
	s_cbranch_execz .LBB11_996
.LBB11_995:
	v_mov_b32_e32 v2, 8
	v_and_b32_e32 v3, 7, v9
	v_lshrrev_b32_sdwa v2, v2, v9 dst_sel:BYTE_1 dst_unused:UNUSED_PAD src0_sel:DWORD src1_sel:DWORD
	v_ffbh_u32_e32 v4, v3
	v_or_b32_sdwa v2, v9, v2 dst_sel:DWORD dst_unused:UNUSED_PAD src0_sel:BYTE_0 src1_sel:DWORD
	v_min_u32_e32 v4, 32, v4
	v_lshrrev_b16_e32 v2, 3, v2
	v_subrev_u32_e32 v6, 28, v4
	v_and_b32_e32 v2, 15, v2
	v_lshlrev_b32_e32 v6, v6, v9
	v_sub_u32_e32 v4, 29, v4
	v_and_b32_e32 v6, 7, v6
	v_cmp_eq_u16_e32 vcc, 0, v2
	v_cndmask_b32_e32 v3, v3, v6, vcc
	v_cndmask_b32_e32 v2, v2, v4, vcc
	v_lshlrev_b32_e32 v4, 24, v9
	v_mov_b32_e32 v6, 0x3b800000
	v_lshlrev_b32_e32 v3, 20, v3
	v_and_b32_e32 v4, 0x80000000, v4
	v_lshl_add_u32 v2, v2, 23, v6
	v_or3_b32 v2, v4, v2, v3
.LBB11_996:
	s_or_b64 exec, exec, s[6:7]
	s_movk_i32 s4, 0x7f
	v_cmp_gt_i16_sdwa s[6:7], v5, s4 src0_sel:BYTE_0 src1_sel:DWORD
	s_mov_b64 s[4:5], 0
                                        ; implicit-def: $sgpr10
	s_and_saveexec_b64 s[8:9], s[6:7]
	s_xor_b64 s[6:7], exec, s[8:9]
	s_cbranch_execnz .LBB11_3045
; %bb.997:
	s_or_saveexec_b64 s[6:7], s[6:7]
	v_mov_b32_e32 v3, s10
	s_xor_b64 exec, exec, s[6:7]
	s_cbranch_execnz .LBB11_3048
.LBB11_998:
	s_or_b64 exec, exec, s[6:7]
	s_and_saveexec_b64 s[6:7], s[4:5]
	s_cbranch_execz .LBB11_1000
.LBB11_999:
	v_mov_b32_e32 v3, 8
	v_and_b32_e32 v4, 7, v5
	v_lshrrev_b32_sdwa v3, v3, v5 dst_sel:BYTE_1 dst_unused:UNUSED_PAD src0_sel:DWORD src1_sel:DWORD
	v_ffbh_u32_e32 v6, v4
	v_or_b32_sdwa v3, v5, v3 dst_sel:DWORD dst_unused:UNUSED_PAD src0_sel:BYTE_0 src1_sel:DWORD
	v_min_u32_e32 v6, 32, v6
	v_lshrrev_b16_e32 v3, 3, v3
	v_subrev_u32_e32 v7, 28, v6
	v_and_b32_e32 v3, 15, v3
	v_lshlrev_b32_e32 v7, v7, v5
	v_sub_u32_e32 v6, 29, v6
	v_and_b32_e32 v7, 7, v7
	v_cmp_eq_u16_e32 vcc, 0, v3
	v_cndmask_b32_e32 v4, v4, v7, vcc
	v_cndmask_b32_e32 v3, v3, v6, vcc
	v_lshlrev_b32_e32 v6, 24, v5
	v_mov_b32_e32 v7, 0x3b800000
	v_lshlrev_b32_e32 v4, 20, v4
	v_and_b32_e32 v6, 0x80000000, v6
	v_lshl_add_u32 v3, v3, 23, v7
	v_or3_b32 v3, v6, v3, v4
.LBB11_1000:
	s_or_b64 exec, exec, s[6:7]
	s_nop 0
	v_mfma_f32_16x16x4f32 a[0:3], v2, v3, a[0:3]
	v_lshrrev_b32_e32 v3, 8, v9
	s_movk_i32 s4, 0x7f
	v_cmp_gt_i16_sdwa s[6:7], v3, s4 src0_sel:BYTE_0 src1_sel:DWORD
	s_mov_b64 s[4:5], 0
                                        ; implicit-def: $sgpr10
	s_and_saveexec_b64 s[8:9], s[6:7]
	s_xor_b64 s[6:7], exec, s[8:9]
	s_cbranch_execnz .LBB11_3049
; %bb.1001:
	s_or_saveexec_b64 s[6:7], s[6:7]
	v_mov_b32_e32 v2, s10
	s_xor_b64 exec, exec, s[6:7]
	s_cbranch_execnz .LBB11_3052
.LBB11_1002:
	s_or_b64 exec, exec, s[6:7]
	s_and_saveexec_b64 s[6:7], s[4:5]
	s_cbranch_execz .LBB11_1004
.LBB11_1003:
	v_bfe_u32 v2, v9, 8, 3
	v_ffbh_u32_e32 v6, v2
	v_min_u32_e32 v6, 32, v6
	v_lshrrev_b16_e32 v4, 3, v3
	v_subrev_u32_e32 v7, 28, v6
	v_and_b32_e32 v4, 15, v4
	v_lshlrev_b32_e32 v3, v7, v3
	v_sub_u32_e32 v6, 29, v6
	v_and_b32_e32 v3, 7, v3
	v_cmp_eq_u16_e32 vcc, 0, v4
	v_cndmask_b32_e32 v2, v2, v3, vcc
	v_cndmask_b32_e32 v3, v4, v6, vcc
	v_lshlrev_b32_e32 v4, 16, v9
	v_mov_b32_e32 v6, 0x3b800000
	v_lshlrev_b32_e32 v2, 20, v2
	v_and_b32_e32 v4, 0x80000000, v4
	v_lshl_add_u32 v3, v3, 23, v6
	v_or3_b32 v2, v4, v3, v2
.LBB11_1004:
	s_or_b64 exec, exec, s[6:7]
	v_lshrrev_b32_e32 v3, 8, v5
	s_movk_i32 s4, 0x7f
	v_cmp_gt_i16_sdwa s[6:7], v3, s4 src0_sel:BYTE_0 src1_sel:DWORD
	s_mov_b64 s[4:5], 0
                                        ; implicit-def: $sgpr10
	s_and_saveexec_b64 s[8:9], s[6:7]
	s_xor_b64 s[6:7], exec, s[8:9]
	s_cbranch_execnz .LBB11_3053
; %bb.1005:
	s_or_saveexec_b64 s[6:7], s[6:7]
	v_mov_b32_e32 v4, s10
	s_xor_b64 exec, exec, s[6:7]
	s_cbranch_execnz .LBB11_3056
.LBB11_1006:
	s_or_b64 exec, exec, s[6:7]
	s_and_saveexec_b64 s[6:7], s[4:5]
	s_cbranch_execz .LBB11_1008
.LBB11_1007:
	v_bfe_u32 v4, v5, 8, 3
	v_ffbh_u32_e32 v7, v4
	v_min_u32_e32 v7, 32, v7
	v_lshrrev_b16_e32 v6, 3, v3
	v_subrev_u32_e32 v8, 28, v7
	v_and_b32_e32 v6, 15, v6
	v_lshlrev_b32_e32 v3, v8, v3
	v_sub_u32_e32 v7, 29, v7
	v_and_b32_e32 v3, 7, v3
	v_cmp_eq_u16_e32 vcc, 0, v6
	v_cndmask_b32_e32 v3, v4, v3, vcc
	v_cndmask_b32_e32 v4, v6, v7, vcc
	v_lshlrev_b32_e32 v6, 16, v5
	v_mov_b32_e32 v7, 0x3b800000
	v_lshlrev_b32_e32 v3, 20, v3
	v_and_b32_e32 v6, 0x80000000, v6
	v_lshl_add_u32 v4, v4, 23, v7
	v_or3_b32 v4, v6, v4, v3
.LBB11_1008:
	s_or_b64 exec, exec, s[6:7]
	s_nop 0
	v_mfma_f32_16x16x4f32 a[0:3], v2, v4, a[0:3]
	s_movk_i32 s4, 0xff
	v_and_b32_sdwa v3, v9, s4 dst_sel:DWORD dst_unused:UNUSED_PAD src0_sel:WORD_1 src1_sel:DWORD
	s_movk_i32 s4, 0x7f
	v_cmp_lt_i16_e32 vcc, s4, v3
	s_mov_b64 s[4:5], 0
                                        ; implicit-def: $sgpr10
	s_and_saveexec_b64 s[6:7], vcc
	s_xor_b64 s[6:7], exec, s[6:7]
	s_cbranch_execnz .LBB11_3057
; %bb.1009:
	s_or_saveexec_b64 s[6:7], s[6:7]
	v_mov_b32_e32 v2, s10
	s_xor_b64 exec, exec, s[6:7]
	s_cbranch_execnz .LBB11_3060
.LBB11_1010:
	s_or_b64 exec, exec, s[6:7]
	s_and_saveexec_b64 s[6:7], s[4:5]
	s_cbranch_execz .LBB11_1012
.LBB11_1011:
	v_bfe_u32 v2, v9, 16, 3
	v_ffbh_u32_e32 v6, v2
	v_min_u32_e32 v6, 32, v6
	v_lshrrev_b32_e32 v3, 19, v9
	v_subrev_u32_e32 v7, 28, v6
	v_and_b32_e32 v3, 15, v3
	v_lshlrev_b32_sdwa v7, v7, v9 dst_sel:DWORD dst_unused:UNUSED_PAD src0_sel:DWORD src1_sel:WORD_1
	v_bfe_u32 v4, v9, 19, 4
	v_sub_u32_e32 v6, 29, v6
	v_and_b32_e32 v7, 7, v7
	v_cmp_eq_u16_e32 vcc, 0, v3
	v_cndmask_b32_e32 v2, v2, v7, vcc
	v_cndmask_b32_e32 v3, v4, v6, vcc
	v_lshlrev_b32_e32 v4, 8, v9
	v_mov_b32_e32 v6, 0x3b800000
	v_lshlrev_b32_e32 v2, 20, v2
	v_and_b32_e32 v4, 0x80000000, v4
	v_lshl_add_u32 v3, v3, 23, v6
	v_or3_b32 v2, v4, v3, v2
.LBB11_1012:
	s_or_b64 exec, exec, s[6:7]
	s_movk_i32 s4, 0xff
	v_and_b32_sdwa v3, v5, s4 dst_sel:DWORD dst_unused:UNUSED_PAD src0_sel:WORD_1 src1_sel:DWORD
	s_movk_i32 s4, 0x7f
	v_cmp_lt_i16_e32 vcc, s4, v3
	s_mov_b64 s[4:5], 0
                                        ; implicit-def: $sgpr10
	s_and_saveexec_b64 s[6:7], vcc
	s_xor_b64 s[6:7], exec, s[6:7]
	s_cbranch_execnz .LBB11_3061
; %bb.1013:
	s_or_saveexec_b64 s[6:7], s[6:7]
	v_mov_b32_e32 v4, s10
	s_xor_b64 exec, exec, s[6:7]
	s_cbranch_execnz .LBB11_3064
.LBB11_1014:
	s_or_b64 exec, exec, s[6:7]
	s_and_saveexec_b64 s[6:7], s[4:5]
	s_cbranch_execz .LBB11_1016
.LBB11_1015:
	v_bfe_u32 v3, v5, 16, 3
	v_ffbh_u32_e32 v7, v3
	v_min_u32_e32 v7, 32, v7
	v_lshrrev_b32_e32 v4, 19, v5
	v_subrev_u32_e32 v8, 28, v7
	v_and_b32_e32 v4, 15, v4
	v_lshlrev_b32_sdwa v8, v8, v5 dst_sel:DWORD dst_unused:UNUSED_PAD src0_sel:DWORD src1_sel:WORD_1
	v_bfe_u32 v6, v5, 19, 4
	v_sub_u32_e32 v7, 29, v7
	v_and_b32_e32 v8, 7, v8
	v_cmp_eq_u16_e32 vcc, 0, v4
	v_cndmask_b32_e32 v3, v3, v8, vcc
	v_cndmask_b32_e32 v4, v6, v7, vcc
	v_lshlrev_b32_e32 v6, 8, v5
	v_mov_b32_e32 v7, 0x3b800000
	v_lshlrev_b32_e32 v3, 20, v3
	v_and_b32_e32 v6, 0x80000000, v6
	v_lshl_add_u32 v4, v4, 23, v7
	v_or3_b32 v4, v6, v4, v3
.LBB11_1016:
	s_or_b64 exec, exec, s[6:7]
	s_nop 0
	v_mfma_f32_16x16x4f32 a[0:3], v2, v4, a[0:3]
	s_movk_i32 s4, 0x7f
	v_cmp_gt_i16_sdwa s[6:7], v9, s4 src0_sel:BYTE_3 src1_sel:DWORD
	s_mov_b64 s[4:5], 0
                                        ; implicit-def: $sgpr10
	s_and_saveexec_b64 s[8:9], s[6:7]
	s_xor_b64 s[6:7], exec, s[8:9]
	s_cbranch_execnz .LBB11_3065
; %bb.1017:
	s_or_saveexec_b64 s[6:7], s[6:7]
	v_mov_b32_e32 v2, s10
	s_xor_b64 exec, exec, s[6:7]
	s_cbranch_execnz .LBB11_3068
.LBB11_1018:
	s_or_b64 exec, exec, s[6:7]
	s_and_saveexec_b64 s[6:7], s[4:5]
	s_cbranch_execz .LBB11_1020
.LBB11_1019:
	v_bfe_u32 v2, v9, 24, 3
	v_ffbh_u32_e32 v7, v2
	v_min_u32_e32 v7, 32, v7
	v_lshrrev_b32_e32 v4, 27, v9
	v_subrev_u32_e32 v8, 28, v7
	v_and_b32_e32 v4, 15, v4
	v_lshlrev_b32_sdwa v8, v8, v9 dst_sel:DWORD dst_unused:UNUSED_PAD src0_sel:DWORD src1_sel:BYTE_3
	v_bfe_u32 v6, v9, 27, 4
	v_sub_u32_e32 v7, 29, v7
	v_and_b32_e32 v8, 7, v8
	v_cmp_eq_u16_e32 vcc, 0, v4
	v_cndmask_b32_e32 v2, v2, v8, vcc
	v_cndmask_b32_e32 v4, v6, v7, vcc
	v_mov_b32_e32 v6, 0x3b800000
	v_and_b32_e32 v3, 0x80000000, v9
	v_lshlrev_b32_e32 v2, 20, v2
	v_lshl_add_u32 v4, v4, 23, v6
	v_or3_b32 v2, v3, v4, v2
.LBB11_1020:
	s_or_b64 exec, exec, s[6:7]
	s_movk_i32 s4, 0x7f
	v_cmp_gt_i16_sdwa s[6:7], v5, s4 src0_sel:BYTE_3 src1_sel:DWORD
	s_mov_b64 s[4:5], 0
                                        ; implicit-def: $sgpr10
	s_and_saveexec_b64 s[8:9], s[6:7]
	s_xor_b64 s[6:7], exec, s[8:9]
	s_cbranch_execnz .LBB11_3069
; %bb.1021:
	s_or_saveexec_b64 s[6:7], s[6:7]
	v_mov_b32_e32 v3, s10
	s_xor_b64 exec, exec, s[6:7]
	s_cbranch_execnz .LBB11_3072
.LBB11_1022:
	s_or_b64 exec, exec, s[6:7]
	s_and_saveexec_b64 s[6:7], s[4:5]
	s_cbranch_execz .LBB11_1024
.LBB11_1023:
	v_bfe_u32 v3, v5, 24, 3
	v_ffbh_u32_e32 v8, v3
	v_min_u32_e32 v8, 32, v8
	v_lshrrev_b32_e32 v6, 27, v5
	v_subrev_u32_e32 v9, 28, v8
	v_and_b32_e32 v4, 0x80000000, v5
	v_and_b32_e32 v6, 15, v6
	v_bfe_u32 v7, v5, 27, 4
	v_lshlrev_b32_sdwa v5, v9, v5 dst_sel:DWORD dst_unused:UNUSED_PAD src0_sel:DWORD src1_sel:BYTE_3
	v_sub_u32_e32 v8, 29, v8
	v_and_b32_e32 v5, 7, v5
	v_cmp_eq_u16_e32 vcc, 0, v6
	v_cndmask_b32_e32 v3, v3, v5, vcc
	v_cndmask_b32_e32 v5, v7, v8, vcc
	v_mov_b32_e32 v6, 0x3b800000
	v_lshlrev_b32_e32 v3, 20, v3
	v_lshl_add_u32 v5, v5, 23, v6
	v_or3_b32 v3, v4, v5, v3
.LBB11_1024:
	s_or_b64 exec, exec, s[6:7]
	s_nop 0
	v_mfma_f32_16x16x4f32 a[0:3], v2, v3, a[0:3]
	s_movk_i32 s4, 0x7f
                                        ; implicit-def: $sgpr10
	s_nop 7
	s_nop 1
	flat_store_dwordx4 v[18:19], a[0:3] offset:176
	flat_load_dwordx4 v[20:23], v[0:1] offset:16
	s_nop 0
	flat_load_dwordx2 v[18:19], v[0:1] offset:32
	s_waitcnt vmcnt(0) lgkmcnt(0)
	flat_load_dwordx4 v[14:17], v[20:21] offset:32
	flat_load_dwordx4 v[6:9], v[20:21] offset:48
	;; [unrolled: 1-line block ×4, first 2 shown]
	s_waitcnt vmcnt(0) lgkmcnt(0)
	v_cmp_gt_i16_sdwa s[6:7], v14, s4 src0_sel:BYTE_0 src1_sel:DWORD
	s_mov_b64 s[4:5], 0
	s_and_saveexec_b64 s[8:9], s[6:7]
	s_xor_b64 s[6:7], exec, s[8:9]
	s_cbranch_execnz .LBB11_3073
; %bb.1025:
	s_or_saveexec_b64 s[6:7], s[6:7]
	v_mov_b32_e32 v20, s10
	s_xor_b64 exec, exec, s[6:7]
	s_cbranch_execnz .LBB11_3076
.LBB11_1026:
	s_or_b64 exec, exec, s[6:7]
	s_and_saveexec_b64 s[6:7], s[4:5]
	s_cbranch_execz .LBB11_1028
.LBB11_1027:
	v_and_b32_e32 v20, 7, v14
	v_ffbh_u32_e32 v22, v20
	v_min_u32_e32 v22, 32, v22
	v_lshrrev_b16_e32 v21, 3, v14
	v_subrev_u32_e32 v23, 28, v22
	v_and_b32_e32 v21, 15, v21
	v_lshlrev_b32_e32 v23, v23, v14
	v_sub_u32_e32 v22, 29, v22
	v_and_b32_e32 v23, 7, v23
	v_cmp_eq_u16_e32 vcc, 0, v21
	v_cndmask_b32_e32 v20, v20, v23, vcc
	v_cndmask_b32_e32 v21, v21, v22, vcc
	v_lshlrev_b32_e32 v22, 24, v14
	v_mov_b32_e32 v23, 0x3b800000
	v_lshlrev_b32_e32 v20, 20, v20
	v_and_b32_e32 v22, 0x80000000, v22
	v_lshl_add_u32 v21, v21, 23, v23
	v_or3_b32 v20, v22, v21, v20
.LBB11_1028:
	s_or_b64 exec, exec, s[6:7]
	s_movk_i32 s4, 0x7f
	v_cmp_gt_i16_sdwa s[6:7], v10, s4 src0_sel:BYTE_0 src1_sel:DWORD
	s_mov_b64 s[4:5], 0
                                        ; implicit-def: $sgpr10
	s_and_saveexec_b64 s[8:9], s[6:7]
	s_xor_b64 s[6:7], exec, s[8:9]
	s_cbranch_execnz .LBB11_3077
; %bb.1029:
	s_or_saveexec_b64 s[6:7], s[6:7]
	v_mov_b32_e32 v21, s10
	s_xor_b64 exec, exec, s[6:7]
	s_cbranch_execnz .LBB11_3080
.LBB11_1030:
	s_or_b64 exec, exec, s[6:7]
	s_and_saveexec_b64 s[6:7], s[4:5]
	s_cbranch_execz .LBB11_1032
.LBB11_1031:
	v_and_b32_e32 v21, 7, v10
	v_ffbh_u32_e32 v23, v21
	v_min_u32_e32 v23, 32, v23
	v_lshrrev_b16_e32 v22, 3, v10
	v_subrev_u32_e32 v24, 28, v23
	v_and_b32_e32 v22, 15, v22
	v_lshlrev_b32_e32 v24, v24, v10
	v_sub_u32_e32 v23, 29, v23
	v_and_b32_e32 v24, 7, v24
	v_cmp_eq_u16_e32 vcc, 0, v22
	v_cndmask_b32_e32 v21, v21, v24, vcc
	v_cndmask_b32_e32 v22, v22, v23, vcc
	v_lshlrev_b32_e32 v23, 24, v10
	v_mov_b32_e32 v24, 0x3b800000
	v_lshlrev_b32_e32 v21, 20, v21
	v_and_b32_e32 v23, 0x80000000, v23
	v_lshl_add_u32 v22, v22, 23, v24
	v_or3_b32 v21, v23, v22, v21
.LBB11_1032:
	s_or_b64 exec, exec, s[6:7]
	flat_load_dwordx4 a[0:3], v[18:19] offset:192
	s_movk_i32 s4, 0x7f
                                        ; implicit-def: $sgpr10
	s_waitcnt vmcnt(0) lgkmcnt(0)
	v_mfma_f32_16x16x4f32 a[0:3], v20, v21, a[0:3]
	v_lshrrev_b32_e32 v21, 8, v14
	v_cmp_gt_i16_sdwa s[6:7], v21, s4 src0_sel:BYTE_0 src1_sel:DWORD
	s_mov_b64 s[4:5], 0
	s_and_saveexec_b64 s[8:9], s[6:7]
	s_xor_b64 s[6:7], exec, s[8:9]
	s_cbranch_execnz .LBB11_3081
; %bb.1033:
	s_or_saveexec_b64 s[6:7], s[6:7]
	v_mov_b32_e32 v20, s10
	s_xor_b64 exec, exec, s[6:7]
	s_cbranch_execnz .LBB11_3084
.LBB11_1034:
	s_or_b64 exec, exec, s[6:7]
	s_and_saveexec_b64 s[6:7], s[4:5]
	s_cbranch_execz .LBB11_1036
.LBB11_1035:
	v_bfe_u32 v20, v14, 8, 3
	v_ffbh_u32_e32 v23, v20
	v_min_u32_e32 v23, 32, v23
	v_lshrrev_b16_e32 v22, 3, v21
	v_subrev_u32_e32 v24, 28, v23
	v_and_b32_e32 v22, 15, v22
	v_lshlrev_b32_e32 v21, v24, v21
	v_sub_u32_e32 v23, 29, v23
	v_and_b32_e32 v21, 7, v21
	v_cmp_eq_u16_e32 vcc, 0, v22
	v_cndmask_b32_e32 v20, v20, v21, vcc
	v_cndmask_b32_e32 v21, v22, v23, vcc
	v_lshlrev_b32_e32 v22, 16, v14
	v_mov_b32_e32 v23, 0x3b800000
	v_lshlrev_b32_e32 v20, 20, v20
	v_and_b32_e32 v22, 0x80000000, v22
	v_lshl_add_u32 v21, v21, 23, v23
	v_or3_b32 v20, v22, v21, v20
.LBB11_1036:
	s_or_b64 exec, exec, s[6:7]
	v_lshrrev_b32_e32 v21, 8, v10
	s_movk_i32 s4, 0x7f
	v_cmp_gt_i16_sdwa s[6:7], v21, s4 src0_sel:BYTE_0 src1_sel:DWORD
	s_mov_b64 s[4:5], 0
                                        ; implicit-def: $sgpr10
	s_and_saveexec_b64 s[8:9], s[6:7]
	s_xor_b64 s[6:7], exec, s[8:9]
	s_cbranch_execnz .LBB11_3085
; %bb.1037:
	s_or_saveexec_b64 s[6:7], s[6:7]
	v_mov_b32_e32 v22, s10
	s_xor_b64 exec, exec, s[6:7]
	s_cbranch_execnz .LBB11_3088
.LBB11_1038:
	s_or_b64 exec, exec, s[6:7]
	s_and_saveexec_b64 s[6:7], s[4:5]
	s_cbranch_execz .LBB11_1040
.LBB11_1039:
	v_bfe_u32 v22, v10, 8, 3
	v_ffbh_u32_e32 v24, v22
	v_min_u32_e32 v24, 32, v24
	v_lshrrev_b16_e32 v23, 3, v21
	v_subrev_u32_e32 v25, 28, v24
	v_and_b32_e32 v23, 15, v23
	v_lshlrev_b32_e32 v21, v25, v21
	v_sub_u32_e32 v24, 29, v24
	v_and_b32_e32 v21, 7, v21
	v_cmp_eq_u16_e32 vcc, 0, v23
	v_cndmask_b32_e32 v21, v22, v21, vcc
	v_cndmask_b32_e32 v22, v23, v24, vcc
	v_lshlrev_b32_e32 v23, 16, v10
	v_mov_b32_e32 v24, 0x3b800000
	v_lshlrev_b32_e32 v21, 20, v21
	v_and_b32_e32 v23, 0x80000000, v23
	v_lshl_add_u32 v22, v22, 23, v24
	v_or3_b32 v22, v23, v22, v21
.LBB11_1040:
	s_or_b64 exec, exec, s[6:7]
	s_nop 0
	v_mfma_f32_16x16x4f32 a[0:3], v20, v22, a[0:3]
	s_movk_i32 s4, 0xff
	v_and_b32_sdwa v21, v14, s4 dst_sel:DWORD dst_unused:UNUSED_PAD src0_sel:WORD_1 src1_sel:DWORD
	s_movk_i32 s4, 0x7f
	v_cmp_lt_i16_e32 vcc, s4, v21
	s_mov_b64 s[4:5], 0
                                        ; implicit-def: $sgpr10
	s_and_saveexec_b64 s[6:7], vcc
	s_xor_b64 s[6:7], exec, s[6:7]
	s_cbranch_execnz .LBB11_3089
; %bb.1041:
	s_or_saveexec_b64 s[6:7], s[6:7]
	v_mov_b32_e32 v20, s10
	s_xor_b64 exec, exec, s[6:7]
	s_cbranch_execnz .LBB11_3092
.LBB11_1042:
	s_or_b64 exec, exec, s[6:7]
	s_and_saveexec_b64 s[6:7], s[4:5]
	s_cbranch_execz .LBB11_1044
.LBB11_1043:
	v_bfe_u32 v20, v14, 16, 3
	v_ffbh_u32_e32 v23, v20
	v_min_u32_e32 v23, 32, v23
	v_lshrrev_b32_e32 v21, 19, v14
	v_subrev_u32_e32 v24, 28, v23
	v_and_b32_e32 v21, 15, v21
	v_lshlrev_b32_sdwa v24, v24, v14 dst_sel:DWORD dst_unused:UNUSED_PAD src0_sel:DWORD src1_sel:WORD_1
	v_bfe_u32 v22, v14, 19, 4
	v_sub_u32_e32 v23, 29, v23
	v_and_b32_e32 v24, 7, v24
	v_cmp_eq_u16_e32 vcc, 0, v21
	v_cndmask_b32_e32 v20, v20, v24, vcc
	v_cndmask_b32_e32 v21, v22, v23, vcc
	v_lshlrev_b32_e32 v22, 8, v14
	v_mov_b32_e32 v23, 0x3b800000
	v_lshlrev_b32_e32 v20, 20, v20
	v_and_b32_e32 v22, 0x80000000, v22
	v_lshl_add_u32 v21, v21, 23, v23
	v_or3_b32 v20, v22, v21, v20
.LBB11_1044:
	s_or_b64 exec, exec, s[6:7]
	s_movk_i32 s4, 0xff
	v_and_b32_sdwa v21, v10, s4 dst_sel:DWORD dst_unused:UNUSED_PAD src0_sel:WORD_1 src1_sel:DWORD
	s_movk_i32 s4, 0x7f
	v_cmp_lt_i16_e32 vcc, s4, v21
	s_mov_b64 s[4:5], 0
                                        ; implicit-def: $sgpr10
	s_and_saveexec_b64 s[6:7], vcc
	s_xor_b64 s[6:7], exec, s[6:7]
	s_cbranch_execnz .LBB11_3093
; %bb.1045:
	s_or_saveexec_b64 s[6:7], s[6:7]
	v_mov_b32_e32 v22, s10
	s_xor_b64 exec, exec, s[6:7]
	s_cbranch_execnz .LBB11_3096
.LBB11_1046:
	s_or_b64 exec, exec, s[6:7]
	s_and_saveexec_b64 s[6:7], s[4:5]
	s_cbranch_execz .LBB11_1048
.LBB11_1047:
	v_bfe_u32 v21, v10, 16, 3
	v_ffbh_u32_e32 v24, v21
	v_min_u32_e32 v24, 32, v24
	v_lshrrev_b32_e32 v22, 19, v10
	v_subrev_u32_e32 v25, 28, v24
	v_and_b32_e32 v22, 15, v22
	v_lshlrev_b32_sdwa v25, v25, v10 dst_sel:DWORD dst_unused:UNUSED_PAD src0_sel:DWORD src1_sel:WORD_1
	v_bfe_u32 v23, v10, 19, 4
	v_sub_u32_e32 v24, 29, v24
	v_and_b32_e32 v25, 7, v25
	v_cmp_eq_u16_e32 vcc, 0, v22
	v_cndmask_b32_e32 v21, v21, v25, vcc
	v_cndmask_b32_e32 v22, v23, v24, vcc
	v_lshlrev_b32_e32 v23, 8, v10
	v_mov_b32_e32 v24, 0x3b800000
	v_lshlrev_b32_e32 v21, 20, v21
	v_and_b32_e32 v23, 0x80000000, v23
	v_lshl_add_u32 v22, v22, 23, v24
	v_or3_b32 v22, v23, v22, v21
.LBB11_1048:
	s_or_b64 exec, exec, s[6:7]
	s_nop 0
	v_mfma_f32_16x16x4f32 a[0:3], v20, v22, a[0:3]
	s_movk_i32 s4, 0x7f
	v_cmp_gt_i16_sdwa s[6:7], v14, s4 src0_sel:BYTE_3 src1_sel:DWORD
	s_mov_b64 s[4:5], 0
                                        ; implicit-def: $sgpr10
	s_and_saveexec_b64 s[8:9], s[6:7]
	s_xor_b64 s[6:7], exec, s[8:9]
	s_cbranch_execnz .LBB11_3097
; %bb.1049:
	s_or_saveexec_b64 s[6:7], s[6:7]
	v_mov_b32_e32 v20, s10
	s_xor_b64 exec, exec, s[6:7]
	s_cbranch_execnz .LBB11_3100
.LBB11_1050:
	s_or_b64 exec, exec, s[6:7]
	s_and_saveexec_b64 s[6:7], s[4:5]
	s_cbranch_execz .LBB11_1052
.LBB11_1051:
	v_bfe_u32 v20, v14, 24, 3
	v_ffbh_u32_e32 v24, v20
	v_min_u32_e32 v24, 32, v24
	v_lshrrev_b32_e32 v22, 27, v14
	v_subrev_u32_e32 v25, 28, v24
	v_and_b32_e32 v21, 0x80000000, v14
	v_and_b32_e32 v22, 15, v22
	v_bfe_u32 v23, v14, 27, 4
	v_lshlrev_b32_sdwa v14, v25, v14 dst_sel:DWORD dst_unused:UNUSED_PAD src0_sel:DWORD src1_sel:BYTE_3
	v_sub_u32_e32 v24, 29, v24
	v_and_b32_e32 v14, 7, v14
	v_cmp_eq_u16_e32 vcc, 0, v22
	v_cndmask_b32_e32 v14, v20, v14, vcc
	v_cndmask_b32_e32 v20, v23, v24, vcc
	v_mov_b32_e32 v22, 0x3b800000
	v_lshlrev_b32_e32 v14, 20, v14
	v_lshl_add_u32 v20, v20, 23, v22
	v_or3_b32 v20, v21, v20, v14
.LBB11_1052:
	s_or_b64 exec, exec, s[6:7]
	s_movk_i32 s4, 0x7f
	v_cmp_gt_i16_sdwa s[6:7], v10, s4 src0_sel:BYTE_3 src1_sel:DWORD
	s_mov_b64 s[4:5], 0
                                        ; implicit-def: $sgpr10
	s_and_saveexec_b64 s[8:9], s[6:7]
	s_xor_b64 s[6:7], exec, s[8:9]
	s_cbranch_execnz .LBB11_3101
; %bb.1053:
	s_or_saveexec_b64 s[6:7], s[6:7]
	v_mov_b32_e32 v14, s10
	s_xor_b64 exec, exec, s[6:7]
	s_cbranch_execnz .LBB11_3104
.LBB11_1054:
	s_or_b64 exec, exec, s[6:7]
	s_and_saveexec_b64 s[6:7], s[4:5]
	s_cbranch_execz .LBB11_1056
.LBB11_1055:
	v_bfe_u32 v14, v10, 24, 3
	v_ffbh_u32_e32 v24, v14
	v_min_u32_e32 v24, 32, v24
	v_lshrrev_b32_e32 v22, 27, v10
	v_subrev_u32_e32 v25, 28, v24
	v_and_b32_e32 v21, 0x80000000, v10
	v_and_b32_e32 v22, 15, v22
	v_bfe_u32 v23, v10, 27, 4
	v_lshlrev_b32_sdwa v10, v25, v10 dst_sel:DWORD dst_unused:UNUSED_PAD src0_sel:DWORD src1_sel:BYTE_3
	v_sub_u32_e32 v24, 29, v24
	v_and_b32_e32 v10, 7, v10
	v_cmp_eq_u16_e32 vcc, 0, v22
	v_cndmask_b32_e32 v10, v14, v10, vcc
	v_cndmask_b32_e32 v14, v23, v24, vcc
	v_mov_b32_e32 v22, 0x3b800000
	v_lshlrev_b32_e32 v10, 20, v10
	v_lshl_add_u32 v14, v14, 23, v22
	v_or3_b32 v14, v21, v14, v10
.LBB11_1056:
	s_or_b64 exec, exec, s[6:7]
	s_nop 0
	v_mfma_f32_16x16x4f32 a[0:3], v20, v14, a[0:3]
	s_movk_i32 s4, 0x7f
	v_cmp_gt_i16_sdwa s[6:7], v15, s4 src0_sel:BYTE_0 src1_sel:DWORD
	s_mov_b64 s[4:5], 0
                                        ; implicit-def: $sgpr10
	s_and_saveexec_b64 s[8:9], s[6:7]
	s_xor_b64 s[6:7], exec, s[8:9]
	s_cbranch_execnz .LBB11_3105
; %bb.1057:
	s_or_saveexec_b64 s[6:7], s[6:7]
	v_mov_b32_e32 v10, s10
	s_xor_b64 exec, exec, s[6:7]
	s_cbranch_execnz .LBB11_3108
.LBB11_1058:
	s_or_b64 exec, exec, s[6:7]
	s_and_saveexec_b64 s[6:7], s[4:5]
	s_cbranch_execz .LBB11_1060
.LBB11_1059:
	v_and_b32_e32 v10, 7, v15
	v_ffbh_u32_e32 v20, v10
	v_min_u32_e32 v20, 32, v20
	v_lshrrev_b16_e32 v14, 3, v15
	v_subrev_u32_e32 v21, 28, v20
	v_and_b32_e32 v14, 15, v14
	v_lshlrev_b32_e32 v21, v21, v15
	v_sub_u32_e32 v20, 29, v20
	v_and_b32_e32 v21, 7, v21
	v_cmp_eq_u16_e32 vcc, 0, v14
	v_cndmask_b32_e32 v10, v10, v21, vcc
	v_cndmask_b32_e32 v14, v14, v20, vcc
	v_lshlrev_b32_e32 v20, 24, v15
	v_mov_b32_e32 v21, 0x3b800000
	v_lshlrev_b32_e32 v10, 20, v10
	v_and_b32_e32 v20, 0x80000000, v20
	v_lshl_add_u32 v14, v14, 23, v21
	v_or3_b32 v10, v20, v14, v10
.LBB11_1060:
	s_or_b64 exec, exec, s[6:7]
	s_movk_i32 s4, 0x7f
	v_cmp_gt_i16_sdwa s[6:7], v11, s4 src0_sel:BYTE_0 src1_sel:DWORD
	s_mov_b64 s[4:5], 0
                                        ; implicit-def: $sgpr10
	s_and_saveexec_b64 s[8:9], s[6:7]
	s_xor_b64 s[6:7], exec, s[8:9]
	s_cbranch_execnz .LBB11_3109
; %bb.1061:
	s_or_saveexec_b64 s[6:7], s[6:7]
	v_mov_b32_e32 v14, s10
	s_xor_b64 exec, exec, s[6:7]
	s_cbranch_execnz .LBB11_3112
.LBB11_1062:
	s_or_b64 exec, exec, s[6:7]
	s_and_saveexec_b64 s[6:7], s[4:5]
	s_cbranch_execz .LBB11_1064
.LBB11_1063:
	v_and_b32_e32 v14, 7, v11
	v_ffbh_u32_e32 v21, v14
	v_min_u32_e32 v21, 32, v21
	v_lshrrev_b16_e32 v20, 3, v11
	v_subrev_u32_e32 v22, 28, v21
	v_and_b32_e32 v20, 15, v20
	v_lshlrev_b32_e32 v22, v22, v11
	v_sub_u32_e32 v21, 29, v21
	v_and_b32_e32 v22, 7, v22
	v_cmp_eq_u16_e32 vcc, 0, v20
	v_cndmask_b32_e32 v14, v14, v22, vcc
	v_cndmask_b32_e32 v20, v20, v21, vcc
	v_lshlrev_b32_e32 v21, 24, v11
	v_mov_b32_e32 v22, 0x3b800000
	v_lshlrev_b32_e32 v14, 20, v14
	v_and_b32_e32 v21, 0x80000000, v21
	v_lshl_add_u32 v20, v20, 23, v22
	v_or3_b32 v14, v21, v20, v14
.LBB11_1064:
	s_or_b64 exec, exec, s[6:7]
	s_nop 0
	v_mfma_f32_16x16x4f32 a[0:3], v10, v14, a[0:3]
	v_lshrrev_b32_e32 v14, 8, v15
	s_movk_i32 s4, 0x7f
	v_cmp_gt_i16_sdwa s[6:7], v14, s4 src0_sel:BYTE_0 src1_sel:DWORD
	s_mov_b64 s[4:5], 0
                                        ; implicit-def: $sgpr10
	s_and_saveexec_b64 s[8:9], s[6:7]
	s_xor_b64 s[6:7], exec, s[8:9]
	s_cbranch_execnz .LBB11_3113
; %bb.1065:
	s_or_saveexec_b64 s[6:7], s[6:7]
	v_mov_b32_e32 v10, s10
	s_xor_b64 exec, exec, s[6:7]
	s_cbranch_execnz .LBB11_3116
.LBB11_1066:
	s_or_b64 exec, exec, s[6:7]
	s_and_saveexec_b64 s[6:7], s[4:5]
	s_cbranch_execz .LBB11_1068
.LBB11_1067:
	v_bfe_u32 v10, v15, 8, 3
	v_ffbh_u32_e32 v21, v10
	v_min_u32_e32 v21, 32, v21
	v_lshrrev_b16_e32 v20, 3, v14
	v_subrev_u32_e32 v22, 28, v21
	v_and_b32_e32 v20, 15, v20
	v_lshlrev_b32_e32 v14, v22, v14
	v_sub_u32_e32 v21, 29, v21
	v_and_b32_e32 v14, 7, v14
	v_cmp_eq_u16_e32 vcc, 0, v20
	v_cndmask_b32_e32 v10, v10, v14, vcc
	v_cndmask_b32_e32 v14, v20, v21, vcc
	v_lshlrev_b32_e32 v20, 16, v15
	v_mov_b32_e32 v21, 0x3b800000
	v_lshlrev_b32_e32 v10, 20, v10
	v_and_b32_e32 v20, 0x80000000, v20
	v_lshl_add_u32 v14, v14, 23, v21
	v_or3_b32 v10, v20, v14, v10
.LBB11_1068:
	s_or_b64 exec, exec, s[6:7]
	v_lshrrev_b32_e32 v14, 8, v11
	s_movk_i32 s4, 0x7f
	v_cmp_gt_i16_sdwa s[6:7], v14, s4 src0_sel:BYTE_0 src1_sel:DWORD
	s_mov_b64 s[4:5], 0
                                        ; implicit-def: $sgpr10
	s_and_saveexec_b64 s[8:9], s[6:7]
	s_xor_b64 s[6:7], exec, s[8:9]
	s_cbranch_execnz .LBB11_3117
; %bb.1069:
	s_or_saveexec_b64 s[6:7], s[6:7]
	v_mov_b32_e32 v20, s10
	s_xor_b64 exec, exec, s[6:7]
	s_cbranch_execnz .LBB11_3120
.LBB11_1070:
	s_or_b64 exec, exec, s[6:7]
	s_and_saveexec_b64 s[6:7], s[4:5]
	s_cbranch_execz .LBB11_1072
.LBB11_1071:
	v_bfe_u32 v20, v11, 8, 3
	v_ffbh_u32_e32 v22, v20
	v_min_u32_e32 v22, 32, v22
	v_lshrrev_b16_e32 v21, 3, v14
	v_subrev_u32_e32 v23, 28, v22
	v_and_b32_e32 v21, 15, v21
	v_lshlrev_b32_e32 v14, v23, v14
	v_sub_u32_e32 v22, 29, v22
	v_and_b32_e32 v14, 7, v14
	v_cmp_eq_u16_e32 vcc, 0, v21
	v_cndmask_b32_e32 v14, v20, v14, vcc
	v_cndmask_b32_e32 v20, v21, v22, vcc
	v_lshlrev_b32_e32 v21, 16, v11
	v_mov_b32_e32 v22, 0x3b800000
	v_lshlrev_b32_e32 v14, 20, v14
	v_and_b32_e32 v21, 0x80000000, v21
	v_lshl_add_u32 v20, v20, 23, v22
	v_or3_b32 v20, v21, v20, v14
.LBB11_1072:
	s_or_b64 exec, exec, s[6:7]
	s_nop 0
	v_mfma_f32_16x16x4f32 a[0:3], v10, v20, a[0:3]
	s_movk_i32 s4, 0xff
	v_and_b32_sdwa v14, v15, s4 dst_sel:DWORD dst_unused:UNUSED_PAD src0_sel:WORD_1 src1_sel:DWORD
	s_movk_i32 s4, 0x7f
	v_cmp_lt_i16_e32 vcc, s4, v14
	s_mov_b64 s[4:5], 0
                                        ; implicit-def: $sgpr10
	s_and_saveexec_b64 s[6:7], vcc
	s_xor_b64 s[6:7], exec, s[6:7]
	s_cbranch_execnz .LBB11_3121
; %bb.1073:
	s_or_saveexec_b64 s[6:7], s[6:7]
	v_mov_b32_e32 v10, s10
	s_xor_b64 exec, exec, s[6:7]
	s_cbranch_execnz .LBB11_3124
.LBB11_1074:
	s_or_b64 exec, exec, s[6:7]
	s_and_saveexec_b64 s[6:7], s[4:5]
	s_cbranch_execz .LBB11_1076
.LBB11_1075:
	v_bfe_u32 v10, v15, 16, 3
	v_ffbh_u32_e32 v21, v10
	v_min_u32_e32 v21, 32, v21
	v_lshrrev_b32_e32 v14, 19, v15
	v_subrev_u32_e32 v22, 28, v21
	v_and_b32_e32 v14, 15, v14
	v_lshlrev_b32_sdwa v22, v22, v15 dst_sel:DWORD dst_unused:UNUSED_PAD src0_sel:DWORD src1_sel:WORD_1
	v_bfe_u32 v20, v15, 19, 4
	v_sub_u32_e32 v21, 29, v21
	v_and_b32_e32 v22, 7, v22
	v_cmp_eq_u16_e32 vcc, 0, v14
	v_cndmask_b32_e32 v10, v10, v22, vcc
	v_cndmask_b32_e32 v14, v20, v21, vcc
	v_lshlrev_b32_e32 v20, 8, v15
	v_mov_b32_e32 v21, 0x3b800000
	v_lshlrev_b32_e32 v10, 20, v10
	v_and_b32_e32 v20, 0x80000000, v20
	v_lshl_add_u32 v14, v14, 23, v21
	v_or3_b32 v10, v20, v14, v10
.LBB11_1076:
	s_or_b64 exec, exec, s[6:7]
	s_movk_i32 s4, 0xff
	v_and_b32_sdwa v14, v11, s4 dst_sel:DWORD dst_unused:UNUSED_PAD src0_sel:WORD_1 src1_sel:DWORD
	s_movk_i32 s4, 0x7f
	v_cmp_lt_i16_e32 vcc, s4, v14
	s_mov_b64 s[4:5], 0
                                        ; implicit-def: $sgpr10
	s_and_saveexec_b64 s[6:7], vcc
	s_xor_b64 s[6:7], exec, s[6:7]
	s_cbranch_execnz .LBB11_3125
; %bb.1077:
	s_or_saveexec_b64 s[6:7], s[6:7]
	v_mov_b32_e32 v20, s10
	s_xor_b64 exec, exec, s[6:7]
	s_cbranch_execnz .LBB11_3128
.LBB11_1078:
	s_or_b64 exec, exec, s[6:7]
	s_and_saveexec_b64 s[6:7], s[4:5]
	s_cbranch_execz .LBB11_1080
.LBB11_1079:
	v_bfe_u32 v14, v11, 16, 3
	v_ffbh_u32_e32 v22, v14
	v_min_u32_e32 v22, 32, v22
	v_lshrrev_b32_e32 v20, 19, v11
	v_subrev_u32_e32 v23, 28, v22
	v_and_b32_e32 v20, 15, v20
	v_lshlrev_b32_sdwa v23, v23, v11 dst_sel:DWORD dst_unused:UNUSED_PAD src0_sel:DWORD src1_sel:WORD_1
	v_bfe_u32 v21, v11, 19, 4
	v_sub_u32_e32 v22, 29, v22
	v_and_b32_e32 v23, 7, v23
	v_cmp_eq_u16_e32 vcc, 0, v20
	v_cndmask_b32_e32 v14, v14, v23, vcc
	v_cndmask_b32_e32 v20, v21, v22, vcc
	v_lshlrev_b32_e32 v21, 8, v11
	v_mov_b32_e32 v22, 0x3b800000
	v_lshlrev_b32_e32 v14, 20, v14
	v_and_b32_e32 v21, 0x80000000, v21
	v_lshl_add_u32 v20, v20, 23, v22
	v_or3_b32 v20, v21, v20, v14
.LBB11_1080:
	s_or_b64 exec, exec, s[6:7]
	s_nop 0
	v_mfma_f32_16x16x4f32 a[0:3], v10, v20, a[0:3]
	s_movk_i32 s4, 0x7f
	v_cmp_gt_i16_sdwa s[6:7], v15, s4 src0_sel:BYTE_3 src1_sel:DWORD
	s_mov_b64 s[4:5], 0
                                        ; implicit-def: $sgpr10
	s_and_saveexec_b64 s[8:9], s[6:7]
	s_xor_b64 s[6:7], exec, s[8:9]
	s_cbranch_execnz .LBB11_3129
; %bb.1081:
	s_or_saveexec_b64 s[6:7], s[6:7]
	v_mov_b32_e32 v10, s10
	s_xor_b64 exec, exec, s[6:7]
	s_cbranch_execnz .LBB11_3132
.LBB11_1082:
	s_or_b64 exec, exec, s[6:7]
	s_and_saveexec_b64 s[6:7], s[4:5]
	s_cbranch_execz .LBB11_1084
.LBB11_1083:
	v_bfe_u32 v10, v15, 24, 3
	v_ffbh_u32_e32 v22, v10
	v_min_u32_e32 v22, 32, v22
	v_lshrrev_b32_e32 v20, 27, v15
	v_subrev_u32_e32 v23, 28, v22
	v_and_b32_e32 v14, 0x80000000, v15
	v_and_b32_e32 v20, 15, v20
	v_bfe_u32 v21, v15, 27, 4
	v_lshlrev_b32_sdwa v15, v23, v15 dst_sel:DWORD dst_unused:UNUSED_PAD src0_sel:DWORD src1_sel:BYTE_3
	v_sub_u32_e32 v22, 29, v22
	v_and_b32_e32 v15, 7, v15
	v_cmp_eq_u16_e32 vcc, 0, v20
	v_cndmask_b32_e32 v10, v10, v15, vcc
	v_cndmask_b32_e32 v15, v21, v22, vcc
	v_mov_b32_e32 v20, 0x3b800000
	v_lshlrev_b32_e32 v10, 20, v10
	v_lshl_add_u32 v15, v15, 23, v20
	v_or3_b32 v10, v14, v15, v10
.LBB11_1084:
	s_or_b64 exec, exec, s[6:7]
	s_movk_i32 s4, 0x7f
	v_cmp_gt_i16_sdwa s[6:7], v11, s4 src0_sel:BYTE_3 src1_sel:DWORD
	s_mov_b64 s[4:5], 0
                                        ; implicit-def: $sgpr10
	s_and_saveexec_b64 s[8:9], s[6:7]
	s_xor_b64 s[6:7], exec, s[8:9]
	s_cbranch_execnz .LBB11_3133
; %bb.1085:
	s_or_saveexec_b64 s[6:7], s[6:7]
	v_mov_b32_e32 v14, s10
	s_xor_b64 exec, exec, s[6:7]
	s_cbranch_execnz .LBB11_3136
.LBB11_1086:
	s_or_b64 exec, exec, s[6:7]
	s_and_saveexec_b64 s[6:7], s[4:5]
	s_cbranch_execz .LBB11_1088
.LBB11_1087:
	v_bfe_u32 v14, v11, 24, 3
	v_ffbh_u32_e32 v22, v14
	v_min_u32_e32 v22, 32, v22
	v_lshrrev_b32_e32 v20, 27, v11
	v_subrev_u32_e32 v23, 28, v22
	v_and_b32_e32 v15, 0x80000000, v11
	v_and_b32_e32 v20, 15, v20
	v_bfe_u32 v21, v11, 27, 4
	v_lshlrev_b32_sdwa v11, v23, v11 dst_sel:DWORD dst_unused:UNUSED_PAD src0_sel:DWORD src1_sel:BYTE_3
	v_sub_u32_e32 v22, 29, v22
	v_and_b32_e32 v11, 7, v11
	v_cmp_eq_u16_e32 vcc, 0, v20
	v_cndmask_b32_e32 v11, v14, v11, vcc
	v_cndmask_b32_e32 v14, v21, v22, vcc
	v_mov_b32_e32 v20, 0x3b800000
	v_lshlrev_b32_e32 v11, 20, v11
	v_lshl_add_u32 v14, v14, 23, v20
	v_or3_b32 v14, v15, v14, v11
.LBB11_1088:
	s_or_b64 exec, exec, s[6:7]
	s_nop 0
	v_mfma_f32_16x16x4f32 a[0:3], v10, v14, a[0:3]
	s_movk_i32 s4, 0x7f
	v_cmp_gt_i16_sdwa s[6:7], v16, s4 src0_sel:BYTE_0 src1_sel:DWORD
	s_mov_b64 s[4:5], 0
                                        ; implicit-def: $sgpr10
	s_and_saveexec_b64 s[8:9], s[6:7]
	s_xor_b64 s[6:7], exec, s[8:9]
	s_cbranch_execnz .LBB11_3137
; %bb.1089:
	s_or_saveexec_b64 s[6:7], s[6:7]
	v_mov_b32_e32 v10, s10
	s_xor_b64 exec, exec, s[6:7]
	s_cbranch_execnz .LBB11_3140
.LBB11_1090:
	s_or_b64 exec, exec, s[6:7]
	s_and_saveexec_b64 s[6:7], s[4:5]
	s_cbranch_execz .LBB11_1092
.LBB11_1091:
	v_and_b32_e32 v10, 7, v16
	v_ffbh_u32_e32 v14, v10
	v_min_u32_e32 v14, 32, v14
	v_lshrrev_b16_e32 v11, 3, v16
	v_subrev_u32_e32 v15, 28, v14
	v_and_b32_e32 v11, 15, v11
	v_lshlrev_b32_e32 v15, v15, v16
	v_sub_u32_e32 v14, 29, v14
	v_and_b32_e32 v15, 7, v15
	v_cmp_eq_u16_e32 vcc, 0, v11
	v_cndmask_b32_e32 v10, v10, v15, vcc
	v_cndmask_b32_e32 v11, v11, v14, vcc
	v_lshlrev_b32_e32 v14, 24, v16
	v_mov_b32_e32 v15, 0x3b800000
	v_lshlrev_b32_e32 v10, 20, v10
	v_and_b32_e32 v14, 0x80000000, v14
	v_lshl_add_u32 v11, v11, 23, v15
	v_or3_b32 v10, v14, v11, v10
.LBB11_1092:
	s_or_b64 exec, exec, s[6:7]
	s_movk_i32 s4, 0x7f
	v_cmp_gt_i16_sdwa s[6:7], v12, s4 src0_sel:BYTE_0 src1_sel:DWORD
	s_mov_b64 s[4:5], 0
                                        ; implicit-def: $sgpr10
	s_and_saveexec_b64 s[8:9], s[6:7]
	s_xor_b64 s[6:7], exec, s[8:9]
	s_cbranch_execnz .LBB11_3141
; %bb.1093:
	s_or_saveexec_b64 s[6:7], s[6:7]
	v_mov_b32_e32 v11, s10
	s_xor_b64 exec, exec, s[6:7]
	s_cbranch_execnz .LBB11_3144
.LBB11_1094:
	s_or_b64 exec, exec, s[6:7]
	s_and_saveexec_b64 s[6:7], s[4:5]
	s_cbranch_execz .LBB11_1096
.LBB11_1095:
	v_and_b32_e32 v11, 7, v12
	v_ffbh_u32_e32 v15, v11
	v_min_u32_e32 v15, 32, v15
	v_lshrrev_b16_e32 v14, 3, v12
	v_subrev_u32_e32 v20, 28, v15
	v_and_b32_e32 v14, 15, v14
	v_lshlrev_b32_e32 v20, v20, v12
	v_sub_u32_e32 v15, 29, v15
	v_and_b32_e32 v20, 7, v20
	v_cmp_eq_u16_e32 vcc, 0, v14
	v_cndmask_b32_e32 v11, v11, v20, vcc
	v_cndmask_b32_e32 v14, v14, v15, vcc
	v_lshlrev_b32_e32 v15, 24, v12
	v_mov_b32_e32 v20, 0x3b800000
	v_lshlrev_b32_e32 v11, 20, v11
	v_and_b32_e32 v15, 0x80000000, v15
	v_lshl_add_u32 v14, v14, 23, v20
	v_or3_b32 v11, v15, v14, v11
.LBB11_1096:
	s_or_b64 exec, exec, s[6:7]
	s_nop 0
	v_mfma_f32_16x16x4f32 a[0:3], v10, v11, a[0:3]
	v_lshrrev_b32_e32 v11, 8, v16
	s_movk_i32 s4, 0x7f
	v_cmp_gt_i16_sdwa s[6:7], v11, s4 src0_sel:BYTE_0 src1_sel:DWORD
	s_mov_b64 s[4:5], 0
                                        ; implicit-def: $sgpr10
	s_and_saveexec_b64 s[8:9], s[6:7]
	s_xor_b64 s[6:7], exec, s[8:9]
	s_cbranch_execnz .LBB11_3145
; %bb.1097:
	s_or_saveexec_b64 s[6:7], s[6:7]
	v_mov_b32_e32 v10, s10
	s_xor_b64 exec, exec, s[6:7]
	s_cbranch_execnz .LBB11_3148
.LBB11_1098:
	s_or_b64 exec, exec, s[6:7]
	s_and_saveexec_b64 s[6:7], s[4:5]
	s_cbranch_execz .LBB11_1100
.LBB11_1099:
	v_bfe_u32 v10, v16, 8, 3
	v_ffbh_u32_e32 v15, v10
	v_min_u32_e32 v15, 32, v15
	v_lshrrev_b16_e32 v14, 3, v11
	v_subrev_u32_e32 v20, 28, v15
	v_and_b32_e32 v14, 15, v14
	v_lshlrev_b32_e32 v11, v20, v11
	v_sub_u32_e32 v15, 29, v15
	v_and_b32_e32 v11, 7, v11
	v_cmp_eq_u16_e32 vcc, 0, v14
	v_cndmask_b32_e32 v10, v10, v11, vcc
	v_cndmask_b32_e32 v11, v14, v15, vcc
	v_lshlrev_b32_e32 v14, 16, v16
	v_mov_b32_e32 v15, 0x3b800000
	v_lshlrev_b32_e32 v10, 20, v10
	v_and_b32_e32 v14, 0x80000000, v14
	v_lshl_add_u32 v11, v11, 23, v15
	v_or3_b32 v10, v14, v11, v10
.LBB11_1100:
	s_or_b64 exec, exec, s[6:7]
	v_lshrrev_b32_e32 v11, 8, v12
	s_movk_i32 s4, 0x7f
	v_cmp_gt_i16_sdwa s[6:7], v11, s4 src0_sel:BYTE_0 src1_sel:DWORD
	s_mov_b64 s[4:5], 0
                                        ; implicit-def: $sgpr10
	s_and_saveexec_b64 s[8:9], s[6:7]
	s_xor_b64 s[6:7], exec, s[8:9]
	s_cbranch_execnz .LBB11_3149
; %bb.1101:
	s_or_saveexec_b64 s[6:7], s[6:7]
	v_mov_b32_e32 v14, s10
	s_xor_b64 exec, exec, s[6:7]
	s_cbranch_execnz .LBB11_3152
.LBB11_1102:
	s_or_b64 exec, exec, s[6:7]
	s_and_saveexec_b64 s[6:7], s[4:5]
	s_cbranch_execz .LBB11_1104
.LBB11_1103:
	v_bfe_u32 v14, v12, 8, 3
	v_ffbh_u32_e32 v20, v14
	v_min_u32_e32 v20, 32, v20
	v_lshrrev_b16_e32 v15, 3, v11
	v_subrev_u32_e32 v21, 28, v20
	v_and_b32_e32 v15, 15, v15
	v_lshlrev_b32_e32 v11, v21, v11
	v_sub_u32_e32 v20, 29, v20
	v_and_b32_e32 v11, 7, v11
	v_cmp_eq_u16_e32 vcc, 0, v15
	v_cndmask_b32_e32 v11, v14, v11, vcc
	v_cndmask_b32_e32 v14, v15, v20, vcc
	v_lshlrev_b32_e32 v15, 16, v12
	v_mov_b32_e32 v20, 0x3b800000
	v_lshlrev_b32_e32 v11, 20, v11
	v_and_b32_e32 v15, 0x80000000, v15
	v_lshl_add_u32 v14, v14, 23, v20
	v_or3_b32 v14, v15, v14, v11
.LBB11_1104:
	s_or_b64 exec, exec, s[6:7]
	s_nop 0
	v_mfma_f32_16x16x4f32 a[0:3], v10, v14, a[0:3]
	s_movk_i32 s4, 0xff
	v_and_b32_sdwa v11, v16, s4 dst_sel:DWORD dst_unused:UNUSED_PAD src0_sel:WORD_1 src1_sel:DWORD
	s_movk_i32 s4, 0x7f
	v_cmp_lt_i16_e32 vcc, s4, v11
	s_mov_b64 s[4:5], 0
                                        ; implicit-def: $sgpr10
	s_and_saveexec_b64 s[6:7], vcc
	s_xor_b64 s[6:7], exec, s[6:7]
	s_cbranch_execnz .LBB11_3153
; %bb.1105:
	s_or_saveexec_b64 s[6:7], s[6:7]
	v_mov_b32_e32 v10, s10
	s_xor_b64 exec, exec, s[6:7]
	s_cbranch_execnz .LBB11_3156
.LBB11_1106:
	s_or_b64 exec, exec, s[6:7]
	s_and_saveexec_b64 s[6:7], s[4:5]
	s_cbranch_execz .LBB11_1108
.LBB11_1107:
	v_bfe_u32 v10, v16, 16, 3
	v_ffbh_u32_e32 v15, v10
	v_min_u32_e32 v15, 32, v15
	v_lshrrev_b32_e32 v11, 19, v16
	v_subrev_u32_e32 v20, 28, v15
	v_and_b32_e32 v11, 15, v11
	v_lshlrev_b32_sdwa v20, v20, v16 dst_sel:DWORD dst_unused:UNUSED_PAD src0_sel:DWORD src1_sel:WORD_1
	v_bfe_u32 v14, v16, 19, 4
	v_sub_u32_e32 v15, 29, v15
	v_and_b32_e32 v20, 7, v20
	v_cmp_eq_u16_e32 vcc, 0, v11
	v_cndmask_b32_e32 v10, v10, v20, vcc
	v_cndmask_b32_e32 v11, v14, v15, vcc
	v_lshlrev_b32_e32 v14, 8, v16
	v_mov_b32_e32 v15, 0x3b800000
	v_lshlrev_b32_e32 v10, 20, v10
	v_and_b32_e32 v14, 0x80000000, v14
	v_lshl_add_u32 v11, v11, 23, v15
	v_or3_b32 v10, v14, v11, v10
.LBB11_1108:
	s_or_b64 exec, exec, s[6:7]
	s_movk_i32 s4, 0xff
	v_and_b32_sdwa v11, v12, s4 dst_sel:DWORD dst_unused:UNUSED_PAD src0_sel:WORD_1 src1_sel:DWORD
	s_movk_i32 s4, 0x7f
	v_cmp_lt_i16_e32 vcc, s4, v11
	s_mov_b64 s[4:5], 0
                                        ; implicit-def: $sgpr10
	s_and_saveexec_b64 s[6:7], vcc
	s_xor_b64 s[6:7], exec, s[6:7]
	s_cbranch_execnz .LBB11_3157
; %bb.1109:
	s_or_saveexec_b64 s[6:7], s[6:7]
	v_mov_b32_e32 v14, s10
	s_xor_b64 exec, exec, s[6:7]
	s_cbranch_execnz .LBB11_3160
.LBB11_1110:
	s_or_b64 exec, exec, s[6:7]
	s_and_saveexec_b64 s[6:7], s[4:5]
	s_cbranch_execz .LBB11_1112
.LBB11_1111:
	v_bfe_u32 v11, v12, 16, 3
	v_ffbh_u32_e32 v20, v11
	v_min_u32_e32 v20, 32, v20
	v_lshrrev_b32_e32 v14, 19, v12
	v_subrev_u32_e32 v21, 28, v20
	v_and_b32_e32 v14, 15, v14
	v_lshlrev_b32_sdwa v21, v21, v12 dst_sel:DWORD dst_unused:UNUSED_PAD src0_sel:DWORD src1_sel:WORD_1
	v_bfe_u32 v15, v12, 19, 4
	v_sub_u32_e32 v20, 29, v20
	v_and_b32_e32 v21, 7, v21
	v_cmp_eq_u16_e32 vcc, 0, v14
	v_cndmask_b32_e32 v11, v11, v21, vcc
	v_cndmask_b32_e32 v14, v15, v20, vcc
	v_lshlrev_b32_e32 v15, 8, v12
	v_mov_b32_e32 v20, 0x3b800000
	v_lshlrev_b32_e32 v11, 20, v11
	v_and_b32_e32 v15, 0x80000000, v15
	v_lshl_add_u32 v14, v14, 23, v20
	v_or3_b32 v14, v15, v14, v11
.LBB11_1112:
	s_or_b64 exec, exec, s[6:7]
	s_nop 0
	v_mfma_f32_16x16x4f32 a[0:3], v10, v14, a[0:3]
	s_movk_i32 s4, 0x7f
	v_cmp_gt_i16_sdwa s[6:7], v16, s4 src0_sel:BYTE_3 src1_sel:DWORD
	s_mov_b64 s[4:5], 0
                                        ; implicit-def: $sgpr10
	s_and_saveexec_b64 s[8:9], s[6:7]
	s_xor_b64 s[6:7], exec, s[8:9]
	s_cbranch_execnz .LBB11_3161
; %bb.1113:
	s_or_saveexec_b64 s[6:7], s[6:7]
	v_mov_b32_e32 v10, s10
	s_xor_b64 exec, exec, s[6:7]
	s_cbranch_execnz .LBB11_3164
.LBB11_1114:
	s_or_b64 exec, exec, s[6:7]
	s_and_saveexec_b64 s[6:7], s[4:5]
	s_cbranch_execz .LBB11_1116
.LBB11_1115:
	v_bfe_u32 v10, v16, 24, 3
	v_ffbh_u32_e32 v20, v10
	v_min_u32_e32 v20, 32, v20
	v_lshrrev_b32_e32 v14, 27, v16
	v_subrev_u32_e32 v21, 28, v20
	v_and_b32_e32 v11, 0x80000000, v16
	v_and_b32_e32 v14, 15, v14
	v_bfe_u32 v15, v16, 27, 4
	v_lshlrev_b32_sdwa v16, v21, v16 dst_sel:DWORD dst_unused:UNUSED_PAD src0_sel:DWORD src1_sel:BYTE_3
	v_sub_u32_e32 v20, 29, v20
	v_and_b32_e32 v16, 7, v16
	v_cmp_eq_u16_e32 vcc, 0, v14
	v_cndmask_b32_e32 v10, v10, v16, vcc
	v_cndmask_b32_e32 v14, v15, v20, vcc
	v_mov_b32_e32 v15, 0x3b800000
	v_lshlrev_b32_e32 v10, 20, v10
	v_lshl_add_u32 v14, v14, 23, v15
	v_or3_b32 v10, v11, v14, v10
.LBB11_1116:
	s_or_b64 exec, exec, s[6:7]
	s_movk_i32 s4, 0x7f
	v_cmp_gt_i16_sdwa s[6:7], v12, s4 src0_sel:BYTE_3 src1_sel:DWORD
	s_mov_b64 s[4:5], 0
                                        ; implicit-def: $sgpr10
	s_and_saveexec_b64 s[8:9], s[6:7]
	s_xor_b64 s[6:7], exec, s[8:9]
	s_cbranch_execnz .LBB11_3165
; %bb.1117:
	s_or_saveexec_b64 s[6:7], s[6:7]
	v_mov_b32_e32 v11, s10
	s_xor_b64 exec, exec, s[6:7]
	s_cbranch_execnz .LBB11_3168
.LBB11_1118:
	s_or_b64 exec, exec, s[6:7]
	s_and_saveexec_b64 s[6:7], s[4:5]
	s_cbranch_execz .LBB11_1120
.LBB11_1119:
	v_bfe_u32 v11, v12, 24, 3
	v_ffbh_u32_e32 v20, v11
	v_min_u32_e32 v20, 32, v20
	v_lshrrev_b32_e32 v15, 27, v12
	v_subrev_u32_e32 v21, 28, v20
	v_and_b32_e32 v14, 0x80000000, v12
	v_and_b32_e32 v15, 15, v15
	v_bfe_u32 v16, v12, 27, 4
	v_lshlrev_b32_sdwa v12, v21, v12 dst_sel:DWORD dst_unused:UNUSED_PAD src0_sel:DWORD src1_sel:BYTE_3
	v_sub_u32_e32 v20, 29, v20
	v_and_b32_e32 v12, 7, v12
	v_cmp_eq_u16_e32 vcc, 0, v15
	v_cndmask_b32_e32 v11, v11, v12, vcc
	v_cndmask_b32_e32 v12, v16, v20, vcc
	v_mov_b32_e32 v15, 0x3b800000
	v_lshlrev_b32_e32 v11, 20, v11
	v_lshl_add_u32 v12, v12, 23, v15
	v_or3_b32 v11, v14, v12, v11
.LBB11_1120:
	s_or_b64 exec, exec, s[6:7]
	s_nop 0
	v_mfma_f32_16x16x4f32 a[0:3], v10, v11, a[0:3]
	s_movk_i32 s4, 0x7f
	v_cmp_gt_i16_sdwa s[6:7], v17, s4 src0_sel:BYTE_0 src1_sel:DWORD
	s_mov_b64 s[4:5], 0
                                        ; implicit-def: $sgpr10
	s_and_saveexec_b64 s[8:9], s[6:7]
	s_xor_b64 s[6:7], exec, s[8:9]
	s_cbranch_execnz .LBB11_3169
; %bb.1121:
	s_or_saveexec_b64 s[6:7], s[6:7]
	v_mov_b32_e32 v10, s10
	s_xor_b64 exec, exec, s[6:7]
	s_cbranch_execnz .LBB11_3172
.LBB11_1122:
	s_or_b64 exec, exec, s[6:7]
	s_and_saveexec_b64 s[6:7], s[4:5]
	s_cbranch_execz .LBB11_1124
.LBB11_1123:
	v_and_b32_e32 v10, 7, v17
	v_ffbh_u32_e32 v12, v10
	v_min_u32_e32 v12, 32, v12
	v_lshrrev_b16_e32 v11, 3, v17
	v_subrev_u32_e32 v14, 28, v12
	v_and_b32_e32 v11, 15, v11
	v_lshlrev_b32_e32 v14, v14, v17
	v_sub_u32_e32 v12, 29, v12
	v_and_b32_e32 v14, 7, v14
	v_cmp_eq_u16_e32 vcc, 0, v11
	v_cndmask_b32_e32 v10, v10, v14, vcc
	v_cndmask_b32_e32 v11, v11, v12, vcc
	v_lshlrev_b32_e32 v12, 24, v17
	v_mov_b32_e32 v14, 0x3b800000
	v_lshlrev_b32_e32 v10, 20, v10
	v_and_b32_e32 v12, 0x80000000, v12
	v_lshl_add_u32 v11, v11, 23, v14
	v_or3_b32 v10, v12, v11, v10
.LBB11_1124:
	s_or_b64 exec, exec, s[6:7]
	s_movk_i32 s4, 0x7f
	v_cmp_gt_i16_sdwa s[6:7], v13, s4 src0_sel:BYTE_0 src1_sel:DWORD
	s_mov_b64 s[4:5], 0
                                        ; implicit-def: $sgpr10
	s_and_saveexec_b64 s[8:9], s[6:7]
	s_xor_b64 s[6:7], exec, s[8:9]
	s_cbranch_execnz .LBB11_3173
; %bb.1125:
	s_or_saveexec_b64 s[6:7], s[6:7]
	v_mov_b32_e32 v11, s10
	s_xor_b64 exec, exec, s[6:7]
	s_cbranch_execnz .LBB11_3176
.LBB11_1126:
	s_or_b64 exec, exec, s[6:7]
	s_and_saveexec_b64 s[6:7], s[4:5]
	s_cbranch_execz .LBB11_1128
.LBB11_1127:
	v_and_b32_e32 v11, 7, v13
	v_ffbh_u32_e32 v14, v11
	v_min_u32_e32 v14, 32, v14
	v_lshrrev_b16_e32 v12, 3, v13
	v_subrev_u32_e32 v15, 28, v14
	v_and_b32_e32 v12, 15, v12
	v_lshlrev_b32_e32 v15, v15, v13
	v_sub_u32_e32 v14, 29, v14
	v_and_b32_e32 v15, 7, v15
	v_cmp_eq_u16_e32 vcc, 0, v12
	v_cndmask_b32_e32 v11, v11, v15, vcc
	v_cndmask_b32_e32 v12, v12, v14, vcc
	v_lshlrev_b32_e32 v14, 24, v13
	v_mov_b32_e32 v15, 0x3b800000
	v_lshlrev_b32_e32 v11, 20, v11
	v_and_b32_e32 v14, 0x80000000, v14
	v_lshl_add_u32 v12, v12, 23, v15
	v_or3_b32 v11, v14, v12, v11
.LBB11_1128:
	s_or_b64 exec, exec, s[6:7]
	s_nop 0
	v_mfma_f32_16x16x4f32 a[0:3], v10, v11, a[0:3]
	v_lshrrev_b32_e32 v11, 8, v17
	s_movk_i32 s4, 0x7f
	v_cmp_gt_i16_sdwa s[6:7], v11, s4 src0_sel:BYTE_0 src1_sel:DWORD
	s_mov_b64 s[4:5], 0
                                        ; implicit-def: $sgpr10
	s_and_saveexec_b64 s[8:9], s[6:7]
	s_xor_b64 s[6:7], exec, s[8:9]
	s_cbranch_execnz .LBB11_3177
; %bb.1129:
	s_or_saveexec_b64 s[6:7], s[6:7]
	v_mov_b32_e32 v10, s10
	s_xor_b64 exec, exec, s[6:7]
	s_cbranch_execnz .LBB11_3180
.LBB11_1130:
	s_or_b64 exec, exec, s[6:7]
	s_and_saveexec_b64 s[6:7], s[4:5]
	s_cbranch_execz .LBB11_1132
.LBB11_1131:
	v_bfe_u32 v10, v17, 8, 3
	v_ffbh_u32_e32 v14, v10
	v_min_u32_e32 v14, 32, v14
	v_lshrrev_b16_e32 v12, 3, v11
	v_subrev_u32_e32 v15, 28, v14
	v_and_b32_e32 v12, 15, v12
	v_lshlrev_b32_e32 v11, v15, v11
	v_sub_u32_e32 v14, 29, v14
	v_and_b32_e32 v11, 7, v11
	v_cmp_eq_u16_e32 vcc, 0, v12
	v_cndmask_b32_e32 v10, v10, v11, vcc
	v_cndmask_b32_e32 v11, v12, v14, vcc
	v_lshlrev_b32_e32 v12, 16, v17
	v_mov_b32_e32 v14, 0x3b800000
	v_lshlrev_b32_e32 v10, 20, v10
	v_and_b32_e32 v12, 0x80000000, v12
	v_lshl_add_u32 v11, v11, 23, v14
	v_or3_b32 v10, v12, v11, v10
.LBB11_1132:
	s_or_b64 exec, exec, s[6:7]
	v_lshrrev_b32_e32 v11, 8, v13
	s_movk_i32 s4, 0x7f
	v_cmp_gt_i16_sdwa s[6:7], v11, s4 src0_sel:BYTE_0 src1_sel:DWORD
	s_mov_b64 s[4:5], 0
                                        ; implicit-def: $sgpr10
	s_and_saveexec_b64 s[8:9], s[6:7]
	s_xor_b64 s[6:7], exec, s[8:9]
	s_cbranch_execnz .LBB11_3181
; %bb.1133:
	s_or_saveexec_b64 s[6:7], s[6:7]
	v_mov_b32_e32 v12, s10
	s_xor_b64 exec, exec, s[6:7]
	s_cbranch_execnz .LBB11_3184
.LBB11_1134:
	s_or_b64 exec, exec, s[6:7]
	s_and_saveexec_b64 s[6:7], s[4:5]
	s_cbranch_execz .LBB11_1136
.LBB11_1135:
	v_bfe_u32 v12, v13, 8, 3
	v_ffbh_u32_e32 v15, v12
	v_min_u32_e32 v15, 32, v15
	v_lshrrev_b16_e32 v14, 3, v11
	v_subrev_u32_e32 v16, 28, v15
	v_and_b32_e32 v14, 15, v14
	v_lshlrev_b32_e32 v11, v16, v11
	v_sub_u32_e32 v15, 29, v15
	v_and_b32_e32 v11, 7, v11
	v_cmp_eq_u16_e32 vcc, 0, v14
	v_cndmask_b32_e32 v11, v12, v11, vcc
	v_cndmask_b32_e32 v12, v14, v15, vcc
	v_lshlrev_b32_e32 v14, 16, v13
	v_mov_b32_e32 v15, 0x3b800000
	v_lshlrev_b32_e32 v11, 20, v11
	v_and_b32_e32 v14, 0x80000000, v14
	v_lshl_add_u32 v12, v12, 23, v15
	v_or3_b32 v12, v14, v12, v11
.LBB11_1136:
	s_or_b64 exec, exec, s[6:7]
	s_nop 0
	v_mfma_f32_16x16x4f32 a[0:3], v10, v12, a[0:3]
	s_movk_i32 s4, 0xff
	v_and_b32_sdwa v11, v17, s4 dst_sel:DWORD dst_unused:UNUSED_PAD src0_sel:WORD_1 src1_sel:DWORD
	s_movk_i32 s4, 0x7f
	v_cmp_lt_i16_e32 vcc, s4, v11
	s_mov_b64 s[4:5], 0
                                        ; implicit-def: $sgpr10
	s_and_saveexec_b64 s[6:7], vcc
	s_xor_b64 s[6:7], exec, s[6:7]
	s_cbranch_execnz .LBB11_3185
; %bb.1137:
	s_or_saveexec_b64 s[6:7], s[6:7]
	v_mov_b32_e32 v10, s10
	s_xor_b64 exec, exec, s[6:7]
	s_cbranch_execnz .LBB11_3188
.LBB11_1138:
	s_or_b64 exec, exec, s[6:7]
	s_and_saveexec_b64 s[6:7], s[4:5]
	s_cbranch_execz .LBB11_1140
.LBB11_1139:
	v_bfe_u32 v10, v17, 16, 3
	v_ffbh_u32_e32 v14, v10
	v_min_u32_e32 v14, 32, v14
	v_lshrrev_b32_e32 v11, 19, v17
	v_subrev_u32_e32 v15, 28, v14
	v_and_b32_e32 v11, 15, v11
	v_lshlrev_b32_sdwa v15, v15, v17 dst_sel:DWORD dst_unused:UNUSED_PAD src0_sel:DWORD src1_sel:WORD_1
	v_bfe_u32 v12, v17, 19, 4
	v_sub_u32_e32 v14, 29, v14
	v_and_b32_e32 v15, 7, v15
	v_cmp_eq_u16_e32 vcc, 0, v11
	v_cndmask_b32_e32 v10, v10, v15, vcc
	v_cndmask_b32_e32 v11, v12, v14, vcc
	v_lshlrev_b32_e32 v12, 8, v17
	v_mov_b32_e32 v14, 0x3b800000
	v_lshlrev_b32_e32 v10, 20, v10
	v_and_b32_e32 v12, 0x80000000, v12
	v_lshl_add_u32 v11, v11, 23, v14
	v_or3_b32 v10, v12, v11, v10
.LBB11_1140:
	s_or_b64 exec, exec, s[6:7]
	s_movk_i32 s4, 0xff
	v_and_b32_sdwa v11, v13, s4 dst_sel:DWORD dst_unused:UNUSED_PAD src0_sel:WORD_1 src1_sel:DWORD
	s_movk_i32 s4, 0x7f
	v_cmp_lt_i16_e32 vcc, s4, v11
	s_mov_b64 s[4:5], 0
                                        ; implicit-def: $sgpr10
	s_and_saveexec_b64 s[6:7], vcc
	s_xor_b64 s[6:7], exec, s[6:7]
	s_cbranch_execnz .LBB11_3189
; %bb.1141:
	s_or_saveexec_b64 s[6:7], s[6:7]
	v_mov_b32_e32 v12, s10
	s_xor_b64 exec, exec, s[6:7]
	s_cbranch_execnz .LBB11_3192
.LBB11_1142:
	s_or_b64 exec, exec, s[6:7]
	s_and_saveexec_b64 s[6:7], s[4:5]
	s_cbranch_execz .LBB11_1144
.LBB11_1143:
	v_bfe_u32 v11, v13, 16, 3
	v_ffbh_u32_e32 v15, v11
	v_min_u32_e32 v15, 32, v15
	v_lshrrev_b32_e32 v12, 19, v13
	v_subrev_u32_e32 v16, 28, v15
	v_and_b32_e32 v12, 15, v12
	v_lshlrev_b32_sdwa v16, v16, v13 dst_sel:DWORD dst_unused:UNUSED_PAD src0_sel:DWORD src1_sel:WORD_1
	v_bfe_u32 v14, v13, 19, 4
	v_sub_u32_e32 v15, 29, v15
	v_and_b32_e32 v16, 7, v16
	v_cmp_eq_u16_e32 vcc, 0, v12
	v_cndmask_b32_e32 v11, v11, v16, vcc
	v_cndmask_b32_e32 v12, v14, v15, vcc
	v_lshlrev_b32_e32 v14, 8, v13
	v_mov_b32_e32 v15, 0x3b800000
	v_lshlrev_b32_e32 v11, 20, v11
	v_and_b32_e32 v14, 0x80000000, v14
	v_lshl_add_u32 v12, v12, 23, v15
	v_or3_b32 v12, v14, v12, v11
.LBB11_1144:
	s_or_b64 exec, exec, s[6:7]
	s_nop 0
	v_mfma_f32_16x16x4f32 a[0:3], v10, v12, a[0:3]
	s_movk_i32 s4, 0x7f
	v_cmp_gt_i16_sdwa s[6:7], v17, s4 src0_sel:BYTE_3 src1_sel:DWORD
	s_mov_b64 s[4:5], 0
                                        ; implicit-def: $sgpr10
	s_and_saveexec_b64 s[8:9], s[6:7]
	s_xor_b64 s[6:7], exec, s[8:9]
	s_cbranch_execnz .LBB11_3193
; %bb.1145:
	s_or_saveexec_b64 s[6:7], s[6:7]
	v_mov_b32_e32 v10, s10
	s_xor_b64 exec, exec, s[6:7]
	s_cbranch_execnz .LBB11_3196
.LBB11_1146:
	s_or_b64 exec, exec, s[6:7]
	s_and_saveexec_b64 s[6:7], s[4:5]
	s_cbranch_execz .LBB11_1148
.LBB11_1147:
	v_bfe_u32 v10, v17, 24, 3
	v_ffbh_u32_e32 v15, v10
	v_min_u32_e32 v15, 32, v15
	v_lshrrev_b32_e32 v12, 27, v17
	v_subrev_u32_e32 v16, 28, v15
	v_and_b32_e32 v12, 15, v12
	v_lshlrev_b32_sdwa v16, v16, v17 dst_sel:DWORD dst_unused:UNUSED_PAD src0_sel:DWORD src1_sel:BYTE_3
	v_bfe_u32 v14, v17, 27, 4
	v_sub_u32_e32 v15, 29, v15
	v_and_b32_e32 v16, 7, v16
	v_cmp_eq_u16_e32 vcc, 0, v12
	v_cndmask_b32_e32 v10, v10, v16, vcc
	v_cndmask_b32_e32 v12, v14, v15, vcc
	v_mov_b32_e32 v14, 0x3b800000
	v_and_b32_e32 v11, 0x80000000, v17
	v_lshlrev_b32_e32 v10, 20, v10
	v_lshl_add_u32 v12, v12, 23, v14
	v_or3_b32 v10, v11, v12, v10
.LBB11_1148:
	s_or_b64 exec, exec, s[6:7]
	s_movk_i32 s4, 0x7f
	v_cmp_gt_i16_sdwa s[6:7], v13, s4 src0_sel:BYTE_3 src1_sel:DWORD
	s_mov_b64 s[4:5], 0
                                        ; implicit-def: $sgpr10
	s_and_saveexec_b64 s[8:9], s[6:7]
	s_xor_b64 s[6:7], exec, s[8:9]
	s_cbranch_execnz .LBB11_3197
; %bb.1149:
	s_or_saveexec_b64 s[6:7], s[6:7]
	v_mov_b32_e32 v11, s10
	s_xor_b64 exec, exec, s[6:7]
	s_cbranch_execnz .LBB11_3200
.LBB11_1150:
	s_or_b64 exec, exec, s[6:7]
	s_and_saveexec_b64 s[6:7], s[4:5]
	s_cbranch_execz .LBB11_1152
.LBB11_1151:
	v_bfe_u32 v11, v13, 24, 3
	v_ffbh_u32_e32 v16, v11
	v_min_u32_e32 v16, 32, v16
	v_lshrrev_b32_e32 v14, 27, v13
	v_subrev_u32_e32 v17, 28, v16
	v_and_b32_e32 v12, 0x80000000, v13
	v_and_b32_e32 v14, 15, v14
	v_bfe_u32 v15, v13, 27, 4
	v_lshlrev_b32_sdwa v13, v17, v13 dst_sel:DWORD dst_unused:UNUSED_PAD src0_sel:DWORD src1_sel:BYTE_3
	v_sub_u32_e32 v16, 29, v16
	v_and_b32_e32 v13, 7, v13
	v_cmp_eq_u16_e32 vcc, 0, v14
	v_cndmask_b32_e32 v11, v11, v13, vcc
	v_cndmask_b32_e32 v13, v15, v16, vcc
	v_mov_b32_e32 v14, 0x3b800000
	v_lshlrev_b32_e32 v11, 20, v11
	v_lshl_add_u32 v13, v13, 23, v14
	v_or3_b32 v11, v12, v13, v11
.LBB11_1152:
	s_or_b64 exec, exec, s[6:7]
	s_nop 0
	v_mfma_f32_16x16x4f32 a[0:3], v10, v11, a[0:3]
	s_movk_i32 s4, 0x7f
	v_cmp_gt_i16_sdwa s[6:7], v6, s4 src0_sel:BYTE_0 src1_sel:DWORD
	s_mov_b64 s[4:5], 0
                                        ; implicit-def: $sgpr10
	s_and_saveexec_b64 s[8:9], s[6:7]
	s_xor_b64 s[6:7], exec, s[8:9]
	s_cbranch_execnz .LBB11_3201
; %bb.1153:
	s_or_saveexec_b64 s[6:7], s[6:7]
	v_mov_b32_e32 v10, s10
	s_xor_b64 exec, exec, s[6:7]
	s_cbranch_execnz .LBB11_3204
.LBB11_1154:
	s_or_b64 exec, exec, s[6:7]
	s_and_saveexec_b64 s[6:7], s[4:5]
	s_cbranch_execz .LBB11_1156
.LBB11_1155:
	v_and_b32_e32 v10, 7, v6
	v_ffbh_u32_e32 v12, v10
	v_min_u32_e32 v12, 32, v12
	v_lshrrev_b16_e32 v11, 3, v6
	v_subrev_u32_e32 v13, 28, v12
	v_and_b32_e32 v11, 15, v11
	v_lshlrev_b32_e32 v13, v13, v6
	v_sub_u32_e32 v12, 29, v12
	v_and_b32_e32 v13, 7, v13
	v_cmp_eq_u16_e32 vcc, 0, v11
	v_cndmask_b32_e32 v10, v10, v13, vcc
	v_cndmask_b32_e32 v11, v11, v12, vcc
	v_lshlrev_b32_e32 v12, 24, v6
	v_mov_b32_e32 v13, 0x3b800000
	v_lshlrev_b32_e32 v10, 20, v10
	v_and_b32_e32 v12, 0x80000000, v12
	v_lshl_add_u32 v11, v11, 23, v13
	v_or3_b32 v10, v12, v11, v10
.LBB11_1156:
	s_or_b64 exec, exec, s[6:7]
	s_movk_i32 s4, 0x7f
	v_cmp_gt_i16_sdwa s[6:7], v2, s4 src0_sel:BYTE_0 src1_sel:DWORD
	s_mov_b64 s[4:5], 0
                                        ; implicit-def: $sgpr10
	s_and_saveexec_b64 s[8:9], s[6:7]
	s_xor_b64 s[6:7], exec, s[8:9]
	s_cbranch_execnz .LBB11_3205
; %bb.1157:
	s_or_saveexec_b64 s[6:7], s[6:7]
	v_mov_b32_e32 v11, s10
	s_xor_b64 exec, exec, s[6:7]
	s_cbranch_execnz .LBB11_3208
.LBB11_1158:
	s_or_b64 exec, exec, s[6:7]
	s_and_saveexec_b64 s[6:7], s[4:5]
	s_cbranch_execz .LBB11_1160
.LBB11_1159:
	v_and_b32_e32 v11, 7, v2
	v_ffbh_u32_e32 v13, v11
	v_min_u32_e32 v13, 32, v13
	v_lshrrev_b16_e32 v12, 3, v2
	v_subrev_u32_e32 v14, 28, v13
	v_and_b32_e32 v12, 15, v12
	v_lshlrev_b32_e32 v14, v14, v2
	v_sub_u32_e32 v13, 29, v13
	v_and_b32_e32 v14, 7, v14
	v_cmp_eq_u16_e32 vcc, 0, v12
	v_cndmask_b32_e32 v11, v11, v14, vcc
	v_cndmask_b32_e32 v12, v12, v13, vcc
	v_lshlrev_b32_e32 v13, 24, v2
	v_mov_b32_e32 v14, 0x3b800000
	v_lshlrev_b32_e32 v11, 20, v11
	v_and_b32_e32 v13, 0x80000000, v13
	v_lshl_add_u32 v12, v12, 23, v14
	v_or3_b32 v11, v13, v12, v11
.LBB11_1160:
	s_or_b64 exec, exec, s[6:7]
	s_nop 0
	v_mfma_f32_16x16x4f32 a[0:3], v10, v11, a[0:3]
	v_lshrrev_b32_e32 v11, 8, v6
	s_movk_i32 s4, 0x7f
	v_cmp_gt_i16_sdwa s[6:7], v11, s4 src0_sel:BYTE_0 src1_sel:DWORD
	s_mov_b64 s[4:5], 0
                                        ; implicit-def: $sgpr10
	s_and_saveexec_b64 s[8:9], s[6:7]
	s_xor_b64 s[6:7], exec, s[8:9]
	s_cbranch_execnz .LBB11_3209
; %bb.1161:
	s_or_saveexec_b64 s[6:7], s[6:7]
	v_mov_b32_e32 v10, s10
	s_xor_b64 exec, exec, s[6:7]
	s_cbranch_execnz .LBB11_3212
.LBB11_1162:
	s_or_b64 exec, exec, s[6:7]
	s_and_saveexec_b64 s[6:7], s[4:5]
	s_cbranch_execz .LBB11_1164
.LBB11_1163:
	v_bfe_u32 v10, v6, 8, 3
	v_ffbh_u32_e32 v13, v10
	v_min_u32_e32 v13, 32, v13
	v_lshrrev_b16_e32 v12, 3, v11
	v_subrev_u32_e32 v14, 28, v13
	v_and_b32_e32 v12, 15, v12
	v_lshlrev_b32_e32 v11, v14, v11
	v_sub_u32_e32 v13, 29, v13
	v_and_b32_e32 v11, 7, v11
	v_cmp_eq_u16_e32 vcc, 0, v12
	v_cndmask_b32_e32 v10, v10, v11, vcc
	v_cndmask_b32_e32 v11, v12, v13, vcc
	v_lshlrev_b32_e32 v12, 16, v6
	v_mov_b32_e32 v13, 0x3b800000
	v_lshlrev_b32_e32 v10, 20, v10
	v_and_b32_e32 v12, 0x80000000, v12
	v_lshl_add_u32 v11, v11, 23, v13
	v_or3_b32 v10, v12, v11, v10
.LBB11_1164:
	s_or_b64 exec, exec, s[6:7]
	v_lshrrev_b32_e32 v11, 8, v2
	s_movk_i32 s4, 0x7f
	v_cmp_gt_i16_sdwa s[6:7], v11, s4 src0_sel:BYTE_0 src1_sel:DWORD
	s_mov_b64 s[4:5], 0
                                        ; implicit-def: $sgpr10
	s_and_saveexec_b64 s[8:9], s[6:7]
	s_xor_b64 s[6:7], exec, s[8:9]
	s_cbranch_execnz .LBB11_3213
; %bb.1165:
	s_or_saveexec_b64 s[6:7], s[6:7]
	v_mov_b32_e32 v12, s10
	s_xor_b64 exec, exec, s[6:7]
	s_cbranch_execnz .LBB11_3216
.LBB11_1166:
	s_or_b64 exec, exec, s[6:7]
	s_and_saveexec_b64 s[6:7], s[4:5]
	s_cbranch_execz .LBB11_1168
.LBB11_1167:
	v_bfe_u32 v12, v2, 8, 3
	v_ffbh_u32_e32 v14, v12
	v_min_u32_e32 v14, 32, v14
	v_lshrrev_b16_e32 v13, 3, v11
	v_subrev_u32_e32 v15, 28, v14
	v_and_b32_e32 v13, 15, v13
	v_lshlrev_b32_e32 v11, v15, v11
	v_sub_u32_e32 v14, 29, v14
	v_and_b32_e32 v11, 7, v11
	v_cmp_eq_u16_e32 vcc, 0, v13
	v_cndmask_b32_e32 v11, v12, v11, vcc
	v_cndmask_b32_e32 v12, v13, v14, vcc
	v_lshlrev_b32_e32 v13, 16, v2
	v_mov_b32_e32 v14, 0x3b800000
	v_lshlrev_b32_e32 v11, 20, v11
	v_and_b32_e32 v13, 0x80000000, v13
	v_lshl_add_u32 v12, v12, 23, v14
	v_or3_b32 v12, v13, v12, v11
.LBB11_1168:
	s_or_b64 exec, exec, s[6:7]
	s_nop 0
	v_mfma_f32_16x16x4f32 a[0:3], v10, v12, a[0:3]
	s_movk_i32 s4, 0xff
	v_and_b32_sdwa v11, v6, s4 dst_sel:DWORD dst_unused:UNUSED_PAD src0_sel:WORD_1 src1_sel:DWORD
	s_movk_i32 s4, 0x7f
	v_cmp_lt_i16_e32 vcc, s4, v11
	s_mov_b64 s[4:5], 0
                                        ; implicit-def: $sgpr10
	s_and_saveexec_b64 s[6:7], vcc
	s_xor_b64 s[6:7], exec, s[6:7]
	s_cbranch_execnz .LBB11_3217
; %bb.1169:
	s_or_saveexec_b64 s[6:7], s[6:7]
	v_mov_b32_e32 v10, s10
	s_xor_b64 exec, exec, s[6:7]
	s_cbranch_execnz .LBB11_3220
.LBB11_1170:
	s_or_b64 exec, exec, s[6:7]
	s_and_saveexec_b64 s[6:7], s[4:5]
	s_cbranch_execz .LBB11_1172
.LBB11_1171:
	v_bfe_u32 v10, v6, 16, 3
	v_ffbh_u32_e32 v13, v10
	v_min_u32_e32 v13, 32, v13
	v_lshrrev_b32_e32 v11, 19, v6
	v_subrev_u32_e32 v14, 28, v13
	v_and_b32_e32 v11, 15, v11
	v_lshlrev_b32_sdwa v14, v14, v6 dst_sel:DWORD dst_unused:UNUSED_PAD src0_sel:DWORD src1_sel:WORD_1
	v_bfe_u32 v12, v6, 19, 4
	v_sub_u32_e32 v13, 29, v13
	v_and_b32_e32 v14, 7, v14
	v_cmp_eq_u16_e32 vcc, 0, v11
	v_cndmask_b32_e32 v10, v10, v14, vcc
	v_cndmask_b32_e32 v11, v12, v13, vcc
	v_lshlrev_b32_e32 v12, 8, v6
	v_mov_b32_e32 v13, 0x3b800000
	v_lshlrev_b32_e32 v10, 20, v10
	v_and_b32_e32 v12, 0x80000000, v12
	v_lshl_add_u32 v11, v11, 23, v13
	v_or3_b32 v10, v12, v11, v10
.LBB11_1172:
	s_or_b64 exec, exec, s[6:7]
	s_movk_i32 s4, 0xff
	v_and_b32_sdwa v11, v2, s4 dst_sel:DWORD dst_unused:UNUSED_PAD src0_sel:WORD_1 src1_sel:DWORD
	s_movk_i32 s4, 0x7f
	v_cmp_lt_i16_e32 vcc, s4, v11
	s_mov_b64 s[4:5], 0
                                        ; implicit-def: $sgpr10
	s_and_saveexec_b64 s[6:7], vcc
	s_xor_b64 s[6:7], exec, s[6:7]
	s_cbranch_execnz .LBB11_3221
; %bb.1173:
	s_or_saveexec_b64 s[6:7], s[6:7]
	v_mov_b32_e32 v12, s10
	s_xor_b64 exec, exec, s[6:7]
	s_cbranch_execnz .LBB11_3224
.LBB11_1174:
	s_or_b64 exec, exec, s[6:7]
	s_and_saveexec_b64 s[6:7], s[4:5]
	s_cbranch_execz .LBB11_1176
.LBB11_1175:
	v_bfe_u32 v11, v2, 16, 3
	v_ffbh_u32_e32 v14, v11
	v_min_u32_e32 v14, 32, v14
	v_lshrrev_b32_e32 v12, 19, v2
	v_subrev_u32_e32 v15, 28, v14
	v_and_b32_e32 v12, 15, v12
	v_lshlrev_b32_sdwa v15, v15, v2 dst_sel:DWORD dst_unused:UNUSED_PAD src0_sel:DWORD src1_sel:WORD_1
	v_bfe_u32 v13, v2, 19, 4
	v_sub_u32_e32 v14, 29, v14
	v_and_b32_e32 v15, 7, v15
	v_cmp_eq_u16_e32 vcc, 0, v12
	v_cndmask_b32_e32 v11, v11, v15, vcc
	v_cndmask_b32_e32 v12, v13, v14, vcc
	v_lshlrev_b32_e32 v13, 8, v2
	v_mov_b32_e32 v14, 0x3b800000
	v_lshlrev_b32_e32 v11, 20, v11
	v_and_b32_e32 v13, 0x80000000, v13
	v_lshl_add_u32 v12, v12, 23, v14
	v_or3_b32 v12, v13, v12, v11
.LBB11_1176:
	s_or_b64 exec, exec, s[6:7]
	s_nop 0
	v_mfma_f32_16x16x4f32 a[0:3], v10, v12, a[0:3]
	s_movk_i32 s4, 0x7f
	v_cmp_gt_i16_sdwa s[6:7], v6, s4 src0_sel:BYTE_3 src1_sel:DWORD
	s_mov_b64 s[4:5], 0
                                        ; implicit-def: $sgpr10
	s_and_saveexec_b64 s[8:9], s[6:7]
	s_xor_b64 s[6:7], exec, s[8:9]
	s_cbranch_execnz .LBB11_3225
; %bb.1177:
	s_or_saveexec_b64 s[6:7], s[6:7]
	v_mov_b32_e32 v10, s10
	s_xor_b64 exec, exec, s[6:7]
	s_cbranch_execnz .LBB11_3228
.LBB11_1178:
	s_or_b64 exec, exec, s[6:7]
	s_and_saveexec_b64 s[6:7], s[4:5]
	s_cbranch_execz .LBB11_1180
.LBB11_1179:
	v_bfe_u32 v10, v6, 24, 3
	v_ffbh_u32_e32 v14, v10
	v_min_u32_e32 v14, 32, v14
	v_lshrrev_b32_e32 v12, 27, v6
	v_subrev_u32_e32 v15, 28, v14
	v_and_b32_e32 v11, 0x80000000, v6
	v_and_b32_e32 v12, 15, v12
	v_bfe_u32 v13, v6, 27, 4
	v_lshlrev_b32_sdwa v6, v15, v6 dst_sel:DWORD dst_unused:UNUSED_PAD src0_sel:DWORD src1_sel:BYTE_3
	v_sub_u32_e32 v14, 29, v14
	v_and_b32_e32 v6, 7, v6
	v_cmp_eq_u16_e32 vcc, 0, v12
	v_cndmask_b32_e32 v6, v10, v6, vcc
	v_cndmask_b32_e32 v10, v13, v14, vcc
	v_mov_b32_e32 v12, 0x3b800000
	v_lshlrev_b32_e32 v6, 20, v6
	v_lshl_add_u32 v10, v10, 23, v12
	v_or3_b32 v10, v11, v10, v6
.LBB11_1180:
	s_or_b64 exec, exec, s[6:7]
	s_movk_i32 s4, 0x7f
	v_cmp_gt_i16_sdwa s[6:7], v2, s4 src0_sel:BYTE_3 src1_sel:DWORD
	s_mov_b64 s[4:5], 0
                                        ; implicit-def: $sgpr10
	s_and_saveexec_b64 s[8:9], s[6:7]
	s_xor_b64 s[6:7], exec, s[8:9]
	s_cbranch_execnz .LBB11_3229
; %bb.1181:
	s_or_saveexec_b64 s[6:7], s[6:7]
	v_mov_b32_e32 v6, s10
	s_xor_b64 exec, exec, s[6:7]
	s_cbranch_execnz .LBB11_3232
.LBB11_1182:
	s_or_b64 exec, exec, s[6:7]
	s_and_saveexec_b64 s[6:7], s[4:5]
	s_cbranch_execz .LBB11_1184
.LBB11_1183:
	v_bfe_u32 v6, v2, 24, 3
	v_ffbh_u32_e32 v14, v6
	v_min_u32_e32 v14, 32, v14
	v_lshrrev_b32_e32 v12, 27, v2
	v_subrev_u32_e32 v15, 28, v14
	v_and_b32_e32 v11, 0x80000000, v2
	v_and_b32_e32 v12, 15, v12
	v_bfe_u32 v13, v2, 27, 4
	v_lshlrev_b32_sdwa v2, v15, v2 dst_sel:DWORD dst_unused:UNUSED_PAD src0_sel:DWORD src1_sel:BYTE_3
	v_sub_u32_e32 v14, 29, v14
	v_and_b32_e32 v2, 7, v2
	v_cmp_eq_u16_e32 vcc, 0, v12
	v_cndmask_b32_e32 v2, v6, v2, vcc
	v_cndmask_b32_e32 v6, v13, v14, vcc
	v_mov_b32_e32 v12, 0x3b800000
	v_lshlrev_b32_e32 v2, 20, v2
	v_lshl_add_u32 v6, v6, 23, v12
	v_or3_b32 v6, v11, v6, v2
.LBB11_1184:
	s_or_b64 exec, exec, s[6:7]
	s_nop 0
	v_mfma_f32_16x16x4f32 a[0:3], v10, v6, a[0:3]
	s_movk_i32 s4, 0x7f
	v_cmp_gt_i16_sdwa s[6:7], v7, s4 src0_sel:BYTE_0 src1_sel:DWORD
	s_mov_b64 s[4:5], 0
                                        ; implicit-def: $sgpr10
	s_and_saveexec_b64 s[8:9], s[6:7]
	s_xor_b64 s[6:7], exec, s[8:9]
	s_cbranch_execnz .LBB11_3233
; %bb.1185:
	s_or_saveexec_b64 s[6:7], s[6:7]
	v_mov_b32_e32 v2, s10
	s_xor_b64 exec, exec, s[6:7]
	s_cbranch_execnz .LBB11_3236
.LBB11_1186:
	s_or_b64 exec, exec, s[6:7]
	s_and_saveexec_b64 s[6:7], s[4:5]
	s_cbranch_execz .LBB11_1188
.LBB11_1187:
	v_and_b32_e32 v2, 7, v7
	v_ffbh_u32_e32 v10, v2
	v_min_u32_e32 v10, 32, v10
	v_lshrrev_b16_e32 v6, 3, v7
	v_subrev_u32_e32 v11, 28, v10
	v_and_b32_e32 v6, 15, v6
	v_lshlrev_b32_e32 v11, v11, v7
	v_sub_u32_e32 v10, 29, v10
	v_and_b32_e32 v11, 7, v11
	v_cmp_eq_u16_e32 vcc, 0, v6
	v_cndmask_b32_e32 v2, v2, v11, vcc
	v_cndmask_b32_e32 v6, v6, v10, vcc
	v_lshlrev_b32_e32 v10, 24, v7
	v_mov_b32_e32 v11, 0x3b800000
	v_lshlrev_b32_e32 v2, 20, v2
	v_and_b32_e32 v10, 0x80000000, v10
	v_lshl_add_u32 v6, v6, 23, v11
	v_or3_b32 v2, v10, v6, v2
.LBB11_1188:
	s_or_b64 exec, exec, s[6:7]
	s_movk_i32 s4, 0x7f
	v_cmp_gt_i16_sdwa s[6:7], v3, s4 src0_sel:BYTE_0 src1_sel:DWORD
	s_mov_b64 s[4:5], 0
                                        ; implicit-def: $sgpr10
	s_and_saveexec_b64 s[8:9], s[6:7]
	s_xor_b64 s[6:7], exec, s[8:9]
	s_cbranch_execnz .LBB11_3237
; %bb.1189:
	s_or_saveexec_b64 s[6:7], s[6:7]
	v_mov_b32_e32 v6, s10
	s_xor_b64 exec, exec, s[6:7]
	s_cbranch_execnz .LBB11_3240
.LBB11_1190:
	s_or_b64 exec, exec, s[6:7]
	s_and_saveexec_b64 s[6:7], s[4:5]
	s_cbranch_execz .LBB11_1192
.LBB11_1191:
	v_and_b32_e32 v6, 7, v3
	v_ffbh_u32_e32 v11, v6
	v_min_u32_e32 v11, 32, v11
	v_lshrrev_b16_e32 v10, 3, v3
	v_subrev_u32_e32 v12, 28, v11
	v_and_b32_e32 v10, 15, v10
	v_lshlrev_b32_e32 v12, v12, v3
	v_sub_u32_e32 v11, 29, v11
	v_and_b32_e32 v12, 7, v12
	v_cmp_eq_u16_e32 vcc, 0, v10
	v_cndmask_b32_e32 v6, v6, v12, vcc
	v_cndmask_b32_e32 v10, v10, v11, vcc
	v_lshlrev_b32_e32 v11, 24, v3
	v_mov_b32_e32 v12, 0x3b800000
	v_lshlrev_b32_e32 v6, 20, v6
	v_and_b32_e32 v11, 0x80000000, v11
	v_lshl_add_u32 v10, v10, 23, v12
	v_or3_b32 v6, v11, v10, v6
.LBB11_1192:
	s_or_b64 exec, exec, s[6:7]
	s_nop 0
	v_mfma_f32_16x16x4f32 a[0:3], v2, v6, a[0:3]
	v_lshrrev_b32_e32 v6, 8, v7
	s_movk_i32 s4, 0x7f
	v_cmp_gt_i16_sdwa s[6:7], v6, s4 src0_sel:BYTE_0 src1_sel:DWORD
	s_mov_b64 s[4:5], 0
                                        ; implicit-def: $sgpr10
	s_and_saveexec_b64 s[8:9], s[6:7]
	s_xor_b64 s[6:7], exec, s[8:9]
	s_cbranch_execnz .LBB11_3241
; %bb.1193:
	s_or_saveexec_b64 s[6:7], s[6:7]
	v_mov_b32_e32 v2, s10
	s_xor_b64 exec, exec, s[6:7]
	s_cbranch_execnz .LBB11_3244
.LBB11_1194:
	s_or_b64 exec, exec, s[6:7]
	s_and_saveexec_b64 s[6:7], s[4:5]
	s_cbranch_execz .LBB11_1196
.LBB11_1195:
	v_bfe_u32 v2, v7, 8, 3
	v_ffbh_u32_e32 v11, v2
	v_min_u32_e32 v11, 32, v11
	v_lshrrev_b16_e32 v10, 3, v6
	v_subrev_u32_e32 v12, 28, v11
	v_and_b32_e32 v10, 15, v10
	v_lshlrev_b32_e32 v6, v12, v6
	v_sub_u32_e32 v11, 29, v11
	v_and_b32_e32 v6, 7, v6
	v_cmp_eq_u16_e32 vcc, 0, v10
	v_cndmask_b32_e32 v2, v2, v6, vcc
	v_cndmask_b32_e32 v6, v10, v11, vcc
	v_lshlrev_b32_e32 v10, 16, v7
	v_mov_b32_e32 v11, 0x3b800000
	v_lshlrev_b32_e32 v2, 20, v2
	v_and_b32_e32 v10, 0x80000000, v10
	v_lshl_add_u32 v6, v6, 23, v11
	v_or3_b32 v2, v10, v6, v2
.LBB11_1196:
	s_or_b64 exec, exec, s[6:7]
	v_lshrrev_b32_e32 v6, 8, v3
	s_movk_i32 s4, 0x7f
	v_cmp_gt_i16_sdwa s[6:7], v6, s4 src0_sel:BYTE_0 src1_sel:DWORD
	s_mov_b64 s[4:5], 0
                                        ; implicit-def: $sgpr10
	s_and_saveexec_b64 s[8:9], s[6:7]
	s_xor_b64 s[6:7], exec, s[8:9]
	s_cbranch_execnz .LBB11_3245
; %bb.1197:
	s_or_saveexec_b64 s[6:7], s[6:7]
	v_mov_b32_e32 v10, s10
	s_xor_b64 exec, exec, s[6:7]
	s_cbranch_execnz .LBB11_3248
.LBB11_1198:
	s_or_b64 exec, exec, s[6:7]
	s_and_saveexec_b64 s[6:7], s[4:5]
	s_cbranch_execz .LBB11_1200
.LBB11_1199:
	v_bfe_u32 v10, v3, 8, 3
	v_ffbh_u32_e32 v12, v10
	v_min_u32_e32 v12, 32, v12
	v_lshrrev_b16_e32 v11, 3, v6
	v_subrev_u32_e32 v13, 28, v12
	v_and_b32_e32 v11, 15, v11
	v_lshlrev_b32_e32 v6, v13, v6
	v_sub_u32_e32 v12, 29, v12
	v_and_b32_e32 v6, 7, v6
	v_cmp_eq_u16_e32 vcc, 0, v11
	v_cndmask_b32_e32 v6, v10, v6, vcc
	v_cndmask_b32_e32 v10, v11, v12, vcc
	v_lshlrev_b32_e32 v11, 16, v3
	v_mov_b32_e32 v12, 0x3b800000
	v_lshlrev_b32_e32 v6, 20, v6
	v_and_b32_e32 v11, 0x80000000, v11
	v_lshl_add_u32 v10, v10, 23, v12
	v_or3_b32 v10, v11, v10, v6
.LBB11_1200:
	s_or_b64 exec, exec, s[6:7]
	s_nop 0
	v_mfma_f32_16x16x4f32 a[0:3], v2, v10, a[0:3]
	s_movk_i32 s4, 0xff
	v_and_b32_sdwa v6, v7, s4 dst_sel:DWORD dst_unused:UNUSED_PAD src0_sel:WORD_1 src1_sel:DWORD
	s_movk_i32 s4, 0x7f
	v_cmp_lt_i16_e32 vcc, s4, v6
	s_mov_b64 s[4:5], 0
                                        ; implicit-def: $sgpr10
	s_and_saveexec_b64 s[6:7], vcc
	s_xor_b64 s[6:7], exec, s[6:7]
	s_cbranch_execnz .LBB11_3249
; %bb.1201:
	s_or_saveexec_b64 s[6:7], s[6:7]
	v_mov_b32_e32 v2, s10
	s_xor_b64 exec, exec, s[6:7]
	s_cbranch_execnz .LBB11_3252
.LBB11_1202:
	s_or_b64 exec, exec, s[6:7]
	s_and_saveexec_b64 s[6:7], s[4:5]
	s_cbranch_execz .LBB11_1204
.LBB11_1203:
	v_bfe_u32 v2, v7, 16, 3
	v_ffbh_u32_e32 v11, v2
	v_min_u32_e32 v11, 32, v11
	v_lshrrev_b32_e32 v6, 19, v7
	v_subrev_u32_e32 v12, 28, v11
	v_and_b32_e32 v6, 15, v6
	v_lshlrev_b32_sdwa v12, v12, v7 dst_sel:DWORD dst_unused:UNUSED_PAD src0_sel:DWORD src1_sel:WORD_1
	v_bfe_u32 v10, v7, 19, 4
	v_sub_u32_e32 v11, 29, v11
	v_and_b32_e32 v12, 7, v12
	v_cmp_eq_u16_e32 vcc, 0, v6
	v_cndmask_b32_e32 v2, v2, v12, vcc
	v_cndmask_b32_e32 v6, v10, v11, vcc
	v_lshlrev_b32_e32 v10, 8, v7
	v_mov_b32_e32 v11, 0x3b800000
	v_lshlrev_b32_e32 v2, 20, v2
	v_and_b32_e32 v10, 0x80000000, v10
	v_lshl_add_u32 v6, v6, 23, v11
	v_or3_b32 v2, v10, v6, v2
.LBB11_1204:
	s_or_b64 exec, exec, s[6:7]
	s_movk_i32 s4, 0xff
	v_and_b32_sdwa v6, v3, s4 dst_sel:DWORD dst_unused:UNUSED_PAD src0_sel:WORD_1 src1_sel:DWORD
	s_movk_i32 s4, 0x7f
	v_cmp_lt_i16_e32 vcc, s4, v6
	s_mov_b64 s[4:5], 0
                                        ; implicit-def: $sgpr10
	s_and_saveexec_b64 s[6:7], vcc
	s_xor_b64 s[6:7], exec, s[6:7]
	s_cbranch_execnz .LBB11_3253
; %bb.1205:
	s_or_saveexec_b64 s[6:7], s[6:7]
	v_mov_b32_e32 v10, s10
	s_xor_b64 exec, exec, s[6:7]
	s_cbranch_execnz .LBB11_3256
.LBB11_1206:
	s_or_b64 exec, exec, s[6:7]
	s_and_saveexec_b64 s[6:7], s[4:5]
	s_cbranch_execz .LBB11_1208
.LBB11_1207:
	v_bfe_u32 v6, v3, 16, 3
	v_ffbh_u32_e32 v12, v6
	v_min_u32_e32 v12, 32, v12
	v_lshrrev_b32_e32 v10, 19, v3
	v_subrev_u32_e32 v13, 28, v12
	v_and_b32_e32 v10, 15, v10
	v_lshlrev_b32_sdwa v13, v13, v3 dst_sel:DWORD dst_unused:UNUSED_PAD src0_sel:DWORD src1_sel:WORD_1
	v_bfe_u32 v11, v3, 19, 4
	v_sub_u32_e32 v12, 29, v12
	v_and_b32_e32 v13, 7, v13
	v_cmp_eq_u16_e32 vcc, 0, v10
	v_cndmask_b32_e32 v6, v6, v13, vcc
	v_cndmask_b32_e32 v10, v11, v12, vcc
	v_lshlrev_b32_e32 v11, 8, v3
	v_mov_b32_e32 v12, 0x3b800000
	v_lshlrev_b32_e32 v6, 20, v6
	v_and_b32_e32 v11, 0x80000000, v11
	v_lshl_add_u32 v10, v10, 23, v12
	v_or3_b32 v10, v11, v10, v6
.LBB11_1208:
	s_or_b64 exec, exec, s[6:7]
	s_nop 0
	v_mfma_f32_16x16x4f32 a[0:3], v2, v10, a[0:3]
	s_movk_i32 s4, 0x7f
	v_cmp_gt_i16_sdwa s[6:7], v7, s4 src0_sel:BYTE_3 src1_sel:DWORD
	s_mov_b64 s[4:5], 0
                                        ; implicit-def: $sgpr10
	s_and_saveexec_b64 s[8:9], s[6:7]
	s_xor_b64 s[6:7], exec, s[8:9]
	s_cbranch_execnz .LBB11_3257
; %bb.1209:
	s_or_saveexec_b64 s[6:7], s[6:7]
	v_mov_b32_e32 v2, s10
	s_xor_b64 exec, exec, s[6:7]
	s_cbranch_execnz .LBB11_3260
.LBB11_1210:
	s_or_b64 exec, exec, s[6:7]
	s_and_saveexec_b64 s[6:7], s[4:5]
	s_cbranch_execz .LBB11_1212
.LBB11_1211:
	v_bfe_u32 v2, v7, 24, 3
	v_ffbh_u32_e32 v12, v2
	v_min_u32_e32 v12, 32, v12
	v_lshrrev_b32_e32 v10, 27, v7
	v_subrev_u32_e32 v13, 28, v12
	v_and_b32_e32 v6, 0x80000000, v7
	v_and_b32_e32 v10, 15, v10
	v_bfe_u32 v11, v7, 27, 4
	v_lshlrev_b32_sdwa v7, v13, v7 dst_sel:DWORD dst_unused:UNUSED_PAD src0_sel:DWORD src1_sel:BYTE_3
	v_sub_u32_e32 v12, 29, v12
	v_and_b32_e32 v7, 7, v7
	v_cmp_eq_u16_e32 vcc, 0, v10
	v_cndmask_b32_e32 v2, v2, v7, vcc
	v_cndmask_b32_e32 v7, v11, v12, vcc
	v_mov_b32_e32 v10, 0x3b800000
	v_lshlrev_b32_e32 v2, 20, v2
	v_lshl_add_u32 v7, v7, 23, v10
	v_or3_b32 v2, v6, v7, v2
.LBB11_1212:
	s_or_b64 exec, exec, s[6:7]
	s_movk_i32 s4, 0x7f
	v_cmp_gt_i16_sdwa s[6:7], v3, s4 src0_sel:BYTE_3 src1_sel:DWORD
	s_mov_b64 s[4:5], 0
                                        ; implicit-def: $sgpr10
	s_and_saveexec_b64 s[8:9], s[6:7]
	s_xor_b64 s[6:7], exec, s[8:9]
	s_cbranch_execnz .LBB11_3261
; %bb.1213:
	s_or_saveexec_b64 s[6:7], s[6:7]
	v_mov_b32_e32 v6, s10
	s_xor_b64 exec, exec, s[6:7]
	s_cbranch_execnz .LBB11_3264
.LBB11_1214:
	s_or_b64 exec, exec, s[6:7]
	s_and_saveexec_b64 s[6:7], s[4:5]
	s_cbranch_execz .LBB11_1216
.LBB11_1215:
	v_bfe_u32 v6, v3, 24, 3
	v_ffbh_u32_e32 v12, v6
	v_min_u32_e32 v12, 32, v12
	v_lshrrev_b32_e32 v10, 27, v3
	v_subrev_u32_e32 v13, 28, v12
	v_and_b32_e32 v7, 0x80000000, v3
	v_and_b32_e32 v10, 15, v10
	v_bfe_u32 v11, v3, 27, 4
	v_lshlrev_b32_sdwa v3, v13, v3 dst_sel:DWORD dst_unused:UNUSED_PAD src0_sel:DWORD src1_sel:BYTE_3
	v_sub_u32_e32 v12, 29, v12
	v_and_b32_e32 v3, 7, v3
	v_cmp_eq_u16_e32 vcc, 0, v10
	v_cndmask_b32_e32 v3, v6, v3, vcc
	v_cndmask_b32_e32 v6, v11, v12, vcc
	v_mov_b32_e32 v10, 0x3b800000
	v_lshlrev_b32_e32 v3, 20, v3
	v_lshl_add_u32 v6, v6, 23, v10
	v_or3_b32 v6, v7, v6, v3
.LBB11_1216:
	s_or_b64 exec, exec, s[6:7]
	s_nop 0
	v_mfma_f32_16x16x4f32 a[0:3], v2, v6, a[0:3]
	s_movk_i32 s4, 0x7f
	v_cmp_gt_i16_sdwa s[6:7], v8, s4 src0_sel:BYTE_0 src1_sel:DWORD
	s_mov_b64 s[4:5], 0
                                        ; implicit-def: $sgpr10
	s_and_saveexec_b64 s[8:9], s[6:7]
	s_xor_b64 s[6:7], exec, s[8:9]
	s_cbranch_execnz .LBB11_3265
; %bb.1217:
	s_or_saveexec_b64 s[6:7], s[6:7]
	v_mov_b32_e32 v2, s10
	s_xor_b64 exec, exec, s[6:7]
	s_cbranch_execnz .LBB11_3268
.LBB11_1218:
	s_or_b64 exec, exec, s[6:7]
	s_and_saveexec_b64 s[6:7], s[4:5]
	s_cbranch_execz .LBB11_1220
.LBB11_1219:
	v_and_b32_e32 v2, 7, v8
	v_ffbh_u32_e32 v6, v2
	v_min_u32_e32 v6, 32, v6
	v_lshrrev_b16_e32 v3, 3, v8
	v_subrev_u32_e32 v7, 28, v6
	v_and_b32_e32 v3, 15, v3
	v_lshlrev_b32_e32 v7, v7, v8
	v_sub_u32_e32 v6, 29, v6
	v_and_b32_e32 v7, 7, v7
	v_cmp_eq_u16_e32 vcc, 0, v3
	v_cndmask_b32_e32 v2, v2, v7, vcc
	v_cndmask_b32_e32 v3, v3, v6, vcc
	v_lshlrev_b32_e32 v6, 24, v8
	v_mov_b32_e32 v7, 0x3b800000
	v_lshlrev_b32_e32 v2, 20, v2
	v_and_b32_e32 v6, 0x80000000, v6
	v_lshl_add_u32 v3, v3, 23, v7
	v_or3_b32 v2, v6, v3, v2
.LBB11_1220:
	s_or_b64 exec, exec, s[6:7]
	s_movk_i32 s4, 0x7f
	v_cmp_gt_i16_sdwa s[6:7], v4, s4 src0_sel:BYTE_0 src1_sel:DWORD
	s_mov_b64 s[4:5], 0
                                        ; implicit-def: $sgpr10
	s_and_saveexec_b64 s[8:9], s[6:7]
	s_xor_b64 s[6:7], exec, s[8:9]
	s_cbranch_execnz .LBB11_3269
; %bb.1221:
	s_or_saveexec_b64 s[6:7], s[6:7]
	v_mov_b32_e32 v3, s10
	s_xor_b64 exec, exec, s[6:7]
	s_cbranch_execnz .LBB11_3272
.LBB11_1222:
	s_or_b64 exec, exec, s[6:7]
	s_and_saveexec_b64 s[6:7], s[4:5]
	s_cbranch_execz .LBB11_1224
.LBB11_1223:
	v_and_b32_e32 v3, 7, v4
	v_ffbh_u32_e32 v7, v3
	v_min_u32_e32 v7, 32, v7
	v_lshrrev_b16_e32 v6, 3, v4
	v_subrev_u32_e32 v10, 28, v7
	v_and_b32_e32 v6, 15, v6
	v_lshlrev_b32_e32 v10, v10, v4
	v_sub_u32_e32 v7, 29, v7
	v_and_b32_e32 v10, 7, v10
	v_cmp_eq_u16_e32 vcc, 0, v6
	v_cndmask_b32_e32 v3, v3, v10, vcc
	v_cndmask_b32_e32 v6, v6, v7, vcc
	v_lshlrev_b32_e32 v7, 24, v4
	v_mov_b32_e32 v10, 0x3b800000
	v_lshlrev_b32_e32 v3, 20, v3
	v_and_b32_e32 v7, 0x80000000, v7
	v_lshl_add_u32 v6, v6, 23, v10
	v_or3_b32 v3, v7, v6, v3
.LBB11_1224:
	s_or_b64 exec, exec, s[6:7]
	s_nop 0
	v_mfma_f32_16x16x4f32 a[0:3], v2, v3, a[0:3]
	v_lshrrev_b32_e32 v3, 8, v8
	s_movk_i32 s4, 0x7f
	v_cmp_gt_i16_sdwa s[6:7], v3, s4 src0_sel:BYTE_0 src1_sel:DWORD
	s_mov_b64 s[4:5], 0
                                        ; implicit-def: $sgpr10
	s_and_saveexec_b64 s[8:9], s[6:7]
	s_xor_b64 s[6:7], exec, s[8:9]
	s_cbranch_execnz .LBB11_3273
; %bb.1225:
	s_or_saveexec_b64 s[6:7], s[6:7]
	v_mov_b32_e32 v2, s10
	s_xor_b64 exec, exec, s[6:7]
	s_cbranch_execnz .LBB11_3276
.LBB11_1226:
	s_or_b64 exec, exec, s[6:7]
	s_and_saveexec_b64 s[6:7], s[4:5]
	s_cbranch_execz .LBB11_1228
.LBB11_1227:
	v_bfe_u32 v2, v8, 8, 3
	v_ffbh_u32_e32 v7, v2
	v_min_u32_e32 v7, 32, v7
	v_lshrrev_b16_e32 v6, 3, v3
	v_subrev_u32_e32 v10, 28, v7
	v_and_b32_e32 v6, 15, v6
	v_lshlrev_b32_e32 v3, v10, v3
	v_sub_u32_e32 v7, 29, v7
	v_and_b32_e32 v3, 7, v3
	v_cmp_eq_u16_e32 vcc, 0, v6
	v_cndmask_b32_e32 v2, v2, v3, vcc
	v_cndmask_b32_e32 v3, v6, v7, vcc
	v_lshlrev_b32_e32 v6, 16, v8
	v_mov_b32_e32 v7, 0x3b800000
	v_lshlrev_b32_e32 v2, 20, v2
	v_and_b32_e32 v6, 0x80000000, v6
	v_lshl_add_u32 v3, v3, 23, v7
	v_or3_b32 v2, v6, v3, v2
.LBB11_1228:
	s_or_b64 exec, exec, s[6:7]
	v_lshrrev_b32_e32 v3, 8, v4
	s_movk_i32 s4, 0x7f
	v_cmp_gt_i16_sdwa s[6:7], v3, s4 src0_sel:BYTE_0 src1_sel:DWORD
	s_mov_b64 s[4:5], 0
                                        ; implicit-def: $sgpr10
	s_and_saveexec_b64 s[8:9], s[6:7]
	s_xor_b64 s[6:7], exec, s[8:9]
	s_cbranch_execnz .LBB11_3277
; %bb.1229:
	s_or_saveexec_b64 s[6:7], s[6:7]
	v_mov_b32_e32 v6, s10
	s_xor_b64 exec, exec, s[6:7]
	s_cbranch_execnz .LBB11_3280
.LBB11_1230:
	s_or_b64 exec, exec, s[6:7]
	s_and_saveexec_b64 s[6:7], s[4:5]
	s_cbranch_execz .LBB11_1232
.LBB11_1231:
	v_bfe_u32 v6, v4, 8, 3
	v_ffbh_u32_e32 v10, v6
	v_min_u32_e32 v10, 32, v10
	v_lshrrev_b16_e32 v7, 3, v3
	v_subrev_u32_e32 v11, 28, v10
	v_and_b32_e32 v7, 15, v7
	v_lshlrev_b32_e32 v3, v11, v3
	v_sub_u32_e32 v10, 29, v10
	v_and_b32_e32 v3, 7, v3
	v_cmp_eq_u16_e32 vcc, 0, v7
	v_cndmask_b32_e32 v3, v6, v3, vcc
	v_cndmask_b32_e32 v6, v7, v10, vcc
	v_lshlrev_b32_e32 v7, 16, v4
	v_mov_b32_e32 v10, 0x3b800000
	v_lshlrev_b32_e32 v3, 20, v3
	v_and_b32_e32 v7, 0x80000000, v7
	v_lshl_add_u32 v6, v6, 23, v10
	v_or3_b32 v6, v7, v6, v3
.LBB11_1232:
	s_or_b64 exec, exec, s[6:7]
	s_nop 0
	v_mfma_f32_16x16x4f32 a[0:3], v2, v6, a[0:3]
	s_movk_i32 s4, 0xff
	v_and_b32_sdwa v3, v8, s4 dst_sel:DWORD dst_unused:UNUSED_PAD src0_sel:WORD_1 src1_sel:DWORD
	s_movk_i32 s4, 0x7f
	v_cmp_lt_i16_e32 vcc, s4, v3
	s_mov_b64 s[4:5], 0
                                        ; implicit-def: $sgpr10
	s_and_saveexec_b64 s[6:7], vcc
	s_xor_b64 s[6:7], exec, s[6:7]
	s_cbranch_execnz .LBB11_3281
; %bb.1233:
	s_or_saveexec_b64 s[6:7], s[6:7]
	v_mov_b32_e32 v2, s10
	s_xor_b64 exec, exec, s[6:7]
	s_cbranch_execnz .LBB11_3284
.LBB11_1234:
	s_or_b64 exec, exec, s[6:7]
	s_and_saveexec_b64 s[6:7], s[4:5]
	s_cbranch_execz .LBB11_1236
.LBB11_1235:
	v_bfe_u32 v2, v8, 16, 3
	v_ffbh_u32_e32 v7, v2
	v_min_u32_e32 v7, 32, v7
	v_lshrrev_b32_e32 v3, 19, v8
	v_subrev_u32_e32 v10, 28, v7
	v_and_b32_e32 v3, 15, v3
	v_lshlrev_b32_sdwa v10, v10, v8 dst_sel:DWORD dst_unused:UNUSED_PAD src0_sel:DWORD src1_sel:WORD_1
	v_bfe_u32 v6, v8, 19, 4
	v_sub_u32_e32 v7, 29, v7
	v_and_b32_e32 v10, 7, v10
	v_cmp_eq_u16_e32 vcc, 0, v3
	v_cndmask_b32_e32 v2, v2, v10, vcc
	v_cndmask_b32_e32 v3, v6, v7, vcc
	v_lshlrev_b32_e32 v6, 8, v8
	v_mov_b32_e32 v7, 0x3b800000
	v_lshlrev_b32_e32 v2, 20, v2
	v_and_b32_e32 v6, 0x80000000, v6
	v_lshl_add_u32 v3, v3, 23, v7
	v_or3_b32 v2, v6, v3, v2
.LBB11_1236:
	s_or_b64 exec, exec, s[6:7]
	s_movk_i32 s4, 0xff
	v_and_b32_sdwa v3, v4, s4 dst_sel:DWORD dst_unused:UNUSED_PAD src0_sel:WORD_1 src1_sel:DWORD
	s_movk_i32 s4, 0x7f
	v_cmp_lt_i16_e32 vcc, s4, v3
	s_mov_b64 s[4:5], 0
                                        ; implicit-def: $sgpr10
	s_and_saveexec_b64 s[6:7], vcc
	s_xor_b64 s[6:7], exec, s[6:7]
	s_cbranch_execnz .LBB11_3285
; %bb.1237:
	s_or_saveexec_b64 s[6:7], s[6:7]
	v_mov_b32_e32 v6, s10
	s_xor_b64 exec, exec, s[6:7]
	s_cbranch_execnz .LBB11_3288
.LBB11_1238:
	s_or_b64 exec, exec, s[6:7]
	s_and_saveexec_b64 s[6:7], s[4:5]
	s_cbranch_execz .LBB11_1240
.LBB11_1239:
	v_bfe_u32 v3, v4, 16, 3
	v_ffbh_u32_e32 v10, v3
	v_min_u32_e32 v10, 32, v10
	v_lshrrev_b32_e32 v6, 19, v4
	v_subrev_u32_e32 v11, 28, v10
	v_and_b32_e32 v6, 15, v6
	v_lshlrev_b32_sdwa v11, v11, v4 dst_sel:DWORD dst_unused:UNUSED_PAD src0_sel:DWORD src1_sel:WORD_1
	v_bfe_u32 v7, v4, 19, 4
	v_sub_u32_e32 v10, 29, v10
	v_and_b32_e32 v11, 7, v11
	v_cmp_eq_u16_e32 vcc, 0, v6
	v_cndmask_b32_e32 v3, v3, v11, vcc
	v_cndmask_b32_e32 v6, v7, v10, vcc
	v_lshlrev_b32_e32 v7, 8, v4
	v_mov_b32_e32 v10, 0x3b800000
	v_lshlrev_b32_e32 v3, 20, v3
	v_and_b32_e32 v7, 0x80000000, v7
	v_lshl_add_u32 v6, v6, 23, v10
	v_or3_b32 v6, v7, v6, v3
.LBB11_1240:
	s_or_b64 exec, exec, s[6:7]
	s_nop 0
	v_mfma_f32_16x16x4f32 a[0:3], v2, v6, a[0:3]
	s_movk_i32 s4, 0x7f
	v_cmp_gt_i16_sdwa s[6:7], v8, s4 src0_sel:BYTE_3 src1_sel:DWORD
	s_mov_b64 s[4:5], 0
                                        ; implicit-def: $sgpr10
	s_and_saveexec_b64 s[8:9], s[6:7]
	s_xor_b64 s[6:7], exec, s[8:9]
	s_cbranch_execnz .LBB11_3289
; %bb.1241:
	s_or_saveexec_b64 s[6:7], s[6:7]
	v_mov_b32_e32 v2, s10
	s_xor_b64 exec, exec, s[6:7]
	s_cbranch_execnz .LBB11_3292
.LBB11_1242:
	s_or_b64 exec, exec, s[6:7]
	s_and_saveexec_b64 s[6:7], s[4:5]
	s_cbranch_execz .LBB11_1244
.LBB11_1243:
	v_bfe_u32 v2, v8, 24, 3
	v_ffbh_u32_e32 v10, v2
	v_min_u32_e32 v10, 32, v10
	v_lshrrev_b32_e32 v6, 27, v8
	v_subrev_u32_e32 v11, 28, v10
	v_and_b32_e32 v3, 0x80000000, v8
	v_and_b32_e32 v6, 15, v6
	v_bfe_u32 v7, v8, 27, 4
	v_lshlrev_b32_sdwa v8, v11, v8 dst_sel:DWORD dst_unused:UNUSED_PAD src0_sel:DWORD src1_sel:BYTE_3
	v_sub_u32_e32 v10, 29, v10
	v_and_b32_e32 v8, 7, v8
	v_cmp_eq_u16_e32 vcc, 0, v6
	v_cndmask_b32_e32 v2, v2, v8, vcc
	v_cndmask_b32_e32 v6, v7, v10, vcc
	v_mov_b32_e32 v7, 0x3b800000
	v_lshlrev_b32_e32 v2, 20, v2
	v_lshl_add_u32 v6, v6, 23, v7
	v_or3_b32 v2, v3, v6, v2
.LBB11_1244:
	s_or_b64 exec, exec, s[6:7]
	s_movk_i32 s4, 0x7f
	v_cmp_gt_i16_sdwa s[6:7], v4, s4 src0_sel:BYTE_3 src1_sel:DWORD
	s_mov_b64 s[4:5], 0
                                        ; implicit-def: $sgpr10
	s_and_saveexec_b64 s[8:9], s[6:7]
	s_xor_b64 s[6:7], exec, s[8:9]
	s_cbranch_execnz .LBB11_3293
; %bb.1245:
	s_or_saveexec_b64 s[6:7], s[6:7]
	v_mov_b32_e32 v3, s10
	s_xor_b64 exec, exec, s[6:7]
	s_cbranch_execnz .LBB11_3296
.LBB11_1246:
	s_or_b64 exec, exec, s[6:7]
	s_and_saveexec_b64 s[6:7], s[4:5]
	s_cbranch_execz .LBB11_1248
.LBB11_1247:
	v_bfe_u32 v3, v4, 24, 3
	v_ffbh_u32_e32 v10, v3
	v_min_u32_e32 v10, 32, v10
	v_lshrrev_b32_e32 v7, 27, v4
	v_subrev_u32_e32 v11, 28, v10
	v_and_b32_e32 v6, 0x80000000, v4
	v_and_b32_e32 v7, 15, v7
	v_bfe_u32 v8, v4, 27, 4
	v_lshlrev_b32_sdwa v4, v11, v4 dst_sel:DWORD dst_unused:UNUSED_PAD src0_sel:DWORD src1_sel:BYTE_3
	v_sub_u32_e32 v10, 29, v10
	v_and_b32_e32 v4, 7, v4
	v_cmp_eq_u16_e32 vcc, 0, v7
	v_cndmask_b32_e32 v3, v3, v4, vcc
	v_cndmask_b32_e32 v4, v8, v10, vcc
	v_mov_b32_e32 v7, 0x3b800000
	v_lshlrev_b32_e32 v3, 20, v3
	v_lshl_add_u32 v4, v4, 23, v7
	v_or3_b32 v3, v6, v4, v3
.LBB11_1248:
	s_or_b64 exec, exec, s[6:7]
	s_nop 0
	v_mfma_f32_16x16x4f32 a[0:3], v2, v3, a[0:3]
	s_movk_i32 s4, 0x7f
	v_cmp_gt_i16_sdwa s[6:7], v9, s4 src0_sel:BYTE_0 src1_sel:DWORD
	s_mov_b64 s[4:5], 0
                                        ; implicit-def: $sgpr10
	s_and_saveexec_b64 s[8:9], s[6:7]
	s_xor_b64 s[6:7], exec, s[8:9]
	s_cbranch_execnz .LBB11_3297
; %bb.1249:
	s_or_saveexec_b64 s[6:7], s[6:7]
	v_mov_b32_e32 v2, s10
	s_xor_b64 exec, exec, s[6:7]
	s_cbranch_execnz .LBB11_3300
.LBB11_1250:
	s_or_b64 exec, exec, s[6:7]
	s_and_saveexec_b64 s[6:7], s[4:5]
	s_cbranch_execz .LBB11_1252
.LBB11_1251:
	v_mov_b32_e32 v2, 8
	v_and_b32_e32 v3, 7, v9
	v_lshrrev_b32_sdwa v2, v2, v9 dst_sel:BYTE_1 dst_unused:UNUSED_PAD src0_sel:DWORD src1_sel:DWORD
	v_ffbh_u32_e32 v4, v3
	v_or_b32_sdwa v2, v9, v2 dst_sel:DWORD dst_unused:UNUSED_PAD src0_sel:BYTE_0 src1_sel:DWORD
	v_min_u32_e32 v4, 32, v4
	v_lshrrev_b16_e32 v2, 3, v2
	v_subrev_u32_e32 v6, 28, v4
	v_and_b32_e32 v2, 15, v2
	v_lshlrev_b32_e32 v6, v6, v9
	v_sub_u32_e32 v4, 29, v4
	v_and_b32_e32 v6, 7, v6
	v_cmp_eq_u16_e32 vcc, 0, v2
	v_cndmask_b32_e32 v3, v3, v6, vcc
	v_cndmask_b32_e32 v2, v2, v4, vcc
	v_lshlrev_b32_e32 v4, 24, v9
	v_mov_b32_e32 v6, 0x3b800000
	v_lshlrev_b32_e32 v3, 20, v3
	v_and_b32_e32 v4, 0x80000000, v4
	v_lshl_add_u32 v2, v2, 23, v6
	v_or3_b32 v2, v4, v2, v3
.LBB11_1252:
	s_or_b64 exec, exec, s[6:7]
	s_movk_i32 s4, 0x7f
	v_cmp_gt_i16_sdwa s[6:7], v5, s4 src0_sel:BYTE_0 src1_sel:DWORD
	s_mov_b64 s[4:5], 0
                                        ; implicit-def: $sgpr10
	s_and_saveexec_b64 s[8:9], s[6:7]
	s_xor_b64 s[6:7], exec, s[8:9]
	s_cbranch_execnz .LBB11_3301
; %bb.1253:
	s_or_saveexec_b64 s[6:7], s[6:7]
	v_mov_b32_e32 v3, s10
	s_xor_b64 exec, exec, s[6:7]
	s_cbranch_execnz .LBB11_3304
.LBB11_1254:
	s_or_b64 exec, exec, s[6:7]
	s_and_saveexec_b64 s[6:7], s[4:5]
	s_cbranch_execz .LBB11_1256
.LBB11_1255:
	v_mov_b32_e32 v3, 8
	v_and_b32_e32 v4, 7, v5
	v_lshrrev_b32_sdwa v3, v3, v5 dst_sel:BYTE_1 dst_unused:UNUSED_PAD src0_sel:DWORD src1_sel:DWORD
	v_ffbh_u32_e32 v6, v4
	v_or_b32_sdwa v3, v5, v3 dst_sel:DWORD dst_unused:UNUSED_PAD src0_sel:BYTE_0 src1_sel:DWORD
	v_min_u32_e32 v6, 32, v6
	v_lshrrev_b16_e32 v3, 3, v3
	v_subrev_u32_e32 v7, 28, v6
	v_and_b32_e32 v3, 15, v3
	v_lshlrev_b32_e32 v7, v7, v5
	v_sub_u32_e32 v6, 29, v6
	v_and_b32_e32 v7, 7, v7
	v_cmp_eq_u16_e32 vcc, 0, v3
	v_cndmask_b32_e32 v4, v4, v7, vcc
	v_cndmask_b32_e32 v3, v3, v6, vcc
	v_lshlrev_b32_e32 v6, 24, v5
	v_mov_b32_e32 v7, 0x3b800000
	v_lshlrev_b32_e32 v4, 20, v4
	v_and_b32_e32 v6, 0x80000000, v6
	v_lshl_add_u32 v3, v3, 23, v7
	v_or3_b32 v3, v6, v3, v4
.LBB11_1256:
	s_or_b64 exec, exec, s[6:7]
	s_nop 0
	v_mfma_f32_16x16x4f32 a[0:3], v2, v3, a[0:3]
	v_lshrrev_b32_e32 v3, 8, v9
	s_movk_i32 s4, 0x7f
	v_cmp_gt_i16_sdwa s[6:7], v3, s4 src0_sel:BYTE_0 src1_sel:DWORD
	s_mov_b64 s[4:5], 0
                                        ; implicit-def: $sgpr10
	s_and_saveexec_b64 s[8:9], s[6:7]
	s_xor_b64 s[6:7], exec, s[8:9]
	s_cbranch_execnz .LBB11_3305
; %bb.1257:
	s_or_saveexec_b64 s[6:7], s[6:7]
	v_mov_b32_e32 v2, s10
	s_xor_b64 exec, exec, s[6:7]
	s_cbranch_execnz .LBB11_3308
.LBB11_1258:
	s_or_b64 exec, exec, s[6:7]
	s_and_saveexec_b64 s[6:7], s[4:5]
	s_cbranch_execz .LBB11_1260
.LBB11_1259:
	v_bfe_u32 v2, v9, 8, 3
	v_ffbh_u32_e32 v6, v2
	v_min_u32_e32 v6, 32, v6
	v_lshrrev_b16_e32 v4, 3, v3
	v_subrev_u32_e32 v7, 28, v6
	v_and_b32_e32 v4, 15, v4
	v_lshlrev_b32_e32 v3, v7, v3
	v_sub_u32_e32 v6, 29, v6
	v_and_b32_e32 v3, 7, v3
	v_cmp_eq_u16_e32 vcc, 0, v4
	v_cndmask_b32_e32 v2, v2, v3, vcc
	v_cndmask_b32_e32 v3, v4, v6, vcc
	v_lshlrev_b32_e32 v4, 16, v9
	v_mov_b32_e32 v6, 0x3b800000
	v_lshlrev_b32_e32 v2, 20, v2
	v_and_b32_e32 v4, 0x80000000, v4
	v_lshl_add_u32 v3, v3, 23, v6
	v_or3_b32 v2, v4, v3, v2
.LBB11_1260:
	s_or_b64 exec, exec, s[6:7]
	v_lshrrev_b32_e32 v3, 8, v5
	s_movk_i32 s4, 0x7f
	v_cmp_gt_i16_sdwa s[6:7], v3, s4 src0_sel:BYTE_0 src1_sel:DWORD
	s_mov_b64 s[4:5], 0
                                        ; implicit-def: $sgpr10
	s_and_saveexec_b64 s[8:9], s[6:7]
	s_xor_b64 s[6:7], exec, s[8:9]
	s_cbranch_execnz .LBB11_3309
; %bb.1261:
	s_or_saveexec_b64 s[6:7], s[6:7]
	v_mov_b32_e32 v4, s10
	s_xor_b64 exec, exec, s[6:7]
	s_cbranch_execnz .LBB11_3312
.LBB11_1262:
	s_or_b64 exec, exec, s[6:7]
	s_and_saveexec_b64 s[6:7], s[4:5]
	s_cbranch_execz .LBB11_1264
.LBB11_1263:
	v_bfe_u32 v4, v5, 8, 3
	v_ffbh_u32_e32 v7, v4
	v_min_u32_e32 v7, 32, v7
	v_lshrrev_b16_e32 v6, 3, v3
	v_subrev_u32_e32 v8, 28, v7
	v_and_b32_e32 v6, 15, v6
	v_lshlrev_b32_e32 v3, v8, v3
	v_sub_u32_e32 v7, 29, v7
	v_and_b32_e32 v3, 7, v3
	v_cmp_eq_u16_e32 vcc, 0, v6
	v_cndmask_b32_e32 v3, v4, v3, vcc
	v_cndmask_b32_e32 v4, v6, v7, vcc
	v_lshlrev_b32_e32 v6, 16, v5
	v_mov_b32_e32 v7, 0x3b800000
	v_lshlrev_b32_e32 v3, 20, v3
	v_and_b32_e32 v6, 0x80000000, v6
	v_lshl_add_u32 v4, v4, 23, v7
	v_or3_b32 v4, v6, v4, v3
.LBB11_1264:
	s_or_b64 exec, exec, s[6:7]
	s_nop 0
	v_mfma_f32_16x16x4f32 a[0:3], v2, v4, a[0:3]
	s_movk_i32 s4, 0xff
	v_and_b32_sdwa v3, v9, s4 dst_sel:DWORD dst_unused:UNUSED_PAD src0_sel:WORD_1 src1_sel:DWORD
	s_movk_i32 s4, 0x7f
	v_cmp_lt_i16_e32 vcc, s4, v3
	s_mov_b64 s[4:5], 0
                                        ; implicit-def: $sgpr10
	s_and_saveexec_b64 s[6:7], vcc
	s_xor_b64 s[6:7], exec, s[6:7]
	s_cbranch_execnz .LBB11_3313
; %bb.1265:
	s_or_saveexec_b64 s[6:7], s[6:7]
	v_mov_b32_e32 v2, s10
	s_xor_b64 exec, exec, s[6:7]
	s_cbranch_execnz .LBB11_3316
.LBB11_1266:
	s_or_b64 exec, exec, s[6:7]
	s_and_saveexec_b64 s[6:7], s[4:5]
	s_cbranch_execz .LBB11_1268
.LBB11_1267:
	v_bfe_u32 v2, v9, 16, 3
	v_ffbh_u32_e32 v6, v2
	v_min_u32_e32 v6, 32, v6
	v_lshrrev_b32_e32 v3, 19, v9
	v_subrev_u32_e32 v7, 28, v6
	v_and_b32_e32 v3, 15, v3
	v_lshlrev_b32_sdwa v7, v7, v9 dst_sel:DWORD dst_unused:UNUSED_PAD src0_sel:DWORD src1_sel:WORD_1
	v_bfe_u32 v4, v9, 19, 4
	v_sub_u32_e32 v6, 29, v6
	v_and_b32_e32 v7, 7, v7
	v_cmp_eq_u16_e32 vcc, 0, v3
	v_cndmask_b32_e32 v2, v2, v7, vcc
	v_cndmask_b32_e32 v3, v4, v6, vcc
	v_lshlrev_b32_e32 v4, 8, v9
	v_mov_b32_e32 v6, 0x3b800000
	v_lshlrev_b32_e32 v2, 20, v2
	v_and_b32_e32 v4, 0x80000000, v4
	v_lshl_add_u32 v3, v3, 23, v6
	v_or3_b32 v2, v4, v3, v2
.LBB11_1268:
	s_or_b64 exec, exec, s[6:7]
	s_movk_i32 s4, 0xff
	v_and_b32_sdwa v3, v5, s4 dst_sel:DWORD dst_unused:UNUSED_PAD src0_sel:WORD_1 src1_sel:DWORD
	s_movk_i32 s4, 0x7f
	v_cmp_lt_i16_e32 vcc, s4, v3
	s_mov_b64 s[4:5], 0
                                        ; implicit-def: $sgpr10
	s_and_saveexec_b64 s[6:7], vcc
	s_xor_b64 s[6:7], exec, s[6:7]
	s_cbranch_execnz .LBB11_3317
; %bb.1269:
	s_or_saveexec_b64 s[6:7], s[6:7]
	v_mov_b32_e32 v4, s10
	s_xor_b64 exec, exec, s[6:7]
	s_cbranch_execnz .LBB11_3320
.LBB11_1270:
	s_or_b64 exec, exec, s[6:7]
	s_and_saveexec_b64 s[6:7], s[4:5]
	s_cbranch_execz .LBB11_1272
.LBB11_1271:
	v_bfe_u32 v3, v5, 16, 3
	v_ffbh_u32_e32 v7, v3
	v_min_u32_e32 v7, 32, v7
	v_lshrrev_b32_e32 v4, 19, v5
	v_subrev_u32_e32 v8, 28, v7
	v_and_b32_e32 v4, 15, v4
	v_lshlrev_b32_sdwa v8, v8, v5 dst_sel:DWORD dst_unused:UNUSED_PAD src0_sel:DWORD src1_sel:WORD_1
	v_bfe_u32 v6, v5, 19, 4
	v_sub_u32_e32 v7, 29, v7
	v_and_b32_e32 v8, 7, v8
	v_cmp_eq_u16_e32 vcc, 0, v4
	v_cndmask_b32_e32 v3, v3, v8, vcc
	v_cndmask_b32_e32 v4, v6, v7, vcc
	v_lshlrev_b32_e32 v6, 8, v5
	v_mov_b32_e32 v7, 0x3b800000
	v_lshlrev_b32_e32 v3, 20, v3
	v_and_b32_e32 v6, 0x80000000, v6
	v_lshl_add_u32 v4, v4, 23, v7
	v_or3_b32 v4, v6, v4, v3
.LBB11_1272:
	s_or_b64 exec, exec, s[6:7]
	s_nop 0
	v_mfma_f32_16x16x4f32 a[0:3], v2, v4, a[0:3]
	s_movk_i32 s4, 0x7f
	v_cmp_gt_i16_sdwa s[6:7], v9, s4 src0_sel:BYTE_3 src1_sel:DWORD
	s_mov_b64 s[4:5], 0
                                        ; implicit-def: $sgpr10
	s_and_saveexec_b64 s[8:9], s[6:7]
	s_xor_b64 s[6:7], exec, s[8:9]
	s_cbranch_execnz .LBB11_3321
; %bb.1273:
	s_or_saveexec_b64 s[6:7], s[6:7]
	v_mov_b32_e32 v2, s10
	s_xor_b64 exec, exec, s[6:7]
	s_cbranch_execnz .LBB11_3324
.LBB11_1274:
	s_or_b64 exec, exec, s[6:7]
	s_and_saveexec_b64 s[6:7], s[4:5]
	s_cbranch_execz .LBB11_1276
.LBB11_1275:
	v_bfe_u32 v2, v9, 24, 3
	v_ffbh_u32_e32 v7, v2
	v_min_u32_e32 v7, 32, v7
	v_lshrrev_b32_e32 v4, 27, v9
	v_subrev_u32_e32 v8, 28, v7
	v_and_b32_e32 v4, 15, v4
	v_lshlrev_b32_sdwa v8, v8, v9 dst_sel:DWORD dst_unused:UNUSED_PAD src0_sel:DWORD src1_sel:BYTE_3
	v_bfe_u32 v6, v9, 27, 4
	v_sub_u32_e32 v7, 29, v7
	v_and_b32_e32 v8, 7, v8
	v_cmp_eq_u16_e32 vcc, 0, v4
	v_cndmask_b32_e32 v2, v2, v8, vcc
	v_cndmask_b32_e32 v4, v6, v7, vcc
	v_mov_b32_e32 v6, 0x3b800000
	v_and_b32_e32 v3, 0x80000000, v9
	v_lshlrev_b32_e32 v2, 20, v2
	v_lshl_add_u32 v4, v4, 23, v6
	v_or3_b32 v2, v3, v4, v2
.LBB11_1276:
	s_or_b64 exec, exec, s[6:7]
	s_movk_i32 s4, 0x7f
	v_cmp_gt_i16_sdwa s[6:7], v5, s4 src0_sel:BYTE_3 src1_sel:DWORD
	s_mov_b64 s[4:5], 0
                                        ; implicit-def: $sgpr10
	s_and_saveexec_b64 s[8:9], s[6:7]
	s_xor_b64 s[6:7], exec, s[8:9]
	s_cbranch_execnz .LBB11_3325
; %bb.1277:
	s_or_saveexec_b64 s[6:7], s[6:7]
	v_mov_b32_e32 v3, s10
	s_xor_b64 exec, exec, s[6:7]
	s_cbranch_execnz .LBB11_3328
.LBB11_1278:
	s_or_b64 exec, exec, s[6:7]
	s_and_saveexec_b64 s[6:7], s[4:5]
	s_cbranch_execz .LBB11_1280
.LBB11_1279:
	v_bfe_u32 v3, v5, 24, 3
	v_ffbh_u32_e32 v8, v3
	v_min_u32_e32 v8, 32, v8
	v_lshrrev_b32_e32 v6, 27, v5
	v_subrev_u32_e32 v9, 28, v8
	v_and_b32_e32 v4, 0x80000000, v5
	v_and_b32_e32 v6, 15, v6
	v_bfe_u32 v7, v5, 27, 4
	v_lshlrev_b32_sdwa v5, v9, v5 dst_sel:DWORD dst_unused:UNUSED_PAD src0_sel:DWORD src1_sel:BYTE_3
	v_sub_u32_e32 v8, 29, v8
	v_and_b32_e32 v5, 7, v5
	v_cmp_eq_u16_e32 vcc, 0, v6
	v_cndmask_b32_e32 v3, v3, v5, vcc
	v_cndmask_b32_e32 v5, v7, v8, vcc
	v_mov_b32_e32 v6, 0x3b800000
	v_lshlrev_b32_e32 v3, 20, v3
	v_lshl_add_u32 v5, v5, 23, v6
	v_or3_b32 v3, v4, v5, v3
.LBB11_1280:
	s_or_b64 exec, exec, s[6:7]
	s_nop 0
	v_mfma_f32_16x16x4f32 a[0:3], v2, v3, a[0:3]
	s_movk_i32 s4, 0x7f
                                        ; implicit-def: $sgpr10
	s_nop 7
	s_nop 1
	flat_store_dwordx4 v[18:19], a[0:3] offset:192
	flat_load_dwordx4 v[20:23], v[0:1] offset:16
	s_nop 0
	flat_load_dwordx2 v[18:19], v[0:1] offset:32
	s_waitcnt vmcnt(0) lgkmcnt(0)
	flat_load_dwordx4 v[14:17], v[20:21] offset:32
	flat_load_dwordx4 v[6:9], v[20:21] offset:48
	;; [unrolled: 1-line block ×4, first 2 shown]
	s_waitcnt vmcnt(0) lgkmcnt(0)
	v_cmp_gt_i16_sdwa s[6:7], v14, s4 src0_sel:BYTE_0 src1_sel:DWORD
	s_mov_b64 s[4:5], 0
	s_and_saveexec_b64 s[8:9], s[6:7]
	s_xor_b64 s[6:7], exec, s[8:9]
	s_cbranch_execnz .LBB11_3329
; %bb.1281:
	s_or_saveexec_b64 s[6:7], s[6:7]
	v_mov_b32_e32 v20, s10
	s_xor_b64 exec, exec, s[6:7]
	s_cbranch_execnz .LBB11_3332
.LBB11_1282:
	s_or_b64 exec, exec, s[6:7]
	s_and_saveexec_b64 s[6:7], s[4:5]
	s_cbranch_execz .LBB11_1284
.LBB11_1283:
	v_and_b32_e32 v20, 7, v14
	v_ffbh_u32_e32 v22, v20
	v_min_u32_e32 v22, 32, v22
	v_lshrrev_b16_e32 v21, 3, v14
	v_subrev_u32_e32 v23, 28, v22
	v_and_b32_e32 v21, 15, v21
	v_lshlrev_b32_e32 v23, v23, v14
	v_sub_u32_e32 v22, 29, v22
	v_and_b32_e32 v23, 7, v23
	v_cmp_eq_u16_e32 vcc, 0, v21
	v_cndmask_b32_e32 v20, v20, v23, vcc
	v_cndmask_b32_e32 v21, v21, v22, vcc
	v_lshlrev_b32_e32 v22, 24, v14
	v_mov_b32_e32 v23, 0x3b800000
	v_lshlrev_b32_e32 v20, 20, v20
	v_and_b32_e32 v22, 0x80000000, v22
	v_lshl_add_u32 v21, v21, 23, v23
	v_or3_b32 v20, v22, v21, v20
.LBB11_1284:
	s_or_b64 exec, exec, s[6:7]
	s_movk_i32 s4, 0x7f
	v_cmp_gt_i16_sdwa s[6:7], v10, s4 src0_sel:BYTE_0 src1_sel:DWORD
	s_mov_b64 s[4:5], 0
                                        ; implicit-def: $sgpr10
	s_and_saveexec_b64 s[8:9], s[6:7]
	s_xor_b64 s[6:7], exec, s[8:9]
	s_cbranch_execnz .LBB11_3333
; %bb.1285:
	s_or_saveexec_b64 s[6:7], s[6:7]
	v_mov_b32_e32 v21, s10
	s_xor_b64 exec, exec, s[6:7]
	s_cbranch_execnz .LBB11_3336
.LBB11_1286:
	s_or_b64 exec, exec, s[6:7]
	s_and_saveexec_b64 s[6:7], s[4:5]
	s_cbranch_execz .LBB11_1288
.LBB11_1287:
	v_and_b32_e32 v21, 7, v10
	v_ffbh_u32_e32 v23, v21
	v_min_u32_e32 v23, 32, v23
	v_lshrrev_b16_e32 v22, 3, v10
	v_subrev_u32_e32 v24, 28, v23
	v_and_b32_e32 v22, 15, v22
	v_lshlrev_b32_e32 v24, v24, v10
	v_sub_u32_e32 v23, 29, v23
	v_and_b32_e32 v24, 7, v24
	v_cmp_eq_u16_e32 vcc, 0, v22
	v_cndmask_b32_e32 v21, v21, v24, vcc
	v_cndmask_b32_e32 v22, v22, v23, vcc
	v_lshlrev_b32_e32 v23, 24, v10
	v_mov_b32_e32 v24, 0x3b800000
	v_lshlrev_b32_e32 v21, 20, v21
	v_and_b32_e32 v23, 0x80000000, v23
	v_lshl_add_u32 v22, v22, 23, v24
	v_or3_b32 v21, v23, v22, v21
.LBB11_1288:
	s_or_b64 exec, exec, s[6:7]
	flat_load_dwordx4 a[0:3], v[18:19] offset:208
	s_movk_i32 s4, 0x7f
                                        ; implicit-def: $sgpr10
	s_waitcnt vmcnt(0) lgkmcnt(0)
	v_mfma_f32_16x16x4f32 a[0:3], v20, v21, a[0:3]
	v_lshrrev_b32_e32 v21, 8, v14
	v_cmp_gt_i16_sdwa s[6:7], v21, s4 src0_sel:BYTE_0 src1_sel:DWORD
	s_mov_b64 s[4:5], 0
	s_and_saveexec_b64 s[8:9], s[6:7]
	s_xor_b64 s[6:7], exec, s[8:9]
	s_cbranch_execnz .LBB11_3337
; %bb.1289:
	s_or_saveexec_b64 s[6:7], s[6:7]
	v_mov_b32_e32 v20, s10
	s_xor_b64 exec, exec, s[6:7]
	s_cbranch_execnz .LBB11_3340
.LBB11_1290:
	s_or_b64 exec, exec, s[6:7]
	s_and_saveexec_b64 s[6:7], s[4:5]
	s_cbranch_execz .LBB11_1292
.LBB11_1291:
	v_bfe_u32 v20, v14, 8, 3
	v_ffbh_u32_e32 v23, v20
	v_min_u32_e32 v23, 32, v23
	v_lshrrev_b16_e32 v22, 3, v21
	v_subrev_u32_e32 v24, 28, v23
	v_and_b32_e32 v22, 15, v22
	v_lshlrev_b32_e32 v21, v24, v21
	v_sub_u32_e32 v23, 29, v23
	v_and_b32_e32 v21, 7, v21
	v_cmp_eq_u16_e32 vcc, 0, v22
	v_cndmask_b32_e32 v20, v20, v21, vcc
	v_cndmask_b32_e32 v21, v22, v23, vcc
	v_lshlrev_b32_e32 v22, 16, v14
	v_mov_b32_e32 v23, 0x3b800000
	v_lshlrev_b32_e32 v20, 20, v20
	v_and_b32_e32 v22, 0x80000000, v22
	v_lshl_add_u32 v21, v21, 23, v23
	v_or3_b32 v20, v22, v21, v20
.LBB11_1292:
	s_or_b64 exec, exec, s[6:7]
	v_lshrrev_b32_e32 v21, 8, v10
	s_movk_i32 s4, 0x7f
	v_cmp_gt_i16_sdwa s[6:7], v21, s4 src0_sel:BYTE_0 src1_sel:DWORD
	s_mov_b64 s[4:5], 0
                                        ; implicit-def: $sgpr10
	s_and_saveexec_b64 s[8:9], s[6:7]
	s_xor_b64 s[6:7], exec, s[8:9]
	s_cbranch_execnz .LBB11_3341
; %bb.1293:
	s_or_saveexec_b64 s[6:7], s[6:7]
	v_mov_b32_e32 v22, s10
	s_xor_b64 exec, exec, s[6:7]
	s_cbranch_execnz .LBB11_3344
.LBB11_1294:
	s_or_b64 exec, exec, s[6:7]
	s_and_saveexec_b64 s[6:7], s[4:5]
	s_cbranch_execz .LBB11_1296
.LBB11_1295:
	v_bfe_u32 v22, v10, 8, 3
	v_ffbh_u32_e32 v24, v22
	v_min_u32_e32 v24, 32, v24
	v_lshrrev_b16_e32 v23, 3, v21
	v_subrev_u32_e32 v25, 28, v24
	v_and_b32_e32 v23, 15, v23
	v_lshlrev_b32_e32 v21, v25, v21
	v_sub_u32_e32 v24, 29, v24
	v_and_b32_e32 v21, 7, v21
	v_cmp_eq_u16_e32 vcc, 0, v23
	v_cndmask_b32_e32 v21, v22, v21, vcc
	v_cndmask_b32_e32 v22, v23, v24, vcc
	v_lshlrev_b32_e32 v23, 16, v10
	v_mov_b32_e32 v24, 0x3b800000
	v_lshlrev_b32_e32 v21, 20, v21
	v_and_b32_e32 v23, 0x80000000, v23
	v_lshl_add_u32 v22, v22, 23, v24
	v_or3_b32 v22, v23, v22, v21
.LBB11_1296:
	s_or_b64 exec, exec, s[6:7]
	s_nop 0
	v_mfma_f32_16x16x4f32 a[0:3], v20, v22, a[0:3]
	s_movk_i32 s4, 0xff
	v_and_b32_sdwa v21, v14, s4 dst_sel:DWORD dst_unused:UNUSED_PAD src0_sel:WORD_1 src1_sel:DWORD
	s_movk_i32 s4, 0x7f
	v_cmp_lt_i16_e32 vcc, s4, v21
	s_mov_b64 s[4:5], 0
                                        ; implicit-def: $sgpr10
	s_and_saveexec_b64 s[6:7], vcc
	s_xor_b64 s[6:7], exec, s[6:7]
	s_cbranch_execnz .LBB11_3345
; %bb.1297:
	s_or_saveexec_b64 s[6:7], s[6:7]
	v_mov_b32_e32 v20, s10
	s_xor_b64 exec, exec, s[6:7]
	s_cbranch_execnz .LBB11_3348
.LBB11_1298:
	s_or_b64 exec, exec, s[6:7]
	s_and_saveexec_b64 s[6:7], s[4:5]
	s_cbranch_execz .LBB11_1300
.LBB11_1299:
	v_bfe_u32 v20, v14, 16, 3
	v_ffbh_u32_e32 v23, v20
	v_min_u32_e32 v23, 32, v23
	v_lshrrev_b32_e32 v21, 19, v14
	v_subrev_u32_e32 v24, 28, v23
	v_and_b32_e32 v21, 15, v21
	v_lshlrev_b32_sdwa v24, v24, v14 dst_sel:DWORD dst_unused:UNUSED_PAD src0_sel:DWORD src1_sel:WORD_1
	v_bfe_u32 v22, v14, 19, 4
	v_sub_u32_e32 v23, 29, v23
	v_and_b32_e32 v24, 7, v24
	v_cmp_eq_u16_e32 vcc, 0, v21
	v_cndmask_b32_e32 v20, v20, v24, vcc
	v_cndmask_b32_e32 v21, v22, v23, vcc
	v_lshlrev_b32_e32 v22, 8, v14
	v_mov_b32_e32 v23, 0x3b800000
	v_lshlrev_b32_e32 v20, 20, v20
	v_and_b32_e32 v22, 0x80000000, v22
	v_lshl_add_u32 v21, v21, 23, v23
	v_or3_b32 v20, v22, v21, v20
.LBB11_1300:
	s_or_b64 exec, exec, s[6:7]
	s_movk_i32 s4, 0xff
	v_and_b32_sdwa v21, v10, s4 dst_sel:DWORD dst_unused:UNUSED_PAD src0_sel:WORD_1 src1_sel:DWORD
	s_movk_i32 s4, 0x7f
	v_cmp_lt_i16_e32 vcc, s4, v21
	s_mov_b64 s[4:5], 0
                                        ; implicit-def: $sgpr10
	s_and_saveexec_b64 s[6:7], vcc
	s_xor_b64 s[6:7], exec, s[6:7]
	s_cbranch_execnz .LBB11_3349
; %bb.1301:
	s_or_saveexec_b64 s[6:7], s[6:7]
	v_mov_b32_e32 v22, s10
	s_xor_b64 exec, exec, s[6:7]
	s_cbranch_execnz .LBB11_3352
.LBB11_1302:
	s_or_b64 exec, exec, s[6:7]
	s_and_saveexec_b64 s[6:7], s[4:5]
	s_cbranch_execz .LBB11_1304
.LBB11_1303:
	v_bfe_u32 v21, v10, 16, 3
	v_ffbh_u32_e32 v24, v21
	v_min_u32_e32 v24, 32, v24
	v_lshrrev_b32_e32 v22, 19, v10
	v_subrev_u32_e32 v25, 28, v24
	v_and_b32_e32 v22, 15, v22
	v_lshlrev_b32_sdwa v25, v25, v10 dst_sel:DWORD dst_unused:UNUSED_PAD src0_sel:DWORD src1_sel:WORD_1
	v_bfe_u32 v23, v10, 19, 4
	v_sub_u32_e32 v24, 29, v24
	v_and_b32_e32 v25, 7, v25
	v_cmp_eq_u16_e32 vcc, 0, v22
	v_cndmask_b32_e32 v21, v21, v25, vcc
	v_cndmask_b32_e32 v22, v23, v24, vcc
	v_lshlrev_b32_e32 v23, 8, v10
	v_mov_b32_e32 v24, 0x3b800000
	v_lshlrev_b32_e32 v21, 20, v21
	v_and_b32_e32 v23, 0x80000000, v23
	v_lshl_add_u32 v22, v22, 23, v24
	v_or3_b32 v22, v23, v22, v21
.LBB11_1304:
	s_or_b64 exec, exec, s[6:7]
	s_nop 0
	v_mfma_f32_16x16x4f32 a[0:3], v20, v22, a[0:3]
	s_movk_i32 s4, 0x7f
	v_cmp_gt_i16_sdwa s[6:7], v14, s4 src0_sel:BYTE_3 src1_sel:DWORD
	s_mov_b64 s[4:5], 0
                                        ; implicit-def: $sgpr10
	s_and_saveexec_b64 s[8:9], s[6:7]
	s_xor_b64 s[6:7], exec, s[8:9]
	s_cbranch_execnz .LBB11_3353
; %bb.1305:
	s_or_saveexec_b64 s[6:7], s[6:7]
	v_mov_b32_e32 v20, s10
	s_xor_b64 exec, exec, s[6:7]
	s_cbranch_execnz .LBB11_3356
.LBB11_1306:
	s_or_b64 exec, exec, s[6:7]
	s_and_saveexec_b64 s[6:7], s[4:5]
	s_cbranch_execz .LBB11_1308
.LBB11_1307:
	v_bfe_u32 v20, v14, 24, 3
	v_ffbh_u32_e32 v24, v20
	v_min_u32_e32 v24, 32, v24
	v_lshrrev_b32_e32 v22, 27, v14
	v_subrev_u32_e32 v25, 28, v24
	v_and_b32_e32 v21, 0x80000000, v14
	v_and_b32_e32 v22, 15, v22
	v_bfe_u32 v23, v14, 27, 4
	v_lshlrev_b32_sdwa v14, v25, v14 dst_sel:DWORD dst_unused:UNUSED_PAD src0_sel:DWORD src1_sel:BYTE_3
	v_sub_u32_e32 v24, 29, v24
	v_and_b32_e32 v14, 7, v14
	v_cmp_eq_u16_e32 vcc, 0, v22
	v_cndmask_b32_e32 v14, v20, v14, vcc
	v_cndmask_b32_e32 v20, v23, v24, vcc
	v_mov_b32_e32 v22, 0x3b800000
	v_lshlrev_b32_e32 v14, 20, v14
	v_lshl_add_u32 v20, v20, 23, v22
	v_or3_b32 v20, v21, v20, v14
.LBB11_1308:
	s_or_b64 exec, exec, s[6:7]
	s_movk_i32 s4, 0x7f
	v_cmp_gt_i16_sdwa s[6:7], v10, s4 src0_sel:BYTE_3 src1_sel:DWORD
	s_mov_b64 s[4:5], 0
                                        ; implicit-def: $sgpr10
	s_and_saveexec_b64 s[8:9], s[6:7]
	s_xor_b64 s[6:7], exec, s[8:9]
	s_cbranch_execnz .LBB11_3357
; %bb.1309:
	s_or_saveexec_b64 s[6:7], s[6:7]
	v_mov_b32_e32 v14, s10
	s_xor_b64 exec, exec, s[6:7]
	s_cbranch_execnz .LBB11_3360
.LBB11_1310:
	s_or_b64 exec, exec, s[6:7]
	s_and_saveexec_b64 s[6:7], s[4:5]
	s_cbranch_execz .LBB11_1312
.LBB11_1311:
	v_bfe_u32 v14, v10, 24, 3
	v_ffbh_u32_e32 v24, v14
	v_min_u32_e32 v24, 32, v24
	v_lshrrev_b32_e32 v22, 27, v10
	v_subrev_u32_e32 v25, 28, v24
	v_and_b32_e32 v21, 0x80000000, v10
	v_and_b32_e32 v22, 15, v22
	v_bfe_u32 v23, v10, 27, 4
	v_lshlrev_b32_sdwa v10, v25, v10 dst_sel:DWORD dst_unused:UNUSED_PAD src0_sel:DWORD src1_sel:BYTE_3
	v_sub_u32_e32 v24, 29, v24
	v_and_b32_e32 v10, 7, v10
	v_cmp_eq_u16_e32 vcc, 0, v22
	v_cndmask_b32_e32 v10, v14, v10, vcc
	v_cndmask_b32_e32 v14, v23, v24, vcc
	v_mov_b32_e32 v22, 0x3b800000
	v_lshlrev_b32_e32 v10, 20, v10
	v_lshl_add_u32 v14, v14, 23, v22
	v_or3_b32 v14, v21, v14, v10
.LBB11_1312:
	s_or_b64 exec, exec, s[6:7]
	s_nop 0
	v_mfma_f32_16x16x4f32 a[0:3], v20, v14, a[0:3]
	s_movk_i32 s4, 0x7f
	v_cmp_gt_i16_sdwa s[6:7], v15, s4 src0_sel:BYTE_0 src1_sel:DWORD
	s_mov_b64 s[4:5], 0
                                        ; implicit-def: $sgpr10
	s_and_saveexec_b64 s[8:9], s[6:7]
	s_xor_b64 s[6:7], exec, s[8:9]
	s_cbranch_execnz .LBB11_3361
; %bb.1313:
	s_or_saveexec_b64 s[6:7], s[6:7]
	v_mov_b32_e32 v10, s10
	s_xor_b64 exec, exec, s[6:7]
	s_cbranch_execnz .LBB11_3364
.LBB11_1314:
	s_or_b64 exec, exec, s[6:7]
	s_and_saveexec_b64 s[6:7], s[4:5]
	s_cbranch_execz .LBB11_1316
.LBB11_1315:
	v_and_b32_e32 v10, 7, v15
	v_ffbh_u32_e32 v20, v10
	v_min_u32_e32 v20, 32, v20
	v_lshrrev_b16_e32 v14, 3, v15
	v_subrev_u32_e32 v21, 28, v20
	v_and_b32_e32 v14, 15, v14
	v_lshlrev_b32_e32 v21, v21, v15
	v_sub_u32_e32 v20, 29, v20
	v_and_b32_e32 v21, 7, v21
	v_cmp_eq_u16_e32 vcc, 0, v14
	v_cndmask_b32_e32 v10, v10, v21, vcc
	v_cndmask_b32_e32 v14, v14, v20, vcc
	v_lshlrev_b32_e32 v20, 24, v15
	v_mov_b32_e32 v21, 0x3b800000
	v_lshlrev_b32_e32 v10, 20, v10
	v_and_b32_e32 v20, 0x80000000, v20
	v_lshl_add_u32 v14, v14, 23, v21
	v_or3_b32 v10, v20, v14, v10
.LBB11_1316:
	s_or_b64 exec, exec, s[6:7]
	s_movk_i32 s4, 0x7f
	v_cmp_gt_i16_sdwa s[6:7], v11, s4 src0_sel:BYTE_0 src1_sel:DWORD
	s_mov_b64 s[4:5], 0
                                        ; implicit-def: $sgpr10
	s_and_saveexec_b64 s[8:9], s[6:7]
	s_xor_b64 s[6:7], exec, s[8:9]
	s_cbranch_execnz .LBB11_3365
; %bb.1317:
	s_or_saveexec_b64 s[6:7], s[6:7]
	v_mov_b32_e32 v14, s10
	s_xor_b64 exec, exec, s[6:7]
	s_cbranch_execnz .LBB11_3368
.LBB11_1318:
	s_or_b64 exec, exec, s[6:7]
	s_and_saveexec_b64 s[6:7], s[4:5]
	s_cbranch_execz .LBB11_1320
.LBB11_1319:
	v_and_b32_e32 v14, 7, v11
	v_ffbh_u32_e32 v21, v14
	v_min_u32_e32 v21, 32, v21
	v_lshrrev_b16_e32 v20, 3, v11
	v_subrev_u32_e32 v22, 28, v21
	v_and_b32_e32 v20, 15, v20
	v_lshlrev_b32_e32 v22, v22, v11
	v_sub_u32_e32 v21, 29, v21
	v_and_b32_e32 v22, 7, v22
	v_cmp_eq_u16_e32 vcc, 0, v20
	v_cndmask_b32_e32 v14, v14, v22, vcc
	v_cndmask_b32_e32 v20, v20, v21, vcc
	v_lshlrev_b32_e32 v21, 24, v11
	v_mov_b32_e32 v22, 0x3b800000
	v_lshlrev_b32_e32 v14, 20, v14
	v_and_b32_e32 v21, 0x80000000, v21
	v_lshl_add_u32 v20, v20, 23, v22
	v_or3_b32 v14, v21, v20, v14
.LBB11_1320:
	s_or_b64 exec, exec, s[6:7]
	s_nop 0
	v_mfma_f32_16x16x4f32 a[0:3], v10, v14, a[0:3]
	v_lshrrev_b32_e32 v14, 8, v15
	s_movk_i32 s4, 0x7f
	v_cmp_gt_i16_sdwa s[6:7], v14, s4 src0_sel:BYTE_0 src1_sel:DWORD
	s_mov_b64 s[4:5], 0
                                        ; implicit-def: $sgpr10
	s_and_saveexec_b64 s[8:9], s[6:7]
	s_xor_b64 s[6:7], exec, s[8:9]
	s_cbranch_execnz .LBB11_3369
; %bb.1321:
	s_or_saveexec_b64 s[6:7], s[6:7]
	v_mov_b32_e32 v10, s10
	s_xor_b64 exec, exec, s[6:7]
	s_cbranch_execnz .LBB11_3372
.LBB11_1322:
	s_or_b64 exec, exec, s[6:7]
	s_and_saveexec_b64 s[6:7], s[4:5]
	s_cbranch_execz .LBB11_1324
.LBB11_1323:
	v_bfe_u32 v10, v15, 8, 3
	v_ffbh_u32_e32 v21, v10
	v_min_u32_e32 v21, 32, v21
	v_lshrrev_b16_e32 v20, 3, v14
	v_subrev_u32_e32 v22, 28, v21
	v_and_b32_e32 v20, 15, v20
	v_lshlrev_b32_e32 v14, v22, v14
	v_sub_u32_e32 v21, 29, v21
	v_and_b32_e32 v14, 7, v14
	v_cmp_eq_u16_e32 vcc, 0, v20
	v_cndmask_b32_e32 v10, v10, v14, vcc
	v_cndmask_b32_e32 v14, v20, v21, vcc
	v_lshlrev_b32_e32 v20, 16, v15
	v_mov_b32_e32 v21, 0x3b800000
	v_lshlrev_b32_e32 v10, 20, v10
	v_and_b32_e32 v20, 0x80000000, v20
	v_lshl_add_u32 v14, v14, 23, v21
	v_or3_b32 v10, v20, v14, v10
.LBB11_1324:
	s_or_b64 exec, exec, s[6:7]
	v_lshrrev_b32_e32 v14, 8, v11
	s_movk_i32 s4, 0x7f
	v_cmp_gt_i16_sdwa s[6:7], v14, s4 src0_sel:BYTE_0 src1_sel:DWORD
	s_mov_b64 s[4:5], 0
                                        ; implicit-def: $sgpr10
	s_and_saveexec_b64 s[8:9], s[6:7]
	s_xor_b64 s[6:7], exec, s[8:9]
	s_cbranch_execnz .LBB11_3373
; %bb.1325:
	s_or_saveexec_b64 s[6:7], s[6:7]
	v_mov_b32_e32 v20, s10
	s_xor_b64 exec, exec, s[6:7]
	s_cbranch_execnz .LBB11_3376
.LBB11_1326:
	s_or_b64 exec, exec, s[6:7]
	s_and_saveexec_b64 s[6:7], s[4:5]
	s_cbranch_execz .LBB11_1328
.LBB11_1327:
	v_bfe_u32 v20, v11, 8, 3
	v_ffbh_u32_e32 v22, v20
	v_min_u32_e32 v22, 32, v22
	v_lshrrev_b16_e32 v21, 3, v14
	v_subrev_u32_e32 v23, 28, v22
	v_and_b32_e32 v21, 15, v21
	v_lshlrev_b32_e32 v14, v23, v14
	v_sub_u32_e32 v22, 29, v22
	v_and_b32_e32 v14, 7, v14
	v_cmp_eq_u16_e32 vcc, 0, v21
	v_cndmask_b32_e32 v14, v20, v14, vcc
	v_cndmask_b32_e32 v20, v21, v22, vcc
	v_lshlrev_b32_e32 v21, 16, v11
	v_mov_b32_e32 v22, 0x3b800000
	v_lshlrev_b32_e32 v14, 20, v14
	v_and_b32_e32 v21, 0x80000000, v21
	v_lshl_add_u32 v20, v20, 23, v22
	v_or3_b32 v20, v21, v20, v14
.LBB11_1328:
	s_or_b64 exec, exec, s[6:7]
	s_nop 0
	v_mfma_f32_16x16x4f32 a[0:3], v10, v20, a[0:3]
	s_movk_i32 s4, 0xff
	v_and_b32_sdwa v14, v15, s4 dst_sel:DWORD dst_unused:UNUSED_PAD src0_sel:WORD_1 src1_sel:DWORD
	s_movk_i32 s4, 0x7f
	v_cmp_lt_i16_e32 vcc, s4, v14
	s_mov_b64 s[4:5], 0
                                        ; implicit-def: $sgpr10
	s_and_saveexec_b64 s[6:7], vcc
	s_xor_b64 s[6:7], exec, s[6:7]
	s_cbranch_execnz .LBB11_3377
; %bb.1329:
	s_or_saveexec_b64 s[6:7], s[6:7]
	v_mov_b32_e32 v10, s10
	s_xor_b64 exec, exec, s[6:7]
	s_cbranch_execnz .LBB11_3380
.LBB11_1330:
	s_or_b64 exec, exec, s[6:7]
	s_and_saveexec_b64 s[6:7], s[4:5]
	s_cbranch_execz .LBB11_1332
.LBB11_1331:
	v_bfe_u32 v10, v15, 16, 3
	v_ffbh_u32_e32 v21, v10
	v_min_u32_e32 v21, 32, v21
	v_lshrrev_b32_e32 v14, 19, v15
	v_subrev_u32_e32 v22, 28, v21
	v_and_b32_e32 v14, 15, v14
	v_lshlrev_b32_sdwa v22, v22, v15 dst_sel:DWORD dst_unused:UNUSED_PAD src0_sel:DWORD src1_sel:WORD_1
	v_bfe_u32 v20, v15, 19, 4
	v_sub_u32_e32 v21, 29, v21
	v_and_b32_e32 v22, 7, v22
	v_cmp_eq_u16_e32 vcc, 0, v14
	v_cndmask_b32_e32 v10, v10, v22, vcc
	v_cndmask_b32_e32 v14, v20, v21, vcc
	v_lshlrev_b32_e32 v20, 8, v15
	v_mov_b32_e32 v21, 0x3b800000
	v_lshlrev_b32_e32 v10, 20, v10
	v_and_b32_e32 v20, 0x80000000, v20
	v_lshl_add_u32 v14, v14, 23, v21
	v_or3_b32 v10, v20, v14, v10
.LBB11_1332:
	s_or_b64 exec, exec, s[6:7]
	s_movk_i32 s4, 0xff
	v_and_b32_sdwa v14, v11, s4 dst_sel:DWORD dst_unused:UNUSED_PAD src0_sel:WORD_1 src1_sel:DWORD
	s_movk_i32 s4, 0x7f
	v_cmp_lt_i16_e32 vcc, s4, v14
	s_mov_b64 s[4:5], 0
                                        ; implicit-def: $sgpr10
	s_and_saveexec_b64 s[6:7], vcc
	s_xor_b64 s[6:7], exec, s[6:7]
	s_cbranch_execnz .LBB11_3381
; %bb.1333:
	s_or_saveexec_b64 s[6:7], s[6:7]
	v_mov_b32_e32 v20, s10
	s_xor_b64 exec, exec, s[6:7]
	s_cbranch_execnz .LBB11_3384
.LBB11_1334:
	s_or_b64 exec, exec, s[6:7]
	s_and_saveexec_b64 s[6:7], s[4:5]
	s_cbranch_execz .LBB11_1336
.LBB11_1335:
	v_bfe_u32 v14, v11, 16, 3
	v_ffbh_u32_e32 v22, v14
	v_min_u32_e32 v22, 32, v22
	v_lshrrev_b32_e32 v20, 19, v11
	v_subrev_u32_e32 v23, 28, v22
	v_and_b32_e32 v20, 15, v20
	v_lshlrev_b32_sdwa v23, v23, v11 dst_sel:DWORD dst_unused:UNUSED_PAD src0_sel:DWORD src1_sel:WORD_1
	v_bfe_u32 v21, v11, 19, 4
	v_sub_u32_e32 v22, 29, v22
	v_and_b32_e32 v23, 7, v23
	v_cmp_eq_u16_e32 vcc, 0, v20
	v_cndmask_b32_e32 v14, v14, v23, vcc
	v_cndmask_b32_e32 v20, v21, v22, vcc
	v_lshlrev_b32_e32 v21, 8, v11
	v_mov_b32_e32 v22, 0x3b800000
	v_lshlrev_b32_e32 v14, 20, v14
	v_and_b32_e32 v21, 0x80000000, v21
	v_lshl_add_u32 v20, v20, 23, v22
	v_or3_b32 v20, v21, v20, v14
.LBB11_1336:
	s_or_b64 exec, exec, s[6:7]
	s_nop 0
	v_mfma_f32_16x16x4f32 a[0:3], v10, v20, a[0:3]
	s_movk_i32 s4, 0x7f
	v_cmp_gt_i16_sdwa s[6:7], v15, s4 src0_sel:BYTE_3 src1_sel:DWORD
	s_mov_b64 s[4:5], 0
                                        ; implicit-def: $sgpr10
	s_and_saveexec_b64 s[8:9], s[6:7]
	s_xor_b64 s[6:7], exec, s[8:9]
	s_cbranch_execnz .LBB11_3385
; %bb.1337:
	s_or_saveexec_b64 s[6:7], s[6:7]
	v_mov_b32_e32 v10, s10
	s_xor_b64 exec, exec, s[6:7]
	s_cbranch_execnz .LBB11_3388
.LBB11_1338:
	s_or_b64 exec, exec, s[6:7]
	s_and_saveexec_b64 s[6:7], s[4:5]
	s_cbranch_execz .LBB11_1340
.LBB11_1339:
	v_bfe_u32 v10, v15, 24, 3
	v_ffbh_u32_e32 v22, v10
	v_min_u32_e32 v22, 32, v22
	v_lshrrev_b32_e32 v20, 27, v15
	v_subrev_u32_e32 v23, 28, v22
	v_and_b32_e32 v14, 0x80000000, v15
	v_and_b32_e32 v20, 15, v20
	v_bfe_u32 v21, v15, 27, 4
	v_lshlrev_b32_sdwa v15, v23, v15 dst_sel:DWORD dst_unused:UNUSED_PAD src0_sel:DWORD src1_sel:BYTE_3
	v_sub_u32_e32 v22, 29, v22
	v_and_b32_e32 v15, 7, v15
	v_cmp_eq_u16_e32 vcc, 0, v20
	v_cndmask_b32_e32 v10, v10, v15, vcc
	v_cndmask_b32_e32 v15, v21, v22, vcc
	v_mov_b32_e32 v20, 0x3b800000
	v_lshlrev_b32_e32 v10, 20, v10
	v_lshl_add_u32 v15, v15, 23, v20
	v_or3_b32 v10, v14, v15, v10
.LBB11_1340:
	s_or_b64 exec, exec, s[6:7]
	s_movk_i32 s4, 0x7f
	v_cmp_gt_i16_sdwa s[6:7], v11, s4 src0_sel:BYTE_3 src1_sel:DWORD
	s_mov_b64 s[4:5], 0
                                        ; implicit-def: $sgpr10
	s_and_saveexec_b64 s[8:9], s[6:7]
	s_xor_b64 s[6:7], exec, s[8:9]
	s_cbranch_execnz .LBB11_3389
; %bb.1341:
	s_or_saveexec_b64 s[6:7], s[6:7]
	v_mov_b32_e32 v14, s10
	s_xor_b64 exec, exec, s[6:7]
	s_cbranch_execnz .LBB11_3392
.LBB11_1342:
	s_or_b64 exec, exec, s[6:7]
	s_and_saveexec_b64 s[6:7], s[4:5]
	s_cbranch_execz .LBB11_1344
.LBB11_1343:
	v_bfe_u32 v14, v11, 24, 3
	v_ffbh_u32_e32 v22, v14
	v_min_u32_e32 v22, 32, v22
	v_lshrrev_b32_e32 v20, 27, v11
	v_subrev_u32_e32 v23, 28, v22
	v_and_b32_e32 v15, 0x80000000, v11
	v_and_b32_e32 v20, 15, v20
	v_bfe_u32 v21, v11, 27, 4
	v_lshlrev_b32_sdwa v11, v23, v11 dst_sel:DWORD dst_unused:UNUSED_PAD src0_sel:DWORD src1_sel:BYTE_3
	v_sub_u32_e32 v22, 29, v22
	v_and_b32_e32 v11, 7, v11
	v_cmp_eq_u16_e32 vcc, 0, v20
	v_cndmask_b32_e32 v11, v14, v11, vcc
	v_cndmask_b32_e32 v14, v21, v22, vcc
	v_mov_b32_e32 v20, 0x3b800000
	v_lshlrev_b32_e32 v11, 20, v11
	v_lshl_add_u32 v14, v14, 23, v20
	v_or3_b32 v14, v15, v14, v11
.LBB11_1344:
	s_or_b64 exec, exec, s[6:7]
	s_nop 0
	v_mfma_f32_16x16x4f32 a[0:3], v10, v14, a[0:3]
	s_movk_i32 s4, 0x7f
	v_cmp_gt_i16_sdwa s[6:7], v16, s4 src0_sel:BYTE_0 src1_sel:DWORD
	s_mov_b64 s[4:5], 0
                                        ; implicit-def: $sgpr10
	s_and_saveexec_b64 s[8:9], s[6:7]
	s_xor_b64 s[6:7], exec, s[8:9]
	s_cbranch_execnz .LBB11_3393
; %bb.1345:
	s_or_saveexec_b64 s[6:7], s[6:7]
	v_mov_b32_e32 v10, s10
	s_xor_b64 exec, exec, s[6:7]
	s_cbranch_execnz .LBB11_3396
.LBB11_1346:
	s_or_b64 exec, exec, s[6:7]
	s_and_saveexec_b64 s[6:7], s[4:5]
	s_cbranch_execz .LBB11_1348
.LBB11_1347:
	v_and_b32_e32 v10, 7, v16
	v_ffbh_u32_e32 v14, v10
	v_min_u32_e32 v14, 32, v14
	v_lshrrev_b16_e32 v11, 3, v16
	v_subrev_u32_e32 v15, 28, v14
	v_and_b32_e32 v11, 15, v11
	v_lshlrev_b32_e32 v15, v15, v16
	v_sub_u32_e32 v14, 29, v14
	v_and_b32_e32 v15, 7, v15
	v_cmp_eq_u16_e32 vcc, 0, v11
	v_cndmask_b32_e32 v10, v10, v15, vcc
	v_cndmask_b32_e32 v11, v11, v14, vcc
	v_lshlrev_b32_e32 v14, 24, v16
	v_mov_b32_e32 v15, 0x3b800000
	v_lshlrev_b32_e32 v10, 20, v10
	v_and_b32_e32 v14, 0x80000000, v14
	v_lshl_add_u32 v11, v11, 23, v15
	v_or3_b32 v10, v14, v11, v10
.LBB11_1348:
	s_or_b64 exec, exec, s[6:7]
	s_movk_i32 s4, 0x7f
	v_cmp_gt_i16_sdwa s[6:7], v12, s4 src0_sel:BYTE_0 src1_sel:DWORD
	s_mov_b64 s[4:5], 0
                                        ; implicit-def: $sgpr10
	s_and_saveexec_b64 s[8:9], s[6:7]
	s_xor_b64 s[6:7], exec, s[8:9]
	s_cbranch_execnz .LBB11_3397
; %bb.1349:
	s_or_saveexec_b64 s[6:7], s[6:7]
	v_mov_b32_e32 v11, s10
	s_xor_b64 exec, exec, s[6:7]
	s_cbranch_execnz .LBB11_3400
.LBB11_1350:
	s_or_b64 exec, exec, s[6:7]
	s_and_saveexec_b64 s[6:7], s[4:5]
	s_cbranch_execz .LBB11_1352
.LBB11_1351:
	v_and_b32_e32 v11, 7, v12
	v_ffbh_u32_e32 v15, v11
	v_min_u32_e32 v15, 32, v15
	v_lshrrev_b16_e32 v14, 3, v12
	v_subrev_u32_e32 v20, 28, v15
	v_and_b32_e32 v14, 15, v14
	v_lshlrev_b32_e32 v20, v20, v12
	v_sub_u32_e32 v15, 29, v15
	v_and_b32_e32 v20, 7, v20
	v_cmp_eq_u16_e32 vcc, 0, v14
	v_cndmask_b32_e32 v11, v11, v20, vcc
	v_cndmask_b32_e32 v14, v14, v15, vcc
	v_lshlrev_b32_e32 v15, 24, v12
	v_mov_b32_e32 v20, 0x3b800000
	v_lshlrev_b32_e32 v11, 20, v11
	v_and_b32_e32 v15, 0x80000000, v15
	v_lshl_add_u32 v14, v14, 23, v20
	v_or3_b32 v11, v15, v14, v11
.LBB11_1352:
	s_or_b64 exec, exec, s[6:7]
	s_nop 0
	v_mfma_f32_16x16x4f32 a[0:3], v10, v11, a[0:3]
	v_lshrrev_b32_e32 v11, 8, v16
	s_movk_i32 s4, 0x7f
	v_cmp_gt_i16_sdwa s[6:7], v11, s4 src0_sel:BYTE_0 src1_sel:DWORD
	s_mov_b64 s[4:5], 0
                                        ; implicit-def: $sgpr10
	s_and_saveexec_b64 s[8:9], s[6:7]
	s_xor_b64 s[6:7], exec, s[8:9]
	s_cbranch_execnz .LBB11_3401
; %bb.1353:
	s_or_saveexec_b64 s[6:7], s[6:7]
	v_mov_b32_e32 v10, s10
	s_xor_b64 exec, exec, s[6:7]
	s_cbranch_execnz .LBB11_3404
.LBB11_1354:
	s_or_b64 exec, exec, s[6:7]
	s_and_saveexec_b64 s[6:7], s[4:5]
	s_cbranch_execz .LBB11_1356
.LBB11_1355:
	v_bfe_u32 v10, v16, 8, 3
	v_ffbh_u32_e32 v15, v10
	v_min_u32_e32 v15, 32, v15
	v_lshrrev_b16_e32 v14, 3, v11
	v_subrev_u32_e32 v20, 28, v15
	v_and_b32_e32 v14, 15, v14
	v_lshlrev_b32_e32 v11, v20, v11
	v_sub_u32_e32 v15, 29, v15
	v_and_b32_e32 v11, 7, v11
	v_cmp_eq_u16_e32 vcc, 0, v14
	v_cndmask_b32_e32 v10, v10, v11, vcc
	v_cndmask_b32_e32 v11, v14, v15, vcc
	v_lshlrev_b32_e32 v14, 16, v16
	v_mov_b32_e32 v15, 0x3b800000
	v_lshlrev_b32_e32 v10, 20, v10
	v_and_b32_e32 v14, 0x80000000, v14
	v_lshl_add_u32 v11, v11, 23, v15
	v_or3_b32 v10, v14, v11, v10
.LBB11_1356:
	s_or_b64 exec, exec, s[6:7]
	v_lshrrev_b32_e32 v11, 8, v12
	s_movk_i32 s4, 0x7f
	v_cmp_gt_i16_sdwa s[6:7], v11, s4 src0_sel:BYTE_0 src1_sel:DWORD
	s_mov_b64 s[4:5], 0
                                        ; implicit-def: $sgpr10
	s_and_saveexec_b64 s[8:9], s[6:7]
	s_xor_b64 s[6:7], exec, s[8:9]
	s_cbranch_execnz .LBB11_3405
; %bb.1357:
	s_or_saveexec_b64 s[6:7], s[6:7]
	v_mov_b32_e32 v14, s10
	s_xor_b64 exec, exec, s[6:7]
	s_cbranch_execnz .LBB11_3408
.LBB11_1358:
	s_or_b64 exec, exec, s[6:7]
	s_and_saveexec_b64 s[6:7], s[4:5]
	s_cbranch_execz .LBB11_1360
.LBB11_1359:
	v_bfe_u32 v14, v12, 8, 3
	v_ffbh_u32_e32 v20, v14
	v_min_u32_e32 v20, 32, v20
	v_lshrrev_b16_e32 v15, 3, v11
	v_subrev_u32_e32 v21, 28, v20
	v_and_b32_e32 v15, 15, v15
	v_lshlrev_b32_e32 v11, v21, v11
	v_sub_u32_e32 v20, 29, v20
	v_and_b32_e32 v11, 7, v11
	v_cmp_eq_u16_e32 vcc, 0, v15
	v_cndmask_b32_e32 v11, v14, v11, vcc
	v_cndmask_b32_e32 v14, v15, v20, vcc
	v_lshlrev_b32_e32 v15, 16, v12
	v_mov_b32_e32 v20, 0x3b800000
	v_lshlrev_b32_e32 v11, 20, v11
	v_and_b32_e32 v15, 0x80000000, v15
	v_lshl_add_u32 v14, v14, 23, v20
	v_or3_b32 v14, v15, v14, v11
.LBB11_1360:
	s_or_b64 exec, exec, s[6:7]
	s_nop 0
	v_mfma_f32_16x16x4f32 a[0:3], v10, v14, a[0:3]
	s_movk_i32 s4, 0xff
	v_and_b32_sdwa v11, v16, s4 dst_sel:DWORD dst_unused:UNUSED_PAD src0_sel:WORD_1 src1_sel:DWORD
	s_movk_i32 s4, 0x7f
	v_cmp_lt_i16_e32 vcc, s4, v11
	s_mov_b64 s[4:5], 0
                                        ; implicit-def: $sgpr10
	s_and_saveexec_b64 s[6:7], vcc
	s_xor_b64 s[6:7], exec, s[6:7]
	s_cbranch_execnz .LBB11_3409
; %bb.1361:
	s_or_saveexec_b64 s[6:7], s[6:7]
	v_mov_b32_e32 v10, s10
	s_xor_b64 exec, exec, s[6:7]
	s_cbranch_execnz .LBB11_3412
.LBB11_1362:
	s_or_b64 exec, exec, s[6:7]
	s_and_saveexec_b64 s[6:7], s[4:5]
	s_cbranch_execz .LBB11_1364
.LBB11_1363:
	v_bfe_u32 v10, v16, 16, 3
	v_ffbh_u32_e32 v15, v10
	v_min_u32_e32 v15, 32, v15
	v_lshrrev_b32_e32 v11, 19, v16
	v_subrev_u32_e32 v20, 28, v15
	v_and_b32_e32 v11, 15, v11
	v_lshlrev_b32_sdwa v20, v20, v16 dst_sel:DWORD dst_unused:UNUSED_PAD src0_sel:DWORD src1_sel:WORD_1
	v_bfe_u32 v14, v16, 19, 4
	v_sub_u32_e32 v15, 29, v15
	v_and_b32_e32 v20, 7, v20
	v_cmp_eq_u16_e32 vcc, 0, v11
	v_cndmask_b32_e32 v10, v10, v20, vcc
	v_cndmask_b32_e32 v11, v14, v15, vcc
	v_lshlrev_b32_e32 v14, 8, v16
	v_mov_b32_e32 v15, 0x3b800000
	v_lshlrev_b32_e32 v10, 20, v10
	v_and_b32_e32 v14, 0x80000000, v14
	v_lshl_add_u32 v11, v11, 23, v15
	v_or3_b32 v10, v14, v11, v10
.LBB11_1364:
	s_or_b64 exec, exec, s[6:7]
	s_movk_i32 s4, 0xff
	v_and_b32_sdwa v11, v12, s4 dst_sel:DWORD dst_unused:UNUSED_PAD src0_sel:WORD_1 src1_sel:DWORD
	s_movk_i32 s4, 0x7f
	v_cmp_lt_i16_e32 vcc, s4, v11
	s_mov_b64 s[4:5], 0
                                        ; implicit-def: $sgpr10
	s_and_saveexec_b64 s[6:7], vcc
	s_xor_b64 s[6:7], exec, s[6:7]
	s_cbranch_execnz .LBB11_3413
; %bb.1365:
	s_or_saveexec_b64 s[6:7], s[6:7]
	v_mov_b32_e32 v14, s10
	s_xor_b64 exec, exec, s[6:7]
	s_cbranch_execnz .LBB11_3416
.LBB11_1366:
	s_or_b64 exec, exec, s[6:7]
	s_and_saveexec_b64 s[6:7], s[4:5]
	s_cbranch_execz .LBB11_1368
.LBB11_1367:
	v_bfe_u32 v11, v12, 16, 3
	v_ffbh_u32_e32 v20, v11
	v_min_u32_e32 v20, 32, v20
	v_lshrrev_b32_e32 v14, 19, v12
	v_subrev_u32_e32 v21, 28, v20
	v_and_b32_e32 v14, 15, v14
	v_lshlrev_b32_sdwa v21, v21, v12 dst_sel:DWORD dst_unused:UNUSED_PAD src0_sel:DWORD src1_sel:WORD_1
	v_bfe_u32 v15, v12, 19, 4
	v_sub_u32_e32 v20, 29, v20
	v_and_b32_e32 v21, 7, v21
	v_cmp_eq_u16_e32 vcc, 0, v14
	v_cndmask_b32_e32 v11, v11, v21, vcc
	v_cndmask_b32_e32 v14, v15, v20, vcc
	v_lshlrev_b32_e32 v15, 8, v12
	v_mov_b32_e32 v20, 0x3b800000
	v_lshlrev_b32_e32 v11, 20, v11
	v_and_b32_e32 v15, 0x80000000, v15
	v_lshl_add_u32 v14, v14, 23, v20
	v_or3_b32 v14, v15, v14, v11
.LBB11_1368:
	s_or_b64 exec, exec, s[6:7]
	s_nop 0
	v_mfma_f32_16x16x4f32 a[0:3], v10, v14, a[0:3]
	s_movk_i32 s4, 0x7f
	v_cmp_gt_i16_sdwa s[6:7], v16, s4 src0_sel:BYTE_3 src1_sel:DWORD
	s_mov_b64 s[4:5], 0
                                        ; implicit-def: $sgpr10
	s_and_saveexec_b64 s[8:9], s[6:7]
	s_xor_b64 s[6:7], exec, s[8:9]
	s_cbranch_execnz .LBB11_3417
; %bb.1369:
	s_or_saveexec_b64 s[6:7], s[6:7]
	v_mov_b32_e32 v10, s10
	s_xor_b64 exec, exec, s[6:7]
	s_cbranch_execnz .LBB11_3420
.LBB11_1370:
	s_or_b64 exec, exec, s[6:7]
	s_and_saveexec_b64 s[6:7], s[4:5]
	s_cbranch_execz .LBB11_1372
.LBB11_1371:
	v_bfe_u32 v10, v16, 24, 3
	v_ffbh_u32_e32 v20, v10
	v_min_u32_e32 v20, 32, v20
	v_lshrrev_b32_e32 v14, 27, v16
	v_subrev_u32_e32 v21, 28, v20
	v_and_b32_e32 v11, 0x80000000, v16
	v_and_b32_e32 v14, 15, v14
	v_bfe_u32 v15, v16, 27, 4
	v_lshlrev_b32_sdwa v16, v21, v16 dst_sel:DWORD dst_unused:UNUSED_PAD src0_sel:DWORD src1_sel:BYTE_3
	v_sub_u32_e32 v20, 29, v20
	v_and_b32_e32 v16, 7, v16
	v_cmp_eq_u16_e32 vcc, 0, v14
	v_cndmask_b32_e32 v10, v10, v16, vcc
	v_cndmask_b32_e32 v14, v15, v20, vcc
	v_mov_b32_e32 v15, 0x3b800000
	v_lshlrev_b32_e32 v10, 20, v10
	v_lshl_add_u32 v14, v14, 23, v15
	v_or3_b32 v10, v11, v14, v10
.LBB11_1372:
	s_or_b64 exec, exec, s[6:7]
	s_movk_i32 s4, 0x7f
	v_cmp_gt_i16_sdwa s[6:7], v12, s4 src0_sel:BYTE_3 src1_sel:DWORD
	s_mov_b64 s[4:5], 0
                                        ; implicit-def: $sgpr10
	s_and_saveexec_b64 s[8:9], s[6:7]
	s_xor_b64 s[6:7], exec, s[8:9]
	s_cbranch_execnz .LBB11_3421
; %bb.1373:
	s_or_saveexec_b64 s[6:7], s[6:7]
	v_mov_b32_e32 v11, s10
	s_xor_b64 exec, exec, s[6:7]
	s_cbranch_execnz .LBB11_3424
.LBB11_1374:
	s_or_b64 exec, exec, s[6:7]
	s_and_saveexec_b64 s[6:7], s[4:5]
	s_cbranch_execz .LBB11_1376
.LBB11_1375:
	v_bfe_u32 v11, v12, 24, 3
	v_ffbh_u32_e32 v20, v11
	v_min_u32_e32 v20, 32, v20
	v_lshrrev_b32_e32 v15, 27, v12
	v_subrev_u32_e32 v21, 28, v20
	v_and_b32_e32 v14, 0x80000000, v12
	v_and_b32_e32 v15, 15, v15
	v_bfe_u32 v16, v12, 27, 4
	v_lshlrev_b32_sdwa v12, v21, v12 dst_sel:DWORD dst_unused:UNUSED_PAD src0_sel:DWORD src1_sel:BYTE_3
	v_sub_u32_e32 v20, 29, v20
	v_and_b32_e32 v12, 7, v12
	v_cmp_eq_u16_e32 vcc, 0, v15
	v_cndmask_b32_e32 v11, v11, v12, vcc
	v_cndmask_b32_e32 v12, v16, v20, vcc
	v_mov_b32_e32 v15, 0x3b800000
	v_lshlrev_b32_e32 v11, 20, v11
	v_lshl_add_u32 v12, v12, 23, v15
	v_or3_b32 v11, v14, v12, v11
.LBB11_1376:
	s_or_b64 exec, exec, s[6:7]
	s_nop 0
	v_mfma_f32_16x16x4f32 a[0:3], v10, v11, a[0:3]
	s_movk_i32 s4, 0x7f
	v_cmp_gt_i16_sdwa s[6:7], v17, s4 src0_sel:BYTE_0 src1_sel:DWORD
	s_mov_b64 s[4:5], 0
                                        ; implicit-def: $sgpr10
	s_and_saveexec_b64 s[8:9], s[6:7]
	s_xor_b64 s[6:7], exec, s[8:9]
	s_cbranch_execnz .LBB11_3425
; %bb.1377:
	s_or_saveexec_b64 s[6:7], s[6:7]
	v_mov_b32_e32 v10, s10
	s_xor_b64 exec, exec, s[6:7]
	s_cbranch_execnz .LBB11_3428
.LBB11_1378:
	s_or_b64 exec, exec, s[6:7]
	s_and_saveexec_b64 s[6:7], s[4:5]
	s_cbranch_execz .LBB11_1380
.LBB11_1379:
	v_and_b32_e32 v10, 7, v17
	v_ffbh_u32_e32 v12, v10
	v_min_u32_e32 v12, 32, v12
	v_lshrrev_b16_e32 v11, 3, v17
	v_subrev_u32_e32 v14, 28, v12
	v_and_b32_e32 v11, 15, v11
	v_lshlrev_b32_e32 v14, v14, v17
	v_sub_u32_e32 v12, 29, v12
	v_and_b32_e32 v14, 7, v14
	v_cmp_eq_u16_e32 vcc, 0, v11
	v_cndmask_b32_e32 v10, v10, v14, vcc
	v_cndmask_b32_e32 v11, v11, v12, vcc
	v_lshlrev_b32_e32 v12, 24, v17
	v_mov_b32_e32 v14, 0x3b800000
	v_lshlrev_b32_e32 v10, 20, v10
	v_and_b32_e32 v12, 0x80000000, v12
	v_lshl_add_u32 v11, v11, 23, v14
	v_or3_b32 v10, v12, v11, v10
.LBB11_1380:
	s_or_b64 exec, exec, s[6:7]
	s_movk_i32 s4, 0x7f
	v_cmp_gt_i16_sdwa s[6:7], v13, s4 src0_sel:BYTE_0 src1_sel:DWORD
	s_mov_b64 s[4:5], 0
                                        ; implicit-def: $sgpr10
	s_and_saveexec_b64 s[8:9], s[6:7]
	s_xor_b64 s[6:7], exec, s[8:9]
	s_cbranch_execnz .LBB11_3429
; %bb.1381:
	s_or_saveexec_b64 s[6:7], s[6:7]
	v_mov_b32_e32 v11, s10
	s_xor_b64 exec, exec, s[6:7]
	s_cbranch_execnz .LBB11_3432
.LBB11_1382:
	s_or_b64 exec, exec, s[6:7]
	s_and_saveexec_b64 s[6:7], s[4:5]
	s_cbranch_execz .LBB11_1384
.LBB11_1383:
	v_and_b32_e32 v11, 7, v13
	v_ffbh_u32_e32 v14, v11
	v_min_u32_e32 v14, 32, v14
	v_lshrrev_b16_e32 v12, 3, v13
	v_subrev_u32_e32 v15, 28, v14
	v_and_b32_e32 v12, 15, v12
	v_lshlrev_b32_e32 v15, v15, v13
	v_sub_u32_e32 v14, 29, v14
	v_and_b32_e32 v15, 7, v15
	v_cmp_eq_u16_e32 vcc, 0, v12
	v_cndmask_b32_e32 v11, v11, v15, vcc
	v_cndmask_b32_e32 v12, v12, v14, vcc
	v_lshlrev_b32_e32 v14, 24, v13
	v_mov_b32_e32 v15, 0x3b800000
	v_lshlrev_b32_e32 v11, 20, v11
	v_and_b32_e32 v14, 0x80000000, v14
	v_lshl_add_u32 v12, v12, 23, v15
	v_or3_b32 v11, v14, v12, v11
.LBB11_1384:
	s_or_b64 exec, exec, s[6:7]
	s_nop 0
	v_mfma_f32_16x16x4f32 a[0:3], v10, v11, a[0:3]
	v_lshrrev_b32_e32 v11, 8, v17
	s_movk_i32 s4, 0x7f
	v_cmp_gt_i16_sdwa s[6:7], v11, s4 src0_sel:BYTE_0 src1_sel:DWORD
	s_mov_b64 s[4:5], 0
                                        ; implicit-def: $sgpr10
	s_and_saveexec_b64 s[8:9], s[6:7]
	s_xor_b64 s[6:7], exec, s[8:9]
	s_cbranch_execnz .LBB11_3433
; %bb.1385:
	s_or_saveexec_b64 s[6:7], s[6:7]
	v_mov_b32_e32 v10, s10
	s_xor_b64 exec, exec, s[6:7]
	s_cbranch_execnz .LBB11_3436
.LBB11_1386:
	s_or_b64 exec, exec, s[6:7]
	s_and_saveexec_b64 s[6:7], s[4:5]
	s_cbranch_execz .LBB11_1388
.LBB11_1387:
	v_bfe_u32 v10, v17, 8, 3
	v_ffbh_u32_e32 v14, v10
	v_min_u32_e32 v14, 32, v14
	v_lshrrev_b16_e32 v12, 3, v11
	v_subrev_u32_e32 v15, 28, v14
	v_and_b32_e32 v12, 15, v12
	v_lshlrev_b32_e32 v11, v15, v11
	v_sub_u32_e32 v14, 29, v14
	v_and_b32_e32 v11, 7, v11
	v_cmp_eq_u16_e32 vcc, 0, v12
	v_cndmask_b32_e32 v10, v10, v11, vcc
	v_cndmask_b32_e32 v11, v12, v14, vcc
	v_lshlrev_b32_e32 v12, 16, v17
	v_mov_b32_e32 v14, 0x3b800000
	v_lshlrev_b32_e32 v10, 20, v10
	v_and_b32_e32 v12, 0x80000000, v12
	v_lshl_add_u32 v11, v11, 23, v14
	v_or3_b32 v10, v12, v11, v10
.LBB11_1388:
	s_or_b64 exec, exec, s[6:7]
	v_lshrrev_b32_e32 v11, 8, v13
	s_movk_i32 s4, 0x7f
	v_cmp_gt_i16_sdwa s[6:7], v11, s4 src0_sel:BYTE_0 src1_sel:DWORD
	s_mov_b64 s[4:5], 0
                                        ; implicit-def: $sgpr10
	s_and_saveexec_b64 s[8:9], s[6:7]
	s_xor_b64 s[6:7], exec, s[8:9]
	s_cbranch_execnz .LBB11_3437
; %bb.1389:
	s_or_saveexec_b64 s[6:7], s[6:7]
	v_mov_b32_e32 v12, s10
	s_xor_b64 exec, exec, s[6:7]
	s_cbranch_execnz .LBB11_3440
.LBB11_1390:
	s_or_b64 exec, exec, s[6:7]
	s_and_saveexec_b64 s[6:7], s[4:5]
	s_cbranch_execz .LBB11_1392
.LBB11_1391:
	v_bfe_u32 v12, v13, 8, 3
	v_ffbh_u32_e32 v15, v12
	v_min_u32_e32 v15, 32, v15
	v_lshrrev_b16_e32 v14, 3, v11
	v_subrev_u32_e32 v16, 28, v15
	v_and_b32_e32 v14, 15, v14
	v_lshlrev_b32_e32 v11, v16, v11
	v_sub_u32_e32 v15, 29, v15
	v_and_b32_e32 v11, 7, v11
	v_cmp_eq_u16_e32 vcc, 0, v14
	v_cndmask_b32_e32 v11, v12, v11, vcc
	v_cndmask_b32_e32 v12, v14, v15, vcc
	v_lshlrev_b32_e32 v14, 16, v13
	v_mov_b32_e32 v15, 0x3b800000
	v_lshlrev_b32_e32 v11, 20, v11
	v_and_b32_e32 v14, 0x80000000, v14
	v_lshl_add_u32 v12, v12, 23, v15
	v_or3_b32 v12, v14, v12, v11
.LBB11_1392:
	s_or_b64 exec, exec, s[6:7]
	s_nop 0
	v_mfma_f32_16x16x4f32 a[0:3], v10, v12, a[0:3]
	s_movk_i32 s4, 0xff
	v_and_b32_sdwa v11, v17, s4 dst_sel:DWORD dst_unused:UNUSED_PAD src0_sel:WORD_1 src1_sel:DWORD
	s_movk_i32 s4, 0x7f
	v_cmp_lt_i16_e32 vcc, s4, v11
	s_mov_b64 s[4:5], 0
                                        ; implicit-def: $sgpr10
	s_and_saveexec_b64 s[6:7], vcc
	s_xor_b64 s[6:7], exec, s[6:7]
	s_cbranch_execnz .LBB11_3441
; %bb.1393:
	s_or_saveexec_b64 s[6:7], s[6:7]
	v_mov_b32_e32 v10, s10
	s_xor_b64 exec, exec, s[6:7]
	s_cbranch_execnz .LBB11_3444
.LBB11_1394:
	s_or_b64 exec, exec, s[6:7]
	s_and_saveexec_b64 s[6:7], s[4:5]
	s_cbranch_execz .LBB11_1396
.LBB11_1395:
	v_bfe_u32 v10, v17, 16, 3
	v_ffbh_u32_e32 v14, v10
	v_min_u32_e32 v14, 32, v14
	v_lshrrev_b32_e32 v11, 19, v17
	v_subrev_u32_e32 v15, 28, v14
	v_and_b32_e32 v11, 15, v11
	v_lshlrev_b32_sdwa v15, v15, v17 dst_sel:DWORD dst_unused:UNUSED_PAD src0_sel:DWORD src1_sel:WORD_1
	v_bfe_u32 v12, v17, 19, 4
	v_sub_u32_e32 v14, 29, v14
	v_and_b32_e32 v15, 7, v15
	v_cmp_eq_u16_e32 vcc, 0, v11
	v_cndmask_b32_e32 v10, v10, v15, vcc
	v_cndmask_b32_e32 v11, v12, v14, vcc
	v_lshlrev_b32_e32 v12, 8, v17
	v_mov_b32_e32 v14, 0x3b800000
	v_lshlrev_b32_e32 v10, 20, v10
	v_and_b32_e32 v12, 0x80000000, v12
	v_lshl_add_u32 v11, v11, 23, v14
	v_or3_b32 v10, v12, v11, v10
.LBB11_1396:
	s_or_b64 exec, exec, s[6:7]
	s_movk_i32 s4, 0xff
	v_and_b32_sdwa v11, v13, s4 dst_sel:DWORD dst_unused:UNUSED_PAD src0_sel:WORD_1 src1_sel:DWORD
	s_movk_i32 s4, 0x7f
	v_cmp_lt_i16_e32 vcc, s4, v11
	s_mov_b64 s[4:5], 0
                                        ; implicit-def: $sgpr10
	s_and_saveexec_b64 s[6:7], vcc
	s_xor_b64 s[6:7], exec, s[6:7]
	s_cbranch_execnz .LBB11_3445
; %bb.1397:
	s_or_saveexec_b64 s[6:7], s[6:7]
	v_mov_b32_e32 v12, s10
	s_xor_b64 exec, exec, s[6:7]
	s_cbranch_execnz .LBB11_3448
.LBB11_1398:
	s_or_b64 exec, exec, s[6:7]
	s_and_saveexec_b64 s[6:7], s[4:5]
	s_cbranch_execz .LBB11_1400
.LBB11_1399:
	v_bfe_u32 v11, v13, 16, 3
	v_ffbh_u32_e32 v15, v11
	v_min_u32_e32 v15, 32, v15
	v_lshrrev_b32_e32 v12, 19, v13
	v_subrev_u32_e32 v16, 28, v15
	v_and_b32_e32 v12, 15, v12
	v_lshlrev_b32_sdwa v16, v16, v13 dst_sel:DWORD dst_unused:UNUSED_PAD src0_sel:DWORD src1_sel:WORD_1
	v_bfe_u32 v14, v13, 19, 4
	v_sub_u32_e32 v15, 29, v15
	v_and_b32_e32 v16, 7, v16
	v_cmp_eq_u16_e32 vcc, 0, v12
	v_cndmask_b32_e32 v11, v11, v16, vcc
	v_cndmask_b32_e32 v12, v14, v15, vcc
	v_lshlrev_b32_e32 v14, 8, v13
	v_mov_b32_e32 v15, 0x3b800000
	v_lshlrev_b32_e32 v11, 20, v11
	v_and_b32_e32 v14, 0x80000000, v14
	v_lshl_add_u32 v12, v12, 23, v15
	v_or3_b32 v12, v14, v12, v11
.LBB11_1400:
	s_or_b64 exec, exec, s[6:7]
	s_nop 0
	v_mfma_f32_16x16x4f32 a[0:3], v10, v12, a[0:3]
	s_movk_i32 s4, 0x7f
	v_cmp_gt_i16_sdwa s[6:7], v17, s4 src0_sel:BYTE_3 src1_sel:DWORD
	s_mov_b64 s[4:5], 0
                                        ; implicit-def: $sgpr10
	s_and_saveexec_b64 s[8:9], s[6:7]
	s_xor_b64 s[6:7], exec, s[8:9]
	s_cbranch_execnz .LBB11_3449
; %bb.1401:
	s_or_saveexec_b64 s[6:7], s[6:7]
	v_mov_b32_e32 v10, s10
	s_xor_b64 exec, exec, s[6:7]
	s_cbranch_execnz .LBB11_3452
.LBB11_1402:
	s_or_b64 exec, exec, s[6:7]
	s_and_saveexec_b64 s[6:7], s[4:5]
	s_cbranch_execz .LBB11_1404
.LBB11_1403:
	v_bfe_u32 v10, v17, 24, 3
	v_ffbh_u32_e32 v15, v10
	v_min_u32_e32 v15, 32, v15
	v_lshrrev_b32_e32 v12, 27, v17
	v_subrev_u32_e32 v16, 28, v15
	v_and_b32_e32 v12, 15, v12
	v_lshlrev_b32_sdwa v16, v16, v17 dst_sel:DWORD dst_unused:UNUSED_PAD src0_sel:DWORD src1_sel:BYTE_3
	v_bfe_u32 v14, v17, 27, 4
	v_sub_u32_e32 v15, 29, v15
	v_and_b32_e32 v16, 7, v16
	v_cmp_eq_u16_e32 vcc, 0, v12
	v_cndmask_b32_e32 v10, v10, v16, vcc
	v_cndmask_b32_e32 v12, v14, v15, vcc
	v_mov_b32_e32 v14, 0x3b800000
	v_and_b32_e32 v11, 0x80000000, v17
	v_lshlrev_b32_e32 v10, 20, v10
	v_lshl_add_u32 v12, v12, 23, v14
	v_or3_b32 v10, v11, v12, v10
.LBB11_1404:
	s_or_b64 exec, exec, s[6:7]
	s_movk_i32 s4, 0x7f
	v_cmp_gt_i16_sdwa s[6:7], v13, s4 src0_sel:BYTE_3 src1_sel:DWORD
	s_mov_b64 s[4:5], 0
                                        ; implicit-def: $sgpr10
	s_and_saveexec_b64 s[8:9], s[6:7]
	s_xor_b64 s[6:7], exec, s[8:9]
	s_cbranch_execnz .LBB11_3453
; %bb.1405:
	s_or_saveexec_b64 s[6:7], s[6:7]
	v_mov_b32_e32 v11, s10
	s_xor_b64 exec, exec, s[6:7]
	s_cbranch_execnz .LBB11_3456
.LBB11_1406:
	s_or_b64 exec, exec, s[6:7]
	s_and_saveexec_b64 s[6:7], s[4:5]
	s_cbranch_execz .LBB11_1408
.LBB11_1407:
	v_bfe_u32 v11, v13, 24, 3
	v_ffbh_u32_e32 v16, v11
	v_min_u32_e32 v16, 32, v16
	v_lshrrev_b32_e32 v14, 27, v13
	v_subrev_u32_e32 v17, 28, v16
	v_and_b32_e32 v12, 0x80000000, v13
	v_and_b32_e32 v14, 15, v14
	v_bfe_u32 v15, v13, 27, 4
	v_lshlrev_b32_sdwa v13, v17, v13 dst_sel:DWORD dst_unused:UNUSED_PAD src0_sel:DWORD src1_sel:BYTE_3
	v_sub_u32_e32 v16, 29, v16
	v_and_b32_e32 v13, 7, v13
	v_cmp_eq_u16_e32 vcc, 0, v14
	v_cndmask_b32_e32 v11, v11, v13, vcc
	v_cndmask_b32_e32 v13, v15, v16, vcc
	v_mov_b32_e32 v14, 0x3b800000
	v_lshlrev_b32_e32 v11, 20, v11
	v_lshl_add_u32 v13, v13, 23, v14
	v_or3_b32 v11, v12, v13, v11
.LBB11_1408:
	s_or_b64 exec, exec, s[6:7]
	s_nop 0
	v_mfma_f32_16x16x4f32 a[0:3], v10, v11, a[0:3]
	s_movk_i32 s4, 0x7f
	v_cmp_gt_i16_sdwa s[6:7], v6, s4 src0_sel:BYTE_0 src1_sel:DWORD
	s_mov_b64 s[4:5], 0
                                        ; implicit-def: $sgpr10
	s_and_saveexec_b64 s[8:9], s[6:7]
	s_xor_b64 s[6:7], exec, s[8:9]
	s_cbranch_execnz .LBB11_3457
; %bb.1409:
	s_or_saveexec_b64 s[6:7], s[6:7]
	v_mov_b32_e32 v10, s10
	s_xor_b64 exec, exec, s[6:7]
	s_cbranch_execnz .LBB11_3460
.LBB11_1410:
	s_or_b64 exec, exec, s[6:7]
	s_and_saveexec_b64 s[6:7], s[4:5]
	s_cbranch_execz .LBB11_1412
.LBB11_1411:
	v_and_b32_e32 v10, 7, v6
	v_ffbh_u32_e32 v12, v10
	v_min_u32_e32 v12, 32, v12
	v_lshrrev_b16_e32 v11, 3, v6
	v_subrev_u32_e32 v13, 28, v12
	v_and_b32_e32 v11, 15, v11
	v_lshlrev_b32_e32 v13, v13, v6
	v_sub_u32_e32 v12, 29, v12
	v_and_b32_e32 v13, 7, v13
	v_cmp_eq_u16_e32 vcc, 0, v11
	v_cndmask_b32_e32 v10, v10, v13, vcc
	v_cndmask_b32_e32 v11, v11, v12, vcc
	v_lshlrev_b32_e32 v12, 24, v6
	v_mov_b32_e32 v13, 0x3b800000
	v_lshlrev_b32_e32 v10, 20, v10
	v_and_b32_e32 v12, 0x80000000, v12
	v_lshl_add_u32 v11, v11, 23, v13
	v_or3_b32 v10, v12, v11, v10
.LBB11_1412:
	s_or_b64 exec, exec, s[6:7]
	s_movk_i32 s4, 0x7f
	v_cmp_gt_i16_sdwa s[6:7], v2, s4 src0_sel:BYTE_0 src1_sel:DWORD
	s_mov_b64 s[4:5], 0
                                        ; implicit-def: $sgpr10
	s_and_saveexec_b64 s[8:9], s[6:7]
	s_xor_b64 s[6:7], exec, s[8:9]
	s_cbranch_execnz .LBB11_3461
; %bb.1413:
	s_or_saveexec_b64 s[6:7], s[6:7]
	v_mov_b32_e32 v11, s10
	s_xor_b64 exec, exec, s[6:7]
	s_cbranch_execnz .LBB11_3464
.LBB11_1414:
	s_or_b64 exec, exec, s[6:7]
	s_and_saveexec_b64 s[6:7], s[4:5]
	s_cbranch_execz .LBB11_1416
.LBB11_1415:
	v_and_b32_e32 v11, 7, v2
	v_ffbh_u32_e32 v13, v11
	v_min_u32_e32 v13, 32, v13
	v_lshrrev_b16_e32 v12, 3, v2
	v_subrev_u32_e32 v14, 28, v13
	v_and_b32_e32 v12, 15, v12
	v_lshlrev_b32_e32 v14, v14, v2
	v_sub_u32_e32 v13, 29, v13
	v_and_b32_e32 v14, 7, v14
	v_cmp_eq_u16_e32 vcc, 0, v12
	v_cndmask_b32_e32 v11, v11, v14, vcc
	v_cndmask_b32_e32 v12, v12, v13, vcc
	v_lshlrev_b32_e32 v13, 24, v2
	v_mov_b32_e32 v14, 0x3b800000
	v_lshlrev_b32_e32 v11, 20, v11
	v_and_b32_e32 v13, 0x80000000, v13
	v_lshl_add_u32 v12, v12, 23, v14
	v_or3_b32 v11, v13, v12, v11
.LBB11_1416:
	s_or_b64 exec, exec, s[6:7]
	s_nop 0
	v_mfma_f32_16x16x4f32 a[0:3], v10, v11, a[0:3]
	v_lshrrev_b32_e32 v11, 8, v6
	s_movk_i32 s4, 0x7f
	v_cmp_gt_i16_sdwa s[6:7], v11, s4 src0_sel:BYTE_0 src1_sel:DWORD
	s_mov_b64 s[4:5], 0
                                        ; implicit-def: $sgpr10
	s_and_saveexec_b64 s[8:9], s[6:7]
	s_xor_b64 s[6:7], exec, s[8:9]
	s_cbranch_execnz .LBB11_3465
; %bb.1417:
	s_or_saveexec_b64 s[6:7], s[6:7]
	v_mov_b32_e32 v10, s10
	s_xor_b64 exec, exec, s[6:7]
	s_cbranch_execnz .LBB11_3468
.LBB11_1418:
	s_or_b64 exec, exec, s[6:7]
	s_and_saveexec_b64 s[6:7], s[4:5]
	s_cbranch_execz .LBB11_1420
.LBB11_1419:
	v_bfe_u32 v10, v6, 8, 3
	v_ffbh_u32_e32 v13, v10
	v_min_u32_e32 v13, 32, v13
	v_lshrrev_b16_e32 v12, 3, v11
	v_subrev_u32_e32 v14, 28, v13
	v_and_b32_e32 v12, 15, v12
	v_lshlrev_b32_e32 v11, v14, v11
	v_sub_u32_e32 v13, 29, v13
	v_and_b32_e32 v11, 7, v11
	v_cmp_eq_u16_e32 vcc, 0, v12
	v_cndmask_b32_e32 v10, v10, v11, vcc
	v_cndmask_b32_e32 v11, v12, v13, vcc
	v_lshlrev_b32_e32 v12, 16, v6
	v_mov_b32_e32 v13, 0x3b800000
	v_lshlrev_b32_e32 v10, 20, v10
	v_and_b32_e32 v12, 0x80000000, v12
	v_lshl_add_u32 v11, v11, 23, v13
	v_or3_b32 v10, v12, v11, v10
.LBB11_1420:
	s_or_b64 exec, exec, s[6:7]
	v_lshrrev_b32_e32 v11, 8, v2
	s_movk_i32 s4, 0x7f
	v_cmp_gt_i16_sdwa s[6:7], v11, s4 src0_sel:BYTE_0 src1_sel:DWORD
	s_mov_b64 s[4:5], 0
                                        ; implicit-def: $sgpr10
	s_and_saveexec_b64 s[8:9], s[6:7]
	s_xor_b64 s[6:7], exec, s[8:9]
	s_cbranch_execnz .LBB11_3469
; %bb.1421:
	s_or_saveexec_b64 s[6:7], s[6:7]
	v_mov_b32_e32 v12, s10
	s_xor_b64 exec, exec, s[6:7]
	s_cbranch_execnz .LBB11_3472
.LBB11_1422:
	s_or_b64 exec, exec, s[6:7]
	s_and_saveexec_b64 s[6:7], s[4:5]
	s_cbranch_execz .LBB11_1424
.LBB11_1423:
	v_bfe_u32 v12, v2, 8, 3
	v_ffbh_u32_e32 v14, v12
	v_min_u32_e32 v14, 32, v14
	v_lshrrev_b16_e32 v13, 3, v11
	v_subrev_u32_e32 v15, 28, v14
	v_and_b32_e32 v13, 15, v13
	v_lshlrev_b32_e32 v11, v15, v11
	v_sub_u32_e32 v14, 29, v14
	v_and_b32_e32 v11, 7, v11
	v_cmp_eq_u16_e32 vcc, 0, v13
	v_cndmask_b32_e32 v11, v12, v11, vcc
	v_cndmask_b32_e32 v12, v13, v14, vcc
	v_lshlrev_b32_e32 v13, 16, v2
	v_mov_b32_e32 v14, 0x3b800000
	v_lshlrev_b32_e32 v11, 20, v11
	v_and_b32_e32 v13, 0x80000000, v13
	v_lshl_add_u32 v12, v12, 23, v14
	v_or3_b32 v12, v13, v12, v11
.LBB11_1424:
	s_or_b64 exec, exec, s[6:7]
	s_nop 0
	v_mfma_f32_16x16x4f32 a[0:3], v10, v12, a[0:3]
	s_movk_i32 s4, 0xff
	v_and_b32_sdwa v11, v6, s4 dst_sel:DWORD dst_unused:UNUSED_PAD src0_sel:WORD_1 src1_sel:DWORD
	s_movk_i32 s4, 0x7f
	v_cmp_lt_i16_e32 vcc, s4, v11
	s_mov_b64 s[4:5], 0
                                        ; implicit-def: $sgpr10
	s_and_saveexec_b64 s[6:7], vcc
	s_xor_b64 s[6:7], exec, s[6:7]
	s_cbranch_execnz .LBB11_3473
; %bb.1425:
	s_or_saveexec_b64 s[6:7], s[6:7]
	v_mov_b32_e32 v10, s10
	s_xor_b64 exec, exec, s[6:7]
	s_cbranch_execnz .LBB11_3476
.LBB11_1426:
	s_or_b64 exec, exec, s[6:7]
	s_and_saveexec_b64 s[6:7], s[4:5]
	s_cbranch_execz .LBB11_1428
.LBB11_1427:
	v_bfe_u32 v10, v6, 16, 3
	v_ffbh_u32_e32 v13, v10
	v_min_u32_e32 v13, 32, v13
	v_lshrrev_b32_e32 v11, 19, v6
	v_subrev_u32_e32 v14, 28, v13
	v_and_b32_e32 v11, 15, v11
	v_lshlrev_b32_sdwa v14, v14, v6 dst_sel:DWORD dst_unused:UNUSED_PAD src0_sel:DWORD src1_sel:WORD_1
	v_bfe_u32 v12, v6, 19, 4
	v_sub_u32_e32 v13, 29, v13
	v_and_b32_e32 v14, 7, v14
	v_cmp_eq_u16_e32 vcc, 0, v11
	v_cndmask_b32_e32 v10, v10, v14, vcc
	v_cndmask_b32_e32 v11, v12, v13, vcc
	v_lshlrev_b32_e32 v12, 8, v6
	v_mov_b32_e32 v13, 0x3b800000
	v_lshlrev_b32_e32 v10, 20, v10
	v_and_b32_e32 v12, 0x80000000, v12
	v_lshl_add_u32 v11, v11, 23, v13
	v_or3_b32 v10, v12, v11, v10
.LBB11_1428:
	s_or_b64 exec, exec, s[6:7]
	s_movk_i32 s4, 0xff
	v_and_b32_sdwa v11, v2, s4 dst_sel:DWORD dst_unused:UNUSED_PAD src0_sel:WORD_1 src1_sel:DWORD
	s_movk_i32 s4, 0x7f
	v_cmp_lt_i16_e32 vcc, s4, v11
	s_mov_b64 s[4:5], 0
                                        ; implicit-def: $sgpr10
	s_and_saveexec_b64 s[6:7], vcc
	s_xor_b64 s[6:7], exec, s[6:7]
	s_cbranch_execnz .LBB11_3477
; %bb.1429:
	s_or_saveexec_b64 s[6:7], s[6:7]
	v_mov_b32_e32 v12, s10
	s_xor_b64 exec, exec, s[6:7]
	s_cbranch_execnz .LBB11_3480
.LBB11_1430:
	s_or_b64 exec, exec, s[6:7]
	s_and_saveexec_b64 s[6:7], s[4:5]
	s_cbranch_execz .LBB11_1432
.LBB11_1431:
	v_bfe_u32 v11, v2, 16, 3
	v_ffbh_u32_e32 v14, v11
	v_min_u32_e32 v14, 32, v14
	v_lshrrev_b32_e32 v12, 19, v2
	v_subrev_u32_e32 v15, 28, v14
	v_and_b32_e32 v12, 15, v12
	v_lshlrev_b32_sdwa v15, v15, v2 dst_sel:DWORD dst_unused:UNUSED_PAD src0_sel:DWORD src1_sel:WORD_1
	v_bfe_u32 v13, v2, 19, 4
	v_sub_u32_e32 v14, 29, v14
	v_and_b32_e32 v15, 7, v15
	v_cmp_eq_u16_e32 vcc, 0, v12
	v_cndmask_b32_e32 v11, v11, v15, vcc
	v_cndmask_b32_e32 v12, v13, v14, vcc
	v_lshlrev_b32_e32 v13, 8, v2
	v_mov_b32_e32 v14, 0x3b800000
	v_lshlrev_b32_e32 v11, 20, v11
	v_and_b32_e32 v13, 0x80000000, v13
	v_lshl_add_u32 v12, v12, 23, v14
	v_or3_b32 v12, v13, v12, v11
.LBB11_1432:
	s_or_b64 exec, exec, s[6:7]
	s_nop 0
	v_mfma_f32_16x16x4f32 a[0:3], v10, v12, a[0:3]
	s_movk_i32 s4, 0x7f
	v_cmp_gt_i16_sdwa s[6:7], v6, s4 src0_sel:BYTE_3 src1_sel:DWORD
	s_mov_b64 s[4:5], 0
                                        ; implicit-def: $sgpr10
	s_and_saveexec_b64 s[8:9], s[6:7]
	s_xor_b64 s[6:7], exec, s[8:9]
	s_cbranch_execnz .LBB11_3481
; %bb.1433:
	s_or_saveexec_b64 s[6:7], s[6:7]
	v_mov_b32_e32 v10, s10
	s_xor_b64 exec, exec, s[6:7]
	s_cbranch_execnz .LBB11_3484
.LBB11_1434:
	s_or_b64 exec, exec, s[6:7]
	s_and_saveexec_b64 s[6:7], s[4:5]
	s_cbranch_execz .LBB11_1436
.LBB11_1435:
	v_bfe_u32 v10, v6, 24, 3
	v_ffbh_u32_e32 v14, v10
	v_min_u32_e32 v14, 32, v14
	v_lshrrev_b32_e32 v12, 27, v6
	v_subrev_u32_e32 v15, 28, v14
	v_and_b32_e32 v11, 0x80000000, v6
	v_and_b32_e32 v12, 15, v12
	v_bfe_u32 v13, v6, 27, 4
	v_lshlrev_b32_sdwa v6, v15, v6 dst_sel:DWORD dst_unused:UNUSED_PAD src0_sel:DWORD src1_sel:BYTE_3
	v_sub_u32_e32 v14, 29, v14
	v_and_b32_e32 v6, 7, v6
	v_cmp_eq_u16_e32 vcc, 0, v12
	v_cndmask_b32_e32 v6, v10, v6, vcc
	v_cndmask_b32_e32 v10, v13, v14, vcc
	v_mov_b32_e32 v12, 0x3b800000
	v_lshlrev_b32_e32 v6, 20, v6
	v_lshl_add_u32 v10, v10, 23, v12
	v_or3_b32 v10, v11, v10, v6
.LBB11_1436:
	s_or_b64 exec, exec, s[6:7]
	s_movk_i32 s4, 0x7f
	v_cmp_gt_i16_sdwa s[6:7], v2, s4 src0_sel:BYTE_3 src1_sel:DWORD
	s_mov_b64 s[4:5], 0
                                        ; implicit-def: $sgpr10
	s_and_saveexec_b64 s[8:9], s[6:7]
	s_xor_b64 s[6:7], exec, s[8:9]
	s_cbranch_execnz .LBB11_3485
; %bb.1437:
	s_or_saveexec_b64 s[6:7], s[6:7]
	v_mov_b32_e32 v6, s10
	s_xor_b64 exec, exec, s[6:7]
	s_cbranch_execnz .LBB11_3488
.LBB11_1438:
	s_or_b64 exec, exec, s[6:7]
	s_and_saveexec_b64 s[6:7], s[4:5]
	s_cbranch_execz .LBB11_1440
.LBB11_1439:
	v_bfe_u32 v6, v2, 24, 3
	v_ffbh_u32_e32 v14, v6
	v_min_u32_e32 v14, 32, v14
	v_lshrrev_b32_e32 v12, 27, v2
	v_subrev_u32_e32 v15, 28, v14
	v_and_b32_e32 v11, 0x80000000, v2
	v_and_b32_e32 v12, 15, v12
	v_bfe_u32 v13, v2, 27, 4
	v_lshlrev_b32_sdwa v2, v15, v2 dst_sel:DWORD dst_unused:UNUSED_PAD src0_sel:DWORD src1_sel:BYTE_3
	v_sub_u32_e32 v14, 29, v14
	v_and_b32_e32 v2, 7, v2
	v_cmp_eq_u16_e32 vcc, 0, v12
	v_cndmask_b32_e32 v2, v6, v2, vcc
	v_cndmask_b32_e32 v6, v13, v14, vcc
	v_mov_b32_e32 v12, 0x3b800000
	v_lshlrev_b32_e32 v2, 20, v2
	v_lshl_add_u32 v6, v6, 23, v12
	v_or3_b32 v6, v11, v6, v2
.LBB11_1440:
	s_or_b64 exec, exec, s[6:7]
	s_nop 0
	v_mfma_f32_16x16x4f32 a[0:3], v10, v6, a[0:3]
	s_movk_i32 s4, 0x7f
	v_cmp_gt_i16_sdwa s[6:7], v7, s4 src0_sel:BYTE_0 src1_sel:DWORD
	s_mov_b64 s[4:5], 0
                                        ; implicit-def: $sgpr10
	s_and_saveexec_b64 s[8:9], s[6:7]
	s_xor_b64 s[6:7], exec, s[8:9]
	s_cbranch_execnz .LBB11_3489
; %bb.1441:
	s_or_saveexec_b64 s[6:7], s[6:7]
	v_mov_b32_e32 v2, s10
	s_xor_b64 exec, exec, s[6:7]
	s_cbranch_execnz .LBB11_3492
.LBB11_1442:
	s_or_b64 exec, exec, s[6:7]
	s_and_saveexec_b64 s[6:7], s[4:5]
	s_cbranch_execz .LBB11_1444
.LBB11_1443:
	v_and_b32_e32 v2, 7, v7
	v_ffbh_u32_e32 v10, v2
	v_min_u32_e32 v10, 32, v10
	v_lshrrev_b16_e32 v6, 3, v7
	v_subrev_u32_e32 v11, 28, v10
	v_and_b32_e32 v6, 15, v6
	v_lshlrev_b32_e32 v11, v11, v7
	v_sub_u32_e32 v10, 29, v10
	v_and_b32_e32 v11, 7, v11
	v_cmp_eq_u16_e32 vcc, 0, v6
	v_cndmask_b32_e32 v2, v2, v11, vcc
	v_cndmask_b32_e32 v6, v6, v10, vcc
	v_lshlrev_b32_e32 v10, 24, v7
	v_mov_b32_e32 v11, 0x3b800000
	v_lshlrev_b32_e32 v2, 20, v2
	v_and_b32_e32 v10, 0x80000000, v10
	v_lshl_add_u32 v6, v6, 23, v11
	v_or3_b32 v2, v10, v6, v2
.LBB11_1444:
	s_or_b64 exec, exec, s[6:7]
	s_movk_i32 s4, 0x7f
	v_cmp_gt_i16_sdwa s[6:7], v3, s4 src0_sel:BYTE_0 src1_sel:DWORD
	s_mov_b64 s[4:5], 0
                                        ; implicit-def: $sgpr10
	s_and_saveexec_b64 s[8:9], s[6:7]
	s_xor_b64 s[6:7], exec, s[8:9]
	s_cbranch_execnz .LBB11_3493
; %bb.1445:
	s_or_saveexec_b64 s[6:7], s[6:7]
	v_mov_b32_e32 v6, s10
	s_xor_b64 exec, exec, s[6:7]
	s_cbranch_execnz .LBB11_3496
.LBB11_1446:
	s_or_b64 exec, exec, s[6:7]
	s_and_saveexec_b64 s[6:7], s[4:5]
	s_cbranch_execz .LBB11_1448
.LBB11_1447:
	v_and_b32_e32 v6, 7, v3
	v_ffbh_u32_e32 v11, v6
	v_min_u32_e32 v11, 32, v11
	v_lshrrev_b16_e32 v10, 3, v3
	v_subrev_u32_e32 v12, 28, v11
	v_and_b32_e32 v10, 15, v10
	v_lshlrev_b32_e32 v12, v12, v3
	v_sub_u32_e32 v11, 29, v11
	v_and_b32_e32 v12, 7, v12
	v_cmp_eq_u16_e32 vcc, 0, v10
	v_cndmask_b32_e32 v6, v6, v12, vcc
	v_cndmask_b32_e32 v10, v10, v11, vcc
	v_lshlrev_b32_e32 v11, 24, v3
	v_mov_b32_e32 v12, 0x3b800000
	v_lshlrev_b32_e32 v6, 20, v6
	v_and_b32_e32 v11, 0x80000000, v11
	v_lshl_add_u32 v10, v10, 23, v12
	v_or3_b32 v6, v11, v10, v6
.LBB11_1448:
	s_or_b64 exec, exec, s[6:7]
	s_nop 0
	v_mfma_f32_16x16x4f32 a[0:3], v2, v6, a[0:3]
	v_lshrrev_b32_e32 v6, 8, v7
	s_movk_i32 s4, 0x7f
	v_cmp_gt_i16_sdwa s[6:7], v6, s4 src0_sel:BYTE_0 src1_sel:DWORD
	s_mov_b64 s[4:5], 0
                                        ; implicit-def: $sgpr10
	s_and_saveexec_b64 s[8:9], s[6:7]
	s_xor_b64 s[6:7], exec, s[8:9]
	s_cbranch_execnz .LBB11_3497
; %bb.1449:
	s_or_saveexec_b64 s[6:7], s[6:7]
	v_mov_b32_e32 v2, s10
	s_xor_b64 exec, exec, s[6:7]
	s_cbranch_execnz .LBB11_3500
.LBB11_1450:
	s_or_b64 exec, exec, s[6:7]
	s_and_saveexec_b64 s[6:7], s[4:5]
	s_cbranch_execz .LBB11_1452
.LBB11_1451:
	v_bfe_u32 v2, v7, 8, 3
	v_ffbh_u32_e32 v11, v2
	v_min_u32_e32 v11, 32, v11
	v_lshrrev_b16_e32 v10, 3, v6
	v_subrev_u32_e32 v12, 28, v11
	v_and_b32_e32 v10, 15, v10
	v_lshlrev_b32_e32 v6, v12, v6
	v_sub_u32_e32 v11, 29, v11
	v_and_b32_e32 v6, 7, v6
	v_cmp_eq_u16_e32 vcc, 0, v10
	v_cndmask_b32_e32 v2, v2, v6, vcc
	v_cndmask_b32_e32 v6, v10, v11, vcc
	v_lshlrev_b32_e32 v10, 16, v7
	v_mov_b32_e32 v11, 0x3b800000
	v_lshlrev_b32_e32 v2, 20, v2
	v_and_b32_e32 v10, 0x80000000, v10
	v_lshl_add_u32 v6, v6, 23, v11
	v_or3_b32 v2, v10, v6, v2
.LBB11_1452:
	s_or_b64 exec, exec, s[6:7]
	v_lshrrev_b32_e32 v6, 8, v3
	s_movk_i32 s4, 0x7f
	v_cmp_gt_i16_sdwa s[6:7], v6, s4 src0_sel:BYTE_0 src1_sel:DWORD
	s_mov_b64 s[4:5], 0
                                        ; implicit-def: $sgpr10
	s_and_saveexec_b64 s[8:9], s[6:7]
	s_xor_b64 s[6:7], exec, s[8:9]
	s_cbranch_execnz .LBB11_3501
; %bb.1453:
	s_or_saveexec_b64 s[6:7], s[6:7]
	v_mov_b32_e32 v10, s10
	s_xor_b64 exec, exec, s[6:7]
	s_cbranch_execnz .LBB11_3504
.LBB11_1454:
	s_or_b64 exec, exec, s[6:7]
	s_and_saveexec_b64 s[6:7], s[4:5]
	s_cbranch_execz .LBB11_1456
.LBB11_1455:
	v_bfe_u32 v10, v3, 8, 3
	v_ffbh_u32_e32 v12, v10
	v_min_u32_e32 v12, 32, v12
	v_lshrrev_b16_e32 v11, 3, v6
	v_subrev_u32_e32 v13, 28, v12
	v_and_b32_e32 v11, 15, v11
	v_lshlrev_b32_e32 v6, v13, v6
	v_sub_u32_e32 v12, 29, v12
	v_and_b32_e32 v6, 7, v6
	v_cmp_eq_u16_e32 vcc, 0, v11
	v_cndmask_b32_e32 v6, v10, v6, vcc
	v_cndmask_b32_e32 v10, v11, v12, vcc
	v_lshlrev_b32_e32 v11, 16, v3
	v_mov_b32_e32 v12, 0x3b800000
	v_lshlrev_b32_e32 v6, 20, v6
	v_and_b32_e32 v11, 0x80000000, v11
	v_lshl_add_u32 v10, v10, 23, v12
	v_or3_b32 v10, v11, v10, v6
.LBB11_1456:
	s_or_b64 exec, exec, s[6:7]
	s_nop 0
	v_mfma_f32_16x16x4f32 a[0:3], v2, v10, a[0:3]
	s_movk_i32 s4, 0xff
	v_and_b32_sdwa v6, v7, s4 dst_sel:DWORD dst_unused:UNUSED_PAD src0_sel:WORD_1 src1_sel:DWORD
	s_movk_i32 s4, 0x7f
	v_cmp_lt_i16_e32 vcc, s4, v6
	s_mov_b64 s[4:5], 0
                                        ; implicit-def: $sgpr10
	s_and_saveexec_b64 s[6:7], vcc
	s_xor_b64 s[6:7], exec, s[6:7]
	s_cbranch_execnz .LBB11_3505
; %bb.1457:
	s_or_saveexec_b64 s[6:7], s[6:7]
	v_mov_b32_e32 v2, s10
	s_xor_b64 exec, exec, s[6:7]
	s_cbranch_execnz .LBB11_3508
.LBB11_1458:
	s_or_b64 exec, exec, s[6:7]
	s_and_saveexec_b64 s[6:7], s[4:5]
	s_cbranch_execz .LBB11_1460
.LBB11_1459:
	v_bfe_u32 v2, v7, 16, 3
	v_ffbh_u32_e32 v11, v2
	v_min_u32_e32 v11, 32, v11
	v_lshrrev_b32_e32 v6, 19, v7
	v_subrev_u32_e32 v12, 28, v11
	v_and_b32_e32 v6, 15, v6
	v_lshlrev_b32_sdwa v12, v12, v7 dst_sel:DWORD dst_unused:UNUSED_PAD src0_sel:DWORD src1_sel:WORD_1
	v_bfe_u32 v10, v7, 19, 4
	v_sub_u32_e32 v11, 29, v11
	v_and_b32_e32 v12, 7, v12
	v_cmp_eq_u16_e32 vcc, 0, v6
	v_cndmask_b32_e32 v2, v2, v12, vcc
	v_cndmask_b32_e32 v6, v10, v11, vcc
	v_lshlrev_b32_e32 v10, 8, v7
	v_mov_b32_e32 v11, 0x3b800000
	v_lshlrev_b32_e32 v2, 20, v2
	v_and_b32_e32 v10, 0x80000000, v10
	v_lshl_add_u32 v6, v6, 23, v11
	v_or3_b32 v2, v10, v6, v2
.LBB11_1460:
	s_or_b64 exec, exec, s[6:7]
	s_movk_i32 s4, 0xff
	v_and_b32_sdwa v6, v3, s4 dst_sel:DWORD dst_unused:UNUSED_PAD src0_sel:WORD_1 src1_sel:DWORD
	s_movk_i32 s4, 0x7f
	v_cmp_lt_i16_e32 vcc, s4, v6
	s_mov_b64 s[4:5], 0
                                        ; implicit-def: $sgpr10
	s_and_saveexec_b64 s[6:7], vcc
	s_xor_b64 s[6:7], exec, s[6:7]
	s_cbranch_execnz .LBB11_3509
; %bb.1461:
	s_or_saveexec_b64 s[6:7], s[6:7]
	v_mov_b32_e32 v10, s10
	s_xor_b64 exec, exec, s[6:7]
	s_cbranch_execnz .LBB11_3512
.LBB11_1462:
	s_or_b64 exec, exec, s[6:7]
	s_and_saveexec_b64 s[6:7], s[4:5]
	s_cbranch_execz .LBB11_1464
.LBB11_1463:
	v_bfe_u32 v6, v3, 16, 3
	v_ffbh_u32_e32 v12, v6
	v_min_u32_e32 v12, 32, v12
	v_lshrrev_b32_e32 v10, 19, v3
	v_subrev_u32_e32 v13, 28, v12
	v_and_b32_e32 v10, 15, v10
	v_lshlrev_b32_sdwa v13, v13, v3 dst_sel:DWORD dst_unused:UNUSED_PAD src0_sel:DWORD src1_sel:WORD_1
	v_bfe_u32 v11, v3, 19, 4
	v_sub_u32_e32 v12, 29, v12
	v_and_b32_e32 v13, 7, v13
	v_cmp_eq_u16_e32 vcc, 0, v10
	v_cndmask_b32_e32 v6, v6, v13, vcc
	v_cndmask_b32_e32 v10, v11, v12, vcc
	v_lshlrev_b32_e32 v11, 8, v3
	v_mov_b32_e32 v12, 0x3b800000
	v_lshlrev_b32_e32 v6, 20, v6
	v_and_b32_e32 v11, 0x80000000, v11
	v_lshl_add_u32 v10, v10, 23, v12
	v_or3_b32 v10, v11, v10, v6
.LBB11_1464:
	s_or_b64 exec, exec, s[6:7]
	s_nop 0
	v_mfma_f32_16x16x4f32 a[0:3], v2, v10, a[0:3]
	s_movk_i32 s4, 0x7f
	v_cmp_gt_i16_sdwa s[6:7], v7, s4 src0_sel:BYTE_3 src1_sel:DWORD
	s_mov_b64 s[4:5], 0
                                        ; implicit-def: $sgpr10
	s_and_saveexec_b64 s[8:9], s[6:7]
	s_xor_b64 s[6:7], exec, s[8:9]
	s_cbranch_execnz .LBB11_3513
; %bb.1465:
	s_or_saveexec_b64 s[6:7], s[6:7]
	v_mov_b32_e32 v2, s10
	s_xor_b64 exec, exec, s[6:7]
	s_cbranch_execnz .LBB11_3516
.LBB11_1466:
	s_or_b64 exec, exec, s[6:7]
	s_and_saveexec_b64 s[6:7], s[4:5]
	s_cbranch_execz .LBB11_1468
.LBB11_1467:
	v_bfe_u32 v2, v7, 24, 3
	v_ffbh_u32_e32 v12, v2
	v_min_u32_e32 v12, 32, v12
	v_lshrrev_b32_e32 v10, 27, v7
	v_subrev_u32_e32 v13, 28, v12
	v_and_b32_e32 v6, 0x80000000, v7
	v_and_b32_e32 v10, 15, v10
	v_bfe_u32 v11, v7, 27, 4
	v_lshlrev_b32_sdwa v7, v13, v7 dst_sel:DWORD dst_unused:UNUSED_PAD src0_sel:DWORD src1_sel:BYTE_3
	v_sub_u32_e32 v12, 29, v12
	v_and_b32_e32 v7, 7, v7
	v_cmp_eq_u16_e32 vcc, 0, v10
	v_cndmask_b32_e32 v2, v2, v7, vcc
	v_cndmask_b32_e32 v7, v11, v12, vcc
	v_mov_b32_e32 v10, 0x3b800000
	v_lshlrev_b32_e32 v2, 20, v2
	v_lshl_add_u32 v7, v7, 23, v10
	v_or3_b32 v2, v6, v7, v2
.LBB11_1468:
	s_or_b64 exec, exec, s[6:7]
	s_movk_i32 s4, 0x7f
	v_cmp_gt_i16_sdwa s[6:7], v3, s4 src0_sel:BYTE_3 src1_sel:DWORD
	s_mov_b64 s[4:5], 0
                                        ; implicit-def: $sgpr10
	s_and_saveexec_b64 s[8:9], s[6:7]
	s_xor_b64 s[6:7], exec, s[8:9]
	s_cbranch_execnz .LBB11_3517
; %bb.1469:
	s_or_saveexec_b64 s[6:7], s[6:7]
	v_mov_b32_e32 v6, s10
	s_xor_b64 exec, exec, s[6:7]
	s_cbranch_execnz .LBB11_3520
.LBB11_1470:
	s_or_b64 exec, exec, s[6:7]
	s_and_saveexec_b64 s[6:7], s[4:5]
	s_cbranch_execz .LBB11_1472
.LBB11_1471:
	v_bfe_u32 v6, v3, 24, 3
	v_ffbh_u32_e32 v12, v6
	v_min_u32_e32 v12, 32, v12
	v_lshrrev_b32_e32 v10, 27, v3
	v_subrev_u32_e32 v13, 28, v12
	v_and_b32_e32 v7, 0x80000000, v3
	v_and_b32_e32 v10, 15, v10
	v_bfe_u32 v11, v3, 27, 4
	v_lshlrev_b32_sdwa v3, v13, v3 dst_sel:DWORD dst_unused:UNUSED_PAD src0_sel:DWORD src1_sel:BYTE_3
	v_sub_u32_e32 v12, 29, v12
	v_and_b32_e32 v3, 7, v3
	v_cmp_eq_u16_e32 vcc, 0, v10
	v_cndmask_b32_e32 v3, v6, v3, vcc
	v_cndmask_b32_e32 v6, v11, v12, vcc
	v_mov_b32_e32 v10, 0x3b800000
	v_lshlrev_b32_e32 v3, 20, v3
	v_lshl_add_u32 v6, v6, 23, v10
	v_or3_b32 v6, v7, v6, v3
.LBB11_1472:
	s_or_b64 exec, exec, s[6:7]
	s_nop 0
	v_mfma_f32_16x16x4f32 a[0:3], v2, v6, a[0:3]
	s_movk_i32 s4, 0x7f
	v_cmp_gt_i16_sdwa s[6:7], v8, s4 src0_sel:BYTE_0 src1_sel:DWORD
	s_mov_b64 s[4:5], 0
                                        ; implicit-def: $sgpr10
	s_and_saveexec_b64 s[8:9], s[6:7]
	s_xor_b64 s[6:7], exec, s[8:9]
	s_cbranch_execnz .LBB11_3521
; %bb.1473:
	s_or_saveexec_b64 s[6:7], s[6:7]
	v_mov_b32_e32 v2, s10
	s_xor_b64 exec, exec, s[6:7]
	s_cbranch_execnz .LBB11_3524
.LBB11_1474:
	s_or_b64 exec, exec, s[6:7]
	s_and_saveexec_b64 s[6:7], s[4:5]
	s_cbranch_execz .LBB11_1476
.LBB11_1475:
	v_and_b32_e32 v2, 7, v8
	v_ffbh_u32_e32 v6, v2
	v_min_u32_e32 v6, 32, v6
	v_lshrrev_b16_e32 v3, 3, v8
	v_subrev_u32_e32 v7, 28, v6
	v_and_b32_e32 v3, 15, v3
	v_lshlrev_b32_e32 v7, v7, v8
	v_sub_u32_e32 v6, 29, v6
	v_and_b32_e32 v7, 7, v7
	v_cmp_eq_u16_e32 vcc, 0, v3
	v_cndmask_b32_e32 v2, v2, v7, vcc
	v_cndmask_b32_e32 v3, v3, v6, vcc
	v_lshlrev_b32_e32 v6, 24, v8
	v_mov_b32_e32 v7, 0x3b800000
	v_lshlrev_b32_e32 v2, 20, v2
	v_and_b32_e32 v6, 0x80000000, v6
	v_lshl_add_u32 v3, v3, 23, v7
	v_or3_b32 v2, v6, v3, v2
.LBB11_1476:
	s_or_b64 exec, exec, s[6:7]
	s_movk_i32 s4, 0x7f
	v_cmp_gt_i16_sdwa s[6:7], v4, s4 src0_sel:BYTE_0 src1_sel:DWORD
	s_mov_b64 s[4:5], 0
                                        ; implicit-def: $sgpr10
	s_and_saveexec_b64 s[8:9], s[6:7]
	s_xor_b64 s[6:7], exec, s[8:9]
	s_cbranch_execnz .LBB11_3525
; %bb.1477:
	s_or_saveexec_b64 s[6:7], s[6:7]
	v_mov_b32_e32 v3, s10
	s_xor_b64 exec, exec, s[6:7]
	s_cbranch_execnz .LBB11_3528
.LBB11_1478:
	s_or_b64 exec, exec, s[6:7]
	s_and_saveexec_b64 s[6:7], s[4:5]
	s_cbranch_execz .LBB11_1480
.LBB11_1479:
	v_and_b32_e32 v3, 7, v4
	v_ffbh_u32_e32 v7, v3
	v_min_u32_e32 v7, 32, v7
	v_lshrrev_b16_e32 v6, 3, v4
	v_subrev_u32_e32 v10, 28, v7
	v_and_b32_e32 v6, 15, v6
	v_lshlrev_b32_e32 v10, v10, v4
	v_sub_u32_e32 v7, 29, v7
	v_and_b32_e32 v10, 7, v10
	v_cmp_eq_u16_e32 vcc, 0, v6
	v_cndmask_b32_e32 v3, v3, v10, vcc
	v_cndmask_b32_e32 v6, v6, v7, vcc
	v_lshlrev_b32_e32 v7, 24, v4
	v_mov_b32_e32 v10, 0x3b800000
	v_lshlrev_b32_e32 v3, 20, v3
	v_and_b32_e32 v7, 0x80000000, v7
	v_lshl_add_u32 v6, v6, 23, v10
	v_or3_b32 v3, v7, v6, v3
.LBB11_1480:
	s_or_b64 exec, exec, s[6:7]
	s_nop 0
	v_mfma_f32_16x16x4f32 a[0:3], v2, v3, a[0:3]
	v_lshrrev_b32_e32 v3, 8, v8
	s_movk_i32 s4, 0x7f
	v_cmp_gt_i16_sdwa s[6:7], v3, s4 src0_sel:BYTE_0 src1_sel:DWORD
	s_mov_b64 s[4:5], 0
                                        ; implicit-def: $sgpr10
	s_and_saveexec_b64 s[8:9], s[6:7]
	s_xor_b64 s[6:7], exec, s[8:9]
	s_cbranch_execnz .LBB11_3529
; %bb.1481:
	s_or_saveexec_b64 s[6:7], s[6:7]
	v_mov_b32_e32 v2, s10
	s_xor_b64 exec, exec, s[6:7]
	s_cbranch_execnz .LBB11_3532
.LBB11_1482:
	s_or_b64 exec, exec, s[6:7]
	s_and_saveexec_b64 s[6:7], s[4:5]
	s_cbranch_execz .LBB11_1484
.LBB11_1483:
	v_bfe_u32 v2, v8, 8, 3
	v_ffbh_u32_e32 v7, v2
	v_min_u32_e32 v7, 32, v7
	v_lshrrev_b16_e32 v6, 3, v3
	v_subrev_u32_e32 v10, 28, v7
	v_and_b32_e32 v6, 15, v6
	v_lshlrev_b32_e32 v3, v10, v3
	v_sub_u32_e32 v7, 29, v7
	v_and_b32_e32 v3, 7, v3
	v_cmp_eq_u16_e32 vcc, 0, v6
	v_cndmask_b32_e32 v2, v2, v3, vcc
	v_cndmask_b32_e32 v3, v6, v7, vcc
	v_lshlrev_b32_e32 v6, 16, v8
	v_mov_b32_e32 v7, 0x3b800000
	v_lshlrev_b32_e32 v2, 20, v2
	v_and_b32_e32 v6, 0x80000000, v6
	v_lshl_add_u32 v3, v3, 23, v7
	v_or3_b32 v2, v6, v3, v2
.LBB11_1484:
	s_or_b64 exec, exec, s[6:7]
	v_lshrrev_b32_e32 v3, 8, v4
	s_movk_i32 s4, 0x7f
	v_cmp_gt_i16_sdwa s[6:7], v3, s4 src0_sel:BYTE_0 src1_sel:DWORD
	s_mov_b64 s[4:5], 0
                                        ; implicit-def: $sgpr10
	s_and_saveexec_b64 s[8:9], s[6:7]
	s_xor_b64 s[6:7], exec, s[8:9]
	s_cbranch_execnz .LBB11_3533
; %bb.1485:
	s_or_saveexec_b64 s[6:7], s[6:7]
	v_mov_b32_e32 v6, s10
	s_xor_b64 exec, exec, s[6:7]
	s_cbranch_execnz .LBB11_3536
.LBB11_1486:
	s_or_b64 exec, exec, s[6:7]
	s_and_saveexec_b64 s[6:7], s[4:5]
	s_cbranch_execz .LBB11_1488
.LBB11_1487:
	v_bfe_u32 v6, v4, 8, 3
	v_ffbh_u32_e32 v10, v6
	v_min_u32_e32 v10, 32, v10
	v_lshrrev_b16_e32 v7, 3, v3
	v_subrev_u32_e32 v11, 28, v10
	v_and_b32_e32 v7, 15, v7
	v_lshlrev_b32_e32 v3, v11, v3
	v_sub_u32_e32 v10, 29, v10
	v_and_b32_e32 v3, 7, v3
	v_cmp_eq_u16_e32 vcc, 0, v7
	v_cndmask_b32_e32 v3, v6, v3, vcc
	v_cndmask_b32_e32 v6, v7, v10, vcc
	v_lshlrev_b32_e32 v7, 16, v4
	v_mov_b32_e32 v10, 0x3b800000
	v_lshlrev_b32_e32 v3, 20, v3
	v_and_b32_e32 v7, 0x80000000, v7
	v_lshl_add_u32 v6, v6, 23, v10
	v_or3_b32 v6, v7, v6, v3
.LBB11_1488:
	s_or_b64 exec, exec, s[6:7]
	s_nop 0
	v_mfma_f32_16x16x4f32 a[0:3], v2, v6, a[0:3]
	s_movk_i32 s4, 0xff
	v_and_b32_sdwa v3, v8, s4 dst_sel:DWORD dst_unused:UNUSED_PAD src0_sel:WORD_1 src1_sel:DWORD
	s_movk_i32 s4, 0x7f
	v_cmp_lt_i16_e32 vcc, s4, v3
	s_mov_b64 s[4:5], 0
                                        ; implicit-def: $sgpr10
	s_and_saveexec_b64 s[6:7], vcc
	s_xor_b64 s[6:7], exec, s[6:7]
	s_cbranch_execnz .LBB11_3537
; %bb.1489:
	s_or_saveexec_b64 s[6:7], s[6:7]
	v_mov_b32_e32 v2, s10
	s_xor_b64 exec, exec, s[6:7]
	s_cbranch_execnz .LBB11_3540
.LBB11_1490:
	s_or_b64 exec, exec, s[6:7]
	s_and_saveexec_b64 s[6:7], s[4:5]
	s_cbranch_execz .LBB11_1492
.LBB11_1491:
	v_bfe_u32 v2, v8, 16, 3
	v_ffbh_u32_e32 v7, v2
	v_min_u32_e32 v7, 32, v7
	v_lshrrev_b32_e32 v3, 19, v8
	v_subrev_u32_e32 v10, 28, v7
	v_and_b32_e32 v3, 15, v3
	v_lshlrev_b32_sdwa v10, v10, v8 dst_sel:DWORD dst_unused:UNUSED_PAD src0_sel:DWORD src1_sel:WORD_1
	v_bfe_u32 v6, v8, 19, 4
	v_sub_u32_e32 v7, 29, v7
	v_and_b32_e32 v10, 7, v10
	v_cmp_eq_u16_e32 vcc, 0, v3
	v_cndmask_b32_e32 v2, v2, v10, vcc
	v_cndmask_b32_e32 v3, v6, v7, vcc
	v_lshlrev_b32_e32 v6, 8, v8
	v_mov_b32_e32 v7, 0x3b800000
	v_lshlrev_b32_e32 v2, 20, v2
	v_and_b32_e32 v6, 0x80000000, v6
	v_lshl_add_u32 v3, v3, 23, v7
	v_or3_b32 v2, v6, v3, v2
.LBB11_1492:
	s_or_b64 exec, exec, s[6:7]
	s_movk_i32 s4, 0xff
	v_and_b32_sdwa v3, v4, s4 dst_sel:DWORD dst_unused:UNUSED_PAD src0_sel:WORD_1 src1_sel:DWORD
	s_movk_i32 s4, 0x7f
	v_cmp_lt_i16_e32 vcc, s4, v3
	s_mov_b64 s[4:5], 0
                                        ; implicit-def: $sgpr10
	s_and_saveexec_b64 s[6:7], vcc
	s_xor_b64 s[6:7], exec, s[6:7]
	s_cbranch_execnz .LBB11_3541
; %bb.1493:
	s_or_saveexec_b64 s[6:7], s[6:7]
	v_mov_b32_e32 v6, s10
	s_xor_b64 exec, exec, s[6:7]
	s_cbranch_execnz .LBB11_3544
.LBB11_1494:
	s_or_b64 exec, exec, s[6:7]
	s_and_saveexec_b64 s[6:7], s[4:5]
	s_cbranch_execz .LBB11_1496
.LBB11_1495:
	v_bfe_u32 v3, v4, 16, 3
	v_ffbh_u32_e32 v10, v3
	v_min_u32_e32 v10, 32, v10
	v_lshrrev_b32_e32 v6, 19, v4
	v_subrev_u32_e32 v11, 28, v10
	v_and_b32_e32 v6, 15, v6
	v_lshlrev_b32_sdwa v11, v11, v4 dst_sel:DWORD dst_unused:UNUSED_PAD src0_sel:DWORD src1_sel:WORD_1
	v_bfe_u32 v7, v4, 19, 4
	v_sub_u32_e32 v10, 29, v10
	v_and_b32_e32 v11, 7, v11
	v_cmp_eq_u16_e32 vcc, 0, v6
	v_cndmask_b32_e32 v3, v3, v11, vcc
	v_cndmask_b32_e32 v6, v7, v10, vcc
	v_lshlrev_b32_e32 v7, 8, v4
	v_mov_b32_e32 v10, 0x3b800000
	v_lshlrev_b32_e32 v3, 20, v3
	v_and_b32_e32 v7, 0x80000000, v7
	v_lshl_add_u32 v6, v6, 23, v10
	v_or3_b32 v6, v7, v6, v3
.LBB11_1496:
	s_or_b64 exec, exec, s[6:7]
	s_nop 0
	v_mfma_f32_16x16x4f32 a[0:3], v2, v6, a[0:3]
	s_movk_i32 s4, 0x7f
	v_cmp_gt_i16_sdwa s[6:7], v8, s4 src0_sel:BYTE_3 src1_sel:DWORD
	s_mov_b64 s[4:5], 0
                                        ; implicit-def: $sgpr10
	s_and_saveexec_b64 s[8:9], s[6:7]
	s_xor_b64 s[6:7], exec, s[8:9]
	s_cbranch_execnz .LBB11_3545
; %bb.1497:
	s_or_saveexec_b64 s[6:7], s[6:7]
	v_mov_b32_e32 v2, s10
	s_xor_b64 exec, exec, s[6:7]
	s_cbranch_execnz .LBB11_3548
.LBB11_1498:
	s_or_b64 exec, exec, s[6:7]
	s_and_saveexec_b64 s[6:7], s[4:5]
	s_cbranch_execz .LBB11_1500
.LBB11_1499:
	v_bfe_u32 v2, v8, 24, 3
	v_ffbh_u32_e32 v10, v2
	v_min_u32_e32 v10, 32, v10
	v_lshrrev_b32_e32 v6, 27, v8
	v_subrev_u32_e32 v11, 28, v10
	v_and_b32_e32 v3, 0x80000000, v8
	v_and_b32_e32 v6, 15, v6
	v_bfe_u32 v7, v8, 27, 4
	v_lshlrev_b32_sdwa v8, v11, v8 dst_sel:DWORD dst_unused:UNUSED_PAD src0_sel:DWORD src1_sel:BYTE_3
	v_sub_u32_e32 v10, 29, v10
	v_and_b32_e32 v8, 7, v8
	v_cmp_eq_u16_e32 vcc, 0, v6
	v_cndmask_b32_e32 v2, v2, v8, vcc
	v_cndmask_b32_e32 v6, v7, v10, vcc
	v_mov_b32_e32 v7, 0x3b800000
	v_lshlrev_b32_e32 v2, 20, v2
	v_lshl_add_u32 v6, v6, 23, v7
	v_or3_b32 v2, v3, v6, v2
.LBB11_1500:
	s_or_b64 exec, exec, s[6:7]
	s_movk_i32 s4, 0x7f
	v_cmp_gt_i16_sdwa s[6:7], v4, s4 src0_sel:BYTE_3 src1_sel:DWORD
	s_mov_b64 s[4:5], 0
                                        ; implicit-def: $sgpr10
	s_and_saveexec_b64 s[8:9], s[6:7]
	s_xor_b64 s[6:7], exec, s[8:9]
	s_cbranch_execnz .LBB11_3549
; %bb.1501:
	s_or_saveexec_b64 s[6:7], s[6:7]
	v_mov_b32_e32 v3, s10
	s_xor_b64 exec, exec, s[6:7]
	s_cbranch_execnz .LBB11_3552
.LBB11_1502:
	s_or_b64 exec, exec, s[6:7]
	s_and_saveexec_b64 s[6:7], s[4:5]
	s_cbranch_execz .LBB11_1504
.LBB11_1503:
	v_bfe_u32 v3, v4, 24, 3
	v_ffbh_u32_e32 v10, v3
	v_min_u32_e32 v10, 32, v10
	v_lshrrev_b32_e32 v7, 27, v4
	v_subrev_u32_e32 v11, 28, v10
	v_and_b32_e32 v6, 0x80000000, v4
	v_and_b32_e32 v7, 15, v7
	v_bfe_u32 v8, v4, 27, 4
	v_lshlrev_b32_sdwa v4, v11, v4 dst_sel:DWORD dst_unused:UNUSED_PAD src0_sel:DWORD src1_sel:BYTE_3
	v_sub_u32_e32 v10, 29, v10
	v_and_b32_e32 v4, 7, v4
	v_cmp_eq_u16_e32 vcc, 0, v7
	v_cndmask_b32_e32 v3, v3, v4, vcc
	v_cndmask_b32_e32 v4, v8, v10, vcc
	v_mov_b32_e32 v7, 0x3b800000
	v_lshlrev_b32_e32 v3, 20, v3
	v_lshl_add_u32 v4, v4, 23, v7
	v_or3_b32 v3, v6, v4, v3
.LBB11_1504:
	s_or_b64 exec, exec, s[6:7]
	s_nop 0
	v_mfma_f32_16x16x4f32 a[0:3], v2, v3, a[0:3]
	s_movk_i32 s4, 0x7f
	v_cmp_gt_i16_sdwa s[6:7], v9, s4 src0_sel:BYTE_0 src1_sel:DWORD
	s_mov_b64 s[4:5], 0
                                        ; implicit-def: $sgpr10
	s_and_saveexec_b64 s[8:9], s[6:7]
	s_xor_b64 s[6:7], exec, s[8:9]
	s_cbranch_execnz .LBB11_3553
; %bb.1505:
	s_or_saveexec_b64 s[6:7], s[6:7]
	v_mov_b32_e32 v2, s10
	s_xor_b64 exec, exec, s[6:7]
	s_cbranch_execnz .LBB11_3556
.LBB11_1506:
	s_or_b64 exec, exec, s[6:7]
	s_and_saveexec_b64 s[6:7], s[4:5]
	s_cbranch_execz .LBB11_1508
.LBB11_1507:
	v_mov_b32_e32 v2, 8
	v_and_b32_e32 v3, 7, v9
	v_lshrrev_b32_sdwa v2, v2, v9 dst_sel:BYTE_1 dst_unused:UNUSED_PAD src0_sel:DWORD src1_sel:DWORD
	v_ffbh_u32_e32 v4, v3
	v_or_b32_sdwa v2, v9, v2 dst_sel:DWORD dst_unused:UNUSED_PAD src0_sel:BYTE_0 src1_sel:DWORD
	v_min_u32_e32 v4, 32, v4
	v_lshrrev_b16_e32 v2, 3, v2
	v_subrev_u32_e32 v6, 28, v4
	v_and_b32_e32 v2, 15, v2
	v_lshlrev_b32_e32 v6, v6, v9
	v_sub_u32_e32 v4, 29, v4
	v_and_b32_e32 v6, 7, v6
	v_cmp_eq_u16_e32 vcc, 0, v2
	v_cndmask_b32_e32 v3, v3, v6, vcc
	v_cndmask_b32_e32 v2, v2, v4, vcc
	v_lshlrev_b32_e32 v4, 24, v9
	v_mov_b32_e32 v6, 0x3b800000
	v_lshlrev_b32_e32 v3, 20, v3
	v_and_b32_e32 v4, 0x80000000, v4
	v_lshl_add_u32 v2, v2, 23, v6
	v_or3_b32 v2, v4, v2, v3
.LBB11_1508:
	s_or_b64 exec, exec, s[6:7]
	s_movk_i32 s4, 0x7f
	v_cmp_gt_i16_sdwa s[6:7], v5, s4 src0_sel:BYTE_0 src1_sel:DWORD
	s_mov_b64 s[4:5], 0
                                        ; implicit-def: $sgpr10
	s_and_saveexec_b64 s[8:9], s[6:7]
	s_xor_b64 s[6:7], exec, s[8:9]
	s_cbranch_execnz .LBB11_3557
; %bb.1509:
	s_or_saveexec_b64 s[6:7], s[6:7]
	v_mov_b32_e32 v3, s10
	s_xor_b64 exec, exec, s[6:7]
	s_cbranch_execnz .LBB11_3560
.LBB11_1510:
	s_or_b64 exec, exec, s[6:7]
	s_and_saveexec_b64 s[6:7], s[4:5]
	s_cbranch_execz .LBB11_1512
.LBB11_1511:
	v_mov_b32_e32 v3, 8
	v_and_b32_e32 v4, 7, v5
	v_lshrrev_b32_sdwa v3, v3, v5 dst_sel:BYTE_1 dst_unused:UNUSED_PAD src0_sel:DWORD src1_sel:DWORD
	v_ffbh_u32_e32 v6, v4
	v_or_b32_sdwa v3, v5, v3 dst_sel:DWORD dst_unused:UNUSED_PAD src0_sel:BYTE_0 src1_sel:DWORD
	v_min_u32_e32 v6, 32, v6
	v_lshrrev_b16_e32 v3, 3, v3
	v_subrev_u32_e32 v7, 28, v6
	v_and_b32_e32 v3, 15, v3
	v_lshlrev_b32_e32 v7, v7, v5
	v_sub_u32_e32 v6, 29, v6
	v_and_b32_e32 v7, 7, v7
	v_cmp_eq_u16_e32 vcc, 0, v3
	v_cndmask_b32_e32 v4, v4, v7, vcc
	v_cndmask_b32_e32 v3, v3, v6, vcc
	v_lshlrev_b32_e32 v6, 24, v5
	v_mov_b32_e32 v7, 0x3b800000
	v_lshlrev_b32_e32 v4, 20, v4
	v_and_b32_e32 v6, 0x80000000, v6
	v_lshl_add_u32 v3, v3, 23, v7
	v_or3_b32 v3, v6, v3, v4
.LBB11_1512:
	s_or_b64 exec, exec, s[6:7]
	s_nop 0
	v_mfma_f32_16x16x4f32 a[0:3], v2, v3, a[0:3]
	v_lshrrev_b32_e32 v3, 8, v9
	s_movk_i32 s4, 0x7f
	v_cmp_gt_i16_sdwa s[6:7], v3, s4 src0_sel:BYTE_0 src1_sel:DWORD
	s_mov_b64 s[4:5], 0
                                        ; implicit-def: $sgpr10
	s_and_saveexec_b64 s[8:9], s[6:7]
	s_xor_b64 s[6:7], exec, s[8:9]
	s_cbranch_execnz .LBB11_3561
; %bb.1513:
	s_or_saveexec_b64 s[6:7], s[6:7]
	v_mov_b32_e32 v2, s10
	s_xor_b64 exec, exec, s[6:7]
	s_cbranch_execnz .LBB11_3564
.LBB11_1514:
	s_or_b64 exec, exec, s[6:7]
	s_and_saveexec_b64 s[6:7], s[4:5]
	s_cbranch_execz .LBB11_1516
.LBB11_1515:
	v_bfe_u32 v2, v9, 8, 3
	v_ffbh_u32_e32 v6, v2
	v_min_u32_e32 v6, 32, v6
	v_lshrrev_b16_e32 v4, 3, v3
	v_subrev_u32_e32 v7, 28, v6
	v_and_b32_e32 v4, 15, v4
	v_lshlrev_b32_e32 v3, v7, v3
	v_sub_u32_e32 v6, 29, v6
	v_and_b32_e32 v3, 7, v3
	v_cmp_eq_u16_e32 vcc, 0, v4
	v_cndmask_b32_e32 v2, v2, v3, vcc
	v_cndmask_b32_e32 v3, v4, v6, vcc
	v_lshlrev_b32_e32 v4, 16, v9
	v_mov_b32_e32 v6, 0x3b800000
	v_lshlrev_b32_e32 v2, 20, v2
	v_and_b32_e32 v4, 0x80000000, v4
	v_lshl_add_u32 v3, v3, 23, v6
	v_or3_b32 v2, v4, v3, v2
.LBB11_1516:
	s_or_b64 exec, exec, s[6:7]
	v_lshrrev_b32_e32 v3, 8, v5
	s_movk_i32 s4, 0x7f
	v_cmp_gt_i16_sdwa s[6:7], v3, s4 src0_sel:BYTE_0 src1_sel:DWORD
	s_mov_b64 s[4:5], 0
                                        ; implicit-def: $sgpr10
	s_and_saveexec_b64 s[8:9], s[6:7]
	s_xor_b64 s[6:7], exec, s[8:9]
	s_cbranch_execnz .LBB11_3565
; %bb.1517:
	s_or_saveexec_b64 s[6:7], s[6:7]
	v_mov_b32_e32 v4, s10
	s_xor_b64 exec, exec, s[6:7]
	s_cbranch_execnz .LBB11_3568
.LBB11_1518:
	s_or_b64 exec, exec, s[6:7]
	s_and_saveexec_b64 s[6:7], s[4:5]
	s_cbranch_execz .LBB11_1520
.LBB11_1519:
	v_bfe_u32 v4, v5, 8, 3
	v_ffbh_u32_e32 v7, v4
	v_min_u32_e32 v7, 32, v7
	v_lshrrev_b16_e32 v6, 3, v3
	v_subrev_u32_e32 v8, 28, v7
	v_and_b32_e32 v6, 15, v6
	v_lshlrev_b32_e32 v3, v8, v3
	v_sub_u32_e32 v7, 29, v7
	v_and_b32_e32 v3, 7, v3
	v_cmp_eq_u16_e32 vcc, 0, v6
	v_cndmask_b32_e32 v3, v4, v3, vcc
	v_cndmask_b32_e32 v4, v6, v7, vcc
	v_lshlrev_b32_e32 v6, 16, v5
	v_mov_b32_e32 v7, 0x3b800000
	v_lshlrev_b32_e32 v3, 20, v3
	v_and_b32_e32 v6, 0x80000000, v6
	v_lshl_add_u32 v4, v4, 23, v7
	v_or3_b32 v4, v6, v4, v3
.LBB11_1520:
	s_or_b64 exec, exec, s[6:7]
	s_nop 0
	v_mfma_f32_16x16x4f32 a[0:3], v2, v4, a[0:3]
	s_movk_i32 s4, 0xff
	v_and_b32_sdwa v3, v9, s4 dst_sel:DWORD dst_unused:UNUSED_PAD src0_sel:WORD_1 src1_sel:DWORD
	s_movk_i32 s4, 0x7f
	v_cmp_lt_i16_e32 vcc, s4, v3
	s_mov_b64 s[4:5], 0
                                        ; implicit-def: $sgpr10
	s_and_saveexec_b64 s[6:7], vcc
	s_xor_b64 s[6:7], exec, s[6:7]
	s_cbranch_execnz .LBB11_3569
; %bb.1521:
	s_or_saveexec_b64 s[6:7], s[6:7]
	v_mov_b32_e32 v2, s10
	s_xor_b64 exec, exec, s[6:7]
	s_cbranch_execnz .LBB11_3572
.LBB11_1522:
	s_or_b64 exec, exec, s[6:7]
	s_and_saveexec_b64 s[6:7], s[4:5]
	s_cbranch_execz .LBB11_1524
.LBB11_1523:
	v_bfe_u32 v2, v9, 16, 3
	v_ffbh_u32_e32 v6, v2
	v_min_u32_e32 v6, 32, v6
	v_lshrrev_b32_e32 v3, 19, v9
	v_subrev_u32_e32 v7, 28, v6
	v_and_b32_e32 v3, 15, v3
	v_lshlrev_b32_sdwa v7, v7, v9 dst_sel:DWORD dst_unused:UNUSED_PAD src0_sel:DWORD src1_sel:WORD_1
	v_bfe_u32 v4, v9, 19, 4
	v_sub_u32_e32 v6, 29, v6
	v_and_b32_e32 v7, 7, v7
	v_cmp_eq_u16_e32 vcc, 0, v3
	v_cndmask_b32_e32 v2, v2, v7, vcc
	v_cndmask_b32_e32 v3, v4, v6, vcc
	v_lshlrev_b32_e32 v4, 8, v9
	v_mov_b32_e32 v6, 0x3b800000
	v_lshlrev_b32_e32 v2, 20, v2
	v_and_b32_e32 v4, 0x80000000, v4
	v_lshl_add_u32 v3, v3, 23, v6
	v_or3_b32 v2, v4, v3, v2
.LBB11_1524:
	s_or_b64 exec, exec, s[6:7]
	s_movk_i32 s4, 0xff
	v_and_b32_sdwa v3, v5, s4 dst_sel:DWORD dst_unused:UNUSED_PAD src0_sel:WORD_1 src1_sel:DWORD
	s_movk_i32 s4, 0x7f
	v_cmp_lt_i16_e32 vcc, s4, v3
	s_mov_b64 s[4:5], 0
                                        ; implicit-def: $sgpr10
	s_and_saveexec_b64 s[6:7], vcc
	s_xor_b64 s[6:7], exec, s[6:7]
	s_cbranch_execnz .LBB11_3573
; %bb.1525:
	s_or_saveexec_b64 s[6:7], s[6:7]
	v_mov_b32_e32 v4, s10
	s_xor_b64 exec, exec, s[6:7]
	s_cbranch_execnz .LBB11_3576
.LBB11_1526:
	s_or_b64 exec, exec, s[6:7]
	s_and_saveexec_b64 s[6:7], s[4:5]
	s_cbranch_execz .LBB11_1528
.LBB11_1527:
	v_bfe_u32 v3, v5, 16, 3
	v_ffbh_u32_e32 v7, v3
	v_min_u32_e32 v7, 32, v7
	v_lshrrev_b32_e32 v4, 19, v5
	v_subrev_u32_e32 v8, 28, v7
	v_and_b32_e32 v4, 15, v4
	v_lshlrev_b32_sdwa v8, v8, v5 dst_sel:DWORD dst_unused:UNUSED_PAD src0_sel:DWORD src1_sel:WORD_1
	v_bfe_u32 v6, v5, 19, 4
	v_sub_u32_e32 v7, 29, v7
	v_and_b32_e32 v8, 7, v8
	v_cmp_eq_u16_e32 vcc, 0, v4
	v_cndmask_b32_e32 v3, v3, v8, vcc
	v_cndmask_b32_e32 v4, v6, v7, vcc
	v_lshlrev_b32_e32 v6, 8, v5
	v_mov_b32_e32 v7, 0x3b800000
	v_lshlrev_b32_e32 v3, 20, v3
	v_and_b32_e32 v6, 0x80000000, v6
	v_lshl_add_u32 v4, v4, 23, v7
	v_or3_b32 v4, v6, v4, v3
.LBB11_1528:
	s_or_b64 exec, exec, s[6:7]
	s_nop 0
	v_mfma_f32_16x16x4f32 a[0:3], v2, v4, a[0:3]
	s_movk_i32 s4, 0x7f
	v_cmp_gt_i16_sdwa s[6:7], v9, s4 src0_sel:BYTE_3 src1_sel:DWORD
	s_mov_b64 s[4:5], 0
                                        ; implicit-def: $sgpr10
	s_and_saveexec_b64 s[8:9], s[6:7]
	s_xor_b64 s[6:7], exec, s[8:9]
	s_cbranch_execnz .LBB11_3577
; %bb.1529:
	s_or_saveexec_b64 s[6:7], s[6:7]
	v_mov_b32_e32 v2, s10
	s_xor_b64 exec, exec, s[6:7]
	s_cbranch_execnz .LBB11_3580
.LBB11_1530:
	s_or_b64 exec, exec, s[6:7]
	s_and_saveexec_b64 s[6:7], s[4:5]
	s_cbranch_execz .LBB11_1532
.LBB11_1531:
	v_bfe_u32 v2, v9, 24, 3
	v_ffbh_u32_e32 v7, v2
	v_min_u32_e32 v7, 32, v7
	v_lshrrev_b32_e32 v4, 27, v9
	v_subrev_u32_e32 v8, 28, v7
	v_and_b32_e32 v4, 15, v4
	v_lshlrev_b32_sdwa v8, v8, v9 dst_sel:DWORD dst_unused:UNUSED_PAD src0_sel:DWORD src1_sel:BYTE_3
	v_bfe_u32 v6, v9, 27, 4
	v_sub_u32_e32 v7, 29, v7
	v_and_b32_e32 v8, 7, v8
	v_cmp_eq_u16_e32 vcc, 0, v4
	v_cndmask_b32_e32 v2, v2, v8, vcc
	v_cndmask_b32_e32 v4, v6, v7, vcc
	v_mov_b32_e32 v6, 0x3b800000
	v_and_b32_e32 v3, 0x80000000, v9
	v_lshlrev_b32_e32 v2, 20, v2
	v_lshl_add_u32 v4, v4, 23, v6
	v_or3_b32 v2, v3, v4, v2
.LBB11_1532:
	s_or_b64 exec, exec, s[6:7]
	s_movk_i32 s4, 0x7f
	v_cmp_gt_i16_sdwa s[6:7], v5, s4 src0_sel:BYTE_3 src1_sel:DWORD
	s_mov_b64 s[4:5], 0
                                        ; implicit-def: $sgpr10
	s_and_saveexec_b64 s[8:9], s[6:7]
	s_xor_b64 s[6:7], exec, s[8:9]
	s_cbranch_execnz .LBB11_3581
; %bb.1533:
	s_or_saveexec_b64 s[6:7], s[6:7]
	v_mov_b32_e32 v3, s10
	s_xor_b64 exec, exec, s[6:7]
	s_cbranch_execnz .LBB11_3584
.LBB11_1534:
	s_or_b64 exec, exec, s[6:7]
	s_and_saveexec_b64 s[6:7], s[4:5]
	s_cbranch_execz .LBB11_1536
.LBB11_1535:
	v_bfe_u32 v3, v5, 24, 3
	v_ffbh_u32_e32 v8, v3
	v_min_u32_e32 v8, 32, v8
	v_lshrrev_b32_e32 v6, 27, v5
	v_subrev_u32_e32 v9, 28, v8
	v_and_b32_e32 v4, 0x80000000, v5
	v_and_b32_e32 v6, 15, v6
	v_bfe_u32 v7, v5, 27, 4
	v_lshlrev_b32_sdwa v5, v9, v5 dst_sel:DWORD dst_unused:UNUSED_PAD src0_sel:DWORD src1_sel:BYTE_3
	v_sub_u32_e32 v8, 29, v8
	v_and_b32_e32 v5, 7, v5
	v_cmp_eq_u16_e32 vcc, 0, v6
	v_cndmask_b32_e32 v3, v3, v5, vcc
	v_cndmask_b32_e32 v5, v7, v8, vcc
	v_mov_b32_e32 v6, 0x3b800000
	v_lshlrev_b32_e32 v3, 20, v3
	v_lshl_add_u32 v5, v5, 23, v6
	v_or3_b32 v3, v4, v5, v3
.LBB11_1536:
	s_or_b64 exec, exec, s[6:7]
	s_nop 0
	v_mfma_f32_16x16x4f32 a[0:3], v2, v3, a[0:3]
	s_movk_i32 s4, 0x7f
                                        ; implicit-def: $sgpr10
	s_nop 7
	s_nop 1
	flat_store_dwordx4 v[18:19], a[0:3] offset:208
	flat_load_dwordx4 v[20:23], v[0:1] offset:16
	s_nop 0
	flat_load_dwordx2 v[18:19], v[0:1] offset:32
	s_waitcnt vmcnt(0) lgkmcnt(0)
	flat_load_dwordx4 v[14:17], v[20:21] offset:32
	flat_load_dwordx4 v[6:9], v[20:21] offset:48
	flat_load_dwordx4 v[10:13], v[22:23] offset:448
	flat_load_dwordx4 v[2:5], v[22:23] offset:464
	s_waitcnt vmcnt(0) lgkmcnt(0)
	v_cmp_gt_i16_sdwa s[6:7], v14, s4 src0_sel:BYTE_0 src1_sel:DWORD
	s_mov_b64 s[4:5], 0
	s_and_saveexec_b64 s[8:9], s[6:7]
	s_xor_b64 s[6:7], exec, s[8:9]
	s_cbranch_execnz .LBB11_3585
; %bb.1537:
	s_or_saveexec_b64 s[6:7], s[6:7]
	v_mov_b32_e32 v20, s10
	s_xor_b64 exec, exec, s[6:7]
	s_cbranch_execnz .LBB11_3588
.LBB11_1538:
	s_or_b64 exec, exec, s[6:7]
	s_and_saveexec_b64 s[6:7], s[4:5]
	s_cbranch_execz .LBB11_1540
.LBB11_1539:
	v_and_b32_e32 v20, 7, v14
	v_ffbh_u32_e32 v22, v20
	v_min_u32_e32 v22, 32, v22
	v_lshrrev_b16_e32 v21, 3, v14
	v_subrev_u32_e32 v23, 28, v22
	v_and_b32_e32 v21, 15, v21
	v_lshlrev_b32_e32 v23, v23, v14
	v_sub_u32_e32 v22, 29, v22
	v_and_b32_e32 v23, 7, v23
	v_cmp_eq_u16_e32 vcc, 0, v21
	v_cndmask_b32_e32 v20, v20, v23, vcc
	v_cndmask_b32_e32 v21, v21, v22, vcc
	v_lshlrev_b32_e32 v22, 24, v14
	v_mov_b32_e32 v23, 0x3b800000
	v_lshlrev_b32_e32 v20, 20, v20
	v_and_b32_e32 v22, 0x80000000, v22
	v_lshl_add_u32 v21, v21, 23, v23
	v_or3_b32 v20, v22, v21, v20
.LBB11_1540:
	s_or_b64 exec, exec, s[6:7]
	s_movk_i32 s4, 0x7f
	v_cmp_gt_i16_sdwa s[6:7], v10, s4 src0_sel:BYTE_0 src1_sel:DWORD
	s_mov_b64 s[4:5], 0
                                        ; implicit-def: $sgpr10
	s_and_saveexec_b64 s[8:9], s[6:7]
	s_xor_b64 s[6:7], exec, s[8:9]
	s_cbranch_execnz .LBB11_3589
; %bb.1541:
	s_or_saveexec_b64 s[6:7], s[6:7]
	v_mov_b32_e32 v21, s10
	s_xor_b64 exec, exec, s[6:7]
	s_cbranch_execnz .LBB11_3592
.LBB11_1542:
	s_or_b64 exec, exec, s[6:7]
	s_and_saveexec_b64 s[6:7], s[4:5]
	s_cbranch_execz .LBB11_1544
.LBB11_1543:
	v_and_b32_e32 v21, 7, v10
	v_ffbh_u32_e32 v23, v21
	v_min_u32_e32 v23, 32, v23
	v_lshrrev_b16_e32 v22, 3, v10
	v_subrev_u32_e32 v24, 28, v23
	v_and_b32_e32 v22, 15, v22
	v_lshlrev_b32_e32 v24, v24, v10
	v_sub_u32_e32 v23, 29, v23
	v_and_b32_e32 v24, 7, v24
	v_cmp_eq_u16_e32 vcc, 0, v22
	v_cndmask_b32_e32 v21, v21, v24, vcc
	v_cndmask_b32_e32 v22, v22, v23, vcc
	v_lshlrev_b32_e32 v23, 24, v10
	v_mov_b32_e32 v24, 0x3b800000
	v_lshlrev_b32_e32 v21, 20, v21
	v_and_b32_e32 v23, 0x80000000, v23
	v_lshl_add_u32 v22, v22, 23, v24
	v_or3_b32 v21, v23, v22, v21
.LBB11_1544:
	s_or_b64 exec, exec, s[6:7]
	flat_load_dwordx4 a[0:3], v[18:19] offset:224
	s_movk_i32 s4, 0x7f
                                        ; implicit-def: $sgpr10
	s_waitcnt vmcnt(0) lgkmcnt(0)
	v_mfma_f32_16x16x4f32 a[0:3], v20, v21, a[0:3]
	v_lshrrev_b32_e32 v21, 8, v14
	v_cmp_gt_i16_sdwa s[6:7], v21, s4 src0_sel:BYTE_0 src1_sel:DWORD
	s_mov_b64 s[4:5], 0
	s_and_saveexec_b64 s[8:9], s[6:7]
	s_xor_b64 s[6:7], exec, s[8:9]
	s_cbranch_execnz .LBB11_3593
; %bb.1545:
	s_or_saveexec_b64 s[6:7], s[6:7]
	v_mov_b32_e32 v20, s10
	s_xor_b64 exec, exec, s[6:7]
	s_cbranch_execnz .LBB11_3596
.LBB11_1546:
	s_or_b64 exec, exec, s[6:7]
	s_and_saveexec_b64 s[6:7], s[4:5]
	s_cbranch_execz .LBB11_1548
.LBB11_1547:
	v_bfe_u32 v20, v14, 8, 3
	v_ffbh_u32_e32 v23, v20
	v_min_u32_e32 v23, 32, v23
	v_lshrrev_b16_e32 v22, 3, v21
	v_subrev_u32_e32 v24, 28, v23
	v_and_b32_e32 v22, 15, v22
	v_lshlrev_b32_e32 v21, v24, v21
	v_sub_u32_e32 v23, 29, v23
	v_and_b32_e32 v21, 7, v21
	v_cmp_eq_u16_e32 vcc, 0, v22
	v_cndmask_b32_e32 v20, v20, v21, vcc
	v_cndmask_b32_e32 v21, v22, v23, vcc
	v_lshlrev_b32_e32 v22, 16, v14
	v_mov_b32_e32 v23, 0x3b800000
	v_lshlrev_b32_e32 v20, 20, v20
	v_and_b32_e32 v22, 0x80000000, v22
	v_lshl_add_u32 v21, v21, 23, v23
	v_or3_b32 v20, v22, v21, v20
.LBB11_1548:
	s_or_b64 exec, exec, s[6:7]
	v_lshrrev_b32_e32 v21, 8, v10
	s_movk_i32 s4, 0x7f
	v_cmp_gt_i16_sdwa s[6:7], v21, s4 src0_sel:BYTE_0 src1_sel:DWORD
	s_mov_b64 s[4:5], 0
                                        ; implicit-def: $sgpr10
	s_and_saveexec_b64 s[8:9], s[6:7]
	s_xor_b64 s[6:7], exec, s[8:9]
	s_cbranch_execnz .LBB11_3597
; %bb.1549:
	s_or_saveexec_b64 s[6:7], s[6:7]
	v_mov_b32_e32 v22, s10
	s_xor_b64 exec, exec, s[6:7]
	s_cbranch_execnz .LBB11_3600
.LBB11_1550:
	s_or_b64 exec, exec, s[6:7]
	s_and_saveexec_b64 s[6:7], s[4:5]
	s_cbranch_execz .LBB11_1552
.LBB11_1551:
	v_bfe_u32 v22, v10, 8, 3
	v_ffbh_u32_e32 v24, v22
	v_min_u32_e32 v24, 32, v24
	v_lshrrev_b16_e32 v23, 3, v21
	v_subrev_u32_e32 v25, 28, v24
	v_and_b32_e32 v23, 15, v23
	v_lshlrev_b32_e32 v21, v25, v21
	v_sub_u32_e32 v24, 29, v24
	v_and_b32_e32 v21, 7, v21
	v_cmp_eq_u16_e32 vcc, 0, v23
	v_cndmask_b32_e32 v21, v22, v21, vcc
	v_cndmask_b32_e32 v22, v23, v24, vcc
	v_lshlrev_b32_e32 v23, 16, v10
	v_mov_b32_e32 v24, 0x3b800000
	v_lshlrev_b32_e32 v21, 20, v21
	v_and_b32_e32 v23, 0x80000000, v23
	v_lshl_add_u32 v22, v22, 23, v24
	v_or3_b32 v22, v23, v22, v21
.LBB11_1552:
	s_or_b64 exec, exec, s[6:7]
	s_nop 0
	v_mfma_f32_16x16x4f32 a[0:3], v20, v22, a[0:3]
	s_movk_i32 s4, 0xff
	v_and_b32_sdwa v21, v14, s4 dst_sel:DWORD dst_unused:UNUSED_PAD src0_sel:WORD_1 src1_sel:DWORD
	s_movk_i32 s4, 0x7f
	v_cmp_lt_i16_e32 vcc, s4, v21
	s_mov_b64 s[4:5], 0
                                        ; implicit-def: $sgpr10
	s_and_saveexec_b64 s[6:7], vcc
	s_xor_b64 s[6:7], exec, s[6:7]
	s_cbranch_execnz .LBB11_3601
; %bb.1553:
	s_or_saveexec_b64 s[6:7], s[6:7]
	v_mov_b32_e32 v20, s10
	s_xor_b64 exec, exec, s[6:7]
	s_cbranch_execnz .LBB11_3604
.LBB11_1554:
	s_or_b64 exec, exec, s[6:7]
	s_and_saveexec_b64 s[6:7], s[4:5]
	s_cbranch_execz .LBB11_1556
.LBB11_1555:
	v_bfe_u32 v20, v14, 16, 3
	v_ffbh_u32_e32 v23, v20
	v_min_u32_e32 v23, 32, v23
	v_lshrrev_b32_e32 v21, 19, v14
	v_subrev_u32_e32 v24, 28, v23
	v_and_b32_e32 v21, 15, v21
	v_lshlrev_b32_sdwa v24, v24, v14 dst_sel:DWORD dst_unused:UNUSED_PAD src0_sel:DWORD src1_sel:WORD_1
	v_bfe_u32 v22, v14, 19, 4
	v_sub_u32_e32 v23, 29, v23
	v_and_b32_e32 v24, 7, v24
	v_cmp_eq_u16_e32 vcc, 0, v21
	v_cndmask_b32_e32 v20, v20, v24, vcc
	v_cndmask_b32_e32 v21, v22, v23, vcc
	v_lshlrev_b32_e32 v22, 8, v14
	v_mov_b32_e32 v23, 0x3b800000
	v_lshlrev_b32_e32 v20, 20, v20
	v_and_b32_e32 v22, 0x80000000, v22
	v_lshl_add_u32 v21, v21, 23, v23
	v_or3_b32 v20, v22, v21, v20
.LBB11_1556:
	s_or_b64 exec, exec, s[6:7]
	s_movk_i32 s4, 0xff
	v_and_b32_sdwa v21, v10, s4 dst_sel:DWORD dst_unused:UNUSED_PAD src0_sel:WORD_1 src1_sel:DWORD
	s_movk_i32 s4, 0x7f
	v_cmp_lt_i16_e32 vcc, s4, v21
	s_mov_b64 s[4:5], 0
                                        ; implicit-def: $sgpr10
	s_and_saveexec_b64 s[6:7], vcc
	s_xor_b64 s[6:7], exec, s[6:7]
	s_cbranch_execnz .LBB11_3605
; %bb.1557:
	s_or_saveexec_b64 s[6:7], s[6:7]
	v_mov_b32_e32 v22, s10
	s_xor_b64 exec, exec, s[6:7]
	s_cbranch_execnz .LBB11_3608
.LBB11_1558:
	s_or_b64 exec, exec, s[6:7]
	s_and_saveexec_b64 s[6:7], s[4:5]
	s_cbranch_execz .LBB11_1560
.LBB11_1559:
	v_bfe_u32 v21, v10, 16, 3
	v_ffbh_u32_e32 v24, v21
	v_min_u32_e32 v24, 32, v24
	v_lshrrev_b32_e32 v22, 19, v10
	v_subrev_u32_e32 v25, 28, v24
	v_and_b32_e32 v22, 15, v22
	v_lshlrev_b32_sdwa v25, v25, v10 dst_sel:DWORD dst_unused:UNUSED_PAD src0_sel:DWORD src1_sel:WORD_1
	v_bfe_u32 v23, v10, 19, 4
	v_sub_u32_e32 v24, 29, v24
	v_and_b32_e32 v25, 7, v25
	v_cmp_eq_u16_e32 vcc, 0, v22
	v_cndmask_b32_e32 v21, v21, v25, vcc
	v_cndmask_b32_e32 v22, v23, v24, vcc
	v_lshlrev_b32_e32 v23, 8, v10
	v_mov_b32_e32 v24, 0x3b800000
	v_lshlrev_b32_e32 v21, 20, v21
	v_and_b32_e32 v23, 0x80000000, v23
	v_lshl_add_u32 v22, v22, 23, v24
	v_or3_b32 v22, v23, v22, v21
.LBB11_1560:
	s_or_b64 exec, exec, s[6:7]
	s_nop 0
	v_mfma_f32_16x16x4f32 a[0:3], v20, v22, a[0:3]
	s_movk_i32 s4, 0x7f
	v_cmp_gt_i16_sdwa s[6:7], v14, s4 src0_sel:BYTE_3 src1_sel:DWORD
	s_mov_b64 s[4:5], 0
                                        ; implicit-def: $sgpr10
	s_and_saveexec_b64 s[8:9], s[6:7]
	s_xor_b64 s[6:7], exec, s[8:9]
	s_cbranch_execnz .LBB11_3609
; %bb.1561:
	s_or_saveexec_b64 s[6:7], s[6:7]
	v_mov_b32_e32 v20, s10
	s_xor_b64 exec, exec, s[6:7]
	s_cbranch_execnz .LBB11_3612
.LBB11_1562:
	s_or_b64 exec, exec, s[6:7]
	s_and_saveexec_b64 s[6:7], s[4:5]
	s_cbranch_execz .LBB11_1564
.LBB11_1563:
	v_bfe_u32 v20, v14, 24, 3
	v_ffbh_u32_e32 v24, v20
	v_min_u32_e32 v24, 32, v24
	v_lshrrev_b32_e32 v22, 27, v14
	v_subrev_u32_e32 v25, 28, v24
	v_and_b32_e32 v21, 0x80000000, v14
	v_and_b32_e32 v22, 15, v22
	v_bfe_u32 v23, v14, 27, 4
	v_lshlrev_b32_sdwa v14, v25, v14 dst_sel:DWORD dst_unused:UNUSED_PAD src0_sel:DWORD src1_sel:BYTE_3
	v_sub_u32_e32 v24, 29, v24
	v_and_b32_e32 v14, 7, v14
	v_cmp_eq_u16_e32 vcc, 0, v22
	v_cndmask_b32_e32 v14, v20, v14, vcc
	v_cndmask_b32_e32 v20, v23, v24, vcc
	v_mov_b32_e32 v22, 0x3b800000
	v_lshlrev_b32_e32 v14, 20, v14
	v_lshl_add_u32 v20, v20, 23, v22
	v_or3_b32 v20, v21, v20, v14
.LBB11_1564:
	s_or_b64 exec, exec, s[6:7]
	s_movk_i32 s4, 0x7f
	v_cmp_gt_i16_sdwa s[6:7], v10, s4 src0_sel:BYTE_3 src1_sel:DWORD
	s_mov_b64 s[4:5], 0
                                        ; implicit-def: $sgpr10
	s_and_saveexec_b64 s[8:9], s[6:7]
	s_xor_b64 s[6:7], exec, s[8:9]
	s_cbranch_execnz .LBB11_3613
; %bb.1565:
	s_or_saveexec_b64 s[6:7], s[6:7]
	v_mov_b32_e32 v14, s10
	s_xor_b64 exec, exec, s[6:7]
	s_cbranch_execnz .LBB11_3616
.LBB11_1566:
	s_or_b64 exec, exec, s[6:7]
	s_and_saveexec_b64 s[6:7], s[4:5]
	s_cbranch_execz .LBB11_1568
.LBB11_1567:
	v_bfe_u32 v14, v10, 24, 3
	v_ffbh_u32_e32 v24, v14
	v_min_u32_e32 v24, 32, v24
	v_lshrrev_b32_e32 v22, 27, v10
	v_subrev_u32_e32 v25, 28, v24
	v_and_b32_e32 v21, 0x80000000, v10
	v_and_b32_e32 v22, 15, v22
	v_bfe_u32 v23, v10, 27, 4
	v_lshlrev_b32_sdwa v10, v25, v10 dst_sel:DWORD dst_unused:UNUSED_PAD src0_sel:DWORD src1_sel:BYTE_3
	v_sub_u32_e32 v24, 29, v24
	v_and_b32_e32 v10, 7, v10
	v_cmp_eq_u16_e32 vcc, 0, v22
	v_cndmask_b32_e32 v10, v14, v10, vcc
	v_cndmask_b32_e32 v14, v23, v24, vcc
	v_mov_b32_e32 v22, 0x3b800000
	v_lshlrev_b32_e32 v10, 20, v10
	v_lshl_add_u32 v14, v14, 23, v22
	v_or3_b32 v14, v21, v14, v10
.LBB11_1568:
	s_or_b64 exec, exec, s[6:7]
	s_nop 0
	v_mfma_f32_16x16x4f32 a[0:3], v20, v14, a[0:3]
	s_movk_i32 s4, 0x7f
	v_cmp_gt_i16_sdwa s[6:7], v15, s4 src0_sel:BYTE_0 src1_sel:DWORD
	s_mov_b64 s[4:5], 0
                                        ; implicit-def: $sgpr10
	s_and_saveexec_b64 s[8:9], s[6:7]
	s_xor_b64 s[6:7], exec, s[8:9]
	s_cbranch_execnz .LBB11_3617
; %bb.1569:
	s_or_saveexec_b64 s[6:7], s[6:7]
	v_mov_b32_e32 v10, s10
	s_xor_b64 exec, exec, s[6:7]
	s_cbranch_execnz .LBB11_3620
.LBB11_1570:
	s_or_b64 exec, exec, s[6:7]
	s_and_saveexec_b64 s[6:7], s[4:5]
	s_cbranch_execz .LBB11_1572
.LBB11_1571:
	v_and_b32_e32 v10, 7, v15
	v_ffbh_u32_e32 v20, v10
	v_min_u32_e32 v20, 32, v20
	v_lshrrev_b16_e32 v14, 3, v15
	v_subrev_u32_e32 v21, 28, v20
	v_and_b32_e32 v14, 15, v14
	v_lshlrev_b32_e32 v21, v21, v15
	v_sub_u32_e32 v20, 29, v20
	v_and_b32_e32 v21, 7, v21
	v_cmp_eq_u16_e32 vcc, 0, v14
	v_cndmask_b32_e32 v10, v10, v21, vcc
	v_cndmask_b32_e32 v14, v14, v20, vcc
	v_lshlrev_b32_e32 v20, 24, v15
	v_mov_b32_e32 v21, 0x3b800000
	v_lshlrev_b32_e32 v10, 20, v10
	v_and_b32_e32 v20, 0x80000000, v20
	v_lshl_add_u32 v14, v14, 23, v21
	v_or3_b32 v10, v20, v14, v10
.LBB11_1572:
	s_or_b64 exec, exec, s[6:7]
	s_movk_i32 s4, 0x7f
	v_cmp_gt_i16_sdwa s[6:7], v11, s4 src0_sel:BYTE_0 src1_sel:DWORD
	s_mov_b64 s[4:5], 0
                                        ; implicit-def: $sgpr10
	s_and_saveexec_b64 s[8:9], s[6:7]
	s_xor_b64 s[6:7], exec, s[8:9]
	s_cbranch_execnz .LBB11_3621
; %bb.1573:
	s_or_saveexec_b64 s[6:7], s[6:7]
	v_mov_b32_e32 v14, s10
	s_xor_b64 exec, exec, s[6:7]
	s_cbranch_execnz .LBB11_3624
.LBB11_1574:
	s_or_b64 exec, exec, s[6:7]
	s_and_saveexec_b64 s[6:7], s[4:5]
	s_cbranch_execz .LBB11_1576
.LBB11_1575:
	v_and_b32_e32 v14, 7, v11
	v_ffbh_u32_e32 v21, v14
	v_min_u32_e32 v21, 32, v21
	v_lshrrev_b16_e32 v20, 3, v11
	v_subrev_u32_e32 v22, 28, v21
	v_and_b32_e32 v20, 15, v20
	v_lshlrev_b32_e32 v22, v22, v11
	v_sub_u32_e32 v21, 29, v21
	v_and_b32_e32 v22, 7, v22
	v_cmp_eq_u16_e32 vcc, 0, v20
	v_cndmask_b32_e32 v14, v14, v22, vcc
	v_cndmask_b32_e32 v20, v20, v21, vcc
	v_lshlrev_b32_e32 v21, 24, v11
	v_mov_b32_e32 v22, 0x3b800000
	v_lshlrev_b32_e32 v14, 20, v14
	v_and_b32_e32 v21, 0x80000000, v21
	v_lshl_add_u32 v20, v20, 23, v22
	v_or3_b32 v14, v21, v20, v14
.LBB11_1576:
	s_or_b64 exec, exec, s[6:7]
	s_nop 0
	v_mfma_f32_16x16x4f32 a[0:3], v10, v14, a[0:3]
	v_lshrrev_b32_e32 v14, 8, v15
	s_movk_i32 s4, 0x7f
	v_cmp_gt_i16_sdwa s[6:7], v14, s4 src0_sel:BYTE_0 src1_sel:DWORD
	s_mov_b64 s[4:5], 0
                                        ; implicit-def: $sgpr10
	s_and_saveexec_b64 s[8:9], s[6:7]
	s_xor_b64 s[6:7], exec, s[8:9]
	s_cbranch_execnz .LBB11_3625
; %bb.1577:
	s_or_saveexec_b64 s[6:7], s[6:7]
	v_mov_b32_e32 v10, s10
	s_xor_b64 exec, exec, s[6:7]
	s_cbranch_execnz .LBB11_3628
.LBB11_1578:
	s_or_b64 exec, exec, s[6:7]
	s_and_saveexec_b64 s[6:7], s[4:5]
	s_cbranch_execz .LBB11_1580
.LBB11_1579:
	v_bfe_u32 v10, v15, 8, 3
	v_ffbh_u32_e32 v21, v10
	v_min_u32_e32 v21, 32, v21
	v_lshrrev_b16_e32 v20, 3, v14
	v_subrev_u32_e32 v22, 28, v21
	v_and_b32_e32 v20, 15, v20
	v_lshlrev_b32_e32 v14, v22, v14
	v_sub_u32_e32 v21, 29, v21
	v_and_b32_e32 v14, 7, v14
	v_cmp_eq_u16_e32 vcc, 0, v20
	v_cndmask_b32_e32 v10, v10, v14, vcc
	v_cndmask_b32_e32 v14, v20, v21, vcc
	v_lshlrev_b32_e32 v20, 16, v15
	v_mov_b32_e32 v21, 0x3b800000
	v_lshlrev_b32_e32 v10, 20, v10
	v_and_b32_e32 v20, 0x80000000, v20
	v_lshl_add_u32 v14, v14, 23, v21
	v_or3_b32 v10, v20, v14, v10
.LBB11_1580:
	s_or_b64 exec, exec, s[6:7]
	v_lshrrev_b32_e32 v14, 8, v11
	s_movk_i32 s4, 0x7f
	v_cmp_gt_i16_sdwa s[6:7], v14, s4 src0_sel:BYTE_0 src1_sel:DWORD
	s_mov_b64 s[4:5], 0
                                        ; implicit-def: $sgpr10
	s_and_saveexec_b64 s[8:9], s[6:7]
	s_xor_b64 s[6:7], exec, s[8:9]
	s_cbranch_execnz .LBB11_3629
; %bb.1581:
	s_or_saveexec_b64 s[6:7], s[6:7]
	v_mov_b32_e32 v20, s10
	s_xor_b64 exec, exec, s[6:7]
	s_cbranch_execnz .LBB11_3632
.LBB11_1582:
	s_or_b64 exec, exec, s[6:7]
	s_and_saveexec_b64 s[6:7], s[4:5]
	s_cbranch_execz .LBB11_1584
.LBB11_1583:
	v_bfe_u32 v20, v11, 8, 3
	v_ffbh_u32_e32 v22, v20
	v_min_u32_e32 v22, 32, v22
	v_lshrrev_b16_e32 v21, 3, v14
	v_subrev_u32_e32 v23, 28, v22
	v_and_b32_e32 v21, 15, v21
	v_lshlrev_b32_e32 v14, v23, v14
	v_sub_u32_e32 v22, 29, v22
	v_and_b32_e32 v14, 7, v14
	v_cmp_eq_u16_e32 vcc, 0, v21
	v_cndmask_b32_e32 v14, v20, v14, vcc
	v_cndmask_b32_e32 v20, v21, v22, vcc
	v_lshlrev_b32_e32 v21, 16, v11
	v_mov_b32_e32 v22, 0x3b800000
	v_lshlrev_b32_e32 v14, 20, v14
	v_and_b32_e32 v21, 0x80000000, v21
	v_lshl_add_u32 v20, v20, 23, v22
	v_or3_b32 v20, v21, v20, v14
.LBB11_1584:
	s_or_b64 exec, exec, s[6:7]
	s_nop 0
	v_mfma_f32_16x16x4f32 a[0:3], v10, v20, a[0:3]
	s_movk_i32 s4, 0xff
	v_and_b32_sdwa v14, v15, s4 dst_sel:DWORD dst_unused:UNUSED_PAD src0_sel:WORD_1 src1_sel:DWORD
	s_movk_i32 s4, 0x7f
	v_cmp_lt_i16_e32 vcc, s4, v14
	s_mov_b64 s[4:5], 0
                                        ; implicit-def: $sgpr10
	s_and_saveexec_b64 s[6:7], vcc
	s_xor_b64 s[6:7], exec, s[6:7]
	s_cbranch_execnz .LBB11_3633
; %bb.1585:
	s_or_saveexec_b64 s[6:7], s[6:7]
	v_mov_b32_e32 v10, s10
	s_xor_b64 exec, exec, s[6:7]
	s_cbranch_execnz .LBB11_3636
.LBB11_1586:
	s_or_b64 exec, exec, s[6:7]
	s_and_saveexec_b64 s[6:7], s[4:5]
	s_cbranch_execz .LBB11_1588
.LBB11_1587:
	v_bfe_u32 v10, v15, 16, 3
	v_ffbh_u32_e32 v21, v10
	v_min_u32_e32 v21, 32, v21
	v_lshrrev_b32_e32 v14, 19, v15
	v_subrev_u32_e32 v22, 28, v21
	v_and_b32_e32 v14, 15, v14
	v_lshlrev_b32_sdwa v22, v22, v15 dst_sel:DWORD dst_unused:UNUSED_PAD src0_sel:DWORD src1_sel:WORD_1
	v_bfe_u32 v20, v15, 19, 4
	v_sub_u32_e32 v21, 29, v21
	v_and_b32_e32 v22, 7, v22
	v_cmp_eq_u16_e32 vcc, 0, v14
	v_cndmask_b32_e32 v10, v10, v22, vcc
	v_cndmask_b32_e32 v14, v20, v21, vcc
	v_lshlrev_b32_e32 v20, 8, v15
	v_mov_b32_e32 v21, 0x3b800000
	v_lshlrev_b32_e32 v10, 20, v10
	v_and_b32_e32 v20, 0x80000000, v20
	v_lshl_add_u32 v14, v14, 23, v21
	v_or3_b32 v10, v20, v14, v10
.LBB11_1588:
	s_or_b64 exec, exec, s[6:7]
	s_movk_i32 s4, 0xff
	v_and_b32_sdwa v14, v11, s4 dst_sel:DWORD dst_unused:UNUSED_PAD src0_sel:WORD_1 src1_sel:DWORD
	s_movk_i32 s4, 0x7f
	v_cmp_lt_i16_e32 vcc, s4, v14
	s_mov_b64 s[4:5], 0
                                        ; implicit-def: $sgpr10
	s_and_saveexec_b64 s[6:7], vcc
	s_xor_b64 s[6:7], exec, s[6:7]
	s_cbranch_execnz .LBB11_3637
; %bb.1589:
	s_or_saveexec_b64 s[6:7], s[6:7]
	v_mov_b32_e32 v20, s10
	s_xor_b64 exec, exec, s[6:7]
	s_cbranch_execnz .LBB11_3640
.LBB11_1590:
	s_or_b64 exec, exec, s[6:7]
	s_and_saveexec_b64 s[6:7], s[4:5]
	s_cbranch_execz .LBB11_1592
.LBB11_1591:
	v_bfe_u32 v14, v11, 16, 3
	v_ffbh_u32_e32 v22, v14
	v_min_u32_e32 v22, 32, v22
	v_lshrrev_b32_e32 v20, 19, v11
	v_subrev_u32_e32 v23, 28, v22
	v_and_b32_e32 v20, 15, v20
	v_lshlrev_b32_sdwa v23, v23, v11 dst_sel:DWORD dst_unused:UNUSED_PAD src0_sel:DWORD src1_sel:WORD_1
	v_bfe_u32 v21, v11, 19, 4
	v_sub_u32_e32 v22, 29, v22
	v_and_b32_e32 v23, 7, v23
	v_cmp_eq_u16_e32 vcc, 0, v20
	v_cndmask_b32_e32 v14, v14, v23, vcc
	v_cndmask_b32_e32 v20, v21, v22, vcc
	v_lshlrev_b32_e32 v21, 8, v11
	v_mov_b32_e32 v22, 0x3b800000
	v_lshlrev_b32_e32 v14, 20, v14
	v_and_b32_e32 v21, 0x80000000, v21
	v_lshl_add_u32 v20, v20, 23, v22
	v_or3_b32 v20, v21, v20, v14
.LBB11_1592:
	s_or_b64 exec, exec, s[6:7]
	s_nop 0
	v_mfma_f32_16x16x4f32 a[0:3], v10, v20, a[0:3]
	s_movk_i32 s4, 0x7f
	v_cmp_gt_i16_sdwa s[6:7], v15, s4 src0_sel:BYTE_3 src1_sel:DWORD
	s_mov_b64 s[4:5], 0
                                        ; implicit-def: $sgpr10
	s_and_saveexec_b64 s[8:9], s[6:7]
	s_xor_b64 s[6:7], exec, s[8:9]
	s_cbranch_execnz .LBB11_3641
; %bb.1593:
	s_or_saveexec_b64 s[6:7], s[6:7]
	v_mov_b32_e32 v10, s10
	s_xor_b64 exec, exec, s[6:7]
	s_cbranch_execnz .LBB11_3644
.LBB11_1594:
	s_or_b64 exec, exec, s[6:7]
	s_and_saveexec_b64 s[6:7], s[4:5]
	s_cbranch_execz .LBB11_1596
.LBB11_1595:
	v_bfe_u32 v10, v15, 24, 3
	v_ffbh_u32_e32 v22, v10
	v_min_u32_e32 v22, 32, v22
	v_lshrrev_b32_e32 v20, 27, v15
	v_subrev_u32_e32 v23, 28, v22
	v_and_b32_e32 v14, 0x80000000, v15
	v_and_b32_e32 v20, 15, v20
	v_bfe_u32 v21, v15, 27, 4
	v_lshlrev_b32_sdwa v15, v23, v15 dst_sel:DWORD dst_unused:UNUSED_PAD src0_sel:DWORD src1_sel:BYTE_3
	v_sub_u32_e32 v22, 29, v22
	v_and_b32_e32 v15, 7, v15
	v_cmp_eq_u16_e32 vcc, 0, v20
	v_cndmask_b32_e32 v10, v10, v15, vcc
	v_cndmask_b32_e32 v15, v21, v22, vcc
	v_mov_b32_e32 v20, 0x3b800000
	v_lshlrev_b32_e32 v10, 20, v10
	v_lshl_add_u32 v15, v15, 23, v20
	v_or3_b32 v10, v14, v15, v10
.LBB11_1596:
	s_or_b64 exec, exec, s[6:7]
	s_movk_i32 s4, 0x7f
	v_cmp_gt_i16_sdwa s[6:7], v11, s4 src0_sel:BYTE_3 src1_sel:DWORD
	s_mov_b64 s[4:5], 0
                                        ; implicit-def: $sgpr10
	s_and_saveexec_b64 s[8:9], s[6:7]
	s_xor_b64 s[6:7], exec, s[8:9]
	s_cbranch_execnz .LBB11_3645
; %bb.1597:
	s_or_saveexec_b64 s[6:7], s[6:7]
	v_mov_b32_e32 v14, s10
	s_xor_b64 exec, exec, s[6:7]
	s_cbranch_execnz .LBB11_3648
.LBB11_1598:
	s_or_b64 exec, exec, s[6:7]
	s_and_saveexec_b64 s[6:7], s[4:5]
	s_cbranch_execz .LBB11_1600
.LBB11_1599:
	v_bfe_u32 v14, v11, 24, 3
	v_ffbh_u32_e32 v22, v14
	v_min_u32_e32 v22, 32, v22
	v_lshrrev_b32_e32 v20, 27, v11
	v_subrev_u32_e32 v23, 28, v22
	v_and_b32_e32 v15, 0x80000000, v11
	v_and_b32_e32 v20, 15, v20
	v_bfe_u32 v21, v11, 27, 4
	v_lshlrev_b32_sdwa v11, v23, v11 dst_sel:DWORD dst_unused:UNUSED_PAD src0_sel:DWORD src1_sel:BYTE_3
	v_sub_u32_e32 v22, 29, v22
	v_and_b32_e32 v11, 7, v11
	v_cmp_eq_u16_e32 vcc, 0, v20
	v_cndmask_b32_e32 v11, v14, v11, vcc
	v_cndmask_b32_e32 v14, v21, v22, vcc
	v_mov_b32_e32 v20, 0x3b800000
	v_lshlrev_b32_e32 v11, 20, v11
	v_lshl_add_u32 v14, v14, 23, v20
	v_or3_b32 v14, v15, v14, v11
.LBB11_1600:
	s_or_b64 exec, exec, s[6:7]
	s_nop 0
	v_mfma_f32_16x16x4f32 a[0:3], v10, v14, a[0:3]
	s_movk_i32 s4, 0x7f
	v_cmp_gt_i16_sdwa s[6:7], v16, s4 src0_sel:BYTE_0 src1_sel:DWORD
	s_mov_b64 s[4:5], 0
                                        ; implicit-def: $sgpr10
	s_and_saveexec_b64 s[8:9], s[6:7]
	s_xor_b64 s[6:7], exec, s[8:9]
	s_cbranch_execnz .LBB11_3649
; %bb.1601:
	s_or_saveexec_b64 s[6:7], s[6:7]
	v_mov_b32_e32 v10, s10
	s_xor_b64 exec, exec, s[6:7]
	s_cbranch_execnz .LBB11_3652
.LBB11_1602:
	s_or_b64 exec, exec, s[6:7]
	s_and_saveexec_b64 s[6:7], s[4:5]
	s_cbranch_execz .LBB11_1604
.LBB11_1603:
	v_and_b32_e32 v10, 7, v16
	v_ffbh_u32_e32 v14, v10
	v_min_u32_e32 v14, 32, v14
	v_lshrrev_b16_e32 v11, 3, v16
	v_subrev_u32_e32 v15, 28, v14
	v_and_b32_e32 v11, 15, v11
	v_lshlrev_b32_e32 v15, v15, v16
	v_sub_u32_e32 v14, 29, v14
	v_and_b32_e32 v15, 7, v15
	v_cmp_eq_u16_e32 vcc, 0, v11
	v_cndmask_b32_e32 v10, v10, v15, vcc
	v_cndmask_b32_e32 v11, v11, v14, vcc
	v_lshlrev_b32_e32 v14, 24, v16
	v_mov_b32_e32 v15, 0x3b800000
	v_lshlrev_b32_e32 v10, 20, v10
	v_and_b32_e32 v14, 0x80000000, v14
	v_lshl_add_u32 v11, v11, 23, v15
	v_or3_b32 v10, v14, v11, v10
.LBB11_1604:
	s_or_b64 exec, exec, s[6:7]
	s_movk_i32 s4, 0x7f
	v_cmp_gt_i16_sdwa s[6:7], v12, s4 src0_sel:BYTE_0 src1_sel:DWORD
	s_mov_b64 s[4:5], 0
                                        ; implicit-def: $sgpr10
	s_and_saveexec_b64 s[8:9], s[6:7]
	s_xor_b64 s[6:7], exec, s[8:9]
	s_cbranch_execnz .LBB11_3653
; %bb.1605:
	s_or_saveexec_b64 s[6:7], s[6:7]
	v_mov_b32_e32 v11, s10
	s_xor_b64 exec, exec, s[6:7]
	s_cbranch_execnz .LBB11_3656
.LBB11_1606:
	s_or_b64 exec, exec, s[6:7]
	s_and_saveexec_b64 s[6:7], s[4:5]
	s_cbranch_execz .LBB11_1608
.LBB11_1607:
	v_and_b32_e32 v11, 7, v12
	v_ffbh_u32_e32 v15, v11
	v_min_u32_e32 v15, 32, v15
	v_lshrrev_b16_e32 v14, 3, v12
	v_subrev_u32_e32 v20, 28, v15
	v_and_b32_e32 v14, 15, v14
	v_lshlrev_b32_e32 v20, v20, v12
	v_sub_u32_e32 v15, 29, v15
	v_and_b32_e32 v20, 7, v20
	v_cmp_eq_u16_e32 vcc, 0, v14
	v_cndmask_b32_e32 v11, v11, v20, vcc
	v_cndmask_b32_e32 v14, v14, v15, vcc
	v_lshlrev_b32_e32 v15, 24, v12
	v_mov_b32_e32 v20, 0x3b800000
	v_lshlrev_b32_e32 v11, 20, v11
	v_and_b32_e32 v15, 0x80000000, v15
	v_lshl_add_u32 v14, v14, 23, v20
	v_or3_b32 v11, v15, v14, v11
.LBB11_1608:
	s_or_b64 exec, exec, s[6:7]
	s_nop 0
	v_mfma_f32_16x16x4f32 a[0:3], v10, v11, a[0:3]
	v_lshrrev_b32_e32 v11, 8, v16
	s_movk_i32 s4, 0x7f
	v_cmp_gt_i16_sdwa s[6:7], v11, s4 src0_sel:BYTE_0 src1_sel:DWORD
	s_mov_b64 s[4:5], 0
                                        ; implicit-def: $sgpr10
	s_and_saveexec_b64 s[8:9], s[6:7]
	s_xor_b64 s[6:7], exec, s[8:9]
	s_cbranch_execnz .LBB11_3657
; %bb.1609:
	s_or_saveexec_b64 s[6:7], s[6:7]
	v_mov_b32_e32 v10, s10
	s_xor_b64 exec, exec, s[6:7]
	s_cbranch_execnz .LBB11_3660
.LBB11_1610:
	s_or_b64 exec, exec, s[6:7]
	s_and_saveexec_b64 s[6:7], s[4:5]
	s_cbranch_execz .LBB11_1612
.LBB11_1611:
	v_bfe_u32 v10, v16, 8, 3
	v_ffbh_u32_e32 v15, v10
	v_min_u32_e32 v15, 32, v15
	v_lshrrev_b16_e32 v14, 3, v11
	v_subrev_u32_e32 v20, 28, v15
	v_and_b32_e32 v14, 15, v14
	v_lshlrev_b32_e32 v11, v20, v11
	v_sub_u32_e32 v15, 29, v15
	v_and_b32_e32 v11, 7, v11
	v_cmp_eq_u16_e32 vcc, 0, v14
	v_cndmask_b32_e32 v10, v10, v11, vcc
	v_cndmask_b32_e32 v11, v14, v15, vcc
	v_lshlrev_b32_e32 v14, 16, v16
	v_mov_b32_e32 v15, 0x3b800000
	v_lshlrev_b32_e32 v10, 20, v10
	v_and_b32_e32 v14, 0x80000000, v14
	v_lshl_add_u32 v11, v11, 23, v15
	v_or3_b32 v10, v14, v11, v10
.LBB11_1612:
	s_or_b64 exec, exec, s[6:7]
	v_lshrrev_b32_e32 v11, 8, v12
	s_movk_i32 s4, 0x7f
	v_cmp_gt_i16_sdwa s[6:7], v11, s4 src0_sel:BYTE_0 src1_sel:DWORD
	s_mov_b64 s[4:5], 0
                                        ; implicit-def: $sgpr10
	s_and_saveexec_b64 s[8:9], s[6:7]
	s_xor_b64 s[6:7], exec, s[8:9]
	s_cbranch_execnz .LBB11_3661
; %bb.1613:
	s_or_saveexec_b64 s[6:7], s[6:7]
	v_mov_b32_e32 v14, s10
	s_xor_b64 exec, exec, s[6:7]
	s_cbranch_execnz .LBB11_3664
.LBB11_1614:
	s_or_b64 exec, exec, s[6:7]
	s_and_saveexec_b64 s[6:7], s[4:5]
	s_cbranch_execz .LBB11_1616
.LBB11_1615:
	v_bfe_u32 v14, v12, 8, 3
	v_ffbh_u32_e32 v20, v14
	v_min_u32_e32 v20, 32, v20
	v_lshrrev_b16_e32 v15, 3, v11
	v_subrev_u32_e32 v21, 28, v20
	v_and_b32_e32 v15, 15, v15
	v_lshlrev_b32_e32 v11, v21, v11
	v_sub_u32_e32 v20, 29, v20
	v_and_b32_e32 v11, 7, v11
	v_cmp_eq_u16_e32 vcc, 0, v15
	v_cndmask_b32_e32 v11, v14, v11, vcc
	v_cndmask_b32_e32 v14, v15, v20, vcc
	v_lshlrev_b32_e32 v15, 16, v12
	v_mov_b32_e32 v20, 0x3b800000
	v_lshlrev_b32_e32 v11, 20, v11
	v_and_b32_e32 v15, 0x80000000, v15
	v_lshl_add_u32 v14, v14, 23, v20
	v_or3_b32 v14, v15, v14, v11
.LBB11_1616:
	s_or_b64 exec, exec, s[6:7]
	s_nop 0
	v_mfma_f32_16x16x4f32 a[0:3], v10, v14, a[0:3]
	s_movk_i32 s4, 0xff
	v_and_b32_sdwa v11, v16, s4 dst_sel:DWORD dst_unused:UNUSED_PAD src0_sel:WORD_1 src1_sel:DWORD
	s_movk_i32 s4, 0x7f
	v_cmp_lt_i16_e32 vcc, s4, v11
	s_mov_b64 s[4:5], 0
                                        ; implicit-def: $sgpr10
	s_and_saveexec_b64 s[6:7], vcc
	s_xor_b64 s[6:7], exec, s[6:7]
	s_cbranch_execnz .LBB11_3665
; %bb.1617:
	s_or_saveexec_b64 s[6:7], s[6:7]
	v_mov_b32_e32 v10, s10
	s_xor_b64 exec, exec, s[6:7]
	s_cbranch_execnz .LBB11_3668
.LBB11_1618:
	s_or_b64 exec, exec, s[6:7]
	s_and_saveexec_b64 s[6:7], s[4:5]
	s_cbranch_execz .LBB11_1620
.LBB11_1619:
	v_bfe_u32 v10, v16, 16, 3
	v_ffbh_u32_e32 v15, v10
	v_min_u32_e32 v15, 32, v15
	v_lshrrev_b32_e32 v11, 19, v16
	v_subrev_u32_e32 v20, 28, v15
	v_and_b32_e32 v11, 15, v11
	v_lshlrev_b32_sdwa v20, v20, v16 dst_sel:DWORD dst_unused:UNUSED_PAD src0_sel:DWORD src1_sel:WORD_1
	v_bfe_u32 v14, v16, 19, 4
	v_sub_u32_e32 v15, 29, v15
	v_and_b32_e32 v20, 7, v20
	v_cmp_eq_u16_e32 vcc, 0, v11
	v_cndmask_b32_e32 v10, v10, v20, vcc
	v_cndmask_b32_e32 v11, v14, v15, vcc
	v_lshlrev_b32_e32 v14, 8, v16
	v_mov_b32_e32 v15, 0x3b800000
	v_lshlrev_b32_e32 v10, 20, v10
	v_and_b32_e32 v14, 0x80000000, v14
	v_lshl_add_u32 v11, v11, 23, v15
	v_or3_b32 v10, v14, v11, v10
.LBB11_1620:
	s_or_b64 exec, exec, s[6:7]
	s_movk_i32 s4, 0xff
	v_and_b32_sdwa v11, v12, s4 dst_sel:DWORD dst_unused:UNUSED_PAD src0_sel:WORD_1 src1_sel:DWORD
	s_movk_i32 s4, 0x7f
	v_cmp_lt_i16_e32 vcc, s4, v11
	s_mov_b64 s[4:5], 0
                                        ; implicit-def: $sgpr10
	s_and_saveexec_b64 s[6:7], vcc
	s_xor_b64 s[6:7], exec, s[6:7]
	s_cbranch_execnz .LBB11_3669
; %bb.1621:
	s_or_saveexec_b64 s[6:7], s[6:7]
	v_mov_b32_e32 v14, s10
	s_xor_b64 exec, exec, s[6:7]
	s_cbranch_execnz .LBB11_3672
.LBB11_1622:
	s_or_b64 exec, exec, s[6:7]
	s_and_saveexec_b64 s[6:7], s[4:5]
	s_cbranch_execz .LBB11_1624
.LBB11_1623:
	v_bfe_u32 v11, v12, 16, 3
	v_ffbh_u32_e32 v20, v11
	v_min_u32_e32 v20, 32, v20
	v_lshrrev_b32_e32 v14, 19, v12
	v_subrev_u32_e32 v21, 28, v20
	v_and_b32_e32 v14, 15, v14
	v_lshlrev_b32_sdwa v21, v21, v12 dst_sel:DWORD dst_unused:UNUSED_PAD src0_sel:DWORD src1_sel:WORD_1
	v_bfe_u32 v15, v12, 19, 4
	v_sub_u32_e32 v20, 29, v20
	v_and_b32_e32 v21, 7, v21
	v_cmp_eq_u16_e32 vcc, 0, v14
	v_cndmask_b32_e32 v11, v11, v21, vcc
	v_cndmask_b32_e32 v14, v15, v20, vcc
	v_lshlrev_b32_e32 v15, 8, v12
	v_mov_b32_e32 v20, 0x3b800000
	v_lshlrev_b32_e32 v11, 20, v11
	v_and_b32_e32 v15, 0x80000000, v15
	v_lshl_add_u32 v14, v14, 23, v20
	v_or3_b32 v14, v15, v14, v11
.LBB11_1624:
	s_or_b64 exec, exec, s[6:7]
	s_nop 0
	v_mfma_f32_16x16x4f32 a[0:3], v10, v14, a[0:3]
	s_movk_i32 s4, 0x7f
	v_cmp_gt_i16_sdwa s[6:7], v16, s4 src0_sel:BYTE_3 src1_sel:DWORD
	s_mov_b64 s[4:5], 0
                                        ; implicit-def: $sgpr10
	s_and_saveexec_b64 s[8:9], s[6:7]
	s_xor_b64 s[6:7], exec, s[8:9]
	s_cbranch_execnz .LBB11_3673
; %bb.1625:
	s_or_saveexec_b64 s[6:7], s[6:7]
	v_mov_b32_e32 v10, s10
	s_xor_b64 exec, exec, s[6:7]
	s_cbranch_execnz .LBB11_3676
.LBB11_1626:
	s_or_b64 exec, exec, s[6:7]
	s_and_saveexec_b64 s[6:7], s[4:5]
	s_cbranch_execz .LBB11_1628
.LBB11_1627:
	v_bfe_u32 v10, v16, 24, 3
	v_ffbh_u32_e32 v20, v10
	v_min_u32_e32 v20, 32, v20
	v_lshrrev_b32_e32 v14, 27, v16
	v_subrev_u32_e32 v21, 28, v20
	v_and_b32_e32 v11, 0x80000000, v16
	v_and_b32_e32 v14, 15, v14
	v_bfe_u32 v15, v16, 27, 4
	v_lshlrev_b32_sdwa v16, v21, v16 dst_sel:DWORD dst_unused:UNUSED_PAD src0_sel:DWORD src1_sel:BYTE_3
	v_sub_u32_e32 v20, 29, v20
	v_and_b32_e32 v16, 7, v16
	v_cmp_eq_u16_e32 vcc, 0, v14
	v_cndmask_b32_e32 v10, v10, v16, vcc
	v_cndmask_b32_e32 v14, v15, v20, vcc
	v_mov_b32_e32 v15, 0x3b800000
	v_lshlrev_b32_e32 v10, 20, v10
	v_lshl_add_u32 v14, v14, 23, v15
	v_or3_b32 v10, v11, v14, v10
.LBB11_1628:
	s_or_b64 exec, exec, s[6:7]
	s_movk_i32 s4, 0x7f
	v_cmp_gt_i16_sdwa s[6:7], v12, s4 src0_sel:BYTE_3 src1_sel:DWORD
	s_mov_b64 s[4:5], 0
                                        ; implicit-def: $sgpr10
	s_and_saveexec_b64 s[8:9], s[6:7]
	s_xor_b64 s[6:7], exec, s[8:9]
	s_cbranch_execnz .LBB11_3677
; %bb.1629:
	s_or_saveexec_b64 s[6:7], s[6:7]
	v_mov_b32_e32 v11, s10
	s_xor_b64 exec, exec, s[6:7]
	s_cbranch_execnz .LBB11_3680
.LBB11_1630:
	s_or_b64 exec, exec, s[6:7]
	s_and_saveexec_b64 s[6:7], s[4:5]
	s_cbranch_execz .LBB11_1632
.LBB11_1631:
	v_bfe_u32 v11, v12, 24, 3
	v_ffbh_u32_e32 v20, v11
	v_min_u32_e32 v20, 32, v20
	v_lshrrev_b32_e32 v15, 27, v12
	v_subrev_u32_e32 v21, 28, v20
	v_and_b32_e32 v14, 0x80000000, v12
	v_and_b32_e32 v15, 15, v15
	v_bfe_u32 v16, v12, 27, 4
	v_lshlrev_b32_sdwa v12, v21, v12 dst_sel:DWORD dst_unused:UNUSED_PAD src0_sel:DWORD src1_sel:BYTE_3
	v_sub_u32_e32 v20, 29, v20
	v_and_b32_e32 v12, 7, v12
	v_cmp_eq_u16_e32 vcc, 0, v15
	v_cndmask_b32_e32 v11, v11, v12, vcc
	v_cndmask_b32_e32 v12, v16, v20, vcc
	v_mov_b32_e32 v15, 0x3b800000
	v_lshlrev_b32_e32 v11, 20, v11
	v_lshl_add_u32 v12, v12, 23, v15
	v_or3_b32 v11, v14, v12, v11
.LBB11_1632:
	s_or_b64 exec, exec, s[6:7]
	s_nop 0
	v_mfma_f32_16x16x4f32 a[0:3], v10, v11, a[0:3]
	s_movk_i32 s4, 0x7f
	v_cmp_gt_i16_sdwa s[6:7], v17, s4 src0_sel:BYTE_0 src1_sel:DWORD
	s_mov_b64 s[4:5], 0
                                        ; implicit-def: $sgpr10
	s_and_saveexec_b64 s[8:9], s[6:7]
	s_xor_b64 s[6:7], exec, s[8:9]
	s_cbranch_execnz .LBB11_3681
; %bb.1633:
	s_or_saveexec_b64 s[6:7], s[6:7]
	v_mov_b32_e32 v10, s10
	s_xor_b64 exec, exec, s[6:7]
	s_cbranch_execnz .LBB11_3684
.LBB11_1634:
	s_or_b64 exec, exec, s[6:7]
	s_and_saveexec_b64 s[6:7], s[4:5]
	s_cbranch_execz .LBB11_1636
.LBB11_1635:
	v_and_b32_e32 v10, 7, v17
	v_ffbh_u32_e32 v12, v10
	v_min_u32_e32 v12, 32, v12
	v_lshrrev_b16_e32 v11, 3, v17
	v_subrev_u32_e32 v14, 28, v12
	v_and_b32_e32 v11, 15, v11
	v_lshlrev_b32_e32 v14, v14, v17
	v_sub_u32_e32 v12, 29, v12
	v_and_b32_e32 v14, 7, v14
	v_cmp_eq_u16_e32 vcc, 0, v11
	v_cndmask_b32_e32 v10, v10, v14, vcc
	v_cndmask_b32_e32 v11, v11, v12, vcc
	v_lshlrev_b32_e32 v12, 24, v17
	v_mov_b32_e32 v14, 0x3b800000
	v_lshlrev_b32_e32 v10, 20, v10
	v_and_b32_e32 v12, 0x80000000, v12
	v_lshl_add_u32 v11, v11, 23, v14
	v_or3_b32 v10, v12, v11, v10
.LBB11_1636:
	s_or_b64 exec, exec, s[6:7]
	s_movk_i32 s4, 0x7f
	v_cmp_gt_i16_sdwa s[6:7], v13, s4 src0_sel:BYTE_0 src1_sel:DWORD
	s_mov_b64 s[4:5], 0
                                        ; implicit-def: $sgpr10
	s_and_saveexec_b64 s[8:9], s[6:7]
	s_xor_b64 s[6:7], exec, s[8:9]
	s_cbranch_execnz .LBB11_3685
; %bb.1637:
	s_or_saveexec_b64 s[6:7], s[6:7]
	v_mov_b32_e32 v11, s10
	s_xor_b64 exec, exec, s[6:7]
	s_cbranch_execnz .LBB11_3688
.LBB11_1638:
	s_or_b64 exec, exec, s[6:7]
	s_and_saveexec_b64 s[6:7], s[4:5]
	s_cbranch_execz .LBB11_1640
.LBB11_1639:
	v_and_b32_e32 v11, 7, v13
	v_ffbh_u32_e32 v14, v11
	v_min_u32_e32 v14, 32, v14
	v_lshrrev_b16_e32 v12, 3, v13
	v_subrev_u32_e32 v15, 28, v14
	v_and_b32_e32 v12, 15, v12
	v_lshlrev_b32_e32 v15, v15, v13
	v_sub_u32_e32 v14, 29, v14
	v_and_b32_e32 v15, 7, v15
	v_cmp_eq_u16_e32 vcc, 0, v12
	v_cndmask_b32_e32 v11, v11, v15, vcc
	v_cndmask_b32_e32 v12, v12, v14, vcc
	v_lshlrev_b32_e32 v14, 24, v13
	v_mov_b32_e32 v15, 0x3b800000
	v_lshlrev_b32_e32 v11, 20, v11
	v_and_b32_e32 v14, 0x80000000, v14
	v_lshl_add_u32 v12, v12, 23, v15
	v_or3_b32 v11, v14, v12, v11
.LBB11_1640:
	s_or_b64 exec, exec, s[6:7]
	s_nop 0
	v_mfma_f32_16x16x4f32 a[0:3], v10, v11, a[0:3]
	v_lshrrev_b32_e32 v11, 8, v17
	s_movk_i32 s4, 0x7f
	v_cmp_gt_i16_sdwa s[6:7], v11, s4 src0_sel:BYTE_0 src1_sel:DWORD
	s_mov_b64 s[4:5], 0
                                        ; implicit-def: $sgpr10
	s_and_saveexec_b64 s[8:9], s[6:7]
	s_xor_b64 s[6:7], exec, s[8:9]
	s_cbranch_execnz .LBB11_3689
; %bb.1641:
	s_or_saveexec_b64 s[6:7], s[6:7]
	v_mov_b32_e32 v10, s10
	s_xor_b64 exec, exec, s[6:7]
	s_cbranch_execnz .LBB11_3692
.LBB11_1642:
	s_or_b64 exec, exec, s[6:7]
	s_and_saveexec_b64 s[6:7], s[4:5]
	s_cbranch_execz .LBB11_1644
.LBB11_1643:
	v_bfe_u32 v10, v17, 8, 3
	v_ffbh_u32_e32 v14, v10
	v_min_u32_e32 v14, 32, v14
	v_lshrrev_b16_e32 v12, 3, v11
	v_subrev_u32_e32 v15, 28, v14
	v_and_b32_e32 v12, 15, v12
	v_lshlrev_b32_e32 v11, v15, v11
	v_sub_u32_e32 v14, 29, v14
	v_and_b32_e32 v11, 7, v11
	v_cmp_eq_u16_e32 vcc, 0, v12
	v_cndmask_b32_e32 v10, v10, v11, vcc
	v_cndmask_b32_e32 v11, v12, v14, vcc
	v_lshlrev_b32_e32 v12, 16, v17
	v_mov_b32_e32 v14, 0x3b800000
	v_lshlrev_b32_e32 v10, 20, v10
	v_and_b32_e32 v12, 0x80000000, v12
	v_lshl_add_u32 v11, v11, 23, v14
	v_or3_b32 v10, v12, v11, v10
.LBB11_1644:
	s_or_b64 exec, exec, s[6:7]
	v_lshrrev_b32_e32 v11, 8, v13
	s_movk_i32 s4, 0x7f
	v_cmp_gt_i16_sdwa s[6:7], v11, s4 src0_sel:BYTE_0 src1_sel:DWORD
	s_mov_b64 s[4:5], 0
                                        ; implicit-def: $sgpr10
	s_and_saveexec_b64 s[8:9], s[6:7]
	s_xor_b64 s[6:7], exec, s[8:9]
	s_cbranch_execnz .LBB11_3693
; %bb.1645:
	s_or_saveexec_b64 s[6:7], s[6:7]
	v_mov_b32_e32 v12, s10
	s_xor_b64 exec, exec, s[6:7]
	s_cbranch_execnz .LBB11_3696
.LBB11_1646:
	s_or_b64 exec, exec, s[6:7]
	s_and_saveexec_b64 s[6:7], s[4:5]
	s_cbranch_execz .LBB11_1648
.LBB11_1647:
	v_bfe_u32 v12, v13, 8, 3
	v_ffbh_u32_e32 v15, v12
	v_min_u32_e32 v15, 32, v15
	v_lshrrev_b16_e32 v14, 3, v11
	v_subrev_u32_e32 v16, 28, v15
	v_and_b32_e32 v14, 15, v14
	v_lshlrev_b32_e32 v11, v16, v11
	v_sub_u32_e32 v15, 29, v15
	v_and_b32_e32 v11, 7, v11
	v_cmp_eq_u16_e32 vcc, 0, v14
	v_cndmask_b32_e32 v11, v12, v11, vcc
	v_cndmask_b32_e32 v12, v14, v15, vcc
	v_lshlrev_b32_e32 v14, 16, v13
	v_mov_b32_e32 v15, 0x3b800000
	v_lshlrev_b32_e32 v11, 20, v11
	v_and_b32_e32 v14, 0x80000000, v14
	v_lshl_add_u32 v12, v12, 23, v15
	v_or3_b32 v12, v14, v12, v11
.LBB11_1648:
	s_or_b64 exec, exec, s[6:7]
	s_nop 0
	v_mfma_f32_16x16x4f32 a[0:3], v10, v12, a[0:3]
	s_movk_i32 s4, 0xff
	v_and_b32_sdwa v11, v17, s4 dst_sel:DWORD dst_unused:UNUSED_PAD src0_sel:WORD_1 src1_sel:DWORD
	s_movk_i32 s4, 0x7f
	v_cmp_lt_i16_e32 vcc, s4, v11
	s_mov_b64 s[4:5], 0
                                        ; implicit-def: $sgpr10
	s_and_saveexec_b64 s[6:7], vcc
	s_xor_b64 s[6:7], exec, s[6:7]
	s_cbranch_execnz .LBB11_3697
; %bb.1649:
	s_or_saveexec_b64 s[6:7], s[6:7]
	v_mov_b32_e32 v10, s10
	s_xor_b64 exec, exec, s[6:7]
	s_cbranch_execnz .LBB11_3700
.LBB11_1650:
	s_or_b64 exec, exec, s[6:7]
	s_and_saveexec_b64 s[6:7], s[4:5]
	s_cbranch_execz .LBB11_1652
.LBB11_1651:
	v_bfe_u32 v10, v17, 16, 3
	v_ffbh_u32_e32 v14, v10
	v_min_u32_e32 v14, 32, v14
	v_lshrrev_b32_e32 v11, 19, v17
	v_subrev_u32_e32 v15, 28, v14
	v_and_b32_e32 v11, 15, v11
	v_lshlrev_b32_sdwa v15, v15, v17 dst_sel:DWORD dst_unused:UNUSED_PAD src0_sel:DWORD src1_sel:WORD_1
	v_bfe_u32 v12, v17, 19, 4
	v_sub_u32_e32 v14, 29, v14
	v_and_b32_e32 v15, 7, v15
	v_cmp_eq_u16_e32 vcc, 0, v11
	v_cndmask_b32_e32 v10, v10, v15, vcc
	v_cndmask_b32_e32 v11, v12, v14, vcc
	v_lshlrev_b32_e32 v12, 8, v17
	v_mov_b32_e32 v14, 0x3b800000
	v_lshlrev_b32_e32 v10, 20, v10
	v_and_b32_e32 v12, 0x80000000, v12
	v_lshl_add_u32 v11, v11, 23, v14
	v_or3_b32 v10, v12, v11, v10
.LBB11_1652:
	s_or_b64 exec, exec, s[6:7]
	s_movk_i32 s4, 0xff
	v_and_b32_sdwa v11, v13, s4 dst_sel:DWORD dst_unused:UNUSED_PAD src0_sel:WORD_1 src1_sel:DWORD
	s_movk_i32 s4, 0x7f
	v_cmp_lt_i16_e32 vcc, s4, v11
	s_mov_b64 s[4:5], 0
                                        ; implicit-def: $sgpr10
	s_and_saveexec_b64 s[6:7], vcc
	s_xor_b64 s[6:7], exec, s[6:7]
	s_cbranch_execnz .LBB11_3701
; %bb.1653:
	s_or_saveexec_b64 s[6:7], s[6:7]
	v_mov_b32_e32 v12, s10
	s_xor_b64 exec, exec, s[6:7]
	s_cbranch_execnz .LBB11_3704
.LBB11_1654:
	s_or_b64 exec, exec, s[6:7]
	s_and_saveexec_b64 s[6:7], s[4:5]
	s_cbranch_execz .LBB11_1656
.LBB11_1655:
	v_bfe_u32 v11, v13, 16, 3
	v_ffbh_u32_e32 v15, v11
	v_min_u32_e32 v15, 32, v15
	v_lshrrev_b32_e32 v12, 19, v13
	v_subrev_u32_e32 v16, 28, v15
	v_and_b32_e32 v12, 15, v12
	v_lshlrev_b32_sdwa v16, v16, v13 dst_sel:DWORD dst_unused:UNUSED_PAD src0_sel:DWORD src1_sel:WORD_1
	v_bfe_u32 v14, v13, 19, 4
	v_sub_u32_e32 v15, 29, v15
	v_and_b32_e32 v16, 7, v16
	v_cmp_eq_u16_e32 vcc, 0, v12
	v_cndmask_b32_e32 v11, v11, v16, vcc
	v_cndmask_b32_e32 v12, v14, v15, vcc
	v_lshlrev_b32_e32 v14, 8, v13
	v_mov_b32_e32 v15, 0x3b800000
	v_lshlrev_b32_e32 v11, 20, v11
	v_and_b32_e32 v14, 0x80000000, v14
	v_lshl_add_u32 v12, v12, 23, v15
	v_or3_b32 v12, v14, v12, v11
.LBB11_1656:
	s_or_b64 exec, exec, s[6:7]
	s_nop 0
	v_mfma_f32_16x16x4f32 a[0:3], v10, v12, a[0:3]
	s_movk_i32 s4, 0x7f
	v_cmp_gt_i16_sdwa s[6:7], v17, s4 src0_sel:BYTE_3 src1_sel:DWORD
	s_mov_b64 s[4:5], 0
                                        ; implicit-def: $sgpr10
	s_and_saveexec_b64 s[8:9], s[6:7]
	s_xor_b64 s[6:7], exec, s[8:9]
	s_cbranch_execnz .LBB11_3705
; %bb.1657:
	s_or_saveexec_b64 s[6:7], s[6:7]
	v_mov_b32_e32 v10, s10
	s_xor_b64 exec, exec, s[6:7]
	s_cbranch_execnz .LBB11_3708
.LBB11_1658:
	s_or_b64 exec, exec, s[6:7]
	s_and_saveexec_b64 s[6:7], s[4:5]
	s_cbranch_execz .LBB11_1660
.LBB11_1659:
	v_bfe_u32 v10, v17, 24, 3
	v_ffbh_u32_e32 v15, v10
	v_min_u32_e32 v15, 32, v15
	v_lshrrev_b32_e32 v12, 27, v17
	v_subrev_u32_e32 v16, 28, v15
	v_and_b32_e32 v12, 15, v12
	v_lshlrev_b32_sdwa v16, v16, v17 dst_sel:DWORD dst_unused:UNUSED_PAD src0_sel:DWORD src1_sel:BYTE_3
	v_bfe_u32 v14, v17, 27, 4
	v_sub_u32_e32 v15, 29, v15
	v_and_b32_e32 v16, 7, v16
	v_cmp_eq_u16_e32 vcc, 0, v12
	v_cndmask_b32_e32 v10, v10, v16, vcc
	v_cndmask_b32_e32 v12, v14, v15, vcc
	v_mov_b32_e32 v14, 0x3b800000
	v_and_b32_e32 v11, 0x80000000, v17
	v_lshlrev_b32_e32 v10, 20, v10
	v_lshl_add_u32 v12, v12, 23, v14
	v_or3_b32 v10, v11, v12, v10
.LBB11_1660:
	s_or_b64 exec, exec, s[6:7]
	s_movk_i32 s4, 0x7f
	v_cmp_gt_i16_sdwa s[6:7], v13, s4 src0_sel:BYTE_3 src1_sel:DWORD
	s_mov_b64 s[4:5], 0
                                        ; implicit-def: $sgpr10
	s_and_saveexec_b64 s[8:9], s[6:7]
	s_xor_b64 s[6:7], exec, s[8:9]
	s_cbranch_execnz .LBB11_3709
; %bb.1661:
	s_or_saveexec_b64 s[6:7], s[6:7]
	v_mov_b32_e32 v11, s10
	s_xor_b64 exec, exec, s[6:7]
	s_cbranch_execnz .LBB11_3712
.LBB11_1662:
	s_or_b64 exec, exec, s[6:7]
	s_and_saveexec_b64 s[6:7], s[4:5]
	s_cbranch_execz .LBB11_1664
.LBB11_1663:
	v_bfe_u32 v11, v13, 24, 3
	v_ffbh_u32_e32 v16, v11
	v_min_u32_e32 v16, 32, v16
	v_lshrrev_b32_e32 v14, 27, v13
	v_subrev_u32_e32 v17, 28, v16
	v_and_b32_e32 v12, 0x80000000, v13
	v_and_b32_e32 v14, 15, v14
	v_bfe_u32 v15, v13, 27, 4
	v_lshlrev_b32_sdwa v13, v17, v13 dst_sel:DWORD dst_unused:UNUSED_PAD src0_sel:DWORD src1_sel:BYTE_3
	v_sub_u32_e32 v16, 29, v16
	v_and_b32_e32 v13, 7, v13
	v_cmp_eq_u16_e32 vcc, 0, v14
	v_cndmask_b32_e32 v11, v11, v13, vcc
	v_cndmask_b32_e32 v13, v15, v16, vcc
	v_mov_b32_e32 v14, 0x3b800000
	v_lshlrev_b32_e32 v11, 20, v11
	v_lshl_add_u32 v13, v13, 23, v14
	v_or3_b32 v11, v12, v13, v11
.LBB11_1664:
	s_or_b64 exec, exec, s[6:7]
	s_nop 0
	v_mfma_f32_16x16x4f32 a[0:3], v10, v11, a[0:3]
	s_movk_i32 s4, 0x7f
	v_cmp_gt_i16_sdwa s[6:7], v6, s4 src0_sel:BYTE_0 src1_sel:DWORD
	s_mov_b64 s[4:5], 0
                                        ; implicit-def: $sgpr10
	s_and_saveexec_b64 s[8:9], s[6:7]
	s_xor_b64 s[6:7], exec, s[8:9]
	s_cbranch_execnz .LBB11_3713
; %bb.1665:
	s_or_saveexec_b64 s[6:7], s[6:7]
	v_mov_b32_e32 v10, s10
	s_xor_b64 exec, exec, s[6:7]
	s_cbranch_execnz .LBB11_3716
.LBB11_1666:
	s_or_b64 exec, exec, s[6:7]
	s_and_saveexec_b64 s[6:7], s[4:5]
	s_cbranch_execz .LBB11_1668
.LBB11_1667:
	v_and_b32_e32 v10, 7, v6
	v_ffbh_u32_e32 v12, v10
	v_min_u32_e32 v12, 32, v12
	v_lshrrev_b16_e32 v11, 3, v6
	v_subrev_u32_e32 v13, 28, v12
	v_and_b32_e32 v11, 15, v11
	v_lshlrev_b32_e32 v13, v13, v6
	v_sub_u32_e32 v12, 29, v12
	v_and_b32_e32 v13, 7, v13
	v_cmp_eq_u16_e32 vcc, 0, v11
	v_cndmask_b32_e32 v10, v10, v13, vcc
	v_cndmask_b32_e32 v11, v11, v12, vcc
	v_lshlrev_b32_e32 v12, 24, v6
	v_mov_b32_e32 v13, 0x3b800000
	v_lshlrev_b32_e32 v10, 20, v10
	v_and_b32_e32 v12, 0x80000000, v12
	v_lshl_add_u32 v11, v11, 23, v13
	v_or3_b32 v10, v12, v11, v10
.LBB11_1668:
	s_or_b64 exec, exec, s[6:7]
	s_movk_i32 s4, 0x7f
	v_cmp_gt_i16_sdwa s[6:7], v2, s4 src0_sel:BYTE_0 src1_sel:DWORD
	s_mov_b64 s[4:5], 0
                                        ; implicit-def: $sgpr10
	s_and_saveexec_b64 s[8:9], s[6:7]
	s_xor_b64 s[6:7], exec, s[8:9]
	s_cbranch_execnz .LBB11_3717
; %bb.1669:
	s_or_saveexec_b64 s[6:7], s[6:7]
	v_mov_b32_e32 v11, s10
	s_xor_b64 exec, exec, s[6:7]
	s_cbranch_execnz .LBB11_3720
.LBB11_1670:
	s_or_b64 exec, exec, s[6:7]
	s_and_saveexec_b64 s[6:7], s[4:5]
	s_cbranch_execz .LBB11_1672
.LBB11_1671:
	v_and_b32_e32 v11, 7, v2
	v_ffbh_u32_e32 v13, v11
	v_min_u32_e32 v13, 32, v13
	v_lshrrev_b16_e32 v12, 3, v2
	v_subrev_u32_e32 v14, 28, v13
	v_and_b32_e32 v12, 15, v12
	v_lshlrev_b32_e32 v14, v14, v2
	v_sub_u32_e32 v13, 29, v13
	v_and_b32_e32 v14, 7, v14
	v_cmp_eq_u16_e32 vcc, 0, v12
	v_cndmask_b32_e32 v11, v11, v14, vcc
	v_cndmask_b32_e32 v12, v12, v13, vcc
	v_lshlrev_b32_e32 v13, 24, v2
	v_mov_b32_e32 v14, 0x3b800000
	v_lshlrev_b32_e32 v11, 20, v11
	v_and_b32_e32 v13, 0x80000000, v13
	v_lshl_add_u32 v12, v12, 23, v14
	v_or3_b32 v11, v13, v12, v11
.LBB11_1672:
	s_or_b64 exec, exec, s[6:7]
	s_nop 0
	v_mfma_f32_16x16x4f32 a[0:3], v10, v11, a[0:3]
	v_lshrrev_b32_e32 v11, 8, v6
	s_movk_i32 s4, 0x7f
	v_cmp_gt_i16_sdwa s[6:7], v11, s4 src0_sel:BYTE_0 src1_sel:DWORD
	s_mov_b64 s[4:5], 0
                                        ; implicit-def: $sgpr10
	s_and_saveexec_b64 s[8:9], s[6:7]
	s_xor_b64 s[6:7], exec, s[8:9]
	s_cbranch_execnz .LBB11_3721
; %bb.1673:
	s_or_saveexec_b64 s[6:7], s[6:7]
	v_mov_b32_e32 v10, s10
	s_xor_b64 exec, exec, s[6:7]
	s_cbranch_execnz .LBB11_3724
.LBB11_1674:
	s_or_b64 exec, exec, s[6:7]
	s_and_saveexec_b64 s[6:7], s[4:5]
	s_cbranch_execz .LBB11_1676
.LBB11_1675:
	v_bfe_u32 v10, v6, 8, 3
	v_ffbh_u32_e32 v13, v10
	v_min_u32_e32 v13, 32, v13
	v_lshrrev_b16_e32 v12, 3, v11
	v_subrev_u32_e32 v14, 28, v13
	v_and_b32_e32 v12, 15, v12
	v_lshlrev_b32_e32 v11, v14, v11
	v_sub_u32_e32 v13, 29, v13
	v_and_b32_e32 v11, 7, v11
	v_cmp_eq_u16_e32 vcc, 0, v12
	v_cndmask_b32_e32 v10, v10, v11, vcc
	v_cndmask_b32_e32 v11, v12, v13, vcc
	v_lshlrev_b32_e32 v12, 16, v6
	v_mov_b32_e32 v13, 0x3b800000
	v_lshlrev_b32_e32 v10, 20, v10
	v_and_b32_e32 v12, 0x80000000, v12
	v_lshl_add_u32 v11, v11, 23, v13
	v_or3_b32 v10, v12, v11, v10
.LBB11_1676:
	s_or_b64 exec, exec, s[6:7]
	v_lshrrev_b32_e32 v11, 8, v2
	s_movk_i32 s4, 0x7f
	v_cmp_gt_i16_sdwa s[6:7], v11, s4 src0_sel:BYTE_0 src1_sel:DWORD
	s_mov_b64 s[4:5], 0
                                        ; implicit-def: $sgpr10
	s_and_saveexec_b64 s[8:9], s[6:7]
	s_xor_b64 s[6:7], exec, s[8:9]
	s_cbranch_execnz .LBB11_3725
; %bb.1677:
	s_or_saveexec_b64 s[6:7], s[6:7]
	v_mov_b32_e32 v12, s10
	s_xor_b64 exec, exec, s[6:7]
	s_cbranch_execnz .LBB11_3728
.LBB11_1678:
	s_or_b64 exec, exec, s[6:7]
	s_and_saveexec_b64 s[6:7], s[4:5]
	s_cbranch_execz .LBB11_1680
.LBB11_1679:
	v_bfe_u32 v12, v2, 8, 3
	v_ffbh_u32_e32 v14, v12
	v_min_u32_e32 v14, 32, v14
	v_lshrrev_b16_e32 v13, 3, v11
	v_subrev_u32_e32 v15, 28, v14
	v_and_b32_e32 v13, 15, v13
	v_lshlrev_b32_e32 v11, v15, v11
	v_sub_u32_e32 v14, 29, v14
	v_and_b32_e32 v11, 7, v11
	v_cmp_eq_u16_e32 vcc, 0, v13
	v_cndmask_b32_e32 v11, v12, v11, vcc
	v_cndmask_b32_e32 v12, v13, v14, vcc
	v_lshlrev_b32_e32 v13, 16, v2
	v_mov_b32_e32 v14, 0x3b800000
	v_lshlrev_b32_e32 v11, 20, v11
	v_and_b32_e32 v13, 0x80000000, v13
	v_lshl_add_u32 v12, v12, 23, v14
	v_or3_b32 v12, v13, v12, v11
.LBB11_1680:
	s_or_b64 exec, exec, s[6:7]
	s_nop 0
	v_mfma_f32_16x16x4f32 a[0:3], v10, v12, a[0:3]
	s_movk_i32 s4, 0xff
	v_and_b32_sdwa v11, v6, s4 dst_sel:DWORD dst_unused:UNUSED_PAD src0_sel:WORD_1 src1_sel:DWORD
	s_movk_i32 s4, 0x7f
	v_cmp_lt_i16_e32 vcc, s4, v11
	s_mov_b64 s[4:5], 0
                                        ; implicit-def: $sgpr10
	s_and_saveexec_b64 s[6:7], vcc
	s_xor_b64 s[6:7], exec, s[6:7]
	s_cbranch_execnz .LBB11_3729
; %bb.1681:
	s_or_saveexec_b64 s[6:7], s[6:7]
	v_mov_b32_e32 v10, s10
	s_xor_b64 exec, exec, s[6:7]
	s_cbranch_execnz .LBB11_3732
.LBB11_1682:
	s_or_b64 exec, exec, s[6:7]
	s_and_saveexec_b64 s[6:7], s[4:5]
	s_cbranch_execz .LBB11_1684
.LBB11_1683:
	v_bfe_u32 v10, v6, 16, 3
	v_ffbh_u32_e32 v13, v10
	v_min_u32_e32 v13, 32, v13
	v_lshrrev_b32_e32 v11, 19, v6
	v_subrev_u32_e32 v14, 28, v13
	v_and_b32_e32 v11, 15, v11
	v_lshlrev_b32_sdwa v14, v14, v6 dst_sel:DWORD dst_unused:UNUSED_PAD src0_sel:DWORD src1_sel:WORD_1
	v_bfe_u32 v12, v6, 19, 4
	v_sub_u32_e32 v13, 29, v13
	v_and_b32_e32 v14, 7, v14
	v_cmp_eq_u16_e32 vcc, 0, v11
	v_cndmask_b32_e32 v10, v10, v14, vcc
	v_cndmask_b32_e32 v11, v12, v13, vcc
	v_lshlrev_b32_e32 v12, 8, v6
	v_mov_b32_e32 v13, 0x3b800000
	v_lshlrev_b32_e32 v10, 20, v10
	v_and_b32_e32 v12, 0x80000000, v12
	v_lshl_add_u32 v11, v11, 23, v13
	v_or3_b32 v10, v12, v11, v10
.LBB11_1684:
	s_or_b64 exec, exec, s[6:7]
	s_movk_i32 s4, 0xff
	v_and_b32_sdwa v11, v2, s4 dst_sel:DWORD dst_unused:UNUSED_PAD src0_sel:WORD_1 src1_sel:DWORD
	s_movk_i32 s4, 0x7f
	v_cmp_lt_i16_e32 vcc, s4, v11
	s_mov_b64 s[4:5], 0
                                        ; implicit-def: $sgpr10
	s_and_saveexec_b64 s[6:7], vcc
	s_xor_b64 s[6:7], exec, s[6:7]
	s_cbranch_execnz .LBB11_3733
; %bb.1685:
	s_or_saveexec_b64 s[6:7], s[6:7]
	v_mov_b32_e32 v12, s10
	s_xor_b64 exec, exec, s[6:7]
	s_cbranch_execnz .LBB11_3736
.LBB11_1686:
	s_or_b64 exec, exec, s[6:7]
	s_and_saveexec_b64 s[6:7], s[4:5]
	s_cbranch_execz .LBB11_1688
.LBB11_1687:
	v_bfe_u32 v11, v2, 16, 3
	v_ffbh_u32_e32 v14, v11
	v_min_u32_e32 v14, 32, v14
	v_lshrrev_b32_e32 v12, 19, v2
	v_subrev_u32_e32 v15, 28, v14
	v_and_b32_e32 v12, 15, v12
	v_lshlrev_b32_sdwa v15, v15, v2 dst_sel:DWORD dst_unused:UNUSED_PAD src0_sel:DWORD src1_sel:WORD_1
	v_bfe_u32 v13, v2, 19, 4
	v_sub_u32_e32 v14, 29, v14
	v_and_b32_e32 v15, 7, v15
	v_cmp_eq_u16_e32 vcc, 0, v12
	v_cndmask_b32_e32 v11, v11, v15, vcc
	v_cndmask_b32_e32 v12, v13, v14, vcc
	v_lshlrev_b32_e32 v13, 8, v2
	v_mov_b32_e32 v14, 0x3b800000
	v_lshlrev_b32_e32 v11, 20, v11
	v_and_b32_e32 v13, 0x80000000, v13
	v_lshl_add_u32 v12, v12, 23, v14
	v_or3_b32 v12, v13, v12, v11
.LBB11_1688:
	s_or_b64 exec, exec, s[6:7]
	s_nop 0
	v_mfma_f32_16x16x4f32 a[0:3], v10, v12, a[0:3]
	s_movk_i32 s4, 0x7f
	v_cmp_gt_i16_sdwa s[6:7], v6, s4 src0_sel:BYTE_3 src1_sel:DWORD
	s_mov_b64 s[4:5], 0
                                        ; implicit-def: $sgpr10
	s_and_saveexec_b64 s[8:9], s[6:7]
	s_xor_b64 s[6:7], exec, s[8:9]
	s_cbranch_execnz .LBB11_3737
; %bb.1689:
	s_or_saveexec_b64 s[6:7], s[6:7]
	v_mov_b32_e32 v10, s10
	s_xor_b64 exec, exec, s[6:7]
	s_cbranch_execnz .LBB11_3740
.LBB11_1690:
	s_or_b64 exec, exec, s[6:7]
	s_and_saveexec_b64 s[6:7], s[4:5]
	s_cbranch_execz .LBB11_1692
.LBB11_1691:
	v_bfe_u32 v10, v6, 24, 3
	v_ffbh_u32_e32 v14, v10
	v_min_u32_e32 v14, 32, v14
	v_lshrrev_b32_e32 v12, 27, v6
	v_subrev_u32_e32 v15, 28, v14
	v_and_b32_e32 v11, 0x80000000, v6
	v_and_b32_e32 v12, 15, v12
	v_bfe_u32 v13, v6, 27, 4
	v_lshlrev_b32_sdwa v6, v15, v6 dst_sel:DWORD dst_unused:UNUSED_PAD src0_sel:DWORD src1_sel:BYTE_3
	v_sub_u32_e32 v14, 29, v14
	v_and_b32_e32 v6, 7, v6
	v_cmp_eq_u16_e32 vcc, 0, v12
	v_cndmask_b32_e32 v6, v10, v6, vcc
	v_cndmask_b32_e32 v10, v13, v14, vcc
	v_mov_b32_e32 v12, 0x3b800000
	v_lshlrev_b32_e32 v6, 20, v6
	v_lshl_add_u32 v10, v10, 23, v12
	v_or3_b32 v10, v11, v10, v6
.LBB11_1692:
	s_or_b64 exec, exec, s[6:7]
	s_movk_i32 s4, 0x7f
	v_cmp_gt_i16_sdwa s[6:7], v2, s4 src0_sel:BYTE_3 src1_sel:DWORD
	s_mov_b64 s[4:5], 0
                                        ; implicit-def: $sgpr10
	s_and_saveexec_b64 s[8:9], s[6:7]
	s_xor_b64 s[6:7], exec, s[8:9]
	s_cbranch_execnz .LBB11_3741
; %bb.1693:
	s_or_saveexec_b64 s[6:7], s[6:7]
	v_mov_b32_e32 v6, s10
	s_xor_b64 exec, exec, s[6:7]
	s_cbranch_execnz .LBB11_3744
.LBB11_1694:
	s_or_b64 exec, exec, s[6:7]
	s_and_saveexec_b64 s[6:7], s[4:5]
	s_cbranch_execz .LBB11_1696
.LBB11_1695:
	v_bfe_u32 v6, v2, 24, 3
	v_ffbh_u32_e32 v14, v6
	v_min_u32_e32 v14, 32, v14
	v_lshrrev_b32_e32 v12, 27, v2
	v_subrev_u32_e32 v15, 28, v14
	v_and_b32_e32 v11, 0x80000000, v2
	v_and_b32_e32 v12, 15, v12
	v_bfe_u32 v13, v2, 27, 4
	v_lshlrev_b32_sdwa v2, v15, v2 dst_sel:DWORD dst_unused:UNUSED_PAD src0_sel:DWORD src1_sel:BYTE_3
	v_sub_u32_e32 v14, 29, v14
	v_and_b32_e32 v2, 7, v2
	v_cmp_eq_u16_e32 vcc, 0, v12
	v_cndmask_b32_e32 v2, v6, v2, vcc
	v_cndmask_b32_e32 v6, v13, v14, vcc
	v_mov_b32_e32 v12, 0x3b800000
	v_lshlrev_b32_e32 v2, 20, v2
	v_lshl_add_u32 v6, v6, 23, v12
	v_or3_b32 v6, v11, v6, v2
.LBB11_1696:
	s_or_b64 exec, exec, s[6:7]
	s_nop 0
	v_mfma_f32_16x16x4f32 a[0:3], v10, v6, a[0:3]
	s_movk_i32 s4, 0x7f
	v_cmp_gt_i16_sdwa s[6:7], v7, s4 src0_sel:BYTE_0 src1_sel:DWORD
	s_mov_b64 s[4:5], 0
                                        ; implicit-def: $sgpr10
	s_and_saveexec_b64 s[8:9], s[6:7]
	s_xor_b64 s[6:7], exec, s[8:9]
	s_cbranch_execnz .LBB11_3745
; %bb.1697:
	s_or_saveexec_b64 s[6:7], s[6:7]
	v_mov_b32_e32 v2, s10
	s_xor_b64 exec, exec, s[6:7]
	s_cbranch_execnz .LBB11_3748
.LBB11_1698:
	s_or_b64 exec, exec, s[6:7]
	s_and_saveexec_b64 s[6:7], s[4:5]
	s_cbranch_execz .LBB11_1700
.LBB11_1699:
	v_and_b32_e32 v2, 7, v7
	v_ffbh_u32_e32 v10, v2
	v_min_u32_e32 v10, 32, v10
	v_lshrrev_b16_e32 v6, 3, v7
	v_subrev_u32_e32 v11, 28, v10
	v_and_b32_e32 v6, 15, v6
	v_lshlrev_b32_e32 v11, v11, v7
	v_sub_u32_e32 v10, 29, v10
	v_and_b32_e32 v11, 7, v11
	v_cmp_eq_u16_e32 vcc, 0, v6
	v_cndmask_b32_e32 v2, v2, v11, vcc
	v_cndmask_b32_e32 v6, v6, v10, vcc
	v_lshlrev_b32_e32 v10, 24, v7
	v_mov_b32_e32 v11, 0x3b800000
	v_lshlrev_b32_e32 v2, 20, v2
	v_and_b32_e32 v10, 0x80000000, v10
	v_lshl_add_u32 v6, v6, 23, v11
	v_or3_b32 v2, v10, v6, v2
.LBB11_1700:
	s_or_b64 exec, exec, s[6:7]
	s_movk_i32 s4, 0x7f
	v_cmp_gt_i16_sdwa s[6:7], v3, s4 src0_sel:BYTE_0 src1_sel:DWORD
	s_mov_b64 s[4:5], 0
                                        ; implicit-def: $sgpr10
	s_and_saveexec_b64 s[8:9], s[6:7]
	s_xor_b64 s[6:7], exec, s[8:9]
	s_cbranch_execnz .LBB11_3749
; %bb.1701:
	s_or_saveexec_b64 s[6:7], s[6:7]
	v_mov_b32_e32 v6, s10
	s_xor_b64 exec, exec, s[6:7]
	s_cbranch_execnz .LBB11_3752
.LBB11_1702:
	s_or_b64 exec, exec, s[6:7]
	s_and_saveexec_b64 s[6:7], s[4:5]
	s_cbranch_execz .LBB11_1704
.LBB11_1703:
	v_and_b32_e32 v6, 7, v3
	v_ffbh_u32_e32 v11, v6
	v_min_u32_e32 v11, 32, v11
	v_lshrrev_b16_e32 v10, 3, v3
	v_subrev_u32_e32 v12, 28, v11
	v_and_b32_e32 v10, 15, v10
	v_lshlrev_b32_e32 v12, v12, v3
	v_sub_u32_e32 v11, 29, v11
	v_and_b32_e32 v12, 7, v12
	v_cmp_eq_u16_e32 vcc, 0, v10
	v_cndmask_b32_e32 v6, v6, v12, vcc
	v_cndmask_b32_e32 v10, v10, v11, vcc
	v_lshlrev_b32_e32 v11, 24, v3
	v_mov_b32_e32 v12, 0x3b800000
	v_lshlrev_b32_e32 v6, 20, v6
	v_and_b32_e32 v11, 0x80000000, v11
	v_lshl_add_u32 v10, v10, 23, v12
	v_or3_b32 v6, v11, v10, v6
.LBB11_1704:
	s_or_b64 exec, exec, s[6:7]
	s_nop 0
	v_mfma_f32_16x16x4f32 a[0:3], v2, v6, a[0:3]
	v_lshrrev_b32_e32 v6, 8, v7
	s_movk_i32 s4, 0x7f
	v_cmp_gt_i16_sdwa s[6:7], v6, s4 src0_sel:BYTE_0 src1_sel:DWORD
	s_mov_b64 s[4:5], 0
                                        ; implicit-def: $sgpr10
	s_and_saveexec_b64 s[8:9], s[6:7]
	s_xor_b64 s[6:7], exec, s[8:9]
	s_cbranch_execnz .LBB11_3753
; %bb.1705:
	s_or_saveexec_b64 s[6:7], s[6:7]
	v_mov_b32_e32 v2, s10
	s_xor_b64 exec, exec, s[6:7]
	s_cbranch_execnz .LBB11_3756
.LBB11_1706:
	s_or_b64 exec, exec, s[6:7]
	s_and_saveexec_b64 s[6:7], s[4:5]
	s_cbranch_execz .LBB11_1708
.LBB11_1707:
	v_bfe_u32 v2, v7, 8, 3
	v_ffbh_u32_e32 v11, v2
	v_min_u32_e32 v11, 32, v11
	v_lshrrev_b16_e32 v10, 3, v6
	v_subrev_u32_e32 v12, 28, v11
	v_and_b32_e32 v10, 15, v10
	v_lshlrev_b32_e32 v6, v12, v6
	v_sub_u32_e32 v11, 29, v11
	v_and_b32_e32 v6, 7, v6
	v_cmp_eq_u16_e32 vcc, 0, v10
	v_cndmask_b32_e32 v2, v2, v6, vcc
	v_cndmask_b32_e32 v6, v10, v11, vcc
	v_lshlrev_b32_e32 v10, 16, v7
	v_mov_b32_e32 v11, 0x3b800000
	v_lshlrev_b32_e32 v2, 20, v2
	v_and_b32_e32 v10, 0x80000000, v10
	v_lshl_add_u32 v6, v6, 23, v11
	v_or3_b32 v2, v10, v6, v2
.LBB11_1708:
	s_or_b64 exec, exec, s[6:7]
	v_lshrrev_b32_e32 v6, 8, v3
	s_movk_i32 s4, 0x7f
	v_cmp_gt_i16_sdwa s[6:7], v6, s4 src0_sel:BYTE_0 src1_sel:DWORD
	s_mov_b64 s[4:5], 0
                                        ; implicit-def: $sgpr10
	s_and_saveexec_b64 s[8:9], s[6:7]
	s_xor_b64 s[6:7], exec, s[8:9]
	s_cbranch_execnz .LBB11_3757
; %bb.1709:
	s_or_saveexec_b64 s[6:7], s[6:7]
	v_mov_b32_e32 v10, s10
	s_xor_b64 exec, exec, s[6:7]
	s_cbranch_execnz .LBB11_3760
.LBB11_1710:
	s_or_b64 exec, exec, s[6:7]
	s_and_saveexec_b64 s[6:7], s[4:5]
	s_cbranch_execz .LBB11_1712
.LBB11_1711:
	v_bfe_u32 v10, v3, 8, 3
	v_ffbh_u32_e32 v12, v10
	v_min_u32_e32 v12, 32, v12
	v_lshrrev_b16_e32 v11, 3, v6
	v_subrev_u32_e32 v13, 28, v12
	v_and_b32_e32 v11, 15, v11
	v_lshlrev_b32_e32 v6, v13, v6
	v_sub_u32_e32 v12, 29, v12
	v_and_b32_e32 v6, 7, v6
	v_cmp_eq_u16_e32 vcc, 0, v11
	v_cndmask_b32_e32 v6, v10, v6, vcc
	v_cndmask_b32_e32 v10, v11, v12, vcc
	v_lshlrev_b32_e32 v11, 16, v3
	v_mov_b32_e32 v12, 0x3b800000
	v_lshlrev_b32_e32 v6, 20, v6
	v_and_b32_e32 v11, 0x80000000, v11
	v_lshl_add_u32 v10, v10, 23, v12
	v_or3_b32 v10, v11, v10, v6
.LBB11_1712:
	s_or_b64 exec, exec, s[6:7]
	s_nop 0
	v_mfma_f32_16x16x4f32 a[0:3], v2, v10, a[0:3]
	s_movk_i32 s4, 0xff
	v_and_b32_sdwa v6, v7, s4 dst_sel:DWORD dst_unused:UNUSED_PAD src0_sel:WORD_1 src1_sel:DWORD
	s_movk_i32 s4, 0x7f
	v_cmp_lt_i16_e32 vcc, s4, v6
	s_mov_b64 s[4:5], 0
                                        ; implicit-def: $sgpr10
	s_and_saveexec_b64 s[6:7], vcc
	s_xor_b64 s[6:7], exec, s[6:7]
	s_cbranch_execnz .LBB11_3761
; %bb.1713:
	s_or_saveexec_b64 s[6:7], s[6:7]
	v_mov_b32_e32 v2, s10
	s_xor_b64 exec, exec, s[6:7]
	s_cbranch_execnz .LBB11_3764
.LBB11_1714:
	s_or_b64 exec, exec, s[6:7]
	s_and_saveexec_b64 s[6:7], s[4:5]
	s_cbranch_execz .LBB11_1716
.LBB11_1715:
	v_bfe_u32 v2, v7, 16, 3
	v_ffbh_u32_e32 v11, v2
	v_min_u32_e32 v11, 32, v11
	v_lshrrev_b32_e32 v6, 19, v7
	v_subrev_u32_e32 v12, 28, v11
	v_and_b32_e32 v6, 15, v6
	v_lshlrev_b32_sdwa v12, v12, v7 dst_sel:DWORD dst_unused:UNUSED_PAD src0_sel:DWORD src1_sel:WORD_1
	v_bfe_u32 v10, v7, 19, 4
	v_sub_u32_e32 v11, 29, v11
	v_and_b32_e32 v12, 7, v12
	v_cmp_eq_u16_e32 vcc, 0, v6
	v_cndmask_b32_e32 v2, v2, v12, vcc
	v_cndmask_b32_e32 v6, v10, v11, vcc
	v_lshlrev_b32_e32 v10, 8, v7
	v_mov_b32_e32 v11, 0x3b800000
	v_lshlrev_b32_e32 v2, 20, v2
	v_and_b32_e32 v10, 0x80000000, v10
	v_lshl_add_u32 v6, v6, 23, v11
	v_or3_b32 v2, v10, v6, v2
.LBB11_1716:
	s_or_b64 exec, exec, s[6:7]
	s_movk_i32 s4, 0xff
	v_and_b32_sdwa v6, v3, s4 dst_sel:DWORD dst_unused:UNUSED_PAD src0_sel:WORD_1 src1_sel:DWORD
	s_movk_i32 s4, 0x7f
	v_cmp_lt_i16_e32 vcc, s4, v6
	s_mov_b64 s[4:5], 0
                                        ; implicit-def: $sgpr10
	s_and_saveexec_b64 s[6:7], vcc
	s_xor_b64 s[6:7], exec, s[6:7]
	s_cbranch_execnz .LBB11_3765
; %bb.1717:
	s_or_saveexec_b64 s[6:7], s[6:7]
	v_mov_b32_e32 v10, s10
	s_xor_b64 exec, exec, s[6:7]
	s_cbranch_execnz .LBB11_3768
.LBB11_1718:
	s_or_b64 exec, exec, s[6:7]
	s_and_saveexec_b64 s[6:7], s[4:5]
	s_cbranch_execz .LBB11_1720
.LBB11_1719:
	v_bfe_u32 v6, v3, 16, 3
	v_ffbh_u32_e32 v12, v6
	v_min_u32_e32 v12, 32, v12
	v_lshrrev_b32_e32 v10, 19, v3
	v_subrev_u32_e32 v13, 28, v12
	v_and_b32_e32 v10, 15, v10
	v_lshlrev_b32_sdwa v13, v13, v3 dst_sel:DWORD dst_unused:UNUSED_PAD src0_sel:DWORD src1_sel:WORD_1
	v_bfe_u32 v11, v3, 19, 4
	v_sub_u32_e32 v12, 29, v12
	v_and_b32_e32 v13, 7, v13
	v_cmp_eq_u16_e32 vcc, 0, v10
	v_cndmask_b32_e32 v6, v6, v13, vcc
	v_cndmask_b32_e32 v10, v11, v12, vcc
	v_lshlrev_b32_e32 v11, 8, v3
	v_mov_b32_e32 v12, 0x3b800000
	v_lshlrev_b32_e32 v6, 20, v6
	v_and_b32_e32 v11, 0x80000000, v11
	v_lshl_add_u32 v10, v10, 23, v12
	v_or3_b32 v10, v11, v10, v6
.LBB11_1720:
	s_or_b64 exec, exec, s[6:7]
	s_nop 0
	v_mfma_f32_16x16x4f32 a[0:3], v2, v10, a[0:3]
	s_movk_i32 s4, 0x7f
	v_cmp_gt_i16_sdwa s[6:7], v7, s4 src0_sel:BYTE_3 src1_sel:DWORD
	s_mov_b64 s[4:5], 0
                                        ; implicit-def: $sgpr10
	s_and_saveexec_b64 s[8:9], s[6:7]
	s_xor_b64 s[6:7], exec, s[8:9]
	s_cbranch_execnz .LBB11_3769
; %bb.1721:
	s_or_saveexec_b64 s[6:7], s[6:7]
	v_mov_b32_e32 v2, s10
	s_xor_b64 exec, exec, s[6:7]
	s_cbranch_execnz .LBB11_3772
.LBB11_1722:
	s_or_b64 exec, exec, s[6:7]
	s_and_saveexec_b64 s[6:7], s[4:5]
	s_cbranch_execz .LBB11_1724
.LBB11_1723:
	v_bfe_u32 v2, v7, 24, 3
	v_ffbh_u32_e32 v12, v2
	v_min_u32_e32 v12, 32, v12
	v_lshrrev_b32_e32 v10, 27, v7
	v_subrev_u32_e32 v13, 28, v12
	v_and_b32_e32 v6, 0x80000000, v7
	v_and_b32_e32 v10, 15, v10
	v_bfe_u32 v11, v7, 27, 4
	v_lshlrev_b32_sdwa v7, v13, v7 dst_sel:DWORD dst_unused:UNUSED_PAD src0_sel:DWORD src1_sel:BYTE_3
	v_sub_u32_e32 v12, 29, v12
	v_and_b32_e32 v7, 7, v7
	v_cmp_eq_u16_e32 vcc, 0, v10
	v_cndmask_b32_e32 v2, v2, v7, vcc
	v_cndmask_b32_e32 v7, v11, v12, vcc
	v_mov_b32_e32 v10, 0x3b800000
	v_lshlrev_b32_e32 v2, 20, v2
	v_lshl_add_u32 v7, v7, 23, v10
	v_or3_b32 v2, v6, v7, v2
.LBB11_1724:
	s_or_b64 exec, exec, s[6:7]
	s_movk_i32 s4, 0x7f
	v_cmp_gt_i16_sdwa s[6:7], v3, s4 src0_sel:BYTE_3 src1_sel:DWORD
	s_mov_b64 s[4:5], 0
                                        ; implicit-def: $sgpr10
	s_and_saveexec_b64 s[8:9], s[6:7]
	s_xor_b64 s[6:7], exec, s[8:9]
	s_cbranch_execnz .LBB11_3773
; %bb.1725:
	s_or_saveexec_b64 s[6:7], s[6:7]
	v_mov_b32_e32 v6, s10
	s_xor_b64 exec, exec, s[6:7]
	s_cbranch_execnz .LBB11_3776
.LBB11_1726:
	s_or_b64 exec, exec, s[6:7]
	s_and_saveexec_b64 s[6:7], s[4:5]
	s_cbranch_execz .LBB11_1728
.LBB11_1727:
	v_bfe_u32 v6, v3, 24, 3
	v_ffbh_u32_e32 v12, v6
	v_min_u32_e32 v12, 32, v12
	v_lshrrev_b32_e32 v10, 27, v3
	v_subrev_u32_e32 v13, 28, v12
	v_and_b32_e32 v7, 0x80000000, v3
	v_and_b32_e32 v10, 15, v10
	v_bfe_u32 v11, v3, 27, 4
	v_lshlrev_b32_sdwa v3, v13, v3 dst_sel:DWORD dst_unused:UNUSED_PAD src0_sel:DWORD src1_sel:BYTE_3
	v_sub_u32_e32 v12, 29, v12
	v_and_b32_e32 v3, 7, v3
	v_cmp_eq_u16_e32 vcc, 0, v10
	v_cndmask_b32_e32 v3, v6, v3, vcc
	v_cndmask_b32_e32 v6, v11, v12, vcc
	v_mov_b32_e32 v10, 0x3b800000
	v_lshlrev_b32_e32 v3, 20, v3
	v_lshl_add_u32 v6, v6, 23, v10
	v_or3_b32 v6, v7, v6, v3
.LBB11_1728:
	s_or_b64 exec, exec, s[6:7]
	s_nop 0
	v_mfma_f32_16x16x4f32 a[0:3], v2, v6, a[0:3]
	s_movk_i32 s4, 0x7f
	v_cmp_gt_i16_sdwa s[6:7], v8, s4 src0_sel:BYTE_0 src1_sel:DWORD
	s_mov_b64 s[4:5], 0
                                        ; implicit-def: $sgpr10
	s_and_saveexec_b64 s[8:9], s[6:7]
	s_xor_b64 s[6:7], exec, s[8:9]
	s_cbranch_execnz .LBB11_3777
; %bb.1729:
	s_or_saveexec_b64 s[6:7], s[6:7]
	v_mov_b32_e32 v2, s10
	s_xor_b64 exec, exec, s[6:7]
	s_cbranch_execnz .LBB11_3780
.LBB11_1730:
	s_or_b64 exec, exec, s[6:7]
	s_and_saveexec_b64 s[6:7], s[4:5]
	s_cbranch_execz .LBB11_1732
.LBB11_1731:
	v_and_b32_e32 v2, 7, v8
	v_ffbh_u32_e32 v6, v2
	v_min_u32_e32 v6, 32, v6
	v_lshrrev_b16_e32 v3, 3, v8
	v_subrev_u32_e32 v7, 28, v6
	v_and_b32_e32 v3, 15, v3
	v_lshlrev_b32_e32 v7, v7, v8
	v_sub_u32_e32 v6, 29, v6
	v_and_b32_e32 v7, 7, v7
	v_cmp_eq_u16_e32 vcc, 0, v3
	v_cndmask_b32_e32 v2, v2, v7, vcc
	v_cndmask_b32_e32 v3, v3, v6, vcc
	v_lshlrev_b32_e32 v6, 24, v8
	v_mov_b32_e32 v7, 0x3b800000
	v_lshlrev_b32_e32 v2, 20, v2
	v_and_b32_e32 v6, 0x80000000, v6
	v_lshl_add_u32 v3, v3, 23, v7
	v_or3_b32 v2, v6, v3, v2
.LBB11_1732:
	s_or_b64 exec, exec, s[6:7]
	s_movk_i32 s4, 0x7f
	v_cmp_gt_i16_sdwa s[6:7], v4, s4 src0_sel:BYTE_0 src1_sel:DWORD
	s_mov_b64 s[4:5], 0
                                        ; implicit-def: $sgpr10
	s_and_saveexec_b64 s[8:9], s[6:7]
	s_xor_b64 s[6:7], exec, s[8:9]
	s_cbranch_execnz .LBB11_3781
; %bb.1733:
	s_or_saveexec_b64 s[6:7], s[6:7]
	v_mov_b32_e32 v3, s10
	s_xor_b64 exec, exec, s[6:7]
	s_cbranch_execnz .LBB11_3784
.LBB11_1734:
	s_or_b64 exec, exec, s[6:7]
	s_and_saveexec_b64 s[6:7], s[4:5]
	s_cbranch_execz .LBB11_1736
.LBB11_1735:
	v_and_b32_e32 v3, 7, v4
	v_ffbh_u32_e32 v7, v3
	v_min_u32_e32 v7, 32, v7
	v_lshrrev_b16_e32 v6, 3, v4
	v_subrev_u32_e32 v10, 28, v7
	v_and_b32_e32 v6, 15, v6
	v_lshlrev_b32_e32 v10, v10, v4
	v_sub_u32_e32 v7, 29, v7
	v_and_b32_e32 v10, 7, v10
	v_cmp_eq_u16_e32 vcc, 0, v6
	v_cndmask_b32_e32 v3, v3, v10, vcc
	v_cndmask_b32_e32 v6, v6, v7, vcc
	v_lshlrev_b32_e32 v7, 24, v4
	v_mov_b32_e32 v10, 0x3b800000
	v_lshlrev_b32_e32 v3, 20, v3
	v_and_b32_e32 v7, 0x80000000, v7
	v_lshl_add_u32 v6, v6, 23, v10
	v_or3_b32 v3, v7, v6, v3
.LBB11_1736:
	s_or_b64 exec, exec, s[6:7]
	s_nop 0
	v_mfma_f32_16x16x4f32 a[0:3], v2, v3, a[0:3]
	v_lshrrev_b32_e32 v3, 8, v8
	s_movk_i32 s4, 0x7f
	v_cmp_gt_i16_sdwa s[6:7], v3, s4 src0_sel:BYTE_0 src1_sel:DWORD
	s_mov_b64 s[4:5], 0
                                        ; implicit-def: $sgpr10
	s_and_saveexec_b64 s[8:9], s[6:7]
	s_xor_b64 s[6:7], exec, s[8:9]
	s_cbranch_execnz .LBB11_3785
; %bb.1737:
	s_or_saveexec_b64 s[6:7], s[6:7]
	v_mov_b32_e32 v2, s10
	s_xor_b64 exec, exec, s[6:7]
	s_cbranch_execnz .LBB11_3788
.LBB11_1738:
	s_or_b64 exec, exec, s[6:7]
	s_and_saveexec_b64 s[6:7], s[4:5]
	s_cbranch_execz .LBB11_1740
.LBB11_1739:
	v_bfe_u32 v2, v8, 8, 3
	v_ffbh_u32_e32 v7, v2
	v_min_u32_e32 v7, 32, v7
	v_lshrrev_b16_e32 v6, 3, v3
	v_subrev_u32_e32 v10, 28, v7
	v_and_b32_e32 v6, 15, v6
	v_lshlrev_b32_e32 v3, v10, v3
	v_sub_u32_e32 v7, 29, v7
	v_and_b32_e32 v3, 7, v3
	v_cmp_eq_u16_e32 vcc, 0, v6
	v_cndmask_b32_e32 v2, v2, v3, vcc
	v_cndmask_b32_e32 v3, v6, v7, vcc
	v_lshlrev_b32_e32 v6, 16, v8
	v_mov_b32_e32 v7, 0x3b800000
	v_lshlrev_b32_e32 v2, 20, v2
	v_and_b32_e32 v6, 0x80000000, v6
	v_lshl_add_u32 v3, v3, 23, v7
	v_or3_b32 v2, v6, v3, v2
.LBB11_1740:
	s_or_b64 exec, exec, s[6:7]
	v_lshrrev_b32_e32 v3, 8, v4
	s_movk_i32 s4, 0x7f
	v_cmp_gt_i16_sdwa s[6:7], v3, s4 src0_sel:BYTE_0 src1_sel:DWORD
	s_mov_b64 s[4:5], 0
                                        ; implicit-def: $sgpr10
	s_and_saveexec_b64 s[8:9], s[6:7]
	s_xor_b64 s[6:7], exec, s[8:9]
	s_cbranch_execnz .LBB11_3789
; %bb.1741:
	s_or_saveexec_b64 s[6:7], s[6:7]
	v_mov_b32_e32 v6, s10
	s_xor_b64 exec, exec, s[6:7]
	s_cbranch_execnz .LBB11_3792
.LBB11_1742:
	s_or_b64 exec, exec, s[6:7]
	s_and_saveexec_b64 s[6:7], s[4:5]
	s_cbranch_execz .LBB11_1744
.LBB11_1743:
	v_bfe_u32 v6, v4, 8, 3
	v_ffbh_u32_e32 v10, v6
	v_min_u32_e32 v10, 32, v10
	v_lshrrev_b16_e32 v7, 3, v3
	v_subrev_u32_e32 v11, 28, v10
	v_and_b32_e32 v7, 15, v7
	v_lshlrev_b32_e32 v3, v11, v3
	v_sub_u32_e32 v10, 29, v10
	v_and_b32_e32 v3, 7, v3
	v_cmp_eq_u16_e32 vcc, 0, v7
	v_cndmask_b32_e32 v3, v6, v3, vcc
	v_cndmask_b32_e32 v6, v7, v10, vcc
	v_lshlrev_b32_e32 v7, 16, v4
	v_mov_b32_e32 v10, 0x3b800000
	v_lshlrev_b32_e32 v3, 20, v3
	v_and_b32_e32 v7, 0x80000000, v7
	v_lshl_add_u32 v6, v6, 23, v10
	v_or3_b32 v6, v7, v6, v3
.LBB11_1744:
	s_or_b64 exec, exec, s[6:7]
	s_nop 0
	v_mfma_f32_16x16x4f32 a[0:3], v2, v6, a[0:3]
	s_movk_i32 s4, 0xff
	v_and_b32_sdwa v3, v8, s4 dst_sel:DWORD dst_unused:UNUSED_PAD src0_sel:WORD_1 src1_sel:DWORD
	s_movk_i32 s4, 0x7f
	v_cmp_lt_i16_e32 vcc, s4, v3
	s_mov_b64 s[4:5], 0
                                        ; implicit-def: $sgpr10
	s_and_saveexec_b64 s[6:7], vcc
	s_xor_b64 s[6:7], exec, s[6:7]
	s_cbranch_execnz .LBB11_3793
; %bb.1745:
	s_or_saveexec_b64 s[6:7], s[6:7]
	v_mov_b32_e32 v2, s10
	s_xor_b64 exec, exec, s[6:7]
	s_cbranch_execnz .LBB11_3796
.LBB11_1746:
	s_or_b64 exec, exec, s[6:7]
	s_and_saveexec_b64 s[6:7], s[4:5]
	s_cbranch_execz .LBB11_1748
.LBB11_1747:
	v_bfe_u32 v2, v8, 16, 3
	v_ffbh_u32_e32 v7, v2
	v_min_u32_e32 v7, 32, v7
	v_lshrrev_b32_e32 v3, 19, v8
	v_subrev_u32_e32 v10, 28, v7
	v_and_b32_e32 v3, 15, v3
	v_lshlrev_b32_sdwa v10, v10, v8 dst_sel:DWORD dst_unused:UNUSED_PAD src0_sel:DWORD src1_sel:WORD_1
	v_bfe_u32 v6, v8, 19, 4
	v_sub_u32_e32 v7, 29, v7
	v_and_b32_e32 v10, 7, v10
	v_cmp_eq_u16_e32 vcc, 0, v3
	v_cndmask_b32_e32 v2, v2, v10, vcc
	v_cndmask_b32_e32 v3, v6, v7, vcc
	v_lshlrev_b32_e32 v6, 8, v8
	v_mov_b32_e32 v7, 0x3b800000
	v_lshlrev_b32_e32 v2, 20, v2
	v_and_b32_e32 v6, 0x80000000, v6
	v_lshl_add_u32 v3, v3, 23, v7
	v_or3_b32 v2, v6, v3, v2
.LBB11_1748:
	s_or_b64 exec, exec, s[6:7]
	s_movk_i32 s4, 0xff
	v_and_b32_sdwa v3, v4, s4 dst_sel:DWORD dst_unused:UNUSED_PAD src0_sel:WORD_1 src1_sel:DWORD
	s_movk_i32 s4, 0x7f
	v_cmp_lt_i16_e32 vcc, s4, v3
	s_mov_b64 s[4:5], 0
                                        ; implicit-def: $sgpr10
	s_and_saveexec_b64 s[6:7], vcc
	s_xor_b64 s[6:7], exec, s[6:7]
	s_cbranch_execnz .LBB11_3797
; %bb.1749:
	s_or_saveexec_b64 s[6:7], s[6:7]
	v_mov_b32_e32 v6, s10
	s_xor_b64 exec, exec, s[6:7]
	s_cbranch_execnz .LBB11_3800
.LBB11_1750:
	s_or_b64 exec, exec, s[6:7]
	s_and_saveexec_b64 s[6:7], s[4:5]
	s_cbranch_execz .LBB11_1752
.LBB11_1751:
	v_bfe_u32 v3, v4, 16, 3
	v_ffbh_u32_e32 v10, v3
	v_min_u32_e32 v10, 32, v10
	v_lshrrev_b32_e32 v6, 19, v4
	v_subrev_u32_e32 v11, 28, v10
	v_and_b32_e32 v6, 15, v6
	v_lshlrev_b32_sdwa v11, v11, v4 dst_sel:DWORD dst_unused:UNUSED_PAD src0_sel:DWORD src1_sel:WORD_1
	v_bfe_u32 v7, v4, 19, 4
	v_sub_u32_e32 v10, 29, v10
	v_and_b32_e32 v11, 7, v11
	v_cmp_eq_u16_e32 vcc, 0, v6
	v_cndmask_b32_e32 v3, v3, v11, vcc
	v_cndmask_b32_e32 v6, v7, v10, vcc
	v_lshlrev_b32_e32 v7, 8, v4
	v_mov_b32_e32 v10, 0x3b800000
	v_lshlrev_b32_e32 v3, 20, v3
	v_and_b32_e32 v7, 0x80000000, v7
	v_lshl_add_u32 v6, v6, 23, v10
	v_or3_b32 v6, v7, v6, v3
.LBB11_1752:
	s_or_b64 exec, exec, s[6:7]
	s_nop 0
	v_mfma_f32_16x16x4f32 a[0:3], v2, v6, a[0:3]
	s_movk_i32 s4, 0x7f
	v_cmp_gt_i16_sdwa s[6:7], v8, s4 src0_sel:BYTE_3 src1_sel:DWORD
	s_mov_b64 s[4:5], 0
                                        ; implicit-def: $sgpr10
	s_and_saveexec_b64 s[8:9], s[6:7]
	s_xor_b64 s[6:7], exec, s[8:9]
	s_cbranch_execnz .LBB11_3801
; %bb.1753:
	s_or_saveexec_b64 s[6:7], s[6:7]
	v_mov_b32_e32 v2, s10
	s_xor_b64 exec, exec, s[6:7]
	s_cbranch_execnz .LBB11_3804
.LBB11_1754:
	s_or_b64 exec, exec, s[6:7]
	s_and_saveexec_b64 s[6:7], s[4:5]
	s_cbranch_execz .LBB11_1756
.LBB11_1755:
	v_bfe_u32 v2, v8, 24, 3
	v_ffbh_u32_e32 v10, v2
	v_min_u32_e32 v10, 32, v10
	v_lshrrev_b32_e32 v6, 27, v8
	v_subrev_u32_e32 v11, 28, v10
	v_and_b32_e32 v3, 0x80000000, v8
	v_and_b32_e32 v6, 15, v6
	v_bfe_u32 v7, v8, 27, 4
	v_lshlrev_b32_sdwa v8, v11, v8 dst_sel:DWORD dst_unused:UNUSED_PAD src0_sel:DWORD src1_sel:BYTE_3
	v_sub_u32_e32 v10, 29, v10
	v_and_b32_e32 v8, 7, v8
	v_cmp_eq_u16_e32 vcc, 0, v6
	v_cndmask_b32_e32 v2, v2, v8, vcc
	v_cndmask_b32_e32 v6, v7, v10, vcc
	v_mov_b32_e32 v7, 0x3b800000
	v_lshlrev_b32_e32 v2, 20, v2
	v_lshl_add_u32 v6, v6, 23, v7
	v_or3_b32 v2, v3, v6, v2
.LBB11_1756:
	s_or_b64 exec, exec, s[6:7]
	s_movk_i32 s4, 0x7f
	v_cmp_gt_i16_sdwa s[6:7], v4, s4 src0_sel:BYTE_3 src1_sel:DWORD
	s_mov_b64 s[4:5], 0
                                        ; implicit-def: $sgpr10
	s_and_saveexec_b64 s[8:9], s[6:7]
	s_xor_b64 s[6:7], exec, s[8:9]
	s_cbranch_execnz .LBB11_3805
; %bb.1757:
	s_or_saveexec_b64 s[6:7], s[6:7]
	v_mov_b32_e32 v3, s10
	s_xor_b64 exec, exec, s[6:7]
	s_cbranch_execnz .LBB11_3808
.LBB11_1758:
	s_or_b64 exec, exec, s[6:7]
	s_and_saveexec_b64 s[6:7], s[4:5]
	s_cbranch_execz .LBB11_1760
.LBB11_1759:
	v_bfe_u32 v3, v4, 24, 3
	v_ffbh_u32_e32 v10, v3
	v_min_u32_e32 v10, 32, v10
	v_lshrrev_b32_e32 v7, 27, v4
	v_subrev_u32_e32 v11, 28, v10
	v_and_b32_e32 v6, 0x80000000, v4
	v_and_b32_e32 v7, 15, v7
	v_bfe_u32 v8, v4, 27, 4
	v_lshlrev_b32_sdwa v4, v11, v4 dst_sel:DWORD dst_unused:UNUSED_PAD src0_sel:DWORD src1_sel:BYTE_3
	v_sub_u32_e32 v10, 29, v10
	v_and_b32_e32 v4, 7, v4
	v_cmp_eq_u16_e32 vcc, 0, v7
	v_cndmask_b32_e32 v3, v3, v4, vcc
	v_cndmask_b32_e32 v4, v8, v10, vcc
	v_mov_b32_e32 v7, 0x3b800000
	v_lshlrev_b32_e32 v3, 20, v3
	v_lshl_add_u32 v4, v4, 23, v7
	v_or3_b32 v3, v6, v4, v3
.LBB11_1760:
	s_or_b64 exec, exec, s[6:7]
	s_nop 0
	v_mfma_f32_16x16x4f32 a[0:3], v2, v3, a[0:3]
	s_movk_i32 s4, 0x7f
	v_cmp_gt_i16_sdwa s[6:7], v9, s4 src0_sel:BYTE_0 src1_sel:DWORD
	s_mov_b64 s[4:5], 0
                                        ; implicit-def: $sgpr10
	s_and_saveexec_b64 s[8:9], s[6:7]
	s_xor_b64 s[6:7], exec, s[8:9]
	s_cbranch_execnz .LBB11_3809
; %bb.1761:
	s_or_saveexec_b64 s[6:7], s[6:7]
	v_mov_b32_e32 v2, s10
	s_xor_b64 exec, exec, s[6:7]
	s_cbranch_execnz .LBB11_3812
.LBB11_1762:
	s_or_b64 exec, exec, s[6:7]
	s_and_saveexec_b64 s[6:7], s[4:5]
	s_cbranch_execz .LBB11_1764
.LBB11_1763:
	v_mov_b32_e32 v2, 8
	v_and_b32_e32 v3, 7, v9
	v_lshrrev_b32_sdwa v2, v2, v9 dst_sel:BYTE_1 dst_unused:UNUSED_PAD src0_sel:DWORD src1_sel:DWORD
	v_ffbh_u32_e32 v4, v3
	v_or_b32_sdwa v2, v9, v2 dst_sel:DWORD dst_unused:UNUSED_PAD src0_sel:BYTE_0 src1_sel:DWORD
	v_min_u32_e32 v4, 32, v4
	v_lshrrev_b16_e32 v2, 3, v2
	v_subrev_u32_e32 v6, 28, v4
	v_and_b32_e32 v2, 15, v2
	v_lshlrev_b32_e32 v6, v6, v9
	v_sub_u32_e32 v4, 29, v4
	v_and_b32_e32 v6, 7, v6
	v_cmp_eq_u16_e32 vcc, 0, v2
	v_cndmask_b32_e32 v3, v3, v6, vcc
	v_cndmask_b32_e32 v2, v2, v4, vcc
	v_lshlrev_b32_e32 v4, 24, v9
	v_mov_b32_e32 v6, 0x3b800000
	v_lshlrev_b32_e32 v3, 20, v3
	v_and_b32_e32 v4, 0x80000000, v4
	v_lshl_add_u32 v2, v2, 23, v6
	v_or3_b32 v2, v4, v2, v3
.LBB11_1764:
	s_or_b64 exec, exec, s[6:7]
	s_movk_i32 s4, 0x7f
	v_cmp_gt_i16_sdwa s[6:7], v5, s4 src0_sel:BYTE_0 src1_sel:DWORD
	s_mov_b64 s[4:5], 0
                                        ; implicit-def: $sgpr10
	s_and_saveexec_b64 s[8:9], s[6:7]
	s_xor_b64 s[6:7], exec, s[8:9]
	s_cbranch_execnz .LBB11_3813
; %bb.1765:
	s_or_saveexec_b64 s[6:7], s[6:7]
	v_mov_b32_e32 v3, s10
	s_xor_b64 exec, exec, s[6:7]
	s_cbranch_execnz .LBB11_3816
.LBB11_1766:
	s_or_b64 exec, exec, s[6:7]
	s_and_saveexec_b64 s[6:7], s[4:5]
	s_cbranch_execz .LBB11_1768
.LBB11_1767:
	v_mov_b32_e32 v3, 8
	v_and_b32_e32 v4, 7, v5
	v_lshrrev_b32_sdwa v3, v3, v5 dst_sel:BYTE_1 dst_unused:UNUSED_PAD src0_sel:DWORD src1_sel:DWORD
	v_ffbh_u32_e32 v6, v4
	v_or_b32_sdwa v3, v5, v3 dst_sel:DWORD dst_unused:UNUSED_PAD src0_sel:BYTE_0 src1_sel:DWORD
	v_min_u32_e32 v6, 32, v6
	v_lshrrev_b16_e32 v3, 3, v3
	v_subrev_u32_e32 v7, 28, v6
	v_and_b32_e32 v3, 15, v3
	v_lshlrev_b32_e32 v7, v7, v5
	v_sub_u32_e32 v6, 29, v6
	v_and_b32_e32 v7, 7, v7
	v_cmp_eq_u16_e32 vcc, 0, v3
	v_cndmask_b32_e32 v4, v4, v7, vcc
	v_cndmask_b32_e32 v3, v3, v6, vcc
	v_lshlrev_b32_e32 v6, 24, v5
	v_mov_b32_e32 v7, 0x3b800000
	v_lshlrev_b32_e32 v4, 20, v4
	v_and_b32_e32 v6, 0x80000000, v6
	v_lshl_add_u32 v3, v3, 23, v7
	v_or3_b32 v3, v6, v3, v4
.LBB11_1768:
	s_or_b64 exec, exec, s[6:7]
	s_nop 0
	v_mfma_f32_16x16x4f32 a[0:3], v2, v3, a[0:3]
	v_lshrrev_b32_e32 v3, 8, v9
	s_movk_i32 s4, 0x7f
	v_cmp_gt_i16_sdwa s[6:7], v3, s4 src0_sel:BYTE_0 src1_sel:DWORD
	s_mov_b64 s[4:5], 0
                                        ; implicit-def: $sgpr10
	s_and_saveexec_b64 s[8:9], s[6:7]
	s_xor_b64 s[6:7], exec, s[8:9]
	s_cbranch_execnz .LBB11_3817
; %bb.1769:
	s_or_saveexec_b64 s[6:7], s[6:7]
	v_mov_b32_e32 v2, s10
	s_xor_b64 exec, exec, s[6:7]
	s_cbranch_execnz .LBB11_3820
.LBB11_1770:
	s_or_b64 exec, exec, s[6:7]
	s_and_saveexec_b64 s[6:7], s[4:5]
	s_cbranch_execz .LBB11_1772
.LBB11_1771:
	v_bfe_u32 v2, v9, 8, 3
	v_ffbh_u32_e32 v6, v2
	v_min_u32_e32 v6, 32, v6
	v_lshrrev_b16_e32 v4, 3, v3
	v_subrev_u32_e32 v7, 28, v6
	v_and_b32_e32 v4, 15, v4
	v_lshlrev_b32_e32 v3, v7, v3
	v_sub_u32_e32 v6, 29, v6
	v_and_b32_e32 v3, 7, v3
	v_cmp_eq_u16_e32 vcc, 0, v4
	v_cndmask_b32_e32 v2, v2, v3, vcc
	v_cndmask_b32_e32 v3, v4, v6, vcc
	v_lshlrev_b32_e32 v4, 16, v9
	v_mov_b32_e32 v6, 0x3b800000
	v_lshlrev_b32_e32 v2, 20, v2
	v_and_b32_e32 v4, 0x80000000, v4
	v_lshl_add_u32 v3, v3, 23, v6
	v_or3_b32 v2, v4, v3, v2
.LBB11_1772:
	s_or_b64 exec, exec, s[6:7]
	v_lshrrev_b32_e32 v3, 8, v5
	s_movk_i32 s4, 0x7f
	v_cmp_gt_i16_sdwa s[6:7], v3, s4 src0_sel:BYTE_0 src1_sel:DWORD
	s_mov_b64 s[4:5], 0
                                        ; implicit-def: $sgpr10
	s_and_saveexec_b64 s[8:9], s[6:7]
	s_xor_b64 s[6:7], exec, s[8:9]
	s_cbranch_execnz .LBB11_3821
; %bb.1773:
	s_or_saveexec_b64 s[6:7], s[6:7]
	v_mov_b32_e32 v4, s10
	s_xor_b64 exec, exec, s[6:7]
	s_cbranch_execnz .LBB11_3824
.LBB11_1774:
	s_or_b64 exec, exec, s[6:7]
	s_and_saveexec_b64 s[6:7], s[4:5]
	s_cbranch_execz .LBB11_1776
.LBB11_1775:
	v_bfe_u32 v4, v5, 8, 3
	v_ffbh_u32_e32 v7, v4
	v_min_u32_e32 v7, 32, v7
	v_lshrrev_b16_e32 v6, 3, v3
	v_subrev_u32_e32 v8, 28, v7
	v_and_b32_e32 v6, 15, v6
	v_lshlrev_b32_e32 v3, v8, v3
	v_sub_u32_e32 v7, 29, v7
	v_and_b32_e32 v3, 7, v3
	v_cmp_eq_u16_e32 vcc, 0, v6
	v_cndmask_b32_e32 v3, v4, v3, vcc
	v_cndmask_b32_e32 v4, v6, v7, vcc
	v_lshlrev_b32_e32 v6, 16, v5
	v_mov_b32_e32 v7, 0x3b800000
	v_lshlrev_b32_e32 v3, 20, v3
	v_and_b32_e32 v6, 0x80000000, v6
	v_lshl_add_u32 v4, v4, 23, v7
	v_or3_b32 v4, v6, v4, v3
.LBB11_1776:
	s_or_b64 exec, exec, s[6:7]
	s_nop 0
	v_mfma_f32_16x16x4f32 a[0:3], v2, v4, a[0:3]
	s_movk_i32 s4, 0xff
	v_and_b32_sdwa v3, v9, s4 dst_sel:DWORD dst_unused:UNUSED_PAD src0_sel:WORD_1 src1_sel:DWORD
	s_movk_i32 s4, 0x7f
	v_cmp_lt_i16_e32 vcc, s4, v3
	s_mov_b64 s[4:5], 0
                                        ; implicit-def: $sgpr10
	s_and_saveexec_b64 s[6:7], vcc
	s_xor_b64 s[6:7], exec, s[6:7]
	s_cbranch_execnz .LBB11_3825
; %bb.1777:
	s_or_saveexec_b64 s[6:7], s[6:7]
	v_mov_b32_e32 v2, s10
	s_xor_b64 exec, exec, s[6:7]
	s_cbranch_execnz .LBB11_3828
.LBB11_1778:
	s_or_b64 exec, exec, s[6:7]
	s_and_saveexec_b64 s[6:7], s[4:5]
	s_cbranch_execz .LBB11_1780
.LBB11_1779:
	v_bfe_u32 v2, v9, 16, 3
	v_ffbh_u32_e32 v6, v2
	v_min_u32_e32 v6, 32, v6
	v_lshrrev_b32_e32 v3, 19, v9
	v_subrev_u32_e32 v7, 28, v6
	v_and_b32_e32 v3, 15, v3
	v_lshlrev_b32_sdwa v7, v7, v9 dst_sel:DWORD dst_unused:UNUSED_PAD src0_sel:DWORD src1_sel:WORD_1
	v_bfe_u32 v4, v9, 19, 4
	v_sub_u32_e32 v6, 29, v6
	v_and_b32_e32 v7, 7, v7
	v_cmp_eq_u16_e32 vcc, 0, v3
	v_cndmask_b32_e32 v2, v2, v7, vcc
	v_cndmask_b32_e32 v3, v4, v6, vcc
	v_lshlrev_b32_e32 v4, 8, v9
	v_mov_b32_e32 v6, 0x3b800000
	v_lshlrev_b32_e32 v2, 20, v2
	v_and_b32_e32 v4, 0x80000000, v4
	v_lshl_add_u32 v3, v3, 23, v6
	v_or3_b32 v2, v4, v3, v2
.LBB11_1780:
	s_or_b64 exec, exec, s[6:7]
	s_movk_i32 s4, 0xff
	v_and_b32_sdwa v3, v5, s4 dst_sel:DWORD dst_unused:UNUSED_PAD src0_sel:WORD_1 src1_sel:DWORD
	s_movk_i32 s4, 0x7f
	v_cmp_lt_i16_e32 vcc, s4, v3
	s_mov_b64 s[4:5], 0
                                        ; implicit-def: $sgpr10
	s_and_saveexec_b64 s[6:7], vcc
	s_xor_b64 s[6:7], exec, s[6:7]
	s_cbranch_execnz .LBB11_3829
; %bb.1781:
	s_or_saveexec_b64 s[6:7], s[6:7]
	v_mov_b32_e32 v4, s10
	s_xor_b64 exec, exec, s[6:7]
	s_cbranch_execnz .LBB11_3832
.LBB11_1782:
	s_or_b64 exec, exec, s[6:7]
	s_and_saveexec_b64 s[6:7], s[4:5]
	s_cbranch_execz .LBB11_1784
.LBB11_1783:
	v_bfe_u32 v3, v5, 16, 3
	v_ffbh_u32_e32 v7, v3
	v_min_u32_e32 v7, 32, v7
	v_lshrrev_b32_e32 v4, 19, v5
	v_subrev_u32_e32 v8, 28, v7
	v_and_b32_e32 v4, 15, v4
	v_lshlrev_b32_sdwa v8, v8, v5 dst_sel:DWORD dst_unused:UNUSED_PAD src0_sel:DWORD src1_sel:WORD_1
	v_bfe_u32 v6, v5, 19, 4
	v_sub_u32_e32 v7, 29, v7
	v_and_b32_e32 v8, 7, v8
	v_cmp_eq_u16_e32 vcc, 0, v4
	v_cndmask_b32_e32 v3, v3, v8, vcc
	v_cndmask_b32_e32 v4, v6, v7, vcc
	v_lshlrev_b32_e32 v6, 8, v5
	v_mov_b32_e32 v7, 0x3b800000
	v_lshlrev_b32_e32 v3, 20, v3
	v_and_b32_e32 v6, 0x80000000, v6
	v_lshl_add_u32 v4, v4, 23, v7
	v_or3_b32 v4, v6, v4, v3
.LBB11_1784:
	s_or_b64 exec, exec, s[6:7]
	s_nop 0
	v_mfma_f32_16x16x4f32 a[0:3], v2, v4, a[0:3]
	s_movk_i32 s4, 0x7f
	v_cmp_gt_i16_sdwa s[6:7], v9, s4 src0_sel:BYTE_3 src1_sel:DWORD
	s_mov_b64 s[4:5], 0
                                        ; implicit-def: $sgpr10
	s_and_saveexec_b64 s[8:9], s[6:7]
	s_xor_b64 s[6:7], exec, s[8:9]
	s_cbranch_execnz .LBB11_3833
; %bb.1785:
	s_or_saveexec_b64 s[6:7], s[6:7]
	v_mov_b32_e32 v2, s10
	s_xor_b64 exec, exec, s[6:7]
	s_cbranch_execnz .LBB11_3836
.LBB11_1786:
	s_or_b64 exec, exec, s[6:7]
	s_and_saveexec_b64 s[6:7], s[4:5]
	s_cbranch_execz .LBB11_1788
.LBB11_1787:
	v_bfe_u32 v2, v9, 24, 3
	v_ffbh_u32_e32 v7, v2
	v_min_u32_e32 v7, 32, v7
	v_lshrrev_b32_e32 v4, 27, v9
	v_subrev_u32_e32 v8, 28, v7
	v_and_b32_e32 v4, 15, v4
	v_lshlrev_b32_sdwa v8, v8, v9 dst_sel:DWORD dst_unused:UNUSED_PAD src0_sel:DWORD src1_sel:BYTE_3
	v_bfe_u32 v6, v9, 27, 4
	v_sub_u32_e32 v7, 29, v7
	v_and_b32_e32 v8, 7, v8
	v_cmp_eq_u16_e32 vcc, 0, v4
	v_cndmask_b32_e32 v2, v2, v8, vcc
	v_cndmask_b32_e32 v4, v6, v7, vcc
	v_mov_b32_e32 v6, 0x3b800000
	v_and_b32_e32 v3, 0x80000000, v9
	v_lshlrev_b32_e32 v2, 20, v2
	v_lshl_add_u32 v4, v4, 23, v6
	v_or3_b32 v2, v3, v4, v2
.LBB11_1788:
	s_or_b64 exec, exec, s[6:7]
	s_movk_i32 s4, 0x7f
	v_cmp_gt_i16_sdwa s[6:7], v5, s4 src0_sel:BYTE_3 src1_sel:DWORD
	s_mov_b64 s[4:5], 0
                                        ; implicit-def: $sgpr10
	s_and_saveexec_b64 s[8:9], s[6:7]
	s_xor_b64 s[6:7], exec, s[8:9]
	s_cbranch_execnz .LBB11_3837
; %bb.1789:
	s_or_saveexec_b64 s[6:7], s[6:7]
	v_mov_b32_e32 v3, s10
	s_xor_b64 exec, exec, s[6:7]
	s_cbranch_execnz .LBB11_3840
.LBB11_1790:
	s_or_b64 exec, exec, s[6:7]
	s_and_saveexec_b64 s[6:7], s[4:5]
	s_cbranch_execz .LBB11_1792
.LBB11_1791:
	v_bfe_u32 v3, v5, 24, 3
	v_ffbh_u32_e32 v8, v3
	v_min_u32_e32 v8, 32, v8
	v_lshrrev_b32_e32 v6, 27, v5
	v_subrev_u32_e32 v9, 28, v8
	v_and_b32_e32 v4, 0x80000000, v5
	v_and_b32_e32 v6, 15, v6
	v_bfe_u32 v7, v5, 27, 4
	v_lshlrev_b32_sdwa v5, v9, v5 dst_sel:DWORD dst_unused:UNUSED_PAD src0_sel:DWORD src1_sel:BYTE_3
	v_sub_u32_e32 v8, 29, v8
	v_and_b32_e32 v5, 7, v5
	v_cmp_eq_u16_e32 vcc, 0, v6
	v_cndmask_b32_e32 v3, v3, v5, vcc
	v_cndmask_b32_e32 v5, v7, v8, vcc
	v_mov_b32_e32 v6, 0x3b800000
	v_lshlrev_b32_e32 v3, 20, v3
	v_lshl_add_u32 v5, v5, 23, v6
	v_or3_b32 v3, v4, v5, v3
.LBB11_1792:
	s_or_b64 exec, exec, s[6:7]
	s_nop 0
	v_mfma_f32_16x16x4f32 a[0:3], v2, v3, a[0:3]
	s_movk_i32 s4, 0x7f
                                        ; implicit-def: $sgpr10
	s_nop 7
	s_nop 1
	flat_store_dwordx4 v[18:19], a[0:3] offset:224
	flat_load_dwordx4 v[18:21], v[0:1] offset:16
	s_nop 0
	flat_load_dwordx2 v[16:17], v[0:1] offset:32
	s_waitcnt vmcnt(0) lgkmcnt(0)
	flat_load_dwordx4 v[12:15], v[18:19] offset:32
	flat_load_dwordx4 v[4:7], v[18:19] offset:48
	;; [unrolled: 1-line block ×4, first 2 shown]
	s_waitcnt vmcnt(0) lgkmcnt(0)
	v_cmp_gt_i16_sdwa s[6:7], v12, s4 src0_sel:BYTE_0 src1_sel:DWORD
	s_mov_b64 s[4:5], 0
	s_and_saveexec_b64 s[8:9], s[6:7]
	s_xor_b64 s[6:7], exec, s[8:9]
	s_cbranch_execnz .LBB11_3841
; %bb.1793:
	s_or_saveexec_b64 s[6:7], s[6:7]
	v_mov_b32_e32 v18, s10
	s_xor_b64 exec, exec, s[6:7]
	s_cbranch_execnz .LBB11_3844
.LBB11_1794:
	s_or_b64 exec, exec, s[6:7]
	s_and_saveexec_b64 s[6:7], s[4:5]
	s_cbranch_execz .LBB11_1796
.LBB11_1795:
	v_and_b32_e32 v18, 7, v12
	v_ffbh_u32_e32 v20, v18
	v_min_u32_e32 v20, 32, v20
	v_lshrrev_b16_e32 v19, 3, v12
	v_subrev_u32_e32 v21, 28, v20
	v_and_b32_e32 v19, 15, v19
	v_lshlrev_b32_e32 v21, v21, v12
	v_sub_u32_e32 v20, 29, v20
	v_and_b32_e32 v21, 7, v21
	v_cmp_eq_u16_e32 vcc, 0, v19
	v_cndmask_b32_e32 v18, v18, v21, vcc
	v_cndmask_b32_e32 v19, v19, v20, vcc
	v_lshlrev_b32_e32 v20, 24, v12
	v_mov_b32_e32 v21, 0x3b800000
	v_lshlrev_b32_e32 v18, 20, v18
	v_and_b32_e32 v20, 0x80000000, v20
	v_lshl_add_u32 v19, v19, 23, v21
	v_or3_b32 v18, v20, v19, v18
.LBB11_1796:
	s_or_b64 exec, exec, s[6:7]
	s_movk_i32 s4, 0x7f
	v_cmp_gt_i16_sdwa s[6:7], v8, s4 src0_sel:BYTE_0 src1_sel:DWORD
	s_mov_b64 s[4:5], 0
                                        ; implicit-def: $sgpr10
	s_and_saveexec_b64 s[8:9], s[6:7]
	s_xor_b64 s[6:7], exec, s[8:9]
	s_cbranch_execnz .LBB11_3845
; %bb.1797:
	s_or_saveexec_b64 s[6:7], s[6:7]
	v_mov_b32_e32 v19, s10
	s_xor_b64 exec, exec, s[6:7]
	s_cbranch_execnz .LBB11_3848
.LBB11_1798:
	s_or_b64 exec, exec, s[6:7]
	s_and_saveexec_b64 s[6:7], s[4:5]
	s_cbranch_execz .LBB11_1800
.LBB11_1799:
	v_and_b32_e32 v19, 7, v8
	v_ffbh_u32_e32 v21, v19
	v_min_u32_e32 v21, 32, v21
	v_lshrrev_b16_e32 v20, 3, v8
	v_subrev_u32_e32 v22, 28, v21
	v_and_b32_e32 v20, 15, v20
	v_lshlrev_b32_e32 v22, v22, v8
	v_sub_u32_e32 v21, 29, v21
	v_and_b32_e32 v22, 7, v22
	v_cmp_eq_u16_e32 vcc, 0, v20
	v_cndmask_b32_e32 v19, v19, v22, vcc
	v_cndmask_b32_e32 v20, v20, v21, vcc
	v_lshlrev_b32_e32 v21, 24, v8
	v_mov_b32_e32 v22, 0x3b800000
	v_lshlrev_b32_e32 v19, 20, v19
	v_and_b32_e32 v21, 0x80000000, v21
	v_lshl_add_u32 v20, v20, 23, v22
	v_or3_b32 v19, v21, v20, v19
.LBB11_1800:
	s_or_b64 exec, exec, s[6:7]
	flat_load_dwordx4 a[0:3], v[16:17] offset:240
	s_movk_i32 s4, 0x7f
                                        ; implicit-def: $sgpr10
	s_waitcnt vmcnt(0) lgkmcnt(0)
	v_mfma_f32_16x16x4f32 a[0:3], v18, v19, a[0:3]
	v_lshrrev_b32_e32 v19, 8, v12
	v_cmp_gt_i16_sdwa s[6:7], v19, s4 src0_sel:BYTE_0 src1_sel:DWORD
	s_mov_b64 s[4:5], 0
	s_and_saveexec_b64 s[8:9], s[6:7]
	s_xor_b64 s[6:7], exec, s[8:9]
	s_cbranch_execnz .LBB11_3849
; %bb.1801:
	s_or_saveexec_b64 s[6:7], s[6:7]
	v_mov_b32_e32 v18, s10
	s_xor_b64 exec, exec, s[6:7]
	s_cbranch_execnz .LBB11_3852
.LBB11_1802:
	s_or_b64 exec, exec, s[6:7]
	s_and_saveexec_b64 s[6:7], s[4:5]
	s_cbranch_execz .LBB11_1804
.LBB11_1803:
	v_bfe_u32 v18, v12, 8, 3
	v_ffbh_u32_e32 v21, v18
	v_min_u32_e32 v21, 32, v21
	v_lshrrev_b16_e32 v20, 3, v19
	v_subrev_u32_e32 v22, 28, v21
	v_and_b32_e32 v20, 15, v20
	v_lshlrev_b32_e32 v19, v22, v19
	v_sub_u32_e32 v21, 29, v21
	v_and_b32_e32 v19, 7, v19
	v_cmp_eq_u16_e32 vcc, 0, v20
	v_cndmask_b32_e32 v18, v18, v19, vcc
	v_cndmask_b32_e32 v19, v20, v21, vcc
	v_lshlrev_b32_e32 v20, 16, v12
	v_mov_b32_e32 v21, 0x3b800000
	v_lshlrev_b32_e32 v18, 20, v18
	v_and_b32_e32 v20, 0x80000000, v20
	v_lshl_add_u32 v19, v19, 23, v21
	v_or3_b32 v18, v20, v19, v18
.LBB11_1804:
	s_or_b64 exec, exec, s[6:7]
	v_lshrrev_b32_e32 v19, 8, v8
	s_movk_i32 s4, 0x7f
	v_cmp_gt_i16_sdwa s[6:7], v19, s4 src0_sel:BYTE_0 src1_sel:DWORD
	s_mov_b64 s[4:5], 0
                                        ; implicit-def: $sgpr10
	s_and_saveexec_b64 s[8:9], s[6:7]
	s_xor_b64 s[6:7], exec, s[8:9]
	s_cbranch_execnz .LBB11_3853
; %bb.1805:
	s_or_saveexec_b64 s[6:7], s[6:7]
	v_mov_b32_e32 v20, s10
	s_xor_b64 exec, exec, s[6:7]
	s_cbranch_execnz .LBB11_3856
.LBB11_1806:
	s_or_b64 exec, exec, s[6:7]
	s_and_saveexec_b64 s[6:7], s[4:5]
	s_cbranch_execz .LBB11_1808
.LBB11_1807:
	v_bfe_u32 v20, v8, 8, 3
	v_ffbh_u32_e32 v22, v20
	v_min_u32_e32 v22, 32, v22
	v_lshrrev_b16_e32 v21, 3, v19
	v_subrev_u32_e32 v23, 28, v22
	v_and_b32_e32 v21, 15, v21
	v_lshlrev_b32_e32 v19, v23, v19
	v_sub_u32_e32 v22, 29, v22
	v_and_b32_e32 v19, 7, v19
	v_cmp_eq_u16_e32 vcc, 0, v21
	v_cndmask_b32_e32 v19, v20, v19, vcc
	v_cndmask_b32_e32 v20, v21, v22, vcc
	v_lshlrev_b32_e32 v21, 16, v8
	v_mov_b32_e32 v22, 0x3b800000
	v_lshlrev_b32_e32 v19, 20, v19
	v_and_b32_e32 v21, 0x80000000, v21
	v_lshl_add_u32 v20, v20, 23, v22
	v_or3_b32 v20, v21, v20, v19
.LBB11_1808:
	s_or_b64 exec, exec, s[6:7]
	s_nop 0
	v_mfma_f32_16x16x4f32 a[0:3], v18, v20, a[0:3]
	s_movk_i32 s4, 0xff
	v_and_b32_sdwa v19, v12, s4 dst_sel:DWORD dst_unused:UNUSED_PAD src0_sel:WORD_1 src1_sel:DWORD
	s_movk_i32 s4, 0x7f
	v_cmp_lt_i16_e32 vcc, s4, v19
	s_mov_b64 s[4:5], 0
                                        ; implicit-def: $sgpr10
	s_and_saveexec_b64 s[6:7], vcc
	s_xor_b64 s[6:7], exec, s[6:7]
	s_cbranch_execnz .LBB11_3857
; %bb.1809:
	s_or_saveexec_b64 s[6:7], s[6:7]
	v_mov_b32_e32 v18, s10
	s_xor_b64 exec, exec, s[6:7]
	s_cbranch_execnz .LBB11_3860
.LBB11_1810:
	s_or_b64 exec, exec, s[6:7]
	s_and_saveexec_b64 s[6:7], s[4:5]
	s_cbranch_execz .LBB11_1812
.LBB11_1811:
	v_bfe_u32 v18, v12, 16, 3
	v_ffbh_u32_e32 v21, v18
	v_min_u32_e32 v21, 32, v21
	v_lshrrev_b32_e32 v19, 19, v12
	v_subrev_u32_e32 v22, 28, v21
	v_and_b32_e32 v19, 15, v19
	v_lshlrev_b32_sdwa v22, v22, v12 dst_sel:DWORD dst_unused:UNUSED_PAD src0_sel:DWORD src1_sel:WORD_1
	v_bfe_u32 v20, v12, 19, 4
	v_sub_u32_e32 v21, 29, v21
	v_and_b32_e32 v22, 7, v22
	v_cmp_eq_u16_e32 vcc, 0, v19
	v_cndmask_b32_e32 v18, v18, v22, vcc
	v_cndmask_b32_e32 v19, v20, v21, vcc
	v_lshlrev_b32_e32 v20, 8, v12
	v_mov_b32_e32 v21, 0x3b800000
	v_lshlrev_b32_e32 v18, 20, v18
	v_and_b32_e32 v20, 0x80000000, v20
	v_lshl_add_u32 v19, v19, 23, v21
	v_or3_b32 v18, v20, v19, v18
.LBB11_1812:
	s_or_b64 exec, exec, s[6:7]
	s_movk_i32 s4, 0xff
	v_and_b32_sdwa v19, v8, s4 dst_sel:DWORD dst_unused:UNUSED_PAD src0_sel:WORD_1 src1_sel:DWORD
	s_movk_i32 s4, 0x7f
	v_cmp_lt_i16_e32 vcc, s4, v19
	s_mov_b64 s[4:5], 0
                                        ; implicit-def: $sgpr10
	s_and_saveexec_b64 s[6:7], vcc
	s_xor_b64 s[6:7], exec, s[6:7]
	s_cbranch_execnz .LBB11_3861
; %bb.1813:
	s_or_saveexec_b64 s[6:7], s[6:7]
	v_mov_b32_e32 v20, s10
	s_xor_b64 exec, exec, s[6:7]
	s_cbranch_execnz .LBB11_3864
.LBB11_1814:
	s_or_b64 exec, exec, s[6:7]
	s_and_saveexec_b64 s[6:7], s[4:5]
	s_cbranch_execz .LBB11_1816
.LBB11_1815:
	v_bfe_u32 v19, v8, 16, 3
	v_ffbh_u32_e32 v22, v19
	v_min_u32_e32 v22, 32, v22
	v_lshrrev_b32_e32 v20, 19, v8
	v_subrev_u32_e32 v23, 28, v22
	v_and_b32_e32 v20, 15, v20
	v_lshlrev_b32_sdwa v23, v23, v8 dst_sel:DWORD dst_unused:UNUSED_PAD src0_sel:DWORD src1_sel:WORD_1
	v_bfe_u32 v21, v8, 19, 4
	v_sub_u32_e32 v22, 29, v22
	v_and_b32_e32 v23, 7, v23
	v_cmp_eq_u16_e32 vcc, 0, v20
	v_cndmask_b32_e32 v19, v19, v23, vcc
	v_cndmask_b32_e32 v20, v21, v22, vcc
	v_lshlrev_b32_e32 v21, 8, v8
	v_mov_b32_e32 v22, 0x3b800000
	v_lshlrev_b32_e32 v19, 20, v19
	v_and_b32_e32 v21, 0x80000000, v21
	v_lshl_add_u32 v20, v20, 23, v22
	v_or3_b32 v20, v21, v20, v19
.LBB11_1816:
	s_or_b64 exec, exec, s[6:7]
	s_nop 0
	v_mfma_f32_16x16x4f32 a[0:3], v18, v20, a[0:3]
	s_movk_i32 s4, 0x7f
	v_cmp_gt_i16_sdwa s[6:7], v12, s4 src0_sel:BYTE_3 src1_sel:DWORD
	s_mov_b64 s[4:5], 0
                                        ; implicit-def: $sgpr10
	s_and_saveexec_b64 s[8:9], s[6:7]
	s_xor_b64 s[6:7], exec, s[8:9]
	s_cbranch_execnz .LBB11_3865
; %bb.1817:
	s_or_saveexec_b64 s[6:7], s[6:7]
	v_mov_b32_e32 v18, s10
	s_xor_b64 exec, exec, s[6:7]
	s_cbranch_execnz .LBB11_3868
.LBB11_1818:
	s_or_b64 exec, exec, s[6:7]
	s_and_saveexec_b64 s[6:7], s[4:5]
	s_cbranch_execz .LBB11_1820
.LBB11_1819:
	v_bfe_u32 v18, v12, 24, 3
	v_ffbh_u32_e32 v22, v18
	v_min_u32_e32 v22, 32, v22
	v_lshrrev_b32_e32 v20, 27, v12
	v_subrev_u32_e32 v23, 28, v22
	v_and_b32_e32 v19, 0x80000000, v12
	v_and_b32_e32 v20, 15, v20
	v_bfe_u32 v21, v12, 27, 4
	v_lshlrev_b32_sdwa v12, v23, v12 dst_sel:DWORD dst_unused:UNUSED_PAD src0_sel:DWORD src1_sel:BYTE_3
	v_sub_u32_e32 v22, 29, v22
	v_and_b32_e32 v12, 7, v12
	v_cmp_eq_u16_e32 vcc, 0, v20
	v_cndmask_b32_e32 v12, v18, v12, vcc
	v_cndmask_b32_e32 v18, v21, v22, vcc
	v_mov_b32_e32 v20, 0x3b800000
	v_lshlrev_b32_e32 v12, 20, v12
	v_lshl_add_u32 v18, v18, 23, v20
	v_or3_b32 v18, v19, v18, v12
.LBB11_1820:
	s_or_b64 exec, exec, s[6:7]
	s_movk_i32 s4, 0x7f
	v_cmp_gt_i16_sdwa s[6:7], v8, s4 src0_sel:BYTE_3 src1_sel:DWORD
	s_mov_b64 s[4:5], 0
                                        ; implicit-def: $sgpr10
	s_and_saveexec_b64 s[8:9], s[6:7]
	s_xor_b64 s[6:7], exec, s[8:9]
	s_cbranch_execnz .LBB11_3869
; %bb.1821:
	s_or_saveexec_b64 s[6:7], s[6:7]
	v_mov_b32_e32 v12, s10
	s_xor_b64 exec, exec, s[6:7]
	s_cbranch_execnz .LBB11_3872
.LBB11_1822:
	s_or_b64 exec, exec, s[6:7]
	s_and_saveexec_b64 s[6:7], s[4:5]
	s_cbranch_execz .LBB11_1824
.LBB11_1823:
	v_bfe_u32 v12, v8, 24, 3
	v_ffbh_u32_e32 v22, v12
	v_min_u32_e32 v22, 32, v22
	v_lshrrev_b32_e32 v20, 27, v8
	v_subrev_u32_e32 v23, 28, v22
	v_and_b32_e32 v19, 0x80000000, v8
	v_and_b32_e32 v20, 15, v20
	v_bfe_u32 v21, v8, 27, 4
	v_lshlrev_b32_sdwa v8, v23, v8 dst_sel:DWORD dst_unused:UNUSED_PAD src0_sel:DWORD src1_sel:BYTE_3
	v_sub_u32_e32 v22, 29, v22
	v_and_b32_e32 v8, 7, v8
	v_cmp_eq_u16_e32 vcc, 0, v20
	v_cndmask_b32_e32 v8, v12, v8, vcc
	v_cndmask_b32_e32 v12, v21, v22, vcc
	v_mov_b32_e32 v20, 0x3b800000
	v_lshlrev_b32_e32 v8, 20, v8
	v_lshl_add_u32 v12, v12, 23, v20
	v_or3_b32 v12, v19, v12, v8
.LBB11_1824:
	s_or_b64 exec, exec, s[6:7]
	s_nop 0
	v_mfma_f32_16x16x4f32 a[0:3], v18, v12, a[0:3]
	s_movk_i32 s4, 0x7f
	v_cmp_gt_i16_sdwa s[6:7], v13, s4 src0_sel:BYTE_0 src1_sel:DWORD
	s_mov_b64 s[4:5], 0
                                        ; implicit-def: $sgpr10
	s_and_saveexec_b64 s[8:9], s[6:7]
	s_xor_b64 s[6:7], exec, s[8:9]
	s_cbranch_execnz .LBB11_3873
; %bb.1825:
	s_or_saveexec_b64 s[6:7], s[6:7]
	v_mov_b32_e32 v8, s10
	s_xor_b64 exec, exec, s[6:7]
	s_cbranch_execnz .LBB11_3876
.LBB11_1826:
	s_or_b64 exec, exec, s[6:7]
	s_and_saveexec_b64 s[6:7], s[4:5]
	s_cbranch_execz .LBB11_1828
.LBB11_1827:
	v_and_b32_e32 v8, 7, v13
	v_ffbh_u32_e32 v18, v8
	v_min_u32_e32 v18, 32, v18
	v_lshrrev_b16_e32 v12, 3, v13
	v_subrev_u32_e32 v19, 28, v18
	v_and_b32_e32 v12, 15, v12
	v_lshlrev_b32_e32 v19, v19, v13
	v_sub_u32_e32 v18, 29, v18
	v_and_b32_e32 v19, 7, v19
	v_cmp_eq_u16_e32 vcc, 0, v12
	v_cndmask_b32_e32 v8, v8, v19, vcc
	v_cndmask_b32_e32 v12, v12, v18, vcc
	v_lshlrev_b32_e32 v18, 24, v13
	v_mov_b32_e32 v19, 0x3b800000
	v_lshlrev_b32_e32 v8, 20, v8
	v_and_b32_e32 v18, 0x80000000, v18
	v_lshl_add_u32 v12, v12, 23, v19
	v_or3_b32 v8, v18, v12, v8
.LBB11_1828:
	s_or_b64 exec, exec, s[6:7]
	s_movk_i32 s4, 0x7f
	v_cmp_gt_i16_sdwa s[6:7], v9, s4 src0_sel:BYTE_0 src1_sel:DWORD
	s_mov_b64 s[4:5], 0
                                        ; implicit-def: $sgpr10
	s_and_saveexec_b64 s[8:9], s[6:7]
	s_xor_b64 s[6:7], exec, s[8:9]
	s_cbranch_execnz .LBB11_3877
; %bb.1829:
	s_or_saveexec_b64 s[6:7], s[6:7]
	v_mov_b32_e32 v12, s10
	s_xor_b64 exec, exec, s[6:7]
	s_cbranch_execnz .LBB11_3880
.LBB11_1830:
	s_or_b64 exec, exec, s[6:7]
	s_and_saveexec_b64 s[6:7], s[4:5]
	s_cbranch_execz .LBB11_1832
.LBB11_1831:
	v_and_b32_e32 v12, 7, v9
	v_ffbh_u32_e32 v19, v12
	v_min_u32_e32 v19, 32, v19
	v_lshrrev_b16_e32 v18, 3, v9
	v_subrev_u32_e32 v20, 28, v19
	v_and_b32_e32 v18, 15, v18
	v_lshlrev_b32_e32 v20, v20, v9
	v_sub_u32_e32 v19, 29, v19
	v_and_b32_e32 v20, 7, v20
	v_cmp_eq_u16_e32 vcc, 0, v18
	v_cndmask_b32_e32 v12, v12, v20, vcc
	v_cndmask_b32_e32 v18, v18, v19, vcc
	v_lshlrev_b32_e32 v19, 24, v9
	v_mov_b32_e32 v20, 0x3b800000
	v_lshlrev_b32_e32 v12, 20, v12
	v_and_b32_e32 v19, 0x80000000, v19
	v_lshl_add_u32 v18, v18, 23, v20
	v_or3_b32 v12, v19, v18, v12
.LBB11_1832:
	s_or_b64 exec, exec, s[6:7]
	s_nop 0
	v_mfma_f32_16x16x4f32 a[0:3], v8, v12, a[0:3]
	v_lshrrev_b32_e32 v12, 8, v13
	s_movk_i32 s4, 0x7f
	v_cmp_gt_i16_sdwa s[6:7], v12, s4 src0_sel:BYTE_0 src1_sel:DWORD
	s_mov_b64 s[4:5], 0
                                        ; implicit-def: $sgpr10
	s_and_saveexec_b64 s[8:9], s[6:7]
	s_xor_b64 s[6:7], exec, s[8:9]
	s_cbranch_execnz .LBB11_3881
; %bb.1833:
	s_or_saveexec_b64 s[6:7], s[6:7]
	v_mov_b32_e32 v8, s10
	s_xor_b64 exec, exec, s[6:7]
	s_cbranch_execnz .LBB11_3884
.LBB11_1834:
	s_or_b64 exec, exec, s[6:7]
	s_and_saveexec_b64 s[6:7], s[4:5]
	s_cbranch_execz .LBB11_1836
.LBB11_1835:
	v_bfe_u32 v8, v13, 8, 3
	v_ffbh_u32_e32 v19, v8
	v_min_u32_e32 v19, 32, v19
	v_lshrrev_b16_e32 v18, 3, v12
	v_subrev_u32_e32 v20, 28, v19
	v_and_b32_e32 v18, 15, v18
	v_lshlrev_b32_e32 v12, v20, v12
	v_sub_u32_e32 v19, 29, v19
	v_and_b32_e32 v12, 7, v12
	v_cmp_eq_u16_e32 vcc, 0, v18
	v_cndmask_b32_e32 v8, v8, v12, vcc
	v_cndmask_b32_e32 v12, v18, v19, vcc
	v_lshlrev_b32_e32 v18, 16, v13
	v_mov_b32_e32 v19, 0x3b800000
	v_lshlrev_b32_e32 v8, 20, v8
	v_and_b32_e32 v18, 0x80000000, v18
	v_lshl_add_u32 v12, v12, 23, v19
	v_or3_b32 v8, v18, v12, v8
.LBB11_1836:
	s_or_b64 exec, exec, s[6:7]
	v_lshrrev_b32_e32 v12, 8, v9
	s_movk_i32 s4, 0x7f
	v_cmp_gt_i16_sdwa s[6:7], v12, s4 src0_sel:BYTE_0 src1_sel:DWORD
	s_mov_b64 s[4:5], 0
                                        ; implicit-def: $sgpr10
	s_and_saveexec_b64 s[8:9], s[6:7]
	s_xor_b64 s[6:7], exec, s[8:9]
	s_cbranch_execnz .LBB11_3885
; %bb.1837:
	s_or_saveexec_b64 s[6:7], s[6:7]
	v_mov_b32_e32 v18, s10
	s_xor_b64 exec, exec, s[6:7]
	s_cbranch_execnz .LBB11_3888
.LBB11_1838:
	s_or_b64 exec, exec, s[6:7]
	s_and_saveexec_b64 s[6:7], s[4:5]
	s_cbranch_execz .LBB11_1840
.LBB11_1839:
	v_bfe_u32 v18, v9, 8, 3
	v_ffbh_u32_e32 v20, v18
	v_min_u32_e32 v20, 32, v20
	v_lshrrev_b16_e32 v19, 3, v12
	v_subrev_u32_e32 v21, 28, v20
	v_and_b32_e32 v19, 15, v19
	v_lshlrev_b32_e32 v12, v21, v12
	v_sub_u32_e32 v20, 29, v20
	v_and_b32_e32 v12, 7, v12
	v_cmp_eq_u16_e32 vcc, 0, v19
	v_cndmask_b32_e32 v12, v18, v12, vcc
	v_cndmask_b32_e32 v18, v19, v20, vcc
	v_lshlrev_b32_e32 v19, 16, v9
	v_mov_b32_e32 v20, 0x3b800000
	v_lshlrev_b32_e32 v12, 20, v12
	v_and_b32_e32 v19, 0x80000000, v19
	v_lshl_add_u32 v18, v18, 23, v20
	v_or3_b32 v18, v19, v18, v12
.LBB11_1840:
	s_or_b64 exec, exec, s[6:7]
	s_nop 0
	v_mfma_f32_16x16x4f32 a[0:3], v8, v18, a[0:3]
	s_movk_i32 s4, 0xff
	v_and_b32_sdwa v12, v13, s4 dst_sel:DWORD dst_unused:UNUSED_PAD src0_sel:WORD_1 src1_sel:DWORD
	s_movk_i32 s4, 0x7f
	v_cmp_lt_i16_e32 vcc, s4, v12
	s_mov_b64 s[4:5], 0
                                        ; implicit-def: $sgpr10
	s_and_saveexec_b64 s[6:7], vcc
	s_xor_b64 s[6:7], exec, s[6:7]
	s_cbranch_execnz .LBB11_3889
; %bb.1841:
	s_or_saveexec_b64 s[6:7], s[6:7]
	v_mov_b32_e32 v8, s10
	s_xor_b64 exec, exec, s[6:7]
	s_cbranch_execnz .LBB11_3892
.LBB11_1842:
	s_or_b64 exec, exec, s[6:7]
	s_and_saveexec_b64 s[6:7], s[4:5]
	s_cbranch_execz .LBB11_1844
.LBB11_1843:
	v_bfe_u32 v8, v13, 16, 3
	v_ffbh_u32_e32 v19, v8
	v_min_u32_e32 v19, 32, v19
	v_lshrrev_b32_e32 v12, 19, v13
	v_subrev_u32_e32 v20, 28, v19
	v_and_b32_e32 v12, 15, v12
	v_lshlrev_b32_sdwa v20, v20, v13 dst_sel:DWORD dst_unused:UNUSED_PAD src0_sel:DWORD src1_sel:WORD_1
	v_bfe_u32 v18, v13, 19, 4
	v_sub_u32_e32 v19, 29, v19
	v_and_b32_e32 v20, 7, v20
	v_cmp_eq_u16_e32 vcc, 0, v12
	v_cndmask_b32_e32 v8, v8, v20, vcc
	v_cndmask_b32_e32 v12, v18, v19, vcc
	v_lshlrev_b32_e32 v18, 8, v13
	v_mov_b32_e32 v19, 0x3b800000
	v_lshlrev_b32_e32 v8, 20, v8
	v_and_b32_e32 v18, 0x80000000, v18
	v_lshl_add_u32 v12, v12, 23, v19
	v_or3_b32 v8, v18, v12, v8
.LBB11_1844:
	s_or_b64 exec, exec, s[6:7]
	s_movk_i32 s4, 0xff
	v_and_b32_sdwa v12, v9, s4 dst_sel:DWORD dst_unused:UNUSED_PAD src0_sel:WORD_1 src1_sel:DWORD
	s_movk_i32 s4, 0x7f
	v_cmp_lt_i16_e32 vcc, s4, v12
	s_mov_b64 s[4:5], 0
                                        ; implicit-def: $sgpr10
	s_and_saveexec_b64 s[6:7], vcc
	s_xor_b64 s[6:7], exec, s[6:7]
	s_cbranch_execnz .LBB11_3893
; %bb.1845:
	s_or_saveexec_b64 s[6:7], s[6:7]
	v_mov_b32_e32 v18, s10
	s_xor_b64 exec, exec, s[6:7]
	s_cbranch_execnz .LBB11_3896
.LBB11_1846:
	s_or_b64 exec, exec, s[6:7]
	s_and_saveexec_b64 s[6:7], s[4:5]
	s_cbranch_execz .LBB11_1848
.LBB11_1847:
	v_bfe_u32 v12, v9, 16, 3
	v_ffbh_u32_e32 v20, v12
	v_min_u32_e32 v20, 32, v20
	v_lshrrev_b32_e32 v18, 19, v9
	v_subrev_u32_e32 v21, 28, v20
	v_and_b32_e32 v18, 15, v18
	v_lshlrev_b32_sdwa v21, v21, v9 dst_sel:DWORD dst_unused:UNUSED_PAD src0_sel:DWORD src1_sel:WORD_1
	v_bfe_u32 v19, v9, 19, 4
	v_sub_u32_e32 v20, 29, v20
	v_and_b32_e32 v21, 7, v21
	v_cmp_eq_u16_e32 vcc, 0, v18
	v_cndmask_b32_e32 v12, v12, v21, vcc
	v_cndmask_b32_e32 v18, v19, v20, vcc
	v_lshlrev_b32_e32 v19, 8, v9
	v_mov_b32_e32 v20, 0x3b800000
	v_lshlrev_b32_e32 v12, 20, v12
	v_and_b32_e32 v19, 0x80000000, v19
	v_lshl_add_u32 v18, v18, 23, v20
	v_or3_b32 v18, v19, v18, v12
.LBB11_1848:
	s_or_b64 exec, exec, s[6:7]
	s_nop 0
	v_mfma_f32_16x16x4f32 a[0:3], v8, v18, a[0:3]
	s_movk_i32 s4, 0x7f
	v_cmp_gt_i16_sdwa s[6:7], v13, s4 src0_sel:BYTE_3 src1_sel:DWORD
	s_mov_b64 s[4:5], 0
                                        ; implicit-def: $sgpr10
	s_and_saveexec_b64 s[8:9], s[6:7]
	s_xor_b64 s[6:7], exec, s[8:9]
	s_cbranch_execnz .LBB11_3897
; %bb.1849:
	s_or_saveexec_b64 s[6:7], s[6:7]
	v_mov_b32_e32 v8, s10
	s_xor_b64 exec, exec, s[6:7]
	s_cbranch_execnz .LBB11_3900
.LBB11_1850:
	s_or_b64 exec, exec, s[6:7]
	s_and_saveexec_b64 s[6:7], s[4:5]
	s_cbranch_execz .LBB11_1852
.LBB11_1851:
	v_bfe_u32 v8, v13, 24, 3
	v_ffbh_u32_e32 v20, v8
	v_min_u32_e32 v20, 32, v20
	v_lshrrev_b32_e32 v18, 27, v13
	v_subrev_u32_e32 v21, 28, v20
	v_and_b32_e32 v12, 0x80000000, v13
	v_and_b32_e32 v18, 15, v18
	v_bfe_u32 v19, v13, 27, 4
	v_lshlrev_b32_sdwa v13, v21, v13 dst_sel:DWORD dst_unused:UNUSED_PAD src0_sel:DWORD src1_sel:BYTE_3
	v_sub_u32_e32 v20, 29, v20
	v_and_b32_e32 v13, 7, v13
	v_cmp_eq_u16_e32 vcc, 0, v18
	v_cndmask_b32_e32 v8, v8, v13, vcc
	v_cndmask_b32_e32 v13, v19, v20, vcc
	v_mov_b32_e32 v18, 0x3b800000
	v_lshlrev_b32_e32 v8, 20, v8
	v_lshl_add_u32 v13, v13, 23, v18
	v_or3_b32 v8, v12, v13, v8
.LBB11_1852:
	s_or_b64 exec, exec, s[6:7]
	s_movk_i32 s4, 0x7f
	v_cmp_gt_i16_sdwa s[6:7], v9, s4 src0_sel:BYTE_3 src1_sel:DWORD
	s_mov_b64 s[4:5], 0
                                        ; implicit-def: $sgpr10
	s_and_saveexec_b64 s[8:9], s[6:7]
	s_xor_b64 s[6:7], exec, s[8:9]
	s_cbranch_execnz .LBB11_3901
; %bb.1853:
	s_or_saveexec_b64 s[6:7], s[6:7]
	v_mov_b32_e32 v12, s10
	s_xor_b64 exec, exec, s[6:7]
	s_cbranch_execnz .LBB11_3904
.LBB11_1854:
	s_or_b64 exec, exec, s[6:7]
	s_and_saveexec_b64 s[6:7], s[4:5]
	s_cbranch_execz .LBB11_1856
.LBB11_1855:
	v_bfe_u32 v12, v9, 24, 3
	v_ffbh_u32_e32 v20, v12
	v_min_u32_e32 v20, 32, v20
	v_lshrrev_b32_e32 v18, 27, v9
	v_subrev_u32_e32 v21, 28, v20
	v_and_b32_e32 v13, 0x80000000, v9
	v_and_b32_e32 v18, 15, v18
	v_bfe_u32 v19, v9, 27, 4
	v_lshlrev_b32_sdwa v9, v21, v9 dst_sel:DWORD dst_unused:UNUSED_PAD src0_sel:DWORD src1_sel:BYTE_3
	v_sub_u32_e32 v20, 29, v20
	v_and_b32_e32 v9, 7, v9
	v_cmp_eq_u16_e32 vcc, 0, v18
	v_cndmask_b32_e32 v9, v12, v9, vcc
	v_cndmask_b32_e32 v12, v19, v20, vcc
	v_mov_b32_e32 v18, 0x3b800000
	v_lshlrev_b32_e32 v9, 20, v9
	v_lshl_add_u32 v12, v12, 23, v18
	v_or3_b32 v12, v13, v12, v9
.LBB11_1856:
	s_or_b64 exec, exec, s[6:7]
	s_nop 0
	v_mfma_f32_16x16x4f32 a[0:3], v8, v12, a[0:3]
	s_movk_i32 s4, 0x7f
	v_cmp_gt_i16_sdwa s[6:7], v14, s4 src0_sel:BYTE_0 src1_sel:DWORD
	s_mov_b64 s[4:5], 0
                                        ; implicit-def: $sgpr10
	s_and_saveexec_b64 s[8:9], s[6:7]
	s_xor_b64 s[6:7], exec, s[8:9]
	s_cbranch_execnz .LBB11_3905
; %bb.1857:
	s_or_saveexec_b64 s[6:7], s[6:7]
	v_mov_b32_e32 v8, s10
	s_xor_b64 exec, exec, s[6:7]
	s_cbranch_execnz .LBB11_3908
.LBB11_1858:
	s_or_b64 exec, exec, s[6:7]
	s_and_saveexec_b64 s[6:7], s[4:5]
	s_cbranch_execz .LBB11_1860
.LBB11_1859:
	v_and_b32_e32 v8, 7, v14
	v_ffbh_u32_e32 v12, v8
	v_min_u32_e32 v12, 32, v12
	v_lshrrev_b16_e32 v9, 3, v14
	v_subrev_u32_e32 v13, 28, v12
	v_and_b32_e32 v9, 15, v9
	v_lshlrev_b32_e32 v13, v13, v14
	v_sub_u32_e32 v12, 29, v12
	v_and_b32_e32 v13, 7, v13
	v_cmp_eq_u16_e32 vcc, 0, v9
	v_cndmask_b32_e32 v8, v8, v13, vcc
	v_cndmask_b32_e32 v9, v9, v12, vcc
	v_lshlrev_b32_e32 v12, 24, v14
	v_mov_b32_e32 v13, 0x3b800000
	v_lshlrev_b32_e32 v8, 20, v8
	v_and_b32_e32 v12, 0x80000000, v12
	v_lshl_add_u32 v9, v9, 23, v13
	v_or3_b32 v8, v12, v9, v8
.LBB11_1860:
	s_or_b64 exec, exec, s[6:7]
	s_movk_i32 s4, 0x7f
	v_cmp_gt_i16_sdwa s[6:7], v10, s4 src0_sel:BYTE_0 src1_sel:DWORD
	s_mov_b64 s[4:5], 0
                                        ; implicit-def: $sgpr10
	s_and_saveexec_b64 s[8:9], s[6:7]
	s_xor_b64 s[6:7], exec, s[8:9]
	s_cbranch_execnz .LBB11_3909
; %bb.1861:
	s_or_saveexec_b64 s[6:7], s[6:7]
	v_mov_b32_e32 v9, s10
	s_xor_b64 exec, exec, s[6:7]
	s_cbranch_execnz .LBB11_3912
.LBB11_1862:
	s_or_b64 exec, exec, s[6:7]
	s_and_saveexec_b64 s[6:7], s[4:5]
	s_cbranch_execz .LBB11_1864
.LBB11_1863:
	v_and_b32_e32 v9, 7, v10
	v_ffbh_u32_e32 v13, v9
	v_min_u32_e32 v13, 32, v13
	v_lshrrev_b16_e32 v12, 3, v10
	v_subrev_u32_e32 v18, 28, v13
	v_and_b32_e32 v12, 15, v12
	v_lshlrev_b32_e32 v18, v18, v10
	v_sub_u32_e32 v13, 29, v13
	v_and_b32_e32 v18, 7, v18
	v_cmp_eq_u16_e32 vcc, 0, v12
	v_cndmask_b32_e32 v9, v9, v18, vcc
	v_cndmask_b32_e32 v12, v12, v13, vcc
	v_lshlrev_b32_e32 v13, 24, v10
	v_mov_b32_e32 v18, 0x3b800000
	v_lshlrev_b32_e32 v9, 20, v9
	v_and_b32_e32 v13, 0x80000000, v13
	v_lshl_add_u32 v12, v12, 23, v18
	v_or3_b32 v9, v13, v12, v9
.LBB11_1864:
	s_or_b64 exec, exec, s[6:7]
	s_nop 0
	v_mfma_f32_16x16x4f32 a[0:3], v8, v9, a[0:3]
	v_lshrrev_b32_e32 v9, 8, v14
	s_movk_i32 s4, 0x7f
	v_cmp_gt_i16_sdwa s[6:7], v9, s4 src0_sel:BYTE_0 src1_sel:DWORD
	s_mov_b64 s[4:5], 0
                                        ; implicit-def: $sgpr10
	s_and_saveexec_b64 s[8:9], s[6:7]
	s_xor_b64 s[6:7], exec, s[8:9]
	s_cbranch_execnz .LBB11_3913
; %bb.1865:
	s_or_saveexec_b64 s[6:7], s[6:7]
	v_mov_b32_e32 v8, s10
	s_xor_b64 exec, exec, s[6:7]
	s_cbranch_execnz .LBB11_3916
.LBB11_1866:
	s_or_b64 exec, exec, s[6:7]
	s_and_saveexec_b64 s[6:7], s[4:5]
	s_cbranch_execz .LBB11_1868
.LBB11_1867:
	v_bfe_u32 v8, v14, 8, 3
	v_ffbh_u32_e32 v13, v8
	v_min_u32_e32 v13, 32, v13
	v_lshrrev_b16_e32 v12, 3, v9
	v_subrev_u32_e32 v18, 28, v13
	v_and_b32_e32 v12, 15, v12
	v_lshlrev_b32_e32 v9, v18, v9
	v_sub_u32_e32 v13, 29, v13
	v_and_b32_e32 v9, 7, v9
	v_cmp_eq_u16_e32 vcc, 0, v12
	v_cndmask_b32_e32 v8, v8, v9, vcc
	v_cndmask_b32_e32 v9, v12, v13, vcc
	v_lshlrev_b32_e32 v12, 16, v14
	v_mov_b32_e32 v13, 0x3b800000
	v_lshlrev_b32_e32 v8, 20, v8
	v_and_b32_e32 v12, 0x80000000, v12
	v_lshl_add_u32 v9, v9, 23, v13
	v_or3_b32 v8, v12, v9, v8
.LBB11_1868:
	s_or_b64 exec, exec, s[6:7]
	v_lshrrev_b32_e32 v9, 8, v10
	s_movk_i32 s4, 0x7f
	v_cmp_gt_i16_sdwa s[6:7], v9, s4 src0_sel:BYTE_0 src1_sel:DWORD
	s_mov_b64 s[4:5], 0
                                        ; implicit-def: $sgpr10
	s_and_saveexec_b64 s[8:9], s[6:7]
	s_xor_b64 s[6:7], exec, s[8:9]
	s_cbranch_execnz .LBB11_3917
; %bb.1869:
	s_or_saveexec_b64 s[6:7], s[6:7]
	v_mov_b32_e32 v12, s10
	s_xor_b64 exec, exec, s[6:7]
	s_cbranch_execnz .LBB11_3920
.LBB11_1870:
	s_or_b64 exec, exec, s[6:7]
	s_and_saveexec_b64 s[6:7], s[4:5]
	s_cbranch_execz .LBB11_1872
.LBB11_1871:
	v_bfe_u32 v12, v10, 8, 3
	v_ffbh_u32_e32 v18, v12
	v_min_u32_e32 v18, 32, v18
	v_lshrrev_b16_e32 v13, 3, v9
	v_subrev_u32_e32 v19, 28, v18
	v_and_b32_e32 v13, 15, v13
	v_lshlrev_b32_e32 v9, v19, v9
	v_sub_u32_e32 v18, 29, v18
	v_and_b32_e32 v9, 7, v9
	v_cmp_eq_u16_e32 vcc, 0, v13
	v_cndmask_b32_e32 v9, v12, v9, vcc
	v_cndmask_b32_e32 v12, v13, v18, vcc
	v_lshlrev_b32_e32 v13, 16, v10
	v_mov_b32_e32 v18, 0x3b800000
	v_lshlrev_b32_e32 v9, 20, v9
	v_and_b32_e32 v13, 0x80000000, v13
	v_lshl_add_u32 v12, v12, 23, v18
	v_or3_b32 v12, v13, v12, v9
.LBB11_1872:
	s_or_b64 exec, exec, s[6:7]
	s_nop 0
	v_mfma_f32_16x16x4f32 a[0:3], v8, v12, a[0:3]
	s_movk_i32 s4, 0xff
	v_and_b32_sdwa v9, v14, s4 dst_sel:DWORD dst_unused:UNUSED_PAD src0_sel:WORD_1 src1_sel:DWORD
	s_movk_i32 s4, 0x7f
	v_cmp_lt_i16_e32 vcc, s4, v9
	s_mov_b64 s[4:5], 0
                                        ; implicit-def: $sgpr10
	s_and_saveexec_b64 s[6:7], vcc
	s_xor_b64 s[6:7], exec, s[6:7]
	s_cbranch_execnz .LBB11_3921
; %bb.1873:
	s_or_saveexec_b64 s[6:7], s[6:7]
	v_mov_b32_e32 v8, s10
	s_xor_b64 exec, exec, s[6:7]
	s_cbranch_execnz .LBB11_3924
.LBB11_1874:
	s_or_b64 exec, exec, s[6:7]
	s_and_saveexec_b64 s[6:7], s[4:5]
	s_cbranch_execz .LBB11_1876
.LBB11_1875:
	v_bfe_u32 v8, v14, 16, 3
	v_ffbh_u32_e32 v13, v8
	v_min_u32_e32 v13, 32, v13
	v_lshrrev_b32_e32 v9, 19, v14
	v_subrev_u32_e32 v18, 28, v13
	v_and_b32_e32 v9, 15, v9
	v_lshlrev_b32_sdwa v18, v18, v14 dst_sel:DWORD dst_unused:UNUSED_PAD src0_sel:DWORD src1_sel:WORD_1
	v_bfe_u32 v12, v14, 19, 4
	v_sub_u32_e32 v13, 29, v13
	v_and_b32_e32 v18, 7, v18
	v_cmp_eq_u16_e32 vcc, 0, v9
	v_cndmask_b32_e32 v8, v8, v18, vcc
	v_cndmask_b32_e32 v9, v12, v13, vcc
	v_lshlrev_b32_e32 v12, 8, v14
	v_mov_b32_e32 v13, 0x3b800000
	v_lshlrev_b32_e32 v8, 20, v8
	v_and_b32_e32 v12, 0x80000000, v12
	v_lshl_add_u32 v9, v9, 23, v13
	v_or3_b32 v8, v12, v9, v8
.LBB11_1876:
	s_or_b64 exec, exec, s[6:7]
	s_movk_i32 s4, 0xff
	v_and_b32_sdwa v9, v10, s4 dst_sel:DWORD dst_unused:UNUSED_PAD src0_sel:WORD_1 src1_sel:DWORD
	s_movk_i32 s4, 0x7f
	v_cmp_lt_i16_e32 vcc, s4, v9
	s_mov_b64 s[4:5], 0
                                        ; implicit-def: $sgpr10
	s_and_saveexec_b64 s[6:7], vcc
	s_xor_b64 s[6:7], exec, s[6:7]
	s_cbranch_execnz .LBB11_3925
; %bb.1877:
	s_or_saveexec_b64 s[6:7], s[6:7]
	v_mov_b32_e32 v12, s10
	s_xor_b64 exec, exec, s[6:7]
	s_cbranch_execnz .LBB11_3928
.LBB11_1878:
	s_or_b64 exec, exec, s[6:7]
	s_and_saveexec_b64 s[6:7], s[4:5]
	s_cbranch_execz .LBB11_1880
.LBB11_1879:
	v_bfe_u32 v9, v10, 16, 3
	v_ffbh_u32_e32 v18, v9
	v_min_u32_e32 v18, 32, v18
	v_lshrrev_b32_e32 v12, 19, v10
	v_subrev_u32_e32 v19, 28, v18
	v_and_b32_e32 v12, 15, v12
	v_lshlrev_b32_sdwa v19, v19, v10 dst_sel:DWORD dst_unused:UNUSED_PAD src0_sel:DWORD src1_sel:WORD_1
	v_bfe_u32 v13, v10, 19, 4
	v_sub_u32_e32 v18, 29, v18
	v_and_b32_e32 v19, 7, v19
	v_cmp_eq_u16_e32 vcc, 0, v12
	v_cndmask_b32_e32 v9, v9, v19, vcc
	v_cndmask_b32_e32 v12, v13, v18, vcc
	v_lshlrev_b32_e32 v13, 8, v10
	v_mov_b32_e32 v18, 0x3b800000
	v_lshlrev_b32_e32 v9, 20, v9
	v_and_b32_e32 v13, 0x80000000, v13
	v_lshl_add_u32 v12, v12, 23, v18
	v_or3_b32 v12, v13, v12, v9
.LBB11_1880:
	s_or_b64 exec, exec, s[6:7]
	s_nop 0
	v_mfma_f32_16x16x4f32 a[0:3], v8, v12, a[0:3]
	s_movk_i32 s4, 0x7f
	v_cmp_gt_i16_sdwa s[6:7], v14, s4 src0_sel:BYTE_3 src1_sel:DWORD
	s_mov_b64 s[4:5], 0
                                        ; implicit-def: $sgpr10
	s_and_saveexec_b64 s[8:9], s[6:7]
	s_xor_b64 s[6:7], exec, s[8:9]
	s_cbranch_execnz .LBB11_3929
; %bb.1881:
	s_or_saveexec_b64 s[6:7], s[6:7]
	v_mov_b32_e32 v8, s10
	s_xor_b64 exec, exec, s[6:7]
	s_cbranch_execnz .LBB11_3932
.LBB11_1882:
	s_or_b64 exec, exec, s[6:7]
	s_and_saveexec_b64 s[6:7], s[4:5]
	s_cbranch_execz .LBB11_1884
.LBB11_1883:
	v_bfe_u32 v8, v14, 24, 3
	v_ffbh_u32_e32 v18, v8
	v_min_u32_e32 v18, 32, v18
	v_lshrrev_b32_e32 v12, 27, v14
	v_subrev_u32_e32 v19, 28, v18
	v_and_b32_e32 v9, 0x80000000, v14
	v_and_b32_e32 v12, 15, v12
	v_bfe_u32 v13, v14, 27, 4
	v_lshlrev_b32_sdwa v14, v19, v14 dst_sel:DWORD dst_unused:UNUSED_PAD src0_sel:DWORD src1_sel:BYTE_3
	v_sub_u32_e32 v18, 29, v18
	v_and_b32_e32 v14, 7, v14
	v_cmp_eq_u16_e32 vcc, 0, v12
	v_cndmask_b32_e32 v8, v8, v14, vcc
	v_cndmask_b32_e32 v12, v13, v18, vcc
	v_mov_b32_e32 v13, 0x3b800000
	v_lshlrev_b32_e32 v8, 20, v8
	v_lshl_add_u32 v12, v12, 23, v13
	v_or3_b32 v8, v9, v12, v8
.LBB11_1884:
	s_or_b64 exec, exec, s[6:7]
	s_movk_i32 s4, 0x7f
	v_cmp_gt_i16_sdwa s[6:7], v10, s4 src0_sel:BYTE_3 src1_sel:DWORD
	s_mov_b64 s[4:5], 0
                                        ; implicit-def: $sgpr10
	s_and_saveexec_b64 s[8:9], s[6:7]
	s_xor_b64 s[6:7], exec, s[8:9]
	s_cbranch_execnz .LBB11_3933
; %bb.1885:
	s_or_saveexec_b64 s[6:7], s[6:7]
	v_mov_b32_e32 v9, s10
	s_xor_b64 exec, exec, s[6:7]
	s_cbranch_execnz .LBB11_3936
.LBB11_1886:
	s_or_b64 exec, exec, s[6:7]
	s_and_saveexec_b64 s[6:7], s[4:5]
	s_cbranch_execz .LBB11_1888
.LBB11_1887:
	v_bfe_u32 v9, v10, 24, 3
	v_ffbh_u32_e32 v18, v9
	v_min_u32_e32 v18, 32, v18
	v_lshrrev_b32_e32 v13, 27, v10
	v_subrev_u32_e32 v19, 28, v18
	v_and_b32_e32 v12, 0x80000000, v10
	v_and_b32_e32 v13, 15, v13
	v_bfe_u32 v14, v10, 27, 4
	v_lshlrev_b32_sdwa v10, v19, v10 dst_sel:DWORD dst_unused:UNUSED_PAD src0_sel:DWORD src1_sel:BYTE_3
	v_sub_u32_e32 v18, 29, v18
	v_and_b32_e32 v10, 7, v10
	v_cmp_eq_u16_e32 vcc, 0, v13
	v_cndmask_b32_e32 v9, v9, v10, vcc
	v_cndmask_b32_e32 v10, v14, v18, vcc
	v_mov_b32_e32 v13, 0x3b800000
	v_lshlrev_b32_e32 v9, 20, v9
	v_lshl_add_u32 v10, v10, 23, v13
	v_or3_b32 v9, v12, v10, v9
.LBB11_1888:
	s_or_b64 exec, exec, s[6:7]
	s_nop 0
	v_mfma_f32_16x16x4f32 a[0:3], v8, v9, a[0:3]
	s_movk_i32 s4, 0x7f
	v_cmp_gt_i16_sdwa s[6:7], v15, s4 src0_sel:BYTE_0 src1_sel:DWORD
	s_mov_b64 s[4:5], 0
                                        ; implicit-def: $sgpr10
	s_and_saveexec_b64 s[8:9], s[6:7]
	s_xor_b64 s[6:7], exec, s[8:9]
	s_cbranch_execnz .LBB11_3937
; %bb.1889:
	s_or_saveexec_b64 s[6:7], s[6:7]
	v_mov_b32_e32 v8, s10
	s_xor_b64 exec, exec, s[6:7]
	s_cbranch_execnz .LBB11_3940
.LBB11_1890:
	s_or_b64 exec, exec, s[6:7]
	s_and_saveexec_b64 s[6:7], s[4:5]
	s_cbranch_execz .LBB11_1892
.LBB11_1891:
	v_and_b32_e32 v8, 7, v15
	v_ffbh_u32_e32 v10, v8
	v_min_u32_e32 v10, 32, v10
	v_lshrrev_b16_e32 v9, 3, v15
	v_subrev_u32_e32 v12, 28, v10
	v_and_b32_e32 v9, 15, v9
	v_lshlrev_b32_e32 v12, v12, v15
	v_sub_u32_e32 v10, 29, v10
	v_and_b32_e32 v12, 7, v12
	v_cmp_eq_u16_e32 vcc, 0, v9
	v_cndmask_b32_e32 v8, v8, v12, vcc
	v_cndmask_b32_e32 v9, v9, v10, vcc
	v_lshlrev_b32_e32 v10, 24, v15
	v_mov_b32_e32 v12, 0x3b800000
	v_lshlrev_b32_e32 v8, 20, v8
	v_and_b32_e32 v10, 0x80000000, v10
	v_lshl_add_u32 v9, v9, 23, v12
	v_or3_b32 v8, v10, v9, v8
.LBB11_1892:
	s_or_b64 exec, exec, s[6:7]
	s_movk_i32 s4, 0x7f
	v_cmp_gt_i16_sdwa s[6:7], v11, s4 src0_sel:BYTE_0 src1_sel:DWORD
	s_mov_b64 s[4:5], 0
                                        ; implicit-def: $sgpr10
	s_and_saveexec_b64 s[8:9], s[6:7]
	s_xor_b64 s[6:7], exec, s[8:9]
	s_cbranch_execnz .LBB11_3941
; %bb.1893:
	s_or_saveexec_b64 s[6:7], s[6:7]
	v_mov_b32_e32 v9, s10
	s_xor_b64 exec, exec, s[6:7]
	s_cbranch_execnz .LBB11_3944
.LBB11_1894:
	s_or_b64 exec, exec, s[6:7]
	s_and_saveexec_b64 s[6:7], s[4:5]
	s_cbranch_execz .LBB11_1896
.LBB11_1895:
	v_and_b32_e32 v9, 7, v11
	v_ffbh_u32_e32 v12, v9
	v_min_u32_e32 v12, 32, v12
	v_lshrrev_b16_e32 v10, 3, v11
	v_subrev_u32_e32 v13, 28, v12
	v_and_b32_e32 v10, 15, v10
	v_lshlrev_b32_e32 v13, v13, v11
	v_sub_u32_e32 v12, 29, v12
	v_and_b32_e32 v13, 7, v13
	v_cmp_eq_u16_e32 vcc, 0, v10
	v_cndmask_b32_e32 v9, v9, v13, vcc
	v_cndmask_b32_e32 v10, v10, v12, vcc
	v_lshlrev_b32_e32 v12, 24, v11
	v_mov_b32_e32 v13, 0x3b800000
	v_lshlrev_b32_e32 v9, 20, v9
	v_and_b32_e32 v12, 0x80000000, v12
	v_lshl_add_u32 v10, v10, 23, v13
	v_or3_b32 v9, v12, v10, v9
.LBB11_1896:
	s_or_b64 exec, exec, s[6:7]
	s_nop 0
	v_mfma_f32_16x16x4f32 a[0:3], v8, v9, a[0:3]
	v_lshrrev_b32_e32 v9, 8, v15
	s_movk_i32 s4, 0x7f
	v_cmp_gt_i16_sdwa s[6:7], v9, s4 src0_sel:BYTE_0 src1_sel:DWORD
	s_mov_b64 s[4:5], 0
                                        ; implicit-def: $sgpr10
	s_and_saveexec_b64 s[8:9], s[6:7]
	s_xor_b64 s[6:7], exec, s[8:9]
	s_cbranch_execnz .LBB11_3945
; %bb.1897:
	s_or_saveexec_b64 s[6:7], s[6:7]
	v_mov_b32_e32 v8, s10
	s_xor_b64 exec, exec, s[6:7]
	s_cbranch_execnz .LBB11_3948
.LBB11_1898:
	s_or_b64 exec, exec, s[6:7]
	s_and_saveexec_b64 s[6:7], s[4:5]
	s_cbranch_execz .LBB11_1900
.LBB11_1899:
	v_bfe_u32 v8, v15, 8, 3
	v_ffbh_u32_e32 v12, v8
	v_min_u32_e32 v12, 32, v12
	v_lshrrev_b16_e32 v10, 3, v9
	v_subrev_u32_e32 v13, 28, v12
	v_and_b32_e32 v10, 15, v10
	v_lshlrev_b32_e32 v9, v13, v9
	v_sub_u32_e32 v12, 29, v12
	v_and_b32_e32 v9, 7, v9
	v_cmp_eq_u16_e32 vcc, 0, v10
	v_cndmask_b32_e32 v8, v8, v9, vcc
	v_cndmask_b32_e32 v9, v10, v12, vcc
	v_lshlrev_b32_e32 v10, 16, v15
	v_mov_b32_e32 v12, 0x3b800000
	v_lshlrev_b32_e32 v8, 20, v8
	v_and_b32_e32 v10, 0x80000000, v10
	v_lshl_add_u32 v9, v9, 23, v12
	v_or3_b32 v8, v10, v9, v8
.LBB11_1900:
	s_or_b64 exec, exec, s[6:7]
	v_lshrrev_b32_e32 v9, 8, v11
	s_movk_i32 s4, 0x7f
	v_cmp_gt_i16_sdwa s[6:7], v9, s4 src0_sel:BYTE_0 src1_sel:DWORD
	s_mov_b64 s[4:5], 0
                                        ; implicit-def: $sgpr10
	s_and_saveexec_b64 s[8:9], s[6:7]
	s_xor_b64 s[6:7], exec, s[8:9]
	s_cbranch_execnz .LBB11_3949
; %bb.1901:
	s_or_saveexec_b64 s[6:7], s[6:7]
	v_mov_b32_e32 v10, s10
	s_xor_b64 exec, exec, s[6:7]
	s_cbranch_execnz .LBB11_3952
.LBB11_1902:
	s_or_b64 exec, exec, s[6:7]
	s_and_saveexec_b64 s[6:7], s[4:5]
	s_cbranch_execz .LBB11_1904
.LBB11_1903:
	v_bfe_u32 v10, v11, 8, 3
	v_ffbh_u32_e32 v13, v10
	v_min_u32_e32 v13, 32, v13
	v_lshrrev_b16_e32 v12, 3, v9
	v_subrev_u32_e32 v14, 28, v13
	v_and_b32_e32 v12, 15, v12
	v_lshlrev_b32_e32 v9, v14, v9
	v_sub_u32_e32 v13, 29, v13
	v_and_b32_e32 v9, 7, v9
	v_cmp_eq_u16_e32 vcc, 0, v12
	v_cndmask_b32_e32 v9, v10, v9, vcc
	v_cndmask_b32_e32 v10, v12, v13, vcc
	v_lshlrev_b32_e32 v12, 16, v11
	v_mov_b32_e32 v13, 0x3b800000
	v_lshlrev_b32_e32 v9, 20, v9
	v_and_b32_e32 v12, 0x80000000, v12
	v_lshl_add_u32 v10, v10, 23, v13
	v_or3_b32 v10, v12, v10, v9
.LBB11_1904:
	s_or_b64 exec, exec, s[6:7]
	s_nop 0
	v_mfma_f32_16x16x4f32 a[0:3], v8, v10, a[0:3]
	s_movk_i32 s4, 0xff
	v_and_b32_sdwa v9, v15, s4 dst_sel:DWORD dst_unused:UNUSED_PAD src0_sel:WORD_1 src1_sel:DWORD
	s_movk_i32 s4, 0x7f
	v_cmp_lt_i16_e32 vcc, s4, v9
	s_mov_b64 s[4:5], 0
                                        ; implicit-def: $sgpr10
	s_and_saveexec_b64 s[6:7], vcc
	s_xor_b64 s[6:7], exec, s[6:7]
	s_cbranch_execnz .LBB11_3953
; %bb.1905:
	s_or_saveexec_b64 s[6:7], s[6:7]
	v_mov_b32_e32 v8, s10
	s_xor_b64 exec, exec, s[6:7]
	s_cbranch_execnz .LBB11_3956
.LBB11_1906:
	s_or_b64 exec, exec, s[6:7]
	s_and_saveexec_b64 s[6:7], s[4:5]
	s_cbranch_execz .LBB11_1908
.LBB11_1907:
	v_bfe_u32 v8, v15, 16, 3
	v_ffbh_u32_e32 v12, v8
	v_min_u32_e32 v12, 32, v12
	v_lshrrev_b32_e32 v9, 19, v15
	v_subrev_u32_e32 v13, 28, v12
	v_and_b32_e32 v9, 15, v9
	v_lshlrev_b32_sdwa v13, v13, v15 dst_sel:DWORD dst_unused:UNUSED_PAD src0_sel:DWORD src1_sel:WORD_1
	v_bfe_u32 v10, v15, 19, 4
	v_sub_u32_e32 v12, 29, v12
	v_and_b32_e32 v13, 7, v13
	v_cmp_eq_u16_e32 vcc, 0, v9
	v_cndmask_b32_e32 v8, v8, v13, vcc
	v_cndmask_b32_e32 v9, v10, v12, vcc
	v_lshlrev_b32_e32 v10, 8, v15
	v_mov_b32_e32 v12, 0x3b800000
	v_lshlrev_b32_e32 v8, 20, v8
	v_and_b32_e32 v10, 0x80000000, v10
	v_lshl_add_u32 v9, v9, 23, v12
	v_or3_b32 v8, v10, v9, v8
.LBB11_1908:
	s_or_b64 exec, exec, s[6:7]
	s_movk_i32 s4, 0xff
	v_and_b32_sdwa v9, v11, s4 dst_sel:DWORD dst_unused:UNUSED_PAD src0_sel:WORD_1 src1_sel:DWORD
	s_movk_i32 s4, 0x7f
	v_cmp_lt_i16_e32 vcc, s4, v9
	s_mov_b64 s[4:5], 0
                                        ; implicit-def: $sgpr10
	s_and_saveexec_b64 s[6:7], vcc
	s_xor_b64 s[6:7], exec, s[6:7]
	s_cbranch_execnz .LBB11_3957
; %bb.1909:
	s_or_saveexec_b64 s[6:7], s[6:7]
	v_mov_b32_e32 v10, s10
	s_xor_b64 exec, exec, s[6:7]
	s_cbranch_execnz .LBB11_3960
.LBB11_1910:
	s_or_b64 exec, exec, s[6:7]
	s_and_saveexec_b64 s[6:7], s[4:5]
	s_cbranch_execz .LBB11_1912
.LBB11_1911:
	v_bfe_u32 v9, v11, 16, 3
	v_ffbh_u32_e32 v13, v9
	v_min_u32_e32 v13, 32, v13
	v_lshrrev_b32_e32 v10, 19, v11
	v_subrev_u32_e32 v14, 28, v13
	v_and_b32_e32 v10, 15, v10
	v_lshlrev_b32_sdwa v14, v14, v11 dst_sel:DWORD dst_unused:UNUSED_PAD src0_sel:DWORD src1_sel:WORD_1
	v_bfe_u32 v12, v11, 19, 4
	v_sub_u32_e32 v13, 29, v13
	v_and_b32_e32 v14, 7, v14
	v_cmp_eq_u16_e32 vcc, 0, v10
	v_cndmask_b32_e32 v9, v9, v14, vcc
	v_cndmask_b32_e32 v10, v12, v13, vcc
	v_lshlrev_b32_e32 v12, 8, v11
	v_mov_b32_e32 v13, 0x3b800000
	v_lshlrev_b32_e32 v9, 20, v9
	v_and_b32_e32 v12, 0x80000000, v12
	v_lshl_add_u32 v10, v10, 23, v13
	v_or3_b32 v10, v12, v10, v9
.LBB11_1912:
	s_or_b64 exec, exec, s[6:7]
	s_nop 0
	v_mfma_f32_16x16x4f32 a[0:3], v8, v10, a[0:3]
	s_movk_i32 s4, 0x7f
	v_cmp_gt_i16_sdwa s[6:7], v15, s4 src0_sel:BYTE_3 src1_sel:DWORD
	s_mov_b64 s[4:5], 0
                                        ; implicit-def: $sgpr10
	s_and_saveexec_b64 s[8:9], s[6:7]
	s_xor_b64 s[6:7], exec, s[8:9]
	s_cbranch_execnz .LBB11_3961
; %bb.1913:
	s_or_saveexec_b64 s[6:7], s[6:7]
	v_mov_b32_e32 v8, s10
	s_xor_b64 exec, exec, s[6:7]
	s_cbranch_execnz .LBB11_3964
.LBB11_1914:
	s_or_b64 exec, exec, s[6:7]
	s_and_saveexec_b64 s[6:7], s[4:5]
	s_cbranch_execz .LBB11_1916
.LBB11_1915:
	v_bfe_u32 v8, v15, 24, 3
	v_ffbh_u32_e32 v13, v8
	v_min_u32_e32 v13, 32, v13
	v_lshrrev_b32_e32 v10, 27, v15
	v_subrev_u32_e32 v14, 28, v13
	v_and_b32_e32 v10, 15, v10
	v_lshlrev_b32_sdwa v14, v14, v15 dst_sel:DWORD dst_unused:UNUSED_PAD src0_sel:DWORD src1_sel:BYTE_3
	v_bfe_u32 v12, v15, 27, 4
	v_sub_u32_e32 v13, 29, v13
	v_and_b32_e32 v14, 7, v14
	v_cmp_eq_u16_e32 vcc, 0, v10
	v_cndmask_b32_e32 v8, v8, v14, vcc
	v_cndmask_b32_e32 v10, v12, v13, vcc
	v_mov_b32_e32 v12, 0x3b800000
	v_and_b32_e32 v9, 0x80000000, v15
	v_lshlrev_b32_e32 v8, 20, v8
	v_lshl_add_u32 v10, v10, 23, v12
	v_or3_b32 v8, v9, v10, v8
.LBB11_1916:
	s_or_b64 exec, exec, s[6:7]
	s_movk_i32 s4, 0x7f
	v_cmp_gt_i16_sdwa s[6:7], v11, s4 src0_sel:BYTE_3 src1_sel:DWORD
	s_mov_b64 s[4:5], 0
                                        ; implicit-def: $sgpr10
	s_and_saveexec_b64 s[8:9], s[6:7]
	s_xor_b64 s[6:7], exec, s[8:9]
	s_cbranch_execnz .LBB11_3965
; %bb.1917:
	s_or_saveexec_b64 s[6:7], s[6:7]
	v_mov_b32_e32 v9, s10
	s_xor_b64 exec, exec, s[6:7]
	s_cbranch_execnz .LBB11_3968
.LBB11_1918:
	s_or_b64 exec, exec, s[6:7]
	s_and_saveexec_b64 s[6:7], s[4:5]
	s_cbranch_execz .LBB11_1920
.LBB11_1919:
	v_bfe_u32 v9, v11, 24, 3
	v_ffbh_u32_e32 v14, v9
	v_min_u32_e32 v14, 32, v14
	v_lshrrev_b32_e32 v12, 27, v11
	v_subrev_u32_e32 v15, 28, v14
	v_and_b32_e32 v10, 0x80000000, v11
	v_and_b32_e32 v12, 15, v12
	v_bfe_u32 v13, v11, 27, 4
	v_lshlrev_b32_sdwa v11, v15, v11 dst_sel:DWORD dst_unused:UNUSED_PAD src0_sel:DWORD src1_sel:BYTE_3
	v_sub_u32_e32 v14, 29, v14
	v_and_b32_e32 v11, 7, v11
	v_cmp_eq_u16_e32 vcc, 0, v12
	v_cndmask_b32_e32 v9, v9, v11, vcc
	v_cndmask_b32_e32 v11, v13, v14, vcc
	v_mov_b32_e32 v12, 0x3b800000
	v_lshlrev_b32_e32 v9, 20, v9
	v_lshl_add_u32 v11, v11, 23, v12
	v_or3_b32 v9, v10, v11, v9
.LBB11_1920:
	s_or_b64 exec, exec, s[6:7]
	s_nop 0
	v_mfma_f32_16x16x4f32 a[0:3], v8, v9, a[0:3]
	s_movk_i32 s4, 0x7f
	v_cmp_gt_i16_sdwa s[6:7], v4, s4 src0_sel:BYTE_0 src1_sel:DWORD
	s_mov_b64 s[4:5], 0
                                        ; implicit-def: $sgpr10
	s_and_saveexec_b64 s[8:9], s[6:7]
	s_xor_b64 s[6:7], exec, s[8:9]
	s_cbranch_execnz .LBB11_3969
; %bb.1921:
	s_or_saveexec_b64 s[6:7], s[6:7]
	v_mov_b32_e32 v8, s10
	s_xor_b64 exec, exec, s[6:7]
	s_cbranch_execnz .LBB11_3972
.LBB11_1922:
	s_or_b64 exec, exec, s[6:7]
	s_and_saveexec_b64 s[6:7], s[4:5]
	s_cbranch_execz .LBB11_1924
.LBB11_1923:
	v_and_b32_e32 v8, 7, v4
	v_ffbh_u32_e32 v10, v8
	v_min_u32_e32 v10, 32, v10
	v_lshrrev_b16_e32 v9, 3, v4
	v_subrev_u32_e32 v11, 28, v10
	v_and_b32_e32 v9, 15, v9
	v_lshlrev_b32_e32 v11, v11, v4
	v_sub_u32_e32 v10, 29, v10
	v_and_b32_e32 v11, 7, v11
	v_cmp_eq_u16_e32 vcc, 0, v9
	v_cndmask_b32_e32 v8, v8, v11, vcc
	v_cndmask_b32_e32 v9, v9, v10, vcc
	v_lshlrev_b32_e32 v10, 24, v4
	v_mov_b32_e32 v11, 0x3b800000
	v_lshlrev_b32_e32 v8, 20, v8
	v_and_b32_e32 v10, 0x80000000, v10
	v_lshl_add_u32 v9, v9, 23, v11
	v_or3_b32 v8, v10, v9, v8
.LBB11_1924:
	s_or_b64 exec, exec, s[6:7]
	s_movk_i32 s4, 0x7f
	v_cmp_gt_i16_sdwa s[6:7], v0, s4 src0_sel:BYTE_0 src1_sel:DWORD
	s_mov_b64 s[4:5], 0
                                        ; implicit-def: $sgpr10
	s_and_saveexec_b64 s[8:9], s[6:7]
	s_xor_b64 s[6:7], exec, s[8:9]
	s_cbranch_execnz .LBB11_3973
; %bb.1925:
	s_or_saveexec_b64 s[6:7], s[6:7]
	v_mov_b32_e32 v9, s10
	s_xor_b64 exec, exec, s[6:7]
	s_cbranch_execnz .LBB11_3976
.LBB11_1926:
	s_or_b64 exec, exec, s[6:7]
	s_and_saveexec_b64 s[6:7], s[4:5]
	s_cbranch_execz .LBB11_1928
.LBB11_1927:
	v_and_b32_e32 v9, 7, v0
	v_ffbh_u32_e32 v11, v9
	v_min_u32_e32 v11, 32, v11
	v_lshrrev_b16_e32 v10, 3, v0
	v_subrev_u32_e32 v12, 28, v11
	v_and_b32_e32 v10, 15, v10
	v_lshlrev_b32_e32 v12, v12, v0
	v_sub_u32_e32 v11, 29, v11
	v_and_b32_e32 v12, 7, v12
	v_cmp_eq_u16_e32 vcc, 0, v10
	v_cndmask_b32_e32 v9, v9, v12, vcc
	v_cndmask_b32_e32 v10, v10, v11, vcc
	v_lshlrev_b32_e32 v11, 24, v0
	v_mov_b32_e32 v12, 0x3b800000
	v_lshlrev_b32_e32 v9, 20, v9
	v_and_b32_e32 v11, 0x80000000, v11
	v_lshl_add_u32 v10, v10, 23, v12
	v_or3_b32 v9, v11, v10, v9
.LBB11_1928:
	s_or_b64 exec, exec, s[6:7]
	s_nop 0
	v_mfma_f32_16x16x4f32 a[0:3], v8, v9, a[0:3]
	v_lshrrev_b32_e32 v9, 8, v4
	s_movk_i32 s4, 0x7f
	v_cmp_gt_i16_sdwa s[6:7], v9, s4 src0_sel:BYTE_0 src1_sel:DWORD
	s_mov_b64 s[4:5], 0
                                        ; implicit-def: $sgpr10
	s_and_saveexec_b64 s[8:9], s[6:7]
	s_xor_b64 s[6:7], exec, s[8:9]
	s_cbranch_execnz .LBB11_3977
; %bb.1929:
	s_or_saveexec_b64 s[6:7], s[6:7]
	v_mov_b32_e32 v8, s10
	s_xor_b64 exec, exec, s[6:7]
	s_cbranch_execnz .LBB11_3980
.LBB11_1930:
	s_or_b64 exec, exec, s[6:7]
	s_and_saveexec_b64 s[6:7], s[4:5]
	s_cbranch_execz .LBB11_1932
.LBB11_1931:
	v_bfe_u32 v8, v4, 8, 3
	v_ffbh_u32_e32 v11, v8
	v_min_u32_e32 v11, 32, v11
	v_lshrrev_b16_e32 v10, 3, v9
	v_subrev_u32_e32 v12, 28, v11
	v_and_b32_e32 v10, 15, v10
	v_lshlrev_b32_e32 v9, v12, v9
	v_sub_u32_e32 v11, 29, v11
	v_and_b32_e32 v9, 7, v9
	v_cmp_eq_u16_e32 vcc, 0, v10
	v_cndmask_b32_e32 v8, v8, v9, vcc
	v_cndmask_b32_e32 v9, v10, v11, vcc
	v_lshlrev_b32_e32 v10, 16, v4
	v_mov_b32_e32 v11, 0x3b800000
	v_lshlrev_b32_e32 v8, 20, v8
	v_and_b32_e32 v10, 0x80000000, v10
	v_lshl_add_u32 v9, v9, 23, v11
	v_or3_b32 v8, v10, v9, v8
.LBB11_1932:
	s_or_b64 exec, exec, s[6:7]
	v_lshrrev_b32_e32 v9, 8, v0
	s_movk_i32 s4, 0x7f
	v_cmp_gt_i16_sdwa s[6:7], v9, s4 src0_sel:BYTE_0 src1_sel:DWORD
	s_mov_b64 s[4:5], 0
                                        ; implicit-def: $sgpr10
	s_and_saveexec_b64 s[8:9], s[6:7]
	s_xor_b64 s[6:7], exec, s[8:9]
	s_cbranch_execnz .LBB11_3981
; %bb.1933:
	s_or_saveexec_b64 s[6:7], s[6:7]
	v_mov_b32_e32 v10, s10
	s_xor_b64 exec, exec, s[6:7]
	s_cbranch_execnz .LBB11_3984
.LBB11_1934:
	s_or_b64 exec, exec, s[6:7]
	s_and_saveexec_b64 s[6:7], s[4:5]
	s_cbranch_execz .LBB11_1936
.LBB11_1935:
	v_bfe_u32 v10, v0, 8, 3
	v_ffbh_u32_e32 v12, v10
	v_min_u32_e32 v12, 32, v12
	v_lshrrev_b16_e32 v11, 3, v9
	v_subrev_u32_e32 v13, 28, v12
	v_and_b32_e32 v11, 15, v11
	v_lshlrev_b32_e32 v9, v13, v9
	v_sub_u32_e32 v12, 29, v12
	v_and_b32_e32 v9, 7, v9
	v_cmp_eq_u16_e32 vcc, 0, v11
	v_cndmask_b32_e32 v9, v10, v9, vcc
	v_cndmask_b32_e32 v10, v11, v12, vcc
	v_lshlrev_b32_e32 v11, 16, v0
	v_mov_b32_e32 v12, 0x3b800000
	v_lshlrev_b32_e32 v9, 20, v9
	v_and_b32_e32 v11, 0x80000000, v11
	v_lshl_add_u32 v10, v10, 23, v12
	v_or3_b32 v10, v11, v10, v9
.LBB11_1936:
	s_or_b64 exec, exec, s[6:7]
	s_nop 0
	v_mfma_f32_16x16x4f32 a[0:3], v8, v10, a[0:3]
	s_movk_i32 s4, 0xff
	v_and_b32_sdwa v9, v4, s4 dst_sel:DWORD dst_unused:UNUSED_PAD src0_sel:WORD_1 src1_sel:DWORD
	s_movk_i32 s4, 0x7f
	v_cmp_lt_i16_e32 vcc, s4, v9
	s_mov_b64 s[4:5], 0
                                        ; implicit-def: $sgpr10
	s_and_saveexec_b64 s[6:7], vcc
	s_xor_b64 s[6:7], exec, s[6:7]
	s_cbranch_execnz .LBB11_3985
; %bb.1937:
	s_or_saveexec_b64 s[6:7], s[6:7]
	v_mov_b32_e32 v8, s10
	s_xor_b64 exec, exec, s[6:7]
	s_cbranch_execnz .LBB11_3988
.LBB11_1938:
	s_or_b64 exec, exec, s[6:7]
	s_and_saveexec_b64 s[6:7], s[4:5]
	s_cbranch_execz .LBB11_1940
.LBB11_1939:
	v_bfe_u32 v8, v4, 16, 3
	v_ffbh_u32_e32 v11, v8
	v_min_u32_e32 v11, 32, v11
	v_lshrrev_b32_e32 v9, 19, v4
	v_subrev_u32_e32 v12, 28, v11
	v_and_b32_e32 v9, 15, v9
	v_lshlrev_b32_sdwa v12, v12, v4 dst_sel:DWORD dst_unused:UNUSED_PAD src0_sel:DWORD src1_sel:WORD_1
	v_bfe_u32 v10, v4, 19, 4
	v_sub_u32_e32 v11, 29, v11
	v_and_b32_e32 v12, 7, v12
	v_cmp_eq_u16_e32 vcc, 0, v9
	v_cndmask_b32_e32 v8, v8, v12, vcc
	v_cndmask_b32_e32 v9, v10, v11, vcc
	v_lshlrev_b32_e32 v10, 8, v4
	v_mov_b32_e32 v11, 0x3b800000
	v_lshlrev_b32_e32 v8, 20, v8
	v_and_b32_e32 v10, 0x80000000, v10
	v_lshl_add_u32 v9, v9, 23, v11
	v_or3_b32 v8, v10, v9, v8
.LBB11_1940:
	s_or_b64 exec, exec, s[6:7]
	s_movk_i32 s4, 0xff
	v_and_b32_sdwa v9, v0, s4 dst_sel:DWORD dst_unused:UNUSED_PAD src0_sel:WORD_1 src1_sel:DWORD
	s_movk_i32 s4, 0x7f
	v_cmp_lt_i16_e32 vcc, s4, v9
	s_mov_b64 s[4:5], 0
                                        ; implicit-def: $sgpr10
	s_and_saveexec_b64 s[6:7], vcc
	s_xor_b64 s[6:7], exec, s[6:7]
	s_cbranch_execnz .LBB11_3989
; %bb.1941:
	s_or_saveexec_b64 s[6:7], s[6:7]
	v_mov_b32_e32 v10, s10
	s_xor_b64 exec, exec, s[6:7]
	s_cbranch_execnz .LBB11_3992
.LBB11_1942:
	s_or_b64 exec, exec, s[6:7]
	s_and_saveexec_b64 s[6:7], s[4:5]
	s_cbranch_execz .LBB11_1944
.LBB11_1943:
	v_bfe_u32 v9, v0, 16, 3
	v_ffbh_u32_e32 v12, v9
	v_min_u32_e32 v12, 32, v12
	v_lshrrev_b32_e32 v10, 19, v0
	v_subrev_u32_e32 v13, 28, v12
	v_and_b32_e32 v10, 15, v10
	v_lshlrev_b32_sdwa v13, v13, v0 dst_sel:DWORD dst_unused:UNUSED_PAD src0_sel:DWORD src1_sel:WORD_1
	v_bfe_u32 v11, v0, 19, 4
	v_sub_u32_e32 v12, 29, v12
	v_and_b32_e32 v13, 7, v13
	v_cmp_eq_u16_e32 vcc, 0, v10
	v_cndmask_b32_e32 v9, v9, v13, vcc
	v_cndmask_b32_e32 v10, v11, v12, vcc
	v_lshlrev_b32_e32 v11, 8, v0
	v_mov_b32_e32 v12, 0x3b800000
	v_lshlrev_b32_e32 v9, 20, v9
	v_and_b32_e32 v11, 0x80000000, v11
	v_lshl_add_u32 v10, v10, 23, v12
	v_or3_b32 v10, v11, v10, v9
.LBB11_1944:
	s_or_b64 exec, exec, s[6:7]
	s_nop 0
	v_mfma_f32_16x16x4f32 a[0:3], v8, v10, a[0:3]
	s_movk_i32 s4, 0x7f
	v_cmp_gt_i16_sdwa s[6:7], v4, s4 src0_sel:BYTE_3 src1_sel:DWORD
	s_mov_b64 s[4:5], 0
                                        ; implicit-def: $sgpr10
	s_and_saveexec_b64 s[8:9], s[6:7]
	s_xor_b64 s[6:7], exec, s[8:9]
	s_cbranch_execnz .LBB11_3993
; %bb.1945:
	s_or_saveexec_b64 s[6:7], s[6:7]
	v_mov_b32_e32 v8, s10
	s_xor_b64 exec, exec, s[6:7]
	s_cbranch_execnz .LBB11_3996
.LBB11_1946:
	s_or_b64 exec, exec, s[6:7]
	s_and_saveexec_b64 s[6:7], s[4:5]
	s_cbranch_execz .LBB11_1948
.LBB11_1947:
	v_bfe_u32 v8, v4, 24, 3
	v_ffbh_u32_e32 v12, v8
	v_min_u32_e32 v12, 32, v12
	v_lshrrev_b32_e32 v10, 27, v4
	v_subrev_u32_e32 v13, 28, v12
	v_and_b32_e32 v9, 0x80000000, v4
	v_and_b32_e32 v10, 15, v10
	v_bfe_u32 v11, v4, 27, 4
	v_lshlrev_b32_sdwa v4, v13, v4 dst_sel:DWORD dst_unused:UNUSED_PAD src0_sel:DWORD src1_sel:BYTE_3
	v_sub_u32_e32 v12, 29, v12
	v_and_b32_e32 v4, 7, v4
	v_cmp_eq_u16_e32 vcc, 0, v10
	v_cndmask_b32_e32 v4, v8, v4, vcc
	v_cndmask_b32_e32 v8, v11, v12, vcc
	v_mov_b32_e32 v10, 0x3b800000
	v_lshlrev_b32_e32 v4, 20, v4
	v_lshl_add_u32 v8, v8, 23, v10
	v_or3_b32 v8, v9, v8, v4
.LBB11_1948:
	s_or_b64 exec, exec, s[6:7]
	s_movk_i32 s4, 0x7f
	v_cmp_gt_i16_sdwa s[6:7], v0, s4 src0_sel:BYTE_3 src1_sel:DWORD
	s_mov_b64 s[4:5], 0
                                        ; implicit-def: $sgpr10
	s_and_saveexec_b64 s[8:9], s[6:7]
	s_xor_b64 s[6:7], exec, s[8:9]
	s_cbranch_execnz .LBB11_3997
; %bb.1949:
	s_or_saveexec_b64 s[6:7], s[6:7]
	v_mov_b32_e32 v4, s10
	s_xor_b64 exec, exec, s[6:7]
	s_cbranch_execnz .LBB11_4000
.LBB11_1950:
	s_or_b64 exec, exec, s[6:7]
	s_and_saveexec_b64 s[6:7], s[4:5]
	s_cbranch_execz .LBB11_1952
.LBB11_1951:
	v_bfe_u32 v4, v0, 24, 3
	v_ffbh_u32_e32 v12, v4
	v_min_u32_e32 v12, 32, v12
	v_lshrrev_b32_e32 v10, 27, v0
	v_subrev_u32_e32 v13, 28, v12
	v_and_b32_e32 v9, 0x80000000, v0
	v_and_b32_e32 v10, 15, v10
	v_bfe_u32 v11, v0, 27, 4
	v_lshlrev_b32_sdwa v0, v13, v0 dst_sel:DWORD dst_unused:UNUSED_PAD src0_sel:DWORD src1_sel:BYTE_3
	v_sub_u32_e32 v12, 29, v12
	v_and_b32_e32 v0, 7, v0
	v_cmp_eq_u16_e32 vcc, 0, v10
	v_cndmask_b32_e32 v0, v4, v0, vcc
	v_cndmask_b32_e32 v4, v11, v12, vcc
	v_mov_b32_e32 v10, 0x3b800000
	v_lshlrev_b32_e32 v0, 20, v0
	v_lshl_add_u32 v4, v4, 23, v10
	v_or3_b32 v4, v9, v4, v0
.LBB11_1952:
	s_or_b64 exec, exec, s[6:7]
	s_nop 0
	v_mfma_f32_16x16x4f32 a[0:3], v8, v4, a[0:3]
	s_movk_i32 s4, 0x7f
	v_cmp_gt_i16_sdwa s[6:7], v5, s4 src0_sel:BYTE_0 src1_sel:DWORD
	s_mov_b64 s[4:5], 0
                                        ; implicit-def: $sgpr10
	s_and_saveexec_b64 s[8:9], s[6:7]
	s_xor_b64 s[6:7], exec, s[8:9]
	s_cbranch_execnz .LBB11_4001
; %bb.1953:
	s_or_saveexec_b64 s[6:7], s[6:7]
	v_mov_b32_e32 v0, s10
	s_xor_b64 exec, exec, s[6:7]
	s_cbranch_execnz .LBB11_4004
.LBB11_1954:
	s_or_b64 exec, exec, s[6:7]
	s_and_saveexec_b64 s[6:7], s[4:5]
	s_cbranch_execz .LBB11_1956
.LBB11_1955:
	v_and_b32_e32 v0, 7, v5
	v_ffbh_u32_e32 v8, v0
	v_min_u32_e32 v8, 32, v8
	v_lshrrev_b16_e32 v4, 3, v5
	v_subrev_u32_e32 v9, 28, v8
	v_and_b32_e32 v4, 15, v4
	v_lshlrev_b32_e32 v9, v9, v5
	v_sub_u32_e32 v8, 29, v8
	v_and_b32_e32 v9, 7, v9
	v_cmp_eq_u16_e32 vcc, 0, v4
	v_cndmask_b32_e32 v0, v0, v9, vcc
	v_cndmask_b32_e32 v4, v4, v8, vcc
	v_lshlrev_b32_e32 v8, 24, v5
	v_mov_b32_e32 v9, 0x3b800000
	v_lshlrev_b32_e32 v0, 20, v0
	v_and_b32_e32 v8, 0x80000000, v8
	v_lshl_add_u32 v4, v4, 23, v9
	v_or3_b32 v0, v8, v4, v0
.LBB11_1956:
	s_or_b64 exec, exec, s[6:7]
	s_movk_i32 s4, 0x7f
	v_cmp_gt_i16_sdwa s[6:7], v1, s4 src0_sel:BYTE_0 src1_sel:DWORD
	s_mov_b64 s[4:5], 0
                                        ; implicit-def: $sgpr10
	s_and_saveexec_b64 s[8:9], s[6:7]
	s_xor_b64 s[6:7], exec, s[8:9]
	s_cbranch_execnz .LBB11_4005
; %bb.1957:
	s_or_saveexec_b64 s[6:7], s[6:7]
	v_mov_b32_e32 v4, s10
	s_xor_b64 exec, exec, s[6:7]
	s_cbranch_execnz .LBB11_4008
.LBB11_1958:
	s_or_b64 exec, exec, s[6:7]
	s_and_saveexec_b64 s[6:7], s[4:5]
	s_cbranch_execz .LBB11_1960
.LBB11_1959:
	v_and_b32_e32 v4, 7, v1
	v_ffbh_u32_e32 v9, v4
	v_min_u32_e32 v9, 32, v9
	v_lshrrev_b16_e32 v8, 3, v1
	v_subrev_u32_e32 v10, 28, v9
	v_and_b32_e32 v8, 15, v8
	v_lshlrev_b32_e32 v10, v10, v1
	v_sub_u32_e32 v9, 29, v9
	v_and_b32_e32 v10, 7, v10
	v_cmp_eq_u16_e32 vcc, 0, v8
	v_cndmask_b32_e32 v4, v4, v10, vcc
	v_cndmask_b32_e32 v8, v8, v9, vcc
	v_lshlrev_b32_e32 v9, 24, v1
	v_mov_b32_e32 v10, 0x3b800000
	v_lshlrev_b32_e32 v4, 20, v4
	v_and_b32_e32 v9, 0x80000000, v9
	v_lshl_add_u32 v8, v8, 23, v10
	v_or3_b32 v4, v9, v8, v4
.LBB11_1960:
	s_or_b64 exec, exec, s[6:7]
	s_nop 0
	v_mfma_f32_16x16x4f32 a[0:3], v0, v4, a[0:3]
	v_lshrrev_b32_e32 v4, 8, v5
	s_movk_i32 s4, 0x7f
	v_cmp_gt_i16_sdwa s[6:7], v4, s4 src0_sel:BYTE_0 src1_sel:DWORD
	s_mov_b64 s[4:5], 0
                                        ; implicit-def: $sgpr10
	s_and_saveexec_b64 s[8:9], s[6:7]
	s_xor_b64 s[6:7], exec, s[8:9]
	s_cbranch_execnz .LBB11_4009
; %bb.1961:
	s_or_saveexec_b64 s[6:7], s[6:7]
	v_mov_b32_e32 v0, s10
	s_xor_b64 exec, exec, s[6:7]
	s_cbranch_execnz .LBB11_4012
.LBB11_1962:
	s_or_b64 exec, exec, s[6:7]
	s_and_saveexec_b64 s[6:7], s[4:5]
	s_cbranch_execz .LBB11_1964
.LBB11_1963:
	v_bfe_u32 v0, v5, 8, 3
	v_ffbh_u32_e32 v9, v0
	v_min_u32_e32 v9, 32, v9
	v_lshrrev_b16_e32 v8, 3, v4
	v_subrev_u32_e32 v10, 28, v9
	v_and_b32_e32 v8, 15, v8
	v_lshlrev_b32_e32 v4, v10, v4
	v_sub_u32_e32 v9, 29, v9
	v_and_b32_e32 v4, 7, v4
	v_cmp_eq_u16_e32 vcc, 0, v8
	v_cndmask_b32_e32 v0, v0, v4, vcc
	v_cndmask_b32_e32 v4, v8, v9, vcc
	v_lshlrev_b32_e32 v8, 16, v5
	v_mov_b32_e32 v9, 0x3b800000
	v_lshlrev_b32_e32 v0, 20, v0
	v_and_b32_e32 v8, 0x80000000, v8
	v_lshl_add_u32 v4, v4, 23, v9
	v_or3_b32 v0, v8, v4, v0
.LBB11_1964:
	s_or_b64 exec, exec, s[6:7]
	v_lshrrev_b32_e32 v4, 8, v1
	s_movk_i32 s4, 0x7f
	v_cmp_gt_i16_sdwa s[6:7], v4, s4 src0_sel:BYTE_0 src1_sel:DWORD
	s_mov_b64 s[4:5], 0
                                        ; implicit-def: $sgpr10
	s_and_saveexec_b64 s[8:9], s[6:7]
	s_xor_b64 s[6:7], exec, s[8:9]
	s_cbranch_execnz .LBB11_4013
; %bb.1965:
	s_or_saveexec_b64 s[6:7], s[6:7]
	v_mov_b32_e32 v8, s10
	s_xor_b64 exec, exec, s[6:7]
	s_cbranch_execnz .LBB11_4016
.LBB11_1966:
	s_or_b64 exec, exec, s[6:7]
	s_and_saveexec_b64 s[6:7], s[4:5]
	s_cbranch_execz .LBB11_1968
.LBB11_1967:
	v_bfe_u32 v8, v1, 8, 3
	v_ffbh_u32_e32 v10, v8
	v_min_u32_e32 v10, 32, v10
	v_lshrrev_b16_e32 v9, 3, v4
	v_subrev_u32_e32 v11, 28, v10
	v_and_b32_e32 v9, 15, v9
	v_lshlrev_b32_e32 v4, v11, v4
	v_sub_u32_e32 v10, 29, v10
	v_and_b32_e32 v4, 7, v4
	v_cmp_eq_u16_e32 vcc, 0, v9
	v_cndmask_b32_e32 v4, v8, v4, vcc
	v_cndmask_b32_e32 v8, v9, v10, vcc
	v_lshlrev_b32_e32 v9, 16, v1
	v_mov_b32_e32 v10, 0x3b800000
	v_lshlrev_b32_e32 v4, 20, v4
	v_and_b32_e32 v9, 0x80000000, v9
	v_lshl_add_u32 v8, v8, 23, v10
	v_or3_b32 v8, v9, v8, v4
.LBB11_1968:
	s_or_b64 exec, exec, s[6:7]
	s_nop 0
	v_mfma_f32_16x16x4f32 a[0:3], v0, v8, a[0:3]
	s_movk_i32 s4, 0xff
	v_and_b32_sdwa v4, v5, s4 dst_sel:DWORD dst_unused:UNUSED_PAD src0_sel:WORD_1 src1_sel:DWORD
	s_movk_i32 s4, 0x7f
	v_cmp_lt_i16_e32 vcc, s4, v4
	s_mov_b64 s[4:5], 0
                                        ; implicit-def: $sgpr10
	s_and_saveexec_b64 s[6:7], vcc
	s_xor_b64 s[6:7], exec, s[6:7]
	s_cbranch_execnz .LBB11_4017
; %bb.1969:
	s_or_saveexec_b64 s[6:7], s[6:7]
	v_mov_b32_e32 v0, s10
	s_xor_b64 exec, exec, s[6:7]
	s_cbranch_execnz .LBB11_4020
.LBB11_1970:
	s_or_b64 exec, exec, s[6:7]
	s_and_saveexec_b64 s[6:7], s[4:5]
	s_cbranch_execz .LBB11_1972
.LBB11_1971:
	v_bfe_u32 v0, v5, 16, 3
	v_ffbh_u32_e32 v9, v0
	v_min_u32_e32 v9, 32, v9
	v_lshrrev_b32_e32 v4, 19, v5
	v_subrev_u32_e32 v10, 28, v9
	v_and_b32_e32 v4, 15, v4
	v_lshlrev_b32_sdwa v10, v10, v5 dst_sel:DWORD dst_unused:UNUSED_PAD src0_sel:DWORD src1_sel:WORD_1
	v_bfe_u32 v8, v5, 19, 4
	v_sub_u32_e32 v9, 29, v9
	v_and_b32_e32 v10, 7, v10
	v_cmp_eq_u16_e32 vcc, 0, v4
	v_cndmask_b32_e32 v0, v0, v10, vcc
	v_cndmask_b32_e32 v4, v8, v9, vcc
	v_lshlrev_b32_e32 v8, 8, v5
	v_mov_b32_e32 v9, 0x3b800000
	v_lshlrev_b32_e32 v0, 20, v0
	v_and_b32_e32 v8, 0x80000000, v8
	v_lshl_add_u32 v4, v4, 23, v9
	v_or3_b32 v0, v8, v4, v0
.LBB11_1972:
	s_or_b64 exec, exec, s[6:7]
	s_movk_i32 s4, 0xff
	v_and_b32_sdwa v4, v1, s4 dst_sel:DWORD dst_unused:UNUSED_PAD src0_sel:WORD_1 src1_sel:DWORD
	s_movk_i32 s4, 0x7f
	v_cmp_lt_i16_e32 vcc, s4, v4
	s_mov_b64 s[4:5], 0
                                        ; implicit-def: $sgpr10
	s_and_saveexec_b64 s[6:7], vcc
	s_xor_b64 s[6:7], exec, s[6:7]
	s_cbranch_execnz .LBB11_4021
; %bb.1973:
	s_or_saveexec_b64 s[6:7], s[6:7]
	v_mov_b32_e32 v8, s10
	s_xor_b64 exec, exec, s[6:7]
	s_cbranch_execnz .LBB11_4024
.LBB11_1974:
	s_or_b64 exec, exec, s[6:7]
	s_and_saveexec_b64 s[6:7], s[4:5]
	s_cbranch_execz .LBB11_1976
.LBB11_1975:
	v_bfe_u32 v4, v1, 16, 3
	v_ffbh_u32_e32 v10, v4
	v_min_u32_e32 v10, 32, v10
	v_lshrrev_b32_e32 v8, 19, v1
	v_subrev_u32_e32 v11, 28, v10
	v_and_b32_e32 v8, 15, v8
	v_lshlrev_b32_sdwa v11, v11, v1 dst_sel:DWORD dst_unused:UNUSED_PAD src0_sel:DWORD src1_sel:WORD_1
	v_bfe_u32 v9, v1, 19, 4
	v_sub_u32_e32 v10, 29, v10
	v_and_b32_e32 v11, 7, v11
	v_cmp_eq_u16_e32 vcc, 0, v8
	v_cndmask_b32_e32 v4, v4, v11, vcc
	v_cndmask_b32_e32 v8, v9, v10, vcc
	v_lshlrev_b32_e32 v9, 8, v1
	v_mov_b32_e32 v10, 0x3b800000
	v_lshlrev_b32_e32 v4, 20, v4
	v_and_b32_e32 v9, 0x80000000, v9
	v_lshl_add_u32 v8, v8, 23, v10
	v_or3_b32 v8, v9, v8, v4
.LBB11_1976:
	s_or_b64 exec, exec, s[6:7]
	s_nop 0
	v_mfma_f32_16x16x4f32 a[0:3], v0, v8, a[0:3]
	s_movk_i32 s4, 0x7f
	v_cmp_gt_i16_sdwa s[6:7], v5, s4 src0_sel:BYTE_3 src1_sel:DWORD
	s_mov_b64 s[4:5], 0
                                        ; implicit-def: $sgpr10
	s_and_saveexec_b64 s[8:9], s[6:7]
	s_xor_b64 s[6:7], exec, s[8:9]
	s_cbranch_execnz .LBB11_4025
; %bb.1977:
	s_or_saveexec_b64 s[6:7], s[6:7]
	v_mov_b32_e32 v0, s10
	s_xor_b64 exec, exec, s[6:7]
	s_cbranch_execnz .LBB11_4028
.LBB11_1978:
	s_or_b64 exec, exec, s[6:7]
	s_and_saveexec_b64 s[6:7], s[4:5]
	s_cbranch_execz .LBB11_1980
.LBB11_1979:
	v_bfe_u32 v0, v5, 24, 3
	v_ffbh_u32_e32 v10, v0
	v_min_u32_e32 v10, 32, v10
	v_lshrrev_b32_e32 v8, 27, v5
	v_subrev_u32_e32 v11, 28, v10
	v_and_b32_e32 v4, 0x80000000, v5
	v_and_b32_e32 v8, 15, v8
	v_bfe_u32 v9, v5, 27, 4
	v_lshlrev_b32_sdwa v5, v11, v5 dst_sel:DWORD dst_unused:UNUSED_PAD src0_sel:DWORD src1_sel:BYTE_3
	v_sub_u32_e32 v10, 29, v10
	v_and_b32_e32 v5, 7, v5
	v_cmp_eq_u16_e32 vcc, 0, v8
	v_cndmask_b32_e32 v0, v0, v5, vcc
	v_cndmask_b32_e32 v5, v9, v10, vcc
	v_mov_b32_e32 v8, 0x3b800000
	v_lshlrev_b32_e32 v0, 20, v0
	v_lshl_add_u32 v5, v5, 23, v8
	v_or3_b32 v0, v4, v5, v0
.LBB11_1980:
	s_or_b64 exec, exec, s[6:7]
	s_movk_i32 s4, 0x7f
	v_cmp_gt_i16_sdwa s[6:7], v1, s4 src0_sel:BYTE_3 src1_sel:DWORD
	s_mov_b64 s[4:5], 0
                                        ; implicit-def: $sgpr10
	s_and_saveexec_b64 s[8:9], s[6:7]
	s_xor_b64 s[6:7], exec, s[8:9]
	s_cbranch_execnz .LBB11_4029
; %bb.1981:
	s_or_saveexec_b64 s[6:7], s[6:7]
	v_mov_b32_e32 v4, s10
	s_xor_b64 exec, exec, s[6:7]
	s_cbranch_execnz .LBB11_4032
.LBB11_1982:
	s_or_b64 exec, exec, s[6:7]
	s_and_saveexec_b64 s[6:7], s[4:5]
	s_cbranch_execz .LBB11_1984
.LBB11_1983:
	v_bfe_u32 v4, v1, 24, 3
	v_ffbh_u32_e32 v10, v4
	v_min_u32_e32 v10, 32, v10
	v_lshrrev_b32_e32 v8, 27, v1
	v_subrev_u32_e32 v11, 28, v10
	v_and_b32_e32 v5, 0x80000000, v1
	v_and_b32_e32 v8, 15, v8
	v_bfe_u32 v9, v1, 27, 4
	v_lshlrev_b32_sdwa v1, v11, v1 dst_sel:DWORD dst_unused:UNUSED_PAD src0_sel:DWORD src1_sel:BYTE_3
	v_sub_u32_e32 v10, 29, v10
	v_and_b32_e32 v1, 7, v1
	v_cmp_eq_u16_e32 vcc, 0, v8
	v_cndmask_b32_e32 v1, v4, v1, vcc
	v_cndmask_b32_e32 v4, v9, v10, vcc
	v_mov_b32_e32 v8, 0x3b800000
	v_lshlrev_b32_e32 v1, 20, v1
	v_lshl_add_u32 v4, v4, 23, v8
	v_or3_b32 v4, v5, v4, v1
.LBB11_1984:
	s_or_b64 exec, exec, s[6:7]
	s_nop 0
	v_mfma_f32_16x16x4f32 a[0:3], v0, v4, a[0:3]
	s_movk_i32 s4, 0x7f
	v_cmp_gt_i16_sdwa s[6:7], v6, s4 src0_sel:BYTE_0 src1_sel:DWORD
	s_mov_b64 s[4:5], 0
                                        ; implicit-def: $sgpr10
	s_and_saveexec_b64 s[8:9], s[6:7]
	s_xor_b64 s[6:7], exec, s[8:9]
	s_cbranch_execnz .LBB11_4033
; %bb.1985:
	s_or_saveexec_b64 s[6:7], s[6:7]
	v_mov_b32_e32 v0, s10
	s_xor_b64 exec, exec, s[6:7]
	s_cbranch_execnz .LBB11_4036
.LBB11_1986:
	s_or_b64 exec, exec, s[6:7]
	s_and_saveexec_b64 s[6:7], s[4:5]
	s_cbranch_execz .LBB11_1988
.LBB11_1987:
	v_and_b32_e32 v0, 7, v6
	v_ffbh_u32_e32 v4, v0
	v_min_u32_e32 v4, 32, v4
	v_lshrrev_b16_e32 v1, 3, v6
	v_subrev_u32_e32 v5, 28, v4
	v_and_b32_e32 v1, 15, v1
	v_lshlrev_b32_e32 v5, v5, v6
	v_sub_u32_e32 v4, 29, v4
	v_and_b32_e32 v5, 7, v5
	v_cmp_eq_u16_e32 vcc, 0, v1
	v_cndmask_b32_e32 v0, v0, v5, vcc
	v_cndmask_b32_e32 v1, v1, v4, vcc
	v_lshlrev_b32_e32 v4, 24, v6
	v_mov_b32_e32 v5, 0x3b800000
	v_lshlrev_b32_e32 v0, 20, v0
	v_and_b32_e32 v4, 0x80000000, v4
	v_lshl_add_u32 v1, v1, 23, v5
	v_or3_b32 v0, v4, v1, v0
.LBB11_1988:
	s_or_b64 exec, exec, s[6:7]
	s_movk_i32 s4, 0x7f
	v_cmp_gt_i16_sdwa s[6:7], v2, s4 src0_sel:BYTE_0 src1_sel:DWORD
	s_mov_b64 s[4:5], 0
                                        ; implicit-def: $sgpr10
	s_and_saveexec_b64 s[8:9], s[6:7]
	s_xor_b64 s[6:7], exec, s[8:9]
	s_cbranch_execnz .LBB11_4037
; %bb.1989:
	s_or_saveexec_b64 s[6:7], s[6:7]
	v_mov_b32_e32 v1, s10
	s_xor_b64 exec, exec, s[6:7]
	s_cbranch_execnz .LBB11_4040
.LBB11_1990:
	s_or_b64 exec, exec, s[6:7]
	s_and_saveexec_b64 s[6:7], s[4:5]
	s_cbranch_execz .LBB11_1992
.LBB11_1991:
	v_and_b32_e32 v1, 7, v2
	v_ffbh_u32_e32 v5, v1
	v_min_u32_e32 v5, 32, v5
	v_lshrrev_b16_e32 v4, 3, v2
	v_subrev_u32_e32 v8, 28, v5
	v_and_b32_e32 v4, 15, v4
	v_lshlrev_b32_e32 v8, v8, v2
	v_sub_u32_e32 v5, 29, v5
	v_and_b32_e32 v8, 7, v8
	v_cmp_eq_u16_e32 vcc, 0, v4
	v_cndmask_b32_e32 v1, v1, v8, vcc
	v_cndmask_b32_e32 v4, v4, v5, vcc
	v_lshlrev_b32_e32 v5, 24, v2
	v_mov_b32_e32 v8, 0x3b800000
	v_lshlrev_b32_e32 v1, 20, v1
	v_and_b32_e32 v5, 0x80000000, v5
	v_lshl_add_u32 v4, v4, 23, v8
	v_or3_b32 v1, v5, v4, v1
.LBB11_1992:
	s_or_b64 exec, exec, s[6:7]
	s_nop 0
	v_mfma_f32_16x16x4f32 a[0:3], v0, v1, a[0:3]
	v_lshrrev_b32_e32 v1, 8, v6
	s_movk_i32 s4, 0x7f
	v_cmp_gt_i16_sdwa s[6:7], v1, s4 src0_sel:BYTE_0 src1_sel:DWORD
	s_mov_b64 s[4:5], 0
                                        ; implicit-def: $sgpr10
	s_and_saveexec_b64 s[8:9], s[6:7]
	s_xor_b64 s[6:7], exec, s[8:9]
	s_cbranch_execnz .LBB11_4041
; %bb.1993:
	s_or_saveexec_b64 s[6:7], s[6:7]
	v_mov_b32_e32 v0, s10
	s_xor_b64 exec, exec, s[6:7]
	s_cbranch_execnz .LBB11_4044
.LBB11_1994:
	s_or_b64 exec, exec, s[6:7]
	s_and_saveexec_b64 s[6:7], s[4:5]
	s_cbranch_execz .LBB11_1996
.LBB11_1995:
	v_bfe_u32 v0, v6, 8, 3
	v_ffbh_u32_e32 v5, v0
	v_min_u32_e32 v5, 32, v5
	v_lshrrev_b16_e32 v4, 3, v1
	v_subrev_u32_e32 v8, 28, v5
	v_and_b32_e32 v4, 15, v4
	v_lshlrev_b32_e32 v1, v8, v1
	v_sub_u32_e32 v5, 29, v5
	v_and_b32_e32 v1, 7, v1
	v_cmp_eq_u16_e32 vcc, 0, v4
	v_cndmask_b32_e32 v0, v0, v1, vcc
	v_cndmask_b32_e32 v1, v4, v5, vcc
	v_lshlrev_b32_e32 v4, 16, v6
	v_mov_b32_e32 v5, 0x3b800000
	v_lshlrev_b32_e32 v0, 20, v0
	v_and_b32_e32 v4, 0x80000000, v4
	v_lshl_add_u32 v1, v1, 23, v5
	v_or3_b32 v0, v4, v1, v0
.LBB11_1996:
	s_or_b64 exec, exec, s[6:7]
	v_lshrrev_b32_e32 v1, 8, v2
	s_movk_i32 s4, 0x7f
	v_cmp_gt_i16_sdwa s[6:7], v1, s4 src0_sel:BYTE_0 src1_sel:DWORD
	s_mov_b64 s[4:5], 0
                                        ; implicit-def: $sgpr10
	s_and_saveexec_b64 s[8:9], s[6:7]
	s_xor_b64 s[6:7], exec, s[8:9]
	s_cbranch_execnz .LBB11_4045
; %bb.1997:
	s_or_saveexec_b64 s[6:7], s[6:7]
	v_mov_b32_e32 v4, s10
	s_xor_b64 exec, exec, s[6:7]
	s_cbranch_execnz .LBB11_4048
.LBB11_1998:
	s_or_b64 exec, exec, s[6:7]
	s_and_saveexec_b64 s[6:7], s[4:5]
	s_cbranch_execz .LBB11_2000
.LBB11_1999:
	v_bfe_u32 v4, v2, 8, 3
	v_ffbh_u32_e32 v8, v4
	v_min_u32_e32 v8, 32, v8
	v_lshrrev_b16_e32 v5, 3, v1
	v_subrev_u32_e32 v9, 28, v8
	v_and_b32_e32 v5, 15, v5
	v_lshlrev_b32_e32 v1, v9, v1
	v_sub_u32_e32 v8, 29, v8
	v_and_b32_e32 v1, 7, v1
	v_cmp_eq_u16_e32 vcc, 0, v5
	v_cndmask_b32_e32 v1, v4, v1, vcc
	v_cndmask_b32_e32 v4, v5, v8, vcc
	v_lshlrev_b32_e32 v5, 16, v2
	v_mov_b32_e32 v8, 0x3b800000
	v_lshlrev_b32_e32 v1, 20, v1
	v_and_b32_e32 v5, 0x80000000, v5
	v_lshl_add_u32 v4, v4, 23, v8
	v_or3_b32 v4, v5, v4, v1
.LBB11_2000:
	s_or_b64 exec, exec, s[6:7]
	s_nop 0
	v_mfma_f32_16x16x4f32 a[0:3], v0, v4, a[0:3]
	s_movk_i32 s4, 0xff
	v_and_b32_sdwa v1, v6, s4 dst_sel:DWORD dst_unused:UNUSED_PAD src0_sel:WORD_1 src1_sel:DWORD
	s_movk_i32 s4, 0x7f
	v_cmp_lt_i16_e32 vcc, s4, v1
	s_mov_b64 s[4:5], 0
                                        ; implicit-def: $sgpr10
	s_and_saveexec_b64 s[6:7], vcc
	s_xor_b64 s[6:7], exec, s[6:7]
	s_cbranch_execnz .LBB11_4049
; %bb.2001:
	s_or_saveexec_b64 s[6:7], s[6:7]
	v_mov_b32_e32 v0, s10
	s_xor_b64 exec, exec, s[6:7]
	s_cbranch_execnz .LBB11_4052
.LBB11_2002:
	s_or_b64 exec, exec, s[6:7]
	s_and_saveexec_b64 s[6:7], s[4:5]
	s_cbranch_execz .LBB11_2004
.LBB11_2003:
	v_bfe_u32 v0, v6, 16, 3
	v_ffbh_u32_e32 v5, v0
	v_min_u32_e32 v5, 32, v5
	v_lshrrev_b32_e32 v1, 19, v6
	v_subrev_u32_e32 v8, 28, v5
	v_and_b32_e32 v1, 15, v1
	v_lshlrev_b32_sdwa v8, v8, v6 dst_sel:DWORD dst_unused:UNUSED_PAD src0_sel:DWORD src1_sel:WORD_1
	v_bfe_u32 v4, v6, 19, 4
	v_sub_u32_e32 v5, 29, v5
	v_and_b32_e32 v8, 7, v8
	v_cmp_eq_u16_e32 vcc, 0, v1
	v_cndmask_b32_e32 v0, v0, v8, vcc
	v_cndmask_b32_e32 v1, v4, v5, vcc
	v_lshlrev_b32_e32 v4, 8, v6
	v_mov_b32_e32 v5, 0x3b800000
	v_lshlrev_b32_e32 v0, 20, v0
	v_and_b32_e32 v4, 0x80000000, v4
	v_lshl_add_u32 v1, v1, 23, v5
	v_or3_b32 v0, v4, v1, v0
.LBB11_2004:
	s_or_b64 exec, exec, s[6:7]
	s_movk_i32 s4, 0xff
	v_and_b32_sdwa v1, v2, s4 dst_sel:DWORD dst_unused:UNUSED_PAD src0_sel:WORD_1 src1_sel:DWORD
	s_movk_i32 s4, 0x7f
	v_cmp_lt_i16_e32 vcc, s4, v1
	s_mov_b64 s[4:5], 0
                                        ; implicit-def: $sgpr10
	s_and_saveexec_b64 s[6:7], vcc
	s_xor_b64 s[6:7], exec, s[6:7]
	s_cbranch_execnz .LBB11_4053
; %bb.2005:
	s_or_saveexec_b64 s[6:7], s[6:7]
	v_mov_b32_e32 v4, s10
	s_xor_b64 exec, exec, s[6:7]
	s_cbranch_execnz .LBB11_4056
.LBB11_2006:
	s_or_b64 exec, exec, s[6:7]
	s_and_saveexec_b64 s[6:7], s[4:5]
	s_cbranch_execz .LBB11_2008
.LBB11_2007:
	v_bfe_u32 v1, v2, 16, 3
	v_ffbh_u32_e32 v8, v1
	v_min_u32_e32 v8, 32, v8
	v_lshrrev_b32_e32 v4, 19, v2
	v_subrev_u32_e32 v9, 28, v8
	v_and_b32_e32 v4, 15, v4
	v_lshlrev_b32_sdwa v9, v9, v2 dst_sel:DWORD dst_unused:UNUSED_PAD src0_sel:DWORD src1_sel:WORD_1
	v_bfe_u32 v5, v2, 19, 4
	v_sub_u32_e32 v8, 29, v8
	v_and_b32_e32 v9, 7, v9
	v_cmp_eq_u16_e32 vcc, 0, v4
	v_cndmask_b32_e32 v1, v1, v9, vcc
	v_cndmask_b32_e32 v4, v5, v8, vcc
	v_lshlrev_b32_e32 v5, 8, v2
	v_mov_b32_e32 v8, 0x3b800000
	v_lshlrev_b32_e32 v1, 20, v1
	v_and_b32_e32 v5, 0x80000000, v5
	v_lshl_add_u32 v4, v4, 23, v8
	v_or3_b32 v4, v5, v4, v1
.LBB11_2008:
	s_or_b64 exec, exec, s[6:7]
	s_nop 0
	v_mfma_f32_16x16x4f32 a[0:3], v0, v4, a[0:3]
	s_movk_i32 s4, 0x7f
	v_cmp_gt_i16_sdwa s[6:7], v6, s4 src0_sel:BYTE_3 src1_sel:DWORD
	s_mov_b64 s[4:5], 0
                                        ; implicit-def: $sgpr10
	s_and_saveexec_b64 s[8:9], s[6:7]
	s_xor_b64 s[6:7], exec, s[8:9]
	s_cbranch_execnz .LBB11_4057
; %bb.2009:
	s_or_saveexec_b64 s[6:7], s[6:7]
	v_mov_b32_e32 v0, s10
	s_xor_b64 exec, exec, s[6:7]
	s_cbranch_execnz .LBB11_4060
.LBB11_2010:
	s_or_b64 exec, exec, s[6:7]
	s_and_saveexec_b64 s[6:7], s[4:5]
	s_cbranch_execz .LBB11_2012
.LBB11_2011:
	v_bfe_u32 v0, v6, 24, 3
	v_ffbh_u32_e32 v8, v0
	v_min_u32_e32 v8, 32, v8
	v_lshrrev_b32_e32 v4, 27, v6
	v_subrev_u32_e32 v9, 28, v8
	v_and_b32_e32 v1, 0x80000000, v6
	v_and_b32_e32 v4, 15, v4
	v_bfe_u32 v5, v6, 27, 4
	v_lshlrev_b32_sdwa v6, v9, v6 dst_sel:DWORD dst_unused:UNUSED_PAD src0_sel:DWORD src1_sel:BYTE_3
	v_sub_u32_e32 v8, 29, v8
	v_and_b32_e32 v6, 7, v6
	v_cmp_eq_u16_e32 vcc, 0, v4
	v_cndmask_b32_e32 v0, v0, v6, vcc
	v_cndmask_b32_e32 v4, v5, v8, vcc
	v_mov_b32_e32 v5, 0x3b800000
	v_lshlrev_b32_e32 v0, 20, v0
	v_lshl_add_u32 v4, v4, 23, v5
	v_or3_b32 v0, v1, v4, v0
.LBB11_2012:
	s_or_b64 exec, exec, s[6:7]
	s_movk_i32 s4, 0x7f
	v_cmp_gt_i16_sdwa s[6:7], v2, s4 src0_sel:BYTE_3 src1_sel:DWORD
	s_mov_b64 s[4:5], 0
                                        ; implicit-def: $sgpr10
	s_and_saveexec_b64 s[8:9], s[6:7]
	s_xor_b64 s[6:7], exec, s[8:9]
	s_cbranch_execnz .LBB11_4061
; %bb.2013:
	s_or_saveexec_b64 s[6:7], s[6:7]
	v_mov_b32_e32 v1, s10
	s_xor_b64 exec, exec, s[6:7]
	s_cbranch_execnz .LBB11_4064
.LBB11_2014:
	s_or_b64 exec, exec, s[6:7]
	s_and_saveexec_b64 s[6:7], s[4:5]
	s_cbranch_execz .LBB11_2016
.LBB11_2015:
	v_bfe_u32 v1, v2, 24, 3
	v_ffbh_u32_e32 v8, v1
	v_min_u32_e32 v8, 32, v8
	v_lshrrev_b32_e32 v5, 27, v2
	v_subrev_u32_e32 v9, 28, v8
	v_and_b32_e32 v4, 0x80000000, v2
	v_and_b32_e32 v5, 15, v5
	v_bfe_u32 v6, v2, 27, 4
	v_lshlrev_b32_sdwa v2, v9, v2 dst_sel:DWORD dst_unused:UNUSED_PAD src0_sel:DWORD src1_sel:BYTE_3
	v_sub_u32_e32 v8, 29, v8
	v_and_b32_e32 v2, 7, v2
	v_cmp_eq_u16_e32 vcc, 0, v5
	v_cndmask_b32_e32 v1, v1, v2, vcc
	v_cndmask_b32_e32 v2, v6, v8, vcc
	v_mov_b32_e32 v5, 0x3b800000
	v_lshlrev_b32_e32 v1, 20, v1
	v_lshl_add_u32 v2, v2, 23, v5
	v_or3_b32 v1, v4, v2, v1
.LBB11_2016:
	s_or_b64 exec, exec, s[6:7]
	s_nop 0
	v_mfma_f32_16x16x4f32 a[0:3], v0, v1, a[0:3]
	s_movk_i32 s4, 0x7f
	v_cmp_gt_i16_sdwa s[6:7], v7, s4 src0_sel:BYTE_0 src1_sel:DWORD
	s_mov_b64 s[4:5], 0
                                        ; implicit-def: $sgpr10
	s_and_saveexec_b64 s[8:9], s[6:7]
	s_xor_b64 s[6:7], exec, s[8:9]
	s_cbranch_execnz .LBB11_4065
; %bb.2017:
	s_or_saveexec_b64 s[6:7], s[6:7]
	v_mov_b32_e32 v0, s10
	s_xor_b64 exec, exec, s[6:7]
	s_cbranch_execnz .LBB11_4068
.LBB11_2018:
	s_or_b64 exec, exec, s[6:7]
	s_and_saveexec_b64 s[6:7], s[4:5]
	s_cbranch_execz .LBB11_2020
.LBB11_2019:
	v_mov_b32_e32 v0, 8
	v_and_b32_e32 v1, 7, v7
	v_lshrrev_b32_sdwa v0, v0, v7 dst_sel:BYTE_1 dst_unused:UNUSED_PAD src0_sel:DWORD src1_sel:DWORD
	v_ffbh_u32_e32 v2, v1
	v_or_b32_sdwa v0, v7, v0 dst_sel:DWORD dst_unused:UNUSED_PAD src0_sel:BYTE_0 src1_sel:DWORD
	v_min_u32_e32 v2, 32, v2
	v_lshrrev_b16_e32 v0, 3, v0
	v_subrev_u32_e32 v4, 28, v2
	v_and_b32_e32 v0, 15, v0
	v_lshlrev_b32_e32 v4, v4, v7
	v_sub_u32_e32 v2, 29, v2
	v_and_b32_e32 v4, 7, v4
	v_cmp_eq_u16_e32 vcc, 0, v0
	v_cndmask_b32_e32 v1, v1, v4, vcc
	v_cndmask_b32_e32 v0, v0, v2, vcc
	v_lshlrev_b32_e32 v2, 24, v7
	v_mov_b32_e32 v4, 0x3b800000
	v_lshlrev_b32_e32 v1, 20, v1
	v_and_b32_e32 v2, 0x80000000, v2
	v_lshl_add_u32 v0, v0, 23, v4
	v_or3_b32 v0, v2, v0, v1
.LBB11_2020:
	s_or_b64 exec, exec, s[6:7]
	s_movk_i32 s4, 0x7f
	v_cmp_gt_i16_sdwa s[6:7], v3, s4 src0_sel:BYTE_0 src1_sel:DWORD
	s_mov_b64 s[4:5], 0
                                        ; implicit-def: $sgpr10
	s_and_saveexec_b64 s[8:9], s[6:7]
	s_xor_b64 s[6:7], exec, s[8:9]
	s_cbranch_execnz .LBB11_4069
; %bb.2021:
	s_or_saveexec_b64 s[6:7], s[6:7]
	v_mov_b32_e32 v1, s10
	s_xor_b64 exec, exec, s[6:7]
	s_cbranch_execnz .LBB11_4072
.LBB11_2022:
	s_or_b64 exec, exec, s[6:7]
	s_and_saveexec_b64 s[6:7], s[4:5]
	s_cbranch_execz .LBB11_2024
.LBB11_2023:
	v_mov_b32_e32 v1, 8
	v_and_b32_e32 v2, 7, v3
	v_lshrrev_b32_sdwa v1, v1, v3 dst_sel:BYTE_1 dst_unused:UNUSED_PAD src0_sel:DWORD src1_sel:DWORD
	v_ffbh_u32_e32 v4, v2
	v_or_b32_sdwa v1, v3, v1 dst_sel:DWORD dst_unused:UNUSED_PAD src0_sel:BYTE_0 src1_sel:DWORD
	v_min_u32_e32 v4, 32, v4
	v_lshrrev_b16_e32 v1, 3, v1
	v_subrev_u32_e32 v5, 28, v4
	v_and_b32_e32 v1, 15, v1
	v_lshlrev_b32_e32 v5, v5, v3
	v_sub_u32_e32 v4, 29, v4
	v_and_b32_e32 v5, 7, v5
	v_cmp_eq_u16_e32 vcc, 0, v1
	v_cndmask_b32_e32 v2, v2, v5, vcc
	v_cndmask_b32_e32 v1, v1, v4, vcc
	v_lshlrev_b32_e32 v4, 24, v3
	v_mov_b32_e32 v5, 0x3b800000
	v_lshlrev_b32_e32 v2, 20, v2
	v_and_b32_e32 v4, 0x80000000, v4
	v_lshl_add_u32 v1, v1, 23, v5
	v_or3_b32 v1, v4, v1, v2
.LBB11_2024:
	s_or_b64 exec, exec, s[6:7]
	s_nop 0
	v_mfma_f32_16x16x4f32 a[0:3], v0, v1, a[0:3]
	v_lshrrev_b32_e32 v1, 8, v7
	s_movk_i32 s4, 0x7f
	v_cmp_gt_i16_sdwa s[6:7], v1, s4 src0_sel:BYTE_0 src1_sel:DWORD
	s_mov_b64 s[4:5], 0
                                        ; implicit-def: $sgpr10
	s_and_saveexec_b64 s[8:9], s[6:7]
	s_xor_b64 s[6:7], exec, s[8:9]
	s_cbranch_execnz .LBB11_4073
; %bb.2025:
	s_or_saveexec_b64 s[6:7], s[6:7]
	v_mov_b32_e32 v0, s10
	s_xor_b64 exec, exec, s[6:7]
	s_cbranch_execnz .LBB11_4076
.LBB11_2026:
	s_or_b64 exec, exec, s[6:7]
	s_and_saveexec_b64 s[6:7], s[4:5]
	s_cbranch_execz .LBB11_2028
.LBB11_2027:
	v_bfe_u32 v0, v7, 8, 3
	v_ffbh_u32_e32 v4, v0
	v_min_u32_e32 v4, 32, v4
	v_lshrrev_b16_e32 v2, 3, v1
	v_subrev_u32_e32 v5, 28, v4
	v_and_b32_e32 v2, 15, v2
	v_lshlrev_b32_e32 v1, v5, v1
	v_sub_u32_e32 v4, 29, v4
	v_and_b32_e32 v1, 7, v1
	v_cmp_eq_u16_e32 vcc, 0, v2
	v_cndmask_b32_e32 v0, v0, v1, vcc
	v_cndmask_b32_e32 v1, v2, v4, vcc
	v_lshlrev_b32_e32 v2, 16, v7
	v_mov_b32_e32 v4, 0x3b800000
	v_lshlrev_b32_e32 v0, 20, v0
	v_and_b32_e32 v2, 0x80000000, v2
	v_lshl_add_u32 v1, v1, 23, v4
	v_or3_b32 v0, v2, v1, v0
.LBB11_2028:
	s_or_b64 exec, exec, s[6:7]
	v_lshrrev_b32_e32 v1, 8, v3
	s_movk_i32 s4, 0x7f
	v_cmp_gt_i16_sdwa s[6:7], v1, s4 src0_sel:BYTE_0 src1_sel:DWORD
	s_mov_b64 s[4:5], 0
                                        ; implicit-def: $sgpr10
	s_and_saveexec_b64 s[8:9], s[6:7]
	s_xor_b64 s[6:7], exec, s[8:9]
	s_cbranch_execnz .LBB11_4077
; %bb.2029:
	s_or_saveexec_b64 s[6:7], s[6:7]
	v_mov_b32_e32 v2, s10
	s_xor_b64 exec, exec, s[6:7]
	s_cbranch_execnz .LBB11_4080
.LBB11_2030:
	s_or_b64 exec, exec, s[6:7]
	s_and_saveexec_b64 s[6:7], s[4:5]
	s_cbranch_execz .LBB11_2032
.LBB11_2031:
	v_bfe_u32 v2, v3, 8, 3
	v_ffbh_u32_e32 v5, v2
	v_min_u32_e32 v5, 32, v5
	v_lshrrev_b16_e32 v4, 3, v1
	v_subrev_u32_e32 v6, 28, v5
	v_and_b32_e32 v4, 15, v4
	v_lshlrev_b32_e32 v1, v6, v1
	v_sub_u32_e32 v5, 29, v5
	v_and_b32_e32 v1, 7, v1
	v_cmp_eq_u16_e32 vcc, 0, v4
	v_cndmask_b32_e32 v1, v2, v1, vcc
	v_cndmask_b32_e32 v2, v4, v5, vcc
	v_lshlrev_b32_e32 v4, 16, v3
	v_mov_b32_e32 v5, 0x3b800000
	v_lshlrev_b32_e32 v1, 20, v1
	v_and_b32_e32 v4, 0x80000000, v4
	v_lshl_add_u32 v2, v2, 23, v5
	v_or3_b32 v2, v4, v2, v1
.LBB11_2032:
	s_or_b64 exec, exec, s[6:7]
	s_nop 0
	v_mfma_f32_16x16x4f32 a[0:3], v0, v2, a[0:3]
	s_movk_i32 s4, 0xff
	v_and_b32_sdwa v1, v7, s4 dst_sel:DWORD dst_unused:UNUSED_PAD src0_sel:WORD_1 src1_sel:DWORD
	s_movk_i32 s4, 0x7f
	v_cmp_lt_i16_e32 vcc, s4, v1
	s_mov_b64 s[4:5], 0
                                        ; implicit-def: $sgpr10
	s_and_saveexec_b64 s[6:7], vcc
	s_xor_b64 s[6:7], exec, s[6:7]
	s_cbranch_execnz .LBB11_4081
; %bb.2033:
	s_or_saveexec_b64 s[6:7], s[6:7]
	v_mov_b32_e32 v0, s10
	s_xor_b64 exec, exec, s[6:7]
	s_cbranch_execnz .LBB11_4084
.LBB11_2034:
	s_or_b64 exec, exec, s[6:7]
	s_and_saveexec_b64 s[6:7], s[4:5]
	s_cbranch_execz .LBB11_2036
.LBB11_2035:
	v_bfe_u32 v0, v7, 16, 3
	v_ffbh_u32_e32 v4, v0
	v_min_u32_e32 v4, 32, v4
	v_lshrrev_b32_e32 v1, 19, v7
	v_subrev_u32_e32 v5, 28, v4
	v_and_b32_e32 v1, 15, v1
	v_lshlrev_b32_sdwa v5, v5, v7 dst_sel:DWORD dst_unused:UNUSED_PAD src0_sel:DWORD src1_sel:WORD_1
	v_bfe_u32 v2, v7, 19, 4
	v_sub_u32_e32 v4, 29, v4
	v_and_b32_e32 v5, 7, v5
	v_cmp_eq_u16_e32 vcc, 0, v1
	v_cndmask_b32_e32 v0, v0, v5, vcc
	v_cndmask_b32_e32 v1, v2, v4, vcc
	v_lshlrev_b32_e32 v2, 8, v7
	v_mov_b32_e32 v4, 0x3b800000
	v_lshlrev_b32_e32 v0, 20, v0
	v_and_b32_e32 v2, 0x80000000, v2
	v_lshl_add_u32 v1, v1, 23, v4
	v_or3_b32 v0, v2, v1, v0
.LBB11_2036:
	s_or_b64 exec, exec, s[6:7]
	s_movk_i32 s4, 0xff
	v_and_b32_sdwa v1, v3, s4 dst_sel:DWORD dst_unused:UNUSED_PAD src0_sel:WORD_1 src1_sel:DWORD
	s_movk_i32 s4, 0x7f
	v_cmp_lt_i16_e32 vcc, s4, v1
	s_mov_b64 s[4:5], 0
                                        ; implicit-def: $sgpr10
	s_and_saveexec_b64 s[6:7], vcc
	s_xor_b64 s[6:7], exec, s[6:7]
	s_cbranch_execnz .LBB11_4085
; %bb.2037:
	s_or_saveexec_b64 s[6:7], s[6:7]
	v_mov_b32_e32 v2, s10
	s_xor_b64 exec, exec, s[6:7]
	s_cbranch_execnz .LBB11_4088
.LBB11_2038:
	s_or_b64 exec, exec, s[6:7]
	s_and_saveexec_b64 s[6:7], s[4:5]
	s_cbranch_execz .LBB11_2040
.LBB11_2039:
	v_bfe_u32 v1, v3, 16, 3
	v_ffbh_u32_e32 v5, v1
	v_min_u32_e32 v5, 32, v5
	v_lshrrev_b32_e32 v2, 19, v3
	v_subrev_u32_e32 v6, 28, v5
	v_and_b32_e32 v2, 15, v2
	v_lshlrev_b32_sdwa v6, v6, v3 dst_sel:DWORD dst_unused:UNUSED_PAD src0_sel:DWORD src1_sel:WORD_1
	v_bfe_u32 v4, v3, 19, 4
	v_sub_u32_e32 v5, 29, v5
	v_and_b32_e32 v6, 7, v6
	v_cmp_eq_u16_e32 vcc, 0, v2
	v_cndmask_b32_e32 v1, v1, v6, vcc
	v_cndmask_b32_e32 v2, v4, v5, vcc
	v_lshlrev_b32_e32 v4, 8, v3
	v_mov_b32_e32 v5, 0x3b800000
	v_lshlrev_b32_e32 v1, 20, v1
	v_and_b32_e32 v4, 0x80000000, v4
	v_lshl_add_u32 v2, v2, 23, v5
	v_or3_b32 v2, v4, v2, v1
.LBB11_2040:
	s_or_b64 exec, exec, s[6:7]
	s_nop 0
	v_mfma_f32_16x16x4f32 a[0:3], v0, v2, a[0:3]
	s_movk_i32 s4, 0x7f
	v_cmp_gt_i16_sdwa s[6:7], v7, s4 src0_sel:BYTE_3 src1_sel:DWORD
	s_mov_b64 s[4:5], 0
                                        ; implicit-def: $sgpr10
	s_and_saveexec_b64 s[8:9], s[6:7]
	s_xor_b64 s[6:7], exec, s[8:9]
	s_cbranch_execnz .LBB11_4089
; %bb.2041:
	s_or_saveexec_b64 s[6:7], s[6:7]
	v_mov_b32_e32 v0, s10
	s_xor_b64 exec, exec, s[6:7]
	s_cbranch_execnz .LBB11_4092
.LBB11_2042:
	s_or_b64 exec, exec, s[6:7]
	s_and_saveexec_b64 s[6:7], s[4:5]
	s_cbranch_execz .LBB11_2044
.LBB11_2043:
	v_bfe_u32 v0, v7, 24, 3
	v_ffbh_u32_e32 v5, v0
	v_min_u32_e32 v5, 32, v5
	v_lshrrev_b32_e32 v2, 27, v7
	v_subrev_u32_e32 v6, 28, v5
	v_and_b32_e32 v2, 15, v2
	v_lshlrev_b32_sdwa v6, v6, v7 dst_sel:DWORD dst_unused:UNUSED_PAD src0_sel:DWORD src1_sel:BYTE_3
	v_bfe_u32 v4, v7, 27, 4
	v_sub_u32_e32 v5, 29, v5
	v_and_b32_e32 v6, 7, v6
	v_cmp_eq_u16_e32 vcc, 0, v2
	v_cndmask_b32_e32 v0, v0, v6, vcc
	v_cndmask_b32_e32 v2, v4, v5, vcc
	v_mov_b32_e32 v4, 0x3b800000
	v_and_b32_e32 v1, 0x80000000, v7
	v_lshlrev_b32_e32 v0, 20, v0
	v_lshl_add_u32 v2, v2, 23, v4
	v_or3_b32 v0, v1, v2, v0
.LBB11_2044:
	s_or_b64 exec, exec, s[6:7]
	s_movk_i32 s4, 0x7f
	v_cmp_gt_i16_sdwa s[6:7], v3, s4 src0_sel:BYTE_3 src1_sel:DWORD
	s_mov_b64 s[4:5], 0
                                        ; implicit-def: $sgpr10
	s_and_saveexec_b64 s[8:9], s[6:7]
	s_xor_b64 s[6:7], exec, s[8:9]
	s_cbranch_execnz .LBB11_4093
; %bb.2045:
	s_or_saveexec_b64 s[6:7], s[6:7]
	v_mov_b32_e32 v1, s10
	s_xor_b64 exec, exec, s[6:7]
	s_cbranch_execnz .LBB11_4096
.LBB11_2046:
	s_or_b64 exec, exec, s[6:7]
	s_and_saveexec_b64 s[6:7], s[4:5]
	s_cbranch_execz .LBB11_2048
.LBB11_2047:
	v_bfe_u32 v1, v3, 24, 3
	v_ffbh_u32_e32 v6, v1
	v_min_u32_e32 v6, 32, v6
	v_lshrrev_b32_e32 v4, 27, v3
	v_subrev_u32_e32 v7, 28, v6
	v_and_b32_e32 v2, 0x80000000, v3
	v_and_b32_e32 v4, 15, v4
	v_bfe_u32 v5, v3, 27, 4
	v_lshlrev_b32_sdwa v3, v7, v3 dst_sel:DWORD dst_unused:UNUSED_PAD src0_sel:DWORD src1_sel:BYTE_3
	v_sub_u32_e32 v6, 29, v6
	v_and_b32_e32 v3, 7, v3
	v_cmp_eq_u16_e32 vcc, 0, v4
	v_cndmask_b32_e32 v1, v1, v3, vcc
	v_cndmask_b32_e32 v3, v5, v6, vcc
	v_mov_b32_e32 v4, 0x3b800000
	v_lshlrev_b32_e32 v1, 20, v1
	v_lshl_add_u32 v3, v3, 23, v4
	v_or3_b32 v1, v2, v3, v1
.LBB11_2048:
	s_or_b64 exec, exec, s[6:7]
	s_nop 0
	v_mfma_f32_16x16x4f32 a[0:3], v0, v1, a[0:3]
	s_nop 7
	s_nop 2
	flat_store_dwordx4 v[16:17], a[0:3] offset:240
	s_waitcnt vmcnt(0) lgkmcnt(0)
	s_setpc_b64 s[30:31]
.LBB11_2049:
	s_movk_i32 s4, 0x80
	v_cmp_eq_u16_sdwa s[12:13], v14, s4 src0_sel:BYTE_0 src1_sel:DWORD
	s_mov_b64 s[4:5], -1
                                        ; implicit-def: $sgpr10
	s_and_saveexec_b64 s[8:9], s[12:13]
; %bb.2050:
	s_mov_b32 s10, 0x7f800001
	s_xor_b64 s[4:5], exec, -1
; %bb.2051:
	s_or_b64 exec, exec, s[8:9]
	s_and_b64 s[4:5], s[4:5], exec
	s_or_saveexec_b64 s[6:7], s[6:7]
	v_mov_b32_e32 v20, s10
	s_xor_b64 exec, exec, s[6:7]
	s_cbranch_execz .LBB11_2
.LBB11_2052:
	v_mov_b32_e32 v20, 0
	v_cmp_ne_u16_sdwa s[8:9], v14, v20 src0_sel:BYTE_0 src1_sel:DWORD
	s_andn2_b64 s[4:5], s[4:5], exec
	s_and_b64 s[8:9], s[8:9], exec
	s_or_b64 s[4:5], s[4:5], s[8:9]
	s_or_b64 exec, exec, s[6:7]
	s_and_saveexec_b64 s[6:7], s[4:5]
	s_cbranch_execnz .LBB11_3
	s_branch .LBB11_4
.LBB11_2053:
	s_movk_i32 s4, 0x80
	v_cmp_eq_u16_sdwa s[12:13], v10, s4 src0_sel:BYTE_0 src1_sel:DWORD
	s_mov_b64 s[4:5], -1
                                        ; implicit-def: $sgpr10
	s_and_saveexec_b64 s[8:9], s[12:13]
; %bb.2054:
	s_mov_b32 s10, 0x7f800001
	s_xor_b64 s[4:5], exec, -1
; %bb.2055:
	s_or_b64 exec, exec, s[8:9]
	s_and_b64 s[4:5], s[4:5], exec
	s_or_saveexec_b64 s[6:7], s[6:7]
	v_mov_b32_e32 v21, s10
	s_xor_b64 exec, exec, s[6:7]
	s_cbranch_execz .LBB11_6
.LBB11_2056:
	v_mov_b32_e32 v21, 0
	v_cmp_ne_u16_sdwa s[8:9], v10, v21 src0_sel:BYTE_0 src1_sel:DWORD
	s_andn2_b64 s[4:5], s[4:5], exec
	s_and_b64 s[8:9], s[8:9], exec
	s_or_b64 s[4:5], s[4:5], s[8:9]
	s_or_b64 exec, exec, s[6:7]
	s_and_saveexec_b64 s[6:7], s[4:5]
	s_cbranch_execnz .LBB11_7
	s_branch .LBB11_8
.LBB11_2057:
	s_movk_i32 s4, 0x80
	v_cmp_eq_u16_sdwa s[12:13], v21, s4 src0_sel:BYTE_0 src1_sel:DWORD
	s_mov_b64 s[4:5], -1
                                        ; implicit-def: $sgpr10
	s_and_saveexec_b64 s[8:9], s[12:13]
; %bb.2058:
	s_mov_b32 s10, 0x7f800001
	s_xor_b64 s[4:5], exec, -1
; %bb.2059:
	s_or_b64 exec, exec, s[8:9]
	s_and_b64 s[4:5], s[4:5], exec
	s_or_saveexec_b64 s[6:7], s[6:7]
	v_mov_b32_e32 v20, s10
	s_xor_b64 exec, exec, s[6:7]
	s_cbranch_execz .LBB11_10
.LBB11_2060:
	v_mov_b32_e32 v20, 0
	v_cmp_ne_u16_sdwa s[8:9], v21, v20 src0_sel:BYTE_0 src1_sel:DWORD
	s_andn2_b64 s[4:5], s[4:5], exec
	s_and_b64 s[8:9], s[8:9], exec
	s_or_b64 s[4:5], s[4:5], s[8:9]
	s_or_b64 exec, exec, s[6:7]
	s_and_saveexec_b64 s[6:7], s[4:5]
	s_cbranch_execnz .LBB11_11
	s_branch .LBB11_12
.LBB11_2061:
	s_movk_i32 s4, 0x80
	v_cmp_eq_u16_sdwa s[12:13], v21, s4 src0_sel:BYTE_0 src1_sel:DWORD
	s_mov_b64 s[4:5], -1
                                        ; implicit-def: $sgpr10
	s_and_saveexec_b64 s[8:9], s[12:13]
; %bb.2062:
	s_mov_b32 s10, 0x7f800001
	s_xor_b64 s[4:5], exec, -1
; %bb.2063:
	s_or_b64 exec, exec, s[8:9]
	s_and_b64 s[4:5], s[4:5], exec
	s_or_saveexec_b64 s[6:7], s[6:7]
	v_mov_b32_e32 v22, s10
	s_xor_b64 exec, exec, s[6:7]
	s_cbranch_execz .LBB11_14
.LBB11_2064:
	v_mov_b32_e32 v22, 0
	v_cmp_ne_u16_sdwa s[8:9], v21, v22 src0_sel:BYTE_0 src1_sel:DWORD
	s_andn2_b64 s[4:5], s[4:5], exec
	s_and_b64 s[8:9], s[8:9], exec
	s_or_b64 s[4:5], s[4:5], s[8:9]
	s_or_b64 exec, exec, s[6:7]
	s_and_saveexec_b64 s[6:7], s[4:5]
	s_cbranch_execnz .LBB11_15
	s_branch .LBB11_16
.LBB11_2065:
	s_movk_i32 s4, 0x80
	v_cmp_eq_u16_e32 vcc, s4, v21
	s_mov_b64 s[4:5], -1
                                        ; implicit-def: $sgpr10
	s_and_saveexec_b64 s[8:9], vcc
; %bb.2066:
	s_mov_b32 s10, 0x7f800001
	s_xor_b64 s[4:5], exec, -1
; %bb.2067:
	s_or_b64 exec, exec, s[8:9]
	s_and_b64 s[4:5], s[4:5], exec
                                        ; implicit-def: $vgpr21
	s_or_saveexec_b64 s[6:7], s[6:7]
	v_mov_b32_e32 v20, s10
	s_xor_b64 exec, exec, s[6:7]
	s_cbranch_execz .LBB11_18
.LBB11_2068:
	v_cmp_ne_u16_e32 vcc, 0, v21
	s_andn2_b64 s[4:5], s[4:5], exec
	s_and_b64 s[8:9], vcc, exec
	v_mov_b32_e32 v20, 0
	s_or_b64 s[4:5], s[4:5], s[8:9]
	s_or_b64 exec, exec, s[6:7]
	s_and_saveexec_b64 s[6:7], s[4:5]
	s_cbranch_execnz .LBB11_19
	s_branch .LBB11_20
.LBB11_2069:
	s_movk_i32 s4, 0x80
	v_cmp_eq_u16_e32 vcc, s4, v21
	s_mov_b64 s[4:5], -1
                                        ; implicit-def: $sgpr10
	s_and_saveexec_b64 s[8:9], vcc
; %bb.2070:
	s_mov_b32 s10, 0x7f800001
	s_xor_b64 s[4:5], exec, -1
; %bb.2071:
	s_or_b64 exec, exec, s[8:9]
	s_and_b64 s[4:5], s[4:5], exec
                                        ; implicit-def: $vgpr21
	s_or_saveexec_b64 s[6:7], s[6:7]
	v_mov_b32_e32 v22, s10
	s_xor_b64 exec, exec, s[6:7]
	s_cbranch_execz .LBB11_22
.LBB11_2072:
	v_cmp_ne_u16_e32 vcc, 0, v21
	s_andn2_b64 s[4:5], s[4:5], exec
	s_and_b64 s[8:9], vcc, exec
	v_mov_b32_e32 v22, 0
	s_or_b64 s[4:5], s[4:5], s[8:9]
	s_or_b64 exec, exec, s[6:7]
	s_and_saveexec_b64 s[6:7], s[4:5]
	s_cbranch_execnz .LBB11_23
	s_branch .LBB11_24
.LBB11_2073:
	s_movk_i32 s4, 0x80
	v_cmp_eq_u16_sdwa s[12:13], v14, s4 src0_sel:BYTE_3 src1_sel:DWORD
	s_mov_b64 s[4:5], -1
                                        ; implicit-def: $sgpr10
	s_and_saveexec_b64 s[8:9], s[12:13]
; %bb.2074:
	s_mov_b32 s10, 0x7f800001
	s_xor_b64 s[4:5], exec, -1
; %bb.2075:
	s_or_b64 exec, exec, s[8:9]
	s_and_b64 s[4:5], s[4:5], exec
	s_or_saveexec_b64 s[6:7], s[6:7]
	v_mov_b32_e32 v20, s10
	s_xor_b64 exec, exec, s[6:7]
	s_cbranch_execz .LBB11_26
.LBB11_2076:
	v_mov_b32_e32 v20, 0
	v_cmp_ne_u16_sdwa s[8:9], v14, v20 src0_sel:BYTE_3 src1_sel:DWORD
	s_andn2_b64 s[4:5], s[4:5], exec
	s_and_b64 s[8:9], s[8:9], exec
	s_or_b64 s[4:5], s[4:5], s[8:9]
	s_or_b64 exec, exec, s[6:7]
	s_and_saveexec_b64 s[6:7], s[4:5]
	s_cbranch_execnz .LBB11_27
	s_branch .LBB11_28
.LBB11_2077:
	s_movk_i32 s4, 0x80
	v_cmp_eq_u16_sdwa s[12:13], v10, s4 src0_sel:BYTE_3 src1_sel:DWORD
	s_mov_b64 s[4:5], -1
                                        ; implicit-def: $sgpr10
	s_and_saveexec_b64 s[8:9], s[12:13]
; %bb.2078:
	s_mov_b32 s10, 0x7f800001
	s_xor_b64 s[4:5], exec, -1
; %bb.2079:
	s_or_b64 exec, exec, s[8:9]
	s_and_b64 s[4:5], s[4:5], exec
	s_or_saveexec_b64 s[6:7], s[6:7]
	v_mov_b32_e32 v14, s10
	s_xor_b64 exec, exec, s[6:7]
	s_cbranch_execz .LBB11_30
.LBB11_2080:
	v_mov_b32_e32 v14, 0
	v_cmp_ne_u16_sdwa s[8:9], v10, v14 src0_sel:BYTE_3 src1_sel:DWORD
	s_andn2_b64 s[4:5], s[4:5], exec
	s_and_b64 s[8:9], s[8:9], exec
	s_or_b64 s[4:5], s[4:5], s[8:9]
	s_or_b64 exec, exec, s[6:7]
	s_and_saveexec_b64 s[6:7], s[4:5]
	s_cbranch_execnz .LBB11_31
	s_branch .LBB11_32
.LBB11_2081:
	s_movk_i32 s4, 0x80
	v_cmp_eq_u16_sdwa s[12:13], v15, s4 src0_sel:BYTE_0 src1_sel:DWORD
	s_mov_b64 s[4:5], -1
                                        ; implicit-def: $sgpr10
	s_and_saveexec_b64 s[8:9], s[12:13]
; %bb.2082:
	s_mov_b32 s10, 0x7f800001
	s_xor_b64 s[4:5], exec, -1
; %bb.2083:
	s_or_b64 exec, exec, s[8:9]
	s_and_b64 s[4:5], s[4:5], exec
	s_or_saveexec_b64 s[6:7], s[6:7]
	v_mov_b32_e32 v10, s10
	s_xor_b64 exec, exec, s[6:7]
	s_cbranch_execz .LBB11_34
.LBB11_2084:
	v_mov_b32_e32 v10, 0
	v_cmp_ne_u16_sdwa s[8:9], v15, v10 src0_sel:BYTE_0 src1_sel:DWORD
	s_andn2_b64 s[4:5], s[4:5], exec
	s_and_b64 s[8:9], s[8:9], exec
	s_or_b64 s[4:5], s[4:5], s[8:9]
	s_or_b64 exec, exec, s[6:7]
	s_and_saveexec_b64 s[6:7], s[4:5]
	s_cbranch_execnz .LBB11_35
	s_branch .LBB11_36
.LBB11_2085:
	s_movk_i32 s4, 0x80
	v_cmp_eq_u16_sdwa s[12:13], v11, s4 src0_sel:BYTE_0 src1_sel:DWORD
	s_mov_b64 s[4:5], -1
                                        ; implicit-def: $sgpr10
	s_and_saveexec_b64 s[8:9], s[12:13]
; %bb.2086:
	s_mov_b32 s10, 0x7f800001
	s_xor_b64 s[4:5], exec, -1
; %bb.2087:
	s_or_b64 exec, exec, s[8:9]
	s_and_b64 s[4:5], s[4:5], exec
	s_or_saveexec_b64 s[6:7], s[6:7]
	v_mov_b32_e32 v14, s10
	s_xor_b64 exec, exec, s[6:7]
	s_cbranch_execz .LBB11_38
.LBB11_2088:
	v_mov_b32_e32 v14, 0
	v_cmp_ne_u16_sdwa s[8:9], v11, v14 src0_sel:BYTE_0 src1_sel:DWORD
	s_andn2_b64 s[4:5], s[4:5], exec
	s_and_b64 s[8:9], s[8:9], exec
	s_or_b64 s[4:5], s[4:5], s[8:9]
	s_or_b64 exec, exec, s[6:7]
	s_and_saveexec_b64 s[6:7], s[4:5]
	s_cbranch_execnz .LBB11_39
	s_branch .LBB11_40
.LBB11_2089:
	s_movk_i32 s4, 0x80
	v_cmp_eq_u16_sdwa s[12:13], v14, s4 src0_sel:BYTE_0 src1_sel:DWORD
	s_mov_b64 s[4:5], -1
                                        ; implicit-def: $sgpr10
	s_and_saveexec_b64 s[8:9], s[12:13]
; %bb.2090:
	s_mov_b32 s10, 0x7f800001
	s_xor_b64 s[4:5], exec, -1
; %bb.2091:
	s_or_b64 exec, exec, s[8:9]
	s_and_b64 s[4:5], s[4:5], exec
	s_or_saveexec_b64 s[6:7], s[6:7]
	v_mov_b32_e32 v10, s10
	s_xor_b64 exec, exec, s[6:7]
	s_cbranch_execz .LBB11_42
.LBB11_2092:
	v_mov_b32_e32 v10, 0
	v_cmp_ne_u16_sdwa s[8:9], v14, v10 src0_sel:BYTE_0 src1_sel:DWORD
	s_andn2_b64 s[4:5], s[4:5], exec
	s_and_b64 s[8:9], s[8:9], exec
	s_or_b64 s[4:5], s[4:5], s[8:9]
	s_or_b64 exec, exec, s[6:7]
	s_and_saveexec_b64 s[6:7], s[4:5]
	s_cbranch_execnz .LBB11_43
	s_branch .LBB11_44
.LBB11_2093:
	s_movk_i32 s4, 0x80
	v_cmp_eq_u16_sdwa s[12:13], v14, s4 src0_sel:BYTE_0 src1_sel:DWORD
	s_mov_b64 s[4:5], -1
                                        ; implicit-def: $sgpr10
	s_and_saveexec_b64 s[8:9], s[12:13]
; %bb.2094:
	s_mov_b32 s10, 0x7f800001
	s_xor_b64 s[4:5], exec, -1
; %bb.2095:
	s_or_b64 exec, exec, s[8:9]
	s_and_b64 s[4:5], s[4:5], exec
	s_or_saveexec_b64 s[6:7], s[6:7]
	v_mov_b32_e32 v20, s10
	s_xor_b64 exec, exec, s[6:7]
	s_cbranch_execz .LBB11_46
.LBB11_2096:
	v_mov_b32_e32 v20, 0
	v_cmp_ne_u16_sdwa s[8:9], v14, v20 src0_sel:BYTE_0 src1_sel:DWORD
	s_andn2_b64 s[4:5], s[4:5], exec
	s_and_b64 s[8:9], s[8:9], exec
	s_or_b64 s[4:5], s[4:5], s[8:9]
	s_or_b64 exec, exec, s[6:7]
	s_and_saveexec_b64 s[6:7], s[4:5]
	s_cbranch_execnz .LBB11_47
	s_branch .LBB11_48
.LBB11_2097:
	s_movk_i32 s4, 0x80
	v_cmp_eq_u16_e32 vcc, s4, v14
	s_mov_b64 s[4:5], -1
                                        ; implicit-def: $sgpr10
	s_and_saveexec_b64 s[8:9], vcc
; %bb.2098:
	s_mov_b32 s10, 0x7f800001
	s_xor_b64 s[4:5], exec, -1
; %bb.2099:
	s_or_b64 exec, exec, s[8:9]
	s_and_b64 s[4:5], s[4:5], exec
                                        ; implicit-def: $vgpr14
	s_or_saveexec_b64 s[6:7], s[6:7]
	v_mov_b32_e32 v10, s10
	s_xor_b64 exec, exec, s[6:7]
	s_cbranch_execz .LBB11_50
.LBB11_2100:
	v_cmp_ne_u16_e32 vcc, 0, v14
	s_andn2_b64 s[4:5], s[4:5], exec
	s_and_b64 s[8:9], vcc, exec
	v_mov_b32_e32 v10, 0
	s_or_b64 s[4:5], s[4:5], s[8:9]
	s_or_b64 exec, exec, s[6:7]
	s_and_saveexec_b64 s[6:7], s[4:5]
	s_cbranch_execnz .LBB11_51
	s_branch .LBB11_52
.LBB11_2101:
	s_movk_i32 s4, 0x80
	v_cmp_eq_u16_e32 vcc, s4, v14
	s_mov_b64 s[4:5], -1
                                        ; implicit-def: $sgpr10
	s_and_saveexec_b64 s[8:9], vcc
; %bb.2102:
	s_mov_b32 s10, 0x7f800001
	s_xor_b64 s[4:5], exec, -1
; %bb.2103:
	s_or_b64 exec, exec, s[8:9]
	s_and_b64 s[4:5], s[4:5], exec
                                        ; implicit-def: $vgpr14
	s_or_saveexec_b64 s[6:7], s[6:7]
	v_mov_b32_e32 v20, s10
	s_xor_b64 exec, exec, s[6:7]
	s_cbranch_execz .LBB11_54
.LBB11_2104:
	v_cmp_ne_u16_e32 vcc, 0, v14
	s_andn2_b64 s[4:5], s[4:5], exec
	s_and_b64 s[8:9], vcc, exec
	v_mov_b32_e32 v20, 0
	s_or_b64 s[4:5], s[4:5], s[8:9]
	s_or_b64 exec, exec, s[6:7]
	s_and_saveexec_b64 s[6:7], s[4:5]
	s_cbranch_execnz .LBB11_55
	s_branch .LBB11_56
.LBB11_2105:
	s_movk_i32 s4, 0x80
	v_cmp_eq_u16_sdwa s[12:13], v15, s4 src0_sel:BYTE_3 src1_sel:DWORD
	s_mov_b64 s[4:5], -1
                                        ; implicit-def: $sgpr10
	s_and_saveexec_b64 s[8:9], s[12:13]
; %bb.2106:
	s_mov_b32 s10, 0x7f800001
	s_xor_b64 s[4:5], exec, -1
; %bb.2107:
	s_or_b64 exec, exec, s[8:9]
	s_and_b64 s[4:5], s[4:5], exec
	s_or_saveexec_b64 s[6:7], s[6:7]
	v_mov_b32_e32 v10, s10
	s_xor_b64 exec, exec, s[6:7]
	s_cbranch_execz .LBB11_58
.LBB11_2108:
	v_mov_b32_e32 v10, 0
	v_cmp_ne_u16_sdwa s[8:9], v15, v10 src0_sel:BYTE_3 src1_sel:DWORD
	s_andn2_b64 s[4:5], s[4:5], exec
	s_and_b64 s[8:9], s[8:9], exec
	s_or_b64 s[4:5], s[4:5], s[8:9]
	s_or_b64 exec, exec, s[6:7]
	s_and_saveexec_b64 s[6:7], s[4:5]
	s_cbranch_execnz .LBB11_59
	s_branch .LBB11_60
.LBB11_2109:
	s_movk_i32 s4, 0x80
	v_cmp_eq_u16_sdwa s[12:13], v11, s4 src0_sel:BYTE_3 src1_sel:DWORD
	s_mov_b64 s[4:5], -1
                                        ; implicit-def: $sgpr10
	s_and_saveexec_b64 s[8:9], s[12:13]
; %bb.2110:
	s_mov_b32 s10, 0x7f800001
	s_xor_b64 s[4:5], exec, -1
; %bb.2111:
	s_or_b64 exec, exec, s[8:9]
	s_and_b64 s[4:5], s[4:5], exec
	s_or_saveexec_b64 s[6:7], s[6:7]
	v_mov_b32_e32 v14, s10
	s_xor_b64 exec, exec, s[6:7]
	s_cbranch_execz .LBB11_62
.LBB11_2112:
	v_mov_b32_e32 v14, 0
	v_cmp_ne_u16_sdwa s[8:9], v11, v14 src0_sel:BYTE_3 src1_sel:DWORD
	s_andn2_b64 s[4:5], s[4:5], exec
	s_and_b64 s[8:9], s[8:9], exec
	s_or_b64 s[4:5], s[4:5], s[8:9]
	s_or_b64 exec, exec, s[6:7]
	s_and_saveexec_b64 s[6:7], s[4:5]
	s_cbranch_execnz .LBB11_63
	s_branch .LBB11_64
.LBB11_2113:
	s_movk_i32 s4, 0x80
	v_cmp_eq_u16_sdwa s[12:13], v16, s4 src0_sel:BYTE_0 src1_sel:DWORD
	s_mov_b64 s[4:5], -1
                                        ; implicit-def: $sgpr10
	s_and_saveexec_b64 s[8:9], s[12:13]
; %bb.2114:
	s_mov_b32 s10, 0x7f800001
	s_xor_b64 s[4:5], exec, -1
; %bb.2115:
	s_or_b64 exec, exec, s[8:9]
	s_and_b64 s[4:5], s[4:5], exec
	s_or_saveexec_b64 s[6:7], s[6:7]
	v_mov_b32_e32 v10, s10
	s_xor_b64 exec, exec, s[6:7]
	s_cbranch_execz .LBB11_66
.LBB11_2116:
	v_mov_b32_e32 v10, 0
	v_cmp_ne_u16_sdwa s[8:9], v16, v10 src0_sel:BYTE_0 src1_sel:DWORD
	s_andn2_b64 s[4:5], s[4:5], exec
	s_and_b64 s[8:9], s[8:9], exec
	s_or_b64 s[4:5], s[4:5], s[8:9]
	s_or_b64 exec, exec, s[6:7]
	s_and_saveexec_b64 s[6:7], s[4:5]
	s_cbranch_execnz .LBB11_67
	s_branch .LBB11_68
.LBB11_2117:
	s_movk_i32 s4, 0x80
	v_cmp_eq_u16_sdwa s[12:13], v12, s4 src0_sel:BYTE_0 src1_sel:DWORD
	s_mov_b64 s[4:5], -1
                                        ; implicit-def: $sgpr10
	s_and_saveexec_b64 s[8:9], s[12:13]
; %bb.2118:
	s_mov_b32 s10, 0x7f800001
	s_xor_b64 s[4:5], exec, -1
; %bb.2119:
	s_or_b64 exec, exec, s[8:9]
	s_and_b64 s[4:5], s[4:5], exec
	s_or_saveexec_b64 s[6:7], s[6:7]
	v_mov_b32_e32 v11, s10
	s_xor_b64 exec, exec, s[6:7]
	s_cbranch_execz .LBB11_70
.LBB11_2120:
	v_mov_b32_e32 v11, 0
	v_cmp_ne_u16_sdwa s[8:9], v12, v11 src0_sel:BYTE_0 src1_sel:DWORD
	s_andn2_b64 s[4:5], s[4:5], exec
	s_and_b64 s[8:9], s[8:9], exec
	s_or_b64 s[4:5], s[4:5], s[8:9]
	s_or_b64 exec, exec, s[6:7]
	s_and_saveexec_b64 s[6:7], s[4:5]
	s_cbranch_execnz .LBB11_71
	s_branch .LBB11_72
.LBB11_2121:
	s_movk_i32 s4, 0x80
	v_cmp_eq_u16_sdwa s[12:13], v11, s4 src0_sel:BYTE_0 src1_sel:DWORD
	s_mov_b64 s[4:5], -1
                                        ; implicit-def: $sgpr10
	s_and_saveexec_b64 s[8:9], s[12:13]
; %bb.2122:
	s_mov_b32 s10, 0x7f800001
	s_xor_b64 s[4:5], exec, -1
; %bb.2123:
	s_or_b64 exec, exec, s[8:9]
	s_and_b64 s[4:5], s[4:5], exec
	s_or_saveexec_b64 s[6:7], s[6:7]
	v_mov_b32_e32 v10, s10
	s_xor_b64 exec, exec, s[6:7]
	s_cbranch_execz .LBB11_74
.LBB11_2124:
	v_mov_b32_e32 v10, 0
	v_cmp_ne_u16_sdwa s[8:9], v11, v10 src0_sel:BYTE_0 src1_sel:DWORD
	s_andn2_b64 s[4:5], s[4:5], exec
	s_and_b64 s[8:9], s[8:9], exec
	s_or_b64 s[4:5], s[4:5], s[8:9]
	s_or_b64 exec, exec, s[6:7]
	s_and_saveexec_b64 s[6:7], s[4:5]
	s_cbranch_execnz .LBB11_75
	s_branch .LBB11_76
.LBB11_2125:
	s_movk_i32 s4, 0x80
	v_cmp_eq_u16_sdwa s[12:13], v11, s4 src0_sel:BYTE_0 src1_sel:DWORD
	s_mov_b64 s[4:5], -1
                                        ; implicit-def: $sgpr10
	s_and_saveexec_b64 s[8:9], s[12:13]
; %bb.2126:
	s_mov_b32 s10, 0x7f800001
	s_xor_b64 s[4:5], exec, -1
; %bb.2127:
	s_or_b64 exec, exec, s[8:9]
	s_and_b64 s[4:5], s[4:5], exec
	s_or_saveexec_b64 s[6:7], s[6:7]
	v_mov_b32_e32 v14, s10
	s_xor_b64 exec, exec, s[6:7]
	s_cbranch_execz .LBB11_78
.LBB11_2128:
	v_mov_b32_e32 v14, 0
	v_cmp_ne_u16_sdwa s[8:9], v11, v14 src0_sel:BYTE_0 src1_sel:DWORD
	s_andn2_b64 s[4:5], s[4:5], exec
	s_and_b64 s[8:9], s[8:9], exec
	s_or_b64 s[4:5], s[4:5], s[8:9]
	s_or_b64 exec, exec, s[6:7]
	s_and_saveexec_b64 s[6:7], s[4:5]
	s_cbranch_execnz .LBB11_79
	s_branch .LBB11_80
.LBB11_2129:
	s_movk_i32 s4, 0x80
	v_cmp_eq_u16_e32 vcc, s4, v11
	s_mov_b64 s[4:5], -1
                                        ; implicit-def: $sgpr10
	s_and_saveexec_b64 s[8:9], vcc
; %bb.2130:
	s_mov_b32 s10, 0x7f800001
	s_xor_b64 s[4:5], exec, -1
; %bb.2131:
	s_or_b64 exec, exec, s[8:9]
	s_and_b64 s[4:5], s[4:5], exec
                                        ; implicit-def: $vgpr11
	s_or_saveexec_b64 s[6:7], s[6:7]
	v_mov_b32_e32 v10, s10
	s_xor_b64 exec, exec, s[6:7]
	s_cbranch_execz .LBB11_82
.LBB11_2132:
	v_cmp_ne_u16_e32 vcc, 0, v11
	s_andn2_b64 s[4:5], s[4:5], exec
	s_and_b64 s[8:9], vcc, exec
	v_mov_b32_e32 v10, 0
	s_or_b64 s[4:5], s[4:5], s[8:9]
	s_or_b64 exec, exec, s[6:7]
	s_and_saveexec_b64 s[6:7], s[4:5]
	s_cbranch_execnz .LBB11_83
	s_branch .LBB11_84
.LBB11_2133:
	s_movk_i32 s4, 0x80
	v_cmp_eq_u16_e32 vcc, s4, v11
	s_mov_b64 s[4:5], -1
                                        ; implicit-def: $sgpr10
	s_and_saveexec_b64 s[8:9], vcc
; %bb.2134:
	s_mov_b32 s10, 0x7f800001
	s_xor_b64 s[4:5], exec, -1
; %bb.2135:
	s_or_b64 exec, exec, s[8:9]
	s_and_b64 s[4:5], s[4:5], exec
                                        ; implicit-def: $vgpr11
	s_or_saveexec_b64 s[6:7], s[6:7]
	v_mov_b32_e32 v14, s10
	s_xor_b64 exec, exec, s[6:7]
	s_cbranch_execz .LBB11_86
.LBB11_2136:
	v_cmp_ne_u16_e32 vcc, 0, v11
	s_andn2_b64 s[4:5], s[4:5], exec
	s_and_b64 s[8:9], vcc, exec
	v_mov_b32_e32 v14, 0
	s_or_b64 s[4:5], s[4:5], s[8:9]
	s_or_b64 exec, exec, s[6:7]
	s_and_saveexec_b64 s[6:7], s[4:5]
	s_cbranch_execnz .LBB11_87
	s_branch .LBB11_88
.LBB11_2137:
	s_movk_i32 s4, 0x80
	v_cmp_eq_u16_sdwa s[12:13], v16, s4 src0_sel:BYTE_3 src1_sel:DWORD
	s_mov_b64 s[4:5], -1
                                        ; implicit-def: $sgpr10
	s_and_saveexec_b64 s[8:9], s[12:13]
; %bb.2138:
	s_mov_b32 s10, 0x7f800001
	s_xor_b64 s[4:5], exec, -1
; %bb.2139:
	s_or_b64 exec, exec, s[8:9]
	s_and_b64 s[4:5], s[4:5], exec
	s_or_saveexec_b64 s[6:7], s[6:7]
	v_mov_b32_e32 v10, s10
	s_xor_b64 exec, exec, s[6:7]
	s_cbranch_execz .LBB11_90
.LBB11_2140:
	v_mov_b32_e32 v10, 0
	v_cmp_ne_u16_sdwa s[8:9], v16, v10 src0_sel:BYTE_3 src1_sel:DWORD
	s_andn2_b64 s[4:5], s[4:5], exec
	s_and_b64 s[8:9], s[8:9], exec
	s_or_b64 s[4:5], s[4:5], s[8:9]
	s_or_b64 exec, exec, s[6:7]
	s_and_saveexec_b64 s[6:7], s[4:5]
	s_cbranch_execnz .LBB11_91
	s_branch .LBB11_92
.LBB11_2141:
	s_movk_i32 s4, 0x80
	v_cmp_eq_u16_sdwa s[12:13], v12, s4 src0_sel:BYTE_3 src1_sel:DWORD
	s_mov_b64 s[4:5], -1
                                        ; implicit-def: $sgpr10
	s_and_saveexec_b64 s[8:9], s[12:13]
; %bb.2142:
	s_mov_b32 s10, 0x7f800001
	s_xor_b64 s[4:5], exec, -1
; %bb.2143:
	s_or_b64 exec, exec, s[8:9]
	s_and_b64 s[4:5], s[4:5], exec
	s_or_saveexec_b64 s[6:7], s[6:7]
	v_mov_b32_e32 v11, s10
	s_xor_b64 exec, exec, s[6:7]
	s_cbranch_execz .LBB11_94
.LBB11_2144:
	v_mov_b32_e32 v11, 0
	v_cmp_ne_u16_sdwa s[8:9], v12, v11 src0_sel:BYTE_3 src1_sel:DWORD
	s_andn2_b64 s[4:5], s[4:5], exec
	s_and_b64 s[8:9], s[8:9], exec
	s_or_b64 s[4:5], s[4:5], s[8:9]
	s_or_b64 exec, exec, s[6:7]
	s_and_saveexec_b64 s[6:7], s[4:5]
	s_cbranch_execnz .LBB11_95
	s_branch .LBB11_96
.LBB11_2145:
	s_movk_i32 s4, 0x80
	v_cmp_eq_u16_sdwa s[12:13], v17, s4 src0_sel:BYTE_0 src1_sel:DWORD
	s_mov_b64 s[4:5], -1
                                        ; implicit-def: $sgpr10
	s_and_saveexec_b64 s[8:9], s[12:13]
; %bb.2146:
	s_mov_b32 s10, 0x7f800001
	s_xor_b64 s[4:5], exec, -1
; %bb.2147:
	s_or_b64 exec, exec, s[8:9]
	s_and_b64 s[4:5], s[4:5], exec
	s_or_saveexec_b64 s[6:7], s[6:7]
	v_mov_b32_e32 v10, s10
	s_xor_b64 exec, exec, s[6:7]
	s_cbranch_execz .LBB11_98
.LBB11_2148:
	v_mov_b32_e32 v10, 0
	v_cmp_ne_u16_sdwa s[8:9], v17, v10 src0_sel:BYTE_0 src1_sel:DWORD
	s_andn2_b64 s[4:5], s[4:5], exec
	s_and_b64 s[8:9], s[8:9], exec
	s_or_b64 s[4:5], s[4:5], s[8:9]
	s_or_b64 exec, exec, s[6:7]
	s_and_saveexec_b64 s[6:7], s[4:5]
	s_cbranch_execnz .LBB11_99
	s_branch .LBB11_100
.LBB11_2149:
	s_movk_i32 s4, 0x80
	v_cmp_eq_u16_sdwa s[12:13], v13, s4 src0_sel:BYTE_0 src1_sel:DWORD
	s_mov_b64 s[4:5], -1
                                        ; implicit-def: $sgpr10
	s_and_saveexec_b64 s[8:9], s[12:13]
; %bb.2150:
	s_mov_b32 s10, 0x7f800001
	s_xor_b64 s[4:5], exec, -1
; %bb.2151:
	s_or_b64 exec, exec, s[8:9]
	s_and_b64 s[4:5], s[4:5], exec
	s_or_saveexec_b64 s[6:7], s[6:7]
	v_mov_b32_e32 v11, s10
	s_xor_b64 exec, exec, s[6:7]
	s_cbranch_execz .LBB11_102
.LBB11_2152:
	v_mov_b32_e32 v11, 0
	v_cmp_ne_u16_sdwa s[8:9], v13, v11 src0_sel:BYTE_0 src1_sel:DWORD
	s_andn2_b64 s[4:5], s[4:5], exec
	s_and_b64 s[8:9], s[8:9], exec
	s_or_b64 s[4:5], s[4:5], s[8:9]
	s_or_b64 exec, exec, s[6:7]
	s_and_saveexec_b64 s[6:7], s[4:5]
	s_cbranch_execnz .LBB11_103
	s_branch .LBB11_104
.LBB11_2153:
	s_movk_i32 s4, 0x80
	v_cmp_eq_u16_sdwa s[12:13], v11, s4 src0_sel:BYTE_0 src1_sel:DWORD
	s_mov_b64 s[4:5], -1
                                        ; implicit-def: $sgpr10
	s_and_saveexec_b64 s[8:9], s[12:13]
; %bb.2154:
	s_mov_b32 s10, 0x7f800001
	s_xor_b64 s[4:5], exec, -1
; %bb.2155:
	s_or_b64 exec, exec, s[8:9]
	s_and_b64 s[4:5], s[4:5], exec
	s_or_saveexec_b64 s[6:7], s[6:7]
	v_mov_b32_e32 v10, s10
	s_xor_b64 exec, exec, s[6:7]
	s_cbranch_execz .LBB11_106
.LBB11_2156:
	v_mov_b32_e32 v10, 0
	v_cmp_ne_u16_sdwa s[8:9], v11, v10 src0_sel:BYTE_0 src1_sel:DWORD
	s_andn2_b64 s[4:5], s[4:5], exec
	s_and_b64 s[8:9], s[8:9], exec
	s_or_b64 s[4:5], s[4:5], s[8:9]
	s_or_b64 exec, exec, s[6:7]
	s_and_saveexec_b64 s[6:7], s[4:5]
	s_cbranch_execnz .LBB11_107
	s_branch .LBB11_108
.LBB11_2157:
	s_movk_i32 s4, 0x80
	v_cmp_eq_u16_sdwa s[12:13], v11, s4 src0_sel:BYTE_0 src1_sel:DWORD
	s_mov_b64 s[4:5], -1
                                        ; implicit-def: $sgpr10
	s_and_saveexec_b64 s[8:9], s[12:13]
; %bb.2158:
	s_mov_b32 s10, 0x7f800001
	s_xor_b64 s[4:5], exec, -1
; %bb.2159:
	s_or_b64 exec, exec, s[8:9]
	s_and_b64 s[4:5], s[4:5], exec
	s_or_saveexec_b64 s[6:7], s[6:7]
	v_mov_b32_e32 v12, s10
	s_xor_b64 exec, exec, s[6:7]
	s_cbranch_execz .LBB11_110
.LBB11_2160:
	v_mov_b32_e32 v12, 0
	v_cmp_ne_u16_sdwa s[8:9], v11, v12 src0_sel:BYTE_0 src1_sel:DWORD
	s_andn2_b64 s[4:5], s[4:5], exec
	s_and_b64 s[8:9], s[8:9], exec
	s_or_b64 s[4:5], s[4:5], s[8:9]
	s_or_b64 exec, exec, s[6:7]
	s_and_saveexec_b64 s[6:7], s[4:5]
	s_cbranch_execnz .LBB11_111
	s_branch .LBB11_112
.LBB11_2161:
	s_movk_i32 s4, 0x80
	v_cmp_eq_u16_e32 vcc, s4, v11
	s_mov_b64 s[4:5], -1
                                        ; implicit-def: $sgpr10
	s_and_saveexec_b64 s[8:9], vcc
; %bb.2162:
	s_mov_b32 s10, 0x7f800001
	s_xor_b64 s[4:5], exec, -1
; %bb.2163:
	s_or_b64 exec, exec, s[8:9]
	s_and_b64 s[4:5], s[4:5], exec
                                        ; implicit-def: $vgpr11
	s_or_saveexec_b64 s[6:7], s[6:7]
	v_mov_b32_e32 v10, s10
	s_xor_b64 exec, exec, s[6:7]
	s_cbranch_execz .LBB11_114
.LBB11_2164:
	v_cmp_ne_u16_e32 vcc, 0, v11
	s_andn2_b64 s[4:5], s[4:5], exec
	s_and_b64 s[8:9], vcc, exec
	v_mov_b32_e32 v10, 0
	s_or_b64 s[4:5], s[4:5], s[8:9]
	s_or_b64 exec, exec, s[6:7]
	s_and_saveexec_b64 s[6:7], s[4:5]
	s_cbranch_execnz .LBB11_115
	s_branch .LBB11_116
.LBB11_2165:
	s_movk_i32 s4, 0x80
	v_cmp_eq_u16_e32 vcc, s4, v11
	s_mov_b64 s[4:5], -1
                                        ; implicit-def: $sgpr10
	s_and_saveexec_b64 s[8:9], vcc
; %bb.2166:
	s_mov_b32 s10, 0x7f800001
	s_xor_b64 s[4:5], exec, -1
; %bb.2167:
	s_or_b64 exec, exec, s[8:9]
	s_and_b64 s[4:5], s[4:5], exec
                                        ; implicit-def: $vgpr11
	s_or_saveexec_b64 s[6:7], s[6:7]
	v_mov_b32_e32 v12, s10
	s_xor_b64 exec, exec, s[6:7]
	s_cbranch_execz .LBB11_118
.LBB11_2168:
	v_cmp_ne_u16_e32 vcc, 0, v11
	s_andn2_b64 s[4:5], s[4:5], exec
	s_and_b64 s[8:9], vcc, exec
	v_mov_b32_e32 v12, 0
	s_or_b64 s[4:5], s[4:5], s[8:9]
	s_or_b64 exec, exec, s[6:7]
	s_and_saveexec_b64 s[6:7], s[4:5]
	s_cbranch_execnz .LBB11_119
	s_branch .LBB11_120
.LBB11_2169:
	s_movk_i32 s4, 0x80
	v_cmp_eq_u16_sdwa s[12:13], v17, s4 src0_sel:BYTE_3 src1_sel:DWORD
	s_mov_b64 s[4:5], -1
                                        ; implicit-def: $sgpr10
	s_and_saveexec_b64 s[8:9], s[12:13]
; %bb.2170:
	s_mov_b32 s10, 0x7f800001
	s_xor_b64 s[4:5], exec, -1
; %bb.2171:
	s_or_b64 exec, exec, s[8:9]
	s_and_b64 s[4:5], s[4:5], exec
	s_or_saveexec_b64 s[6:7], s[6:7]
	v_mov_b32_e32 v10, s10
	s_xor_b64 exec, exec, s[6:7]
	s_cbranch_execz .LBB11_122
.LBB11_2172:
	v_mov_b32_e32 v10, 0
	v_cmp_ne_u16_sdwa s[8:9], v17, v10 src0_sel:BYTE_3 src1_sel:DWORD
	s_andn2_b64 s[4:5], s[4:5], exec
	s_and_b64 s[8:9], s[8:9], exec
	s_or_b64 s[4:5], s[4:5], s[8:9]
	s_or_b64 exec, exec, s[6:7]
	s_and_saveexec_b64 s[6:7], s[4:5]
	s_cbranch_execnz .LBB11_123
	s_branch .LBB11_124
.LBB11_2173:
	s_movk_i32 s4, 0x80
	v_cmp_eq_u16_sdwa s[12:13], v13, s4 src0_sel:BYTE_3 src1_sel:DWORD
	s_mov_b64 s[4:5], -1
                                        ; implicit-def: $sgpr10
	s_and_saveexec_b64 s[8:9], s[12:13]
; %bb.2174:
	s_mov_b32 s10, 0x7f800001
	s_xor_b64 s[4:5], exec, -1
; %bb.2175:
	s_or_b64 exec, exec, s[8:9]
	s_and_b64 s[4:5], s[4:5], exec
	s_or_saveexec_b64 s[6:7], s[6:7]
	v_mov_b32_e32 v11, s10
	s_xor_b64 exec, exec, s[6:7]
	s_cbranch_execz .LBB11_126
.LBB11_2176:
	v_mov_b32_e32 v11, 0
	v_cmp_ne_u16_sdwa s[8:9], v13, v11 src0_sel:BYTE_3 src1_sel:DWORD
	s_andn2_b64 s[4:5], s[4:5], exec
	s_and_b64 s[8:9], s[8:9], exec
	s_or_b64 s[4:5], s[4:5], s[8:9]
	s_or_b64 exec, exec, s[6:7]
	s_and_saveexec_b64 s[6:7], s[4:5]
	s_cbranch_execnz .LBB11_127
	s_branch .LBB11_128
.LBB11_2177:
	s_movk_i32 s4, 0x80
	v_cmp_eq_u16_sdwa s[12:13], v6, s4 src0_sel:BYTE_0 src1_sel:DWORD
	s_mov_b64 s[4:5], -1
                                        ; implicit-def: $sgpr10
	s_and_saveexec_b64 s[8:9], s[12:13]
; %bb.2178:
	s_mov_b32 s10, 0x7f800001
	s_xor_b64 s[4:5], exec, -1
; %bb.2179:
	s_or_b64 exec, exec, s[8:9]
	s_and_b64 s[4:5], s[4:5], exec
	s_or_saveexec_b64 s[6:7], s[6:7]
	v_mov_b32_e32 v10, s10
	s_xor_b64 exec, exec, s[6:7]
	s_cbranch_execz .LBB11_130
.LBB11_2180:
	v_mov_b32_e32 v10, 0
	v_cmp_ne_u16_sdwa s[8:9], v6, v10 src0_sel:BYTE_0 src1_sel:DWORD
	s_andn2_b64 s[4:5], s[4:5], exec
	s_and_b64 s[8:9], s[8:9], exec
	s_or_b64 s[4:5], s[4:5], s[8:9]
	s_or_b64 exec, exec, s[6:7]
	s_and_saveexec_b64 s[6:7], s[4:5]
	s_cbranch_execnz .LBB11_131
	s_branch .LBB11_132
.LBB11_2181:
	s_movk_i32 s4, 0x80
	v_cmp_eq_u16_sdwa s[12:13], v2, s4 src0_sel:BYTE_0 src1_sel:DWORD
	s_mov_b64 s[4:5], -1
                                        ; implicit-def: $sgpr10
	s_and_saveexec_b64 s[8:9], s[12:13]
; %bb.2182:
	s_mov_b32 s10, 0x7f800001
	s_xor_b64 s[4:5], exec, -1
; %bb.2183:
	s_or_b64 exec, exec, s[8:9]
	s_and_b64 s[4:5], s[4:5], exec
	s_or_saveexec_b64 s[6:7], s[6:7]
	v_mov_b32_e32 v11, s10
	s_xor_b64 exec, exec, s[6:7]
	s_cbranch_execz .LBB11_134
.LBB11_2184:
	v_mov_b32_e32 v11, 0
	v_cmp_ne_u16_sdwa s[8:9], v2, v11 src0_sel:BYTE_0 src1_sel:DWORD
	s_andn2_b64 s[4:5], s[4:5], exec
	s_and_b64 s[8:9], s[8:9], exec
	s_or_b64 s[4:5], s[4:5], s[8:9]
	s_or_b64 exec, exec, s[6:7]
	s_and_saveexec_b64 s[6:7], s[4:5]
	s_cbranch_execnz .LBB11_135
	s_branch .LBB11_136
.LBB11_2185:
	s_movk_i32 s4, 0x80
	v_cmp_eq_u16_sdwa s[12:13], v11, s4 src0_sel:BYTE_0 src1_sel:DWORD
	s_mov_b64 s[4:5], -1
                                        ; implicit-def: $sgpr10
	s_and_saveexec_b64 s[8:9], s[12:13]
; %bb.2186:
	s_mov_b32 s10, 0x7f800001
	s_xor_b64 s[4:5], exec, -1
; %bb.2187:
	s_or_b64 exec, exec, s[8:9]
	s_and_b64 s[4:5], s[4:5], exec
	s_or_saveexec_b64 s[6:7], s[6:7]
	v_mov_b32_e32 v10, s10
	s_xor_b64 exec, exec, s[6:7]
	s_cbranch_execz .LBB11_138
.LBB11_2188:
	v_mov_b32_e32 v10, 0
	v_cmp_ne_u16_sdwa s[8:9], v11, v10 src0_sel:BYTE_0 src1_sel:DWORD
	s_andn2_b64 s[4:5], s[4:5], exec
	s_and_b64 s[8:9], s[8:9], exec
	s_or_b64 s[4:5], s[4:5], s[8:9]
	s_or_b64 exec, exec, s[6:7]
	s_and_saveexec_b64 s[6:7], s[4:5]
	s_cbranch_execnz .LBB11_139
	s_branch .LBB11_140
.LBB11_2189:
	s_movk_i32 s4, 0x80
	v_cmp_eq_u16_sdwa s[12:13], v11, s4 src0_sel:BYTE_0 src1_sel:DWORD
	s_mov_b64 s[4:5], -1
                                        ; implicit-def: $sgpr10
	s_and_saveexec_b64 s[8:9], s[12:13]
; %bb.2190:
	s_mov_b32 s10, 0x7f800001
	s_xor_b64 s[4:5], exec, -1
; %bb.2191:
	s_or_b64 exec, exec, s[8:9]
	s_and_b64 s[4:5], s[4:5], exec
	s_or_saveexec_b64 s[6:7], s[6:7]
	v_mov_b32_e32 v12, s10
	s_xor_b64 exec, exec, s[6:7]
	s_cbranch_execz .LBB11_142
.LBB11_2192:
	v_mov_b32_e32 v12, 0
	v_cmp_ne_u16_sdwa s[8:9], v11, v12 src0_sel:BYTE_0 src1_sel:DWORD
	s_andn2_b64 s[4:5], s[4:5], exec
	s_and_b64 s[8:9], s[8:9], exec
	s_or_b64 s[4:5], s[4:5], s[8:9]
	s_or_b64 exec, exec, s[6:7]
	s_and_saveexec_b64 s[6:7], s[4:5]
	s_cbranch_execnz .LBB11_143
	s_branch .LBB11_144
.LBB11_2193:
	s_movk_i32 s4, 0x80
	v_cmp_eq_u16_e32 vcc, s4, v11
	s_mov_b64 s[4:5], -1
                                        ; implicit-def: $sgpr10
	s_and_saveexec_b64 s[8:9], vcc
; %bb.2194:
	s_mov_b32 s10, 0x7f800001
	s_xor_b64 s[4:5], exec, -1
; %bb.2195:
	s_or_b64 exec, exec, s[8:9]
	s_and_b64 s[4:5], s[4:5], exec
                                        ; implicit-def: $vgpr11
	s_or_saveexec_b64 s[6:7], s[6:7]
	v_mov_b32_e32 v10, s10
	s_xor_b64 exec, exec, s[6:7]
	s_cbranch_execz .LBB11_146
.LBB11_2196:
	v_cmp_ne_u16_e32 vcc, 0, v11
	s_andn2_b64 s[4:5], s[4:5], exec
	s_and_b64 s[8:9], vcc, exec
	v_mov_b32_e32 v10, 0
	s_or_b64 s[4:5], s[4:5], s[8:9]
	s_or_b64 exec, exec, s[6:7]
	s_and_saveexec_b64 s[6:7], s[4:5]
	s_cbranch_execnz .LBB11_147
	s_branch .LBB11_148
.LBB11_2197:
	s_movk_i32 s4, 0x80
	v_cmp_eq_u16_e32 vcc, s4, v11
	s_mov_b64 s[4:5], -1
                                        ; implicit-def: $sgpr10
	s_and_saveexec_b64 s[8:9], vcc
; %bb.2198:
	s_mov_b32 s10, 0x7f800001
	s_xor_b64 s[4:5], exec, -1
; %bb.2199:
	s_or_b64 exec, exec, s[8:9]
	s_and_b64 s[4:5], s[4:5], exec
                                        ; implicit-def: $vgpr11
	s_or_saveexec_b64 s[6:7], s[6:7]
	v_mov_b32_e32 v12, s10
	s_xor_b64 exec, exec, s[6:7]
	s_cbranch_execz .LBB11_150
.LBB11_2200:
	v_cmp_ne_u16_e32 vcc, 0, v11
	s_andn2_b64 s[4:5], s[4:5], exec
	s_and_b64 s[8:9], vcc, exec
	v_mov_b32_e32 v12, 0
	s_or_b64 s[4:5], s[4:5], s[8:9]
	s_or_b64 exec, exec, s[6:7]
	s_and_saveexec_b64 s[6:7], s[4:5]
	s_cbranch_execnz .LBB11_151
	s_branch .LBB11_152
.LBB11_2201:
	s_movk_i32 s4, 0x80
	v_cmp_eq_u16_sdwa s[12:13], v6, s4 src0_sel:BYTE_3 src1_sel:DWORD
	s_mov_b64 s[4:5], -1
                                        ; implicit-def: $sgpr10
	s_and_saveexec_b64 s[8:9], s[12:13]
; %bb.2202:
	s_mov_b32 s10, 0x7f800001
	s_xor_b64 s[4:5], exec, -1
; %bb.2203:
	s_or_b64 exec, exec, s[8:9]
	s_and_b64 s[4:5], s[4:5], exec
	s_or_saveexec_b64 s[6:7], s[6:7]
	v_mov_b32_e32 v10, s10
	s_xor_b64 exec, exec, s[6:7]
	s_cbranch_execz .LBB11_154
.LBB11_2204:
	v_mov_b32_e32 v10, 0
	v_cmp_ne_u16_sdwa s[8:9], v6, v10 src0_sel:BYTE_3 src1_sel:DWORD
	s_andn2_b64 s[4:5], s[4:5], exec
	s_and_b64 s[8:9], s[8:9], exec
	s_or_b64 s[4:5], s[4:5], s[8:9]
	s_or_b64 exec, exec, s[6:7]
	s_and_saveexec_b64 s[6:7], s[4:5]
	s_cbranch_execnz .LBB11_155
	s_branch .LBB11_156
.LBB11_2205:
	s_movk_i32 s4, 0x80
	v_cmp_eq_u16_sdwa s[12:13], v2, s4 src0_sel:BYTE_3 src1_sel:DWORD
	s_mov_b64 s[4:5], -1
                                        ; implicit-def: $sgpr10
	s_and_saveexec_b64 s[8:9], s[12:13]
; %bb.2206:
	s_mov_b32 s10, 0x7f800001
	s_xor_b64 s[4:5], exec, -1
; %bb.2207:
	s_or_b64 exec, exec, s[8:9]
	s_and_b64 s[4:5], s[4:5], exec
	s_or_saveexec_b64 s[6:7], s[6:7]
	v_mov_b32_e32 v6, s10
	s_xor_b64 exec, exec, s[6:7]
	s_cbranch_execz .LBB11_158
.LBB11_2208:
	v_mov_b32_e32 v6, 0
	v_cmp_ne_u16_sdwa s[8:9], v2, v6 src0_sel:BYTE_3 src1_sel:DWORD
	s_andn2_b64 s[4:5], s[4:5], exec
	s_and_b64 s[8:9], s[8:9], exec
	s_or_b64 s[4:5], s[4:5], s[8:9]
	s_or_b64 exec, exec, s[6:7]
	s_and_saveexec_b64 s[6:7], s[4:5]
	s_cbranch_execnz .LBB11_159
	s_branch .LBB11_160
.LBB11_2209:
	s_movk_i32 s4, 0x80
	v_cmp_eq_u16_sdwa s[12:13], v7, s4 src0_sel:BYTE_0 src1_sel:DWORD
	s_mov_b64 s[4:5], -1
                                        ; implicit-def: $sgpr10
	s_and_saveexec_b64 s[8:9], s[12:13]
; %bb.2210:
	s_mov_b32 s10, 0x7f800001
	s_xor_b64 s[4:5], exec, -1
; %bb.2211:
	s_or_b64 exec, exec, s[8:9]
	s_and_b64 s[4:5], s[4:5], exec
	s_or_saveexec_b64 s[6:7], s[6:7]
	v_mov_b32_e32 v2, s10
	s_xor_b64 exec, exec, s[6:7]
	s_cbranch_execz .LBB11_162
.LBB11_2212:
	v_mov_b32_e32 v2, 0
	v_cmp_ne_u16_sdwa s[8:9], v7, v2 src0_sel:BYTE_0 src1_sel:DWORD
	s_andn2_b64 s[4:5], s[4:5], exec
	s_and_b64 s[8:9], s[8:9], exec
	s_or_b64 s[4:5], s[4:5], s[8:9]
	s_or_b64 exec, exec, s[6:7]
	s_and_saveexec_b64 s[6:7], s[4:5]
	s_cbranch_execnz .LBB11_163
	s_branch .LBB11_164
.LBB11_2213:
	s_movk_i32 s4, 0x80
	v_cmp_eq_u16_sdwa s[12:13], v3, s4 src0_sel:BYTE_0 src1_sel:DWORD
	s_mov_b64 s[4:5], -1
                                        ; implicit-def: $sgpr10
	s_and_saveexec_b64 s[8:9], s[12:13]
; %bb.2214:
	s_mov_b32 s10, 0x7f800001
	s_xor_b64 s[4:5], exec, -1
; %bb.2215:
	s_or_b64 exec, exec, s[8:9]
	s_and_b64 s[4:5], s[4:5], exec
	s_or_saveexec_b64 s[6:7], s[6:7]
	v_mov_b32_e32 v6, s10
	s_xor_b64 exec, exec, s[6:7]
	s_cbranch_execz .LBB11_166
.LBB11_2216:
	v_mov_b32_e32 v6, 0
	v_cmp_ne_u16_sdwa s[8:9], v3, v6 src0_sel:BYTE_0 src1_sel:DWORD
	s_andn2_b64 s[4:5], s[4:5], exec
	s_and_b64 s[8:9], s[8:9], exec
	s_or_b64 s[4:5], s[4:5], s[8:9]
	s_or_b64 exec, exec, s[6:7]
	s_and_saveexec_b64 s[6:7], s[4:5]
	s_cbranch_execnz .LBB11_167
	s_branch .LBB11_168
.LBB11_2217:
	s_movk_i32 s4, 0x80
	v_cmp_eq_u16_sdwa s[12:13], v6, s4 src0_sel:BYTE_0 src1_sel:DWORD
	s_mov_b64 s[4:5], -1
                                        ; implicit-def: $sgpr10
	s_and_saveexec_b64 s[8:9], s[12:13]
; %bb.2218:
	s_mov_b32 s10, 0x7f800001
	s_xor_b64 s[4:5], exec, -1
; %bb.2219:
	s_or_b64 exec, exec, s[8:9]
	s_and_b64 s[4:5], s[4:5], exec
	s_or_saveexec_b64 s[6:7], s[6:7]
	v_mov_b32_e32 v2, s10
	s_xor_b64 exec, exec, s[6:7]
	s_cbranch_execz .LBB11_170
.LBB11_2220:
	v_mov_b32_e32 v2, 0
	v_cmp_ne_u16_sdwa s[8:9], v6, v2 src0_sel:BYTE_0 src1_sel:DWORD
	s_andn2_b64 s[4:5], s[4:5], exec
	s_and_b64 s[8:9], s[8:9], exec
	s_or_b64 s[4:5], s[4:5], s[8:9]
	s_or_b64 exec, exec, s[6:7]
	s_and_saveexec_b64 s[6:7], s[4:5]
	s_cbranch_execnz .LBB11_171
	s_branch .LBB11_172
.LBB11_2221:
	s_movk_i32 s4, 0x80
	v_cmp_eq_u16_sdwa s[12:13], v6, s4 src0_sel:BYTE_0 src1_sel:DWORD
	s_mov_b64 s[4:5], -1
                                        ; implicit-def: $sgpr10
	s_and_saveexec_b64 s[8:9], s[12:13]
; %bb.2222:
	s_mov_b32 s10, 0x7f800001
	s_xor_b64 s[4:5], exec, -1
; %bb.2223:
	s_or_b64 exec, exec, s[8:9]
	s_and_b64 s[4:5], s[4:5], exec
	s_or_saveexec_b64 s[6:7], s[6:7]
	v_mov_b32_e32 v10, s10
	s_xor_b64 exec, exec, s[6:7]
	s_cbranch_execz .LBB11_174
.LBB11_2224:
	v_mov_b32_e32 v10, 0
	v_cmp_ne_u16_sdwa s[8:9], v6, v10 src0_sel:BYTE_0 src1_sel:DWORD
	s_andn2_b64 s[4:5], s[4:5], exec
	s_and_b64 s[8:9], s[8:9], exec
	s_or_b64 s[4:5], s[4:5], s[8:9]
	s_or_b64 exec, exec, s[6:7]
	s_and_saveexec_b64 s[6:7], s[4:5]
	s_cbranch_execnz .LBB11_175
	s_branch .LBB11_176
.LBB11_2225:
	s_movk_i32 s4, 0x80
	v_cmp_eq_u16_e32 vcc, s4, v6
	s_mov_b64 s[4:5], -1
                                        ; implicit-def: $sgpr10
	s_and_saveexec_b64 s[8:9], vcc
; %bb.2226:
	s_mov_b32 s10, 0x7f800001
	s_xor_b64 s[4:5], exec, -1
; %bb.2227:
	s_or_b64 exec, exec, s[8:9]
	s_and_b64 s[4:5], s[4:5], exec
                                        ; implicit-def: $vgpr6
	s_or_saveexec_b64 s[6:7], s[6:7]
	v_mov_b32_e32 v2, s10
	s_xor_b64 exec, exec, s[6:7]
	s_cbranch_execz .LBB11_178
.LBB11_2228:
	v_cmp_ne_u16_e32 vcc, 0, v6
	s_andn2_b64 s[4:5], s[4:5], exec
	s_and_b64 s[8:9], vcc, exec
	v_mov_b32_e32 v2, 0
	s_or_b64 s[4:5], s[4:5], s[8:9]
	s_or_b64 exec, exec, s[6:7]
	s_and_saveexec_b64 s[6:7], s[4:5]
	s_cbranch_execnz .LBB11_179
	s_branch .LBB11_180
.LBB11_2229:
	s_movk_i32 s4, 0x80
	v_cmp_eq_u16_e32 vcc, s4, v6
	s_mov_b64 s[4:5], -1
                                        ; implicit-def: $sgpr10
	s_and_saveexec_b64 s[8:9], vcc
; %bb.2230:
	s_mov_b32 s10, 0x7f800001
	s_xor_b64 s[4:5], exec, -1
; %bb.2231:
	s_or_b64 exec, exec, s[8:9]
	s_and_b64 s[4:5], s[4:5], exec
                                        ; implicit-def: $vgpr6
	s_or_saveexec_b64 s[6:7], s[6:7]
	v_mov_b32_e32 v10, s10
	s_xor_b64 exec, exec, s[6:7]
	s_cbranch_execz .LBB11_182
.LBB11_2232:
	v_cmp_ne_u16_e32 vcc, 0, v6
	s_andn2_b64 s[4:5], s[4:5], exec
	s_and_b64 s[8:9], vcc, exec
	v_mov_b32_e32 v10, 0
	s_or_b64 s[4:5], s[4:5], s[8:9]
	s_or_b64 exec, exec, s[6:7]
	s_and_saveexec_b64 s[6:7], s[4:5]
	s_cbranch_execnz .LBB11_183
	s_branch .LBB11_184
.LBB11_2233:
	s_movk_i32 s4, 0x80
	v_cmp_eq_u16_sdwa s[12:13], v7, s4 src0_sel:BYTE_3 src1_sel:DWORD
	s_mov_b64 s[4:5], -1
                                        ; implicit-def: $sgpr10
	s_and_saveexec_b64 s[8:9], s[12:13]
; %bb.2234:
	s_mov_b32 s10, 0x7f800001
	s_xor_b64 s[4:5], exec, -1
; %bb.2235:
	s_or_b64 exec, exec, s[8:9]
	s_and_b64 s[4:5], s[4:5], exec
	s_or_saveexec_b64 s[6:7], s[6:7]
	v_mov_b32_e32 v2, s10
	s_xor_b64 exec, exec, s[6:7]
	s_cbranch_execz .LBB11_186
.LBB11_2236:
	v_mov_b32_e32 v2, 0
	v_cmp_ne_u16_sdwa s[8:9], v7, v2 src0_sel:BYTE_3 src1_sel:DWORD
	s_andn2_b64 s[4:5], s[4:5], exec
	s_and_b64 s[8:9], s[8:9], exec
	s_or_b64 s[4:5], s[4:5], s[8:9]
	s_or_b64 exec, exec, s[6:7]
	s_and_saveexec_b64 s[6:7], s[4:5]
	s_cbranch_execnz .LBB11_187
	s_branch .LBB11_188
.LBB11_2237:
	s_movk_i32 s4, 0x80
	v_cmp_eq_u16_sdwa s[12:13], v3, s4 src0_sel:BYTE_3 src1_sel:DWORD
	s_mov_b64 s[4:5], -1
                                        ; implicit-def: $sgpr10
	s_and_saveexec_b64 s[8:9], s[12:13]
; %bb.2238:
	s_mov_b32 s10, 0x7f800001
	s_xor_b64 s[4:5], exec, -1
; %bb.2239:
	s_or_b64 exec, exec, s[8:9]
	s_and_b64 s[4:5], s[4:5], exec
	s_or_saveexec_b64 s[6:7], s[6:7]
	v_mov_b32_e32 v6, s10
	s_xor_b64 exec, exec, s[6:7]
	s_cbranch_execz .LBB11_190
.LBB11_2240:
	v_mov_b32_e32 v6, 0
	v_cmp_ne_u16_sdwa s[8:9], v3, v6 src0_sel:BYTE_3 src1_sel:DWORD
	s_andn2_b64 s[4:5], s[4:5], exec
	s_and_b64 s[8:9], s[8:9], exec
	s_or_b64 s[4:5], s[4:5], s[8:9]
	s_or_b64 exec, exec, s[6:7]
	s_and_saveexec_b64 s[6:7], s[4:5]
	s_cbranch_execnz .LBB11_191
	s_branch .LBB11_192
.LBB11_2241:
	s_movk_i32 s4, 0x80
	v_cmp_eq_u16_sdwa s[12:13], v8, s4 src0_sel:BYTE_0 src1_sel:DWORD
	s_mov_b64 s[4:5], -1
                                        ; implicit-def: $sgpr10
	s_and_saveexec_b64 s[8:9], s[12:13]
; %bb.2242:
	s_mov_b32 s10, 0x7f800001
	s_xor_b64 s[4:5], exec, -1
; %bb.2243:
	s_or_b64 exec, exec, s[8:9]
	s_and_b64 s[4:5], s[4:5], exec
	s_or_saveexec_b64 s[6:7], s[6:7]
	v_mov_b32_e32 v2, s10
	s_xor_b64 exec, exec, s[6:7]
	s_cbranch_execz .LBB11_194
.LBB11_2244:
	v_mov_b32_e32 v2, 0
	v_cmp_ne_u16_sdwa s[8:9], v8, v2 src0_sel:BYTE_0 src1_sel:DWORD
	s_andn2_b64 s[4:5], s[4:5], exec
	s_and_b64 s[8:9], s[8:9], exec
	s_or_b64 s[4:5], s[4:5], s[8:9]
	s_or_b64 exec, exec, s[6:7]
	s_and_saveexec_b64 s[6:7], s[4:5]
	s_cbranch_execnz .LBB11_195
	s_branch .LBB11_196
.LBB11_2245:
	s_movk_i32 s4, 0x80
	v_cmp_eq_u16_sdwa s[12:13], v4, s4 src0_sel:BYTE_0 src1_sel:DWORD
	s_mov_b64 s[4:5], -1
                                        ; implicit-def: $sgpr10
	s_and_saveexec_b64 s[8:9], s[12:13]
; %bb.2246:
	s_mov_b32 s10, 0x7f800001
	s_xor_b64 s[4:5], exec, -1
; %bb.2247:
	s_or_b64 exec, exec, s[8:9]
	s_and_b64 s[4:5], s[4:5], exec
	s_or_saveexec_b64 s[6:7], s[6:7]
	v_mov_b32_e32 v3, s10
	s_xor_b64 exec, exec, s[6:7]
	s_cbranch_execz .LBB11_198
.LBB11_2248:
	v_mov_b32_e32 v3, 0
	v_cmp_ne_u16_sdwa s[8:9], v4, v3 src0_sel:BYTE_0 src1_sel:DWORD
	s_andn2_b64 s[4:5], s[4:5], exec
	s_and_b64 s[8:9], s[8:9], exec
	s_or_b64 s[4:5], s[4:5], s[8:9]
	s_or_b64 exec, exec, s[6:7]
	s_and_saveexec_b64 s[6:7], s[4:5]
	s_cbranch_execnz .LBB11_199
	s_branch .LBB11_200
.LBB11_2249:
	s_movk_i32 s4, 0x80
	v_cmp_eq_u16_sdwa s[12:13], v3, s4 src0_sel:BYTE_0 src1_sel:DWORD
	s_mov_b64 s[4:5], -1
                                        ; implicit-def: $sgpr10
	s_and_saveexec_b64 s[8:9], s[12:13]
; %bb.2250:
	s_mov_b32 s10, 0x7f800001
	s_xor_b64 s[4:5], exec, -1
; %bb.2251:
	s_or_b64 exec, exec, s[8:9]
	s_and_b64 s[4:5], s[4:5], exec
	s_or_saveexec_b64 s[6:7], s[6:7]
	v_mov_b32_e32 v2, s10
	s_xor_b64 exec, exec, s[6:7]
	s_cbranch_execz .LBB11_202
.LBB11_2252:
	v_mov_b32_e32 v2, 0
	v_cmp_ne_u16_sdwa s[8:9], v3, v2 src0_sel:BYTE_0 src1_sel:DWORD
	s_andn2_b64 s[4:5], s[4:5], exec
	s_and_b64 s[8:9], s[8:9], exec
	s_or_b64 s[4:5], s[4:5], s[8:9]
	s_or_b64 exec, exec, s[6:7]
	s_and_saveexec_b64 s[6:7], s[4:5]
	s_cbranch_execnz .LBB11_203
	s_branch .LBB11_204
.LBB11_2253:
	s_movk_i32 s4, 0x80
	v_cmp_eq_u16_sdwa s[12:13], v3, s4 src0_sel:BYTE_0 src1_sel:DWORD
	s_mov_b64 s[4:5], -1
                                        ; implicit-def: $sgpr10
	s_and_saveexec_b64 s[8:9], s[12:13]
; %bb.2254:
	s_mov_b32 s10, 0x7f800001
	s_xor_b64 s[4:5], exec, -1
; %bb.2255:
	s_or_b64 exec, exec, s[8:9]
	s_and_b64 s[4:5], s[4:5], exec
	s_or_saveexec_b64 s[6:7], s[6:7]
	v_mov_b32_e32 v6, s10
	s_xor_b64 exec, exec, s[6:7]
	s_cbranch_execz .LBB11_206
.LBB11_2256:
	v_mov_b32_e32 v6, 0
	v_cmp_ne_u16_sdwa s[8:9], v3, v6 src0_sel:BYTE_0 src1_sel:DWORD
	s_andn2_b64 s[4:5], s[4:5], exec
	s_and_b64 s[8:9], s[8:9], exec
	s_or_b64 s[4:5], s[4:5], s[8:9]
	s_or_b64 exec, exec, s[6:7]
	s_and_saveexec_b64 s[6:7], s[4:5]
	s_cbranch_execnz .LBB11_207
	s_branch .LBB11_208
.LBB11_2257:
	s_movk_i32 s4, 0x80
	v_cmp_eq_u16_e32 vcc, s4, v3
	s_mov_b64 s[4:5], -1
                                        ; implicit-def: $sgpr10
	s_and_saveexec_b64 s[8:9], vcc
; %bb.2258:
	s_mov_b32 s10, 0x7f800001
	s_xor_b64 s[4:5], exec, -1
; %bb.2259:
	s_or_b64 exec, exec, s[8:9]
	s_and_b64 s[4:5], s[4:5], exec
                                        ; implicit-def: $vgpr3
	s_or_saveexec_b64 s[6:7], s[6:7]
	v_mov_b32_e32 v2, s10
	s_xor_b64 exec, exec, s[6:7]
	s_cbranch_execz .LBB11_210
.LBB11_2260:
	v_cmp_ne_u16_e32 vcc, 0, v3
	s_andn2_b64 s[4:5], s[4:5], exec
	s_and_b64 s[8:9], vcc, exec
	v_mov_b32_e32 v2, 0
	s_or_b64 s[4:5], s[4:5], s[8:9]
	s_or_b64 exec, exec, s[6:7]
	s_and_saveexec_b64 s[6:7], s[4:5]
	s_cbranch_execnz .LBB11_211
	s_branch .LBB11_212
.LBB11_2261:
	s_movk_i32 s4, 0x80
	v_cmp_eq_u16_e32 vcc, s4, v3
	s_mov_b64 s[4:5], -1
                                        ; implicit-def: $sgpr10
	s_and_saveexec_b64 s[8:9], vcc
; %bb.2262:
	s_mov_b32 s10, 0x7f800001
	s_xor_b64 s[4:5], exec, -1
; %bb.2263:
	s_or_b64 exec, exec, s[8:9]
	s_and_b64 s[4:5], s[4:5], exec
                                        ; implicit-def: $vgpr3
	s_or_saveexec_b64 s[6:7], s[6:7]
	v_mov_b32_e32 v6, s10
	s_xor_b64 exec, exec, s[6:7]
	s_cbranch_execz .LBB11_214
.LBB11_2264:
	v_cmp_ne_u16_e32 vcc, 0, v3
	s_andn2_b64 s[4:5], s[4:5], exec
	s_and_b64 s[8:9], vcc, exec
	v_mov_b32_e32 v6, 0
	s_or_b64 s[4:5], s[4:5], s[8:9]
	s_or_b64 exec, exec, s[6:7]
	s_and_saveexec_b64 s[6:7], s[4:5]
	s_cbranch_execnz .LBB11_215
	s_branch .LBB11_216
.LBB11_2265:
	s_movk_i32 s4, 0x80
	v_cmp_eq_u16_sdwa s[12:13], v8, s4 src0_sel:BYTE_3 src1_sel:DWORD
	s_mov_b64 s[4:5], -1
                                        ; implicit-def: $sgpr10
	s_and_saveexec_b64 s[8:9], s[12:13]
; %bb.2266:
	s_mov_b32 s10, 0x7f800001
	s_xor_b64 s[4:5], exec, -1
; %bb.2267:
	s_or_b64 exec, exec, s[8:9]
	s_and_b64 s[4:5], s[4:5], exec
	s_or_saveexec_b64 s[6:7], s[6:7]
	v_mov_b32_e32 v2, s10
	s_xor_b64 exec, exec, s[6:7]
	s_cbranch_execz .LBB11_218
.LBB11_2268:
	v_mov_b32_e32 v2, 0
	v_cmp_ne_u16_sdwa s[8:9], v8, v2 src0_sel:BYTE_3 src1_sel:DWORD
	s_andn2_b64 s[4:5], s[4:5], exec
	s_and_b64 s[8:9], s[8:9], exec
	s_or_b64 s[4:5], s[4:5], s[8:9]
	s_or_b64 exec, exec, s[6:7]
	s_and_saveexec_b64 s[6:7], s[4:5]
	s_cbranch_execnz .LBB11_219
	s_branch .LBB11_220
.LBB11_2269:
	s_movk_i32 s4, 0x80
	v_cmp_eq_u16_sdwa s[12:13], v4, s4 src0_sel:BYTE_3 src1_sel:DWORD
	s_mov_b64 s[4:5], -1
                                        ; implicit-def: $sgpr10
	s_and_saveexec_b64 s[8:9], s[12:13]
; %bb.2270:
	s_mov_b32 s10, 0x7f800001
	s_xor_b64 s[4:5], exec, -1
; %bb.2271:
	s_or_b64 exec, exec, s[8:9]
	s_and_b64 s[4:5], s[4:5], exec
	s_or_saveexec_b64 s[6:7], s[6:7]
	v_mov_b32_e32 v3, s10
	s_xor_b64 exec, exec, s[6:7]
	s_cbranch_execz .LBB11_222
.LBB11_2272:
	v_mov_b32_e32 v3, 0
	v_cmp_ne_u16_sdwa s[8:9], v4, v3 src0_sel:BYTE_3 src1_sel:DWORD
	s_andn2_b64 s[4:5], s[4:5], exec
	s_and_b64 s[8:9], s[8:9], exec
	s_or_b64 s[4:5], s[4:5], s[8:9]
	s_or_b64 exec, exec, s[6:7]
	s_and_saveexec_b64 s[6:7], s[4:5]
	s_cbranch_execnz .LBB11_223
	s_branch .LBB11_224
.LBB11_2273:
	s_movk_i32 s4, 0x80
	v_cmp_eq_u16_sdwa s[12:13], v9, s4 src0_sel:BYTE_0 src1_sel:DWORD
	s_mov_b64 s[4:5], -1
                                        ; implicit-def: $sgpr10
	s_and_saveexec_b64 s[8:9], s[12:13]
; %bb.2274:
	s_mov_b32 s10, 0x7f800001
	s_xor_b64 s[4:5], exec, -1
; %bb.2275:
	s_or_b64 exec, exec, s[8:9]
	s_and_b64 s[4:5], s[4:5], exec
	s_or_saveexec_b64 s[6:7], s[6:7]
	v_mov_b32_e32 v2, s10
	s_xor_b64 exec, exec, s[6:7]
	s_cbranch_execz .LBB11_226
.LBB11_2276:
	v_mov_b32_e32 v2, 0
	v_cmp_ne_u16_sdwa s[8:9], v9, v2 src0_sel:BYTE_0 src1_sel:DWORD
	s_andn2_b64 s[4:5], s[4:5], exec
	s_and_b64 s[8:9], s[8:9], exec
	s_or_b64 s[4:5], s[4:5], s[8:9]
	s_or_b64 exec, exec, s[6:7]
	s_and_saveexec_b64 s[6:7], s[4:5]
	s_cbranch_execnz .LBB11_227
	s_branch .LBB11_228
.LBB11_2277:
	s_movk_i32 s4, 0x80
	v_cmp_eq_u16_sdwa s[12:13], v5, s4 src0_sel:BYTE_0 src1_sel:DWORD
	s_mov_b64 s[4:5], -1
                                        ; implicit-def: $sgpr10
	s_and_saveexec_b64 s[8:9], s[12:13]
; %bb.2278:
	s_mov_b32 s10, 0x7f800001
	s_xor_b64 s[4:5], exec, -1
; %bb.2279:
	s_or_b64 exec, exec, s[8:9]
	s_and_b64 s[4:5], s[4:5], exec
	s_or_saveexec_b64 s[6:7], s[6:7]
	v_mov_b32_e32 v3, s10
	s_xor_b64 exec, exec, s[6:7]
	s_cbranch_execz .LBB11_230
.LBB11_2280:
	v_mov_b32_e32 v3, 0
	v_cmp_ne_u16_sdwa s[8:9], v5, v3 src0_sel:BYTE_0 src1_sel:DWORD
	s_andn2_b64 s[4:5], s[4:5], exec
	s_and_b64 s[8:9], s[8:9], exec
	s_or_b64 s[4:5], s[4:5], s[8:9]
	s_or_b64 exec, exec, s[6:7]
	s_and_saveexec_b64 s[6:7], s[4:5]
	s_cbranch_execnz .LBB11_231
	s_branch .LBB11_232
.LBB11_2281:
	s_movk_i32 s4, 0x80
	v_cmp_eq_u16_sdwa s[12:13], v3, s4 src0_sel:BYTE_0 src1_sel:DWORD
	s_mov_b64 s[4:5], -1
                                        ; implicit-def: $sgpr10
	s_and_saveexec_b64 s[8:9], s[12:13]
; %bb.2282:
	s_mov_b32 s10, 0x7f800001
	s_xor_b64 s[4:5], exec, -1
; %bb.2283:
	s_or_b64 exec, exec, s[8:9]
	s_and_b64 s[4:5], s[4:5], exec
	s_or_saveexec_b64 s[6:7], s[6:7]
	v_mov_b32_e32 v2, s10
	s_xor_b64 exec, exec, s[6:7]
	s_cbranch_execz .LBB11_234
.LBB11_2284:
	v_mov_b32_e32 v2, 0
	v_cmp_ne_u16_sdwa s[8:9], v3, v2 src0_sel:BYTE_0 src1_sel:DWORD
	s_andn2_b64 s[4:5], s[4:5], exec
	s_and_b64 s[8:9], s[8:9], exec
	s_or_b64 s[4:5], s[4:5], s[8:9]
	s_or_b64 exec, exec, s[6:7]
	s_and_saveexec_b64 s[6:7], s[4:5]
	s_cbranch_execnz .LBB11_235
	s_branch .LBB11_236
.LBB11_2285:
	s_movk_i32 s4, 0x80
	v_cmp_eq_u16_sdwa s[12:13], v3, s4 src0_sel:BYTE_0 src1_sel:DWORD
	s_mov_b64 s[4:5], -1
                                        ; implicit-def: $sgpr10
	s_and_saveexec_b64 s[8:9], s[12:13]
; %bb.2286:
	s_mov_b32 s10, 0x7f800001
	s_xor_b64 s[4:5], exec, -1
; %bb.2287:
	s_or_b64 exec, exec, s[8:9]
	s_and_b64 s[4:5], s[4:5], exec
	s_or_saveexec_b64 s[6:7], s[6:7]
	v_mov_b32_e32 v4, s10
	s_xor_b64 exec, exec, s[6:7]
	s_cbranch_execz .LBB11_238
.LBB11_2288:
	v_mov_b32_e32 v4, 0
	v_cmp_ne_u16_sdwa s[8:9], v3, v4 src0_sel:BYTE_0 src1_sel:DWORD
	s_andn2_b64 s[4:5], s[4:5], exec
	s_and_b64 s[8:9], s[8:9], exec
	s_or_b64 s[4:5], s[4:5], s[8:9]
	s_or_b64 exec, exec, s[6:7]
	s_and_saveexec_b64 s[6:7], s[4:5]
	s_cbranch_execnz .LBB11_239
	s_branch .LBB11_240
.LBB11_2289:
	s_movk_i32 s4, 0x80
	v_cmp_eq_u16_e32 vcc, s4, v3
	s_mov_b64 s[4:5], -1
                                        ; implicit-def: $sgpr10
	s_and_saveexec_b64 s[8:9], vcc
; %bb.2290:
	s_mov_b32 s10, 0x7f800001
	s_xor_b64 s[4:5], exec, -1
; %bb.2291:
	s_or_b64 exec, exec, s[8:9]
	s_and_b64 s[4:5], s[4:5], exec
                                        ; implicit-def: $vgpr3
	s_or_saveexec_b64 s[6:7], s[6:7]
	v_mov_b32_e32 v2, s10
	s_xor_b64 exec, exec, s[6:7]
	s_cbranch_execz .LBB11_242
.LBB11_2292:
	v_cmp_ne_u16_e32 vcc, 0, v3
	s_andn2_b64 s[4:5], s[4:5], exec
	s_and_b64 s[8:9], vcc, exec
	v_mov_b32_e32 v2, 0
	s_or_b64 s[4:5], s[4:5], s[8:9]
	s_or_b64 exec, exec, s[6:7]
	s_and_saveexec_b64 s[6:7], s[4:5]
	s_cbranch_execnz .LBB11_243
	s_branch .LBB11_244
.LBB11_2293:
	s_movk_i32 s4, 0x80
	v_cmp_eq_u16_e32 vcc, s4, v3
	s_mov_b64 s[4:5], -1
                                        ; implicit-def: $sgpr10
	s_and_saveexec_b64 s[8:9], vcc
; %bb.2294:
	s_mov_b32 s10, 0x7f800001
	s_xor_b64 s[4:5], exec, -1
; %bb.2295:
	s_or_b64 exec, exec, s[8:9]
	s_and_b64 s[4:5], s[4:5], exec
                                        ; implicit-def: $vgpr3
	s_or_saveexec_b64 s[6:7], s[6:7]
	v_mov_b32_e32 v4, s10
	s_xor_b64 exec, exec, s[6:7]
	s_cbranch_execz .LBB11_246
.LBB11_2296:
	v_cmp_ne_u16_e32 vcc, 0, v3
	s_andn2_b64 s[4:5], s[4:5], exec
	s_and_b64 s[8:9], vcc, exec
	v_mov_b32_e32 v4, 0
	s_or_b64 s[4:5], s[4:5], s[8:9]
	s_or_b64 exec, exec, s[6:7]
	s_and_saveexec_b64 s[6:7], s[4:5]
	s_cbranch_execnz .LBB11_247
	s_branch .LBB11_248
.LBB11_2297:
	s_movk_i32 s4, 0x80
	v_cmp_eq_u16_sdwa s[12:13], v9, s4 src0_sel:BYTE_3 src1_sel:DWORD
	s_mov_b64 s[4:5], -1
                                        ; implicit-def: $sgpr10
	s_and_saveexec_b64 s[8:9], s[12:13]
; %bb.2298:
	s_mov_b32 s10, 0x7f800001
	s_xor_b64 s[4:5], exec, -1
; %bb.2299:
	s_or_b64 exec, exec, s[8:9]
	s_and_b64 s[4:5], s[4:5], exec
	s_or_saveexec_b64 s[6:7], s[6:7]
	v_mov_b32_e32 v2, s10
	s_xor_b64 exec, exec, s[6:7]
	s_cbranch_execz .LBB11_250
.LBB11_2300:
	v_mov_b32_e32 v2, 0
	v_cmp_ne_u16_sdwa s[8:9], v9, v2 src0_sel:BYTE_3 src1_sel:DWORD
	s_andn2_b64 s[4:5], s[4:5], exec
	s_and_b64 s[8:9], s[8:9], exec
	s_or_b64 s[4:5], s[4:5], s[8:9]
	s_or_b64 exec, exec, s[6:7]
	s_and_saveexec_b64 s[6:7], s[4:5]
	s_cbranch_execnz .LBB11_251
	s_branch .LBB11_252
.LBB11_2301:
	s_movk_i32 s4, 0x80
	v_cmp_eq_u16_sdwa s[12:13], v5, s4 src0_sel:BYTE_3 src1_sel:DWORD
	s_mov_b64 s[4:5], -1
                                        ; implicit-def: $sgpr10
	s_and_saveexec_b64 s[8:9], s[12:13]
; %bb.2302:
	s_mov_b32 s10, 0x7f800001
	s_xor_b64 s[4:5], exec, -1
; %bb.2303:
	s_or_b64 exec, exec, s[8:9]
	s_and_b64 s[4:5], s[4:5], exec
	s_or_saveexec_b64 s[6:7], s[6:7]
	v_mov_b32_e32 v3, s10
	s_xor_b64 exec, exec, s[6:7]
	s_cbranch_execz .LBB11_254
.LBB11_2304:
	v_mov_b32_e32 v3, 0
	v_cmp_ne_u16_sdwa s[8:9], v5, v3 src0_sel:BYTE_3 src1_sel:DWORD
	s_andn2_b64 s[4:5], s[4:5], exec
	s_and_b64 s[8:9], s[8:9], exec
	s_or_b64 s[4:5], s[4:5], s[8:9]
	s_or_b64 exec, exec, s[6:7]
	s_and_saveexec_b64 s[6:7], s[4:5]
	s_cbranch_execnz .LBB11_255
	s_branch .LBB11_256
.LBB11_2305:
	s_movk_i32 s4, 0x80
	v_cmp_eq_u16_sdwa s[12:13], v14, s4 src0_sel:BYTE_0 src1_sel:DWORD
	s_mov_b64 s[4:5], -1
                                        ; implicit-def: $sgpr10
	s_and_saveexec_b64 s[8:9], s[12:13]
; %bb.2306:
	s_mov_b32 s10, 0x7f800001
	s_xor_b64 s[4:5], exec, -1
; %bb.2307:
	s_or_b64 exec, exec, s[8:9]
	s_and_b64 s[4:5], s[4:5], exec
	s_or_saveexec_b64 s[6:7], s[6:7]
	v_mov_b32_e32 v20, s10
	s_xor_b64 exec, exec, s[6:7]
	s_cbranch_execz .LBB11_258
.LBB11_2308:
	v_mov_b32_e32 v20, 0
	v_cmp_ne_u16_sdwa s[8:9], v14, v20 src0_sel:BYTE_0 src1_sel:DWORD
	s_andn2_b64 s[4:5], s[4:5], exec
	s_and_b64 s[8:9], s[8:9], exec
	s_or_b64 s[4:5], s[4:5], s[8:9]
	s_or_b64 exec, exec, s[6:7]
	s_and_saveexec_b64 s[6:7], s[4:5]
	s_cbranch_execnz .LBB11_259
	s_branch .LBB11_260
.LBB11_2309:
	s_movk_i32 s4, 0x80
	v_cmp_eq_u16_sdwa s[12:13], v10, s4 src0_sel:BYTE_0 src1_sel:DWORD
	s_mov_b64 s[4:5], -1
                                        ; implicit-def: $sgpr10
	s_and_saveexec_b64 s[8:9], s[12:13]
; %bb.2310:
	s_mov_b32 s10, 0x7f800001
	s_xor_b64 s[4:5], exec, -1
; %bb.2311:
	s_or_b64 exec, exec, s[8:9]
	s_and_b64 s[4:5], s[4:5], exec
	s_or_saveexec_b64 s[6:7], s[6:7]
	v_mov_b32_e32 v21, s10
	s_xor_b64 exec, exec, s[6:7]
	s_cbranch_execz .LBB11_262
.LBB11_2312:
	v_mov_b32_e32 v21, 0
	v_cmp_ne_u16_sdwa s[8:9], v10, v21 src0_sel:BYTE_0 src1_sel:DWORD
	s_andn2_b64 s[4:5], s[4:5], exec
	s_and_b64 s[8:9], s[8:9], exec
	s_or_b64 s[4:5], s[4:5], s[8:9]
	s_or_b64 exec, exec, s[6:7]
	s_and_saveexec_b64 s[6:7], s[4:5]
	s_cbranch_execnz .LBB11_263
	s_branch .LBB11_264
.LBB11_2313:
	s_movk_i32 s4, 0x80
	v_cmp_eq_u16_sdwa s[12:13], v21, s4 src0_sel:BYTE_0 src1_sel:DWORD
	s_mov_b64 s[4:5], -1
                                        ; implicit-def: $sgpr10
	s_and_saveexec_b64 s[8:9], s[12:13]
; %bb.2314:
	s_mov_b32 s10, 0x7f800001
	s_xor_b64 s[4:5], exec, -1
; %bb.2315:
	s_or_b64 exec, exec, s[8:9]
	s_and_b64 s[4:5], s[4:5], exec
	s_or_saveexec_b64 s[6:7], s[6:7]
	v_mov_b32_e32 v20, s10
	s_xor_b64 exec, exec, s[6:7]
	s_cbranch_execz .LBB11_266
.LBB11_2316:
	v_mov_b32_e32 v20, 0
	v_cmp_ne_u16_sdwa s[8:9], v21, v20 src0_sel:BYTE_0 src1_sel:DWORD
	s_andn2_b64 s[4:5], s[4:5], exec
	s_and_b64 s[8:9], s[8:9], exec
	s_or_b64 s[4:5], s[4:5], s[8:9]
	s_or_b64 exec, exec, s[6:7]
	s_and_saveexec_b64 s[6:7], s[4:5]
	s_cbranch_execnz .LBB11_267
	s_branch .LBB11_268
.LBB11_2317:
	s_movk_i32 s4, 0x80
	v_cmp_eq_u16_sdwa s[12:13], v21, s4 src0_sel:BYTE_0 src1_sel:DWORD
	s_mov_b64 s[4:5], -1
                                        ; implicit-def: $sgpr10
	s_and_saveexec_b64 s[8:9], s[12:13]
; %bb.2318:
	s_mov_b32 s10, 0x7f800001
	s_xor_b64 s[4:5], exec, -1
; %bb.2319:
	s_or_b64 exec, exec, s[8:9]
	s_and_b64 s[4:5], s[4:5], exec
	s_or_saveexec_b64 s[6:7], s[6:7]
	v_mov_b32_e32 v22, s10
	s_xor_b64 exec, exec, s[6:7]
	s_cbranch_execz .LBB11_270
.LBB11_2320:
	v_mov_b32_e32 v22, 0
	v_cmp_ne_u16_sdwa s[8:9], v21, v22 src0_sel:BYTE_0 src1_sel:DWORD
	s_andn2_b64 s[4:5], s[4:5], exec
	s_and_b64 s[8:9], s[8:9], exec
	s_or_b64 s[4:5], s[4:5], s[8:9]
	s_or_b64 exec, exec, s[6:7]
	s_and_saveexec_b64 s[6:7], s[4:5]
	s_cbranch_execnz .LBB11_271
	s_branch .LBB11_272
.LBB11_2321:
	s_movk_i32 s4, 0x80
	v_cmp_eq_u16_e32 vcc, s4, v21
	s_mov_b64 s[4:5], -1
                                        ; implicit-def: $sgpr10
	s_and_saveexec_b64 s[8:9], vcc
; %bb.2322:
	s_mov_b32 s10, 0x7f800001
	s_xor_b64 s[4:5], exec, -1
; %bb.2323:
	s_or_b64 exec, exec, s[8:9]
	s_and_b64 s[4:5], s[4:5], exec
                                        ; implicit-def: $vgpr21
	s_or_saveexec_b64 s[6:7], s[6:7]
	v_mov_b32_e32 v20, s10
	s_xor_b64 exec, exec, s[6:7]
	s_cbranch_execz .LBB11_274
.LBB11_2324:
	v_cmp_ne_u16_e32 vcc, 0, v21
	s_andn2_b64 s[4:5], s[4:5], exec
	s_and_b64 s[8:9], vcc, exec
	v_mov_b32_e32 v20, 0
	s_or_b64 s[4:5], s[4:5], s[8:9]
	s_or_b64 exec, exec, s[6:7]
	s_and_saveexec_b64 s[6:7], s[4:5]
	s_cbranch_execnz .LBB11_275
	s_branch .LBB11_276
.LBB11_2325:
	s_movk_i32 s4, 0x80
	v_cmp_eq_u16_e32 vcc, s4, v21
	s_mov_b64 s[4:5], -1
                                        ; implicit-def: $sgpr10
	s_and_saveexec_b64 s[8:9], vcc
; %bb.2326:
	s_mov_b32 s10, 0x7f800001
	s_xor_b64 s[4:5], exec, -1
; %bb.2327:
	s_or_b64 exec, exec, s[8:9]
	s_and_b64 s[4:5], s[4:5], exec
                                        ; implicit-def: $vgpr21
	s_or_saveexec_b64 s[6:7], s[6:7]
	v_mov_b32_e32 v22, s10
	s_xor_b64 exec, exec, s[6:7]
	s_cbranch_execz .LBB11_278
.LBB11_2328:
	v_cmp_ne_u16_e32 vcc, 0, v21
	s_andn2_b64 s[4:5], s[4:5], exec
	s_and_b64 s[8:9], vcc, exec
	v_mov_b32_e32 v22, 0
	s_or_b64 s[4:5], s[4:5], s[8:9]
	s_or_b64 exec, exec, s[6:7]
	s_and_saveexec_b64 s[6:7], s[4:5]
	s_cbranch_execnz .LBB11_279
	s_branch .LBB11_280
.LBB11_2329:
	s_movk_i32 s4, 0x80
	v_cmp_eq_u16_sdwa s[12:13], v14, s4 src0_sel:BYTE_3 src1_sel:DWORD
	s_mov_b64 s[4:5], -1
                                        ; implicit-def: $sgpr10
	s_and_saveexec_b64 s[8:9], s[12:13]
; %bb.2330:
	s_mov_b32 s10, 0x7f800001
	s_xor_b64 s[4:5], exec, -1
; %bb.2331:
	s_or_b64 exec, exec, s[8:9]
	s_and_b64 s[4:5], s[4:5], exec
	s_or_saveexec_b64 s[6:7], s[6:7]
	v_mov_b32_e32 v20, s10
	s_xor_b64 exec, exec, s[6:7]
	s_cbranch_execz .LBB11_282
.LBB11_2332:
	v_mov_b32_e32 v20, 0
	v_cmp_ne_u16_sdwa s[8:9], v14, v20 src0_sel:BYTE_3 src1_sel:DWORD
	s_andn2_b64 s[4:5], s[4:5], exec
	s_and_b64 s[8:9], s[8:9], exec
	s_or_b64 s[4:5], s[4:5], s[8:9]
	s_or_b64 exec, exec, s[6:7]
	s_and_saveexec_b64 s[6:7], s[4:5]
	s_cbranch_execnz .LBB11_283
	s_branch .LBB11_284
.LBB11_2333:
	s_movk_i32 s4, 0x80
	v_cmp_eq_u16_sdwa s[12:13], v10, s4 src0_sel:BYTE_3 src1_sel:DWORD
	s_mov_b64 s[4:5], -1
                                        ; implicit-def: $sgpr10
	s_and_saveexec_b64 s[8:9], s[12:13]
; %bb.2334:
	s_mov_b32 s10, 0x7f800001
	s_xor_b64 s[4:5], exec, -1
; %bb.2335:
	s_or_b64 exec, exec, s[8:9]
	s_and_b64 s[4:5], s[4:5], exec
	s_or_saveexec_b64 s[6:7], s[6:7]
	v_mov_b32_e32 v14, s10
	s_xor_b64 exec, exec, s[6:7]
	s_cbranch_execz .LBB11_286
.LBB11_2336:
	v_mov_b32_e32 v14, 0
	v_cmp_ne_u16_sdwa s[8:9], v10, v14 src0_sel:BYTE_3 src1_sel:DWORD
	s_andn2_b64 s[4:5], s[4:5], exec
	s_and_b64 s[8:9], s[8:9], exec
	s_or_b64 s[4:5], s[4:5], s[8:9]
	s_or_b64 exec, exec, s[6:7]
	s_and_saveexec_b64 s[6:7], s[4:5]
	s_cbranch_execnz .LBB11_287
	s_branch .LBB11_288
.LBB11_2337:
	s_movk_i32 s4, 0x80
	v_cmp_eq_u16_sdwa s[12:13], v15, s4 src0_sel:BYTE_0 src1_sel:DWORD
	s_mov_b64 s[4:5], -1
                                        ; implicit-def: $sgpr10
	s_and_saveexec_b64 s[8:9], s[12:13]
; %bb.2338:
	s_mov_b32 s10, 0x7f800001
	s_xor_b64 s[4:5], exec, -1
; %bb.2339:
	s_or_b64 exec, exec, s[8:9]
	s_and_b64 s[4:5], s[4:5], exec
	s_or_saveexec_b64 s[6:7], s[6:7]
	v_mov_b32_e32 v10, s10
	s_xor_b64 exec, exec, s[6:7]
	s_cbranch_execz .LBB11_290
.LBB11_2340:
	v_mov_b32_e32 v10, 0
	v_cmp_ne_u16_sdwa s[8:9], v15, v10 src0_sel:BYTE_0 src1_sel:DWORD
	s_andn2_b64 s[4:5], s[4:5], exec
	s_and_b64 s[8:9], s[8:9], exec
	s_or_b64 s[4:5], s[4:5], s[8:9]
	s_or_b64 exec, exec, s[6:7]
	s_and_saveexec_b64 s[6:7], s[4:5]
	s_cbranch_execnz .LBB11_291
	s_branch .LBB11_292
.LBB11_2341:
	s_movk_i32 s4, 0x80
	v_cmp_eq_u16_sdwa s[12:13], v11, s4 src0_sel:BYTE_0 src1_sel:DWORD
	s_mov_b64 s[4:5], -1
                                        ; implicit-def: $sgpr10
	s_and_saveexec_b64 s[8:9], s[12:13]
; %bb.2342:
	s_mov_b32 s10, 0x7f800001
	s_xor_b64 s[4:5], exec, -1
; %bb.2343:
	s_or_b64 exec, exec, s[8:9]
	s_and_b64 s[4:5], s[4:5], exec
	s_or_saveexec_b64 s[6:7], s[6:7]
	v_mov_b32_e32 v14, s10
	s_xor_b64 exec, exec, s[6:7]
	s_cbranch_execz .LBB11_294
.LBB11_2344:
	v_mov_b32_e32 v14, 0
	v_cmp_ne_u16_sdwa s[8:9], v11, v14 src0_sel:BYTE_0 src1_sel:DWORD
	s_andn2_b64 s[4:5], s[4:5], exec
	s_and_b64 s[8:9], s[8:9], exec
	s_or_b64 s[4:5], s[4:5], s[8:9]
	s_or_b64 exec, exec, s[6:7]
	s_and_saveexec_b64 s[6:7], s[4:5]
	s_cbranch_execnz .LBB11_295
	s_branch .LBB11_296
.LBB11_2345:
	s_movk_i32 s4, 0x80
	v_cmp_eq_u16_sdwa s[12:13], v14, s4 src0_sel:BYTE_0 src1_sel:DWORD
	s_mov_b64 s[4:5], -1
                                        ; implicit-def: $sgpr10
	s_and_saveexec_b64 s[8:9], s[12:13]
; %bb.2346:
	s_mov_b32 s10, 0x7f800001
	s_xor_b64 s[4:5], exec, -1
; %bb.2347:
	s_or_b64 exec, exec, s[8:9]
	s_and_b64 s[4:5], s[4:5], exec
	s_or_saveexec_b64 s[6:7], s[6:7]
	v_mov_b32_e32 v10, s10
	s_xor_b64 exec, exec, s[6:7]
	s_cbranch_execz .LBB11_298
.LBB11_2348:
	v_mov_b32_e32 v10, 0
	v_cmp_ne_u16_sdwa s[8:9], v14, v10 src0_sel:BYTE_0 src1_sel:DWORD
	s_andn2_b64 s[4:5], s[4:5], exec
	s_and_b64 s[8:9], s[8:9], exec
	s_or_b64 s[4:5], s[4:5], s[8:9]
	s_or_b64 exec, exec, s[6:7]
	s_and_saveexec_b64 s[6:7], s[4:5]
	s_cbranch_execnz .LBB11_299
	s_branch .LBB11_300
.LBB11_2349:
	s_movk_i32 s4, 0x80
	v_cmp_eq_u16_sdwa s[12:13], v14, s4 src0_sel:BYTE_0 src1_sel:DWORD
	s_mov_b64 s[4:5], -1
                                        ; implicit-def: $sgpr10
	s_and_saveexec_b64 s[8:9], s[12:13]
; %bb.2350:
	s_mov_b32 s10, 0x7f800001
	s_xor_b64 s[4:5], exec, -1
; %bb.2351:
	s_or_b64 exec, exec, s[8:9]
	s_and_b64 s[4:5], s[4:5], exec
	s_or_saveexec_b64 s[6:7], s[6:7]
	v_mov_b32_e32 v20, s10
	s_xor_b64 exec, exec, s[6:7]
	s_cbranch_execz .LBB11_302
.LBB11_2352:
	v_mov_b32_e32 v20, 0
	v_cmp_ne_u16_sdwa s[8:9], v14, v20 src0_sel:BYTE_0 src1_sel:DWORD
	s_andn2_b64 s[4:5], s[4:5], exec
	s_and_b64 s[8:9], s[8:9], exec
	s_or_b64 s[4:5], s[4:5], s[8:9]
	s_or_b64 exec, exec, s[6:7]
	s_and_saveexec_b64 s[6:7], s[4:5]
	s_cbranch_execnz .LBB11_303
	s_branch .LBB11_304
.LBB11_2353:
	s_movk_i32 s4, 0x80
	v_cmp_eq_u16_e32 vcc, s4, v14
	s_mov_b64 s[4:5], -1
                                        ; implicit-def: $sgpr10
	s_and_saveexec_b64 s[8:9], vcc
; %bb.2354:
	s_mov_b32 s10, 0x7f800001
	s_xor_b64 s[4:5], exec, -1
; %bb.2355:
	s_or_b64 exec, exec, s[8:9]
	s_and_b64 s[4:5], s[4:5], exec
                                        ; implicit-def: $vgpr14
	s_or_saveexec_b64 s[6:7], s[6:7]
	v_mov_b32_e32 v10, s10
	s_xor_b64 exec, exec, s[6:7]
	s_cbranch_execz .LBB11_306
.LBB11_2356:
	v_cmp_ne_u16_e32 vcc, 0, v14
	s_andn2_b64 s[4:5], s[4:5], exec
	s_and_b64 s[8:9], vcc, exec
	v_mov_b32_e32 v10, 0
	s_or_b64 s[4:5], s[4:5], s[8:9]
	s_or_b64 exec, exec, s[6:7]
	s_and_saveexec_b64 s[6:7], s[4:5]
	s_cbranch_execnz .LBB11_307
	s_branch .LBB11_308
.LBB11_2357:
	s_movk_i32 s4, 0x80
	v_cmp_eq_u16_e32 vcc, s4, v14
	s_mov_b64 s[4:5], -1
                                        ; implicit-def: $sgpr10
	s_and_saveexec_b64 s[8:9], vcc
; %bb.2358:
	s_mov_b32 s10, 0x7f800001
	s_xor_b64 s[4:5], exec, -1
; %bb.2359:
	s_or_b64 exec, exec, s[8:9]
	s_and_b64 s[4:5], s[4:5], exec
                                        ; implicit-def: $vgpr14
	s_or_saveexec_b64 s[6:7], s[6:7]
	v_mov_b32_e32 v20, s10
	s_xor_b64 exec, exec, s[6:7]
	s_cbranch_execz .LBB11_310
.LBB11_2360:
	v_cmp_ne_u16_e32 vcc, 0, v14
	s_andn2_b64 s[4:5], s[4:5], exec
	s_and_b64 s[8:9], vcc, exec
	v_mov_b32_e32 v20, 0
	s_or_b64 s[4:5], s[4:5], s[8:9]
	s_or_b64 exec, exec, s[6:7]
	s_and_saveexec_b64 s[6:7], s[4:5]
	s_cbranch_execnz .LBB11_311
	s_branch .LBB11_312
.LBB11_2361:
	s_movk_i32 s4, 0x80
	v_cmp_eq_u16_sdwa s[12:13], v15, s4 src0_sel:BYTE_3 src1_sel:DWORD
	s_mov_b64 s[4:5], -1
                                        ; implicit-def: $sgpr10
	s_and_saveexec_b64 s[8:9], s[12:13]
; %bb.2362:
	s_mov_b32 s10, 0x7f800001
	s_xor_b64 s[4:5], exec, -1
; %bb.2363:
	s_or_b64 exec, exec, s[8:9]
	s_and_b64 s[4:5], s[4:5], exec
	s_or_saveexec_b64 s[6:7], s[6:7]
	v_mov_b32_e32 v10, s10
	s_xor_b64 exec, exec, s[6:7]
	s_cbranch_execz .LBB11_314
.LBB11_2364:
	v_mov_b32_e32 v10, 0
	v_cmp_ne_u16_sdwa s[8:9], v15, v10 src0_sel:BYTE_3 src1_sel:DWORD
	s_andn2_b64 s[4:5], s[4:5], exec
	s_and_b64 s[8:9], s[8:9], exec
	s_or_b64 s[4:5], s[4:5], s[8:9]
	s_or_b64 exec, exec, s[6:7]
	s_and_saveexec_b64 s[6:7], s[4:5]
	s_cbranch_execnz .LBB11_315
	s_branch .LBB11_316
.LBB11_2365:
	s_movk_i32 s4, 0x80
	v_cmp_eq_u16_sdwa s[12:13], v11, s4 src0_sel:BYTE_3 src1_sel:DWORD
	s_mov_b64 s[4:5], -1
                                        ; implicit-def: $sgpr10
	s_and_saveexec_b64 s[8:9], s[12:13]
; %bb.2366:
	s_mov_b32 s10, 0x7f800001
	s_xor_b64 s[4:5], exec, -1
; %bb.2367:
	s_or_b64 exec, exec, s[8:9]
	s_and_b64 s[4:5], s[4:5], exec
	s_or_saveexec_b64 s[6:7], s[6:7]
	v_mov_b32_e32 v14, s10
	s_xor_b64 exec, exec, s[6:7]
	s_cbranch_execz .LBB11_318
.LBB11_2368:
	v_mov_b32_e32 v14, 0
	v_cmp_ne_u16_sdwa s[8:9], v11, v14 src0_sel:BYTE_3 src1_sel:DWORD
	s_andn2_b64 s[4:5], s[4:5], exec
	s_and_b64 s[8:9], s[8:9], exec
	s_or_b64 s[4:5], s[4:5], s[8:9]
	s_or_b64 exec, exec, s[6:7]
	s_and_saveexec_b64 s[6:7], s[4:5]
	s_cbranch_execnz .LBB11_319
	s_branch .LBB11_320
.LBB11_2369:
	s_movk_i32 s4, 0x80
	v_cmp_eq_u16_sdwa s[12:13], v16, s4 src0_sel:BYTE_0 src1_sel:DWORD
	s_mov_b64 s[4:5], -1
                                        ; implicit-def: $sgpr10
	s_and_saveexec_b64 s[8:9], s[12:13]
; %bb.2370:
	s_mov_b32 s10, 0x7f800001
	s_xor_b64 s[4:5], exec, -1
; %bb.2371:
	s_or_b64 exec, exec, s[8:9]
	s_and_b64 s[4:5], s[4:5], exec
	s_or_saveexec_b64 s[6:7], s[6:7]
	v_mov_b32_e32 v10, s10
	s_xor_b64 exec, exec, s[6:7]
	s_cbranch_execz .LBB11_322
.LBB11_2372:
	v_mov_b32_e32 v10, 0
	v_cmp_ne_u16_sdwa s[8:9], v16, v10 src0_sel:BYTE_0 src1_sel:DWORD
	s_andn2_b64 s[4:5], s[4:5], exec
	s_and_b64 s[8:9], s[8:9], exec
	s_or_b64 s[4:5], s[4:5], s[8:9]
	s_or_b64 exec, exec, s[6:7]
	s_and_saveexec_b64 s[6:7], s[4:5]
	s_cbranch_execnz .LBB11_323
	s_branch .LBB11_324
.LBB11_2373:
	s_movk_i32 s4, 0x80
	v_cmp_eq_u16_sdwa s[12:13], v12, s4 src0_sel:BYTE_0 src1_sel:DWORD
	s_mov_b64 s[4:5], -1
                                        ; implicit-def: $sgpr10
	s_and_saveexec_b64 s[8:9], s[12:13]
; %bb.2374:
	s_mov_b32 s10, 0x7f800001
	s_xor_b64 s[4:5], exec, -1
; %bb.2375:
	s_or_b64 exec, exec, s[8:9]
	s_and_b64 s[4:5], s[4:5], exec
	s_or_saveexec_b64 s[6:7], s[6:7]
	v_mov_b32_e32 v11, s10
	s_xor_b64 exec, exec, s[6:7]
	s_cbranch_execz .LBB11_326
.LBB11_2376:
	v_mov_b32_e32 v11, 0
	v_cmp_ne_u16_sdwa s[8:9], v12, v11 src0_sel:BYTE_0 src1_sel:DWORD
	s_andn2_b64 s[4:5], s[4:5], exec
	s_and_b64 s[8:9], s[8:9], exec
	s_or_b64 s[4:5], s[4:5], s[8:9]
	s_or_b64 exec, exec, s[6:7]
	s_and_saveexec_b64 s[6:7], s[4:5]
	s_cbranch_execnz .LBB11_327
	s_branch .LBB11_328
.LBB11_2377:
	s_movk_i32 s4, 0x80
	v_cmp_eq_u16_sdwa s[12:13], v11, s4 src0_sel:BYTE_0 src1_sel:DWORD
	s_mov_b64 s[4:5], -1
                                        ; implicit-def: $sgpr10
	s_and_saveexec_b64 s[8:9], s[12:13]
; %bb.2378:
	s_mov_b32 s10, 0x7f800001
	s_xor_b64 s[4:5], exec, -1
; %bb.2379:
	s_or_b64 exec, exec, s[8:9]
	s_and_b64 s[4:5], s[4:5], exec
	s_or_saveexec_b64 s[6:7], s[6:7]
	v_mov_b32_e32 v10, s10
	s_xor_b64 exec, exec, s[6:7]
	s_cbranch_execz .LBB11_330
.LBB11_2380:
	v_mov_b32_e32 v10, 0
	v_cmp_ne_u16_sdwa s[8:9], v11, v10 src0_sel:BYTE_0 src1_sel:DWORD
	s_andn2_b64 s[4:5], s[4:5], exec
	s_and_b64 s[8:9], s[8:9], exec
	s_or_b64 s[4:5], s[4:5], s[8:9]
	s_or_b64 exec, exec, s[6:7]
	s_and_saveexec_b64 s[6:7], s[4:5]
	s_cbranch_execnz .LBB11_331
	s_branch .LBB11_332
.LBB11_2381:
	s_movk_i32 s4, 0x80
	v_cmp_eq_u16_sdwa s[12:13], v11, s4 src0_sel:BYTE_0 src1_sel:DWORD
	s_mov_b64 s[4:5], -1
                                        ; implicit-def: $sgpr10
	s_and_saveexec_b64 s[8:9], s[12:13]
; %bb.2382:
	s_mov_b32 s10, 0x7f800001
	s_xor_b64 s[4:5], exec, -1
; %bb.2383:
	s_or_b64 exec, exec, s[8:9]
	s_and_b64 s[4:5], s[4:5], exec
	s_or_saveexec_b64 s[6:7], s[6:7]
	v_mov_b32_e32 v14, s10
	s_xor_b64 exec, exec, s[6:7]
	s_cbranch_execz .LBB11_334
.LBB11_2384:
	v_mov_b32_e32 v14, 0
	v_cmp_ne_u16_sdwa s[8:9], v11, v14 src0_sel:BYTE_0 src1_sel:DWORD
	s_andn2_b64 s[4:5], s[4:5], exec
	s_and_b64 s[8:9], s[8:9], exec
	s_or_b64 s[4:5], s[4:5], s[8:9]
	s_or_b64 exec, exec, s[6:7]
	s_and_saveexec_b64 s[6:7], s[4:5]
	s_cbranch_execnz .LBB11_335
	s_branch .LBB11_336
.LBB11_2385:
	s_movk_i32 s4, 0x80
	v_cmp_eq_u16_e32 vcc, s4, v11
	s_mov_b64 s[4:5], -1
                                        ; implicit-def: $sgpr10
	s_and_saveexec_b64 s[8:9], vcc
; %bb.2386:
	s_mov_b32 s10, 0x7f800001
	s_xor_b64 s[4:5], exec, -1
; %bb.2387:
	s_or_b64 exec, exec, s[8:9]
	s_and_b64 s[4:5], s[4:5], exec
                                        ; implicit-def: $vgpr11
	s_or_saveexec_b64 s[6:7], s[6:7]
	v_mov_b32_e32 v10, s10
	s_xor_b64 exec, exec, s[6:7]
	s_cbranch_execz .LBB11_338
.LBB11_2388:
	v_cmp_ne_u16_e32 vcc, 0, v11
	s_andn2_b64 s[4:5], s[4:5], exec
	s_and_b64 s[8:9], vcc, exec
	v_mov_b32_e32 v10, 0
	s_or_b64 s[4:5], s[4:5], s[8:9]
	s_or_b64 exec, exec, s[6:7]
	s_and_saveexec_b64 s[6:7], s[4:5]
	s_cbranch_execnz .LBB11_339
	s_branch .LBB11_340
.LBB11_2389:
	s_movk_i32 s4, 0x80
	v_cmp_eq_u16_e32 vcc, s4, v11
	s_mov_b64 s[4:5], -1
                                        ; implicit-def: $sgpr10
	s_and_saveexec_b64 s[8:9], vcc
; %bb.2390:
	s_mov_b32 s10, 0x7f800001
	s_xor_b64 s[4:5], exec, -1
; %bb.2391:
	s_or_b64 exec, exec, s[8:9]
	s_and_b64 s[4:5], s[4:5], exec
                                        ; implicit-def: $vgpr11
	s_or_saveexec_b64 s[6:7], s[6:7]
	v_mov_b32_e32 v14, s10
	s_xor_b64 exec, exec, s[6:7]
	s_cbranch_execz .LBB11_342
.LBB11_2392:
	v_cmp_ne_u16_e32 vcc, 0, v11
	s_andn2_b64 s[4:5], s[4:5], exec
	s_and_b64 s[8:9], vcc, exec
	v_mov_b32_e32 v14, 0
	s_or_b64 s[4:5], s[4:5], s[8:9]
	s_or_b64 exec, exec, s[6:7]
	s_and_saveexec_b64 s[6:7], s[4:5]
	s_cbranch_execnz .LBB11_343
	s_branch .LBB11_344
.LBB11_2393:
	s_movk_i32 s4, 0x80
	v_cmp_eq_u16_sdwa s[12:13], v16, s4 src0_sel:BYTE_3 src1_sel:DWORD
	s_mov_b64 s[4:5], -1
                                        ; implicit-def: $sgpr10
	s_and_saveexec_b64 s[8:9], s[12:13]
; %bb.2394:
	s_mov_b32 s10, 0x7f800001
	s_xor_b64 s[4:5], exec, -1
; %bb.2395:
	s_or_b64 exec, exec, s[8:9]
	s_and_b64 s[4:5], s[4:5], exec
	s_or_saveexec_b64 s[6:7], s[6:7]
	v_mov_b32_e32 v10, s10
	s_xor_b64 exec, exec, s[6:7]
	s_cbranch_execz .LBB11_346
.LBB11_2396:
	v_mov_b32_e32 v10, 0
	v_cmp_ne_u16_sdwa s[8:9], v16, v10 src0_sel:BYTE_3 src1_sel:DWORD
	s_andn2_b64 s[4:5], s[4:5], exec
	s_and_b64 s[8:9], s[8:9], exec
	s_or_b64 s[4:5], s[4:5], s[8:9]
	s_or_b64 exec, exec, s[6:7]
	s_and_saveexec_b64 s[6:7], s[4:5]
	s_cbranch_execnz .LBB11_347
	s_branch .LBB11_348
.LBB11_2397:
	s_movk_i32 s4, 0x80
	v_cmp_eq_u16_sdwa s[12:13], v12, s4 src0_sel:BYTE_3 src1_sel:DWORD
	s_mov_b64 s[4:5], -1
                                        ; implicit-def: $sgpr10
	s_and_saveexec_b64 s[8:9], s[12:13]
; %bb.2398:
	s_mov_b32 s10, 0x7f800001
	s_xor_b64 s[4:5], exec, -1
; %bb.2399:
	s_or_b64 exec, exec, s[8:9]
	s_and_b64 s[4:5], s[4:5], exec
	s_or_saveexec_b64 s[6:7], s[6:7]
	v_mov_b32_e32 v11, s10
	s_xor_b64 exec, exec, s[6:7]
	s_cbranch_execz .LBB11_350
.LBB11_2400:
	v_mov_b32_e32 v11, 0
	v_cmp_ne_u16_sdwa s[8:9], v12, v11 src0_sel:BYTE_3 src1_sel:DWORD
	s_andn2_b64 s[4:5], s[4:5], exec
	s_and_b64 s[8:9], s[8:9], exec
	s_or_b64 s[4:5], s[4:5], s[8:9]
	s_or_b64 exec, exec, s[6:7]
	s_and_saveexec_b64 s[6:7], s[4:5]
	s_cbranch_execnz .LBB11_351
	s_branch .LBB11_352
.LBB11_2401:
	s_movk_i32 s4, 0x80
	v_cmp_eq_u16_sdwa s[12:13], v17, s4 src0_sel:BYTE_0 src1_sel:DWORD
	s_mov_b64 s[4:5], -1
                                        ; implicit-def: $sgpr10
	s_and_saveexec_b64 s[8:9], s[12:13]
; %bb.2402:
	s_mov_b32 s10, 0x7f800001
	s_xor_b64 s[4:5], exec, -1
; %bb.2403:
	s_or_b64 exec, exec, s[8:9]
	s_and_b64 s[4:5], s[4:5], exec
	s_or_saveexec_b64 s[6:7], s[6:7]
	v_mov_b32_e32 v10, s10
	s_xor_b64 exec, exec, s[6:7]
	s_cbranch_execz .LBB11_354
.LBB11_2404:
	v_mov_b32_e32 v10, 0
	v_cmp_ne_u16_sdwa s[8:9], v17, v10 src0_sel:BYTE_0 src1_sel:DWORD
	s_andn2_b64 s[4:5], s[4:5], exec
	s_and_b64 s[8:9], s[8:9], exec
	s_or_b64 s[4:5], s[4:5], s[8:9]
	s_or_b64 exec, exec, s[6:7]
	s_and_saveexec_b64 s[6:7], s[4:5]
	s_cbranch_execnz .LBB11_355
	s_branch .LBB11_356
.LBB11_2405:
	s_movk_i32 s4, 0x80
	v_cmp_eq_u16_sdwa s[12:13], v13, s4 src0_sel:BYTE_0 src1_sel:DWORD
	s_mov_b64 s[4:5], -1
                                        ; implicit-def: $sgpr10
	s_and_saveexec_b64 s[8:9], s[12:13]
; %bb.2406:
	s_mov_b32 s10, 0x7f800001
	s_xor_b64 s[4:5], exec, -1
; %bb.2407:
	s_or_b64 exec, exec, s[8:9]
	s_and_b64 s[4:5], s[4:5], exec
	s_or_saveexec_b64 s[6:7], s[6:7]
	v_mov_b32_e32 v11, s10
	s_xor_b64 exec, exec, s[6:7]
	s_cbranch_execz .LBB11_358
.LBB11_2408:
	v_mov_b32_e32 v11, 0
	v_cmp_ne_u16_sdwa s[8:9], v13, v11 src0_sel:BYTE_0 src1_sel:DWORD
	s_andn2_b64 s[4:5], s[4:5], exec
	s_and_b64 s[8:9], s[8:9], exec
	s_or_b64 s[4:5], s[4:5], s[8:9]
	s_or_b64 exec, exec, s[6:7]
	s_and_saveexec_b64 s[6:7], s[4:5]
	s_cbranch_execnz .LBB11_359
	s_branch .LBB11_360
.LBB11_2409:
	s_movk_i32 s4, 0x80
	v_cmp_eq_u16_sdwa s[12:13], v11, s4 src0_sel:BYTE_0 src1_sel:DWORD
	s_mov_b64 s[4:5], -1
                                        ; implicit-def: $sgpr10
	s_and_saveexec_b64 s[8:9], s[12:13]
; %bb.2410:
	s_mov_b32 s10, 0x7f800001
	s_xor_b64 s[4:5], exec, -1
; %bb.2411:
	s_or_b64 exec, exec, s[8:9]
	s_and_b64 s[4:5], s[4:5], exec
	s_or_saveexec_b64 s[6:7], s[6:7]
	v_mov_b32_e32 v10, s10
	s_xor_b64 exec, exec, s[6:7]
	s_cbranch_execz .LBB11_362
.LBB11_2412:
	v_mov_b32_e32 v10, 0
	v_cmp_ne_u16_sdwa s[8:9], v11, v10 src0_sel:BYTE_0 src1_sel:DWORD
	s_andn2_b64 s[4:5], s[4:5], exec
	s_and_b64 s[8:9], s[8:9], exec
	s_or_b64 s[4:5], s[4:5], s[8:9]
	s_or_b64 exec, exec, s[6:7]
	s_and_saveexec_b64 s[6:7], s[4:5]
	s_cbranch_execnz .LBB11_363
	s_branch .LBB11_364
.LBB11_2413:
	s_movk_i32 s4, 0x80
	v_cmp_eq_u16_sdwa s[12:13], v11, s4 src0_sel:BYTE_0 src1_sel:DWORD
	s_mov_b64 s[4:5], -1
                                        ; implicit-def: $sgpr10
	s_and_saveexec_b64 s[8:9], s[12:13]
; %bb.2414:
	s_mov_b32 s10, 0x7f800001
	s_xor_b64 s[4:5], exec, -1
; %bb.2415:
	s_or_b64 exec, exec, s[8:9]
	s_and_b64 s[4:5], s[4:5], exec
	s_or_saveexec_b64 s[6:7], s[6:7]
	v_mov_b32_e32 v12, s10
	s_xor_b64 exec, exec, s[6:7]
	s_cbranch_execz .LBB11_366
.LBB11_2416:
	v_mov_b32_e32 v12, 0
	v_cmp_ne_u16_sdwa s[8:9], v11, v12 src0_sel:BYTE_0 src1_sel:DWORD
	s_andn2_b64 s[4:5], s[4:5], exec
	s_and_b64 s[8:9], s[8:9], exec
	s_or_b64 s[4:5], s[4:5], s[8:9]
	s_or_b64 exec, exec, s[6:7]
	s_and_saveexec_b64 s[6:7], s[4:5]
	s_cbranch_execnz .LBB11_367
	s_branch .LBB11_368
.LBB11_2417:
	s_movk_i32 s4, 0x80
	v_cmp_eq_u16_e32 vcc, s4, v11
	s_mov_b64 s[4:5], -1
                                        ; implicit-def: $sgpr10
	s_and_saveexec_b64 s[8:9], vcc
; %bb.2418:
	s_mov_b32 s10, 0x7f800001
	s_xor_b64 s[4:5], exec, -1
; %bb.2419:
	s_or_b64 exec, exec, s[8:9]
	s_and_b64 s[4:5], s[4:5], exec
                                        ; implicit-def: $vgpr11
	s_or_saveexec_b64 s[6:7], s[6:7]
	v_mov_b32_e32 v10, s10
	s_xor_b64 exec, exec, s[6:7]
	s_cbranch_execz .LBB11_370
.LBB11_2420:
	v_cmp_ne_u16_e32 vcc, 0, v11
	s_andn2_b64 s[4:5], s[4:5], exec
	s_and_b64 s[8:9], vcc, exec
	v_mov_b32_e32 v10, 0
	s_or_b64 s[4:5], s[4:5], s[8:9]
	s_or_b64 exec, exec, s[6:7]
	s_and_saveexec_b64 s[6:7], s[4:5]
	s_cbranch_execnz .LBB11_371
	s_branch .LBB11_372
.LBB11_2421:
	s_movk_i32 s4, 0x80
	v_cmp_eq_u16_e32 vcc, s4, v11
	s_mov_b64 s[4:5], -1
                                        ; implicit-def: $sgpr10
	s_and_saveexec_b64 s[8:9], vcc
; %bb.2422:
	s_mov_b32 s10, 0x7f800001
	s_xor_b64 s[4:5], exec, -1
; %bb.2423:
	s_or_b64 exec, exec, s[8:9]
	s_and_b64 s[4:5], s[4:5], exec
                                        ; implicit-def: $vgpr11
	s_or_saveexec_b64 s[6:7], s[6:7]
	v_mov_b32_e32 v12, s10
	s_xor_b64 exec, exec, s[6:7]
	s_cbranch_execz .LBB11_374
.LBB11_2424:
	v_cmp_ne_u16_e32 vcc, 0, v11
	s_andn2_b64 s[4:5], s[4:5], exec
	s_and_b64 s[8:9], vcc, exec
	v_mov_b32_e32 v12, 0
	s_or_b64 s[4:5], s[4:5], s[8:9]
	s_or_b64 exec, exec, s[6:7]
	s_and_saveexec_b64 s[6:7], s[4:5]
	s_cbranch_execnz .LBB11_375
	s_branch .LBB11_376
.LBB11_2425:
	s_movk_i32 s4, 0x80
	v_cmp_eq_u16_sdwa s[12:13], v17, s4 src0_sel:BYTE_3 src1_sel:DWORD
	s_mov_b64 s[4:5], -1
                                        ; implicit-def: $sgpr10
	s_and_saveexec_b64 s[8:9], s[12:13]
; %bb.2426:
	s_mov_b32 s10, 0x7f800001
	s_xor_b64 s[4:5], exec, -1
; %bb.2427:
	s_or_b64 exec, exec, s[8:9]
	s_and_b64 s[4:5], s[4:5], exec
	s_or_saveexec_b64 s[6:7], s[6:7]
	v_mov_b32_e32 v10, s10
	s_xor_b64 exec, exec, s[6:7]
	s_cbranch_execz .LBB11_378
.LBB11_2428:
	v_mov_b32_e32 v10, 0
	v_cmp_ne_u16_sdwa s[8:9], v17, v10 src0_sel:BYTE_3 src1_sel:DWORD
	s_andn2_b64 s[4:5], s[4:5], exec
	s_and_b64 s[8:9], s[8:9], exec
	s_or_b64 s[4:5], s[4:5], s[8:9]
	s_or_b64 exec, exec, s[6:7]
	s_and_saveexec_b64 s[6:7], s[4:5]
	s_cbranch_execnz .LBB11_379
	s_branch .LBB11_380
.LBB11_2429:
	s_movk_i32 s4, 0x80
	v_cmp_eq_u16_sdwa s[12:13], v13, s4 src0_sel:BYTE_3 src1_sel:DWORD
	s_mov_b64 s[4:5], -1
                                        ; implicit-def: $sgpr10
	s_and_saveexec_b64 s[8:9], s[12:13]
; %bb.2430:
	s_mov_b32 s10, 0x7f800001
	s_xor_b64 s[4:5], exec, -1
; %bb.2431:
	s_or_b64 exec, exec, s[8:9]
	s_and_b64 s[4:5], s[4:5], exec
	s_or_saveexec_b64 s[6:7], s[6:7]
	v_mov_b32_e32 v11, s10
	s_xor_b64 exec, exec, s[6:7]
	s_cbranch_execz .LBB11_382
.LBB11_2432:
	v_mov_b32_e32 v11, 0
	v_cmp_ne_u16_sdwa s[8:9], v13, v11 src0_sel:BYTE_3 src1_sel:DWORD
	s_andn2_b64 s[4:5], s[4:5], exec
	s_and_b64 s[8:9], s[8:9], exec
	s_or_b64 s[4:5], s[4:5], s[8:9]
	s_or_b64 exec, exec, s[6:7]
	s_and_saveexec_b64 s[6:7], s[4:5]
	s_cbranch_execnz .LBB11_383
	s_branch .LBB11_384
.LBB11_2433:
	s_movk_i32 s4, 0x80
	v_cmp_eq_u16_sdwa s[12:13], v6, s4 src0_sel:BYTE_0 src1_sel:DWORD
	s_mov_b64 s[4:5], -1
                                        ; implicit-def: $sgpr10
	s_and_saveexec_b64 s[8:9], s[12:13]
; %bb.2434:
	s_mov_b32 s10, 0x7f800001
	s_xor_b64 s[4:5], exec, -1
; %bb.2435:
	s_or_b64 exec, exec, s[8:9]
	s_and_b64 s[4:5], s[4:5], exec
	s_or_saveexec_b64 s[6:7], s[6:7]
	v_mov_b32_e32 v10, s10
	s_xor_b64 exec, exec, s[6:7]
	s_cbranch_execz .LBB11_386
.LBB11_2436:
	v_mov_b32_e32 v10, 0
	v_cmp_ne_u16_sdwa s[8:9], v6, v10 src0_sel:BYTE_0 src1_sel:DWORD
	s_andn2_b64 s[4:5], s[4:5], exec
	s_and_b64 s[8:9], s[8:9], exec
	s_or_b64 s[4:5], s[4:5], s[8:9]
	s_or_b64 exec, exec, s[6:7]
	s_and_saveexec_b64 s[6:7], s[4:5]
	s_cbranch_execnz .LBB11_387
	s_branch .LBB11_388
.LBB11_2437:
	s_movk_i32 s4, 0x80
	v_cmp_eq_u16_sdwa s[12:13], v2, s4 src0_sel:BYTE_0 src1_sel:DWORD
	s_mov_b64 s[4:5], -1
                                        ; implicit-def: $sgpr10
	s_and_saveexec_b64 s[8:9], s[12:13]
; %bb.2438:
	s_mov_b32 s10, 0x7f800001
	s_xor_b64 s[4:5], exec, -1
; %bb.2439:
	s_or_b64 exec, exec, s[8:9]
	s_and_b64 s[4:5], s[4:5], exec
	s_or_saveexec_b64 s[6:7], s[6:7]
	v_mov_b32_e32 v11, s10
	s_xor_b64 exec, exec, s[6:7]
	s_cbranch_execz .LBB11_390
.LBB11_2440:
	v_mov_b32_e32 v11, 0
	v_cmp_ne_u16_sdwa s[8:9], v2, v11 src0_sel:BYTE_0 src1_sel:DWORD
	s_andn2_b64 s[4:5], s[4:5], exec
	s_and_b64 s[8:9], s[8:9], exec
	s_or_b64 s[4:5], s[4:5], s[8:9]
	s_or_b64 exec, exec, s[6:7]
	s_and_saveexec_b64 s[6:7], s[4:5]
	s_cbranch_execnz .LBB11_391
	s_branch .LBB11_392
.LBB11_2441:
	s_movk_i32 s4, 0x80
	v_cmp_eq_u16_sdwa s[12:13], v11, s4 src0_sel:BYTE_0 src1_sel:DWORD
	s_mov_b64 s[4:5], -1
                                        ; implicit-def: $sgpr10
	s_and_saveexec_b64 s[8:9], s[12:13]
; %bb.2442:
	s_mov_b32 s10, 0x7f800001
	s_xor_b64 s[4:5], exec, -1
; %bb.2443:
	s_or_b64 exec, exec, s[8:9]
	s_and_b64 s[4:5], s[4:5], exec
	s_or_saveexec_b64 s[6:7], s[6:7]
	v_mov_b32_e32 v10, s10
	s_xor_b64 exec, exec, s[6:7]
	s_cbranch_execz .LBB11_394
.LBB11_2444:
	v_mov_b32_e32 v10, 0
	v_cmp_ne_u16_sdwa s[8:9], v11, v10 src0_sel:BYTE_0 src1_sel:DWORD
	s_andn2_b64 s[4:5], s[4:5], exec
	s_and_b64 s[8:9], s[8:9], exec
	s_or_b64 s[4:5], s[4:5], s[8:9]
	s_or_b64 exec, exec, s[6:7]
	s_and_saveexec_b64 s[6:7], s[4:5]
	s_cbranch_execnz .LBB11_395
	s_branch .LBB11_396
.LBB11_2445:
	s_movk_i32 s4, 0x80
	v_cmp_eq_u16_sdwa s[12:13], v11, s4 src0_sel:BYTE_0 src1_sel:DWORD
	s_mov_b64 s[4:5], -1
                                        ; implicit-def: $sgpr10
	s_and_saveexec_b64 s[8:9], s[12:13]
; %bb.2446:
	s_mov_b32 s10, 0x7f800001
	s_xor_b64 s[4:5], exec, -1
; %bb.2447:
	s_or_b64 exec, exec, s[8:9]
	s_and_b64 s[4:5], s[4:5], exec
	s_or_saveexec_b64 s[6:7], s[6:7]
	v_mov_b32_e32 v12, s10
	s_xor_b64 exec, exec, s[6:7]
	s_cbranch_execz .LBB11_398
.LBB11_2448:
	v_mov_b32_e32 v12, 0
	v_cmp_ne_u16_sdwa s[8:9], v11, v12 src0_sel:BYTE_0 src1_sel:DWORD
	s_andn2_b64 s[4:5], s[4:5], exec
	s_and_b64 s[8:9], s[8:9], exec
	s_or_b64 s[4:5], s[4:5], s[8:9]
	s_or_b64 exec, exec, s[6:7]
	s_and_saveexec_b64 s[6:7], s[4:5]
	s_cbranch_execnz .LBB11_399
	s_branch .LBB11_400
.LBB11_2449:
	s_movk_i32 s4, 0x80
	v_cmp_eq_u16_e32 vcc, s4, v11
	s_mov_b64 s[4:5], -1
                                        ; implicit-def: $sgpr10
	s_and_saveexec_b64 s[8:9], vcc
; %bb.2450:
	s_mov_b32 s10, 0x7f800001
	s_xor_b64 s[4:5], exec, -1
; %bb.2451:
	s_or_b64 exec, exec, s[8:9]
	s_and_b64 s[4:5], s[4:5], exec
                                        ; implicit-def: $vgpr11
	s_or_saveexec_b64 s[6:7], s[6:7]
	v_mov_b32_e32 v10, s10
	s_xor_b64 exec, exec, s[6:7]
	s_cbranch_execz .LBB11_402
.LBB11_2452:
	v_cmp_ne_u16_e32 vcc, 0, v11
	s_andn2_b64 s[4:5], s[4:5], exec
	s_and_b64 s[8:9], vcc, exec
	v_mov_b32_e32 v10, 0
	s_or_b64 s[4:5], s[4:5], s[8:9]
	s_or_b64 exec, exec, s[6:7]
	s_and_saveexec_b64 s[6:7], s[4:5]
	s_cbranch_execnz .LBB11_403
	s_branch .LBB11_404
.LBB11_2453:
	s_movk_i32 s4, 0x80
	v_cmp_eq_u16_e32 vcc, s4, v11
	s_mov_b64 s[4:5], -1
                                        ; implicit-def: $sgpr10
	s_and_saveexec_b64 s[8:9], vcc
; %bb.2454:
	s_mov_b32 s10, 0x7f800001
	s_xor_b64 s[4:5], exec, -1
; %bb.2455:
	s_or_b64 exec, exec, s[8:9]
	s_and_b64 s[4:5], s[4:5], exec
                                        ; implicit-def: $vgpr11
	s_or_saveexec_b64 s[6:7], s[6:7]
	v_mov_b32_e32 v12, s10
	s_xor_b64 exec, exec, s[6:7]
	s_cbranch_execz .LBB11_406
.LBB11_2456:
	v_cmp_ne_u16_e32 vcc, 0, v11
	s_andn2_b64 s[4:5], s[4:5], exec
	s_and_b64 s[8:9], vcc, exec
	v_mov_b32_e32 v12, 0
	s_or_b64 s[4:5], s[4:5], s[8:9]
	s_or_b64 exec, exec, s[6:7]
	s_and_saveexec_b64 s[6:7], s[4:5]
	s_cbranch_execnz .LBB11_407
	s_branch .LBB11_408
.LBB11_2457:
	s_movk_i32 s4, 0x80
	v_cmp_eq_u16_sdwa s[12:13], v6, s4 src0_sel:BYTE_3 src1_sel:DWORD
	s_mov_b64 s[4:5], -1
                                        ; implicit-def: $sgpr10
	s_and_saveexec_b64 s[8:9], s[12:13]
; %bb.2458:
	s_mov_b32 s10, 0x7f800001
	s_xor_b64 s[4:5], exec, -1
; %bb.2459:
	s_or_b64 exec, exec, s[8:9]
	s_and_b64 s[4:5], s[4:5], exec
	s_or_saveexec_b64 s[6:7], s[6:7]
	v_mov_b32_e32 v10, s10
	s_xor_b64 exec, exec, s[6:7]
	s_cbranch_execz .LBB11_410
.LBB11_2460:
	v_mov_b32_e32 v10, 0
	v_cmp_ne_u16_sdwa s[8:9], v6, v10 src0_sel:BYTE_3 src1_sel:DWORD
	s_andn2_b64 s[4:5], s[4:5], exec
	s_and_b64 s[8:9], s[8:9], exec
	s_or_b64 s[4:5], s[4:5], s[8:9]
	s_or_b64 exec, exec, s[6:7]
	s_and_saveexec_b64 s[6:7], s[4:5]
	s_cbranch_execnz .LBB11_411
	s_branch .LBB11_412
.LBB11_2461:
	s_movk_i32 s4, 0x80
	v_cmp_eq_u16_sdwa s[12:13], v2, s4 src0_sel:BYTE_3 src1_sel:DWORD
	s_mov_b64 s[4:5], -1
                                        ; implicit-def: $sgpr10
	s_and_saveexec_b64 s[8:9], s[12:13]
; %bb.2462:
	s_mov_b32 s10, 0x7f800001
	s_xor_b64 s[4:5], exec, -1
; %bb.2463:
	s_or_b64 exec, exec, s[8:9]
	s_and_b64 s[4:5], s[4:5], exec
	s_or_saveexec_b64 s[6:7], s[6:7]
	v_mov_b32_e32 v6, s10
	s_xor_b64 exec, exec, s[6:7]
	s_cbranch_execz .LBB11_414
.LBB11_2464:
	v_mov_b32_e32 v6, 0
	v_cmp_ne_u16_sdwa s[8:9], v2, v6 src0_sel:BYTE_3 src1_sel:DWORD
	s_andn2_b64 s[4:5], s[4:5], exec
	s_and_b64 s[8:9], s[8:9], exec
	s_or_b64 s[4:5], s[4:5], s[8:9]
	s_or_b64 exec, exec, s[6:7]
	s_and_saveexec_b64 s[6:7], s[4:5]
	s_cbranch_execnz .LBB11_415
	s_branch .LBB11_416
.LBB11_2465:
	s_movk_i32 s4, 0x80
	v_cmp_eq_u16_sdwa s[12:13], v7, s4 src0_sel:BYTE_0 src1_sel:DWORD
	s_mov_b64 s[4:5], -1
                                        ; implicit-def: $sgpr10
	s_and_saveexec_b64 s[8:9], s[12:13]
; %bb.2466:
	s_mov_b32 s10, 0x7f800001
	s_xor_b64 s[4:5], exec, -1
; %bb.2467:
	s_or_b64 exec, exec, s[8:9]
	s_and_b64 s[4:5], s[4:5], exec
	s_or_saveexec_b64 s[6:7], s[6:7]
	v_mov_b32_e32 v2, s10
	s_xor_b64 exec, exec, s[6:7]
	s_cbranch_execz .LBB11_418
.LBB11_2468:
	v_mov_b32_e32 v2, 0
	v_cmp_ne_u16_sdwa s[8:9], v7, v2 src0_sel:BYTE_0 src1_sel:DWORD
	s_andn2_b64 s[4:5], s[4:5], exec
	s_and_b64 s[8:9], s[8:9], exec
	s_or_b64 s[4:5], s[4:5], s[8:9]
	s_or_b64 exec, exec, s[6:7]
	s_and_saveexec_b64 s[6:7], s[4:5]
	s_cbranch_execnz .LBB11_419
	s_branch .LBB11_420
.LBB11_2469:
	s_movk_i32 s4, 0x80
	v_cmp_eq_u16_sdwa s[12:13], v3, s4 src0_sel:BYTE_0 src1_sel:DWORD
	s_mov_b64 s[4:5], -1
                                        ; implicit-def: $sgpr10
	s_and_saveexec_b64 s[8:9], s[12:13]
; %bb.2470:
	s_mov_b32 s10, 0x7f800001
	s_xor_b64 s[4:5], exec, -1
; %bb.2471:
	s_or_b64 exec, exec, s[8:9]
	s_and_b64 s[4:5], s[4:5], exec
	s_or_saveexec_b64 s[6:7], s[6:7]
	v_mov_b32_e32 v6, s10
	s_xor_b64 exec, exec, s[6:7]
	s_cbranch_execz .LBB11_422
.LBB11_2472:
	v_mov_b32_e32 v6, 0
	v_cmp_ne_u16_sdwa s[8:9], v3, v6 src0_sel:BYTE_0 src1_sel:DWORD
	s_andn2_b64 s[4:5], s[4:5], exec
	s_and_b64 s[8:9], s[8:9], exec
	s_or_b64 s[4:5], s[4:5], s[8:9]
	s_or_b64 exec, exec, s[6:7]
	s_and_saveexec_b64 s[6:7], s[4:5]
	s_cbranch_execnz .LBB11_423
	s_branch .LBB11_424
.LBB11_2473:
	s_movk_i32 s4, 0x80
	v_cmp_eq_u16_sdwa s[12:13], v6, s4 src0_sel:BYTE_0 src1_sel:DWORD
	s_mov_b64 s[4:5], -1
                                        ; implicit-def: $sgpr10
	s_and_saveexec_b64 s[8:9], s[12:13]
; %bb.2474:
	s_mov_b32 s10, 0x7f800001
	s_xor_b64 s[4:5], exec, -1
; %bb.2475:
	s_or_b64 exec, exec, s[8:9]
	s_and_b64 s[4:5], s[4:5], exec
	s_or_saveexec_b64 s[6:7], s[6:7]
	v_mov_b32_e32 v2, s10
	s_xor_b64 exec, exec, s[6:7]
	s_cbranch_execz .LBB11_426
.LBB11_2476:
	v_mov_b32_e32 v2, 0
	v_cmp_ne_u16_sdwa s[8:9], v6, v2 src0_sel:BYTE_0 src1_sel:DWORD
	s_andn2_b64 s[4:5], s[4:5], exec
	s_and_b64 s[8:9], s[8:9], exec
	s_or_b64 s[4:5], s[4:5], s[8:9]
	s_or_b64 exec, exec, s[6:7]
	s_and_saveexec_b64 s[6:7], s[4:5]
	s_cbranch_execnz .LBB11_427
	s_branch .LBB11_428
.LBB11_2477:
	s_movk_i32 s4, 0x80
	v_cmp_eq_u16_sdwa s[12:13], v6, s4 src0_sel:BYTE_0 src1_sel:DWORD
	s_mov_b64 s[4:5], -1
                                        ; implicit-def: $sgpr10
	s_and_saveexec_b64 s[8:9], s[12:13]
; %bb.2478:
	s_mov_b32 s10, 0x7f800001
	s_xor_b64 s[4:5], exec, -1
; %bb.2479:
	s_or_b64 exec, exec, s[8:9]
	s_and_b64 s[4:5], s[4:5], exec
	s_or_saveexec_b64 s[6:7], s[6:7]
	v_mov_b32_e32 v10, s10
	s_xor_b64 exec, exec, s[6:7]
	s_cbranch_execz .LBB11_430
.LBB11_2480:
	v_mov_b32_e32 v10, 0
	v_cmp_ne_u16_sdwa s[8:9], v6, v10 src0_sel:BYTE_0 src1_sel:DWORD
	s_andn2_b64 s[4:5], s[4:5], exec
	s_and_b64 s[8:9], s[8:9], exec
	s_or_b64 s[4:5], s[4:5], s[8:9]
	s_or_b64 exec, exec, s[6:7]
	s_and_saveexec_b64 s[6:7], s[4:5]
	s_cbranch_execnz .LBB11_431
	s_branch .LBB11_432
.LBB11_2481:
	s_movk_i32 s4, 0x80
	v_cmp_eq_u16_e32 vcc, s4, v6
	s_mov_b64 s[4:5], -1
                                        ; implicit-def: $sgpr10
	s_and_saveexec_b64 s[8:9], vcc
; %bb.2482:
	s_mov_b32 s10, 0x7f800001
	s_xor_b64 s[4:5], exec, -1
; %bb.2483:
	s_or_b64 exec, exec, s[8:9]
	s_and_b64 s[4:5], s[4:5], exec
                                        ; implicit-def: $vgpr6
	s_or_saveexec_b64 s[6:7], s[6:7]
	v_mov_b32_e32 v2, s10
	s_xor_b64 exec, exec, s[6:7]
	s_cbranch_execz .LBB11_434
.LBB11_2484:
	v_cmp_ne_u16_e32 vcc, 0, v6
	s_andn2_b64 s[4:5], s[4:5], exec
	s_and_b64 s[8:9], vcc, exec
	v_mov_b32_e32 v2, 0
	s_or_b64 s[4:5], s[4:5], s[8:9]
	s_or_b64 exec, exec, s[6:7]
	s_and_saveexec_b64 s[6:7], s[4:5]
	s_cbranch_execnz .LBB11_435
	s_branch .LBB11_436
.LBB11_2485:
	s_movk_i32 s4, 0x80
	v_cmp_eq_u16_e32 vcc, s4, v6
	s_mov_b64 s[4:5], -1
                                        ; implicit-def: $sgpr10
	s_and_saveexec_b64 s[8:9], vcc
; %bb.2486:
	s_mov_b32 s10, 0x7f800001
	s_xor_b64 s[4:5], exec, -1
; %bb.2487:
	s_or_b64 exec, exec, s[8:9]
	s_and_b64 s[4:5], s[4:5], exec
                                        ; implicit-def: $vgpr6
	s_or_saveexec_b64 s[6:7], s[6:7]
	v_mov_b32_e32 v10, s10
	s_xor_b64 exec, exec, s[6:7]
	s_cbranch_execz .LBB11_438
.LBB11_2488:
	v_cmp_ne_u16_e32 vcc, 0, v6
	s_andn2_b64 s[4:5], s[4:5], exec
	s_and_b64 s[8:9], vcc, exec
	v_mov_b32_e32 v10, 0
	s_or_b64 s[4:5], s[4:5], s[8:9]
	s_or_b64 exec, exec, s[6:7]
	s_and_saveexec_b64 s[6:7], s[4:5]
	s_cbranch_execnz .LBB11_439
	s_branch .LBB11_440
.LBB11_2489:
	s_movk_i32 s4, 0x80
	v_cmp_eq_u16_sdwa s[12:13], v7, s4 src0_sel:BYTE_3 src1_sel:DWORD
	s_mov_b64 s[4:5], -1
                                        ; implicit-def: $sgpr10
	s_and_saveexec_b64 s[8:9], s[12:13]
; %bb.2490:
	s_mov_b32 s10, 0x7f800001
	s_xor_b64 s[4:5], exec, -1
; %bb.2491:
	s_or_b64 exec, exec, s[8:9]
	s_and_b64 s[4:5], s[4:5], exec
	s_or_saveexec_b64 s[6:7], s[6:7]
	v_mov_b32_e32 v2, s10
	s_xor_b64 exec, exec, s[6:7]
	s_cbranch_execz .LBB11_442
.LBB11_2492:
	v_mov_b32_e32 v2, 0
	v_cmp_ne_u16_sdwa s[8:9], v7, v2 src0_sel:BYTE_3 src1_sel:DWORD
	s_andn2_b64 s[4:5], s[4:5], exec
	s_and_b64 s[8:9], s[8:9], exec
	s_or_b64 s[4:5], s[4:5], s[8:9]
	s_or_b64 exec, exec, s[6:7]
	s_and_saveexec_b64 s[6:7], s[4:5]
	s_cbranch_execnz .LBB11_443
	s_branch .LBB11_444
.LBB11_2493:
	s_movk_i32 s4, 0x80
	v_cmp_eq_u16_sdwa s[12:13], v3, s4 src0_sel:BYTE_3 src1_sel:DWORD
	s_mov_b64 s[4:5], -1
                                        ; implicit-def: $sgpr10
	s_and_saveexec_b64 s[8:9], s[12:13]
; %bb.2494:
	s_mov_b32 s10, 0x7f800001
	s_xor_b64 s[4:5], exec, -1
; %bb.2495:
	s_or_b64 exec, exec, s[8:9]
	s_and_b64 s[4:5], s[4:5], exec
	s_or_saveexec_b64 s[6:7], s[6:7]
	v_mov_b32_e32 v6, s10
	s_xor_b64 exec, exec, s[6:7]
	s_cbranch_execz .LBB11_446
.LBB11_2496:
	v_mov_b32_e32 v6, 0
	v_cmp_ne_u16_sdwa s[8:9], v3, v6 src0_sel:BYTE_3 src1_sel:DWORD
	s_andn2_b64 s[4:5], s[4:5], exec
	s_and_b64 s[8:9], s[8:9], exec
	s_or_b64 s[4:5], s[4:5], s[8:9]
	s_or_b64 exec, exec, s[6:7]
	s_and_saveexec_b64 s[6:7], s[4:5]
	s_cbranch_execnz .LBB11_447
	s_branch .LBB11_448
.LBB11_2497:
	s_movk_i32 s4, 0x80
	v_cmp_eq_u16_sdwa s[12:13], v8, s4 src0_sel:BYTE_0 src1_sel:DWORD
	s_mov_b64 s[4:5], -1
                                        ; implicit-def: $sgpr10
	s_and_saveexec_b64 s[8:9], s[12:13]
; %bb.2498:
	s_mov_b32 s10, 0x7f800001
	s_xor_b64 s[4:5], exec, -1
; %bb.2499:
	s_or_b64 exec, exec, s[8:9]
	s_and_b64 s[4:5], s[4:5], exec
	s_or_saveexec_b64 s[6:7], s[6:7]
	v_mov_b32_e32 v2, s10
	s_xor_b64 exec, exec, s[6:7]
	s_cbranch_execz .LBB11_450
.LBB11_2500:
	v_mov_b32_e32 v2, 0
	v_cmp_ne_u16_sdwa s[8:9], v8, v2 src0_sel:BYTE_0 src1_sel:DWORD
	s_andn2_b64 s[4:5], s[4:5], exec
	s_and_b64 s[8:9], s[8:9], exec
	s_or_b64 s[4:5], s[4:5], s[8:9]
	s_or_b64 exec, exec, s[6:7]
	s_and_saveexec_b64 s[6:7], s[4:5]
	s_cbranch_execnz .LBB11_451
	s_branch .LBB11_452
.LBB11_2501:
	s_movk_i32 s4, 0x80
	v_cmp_eq_u16_sdwa s[12:13], v4, s4 src0_sel:BYTE_0 src1_sel:DWORD
	s_mov_b64 s[4:5], -1
                                        ; implicit-def: $sgpr10
	s_and_saveexec_b64 s[8:9], s[12:13]
; %bb.2502:
	s_mov_b32 s10, 0x7f800001
	s_xor_b64 s[4:5], exec, -1
; %bb.2503:
	s_or_b64 exec, exec, s[8:9]
	s_and_b64 s[4:5], s[4:5], exec
	s_or_saveexec_b64 s[6:7], s[6:7]
	v_mov_b32_e32 v3, s10
	s_xor_b64 exec, exec, s[6:7]
	s_cbranch_execz .LBB11_454
.LBB11_2504:
	v_mov_b32_e32 v3, 0
	v_cmp_ne_u16_sdwa s[8:9], v4, v3 src0_sel:BYTE_0 src1_sel:DWORD
	s_andn2_b64 s[4:5], s[4:5], exec
	s_and_b64 s[8:9], s[8:9], exec
	s_or_b64 s[4:5], s[4:5], s[8:9]
	s_or_b64 exec, exec, s[6:7]
	s_and_saveexec_b64 s[6:7], s[4:5]
	s_cbranch_execnz .LBB11_455
	s_branch .LBB11_456
.LBB11_2505:
	s_movk_i32 s4, 0x80
	v_cmp_eq_u16_sdwa s[12:13], v3, s4 src0_sel:BYTE_0 src1_sel:DWORD
	s_mov_b64 s[4:5], -1
                                        ; implicit-def: $sgpr10
	s_and_saveexec_b64 s[8:9], s[12:13]
; %bb.2506:
	s_mov_b32 s10, 0x7f800001
	s_xor_b64 s[4:5], exec, -1
; %bb.2507:
	s_or_b64 exec, exec, s[8:9]
	s_and_b64 s[4:5], s[4:5], exec
	s_or_saveexec_b64 s[6:7], s[6:7]
	v_mov_b32_e32 v2, s10
	s_xor_b64 exec, exec, s[6:7]
	s_cbranch_execz .LBB11_458
.LBB11_2508:
	v_mov_b32_e32 v2, 0
	v_cmp_ne_u16_sdwa s[8:9], v3, v2 src0_sel:BYTE_0 src1_sel:DWORD
	s_andn2_b64 s[4:5], s[4:5], exec
	s_and_b64 s[8:9], s[8:9], exec
	s_or_b64 s[4:5], s[4:5], s[8:9]
	s_or_b64 exec, exec, s[6:7]
	s_and_saveexec_b64 s[6:7], s[4:5]
	s_cbranch_execnz .LBB11_459
	s_branch .LBB11_460
.LBB11_2509:
	s_movk_i32 s4, 0x80
	v_cmp_eq_u16_sdwa s[12:13], v3, s4 src0_sel:BYTE_0 src1_sel:DWORD
	s_mov_b64 s[4:5], -1
                                        ; implicit-def: $sgpr10
	s_and_saveexec_b64 s[8:9], s[12:13]
; %bb.2510:
	s_mov_b32 s10, 0x7f800001
	s_xor_b64 s[4:5], exec, -1
; %bb.2511:
	s_or_b64 exec, exec, s[8:9]
	s_and_b64 s[4:5], s[4:5], exec
	s_or_saveexec_b64 s[6:7], s[6:7]
	v_mov_b32_e32 v6, s10
	s_xor_b64 exec, exec, s[6:7]
	s_cbranch_execz .LBB11_462
.LBB11_2512:
	v_mov_b32_e32 v6, 0
	v_cmp_ne_u16_sdwa s[8:9], v3, v6 src0_sel:BYTE_0 src1_sel:DWORD
	s_andn2_b64 s[4:5], s[4:5], exec
	s_and_b64 s[8:9], s[8:9], exec
	s_or_b64 s[4:5], s[4:5], s[8:9]
	s_or_b64 exec, exec, s[6:7]
	s_and_saveexec_b64 s[6:7], s[4:5]
	s_cbranch_execnz .LBB11_463
	s_branch .LBB11_464
.LBB11_2513:
	s_movk_i32 s4, 0x80
	v_cmp_eq_u16_e32 vcc, s4, v3
	s_mov_b64 s[4:5], -1
                                        ; implicit-def: $sgpr10
	s_and_saveexec_b64 s[8:9], vcc
; %bb.2514:
	s_mov_b32 s10, 0x7f800001
	s_xor_b64 s[4:5], exec, -1
; %bb.2515:
	s_or_b64 exec, exec, s[8:9]
	s_and_b64 s[4:5], s[4:5], exec
                                        ; implicit-def: $vgpr3
	s_or_saveexec_b64 s[6:7], s[6:7]
	v_mov_b32_e32 v2, s10
	s_xor_b64 exec, exec, s[6:7]
	s_cbranch_execz .LBB11_466
.LBB11_2516:
	v_cmp_ne_u16_e32 vcc, 0, v3
	s_andn2_b64 s[4:5], s[4:5], exec
	s_and_b64 s[8:9], vcc, exec
	v_mov_b32_e32 v2, 0
	s_or_b64 s[4:5], s[4:5], s[8:9]
	s_or_b64 exec, exec, s[6:7]
	s_and_saveexec_b64 s[6:7], s[4:5]
	s_cbranch_execnz .LBB11_467
	s_branch .LBB11_468
.LBB11_2517:
	s_movk_i32 s4, 0x80
	v_cmp_eq_u16_e32 vcc, s4, v3
	s_mov_b64 s[4:5], -1
                                        ; implicit-def: $sgpr10
	s_and_saveexec_b64 s[8:9], vcc
; %bb.2518:
	s_mov_b32 s10, 0x7f800001
	s_xor_b64 s[4:5], exec, -1
; %bb.2519:
	s_or_b64 exec, exec, s[8:9]
	s_and_b64 s[4:5], s[4:5], exec
                                        ; implicit-def: $vgpr3
	s_or_saveexec_b64 s[6:7], s[6:7]
	v_mov_b32_e32 v6, s10
	s_xor_b64 exec, exec, s[6:7]
	s_cbranch_execz .LBB11_470
.LBB11_2520:
	v_cmp_ne_u16_e32 vcc, 0, v3
	s_andn2_b64 s[4:5], s[4:5], exec
	s_and_b64 s[8:9], vcc, exec
	v_mov_b32_e32 v6, 0
	s_or_b64 s[4:5], s[4:5], s[8:9]
	s_or_b64 exec, exec, s[6:7]
	s_and_saveexec_b64 s[6:7], s[4:5]
	s_cbranch_execnz .LBB11_471
	s_branch .LBB11_472
.LBB11_2521:
	s_movk_i32 s4, 0x80
	v_cmp_eq_u16_sdwa s[12:13], v8, s4 src0_sel:BYTE_3 src1_sel:DWORD
	s_mov_b64 s[4:5], -1
                                        ; implicit-def: $sgpr10
	s_and_saveexec_b64 s[8:9], s[12:13]
; %bb.2522:
	s_mov_b32 s10, 0x7f800001
	s_xor_b64 s[4:5], exec, -1
; %bb.2523:
	s_or_b64 exec, exec, s[8:9]
	s_and_b64 s[4:5], s[4:5], exec
	s_or_saveexec_b64 s[6:7], s[6:7]
	v_mov_b32_e32 v2, s10
	s_xor_b64 exec, exec, s[6:7]
	s_cbranch_execz .LBB11_474
.LBB11_2524:
	v_mov_b32_e32 v2, 0
	v_cmp_ne_u16_sdwa s[8:9], v8, v2 src0_sel:BYTE_3 src1_sel:DWORD
	s_andn2_b64 s[4:5], s[4:5], exec
	s_and_b64 s[8:9], s[8:9], exec
	s_or_b64 s[4:5], s[4:5], s[8:9]
	s_or_b64 exec, exec, s[6:7]
	s_and_saveexec_b64 s[6:7], s[4:5]
	s_cbranch_execnz .LBB11_475
	s_branch .LBB11_476
.LBB11_2525:
	s_movk_i32 s4, 0x80
	v_cmp_eq_u16_sdwa s[12:13], v4, s4 src0_sel:BYTE_3 src1_sel:DWORD
	s_mov_b64 s[4:5], -1
                                        ; implicit-def: $sgpr10
	s_and_saveexec_b64 s[8:9], s[12:13]
; %bb.2526:
	s_mov_b32 s10, 0x7f800001
	s_xor_b64 s[4:5], exec, -1
; %bb.2527:
	s_or_b64 exec, exec, s[8:9]
	s_and_b64 s[4:5], s[4:5], exec
	s_or_saveexec_b64 s[6:7], s[6:7]
	v_mov_b32_e32 v3, s10
	s_xor_b64 exec, exec, s[6:7]
	s_cbranch_execz .LBB11_478
.LBB11_2528:
	v_mov_b32_e32 v3, 0
	v_cmp_ne_u16_sdwa s[8:9], v4, v3 src0_sel:BYTE_3 src1_sel:DWORD
	s_andn2_b64 s[4:5], s[4:5], exec
	s_and_b64 s[8:9], s[8:9], exec
	s_or_b64 s[4:5], s[4:5], s[8:9]
	s_or_b64 exec, exec, s[6:7]
	s_and_saveexec_b64 s[6:7], s[4:5]
	s_cbranch_execnz .LBB11_479
	s_branch .LBB11_480
.LBB11_2529:
	s_movk_i32 s4, 0x80
	v_cmp_eq_u16_sdwa s[12:13], v9, s4 src0_sel:BYTE_0 src1_sel:DWORD
	s_mov_b64 s[4:5], -1
                                        ; implicit-def: $sgpr10
	s_and_saveexec_b64 s[8:9], s[12:13]
; %bb.2530:
	s_mov_b32 s10, 0x7f800001
	s_xor_b64 s[4:5], exec, -1
; %bb.2531:
	s_or_b64 exec, exec, s[8:9]
	s_and_b64 s[4:5], s[4:5], exec
	s_or_saveexec_b64 s[6:7], s[6:7]
	v_mov_b32_e32 v2, s10
	s_xor_b64 exec, exec, s[6:7]
	s_cbranch_execz .LBB11_482
.LBB11_2532:
	v_mov_b32_e32 v2, 0
	v_cmp_ne_u16_sdwa s[8:9], v9, v2 src0_sel:BYTE_0 src1_sel:DWORD
	s_andn2_b64 s[4:5], s[4:5], exec
	s_and_b64 s[8:9], s[8:9], exec
	s_or_b64 s[4:5], s[4:5], s[8:9]
	s_or_b64 exec, exec, s[6:7]
	s_and_saveexec_b64 s[6:7], s[4:5]
	s_cbranch_execnz .LBB11_483
	s_branch .LBB11_484
.LBB11_2533:
	s_movk_i32 s4, 0x80
	v_cmp_eq_u16_sdwa s[12:13], v5, s4 src0_sel:BYTE_0 src1_sel:DWORD
	s_mov_b64 s[4:5], -1
                                        ; implicit-def: $sgpr10
	s_and_saveexec_b64 s[8:9], s[12:13]
; %bb.2534:
	s_mov_b32 s10, 0x7f800001
	s_xor_b64 s[4:5], exec, -1
; %bb.2535:
	s_or_b64 exec, exec, s[8:9]
	s_and_b64 s[4:5], s[4:5], exec
	s_or_saveexec_b64 s[6:7], s[6:7]
	v_mov_b32_e32 v3, s10
	s_xor_b64 exec, exec, s[6:7]
	s_cbranch_execz .LBB11_486
.LBB11_2536:
	v_mov_b32_e32 v3, 0
	v_cmp_ne_u16_sdwa s[8:9], v5, v3 src0_sel:BYTE_0 src1_sel:DWORD
	s_andn2_b64 s[4:5], s[4:5], exec
	s_and_b64 s[8:9], s[8:9], exec
	s_or_b64 s[4:5], s[4:5], s[8:9]
	s_or_b64 exec, exec, s[6:7]
	s_and_saveexec_b64 s[6:7], s[4:5]
	s_cbranch_execnz .LBB11_487
	s_branch .LBB11_488
.LBB11_2537:
	s_movk_i32 s4, 0x80
	v_cmp_eq_u16_sdwa s[12:13], v3, s4 src0_sel:BYTE_0 src1_sel:DWORD
	s_mov_b64 s[4:5], -1
                                        ; implicit-def: $sgpr10
	s_and_saveexec_b64 s[8:9], s[12:13]
; %bb.2538:
	s_mov_b32 s10, 0x7f800001
	s_xor_b64 s[4:5], exec, -1
; %bb.2539:
	s_or_b64 exec, exec, s[8:9]
	s_and_b64 s[4:5], s[4:5], exec
	s_or_saveexec_b64 s[6:7], s[6:7]
	v_mov_b32_e32 v2, s10
	s_xor_b64 exec, exec, s[6:7]
	s_cbranch_execz .LBB11_490
.LBB11_2540:
	v_mov_b32_e32 v2, 0
	v_cmp_ne_u16_sdwa s[8:9], v3, v2 src0_sel:BYTE_0 src1_sel:DWORD
	s_andn2_b64 s[4:5], s[4:5], exec
	s_and_b64 s[8:9], s[8:9], exec
	s_or_b64 s[4:5], s[4:5], s[8:9]
	s_or_b64 exec, exec, s[6:7]
	s_and_saveexec_b64 s[6:7], s[4:5]
	s_cbranch_execnz .LBB11_491
	s_branch .LBB11_492
.LBB11_2541:
	s_movk_i32 s4, 0x80
	v_cmp_eq_u16_sdwa s[12:13], v3, s4 src0_sel:BYTE_0 src1_sel:DWORD
	s_mov_b64 s[4:5], -1
                                        ; implicit-def: $sgpr10
	s_and_saveexec_b64 s[8:9], s[12:13]
; %bb.2542:
	s_mov_b32 s10, 0x7f800001
	s_xor_b64 s[4:5], exec, -1
; %bb.2543:
	s_or_b64 exec, exec, s[8:9]
	s_and_b64 s[4:5], s[4:5], exec
	s_or_saveexec_b64 s[6:7], s[6:7]
	v_mov_b32_e32 v4, s10
	s_xor_b64 exec, exec, s[6:7]
	s_cbranch_execz .LBB11_494
.LBB11_2544:
	v_mov_b32_e32 v4, 0
	v_cmp_ne_u16_sdwa s[8:9], v3, v4 src0_sel:BYTE_0 src1_sel:DWORD
	s_andn2_b64 s[4:5], s[4:5], exec
	s_and_b64 s[8:9], s[8:9], exec
	s_or_b64 s[4:5], s[4:5], s[8:9]
	s_or_b64 exec, exec, s[6:7]
	s_and_saveexec_b64 s[6:7], s[4:5]
	s_cbranch_execnz .LBB11_495
	s_branch .LBB11_496
.LBB11_2545:
	s_movk_i32 s4, 0x80
	v_cmp_eq_u16_e32 vcc, s4, v3
	s_mov_b64 s[4:5], -1
                                        ; implicit-def: $sgpr10
	s_and_saveexec_b64 s[8:9], vcc
; %bb.2546:
	s_mov_b32 s10, 0x7f800001
	s_xor_b64 s[4:5], exec, -1
; %bb.2547:
	s_or_b64 exec, exec, s[8:9]
	s_and_b64 s[4:5], s[4:5], exec
                                        ; implicit-def: $vgpr3
	s_or_saveexec_b64 s[6:7], s[6:7]
	v_mov_b32_e32 v2, s10
	s_xor_b64 exec, exec, s[6:7]
	s_cbranch_execz .LBB11_498
.LBB11_2548:
	v_cmp_ne_u16_e32 vcc, 0, v3
	s_andn2_b64 s[4:5], s[4:5], exec
	s_and_b64 s[8:9], vcc, exec
	v_mov_b32_e32 v2, 0
	s_or_b64 s[4:5], s[4:5], s[8:9]
	s_or_b64 exec, exec, s[6:7]
	s_and_saveexec_b64 s[6:7], s[4:5]
	s_cbranch_execnz .LBB11_499
	s_branch .LBB11_500
.LBB11_2549:
	s_movk_i32 s4, 0x80
	v_cmp_eq_u16_e32 vcc, s4, v3
	s_mov_b64 s[4:5], -1
                                        ; implicit-def: $sgpr10
	s_and_saveexec_b64 s[8:9], vcc
; %bb.2550:
	s_mov_b32 s10, 0x7f800001
	s_xor_b64 s[4:5], exec, -1
; %bb.2551:
	s_or_b64 exec, exec, s[8:9]
	s_and_b64 s[4:5], s[4:5], exec
                                        ; implicit-def: $vgpr3
	s_or_saveexec_b64 s[6:7], s[6:7]
	v_mov_b32_e32 v4, s10
	s_xor_b64 exec, exec, s[6:7]
	s_cbranch_execz .LBB11_502
.LBB11_2552:
	v_cmp_ne_u16_e32 vcc, 0, v3
	s_andn2_b64 s[4:5], s[4:5], exec
	s_and_b64 s[8:9], vcc, exec
	v_mov_b32_e32 v4, 0
	s_or_b64 s[4:5], s[4:5], s[8:9]
	s_or_b64 exec, exec, s[6:7]
	s_and_saveexec_b64 s[6:7], s[4:5]
	s_cbranch_execnz .LBB11_503
	s_branch .LBB11_504
.LBB11_2553:
	s_movk_i32 s4, 0x80
	v_cmp_eq_u16_sdwa s[12:13], v9, s4 src0_sel:BYTE_3 src1_sel:DWORD
	s_mov_b64 s[4:5], -1
                                        ; implicit-def: $sgpr10
	s_and_saveexec_b64 s[8:9], s[12:13]
; %bb.2554:
	s_mov_b32 s10, 0x7f800001
	s_xor_b64 s[4:5], exec, -1
; %bb.2555:
	s_or_b64 exec, exec, s[8:9]
	s_and_b64 s[4:5], s[4:5], exec
	s_or_saveexec_b64 s[6:7], s[6:7]
	v_mov_b32_e32 v2, s10
	s_xor_b64 exec, exec, s[6:7]
	s_cbranch_execz .LBB11_506
.LBB11_2556:
	v_mov_b32_e32 v2, 0
	v_cmp_ne_u16_sdwa s[8:9], v9, v2 src0_sel:BYTE_3 src1_sel:DWORD
	s_andn2_b64 s[4:5], s[4:5], exec
	s_and_b64 s[8:9], s[8:9], exec
	s_or_b64 s[4:5], s[4:5], s[8:9]
	s_or_b64 exec, exec, s[6:7]
	s_and_saveexec_b64 s[6:7], s[4:5]
	s_cbranch_execnz .LBB11_507
	s_branch .LBB11_508
.LBB11_2557:
	s_movk_i32 s4, 0x80
	v_cmp_eq_u16_sdwa s[12:13], v5, s4 src0_sel:BYTE_3 src1_sel:DWORD
	s_mov_b64 s[4:5], -1
                                        ; implicit-def: $sgpr10
	s_and_saveexec_b64 s[8:9], s[12:13]
; %bb.2558:
	s_mov_b32 s10, 0x7f800001
	s_xor_b64 s[4:5], exec, -1
; %bb.2559:
	s_or_b64 exec, exec, s[8:9]
	s_and_b64 s[4:5], s[4:5], exec
	s_or_saveexec_b64 s[6:7], s[6:7]
	v_mov_b32_e32 v3, s10
	s_xor_b64 exec, exec, s[6:7]
	s_cbranch_execz .LBB11_510
.LBB11_2560:
	v_mov_b32_e32 v3, 0
	v_cmp_ne_u16_sdwa s[8:9], v5, v3 src0_sel:BYTE_3 src1_sel:DWORD
	s_andn2_b64 s[4:5], s[4:5], exec
	s_and_b64 s[8:9], s[8:9], exec
	s_or_b64 s[4:5], s[4:5], s[8:9]
	s_or_b64 exec, exec, s[6:7]
	s_and_saveexec_b64 s[6:7], s[4:5]
	s_cbranch_execnz .LBB11_511
	s_branch .LBB11_512
.LBB11_2561:
	s_movk_i32 s4, 0x80
	v_cmp_eq_u16_sdwa s[12:13], v14, s4 src0_sel:BYTE_0 src1_sel:DWORD
	s_mov_b64 s[4:5], -1
                                        ; implicit-def: $sgpr10
	s_and_saveexec_b64 s[8:9], s[12:13]
; %bb.2562:
	s_mov_b32 s10, 0x7f800001
	s_xor_b64 s[4:5], exec, -1
; %bb.2563:
	s_or_b64 exec, exec, s[8:9]
	s_and_b64 s[4:5], s[4:5], exec
	s_or_saveexec_b64 s[6:7], s[6:7]
	v_mov_b32_e32 v20, s10
	s_xor_b64 exec, exec, s[6:7]
	s_cbranch_execz .LBB11_514
.LBB11_2564:
	v_mov_b32_e32 v20, 0
	v_cmp_ne_u16_sdwa s[8:9], v14, v20 src0_sel:BYTE_0 src1_sel:DWORD
	s_andn2_b64 s[4:5], s[4:5], exec
	s_and_b64 s[8:9], s[8:9], exec
	s_or_b64 s[4:5], s[4:5], s[8:9]
	s_or_b64 exec, exec, s[6:7]
	s_and_saveexec_b64 s[6:7], s[4:5]
	s_cbranch_execnz .LBB11_515
	s_branch .LBB11_516
.LBB11_2565:
	s_movk_i32 s4, 0x80
	v_cmp_eq_u16_sdwa s[12:13], v10, s4 src0_sel:BYTE_0 src1_sel:DWORD
	s_mov_b64 s[4:5], -1
                                        ; implicit-def: $sgpr10
	s_and_saveexec_b64 s[8:9], s[12:13]
; %bb.2566:
	s_mov_b32 s10, 0x7f800001
	s_xor_b64 s[4:5], exec, -1
; %bb.2567:
	s_or_b64 exec, exec, s[8:9]
	s_and_b64 s[4:5], s[4:5], exec
	s_or_saveexec_b64 s[6:7], s[6:7]
	v_mov_b32_e32 v21, s10
	s_xor_b64 exec, exec, s[6:7]
	s_cbranch_execz .LBB11_518
.LBB11_2568:
	v_mov_b32_e32 v21, 0
	v_cmp_ne_u16_sdwa s[8:9], v10, v21 src0_sel:BYTE_0 src1_sel:DWORD
	s_andn2_b64 s[4:5], s[4:5], exec
	s_and_b64 s[8:9], s[8:9], exec
	s_or_b64 s[4:5], s[4:5], s[8:9]
	s_or_b64 exec, exec, s[6:7]
	s_and_saveexec_b64 s[6:7], s[4:5]
	s_cbranch_execnz .LBB11_519
	s_branch .LBB11_520
.LBB11_2569:
	s_movk_i32 s4, 0x80
	v_cmp_eq_u16_sdwa s[12:13], v21, s4 src0_sel:BYTE_0 src1_sel:DWORD
	s_mov_b64 s[4:5], -1
                                        ; implicit-def: $sgpr10
	s_and_saveexec_b64 s[8:9], s[12:13]
; %bb.2570:
	s_mov_b32 s10, 0x7f800001
	s_xor_b64 s[4:5], exec, -1
; %bb.2571:
	s_or_b64 exec, exec, s[8:9]
	s_and_b64 s[4:5], s[4:5], exec
	s_or_saveexec_b64 s[6:7], s[6:7]
	v_mov_b32_e32 v20, s10
	s_xor_b64 exec, exec, s[6:7]
	s_cbranch_execz .LBB11_522
.LBB11_2572:
	v_mov_b32_e32 v20, 0
	v_cmp_ne_u16_sdwa s[8:9], v21, v20 src0_sel:BYTE_0 src1_sel:DWORD
	s_andn2_b64 s[4:5], s[4:5], exec
	s_and_b64 s[8:9], s[8:9], exec
	s_or_b64 s[4:5], s[4:5], s[8:9]
	s_or_b64 exec, exec, s[6:7]
	s_and_saveexec_b64 s[6:7], s[4:5]
	s_cbranch_execnz .LBB11_523
	s_branch .LBB11_524
.LBB11_2573:
	s_movk_i32 s4, 0x80
	v_cmp_eq_u16_sdwa s[12:13], v21, s4 src0_sel:BYTE_0 src1_sel:DWORD
	s_mov_b64 s[4:5], -1
                                        ; implicit-def: $sgpr10
	s_and_saveexec_b64 s[8:9], s[12:13]
; %bb.2574:
	s_mov_b32 s10, 0x7f800001
	s_xor_b64 s[4:5], exec, -1
; %bb.2575:
	s_or_b64 exec, exec, s[8:9]
	s_and_b64 s[4:5], s[4:5], exec
	s_or_saveexec_b64 s[6:7], s[6:7]
	v_mov_b32_e32 v22, s10
	s_xor_b64 exec, exec, s[6:7]
	s_cbranch_execz .LBB11_526
.LBB11_2576:
	v_mov_b32_e32 v22, 0
	v_cmp_ne_u16_sdwa s[8:9], v21, v22 src0_sel:BYTE_0 src1_sel:DWORD
	s_andn2_b64 s[4:5], s[4:5], exec
	s_and_b64 s[8:9], s[8:9], exec
	s_or_b64 s[4:5], s[4:5], s[8:9]
	s_or_b64 exec, exec, s[6:7]
	s_and_saveexec_b64 s[6:7], s[4:5]
	s_cbranch_execnz .LBB11_527
	s_branch .LBB11_528
.LBB11_2577:
	s_movk_i32 s4, 0x80
	v_cmp_eq_u16_e32 vcc, s4, v21
	s_mov_b64 s[4:5], -1
                                        ; implicit-def: $sgpr10
	s_and_saveexec_b64 s[8:9], vcc
; %bb.2578:
	s_mov_b32 s10, 0x7f800001
	s_xor_b64 s[4:5], exec, -1
; %bb.2579:
	s_or_b64 exec, exec, s[8:9]
	s_and_b64 s[4:5], s[4:5], exec
                                        ; implicit-def: $vgpr21
	s_or_saveexec_b64 s[6:7], s[6:7]
	v_mov_b32_e32 v20, s10
	s_xor_b64 exec, exec, s[6:7]
	s_cbranch_execz .LBB11_530
.LBB11_2580:
	v_cmp_ne_u16_e32 vcc, 0, v21
	s_andn2_b64 s[4:5], s[4:5], exec
	s_and_b64 s[8:9], vcc, exec
	v_mov_b32_e32 v20, 0
	s_or_b64 s[4:5], s[4:5], s[8:9]
	s_or_b64 exec, exec, s[6:7]
	s_and_saveexec_b64 s[6:7], s[4:5]
	s_cbranch_execnz .LBB11_531
	s_branch .LBB11_532
.LBB11_2581:
	s_movk_i32 s4, 0x80
	v_cmp_eq_u16_e32 vcc, s4, v21
	s_mov_b64 s[4:5], -1
                                        ; implicit-def: $sgpr10
	s_and_saveexec_b64 s[8:9], vcc
; %bb.2582:
	s_mov_b32 s10, 0x7f800001
	s_xor_b64 s[4:5], exec, -1
; %bb.2583:
	s_or_b64 exec, exec, s[8:9]
	s_and_b64 s[4:5], s[4:5], exec
                                        ; implicit-def: $vgpr21
	s_or_saveexec_b64 s[6:7], s[6:7]
	v_mov_b32_e32 v22, s10
	s_xor_b64 exec, exec, s[6:7]
	s_cbranch_execz .LBB11_534
.LBB11_2584:
	v_cmp_ne_u16_e32 vcc, 0, v21
	s_andn2_b64 s[4:5], s[4:5], exec
	s_and_b64 s[8:9], vcc, exec
	v_mov_b32_e32 v22, 0
	s_or_b64 s[4:5], s[4:5], s[8:9]
	s_or_b64 exec, exec, s[6:7]
	s_and_saveexec_b64 s[6:7], s[4:5]
	s_cbranch_execnz .LBB11_535
	s_branch .LBB11_536
.LBB11_2585:
	s_movk_i32 s4, 0x80
	v_cmp_eq_u16_sdwa s[12:13], v14, s4 src0_sel:BYTE_3 src1_sel:DWORD
	s_mov_b64 s[4:5], -1
                                        ; implicit-def: $sgpr10
	s_and_saveexec_b64 s[8:9], s[12:13]
; %bb.2586:
	s_mov_b32 s10, 0x7f800001
	s_xor_b64 s[4:5], exec, -1
; %bb.2587:
	s_or_b64 exec, exec, s[8:9]
	s_and_b64 s[4:5], s[4:5], exec
	s_or_saveexec_b64 s[6:7], s[6:7]
	v_mov_b32_e32 v20, s10
	s_xor_b64 exec, exec, s[6:7]
	s_cbranch_execz .LBB11_538
.LBB11_2588:
	v_mov_b32_e32 v20, 0
	v_cmp_ne_u16_sdwa s[8:9], v14, v20 src0_sel:BYTE_3 src1_sel:DWORD
	s_andn2_b64 s[4:5], s[4:5], exec
	s_and_b64 s[8:9], s[8:9], exec
	s_or_b64 s[4:5], s[4:5], s[8:9]
	s_or_b64 exec, exec, s[6:7]
	s_and_saveexec_b64 s[6:7], s[4:5]
	s_cbranch_execnz .LBB11_539
	s_branch .LBB11_540
.LBB11_2589:
	s_movk_i32 s4, 0x80
	v_cmp_eq_u16_sdwa s[12:13], v10, s4 src0_sel:BYTE_3 src1_sel:DWORD
	s_mov_b64 s[4:5], -1
                                        ; implicit-def: $sgpr10
	s_and_saveexec_b64 s[8:9], s[12:13]
; %bb.2590:
	s_mov_b32 s10, 0x7f800001
	s_xor_b64 s[4:5], exec, -1
; %bb.2591:
	s_or_b64 exec, exec, s[8:9]
	s_and_b64 s[4:5], s[4:5], exec
	s_or_saveexec_b64 s[6:7], s[6:7]
	v_mov_b32_e32 v14, s10
	s_xor_b64 exec, exec, s[6:7]
	s_cbranch_execz .LBB11_542
.LBB11_2592:
	v_mov_b32_e32 v14, 0
	v_cmp_ne_u16_sdwa s[8:9], v10, v14 src0_sel:BYTE_3 src1_sel:DWORD
	s_andn2_b64 s[4:5], s[4:5], exec
	s_and_b64 s[8:9], s[8:9], exec
	s_or_b64 s[4:5], s[4:5], s[8:9]
	s_or_b64 exec, exec, s[6:7]
	s_and_saveexec_b64 s[6:7], s[4:5]
	s_cbranch_execnz .LBB11_543
	s_branch .LBB11_544
.LBB11_2593:
	s_movk_i32 s4, 0x80
	v_cmp_eq_u16_sdwa s[12:13], v15, s4 src0_sel:BYTE_0 src1_sel:DWORD
	s_mov_b64 s[4:5], -1
                                        ; implicit-def: $sgpr10
	s_and_saveexec_b64 s[8:9], s[12:13]
; %bb.2594:
	s_mov_b32 s10, 0x7f800001
	s_xor_b64 s[4:5], exec, -1
; %bb.2595:
	s_or_b64 exec, exec, s[8:9]
	s_and_b64 s[4:5], s[4:5], exec
	s_or_saveexec_b64 s[6:7], s[6:7]
	v_mov_b32_e32 v10, s10
	s_xor_b64 exec, exec, s[6:7]
	s_cbranch_execz .LBB11_546
.LBB11_2596:
	v_mov_b32_e32 v10, 0
	v_cmp_ne_u16_sdwa s[8:9], v15, v10 src0_sel:BYTE_0 src1_sel:DWORD
	s_andn2_b64 s[4:5], s[4:5], exec
	s_and_b64 s[8:9], s[8:9], exec
	s_or_b64 s[4:5], s[4:5], s[8:9]
	s_or_b64 exec, exec, s[6:7]
	s_and_saveexec_b64 s[6:7], s[4:5]
	s_cbranch_execnz .LBB11_547
	s_branch .LBB11_548
.LBB11_2597:
	s_movk_i32 s4, 0x80
	v_cmp_eq_u16_sdwa s[12:13], v11, s4 src0_sel:BYTE_0 src1_sel:DWORD
	s_mov_b64 s[4:5], -1
                                        ; implicit-def: $sgpr10
	s_and_saveexec_b64 s[8:9], s[12:13]
; %bb.2598:
	s_mov_b32 s10, 0x7f800001
	s_xor_b64 s[4:5], exec, -1
; %bb.2599:
	s_or_b64 exec, exec, s[8:9]
	s_and_b64 s[4:5], s[4:5], exec
	s_or_saveexec_b64 s[6:7], s[6:7]
	v_mov_b32_e32 v14, s10
	s_xor_b64 exec, exec, s[6:7]
	s_cbranch_execz .LBB11_550
.LBB11_2600:
	v_mov_b32_e32 v14, 0
	v_cmp_ne_u16_sdwa s[8:9], v11, v14 src0_sel:BYTE_0 src1_sel:DWORD
	s_andn2_b64 s[4:5], s[4:5], exec
	s_and_b64 s[8:9], s[8:9], exec
	s_or_b64 s[4:5], s[4:5], s[8:9]
	s_or_b64 exec, exec, s[6:7]
	s_and_saveexec_b64 s[6:7], s[4:5]
	s_cbranch_execnz .LBB11_551
	s_branch .LBB11_552
.LBB11_2601:
	s_movk_i32 s4, 0x80
	v_cmp_eq_u16_sdwa s[12:13], v14, s4 src0_sel:BYTE_0 src1_sel:DWORD
	s_mov_b64 s[4:5], -1
                                        ; implicit-def: $sgpr10
	s_and_saveexec_b64 s[8:9], s[12:13]
; %bb.2602:
	s_mov_b32 s10, 0x7f800001
	s_xor_b64 s[4:5], exec, -1
; %bb.2603:
	s_or_b64 exec, exec, s[8:9]
	s_and_b64 s[4:5], s[4:5], exec
	s_or_saveexec_b64 s[6:7], s[6:7]
	v_mov_b32_e32 v10, s10
	s_xor_b64 exec, exec, s[6:7]
	s_cbranch_execz .LBB11_554
.LBB11_2604:
	v_mov_b32_e32 v10, 0
	v_cmp_ne_u16_sdwa s[8:9], v14, v10 src0_sel:BYTE_0 src1_sel:DWORD
	s_andn2_b64 s[4:5], s[4:5], exec
	s_and_b64 s[8:9], s[8:9], exec
	s_or_b64 s[4:5], s[4:5], s[8:9]
	s_or_b64 exec, exec, s[6:7]
	s_and_saveexec_b64 s[6:7], s[4:5]
	s_cbranch_execnz .LBB11_555
	s_branch .LBB11_556
.LBB11_2605:
	s_movk_i32 s4, 0x80
	v_cmp_eq_u16_sdwa s[12:13], v14, s4 src0_sel:BYTE_0 src1_sel:DWORD
	s_mov_b64 s[4:5], -1
                                        ; implicit-def: $sgpr10
	s_and_saveexec_b64 s[8:9], s[12:13]
; %bb.2606:
	s_mov_b32 s10, 0x7f800001
	s_xor_b64 s[4:5], exec, -1
; %bb.2607:
	s_or_b64 exec, exec, s[8:9]
	s_and_b64 s[4:5], s[4:5], exec
	s_or_saveexec_b64 s[6:7], s[6:7]
	v_mov_b32_e32 v20, s10
	s_xor_b64 exec, exec, s[6:7]
	s_cbranch_execz .LBB11_558
.LBB11_2608:
	v_mov_b32_e32 v20, 0
	v_cmp_ne_u16_sdwa s[8:9], v14, v20 src0_sel:BYTE_0 src1_sel:DWORD
	s_andn2_b64 s[4:5], s[4:5], exec
	s_and_b64 s[8:9], s[8:9], exec
	s_or_b64 s[4:5], s[4:5], s[8:9]
	s_or_b64 exec, exec, s[6:7]
	s_and_saveexec_b64 s[6:7], s[4:5]
	s_cbranch_execnz .LBB11_559
	s_branch .LBB11_560
.LBB11_2609:
	s_movk_i32 s4, 0x80
	v_cmp_eq_u16_e32 vcc, s4, v14
	s_mov_b64 s[4:5], -1
                                        ; implicit-def: $sgpr10
	s_and_saveexec_b64 s[8:9], vcc
; %bb.2610:
	s_mov_b32 s10, 0x7f800001
	s_xor_b64 s[4:5], exec, -1
; %bb.2611:
	s_or_b64 exec, exec, s[8:9]
	s_and_b64 s[4:5], s[4:5], exec
                                        ; implicit-def: $vgpr14
	s_or_saveexec_b64 s[6:7], s[6:7]
	v_mov_b32_e32 v10, s10
	s_xor_b64 exec, exec, s[6:7]
	s_cbranch_execz .LBB11_562
.LBB11_2612:
	v_cmp_ne_u16_e32 vcc, 0, v14
	s_andn2_b64 s[4:5], s[4:5], exec
	s_and_b64 s[8:9], vcc, exec
	v_mov_b32_e32 v10, 0
	s_or_b64 s[4:5], s[4:5], s[8:9]
	s_or_b64 exec, exec, s[6:7]
	s_and_saveexec_b64 s[6:7], s[4:5]
	s_cbranch_execnz .LBB11_563
	s_branch .LBB11_564
.LBB11_2613:
	s_movk_i32 s4, 0x80
	v_cmp_eq_u16_e32 vcc, s4, v14
	s_mov_b64 s[4:5], -1
                                        ; implicit-def: $sgpr10
	s_and_saveexec_b64 s[8:9], vcc
; %bb.2614:
	s_mov_b32 s10, 0x7f800001
	s_xor_b64 s[4:5], exec, -1
; %bb.2615:
	s_or_b64 exec, exec, s[8:9]
	s_and_b64 s[4:5], s[4:5], exec
                                        ; implicit-def: $vgpr14
	s_or_saveexec_b64 s[6:7], s[6:7]
	v_mov_b32_e32 v20, s10
	s_xor_b64 exec, exec, s[6:7]
	s_cbranch_execz .LBB11_566
.LBB11_2616:
	v_cmp_ne_u16_e32 vcc, 0, v14
	s_andn2_b64 s[4:5], s[4:5], exec
	s_and_b64 s[8:9], vcc, exec
	v_mov_b32_e32 v20, 0
	s_or_b64 s[4:5], s[4:5], s[8:9]
	s_or_b64 exec, exec, s[6:7]
	s_and_saveexec_b64 s[6:7], s[4:5]
	s_cbranch_execnz .LBB11_567
	s_branch .LBB11_568
.LBB11_2617:
	s_movk_i32 s4, 0x80
	v_cmp_eq_u16_sdwa s[12:13], v15, s4 src0_sel:BYTE_3 src1_sel:DWORD
	s_mov_b64 s[4:5], -1
                                        ; implicit-def: $sgpr10
	s_and_saveexec_b64 s[8:9], s[12:13]
; %bb.2618:
	s_mov_b32 s10, 0x7f800001
	s_xor_b64 s[4:5], exec, -1
; %bb.2619:
	s_or_b64 exec, exec, s[8:9]
	s_and_b64 s[4:5], s[4:5], exec
	s_or_saveexec_b64 s[6:7], s[6:7]
	v_mov_b32_e32 v10, s10
	s_xor_b64 exec, exec, s[6:7]
	s_cbranch_execz .LBB11_570
.LBB11_2620:
	v_mov_b32_e32 v10, 0
	v_cmp_ne_u16_sdwa s[8:9], v15, v10 src0_sel:BYTE_3 src1_sel:DWORD
	s_andn2_b64 s[4:5], s[4:5], exec
	s_and_b64 s[8:9], s[8:9], exec
	s_or_b64 s[4:5], s[4:5], s[8:9]
	s_or_b64 exec, exec, s[6:7]
	s_and_saveexec_b64 s[6:7], s[4:5]
	s_cbranch_execnz .LBB11_571
	s_branch .LBB11_572
.LBB11_2621:
	s_movk_i32 s4, 0x80
	v_cmp_eq_u16_sdwa s[12:13], v11, s4 src0_sel:BYTE_3 src1_sel:DWORD
	s_mov_b64 s[4:5], -1
                                        ; implicit-def: $sgpr10
	s_and_saveexec_b64 s[8:9], s[12:13]
; %bb.2622:
	s_mov_b32 s10, 0x7f800001
	s_xor_b64 s[4:5], exec, -1
; %bb.2623:
	s_or_b64 exec, exec, s[8:9]
	s_and_b64 s[4:5], s[4:5], exec
	s_or_saveexec_b64 s[6:7], s[6:7]
	v_mov_b32_e32 v14, s10
	s_xor_b64 exec, exec, s[6:7]
	s_cbranch_execz .LBB11_574
.LBB11_2624:
	v_mov_b32_e32 v14, 0
	v_cmp_ne_u16_sdwa s[8:9], v11, v14 src0_sel:BYTE_3 src1_sel:DWORD
	s_andn2_b64 s[4:5], s[4:5], exec
	s_and_b64 s[8:9], s[8:9], exec
	s_or_b64 s[4:5], s[4:5], s[8:9]
	s_or_b64 exec, exec, s[6:7]
	s_and_saveexec_b64 s[6:7], s[4:5]
	s_cbranch_execnz .LBB11_575
	s_branch .LBB11_576
.LBB11_2625:
	s_movk_i32 s4, 0x80
	v_cmp_eq_u16_sdwa s[12:13], v16, s4 src0_sel:BYTE_0 src1_sel:DWORD
	s_mov_b64 s[4:5], -1
                                        ; implicit-def: $sgpr10
	s_and_saveexec_b64 s[8:9], s[12:13]
; %bb.2626:
	s_mov_b32 s10, 0x7f800001
	s_xor_b64 s[4:5], exec, -1
; %bb.2627:
	s_or_b64 exec, exec, s[8:9]
	s_and_b64 s[4:5], s[4:5], exec
	s_or_saveexec_b64 s[6:7], s[6:7]
	v_mov_b32_e32 v10, s10
	s_xor_b64 exec, exec, s[6:7]
	s_cbranch_execz .LBB11_578
.LBB11_2628:
	v_mov_b32_e32 v10, 0
	v_cmp_ne_u16_sdwa s[8:9], v16, v10 src0_sel:BYTE_0 src1_sel:DWORD
	s_andn2_b64 s[4:5], s[4:5], exec
	s_and_b64 s[8:9], s[8:9], exec
	s_or_b64 s[4:5], s[4:5], s[8:9]
	s_or_b64 exec, exec, s[6:7]
	s_and_saveexec_b64 s[6:7], s[4:5]
	s_cbranch_execnz .LBB11_579
	s_branch .LBB11_580
.LBB11_2629:
	s_movk_i32 s4, 0x80
	v_cmp_eq_u16_sdwa s[12:13], v12, s4 src0_sel:BYTE_0 src1_sel:DWORD
	s_mov_b64 s[4:5], -1
                                        ; implicit-def: $sgpr10
	s_and_saveexec_b64 s[8:9], s[12:13]
; %bb.2630:
	s_mov_b32 s10, 0x7f800001
	s_xor_b64 s[4:5], exec, -1
; %bb.2631:
	s_or_b64 exec, exec, s[8:9]
	s_and_b64 s[4:5], s[4:5], exec
	s_or_saveexec_b64 s[6:7], s[6:7]
	v_mov_b32_e32 v11, s10
	s_xor_b64 exec, exec, s[6:7]
	s_cbranch_execz .LBB11_582
.LBB11_2632:
	v_mov_b32_e32 v11, 0
	v_cmp_ne_u16_sdwa s[8:9], v12, v11 src0_sel:BYTE_0 src1_sel:DWORD
	s_andn2_b64 s[4:5], s[4:5], exec
	s_and_b64 s[8:9], s[8:9], exec
	s_or_b64 s[4:5], s[4:5], s[8:9]
	s_or_b64 exec, exec, s[6:7]
	s_and_saveexec_b64 s[6:7], s[4:5]
	s_cbranch_execnz .LBB11_583
	s_branch .LBB11_584
.LBB11_2633:
	s_movk_i32 s4, 0x80
	v_cmp_eq_u16_sdwa s[12:13], v11, s4 src0_sel:BYTE_0 src1_sel:DWORD
	s_mov_b64 s[4:5], -1
                                        ; implicit-def: $sgpr10
	s_and_saveexec_b64 s[8:9], s[12:13]
; %bb.2634:
	s_mov_b32 s10, 0x7f800001
	s_xor_b64 s[4:5], exec, -1
; %bb.2635:
	s_or_b64 exec, exec, s[8:9]
	s_and_b64 s[4:5], s[4:5], exec
	s_or_saveexec_b64 s[6:7], s[6:7]
	v_mov_b32_e32 v10, s10
	s_xor_b64 exec, exec, s[6:7]
	s_cbranch_execz .LBB11_586
.LBB11_2636:
	v_mov_b32_e32 v10, 0
	v_cmp_ne_u16_sdwa s[8:9], v11, v10 src0_sel:BYTE_0 src1_sel:DWORD
	s_andn2_b64 s[4:5], s[4:5], exec
	s_and_b64 s[8:9], s[8:9], exec
	s_or_b64 s[4:5], s[4:5], s[8:9]
	s_or_b64 exec, exec, s[6:7]
	s_and_saveexec_b64 s[6:7], s[4:5]
	s_cbranch_execnz .LBB11_587
	s_branch .LBB11_588
.LBB11_2637:
	s_movk_i32 s4, 0x80
	v_cmp_eq_u16_sdwa s[12:13], v11, s4 src0_sel:BYTE_0 src1_sel:DWORD
	s_mov_b64 s[4:5], -1
                                        ; implicit-def: $sgpr10
	s_and_saveexec_b64 s[8:9], s[12:13]
; %bb.2638:
	s_mov_b32 s10, 0x7f800001
	s_xor_b64 s[4:5], exec, -1
; %bb.2639:
	s_or_b64 exec, exec, s[8:9]
	s_and_b64 s[4:5], s[4:5], exec
	s_or_saveexec_b64 s[6:7], s[6:7]
	v_mov_b32_e32 v14, s10
	s_xor_b64 exec, exec, s[6:7]
	s_cbranch_execz .LBB11_590
.LBB11_2640:
	v_mov_b32_e32 v14, 0
	v_cmp_ne_u16_sdwa s[8:9], v11, v14 src0_sel:BYTE_0 src1_sel:DWORD
	s_andn2_b64 s[4:5], s[4:5], exec
	s_and_b64 s[8:9], s[8:9], exec
	s_or_b64 s[4:5], s[4:5], s[8:9]
	s_or_b64 exec, exec, s[6:7]
	s_and_saveexec_b64 s[6:7], s[4:5]
	s_cbranch_execnz .LBB11_591
	s_branch .LBB11_592
.LBB11_2641:
	s_movk_i32 s4, 0x80
	v_cmp_eq_u16_e32 vcc, s4, v11
	s_mov_b64 s[4:5], -1
                                        ; implicit-def: $sgpr10
	s_and_saveexec_b64 s[8:9], vcc
; %bb.2642:
	s_mov_b32 s10, 0x7f800001
	s_xor_b64 s[4:5], exec, -1
; %bb.2643:
	s_or_b64 exec, exec, s[8:9]
	s_and_b64 s[4:5], s[4:5], exec
                                        ; implicit-def: $vgpr11
	s_or_saveexec_b64 s[6:7], s[6:7]
	v_mov_b32_e32 v10, s10
	s_xor_b64 exec, exec, s[6:7]
	s_cbranch_execz .LBB11_594
.LBB11_2644:
	v_cmp_ne_u16_e32 vcc, 0, v11
	s_andn2_b64 s[4:5], s[4:5], exec
	s_and_b64 s[8:9], vcc, exec
	v_mov_b32_e32 v10, 0
	s_or_b64 s[4:5], s[4:5], s[8:9]
	s_or_b64 exec, exec, s[6:7]
	s_and_saveexec_b64 s[6:7], s[4:5]
	s_cbranch_execnz .LBB11_595
	s_branch .LBB11_596
.LBB11_2645:
	s_movk_i32 s4, 0x80
	v_cmp_eq_u16_e32 vcc, s4, v11
	s_mov_b64 s[4:5], -1
                                        ; implicit-def: $sgpr10
	s_and_saveexec_b64 s[8:9], vcc
; %bb.2646:
	s_mov_b32 s10, 0x7f800001
	s_xor_b64 s[4:5], exec, -1
; %bb.2647:
	s_or_b64 exec, exec, s[8:9]
	s_and_b64 s[4:5], s[4:5], exec
                                        ; implicit-def: $vgpr11
	s_or_saveexec_b64 s[6:7], s[6:7]
	v_mov_b32_e32 v14, s10
	s_xor_b64 exec, exec, s[6:7]
	s_cbranch_execz .LBB11_598
.LBB11_2648:
	v_cmp_ne_u16_e32 vcc, 0, v11
	s_andn2_b64 s[4:5], s[4:5], exec
	s_and_b64 s[8:9], vcc, exec
	v_mov_b32_e32 v14, 0
	s_or_b64 s[4:5], s[4:5], s[8:9]
	s_or_b64 exec, exec, s[6:7]
	s_and_saveexec_b64 s[6:7], s[4:5]
	s_cbranch_execnz .LBB11_599
	s_branch .LBB11_600
.LBB11_2649:
	s_movk_i32 s4, 0x80
	v_cmp_eq_u16_sdwa s[12:13], v16, s4 src0_sel:BYTE_3 src1_sel:DWORD
	s_mov_b64 s[4:5], -1
                                        ; implicit-def: $sgpr10
	s_and_saveexec_b64 s[8:9], s[12:13]
; %bb.2650:
	s_mov_b32 s10, 0x7f800001
	s_xor_b64 s[4:5], exec, -1
; %bb.2651:
	s_or_b64 exec, exec, s[8:9]
	s_and_b64 s[4:5], s[4:5], exec
	s_or_saveexec_b64 s[6:7], s[6:7]
	v_mov_b32_e32 v10, s10
	s_xor_b64 exec, exec, s[6:7]
	s_cbranch_execz .LBB11_602
.LBB11_2652:
	v_mov_b32_e32 v10, 0
	v_cmp_ne_u16_sdwa s[8:9], v16, v10 src0_sel:BYTE_3 src1_sel:DWORD
	s_andn2_b64 s[4:5], s[4:5], exec
	s_and_b64 s[8:9], s[8:9], exec
	s_or_b64 s[4:5], s[4:5], s[8:9]
	s_or_b64 exec, exec, s[6:7]
	s_and_saveexec_b64 s[6:7], s[4:5]
	s_cbranch_execnz .LBB11_603
	s_branch .LBB11_604
.LBB11_2653:
	s_movk_i32 s4, 0x80
	v_cmp_eq_u16_sdwa s[12:13], v12, s4 src0_sel:BYTE_3 src1_sel:DWORD
	s_mov_b64 s[4:5], -1
                                        ; implicit-def: $sgpr10
	s_and_saveexec_b64 s[8:9], s[12:13]
; %bb.2654:
	s_mov_b32 s10, 0x7f800001
	s_xor_b64 s[4:5], exec, -1
; %bb.2655:
	s_or_b64 exec, exec, s[8:9]
	s_and_b64 s[4:5], s[4:5], exec
	s_or_saveexec_b64 s[6:7], s[6:7]
	v_mov_b32_e32 v11, s10
	s_xor_b64 exec, exec, s[6:7]
	s_cbranch_execz .LBB11_606
.LBB11_2656:
	v_mov_b32_e32 v11, 0
	v_cmp_ne_u16_sdwa s[8:9], v12, v11 src0_sel:BYTE_3 src1_sel:DWORD
	s_andn2_b64 s[4:5], s[4:5], exec
	s_and_b64 s[8:9], s[8:9], exec
	s_or_b64 s[4:5], s[4:5], s[8:9]
	s_or_b64 exec, exec, s[6:7]
	s_and_saveexec_b64 s[6:7], s[4:5]
	s_cbranch_execnz .LBB11_607
	s_branch .LBB11_608
.LBB11_2657:
	s_movk_i32 s4, 0x80
	v_cmp_eq_u16_sdwa s[12:13], v17, s4 src0_sel:BYTE_0 src1_sel:DWORD
	s_mov_b64 s[4:5], -1
                                        ; implicit-def: $sgpr10
	s_and_saveexec_b64 s[8:9], s[12:13]
; %bb.2658:
	s_mov_b32 s10, 0x7f800001
	s_xor_b64 s[4:5], exec, -1
; %bb.2659:
	s_or_b64 exec, exec, s[8:9]
	s_and_b64 s[4:5], s[4:5], exec
	s_or_saveexec_b64 s[6:7], s[6:7]
	v_mov_b32_e32 v10, s10
	s_xor_b64 exec, exec, s[6:7]
	s_cbranch_execz .LBB11_610
.LBB11_2660:
	v_mov_b32_e32 v10, 0
	v_cmp_ne_u16_sdwa s[8:9], v17, v10 src0_sel:BYTE_0 src1_sel:DWORD
	s_andn2_b64 s[4:5], s[4:5], exec
	s_and_b64 s[8:9], s[8:9], exec
	s_or_b64 s[4:5], s[4:5], s[8:9]
	s_or_b64 exec, exec, s[6:7]
	s_and_saveexec_b64 s[6:7], s[4:5]
	s_cbranch_execnz .LBB11_611
	s_branch .LBB11_612
.LBB11_2661:
	s_movk_i32 s4, 0x80
	v_cmp_eq_u16_sdwa s[12:13], v13, s4 src0_sel:BYTE_0 src1_sel:DWORD
	s_mov_b64 s[4:5], -1
                                        ; implicit-def: $sgpr10
	s_and_saveexec_b64 s[8:9], s[12:13]
; %bb.2662:
	s_mov_b32 s10, 0x7f800001
	s_xor_b64 s[4:5], exec, -1
; %bb.2663:
	s_or_b64 exec, exec, s[8:9]
	s_and_b64 s[4:5], s[4:5], exec
	s_or_saveexec_b64 s[6:7], s[6:7]
	v_mov_b32_e32 v11, s10
	s_xor_b64 exec, exec, s[6:7]
	s_cbranch_execz .LBB11_614
.LBB11_2664:
	v_mov_b32_e32 v11, 0
	v_cmp_ne_u16_sdwa s[8:9], v13, v11 src0_sel:BYTE_0 src1_sel:DWORD
	s_andn2_b64 s[4:5], s[4:5], exec
	s_and_b64 s[8:9], s[8:9], exec
	s_or_b64 s[4:5], s[4:5], s[8:9]
	s_or_b64 exec, exec, s[6:7]
	s_and_saveexec_b64 s[6:7], s[4:5]
	s_cbranch_execnz .LBB11_615
	s_branch .LBB11_616
.LBB11_2665:
	s_movk_i32 s4, 0x80
	v_cmp_eq_u16_sdwa s[12:13], v11, s4 src0_sel:BYTE_0 src1_sel:DWORD
	s_mov_b64 s[4:5], -1
                                        ; implicit-def: $sgpr10
	s_and_saveexec_b64 s[8:9], s[12:13]
; %bb.2666:
	s_mov_b32 s10, 0x7f800001
	s_xor_b64 s[4:5], exec, -1
; %bb.2667:
	s_or_b64 exec, exec, s[8:9]
	s_and_b64 s[4:5], s[4:5], exec
	s_or_saveexec_b64 s[6:7], s[6:7]
	v_mov_b32_e32 v10, s10
	s_xor_b64 exec, exec, s[6:7]
	s_cbranch_execz .LBB11_618
.LBB11_2668:
	v_mov_b32_e32 v10, 0
	v_cmp_ne_u16_sdwa s[8:9], v11, v10 src0_sel:BYTE_0 src1_sel:DWORD
	s_andn2_b64 s[4:5], s[4:5], exec
	s_and_b64 s[8:9], s[8:9], exec
	s_or_b64 s[4:5], s[4:5], s[8:9]
	s_or_b64 exec, exec, s[6:7]
	s_and_saveexec_b64 s[6:7], s[4:5]
	s_cbranch_execnz .LBB11_619
	s_branch .LBB11_620
.LBB11_2669:
	s_movk_i32 s4, 0x80
	v_cmp_eq_u16_sdwa s[12:13], v11, s4 src0_sel:BYTE_0 src1_sel:DWORD
	s_mov_b64 s[4:5], -1
                                        ; implicit-def: $sgpr10
	s_and_saveexec_b64 s[8:9], s[12:13]
; %bb.2670:
	s_mov_b32 s10, 0x7f800001
	s_xor_b64 s[4:5], exec, -1
; %bb.2671:
	s_or_b64 exec, exec, s[8:9]
	s_and_b64 s[4:5], s[4:5], exec
	s_or_saveexec_b64 s[6:7], s[6:7]
	v_mov_b32_e32 v12, s10
	s_xor_b64 exec, exec, s[6:7]
	s_cbranch_execz .LBB11_622
.LBB11_2672:
	v_mov_b32_e32 v12, 0
	v_cmp_ne_u16_sdwa s[8:9], v11, v12 src0_sel:BYTE_0 src1_sel:DWORD
	s_andn2_b64 s[4:5], s[4:5], exec
	s_and_b64 s[8:9], s[8:9], exec
	s_or_b64 s[4:5], s[4:5], s[8:9]
	s_or_b64 exec, exec, s[6:7]
	s_and_saveexec_b64 s[6:7], s[4:5]
	s_cbranch_execnz .LBB11_623
	s_branch .LBB11_624
.LBB11_2673:
	s_movk_i32 s4, 0x80
	v_cmp_eq_u16_e32 vcc, s4, v11
	s_mov_b64 s[4:5], -1
                                        ; implicit-def: $sgpr10
	s_and_saveexec_b64 s[8:9], vcc
; %bb.2674:
	s_mov_b32 s10, 0x7f800001
	s_xor_b64 s[4:5], exec, -1
; %bb.2675:
	s_or_b64 exec, exec, s[8:9]
	s_and_b64 s[4:5], s[4:5], exec
                                        ; implicit-def: $vgpr11
	s_or_saveexec_b64 s[6:7], s[6:7]
	v_mov_b32_e32 v10, s10
	s_xor_b64 exec, exec, s[6:7]
	s_cbranch_execz .LBB11_626
.LBB11_2676:
	v_cmp_ne_u16_e32 vcc, 0, v11
	s_andn2_b64 s[4:5], s[4:5], exec
	s_and_b64 s[8:9], vcc, exec
	v_mov_b32_e32 v10, 0
	s_or_b64 s[4:5], s[4:5], s[8:9]
	s_or_b64 exec, exec, s[6:7]
	s_and_saveexec_b64 s[6:7], s[4:5]
	s_cbranch_execnz .LBB11_627
	s_branch .LBB11_628
.LBB11_2677:
	s_movk_i32 s4, 0x80
	v_cmp_eq_u16_e32 vcc, s4, v11
	s_mov_b64 s[4:5], -1
                                        ; implicit-def: $sgpr10
	s_and_saveexec_b64 s[8:9], vcc
; %bb.2678:
	s_mov_b32 s10, 0x7f800001
	s_xor_b64 s[4:5], exec, -1
; %bb.2679:
	s_or_b64 exec, exec, s[8:9]
	s_and_b64 s[4:5], s[4:5], exec
                                        ; implicit-def: $vgpr11
	s_or_saveexec_b64 s[6:7], s[6:7]
	v_mov_b32_e32 v12, s10
	s_xor_b64 exec, exec, s[6:7]
	s_cbranch_execz .LBB11_630
.LBB11_2680:
	v_cmp_ne_u16_e32 vcc, 0, v11
	s_andn2_b64 s[4:5], s[4:5], exec
	s_and_b64 s[8:9], vcc, exec
	v_mov_b32_e32 v12, 0
	s_or_b64 s[4:5], s[4:5], s[8:9]
	s_or_b64 exec, exec, s[6:7]
	s_and_saveexec_b64 s[6:7], s[4:5]
	s_cbranch_execnz .LBB11_631
	s_branch .LBB11_632
.LBB11_2681:
	s_movk_i32 s4, 0x80
	v_cmp_eq_u16_sdwa s[12:13], v17, s4 src0_sel:BYTE_3 src1_sel:DWORD
	s_mov_b64 s[4:5], -1
                                        ; implicit-def: $sgpr10
	s_and_saveexec_b64 s[8:9], s[12:13]
; %bb.2682:
	s_mov_b32 s10, 0x7f800001
	s_xor_b64 s[4:5], exec, -1
; %bb.2683:
	s_or_b64 exec, exec, s[8:9]
	s_and_b64 s[4:5], s[4:5], exec
	s_or_saveexec_b64 s[6:7], s[6:7]
	v_mov_b32_e32 v10, s10
	s_xor_b64 exec, exec, s[6:7]
	s_cbranch_execz .LBB11_634
.LBB11_2684:
	v_mov_b32_e32 v10, 0
	v_cmp_ne_u16_sdwa s[8:9], v17, v10 src0_sel:BYTE_3 src1_sel:DWORD
	s_andn2_b64 s[4:5], s[4:5], exec
	s_and_b64 s[8:9], s[8:9], exec
	s_or_b64 s[4:5], s[4:5], s[8:9]
	s_or_b64 exec, exec, s[6:7]
	s_and_saveexec_b64 s[6:7], s[4:5]
	s_cbranch_execnz .LBB11_635
	s_branch .LBB11_636
.LBB11_2685:
	s_movk_i32 s4, 0x80
	v_cmp_eq_u16_sdwa s[12:13], v13, s4 src0_sel:BYTE_3 src1_sel:DWORD
	s_mov_b64 s[4:5], -1
                                        ; implicit-def: $sgpr10
	s_and_saveexec_b64 s[8:9], s[12:13]
; %bb.2686:
	s_mov_b32 s10, 0x7f800001
	s_xor_b64 s[4:5], exec, -1
; %bb.2687:
	s_or_b64 exec, exec, s[8:9]
	s_and_b64 s[4:5], s[4:5], exec
	s_or_saveexec_b64 s[6:7], s[6:7]
	v_mov_b32_e32 v11, s10
	s_xor_b64 exec, exec, s[6:7]
	s_cbranch_execz .LBB11_638
.LBB11_2688:
	v_mov_b32_e32 v11, 0
	v_cmp_ne_u16_sdwa s[8:9], v13, v11 src0_sel:BYTE_3 src1_sel:DWORD
	s_andn2_b64 s[4:5], s[4:5], exec
	s_and_b64 s[8:9], s[8:9], exec
	s_or_b64 s[4:5], s[4:5], s[8:9]
	s_or_b64 exec, exec, s[6:7]
	s_and_saveexec_b64 s[6:7], s[4:5]
	s_cbranch_execnz .LBB11_639
	s_branch .LBB11_640
.LBB11_2689:
	s_movk_i32 s4, 0x80
	v_cmp_eq_u16_sdwa s[12:13], v6, s4 src0_sel:BYTE_0 src1_sel:DWORD
	s_mov_b64 s[4:5], -1
                                        ; implicit-def: $sgpr10
	s_and_saveexec_b64 s[8:9], s[12:13]
; %bb.2690:
	s_mov_b32 s10, 0x7f800001
	s_xor_b64 s[4:5], exec, -1
; %bb.2691:
	s_or_b64 exec, exec, s[8:9]
	s_and_b64 s[4:5], s[4:5], exec
	s_or_saveexec_b64 s[6:7], s[6:7]
	v_mov_b32_e32 v10, s10
	s_xor_b64 exec, exec, s[6:7]
	s_cbranch_execz .LBB11_642
.LBB11_2692:
	v_mov_b32_e32 v10, 0
	v_cmp_ne_u16_sdwa s[8:9], v6, v10 src0_sel:BYTE_0 src1_sel:DWORD
	s_andn2_b64 s[4:5], s[4:5], exec
	s_and_b64 s[8:9], s[8:9], exec
	s_or_b64 s[4:5], s[4:5], s[8:9]
	s_or_b64 exec, exec, s[6:7]
	s_and_saveexec_b64 s[6:7], s[4:5]
	s_cbranch_execnz .LBB11_643
	s_branch .LBB11_644
.LBB11_2693:
	s_movk_i32 s4, 0x80
	v_cmp_eq_u16_sdwa s[12:13], v2, s4 src0_sel:BYTE_0 src1_sel:DWORD
	s_mov_b64 s[4:5], -1
                                        ; implicit-def: $sgpr10
	s_and_saveexec_b64 s[8:9], s[12:13]
; %bb.2694:
	s_mov_b32 s10, 0x7f800001
	s_xor_b64 s[4:5], exec, -1
; %bb.2695:
	s_or_b64 exec, exec, s[8:9]
	s_and_b64 s[4:5], s[4:5], exec
	s_or_saveexec_b64 s[6:7], s[6:7]
	v_mov_b32_e32 v11, s10
	s_xor_b64 exec, exec, s[6:7]
	s_cbranch_execz .LBB11_646
.LBB11_2696:
	v_mov_b32_e32 v11, 0
	v_cmp_ne_u16_sdwa s[8:9], v2, v11 src0_sel:BYTE_0 src1_sel:DWORD
	s_andn2_b64 s[4:5], s[4:5], exec
	s_and_b64 s[8:9], s[8:9], exec
	s_or_b64 s[4:5], s[4:5], s[8:9]
	s_or_b64 exec, exec, s[6:7]
	s_and_saveexec_b64 s[6:7], s[4:5]
	s_cbranch_execnz .LBB11_647
	s_branch .LBB11_648
.LBB11_2697:
	s_movk_i32 s4, 0x80
	v_cmp_eq_u16_sdwa s[12:13], v11, s4 src0_sel:BYTE_0 src1_sel:DWORD
	s_mov_b64 s[4:5], -1
                                        ; implicit-def: $sgpr10
	s_and_saveexec_b64 s[8:9], s[12:13]
; %bb.2698:
	s_mov_b32 s10, 0x7f800001
	s_xor_b64 s[4:5], exec, -1
; %bb.2699:
	s_or_b64 exec, exec, s[8:9]
	s_and_b64 s[4:5], s[4:5], exec
	s_or_saveexec_b64 s[6:7], s[6:7]
	v_mov_b32_e32 v10, s10
	s_xor_b64 exec, exec, s[6:7]
	s_cbranch_execz .LBB11_650
.LBB11_2700:
	v_mov_b32_e32 v10, 0
	v_cmp_ne_u16_sdwa s[8:9], v11, v10 src0_sel:BYTE_0 src1_sel:DWORD
	s_andn2_b64 s[4:5], s[4:5], exec
	s_and_b64 s[8:9], s[8:9], exec
	s_or_b64 s[4:5], s[4:5], s[8:9]
	s_or_b64 exec, exec, s[6:7]
	s_and_saveexec_b64 s[6:7], s[4:5]
	s_cbranch_execnz .LBB11_651
	s_branch .LBB11_652
.LBB11_2701:
	s_movk_i32 s4, 0x80
	v_cmp_eq_u16_sdwa s[12:13], v11, s4 src0_sel:BYTE_0 src1_sel:DWORD
	s_mov_b64 s[4:5], -1
                                        ; implicit-def: $sgpr10
	s_and_saveexec_b64 s[8:9], s[12:13]
; %bb.2702:
	s_mov_b32 s10, 0x7f800001
	s_xor_b64 s[4:5], exec, -1
; %bb.2703:
	s_or_b64 exec, exec, s[8:9]
	s_and_b64 s[4:5], s[4:5], exec
	s_or_saveexec_b64 s[6:7], s[6:7]
	v_mov_b32_e32 v12, s10
	s_xor_b64 exec, exec, s[6:7]
	s_cbranch_execz .LBB11_654
.LBB11_2704:
	v_mov_b32_e32 v12, 0
	v_cmp_ne_u16_sdwa s[8:9], v11, v12 src0_sel:BYTE_0 src1_sel:DWORD
	s_andn2_b64 s[4:5], s[4:5], exec
	s_and_b64 s[8:9], s[8:9], exec
	s_or_b64 s[4:5], s[4:5], s[8:9]
	s_or_b64 exec, exec, s[6:7]
	s_and_saveexec_b64 s[6:7], s[4:5]
	s_cbranch_execnz .LBB11_655
	s_branch .LBB11_656
.LBB11_2705:
	s_movk_i32 s4, 0x80
	v_cmp_eq_u16_e32 vcc, s4, v11
	s_mov_b64 s[4:5], -1
                                        ; implicit-def: $sgpr10
	s_and_saveexec_b64 s[8:9], vcc
; %bb.2706:
	s_mov_b32 s10, 0x7f800001
	s_xor_b64 s[4:5], exec, -1
; %bb.2707:
	s_or_b64 exec, exec, s[8:9]
	s_and_b64 s[4:5], s[4:5], exec
                                        ; implicit-def: $vgpr11
	s_or_saveexec_b64 s[6:7], s[6:7]
	v_mov_b32_e32 v10, s10
	s_xor_b64 exec, exec, s[6:7]
	s_cbranch_execz .LBB11_658
.LBB11_2708:
	v_cmp_ne_u16_e32 vcc, 0, v11
	s_andn2_b64 s[4:5], s[4:5], exec
	s_and_b64 s[8:9], vcc, exec
	v_mov_b32_e32 v10, 0
	s_or_b64 s[4:5], s[4:5], s[8:9]
	s_or_b64 exec, exec, s[6:7]
	s_and_saveexec_b64 s[6:7], s[4:5]
	s_cbranch_execnz .LBB11_659
	s_branch .LBB11_660
.LBB11_2709:
	s_movk_i32 s4, 0x80
	v_cmp_eq_u16_e32 vcc, s4, v11
	s_mov_b64 s[4:5], -1
                                        ; implicit-def: $sgpr10
	s_and_saveexec_b64 s[8:9], vcc
; %bb.2710:
	s_mov_b32 s10, 0x7f800001
	s_xor_b64 s[4:5], exec, -1
; %bb.2711:
	s_or_b64 exec, exec, s[8:9]
	s_and_b64 s[4:5], s[4:5], exec
                                        ; implicit-def: $vgpr11
	s_or_saveexec_b64 s[6:7], s[6:7]
	v_mov_b32_e32 v12, s10
	s_xor_b64 exec, exec, s[6:7]
	s_cbranch_execz .LBB11_662
.LBB11_2712:
	v_cmp_ne_u16_e32 vcc, 0, v11
	s_andn2_b64 s[4:5], s[4:5], exec
	s_and_b64 s[8:9], vcc, exec
	v_mov_b32_e32 v12, 0
	s_or_b64 s[4:5], s[4:5], s[8:9]
	s_or_b64 exec, exec, s[6:7]
	s_and_saveexec_b64 s[6:7], s[4:5]
	s_cbranch_execnz .LBB11_663
	s_branch .LBB11_664
.LBB11_2713:
	s_movk_i32 s4, 0x80
	v_cmp_eq_u16_sdwa s[12:13], v6, s4 src0_sel:BYTE_3 src1_sel:DWORD
	s_mov_b64 s[4:5], -1
                                        ; implicit-def: $sgpr10
	s_and_saveexec_b64 s[8:9], s[12:13]
; %bb.2714:
	s_mov_b32 s10, 0x7f800001
	s_xor_b64 s[4:5], exec, -1
; %bb.2715:
	s_or_b64 exec, exec, s[8:9]
	s_and_b64 s[4:5], s[4:5], exec
	s_or_saveexec_b64 s[6:7], s[6:7]
	v_mov_b32_e32 v10, s10
	s_xor_b64 exec, exec, s[6:7]
	s_cbranch_execz .LBB11_666
.LBB11_2716:
	v_mov_b32_e32 v10, 0
	v_cmp_ne_u16_sdwa s[8:9], v6, v10 src0_sel:BYTE_3 src1_sel:DWORD
	s_andn2_b64 s[4:5], s[4:5], exec
	s_and_b64 s[8:9], s[8:9], exec
	s_or_b64 s[4:5], s[4:5], s[8:9]
	s_or_b64 exec, exec, s[6:7]
	s_and_saveexec_b64 s[6:7], s[4:5]
	s_cbranch_execnz .LBB11_667
	s_branch .LBB11_668
.LBB11_2717:
	s_movk_i32 s4, 0x80
	v_cmp_eq_u16_sdwa s[12:13], v2, s4 src0_sel:BYTE_3 src1_sel:DWORD
	s_mov_b64 s[4:5], -1
                                        ; implicit-def: $sgpr10
	s_and_saveexec_b64 s[8:9], s[12:13]
; %bb.2718:
	s_mov_b32 s10, 0x7f800001
	s_xor_b64 s[4:5], exec, -1
; %bb.2719:
	s_or_b64 exec, exec, s[8:9]
	s_and_b64 s[4:5], s[4:5], exec
	s_or_saveexec_b64 s[6:7], s[6:7]
	v_mov_b32_e32 v6, s10
	s_xor_b64 exec, exec, s[6:7]
	s_cbranch_execz .LBB11_670
.LBB11_2720:
	v_mov_b32_e32 v6, 0
	v_cmp_ne_u16_sdwa s[8:9], v2, v6 src0_sel:BYTE_3 src1_sel:DWORD
	s_andn2_b64 s[4:5], s[4:5], exec
	s_and_b64 s[8:9], s[8:9], exec
	s_or_b64 s[4:5], s[4:5], s[8:9]
	s_or_b64 exec, exec, s[6:7]
	s_and_saveexec_b64 s[6:7], s[4:5]
	s_cbranch_execnz .LBB11_671
	s_branch .LBB11_672
.LBB11_2721:
	s_movk_i32 s4, 0x80
	v_cmp_eq_u16_sdwa s[12:13], v7, s4 src0_sel:BYTE_0 src1_sel:DWORD
	s_mov_b64 s[4:5], -1
                                        ; implicit-def: $sgpr10
	s_and_saveexec_b64 s[8:9], s[12:13]
; %bb.2722:
	s_mov_b32 s10, 0x7f800001
	s_xor_b64 s[4:5], exec, -1
; %bb.2723:
	s_or_b64 exec, exec, s[8:9]
	s_and_b64 s[4:5], s[4:5], exec
	s_or_saveexec_b64 s[6:7], s[6:7]
	v_mov_b32_e32 v2, s10
	s_xor_b64 exec, exec, s[6:7]
	s_cbranch_execz .LBB11_674
.LBB11_2724:
	v_mov_b32_e32 v2, 0
	v_cmp_ne_u16_sdwa s[8:9], v7, v2 src0_sel:BYTE_0 src1_sel:DWORD
	s_andn2_b64 s[4:5], s[4:5], exec
	s_and_b64 s[8:9], s[8:9], exec
	s_or_b64 s[4:5], s[4:5], s[8:9]
	s_or_b64 exec, exec, s[6:7]
	s_and_saveexec_b64 s[6:7], s[4:5]
	s_cbranch_execnz .LBB11_675
	s_branch .LBB11_676
.LBB11_2725:
	s_movk_i32 s4, 0x80
	v_cmp_eq_u16_sdwa s[12:13], v3, s4 src0_sel:BYTE_0 src1_sel:DWORD
	s_mov_b64 s[4:5], -1
                                        ; implicit-def: $sgpr10
	s_and_saveexec_b64 s[8:9], s[12:13]
; %bb.2726:
	s_mov_b32 s10, 0x7f800001
	s_xor_b64 s[4:5], exec, -1
; %bb.2727:
	s_or_b64 exec, exec, s[8:9]
	s_and_b64 s[4:5], s[4:5], exec
	s_or_saveexec_b64 s[6:7], s[6:7]
	v_mov_b32_e32 v6, s10
	s_xor_b64 exec, exec, s[6:7]
	s_cbranch_execz .LBB11_678
.LBB11_2728:
	v_mov_b32_e32 v6, 0
	v_cmp_ne_u16_sdwa s[8:9], v3, v6 src0_sel:BYTE_0 src1_sel:DWORD
	s_andn2_b64 s[4:5], s[4:5], exec
	s_and_b64 s[8:9], s[8:9], exec
	s_or_b64 s[4:5], s[4:5], s[8:9]
	s_or_b64 exec, exec, s[6:7]
	s_and_saveexec_b64 s[6:7], s[4:5]
	s_cbranch_execnz .LBB11_679
	s_branch .LBB11_680
.LBB11_2729:
	s_movk_i32 s4, 0x80
	v_cmp_eq_u16_sdwa s[12:13], v6, s4 src0_sel:BYTE_0 src1_sel:DWORD
	s_mov_b64 s[4:5], -1
                                        ; implicit-def: $sgpr10
	s_and_saveexec_b64 s[8:9], s[12:13]
; %bb.2730:
	s_mov_b32 s10, 0x7f800001
	s_xor_b64 s[4:5], exec, -1
; %bb.2731:
	s_or_b64 exec, exec, s[8:9]
	s_and_b64 s[4:5], s[4:5], exec
	s_or_saveexec_b64 s[6:7], s[6:7]
	v_mov_b32_e32 v2, s10
	s_xor_b64 exec, exec, s[6:7]
	s_cbranch_execz .LBB11_682
.LBB11_2732:
	v_mov_b32_e32 v2, 0
	v_cmp_ne_u16_sdwa s[8:9], v6, v2 src0_sel:BYTE_0 src1_sel:DWORD
	s_andn2_b64 s[4:5], s[4:5], exec
	s_and_b64 s[8:9], s[8:9], exec
	s_or_b64 s[4:5], s[4:5], s[8:9]
	s_or_b64 exec, exec, s[6:7]
	s_and_saveexec_b64 s[6:7], s[4:5]
	s_cbranch_execnz .LBB11_683
	s_branch .LBB11_684
.LBB11_2733:
	s_movk_i32 s4, 0x80
	v_cmp_eq_u16_sdwa s[12:13], v6, s4 src0_sel:BYTE_0 src1_sel:DWORD
	s_mov_b64 s[4:5], -1
                                        ; implicit-def: $sgpr10
	s_and_saveexec_b64 s[8:9], s[12:13]
; %bb.2734:
	s_mov_b32 s10, 0x7f800001
	s_xor_b64 s[4:5], exec, -1
; %bb.2735:
	s_or_b64 exec, exec, s[8:9]
	s_and_b64 s[4:5], s[4:5], exec
	s_or_saveexec_b64 s[6:7], s[6:7]
	v_mov_b32_e32 v10, s10
	s_xor_b64 exec, exec, s[6:7]
	s_cbranch_execz .LBB11_686
.LBB11_2736:
	v_mov_b32_e32 v10, 0
	v_cmp_ne_u16_sdwa s[8:9], v6, v10 src0_sel:BYTE_0 src1_sel:DWORD
	s_andn2_b64 s[4:5], s[4:5], exec
	s_and_b64 s[8:9], s[8:9], exec
	s_or_b64 s[4:5], s[4:5], s[8:9]
	s_or_b64 exec, exec, s[6:7]
	s_and_saveexec_b64 s[6:7], s[4:5]
	s_cbranch_execnz .LBB11_687
	s_branch .LBB11_688
.LBB11_2737:
	s_movk_i32 s4, 0x80
	v_cmp_eq_u16_e32 vcc, s4, v6
	s_mov_b64 s[4:5], -1
                                        ; implicit-def: $sgpr10
	s_and_saveexec_b64 s[8:9], vcc
; %bb.2738:
	s_mov_b32 s10, 0x7f800001
	s_xor_b64 s[4:5], exec, -1
; %bb.2739:
	s_or_b64 exec, exec, s[8:9]
	s_and_b64 s[4:5], s[4:5], exec
                                        ; implicit-def: $vgpr6
	s_or_saveexec_b64 s[6:7], s[6:7]
	v_mov_b32_e32 v2, s10
	s_xor_b64 exec, exec, s[6:7]
	s_cbranch_execz .LBB11_690
.LBB11_2740:
	v_cmp_ne_u16_e32 vcc, 0, v6
	s_andn2_b64 s[4:5], s[4:5], exec
	s_and_b64 s[8:9], vcc, exec
	v_mov_b32_e32 v2, 0
	s_or_b64 s[4:5], s[4:5], s[8:9]
	s_or_b64 exec, exec, s[6:7]
	s_and_saveexec_b64 s[6:7], s[4:5]
	s_cbranch_execnz .LBB11_691
	s_branch .LBB11_692
.LBB11_2741:
	s_movk_i32 s4, 0x80
	v_cmp_eq_u16_e32 vcc, s4, v6
	s_mov_b64 s[4:5], -1
                                        ; implicit-def: $sgpr10
	s_and_saveexec_b64 s[8:9], vcc
; %bb.2742:
	s_mov_b32 s10, 0x7f800001
	s_xor_b64 s[4:5], exec, -1
; %bb.2743:
	s_or_b64 exec, exec, s[8:9]
	s_and_b64 s[4:5], s[4:5], exec
                                        ; implicit-def: $vgpr6
	s_or_saveexec_b64 s[6:7], s[6:7]
	v_mov_b32_e32 v10, s10
	s_xor_b64 exec, exec, s[6:7]
	s_cbranch_execz .LBB11_694
.LBB11_2744:
	v_cmp_ne_u16_e32 vcc, 0, v6
	s_andn2_b64 s[4:5], s[4:5], exec
	s_and_b64 s[8:9], vcc, exec
	v_mov_b32_e32 v10, 0
	s_or_b64 s[4:5], s[4:5], s[8:9]
	s_or_b64 exec, exec, s[6:7]
	s_and_saveexec_b64 s[6:7], s[4:5]
	s_cbranch_execnz .LBB11_695
	s_branch .LBB11_696
.LBB11_2745:
	s_movk_i32 s4, 0x80
	v_cmp_eq_u16_sdwa s[12:13], v7, s4 src0_sel:BYTE_3 src1_sel:DWORD
	s_mov_b64 s[4:5], -1
                                        ; implicit-def: $sgpr10
	s_and_saveexec_b64 s[8:9], s[12:13]
; %bb.2746:
	s_mov_b32 s10, 0x7f800001
	s_xor_b64 s[4:5], exec, -1
; %bb.2747:
	s_or_b64 exec, exec, s[8:9]
	s_and_b64 s[4:5], s[4:5], exec
	s_or_saveexec_b64 s[6:7], s[6:7]
	v_mov_b32_e32 v2, s10
	s_xor_b64 exec, exec, s[6:7]
	s_cbranch_execz .LBB11_698
.LBB11_2748:
	v_mov_b32_e32 v2, 0
	v_cmp_ne_u16_sdwa s[8:9], v7, v2 src0_sel:BYTE_3 src1_sel:DWORD
	s_andn2_b64 s[4:5], s[4:5], exec
	s_and_b64 s[8:9], s[8:9], exec
	s_or_b64 s[4:5], s[4:5], s[8:9]
	s_or_b64 exec, exec, s[6:7]
	s_and_saveexec_b64 s[6:7], s[4:5]
	s_cbranch_execnz .LBB11_699
	s_branch .LBB11_700
.LBB11_2749:
	s_movk_i32 s4, 0x80
	v_cmp_eq_u16_sdwa s[12:13], v3, s4 src0_sel:BYTE_3 src1_sel:DWORD
	s_mov_b64 s[4:5], -1
                                        ; implicit-def: $sgpr10
	s_and_saveexec_b64 s[8:9], s[12:13]
; %bb.2750:
	s_mov_b32 s10, 0x7f800001
	s_xor_b64 s[4:5], exec, -1
; %bb.2751:
	s_or_b64 exec, exec, s[8:9]
	s_and_b64 s[4:5], s[4:5], exec
	s_or_saveexec_b64 s[6:7], s[6:7]
	v_mov_b32_e32 v6, s10
	s_xor_b64 exec, exec, s[6:7]
	s_cbranch_execz .LBB11_702
.LBB11_2752:
	v_mov_b32_e32 v6, 0
	v_cmp_ne_u16_sdwa s[8:9], v3, v6 src0_sel:BYTE_3 src1_sel:DWORD
	s_andn2_b64 s[4:5], s[4:5], exec
	s_and_b64 s[8:9], s[8:9], exec
	s_or_b64 s[4:5], s[4:5], s[8:9]
	s_or_b64 exec, exec, s[6:7]
	s_and_saveexec_b64 s[6:7], s[4:5]
	s_cbranch_execnz .LBB11_703
	s_branch .LBB11_704
.LBB11_2753:
	s_movk_i32 s4, 0x80
	v_cmp_eq_u16_sdwa s[12:13], v8, s4 src0_sel:BYTE_0 src1_sel:DWORD
	s_mov_b64 s[4:5], -1
                                        ; implicit-def: $sgpr10
	s_and_saveexec_b64 s[8:9], s[12:13]
; %bb.2754:
	s_mov_b32 s10, 0x7f800001
	s_xor_b64 s[4:5], exec, -1
; %bb.2755:
	s_or_b64 exec, exec, s[8:9]
	s_and_b64 s[4:5], s[4:5], exec
	s_or_saveexec_b64 s[6:7], s[6:7]
	v_mov_b32_e32 v2, s10
	s_xor_b64 exec, exec, s[6:7]
	s_cbranch_execz .LBB11_706
.LBB11_2756:
	v_mov_b32_e32 v2, 0
	v_cmp_ne_u16_sdwa s[8:9], v8, v2 src0_sel:BYTE_0 src1_sel:DWORD
	s_andn2_b64 s[4:5], s[4:5], exec
	s_and_b64 s[8:9], s[8:9], exec
	s_or_b64 s[4:5], s[4:5], s[8:9]
	s_or_b64 exec, exec, s[6:7]
	s_and_saveexec_b64 s[6:7], s[4:5]
	s_cbranch_execnz .LBB11_707
	s_branch .LBB11_708
.LBB11_2757:
	s_movk_i32 s4, 0x80
	v_cmp_eq_u16_sdwa s[12:13], v4, s4 src0_sel:BYTE_0 src1_sel:DWORD
	s_mov_b64 s[4:5], -1
                                        ; implicit-def: $sgpr10
	s_and_saveexec_b64 s[8:9], s[12:13]
; %bb.2758:
	s_mov_b32 s10, 0x7f800001
	s_xor_b64 s[4:5], exec, -1
; %bb.2759:
	s_or_b64 exec, exec, s[8:9]
	s_and_b64 s[4:5], s[4:5], exec
	s_or_saveexec_b64 s[6:7], s[6:7]
	v_mov_b32_e32 v3, s10
	s_xor_b64 exec, exec, s[6:7]
	s_cbranch_execz .LBB11_710
.LBB11_2760:
	v_mov_b32_e32 v3, 0
	v_cmp_ne_u16_sdwa s[8:9], v4, v3 src0_sel:BYTE_0 src1_sel:DWORD
	s_andn2_b64 s[4:5], s[4:5], exec
	s_and_b64 s[8:9], s[8:9], exec
	s_or_b64 s[4:5], s[4:5], s[8:9]
	s_or_b64 exec, exec, s[6:7]
	s_and_saveexec_b64 s[6:7], s[4:5]
	s_cbranch_execnz .LBB11_711
	s_branch .LBB11_712
.LBB11_2761:
	s_movk_i32 s4, 0x80
	v_cmp_eq_u16_sdwa s[12:13], v3, s4 src0_sel:BYTE_0 src1_sel:DWORD
	s_mov_b64 s[4:5], -1
                                        ; implicit-def: $sgpr10
	s_and_saveexec_b64 s[8:9], s[12:13]
; %bb.2762:
	s_mov_b32 s10, 0x7f800001
	s_xor_b64 s[4:5], exec, -1
; %bb.2763:
	s_or_b64 exec, exec, s[8:9]
	s_and_b64 s[4:5], s[4:5], exec
	s_or_saveexec_b64 s[6:7], s[6:7]
	v_mov_b32_e32 v2, s10
	s_xor_b64 exec, exec, s[6:7]
	s_cbranch_execz .LBB11_714
.LBB11_2764:
	v_mov_b32_e32 v2, 0
	v_cmp_ne_u16_sdwa s[8:9], v3, v2 src0_sel:BYTE_0 src1_sel:DWORD
	s_andn2_b64 s[4:5], s[4:5], exec
	s_and_b64 s[8:9], s[8:9], exec
	s_or_b64 s[4:5], s[4:5], s[8:9]
	s_or_b64 exec, exec, s[6:7]
	s_and_saveexec_b64 s[6:7], s[4:5]
	s_cbranch_execnz .LBB11_715
	s_branch .LBB11_716
.LBB11_2765:
	s_movk_i32 s4, 0x80
	v_cmp_eq_u16_sdwa s[12:13], v3, s4 src0_sel:BYTE_0 src1_sel:DWORD
	s_mov_b64 s[4:5], -1
                                        ; implicit-def: $sgpr10
	s_and_saveexec_b64 s[8:9], s[12:13]
; %bb.2766:
	s_mov_b32 s10, 0x7f800001
	s_xor_b64 s[4:5], exec, -1
; %bb.2767:
	s_or_b64 exec, exec, s[8:9]
	s_and_b64 s[4:5], s[4:5], exec
	s_or_saveexec_b64 s[6:7], s[6:7]
	v_mov_b32_e32 v6, s10
	s_xor_b64 exec, exec, s[6:7]
	s_cbranch_execz .LBB11_718
.LBB11_2768:
	v_mov_b32_e32 v6, 0
	v_cmp_ne_u16_sdwa s[8:9], v3, v6 src0_sel:BYTE_0 src1_sel:DWORD
	s_andn2_b64 s[4:5], s[4:5], exec
	s_and_b64 s[8:9], s[8:9], exec
	s_or_b64 s[4:5], s[4:5], s[8:9]
	s_or_b64 exec, exec, s[6:7]
	s_and_saveexec_b64 s[6:7], s[4:5]
	s_cbranch_execnz .LBB11_719
	s_branch .LBB11_720
.LBB11_2769:
	s_movk_i32 s4, 0x80
	v_cmp_eq_u16_e32 vcc, s4, v3
	s_mov_b64 s[4:5], -1
                                        ; implicit-def: $sgpr10
	s_and_saveexec_b64 s[8:9], vcc
; %bb.2770:
	s_mov_b32 s10, 0x7f800001
	s_xor_b64 s[4:5], exec, -1
; %bb.2771:
	s_or_b64 exec, exec, s[8:9]
	s_and_b64 s[4:5], s[4:5], exec
                                        ; implicit-def: $vgpr3
	s_or_saveexec_b64 s[6:7], s[6:7]
	v_mov_b32_e32 v2, s10
	s_xor_b64 exec, exec, s[6:7]
	s_cbranch_execz .LBB11_722
.LBB11_2772:
	v_cmp_ne_u16_e32 vcc, 0, v3
	s_andn2_b64 s[4:5], s[4:5], exec
	s_and_b64 s[8:9], vcc, exec
	v_mov_b32_e32 v2, 0
	s_or_b64 s[4:5], s[4:5], s[8:9]
	s_or_b64 exec, exec, s[6:7]
	s_and_saveexec_b64 s[6:7], s[4:5]
	s_cbranch_execnz .LBB11_723
	s_branch .LBB11_724
.LBB11_2773:
	s_movk_i32 s4, 0x80
	v_cmp_eq_u16_e32 vcc, s4, v3
	s_mov_b64 s[4:5], -1
                                        ; implicit-def: $sgpr10
	s_and_saveexec_b64 s[8:9], vcc
; %bb.2774:
	s_mov_b32 s10, 0x7f800001
	s_xor_b64 s[4:5], exec, -1
; %bb.2775:
	s_or_b64 exec, exec, s[8:9]
	s_and_b64 s[4:5], s[4:5], exec
                                        ; implicit-def: $vgpr3
	s_or_saveexec_b64 s[6:7], s[6:7]
	v_mov_b32_e32 v6, s10
	s_xor_b64 exec, exec, s[6:7]
	s_cbranch_execz .LBB11_726
.LBB11_2776:
	v_cmp_ne_u16_e32 vcc, 0, v3
	s_andn2_b64 s[4:5], s[4:5], exec
	s_and_b64 s[8:9], vcc, exec
	v_mov_b32_e32 v6, 0
	s_or_b64 s[4:5], s[4:5], s[8:9]
	s_or_b64 exec, exec, s[6:7]
	s_and_saveexec_b64 s[6:7], s[4:5]
	s_cbranch_execnz .LBB11_727
	s_branch .LBB11_728
.LBB11_2777:
	s_movk_i32 s4, 0x80
	v_cmp_eq_u16_sdwa s[12:13], v8, s4 src0_sel:BYTE_3 src1_sel:DWORD
	s_mov_b64 s[4:5], -1
                                        ; implicit-def: $sgpr10
	s_and_saveexec_b64 s[8:9], s[12:13]
; %bb.2778:
	s_mov_b32 s10, 0x7f800001
	s_xor_b64 s[4:5], exec, -1
; %bb.2779:
	s_or_b64 exec, exec, s[8:9]
	s_and_b64 s[4:5], s[4:5], exec
	s_or_saveexec_b64 s[6:7], s[6:7]
	v_mov_b32_e32 v2, s10
	s_xor_b64 exec, exec, s[6:7]
	s_cbranch_execz .LBB11_730
.LBB11_2780:
	v_mov_b32_e32 v2, 0
	v_cmp_ne_u16_sdwa s[8:9], v8, v2 src0_sel:BYTE_3 src1_sel:DWORD
	s_andn2_b64 s[4:5], s[4:5], exec
	s_and_b64 s[8:9], s[8:9], exec
	s_or_b64 s[4:5], s[4:5], s[8:9]
	s_or_b64 exec, exec, s[6:7]
	s_and_saveexec_b64 s[6:7], s[4:5]
	s_cbranch_execnz .LBB11_731
	s_branch .LBB11_732
.LBB11_2781:
	s_movk_i32 s4, 0x80
	v_cmp_eq_u16_sdwa s[12:13], v4, s4 src0_sel:BYTE_3 src1_sel:DWORD
	s_mov_b64 s[4:5], -1
                                        ; implicit-def: $sgpr10
	s_and_saveexec_b64 s[8:9], s[12:13]
; %bb.2782:
	s_mov_b32 s10, 0x7f800001
	s_xor_b64 s[4:5], exec, -1
; %bb.2783:
	s_or_b64 exec, exec, s[8:9]
	s_and_b64 s[4:5], s[4:5], exec
	s_or_saveexec_b64 s[6:7], s[6:7]
	v_mov_b32_e32 v3, s10
	s_xor_b64 exec, exec, s[6:7]
	s_cbranch_execz .LBB11_734
.LBB11_2784:
	v_mov_b32_e32 v3, 0
	v_cmp_ne_u16_sdwa s[8:9], v4, v3 src0_sel:BYTE_3 src1_sel:DWORD
	s_andn2_b64 s[4:5], s[4:5], exec
	s_and_b64 s[8:9], s[8:9], exec
	s_or_b64 s[4:5], s[4:5], s[8:9]
	s_or_b64 exec, exec, s[6:7]
	s_and_saveexec_b64 s[6:7], s[4:5]
	s_cbranch_execnz .LBB11_735
	s_branch .LBB11_736
.LBB11_2785:
	s_movk_i32 s4, 0x80
	v_cmp_eq_u16_sdwa s[12:13], v9, s4 src0_sel:BYTE_0 src1_sel:DWORD
	s_mov_b64 s[4:5], -1
                                        ; implicit-def: $sgpr10
	s_and_saveexec_b64 s[8:9], s[12:13]
; %bb.2786:
	s_mov_b32 s10, 0x7f800001
	s_xor_b64 s[4:5], exec, -1
; %bb.2787:
	s_or_b64 exec, exec, s[8:9]
	s_and_b64 s[4:5], s[4:5], exec
	s_or_saveexec_b64 s[6:7], s[6:7]
	v_mov_b32_e32 v2, s10
	s_xor_b64 exec, exec, s[6:7]
	s_cbranch_execz .LBB11_738
.LBB11_2788:
	v_mov_b32_e32 v2, 0
	v_cmp_ne_u16_sdwa s[8:9], v9, v2 src0_sel:BYTE_0 src1_sel:DWORD
	s_andn2_b64 s[4:5], s[4:5], exec
	s_and_b64 s[8:9], s[8:9], exec
	s_or_b64 s[4:5], s[4:5], s[8:9]
	s_or_b64 exec, exec, s[6:7]
	s_and_saveexec_b64 s[6:7], s[4:5]
	s_cbranch_execnz .LBB11_739
	s_branch .LBB11_740
.LBB11_2789:
	s_movk_i32 s4, 0x80
	v_cmp_eq_u16_sdwa s[12:13], v5, s4 src0_sel:BYTE_0 src1_sel:DWORD
	s_mov_b64 s[4:5], -1
                                        ; implicit-def: $sgpr10
	s_and_saveexec_b64 s[8:9], s[12:13]
; %bb.2790:
	s_mov_b32 s10, 0x7f800001
	s_xor_b64 s[4:5], exec, -1
; %bb.2791:
	s_or_b64 exec, exec, s[8:9]
	s_and_b64 s[4:5], s[4:5], exec
	s_or_saveexec_b64 s[6:7], s[6:7]
	v_mov_b32_e32 v3, s10
	s_xor_b64 exec, exec, s[6:7]
	s_cbranch_execz .LBB11_742
.LBB11_2792:
	v_mov_b32_e32 v3, 0
	v_cmp_ne_u16_sdwa s[8:9], v5, v3 src0_sel:BYTE_0 src1_sel:DWORD
	s_andn2_b64 s[4:5], s[4:5], exec
	s_and_b64 s[8:9], s[8:9], exec
	s_or_b64 s[4:5], s[4:5], s[8:9]
	s_or_b64 exec, exec, s[6:7]
	s_and_saveexec_b64 s[6:7], s[4:5]
	s_cbranch_execnz .LBB11_743
	s_branch .LBB11_744
.LBB11_2793:
	s_movk_i32 s4, 0x80
	v_cmp_eq_u16_sdwa s[12:13], v3, s4 src0_sel:BYTE_0 src1_sel:DWORD
	s_mov_b64 s[4:5], -1
                                        ; implicit-def: $sgpr10
	s_and_saveexec_b64 s[8:9], s[12:13]
; %bb.2794:
	s_mov_b32 s10, 0x7f800001
	s_xor_b64 s[4:5], exec, -1
; %bb.2795:
	s_or_b64 exec, exec, s[8:9]
	s_and_b64 s[4:5], s[4:5], exec
	s_or_saveexec_b64 s[6:7], s[6:7]
	v_mov_b32_e32 v2, s10
	s_xor_b64 exec, exec, s[6:7]
	s_cbranch_execz .LBB11_746
.LBB11_2796:
	v_mov_b32_e32 v2, 0
	v_cmp_ne_u16_sdwa s[8:9], v3, v2 src0_sel:BYTE_0 src1_sel:DWORD
	s_andn2_b64 s[4:5], s[4:5], exec
	s_and_b64 s[8:9], s[8:9], exec
	s_or_b64 s[4:5], s[4:5], s[8:9]
	s_or_b64 exec, exec, s[6:7]
	s_and_saveexec_b64 s[6:7], s[4:5]
	s_cbranch_execnz .LBB11_747
	s_branch .LBB11_748
.LBB11_2797:
	s_movk_i32 s4, 0x80
	v_cmp_eq_u16_sdwa s[12:13], v3, s4 src0_sel:BYTE_0 src1_sel:DWORD
	s_mov_b64 s[4:5], -1
                                        ; implicit-def: $sgpr10
	s_and_saveexec_b64 s[8:9], s[12:13]
; %bb.2798:
	s_mov_b32 s10, 0x7f800001
	s_xor_b64 s[4:5], exec, -1
; %bb.2799:
	s_or_b64 exec, exec, s[8:9]
	s_and_b64 s[4:5], s[4:5], exec
	s_or_saveexec_b64 s[6:7], s[6:7]
	v_mov_b32_e32 v4, s10
	s_xor_b64 exec, exec, s[6:7]
	s_cbranch_execz .LBB11_750
.LBB11_2800:
	v_mov_b32_e32 v4, 0
	v_cmp_ne_u16_sdwa s[8:9], v3, v4 src0_sel:BYTE_0 src1_sel:DWORD
	s_andn2_b64 s[4:5], s[4:5], exec
	s_and_b64 s[8:9], s[8:9], exec
	s_or_b64 s[4:5], s[4:5], s[8:9]
	s_or_b64 exec, exec, s[6:7]
	s_and_saveexec_b64 s[6:7], s[4:5]
	s_cbranch_execnz .LBB11_751
	s_branch .LBB11_752
.LBB11_2801:
	s_movk_i32 s4, 0x80
	v_cmp_eq_u16_e32 vcc, s4, v3
	s_mov_b64 s[4:5], -1
                                        ; implicit-def: $sgpr10
	s_and_saveexec_b64 s[8:9], vcc
; %bb.2802:
	s_mov_b32 s10, 0x7f800001
	s_xor_b64 s[4:5], exec, -1
; %bb.2803:
	s_or_b64 exec, exec, s[8:9]
	s_and_b64 s[4:5], s[4:5], exec
                                        ; implicit-def: $vgpr3
	s_or_saveexec_b64 s[6:7], s[6:7]
	v_mov_b32_e32 v2, s10
	s_xor_b64 exec, exec, s[6:7]
	s_cbranch_execz .LBB11_754
.LBB11_2804:
	v_cmp_ne_u16_e32 vcc, 0, v3
	s_andn2_b64 s[4:5], s[4:5], exec
	s_and_b64 s[8:9], vcc, exec
	v_mov_b32_e32 v2, 0
	s_or_b64 s[4:5], s[4:5], s[8:9]
	s_or_b64 exec, exec, s[6:7]
	s_and_saveexec_b64 s[6:7], s[4:5]
	s_cbranch_execnz .LBB11_755
	s_branch .LBB11_756
.LBB11_2805:
	s_movk_i32 s4, 0x80
	v_cmp_eq_u16_e32 vcc, s4, v3
	s_mov_b64 s[4:5], -1
                                        ; implicit-def: $sgpr10
	s_and_saveexec_b64 s[8:9], vcc
; %bb.2806:
	s_mov_b32 s10, 0x7f800001
	s_xor_b64 s[4:5], exec, -1
; %bb.2807:
	s_or_b64 exec, exec, s[8:9]
	s_and_b64 s[4:5], s[4:5], exec
                                        ; implicit-def: $vgpr3
	s_or_saveexec_b64 s[6:7], s[6:7]
	v_mov_b32_e32 v4, s10
	s_xor_b64 exec, exec, s[6:7]
	s_cbranch_execz .LBB11_758
.LBB11_2808:
	v_cmp_ne_u16_e32 vcc, 0, v3
	s_andn2_b64 s[4:5], s[4:5], exec
	s_and_b64 s[8:9], vcc, exec
	v_mov_b32_e32 v4, 0
	s_or_b64 s[4:5], s[4:5], s[8:9]
	s_or_b64 exec, exec, s[6:7]
	s_and_saveexec_b64 s[6:7], s[4:5]
	s_cbranch_execnz .LBB11_759
	s_branch .LBB11_760
.LBB11_2809:
	s_movk_i32 s4, 0x80
	v_cmp_eq_u16_sdwa s[12:13], v9, s4 src0_sel:BYTE_3 src1_sel:DWORD
	s_mov_b64 s[4:5], -1
                                        ; implicit-def: $sgpr10
	s_and_saveexec_b64 s[8:9], s[12:13]
; %bb.2810:
	s_mov_b32 s10, 0x7f800001
	s_xor_b64 s[4:5], exec, -1
; %bb.2811:
	s_or_b64 exec, exec, s[8:9]
	s_and_b64 s[4:5], s[4:5], exec
	s_or_saveexec_b64 s[6:7], s[6:7]
	v_mov_b32_e32 v2, s10
	s_xor_b64 exec, exec, s[6:7]
	s_cbranch_execz .LBB11_762
.LBB11_2812:
	v_mov_b32_e32 v2, 0
	v_cmp_ne_u16_sdwa s[8:9], v9, v2 src0_sel:BYTE_3 src1_sel:DWORD
	s_andn2_b64 s[4:5], s[4:5], exec
	s_and_b64 s[8:9], s[8:9], exec
	s_or_b64 s[4:5], s[4:5], s[8:9]
	s_or_b64 exec, exec, s[6:7]
	s_and_saveexec_b64 s[6:7], s[4:5]
	s_cbranch_execnz .LBB11_763
	s_branch .LBB11_764
.LBB11_2813:
	s_movk_i32 s4, 0x80
	v_cmp_eq_u16_sdwa s[12:13], v5, s4 src0_sel:BYTE_3 src1_sel:DWORD
	s_mov_b64 s[4:5], -1
                                        ; implicit-def: $sgpr10
	s_and_saveexec_b64 s[8:9], s[12:13]
; %bb.2814:
	s_mov_b32 s10, 0x7f800001
	s_xor_b64 s[4:5], exec, -1
; %bb.2815:
	s_or_b64 exec, exec, s[8:9]
	s_and_b64 s[4:5], s[4:5], exec
	s_or_saveexec_b64 s[6:7], s[6:7]
	v_mov_b32_e32 v3, s10
	s_xor_b64 exec, exec, s[6:7]
	s_cbranch_execz .LBB11_766
.LBB11_2816:
	v_mov_b32_e32 v3, 0
	v_cmp_ne_u16_sdwa s[8:9], v5, v3 src0_sel:BYTE_3 src1_sel:DWORD
	s_andn2_b64 s[4:5], s[4:5], exec
	s_and_b64 s[8:9], s[8:9], exec
	s_or_b64 s[4:5], s[4:5], s[8:9]
	s_or_b64 exec, exec, s[6:7]
	s_and_saveexec_b64 s[6:7], s[4:5]
	s_cbranch_execnz .LBB11_767
	s_branch .LBB11_768
.LBB11_2817:
	s_movk_i32 s4, 0x80
	v_cmp_eq_u16_sdwa s[12:13], v14, s4 src0_sel:BYTE_0 src1_sel:DWORD
	s_mov_b64 s[4:5], -1
                                        ; implicit-def: $sgpr10
	s_and_saveexec_b64 s[8:9], s[12:13]
; %bb.2818:
	s_mov_b32 s10, 0x7f800001
	s_xor_b64 s[4:5], exec, -1
; %bb.2819:
	s_or_b64 exec, exec, s[8:9]
	s_and_b64 s[4:5], s[4:5], exec
	s_or_saveexec_b64 s[6:7], s[6:7]
	v_mov_b32_e32 v20, s10
	s_xor_b64 exec, exec, s[6:7]
	s_cbranch_execz .LBB11_770
.LBB11_2820:
	v_mov_b32_e32 v20, 0
	v_cmp_ne_u16_sdwa s[8:9], v14, v20 src0_sel:BYTE_0 src1_sel:DWORD
	s_andn2_b64 s[4:5], s[4:5], exec
	s_and_b64 s[8:9], s[8:9], exec
	s_or_b64 s[4:5], s[4:5], s[8:9]
	s_or_b64 exec, exec, s[6:7]
	s_and_saveexec_b64 s[6:7], s[4:5]
	s_cbranch_execnz .LBB11_771
	s_branch .LBB11_772
.LBB11_2821:
	s_movk_i32 s4, 0x80
	v_cmp_eq_u16_sdwa s[12:13], v10, s4 src0_sel:BYTE_0 src1_sel:DWORD
	s_mov_b64 s[4:5], -1
                                        ; implicit-def: $sgpr10
	s_and_saveexec_b64 s[8:9], s[12:13]
; %bb.2822:
	s_mov_b32 s10, 0x7f800001
	s_xor_b64 s[4:5], exec, -1
; %bb.2823:
	s_or_b64 exec, exec, s[8:9]
	s_and_b64 s[4:5], s[4:5], exec
	s_or_saveexec_b64 s[6:7], s[6:7]
	v_mov_b32_e32 v21, s10
	s_xor_b64 exec, exec, s[6:7]
	s_cbranch_execz .LBB11_774
.LBB11_2824:
	v_mov_b32_e32 v21, 0
	v_cmp_ne_u16_sdwa s[8:9], v10, v21 src0_sel:BYTE_0 src1_sel:DWORD
	s_andn2_b64 s[4:5], s[4:5], exec
	s_and_b64 s[8:9], s[8:9], exec
	s_or_b64 s[4:5], s[4:5], s[8:9]
	s_or_b64 exec, exec, s[6:7]
	s_and_saveexec_b64 s[6:7], s[4:5]
	s_cbranch_execnz .LBB11_775
	s_branch .LBB11_776
.LBB11_2825:
	s_movk_i32 s4, 0x80
	v_cmp_eq_u16_sdwa s[12:13], v21, s4 src0_sel:BYTE_0 src1_sel:DWORD
	s_mov_b64 s[4:5], -1
                                        ; implicit-def: $sgpr10
	s_and_saveexec_b64 s[8:9], s[12:13]
; %bb.2826:
	s_mov_b32 s10, 0x7f800001
	s_xor_b64 s[4:5], exec, -1
; %bb.2827:
	s_or_b64 exec, exec, s[8:9]
	s_and_b64 s[4:5], s[4:5], exec
	s_or_saveexec_b64 s[6:7], s[6:7]
	v_mov_b32_e32 v20, s10
	s_xor_b64 exec, exec, s[6:7]
	s_cbranch_execz .LBB11_778
.LBB11_2828:
	v_mov_b32_e32 v20, 0
	v_cmp_ne_u16_sdwa s[8:9], v21, v20 src0_sel:BYTE_0 src1_sel:DWORD
	s_andn2_b64 s[4:5], s[4:5], exec
	s_and_b64 s[8:9], s[8:9], exec
	s_or_b64 s[4:5], s[4:5], s[8:9]
	s_or_b64 exec, exec, s[6:7]
	s_and_saveexec_b64 s[6:7], s[4:5]
	s_cbranch_execnz .LBB11_779
	s_branch .LBB11_780
.LBB11_2829:
	s_movk_i32 s4, 0x80
	v_cmp_eq_u16_sdwa s[12:13], v21, s4 src0_sel:BYTE_0 src1_sel:DWORD
	s_mov_b64 s[4:5], -1
                                        ; implicit-def: $sgpr10
	s_and_saveexec_b64 s[8:9], s[12:13]
; %bb.2830:
	s_mov_b32 s10, 0x7f800001
	s_xor_b64 s[4:5], exec, -1
; %bb.2831:
	s_or_b64 exec, exec, s[8:9]
	s_and_b64 s[4:5], s[4:5], exec
	s_or_saveexec_b64 s[6:7], s[6:7]
	v_mov_b32_e32 v22, s10
	s_xor_b64 exec, exec, s[6:7]
	s_cbranch_execz .LBB11_782
.LBB11_2832:
	v_mov_b32_e32 v22, 0
	v_cmp_ne_u16_sdwa s[8:9], v21, v22 src0_sel:BYTE_0 src1_sel:DWORD
	s_andn2_b64 s[4:5], s[4:5], exec
	s_and_b64 s[8:9], s[8:9], exec
	s_or_b64 s[4:5], s[4:5], s[8:9]
	s_or_b64 exec, exec, s[6:7]
	s_and_saveexec_b64 s[6:7], s[4:5]
	s_cbranch_execnz .LBB11_783
	s_branch .LBB11_784
.LBB11_2833:
	s_movk_i32 s4, 0x80
	v_cmp_eq_u16_e32 vcc, s4, v21
	s_mov_b64 s[4:5], -1
                                        ; implicit-def: $sgpr10
	s_and_saveexec_b64 s[8:9], vcc
; %bb.2834:
	s_mov_b32 s10, 0x7f800001
	s_xor_b64 s[4:5], exec, -1
; %bb.2835:
	s_or_b64 exec, exec, s[8:9]
	s_and_b64 s[4:5], s[4:5], exec
                                        ; implicit-def: $vgpr21
	s_or_saveexec_b64 s[6:7], s[6:7]
	v_mov_b32_e32 v20, s10
	s_xor_b64 exec, exec, s[6:7]
	s_cbranch_execz .LBB11_786
.LBB11_2836:
	v_cmp_ne_u16_e32 vcc, 0, v21
	s_andn2_b64 s[4:5], s[4:5], exec
	s_and_b64 s[8:9], vcc, exec
	v_mov_b32_e32 v20, 0
	s_or_b64 s[4:5], s[4:5], s[8:9]
	s_or_b64 exec, exec, s[6:7]
	s_and_saveexec_b64 s[6:7], s[4:5]
	s_cbranch_execnz .LBB11_787
	s_branch .LBB11_788
.LBB11_2837:
	s_movk_i32 s4, 0x80
	v_cmp_eq_u16_e32 vcc, s4, v21
	s_mov_b64 s[4:5], -1
                                        ; implicit-def: $sgpr10
	s_and_saveexec_b64 s[8:9], vcc
; %bb.2838:
	s_mov_b32 s10, 0x7f800001
	s_xor_b64 s[4:5], exec, -1
; %bb.2839:
	s_or_b64 exec, exec, s[8:9]
	s_and_b64 s[4:5], s[4:5], exec
                                        ; implicit-def: $vgpr21
	s_or_saveexec_b64 s[6:7], s[6:7]
	v_mov_b32_e32 v22, s10
	s_xor_b64 exec, exec, s[6:7]
	s_cbranch_execz .LBB11_790
.LBB11_2840:
	v_cmp_ne_u16_e32 vcc, 0, v21
	s_andn2_b64 s[4:5], s[4:5], exec
	s_and_b64 s[8:9], vcc, exec
	v_mov_b32_e32 v22, 0
	s_or_b64 s[4:5], s[4:5], s[8:9]
	s_or_b64 exec, exec, s[6:7]
	s_and_saveexec_b64 s[6:7], s[4:5]
	s_cbranch_execnz .LBB11_791
	s_branch .LBB11_792
.LBB11_2841:
	s_movk_i32 s4, 0x80
	v_cmp_eq_u16_sdwa s[12:13], v14, s4 src0_sel:BYTE_3 src1_sel:DWORD
	s_mov_b64 s[4:5], -1
                                        ; implicit-def: $sgpr10
	s_and_saveexec_b64 s[8:9], s[12:13]
; %bb.2842:
	s_mov_b32 s10, 0x7f800001
	s_xor_b64 s[4:5], exec, -1
; %bb.2843:
	s_or_b64 exec, exec, s[8:9]
	s_and_b64 s[4:5], s[4:5], exec
	s_or_saveexec_b64 s[6:7], s[6:7]
	v_mov_b32_e32 v20, s10
	s_xor_b64 exec, exec, s[6:7]
	s_cbranch_execz .LBB11_794
.LBB11_2844:
	v_mov_b32_e32 v20, 0
	v_cmp_ne_u16_sdwa s[8:9], v14, v20 src0_sel:BYTE_3 src1_sel:DWORD
	s_andn2_b64 s[4:5], s[4:5], exec
	s_and_b64 s[8:9], s[8:9], exec
	s_or_b64 s[4:5], s[4:5], s[8:9]
	s_or_b64 exec, exec, s[6:7]
	s_and_saveexec_b64 s[6:7], s[4:5]
	s_cbranch_execnz .LBB11_795
	s_branch .LBB11_796
.LBB11_2845:
	s_movk_i32 s4, 0x80
	v_cmp_eq_u16_sdwa s[12:13], v10, s4 src0_sel:BYTE_3 src1_sel:DWORD
	s_mov_b64 s[4:5], -1
                                        ; implicit-def: $sgpr10
	s_and_saveexec_b64 s[8:9], s[12:13]
; %bb.2846:
	s_mov_b32 s10, 0x7f800001
	s_xor_b64 s[4:5], exec, -1
; %bb.2847:
	s_or_b64 exec, exec, s[8:9]
	s_and_b64 s[4:5], s[4:5], exec
	s_or_saveexec_b64 s[6:7], s[6:7]
	v_mov_b32_e32 v14, s10
	s_xor_b64 exec, exec, s[6:7]
	s_cbranch_execz .LBB11_798
.LBB11_2848:
	v_mov_b32_e32 v14, 0
	v_cmp_ne_u16_sdwa s[8:9], v10, v14 src0_sel:BYTE_3 src1_sel:DWORD
	s_andn2_b64 s[4:5], s[4:5], exec
	s_and_b64 s[8:9], s[8:9], exec
	s_or_b64 s[4:5], s[4:5], s[8:9]
	s_or_b64 exec, exec, s[6:7]
	s_and_saveexec_b64 s[6:7], s[4:5]
	s_cbranch_execnz .LBB11_799
	s_branch .LBB11_800
.LBB11_2849:
	s_movk_i32 s4, 0x80
	v_cmp_eq_u16_sdwa s[12:13], v15, s4 src0_sel:BYTE_0 src1_sel:DWORD
	s_mov_b64 s[4:5], -1
                                        ; implicit-def: $sgpr10
	s_and_saveexec_b64 s[8:9], s[12:13]
; %bb.2850:
	s_mov_b32 s10, 0x7f800001
	s_xor_b64 s[4:5], exec, -1
; %bb.2851:
	s_or_b64 exec, exec, s[8:9]
	s_and_b64 s[4:5], s[4:5], exec
	s_or_saveexec_b64 s[6:7], s[6:7]
	v_mov_b32_e32 v10, s10
	s_xor_b64 exec, exec, s[6:7]
	s_cbranch_execz .LBB11_802
.LBB11_2852:
	v_mov_b32_e32 v10, 0
	v_cmp_ne_u16_sdwa s[8:9], v15, v10 src0_sel:BYTE_0 src1_sel:DWORD
	s_andn2_b64 s[4:5], s[4:5], exec
	s_and_b64 s[8:9], s[8:9], exec
	s_or_b64 s[4:5], s[4:5], s[8:9]
	s_or_b64 exec, exec, s[6:7]
	s_and_saveexec_b64 s[6:7], s[4:5]
	s_cbranch_execnz .LBB11_803
	s_branch .LBB11_804
.LBB11_2853:
	s_movk_i32 s4, 0x80
	v_cmp_eq_u16_sdwa s[12:13], v11, s4 src0_sel:BYTE_0 src1_sel:DWORD
	s_mov_b64 s[4:5], -1
                                        ; implicit-def: $sgpr10
	s_and_saveexec_b64 s[8:9], s[12:13]
; %bb.2854:
	s_mov_b32 s10, 0x7f800001
	s_xor_b64 s[4:5], exec, -1
; %bb.2855:
	s_or_b64 exec, exec, s[8:9]
	s_and_b64 s[4:5], s[4:5], exec
	s_or_saveexec_b64 s[6:7], s[6:7]
	v_mov_b32_e32 v14, s10
	s_xor_b64 exec, exec, s[6:7]
	s_cbranch_execz .LBB11_806
.LBB11_2856:
	v_mov_b32_e32 v14, 0
	v_cmp_ne_u16_sdwa s[8:9], v11, v14 src0_sel:BYTE_0 src1_sel:DWORD
	s_andn2_b64 s[4:5], s[4:5], exec
	s_and_b64 s[8:9], s[8:9], exec
	s_or_b64 s[4:5], s[4:5], s[8:9]
	s_or_b64 exec, exec, s[6:7]
	s_and_saveexec_b64 s[6:7], s[4:5]
	s_cbranch_execnz .LBB11_807
	s_branch .LBB11_808
.LBB11_2857:
	s_movk_i32 s4, 0x80
	v_cmp_eq_u16_sdwa s[12:13], v14, s4 src0_sel:BYTE_0 src1_sel:DWORD
	s_mov_b64 s[4:5], -1
                                        ; implicit-def: $sgpr10
	s_and_saveexec_b64 s[8:9], s[12:13]
; %bb.2858:
	s_mov_b32 s10, 0x7f800001
	s_xor_b64 s[4:5], exec, -1
; %bb.2859:
	s_or_b64 exec, exec, s[8:9]
	s_and_b64 s[4:5], s[4:5], exec
	s_or_saveexec_b64 s[6:7], s[6:7]
	v_mov_b32_e32 v10, s10
	s_xor_b64 exec, exec, s[6:7]
	s_cbranch_execz .LBB11_810
.LBB11_2860:
	v_mov_b32_e32 v10, 0
	v_cmp_ne_u16_sdwa s[8:9], v14, v10 src0_sel:BYTE_0 src1_sel:DWORD
	s_andn2_b64 s[4:5], s[4:5], exec
	s_and_b64 s[8:9], s[8:9], exec
	s_or_b64 s[4:5], s[4:5], s[8:9]
	s_or_b64 exec, exec, s[6:7]
	s_and_saveexec_b64 s[6:7], s[4:5]
	s_cbranch_execnz .LBB11_811
	s_branch .LBB11_812
.LBB11_2861:
	s_movk_i32 s4, 0x80
	v_cmp_eq_u16_sdwa s[12:13], v14, s4 src0_sel:BYTE_0 src1_sel:DWORD
	s_mov_b64 s[4:5], -1
                                        ; implicit-def: $sgpr10
	s_and_saveexec_b64 s[8:9], s[12:13]
; %bb.2862:
	s_mov_b32 s10, 0x7f800001
	s_xor_b64 s[4:5], exec, -1
; %bb.2863:
	s_or_b64 exec, exec, s[8:9]
	s_and_b64 s[4:5], s[4:5], exec
	s_or_saveexec_b64 s[6:7], s[6:7]
	v_mov_b32_e32 v20, s10
	s_xor_b64 exec, exec, s[6:7]
	s_cbranch_execz .LBB11_814
.LBB11_2864:
	v_mov_b32_e32 v20, 0
	v_cmp_ne_u16_sdwa s[8:9], v14, v20 src0_sel:BYTE_0 src1_sel:DWORD
	s_andn2_b64 s[4:5], s[4:5], exec
	s_and_b64 s[8:9], s[8:9], exec
	s_or_b64 s[4:5], s[4:5], s[8:9]
	s_or_b64 exec, exec, s[6:7]
	s_and_saveexec_b64 s[6:7], s[4:5]
	s_cbranch_execnz .LBB11_815
	s_branch .LBB11_816
.LBB11_2865:
	s_movk_i32 s4, 0x80
	v_cmp_eq_u16_e32 vcc, s4, v14
	s_mov_b64 s[4:5], -1
                                        ; implicit-def: $sgpr10
	s_and_saveexec_b64 s[8:9], vcc
; %bb.2866:
	s_mov_b32 s10, 0x7f800001
	s_xor_b64 s[4:5], exec, -1
; %bb.2867:
	s_or_b64 exec, exec, s[8:9]
	s_and_b64 s[4:5], s[4:5], exec
                                        ; implicit-def: $vgpr14
	s_or_saveexec_b64 s[6:7], s[6:7]
	v_mov_b32_e32 v10, s10
	s_xor_b64 exec, exec, s[6:7]
	s_cbranch_execz .LBB11_818
.LBB11_2868:
	v_cmp_ne_u16_e32 vcc, 0, v14
	s_andn2_b64 s[4:5], s[4:5], exec
	s_and_b64 s[8:9], vcc, exec
	v_mov_b32_e32 v10, 0
	s_or_b64 s[4:5], s[4:5], s[8:9]
	s_or_b64 exec, exec, s[6:7]
	s_and_saveexec_b64 s[6:7], s[4:5]
	s_cbranch_execnz .LBB11_819
	s_branch .LBB11_820
.LBB11_2869:
	s_movk_i32 s4, 0x80
	v_cmp_eq_u16_e32 vcc, s4, v14
	s_mov_b64 s[4:5], -1
                                        ; implicit-def: $sgpr10
	s_and_saveexec_b64 s[8:9], vcc
; %bb.2870:
	s_mov_b32 s10, 0x7f800001
	s_xor_b64 s[4:5], exec, -1
; %bb.2871:
	s_or_b64 exec, exec, s[8:9]
	s_and_b64 s[4:5], s[4:5], exec
                                        ; implicit-def: $vgpr14
	s_or_saveexec_b64 s[6:7], s[6:7]
	v_mov_b32_e32 v20, s10
	s_xor_b64 exec, exec, s[6:7]
	s_cbranch_execz .LBB11_822
.LBB11_2872:
	v_cmp_ne_u16_e32 vcc, 0, v14
	s_andn2_b64 s[4:5], s[4:5], exec
	s_and_b64 s[8:9], vcc, exec
	v_mov_b32_e32 v20, 0
	s_or_b64 s[4:5], s[4:5], s[8:9]
	s_or_b64 exec, exec, s[6:7]
	s_and_saveexec_b64 s[6:7], s[4:5]
	s_cbranch_execnz .LBB11_823
	s_branch .LBB11_824
.LBB11_2873:
	s_movk_i32 s4, 0x80
	v_cmp_eq_u16_sdwa s[12:13], v15, s4 src0_sel:BYTE_3 src1_sel:DWORD
	s_mov_b64 s[4:5], -1
                                        ; implicit-def: $sgpr10
	s_and_saveexec_b64 s[8:9], s[12:13]
; %bb.2874:
	s_mov_b32 s10, 0x7f800001
	s_xor_b64 s[4:5], exec, -1
; %bb.2875:
	s_or_b64 exec, exec, s[8:9]
	s_and_b64 s[4:5], s[4:5], exec
	s_or_saveexec_b64 s[6:7], s[6:7]
	v_mov_b32_e32 v10, s10
	s_xor_b64 exec, exec, s[6:7]
	s_cbranch_execz .LBB11_826
.LBB11_2876:
	v_mov_b32_e32 v10, 0
	v_cmp_ne_u16_sdwa s[8:9], v15, v10 src0_sel:BYTE_3 src1_sel:DWORD
	s_andn2_b64 s[4:5], s[4:5], exec
	s_and_b64 s[8:9], s[8:9], exec
	s_or_b64 s[4:5], s[4:5], s[8:9]
	s_or_b64 exec, exec, s[6:7]
	s_and_saveexec_b64 s[6:7], s[4:5]
	s_cbranch_execnz .LBB11_827
	s_branch .LBB11_828
.LBB11_2877:
	s_movk_i32 s4, 0x80
	v_cmp_eq_u16_sdwa s[12:13], v11, s4 src0_sel:BYTE_3 src1_sel:DWORD
	s_mov_b64 s[4:5], -1
                                        ; implicit-def: $sgpr10
	s_and_saveexec_b64 s[8:9], s[12:13]
; %bb.2878:
	s_mov_b32 s10, 0x7f800001
	s_xor_b64 s[4:5], exec, -1
; %bb.2879:
	s_or_b64 exec, exec, s[8:9]
	s_and_b64 s[4:5], s[4:5], exec
	s_or_saveexec_b64 s[6:7], s[6:7]
	v_mov_b32_e32 v14, s10
	s_xor_b64 exec, exec, s[6:7]
	s_cbranch_execz .LBB11_830
.LBB11_2880:
	v_mov_b32_e32 v14, 0
	v_cmp_ne_u16_sdwa s[8:9], v11, v14 src0_sel:BYTE_3 src1_sel:DWORD
	s_andn2_b64 s[4:5], s[4:5], exec
	s_and_b64 s[8:9], s[8:9], exec
	s_or_b64 s[4:5], s[4:5], s[8:9]
	s_or_b64 exec, exec, s[6:7]
	s_and_saveexec_b64 s[6:7], s[4:5]
	s_cbranch_execnz .LBB11_831
	s_branch .LBB11_832
.LBB11_2881:
	s_movk_i32 s4, 0x80
	v_cmp_eq_u16_sdwa s[12:13], v16, s4 src0_sel:BYTE_0 src1_sel:DWORD
	s_mov_b64 s[4:5], -1
                                        ; implicit-def: $sgpr10
	s_and_saveexec_b64 s[8:9], s[12:13]
; %bb.2882:
	s_mov_b32 s10, 0x7f800001
	s_xor_b64 s[4:5], exec, -1
; %bb.2883:
	s_or_b64 exec, exec, s[8:9]
	s_and_b64 s[4:5], s[4:5], exec
	s_or_saveexec_b64 s[6:7], s[6:7]
	v_mov_b32_e32 v10, s10
	s_xor_b64 exec, exec, s[6:7]
	s_cbranch_execz .LBB11_834
.LBB11_2884:
	v_mov_b32_e32 v10, 0
	v_cmp_ne_u16_sdwa s[8:9], v16, v10 src0_sel:BYTE_0 src1_sel:DWORD
	s_andn2_b64 s[4:5], s[4:5], exec
	s_and_b64 s[8:9], s[8:9], exec
	s_or_b64 s[4:5], s[4:5], s[8:9]
	s_or_b64 exec, exec, s[6:7]
	s_and_saveexec_b64 s[6:7], s[4:5]
	s_cbranch_execnz .LBB11_835
	s_branch .LBB11_836
.LBB11_2885:
	s_movk_i32 s4, 0x80
	v_cmp_eq_u16_sdwa s[12:13], v12, s4 src0_sel:BYTE_0 src1_sel:DWORD
	s_mov_b64 s[4:5], -1
                                        ; implicit-def: $sgpr10
	s_and_saveexec_b64 s[8:9], s[12:13]
; %bb.2886:
	s_mov_b32 s10, 0x7f800001
	s_xor_b64 s[4:5], exec, -1
; %bb.2887:
	s_or_b64 exec, exec, s[8:9]
	s_and_b64 s[4:5], s[4:5], exec
	s_or_saveexec_b64 s[6:7], s[6:7]
	v_mov_b32_e32 v11, s10
	s_xor_b64 exec, exec, s[6:7]
	s_cbranch_execz .LBB11_838
.LBB11_2888:
	v_mov_b32_e32 v11, 0
	v_cmp_ne_u16_sdwa s[8:9], v12, v11 src0_sel:BYTE_0 src1_sel:DWORD
	s_andn2_b64 s[4:5], s[4:5], exec
	s_and_b64 s[8:9], s[8:9], exec
	s_or_b64 s[4:5], s[4:5], s[8:9]
	s_or_b64 exec, exec, s[6:7]
	s_and_saveexec_b64 s[6:7], s[4:5]
	s_cbranch_execnz .LBB11_839
	s_branch .LBB11_840
.LBB11_2889:
	s_movk_i32 s4, 0x80
	v_cmp_eq_u16_sdwa s[12:13], v11, s4 src0_sel:BYTE_0 src1_sel:DWORD
	s_mov_b64 s[4:5], -1
                                        ; implicit-def: $sgpr10
	s_and_saveexec_b64 s[8:9], s[12:13]
; %bb.2890:
	s_mov_b32 s10, 0x7f800001
	s_xor_b64 s[4:5], exec, -1
; %bb.2891:
	s_or_b64 exec, exec, s[8:9]
	s_and_b64 s[4:5], s[4:5], exec
	s_or_saveexec_b64 s[6:7], s[6:7]
	v_mov_b32_e32 v10, s10
	s_xor_b64 exec, exec, s[6:7]
	s_cbranch_execz .LBB11_842
.LBB11_2892:
	v_mov_b32_e32 v10, 0
	v_cmp_ne_u16_sdwa s[8:9], v11, v10 src0_sel:BYTE_0 src1_sel:DWORD
	s_andn2_b64 s[4:5], s[4:5], exec
	s_and_b64 s[8:9], s[8:9], exec
	s_or_b64 s[4:5], s[4:5], s[8:9]
	s_or_b64 exec, exec, s[6:7]
	s_and_saveexec_b64 s[6:7], s[4:5]
	s_cbranch_execnz .LBB11_843
	s_branch .LBB11_844
.LBB11_2893:
	s_movk_i32 s4, 0x80
	v_cmp_eq_u16_sdwa s[12:13], v11, s4 src0_sel:BYTE_0 src1_sel:DWORD
	s_mov_b64 s[4:5], -1
                                        ; implicit-def: $sgpr10
	s_and_saveexec_b64 s[8:9], s[12:13]
; %bb.2894:
	s_mov_b32 s10, 0x7f800001
	s_xor_b64 s[4:5], exec, -1
; %bb.2895:
	s_or_b64 exec, exec, s[8:9]
	s_and_b64 s[4:5], s[4:5], exec
	s_or_saveexec_b64 s[6:7], s[6:7]
	v_mov_b32_e32 v14, s10
	s_xor_b64 exec, exec, s[6:7]
	s_cbranch_execz .LBB11_846
.LBB11_2896:
	v_mov_b32_e32 v14, 0
	v_cmp_ne_u16_sdwa s[8:9], v11, v14 src0_sel:BYTE_0 src1_sel:DWORD
	s_andn2_b64 s[4:5], s[4:5], exec
	s_and_b64 s[8:9], s[8:9], exec
	s_or_b64 s[4:5], s[4:5], s[8:9]
	s_or_b64 exec, exec, s[6:7]
	s_and_saveexec_b64 s[6:7], s[4:5]
	s_cbranch_execnz .LBB11_847
	s_branch .LBB11_848
.LBB11_2897:
	s_movk_i32 s4, 0x80
	v_cmp_eq_u16_e32 vcc, s4, v11
	s_mov_b64 s[4:5], -1
                                        ; implicit-def: $sgpr10
	s_and_saveexec_b64 s[8:9], vcc
; %bb.2898:
	s_mov_b32 s10, 0x7f800001
	s_xor_b64 s[4:5], exec, -1
; %bb.2899:
	s_or_b64 exec, exec, s[8:9]
	s_and_b64 s[4:5], s[4:5], exec
                                        ; implicit-def: $vgpr11
	s_or_saveexec_b64 s[6:7], s[6:7]
	v_mov_b32_e32 v10, s10
	s_xor_b64 exec, exec, s[6:7]
	s_cbranch_execz .LBB11_850
.LBB11_2900:
	v_cmp_ne_u16_e32 vcc, 0, v11
	s_andn2_b64 s[4:5], s[4:5], exec
	s_and_b64 s[8:9], vcc, exec
	v_mov_b32_e32 v10, 0
	s_or_b64 s[4:5], s[4:5], s[8:9]
	s_or_b64 exec, exec, s[6:7]
	s_and_saveexec_b64 s[6:7], s[4:5]
	s_cbranch_execnz .LBB11_851
	s_branch .LBB11_852
.LBB11_2901:
	s_movk_i32 s4, 0x80
	v_cmp_eq_u16_e32 vcc, s4, v11
	s_mov_b64 s[4:5], -1
                                        ; implicit-def: $sgpr10
	s_and_saveexec_b64 s[8:9], vcc
; %bb.2902:
	s_mov_b32 s10, 0x7f800001
	s_xor_b64 s[4:5], exec, -1
; %bb.2903:
	s_or_b64 exec, exec, s[8:9]
	s_and_b64 s[4:5], s[4:5], exec
                                        ; implicit-def: $vgpr11
	s_or_saveexec_b64 s[6:7], s[6:7]
	v_mov_b32_e32 v14, s10
	s_xor_b64 exec, exec, s[6:7]
	s_cbranch_execz .LBB11_854
.LBB11_2904:
	v_cmp_ne_u16_e32 vcc, 0, v11
	s_andn2_b64 s[4:5], s[4:5], exec
	s_and_b64 s[8:9], vcc, exec
	v_mov_b32_e32 v14, 0
	s_or_b64 s[4:5], s[4:5], s[8:9]
	s_or_b64 exec, exec, s[6:7]
	s_and_saveexec_b64 s[6:7], s[4:5]
	s_cbranch_execnz .LBB11_855
	s_branch .LBB11_856
.LBB11_2905:
	s_movk_i32 s4, 0x80
	v_cmp_eq_u16_sdwa s[12:13], v16, s4 src0_sel:BYTE_3 src1_sel:DWORD
	s_mov_b64 s[4:5], -1
                                        ; implicit-def: $sgpr10
	s_and_saveexec_b64 s[8:9], s[12:13]
; %bb.2906:
	s_mov_b32 s10, 0x7f800001
	s_xor_b64 s[4:5], exec, -1
; %bb.2907:
	s_or_b64 exec, exec, s[8:9]
	s_and_b64 s[4:5], s[4:5], exec
	s_or_saveexec_b64 s[6:7], s[6:7]
	v_mov_b32_e32 v10, s10
	s_xor_b64 exec, exec, s[6:7]
	s_cbranch_execz .LBB11_858
.LBB11_2908:
	v_mov_b32_e32 v10, 0
	v_cmp_ne_u16_sdwa s[8:9], v16, v10 src0_sel:BYTE_3 src1_sel:DWORD
	s_andn2_b64 s[4:5], s[4:5], exec
	s_and_b64 s[8:9], s[8:9], exec
	s_or_b64 s[4:5], s[4:5], s[8:9]
	s_or_b64 exec, exec, s[6:7]
	s_and_saveexec_b64 s[6:7], s[4:5]
	s_cbranch_execnz .LBB11_859
	s_branch .LBB11_860
.LBB11_2909:
	s_movk_i32 s4, 0x80
	v_cmp_eq_u16_sdwa s[12:13], v12, s4 src0_sel:BYTE_3 src1_sel:DWORD
	s_mov_b64 s[4:5], -1
                                        ; implicit-def: $sgpr10
	s_and_saveexec_b64 s[8:9], s[12:13]
; %bb.2910:
	s_mov_b32 s10, 0x7f800001
	s_xor_b64 s[4:5], exec, -1
; %bb.2911:
	s_or_b64 exec, exec, s[8:9]
	s_and_b64 s[4:5], s[4:5], exec
	s_or_saveexec_b64 s[6:7], s[6:7]
	v_mov_b32_e32 v11, s10
	s_xor_b64 exec, exec, s[6:7]
	s_cbranch_execz .LBB11_862
.LBB11_2912:
	v_mov_b32_e32 v11, 0
	v_cmp_ne_u16_sdwa s[8:9], v12, v11 src0_sel:BYTE_3 src1_sel:DWORD
	s_andn2_b64 s[4:5], s[4:5], exec
	s_and_b64 s[8:9], s[8:9], exec
	s_or_b64 s[4:5], s[4:5], s[8:9]
	s_or_b64 exec, exec, s[6:7]
	s_and_saveexec_b64 s[6:7], s[4:5]
	s_cbranch_execnz .LBB11_863
	s_branch .LBB11_864
.LBB11_2913:
	s_movk_i32 s4, 0x80
	v_cmp_eq_u16_sdwa s[12:13], v17, s4 src0_sel:BYTE_0 src1_sel:DWORD
	s_mov_b64 s[4:5], -1
                                        ; implicit-def: $sgpr10
	s_and_saveexec_b64 s[8:9], s[12:13]
; %bb.2914:
	s_mov_b32 s10, 0x7f800001
	s_xor_b64 s[4:5], exec, -1
; %bb.2915:
	s_or_b64 exec, exec, s[8:9]
	s_and_b64 s[4:5], s[4:5], exec
	s_or_saveexec_b64 s[6:7], s[6:7]
	v_mov_b32_e32 v10, s10
	s_xor_b64 exec, exec, s[6:7]
	s_cbranch_execz .LBB11_866
.LBB11_2916:
	v_mov_b32_e32 v10, 0
	v_cmp_ne_u16_sdwa s[8:9], v17, v10 src0_sel:BYTE_0 src1_sel:DWORD
	s_andn2_b64 s[4:5], s[4:5], exec
	s_and_b64 s[8:9], s[8:9], exec
	s_or_b64 s[4:5], s[4:5], s[8:9]
	s_or_b64 exec, exec, s[6:7]
	s_and_saveexec_b64 s[6:7], s[4:5]
	s_cbranch_execnz .LBB11_867
	s_branch .LBB11_868
.LBB11_2917:
	s_movk_i32 s4, 0x80
	v_cmp_eq_u16_sdwa s[12:13], v13, s4 src0_sel:BYTE_0 src1_sel:DWORD
	s_mov_b64 s[4:5], -1
                                        ; implicit-def: $sgpr10
	s_and_saveexec_b64 s[8:9], s[12:13]
; %bb.2918:
	s_mov_b32 s10, 0x7f800001
	s_xor_b64 s[4:5], exec, -1
; %bb.2919:
	s_or_b64 exec, exec, s[8:9]
	s_and_b64 s[4:5], s[4:5], exec
	s_or_saveexec_b64 s[6:7], s[6:7]
	v_mov_b32_e32 v11, s10
	s_xor_b64 exec, exec, s[6:7]
	s_cbranch_execz .LBB11_870
.LBB11_2920:
	v_mov_b32_e32 v11, 0
	v_cmp_ne_u16_sdwa s[8:9], v13, v11 src0_sel:BYTE_0 src1_sel:DWORD
	s_andn2_b64 s[4:5], s[4:5], exec
	s_and_b64 s[8:9], s[8:9], exec
	s_or_b64 s[4:5], s[4:5], s[8:9]
	s_or_b64 exec, exec, s[6:7]
	s_and_saveexec_b64 s[6:7], s[4:5]
	s_cbranch_execnz .LBB11_871
	s_branch .LBB11_872
.LBB11_2921:
	s_movk_i32 s4, 0x80
	v_cmp_eq_u16_sdwa s[12:13], v11, s4 src0_sel:BYTE_0 src1_sel:DWORD
	s_mov_b64 s[4:5], -1
                                        ; implicit-def: $sgpr10
	s_and_saveexec_b64 s[8:9], s[12:13]
; %bb.2922:
	s_mov_b32 s10, 0x7f800001
	s_xor_b64 s[4:5], exec, -1
; %bb.2923:
	s_or_b64 exec, exec, s[8:9]
	s_and_b64 s[4:5], s[4:5], exec
	s_or_saveexec_b64 s[6:7], s[6:7]
	v_mov_b32_e32 v10, s10
	s_xor_b64 exec, exec, s[6:7]
	s_cbranch_execz .LBB11_874
.LBB11_2924:
	v_mov_b32_e32 v10, 0
	v_cmp_ne_u16_sdwa s[8:9], v11, v10 src0_sel:BYTE_0 src1_sel:DWORD
	s_andn2_b64 s[4:5], s[4:5], exec
	s_and_b64 s[8:9], s[8:9], exec
	s_or_b64 s[4:5], s[4:5], s[8:9]
	s_or_b64 exec, exec, s[6:7]
	s_and_saveexec_b64 s[6:7], s[4:5]
	s_cbranch_execnz .LBB11_875
	s_branch .LBB11_876
.LBB11_2925:
	s_movk_i32 s4, 0x80
	v_cmp_eq_u16_sdwa s[12:13], v11, s4 src0_sel:BYTE_0 src1_sel:DWORD
	s_mov_b64 s[4:5], -1
                                        ; implicit-def: $sgpr10
	s_and_saveexec_b64 s[8:9], s[12:13]
; %bb.2926:
	s_mov_b32 s10, 0x7f800001
	s_xor_b64 s[4:5], exec, -1
; %bb.2927:
	s_or_b64 exec, exec, s[8:9]
	s_and_b64 s[4:5], s[4:5], exec
	s_or_saveexec_b64 s[6:7], s[6:7]
	v_mov_b32_e32 v12, s10
	s_xor_b64 exec, exec, s[6:7]
	s_cbranch_execz .LBB11_878
.LBB11_2928:
	v_mov_b32_e32 v12, 0
	v_cmp_ne_u16_sdwa s[8:9], v11, v12 src0_sel:BYTE_0 src1_sel:DWORD
	s_andn2_b64 s[4:5], s[4:5], exec
	s_and_b64 s[8:9], s[8:9], exec
	s_or_b64 s[4:5], s[4:5], s[8:9]
	s_or_b64 exec, exec, s[6:7]
	s_and_saveexec_b64 s[6:7], s[4:5]
	s_cbranch_execnz .LBB11_879
	s_branch .LBB11_880
.LBB11_2929:
	s_movk_i32 s4, 0x80
	v_cmp_eq_u16_e32 vcc, s4, v11
	s_mov_b64 s[4:5], -1
                                        ; implicit-def: $sgpr10
	s_and_saveexec_b64 s[8:9], vcc
; %bb.2930:
	s_mov_b32 s10, 0x7f800001
	s_xor_b64 s[4:5], exec, -1
; %bb.2931:
	s_or_b64 exec, exec, s[8:9]
	s_and_b64 s[4:5], s[4:5], exec
                                        ; implicit-def: $vgpr11
	s_or_saveexec_b64 s[6:7], s[6:7]
	v_mov_b32_e32 v10, s10
	s_xor_b64 exec, exec, s[6:7]
	s_cbranch_execz .LBB11_882
.LBB11_2932:
	v_cmp_ne_u16_e32 vcc, 0, v11
	s_andn2_b64 s[4:5], s[4:5], exec
	s_and_b64 s[8:9], vcc, exec
	v_mov_b32_e32 v10, 0
	s_or_b64 s[4:5], s[4:5], s[8:9]
	s_or_b64 exec, exec, s[6:7]
	s_and_saveexec_b64 s[6:7], s[4:5]
	s_cbranch_execnz .LBB11_883
	s_branch .LBB11_884
.LBB11_2933:
	s_movk_i32 s4, 0x80
	v_cmp_eq_u16_e32 vcc, s4, v11
	s_mov_b64 s[4:5], -1
                                        ; implicit-def: $sgpr10
	s_and_saveexec_b64 s[8:9], vcc
; %bb.2934:
	s_mov_b32 s10, 0x7f800001
	s_xor_b64 s[4:5], exec, -1
; %bb.2935:
	s_or_b64 exec, exec, s[8:9]
	s_and_b64 s[4:5], s[4:5], exec
                                        ; implicit-def: $vgpr11
	s_or_saveexec_b64 s[6:7], s[6:7]
	v_mov_b32_e32 v12, s10
	s_xor_b64 exec, exec, s[6:7]
	s_cbranch_execz .LBB11_886
.LBB11_2936:
	v_cmp_ne_u16_e32 vcc, 0, v11
	s_andn2_b64 s[4:5], s[4:5], exec
	s_and_b64 s[8:9], vcc, exec
	v_mov_b32_e32 v12, 0
	s_or_b64 s[4:5], s[4:5], s[8:9]
	s_or_b64 exec, exec, s[6:7]
	s_and_saveexec_b64 s[6:7], s[4:5]
	s_cbranch_execnz .LBB11_887
	s_branch .LBB11_888
.LBB11_2937:
	s_movk_i32 s4, 0x80
	v_cmp_eq_u16_sdwa s[12:13], v17, s4 src0_sel:BYTE_3 src1_sel:DWORD
	s_mov_b64 s[4:5], -1
                                        ; implicit-def: $sgpr10
	s_and_saveexec_b64 s[8:9], s[12:13]
; %bb.2938:
	s_mov_b32 s10, 0x7f800001
	s_xor_b64 s[4:5], exec, -1
; %bb.2939:
	s_or_b64 exec, exec, s[8:9]
	s_and_b64 s[4:5], s[4:5], exec
	s_or_saveexec_b64 s[6:7], s[6:7]
	v_mov_b32_e32 v10, s10
	s_xor_b64 exec, exec, s[6:7]
	s_cbranch_execz .LBB11_890
.LBB11_2940:
	v_mov_b32_e32 v10, 0
	v_cmp_ne_u16_sdwa s[8:9], v17, v10 src0_sel:BYTE_3 src1_sel:DWORD
	s_andn2_b64 s[4:5], s[4:5], exec
	s_and_b64 s[8:9], s[8:9], exec
	s_or_b64 s[4:5], s[4:5], s[8:9]
	s_or_b64 exec, exec, s[6:7]
	s_and_saveexec_b64 s[6:7], s[4:5]
	s_cbranch_execnz .LBB11_891
	s_branch .LBB11_892
.LBB11_2941:
	s_movk_i32 s4, 0x80
	v_cmp_eq_u16_sdwa s[12:13], v13, s4 src0_sel:BYTE_3 src1_sel:DWORD
	s_mov_b64 s[4:5], -1
                                        ; implicit-def: $sgpr10
	s_and_saveexec_b64 s[8:9], s[12:13]
; %bb.2942:
	s_mov_b32 s10, 0x7f800001
	s_xor_b64 s[4:5], exec, -1
; %bb.2943:
	s_or_b64 exec, exec, s[8:9]
	s_and_b64 s[4:5], s[4:5], exec
	s_or_saveexec_b64 s[6:7], s[6:7]
	v_mov_b32_e32 v11, s10
	s_xor_b64 exec, exec, s[6:7]
	s_cbranch_execz .LBB11_894
.LBB11_2944:
	v_mov_b32_e32 v11, 0
	v_cmp_ne_u16_sdwa s[8:9], v13, v11 src0_sel:BYTE_3 src1_sel:DWORD
	s_andn2_b64 s[4:5], s[4:5], exec
	s_and_b64 s[8:9], s[8:9], exec
	s_or_b64 s[4:5], s[4:5], s[8:9]
	s_or_b64 exec, exec, s[6:7]
	s_and_saveexec_b64 s[6:7], s[4:5]
	s_cbranch_execnz .LBB11_895
	s_branch .LBB11_896
.LBB11_2945:
	s_movk_i32 s4, 0x80
	v_cmp_eq_u16_sdwa s[12:13], v6, s4 src0_sel:BYTE_0 src1_sel:DWORD
	s_mov_b64 s[4:5], -1
                                        ; implicit-def: $sgpr10
	s_and_saveexec_b64 s[8:9], s[12:13]
; %bb.2946:
	s_mov_b32 s10, 0x7f800001
	s_xor_b64 s[4:5], exec, -1
; %bb.2947:
	s_or_b64 exec, exec, s[8:9]
	s_and_b64 s[4:5], s[4:5], exec
	s_or_saveexec_b64 s[6:7], s[6:7]
	v_mov_b32_e32 v10, s10
	s_xor_b64 exec, exec, s[6:7]
	s_cbranch_execz .LBB11_898
.LBB11_2948:
	v_mov_b32_e32 v10, 0
	v_cmp_ne_u16_sdwa s[8:9], v6, v10 src0_sel:BYTE_0 src1_sel:DWORD
	s_andn2_b64 s[4:5], s[4:5], exec
	s_and_b64 s[8:9], s[8:9], exec
	s_or_b64 s[4:5], s[4:5], s[8:9]
	s_or_b64 exec, exec, s[6:7]
	s_and_saveexec_b64 s[6:7], s[4:5]
	s_cbranch_execnz .LBB11_899
	s_branch .LBB11_900
.LBB11_2949:
	s_movk_i32 s4, 0x80
	v_cmp_eq_u16_sdwa s[12:13], v2, s4 src0_sel:BYTE_0 src1_sel:DWORD
	s_mov_b64 s[4:5], -1
                                        ; implicit-def: $sgpr10
	s_and_saveexec_b64 s[8:9], s[12:13]
; %bb.2950:
	s_mov_b32 s10, 0x7f800001
	s_xor_b64 s[4:5], exec, -1
; %bb.2951:
	s_or_b64 exec, exec, s[8:9]
	s_and_b64 s[4:5], s[4:5], exec
	s_or_saveexec_b64 s[6:7], s[6:7]
	v_mov_b32_e32 v11, s10
	s_xor_b64 exec, exec, s[6:7]
	s_cbranch_execz .LBB11_902
.LBB11_2952:
	v_mov_b32_e32 v11, 0
	v_cmp_ne_u16_sdwa s[8:9], v2, v11 src0_sel:BYTE_0 src1_sel:DWORD
	s_andn2_b64 s[4:5], s[4:5], exec
	s_and_b64 s[8:9], s[8:9], exec
	s_or_b64 s[4:5], s[4:5], s[8:9]
	s_or_b64 exec, exec, s[6:7]
	s_and_saveexec_b64 s[6:7], s[4:5]
	s_cbranch_execnz .LBB11_903
	s_branch .LBB11_904
.LBB11_2953:
	s_movk_i32 s4, 0x80
	v_cmp_eq_u16_sdwa s[12:13], v11, s4 src0_sel:BYTE_0 src1_sel:DWORD
	s_mov_b64 s[4:5], -1
                                        ; implicit-def: $sgpr10
	s_and_saveexec_b64 s[8:9], s[12:13]
; %bb.2954:
	s_mov_b32 s10, 0x7f800001
	s_xor_b64 s[4:5], exec, -1
; %bb.2955:
	s_or_b64 exec, exec, s[8:9]
	s_and_b64 s[4:5], s[4:5], exec
	s_or_saveexec_b64 s[6:7], s[6:7]
	v_mov_b32_e32 v10, s10
	s_xor_b64 exec, exec, s[6:7]
	s_cbranch_execz .LBB11_906
.LBB11_2956:
	v_mov_b32_e32 v10, 0
	v_cmp_ne_u16_sdwa s[8:9], v11, v10 src0_sel:BYTE_0 src1_sel:DWORD
	s_andn2_b64 s[4:5], s[4:5], exec
	s_and_b64 s[8:9], s[8:9], exec
	s_or_b64 s[4:5], s[4:5], s[8:9]
	s_or_b64 exec, exec, s[6:7]
	s_and_saveexec_b64 s[6:7], s[4:5]
	s_cbranch_execnz .LBB11_907
	s_branch .LBB11_908
.LBB11_2957:
	s_movk_i32 s4, 0x80
	v_cmp_eq_u16_sdwa s[12:13], v11, s4 src0_sel:BYTE_0 src1_sel:DWORD
	s_mov_b64 s[4:5], -1
                                        ; implicit-def: $sgpr10
	s_and_saveexec_b64 s[8:9], s[12:13]
; %bb.2958:
	s_mov_b32 s10, 0x7f800001
	s_xor_b64 s[4:5], exec, -1
; %bb.2959:
	s_or_b64 exec, exec, s[8:9]
	s_and_b64 s[4:5], s[4:5], exec
	s_or_saveexec_b64 s[6:7], s[6:7]
	v_mov_b32_e32 v12, s10
	s_xor_b64 exec, exec, s[6:7]
	s_cbranch_execz .LBB11_910
.LBB11_2960:
	v_mov_b32_e32 v12, 0
	v_cmp_ne_u16_sdwa s[8:9], v11, v12 src0_sel:BYTE_0 src1_sel:DWORD
	s_andn2_b64 s[4:5], s[4:5], exec
	s_and_b64 s[8:9], s[8:9], exec
	s_or_b64 s[4:5], s[4:5], s[8:9]
	s_or_b64 exec, exec, s[6:7]
	s_and_saveexec_b64 s[6:7], s[4:5]
	s_cbranch_execnz .LBB11_911
	s_branch .LBB11_912
.LBB11_2961:
	s_movk_i32 s4, 0x80
	v_cmp_eq_u16_e32 vcc, s4, v11
	s_mov_b64 s[4:5], -1
                                        ; implicit-def: $sgpr10
	s_and_saveexec_b64 s[8:9], vcc
; %bb.2962:
	s_mov_b32 s10, 0x7f800001
	s_xor_b64 s[4:5], exec, -1
; %bb.2963:
	s_or_b64 exec, exec, s[8:9]
	s_and_b64 s[4:5], s[4:5], exec
                                        ; implicit-def: $vgpr11
	s_or_saveexec_b64 s[6:7], s[6:7]
	v_mov_b32_e32 v10, s10
	s_xor_b64 exec, exec, s[6:7]
	s_cbranch_execz .LBB11_914
.LBB11_2964:
	v_cmp_ne_u16_e32 vcc, 0, v11
	s_andn2_b64 s[4:5], s[4:5], exec
	s_and_b64 s[8:9], vcc, exec
	v_mov_b32_e32 v10, 0
	s_or_b64 s[4:5], s[4:5], s[8:9]
	s_or_b64 exec, exec, s[6:7]
	s_and_saveexec_b64 s[6:7], s[4:5]
	s_cbranch_execnz .LBB11_915
	s_branch .LBB11_916
.LBB11_2965:
	s_movk_i32 s4, 0x80
	v_cmp_eq_u16_e32 vcc, s4, v11
	s_mov_b64 s[4:5], -1
                                        ; implicit-def: $sgpr10
	s_and_saveexec_b64 s[8:9], vcc
; %bb.2966:
	s_mov_b32 s10, 0x7f800001
	s_xor_b64 s[4:5], exec, -1
; %bb.2967:
	s_or_b64 exec, exec, s[8:9]
	s_and_b64 s[4:5], s[4:5], exec
                                        ; implicit-def: $vgpr11
	s_or_saveexec_b64 s[6:7], s[6:7]
	v_mov_b32_e32 v12, s10
	s_xor_b64 exec, exec, s[6:7]
	s_cbranch_execz .LBB11_918
.LBB11_2968:
	v_cmp_ne_u16_e32 vcc, 0, v11
	s_andn2_b64 s[4:5], s[4:5], exec
	s_and_b64 s[8:9], vcc, exec
	v_mov_b32_e32 v12, 0
	s_or_b64 s[4:5], s[4:5], s[8:9]
	s_or_b64 exec, exec, s[6:7]
	s_and_saveexec_b64 s[6:7], s[4:5]
	s_cbranch_execnz .LBB11_919
	s_branch .LBB11_920
.LBB11_2969:
	s_movk_i32 s4, 0x80
	v_cmp_eq_u16_sdwa s[12:13], v6, s4 src0_sel:BYTE_3 src1_sel:DWORD
	s_mov_b64 s[4:5], -1
                                        ; implicit-def: $sgpr10
	s_and_saveexec_b64 s[8:9], s[12:13]
; %bb.2970:
	s_mov_b32 s10, 0x7f800001
	s_xor_b64 s[4:5], exec, -1
; %bb.2971:
	s_or_b64 exec, exec, s[8:9]
	s_and_b64 s[4:5], s[4:5], exec
	s_or_saveexec_b64 s[6:7], s[6:7]
	v_mov_b32_e32 v10, s10
	s_xor_b64 exec, exec, s[6:7]
	s_cbranch_execz .LBB11_922
.LBB11_2972:
	v_mov_b32_e32 v10, 0
	v_cmp_ne_u16_sdwa s[8:9], v6, v10 src0_sel:BYTE_3 src1_sel:DWORD
	s_andn2_b64 s[4:5], s[4:5], exec
	s_and_b64 s[8:9], s[8:9], exec
	s_or_b64 s[4:5], s[4:5], s[8:9]
	s_or_b64 exec, exec, s[6:7]
	s_and_saveexec_b64 s[6:7], s[4:5]
	s_cbranch_execnz .LBB11_923
	s_branch .LBB11_924
.LBB11_2973:
	s_movk_i32 s4, 0x80
	v_cmp_eq_u16_sdwa s[12:13], v2, s4 src0_sel:BYTE_3 src1_sel:DWORD
	s_mov_b64 s[4:5], -1
                                        ; implicit-def: $sgpr10
	s_and_saveexec_b64 s[8:9], s[12:13]
; %bb.2974:
	s_mov_b32 s10, 0x7f800001
	s_xor_b64 s[4:5], exec, -1
; %bb.2975:
	s_or_b64 exec, exec, s[8:9]
	s_and_b64 s[4:5], s[4:5], exec
	s_or_saveexec_b64 s[6:7], s[6:7]
	v_mov_b32_e32 v6, s10
	s_xor_b64 exec, exec, s[6:7]
	s_cbranch_execz .LBB11_926
.LBB11_2976:
	v_mov_b32_e32 v6, 0
	v_cmp_ne_u16_sdwa s[8:9], v2, v6 src0_sel:BYTE_3 src1_sel:DWORD
	s_andn2_b64 s[4:5], s[4:5], exec
	s_and_b64 s[8:9], s[8:9], exec
	s_or_b64 s[4:5], s[4:5], s[8:9]
	s_or_b64 exec, exec, s[6:7]
	s_and_saveexec_b64 s[6:7], s[4:5]
	s_cbranch_execnz .LBB11_927
	s_branch .LBB11_928
.LBB11_2977:
	s_movk_i32 s4, 0x80
	v_cmp_eq_u16_sdwa s[12:13], v7, s4 src0_sel:BYTE_0 src1_sel:DWORD
	s_mov_b64 s[4:5], -1
                                        ; implicit-def: $sgpr10
	s_and_saveexec_b64 s[8:9], s[12:13]
; %bb.2978:
	s_mov_b32 s10, 0x7f800001
	s_xor_b64 s[4:5], exec, -1
; %bb.2979:
	s_or_b64 exec, exec, s[8:9]
	s_and_b64 s[4:5], s[4:5], exec
	s_or_saveexec_b64 s[6:7], s[6:7]
	v_mov_b32_e32 v2, s10
	s_xor_b64 exec, exec, s[6:7]
	s_cbranch_execz .LBB11_930
.LBB11_2980:
	v_mov_b32_e32 v2, 0
	v_cmp_ne_u16_sdwa s[8:9], v7, v2 src0_sel:BYTE_0 src1_sel:DWORD
	s_andn2_b64 s[4:5], s[4:5], exec
	s_and_b64 s[8:9], s[8:9], exec
	s_or_b64 s[4:5], s[4:5], s[8:9]
	s_or_b64 exec, exec, s[6:7]
	s_and_saveexec_b64 s[6:7], s[4:5]
	s_cbranch_execnz .LBB11_931
	s_branch .LBB11_932
.LBB11_2981:
	s_movk_i32 s4, 0x80
	v_cmp_eq_u16_sdwa s[12:13], v3, s4 src0_sel:BYTE_0 src1_sel:DWORD
	s_mov_b64 s[4:5], -1
                                        ; implicit-def: $sgpr10
	s_and_saveexec_b64 s[8:9], s[12:13]
; %bb.2982:
	s_mov_b32 s10, 0x7f800001
	s_xor_b64 s[4:5], exec, -1
; %bb.2983:
	s_or_b64 exec, exec, s[8:9]
	s_and_b64 s[4:5], s[4:5], exec
	s_or_saveexec_b64 s[6:7], s[6:7]
	v_mov_b32_e32 v6, s10
	s_xor_b64 exec, exec, s[6:7]
	s_cbranch_execz .LBB11_934
.LBB11_2984:
	v_mov_b32_e32 v6, 0
	v_cmp_ne_u16_sdwa s[8:9], v3, v6 src0_sel:BYTE_0 src1_sel:DWORD
	s_andn2_b64 s[4:5], s[4:5], exec
	s_and_b64 s[8:9], s[8:9], exec
	s_or_b64 s[4:5], s[4:5], s[8:9]
	s_or_b64 exec, exec, s[6:7]
	s_and_saveexec_b64 s[6:7], s[4:5]
	s_cbranch_execnz .LBB11_935
	s_branch .LBB11_936
.LBB11_2985:
	s_movk_i32 s4, 0x80
	v_cmp_eq_u16_sdwa s[12:13], v6, s4 src0_sel:BYTE_0 src1_sel:DWORD
	s_mov_b64 s[4:5], -1
                                        ; implicit-def: $sgpr10
	s_and_saveexec_b64 s[8:9], s[12:13]
; %bb.2986:
	s_mov_b32 s10, 0x7f800001
	s_xor_b64 s[4:5], exec, -1
; %bb.2987:
	s_or_b64 exec, exec, s[8:9]
	s_and_b64 s[4:5], s[4:5], exec
	s_or_saveexec_b64 s[6:7], s[6:7]
	v_mov_b32_e32 v2, s10
	s_xor_b64 exec, exec, s[6:7]
	s_cbranch_execz .LBB11_938
.LBB11_2988:
	v_mov_b32_e32 v2, 0
	v_cmp_ne_u16_sdwa s[8:9], v6, v2 src0_sel:BYTE_0 src1_sel:DWORD
	s_andn2_b64 s[4:5], s[4:5], exec
	s_and_b64 s[8:9], s[8:9], exec
	s_or_b64 s[4:5], s[4:5], s[8:9]
	s_or_b64 exec, exec, s[6:7]
	s_and_saveexec_b64 s[6:7], s[4:5]
	s_cbranch_execnz .LBB11_939
	s_branch .LBB11_940
.LBB11_2989:
	s_movk_i32 s4, 0x80
	v_cmp_eq_u16_sdwa s[12:13], v6, s4 src0_sel:BYTE_0 src1_sel:DWORD
	s_mov_b64 s[4:5], -1
                                        ; implicit-def: $sgpr10
	s_and_saveexec_b64 s[8:9], s[12:13]
; %bb.2990:
	s_mov_b32 s10, 0x7f800001
	s_xor_b64 s[4:5], exec, -1
; %bb.2991:
	s_or_b64 exec, exec, s[8:9]
	s_and_b64 s[4:5], s[4:5], exec
	s_or_saveexec_b64 s[6:7], s[6:7]
	v_mov_b32_e32 v10, s10
	s_xor_b64 exec, exec, s[6:7]
	s_cbranch_execz .LBB11_942
.LBB11_2992:
	v_mov_b32_e32 v10, 0
	v_cmp_ne_u16_sdwa s[8:9], v6, v10 src0_sel:BYTE_0 src1_sel:DWORD
	s_andn2_b64 s[4:5], s[4:5], exec
	s_and_b64 s[8:9], s[8:9], exec
	s_or_b64 s[4:5], s[4:5], s[8:9]
	s_or_b64 exec, exec, s[6:7]
	s_and_saveexec_b64 s[6:7], s[4:5]
	s_cbranch_execnz .LBB11_943
	s_branch .LBB11_944
.LBB11_2993:
	s_movk_i32 s4, 0x80
	v_cmp_eq_u16_e32 vcc, s4, v6
	s_mov_b64 s[4:5], -1
                                        ; implicit-def: $sgpr10
	s_and_saveexec_b64 s[8:9], vcc
; %bb.2994:
	s_mov_b32 s10, 0x7f800001
	s_xor_b64 s[4:5], exec, -1
; %bb.2995:
	s_or_b64 exec, exec, s[8:9]
	s_and_b64 s[4:5], s[4:5], exec
                                        ; implicit-def: $vgpr6
	s_or_saveexec_b64 s[6:7], s[6:7]
	v_mov_b32_e32 v2, s10
	s_xor_b64 exec, exec, s[6:7]
	s_cbranch_execz .LBB11_946
.LBB11_2996:
	v_cmp_ne_u16_e32 vcc, 0, v6
	s_andn2_b64 s[4:5], s[4:5], exec
	s_and_b64 s[8:9], vcc, exec
	v_mov_b32_e32 v2, 0
	s_or_b64 s[4:5], s[4:5], s[8:9]
	s_or_b64 exec, exec, s[6:7]
	s_and_saveexec_b64 s[6:7], s[4:5]
	s_cbranch_execnz .LBB11_947
	s_branch .LBB11_948
.LBB11_2997:
	s_movk_i32 s4, 0x80
	v_cmp_eq_u16_e32 vcc, s4, v6
	s_mov_b64 s[4:5], -1
                                        ; implicit-def: $sgpr10
	s_and_saveexec_b64 s[8:9], vcc
; %bb.2998:
	s_mov_b32 s10, 0x7f800001
	s_xor_b64 s[4:5], exec, -1
; %bb.2999:
	s_or_b64 exec, exec, s[8:9]
	s_and_b64 s[4:5], s[4:5], exec
                                        ; implicit-def: $vgpr6
	s_or_saveexec_b64 s[6:7], s[6:7]
	v_mov_b32_e32 v10, s10
	s_xor_b64 exec, exec, s[6:7]
	s_cbranch_execz .LBB11_950
.LBB11_3000:
	v_cmp_ne_u16_e32 vcc, 0, v6
	s_andn2_b64 s[4:5], s[4:5], exec
	s_and_b64 s[8:9], vcc, exec
	v_mov_b32_e32 v10, 0
	s_or_b64 s[4:5], s[4:5], s[8:9]
	s_or_b64 exec, exec, s[6:7]
	s_and_saveexec_b64 s[6:7], s[4:5]
	s_cbranch_execnz .LBB11_951
	s_branch .LBB11_952
.LBB11_3001:
	s_movk_i32 s4, 0x80
	v_cmp_eq_u16_sdwa s[12:13], v7, s4 src0_sel:BYTE_3 src1_sel:DWORD
	s_mov_b64 s[4:5], -1
                                        ; implicit-def: $sgpr10
	s_and_saveexec_b64 s[8:9], s[12:13]
; %bb.3002:
	s_mov_b32 s10, 0x7f800001
	s_xor_b64 s[4:5], exec, -1
; %bb.3003:
	s_or_b64 exec, exec, s[8:9]
	s_and_b64 s[4:5], s[4:5], exec
	s_or_saveexec_b64 s[6:7], s[6:7]
	v_mov_b32_e32 v2, s10
	s_xor_b64 exec, exec, s[6:7]
	s_cbranch_execz .LBB11_954
.LBB11_3004:
	v_mov_b32_e32 v2, 0
	v_cmp_ne_u16_sdwa s[8:9], v7, v2 src0_sel:BYTE_3 src1_sel:DWORD
	s_andn2_b64 s[4:5], s[4:5], exec
	s_and_b64 s[8:9], s[8:9], exec
	s_or_b64 s[4:5], s[4:5], s[8:9]
	s_or_b64 exec, exec, s[6:7]
	s_and_saveexec_b64 s[6:7], s[4:5]
	s_cbranch_execnz .LBB11_955
	s_branch .LBB11_956
.LBB11_3005:
	s_movk_i32 s4, 0x80
	v_cmp_eq_u16_sdwa s[12:13], v3, s4 src0_sel:BYTE_3 src1_sel:DWORD
	s_mov_b64 s[4:5], -1
                                        ; implicit-def: $sgpr10
	s_and_saveexec_b64 s[8:9], s[12:13]
; %bb.3006:
	s_mov_b32 s10, 0x7f800001
	s_xor_b64 s[4:5], exec, -1
; %bb.3007:
	s_or_b64 exec, exec, s[8:9]
	s_and_b64 s[4:5], s[4:5], exec
	s_or_saveexec_b64 s[6:7], s[6:7]
	v_mov_b32_e32 v6, s10
	s_xor_b64 exec, exec, s[6:7]
	s_cbranch_execz .LBB11_958
.LBB11_3008:
	v_mov_b32_e32 v6, 0
	v_cmp_ne_u16_sdwa s[8:9], v3, v6 src0_sel:BYTE_3 src1_sel:DWORD
	s_andn2_b64 s[4:5], s[4:5], exec
	s_and_b64 s[8:9], s[8:9], exec
	s_or_b64 s[4:5], s[4:5], s[8:9]
	s_or_b64 exec, exec, s[6:7]
	s_and_saveexec_b64 s[6:7], s[4:5]
	s_cbranch_execnz .LBB11_959
	s_branch .LBB11_960
.LBB11_3009:
	s_movk_i32 s4, 0x80
	v_cmp_eq_u16_sdwa s[12:13], v8, s4 src0_sel:BYTE_0 src1_sel:DWORD
	s_mov_b64 s[4:5], -1
                                        ; implicit-def: $sgpr10
	s_and_saveexec_b64 s[8:9], s[12:13]
; %bb.3010:
	s_mov_b32 s10, 0x7f800001
	s_xor_b64 s[4:5], exec, -1
; %bb.3011:
	s_or_b64 exec, exec, s[8:9]
	s_and_b64 s[4:5], s[4:5], exec
	s_or_saveexec_b64 s[6:7], s[6:7]
	v_mov_b32_e32 v2, s10
	s_xor_b64 exec, exec, s[6:7]
	s_cbranch_execz .LBB11_962
.LBB11_3012:
	v_mov_b32_e32 v2, 0
	v_cmp_ne_u16_sdwa s[8:9], v8, v2 src0_sel:BYTE_0 src1_sel:DWORD
	s_andn2_b64 s[4:5], s[4:5], exec
	s_and_b64 s[8:9], s[8:9], exec
	s_or_b64 s[4:5], s[4:5], s[8:9]
	s_or_b64 exec, exec, s[6:7]
	s_and_saveexec_b64 s[6:7], s[4:5]
	s_cbranch_execnz .LBB11_963
	s_branch .LBB11_964
.LBB11_3013:
	s_movk_i32 s4, 0x80
	v_cmp_eq_u16_sdwa s[12:13], v4, s4 src0_sel:BYTE_0 src1_sel:DWORD
	s_mov_b64 s[4:5], -1
                                        ; implicit-def: $sgpr10
	s_and_saveexec_b64 s[8:9], s[12:13]
; %bb.3014:
	s_mov_b32 s10, 0x7f800001
	s_xor_b64 s[4:5], exec, -1
; %bb.3015:
	s_or_b64 exec, exec, s[8:9]
	s_and_b64 s[4:5], s[4:5], exec
	s_or_saveexec_b64 s[6:7], s[6:7]
	v_mov_b32_e32 v3, s10
	s_xor_b64 exec, exec, s[6:7]
	s_cbranch_execz .LBB11_966
.LBB11_3016:
	v_mov_b32_e32 v3, 0
	v_cmp_ne_u16_sdwa s[8:9], v4, v3 src0_sel:BYTE_0 src1_sel:DWORD
	s_andn2_b64 s[4:5], s[4:5], exec
	s_and_b64 s[8:9], s[8:9], exec
	s_or_b64 s[4:5], s[4:5], s[8:9]
	s_or_b64 exec, exec, s[6:7]
	s_and_saveexec_b64 s[6:7], s[4:5]
	s_cbranch_execnz .LBB11_967
	s_branch .LBB11_968
.LBB11_3017:
	s_movk_i32 s4, 0x80
	v_cmp_eq_u16_sdwa s[12:13], v3, s4 src0_sel:BYTE_0 src1_sel:DWORD
	s_mov_b64 s[4:5], -1
                                        ; implicit-def: $sgpr10
	s_and_saveexec_b64 s[8:9], s[12:13]
; %bb.3018:
	s_mov_b32 s10, 0x7f800001
	s_xor_b64 s[4:5], exec, -1
; %bb.3019:
	s_or_b64 exec, exec, s[8:9]
	s_and_b64 s[4:5], s[4:5], exec
	s_or_saveexec_b64 s[6:7], s[6:7]
	v_mov_b32_e32 v2, s10
	s_xor_b64 exec, exec, s[6:7]
	s_cbranch_execz .LBB11_970
.LBB11_3020:
	v_mov_b32_e32 v2, 0
	v_cmp_ne_u16_sdwa s[8:9], v3, v2 src0_sel:BYTE_0 src1_sel:DWORD
	s_andn2_b64 s[4:5], s[4:5], exec
	s_and_b64 s[8:9], s[8:9], exec
	s_or_b64 s[4:5], s[4:5], s[8:9]
	s_or_b64 exec, exec, s[6:7]
	s_and_saveexec_b64 s[6:7], s[4:5]
	s_cbranch_execnz .LBB11_971
	s_branch .LBB11_972
.LBB11_3021:
	s_movk_i32 s4, 0x80
	v_cmp_eq_u16_sdwa s[12:13], v3, s4 src0_sel:BYTE_0 src1_sel:DWORD
	s_mov_b64 s[4:5], -1
                                        ; implicit-def: $sgpr10
	s_and_saveexec_b64 s[8:9], s[12:13]
; %bb.3022:
	s_mov_b32 s10, 0x7f800001
	s_xor_b64 s[4:5], exec, -1
; %bb.3023:
	s_or_b64 exec, exec, s[8:9]
	s_and_b64 s[4:5], s[4:5], exec
	s_or_saveexec_b64 s[6:7], s[6:7]
	v_mov_b32_e32 v6, s10
	s_xor_b64 exec, exec, s[6:7]
	s_cbranch_execz .LBB11_974
.LBB11_3024:
	v_mov_b32_e32 v6, 0
	v_cmp_ne_u16_sdwa s[8:9], v3, v6 src0_sel:BYTE_0 src1_sel:DWORD
	s_andn2_b64 s[4:5], s[4:5], exec
	s_and_b64 s[8:9], s[8:9], exec
	s_or_b64 s[4:5], s[4:5], s[8:9]
	s_or_b64 exec, exec, s[6:7]
	s_and_saveexec_b64 s[6:7], s[4:5]
	s_cbranch_execnz .LBB11_975
	s_branch .LBB11_976
.LBB11_3025:
	s_movk_i32 s4, 0x80
	v_cmp_eq_u16_e32 vcc, s4, v3
	s_mov_b64 s[4:5], -1
                                        ; implicit-def: $sgpr10
	s_and_saveexec_b64 s[8:9], vcc
; %bb.3026:
	s_mov_b32 s10, 0x7f800001
	s_xor_b64 s[4:5], exec, -1
; %bb.3027:
	s_or_b64 exec, exec, s[8:9]
	s_and_b64 s[4:5], s[4:5], exec
                                        ; implicit-def: $vgpr3
	s_or_saveexec_b64 s[6:7], s[6:7]
	v_mov_b32_e32 v2, s10
	s_xor_b64 exec, exec, s[6:7]
	s_cbranch_execz .LBB11_978
.LBB11_3028:
	v_cmp_ne_u16_e32 vcc, 0, v3
	s_andn2_b64 s[4:5], s[4:5], exec
	s_and_b64 s[8:9], vcc, exec
	v_mov_b32_e32 v2, 0
	s_or_b64 s[4:5], s[4:5], s[8:9]
	s_or_b64 exec, exec, s[6:7]
	s_and_saveexec_b64 s[6:7], s[4:5]
	s_cbranch_execnz .LBB11_979
	s_branch .LBB11_980
.LBB11_3029:
	s_movk_i32 s4, 0x80
	v_cmp_eq_u16_e32 vcc, s4, v3
	s_mov_b64 s[4:5], -1
                                        ; implicit-def: $sgpr10
	s_and_saveexec_b64 s[8:9], vcc
; %bb.3030:
	s_mov_b32 s10, 0x7f800001
	s_xor_b64 s[4:5], exec, -1
; %bb.3031:
	s_or_b64 exec, exec, s[8:9]
	s_and_b64 s[4:5], s[4:5], exec
                                        ; implicit-def: $vgpr3
	s_or_saveexec_b64 s[6:7], s[6:7]
	v_mov_b32_e32 v6, s10
	s_xor_b64 exec, exec, s[6:7]
	s_cbranch_execz .LBB11_982
.LBB11_3032:
	v_cmp_ne_u16_e32 vcc, 0, v3
	s_andn2_b64 s[4:5], s[4:5], exec
	s_and_b64 s[8:9], vcc, exec
	v_mov_b32_e32 v6, 0
	s_or_b64 s[4:5], s[4:5], s[8:9]
	s_or_b64 exec, exec, s[6:7]
	s_and_saveexec_b64 s[6:7], s[4:5]
	s_cbranch_execnz .LBB11_983
	s_branch .LBB11_984
.LBB11_3033:
	s_movk_i32 s4, 0x80
	v_cmp_eq_u16_sdwa s[12:13], v8, s4 src0_sel:BYTE_3 src1_sel:DWORD
	s_mov_b64 s[4:5], -1
                                        ; implicit-def: $sgpr10
	s_and_saveexec_b64 s[8:9], s[12:13]
; %bb.3034:
	s_mov_b32 s10, 0x7f800001
	s_xor_b64 s[4:5], exec, -1
; %bb.3035:
	s_or_b64 exec, exec, s[8:9]
	s_and_b64 s[4:5], s[4:5], exec
	s_or_saveexec_b64 s[6:7], s[6:7]
	v_mov_b32_e32 v2, s10
	s_xor_b64 exec, exec, s[6:7]
	s_cbranch_execz .LBB11_986
.LBB11_3036:
	v_mov_b32_e32 v2, 0
	v_cmp_ne_u16_sdwa s[8:9], v8, v2 src0_sel:BYTE_3 src1_sel:DWORD
	s_andn2_b64 s[4:5], s[4:5], exec
	s_and_b64 s[8:9], s[8:9], exec
	s_or_b64 s[4:5], s[4:5], s[8:9]
	s_or_b64 exec, exec, s[6:7]
	s_and_saveexec_b64 s[6:7], s[4:5]
	s_cbranch_execnz .LBB11_987
	s_branch .LBB11_988
.LBB11_3037:
	s_movk_i32 s4, 0x80
	v_cmp_eq_u16_sdwa s[12:13], v4, s4 src0_sel:BYTE_3 src1_sel:DWORD
	s_mov_b64 s[4:5], -1
                                        ; implicit-def: $sgpr10
	s_and_saveexec_b64 s[8:9], s[12:13]
; %bb.3038:
	s_mov_b32 s10, 0x7f800001
	s_xor_b64 s[4:5], exec, -1
; %bb.3039:
	s_or_b64 exec, exec, s[8:9]
	s_and_b64 s[4:5], s[4:5], exec
	s_or_saveexec_b64 s[6:7], s[6:7]
	v_mov_b32_e32 v3, s10
	s_xor_b64 exec, exec, s[6:7]
	s_cbranch_execz .LBB11_990
.LBB11_3040:
	v_mov_b32_e32 v3, 0
	v_cmp_ne_u16_sdwa s[8:9], v4, v3 src0_sel:BYTE_3 src1_sel:DWORD
	s_andn2_b64 s[4:5], s[4:5], exec
	s_and_b64 s[8:9], s[8:9], exec
	s_or_b64 s[4:5], s[4:5], s[8:9]
	s_or_b64 exec, exec, s[6:7]
	s_and_saveexec_b64 s[6:7], s[4:5]
	s_cbranch_execnz .LBB11_991
	s_branch .LBB11_992
.LBB11_3041:
	s_movk_i32 s4, 0x80
	v_cmp_eq_u16_sdwa s[12:13], v9, s4 src0_sel:BYTE_0 src1_sel:DWORD
	s_mov_b64 s[4:5], -1
                                        ; implicit-def: $sgpr10
	s_and_saveexec_b64 s[8:9], s[12:13]
; %bb.3042:
	s_mov_b32 s10, 0x7f800001
	s_xor_b64 s[4:5], exec, -1
; %bb.3043:
	s_or_b64 exec, exec, s[8:9]
	s_and_b64 s[4:5], s[4:5], exec
	s_or_saveexec_b64 s[6:7], s[6:7]
	v_mov_b32_e32 v2, s10
	s_xor_b64 exec, exec, s[6:7]
	s_cbranch_execz .LBB11_994
.LBB11_3044:
	v_mov_b32_e32 v2, 0
	v_cmp_ne_u16_sdwa s[8:9], v9, v2 src0_sel:BYTE_0 src1_sel:DWORD
	s_andn2_b64 s[4:5], s[4:5], exec
	s_and_b64 s[8:9], s[8:9], exec
	s_or_b64 s[4:5], s[4:5], s[8:9]
	s_or_b64 exec, exec, s[6:7]
	s_and_saveexec_b64 s[6:7], s[4:5]
	s_cbranch_execnz .LBB11_995
	s_branch .LBB11_996
.LBB11_3045:
	s_movk_i32 s4, 0x80
	v_cmp_eq_u16_sdwa s[12:13], v5, s4 src0_sel:BYTE_0 src1_sel:DWORD
	s_mov_b64 s[4:5], -1
                                        ; implicit-def: $sgpr10
	s_and_saveexec_b64 s[8:9], s[12:13]
; %bb.3046:
	s_mov_b32 s10, 0x7f800001
	s_xor_b64 s[4:5], exec, -1
; %bb.3047:
	s_or_b64 exec, exec, s[8:9]
	s_and_b64 s[4:5], s[4:5], exec
	s_or_saveexec_b64 s[6:7], s[6:7]
	v_mov_b32_e32 v3, s10
	s_xor_b64 exec, exec, s[6:7]
	s_cbranch_execz .LBB11_998
.LBB11_3048:
	v_mov_b32_e32 v3, 0
	v_cmp_ne_u16_sdwa s[8:9], v5, v3 src0_sel:BYTE_0 src1_sel:DWORD
	s_andn2_b64 s[4:5], s[4:5], exec
	s_and_b64 s[8:9], s[8:9], exec
	s_or_b64 s[4:5], s[4:5], s[8:9]
	s_or_b64 exec, exec, s[6:7]
	s_and_saveexec_b64 s[6:7], s[4:5]
	s_cbranch_execnz .LBB11_999
	s_branch .LBB11_1000
.LBB11_3049:
	s_movk_i32 s4, 0x80
	v_cmp_eq_u16_sdwa s[12:13], v3, s4 src0_sel:BYTE_0 src1_sel:DWORD
	s_mov_b64 s[4:5], -1
                                        ; implicit-def: $sgpr10
	s_and_saveexec_b64 s[8:9], s[12:13]
; %bb.3050:
	s_mov_b32 s10, 0x7f800001
	s_xor_b64 s[4:5], exec, -1
; %bb.3051:
	s_or_b64 exec, exec, s[8:9]
	s_and_b64 s[4:5], s[4:5], exec
	s_or_saveexec_b64 s[6:7], s[6:7]
	v_mov_b32_e32 v2, s10
	s_xor_b64 exec, exec, s[6:7]
	s_cbranch_execz .LBB11_1002
.LBB11_3052:
	v_mov_b32_e32 v2, 0
	v_cmp_ne_u16_sdwa s[8:9], v3, v2 src0_sel:BYTE_0 src1_sel:DWORD
	s_andn2_b64 s[4:5], s[4:5], exec
	s_and_b64 s[8:9], s[8:9], exec
	s_or_b64 s[4:5], s[4:5], s[8:9]
	s_or_b64 exec, exec, s[6:7]
	s_and_saveexec_b64 s[6:7], s[4:5]
	s_cbranch_execnz .LBB11_1003
	s_branch .LBB11_1004
.LBB11_3053:
	s_movk_i32 s4, 0x80
	v_cmp_eq_u16_sdwa s[12:13], v3, s4 src0_sel:BYTE_0 src1_sel:DWORD
	s_mov_b64 s[4:5], -1
                                        ; implicit-def: $sgpr10
	s_and_saveexec_b64 s[8:9], s[12:13]
; %bb.3054:
	s_mov_b32 s10, 0x7f800001
	s_xor_b64 s[4:5], exec, -1
; %bb.3055:
	s_or_b64 exec, exec, s[8:9]
	s_and_b64 s[4:5], s[4:5], exec
	s_or_saveexec_b64 s[6:7], s[6:7]
	v_mov_b32_e32 v4, s10
	s_xor_b64 exec, exec, s[6:7]
	s_cbranch_execz .LBB11_1006
.LBB11_3056:
	v_mov_b32_e32 v4, 0
	v_cmp_ne_u16_sdwa s[8:9], v3, v4 src0_sel:BYTE_0 src1_sel:DWORD
	s_andn2_b64 s[4:5], s[4:5], exec
	s_and_b64 s[8:9], s[8:9], exec
	s_or_b64 s[4:5], s[4:5], s[8:9]
	s_or_b64 exec, exec, s[6:7]
	s_and_saveexec_b64 s[6:7], s[4:5]
	s_cbranch_execnz .LBB11_1007
	s_branch .LBB11_1008
.LBB11_3057:
	s_movk_i32 s4, 0x80
	v_cmp_eq_u16_e32 vcc, s4, v3
	s_mov_b64 s[4:5], -1
                                        ; implicit-def: $sgpr10
	s_and_saveexec_b64 s[8:9], vcc
; %bb.3058:
	s_mov_b32 s10, 0x7f800001
	s_xor_b64 s[4:5], exec, -1
; %bb.3059:
	s_or_b64 exec, exec, s[8:9]
	s_and_b64 s[4:5], s[4:5], exec
                                        ; implicit-def: $vgpr3
	s_or_saveexec_b64 s[6:7], s[6:7]
	v_mov_b32_e32 v2, s10
	s_xor_b64 exec, exec, s[6:7]
	s_cbranch_execz .LBB11_1010
.LBB11_3060:
	v_cmp_ne_u16_e32 vcc, 0, v3
	s_andn2_b64 s[4:5], s[4:5], exec
	s_and_b64 s[8:9], vcc, exec
	v_mov_b32_e32 v2, 0
	s_or_b64 s[4:5], s[4:5], s[8:9]
	s_or_b64 exec, exec, s[6:7]
	s_and_saveexec_b64 s[6:7], s[4:5]
	s_cbranch_execnz .LBB11_1011
	s_branch .LBB11_1012
.LBB11_3061:
	s_movk_i32 s4, 0x80
	v_cmp_eq_u16_e32 vcc, s4, v3
	s_mov_b64 s[4:5], -1
                                        ; implicit-def: $sgpr10
	s_and_saveexec_b64 s[8:9], vcc
; %bb.3062:
	s_mov_b32 s10, 0x7f800001
	s_xor_b64 s[4:5], exec, -1
; %bb.3063:
	s_or_b64 exec, exec, s[8:9]
	s_and_b64 s[4:5], s[4:5], exec
                                        ; implicit-def: $vgpr3
	s_or_saveexec_b64 s[6:7], s[6:7]
	v_mov_b32_e32 v4, s10
	s_xor_b64 exec, exec, s[6:7]
	s_cbranch_execz .LBB11_1014
.LBB11_3064:
	v_cmp_ne_u16_e32 vcc, 0, v3
	s_andn2_b64 s[4:5], s[4:5], exec
	s_and_b64 s[8:9], vcc, exec
	v_mov_b32_e32 v4, 0
	s_or_b64 s[4:5], s[4:5], s[8:9]
	s_or_b64 exec, exec, s[6:7]
	s_and_saveexec_b64 s[6:7], s[4:5]
	s_cbranch_execnz .LBB11_1015
	s_branch .LBB11_1016
.LBB11_3065:
	s_movk_i32 s4, 0x80
	v_cmp_eq_u16_sdwa s[12:13], v9, s4 src0_sel:BYTE_3 src1_sel:DWORD
	s_mov_b64 s[4:5], -1
                                        ; implicit-def: $sgpr10
	s_and_saveexec_b64 s[8:9], s[12:13]
; %bb.3066:
	s_mov_b32 s10, 0x7f800001
	s_xor_b64 s[4:5], exec, -1
; %bb.3067:
	s_or_b64 exec, exec, s[8:9]
	s_and_b64 s[4:5], s[4:5], exec
	s_or_saveexec_b64 s[6:7], s[6:7]
	v_mov_b32_e32 v2, s10
	s_xor_b64 exec, exec, s[6:7]
	s_cbranch_execz .LBB11_1018
.LBB11_3068:
	v_mov_b32_e32 v2, 0
	v_cmp_ne_u16_sdwa s[8:9], v9, v2 src0_sel:BYTE_3 src1_sel:DWORD
	s_andn2_b64 s[4:5], s[4:5], exec
	s_and_b64 s[8:9], s[8:9], exec
	s_or_b64 s[4:5], s[4:5], s[8:9]
	s_or_b64 exec, exec, s[6:7]
	s_and_saveexec_b64 s[6:7], s[4:5]
	s_cbranch_execnz .LBB11_1019
	s_branch .LBB11_1020
.LBB11_3069:
	s_movk_i32 s4, 0x80
	v_cmp_eq_u16_sdwa s[12:13], v5, s4 src0_sel:BYTE_3 src1_sel:DWORD
	s_mov_b64 s[4:5], -1
                                        ; implicit-def: $sgpr10
	s_and_saveexec_b64 s[8:9], s[12:13]
; %bb.3070:
	s_mov_b32 s10, 0x7f800001
	s_xor_b64 s[4:5], exec, -1
; %bb.3071:
	s_or_b64 exec, exec, s[8:9]
	s_and_b64 s[4:5], s[4:5], exec
	s_or_saveexec_b64 s[6:7], s[6:7]
	v_mov_b32_e32 v3, s10
	s_xor_b64 exec, exec, s[6:7]
	s_cbranch_execz .LBB11_1022
.LBB11_3072:
	v_mov_b32_e32 v3, 0
	v_cmp_ne_u16_sdwa s[8:9], v5, v3 src0_sel:BYTE_3 src1_sel:DWORD
	s_andn2_b64 s[4:5], s[4:5], exec
	s_and_b64 s[8:9], s[8:9], exec
	s_or_b64 s[4:5], s[4:5], s[8:9]
	s_or_b64 exec, exec, s[6:7]
	s_and_saveexec_b64 s[6:7], s[4:5]
	s_cbranch_execnz .LBB11_1023
	s_branch .LBB11_1024
.LBB11_3073:
	s_movk_i32 s4, 0x80
	v_cmp_eq_u16_sdwa s[12:13], v14, s4 src0_sel:BYTE_0 src1_sel:DWORD
	s_mov_b64 s[4:5], -1
                                        ; implicit-def: $sgpr10
	s_and_saveexec_b64 s[8:9], s[12:13]
; %bb.3074:
	s_mov_b32 s10, 0x7f800001
	s_xor_b64 s[4:5], exec, -1
; %bb.3075:
	s_or_b64 exec, exec, s[8:9]
	s_and_b64 s[4:5], s[4:5], exec
	s_or_saveexec_b64 s[6:7], s[6:7]
	v_mov_b32_e32 v20, s10
	s_xor_b64 exec, exec, s[6:7]
	s_cbranch_execz .LBB11_1026
.LBB11_3076:
	v_mov_b32_e32 v20, 0
	v_cmp_ne_u16_sdwa s[8:9], v14, v20 src0_sel:BYTE_0 src1_sel:DWORD
	s_andn2_b64 s[4:5], s[4:5], exec
	s_and_b64 s[8:9], s[8:9], exec
	s_or_b64 s[4:5], s[4:5], s[8:9]
	s_or_b64 exec, exec, s[6:7]
	s_and_saveexec_b64 s[6:7], s[4:5]
	s_cbranch_execnz .LBB11_1027
	s_branch .LBB11_1028
.LBB11_3077:
	s_movk_i32 s4, 0x80
	v_cmp_eq_u16_sdwa s[12:13], v10, s4 src0_sel:BYTE_0 src1_sel:DWORD
	s_mov_b64 s[4:5], -1
                                        ; implicit-def: $sgpr10
	s_and_saveexec_b64 s[8:9], s[12:13]
; %bb.3078:
	s_mov_b32 s10, 0x7f800001
	s_xor_b64 s[4:5], exec, -1
; %bb.3079:
	s_or_b64 exec, exec, s[8:9]
	s_and_b64 s[4:5], s[4:5], exec
	s_or_saveexec_b64 s[6:7], s[6:7]
	v_mov_b32_e32 v21, s10
	s_xor_b64 exec, exec, s[6:7]
	s_cbranch_execz .LBB11_1030
.LBB11_3080:
	v_mov_b32_e32 v21, 0
	v_cmp_ne_u16_sdwa s[8:9], v10, v21 src0_sel:BYTE_0 src1_sel:DWORD
	s_andn2_b64 s[4:5], s[4:5], exec
	s_and_b64 s[8:9], s[8:9], exec
	s_or_b64 s[4:5], s[4:5], s[8:9]
	s_or_b64 exec, exec, s[6:7]
	s_and_saveexec_b64 s[6:7], s[4:5]
	s_cbranch_execnz .LBB11_1031
	s_branch .LBB11_1032
.LBB11_3081:
	s_movk_i32 s4, 0x80
	v_cmp_eq_u16_sdwa s[12:13], v21, s4 src0_sel:BYTE_0 src1_sel:DWORD
	s_mov_b64 s[4:5], -1
                                        ; implicit-def: $sgpr10
	s_and_saveexec_b64 s[8:9], s[12:13]
; %bb.3082:
	s_mov_b32 s10, 0x7f800001
	s_xor_b64 s[4:5], exec, -1
; %bb.3083:
	s_or_b64 exec, exec, s[8:9]
	s_and_b64 s[4:5], s[4:5], exec
	s_or_saveexec_b64 s[6:7], s[6:7]
	v_mov_b32_e32 v20, s10
	s_xor_b64 exec, exec, s[6:7]
	s_cbranch_execz .LBB11_1034
.LBB11_3084:
	v_mov_b32_e32 v20, 0
	v_cmp_ne_u16_sdwa s[8:9], v21, v20 src0_sel:BYTE_0 src1_sel:DWORD
	s_andn2_b64 s[4:5], s[4:5], exec
	s_and_b64 s[8:9], s[8:9], exec
	s_or_b64 s[4:5], s[4:5], s[8:9]
	s_or_b64 exec, exec, s[6:7]
	s_and_saveexec_b64 s[6:7], s[4:5]
	s_cbranch_execnz .LBB11_1035
	s_branch .LBB11_1036
.LBB11_3085:
	s_movk_i32 s4, 0x80
	v_cmp_eq_u16_sdwa s[12:13], v21, s4 src0_sel:BYTE_0 src1_sel:DWORD
	s_mov_b64 s[4:5], -1
                                        ; implicit-def: $sgpr10
	s_and_saveexec_b64 s[8:9], s[12:13]
; %bb.3086:
	s_mov_b32 s10, 0x7f800001
	s_xor_b64 s[4:5], exec, -1
; %bb.3087:
	s_or_b64 exec, exec, s[8:9]
	s_and_b64 s[4:5], s[4:5], exec
	s_or_saveexec_b64 s[6:7], s[6:7]
	v_mov_b32_e32 v22, s10
	s_xor_b64 exec, exec, s[6:7]
	s_cbranch_execz .LBB11_1038
.LBB11_3088:
	v_mov_b32_e32 v22, 0
	v_cmp_ne_u16_sdwa s[8:9], v21, v22 src0_sel:BYTE_0 src1_sel:DWORD
	s_andn2_b64 s[4:5], s[4:5], exec
	s_and_b64 s[8:9], s[8:9], exec
	s_or_b64 s[4:5], s[4:5], s[8:9]
	s_or_b64 exec, exec, s[6:7]
	s_and_saveexec_b64 s[6:7], s[4:5]
	s_cbranch_execnz .LBB11_1039
	s_branch .LBB11_1040
.LBB11_3089:
	s_movk_i32 s4, 0x80
	v_cmp_eq_u16_e32 vcc, s4, v21
	s_mov_b64 s[4:5], -1
                                        ; implicit-def: $sgpr10
	s_and_saveexec_b64 s[8:9], vcc
; %bb.3090:
	s_mov_b32 s10, 0x7f800001
	s_xor_b64 s[4:5], exec, -1
; %bb.3091:
	s_or_b64 exec, exec, s[8:9]
	s_and_b64 s[4:5], s[4:5], exec
                                        ; implicit-def: $vgpr21
	s_or_saveexec_b64 s[6:7], s[6:7]
	v_mov_b32_e32 v20, s10
	s_xor_b64 exec, exec, s[6:7]
	s_cbranch_execz .LBB11_1042
.LBB11_3092:
	v_cmp_ne_u16_e32 vcc, 0, v21
	s_andn2_b64 s[4:5], s[4:5], exec
	s_and_b64 s[8:9], vcc, exec
	v_mov_b32_e32 v20, 0
	s_or_b64 s[4:5], s[4:5], s[8:9]
	s_or_b64 exec, exec, s[6:7]
	s_and_saveexec_b64 s[6:7], s[4:5]
	s_cbranch_execnz .LBB11_1043
	s_branch .LBB11_1044
.LBB11_3093:
	s_movk_i32 s4, 0x80
	v_cmp_eq_u16_e32 vcc, s4, v21
	s_mov_b64 s[4:5], -1
                                        ; implicit-def: $sgpr10
	s_and_saveexec_b64 s[8:9], vcc
; %bb.3094:
	s_mov_b32 s10, 0x7f800001
	s_xor_b64 s[4:5], exec, -1
; %bb.3095:
	s_or_b64 exec, exec, s[8:9]
	s_and_b64 s[4:5], s[4:5], exec
                                        ; implicit-def: $vgpr21
	s_or_saveexec_b64 s[6:7], s[6:7]
	v_mov_b32_e32 v22, s10
	s_xor_b64 exec, exec, s[6:7]
	s_cbranch_execz .LBB11_1046
.LBB11_3096:
	v_cmp_ne_u16_e32 vcc, 0, v21
	s_andn2_b64 s[4:5], s[4:5], exec
	s_and_b64 s[8:9], vcc, exec
	v_mov_b32_e32 v22, 0
	s_or_b64 s[4:5], s[4:5], s[8:9]
	s_or_b64 exec, exec, s[6:7]
	s_and_saveexec_b64 s[6:7], s[4:5]
	s_cbranch_execnz .LBB11_1047
	s_branch .LBB11_1048
.LBB11_3097:
	s_movk_i32 s4, 0x80
	v_cmp_eq_u16_sdwa s[12:13], v14, s4 src0_sel:BYTE_3 src1_sel:DWORD
	s_mov_b64 s[4:5], -1
                                        ; implicit-def: $sgpr10
	s_and_saveexec_b64 s[8:9], s[12:13]
; %bb.3098:
	s_mov_b32 s10, 0x7f800001
	s_xor_b64 s[4:5], exec, -1
; %bb.3099:
	s_or_b64 exec, exec, s[8:9]
	s_and_b64 s[4:5], s[4:5], exec
	s_or_saveexec_b64 s[6:7], s[6:7]
	v_mov_b32_e32 v20, s10
	s_xor_b64 exec, exec, s[6:7]
	s_cbranch_execz .LBB11_1050
.LBB11_3100:
	v_mov_b32_e32 v20, 0
	v_cmp_ne_u16_sdwa s[8:9], v14, v20 src0_sel:BYTE_3 src1_sel:DWORD
	s_andn2_b64 s[4:5], s[4:5], exec
	s_and_b64 s[8:9], s[8:9], exec
	s_or_b64 s[4:5], s[4:5], s[8:9]
	s_or_b64 exec, exec, s[6:7]
	s_and_saveexec_b64 s[6:7], s[4:5]
	s_cbranch_execnz .LBB11_1051
	s_branch .LBB11_1052
.LBB11_3101:
	s_movk_i32 s4, 0x80
	v_cmp_eq_u16_sdwa s[12:13], v10, s4 src0_sel:BYTE_3 src1_sel:DWORD
	s_mov_b64 s[4:5], -1
                                        ; implicit-def: $sgpr10
	s_and_saveexec_b64 s[8:9], s[12:13]
; %bb.3102:
	s_mov_b32 s10, 0x7f800001
	s_xor_b64 s[4:5], exec, -1
; %bb.3103:
	s_or_b64 exec, exec, s[8:9]
	s_and_b64 s[4:5], s[4:5], exec
	s_or_saveexec_b64 s[6:7], s[6:7]
	v_mov_b32_e32 v14, s10
	s_xor_b64 exec, exec, s[6:7]
	s_cbranch_execz .LBB11_1054
.LBB11_3104:
	v_mov_b32_e32 v14, 0
	v_cmp_ne_u16_sdwa s[8:9], v10, v14 src0_sel:BYTE_3 src1_sel:DWORD
	s_andn2_b64 s[4:5], s[4:5], exec
	s_and_b64 s[8:9], s[8:9], exec
	s_or_b64 s[4:5], s[4:5], s[8:9]
	s_or_b64 exec, exec, s[6:7]
	s_and_saveexec_b64 s[6:7], s[4:5]
	s_cbranch_execnz .LBB11_1055
	s_branch .LBB11_1056
.LBB11_3105:
	s_movk_i32 s4, 0x80
	v_cmp_eq_u16_sdwa s[12:13], v15, s4 src0_sel:BYTE_0 src1_sel:DWORD
	s_mov_b64 s[4:5], -1
                                        ; implicit-def: $sgpr10
	s_and_saveexec_b64 s[8:9], s[12:13]
; %bb.3106:
	s_mov_b32 s10, 0x7f800001
	s_xor_b64 s[4:5], exec, -1
; %bb.3107:
	s_or_b64 exec, exec, s[8:9]
	s_and_b64 s[4:5], s[4:5], exec
	s_or_saveexec_b64 s[6:7], s[6:7]
	v_mov_b32_e32 v10, s10
	s_xor_b64 exec, exec, s[6:7]
	s_cbranch_execz .LBB11_1058
.LBB11_3108:
	v_mov_b32_e32 v10, 0
	v_cmp_ne_u16_sdwa s[8:9], v15, v10 src0_sel:BYTE_0 src1_sel:DWORD
	s_andn2_b64 s[4:5], s[4:5], exec
	s_and_b64 s[8:9], s[8:9], exec
	s_or_b64 s[4:5], s[4:5], s[8:9]
	s_or_b64 exec, exec, s[6:7]
	s_and_saveexec_b64 s[6:7], s[4:5]
	s_cbranch_execnz .LBB11_1059
	s_branch .LBB11_1060
.LBB11_3109:
	s_movk_i32 s4, 0x80
	v_cmp_eq_u16_sdwa s[12:13], v11, s4 src0_sel:BYTE_0 src1_sel:DWORD
	s_mov_b64 s[4:5], -1
                                        ; implicit-def: $sgpr10
	s_and_saveexec_b64 s[8:9], s[12:13]
; %bb.3110:
	s_mov_b32 s10, 0x7f800001
	s_xor_b64 s[4:5], exec, -1
; %bb.3111:
	s_or_b64 exec, exec, s[8:9]
	s_and_b64 s[4:5], s[4:5], exec
	s_or_saveexec_b64 s[6:7], s[6:7]
	v_mov_b32_e32 v14, s10
	s_xor_b64 exec, exec, s[6:7]
	s_cbranch_execz .LBB11_1062
.LBB11_3112:
	v_mov_b32_e32 v14, 0
	v_cmp_ne_u16_sdwa s[8:9], v11, v14 src0_sel:BYTE_0 src1_sel:DWORD
	s_andn2_b64 s[4:5], s[4:5], exec
	s_and_b64 s[8:9], s[8:9], exec
	s_or_b64 s[4:5], s[4:5], s[8:9]
	s_or_b64 exec, exec, s[6:7]
	s_and_saveexec_b64 s[6:7], s[4:5]
	s_cbranch_execnz .LBB11_1063
	s_branch .LBB11_1064
.LBB11_3113:
	s_movk_i32 s4, 0x80
	v_cmp_eq_u16_sdwa s[12:13], v14, s4 src0_sel:BYTE_0 src1_sel:DWORD
	s_mov_b64 s[4:5], -1
                                        ; implicit-def: $sgpr10
	s_and_saveexec_b64 s[8:9], s[12:13]
; %bb.3114:
	s_mov_b32 s10, 0x7f800001
	s_xor_b64 s[4:5], exec, -1
; %bb.3115:
	s_or_b64 exec, exec, s[8:9]
	s_and_b64 s[4:5], s[4:5], exec
	s_or_saveexec_b64 s[6:7], s[6:7]
	v_mov_b32_e32 v10, s10
	s_xor_b64 exec, exec, s[6:7]
	s_cbranch_execz .LBB11_1066
.LBB11_3116:
	v_mov_b32_e32 v10, 0
	v_cmp_ne_u16_sdwa s[8:9], v14, v10 src0_sel:BYTE_0 src1_sel:DWORD
	s_andn2_b64 s[4:5], s[4:5], exec
	s_and_b64 s[8:9], s[8:9], exec
	s_or_b64 s[4:5], s[4:5], s[8:9]
	s_or_b64 exec, exec, s[6:7]
	s_and_saveexec_b64 s[6:7], s[4:5]
	s_cbranch_execnz .LBB11_1067
	s_branch .LBB11_1068
.LBB11_3117:
	s_movk_i32 s4, 0x80
	v_cmp_eq_u16_sdwa s[12:13], v14, s4 src0_sel:BYTE_0 src1_sel:DWORD
	s_mov_b64 s[4:5], -1
                                        ; implicit-def: $sgpr10
	s_and_saveexec_b64 s[8:9], s[12:13]
; %bb.3118:
	s_mov_b32 s10, 0x7f800001
	s_xor_b64 s[4:5], exec, -1
; %bb.3119:
	s_or_b64 exec, exec, s[8:9]
	s_and_b64 s[4:5], s[4:5], exec
	s_or_saveexec_b64 s[6:7], s[6:7]
	v_mov_b32_e32 v20, s10
	s_xor_b64 exec, exec, s[6:7]
	s_cbranch_execz .LBB11_1070
.LBB11_3120:
	v_mov_b32_e32 v20, 0
	v_cmp_ne_u16_sdwa s[8:9], v14, v20 src0_sel:BYTE_0 src1_sel:DWORD
	s_andn2_b64 s[4:5], s[4:5], exec
	s_and_b64 s[8:9], s[8:9], exec
	s_or_b64 s[4:5], s[4:5], s[8:9]
	s_or_b64 exec, exec, s[6:7]
	s_and_saveexec_b64 s[6:7], s[4:5]
	s_cbranch_execnz .LBB11_1071
	s_branch .LBB11_1072
.LBB11_3121:
	s_movk_i32 s4, 0x80
	v_cmp_eq_u16_e32 vcc, s4, v14
	s_mov_b64 s[4:5], -1
                                        ; implicit-def: $sgpr10
	s_and_saveexec_b64 s[8:9], vcc
; %bb.3122:
	s_mov_b32 s10, 0x7f800001
	s_xor_b64 s[4:5], exec, -1
; %bb.3123:
	s_or_b64 exec, exec, s[8:9]
	s_and_b64 s[4:5], s[4:5], exec
                                        ; implicit-def: $vgpr14
	s_or_saveexec_b64 s[6:7], s[6:7]
	v_mov_b32_e32 v10, s10
	s_xor_b64 exec, exec, s[6:7]
	s_cbranch_execz .LBB11_1074
.LBB11_3124:
	v_cmp_ne_u16_e32 vcc, 0, v14
	s_andn2_b64 s[4:5], s[4:5], exec
	s_and_b64 s[8:9], vcc, exec
	v_mov_b32_e32 v10, 0
	s_or_b64 s[4:5], s[4:5], s[8:9]
	s_or_b64 exec, exec, s[6:7]
	s_and_saveexec_b64 s[6:7], s[4:5]
	s_cbranch_execnz .LBB11_1075
	s_branch .LBB11_1076
.LBB11_3125:
	s_movk_i32 s4, 0x80
	v_cmp_eq_u16_e32 vcc, s4, v14
	s_mov_b64 s[4:5], -1
                                        ; implicit-def: $sgpr10
	s_and_saveexec_b64 s[8:9], vcc
; %bb.3126:
	s_mov_b32 s10, 0x7f800001
	s_xor_b64 s[4:5], exec, -1
; %bb.3127:
	s_or_b64 exec, exec, s[8:9]
	s_and_b64 s[4:5], s[4:5], exec
                                        ; implicit-def: $vgpr14
	s_or_saveexec_b64 s[6:7], s[6:7]
	v_mov_b32_e32 v20, s10
	s_xor_b64 exec, exec, s[6:7]
	s_cbranch_execz .LBB11_1078
.LBB11_3128:
	v_cmp_ne_u16_e32 vcc, 0, v14
	s_andn2_b64 s[4:5], s[4:5], exec
	s_and_b64 s[8:9], vcc, exec
	v_mov_b32_e32 v20, 0
	s_or_b64 s[4:5], s[4:5], s[8:9]
	s_or_b64 exec, exec, s[6:7]
	s_and_saveexec_b64 s[6:7], s[4:5]
	s_cbranch_execnz .LBB11_1079
	s_branch .LBB11_1080
.LBB11_3129:
	s_movk_i32 s4, 0x80
	v_cmp_eq_u16_sdwa s[12:13], v15, s4 src0_sel:BYTE_3 src1_sel:DWORD
	s_mov_b64 s[4:5], -1
                                        ; implicit-def: $sgpr10
	s_and_saveexec_b64 s[8:9], s[12:13]
; %bb.3130:
	s_mov_b32 s10, 0x7f800001
	s_xor_b64 s[4:5], exec, -1
; %bb.3131:
	s_or_b64 exec, exec, s[8:9]
	s_and_b64 s[4:5], s[4:5], exec
	s_or_saveexec_b64 s[6:7], s[6:7]
	v_mov_b32_e32 v10, s10
	s_xor_b64 exec, exec, s[6:7]
	s_cbranch_execz .LBB11_1082
.LBB11_3132:
	v_mov_b32_e32 v10, 0
	v_cmp_ne_u16_sdwa s[8:9], v15, v10 src0_sel:BYTE_3 src1_sel:DWORD
	s_andn2_b64 s[4:5], s[4:5], exec
	s_and_b64 s[8:9], s[8:9], exec
	s_or_b64 s[4:5], s[4:5], s[8:9]
	s_or_b64 exec, exec, s[6:7]
	s_and_saveexec_b64 s[6:7], s[4:5]
	s_cbranch_execnz .LBB11_1083
	s_branch .LBB11_1084
.LBB11_3133:
	s_movk_i32 s4, 0x80
	v_cmp_eq_u16_sdwa s[12:13], v11, s4 src0_sel:BYTE_3 src1_sel:DWORD
	s_mov_b64 s[4:5], -1
                                        ; implicit-def: $sgpr10
	s_and_saveexec_b64 s[8:9], s[12:13]
; %bb.3134:
	s_mov_b32 s10, 0x7f800001
	s_xor_b64 s[4:5], exec, -1
; %bb.3135:
	s_or_b64 exec, exec, s[8:9]
	s_and_b64 s[4:5], s[4:5], exec
	s_or_saveexec_b64 s[6:7], s[6:7]
	v_mov_b32_e32 v14, s10
	s_xor_b64 exec, exec, s[6:7]
	s_cbranch_execz .LBB11_1086
.LBB11_3136:
	v_mov_b32_e32 v14, 0
	v_cmp_ne_u16_sdwa s[8:9], v11, v14 src0_sel:BYTE_3 src1_sel:DWORD
	s_andn2_b64 s[4:5], s[4:5], exec
	s_and_b64 s[8:9], s[8:9], exec
	s_or_b64 s[4:5], s[4:5], s[8:9]
	s_or_b64 exec, exec, s[6:7]
	s_and_saveexec_b64 s[6:7], s[4:5]
	s_cbranch_execnz .LBB11_1087
	s_branch .LBB11_1088
.LBB11_3137:
	s_movk_i32 s4, 0x80
	v_cmp_eq_u16_sdwa s[12:13], v16, s4 src0_sel:BYTE_0 src1_sel:DWORD
	s_mov_b64 s[4:5], -1
                                        ; implicit-def: $sgpr10
	s_and_saveexec_b64 s[8:9], s[12:13]
; %bb.3138:
	s_mov_b32 s10, 0x7f800001
	s_xor_b64 s[4:5], exec, -1
; %bb.3139:
	s_or_b64 exec, exec, s[8:9]
	s_and_b64 s[4:5], s[4:5], exec
	s_or_saveexec_b64 s[6:7], s[6:7]
	v_mov_b32_e32 v10, s10
	s_xor_b64 exec, exec, s[6:7]
	s_cbranch_execz .LBB11_1090
.LBB11_3140:
	v_mov_b32_e32 v10, 0
	v_cmp_ne_u16_sdwa s[8:9], v16, v10 src0_sel:BYTE_0 src1_sel:DWORD
	s_andn2_b64 s[4:5], s[4:5], exec
	s_and_b64 s[8:9], s[8:9], exec
	s_or_b64 s[4:5], s[4:5], s[8:9]
	s_or_b64 exec, exec, s[6:7]
	s_and_saveexec_b64 s[6:7], s[4:5]
	s_cbranch_execnz .LBB11_1091
	s_branch .LBB11_1092
.LBB11_3141:
	s_movk_i32 s4, 0x80
	v_cmp_eq_u16_sdwa s[12:13], v12, s4 src0_sel:BYTE_0 src1_sel:DWORD
	s_mov_b64 s[4:5], -1
                                        ; implicit-def: $sgpr10
	s_and_saveexec_b64 s[8:9], s[12:13]
; %bb.3142:
	s_mov_b32 s10, 0x7f800001
	s_xor_b64 s[4:5], exec, -1
; %bb.3143:
	s_or_b64 exec, exec, s[8:9]
	s_and_b64 s[4:5], s[4:5], exec
	s_or_saveexec_b64 s[6:7], s[6:7]
	v_mov_b32_e32 v11, s10
	s_xor_b64 exec, exec, s[6:7]
	s_cbranch_execz .LBB11_1094
.LBB11_3144:
	v_mov_b32_e32 v11, 0
	v_cmp_ne_u16_sdwa s[8:9], v12, v11 src0_sel:BYTE_0 src1_sel:DWORD
	s_andn2_b64 s[4:5], s[4:5], exec
	s_and_b64 s[8:9], s[8:9], exec
	s_or_b64 s[4:5], s[4:5], s[8:9]
	s_or_b64 exec, exec, s[6:7]
	s_and_saveexec_b64 s[6:7], s[4:5]
	s_cbranch_execnz .LBB11_1095
	s_branch .LBB11_1096
.LBB11_3145:
	s_movk_i32 s4, 0x80
	v_cmp_eq_u16_sdwa s[12:13], v11, s4 src0_sel:BYTE_0 src1_sel:DWORD
	s_mov_b64 s[4:5], -1
                                        ; implicit-def: $sgpr10
	s_and_saveexec_b64 s[8:9], s[12:13]
; %bb.3146:
	s_mov_b32 s10, 0x7f800001
	s_xor_b64 s[4:5], exec, -1
; %bb.3147:
	s_or_b64 exec, exec, s[8:9]
	s_and_b64 s[4:5], s[4:5], exec
	s_or_saveexec_b64 s[6:7], s[6:7]
	v_mov_b32_e32 v10, s10
	s_xor_b64 exec, exec, s[6:7]
	s_cbranch_execz .LBB11_1098
.LBB11_3148:
	v_mov_b32_e32 v10, 0
	v_cmp_ne_u16_sdwa s[8:9], v11, v10 src0_sel:BYTE_0 src1_sel:DWORD
	s_andn2_b64 s[4:5], s[4:5], exec
	s_and_b64 s[8:9], s[8:9], exec
	s_or_b64 s[4:5], s[4:5], s[8:9]
	s_or_b64 exec, exec, s[6:7]
	s_and_saveexec_b64 s[6:7], s[4:5]
	s_cbranch_execnz .LBB11_1099
	s_branch .LBB11_1100
.LBB11_3149:
	s_movk_i32 s4, 0x80
	v_cmp_eq_u16_sdwa s[12:13], v11, s4 src0_sel:BYTE_0 src1_sel:DWORD
	s_mov_b64 s[4:5], -1
                                        ; implicit-def: $sgpr10
	s_and_saveexec_b64 s[8:9], s[12:13]
; %bb.3150:
	s_mov_b32 s10, 0x7f800001
	s_xor_b64 s[4:5], exec, -1
; %bb.3151:
	s_or_b64 exec, exec, s[8:9]
	s_and_b64 s[4:5], s[4:5], exec
	s_or_saveexec_b64 s[6:7], s[6:7]
	v_mov_b32_e32 v14, s10
	s_xor_b64 exec, exec, s[6:7]
	s_cbranch_execz .LBB11_1102
.LBB11_3152:
	v_mov_b32_e32 v14, 0
	v_cmp_ne_u16_sdwa s[8:9], v11, v14 src0_sel:BYTE_0 src1_sel:DWORD
	s_andn2_b64 s[4:5], s[4:5], exec
	s_and_b64 s[8:9], s[8:9], exec
	s_or_b64 s[4:5], s[4:5], s[8:9]
	s_or_b64 exec, exec, s[6:7]
	s_and_saveexec_b64 s[6:7], s[4:5]
	s_cbranch_execnz .LBB11_1103
	s_branch .LBB11_1104
.LBB11_3153:
	s_movk_i32 s4, 0x80
	v_cmp_eq_u16_e32 vcc, s4, v11
	s_mov_b64 s[4:5], -1
                                        ; implicit-def: $sgpr10
	s_and_saveexec_b64 s[8:9], vcc
; %bb.3154:
	s_mov_b32 s10, 0x7f800001
	s_xor_b64 s[4:5], exec, -1
; %bb.3155:
	s_or_b64 exec, exec, s[8:9]
	s_and_b64 s[4:5], s[4:5], exec
                                        ; implicit-def: $vgpr11
	s_or_saveexec_b64 s[6:7], s[6:7]
	v_mov_b32_e32 v10, s10
	s_xor_b64 exec, exec, s[6:7]
	s_cbranch_execz .LBB11_1106
.LBB11_3156:
	v_cmp_ne_u16_e32 vcc, 0, v11
	s_andn2_b64 s[4:5], s[4:5], exec
	s_and_b64 s[8:9], vcc, exec
	v_mov_b32_e32 v10, 0
	s_or_b64 s[4:5], s[4:5], s[8:9]
	s_or_b64 exec, exec, s[6:7]
	s_and_saveexec_b64 s[6:7], s[4:5]
	s_cbranch_execnz .LBB11_1107
	s_branch .LBB11_1108
.LBB11_3157:
	s_movk_i32 s4, 0x80
	v_cmp_eq_u16_e32 vcc, s4, v11
	s_mov_b64 s[4:5], -1
                                        ; implicit-def: $sgpr10
	s_and_saveexec_b64 s[8:9], vcc
; %bb.3158:
	s_mov_b32 s10, 0x7f800001
	s_xor_b64 s[4:5], exec, -1
; %bb.3159:
	s_or_b64 exec, exec, s[8:9]
	s_and_b64 s[4:5], s[4:5], exec
                                        ; implicit-def: $vgpr11
	s_or_saveexec_b64 s[6:7], s[6:7]
	v_mov_b32_e32 v14, s10
	s_xor_b64 exec, exec, s[6:7]
	s_cbranch_execz .LBB11_1110
.LBB11_3160:
	v_cmp_ne_u16_e32 vcc, 0, v11
	s_andn2_b64 s[4:5], s[4:5], exec
	s_and_b64 s[8:9], vcc, exec
	v_mov_b32_e32 v14, 0
	s_or_b64 s[4:5], s[4:5], s[8:9]
	s_or_b64 exec, exec, s[6:7]
	s_and_saveexec_b64 s[6:7], s[4:5]
	s_cbranch_execnz .LBB11_1111
	s_branch .LBB11_1112
.LBB11_3161:
	s_movk_i32 s4, 0x80
	v_cmp_eq_u16_sdwa s[12:13], v16, s4 src0_sel:BYTE_3 src1_sel:DWORD
	s_mov_b64 s[4:5], -1
                                        ; implicit-def: $sgpr10
	s_and_saveexec_b64 s[8:9], s[12:13]
; %bb.3162:
	s_mov_b32 s10, 0x7f800001
	s_xor_b64 s[4:5], exec, -1
; %bb.3163:
	s_or_b64 exec, exec, s[8:9]
	s_and_b64 s[4:5], s[4:5], exec
	s_or_saveexec_b64 s[6:7], s[6:7]
	v_mov_b32_e32 v10, s10
	s_xor_b64 exec, exec, s[6:7]
	s_cbranch_execz .LBB11_1114
.LBB11_3164:
	v_mov_b32_e32 v10, 0
	v_cmp_ne_u16_sdwa s[8:9], v16, v10 src0_sel:BYTE_3 src1_sel:DWORD
	s_andn2_b64 s[4:5], s[4:5], exec
	s_and_b64 s[8:9], s[8:9], exec
	s_or_b64 s[4:5], s[4:5], s[8:9]
	s_or_b64 exec, exec, s[6:7]
	s_and_saveexec_b64 s[6:7], s[4:5]
	s_cbranch_execnz .LBB11_1115
	s_branch .LBB11_1116
.LBB11_3165:
	s_movk_i32 s4, 0x80
	v_cmp_eq_u16_sdwa s[12:13], v12, s4 src0_sel:BYTE_3 src1_sel:DWORD
	s_mov_b64 s[4:5], -1
                                        ; implicit-def: $sgpr10
	s_and_saveexec_b64 s[8:9], s[12:13]
; %bb.3166:
	s_mov_b32 s10, 0x7f800001
	s_xor_b64 s[4:5], exec, -1
; %bb.3167:
	s_or_b64 exec, exec, s[8:9]
	s_and_b64 s[4:5], s[4:5], exec
	s_or_saveexec_b64 s[6:7], s[6:7]
	v_mov_b32_e32 v11, s10
	s_xor_b64 exec, exec, s[6:7]
	s_cbranch_execz .LBB11_1118
.LBB11_3168:
	v_mov_b32_e32 v11, 0
	v_cmp_ne_u16_sdwa s[8:9], v12, v11 src0_sel:BYTE_3 src1_sel:DWORD
	s_andn2_b64 s[4:5], s[4:5], exec
	s_and_b64 s[8:9], s[8:9], exec
	s_or_b64 s[4:5], s[4:5], s[8:9]
	s_or_b64 exec, exec, s[6:7]
	s_and_saveexec_b64 s[6:7], s[4:5]
	s_cbranch_execnz .LBB11_1119
	s_branch .LBB11_1120
.LBB11_3169:
	s_movk_i32 s4, 0x80
	v_cmp_eq_u16_sdwa s[12:13], v17, s4 src0_sel:BYTE_0 src1_sel:DWORD
	s_mov_b64 s[4:5], -1
                                        ; implicit-def: $sgpr10
	s_and_saveexec_b64 s[8:9], s[12:13]
; %bb.3170:
	s_mov_b32 s10, 0x7f800001
	s_xor_b64 s[4:5], exec, -1
; %bb.3171:
	s_or_b64 exec, exec, s[8:9]
	s_and_b64 s[4:5], s[4:5], exec
	s_or_saveexec_b64 s[6:7], s[6:7]
	v_mov_b32_e32 v10, s10
	s_xor_b64 exec, exec, s[6:7]
	s_cbranch_execz .LBB11_1122
.LBB11_3172:
	v_mov_b32_e32 v10, 0
	v_cmp_ne_u16_sdwa s[8:9], v17, v10 src0_sel:BYTE_0 src1_sel:DWORD
	s_andn2_b64 s[4:5], s[4:5], exec
	s_and_b64 s[8:9], s[8:9], exec
	s_or_b64 s[4:5], s[4:5], s[8:9]
	s_or_b64 exec, exec, s[6:7]
	s_and_saveexec_b64 s[6:7], s[4:5]
	s_cbranch_execnz .LBB11_1123
	s_branch .LBB11_1124
.LBB11_3173:
	s_movk_i32 s4, 0x80
	v_cmp_eq_u16_sdwa s[12:13], v13, s4 src0_sel:BYTE_0 src1_sel:DWORD
	s_mov_b64 s[4:5], -1
                                        ; implicit-def: $sgpr10
	s_and_saveexec_b64 s[8:9], s[12:13]
; %bb.3174:
	s_mov_b32 s10, 0x7f800001
	s_xor_b64 s[4:5], exec, -1
; %bb.3175:
	s_or_b64 exec, exec, s[8:9]
	s_and_b64 s[4:5], s[4:5], exec
	s_or_saveexec_b64 s[6:7], s[6:7]
	v_mov_b32_e32 v11, s10
	s_xor_b64 exec, exec, s[6:7]
	s_cbranch_execz .LBB11_1126
.LBB11_3176:
	v_mov_b32_e32 v11, 0
	v_cmp_ne_u16_sdwa s[8:9], v13, v11 src0_sel:BYTE_0 src1_sel:DWORD
	s_andn2_b64 s[4:5], s[4:5], exec
	s_and_b64 s[8:9], s[8:9], exec
	s_or_b64 s[4:5], s[4:5], s[8:9]
	s_or_b64 exec, exec, s[6:7]
	s_and_saveexec_b64 s[6:7], s[4:5]
	s_cbranch_execnz .LBB11_1127
	s_branch .LBB11_1128
.LBB11_3177:
	s_movk_i32 s4, 0x80
	v_cmp_eq_u16_sdwa s[12:13], v11, s4 src0_sel:BYTE_0 src1_sel:DWORD
	s_mov_b64 s[4:5], -1
                                        ; implicit-def: $sgpr10
	s_and_saveexec_b64 s[8:9], s[12:13]
; %bb.3178:
	s_mov_b32 s10, 0x7f800001
	s_xor_b64 s[4:5], exec, -1
; %bb.3179:
	s_or_b64 exec, exec, s[8:9]
	s_and_b64 s[4:5], s[4:5], exec
	s_or_saveexec_b64 s[6:7], s[6:7]
	v_mov_b32_e32 v10, s10
	s_xor_b64 exec, exec, s[6:7]
	s_cbranch_execz .LBB11_1130
.LBB11_3180:
	v_mov_b32_e32 v10, 0
	v_cmp_ne_u16_sdwa s[8:9], v11, v10 src0_sel:BYTE_0 src1_sel:DWORD
	s_andn2_b64 s[4:5], s[4:5], exec
	s_and_b64 s[8:9], s[8:9], exec
	s_or_b64 s[4:5], s[4:5], s[8:9]
	s_or_b64 exec, exec, s[6:7]
	s_and_saveexec_b64 s[6:7], s[4:5]
	s_cbranch_execnz .LBB11_1131
	s_branch .LBB11_1132
.LBB11_3181:
	s_movk_i32 s4, 0x80
	v_cmp_eq_u16_sdwa s[12:13], v11, s4 src0_sel:BYTE_0 src1_sel:DWORD
	s_mov_b64 s[4:5], -1
                                        ; implicit-def: $sgpr10
	s_and_saveexec_b64 s[8:9], s[12:13]
; %bb.3182:
	s_mov_b32 s10, 0x7f800001
	s_xor_b64 s[4:5], exec, -1
; %bb.3183:
	s_or_b64 exec, exec, s[8:9]
	s_and_b64 s[4:5], s[4:5], exec
	s_or_saveexec_b64 s[6:7], s[6:7]
	v_mov_b32_e32 v12, s10
	s_xor_b64 exec, exec, s[6:7]
	s_cbranch_execz .LBB11_1134
.LBB11_3184:
	v_mov_b32_e32 v12, 0
	v_cmp_ne_u16_sdwa s[8:9], v11, v12 src0_sel:BYTE_0 src1_sel:DWORD
	s_andn2_b64 s[4:5], s[4:5], exec
	s_and_b64 s[8:9], s[8:9], exec
	s_or_b64 s[4:5], s[4:5], s[8:9]
	s_or_b64 exec, exec, s[6:7]
	s_and_saveexec_b64 s[6:7], s[4:5]
	s_cbranch_execnz .LBB11_1135
	s_branch .LBB11_1136
.LBB11_3185:
	s_movk_i32 s4, 0x80
	v_cmp_eq_u16_e32 vcc, s4, v11
	s_mov_b64 s[4:5], -1
                                        ; implicit-def: $sgpr10
	s_and_saveexec_b64 s[8:9], vcc
; %bb.3186:
	s_mov_b32 s10, 0x7f800001
	s_xor_b64 s[4:5], exec, -1
; %bb.3187:
	s_or_b64 exec, exec, s[8:9]
	s_and_b64 s[4:5], s[4:5], exec
                                        ; implicit-def: $vgpr11
	s_or_saveexec_b64 s[6:7], s[6:7]
	v_mov_b32_e32 v10, s10
	s_xor_b64 exec, exec, s[6:7]
	s_cbranch_execz .LBB11_1138
.LBB11_3188:
	v_cmp_ne_u16_e32 vcc, 0, v11
	s_andn2_b64 s[4:5], s[4:5], exec
	s_and_b64 s[8:9], vcc, exec
	v_mov_b32_e32 v10, 0
	s_or_b64 s[4:5], s[4:5], s[8:9]
	s_or_b64 exec, exec, s[6:7]
	s_and_saveexec_b64 s[6:7], s[4:5]
	s_cbranch_execnz .LBB11_1139
	s_branch .LBB11_1140
.LBB11_3189:
	s_movk_i32 s4, 0x80
	v_cmp_eq_u16_e32 vcc, s4, v11
	s_mov_b64 s[4:5], -1
                                        ; implicit-def: $sgpr10
	s_and_saveexec_b64 s[8:9], vcc
; %bb.3190:
	s_mov_b32 s10, 0x7f800001
	s_xor_b64 s[4:5], exec, -1
; %bb.3191:
	s_or_b64 exec, exec, s[8:9]
	s_and_b64 s[4:5], s[4:5], exec
                                        ; implicit-def: $vgpr11
	s_or_saveexec_b64 s[6:7], s[6:7]
	v_mov_b32_e32 v12, s10
	s_xor_b64 exec, exec, s[6:7]
	s_cbranch_execz .LBB11_1142
.LBB11_3192:
	v_cmp_ne_u16_e32 vcc, 0, v11
	s_andn2_b64 s[4:5], s[4:5], exec
	s_and_b64 s[8:9], vcc, exec
	v_mov_b32_e32 v12, 0
	s_or_b64 s[4:5], s[4:5], s[8:9]
	s_or_b64 exec, exec, s[6:7]
	s_and_saveexec_b64 s[6:7], s[4:5]
	s_cbranch_execnz .LBB11_1143
	s_branch .LBB11_1144
.LBB11_3193:
	s_movk_i32 s4, 0x80
	v_cmp_eq_u16_sdwa s[12:13], v17, s4 src0_sel:BYTE_3 src1_sel:DWORD
	s_mov_b64 s[4:5], -1
                                        ; implicit-def: $sgpr10
	s_and_saveexec_b64 s[8:9], s[12:13]
; %bb.3194:
	s_mov_b32 s10, 0x7f800001
	s_xor_b64 s[4:5], exec, -1
; %bb.3195:
	s_or_b64 exec, exec, s[8:9]
	s_and_b64 s[4:5], s[4:5], exec
	s_or_saveexec_b64 s[6:7], s[6:7]
	v_mov_b32_e32 v10, s10
	s_xor_b64 exec, exec, s[6:7]
	s_cbranch_execz .LBB11_1146
.LBB11_3196:
	v_mov_b32_e32 v10, 0
	v_cmp_ne_u16_sdwa s[8:9], v17, v10 src0_sel:BYTE_3 src1_sel:DWORD
	s_andn2_b64 s[4:5], s[4:5], exec
	s_and_b64 s[8:9], s[8:9], exec
	s_or_b64 s[4:5], s[4:5], s[8:9]
	s_or_b64 exec, exec, s[6:7]
	s_and_saveexec_b64 s[6:7], s[4:5]
	s_cbranch_execnz .LBB11_1147
	s_branch .LBB11_1148
.LBB11_3197:
	s_movk_i32 s4, 0x80
	v_cmp_eq_u16_sdwa s[12:13], v13, s4 src0_sel:BYTE_3 src1_sel:DWORD
	s_mov_b64 s[4:5], -1
                                        ; implicit-def: $sgpr10
	s_and_saveexec_b64 s[8:9], s[12:13]
; %bb.3198:
	s_mov_b32 s10, 0x7f800001
	s_xor_b64 s[4:5], exec, -1
; %bb.3199:
	s_or_b64 exec, exec, s[8:9]
	s_and_b64 s[4:5], s[4:5], exec
	s_or_saveexec_b64 s[6:7], s[6:7]
	v_mov_b32_e32 v11, s10
	s_xor_b64 exec, exec, s[6:7]
	s_cbranch_execz .LBB11_1150
.LBB11_3200:
	v_mov_b32_e32 v11, 0
	v_cmp_ne_u16_sdwa s[8:9], v13, v11 src0_sel:BYTE_3 src1_sel:DWORD
	s_andn2_b64 s[4:5], s[4:5], exec
	s_and_b64 s[8:9], s[8:9], exec
	s_or_b64 s[4:5], s[4:5], s[8:9]
	s_or_b64 exec, exec, s[6:7]
	s_and_saveexec_b64 s[6:7], s[4:5]
	s_cbranch_execnz .LBB11_1151
	s_branch .LBB11_1152
.LBB11_3201:
	s_movk_i32 s4, 0x80
	v_cmp_eq_u16_sdwa s[12:13], v6, s4 src0_sel:BYTE_0 src1_sel:DWORD
	s_mov_b64 s[4:5], -1
                                        ; implicit-def: $sgpr10
	s_and_saveexec_b64 s[8:9], s[12:13]
; %bb.3202:
	s_mov_b32 s10, 0x7f800001
	s_xor_b64 s[4:5], exec, -1
; %bb.3203:
	s_or_b64 exec, exec, s[8:9]
	s_and_b64 s[4:5], s[4:5], exec
	s_or_saveexec_b64 s[6:7], s[6:7]
	v_mov_b32_e32 v10, s10
	s_xor_b64 exec, exec, s[6:7]
	s_cbranch_execz .LBB11_1154
.LBB11_3204:
	v_mov_b32_e32 v10, 0
	v_cmp_ne_u16_sdwa s[8:9], v6, v10 src0_sel:BYTE_0 src1_sel:DWORD
	s_andn2_b64 s[4:5], s[4:5], exec
	s_and_b64 s[8:9], s[8:9], exec
	s_or_b64 s[4:5], s[4:5], s[8:9]
	s_or_b64 exec, exec, s[6:7]
	s_and_saveexec_b64 s[6:7], s[4:5]
	s_cbranch_execnz .LBB11_1155
	s_branch .LBB11_1156
.LBB11_3205:
	s_movk_i32 s4, 0x80
	v_cmp_eq_u16_sdwa s[12:13], v2, s4 src0_sel:BYTE_0 src1_sel:DWORD
	s_mov_b64 s[4:5], -1
                                        ; implicit-def: $sgpr10
	s_and_saveexec_b64 s[8:9], s[12:13]
; %bb.3206:
	s_mov_b32 s10, 0x7f800001
	s_xor_b64 s[4:5], exec, -1
; %bb.3207:
	s_or_b64 exec, exec, s[8:9]
	s_and_b64 s[4:5], s[4:5], exec
	s_or_saveexec_b64 s[6:7], s[6:7]
	v_mov_b32_e32 v11, s10
	s_xor_b64 exec, exec, s[6:7]
	s_cbranch_execz .LBB11_1158
.LBB11_3208:
	v_mov_b32_e32 v11, 0
	v_cmp_ne_u16_sdwa s[8:9], v2, v11 src0_sel:BYTE_0 src1_sel:DWORD
	s_andn2_b64 s[4:5], s[4:5], exec
	s_and_b64 s[8:9], s[8:9], exec
	s_or_b64 s[4:5], s[4:5], s[8:9]
	s_or_b64 exec, exec, s[6:7]
	s_and_saveexec_b64 s[6:7], s[4:5]
	s_cbranch_execnz .LBB11_1159
	s_branch .LBB11_1160
.LBB11_3209:
	s_movk_i32 s4, 0x80
	v_cmp_eq_u16_sdwa s[12:13], v11, s4 src0_sel:BYTE_0 src1_sel:DWORD
	s_mov_b64 s[4:5], -1
                                        ; implicit-def: $sgpr10
	s_and_saveexec_b64 s[8:9], s[12:13]
; %bb.3210:
	s_mov_b32 s10, 0x7f800001
	s_xor_b64 s[4:5], exec, -1
; %bb.3211:
	s_or_b64 exec, exec, s[8:9]
	s_and_b64 s[4:5], s[4:5], exec
	s_or_saveexec_b64 s[6:7], s[6:7]
	v_mov_b32_e32 v10, s10
	s_xor_b64 exec, exec, s[6:7]
	s_cbranch_execz .LBB11_1162
.LBB11_3212:
	v_mov_b32_e32 v10, 0
	v_cmp_ne_u16_sdwa s[8:9], v11, v10 src0_sel:BYTE_0 src1_sel:DWORD
	s_andn2_b64 s[4:5], s[4:5], exec
	s_and_b64 s[8:9], s[8:9], exec
	s_or_b64 s[4:5], s[4:5], s[8:9]
	s_or_b64 exec, exec, s[6:7]
	s_and_saveexec_b64 s[6:7], s[4:5]
	s_cbranch_execnz .LBB11_1163
	s_branch .LBB11_1164
.LBB11_3213:
	s_movk_i32 s4, 0x80
	v_cmp_eq_u16_sdwa s[12:13], v11, s4 src0_sel:BYTE_0 src1_sel:DWORD
	s_mov_b64 s[4:5], -1
                                        ; implicit-def: $sgpr10
	s_and_saveexec_b64 s[8:9], s[12:13]
; %bb.3214:
	s_mov_b32 s10, 0x7f800001
	s_xor_b64 s[4:5], exec, -1
; %bb.3215:
	s_or_b64 exec, exec, s[8:9]
	s_and_b64 s[4:5], s[4:5], exec
	s_or_saveexec_b64 s[6:7], s[6:7]
	v_mov_b32_e32 v12, s10
	s_xor_b64 exec, exec, s[6:7]
	s_cbranch_execz .LBB11_1166
.LBB11_3216:
	v_mov_b32_e32 v12, 0
	v_cmp_ne_u16_sdwa s[8:9], v11, v12 src0_sel:BYTE_0 src1_sel:DWORD
	s_andn2_b64 s[4:5], s[4:5], exec
	s_and_b64 s[8:9], s[8:9], exec
	s_or_b64 s[4:5], s[4:5], s[8:9]
	s_or_b64 exec, exec, s[6:7]
	s_and_saveexec_b64 s[6:7], s[4:5]
	s_cbranch_execnz .LBB11_1167
	s_branch .LBB11_1168
.LBB11_3217:
	s_movk_i32 s4, 0x80
	v_cmp_eq_u16_e32 vcc, s4, v11
	s_mov_b64 s[4:5], -1
                                        ; implicit-def: $sgpr10
	s_and_saveexec_b64 s[8:9], vcc
; %bb.3218:
	s_mov_b32 s10, 0x7f800001
	s_xor_b64 s[4:5], exec, -1
; %bb.3219:
	s_or_b64 exec, exec, s[8:9]
	s_and_b64 s[4:5], s[4:5], exec
                                        ; implicit-def: $vgpr11
	s_or_saveexec_b64 s[6:7], s[6:7]
	v_mov_b32_e32 v10, s10
	s_xor_b64 exec, exec, s[6:7]
	s_cbranch_execz .LBB11_1170
.LBB11_3220:
	v_cmp_ne_u16_e32 vcc, 0, v11
	s_andn2_b64 s[4:5], s[4:5], exec
	s_and_b64 s[8:9], vcc, exec
	v_mov_b32_e32 v10, 0
	s_or_b64 s[4:5], s[4:5], s[8:9]
	s_or_b64 exec, exec, s[6:7]
	s_and_saveexec_b64 s[6:7], s[4:5]
	s_cbranch_execnz .LBB11_1171
	s_branch .LBB11_1172
.LBB11_3221:
	s_movk_i32 s4, 0x80
	v_cmp_eq_u16_e32 vcc, s4, v11
	s_mov_b64 s[4:5], -1
                                        ; implicit-def: $sgpr10
	s_and_saveexec_b64 s[8:9], vcc
; %bb.3222:
	s_mov_b32 s10, 0x7f800001
	s_xor_b64 s[4:5], exec, -1
; %bb.3223:
	s_or_b64 exec, exec, s[8:9]
	s_and_b64 s[4:5], s[4:5], exec
                                        ; implicit-def: $vgpr11
	s_or_saveexec_b64 s[6:7], s[6:7]
	v_mov_b32_e32 v12, s10
	s_xor_b64 exec, exec, s[6:7]
	s_cbranch_execz .LBB11_1174
.LBB11_3224:
	v_cmp_ne_u16_e32 vcc, 0, v11
	s_andn2_b64 s[4:5], s[4:5], exec
	s_and_b64 s[8:9], vcc, exec
	v_mov_b32_e32 v12, 0
	s_or_b64 s[4:5], s[4:5], s[8:9]
	s_or_b64 exec, exec, s[6:7]
	s_and_saveexec_b64 s[6:7], s[4:5]
	s_cbranch_execnz .LBB11_1175
	s_branch .LBB11_1176
.LBB11_3225:
	s_movk_i32 s4, 0x80
	v_cmp_eq_u16_sdwa s[12:13], v6, s4 src0_sel:BYTE_3 src1_sel:DWORD
	s_mov_b64 s[4:5], -1
                                        ; implicit-def: $sgpr10
	s_and_saveexec_b64 s[8:9], s[12:13]
; %bb.3226:
	s_mov_b32 s10, 0x7f800001
	s_xor_b64 s[4:5], exec, -1
; %bb.3227:
	s_or_b64 exec, exec, s[8:9]
	s_and_b64 s[4:5], s[4:5], exec
	s_or_saveexec_b64 s[6:7], s[6:7]
	v_mov_b32_e32 v10, s10
	s_xor_b64 exec, exec, s[6:7]
	s_cbranch_execz .LBB11_1178
.LBB11_3228:
	v_mov_b32_e32 v10, 0
	v_cmp_ne_u16_sdwa s[8:9], v6, v10 src0_sel:BYTE_3 src1_sel:DWORD
	s_andn2_b64 s[4:5], s[4:5], exec
	s_and_b64 s[8:9], s[8:9], exec
	s_or_b64 s[4:5], s[4:5], s[8:9]
	s_or_b64 exec, exec, s[6:7]
	s_and_saveexec_b64 s[6:7], s[4:5]
	s_cbranch_execnz .LBB11_1179
	s_branch .LBB11_1180
.LBB11_3229:
	s_movk_i32 s4, 0x80
	v_cmp_eq_u16_sdwa s[12:13], v2, s4 src0_sel:BYTE_3 src1_sel:DWORD
	s_mov_b64 s[4:5], -1
                                        ; implicit-def: $sgpr10
	s_and_saveexec_b64 s[8:9], s[12:13]
; %bb.3230:
	s_mov_b32 s10, 0x7f800001
	s_xor_b64 s[4:5], exec, -1
; %bb.3231:
	s_or_b64 exec, exec, s[8:9]
	s_and_b64 s[4:5], s[4:5], exec
	s_or_saveexec_b64 s[6:7], s[6:7]
	v_mov_b32_e32 v6, s10
	s_xor_b64 exec, exec, s[6:7]
	s_cbranch_execz .LBB11_1182
.LBB11_3232:
	v_mov_b32_e32 v6, 0
	v_cmp_ne_u16_sdwa s[8:9], v2, v6 src0_sel:BYTE_3 src1_sel:DWORD
	s_andn2_b64 s[4:5], s[4:5], exec
	s_and_b64 s[8:9], s[8:9], exec
	s_or_b64 s[4:5], s[4:5], s[8:9]
	s_or_b64 exec, exec, s[6:7]
	s_and_saveexec_b64 s[6:7], s[4:5]
	s_cbranch_execnz .LBB11_1183
	s_branch .LBB11_1184
.LBB11_3233:
	s_movk_i32 s4, 0x80
	v_cmp_eq_u16_sdwa s[12:13], v7, s4 src0_sel:BYTE_0 src1_sel:DWORD
	s_mov_b64 s[4:5], -1
                                        ; implicit-def: $sgpr10
	s_and_saveexec_b64 s[8:9], s[12:13]
; %bb.3234:
	s_mov_b32 s10, 0x7f800001
	s_xor_b64 s[4:5], exec, -1
; %bb.3235:
	s_or_b64 exec, exec, s[8:9]
	s_and_b64 s[4:5], s[4:5], exec
	s_or_saveexec_b64 s[6:7], s[6:7]
	v_mov_b32_e32 v2, s10
	s_xor_b64 exec, exec, s[6:7]
	s_cbranch_execz .LBB11_1186
.LBB11_3236:
	v_mov_b32_e32 v2, 0
	v_cmp_ne_u16_sdwa s[8:9], v7, v2 src0_sel:BYTE_0 src1_sel:DWORD
	s_andn2_b64 s[4:5], s[4:5], exec
	s_and_b64 s[8:9], s[8:9], exec
	s_or_b64 s[4:5], s[4:5], s[8:9]
	s_or_b64 exec, exec, s[6:7]
	s_and_saveexec_b64 s[6:7], s[4:5]
	s_cbranch_execnz .LBB11_1187
	s_branch .LBB11_1188
.LBB11_3237:
	s_movk_i32 s4, 0x80
	v_cmp_eq_u16_sdwa s[12:13], v3, s4 src0_sel:BYTE_0 src1_sel:DWORD
	s_mov_b64 s[4:5], -1
                                        ; implicit-def: $sgpr10
	s_and_saveexec_b64 s[8:9], s[12:13]
; %bb.3238:
	s_mov_b32 s10, 0x7f800001
	s_xor_b64 s[4:5], exec, -1
; %bb.3239:
	s_or_b64 exec, exec, s[8:9]
	s_and_b64 s[4:5], s[4:5], exec
	s_or_saveexec_b64 s[6:7], s[6:7]
	v_mov_b32_e32 v6, s10
	s_xor_b64 exec, exec, s[6:7]
	s_cbranch_execz .LBB11_1190
.LBB11_3240:
	v_mov_b32_e32 v6, 0
	v_cmp_ne_u16_sdwa s[8:9], v3, v6 src0_sel:BYTE_0 src1_sel:DWORD
	s_andn2_b64 s[4:5], s[4:5], exec
	s_and_b64 s[8:9], s[8:9], exec
	s_or_b64 s[4:5], s[4:5], s[8:9]
	s_or_b64 exec, exec, s[6:7]
	s_and_saveexec_b64 s[6:7], s[4:5]
	s_cbranch_execnz .LBB11_1191
	s_branch .LBB11_1192
.LBB11_3241:
	s_movk_i32 s4, 0x80
	v_cmp_eq_u16_sdwa s[12:13], v6, s4 src0_sel:BYTE_0 src1_sel:DWORD
	s_mov_b64 s[4:5], -1
                                        ; implicit-def: $sgpr10
	s_and_saveexec_b64 s[8:9], s[12:13]
; %bb.3242:
	s_mov_b32 s10, 0x7f800001
	s_xor_b64 s[4:5], exec, -1
; %bb.3243:
	s_or_b64 exec, exec, s[8:9]
	s_and_b64 s[4:5], s[4:5], exec
	s_or_saveexec_b64 s[6:7], s[6:7]
	v_mov_b32_e32 v2, s10
	s_xor_b64 exec, exec, s[6:7]
	s_cbranch_execz .LBB11_1194
.LBB11_3244:
	v_mov_b32_e32 v2, 0
	v_cmp_ne_u16_sdwa s[8:9], v6, v2 src0_sel:BYTE_0 src1_sel:DWORD
	s_andn2_b64 s[4:5], s[4:5], exec
	s_and_b64 s[8:9], s[8:9], exec
	s_or_b64 s[4:5], s[4:5], s[8:9]
	s_or_b64 exec, exec, s[6:7]
	s_and_saveexec_b64 s[6:7], s[4:5]
	s_cbranch_execnz .LBB11_1195
	s_branch .LBB11_1196
.LBB11_3245:
	s_movk_i32 s4, 0x80
	v_cmp_eq_u16_sdwa s[12:13], v6, s4 src0_sel:BYTE_0 src1_sel:DWORD
	s_mov_b64 s[4:5], -1
                                        ; implicit-def: $sgpr10
	s_and_saveexec_b64 s[8:9], s[12:13]
; %bb.3246:
	s_mov_b32 s10, 0x7f800001
	s_xor_b64 s[4:5], exec, -1
; %bb.3247:
	s_or_b64 exec, exec, s[8:9]
	s_and_b64 s[4:5], s[4:5], exec
	s_or_saveexec_b64 s[6:7], s[6:7]
	v_mov_b32_e32 v10, s10
	s_xor_b64 exec, exec, s[6:7]
	s_cbranch_execz .LBB11_1198
.LBB11_3248:
	v_mov_b32_e32 v10, 0
	v_cmp_ne_u16_sdwa s[8:9], v6, v10 src0_sel:BYTE_0 src1_sel:DWORD
	s_andn2_b64 s[4:5], s[4:5], exec
	s_and_b64 s[8:9], s[8:9], exec
	s_or_b64 s[4:5], s[4:5], s[8:9]
	s_or_b64 exec, exec, s[6:7]
	s_and_saveexec_b64 s[6:7], s[4:5]
	s_cbranch_execnz .LBB11_1199
	s_branch .LBB11_1200
.LBB11_3249:
	s_movk_i32 s4, 0x80
	v_cmp_eq_u16_e32 vcc, s4, v6
	s_mov_b64 s[4:5], -1
                                        ; implicit-def: $sgpr10
	s_and_saveexec_b64 s[8:9], vcc
; %bb.3250:
	s_mov_b32 s10, 0x7f800001
	s_xor_b64 s[4:5], exec, -1
; %bb.3251:
	s_or_b64 exec, exec, s[8:9]
	s_and_b64 s[4:5], s[4:5], exec
                                        ; implicit-def: $vgpr6
	s_or_saveexec_b64 s[6:7], s[6:7]
	v_mov_b32_e32 v2, s10
	s_xor_b64 exec, exec, s[6:7]
	s_cbranch_execz .LBB11_1202
.LBB11_3252:
	v_cmp_ne_u16_e32 vcc, 0, v6
	s_andn2_b64 s[4:5], s[4:5], exec
	s_and_b64 s[8:9], vcc, exec
	v_mov_b32_e32 v2, 0
	s_or_b64 s[4:5], s[4:5], s[8:9]
	s_or_b64 exec, exec, s[6:7]
	s_and_saveexec_b64 s[6:7], s[4:5]
	s_cbranch_execnz .LBB11_1203
	s_branch .LBB11_1204
.LBB11_3253:
	s_movk_i32 s4, 0x80
	v_cmp_eq_u16_e32 vcc, s4, v6
	s_mov_b64 s[4:5], -1
                                        ; implicit-def: $sgpr10
	s_and_saveexec_b64 s[8:9], vcc
; %bb.3254:
	s_mov_b32 s10, 0x7f800001
	s_xor_b64 s[4:5], exec, -1
; %bb.3255:
	s_or_b64 exec, exec, s[8:9]
	s_and_b64 s[4:5], s[4:5], exec
                                        ; implicit-def: $vgpr6
	s_or_saveexec_b64 s[6:7], s[6:7]
	v_mov_b32_e32 v10, s10
	s_xor_b64 exec, exec, s[6:7]
	s_cbranch_execz .LBB11_1206
.LBB11_3256:
	v_cmp_ne_u16_e32 vcc, 0, v6
	s_andn2_b64 s[4:5], s[4:5], exec
	s_and_b64 s[8:9], vcc, exec
	v_mov_b32_e32 v10, 0
	s_or_b64 s[4:5], s[4:5], s[8:9]
	s_or_b64 exec, exec, s[6:7]
	s_and_saveexec_b64 s[6:7], s[4:5]
	s_cbranch_execnz .LBB11_1207
	s_branch .LBB11_1208
.LBB11_3257:
	s_movk_i32 s4, 0x80
	v_cmp_eq_u16_sdwa s[12:13], v7, s4 src0_sel:BYTE_3 src1_sel:DWORD
	s_mov_b64 s[4:5], -1
                                        ; implicit-def: $sgpr10
	s_and_saveexec_b64 s[8:9], s[12:13]
; %bb.3258:
	s_mov_b32 s10, 0x7f800001
	s_xor_b64 s[4:5], exec, -1
; %bb.3259:
	s_or_b64 exec, exec, s[8:9]
	s_and_b64 s[4:5], s[4:5], exec
	s_or_saveexec_b64 s[6:7], s[6:7]
	v_mov_b32_e32 v2, s10
	s_xor_b64 exec, exec, s[6:7]
	s_cbranch_execz .LBB11_1210
.LBB11_3260:
	v_mov_b32_e32 v2, 0
	v_cmp_ne_u16_sdwa s[8:9], v7, v2 src0_sel:BYTE_3 src1_sel:DWORD
	s_andn2_b64 s[4:5], s[4:5], exec
	s_and_b64 s[8:9], s[8:9], exec
	s_or_b64 s[4:5], s[4:5], s[8:9]
	s_or_b64 exec, exec, s[6:7]
	s_and_saveexec_b64 s[6:7], s[4:5]
	s_cbranch_execnz .LBB11_1211
	s_branch .LBB11_1212
.LBB11_3261:
	s_movk_i32 s4, 0x80
	v_cmp_eq_u16_sdwa s[12:13], v3, s4 src0_sel:BYTE_3 src1_sel:DWORD
	s_mov_b64 s[4:5], -1
                                        ; implicit-def: $sgpr10
	s_and_saveexec_b64 s[8:9], s[12:13]
; %bb.3262:
	s_mov_b32 s10, 0x7f800001
	s_xor_b64 s[4:5], exec, -1
; %bb.3263:
	s_or_b64 exec, exec, s[8:9]
	s_and_b64 s[4:5], s[4:5], exec
	s_or_saveexec_b64 s[6:7], s[6:7]
	v_mov_b32_e32 v6, s10
	s_xor_b64 exec, exec, s[6:7]
	s_cbranch_execz .LBB11_1214
.LBB11_3264:
	v_mov_b32_e32 v6, 0
	v_cmp_ne_u16_sdwa s[8:9], v3, v6 src0_sel:BYTE_3 src1_sel:DWORD
	s_andn2_b64 s[4:5], s[4:5], exec
	s_and_b64 s[8:9], s[8:9], exec
	s_or_b64 s[4:5], s[4:5], s[8:9]
	s_or_b64 exec, exec, s[6:7]
	s_and_saveexec_b64 s[6:7], s[4:5]
	s_cbranch_execnz .LBB11_1215
	s_branch .LBB11_1216
.LBB11_3265:
	s_movk_i32 s4, 0x80
	v_cmp_eq_u16_sdwa s[12:13], v8, s4 src0_sel:BYTE_0 src1_sel:DWORD
	s_mov_b64 s[4:5], -1
                                        ; implicit-def: $sgpr10
	s_and_saveexec_b64 s[8:9], s[12:13]
; %bb.3266:
	s_mov_b32 s10, 0x7f800001
	s_xor_b64 s[4:5], exec, -1
; %bb.3267:
	s_or_b64 exec, exec, s[8:9]
	s_and_b64 s[4:5], s[4:5], exec
	s_or_saveexec_b64 s[6:7], s[6:7]
	v_mov_b32_e32 v2, s10
	s_xor_b64 exec, exec, s[6:7]
	s_cbranch_execz .LBB11_1218
.LBB11_3268:
	v_mov_b32_e32 v2, 0
	v_cmp_ne_u16_sdwa s[8:9], v8, v2 src0_sel:BYTE_0 src1_sel:DWORD
	s_andn2_b64 s[4:5], s[4:5], exec
	s_and_b64 s[8:9], s[8:9], exec
	s_or_b64 s[4:5], s[4:5], s[8:9]
	s_or_b64 exec, exec, s[6:7]
	s_and_saveexec_b64 s[6:7], s[4:5]
	s_cbranch_execnz .LBB11_1219
	s_branch .LBB11_1220
.LBB11_3269:
	s_movk_i32 s4, 0x80
	v_cmp_eq_u16_sdwa s[12:13], v4, s4 src0_sel:BYTE_0 src1_sel:DWORD
	s_mov_b64 s[4:5], -1
                                        ; implicit-def: $sgpr10
	s_and_saveexec_b64 s[8:9], s[12:13]
; %bb.3270:
	s_mov_b32 s10, 0x7f800001
	s_xor_b64 s[4:5], exec, -1
; %bb.3271:
	s_or_b64 exec, exec, s[8:9]
	s_and_b64 s[4:5], s[4:5], exec
	s_or_saveexec_b64 s[6:7], s[6:7]
	v_mov_b32_e32 v3, s10
	s_xor_b64 exec, exec, s[6:7]
	s_cbranch_execz .LBB11_1222
.LBB11_3272:
	v_mov_b32_e32 v3, 0
	v_cmp_ne_u16_sdwa s[8:9], v4, v3 src0_sel:BYTE_0 src1_sel:DWORD
	s_andn2_b64 s[4:5], s[4:5], exec
	s_and_b64 s[8:9], s[8:9], exec
	s_or_b64 s[4:5], s[4:5], s[8:9]
	s_or_b64 exec, exec, s[6:7]
	s_and_saveexec_b64 s[6:7], s[4:5]
	s_cbranch_execnz .LBB11_1223
	s_branch .LBB11_1224
.LBB11_3273:
	s_movk_i32 s4, 0x80
	v_cmp_eq_u16_sdwa s[12:13], v3, s4 src0_sel:BYTE_0 src1_sel:DWORD
	s_mov_b64 s[4:5], -1
                                        ; implicit-def: $sgpr10
	s_and_saveexec_b64 s[8:9], s[12:13]
; %bb.3274:
	s_mov_b32 s10, 0x7f800001
	s_xor_b64 s[4:5], exec, -1
; %bb.3275:
	s_or_b64 exec, exec, s[8:9]
	s_and_b64 s[4:5], s[4:5], exec
	s_or_saveexec_b64 s[6:7], s[6:7]
	v_mov_b32_e32 v2, s10
	s_xor_b64 exec, exec, s[6:7]
	s_cbranch_execz .LBB11_1226
.LBB11_3276:
	v_mov_b32_e32 v2, 0
	v_cmp_ne_u16_sdwa s[8:9], v3, v2 src0_sel:BYTE_0 src1_sel:DWORD
	s_andn2_b64 s[4:5], s[4:5], exec
	s_and_b64 s[8:9], s[8:9], exec
	s_or_b64 s[4:5], s[4:5], s[8:9]
	s_or_b64 exec, exec, s[6:7]
	s_and_saveexec_b64 s[6:7], s[4:5]
	s_cbranch_execnz .LBB11_1227
	s_branch .LBB11_1228
.LBB11_3277:
	s_movk_i32 s4, 0x80
	v_cmp_eq_u16_sdwa s[12:13], v3, s4 src0_sel:BYTE_0 src1_sel:DWORD
	s_mov_b64 s[4:5], -1
                                        ; implicit-def: $sgpr10
	s_and_saveexec_b64 s[8:9], s[12:13]
; %bb.3278:
	s_mov_b32 s10, 0x7f800001
	s_xor_b64 s[4:5], exec, -1
; %bb.3279:
	s_or_b64 exec, exec, s[8:9]
	s_and_b64 s[4:5], s[4:5], exec
	s_or_saveexec_b64 s[6:7], s[6:7]
	v_mov_b32_e32 v6, s10
	s_xor_b64 exec, exec, s[6:7]
	s_cbranch_execz .LBB11_1230
.LBB11_3280:
	v_mov_b32_e32 v6, 0
	v_cmp_ne_u16_sdwa s[8:9], v3, v6 src0_sel:BYTE_0 src1_sel:DWORD
	s_andn2_b64 s[4:5], s[4:5], exec
	s_and_b64 s[8:9], s[8:9], exec
	s_or_b64 s[4:5], s[4:5], s[8:9]
	s_or_b64 exec, exec, s[6:7]
	s_and_saveexec_b64 s[6:7], s[4:5]
	s_cbranch_execnz .LBB11_1231
	s_branch .LBB11_1232
.LBB11_3281:
	s_movk_i32 s4, 0x80
	v_cmp_eq_u16_e32 vcc, s4, v3
	s_mov_b64 s[4:5], -1
                                        ; implicit-def: $sgpr10
	s_and_saveexec_b64 s[8:9], vcc
; %bb.3282:
	s_mov_b32 s10, 0x7f800001
	s_xor_b64 s[4:5], exec, -1
; %bb.3283:
	s_or_b64 exec, exec, s[8:9]
	s_and_b64 s[4:5], s[4:5], exec
                                        ; implicit-def: $vgpr3
	s_or_saveexec_b64 s[6:7], s[6:7]
	v_mov_b32_e32 v2, s10
	s_xor_b64 exec, exec, s[6:7]
	s_cbranch_execz .LBB11_1234
.LBB11_3284:
	v_cmp_ne_u16_e32 vcc, 0, v3
	s_andn2_b64 s[4:5], s[4:5], exec
	s_and_b64 s[8:9], vcc, exec
	v_mov_b32_e32 v2, 0
	s_or_b64 s[4:5], s[4:5], s[8:9]
	s_or_b64 exec, exec, s[6:7]
	s_and_saveexec_b64 s[6:7], s[4:5]
	s_cbranch_execnz .LBB11_1235
	s_branch .LBB11_1236
.LBB11_3285:
	s_movk_i32 s4, 0x80
	v_cmp_eq_u16_e32 vcc, s4, v3
	s_mov_b64 s[4:5], -1
                                        ; implicit-def: $sgpr10
	s_and_saveexec_b64 s[8:9], vcc
; %bb.3286:
	s_mov_b32 s10, 0x7f800001
	s_xor_b64 s[4:5], exec, -1
; %bb.3287:
	s_or_b64 exec, exec, s[8:9]
	s_and_b64 s[4:5], s[4:5], exec
                                        ; implicit-def: $vgpr3
	s_or_saveexec_b64 s[6:7], s[6:7]
	v_mov_b32_e32 v6, s10
	s_xor_b64 exec, exec, s[6:7]
	s_cbranch_execz .LBB11_1238
.LBB11_3288:
	v_cmp_ne_u16_e32 vcc, 0, v3
	s_andn2_b64 s[4:5], s[4:5], exec
	s_and_b64 s[8:9], vcc, exec
	v_mov_b32_e32 v6, 0
	s_or_b64 s[4:5], s[4:5], s[8:9]
	s_or_b64 exec, exec, s[6:7]
	s_and_saveexec_b64 s[6:7], s[4:5]
	s_cbranch_execnz .LBB11_1239
	s_branch .LBB11_1240
.LBB11_3289:
	s_movk_i32 s4, 0x80
	v_cmp_eq_u16_sdwa s[12:13], v8, s4 src0_sel:BYTE_3 src1_sel:DWORD
	s_mov_b64 s[4:5], -1
                                        ; implicit-def: $sgpr10
	s_and_saveexec_b64 s[8:9], s[12:13]
; %bb.3290:
	s_mov_b32 s10, 0x7f800001
	s_xor_b64 s[4:5], exec, -1
; %bb.3291:
	s_or_b64 exec, exec, s[8:9]
	s_and_b64 s[4:5], s[4:5], exec
	s_or_saveexec_b64 s[6:7], s[6:7]
	v_mov_b32_e32 v2, s10
	s_xor_b64 exec, exec, s[6:7]
	s_cbranch_execz .LBB11_1242
.LBB11_3292:
	v_mov_b32_e32 v2, 0
	v_cmp_ne_u16_sdwa s[8:9], v8, v2 src0_sel:BYTE_3 src1_sel:DWORD
	s_andn2_b64 s[4:5], s[4:5], exec
	s_and_b64 s[8:9], s[8:9], exec
	s_or_b64 s[4:5], s[4:5], s[8:9]
	s_or_b64 exec, exec, s[6:7]
	s_and_saveexec_b64 s[6:7], s[4:5]
	s_cbranch_execnz .LBB11_1243
	s_branch .LBB11_1244
.LBB11_3293:
	s_movk_i32 s4, 0x80
	v_cmp_eq_u16_sdwa s[12:13], v4, s4 src0_sel:BYTE_3 src1_sel:DWORD
	s_mov_b64 s[4:5], -1
                                        ; implicit-def: $sgpr10
	s_and_saveexec_b64 s[8:9], s[12:13]
; %bb.3294:
	s_mov_b32 s10, 0x7f800001
	s_xor_b64 s[4:5], exec, -1
; %bb.3295:
	s_or_b64 exec, exec, s[8:9]
	s_and_b64 s[4:5], s[4:5], exec
	s_or_saveexec_b64 s[6:7], s[6:7]
	v_mov_b32_e32 v3, s10
	s_xor_b64 exec, exec, s[6:7]
	s_cbranch_execz .LBB11_1246
.LBB11_3296:
	v_mov_b32_e32 v3, 0
	v_cmp_ne_u16_sdwa s[8:9], v4, v3 src0_sel:BYTE_3 src1_sel:DWORD
	s_andn2_b64 s[4:5], s[4:5], exec
	s_and_b64 s[8:9], s[8:9], exec
	s_or_b64 s[4:5], s[4:5], s[8:9]
	s_or_b64 exec, exec, s[6:7]
	s_and_saveexec_b64 s[6:7], s[4:5]
	s_cbranch_execnz .LBB11_1247
	s_branch .LBB11_1248
.LBB11_3297:
	s_movk_i32 s4, 0x80
	v_cmp_eq_u16_sdwa s[12:13], v9, s4 src0_sel:BYTE_0 src1_sel:DWORD
	s_mov_b64 s[4:5], -1
                                        ; implicit-def: $sgpr10
	s_and_saveexec_b64 s[8:9], s[12:13]
; %bb.3298:
	s_mov_b32 s10, 0x7f800001
	s_xor_b64 s[4:5], exec, -1
; %bb.3299:
	s_or_b64 exec, exec, s[8:9]
	s_and_b64 s[4:5], s[4:5], exec
	s_or_saveexec_b64 s[6:7], s[6:7]
	v_mov_b32_e32 v2, s10
	s_xor_b64 exec, exec, s[6:7]
	s_cbranch_execz .LBB11_1250
.LBB11_3300:
	v_mov_b32_e32 v2, 0
	v_cmp_ne_u16_sdwa s[8:9], v9, v2 src0_sel:BYTE_0 src1_sel:DWORD
	s_andn2_b64 s[4:5], s[4:5], exec
	s_and_b64 s[8:9], s[8:9], exec
	s_or_b64 s[4:5], s[4:5], s[8:9]
	s_or_b64 exec, exec, s[6:7]
	s_and_saveexec_b64 s[6:7], s[4:5]
	s_cbranch_execnz .LBB11_1251
	s_branch .LBB11_1252
.LBB11_3301:
	s_movk_i32 s4, 0x80
	v_cmp_eq_u16_sdwa s[12:13], v5, s4 src0_sel:BYTE_0 src1_sel:DWORD
	s_mov_b64 s[4:5], -1
                                        ; implicit-def: $sgpr10
	s_and_saveexec_b64 s[8:9], s[12:13]
; %bb.3302:
	s_mov_b32 s10, 0x7f800001
	s_xor_b64 s[4:5], exec, -1
; %bb.3303:
	s_or_b64 exec, exec, s[8:9]
	s_and_b64 s[4:5], s[4:5], exec
	s_or_saveexec_b64 s[6:7], s[6:7]
	v_mov_b32_e32 v3, s10
	s_xor_b64 exec, exec, s[6:7]
	s_cbranch_execz .LBB11_1254
.LBB11_3304:
	v_mov_b32_e32 v3, 0
	v_cmp_ne_u16_sdwa s[8:9], v5, v3 src0_sel:BYTE_0 src1_sel:DWORD
	s_andn2_b64 s[4:5], s[4:5], exec
	s_and_b64 s[8:9], s[8:9], exec
	s_or_b64 s[4:5], s[4:5], s[8:9]
	s_or_b64 exec, exec, s[6:7]
	s_and_saveexec_b64 s[6:7], s[4:5]
	s_cbranch_execnz .LBB11_1255
	s_branch .LBB11_1256
.LBB11_3305:
	s_movk_i32 s4, 0x80
	v_cmp_eq_u16_sdwa s[12:13], v3, s4 src0_sel:BYTE_0 src1_sel:DWORD
	s_mov_b64 s[4:5], -1
                                        ; implicit-def: $sgpr10
	s_and_saveexec_b64 s[8:9], s[12:13]
; %bb.3306:
	s_mov_b32 s10, 0x7f800001
	s_xor_b64 s[4:5], exec, -1
; %bb.3307:
	s_or_b64 exec, exec, s[8:9]
	s_and_b64 s[4:5], s[4:5], exec
	s_or_saveexec_b64 s[6:7], s[6:7]
	v_mov_b32_e32 v2, s10
	s_xor_b64 exec, exec, s[6:7]
	s_cbranch_execz .LBB11_1258
.LBB11_3308:
	v_mov_b32_e32 v2, 0
	v_cmp_ne_u16_sdwa s[8:9], v3, v2 src0_sel:BYTE_0 src1_sel:DWORD
	s_andn2_b64 s[4:5], s[4:5], exec
	s_and_b64 s[8:9], s[8:9], exec
	s_or_b64 s[4:5], s[4:5], s[8:9]
	s_or_b64 exec, exec, s[6:7]
	s_and_saveexec_b64 s[6:7], s[4:5]
	s_cbranch_execnz .LBB11_1259
	s_branch .LBB11_1260
.LBB11_3309:
	s_movk_i32 s4, 0x80
	v_cmp_eq_u16_sdwa s[12:13], v3, s4 src0_sel:BYTE_0 src1_sel:DWORD
	s_mov_b64 s[4:5], -1
                                        ; implicit-def: $sgpr10
	s_and_saveexec_b64 s[8:9], s[12:13]
; %bb.3310:
	s_mov_b32 s10, 0x7f800001
	s_xor_b64 s[4:5], exec, -1
; %bb.3311:
	s_or_b64 exec, exec, s[8:9]
	s_and_b64 s[4:5], s[4:5], exec
	s_or_saveexec_b64 s[6:7], s[6:7]
	v_mov_b32_e32 v4, s10
	s_xor_b64 exec, exec, s[6:7]
	s_cbranch_execz .LBB11_1262
.LBB11_3312:
	v_mov_b32_e32 v4, 0
	v_cmp_ne_u16_sdwa s[8:9], v3, v4 src0_sel:BYTE_0 src1_sel:DWORD
	s_andn2_b64 s[4:5], s[4:5], exec
	s_and_b64 s[8:9], s[8:9], exec
	s_or_b64 s[4:5], s[4:5], s[8:9]
	s_or_b64 exec, exec, s[6:7]
	s_and_saveexec_b64 s[6:7], s[4:5]
	s_cbranch_execnz .LBB11_1263
	s_branch .LBB11_1264
.LBB11_3313:
	s_movk_i32 s4, 0x80
	v_cmp_eq_u16_e32 vcc, s4, v3
	s_mov_b64 s[4:5], -1
                                        ; implicit-def: $sgpr10
	s_and_saveexec_b64 s[8:9], vcc
; %bb.3314:
	s_mov_b32 s10, 0x7f800001
	s_xor_b64 s[4:5], exec, -1
; %bb.3315:
	s_or_b64 exec, exec, s[8:9]
	s_and_b64 s[4:5], s[4:5], exec
                                        ; implicit-def: $vgpr3
	s_or_saveexec_b64 s[6:7], s[6:7]
	v_mov_b32_e32 v2, s10
	s_xor_b64 exec, exec, s[6:7]
	s_cbranch_execz .LBB11_1266
.LBB11_3316:
	v_cmp_ne_u16_e32 vcc, 0, v3
	s_andn2_b64 s[4:5], s[4:5], exec
	s_and_b64 s[8:9], vcc, exec
	v_mov_b32_e32 v2, 0
	s_or_b64 s[4:5], s[4:5], s[8:9]
	s_or_b64 exec, exec, s[6:7]
	s_and_saveexec_b64 s[6:7], s[4:5]
	s_cbranch_execnz .LBB11_1267
	s_branch .LBB11_1268
.LBB11_3317:
	s_movk_i32 s4, 0x80
	v_cmp_eq_u16_e32 vcc, s4, v3
	s_mov_b64 s[4:5], -1
                                        ; implicit-def: $sgpr10
	s_and_saveexec_b64 s[8:9], vcc
; %bb.3318:
	s_mov_b32 s10, 0x7f800001
	s_xor_b64 s[4:5], exec, -1
; %bb.3319:
	s_or_b64 exec, exec, s[8:9]
	s_and_b64 s[4:5], s[4:5], exec
                                        ; implicit-def: $vgpr3
	s_or_saveexec_b64 s[6:7], s[6:7]
	v_mov_b32_e32 v4, s10
	s_xor_b64 exec, exec, s[6:7]
	s_cbranch_execz .LBB11_1270
.LBB11_3320:
	v_cmp_ne_u16_e32 vcc, 0, v3
	s_andn2_b64 s[4:5], s[4:5], exec
	s_and_b64 s[8:9], vcc, exec
	v_mov_b32_e32 v4, 0
	s_or_b64 s[4:5], s[4:5], s[8:9]
	s_or_b64 exec, exec, s[6:7]
	s_and_saveexec_b64 s[6:7], s[4:5]
	s_cbranch_execnz .LBB11_1271
	s_branch .LBB11_1272
.LBB11_3321:
	s_movk_i32 s4, 0x80
	v_cmp_eq_u16_sdwa s[12:13], v9, s4 src0_sel:BYTE_3 src1_sel:DWORD
	s_mov_b64 s[4:5], -1
                                        ; implicit-def: $sgpr10
	s_and_saveexec_b64 s[8:9], s[12:13]
; %bb.3322:
	s_mov_b32 s10, 0x7f800001
	s_xor_b64 s[4:5], exec, -1
; %bb.3323:
	s_or_b64 exec, exec, s[8:9]
	s_and_b64 s[4:5], s[4:5], exec
	s_or_saveexec_b64 s[6:7], s[6:7]
	v_mov_b32_e32 v2, s10
	s_xor_b64 exec, exec, s[6:7]
	s_cbranch_execz .LBB11_1274
.LBB11_3324:
	v_mov_b32_e32 v2, 0
	v_cmp_ne_u16_sdwa s[8:9], v9, v2 src0_sel:BYTE_3 src1_sel:DWORD
	s_andn2_b64 s[4:5], s[4:5], exec
	s_and_b64 s[8:9], s[8:9], exec
	s_or_b64 s[4:5], s[4:5], s[8:9]
	s_or_b64 exec, exec, s[6:7]
	s_and_saveexec_b64 s[6:7], s[4:5]
	s_cbranch_execnz .LBB11_1275
	s_branch .LBB11_1276
.LBB11_3325:
	s_movk_i32 s4, 0x80
	v_cmp_eq_u16_sdwa s[12:13], v5, s4 src0_sel:BYTE_3 src1_sel:DWORD
	s_mov_b64 s[4:5], -1
                                        ; implicit-def: $sgpr10
	s_and_saveexec_b64 s[8:9], s[12:13]
; %bb.3326:
	s_mov_b32 s10, 0x7f800001
	s_xor_b64 s[4:5], exec, -1
; %bb.3327:
	s_or_b64 exec, exec, s[8:9]
	s_and_b64 s[4:5], s[4:5], exec
	s_or_saveexec_b64 s[6:7], s[6:7]
	v_mov_b32_e32 v3, s10
	s_xor_b64 exec, exec, s[6:7]
	s_cbranch_execz .LBB11_1278
.LBB11_3328:
	v_mov_b32_e32 v3, 0
	v_cmp_ne_u16_sdwa s[8:9], v5, v3 src0_sel:BYTE_3 src1_sel:DWORD
	s_andn2_b64 s[4:5], s[4:5], exec
	s_and_b64 s[8:9], s[8:9], exec
	s_or_b64 s[4:5], s[4:5], s[8:9]
	s_or_b64 exec, exec, s[6:7]
	s_and_saveexec_b64 s[6:7], s[4:5]
	s_cbranch_execnz .LBB11_1279
	s_branch .LBB11_1280
.LBB11_3329:
	s_movk_i32 s4, 0x80
	v_cmp_eq_u16_sdwa s[12:13], v14, s4 src0_sel:BYTE_0 src1_sel:DWORD
	s_mov_b64 s[4:5], -1
                                        ; implicit-def: $sgpr10
	s_and_saveexec_b64 s[8:9], s[12:13]
; %bb.3330:
	s_mov_b32 s10, 0x7f800001
	s_xor_b64 s[4:5], exec, -1
; %bb.3331:
	s_or_b64 exec, exec, s[8:9]
	s_and_b64 s[4:5], s[4:5], exec
	s_or_saveexec_b64 s[6:7], s[6:7]
	v_mov_b32_e32 v20, s10
	s_xor_b64 exec, exec, s[6:7]
	s_cbranch_execz .LBB11_1282
.LBB11_3332:
	v_mov_b32_e32 v20, 0
	v_cmp_ne_u16_sdwa s[8:9], v14, v20 src0_sel:BYTE_0 src1_sel:DWORD
	s_andn2_b64 s[4:5], s[4:5], exec
	s_and_b64 s[8:9], s[8:9], exec
	s_or_b64 s[4:5], s[4:5], s[8:9]
	s_or_b64 exec, exec, s[6:7]
	s_and_saveexec_b64 s[6:7], s[4:5]
	s_cbranch_execnz .LBB11_1283
	s_branch .LBB11_1284
.LBB11_3333:
	s_movk_i32 s4, 0x80
	v_cmp_eq_u16_sdwa s[12:13], v10, s4 src0_sel:BYTE_0 src1_sel:DWORD
	s_mov_b64 s[4:5], -1
                                        ; implicit-def: $sgpr10
	s_and_saveexec_b64 s[8:9], s[12:13]
; %bb.3334:
	s_mov_b32 s10, 0x7f800001
	s_xor_b64 s[4:5], exec, -1
; %bb.3335:
	s_or_b64 exec, exec, s[8:9]
	s_and_b64 s[4:5], s[4:5], exec
	s_or_saveexec_b64 s[6:7], s[6:7]
	v_mov_b32_e32 v21, s10
	s_xor_b64 exec, exec, s[6:7]
	s_cbranch_execz .LBB11_1286
.LBB11_3336:
	v_mov_b32_e32 v21, 0
	v_cmp_ne_u16_sdwa s[8:9], v10, v21 src0_sel:BYTE_0 src1_sel:DWORD
	s_andn2_b64 s[4:5], s[4:5], exec
	s_and_b64 s[8:9], s[8:9], exec
	s_or_b64 s[4:5], s[4:5], s[8:9]
	s_or_b64 exec, exec, s[6:7]
	s_and_saveexec_b64 s[6:7], s[4:5]
	s_cbranch_execnz .LBB11_1287
	s_branch .LBB11_1288
.LBB11_3337:
	s_movk_i32 s4, 0x80
	v_cmp_eq_u16_sdwa s[12:13], v21, s4 src0_sel:BYTE_0 src1_sel:DWORD
	s_mov_b64 s[4:5], -1
                                        ; implicit-def: $sgpr10
	s_and_saveexec_b64 s[8:9], s[12:13]
; %bb.3338:
	s_mov_b32 s10, 0x7f800001
	s_xor_b64 s[4:5], exec, -1
; %bb.3339:
	s_or_b64 exec, exec, s[8:9]
	s_and_b64 s[4:5], s[4:5], exec
	s_or_saveexec_b64 s[6:7], s[6:7]
	v_mov_b32_e32 v20, s10
	s_xor_b64 exec, exec, s[6:7]
	s_cbranch_execz .LBB11_1290
.LBB11_3340:
	v_mov_b32_e32 v20, 0
	v_cmp_ne_u16_sdwa s[8:9], v21, v20 src0_sel:BYTE_0 src1_sel:DWORD
	s_andn2_b64 s[4:5], s[4:5], exec
	s_and_b64 s[8:9], s[8:9], exec
	s_or_b64 s[4:5], s[4:5], s[8:9]
	s_or_b64 exec, exec, s[6:7]
	s_and_saveexec_b64 s[6:7], s[4:5]
	s_cbranch_execnz .LBB11_1291
	s_branch .LBB11_1292
.LBB11_3341:
	s_movk_i32 s4, 0x80
	v_cmp_eq_u16_sdwa s[12:13], v21, s4 src0_sel:BYTE_0 src1_sel:DWORD
	s_mov_b64 s[4:5], -1
                                        ; implicit-def: $sgpr10
	s_and_saveexec_b64 s[8:9], s[12:13]
; %bb.3342:
	s_mov_b32 s10, 0x7f800001
	s_xor_b64 s[4:5], exec, -1
; %bb.3343:
	s_or_b64 exec, exec, s[8:9]
	s_and_b64 s[4:5], s[4:5], exec
	s_or_saveexec_b64 s[6:7], s[6:7]
	v_mov_b32_e32 v22, s10
	s_xor_b64 exec, exec, s[6:7]
	s_cbranch_execz .LBB11_1294
.LBB11_3344:
	v_mov_b32_e32 v22, 0
	v_cmp_ne_u16_sdwa s[8:9], v21, v22 src0_sel:BYTE_0 src1_sel:DWORD
	s_andn2_b64 s[4:5], s[4:5], exec
	s_and_b64 s[8:9], s[8:9], exec
	s_or_b64 s[4:5], s[4:5], s[8:9]
	s_or_b64 exec, exec, s[6:7]
	s_and_saveexec_b64 s[6:7], s[4:5]
	s_cbranch_execnz .LBB11_1295
	s_branch .LBB11_1296
.LBB11_3345:
	s_movk_i32 s4, 0x80
	v_cmp_eq_u16_e32 vcc, s4, v21
	s_mov_b64 s[4:5], -1
                                        ; implicit-def: $sgpr10
	s_and_saveexec_b64 s[8:9], vcc
; %bb.3346:
	s_mov_b32 s10, 0x7f800001
	s_xor_b64 s[4:5], exec, -1
; %bb.3347:
	s_or_b64 exec, exec, s[8:9]
	s_and_b64 s[4:5], s[4:5], exec
                                        ; implicit-def: $vgpr21
	s_or_saveexec_b64 s[6:7], s[6:7]
	v_mov_b32_e32 v20, s10
	s_xor_b64 exec, exec, s[6:7]
	s_cbranch_execz .LBB11_1298
.LBB11_3348:
	v_cmp_ne_u16_e32 vcc, 0, v21
	s_andn2_b64 s[4:5], s[4:5], exec
	s_and_b64 s[8:9], vcc, exec
	v_mov_b32_e32 v20, 0
	s_or_b64 s[4:5], s[4:5], s[8:9]
	s_or_b64 exec, exec, s[6:7]
	s_and_saveexec_b64 s[6:7], s[4:5]
	s_cbranch_execnz .LBB11_1299
	s_branch .LBB11_1300
.LBB11_3349:
	s_movk_i32 s4, 0x80
	v_cmp_eq_u16_e32 vcc, s4, v21
	s_mov_b64 s[4:5], -1
                                        ; implicit-def: $sgpr10
	s_and_saveexec_b64 s[8:9], vcc
; %bb.3350:
	s_mov_b32 s10, 0x7f800001
	s_xor_b64 s[4:5], exec, -1
; %bb.3351:
	s_or_b64 exec, exec, s[8:9]
	s_and_b64 s[4:5], s[4:5], exec
                                        ; implicit-def: $vgpr21
	s_or_saveexec_b64 s[6:7], s[6:7]
	v_mov_b32_e32 v22, s10
	s_xor_b64 exec, exec, s[6:7]
	s_cbranch_execz .LBB11_1302
.LBB11_3352:
	v_cmp_ne_u16_e32 vcc, 0, v21
	s_andn2_b64 s[4:5], s[4:5], exec
	s_and_b64 s[8:9], vcc, exec
	v_mov_b32_e32 v22, 0
	s_or_b64 s[4:5], s[4:5], s[8:9]
	s_or_b64 exec, exec, s[6:7]
	s_and_saveexec_b64 s[6:7], s[4:5]
	s_cbranch_execnz .LBB11_1303
	s_branch .LBB11_1304
.LBB11_3353:
	s_movk_i32 s4, 0x80
	v_cmp_eq_u16_sdwa s[12:13], v14, s4 src0_sel:BYTE_3 src1_sel:DWORD
	s_mov_b64 s[4:5], -1
                                        ; implicit-def: $sgpr10
	s_and_saveexec_b64 s[8:9], s[12:13]
; %bb.3354:
	s_mov_b32 s10, 0x7f800001
	s_xor_b64 s[4:5], exec, -1
; %bb.3355:
	s_or_b64 exec, exec, s[8:9]
	s_and_b64 s[4:5], s[4:5], exec
	s_or_saveexec_b64 s[6:7], s[6:7]
	v_mov_b32_e32 v20, s10
	s_xor_b64 exec, exec, s[6:7]
	s_cbranch_execz .LBB11_1306
.LBB11_3356:
	v_mov_b32_e32 v20, 0
	v_cmp_ne_u16_sdwa s[8:9], v14, v20 src0_sel:BYTE_3 src1_sel:DWORD
	s_andn2_b64 s[4:5], s[4:5], exec
	s_and_b64 s[8:9], s[8:9], exec
	s_or_b64 s[4:5], s[4:5], s[8:9]
	s_or_b64 exec, exec, s[6:7]
	s_and_saveexec_b64 s[6:7], s[4:5]
	s_cbranch_execnz .LBB11_1307
	s_branch .LBB11_1308
.LBB11_3357:
	s_movk_i32 s4, 0x80
	v_cmp_eq_u16_sdwa s[12:13], v10, s4 src0_sel:BYTE_3 src1_sel:DWORD
	s_mov_b64 s[4:5], -1
                                        ; implicit-def: $sgpr10
	s_and_saveexec_b64 s[8:9], s[12:13]
; %bb.3358:
	s_mov_b32 s10, 0x7f800001
	s_xor_b64 s[4:5], exec, -1
; %bb.3359:
	s_or_b64 exec, exec, s[8:9]
	s_and_b64 s[4:5], s[4:5], exec
	s_or_saveexec_b64 s[6:7], s[6:7]
	v_mov_b32_e32 v14, s10
	s_xor_b64 exec, exec, s[6:7]
	s_cbranch_execz .LBB11_1310
.LBB11_3360:
	v_mov_b32_e32 v14, 0
	v_cmp_ne_u16_sdwa s[8:9], v10, v14 src0_sel:BYTE_3 src1_sel:DWORD
	s_andn2_b64 s[4:5], s[4:5], exec
	s_and_b64 s[8:9], s[8:9], exec
	s_or_b64 s[4:5], s[4:5], s[8:9]
	s_or_b64 exec, exec, s[6:7]
	s_and_saveexec_b64 s[6:7], s[4:5]
	s_cbranch_execnz .LBB11_1311
	s_branch .LBB11_1312
.LBB11_3361:
	s_movk_i32 s4, 0x80
	v_cmp_eq_u16_sdwa s[12:13], v15, s4 src0_sel:BYTE_0 src1_sel:DWORD
	s_mov_b64 s[4:5], -1
                                        ; implicit-def: $sgpr10
	s_and_saveexec_b64 s[8:9], s[12:13]
; %bb.3362:
	s_mov_b32 s10, 0x7f800001
	s_xor_b64 s[4:5], exec, -1
; %bb.3363:
	s_or_b64 exec, exec, s[8:9]
	s_and_b64 s[4:5], s[4:5], exec
	s_or_saveexec_b64 s[6:7], s[6:7]
	v_mov_b32_e32 v10, s10
	s_xor_b64 exec, exec, s[6:7]
	s_cbranch_execz .LBB11_1314
.LBB11_3364:
	v_mov_b32_e32 v10, 0
	v_cmp_ne_u16_sdwa s[8:9], v15, v10 src0_sel:BYTE_0 src1_sel:DWORD
	s_andn2_b64 s[4:5], s[4:5], exec
	s_and_b64 s[8:9], s[8:9], exec
	s_or_b64 s[4:5], s[4:5], s[8:9]
	s_or_b64 exec, exec, s[6:7]
	s_and_saveexec_b64 s[6:7], s[4:5]
	s_cbranch_execnz .LBB11_1315
	s_branch .LBB11_1316
.LBB11_3365:
	s_movk_i32 s4, 0x80
	v_cmp_eq_u16_sdwa s[12:13], v11, s4 src0_sel:BYTE_0 src1_sel:DWORD
	s_mov_b64 s[4:5], -1
                                        ; implicit-def: $sgpr10
	s_and_saveexec_b64 s[8:9], s[12:13]
; %bb.3366:
	s_mov_b32 s10, 0x7f800001
	s_xor_b64 s[4:5], exec, -1
; %bb.3367:
	s_or_b64 exec, exec, s[8:9]
	s_and_b64 s[4:5], s[4:5], exec
	s_or_saveexec_b64 s[6:7], s[6:7]
	v_mov_b32_e32 v14, s10
	s_xor_b64 exec, exec, s[6:7]
	s_cbranch_execz .LBB11_1318
.LBB11_3368:
	v_mov_b32_e32 v14, 0
	v_cmp_ne_u16_sdwa s[8:9], v11, v14 src0_sel:BYTE_0 src1_sel:DWORD
	s_andn2_b64 s[4:5], s[4:5], exec
	s_and_b64 s[8:9], s[8:9], exec
	s_or_b64 s[4:5], s[4:5], s[8:9]
	s_or_b64 exec, exec, s[6:7]
	s_and_saveexec_b64 s[6:7], s[4:5]
	s_cbranch_execnz .LBB11_1319
	s_branch .LBB11_1320
.LBB11_3369:
	s_movk_i32 s4, 0x80
	v_cmp_eq_u16_sdwa s[12:13], v14, s4 src0_sel:BYTE_0 src1_sel:DWORD
	s_mov_b64 s[4:5], -1
                                        ; implicit-def: $sgpr10
	s_and_saveexec_b64 s[8:9], s[12:13]
; %bb.3370:
	s_mov_b32 s10, 0x7f800001
	s_xor_b64 s[4:5], exec, -1
; %bb.3371:
	s_or_b64 exec, exec, s[8:9]
	s_and_b64 s[4:5], s[4:5], exec
	s_or_saveexec_b64 s[6:7], s[6:7]
	v_mov_b32_e32 v10, s10
	s_xor_b64 exec, exec, s[6:7]
	s_cbranch_execz .LBB11_1322
.LBB11_3372:
	v_mov_b32_e32 v10, 0
	v_cmp_ne_u16_sdwa s[8:9], v14, v10 src0_sel:BYTE_0 src1_sel:DWORD
	s_andn2_b64 s[4:5], s[4:5], exec
	s_and_b64 s[8:9], s[8:9], exec
	s_or_b64 s[4:5], s[4:5], s[8:9]
	s_or_b64 exec, exec, s[6:7]
	s_and_saveexec_b64 s[6:7], s[4:5]
	s_cbranch_execnz .LBB11_1323
	s_branch .LBB11_1324
.LBB11_3373:
	s_movk_i32 s4, 0x80
	v_cmp_eq_u16_sdwa s[12:13], v14, s4 src0_sel:BYTE_0 src1_sel:DWORD
	s_mov_b64 s[4:5], -1
                                        ; implicit-def: $sgpr10
	s_and_saveexec_b64 s[8:9], s[12:13]
; %bb.3374:
	s_mov_b32 s10, 0x7f800001
	s_xor_b64 s[4:5], exec, -1
; %bb.3375:
	s_or_b64 exec, exec, s[8:9]
	s_and_b64 s[4:5], s[4:5], exec
	s_or_saveexec_b64 s[6:7], s[6:7]
	v_mov_b32_e32 v20, s10
	s_xor_b64 exec, exec, s[6:7]
	s_cbranch_execz .LBB11_1326
.LBB11_3376:
	v_mov_b32_e32 v20, 0
	v_cmp_ne_u16_sdwa s[8:9], v14, v20 src0_sel:BYTE_0 src1_sel:DWORD
	s_andn2_b64 s[4:5], s[4:5], exec
	s_and_b64 s[8:9], s[8:9], exec
	s_or_b64 s[4:5], s[4:5], s[8:9]
	s_or_b64 exec, exec, s[6:7]
	s_and_saveexec_b64 s[6:7], s[4:5]
	s_cbranch_execnz .LBB11_1327
	s_branch .LBB11_1328
.LBB11_3377:
	s_movk_i32 s4, 0x80
	v_cmp_eq_u16_e32 vcc, s4, v14
	s_mov_b64 s[4:5], -1
                                        ; implicit-def: $sgpr10
	s_and_saveexec_b64 s[8:9], vcc
; %bb.3378:
	s_mov_b32 s10, 0x7f800001
	s_xor_b64 s[4:5], exec, -1
; %bb.3379:
	s_or_b64 exec, exec, s[8:9]
	s_and_b64 s[4:5], s[4:5], exec
                                        ; implicit-def: $vgpr14
	s_or_saveexec_b64 s[6:7], s[6:7]
	v_mov_b32_e32 v10, s10
	s_xor_b64 exec, exec, s[6:7]
	s_cbranch_execz .LBB11_1330
.LBB11_3380:
	v_cmp_ne_u16_e32 vcc, 0, v14
	s_andn2_b64 s[4:5], s[4:5], exec
	s_and_b64 s[8:9], vcc, exec
	v_mov_b32_e32 v10, 0
	s_or_b64 s[4:5], s[4:5], s[8:9]
	s_or_b64 exec, exec, s[6:7]
	s_and_saveexec_b64 s[6:7], s[4:5]
	s_cbranch_execnz .LBB11_1331
	s_branch .LBB11_1332
.LBB11_3381:
	s_movk_i32 s4, 0x80
	v_cmp_eq_u16_e32 vcc, s4, v14
	s_mov_b64 s[4:5], -1
                                        ; implicit-def: $sgpr10
	s_and_saveexec_b64 s[8:9], vcc
; %bb.3382:
	s_mov_b32 s10, 0x7f800001
	s_xor_b64 s[4:5], exec, -1
; %bb.3383:
	s_or_b64 exec, exec, s[8:9]
	s_and_b64 s[4:5], s[4:5], exec
                                        ; implicit-def: $vgpr14
	s_or_saveexec_b64 s[6:7], s[6:7]
	v_mov_b32_e32 v20, s10
	s_xor_b64 exec, exec, s[6:7]
	s_cbranch_execz .LBB11_1334
.LBB11_3384:
	v_cmp_ne_u16_e32 vcc, 0, v14
	s_andn2_b64 s[4:5], s[4:5], exec
	s_and_b64 s[8:9], vcc, exec
	v_mov_b32_e32 v20, 0
	s_or_b64 s[4:5], s[4:5], s[8:9]
	s_or_b64 exec, exec, s[6:7]
	s_and_saveexec_b64 s[6:7], s[4:5]
	s_cbranch_execnz .LBB11_1335
	s_branch .LBB11_1336
.LBB11_3385:
	s_movk_i32 s4, 0x80
	v_cmp_eq_u16_sdwa s[12:13], v15, s4 src0_sel:BYTE_3 src1_sel:DWORD
	s_mov_b64 s[4:5], -1
                                        ; implicit-def: $sgpr10
	s_and_saveexec_b64 s[8:9], s[12:13]
; %bb.3386:
	s_mov_b32 s10, 0x7f800001
	s_xor_b64 s[4:5], exec, -1
; %bb.3387:
	s_or_b64 exec, exec, s[8:9]
	s_and_b64 s[4:5], s[4:5], exec
	s_or_saveexec_b64 s[6:7], s[6:7]
	v_mov_b32_e32 v10, s10
	s_xor_b64 exec, exec, s[6:7]
	s_cbranch_execz .LBB11_1338
.LBB11_3388:
	v_mov_b32_e32 v10, 0
	v_cmp_ne_u16_sdwa s[8:9], v15, v10 src0_sel:BYTE_3 src1_sel:DWORD
	s_andn2_b64 s[4:5], s[4:5], exec
	s_and_b64 s[8:9], s[8:9], exec
	s_or_b64 s[4:5], s[4:5], s[8:9]
	s_or_b64 exec, exec, s[6:7]
	s_and_saveexec_b64 s[6:7], s[4:5]
	s_cbranch_execnz .LBB11_1339
	s_branch .LBB11_1340
.LBB11_3389:
	s_movk_i32 s4, 0x80
	v_cmp_eq_u16_sdwa s[12:13], v11, s4 src0_sel:BYTE_3 src1_sel:DWORD
	s_mov_b64 s[4:5], -1
                                        ; implicit-def: $sgpr10
	s_and_saveexec_b64 s[8:9], s[12:13]
; %bb.3390:
	s_mov_b32 s10, 0x7f800001
	s_xor_b64 s[4:5], exec, -1
; %bb.3391:
	s_or_b64 exec, exec, s[8:9]
	s_and_b64 s[4:5], s[4:5], exec
	s_or_saveexec_b64 s[6:7], s[6:7]
	v_mov_b32_e32 v14, s10
	s_xor_b64 exec, exec, s[6:7]
	s_cbranch_execz .LBB11_1342
.LBB11_3392:
	v_mov_b32_e32 v14, 0
	v_cmp_ne_u16_sdwa s[8:9], v11, v14 src0_sel:BYTE_3 src1_sel:DWORD
	s_andn2_b64 s[4:5], s[4:5], exec
	s_and_b64 s[8:9], s[8:9], exec
	s_or_b64 s[4:5], s[4:5], s[8:9]
	s_or_b64 exec, exec, s[6:7]
	s_and_saveexec_b64 s[6:7], s[4:5]
	s_cbranch_execnz .LBB11_1343
	s_branch .LBB11_1344
.LBB11_3393:
	s_movk_i32 s4, 0x80
	v_cmp_eq_u16_sdwa s[12:13], v16, s4 src0_sel:BYTE_0 src1_sel:DWORD
	s_mov_b64 s[4:5], -1
                                        ; implicit-def: $sgpr10
	s_and_saveexec_b64 s[8:9], s[12:13]
; %bb.3394:
	s_mov_b32 s10, 0x7f800001
	s_xor_b64 s[4:5], exec, -1
; %bb.3395:
	s_or_b64 exec, exec, s[8:9]
	s_and_b64 s[4:5], s[4:5], exec
	s_or_saveexec_b64 s[6:7], s[6:7]
	v_mov_b32_e32 v10, s10
	s_xor_b64 exec, exec, s[6:7]
	s_cbranch_execz .LBB11_1346
.LBB11_3396:
	v_mov_b32_e32 v10, 0
	v_cmp_ne_u16_sdwa s[8:9], v16, v10 src0_sel:BYTE_0 src1_sel:DWORD
	s_andn2_b64 s[4:5], s[4:5], exec
	s_and_b64 s[8:9], s[8:9], exec
	s_or_b64 s[4:5], s[4:5], s[8:9]
	s_or_b64 exec, exec, s[6:7]
	s_and_saveexec_b64 s[6:7], s[4:5]
	s_cbranch_execnz .LBB11_1347
	s_branch .LBB11_1348
.LBB11_3397:
	s_movk_i32 s4, 0x80
	v_cmp_eq_u16_sdwa s[12:13], v12, s4 src0_sel:BYTE_0 src1_sel:DWORD
	s_mov_b64 s[4:5], -1
                                        ; implicit-def: $sgpr10
	s_and_saveexec_b64 s[8:9], s[12:13]
; %bb.3398:
	s_mov_b32 s10, 0x7f800001
	s_xor_b64 s[4:5], exec, -1
; %bb.3399:
	s_or_b64 exec, exec, s[8:9]
	s_and_b64 s[4:5], s[4:5], exec
	s_or_saveexec_b64 s[6:7], s[6:7]
	v_mov_b32_e32 v11, s10
	s_xor_b64 exec, exec, s[6:7]
	s_cbranch_execz .LBB11_1350
.LBB11_3400:
	v_mov_b32_e32 v11, 0
	v_cmp_ne_u16_sdwa s[8:9], v12, v11 src0_sel:BYTE_0 src1_sel:DWORD
	s_andn2_b64 s[4:5], s[4:5], exec
	s_and_b64 s[8:9], s[8:9], exec
	s_or_b64 s[4:5], s[4:5], s[8:9]
	s_or_b64 exec, exec, s[6:7]
	s_and_saveexec_b64 s[6:7], s[4:5]
	s_cbranch_execnz .LBB11_1351
	s_branch .LBB11_1352
.LBB11_3401:
	s_movk_i32 s4, 0x80
	v_cmp_eq_u16_sdwa s[12:13], v11, s4 src0_sel:BYTE_0 src1_sel:DWORD
	s_mov_b64 s[4:5], -1
                                        ; implicit-def: $sgpr10
	s_and_saveexec_b64 s[8:9], s[12:13]
; %bb.3402:
	s_mov_b32 s10, 0x7f800001
	s_xor_b64 s[4:5], exec, -1
; %bb.3403:
	s_or_b64 exec, exec, s[8:9]
	s_and_b64 s[4:5], s[4:5], exec
	s_or_saveexec_b64 s[6:7], s[6:7]
	v_mov_b32_e32 v10, s10
	s_xor_b64 exec, exec, s[6:7]
	s_cbranch_execz .LBB11_1354
.LBB11_3404:
	v_mov_b32_e32 v10, 0
	v_cmp_ne_u16_sdwa s[8:9], v11, v10 src0_sel:BYTE_0 src1_sel:DWORD
	s_andn2_b64 s[4:5], s[4:5], exec
	s_and_b64 s[8:9], s[8:9], exec
	s_or_b64 s[4:5], s[4:5], s[8:9]
	s_or_b64 exec, exec, s[6:7]
	s_and_saveexec_b64 s[6:7], s[4:5]
	s_cbranch_execnz .LBB11_1355
	s_branch .LBB11_1356
.LBB11_3405:
	s_movk_i32 s4, 0x80
	v_cmp_eq_u16_sdwa s[12:13], v11, s4 src0_sel:BYTE_0 src1_sel:DWORD
	s_mov_b64 s[4:5], -1
                                        ; implicit-def: $sgpr10
	s_and_saveexec_b64 s[8:9], s[12:13]
; %bb.3406:
	s_mov_b32 s10, 0x7f800001
	s_xor_b64 s[4:5], exec, -1
; %bb.3407:
	s_or_b64 exec, exec, s[8:9]
	s_and_b64 s[4:5], s[4:5], exec
	s_or_saveexec_b64 s[6:7], s[6:7]
	v_mov_b32_e32 v14, s10
	s_xor_b64 exec, exec, s[6:7]
	s_cbranch_execz .LBB11_1358
.LBB11_3408:
	v_mov_b32_e32 v14, 0
	v_cmp_ne_u16_sdwa s[8:9], v11, v14 src0_sel:BYTE_0 src1_sel:DWORD
	s_andn2_b64 s[4:5], s[4:5], exec
	s_and_b64 s[8:9], s[8:9], exec
	s_or_b64 s[4:5], s[4:5], s[8:9]
	s_or_b64 exec, exec, s[6:7]
	s_and_saveexec_b64 s[6:7], s[4:5]
	s_cbranch_execnz .LBB11_1359
	s_branch .LBB11_1360
.LBB11_3409:
	s_movk_i32 s4, 0x80
	v_cmp_eq_u16_e32 vcc, s4, v11
	s_mov_b64 s[4:5], -1
                                        ; implicit-def: $sgpr10
	s_and_saveexec_b64 s[8:9], vcc
; %bb.3410:
	s_mov_b32 s10, 0x7f800001
	s_xor_b64 s[4:5], exec, -1
; %bb.3411:
	s_or_b64 exec, exec, s[8:9]
	s_and_b64 s[4:5], s[4:5], exec
                                        ; implicit-def: $vgpr11
	s_or_saveexec_b64 s[6:7], s[6:7]
	v_mov_b32_e32 v10, s10
	s_xor_b64 exec, exec, s[6:7]
	s_cbranch_execz .LBB11_1362
.LBB11_3412:
	v_cmp_ne_u16_e32 vcc, 0, v11
	s_andn2_b64 s[4:5], s[4:5], exec
	s_and_b64 s[8:9], vcc, exec
	v_mov_b32_e32 v10, 0
	s_or_b64 s[4:5], s[4:5], s[8:9]
	s_or_b64 exec, exec, s[6:7]
	s_and_saveexec_b64 s[6:7], s[4:5]
	s_cbranch_execnz .LBB11_1363
	s_branch .LBB11_1364
.LBB11_3413:
	s_movk_i32 s4, 0x80
	v_cmp_eq_u16_e32 vcc, s4, v11
	s_mov_b64 s[4:5], -1
                                        ; implicit-def: $sgpr10
	s_and_saveexec_b64 s[8:9], vcc
; %bb.3414:
	s_mov_b32 s10, 0x7f800001
	s_xor_b64 s[4:5], exec, -1
; %bb.3415:
	s_or_b64 exec, exec, s[8:9]
	s_and_b64 s[4:5], s[4:5], exec
                                        ; implicit-def: $vgpr11
	s_or_saveexec_b64 s[6:7], s[6:7]
	v_mov_b32_e32 v14, s10
	s_xor_b64 exec, exec, s[6:7]
	s_cbranch_execz .LBB11_1366
.LBB11_3416:
	v_cmp_ne_u16_e32 vcc, 0, v11
	s_andn2_b64 s[4:5], s[4:5], exec
	s_and_b64 s[8:9], vcc, exec
	v_mov_b32_e32 v14, 0
	s_or_b64 s[4:5], s[4:5], s[8:9]
	s_or_b64 exec, exec, s[6:7]
	s_and_saveexec_b64 s[6:7], s[4:5]
	s_cbranch_execnz .LBB11_1367
	s_branch .LBB11_1368
.LBB11_3417:
	s_movk_i32 s4, 0x80
	v_cmp_eq_u16_sdwa s[12:13], v16, s4 src0_sel:BYTE_3 src1_sel:DWORD
	s_mov_b64 s[4:5], -1
                                        ; implicit-def: $sgpr10
	s_and_saveexec_b64 s[8:9], s[12:13]
; %bb.3418:
	s_mov_b32 s10, 0x7f800001
	s_xor_b64 s[4:5], exec, -1
; %bb.3419:
	s_or_b64 exec, exec, s[8:9]
	s_and_b64 s[4:5], s[4:5], exec
	s_or_saveexec_b64 s[6:7], s[6:7]
	v_mov_b32_e32 v10, s10
	s_xor_b64 exec, exec, s[6:7]
	s_cbranch_execz .LBB11_1370
.LBB11_3420:
	v_mov_b32_e32 v10, 0
	v_cmp_ne_u16_sdwa s[8:9], v16, v10 src0_sel:BYTE_3 src1_sel:DWORD
	s_andn2_b64 s[4:5], s[4:5], exec
	s_and_b64 s[8:9], s[8:9], exec
	s_or_b64 s[4:5], s[4:5], s[8:9]
	s_or_b64 exec, exec, s[6:7]
	s_and_saveexec_b64 s[6:7], s[4:5]
	s_cbranch_execnz .LBB11_1371
	s_branch .LBB11_1372
.LBB11_3421:
	s_movk_i32 s4, 0x80
	v_cmp_eq_u16_sdwa s[12:13], v12, s4 src0_sel:BYTE_3 src1_sel:DWORD
	s_mov_b64 s[4:5], -1
                                        ; implicit-def: $sgpr10
	s_and_saveexec_b64 s[8:9], s[12:13]
; %bb.3422:
	s_mov_b32 s10, 0x7f800001
	s_xor_b64 s[4:5], exec, -1
; %bb.3423:
	s_or_b64 exec, exec, s[8:9]
	s_and_b64 s[4:5], s[4:5], exec
	s_or_saveexec_b64 s[6:7], s[6:7]
	v_mov_b32_e32 v11, s10
	s_xor_b64 exec, exec, s[6:7]
	s_cbranch_execz .LBB11_1374
.LBB11_3424:
	v_mov_b32_e32 v11, 0
	v_cmp_ne_u16_sdwa s[8:9], v12, v11 src0_sel:BYTE_3 src1_sel:DWORD
	s_andn2_b64 s[4:5], s[4:5], exec
	s_and_b64 s[8:9], s[8:9], exec
	s_or_b64 s[4:5], s[4:5], s[8:9]
	s_or_b64 exec, exec, s[6:7]
	s_and_saveexec_b64 s[6:7], s[4:5]
	s_cbranch_execnz .LBB11_1375
	s_branch .LBB11_1376
.LBB11_3425:
	s_movk_i32 s4, 0x80
	v_cmp_eq_u16_sdwa s[12:13], v17, s4 src0_sel:BYTE_0 src1_sel:DWORD
	s_mov_b64 s[4:5], -1
                                        ; implicit-def: $sgpr10
	s_and_saveexec_b64 s[8:9], s[12:13]
; %bb.3426:
	s_mov_b32 s10, 0x7f800001
	s_xor_b64 s[4:5], exec, -1
; %bb.3427:
	s_or_b64 exec, exec, s[8:9]
	s_and_b64 s[4:5], s[4:5], exec
	s_or_saveexec_b64 s[6:7], s[6:7]
	v_mov_b32_e32 v10, s10
	s_xor_b64 exec, exec, s[6:7]
	s_cbranch_execz .LBB11_1378
.LBB11_3428:
	v_mov_b32_e32 v10, 0
	v_cmp_ne_u16_sdwa s[8:9], v17, v10 src0_sel:BYTE_0 src1_sel:DWORD
	s_andn2_b64 s[4:5], s[4:5], exec
	s_and_b64 s[8:9], s[8:9], exec
	s_or_b64 s[4:5], s[4:5], s[8:9]
	s_or_b64 exec, exec, s[6:7]
	s_and_saveexec_b64 s[6:7], s[4:5]
	s_cbranch_execnz .LBB11_1379
	s_branch .LBB11_1380
.LBB11_3429:
	s_movk_i32 s4, 0x80
	v_cmp_eq_u16_sdwa s[12:13], v13, s4 src0_sel:BYTE_0 src1_sel:DWORD
	s_mov_b64 s[4:5], -1
                                        ; implicit-def: $sgpr10
	s_and_saveexec_b64 s[8:9], s[12:13]
; %bb.3430:
	s_mov_b32 s10, 0x7f800001
	s_xor_b64 s[4:5], exec, -1
; %bb.3431:
	s_or_b64 exec, exec, s[8:9]
	s_and_b64 s[4:5], s[4:5], exec
	s_or_saveexec_b64 s[6:7], s[6:7]
	v_mov_b32_e32 v11, s10
	s_xor_b64 exec, exec, s[6:7]
	s_cbranch_execz .LBB11_1382
.LBB11_3432:
	v_mov_b32_e32 v11, 0
	v_cmp_ne_u16_sdwa s[8:9], v13, v11 src0_sel:BYTE_0 src1_sel:DWORD
	s_andn2_b64 s[4:5], s[4:5], exec
	s_and_b64 s[8:9], s[8:9], exec
	s_or_b64 s[4:5], s[4:5], s[8:9]
	s_or_b64 exec, exec, s[6:7]
	s_and_saveexec_b64 s[6:7], s[4:5]
	s_cbranch_execnz .LBB11_1383
	s_branch .LBB11_1384
.LBB11_3433:
	s_movk_i32 s4, 0x80
	v_cmp_eq_u16_sdwa s[12:13], v11, s4 src0_sel:BYTE_0 src1_sel:DWORD
	s_mov_b64 s[4:5], -1
                                        ; implicit-def: $sgpr10
	s_and_saveexec_b64 s[8:9], s[12:13]
; %bb.3434:
	s_mov_b32 s10, 0x7f800001
	s_xor_b64 s[4:5], exec, -1
; %bb.3435:
	s_or_b64 exec, exec, s[8:9]
	s_and_b64 s[4:5], s[4:5], exec
	s_or_saveexec_b64 s[6:7], s[6:7]
	v_mov_b32_e32 v10, s10
	s_xor_b64 exec, exec, s[6:7]
	s_cbranch_execz .LBB11_1386
.LBB11_3436:
	v_mov_b32_e32 v10, 0
	v_cmp_ne_u16_sdwa s[8:9], v11, v10 src0_sel:BYTE_0 src1_sel:DWORD
	s_andn2_b64 s[4:5], s[4:5], exec
	s_and_b64 s[8:9], s[8:9], exec
	s_or_b64 s[4:5], s[4:5], s[8:9]
	s_or_b64 exec, exec, s[6:7]
	s_and_saveexec_b64 s[6:7], s[4:5]
	s_cbranch_execnz .LBB11_1387
	s_branch .LBB11_1388
.LBB11_3437:
	s_movk_i32 s4, 0x80
	v_cmp_eq_u16_sdwa s[12:13], v11, s4 src0_sel:BYTE_0 src1_sel:DWORD
	s_mov_b64 s[4:5], -1
                                        ; implicit-def: $sgpr10
	s_and_saveexec_b64 s[8:9], s[12:13]
; %bb.3438:
	s_mov_b32 s10, 0x7f800001
	s_xor_b64 s[4:5], exec, -1
; %bb.3439:
	s_or_b64 exec, exec, s[8:9]
	s_and_b64 s[4:5], s[4:5], exec
	s_or_saveexec_b64 s[6:7], s[6:7]
	v_mov_b32_e32 v12, s10
	s_xor_b64 exec, exec, s[6:7]
	s_cbranch_execz .LBB11_1390
.LBB11_3440:
	v_mov_b32_e32 v12, 0
	v_cmp_ne_u16_sdwa s[8:9], v11, v12 src0_sel:BYTE_0 src1_sel:DWORD
	s_andn2_b64 s[4:5], s[4:5], exec
	s_and_b64 s[8:9], s[8:9], exec
	s_or_b64 s[4:5], s[4:5], s[8:9]
	s_or_b64 exec, exec, s[6:7]
	s_and_saveexec_b64 s[6:7], s[4:5]
	s_cbranch_execnz .LBB11_1391
	s_branch .LBB11_1392
.LBB11_3441:
	s_movk_i32 s4, 0x80
	v_cmp_eq_u16_e32 vcc, s4, v11
	s_mov_b64 s[4:5], -1
                                        ; implicit-def: $sgpr10
	s_and_saveexec_b64 s[8:9], vcc
; %bb.3442:
	s_mov_b32 s10, 0x7f800001
	s_xor_b64 s[4:5], exec, -1
; %bb.3443:
	s_or_b64 exec, exec, s[8:9]
	s_and_b64 s[4:5], s[4:5], exec
                                        ; implicit-def: $vgpr11
	s_or_saveexec_b64 s[6:7], s[6:7]
	v_mov_b32_e32 v10, s10
	s_xor_b64 exec, exec, s[6:7]
	s_cbranch_execz .LBB11_1394
.LBB11_3444:
	v_cmp_ne_u16_e32 vcc, 0, v11
	s_andn2_b64 s[4:5], s[4:5], exec
	s_and_b64 s[8:9], vcc, exec
	v_mov_b32_e32 v10, 0
	s_or_b64 s[4:5], s[4:5], s[8:9]
	s_or_b64 exec, exec, s[6:7]
	s_and_saveexec_b64 s[6:7], s[4:5]
	s_cbranch_execnz .LBB11_1395
	s_branch .LBB11_1396
.LBB11_3445:
	s_movk_i32 s4, 0x80
	v_cmp_eq_u16_e32 vcc, s4, v11
	s_mov_b64 s[4:5], -1
                                        ; implicit-def: $sgpr10
	s_and_saveexec_b64 s[8:9], vcc
; %bb.3446:
	s_mov_b32 s10, 0x7f800001
	s_xor_b64 s[4:5], exec, -1
; %bb.3447:
	s_or_b64 exec, exec, s[8:9]
	s_and_b64 s[4:5], s[4:5], exec
                                        ; implicit-def: $vgpr11
	s_or_saveexec_b64 s[6:7], s[6:7]
	v_mov_b32_e32 v12, s10
	s_xor_b64 exec, exec, s[6:7]
	s_cbranch_execz .LBB11_1398
.LBB11_3448:
	v_cmp_ne_u16_e32 vcc, 0, v11
	s_andn2_b64 s[4:5], s[4:5], exec
	s_and_b64 s[8:9], vcc, exec
	v_mov_b32_e32 v12, 0
	s_or_b64 s[4:5], s[4:5], s[8:9]
	s_or_b64 exec, exec, s[6:7]
	s_and_saveexec_b64 s[6:7], s[4:5]
	s_cbranch_execnz .LBB11_1399
	s_branch .LBB11_1400
.LBB11_3449:
	s_movk_i32 s4, 0x80
	v_cmp_eq_u16_sdwa s[12:13], v17, s4 src0_sel:BYTE_3 src1_sel:DWORD
	s_mov_b64 s[4:5], -1
                                        ; implicit-def: $sgpr10
	s_and_saveexec_b64 s[8:9], s[12:13]
; %bb.3450:
	s_mov_b32 s10, 0x7f800001
	s_xor_b64 s[4:5], exec, -1
; %bb.3451:
	s_or_b64 exec, exec, s[8:9]
	s_and_b64 s[4:5], s[4:5], exec
	s_or_saveexec_b64 s[6:7], s[6:7]
	v_mov_b32_e32 v10, s10
	s_xor_b64 exec, exec, s[6:7]
	s_cbranch_execz .LBB11_1402
.LBB11_3452:
	v_mov_b32_e32 v10, 0
	v_cmp_ne_u16_sdwa s[8:9], v17, v10 src0_sel:BYTE_3 src1_sel:DWORD
	s_andn2_b64 s[4:5], s[4:5], exec
	s_and_b64 s[8:9], s[8:9], exec
	s_or_b64 s[4:5], s[4:5], s[8:9]
	s_or_b64 exec, exec, s[6:7]
	s_and_saveexec_b64 s[6:7], s[4:5]
	s_cbranch_execnz .LBB11_1403
	s_branch .LBB11_1404
.LBB11_3453:
	s_movk_i32 s4, 0x80
	v_cmp_eq_u16_sdwa s[12:13], v13, s4 src0_sel:BYTE_3 src1_sel:DWORD
	s_mov_b64 s[4:5], -1
                                        ; implicit-def: $sgpr10
	s_and_saveexec_b64 s[8:9], s[12:13]
; %bb.3454:
	s_mov_b32 s10, 0x7f800001
	s_xor_b64 s[4:5], exec, -1
; %bb.3455:
	s_or_b64 exec, exec, s[8:9]
	s_and_b64 s[4:5], s[4:5], exec
	s_or_saveexec_b64 s[6:7], s[6:7]
	v_mov_b32_e32 v11, s10
	s_xor_b64 exec, exec, s[6:7]
	s_cbranch_execz .LBB11_1406
.LBB11_3456:
	v_mov_b32_e32 v11, 0
	v_cmp_ne_u16_sdwa s[8:9], v13, v11 src0_sel:BYTE_3 src1_sel:DWORD
	s_andn2_b64 s[4:5], s[4:5], exec
	s_and_b64 s[8:9], s[8:9], exec
	s_or_b64 s[4:5], s[4:5], s[8:9]
	s_or_b64 exec, exec, s[6:7]
	s_and_saveexec_b64 s[6:7], s[4:5]
	s_cbranch_execnz .LBB11_1407
	s_branch .LBB11_1408
.LBB11_3457:
	s_movk_i32 s4, 0x80
	v_cmp_eq_u16_sdwa s[12:13], v6, s4 src0_sel:BYTE_0 src1_sel:DWORD
	s_mov_b64 s[4:5], -1
                                        ; implicit-def: $sgpr10
	s_and_saveexec_b64 s[8:9], s[12:13]
; %bb.3458:
	s_mov_b32 s10, 0x7f800001
	s_xor_b64 s[4:5], exec, -1
; %bb.3459:
	s_or_b64 exec, exec, s[8:9]
	s_and_b64 s[4:5], s[4:5], exec
	s_or_saveexec_b64 s[6:7], s[6:7]
	v_mov_b32_e32 v10, s10
	s_xor_b64 exec, exec, s[6:7]
	s_cbranch_execz .LBB11_1410
.LBB11_3460:
	v_mov_b32_e32 v10, 0
	v_cmp_ne_u16_sdwa s[8:9], v6, v10 src0_sel:BYTE_0 src1_sel:DWORD
	s_andn2_b64 s[4:5], s[4:5], exec
	s_and_b64 s[8:9], s[8:9], exec
	s_or_b64 s[4:5], s[4:5], s[8:9]
	s_or_b64 exec, exec, s[6:7]
	s_and_saveexec_b64 s[6:7], s[4:5]
	s_cbranch_execnz .LBB11_1411
	s_branch .LBB11_1412
.LBB11_3461:
	s_movk_i32 s4, 0x80
	v_cmp_eq_u16_sdwa s[12:13], v2, s4 src0_sel:BYTE_0 src1_sel:DWORD
	s_mov_b64 s[4:5], -1
                                        ; implicit-def: $sgpr10
	s_and_saveexec_b64 s[8:9], s[12:13]
; %bb.3462:
	s_mov_b32 s10, 0x7f800001
	s_xor_b64 s[4:5], exec, -1
; %bb.3463:
	s_or_b64 exec, exec, s[8:9]
	s_and_b64 s[4:5], s[4:5], exec
	s_or_saveexec_b64 s[6:7], s[6:7]
	v_mov_b32_e32 v11, s10
	s_xor_b64 exec, exec, s[6:7]
	s_cbranch_execz .LBB11_1414
.LBB11_3464:
	v_mov_b32_e32 v11, 0
	v_cmp_ne_u16_sdwa s[8:9], v2, v11 src0_sel:BYTE_0 src1_sel:DWORD
	s_andn2_b64 s[4:5], s[4:5], exec
	s_and_b64 s[8:9], s[8:9], exec
	s_or_b64 s[4:5], s[4:5], s[8:9]
	s_or_b64 exec, exec, s[6:7]
	s_and_saveexec_b64 s[6:7], s[4:5]
	s_cbranch_execnz .LBB11_1415
	s_branch .LBB11_1416
.LBB11_3465:
	s_movk_i32 s4, 0x80
	v_cmp_eq_u16_sdwa s[12:13], v11, s4 src0_sel:BYTE_0 src1_sel:DWORD
	s_mov_b64 s[4:5], -1
                                        ; implicit-def: $sgpr10
	s_and_saveexec_b64 s[8:9], s[12:13]
; %bb.3466:
	s_mov_b32 s10, 0x7f800001
	s_xor_b64 s[4:5], exec, -1
; %bb.3467:
	s_or_b64 exec, exec, s[8:9]
	s_and_b64 s[4:5], s[4:5], exec
	s_or_saveexec_b64 s[6:7], s[6:7]
	v_mov_b32_e32 v10, s10
	s_xor_b64 exec, exec, s[6:7]
	s_cbranch_execz .LBB11_1418
.LBB11_3468:
	v_mov_b32_e32 v10, 0
	v_cmp_ne_u16_sdwa s[8:9], v11, v10 src0_sel:BYTE_0 src1_sel:DWORD
	s_andn2_b64 s[4:5], s[4:5], exec
	s_and_b64 s[8:9], s[8:9], exec
	s_or_b64 s[4:5], s[4:5], s[8:9]
	s_or_b64 exec, exec, s[6:7]
	s_and_saveexec_b64 s[6:7], s[4:5]
	s_cbranch_execnz .LBB11_1419
	s_branch .LBB11_1420
.LBB11_3469:
	s_movk_i32 s4, 0x80
	v_cmp_eq_u16_sdwa s[12:13], v11, s4 src0_sel:BYTE_0 src1_sel:DWORD
	s_mov_b64 s[4:5], -1
                                        ; implicit-def: $sgpr10
	s_and_saveexec_b64 s[8:9], s[12:13]
; %bb.3470:
	s_mov_b32 s10, 0x7f800001
	s_xor_b64 s[4:5], exec, -1
; %bb.3471:
	s_or_b64 exec, exec, s[8:9]
	s_and_b64 s[4:5], s[4:5], exec
	s_or_saveexec_b64 s[6:7], s[6:7]
	v_mov_b32_e32 v12, s10
	s_xor_b64 exec, exec, s[6:7]
	s_cbranch_execz .LBB11_1422
.LBB11_3472:
	v_mov_b32_e32 v12, 0
	v_cmp_ne_u16_sdwa s[8:9], v11, v12 src0_sel:BYTE_0 src1_sel:DWORD
	s_andn2_b64 s[4:5], s[4:5], exec
	s_and_b64 s[8:9], s[8:9], exec
	s_or_b64 s[4:5], s[4:5], s[8:9]
	s_or_b64 exec, exec, s[6:7]
	s_and_saveexec_b64 s[6:7], s[4:5]
	s_cbranch_execnz .LBB11_1423
	s_branch .LBB11_1424
.LBB11_3473:
	s_movk_i32 s4, 0x80
	v_cmp_eq_u16_e32 vcc, s4, v11
	s_mov_b64 s[4:5], -1
                                        ; implicit-def: $sgpr10
	s_and_saveexec_b64 s[8:9], vcc
; %bb.3474:
	s_mov_b32 s10, 0x7f800001
	s_xor_b64 s[4:5], exec, -1
; %bb.3475:
	s_or_b64 exec, exec, s[8:9]
	s_and_b64 s[4:5], s[4:5], exec
                                        ; implicit-def: $vgpr11
	s_or_saveexec_b64 s[6:7], s[6:7]
	v_mov_b32_e32 v10, s10
	s_xor_b64 exec, exec, s[6:7]
	s_cbranch_execz .LBB11_1426
.LBB11_3476:
	v_cmp_ne_u16_e32 vcc, 0, v11
	s_andn2_b64 s[4:5], s[4:5], exec
	s_and_b64 s[8:9], vcc, exec
	v_mov_b32_e32 v10, 0
	s_or_b64 s[4:5], s[4:5], s[8:9]
	s_or_b64 exec, exec, s[6:7]
	s_and_saveexec_b64 s[6:7], s[4:5]
	s_cbranch_execnz .LBB11_1427
	s_branch .LBB11_1428
.LBB11_3477:
	s_movk_i32 s4, 0x80
	v_cmp_eq_u16_e32 vcc, s4, v11
	s_mov_b64 s[4:5], -1
                                        ; implicit-def: $sgpr10
	s_and_saveexec_b64 s[8:9], vcc
; %bb.3478:
	s_mov_b32 s10, 0x7f800001
	s_xor_b64 s[4:5], exec, -1
; %bb.3479:
	s_or_b64 exec, exec, s[8:9]
	s_and_b64 s[4:5], s[4:5], exec
                                        ; implicit-def: $vgpr11
	s_or_saveexec_b64 s[6:7], s[6:7]
	v_mov_b32_e32 v12, s10
	s_xor_b64 exec, exec, s[6:7]
	s_cbranch_execz .LBB11_1430
.LBB11_3480:
	v_cmp_ne_u16_e32 vcc, 0, v11
	s_andn2_b64 s[4:5], s[4:5], exec
	s_and_b64 s[8:9], vcc, exec
	v_mov_b32_e32 v12, 0
	s_or_b64 s[4:5], s[4:5], s[8:9]
	s_or_b64 exec, exec, s[6:7]
	s_and_saveexec_b64 s[6:7], s[4:5]
	s_cbranch_execnz .LBB11_1431
	s_branch .LBB11_1432
.LBB11_3481:
	s_movk_i32 s4, 0x80
	v_cmp_eq_u16_sdwa s[12:13], v6, s4 src0_sel:BYTE_3 src1_sel:DWORD
	s_mov_b64 s[4:5], -1
                                        ; implicit-def: $sgpr10
	s_and_saveexec_b64 s[8:9], s[12:13]
; %bb.3482:
	s_mov_b32 s10, 0x7f800001
	s_xor_b64 s[4:5], exec, -1
; %bb.3483:
	s_or_b64 exec, exec, s[8:9]
	s_and_b64 s[4:5], s[4:5], exec
	s_or_saveexec_b64 s[6:7], s[6:7]
	v_mov_b32_e32 v10, s10
	s_xor_b64 exec, exec, s[6:7]
	s_cbranch_execz .LBB11_1434
.LBB11_3484:
	v_mov_b32_e32 v10, 0
	v_cmp_ne_u16_sdwa s[8:9], v6, v10 src0_sel:BYTE_3 src1_sel:DWORD
	s_andn2_b64 s[4:5], s[4:5], exec
	s_and_b64 s[8:9], s[8:9], exec
	s_or_b64 s[4:5], s[4:5], s[8:9]
	s_or_b64 exec, exec, s[6:7]
	s_and_saveexec_b64 s[6:7], s[4:5]
	s_cbranch_execnz .LBB11_1435
	s_branch .LBB11_1436
.LBB11_3485:
	s_movk_i32 s4, 0x80
	v_cmp_eq_u16_sdwa s[12:13], v2, s4 src0_sel:BYTE_3 src1_sel:DWORD
	s_mov_b64 s[4:5], -1
                                        ; implicit-def: $sgpr10
	s_and_saveexec_b64 s[8:9], s[12:13]
; %bb.3486:
	s_mov_b32 s10, 0x7f800001
	s_xor_b64 s[4:5], exec, -1
; %bb.3487:
	s_or_b64 exec, exec, s[8:9]
	s_and_b64 s[4:5], s[4:5], exec
	s_or_saveexec_b64 s[6:7], s[6:7]
	v_mov_b32_e32 v6, s10
	s_xor_b64 exec, exec, s[6:7]
	s_cbranch_execz .LBB11_1438
.LBB11_3488:
	v_mov_b32_e32 v6, 0
	v_cmp_ne_u16_sdwa s[8:9], v2, v6 src0_sel:BYTE_3 src1_sel:DWORD
	s_andn2_b64 s[4:5], s[4:5], exec
	s_and_b64 s[8:9], s[8:9], exec
	s_or_b64 s[4:5], s[4:5], s[8:9]
	s_or_b64 exec, exec, s[6:7]
	s_and_saveexec_b64 s[6:7], s[4:5]
	s_cbranch_execnz .LBB11_1439
	s_branch .LBB11_1440
.LBB11_3489:
	s_movk_i32 s4, 0x80
	v_cmp_eq_u16_sdwa s[12:13], v7, s4 src0_sel:BYTE_0 src1_sel:DWORD
	s_mov_b64 s[4:5], -1
                                        ; implicit-def: $sgpr10
	s_and_saveexec_b64 s[8:9], s[12:13]
; %bb.3490:
	s_mov_b32 s10, 0x7f800001
	s_xor_b64 s[4:5], exec, -1
; %bb.3491:
	s_or_b64 exec, exec, s[8:9]
	s_and_b64 s[4:5], s[4:5], exec
	s_or_saveexec_b64 s[6:7], s[6:7]
	v_mov_b32_e32 v2, s10
	s_xor_b64 exec, exec, s[6:7]
	s_cbranch_execz .LBB11_1442
.LBB11_3492:
	v_mov_b32_e32 v2, 0
	v_cmp_ne_u16_sdwa s[8:9], v7, v2 src0_sel:BYTE_0 src1_sel:DWORD
	s_andn2_b64 s[4:5], s[4:5], exec
	s_and_b64 s[8:9], s[8:9], exec
	s_or_b64 s[4:5], s[4:5], s[8:9]
	s_or_b64 exec, exec, s[6:7]
	s_and_saveexec_b64 s[6:7], s[4:5]
	s_cbranch_execnz .LBB11_1443
	s_branch .LBB11_1444
.LBB11_3493:
	s_movk_i32 s4, 0x80
	v_cmp_eq_u16_sdwa s[12:13], v3, s4 src0_sel:BYTE_0 src1_sel:DWORD
	s_mov_b64 s[4:5], -1
                                        ; implicit-def: $sgpr10
	s_and_saveexec_b64 s[8:9], s[12:13]
; %bb.3494:
	s_mov_b32 s10, 0x7f800001
	s_xor_b64 s[4:5], exec, -1
; %bb.3495:
	s_or_b64 exec, exec, s[8:9]
	s_and_b64 s[4:5], s[4:5], exec
	s_or_saveexec_b64 s[6:7], s[6:7]
	v_mov_b32_e32 v6, s10
	s_xor_b64 exec, exec, s[6:7]
	s_cbranch_execz .LBB11_1446
.LBB11_3496:
	v_mov_b32_e32 v6, 0
	v_cmp_ne_u16_sdwa s[8:9], v3, v6 src0_sel:BYTE_0 src1_sel:DWORD
	s_andn2_b64 s[4:5], s[4:5], exec
	s_and_b64 s[8:9], s[8:9], exec
	s_or_b64 s[4:5], s[4:5], s[8:9]
	s_or_b64 exec, exec, s[6:7]
	s_and_saveexec_b64 s[6:7], s[4:5]
	s_cbranch_execnz .LBB11_1447
	s_branch .LBB11_1448
.LBB11_3497:
	s_movk_i32 s4, 0x80
	v_cmp_eq_u16_sdwa s[12:13], v6, s4 src0_sel:BYTE_0 src1_sel:DWORD
	s_mov_b64 s[4:5], -1
                                        ; implicit-def: $sgpr10
	s_and_saveexec_b64 s[8:9], s[12:13]
; %bb.3498:
	s_mov_b32 s10, 0x7f800001
	s_xor_b64 s[4:5], exec, -1
; %bb.3499:
	s_or_b64 exec, exec, s[8:9]
	s_and_b64 s[4:5], s[4:5], exec
	s_or_saveexec_b64 s[6:7], s[6:7]
	v_mov_b32_e32 v2, s10
	s_xor_b64 exec, exec, s[6:7]
	s_cbranch_execz .LBB11_1450
.LBB11_3500:
	v_mov_b32_e32 v2, 0
	v_cmp_ne_u16_sdwa s[8:9], v6, v2 src0_sel:BYTE_0 src1_sel:DWORD
	s_andn2_b64 s[4:5], s[4:5], exec
	s_and_b64 s[8:9], s[8:9], exec
	s_or_b64 s[4:5], s[4:5], s[8:9]
	s_or_b64 exec, exec, s[6:7]
	s_and_saveexec_b64 s[6:7], s[4:5]
	s_cbranch_execnz .LBB11_1451
	s_branch .LBB11_1452
.LBB11_3501:
	s_movk_i32 s4, 0x80
	v_cmp_eq_u16_sdwa s[12:13], v6, s4 src0_sel:BYTE_0 src1_sel:DWORD
	s_mov_b64 s[4:5], -1
                                        ; implicit-def: $sgpr10
	s_and_saveexec_b64 s[8:9], s[12:13]
; %bb.3502:
	s_mov_b32 s10, 0x7f800001
	s_xor_b64 s[4:5], exec, -1
; %bb.3503:
	s_or_b64 exec, exec, s[8:9]
	s_and_b64 s[4:5], s[4:5], exec
	s_or_saveexec_b64 s[6:7], s[6:7]
	v_mov_b32_e32 v10, s10
	s_xor_b64 exec, exec, s[6:7]
	s_cbranch_execz .LBB11_1454
.LBB11_3504:
	v_mov_b32_e32 v10, 0
	v_cmp_ne_u16_sdwa s[8:9], v6, v10 src0_sel:BYTE_0 src1_sel:DWORD
	s_andn2_b64 s[4:5], s[4:5], exec
	s_and_b64 s[8:9], s[8:9], exec
	s_or_b64 s[4:5], s[4:5], s[8:9]
	s_or_b64 exec, exec, s[6:7]
	s_and_saveexec_b64 s[6:7], s[4:5]
	s_cbranch_execnz .LBB11_1455
	s_branch .LBB11_1456
.LBB11_3505:
	s_movk_i32 s4, 0x80
	v_cmp_eq_u16_e32 vcc, s4, v6
	s_mov_b64 s[4:5], -1
                                        ; implicit-def: $sgpr10
	s_and_saveexec_b64 s[8:9], vcc
; %bb.3506:
	s_mov_b32 s10, 0x7f800001
	s_xor_b64 s[4:5], exec, -1
; %bb.3507:
	s_or_b64 exec, exec, s[8:9]
	s_and_b64 s[4:5], s[4:5], exec
                                        ; implicit-def: $vgpr6
	s_or_saveexec_b64 s[6:7], s[6:7]
	v_mov_b32_e32 v2, s10
	s_xor_b64 exec, exec, s[6:7]
	s_cbranch_execz .LBB11_1458
.LBB11_3508:
	v_cmp_ne_u16_e32 vcc, 0, v6
	s_andn2_b64 s[4:5], s[4:5], exec
	s_and_b64 s[8:9], vcc, exec
	v_mov_b32_e32 v2, 0
	s_or_b64 s[4:5], s[4:5], s[8:9]
	s_or_b64 exec, exec, s[6:7]
	s_and_saveexec_b64 s[6:7], s[4:5]
	s_cbranch_execnz .LBB11_1459
	s_branch .LBB11_1460
.LBB11_3509:
	s_movk_i32 s4, 0x80
	v_cmp_eq_u16_e32 vcc, s4, v6
	s_mov_b64 s[4:5], -1
                                        ; implicit-def: $sgpr10
	s_and_saveexec_b64 s[8:9], vcc
; %bb.3510:
	s_mov_b32 s10, 0x7f800001
	s_xor_b64 s[4:5], exec, -1
; %bb.3511:
	s_or_b64 exec, exec, s[8:9]
	s_and_b64 s[4:5], s[4:5], exec
                                        ; implicit-def: $vgpr6
	s_or_saveexec_b64 s[6:7], s[6:7]
	v_mov_b32_e32 v10, s10
	s_xor_b64 exec, exec, s[6:7]
	s_cbranch_execz .LBB11_1462
.LBB11_3512:
	v_cmp_ne_u16_e32 vcc, 0, v6
	s_andn2_b64 s[4:5], s[4:5], exec
	s_and_b64 s[8:9], vcc, exec
	v_mov_b32_e32 v10, 0
	s_or_b64 s[4:5], s[4:5], s[8:9]
	s_or_b64 exec, exec, s[6:7]
	s_and_saveexec_b64 s[6:7], s[4:5]
	s_cbranch_execnz .LBB11_1463
	s_branch .LBB11_1464
.LBB11_3513:
	s_movk_i32 s4, 0x80
	v_cmp_eq_u16_sdwa s[12:13], v7, s4 src0_sel:BYTE_3 src1_sel:DWORD
	s_mov_b64 s[4:5], -1
                                        ; implicit-def: $sgpr10
	s_and_saveexec_b64 s[8:9], s[12:13]
; %bb.3514:
	s_mov_b32 s10, 0x7f800001
	s_xor_b64 s[4:5], exec, -1
; %bb.3515:
	s_or_b64 exec, exec, s[8:9]
	s_and_b64 s[4:5], s[4:5], exec
	s_or_saveexec_b64 s[6:7], s[6:7]
	v_mov_b32_e32 v2, s10
	s_xor_b64 exec, exec, s[6:7]
	s_cbranch_execz .LBB11_1466
.LBB11_3516:
	v_mov_b32_e32 v2, 0
	v_cmp_ne_u16_sdwa s[8:9], v7, v2 src0_sel:BYTE_3 src1_sel:DWORD
	s_andn2_b64 s[4:5], s[4:5], exec
	s_and_b64 s[8:9], s[8:9], exec
	s_or_b64 s[4:5], s[4:5], s[8:9]
	s_or_b64 exec, exec, s[6:7]
	s_and_saveexec_b64 s[6:7], s[4:5]
	s_cbranch_execnz .LBB11_1467
	s_branch .LBB11_1468
.LBB11_3517:
	s_movk_i32 s4, 0x80
	v_cmp_eq_u16_sdwa s[12:13], v3, s4 src0_sel:BYTE_3 src1_sel:DWORD
	s_mov_b64 s[4:5], -1
                                        ; implicit-def: $sgpr10
	s_and_saveexec_b64 s[8:9], s[12:13]
; %bb.3518:
	s_mov_b32 s10, 0x7f800001
	s_xor_b64 s[4:5], exec, -1
; %bb.3519:
	s_or_b64 exec, exec, s[8:9]
	s_and_b64 s[4:5], s[4:5], exec
	s_or_saveexec_b64 s[6:7], s[6:7]
	v_mov_b32_e32 v6, s10
	s_xor_b64 exec, exec, s[6:7]
	s_cbranch_execz .LBB11_1470
.LBB11_3520:
	v_mov_b32_e32 v6, 0
	v_cmp_ne_u16_sdwa s[8:9], v3, v6 src0_sel:BYTE_3 src1_sel:DWORD
	s_andn2_b64 s[4:5], s[4:5], exec
	s_and_b64 s[8:9], s[8:9], exec
	s_or_b64 s[4:5], s[4:5], s[8:9]
	s_or_b64 exec, exec, s[6:7]
	s_and_saveexec_b64 s[6:7], s[4:5]
	s_cbranch_execnz .LBB11_1471
	s_branch .LBB11_1472
.LBB11_3521:
	s_movk_i32 s4, 0x80
	v_cmp_eq_u16_sdwa s[12:13], v8, s4 src0_sel:BYTE_0 src1_sel:DWORD
	s_mov_b64 s[4:5], -1
                                        ; implicit-def: $sgpr10
	s_and_saveexec_b64 s[8:9], s[12:13]
; %bb.3522:
	s_mov_b32 s10, 0x7f800001
	s_xor_b64 s[4:5], exec, -1
; %bb.3523:
	s_or_b64 exec, exec, s[8:9]
	s_and_b64 s[4:5], s[4:5], exec
	s_or_saveexec_b64 s[6:7], s[6:7]
	v_mov_b32_e32 v2, s10
	s_xor_b64 exec, exec, s[6:7]
	s_cbranch_execz .LBB11_1474
.LBB11_3524:
	v_mov_b32_e32 v2, 0
	v_cmp_ne_u16_sdwa s[8:9], v8, v2 src0_sel:BYTE_0 src1_sel:DWORD
	s_andn2_b64 s[4:5], s[4:5], exec
	s_and_b64 s[8:9], s[8:9], exec
	s_or_b64 s[4:5], s[4:5], s[8:9]
	s_or_b64 exec, exec, s[6:7]
	s_and_saveexec_b64 s[6:7], s[4:5]
	s_cbranch_execnz .LBB11_1475
	s_branch .LBB11_1476
.LBB11_3525:
	s_movk_i32 s4, 0x80
	v_cmp_eq_u16_sdwa s[12:13], v4, s4 src0_sel:BYTE_0 src1_sel:DWORD
	s_mov_b64 s[4:5], -1
                                        ; implicit-def: $sgpr10
	s_and_saveexec_b64 s[8:9], s[12:13]
; %bb.3526:
	s_mov_b32 s10, 0x7f800001
	s_xor_b64 s[4:5], exec, -1
; %bb.3527:
	s_or_b64 exec, exec, s[8:9]
	s_and_b64 s[4:5], s[4:5], exec
	s_or_saveexec_b64 s[6:7], s[6:7]
	v_mov_b32_e32 v3, s10
	s_xor_b64 exec, exec, s[6:7]
	s_cbranch_execz .LBB11_1478
.LBB11_3528:
	v_mov_b32_e32 v3, 0
	v_cmp_ne_u16_sdwa s[8:9], v4, v3 src0_sel:BYTE_0 src1_sel:DWORD
	s_andn2_b64 s[4:5], s[4:5], exec
	s_and_b64 s[8:9], s[8:9], exec
	s_or_b64 s[4:5], s[4:5], s[8:9]
	s_or_b64 exec, exec, s[6:7]
	s_and_saveexec_b64 s[6:7], s[4:5]
	s_cbranch_execnz .LBB11_1479
	s_branch .LBB11_1480
.LBB11_3529:
	s_movk_i32 s4, 0x80
	v_cmp_eq_u16_sdwa s[12:13], v3, s4 src0_sel:BYTE_0 src1_sel:DWORD
	s_mov_b64 s[4:5], -1
                                        ; implicit-def: $sgpr10
	s_and_saveexec_b64 s[8:9], s[12:13]
; %bb.3530:
	s_mov_b32 s10, 0x7f800001
	s_xor_b64 s[4:5], exec, -1
; %bb.3531:
	s_or_b64 exec, exec, s[8:9]
	s_and_b64 s[4:5], s[4:5], exec
	s_or_saveexec_b64 s[6:7], s[6:7]
	v_mov_b32_e32 v2, s10
	s_xor_b64 exec, exec, s[6:7]
	s_cbranch_execz .LBB11_1482
.LBB11_3532:
	v_mov_b32_e32 v2, 0
	v_cmp_ne_u16_sdwa s[8:9], v3, v2 src0_sel:BYTE_0 src1_sel:DWORD
	s_andn2_b64 s[4:5], s[4:5], exec
	s_and_b64 s[8:9], s[8:9], exec
	s_or_b64 s[4:5], s[4:5], s[8:9]
	s_or_b64 exec, exec, s[6:7]
	s_and_saveexec_b64 s[6:7], s[4:5]
	s_cbranch_execnz .LBB11_1483
	s_branch .LBB11_1484
.LBB11_3533:
	s_movk_i32 s4, 0x80
	v_cmp_eq_u16_sdwa s[12:13], v3, s4 src0_sel:BYTE_0 src1_sel:DWORD
	s_mov_b64 s[4:5], -1
                                        ; implicit-def: $sgpr10
	s_and_saveexec_b64 s[8:9], s[12:13]
; %bb.3534:
	s_mov_b32 s10, 0x7f800001
	s_xor_b64 s[4:5], exec, -1
; %bb.3535:
	s_or_b64 exec, exec, s[8:9]
	s_and_b64 s[4:5], s[4:5], exec
	s_or_saveexec_b64 s[6:7], s[6:7]
	v_mov_b32_e32 v6, s10
	s_xor_b64 exec, exec, s[6:7]
	s_cbranch_execz .LBB11_1486
.LBB11_3536:
	v_mov_b32_e32 v6, 0
	v_cmp_ne_u16_sdwa s[8:9], v3, v6 src0_sel:BYTE_0 src1_sel:DWORD
	s_andn2_b64 s[4:5], s[4:5], exec
	s_and_b64 s[8:9], s[8:9], exec
	s_or_b64 s[4:5], s[4:5], s[8:9]
	s_or_b64 exec, exec, s[6:7]
	s_and_saveexec_b64 s[6:7], s[4:5]
	s_cbranch_execnz .LBB11_1487
	s_branch .LBB11_1488
.LBB11_3537:
	s_movk_i32 s4, 0x80
	v_cmp_eq_u16_e32 vcc, s4, v3
	s_mov_b64 s[4:5], -1
                                        ; implicit-def: $sgpr10
	s_and_saveexec_b64 s[8:9], vcc
; %bb.3538:
	s_mov_b32 s10, 0x7f800001
	s_xor_b64 s[4:5], exec, -1
; %bb.3539:
	s_or_b64 exec, exec, s[8:9]
	s_and_b64 s[4:5], s[4:5], exec
                                        ; implicit-def: $vgpr3
	s_or_saveexec_b64 s[6:7], s[6:7]
	v_mov_b32_e32 v2, s10
	s_xor_b64 exec, exec, s[6:7]
	s_cbranch_execz .LBB11_1490
.LBB11_3540:
	v_cmp_ne_u16_e32 vcc, 0, v3
	s_andn2_b64 s[4:5], s[4:5], exec
	s_and_b64 s[8:9], vcc, exec
	v_mov_b32_e32 v2, 0
	s_or_b64 s[4:5], s[4:5], s[8:9]
	s_or_b64 exec, exec, s[6:7]
	s_and_saveexec_b64 s[6:7], s[4:5]
	s_cbranch_execnz .LBB11_1491
	s_branch .LBB11_1492
.LBB11_3541:
	s_movk_i32 s4, 0x80
	v_cmp_eq_u16_e32 vcc, s4, v3
	s_mov_b64 s[4:5], -1
                                        ; implicit-def: $sgpr10
	s_and_saveexec_b64 s[8:9], vcc
; %bb.3542:
	s_mov_b32 s10, 0x7f800001
	s_xor_b64 s[4:5], exec, -1
; %bb.3543:
	s_or_b64 exec, exec, s[8:9]
	s_and_b64 s[4:5], s[4:5], exec
                                        ; implicit-def: $vgpr3
	s_or_saveexec_b64 s[6:7], s[6:7]
	v_mov_b32_e32 v6, s10
	s_xor_b64 exec, exec, s[6:7]
	s_cbranch_execz .LBB11_1494
.LBB11_3544:
	v_cmp_ne_u16_e32 vcc, 0, v3
	s_andn2_b64 s[4:5], s[4:5], exec
	s_and_b64 s[8:9], vcc, exec
	v_mov_b32_e32 v6, 0
	s_or_b64 s[4:5], s[4:5], s[8:9]
	s_or_b64 exec, exec, s[6:7]
	s_and_saveexec_b64 s[6:7], s[4:5]
	s_cbranch_execnz .LBB11_1495
	s_branch .LBB11_1496
.LBB11_3545:
	s_movk_i32 s4, 0x80
	v_cmp_eq_u16_sdwa s[12:13], v8, s4 src0_sel:BYTE_3 src1_sel:DWORD
	s_mov_b64 s[4:5], -1
                                        ; implicit-def: $sgpr10
	s_and_saveexec_b64 s[8:9], s[12:13]
; %bb.3546:
	s_mov_b32 s10, 0x7f800001
	s_xor_b64 s[4:5], exec, -1
; %bb.3547:
	s_or_b64 exec, exec, s[8:9]
	s_and_b64 s[4:5], s[4:5], exec
	s_or_saveexec_b64 s[6:7], s[6:7]
	v_mov_b32_e32 v2, s10
	s_xor_b64 exec, exec, s[6:7]
	s_cbranch_execz .LBB11_1498
.LBB11_3548:
	v_mov_b32_e32 v2, 0
	v_cmp_ne_u16_sdwa s[8:9], v8, v2 src0_sel:BYTE_3 src1_sel:DWORD
	s_andn2_b64 s[4:5], s[4:5], exec
	s_and_b64 s[8:9], s[8:9], exec
	s_or_b64 s[4:5], s[4:5], s[8:9]
	s_or_b64 exec, exec, s[6:7]
	s_and_saveexec_b64 s[6:7], s[4:5]
	s_cbranch_execnz .LBB11_1499
	s_branch .LBB11_1500
.LBB11_3549:
	s_movk_i32 s4, 0x80
	v_cmp_eq_u16_sdwa s[12:13], v4, s4 src0_sel:BYTE_3 src1_sel:DWORD
	s_mov_b64 s[4:5], -1
                                        ; implicit-def: $sgpr10
	s_and_saveexec_b64 s[8:9], s[12:13]
; %bb.3550:
	s_mov_b32 s10, 0x7f800001
	s_xor_b64 s[4:5], exec, -1
; %bb.3551:
	s_or_b64 exec, exec, s[8:9]
	s_and_b64 s[4:5], s[4:5], exec
	s_or_saveexec_b64 s[6:7], s[6:7]
	v_mov_b32_e32 v3, s10
	s_xor_b64 exec, exec, s[6:7]
	s_cbranch_execz .LBB11_1502
.LBB11_3552:
	v_mov_b32_e32 v3, 0
	v_cmp_ne_u16_sdwa s[8:9], v4, v3 src0_sel:BYTE_3 src1_sel:DWORD
	s_andn2_b64 s[4:5], s[4:5], exec
	s_and_b64 s[8:9], s[8:9], exec
	s_or_b64 s[4:5], s[4:5], s[8:9]
	s_or_b64 exec, exec, s[6:7]
	s_and_saveexec_b64 s[6:7], s[4:5]
	s_cbranch_execnz .LBB11_1503
	s_branch .LBB11_1504
.LBB11_3553:
	s_movk_i32 s4, 0x80
	v_cmp_eq_u16_sdwa s[12:13], v9, s4 src0_sel:BYTE_0 src1_sel:DWORD
	s_mov_b64 s[4:5], -1
                                        ; implicit-def: $sgpr10
	s_and_saveexec_b64 s[8:9], s[12:13]
; %bb.3554:
	s_mov_b32 s10, 0x7f800001
	s_xor_b64 s[4:5], exec, -1
; %bb.3555:
	s_or_b64 exec, exec, s[8:9]
	s_and_b64 s[4:5], s[4:5], exec
	s_or_saveexec_b64 s[6:7], s[6:7]
	v_mov_b32_e32 v2, s10
	s_xor_b64 exec, exec, s[6:7]
	s_cbranch_execz .LBB11_1506
.LBB11_3556:
	v_mov_b32_e32 v2, 0
	v_cmp_ne_u16_sdwa s[8:9], v9, v2 src0_sel:BYTE_0 src1_sel:DWORD
	s_andn2_b64 s[4:5], s[4:5], exec
	s_and_b64 s[8:9], s[8:9], exec
	s_or_b64 s[4:5], s[4:5], s[8:9]
	s_or_b64 exec, exec, s[6:7]
	s_and_saveexec_b64 s[6:7], s[4:5]
	s_cbranch_execnz .LBB11_1507
	s_branch .LBB11_1508
.LBB11_3557:
	s_movk_i32 s4, 0x80
	v_cmp_eq_u16_sdwa s[12:13], v5, s4 src0_sel:BYTE_0 src1_sel:DWORD
	s_mov_b64 s[4:5], -1
                                        ; implicit-def: $sgpr10
	s_and_saveexec_b64 s[8:9], s[12:13]
; %bb.3558:
	s_mov_b32 s10, 0x7f800001
	s_xor_b64 s[4:5], exec, -1
; %bb.3559:
	s_or_b64 exec, exec, s[8:9]
	s_and_b64 s[4:5], s[4:5], exec
	s_or_saveexec_b64 s[6:7], s[6:7]
	v_mov_b32_e32 v3, s10
	s_xor_b64 exec, exec, s[6:7]
	s_cbranch_execz .LBB11_1510
.LBB11_3560:
	v_mov_b32_e32 v3, 0
	v_cmp_ne_u16_sdwa s[8:9], v5, v3 src0_sel:BYTE_0 src1_sel:DWORD
	s_andn2_b64 s[4:5], s[4:5], exec
	s_and_b64 s[8:9], s[8:9], exec
	s_or_b64 s[4:5], s[4:5], s[8:9]
	s_or_b64 exec, exec, s[6:7]
	s_and_saveexec_b64 s[6:7], s[4:5]
	s_cbranch_execnz .LBB11_1511
	s_branch .LBB11_1512
.LBB11_3561:
	s_movk_i32 s4, 0x80
	v_cmp_eq_u16_sdwa s[12:13], v3, s4 src0_sel:BYTE_0 src1_sel:DWORD
	s_mov_b64 s[4:5], -1
                                        ; implicit-def: $sgpr10
	s_and_saveexec_b64 s[8:9], s[12:13]
; %bb.3562:
	s_mov_b32 s10, 0x7f800001
	s_xor_b64 s[4:5], exec, -1
; %bb.3563:
	s_or_b64 exec, exec, s[8:9]
	s_and_b64 s[4:5], s[4:5], exec
	s_or_saveexec_b64 s[6:7], s[6:7]
	v_mov_b32_e32 v2, s10
	s_xor_b64 exec, exec, s[6:7]
	s_cbranch_execz .LBB11_1514
.LBB11_3564:
	v_mov_b32_e32 v2, 0
	v_cmp_ne_u16_sdwa s[8:9], v3, v2 src0_sel:BYTE_0 src1_sel:DWORD
	s_andn2_b64 s[4:5], s[4:5], exec
	s_and_b64 s[8:9], s[8:9], exec
	s_or_b64 s[4:5], s[4:5], s[8:9]
	s_or_b64 exec, exec, s[6:7]
	s_and_saveexec_b64 s[6:7], s[4:5]
	s_cbranch_execnz .LBB11_1515
	s_branch .LBB11_1516
.LBB11_3565:
	s_movk_i32 s4, 0x80
	v_cmp_eq_u16_sdwa s[12:13], v3, s4 src0_sel:BYTE_0 src1_sel:DWORD
	s_mov_b64 s[4:5], -1
                                        ; implicit-def: $sgpr10
	s_and_saveexec_b64 s[8:9], s[12:13]
; %bb.3566:
	s_mov_b32 s10, 0x7f800001
	s_xor_b64 s[4:5], exec, -1
; %bb.3567:
	s_or_b64 exec, exec, s[8:9]
	s_and_b64 s[4:5], s[4:5], exec
	s_or_saveexec_b64 s[6:7], s[6:7]
	v_mov_b32_e32 v4, s10
	s_xor_b64 exec, exec, s[6:7]
	s_cbranch_execz .LBB11_1518
.LBB11_3568:
	v_mov_b32_e32 v4, 0
	v_cmp_ne_u16_sdwa s[8:9], v3, v4 src0_sel:BYTE_0 src1_sel:DWORD
	s_andn2_b64 s[4:5], s[4:5], exec
	s_and_b64 s[8:9], s[8:9], exec
	s_or_b64 s[4:5], s[4:5], s[8:9]
	s_or_b64 exec, exec, s[6:7]
	s_and_saveexec_b64 s[6:7], s[4:5]
	s_cbranch_execnz .LBB11_1519
	s_branch .LBB11_1520
.LBB11_3569:
	s_movk_i32 s4, 0x80
	v_cmp_eq_u16_e32 vcc, s4, v3
	s_mov_b64 s[4:5], -1
                                        ; implicit-def: $sgpr10
	s_and_saveexec_b64 s[8:9], vcc
; %bb.3570:
	s_mov_b32 s10, 0x7f800001
	s_xor_b64 s[4:5], exec, -1
; %bb.3571:
	s_or_b64 exec, exec, s[8:9]
	s_and_b64 s[4:5], s[4:5], exec
                                        ; implicit-def: $vgpr3
	s_or_saveexec_b64 s[6:7], s[6:7]
	v_mov_b32_e32 v2, s10
	s_xor_b64 exec, exec, s[6:7]
	s_cbranch_execz .LBB11_1522
.LBB11_3572:
	v_cmp_ne_u16_e32 vcc, 0, v3
	s_andn2_b64 s[4:5], s[4:5], exec
	s_and_b64 s[8:9], vcc, exec
	v_mov_b32_e32 v2, 0
	s_or_b64 s[4:5], s[4:5], s[8:9]
	s_or_b64 exec, exec, s[6:7]
	s_and_saveexec_b64 s[6:7], s[4:5]
	s_cbranch_execnz .LBB11_1523
	s_branch .LBB11_1524
.LBB11_3573:
	s_movk_i32 s4, 0x80
	v_cmp_eq_u16_e32 vcc, s4, v3
	s_mov_b64 s[4:5], -1
                                        ; implicit-def: $sgpr10
	s_and_saveexec_b64 s[8:9], vcc
; %bb.3574:
	s_mov_b32 s10, 0x7f800001
	s_xor_b64 s[4:5], exec, -1
; %bb.3575:
	s_or_b64 exec, exec, s[8:9]
	s_and_b64 s[4:5], s[4:5], exec
                                        ; implicit-def: $vgpr3
	s_or_saveexec_b64 s[6:7], s[6:7]
	v_mov_b32_e32 v4, s10
	s_xor_b64 exec, exec, s[6:7]
	s_cbranch_execz .LBB11_1526
.LBB11_3576:
	v_cmp_ne_u16_e32 vcc, 0, v3
	s_andn2_b64 s[4:5], s[4:5], exec
	s_and_b64 s[8:9], vcc, exec
	v_mov_b32_e32 v4, 0
	s_or_b64 s[4:5], s[4:5], s[8:9]
	s_or_b64 exec, exec, s[6:7]
	s_and_saveexec_b64 s[6:7], s[4:5]
	s_cbranch_execnz .LBB11_1527
	s_branch .LBB11_1528
.LBB11_3577:
	s_movk_i32 s4, 0x80
	v_cmp_eq_u16_sdwa s[12:13], v9, s4 src0_sel:BYTE_3 src1_sel:DWORD
	s_mov_b64 s[4:5], -1
                                        ; implicit-def: $sgpr10
	s_and_saveexec_b64 s[8:9], s[12:13]
; %bb.3578:
	s_mov_b32 s10, 0x7f800001
	s_xor_b64 s[4:5], exec, -1
; %bb.3579:
	s_or_b64 exec, exec, s[8:9]
	s_and_b64 s[4:5], s[4:5], exec
	s_or_saveexec_b64 s[6:7], s[6:7]
	v_mov_b32_e32 v2, s10
	s_xor_b64 exec, exec, s[6:7]
	s_cbranch_execz .LBB11_1530
.LBB11_3580:
	v_mov_b32_e32 v2, 0
	v_cmp_ne_u16_sdwa s[8:9], v9, v2 src0_sel:BYTE_3 src1_sel:DWORD
	s_andn2_b64 s[4:5], s[4:5], exec
	s_and_b64 s[8:9], s[8:9], exec
	s_or_b64 s[4:5], s[4:5], s[8:9]
	s_or_b64 exec, exec, s[6:7]
	s_and_saveexec_b64 s[6:7], s[4:5]
	s_cbranch_execnz .LBB11_1531
	s_branch .LBB11_1532
.LBB11_3581:
	s_movk_i32 s4, 0x80
	v_cmp_eq_u16_sdwa s[12:13], v5, s4 src0_sel:BYTE_3 src1_sel:DWORD
	s_mov_b64 s[4:5], -1
                                        ; implicit-def: $sgpr10
	s_and_saveexec_b64 s[8:9], s[12:13]
; %bb.3582:
	s_mov_b32 s10, 0x7f800001
	s_xor_b64 s[4:5], exec, -1
; %bb.3583:
	s_or_b64 exec, exec, s[8:9]
	s_and_b64 s[4:5], s[4:5], exec
	s_or_saveexec_b64 s[6:7], s[6:7]
	v_mov_b32_e32 v3, s10
	s_xor_b64 exec, exec, s[6:7]
	s_cbranch_execz .LBB11_1534
.LBB11_3584:
	v_mov_b32_e32 v3, 0
	v_cmp_ne_u16_sdwa s[8:9], v5, v3 src0_sel:BYTE_3 src1_sel:DWORD
	s_andn2_b64 s[4:5], s[4:5], exec
	s_and_b64 s[8:9], s[8:9], exec
	s_or_b64 s[4:5], s[4:5], s[8:9]
	s_or_b64 exec, exec, s[6:7]
	s_and_saveexec_b64 s[6:7], s[4:5]
	s_cbranch_execnz .LBB11_1535
	s_branch .LBB11_1536
.LBB11_3585:
	s_movk_i32 s4, 0x80
	v_cmp_eq_u16_sdwa s[12:13], v14, s4 src0_sel:BYTE_0 src1_sel:DWORD
	s_mov_b64 s[4:5], -1
                                        ; implicit-def: $sgpr10
	s_and_saveexec_b64 s[8:9], s[12:13]
; %bb.3586:
	s_mov_b32 s10, 0x7f800001
	s_xor_b64 s[4:5], exec, -1
; %bb.3587:
	s_or_b64 exec, exec, s[8:9]
	s_and_b64 s[4:5], s[4:5], exec
	s_or_saveexec_b64 s[6:7], s[6:7]
	v_mov_b32_e32 v20, s10
	s_xor_b64 exec, exec, s[6:7]
	s_cbranch_execz .LBB11_1538
.LBB11_3588:
	v_mov_b32_e32 v20, 0
	v_cmp_ne_u16_sdwa s[8:9], v14, v20 src0_sel:BYTE_0 src1_sel:DWORD
	s_andn2_b64 s[4:5], s[4:5], exec
	s_and_b64 s[8:9], s[8:9], exec
	s_or_b64 s[4:5], s[4:5], s[8:9]
	s_or_b64 exec, exec, s[6:7]
	s_and_saveexec_b64 s[6:7], s[4:5]
	s_cbranch_execnz .LBB11_1539
	s_branch .LBB11_1540
.LBB11_3589:
	s_movk_i32 s4, 0x80
	v_cmp_eq_u16_sdwa s[12:13], v10, s4 src0_sel:BYTE_0 src1_sel:DWORD
	s_mov_b64 s[4:5], -1
                                        ; implicit-def: $sgpr10
	s_and_saveexec_b64 s[8:9], s[12:13]
; %bb.3590:
	s_mov_b32 s10, 0x7f800001
	s_xor_b64 s[4:5], exec, -1
; %bb.3591:
	s_or_b64 exec, exec, s[8:9]
	s_and_b64 s[4:5], s[4:5], exec
	s_or_saveexec_b64 s[6:7], s[6:7]
	v_mov_b32_e32 v21, s10
	s_xor_b64 exec, exec, s[6:7]
	s_cbranch_execz .LBB11_1542
.LBB11_3592:
	v_mov_b32_e32 v21, 0
	v_cmp_ne_u16_sdwa s[8:9], v10, v21 src0_sel:BYTE_0 src1_sel:DWORD
	s_andn2_b64 s[4:5], s[4:5], exec
	s_and_b64 s[8:9], s[8:9], exec
	s_or_b64 s[4:5], s[4:5], s[8:9]
	s_or_b64 exec, exec, s[6:7]
	s_and_saveexec_b64 s[6:7], s[4:5]
	s_cbranch_execnz .LBB11_1543
	s_branch .LBB11_1544
.LBB11_3593:
	s_movk_i32 s4, 0x80
	v_cmp_eq_u16_sdwa s[12:13], v21, s4 src0_sel:BYTE_0 src1_sel:DWORD
	s_mov_b64 s[4:5], -1
                                        ; implicit-def: $sgpr10
	s_and_saveexec_b64 s[8:9], s[12:13]
; %bb.3594:
	s_mov_b32 s10, 0x7f800001
	s_xor_b64 s[4:5], exec, -1
; %bb.3595:
	s_or_b64 exec, exec, s[8:9]
	s_and_b64 s[4:5], s[4:5], exec
	s_or_saveexec_b64 s[6:7], s[6:7]
	v_mov_b32_e32 v20, s10
	s_xor_b64 exec, exec, s[6:7]
	s_cbranch_execz .LBB11_1546
.LBB11_3596:
	v_mov_b32_e32 v20, 0
	v_cmp_ne_u16_sdwa s[8:9], v21, v20 src0_sel:BYTE_0 src1_sel:DWORD
	s_andn2_b64 s[4:5], s[4:5], exec
	s_and_b64 s[8:9], s[8:9], exec
	s_or_b64 s[4:5], s[4:5], s[8:9]
	s_or_b64 exec, exec, s[6:7]
	s_and_saveexec_b64 s[6:7], s[4:5]
	s_cbranch_execnz .LBB11_1547
	s_branch .LBB11_1548
.LBB11_3597:
	s_movk_i32 s4, 0x80
	v_cmp_eq_u16_sdwa s[12:13], v21, s4 src0_sel:BYTE_0 src1_sel:DWORD
	s_mov_b64 s[4:5], -1
                                        ; implicit-def: $sgpr10
	s_and_saveexec_b64 s[8:9], s[12:13]
; %bb.3598:
	s_mov_b32 s10, 0x7f800001
	s_xor_b64 s[4:5], exec, -1
; %bb.3599:
	s_or_b64 exec, exec, s[8:9]
	s_and_b64 s[4:5], s[4:5], exec
	s_or_saveexec_b64 s[6:7], s[6:7]
	v_mov_b32_e32 v22, s10
	s_xor_b64 exec, exec, s[6:7]
	s_cbranch_execz .LBB11_1550
.LBB11_3600:
	v_mov_b32_e32 v22, 0
	v_cmp_ne_u16_sdwa s[8:9], v21, v22 src0_sel:BYTE_0 src1_sel:DWORD
	s_andn2_b64 s[4:5], s[4:5], exec
	s_and_b64 s[8:9], s[8:9], exec
	s_or_b64 s[4:5], s[4:5], s[8:9]
	s_or_b64 exec, exec, s[6:7]
	s_and_saveexec_b64 s[6:7], s[4:5]
	s_cbranch_execnz .LBB11_1551
	s_branch .LBB11_1552
.LBB11_3601:
	s_movk_i32 s4, 0x80
	v_cmp_eq_u16_e32 vcc, s4, v21
	s_mov_b64 s[4:5], -1
                                        ; implicit-def: $sgpr10
	s_and_saveexec_b64 s[8:9], vcc
; %bb.3602:
	s_mov_b32 s10, 0x7f800001
	s_xor_b64 s[4:5], exec, -1
; %bb.3603:
	s_or_b64 exec, exec, s[8:9]
	s_and_b64 s[4:5], s[4:5], exec
                                        ; implicit-def: $vgpr21
	s_or_saveexec_b64 s[6:7], s[6:7]
	v_mov_b32_e32 v20, s10
	s_xor_b64 exec, exec, s[6:7]
	s_cbranch_execz .LBB11_1554
.LBB11_3604:
	v_cmp_ne_u16_e32 vcc, 0, v21
	s_andn2_b64 s[4:5], s[4:5], exec
	s_and_b64 s[8:9], vcc, exec
	v_mov_b32_e32 v20, 0
	s_or_b64 s[4:5], s[4:5], s[8:9]
	s_or_b64 exec, exec, s[6:7]
	s_and_saveexec_b64 s[6:7], s[4:5]
	s_cbranch_execnz .LBB11_1555
	s_branch .LBB11_1556
.LBB11_3605:
	s_movk_i32 s4, 0x80
	v_cmp_eq_u16_e32 vcc, s4, v21
	s_mov_b64 s[4:5], -1
                                        ; implicit-def: $sgpr10
	s_and_saveexec_b64 s[8:9], vcc
; %bb.3606:
	s_mov_b32 s10, 0x7f800001
	s_xor_b64 s[4:5], exec, -1
; %bb.3607:
	s_or_b64 exec, exec, s[8:9]
	s_and_b64 s[4:5], s[4:5], exec
                                        ; implicit-def: $vgpr21
	s_or_saveexec_b64 s[6:7], s[6:7]
	v_mov_b32_e32 v22, s10
	s_xor_b64 exec, exec, s[6:7]
	s_cbranch_execz .LBB11_1558
.LBB11_3608:
	v_cmp_ne_u16_e32 vcc, 0, v21
	s_andn2_b64 s[4:5], s[4:5], exec
	s_and_b64 s[8:9], vcc, exec
	v_mov_b32_e32 v22, 0
	s_or_b64 s[4:5], s[4:5], s[8:9]
	s_or_b64 exec, exec, s[6:7]
	s_and_saveexec_b64 s[6:7], s[4:5]
	s_cbranch_execnz .LBB11_1559
	s_branch .LBB11_1560
.LBB11_3609:
	s_movk_i32 s4, 0x80
	v_cmp_eq_u16_sdwa s[12:13], v14, s4 src0_sel:BYTE_3 src1_sel:DWORD
	s_mov_b64 s[4:5], -1
                                        ; implicit-def: $sgpr10
	s_and_saveexec_b64 s[8:9], s[12:13]
; %bb.3610:
	s_mov_b32 s10, 0x7f800001
	s_xor_b64 s[4:5], exec, -1
; %bb.3611:
	s_or_b64 exec, exec, s[8:9]
	s_and_b64 s[4:5], s[4:5], exec
	s_or_saveexec_b64 s[6:7], s[6:7]
	v_mov_b32_e32 v20, s10
	s_xor_b64 exec, exec, s[6:7]
	s_cbranch_execz .LBB11_1562
.LBB11_3612:
	v_mov_b32_e32 v20, 0
	v_cmp_ne_u16_sdwa s[8:9], v14, v20 src0_sel:BYTE_3 src1_sel:DWORD
	s_andn2_b64 s[4:5], s[4:5], exec
	s_and_b64 s[8:9], s[8:9], exec
	s_or_b64 s[4:5], s[4:5], s[8:9]
	s_or_b64 exec, exec, s[6:7]
	s_and_saveexec_b64 s[6:7], s[4:5]
	s_cbranch_execnz .LBB11_1563
	s_branch .LBB11_1564
.LBB11_3613:
	s_movk_i32 s4, 0x80
	v_cmp_eq_u16_sdwa s[12:13], v10, s4 src0_sel:BYTE_3 src1_sel:DWORD
	s_mov_b64 s[4:5], -1
                                        ; implicit-def: $sgpr10
	s_and_saveexec_b64 s[8:9], s[12:13]
; %bb.3614:
	s_mov_b32 s10, 0x7f800001
	s_xor_b64 s[4:5], exec, -1
; %bb.3615:
	s_or_b64 exec, exec, s[8:9]
	s_and_b64 s[4:5], s[4:5], exec
	s_or_saveexec_b64 s[6:7], s[6:7]
	v_mov_b32_e32 v14, s10
	s_xor_b64 exec, exec, s[6:7]
	s_cbranch_execz .LBB11_1566
.LBB11_3616:
	v_mov_b32_e32 v14, 0
	v_cmp_ne_u16_sdwa s[8:9], v10, v14 src0_sel:BYTE_3 src1_sel:DWORD
	s_andn2_b64 s[4:5], s[4:5], exec
	s_and_b64 s[8:9], s[8:9], exec
	s_or_b64 s[4:5], s[4:5], s[8:9]
	s_or_b64 exec, exec, s[6:7]
	s_and_saveexec_b64 s[6:7], s[4:5]
	s_cbranch_execnz .LBB11_1567
	s_branch .LBB11_1568
.LBB11_3617:
	s_movk_i32 s4, 0x80
	v_cmp_eq_u16_sdwa s[12:13], v15, s4 src0_sel:BYTE_0 src1_sel:DWORD
	s_mov_b64 s[4:5], -1
                                        ; implicit-def: $sgpr10
	s_and_saveexec_b64 s[8:9], s[12:13]
; %bb.3618:
	s_mov_b32 s10, 0x7f800001
	s_xor_b64 s[4:5], exec, -1
; %bb.3619:
	s_or_b64 exec, exec, s[8:9]
	s_and_b64 s[4:5], s[4:5], exec
	s_or_saveexec_b64 s[6:7], s[6:7]
	v_mov_b32_e32 v10, s10
	s_xor_b64 exec, exec, s[6:7]
	s_cbranch_execz .LBB11_1570
.LBB11_3620:
	v_mov_b32_e32 v10, 0
	v_cmp_ne_u16_sdwa s[8:9], v15, v10 src0_sel:BYTE_0 src1_sel:DWORD
	s_andn2_b64 s[4:5], s[4:5], exec
	s_and_b64 s[8:9], s[8:9], exec
	s_or_b64 s[4:5], s[4:5], s[8:9]
	s_or_b64 exec, exec, s[6:7]
	s_and_saveexec_b64 s[6:7], s[4:5]
	s_cbranch_execnz .LBB11_1571
	s_branch .LBB11_1572
.LBB11_3621:
	s_movk_i32 s4, 0x80
	v_cmp_eq_u16_sdwa s[12:13], v11, s4 src0_sel:BYTE_0 src1_sel:DWORD
	s_mov_b64 s[4:5], -1
                                        ; implicit-def: $sgpr10
	s_and_saveexec_b64 s[8:9], s[12:13]
; %bb.3622:
	s_mov_b32 s10, 0x7f800001
	s_xor_b64 s[4:5], exec, -1
; %bb.3623:
	s_or_b64 exec, exec, s[8:9]
	s_and_b64 s[4:5], s[4:5], exec
	s_or_saveexec_b64 s[6:7], s[6:7]
	v_mov_b32_e32 v14, s10
	s_xor_b64 exec, exec, s[6:7]
	s_cbranch_execz .LBB11_1574
.LBB11_3624:
	v_mov_b32_e32 v14, 0
	v_cmp_ne_u16_sdwa s[8:9], v11, v14 src0_sel:BYTE_0 src1_sel:DWORD
	s_andn2_b64 s[4:5], s[4:5], exec
	s_and_b64 s[8:9], s[8:9], exec
	s_or_b64 s[4:5], s[4:5], s[8:9]
	s_or_b64 exec, exec, s[6:7]
	s_and_saveexec_b64 s[6:7], s[4:5]
	s_cbranch_execnz .LBB11_1575
	s_branch .LBB11_1576
.LBB11_3625:
	s_movk_i32 s4, 0x80
	v_cmp_eq_u16_sdwa s[12:13], v14, s4 src0_sel:BYTE_0 src1_sel:DWORD
	s_mov_b64 s[4:5], -1
                                        ; implicit-def: $sgpr10
	s_and_saveexec_b64 s[8:9], s[12:13]
; %bb.3626:
	s_mov_b32 s10, 0x7f800001
	s_xor_b64 s[4:5], exec, -1
; %bb.3627:
	s_or_b64 exec, exec, s[8:9]
	s_and_b64 s[4:5], s[4:5], exec
	s_or_saveexec_b64 s[6:7], s[6:7]
	v_mov_b32_e32 v10, s10
	s_xor_b64 exec, exec, s[6:7]
	s_cbranch_execz .LBB11_1578
.LBB11_3628:
	v_mov_b32_e32 v10, 0
	v_cmp_ne_u16_sdwa s[8:9], v14, v10 src0_sel:BYTE_0 src1_sel:DWORD
	s_andn2_b64 s[4:5], s[4:5], exec
	s_and_b64 s[8:9], s[8:9], exec
	s_or_b64 s[4:5], s[4:5], s[8:9]
	s_or_b64 exec, exec, s[6:7]
	s_and_saveexec_b64 s[6:7], s[4:5]
	s_cbranch_execnz .LBB11_1579
	s_branch .LBB11_1580
.LBB11_3629:
	s_movk_i32 s4, 0x80
	v_cmp_eq_u16_sdwa s[12:13], v14, s4 src0_sel:BYTE_0 src1_sel:DWORD
	s_mov_b64 s[4:5], -1
                                        ; implicit-def: $sgpr10
	s_and_saveexec_b64 s[8:9], s[12:13]
; %bb.3630:
	s_mov_b32 s10, 0x7f800001
	s_xor_b64 s[4:5], exec, -1
; %bb.3631:
	s_or_b64 exec, exec, s[8:9]
	s_and_b64 s[4:5], s[4:5], exec
	s_or_saveexec_b64 s[6:7], s[6:7]
	v_mov_b32_e32 v20, s10
	s_xor_b64 exec, exec, s[6:7]
	s_cbranch_execz .LBB11_1582
.LBB11_3632:
	v_mov_b32_e32 v20, 0
	v_cmp_ne_u16_sdwa s[8:9], v14, v20 src0_sel:BYTE_0 src1_sel:DWORD
	s_andn2_b64 s[4:5], s[4:5], exec
	s_and_b64 s[8:9], s[8:9], exec
	s_or_b64 s[4:5], s[4:5], s[8:9]
	s_or_b64 exec, exec, s[6:7]
	s_and_saveexec_b64 s[6:7], s[4:5]
	s_cbranch_execnz .LBB11_1583
	s_branch .LBB11_1584
.LBB11_3633:
	s_movk_i32 s4, 0x80
	v_cmp_eq_u16_e32 vcc, s4, v14
	s_mov_b64 s[4:5], -1
                                        ; implicit-def: $sgpr10
	s_and_saveexec_b64 s[8:9], vcc
; %bb.3634:
	s_mov_b32 s10, 0x7f800001
	s_xor_b64 s[4:5], exec, -1
; %bb.3635:
	s_or_b64 exec, exec, s[8:9]
	s_and_b64 s[4:5], s[4:5], exec
                                        ; implicit-def: $vgpr14
	s_or_saveexec_b64 s[6:7], s[6:7]
	v_mov_b32_e32 v10, s10
	s_xor_b64 exec, exec, s[6:7]
	s_cbranch_execz .LBB11_1586
.LBB11_3636:
	v_cmp_ne_u16_e32 vcc, 0, v14
	s_andn2_b64 s[4:5], s[4:5], exec
	s_and_b64 s[8:9], vcc, exec
	v_mov_b32_e32 v10, 0
	s_or_b64 s[4:5], s[4:5], s[8:9]
	s_or_b64 exec, exec, s[6:7]
	s_and_saveexec_b64 s[6:7], s[4:5]
	s_cbranch_execnz .LBB11_1587
	s_branch .LBB11_1588
.LBB11_3637:
	s_movk_i32 s4, 0x80
	v_cmp_eq_u16_e32 vcc, s4, v14
	s_mov_b64 s[4:5], -1
                                        ; implicit-def: $sgpr10
	s_and_saveexec_b64 s[8:9], vcc
; %bb.3638:
	s_mov_b32 s10, 0x7f800001
	s_xor_b64 s[4:5], exec, -1
; %bb.3639:
	s_or_b64 exec, exec, s[8:9]
	s_and_b64 s[4:5], s[4:5], exec
                                        ; implicit-def: $vgpr14
	s_or_saveexec_b64 s[6:7], s[6:7]
	v_mov_b32_e32 v20, s10
	s_xor_b64 exec, exec, s[6:7]
	s_cbranch_execz .LBB11_1590
.LBB11_3640:
	v_cmp_ne_u16_e32 vcc, 0, v14
	s_andn2_b64 s[4:5], s[4:5], exec
	s_and_b64 s[8:9], vcc, exec
	v_mov_b32_e32 v20, 0
	s_or_b64 s[4:5], s[4:5], s[8:9]
	s_or_b64 exec, exec, s[6:7]
	s_and_saveexec_b64 s[6:7], s[4:5]
	s_cbranch_execnz .LBB11_1591
	s_branch .LBB11_1592
.LBB11_3641:
	s_movk_i32 s4, 0x80
	v_cmp_eq_u16_sdwa s[12:13], v15, s4 src0_sel:BYTE_3 src1_sel:DWORD
	s_mov_b64 s[4:5], -1
                                        ; implicit-def: $sgpr10
	s_and_saveexec_b64 s[8:9], s[12:13]
; %bb.3642:
	s_mov_b32 s10, 0x7f800001
	s_xor_b64 s[4:5], exec, -1
; %bb.3643:
	s_or_b64 exec, exec, s[8:9]
	s_and_b64 s[4:5], s[4:5], exec
	s_or_saveexec_b64 s[6:7], s[6:7]
	v_mov_b32_e32 v10, s10
	s_xor_b64 exec, exec, s[6:7]
	s_cbranch_execz .LBB11_1594
.LBB11_3644:
	v_mov_b32_e32 v10, 0
	v_cmp_ne_u16_sdwa s[8:9], v15, v10 src0_sel:BYTE_3 src1_sel:DWORD
	s_andn2_b64 s[4:5], s[4:5], exec
	s_and_b64 s[8:9], s[8:9], exec
	s_or_b64 s[4:5], s[4:5], s[8:9]
	s_or_b64 exec, exec, s[6:7]
	s_and_saveexec_b64 s[6:7], s[4:5]
	s_cbranch_execnz .LBB11_1595
	s_branch .LBB11_1596
.LBB11_3645:
	s_movk_i32 s4, 0x80
	v_cmp_eq_u16_sdwa s[12:13], v11, s4 src0_sel:BYTE_3 src1_sel:DWORD
	s_mov_b64 s[4:5], -1
                                        ; implicit-def: $sgpr10
	s_and_saveexec_b64 s[8:9], s[12:13]
; %bb.3646:
	s_mov_b32 s10, 0x7f800001
	s_xor_b64 s[4:5], exec, -1
; %bb.3647:
	s_or_b64 exec, exec, s[8:9]
	s_and_b64 s[4:5], s[4:5], exec
	s_or_saveexec_b64 s[6:7], s[6:7]
	v_mov_b32_e32 v14, s10
	s_xor_b64 exec, exec, s[6:7]
	s_cbranch_execz .LBB11_1598
.LBB11_3648:
	v_mov_b32_e32 v14, 0
	v_cmp_ne_u16_sdwa s[8:9], v11, v14 src0_sel:BYTE_3 src1_sel:DWORD
	s_andn2_b64 s[4:5], s[4:5], exec
	s_and_b64 s[8:9], s[8:9], exec
	s_or_b64 s[4:5], s[4:5], s[8:9]
	s_or_b64 exec, exec, s[6:7]
	s_and_saveexec_b64 s[6:7], s[4:5]
	s_cbranch_execnz .LBB11_1599
	s_branch .LBB11_1600
.LBB11_3649:
	s_movk_i32 s4, 0x80
	v_cmp_eq_u16_sdwa s[12:13], v16, s4 src0_sel:BYTE_0 src1_sel:DWORD
	s_mov_b64 s[4:5], -1
                                        ; implicit-def: $sgpr10
	s_and_saveexec_b64 s[8:9], s[12:13]
; %bb.3650:
	s_mov_b32 s10, 0x7f800001
	s_xor_b64 s[4:5], exec, -1
; %bb.3651:
	s_or_b64 exec, exec, s[8:9]
	s_and_b64 s[4:5], s[4:5], exec
	s_or_saveexec_b64 s[6:7], s[6:7]
	v_mov_b32_e32 v10, s10
	s_xor_b64 exec, exec, s[6:7]
	s_cbranch_execz .LBB11_1602
.LBB11_3652:
	v_mov_b32_e32 v10, 0
	v_cmp_ne_u16_sdwa s[8:9], v16, v10 src0_sel:BYTE_0 src1_sel:DWORD
	s_andn2_b64 s[4:5], s[4:5], exec
	s_and_b64 s[8:9], s[8:9], exec
	s_or_b64 s[4:5], s[4:5], s[8:9]
	s_or_b64 exec, exec, s[6:7]
	s_and_saveexec_b64 s[6:7], s[4:5]
	s_cbranch_execnz .LBB11_1603
	s_branch .LBB11_1604
.LBB11_3653:
	s_movk_i32 s4, 0x80
	v_cmp_eq_u16_sdwa s[12:13], v12, s4 src0_sel:BYTE_0 src1_sel:DWORD
	s_mov_b64 s[4:5], -1
                                        ; implicit-def: $sgpr10
	s_and_saveexec_b64 s[8:9], s[12:13]
; %bb.3654:
	s_mov_b32 s10, 0x7f800001
	s_xor_b64 s[4:5], exec, -1
; %bb.3655:
	s_or_b64 exec, exec, s[8:9]
	s_and_b64 s[4:5], s[4:5], exec
	s_or_saveexec_b64 s[6:7], s[6:7]
	v_mov_b32_e32 v11, s10
	s_xor_b64 exec, exec, s[6:7]
	s_cbranch_execz .LBB11_1606
.LBB11_3656:
	v_mov_b32_e32 v11, 0
	v_cmp_ne_u16_sdwa s[8:9], v12, v11 src0_sel:BYTE_0 src1_sel:DWORD
	s_andn2_b64 s[4:5], s[4:5], exec
	s_and_b64 s[8:9], s[8:9], exec
	s_or_b64 s[4:5], s[4:5], s[8:9]
	s_or_b64 exec, exec, s[6:7]
	s_and_saveexec_b64 s[6:7], s[4:5]
	s_cbranch_execnz .LBB11_1607
	s_branch .LBB11_1608
.LBB11_3657:
	s_movk_i32 s4, 0x80
	v_cmp_eq_u16_sdwa s[12:13], v11, s4 src0_sel:BYTE_0 src1_sel:DWORD
	s_mov_b64 s[4:5], -1
                                        ; implicit-def: $sgpr10
	s_and_saveexec_b64 s[8:9], s[12:13]
; %bb.3658:
	s_mov_b32 s10, 0x7f800001
	s_xor_b64 s[4:5], exec, -1
; %bb.3659:
	s_or_b64 exec, exec, s[8:9]
	s_and_b64 s[4:5], s[4:5], exec
	s_or_saveexec_b64 s[6:7], s[6:7]
	v_mov_b32_e32 v10, s10
	s_xor_b64 exec, exec, s[6:7]
	s_cbranch_execz .LBB11_1610
.LBB11_3660:
	v_mov_b32_e32 v10, 0
	v_cmp_ne_u16_sdwa s[8:9], v11, v10 src0_sel:BYTE_0 src1_sel:DWORD
	s_andn2_b64 s[4:5], s[4:5], exec
	s_and_b64 s[8:9], s[8:9], exec
	s_or_b64 s[4:5], s[4:5], s[8:9]
	s_or_b64 exec, exec, s[6:7]
	s_and_saveexec_b64 s[6:7], s[4:5]
	s_cbranch_execnz .LBB11_1611
	s_branch .LBB11_1612
.LBB11_3661:
	s_movk_i32 s4, 0x80
	v_cmp_eq_u16_sdwa s[12:13], v11, s4 src0_sel:BYTE_0 src1_sel:DWORD
	s_mov_b64 s[4:5], -1
                                        ; implicit-def: $sgpr10
	s_and_saveexec_b64 s[8:9], s[12:13]
; %bb.3662:
	s_mov_b32 s10, 0x7f800001
	s_xor_b64 s[4:5], exec, -1
; %bb.3663:
	s_or_b64 exec, exec, s[8:9]
	s_and_b64 s[4:5], s[4:5], exec
	s_or_saveexec_b64 s[6:7], s[6:7]
	v_mov_b32_e32 v14, s10
	s_xor_b64 exec, exec, s[6:7]
	s_cbranch_execz .LBB11_1614
.LBB11_3664:
	v_mov_b32_e32 v14, 0
	v_cmp_ne_u16_sdwa s[8:9], v11, v14 src0_sel:BYTE_0 src1_sel:DWORD
	s_andn2_b64 s[4:5], s[4:5], exec
	s_and_b64 s[8:9], s[8:9], exec
	s_or_b64 s[4:5], s[4:5], s[8:9]
	s_or_b64 exec, exec, s[6:7]
	s_and_saveexec_b64 s[6:7], s[4:5]
	s_cbranch_execnz .LBB11_1615
	s_branch .LBB11_1616
.LBB11_3665:
	s_movk_i32 s4, 0x80
	v_cmp_eq_u16_e32 vcc, s4, v11
	s_mov_b64 s[4:5], -1
                                        ; implicit-def: $sgpr10
	s_and_saveexec_b64 s[8:9], vcc
; %bb.3666:
	s_mov_b32 s10, 0x7f800001
	s_xor_b64 s[4:5], exec, -1
; %bb.3667:
	s_or_b64 exec, exec, s[8:9]
	s_and_b64 s[4:5], s[4:5], exec
                                        ; implicit-def: $vgpr11
	s_or_saveexec_b64 s[6:7], s[6:7]
	v_mov_b32_e32 v10, s10
	s_xor_b64 exec, exec, s[6:7]
	s_cbranch_execz .LBB11_1618
.LBB11_3668:
	v_cmp_ne_u16_e32 vcc, 0, v11
	s_andn2_b64 s[4:5], s[4:5], exec
	s_and_b64 s[8:9], vcc, exec
	v_mov_b32_e32 v10, 0
	s_or_b64 s[4:5], s[4:5], s[8:9]
	s_or_b64 exec, exec, s[6:7]
	s_and_saveexec_b64 s[6:7], s[4:5]
	s_cbranch_execnz .LBB11_1619
	s_branch .LBB11_1620
.LBB11_3669:
	s_movk_i32 s4, 0x80
	v_cmp_eq_u16_e32 vcc, s4, v11
	s_mov_b64 s[4:5], -1
                                        ; implicit-def: $sgpr10
	s_and_saveexec_b64 s[8:9], vcc
; %bb.3670:
	s_mov_b32 s10, 0x7f800001
	s_xor_b64 s[4:5], exec, -1
; %bb.3671:
	s_or_b64 exec, exec, s[8:9]
	s_and_b64 s[4:5], s[4:5], exec
                                        ; implicit-def: $vgpr11
	s_or_saveexec_b64 s[6:7], s[6:7]
	v_mov_b32_e32 v14, s10
	s_xor_b64 exec, exec, s[6:7]
	s_cbranch_execz .LBB11_1622
.LBB11_3672:
	v_cmp_ne_u16_e32 vcc, 0, v11
	s_andn2_b64 s[4:5], s[4:5], exec
	s_and_b64 s[8:9], vcc, exec
	v_mov_b32_e32 v14, 0
	s_or_b64 s[4:5], s[4:5], s[8:9]
	s_or_b64 exec, exec, s[6:7]
	s_and_saveexec_b64 s[6:7], s[4:5]
	s_cbranch_execnz .LBB11_1623
	s_branch .LBB11_1624
.LBB11_3673:
	s_movk_i32 s4, 0x80
	v_cmp_eq_u16_sdwa s[12:13], v16, s4 src0_sel:BYTE_3 src1_sel:DWORD
	s_mov_b64 s[4:5], -1
                                        ; implicit-def: $sgpr10
	s_and_saveexec_b64 s[8:9], s[12:13]
; %bb.3674:
	s_mov_b32 s10, 0x7f800001
	s_xor_b64 s[4:5], exec, -1
; %bb.3675:
	s_or_b64 exec, exec, s[8:9]
	s_and_b64 s[4:5], s[4:5], exec
	s_or_saveexec_b64 s[6:7], s[6:7]
	v_mov_b32_e32 v10, s10
	s_xor_b64 exec, exec, s[6:7]
	s_cbranch_execz .LBB11_1626
.LBB11_3676:
	v_mov_b32_e32 v10, 0
	v_cmp_ne_u16_sdwa s[8:9], v16, v10 src0_sel:BYTE_3 src1_sel:DWORD
	s_andn2_b64 s[4:5], s[4:5], exec
	s_and_b64 s[8:9], s[8:9], exec
	s_or_b64 s[4:5], s[4:5], s[8:9]
	s_or_b64 exec, exec, s[6:7]
	s_and_saveexec_b64 s[6:7], s[4:5]
	s_cbranch_execnz .LBB11_1627
	s_branch .LBB11_1628
.LBB11_3677:
	s_movk_i32 s4, 0x80
	v_cmp_eq_u16_sdwa s[12:13], v12, s4 src0_sel:BYTE_3 src1_sel:DWORD
	s_mov_b64 s[4:5], -1
                                        ; implicit-def: $sgpr10
	s_and_saveexec_b64 s[8:9], s[12:13]
; %bb.3678:
	s_mov_b32 s10, 0x7f800001
	s_xor_b64 s[4:5], exec, -1
; %bb.3679:
	s_or_b64 exec, exec, s[8:9]
	s_and_b64 s[4:5], s[4:5], exec
	s_or_saveexec_b64 s[6:7], s[6:7]
	v_mov_b32_e32 v11, s10
	s_xor_b64 exec, exec, s[6:7]
	s_cbranch_execz .LBB11_1630
.LBB11_3680:
	v_mov_b32_e32 v11, 0
	v_cmp_ne_u16_sdwa s[8:9], v12, v11 src0_sel:BYTE_3 src1_sel:DWORD
	s_andn2_b64 s[4:5], s[4:5], exec
	s_and_b64 s[8:9], s[8:9], exec
	s_or_b64 s[4:5], s[4:5], s[8:9]
	s_or_b64 exec, exec, s[6:7]
	s_and_saveexec_b64 s[6:7], s[4:5]
	s_cbranch_execnz .LBB11_1631
	s_branch .LBB11_1632
.LBB11_3681:
	s_movk_i32 s4, 0x80
	v_cmp_eq_u16_sdwa s[12:13], v17, s4 src0_sel:BYTE_0 src1_sel:DWORD
	s_mov_b64 s[4:5], -1
                                        ; implicit-def: $sgpr10
	s_and_saveexec_b64 s[8:9], s[12:13]
; %bb.3682:
	s_mov_b32 s10, 0x7f800001
	s_xor_b64 s[4:5], exec, -1
; %bb.3683:
	s_or_b64 exec, exec, s[8:9]
	s_and_b64 s[4:5], s[4:5], exec
	s_or_saveexec_b64 s[6:7], s[6:7]
	v_mov_b32_e32 v10, s10
	s_xor_b64 exec, exec, s[6:7]
	s_cbranch_execz .LBB11_1634
.LBB11_3684:
	v_mov_b32_e32 v10, 0
	v_cmp_ne_u16_sdwa s[8:9], v17, v10 src0_sel:BYTE_0 src1_sel:DWORD
	s_andn2_b64 s[4:5], s[4:5], exec
	s_and_b64 s[8:9], s[8:9], exec
	s_or_b64 s[4:5], s[4:5], s[8:9]
	s_or_b64 exec, exec, s[6:7]
	s_and_saveexec_b64 s[6:7], s[4:5]
	s_cbranch_execnz .LBB11_1635
	s_branch .LBB11_1636
.LBB11_3685:
	s_movk_i32 s4, 0x80
	v_cmp_eq_u16_sdwa s[12:13], v13, s4 src0_sel:BYTE_0 src1_sel:DWORD
	s_mov_b64 s[4:5], -1
                                        ; implicit-def: $sgpr10
	s_and_saveexec_b64 s[8:9], s[12:13]
; %bb.3686:
	s_mov_b32 s10, 0x7f800001
	s_xor_b64 s[4:5], exec, -1
; %bb.3687:
	s_or_b64 exec, exec, s[8:9]
	s_and_b64 s[4:5], s[4:5], exec
	s_or_saveexec_b64 s[6:7], s[6:7]
	v_mov_b32_e32 v11, s10
	s_xor_b64 exec, exec, s[6:7]
	s_cbranch_execz .LBB11_1638
.LBB11_3688:
	v_mov_b32_e32 v11, 0
	v_cmp_ne_u16_sdwa s[8:9], v13, v11 src0_sel:BYTE_0 src1_sel:DWORD
	s_andn2_b64 s[4:5], s[4:5], exec
	s_and_b64 s[8:9], s[8:9], exec
	s_or_b64 s[4:5], s[4:5], s[8:9]
	s_or_b64 exec, exec, s[6:7]
	s_and_saveexec_b64 s[6:7], s[4:5]
	s_cbranch_execnz .LBB11_1639
	s_branch .LBB11_1640
.LBB11_3689:
	s_movk_i32 s4, 0x80
	v_cmp_eq_u16_sdwa s[12:13], v11, s4 src0_sel:BYTE_0 src1_sel:DWORD
	s_mov_b64 s[4:5], -1
                                        ; implicit-def: $sgpr10
	s_and_saveexec_b64 s[8:9], s[12:13]
; %bb.3690:
	s_mov_b32 s10, 0x7f800001
	s_xor_b64 s[4:5], exec, -1
; %bb.3691:
	s_or_b64 exec, exec, s[8:9]
	s_and_b64 s[4:5], s[4:5], exec
	s_or_saveexec_b64 s[6:7], s[6:7]
	v_mov_b32_e32 v10, s10
	s_xor_b64 exec, exec, s[6:7]
	s_cbranch_execz .LBB11_1642
.LBB11_3692:
	v_mov_b32_e32 v10, 0
	v_cmp_ne_u16_sdwa s[8:9], v11, v10 src0_sel:BYTE_0 src1_sel:DWORD
	s_andn2_b64 s[4:5], s[4:5], exec
	s_and_b64 s[8:9], s[8:9], exec
	s_or_b64 s[4:5], s[4:5], s[8:9]
	s_or_b64 exec, exec, s[6:7]
	s_and_saveexec_b64 s[6:7], s[4:5]
	s_cbranch_execnz .LBB11_1643
	s_branch .LBB11_1644
.LBB11_3693:
	s_movk_i32 s4, 0x80
	v_cmp_eq_u16_sdwa s[12:13], v11, s4 src0_sel:BYTE_0 src1_sel:DWORD
	s_mov_b64 s[4:5], -1
                                        ; implicit-def: $sgpr10
	s_and_saveexec_b64 s[8:9], s[12:13]
; %bb.3694:
	s_mov_b32 s10, 0x7f800001
	s_xor_b64 s[4:5], exec, -1
; %bb.3695:
	s_or_b64 exec, exec, s[8:9]
	s_and_b64 s[4:5], s[4:5], exec
	s_or_saveexec_b64 s[6:7], s[6:7]
	v_mov_b32_e32 v12, s10
	s_xor_b64 exec, exec, s[6:7]
	s_cbranch_execz .LBB11_1646
.LBB11_3696:
	v_mov_b32_e32 v12, 0
	v_cmp_ne_u16_sdwa s[8:9], v11, v12 src0_sel:BYTE_0 src1_sel:DWORD
	s_andn2_b64 s[4:5], s[4:5], exec
	s_and_b64 s[8:9], s[8:9], exec
	s_or_b64 s[4:5], s[4:5], s[8:9]
	s_or_b64 exec, exec, s[6:7]
	s_and_saveexec_b64 s[6:7], s[4:5]
	s_cbranch_execnz .LBB11_1647
	s_branch .LBB11_1648
.LBB11_3697:
	s_movk_i32 s4, 0x80
	v_cmp_eq_u16_e32 vcc, s4, v11
	s_mov_b64 s[4:5], -1
                                        ; implicit-def: $sgpr10
	s_and_saveexec_b64 s[8:9], vcc
; %bb.3698:
	s_mov_b32 s10, 0x7f800001
	s_xor_b64 s[4:5], exec, -1
; %bb.3699:
	s_or_b64 exec, exec, s[8:9]
	s_and_b64 s[4:5], s[4:5], exec
                                        ; implicit-def: $vgpr11
	s_or_saveexec_b64 s[6:7], s[6:7]
	v_mov_b32_e32 v10, s10
	s_xor_b64 exec, exec, s[6:7]
	s_cbranch_execz .LBB11_1650
.LBB11_3700:
	v_cmp_ne_u16_e32 vcc, 0, v11
	s_andn2_b64 s[4:5], s[4:5], exec
	s_and_b64 s[8:9], vcc, exec
	v_mov_b32_e32 v10, 0
	s_or_b64 s[4:5], s[4:5], s[8:9]
	s_or_b64 exec, exec, s[6:7]
	s_and_saveexec_b64 s[6:7], s[4:5]
	s_cbranch_execnz .LBB11_1651
	s_branch .LBB11_1652
.LBB11_3701:
	s_movk_i32 s4, 0x80
	v_cmp_eq_u16_e32 vcc, s4, v11
	s_mov_b64 s[4:5], -1
                                        ; implicit-def: $sgpr10
	s_and_saveexec_b64 s[8:9], vcc
; %bb.3702:
	s_mov_b32 s10, 0x7f800001
	s_xor_b64 s[4:5], exec, -1
; %bb.3703:
	s_or_b64 exec, exec, s[8:9]
	s_and_b64 s[4:5], s[4:5], exec
                                        ; implicit-def: $vgpr11
	s_or_saveexec_b64 s[6:7], s[6:7]
	v_mov_b32_e32 v12, s10
	s_xor_b64 exec, exec, s[6:7]
	s_cbranch_execz .LBB11_1654
.LBB11_3704:
	v_cmp_ne_u16_e32 vcc, 0, v11
	s_andn2_b64 s[4:5], s[4:5], exec
	s_and_b64 s[8:9], vcc, exec
	v_mov_b32_e32 v12, 0
	s_or_b64 s[4:5], s[4:5], s[8:9]
	s_or_b64 exec, exec, s[6:7]
	s_and_saveexec_b64 s[6:7], s[4:5]
	s_cbranch_execnz .LBB11_1655
	s_branch .LBB11_1656
.LBB11_3705:
	s_movk_i32 s4, 0x80
	v_cmp_eq_u16_sdwa s[12:13], v17, s4 src0_sel:BYTE_3 src1_sel:DWORD
	s_mov_b64 s[4:5], -1
                                        ; implicit-def: $sgpr10
	s_and_saveexec_b64 s[8:9], s[12:13]
; %bb.3706:
	s_mov_b32 s10, 0x7f800001
	s_xor_b64 s[4:5], exec, -1
; %bb.3707:
	s_or_b64 exec, exec, s[8:9]
	s_and_b64 s[4:5], s[4:5], exec
	s_or_saveexec_b64 s[6:7], s[6:7]
	v_mov_b32_e32 v10, s10
	s_xor_b64 exec, exec, s[6:7]
	s_cbranch_execz .LBB11_1658
.LBB11_3708:
	v_mov_b32_e32 v10, 0
	v_cmp_ne_u16_sdwa s[8:9], v17, v10 src0_sel:BYTE_3 src1_sel:DWORD
	s_andn2_b64 s[4:5], s[4:5], exec
	s_and_b64 s[8:9], s[8:9], exec
	s_or_b64 s[4:5], s[4:5], s[8:9]
	s_or_b64 exec, exec, s[6:7]
	s_and_saveexec_b64 s[6:7], s[4:5]
	s_cbranch_execnz .LBB11_1659
	s_branch .LBB11_1660
.LBB11_3709:
	s_movk_i32 s4, 0x80
	v_cmp_eq_u16_sdwa s[12:13], v13, s4 src0_sel:BYTE_3 src1_sel:DWORD
	s_mov_b64 s[4:5], -1
                                        ; implicit-def: $sgpr10
	s_and_saveexec_b64 s[8:9], s[12:13]
; %bb.3710:
	s_mov_b32 s10, 0x7f800001
	s_xor_b64 s[4:5], exec, -1
; %bb.3711:
	s_or_b64 exec, exec, s[8:9]
	s_and_b64 s[4:5], s[4:5], exec
	s_or_saveexec_b64 s[6:7], s[6:7]
	v_mov_b32_e32 v11, s10
	s_xor_b64 exec, exec, s[6:7]
	s_cbranch_execz .LBB11_1662
.LBB11_3712:
	v_mov_b32_e32 v11, 0
	v_cmp_ne_u16_sdwa s[8:9], v13, v11 src0_sel:BYTE_3 src1_sel:DWORD
	s_andn2_b64 s[4:5], s[4:5], exec
	s_and_b64 s[8:9], s[8:9], exec
	s_or_b64 s[4:5], s[4:5], s[8:9]
	s_or_b64 exec, exec, s[6:7]
	s_and_saveexec_b64 s[6:7], s[4:5]
	s_cbranch_execnz .LBB11_1663
	s_branch .LBB11_1664
.LBB11_3713:
	s_movk_i32 s4, 0x80
	v_cmp_eq_u16_sdwa s[12:13], v6, s4 src0_sel:BYTE_0 src1_sel:DWORD
	s_mov_b64 s[4:5], -1
                                        ; implicit-def: $sgpr10
	s_and_saveexec_b64 s[8:9], s[12:13]
; %bb.3714:
	s_mov_b32 s10, 0x7f800001
	s_xor_b64 s[4:5], exec, -1
; %bb.3715:
	s_or_b64 exec, exec, s[8:9]
	s_and_b64 s[4:5], s[4:5], exec
	s_or_saveexec_b64 s[6:7], s[6:7]
	v_mov_b32_e32 v10, s10
	s_xor_b64 exec, exec, s[6:7]
	s_cbranch_execz .LBB11_1666
.LBB11_3716:
	v_mov_b32_e32 v10, 0
	v_cmp_ne_u16_sdwa s[8:9], v6, v10 src0_sel:BYTE_0 src1_sel:DWORD
	s_andn2_b64 s[4:5], s[4:5], exec
	s_and_b64 s[8:9], s[8:9], exec
	s_or_b64 s[4:5], s[4:5], s[8:9]
	s_or_b64 exec, exec, s[6:7]
	s_and_saveexec_b64 s[6:7], s[4:5]
	s_cbranch_execnz .LBB11_1667
	s_branch .LBB11_1668
.LBB11_3717:
	s_movk_i32 s4, 0x80
	v_cmp_eq_u16_sdwa s[12:13], v2, s4 src0_sel:BYTE_0 src1_sel:DWORD
	s_mov_b64 s[4:5], -1
                                        ; implicit-def: $sgpr10
	s_and_saveexec_b64 s[8:9], s[12:13]
; %bb.3718:
	s_mov_b32 s10, 0x7f800001
	s_xor_b64 s[4:5], exec, -1
; %bb.3719:
	s_or_b64 exec, exec, s[8:9]
	s_and_b64 s[4:5], s[4:5], exec
	s_or_saveexec_b64 s[6:7], s[6:7]
	v_mov_b32_e32 v11, s10
	s_xor_b64 exec, exec, s[6:7]
	s_cbranch_execz .LBB11_1670
.LBB11_3720:
	v_mov_b32_e32 v11, 0
	v_cmp_ne_u16_sdwa s[8:9], v2, v11 src0_sel:BYTE_0 src1_sel:DWORD
	s_andn2_b64 s[4:5], s[4:5], exec
	s_and_b64 s[8:9], s[8:9], exec
	s_or_b64 s[4:5], s[4:5], s[8:9]
	s_or_b64 exec, exec, s[6:7]
	s_and_saveexec_b64 s[6:7], s[4:5]
	s_cbranch_execnz .LBB11_1671
	s_branch .LBB11_1672
.LBB11_3721:
	s_movk_i32 s4, 0x80
	v_cmp_eq_u16_sdwa s[12:13], v11, s4 src0_sel:BYTE_0 src1_sel:DWORD
	s_mov_b64 s[4:5], -1
                                        ; implicit-def: $sgpr10
	s_and_saveexec_b64 s[8:9], s[12:13]
; %bb.3722:
	s_mov_b32 s10, 0x7f800001
	s_xor_b64 s[4:5], exec, -1
; %bb.3723:
	s_or_b64 exec, exec, s[8:9]
	s_and_b64 s[4:5], s[4:5], exec
	s_or_saveexec_b64 s[6:7], s[6:7]
	v_mov_b32_e32 v10, s10
	s_xor_b64 exec, exec, s[6:7]
	s_cbranch_execz .LBB11_1674
.LBB11_3724:
	v_mov_b32_e32 v10, 0
	v_cmp_ne_u16_sdwa s[8:9], v11, v10 src0_sel:BYTE_0 src1_sel:DWORD
	s_andn2_b64 s[4:5], s[4:5], exec
	s_and_b64 s[8:9], s[8:9], exec
	s_or_b64 s[4:5], s[4:5], s[8:9]
	s_or_b64 exec, exec, s[6:7]
	s_and_saveexec_b64 s[6:7], s[4:5]
	s_cbranch_execnz .LBB11_1675
	s_branch .LBB11_1676
.LBB11_3725:
	s_movk_i32 s4, 0x80
	v_cmp_eq_u16_sdwa s[12:13], v11, s4 src0_sel:BYTE_0 src1_sel:DWORD
	s_mov_b64 s[4:5], -1
                                        ; implicit-def: $sgpr10
	s_and_saveexec_b64 s[8:9], s[12:13]
; %bb.3726:
	s_mov_b32 s10, 0x7f800001
	s_xor_b64 s[4:5], exec, -1
; %bb.3727:
	s_or_b64 exec, exec, s[8:9]
	s_and_b64 s[4:5], s[4:5], exec
	s_or_saveexec_b64 s[6:7], s[6:7]
	v_mov_b32_e32 v12, s10
	s_xor_b64 exec, exec, s[6:7]
	s_cbranch_execz .LBB11_1678
.LBB11_3728:
	v_mov_b32_e32 v12, 0
	v_cmp_ne_u16_sdwa s[8:9], v11, v12 src0_sel:BYTE_0 src1_sel:DWORD
	s_andn2_b64 s[4:5], s[4:5], exec
	s_and_b64 s[8:9], s[8:9], exec
	s_or_b64 s[4:5], s[4:5], s[8:9]
	s_or_b64 exec, exec, s[6:7]
	s_and_saveexec_b64 s[6:7], s[4:5]
	s_cbranch_execnz .LBB11_1679
	s_branch .LBB11_1680
.LBB11_3729:
	s_movk_i32 s4, 0x80
	v_cmp_eq_u16_e32 vcc, s4, v11
	s_mov_b64 s[4:5], -1
                                        ; implicit-def: $sgpr10
	s_and_saveexec_b64 s[8:9], vcc
; %bb.3730:
	s_mov_b32 s10, 0x7f800001
	s_xor_b64 s[4:5], exec, -1
; %bb.3731:
	s_or_b64 exec, exec, s[8:9]
	s_and_b64 s[4:5], s[4:5], exec
                                        ; implicit-def: $vgpr11
	s_or_saveexec_b64 s[6:7], s[6:7]
	v_mov_b32_e32 v10, s10
	s_xor_b64 exec, exec, s[6:7]
	s_cbranch_execz .LBB11_1682
.LBB11_3732:
	v_cmp_ne_u16_e32 vcc, 0, v11
	s_andn2_b64 s[4:5], s[4:5], exec
	s_and_b64 s[8:9], vcc, exec
	v_mov_b32_e32 v10, 0
	s_or_b64 s[4:5], s[4:5], s[8:9]
	s_or_b64 exec, exec, s[6:7]
	s_and_saveexec_b64 s[6:7], s[4:5]
	s_cbranch_execnz .LBB11_1683
	s_branch .LBB11_1684
.LBB11_3733:
	s_movk_i32 s4, 0x80
	v_cmp_eq_u16_e32 vcc, s4, v11
	s_mov_b64 s[4:5], -1
                                        ; implicit-def: $sgpr10
	s_and_saveexec_b64 s[8:9], vcc
; %bb.3734:
	s_mov_b32 s10, 0x7f800001
	s_xor_b64 s[4:5], exec, -1
; %bb.3735:
	s_or_b64 exec, exec, s[8:9]
	s_and_b64 s[4:5], s[4:5], exec
                                        ; implicit-def: $vgpr11
	s_or_saveexec_b64 s[6:7], s[6:7]
	v_mov_b32_e32 v12, s10
	s_xor_b64 exec, exec, s[6:7]
	s_cbranch_execz .LBB11_1686
.LBB11_3736:
	v_cmp_ne_u16_e32 vcc, 0, v11
	s_andn2_b64 s[4:5], s[4:5], exec
	s_and_b64 s[8:9], vcc, exec
	v_mov_b32_e32 v12, 0
	s_or_b64 s[4:5], s[4:5], s[8:9]
	s_or_b64 exec, exec, s[6:7]
	s_and_saveexec_b64 s[6:7], s[4:5]
	s_cbranch_execnz .LBB11_1687
	s_branch .LBB11_1688
.LBB11_3737:
	s_movk_i32 s4, 0x80
	v_cmp_eq_u16_sdwa s[12:13], v6, s4 src0_sel:BYTE_3 src1_sel:DWORD
	s_mov_b64 s[4:5], -1
                                        ; implicit-def: $sgpr10
	s_and_saveexec_b64 s[8:9], s[12:13]
; %bb.3738:
	s_mov_b32 s10, 0x7f800001
	s_xor_b64 s[4:5], exec, -1
; %bb.3739:
	s_or_b64 exec, exec, s[8:9]
	s_and_b64 s[4:5], s[4:5], exec
	s_or_saveexec_b64 s[6:7], s[6:7]
	v_mov_b32_e32 v10, s10
	s_xor_b64 exec, exec, s[6:7]
	s_cbranch_execz .LBB11_1690
.LBB11_3740:
	v_mov_b32_e32 v10, 0
	v_cmp_ne_u16_sdwa s[8:9], v6, v10 src0_sel:BYTE_3 src1_sel:DWORD
	s_andn2_b64 s[4:5], s[4:5], exec
	s_and_b64 s[8:9], s[8:9], exec
	s_or_b64 s[4:5], s[4:5], s[8:9]
	s_or_b64 exec, exec, s[6:7]
	s_and_saveexec_b64 s[6:7], s[4:5]
	s_cbranch_execnz .LBB11_1691
	s_branch .LBB11_1692
.LBB11_3741:
	s_movk_i32 s4, 0x80
	v_cmp_eq_u16_sdwa s[12:13], v2, s4 src0_sel:BYTE_3 src1_sel:DWORD
	s_mov_b64 s[4:5], -1
                                        ; implicit-def: $sgpr10
	s_and_saveexec_b64 s[8:9], s[12:13]
; %bb.3742:
	s_mov_b32 s10, 0x7f800001
	s_xor_b64 s[4:5], exec, -1
; %bb.3743:
	s_or_b64 exec, exec, s[8:9]
	s_and_b64 s[4:5], s[4:5], exec
	s_or_saveexec_b64 s[6:7], s[6:7]
	v_mov_b32_e32 v6, s10
	s_xor_b64 exec, exec, s[6:7]
	s_cbranch_execz .LBB11_1694
.LBB11_3744:
	v_mov_b32_e32 v6, 0
	v_cmp_ne_u16_sdwa s[8:9], v2, v6 src0_sel:BYTE_3 src1_sel:DWORD
	s_andn2_b64 s[4:5], s[4:5], exec
	s_and_b64 s[8:9], s[8:9], exec
	s_or_b64 s[4:5], s[4:5], s[8:9]
	s_or_b64 exec, exec, s[6:7]
	s_and_saveexec_b64 s[6:7], s[4:5]
	s_cbranch_execnz .LBB11_1695
	s_branch .LBB11_1696
.LBB11_3745:
	s_movk_i32 s4, 0x80
	v_cmp_eq_u16_sdwa s[12:13], v7, s4 src0_sel:BYTE_0 src1_sel:DWORD
	s_mov_b64 s[4:5], -1
                                        ; implicit-def: $sgpr10
	s_and_saveexec_b64 s[8:9], s[12:13]
; %bb.3746:
	s_mov_b32 s10, 0x7f800001
	s_xor_b64 s[4:5], exec, -1
; %bb.3747:
	s_or_b64 exec, exec, s[8:9]
	s_and_b64 s[4:5], s[4:5], exec
	s_or_saveexec_b64 s[6:7], s[6:7]
	v_mov_b32_e32 v2, s10
	s_xor_b64 exec, exec, s[6:7]
	s_cbranch_execz .LBB11_1698
.LBB11_3748:
	v_mov_b32_e32 v2, 0
	v_cmp_ne_u16_sdwa s[8:9], v7, v2 src0_sel:BYTE_0 src1_sel:DWORD
	s_andn2_b64 s[4:5], s[4:5], exec
	s_and_b64 s[8:9], s[8:9], exec
	s_or_b64 s[4:5], s[4:5], s[8:9]
	s_or_b64 exec, exec, s[6:7]
	s_and_saveexec_b64 s[6:7], s[4:5]
	s_cbranch_execnz .LBB11_1699
	s_branch .LBB11_1700
.LBB11_3749:
	s_movk_i32 s4, 0x80
	v_cmp_eq_u16_sdwa s[12:13], v3, s4 src0_sel:BYTE_0 src1_sel:DWORD
	s_mov_b64 s[4:5], -1
                                        ; implicit-def: $sgpr10
	s_and_saveexec_b64 s[8:9], s[12:13]
; %bb.3750:
	s_mov_b32 s10, 0x7f800001
	s_xor_b64 s[4:5], exec, -1
; %bb.3751:
	s_or_b64 exec, exec, s[8:9]
	s_and_b64 s[4:5], s[4:5], exec
	s_or_saveexec_b64 s[6:7], s[6:7]
	v_mov_b32_e32 v6, s10
	s_xor_b64 exec, exec, s[6:7]
	s_cbranch_execz .LBB11_1702
.LBB11_3752:
	v_mov_b32_e32 v6, 0
	v_cmp_ne_u16_sdwa s[8:9], v3, v6 src0_sel:BYTE_0 src1_sel:DWORD
	s_andn2_b64 s[4:5], s[4:5], exec
	s_and_b64 s[8:9], s[8:9], exec
	s_or_b64 s[4:5], s[4:5], s[8:9]
	s_or_b64 exec, exec, s[6:7]
	s_and_saveexec_b64 s[6:7], s[4:5]
	s_cbranch_execnz .LBB11_1703
	s_branch .LBB11_1704
.LBB11_3753:
	s_movk_i32 s4, 0x80
	v_cmp_eq_u16_sdwa s[12:13], v6, s4 src0_sel:BYTE_0 src1_sel:DWORD
	s_mov_b64 s[4:5], -1
                                        ; implicit-def: $sgpr10
	s_and_saveexec_b64 s[8:9], s[12:13]
; %bb.3754:
	s_mov_b32 s10, 0x7f800001
	s_xor_b64 s[4:5], exec, -1
; %bb.3755:
	s_or_b64 exec, exec, s[8:9]
	s_and_b64 s[4:5], s[4:5], exec
	s_or_saveexec_b64 s[6:7], s[6:7]
	v_mov_b32_e32 v2, s10
	s_xor_b64 exec, exec, s[6:7]
	s_cbranch_execz .LBB11_1706
.LBB11_3756:
	v_mov_b32_e32 v2, 0
	v_cmp_ne_u16_sdwa s[8:9], v6, v2 src0_sel:BYTE_0 src1_sel:DWORD
	s_andn2_b64 s[4:5], s[4:5], exec
	s_and_b64 s[8:9], s[8:9], exec
	s_or_b64 s[4:5], s[4:5], s[8:9]
	s_or_b64 exec, exec, s[6:7]
	s_and_saveexec_b64 s[6:7], s[4:5]
	s_cbranch_execnz .LBB11_1707
	s_branch .LBB11_1708
.LBB11_3757:
	s_movk_i32 s4, 0x80
	v_cmp_eq_u16_sdwa s[12:13], v6, s4 src0_sel:BYTE_0 src1_sel:DWORD
	s_mov_b64 s[4:5], -1
                                        ; implicit-def: $sgpr10
	s_and_saveexec_b64 s[8:9], s[12:13]
; %bb.3758:
	s_mov_b32 s10, 0x7f800001
	s_xor_b64 s[4:5], exec, -1
; %bb.3759:
	s_or_b64 exec, exec, s[8:9]
	s_and_b64 s[4:5], s[4:5], exec
	s_or_saveexec_b64 s[6:7], s[6:7]
	v_mov_b32_e32 v10, s10
	s_xor_b64 exec, exec, s[6:7]
	s_cbranch_execz .LBB11_1710
.LBB11_3760:
	v_mov_b32_e32 v10, 0
	v_cmp_ne_u16_sdwa s[8:9], v6, v10 src0_sel:BYTE_0 src1_sel:DWORD
	s_andn2_b64 s[4:5], s[4:5], exec
	s_and_b64 s[8:9], s[8:9], exec
	s_or_b64 s[4:5], s[4:5], s[8:9]
	s_or_b64 exec, exec, s[6:7]
	s_and_saveexec_b64 s[6:7], s[4:5]
	s_cbranch_execnz .LBB11_1711
	s_branch .LBB11_1712
.LBB11_3761:
	s_movk_i32 s4, 0x80
	v_cmp_eq_u16_e32 vcc, s4, v6
	s_mov_b64 s[4:5], -1
                                        ; implicit-def: $sgpr10
	s_and_saveexec_b64 s[8:9], vcc
; %bb.3762:
	s_mov_b32 s10, 0x7f800001
	s_xor_b64 s[4:5], exec, -1
; %bb.3763:
	s_or_b64 exec, exec, s[8:9]
	s_and_b64 s[4:5], s[4:5], exec
                                        ; implicit-def: $vgpr6
	s_or_saveexec_b64 s[6:7], s[6:7]
	v_mov_b32_e32 v2, s10
	s_xor_b64 exec, exec, s[6:7]
	s_cbranch_execz .LBB11_1714
.LBB11_3764:
	v_cmp_ne_u16_e32 vcc, 0, v6
	s_andn2_b64 s[4:5], s[4:5], exec
	s_and_b64 s[8:9], vcc, exec
	v_mov_b32_e32 v2, 0
	s_or_b64 s[4:5], s[4:5], s[8:9]
	s_or_b64 exec, exec, s[6:7]
	s_and_saveexec_b64 s[6:7], s[4:5]
	s_cbranch_execnz .LBB11_1715
	s_branch .LBB11_1716
.LBB11_3765:
	s_movk_i32 s4, 0x80
	v_cmp_eq_u16_e32 vcc, s4, v6
	s_mov_b64 s[4:5], -1
                                        ; implicit-def: $sgpr10
	s_and_saveexec_b64 s[8:9], vcc
; %bb.3766:
	s_mov_b32 s10, 0x7f800001
	s_xor_b64 s[4:5], exec, -1
; %bb.3767:
	s_or_b64 exec, exec, s[8:9]
	s_and_b64 s[4:5], s[4:5], exec
                                        ; implicit-def: $vgpr6
	s_or_saveexec_b64 s[6:7], s[6:7]
	v_mov_b32_e32 v10, s10
	s_xor_b64 exec, exec, s[6:7]
	s_cbranch_execz .LBB11_1718
.LBB11_3768:
	v_cmp_ne_u16_e32 vcc, 0, v6
	s_andn2_b64 s[4:5], s[4:5], exec
	s_and_b64 s[8:9], vcc, exec
	v_mov_b32_e32 v10, 0
	s_or_b64 s[4:5], s[4:5], s[8:9]
	s_or_b64 exec, exec, s[6:7]
	s_and_saveexec_b64 s[6:7], s[4:5]
	s_cbranch_execnz .LBB11_1719
	s_branch .LBB11_1720
.LBB11_3769:
	s_movk_i32 s4, 0x80
	v_cmp_eq_u16_sdwa s[12:13], v7, s4 src0_sel:BYTE_3 src1_sel:DWORD
	s_mov_b64 s[4:5], -1
                                        ; implicit-def: $sgpr10
	s_and_saveexec_b64 s[8:9], s[12:13]
; %bb.3770:
	s_mov_b32 s10, 0x7f800001
	s_xor_b64 s[4:5], exec, -1
; %bb.3771:
	s_or_b64 exec, exec, s[8:9]
	s_and_b64 s[4:5], s[4:5], exec
	s_or_saveexec_b64 s[6:7], s[6:7]
	v_mov_b32_e32 v2, s10
	s_xor_b64 exec, exec, s[6:7]
	s_cbranch_execz .LBB11_1722
.LBB11_3772:
	v_mov_b32_e32 v2, 0
	v_cmp_ne_u16_sdwa s[8:9], v7, v2 src0_sel:BYTE_3 src1_sel:DWORD
	s_andn2_b64 s[4:5], s[4:5], exec
	s_and_b64 s[8:9], s[8:9], exec
	s_or_b64 s[4:5], s[4:5], s[8:9]
	s_or_b64 exec, exec, s[6:7]
	s_and_saveexec_b64 s[6:7], s[4:5]
	s_cbranch_execnz .LBB11_1723
	s_branch .LBB11_1724
.LBB11_3773:
	s_movk_i32 s4, 0x80
	v_cmp_eq_u16_sdwa s[12:13], v3, s4 src0_sel:BYTE_3 src1_sel:DWORD
	s_mov_b64 s[4:5], -1
                                        ; implicit-def: $sgpr10
	s_and_saveexec_b64 s[8:9], s[12:13]
; %bb.3774:
	s_mov_b32 s10, 0x7f800001
	s_xor_b64 s[4:5], exec, -1
; %bb.3775:
	s_or_b64 exec, exec, s[8:9]
	s_and_b64 s[4:5], s[4:5], exec
	s_or_saveexec_b64 s[6:7], s[6:7]
	v_mov_b32_e32 v6, s10
	s_xor_b64 exec, exec, s[6:7]
	s_cbranch_execz .LBB11_1726
.LBB11_3776:
	v_mov_b32_e32 v6, 0
	v_cmp_ne_u16_sdwa s[8:9], v3, v6 src0_sel:BYTE_3 src1_sel:DWORD
	s_andn2_b64 s[4:5], s[4:5], exec
	s_and_b64 s[8:9], s[8:9], exec
	s_or_b64 s[4:5], s[4:5], s[8:9]
	s_or_b64 exec, exec, s[6:7]
	s_and_saveexec_b64 s[6:7], s[4:5]
	s_cbranch_execnz .LBB11_1727
	s_branch .LBB11_1728
.LBB11_3777:
	s_movk_i32 s4, 0x80
	v_cmp_eq_u16_sdwa s[12:13], v8, s4 src0_sel:BYTE_0 src1_sel:DWORD
	s_mov_b64 s[4:5], -1
                                        ; implicit-def: $sgpr10
	s_and_saveexec_b64 s[8:9], s[12:13]
; %bb.3778:
	s_mov_b32 s10, 0x7f800001
	s_xor_b64 s[4:5], exec, -1
; %bb.3779:
	s_or_b64 exec, exec, s[8:9]
	s_and_b64 s[4:5], s[4:5], exec
	s_or_saveexec_b64 s[6:7], s[6:7]
	v_mov_b32_e32 v2, s10
	s_xor_b64 exec, exec, s[6:7]
	s_cbranch_execz .LBB11_1730
.LBB11_3780:
	v_mov_b32_e32 v2, 0
	v_cmp_ne_u16_sdwa s[8:9], v8, v2 src0_sel:BYTE_0 src1_sel:DWORD
	s_andn2_b64 s[4:5], s[4:5], exec
	s_and_b64 s[8:9], s[8:9], exec
	s_or_b64 s[4:5], s[4:5], s[8:9]
	s_or_b64 exec, exec, s[6:7]
	s_and_saveexec_b64 s[6:7], s[4:5]
	s_cbranch_execnz .LBB11_1731
	s_branch .LBB11_1732
.LBB11_3781:
	s_movk_i32 s4, 0x80
	v_cmp_eq_u16_sdwa s[12:13], v4, s4 src0_sel:BYTE_0 src1_sel:DWORD
	s_mov_b64 s[4:5], -1
                                        ; implicit-def: $sgpr10
	s_and_saveexec_b64 s[8:9], s[12:13]
; %bb.3782:
	s_mov_b32 s10, 0x7f800001
	s_xor_b64 s[4:5], exec, -1
; %bb.3783:
	s_or_b64 exec, exec, s[8:9]
	s_and_b64 s[4:5], s[4:5], exec
	s_or_saveexec_b64 s[6:7], s[6:7]
	v_mov_b32_e32 v3, s10
	s_xor_b64 exec, exec, s[6:7]
	s_cbranch_execz .LBB11_1734
.LBB11_3784:
	v_mov_b32_e32 v3, 0
	v_cmp_ne_u16_sdwa s[8:9], v4, v3 src0_sel:BYTE_0 src1_sel:DWORD
	s_andn2_b64 s[4:5], s[4:5], exec
	s_and_b64 s[8:9], s[8:9], exec
	s_or_b64 s[4:5], s[4:5], s[8:9]
	s_or_b64 exec, exec, s[6:7]
	s_and_saveexec_b64 s[6:7], s[4:5]
	s_cbranch_execnz .LBB11_1735
	s_branch .LBB11_1736
.LBB11_3785:
	s_movk_i32 s4, 0x80
	v_cmp_eq_u16_sdwa s[12:13], v3, s4 src0_sel:BYTE_0 src1_sel:DWORD
	s_mov_b64 s[4:5], -1
                                        ; implicit-def: $sgpr10
	s_and_saveexec_b64 s[8:9], s[12:13]
; %bb.3786:
	s_mov_b32 s10, 0x7f800001
	s_xor_b64 s[4:5], exec, -1
; %bb.3787:
	s_or_b64 exec, exec, s[8:9]
	s_and_b64 s[4:5], s[4:5], exec
	s_or_saveexec_b64 s[6:7], s[6:7]
	v_mov_b32_e32 v2, s10
	s_xor_b64 exec, exec, s[6:7]
	s_cbranch_execz .LBB11_1738
.LBB11_3788:
	v_mov_b32_e32 v2, 0
	v_cmp_ne_u16_sdwa s[8:9], v3, v2 src0_sel:BYTE_0 src1_sel:DWORD
	s_andn2_b64 s[4:5], s[4:5], exec
	s_and_b64 s[8:9], s[8:9], exec
	s_or_b64 s[4:5], s[4:5], s[8:9]
	s_or_b64 exec, exec, s[6:7]
	s_and_saveexec_b64 s[6:7], s[4:5]
	s_cbranch_execnz .LBB11_1739
	s_branch .LBB11_1740
.LBB11_3789:
	s_movk_i32 s4, 0x80
	v_cmp_eq_u16_sdwa s[12:13], v3, s4 src0_sel:BYTE_0 src1_sel:DWORD
	s_mov_b64 s[4:5], -1
                                        ; implicit-def: $sgpr10
	s_and_saveexec_b64 s[8:9], s[12:13]
; %bb.3790:
	s_mov_b32 s10, 0x7f800001
	s_xor_b64 s[4:5], exec, -1
; %bb.3791:
	s_or_b64 exec, exec, s[8:9]
	s_and_b64 s[4:5], s[4:5], exec
	s_or_saveexec_b64 s[6:7], s[6:7]
	v_mov_b32_e32 v6, s10
	s_xor_b64 exec, exec, s[6:7]
	s_cbranch_execz .LBB11_1742
.LBB11_3792:
	v_mov_b32_e32 v6, 0
	v_cmp_ne_u16_sdwa s[8:9], v3, v6 src0_sel:BYTE_0 src1_sel:DWORD
	s_andn2_b64 s[4:5], s[4:5], exec
	s_and_b64 s[8:9], s[8:9], exec
	s_or_b64 s[4:5], s[4:5], s[8:9]
	s_or_b64 exec, exec, s[6:7]
	s_and_saveexec_b64 s[6:7], s[4:5]
	s_cbranch_execnz .LBB11_1743
	s_branch .LBB11_1744
.LBB11_3793:
	s_movk_i32 s4, 0x80
	v_cmp_eq_u16_e32 vcc, s4, v3
	s_mov_b64 s[4:5], -1
                                        ; implicit-def: $sgpr10
	s_and_saveexec_b64 s[8:9], vcc
; %bb.3794:
	s_mov_b32 s10, 0x7f800001
	s_xor_b64 s[4:5], exec, -1
; %bb.3795:
	s_or_b64 exec, exec, s[8:9]
	s_and_b64 s[4:5], s[4:5], exec
                                        ; implicit-def: $vgpr3
	s_or_saveexec_b64 s[6:7], s[6:7]
	v_mov_b32_e32 v2, s10
	s_xor_b64 exec, exec, s[6:7]
	s_cbranch_execz .LBB11_1746
.LBB11_3796:
	v_cmp_ne_u16_e32 vcc, 0, v3
	s_andn2_b64 s[4:5], s[4:5], exec
	s_and_b64 s[8:9], vcc, exec
	v_mov_b32_e32 v2, 0
	s_or_b64 s[4:5], s[4:5], s[8:9]
	s_or_b64 exec, exec, s[6:7]
	s_and_saveexec_b64 s[6:7], s[4:5]
	s_cbranch_execnz .LBB11_1747
	s_branch .LBB11_1748
.LBB11_3797:
	s_movk_i32 s4, 0x80
	v_cmp_eq_u16_e32 vcc, s4, v3
	s_mov_b64 s[4:5], -1
                                        ; implicit-def: $sgpr10
	s_and_saveexec_b64 s[8:9], vcc
; %bb.3798:
	s_mov_b32 s10, 0x7f800001
	s_xor_b64 s[4:5], exec, -1
; %bb.3799:
	s_or_b64 exec, exec, s[8:9]
	s_and_b64 s[4:5], s[4:5], exec
                                        ; implicit-def: $vgpr3
	s_or_saveexec_b64 s[6:7], s[6:7]
	v_mov_b32_e32 v6, s10
	s_xor_b64 exec, exec, s[6:7]
	s_cbranch_execz .LBB11_1750
.LBB11_3800:
	v_cmp_ne_u16_e32 vcc, 0, v3
	s_andn2_b64 s[4:5], s[4:5], exec
	s_and_b64 s[8:9], vcc, exec
	v_mov_b32_e32 v6, 0
	s_or_b64 s[4:5], s[4:5], s[8:9]
	s_or_b64 exec, exec, s[6:7]
	s_and_saveexec_b64 s[6:7], s[4:5]
	s_cbranch_execnz .LBB11_1751
	s_branch .LBB11_1752
.LBB11_3801:
	s_movk_i32 s4, 0x80
	v_cmp_eq_u16_sdwa s[12:13], v8, s4 src0_sel:BYTE_3 src1_sel:DWORD
	s_mov_b64 s[4:5], -1
                                        ; implicit-def: $sgpr10
	s_and_saveexec_b64 s[8:9], s[12:13]
; %bb.3802:
	s_mov_b32 s10, 0x7f800001
	s_xor_b64 s[4:5], exec, -1
; %bb.3803:
	s_or_b64 exec, exec, s[8:9]
	s_and_b64 s[4:5], s[4:5], exec
	s_or_saveexec_b64 s[6:7], s[6:7]
	v_mov_b32_e32 v2, s10
	s_xor_b64 exec, exec, s[6:7]
	s_cbranch_execz .LBB11_1754
.LBB11_3804:
	v_mov_b32_e32 v2, 0
	v_cmp_ne_u16_sdwa s[8:9], v8, v2 src0_sel:BYTE_3 src1_sel:DWORD
	s_andn2_b64 s[4:5], s[4:5], exec
	s_and_b64 s[8:9], s[8:9], exec
	s_or_b64 s[4:5], s[4:5], s[8:9]
	s_or_b64 exec, exec, s[6:7]
	s_and_saveexec_b64 s[6:7], s[4:5]
	s_cbranch_execnz .LBB11_1755
	s_branch .LBB11_1756
.LBB11_3805:
	s_movk_i32 s4, 0x80
	v_cmp_eq_u16_sdwa s[12:13], v4, s4 src0_sel:BYTE_3 src1_sel:DWORD
	s_mov_b64 s[4:5], -1
                                        ; implicit-def: $sgpr10
	s_and_saveexec_b64 s[8:9], s[12:13]
; %bb.3806:
	s_mov_b32 s10, 0x7f800001
	s_xor_b64 s[4:5], exec, -1
; %bb.3807:
	s_or_b64 exec, exec, s[8:9]
	s_and_b64 s[4:5], s[4:5], exec
	s_or_saveexec_b64 s[6:7], s[6:7]
	v_mov_b32_e32 v3, s10
	s_xor_b64 exec, exec, s[6:7]
	s_cbranch_execz .LBB11_1758
.LBB11_3808:
	v_mov_b32_e32 v3, 0
	v_cmp_ne_u16_sdwa s[8:9], v4, v3 src0_sel:BYTE_3 src1_sel:DWORD
	s_andn2_b64 s[4:5], s[4:5], exec
	s_and_b64 s[8:9], s[8:9], exec
	s_or_b64 s[4:5], s[4:5], s[8:9]
	s_or_b64 exec, exec, s[6:7]
	s_and_saveexec_b64 s[6:7], s[4:5]
	s_cbranch_execnz .LBB11_1759
	s_branch .LBB11_1760
.LBB11_3809:
	s_movk_i32 s4, 0x80
	v_cmp_eq_u16_sdwa s[12:13], v9, s4 src0_sel:BYTE_0 src1_sel:DWORD
	s_mov_b64 s[4:5], -1
                                        ; implicit-def: $sgpr10
	s_and_saveexec_b64 s[8:9], s[12:13]
; %bb.3810:
	s_mov_b32 s10, 0x7f800001
	s_xor_b64 s[4:5], exec, -1
; %bb.3811:
	s_or_b64 exec, exec, s[8:9]
	s_and_b64 s[4:5], s[4:5], exec
	s_or_saveexec_b64 s[6:7], s[6:7]
	v_mov_b32_e32 v2, s10
	s_xor_b64 exec, exec, s[6:7]
	s_cbranch_execz .LBB11_1762
.LBB11_3812:
	v_mov_b32_e32 v2, 0
	v_cmp_ne_u16_sdwa s[8:9], v9, v2 src0_sel:BYTE_0 src1_sel:DWORD
	s_andn2_b64 s[4:5], s[4:5], exec
	s_and_b64 s[8:9], s[8:9], exec
	s_or_b64 s[4:5], s[4:5], s[8:9]
	s_or_b64 exec, exec, s[6:7]
	s_and_saveexec_b64 s[6:7], s[4:5]
	s_cbranch_execnz .LBB11_1763
	s_branch .LBB11_1764
.LBB11_3813:
	s_movk_i32 s4, 0x80
	v_cmp_eq_u16_sdwa s[12:13], v5, s4 src0_sel:BYTE_0 src1_sel:DWORD
	s_mov_b64 s[4:5], -1
                                        ; implicit-def: $sgpr10
	s_and_saveexec_b64 s[8:9], s[12:13]
; %bb.3814:
	s_mov_b32 s10, 0x7f800001
	s_xor_b64 s[4:5], exec, -1
; %bb.3815:
	s_or_b64 exec, exec, s[8:9]
	s_and_b64 s[4:5], s[4:5], exec
	s_or_saveexec_b64 s[6:7], s[6:7]
	v_mov_b32_e32 v3, s10
	s_xor_b64 exec, exec, s[6:7]
	s_cbranch_execz .LBB11_1766
.LBB11_3816:
	v_mov_b32_e32 v3, 0
	v_cmp_ne_u16_sdwa s[8:9], v5, v3 src0_sel:BYTE_0 src1_sel:DWORD
	s_andn2_b64 s[4:5], s[4:5], exec
	s_and_b64 s[8:9], s[8:9], exec
	s_or_b64 s[4:5], s[4:5], s[8:9]
	s_or_b64 exec, exec, s[6:7]
	s_and_saveexec_b64 s[6:7], s[4:5]
	s_cbranch_execnz .LBB11_1767
	s_branch .LBB11_1768
.LBB11_3817:
	s_movk_i32 s4, 0x80
	v_cmp_eq_u16_sdwa s[12:13], v3, s4 src0_sel:BYTE_0 src1_sel:DWORD
	s_mov_b64 s[4:5], -1
                                        ; implicit-def: $sgpr10
	s_and_saveexec_b64 s[8:9], s[12:13]
; %bb.3818:
	s_mov_b32 s10, 0x7f800001
	s_xor_b64 s[4:5], exec, -1
; %bb.3819:
	s_or_b64 exec, exec, s[8:9]
	s_and_b64 s[4:5], s[4:5], exec
	s_or_saveexec_b64 s[6:7], s[6:7]
	v_mov_b32_e32 v2, s10
	s_xor_b64 exec, exec, s[6:7]
	s_cbranch_execz .LBB11_1770
.LBB11_3820:
	v_mov_b32_e32 v2, 0
	v_cmp_ne_u16_sdwa s[8:9], v3, v2 src0_sel:BYTE_0 src1_sel:DWORD
	s_andn2_b64 s[4:5], s[4:5], exec
	s_and_b64 s[8:9], s[8:9], exec
	s_or_b64 s[4:5], s[4:5], s[8:9]
	s_or_b64 exec, exec, s[6:7]
	s_and_saveexec_b64 s[6:7], s[4:5]
	s_cbranch_execnz .LBB11_1771
	s_branch .LBB11_1772
.LBB11_3821:
	s_movk_i32 s4, 0x80
	v_cmp_eq_u16_sdwa s[12:13], v3, s4 src0_sel:BYTE_0 src1_sel:DWORD
	s_mov_b64 s[4:5], -1
                                        ; implicit-def: $sgpr10
	s_and_saveexec_b64 s[8:9], s[12:13]
; %bb.3822:
	s_mov_b32 s10, 0x7f800001
	s_xor_b64 s[4:5], exec, -1
; %bb.3823:
	s_or_b64 exec, exec, s[8:9]
	s_and_b64 s[4:5], s[4:5], exec
	s_or_saveexec_b64 s[6:7], s[6:7]
	v_mov_b32_e32 v4, s10
	s_xor_b64 exec, exec, s[6:7]
	s_cbranch_execz .LBB11_1774
.LBB11_3824:
	v_mov_b32_e32 v4, 0
	v_cmp_ne_u16_sdwa s[8:9], v3, v4 src0_sel:BYTE_0 src1_sel:DWORD
	s_andn2_b64 s[4:5], s[4:5], exec
	s_and_b64 s[8:9], s[8:9], exec
	s_or_b64 s[4:5], s[4:5], s[8:9]
	s_or_b64 exec, exec, s[6:7]
	s_and_saveexec_b64 s[6:7], s[4:5]
	s_cbranch_execnz .LBB11_1775
	s_branch .LBB11_1776
.LBB11_3825:
	s_movk_i32 s4, 0x80
	v_cmp_eq_u16_e32 vcc, s4, v3
	s_mov_b64 s[4:5], -1
                                        ; implicit-def: $sgpr10
	s_and_saveexec_b64 s[8:9], vcc
; %bb.3826:
	s_mov_b32 s10, 0x7f800001
	s_xor_b64 s[4:5], exec, -1
; %bb.3827:
	s_or_b64 exec, exec, s[8:9]
	s_and_b64 s[4:5], s[4:5], exec
                                        ; implicit-def: $vgpr3
	s_or_saveexec_b64 s[6:7], s[6:7]
	v_mov_b32_e32 v2, s10
	s_xor_b64 exec, exec, s[6:7]
	s_cbranch_execz .LBB11_1778
.LBB11_3828:
	v_cmp_ne_u16_e32 vcc, 0, v3
	s_andn2_b64 s[4:5], s[4:5], exec
	s_and_b64 s[8:9], vcc, exec
	v_mov_b32_e32 v2, 0
	s_or_b64 s[4:5], s[4:5], s[8:9]
	s_or_b64 exec, exec, s[6:7]
	s_and_saveexec_b64 s[6:7], s[4:5]
	s_cbranch_execnz .LBB11_1779
	s_branch .LBB11_1780
.LBB11_3829:
	s_movk_i32 s4, 0x80
	v_cmp_eq_u16_e32 vcc, s4, v3
	s_mov_b64 s[4:5], -1
                                        ; implicit-def: $sgpr10
	s_and_saveexec_b64 s[8:9], vcc
; %bb.3830:
	s_mov_b32 s10, 0x7f800001
	s_xor_b64 s[4:5], exec, -1
; %bb.3831:
	s_or_b64 exec, exec, s[8:9]
	s_and_b64 s[4:5], s[4:5], exec
                                        ; implicit-def: $vgpr3
	s_or_saveexec_b64 s[6:7], s[6:7]
	v_mov_b32_e32 v4, s10
	s_xor_b64 exec, exec, s[6:7]
	s_cbranch_execz .LBB11_1782
.LBB11_3832:
	v_cmp_ne_u16_e32 vcc, 0, v3
	s_andn2_b64 s[4:5], s[4:5], exec
	s_and_b64 s[8:9], vcc, exec
	v_mov_b32_e32 v4, 0
	s_or_b64 s[4:5], s[4:5], s[8:9]
	s_or_b64 exec, exec, s[6:7]
	s_and_saveexec_b64 s[6:7], s[4:5]
	s_cbranch_execnz .LBB11_1783
	s_branch .LBB11_1784
.LBB11_3833:
	s_movk_i32 s4, 0x80
	v_cmp_eq_u16_sdwa s[12:13], v9, s4 src0_sel:BYTE_3 src1_sel:DWORD
	s_mov_b64 s[4:5], -1
                                        ; implicit-def: $sgpr10
	s_and_saveexec_b64 s[8:9], s[12:13]
; %bb.3834:
	s_mov_b32 s10, 0x7f800001
	s_xor_b64 s[4:5], exec, -1
; %bb.3835:
	s_or_b64 exec, exec, s[8:9]
	s_and_b64 s[4:5], s[4:5], exec
	s_or_saveexec_b64 s[6:7], s[6:7]
	v_mov_b32_e32 v2, s10
	s_xor_b64 exec, exec, s[6:7]
	s_cbranch_execz .LBB11_1786
.LBB11_3836:
	v_mov_b32_e32 v2, 0
	v_cmp_ne_u16_sdwa s[8:9], v9, v2 src0_sel:BYTE_3 src1_sel:DWORD
	s_andn2_b64 s[4:5], s[4:5], exec
	s_and_b64 s[8:9], s[8:9], exec
	s_or_b64 s[4:5], s[4:5], s[8:9]
	s_or_b64 exec, exec, s[6:7]
	s_and_saveexec_b64 s[6:7], s[4:5]
	s_cbranch_execnz .LBB11_1787
	s_branch .LBB11_1788
.LBB11_3837:
	s_movk_i32 s4, 0x80
	v_cmp_eq_u16_sdwa s[12:13], v5, s4 src0_sel:BYTE_3 src1_sel:DWORD
	s_mov_b64 s[4:5], -1
                                        ; implicit-def: $sgpr10
	s_and_saveexec_b64 s[8:9], s[12:13]
; %bb.3838:
	s_mov_b32 s10, 0x7f800001
	s_xor_b64 s[4:5], exec, -1
; %bb.3839:
	s_or_b64 exec, exec, s[8:9]
	s_and_b64 s[4:5], s[4:5], exec
	s_or_saveexec_b64 s[6:7], s[6:7]
	v_mov_b32_e32 v3, s10
	s_xor_b64 exec, exec, s[6:7]
	s_cbranch_execz .LBB11_1790
.LBB11_3840:
	v_mov_b32_e32 v3, 0
	v_cmp_ne_u16_sdwa s[8:9], v5, v3 src0_sel:BYTE_3 src1_sel:DWORD
	s_andn2_b64 s[4:5], s[4:5], exec
	s_and_b64 s[8:9], s[8:9], exec
	s_or_b64 s[4:5], s[4:5], s[8:9]
	s_or_b64 exec, exec, s[6:7]
	s_and_saveexec_b64 s[6:7], s[4:5]
	s_cbranch_execnz .LBB11_1791
	s_branch .LBB11_1792
.LBB11_3841:
	s_movk_i32 s4, 0x80
	v_cmp_eq_u16_sdwa s[12:13], v12, s4 src0_sel:BYTE_0 src1_sel:DWORD
	s_mov_b64 s[4:5], -1
                                        ; implicit-def: $sgpr10
	s_and_saveexec_b64 s[8:9], s[12:13]
; %bb.3842:
	s_mov_b32 s10, 0x7f800001
	s_xor_b64 s[4:5], exec, -1
; %bb.3843:
	s_or_b64 exec, exec, s[8:9]
	s_and_b64 s[4:5], s[4:5], exec
	s_or_saveexec_b64 s[6:7], s[6:7]
	v_mov_b32_e32 v18, s10
	s_xor_b64 exec, exec, s[6:7]
	s_cbranch_execz .LBB11_1794
.LBB11_3844:
	v_mov_b32_e32 v18, 0
	v_cmp_ne_u16_sdwa s[8:9], v12, v18 src0_sel:BYTE_0 src1_sel:DWORD
	s_andn2_b64 s[4:5], s[4:5], exec
	s_and_b64 s[8:9], s[8:9], exec
	s_or_b64 s[4:5], s[4:5], s[8:9]
	s_or_b64 exec, exec, s[6:7]
	s_and_saveexec_b64 s[6:7], s[4:5]
	s_cbranch_execnz .LBB11_1795
	s_branch .LBB11_1796
.LBB11_3845:
	s_movk_i32 s4, 0x80
	v_cmp_eq_u16_sdwa s[12:13], v8, s4 src0_sel:BYTE_0 src1_sel:DWORD
	s_mov_b64 s[4:5], -1
                                        ; implicit-def: $sgpr10
	s_and_saveexec_b64 s[8:9], s[12:13]
; %bb.3846:
	s_mov_b32 s10, 0x7f800001
	s_xor_b64 s[4:5], exec, -1
; %bb.3847:
	s_or_b64 exec, exec, s[8:9]
	s_and_b64 s[4:5], s[4:5], exec
	s_or_saveexec_b64 s[6:7], s[6:7]
	v_mov_b32_e32 v19, s10
	s_xor_b64 exec, exec, s[6:7]
	s_cbranch_execz .LBB11_1798
.LBB11_3848:
	v_mov_b32_e32 v19, 0
	v_cmp_ne_u16_sdwa s[8:9], v8, v19 src0_sel:BYTE_0 src1_sel:DWORD
	s_andn2_b64 s[4:5], s[4:5], exec
	s_and_b64 s[8:9], s[8:9], exec
	s_or_b64 s[4:5], s[4:5], s[8:9]
	s_or_b64 exec, exec, s[6:7]
	s_and_saveexec_b64 s[6:7], s[4:5]
	s_cbranch_execnz .LBB11_1799
	s_branch .LBB11_1800
.LBB11_3849:
	s_movk_i32 s4, 0x80
	v_cmp_eq_u16_sdwa s[12:13], v19, s4 src0_sel:BYTE_0 src1_sel:DWORD
	s_mov_b64 s[4:5], -1
                                        ; implicit-def: $sgpr10
	s_and_saveexec_b64 s[8:9], s[12:13]
; %bb.3850:
	s_mov_b32 s10, 0x7f800001
	s_xor_b64 s[4:5], exec, -1
; %bb.3851:
	s_or_b64 exec, exec, s[8:9]
	s_and_b64 s[4:5], s[4:5], exec
	s_or_saveexec_b64 s[6:7], s[6:7]
	v_mov_b32_e32 v18, s10
	s_xor_b64 exec, exec, s[6:7]
	s_cbranch_execz .LBB11_1802
.LBB11_3852:
	v_mov_b32_e32 v18, 0
	v_cmp_ne_u16_sdwa s[8:9], v19, v18 src0_sel:BYTE_0 src1_sel:DWORD
	s_andn2_b64 s[4:5], s[4:5], exec
	s_and_b64 s[8:9], s[8:9], exec
	s_or_b64 s[4:5], s[4:5], s[8:9]
	s_or_b64 exec, exec, s[6:7]
	s_and_saveexec_b64 s[6:7], s[4:5]
	s_cbranch_execnz .LBB11_1803
	s_branch .LBB11_1804
.LBB11_3853:
	s_movk_i32 s4, 0x80
	v_cmp_eq_u16_sdwa s[12:13], v19, s4 src0_sel:BYTE_0 src1_sel:DWORD
	s_mov_b64 s[4:5], -1
                                        ; implicit-def: $sgpr10
	s_and_saveexec_b64 s[8:9], s[12:13]
; %bb.3854:
	s_mov_b32 s10, 0x7f800001
	s_xor_b64 s[4:5], exec, -1
; %bb.3855:
	s_or_b64 exec, exec, s[8:9]
	s_and_b64 s[4:5], s[4:5], exec
	s_or_saveexec_b64 s[6:7], s[6:7]
	v_mov_b32_e32 v20, s10
	s_xor_b64 exec, exec, s[6:7]
	s_cbranch_execz .LBB11_1806
.LBB11_3856:
	v_mov_b32_e32 v20, 0
	v_cmp_ne_u16_sdwa s[8:9], v19, v20 src0_sel:BYTE_0 src1_sel:DWORD
	s_andn2_b64 s[4:5], s[4:5], exec
	s_and_b64 s[8:9], s[8:9], exec
	s_or_b64 s[4:5], s[4:5], s[8:9]
	s_or_b64 exec, exec, s[6:7]
	s_and_saveexec_b64 s[6:7], s[4:5]
	s_cbranch_execnz .LBB11_1807
	s_branch .LBB11_1808
.LBB11_3857:
	s_movk_i32 s4, 0x80
	v_cmp_eq_u16_e32 vcc, s4, v19
	s_mov_b64 s[4:5], -1
                                        ; implicit-def: $sgpr10
	s_and_saveexec_b64 s[8:9], vcc
; %bb.3858:
	s_mov_b32 s10, 0x7f800001
	s_xor_b64 s[4:5], exec, -1
; %bb.3859:
	s_or_b64 exec, exec, s[8:9]
	s_and_b64 s[4:5], s[4:5], exec
                                        ; implicit-def: $vgpr19
	s_or_saveexec_b64 s[6:7], s[6:7]
	v_mov_b32_e32 v18, s10
	s_xor_b64 exec, exec, s[6:7]
	s_cbranch_execz .LBB11_1810
.LBB11_3860:
	v_cmp_ne_u16_e32 vcc, 0, v19
	s_andn2_b64 s[4:5], s[4:5], exec
	s_and_b64 s[8:9], vcc, exec
	v_mov_b32_e32 v18, 0
	s_or_b64 s[4:5], s[4:5], s[8:9]
	s_or_b64 exec, exec, s[6:7]
	s_and_saveexec_b64 s[6:7], s[4:5]
	s_cbranch_execnz .LBB11_1811
	s_branch .LBB11_1812
.LBB11_3861:
	s_movk_i32 s4, 0x80
	v_cmp_eq_u16_e32 vcc, s4, v19
	s_mov_b64 s[4:5], -1
                                        ; implicit-def: $sgpr10
	s_and_saveexec_b64 s[8:9], vcc
; %bb.3862:
	s_mov_b32 s10, 0x7f800001
	s_xor_b64 s[4:5], exec, -1
; %bb.3863:
	s_or_b64 exec, exec, s[8:9]
	s_and_b64 s[4:5], s[4:5], exec
                                        ; implicit-def: $vgpr19
	s_or_saveexec_b64 s[6:7], s[6:7]
	v_mov_b32_e32 v20, s10
	s_xor_b64 exec, exec, s[6:7]
	s_cbranch_execz .LBB11_1814
.LBB11_3864:
	v_cmp_ne_u16_e32 vcc, 0, v19
	s_andn2_b64 s[4:5], s[4:5], exec
	s_and_b64 s[8:9], vcc, exec
	v_mov_b32_e32 v20, 0
	s_or_b64 s[4:5], s[4:5], s[8:9]
	s_or_b64 exec, exec, s[6:7]
	s_and_saveexec_b64 s[6:7], s[4:5]
	s_cbranch_execnz .LBB11_1815
	s_branch .LBB11_1816
.LBB11_3865:
	s_movk_i32 s4, 0x80
	v_cmp_eq_u16_sdwa s[12:13], v12, s4 src0_sel:BYTE_3 src1_sel:DWORD
	s_mov_b64 s[4:5], -1
                                        ; implicit-def: $sgpr10
	s_and_saveexec_b64 s[8:9], s[12:13]
; %bb.3866:
	s_mov_b32 s10, 0x7f800001
	s_xor_b64 s[4:5], exec, -1
; %bb.3867:
	s_or_b64 exec, exec, s[8:9]
	s_and_b64 s[4:5], s[4:5], exec
	s_or_saveexec_b64 s[6:7], s[6:7]
	v_mov_b32_e32 v18, s10
	s_xor_b64 exec, exec, s[6:7]
	s_cbranch_execz .LBB11_1818
.LBB11_3868:
	v_mov_b32_e32 v18, 0
	v_cmp_ne_u16_sdwa s[8:9], v12, v18 src0_sel:BYTE_3 src1_sel:DWORD
	s_andn2_b64 s[4:5], s[4:5], exec
	s_and_b64 s[8:9], s[8:9], exec
	s_or_b64 s[4:5], s[4:5], s[8:9]
	s_or_b64 exec, exec, s[6:7]
	s_and_saveexec_b64 s[6:7], s[4:5]
	s_cbranch_execnz .LBB11_1819
	s_branch .LBB11_1820
.LBB11_3869:
	s_movk_i32 s4, 0x80
	v_cmp_eq_u16_sdwa s[12:13], v8, s4 src0_sel:BYTE_3 src1_sel:DWORD
	s_mov_b64 s[4:5], -1
                                        ; implicit-def: $sgpr10
	s_and_saveexec_b64 s[8:9], s[12:13]
; %bb.3870:
	s_mov_b32 s10, 0x7f800001
	s_xor_b64 s[4:5], exec, -1
; %bb.3871:
	s_or_b64 exec, exec, s[8:9]
	s_and_b64 s[4:5], s[4:5], exec
	s_or_saveexec_b64 s[6:7], s[6:7]
	v_mov_b32_e32 v12, s10
	s_xor_b64 exec, exec, s[6:7]
	s_cbranch_execz .LBB11_1822
.LBB11_3872:
	v_mov_b32_e32 v12, 0
	v_cmp_ne_u16_sdwa s[8:9], v8, v12 src0_sel:BYTE_3 src1_sel:DWORD
	s_andn2_b64 s[4:5], s[4:5], exec
	s_and_b64 s[8:9], s[8:9], exec
	s_or_b64 s[4:5], s[4:5], s[8:9]
	s_or_b64 exec, exec, s[6:7]
	s_and_saveexec_b64 s[6:7], s[4:5]
	s_cbranch_execnz .LBB11_1823
	s_branch .LBB11_1824
.LBB11_3873:
	s_movk_i32 s4, 0x80
	v_cmp_eq_u16_sdwa s[12:13], v13, s4 src0_sel:BYTE_0 src1_sel:DWORD
	s_mov_b64 s[4:5], -1
                                        ; implicit-def: $sgpr10
	s_and_saveexec_b64 s[8:9], s[12:13]
; %bb.3874:
	s_mov_b32 s10, 0x7f800001
	s_xor_b64 s[4:5], exec, -1
; %bb.3875:
	s_or_b64 exec, exec, s[8:9]
	s_and_b64 s[4:5], s[4:5], exec
	s_or_saveexec_b64 s[6:7], s[6:7]
	v_mov_b32_e32 v8, s10
	s_xor_b64 exec, exec, s[6:7]
	s_cbranch_execz .LBB11_1826
.LBB11_3876:
	v_mov_b32_e32 v8, 0
	v_cmp_ne_u16_sdwa s[8:9], v13, v8 src0_sel:BYTE_0 src1_sel:DWORD
	s_andn2_b64 s[4:5], s[4:5], exec
	s_and_b64 s[8:9], s[8:9], exec
	s_or_b64 s[4:5], s[4:5], s[8:9]
	s_or_b64 exec, exec, s[6:7]
	s_and_saveexec_b64 s[6:7], s[4:5]
	s_cbranch_execnz .LBB11_1827
	s_branch .LBB11_1828
.LBB11_3877:
	s_movk_i32 s4, 0x80
	v_cmp_eq_u16_sdwa s[12:13], v9, s4 src0_sel:BYTE_0 src1_sel:DWORD
	s_mov_b64 s[4:5], -1
                                        ; implicit-def: $sgpr10
	s_and_saveexec_b64 s[8:9], s[12:13]
; %bb.3878:
	s_mov_b32 s10, 0x7f800001
	s_xor_b64 s[4:5], exec, -1
; %bb.3879:
	s_or_b64 exec, exec, s[8:9]
	s_and_b64 s[4:5], s[4:5], exec
	s_or_saveexec_b64 s[6:7], s[6:7]
	v_mov_b32_e32 v12, s10
	s_xor_b64 exec, exec, s[6:7]
	s_cbranch_execz .LBB11_1830
.LBB11_3880:
	v_mov_b32_e32 v12, 0
	v_cmp_ne_u16_sdwa s[8:9], v9, v12 src0_sel:BYTE_0 src1_sel:DWORD
	s_andn2_b64 s[4:5], s[4:5], exec
	s_and_b64 s[8:9], s[8:9], exec
	s_or_b64 s[4:5], s[4:5], s[8:9]
	s_or_b64 exec, exec, s[6:7]
	s_and_saveexec_b64 s[6:7], s[4:5]
	s_cbranch_execnz .LBB11_1831
	s_branch .LBB11_1832
.LBB11_3881:
	s_movk_i32 s4, 0x80
	v_cmp_eq_u16_sdwa s[12:13], v12, s4 src0_sel:BYTE_0 src1_sel:DWORD
	s_mov_b64 s[4:5], -1
                                        ; implicit-def: $sgpr10
	s_and_saveexec_b64 s[8:9], s[12:13]
; %bb.3882:
	s_mov_b32 s10, 0x7f800001
	s_xor_b64 s[4:5], exec, -1
; %bb.3883:
	s_or_b64 exec, exec, s[8:9]
	s_and_b64 s[4:5], s[4:5], exec
	s_or_saveexec_b64 s[6:7], s[6:7]
	v_mov_b32_e32 v8, s10
	s_xor_b64 exec, exec, s[6:7]
	s_cbranch_execz .LBB11_1834
.LBB11_3884:
	v_mov_b32_e32 v8, 0
	v_cmp_ne_u16_sdwa s[8:9], v12, v8 src0_sel:BYTE_0 src1_sel:DWORD
	s_andn2_b64 s[4:5], s[4:5], exec
	s_and_b64 s[8:9], s[8:9], exec
	s_or_b64 s[4:5], s[4:5], s[8:9]
	s_or_b64 exec, exec, s[6:7]
	s_and_saveexec_b64 s[6:7], s[4:5]
	s_cbranch_execnz .LBB11_1835
	s_branch .LBB11_1836
.LBB11_3885:
	s_movk_i32 s4, 0x80
	v_cmp_eq_u16_sdwa s[12:13], v12, s4 src0_sel:BYTE_0 src1_sel:DWORD
	s_mov_b64 s[4:5], -1
                                        ; implicit-def: $sgpr10
	s_and_saveexec_b64 s[8:9], s[12:13]
; %bb.3886:
	s_mov_b32 s10, 0x7f800001
	s_xor_b64 s[4:5], exec, -1
; %bb.3887:
	s_or_b64 exec, exec, s[8:9]
	s_and_b64 s[4:5], s[4:5], exec
	s_or_saveexec_b64 s[6:7], s[6:7]
	v_mov_b32_e32 v18, s10
	s_xor_b64 exec, exec, s[6:7]
	s_cbranch_execz .LBB11_1838
.LBB11_3888:
	v_mov_b32_e32 v18, 0
	v_cmp_ne_u16_sdwa s[8:9], v12, v18 src0_sel:BYTE_0 src1_sel:DWORD
	s_andn2_b64 s[4:5], s[4:5], exec
	s_and_b64 s[8:9], s[8:9], exec
	s_or_b64 s[4:5], s[4:5], s[8:9]
	s_or_b64 exec, exec, s[6:7]
	s_and_saveexec_b64 s[6:7], s[4:5]
	s_cbranch_execnz .LBB11_1839
	s_branch .LBB11_1840
.LBB11_3889:
	s_movk_i32 s4, 0x80
	v_cmp_eq_u16_e32 vcc, s4, v12
	s_mov_b64 s[4:5], -1
                                        ; implicit-def: $sgpr10
	s_and_saveexec_b64 s[8:9], vcc
; %bb.3890:
	s_mov_b32 s10, 0x7f800001
	s_xor_b64 s[4:5], exec, -1
; %bb.3891:
	s_or_b64 exec, exec, s[8:9]
	s_and_b64 s[4:5], s[4:5], exec
                                        ; implicit-def: $vgpr12
	s_or_saveexec_b64 s[6:7], s[6:7]
	v_mov_b32_e32 v8, s10
	s_xor_b64 exec, exec, s[6:7]
	s_cbranch_execz .LBB11_1842
.LBB11_3892:
	v_cmp_ne_u16_e32 vcc, 0, v12
	s_andn2_b64 s[4:5], s[4:5], exec
	s_and_b64 s[8:9], vcc, exec
	v_mov_b32_e32 v8, 0
	s_or_b64 s[4:5], s[4:5], s[8:9]
	s_or_b64 exec, exec, s[6:7]
	s_and_saveexec_b64 s[6:7], s[4:5]
	s_cbranch_execnz .LBB11_1843
	s_branch .LBB11_1844
.LBB11_3893:
	s_movk_i32 s4, 0x80
	v_cmp_eq_u16_e32 vcc, s4, v12
	s_mov_b64 s[4:5], -1
                                        ; implicit-def: $sgpr10
	s_and_saveexec_b64 s[8:9], vcc
; %bb.3894:
	s_mov_b32 s10, 0x7f800001
	s_xor_b64 s[4:5], exec, -1
; %bb.3895:
	s_or_b64 exec, exec, s[8:9]
	s_and_b64 s[4:5], s[4:5], exec
                                        ; implicit-def: $vgpr12
	s_or_saveexec_b64 s[6:7], s[6:7]
	v_mov_b32_e32 v18, s10
	s_xor_b64 exec, exec, s[6:7]
	s_cbranch_execz .LBB11_1846
.LBB11_3896:
	v_cmp_ne_u16_e32 vcc, 0, v12
	s_andn2_b64 s[4:5], s[4:5], exec
	s_and_b64 s[8:9], vcc, exec
	v_mov_b32_e32 v18, 0
	s_or_b64 s[4:5], s[4:5], s[8:9]
	s_or_b64 exec, exec, s[6:7]
	s_and_saveexec_b64 s[6:7], s[4:5]
	s_cbranch_execnz .LBB11_1847
	s_branch .LBB11_1848
.LBB11_3897:
	s_movk_i32 s4, 0x80
	v_cmp_eq_u16_sdwa s[12:13], v13, s4 src0_sel:BYTE_3 src1_sel:DWORD
	s_mov_b64 s[4:5], -1
                                        ; implicit-def: $sgpr10
	s_and_saveexec_b64 s[8:9], s[12:13]
; %bb.3898:
	s_mov_b32 s10, 0x7f800001
	s_xor_b64 s[4:5], exec, -1
; %bb.3899:
	s_or_b64 exec, exec, s[8:9]
	s_and_b64 s[4:5], s[4:5], exec
	s_or_saveexec_b64 s[6:7], s[6:7]
	v_mov_b32_e32 v8, s10
	s_xor_b64 exec, exec, s[6:7]
	s_cbranch_execz .LBB11_1850
.LBB11_3900:
	v_mov_b32_e32 v8, 0
	v_cmp_ne_u16_sdwa s[8:9], v13, v8 src0_sel:BYTE_3 src1_sel:DWORD
	s_andn2_b64 s[4:5], s[4:5], exec
	s_and_b64 s[8:9], s[8:9], exec
	s_or_b64 s[4:5], s[4:5], s[8:9]
	s_or_b64 exec, exec, s[6:7]
	s_and_saveexec_b64 s[6:7], s[4:5]
	s_cbranch_execnz .LBB11_1851
	s_branch .LBB11_1852
.LBB11_3901:
	s_movk_i32 s4, 0x80
	v_cmp_eq_u16_sdwa s[12:13], v9, s4 src0_sel:BYTE_3 src1_sel:DWORD
	s_mov_b64 s[4:5], -1
                                        ; implicit-def: $sgpr10
	s_and_saveexec_b64 s[8:9], s[12:13]
; %bb.3902:
	s_mov_b32 s10, 0x7f800001
	s_xor_b64 s[4:5], exec, -1
; %bb.3903:
	s_or_b64 exec, exec, s[8:9]
	s_and_b64 s[4:5], s[4:5], exec
	s_or_saveexec_b64 s[6:7], s[6:7]
	v_mov_b32_e32 v12, s10
	s_xor_b64 exec, exec, s[6:7]
	s_cbranch_execz .LBB11_1854
.LBB11_3904:
	v_mov_b32_e32 v12, 0
	v_cmp_ne_u16_sdwa s[8:9], v9, v12 src0_sel:BYTE_3 src1_sel:DWORD
	s_andn2_b64 s[4:5], s[4:5], exec
	s_and_b64 s[8:9], s[8:9], exec
	s_or_b64 s[4:5], s[4:5], s[8:9]
	s_or_b64 exec, exec, s[6:7]
	s_and_saveexec_b64 s[6:7], s[4:5]
	s_cbranch_execnz .LBB11_1855
	s_branch .LBB11_1856
.LBB11_3905:
	s_movk_i32 s4, 0x80
	v_cmp_eq_u16_sdwa s[12:13], v14, s4 src0_sel:BYTE_0 src1_sel:DWORD
	s_mov_b64 s[4:5], -1
                                        ; implicit-def: $sgpr10
	s_and_saveexec_b64 s[8:9], s[12:13]
; %bb.3906:
	s_mov_b32 s10, 0x7f800001
	s_xor_b64 s[4:5], exec, -1
; %bb.3907:
	s_or_b64 exec, exec, s[8:9]
	s_and_b64 s[4:5], s[4:5], exec
	s_or_saveexec_b64 s[6:7], s[6:7]
	v_mov_b32_e32 v8, s10
	s_xor_b64 exec, exec, s[6:7]
	s_cbranch_execz .LBB11_1858
.LBB11_3908:
	v_mov_b32_e32 v8, 0
	v_cmp_ne_u16_sdwa s[8:9], v14, v8 src0_sel:BYTE_0 src1_sel:DWORD
	s_andn2_b64 s[4:5], s[4:5], exec
	s_and_b64 s[8:9], s[8:9], exec
	s_or_b64 s[4:5], s[4:5], s[8:9]
	s_or_b64 exec, exec, s[6:7]
	s_and_saveexec_b64 s[6:7], s[4:5]
	s_cbranch_execnz .LBB11_1859
	s_branch .LBB11_1860
.LBB11_3909:
	s_movk_i32 s4, 0x80
	v_cmp_eq_u16_sdwa s[12:13], v10, s4 src0_sel:BYTE_0 src1_sel:DWORD
	s_mov_b64 s[4:5], -1
                                        ; implicit-def: $sgpr10
	s_and_saveexec_b64 s[8:9], s[12:13]
; %bb.3910:
	s_mov_b32 s10, 0x7f800001
	s_xor_b64 s[4:5], exec, -1
; %bb.3911:
	s_or_b64 exec, exec, s[8:9]
	s_and_b64 s[4:5], s[4:5], exec
	s_or_saveexec_b64 s[6:7], s[6:7]
	v_mov_b32_e32 v9, s10
	s_xor_b64 exec, exec, s[6:7]
	s_cbranch_execz .LBB11_1862
.LBB11_3912:
	v_mov_b32_e32 v9, 0
	v_cmp_ne_u16_sdwa s[8:9], v10, v9 src0_sel:BYTE_0 src1_sel:DWORD
	s_andn2_b64 s[4:5], s[4:5], exec
	s_and_b64 s[8:9], s[8:9], exec
	s_or_b64 s[4:5], s[4:5], s[8:9]
	s_or_b64 exec, exec, s[6:7]
	s_and_saveexec_b64 s[6:7], s[4:5]
	s_cbranch_execnz .LBB11_1863
	s_branch .LBB11_1864
.LBB11_3913:
	s_movk_i32 s4, 0x80
	v_cmp_eq_u16_sdwa s[12:13], v9, s4 src0_sel:BYTE_0 src1_sel:DWORD
	s_mov_b64 s[4:5], -1
                                        ; implicit-def: $sgpr10
	s_and_saveexec_b64 s[8:9], s[12:13]
; %bb.3914:
	s_mov_b32 s10, 0x7f800001
	s_xor_b64 s[4:5], exec, -1
; %bb.3915:
	s_or_b64 exec, exec, s[8:9]
	s_and_b64 s[4:5], s[4:5], exec
	s_or_saveexec_b64 s[6:7], s[6:7]
	v_mov_b32_e32 v8, s10
	s_xor_b64 exec, exec, s[6:7]
	s_cbranch_execz .LBB11_1866
.LBB11_3916:
	v_mov_b32_e32 v8, 0
	v_cmp_ne_u16_sdwa s[8:9], v9, v8 src0_sel:BYTE_0 src1_sel:DWORD
	s_andn2_b64 s[4:5], s[4:5], exec
	s_and_b64 s[8:9], s[8:9], exec
	s_or_b64 s[4:5], s[4:5], s[8:9]
	s_or_b64 exec, exec, s[6:7]
	s_and_saveexec_b64 s[6:7], s[4:5]
	s_cbranch_execnz .LBB11_1867
	s_branch .LBB11_1868
.LBB11_3917:
	s_movk_i32 s4, 0x80
	v_cmp_eq_u16_sdwa s[12:13], v9, s4 src0_sel:BYTE_0 src1_sel:DWORD
	s_mov_b64 s[4:5], -1
                                        ; implicit-def: $sgpr10
	s_and_saveexec_b64 s[8:9], s[12:13]
; %bb.3918:
	s_mov_b32 s10, 0x7f800001
	s_xor_b64 s[4:5], exec, -1
; %bb.3919:
	s_or_b64 exec, exec, s[8:9]
	s_and_b64 s[4:5], s[4:5], exec
	s_or_saveexec_b64 s[6:7], s[6:7]
	v_mov_b32_e32 v12, s10
	s_xor_b64 exec, exec, s[6:7]
	s_cbranch_execz .LBB11_1870
.LBB11_3920:
	v_mov_b32_e32 v12, 0
	v_cmp_ne_u16_sdwa s[8:9], v9, v12 src0_sel:BYTE_0 src1_sel:DWORD
	s_andn2_b64 s[4:5], s[4:5], exec
	s_and_b64 s[8:9], s[8:9], exec
	s_or_b64 s[4:5], s[4:5], s[8:9]
	s_or_b64 exec, exec, s[6:7]
	s_and_saveexec_b64 s[6:7], s[4:5]
	s_cbranch_execnz .LBB11_1871
	s_branch .LBB11_1872
.LBB11_3921:
	s_movk_i32 s4, 0x80
	v_cmp_eq_u16_e32 vcc, s4, v9
	s_mov_b64 s[4:5], -1
                                        ; implicit-def: $sgpr10
	s_and_saveexec_b64 s[8:9], vcc
; %bb.3922:
	s_mov_b32 s10, 0x7f800001
	s_xor_b64 s[4:5], exec, -1
; %bb.3923:
	s_or_b64 exec, exec, s[8:9]
	s_and_b64 s[4:5], s[4:5], exec
                                        ; implicit-def: $vgpr9
	s_or_saveexec_b64 s[6:7], s[6:7]
	v_mov_b32_e32 v8, s10
	s_xor_b64 exec, exec, s[6:7]
	s_cbranch_execz .LBB11_1874
.LBB11_3924:
	v_cmp_ne_u16_e32 vcc, 0, v9
	s_andn2_b64 s[4:5], s[4:5], exec
	s_and_b64 s[8:9], vcc, exec
	v_mov_b32_e32 v8, 0
	s_or_b64 s[4:5], s[4:5], s[8:9]
	s_or_b64 exec, exec, s[6:7]
	s_and_saveexec_b64 s[6:7], s[4:5]
	s_cbranch_execnz .LBB11_1875
	s_branch .LBB11_1876
.LBB11_3925:
	s_movk_i32 s4, 0x80
	v_cmp_eq_u16_e32 vcc, s4, v9
	s_mov_b64 s[4:5], -1
                                        ; implicit-def: $sgpr10
	s_and_saveexec_b64 s[8:9], vcc
; %bb.3926:
	s_mov_b32 s10, 0x7f800001
	s_xor_b64 s[4:5], exec, -1
; %bb.3927:
	s_or_b64 exec, exec, s[8:9]
	s_and_b64 s[4:5], s[4:5], exec
                                        ; implicit-def: $vgpr9
	s_or_saveexec_b64 s[6:7], s[6:7]
	v_mov_b32_e32 v12, s10
	s_xor_b64 exec, exec, s[6:7]
	s_cbranch_execz .LBB11_1878
.LBB11_3928:
	v_cmp_ne_u16_e32 vcc, 0, v9
	s_andn2_b64 s[4:5], s[4:5], exec
	s_and_b64 s[8:9], vcc, exec
	v_mov_b32_e32 v12, 0
	s_or_b64 s[4:5], s[4:5], s[8:9]
	s_or_b64 exec, exec, s[6:7]
	s_and_saveexec_b64 s[6:7], s[4:5]
	s_cbranch_execnz .LBB11_1879
	s_branch .LBB11_1880
.LBB11_3929:
	s_movk_i32 s4, 0x80
	v_cmp_eq_u16_sdwa s[12:13], v14, s4 src0_sel:BYTE_3 src1_sel:DWORD
	s_mov_b64 s[4:5], -1
                                        ; implicit-def: $sgpr10
	s_and_saveexec_b64 s[8:9], s[12:13]
; %bb.3930:
	s_mov_b32 s10, 0x7f800001
	s_xor_b64 s[4:5], exec, -1
; %bb.3931:
	s_or_b64 exec, exec, s[8:9]
	s_and_b64 s[4:5], s[4:5], exec
	s_or_saveexec_b64 s[6:7], s[6:7]
	v_mov_b32_e32 v8, s10
	s_xor_b64 exec, exec, s[6:7]
	s_cbranch_execz .LBB11_1882
.LBB11_3932:
	v_mov_b32_e32 v8, 0
	v_cmp_ne_u16_sdwa s[8:9], v14, v8 src0_sel:BYTE_3 src1_sel:DWORD
	s_andn2_b64 s[4:5], s[4:5], exec
	s_and_b64 s[8:9], s[8:9], exec
	s_or_b64 s[4:5], s[4:5], s[8:9]
	s_or_b64 exec, exec, s[6:7]
	s_and_saveexec_b64 s[6:7], s[4:5]
	s_cbranch_execnz .LBB11_1883
	s_branch .LBB11_1884
.LBB11_3933:
	s_movk_i32 s4, 0x80
	v_cmp_eq_u16_sdwa s[12:13], v10, s4 src0_sel:BYTE_3 src1_sel:DWORD
	s_mov_b64 s[4:5], -1
                                        ; implicit-def: $sgpr10
	s_and_saveexec_b64 s[8:9], s[12:13]
; %bb.3934:
	s_mov_b32 s10, 0x7f800001
	s_xor_b64 s[4:5], exec, -1
; %bb.3935:
	s_or_b64 exec, exec, s[8:9]
	s_and_b64 s[4:5], s[4:5], exec
	s_or_saveexec_b64 s[6:7], s[6:7]
	v_mov_b32_e32 v9, s10
	s_xor_b64 exec, exec, s[6:7]
	s_cbranch_execz .LBB11_1886
.LBB11_3936:
	v_mov_b32_e32 v9, 0
	v_cmp_ne_u16_sdwa s[8:9], v10, v9 src0_sel:BYTE_3 src1_sel:DWORD
	s_andn2_b64 s[4:5], s[4:5], exec
	s_and_b64 s[8:9], s[8:9], exec
	s_or_b64 s[4:5], s[4:5], s[8:9]
	s_or_b64 exec, exec, s[6:7]
	s_and_saveexec_b64 s[6:7], s[4:5]
	s_cbranch_execnz .LBB11_1887
	s_branch .LBB11_1888
.LBB11_3937:
	s_movk_i32 s4, 0x80
	v_cmp_eq_u16_sdwa s[12:13], v15, s4 src0_sel:BYTE_0 src1_sel:DWORD
	s_mov_b64 s[4:5], -1
                                        ; implicit-def: $sgpr10
	s_and_saveexec_b64 s[8:9], s[12:13]
; %bb.3938:
	s_mov_b32 s10, 0x7f800001
	s_xor_b64 s[4:5], exec, -1
; %bb.3939:
	s_or_b64 exec, exec, s[8:9]
	s_and_b64 s[4:5], s[4:5], exec
	s_or_saveexec_b64 s[6:7], s[6:7]
	v_mov_b32_e32 v8, s10
	s_xor_b64 exec, exec, s[6:7]
	s_cbranch_execz .LBB11_1890
.LBB11_3940:
	v_mov_b32_e32 v8, 0
	v_cmp_ne_u16_sdwa s[8:9], v15, v8 src0_sel:BYTE_0 src1_sel:DWORD
	s_andn2_b64 s[4:5], s[4:5], exec
	s_and_b64 s[8:9], s[8:9], exec
	s_or_b64 s[4:5], s[4:5], s[8:9]
	s_or_b64 exec, exec, s[6:7]
	s_and_saveexec_b64 s[6:7], s[4:5]
	s_cbranch_execnz .LBB11_1891
	s_branch .LBB11_1892
.LBB11_3941:
	s_movk_i32 s4, 0x80
	v_cmp_eq_u16_sdwa s[12:13], v11, s4 src0_sel:BYTE_0 src1_sel:DWORD
	s_mov_b64 s[4:5], -1
                                        ; implicit-def: $sgpr10
	s_and_saveexec_b64 s[8:9], s[12:13]
; %bb.3942:
	s_mov_b32 s10, 0x7f800001
	s_xor_b64 s[4:5], exec, -1
; %bb.3943:
	s_or_b64 exec, exec, s[8:9]
	s_and_b64 s[4:5], s[4:5], exec
	s_or_saveexec_b64 s[6:7], s[6:7]
	v_mov_b32_e32 v9, s10
	s_xor_b64 exec, exec, s[6:7]
	s_cbranch_execz .LBB11_1894
.LBB11_3944:
	v_mov_b32_e32 v9, 0
	v_cmp_ne_u16_sdwa s[8:9], v11, v9 src0_sel:BYTE_0 src1_sel:DWORD
	s_andn2_b64 s[4:5], s[4:5], exec
	s_and_b64 s[8:9], s[8:9], exec
	s_or_b64 s[4:5], s[4:5], s[8:9]
	s_or_b64 exec, exec, s[6:7]
	s_and_saveexec_b64 s[6:7], s[4:5]
	s_cbranch_execnz .LBB11_1895
	s_branch .LBB11_1896
.LBB11_3945:
	s_movk_i32 s4, 0x80
	v_cmp_eq_u16_sdwa s[12:13], v9, s4 src0_sel:BYTE_0 src1_sel:DWORD
	s_mov_b64 s[4:5], -1
                                        ; implicit-def: $sgpr10
	s_and_saveexec_b64 s[8:9], s[12:13]
; %bb.3946:
	s_mov_b32 s10, 0x7f800001
	s_xor_b64 s[4:5], exec, -1
; %bb.3947:
	s_or_b64 exec, exec, s[8:9]
	s_and_b64 s[4:5], s[4:5], exec
	s_or_saveexec_b64 s[6:7], s[6:7]
	v_mov_b32_e32 v8, s10
	s_xor_b64 exec, exec, s[6:7]
	s_cbranch_execz .LBB11_1898
.LBB11_3948:
	v_mov_b32_e32 v8, 0
	v_cmp_ne_u16_sdwa s[8:9], v9, v8 src0_sel:BYTE_0 src1_sel:DWORD
	s_andn2_b64 s[4:5], s[4:5], exec
	s_and_b64 s[8:9], s[8:9], exec
	s_or_b64 s[4:5], s[4:5], s[8:9]
	s_or_b64 exec, exec, s[6:7]
	s_and_saveexec_b64 s[6:7], s[4:5]
	s_cbranch_execnz .LBB11_1899
	s_branch .LBB11_1900
.LBB11_3949:
	s_movk_i32 s4, 0x80
	v_cmp_eq_u16_sdwa s[12:13], v9, s4 src0_sel:BYTE_0 src1_sel:DWORD
	s_mov_b64 s[4:5], -1
                                        ; implicit-def: $sgpr10
	s_and_saveexec_b64 s[8:9], s[12:13]
; %bb.3950:
	s_mov_b32 s10, 0x7f800001
	s_xor_b64 s[4:5], exec, -1
; %bb.3951:
	s_or_b64 exec, exec, s[8:9]
	s_and_b64 s[4:5], s[4:5], exec
	s_or_saveexec_b64 s[6:7], s[6:7]
	v_mov_b32_e32 v10, s10
	s_xor_b64 exec, exec, s[6:7]
	s_cbranch_execz .LBB11_1902
.LBB11_3952:
	v_mov_b32_e32 v10, 0
	v_cmp_ne_u16_sdwa s[8:9], v9, v10 src0_sel:BYTE_0 src1_sel:DWORD
	s_andn2_b64 s[4:5], s[4:5], exec
	s_and_b64 s[8:9], s[8:9], exec
	s_or_b64 s[4:5], s[4:5], s[8:9]
	s_or_b64 exec, exec, s[6:7]
	s_and_saveexec_b64 s[6:7], s[4:5]
	s_cbranch_execnz .LBB11_1903
	s_branch .LBB11_1904
.LBB11_3953:
	s_movk_i32 s4, 0x80
	v_cmp_eq_u16_e32 vcc, s4, v9
	s_mov_b64 s[4:5], -1
                                        ; implicit-def: $sgpr10
	s_and_saveexec_b64 s[8:9], vcc
; %bb.3954:
	s_mov_b32 s10, 0x7f800001
	s_xor_b64 s[4:5], exec, -1
; %bb.3955:
	s_or_b64 exec, exec, s[8:9]
	s_and_b64 s[4:5], s[4:5], exec
                                        ; implicit-def: $vgpr9
	s_or_saveexec_b64 s[6:7], s[6:7]
	v_mov_b32_e32 v8, s10
	s_xor_b64 exec, exec, s[6:7]
	s_cbranch_execz .LBB11_1906
.LBB11_3956:
	v_cmp_ne_u16_e32 vcc, 0, v9
	s_andn2_b64 s[4:5], s[4:5], exec
	s_and_b64 s[8:9], vcc, exec
	v_mov_b32_e32 v8, 0
	s_or_b64 s[4:5], s[4:5], s[8:9]
	s_or_b64 exec, exec, s[6:7]
	s_and_saveexec_b64 s[6:7], s[4:5]
	s_cbranch_execnz .LBB11_1907
	s_branch .LBB11_1908
.LBB11_3957:
	s_movk_i32 s4, 0x80
	v_cmp_eq_u16_e32 vcc, s4, v9
	s_mov_b64 s[4:5], -1
                                        ; implicit-def: $sgpr10
	s_and_saveexec_b64 s[8:9], vcc
; %bb.3958:
	s_mov_b32 s10, 0x7f800001
	s_xor_b64 s[4:5], exec, -1
; %bb.3959:
	s_or_b64 exec, exec, s[8:9]
	s_and_b64 s[4:5], s[4:5], exec
                                        ; implicit-def: $vgpr9
	s_or_saveexec_b64 s[6:7], s[6:7]
	v_mov_b32_e32 v10, s10
	s_xor_b64 exec, exec, s[6:7]
	s_cbranch_execz .LBB11_1910
.LBB11_3960:
	v_cmp_ne_u16_e32 vcc, 0, v9
	s_andn2_b64 s[4:5], s[4:5], exec
	s_and_b64 s[8:9], vcc, exec
	v_mov_b32_e32 v10, 0
	s_or_b64 s[4:5], s[4:5], s[8:9]
	s_or_b64 exec, exec, s[6:7]
	s_and_saveexec_b64 s[6:7], s[4:5]
	s_cbranch_execnz .LBB11_1911
	s_branch .LBB11_1912
.LBB11_3961:
	s_movk_i32 s4, 0x80
	v_cmp_eq_u16_sdwa s[12:13], v15, s4 src0_sel:BYTE_3 src1_sel:DWORD
	s_mov_b64 s[4:5], -1
                                        ; implicit-def: $sgpr10
	s_and_saveexec_b64 s[8:9], s[12:13]
; %bb.3962:
	s_mov_b32 s10, 0x7f800001
	s_xor_b64 s[4:5], exec, -1
; %bb.3963:
	s_or_b64 exec, exec, s[8:9]
	s_and_b64 s[4:5], s[4:5], exec
	s_or_saveexec_b64 s[6:7], s[6:7]
	v_mov_b32_e32 v8, s10
	s_xor_b64 exec, exec, s[6:7]
	s_cbranch_execz .LBB11_1914
.LBB11_3964:
	v_mov_b32_e32 v8, 0
	v_cmp_ne_u16_sdwa s[8:9], v15, v8 src0_sel:BYTE_3 src1_sel:DWORD
	s_andn2_b64 s[4:5], s[4:5], exec
	s_and_b64 s[8:9], s[8:9], exec
	s_or_b64 s[4:5], s[4:5], s[8:9]
	s_or_b64 exec, exec, s[6:7]
	s_and_saveexec_b64 s[6:7], s[4:5]
	s_cbranch_execnz .LBB11_1915
	s_branch .LBB11_1916
.LBB11_3965:
	s_movk_i32 s4, 0x80
	v_cmp_eq_u16_sdwa s[12:13], v11, s4 src0_sel:BYTE_3 src1_sel:DWORD
	s_mov_b64 s[4:5], -1
                                        ; implicit-def: $sgpr10
	s_and_saveexec_b64 s[8:9], s[12:13]
; %bb.3966:
	s_mov_b32 s10, 0x7f800001
	s_xor_b64 s[4:5], exec, -1
; %bb.3967:
	s_or_b64 exec, exec, s[8:9]
	s_and_b64 s[4:5], s[4:5], exec
	s_or_saveexec_b64 s[6:7], s[6:7]
	v_mov_b32_e32 v9, s10
	s_xor_b64 exec, exec, s[6:7]
	s_cbranch_execz .LBB11_1918
.LBB11_3968:
	v_mov_b32_e32 v9, 0
	v_cmp_ne_u16_sdwa s[8:9], v11, v9 src0_sel:BYTE_3 src1_sel:DWORD
	s_andn2_b64 s[4:5], s[4:5], exec
	s_and_b64 s[8:9], s[8:9], exec
	s_or_b64 s[4:5], s[4:5], s[8:9]
	s_or_b64 exec, exec, s[6:7]
	s_and_saveexec_b64 s[6:7], s[4:5]
	s_cbranch_execnz .LBB11_1919
	s_branch .LBB11_1920
.LBB11_3969:
	s_movk_i32 s4, 0x80
	v_cmp_eq_u16_sdwa s[12:13], v4, s4 src0_sel:BYTE_0 src1_sel:DWORD
	s_mov_b64 s[4:5], -1
                                        ; implicit-def: $sgpr10
	s_and_saveexec_b64 s[8:9], s[12:13]
; %bb.3970:
	s_mov_b32 s10, 0x7f800001
	s_xor_b64 s[4:5], exec, -1
; %bb.3971:
	s_or_b64 exec, exec, s[8:9]
	s_and_b64 s[4:5], s[4:5], exec
	s_or_saveexec_b64 s[6:7], s[6:7]
	v_mov_b32_e32 v8, s10
	s_xor_b64 exec, exec, s[6:7]
	s_cbranch_execz .LBB11_1922
.LBB11_3972:
	v_mov_b32_e32 v8, 0
	v_cmp_ne_u16_sdwa s[8:9], v4, v8 src0_sel:BYTE_0 src1_sel:DWORD
	s_andn2_b64 s[4:5], s[4:5], exec
	s_and_b64 s[8:9], s[8:9], exec
	s_or_b64 s[4:5], s[4:5], s[8:9]
	s_or_b64 exec, exec, s[6:7]
	s_and_saveexec_b64 s[6:7], s[4:5]
	s_cbranch_execnz .LBB11_1923
	s_branch .LBB11_1924
.LBB11_3973:
	s_movk_i32 s4, 0x80
	v_cmp_eq_u16_sdwa s[12:13], v0, s4 src0_sel:BYTE_0 src1_sel:DWORD
	s_mov_b64 s[4:5], -1
                                        ; implicit-def: $sgpr10
	s_and_saveexec_b64 s[8:9], s[12:13]
; %bb.3974:
	s_mov_b32 s10, 0x7f800001
	s_xor_b64 s[4:5], exec, -1
; %bb.3975:
	s_or_b64 exec, exec, s[8:9]
	s_and_b64 s[4:5], s[4:5], exec
	s_or_saveexec_b64 s[6:7], s[6:7]
	v_mov_b32_e32 v9, s10
	s_xor_b64 exec, exec, s[6:7]
	s_cbranch_execz .LBB11_1926
.LBB11_3976:
	v_mov_b32_e32 v9, 0
	v_cmp_ne_u16_sdwa s[8:9], v0, v9 src0_sel:BYTE_0 src1_sel:DWORD
	s_andn2_b64 s[4:5], s[4:5], exec
	s_and_b64 s[8:9], s[8:9], exec
	s_or_b64 s[4:5], s[4:5], s[8:9]
	s_or_b64 exec, exec, s[6:7]
	s_and_saveexec_b64 s[6:7], s[4:5]
	s_cbranch_execnz .LBB11_1927
	s_branch .LBB11_1928
.LBB11_3977:
	s_movk_i32 s4, 0x80
	v_cmp_eq_u16_sdwa s[12:13], v9, s4 src0_sel:BYTE_0 src1_sel:DWORD
	s_mov_b64 s[4:5], -1
                                        ; implicit-def: $sgpr10
	s_and_saveexec_b64 s[8:9], s[12:13]
; %bb.3978:
	s_mov_b32 s10, 0x7f800001
	s_xor_b64 s[4:5], exec, -1
; %bb.3979:
	s_or_b64 exec, exec, s[8:9]
	s_and_b64 s[4:5], s[4:5], exec
	s_or_saveexec_b64 s[6:7], s[6:7]
	v_mov_b32_e32 v8, s10
	s_xor_b64 exec, exec, s[6:7]
	s_cbranch_execz .LBB11_1930
.LBB11_3980:
	v_mov_b32_e32 v8, 0
	v_cmp_ne_u16_sdwa s[8:9], v9, v8 src0_sel:BYTE_0 src1_sel:DWORD
	s_andn2_b64 s[4:5], s[4:5], exec
	s_and_b64 s[8:9], s[8:9], exec
	s_or_b64 s[4:5], s[4:5], s[8:9]
	s_or_b64 exec, exec, s[6:7]
	s_and_saveexec_b64 s[6:7], s[4:5]
	s_cbranch_execnz .LBB11_1931
	s_branch .LBB11_1932
.LBB11_3981:
	s_movk_i32 s4, 0x80
	v_cmp_eq_u16_sdwa s[12:13], v9, s4 src0_sel:BYTE_0 src1_sel:DWORD
	s_mov_b64 s[4:5], -1
                                        ; implicit-def: $sgpr10
	s_and_saveexec_b64 s[8:9], s[12:13]
; %bb.3982:
	s_mov_b32 s10, 0x7f800001
	s_xor_b64 s[4:5], exec, -1
; %bb.3983:
	s_or_b64 exec, exec, s[8:9]
	s_and_b64 s[4:5], s[4:5], exec
	s_or_saveexec_b64 s[6:7], s[6:7]
	v_mov_b32_e32 v10, s10
	s_xor_b64 exec, exec, s[6:7]
	s_cbranch_execz .LBB11_1934
.LBB11_3984:
	v_mov_b32_e32 v10, 0
	v_cmp_ne_u16_sdwa s[8:9], v9, v10 src0_sel:BYTE_0 src1_sel:DWORD
	s_andn2_b64 s[4:5], s[4:5], exec
	s_and_b64 s[8:9], s[8:9], exec
	s_or_b64 s[4:5], s[4:5], s[8:9]
	s_or_b64 exec, exec, s[6:7]
	s_and_saveexec_b64 s[6:7], s[4:5]
	s_cbranch_execnz .LBB11_1935
	s_branch .LBB11_1936
.LBB11_3985:
	s_movk_i32 s4, 0x80
	v_cmp_eq_u16_e32 vcc, s4, v9
	s_mov_b64 s[4:5], -1
                                        ; implicit-def: $sgpr10
	s_and_saveexec_b64 s[8:9], vcc
; %bb.3986:
	s_mov_b32 s10, 0x7f800001
	s_xor_b64 s[4:5], exec, -1
; %bb.3987:
	s_or_b64 exec, exec, s[8:9]
	s_and_b64 s[4:5], s[4:5], exec
                                        ; implicit-def: $vgpr9
	s_or_saveexec_b64 s[6:7], s[6:7]
	v_mov_b32_e32 v8, s10
	s_xor_b64 exec, exec, s[6:7]
	s_cbranch_execz .LBB11_1938
.LBB11_3988:
	v_cmp_ne_u16_e32 vcc, 0, v9
	s_andn2_b64 s[4:5], s[4:5], exec
	s_and_b64 s[8:9], vcc, exec
	v_mov_b32_e32 v8, 0
	s_or_b64 s[4:5], s[4:5], s[8:9]
	s_or_b64 exec, exec, s[6:7]
	s_and_saveexec_b64 s[6:7], s[4:5]
	s_cbranch_execnz .LBB11_1939
	s_branch .LBB11_1940
.LBB11_3989:
	s_movk_i32 s4, 0x80
	v_cmp_eq_u16_e32 vcc, s4, v9
	s_mov_b64 s[4:5], -1
                                        ; implicit-def: $sgpr10
	s_and_saveexec_b64 s[8:9], vcc
; %bb.3990:
	s_mov_b32 s10, 0x7f800001
	s_xor_b64 s[4:5], exec, -1
; %bb.3991:
	s_or_b64 exec, exec, s[8:9]
	s_and_b64 s[4:5], s[4:5], exec
                                        ; implicit-def: $vgpr9
	s_or_saveexec_b64 s[6:7], s[6:7]
	v_mov_b32_e32 v10, s10
	s_xor_b64 exec, exec, s[6:7]
	s_cbranch_execz .LBB11_1942
.LBB11_3992:
	v_cmp_ne_u16_e32 vcc, 0, v9
	s_andn2_b64 s[4:5], s[4:5], exec
	s_and_b64 s[8:9], vcc, exec
	v_mov_b32_e32 v10, 0
	s_or_b64 s[4:5], s[4:5], s[8:9]
	s_or_b64 exec, exec, s[6:7]
	s_and_saveexec_b64 s[6:7], s[4:5]
	s_cbranch_execnz .LBB11_1943
	s_branch .LBB11_1944
.LBB11_3993:
	s_movk_i32 s4, 0x80
	v_cmp_eq_u16_sdwa s[12:13], v4, s4 src0_sel:BYTE_3 src1_sel:DWORD
	s_mov_b64 s[4:5], -1
                                        ; implicit-def: $sgpr10
	s_and_saveexec_b64 s[8:9], s[12:13]
; %bb.3994:
	s_mov_b32 s10, 0x7f800001
	s_xor_b64 s[4:5], exec, -1
; %bb.3995:
	s_or_b64 exec, exec, s[8:9]
	s_and_b64 s[4:5], s[4:5], exec
	s_or_saveexec_b64 s[6:7], s[6:7]
	v_mov_b32_e32 v8, s10
	s_xor_b64 exec, exec, s[6:7]
	s_cbranch_execz .LBB11_1946
.LBB11_3996:
	v_mov_b32_e32 v8, 0
	v_cmp_ne_u16_sdwa s[8:9], v4, v8 src0_sel:BYTE_3 src1_sel:DWORD
	s_andn2_b64 s[4:5], s[4:5], exec
	s_and_b64 s[8:9], s[8:9], exec
	s_or_b64 s[4:5], s[4:5], s[8:9]
	s_or_b64 exec, exec, s[6:7]
	s_and_saveexec_b64 s[6:7], s[4:5]
	s_cbranch_execnz .LBB11_1947
	s_branch .LBB11_1948
.LBB11_3997:
	s_movk_i32 s4, 0x80
	v_cmp_eq_u16_sdwa s[12:13], v0, s4 src0_sel:BYTE_3 src1_sel:DWORD
	s_mov_b64 s[4:5], -1
                                        ; implicit-def: $sgpr10
	s_and_saveexec_b64 s[8:9], s[12:13]
; %bb.3998:
	s_mov_b32 s10, 0x7f800001
	s_xor_b64 s[4:5], exec, -1
; %bb.3999:
	s_or_b64 exec, exec, s[8:9]
	s_and_b64 s[4:5], s[4:5], exec
	s_or_saveexec_b64 s[6:7], s[6:7]
	v_mov_b32_e32 v4, s10
	s_xor_b64 exec, exec, s[6:7]
	s_cbranch_execz .LBB11_1950
.LBB11_4000:
	v_mov_b32_e32 v4, 0
	v_cmp_ne_u16_sdwa s[8:9], v0, v4 src0_sel:BYTE_3 src1_sel:DWORD
	s_andn2_b64 s[4:5], s[4:5], exec
	s_and_b64 s[8:9], s[8:9], exec
	s_or_b64 s[4:5], s[4:5], s[8:9]
	s_or_b64 exec, exec, s[6:7]
	s_and_saveexec_b64 s[6:7], s[4:5]
	s_cbranch_execnz .LBB11_1951
	s_branch .LBB11_1952
.LBB11_4001:
	s_movk_i32 s4, 0x80
	v_cmp_eq_u16_sdwa s[12:13], v5, s4 src0_sel:BYTE_0 src1_sel:DWORD
	s_mov_b64 s[4:5], -1
                                        ; implicit-def: $sgpr10
	s_and_saveexec_b64 s[8:9], s[12:13]
; %bb.4002:
	s_mov_b32 s10, 0x7f800001
	s_xor_b64 s[4:5], exec, -1
; %bb.4003:
	s_or_b64 exec, exec, s[8:9]
	s_and_b64 s[4:5], s[4:5], exec
	s_or_saveexec_b64 s[6:7], s[6:7]
	v_mov_b32_e32 v0, s10
	s_xor_b64 exec, exec, s[6:7]
	s_cbranch_execz .LBB11_1954
.LBB11_4004:
	v_mov_b32_e32 v0, 0
	v_cmp_ne_u16_sdwa s[8:9], v5, v0 src0_sel:BYTE_0 src1_sel:DWORD
	s_andn2_b64 s[4:5], s[4:5], exec
	s_and_b64 s[8:9], s[8:9], exec
	s_or_b64 s[4:5], s[4:5], s[8:9]
	s_or_b64 exec, exec, s[6:7]
	s_and_saveexec_b64 s[6:7], s[4:5]
	s_cbranch_execnz .LBB11_1955
	s_branch .LBB11_1956
.LBB11_4005:
	s_movk_i32 s4, 0x80
	v_cmp_eq_u16_sdwa s[12:13], v1, s4 src0_sel:BYTE_0 src1_sel:DWORD
	s_mov_b64 s[4:5], -1
                                        ; implicit-def: $sgpr10
	s_and_saveexec_b64 s[8:9], s[12:13]
; %bb.4006:
	s_mov_b32 s10, 0x7f800001
	s_xor_b64 s[4:5], exec, -1
; %bb.4007:
	s_or_b64 exec, exec, s[8:9]
	s_and_b64 s[4:5], s[4:5], exec
	s_or_saveexec_b64 s[6:7], s[6:7]
	v_mov_b32_e32 v4, s10
	s_xor_b64 exec, exec, s[6:7]
	s_cbranch_execz .LBB11_1958
.LBB11_4008:
	v_mov_b32_e32 v4, 0
	v_cmp_ne_u16_sdwa s[8:9], v1, v4 src0_sel:BYTE_0 src1_sel:DWORD
	s_andn2_b64 s[4:5], s[4:5], exec
	s_and_b64 s[8:9], s[8:9], exec
	s_or_b64 s[4:5], s[4:5], s[8:9]
	s_or_b64 exec, exec, s[6:7]
	s_and_saveexec_b64 s[6:7], s[4:5]
	s_cbranch_execnz .LBB11_1959
	s_branch .LBB11_1960
.LBB11_4009:
	s_movk_i32 s4, 0x80
	v_cmp_eq_u16_sdwa s[12:13], v4, s4 src0_sel:BYTE_0 src1_sel:DWORD
	s_mov_b64 s[4:5], -1
                                        ; implicit-def: $sgpr10
	s_and_saveexec_b64 s[8:9], s[12:13]
; %bb.4010:
	s_mov_b32 s10, 0x7f800001
	s_xor_b64 s[4:5], exec, -1
; %bb.4011:
	s_or_b64 exec, exec, s[8:9]
	s_and_b64 s[4:5], s[4:5], exec
	s_or_saveexec_b64 s[6:7], s[6:7]
	v_mov_b32_e32 v0, s10
	s_xor_b64 exec, exec, s[6:7]
	s_cbranch_execz .LBB11_1962
.LBB11_4012:
	v_mov_b32_e32 v0, 0
	v_cmp_ne_u16_sdwa s[8:9], v4, v0 src0_sel:BYTE_0 src1_sel:DWORD
	s_andn2_b64 s[4:5], s[4:5], exec
	s_and_b64 s[8:9], s[8:9], exec
	s_or_b64 s[4:5], s[4:5], s[8:9]
	s_or_b64 exec, exec, s[6:7]
	s_and_saveexec_b64 s[6:7], s[4:5]
	s_cbranch_execnz .LBB11_1963
	s_branch .LBB11_1964
.LBB11_4013:
	s_movk_i32 s4, 0x80
	v_cmp_eq_u16_sdwa s[12:13], v4, s4 src0_sel:BYTE_0 src1_sel:DWORD
	s_mov_b64 s[4:5], -1
                                        ; implicit-def: $sgpr10
	s_and_saveexec_b64 s[8:9], s[12:13]
; %bb.4014:
	s_mov_b32 s10, 0x7f800001
	s_xor_b64 s[4:5], exec, -1
; %bb.4015:
	s_or_b64 exec, exec, s[8:9]
	s_and_b64 s[4:5], s[4:5], exec
	s_or_saveexec_b64 s[6:7], s[6:7]
	v_mov_b32_e32 v8, s10
	s_xor_b64 exec, exec, s[6:7]
	s_cbranch_execz .LBB11_1966
.LBB11_4016:
	v_mov_b32_e32 v8, 0
	v_cmp_ne_u16_sdwa s[8:9], v4, v8 src0_sel:BYTE_0 src1_sel:DWORD
	s_andn2_b64 s[4:5], s[4:5], exec
	s_and_b64 s[8:9], s[8:9], exec
	s_or_b64 s[4:5], s[4:5], s[8:9]
	s_or_b64 exec, exec, s[6:7]
	s_and_saveexec_b64 s[6:7], s[4:5]
	s_cbranch_execnz .LBB11_1967
	s_branch .LBB11_1968
.LBB11_4017:
	s_movk_i32 s4, 0x80
	v_cmp_eq_u16_e32 vcc, s4, v4
	s_mov_b64 s[4:5], -1
                                        ; implicit-def: $sgpr10
	s_and_saveexec_b64 s[8:9], vcc
; %bb.4018:
	s_mov_b32 s10, 0x7f800001
	s_xor_b64 s[4:5], exec, -1
; %bb.4019:
	s_or_b64 exec, exec, s[8:9]
	s_and_b64 s[4:5], s[4:5], exec
                                        ; implicit-def: $vgpr4
	s_or_saveexec_b64 s[6:7], s[6:7]
	v_mov_b32_e32 v0, s10
	s_xor_b64 exec, exec, s[6:7]
	s_cbranch_execz .LBB11_1970
.LBB11_4020:
	v_cmp_ne_u16_e32 vcc, 0, v4
	s_andn2_b64 s[4:5], s[4:5], exec
	s_and_b64 s[8:9], vcc, exec
	v_mov_b32_e32 v0, 0
	s_or_b64 s[4:5], s[4:5], s[8:9]
	s_or_b64 exec, exec, s[6:7]
	s_and_saveexec_b64 s[6:7], s[4:5]
	s_cbranch_execnz .LBB11_1971
	s_branch .LBB11_1972
.LBB11_4021:
	s_movk_i32 s4, 0x80
	v_cmp_eq_u16_e32 vcc, s4, v4
	s_mov_b64 s[4:5], -1
                                        ; implicit-def: $sgpr10
	s_and_saveexec_b64 s[8:9], vcc
; %bb.4022:
	s_mov_b32 s10, 0x7f800001
	s_xor_b64 s[4:5], exec, -1
; %bb.4023:
	s_or_b64 exec, exec, s[8:9]
	s_and_b64 s[4:5], s[4:5], exec
                                        ; implicit-def: $vgpr4
	s_or_saveexec_b64 s[6:7], s[6:7]
	v_mov_b32_e32 v8, s10
	s_xor_b64 exec, exec, s[6:7]
	s_cbranch_execz .LBB11_1974
.LBB11_4024:
	v_cmp_ne_u16_e32 vcc, 0, v4
	s_andn2_b64 s[4:5], s[4:5], exec
	s_and_b64 s[8:9], vcc, exec
	v_mov_b32_e32 v8, 0
	s_or_b64 s[4:5], s[4:5], s[8:9]
	s_or_b64 exec, exec, s[6:7]
	s_and_saveexec_b64 s[6:7], s[4:5]
	s_cbranch_execnz .LBB11_1975
	s_branch .LBB11_1976
.LBB11_4025:
	s_movk_i32 s4, 0x80
	v_cmp_eq_u16_sdwa s[12:13], v5, s4 src0_sel:BYTE_3 src1_sel:DWORD
	s_mov_b64 s[4:5], -1
                                        ; implicit-def: $sgpr10
	s_and_saveexec_b64 s[8:9], s[12:13]
; %bb.4026:
	s_mov_b32 s10, 0x7f800001
	s_xor_b64 s[4:5], exec, -1
; %bb.4027:
	s_or_b64 exec, exec, s[8:9]
	s_and_b64 s[4:5], s[4:5], exec
	s_or_saveexec_b64 s[6:7], s[6:7]
	v_mov_b32_e32 v0, s10
	s_xor_b64 exec, exec, s[6:7]
	s_cbranch_execz .LBB11_1978
.LBB11_4028:
	v_mov_b32_e32 v0, 0
	v_cmp_ne_u16_sdwa s[8:9], v5, v0 src0_sel:BYTE_3 src1_sel:DWORD
	s_andn2_b64 s[4:5], s[4:5], exec
	s_and_b64 s[8:9], s[8:9], exec
	s_or_b64 s[4:5], s[4:5], s[8:9]
	s_or_b64 exec, exec, s[6:7]
	s_and_saveexec_b64 s[6:7], s[4:5]
	s_cbranch_execnz .LBB11_1979
	s_branch .LBB11_1980
.LBB11_4029:
	s_movk_i32 s4, 0x80
	v_cmp_eq_u16_sdwa s[12:13], v1, s4 src0_sel:BYTE_3 src1_sel:DWORD
	s_mov_b64 s[4:5], -1
                                        ; implicit-def: $sgpr10
	s_and_saveexec_b64 s[8:9], s[12:13]
; %bb.4030:
	s_mov_b32 s10, 0x7f800001
	s_xor_b64 s[4:5], exec, -1
; %bb.4031:
	s_or_b64 exec, exec, s[8:9]
	s_and_b64 s[4:5], s[4:5], exec
	s_or_saveexec_b64 s[6:7], s[6:7]
	v_mov_b32_e32 v4, s10
	s_xor_b64 exec, exec, s[6:7]
	s_cbranch_execz .LBB11_1982
.LBB11_4032:
	v_mov_b32_e32 v4, 0
	v_cmp_ne_u16_sdwa s[8:9], v1, v4 src0_sel:BYTE_3 src1_sel:DWORD
	s_andn2_b64 s[4:5], s[4:5], exec
	s_and_b64 s[8:9], s[8:9], exec
	s_or_b64 s[4:5], s[4:5], s[8:9]
	s_or_b64 exec, exec, s[6:7]
	s_and_saveexec_b64 s[6:7], s[4:5]
	s_cbranch_execnz .LBB11_1983
	s_branch .LBB11_1984
.LBB11_4033:
	s_movk_i32 s4, 0x80
	v_cmp_eq_u16_sdwa s[12:13], v6, s4 src0_sel:BYTE_0 src1_sel:DWORD
	s_mov_b64 s[4:5], -1
                                        ; implicit-def: $sgpr10
	s_and_saveexec_b64 s[8:9], s[12:13]
; %bb.4034:
	s_mov_b32 s10, 0x7f800001
	s_xor_b64 s[4:5], exec, -1
; %bb.4035:
	s_or_b64 exec, exec, s[8:9]
	s_and_b64 s[4:5], s[4:5], exec
	s_or_saveexec_b64 s[6:7], s[6:7]
	v_mov_b32_e32 v0, s10
	s_xor_b64 exec, exec, s[6:7]
	s_cbranch_execz .LBB11_1986
.LBB11_4036:
	v_mov_b32_e32 v0, 0
	v_cmp_ne_u16_sdwa s[8:9], v6, v0 src0_sel:BYTE_0 src1_sel:DWORD
	s_andn2_b64 s[4:5], s[4:5], exec
	s_and_b64 s[8:9], s[8:9], exec
	s_or_b64 s[4:5], s[4:5], s[8:9]
	s_or_b64 exec, exec, s[6:7]
	s_and_saveexec_b64 s[6:7], s[4:5]
	s_cbranch_execnz .LBB11_1987
	s_branch .LBB11_1988
.LBB11_4037:
	s_movk_i32 s4, 0x80
	v_cmp_eq_u16_sdwa s[12:13], v2, s4 src0_sel:BYTE_0 src1_sel:DWORD
	s_mov_b64 s[4:5], -1
                                        ; implicit-def: $sgpr10
	s_and_saveexec_b64 s[8:9], s[12:13]
; %bb.4038:
	s_mov_b32 s10, 0x7f800001
	s_xor_b64 s[4:5], exec, -1
; %bb.4039:
	s_or_b64 exec, exec, s[8:9]
	s_and_b64 s[4:5], s[4:5], exec
	s_or_saveexec_b64 s[6:7], s[6:7]
	v_mov_b32_e32 v1, s10
	s_xor_b64 exec, exec, s[6:7]
	s_cbranch_execz .LBB11_1990
.LBB11_4040:
	v_mov_b32_e32 v1, 0
	v_cmp_ne_u16_sdwa s[8:9], v2, v1 src0_sel:BYTE_0 src1_sel:DWORD
	s_andn2_b64 s[4:5], s[4:5], exec
	s_and_b64 s[8:9], s[8:9], exec
	s_or_b64 s[4:5], s[4:5], s[8:9]
	s_or_b64 exec, exec, s[6:7]
	s_and_saveexec_b64 s[6:7], s[4:5]
	s_cbranch_execnz .LBB11_1991
	s_branch .LBB11_1992
.LBB11_4041:
	s_movk_i32 s4, 0x80
	v_cmp_eq_u16_sdwa s[12:13], v1, s4 src0_sel:BYTE_0 src1_sel:DWORD
	s_mov_b64 s[4:5], -1
                                        ; implicit-def: $sgpr10
	s_and_saveexec_b64 s[8:9], s[12:13]
; %bb.4042:
	s_mov_b32 s10, 0x7f800001
	s_xor_b64 s[4:5], exec, -1
; %bb.4043:
	s_or_b64 exec, exec, s[8:9]
	s_and_b64 s[4:5], s[4:5], exec
	s_or_saveexec_b64 s[6:7], s[6:7]
	v_mov_b32_e32 v0, s10
	s_xor_b64 exec, exec, s[6:7]
	s_cbranch_execz .LBB11_1994
.LBB11_4044:
	v_mov_b32_e32 v0, 0
	v_cmp_ne_u16_sdwa s[8:9], v1, v0 src0_sel:BYTE_0 src1_sel:DWORD
	s_andn2_b64 s[4:5], s[4:5], exec
	s_and_b64 s[8:9], s[8:9], exec
	s_or_b64 s[4:5], s[4:5], s[8:9]
	s_or_b64 exec, exec, s[6:7]
	s_and_saveexec_b64 s[6:7], s[4:5]
	s_cbranch_execnz .LBB11_1995
	s_branch .LBB11_1996
.LBB11_4045:
	s_movk_i32 s4, 0x80
	v_cmp_eq_u16_sdwa s[12:13], v1, s4 src0_sel:BYTE_0 src1_sel:DWORD
	s_mov_b64 s[4:5], -1
                                        ; implicit-def: $sgpr10
	s_and_saveexec_b64 s[8:9], s[12:13]
; %bb.4046:
	s_mov_b32 s10, 0x7f800001
	s_xor_b64 s[4:5], exec, -1
; %bb.4047:
	s_or_b64 exec, exec, s[8:9]
	s_and_b64 s[4:5], s[4:5], exec
	s_or_saveexec_b64 s[6:7], s[6:7]
	v_mov_b32_e32 v4, s10
	s_xor_b64 exec, exec, s[6:7]
	s_cbranch_execz .LBB11_1998
.LBB11_4048:
	v_mov_b32_e32 v4, 0
	v_cmp_ne_u16_sdwa s[8:9], v1, v4 src0_sel:BYTE_0 src1_sel:DWORD
	s_andn2_b64 s[4:5], s[4:5], exec
	s_and_b64 s[8:9], s[8:9], exec
	s_or_b64 s[4:5], s[4:5], s[8:9]
	s_or_b64 exec, exec, s[6:7]
	s_and_saveexec_b64 s[6:7], s[4:5]
	s_cbranch_execnz .LBB11_1999
	s_branch .LBB11_2000
.LBB11_4049:
	s_movk_i32 s4, 0x80
	v_cmp_eq_u16_e32 vcc, s4, v1
	s_mov_b64 s[4:5], -1
                                        ; implicit-def: $sgpr10
	s_and_saveexec_b64 s[8:9], vcc
; %bb.4050:
	s_mov_b32 s10, 0x7f800001
	s_xor_b64 s[4:5], exec, -1
; %bb.4051:
	s_or_b64 exec, exec, s[8:9]
	s_and_b64 s[4:5], s[4:5], exec
                                        ; implicit-def: $vgpr1
	s_or_saveexec_b64 s[6:7], s[6:7]
	v_mov_b32_e32 v0, s10
	s_xor_b64 exec, exec, s[6:7]
	s_cbranch_execz .LBB11_2002
.LBB11_4052:
	v_cmp_ne_u16_e32 vcc, 0, v1
	s_andn2_b64 s[4:5], s[4:5], exec
	s_and_b64 s[8:9], vcc, exec
	v_mov_b32_e32 v0, 0
	s_or_b64 s[4:5], s[4:5], s[8:9]
	s_or_b64 exec, exec, s[6:7]
	s_and_saveexec_b64 s[6:7], s[4:5]
	s_cbranch_execnz .LBB11_2003
	s_branch .LBB11_2004
.LBB11_4053:
	s_movk_i32 s4, 0x80
	v_cmp_eq_u16_e32 vcc, s4, v1
	s_mov_b64 s[4:5], -1
                                        ; implicit-def: $sgpr10
	s_and_saveexec_b64 s[8:9], vcc
; %bb.4054:
	s_mov_b32 s10, 0x7f800001
	s_xor_b64 s[4:5], exec, -1
; %bb.4055:
	s_or_b64 exec, exec, s[8:9]
	s_and_b64 s[4:5], s[4:5], exec
                                        ; implicit-def: $vgpr1
	s_or_saveexec_b64 s[6:7], s[6:7]
	v_mov_b32_e32 v4, s10
	s_xor_b64 exec, exec, s[6:7]
	s_cbranch_execz .LBB11_2006
.LBB11_4056:
	v_cmp_ne_u16_e32 vcc, 0, v1
	s_andn2_b64 s[4:5], s[4:5], exec
	s_and_b64 s[8:9], vcc, exec
	v_mov_b32_e32 v4, 0
	s_or_b64 s[4:5], s[4:5], s[8:9]
	s_or_b64 exec, exec, s[6:7]
	s_and_saveexec_b64 s[6:7], s[4:5]
	s_cbranch_execnz .LBB11_2007
	s_branch .LBB11_2008
.LBB11_4057:
	s_movk_i32 s4, 0x80
	v_cmp_eq_u16_sdwa s[12:13], v6, s4 src0_sel:BYTE_3 src1_sel:DWORD
	s_mov_b64 s[4:5], -1
                                        ; implicit-def: $sgpr10
	s_and_saveexec_b64 s[8:9], s[12:13]
; %bb.4058:
	s_mov_b32 s10, 0x7f800001
	s_xor_b64 s[4:5], exec, -1
; %bb.4059:
	s_or_b64 exec, exec, s[8:9]
	s_and_b64 s[4:5], s[4:5], exec
	s_or_saveexec_b64 s[6:7], s[6:7]
	v_mov_b32_e32 v0, s10
	s_xor_b64 exec, exec, s[6:7]
	s_cbranch_execz .LBB11_2010
.LBB11_4060:
	v_mov_b32_e32 v0, 0
	v_cmp_ne_u16_sdwa s[8:9], v6, v0 src0_sel:BYTE_3 src1_sel:DWORD
	s_andn2_b64 s[4:5], s[4:5], exec
	s_and_b64 s[8:9], s[8:9], exec
	s_or_b64 s[4:5], s[4:5], s[8:9]
	s_or_b64 exec, exec, s[6:7]
	s_and_saveexec_b64 s[6:7], s[4:5]
	s_cbranch_execnz .LBB11_2011
	s_branch .LBB11_2012
.LBB11_4061:
	s_movk_i32 s4, 0x80
	v_cmp_eq_u16_sdwa s[12:13], v2, s4 src0_sel:BYTE_3 src1_sel:DWORD
	s_mov_b64 s[4:5], -1
                                        ; implicit-def: $sgpr10
	s_and_saveexec_b64 s[8:9], s[12:13]
; %bb.4062:
	s_mov_b32 s10, 0x7f800001
	s_xor_b64 s[4:5], exec, -1
; %bb.4063:
	s_or_b64 exec, exec, s[8:9]
	s_and_b64 s[4:5], s[4:5], exec
	s_or_saveexec_b64 s[6:7], s[6:7]
	v_mov_b32_e32 v1, s10
	s_xor_b64 exec, exec, s[6:7]
	s_cbranch_execz .LBB11_2014
.LBB11_4064:
	v_mov_b32_e32 v1, 0
	v_cmp_ne_u16_sdwa s[8:9], v2, v1 src0_sel:BYTE_3 src1_sel:DWORD
	s_andn2_b64 s[4:5], s[4:5], exec
	s_and_b64 s[8:9], s[8:9], exec
	s_or_b64 s[4:5], s[4:5], s[8:9]
	s_or_b64 exec, exec, s[6:7]
	s_and_saveexec_b64 s[6:7], s[4:5]
	s_cbranch_execnz .LBB11_2015
	s_branch .LBB11_2016
.LBB11_4065:
	s_movk_i32 s4, 0x80
	v_cmp_eq_u16_sdwa s[12:13], v7, s4 src0_sel:BYTE_0 src1_sel:DWORD
	s_mov_b64 s[4:5], -1
                                        ; implicit-def: $sgpr10
	s_and_saveexec_b64 s[8:9], s[12:13]
; %bb.4066:
	s_mov_b32 s10, 0x7f800001
	s_xor_b64 s[4:5], exec, -1
; %bb.4067:
	s_or_b64 exec, exec, s[8:9]
	s_and_b64 s[4:5], s[4:5], exec
	s_or_saveexec_b64 s[6:7], s[6:7]
	v_mov_b32_e32 v0, s10
	s_xor_b64 exec, exec, s[6:7]
	s_cbranch_execz .LBB11_2018
.LBB11_4068:
	v_mov_b32_e32 v0, 0
	v_cmp_ne_u16_sdwa s[8:9], v7, v0 src0_sel:BYTE_0 src1_sel:DWORD
	s_andn2_b64 s[4:5], s[4:5], exec
	s_and_b64 s[8:9], s[8:9], exec
	s_or_b64 s[4:5], s[4:5], s[8:9]
	s_or_b64 exec, exec, s[6:7]
	s_and_saveexec_b64 s[6:7], s[4:5]
	s_cbranch_execnz .LBB11_2019
	s_branch .LBB11_2020
.LBB11_4069:
	s_movk_i32 s4, 0x80
	v_cmp_eq_u16_sdwa s[12:13], v3, s4 src0_sel:BYTE_0 src1_sel:DWORD
	s_mov_b64 s[4:5], -1
                                        ; implicit-def: $sgpr10
	s_and_saveexec_b64 s[8:9], s[12:13]
; %bb.4070:
	s_mov_b32 s10, 0x7f800001
	s_xor_b64 s[4:5], exec, -1
; %bb.4071:
	s_or_b64 exec, exec, s[8:9]
	s_and_b64 s[4:5], s[4:5], exec
	s_or_saveexec_b64 s[6:7], s[6:7]
	v_mov_b32_e32 v1, s10
	s_xor_b64 exec, exec, s[6:7]
	s_cbranch_execz .LBB11_2022
.LBB11_4072:
	v_mov_b32_e32 v1, 0
	v_cmp_ne_u16_sdwa s[8:9], v3, v1 src0_sel:BYTE_0 src1_sel:DWORD
	s_andn2_b64 s[4:5], s[4:5], exec
	s_and_b64 s[8:9], s[8:9], exec
	s_or_b64 s[4:5], s[4:5], s[8:9]
	s_or_b64 exec, exec, s[6:7]
	s_and_saveexec_b64 s[6:7], s[4:5]
	s_cbranch_execnz .LBB11_2023
	s_branch .LBB11_2024
.LBB11_4073:
	s_movk_i32 s4, 0x80
	v_cmp_eq_u16_sdwa s[12:13], v1, s4 src0_sel:BYTE_0 src1_sel:DWORD
	s_mov_b64 s[4:5], -1
                                        ; implicit-def: $sgpr10
	s_and_saveexec_b64 s[8:9], s[12:13]
; %bb.4074:
	s_mov_b32 s10, 0x7f800001
	s_xor_b64 s[4:5], exec, -1
; %bb.4075:
	s_or_b64 exec, exec, s[8:9]
	s_and_b64 s[4:5], s[4:5], exec
	s_or_saveexec_b64 s[6:7], s[6:7]
	v_mov_b32_e32 v0, s10
	s_xor_b64 exec, exec, s[6:7]
	s_cbranch_execz .LBB11_2026
.LBB11_4076:
	v_mov_b32_e32 v0, 0
	v_cmp_ne_u16_sdwa s[8:9], v1, v0 src0_sel:BYTE_0 src1_sel:DWORD
	s_andn2_b64 s[4:5], s[4:5], exec
	s_and_b64 s[8:9], s[8:9], exec
	s_or_b64 s[4:5], s[4:5], s[8:9]
	s_or_b64 exec, exec, s[6:7]
	s_and_saveexec_b64 s[6:7], s[4:5]
	s_cbranch_execnz .LBB11_2027
	s_branch .LBB11_2028
.LBB11_4077:
	s_movk_i32 s4, 0x80
	v_cmp_eq_u16_sdwa s[12:13], v1, s4 src0_sel:BYTE_0 src1_sel:DWORD
	s_mov_b64 s[4:5], -1
                                        ; implicit-def: $sgpr10
	s_and_saveexec_b64 s[8:9], s[12:13]
; %bb.4078:
	s_mov_b32 s10, 0x7f800001
	s_xor_b64 s[4:5], exec, -1
; %bb.4079:
	s_or_b64 exec, exec, s[8:9]
	s_and_b64 s[4:5], s[4:5], exec
	s_or_saveexec_b64 s[6:7], s[6:7]
	v_mov_b32_e32 v2, s10
	s_xor_b64 exec, exec, s[6:7]
	s_cbranch_execz .LBB11_2030
.LBB11_4080:
	v_mov_b32_e32 v2, 0
	v_cmp_ne_u16_sdwa s[8:9], v1, v2 src0_sel:BYTE_0 src1_sel:DWORD
	s_andn2_b64 s[4:5], s[4:5], exec
	s_and_b64 s[8:9], s[8:9], exec
	s_or_b64 s[4:5], s[4:5], s[8:9]
	s_or_b64 exec, exec, s[6:7]
	s_and_saveexec_b64 s[6:7], s[4:5]
	s_cbranch_execnz .LBB11_2031
	s_branch .LBB11_2032
.LBB11_4081:
	s_movk_i32 s4, 0x80
	v_cmp_eq_u16_e32 vcc, s4, v1
	s_mov_b64 s[4:5], -1
                                        ; implicit-def: $sgpr10
	s_and_saveexec_b64 s[8:9], vcc
; %bb.4082:
	s_mov_b32 s10, 0x7f800001
	s_xor_b64 s[4:5], exec, -1
; %bb.4083:
	s_or_b64 exec, exec, s[8:9]
	s_and_b64 s[4:5], s[4:5], exec
                                        ; implicit-def: $vgpr1
	s_or_saveexec_b64 s[6:7], s[6:7]
	v_mov_b32_e32 v0, s10
	s_xor_b64 exec, exec, s[6:7]
	s_cbranch_execz .LBB11_2034
.LBB11_4084:
	v_cmp_ne_u16_e32 vcc, 0, v1
	s_andn2_b64 s[4:5], s[4:5], exec
	s_and_b64 s[8:9], vcc, exec
	v_mov_b32_e32 v0, 0
	s_or_b64 s[4:5], s[4:5], s[8:9]
	s_or_b64 exec, exec, s[6:7]
	s_and_saveexec_b64 s[6:7], s[4:5]
	s_cbranch_execnz .LBB11_2035
	s_branch .LBB11_2036
.LBB11_4085:
	s_movk_i32 s4, 0x80
	v_cmp_eq_u16_e32 vcc, s4, v1
	s_mov_b64 s[4:5], -1
                                        ; implicit-def: $sgpr10
	s_and_saveexec_b64 s[8:9], vcc
; %bb.4086:
	s_mov_b32 s10, 0x7f800001
	s_xor_b64 s[4:5], exec, -1
; %bb.4087:
	s_or_b64 exec, exec, s[8:9]
	s_and_b64 s[4:5], s[4:5], exec
                                        ; implicit-def: $vgpr1
	s_or_saveexec_b64 s[6:7], s[6:7]
	v_mov_b32_e32 v2, s10
	s_xor_b64 exec, exec, s[6:7]
	s_cbranch_execz .LBB11_2038
.LBB11_4088:
	v_cmp_ne_u16_e32 vcc, 0, v1
	s_andn2_b64 s[4:5], s[4:5], exec
	s_and_b64 s[8:9], vcc, exec
	v_mov_b32_e32 v2, 0
	s_or_b64 s[4:5], s[4:5], s[8:9]
	s_or_b64 exec, exec, s[6:7]
	s_and_saveexec_b64 s[6:7], s[4:5]
	s_cbranch_execnz .LBB11_2039
	s_branch .LBB11_2040
.LBB11_4089:
	s_movk_i32 s4, 0x80
	v_cmp_eq_u16_sdwa s[12:13], v7, s4 src0_sel:BYTE_3 src1_sel:DWORD
	s_mov_b64 s[4:5], -1
                                        ; implicit-def: $sgpr10
	s_and_saveexec_b64 s[8:9], s[12:13]
; %bb.4090:
	s_mov_b32 s10, 0x7f800001
	s_xor_b64 s[4:5], exec, -1
; %bb.4091:
	s_or_b64 exec, exec, s[8:9]
	s_and_b64 s[4:5], s[4:5], exec
	s_or_saveexec_b64 s[6:7], s[6:7]
	v_mov_b32_e32 v0, s10
	s_xor_b64 exec, exec, s[6:7]
	s_cbranch_execz .LBB11_2042
.LBB11_4092:
	v_mov_b32_e32 v0, 0
	v_cmp_ne_u16_sdwa s[8:9], v7, v0 src0_sel:BYTE_3 src1_sel:DWORD
	s_andn2_b64 s[4:5], s[4:5], exec
	s_and_b64 s[8:9], s[8:9], exec
	s_or_b64 s[4:5], s[4:5], s[8:9]
	s_or_b64 exec, exec, s[6:7]
	s_and_saveexec_b64 s[6:7], s[4:5]
	s_cbranch_execnz .LBB11_2043
	s_branch .LBB11_2044
.LBB11_4093:
	s_movk_i32 s4, 0x80
	v_cmp_eq_u16_sdwa s[12:13], v3, s4 src0_sel:BYTE_3 src1_sel:DWORD
	s_mov_b64 s[4:5], -1
                                        ; implicit-def: $sgpr10
	s_and_saveexec_b64 s[8:9], s[12:13]
; %bb.4094:
	s_mov_b32 s10, 0x7f800001
	s_xor_b64 s[4:5], exec, -1
; %bb.4095:
	s_or_b64 exec, exec, s[8:9]
	s_and_b64 s[4:5], s[4:5], exec
	s_or_saveexec_b64 s[6:7], s[6:7]
	v_mov_b32_e32 v1, s10
	s_xor_b64 exec, exec, s[6:7]
	s_cbranch_execz .LBB11_2046
.LBB11_4096:
	v_mov_b32_e32 v1, 0
	v_cmp_ne_u16_sdwa s[8:9], v3, v1 src0_sel:BYTE_3 src1_sel:DWORD
	s_andn2_b64 s[4:5], s[4:5], exec
	s_and_b64 s[8:9], s[8:9], exec
	s_or_b64 s[4:5], s[4:5], s[8:9]
	s_or_b64 exec, exec, s[6:7]
	s_and_saveexec_b64 s[6:7], s[4:5]
	s_cbranch_execnz .LBB11_2047
	s_branch .LBB11_2048
.Lfunc_end11:
	.size	_ZNK2ck6detail7applierIiJLi0ELi1ELi2ELi3ELi4ELi5ELi6ELi7EEEclIZNKS_11static_fordINS_8SequenceIJLi1ELi8EEEENS5_IJLi0ELi1EEEEEclIZZZNKS_52BlockwiseGemmXdlops_pipeline_bpreshuffle_bdequant_v3ILNS_26BlockGemmPipelineSchedulerE0ELi256ENS_9f8_fnuz_tENS_7pk_i4_tESC_fNS_16TensorDescriptorINS_5TupleIJNS_5EmbedINSF_IJNS_17integral_constantIiLi8EEENSH_IiLi256EEENSH_IiLi16EEEEEENSF_IJSK_NSH_IiLi128EEENSH_IiLi1EEEEEELb0EEENS_3XorINSF_IJSJ_SI_EEELb1EEENS_11PassThroughISK_EENS_7UnMergeINSF_IJSI_SN_EEELb0EEENST_ISJ_EESU_NST_ISI_EENS_21Merge_v3_division_modINSF_IJSJ_SN_EEEEESU_EEENSF_IJNS5_IJLi0EEEENS5_IJLi2ELi1EEEENS5_IJLi3EEEENS5_IJLi5EEEENS5_IJLi4EEEENS5_IJLi6EEEENS5_IJLi7EEEENS5_IJLi9ELi8EEEENS5_IJLi10EEEEEEENSF_IJNS5_IJLi1ELi2ELi3EEEENS5_IJLi4ELi5EEEES19_NS5_IJLi7ELi8EEEENS5_IJLi9EEEES1C_NS5_IJLi11EEEENS5_IJLi12EEEENS5_IJLi13EEEEEEENS5_IJLi11ELi12ELi13EEEENSH_IlLl32768EEEEENSE_INSF_IJNSV_INSF_IJSI_SN_SN_NSH_IiLi32EEEEEELb0EEEEEENSF_IJS14_EEENSF_IJNS5_IJLi1ELi2ELi3ELi4EEEEEEES1U_NSH_IlLl256EEEEENSE_INSF_IJSP_SS_SU_SX_SY_SU_SZ_S12_SU_NS10_INSF_IJSI_SK_EEEEENSV_INSF_IJSI_NSH_IiLi2EEESK_EEELb0EEEEEENSF_IJS14_S15_S16_S17_S18_S19_S1A_S1B_S1C_NS5_IJLi11ELi13EEEES1J_EEENSF_IJS1E_S1F_S19_S1G_S1H_S1C_S1I_S1J_S1K_NS5_IJLi14EEEENS5_IJLi15ELi16ELi17EEEEEEENS5_IJLi15ELi16ELi17ELi14EEEES1N_EENSE_INSF_IJS1R_NS10_ISW_EES22_EEENSF_IJS14_NS5_IJLi1ELi3EEEENS5_IJLi2EEEEEEENSF_IJS1U_S17_NS5_IJLi6ELi7ELi8EEEEEEENS5_IJLi6ELi7ELi8ELi5EEEES1W_EELi16ELi32ELi256ELi256ELi128ELi16ELi16ELi8ELi8ELi32ELb0EE3RunILb1ELNS_10TailNumberE0ENSE_INSF_IJNSG_INSF_IJiiEEENSF_IJiSN_EEELb0EEENSV_IS2N_Lb0EEENST_IiEEEEENSF_IJS14_S2E_NS5_IJLi1EEEEEEENSF_IJNS5_IJLi1ELi2EEEENS5_IJLi3ELi4EEEES17_EEENS5_IJLi3ELi5ELi4EEEElEES1O_NS_35ThreadGroupTensorSliceTransfer_v4r1INS_15ThisThreadBlockILi256EEENS_16tensor_operation12element_wise11PassThroughES35_LNS_25InMemoryDataOperationEnumE0ENS5_IJLi8ELi256ELi16EEEENS5_IJLi8ELi32ELi1EEEENS5_IJLi1ELi0ELi2EEEESC_SC_RKS2Z_KS1O_S39_NS5_IJLi0ELi1ELi2EEEELi2ELi2ELi16ELi16ELi1ELi1ELb0ELb1ELi2EiEENS_13DynamicBufferILNS_16AddressSpaceEnumE1EKSC_lLb1ELNS_22AmdBufferCoherenceEnumE0EiEENSF_IJNS3F_ILS3G_2ESC_S1N_Lb1ELS3I_0EiEES3K_EEENSF_IJiiiEEENSE_INSF_IJNSG_INSF_IJiiiiEEENSF_IJiiiSN_EEELb0EEEEEES1T_S1V_S1U_lEENS_32ThreadwiseTensorSliceTransfer_v2ISD_SD_RKS3R_KS1X_NS5_IJLi8ELi1ELi1ELi32EEEENS5_IJLi1ELi2ELi0ELi3EEEELi3ELi32ELi0ELb1ELb0ELb0EEENS3F_ILS3G_1EKSD_lLb1ELS3I_0EiEENSF_IJNS_12StaticBufferILS3G_4ESD_Li256ELb1EEES42_EEES3N_NS_25StaticBufferTupleOfVectorILS3G_4EfLi64ELi4ELb1ELb0EEEEEvRKT1_RKT2_RT3_RKT4_RT5_RKT6_RKT7_RT8_RKT9_RT10_RKT11_RT12_iENKUlT_T0_E_clISN_NSH_IiLi0EEEEEDaS51_S52_ENKUlS51_E_clISN_EEDaS51_EUlS51_E_EEvS51_EUlS51_E_EEvS51_, .Lfunc_end11-_ZNK2ck6detail7applierIiJLi0ELi1ELi2ELi3ELi4ELi5ELi6ELi7EEEclIZNKS_11static_fordINS_8SequenceIJLi1ELi8EEEENS5_IJLi0ELi1EEEEEclIZZZNKS_52BlockwiseGemmXdlops_pipeline_bpreshuffle_bdequant_v3ILNS_26BlockGemmPipelineSchedulerE0ELi256ENS_9f8_fnuz_tENS_7pk_i4_tESC_fNS_16TensorDescriptorINS_5TupleIJNS_5EmbedINSF_IJNS_17integral_constantIiLi8EEENSH_IiLi256EEENSH_IiLi16EEEEEENSF_IJSK_NSH_IiLi128EEENSH_IiLi1EEEEEELb0EEENS_3XorINSF_IJSJ_SI_EEELb1EEENS_11PassThroughISK_EENS_7UnMergeINSF_IJSI_SN_EEELb0EEENST_ISJ_EESU_NST_ISI_EENS_21Merge_v3_division_modINSF_IJSJ_SN_EEEEESU_EEENSF_IJNS5_IJLi0EEEENS5_IJLi2ELi1EEEENS5_IJLi3EEEENS5_IJLi5EEEENS5_IJLi4EEEENS5_IJLi6EEEENS5_IJLi7EEEENS5_IJLi9ELi8EEEENS5_IJLi10EEEEEEENSF_IJNS5_IJLi1ELi2ELi3EEEENS5_IJLi4ELi5EEEES19_NS5_IJLi7ELi8EEEENS5_IJLi9EEEES1C_NS5_IJLi11EEEENS5_IJLi12EEEENS5_IJLi13EEEEEEENS5_IJLi11ELi12ELi13EEEENSH_IlLl32768EEEEENSE_INSF_IJNSV_INSF_IJSI_SN_SN_NSH_IiLi32EEEEEELb0EEEEEENSF_IJS14_EEENSF_IJNS5_IJLi1ELi2ELi3ELi4EEEEEEES1U_NSH_IlLl256EEEEENSE_INSF_IJSP_SS_SU_SX_SY_SU_SZ_S12_SU_NS10_INSF_IJSI_SK_EEEEENSV_INSF_IJSI_NSH_IiLi2EEESK_EEELb0EEEEEENSF_IJS14_S15_S16_S17_S18_S19_S1A_S1B_S1C_NS5_IJLi11ELi13EEEES1J_EEENSF_IJS1E_S1F_S19_S1G_S1H_S1C_S1I_S1J_S1K_NS5_IJLi14EEEENS5_IJLi15ELi16ELi17EEEEEEENS5_IJLi15ELi16ELi17ELi14EEEES1N_EENSE_INSF_IJS1R_NS10_ISW_EES22_EEENSF_IJS14_NS5_IJLi1ELi3EEEENS5_IJLi2EEEEEEENSF_IJS1U_S17_NS5_IJLi6ELi7ELi8EEEEEEENS5_IJLi6ELi7ELi8ELi5EEEES1W_EELi16ELi32ELi256ELi256ELi128ELi16ELi16ELi8ELi8ELi32ELb0EE3RunILb1ELNS_10TailNumberE0ENSE_INSF_IJNSG_INSF_IJiiEEENSF_IJiSN_EEELb0EEENSV_IS2N_Lb0EEENST_IiEEEEENSF_IJS14_S2E_NS5_IJLi1EEEEEEENSF_IJNS5_IJLi1ELi2EEEENS5_IJLi3ELi4EEEES17_EEENS5_IJLi3ELi5ELi4EEEElEES1O_NS_35ThreadGroupTensorSliceTransfer_v4r1INS_15ThisThreadBlockILi256EEENS_16tensor_operation12element_wise11PassThroughES35_LNS_25InMemoryDataOperationEnumE0ENS5_IJLi8ELi256ELi16EEEENS5_IJLi8ELi32ELi1EEEENS5_IJLi1ELi0ELi2EEEESC_SC_RKS2Z_KS1O_S39_NS5_IJLi0ELi1ELi2EEEELi2ELi2ELi16ELi16ELi1ELi1ELb0ELb1ELi2EiEENS_13DynamicBufferILNS_16AddressSpaceEnumE1EKSC_lLb1ELNS_22AmdBufferCoherenceEnumE0EiEENSF_IJNS3F_ILS3G_2ESC_S1N_Lb1ELS3I_0EiEES3K_EEENSF_IJiiiEEENSE_INSF_IJNSG_INSF_IJiiiiEEENSF_IJiiiSN_EEELb0EEEEEES1T_S1V_S1U_lEENS_32ThreadwiseTensorSliceTransfer_v2ISD_SD_RKS3R_KS1X_NS5_IJLi8ELi1ELi1ELi32EEEENS5_IJLi1ELi2ELi0ELi3EEEELi3ELi32ELi0ELb1ELb0ELb0EEENS3F_ILS3G_1EKSD_lLb1ELS3I_0EiEENSF_IJNS_12StaticBufferILS3G_4ESD_Li256ELb1EEES42_EEES3N_NS_25StaticBufferTupleOfVectorILS3G_4EfLi64ELi4ELb1ELb0EEEEEvRKT1_RKT2_RT3_RKT4_RT5_RKT6_RKT7_RT8_RKT9_RT10_RKT11_RT12_iENKUlT_T0_E_clISN_NSH_IiLi0EEEEEDaS51_S52_ENKUlS51_E_clISN_EEDaS51_EUlS51_E_EEvS51_EUlS51_E_EEvS51_
                                        ; -- End function
	.section	.AMDGPU.csdata,"",@progbits
; Function info:
; codeLenInByte = 133608
; NumSgprs: 36
; NumVgprs: 26
; NumAgprs: 4
; TotalNumVgprs: 32
; ScratchSize: 0
; MemoryBound: 1
	.text
	.p2align	2                               ; -- Begin function _ZNK2ck6detail7applierIiJLi0ELi1ELi2ELi3ELi4ELi5ELi6ELi7EEEclIZNKS_11static_fordINS_8SequenceIJLi1ELi8EEEENS5_IJLi0ELi1EEEEEclIZZZNKS_52BlockwiseGemmXdlops_pipeline_bpreshuffle_bdequant_v3ILNS_26BlockGemmPipelineSchedulerE0ELi256ENS_9f8_fnuz_tENS_7pk_i4_tESC_fNS_16TensorDescriptorINS_5TupleIJNS_5EmbedINSF_IJNS_17integral_constantIiLi8EEENSH_IiLi256EEENSH_IiLi16EEEEEENSF_IJSK_NSH_IiLi128EEENSH_IiLi1EEEEEELb0EEENS_3XorINSF_IJSJ_SI_EEELb1EEENS_11PassThroughISK_EENS_7UnMergeINSF_IJSI_SN_EEELb0EEENST_ISJ_EESU_NST_ISI_EENS_21Merge_v3_division_modINSF_IJSJ_SN_EEEEESU_EEENSF_IJNS5_IJLi0EEEENS5_IJLi2ELi1EEEENS5_IJLi3EEEENS5_IJLi5EEEENS5_IJLi4EEEENS5_IJLi6EEEENS5_IJLi7EEEENS5_IJLi9ELi8EEEENS5_IJLi10EEEEEEENSF_IJNS5_IJLi1ELi2ELi3EEEENS5_IJLi4ELi5EEEES19_NS5_IJLi7ELi8EEEENS5_IJLi9EEEES1C_NS5_IJLi11EEEENS5_IJLi12EEEENS5_IJLi13EEEEEEENS5_IJLi11ELi12ELi13EEEENSH_IlLl32768EEEEENSE_INSF_IJNSV_INSF_IJSI_SN_SN_NSH_IiLi32EEEEEELb0EEEEEENSF_IJS14_EEENSF_IJNS5_IJLi1ELi2ELi3ELi4EEEEEEES1U_NSH_IlLl256EEEEENSE_INSF_IJSP_SS_SU_SX_SY_SU_SZ_S12_SU_NS10_INSF_IJSI_SK_EEEEENSV_INSF_IJSI_NSH_IiLi2EEESK_EEELb0EEEEEENSF_IJS14_S15_S16_S17_S18_S19_S1A_S1B_S1C_NS5_IJLi11ELi13EEEES1J_EEENSF_IJS1E_S1F_S19_S1G_S1H_S1C_S1I_S1J_S1K_NS5_IJLi14EEEENS5_IJLi15ELi16ELi17EEEEEEENS5_IJLi15ELi16ELi17ELi14EEEES1N_EENSE_INSF_IJS1R_NS10_ISW_EES22_EEENSF_IJS14_NS5_IJLi1ELi3EEEENS5_IJLi2EEEEEEENSF_IJS1U_S17_NS5_IJLi6ELi7ELi8EEEEEEENS5_IJLi6ELi7ELi8ELi5EEEES1W_EELi16ELi32ELi256ELi256ELi128ELi16ELi16ELi8ELi8ELi32ELb0EE3RunILb1ELNS_10TailNumberE0ENSE_INSF_IJNSG_INSF_IJiiEEENSF_IJiSN_EEELb0EEENSV_IS2N_Lb0EEENST_IiEEEEENSF_IJS14_S2E_NS5_IJLi1EEEEEEENSF_IJNS5_IJLi1ELi2EEEENS5_IJLi3ELi4EEEES17_EEENS5_IJLi3ELi5ELi4EEEElEES1O_NS_35ThreadGroupTensorSliceTransfer_v4r1INS_15ThisThreadBlockILi256EEENS_16tensor_operation12element_wise11PassThroughES35_LNS_25InMemoryDataOperationEnumE0ENS5_IJLi8ELi256ELi16EEEENS5_IJLi8ELi32ELi1EEEENS5_IJLi1ELi0ELi2EEEESC_SC_RKS2Z_KS1O_S39_NS5_IJLi0ELi1ELi2EEEELi2ELi2ELi16ELi16ELi1ELi1ELb0ELb1ELi2EiEENS_13DynamicBufferILNS_16AddressSpaceEnumE1EKSC_lLb1ELNS_22AmdBufferCoherenceEnumE0EiEENSF_IJNS3F_ILS3G_2ESC_S1N_Lb1ELS3I_0EiEES3K_EEENSF_IJiiiEEENSE_INSF_IJNSG_INSF_IJiiiiEEENSF_IJiiiSN_EEELb0EEEEEES1T_S1V_S1U_lEENS_32ThreadwiseTensorSliceTransfer_v2ISD_SD_RKS3R_KS1X_NS5_IJLi8ELi1ELi1ELi32EEEENS5_IJLi1ELi2ELi0ELi3EEEELi3ELi32ELi0ELb1ELb0ELb0EEENS3F_ILS3G_1EKSD_lLb1ELS3I_0EiEENSF_IJNS_12StaticBufferILS3G_4ESD_Li256ELb1EEES42_EEES3N_NS_25StaticBufferTupleOfVectorILS3G_4EfLi64ELi4ELb1ELb0EEEEEvRKT1_RKT2_RT3_RKT4_RT5_RKT6_RKT7_RT8_RKT9_RT10_RKT11_RT12_iENKUlT_T0_E_clISN_NSH_IiLi0EEEEEDaS51_S52_ENKUlS51_E_clIS20_EEDaS51_EUlS51_E_EEvS51_EUlS51_E_EEvS51_
	.type	_ZNK2ck6detail7applierIiJLi0ELi1ELi2ELi3ELi4ELi5ELi6ELi7EEEclIZNKS_11static_fordINS_8SequenceIJLi1ELi8EEEENS5_IJLi0ELi1EEEEEclIZZZNKS_52BlockwiseGemmXdlops_pipeline_bpreshuffle_bdequant_v3ILNS_26BlockGemmPipelineSchedulerE0ELi256ENS_9f8_fnuz_tENS_7pk_i4_tESC_fNS_16TensorDescriptorINS_5TupleIJNS_5EmbedINSF_IJNS_17integral_constantIiLi8EEENSH_IiLi256EEENSH_IiLi16EEEEEENSF_IJSK_NSH_IiLi128EEENSH_IiLi1EEEEEELb0EEENS_3XorINSF_IJSJ_SI_EEELb1EEENS_11PassThroughISK_EENS_7UnMergeINSF_IJSI_SN_EEELb0EEENST_ISJ_EESU_NST_ISI_EENS_21Merge_v3_division_modINSF_IJSJ_SN_EEEEESU_EEENSF_IJNS5_IJLi0EEEENS5_IJLi2ELi1EEEENS5_IJLi3EEEENS5_IJLi5EEEENS5_IJLi4EEEENS5_IJLi6EEEENS5_IJLi7EEEENS5_IJLi9ELi8EEEENS5_IJLi10EEEEEEENSF_IJNS5_IJLi1ELi2ELi3EEEENS5_IJLi4ELi5EEEES19_NS5_IJLi7ELi8EEEENS5_IJLi9EEEES1C_NS5_IJLi11EEEENS5_IJLi12EEEENS5_IJLi13EEEEEEENS5_IJLi11ELi12ELi13EEEENSH_IlLl32768EEEEENSE_INSF_IJNSV_INSF_IJSI_SN_SN_NSH_IiLi32EEEEEELb0EEEEEENSF_IJS14_EEENSF_IJNS5_IJLi1ELi2ELi3ELi4EEEEEEES1U_NSH_IlLl256EEEEENSE_INSF_IJSP_SS_SU_SX_SY_SU_SZ_S12_SU_NS10_INSF_IJSI_SK_EEEEENSV_INSF_IJSI_NSH_IiLi2EEESK_EEELb0EEEEEENSF_IJS14_S15_S16_S17_S18_S19_S1A_S1B_S1C_NS5_IJLi11ELi13EEEES1J_EEENSF_IJS1E_S1F_S19_S1G_S1H_S1C_S1I_S1J_S1K_NS5_IJLi14EEEENS5_IJLi15ELi16ELi17EEEEEEENS5_IJLi15ELi16ELi17ELi14EEEES1N_EENSE_INSF_IJS1R_NS10_ISW_EES22_EEENSF_IJS14_NS5_IJLi1ELi3EEEENS5_IJLi2EEEEEEENSF_IJS1U_S17_NS5_IJLi6ELi7ELi8EEEEEEENS5_IJLi6ELi7ELi8ELi5EEEES1W_EELi16ELi32ELi256ELi256ELi128ELi16ELi16ELi8ELi8ELi32ELb0EE3RunILb1ELNS_10TailNumberE0ENSE_INSF_IJNSG_INSF_IJiiEEENSF_IJiSN_EEELb0EEENSV_IS2N_Lb0EEENST_IiEEEEENSF_IJS14_S2E_NS5_IJLi1EEEEEEENSF_IJNS5_IJLi1ELi2EEEENS5_IJLi3ELi4EEEES17_EEENS5_IJLi3ELi5ELi4EEEElEES1O_NS_35ThreadGroupTensorSliceTransfer_v4r1INS_15ThisThreadBlockILi256EEENS_16tensor_operation12element_wise11PassThroughES35_LNS_25InMemoryDataOperationEnumE0ENS5_IJLi8ELi256ELi16EEEENS5_IJLi8ELi32ELi1EEEENS5_IJLi1ELi0ELi2EEEESC_SC_RKS2Z_KS1O_S39_NS5_IJLi0ELi1ELi2EEEELi2ELi2ELi16ELi16ELi1ELi1ELb0ELb1ELi2EiEENS_13DynamicBufferILNS_16AddressSpaceEnumE1EKSC_lLb1ELNS_22AmdBufferCoherenceEnumE0EiEENSF_IJNS3F_ILS3G_2ESC_S1N_Lb1ELS3I_0EiEES3K_EEENSF_IJiiiEEENSE_INSF_IJNSG_INSF_IJiiiiEEENSF_IJiiiSN_EEELb0EEEEEES1T_S1V_S1U_lEENS_32ThreadwiseTensorSliceTransfer_v2ISD_SD_RKS3R_KS1X_NS5_IJLi8ELi1ELi1ELi32EEEENS5_IJLi1ELi2ELi0ELi3EEEELi3ELi32ELi0ELb1ELb0ELb0EEENS3F_ILS3G_1EKSD_lLb1ELS3I_0EiEENSF_IJNS_12StaticBufferILS3G_4ESD_Li256ELb1EEES42_EEES3N_NS_25StaticBufferTupleOfVectorILS3G_4EfLi64ELi4ELb1ELb0EEEEEvRKT1_RKT2_RT3_RKT4_RT5_RKT6_RKT7_RT8_RKT9_RT10_RKT11_RT12_iENKUlT_T0_E_clISN_NSH_IiLi0EEEEEDaS51_S52_ENKUlS51_E_clIS20_EEDaS51_EUlS51_E_EEvS51_EUlS51_E_EEvS51_,@function
_ZNK2ck6detail7applierIiJLi0ELi1ELi2ELi3ELi4ELi5ELi6ELi7EEEclIZNKS_11static_fordINS_8SequenceIJLi1ELi8EEEENS5_IJLi0ELi1EEEEEclIZZZNKS_52BlockwiseGemmXdlops_pipeline_bpreshuffle_bdequant_v3ILNS_26BlockGemmPipelineSchedulerE0ELi256ENS_9f8_fnuz_tENS_7pk_i4_tESC_fNS_16TensorDescriptorINS_5TupleIJNS_5EmbedINSF_IJNS_17integral_constantIiLi8EEENSH_IiLi256EEENSH_IiLi16EEEEEENSF_IJSK_NSH_IiLi128EEENSH_IiLi1EEEEEELb0EEENS_3XorINSF_IJSJ_SI_EEELb1EEENS_11PassThroughISK_EENS_7UnMergeINSF_IJSI_SN_EEELb0EEENST_ISJ_EESU_NST_ISI_EENS_21Merge_v3_division_modINSF_IJSJ_SN_EEEEESU_EEENSF_IJNS5_IJLi0EEEENS5_IJLi2ELi1EEEENS5_IJLi3EEEENS5_IJLi5EEEENS5_IJLi4EEEENS5_IJLi6EEEENS5_IJLi7EEEENS5_IJLi9ELi8EEEENS5_IJLi10EEEEEEENSF_IJNS5_IJLi1ELi2ELi3EEEENS5_IJLi4ELi5EEEES19_NS5_IJLi7ELi8EEEENS5_IJLi9EEEES1C_NS5_IJLi11EEEENS5_IJLi12EEEENS5_IJLi13EEEEEEENS5_IJLi11ELi12ELi13EEEENSH_IlLl32768EEEEENSE_INSF_IJNSV_INSF_IJSI_SN_SN_NSH_IiLi32EEEEEELb0EEEEEENSF_IJS14_EEENSF_IJNS5_IJLi1ELi2ELi3ELi4EEEEEEES1U_NSH_IlLl256EEEEENSE_INSF_IJSP_SS_SU_SX_SY_SU_SZ_S12_SU_NS10_INSF_IJSI_SK_EEEEENSV_INSF_IJSI_NSH_IiLi2EEESK_EEELb0EEEEEENSF_IJS14_S15_S16_S17_S18_S19_S1A_S1B_S1C_NS5_IJLi11ELi13EEEES1J_EEENSF_IJS1E_S1F_S19_S1G_S1H_S1C_S1I_S1J_S1K_NS5_IJLi14EEEENS5_IJLi15ELi16ELi17EEEEEEENS5_IJLi15ELi16ELi17ELi14EEEES1N_EENSE_INSF_IJS1R_NS10_ISW_EES22_EEENSF_IJS14_NS5_IJLi1ELi3EEEENS5_IJLi2EEEEEEENSF_IJS1U_S17_NS5_IJLi6ELi7ELi8EEEEEEENS5_IJLi6ELi7ELi8ELi5EEEES1W_EELi16ELi32ELi256ELi256ELi128ELi16ELi16ELi8ELi8ELi32ELb0EE3RunILb1ELNS_10TailNumberE0ENSE_INSF_IJNSG_INSF_IJiiEEENSF_IJiSN_EEELb0EEENSV_IS2N_Lb0EEENST_IiEEEEENSF_IJS14_S2E_NS5_IJLi1EEEEEEENSF_IJNS5_IJLi1ELi2EEEENS5_IJLi3ELi4EEEES17_EEENS5_IJLi3ELi5ELi4EEEElEES1O_NS_35ThreadGroupTensorSliceTransfer_v4r1INS_15ThisThreadBlockILi256EEENS_16tensor_operation12element_wise11PassThroughES35_LNS_25InMemoryDataOperationEnumE0ENS5_IJLi8ELi256ELi16EEEENS5_IJLi8ELi32ELi1EEEENS5_IJLi1ELi0ELi2EEEESC_SC_RKS2Z_KS1O_S39_NS5_IJLi0ELi1ELi2EEEELi2ELi2ELi16ELi16ELi1ELi1ELb0ELb1ELi2EiEENS_13DynamicBufferILNS_16AddressSpaceEnumE1EKSC_lLb1ELNS_22AmdBufferCoherenceEnumE0EiEENSF_IJNS3F_ILS3G_2ESC_S1N_Lb1ELS3I_0EiEES3K_EEENSF_IJiiiEEENSE_INSF_IJNSG_INSF_IJiiiiEEENSF_IJiiiSN_EEELb0EEEEEES1T_S1V_S1U_lEENS_32ThreadwiseTensorSliceTransfer_v2ISD_SD_RKS3R_KS1X_NS5_IJLi8ELi1ELi1ELi32EEEENS5_IJLi1ELi2ELi0ELi3EEEELi3ELi32ELi0ELb1ELb0ELb0EEENS3F_ILS3G_1EKSD_lLb1ELS3I_0EiEENSF_IJNS_12StaticBufferILS3G_4ESD_Li256ELb1EEES42_EEES3N_NS_25StaticBufferTupleOfVectorILS3G_4EfLi64ELi4ELb1ELb0EEEEEvRKT1_RKT2_RT3_RKT4_RT5_RKT6_RKT7_RT8_RKT9_RT10_RKT11_RT12_iENKUlT_T0_E_clISN_NSH_IiLi0EEEEEDaS51_S52_ENKUlS51_E_clIS20_EEDaS51_EUlS51_E_EEvS51_EUlS51_E_EEvS51_: ; @_ZNK2ck6detail7applierIiJLi0ELi1ELi2ELi3ELi4ELi5ELi6ELi7EEEclIZNKS_11static_fordINS_8SequenceIJLi1ELi8EEEENS5_IJLi0ELi1EEEEEclIZZZNKS_52BlockwiseGemmXdlops_pipeline_bpreshuffle_bdequant_v3ILNS_26BlockGemmPipelineSchedulerE0ELi256ENS_9f8_fnuz_tENS_7pk_i4_tESC_fNS_16TensorDescriptorINS_5TupleIJNS_5EmbedINSF_IJNS_17integral_constantIiLi8EEENSH_IiLi256EEENSH_IiLi16EEEEEENSF_IJSK_NSH_IiLi128EEENSH_IiLi1EEEEEELb0EEENS_3XorINSF_IJSJ_SI_EEELb1EEENS_11PassThroughISK_EENS_7UnMergeINSF_IJSI_SN_EEELb0EEENST_ISJ_EESU_NST_ISI_EENS_21Merge_v3_division_modINSF_IJSJ_SN_EEEEESU_EEENSF_IJNS5_IJLi0EEEENS5_IJLi2ELi1EEEENS5_IJLi3EEEENS5_IJLi5EEEENS5_IJLi4EEEENS5_IJLi6EEEENS5_IJLi7EEEENS5_IJLi9ELi8EEEENS5_IJLi10EEEEEEENSF_IJNS5_IJLi1ELi2ELi3EEEENS5_IJLi4ELi5EEEES19_NS5_IJLi7ELi8EEEENS5_IJLi9EEEES1C_NS5_IJLi11EEEENS5_IJLi12EEEENS5_IJLi13EEEEEEENS5_IJLi11ELi12ELi13EEEENSH_IlLl32768EEEEENSE_INSF_IJNSV_INSF_IJSI_SN_SN_NSH_IiLi32EEEEEELb0EEEEEENSF_IJS14_EEENSF_IJNS5_IJLi1ELi2ELi3ELi4EEEEEEES1U_NSH_IlLl256EEEEENSE_INSF_IJSP_SS_SU_SX_SY_SU_SZ_S12_SU_NS10_INSF_IJSI_SK_EEEEENSV_INSF_IJSI_NSH_IiLi2EEESK_EEELb0EEEEEENSF_IJS14_S15_S16_S17_S18_S19_S1A_S1B_S1C_NS5_IJLi11ELi13EEEES1J_EEENSF_IJS1E_S1F_S19_S1G_S1H_S1C_S1I_S1J_S1K_NS5_IJLi14EEEENS5_IJLi15ELi16ELi17EEEEEEENS5_IJLi15ELi16ELi17ELi14EEEES1N_EENSE_INSF_IJS1R_NS10_ISW_EES22_EEENSF_IJS14_NS5_IJLi1ELi3EEEENS5_IJLi2EEEEEEENSF_IJS1U_S17_NS5_IJLi6ELi7ELi8EEEEEEENS5_IJLi6ELi7ELi8ELi5EEEES1W_EELi16ELi32ELi256ELi256ELi128ELi16ELi16ELi8ELi8ELi32ELb0EE3RunILb1ELNS_10TailNumberE0ENSE_INSF_IJNSG_INSF_IJiiEEENSF_IJiSN_EEELb0EEENSV_IS2N_Lb0EEENST_IiEEEEENSF_IJS14_S2E_NS5_IJLi1EEEEEEENSF_IJNS5_IJLi1ELi2EEEENS5_IJLi3ELi4EEEES17_EEENS5_IJLi3ELi5ELi4EEEElEES1O_NS_35ThreadGroupTensorSliceTransfer_v4r1INS_15ThisThreadBlockILi256EEENS_16tensor_operation12element_wise11PassThroughES35_LNS_25InMemoryDataOperationEnumE0ENS5_IJLi8ELi256ELi16EEEENS5_IJLi8ELi32ELi1EEEENS5_IJLi1ELi0ELi2EEEESC_SC_RKS2Z_KS1O_S39_NS5_IJLi0ELi1ELi2EEEELi2ELi2ELi16ELi16ELi1ELi1ELb0ELb1ELi2EiEENS_13DynamicBufferILNS_16AddressSpaceEnumE1EKSC_lLb1ELNS_22AmdBufferCoherenceEnumE0EiEENSF_IJNS3F_ILS3G_2ESC_S1N_Lb1ELS3I_0EiEES3K_EEENSF_IJiiiEEENSE_INSF_IJNSG_INSF_IJiiiiEEENSF_IJiiiSN_EEELb0EEEEEES1T_S1V_S1U_lEENS_32ThreadwiseTensorSliceTransfer_v2ISD_SD_RKS3R_KS1X_NS5_IJLi8ELi1ELi1ELi32EEEENS5_IJLi1ELi2ELi0ELi3EEEELi3ELi32ELi0ELb1ELb0ELb0EEENS3F_ILS3G_1EKSD_lLb1ELS3I_0EiEENSF_IJNS_12StaticBufferILS3G_4ESD_Li256ELb1EEES42_EEES3N_NS_25StaticBufferTupleOfVectorILS3G_4EfLi64ELi4ELb1ELb0EEEEEvRKT1_RKT2_RT3_RKT4_RT5_RKT6_RKT7_RT8_RKT9_RT10_RKT11_RT12_iENKUlT_T0_E_clISN_NSH_IiLi0EEEEEDaS51_S52_ENKUlS51_E_clIS20_EEDaS51_EUlS51_E_EEvS51_EUlS51_E_EEvS51_
; %bb.0:
	s_waitcnt vmcnt(0) expcnt(0) lgkmcnt(0)
	flat_load_dwordx4 v[20:23], v[0:1] offset:16
	flat_load_dwordx2 v[18:19], v[0:1] offset:32
	s_movk_i32 s4, 0x7f
                                        ; implicit-def: $sgpr10
	s_waitcnt vmcnt(0) lgkmcnt(0)
	flat_load_dwordx4 v[14:17], v[20:21]
	flat_load_dwordx4 v[6:9], v[20:21] offset:16
	flat_load_dwordx4 v[10:13], v[22:23] offset:256
	;; [unrolled: 1-line block ×3, first 2 shown]
	s_waitcnt vmcnt(0) lgkmcnt(0)
	v_cmp_gt_i16_sdwa s[6:7], v14, s4 src0_sel:BYTE_0 src1_sel:DWORD
	s_mov_b64 s[4:5], 0
	s_and_saveexec_b64 s[8:9], s[6:7]
	s_xor_b64 s[6:7], exec, s[8:9]
	s_cbranch_execnz .LBB12_2049
; %bb.1:
	s_or_saveexec_b64 s[6:7], s[6:7]
	v_mov_b32_e32 v20, s10
	s_xor_b64 exec, exec, s[6:7]
	s_cbranch_execnz .LBB12_2052
.LBB12_2:
	s_or_b64 exec, exec, s[6:7]
	s_and_saveexec_b64 s[6:7], s[4:5]
	s_cbranch_execz .LBB12_4
.LBB12_3:
	v_and_b32_e32 v20, 7, v14
	v_ffbh_u32_e32 v22, v20
	v_min_u32_e32 v22, 32, v22
	v_lshrrev_b16_e32 v21, 3, v14
	v_subrev_u32_e32 v23, 28, v22
	v_and_b32_e32 v21, 15, v21
	v_lshlrev_b32_e32 v23, v23, v14
	v_sub_u32_e32 v22, 29, v22
	v_and_b32_e32 v23, 7, v23
	v_cmp_eq_u16_e32 vcc, 0, v21
	v_cndmask_b32_e32 v20, v20, v23, vcc
	v_cndmask_b32_e32 v21, v21, v22, vcc
	v_lshlrev_b32_e32 v22, 24, v14
	v_mov_b32_e32 v23, 0x3b800000
	v_lshlrev_b32_e32 v20, 20, v20
	v_and_b32_e32 v22, 0x80000000, v22
	v_lshl_add_u32 v21, v21, 23, v23
	v_or3_b32 v20, v22, v21, v20
.LBB12_4:
	s_or_b64 exec, exec, s[6:7]
	s_movk_i32 s4, 0x7f
	v_cmp_gt_i16_sdwa s[6:7], v10, s4 src0_sel:BYTE_0 src1_sel:DWORD
	s_mov_b64 s[4:5], 0
                                        ; implicit-def: $sgpr10
	s_and_saveexec_b64 s[8:9], s[6:7]
	s_xor_b64 s[6:7], exec, s[8:9]
	s_cbranch_execnz .LBB12_2053
; %bb.5:
	s_or_saveexec_b64 s[6:7], s[6:7]
	v_mov_b32_e32 v21, s10
	s_xor_b64 exec, exec, s[6:7]
	s_cbranch_execnz .LBB12_2056
.LBB12_6:
	s_or_b64 exec, exec, s[6:7]
	s_and_saveexec_b64 s[6:7], s[4:5]
	s_cbranch_execz .LBB12_8
.LBB12_7:
	v_and_b32_e32 v21, 7, v10
	v_ffbh_u32_e32 v23, v21
	v_min_u32_e32 v23, 32, v23
	v_lshrrev_b16_e32 v22, 3, v10
	v_subrev_u32_e32 v24, 28, v23
	v_and_b32_e32 v22, 15, v22
	v_lshlrev_b32_e32 v24, v24, v10
	v_sub_u32_e32 v23, 29, v23
	v_and_b32_e32 v24, 7, v24
	v_cmp_eq_u16_e32 vcc, 0, v22
	v_cndmask_b32_e32 v21, v21, v24, vcc
	v_cndmask_b32_e32 v22, v22, v23, vcc
	v_lshlrev_b32_e32 v23, 24, v10
	v_mov_b32_e32 v24, 0x3b800000
	v_lshlrev_b32_e32 v21, 20, v21
	v_and_b32_e32 v23, 0x80000000, v23
	v_lshl_add_u32 v22, v22, 23, v24
	v_or3_b32 v21, v23, v22, v21
.LBB12_8:
	s_or_b64 exec, exec, s[6:7]
	flat_load_dwordx4 a[0:3], v[18:19] offset:256
	s_movk_i32 s4, 0x7f
                                        ; implicit-def: $sgpr10
	s_waitcnt vmcnt(0) lgkmcnt(0)
	v_mfma_f32_16x16x4f32 a[0:3], v20, v21, a[0:3]
	v_lshrrev_b32_e32 v21, 8, v14
	v_cmp_gt_i16_sdwa s[6:7], v21, s4 src0_sel:BYTE_0 src1_sel:DWORD
	s_mov_b64 s[4:5], 0
	s_and_saveexec_b64 s[8:9], s[6:7]
	s_xor_b64 s[6:7], exec, s[8:9]
	s_cbranch_execnz .LBB12_2057
; %bb.9:
	s_or_saveexec_b64 s[6:7], s[6:7]
	v_mov_b32_e32 v20, s10
	s_xor_b64 exec, exec, s[6:7]
	s_cbranch_execnz .LBB12_2060
.LBB12_10:
	s_or_b64 exec, exec, s[6:7]
	s_and_saveexec_b64 s[6:7], s[4:5]
	s_cbranch_execz .LBB12_12
.LBB12_11:
	v_bfe_u32 v20, v14, 8, 3
	v_ffbh_u32_e32 v23, v20
	v_min_u32_e32 v23, 32, v23
	v_lshrrev_b16_e32 v22, 3, v21
	v_subrev_u32_e32 v24, 28, v23
	v_and_b32_e32 v22, 15, v22
	v_lshlrev_b32_e32 v21, v24, v21
	v_sub_u32_e32 v23, 29, v23
	v_and_b32_e32 v21, 7, v21
	v_cmp_eq_u16_e32 vcc, 0, v22
	v_cndmask_b32_e32 v20, v20, v21, vcc
	v_cndmask_b32_e32 v21, v22, v23, vcc
	v_lshlrev_b32_e32 v22, 16, v14
	v_mov_b32_e32 v23, 0x3b800000
	v_lshlrev_b32_e32 v20, 20, v20
	v_and_b32_e32 v22, 0x80000000, v22
	v_lshl_add_u32 v21, v21, 23, v23
	v_or3_b32 v20, v22, v21, v20
.LBB12_12:
	s_or_b64 exec, exec, s[6:7]
	v_lshrrev_b32_e32 v21, 8, v10
	s_movk_i32 s4, 0x7f
	v_cmp_gt_i16_sdwa s[6:7], v21, s4 src0_sel:BYTE_0 src1_sel:DWORD
	s_mov_b64 s[4:5], 0
                                        ; implicit-def: $sgpr10
	s_and_saveexec_b64 s[8:9], s[6:7]
	s_xor_b64 s[6:7], exec, s[8:9]
	s_cbranch_execnz .LBB12_2061
; %bb.13:
	s_or_saveexec_b64 s[6:7], s[6:7]
	v_mov_b32_e32 v22, s10
	s_xor_b64 exec, exec, s[6:7]
	s_cbranch_execnz .LBB12_2064
.LBB12_14:
	s_or_b64 exec, exec, s[6:7]
	s_and_saveexec_b64 s[6:7], s[4:5]
	s_cbranch_execz .LBB12_16
.LBB12_15:
	v_bfe_u32 v22, v10, 8, 3
	v_ffbh_u32_e32 v24, v22
	v_min_u32_e32 v24, 32, v24
	v_lshrrev_b16_e32 v23, 3, v21
	v_subrev_u32_e32 v25, 28, v24
	v_and_b32_e32 v23, 15, v23
	v_lshlrev_b32_e32 v21, v25, v21
	v_sub_u32_e32 v24, 29, v24
	v_and_b32_e32 v21, 7, v21
	v_cmp_eq_u16_e32 vcc, 0, v23
	v_cndmask_b32_e32 v21, v22, v21, vcc
	v_cndmask_b32_e32 v22, v23, v24, vcc
	v_lshlrev_b32_e32 v23, 16, v10
	v_mov_b32_e32 v24, 0x3b800000
	v_lshlrev_b32_e32 v21, 20, v21
	v_and_b32_e32 v23, 0x80000000, v23
	v_lshl_add_u32 v22, v22, 23, v24
	v_or3_b32 v22, v23, v22, v21
.LBB12_16:
	s_or_b64 exec, exec, s[6:7]
	s_nop 0
	v_mfma_f32_16x16x4f32 a[0:3], v20, v22, a[0:3]
	s_movk_i32 s4, 0xff
	v_and_b32_sdwa v21, v14, s4 dst_sel:DWORD dst_unused:UNUSED_PAD src0_sel:WORD_1 src1_sel:DWORD
	s_movk_i32 s4, 0x7f
	v_cmp_lt_i16_e32 vcc, s4, v21
	s_mov_b64 s[4:5], 0
                                        ; implicit-def: $sgpr10
	s_and_saveexec_b64 s[6:7], vcc
	s_xor_b64 s[6:7], exec, s[6:7]
	s_cbranch_execnz .LBB12_2065
; %bb.17:
	s_or_saveexec_b64 s[6:7], s[6:7]
	v_mov_b32_e32 v20, s10
	s_xor_b64 exec, exec, s[6:7]
	s_cbranch_execnz .LBB12_2068
.LBB12_18:
	s_or_b64 exec, exec, s[6:7]
	s_and_saveexec_b64 s[6:7], s[4:5]
	s_cbranch_execz .LBB12_20
.LBB12_19:
	v_bfe_u32 v20, v14, 16, 3
	v_ffbh_u32_e32 v23, v20
	v_min_u32_e32 v23, 32, v23
	v_lshrrev_b32_e32 v21, 19, v14
	v_subrev_u32_e32 v24, 28, v23
	v_and_b32_e32 v21, 15, v21
	v_lshlrev_b32_sdwa v24, v24, v14 dst_sel:DWORD dst_unused:UNUSED_PAD src0_sel:DWORD src1_sel:WORD_1
	v_bfe_u32 v22, v14, 19, 4
	v_sub_u32_e32 v23, 29, v23
	v_and_b32_e32 v24, 7, v24
	v_cmp_eq_u16_e32 vcc, 0, v21
	v_cndmask_b32_e32 v20, v20, v24, vcc
	v_cndmask_b32_e32 v21, v22, v23, vcc
	v_lshlrev_b32_e32 v22, 8, v14
	v_mov_b32_e32 v23, 0x3b800000
	v_lshlrev_b32_e32 v20, 20, v20
	v_and_b32_e32 v22, 0x80000000, v22
	v_lshl_add_u32 v21, v21, 23, v23
	v_or3_b32 v20, v22, v21, v20
.LBB12_20:
	s_or_b64 exec, exec, s[6:7]
	s_movk_i32 s4, 0xff
	v_and_b32_sdwa v21, v10, s4 dst_sel:DWORD dst_unused:UNUSED_PAD src0_sel:WORD_1 src1_sel:DWORD
	s_movk_i32 s4, 0x7f
	v_cmp_lt_i16_e32 vcc, s4, v21
	s_mov_b64 s[4:5], 0
                                        ; implicit-def: $sgpr10
	s_and_saveexec_b64 s[6:7], vcc
	s_xor_b64 s[6:7], exec, s[6:7]
	s_cbranch_execnz .LBB12_2069
; %bb.21:
	s_or_saveexec_b64 s[6:7], s[6:7]
	v_mov_b32_e32 v22, s10
	s_xor_b64 exec, exec, s[6:7]
	s_cbranch_execnz .LBB12_2072
.LBB12_22:
	s_or_b64 exec, exec, s[6:7]
	s_and_saveexec_b64 s[6:7], s[4:5]
	s_cbranch_execz .LBB12_24
.LBB12_23:
	v_bfe_u32 v21, v10, 16, 3
	v_ffbh_u32_e32 v24, v21
	v_min_u32_e32 v24, 32, v24
	v_lshrrev_b32_e32 v22, 19, v10
	v_subrev_u32_e32 v25, 28, v24
	v_and_b32_e32 v22, 15, v22
	v_lshlrev_b32_sdwa v25, v25, v10 dst_sel:DWORD dst_unused:UNUSED_PAD src0_sel:DWORD src1_sel:WORD_1
	v_bfe_u32 v23, v10, 19, 4
	v_sub_u32_e32 v24, 29, v24
	v_and_b32_e32 v25, 7, v25
	v_cmp_eq_u16_e32 vcc, 0, v22
	v_cndmask_b32_e32 v21, v21, v25, vcc
	v_cndmask_b32_e32 v22, v23, v24, vcc
	v_lshlrev_b32_e32 v23, 8, v10
	v_mov_b32_e32 v24, 0x3b800000
	v_lshlrev_b32_e32 v21, 20, v21
	v_and_b32_e32 v23, 0x80000000, v23
	v_lshl_add_u32 v22, v22, 23, v24
	v_or3_b32 v22, v23, v22, v21
.LBB12_24:
	s_or_b64 exec, exec, s[6:7]
	s_nop 0
	v_mfma_f32_16x16x4f32 a[0:3], v20, v22, a[0:3]
	s_movk_i32 s4, 0x7f
	v_cmp_gt_i16_sdwa s[6:7], v14, s4 src0_sel:BYTE_3 src1_sel:DWORD
	s_mov_b64 s[4:5], 0
                                        ; implicit-def: $sgpr10
	s_and_saveexec_b64 s[8:9], s[6:7]
	s_xor_b64 s[6:7], exec, s[8:9]
	s_cbranch_execnz .LBB12_2073
; %bb.25:
	s_or_saveexec_b64 s[6:7], s[6:7]
	v_mov_b32_e32 v20, s10
	s_xor_b64 exec, exec, s[6:7]
	s_cbranch_execnz .LBB12_2076
.LBB12_26:
	s_or_b64 exec, exec, s[6:7]
	s_and_saveexec_b64 s[6:7], s[4:5]
	s_cbranch_execz .LBB12_28
.LBB12_27:
	v_bfe_u32 v20, v14, 24, 3
	v_ffbh_u32_e32 v24, v20
	v_min_u32_e32 v24, 32, v24
	v_lshrrev_b32_e32 v22, 27, v14
	v_subrev_u32_e32 v25, 28, v24
	v_and_b32_e32 v21, 0x80000000, v14
	v_and_b32_e32 v22, 15, v22
	v_bfe_u32 v23, v14, 27, 4
	v_lshlrev_b32_sdwa v14, v25, v14 dst_sel:DWORD dst_unused:UNUSED_PAD src0_sel:DWORD src1_sel:BYTE_3
	v_sub_u32_e32 v24, 29, v24
	v_and_b32_e32 v14, 7, v14
	v_cmp_eq_u16_e32 vcc, 0, v22
	v_cndmask_b32_e32 v14, v20, v14, vcc
	v_cndmask_b32_e32 v20, v23, v24, vcc
	v_mov_b32_e32 v22, 0x3b800000
	v_lshlrev_b32_e32 v14, 20, v14
	v_lshl_add_u32 v20, v20, 23, v22
	v_or3_b32 v20, v21, v20, v14
.LBB12_28:
	s_or_b64 exec, exec, s[6:7]
	s_movk_i32 s4, 0x7f
	v_cmp_gt_i16_sdwa s[6:7], v10, s4 src0_sel:BYTE_3 src1_sel:DWORD
	s_mov_b64 s[4:5], 0
                                        ; implicit-def: $sgpr10
	s_and_saveexec_b64 s[8:9], s[6:7]
	s_xor_b64 s[6:7], exec, s[8:9]
	s_cbranch_execnz .LBB12_2077
; %bb.29:
	s_or_saveexec_b64 s[6:7], s[6:7]
	v_mov_b32_e32 v14, s10
	s_xor_b64 exec, exec, s[6:7]
	s_cbranch_execnz .LBB12_2080
.LBB12_30:
	s_or_b64 exec, exec, s[6:7]
	s_and_saveexec_b64 s[6:7], s[4:5]
	s_cbranch_execz .LBB12_32
.LBB12_31:
	v_bfe_u32 v14, v10, 24, 3
	v_ffbh_u32_e32 v24, v14
	v_min_u32_e32 v24, 32, v24
	v_lshrrev_b32_e32 v22, 27, v10
	v_subrev_u32_e32 v25, 28, v24
	v_and_b32_e32 v21, 0x80000000, v10
	v_and_b32_e32 v22, 15, v22
	v_bfe_u32 v23, v10, 27, 4
	v_lshlrev_b32_sdwa v10, v25, v10 dst_sel:DWORD dst_unused:UNUSED_PAD src0_sel:DWORD src1_sel:BYTE_3
	v_sub_u32_e32 v24, 29, v24
	v_and_b32_e32 v10, 7, v10
	v_cmp_eq_u16_e32 vcc, 0, v22
	v_cndmask_b32_e32 v10, v14, v10, vcc
	v_cndmask_b32_e32 v14, v23, v24, vcc
	v_mov_b32_e32 v22, 0x3b800000
	v_lshlrev_b32_e32 v10, 20, v10
	v_lshl_add_u32 v14, v14, 23, v22
	v_or3_b32 v14, v21, v14, v10
.LBB12_32:
	s_or_b64 exec, exec, s[6:7]
	s_nop 0
	v_mfma_f32_16x16x4f32 a[0:3], v20, v14, a[0:3]
	s_movk_i32 s4, 0x7f
	v_cmp_gt_i16_sdwa s[6:7], v15, s4 src0_sel:BYTE_0 src1_sel:DWORD
	s_mov_b64 s[4:5], 0
                                        ; implicit-def: $sgpr10
	s_and_saveexec_b64 s[8:9], s[6:7]
	s_xor_b64 s[6:7], exec, s[8:9]
	s_cbranch_execnz .LBB12_2081
; %bb.33:
	s_or_saveexec_b64 s[6:7], s[6:7]
	v_mov_b32_e32 v10, s10
	s_xor_b64 exec, exec, s[6:7]
	s_cbranch_execnz .LBB12_2084
.LBB12_34:
	s_or_b64 exec, exec, s[6:7]
	s_and_saveexec_b64 s[6:7], s[4:5]
	s_cbranch_execz .LBB12_36
.LBB12_35:
	v_and_b32_e32 v10, 7, v15
	v_ffbh_u32_e32 v20, v10
	v_min_u32_e32 v20, 32, v20
	v_lshrrev_b16_e32 v14, 3, v15
	v_subrev_u32_e32 v21, 28, v20
	v_and_b32_e32 v14, 15, v14
	v_lshlrev_b32_e32 v21, v21, v15
	v_sub_u32_e32 v20, 29, v20
	v_and_b32_e32 v21, 7, v21
	v_cmp_eq_u16_e32 vcc, 0, v14
	v_cndmask_b32_e32 v10, v10, v21, vcc
	v_cndmask_b32_e32 v14, v14, v20, vcc
	v_lshlrev_b32_e32 v20, 24, v15
	v_mov_b32_e32 v21, 0x3b800000
	v_lshlrev_b32_e32 v10, 20, v10
	v_and_b32_e32 v20, 0x80000000, v20
	v_lshl_add_u32 v14, v14, 23, v21
	v_or3_b32 v10, v20, v14, v10
.LBB12_36:
	s_or_b64 exec, exec, s[6:7]
	s_movk_i32 s4, 0x7f
	v_cmp_gt_i16_sdwa s[6:7], v11, s4 src0_sel:BYTE_0 src1_sel:DWORD
	s_mov_b64 s[4:5], 0
                                        ; implicit-def: $sgpr10
	s_and_saveexec_b64 s[8:9], s[6:7]
	s_xor_b64 s[6:7], exec, s[8:9]
	s_cbranch_execnz .LBB12_2085
; %bb.37:
	s_or_saveexec_b64 s[6:7], s[6:7]
	v_mov_b32_e32 v14, s10
	s_xor_b64 exec, exec, s[6:7]
	s_cbranch_execnz .LBB12_2088
.LBB12_38:
	s_or_b64 exec, exec, s[6:7]
	s_and_saveexec_b64 s[6:7], s[4:5]
	s_cbranch_execz .LBB12_40
.LBB12_39:
	v_and_b32_e32 v14, 7, v11
	v_ffbh_u32_e32 v21, v14
	v_min_u32_e32 v21, 32, v21
	v_lshrrev_b16_e32 v20, 3, v11
	v_subrev_u32_e32 v22, 28, v21
	v_and_b32_e32 v20, 15, v20
	v_lshlrev_b32_e32 v22, v22, v11
	v_sub_u32_e32 v21, 29, v21
	v_and_b32_e32 v22, 7, v22
	v_cmp_eq_u16_e32 vcc, 0, v20
	v_cndmask_b32_e32 v14, v14, v22, vcc
	v_cndmask_b32_e32 v20, v20, v21, vcc
	v_lshlrev_b32_e32 v21, 24, v11
	v_mov_b32_e32 v22, 0x3b800000
	v_lshlrev_b32_e32 v14, 20, v14
	v_and_b32_e32 v21, 0x80000000, v21
	v_lshl_add_u32 v20, v20, 23, v22
	v_or3_b32 v14, v21, v20, v14
.LBB12_40:
	s_or_b64 exec, exec, s[6:7]
	s_nop 0
	v_mfma_f32_16x16x4f32 a[0:3], v10, v14, a[0:3]
	v_lshrrev_b32_e32 v14, 8, v15
	s_movk_i32 s4, 0x7f
	v_cmp_gt_i16_sdwa s[6:7], v14, s4 src0_sel:BYTE_0 src1_sel:DWORD
	s_mov_b64 s[4:5], 0
                                        ; implicit-def: $sgpr10
	s_and_saveexec_b64 s[8:9], s[6:7]
	s_xor_b64 s[6:7], exec, s[8:9]
	s_cbranch_execnz .LBB12_2089
; %bb.41:
	s_or_saveexec_b64 s[6:7], s[6:7]
	v_mov_b32_e32 v10, s10
	s_xor_b64 exec, exec, s[6:7]
	s_cbranch_execnz .LBB12_2092
.LBB12_42:
	s_or_b64 exec, exec, s[6:7]
	s_and_saveexec_b64 s[6:7], s[4:5]
	s_cbranch_execz .LBB12_44
.LBB12_43:
	v_bfe_u32 v10, v15, 8, 3
	v_ffbh_u32_e32 v21, v10
	v_min_u32_e32 v21, 32, v21
	v_lshrrev_b16_e32 v20, 3, v14
	v_subrev_u32_e32 v22, 28, v21
	v_and_b32_e32 v20, 15, v20
	v_lshlrev_b32_e32 v14, v22, v14
	v_sub_u32_e32 v21, 29, v21
	v_and_b32_e32 v14, 7, v14
	v_cmp_eq_u16_e32 vcc, 0, v20
	v_cndmask_b32_e32 v10, v10, v14, vcc
	v_cndmask_b32_e32 v14, v20, v21, vcc
	v_lshlrev_b32_e32 v20, 16, v15
	v_mov_b32_e32 v21, 0x3b800000
	v_lshlrev_b32_e32 v10, 20, v10
	v_and_b32_e32 v20, 0x80000000, v20
	v_lshl_add_u32 v14, v14, 23, v21
	v_or3_b32 v10, v20, v14, v10
.LBB12_44:
	s_or_b64 exec, exec, s[6:7]
	v_lshrrev_b32_e32 v14, 8, v11
	s_movk_i32 s4, 0x7f
	v_cmp_gt_i16_sdwa s[6:7], v14, s4 src0_sel:BYTE_0 src1_sel:DWORD
	s_mov_b64 s[4:5], 0
                                        ; implicit-def: $sgpr10
	s_and_saveexec_b64 s[8:9], s[6:7]
	s_xor_b64 s[6:7], exec, s[8:9]
	s_cbranch_execnz .LBB12_2093
; %bb.45:
	s_or_saveexec_b64 s[6:7], s[6:7]
	v_mov_b32_e32 v20, s10
	s_xor_b64 exec, exec, s[6:7]
	s_cbranch_execnz .LBB12_2096
.LBB12_46:
	s_or_b64 exec, exec, s[6:7]
	s_and_saveexec_b64 s[6:7], s[4:5]
	s_cbranch_execz .LBB12_48
.LBB12_47:
	v_bfe_u32 v20, v11, 8, 3
	v_ffbh_u32_e32 v22, v20
	v_min_u32_e32 v22, 32, v22
	v_lshrrev_b16_e32 v21, 3, v14
	v_subrev_u32_e32 v23, 28, v22
	v_and_b32_e32 v21, 15, v21
	v_lshlrev_b32_e32 v14, v23, v14
	v_sub_u32_e32 v22, 29, v22
	v_and_b32_e32 v14, 7, v14
	v_cmp_eq_u16_e32 vcc, 0, v21
	v_cndmask_b32_e32 v14, v20, v14, vcc
	v_cndmask_b32_e32 v20, v21, v22, vcc
	v_lshlrev_b32_e32 v21, 16, v11
	v_mov_b32_e32 v22, 0x3b800000
	v_lshlrev_b32_e32 v14, 20, v14
	v_and_b32_e32 v21, 0x80000000, v21
	v_lshl_add_u32 v20, v20, 23, v22
	v_or3_b32 v20, v21, v20, v14
.LBB12_48:
	s_or_b64 exec, exec, s[6:7]
	s_nop 0
	v_mfma_f32_16x16x4f32 a[0:3], v10, v20, a[0:3]
	s_movk_i32 s4, 0xff
	v_and_b32_sdwa v14, v15, s4 dst_sel:DWORD dst_unused:UNUSED_PAD src0_sel:WORD_1 src1_sel:DWORD
	s_movk_i32 s4, 0x7f
	v_cmp_lt_i16_e32 vcc, s4, v14
	s_mov_b64 s[4:5], 0
                                        ; implicit-def: $sgpr10
	s_and_saveexec_b64 s[6:7], vcc
	s_xor_b64 s[6:7], exec, s[6:7]
	s_cbranch_execnz .LBB12_2097
; %bb.49:
	s_or_saveexec_b64 s[6:7], s[6:7]
	v_mov_b32_e32 v10, s10
	s_xor_b64 exec, exec, s[6:7]
	s_cbranch_execnz .LBB12_2100
.LBB12_50:
	s_or_b64 exec, exec, s[6:7]
	s_and_saveexec_b64 s[6:7], s[4:5]
	s_cbranch_execz .LBB12_52
.LBB12_51:
	v_bfe_u32 v10, v15, 16, 3
	v_ffbh_u32_e32 v21, v10
	v_min_u32_e32 v21, 32, v21
	v_lshrrev_b32_e32 v14, 19, v15
	v_subrev_u32_e32 v22, 28, v21
	v_and_b32_e32 v14, 15, v14
	v_lshlrev_b32_sdwa v22, v22, v15 dst_sel:DWORD dst_unused:UNUSED_PAD src0_sel:DWORD src1_sel:WORD_1
	v_bfe_u32 v20, v15, 19, 4
	v_sub_u32_e32 v21, 29, v21
	v_and_b32_e32 v22, 7, v22
	v_cmp_eq_u16_e32 vcc, 0, v14
	v_cndmask_b32_e32 v10, v10, v22, vcc
	v_cndmask_b32_e32 v14, v20, v21, vcc
	v_lshlrev_b32_e32 v20, 8, v15
	v_mov_b32_e32 v21, 0x3b800000
	v_lshlrev_b32_e32 v10, 20, v10
	v_and_b32_e32 v20, 0x80000000, v20
	v_lshl_add_u32 v14, v14, 23, v21
	v_or3_b32 v10, v20, v14, v10
.LBB12_52:
	s_or_b64 exec, exec, s[6:7]
	s_movk_i32 s4, 0xff
	v_and_b32_sdwa v14, v11, s4 dst_sel:DWORD dst_unused:UNUSED_PAD src0_sel:WORD_1 src1_sel:DWORD
	s_movk_i32 s4, 0x7f
	v_cmp_lt_i16_e32 vcc, s4, v14
	s_mov_b64 s[4:5], 0
                                        ; implicit-def: $sgpr10
	s_and_saveexec_b64 s[6:7], vcc
	s_xor_b64 s[6:7], exec, s[6:7]
	s_cbranch_execnz .LBB12_2101
; %bb.53:
	s_or_saveexec_b64 s[6:7], s[6:7]
	v_mov_b32_e32 v20, s10
	s_xor_b64 exec, exec, s[6:7]
	s_cbranch_execnz .LBB12_2104
.LBB12_54:
	s_or_b64 exec, exec, s[6:7]
	s_and_saveexec_b64 s[6:7], s[4:5]
	s_cbranch_execz .LBB12_56
.LBB12_55:
	v_bfe_u32 v14, v11, 16, 3
	v_ffbh_u32_e32 v22, v14
	v_min_u32_e32 v22, 32, v22
	v_lshrrev_b32_e32 v20, 19, v11
	v_subrev_u32_e32 v23, 28, v22
	v_and_b32_e32 v20, 15, v20
	v_lshlrev_b32_sdwa v23, v23, v11 dst_sel:DWORD dst_unused:UNUSED_PAD src0_sel:DWORD src1_sel:WORD_1
	v_bfe_u32 v21, v11, 19, 4
	v_sub_u32_e32 v22, 29, v22
	v_and_b32_e32 v23, 7, v23
	v_cmp_eq_u16_e32 vcc, 0, v20
	v_cndmask_b32_e32 v14, v14, v23, vcc
	v_cndmask_b32_e32 v20, v21, v22, vcc
	v_lshlrev_b32_e32 v21, 8, v11
	v_mov_b32_e32 v22, 0x3b800000
	v_lshlrev_b32_e32 v14, 20, v14
	v_and_b32_e32 v21, 0x80000000, v21
	v_lshl_add_u32 v20, v20, 23, v22
	v_or3_b32 v20, v21, v20, v14
.LBB12_56:
	s_or_b64 exec, exec, s[6:7]
	s_nop 0
	v_mfma_f32_16x16x4f32 a[0:3], v10, v20, a[0:3]
	s_movk_i32 s4, 0x7f
	v_cmp_gt_i16_sdwa s[6:7], v15, s4 src0_sel:BYTE_3 src1_sel:DWORD
	s_mov_b64 s[4:5], 0
                                        ; implicit-def: $sgpr10
	s_and_saveexec_b64 s[8:9], s[6:7]
	s_xor_b64 s[6:7], exec, s[8:9]
	s_cbranch_execnz .LBB12_2105
; %bb.57:
	s_or_saveexec_b64 s[6:7], s[6:7]
	v_mov_b32_e32 v10, s10
	s_xor_b64 exec, exec, s[6:7]
	s_cbranch_execnz .LBB12_2108
.LBB12_58:
	s_or_b64 exec, exec, s[6:7]
	s_and_saveexec_b64 s[6:7], s[4:5]
	s_cbranch_execz .LBB12_60
.LBB12_59:
	v_bfe_u32 v10, v15, 24, 3
	v_ffbh_u32_e32 v22, v10
	v_min_u32_e32 v22, 32, v22
	v_lshrrev_b32_e32 v20, 27, v15
	v_subrev_u32_e32 v23, 28, v22
	v_and_b32_e32 v14, 0x80000000, v15
	v_and_b32_e32 v20, 15, v20
	v_bfe_u32 v21, v15, 27, 4
	v_lshlrev_b32_sdwa v15, v23, v15 dst_sel:DWORD dst_unused:UNUSED_PAD src0_sel:DWORD src1_sel:BYTE_3
	v_sub_u32_e32 v22, 29, v22
	v_and_b32_e32 v15, 7, v15
	v_cmp_eq_u16_e32 vcc, 0, v20
	v_cndmask_b32_e32 v10, v10, v15, vcc
	v_cndmask_b32_e32 v15, v21, v22, vcc
	v_mov_b32_e32 v20, 0x3b800000
	v_lshlrev_b32_e32 v10, 20, v10
	v_lshl_add_u32 v15, v15, 23, v20
	v_or3_b32 v10, v14, v15, v10
.LBB12_60:
	s_or_b64 exec, exec, s[6:7]
	s_movk_i32 s4, 0x7f
	v_cmp_gt_i16_sdwa s[6:7], v11, s4 src0_sel:BYTE_3 src1_sel:DWORD
	s_mov_b64 s[4:5], 0
                                        ; implicit-def: $sgpr10
	s_and_saveexec_b64 s[8:9], s[6:7]
	s_xor_b64 s[6:7], exec, s[8:9]
	s_cbranch_execnz .LBB12_2109
; %bb.61:
	s_or_saveexec_b64 s[6:7], s[6:7]
	v_mov_b32_e32 v14, s10
	s_xor_b64 exec, exec, s[6:7]
	s_cbranch_execnz .LBB12_2112
.LBB12_62:
	s_or_b64 exec, exec, s[6:7]
	s_and_saveexec_b64 s[6:7], s[4:5]
	s_cbranch_execz .LBB12_64
.LBB12_63:
	v_bfe_u32 v14, v11, 24, 3
	v_ffbh_u32_e32 v22, v14
	v_min_u32_e32 v22, 32, v22
	v_lshrrev_b32_e32 v20, 27, v11
	v_subrev_u32_e32 v23, 28, v22
	v_and_b32_e32 v15, 0x80000000, v11
	v_and_b32_e32 v20, 15, v20
	v_bfe_u32 v21, v11, 27, 4
	v_lshlrev_b32_sdwa v11, v23, v11 dst_sel:DWORD dst_unused:UNUSED_PAD src0_sel:DWORD src1_sel:BYTE_3
	v_sub_u32_e32 v22, 29, v22
	v_and_b32_e32 v11, 7, v11
	v_cmp_eq_u16_e32 vcc, 0, v20
	v_cndmask_b32_e32 v11, v14, v11, vcc
	v_cndmask_b32_e32 v14, v21, v22, vcc
	v_mov_b32_e32 v20, 0x3b800000
	v_lshlrev_b32_e32 v11, 20, v11
	v_lshl_add_u32 v14, v14, 23, v20
	v_or3_b32 v14, v15, v14, v11
.LBB12_64:
	s_or_b64 exec, exec, s[6:7]
	s_nop 0
	v_mfma_f32_16x16x4f32 a[0:3], v10, v14, a[0:3]
	s_movk_i32 s4, 0x7f
	v_cmp_gt_i16_sdwa s[6:7], v16, s4 src0_sel:BYTE_0 src1_sel:DWORD
	s_mov_b64 s[4:5], 0
                                        ; implicit-def: $sgpr10
	s_and_saveexec_b64 s[8:9], s[6:7]
	s_xor_b64 s[6:7], exec, s[8:9]
	s_cbranch_execnz .LBB12_2113
; %bb.65:
	s_or_saveexec_b64 s[6:7], s[6:7]
	v_mov_b32_e32 v10, s10
	s_xor_b64 exec, exec, s[6:7]
	s_cbranch_execnz .LBB12_2116
.LBB12_66:
	s_or_b64 exec, exec, s[6:7]
	s_and_saveexec_b64 s[6:7], s[4:5]
	s_cbranch_execz .LBB12_68
.LBB12_67:
	v_and_b32_e32 v10, 7, v16
	v_ffbh_u32_e32 v14, v10
	v_min_u32_e32 v14, 32, v14
	v_lshrrev_b16_e32 v11, 3, v16
	v_subrev_u32_e32 v15, 28, v14
	v_and_b32_e32 v11, 15, v11
	v_lshlrev_b32_e32 v15, v15, v16
	v_sub_u32_e32 v14, 29, v14
	v_and_b32_e32 v15, 7, v15
	v_cmp_eq_u16_e32 vcc, 0, v11
	v_cndmask_b32_e32 v10, v10, v15, vcc
	v_cndmask_b32_e32 v11, v11, v14, vcc
	v_lshlrev_b32_e32 v14, 24, v16
	v_mov_b32_e32 v15, 0x3b800000
	v_lshlrev_b32_e32 v10, 20, v10
	v_and_b32_e32 v14, 0x80000000, v14
	v_lshl_add_u32 v11, v11, 23, v15
	v_or3_b32 v10, v14, v11, v10
.LBB12_68:
	s_or_b64 exec, exec, s[6:7]
	s_movk_i32 s4, 0x7f
	v_cmp_gt_i16_sdwa s[6:7], v12, s4 src0_sel:BYTE_0 src1_sel:DWORD
	s_mov_b64 s[4:5], 0
                                        ; implicit-def: $sgpr10
	s_and_saveexec_b64 s[8:9], s[6:7]
	s_xor_b64 s[6:7], exec, s[8:9]
	s_cbranch_execnz .LBB12_2117
; %bb.69:
	s_or_saveexec_b64 s[6:7], s[6:7]
	v_mov_b32_e32 v11, s10
	s_xor_b64 exec, exec, s[6:7]
	s_cbranch_execnz .LBB12_2120
.LBB12_70:
	s_or_b64 exec, exec, s[6:7]
	s_and_saveexec_b64 s[6:7], s[4:5]
	s_cbranch_execz .LBB12_72
.LBB12_71:
	v_and_b32_e32 v11, 7, v12
	v_ffbh_u32_e32 v15, v11
	v_min_u32_e32 v15, 32, v15
	v_lshrrev_b16_e32 v14, 3, v12
	v_subrev_u32_e32 v20, 28, v15
	v_and_b32_e32 v14, 15, v14
	v_lshlrev_b32_e32 v20, v20, v12
	v_sub_u32_e32 v15, 29, v15
	v_and_b32_e32 v20, 7, v20
	v_cmp_eq_u16_e32 vcc, 0, v14
	v_cndmask_b32_e32 v11, v11, v20, vcc
	v_cndmask_b32_e32 v14, v14, v15, vcc
	v_lshlrev_b32_e32 v15, 24, v12
	v_mov_b32_e32 v20, 0x3b800000
	v_lshlrev_b32_e32 v11, 20, v11
	v_and_b32_e32 v15, 0x80000000, v15
	v_lshl_add_u32 v14, v14, 23, v20
	v_or3_b32 v11, v15, v14, v11
.LBB12_72:
	s_or_b64 exec, exec, s[6:7]
	s_nop 0
	v_mfma_f32_16x16x4f32 a[0:3], v10, v11, a[0:3]
	v_lshrrev_b32_e32 v11, 8, v16
	s_movk_i32 s4, 0x7f
	v_cmp_gt_i16_sdwa s[6:7], v11, s4 src0_sel:BYTE_0 src1_sel:DWORD
	s_mov_b64 s[4:5], 0
                                        ; implicit-def: $sgpr10
	s_and_saveexec_b64 s[8:9], s[6:7]
	s_xor_b64 s[6:7], exec, s[8:9]
	s_cbranch_execnz .LBB12_2121
; %bb.73:
	s_or_saveexec_b64 s[6:7], s[6:7]
	v_mov_b32_e32 v10, s10
	s_xor_b64 exec, exec, s[6:7]
	s_cbranch_execnz .LBB12_2124
.LBB12_74:
	s_or_b64 exec, exec, s[6:7]
	s_and_saveexec_b64 s[6:7], s[4:5]
	s_cbranch_execz .LBB12_76
.LBB12_75:
	v_bfe_u32 v10, v16, 8, 3
	v_ffbh_u32_e32 v15, v10
	v_min_u32_e32 v15, 32, v15
	v_lshrrev_b16_e32 v14, 3, v11
	v_subrev_u32_e32 v20, 28, v15
	v_and_b32_e32 v14, 15, v14
	v_lshlrev_b32_e32 v11, v20, v11
	v_sub_u32_e32 v15, 29, v15
	v_and_b32_e32 v11, 7, v11
	v_cmp_eq_u16_e32 vcc, 0, v14
	v_cndmask_b32_e32 v10, v10, v11, vcc
	v_cndmask_b32_e32 v11, v14, v15, vcc
	v_lshlrev_b32_e32 v14, 16, v16
	v_mov_b32_e32 v15, 0x3b800000
	v_lshlrev_b32_e32 v10, 20, v10
	v_and_b32_e32 v14, 0x80000000, v14
	v_lshl_add_u32 v11, v11, 23, v15
	v_or3_b32 v10, v14, v11, v10
.LBB12_76:
	s_or_b64 exec, exec, s[6:7]
	v_lshrrev_b32_e32 v11, 8, v12
	s_movk_i32 s4, 0x7f
	v_cmp_gt_i16_sdwa s[6:7], v11, s4 src0_sel:BYTE_0 src1_sel:DWORD
	s_mov_b64 s[4:5], 0
                                        ; implicit-def: $sgpr10
	s_and_saveexec_b64 s[8:9], s[6:7]
	s_xor_b64 s[6:7], exec, s[8:9]
	s_cbranch_execnz .LBB12_2125
; %bb.77:
	s_or_saveexec_b64 s[6:7], s[6:7]
	v_mov_b32_e32 v14, s10
	s_xor_b64 exec, exec, s[6:7]
	s_cbranch_execnz .LBB12_2128
.LBB12_78:
	s_or_b64 exec, exec, s[6:7]
	s_and_saveexec_b64 s[6:7], s[4:5]
	s_cbranch_execz .LBB12_80
.LBB12_79:
	v_bfe_u32 v14, v12, 8, 3
	v_ffbh_u32_e32 v20, v14
	v_min_u32_e32 v20, 32, v20
	v_lshrrev_b16_e32 v15, 3, v11
	v_subrev_u32_e32 v21, 28, v20
	v_and_b32_e32 v15, 15, v15
	v_lshlrev_b32_e32 v11, v21, v11
	v_sub_u32_e32 v20, 29, v20
	v_and_b32_e32 v11, 7, v11
	v_cmp_eq_u16_e32 vcc, 0, v15
	v_cndmask_b32_e32 v11, v14, v11, vcc
	v_cndmask_b32_e32 v14, v15, v20, vcc
	v_lshlrev_b32_e32 v15, 16, v12
	v_mov_b32_e32 v20, 0x3b800000
	v_lshlrev_b32_e32 v11, 20, v11
	v_and_b32_e32 v15, 0x80000000, v15
	v_lshl_add_u32 v14, v14, 23, v20
	v_or3_b32 v14, v15, v14, v11
.LBB12_80:
	s_or_b64 exec, exec, s[6:7]
	s_nop 0
	v_mfma_f32_16x16x4f32 a[0:3], v10, v14, a[0:3]
	s_movk_i32 s4, 0xff
	v_and_b32_sdwa v11, v16, s4 dst_sel:DWORD dst_unused:UNUSED_PAD src0_sel:WORD_1 src1_sel:DWORD
	s_movk_i32 s4, 0x7f
	v_cmp_lt_i16_e32 vcc, s4, v11
	s_mov_b64 s[4:5], 0
                                        ; implicit-def: $sgpr10
	s_and_saveexec_b64 s[6:7], vcc
	s_xor_b64 s[6:7], exec, s[6:7]
	s_cbranch_execnz .LBB12_2129
; %bb.81:
	s_or_saveexec_b64 s[6:7], s[6:7]
	v_mov_b32_e32 v10, s10
	s_xor_b64 exec, exec, s[6:7]
	s_cbranch_execnz .LBB12_2132
.LBB12_82:
	s_or_b64 exec, exec, s[6:7]
	s_and_saveexec_b64 s[6:7], s[4:5]
	s_cbranch_execz .LBB12_84
.LBB12_83:
	v_bfe_u32 v10, v16, 16, 3
	v_ffbh_u32_e32 v15, v10
	v_min_u32_e32 v15, 32, v15
	v_lshrrev_b32_e32 v11, 19, v16
	v_subrev_u32_e32 v20, 28, v15
	v_and_b32_e32 v11, 15, v11
	v_lshlrev_b32_sdwa v20, v20, v16 dst_sel:DWORD dst_unused:UNUSED_PAD src0_sel:DWORD src1_sel:WORD_1
	v_bfe_u32 v14, v16, 19, 4
	v_sub_u32_e32 v15, 29, v15
	v_and_b32_e32 v20, 7, v20
	v_cmp_eq_u16_e32 vcc, 0, v11
	v_cndmask_b32_e32 v10, v10, v20, vcc
	v_cndmask_b32_e32 v11, v14, v15, vcc
	v_lshlrev_b32_e32 v14, 8, v16
	v_mov_b32_e32 v15, 0x3b800000
	v_lshlrev_b32_e32 v10, 20, v10
	v_and_b32_e32 v14, 0x80000000, v14
	v_lshl_add_u32 v11, v11, 23, v15
	v_or3_b32 v10, v14, v11, v10
.LBB12_84:
	s_or_b64 exec, exec, s[6:7]
	s_movk_i32 s4, 0xff
	v_and_b32_sdwa v11, v12, s4 dst_sel:DWORD dst_unused:UNUSED_PAD src0_sel:WORD_1 src1_sel:DWORD
	s_movk_i32 s4, 0x7f
	v_cmp_lt_i16_e32 vcc, s4, v11
	s_mov_b64 s[4:5], 0
                                        ; implicit-def: $sgpr10
	s_and_saveexec_b64 s[6:7], vcc
	s_xor_b64 s[6:7], exec, s[6:7]
	s_cbranch_execnz .LBB12_2133
; %bb.85:
	s_or_saveexec_b64 s[6:7], s[6:7]
	v_mov_b32_e32 v14, s10
	s_xor_b64 exec, exec, s[6:7]
	s_cbranch_execnz .LBB12_2136
.LBB12_86:
	s_or_b64 exec, exec, s[6:7]
	s_and_saveexec_b64 s[6:7], s[4:5]
	s_cbranch_execz .LBB12_88
.LBB12_87:
	v_bfe_u32 v11, v12, 16, 3
	v_ffbh_u32_e32 v20, v11
	v_min_u32_e32 v20, 32, v20
	v_lshrrev_b32_e32 v14, 19, v12
	v_subrev_u32_e32 v21, 28, v20
	v_and_b32_e32 v14, 15, v14
	v_lshlrev_b32_sdwa v21, v21, v12 dst_sel:DWORD dst_unused:UNUSED_PAD src0_sel:DWORD src1_sel:WORD_1
	v_bfe_u32 v15, v12, 19, 4
	v_sub_u32_e32 v20, 29, v20
	v_and_b32_e32 v21, 7, v21
	v_cmp_eq_u16_e32 vcc, 0, v14
	v_cndmask_b32_e32 v11, v11, v21, vcc
	v_cndmask_b32_e32 v14, v15, v20, vcc
	v_lshlrev_b32_e32 v15, 8, v12
	v_mov_b32_e32 v20, 0x3b800000
	v_lshlrev_b32_e32 v11, 20, v11
	v_and_b32_e32 v15, 0x80000000, v15
	v_lshl_add_u32 v14, v14, 23, v20
	v_or3_b32 v14, v15, v14, v11
.LBB12_88:
	s_or_b64 exec, exec, s[6:7]
	s_nop 0
	v_mfma_f32_16x16x4f32 a[0:3], v10, v14, a[0:3]
	s_movk_i32 s4, 0x7f
	v_cmp_gt_i16_sdwa s[6:7], v16, s4 src0_sel:BYTE_3 src1_sel:DWORD
	s_mov_b64 s[4:5], 0
                                        ; implicit-def: $sgpr10
	s_and_saveexec_b64 s[8:9], s[6:7]
	s_xor_b64 s[6:7], exec, s[8:9]
	s_cbranch_execnz .LBB12_2137
; %bb.89:
	s_or_saveexec_b64 s[6:7], s[6:7]
	v_mov_b32_e32 v10, s10
	s_xor_b64 exec, exec, s[6:7]
	s_cbranch_execnz .LBB12_2140
.LBB12_90:
	s_or_b64 exec, exec, s[6:7]
	s_and_saveexec_b64 s[6:7], s[4:5]
	s_cbranch_execz .LBB12_92
.LBB12_91:
	v_bfe_u32 v10, v16, 24, 3
	v_ffbh_u32_e32 v20, v10
	v_min_u32_e32 v20, 32, v20
	v_lshrrev_b32_e32 v14, 27, v16
	v_subrev_u32_e32 v21, 28, v20
	v_and_b32_e32 v11, 0x80000000, v16
	v_and_b32_e32 v14, 15, v14
	v_bfe_u32 v15, v16, 27, 4
	v_lshlrev_b32_sdwa v16, v21, v16 dst_sel:DWORD dst_unused:UNUSED_PAD src0_sel:DWORD src1_sel:BYTE_3
	v_sub_u32_e32 v20, 29, v20
	v_and_b32_e32 v16, 7, v16
	v_cmp_eq_u16_e32 vcc, 0, v14
	v_cndmask_b32_e32 v10, v10, v16, vcc
	v_cndmask_b32_e32 v14, v15, v20, vcc
	v_mov_b32_e32 v15, 0x3b800000
	v_lshlrev_b32_e32 v10, 20, v10
	v_lshl_add_u32 v14, v14, 23, v15
	v_or3_b32 v10, v11, v14, v10
.LBB12_92:
	s_or_b64 exec, exec, s[6:7]
	s_movk_i32 s4, 0x7f
	v_cmp_gt_i16_sdwa s[6:7], v12, s4 src0_sel:BYTE_3 src1_sel:DWORD
	s_mov_b64 s[4:5], 0
                                        ; implicit-def: $sgpr10
	s_and_saveexec_b64 s[8:9], s[6:7]
	s_xor_b64 s[6:7], exec, s[8:9]
	s_cbranch_execnz .LBB12_2141
; %bb.93:
	s_or_saveexec_b64 s[6:7], s[6:7]
	v_mov_b32_e32 v11, s10
	s_xor_b64 exec, exec, s[6:7]
	s_cbranch_execnz .LBB12_2144
.LBB12_94:
	s_or_b64 exec, exec, s[6:7]
	s_and_saveexec_b64 s[6:7], s[4:5]
	s_cbranch_execz .LBB12_96
.LBB12_95:
	v_bfe_u32 v11, v12, 24, 3
	v_ffbh_u32_e32 v20, v11
	v_min_u32_e32 v20, 32, v20
	v_lshrrev_b32_e32 v15, 27, v12
	v_subrev_u32_e32 v21, 28, v20
	v_and_b32_e32 v14, 0x80000000, v12
	v_and_b32_e32 v15, 15, v15
	v_bfe_u32 v16, v12, 27, 4
	v_lshlrev_b32_sdwa v12, v21, v12 dst_sel:DWORD dst_unused:UNUSED_PAD src0_sel:DWORD src1_sel:BYTE_3
	v_sub_u32_e32 v20, 29, v20
	v_and_b32_e32 v12, 7, v12
	v_cmp_eq_u16_e32 vcc, 0, v15
	v_cndmask_b32_e32 v11, v11, v12, vcc
	v_cndmask_b32_e32 v12, v16, v20, vcc
	v_mov_b32_e32 v15, 0x3b800000
	v_lshlrev_b32_e32 v11, 20, v11
	v_lshl_add_u32 v12, v12, 23, v15
	v_or3_b32 v11, v14, v12, v11
.LBB12_96:
	s_or_b64 exec, exec, s[6:7]
	s_nop 0
	v_mfma_f32_16x16x4f32 a[0:3], v10, v11, a[0:3]
	s_movk_i32 s4, 0x7f
	v_cmp_gt_i16_sdwa s[6:7], v17, s4 src0_sel:BYTE_0 src1_sel:DWORD
	s_mov_b64 s[4:5], 0
                                        ; implicit-def: $sgpr10
	s_and_saveexec_b64 s[8:9], s[6:7]
	s_xor_b64 s[6:7], exec, s[8:9]
	s_cbranch_execnz .LBB12_2145
; %bb.97:
	s_or_saveexec_b64 s[6:7], s[6:7]
	v_mov_b32_e32 v10, s10
	s_xor_b64 exec, exec, s[6:7]
	s_cbranch_execnz .LBB12_2148
.LBB12_98:
	s_or_b64 exec, exec, s[6:7]
	s_and_saveexec_b64 s[6:7], s[4:5]
	s_cbranch_execz .LBB12_100
.LBB12_99:
	v_and_b32_e32 v10, 7, v17
	v_ffbh_u32_e32 v12, v10
	v_min_u32_e32 v12, 32, v12
	v_lshrrev_b16_e32 v11, 3, v17
	v_subrev_u32_e32 v14, 28, v12
	v_and_b32_e32 v11, 15, v11
	v_lshlrev_b32_e32 v14, v14, v17
	v_sub_u32_e32 v12, 29, v12
	v_and_b32_e32 v14, 7, v14
	v_cmp_eq_u16_e32 vcc, 0, v11
	v_cndmask_b32_e32 v10, v10, v14, vcc
	v_cndmask_b32_e32 v11, v11, v12, vcc
	v_lshlrev_b32_e32 v12, 24, v17
	v_mov_b32_e32 v14, 0x3b800000
	v_lshlrev_b32_e32 v10, 20, v10
	v_and_b32_e32 v12, 0x80000000, v12
	v_lshl_add_u32 v11, v11, 23, v14
	v_or3_b32 v10, v12, v11, v10
.LBB12_100:
	s_or_b64 exec, exec, s[6:7]
	s_movk_i32 s4, 0x7f
	v_cmp_gt_i16_sdwa s[6:7], v13, s4 src0_sel:BYTE_0 src1_sel:DWORD
	s_mov_b64 s[4:5], 0
                                        ; implicit-def: $sgpr10
	s_and_saveexec_b64 s[8:9], s[6:7]
	s_xor_b64 s[6:7], exec, s[8:9]
	s_cbranch_execnz .LBB12_2149
; %bb.101:
	s_or_saveexec_b64 s[6:7], s[6:7]
	v_mov_b32_e32 v11, s10
	s_xor_b64 exec, exec, s[6:7]
	s_cbranch_execnz .LBB12_2152
.LBB12_102:
	s_or_b64 exec, exec, s[6:7]
	s_and_saveexec_b64 s[6:7], s[4:5]
	s_cbranch_execz .LBB12_104
.LBB12_103:
	v_and_b32_e32 v11, 7, v13
	v_ffbh_u32_e32 v14, v11
	v_min_u32_e32 v14, 32, v14
	v_lshrrev_b16_e32 v12, 3, v13
	v_subrev_u32_e32 v15, 28, v14
	v_and_b32_e32 v12, 15, v12
	v_lshlrev_b32_e32 v15, v15, v13
	v_sub_u32_e32 v14, 29, v14
	v_and_b32_e32 v15, 7, v15
	v_cmp_eq_u16_e32 vcc, 0, v12
	v_cndmask_b32_e32 v11, v11, v15, vcc
	v_cndmask_b32_e32 v12, v12, v14, vcc
	v_lshlrev_b32_e32 v14, 24, v13
	v_mov_b32_e32 v15, 0x3b800000
	v_lshlrev_b32_e32 v11, 20, v11
	v_and_b32_e32 v14, 0x80000000, v14
	v_lshl_add_u32 v12, v12, 23, v15
	v_or3_b32 v11, v14, v12, v11
.LBB12_104:
	s_or_b64 exec, exec, s[6:7]
	s_nop 0
	v_mfma_f32_16x16x4f32 a[0:3], v10, v11, a[0:3]
	v_lshrrev_b32_e32 v11, 8, v17
	s_movk_i32 s4, 0x7f
	v_cmp_gt_i16_sdwa s[6:7], v11, s4 src0_sel:BYTE_0 src1_sel:DWORD
	s_mov_b64 s[4:5], 0
                                        ; implicit-def: $sgpr10
	s_and_saveexec_b64 s[8:9], s[6:7]
	s_xor_b64 s[6:7], exec, s[8:9]
	s_cbranch_execnz .LBB12_2153
; %bb.105:
	s_or_saveexec_b64 s[6:7], s[6:7]
	v_mov_b32_e32 v10, s10
	s_xor_b64 exec, exec, s[6:7]
	s_cbranch_execnz .LBB12_2156
.LBB12_106:
	s_or_b64 exec, exec, s[6:7]
	s_and_saveexec_b64 s[6:7], s[4:5]
	s_cbranch_execz .LBB12_108
.LBB12_107:
	v_bfe_u32 v10, v17, 8, 3
	v_ffbh_u32_e32 v14, v10
	v_min_u32_e32 v14, 32, v14
	v_lshrrev_b16_e32 v12, 3, v11
	v_subrev_u32_e32 v15, 28, v14
	v_and_b32_e32 v12, 15, v12
	v_lshlrev_b32_e32 v11, v15, v11
	v_sub_u32_e32 v14, 29, v14
	v_and_b32_e32 v11, 7, v11
	v_cmp_eq_u16_e32 vcc, 0, v12
	v_cndmask_b32_e32 v10, v10, v11, vcc
	v_cndmask_b32_e32 v11, v12, v14, vcc
	v_lshlrev_b32_e32 v12, 16, v17
	v_mov_b32_e32 v14, 0x3b800000
	v_lshlrev_b32_e32 v10, 20, v10
	v_and_b32_e32 v12, 0x80000000, v12
	v_lshl_add_u32 v11, v11, 23, v14
	v_or3_b32 v10, v12, v11, v10
.LBB12_108:
	s_or_b64 exec, exec, s[6:7]
	v_lshrrev_b32_e32 v11, 8, v13
	s_movk_i32 s4, 0x7f
	v_cmp_gt_i16_sdwa s[6:7], v11, s4 src0_sel:BYTE_0 src1_sel:DWORD
	s_mov_b64 s[4:5], 0
                                        ; implicit-def: $sgpr10
	s_and_saveexec_b64 s[8:9], s[6:7]
	s_xor_b64 s[6:7], exec, s[8:9]
	s_cbranch_execnz .LBB12_2157
; %bb.109:
	s_or_saveexec_b64 s[6:7], s[6:7]
	v_mov_b32_e32 v12, s10
	s_xor_b64 exec, exec, s[6:7]
	s_cbranch_execnz .LBB12_2160
.LBB12_110:
	s_or_b64 exec, exec, s[6:7]
	s_and_saveexec_b64 s[6:7], s[4:5]
	s_cbranch_execz .LBB12_112
.LBB12_111:
	v_bfe_u32 v12, v13, 8, 3
	v_ffbh_u32_e32 v15, v12
	v_min_u32_e32 v15, 32, v15
	v_lshrrev_b16_e32 v14, 3, v11
	v_subrev_u32_e32 v16, 28, v15
	v_and_b32_e32 v14, 15, v14
	v_lshlrev_b32_e32 v11, v16, v11
	v_sub_u32_e32 v15, 29, v15
	v_and_b32_e32 v11, 7, v11
	v_cmp_eq_u16_e32 vcc, 0, v14
	v_cndmask_b32_e32 v11, v12, v11, vcc
	v_cndmask_b32_e32 v12, v14, v15, vcc
	v_lshlrev_b32_e32 v14, 16, v13
	v_mov_b32_e32 v15, 0x3b800000
	v_lshlrev_b32_e32 v11, 20, v11
	v_and_b32_e32 v14, 0x80000000, v14
	v_lshl_add_u32 v12, v12, 23, v15
	v_or3_b32 v12, v14, v12, v11
.LBB12_112:
	s_or_b64 exec, exec, s[6:7]
	s_nop 0
	v_mfma_f32_16x16x4f32 a[0:3], v10, v12, a[0:3]
	s_movk_i32 s4, 0xff
	v_and_b32_sdwa v11, v17, s4 dst_sel:DWORD dst_unused:UNUSED_PAD src0_sel:WORD_1 src1_sel:DWORD
	s_movk_i32 s4, 0x7f
	v_cmp_lt_i16_e32 vcc, s4, v11
	s_mov_b64 s[4:5], 0
                                        ; implicit-def: $sgpr10
	s_and_saveexec_b64 s[6:7], vcc
	s_xor_b64 s[6:7], exec, s[6:7]
	s_cbranch_execnz .LBB12_2161
; %bb.113:
	s_or_saveexec_b64 s[6:7], s[6:7]
	v_mov_b32_e32 v10, s10
	s_xor_b64 exec, exec, s[6:7]
	s_cbranch_execnz .LBB12_2164
.LBB12_114:
	s_or_b64 exec, exec, s[6:7]
	s_and_saveexec_b64 s[6:7], s[4:5]
	s_cbranch_execz .LBB12_116
.LBB12_115:
	v_bfe_u32 v10, v17, 16, 3
	v_ffbh_u32_e32 v14, v10
	v_min_u32_e32 v14, 32, v14
	v_lshrrev_b32_e32 v11, 19, v17
	v_subrev_u32_e32 v15, 28, v14
	v_and_b32_e32 v11, 15, v11
	v_lshlrev_b32_sdwa v15, v15, v17 dst_sel:DWORD dst_unused:UNUSED_PAD src0_sel:DWORD src1_sel:WORD_1
	v_bfe_u32 v12, v17, 19, 4
	v_sub_u32_e32 v14, 29, v14
	v_and_b32_e32 v15, 7, v15
	v_cmp_eq_u16_e32 vcc, 0, v11
	v_cndmask_b32_e32 v10, v10, v15, vcc
	v_cndmask_b32_e32 v11, v12, v14, vcc
	v_lshlrev_b32_e32 v12, 8, v17
	v_mov_b32_e32 v14, 0x3b800000
	v_lshlrev_b32_e32 v10, 20, v10
	v_and_b32_e32 v12, 0x80000000, v12
	v_lshl_add_u32 v11, v11, 23, v14
	v_or3_b32 v10, v12, v11, v10
.LBB12_116:
	s_or_b64 exec, exec, s[6:7]
	s_movk_i32 s4, 0xff
	v_and_b32_sdwa v11, v13, s4 dst_sel:DWORD dst_unused:UNUSED_PAD src0_sel:WORD_1 src1_sel:DWORD
	s_movk_i32 s4, 0x7f
	v_cmp_lt_i16_e32 vcc, s4, v11
	s_mov_b64 s[4:5], 0
                                        ; implicit-def: $sgpr10
	s_and_saveexec_b64 s[6:7], vcc
	s_xor_b64 s[6:7], exec, s[6:7]
	s_cbranch_execnz .LBB12_2165
; %bb.117:
	s_or_saveexec_b64 s[6:7], s[6:7]
	v_mov_b32_e32 v12, s10
	s_xor_b64 exec, exec, s[6:7]
	s_cbranch_execnz .LBB12_2168
.LBB12_118:
	s_or_b64 exec, exec, s[6:7]
	s_and_saveexec_b64 s[6:7], s[4:5]
	s_cbranch_execz .LBB12_120
.LBB12_119:
	v_bfe_u32 v11, v13, 16, 3
	v_ffbh_u32_e32 v15, v11
	v_min_u32_e32 v15, 32, v15
	v_lshrrev_b32_e32 v12, 19, v13
	v_subrev_u32_e32 v16, 28, v15
	v_and_b32_e32 v12, 15, v12
	v_lshlrev_b32_sdwa v16, v16, v13 dst_sel:DWORD dst_unused:UNUSED_PAD src0_sel:DWORD src1_sel:WORD_1
	v_bfe_u32 v14, v13, 19, 4
	v_sub_u32_e32 v15, 29, v15
	v_and_b32_e32 v16, 7, v16
	v_cmp_eq_u16_e32 vcc, 0, v12
	v_cndmask_b32_e32 v11, v11, v16, vcc
	v_cndmask_b32_e32 v12, v14, v15, vcc
	v_lshlrev_b32_e32 v14, 8, v13
	v_mov_b32_e32 v15, 0x3b800000
	v_lshlrev_b32_e32 v11, 20, v11
	v_and_b32_e32 v14, 0x80000000, v14
	v_lshl_add_u32 v12, v12, 23, v15
	v_or3_b32 v12, v14, v12, v11
.LBB12_120:
	s_or_b64 exec, exec, s[6:7]
	s_nop 0
	v_mfma_f32_16x16x4f32 a[0:3], v10, v12, a[0:3]
	s_movk_i32 s4, 0x7f
	v_cmp_gt_i16_sdwa s[6:7], v17, s4 src0_sel:BYTE_3 src1_sel:DWORD
	s_mov_b64 s[4:5], 0
                                        ; implicit-def: $sgpr10
	s_and_saveexec_b64 s[8:9], s[6:7]
	s_xor_b64 s[6:7], exec, s[8:9]
	s_cbranch_execnz .LBB12_2169
; %bb.121:
	s_or_saveexec_b64 s[6:7], s[6:7]
	v_mov_b32_e32 v10, s10
	s_xor_b64 exec, exec, s[6:7]
	s_cbranch_execnz .LBB12_2172
.LBB12_122:
	s_or_b64 exec, exec, s[6:7]
	s_and_saveexec_b64 s[6:7], s[4:5]
	s_cbranch_execz .LBB12_124
.LBB12_123:
	v_bfe_u32 v10, v17, 24, 3
	v_ffbh_u32_e32 v15, v10
	v_min_u32_e32 v15, 32, v15
	v_lshrrev_b32_e32 v12, 27, v17
	v_subrev_u32_e32 v16, 28, v15
	v_and_b32_e32 v12, 15, v12
	v_lshlrev_b32_sdwa v16, v16, v17 dst_sel:DWORD dst_unused:UNUSED_PAD src0_sel:DWORD src1_sel:BYTE_3
	v_bfe_u32 v14, v17, 27, 4
	v_sub_u32_e32 v15, 29, v15
	v_and_b32_e32 v16, 7, v16
	v_cmp_eq_u16_e32 vcc, 0, v12
	v_cndmask_b32_e32 v10, v10, v16, vcc
	v_cndmask_b32_e32 v12, v14, v15, vcc
	v_mov_b32_e32 v14, 0x3b800000
	v_and_b32_e32 v11, 0x80000000, v17
	v_lshlrev_b32_e32 v10, 20, v10
	v_lshl_add_u32 v12, v12, 23, v14
	v_or3_b32 v10, v11, v12, v10
.LBB12_124:
	s_or_b64 exec, exec, s[6:7]
	s_movk_i32 s4, 0x7f
	v_cmp_gt_i16_sdwa s[6:7], v13, s4 src0_sel:BYTE_3 src1_sel:DWORD
	s_mov_b64 s[4:5], 0
                                        ; implicit-def: $sgpr10
	s_and_saveexec_b64 s[8:9], s[6:7]
	s_xor_b64 s[6:7], exec, s[8:9]
	s_cbranch_execnz .LBB12_2173
; %bb.125:
	s_or_saveexec_b64 s[6:7], s[6:7]
	v_mov_b32_e32 v11, s10
	s_xor_b64 exec, exec, s[6:7]
	s_cbranch_execnz .LBB12_2176
.LBB12_126:
	s_or_b64 exec, exec, s[6:7]
	s_and_saveexec_b64 s[6:7], s[4:5]
	s_cbranch_execz .LBB12_128
.LBB12_127:
	v_bfe_u32 v11, v13, 24, 3
	v_ffbh_u32_e32 v16, v11
	v_min_u32_e32 v16, 32, v16
	v_lshrrev_b32_e32 v14, 27, v13
	v_subrev_u32_e32 v17, 28, v16
	v_and_b32_e32 v12, 0x80000000, v13
	v_and_b32_e32 v14, 15, v14
	v_bfe_u32 v15, v13, 27, 4
	v_lshlrev_b32_sdwa v13, v17, v13 dst_sel:DWORD dst_unused:UNUSED_PAD src0_sel:DWORD src1_sel:BYTE_3
	v_sub_u32_e32 v16, 29, v16
	v_and_b32_e32 v13, 7, v13
	v_cmp_eq_u16_e32 vcc, 0, v14
	v_cndmask_b32_e32 v11, v11, v13, vcc
	v_cndmask_b32_e32 v13, v15, v16, vcc
	v_mov_b32_e32 v14, 0x3b800000
	v_lshlrev_b32_e32 v11, 20, v11
	v_lshl_add_u32 v13, v13, 23, v14
	v_or3_b32 v11, v12, v13, v11
.LBB12_128:
	s_or_b64 exec, exec, s[6:7]
	s_nop 0
	v_mfma_f32_16x16x4f32 a[0:3], v10, v11, a[0:3]
	s_movk_i32 s4, 0x7f
	v_cmp_gt_i16_sdwa s[6:7], v6, s4 src0_sel:BYTE_0 src1_sel:DWORD
	s_mov_b64 s[4:5], 0
                                        ; implicit-def: $sgpr10
	s_and_saveexec_b64 s[8:9], s[6:7]
	s_xor_b64 s[6:7], exec, s[8:9]
	s_cbranch_execnz .LBB12_2177
; %bb.129:
	s_or_saveexec_b64 s[6:7], s[6:7]
	v_mov_b32_e32 v10, s10
	s_xor_b64 exec, exec, s[6:7]
	s_cbranch_execnz .LBB12_2180
.LBB12_130:
	s_or_b64 exec, exec, s[6:7]
	s_and_saveexec_b64 s[6:7], s[4:5]
	s_cbranch_execz .LBB12_132
.LBB12_131:
	v_and_b32_e32 v10, 7, v6
	v_ffbh_u32_e32 v12, v10
	v_min_u32_e32 v12, 32, v12
	v_lshrrev_b16_e32 v11, 3, v6
	v_subrev_u32_e32 v13, 28, v12
	v_and_b32_e32 v11, 15, v11
	v_lshlrev_b32_e32 v13, v13, v6
	v_sub_u32_e32 v12, 29, v12
	v_and_b32_e32 v13, 7, v13
	v_cmp_eq_u16_e32 vcc, 0, v11
	v_cndmask_b32_e32 v10, v10, v13, vcc
	v_cndmask_b32_e32 v11, v11, v12, vcc
	v_lshlrev_b32_e32 v12, 24, v6
	v_mov_b32_e32 v13, 0x3b800000
	v_lshlrev_b32_e32 v10, 20, v10
	v_and_b32_e32 v12, 0x80000000, v12
	v_lshl_add_u32 v11, v11, 23, v13
	v_or3_b32 v10, v12, v11, v10
.LBB12_132:
	s_or_b64 exec, exec, s[6:7]
	s_movk_i32 s4, 0x7f
	v_cmp_gt_i16_sdwa s[6:7], v2, s4 src0_sel:BYTE_0 src1_sel:DWORD
	s_mov_b64 s[4:5], 0
                                        ; implicit-def: $sgpr10
	s_and_saveexec_b64 s[8:9], s[6:7]
	s_xor_b64 s[6:7], exec, s[8:9]
	s_cbranch_execnz .LBB12_2181
; %bb.133:
	s_or_saveexec_b64 s[6:7], s[6:7]
	v_mov_b32_e32 v11, s10
	s_xor_b64 exec, exec, s[6:7]
	s_cbranch_execnz .LBB12_2184
.LBB12_134:
	s_or_b64 exec, exec, s[6:7]
	s_and_saveexec_b64 s[6:7], s[4:5]
	s_cbranch_execz .LBB12_136
.LBB12_135:
	v_and_b32_e32 v11, 7, v2
	v_ffbh_u32_e32 v13, v11
	v_min_u32_e32 v13, 32, v13
	v_lshrrev_b16_e32 v12, 3, v2
	v_subrev_u32_e32 v14, 28, v13
	v_and_b32_e32 v12, 15, v12
	v_lshlrev_b32_e32 v14, v14, v2
	v_sub_u32_e32 v13, 29, v13
	v_and_b32_e32 v14, 7, v14
	v_cmp_eq_u16_e32 vcc, 0, v12
	v_cndmask_b32_e32 v11, v11, v14, vcc
	v_cndmask_b32_e32 v12, v12, v13, vcc
	v_lshlrev_b32_e32 v13, 24, v2
	v_mov_b32_e32 v14, 0x3b800000
	v_lshlrev_b32_e32 v11, 20, v11
	v_and_b32_e32 v13, 0x80000000, v13
	v_lshl_add_u32 v12, v12, 23, v14
	v_or3_b32 v11, v13, v12, v11
.LBB12_136:
	s_or_b64 exec, exec, s[6:7]
	s_nop 0
	v_mfma_f32_16x16x4f32 a[0:3], v10, v11, a[0:3]
	v_lshrrev_b32_e32 v11, 8, v6
	s_movk_i32 s4, 0x7f
	v_cmp_gt_i16_sdwa s[6:7], v11, s4 src0_sel:BYTE_0 src1_sel:DWORD
	s_mov_b64 s[4:5], 0
                                        ; implicit-def: $sgpr10
	s_and_saveexec_b64 s[8:9], s[6:7]
	s_xor_b64 s[6:7], exec, s[8:9]
	s_cbranch_execnz .LBB12_2185
; %bb.137:
	s_or_saveexec_b64 s[6:7], s[6:7]
	v_mov_b32_e32 v10, s10
	s_xor_b64 exec, exec, s[6:7]
	s_cbranch_execnz .LBB12_2188
.LBB12_138:
	s_or_b64 exec, exec, s[6:7]
	s_and_saveexec_b64 s[6:7], s[4:5]
	s_cbranch_execz .LBB12_140
.LBB12_139:
	v_bfe_u32 v10, v6, 8, 3
	v_ffbh_u32_e32 v13, v10
	v_min_u32_e32 v13, 32, v13
	v_lshrrev_b16_e32 v12, 3, v11
	v_subrev_u32_e32 v14, 28, v13
	v_and_b32_e32 v12, 15, v12
	v_lshlrev_b32_e32 v11, v14, v11
	v_sub_u32_e32 v13, 29, v13
	v_and_b32_e32 v11, 7, v11
	v_cmp_eq_u16_e32 vcc, 0, v12
	v_cndmask_b32_e32 v10, v10, v11, vcc
	v_cndmask_b32_e32 v11, v12, v13, vcc
	v_lshlrev_b32_e32 v12, 16, v6
	v_mov_b32_e32 v13, 0x3b800000
	v_lshlrev_b32_e32 v10, 20, v10
	v_and_b32_e32 v12, 0x80000000, v12
	v_lshl_add_u32 v11, v11, 23, v13
	v_or3_b32 v10, v12, v11, v10
.LBB12_140:
	s_or_b64 exec, exec, s[6:7]
	v_lshrrev_b32_e32 v11, 8, v2
	s_movk_i32 s4, 0x7f
	v_cmp_gt_i16_sdwa s[6:7], v11, s4 src0_sel:BYTE_0 src1_sel:DWORD
	s_mov_b64 s[4:5], 0
                                        ; implicit-def: $sgpr10
	s_and_saveexec_b64 s[8:9], s[6:7]
	s_xor_b64 s[6:7], exec, s[8:9]
	s_cbranch_execnz .LBB12_2189
; %bb.141:
	s_or_saveexec_b64 s[6:7], s[6:7]
	v_mov_b32_e32 v12, s10
	s_xor_b64 exec, exec, s[6:7]
	s_cbranch_execnz .LBB12_2192
.LBB12_142:
	s_or_b64 exec, exec, s[6:7]
	s_and_saveexec_b64 s[6:7], s[4:5]
	s_cbranch_execz .LBB12_144
.LBB12_143:
	v_bfe_u32 v12, v2, 8, 3
	v_ffbh_u32_e32 v14, v12
	v_min_u32_e32 v14, 32, v14
	v_lshrrev_b16_e32 v13, 3, v11
	v_subrev_u32_e32 v15, 28, v14
	v_and_b32_e32 v13, 15, v13
	v_lshlrev_b32_e32 v11, v15, v11
	v_sub_u32_e32 v14, 29, v14
	v_and_b32_e32 v11, 7, v11
	v_cmp_eq_u16_e32 vcc, 0, v13
	v_cndmask_b32_e32 v11, v12, v11, vcc
	v_cndmask_b32_e32 v12, v13, v14, vcc
	v_lshlrev_b32_e32 v13, 16, v2
	v_mov_b32_e32 v14, 0x3b800000
	v_lshlrev_b32_e32 v11, 20, v11
	v_and_b32_e32 v13, 0x80000000, v13
	v_lshl_add_u32 v12, v12, 23, v14
	v_or3_b32 v12, v13, v12, v11
.LBB12_144:
	s_or_b64 exec, exec, s[6:7]
	s_nop 0
	v_mfma_f32_16x16x4f32 a[0:3], v10, v12, a[0:3]
	s_movk_i32 s4, 0xff
	v_and_b32_sdwa v11, v6, s4 dst_sel:DWORD dst_unused:UNUSED_PAD src0_sel:WORD_1 src1_sel:DWORD
	s_movk_i32 s4, 0x7f
	v_cmp_lt_i16_e32 vcc, s4, v11
	s_mov_b64 s[4:5], 0
                                        ; implicit-def: $sgpr10
	s_and_saveexec_b64 s[6:7], vcc
	s_xor_b64 s[6:7], exec, s[6:7]
	s_cbranch_execnz .LBB12_2193
; %bb.145:
	s_or_saveexec_b64 s[6:7], s[6:7]
	v_mov_b32_e32 v10, s10
	s_xor_b64 exec, exec, s[6:7]
	s_cbranch_execnz .LBB12_2196
.LBB12_146:
	s_or_b64 exec, exec, s[6:7]
	s_and_saveexec_b64 s[6:7], s[4:5]
	s_cbranch_execz .LBB12_148
.LBB12_147:
	v_bfe_u32 v10, v6, 16, 3
	v_ffbh_u32_e32 v13, v10
	v_min_u32_e32 v13, 32, v13
	v_lshrrev_b32_e32 v11, 19, v6
	v_subrev_u32_e32 v14, 28, v13
	v_and_b32_e32 v11, 15, v11
	v_lshlrev_b32_sdwa v14, v14, v6 dst_sel:DWORD dst_unused:UNUSED_PAD src0_sel:DWORD src1_sel:WORD_1
	v_bfe_u32 v12, v6, 19, 4
	v_sub_u32_e32 v13, 29, v13
	v_and_b32_e32 v14, 7, v14
	v_cmp_eq_u16_e32 vcc, 0, v11
	v_cndmask_b32_e32 v10, v10, v14, vcc
	v_cndmask_b32_e32 v11, v12, v13, vcc
	v_lshlrev_b32_e32 v12, 8, v6
	v_mov_b32_e32 v13, 0x3b800000
	v_lshlrev_b32_e32 v10, 20, v10
	v_and_b32_e32 v12, 0x80000000, v12
	v_lshl_add_u32 v11, v11, 23, v13
	v_or3_b32 v10, v12, v11, v10
.LBB12_148:
	s_or_b64 exec, exec, s[6:7]
	s_movk_i32 s4, 0xff
	v_and_b32_sdwa v11, v2, s4 dst_sel:DWORD dst_unused:UNUSED_PAD src0_sel:WORD_1 src1_sel:DWORD
	s_movk_i32 s4, 0x7f
	v_cmp_lt_i16_e32 vcc, s4, v11
	s_mov_b64 s[4:5], 0
                                        ; implicit-def: $sgpr10
	s_and_saveexec_b64 s[6:7], vcc
	s_xor_b64 s[6:7], exec, s[6:7]
	s_cbranch_execnz .LBB12_2197
; %bb.149:
	s_or_saveexec_b64 s[6:7], s[6:7]
	v_mov_b32_e32 v12, s10
	s_xor_b64 exec, exec, s[6:7]
	s_cbranch_execnz .LBB12_2200
.LBB12_150:
	s_or_b64 exec, exec, s[6:7]
	s_and_saveexec_b64 s[6:7], s[4:5]
	s_cbranch_execz .LBB12_152
.LBB12_151:
	v_bfe_u32 v11, v2, 16, 3
	v_ffbh_u32_e32 v14, v11
	v_min_u32_e32 v14, 32, v14
	v_lshrrev_b32_e32 v12, 19, v2
	v_subrev_u32_e32 v15, 28, v14
	v_and_b32_e32 v12, 15, v12
	v_lshlrev_b32_sdwa v15, v15, v2 dst_sel:DWORD dst_unused:UNUSED_PAD src0_sel:DWORD src1_sel:WORD_1
	v_bfe_u32 v13, v2, 19, 4
	v_sub_u32_e32 v14, 29, v14
	v_and_b32_e32 v15, 7, v15
	v_cmp_eq_u16_e32 vcc, 0, v12
	v_cndmask_b32_e32 v11, v11, v15, vcc
	v_cndmask_b32_e32 v12, v13, v14, vcc
	v_lshlrev_b32_e32 v13, 8, v2
	v_mov_b32_e32 v14, 0x3b800000
	v_lshlrev_b32_e32 v11, 20, v11
	v_and_b32_e32 v13, 0x80000000, v13
	v_lshl_add_u32 v12, v12, 23, v14
	v_or3_b32 v12, v13, v12, v11
.LBB12_152:
	s_or_b64 exec, exec, s[6:7]
	s_nop 0
	v_mfma_f32_16x16x4f32 a[0:3], v10, v12, a[0:3]
	s_movk_i32 s4, 0x7f
	v_cmp_gt_i16_sdwa s[6:7], v6, s4 src0_sel:BYTE_3 src1_sel:DWORD
	s_mov_b64 s[4:5], 0
                                        ; implicit-def: $sgpr10
	s_and_saveexec_b64 s[8:9], s[6:7]
	s_xor_b64 s[6:7], exec, s[8:9]
	s_cbranch_execnz .LBB12_2201
; %bb.153:
	s_or_saveexec_b64 s[6:7], s[6:7]
	v_mov_b32_e32 v10, s10
	s_xor_b64 exec, exec, s[6:7]
	s_cbranch_execnz .LBB12_2204
.LBB12_154:
	s_or_b64 exec, exec, s[6:7]
	s_and_saveexec_b64 s[6:7], s[4:5]
	s_cbranch_execz .LBB12_156
.LBB12_155:
	v_bfe_u32 v10, v6, 24, 3
	v_ffbh_u32_e32 v14, v10
	v_min_u32_e32 v14, 32, v14
	v_lshrrev_b32_e32 v12, 27, v6
	v_subrev_u32_e32 v15, 28, v14
	v_and_b32_e32 v11, 0x80000000, v6
	v_and_b32_e32 v12, 15, v12
	v_bfe_u32 v13, v6, 27, 4
	v_lshlrev_b32_sdwa v6, v15, v6 dst_sel:DWORD dst_unused:UNUSED_PAD src0_sel:DWORD src1_sel:BYTE_3
	v_sub_u32_e32 v14, 29, v14
	v_and_b32_e32 v6, 7, v6
	v_cmp_eq_u16_e32 vcc, 0, v12
	v_cndmask_b32_e32 v6, v10, v6, vcc
	v_cndmask_b32_e32 v10, v13, v14, vcc
	v_mov_b32_e32 v12, 0x3b800000
	v_lshlrev_b32_e32 v6, 20, v6
	v_lshl_add_u32 v10, v10, 23, v12
	v_or3_b32 v10, v11, v10, v6
.LBB12_156:
	s_or_b64 exec, exec, s[6:7]
	s_movk_i32 s4, 0x7f
	v_cmp_gt_i16_sdwa s[6:7], v2, s4 src0_sel:BYTE_3 src1_sel:DWORD
	s_mov_b64 s[4:5], 0
                                        ; implicit-def: $sgpr10
	s_and_saveexec_b64 s[8:9], s[6:7]
	s_xor_b64 s[6:7], exec, s[8:9]
	s_cbranch_execnz .LBB12_2205
; %bb.157:
	s_or_saveexec_b64 s[6:7], s[6:7]
	v_mov_b32_e32 v6, s10
	s_xor_b64 exec, exec, s[6:7]
	s_cbranch_execnz .LBB12_2208
.LBB12_158:
	s_or_b64 exec, exec, s[6:7]
	s_and_saveexec_b64 s[6:7], s[4:5]
	s_cbranch_execz .LBB12_160
.LBB12_159:
	v_bfe_u32 v6, v2, 24, 3
	v_ffbh_u32_e32 v14, v6
	v_min_u32_e32 v14, 32, v14
	v_lshrrev_b32_e32 v12, 27, v2
	v_subrev_u32_e32 v15, 28, v14
	v_and_b32_e32 v11, 0x80000000, v2
	v_and_b32_e32 v12, 15, v12
	v_bfe_u32 v13, v2, 27, 4
	v_lshlrev_b32_sdwa v2, v15, v2 dst_sel:DWORD dst_unused:UNUSED_PAD src0_sel:DWORD src1_sel:BYTE_3
	v_sub_u32_e32 v14, 29, v14
	v_and_b32_e32 v2, 7, v2
	v_cmp_eq_u16_e32 vcc, 0, v12
	v_cndmask_b32_e32 v2, v6, v2, vcc
	v_cndmask_b32_e32 v6, v13, v14, vcc
	v_mov_b32_e32 v12, 0x3b800000
	v_lshlrev_b32_e32 v2, 20, v2
	v_lshl_add_u32 v6, v6, 23, v12
	v_or3_b32 v6, v11, v6, v2
.LBB12_160:
	s_or_b64 exec, exec, s[6:7]
	s_nop 0
	v_mfma_f32_16x16x4f32 a[0:3], v10, v6, a[0:3]
	s_movk_i32 s4, 0x7f
	v_cmp_gt_i16_sdwa s[6:7], v7, s4 src0_sel:BYTE_0 src1_sel:DWORD
	s_mov_b64 s[4:5], 0
                                        ; implicit-def: $sgpr10
	s_and_saveexec_b64 s[8:9], s[6:7]
	s_xor_b64 s[6:7], exec, s[8:9]
	s_cbranch_execnz .LBB12_2209
; %bb.161:
	s_or_saveexec_b64 s[6:7], s[6:7]
	v_mov_b32_e32 v2, s10
	s_xor_b64 exec, exec, s[6:7]
	s_cbranch_execnz .LBB12_2212
.LBB12_162:
	s_or_b64 exec, exec, s[6:7]
	s_and_saveexec_b64 s[6:7], s[4:5]
	s_cbranch_execz .LBB12_164
.LBB12_163:
	v_and_b32_e32 v2, 7, v7
	v_ffbh_u32_e32 v10, v2
	v_min_u32_e32 v10, 32, v10
	v_lshrrev_b16_e32 v6, 3, v7
	v_subrev_u32_e32 v11, 28, v10
	v_and_b32_e32 v6, 15, v6
	v_lshlrev_b32_e32 v11, v11, v7
	v_sub_u32_e32 v10, 29, v10
	v_and_b32_e32 v11, 7, v11
	v_cmp_eq_u16_e32 vcc, 0, v6
	v_cndmask_b32_e32 v2, v2, v11, vcc
	v_cndmask_b32_e32 v6, v6, v10, vcc
	v_lshlrev_b32_e32 v10, 24, v7
	v_mov_b32_e32 v11, 0x3b800000
	v_lshlrev_b32_e32 v2, 20, v2
	v_and_b32_e32 v10, 0x80000000, v10
	v_lshl_add_u32 v6, v6, 23, v11
	v_or3_b32 v2, v10, v6, v2
.LBB12_164:
	s_or_b64 exec, exec, s[6:7]
	s_movk_i32 s4, 0x7f
	v_cmp_gt_i16_sdwa s[6:7], v3, s4 src0_sel:BYTE_0 src1_sel:DWORD
	s_mov_b64 s[4:5], 0
                                        ; implicit-def: $sgpr10
	s_and_saveexec_b64 s[8:9], s[6:7]
	s_xor_b64 s[6:7], exec, s[8:9]
	s_cbranch_execnz .LBB12_2213
; %bb.165:
	s_or_saveexec_b64 s[6:7], s[6:7]
	v_mov_b32_e32 v6, s10
	s_xor_b64 exec, exec, s[6:7]
	s_cbranch_execnz .LBB12_2216
.LBB12_166:
	s_or_b64 exec, exec, s[6:7]
	s_and_saveexec_b64 s[6:7], s[4:5]
	s_cbranch_execz .LBB12_168
.LBB12_167:
	v_and_b32_e32 v6, 7, v3
	v_ffbh_u32_e32 v11, v6
	v_min_u32_e32 v11, 32, v11
	v_lshrrev_b16_e32 v10, 3, v3
	v_subrev_u32_e32 v12, 28, v11
	v_and_b32_e32 v10, 15, v10
	v_lshlrev_b32_e32 v12, v12, v3
	v_sub_u32_e32 v11, 29, v11
	v_and_b32_e32 v12, 7, v12
	v_cmp_eq_u16_e32 vcc, 0, v10
	v_cndmask_b32_e32 v6, v6, v12, vcc
	v_cndmask_b32_e32 v10, v10, v11, vcc
	v_lshlrev_b32_e32 v11, 24, v3
	v_mov_b32_e32 v12, 0x3b800000
	v_lshlrev_b32_e32 v6, 20, v6
	v_and_b32_e32 v11, 0x80000000, v11
	v_lshl_add_u32 v10, v10, 23, v12
	v_or3_b32 v6, v11, v10, v6
.LBB12_168:
	s_or_b64 exec, exec, s[6:7]
	s_nop 0
	v_mfma_f32_16x16x4f32 a[0:3], v2, v6, a[0:3]
	v_lshrrev_b32_e32 v6, 8, v7
	s_movk_i32 s4, 0x7f
	v_cmp_gt_i16_sdwa s[6:7], v6, s4 src0_sel:BYTE_0 src1_sel:DWORD
	s_mov_b64 s[4:5], 0
                                        ; implicit-def: $sgpr10
	s_and_saveexec_b64 s[8:9], s[6:7]
	s_xor_b64 s[6:7], exec, s[8:9]
	s_cbranch_execnz .LBB12_2217
; %bb.169:
	s_or_saveexec_b64 s[6:7], s[6:7]
	v_mov_b32_e32 v2, s10
	s_xor_b64 exec, exec, s[6:7]
	s_cbranch_execnz .LBB12_2220
.LBB12_170:
	s_or_b64 exec, exec, s[6:7]
	s_and_saveexec_b64 s[6:7], s[4:5]
	s_cbranch_execz .LBB12_172
.LBB12_171:
	v_bfe_u32 v2, v7, 8, 3
	v_ffbh_u32_e32 v11, v2
	v_min_u32_e32 v11, 32, v11
	v_lshrrev_b16_e32 v10, 3, v6
	v_subrev_u32_e32 v12, 28, v11
	v_and_b32_e32 v10, 15, v10
	v_lshlrev_b32_e32 v6, v12, v6
	v_sub_u32_e32 v11, 29, v11
	v_and_b32_e32 v6, 7, v6
	v_cmp_eq_u16_e32 vcc, 0, v10
	v_cndmask_b32_e32 v2, v2, v6, vcc
	v_cndmask_b32_e32 v6, v10, v11, vcc
	v_lshlrev_b32_e32 v10, 16, v7
	v_mov_b32_e32 v11, 0x3b800000
	v_lshlrev_b32_e32 v2, 20, v2
	v_and_b32_e32 v10, 0x80000000, v10
	v_lshl_add_u32 v6, v6, 23, v11
	v_or3_b32 v2, v10, v6, v2
.LBB12_172:
	s_or_b64 exec, exec, s[6:7]
	v_lshrrev_b32_e32 v6, 8, v3
	s_movk_i32 s4, 0x7f
	v_cmp_gt_i16_sdwa s[6:7], v6, s4 src0_sel:BYTE_0 src1_sel:DWORD
	s_mov_b64 s[4:5], 0
                                        ; implicit-def: $sgpr10
	s_and_saveexec_b64 s[8:9], s[6:7]
	s_xor_b64 s[6:7], exec, s[8:9]
	s_cbranch_execnz .LBB12_2221
; %bb.173:
	s_or_saveexec_b64 s[6:7], s[6:7]
	v_mov_b32_e32 v10, s10
	s_xor_b64 exec, exec, s[6:7]
	s_cbranch_execnz .LBB12_2224
.LBB12_174:
	s_or_b64 exec, exec, s[6:7]
	s_and_saveexec_b64 s[6:7], s[4:5]
	s_cbranch_execz .LBB12_176
.LBB12_175:
	v_bfe_u32 v10, v3, 8, 3
	v_ffbh_u32_e32 v12, v10
	v_min_u32_e32 v12, 32, v12
	v_lshrrev_b16_e32 v11, 3, v6
	v_subrev_u32_e32 v13, 28, v12
	v_and_b32_e32 v11, 15, v11
	v_lshlrev_b32_e32 v6, v13, v6
	v_sub_u32_e32 v12, 29, v12
	v_and_b32_e32 v6, 7, v6
	v_cmp_eq_u16_e32 vcc, 0, v11
	v_cndmask_b32_e32 v6, v10, v6, vcc
	v_cndmask_b32_e32 v10, v11, v12, vcc
	v_lshlrev_b32_e32 v11, 16, v3
	v_mov_b32_e32 v12, 0x3b800000
	v_lshlrev_b32_e32 v6, 20, v6
	v_and_b32_e32 v11, 0x80000000, v11
	v_lshl_add_u32 v10, v10, 23, v12
	v_or3_b32 v10, v11, v10, v6
.LBB12_176:
	s_or_b64 exec, exec, s[6:7]
	s_nop 0
	v_mfma_f32_16x16x4f32 a[0:3], v2, v10, a[0:3]
	s_movk_i32 s4, 0xff
	v_and_b32_sdwa v6, v7, s4 dst_sel:DWORD dst_unused:UNUSED_PAD src0_sel:WORD_1 src1_sel:DWORD
	s_movk_i32 s4, 0x7f
	v_cmp_lt_i16_e32 vcc, s4, v6
	s_mov_b64 s[4:5], 0
                                        ; implicit-def: $sgpr10
	s_and_saveexec_b64 s[6:7], vcc
	s_xor_b64 s[6:7], exec, s[6:7]
	s_cbranch_execnz .LBB12_2225
; %bb.177:
	s_or_saveexec_b64 s[6:7], s[6:7]
	v_mov_b32_e32 v2, s10
	s_xor_b64 exec, exec, s[6:7]
	s_cbranch_execnz .LBB12_2228
.LBB12_178:
	s_or_b64 exec, exec, s[6:7]
	s_and_saveexec_b64 s[6:7], s[4:5]
	s_cbranch_execz .LBB12_180
.LBB12_179:
	v_bfe_u32 v2, v7, 16, 3
	v_ffbh_u32_e32 v11, v2
	v_min_u32_e32 v11, 32, v11
	v_lshrrev_b32_e32 v6, 19, v7
	v_subrev_u32_e32 v12, 28, v11
	v_and_b32_e32 v6, 15, v6
	v_lshlrev_b32_sdwa v12, v12, v7 dst_sel:DWORD dst_unused:UNUSED_PAD src0_sel:DWORD src1_sel:WORD_1
	v_bfe_u32 v10, v7, 19, 4
	v_sub_u32_e32 v11, 29, v11
	v_and_b32_e32 v12, 7, v12
	v_cmp_eq_u16_e32 vcc, 0, v6
	v_cndmask_b32_e32 v2, v2, v12, vcc
	v_cndmask_b32_e32 v6, v10, v11, vcc
	v_lshlrev_b32_e32 v10, 8, v7
	v_mov_b32_e32 v11, 0x3b800000
	v_lshlrev_b32_e32 v2, 20, v2
	v_and_b32_e32 v10, 0x80000000, v10
	v_lshl_add_u32 v6, v6, 23, v11
	v_or3_b32 v2, v10, v6, v2
.LBB12_180:
	s_or_b64 exec, exec, s[6:7]
	s_movk_i32 s4, 0xff
	v_and_b32_sdwa v6, v3, s4 dst_sel:DWORD dst_unused:UNUSED_PAD src0_sel:WORD_1 src1_sel:DWORD
	s_movk_i32 s4, 0x7f
	v_cmp_lt_i16_e32 vcc, s4, v6
	s_mov_b64 s[4:5], 0
                                        ; implicit-def: $sgpr10
	s_and_saveexec_b64 s[6:7], vcc
	s_xor_b64 s[6:7], exec, s[6:7]
	s_cbranch_execnz .LBB12_2229
; %bb.181:
	s_or_saveexec_b64 s[6:7], s[6:7]
	v_mov_b32_e32 v10, s10
	s_xor_b64 exec, exec, s[6:7]
	s_cbranch_execnz .LBB12_2232
.LBB12_182:
	s_or_b64 exec, exec, s[6:7]
	s_and_saveexec_b64 s[6:7], s[4:5]
	s_cbranch_execz .LBB12_184
.LBB12_183:
	v_bfe_u32 v6, v3, 16, 3
	v_ffbh_u32_e32 v12, v6
	v_min_u32_e32 v12, 32, v12
	v_lshrrev_b32_e32 v10, 19, v3
	v_subrev_u32_e32 v13, 28, v12
	v_and_b32_e32 v10, 15, v10
	v_lshlrev_b32_sdwa v13, v13, v3 dst_sel:DWORD dst_unused:UNUSED_PAD src0_sel:DWORD src1_sel:WORD_1
	v_bfe_u32 v11, v3, 19, 4
	v_sub_u32_e32 v12, 29, v12
	v_and_b32_e32 v13, 7, v13
	v_cmp_eq_u16_e32 vcc, 0, v10
	v_cndmask_b32_e32 v6, v6, v13, vcc
	v_cndmask_b32_e32 v10, v11, v12, vcc
	v_lshlrev_b32_e32 v11, 8, v3
	v_mov_b32_e32 v12, 0x3b800000
	v_lshlrev_b32_e32 v6, 20, v6
	v_and_b32_e32 v11, 0x80000000, v11
	v_lshl_add_u32 v10, v10, 23, v12
	v_or3_b32 v10, v11, v10, v6
.LBB12_184:
	s_or_b64 exec, exec, s[6:7]
	s_nop 0
	v_mfma_f32_16x16x4f32 a[0:3], v2, v10, a[0:3]
	s_movk_i32 s4, 0x7f
	v_cmp_gt_i16_sdwa s[6:7], v7, s4 src0_sel:BYTE_3 src1_sel:DWORD
	s_mov_b64 s[4:5], 0
                                        ; implicit-def: $sgpr10
	s_and_saveexec_b64 s[8:9], s[6:7]
	s_xor_b64 s[6:7], exec, s[8:9]
	s_cbranch_execnz .LBB12_2233
; %bb.185:
	s_or_saveexec_b64 s[6:7], s[6:7]
	v_mov_b32_e32 v2, s10
	s_xor_b64 exec, exec, s[6:7]
	s_cbranch_execnz .LBB12_2236
.LBB12_186:
	s_or_b64 exec, exec, s[6:7]
	s_and_saveexec_b64 s[6:7], s[4:5]
	s_cbranch_execz .LBB12_188
.LBB12_187:
	v_bfe_u32 v2, v7, 24, 3
	v_ffbh_u32_e32 v12, v2
	v_min_u32_e32 v12, 32, v12
	v_lshrrev_b32_e32 v10, 27, v7
	v_subrev_u32_e32 v13, 28, v12
	v_and_b32_e32 v6, 0x80000000, v7
	v_and_b32_e32 v10, 15, v10
	v_bfe_u32 v11, v7, 27, 4
	v_lshlrev_b32_sdwa v7, v13, v7 dst_sel:DWORD dst_unused:UNUSED_PAD src0_sel:DWORD src1_sel:BYTE_3
	v_sub_u32_e32 v12, 29, v12
	v_and_b32_e32 v7, 7, v7
	v_cmp_eq_u16_e32 vcc, 0, v10
	v_cndmask_b32_e32 v2, v2, v7, vcc
	v_cndmask_b32_e32 v7, v11, v12, vcc
	v_mov_b32_e32 v10, 0x3b800000
	v_lshlrev_b32_e32 v2, 20, v2
	v_lshl_add_u32 v7, v7, 23, v10
	v_or3_b32 v2, v6, v7, v2
.LBB12_188:
	s_or_b64 exec, exec, s[6:7]
	s_movk_i32 s4, 0x7f
	v_cmp_gt_i16_sdwa s[6:7], v3, s4 src0_sel:BYTE_3 src1_sel:DWORD
	s_mov_b64 s[4:5], 0
                                        ; implicit-def: $sgpr10
	s_and_saveexec_b64 s[8:9], s[6:7]
	s_xor_b64 s[6:7], exec, s[8:9]
	s_cbranch_execnz .LBB12_2237
; %bb.189:
	s_or_saveexec_b64 s[6:7], s[6:7]
	v_mov_b32_e32 v6, s10
	s_xor_b64 exec, exec, s[6:7]
	s_cbranch_execnz .LBB12_2240
.LBB12_190:
	s_or_b64 exec, exec, s[6:7]
	s_and_saveexec_b64 s[6:7], s[4:5]
	s_cbranch_execz .LBB12_192
.LBB12_191:
	v_bfe_u32 v6, v3, 24, 3
	v_ffbh_u32_e32 v12, v6
	v_min_u32_e32 v12, 32, v12
	v_lshrrev_b32_e32 v10, 27, v3
	v_subrev_u32_e32 v13, 28, v12
	v_and_b32_e32 v7, 0x80000000, v3
	v_and_b32_e32 v10, 15, v10
	v_bfe_u32 v11, v3, 27, 4
	v_lshlrev_b32_sdwa v3, v13, v3 dst_sel:DWORD dst_unused:UNUSED_PAD src0_sel:DWORD src1_sel:BYTE_3
	v_sub_u32_e32 v12, 29, v12
	v_and_b32_e32 v3, 7, v3
	v_cmp_eq_u16_e32 vcc, 0, v10
	v_cndmask_b32_e32 v3, v6, v3, vcc
	v_cndmask_b32_e32 v6, v11, v12, vcc
	v_mov_b32_e32 v10, 0x3b800000
	v_lshlrev_b32_e32 v3, 20, v3
	v_lshl_add_u32 v6, v6, 23, v10
	v_or3_b32 v6, v7, v6, v3
.LBB12_192:
	s_or_b64 exec, exec, s[6:7]
	s_nop 0
	v_mfma_f32_16x16x4f32 a[0:3], v2, v6, a[0:3]
	s_movk_i32 s4, 0x7f
	v_cmp_gt_i16_sdwa s[6:7], v8, s4 src0_sel:BYTE_0 src1_sel:DWORD
	s_mov_b64 s[4:5], 0
                                        ; implicit-def: $sgpr10
	s_and_saveexec_b64 s[8:9], s[6:7]
	s_xor_b64 s[6:7], exec, s[8:9]
	s_cbranch_execnz .LBB12_2241
; %bb.193:
	s_or_saveexec_b64 s[6:7], s[6:7]
	v_mov_b32_e32 v2, s10
	s_xor_b64 exec, exec, s[6:7]
	s_cbranch_execnz .LBB12_2244
.LBB12_194:
	s_or_b64 exec, exec, s[6:7]
	s_and_saveexec_b64 s[6:7], s[4:5]
	s_cbranch_execz .LBB12_196
.LBB12_195:
	v_and_b32_e32 v2, 7, v8
	v_ffbh_u32_e32 v6, v2
	v_min_u32_e32 v6, 32, v6
	v_lshrrev_b16_e32 v3, 3, v8
	v_subrev_u32_e32 v7, 28, v6
	v_and_b32_e32 v3, 15, v3
	v_lshlrev_b32_e32 v7, v7, v8
	v_sub_u32_e32 v6, 29, v6
	v_and_b32_e32 v7, 7, v7
	v_cmp_eq_u16_e32 vcc, 0, v3
	v_cndmask_b32_e32 v2, v2, v7, vcc
	v_cndmask_b32_e32 v3, v3, v6, vcc
	v_lshlrev_b32_e32 v6, 24, v8
	v_mov_b32_e32 v7, 0x3b800000
	v_lshlrev_b32_e32 v2, 20, v2
	v_and_b32_e32 v6, 0x80000000, v6
	v_lshl_add_u32 v3, v3, 23, v7
	v_or3_b32 v2, v6, v3, v2
.LBB12_196:
	s_or_b64 exec, exec, s[6:7]
	s_movk_i32 s4, 0x7f
	v_cmp_gt_i16_sdwa s[6:7], v4, s4 src0_sel:BYTE_0 src1_sel:DWORD
	s_mov_b64 s[4:5], 0
                                        ; implicit-def: $sgpr10
	s_and_saveexec_b64 s[8:9], s[6:7]
	s_xor_b64 s[6:7], exec, s[8:9]
	s_cbranch_execnz .LBB12_2245
; %bb.197:
	s_or_saveexec_b64 s[6:7], s[6:7]
	v_mov_b32_e32 v3, s10
	s_xor_b64 exec, exec, s[6:7]
	s_cbranch_execnz .LBB12_2248
.LBB12_198:
	s_or_b64 exec, exec, s[6:7]
	s_and_saveexec_b64 s[6:7], s[4:5]
	s_cbranch_execz .LBB12_200
.LBB12_199:
	v_and_b32_e32 v3, 7, v4
	v_ffbh_u32_e32 v7, v3
	v_min_u32_e32 v7, 32, v7
	v_lshrrev_b16_e32 v6, 3, v4
	v_subrev_u32_e32 v10, 28, v7
	v_and_b32_e32 v6, 15, v6
	v_lshlrev_b32_e32 v10, v10, v4
	v_sub_u32_e32 v7, 29, v7
	v_and_b32_e32 v10, 7, v10
	v_cmp_eq_u16_e32 vcc, 0, v6
	v_cndmask_b32_e32 v3, v3, v10, vcc
	v_cndmask_b32_e32 v6, v6, v7, vcc
	v_lshlrev_b32_e32 v7, 24, v4
	v_mov_b32_e32 v10, 0x3b800000
	v_lshlrev_b32_e32 v3, 20, v3
	v_and_b32_e32 v7, 0x80000000, v7
	v_lshl_add_u32 v6, v6, 23, v10
	v_or3_b32 v3, v7, v6, v3
.LBB12_200:
	s_or_b64 exec, exec, s[6:7]
	s_nop 0
	v_mfma_f32_16x16x4f32 a[0:3], v2, v3, a[0:3]
	v_lshrrev_b32_e32 v3, 8, v8
	s_movk_i32 s4, 0x7f
	v_cmp_gt_i16_sdwa s[6:7], v3, s4 src0_sel:BYTE_0 src1_sel:DWORD
	s_mov_b64 s[4:5], 0
                                        ; implicit-def: $sgpr10
	s_and_saveexec_b64 s[8:9], s[6:7]
	s_xor_b64 s[6:7], exec, s[8:9]
	s_cbranch_execnz .LBB12_2249
; %bb.201:
	s_or_saveexec_b64 s[6:7], s[6:7]
	v_mov_b32_e32 v2, s10
	s_xor_b64 exec, exec, s[6:7]
	s_cbranch_execnz .LBB12_2252
.LBB12_202:
	s_or_b64 exec, exec, s[6:7]
	s_and_saveexec_b64 s[6:7], s[4:5]
	s_cbranch_execz .LBB12_204
.LBB12_203:
	v_bfe_u32 v2, v8, 8, 3
	v_ffbh_u32_e32 v7, v2
	v_min_u32_e32 v7, 32, v7
	v_lshrrev_b16_e32 v6, 3, v3
	v_subrev_u32_e32 v10, 28, v7
	v_and_b32_e32 v6, 15, v6
	v_lshlrev_b32_e32 v3, v10, v3
	v_sub_u32_e32 v7, 29, v7
	v_and_b32_e32 v3, 7, v3
	v_cmp_eq_u16_e32 vcc, 0, v6
	v_cndmask_b32_e32 v2, v2, v3, vcc
	v_cndmask_b32_e32 v3, v6, v7, vcc
	v_lshlrev_b32_e32 v6, 16, v8
	v_mov_b32_e32 v7, 0x3b800000
	v_lshlrev_b32_e32 v2, 20, v2
	v_and_b32_e32 v6, 0x80000000, v6
	v_lshl_add_u32 v3, v3, 23, v7
	v_or3_b32 v2, v6, v3, v2
.LBB12_204:
	s_or_b64 exec, exec, s[6:7]
	v_lshrrev_b32_e32 v3, 8, v4
	s_movk_i32 s4, 0x7f
	v_cmp_gt_i16_sdwa s[6:7], v3, s4 src0_sel:BYTE_0 src1_sel:DWORD
	s_mov_b64 s[4:5], 0
                                        ; implicit-def: $sgpr10
	s_and_saveexec_b64 s[8:9], s[6:7]
	s_xor_b64 s[6:7], exec, s[8:9]
	s_cbranch_execnz .LBB12_2253
; %bb.205:
	s_or_saveexec_b64 s[6:7], s[6:7]
	v_mov_b32_e32 v6, s10
	s_xor_b64 exec, exec, s[6:7]
	s_cbranch_execnz .LBB12_2256
.LBB12_206:
	s_or_b64 exec, exec, s[6:7]
	s_and_saveexec_b64 s[6:7], s[4:5]
	s_cbranch_execz .LBB12_208
.LBB12_207:
	v_bfe_u32 v6, v4, 8, 3
	v_ffbh_u32_e32 v10, v6
	v_min_u32_e32 v10, 32, v10
	v_lshrrev_b16_e32 v7, 3, v3
	v_subrev_u32_e32 v11, 28, v10
	v_and_b32_e32 v7, 15, v7
	v_lshlrev_b32_e32 v3, v11, v3
	v_sub_u32_e32 v10, 29, v10
	v_and_b32_e32 v3, 7, v3
	v_cmp_eq_u16_e32 vcc, 0, v7
	v_cndmask_b32_e32 v3, v6, v3, vcc
	v_cndmask_b32_e32 v6, v7, v10, vcc
	v_lshlrev_b32_e32 v7, 16, v4
	v_mov_b32_e32 v10, 0x3b800000
	v_lshlrev_b32_e32 v3, 20, v3
	v_and_b32_e32 v7, 0x80000000, v7
	v_lshl_add_u32 v6, v6, 23, v10
	v_or3_b32 v6, v7, v6, v3
.LBB12_208:
	s_or_b64 exec, exec, s[6:7]
	s_nop 0
	v_mfma_f32_16x16x4f32 a[0:3], v2, v6, a[0:3]
	s_movk_i32 s4, 0xff
	v_and_b32_sdwa v3, v8, s4 dst_sel:DWORD dst_unused:UNUSED_PAD src0_sel:WORD_1 src1_sel:DWORD
	s_movk_i32 s4, 0x7f
	v_cmp_lt_i16_e32 vcc, s4, v3
	s_mov_b64 s[4:5], 0
                                        ; implicit-def: $sgpr10
	s_and_saveexec_b64 s[6:7], vcc
	s_xor_b64 s[6:7], exec, s[6:7]
	s_cbranch_execnz .LBB12_2257
; %bb.209:
	s_or_saveexec_b64 s[6:7], s[6:7]
	v_mov_b32_e32 v2, s10
	s_xor_b64 exec, exec, s[6:7]
	s_cbranch_execnz .LBB12_2260
.LBB12_210:
	s_or_b64 exec, exec, s[6:7]
	s_and_saveexec_b64 s[6:7], s[4:5]
	s_cbranch_execz .LBB12_212
.LBB12_211:
	v_bfe_u32 v2, v8, 16, 3
	v_ffbh_u32_e32 v7, v2
	v_min_u32_e32 v7, 32, v7
	v_lshrrev_b32_e32 v3, 19, v8
	v_subrev_u32_e32 v10, 28, v7
	v_and_b32_e32 v3, 15, v3
	v_lshlrev_b32_sdwa v10, v10, v8 dst_sel:DWORD dst_unused:UNUSED_PAD src0_sel:DWORD src1_sel:WORD_1
	v_bfe_u32 v6, v8, 19, 4
	v_sub_u32_e32 v7, 29, v7
	v_and_b32_e32 v10, 7, v10
	v_cmp_eq_u16_e32 vcc, 0, v3
	v_cndmask_b32_e32 v2, v2, v10, vcc
	v_cndmask_b32_e32 v3, v6, v7, vcc
	v_lshlrev_b32_e32 v6, 8, v8
	v_mov_b32_e32 v7, 0x3b800000
	v_lshlrev_b32_e32 v2, 20, v2
	v_and_b32_e32 v6, 0x80000000, v6
	v_lshl_add_u32 v3, v3, 23, v7
	v_or3_b32 v2, v6, v3, v2
.LBB12_212:
	s_or_b64 exec, exec, s[6:7]
	s_movk_i32 s4, 0xff
	v_and_b32_sdwa v3, v4, s4 dst_sel:DWORD dst_unused:UNUSED_PAD src0_sel:WORD_1 src1_sel:DWORD
	s_movk_i32 s4, 0x7f
	v_cmp_lt_i16_e32 vcc, s4, v3
	s_mov_b64 s[4:5], 0
                                        ; implicit-def: $sgpr10
	s_and_saveexec_b64 s[6:7], vcc
	s_xor_b64 s[6:7], exec, s[6:7]
	s_cbranch_execnz .LBB12_2261
; %bb.213:
	s_or_saveexec_b64 s[6:7], s[6:7]
	v_mov_b32_e32 v6, s10
	s_xor_b64 exec, exec, s[6:7]
	s_cbranch_execnz .LBB12_2264
.LBB12_214:
	s_or_b64 exec, exec, s[6:7]
	s_and_saveexec_b64 s[6:7], s[4:5]
	s_cbranch_execz .LBB12_216
.LBB12_215:
	v_bfe_u32 v3, v4, 16, 3
	v_ffbh_u32_e32 v10, v3
	v_min_u32_e32 v10, 32, v10
	v_lshrrev_b32_e32 v6, 19, v4
	v_subrev_u32_e32 v11, 28, v10
	v_and_b32_e32 v6, 15, v6
	v_lshlrev_b32_sdwa v11, v11, v4 dst_sel:DWORD dst_unused:UNUSED_PAD src0_sel:DWORD src1_sel:WORD_1
	v_bfe_u32 v7, v4, 19, 4
	v_sub_u32_e32 v10, 29, v10
	v_and_b32_e32 v11, 7, v11
	v_cmp_eq_u16_e32 vcc, 0, v6
	v_cndmask_b32_e32 v3, v3, v11, vcc
	v_cndmask_b32_e32 v6, v7, v10, vcc
	v_lshlrev_b32_e32 v7, 8, v4
	v_mov_b32_e32 v10, 0x3b800000
	v_lshlrev_b32_e32 v3, 20, v3
	v_and_b32_e32 v7, 0x80000000, v7
	v_lshl_add_u32 v6, v6, 23, v10
	v_or3_b32 v6, v7, v6, v3
.LBB12_216:
	s_or_b64 exec, exec, s[6:7]
	s_nop 0
	v_mfma_f32_16x16x4f32 a[0:3], v2, v6, a[0:3]
	s_movk_i32 s4, 0x7f
	v_cmp_gt_i16_sdwa s[6:7], v8, s4 src0_sel:BYTE_3 src1_sel:DWORD
	s_mov_b64 s[4:5], 0
                                        ; implicit-def: $sgpr10
	s_and_saveexec_b64 s[8:9], s[6:7]
	s_xor_b64 s[6:7], exec, s[8:9]
	s_cbranch_execnz .LBB12_2265
; %bb.217:
	s_or_saveexec_b64 s[6:7], s[6:7]
	v_mov_b32_e32 v2, s10
	s_xor_b64 exec, exec, s[6:7]
	s_cbranch_execnz .LBB12_2268
.LBB12_218:
	s_or_b64 exec, exec, s[6:7]
	s_and_saveexec_b64 s[6:7], s[4:5]
	s_cbranch_execz .LBB12_220
.LBB12_219:
	v_bfe_u32 v2, v8, 24, 3
	v_ffbh_u32_e32 v10, v2
	v_min_u32_e32 v10, 32, v10
	v_lshrrev_b32_e32 v6, 27, v8
	v_subrev_u32_e32 v11, 28, v10
	v_and_b32_e32 v3, 0x80000000, v8
	v_and_b32_e32 v6, 15, v6
	v_bfe_u32 v7, v8, 27, 4
	v_lshlrev_b32_sdwa v8, v11, v8 dst_sel:DWORD dst_unused:UNUSED_PAD src0_sel:DWORD src1_sel:BYTE_3
	v_sub_u32_e32 v10, 29, v10
	v_and_b32_e32 v8, 7, v8
	v_cmp_eq_u16_e32 vcc, 0, v6
	v_cndmask_b32_e32 v2, v2, v8, vcc
	v_cndmask_b32_e32 v6, v7, v10, vcc
	v_mov_b32_e32 v7, 0x3b800000
	v_lshlrev_b32_e32 v2, 20, v2
	v_lshl_add_u32 v6, v6, 23, v7
	v_or3_b32 v2, v3, v6, v2
.LBB12_220:
	s_or_b64 exec, exec, s[6:7]
	s_movk_i32 s4, 0x7f
	v_cmp_gt_i16_sdwa s[6:7], v4, s4 src0_sel:BYTE_3 src1_sel:DWORD
	s_mov_b64 s[4:5], 0
                                        ; implicit-def: $sgpr10
	s_and_saveexec_b64 s[8:9], s[6:7]
	s_xor_b64 s[6:7], exec, s[8:9]
	s_cbranch_execnz .LBB12_2269
; %bb.221:
	s_or_saveexec_b64 s[6:7], s[6:7]
	v_mov_b32_e32 v3, s10
	s_xor_b64 exec, exec, s[6:7]
	s_cbranch_execnz .LBB12_2272
.LBB12_222:
	s_or_b64 exec, exec, s[6:7]
	s_and_saveexec_b64 s[6:7], s[4:5]
	s_cbranch_execz .LBB12_224
.LBB12_223:
	v_bfe_u32 v3, v4, 24, 3
	v_ffbh_u32_e32 v10, v3
	v_min_u32_e32 v10, 32, v10
	v_lshrrev_b32_e32 v7, 27, v4
	v_subrev_u32_e32 v11, 28, v10
	v_and_b32_e32 v6, 0x80000000, v4
	v_and_b32_e32 v7, 15, v7
	v_bfe_u32 v8, v4, 27, 4
	v_lshlrev_b32_sdwa v4, v11, v4 dst_sel:DWORD dst_unused:UNUSED_PAD src0_sel:DWORD src1_sel:BYTE_3
	v_sub_u32_e32 v10, 29, v10
	v_and_b32_e32 v4, 7, v4
	v_cmp_eq_u16_e32 vcc, 0, v7
	v_cndmask_b32_e32 v3, v3, v4, vcc
	v_cndmask_b32_e32 v4, v8, v10, vcc
	v_mov_b32_e32 v7, 0x3b800000
	v_lshlrev_b32_e32 v3, 20, v3
	v_lshl_add_u32 v4, v4, 23, v7
	v_or3_b32 v3, v6, v4, v3
.LBB12_224:
	s_or_b64 exec, exec, s[6:7]
	s_nop 0
	v_mfma_f32_16x16x4f32 a[0:3], v2, v3, a[0:3]
	s_movk_i32 s4, 0x7f
	v_cmp_gt_i16_sdwa s[6:7], v9, s4 src0_sel:BYTE_0 src1_sel:DWORD
	s_mov_b64 s[4:5], 0
                                        ; implicit-def: $sgpr10
	s_and_saveexec_b64 s[8:9], s[6:7]
	s_xor_b64 s[6:7], exec, s[8:9]
	s_cbranch_execnz .LBB12_2273
; %bb.225:
	s_or_saveexec_b64 s[6:7], s[6:7]
	v_mov_b32_e32 v2, s10
	s_xor_b64 exec, exec, s[6:7]
	s_cbranch_execnz .LBB12_2276
.LBB12_226:
	s_or_b64 exec, exec, s[6:7]
	s_and_saveexec_b64 s[6:7], s[4:5]
	s_cbranch_execz .LBB12_228
.LBB12_227:
	v_mov_b32_e32 v2, 8
	v_and_b32_e32 v3, 7, v9
	v_lshrrev_b32_sdwa v2, v2, v9 dst_sel:BYTE_1 dst_unused:UNUSED_PAD src0_sel:DWORD src1_sel:DWORD
	v_ffbh_u32_e32 v4, v3
	v_or_b32_sdwa v2, v9, v2 dst_sel:DWORD dst_unused:UNUSED_PAD src0_sel:BYTE_0 src1_sel:DWORD
	v_min_u32_e32 v4, 32, v4
	v_lshrrev_b16_e32 v2, 3, v2
	v_subrev_u32_e32 v6, 28, v4
	v_and_b32_e32 v2, 15, v2
	v_lshlrev_b32_e32 v6, v6, v9
	v_sub_u32_e32 v4, 29, v4
	v_and_b32_e32 v6, 7, v6
	v_cmp_eq_u16_e32 vcc, 0, v2
	v_cndmask_b32_e32 v3, v3, v6, vcc
	v_cndmask_b32_e32 v2, v2, v4, vcc
	v_lshlrev_b32_e32 v4, 24, v9
	v_mov_b32_e32 v6, 0x3b800000
	v_lshlrev_b32_e32 v3, 20, v3
	v_and_b32_e32 v4, 0x80000000, v4
	v_lshl_add_u32 v2, v2, 23, v6
	v_or3_b32 v2, v4, v2, v3
.LBB12_228:
	s_or_b64 exec, exec, s[6:7]
	s_movk_i32 s4, 0x7f
	v_cmp_gt_i16_sdwa s[6:7], v5, s4 src0_sel:BYTE_0 src1_sel:DWORD
	s_mov_b64 s[4:5], 0
                                        ; implicit-def: $sgpr10
	s_and_saveexec_b64 s[8:9], s[6:7]
	s_xor_b64 s[6:7], exec, s[8:9]
	s_cbranch_execnz .LBB12_2277
; %bb.229:
	s_or_saveexec_b64 s[6:7], s[6:7]
	v_mov_b32_e32 v3, s10
	s_xor_b64 exec, exec, s[6:7]
	s_cbranch_execnz .LBB12_2280
.LBB12_230:
	s_or_b64 exec, exec, s[6:7]
	s_and_saveexec_b64 s[6:7], s[4:5]
	s_cbranch_execz .LBB12_232
.LBB12_231:
	v_mov_b32_e32 v3, 8
	v_and_b32_e32 v4, 7, v5
	v_lshrrev_b32_sdwa v3, v3, v5 dst_sel:BYTE_1 dst_unused:UNUSED_PAD src0_sel:DWORD src1_sel:DWORD
	v_ffbh_u32_e32 v6, v4
	v_or_b32_sdwa v3, v5, v3 dst_sel:DWORD dst_unused:UNUSED_PAD src0_sel:BYTE_0 src1_sel:DWORD
	v_min_u32_e32 v6, 32, v6
	v_lshrrev_b16_e32 v3, 3, v3
	v_subrev_u32_e32 v7, 28, v6
	v_and_b32_e32 v3, 15, v3
	v_lshlrev_b32_e32 v7, v7, v5
	v_sub_u32_e32 v6, 29, v6
	v_and_b32_e32 v7, 7, v7
	v_cmp_eq_u16_e32 vcc, 0, v3
	v_cndmask_b32_e32 v4, v4, v7, vcc
	v_cndmask_b32_e32 v3, v3, v6, vcc
	v_lshlrev_b32_e32 v6, 24, v5
	v_mov_b32_e32 v7, 0x3b800000
	v_lshlrev_b32_e32 v4, 20, v4
	v_and_b32_e32 v6, 0x80000000, v6
	v_lshl_add_u32 v3, v3, 23, v7
	v_or3_b32 v3, v6, v3, v4
.LBB12_232:
	s_or_b64 exec, exec, s[6:7]
	s_nop 0
	v_mfma_f32_16x16x4f32 a[0:3], v2, v3, a[0:3]
	v_lshrrev_b32_e32 v3, 8, v9
	s_movk_i32 s4, 0x7f
	v_cmp_gt_i16_sdwa s[6:7], v3, s4 src0_sel:BYTE_0 src1_sel:DWORD
	s_mov_b64 s[4:5], 0
                                        ; implicit-def: $sgpr10
	s_and_saveexec_b64 s[8:9], s[6:7]
	s_xor_b64 s[6:7], exec, s[8:9]
	s_cbranch_execnz .LBB12_2281
; %bb.233:
	s_or_saveexec_b64 s[6:7], s[6:7]
	v_mov_b32_e32 v2, s10
	s_xor_b64 exec, exec, s[6:7]
	s_cbranch_execnz .LBB12_2284
.LBB12_234:
	s_or_b64 exec, exec, s[6:7]
	s_and_saveexec_b64 s[6:7], s[4:5]
	s_cbranch_execz .LBB12_236
.LBB12_235:
	v_bfe_u32 v2, v9, 8, 3
	v_ffbh_u32_e32 v6, v2
	v_min_u32_e32 v6, 32, v6
	v_lshrrev_b16_e32 v4, 3, v3
	v_subrev_u32_e32 v7, 28, v6
	v_and_b32_e32 v4, 15, v4
	v_lshlrev_b32_e32 v3, v7, v3
	v_sub_u32_e32 v6, 29, v6
	v_and_b32_e32 v3, 7, v3
	v_cmp_eq_u16_e32 vcc, 0, v4
	v_cndmask_b32_e32 v2, v2, v3, vcc
	v_cndmask_b32_e32 v3, v4, v6, vcc
	v_lshlrev_b32_e32 v4, 16, v9
	v_mov_b32_e32 v6, 0x3b800000
	v_lshlrev_b32_e32 v2, 20, v2
	v_and_b32_e32 v4, 0x80000000, v4
	v_lshl_add_u32 v3, v3, 23, v6
	v_or3_b32 v2, v4, v3, v2
.LBB12_236:
	s_or_b64 exec, exec, s[6:7]
	v_lshrrev_b32_e32 v3, 8, v5
	s_movk_i32 s4, 0x7f
	v_cmp_gt_i16_sdwa s[6:7], v3, s4 src0_sel:BYTE_0 src1_sel:DWORD
	s_mov_b64 s[4:5], 0
                                        ; implicit-def: $sgpr10
	s_and_saveexec_b64 s[8:9], s[6:7]
	s_xor_b64 s[6:7], exec, s[8:9]
	s_cbranch_execnz .LBB12_2285
; %bb.237:
	s_or_saveexec_b64 s[6:7], s[6:7]
	v_mov_b32_e32 v4, s10
	s_xor_b64 exec, exec, s[6:7]
	s_cbranch_execnz .LBB12_2288
.LBB12_238:
	s_or_b64 exec, exec, s[6:7]
	s_and_saveexec_b64 s[6:7], s[4:5]
	s_cbranch_execz .LBB12_240
.LBB12_239:
	v_bfe_u32 v4, v5, 8, 3
	v_ffbh_u32_e32 v7, v4
	v_min_u32_e32 v7, 32, v7
	v_lshrrev_b16_e32 v6, 3, v3
	v_subrev_u32_e32 v8, 28, v7
	v_and_b32_e32 v6, 15, v6
	v_lshlrev_b32_e32 v3, v8, v3
	v_sub_u32_e32 v7, 29, v7
	v_and_b32_e32 v3, 7, v3
	v_cmp_eq_u16_e32 vcc, 0, v6
	v_cndmask_b32_e32 v3, v4, v3, vcc
	v_cndmask_b32_e32 v4, v6, v7, vcc
	v_lshlrev_b32_e32 v6, 16, v5
	v_mov_b32_e32 v7, 0x3b800000
	v_lshlrev_b32_e32 v3, 20, v3
	v_and_b32_e32 v6, 0x80000000, v6
	v_lshl_add_u32 v4, v4, 23, v7
	v_or3_b32 v4, v6, v4, v3
.LBB12_240:
	s_or_b64 exec, exec, s[6:7]
	s_nop 0
	v_mfma_f32_16x16x4f32 a[0:3], v2, v4, a[0:3]
	s_movk_i32 s4, 0xff
	v_and_b32_sdwa v3, v9, s4 dst_sel:DWORD dst_unused:UNUSED_PAD src0_sel:WORD_1 src1_sel:DWORD
	s_movk_i32 s4, 0x7f
	v_cmp_lt_i16_e32 vcc, s4, v3
	s_mov_b64 s[4:5], 0
                                        ; implicit-def: $sgpr10
	s_and_saveexec_b64 s[6:7], vcc
	s_xor_b64 s[6:7], exec, s[6:7]
	s_cbranch_execnz .LBB12_2289
; %bb.241:
	s_or_saveexec_b64 s[6:7], s[6:7]
	v_mov_b32_e32 v2, s10
	s_xor_b64 exec, exec, s[6:7]
	s_cbranch_execnz .LBB12_2292
.LBB12_242:
	s_or_b64 exec, exec, s[6:7]
	s_and_saveexec_b64 s[6:7], s[4:5]
	s_cbranch_execz .LBB12_244
.LBB12_243:
	v_bfe_u32 v2, v9, 16, 3
	v_ffbh_u32_e32 v6, v2
	v_min_u32_e32 v6, 32, v6
	v_lshrrev_b32_e32 v3, 19, v9
	v_subrev_u32_e32 v7, 28, v6
	v_and_b32_e32 v3, 15, v3
	v_lshlrev_b32_sdwa v7, v7, v9 dst_sel:DWORD dst_unused:UNUSED_PAD src0_sel:DWORD src1_sel:WORD_1
	v_bfe_u32 v4, v9, 19, 4
	v_sub_u32_e32 v6, 29, v6
	v_and_b32_e32 v7, 7, v7
	v_cmp_eq_u16_e32 vcc, 0, v3
	v_cndmask_b32_e32 v2, v2, v7, vcc
	v_cndmask_b32_e32 v3, v4, v6, vcc
	v_lshlrev_b32_e32 v4, 8, v9
	v_mov_b32_e32 v6, 0x3b800000
	v_lshlrev_b32_e32 v2, 20, v2
	v_and_b32_e32 v4, 0x80000000, v4
	v_lshl_add_u32 v3, v3, 23, v6
	v_or3_b32 v2, v4, v3, v2
.LBB12_244:
	s_or_b64 exec, exec, s[6:7]
	s_movk_i32 s4, 0xff
	v_and_b32_sdwa v3, v5, s4 dst_sel:DWORD dst_unused:UNUSED_PAD src0_sel:WORD_1 src1_sel:DWORD
	s_movk_i32 s4, 0x7f
	v_cmp_lt_i16_e32 vcc, s4, v3
	s_mov_b64 s[4:5], 0
                                        ; implicit-def: $sgpr10
	s_and_saveexec_b64 s[6:7], vcc
	s_xor_b64 s[6:7], exec, s[6:7]
	s_cbranch_execnz .LBB12_2293
; %bb.245:
	s_or_saveexec_b64 s[6:7], s[6:7]
	v_mov_b32_e32 v4, s10
	s_xor_b64 exec, exec, s[6:7]
	s_cbranch_execnz .LBB12_2296
.LBB12_246:
	s_or_b64 exec, exec, s[6:7]
	s_and_saveexec_b64 s[6:7], s[4:5]
	s_cbranch_execz .LBB12_248
.LBB12_247:
	v_bfe_u32 v3, v5, 16, 3
	v_ffbh_u32_e32 v7, v3
	v_min_u32_e32 v7, 32, v7
	v_lshrrev_b32_e32 v4, 19, v5
	v_subrev_u32_e32 v8, 28, v7
	v_and_b32_e32 v4, 15, v4
	v_lshlrev_b32_sdwa v8, v8, v5 dst_sel:DWORD dst_unused:UNUSED_PAD src0_sel:DWORD src1_sel:WORD_1
	v_bfe_u32 v6, v5, 19, 4
	v_sub_u32_e32 v7, 29, v7
	v_and_b32_e32 v8, 7, v8
	v_cmp_eq_u16_e32 vcc, 0, v4
	v_cndmask_b32_e32 v3, v3, v8, vcc
	v_cndmask_b32_e32 v4, v6, v7, vcc
	v_lshlrev_b32_e32 v6, 8, v5
	v_mov_b32_e32 v7, 0x3b800000
	v_lshlrev_b32_e32 v3, 20, v3
	v_and_b32_e32 v6, 0x80000000, v6
	v_lshl_add_u32 v4, v4, 23, v7
	v_or3_b32 v4, v6, v4, v3
.LBB12_248:
	s_or_b64 exec, exec, s[6:7]
	s_nop 0
	v_mfma_f32_16x16x4f32 a[0:3], v2, v4, a[0:3]
	s_movk_i32 s4, 0x7f
	v_cmp_gt_i16_sdwa s[6:7], v9, s4 src0_sel:BYTE_3 src1_sel:DWORD
	s_mov_b64 s[4:5], 0
                                        ; implicit-def: $sgpr10
	s_and_saveexec_b64 s[8:9], s[6:7]
	s_xor_b64 s[6:7], exec, s[8:9]
	s_cbranch_execnz .LBB12_2297
; %bb.249:
	s_or_saveexec_b64 s[6:7], s[6:7]
	v_mov_b32_e32 v2, s10
	s_xor_b64 exec, exec, s[6:7]
	s_cbranch_execnz .LBB12_2300
.LBB12_250:
	s_or_b64 exec, exec, s[6:7]
	s_and_saveexec_b64 s[6:7], s[4:5]
	s_cbranch_execz .LBB12_252
.LBB12_251:
	v_bfe_u32 v2, v9, 24, 3
	v_ffbh_u32_e32 v7, v2
	v_min_u32_e32 v7, 32, v7
	v_lshrrev_b32_e32 v4, 27, v9
	v_subrev_u32_e32 v8, 28, v7
	v_and_b32_e32 v4, 15, v4
	v_lshlrev_b32_sdwa v8, v8, v9 dst_sel:DWORD dst_unused:UNUSED_PAD src0_sel:DWORD src1_sel:BYTE_3
	v_bfe_u32 v6, v9, 27, 4
	v_sub_u32_e32 v7, 29, v7
	v_and_b32_e32 v8, 7, v8
	v_cmp_eq_u16_e32 vcc, 0, v4
	v_cndmask_b32_e32 v2, v2, v8, vcc
	v_cndmask_b32_e32 v4, v6, v7, vcc
	v_mov_b32_e32 v6, 0x3b800000
	v_and_b32_e32 v3, 0x80000000, v9
	v_lshlrev_b32_e32 v2, 20, v2
	v_lshl_add_u32 v4, v4, 23, v6
	v_or3_b32 v2, v3, v4, v2
.LBB12_252:
	s_or_b64 exec, exec, s[6:7]
	s_movk_i32 s4, 0x7f
	v_cmp_gt_i16_sdwa s[6:7], v5, s4 src0_sel:BYTE_3 src1_sel:DWORD
	s_mov_b64 s[4:5], 0
                                        ; implicit-def: $sgpr10
	s_and_saveexec_b64 s[8:9], s[6:7]
	s_xor_b64 s[6:7], exec, s[8:9]
	s_cbranch_execnz .LBB12_2301
; %bb.253:
	s_or_saveexec_b64 s[6:7], s[6:7]
	v_mov_b32_e32 v3, s10
	s_xor_b64 exec, exec, s[6:7]
	s_cbranch_execnz .LBB12_2304
.LBB12_254:
	s_or_b64 exec, exec, s[6:7]
	s_and_saveexec_b64 s[6:7], s[4:5]
	s_cbranch_execz .LBB12_256
.LBB12_255:
	v_bfe_u32 v3, v5, 24, 3
	v_ffbh_u32_e32 v8, v3
	v_min_u32_e32 v8, 32, v8
	v_lshrrev_b32_e32 v6, 27, v5
	v_subrev_u32_e32 v9, 28, v8
	v_and_b32_e32 v4, 0x80000000, v5
	v_and_b32_e32 v6, 15, v6
	v_bfe_u32 v7, v5, 27, 4
	v_lshlrev_b32_sdwa v5, v9, v5 dst_sel:DWORD dst_unused:UNUSED_PAD src0_sel:DWORD src1_sel:BYTE_3
	v_sub_u32_e32 v8, 29, v8
	v_and_b32_e32 v5, 7, v5
	v_cmp_eq_u16_e32 vcc, 0, v6
	v_cndmask_b32_e32 v3, v3, v5, vcc
	v_cndmask_b32_e32 v5, v7, v8, vcc
	v_mov_b32_e32 v6, 0x3b800000
	v_lshlrev_b32_e32 v3, 20, v3
	v_lshl_add_u32 v5, v5, 23, v6
	v_or3_b32 v3, v4, v5, v3
.LBB12_256:
	s_or_b64 exec, exec, s[6:7]
	s_nop 0
	v_mfma_f32_16x16x4f32 a[0:3], v2, v3, a[0:3]
	s_movk_i32 s4, 0x7f
                                        ; implicit-def: $sgpr10
	s_nop 7
	s_nop 1
	flat_store_dwordx4 v[18:19], a[0:3] offset:256
	flat_load_dwordx4 v[20:23], v[0:1] offset:16
	s_nop 0
	flat_load_dwordx2 v[18:19], v[0:1] offset:32
	s_waitcnt vmcnt(0) lgkmcnt(0)
	flat_load_dwordx4 v[14:17], v[20:21]
	flat_load_dwordx4 v[6:9], v[20:21] offset:16
	flat_load_dwordx4 v[10:13], v[22:23] offset:288
	;; [unrolled: 1-line block ×3, first 2 shown]
	s_waitcnt vmcnt(0) lgkmcnt(0)
	v_cmp_gt_i16_sdwa s[6:7], v14, s4 src0_sel:BYTE_0 src1_sel:DWORD
	s_mov_b64 s[4:5], 0
	s_and_saveexec_b64 s[8:9], s[6:7]
	s_xor_b64 s[6:7], exec, s[8:9]
	s_cbranch_execnz .LBB12_2305
; %bb.257:
	s_or_saveexec_b64 s[6:7], s[6:7]
	v_mov_b32_e32 v20, s10
	s_xor_b64 exec, exec, s[6:7]
	s_cbranch_execnz .LBB12_2308
.LBB12_258:
	s_or_b64 exec, exec, s[6:7]
	s_and_saveexec_b64 s[6:7], s[4:5]
	s_cbranch_execz .LBB12_260
.LBB12_259:
	v_and_b32_e32 v20, 7, v14
	v_ffbh_u32_e32 v22, v20
	v_min_u32_e32 v22, 32, v22
	v_lshrrev_b16_e32 v21, 3, v14
	v_subrev_u32_e32 v23, 28, v22
	v_and_b32_e32 v21, 15, v21
	v_lshlrev_b32_e32 v23, v23, v14
	v_sub_u32_e32 v22, 29, v22
	v_and_b32_e32 v23, 7, v23
	v_cmp_eq_u16_e32 vcc, 0, v21
	v_cndmask_b32_e32 v20, v20, v23, vcc
	v_cndmask_b32_e32 v21, v21, v22, vcc
	v_lshlrev_b32_e32 v22, 24, v14
	v_mov_b32_e32 v23, 0x3b800000
	v_lshlrev_b32_e32 v20, 20, v20
	v_and_b32_e32 v22, 0x80000000, v22
	v_lshl_add_u32 v21, v21, 23, v23
	v_or3_b32 v20, v22, v21, v20
.LBB12_260:
	s_or_b64 exec, exec, s[6:7]
	s_movk_i32 s4, 0x7f
	v_cmp_gt_i16_sdwa s[6:7], v10, s4 src0_sel:BYTE_0 src1_sel:DWORD
	s_mov_b64 s[4:5], 0
                                        ; implicit-def: $sgpr10
	s_and_saveexec_b64 s[8:9], s[6:7]
	s_xor_b64 s[6:7], exec, s[8:9]
	s_cbranch_execnz .LBB12_2309
; %bb.261:
	s_or_saveexec_b64 s[6:7], s[6:7]
	v_mov_b32_e32 v21, s10
	s_xor_b64 exec, exec, s[6:7]
	s_cbranch_execnz .LBB12_2312
.LBB12_262:
	s_or_b64 exec, exec, s[6:7]
	s_and_saveexec_b64 s[6:7], s[4:5]
	s_cbranch_execz .LBB12_264
.LBB12_263:
	v_and_b32_e32 v21, 7, v10
	v_ffbh_u32_e32 v23, v21
	v_min_u32_e32 v23, 32, v23
	v_lshrrev_b16_e32 v22, 3, v10
	v_subrev_u32_e32 v24, 28, v23
	v_and_b32_e32 v22, 15, v22
	v_lshlrev_b32_e32 v24, v24, v10
	v_sub_u32_e32 v23, 29, v23
	v_and_b32_e32 v24, 7, v24
	v_cmp_eq_u16_e32 vcc, 0, v22
	v_cndmask_b32_e32 v21, v21, v24, vcc
	v_cndmask_b32_e32 v22, v22, v23, vcc
	v_lshlrev_b32_e32 v23, 24, v10
	v_mov_b32_e32 v24, 0x3b800000
	v_lshlrev_b32_e32 v21, 20, v21
	v_and_b32_e32 v23, 0x80000000, v23
	v_lshl_add_u32 v22, v22, 23, v24
	v_or3_b32 v21, v23, v22, v21
.LBB12_264:
	s_or_b64 exec, exec, s[6:7]
	flat_load_dwordx4 a[0:3], v[18:19] offset:272
	s_movk_i32 s4, 0x7f
                                        ; implicit-def: $sgpr10
	s_waitcnt vmcnt(0) lgkmcnt(0)
	v_mfma_f32_16x16x4f32 a[0:3], v20, v21, a[0:3]
	v_lshrrev_b32_e32 v21, 8, v14
	v_cmp_gt_i16_sdwa s[6:7], v21, s4 src0_sel:BYTE_0 src1_sel:DWORD
	s_mov_b64 s[4:5], 0
	s_and_saveexec_b64 s[8:9], s[6:7]
	s_xor_b64 s[6:7], exec, s[8:9]
	s_cbranch_execnz .LBB12_2313
; %bb.265:
	s_or_saveexec_b64 s[6:7], s[6:7]
	v_mov_b32_e32 v20, s10
	s_xor_b64 exec, exec, s[6:7]
	s_cbranch_execnz .LBB12_2316
.LBB12_266:
	s_or_b64 exec, exec, s[6:7]
	s_and_saveexec_b64 s[6:7], s[4:5]
	s_cbranch_execz .LBB12_268
.LBB12_267:
	v_bfe_u32 v20, v14, 8, 3
	v_ffbh_u32_e32 v23, v20
	v_min_u32_e32 v23, 32, v23
	v_lshrrev_b16_e32 v22, 3, v21
	v_subrev_u32_e32 v24, 28, v23
	v_and_b32_e32 v22, 15, v22
	v_lshlrev_b32_e32 v21, v24, v21
	v_sub_u32_e32 v23, 29, v23
	v_and_b32_e32 v21, 7, v21
	v_cmp_eq_u16_e32 vcc, 0, v22
	v_cndmask_b32_e32 v20, v20, v21, vcc
	v_cndmask_b32_e32 v21, v22, v23, vcc
	v_lshlrev_b32_e32 v22, 16, v14
	v_mov_b32_e32 v23, 0x3b800000
	v_lshlrev_b32_e32 v20, 20, v20
	v_and_b32_e32 v22, 0x80000000, v22
	v_lshl_add_u32 v21, v21, 23, v23
	v_or3_b32 v20, v22, v21, v20
.LBB12_268:
	s_or_b64 exec, exec, s[6:7]
	v_lshrrev_b32_e32 v21, 8, v10
	s_movk_i32 s4, 0x7f
	v_cmp_gt_i16_sdwa s[6:7], v21, s4 src0_sel:BYTE_0 src1_sel:DWORD
	s_mov_b64 s[4:5], 0
                                        ; implicit-def: $sgpr10
	s_and_saveexec_b64 s[8:9], s[6:7]
	s_xor_b64 s[6:7], exec, s[8:9]
	s_cbranch_execnz .LBB12_2317
; %bb.269:
	s_or_saveexec_b64 s[6:7], s[6:7]
	v_mov_b32_e32 v22, s10
	s_xor_b64 exec, exec, s[6:7]
	s_cbranch_execnz .LBB12_2320
.LBB12_270:
	s_or_b64 exec, exec, s[6:7]
	s_and_saveexec_b64 s[6:7], s[4:5]
	s_cbranch_execz .LBB12_272
.LBB12_271:
	v_bfe_u32 v22, v10, 8, 3
	v_ffbh_u32_e32 v24, v22
	v_min_u32_e32 v24, 32, v24
	v_lshrrev_b16_e32 v23, 3, v21
	v_subrev_u32_e32 v25, 28, v24
	v_and_b32_e32 v23, 15, v23
	v_lshlrev_b32_e32 v21, v25, v21
	v_sub_u32_e32 v24, 29, v24
	v_and_b32_e32 v21, 7, v21
	v_cmp_eq_u16_e32 vcc, 0, v23
	v_cndmask_b32_e32 v21, v22, v21, vcc
	v_cndmask_b32_e32 v22, v23, v24, vcc
	v_lshlrev_b32_e32 v23, 16, v10
	v_mov_b32_e32 v24, 0x3b800000
	v_lshlrev_b32_e32 v21, 20, v21
	v_and_b32_e32 v23, 0x80000000, v23
	v_lshl_add_u32 v22, v22, 23, v24
	v_or3_b32 v22, v23, v22, v21
.LBB12_272:
	s_or_b64 exec, exec, s[6:7]
	s_nop 0
	v_mfma_f32_16x16x4f32 a[0:3], v20, v22, a[0:3]
	s_movk_i32 s4, 0xff
	v_and_b32_sdwa v21, v14, s4 dst_sel:DWORD dst_unused:UNUSED_PAD src0_sel:WORD_1 src1_sel:DWORD
	s_movk_i32 s4, 0x7f
	v_cmp_lt_i16_e32 vcc, s4, v21
	s_mov_b64 s[4:5], 0
                                        ; implicit-def: $sgpr10
	s_and_saveexec_b64 s[6:7], vcc
	s_xor_b64 s[6:7], exec, s[6:7]
	s_cbranch_execnz .LBB12_2321
; %bb.273:
	s_or_saveexec_b64 s[6:7], s[6:7]
	v_mov_b32_e32 v20, s10
	s_xor_b64 exec, exec, s[6:7]
	s_cbranch_execnz .LBB12_2324
.LBB12_274:
	s_or_b64 exec, exec, s[6:7]
	s_and_saveexec_b64 s[6:7], s[4:5]
	s_cbranch_execz .LBB12_276
.LBB12_275:
	v_bfe_u32 v20, v14, 16, 3
	v_ffbh_u32_e32 v23, v20
	v_min_u32_e32 v23, 32, v23
	v_lshrrev_b32_e32 v21, 19, v14
	v_subrev_u32_e32 v24, 28, v23
	v_and_b32_e32 v21, 15, v21
	v_lshlrev_b32_sdwa v24, v24, v14 dst_sel:DWORD dst_unused:UNUSED_PAD src0_sel:DWORD src1_sel:WORD_1
	v_bfe_u32 v22, v14, 19, 4
	v_sub_u32_e32 v23, 29, v23
	v_and_b32_e32 v24, 7, v24
	v_cmp_eq_u16_e32 vcc, 0, v21
	v_cndmask_b32_e32 v20, v20, v24, vcc
	v_cndmask_b32_e32 v21, v22, v23, vcc
	v_lshlrev_b32_e32 v22, 8, v14
	v_mov_b32_e32 v23, 0x3b800000
	v_lshlrev_b32_e32 v20, 20, v20
	v_and_b32_e32 v22, 0x80000000, v22
	v_lshl_add_u32 v21, v21, 23, v23
	v_or3_b32 v20, v22, v21, v20
.LBB12_276:
	s_or_b64 exec, exec, s[6:7]
	s_movk_i32 s4, 0xff
	v_and_b32_sdwa v21, v10, s4 dst_sel:DWORD dst_unused:UNUSED_PAD src0_sel:WORD_1 src1_sel:DWORD
	s_movk_i32 s4, 0x7f
	v_cmp_lt_i16_e32 vcc, s4, v21
	s_mov_b64 s[4:5], 0
                                        ; implicit-def: $sgpr10
	s_and_saveexec_b64 s[6:7], vcc
	s_xor_b64 s[6:7], exec, s[6:7]
	s_cbranch_execnz .LBB12_2325
; %bb.277:
	s_or_saveexec_b64 s[6:7], s[6:7]
	v_mov_b32_e32 v22, s10
	s_xor_b64 exec, exec, s[6:7]
	s_cbranch_execnz .LBB12_2328
.LBB12_278:
	s_or_b64 exec, exec, s[6:7]
	s_and_saveexec_b64 s[6:7], s[4:5]
	s_cbranch_execz .LBB12_280
.LBB12_279:
	v_bfe_u32 v21, v10, 16, 3
	v_ffbh_u32_e32 v24, v21
	v_min_u32_e32 v24, 32, v24
	v_lshrrev_b32_e32 v22, 19, v10
	v_subrev_u32_e32 v25, 28, v24
	v_and_b32_e32 v22, 15, v22
	v_lshlrev_b32_sdwa v25, v25, v10 dst_sel:DWORD dst_unused:UNUSED_PAD src0_sel:DWORD src1_sel:WORD_1
	v_bfe_u32 v23, v10, 19, 4
	v_sub_u32_e32 v24, 29, v24
	v_and_b32_e32 v25, 7, v25
	v_cmp_eq_u16_e32 vcc, 0, v22
	v_cndmask_b32_e32 v21, v21, v25, vcc
	v_cndmask_b32_e32 v22, v23, v24, vcc
	v_lshlrev_b32_e32 v23, 8, v10
	v_mov_b32_e32 v24, 0x3b800000
	v_lshlrev_b32_e32 v21, 20, v21
	v_and_b32_e32 v23, 0x80000000, v23
	v_lshl_add_u32 v22, v22, 23, v24
	v_or3_b32 v22, v23, v22, v21
.LBB12_280:
	s_or_b64 exec, exec, s[6:7]
	s_nop 0
	v_mfma_f32_16x16x4f32 a[0:3], v20, v22, a[0:3]
	s_movk_i32 s4, 0x7f
	v_cmp_gt_i16_sdwa s[6:7], v14, s4 src0_sel:BYTE_3 src1_sel:DWORD
	s_mov_b64 s[4:5], 0
                                        ; implicit-def: $sgpr10
	s_and_saveexec_b64 s[8:9], s[6:7]
	s_xor_b64 s[6:7], exec, s[8:9]
	s_cbranch_execnz .LBB12_2329
; %bb.281:
	s_or_saveexec_b64 s[6:7], s[6:7]
	v_mov_b32_e32 v20, s10
	s_xor_b64 exec, exec, s[6:7]
	s_cbranch_execnz .LBB12_2332
.LBB12_282:
	s_or_b64 exec, exec, s[6:7]
	s_and_saveexec_b64 s[6:7], s[4:5]
	s_cbranch_execz .LBB12_284
.LBB12_283:
	v_bfe_u32 v20, v14, 24, 3
	v_ffbh_u32_e32 v24, v20
	v_min_u32_e32 v24, 32, v24
	v_lshrrev_b32_e32 v22, 27, v14
	v_subrev_u32_e32 v25, 28, v24
	v_and_b32_e32 v21, 0x80000000, v14
	v_and_b32_e32 v22, 15, v22
	v_bfe_u32 v23, v14, 27, 4
	v_lshlrev_b32_sdwa v14, v25, v14 dst_sel:DWORD dst_unused:UNUSED_PAD src0_sel:DWORD src1_sel:BYTE_3
	v_sub_u32_e32 v24, 29, v24
	v_and_b32_e32 v14, 7, v14
	v_cmp_eq_u16_e32 vcc, 0, v22
	v_cndmask_b32_e32 v14, v20, v14, vcc
	v_cndmask_b32_e32 v20, v23, v24, vcc
	v_mov_b32_e32 v22, 0x3b800000
	v_lshlrev_b32_e32 v14, 20, v14
	v_lshl_add_u32 v20, v20, 23, v22
	v_or3_b32 v20, v21, v20, v14
.LBB12_284:
	s_or_b64 exec, exec, s[6:7]
	s_movk_i32 s4, 0x7f
	v_cmp_gt_i16_sdwa s[6:7], v10, s4 src0_sel:BYTE_3 src1_sel:DWORD
	s_mov_b64 s[4:5], 0
                                        ; implicit-def: $sgpr10
	s_and_saveexec_b64 s[8:9], s[6:7]
	s_xor_b64 s[6:7], exec, s[8:9]
	s_cbranch_execnz .LBB12_2333
; %bb.285:
	s_or_saveexec_b64 s[6:7], s[6:7]
	v_mov_b32_e32 v14, s10
	s_xor_b64 exec, exec, s[6:7]
	s_cbranch_execnz .LBB12_2336
.LBB12_286:
	s_or_b64 exec, exec, s[6:7]
	s_and_saveexec_b64 s[6:7], s[4:5]
	s_cbranch_execz .LBB12_288
.LBB12_287:
	v_bfe_u32 v14, v10, 24, 3
	v_ffbh_u32_e32 v24, v14
	v_min_u32_e32 v24, 32, v24
	v_lshrrev_b32_e32 v22, 27, v10
	v_subrev_u32_e32 v25, 28, v24
	v_and_b32_e32 v21, 0x80000000, v10
	v_and_b32_e32 v22, 15, v22
	v_bfe_u32 v23, v10, 27, 4
	v_lshlrev_b32_sdwa v10, v25, v10 dst_sel:DWORD dst_unused:UNUSED_PAD src0_sel:DWORD src1_sel:BYTE_3
	v_sub_u32_e32 v24, 29, v24
	v_and_b32_e32 v10, 7, v10
	v_cmp_eq_u16_e32 vcc, 0, v22
	v_cndmask_b32_e32 v10, v14, v10, vcc
	v_cndmask_b32_e32 v14, v23, v24, vcc
	v_mov_b32_e32 v22, 0x3b800000
	v_lshlrev_b32_e32 v10, 20, v10
	v_lshl_add_u32 v14, v14, 23, v22
	v_or3_b32 v14, v21, v14, v10
.LBB12_288:
	s_or_b64 exec, exec, s[6:7]
	s_nop 0
	v_mfma_f32_16x16x4f32 a[0:3], v20, v14, a[0:3]
	s_movk_i32 s4, 0x7f
	v_cmp_gt_i16_sdwa s[6:7], v15, s4 src0_sel:BYTE_0 src1_sel:DWORD
	s_mov_b64 s[4:5], 0
                                        ; implicit-def: $sgpr10
	s_and_saveexec_b64 s[8:9], s[6:7]
	s_xor_b64 s[6:7], exec, s[8:9]
	s_cbranch_execnz .LBB12_2337
; %bb.289:
	s_or_saveexec_b64 s[6:7], s[6:7]
	v_mov_b32_e32 v10, s10
	s_xor_b64 exec, exec, s[6:7]
	s_cbranch_execnz .LBB12_2340
.LBB12_290:
	s_or_b64 exec, exec, s[6:7]
	s_and_saveexec_b64 s[6:7], s[4:5]
	s_cbranch_execz .LBB12_292
.LBB12_291:
	v_and_b32_e32 v10, 7, v15
	v_ffbh_u32_e32 v20, v10
	v_min_u32_e32 v20, 32, v20
	v_lshrrev_b16_e32 v14, 3, v15
	v_subrev_u32_e32 v21, 28, v20
	v_and_b32_e32 v14, 15, v14
	v_lshlrev_b32_e32 v21, v21, v15
	v_sub_u32_e32 v20, 29, v20
	v_and_b32_e32 v21, 7, v21
	v_cmp_eq_u16_e32 vcc, 0, v14
	v_cndmask_b32_e32 v10, v10, v21, vcc
	v_cndmask_b32_e32 v14, v14, v20, vcc
	v_lshlrev_b32_e32 v20, 24, v15
	v_mov_b32_e32 v21, 0x3b800000
	v_lshlrev_b32_e32 v10, 20, v10
	v_and_b32_e32 v20, 0x80000000, v20
	v_lshl_add_u32 v14, v14, 23, v21
	v_or3_b32 v10, v20, v14, v10
.LBB12_292:
	s_or_b64 exec, exec, s[6:7]
	s_movk_i32 s4, 0x7f
	v_cmp_gt_i16_sdwa s[6:7], v11, s4 src0_sel:BYTE_0 src1_sel:DWORD
	s_mov_b64 s[4:5], 0
                                        ; implicit-def: $sgpr10
	s_and_saveexec_b64 s[8:9], s[6:7]
	s_xor_b64 s[6:7], exec, s[8:9]
	s_cbranch_execnz .LBB12_2341
; %bb.293:
	s_or_saveexec_b64 s[6:7], s[6:7]
	v_mov_b32_e32 v14, s10
	s_xor_b64 exec, exec, s[6:7]
	s_cbranch_execnz .LBB12_2344
.LBB12_294:
	s_or_b64 exec, exec, s[6:7]
	s_and_saveexec_b64 s[6:7], s[4:5]
	s_cbranch_execz .LBB12_296
.LBB12_295:
	v_and_b32_e32 v14, 7, v11
	v_ffbh_u32_e32 v21, v14
	v_min_u32_e32 v21, 32, v21
	v_lshrrev_b16_e32 v20, 3, v11
	v_subrev_u32_e32 v22, 28, v21
	v_and_b32_e32 v20, 15, v20
	v_lshlrev_b32_e32 v22, v22, v11
	v_sub_u32_e32 v21, 29, v21
	v_and_b32_e32 v22, 7, v22
	v_cmp_eq_u16_e32 vcc, 0, v20
	v_cndmask_b32_e32 v14, v14, v22, vcc
	v_cndmask_b32_e32 v20, v20, v21, vcc
	v_lshlrev_b32_e32 v21, 24, v11
	v_mov_b32_e32 v22, 0x3b800000
	v_lshlrev_b32_e32 v14, 20, v14
	v_and_b32_e32 v21, 0x80000000, v21
	v_lshl_add_u32 v20, v20, 23, v22
	v_or3_b32 v14, v21, v20, v14
.LBB12_296:
	s_or_b64 exec, exec, s[6:7]
	s_nop 0
	v_mfma_f32_16x16x4f32 a[0:3], v10, v14, a[0:3]
	v_lshrrev_b32_e32 v14, 8, v15
	s_movk_i32 s4, 0x7f
	v_cmp_gt_i16_sdwa s[6:7], v14, s4 src0_sel:BYTE_0 src1_sel:DWORD
	s_mov_b64 s[4:5], 0
                                        ; implicit-def: $sgpr10
	s_and_saveexec_b64 s[8:9], s[6:7]
	s_xor_b64 s[6:7], exec, s[8:9]
	s_cbranch_execnz .LBB12_2345
; %bb.297:
	s_or_saveexec_b64 s[6:7], s[6:7]
	v_mov_b32_e32 v10, s10
	s_xor_b64 exec, exec, s[6:7]
	s_cbranch_execnz .LBB12_2348
.LBB12_298:
	s_or_b64 exec, exec, s[6:7]
	s_and_saveexec_b64 s[6:7], s[4:5]
	s_cbranch_execz .LBB12_300
.LBB12_299:
	v_bfe_u32 v10, v15, 8, 3
	v_ffbh_u32_e32 v21, v10
	v_min_u32_e32 v21, 32, v21
	v_lshrrev_b16_e32 v20, 3, v14
	v_subrev_u32_e32 v22, 28, v21
	v_and_b32_e32 v20, 15, v20
	v_lshlrev_b32_e32 v14, v22, v14
	v_sub_u32_e32 v21, 29, v21
	v_and_b32_e32 v14, 7, v14
	v_cmp_eq_u16_e32 vcc, 0, v20
	v_cndmask_b32_e32 v10, v10, v14, vcc
	v_cndmask_b32_e32 v14, v20, v21, vcc
	v_lshlrev_b32_e32 v20, 16, v15
	v_mov_b32_e32 v21, 0x3b800000
	v_lshlrev_b32_e32 v10, 20, v10
	v_and_b32_e32 v20, 0x80000000, v20
	v_lshl_add_u32 v14, v14, 23, v21
	v_or3_b32 v10, v20, v14, v10
.LBB12_300:
	s_or_b64 exec, exec, s[6:7]
	v_lshrrev_b32_e32 v14, 8, v11
	s_movk_i32 s4, 0x7f
	v_cmp_gt_i16_sdwa s[6:7], v14, s4 src0_sel:BYTE_0 src1_sel:DWORD
	s_mov_b64 s[4:5], 0
                                        ; implicit-def: $sgpr10
	s_and_saveexec_b64 s[8:9], s[6:7]
	s_xor_b64 s[6:7], exec, s[8:9]
	s_cbranch_execnz .LBB12_2349
; %bb.301:
	s_or_saveexec_b64 s[6:7], s[6:7]
	v_mov_b32_e32 v20, s10
	s_xor_b64 exec, exec, s[6:7]
	s_cbranch_execnz .LBB12_2352
.LBB12_302:
	s_or_b64 exec, exec, s[6:7]
	s_and_saveexec_b64 s[6:7], s[4:5]
	s_cbranch_execz .LBB12_304
.LBB12_303:
	v_bfe_u32 v20, v11, 8, 3
	v_ffbh_u32_e32 v22, v20
	v_min_u32_e32 v22, 32, v22
	v_lshrrev_b16_e32 v21, 3, v14
	v_subrev_u32_e32 v23, 28, v22
	v_and_b32_e32 v21, 15, v21
	v_lshlrev_b32_e32 v14, v23, v14
	v_sub_u32_e32 v22, 29, v22
	v_and_b32_e32 v14, 7, v14
	v_cmp_eq_u16_e32 vcc, 0, v21
	v_cndmask_b32_e32 v14, v20, v14, vcc
	v_cndmask_b32_e32 v20, v21, v22, vcc
	v_lshlrev_b32_e32 v21, 16, v11
	v_mov_b32_e32 v22, 0x3b800000
	v_lshlrev_b32_e32 v14, 20, v14
	v_and_b32_e32 v21, 0x80000000, v21
	v_lshl_add_u32 v20, v20, 23, v22
	v_or3_b32 v20, v21, v20, v14
.LBB12_304:
	s_or_b64 exec, exec, s[6:7]
	s_nop 0
	v_mfma_f32_16x16x4f32 a[0:3], v10, v20, a[0:3]
	s_movk_i32 s4, 0xff
	v_and_b32_sdwa v14, v15, s4 dst_sel:DWORD dst_unused:UNUSED_PAD src0_sel:WORD_1 src1_sel:DWORD
	s_movk_i32 s4, 0x7f
	v_cmp_lt_i16_e32 vcc, s4, v14
	s_mov_b64 s[4:5], 0
                                        ; implicit-def: $sgpr10
	s_and_saveexec_b64 s[6:7], vcc
	s_xor_b64 s[6:7], exec, s[6:7]
	s_cbranch_execnz .LBB12_2353
; %bb.305:
	s_or_saveexec_b64 s[6:7], s[6:7]
	v_mov_b32_e32 v10, s10
	s_xor_b64 exec, exec, s[6:7]
	s_cbranch_execnz .LBB12_2356
.LBB12_306:
	s_or_b64 exec, exec, s[6:7]
	s_and_saveexec_b64 s[6:7], s[4:5]
	s_cbranch_execz .LBB12_308
.LBB12_307:
	v_bfe_u32 v10, v15, 16, 3
	v_ffbh_u32_e32 v21, v10
	v_min_u32_e32 v21, 32, v21
	v_lshrrev_b32_e32 v14, 19, v15
	v_subrev_u32_e32 v22, 28, v21
	v_and_b32_e32 v14, 15, v14
	v_lshlrev_b32_sdwa v22, v22, v15 dst_sel:DWORD dst_unused:UNUSED_PAD src0_sel:DWORD src1_sel:WORD_1
	v_bfe_u32 v20, v15, 19, 4
	v_sub_u32_e32 v21, 29, v21
	v_and_b32_e32 v22, 7, v22
	v_cmp_eq_u16_e32 vcc, 0, v14
	v_cndmask_b32_e32 v10, v10, v22, vcc
	v_cndmask_b32_e32 v14, v20, v21, vcc
	v_lshlrev_b32_e32 v20, 8, v15
	v_mov_b32_e32 v21, 0x3b800000
	v_lshlrev_b32_e32 v10, 20, v10
	v_and_b32_e32 v20, 0x80000000, v20
	v_lshl_add_u32 v14, v14, 23, v21
	v_or3_b32 v10, v20, v14, v10
.LBB12_308:
	s_or_b64 exec, exec, s[6:7]
	s_movk_i32 s4, 0xff
	v_and_b32_sdwa v14, v11, s4 dst_sel:DWORD dst_unused:UNUSED_PAD src0_sel:WORD_1 src1_sel:DWORD
	s_movk_i32 s4, 0x7f
	v_cmp_lt_i16_e32 vcc, s4, v14
	s_mov_b64 s[4:5], 0
                                        ; implicit-def: $sgpr10
	s_and_saveexec_b64 s[6:7], vcc
	s_xor_b64 s[6:7], exec, s[6:7]
	s_cbranch_execnz .LBB12_2357
; %bb.309:
	s_or_saveexec_b64 s[6:7], s[6:7]
	v_mov_b32_e32 v20, s10
	s_xor_b64 exec, exec, s[6:7]
	s_cbranch_execnz .LBB12_2360
.LBB12_310:
	s_or_b64 exec, exec, s[6:7]
	s_and_saveexec_b64 s[6:7], s[4:5]
	s_cbranch_execz .LBB12_312
.LBB12_311:
	v_bfe_u32 v14, v11, 16, 3
	v_ffbh_u32_e32 v22, v14
	v_min_u32_e32 v22, 32, v22
	v_lshrrev_b32_e32 v20, 19, v11
	v_subrev_u32_e32 v23, 28, v22
	v_and_b32_e32 v20, 15, v20
	v_lshlrev_b32_sdwa v23, v23, v11 dst_sel:DWORD dst_unused:UNUSED_PAD src0_sel:DWORD src1_sel:WORD_1
	v_bfe_u32 v21, v11, 19, 4
	v_sub_u32_e32 v22, 29, v22
	v_and_b32_e32 v23, 7, v23
	v_cmp_eq_u16_e32 vcc, 0, v20
	v_cndmask_b32_e32 v14, v14, v23, vcc
	v_cndmask_b32_e32 v20, v21, v22, vcc
	v_lshlrev_b32_e32 v21, 8, v11
	v_mov_b32_e32 v22, 0x3b800000
	v_lshlrev_b32_e32 v14, 20, v14
	v_and_b32_e32 v21, 0x80000000, v21
	v_lshl_add_u32 v20, v20, 23, v22
	v_or3_b32 v20, v21, v20, v14
.LBB12_312:
	s_or_b64 exec, exec, s[6:7]
	s_nop 0
	v_mfma_f32_16x16x4f32 a[0:3], v10, v20, a[0:3]
	s_movk_i32 s4, 0x7f
	v_cmp_gt_i16_sdwa s[6:7], v15, s4 src0_sel:BYTE_3 src1_sel:DWORD
	s_mov_b64 s[4:5], 0
                                        ; implicit-def: $sgpr10
	s_and_saveexec_b64 s[8:9], s[6:7]
	s_xor_b64 s[6:7], exec, s[8:9]
	s_cbranch_execnz .LBB12_2361
; %bb.313:
	s_or_saveexec_b64 s[6:7], s[6:7]
	v_mov_b32_e32 v10, s10
	s_xor_b64 exec, exec, s[6:7]
	s_cbranch_execnz .LBB12_2364
.LBB12_314:
	s_or_b64 exec, exec, s[6:7]
	s_and_saveexec_b64 s[6:7], s[4:5]
	s_cbranch_execz .LBB12_316
.LBB12_315:
	v_bfe_u32 v10, v15, 24, 3
	v_ffbh_u32_e32 v22, v10
	v_min_u32_e32 v22, 32, v22
	v_lshrrev_b32_e32 v20, 27, v15
	v_subrev_u32_e32 v23, 28, v22
	v_and_b32_e32 v14, 0x80000000, v15
	v_and_b32_e32 v20, 15, v20
	v_bfe_u32 v21, v15, 27, 4
	v_lshlrev_b32_sdwa v15, v23, v15 dst_sel:DWORD dst_unused:UNUSED_PAD src0_sel:DWORD src1_sel:BYTE_3
	v_sub_u32_e32 v22, 29, v22
	v_and_b32_e32 v15, 7, v15
	v_cmp_eq_u16_e32 vcc, 0, v20
	v_cndmask_b32_e32 v10, v10, v15, vcc
	v_cndmask_b32_e32 v15, v21, v22, vcc
	v_mov_b32_e32 v20, 0x3b800000
	v_lshlrev_b32_e32 v10, 20, v10
	v_lshl_add_u32 v15, v15, 23, v20
	v_or3_b32 v10, v14, v15, v10
.LBB12_316:
	s_or_b64 exec, exec, s[6:7]
	s_movk_i32 s4, 0x7f
	v_cmp_gt_i16_sdwa s[6:7], v11, s4 src0_sel:BYTE_3 src1_sel:DWORD
	s_mov_b64 s[4:5], 0
                                        ; implicit-def: $sgpr10
	s_and_saveexec_b64 s[8:9], s[6:7]
	s_xor_b64 s[6:7], exec, s[8:9]
	s_cbranch_execnz .LBB12_2365
; %bb.317:
	s_or_saveexec_b64 s[6:7], s[6:7]
	v_mov_b32_e32 v14, s10
	s_xor_b64 exec, exec, s[6:7]
	s_cbranch_execnz .LBB12_2368
.LBB12_318:
	s_or_b64 exec, exec, s[6:7]
	s_and_saveexec_b64 s[6:7], s[4:5]
	s_cbranch_execz .LBB12_320
.LBB12_319:
	v_bfe_u32 v14, v11, 24, 3
	v_ffbh_u32_e32 v22, v14
	v_min_u32_e32 v22, 32, v22
	v_lshrrev_b32_e32 v20, 27, v11
	v_subrev_u32_e32 v23, 28, v22
	v_and_b32_e32 v15, 0x80000000, v11
	v_and_b32_e32 v20, 15, v20
	v_bfe_u32 v21, v11, 27, 4
	v_lshlrev_b32_sdwa v11, v23, v11 dst_sel:DWORD dst_unused:UNUSED_PAD src0_sel:DWORD src1_sel:BYTE_3
	v_sub_u32_e32 v22, 29, v22
	v_and_b32_e32 v11, 7, v11
	v_cmp_eq_u16_e32 vcc, 0, v20
	v_cndmask_b32_e32 v11, v14, v11, vcc
	v_cndmask_b32_e32 v14, v21, v22, vcc
	v_mov_b32_e32 v20, 0x3b800000
	v_lshlrev_b32_e32 v11, 20, v11
	v_lshl_add_u32 v14, v14, 23, v20
	v_or3_b32 v14, v15, v14, v11
.LBB12_320:
	s_or_b64 exec, exec, s[6:7]
	s_nop 0
	v_mfma_f32_16x16x4f32 a[0:3], v10, v14, a[0:3]
	s_movk_i32 s4, 0x7f
	v_cmp_gt_i16_sdwa s[6:7], v16, s4 src0_sel:BYTE_0 src1_sel:DWORD
	s_mov_b64 s[4:5], 0
                                        ; implicit-def: $sgpr10
	s_and_saveexec_b64 s[8:9], s[6:7]
	s_xor_b64 s[6:7], exec, s[8:9]
	s_cbranch_execnz .LBB12_2369
; %bb.321:
	s_or_saveexec_b64 s[6:7], s[6:7]
	v_mov_b32_e32 v10, s10
	s_xor_b64 exec, exec, s[6:7]
	s_cbranch_execnz .LBB12_2372
.LBB12_322:
	s_or_b64 exec, exec, s[6:7]
	s_and_saveexec_b64 s[6:7], s[4:5]
	s_cbranch_execz .LBB12_324
.LBB12_323:
	v_and_b32_e32 v10, 7, v16
	v_ffbh_u32_e32 v14, v10
	v_min_u32_e32 v14, 32, v14
	v_lshrrev_b16_e32 v11, 3, v16
	v_subrev_u32_e32 v15, 28, v14
	v_and_b32_e32 v11, 15, v11
	v_lshlrev_b32_e32 v15, v15, v16
	v_sub_u32_e32 v14, 29, v14
	v_and_b32_e32 v15, 7, v15
	v_cmp_eq_u16_e32 vcc, 0, v11
	v_cndmask_b32_e32 v10, v10, v15, vcc
	v_cndmask_b32_e32 v11, v11, v14, vcc
	v_lshlrev_b32_e32 v14, 24, v16
	v_mov_b32_e32 v15, 0x3b800000
	v_lshlrev_b32_e32 v10, 20, v10
	v_and_b32_e32 v14, 0x80000000, v14
	v_lshl_add_u32 v11, v11, 23, v15
	v_or3_b32 v10, v14, v11, v10
.LBB12_324:
	s_or_b64 exec, exec, s[6:7]
	s_movk_i32 s4, 0x7f
	v_cmp_gt_i16_sdwa s[6:7], v12, s4 src0_sel:BYTE_0 src1_sel:DWORD
	s_mov_b64 s[4:5], 0
                                        ; implicit-def: $sgpr10
	s_and_saveexec_b64 s[8:9], s[6:7]
	s_xor_b64 s[6:7], exec, s[8:9]
	s_cbranch_execnz .LBB12_2373
; %bb.325:
	s_or_saveexec_b64 s[6:7], s[6:7]
	v_mov_b32_e32 v11, s10
	s_xor_b64 exec, exec, s[6:7]
	s_cbranch_execnz .LBB12_2376
.LBB12_326:
	s_or_b64 exec, exec, s[6:7]
	s_and_saveexec_b64 s[6:7], s[4:5]
	s_cbranch_execz .LBB12_328
.LBB12_327:
	v_and_b32_e32 v11, 7, v12
	v_ffbh_u32_e32 v15, v11
	v_min_u32_e32 v15, 32, v15
	v_lshrrev_b16_e32 v14, 3, v12
	v_subrev_u32_e32 v20, 28, v15
	v_and_b32_e32 v14, 15, v14
	v_lshlrev_b32_e32 v20, v20, v12
	v_sub_u32_e32 v15, 29, v15
	v_and_b32_e32 v20, 7, v20
	v_cmp_eq_u16_e32 vcc, 0, v14
	v_cndmask_b32_e32 v11, v11, v20, vcc
	v_cndmask_b32_e32 v14, v14, v15, vcc
	v_lshlrev_b32_e32 v15, 24, v12
	v_mov_b32_e32 v20, 0x3b800000
	v_lshlrev_b32_e32 v11, 20, v11
	v_and_b32_e32 v15, 0x80000000, v15
	v_lshl_add_u32 v14, v14, 23, v20
	v_or3_b32 v11, v15, v14, v11
.LBB12_328:
	s_or_b64 exec, exec, s[6:7]
	s_nop 0
	v_mfma_f32_16x16x4f32 a[0:3], v10, v11, a[0:3]
	v_lshrrev_b32_e32 v11, 8, v16
	s_movk_i32 s4, 0x7f
	v_cmp_gt_i16_sdwa s[6:7], v11, s4 src0_sel:BYTE_0 src1_sel:DWORD
	s_mov_b64 s[4:5], 0
                                        ; implicit-def: $sgpr10
	s_and_saveexec_b64 s[8:9], s[6:7]
	s_xor_b64 s[6:7], exec, s[8:9]
	s_cbranch_execnz .LBB12_2377
; %bb.329:
	s_or_saveexec_b64 s[6:7], s[6:7]
	v_mov_b32_e32 v10, s10
	s_xor_b64 exec, exec, s[6:7]
	s_cbranch_execnz .LBB12_2380
.LBB12_330:
	s_or_b64 exec, exec, s[6:7]
	s_and_saveexec_b64 s[6:7], s[4:5]
	s_cbranch_execz .LBB12_332
.LBB12_331:
	v_bfe_u32 v10, v16, 8, 3
	v_ffbh_u32_e32 v15, v10
	v_min_u32_e32 v15, 32, v15
	v_lshrrev_b16_e32 v14, 3, v11
	v_subrev_u32_e32 v20, 28, v15
	v_and_b32_e32 v14, 15, v14
	v_lshlrev_b32_e32 v11, v20, v11
	v_sub_u32_e32 v15, 29, v15
	v_and_b32_e32 v11, 7, v11
	v_cmp_eq_u16_e32 vcc, 0, v14
	v_cndmask_b32_e32 v10, v10, v11, vcc
	v_cndmask_b32_e32 v11, v14, v15, vcc
	v_lshlrev_b32_e32 v14, 16, v16
	v_mov_b32_e32 v15, 0x3b800000
	v_lshlrev_b32_e32 v10, 20, v10
	v_and_b32_e32 v14, 0x80000000, v14
	v_lshl_add_u32 v11, v11, 23, v15
	v_or3_b32 v10, v14, v11, v10
.LBB12_332:
	s_or_b64 exec, exec, s[6:7]
	v_lshrrev_b32_e32 v11, 8, v12
	s_movk_i32 s4, 0x7f
	v_cmp_gt_i16_sdwa s[6:7], v11, s4 src0_sel:BYTE_0 src1_sel:DWORD
	s_mov_b64 s[4:5], 0
                                        ; implicit-def: $sgpr10
	s_and_saveexec_b64 s[8:9], s[6:7]
	s_xor_b64 s[6:7], exec, s[8:9]
	s_cbranch_execnz .LBB12_2381
; %bb.333:
	s_or_saveexec_b64 s[6:7], s[6:7]
	v_mov_b32_e32 v14, s10
	s_xor_b64 exec, exec, s[6:7]
	s_cbranch_execnz .LBB12_2384
.LBB12_334:
	s_or_b64 exec, exec, s[6:7]
	s_and_saveexec_b64 s[6:7], s[4:5]
	s_cbranch_execz .LBB12_336
.LBB12_335:
	v_bfe_u32 v14, v12, 8, 3
	v_ffbh_u32_e32 v20, v14
	v_min_u32_e32 v20, 32, v20
	v_lshrrev_b16_e32 v15, 3, v11
	v_subrev_u32_e32 v21, 28, v20
	v_and_b32_e32 v15, 15, v15
	v_lshlrev_b32_e32 v11, v21, v11
	v_sub_u32_e32 v20, 29, v20
	v_and_b32_e32 v11, 7, v11
	v_cmp_eq_u16_e32 vcc, 0, v15
	v_cndmask_b32_e32 v11, v14, v11, vcc
	v_cndmask_b32_e32 v14, v15, v20, vcc
	v_lshlrev_b32_e32 v15, 16, v12
	v_mov_b32_e32 v20, 0x3b800000
	v_lshlrev_b32_e32 v11, 20, v11
	v_and_b32_e32 v15, 0x80000000, v15
	v_lshl_add_u32 v14, v14, 23, v20
	v_or3_b32 v14, v15, v14, v11
.LBB12_336:
	s_or_b64 exec, exec, s[6:7]
	s_nop 0
	v_mfma_f32_16x16x4f32 a[0:3], v10, v14, a[0:3]
	s_movk_i32 s4, 0xff
	v_and_b32_sdwa v11, v16, s4 dst_sel:DWORD dst_unused:UNUSED_PAD src0_sel:WORD_1 src1_sel:DWORD
	s_movk_i32 s4, 0x7f
	v_cmp_lt_i16_e32 vcc, s4, v11
	s_mov_b64 s[4:5], 0
                                        ; implicit-def: $sgpr10
	s_and_saveexec_b64 s[6:7], vcc
	s_xor_b64 s[6:7], exec, s[6:7]
	s_cbranch_execnz .LBB12_2385
; %bb.337:
	s_or_saveexec_b64 s[6:7], s[6:7]
	v_mov_b32_e32 v10, s10
	s_xor_b64 exec, exec, s[6:7]
	s_cbranch_execnz .LBB12_2388
.LBB12_338:
	s_or_b64 exec, exec, s[6:7]
	s_and_saveexec_b64 s[6:7], s[4:5]
	s_cbranch_execz .LBB12_340
.LBB12_339:
	v_bfe_u32 v10, v16, 16, 3
	v_ffbh_u32_e32 v15, v10
	v_min_u32_e32 v15, 32, v15
	v_lshrrev_b32_e32 v11, 19, v16
	v_subrev_u32_e32 v20, 28, v15
	v_and_b32_e32 v11, 15, v11
	v_lshlrev_b32_sdwa v20, v20, v16 dst_sel:DWORD dst_unused:UNUSED_PAD src0_sel:DWORD src1_sel:WORD_1
	v_bfe_u32 v14, v16, 19, 4
	v_sub_u32_e32 v15, 29, v15
	v_and_b32_e32 v20, 7, v20
	v_cmp_eq_u16_e32 vcc, 0, v11
	v_cndmask_b32_e32 v10, v10, v20, vcc
	v_cndmask_b32_e32 v11, v14, v15, vcc
	v_lshlrev_b32_e32 v14, 8, v16
	v_mov_b32_e32 v15, 0x3b800000
	v_lshlrev_b32_e32 v10, 20, v10
	v_and_b32_e32 v14, 0x80000000, v14
	v_lshl_add_u32 v11, v11, 23, v15
	v_or3_b32 v10, v14, v11, v10
.LBB12_340:
	s_or_b64 exec, exec, s[6:7]
	s_movk_i32 s4, 0xff
	v_and_b32_sdwa v11, v12, s4 dst_sel:DWORD dst_unused:UNUSED_PAD src0_sel:WORD_1 src1_sel:DWORD
	s_movk_i32 s4, 0x7f
	v_cmp_lt_i16_e32 vcc, s4, v11
	s_mov_b64 s[4:5], 0
                                        ; implicit-def: $sgpr10
	s_and_saveexec_b64 s[6:7], vcc
	s_xor_b64 s[6:7], exec, s[6:7]
	s_cbranch_execnz .LBB12_2389
; %bb.341:
	s_or_saveexec_b64 s[6:7], s[6:7]
	v_mov_b32_e32 v14, s10
	s_xor_b64 exec, exec, s[6:7]
	s_cbranch_execnz .LBB12_2392
.LBB12_342:
	s_or_b64 exec, exec, s[6:7]
	s_and_saveexec_b64 s[6:7], s[4:5]
	s_cbranch_execz .LBB12_344
.LBB12_343:
	v_bfe_u32 v11, v12, 16, 3
	v_ffbh_u32_e32 v20, v11
	v_min_u32_e32 v20, 32, v20
	v_lshrrev_b32_e32 v14, 19, v12
	v_subrev_u32_e32 v21, 28, v20
	v_and_b32_e32 v14, 15, v14
	v_lshlrev_b32_sdwa v21, v21, v12 dst_sel:DWORD dst_unused:UNUSED_PAD src0_sel:DWORD src1_sel:WORD_1
	v_bfe_u32 v15, v12, 19, 4
	v_sub_u32_e32 v20, 29, v20
	v_and_b32_e32 v21, 7, v21
	v_cmp_eq_u16_e32 vcc, 0, v14
	v_cndmask_b32_e32 v11, v11, v21, vcc
	v_cndmask_b32_e32 v14, v15, v20, vcc
	v_lshlrev_b32_e32 v15, 8, v12
	v_mov_b32_e32 v20, 0x3b800000
	v_lshlrev_b32_e32 v11, 20, v11
	v_and_b32_e32 v15, 0x80000000, v15
	v_lshl_add_u32 v14, v14, 23, v20
	v_or3_b32 v14, v15, v14, v11
.LBB12_344:
	s_or_b64 exec, exec, s[6:7]
	s_nop 0
	v_mfma_f32_16x16x4f32 a[0:3], v10, v14, a[0:3]
	s_movk_i32 s4, 0x7f
	v_cmp_gt_i16_sdwa s[6:7], v16, s4 src0_sel:BYTE_3 src1_sel:DWORD
	s_mov_b64 s[4:5], 0
                                        ; implicit-def: $sgpr10
	s_and_saveexec_b64 s[8:9], s[6:7]
	s_xor_b64 s[6:7], exec, s[8:9]
	s_cbranch_execnz .LBB12_2393
; %bb.345:
	s_or_saveexec_b64 s[6:7], s[6:7]
	v_mov_b32_e32 v10, s10
	s_xor_b64 exec, exec, s[6:7]
	s_cbranch_execnz .LBB12_2396
.LBB12_346:
	s_or_b64 exec, exec, s[6:7]
	s_and_saveexec_b64 s[6:7], s[4:5]
	s_cbranch_execz .LBB12_348
.LBB12_347:
	v_bfe_u32 v10, v16, 24, 3
	v_ffbh_u32_e32 v20, v10
	v_min_u32_e32 v20, 32, v20
	v_lshrrev_b32_e32 v14, 27, v16
	v_subrev_u32_e32 v21, 28, v20
	v_and_b32_e32 v11, 0x80000000, v16
	v_and_b32_e32 v14, 15, v14
	v_bfe_u32 v15, v16, 27, 4
	v_lshlrev_b32_sdwa v16, v21, v16 dst_sel:DWORD dst_unused:UNUSED_PAD src0_sel:DWORD src1_sel:BYTE_3
	v_sub_u32_e32 v20, 29, v20
	v_and_b32_e32 v16, 7, v16
	v_cmp_eq_u16_e32 vcc, 0, v14
	v_cndmask_b32_e32 v10, v10, v16, vcc
	v_cndmask_b32_e32 v14, v15, v20, vcc
	v_mov_b32_e32 v15, 0x3b800000
	v_lshlrev_b32_e32 v10, 20, v10
	v_lshl_add_u32 v14, v14, 23, v15
	v_or3_b32 v10, v11, v14, v10
.LBB12_348:
	s_or_b64 exec, exec, s[6:7]
	s_movk_i32 s4, 0x7f
	v_cmp_gt_i16_sdwa s[6:7], v12, s4 src0_sel:BYTE_3 src1_sel:DWORD
	s_mov_b64 s[4:5], 0
                                        ; implicit-def: $sgpr10
	s_and_saveexec_b64 s[8:9], s[6:7]
	s_xor_b64 s[6:7], exec, s[8:9]
	s_cbranch_execnz .LBB12_2397
; %bb.349:
	s_or_saveexec_b64 s[6:7], s[6:7]
	v_mov_b32_e32 v11, s10
	s_xor_b64 exec, exec, s[6:7]
	s_cbranch_execnz .LBB12_2400
.LBB12_350:
	s_or_b64 exec, exec, s[6:7]
	s_and_saveexec_b64 s[6:7], s[4:5]
	s_cbranch_execz .LBB12_352
.LBB12_351:
	v_bfe_u32 v11, v12, 24, 3
	v_ffbh_u32_e32 v20, v11
	v_min_u32_e32 v20, 32, v20
	v_lshrrev_b32_e32 v15, 27, v12
	v_subrev_u32_e32 v21, 28, v20
	v_and_b32_e32 v14, 0x80000000, v12
	v_and_b32_e32 v15, 15, v15
	v_bfe_u32 v16, v12, 27, 4
	v_lshlrev_b32_sdwa v12, v21, v12 dst_sel:DWORD dst_unused:UNUSED_PAD src0_sel:DWORD src1_sel:BYTE_3
	v_sub_u32_e32 v20, 29, v20
	v_and_b32_e32 v12, 7, v12
	v_cmp_eq_u16_e32 vcc, 0, v15
	v_cndmask_b32_e32 v11, v11, v12, vcc
	v_cndmask_b32_e32 v12, v16, v20, vcc
	v_mov_b32_e32 v15, 0x3b800000
	v_lshlrev_b32_e32 v11, 20, v11
	v_lshl_add_u32 v12, v12, 23, v15
	v_or3_b32 v11, v14, v12, v11
.LBB12_352:
	s_or_b64 exec, exec, s[6:7]
	s_nop 0
	v_mfma_f32_16x16x4f32 a[0:3], v10, v11, a[0:3]
	s_movk_i32 s4, 0x7f
	v_cmp_gt_i16_sdwa s[6:7], v17, s4 src0_sel:BYTE_0 src1_sel:DWORD
	s_mov_b64 s[4:5], 0
                                        ; implicit-def: $sgpr10
	s_and_saveexec_b64 s[8:9], s[6:7]
	s_xor_b64 s[6:7], exec, s[8:9]
	s_cbranch_execnz .LBB12_2401
; %bb.353:
	s_or_saveexec_b64 s[6:7], s[6:7]
	v_mov_b32_e32 v10, s10
	s_xor_b64 exec, exec, s[6:7]
	s_cbranch_execnz .LBB12_2404
.LBB12_354:
	s_or_b64 exec, exec, s[6:7]
	s_and_saveexec_b64 s[6:7], s[4:5]
	s_cbranch_execz .LBB12_356
.LBB12_355:
	v_and_b32_e32 v10, 7, v17
	v_ffbh_u32_e32 v12, v10
	v_min_u32_e32 v12, 32, v12
	v_lshrrev_b16_e32 v11, 3, v17
	v_subrev_u32_e32 v14, 28, v12
	v_and_b32_e32 v11, 15, v11
	v_lshlrev_b32_e32 v14, v14, v17
	v_sub_u32_e32 v12, 29, v12
	v_and_b32_e32 v14, 7, v14
	v_cmp_eq_u16_e32 vcc, 0, v11
	v_cndmask_b32_e32 v10, v10, v14, vcc
	v_cndmask_b32_e32 v11, v11, v12, vcc
	v_lshlrev_b32_e32 v12, 24, v17
	v_mov_b32_e32 v14, 0x3b800000
	v_lshlrev_b32_e32 v10, 20, v10
	v_and_b32_e32 v12, 0x80000000, v12
	v_lshl_add_u32 v11, v11, 23, v14
	v_or3_b32 v10, v12, v11, v10
.LBB12_356:
	s_or_b64 exec, exec, s[6:7]
	s_movk_i32 s4, 0x7f
	v_cmp_gt_i16_sdwa s[6:7], v13, s4 src0_sel:BYTE_0 src1_sel:DWORD
	s_mov_b64 s[4:5], 0
                                        ; implicit-def: $sgpr10
	s_and_saveexec_b64 s[8:9], s[6:7]
	s_xor_b64 s[6:7], exec, s[8:9]
	s_cbranch_execnz .LBB12_2405
; %bb.357:
	s_or_saveexec_b64 s[6:7], s[6:7]
	v_mov_b32_e32 v11, s10
	s_xor_b64 exec, exec, s[6:7]
	s_cbranch_execnz .LBB12_2408
.LBB12_358:
	s_or_b64 exec, exec, s[6:7]
	s_and_saveexec_b64 s[6:7], s[4:5]
	s_cbranch_execz .LBB12_360
.LBB12_359:
	v_and_b32_e32 v11, 7, v13
	v_ffbh_u32_e32 v14, v11
	v_min_u32_e32 v14, 32, v14
	v_lshrrev_b16_e32 v12, 3, v13
	v_subrev_u32_e32 v15, 28, v14
	v_and_b32_e32 v12, 15, v12
	v_lshlrev_b32_e32 v15, v15, v13
	v_sub_u32_e32 v14, 29, v14
	v_and_b32_e32 v15, 7, v15
	v_cmp_eq_u16_e32 vcc, 0, v12
	v_cndmask_b32_e32 v11, v11, v15, vcc
	v_cndmask_b32_e32 v12, v12, v14, vcc
	v_lshlrev_b32_e32 v14, 24, v13
	v_mov_b32_e32 v15, 0x3b800000
	v_lshlrev_b32_e32 v11, 20, v11
	v_and_b32_e32 v14, 0x80000000, v14
	v_lshl_add_u32 v12, v12, 23, v15
	v_or3_b32 v11, v14, v12, v11
.LBB12_360:
	s_or_b64 exec, exec, s[6:7]
	s_nop 0
	v_mfma_f32_16x16x4f32 a[0:3], v10, v11, a[0:3]
	v_lshrrev_b32_e32 v11, 8, v17
	s_movk_i32 s4, 0x7f
	v_cmp_gt_i16_sdwa s[6:7], v11, s4 src0_sel:BYTE_0 src1_sel:DWORD
	s_mov_b64 s[4:5], 0
                                        ; implicit-def: $sgpr10
	s_and_saveexec_b64 s[8:9], s[6:7]
	s_xor_b64 s[6:7], exec, s[8:9]
	s_cbranch_execnz .LBB12_2409
; %bb.361:
	s_or_saveexec_b64 s[6:7], s[6:7]
	v_mov_b32_e32 v10, s10
	s_xor_b64 exec, exec, s[6:7]
	s_cbranch_execnz .LBB12_2412
.LBB12_362:
	s_or_b64 exec, exec, s[6:7]
	s_and_saveexec_b64 s[6:7], s[4:5]
	s_cbranch_execz .LBB12_364
.LBB12_363:
	v_bfe_u32 v10, v17, 8, 3
	v_ffbh_u32_e32 v14, v10
	v_min_u32_e32 v14, 32, v14
	v_lshrrev_b16_e32 v12, 3, v11
	v_subrev_u32_e32 v15, 28, v14
	v_and_b32_e32 v12, 15, v12
	v_lshlrev_b32_e32 v11, v15, v11
	v_sub_u32_e32 v14, 29, v14
	v_and_b32_e32 v11, 7, v11
	v_cmp_eq_u16_e32 vcc, 0, v12
	v_cndmask_b32_e32 v10, v10, v11, vcc
	v_cndmask_b32_e32 v11, v12, v14, vcc
	v_lshlrev_b32_e32 v12, 16, v17
	v_mov_b32_e32 v14, 0x3b800000
	v_lshlrev_b32_e32 v10, 20, v10
	v_and_b32_e32 v12, 0x80000000, v12
	v_lshl_add_u32 v11, v11, 23, v14
	v_or3_b32 v10, v12, v11, v10
.LBB12_364:
	s_or_b64 exec, exec, s[6:7]
	v_lshrrev_b32_e32 v11, 8, v13
	s_movk_i32 s4, 0x7f
	v_cmp_gt_i16_sdwa s[6:7], v11, s4 src0_sel:BYTE_0 src1_sel:DWORD
	s_mov_b64 s[4:5], 0
                                        ; implicit-def: $sgpr10
	s_and_saveexec_b64 s[8:9], s[6:7]
	s_xor_b64 s[6:7], exec, s[8:9]
	s_cbranch_execnz .LBB12_2413
; %bb.365:
	s_or_saveexec_b64 s[6:7], s[6:7]
	v_mov_b32_e32 v12, s10
	s_xor_b64 exec, exec, s[6:7]
	s_cbranch_execnz .LBB12_2416
.LBB12_366:
	s_or_b64 exec, exec, s[6:7]
	s_and_saveexec_b64 s[6:7], s[4:5]
	s_cbranch_execz .LBB12_368
.LBB12_367:
	v_bfe_u32 v12, v13, 8, 3
	v_ffbh_u32_e32 v15, v12
	v_min_u32_e32 v15, 32, v15
	v_lshrrev_b16_e32 v14, 3, v11
	v_subrev_u32_e32 v16, 28, v15
	v_and_b32_e32 v14, 15, v14
	v_lshlrev_b32_e32 v11, v16, v11
	v_sub_u32_e32 v15, 29, v15
	v_and_b32_e32 v11, 7, v11
	v_cmp_eq_u16_e32 vcc, 0, v14
	v_cndmask_b32_e32 v11, v12, v11, vcc
	v_cndmask_b32_e32 v12, v14, v15, vcc
	v_lshlrev_b32_e32 v14, 16, v13
	v_mov_b32_e32 v15, 0x3b800000
	v_lshlrev_b32_e32 v11, 20, v11
	v_and_b32_e32 v14, 0x80000000, v14
	v_lshl_add_u32 v12, v12, 23, v15
	v_or3_b32 v12, v14, v12, v11
.LBB12_368:
	s_or_b64 exec, exec, s[6:7]
	s_nop 0
	v_mfma_f32_16x16x4f32 a[0:3], v10, v12, a[0:3]
	s_movk_i32 s4, 0xff
	v_and_b32_sdwa v11, v17, s4 dst_sel:DWORD dst_unused:UNUSED_PAD src0_sel:WORD_1 src1_sel:DWORD
	s_movk_i32 s4, 0x7f
	v_cmp_lt_i16_e32 vcc, s4, v11
	s_mov_b64 s[4:5], 0
                                        ; implicit-def: $sgpr10
	s_and_saveexec_b64 s[6:7], vcc
	s_xor_b64 s[6:7], exec, s[6:7]
	s_cbranch_execnz .LBB12_2417
; %bb.369:
	s_or_saveexec_b64 s[6:7], s[6:7]
	v_mov_b32_e32 v10, s10
	s_xor_b64 exec, exec, s[6:7]
	s_cbranch_execnz .LBB12_2420
.LBB12_370:
	s_or_b64 exec, exec, s[6:7]
	s_and_saveexec_b64 s[6:7], s[4:5]
	s_cbranch_execz .LBB12_372
.LBB12_371:
	v_bfe_u32 v10, v17, 16, 3
	v_ffbh_u32_e32 v14, v10
	v_min_u32_e32 v14, 32, v14
	v_lshrrev_b32_e32 v11, 19, v17
	v_subrev_u32_e32 v15, 28, v14
	v_and_b32_e32 v11, 15, v11
	v_lshlrev_b32_sdwa v15, v15, v17 dst_sel:DWORD dst_unused:UNUSED_PAD src0_sel:DWORD src1_sel:WORD_1
	v_bfe_u32 v12, v17, 19, 4
	v_sub_u32_e32 v14, 29, v14
	v_and_b32_e32 v15, 7, v15
	v_cmp_eq_u16_e32 vcc, 0, v11
	v_cndmask_b32_e32 v10, v10, v15, vcc
	v_cndmask_b32_e32 v11, v12, v14, vcc
	v_lshlrev_b32_e32 v12, 8, v17
	v_mov_b32_e32 v14, 0x3b800000
	v_lshlrev_b32_e32 v10, 20, v10
	v_and_b32_e32 v12, 0x80000000, v12
	v_lshl_add_u32 v11, v11, 23, v14
	v_or3_b32 v10, v12, v11, v10
.LBB12_372:
	s_or_b64 exec, exec, s[6:7]
	s_movk_i32 s4, 0xff
	v_and_b32_sdwa v11, v13, s4 dst_sel:DWORD dst_unused:UNUSED_PAD src0_sel:WORD_1 src1_sel:DWORD
	s_movk_i32 s4, 0x7f
	v_cmp_lt_i16_e32 vcc, s4, v11
	s_mov_b64 s[4:5], 0
                                        ; implicit-def: $sgpr10
	s_and_saveexec_b64 s[6:7], vcc
	s_xor_b64 s[6:7], exec, s[6:7]
	s_cbranch_execnz .LBB12_2421
; %bb.373:
	s_or_saveexec_b64 s[6:7], s[6:7]
	v_mov_b32_e32 v12, s10
	s_xor_b64 exec, exec, s[6:7]
	s_cbranch_execnz .LBB12_2424
.LBB12_374:
	s_or_b64 exec, exec, s[6:7]
	s_and_saveexec_b64 s[6:7], s[4:5]
	s_cbranch_execz .LBB12_376
.LBB12_375:
	v_bfe_u32 v11, v13, 16, 3
	v_ffbh_u32_e32 v15, v11
	v_min_u32_e32 v15, 32, v15
	v_lshrrev_b32_e32 v12, 19, v13
	v_subrev_u32_e32 v16, 28, v15
	v_and_b32_e32 v12, 15, v12
	v_lshlrev_b32_sdwa v16, v16, v13 dst_sel:DWORD dst_unused:UNUSED_PAD src0_sel:DWORD src1_sel:WORD_1
	v_bfe_u32 v14, v13, 19, 4
	v_sub_u32_e32 v15, 29, v15
	v_and_b32_e32 v16, 7, v16
	v_cmp_eq_u16_e32 vcc, 0, v12
	v_cndmask_b32_e32 v11, v11, v16, vcc
	v_cndmask_b32_e32 v12, v14, v15, vcc
	v_lshlrev_b32_e32 v14, 8, v13
	v_mov_b32_e32 v15, 0x3b800000
	v_lshlrev_b32_e32 v11, 20, v11
	v_and_b32_e32 v14, 0x80000000, v14
	v_lshl_add_u32 v12, v12, 23, v15
	v_or3_b32 v12, v14, v12, v11
.LBB12_376:
	s_or_b64 exec, exec, s[6:7]
	s_nop 0
	v_mfma_f32_16x16x4f32 a[0:3], v10, v12, a[0:3]
	s_movk_i32 s4, 0x7f
	v_cmp_gt_i16_sdwa s[6:7], v17, s4 src0_sel:BYTE_3 src1_sel:DWORD
	s_mov_b64 s[4:5], 0
                                        ; implicit-def: $sgpr10
	s_and_saveexec_b64 s[8:9], s[6:7]
	s_xor_b64 s[6:7], exec, s[8:9]
	s_cbranch_execnz .LBB12_2425
; %bb.377:
	s_or_saveexec_b64 s[6:7], s[6:7]
	v_mov_b32_e32 v10, s10
	s_xor_b64 exec, exec, s[6:7]
	s_cbranch_execnz .LBB12_2428
.LBB12_378:
	s_or_b64 exec, exec, s[6:7]
	s_and_saveexec_b64 s[6:7], s[4:5]
	s_cbranch_execz .LBB12_380
.LBB12_379:
	v_bfe_u32 v10, v17, 24, 3
	v_ffbh_u32_e32 v15, v10
	v_min_u32_e32 v15, 32, v15
	v_lshrrev_b32_e32 v12, 27, v17
	v_subrev_u32_e32 v16, 28, v15
	v_and_b32_e32 v12, 15, v12
	v_lshlrev_b32_sdwa v16, v16, v17 dst_sel:DWORD dst_unused:UNUSED_PAD src0_sel:DWORD src1_sel:BYTE_3
	v_bfe_u32 v14, v17, 27, 4
	v_sub_u32_e32 v15, 29, v15
	v_and_b32_e32 v16, 7, v16
	v_cmp_eq_u16_e32 vcc, 0, v12
	v_cndmask_b32_e32 v10, v10, v16, vcc
	v_cndmask_b32_e32 v12, v14, v15, vcc
	v_mov_b32_e32 v14, 0x3b800000
	v_and_b32_e32 v11, 0x80000000, v17
	v_lshlrev_b32_e32 v10, 20, v10
	v_lshl_add_u32 v12, v12, 23, v14
	v_or3_b32 v10, v11, v12, v10
.LBB12_380:
	s_or_b64 exec, exec, s[6:7]
	s_movk_i32 s4, 0x7f
	v_cmp_gt_i16_sdwa s[6:7], v13, s4 src0_sel:BYTE_3 src1_sel:DWORD
	s_mov_b64 s[4:5], 0
                                        ; implicit-def: $sgpr10
	s_and_saveexec_b64 s[8:9], s[6:7]
	s_xor_b64 s[6:7], exec, s[8:9]
	s_cbranch_execnz .LBB12_2429
; %bb.381:
	s_or_saveexec_b64 s[6:7], s[6:7]
	v_mov_b32_e32 v11, s10
	s_xor_b64 exec, exec, s[6:7]
	s_cbranch_execnz .LBB12_2432
.LBB12_382:
	s_or_b64 exec, exec, s[6:7]
	s_and_saveexec_b64 s[6:7], s[4:5]
	s_cbranch_execz .LBB12_384
.LBB12_383:
	v_bfe_u32 v11, v13, 24, 3
	v_ffbh_u32_e32 v16, v11
	v_min_u32_e32 v16, 32, v16
	v_lshrrev_b32_e32 v14, 27, v13
	v_subrev_u32_e32 v17, 28, v16
	v_and_b32_e32 v12, 0x80000000, v13
	v_and_b32_e32 v14, 15, v14
	v_bfe_u32 v15, v13, 27, 4
	v_lshlrev_b32_sdwa v13, v17, v13 dst_sel:DWORD dst_unused:UNUSED_PAD src0_sel:DWORD src1_sel:BYTE_3
	v_sub_u32_e32 v16, 29, v16
	v_and_b32_e32 v13, 7, v13
	v_cmp_eq_u16_e32 vcc, 0, v14
	v_cndmask_b32_e32 v11, v11, v13, vcc
	v_cndmask_b32_e32 v13, v15, v16, vcc
	v_mov_b32_e32 v14, 0x3b800000
	v_lshlrev_b32_e32 v11, 20, v11
	v_lshl_add_u32 v13, v13, 23, v14
	v_or3_b32 v11, v12, v13, v11
.LBB12_384:
	s_or_b64 exec, exec, s[6:7]
	s_nop 0
	v_mfma_f32_16x16x4f32 a[0:3], v10, v11, a[0:3]
	s_movk_i32 s4, 0x7f
	v_cmp_gt_i16_sdwa s[6:7], v6, s4 src0_sel:BYTE_0 src1_sel:DWORD
	s_mov_b64 s[4:5], 0
                                        ; implicit-def: $sgpr10
	s_and_saveexec_b64 s[8:9], s[6:7]
	s_xor_b64 s[6:7], exec, s[8:9]
	s_cbranch_execnz .LBB12_2433
; %bb.385:
	s_or_saveexec_b64 s[6:7], s[6:7]
	v_mov_b32_e32 v10, s10
	s_xor_b64 exec, exec, s[6:7]
	s_cbranch_execnz .LBB12_2436
.LBB12_386:
	s_or_b64 exec, exec, s[6:7]
	s_and_saveexec_b64 s[6:7], s[4:5]
	s_cbranch_execz .LBB12_388
.LBB12_387:
	v_and_b32_e32 v10, 7, v6
	v_ffbh_u32_e32 v12, v10
	v_min_u32_e32 v12, 32, v12
	v_lshrrev_b16_e32 v11, 3, v6
	v_subrev_u32_e32 v13, 28, v12
	v_and_b32_e32 v11, 15, v11
	v_lshlrev_b32_e32 v13, v13, v6
	v_sub_u32_e32 v12, 29, v12
	v_and_b32_e32 v13, 7, v13
	v_cmp_eq_u16_e32 vcc, 0, v11
	v_cndmask_b32_e32 v10, v10, v13, vcc
	v_cndmask_b32_e32 v11, v11, v12, vcc
	v_lshlrev_b32_e32 v12, 24, v6
	v_mov_b32_e32 v13, 0x3b800000
	v_lshlrev_b32_e32 v10, 20, v10
	v_and_b32_e32 v12, 0x80000000, v12
	v_lshl_add_u32 v11, v11, 23, v13
	v_or3_b32 v10, v12, v11, v10
.LBB12_388:
	s_or_b64 exec, exec, s[6:7]
	s_movk_i32 s4, 0x7f
	v_cmp_gt_i16_sdwa s[6:7], v2, s4 src0_sel:BYTE_0 src1_sel:DWORD
	s_mov_b64 s[4:5], 0
                                        ; implicit-def: $sgpr10
	s_and_saveexec_b64 s[8:9], s[6:7]
	s_xor_b64 s[6:7], exec, s[8:9]
	s_cbranch_execnz .LBB12_2437
; %bb.389:
	s_or_saveexec_b64 s[6:7], s[6:7]
	v_mov_b32_e32 v11, s10
	s_xor_b64 exec, exec, s[6:7]
	s_cbranch_execnz .LBB12_2440
.LBB12_390:
	s_or_b64 exec, exec, s[6:7]
	s_and_saveexec_b64 s[6:7], s[4:5]
	s_cbranch_execz .LBB12_392
.LBB12_391:
	v_and_b32_e32 v11, 7, v2
	v_ffbh_u32_e32 v13, v11
	v_min_u32_e32 v13, 32, v13
	v_lshrrev_b16_e32 v12, 3, v2
	v_subrev_u32_e32 v14, 28, v13
	v_and_b32_e32 v12, 15, v12
	v_lshlrev_b32_e32 v14, v14, v2
	v_sub_u32_e32 v13, 29, v13
	v_and_b32_e32 v14, 7, v14
	v_cmp_eq_u16_e32 vcc, 0, v12
	v_cndmask_b32_e32 v11, v11, v14, vcc
	v_cndmask_b32_e32 v12, v12, v13, vcc
	v_lshlrev_b32_e32 v13, 24, v2
	v_mov_b32_e32 v14, 0x3b800000
	v_lshlrev_b32_e32 v11, 20, v11
	v_and_b32_e32 v13, 0x80000000, v13
	v_lshl_add_u32 v12, v12, 23, v14
	v_or3_b32 v11, v13, v12, v11
.LBB12_392:
	s_or_b64 exec, exec, s[6:7]
	s_nop 0
	v_mfma_f32_16x16x4f32 a[0:3], v10, v11, a[0:3]
	v_lshrrev_b32_e32 v11, 8, v6
	s_movk_i32 s4, 0x7f
	v_cmp_gt_i16_sdwa s[6:7], v11, s4 src0_sel:BYTE_0 src1_sel:DWORD
	s_mov_b64 s[4:5], 0
                                        ; implicit-def: $sgpr10
	s_and_saveexec_b64 s[8:9], s[6:7]
	s_xor_b64 s[6:7], exec, s[8:9]
	s_cbranch_execnz .LBB12_2441
; %bb.393:
	s_or_saveexec_b64 s[6:7], s[6:7]
	v_mov_b32_e32 v10, s10
	s_xor_b64 exec, exec, s[6:7]
	s_cbranch_execnz .LBB12_2444
.LBB12_394:
	s_or_b64 exec, exec, s[6:7]
	s_and_saveexec_b64 s[6:7], s[4:5]
	s_cbranch_execz .LBB12_396
.LBB12_395:
	v_bfe_u32 v10, v6, 8, 3
	v_ffbh_u32_e32 v13, v10
	v_min_u32_e32 v13, 32, v13
	v_lshrrev_b16_e32 v12, 3, v11
	v_subrev_u32_e32 v14, 28, v13
	v_and_b32_e32 v12, 15, v12
	v_lshlrev_b32_e32 v11, v14, v11
	v_sub_u32_e32 v13, 29, v13
	v_and_b32_e32 v11, 7, v11
	v_cmp_eq_u16_e32 vcc, 0, v12
	v_cndmask_b32_e32 v10, v10, v11, vcc
	v_cndmask_b32_e32 v11, v12, v13, vcc
	v_lshlrev_b32_e32 v12, 16, v6
	v_mov_b32_e32 v13, 0x3b800000
	v_lshlrev_b32_e32 v10, 20, v10
	v_and_b32_e32 v12, 0x80000000, v12
	v_lshl_add_u32 v11, v11, 23, v13
	v_or3_b32 v10, v12, v11, v10
.LBB12_396:
	s_or_b64 exec, exec, s[6:7]
	v_lshrrev_b32_e32 v11, 8, v2
	s_movk_i32 s4, 0x7f
	v_cmp_gt_i16_sdwa s[6:7], v11, s4 src0_sel:BYTE_0 src1_sel:DWORD
	s_mov_b64 s[4:5], 0
                                        ; implicit-def: $sgpr10
	s_and_saveexec_b64 s[8:9], s[6:7]
	s_xor_b64 s[6:7], exec, s[8:9]
	s_cbranch_execnz .LBB12_2445
; %bb.397:
	s_or_saveexec_b64 s[6:7], s[6:7]
	v_mov_b32_e32 v12, s10
	s_xor_b64 exec, exec, s[6:7]
	s_cbranch_execnz .LBB12_2448
.LBB12_398:
	s_or_b64 exec, exec, s[6:7]
	s_and_saveexec_b64 s[6:7], s[4:5]
	s_cbranch_execz .LBB12_400
.LBB12_399:
	v_bfe_u32 v12, v2, 8, 3
	v_ffbh_u32_e32 v14, v12
	v_min_u32_e32 v14, 32, v14
	v_lshrrev_b16_e32 v13, 3, v11
	v_subrev_u32_e32 v15, 28, v14
	v_and_b32_e32 v13, 15, v13
	v_lshlrev_b32_e32 v11, v15, v11
	v_sub_u32_e32 v14, 29, v14
	v_and_b32_e32 v11, 7, v11
	v_cmp_eq_u16_e32 vcc, 0, v13
	v_cndmask_b32_e32 v11, v12, v11, vcc
	v_cndmask_b32_e32 v12, v13, v14, vcc
	v_lshlrev_b32_e32 v13, 16, v2
	v_mov_b32_e32 v14, 0x3b800000
	v_lshlrev_b32_e32 v11, 20, v11
	v_and_b32_e32 v13, 0x80000000, v13
	v_lshl_add_u32 v12, v12, 23, v14
	v_or3_b32 v12, v13, v12, v11
.LBB12_400:
	s_or_b64 exec, exec, s[6:7]
	s_nop 0
	v_mfma_f32_16x16x4f32 a[0:3], v10, v12, a[0:3]
	s_movk_i32 s4, 0xff
	v_and_b32_sdwa v11, v6, s4 dst_sel:DWORD dst_unused:UNUSED_PAD src0_sel:WORD_1 src1_sel:DWORD
	s_movk_i32 s4, 0x7f
	v_cmp_lt_i16_e32 vcc, s4, v11
	s_mov_b64 s[4:5], 0
                                        ; implicit-def: $sgpr10
	s_and_saveexec_b64 s[6:7], vcc
	s_xor_b64 s[6:7], exec, s[6:7]
	s_cbranch_execnz .LBB12_2449
; %bb.401:
	s_or_saveexec_b64 s[6:7], s[6:7]
	v_mov_b32_e32 v10, s10
	s_xor_b64 exec, exec, s[6:7]
	s_cbranch_execnz .LBB12_2452
.LBB12_402:
	s_or_b64 exec, exec, s[6:7]
	s_and_saveexec_b64 s[6:7], s[4:5]
	s_cbranch_execz .LBB12_404
.LBB12_403:
	v_bfe_u32 v10, v6, 16, 3
	v_ffbh_u32_e32 v13, v10
	v_min_u32_e32 v13, 32, v13
	v_lshrrev_b32_e32 v11, 19, v6
	v_subrev_u32_e32 v14, 28, v13
	v_and_b32_e32 v11, 15, v11
	v_lshlrev_b32_sdwa v14, v14, v6 dst_sel:DWORD dst_unused:UNUSED_PAD src0_sel:DWORD src1_sel:WORD_1
	v_bfe_u32 v12, v6, 19, 4
	v_sub_u32_e32 v13, 29, v13
	v_and_b32_e32 v14, 7, v14
	v_cmp_eq_u16_e32 vcc, 0, v11
	v_cndmask_b32_e32 v10, v10, v14, vcc
	v_cndmask_b32_e32 v11, v12, v13, vcc
	v_lshlrev_b32_e32 v12, 8, v6
	v_mov_b32_e32 v13, 0x3b800000
	v_lshlrev_b32_e32 v10, 20, v10
	v_and_b32_e32 v12, 0x80000000, v12
	v_lshl_add_u32 v11, v11, 23, v13
	v_or3_b32 v10, v12, v11, v10
.LBB12_404:
	s_or_b64 exec, exec, s[6:7]
	s_movk_i32 s4, 0xff
	v_and_b32_sdwa v11, v2, s4 dst_sel:DWORD dst_unused:UNUSED_PAD src0_sel:WORD_1 src1_sel:DWORD
	s_movk_i32 s4, 0x7f
	v_cmp_lt_i16_e32 vcc, s4, v11
	s_mov_b64 s[4:5], 0
                                        ; implicit-def: $sgpr10
	s_and_saveexec_b64 s[6:7], vcc
	s_xor_b64 s[6:7], exec, s[6:7]
	s_cbranch_execnz .LBB12_2453
; %bb.405:
	s_or_saveexec_b64 s[6:7], s[6:7]
	v_mov_b32_e32 v12, s10
	s_xor_b64 exec, exec, s[6:7]
	s_cbranch_execnz .LBB12_2456
.LBB12_406:
	s_or_b64 exec, exec, s[6:7]
	s_and_saveexec_b64 s[6:7], s[4:5]
	s_cbranch_execz .LBB12_408
.LBB12_407:
	v_bfe_u32 v11, v2, 16, 3
	v_ffbh_u32_e32 v14, v11
	v_min_u32_e32 v14, 32, v14
	v_lshrrev_b32_e32 v12, 19, v2
	v_subrev_u32_e32 v15, 28, v14
	v_and_b32_e32 v12, 15, v12
	v_lshlrev_b32_sdwa v15, v15, v2 dst_sel:DWORD dst_unused:UNUSED_PAD src0_sel:DWORD src1_sel:WORD_1
	v_bfe_u32 v13, v2, 19, 4
	v_sub_u32_e32 v14, 29, v14
	v_and_b32_e32 v15, 7, v15
	v_cmp_eq_u16_e32 vcc, 0, v12
	v_cndmask_b32_e32 v11, v11, v15, vcc
	v_cndmask_b32_e32 v12, v13, v14, vcc
	v_lshlrev_b32_e32 v13, 8, v2
	v_mov_b32_e32 v14, 0x3b800000
	v_lshlrev_b32_e32 v11, 20, v11
	v_and_b32_e32 v13, 0x80000000, v13
	v_lshl_add_u32 v12, v12, 23, v14
	v_or3_b32 v12, v13, v12, v11
.LBB12_408:
	s_or_b64 exec, exec, s[6:7]
	s_nop 0
	v_mfma_f32_16x16x4f32 a[0:3], v10, v12, a[0:3]
	s_movk_i32 s4, 0x7f
	v_cmp_gt_i16_sdwa s[6:7], v6, s4 src0_sel:BYTE_3 src1_sel:DWORD
	s_mov_b64 s[4:5], 0
                                        ; implicit-def: $sgpr10
	s_and_saveexec_b64 s[8:9], s[6:7]
	s_xor_b64 s[6:7], exec, s[8:9]
	s_cbranch_execnz .LBB12_2457
; %bb.409:
	s_or_saveexec_b64 s[6:7], s[6:7]
	v_mov_b32_e32 v10, s10
	s_xor_b64 exec, exec, s[6:7]
	s_cbranch_execnz .LBB12_2460
.LBB12_410:
	s_or_b64 exec, exec, s[6:7]
	s_and_saveexec_b64 s[6:7], s[4:5]
	s_cbranch_execz .LBB12_412
.LBB12_411:
	v_bfe_u32 v10, v6, 24, 3
	v_ffbh_u32_e32 v14, v10
	v_min_u32_e32 v14, 32, v14
	v_lshrrev_b32_e32 v12, 27, v6
	v_subrev_u32_e32 v15, 28, v14
	v_and_b32_e32 v11, 0x80000000, v6
	v_and_b32_e32 v12, 15, v12
	v_bfe_u32 v13, v6, 27, 4
	v_lshlrev_b32_sdwa v6, v15, v6 dst_sel:DWORD dst_unused:UNUSED_PAD src0_sel:DWORD src1_sel:BYTE_3
	v_sub_u32_e32 v14, 29, v14
	v_and_b32_e32 v6, 7, v6
	v_cmp_eq_u16_e32 vcc, 0, v12
	v_cndmask_b32_e32 v6, v10, v6, vcc
	v_cndmask_b32_e32 v10, v13, v14, vcc
	v_mov_b32_e32 v12, 0x3b800000
	v_lshlrev_b32_e32 v6, 20, v6
	v_lshl_add_u32 v10, v10, 23, v12
	v_or3_b32 v10, v11, v10, v6
.LBB12_412:
	s_or_b64 exec, exec, s[6:7]
	s_movk_i32 s4, 0x7f
	v_cmp_gt_i16_sdwa s[6:7], v2, s4 src0_sel:BYTE_3 src1_sel:DWORD
	s_mov_b64 s[4:5], 0
                                        ; implicit-def: $sgpr10
	s_and_saveexec_b64 s[8:9], s[6:7]
	s_xor_b64 s[6:7], exec, s[8:9]
	s_cbranch_execnz .LBB12_2461
; %bb.413:
	s_or_saveexec_b64 s[6:7], s[6:7]
	v_mov_b32_e32 v6, s10
	s_xor_b64 exec, exec, s[6:7]
	s_cbranch_execnz .LBB12_2464
.LBB12_414:
	s_or_b64 exec, exec, s[6:7]
	s_and_saveexec_b64 s[6:7], s[4:5]
	s_cbranch_execz .LBB12_416
.LBB12_415:
	v_bfe_u32 v6, v2, 24, 3
	v_ffbh_u32_e32 v14, v6
	v_min_u32_e32 v14, 32, v14
	v_lshrrev_b32_e32 v12, 27, v2
	v_subrev_u32_e32 v15, 28, v14
	v_and_b32_e32 v11, 0x80000000, v2
	v_and_b32_e32 v12, 15, v12
	v_bfe_u32 v13, v2, 27, 4
	v_lshlrev_b32_sdwa v2, v15, v2 dst_sel:DWORD dst_unused:UNUSED_PAD src0_sel:DWORD src1_sel:BYTE_3
	v_sub_u32_e32 v14, 29, v14
	v_and_b32_e32 v2, 7, v2
	v_cmp_eq_u16_e32 vcc, 0, v12
	v_cndmask_b32_e32 v2, v6, v2, vcc
	v_cndmask_b32_e32 v6, v13, v14, vcc
	v_mov_b32_e32 v12, 0x3b800000
	v_lshlrev_b32_e32 v2, 20, v2
	v_lshl_add_u32 v6, v6, 23, v12
	v_or3_b32 v6, v11, v6, v2
.LBB12_416:
	s_or_b64 exec, exec, s[6:7]
	s_nop 0
	v_mfma_f32_16x16x4f32 a[0:3], v10, v6, a[0:3]
	s_movk_i32 s4, 0x7f
	v_cmp_gt_i16_sdwa s[6:7], v7, s4 src0_sel:BYTE_0 src1_sel:DWORD
	s_mov_b64 s[4:5], 0
                                        ; implicit-def: $sgpr10
	s_and_saveexec_b64 s[8:9], s[6:7]
	s_xor_b64 s[6:7], exec, s[8:9]
	s_cbranch_execnz .LBB12_2465
; %bb.417:
	s_or_saveexec_b64 s[6:7], s[6:7]
	v_mov_b32_e32 v2, s10
	s_xor_b64 exec, exec, s[6:7]
	s_cbranch_execnz .LBB12_2468
.LBB12_418:
	s_or_b64 exec, exec, s[6:7]
	s_and_saveexec_b64 s[6:7], s[4:5]
	s_cbranch_execz .LBB12_420
.LBB12_419:
	v_and_b32_e32 v2, 7, v7
	v_ffbh_u32_e32 v10, v2
	v_min_u32_e32 v10, 32, v10
	v_lshrrev_b16_e32 v6, 3, v7
	v_subrev_u32_e32 v11, 28, v10
	v_and_b32_e32 v6, 15, v6
	v_lshlrev_b32_e32 v11, v11, v7
	v_sub_u32_e32 v10, 29, v10
	v_and_b32_e32 v11, 7, v11
	v_cmp_eq_u16_e32 vcc, 0, v6
	v_cndmask_b32_e32 v2, v2, v11, vcc
	v_cndmask_b32_e32 v6, v6, v10, vcc
	v_lshlrev_b32_e32 v10, 24, v7
	v_mov_b32_e32 v11, 0x3b800000
	v_lshlrev_b32_e32 v2, 20, v2
	v_and_b32_e32 v10, 0x80000000, v10
	v_lshl_add_u32 v6, v6, 23, v11
	v_or3_b32 v2, v10, v6, v2
.LBB12_420:
	s_or_b64 exec, exec, s[6:7]
	s_movk_i32 s4, 0x7f
	v_cmp_gt_i16_sdwa s[6:7], v3, s4 src0_sel:BYTE_0 src1_sel:DWORD
	s_mov_b64 s[4:5], 0
                                        ; implicit-def: $sgpr10
	s_and_saveexec_b64 s[8:9], s[6:7]
	s_xor_b64 s[6:7], exec, s[8:9]
	s_cbranch_execnz .LBB12_2469
; %bb.421:
	s_or_saveexec_b64 s[6:7], s[6:7]
	v_mov_b32_e32 v6, s10
	s_xor_b64 exec, exec, s[6:7]
	s_cbranch_execnz .LBB12_2472
.LBB12_422:
	s_or_b64 exec, exec, s[6:7]
	s_and_saveexec_b64 s[6:7], s[4:5]
	s_cbranch_execz .LBB12_424
.LBB12_423:
	v_and_b32_e32 v6, 7, v3
	v_ffbh_u32_e32 v11, v6
	v_min_u32_e32 v11, 32, v11
	v_lshrrev_b16_e32 v10, 3, v3
	v_subrev_u32_e32 v12, 28, v11
	v_and_b32_e32 v10, 15, v10
	v_lshlrev_b32_e32 v12, v12, v3
	v_sub_u32_e32 v11, 29, v11
	v_and_b32_e32 v12, 7, v12
	v_cmp_eq_u16_e32 vcc, 0, v10
	v_cndmask_b32_e32 v6, v6, v12, vcc
	v_cndmask_b32_e32 v10, v10, v11, vcc
	v_lshlrev_b32_e32 v11, 24, v3
	v_mov_b32_e32 v12, 0x3b800000
	v_lshlrev_b32_e32 v6, 20, v6
	v_and_b32_e32 v11, 0x80000000, v11
	v_lshl_add_u32 v10, v10, 23, v12
	v_or3_b32 v6, v11, v10, v6
.LBB12_424:
	s_or_b64 exec, exec, s[6:7]
	s_nop 0
	v_mfma_f32_16x16x4f32 a[0:3], v2, v6, a[0:3]
	v_lshrrev_b32_e32 v6, 8, v7
	s_movk_i32 s4, 0x7f
	v_cmp_gt_i16_sdwa s[6:7], v6, s4 src0_sel:BYTE_0 src1_sel:DWORD
	s_mov_b64 s[4:5], 0
                                        ; implicit-def: $sgpr10
	s_and_saveexec_b64 s[8:9], s[6:7]
	s_xor_b64 s[6:7], exec, s[8:9]
	s_cbranch_execnz .LBB12_2473
; %bb.425:
	s_or_saveexec_b64 s[6:7], s[6:7]
	v_mov_b32_e32 v2, s10
	s_xor_b64 exec, exec, s[6:7]
	s_cbranch_execnz .LBB12_2476
.LBB12_426:
	s_or_b64 exec, exec, s[6:7]
	s_and_saveexec_b64 s[6:7], s[4:5]
	s_cbranch_execz .LBB12_428
.LBB12_427:
	v_bfe_u32 v2, v7, 8, 3
	v_ffbh_u32_e32 v11, v2
	v_min_u32_e32 v11, 32, v11
	v_lshrrev_b16_e32 v10, 3, v6
	v_subrev_u32_e32 v12, 28, v11
	v_and_b32_e32 v10, 15, v10
	v_lshlrev_b32_e32 v6, v12, v6
	v_sub_u32_e32 v11, 29, v11
	v_and_b32_e32 v6, 7, v6
	v_cmp_eq_u16_e32 vcc, 0, v10
	v_cndmask_b32_e32 v2, v2, v6, vcc
	v_cndmask_b32_e32 v6, v10, v11, vcc
	v_lshlrev_b32_e32 v10, 16, v7
	v_mov_b32_e32 v11, 0x3b800000
	v_lshlrev_b32_e32 v2, 20, v2
	v_and_b32_e32 v10, 0x80000000, v10
	v_lshl_add_u32 v6, v6, 23, v11
	v_or3_b32 v2, v10, v6, v2
.LBB12_428:
	s_or_b64 exec, exec, s[6:7]
	v_lshrrev_b32_e32 v6, 8, v3
	s_movk_i32 s4, 0x7f
	v_cmp_gt_i16_sdwa s[6:7], v6, s4 src0_sel:BYTE_0 src1_sel:DWORD
	s_mov_b64 s[4:5], 0
                                        ; implicit-def: $sgpr10
	s_and_saveexec_b64 s[8:9], s[6:7]
	s_xor_b64 s[6:7], exec, s[8:9]
	s_cbranch_execnz .LBB12_2477
; %bb.429:
	s_or_saveexec_b64 s[6:7], s[6:7]
	v_mov_b32_e32 v10, s10
	s_xor_b64 exec, exec, s[6:7]
	s_cbranch_execnz .LBB12_2480
.LBB12_430:
	s_or_b64 exec, exec, s[6:7]
	s_and_saveexec_b64 s[6:7], s[4:5]
	s_cbranch_execz .LBB12_432
.LBB12_431:
	v_bfe_u32 v10, v3, 8, 3
	v_ffbh_u32_e32 v12, v10
	v_min_u32_e32 v12, 32, v12
	v_lshrrev_b16_e32 v11, 3, v6
	v_subrev_u32_e32 v13, 28, v12
	v_and_b32_e32 v11, 15, v11
	v_lshlrev_b32_e32 v6, v13, v6
	v_sub_u32_e32 v12, 29, v12
	v_and_b32_e32 v6, 7, v6
	v_cmp_eq_u16_e32 vcc, 0, v11
	v_cndmask_b32_e32 v6, v10, v6, vcc
	v_cndmask_b32_e32 v10, v11, v12, vcc
	v_lshlrev_b32_e32 v11, 16, v3
	v_mov_b32_e32 v12, 0x3b800000
	v_lshlrev_b32_e32 v6, 20, v6
	v_and_b32_e32 v11, 0x80000000, v11
	v_lshl_add_u32 v10, v10, 23, v12
	v_or3_b32 v10, v11, v10, v6
.LBB12_432:
	s_or_b64 exec, exec, s[6:7]
	s_nop 0
	v_mfma_f32_16x16x4f32 a[0:3], v2, v10, a[0:3]
	s_movk_i32 s4, 0xff
	v_and_b32_sdwa v6, v7, s4 dst_sel:DWORD dst_unused:UNUSED_PAD src0_sel:WORD_1 src1_sel:DWORD
	s_movk_i32 s4, 0x7f
	v_cmp_lt_i16_e32 vcc, s4, v6
	s_mov_b64 s[4:5], 0
                                        ; implicit-def: $sgpr10
	s_and_saveexec_b64 s[6:7], vcc
	s_xor_b64 s[6:7], exec, s[6:7]
	s_cbranch_execnz .LBB12_2481
; %bb.433:
	s_or_saveexec_b64 s[6:7], s[6:7]
	v_mov_b32_e32 v2, s10
	s_xor_b64 exec, exec, s[6:7]
	s_cbranch_execnz .LBB12_2484
.LBB12_434:
	s_or_b64 exec, exec, s[6:7]
	s_and_saveexec_b64 s[6:7], s[4:5]
	s_cbranch_execz .LBB12_436
.LBB12_435:
	v_bfe_u32 v2, v7, 16, 3
	v_ffbh_u32_e32 v11, v2
	v_min_u32_e32 v11, 32, v11
	v_lshrrev_b32_e32 v6, 19, v7
	v_subrev_u32_e32 v12, 28, v11
	v_and_b32_e32 v6, 15, v6
	v_lshlrev_b32_sdwa v12, v12, v7 dst_sel:DWORD dst_unused:UNUSED_PAD src0_sel:DWORD src1_sel:WORD_1
	v_bfe_u32 v10, v7, 19, 4
	v_sub_u32_e32 v11, 29, v11
	v_and_b32_e32 v12, 7, v12
	v_cmp_eq_u16_e32 vcc, 0, v6
	v_cndmask_b32_e32 v2, v2, v12, vcc
	v_cndmask_b32_e32 v6, v10, v11, vcc
	v_lshlrev_b32_e32 v10, 8, v7
	v_mov_b32_e32 v11, 0x3b800000
	v_lshlrev_b32_e32 v2, 20, v2
	v_and_b32_e32 v10, 0x80000000, v10
	v_lshl_add_u32 v6, v6, 23, v11
	v_or3_b32 v2, v10, v6, v2
.LBB12_436:
	s_or_b64 exec, exec, s[6:7]
	s_movk_i32 s4, 0xff
	v_and_b32_sdwa v6, v3, s4 dst_sel:DWORD dst_unused:UNUSED_PAD src0_sel:WORD_1 src1_sel:DWORD
	s_movk_i32 s4, 0x7f
	v_cmp_lt_i16_e32 vcc, s4, v6
	s_mov_b64 s[4:5], 0
                                        ; implicit-def: $sgpr10
	s_and_saveexec_b64 s[6:7], vcc
	s_xor_b64 s[6:7], exec, s[6:7]
	s_cbranch_execnz .LBB12_2485
; %bb.437:
	s_or_saveexec_b64 s[6:7], s[6:7]
	v_mov_b32_e32 v10, s10
	s_xor_b64 exec, exec, s[6:7]
	s_cbranch_execnz .LBB12_2488
.LBB12_438:
	s_or_b64 exec, exec, s[6:7]
	s_and_saveexec_b64 s[6:7], s[4:5]
	s_cbranch_execz .LBB12_440
.LBB12_439:
	v_bfe_u32 v6, v3, 16, 3
	v_ffbh_u32_e32 v12, v6
	v_min_u32_e32 v12, 32, v12
	v_lshrrev_b32_e32 v10, 19, v3
	v_subrev_u32_e32 v13, 28, v12
	v_and_b32_e32 v10, 15, v10
	v_lshlrev_b32_sdwa v13, v13, v3 dst_sel:DWORD dst_unused:UNUSED_PAD src0_sel:DWORD src1_sel:WORD_1
	v_bfe_u32 v11, v3, 19, 4
	v_sub_u32_e32 v12, 29, v12
	v_and_b32_e32 v13, 7, v13
	v_cmp_eq_u16_e32 vcc, 0, v10
	v_cndmask_b32_e32 v6, v6, v13, vcc
	v_cndmask_b32_e32 v10, v11, v12, vcc
	v_lshlrev_b32_e32 v11, 8, v3
	v_mov_b32_e32 v12, 0x3b800000
	v_lshlrev_b32_e32 v6, 20, v6
	v_and_b32_e32 v11, 0x80000000, v11
	v_lshl_add_u32 v10, v10, 23, v12
	v_or3_b32 v10, v11, v10, v6
.LBB12_440:
	s_or_b64 exec, exec, s[6:7]
	s_nop 0
	v_mfma_f32_16x16x4f32 a[0:3], v2, v10, a[0:3]
	s_movk_i32 s4, 0x7f
	v_cmp_gt_i16_sdwa s[6:7], v7, s4 src0_sel:BYTE_3 src1_sel:DWORD
	s_mov_b64 s[4:5], 0
                                        ; implicit-def: $sgpr10
	s_and_saveexec_b64 s[8:9], s[6:7]
	s_xor_b64 s[6:7], exec, s[8:9]
	s_cbranch_execnz .LBB12_2489
; %bb.441:
	s_or_saveexec_b64 s[6:7], s[6:7]
	v_mov_b32_e32 v2, s10
	s_xor_b64 exec, exec, s[6:7]
	s_cbranch_execnz .LBB12_2492
.LBB12_442:
	s_or_b64 exec, exec, s[6:7]
	s_and_saveexec_b64 s[6:7], s[4:5]
	s_cbranch_execz .LBB12_444
.LBB12_443:
	v_bfe_u32 v2, v7, 24, 3
	v_ffbh_u32_e32 v12, v2
	v_min_u32_e32 v12, 32, v12
	v_lshrrev_b32_e32 v10, 27, v7
	v_subrev_u32_e32 v13, 28, v12
	v_and_b32_e32 v6, 0x80000000, v7
	v_and_b32_e32 v10, 15, v10
	v_bfe_u32 v11, v7, 27, 4
	v_lshlrev_b32_sdwa v7, v13, v7 dst_sel:DWORD dst_unused:UNUSED_PAD src0_sel:DWORD src1_sel:BYTE_3
	v_sub_u32_e32 v12, 29, v12
	v_and_b32_e32 v7, 7, v7
	v_cmp_eq_u16_e32 vcc, 0, v10
	v_cndmask_b32_e32 v2, v2, v7, vcc
	v_cndmask_b32_e32 v7, v11, v12, vcc
	v_mov_b32_e32 v10, 0x3b800000
	v_lshlrev_b32_e32 v2, 20, v2
	v_lshl_add_u32 v7, v7, 23, v10
	v_or3_b32 v2, v6, v7, v2
.LBB12_444:
	s_or_b64 exec, exec, s[6:7]
	s_movk_i32 s4, 0x7f
	v_cmp_gt_i16_sdwa s[6:7], v3, s4 src0_sel:BYTE_3 src1_sel:DWORD
	s_mov_b64 s[4:5], 0
                                        ; implicit-def: $sgpr10
	s_and_saveexec_b64 s[8:9], s[6:7]
	s_xor_b64 s[6:7], exec, s[8:9]
	s_cbranch_execnz .LBB12_2493
; %bb.445:
	s_or_saveexec_b64 s[6:7], s[6:7]
	v_mov_b32_e32 v6, s10
	s_xor_b64 exec, exec, s[6:7]
	s_cbranch_execnz .LBB12_2496
.LBB12_446:
	s_or_b64 exec, exec, s[6:7]
	s_and_saveexec_b64 s[6:7], s[4:5]
	s_cbranch_execz .LBB12_448
.LBB12_447:
	v_bfe_u32 v6, v3, 24, 3
	v_ffbh_u32_e32 v12, v6
	v_min_u32_e32 v12, 32, v12
	v_lshrrev_b32_e32 v10, 27, v3
	v_subrev_u32_e32 v13, 28, v12
	v_and_b32_e32 v7, 0x80000000, v3
	v_and_b32_e32 v10, 15, v10
	v_bfe_u32 v11, v3, 27, 4
	v_lshlrev_b32_sdwa v3, v13, v3 dst_sel:DWORD dst_unused:UNUSED_PAD src0_sel:DWORD src1_sel:BYTE_3
	v_sub_u32_e32 v12, 29, v12
	v_and_b32_e32 v3, 7, v3
	v_cmp_eq_u16_e32 vcc, 0, v10
	v_cndmask_b32_e32 v3, v6, v3, vcc
	v_cndmask_b32_e32 v6, v11, v12, vcc
	v_mov_b32_e32 v10, 0x3b800000
	v_lshlrev_b32_e32 v3, 20, v3
	v_lshl_add_u32 v6, v6, 23, v10
	v_or3_b32 v6, v7, v6, v3
.LBB12_448:
	s_or_b64 exec, exec, s[6:7]
	s_nop 0
	v_mfma_f32_16x16x4f32 a[0:3], v2, v6, a[0:3]
	s_movk_i32 s4, 0x7f
	v_cmp_gt_i16_sdwa s[6:7], v8, s4 src0_sel:BYTE_0 src1_sel:DWORD
	s_mov_b64 s[4:5], 0
                                        ; implicit-def: $sgpr10
	s_and_saveexec_b64 s[8:9], s[6:7]
	s_xor_b64 s[6:7], exec, s[8:9]
	s_cbranch_execnz .LBB12_2497
; %bb.449:
	s_or_saveexec_b64 s[6:7], s[6:7]
	v_mov_b32_e32 v2, s10
	s_xor_b64 exec, exec, s[6:7]
	s_cbranch_execnz .LBB12_2500
.LBB12_450:
	s_or_b64 exec, exec, s[6:7]
	s_and_saveexec_b64 s[6:7], s[4:5]
	s_cbranch_execz .LBB12_452
.LBB12_451:
	v_and_b32_e32 v2, 7, v8
	v_ffbh_u32_e32 v6, v2
	v_min_u32_e32 v6, 32, v6
	v_lshrrev_b16_e32 v3, 3, v8
	v_subrev_u32_e32 v7, 28, v6
	v_and_b32_e32 v3, 15, v3
	v_lshlrev_b32_e32 v7, v7, v8
	v_sub_u32_e32 v6, 29, v6
	v_and_b32_e32 v7, 7, v7
	v_cmp_eq_u16_e32 vcc, 0, v3
	v_cndmask_b32_e32 v2, v2, v7, vcc
	v_cndmask_b32_e32 v3, v3, v6, vcc
	v_lshlrev_b32_e32 v6, 24, v8
	v_mov_b32_e32 v7, 0x3b800000
	v_lshlrev_b32_e32 v2, 20, v2
	v_and_b32_e32 v6, 0x80000000, v6
	v_lshl_add_u32 v3, v3, 23, v7
	v_or3_b32 v2, v6, v3, v2
.LBB12_452:
	s_or_b64 exec, exec, s[6:7]
	s_movk_i32 s4, 0x7f
	v_cmp_gt_i16_sdwa s[6:7], v4, s4 src0_sel:BYTE_0 src1_sel:DWORD
	s_mov_b64 s[4:5], 0
                                        ; implicit-def: $sgpr10
	s_and_saveexec_b64 s[8:9], s[6:7]
	s_xor_b64 s[6:7], exec, s[8:9]
	s_cbranch_execnz .LBB12_2501
; %bb.453:
	s_or_saveexec_b64 s[6:7], s[6:7]
	v_mov_b32_e32 v3, s10
	s_xor_b64 exec, exec, s[6:7]
	s_cbranch_execnz .LBB12_2504
.LBB12_454:
	s_or_b64 exec, exec, s[6:7]
	s_and_saveexec_b64 s[6:7], s[4:5]
	s_cbranch_execz .LBB12_456
.LBB12_455:
	v_and_b32_e32 v3, 7, v4
	v_ffbh_u32_e32 v7, v3
	v_min_u32_e32 v7, 32, v7
	v_lshrrev_b16_e32 v6, 3, v4
	v_subrev_u32_e32 v10, 28, v7
	v_and_b32_e32 v6, 15, v6
	v_lshlrev_b32_e32 v10, v10, v4
	v_sub_u32_e32 v7, 29, v7
	v_and_b32_e32 v10, 7, v10
	v_cmp_eq_u16_e32 vcc, 0, v6
	v_cndmask_b32_e32 v3, v3, v10, vcc
	v_cndmask_b32_e32 v6, v6, v7, vcc
	v_lshlrev_b32_e32 v7, 24, v4
	v_mov_b32_e32 v10, 0x3b800000
	v_lshlrev_b32_e32 v3, 20, v3
	v_and_b32_e32 v7, 0x80000000, v7
	v_lshl_add_u32 v6, v6, 23, v10
	v_or3_b32 v3, v7, v6, v3
.LBB12_456:
	s_or_b64 exec, exec, s[6:7]
	s_nop 0
	v_mfma_f32_16x16x4f32 a[0:3], v2, v3, a[0:3]
	v_lshrrev_b32_e32 v3, 8, v8
	s_movk_i32 s4, 0x7f
	v_cmp_gt_i16_sdwa s[6:7], v3, s4 src0_sel:BYTE_0 src1_sel:DWORD
	s_mov_b64 s[4:5], 0
                                        ; implicit-def: $sgpr10
	s_and_saveexec_b64 s[8:9], s[6:7]
	s_xor_b64 s[6:7], exec, s[8:9]
	s_cbranch_execnz .LBB12_2505
; %bb.457:
	s_or_saveexec_b64 s[6:7], s[6:7]
	v_mov_b32_e32 v2, s10
	s_xor_b64 exec, exec, s[6:7]
	s_cbranch_execnz .LBB12_2508
.LBB12_458:
	s_or_b64 exec, exec, s[6:7]
	s_and_saveexec_b64 s[6:7], s[4:5]
	s_cbranch_execz .LBB12_460
.LBB12_459:
	v_bfe_u32 v2, v8, 8, 3
	v_ffbh_u32_e32 v7, v2
	v_min_u32_e32 v7, 32, v7
	v_lshrrev_b16_e32 v6, 3, v3
	v_subrev_u32_e32 v10, 28, v7
	v_and_b32_e32 v6, 15, v6
	v_lshlrev_b32_e32 v3, v10, v3
	v_sub_u32_e32 v7, 29, v7
	v_and_b32_e32 v3, 7, v3
	v_cmp_eq_u16_e32 vcc, 0, v6
	v_cndmask_b32_e32 v2, v2, v3, vcc
	v_cndmask_b32_e32 v3, v6, v7, vcc
	v_lshlrev_b32_e32 v6, 16, v8
	v_mov_b32_e32 v7, 0x3b800000
	v_lshlrev_b32_e32 v2, 20, v2
	v_and_b32_e32 v6, 0x80000000, v6
	v_lshl_add_u32 v3, v3, 23, v7
	v_or3_b32 v2, v6, v3, v2
.LBB12_460:
	s_or_b64 exec, exec, s[6:7]
	v_lshrrev_b32_e32 v3, 8, v4
	s_movk_i32 s4, 0x7f
	v_cmp_gt_i16_sdwa s[6:7], v3, s4 src0_sel:BYTE_0 src1_sel:DWORD
	s_mov_b64 s[4:5], 0
                                        ; implicit-def: $sgpr10
	s_and_saveexec_b64 s[8:9], s[6:7]
	s_xor_b64 s[6:7], exec, s[8:9]
	s_cbranch_execnz .LBB12_2509
; %bb.461:
	s_or_saveexec_b64 s[6:7], s[6:7]
	v_mov_b32_e32 v6, s10
	s_xor_b64 exec, exec, s[6:7]
	s_cbranch_execnz .LBB12_2512
.LBB12_462:
	s_or_b64 exec, exec, s[6:7]
	s_and_saveexec_b64 s[6:7], s[4:5]
	s_cbranch_execz .LBB12_464
.LBB12_463:
	v_bfe_u32 v6, v4, 8, 3
	v_ffbh_u32_e32 v10, v6
	v_min_u32_e32 v10, 32, v10
	v_lshrrev_b16_e32 v7, 3, v3
	v_subrev_u32_e32 v11, 28, v10
	v_and_b32_e32 v7, 15, v7
	v_lshlrev_b32_e32 v3, v11, v3
	v_sub_u32_e32 v10, 29, v10
	v_and_b32_e32 v3, 7, v3
	v_cmp_eq_u16_e32 vcc, 0, v7
	v_cndmask_b32_e32 v3, v6, v3, vcc
	v_cndmask_b32_e32 v6, v7, v10, vcc
	v_lshlrev_b32_e32 v7, 16, v4
	v_mov_b32_e32 v10, 0x3b800000
	v_lshlrev_b32_e32 v3, 20, v3
	v_and_b32_e32 v7, 0x80000000, v7
	v_lshl_add_u32 v6, v6, 23, v10
	v_or3_b32 v6, v7, v6, v3
.LBB12_464:
	s_or_b64 exec, exec, s[6:7]
	s_nop 0
	v_mfma_f32_16x16x4f32 a[0:3], v2, v6, a[0:3]
	s_movk_i32 s4, 0xff
	v_and_b32_sdwa v3, v8, s4 dst_sel:DWORD dst_unused:UNUSED_PAD src0_sel:WORD_1 src1_sel:DWORD
	s_movk_i32 s4, 0x7f
	v_cmp_lt_i16_e32 vcc, s4, v3
	s_mov_b64 s[4:5], 0
                                        ; implicit-def: $sgpr10
	s_and_saveexec_b64 s[6:7], vcc
	s_xor_b64 s[6:7], exec, s[6:7]
	s_cbranch_execnz .LBB12_2513
; %bb.465:
	s_or_saveexec_b64 s[6:7], s[6:7]
	v_mov_b32_e32 v2, s10
	s_xor_b64 exec, exec, s[6:7]
	s_cbranch_execnz .LBB12_2516
.LBB12_466:
	s_or_b64 exec, exec, s[6:7]
	s_and_saveexec_b64 s[6:7], s[4:5]
	s_cbranch_execz .LBB12_468
.LBB12_467:
	v_bfe_u32 v2, v8, 16, 3
	v_ffbh_u32_e32 v7, v2
	v_min_u32_e32 v7, 32, v7
	v_lshrrev_b32_e32 v3, 19, v8
	v_subrev_u32_e32 v10, 28, v7
	v_and_b32_e32 v3, 15, v3
	v_lshlrev_b32_sdwa v10, v10, v8 dst_sel:DWORD dst_unused:UNUSED_PAD src0_sel:DWORD src1_sel:WORD_1
	v_bfe_u32 v6, v8, 19, 4
	v_sub_u32_e32 v7, 29, v7
	v_and_b32_e32 v10, 7, v10
	v_cmp_eq_u16_e32 vcc, 0, v3
	v_cndmask_b32_e32 v2, v2, v10, vcc
	v_cndmask_b32_e32 v3, v6, v7, vcc
	v_lshlrev_b32_e32 v6, 8, v8
	v_mov_b32_e32 v7, 0x3b800000
	v_lshlrev_b32_e32 v2, 20, v2
	v_and_b32_e32 v6, 0x80000000, v6
	v_lshl_add_u32 v3, v3, 23, v7
	v_or3_b32 v2, v6, v3, v2
.LBB12_468:
	s_or_b64 exec, exec, s[6:7]
	s_movk_i32 s4, 0xff
	v_and_b32_sdwa v3, v4, s4 dst_sel:DWORD dst_unused:UNUSED_PAD src0_sel:WORD_1 src1_sel:DWORD
	s_movk_i32 s4, 0x7f
	v_cmp_lt_i16_e32 vcc, s4, v3
	s_mov_b64 s[4:5], 0
                                        ; implicit-def: $sgpr10
	s_and_saveexec_b64 s[6:7], vcc
	s_xor_b64 s[6:7], exec, s[6:7]
	s_cbranch_execnz .LBB12_2517
; %bb.469:
	s_or_saveexec_b64 s[6:7], s[6:7]
	v_mov_b32_e32 v6, s10
	s_xor_b64 exec, exec, s[6:7]
	s_cbranch_execnz .LBB12_2520
.LBB12_470:
	s_or_b64 exec, exec, s[6:7]
	s_and_saveexec_b64 s[6:7], s[4:5]
	s_cbranch_execz .LBB12_472
.LBB12_471:
	v_bfe_u32 v3, v4, 16, 3
	v_ffbh_u32_e32 v10, v3
	v_min_u32_e32 v10, 32, v10
	v_lshrrev_b32_e32 v6, 19, v4
	v_subrev_u32_e32 v11, 28, v10
	v_and_b32_e32 v6, 15, v6
	v_lshlrev_b32_sdwa v11, v11, v4 dst_sel:DWORD dst_unused:UNUSED_PAD src0_sel:DWORD src1_sel:WORD_1
	v_bfe_u32 v7, v4, 19, 4
	v_sub_u32_e32 v10, 29, v10
	v_and_b32_e32 v11, 7, v11
	v_cmp_eq_u16_e32 vcc, 0, v6
	v_cndmask_b32_e32 v3, v3, v11, vcc
	v_cndmask_b32_e32 v6, v7, v10, vcc
	v_lshlrev_b32_e32 v7, 8, v4
	v_mov_b32_e32 v10, 0x3b800000
	v_lshlrev_b32_e32 v3, 20, v3
	v_and_b32_e32 v7, 0x80000000, v7
	v_lshl_add_u32 v6, v6, 23, v10
	v_or3_b32 v6, v7, v6, v3
.LBB12_472:
	s_or_b64 exec, exec, s[6:7]
	s_nop 0
	v_mfma_f32_16x16x4f32 a[0:3], v2, v6, a[0:3]
	s_movk_i32 s4, 0x7f
	v_cmp_gt_i16_sdwa s[6:7], v8, s4 src0_sel:BYTE_3 src1_sel:DWORD
	s_mov_b64 s[4:5], 0
                                        ; implicit-def: $sgpr10
	s_and_saveexec_b64 s[8:9], s[6:7]
	s_xor_b64 s[6:7], exec, s[8:9]
	s_cbranch_execnz .LBB12_2521
; %bb.473:
	s_or_saveexec_b64 s[6:7], s[6:7]
	v_mov_b32_e32 v2, s10
	s_xor_b64 exec, exec, s[6:7]
	s_cbranch_execnz .LBB12_2524
.LBB12_474:
	s_or_b64 exec, exec, s[6:7]
	s_and_saveexec_b64 s[6:7], s[4:5]
	s_cbranch_execz .LBB12_476
.LBB12_475:
	v_bfe_u32 v2, v8, 24, 3
	v_ffbh_u32_e32 v10, v2
	v_min_u32_e32 v10, 32, v10
	v_lshrrev_b32_e32 v6, 27, v8
	v_subrev_u32_e32 v11, 28, v10
	v_and_b32_e32 v3, 0x80000000, v8
	v_and_b32_e32 v6, 15, v6
	v_bfe_u32 v7, v8, 27, 4
	v_lshlrev_b32_sdwa v8, v11, v8 dst_sel:DWORD dst_unused:UNUSED_PAD src0_sel:DWORD src1_sel:BYTE_3
	v_sub_u32_e32 v10, 29, v10
	v_and_b32_e32 v8, 7, v8
	v_cmp_eq_u16_e32 vcc, 0, v6
	v_cndmask_b32_e32 v2, v2, v8, vcc
	v_cndmask_b32_e32 v6, v7, v10, vcc
	v_mov_b32_e32 v7, 0x3b800000
	v_lshlrev_b32_e32 v2, 20, v2
	v_lshl_add_u32 v6, v6, 23, v7
	v_or3_b32 v2, v3, v6, v2
.LBB12_476:
	s_or_b64 exec, exec, s[6:7]
	s_movk_i32 s4, 0x7f
	v_cmp_gt_i16_sdwa s[6:7], v4, s4 src0_sel:BYTE_3 src1_sel:DWORD
	s_mov_b64 s[4:5], 0
                                        ; implicit-def: $sgpr10
	s_and_saveexec_b64 s[8:9], s[6:7]
	s_xor_b64 s[6:7], exec, s[8:9]
	s_cbranch_execnz .LBB12_2525
; %bb.477:
	s_or_saveexec_b64 s[6:7], s[6:7]
	v_mov_b32_e32 v3, s10
	s_xor_b64 exec, exec, s[6:7]
	s_cbranch_execnz .LBB12_2528
.LBB12_478:
	s_or_b64 exec, exec, s[6:7]
	s_and_saveexec_b64 s[6:7], s[4:5]
	s_cbranch_execz .LBB12_480
.LBB12_479:
	v_bfe_u32 v3, v4, 24, 3
	v_ffbh_u32_e32 v10, v3
	v_min_u32_e32 v10, 32, v10
	v_lshrrev_b32_e32 v7, 27, v4
	v_subrev_u32_e32 v11, 28, v10
	v_and_b32_e32 v6, 0x80000000, v4
	v_and_b32_e32 v7, 15, v7
	v_bfe_u32 v8, v4, 27, 4
	v_lshlrev_b32_sdwa v4, v11, v4 dst_sel:DWORD dst_unused:UNUSED_PAD src0_sel:DWORD src1_sel:BYTE_3
	v_sub_u32_e32 v10, 29, v10
	v_and_b32_e32 v4, 7, v4
	v_cmp_eq_u16_e32 vcc, 0, v7
	v_cndmask_b32_e32 v3, v3, v4, vcc
	v_cndmask_b32_e32 v4, v8, v10, vcc
	v_mov_b32_e32 v7, 0x3b800000
	v_lshlrev_b32_e32 v3, 20, v3
	v_lshl_add_u32 v4, v4, 23, v7
	v_or3_b32 v3, v6, v4, v3
.LBB12_480:
	s_or_b64 exec, exec, s[6:7]
	s_nop 0
	v_mfma_f32_16x16x4f32 a[0:3], v2, v3, a[0:3]
	s_movk_i32 s4, 0x7f
	v_cmp_gt_i16_sdwa s[6:7], v9, s4 src0_sel:BYTE_0 src1_sel:DWORD
	s_mov_b64 s[4:5], 0
                                        ; implicit-def: $sgpr10
	s_and_saveexec_b64 s[8:9], s[6:7]
	s_xor_b64 s[6:7], exec, s[8:9]
	s_cbranch_execnz .LBB12_2529
; %bb.481:
	s_or_saveexec_b64 s[6:7], s[6:7]
	v_mov_b32_e32 v2, s10
	s_xor_b64 exec, exec, s[6:7]
	s_cbranch_execnz .LBB12_2532
.LBB12_482:
	s_or_b64 exec, exec, s[6:7]
	s_and_saveexec_b64 s[6:7], s[4:5]
	s_cbranch_execz .LBB12_484
.LBB12_483:
	v_mov_b32_e32 v2, 8
	v_and_b32_e32 v3, 7, v9
	v_lshrrev_b32_sdwa v2, v2, v9 dst_sel:BYTE_1 dst_unused:UNUSED_PAD src0_sel:DWORD src1_sel:DWORD
	v_ffbh_u32_e32 v4, v3
	v_or_b32_sdwa v2, v9, v2 dst_sel:DWORD dst_unused:UNUSED_PAD src0_sel:BYTE_0 src1_sel:DWORD
	v_min_u32_e32 v4, 32, v4
	v_lshrrev_b16_e32 v2, 3, v2
	v_subrev_u32_e32 v6, 28, v4
	v_and_b32_e32 v2, 15, v2
	v_lshlrev_b32_e32 v6, v6, v9
	v_sub_u32_e32 v4, 29, v4
	v_and_b32_e32 v6, 7, v6
	v_cmp_eq_u16_e32 vcc, 0, v2
	v_cndmask_b32_e32 v3, v3, v6, vcc
	v_cndmask_b32_e32 v2, v2, v4, vcc
	v_lshlrev_b32_e32 v4, 24, v9
	v_mov_b32_e32 v6, 0x3b800000
	v_lshlrev_b32_e32 v3, 20, v3
	v_and_b32_e32 v4, 0x80000000, v4
	v_lshl_add_u32 v2, v2, 23, v6
	v_or3_b32 v2, v4, v2, v3
.LBB12_484:
	s_or_b64 exec, exec, s[6:7]
	s_movk_i32 s4, 0x7f
	v_cmp_gt_i16_sdwa s[6:7], v5, s4 src0_sel:BYTE_0 src1_sel:DWORD
	s_mov_b64 s[4:5], 0
                                        ; implicit-def: $sgpr10
	s_and_saveexec_b64 s[8:9], s[6:7]
	s_xor_b64 s[6:7], exec, s[8:9]
	s_cbranch_execnz .LBB12_2533
; %bb.485:
	s_or_saveexec_b64 s[6:7], s[6:7]
	v_mov_b32_e32 v3, s10
	s_xor_b64 exec, exec, s[6:7]
	s_cbranch_execnz .LBB12_2536
.LBB12_486:
	s_or_b64 exec, exec, s[6:7]
	s_and_saveexec_b64 s[6:7], s[4:5]
	s_cbranch_execz .LBB12_488
.LBB12_487:
	v_mov_b32_e32 v3, 8
	v_and_b32_e32 v4, 7, v5
	v_lshrrev_b32_sdwa v3, v3, v5 dst_sel:BYTE_1 dst_unused:UNUSED_PAD src0_sel:DWORD src1_sel:DWORD
	v_ffbh_u32_e32 v6, v4
	v_or_b32_sdwa v3, v5, v3 dst_sel:DWORD dst_unused:UNUSED_PAD src0_sel:BYTE_0 src1_sel:DWORD
	v_min_u32_e32 v6, 32, v6
	v_lshrrev_b16_e32 v3, 3, v3
	v_subrev_u32_e32 v7, 28, v6
	v_and_b32_e32 v3, 15, v3
	v_lshlrev_b32_e32 v7, v7, v5
	v_sub_u32_e32 v6, 29, v6
	v_and_b32_e32 v7, 7, v7
	v_cmp_eq_u16_e32 vcc, 0, v3
	v_cndmask_b32_e32 v4, v4, v7, vcc
	v_cndmask_b32_e32 v3, v3, v6, vcc
	v_lshlrev_b32_e32 v6, 24, v5
	v_mov_b32_e32 v7, 0x3b800000
	v_lshlrev_b32_e32 v4, 20, v4
	v_and_b32_e32 v6, 0x80000000, v6
	v_lshl_add_u32 v3, v3, 23, v7
	v_or3_b32 v3, v6, v3, v4
.LBB12_488:
	s_or_b64 exec, exec, s[6:7]
	s_nop 0
	v_mfma_f32_16x16x4f32 a[0:3], v2, v3, a[0:3]
	v_lshrrev_b32_e32 v3, 8, v9
	s_movk_i32 s4, 0x7f
	v_cmp_gt_i16_sdwa s[6:7], v3, s4 src0_sel:BYTE_0 src1_sel:DWORD
	s_mov_b64 s[4:5], 0
                                        ; implicit-def: $sgpr10
	s_and_saveexec_b64 s[8:9], s[6:7]
	s_xor_b64 s[6:7], exec, s[8:9]
	s_cbranch_execnz .LBB12_2537
; %bb.489:
	s_or_saveexec_b64 s[6:7], s[6:7]
	v_mov_b32_e32 v2, s10
	s_xor_b64 exec, exec, s[6:7]
	s_cbranch_execnz .LBB12_2540
.LBB12_490:
	s_or_b64 exec, exec, s[6:7]
	s_and_saveexec_b64 s[6:7], s[4:5]
	s_cbranch_execz .LBB12_492
.LBB12_491:
	v_bfe_u32 v2, v9, 8, 3
	v_ffbh_u32_e32 v6, v2
	v_min_u32_e32 v6, 32, v6
	v_lshrrev_b16_e32 v4, 3, v3
	v_subrev_u32_e32 v7, 28, v6
	v_and_b32_e32 v4, 15, v4
	v_lshlrev_b32_e32 v3, v7, v3
	v_sub_u32_e32 v6, 29, v6
	v_and_b32_e32 v3, 7, v3
	v_cmp_eq_u16_e32 vcc, 0, v4
	v_cndmask_b32_e32 v2, v2, v3, vcc
	v_cndmask_b32_e32 v3, v4, v6, vcc
	v_lshlrev_b32_e32 v4, 16, v9
	v_mov_b32_e32 v6, 0x3b800000
	v_lshlrev_b32_e32 v2, 20, v2
	v_and_b32_e32 v4, 0x80000000, v4
	v_lshl_add_u32 v3, v3, 23, v6
	v_or3_b32 v2, v4, v3, v2
.LBB12_492:
	s_or_b64 exec, exec, s[6:7]
	v_lshrrev_b32_e32 v3, 8, v5
	s_movk_i32 s4, 0x7f
	v_cmp_gt_i16_sdwa s[6:7], v3, s4 src0_sel:BYTE_0 src1_sel:DWORD
	s_mov_b64 s[4:5], 0
                                        ; implicit-def: $sgpr10
	s_and_saveexec_b64 s[8:9], s[6:7]
	s_xor_b64 s[6:7], exec, s[8:9]
	s_cbranch_execnz .LBB12_2541
; %bb.493:
	s_or_saveexec_b64 s[6:7], s[6:7]
	v_mov_b32_e32 v4, s10
	s_xor_b64 exec, exec, s[6:7]
	s_cbranch_execnz .LBB12_2544
.LBB12_494:
	s_or_b64 exec, exec, s[6:7]
	s_and_saveexec_b64 s[6:7], s[4:5]
	s_cbranch_execz .LBB12_496
.LBB12_495:
	v_bfe_u32 v4, v5, 8, 3
	v_ffbh_u32_e32 v7, v4
	v_min_u32_e32 v7, 32, v7
	v_lshrrev_b16_e32 v6, 3, v3
	v_subrev_u32_e32 v8, 28, v7
	v_and_b32_e32 v6, 15, v6
	v_lshlrev_b32_e32 v3, v8, v3
	v_sub_u32_e32 v7, 29, v7
	v_and_b32_e32 v3, 7, v3
	v_cmp_eq_u16_e32 vcc, 0, v6
	v_cndmask_b32_e32 v3, v4, v3, vcc
	v_cndmask_b32_e32 v4, v6, v7, vcc
	v_lshlrev_b32_e32 v6, 16, v5
	v_mov_b32_e32 v7, 0x3b800000
	v_lshlrev_b32_e32 v3, 20, v3
	v_and_b32_e32 v6, 0x80000000, v6
	v_lshl_add_u32 v4, v4, 23, v7
	v_or3_b32 v4, v6, v4, v3
.LBB12_496:
	s_or_b64 exec, exec, s[6:7]
	s_nop 0
	v_mfma_f32_16x16x4f32 a[0:3], v2, v4, a[0:3]
	s_movk_i32 s4, 0xff
	v_and_b32_sdwa v3, v9, s4 dst_sel:DWORD dst_unused:UNUSED_PAD src0_sel:WORD_1 src1_sel:DWORD
	s_movk_i32 s4, 0x7f
	v_cmp_lt_i16_e32 vcc, s4, v3
	s_mov_b64 s[4:5], 0
                                        ; implicit-def: $sgpr10
	s_and_saveexec_b64 s[6:7], vcc
	s_xor_b64 s[6:7], exec, s[6:7]
	s_cbranch_execnz .LBB12_2545
; %bb.497:
	s_or_saveexec_b64 s[6:7], s[6:7]
	v_mov_b32_e32 v2, s10
	s_xor_b64 exec, exec, s[6:7]
	s_cbranch_execnz .LBB12_2548
.LBB12_498:
	s_or_b64 exec, exec, s[6:7]
	s_and_saveexec_b64 s[6:7], s[4:5]
	s_cbranch_execz .LBB12_500
.LBB12_499:
	v_bfe_u32 v2, v9, 16, 3
	v_ffbh_u32_e32 v6, v2
	v_min_u32_e32 v6, 32, v6
	v_lshrrev_b32_e32 v3, 19, v9
	v_subrev_u32_e32 v7, 28, v6
	v_and_b32_e32 v3, 15, v3
	v_lshlrev_b32_sdwa v7, v7, v9 dst_sel:DWORD dst_unused:UNUSED_PAD src0_sel:DWORD src1_sel:WORD_1
	v_bfe_u32 v4, v9, 19, 4
	v_sub_u32_e32 v6, 29, v6
	v_and_b32_e32 v7, 7, v7
	v_cmp_eq_u16_e32 vcc, 0, v3
	v_cndmask_b32_e32 v2, v2, v7, vcc
	v_cndmask_b32_e32 v3, v4, v6, vcc
	v_lshlrev_b32_e32 v4, 8, v9
	v_mov_b32_e32 v6, 0x3b800000
	v_lshlrev_b32_e32 v2, 20, v2
	v_and_b32_e32 v4, 0x80000000, v4
	v_lshl_add_u32 v3, v3, 23, v6
	v_or3_b32 v2, v4, v3, v2
.LBB12_500:
	s_or_b64 exec, exec, s[6:7]
	s_movk_i32 s4, 0xff
	v_and_b32_sdwa v3, v5, s4 dst_sel:DWORD dst_unused:UNUSED_PAD src0_sel:WORD_1 src1_sel:DWORD
	s_movk_i32 s4, 0x7f
	v_cmp_lt_i16_e32 vcc, s4, v3
	s_mov_b64 s[4:5], 0
                                        ; implicit-def: $sgpr10
	s_and_saveexec_b64 s[6:7], vcc
	s_xor_b64 s[6:7], exec, s[6:7]
	s_cbranch_execnz .LBB12_2549
; %bb.501:
	s_or_saveexec_b64 s[6:7], s[6:7]
	v_mov_b32_e32 v4, s10
	s_xor_b64 exec, exec, s[6:7]
	s_cbranch_execnz .LBB12_2552
.LBB12_502:
	s_or_b64 exec, exec, s[6:7]
	s_and_saveexec_b64 s[6:7], s[4:5]
	s_cbranch_execz .LBB12_504
.LBB12_503:
	v_bfe_u32 v3, v5, 16, 3
	v_ffbh_u32_e32 v7, v3
	v_min_u32_e32 v7, 32, v7
	v_lshrrev_b32_e32 v4, 19, v5
	v_subrev_u32_e32 v8, 28, v7
	v_and_b32_e32 v4, 15, v4
	v_lshlrev_b32_sdwa v8, v8, v5 dst_sel:DWORD dst_unused:UNUSED_PAD src0_sel:DWORD src1_sel:WORD_1
	v_bfe_u32 v6, v5, 19, 4
	v_sub_u32_e32 v7, 29, v7
	v_and_b32_e32 v8, 7, v8
	v_cmp_eq_u16_e32 vcc, 0, v4
	v_cndmask_b32_e32 v3, v3, v8, vcc
	v_cndmask_b32_e32 v4, v6, v7, vcc
	v_lshlrev_b32_e32 v6, 8, v5
	v_mov_b32_e32 v7, 0x3b800000
	v_lshlrev_b32_e32 v3, 20, v3
	v_and_b32_e32 v6, 0x80000000, v6
	v_lshl_add_u32 v4, v4, 23, v7
	v_or3_b32 v4, v6, v4, v3
.LBB12_504:
	s_or_b64 exec, exec, s[6:7]
	s_nop 0
	v_mfma_f32_16x16x4f32 a[0:3], v2, v4, a[0:3]
	s_movk_i32 s4, 0x7f
	v_cmp_gt_i16_sdwa s[6:7], v9, s4 src0_sel:BYTE_3 src1_sel:DWORD
	s_mov_b64 s[4:5], 0
                                        ; implicit-def: $sgpr10
	s_and_saveexec_b64 s[8:9], s[6:7]
	s_xor_b64 s[6:7], exec, s[8:9]
	s_cbranch_execnz .LBB12_2553
; %bb.505:
	s_or_saveexec_b64 s[6:7], s[6:7]
	v_mov_b32_e32 v2, s10
	s_xor_b64 exec, exec, s[6:7]
	s_cbranch_execnz .LBB12_2556
.LBB12_506:
	s_or_b64 exec, exec, s[6:7]
	s_and_saveexec_b64 s[6:7], s[4:5]
	s_cbranch_execz .LBB12_508
.LBB12_507:
	v_bfe_u32 v2, v9, 24, 3
	v_ffbh_u32_e32 v7, v2
	v_min_u32_e32 v7, 32, v7
	v_lshrrev_b32_e32 v4, 27, v9
	v_subrev_u32_e32 v8, 28, v7
	v_and_b32_e32 v4, 15, v4
	v_lshlrev_b32_sdwa v8, v8, v9 dst_sel:DWORD dst_unused:UNUSED_PAD src0_sel:DWORD src1_sel:BYTE_3
	v_bfe_u32 v6, v9, 27, 4
	v_sub_u32_e32 v7, 29, v7
	v_and_b32_e32 v8, 7, v8
	v_cmp_eq_u16_e32 vcc, 0, v4
	v_cndmask_b32_e32 v2, v2, v8, vcc
	v_cndmask_b32_e32 v4, v6, v7, vcc
	v_mov_b32_e32 v6, 0x3b800000
	v_and_b32_e32 v3, 0x80000000, v9
	v_lshlrev_b32_e32 v2, 20, v2
	v_lshl_add_u32 v4, v4, 23, v6
	v_or3_b32 v2, v3, v4, v2
.LBB12_508:
	s_or_b64 exec, exec, s[6:7]
	s_movk_i32 s4, 0x7f
	v_cmp_gt_i16_sdwa s[6:7], v5, s4 src0_sel:BYTE_3 src1_sel:DWORD
	s_mov_b64 s[4:5], 0
                                        ; implicit-def: $sgpr10
	s_and_saveexec_b64 s[8:9], s[6:7]
	s_xor_b64 s[6:7], exec, s[8:9]
	s_cbranch_execnz .LBB12_2557
; %bb.509:
	s_or_saveexec_b64 s[6:7], s[6:7]
	v_mov_b32_e32 v3, s10
	s_xor_b64 exec, exec, s[6:7]
	s_cbranch_execnz .LBB12_2560
.LBB12_510:
	s_or_b64 exec, exec, s[6:7]
	s_and_saveexec_b64 s[6:7], s[4:5]
	s_cbranch_execz .LBB12_512
.LBB12_511:
	v_bfe_u32 v3, v5, 24, 3
	v_ffbh_u32_e32 v8, v3
	v_min_u32_e32 v8, 32, v8
	v_lshrrev_b32_e32 v6, 27, v5
	v_subrev_u32_e32 v9, 28, v8
	v_and_b32_e32 v4, 0x80000000, v5
	v_and_b32_e32 v6, 15, v6
	v_bfe_u32 v7, v5, 27, 4
	v_lshlrev_b32_sdwa v5, v9, v5 dst_sel:DWORD dst_unused:UNUSED_PAD src0_sel:DWORD src1_sel:BYTE_3
	v_sub_u32_e32 v8, 29, v8
	v_and_b32_e32 v5, 7, v5
	v_cmp_eq_u16_e32 vcc, 0, v6
	v_cndmask_b32_e32 v3, v3, v5, vcc
	v_cndmask_b32_e32 v5, v7, v8, vcc
	v_mov_b32_e32 v6, 0x3b800000
	v_lshlrev_b32_e32 v3, 20, v3
	v_lshl_add_u32 v5, v5, 23, v6
	v_or3_b32 v3, v4, v5, v3
.LBB12_512:
	s_or_b64 exec, exec, s[6:7]
	s_nop 0
	v_mfma_f32_16x16x4f32 a[0:3], v2, v3, a[0:3]
	s_movk_i32 s4, 0x7f
                                        ; implicit-def: $sgpr10
	s_nop 7
	s_nop 1
	flat_store_dwordx4 v[18:19], a[0:3] offset:272
	flat_load_dwordx4 v[20:23], v[0:1] offset:16
	s_nop 0
	flat_load_dwordx2 v[18:19], v[0:1] offset:32
	s_waitcnt vmcnt(0) lgkmcnt(0)
	flat_load_dwordx4 v[14:17], v[20:21]
	flat_load_dwordx4 v[6:9], v[20:21] offset:16
	flat_load_dwordx4 v[10:13], v[22:23] offset:320
	;; [unrolled: 1-line block ×3, first 2 shown]
	s_waitcnt vmcnt(0) lgkmcnt(0)
	v_cmp_gt_i16_sdwa s[6:7], v14, s4 src0_sel:BYTE_0 src1_sel:DWORD
	s_mov_b64 s[4:5], 0
	s_and_saveexec_b64 s[8:9], s[6:7]
	s_xor_b64 s[6:7], exec, s[8:9]
	s_cbranch_execnz .LBB12_2561
; %bb.513:
	s_or_saveexec_b64 s[6:7], s[6:7]
	v_mov_b32_e32 v20, s10
	s_xor_b64 exec, exec, s[6:7]
	s_cbranch_execnz .LBB12_2564
.LBB12_514:
	s_or_b64 exec, exec, s[6:7]
	s_and_saveexec_b64 s[6:7], s[4:5]
	s_cbranch_execz .LBB12_516
.LBB12_515:
	v_and_b32_e32 v20, 7, v14
	v_ffbh_u32_e32 v22, v20
	v_min_u32_e32 v22, 32, v22
	v_lshrrev_b16_e32 v21, 3, v14
	v_subrev_u32_e32 v23, 28, v22
	v_and_b32_e32 v21, 15, v21
	v_lshlrev_b32_e32 v23, v23, v14
	v_sub_u32_e32 v22, 29, v22
	v_and_b32_e32 v23, 7, v23
	v_cmp_eq_u16_e32 vcc, 0, v21
	v_cndmask_b32_e32 v20, v20, v23, vcc
	v_cndmask_b32_e32 v21, v21, v22, vcc
	v_lshlrev_b32_e32 v22, 24, v14
	v_mov_b32_e32 v23, 0x3b800000
	v_lshlrev_b32_e32 v20, 20, v20
	v_and_b32_e32 v22, 0x80000000, v22
	v_lshl_add_u32 v21, v21, 23, v23
	v_or3_b32 v20, v22, v21, v20
.LBB12_516:
	s_or_b64 exec, exec, s[6:7]
	s_movk_i32 s4, 0x7f
	v_cmp_gt_i16_sdwa s[6:7], v10, s4 src0_sel:BYTE_0 src1_sel:DWORD
	s_mov_b64 s[4:5], 0
                                        ; implicit-def: $sgpr10
	s_and_saveexec_b64 s[8:9], s[6:7]
	s_xor_b64 s[6:7], exec, s[8:9]
	s_cbranch_execnz .LBB12_2565
; %bb.517:
	s_or_saveexec_b64 s[6:7], s[6:7]
	v_mov_b32_e32 v21, s10
	s_xor_b64 exec, exec, s[6:7]
	s_cbranch_execnz .LBB12_2568
.LBB12_518:
	s_or_b64 exec, exec, s[6:7]
	s_and_saveexec_b64 s[6:7], s[4:5]
	s_cbranch_execz .LBB12_520
.LBB12_519:
	v_and_b32_e32 v21, 7, v10
	v_ffbh_u32_e32 v23, v21
	v_min_u32_e32 v23, 32, v23
	v_lshrrev_b16_e32 v22, 3, v10
	v_subrev_u32_e32 v24, 28, v23
	v_and_b32_e32 v22, 15, v22
	v_lshlrev_b32_e32 v24, v24, v10
	v_sub_u32_e32 v23, 29, v23
	v_and_b32_e32 v24, 7, v24
	v_cmp_eq_u16_e32 vcc, 0, v22
	v_cndmask_b32_e32 v21, v21, v24, vcc
	v_cndmask_b32_e32 v22, v22, v23, vcc
	v_lshlrev_b32_e32 v23, 24, v10
	v_mov_b32_e32 v24, 0x3b800000
	v_lshlrev_b32_e32 v21, 20, v21
	v_and_b32_e32 v23, 0x80000000, v23
	v_lshl_add_u32 v22, v22, 23, v24
	v_or3_b32 v21, v23, v22, v21
.LBB12_520:
	s_or_b64 exec, exec, s[6:7]
	flat_load_dwordx4 a[0:3], v[18:19] offset:288
	s_movk_i32 s4, 0x7f
                                        ; implicit-def: $sgpr10
	s_waitcnt vmcnt(0) lgkmcnt(0)
	v_mfma_f32_16x16x4f32 a[0:3], v20, v21, a[0:3]
	v_lshrrev_b32_e32 v21, 8, v14
	v_cmp_gt_i16_sdwa s[6:7], v21, s4 src0_sel:BYTE_0 src1_sel:DWORD
	s_mov_b64 s[4:5], 0
	s_and_saveexec_b64 s[8:9], s[6:7]
	s_xor_b64 s[6:7], exec, s[8:9]
	s_cbranch_execnz .LBB12_2569
; %bb.521:
	s_or_saveexec_b64 s[6:7], s[6:7]
	v_mov_b32_e32 v20, s10
	s_xor_b64 exec, exec, s[6:7]
	s_cbranch_execnz .LBB12_2572
.LBB12_522:
	s_or_b64 exec, exec, s[6:7]
	s_and_saveexec_b64 s[6:7], s[4:5]
	s_cbranch_execz .LBB12_524
.LBB12_523:
	v_bfe_u32 v20, v14, 8, 3
	v_ffbh_u32_e32 v23, v20
	v_min_u32_e32 v23, 32, v23
	v_lshrrev_b16_e32 v22, 3, v21
	v_subrev_u32_e32 v24, 28, v23
	v_and_b32_e32 v22, 15, v22
	v_lshlrev_b32_e32 v21, v24, v21
	v_sub_u32_e32 v23, 29, v23
	v_and_b32_e32 v21, 7, v21
	v_cmp_eq_u16_e32 vcc, 0, v22
	v_cndmask_b32_e32 v20, v20, v21, vcc
	v_cndmask_b32_e32 v21, v22, v23, vcc
	v_lshlrev_b32_e32 v22, 16, v14
	v_mov_b32_e32 v23, 0x3b800000
	v_lshlrev_b32_e32 v20, 20, v20
	v_and_b32_e32 v22, 0x80000000, v22
	v_lshl_add_u32 v21, v21, 23, v23
	v_or3_b32 v20, v22, v21, v20
.LBB12_524:
	s_or_b64 exec, exec, s[6:7]
	v_lshrrev_b32_e32 v21, 8, v10
	s_movk_i32 s4, 0x7f
	v_cmp_gt_i16_sdwa s[6:7], v21, s4 src0_sel:BYTE_0 src1_sel:DWORD
	s_mov_b64 s[4:5], 0
                                        ; implicit-def: $sgpr10
	s_and_saveexec_b64 s[8:9], s[6:7]
	s_xor_b64 s[6:7], exec, s[8:9]
	s_cbranch_execnz .LBB12_2573
; %bb.525:
	s_or_saveexec_b64 s[6:7], s[6:7]
	v_mov_b32_e32 v22, s10
	s_xor_b64 exec, exec, s[6:7]
	s_cbranch_execnz .LBB12_2576
.LBB12_526:
	s_or_b64 exec, exec, s[6:7]
	s_and_saveexec_b64 s[6:7], s[4:5]
	s_cbranch_execz .LBB12_528
.LBB12_527:
	v_bfe_u32 v22, v10, 8, 3
	v_ffbh_u32_e32 v24, v22
	v_min_u32_e32 v24, 32, v24
	v_lshrrev_b16_e32 v23, 3, v21
	v_subrev_u32_e32 v25, 28, v24
	v_and_b32_e32 v23, 15, v23
	v_lshlrev_b32_e32 v21, v25, v21
	v_sub_u32_e32 v24, 29, v24
	v_and_b32_e32 v21, 7, v21
	v_cmp_eq_u16_e32 vcc, 0, v23
	v_cndmask_b32_e32 v21, v22, v21, vcc
	v_cndmask_b32_e32 v22, v23, v24, vcc
	v_lshlrev_b32_e32 v23, 16, v10
	v_mov_b32_e32 v24, 0x3b800000
	v_lshlrev_b32_e32 v21, 20, v21
	v_and_b32_e32 v23, 0x80000000, v23
	v_lshl_add_u32 v22, v22, 23, v24
	v_or3_b32 v22, v23, v22, v21
.LBB12_528:
	s_or_b64 exec, exec, s[6:7]
	s_nop 0
	v_mfma_f32_16x16x4f32 a[0:3], v20, v22, a[0:3]
	s_movk_i32 s4, 0xff
	v_and_b32_sdwa v21, v14, s4 dst_sel:DWORD dst_unused:UNUSED_PAD src0_sel:WORD_1 src1_sel:DWORD
	s_movk_i32 s4, 0x7f
	v_cmp_lt_i16_e32 vcc, s4, v21
	s_mov_b64 s[4:5], 0
                                        ; implicit-def: $sgpr10
	s_and_saveexec_b64 s[6:7], vcc
	s_xor_b64 s[6:7], exec, s[6:7]
	s_cbranch_execnz .LBB12_2577
; %bb.529:
	s_or_saveexec_b64 s[6:7], s[6:7]
	v_mov_b32_e32 v20, s10
	s_xor_b64 exec, exec, s[6:7]
	s_cbranch_execnz .LBB12_2580
.LBB12_530:
	s_or_b64 exec, exec, s[6:7]
	s_and_saveexec_b64 s[6:7], s[4:5]
	s_cbranch_execz .LBB12_532
.LBB12_531:
	v_bfe_u32 v20, v14, 16, 3
	v_ffbh_u32_e32 v23, v20
	v_min_u32_e32 v23, 32, v23
	v_lshrrev_b32_e32 v21, 19, v14
	v_subrev_u32_e32 v24, 28, v23
	v_and_b32_e32 v21, 15, v21
	v_lshlrev_b32_sdwa v24, v24, v14 dst_sel:DWORD dst_unused:UNUSED_PAD src0_sel:DWORD src1_sel:WORD_1
	v_bfe_u32 v22, v14, 19, 4
	v_sub_u32_e32 v23, 29, v23
	v_and_b32_e32 v24, 7, v24
	v_cmp_eq_u16_e32 vcc, 0, v21
	v_cndmask_b32_e32 v20, v20, v24, vcc
	v_cndmask_b32_e32 v21, v22, v23, vcc
	v_lshlrev_b32_e32 v22, 8, v14
	v_mov_b32_e32 v23, 0x3b800000
	v_lshlrev_b32_e32 v20, 20, v20
	v_and_b32_e32 v22, 0x80000000, v22
	v_lshl_add_u32 v21, v21, 23, v23
	v_or3_b32 v20, v22, v21, v20
.LBB12_532:
	s_or_b64 exec, exec, s[6:7]
	s_movk_i32 s4, 0xff
	v_and_b32_sdwa v21, v10, s4 dst_sel:DWORD dst_unused:UNUSED_PAD src0_sel:WORD_1 src1_sel:DWORD
	s_movk_i32 s4, 0x7f
	v_cmp_lt_i16_e32 vcc, s4, v21
	s_mov_b64 s[4:5], 0
                                        ; implicit-def: $sgpr10
	s_and_saveexec_b64 s[6:7], vcc
	s_xor_b64 s[6:7], exec, s[6:7]
	s_cbranch_execnz .LBB12_2581
; %bb.533:
	s_or_saveexec_b64 s[6:7], s[6:7]
	v_mov_b32_e32 v22, s10
	s_xor_b64 exec, exec, s[6:7]
	s_cbranch_execnz .LBB12_2584
.LBB12_534:
	s_or_b64 exec, exec, s[6:7]
	s_and_saveexec_b64 s[6:7], s[4:5]
	s_cbranch_execz .LBB12_536
.LBB12_535:
	v_bfe_u32 v21, v10, 16, 3
	v_ffbh_u32_e32 v24, v21
	v_min_u32_e32 v24, 32, v24
	v_lshrrev_b32_e32 v22, 19, v10
	v_subrev_u32_e32 v25, 28, v24
	v_and_b32_e32 v22, 15, v22
	v_lshlrev_b32_sdwa v25, v25, v10 dst_sel:DWORD dst_unused:UNUSED_PAD src0_sel:DWORD src1_sel:WORD_1
	v_bfe_u32 v23, v10, 19, 4
	v_sub_u32_e32 v24, 29, v24
	v_and_b32_e32 v25, 7, v25
	v_cmp_eq_u16_e32 vcc, 0, v22
	v_cndmask_b32_e32 v21, v21, v25, vcc
	v_cndmask_b32_e32 v22, v23, v24, vcc
	v_lshlrev_b32_e32 v23, 8, v10
	v_mov_b32_e32 v24, 0x3b800000
	v_lshlrev_b32_e32 v21, 20, v21
	v_and_b32_e32 v23, 0x80000000, v23
	v_lshl_add_u32 v22, v22, 23, v24
	v_or3_b32 v22, v23, v22, v21
.LBB12_536:
	s_or_b64 exec, exec, s[6:7]
	s_nop 0
	v_mfma_f32_16x16x4f32 a[0:3], v20, v22, a[0:3]
	s_movk_i32 s4, 0x7f
	v_cmp_gt_i16_sdwa s[6:7], v14, s4 src0_sel:BYTE_3 src1_sel:DWORD
	s_mov_b64 s[4:5], 0
                                        ; implicit-def: $sgpr10
	s_and_saveexec_b64 s[8:9], s[6:7]
	s_xor_b64 s[6:7], exec, s[8:9]
	s_cbranch_execnz .LBB12_2585
; %bb.537:
	s_or_saveexec_b64 s[6:7], s[6:7]
	v_mov_b32_e32 v20, s10
	s_xor_b64 exec, exec, s[6:7]
	s_cbranch_execnz .LBB12_2588
.LBB12_538:
	s_or_b64 exec, exec, s[6:7]
	s_and_saveexec_b64 s[6:7], s[4:5]
	s_cbranch_execz .LBB12_540
.LBB12_539:
	v_bfe_u32 v20, v14, 24, 3
	v_ffbh_u32_e32 v24, v20
	v_min_u32_e32 v24, 32, v24
	v_lshrrev_b32_e32 v22, 27, v14
	v_subrev_u32_e32 v25, 28, v24
	v_and_b32_e32 v21, 0x80000000, v14
	v_and_b32_e32 v22, 15, v22
	v_bfe_u32 v23, v14, 27, 4
	v_lshlrev_b32_sdwa v14, v25, v14 dst_sel:DWORD dst_unused:UNUSED_PAD src0_sel:DWORD src1_sel:BYTE_3
	v_sub_u32_e32 v24, 29, v24
	v_and_b32_e32 v14, 7, v14
	v_cmp_eq_u16_e32 vcc, 0, v22
	v_cndmask_b32_e32 v14, v20, v14, vcc
	v_cndmask_b32_e32 v20, v23, v24, vcc
	v_mov_b32_e32 v22, 0x3b800000
	v_lshlrev_b32_e32 v14, 20, v14
	v_lshl_add_u32 v20, v20, 23, v22
	v_or3_b32 v20, v21, v20, v14
.LBB12_540:
	s_or_b64 exec, exec, s[6:7]
	s_movk_i32 s4, 0x7f
	v_cmp_gt_i16_sdwa s[6:7], v10, s4 src0_sel:BYTE_3 src1_sel:DWORD
	s_mov_b64 s[4:5], 0
                                        ; implicit-def: $sgpr10
	s_and_saveexec_b64 s[8:9], s[6:7]
	s_xor_b64 s[6:7], exec, s[8:9]
	s_cbranch_execnz .LBB12_2589
; %bb.541:
	s_or_saveexec_b64 s[6:7], s[6:7]
	v_mov_b32_e32 v14, s10
	s_xor_b64 exec, exec, s[6:7]
	s_cbranch_execnz .LBB12_2592
.LBB12_542:
	s_or_b64 exec, exec, s[6:7]
	s_and_saveexec_b64 s[6:7], s[4:5]
	s_cbranch_execz .LBB12_544
.LBB12_543:
	v_bfe_u32 v14, v10, 24, 3
	v_ffbh_u32_e32 v24, v14
	v_min_u32_e32 v24, 32, v24
	v_lshrrev_b32_e32 v22, 27, v10
	v_subrev_u32_e32 v25, 28, v24
	v_and_b32_e32 v21, 0x80000000, v10
	v_and_b32_e32 v22, 15, v22
	v_bfe_u32 v23, v10, 27, 4
	v_lshlrev_b32_sdwa v10, v25, v10 dst_sel:DWORD dst_unused:UNUSED_PAD src0_sel:DWORD src1_sel:BYTE_3
	v_sub_u32_e32 v24, 29, v24
	v_and_b32_e32 v10, 7, v10
	v_cmp_eq_u16_e32 vcc, 0, v22
	v_cndmask_b32_e32 v10, v14, v10, vcc
	v_cndmask_b32_e32 v14, v23, v24, vcc
	v_mov_b32_e32 v22, 0x3b800000
	v_lshlrev_b32_e32 v10, 20, v10
	v_lshl_add_u32 v14, v14, 23, v22
	v_or3_b32 v14, v21, v14, v10
.LBB12_544:
	s_or_b64 exec, exec, s[6:7]
	s_nop 0
	v_mfma_f32_16x16x4f32 a[0:3], v20, v14, a[0:3]
	s_movk_i32 s4, 0x7f
	v_cmp_gt_i16_sdwa s[6:7], v15, s4 src0_sel:BYTE_0 src1_sel:DWORD
	s_mov_b64 s[4:5], 0
                                        ; implicit-def: $sgpr10
	s_and_saveexec_b64 s[8:9], s[6:7]
	s_xor_b64 s[6:7], exec, s[8:9]
	s_cbranch_execnz .LBB12_2593
; %bb.545:
	s_or_saveexec_b64 s[6:7], s[6:7]
	v_mov_b32_e32 v10, s10
	s_xor_b64 exec, exec, s[6:7]
	s_cbranch_execnz .LBB12_2596
.LBB12_546:
	s_or_b64 exec, exec, s[6:7]
	s_and_saveexec_b64 s[6:7], s[4:5]
	s_cbranch_execz .LBB12_548
.LBB12_547:
	v_and_b32_e32 v10, 7, v15
	v_ffbh_u32_e32 v20, v10
	v_min_u32_e32 v20, 32, v20
	v_lshrrev_b16_e32 v14, 3, v15
	v_subrev_u32_e32 v21, 28, v20
	v_and_b32_e32 v14, 15, v14
	v_lshlrev_b32_e32 v21, v21, v15
	v_sub_u32_e32 v20, 29, v20
	v_and_b32_e32 v21, 7, v21
	v_cmp_eq_u16_e32 vcc, 0, v14
	v_cndmask_b32_e32 v10, v10, v21, vcc
	v_cndmask_b32_e32 v14, v14, v20, vcc
	v_lshlrev_b32_e32 v20, 24, v15
	v_mov_b32_e32 v21, 0x3b800000
	v_lshlrev_b32_e32 v10, 20, v10
	v_and_b32_e32 v20, 0x80000000, v20
	v_lshl_add_u32 v14, v14, 23, v21
	v_or3_b32 v10, v20, v14, v10
.LBB12_548:
	s_or_b64 exec, exec, s[6:7]
	s_movk_i32 s4, 0x7f
	v_cmp_gt_i16_sdwa s[6:7], v11, s4 src0_sel:BYTE_0 src1_sel:DWORD
	s_mov_b64 s[4:5], 0
                                        ; implicit-def: $sgpr10
	s_and_saveexec_b64 s[8:9], s[6:7]
	s_xor_b64 s[6:7], exec, s[8:9]
	s_cbranch_execnz .LBB12_2597
; %bb.549:
	s_or_saveexec_b64 s[6:7], s[6:7]
	v_mov_b32_e32 v14, s10
	s_xor_b64 exec, exec, s[6:7]
	s_cbranch_execnz .LBB12_2600
.LBB12_550:
	s_or_b64 exec, exec, s[6:7]
	s_and_saveexec_b64 s[6:7], s[4:5]
	s_cbranch_execz .LBB12_552
.LBB12_551:
	v_and_b32_e32 v14, 7, v11
	v_ffbh_u32_e32 v21, v14
	v_min_u32_e32 v21, 32, v21
	v_lshrrev_b16_e32 v20, 3, v11
	v_subrev_u32_e32 v22, 28, v21
	v_and_b32_e32 v20, 15, v20
	v_lshlrev_b32_e32 v22, v22, v11
	v_sub_u32_e32 v21, 29, v21
	v_and_b32_e32 v22, 7, v22
	v_cmp_eq_u16_e32 vcc, 0, v20
	v_cndmask_b32_e32 v14, v14, v22, vcc
	v_cndmask_b32_e32 v20, v20, v21, vcc
	v_lshlrev_b32_e32 v21, 24, v11
	v_mov_b32_e32 v22, 0x3b800000
	v_lshlrev_b32_e32 v14, 20, v14
	v_and_b32_e32 v21, 0x80000000, v21
	v_lshl_add_u32 v20, v20, 23, v22
	v_or3_b32 v14, v21, v20, v14
.LBB12_552:
	s_or_b64 exec, exec, s[6:7]
	s_nop 0
	v_mfma_f32_16x16x4f32 a[0:3], v10, v14, a[0:3]
	v_lshrrev_b32_e32 v14, 8, v15
	s_movk_i32 s4, 0x7f
	v_cmp_gt_i16_sdwa s[6:7], v14, s4 src0_sel:BYTE_0 src1_sel:DWORD
	s_mov_b64 s[4:5], 0
                                        ; implicit-def: $sgpr10
	s_and_saveexec_b64 s[8:9], s[6:7]
	s_xor_b64 s[6:7], exec, s[8:9]
	s_cbranch_execnz .LBB12_2601
; %bb.553:
	s_or_saveexec_b64 s[6:7], s[6:7]
	v_mov_b32_e32 v10, s10
	s_xor_b64 exec, exec, s[6:7]
	s_cbranch_execnz .LBB12_2604
.LBB12_554:
	s_or_b64 exec, exec, s[6:7]
	s_and_saveexec_b64 s[6:7], s[4:5]
	s_cbranch_execz .LBB12_556
.LBB12_555:
	v_bfe_u32 v10, v15, 8, 3
	v_ffbh_u32_e32 v21, v10
	v_min_u32_e32 v21, 32, v21
	v_lshrrev_b16_e32 v20, 3, v14
	v_subrev_u32_e32 v22, 28, v21
	v_and_b32_e32 v20, 15, v20
	v_lshlrev_b32_e32 v14, v22, v14
	v_sub_u32_e32 v21, 29, v21
	v_and_b32_e32 v14, 7, v14
	v_cmp_eq_u16_e32 vcc, 0, v20
	v_cndmask_b32_e32 v10, v10, v14, vcc
	v_cndmask_b32_e32 v14, v20, v21, vcc
	v_lshlrev_b32_e32 v20, 16, v15
	v_mov_b32_e32 v21, 0x3b800000
	v_lshlrev_b32_e32 v10, 20, v10
	v_and_b32_e32 v20, 0x80000000, v20
	v_lshl_add_u32 v14, v14, 23, v21
	v_or3_b32 v10, v20, v14, v10
.LBB12_556:
	s_or_b64 exec, exec, s[6:7]
	v_lshrrev_b32_e32 v14, 8, v11
	s_movk_i32 s4, 0x7f
	v_cmp_gt_i16_sdwa s[6:7], v14, s4 src0_sel:BYTE_0 src1_sel:DWORD
	s_mov_b64 s[4:5], 0
                                        ; implicit-def: $sgpr10
	s_and_saveexec_b64 s[8:9], s[6:7]
	s_xor_b64 s[6:7], exec, s[8:9]
	s_cbranch_execnz .LBB12_2605
; %bb.557:
	s_or_saveexec_b64 s[6:7], s[6:7]
	v_mov_b32_e32 v20, s10
	s_xor_b64 exec, exec, s[6:7]
	s_cbranch_execnz .LBB12_2608
.LBB12_558:
	s_or_b64 exec, exec, s[6:7]
	s_and_saveexec_b64 s[6:7], s[4:5]
	s_cbranch_execz .LBB12_560
.LBB12_559:
	v_bfe_u32 v20, v11, 8, 3
	v_ffbh_u32_e32 v22, v20
	v_min_u32_e32 v22, 32, v22
	v_lshrrev_b16_e32 v21, 3, v14
	v_subrev_u32_e32 v23, 28, v22
	v_and_b32_e32 v21, 15, v21
	v_lshlrev_b32_e32 v14, v23, v14
	v_sub_u32_e32 v22, 29, v22
	v_and_b32_e32 v14, 7, v14
	v_cmp_eq_u16_e32 vcc, 0, v21
	v_cndmask_b32_e32 v14, v20, v14, vcc
	v_cndmask_b32_e32 v20, v21, v22, vcc
	v_lshlrev_b32_e32 v21, 16, v11
	v_mov_b32_e32 v22, 0x3b800000
	v_lshlrev_b32_e32 v14, 20, v14
	v_and_b32_e32 v21, 0x80000000, v21
	v_lshl_add_u32 v20, v20, 23, v22
	v_or3_b32 v20, v21, v20, v14
.LBB12_560:
	s_or_b64 exec, exec, s[6:7]
	s_nop 0
	v_mfma_f32_16x16x4f32 a[0:3], v10, v20, a[0:3]
	s_movk_i32 s4, 0xff
	v_and_b32_sdwa v14, v15, s4 dst_sel:DWORD dst_unused:UNUSED_PAD src0_sel:WORD_1 src1_sel:DWORD
	s_movk_i32 s4, 0x7f
	v_cmp_lt_i16_e32 vcc, s4, v14
	s_mov_b64 s[4:5], 0
                                        ; implicit-def: $sgpr10
	s_and_saveexec_b64 s[6:7], vcc
	s_xor_b64 s[6:7], exec, s[6:7]
	s_cbranch_execnz .LBB12_2609
; %bb.561:
	s_or_saveexec_b64 s[6:7], s[6:7]
	v_mov_b32_e32 v10, s10
	s_xor_b64 exec, exec, s[6:7]
	s_cbranch_execnz .LBB12_2612
.LBB12_562:
	s_or_b64 exec, exec, s[6:7]
	s_and_saveexec_b64 s[6:7], s[4:5]
	s_cbranch_execz .LBB12_564
.LBB12_563:
	v_bfe_u32 v10, v15, 16, 3
	v_ffbh_u32_e32 v21, v10
	v_min_u32_e32 v21, 32, v21
	v_lshrrev_b32_e32 v14, 19, v15
	v_subrev_u32_e32 v22, 28, v21
	v_and_b32_e32 v14, 15, v14
	v_lshlrev_b32_sdwa v22, v22, v15 dst_sel:DWORD dst_unused:UNUSED_PAD src0_sel:DWORD src1_sel:WORD_1
	v_bfe_u32 v20, v15, 19, 4
	v_sub_u32_e32 v21, 29, v21
	v_and_b32_e32 v22, 7, v22
	v_cmp_eq_u16_e32 vcc, 0, v14
	v_cndmask_b32_e32 v10, v10, v22, vcc
	v_cndmask_b32_e32 v14, v20, v21, vcc
	v_lshlrev_b32_e32 v20, 8, v15
	v_mov_b32_e32 v21, 0x3b800000
	v_lshlrev_b32_e32 v10, 20, v10
	v_and_b32_e32 v20, 0x80000000, v20
	v_lshl_add_u32 v14, v14, 23, v21
	v_or3_b32 v10, v20, v14, v10
.LBB12_564:
	s_or_b64 exec, exec, s[6:7]
	s_movk_i32 s4, 0xff
	v_and_b32_sdwa v14, v11, s4 dst_sel:DWORD dst_unused:UNUSED_PAD src0_sel:WORD_1 src1_sel:DWORD
	s_movk_i32 s4, 0x7f
	v_cmp_lt_i16_e32 vcc, s4, v14
	s_mov_b64 s[4:5], 0
                                        ; implicit-def: $sgpr10
	s_and_saveexec_b64 s[6:7], vcc
	s_xor_b64 s[6:7], exec, s[6:7]
	s_cbranch_execnz .LBB12_2613
; %bb.565:
	s_or_saveexec_b64 s[6:7], s[6:7]
	v_mov_b32_e32 v20, s10
	s_xor_b64 exec, exec, s[6:7]
	s_cbranch_execnz .LBB12_2616
.LBB12_566:
	s_or_b64 exec, exec, s[6:7]
	s_and_saveexec_b64 s[6:7], s[4:5]
	s_cbranch_execz .LBB12_568
.LBB12_567:
	v_bfe_u32 v14, v11, 16, 3
	v_ffbh_u32_e32 v22, v14
	v_min_u32_e32 v22, 32, v22
	v_lshrrev_b32_e32 v20, 19, v11
	v_subrev_u32_e32 v23, 28, v22
	v_and_b32_e32 v20, 15, v20
	v_lshlrev_b32_sdwa v23, v23, v11 dst_sel:DWORD dst_unused:UNUSED_PAD src0_sel:DWORD src1_sel:WORD_1
	v_bfe_u32 v21, v11, 19, 4
	v_sub_u32_e32 v22, 29, v22
	v_and_b32_e32 v23, 7, v23
	v_cmp_eq_u16_e32 vcc, 0, v20
	v_cndmask_b32_e32 v14, v14, v23, vcc
	v_cndmask_b32_e32 v20, v21, v22, vcc
	v_lshlrev_b32_e32 v21, 8, v11
	v_mov_b32_e32 v22, 0x3b800000
	v_lshlrev_b32_e32 v14, 20, v14
	v_and_b32_e32 v21, 0x80000000, v21
	v_lshl_add_u32 v20, v20, 23, v22
	v_or3_b32 v20, v21, v20, v14
.LBB12_568:
	s_or_b64 exec, exec, s[6:7]
	s_nop 0
	v_mfma_f32_16x16x4f32 a[0:3], v10, v20, a[0:3]
	s_movk_i32 s4, 0x7f
	v_cmp_gt_i16_sdwa s[6:7], v15, s4 src0_sel:BYTE_3 src1_sel:DWORD
	s_mov_b64 s[4:5], 0
                                        ; implicit-def: $sgpr10
	s_and_saveexec_b64 s[8:9], s[6:7]
	s_xor_b64 s[6:7], exec, s[8:9]
	s_cbranch_execnz .LBB12_2617
; %bb.569:
	s_or_saveexec_b64 s[6:7], s[6:7]
	v_mov_b32_e32 v10, s10
	s_xor_b64 exec, exec, s[6:7]
	s_cbranch_execnz .LBB12_2620
.LBB12_570:
	s_or_b64 exec, exec, s[6:7]
	s_and_saveexec_b64 s[6:7], s[4:5]
	s_cbranch_execz .LBB12_572
.LBB12_571:
	v_bfe_u32 v10, v15, 24, 3
	v_ffbh_u32_e32 v22, v10
	v_min_u32_e32 v22, 32, v22
	v_lshrrev_b32_e32 v20, 27, v15
	v_subrev_u32_e32 v23, 28, v22
	v_and_b32_e32 v14, 0x80000000, v15
	v_and_b32_e32 v20, 15, v20
	v_bfe_u32 v21, v15, 27, 4
	v_lshlrev_b32_sdwa v15, v23, v15 dst_sel:DWORD dst_unused:UNUSED_PAD src0_sel:DWORD src1_sel:BYTE_3
	v_sub_u32_e32 v22, 29, v22
	v_and_b32_e32 v15, 7, v15
	v_cmp_eq_u16_e32 vcc, 0, v20
	v_cndmask_b32_e32 v10, v10, v15, vcc
	v_cndmask_b32_e32 v15, v21, v22, vcc
	v_mov_b32_e32 v20, 0x3b800000
	v_lshlrev_b32_e32 v10, 20, v10
	v_lshl_add_u32 v15, v15, 23, v20
	v_or3_b32 v10, v14, v15, v10
.LBB12_572:
	s_or_b64 exec, exec, s[6:7]
	s_movk_i32 s4, 0x7f
	v_cmp_gt_i16_sdwa s[6:7], v11, s4 src0_sel:BYTE_3 src1_sel:DWORD
	s_mov_b64 s[4:5], 0
                                        ; implicit-def: $sgpr10
	s_and_saveexec_b64 s[8:9], s[6:7]
	s_xor_b64 s[6:7], exec, s[8:9]
	s_cbranch_execnz .LBB12_2621
; %bb.573:
	s_or_saveexec_b64 s[6:7], s[6:7]
	v_mov_b32_e32 v14, s10
	s_xor_b64 exec, exec, s[6:7]
	s_cbranch_execnz .LBB12_2624
.LBB12_574:
	s_or_b64 exec, exec, s[6:7]
	s_and_saveexec_b64 s[6:7], s[4:5]
	s_cbranch_execz .LBB12_576
.LBB12_575:
	v_bfe_u32 v14, v11, 24, 3
	v_ffbh_u32_e32 v22, v14
	v_min_u32_e32 v22, 32, v22
	v_lshrrev_b32_e32 v20, 27, v11
	v_subrev_u32_e32 v23, 28, v22
	v_and_b32_e32 v15, 0x80000000, v11
	v_and_b32_e32 v20, 15, v20
	v_bfe_u32 v21, v11, 27, 4
	v_lshlrev_b32_sdwa v11, v23, v11 dst_sel:DWORD dst_unused:UNUSED_PAD src0_sel:DWORD src1_sel:BYTE_3
	v_sub_u32_e32 v22, 29, v22
	v_and_b32_e32 v11, 7, v11
	v_cmp_eq_u16_e32 vcc, 0, v20
	v_cndmask_b32_e32 v11, v14, v11, vcc
	v_cndmask_b32_e32 v14, v21, v22, vcc
	v_mov_b32_e32 v20, 0x3b800000
	v_lshlrev_b32_e32 v11, 20, v11
	v_lshl_add_u32 v14, v14, 23, v20
	v_or3_b32 v14, v15, v14, v11
.LBB12_576:
	s_or_b64 exec, exec, s[6:7]
	s_nop 0
	v_mfma_f32_16x16x4f32 a[0:3], v10, v14, a[0:3]
	s_movk_i32 s4, 0x7f
	v_cmp_gt_i16_sdwa s[6:7], v16, s4 src0_sel:BYTE_0 src1_sel:DWORD
	s_mov_b64 s[4:5], 0
                                        ; implicit-def: $sgpr10
	s_and_saveexec_b64 s[8:9], s[6:7]
	s_xor_b64 s[6:7], exec, s[8:9]
	s_cbranch_execnz .LBB12_2625
; %bb.577:
	s_or_saveexec_b64 s[6:7], s[6:7]
	v_mov_b32_e32 v10, s10
	s_xor_b64 exec, exec, s[6:7]
	s_cbranch_execnz .LBB12_2628
.LBB12_578:
	s_or_b64 exec, exec, s[6:7]
	s_and_saveexec_b64 s[6:7], s[4:5]
	s_cbranch_execz .LBB12_580
.LBB12_579:
	v_and_b32_e32 v10, 7, v16
	v_ffbh_u32_e32 v14, v10
	v_min_u32_e32 v14, 32, v14
	v_lshrrev_b16_e32 v11, 3, v16
	v_subrev_u32_e32 v15, 28, v14
	v_and_b32_e32 v11, 15, v11
	v_lshlrev_b32_e32 v15, v15, v16
	v_sub_u32_e32 v14, 29, v14
	v_and_b32_e32 v15, 7, v15
	v_cmp_eq_u16_e32 vcc, 0, v11
	v_cndmask_b32_e32 v10, v10, v15, vcc
	v_cndmask_b32_e32 v11, v11, v14, vcc
	v_lshlrev_b32_e32 v14, 24, v16
	v_mov_b32_e32 v15, 0x3b800000
	v_lshlrev_b32_e32 v10, 20, v10
	v_and_b32_e32 v14, 0x80000000, v14
	v_lshl_add_u32 v11, v11, 23, v15
	v_or3_b32 v10, v14, v11, v10
.LBB12_580:
	s_or_b64 exec, exec, s[6:7]
	s_movk_i32 s4, 0x7f
	v_cmp_gt_i16_sdwa s[6:7], v12, s4 src0_sel:BYTE_0 src1_sel:DWORD
	s_mov_b64 s[4:5], 0
                                        ; implicit-def: $sgpr10
	s_and_saveexec_b64 s[8:9], s[6:7]
	s_xor_b64 s[6:7], exec, s[8:9]
	s_cbranch_execnz .LBB12_2629
; %bb.581:
	s_or_saveexec_b64 s[6:7], s[6:7]
	v_mov_b32_e32 v11, s10
	s_xor_b64 exec, exec, s[6:7]
	s_cbranch_execnz .LBB12_2632
.LBB12_582:
	s_or_b64 exec, exec, s[6:7]
	s_and_saveexec_b64 s[6:7], s[4:5]
	s_cbranch_execz .LBB12_584
.LBB12_583:
	v_and_b32_e32 v11, 7, v12
	v_ffbh_u32_e32 v15, v11
	v_min_u32_e32 v15, 32, v15
	v_lshrrev_b16_e32 v14, 3, v12
	v_subrev_u32_e32 v20, 28, v15
	v_and_b32_e32 v14, 15, v14
	v_lshlrev_b32_e32 v20, v20, v12
	v_sub_u32_e32 v15, 29, v15
	v_and_b32_e32 v20, 7, v20
	v_cmp_eq_u16_e32 vcc, 0, v14
	v_cndmask_b32_e32 v11, v11, v20, vcc
	v_cndmask_b32_e32 v14, v14, v15, vcc
	v_lshlrev_b32_e32 v15, 24, v12
	v_mov_b32_e32 v20, 0x3b800000
	v_lshlrev_b32_e32 v11, 20, v11
	v_and_b32_e32 v15, 0x80000000, v15
	v_lshl_add_u32 v14, v14, 23, v20
	v_or3_b32 v11, v15, v14, v11
.LBB12_584:
	s_or_b64 exec, exec, s[6:7]
	s_nop 0
	v_mfma_f32_16x16x4f32 a[0:3], v10, v11, a[0:3]
	v_lshrrev_b32_e32 v11, 8, v16
	s_movk_i32 s4, 0x7f
	v_cmp_gt_i16_sdwa s[6:7], v11, s4 src0_sel:BYTE_0 src1_sel:DWORD
	s_mov_b64 s[4:5], 0
                                        ; implicit-def: $sgpr10
	s_and_saveexec_b64 s[8:9], s[6:7]
	s_xor_b64 s[6:7], exec, s[8:9]
	s_cbranch_execnz .LBB12_2633
; %bb.585:
	s_or_saveexec_b64 s[6:7], s[6:7]
	v_mov_b32_e32 v10, s10
	s_xor_b64 exec, exec, s[6:7]
	s_cbranch_execnz .LBB12_2636
.LBB12_586:
	s_or_b64 exec, exec, s[6:7]
	s_and_saveexec_b64 s[6:7], s[4:5]
	s_cbranch_execz .LBB12_588
.LBB12_587:
	v_bfe_u32 v10, v16, 8, 3
	v_ffbh_u32_e32 v15, v10
	v_min_u32_e32 v15, 32, v15
	v_lshrrev_b16_e32 v14, 3, v11
	v_subrev_u32_e32 v20, 28, v15
	v_and_b32_e32 v14, 15, v14
	v_lshlrev_b32_e32 v11, v20, v11
	v_sub_u32_e32 v15, 29, v15
	v_and_b32_e32 v11, 7, v11
	v_cmp_eq_u16_e32 vcc, 0, v14
	v_cndmask_b32_e32 v10, v10, v11, vcc
	v_cndmask_b32_e32 v11, v14, v15, vcc
	v_lshlrev_b32_e32 v14, 16, v16
	v_mov_b32_e32 v15, 0x3b800000
	v_lshlrev_b32_e32 v10, 20, v10
	v_and_b32_e32 v14, 0x80000000, v14
	v_lshl_add_u32 v11, v11, 23, v15
	v_or3_b32 v10, v14, v11, v10
.LBB12_588:
	s_or_b64 exec, exec, s[6:7]
	v_lshrrev_b32_e32 v11, 8, v12
	s_movk_i32 s4, 0x7f
	v_cmp_gt_i16_sdwa s[6:7], v11, s4 src0_sel:BYTE_0 src1_sel:DWORD
	s_mov_b64 s[4:5], 0
                                        ; implicit-def: $sgpr10
	s_and_saveexec_b64 s[8:9], s[6:7]
	s_xor_b64 s[6:7], exec, s[8:9]
	s_cbranch_execnz .LBB12_2637
; %bb.589:
	s_or_saveexec_b64 s[6:7], s[6:7]
	v_mov_b32_e32 v14, s10
	s_xor_b64 exec, exec, s[6:7]
	s_cbranch_execnz .LBB12_2640
.LBB12_590:
	s_or_b64 exec, exec, s[6:7]
	s_and_saveexec_b64 s[6:7], s[4:5]
	s_cbranch_execz .LBB12_592
.LBB12_591:
	v_bfe_u32 v14, v12, 8, 3
	v_ffbh_u32_e32 v20, v14
	v_min_u32_e32 v20, 32, v20
	v_lshrrev_b16_e32 v15, 3, v11
	v_subrev_u32_e32 v21, 28, v20
	v_and_b32_e32 v15, 15, v15
	v_lshlrev_b32_e32 v11, v21, v11
	v_sub_u32_e32 v20, 29, v20
	v_and_b32_e32 v11, 7, v11
	v_cmp_eq_u16_e32 vcc, 0, v15
	v_cndmask_b32_e32 v11, v14, v11, vcc
	v_cndmask_b32_e32 v14, v15, v20, vcc
	v_lshlrev_b32_e32 v15, 16, v12
	v_mov_b32_e32 v20, 0x3b800000
	v_lshlrev_b32_e32 v11, 20, v11
	v_and_b32_e32 v15, 0x80000000, v15
	v_lshl_add_u32 v14, v14, 23, v20
	v_or3_b32 v14, v15, v14, v11
.LBB12_592:
	s_or_b64 exec, exec, s[6:7]
	s_nop 0
	v_mfma_f32_16x16x4f32 a[0:3], v10, v14, a[0:3]
	s_movk_i32 s4, 0xff
	v_and_b32_sdwa v11, v16, s4 dst_sel:DWORD dst_unused:UNUSED_PAD src0_sel:WORD_1 src1_sel:DWORD
	s_movk_i32 s4, 0x7f
	v_cmp_lt_i16_e32 vcc, s4, v11
	s_mov_b64 s[4:5], 0
                                        ; implicit-def: $sgpr10
	s_and_saveexec_b64 s[6:7], vcc
	s_xor_b64 s[6:7], exec, s[6:7]
	s_cbranch_execnz .LBB12_2641
; %bb.593:
	s_or_saveexec_b64 s[6:7], s[6:7]
	v_mov_b32_e32 v10, s10
	s_xor_b64 exec, exec, s[6:7]
	s_cbranch_execnz .LBB12_2644
.LBB12_594:
	s_or_b64 exec, exec, s[6:7]
	s_and_saveexec_b64 s[6:7], s[4:5]
	s_cbranch_execz .LBB12_596
.LBB12_595:
	v_bfe_u32 v10, v16, 16, 3
	v_ffbh_u32_e32 v15, v10
	v_min_u32_e32 v15, 32, v15
	v_lshrrev_b32_e32 v11, 19, v16
	v_subrev_u32_e32 v20, 28, v15
	v_and_b32_e32 v11, 15, v11
	v_lshlrev_b32_sdwa v20, v20, v16 dst_sel:DWORD dst_unused:UNUSED_PAD src0_sel:DWORD src1_sel:WORD_1
	v_bfe_u32 v14, v16, 19, 4
	v_sub_u32_e32 v15, 29, v15
	v_and_b32_e32 v20, 7, v20
	v_cmp_eq_u16_e32 vcc, 0, v11
	v_cndmask_b32_e32 v10, v10, v20, vcc
	v_cndmask_b32_e32 v11, v14, v15, vcc
	v_lshlrev_b32_e32 v14, 8, v16
	v_mov_b32_e32 v15, 0x3b800000
	v_lshlrev_b32_e32 v10, 20, v10
	v_and_b32_e32 v14, 0x80000000, v14
	v_lshl_add_u32 v11, v11, 23, v15
	v_or3_b32 v10, v14, v11, v10
.LBB12_596:
	s_or_b64 exec, exec, s[6:7]
	s_movk_i32 s4, 0xff
	v_and_b32_sdwa v11, v12, s4 dst_sel:DWORD dst_unused:UNUSED_PAD src0_sel:WORD_1 src1_sel:DWORD
	s_movk_i32 s4, 0x7f
	v_cmp_lt_i16_e32 vcc, s4, v11
	s_mov_b64 s[4:5], 0
                                        ; implicit-def: $sgpr10
	s_and_saveexec_b64 s[6:7], vcc
	s_xor_b64 s[6:7], exec, s[6:7]
	s_cbranch_execnz .LBB12_2645
; %bb.597:
	s_or_saveexec_b64 s[6:7], s[6:7]
	v_mov_b32_e32 v14, s10
	s_xor_b64 exec, exec, s[6:7]
	s_cbranch_execnz .LBB12_2648
.LBB12_598:
	s_or_b64 exec, exec, s[6:7]
	s_and_saveexec_b64 s[6:7], s[4:5]
	s_cbranch_execz .LBB12_600
.LBB12_599:
	v_bfe_u32 v11, v12, 16, 3
	v_ffbh_u32_e32 v20, v11
	v_min_u32_e32 v20, 32, v20
	v_lshrrev_b32_e32 v14, 19, v12
	v_subrev_u32_e32 v21, 28, v20
	v_and_b32_e32 v14, 15, v14
	v_lshlrev_b32_sdwa v21, v21, v12 dst_sel:DWORD dst_unused:UNUSED_PAD src0_sel:DWORD src1_sel:WORD_1
	v_bfe_u32 v15, v12, 19, 4
	v_sub_u32_e32 v20, 29, v20
	v_and_b32_e32 v21, 7, v21
	v_cmp_eq_u16_e32 vcc, 0, v14
	v_cndmask_b32_e32 v11, v11, v21, vcc
	v_cndmask_b32_e32 v14, v15, v20, vcc
	v_lshlrev_b32_e32 v15, 8, v12
	v_mov_b32_e32 v20, 0x3b800000
	v_lshlrev_b32_e32 v11, 20, v11
	v_and_b32_e32 v15, 0x80000000, v15
	v_lshl_add_u32 v14, v14, 23, v20
	v_or3_b32 v14, v15, v14, v11
.LBB12_600:
	s_or_b64 exec, exec, s[6:7]
	s_nop 0
	v_mfma_f32_16x16x4f32 a[0:3], v10, v14, a[0:3]
	s_movk_i32 s4, 0x7f
	v_cmp_gt_i16_sdwa s[6:7], v16, s4 src0_sel:BYTE_3 src1_sel:DWORD
	s_mov_b64 s[4:5], 0
                                        ; implicit-def: $sgpr10
	s_and_saveexec_b64 s[8:9], s[6:7]
	s_xor_b64 s[6:7], exec, s[8:9]
	s_cbranch_execnz .LBB12_2649
; %bb.601:
	s_or_saveexec_b64 s[6:7], s[6:7]
	v_mov_b32_e32 v10, s10
	s_xor_b64 exec, exec, s[6:7]
	s_cbranch_execnz .LBB12_2652
.LBB12_602:
	s_or_b64 exec, exec, s[6:7]
	s_and_saveexec_b64 s[6:7], s[4:5]
	s_cbranch_execz .LBB12_604
.LBB12_603:
	v_bfe_u32 v10, v16, 24, 3
	v_ffbh_u32_e32 v20, v10
	v_min_u32_e32 v20, 32, v20
	v_lshrrev_b32_e32 v14, 27, v16
	v_subrev_u32_e32 v21, 28, v20
	v_and_b32_e32 v11, 0x80000000, v16
	v_and_b32_e32 v14, 15, v14
	v_bfe_u32 v15, v16, 27, 4
	v_lshlrev_b32_sdwa v16, v21, v16 dst_sel:DWORD dst_unused:UNUSED_PAD src0_sel:DWORD src1_sel:BYTE_3
	v_sub_u32_e32 v20, 29, v20
	v_and_b32_e32 v16, 7, v16
	v_cmp_eq_u16_e32 vcc, 0, v14
	v_cndmask_b32_e32 v10, v10, v16, vcc
	v_cndmask_b32_e32 v14, v15, v20, vcc
	v_mov_b32_e32 v15, 0x3b800000
	v_lshlrev_b32_e32 v10, 20, v10
	v_lshl_add_u32 v14, v14, 23, v15
	v_or3_b32 v10, v11, v14, v10
.LBB12_604:
	s_or_b64 exec, exec, s[6:7]
	s_movk_i32 s4, 0x7f
	v_cmp_gt_i16_sdwa s[6:7], v12, s4 src0_sel:BYTE_3 src1_sel:DWORD
	s_mov_b64 s[4:5], 0
                                        ; implicit-def: $sgpr10
	s_and_saveexec_b64 s[8:9], s[6:7]
	s_xor_b64 s[6:7], exec, s[8:9]
	s_cbranch_execnz .LBB12_2653
; %bb.605:
	s_or_saveexec_b64 s[6:7], s[6:7]
	v_mov_b32_e32 v11, s10
	s_xor_b64 exec, exec, s[6:7]
	s_cbranch_execnz .LBB12_2656
.LBB12_606:
	s_or_b64 exec, exec, s[6:7]
	s_and_saveexec_b64 s[6:7], s[4:5]
	s_cbranch_execz .LBB12_608
.LBB12_607:
	v_bfe_u32 v11, v12, 24, 3
	v_ffbh_u32_e32 v20, v11
	v_min_u32_e32 v20, 32, v20
	v_lshrrev_b32_e32 v15, 27, v12
	v_subrev_u32_e32 v21, 28, v20
	v_and_b32_e32 v14, 0x80000000, v12
	v_and_b32_e32 v15, 15, v15
	v_bfe_u32 v16, v12, 27, 4
	v_lshlrev_b32_sdwa v12, v21, v12 dst_sel:DWORD dst_unused:UNUSED_PAD src0_sel:DWORD src1_sel:BYTE_3
	v_sub_u32_e32 v20, 29, v20
	v_and_b32_e32 v12, 7, v12
	v_cmp_eq_u16_e32 vcc, 0, v15
	v_cndmask_b32_e32 v11, v11, v12, vcc
	v_cndmask_b32_e32 v12, v16, v20, vcc
	v_mov_b32_e32 v15, 0x3b800000
	v_lshlrev_b32_e32 v11, 20, v11
	v_lshl_add_u32 v12, v12, 23, v15
	v_or3_b32 v11, v14, v12, v11
.LBB12_608:
	s_or_b64 exec, exec, s[6:7]
	s_nop 0
	v_mfma_f32_16x16x4f32 a[0:3], v10, v11, a[0:3]
	s_movk_i32 s4, 0x7f
	v_cmp_gt_i16_sdwa s[6:7], v17, s4 src0_sel:BYTE_0 src1_sel:DWORD
	s_mov_b64 s[4:5], 0
                                        ; implicit-def: $sgpr10
	s_and_saveexec_b64 s[8:9], s[6:7]
	s_xor_b64 s[6:7], exec, s[8:9]
	s_cbranch_execnz .LBB12_2657
; %bb.609:
	s_or_saveexec_b64 s[6:7], s[6:7]
	v_mov_b32_e32 v10, s10
	s_xor_b64 exec, exec, s[6:7]
	s_cbranch_execnz .LBB12_2660
.LBB12_610:
	s_or_b64 exec, exec, s[6:7]
	s_and_saveexec_b64 s[6:7], s[4:5]
	s_cbranch_execz .LBB12_612
.LBB12_611:
	v_and_b32_e32 v10, 7, v17
	v_ffbh_u32_e32 v12, v10
	v_min_u32_e32 v12, 32, v12
	v_lshrrev_b16_e32 v11, 3, v17
	v_subrev_u32_e32 v14, 28, v12
	v_and_b32_e32 v11, 15, v11
	v_lshlrev_b32_e32 v14, v14, v17
	v_sub_u32_e32 v12, 29, v12
	v_and_b32_e32 v14, 7, v14
	v_cmp_eq_u16_e32 vcc, 0, v11
	v_cndmask_b32_e32 v10, v10, v14, vcc
	v_cndmask_b32_e32 v11, v11, v12, vcc
	v_lshlrev_b32_e32 v12, 24, v17
	v_mov_b32_e32 v14, 0x3b800000
	v_lshlrev_b32_e32 v10, 20, v10
	v_and_b32_e32 v12, 0x80000000, v12
	v_lshl_add_u32 v11, v11, 23, v14
	v_or3_b32 v10, v12, v11, v10
.LBB12_612:
	s_or_b64 exec, exec, s[6:7]
	s_movk_i32 s4, 0x7f
	v_cmp_gt_i16_sdwa s[6:7], v13, s4 src0_sel:BYTE_0 src1_sel:DWORD
	s_mov_b64 s[4:5], 0
                                        ; implicit-def: $sgpr10
	s_and_saveexec_b64 s[8:9], s[6:7]
	s_xor_b64 s[6:7], exec, s[8:9]
	s_cbranch_execnz .LBB12_2661
; %bb.613:
	s_or_saveexec_b64 s[6:7], s[6:7]
	v_mov_b32_e32 v11, s10
	s_xor_b64 exec, exec, s[6:7]
	s_cbranch_execnz .LBB12_2664
.LBB12_614:
	s_or_b64 exec, exec, s[6:7]
	s_and_saveexec_b64 s[6:7], s[4:5]
	s_cbranch_execz .LBB12_616
.LBB12_615:
	v_and_b32_e32 v11, 7, v13
	v_ffbh_u32_e32 v14, v11
	v_min_u32_e32 v14, 32, v14
	v_lshrrev_b16_e32 v12, 3, v13
	v_subrev_u32_e32 v15, 28, v14
	v_and_b32_e32 v12, 15, v12
	v_lshlrev_b32_e32 v15, v15, v13
	v_sub_u32_e32 v14, 29, v14
	v_and_b32_e32 v15, 7, v15
	v_cmp_eq_u16_e32 vcc, 0, v12
	v_cndmask_b32_e32 v11, v11, v15, vcc
	v_cndmask_b32_e32 v12, v12, v14, vcc
	v_lshlrev_b32_e32 v14, 24, v13
	v_mov_b32_e32 v15, 0x3b800000
	v_lshlrev_b32_e32 v11, 20, v11
	v_and_b32_e32 v14, 0x80000000, v14
	v_lshl_add_u32 v12, v12, 23, v15
	v_or3_b32 v11, v14, v12, v11
.LBB12_616:
	s_or_b64 exec, exec, s[6:7]
	s_nop 0
	v_mfma_f32_16x16x4f32 a[0:3], v10, v11, a[0:3]
	v_lshrrev_b32_e32 v11, 8, v17
	s_movk_i32 s4, 0x7f
	v_cmp_gt_i16_sdwa s[6:7], v11, s4 src0_sel:BYTE_0 src1_sel:DWORD
	s_mov_b64 s[4:5], 0
                                        ; implicit-def: $sgpr10
	s_and_saveexec_b64 s[8:9], s[6:7]
	s_xor_b64 s[6:7], exec, s[8:9]
	s_cbranch_execnz .LBB12_2665
; %bb.617:
	s_or_saveexec_b64 s[6:7], s[6:7]
	v_mov_b32_e32 v10, s10
	s_xor_b64 exec, exec, s[6:7]
	s_cbranch_execnz .LBB12_2668
.LBB12_618:
	s_or_b64 exec, exec, s[6:7]
	s_and_saveexec_b64 s[6:7], s[4:5]
	s_cbranch_execz .LBB12_620
.LBB12_619:
	v_bfe_u32 v10, v17, 8, 3
	v_ffbh_u32_e32 v14, v10
	v_min_u32_e32 v14, 32, v14
	v_lshrrev_b16_e32 v12, 3, v11
	v_subrev_u32_e32 v15, 28, v14
	v_and_b32_e32 v12, 15, v12
	v_lshlrev_b32_e32 v11, v15, v11
	v_sub_u32_e32 v14, 29, v14
	v_and_b32_e32 v11, 7, v11
	v_cmp_eq_u16_e32 vcc, 0, v12
	v_cndmask_b32_e32 v10, v10, v11, vcc
	v_cndmask_b32_e32 v11, v12, v14, vcc
	v_lshlrev_b32_e32 v12, 16, v17
	v_mov_b32_e32 v14, 0x3b800000
	v_lshlrev_b32_e32 v10, 20, v10
	v_and_b32_e32 v12, 0x80000000, v12
	v_lshl_add_u32 v11, v11, 23, v14
	v_or3_b32 v10, v12, v11, v10
.LBB12_620:
	s_or_b64 exec, exec, s[6:7]
	v_lshrrev_b32_e32 v11, 8, v13
	s_movk_i32 s4, 0x7f
	v_cmp_gt_i16_sdwa s[6:7], v11, s4 src0_sel:BYTE_0 src1_sel:DWORD
	s_mov_b64 s[4:5], 0
                                        ; implicit-def: $sgpr10
	s_and_saveexec_b64 s[8:9], s[6:7]
	s_xor_b64 s[6:7], exec, s[8:9]
	s_cbranch_execnz .LBB12_2669
; %bb.621:
	s_or_saveexec_b64 s[6:7], s[6:7]
	v_mov_b32_e32 v12, s10
	s_xor_b64 exec, exec, s[6:7]
	s_cbranch_execnz .LBB12_2672
.LBB12_622:
	s_or_b64 exec, exec, s[6:7]
	s_and_saveexec_b64 s[6:7], s[4:5]
	s_cbranch_execz .LBB12_624
.LBB12_623:
	v_bfe_u32 v12, v13, 8, 3
	v_ffbh_u32_e32 v15, v12
	v_min_u32_e32 v15, 32, v15
	v_lshrrev_b16_e32 v14, 3, v11
	v_subrev_u32_e32 v16, 28, v15
	v_and_b32_e32 v14, 15, v14
	v_lshlrev_b32_e32 v11, v16, v11
	v_sub_u32_e32 v15, 29, v15
	v_and_b32_e32 v11, 7, v11
	v_cmp_eq_u16_e32 vcc, 0, v14
	v_cndmask_b32_e32 v11, v12, v11, vcc
	v_cndmask_b32_e32 v12, v14, v15, vcc
	v_lshlrev_b32_e32 v14, 16, v13
	v_mov_b32_e32 v15, 0x3b800000
	v_lshlrev_b32_e32 v11, 20, v11
	v_and_b32_e32 v14, 0x80000000, v14
	v_lshl_add_u32 v12, v12, 23, v15
	v_or3_b32 v12, v14, v12, v11
.LBB12_624:
	s_or_b64 exec, exec, s[6:7]
	s_nop 0
	v_mfma_f32_16x16x4f32 a[0:3], v10, v12, a[0:3]
	s_movk_i32 s4, 0xff
	v_and_b32_sdwa v11, v17, s4 dst_sel:DWORD dst_unused:UNUSED_PAD src0_sel:WORD_1 src1_sel:DWORD
	s_movk_i32 s4, 0x7f
	v_cmp_lt_i16_e32 vcc, s4, v11
	s_mov_b64 s[4:5], 0
                                        ; implicit-def: $sgpr10
	s_and_saveexec_b64 s[6:7], vcc
	s_xor_b64 s[6:7], exec, s[6:7]
	s_cbranch_execnz .LBB12_2673
; %bb.625:
	s_or_saveexec_b64 s[6:7], s[6:7]
	v_mov_b32_e32 v10, s10
	s_xor_b64 exec, exec, s[6:7]
	s_cbranch_execnz .LBB12_2676
.LBB12_626:
	s_or_b64 exec, exec, s[6:7]
	s_and_saveexec_b64 s[6:7], s[4:5]
	s_cbranch_execz .LBB12_628
.LBB12_627:
	v_bfe_u32 v10, v17, 16, 3
	v_ffbh_u32_e32 v14, v10
	v_min_u32_e32 v14, 32, v14
	v_lshrrev_b32_e32 v11, 19, v17
	v_subrev_u32_e32 v15, 28, v14
	v_and_b32_e32 v11, 15, v11
	v_lshlrev_b32_sdwa v15, v15, v17 dst_sel:DWORD dst_unused:UNUSED_PAD src0_sel:DWORD src1_sel:WORD_1
	v_bfe_u32 v12, v17, 19, 4
	v_sub_u32_e32 v14, 29, v14
	v_and_b32_e32 v15, 7, v15
	v_cmp_eq_u16_e32 vcc, 0, v11
	v_cndmask_b32_e32 v10, v10, v15, vcc
	v_cndmask_b32_e32 v11, v12, v14, vcc
	v_lshlrev_b32_e32 v12, 8, v17
	v_mov_b32_e32 v14, 0x3b800000
	v_lshlrev_b32_e32 v10, 20, v10
	v_and_b32_e32 v12, 0x80000000, v12
	v_lshl_add_u32 v11, v11, 23, v14
	v_or3_b32 v10, v12, v11, v10
.LBB12_628:
	s_or_b64 exec, exec, s[6:7]
	s_movk_i32 s4, 0xff
	v_and_b32_sdwa v11, v13, s4 dst_sel:DWORD dst_unused:UNUSED_PAD src0_sel:WORD_1 src1_sel:DWORD
	s_movk_i32 s4, 0x7f
	v_cmp_lt_i16_e32 vcc, s4, v11
	s_mov_b64 s[4:5], 0
                                        ; implicit-def: $sgpr10
	s_and_saveexec_b64 s[6:7], vcc
	s_xor_b64 s[6:7], exec, s[6:7]
	s_cbranch_execnz .LBB12_2677
; %bb.629:
	s_or_saveexec_b64 s[6:7], s[6:7]
	v_mov_b32_e32 v12, s10
	s_xor_b64 exec, exec, s[6:7]
	s_cbranch_execnz .LBB12_2680
.LBB12_630:
	s_or_b64 exec, exec, s[6:7]
	s_and_saveexec_b64 s[6:7], s[4:5]
	s_cbranch_execz .LBB12_632
.LBB12_631:
	v_bfe_u32 v11, v13, 16, 3
	v_ffbh_u32_e32 v15, v11
	v_min_u32_e32 v15, 32, v15
	v_lshrrev_b32_e32 v12, 19, v13
	v_subrev_u32_e32 v16, 28, v15
	v_and_b32_e32 v12, 15, v12
	v_lshlrev_b32_sdwa v16, v16, v13 dst_sel:DWORD dst_unused:UNUSED_PAD src0_sel:DWORD src1_sel:WORD_1
	v_bfe_u32 v14, v13, 19, 4
	v_sub_u32_e32 v15, 29, v15
	v_and_b32_e32 v16, 7, v16
	v_cmp_eq_u16_e32 vcc, 0, v12
	v_cndmask_b32_e32 v11, v11, v16, vcc
	v_cndmask_b32_e32 v12, v14, v15, vcc
	v_lshlrev_b32_e32 v14, 8, v13
	v_mov_b32_e32 v15, 0x3b800000
	v_lshlrev_b32_e32 v11, 20, v11
	v_and_b32_e32 v14, 0x80000000, v14
	v_lshl_add_u32 v12, v12, 23, v15
	v_or3_b32 v12, v14, v12, v11
.LBB12_632:
	s_or_b64 exec, exec, s[6:7]
	s_nop 0
	v_mfma_f32_16x16x4f32 a[0:3], v10, v12, a[0:3]
	s_movk_i32 s4, 0x7f
	v_cmp_gt_i16_sdwa s[6:7], v17, s4 src0_sel:BYTE_3 src1_sel:DWORD
	s_mov_b64 s[4:5], 0
                                        ; implicit-def: $sgpr10
	s_and_saveexec_b64 s[8:9], s[6:7]
	s_xor_b64 s[6:7], exec, s[8:9]
	s_cbranch_execnz .LBB12_2681
; %bb.633:
	s_or_saveexec_b64 s[6:7], s[6:7]
	v_mov_b32_e32 v10, s10
	s_xor_b64 exec, exec, s[6:7]
	s_cbranch_execnz .LBB12_2684
.LBB12_634:
	s_or_b64 exec, exec, s[6:7]
	s_and_saveexec_b64 s[6:7], s[4:5]
	s_cbranch_execz .LBB12_636
.LBB12_635:
	v_bfe_u32 v10, v17, 24, 3
	v_ffbh_u32_e32 v15, v10
	v_min_u32_e32 v15, 32, v15
	v_lshrrev_b32_e32 v12, 27, v17
	v_subrev_u32_e32 v16, 28, v15
	v_and_b32_e32 v12, 15, v12
	v_lshlrev_b32_sdwa v16, v16, v17 dst_sel:DWORD dst_unused:UNUSED_PAD src0_sel:DWORD src1_sel:BYTE_3
	v_bfe_u32 v14, v17, 27, 4
	v_sub_u32_e32 v15, 29, v15
	v_and_b32_e32 v16, 7, v16
	v_cmp_eq_u16_e32 vcc, 0, v12
	v_cndmask_b32_e32 v10, v10, v16, vcc
	v_cndmask_b32_e32 v12, v14, v15, vcc
	v_mov_b32_e32 v14, 0x3b800000
	v_and_b32_e32 v11, 0x80000000, v17
	v_lshlrev_b32_e32 v10, 20, v10
	v_lshl_add_u32 v12, v12, 23, v14
	v_or3_b32 v10, v11, v12, v10
.LBB12_636:
	s_or_b64 exec, exec, s[6:7]
	s_movk_i32 s4, 0x7f
	v_cmp_gt_i16_sdwa s[6:7], v13, s4 src0_sel:BYTE_3 src1_sel:DWORD
	s_mov_b64 s[4:5], 0
                                        ; implicit-def: $sgpr10
	s_and_saveexec_b64 s[8:9], s[6:7]
	s_xor_b64 s[6:7], exec, s[8:9]
	s_cbranch_execnz .LBB12_2685
; %bb.637:
	s_or_saveexec_b64 s[6:7], s[6:7]
	v_mov_b32_e32 v11, s10
	s_xor_b64 exec, exec, s[6:7]
	s_cbranch_execnz .LBB12_2688
.LBB12_638:
	s_or_b64 exec, exec, s[6:7]
	s_and_saveexec_b64 s[6:7], s[4:5]
	s_cbranch_execz .LBB12_640
.LBB12_639:
	v_bfe_u32 v11, v13, 24, 3
	v_ffbh_u32_e32 v16, v11
	v_min_u32_e32 v16, 32, v16
	v_lshrrev_b32_e32 v14, 27, v13
	v_subrev_u32_e32 v17, 28, v16
	v_and_b32_e32 v12, 0x80000000, v13
	v_and_b32_e32 v14, 15, v14
	v_bfe_u32 v15, v13, 27, 4
	v_lshlrev_b32_sdwa v13, v17, v13 dst_sel:DWORD dst_unused:UNUSED_PAD src0_sel:DWORD src1_sel:BYTE_3
	v_sub_u32_e32 v16, 29, v16
	v_and_b32_e32 v13, 7, v13
	v_cmp_eq_u16_e32 vcc, 0, v14
	v_cndmask_b32_e32 v11, v11, v13, vcc
	v_cndmask_b32_e32 v13, v15, v16, vcc
	v_mov_b32_e32 v14, 0x3b800000
	v_lshlrev_b32_e32 v11, 20, v11
	v_lshl_add_u32 v13, v13, 23, v14
	v_or3_b32 v11, v12, v13, v11
.LBB12_640:
	s_or_b64 exec, exec, s[6:7]
	s_nop 0
	v_mfma_f32_16x16x4f32 a[0:3], v10, v11, a[0:3]
	s_movk_i32 s4, 0x7f
	v_cmp_gt_i16_sdwa s[6:7], v6, s4 src0_sel:BYTE_0 src1_sel:DWORD
	s_mov_b64 s[4:5], 0
                                        ; implicit-def: $sgpr10
	s_and_saveexec_b64 s[8:9], s[6:7]
	s_xor_b64 s[6:7], exec, s[8:9]
	s_cbranch_execnz .LBB12_2689
; %bb.641:
	s_or_saveexec_b64 s[6:7], s[6:7]
	v_mov_b32_e32 v10, s10
	s_xor_b64 exec, exec, s[6:7]
	s_cbranch_execnz .LBB12_2692
.LBB12_642:
	s_or_b64 exec, exec, s[6:7]
	s_and_saveexec_b64 s[6:7], s[4:5]
	s_cbranch_execz .LBB12_644
.LBB12_643:
	v_and_b32_e32 v10, 7, v6
	v_ffbh_u32_e32 v12, v10
	v_min_u32_e32 v12, 32, v12
	v_lshrrev_b16_e32 v11, 3, v6
	v_subrev_u32_e32 v13, 28, v12
	v_and_b32_e32 v11, 15, v11
	v_lshlrev_b32_e32 v13, v13, v6
	v_sub_u32_e32 v12, 29, v12
	v_and_b32_e32 v13, 7, v13
	v_cmp_eq_u16_e32 vcc, 0, v11
	v_cndmask_b32_e32 v10, v10, v13, vcc
	v_cndmask_b32_e32 v11, v11, v12, vcc
	v_lshlrev_b32_e32 v12, 24, v6
	v_mov_b32_e32 v13, 0x3b800000
	v_lshlrev_b32_e32 v10, 20, v10
	v_and_b32_e32 v12, 0x80000000, v12
	v_lshl_add_u32 v11, v11, 23, v13
	v_or3_b32 v10, v12, v11, v10
.LBB12_644:
	s_or_b64 exec, exec, s[6:7]
	s_movk_i32 s4, 0x7f
	v_cmp_gt_i16_sdwa s[6:7], v2, s4 src0_sel:BYTE_0 src1_sel:DWORD
	s_mov_b64 s[4:5], 0
                                        ; implicit-def: $sgpr10
	s_and_saveexec_b64 s[8:9], s[6:7]
	s_xor_b64 s[6:7], exec, s[8:9]
	s_cbranch_execnz .LBB12_2693
; %bb.645:
	s_or_saveexec_b64 s[6:7], s[6:7]
	v_mov_b32_e32 v11, s10
	s_xor_b64 exec, exec, s[6:7]
	s_cbranch_execnz .LBB12_2696
.LBB12_646:
	s_or_b64 exec, exec, s[6:7]
	s_and_saveexec_b64 s[6:7], s[4:5]
	s_cbranch_execz .LBB12_648
.LBB12_647:
	v_and_b32_e32 v11, 7, v2
	v_ffbh_u32_e32 v13, v11
	v_min_u32_e32 v13, 32, v13
	v_lshrrev_b16_e32 v12, 3, v2
	v_subrev_u32_e32 v14, 28, v13
	v_and_b32_e32 v12, 15, v12
	v_lshlrev_b32_e32 v14, v14, v2
	v_sub_u32_e32 v13, 29, v13
	v_and_b32_e32 v14, 7, v14
	v_cmp_eq_u16_e32 vcc, 0, v12
	v_cndmask_b32_e32 v11, v11, v14, vcc
	v_cndmask_b32_e32 v12, v12, v13, vcc
	v_lshlrev_b32_e32 v13, 24, v2
	v_mov_b32_e32 v14, 0x3b800000
	v_lshlrev_b32_e32 v11, 20, v11
	v_and_b32_e32 v13, 0x80000000, v13
	v_lshl_add_u32 v12, v12, 23, v14
	v_or3_b32 v11, v13, v12, v11
.LBB12_648:
	s_or_b64 exec, exec, s[6:7]
	s_nop 0
	v_mfma_f32_16x16x4f32 a[0:3], v10, v11, a[0:3]
	v_lshrrev_b32_e32 v11, 8, v6
	s_movk_i32 s4, 0x7f
	v_cmp_gt_i16_sdwa s[6:7], v11, s4 src0_sel:BYTE_0 src1_sel:DWORD
	s_mov_b64 s[4:5], 0
                                        ; implicit-def: $sgpr10
	s_and_saveexec_b64 s[8:9], s[6:7]
	s_xor_b64 s[6:7], exec, s[8:9]
	s_cbranch_execnz .LBB12_2697
; %bb.649:
	s_or_saveexec_b64 s[6:7], s[6:7]
	v_mov_b32_e32 v10, s10
	s_xor_b64 exec, exec, s[6:7]
	s_cbranch_execnz .LBB12_2700
.LBB12_650:
	s_or_b64 exec, exec, s[6:7]
	s_and_saveexec_b64 s[6:7], s[4:5]
	s_cbranch_execz .LBB12_652
.LBB12_651:
	v_bfe_u32 v10, v6, 8, 3
	v_ffbh_u32_e32 v13, v10
	v_min_u32_e32 v13, 32, v13
	v_lshrrev_b16_e32 v12, 3, v11
	v_subrev_u32_e32 v14, 28, v13
	v_and_b32_e32 v12, 15, v12
	v_lshlrev_b32_e32 v11, v14, v11
	v_sub_u32_e32 v13, 29, v13
	v_and_b32_e32 v11, 7, v11
	v_cmp_eq_u16_e32 vcc, 0, v12
	v_cndmask_b32_e32 v10, v10, v11, vcc
	v_cndmask_b32_e32 v11, v12, v13, vcc
	v_lshlrev_b32_e32 v12, 16, v6
	v_mov_b32_e32 v13, 0x3b800000
	v_lshlrev_b32_e32 v10, 20, v10
	v_and_b32_e32 v12, 0x80000000, v12
	v_lshl_add_u32 v11, v11, 23, v13
	v_or3_b32 v10, v12, v11, v10
.LBB12_652:
	s_or_b64 exec, exec, s[6:7]
	v_lshrrev_b32_e32 v11, 8, v2
	s_movk_i32 s4, 0x7f
	v_cmp_gt_i16_sdwa s[6:7], v11, s4 src0_sel:BYTE_0 src1_sel:DWORD
	s_mov_b64 s[4:5], 0
                                        ; implicit-def: $sgpr10
	s_and_saveexec_b64 s[8:9], s[6:7]
	s_xor_b64 s[6:7], exec, s[8:9]
	s_cbranch_execnz .LBB12_2701
; %bb.653:
	s_or_saveexec_b64 s[6:7], s[6:7]
	v_mov_b32_e32 v12, s10
	s_xor_b64 exec, exec, s[6:7]
	s_cbranch_execnz .LBB12_2704
.LBB12_654:
	s_or_b64 exec, exec, s[6:7]
	s_and_saveexec_b64 s[6:7], s[4:5]
	s_cbranch_execz .LBB12_656
.LBB12_655:
	v_bfe_u32 v12, v2, 8, 3
	v_ffbh_u32_e32 v14, v12
	v_min_u32_e32 v14, 32, v14
	v_lshrrev_b16_e32 v13, 3, v11
	v_subrev_u32_e32 v15, 28, v14
	v_and_b32_e32 v13, 15, v13
	v_lshlrev_b32_e32 v11, v15, v11
	v_sub_u32_e32 v14, 29, v14
	v_and_b32_e32 v11, 7, v11
	v_cmp_eq_u16_e32 vcc, 0, v13
	v_cndmask_b32_e32 v11, v12, v11, vcc
	v_cndmask_b32_e32 v12, v13, v14, vcc
	v_lshlrev_b32_e32 v13, 16, v2
	v_mov_b32_e32 v14, 0x3b800000
	v_lshlrev_b32_e32 v11, 20, v11
	v_and_b32_e32 v13, 0x80000000, v13
	v_lshl_add_u32 v12, v12, 23, v14
	v_or3_b32 v12, v13, v12, v11
.LBB12_656:
	s_or_b64 exec, exec, s[6:7]
	s_nop 0
	v_mfma_f32_16x16x4f32 a[0:3], v10, v12, a[0:3]
	s_movk_i32 s4, 0xff
	v_and_b32_sdwa v11, v6, s4 dst_sel:DWORD dst_unused:UNUSED_PAD src0_sel:WORD_1 src1_sel:DWORD
	s_movk_i32 s4, 0x7f
	v_cmp_lt_i16_e32 vcc, s4, v11
	s_mov_b64 s[4:5], 0
                                        ; implicit-def: $sgpr10
	s_and_saveexec_b64 s[6:7], vcc
	s_xor_b64 s[6:7], exec, s[6:7]
	s_cbranch_execnz .LBB12_2705
; %bb.657:
	s_or_saveexec_b64 s[6:7], s[6:7]
	v_mov_b32_e32 v10, s10
	s_xor_b64 exec, exec, s[6:7]
	s_cbranch_execnz .LBB12_2708
.LBB12_658:
	s_or_b64 exec, exec, s[6:7]
	s_and_saveexec_b64 s[6:7], s[4:5]
	s_cbranch_execz .LBB12_660
.LBB12_659:
	v_bfe_u32 v10, v6, 16, 3
	v_ffbh_u32_e32 v13, v10
	v_min_u32_e32 v13, 32, v13
	v_lshrrev_b32_e32 v11, 19, v6
	v_subrev_u32_e32 v14, 28, v13
	v_and_b32_e32 v11, 15, v11
	v_lshlrev_b32_sdwa v14, v14, v6 dst_sel:DWORD dst_unused:UNUSED_PAD src0_sel:DWORD src1_sel:WORD_1
	v_bfe_u32 v12, v6, 19, 4
	v_sub_u32_e32 v13, 29, v13
	v_and_b32_e32 v14, 7, v14
	v_cmp_eq_u16_e32 vcc, 0, v11
	v_cndmask_b32_e32 v10, v10, v14, vcc
	v_cndmask_b32_e32 v11, v12, v13, vcc
	v_lshlrev_b32_e32 v12, 8, v6
	v_mov_b32_e32 v13, 0x3b800000
	v_lshlrev_b32_e32 v10, 20, v10
	v_and_b32_e32 v12, 0x80000000, v12
	v_lshl_add_u32 v11, v11, 23, v13
	v_or3_b32 v10, v12, v11, v10
.LBB12_660:
	s_or_b64 exec, exec, s[6:7]
	s_movk_i32 s4, 0xff
	v_and_b32_sdwa v11, v2, s4 dst_sel:DWORD dst_unused:UNUSED_PAD src0_sel:WORD_1 src1_sel:DWORD
	s_movk_i32 s4, 0x7f
	v_cmp_lt_i16_e32 vcc, s4, v11
	s_mov_b64 s[4:5], 0
                                        ; implicit-def: $sgpr10
	s_and_saveexec_b64 s[6:7], vcc
	s_xor_b64 s[6:7], exec, s[6:7]
	s_cbranch_execnz .LBB12_2709
; %bb.661:
	s_or_saveexec_b64 s[6:7], s[6:7]
	v_mov_b32_e32 v12, s10
	s_xor_b64 exec, exec, s[6:7]
	s_cbranch_execnz .LBB12_2712
.LBB12_662:
	s_or_b64 exec, exec, s[6:7]
	s_and_saveexec_b64 s[6:7], s[4:5]
	s_cbranch_execz .LBB12_664
.LBB12_663:
	v_bfe_u32 v11, v2, 16, 3
	v_ffbh_u32_e32 v14, v11
	v_min_u32_e32 v14, 32, v14
	v_lshrrev_b32_e32 v12, 19, v2
	v_subrev_u32_e32 v15, 28, v14
	v_and_b32_e32 v12, 15, v12
	v_lshlrev_b32_sdwa v15, v15, v2 dst_sel:DWORD dst_unused:UNUSED_PAD src0_sel:DWORD src1_sel:WORD_1
	v_bfe_u32 v13, v2, 19, 4
	v_sub_u32_e32 v14, 29, v14
	v_and_b32_e32 v15, 7, v15
	v_cmp_eq_u16_e32 vcc, 0, v12
	v_cndmask_b32_e32 v11, v11, v15, vcc
	v_cndmask_b32_e32 v12, v13, v14, vcc
	v_lshlrev_b32_e32 v13, 8, v2
	v_mov_b32_e32 v14, 0x3b800000
	v_lshlrev_b32_e32 v11, 20, v11
	v_and_b32_e32 v13, 0x80000000, v13
	v_lshl_add_u32 v12, v12, 23, v14
	v_or3_b32 v12, v13, v12, v11
.LBB12_664:
	s_or_b64 exec, exec, s[6:7]
	s_nop 0
	v_mfma_f32_16x16x4f32 a[0:3], v10, v12, a[0:3]
	s_movk_i32 s4, 0x7f
	v_cmp_gt_i16_sdwa s[6:7], v6, s4 src0_sel:BYTE_3 src1_sel:DWORD
	s_mov_b64 s[4:5], 0
                                        ; implicit-def: $sgpr10
	s_and_saveexec_b64 s[8:9], s[6:7]
	s_xor_b64 s[6:7], exec, s[8:9]
	s_cbranch_execnz .LBB12_2713
; %bb.665:
	s_or_saveexec_b64 s[6:7], s[6:7]
	v_mov_b32_e32 v10, s10
	s_xor_b64 exec, exec, s[6:7]
	s_cbranch_execnz .LBB12_2716
.LBB12_666:
	s_or_b64 exec, exec, s[6:7]
	s_and_saveexec_b64 s[6:7], s[4:5]
	s_cbranch_execz .LBB12_668
.LBB12_667:
	v_bfe_u32 v10, v6, 24, 3
	v_ffbh_u32_e32 v14, v10
	v_min_u32_e32 v14, 32, v14
	v_lshrrev_b32_e32 v12, 27, v6
	v_subrev_u32_e32 v15, 28, v14
	v_and_b32_e32 v11, 0x80000000, v6
	v_and_b32_e32 v12, 15, v12
	v_bfe_u32 v13, v6, 27, 4
	v_lshlrev_b32_sdwa v6, v15, v6 dst_sel:DWORD dst_unused:UNUSED_PAD src0_sel:DWORD src1_sel:BYTE_3
	v_sub_u32_e32 v14, 29, v14
	v_and_b32_e32 v6, 7, v6
	v_cmp_eq_u16_e32 vcc, 0, v12
	v_cndmask_b32_e32 v6, v10, v6, vcc
	v_cndmask_b32_e32 v10, v13, v14, vcc
	v_mov_b32_e32 v12, 0x3b800000
	v_lshlrev_b32_e32 v6, 20, v6
	v_lshl_add_u32 v10, v10, 23, v12
	v_or3_b32 v10, v11, v10, v6
.LBB12_668:
	s_or_b64 exec, exec, s[6:7]
	s_movk_i32 s4, 0x7f
	v_cmp_gt_i16_sdwa s[6:7], v2, s4 src0_sel:BYTE_3 src1_sel:DWORD
	s_mov_b64 s[4:5], 0
                                        ; implicit-def: $sgpr10
	s_and_saveexec_b64 s[8:9], s[6:7]
	s_xor_b64 s[6:7], exec, s[8:9]
	s_cbranch_execnz .LBB12_2717
; %bb.669:
	s_or_saveexec_b64 s[6:7], s[6:7]
	v_mov_b32_e32 v6, s10
	s_xor_b64 exec, exec, s[6:7]
	s_cbranch_execnz .LBB12_2720
.LBB12_670:
	s_or_b64 exec, exec, s[6:7]
	s_and_saveexec_b64 s[6:7], s[4:5]
	s_cbranch_execz .LBB12_672
.LBB12_671:
	v_bfe_u32 v6, v2, 24, 3
	v_ffbh_u32_e32 v14, v6
	v_min_u32_e32 v14, 32, v14
	v_lshrrev_b32_e32 v12, 27, v2
	v_subrev_u32_e32 v15, 28, v14
	v_and_b32_e32 v11, 0x80000000, v2
	v_and_b32_e32 v12, 15, v12
	v_bfe_u32 v13, v2, 27, 4
	v_lshlrev_b32_sdwa v2, v15, v2 dst_sel:DWORD dst_unused:UNUSED_PAD src0_sel:DWORD src1_sel:BYTE_3
	v_sub_u32_e32 v14, 29, v14
	v_and_b32_e32 v2, 7, v2
	v_cmp_eq_u16_e32 vcc, 0, v12
	v_cndmask_b32_e32 v2, v6, v2, vcc
	v_cndmask_b32_e32 v6, v13, v14, vcc
	v_mov_b32_e32 v12, 0x3b800000
	v_lshlrev_b32_e32 v2, 20, v2
	v_lshl_add_u32 v6, v6, 23, v12
	v_or3_b32 v6, v11, v6, v2
.LBB12_672:
	s_or_b64 exec, exec, s[6:7]
	s_nop 0
	v_mfma_f32_16x16x4f32 a[0:3], v10, v6, a[0:3]
	s_movk_i32 s4, 0x7f
	v_cmp_gt_i16_sdwa s[6:7], v7, s4 src0_sel:BYTE_0 src1_sel:DWORD
	s_mov_b64 s[4:5], 0
                                        ; implicit-def: $sgpr10
	s_and_saveexec_b64 s[8:9], s[6:7]
	s_xor_b64 s[6:7], exec, s[8:9]
	s_cbranch_execnz .LBB12_2721
; %bb.673:
	s_or_saveexec_b64 s[6:7], s[6:7]
	v_mov_b32_e32 v2, s10
	s_xor_b64 exec, exec, s[6:7]
	s_cbranch_execnz .LBB12_2724
.LBB12_674:
	s_or_b64 exec, exec, s[6:7]
	s_and_saveexec_b64 s[6:7], s[4:5]
	s_cbranch_execz .LBB12_676
.LBB12_675:
	v_and_b32_e32 v2, 7, v7
	v_ffbh_u32_e32 v10, v2
	v_min_u32_e32 v10, 32, v10
	v_lshrrev_b16_e32 v6, 3, v7
	v_subrev_u32_e32 v11, 28, v10
	v_and_b32_e32 v6, 15, v6
	v_lshlrev_b32_e32 v11, v11, v7
	v_sub_u32_e32 v10, 29, v10
	v_and_b32_e32 v11, 7, v11
	v_cmp_eq_u16_e32 vcc, 0, v6
	v_cndmask_b32_e32 v2, v2, v11, vcc
	v_cndmask_b32_e32 v6, v6, v10, vcc
	v_lshlrev_b32_e32 v10, 24, v7
	v_mov_b32_e32 v11, 0x3b800000
	v_lshlrev_b32_e32 v2, 20, v2
	v_and_b32_e32 v10, 0x80000000, v10
	v_lshl_add_u32 v6, v6, 23, v11
	v_or3_b32 v2, v10, v6, v2
.LBB12_676:
	s_or_b64 exec, exec, s[6:7]
	s_movk_i32 s4, 0x7f
	v_cmp_gt_i16_sdwa s[6:7], v3, s4 src0_sel:BYTE_0 src1_sel:DWORD
	s_mov_b64 s[4:5], 0
                                        ; implicit-def: $sgpr10
	s_and_saveexec_b64 s[8:9], s[6:7]
	s_xor_b64 s[6:7], exec, s[8:9]
	s_cbranch_execnz .LBB12_2725
; %bb.677:
	s_or_saveexec_b64 s[6:7], s[6:7]
	v_mov_b32_e32 v6, s10
	s_xor_b64 exec, exec, s[6:7]
	s_cbranch_execnz .LBB12_2728
.LBB12_678:
	s_or_b64 exec, exec, s[6:7]
	s_and_saveexec_b64 s[6:7], s[4:5]
	s_cbranch_execz .LBB12_680
.LBB12_679:
	v_and_b32_e32 v6, 7, v3
	v_ffbh_u32_e32 v11, v6
	v_min_u32_e32 v11, 32, v11
	v_lshrrev_b16_e32 v10, 3, v3
	v_subrev_u32_e32 v12, 28, v11
	v_and_b32_e32 v10, 15, v10
	v_lshlrev_b32_e32 v12, v12, v3
	v_sub_u32_e32 v11, 29, v11
	v_and_b32_e32 v12, 7, v12
	v_cmp_eq_u16_e32 vcc, 0, v10
	v_cndmask_b32_e32 v6, v6, v12, vcc
	v_cndmask_b32_e32 v10, v10, v11, vcc
	v_lshlrev_b32_e32 v11, 24, v3
	v_mov_b32_e32 v12, 0x3b800000
	v_lshlrev_b32_e32 v6, 20, v6
	v_and_b32_e32 v11, 0x80000000, v11
	v_lshl_add_u32 v10, v10, 23, v12
	v_or3_b32 v6, v11, v10, v6
.LBB12_680:
	s_or_b64 exec, exec, s[6:7]
	s_nop 0
	v_mfma_f32_16x16x4f32 a[0:3], v2, v6, a[0:3]
	v_lshrrev_b32_e32 v6, 8, v7
	s_movk_i32 s4, 0x7f
	v_cmp_gt_i16_sdwa s[6:7], v6, s4 src0_sel:BYTE_0 src1_sel:DWORD
	s_mov_b64 s[4:5], 0
                                        ; implicit-def: $sgpr10
	s_and_saveexec_b64 s[8:9], s[6:7]
	s_xor_b64 s[6:7], exec, s[8:9]
	s_cbranch_execnz .LBB12_2729
; %bb.681:
	s_or_saveexec_b64 s[6:7], s[6:7]
	v_mov_b32_e32 v2, s10
	s_xor_b64 exec, exec, s[6:7]
	s_cbranch_execnz .LBB12_2732
.LBB12_682:
	s_or_b64 exec, exec, s[6:7]
	s_and_saveexec_b64 s[6:7], s[4:5]
	s_cbranch_execz .LBB12_684
.LBB12_683:
	v_bfe_u32 v2, v7, 8, 3
	v_ffbh_u32_e32 v11, v2
	v_min_u32_e32 v11, 32, v11
	v_lshrrev_b16_e32 v10, 3, v6
	v_subrev_u32_e32 v12, 28, v11
	v_and_b32_e32 v10, 15, v10
	v_lshlrev_b32_e32 v6, v12, v6
	v_sub_u32_e32 v11, 29, v11
	v_and_b32_e32 v6, 7, v6
	v_cmp_eq_u16_e32 vcc, 0, v10
	v_cndmask_b32_e32 v2, v2, v6, vcc
	v_cndmask_b32_e32 v6, v10, v11, vcc
	v_lshlrev_b32_e32 v10, 16, v7
	v_mov_b32_e32 v11, 0x3b800000
	v_lshlrev_b32_e32 v2, 20, v2
	v_and_b32_e32 v10, 0x80000000, v10
	v_lshl_add_u32 v6, v6, 23, v11
	v_or3_b32 v2, v10, v6, v2
.LBB12_684:
	s_or_b64 exec, exec, s[6:7]
	v_lshrrev_b32_e32 v6, 8, v3
	s_movk_i32 s4, 0x7f
	v_cmp_gt_i16_sdwa s[6:7], v6, s4 src0_sel:BYTE_0 src1_sel:DWORD
	s_mov_b64 s[4:5], 0
                                        ; implicit-def: $sgpr10
	s_and_saveexec_b64 s[8:9], s[6:7]
	s_xor_b64 s[6:7], exec, s[8:9]
	s_cbranch_execnz .LBB12_2733
; %bb.685:
	s_or_saveexec_b64 s[6:7], s[6:7]
	v_mov_b32_e32 v10, s10
	s_xor_b64 exec, exec, s[6:7]
	s_cbranch_execnz .LBB12_2736
.LBB12_686:
	s_or_b64 exec, exec, s[6:7]
	s_and_saveexec_b64 s[6:7], s[4:5]
	s_cbranch_execz .LBB12_688
.LBB12_687:
	v_bfe_u32 v10, v3, 8, 3
	v_ffbh_u32_e32 v12, v10
	v_min_u32_e32 v12, 32, v12
	v_lshrrev_b16_e32 v11, 3, v6
	v_subrev_u32_e32 v13, 28, v12
	v_and_b32_e32 v11, 15, v11
	v_lshlrev_b32_e32 v6, v13, v6
	v_sub_u32_e32 v12, 29, v12
	v_and_b32_e32 v6, 7, v6
	v_cmp_eq_u16_e32 vcc, 0, v11
	v_cndmask_b32_e32 v6, v10, v6, vcc
	v_cndmask_b32_e32 v10, v11, v12, vcc
	v_lshlrev_b32_e32 v11, 16, v3
	v_mov_b32_e32 v12, 0x3b800000
	v_lshlrev_b32_e32 v6, 20, v6
	v_and_b32_e32 v11, 0x80000000, v11
	v_lshl_add_u32 v10, v10, 23, v12
	v_or3_b32 v10, v11, v10, v6
.LBB12_688:
	s_or_b64 exec, exec, s[6:7]
	s_nop 0
	v_mfma_f32_16x16x4f32 a[0:3], v2, v10, a[0:3]
	s_movk_i32 s4, 0xff
	v_and_b32_sdwa v6, v7, s4 dst_sel:DWORD dst_unused:UNUSED_PAD src0_sel:WORD_1 src1_sel:DWORD
	s_movk_i32 s4, 0x7f
	v_cmp_lt_i16_e32 vcc, s4, v6
	s_mov_b64 s[4:5], 0
                                        ; implicit-def: $sgpr10
	s_and_saveexec_b64 s[6:7], vcc
	s_xor_b64 s[6:7], exec, s[6:7]
	s_cbranch_execnz .LBB12_2737
; %bb.689:
	s_or_saveexec_b64 s[6:7], s[6:7]
	v_mov_b32_e32 v2, s10
	s_xor_b64 exec, exec, s[6:7]
	s_cbranch_execnz .LBB12_2740
.LBB12_690:
	s_or_b64 exec, exec, s[6:7]
	s_and_saveexec_b64 s[6:7], s[4:5]
	s_cbranch_execz .LBB12_692
.LBB12_691:
	v_bfe_u32 v2, v7, 16, 3
	v_ffbh_u32_e32 v11, v2
	v_min_u32_e32 v11, 32, v11
	v_lshrrev_b32_e32 v6, 19, v7
	v_subrev_u32_e32 v12, 28, v11
	v_and_b32_e32 v6, 15, v6
	v_lshlrev_b32_sdwa v12, v12, v7 dst_sel:DWORD dst_unused:UNUSED_PAD src0_sel:DWORD src1_sel:WORD_1
	v_bfe_u32 v10, v7, 19, 4
	v_sub_u32_e32 v11, 29, v11
	v_and_b32_e32 v12, 7, v12
	v_cmp_eq_u16_e32 vcc, 0, v6
	v_cndmask_b32_e32 v2, v2, v12, vcc
	v_cndmask_b32_e32 v6, v10, v11, vcc
	v_lshlrev_b32_e32 v10, 8, v7
	v_mov_b32_e32 v11, 0x3b800000
	v_lshlrev_b32_e32 v2, 20, v2
	v_and_b32_e32 v10, 0x80000000, v10
	v_lshl_add_u32 v6, v6, 23, v11
	v_or3_b32 v2, v10, v6, v2
.LBB12_692:
	s_or_b64 exec, exec, s[6:7]
	s_movk_i32 s4, 0xff
	v_and_b32_sdwa v6, v3, s4 dst_sel:DWORD dst_unused:UNUSED_PAD src0_sel:WORD_1 src1_sel:DWORD
	s_movk_i32 s4, 0x7f
	v_cmp_lt_i16_e32 vcc, s4, v6
	s_mov_b64 s[4:5], 0
                                        ; implicit-def: $sgpr10
	s_and_saveexec_b64 s[6:7], vcc
	s_xor_b64 s[6:7], exec, s[6:7]
	s_cbranch_execnz .LBB12_2741
; %bb.693:
	s_or_saveexec_b64 s[6:7], s[6:7]
	v_mov_b32_e32 v10, s10
	s_xor_b64 exec, exec, s[6:7]
	s_cbranch_execnz .LBB12_2744
.LBB12_694:
	s_or_b64 exec, exec, s[6:7]
	s_and_saveexec_b64 s[6:7], s[4:5]
	s_cbranch_execz .LBB12_696
.LBB12_695:
	v_bfe_u32 v6, v3, 16, 3
	v_ffbh_u32_e32 v12, v6
	v_min_u32_e32 v12, 32, v12
	v_lshrrev_b32_e32 v10, 19, v3
	v_subrev_u32_e32 v13, 28, v12
	v_and_b32_e32 v10, 15, v10
	v_lshlrev_b32_sdwa v13, v13, v3 dst_sel:DWORD dst_unused:UNUSED_PAD src0_sel:DWORD src1_sel:WORD_1
	v_bfe_u32 v11, v3, 19, 4
	v_sub_u32_e32 v12, 29, v12
	v_and_b32_e32 v13, 7, v13
	v_cmp_eq_u16_e32 vcc, 0, v10
	v_cndmask_b32_e32 v6, v6, v13, vcc
	v_cndmask_b32_e32 v10, v11, v12, vcc
	v_lshlrev_b32_e32 v11, 8, v3
	v_mov_b32_e32 v12, 0x3b800000
	v_lshlrev_b32_e32 v6, 20, v6
	v_and_b32_e32 v11, 0x80000000, v11
	v_lshl_add_u32 v10, v10, 23, v12
	v_or3_b32 v10, v11, v10, v6
.LBB12_696:
	s_or_b64 exec, exec, s[6:7]
	s_nop 0
	v_mfma_f32_16x16x4f32 a[0:3], v2, v10, a[0:3]
	s_movk_i32 s4, 0x7f
	v_cmp_gt_i16_sdwa s[6:7], v7, s4 src0_sel:BYTE_3 src1_sel:DWORD
	s_mov_b64 s[4:5], 0
                                        ; implicit-def: $sgpr10
	s_and_saveexec_b64 s[8:9], s[6:7]
	s_xor_b64 s[6:7], exec, s[8:9]
	s_cbranch_execnz .LBB12_2745
; %bb.697:
	s_or_saveexec_b64 s[6:7], s[6:7]
	v_mov_b32_e32 v2, s10
	s_xor_b64 exec, exec, s[6:7]
	s_cbranch_execnz .LBB12_2748
.LBB12_698:
	s_or_b64 exec, exec, s[6:7]
	s_and_saveexec_b64 s[6:7], s[4:5]
	s_cbranch_execz .LBB12_700
.LBB12_699:
	v_bfe_u32 v2, v7, 24, 3
	v_ffbh_u32_e32 v12, v2
	v_min_u32_e32 v12, 32, v12
	v_lshrrev_b32_e32 v10, 27, v7
	v_subrev_u32_e32 v13, 28, v12
	v_and_b32_e32 v6, 0x80000000, v7
	v_and_b32_e32 v10, 15, v10
	v_bfe_u32 v11, v7, 27, 4
	v_lshlrev_b32_sdwa v7, v13, v7 dst_sel:DWORD dst_unused:UNUSED_PAD src0_sel:DWORD src1_sel:BYTE_3
	v_sub_u32_e32 v12, 29, v12
	v_and_b32_e32 v7, 7, v7
	v_cmp_eq_u16_e32 vcc, 0, v10
	v_cndmask_b32_e32 v2, v2, v7, vcc
	v_cndmask_b32_e32 v7, v11, v12, vcc
	v_mov_b32_e32 v10, 0x3b800000
	v_lshlrev_b32_e32 v2, 20, v2
	v_lshl_add_u32 v7, v7, 23, v10
	v_or3_b32 v2, v6, v7, v2
.LBB12_700:
	s_or_b64 exec, exec, s[6:7]
	s_movk_i32 s4, 0x7f
	v_cmp_gt_i16_sdwa s[6:7], v3, s4 src0_sel:BYTE_3 src1_sel:DWORD
	s_mov_b64 s[4:5], 0
                                        ; implicit-def: $sgpr10
	s_and_saveexec_b64 s[8:9], s[6:7]
	s_xor_b64 s[6:7], exec, s[8:9]
	s_cbranch_execnz .LBB12_2749
; %bb.701:
	s_or_saveexec_b64 s[6:7], s[6:7]
	v_mov_b32_e32 v6, s10
	s_xor_b64 exec, exec, s[6:7]
	s_cbranch_execnz .LBB12_2752
.LBB12_702:
	s_or_b64 exec, exec, s[6:7]
	s_and_saveexec_b64 s[6:7], s[4:5]
	s_cbranch_execz .LBB12_704
.LBB12_703:
	v_bfe_u32 v6, v3, 24, 3
	v_ffbh_u32_e32 v12, v6
	v_min_u32_e32 v12, 32, v12
	v_lshrrev_b32_e32 v10, 27, v3
	v_subrev_u32_e32 v13, 28, v12
	v_and_b32_e32 v7, 0x80000000, v3
	v_and_b32_e32 v10, 15, v10
	v_bfe_u32 v11, v3, 27, 4
	v_lshlrev_b32_sdwa v3, v13, v3 dst_sel:DWORD dst_unused:UNUSED_PAD src0_sel:DWORD src1_sel:BYTE_3
	v_sub_u32_e32 v12, 29, v12
	v_and_b32_e32 v3, 7, v3
	v_cmp_eq_u16_e32 vcc, 0, v10
	v_cndmask_b32_e32 v3, v6, v3, vcc
	v_cndmask_b32_e32 v6, v11, v12, vcc
	v_mov_b32_e32 v10, 0x3b800000
	v_lshlrev_b32_e32 v3, 20, v3
	v_lshl_add_u32 v6, v6, 23, v10
	v_or3_b32 v6, v7, v6, v3
.LBB12_704:
	s_or_b64 exec, exec, s[6:7]
	s_nop 0
	v_mfma_f32_16x16x4f32 a[0:3], v2, v6, a[0:3]
	s_movk_i32 s4, 0x7f
	v_cmp_gt_i16_sdwa s[6:7], v8, s4 src0_sel:BYTE_0 src1_sel:DWORD
	s_mov_b64 s[4:5], 0
                                        ; implicit-def: $sgpr10
	s_and_saveexec_b64 s[8:9], s[6:7]
	s_xor_b64 s[6:7], exec, s[8:9]
	s_cbranch_execnz .LBB12_2753
; %bb.705:
	s_or_saveexec_b64 s[6:7], s[6:7]
	v_mov_b32_e32 v2, s10
	s_xor_b64 exec, exec, s[6:7]
	s_cbranch_execnz .LBB12_2756
.LBB12_706:
	s_or_b64 exec, exec, s[6:7]
	s_and_saveexec_b64 s[6:7], s[4:5]
	s_cbranch_execz .LBB12_708
.LBB12_707:
	v_and_b32_e32 v2, 7, v8
	v_ffbh_u32_e32 v6, v2
	v_min_u32_e32 v6, 32, v6
	v_lshrrev_b16_e32 v3, 3, v8
	v_subrev_u32_e32 v7, 28, v6
	v_and_b32_e32 v3, 15, v3
	v_lshlrev_b32_e32 v7, v7, v8
	v_sub_u32_e32 v6, 29, v6
	v_and_b32_e32 v7, 7, v7
	v_cmp_eq_u16_e32 vcc, 0, v3
	v_cndmask_b32_e32 v2, v2, v7, vcc
	v_cndmask_b32_e32 v3, v3, v6, vcc
	v_lshlrev_b32_e32 v6, 24, v8
	v_mov_b32_e32 v7, 0x3b800000
	v_lshlrev_b32_e32 v2, 20, v2
	v_and_b32_e32 v6, 0x80000000, v6
	v_lshl_add_u32 v3, v3, 23, v7
	v_or3_b32 v2, v6, v3, v2
.LBB12_708:
	s_or_b64 exec, exec, s[6:7]
	s_movk_i32 s4, 0x7f
	v_cmp_gt_i16_sdwa s[6:7], v4, s4 src0_sel:BYTE_0 src1_sel:DWORD
	s_mov_b64 s[4:5], 0
                                        ; implicit-def: $sgpr10
	s_and_saveexec_b64 s[8:9], s[6:7]
	s_xor_b64 s[6:7], exec, s[8:9]
	s_cbranch_execnz .LBB12_2757
; %bb.709:
	s_or_saveexec_b64 s[6:7], s[6:7]
	v_mov_b32_e32 v3, s10
	s_xor_b64 exec, exec, s[6:7]
	s_cbranch_execnz .LBB12_2760
.LBB12_710:
	s_or_b64 exec, exec, s[6:7]
	s_and_saveexec_b64 s[6:7], s[4:5]
	s_cbranch_execz .LBB12_712
.LBB12_711:
	v_and_b32_e32 v3, 7, v4
	v_ffbh_u32_e32 v7, v3
	v_min_u32_e32 v7, 32, v7
	v_lshrrev_b16_e32 v6, 3, v4
	v_subrev_u32_e32 v10, 28, v7
	v_and_b32_e32 v6, 15, v6
	v_lshlrev_b32_e32 v10, v10, v4
	v_sub_u32_e32 v7, 29, v7
	v_and_b32_e32 v10, 7, v10
	v_cmp_eq_u16_e32 vcc, 0, v6
	v_cndmask_b32_e32 v3, v3, v10, vcc
	v_cndmask_b32_e32 v6, v6, v7, vcc
	v_lshlrev_b32_e32 v7, 24, v4
	v_mov_b32_e32 v10, 0x3b800000
	v_lshlrev_b32_e32 v3, 20, v3
	v_and_b32_e32 v7, 0x80000000, v7
	v_lshl_add_u32 v6, v6, 23, v10
	v_or3_b32 v3, v7, v6, v3
.LBB12_712:
	s_or_b64 exec, exec, s[6:7]
	s_nop 0
	v_mfma_f32_16x16x4f32 a[0:3], v2, v3, a[0:3]
	v_lshrrev_b32_e32 v3, 8, v8
	s_movk_i32 s4, 0x7f
	v_cmp_gt_i16_sdwa s[6:7], v3, s4 src0_sel:BYTE_0 src1_sel:DWORD
	s_mov_b64 s[4:5], 0
                                        ; implicit-def: $sgpr10
	s_and_saveexec_b64 s[8:9], s[6:7]
	s_xor_b64 s[6:7], exec, s[8:9]
	s_cbranch_execnz .LBB12_2761
; %bb.713:
	s_or_saveexec_b64 s[6:7], s[6:7]
	v_mov_b32_e32 v2, s10
	s_xor_b64 exec, exec, s[6:7]
	s_cbranch_execnz .LBB12_2764
.LBB12_714:
	s_or_b64 exec, exec, s[6:7]
	s_and_saveexec_b64 s[6:7], s[4:5]
	s_cbranch_execz .LBB12_716
.LBB12_715:
	v_bfe_u32 v2, v8, 8, 3
	v_ffbh_u32_e32 v7, v2
	v_min_u32_e32 v7, 32, v7
	v_lshrrev_b16_e32 v6, 3, v3
	v_subrev_u32_e32 v10, 28, v7
	v_and_b32_e32 v6, 15, v6
	v_lshlrev_b32_e32 v3, v10, v3
	v_sub_u32_e32 v7, 29, v7
	v_and_b32_e32 v3, 7, v3
	v_cmp_eq_u16_e32 vcc, 0, v6
	v_cndmask_b32_e32 v2, v2, v3, vcc
	v_cndmask_b32_e32 v3, v6, v7, vcc
	v_lshlrev_b32_e32 v6, 16, v8
	v_mov_b32_e32 v7, 0x3b800000
	v_lshlrev_b32_e32 v2, 20, v2
	v_and_b32_e32 v6, 0x80000000, v6
	v_lshl_add_u32 v3, v3, 23, v7
	v_or3_b32 v2, v6, v3, v2
.LBB12_716:
	s_or_b64 exec, exec, s[6:7]
	v_lshrrev_b32_e32 v3, 8, v4
	s_movk_i32 s4, 0x7f
	v_cmp_gt_i16_sdwa s[6:7], v3, s4 src0_sel:BYTE_0 src1_sel:DWORD
	s_mov_b64 s[4:5], 0
                                        ; implicit-def: $sgpr10
	s_and_saveexec_b64 s[8:9], s[6:7]
	s_xor_b64 s[6:7], exec, s[8:9]
	s_cbranch_execnz .LBB12_2765
; %bb.717:
	s_or_saveexec_b64 s[6:7], s[6:7]
	v_mov_b32_e32 v6, s10
	s_xor_b64 exec, exec, s[6:7]
	s_cbranch_execnz .LBB12_2768
.LBB12_718:
	s_or_b64 exec, exec, s[6:7]
	s_and_saveexec_b64 s[6:7], s[4:5]
	s_cbranch_execz .LBB12_720
.LBB12_719:
	v_bfe_u32 v6, v4, 8, 3
	v_ffbh_u32_e32 v10, v6
	v_min_u32_e32 v10, 32, v10
	v_lshrrev_b16_e32 v7, 3, v3
	v_subrev_u32_e32 v11, 28, v10
	v_and_b32_e32 v7, 15, v7
	v_lshlrev_b32_e32 v3, v11, v3
	v_sub_u32_e32 v10, 29, v10
	v_and_b32_e32 v3, 7, v3
	v_cmp_eq_u16_e32 vcc, 0, v7
	v_cndmask_b32_e32 v3, v6, v3, vcc
	v_cndmask_b32_e32 v6, v7, v10, vcc
	v_lshlrev_b32_e32 v7, 16, v4
	v_mov_b32_e32 v10, 0x3b800000
	v_lshlrev_b32_e32 v3, 20, v3
	v_and_b32_e32 v7, 0x80000000, v7
	v_lshl_add_u32 v6, v6, 23, v10
	v_or3_b32 v6, v7, v6, v3
.LBB12_720:
	s_or_b64 exec, exec, s[6:7]
	s_nop 0
	v_mfma_f32_16x16x4f32 a[0:3], v2, v6, a[0:3]
	s_movk_i32 s4, 0xff
	v_and_b32_sdwa v3, v8, s4 dst_sel:DWORD dst_unused:UNUSED_PAD src0_sel:WORD_1 src1_sel:DWORD
	s_movk_i32 s4, 0x7f
	v_cmp_lt_i16_e32 vcc, s4, v3
	s_mov_b64 s[4:5], 0
                                        ; implicit-def: $sgpr10
	s_and_saveexec_b64 s[6:7], vcc
	s_xor_b64 s[6:7], exec, s[6:7]
	s_cbranch_execnz .LBB12_2769
; %bb.721:
	s_or_saveexec_b64 s[6:7], s[6:7]
	v_mov_b32_e32 v2, s10
	s_xor_b64 exec, exec, s[6:7]
	s_cbranch_execnz .LBB12_2772
.LBB12_722:
	s_or_b64 exec, exec, s[6:7]
	s_and_saveexec_b64 s[6:7], s[4:5]
	s_cbranch_execz .LBB12_724
.LBB12_723:
	v_bfe_u32 v2, v8, 16, 3
	v_ffbh_u32_e32 v7, v2
	v_min_u32_e32 v7, 32, v7
	v_lshrrev_b32_e32 v3, 19, v8
	v_subrev_u32_e32 v10, 28, v7
	v_and_b32_e32 v3, 15, v3
	v_lshlrev_b32_sdwa v10, v10, v8 dst_sel:DWORD dst_unused:UNUSED_PAD src0_sel:DWORD src1_sel:WORD_1
	v_bfe_u32 v6, v8, 19, 4
	v_sub_u32_e32 v7, 29, v7
	v_and_b32_e32 v10, 7, v10
	v_cmp_eq_u16_e32 vcc, 0, v3
	v_cndmask_b32_e32 v2, v2, v10, vcc
	v_cndmask_b32_e32 v3, v6, v7, vcc
	v_lshlrev_b32_e32 v6, 8, v8
	v_mov_b32_e32 v7, 0x3b800000
	v_lshlrev_b32_e32 v2, 20, v2
	v_and_b32_e32 v6, 0x80000000, v6
	v_lshl_add_u32 v3, v3, 23, v7
	v_or3_b32 v2, v6, v3, v2
.LBB12_724:
	s_or_b64 exec, exec, s[6:7]
	s_movk_i32 s4, 0xff
	v_and_b32_sdwa v3, v4, s4 dst_sel:DWORD dst_unused:UNUSED_PAD src0_sel:WORD_1 src1_sel:DWORD
	s_movk_i32 s4, 0x7f
	v_cmp_lt_i16_e32 vcc, s4, v3
	s_mov_b64 s[4:5], 0
                                        ; implicit-def: $sgpr10
	s_and_saveexec_b64 s[6:7], vcc
	s_xor_b64 s[6:7], exec, s[6:7]
	s_cbranch_execnz .LBB12_2773
; %bb.725:
	s_or_saveexec_b64 s[6:7], s[6:7]
	v_mov_b32_e32 v6, s10
	s_xor_b64 exec, exec, s[6:7]
	s_cbranch_execnz .LBB12_2776
.LBB12_726:
	s_or_b64 exec, exec, s[6:7]
	s_and_saveexec_b64 s[6:7], s[4:5]
	s_cbranch_execz .LBB12_728
.LBB12_727:
	v_bfe_u32 v3, v4, 16, 3
	v_ffbh_u32_e32 v10, v3
	v_min_u32_e32 v10, 32, v10
	v_lshrrev_b32_e32 v6, 19, v4
	v_subrev_u32_e32 v11, 28, v10
	v_and_b32_e32 v6, 15, v6
	v_lshlrev_b32_sdwa v11, v11, v4 dst_sel:DWORD dst_unused:UNUSED_PAD src0_sel:DWORD src1_sel:WORD_1
	v_bfe_u32 v7, v4, 19, 4
	v_sub_u32_e32 v10, 29, v10
	v_and_b32_e32 v11, 7, v11
	v_cmp_eq_u16_e32 vcc, 0, v6
	v_cndmask_b32_e32 v3, v3, v11, vcc
	v_cndmask_b32_e32 v6, v7, v10, vcc
	v_lshlrev_b32_e32 v7, 8, v4
	v_mov_b32_e32 v10, 0x3b800000
	v_lshlrev_b32_e32 v3, 20, v3
	v_and_b32_e32 v7, 0x80000000, v7
	v_lshl_add_u32 v6, v6, 23, v10
	v_or3_b32 v6, v7, v6, v3
.LBB12_728:
	s_or_b64 exec, exec, s[6:7]
	s_nop 0
	v_mfma_f32_16x16x4f32 a[0:3], v2, v6, a[0:3]
	s_movk_i32 s4, 0x7f
	v_cmp_gt_i16_sdwa s[6:7], v8, s4 src0_sel:BYTE_3 src1_sel:DWORD
	s_mov_b64 s[4:5], 0
                                        ; implicit-def: $sgpr10
	s_and_saveexec_b64 s[8:9], s[6:7]
	s_xor_b64 s[6:7], exec, s[8:9]
	s_cbranch_execnz .LBB12_2777
; %bb.729:
	s_or_saveexec_b64 s[6:7], s[6:7]
	v_mov_b32_e32 v2, s10
	s_xor_b64 exec, exec, s[6:7]
	s_cbranch_execnz .LBB12_2780
.LBB12_730:
	s_or_b64 exec, exec, s[6:7]
	s_and_saveexec_b64 s[6:7], s[4:5]
	s_cbranch_execz .LBB12_732
.LBB12_731:
	v_bfe_u32 v2, v8, 24, 3
	v_ffbh_u32_e32 v10, v2
	v_min_u32_e32 v10, 32, v10
	v_lshrrev_b32_e32 v6, 27, v8
	v_subrev_u32_e32 v11, 28, v10
	v_and_b32_e32 v3, 0x80000000, v8
	v_and_b32_e32 v6, 15, v6
	v_bfe_u32 v7, v8, 27, 4
	v_lshlrev_b32_sdwa v8, v11, v8 dst_sel:DWORD dst_unused:UNUSED_PAD src0_sel:DWORD src1_sel:BYTE_3
	v_sub_u32_e32 v10, 29, v10
	v_and_b32_e32 v8, 7, v8
	v_cmp_eq_u16_e32 vcc, 0, v6
	v_cndmask_b32_e32 v2, v2, v8, vcc
	v_cndmask_b32_e32 v6, v7, v10, vcc
	v_mov_b32_e32 v7, 0x3b800000
	v_lshlrev_b32_e32 v2, 20, v2
	v_lshl_add_u32 v6, v6, 23, v7
	v_or3_b32 v2, v3, v6, v2
.LBB12_732:
	s_or_b64 exec, exec, s[6:7]
	s_movk_i32 s4, 0x7f
	v_cmp_gt_i16_sdwa s[6:7], v4, s4 src0_sel:BYTE_3 src1_sel:DWORD
	s_mov_b64 s[4:5], 0
                                        ; implicit-def: $sgpr10
	s_and_saveexec_b64 s[8:9], s[6:7]
	s_xor_b64 s[6:7], exec, s[8:9]
	s_cbranch_execnz .LBB12_2781
; %bb.733:
	s_or_saveexec_b64 s[6:7], s[6:7]
	v_mov_b32_e32 v3, s10
	s_xor_b64 exec, exec, s[6:7]
	s_cbranch_execnz .LBB12_2784
.LBB12_734:
	s_or_b64 exec, exec, s[6:7]
	s_and_saveexec_b64 s[6:7], s[4:5]
	s_cbranch_execz .LBB12_736
.LBB12_735:
	v_bfe_u32 v3, v4, 24, 3
	v_ffbh_u32_e32 v10, v3
	v_min_u32_e32 v10, 32, v10
	v_lshrrev_b32_e32 v7, 27, v4
	v_subrev_u32_e32 v11, 28, v10
	v_and_b32_e32 v6, 0x80000000, v4
	v_and_b32_e32 v7, 15, v7
	v_bfe_u32 v8, v4, 27, 4
	v_lshlrev_b32_sdwa v4, v11, v4 dst_sel:DWORD dst_unused:UNUSED_PAD src0_sel:DWORD src1_sel:BYTE_3
	v_sub_u32_e32 v10, 29, v10
	v_and_b32_e32 v4, 7, v4
	v_cmp_eq_u16_e32 vcc, 0, v7
	v_cndmask_b32_e32 v3, v3, v4, vcc
	v_cndmask_b32_e32 v4, v8, v10, vcc
	v_mov_b32_e32 v7, 0x3b800000
	v_lshlrev_b32_e32 v3, 20, v3
	v_lshl_add_u32 v4, v4, 23, v7
	v_or3_b32 v3, v6, v4, v3
.LBB12_736:
	s_or_b64 exec, exec, s[6:7]
	s_nop 0
	v_mfma_f32_16x16x4f32 a[0:3], v2, v3, a[0:3]
	s_movk_i32 s4, 0x7f
	v_cmp_gt_i16_sdwa s[6:7], v9, s4 src0_sel:BYTE_0 src1_sel:DWORD
	s_mov_b64 s[4:5], 0
                                        ; implicit-def: $sgpr10
	s_and_saveexec_b64 s[8:9], s[6:7]
	s_xor_b64 s[6:7], exec, s[8:9]
	s_cbranch_execnz .LBB12_2785
; %bb.737:
	s_or_saveexec_b64 s[6:7], s[6:7]
	v_mov_b32_e32 v2, s10
	s_xor_b64 exec, exec, s[6:7]
	s_cbranch_execnz .LBB12_2788
.LBB12_738:
	s_or_b64 exec, exec, s[6:7]
	s_and_saveexec_b64 s[6:7], s[4:5]
	s_cbranch_execz .LBB12_740
.LBB12_739:
	v_mov_b32_e32 v2, 8
	v_and_b32_e32 v3, 7, v9
	v_lshrrev_b32_sdwa v2, v2, v9 dst_sel:BYTE_1 dst_unused:UNUSED_PAD src0_sel:DWORD src1_sel:DWORD
	v_ffbh_u32_e32 v4, v3
	v_or_b32_sdwa v2, v9, v2 dst_sel:DWORD dst_unused:UNUSED_PAD src0_sel:BYTE_0 src1_sel:DWORD
	v_min_u32_e32 v4, 32, v4
	v_lshrrev_b16_e32 v2, 3, v2
	v_subrev_u32_e32 v6, 28, v4
	v_and_b32_e32 v2, 15, v2
	v_lshlrev_b32_e32 v6, v6, v9
	v_sub_u32_e32 v4, 29, v4
	v_and_b32_e32 v6, 7, v6
	v_cmp_eq_u16_e32 vcc, 0, v2
	v_cndmask_b32_e32 v3, v3, v6, vcc
	v_cndmask_b32_e32 v2, v2, v4, vcc
	v_lshlrev_b32_e32 v4, 24, v9
	v_mov_b32_e32 v6, 0x3b800000
	v_lshlrev_b32_e32 v3, 20, v3
	v_and_b32_e32 v4, 0x80000000, v4
	v_lshl_add_u32 v2, v2, 23, v6
	v_or3_b32 v2, v4, v2, v3
.LBB12_740:
	s_or_b64 exec, exec, s[6:7]
	s_movk_i32 s4, 0x7f
	v_cmp_gt_i16_sdwa s[6:7], v5, s4 src0_sel:BYTE_0 src1_sel:DWORD
	s_mov_b64 s[4:5], 0
                                        ; implicit-def: $sgpr10
	s_and_saveexec_b64 s[8:9], s[6:7]
	s_xor_b64 s[6:7], exec, s[8:9]
	s_cbranch_execnz .LBB12_2789
; %bb.741:
	s_or_saveexec_b64 s[6:7], s[6:7]
	v_mov_b32_e32 v3, s10
	s_xor_b64 exec, exec, s[6:7]
	s_cbranch_execnz .LBB12_2792
.LBB12_742:
	s_or_b64 exec, exec, s[6:7]
	s_and_saveexec_b64 s[6:7], s[4:5]
	s_cbranch_execz .LBB12_744
.LBB12_743:
	v_mov_b32_e32 v3, 8
	v_and_b32_e32 v4, 7, v5
	v_lshrrev_b32_sdwa v3, v3, v5 dst_sel:BYTE_1 dst_unused:UNUSED_PAD src0_sel:DWORD src1_sel:DWORD
	v_ffbh_u32_e32 v6, v4
	v_or_b32_sdwa v3, v5, v3 dst_sel:DWORD dst_unused:UNUSED_PAD src0_sel:BYTE_0 src1_sel:DWORD
	v_min_u32_e32 v6, 32, v6
	v_lshrrev_b16_e32 v3, 3, v3
	v_subrev_u32_e32 v7, 28, v6
	v_and_b32_e32 v3, 15, v3
	v_lshlrev_b32_e32 v7, v7, v5
	v_sub_u32_e32 v6, 29, v6
	v_and_b32_e32 v7, 7, v7
	v_cmp_eq_u16_e32 vcc, 0, v3
	v_cndmask_b32_e32 v4, v4, v7, vcc
	v_cndmask_b32_e32 v3, v3, v6, vcc
	v_lshlrev_b32_e32 v6, 24, v5
	v_mov_b32_e32 v7, 0x3b800000
	v_lshlrev_b32_e32 v4, 20, v4
	v_and_b32_e32 v6, 0x80000000, v6
	v_lshl_add_u32 v3, v3, 23, v7
	v_or3_b32 v3, v6, v3, v4
.LBB12_744:
	s_or_b64 exec, exec, s[6:7]
	s_nop 0
	v_mfma_f32_16x16x4f32 a[0:3], v2, v3, a[0:3]
	v_lshrrev_b32_e32 v3, 8, v9
	s_movk_i32 s4, 0x7f
	v_cmp_gt_i16_sdwa s[6:7], v3, s4 src0_sel:BYTE_0 src1_sel:DWORD
	s_mov_b64 s[4:5], 0
                                        ; implicit-def: $sgpr10
	s_and_saveexec_b64 s[8:9], s[6:7]
	s_xor_b64 s[6:7], exec, s[8:9]
	s_cbranch_execnz .LBB12_2793
; %bb.745:
	s_or_saveexec_b64 s[6:7], s[6:7]
	v_mov_b32_e32 v2, s10
	s_xor_b64 exec, exec, s[6:7]
	s_cbranch_execnz .LBB12_2796
.LBB12_746:
	s_or_b64 exec, exec, s[6:7]
	s_and_saveexec_b64 s[6:7], s[4:5]
	s_cbranch_execz .LBB12_748
.LBB12_747:
	v_bfe_u32 v2, v9, 8, 3
	v_ffbh_u32_e32 v6, v2
	v_min_u32_e32 v6, 32, v6
	v_lshrrev_b16_e32 v4, 3, v3
	v_subrev_u32_e32 v7, 28, v6
	v_and_b32_e32 v4, 15, v4
	v_lshlrev_b32_e32 v3, v7, v3
	v_sub_u32_e32 v6, 29, v6
	v_and_b32_e32 v3, 7, v3
	v_cmp_eq_u16_e32 vcc, 0, v4
	v_cndmask_b32_e32 v2, v2, v3, vcc
	v_cndmask_b32_e32 v3, v4, v6, vcc
	v_lshlrev_b32_e32 v4, 16, v9
	v_mov_b32_e32 v6, 0x3b800000
	v_lshlrev_b32_e32 v2, 20, v2
	v_and_b32_e32 v4, 0x80000000, v4
	v_lshl_add_u32 v3, v3, 23, v6
	v_or3_b32 v2, v4, v3, v2
.LBB12_748:
	s_or_b64 exec, exec, s[6:7]
	v_lshrrev_b32_e32 v3, 8, v5
	s_movk_i32 s4, 0x7f
	v_cmp_gt_i16_sdwa s[6:7], v3, s4 src0_sel:BYTE_0 src1_sel:DWORD
	s_mov_b64 s[4:5], 0
                                        ; implicit-def: $sgpr10
	s_and_saveexec_b64 s[8:9], s[6:7]
	s_xor_b64 s[6:7], exec, s[8:9]
	s_cbranch_execnz .LBB12_2797
; %bb.749:
	s_or_saveexec_b64 s[6:7], s[6:7]
	v_mov_b32_e32 v4, s10
	s_xor_b64 exec, exec, s[6:7]
	s_cbranch_execnz .LBB12_2800
.LBB12_750:
	s_or_b64 exec, exec, s[6:7]
	s_and_saveexec_b64 s[6:7], s[4:5]
	s_cbranch_execz .LBB12_752
.LBB12_751:
	v_bfe_u32 v4, v5, 8, 3
	v_ffbh_u32_e32 v7, v4
	v_min_u32_e32 v7, 32, v7
	v_lshrrev_b16_e32 v6, 3, v3
	v_subrev_u32_e32 v8, 28, v7
	v_and_b32_e32 v6, 15, v6
	v_lshlrev_b32_e32 v3, v8, v3
	v_sub_u32_e32 v7, 29, v7
	v_and_b32_e32 v3, 7, v3
	v_cmp_eq_u16_e32 vcc, 0, v6
	v_cndmask_b32_e32 v3, v4, v3, vcc
	v_cndmask_b32_e32 v4, v6, v7, vcc
	v_lshlrev_b32_e32 v6, 16, v5
	v_mov_b32_e32 v7, 0x3b800000
	v_lshlrev_b32_e32 v3, 20, v3
	v_and_b32_e32 v6, 0x80000000, v6
	v_lshl_add_u32 v4, v4, 23, v7
	v_or3_b32 v4, v6, v4, v3
.LBB12_752:
	s_or_b64 exec, exec, s[6:7]
	s_nop 0
	v_mfma_f32_16x16x4f32 a[0:3], v2, v4, a[0:3]
	s_movk_i32 s4, 0xff
	v_and_b32_sdwa v3, v9, s4 dst_sel:DWORD dst_unused:UNUSED_PAD src0_sel:WORD_1 src1_sel:DWORD
	s_movk_i32 s4, 0x7f
	v_cmp_lt_i16_e32 vcc, s4, v3
	s_mov_b64 s[4:5], 0
                                        ; implicit-def: $sgpr10
	s_and_saveexec_b64 s[6:7], vcc
	s_xor_b64 s[6:7], exec, s[6:7]
	s_cbranch_execnz .LBB12_2801
; %bb.753:
	s_or_saveexec_b64 s[6:7], s[6:7]
	v_mov_b32_e32 v2, s10
	s_xor_b64 exec, exec, s[6:7]
	s_cbranch_execnz .LBB12_2804
.LBB12_754:
	s_or_b64 exec, exec, s[6:7]
	s_and_saveexec_b64 s[6:7], s[4:5]
	s_cbranch_execz .LBB12_756
.LBB12_755:
	v_bfe_u32 v2, v9, 16, 3
	v_ffbh_u32_e32 v6, v2
	v_min_u32_e32 v6, 32, v6
	v_lshrrev_b32_e32 v3, 19, v9
	v_subrev_u32_e32 v7, 28, v6
	v_and_b32_e32 v3, 15, v3
	v_lshlrev_b32_sdwa v7, v7, v9 dst_sel:DWORD dst_unused:UNUSED_PAD src0_sel:DWORD src1_sel:WORD_1
	v_bfe_u32 v4, v9, 19, 4
	v_sub_u32_e32 v6, 29, v6
	v_and_b32_e32 v7, 7, v7
	v_cmp_eq_u16_e32 vcc, 0, v3
	v_cndmask_b32_e32 v2, v2, v7, vcc
	v_cndmask_b32_e32 v3, v4, v6, vcc
	v_lshlrev_b32_e32 v4, 8, v9
	v_mov_b32_e32 v6, 0x3b800000
	v_lshlrev_b32_e32 v2, 20, v2
	v_and_b32_e32 v4, 0x80000000, v4
	v_lshl_add_u32 v3, v3, 23, v6
	v_or3_b32 v2, v4, v3, v2
.LBB12_756:
	s_or_b64 exec, exec, s[6:7]
	s_movk_i32 s4, 0xff
	v_and_b32_sdwa v3, v5, s4 dst_sel:DWORD dst_unused:UNUSED_PAD src0_sel:WORD_1 src1_sel:DWORD
	s_movk_i32 s4, 0x7f
	v_cmp_lt_i16_e32 vcc, s4, v3
	s_mov_b64 s[4:5], 0
                                        ; implicit-def: $sgpr10
	s_and_saveexec_b64 s[6:7], vcc
	s_xor_b64 s[6:7], exec, s[6:7]
	s_cbranch_execnz .LBB12_2805
; %bb.757:
	s_or_saveexec_b64 s[6:7], s[6:7]
	v_mov_b32_e32 v4, s10
	s_xor_b64 exec, exec, s[6:7]
	s_cbranch_execnz .LBB12_2808
.LBB12_758:
	s_or_b64 exec, exec, s[6:7]
	s_and_saveexec_b64 s[6:7], s[4:5]
	s_cbranch_execz .LBB12_760
.LBB12_759:
	v_bfe_u32 v3, v5, 16, 3
	v_ffbh_u32_e32 v7, v3
	v_min_u32_e32 v7, 32, v7
	v_lshrrev_b32_e32 v4, 19, v5
	v_subrev_u32_e32 v8, 28, v7
	v_and_b32_e32 v4, 15, v4
	v_lshlrev_b32_sdwa v8, v8, v5 dst_sel:DWORD dst_unused:UNUSED_PAD src0_sel:DWORD src1_sel:WORD_1
	v_bfe_u32 v6, v5, 19, 4
	v_sub_u32_e32 v7, 29, v7
	v_and_b32_e32 v8, 7, v8
	v_cmp_eq_u16_e32 vcc, 0, v4
	v_cndmask_b32_e32 v3, v3, v8, vcc
	v_cndmask_b32_e32 v4, v6, v7, vcc
	v_lshlrev_b32_e32 v6, 8, v5
	v_mov_b32_e32 v7, 0x3b800000
	v_lshlrev_b32_e32 v3, 20, v3
	v_and_b32_e32 v6, 0x80000000, v6
	v_lshl_add_u32 v4, v4, 23, v7
	v_or3_b32 v4, v6, v4, v3
.LBB12_760:
	s_or_b64 exec, exec, s[6:7]
	s_nop 0
	v_mfma_f32_16x16x4f32 a[0:3], v2, v4, a[0:3]
	s_movk_i32 s4, 0x7f
	v_cmp_gt_i16_sdwa s[6:7], v9, s4 src0_sel:BYTE_3 src1_sel:DWORD
	s_mov_b64 s[4:5], 0
                                        ; implicit-def: $sgpr10
	s_and_saveexec_b64 s[8:9], s[6:7]
	s_xor_b64 s[6:7], exec, s[8:9]
	s_cbranch_execnz .LBB12_2809
; %bb.761:
	s_or_saveexec_b64 s[6:7], s[6:7]
	v_mov_b32_e32 v2, s10
	s_xor_b64 exec, exec, s[6:7]
	s_cbranch_execnz .LBB12_2812
.LBB12_762:
	s_or_b64 exec, exec, s[6:7]
	s_and_saveexec_b64 s[6:7], s[4:5]
	s_cbranch_execz .LBB12_764
.LBB12_763:
	v_bfe_u32 v2, v9, 24, 3
	v_ffbh_u32_e32 v7, v2
	v_min_u32_e32 v7, 32, v7
	v_lshrrev_b32_e32 v4, 27, v9
	v_subrev_u32_e32 v8, 28, v7
	v_and_b32_e32 v4, 15, v4
	v_lshlrev_b32_sdwa v8, v8, v9 dst_sel:DWORD dst_unused:UNUSED_PAD src0_sel:DWORD src1_sel:BYTE_3
	v_bfe_u32 v6, v9, 27, 4
	v_sub_u32_e32 v7, 29, v7
	v_and_b32_e32 v8, 7, v8
	v_cmp_eq_u16_e32 vcc, 0, v4
	v_cndmask_b32_e32 v2, v2, v8, vcc
	v_cndmask_b32_e32 v4, v6, v7, vcc
	v_mov_b32_e32 v6, 0x3b800000
	v_and_b32_e32 v3, 0x80000000, v9
	v_lshlrev_b32_e32 v2, 20, v2
	v_lshl_add_u32 v4, v4, 23, v6
	v_or3_b32 v2, v3, v4, v2
.LBB12_764:
	s_or_b64 exec, exec, s[6:7]
	s_movk_i32 s4, 0x7f
	v_cmp_gt_i16_sdwa s[6:7], v5, s4 src0_sel:BYTE_3 src1_sel:DWORD
	s_mov_b64 s[4:5], 0
                                        ; implicit-def: $sgpr10
	s_and_saveexec_b64 s[8:9], s[6:7]
	s_xor_b64 s[6:7], exec, s[8:9]
	s_cbranch_execnz .LBB12_2813
; %bb.765:
	s_or_saveexec_b64 s[6:7], s[6:7]
	v_mov_b32_e32 v3, s10
	s_xor_b64 exec, exec, s[6:7]
	s_cbranch_execnz .LBB12_2816
.LBB12_766:
	s_or_b64 exec, exec, s[6:7]
	s_and_saveexec_b64 s[6:7], s[4:5]
	s_cbranch_execz .LBB12_768
.LBB12_767:
	v_bfe_u32 v3, v5, 24, 3
	v_ffbh_u32_e32 v8, v3
	v_min_u32_e32 v8, 32, v8
	v_lshrrev_b32_e32 v6, 27, v5
	v_subrev_u32_e32 v9, 28, v8
	v_and_b32_e32 v4, 0x80000000, v5
	v_and_b32_e32 v6, 15, v6
	v_bfe_u32 v7, v5, 27, 4
	v_lshlrev_b32_sdwa v5, v9, v5 dst_sel:DWORD dst_unused:UNUSED_PAD src0_sel:DWORD src1_sel:BYTE_3
	v_sub_u32_e32 v8, 29, v8
	v_and_b32_e32 v5, 7, v5
	v_cmp_eq_u16_e32 vcc, 0, v6
	v_cndmask_b32_e32 v3, v3, v5, vcc
	v_cndmask_b32_e32 v5, v7, v8, vcc
	v_mov_b32_e32 v6, 0x3b800000
	v_lshlrev_b32_e32 v3, 20, v3
	v_lshl_add_u32 v5, v5, 23, v6
	v_or3_b32 v3, v4, v5, v3
.LBB12_768:
	s_or_b64 exec, exec, s[6:7]
	s_nop 0
	v_mfma_f32_16x16x4f32 a[0:3], v2, v3, a[0:3]
	s_movk_i32 s4, 0x7f
                                        ; implicit-def: $sgpr10
	s_nop 7
	s_nop 1
	flat_store_dwordx4 v[18:19], a[0:3] offset:288
	flat_load_dwordx4 v[20:23], v[0:1] offset:16
	s_nop 0
	flat_load_dwordx2 v[18:19], v[0:1] offset:32
	s_waitcnt vmcnt(0) lgkmcnt(0)
	flat_load_dwordx4 v[14:17], v[20:21]
	flat_load_dwordx4 v[6:9], v[20:21] offset:16
	flat_load_dwordx4 v[10:13], v[22:23] offset:352
	;; [unrolled: 1-line block ×3, first 2 shown]
	s_waitcnt vmcnt(0) lgkmcnt(0)
	v_cmp_gt_i16_sdwa s[6:7], v14, s4 src0_sel:BYTE_0 src1_sel:DWORD
	s_mov_b64 s[4:5], 0
	s_and_saveexec_b64 s[8:9], s[6:7]
	s_xor_b64 s[6:7], exec, s[8:9]
	s_cbranch_execnz .LBB12_2817
; %bb.769:
	s_or_saveexec_b64 s[6:7], s[6:7]
	v_mov_b32_e32 v20, s10
	s_xor_b64 exec, exec, s[6:7]
	s_cbranch_execnz .LBB12_2820
.LBB12_770:
	s_or_b64 exec, exec, s[6:7]
	s_and_saveexec_b64 s[6:7], s[4:5]
	s_cbranch_execz .LBB12_772
.LBB12_771:
	v_and_b32_e32 v20, 7, v14
	v_ffbh_u32_e32 v22, v20
	v_min_u32_e32 v22, 32, v22
	v_lshrrev_b16_e32 v21, 3, v14
	v_subrev_u32_e32 v23, 28, v22
	v_and_b32_e32 v21, 15, v21
	v_lshlrev_b32_e32 v23, v23, v14
	v_sub_u32_e32 v22, 29, v22
	v_and_b32_e32 v23, 7, v23
	v_cmp_eq_u16_e32 vcc, 0, v21
	v_cndmask_b32_e32 v20, v20, v23, vcc
	v_cndmask_b32_e32 v21, v21, v22, vcc
	v_lshlrev_b32_e32 v22, 24, v14
	v_mov_b32_e32 v23, 0x3b800000
	v_lshlrev_b32_e32 v20, 20, v20
	v_and_b32_e32 v22, 0x80000000, v22
	v_lshl_add_u32 v21, v21, 23, v23
	v_or3_b32 v20, v22, v21, v20
.LBB12_772:
	s_or_b64 exec, exec, s[6:7]
	s_movk_i32 s4, 0x7f
	v_cmp_gt_i16_sdwa s[6:7], v10, s4 src0_sel:BYTE_0 src1_sel:DWORD
	s_mov_b64 s[4:5], 0
                                        ; implicit-def: $sgpr10
	s_and_saveexec_b64 s[8:9], s[6:7]
	s_xor_b64 s[6:7], exec, s[8:9]
	s_cbranch_execnz .LBB12_2821
; %bb.773:
	s_or_saveexec_b64 s[6:7], s[6:7]
	v_mov_b32_e32 v21, s10
	s_xor_b64 exec, exec, s[6:7]
	s_cbranch_execnz .LBB12_2824
.LBB12_774:
	s_or_b64 exec, exec, s[6:7]
	s_and_saveexec_b64 s[6:7], s[4:5]
	s_cbranch_execz .LBB12_776
.LBB12_775:
	v_and_b32_e32 v21, 7, v10
	v_ffbh_u32_e32 v23, v21
	v_min_u32_e32 v23, 32, v23
	v_lshrrev_b16_e32 v22, 3, v10
	v_subrev_u32_e32 v24, 28, v23
	v_and_b32_e32 v22, 15, v22
	v_lshlrev_b32_e32 v24, v24, v10
	v_sub_u32_e32 v23, 29, v23
	v_and_b32_e32 v24, 7, v24
	v_cmp_eq_u16_e32 vcc, 0, v22
	v_cndmask_b32_e32 v21, v21, v24, vcc
	v_cndmask_b32_e32 v22, v22, v23, vcc
	v_lshlrev_b32_e32 v23, 24, v10
	v_mov_b32_e32 v24, 0x3b800000
	v_lshlrev_b32_e32 v21, 20, v21
	v_and_b32_e32 v23, 0x80000000, v23
	v_lshl_add_u32 v22, v22, 23, v24
	v_or3_b32 v21, v23, v22, v21
.LBB12_776:
	s_or_b64 exec, exec, s[6:7]
	flat_load_dwordx4 a[0:3], v[18:19] offset:304
	s_movk_i32 s4, 0x7f
                                        ; implicit-def: $sgpr10
	s_waitcnt vmcnt(0) lgkmcnt(0)
	v_mfma_f32_16x16x4f32 a[0:3], v20, v21, a[0:3]
	v_lshrrev_b32_e32 v21, 8, v14
	v_cmp_gt_i16_sdwa s[6:7], v21, s4 src0_sel:BYTE_0 src1_sel:DWORD
	s_mov_b64 s[4:5], 0
	s_and_saveexec_b64 s[8:9], s[6:7]
	s_xor_b64 s[6:7], exec, s[8:9]
	s_cbranch_execnz .LBB12_2825
; %bb.777:
	s_or_saveexec_b64 s[6:7], s[6:7]
	v_mov_b32_e32 v20, s10
	s_xor_b64 exec, exec, s[6:7]
	s_cbranch_execnz .LBB12_2828
.LBB12_778:
	s_or_b64 exec, exec, s[6:7]
	s_and_saveexec_b64 s[6:7], s[4:5]
	s_cbranch_execz .LBB12_780
.LBB12_779:
	v_bfe_u32 v20, v14, 8, 3
	v_ffbh_u32_e32 v23, v20
	v_min_u32_e32 v23, 32, v23
	v_lshrrev_b16_e32 v22, 3, v21
	v_subrev_u32_e32 v24, 28, v23
	v_and_b32_e32 v22, 15, v22
	v_lshlrev_b32_e32 v21, v24, v21
	v_sub_u32_e32 v23, 29, v23
	v_and_b32_e32 v21, 7, v21
	v_cmp_eq_u16_e32 vcc, 0, v22
	v_cndmask_b32_e32 v20, v20, v21, vcc
	v_cndmask_b32_e32 v21, v22, v23, vcc
	v_lshlrev_b32_e32 v22, 16, v14
	v_mov_b32_e32 v23, 0x3b800000
	v_lshlrev_b32_e32 v20, 20, v20
	v_and_b32_e32 v22, 0x80000000, v22
	v_lshl_add_u32 v21, v21, 23, v23
	v_or3_b32 v20, v22, v21, v20
.LBB12_780:
	s_or_b64 exec, exec, s[6:7]
	v_lshrrev_b32_e32 v21, 8, v10
	s_movk_i32 s4, 0x7f
	v_cmp_gt_i16_sdwa s[6:7], v21, s4 src0_sel:BYTE_0 src1_sel:DWORD
	s_mov_b64 s[4:5], 0
                                        ; implicit-def: $sgpr10
	s_and_saveexec_b64 s[8:9], s[6:7]
	s_xor_b64 s[6:7], exec, s[8:9]
	s_cbranch_execnz .LBB12_2829
; %bb.781:
	s_or_saveexec_b64 s[6:7], s[6:7]
	v_mov_b32_e32 v22, s10
	s_xor_b64 exec, exec, s[6:7]
	s_cbranch_execnz .LBB12_2832
.LBB12_782:
	s_or_b64 exec, exec, s[6:7]
	s_and_saveexec_b64 s[6:7], s[4:5]
	s_cbranch_execz .LBB12_784
.LBB12_783:
	v_bfe_u32 v22, v10, 8, 3
	v_ffbh_u32_e32 v24, v22
	v_min_u32_e32 v24, 32, v24
	v_lshrrev_b16_e32 v23, 3, v21
	v_subrev_u32_e32 v25, 28, v24
	v_and_b32_e32 v23, 15, v23
	v_lshlrev_b32_e32 v21, v25, v21
	v_sub_u32_e32 v24, 29, v24
	v_and_b32_e32 v21, 7, v21
	v_cmp_eq_u16_e32 vcc, 0, v23
	v_cndmask_b32_e32 v21, v22, v21, vcc
	v_cndmask_b32_e32 v22, v23, v24, vcc
	v_lshlrev_b32_e32 v23, 16, v10
	v_mov_b32_e32 v24, 0x3b800000
	v_lshlrev_b32_e32 v21, 20, v21
	v_and_b32_e32 v23, 0x80000000, v23
	v_lshl_add_u32 v22, v22, 23, v24
	v_or3_b32 v22, v23, v22, v21
.LBB12_784:
	s_or_b64 exec, exec, s[6:7]
	s_nop 0
	v_mfma_f32_16x16x4f32 a[0:3], v20, v22, a[0:3]
	s_movk_i32 s4, 0xff
	v_and_b32_sdwa v21, v14, s4 dst_sel:DWORD dst_unused:UNUSED_PAD src0_sel:WORD_1 src1_sel:DWORD
	s_movk_i32 s4, 0x7f
	v_cmp_lt_i16_e32 vcc, s4, v21
	s_mov_b64 s[4:5], 0
                                        ; implicit-def: $sgpr10
	s_and_saveexec_b64 s[6:7], vcc
	s_xor_b64 s[6:7], exec, s[6:7]
	s_cbranch_execnz .LBB12_2833
; %bb.785:
	s_or_saveexec_b64 s[6:7], s[6:7]
	v_mov_b32_e32 v20, s10
	s_xor_b64 exec, exec, s[6:7]
	s_cbranch_execnz .LBB12_2836
.LBB12_786:
	s_or_b64 exec, exec, s[6:7]
	s_and_saveexec_b64 s[6:7], s[4:5]
	s_cbranch_execz .LBB12_788
.LBB12_787:
	v_bfe_u32 v20, v14, 16, 3
	v_ffbh_u32_e32 v23, v20
	v_min_u32_e32 v23, 32, v23
	v_lshrrev_b32_e32 v21, 19, v14
	v_subrev_u32_e32 v24, 28, v23
	v_and_b32_e32 v21, 15, v21
	v_lshlrev_b32_sdwa v24, v24, v14 dst_sel:DWORD dst_unused:UNUSED_PAD src0_sel:DWORD src1_sel:WORD_1
	v_bfe_u32 v22, v14, 19, 4
	v_sub_u32_e32 v23, 29, v23
	v_and_b32_e32 v24, 7, v24
	v_cmp_eq_u16_e32 vcc, 0, v21
	v_cndmask_b32_e32 v20, v20, v24, vcc
	v_cndmask_b32_e32 v21, v22, v23, vcc
	v_lshlrev_b32_e32 v22, 8, v14
	v_mov_b32_e32 v23, 0x3b800000
	v_lshlrev_b32_e32 v20, 20, v20
	v_and_b32_e32 v22, 0x80000000, v22
	v_lshl_add_u32 v21, v21, 23, v23
	v_or3_b32 v20, v22, v21, v20
.LBB12_788:
	s_or_b64 exec, exec, s[6:7]
	s_movk_i32 s4, 0xff
	v_and_b32_sdwa v21, v10, s4 dst_sel:DWORD dst_unused:UNUSED_PAD src0_sel:WORD_1 src1_sel:DWORD
	s_movk_i32 s4, 0x7f
	v_cmp_lt_i16_e32 vcc, s4, v21
	s_mov_b64 s[4:5], 0
                                        ; implicit-def: $sgpr10
	s_and_saveexec_b64 s[6:7], vcc
	s_xor_b64 s[6:7], exec, s[6:7]
	s_cbranch_execnz .LBB12_2837
; %bb.789:
	s_or_saveexec_b64 s[6:7], s[6:7]
	v_mov_b32_e32 v22, s10
	s_xor_b64 exec, exec, s[6:7]
	s_cbranch_execnz .LBB12_2840
.LBB12_790:
	s_or_b64 exec, exec, s[6:7]
	s_and_saveexec_b64 s[6:7], s[4:5]
	s_cbranch_execz .LBB12_792
.LBB12_791:
	v_bfe_u32 v21, v10, 16, 3
	v_ffbh_u32_e32 v24, v21
	v_min_u32_e32 v24, 32, v24
	v_lshrrev_b32_e32 v22, 19, v10
	v_subrev_u32_e32 v25, 28, v24
	v_and_b32_e32 v22, 15, v22
	v_lshlrev_b32_sdwa v25, v25, v10 dst_sel:DWORD dst_unused:UNUSED_PAD src0_sel:DWORD src1_sel:WORD_1
	v_bfe_u32 v23, v10, 19, 4
	v_sub_u32_e32 v24, 29, v24
	v_and_b32_e32 v25, 7, v25
	v_cmp_eq_u16_e32 vcc, 0, v22
	v_cndmask_b32_e32 v21, v21, v25, vcc
	v_cndmask_b32_e32 v22, v23, v24, vcc
	v_lshlrev_b32_e32 v23, 8, v10
	v_mov_b32_e32 v24, 0x3b800000
	v_lshlrev_b32_e32 v21, 20, v21
	v_and_b32_e32 v23, 0x80000000, v23
	v_lshl_add_u32 v22, v22, 23, v24
	v_or3_b32 v22, v23, v22, v21
.LBB12_792:
	s_or_b64 exec, exec, s[6:7]
	s_nop 0
	v_mfma_f32_16x16x4f32 a[0:3], v20, v22, a[0:3]
	s_movk_i32 s4, 0x7f
	v_cmp_gt_i16_sdwa s[6:7], v14, s4 src0_sel:BYTE_3 src1_sel:DWORD
	s_mov_b64 s[4:5], 0
                                        ; implicit-def: $sgpr10
	s_and_saveexec_b64 s[8:9], s[6:7]
	s_xor_b64 s[6:7], exec, s[8:9]
	s_cbranch_execnz .LBB12_2841
; %bb.793:
	s_or_saveexec_b64 s[6:7], s[6:7]
	v_mov_b32_e32 v20, s10
	s_xor_b64 exec, exec, s[6:7]
	s_cbranch_execnz .LBB12_2844
.LBB12_794:
	s_or_b64 exec, exec, s[6:7]
	s_and_saveexec_b64 s[6:7], s[4:5]
	s_cbranch_execz .LBB12_796
.LBB12_795:
	v_bfe_u32 v20, v14, 24, 3
	v_ffbh_u32_e32 v24, v20
	v_min_u32_e32 v24, 32, v24
	v_lshrrev_b32_e32 v22, 27, v14
	v_subrev_u32_e32 v25, 28, v24
	v_and_b32_e32 v21, 0x80000000, v14
	v_and_b32_e32 v22, 15, v22
	v_bfe_u32 v23, v14, 27, 4
	v_lshlrev_b32_sdwa v14, v25, v14 dst_sel:DWORD dst_unused:UNUSED_PAD src0_sel:DWORD src1_sel:BYTE_3
	v_sub_u32_e32 v24, 29, v24
	v_and_b32_e32 v14, 7, v14
	v_cmp_eq_u16_e32 vcc, 0, v22
	v_cndmask_b32_e32 v14, v20, v14, vcc
	v_cndmask_b32_e32 v20, v23, v24, vcc
	v_mov_b32_e32 v22, 0x3b800000
	v_lshlrev_b32_e32 v14, 20, v14
	v_lshl_add_u32 v20, v20, 23, v22
	v_or3_b32 v20, v21, v20, v14
.LBB12_796:
	s_or_b64 exec, exec, s[6:7]
	s_movk_i32 s4, 0x7f
	v_cmp_gt_i16_sdwa s[6:7], v10, s4 src0_sel:BYTE_3 src1_sel:DWORD
	s_mov_b64 s[4:5], 0
                                        ; implicit-def: $sgpr10
	s_and_saveexec_b64 s[8:9], s[6:7]
	s_xor_b64 s[6:7], exec, s[8:9]
	s_cbranch_execnz .LBB12_2845
; %bb.797:
	s_or_saveexec_b64 s[6:7], s[6:7]
	v_mov_b32_e32 v14, s10
	s_xor_b64 exec, exec, s[6:7]
	s_cbranch_execnz .LBB12_2848
.LBB12_798:
	s_or_b64 exec, exec, s[6:7]
	s_and_saveexec_b64 s[6:7], s[4:5]
	s_cbranch_execz .LBB12_800
.LBB12_799:
	v_bfe_u32 v14, v10, 24, 3
	v_ffbh_u32_e32 v24, v14
	v_min_u32_e32 v24, 32, v24
	v_lshrrev_b32_e32 v22, 27, v10
	v_subrev_u32_e32 v25, 28, v24
	v_and_b32_e32 v21, 0x80000000, v10
	v_and_b32_e32 v22, 15, v22
	v_bfe_u32 v23, v10, 27, 4
	v_lshlrev_b32_sdwa v10, v25, v10 dst_sel:DWORD dst_unused:UNUSED_PAD src0_sel:DWORD src1_sel:BYTE_3
	v_sub_u32_e32 v24, 29, v24
	v_and_b32_e32 v10, 7, v10
	v_cmp_eq_u16_e32 vcc, 0, v22
	v_cndmask_b32_e32 v10, v14, v10, vcc
	v_cndmask_b32_e32 v14, v23, v24, vcc
	v_mov_b32_e32 v22, 0x3b800000
	v_lshlrev_b32_e32 v10, 20, v10
	v_lshl_add_u32 v14, v14, 23, v22
	v_or3_b32 v14, v21, v14, v10
.LBB12_800:
	s_or_b64 exec, exec, s[6:7]
	s_nop 0
	v_mfma_f32_16x16x4f32 a[0:3], v20, v14, a[0:3]
	s_movk_i32 s4, 0x7f
	v_cmp_gt_i16_sdwa s[6:7], v15, s4 src0_sel:BYTE_0 src1_sel:DWORD
	s_mov_b64 s[4:5], 0
                                        ; implicit-def: $sgpr10
	s_and_saveexec_b64 s[8:9], s[6:7]
	s_xor_b64 s[6:7], exec, s[8:9]
	s_cbranch_execnz .LBB12_2849
; %bb.801:
	s_or_saveexec_b64 s[6:7], s[6:7]
	v_mov_b32_e32 v10, s10
	s_xor_b64 exec, exec, s[6:7]
	s_cbranch_execnz .LBB12_2852
.LBB12_802:
	s_or_b64 exec, exec, s[6:7]
	s_and_saveexec_b64 s[6:7], s[4:5]
	s_cbranch_execz .LBB12_804
.LBB12_803:
	v_and_b32_e32 v10, 7, v15
	v_ffbh_u32_e32 v20, v10
	v_min_u32_e32 v20, 32, v20
	v_lshrrev_b16_e32 v14, 3, v15
	v_subrev_u32_e32 v21, 28, v20
	v_and_b32_e32 v14, 15, v14
	v_lshlrev_b32_e32 v21, v21, v15
	v_sub_u32_e32 v20, 29, v20
	v_and_b32_e32 v21, 7, v21
	v_cmp_eq_u16_e32 vcc, 0, v14
	v_cndmask_b32_e32 v10, v10, v21, vcc
	v_cndmask_b32_e32 v14, v14, v20, vcc
	v_lshlrev_b32_e32 v20, 24, v15
	v_mov_b32_e32 v21, 0x3b800000
	v_lshlrev_b32_e32 v10, 20, v10
	v_and_b32_e32 v20, 0x80000000, v20
	v_lshl_add_u32 v14, v14, 23, v21
	v_or3_b32 v10, v20, v14, v10
.LBB12_804:
	s_or_b64 exec, exec, s[6:7]
	s_movk_i32 s4, 0x7f
	v_cmp_gt_i16_sdwa s[6:7], v11, s4 src0_sel:BYTE_0 src1_sel:DWORD
	s_mov_b64 s[4:5], 0
                                        ; implicit-def: $sgpr10
	s_and_saveexec_b64 s[8:9], s[6:7]
	s_xor_b64 s[6:7], exec, s[8:9]
	s_cbranch_execnz .LBB12_2853
; %bb.805:
	s_or_saveexec_b64 s[6:7], s[6:7]
	v_mov_b32_e32 v14, s10
	s_xor_b64 exec, exec, s[6:7]
	s_cbranch_execnz .LBB12_2856
.LBB12_806:
	s_or_b64 exec, exec, s[6:7]
	s_and_saveexec_b64 s[6:7], s[4:5]
	s_cbranch_execz .LBB12_808
.LBB12_807:
	v_and_b32_e32 v14, 7, v11
	v_ffbh_u32_e32 v21, v14
	v_min_u32_e32 v21, 32, v21
	v_lshrrev_b16_e32 v20, 3, v11
	v_subrev_u32_e32 v22, 28, v21
	v_and_b32_e32 v20, 15, v20
	v_lshlrev_b32_e32 v22, v22, v11
	v_sub_u32_e32 v21, 29, v21
	v_and_b32_e32 v22, 7, v22
	v_cmp_eq_u16_e32 vcc, 0, v20
	v_cndmask_b32_e32 v14, v14, v22, vcc
	v_cndmask_b32_e32 v20, v20, v21, vcc
	v_lshlrev_b32_e32 v21, 24, v11
	v_mov_b32_e32 v22, 0x3b800000
	v_lshlrev_b32_e32 v14, 20, v14
	v_and_b32_e32 v21, 0x80000000, v21
	v_lshl_add_u32 v20, v20, 23, v22
	v_or3_b32 v14, v21, v20, v14
.LBB12_808:
	s_or_b64 exec, exec, s[6:7]
	s_nop 0
	v_mfma_f32_16x16x4f32 a[0:3], v10, v14, a[0:3]
	v_lshrrev_b32_e32 v14, 8, v15
	s_movk_i32 s4, 0x7f
	v_cmp_gt_i16_sdwa s[6:7], v14, s4 src0_sel:BYTE_0 src1_sel:DWORD
	s_mov_b64 s[4:5], 0
                                        ; implicit-def: $sgpr10
	s_and_saveexec_b64 s[8:9], s[6:7]
	s_xor_b64 s[6:7], exec, s[8:9]
	s_cbranch_execnz .LBB12_2857
; %bb.809:
	s_or_saveexec_b64 s[6:7], s[6:7]
	v_mov_b32_e32 v10, s10
	s_xor_b64 exec, exec, s[6:7]
	s_cbranch_execnz .LBB12_2860
.LBB12_810:
	s_or_b64 exec, exec, s[6:7]
	s_and_saveexec_b64 s[6:7], s[4:5]
	s_cbranch_execz .LBB12_812
.LBB12_811:
	v_bfe_u32 v10, v15, 8, 3
	v_ffbh_u32_e32 v21, v10
	v_min_u32_e32 v21, 32, v21
	v_lshrrev_b16_e32 v20, 3, v14
	v_subrev_u32_e32 v22, 28, v21
	v_and_b32_e32 v20, 15, v20
	v_lshlrev_b32_e32 v14, v22, v14
	v_sub_u32_e32 v21, 29, v21
	v_and_b32_e32 v14, 7, v14
	v_cmp_eq_u16_e32 vcc, 0, v20
	v_cndmask_b32_e32 v10, v10, v14, vcc
	v_cndmask_b32_e32 v14, v20, v21, vcc
	v_lshlrev_b32_e32 v20, 16, v15
	v_mov_b32_e32 v21, 0x3b800000
	v_lshlrev_b32_e32 v10, 20, v10
	v_and_b32_e32 v20, 0x80000000, v20
	v_lshl_add_u32 v14, v14, 23, v21
	v_or3_b32 v10, v20, v14, v10
.LBB12_812:
	s_or_b64 exec, exec, s[6:7]
	v_lshrrev_b32_e32 v14, 8, v11
	s_movk_i32 s4, 0x7f
	v_cmp_gt_i16_sdwa s[6:7], v14, s4 src0_sel:BYTE_0 src1_sel:DWORD
	s_mov_b64 s[4:5], 0
                                        ; implicit-def: $sgpr10
	s_and_saveexec_b64 s[8:9], s[6:7]
	s_xor_b64 s[6:7], exec, s[8:9]
	s_cbranch_execnz .LBB12_2861
; %bb.813:
	s_or_saveexec_b64 s[6:7], s[6:7]
	v_mov_b32_e32 v20, s10
	s_xor_b64 exec, exec, s[6:7]
	s_cbranch_execnz .LBB12_2864
.LBB12_814:
	s_or_b64 exec, exec, s[6:7]
	s_and_saveexec_b64 s[6:7], s[4:5]
	s_cbranch_execz .LBB12_816
.LBB12_815:
	v_bfe_u32 v20, v11, 8, 3
	v_ffbh_u32_e32 v22, v20
	v_min_u32_e32 v22, 32, v22
	v_lshrrev_b16_e32 v21, 3, v14
	v_subrev_u32_e32 v23, 28, v22
	v_and_b32_e32 v21, 15, v21
	v_lshlrev_b32_e32 v14, v23, v14
	v_sub_u32_e32 v22, 29, v22
	v_and_b32_e32 v14, 7, v14
	v_cmp_eq_u16_e32 vcc, 0, v21
	v_cndmask_b32_e32 v14, v20, v14, vcc
	v_cndmask_b32_e32 v20, v21, v22, vcc
	v_lshlrev_b32_e32 v21, 16, v11
	v_mov_b32_e32 v22, 0x3b800000
	v_lshlrev_b32_e32 v14, 20, v14
	v_and_b32_e32 v21, 0x80000000, v21
	v_lshl_add_u32 v20, v20, 23, v22
	v_or3_b32 v20, v21, v20, v14
.LBB12_816:
	s_or_b64 exec, exec, s[6:7]
	s_nop 0
	v_mfma_f32_16x16x4f32 a[0:3], v10, v20, a[0:3]
	s_movk_i32 s4, 0xff
	v_and_b32_sdwa v14, v15, s4 dst_sel:DWORD dst_unused:UNUSED_PAD src0_sel:WORD_1 src1_sel:DWORD
	s_movk_i32 s4, 0x7f
	v_cmp_lt_i16_e32 vcc, s4, v14
	s_mov_b64 s[4:5], 0
                                        ; implicit-def: $sgpr10
	s_and_saveexec_b64 s[6:7], vcc
	s_xor_b64 s[6:7], exec, s[6:7]
	s_cbranch_execnz .LBB12_2865
; %bb.817:
	s_or_saveexec_b64 s[6:7], s[6:7]
	v_mov_b32_e32 v10, s10
	s_xor_b64 exec, exec, s[6:7]
	s_cbranch_execnz .LBB12_2868
.LBB12_818:
	s_or_b64 exec, exec, s[6:7]
	s_and_saveexec_b64 s[6:7], s[4:5]
	s_cbranch_execz .LBB12_820
.LBB12_819:
	v_bfe_u32 v10, v15, 16, 3
	v_ffbh_u32_e32 v21, v10
	v_min_u32_e32 v21, 32, v21
	v_lshrrev_b32_e32 v14, 19, v15
	v_subrev_u32_e32 v22, 28, v21
	v_and_b32_e32 v14, 15, v14
	v_lshlrev_b32_sdwa v22, v22, v15 dst_sel:DWORD dst_unused:UNUSED_PAD src0_sel:DWORD src1_sel:WORD_1
	v_bfe_u32 v20, v15, 19, 4
	v_sub_u32_e32 v21, 29, v21
	v_and_b32_e32 v22, 7, v22
	v_cmp_eq_u16_e32 vcc, 0, v14
	v_cndmask_b32_e32 v10, v10, v22, vcc
	v_cndmask_b32_e32 v14, v20, v21, vcc
	v_lshlrev_b32_e32 v20, 8, v15
	v_mov_b32_e32 v21, 0x3b800000
	v_lshlrev_b32_e32 v10, 20, v10
	v_and_b32_e32 v20, 0x80000000, v20
	v_lshl_add_u32 v14, v14, 23, v21
	v_or3_b32 v10, v20, v14, v10
.LBB12_820:
	s_or_b64 exec, exec, s[6:7]
	s_movk_i32 s4, 0xff
	v_and_b32_sdwa v14, v11, s4 dst_sel:DWORD dst_unused:UNUSED_PAD src0_sel:WORD_1 src1_sel:DWORD
	s_movk_i32 s4, 0x7f
	v_cmp_lt_i16_e32 vcc, s4, v14
	s_mov_b64 s[4:5], 0
                                        ; implicit-def: $sgpr10
	s_and_saveexec_b64 s[6:7], vcc
	s_xor_b64 s[6:7], exec, s[6:7]
	s_cbranch_execnz .LBB12_2869
; %bb.821:
	s_or_saveexec_b64 s[6:7], s[6:7]
	v_mov_b32_e32 v20, s10
	s_xor_b64 exec, exec, s[6:7]
	s_cbranch_execnz .LBB12_2872
.LBB12_822:
	s_or_b64 exec, exec, s[6:7]
	s_and_saveexec_b64 s[6:7], s[4:5]
	s_cbranch_execz .LBB12_824
.LBB12_823:
	v_bfe_u32 v14, v11, 16, 3
	v_ffbh_u32_e32 v22, v14
	v_min_u32_e32 v22, 32, v22
	v_lshrrev_b32_e32 v20, 19, v11
	v_subrev_u32_e32 v23, 28, v22
	v_and_b32_e32 v20, 15, v20
	v_lshlrev_b32_sdwa v23, v23, v11 dst_sel:DWORD dst_unused:UNUSED_PAD src0_sel:DWORD src1_sel:WORD_1
	v_bfe_u32 v21, v11, 19, 4
	v_sub_u32_e32 v22, 29, v22
	v_and_b32_e32 v23, 7, v23
	v_cmp_eq_u16_e32 vcc, 0, v20
	v_cndmask_b32_e32 v14, v14, v23, vcc
	v_cndmask_b32_e32 v20, v21, v22, vcc
	v_lshlrev_b32_e32 v21, 8, v11
	v_mov_b32_e32 v22, 0x3b800000
	v_lshlrev_b32_e32 v14, 20, v14
	v_and_b32_e32 v21, 0x80000000, v21
	v_lshl_add_u32 v20, v20, 23, v22
	v_or3_b32 v20, v21, v20, v14
.LBB12_824:
	s_or_b64 exec, exec, s[6:7]
	s_nop 0
	v_mfma_f32_16x16x4f32 a[0:3], v10, v20, a[0:3]
	s_movk_i32 s4, 0x7f
	v_cmp_gt_i16_sdwa s[6:7], v15, s4 src0_sel:BYTE_3 src1_sel:DWORD
	s_mov_b64 s[4:5], 0
                                        ; implicit-def: $sgpr10
	s_and_saveexec_b64 s[8:9], s[6:7]
	s_xor_b64 s[6:7], exec, s[8:9]
	s_cbranch_execnz .LBB12_2873
; %bb.825:
	s_or_saveexec_b64 s[6:7], s[6:7]
	v_mov_b32_e32 v10, s10
	s_xor_b64 exec, exec, s[6:7]
	s_cbranch_execnz .LBB12_2876
.LBB12_826:
	s_or_b64 exec, exec, s[6:7]
	s_and_saveexec_b64 s[6:7], s[4:5]
	s_cbranch_execz .LBB12_828
.LBB12_827:
	v_bfe_u32 v10, v15, 24, 3
	v_ffbh_u32_e32 v22, v10
	v_min_u32_e32 v22, 32, v22
	v_lshrrev_b32_e32 v20, 27, v15
	v_subrev_u32_e32 v23, 28, v22
	v_and_b32_e32 v14, 0x80000000, v15
	v_and_b32_e32 v20, 15, v20
	v_bfe_u32 v21, v15, 27, 4
	v_lshlrev_b32_sdwa v15, v23, v15 dst_sel:DWORD dst_unused:UNUSED_PAD src0_sel:DWORD src1_sel:BYTE_3
	v_sub_u32_e32 v22, 29, v22
	v_and_b32_e32 v15, 7, v15
	v_cmp_eq_u16_e32 vcc, 0, v20
	v_cndmask_b32_e32 v10, v10, v15, vcc
	v_cndmask_b32_e32 v15, v21, v22, vcc
	v_mov_b32_e32 v20, 0x3b800000
	v_lshlrev_b32_e32 v10, 20, v10
	v_lshl_add_u32 v15, v15, 23, v20
	v_or3_b32 v10, v14, v15, v10
.LBB12_828:
	s_or_b64 exec, exec, s[6:7]
	s_movk_i32 s4, 0x7f
	v_cmp_gt_i16_sdwa s[6:7], v11, s4 src0_sel:BYTE_3 src1_sel:DWORD
	s_mov_b64 s[4:5], 0
                                        ; implicit-def: $sgpr10
	s_and_saveexec_b64 s[8:9], s[6:7]
	s_xor_b64 s[6:7], exec, s[8:9]
	s_cbranch_execnz .LBB12_2877
; %bb.829:
	s_or_saveexec_b64 s[6:7], s[6:7]
	v_mov_b32_e32 v14, s10
	s_xor_b64 exec, exec, s[6:7]
	s_cbranch_execnz .LBB12_2880
.LBB12_830:
	s_or_b64 exec, exec, s[6:7]
	s_and_saveexec_b64 s[6:7], s[4:5]
	s_cbranch_execz .LBB12_832
.LBB12_831:
	v_bfe_u32 v14, v11, 24, 3
	v_ffbh_u32_e32 v22, v14
	v_min_u32_e32 v22, 32, v22
	v_lshrrev_b32_e32 v20, 27, v11
	v_subrev_u32_e32 v23, 28, v22
	v_and_b32_e32 v15, 0x80000000, v11
	v_and_b32_e32 v20, 15, v20
	v_bfe_u32 v21, v11, 27, 4
	v_lshlrev_b32_sdwa v11, v23, v11 dst_sel:DWORD dst_unused:UNUSED_PAD src0_sel:DWORD src1_sel:BYTE_3
	v_sub_u32_e32 v22, 29, v22
	v_and_b32_e32 v11, 7, v11
	v_cmp_eq_u16_e32 vcc, 0, v20
	v_cndmask_b32_e32 v11, v14, v11, vcc
	v_cndmask_b32_e32 v14, v21, v22, vcc
	v_mov_b32_e32 v20, 0x3b800000
	v_lshlrev_b32_e32 v11, 20, v11
	v_lshl_add_u32 v14, v14, 23, v20
	v_or3_b32 v14, v15, v14, v11
.LBB12_832:
	s_or_b64 exec, exec, s[6:7]
	s_nop 0
	v_mfma_f32_16x16x4f32 a[0:3], v10, v14, a[0:3]
	s_movk_i32 s4, 0x7f
	v_cmp_gt_i16_sdwa s[6:7], v16, s4 src0_sel:BYTE_0 src1_sel:DWORD
	s_mov_b64 s[4:5], 0
                                        ; implicit-def: $sgpr10
	s_and_saveexec_b64 s[8:9], s[6:7]
	s_xor_b64 s[6:7], exec, s[8:9]
	s_cbranch_execnz .LBB12_2881
; %bb.833:
	s_or_saveexec_b64 s[6:7], s[6:7]
	v_mov_b32_e32 v10, s10
	s_xor_b64 exec, exec, s[6:7]
	s_cbranch_execnz .LBB12_2884
.LBB12_834:
	s_or_b64 exec, exec, s[6:7]
	s_and_saveexec_b64 s[6:7], s[4:5]
	s_cbranch_execz .LBB12_836
.LBB12_835:
	v_and_b32_e32 v10, 7, v16
	v_ffbh_u32_e32 v14, v10
	v_min_u32_e32 v14, 32, v14
	v_lshrrev_b16_e32 v11, 3, v16
	v_subrev_u32_e32 v15, 28, v14
	v_and_b32_e32 v11, 15, v11
	v_lshlrev_b32_e32 v15, v15, v16
	v_sub_u32_e32 v14, 29, v14
	v_and_b32_e32 v15, 7, v15
	v_cmp_eq_u16_e32 vcc, 0, v11
	v_cndmask_b32_e32 v10, v10, v15, vcc
	v_cndmask_b32_e32 v11, v11, v14, vcc
	v_lshlrev_b32_e32 v14, 24, v16
	v_mov_b32_e32 v15, 0x3b800000
	v_lshlrev_b32_e32 v10, 20, v10
	v_and_b32_e32 v14, 0x80000000, v14
	v_lshl_add_u32 v11, v11, 23, v15
	v_or3_b32 v10, v14, v11, v10
.LBB12_836:
	s_or_b64 exec, exec, s[6:7]
	s_movk_i32 s4, 0x7f
	v_cmp_gt_i16_sdwa s[6:7], v12, s4 src0_sel:BYTE_0 src1_sel:DWORD
	s_mov_b64 s[4:5], 0
                                        ; implicit-def: $sgpr10
	s_and_saveexec_b64 s[8:9], s[6:7]
	s_xor_b64 s[6:7], exec, s[8:9]
	s_cbranch_execnz .LBB12_2885
; %bb.837:
	s_or_saveexec_b64 s[6:7], s[6:7]
	v_mov_b32_e32 v11, s10
	s_xor_b64 exec, exec, s[6:7]
	s_cbranch_execnz .LBB12_2888
.LBB12_838:
	s_or_b64 exec, exec, s[6:7]
	s_and_saveexec_b64 s[6:7], s[4:5]
	s_cbranch_execz .LBB12_840
.LBB12_839:
	v_and_b32_e32 v11, 7, v12
	v_ffbh_u32_e32 v15, v11
	v_min_u32_e32 v15, 32, v15
	v_lshrrev_b16_e32 v14, 3, v12
	v_subrev_u32_e32 v20, 28, v15
	v_and_b32_e32 v14, 15, v14
	v_lshlrev_b32_e32 v20, v20, v12
	v_sub_u32_e32 v15, 29, v15
	v_and_b32_e32 v20, 7, v20
	v_cmp_eq_u16_e32 vcc, 0, v14
	v_cndmask_b32_e32 v11, v11, v20, vcc
	v_cndmask_b32_e32 v14, v14, v15, vcc
	v_lshlrev_b32_e32 v15, 24, v12
	v_mov_b32_e32 v20, 0x3b800000
	v_lshlrev_b32_e32 v11, 20, v11
	v_and_b32_e32 v15, 0x80000000, v15
	v_lshl_add_u32 v14, v14, 23, v20
	v_or3_b32 v11, v15, v14, v11
.LBB12_840:
	s_or_b64 exec, exec, s[6:7]
	s_nop 0
	v_mfma_f32_16x16x4f32 a[0:3], v10, v11, a[0:3]
	v_lshrrev_b32_e32 v11, 8, v16
	s_movk_i32 s4, 0x7f
	v_cmp_gt_i16_sdwa s[6:7], v11, s4 src0_sel:BYTE_0 src1_sel:DWORD
	s_mov_b64 s[4:5], 0
                                        ; implicit-def: $sgpr10
	s_and_saveexec_b64 s[8:9], s[6:7]
	s_xor_b64 s[6:7], exec, s[8:9]
	s_cbranch_execnz .LBB12_2889
; %bb.841:
	s_or_saveexec_b64 s[6:7], s[6:7]
	v_mov_b32_e32 v10, s10
	s_xor_b64 exec, exec, s[6:7]
	s_cbranch_execnz .LBB12_2892
.LBB12_842:
	s_or_b64 exec, exec, s[6:7]
	s_and_saveexec_b64 s[6:7], s[4:5]
	s_cbranch_execz .LBB12_844
.LBB12_843:
	v_bfe_u32 v10, v16, 8, 3
	v_ffbh_u32_e32 v15, v10
	v_min_u32_e32 v15, 32, v15
	v_lshrrev_b16_e32 v14, 3, v11
	v_subrev_u32_e32 v20, 28, v15
	v_and_b32_e32 v14, 15, v14
	v_lshlrev_b32_e32 v11, v20, v11
	v_sub_u32_e32 v15, 29, v15
	v_and_b32_e32 v11, 7, v11
	v_cmp_eq_u16_e32 vcc, 0, v14
	v_cndmask_b32_e32 v10, v10, v11, vcc
	v_cndmask_b32_e32 v11, v14, v15, vcc
	v_lshlrev_b32_e32 v14, 16, v16
	v_mov_b32_e32 v15, 0x3b800000
	v_lshlrev_b32_e32 v10, 20, v10
	v_and_b32_e32 v14, 0x80000000, v14
	v_lshl_add_u32 v11, v11, 23, v15
	v_or3_b32 v10, v14, v11, v10
.LBB12_844:
	s_or_b64 exec, exec, s[6:7]
	v_lshrrev_b32_e32 v11, 8, v12
	s_movk_i32 s4, 0x7f
	v_cmp_gt_i16_sdwa s[6:7], v11, s4 src0_sel:BYTE_0 src1_sel:DWORD
	s_mov_b64 s[4:5], 0
                                        ; implicit-def: $sgpr10
	s_and_saveexec_b64 s[8:9], s[6:7]
	s_xor_b64 s[6:7], exec, s[8:9]
	s_cbranch_execnz .LBB12_2893
; %bb.845:
	s_or_saveexec_b64 s[6:7], s[6:7]
	v_mov_b32_e32 v14, s10
	s_xor_b64 exec, exec, s[6:7]
	s_cbranch_execnz .LBB12_2896
.LBB12_846:
	s_or_b64 exec, exec, s[6:7]
	s_and_saveexec_b64 s[6:7], s[4:5]
	s_cbranch_execz .LBB12_848
.LBB12_847:
	v_bfe_u32 v14, v12, 8, 3
	v_ffbh_u32_e32 v20, v14
	v_min_u32_e32 v20, 32, v20
	v_lshrrev_b16_e32 v15, 3, v11
	v_subrev_u32_e32 v21, 28, v20
	v_and_b32_e32 v15, 15, v15
	v_lshlrev_b32_e32 v11, v21, v11
	v_sub_u32_e32 v20, 29, v20
	v_and_b32_e32 v11, 7, v11
	v_cmp_eq_u16_e32 vcc, 0, v15
	v_cndmask_b32_e32 v11, v14, v11, vcc
	v_cndmask_b32_e32 v14, v15, v20, vcc
	v_lshlrev_b32_e32 v15, 16, v12
	v_mov_b32_e32 v20, 0x3b800000
	v_lshlrev_b32_e32 v11, 20, v11
	v_and_b32_e32 v15, 0x80000000, v15
	v_lshl_add_u32 v14, v14, 23, v20
	v_or3_b32 v14, v15, v14, v11
.LBB12_848:
	s_or_b64 exec, exec, s[6:7]
	s_nop 0
	v_mfma_f32_16x16x4f32 a[0:3], v10, v14, a[0:3]
	s_movk_i32 s4, 0xff
	v_and_b32_sdwa v11, v16, s4 dst_sel:DWORD dst_unused:UNUSED_PAD src0_sel:WORD_1 src1_sel:DWORD
	s_movk_i32 s4, 0x7f
	v_cmp_lt_i16_e32 vcc, s4, v11
	s_mov_b64 s[4:5], 0
                                        ; implicit-def: $sgpr10
	s_and_saveexec_b64 s[6:7], vcc
	s_xor_b64 s[6:7], exec, s[6:7]
	s_cbranch_execnz .LBB12_2897
; %bb.849:
	s_or_saveexec_b64 s[6:7], s[6:7]
	v_mov_b32_e32 v10, s10
	s_xor_b64 exec, exec, s[6:7]
	s_cbranch_execnz .LBB12_2900
.LBB12_850:
	s_or_b64 exec, exec, s[6:7]
	s_and_saveexec_b64 s[6:7], s[4:5]
	s_cbranch_execz .LBB12_852
.LBB12_851:
	v_bfe_u32 v10, v16, 16, 3
	v_ffbh_u32_e32 v15, v10
	v_min_u32_e32 v15, 32, v15
	v_lshrrev_b32_e32 v11, 19, v16
	v_subrev_u32_e32 v20, 28, v15
	v_and_b32_e32 v11, 15, v11
	v_lshlrev_b32_sdwa v20, v20, v16 dst_sel:DWORD dst_unused:UNUSED_PAD src0_sel:DWORD src1_sel:WORD_1
	v_bfe_u32 v14, v16, 19, 4
	v_sub_u32_e32 v15, 29, v15
	v_and_b32_e32 v20, 7, v20
	v_cmp_eq_u16_e32 vcc, 0, v11
	v_cndmask_b32_e32 v10, v10, v20, vcc
	v_cndmask_b32_e32 v11, v14, v15, vcc
	v_lshlrev_b32_e32 v14, 8, v16
	v_mov_b32_e32 v15, 0x3b800000
	v_lshlrev_b32_e32 v10, 20, v10
	v_and_b32_e32 v14, 0x80000000, v14
	v_lshl_add_u32 v11, v11, 23, v15
	v_or3_b32 v10, v14, v11, v10
.LBB12_852:
	s_or_b64 exec, exec, s[6:7]
	s_movk_i32 s4, 0xff
	v_and_b32_sdwa v11, v12, s4 dst_sel:DWORD dst_unused:UNUSED_PAD src0_sel:WORD_1 src1_sel:DWORD
	s_movk_i32 s4, 0x7f
	v_cmp_lt_i16_e32 vcc, s4, v11
	s_mov_b64 s[4:5], 0
                                        ; implicit-def: $sgpr10
	s_and_saveexec_b64 s[6:7], vcc
	s_xor_b64 s[6:7], exec, s[6:7]
	s_cbranch_execnz .LBB12_2901
; %bb.853:
	s_or_saveexec_b64 s[6:7], s[6:7]
	v_mov_b32_e32 v14, s10
	s_xor_b64 exec, exec, s[6:7]
	s_cbranch_execnz .LBB12_2904
.LBB12_854:
	s_or_b64 exec, exec, s[6:7]
	s_and_saveexec_b64 s[6:7], s[4:5]
	s_cbranch_execz .LBB12_856
.LBB12_855:
	v_bfe_u32 v11, v12, 16, 3
	v_ffbh_u32_e32 v20, v11
	v_min_u32_e32 v20, 32, v20
	v_lshrrev_b32_e32 v14, 19, v12
	v_subrev_u32_e32 v21, 28, v20
	v_and_b32_e32 v14, 15, v14
	v_lshlrev_b32_sdwa v21, v21, v12 dst_sel:DWORD dst_unused:UNUSED_PAD src0_sel:DWORD src1_sel:WORD_1
	v_bfe_u32 v15, v12, 19, 4
	v_sub_u32_e32 v20, 29, v20
	v_and_b32_e32 v21, 7, v21
	v_cmp_eq_u16_e32 vcc, 0, v14
	v_cndmask_b32_e32 v11, v11, v21, vcc
	v_cndmask_b32_e32 v14, v15, v20, vcc
	v_lshlrev_b32_e32 v15, 8, v12
	v_mov_b32_e32 v20, 0x3b800000
	v_lshlrev_b32_e32 v11, 20, v11
	v_and_b32_e32 v15, 0x80000000, v15
	v_lshl_add_u32 v14, v14, 23, v20
	v_or3_b32 v14, v15, v14, v11
.LBB12_856:
	s_or_b64 exec, exec, s[6:7]
	s_nop 0
	v_mfma_f32_16x16x4f32 a[0:3], v10, v14, a[0:3]
	s_movk_i32 s4, 0x7f
	v_cmp_gt_i16_sdwa s[6:7], v16, s4 src0_sel:BYTE_3 src1_sel:DWORD
	s_mov_b64 s[4:5], 0
                                        ; implicit-def: $sgpr10
	s_and_saveexec_b64 s[8:9], s[6:7]
	s_xor_b64 s[6:7], exec, s[8:9]
	s_cbranch_execnz .LBB12_2905
; %bb.857:
	s_or_saveexec_b64 s[6:7], s[6:7]
	v_mov_b32_e32 v10, s10
	s_xor_b64 exec, exec, s[6:7]
	s_cbranch_execnz .LBB12_2908
.LBB12_858:
	s_or_b64 exec, exec, s[6:7]
	s_and_saveexec_b64 s[6:7], s[4:5]
	s_cbranch_execz .LBB12_860
.LBB12_859:
	v_bfe_u32 v10, v16, 24, 3
	v_ffbh_u32_e32 v20, v10
	v_min_u32_e32 v20, 32, v20
	v_lshrrev_b32_e32 v14, 27, v16
	v_subrev_u32_e32 v21, 28, v20
	v_and_b32_e32 v11, 0x80000000, v16
	v_and_b32_e32 v14, 15, v14
	v_bfe_u32 v15, v16, 27, 4
	v_lshlrev_b32_sdwa v16, v21, v16 dst_sel:DWORD dst_unused:UNUSED_PAD src0_sel:DWORD src1_sel:BYTE_3
	v_sub_u32_e32 v20, 29, v20
	v_and_b32_e32 v16, 7, v16
	v_cmp_eq_u16_e32 vcc, 0, v14
	v_cndmask_b32_e32 v10, v10, v16, vcc
	v_cndmask_b32_e32 v14, v15, v20, vcc
	v_mov_b32_e32 v15, 0x3b800000
	v_lshlrev_b32_e32 v10, 20, v10
	v_lshl_add_u32 v14, v14, 23, v15
	v_or3_b32 v10, v11, v14, v10
.LBB12_860:
	s_or_b64 exec, exec, s[6:7]
	s_movk_i32 s4, 0x7f
	v_cmp_gt_i16_sdwa s[6:7], v12, s4 src0_sel:BYTE_3 src1_sel:DWORD
	s_mov_b64 s[4:5], 0
                                        ; implicit-def: $sgpr10
	s_and_saveexec_b64 s[8:9], s[6:7]
	s_xor_b64 s[6:7], exec, s[8:9]
	s_cbranch_execnz .LBB12_2909
; %bb.861:
	s_or_saveexec_b64 s[6:7], s[6:7]
	v_mov_b32_e32 v11, s10
	s_xor_b64 exec, exec, s[6:7]
	s_cbranch_execnz .LBB12_2912
.LBB12_862:
	s_or_b64 exec, exec, s[6:7]
	s_and_saveexec_b64 s[6:7], s[4:5]
	s_cbranch_execz .LBB12_864
.LBB12_863:
	v_bfe_u32 v11, v12, 24, 3
	v_ffbh_u32_e32 v20, v11
	v_min_u32_e32 v20, 32, v20
	v_lshrrev_b32_e32 v15, 27, v12
	v_subrev_u32_e32 v21, 28, v20
	v_and_b32_e32 v14, 0x80000000, v12
	v_and_b32_e32 v15, 15, v15
	v_bfe_u32 v16, v12, 27, 4
	v_lshlrev_b32_sdwa v12, v21, v12 dst_sel:DWORD dst_unused:UNUSED_PAD src0_sel:DWORD src1_sel:BYTE_3
	v_sub_u32_e32 v20, 29, v20
	v_and_b32_e32 v12, 7, v12
	v_cmp_eq_u16_e32 vcc, 0, v15
	v_cndmask_b32_e32 v11, v11, v12, vcc
	v_cndmask_b32_e32 v12, v16, v20, vcc
	v_mov_b32_e32 v15, 0x3b800000
	v_lshlrev_b32_e32 v11, 20, v11
	v_lshl_add_u32 v12, v12, 23, v15
	v_or3_b32 v11, v14, v12, v11
.LBB12_864:
	s_or_b64 exec, exec, s[6:7]
	s_nop 0
	v_mfma_f32_16x16x4f32 a[0:3], v10, v11, a[0:3]
	s_movk_i32 s4, 0x7f
	v_cmp_gt_i16_sdwa s[6:7], v17, s4 src0_sel:BYTE_0 src1_sel:DWORD
	s_mov_b64 s[4:5], 0
                                        ; implicit-def: $sgpr10
	s_and_saveexec_b64 s[8:9], s[6:7]
	s_xor_b64 s[6:7], exec, s[8:9]
	s_cbranch_execnz .LBB12_2913
; %bb.865:
	s_or_saveexec_b64 s[6:7], s[6:7]
	v_mov_b32_e32 v10, s10
	s_xor_b64 exec, exec, s[6:7]
	s_cbranch_execnz .LBB12_2916
.LBB12_866:
	s_or_b64 exec, exec, s[6:7]
	s_and_saveexec_b64 s[6:7], s[4:5]
	s_cbranch_execz .LBB12_868
.LBB12_867:
	v_and_b32_e32 v10, 7, v17
	v_ffbh_u32_e32 v12, v10
	v_min_u32_e32 v12, 32, v12
	v_lshrrev_b16_e32 v11, 3, v17
	v_subrev_u32_e32 v14, 28, v12
	v_and_b32_e32 v11, 15, v11
	v_lshlrev_b32_e32 v14, v14, v17
	v_sub_u32_e32 v12, 29, v12
	v_and_b32_e32 v14, 7, v14
	v_cmp_eq_u16_e32 vcc, 0, v11
	v_cndmask_b32_e32 v10, v10, v14, vcc
	v_cndmask_b32_e32 v11, v11, v12, vcc
	v_lshlrev_b32_e32 v12, 24, v17
	v_mov_b32_e32 v14, 0x3b800000
	v_lshlrev_b32_e32 v10, 20, v10
	v_and_b32_e32 v12, 0x80000000, v12
	v_lshl_add_u32 v11, v11, 23, v14
	v_or3_b32 v10, v12, v11, v10
.LBB12_868:
	s_or_b64 exec, exec, s[6:7]
	s_movk_i32 s4, 0x7f
	v_cmp_gt_i16_sdwa s[6:7], v13, s4 src0_sel:BYTE_0 src1_sel:DWORD
	s_mov_b64 s[4:5], 0
                                        ; implicit-def: $sgpr10
	s_and_saveexec_b64 s[8:9], s[6:7]
	s_xor_b64 s[6:7], exec, s[8:9]
	s_cbranch_execnz .LBB12_2917
; %bb.869:
	s_or_saveexec_b64 s[6:7], s[6:7]
	v_mov_b32_e32 v11, s10
	s_xor_b64 exec, exec, s[6:7]
	s_cbranch_execnz .LBB12_2920
.LBB12_870:
	s_or_b64 exec, exec, s[6:7]
	s_and_saveexec_b64 s[6:7], s[4:5]
	s_cbranch_execz .LBB12_872
.LBB12_871:
	v_and_b32_e32 v11, 7, v13
	v_ffbh_u32_e32 v14, v11
	v_min_u32_e32 v14, 32, v14
	v_lshrrev_b16_e32 v12, 3, v13
	v_subrev_u32_e32 v15, 28, v14
	v_and_b32_e32 v12, 15, v12
	v_lshlrev_b32_e32 v15, v15, v13
	v_sub_u32_e32 v14, 29, v14
	v_and_b32_e32 v15, 7, v15
	v_cmp_eq_u16_e32 vcc, 0, v12
	v_cndmask_b32_e32 v11, v11, v15, vcc
	v_cndmask_b32_e32 v12, v12, v14, vcc
	v_lshlrev_b32_e32 v14, 24, v13
	v_mov_b32_e32 v15, 0x3b800000
	v_lshlrev_b32_e32 v11, 20, v11
	v_and_b32_e32 v14, 0x80000000, v14
	v_lshl_add_u32 v12, v12, 23, v15
	v_or3_b32 v11, v14, v12, v11
.LBB12_872:
	s_or_b64 exec, exec, s[6:7]
	s_nop 0
	v_mfma_f32_16x16x4f32 a[0:3], v10, v11, a[0:3]
	v_lshrrev_b32_e32 v11, 8, v17
	s_movk_i32 s4, 0x7f
	v_cmp_gt_i16_sdwa s[6:7], v11, s4 src0_sel:BYTE_0 src1_sel:DWORD
	s_mov_b64 s[4:5], 0
                                        ; implicit-def: $sgpr10
	s_and_saveexec_b64 s[8:9], s[6:7]
	s_xor_b64 s[6:7], exec, s[8:9]
	s_cbranch_execnz .LBB12_2921
; %bb.873:
	s_or_saveexec_b64 s[6:7], s[6:7]
	v_mov_b32_e32 v10, s10
	s_xor_b64 exec, exec, s[6:7]
	s_cbranch_execnz .LBB12_2924
.LBB12_874:
	s_or_b64 exec, exec, s[6:7]
	s_and_saveexec_b64 s[6:7], s[4:5]
	s_cbranch_execz .LBB12_876
.LBB12_875:
	v_bfe_u32 v10, v17, 8, 3
	v_ffbh_u32_e32 v14, v10
	v_min_u32_e32 v14, 32, v14
	v_lshrrev_b16_e32 v12, 3, v11
	v_subrev_u32_e32 v15, 28, v14
	v_and_b32_e32 v12, 15, v12
	v_lshlrev_b32_e32 v11, v15, v11
	v_sub_u32_e32 v14, 29, v14
	v_and_b32_e32 v11, 7, v11
	v_cmp_eq_u16_e32 vcc, 0, v12
	v_cndmask_b32_e32 v10, v10, v11, vcc
	v_cndmask_b32_e32 v11, v12, v14, vcc
	v_lshlrev_b32_e32 v12, 16, v17
	v_mov_b32_e32 v14, 0x3b800000
	v_lshlrev_b32_e32 v10, 20, v10
	v_and_b32_e32 v12, 0x80000000, v12
	v_lshl_add_u32 v11, v11, 23, v14
	v_or3_b32 v10, v12, v11, v10
.LBB12_876:
	s_or_b64 exec, exec, s[6:7]
	v_lshrrev_b32_e32 v11, 8, v13
	s_movk_i32 s4, 0x7f
	v_cmp_gt_i16_sdwa s[6:7], v11, s4 src0_sel:BYTE_0 src1_sel:DWORD
	s_mov_b64 s[4:5], 0
                                        ; implicit-def: $sgpr10
	s_and_saveexec_b64 s[8:9], s[6:7]
	s_xor_b64 s[6:7], exec, s[8:9]
	s_cbranch_execnz .LBB12_2925
; %bb.877:
	s_or_saveexec_b64 s[6:7], s[6:7]
	v_mov_b32_e32 v12, s10
	s_xor_b64 exec, exec, s[6:7]
	s_cbranch_execnz .LBB12_2928
.LBB12_878:
	s_or_b64 exec, exec, s[6:7]
	s_and_saveexec_b64 s[6:7], s[4:5]
	s_cbranch_execz .LBB12_880
.LBB12_879:
	v_bfe_u32 v12, v13, 8, 3
	v_ffbh_u32_e32 v15, v12
	v_min_u32_e32 v15, 32, v15
	v_lshrrev_b16_e32 v14, 3, v11
	v_subrev_u32_e32 v16, 28, v15
	v_and_b32_e32 v14, 15, v14
	v_lshlrev_b32_e32 v11, v16, v11
	v_sub_u32_e32 v15, 29, v15
	v_and_b32_e32 v11, 7, v11
	v_cmp_eq_u16_e32 vcc, 0, v14
	v_cndmask_b32_e32 v11, v12, v11, vcc
	v_cndmask_b32_e32 v12, v14, v15, vcc
	v_lshlrev_b32_e32 v14, 16, v13
	v_mov_b32_e32 v15, 0x3b800000
	v_lshlrev_b32_e32 v11, 20, v11
	v_and_b32_e32 v14, 0x80000000, v14
	v_lshl_add_u32 v12, v12, 23, v15
	v_or3_b32 v12, v14, v12, v11
.LBB12_880:
	s_or_b64 exec, exec, s[6:7]
	s_nop 0
	v_mfma_f32_16x16x4f32 a[0:3], v10, v12, a[0:3]
	s_movk_i32 s4, 0xff
	v_and_b32_sdwa v11, v17, s4 dst_sel:DWORD dst_unused:UNUSED_PAD src0_sel:WORD_1 src1_sel:DWORD
	s_movk_i32 s4, 0x7f
	v_cmp_lt_i16_e32 vcc, s4, v11
	s_mov_b64 s[4:5], 0
                                        ; implicit-def: $sgpr10
	s_and_saveexec_b64 s[6:7], vcc
	s_xor_b64 s[6:7], exec, s[6:7]
	s_cbranch_execnz .LBB12_2929
; %bb.881:
	s_or_saveexec_b64 s[6:7], s[6:7]
	v_mov_b32_e32 v10, s10
	s_xor_b64 exec, exec, s[6:7]
	s_cbranch_execnz .LBB12_2932
.LBB12_882:
	s_or_b64 exec, exec, s[6:7]
	s_and_saveexec_b64 s[6:7], s[4:5]
	s_cbranch_execz .LBB12_884
.LBB12_883:
	v_bfe_u32 v10, v17, 16, 3
	v_ffbh_u32_e32 v14, v10
	v_min_u32_e32 v14, 32, v14
	v_lshrrev_b32_e32 v11, 19, v17
	v_subrev_u32_e32 v15, 28, v14
	v_and_b32_e32 v11, 15, v11
	v_lshlrev_b32_sdwa v15, v15, v17 dst_sel:DWORD dst_unused:UNUSED_PAD src0_sel:DWORD src1_sel:WORD_1
	v_bfe_u32 v12, v17, 19, 4
	v_sub_u32_e32 v14, 29, v14
	v_and_b32_e32 v15, 7, v15
	v_cmp_eq_u16_e32 vcc, 0, v11
	v_cndmask_b32_e32 v10, v10, v15, vcc
	v_cndmask_b32_e32 v11, v12, v14, vcc
	v_lshlrev_b32_e32 v12, 8, v17
	v_mov_b32_e32 v14, 0x3b800000
	v_lshlrev_b32_e32 v10, 20, v10
	v_and_b32_e32 v12, 0x80000000, v12
	v_lshl_add_u32 v11, v11, 23, v14
	v_or3_b32 v10, v12, v11, v10
.LBB12_884:
	s_or_b64 exec, exec, s[6:7]
	s_movk_i32 s4, 0xff
	v_and_b32_sdwa v11, v13, s4 dst_sel:DWORD dst_unused:UNUSED_PAD src0_sel:WORD_1 src1_sel:DWORD
	s_movk_i32 s4, 0x7f
	v_cmp_lt_i16_e32 vcc, s4, v11
	s_mov_b64 s[4:5], 0
                                        ; implicit-def: $sgpr10
	s_and_saveexec_b64 s[6:7], vcc
	s_xor_b64 s[6:7], exec, s[6:7]
	s_cbranch_execnz .LBB12_2933
; %bb.885:
	s_or_saveexec_b64 s[6:7], s[6:7]
	v_mov_b32_e32 v12, s10
	s_xor_b64 exec, exec, s[6:7]
	s_cbranch_execnz .LBB12_2936
.LBB12_886:
	s_or_b64 exec, exec, s[6:7]
	s_and_saveexec_b64 s[6:7], s[4:5]
	s_cbranch_execz .LBB12_888
.LBB12_887:
	v_bfe_u32 v11, v13, 16, 3
	v_ffbh_u32_e32 v15, v11
	v_min_u32_e32 v15, 32, v15
	v_lshrrev_b32_e32 v12, 19, v13
	v_subrev_u32_e32 v16, 28, v15
	v_and_b32_e32 v12, 15, v12
	v_lshlrev_b32_sdwa v16, v16, v13 dst_sel:DWORD dst_unused:UNUSED_PAD src0_sel:DWORD src1_sel:WORD_1
	v_bfe_u32 v14, v13, 19, 4
	v_sub_u32_e32 v15, 29, v15
	v_and_b32_e32 v16, 7, v16
	v_cmp_eq_u16_e32 vcc, 0, v12
	v_cndmask_b32_e32 v11, v11, v16, vcc
	v_cndmask_b32_e32 v12, v14, v15, vcc
	v_lshlrev_b32_e32 v14, 8, v13
	v_mov_b32_e32 v15, 0x3b800000
	v_lshlrev_b32_e32 v11, 20, v11
	v_and_b32_e32 v14, 0x80000000, v14
	v_lshl_add_u32 v12, v12, 23, v15
	v_or3_b32 v12, v14, v12, v11
.LBB12_888:
	s_or_b64 exec, exec, s[6:7]
	s_nop 0
	v_mfma_f32_16x16x4f32 a[0:3], v10, v12, a[0:3]
	s_movk_i32 s4, 0x7f
	v_cmp_gt_i16_sdwa s[6:7], v17, s4 src0_sel:BYTE_3 src1_sel:DWORD
	s_mov_b64 s[4:5], 0
                                        ; implicit-def: $sgpr10
	s_and_saveexec_b64 s[8:9], s[6:7]
	s_xor_b64 s[6:7], exec, s[8:9]
	s_cbranch_execnz .LBB12_2937
; %bb.889:
	s_or_saveexec_b64 s[6:7], s[6:7]
	v_mov_b32_e32 v10, s10
	s_xor_b64 exec, exec, s[6:7]
	s_cbranch_execnz .LBB12_2940
.LBB12_890:
	s_or_b64 exec, exec, s[6:7]
	s_and_saveexec_b64 s[6:7], s[4:5]
	s_cbranch_execz .LBB12_892
.LBB12_891:
	v_bfe_u32 v10, v17, 24, 3
	v_ffbh_u32_e32 v15, v10
	v_min_u32_e32 v15, 32, v15
	v_lshrrev_b32_e32 v12, 27, v17
	v_subrev_u32_e32 v16, 28, v15
	v_and_b32_e32 v12, 15, v12
	v_lshlrev_b32_sdwa v16, v16, v17 dst_sel:DWORD dst_unused:UNUSED_PAD src0_sel:DWORD src1_sel:BYTE_3
	v_bfe_u32 v14, v17, 27, 4
	v_sub_u32_e32 v15, 29, v15
	v_and_b32_e32 v16, 7, v16
	v_cmp_eq_u16_e32 vcc, 0, v12
	v_cndmask_b32_e32 v10, v10, v16, vcc
	v_cndmask_b32_e32 v12, v14, v15, vcc
	v_mov_b32_e32 v14, 0x3b800000
	v_and_b32_e32 v11, 0x80000000, v17
	v_lshlrev_b32_e32 v10, 20, v10
	v_lshl_add_u32 v12, v12, 23, v14
	v_or3_b32 v10, v11, v12, v10
.LBB12_892:
	s_or_b64 exec, exec, s[6:7]
	s_movk_i32 s4, 0x7f
	v_cmp_gt_i16_sdwa s[6:7], v13, s4 src0_sel:BYTE_3 src1_sel:DWORD
	s_mov_b64 s[4:5], 0
                                        ; implicit-def: $sgpr10
	s_and_saveexec_b64 s[8:9], s[6:7]
	s_xor_b64 s[6:7], exec, s[8:9]
	s_cbranch_execnz .LBB12_2941
; %bb.893:
	s_or_saveexec_b64 s[6:7], s[6:7]
	v_mov_b32_e32 v11, s10
	s_xor_b64 exec, exec, s[6:7]
	s_cbranch_execnz .LBB12_2944
.LBB12_894:
	s_or_b64 exec, exec, s[6:7]
	s_and_saveexec_b64 s[6:7], s[4:5]
	s_cbranch_execz .LBB12_896
.LBB12_895:
	v_bfe_u32 v11, v13, 24, 3
	v_ffbh_u32_e32 v16, v11
	v_min_u32_e32 v16, 32, v16
	v_lshrrev_b32_e32 v14, 27, v13
	v_subrev_u32_e32 v17, 28, v16
	v_and_b32_e32 v12, 0x80000000, v13
	v_and_b32_e32 v14, 15, v14
	v_bfe_u32 v15, v13, 27, 4
	v_lshlrev_b32_sdwa v13, v17, v13 dst_sel:DWORD dst_unused:UNUSED_PAD src0_sel:DWORD src1_sel:BYTE_3
	v_sub_u32_e32 v16, 29, v16
	v_and_b32_e32 v13, 7, v13
	v_cmp_eq_u16_e32 vcc, 0, v14
	v_cndmask_b32_e32 v11, v11, v13, vcc
	v_cndmask_b32_e32 v13, v15, v16, vcc
	v_mov_b32_e32 v14, 0x3b800000
	v_lshlrev_b32_e32 v11, 20, v11
	v_lshl_add_u32 v13, v13, 23, v14
	v_or3_b32 v11, v12, v13, v11
.LBB12_896:
	s_or_b64 exec, exec, s[6:7]
	s_nop 0
	v_mfma_f32_16x16x4f32 a[0:3], v10, v11, a[0:3]
	s_movk_i32 s4, 0x7f
	v_cmp_gt_i16_sdwa s[6:7], v6, s4 src0_sel:BYTE_0 src1_sel:DWORD
	s_mov_b64 s[4:5], 0
                                        ; implicit-def: $sgpr10
	s_and_saveexec_b64 s[8:9], s[6:7]
	s_xor_b64 s[6:7], exec, s[8:9]
	s_cbranch_execnz .LBB12_2945
; %bb.897:
	s_or_saveexec_b64 s[6:7], s[6:7]
	v_mov_b32_e32 v10, s10
	s_xor_b64 exec, exec, s[6:7]
	s_cbranch_execnz .LBB12_2948
.LBB12_898:
	s_or_b64 exec, exec, s[6:7]
	s_and_saveexec_b64 s[6:7], s[4:5]
	s_cbranch_execz .LBB12_900
.LBB12_899:
	v_and_b32_e32 v10, 7, v6
	v_ffbh_u32_e32 v12, v10
	v_min_u32_e32 v12, 32, v12
	v_lshrrev_b16_e32 v11, 3, v6
	v_subrev_u32_e32 v13, 28, v12
	v_and_b32_e32 v11, 15, v11
	v_lshlrev_b32_e32 v13, v13, v6
	v_sub_u32_e32 v12, 29, v12
	v_and_b32_e32 v13, 7, v13
	v_cmp_eq_u16_e32 vcc, 0, v11
	v_cndmask_b32_e32 v10, v10, v13, vcc
	v_cndmask_b32_e32 v11, v11, v12, vcc
	v_lshlrev_b32_e32 v12, 24, v6
	v_mov_b32_e32 v13, 0x3b800000
	v_lshlrev_b32_e32 v10, 20, v10
	v_and_b32_e32 v12, 0x80000000, v12
	v_lshl_add_u32 v11, v11, 23, v13
	v_or3_b32 v10, v12, v11, v10
.LBB12_900:
	s_or_b64 exec, exec, s[6:7]
	s_movk_i32 s4, 0x7f
	v_cmp_gt_i16_sdwa s[6:7], v2, s4 src0_sel:BYTE_0 src1_sel:DWORD
	s_mov_b64 s[4:5], 0
                                        ; implicit-def: $sgpr10
	s_and_saveexec_b64 s[8:9], s[6:7]
	s_xor_b64 s[6:7], exec, s[8:9]
	s_cbranch_execnz .LBB12_2949
; %bb.901:
	s_or_saveexec_b64 s[6:7], s[6:7]
	v_mov_b32_e32 v11, s10
	s_xor_b64 exec, exec, s[6:7]
	s_cbranch_execnz .LBB12_2952
.LBB12_902:
	s_or_b64 exec, exec, s[6:7]
	s_and_saveexec_b64 s[6:7], s[4:5]
	s_cbranch_execz .LBB12_904
.LBB12_903:
	v_and_b32_e32 v11, 7, v2
	v_ffbh_u32_e32 v13, v11
	v_min_u32_e32 v13, 32, v13
	v_lshrrev_b16_e32 v12, 3, v2
	v_subrev_u32_e32 v14, 28, v13
	v_and_b32_e32 v12, 15, v12
	v_lshlrev_b32_e32 v14, v14, v2
	v_sub_u32_e32 v13, 29, v13
	v_and_b32_e32 v14, 7, v14
	v_cmp_eq_u16_e32 vcc, 0, v12
	v_cndmask_b32_e32 v11, v11, v14, vcc
	v_cndmask_b32_e32 v12, v12, v13, vcc
	v_lshlrev_b32_e32 v13, 24, v2
	v_mov_b32_e32 v14, 0x3b800000
	v_lshlrev_b32_e32 v11, 20, v11
	v_and_b32_e32 v13, 0x80000000, v13
	v_lshl_add_u32 v12, v12, 23, v14
	v_or3_b32 v11, v13, v12, v11
.LBB12_904:
	s_or_b64 exec, exec, s[6:7]
	s_nop 0
	v_mfma_f32_16x16x4f32 a[0:3], v10, v11, a[0:3]
	v_lshrrev_b32_e32 v11, 8, v6
	s_movk_i32 s4, 0x7f
	v_cmp_gt_i16_sdwa s[6:7], v11, s4 src0_sel:BYTE_0 src1_sel:DWORD
	s_mov_b64 s[4:5], 0
                                        ; implicit-def: $sgpr10
	s_and_saveexec_b64 s[8:9], s[6:7]
	s_xor_b64 s[6:7], exec, s[8:9]
	s_cbranch_execnz .LBB12_2953
; %bb.905:
	s_or_saveexec_b64 s[6:7], s[6:7]
	v_mov_b32_e32 v10, s10
	s_xor_b64 exec, exec, s[6:7]
	s_cbranch_execnz .LBB12_2956
.LBB12_906:
	s_or_b64 exec, exec, s[6:7]
	s_and_saveexec_b64 s[6:7], s[4:5]
	s_cbranch_execz .LBB12_908
.LBB12_907:
	v_bfe_u32 v10, v6, 8, 3
	v_ffbh_u32_e32 v13, v10
	v_min_u32_e32 v13, 32, v13
	v_lshrrev_b16_e32 v12, 3, v11
	v_subrev_u32_e32 v14, 28, v13
	v_and_b32_e32 v12, 15, v12
	v_lshlrev_b32_e32 v11, v14, v11
	v_sub_u32_e32 v13, 29, v13
	v_and_b32_e32 v11, 7, v11
	v_cmp_eq_u16_e32 vcc, 0, v12
	v_cndmask_b32_e32 v10, v10, v11, vcc
	v_cndmask_b32_e32 v11, v12, v13, vcc
	v_lshlrev_b32_e32 v12, 16, v6
	v_mov_b32_e32 v13, 0x3b800000
	v_lshlrev_b32_e32 v10, 20, v10
	v_and_b32_e32 v12, 0x80000000, v12
	v_lshl_add_u32 v11, v11, 23, v13
	v_or3_b32 v10, v12, v11, v10
.LBB12_908:
	s_or_b64 exec, exec, s[6:7]
	v_lshrrev_b32_e32 v11, 8, v2
	s_movk_i32 s4, 0x7f
	v_cmp_gt_i16_sdwa s[6:7], v11, s4 src0_sel:BYTE_0 src1_sel:DWORD
	s_mov_b64 s[4:5], 0
                                        ; implicit-def: $sgpr10
	s_and_saveexec_b64 s[8:9], s[6:7]
	s_xor_b64 s[6:7], exec, s[8:9]
	s_cbranch_execnz .LBB12_2957
; %bb.909:
	s_or_saveexec_b64 s[6:7], s[6:7]
	v_mov_b32_e32 v12, s10
	s_xor_b64 exec, exec, s[6:7]
	s_cbranch_execnz .LBB12_2960
.LBB12_910:
	s_or_b64 exec, exec, s[6:7]
	s_and_saveexec_b64 s[6:7], s[4:5]
	s_cbranch_execz .LBB12_912
.LBB12_911:
	v_bfe_u32 v12, v2, 8, 3
	v_ffbh_u32_e32 v14, v12
	v_min_u32_e32 v14, 32, v14
	v_lshrrev_b16_e32 v13, 3, v11
	v_subrev_u32_e32 v15, 28, v14
	v_and_b32_e32 v13, 15, v13
	v_lshlrev_b32_e32 v11, v15, v11
	v_sub_u32_e32 v14, 29, v14
	v_and_b32_e32 v11, 7, v11
	v_cmp_eq_u16_e32 vcc, 0, v13
	v_cndmask_b32_e32 v11, v12, v11, vcc
	v_cndmask_b32_e32 v12, v13, v14, vcc
	v_lshlrev_b32_e32 v13, 16, v2
	v_mov_b32_e32 v14, 0x3b800000
	v_lshlrev_b32_e32 v11, 20, v11
	v_and_b32_e32 v13, 0x80000000, v13
	v_lshl_add_u32 v12, v12, 23, v14
	v_or3_b32 v12, v13, v12, v11
.LBB12_912:
	s_or_b64 exec, exec, s[6:7]
	s_nop 0
	v_mfma_f32_16x16x4f32 a[0:3], v10, v12, a[0:3]
	s_movk_i32 s4, 0xff
	v_and_b32_sdwa v11, v6, s4 dst_sel:DWORD dst_unused:UNUSED_PAD src0_sel:WORD_1 src1_sel:DWORD
	s_movk_i32 s4, 0x7f
	v_cmp_lt_i16_e32 vcc, s4, v11
	s_mov_b64 s[4:5], 0
                                        ; implicit-def: $sgpr10
	s_and_saveexec_b64 s[6:7], vcc
	s_xor_b64 s[6:7], exec, s[6:7]
	s_cbranch_execnz .LBB12_2961
; %bb.913:
	s_or_saveexec_b64 s[6:7], s[6:7]
	v_mov_b32_e32 v10, s10
	s_xor_b64 exec, exec, s[6:7]
	s_cbranch_execnz .LBB12_2964
.LBB12_914:
	s_or_b64 exec, exec, s[6:7]
	s_and_saveexec_b64 s[6:7], s[4:5]
	s_cbranch_execz .LBB12_916
.LBB12_915:
	v_bfe_u32 v10, v6, 16, 3
	v_ffbh_u32_e32 v13, v10
	v_min_u32_e32 v13, 32, v13
	v_lshrrev_b32_e32 v11, 19, v6
	v_subrev_u32_e32 v14, 28, v13
	v_and_b32_e32 v11, 15, v11
	v_lshlrev_b32_sdwa v14, v14, v6 dst_sel:DWORD dst_unused:UNUSED_PAD src0_sel:DWORD src1_sel:WORD_1
	v_bfe_u32 v12, v6, 19, 4
	v_sub_u32_e32 v13, 29, v13
	v_and_b32_e32 v14, 7, v14
	v_cmp_eq_u16_e32 vcc, 0, v11
	v_cndmask_b32_e32 v10, v10, v14, vcc
	v_cndmask_b32_e32 v11, v12, v13, vcc
	v_lshlrev_b32_e32 v12, 8, v6
	v_mov_b32_e32 v13, 0x3b800000
	v_lshlrev_b32_e32 v10, 20, v10
	v_and_b32_e32 v12, 0x80000000, v12
	v_lshl_add_u32 v11, v11, 23, v13
	v_or3_b32 v10, v12, v11, v10
.LBB12_916:
	s_or_b64 exec, exec, s[6:7]
	s_movk_i32 s4, 0xff
	v_and_b32_sdwa v11, v2, s4 dst_sel:DWORD dst_unused:UNUSED_PAD src0_sel:WORD_1 src1_sel:DWORD
	s_movk_i32 s4, 0x7f
	v_cmp_lt_i16_e32 vcc, s4, v11
	s_mov_b64 s[4:5], 0
                                        ; implicit-def: $sgpr10
	s_and_saveexec_b64 s[6:7], vcc
	s_xor_b64 s[6:7], exec, s[6:7]
	s_cbranch_execnz .LBB12_2965
; %bb.917:
	s_or_saveexec_b64 s[6:7], s[6:7]
	v_mov_b32_e32 v12, s10
	s_xor_b64 exec, exec, s[6:7]
	s_cbranch_execnz .LBB12_2968
.LBB12_918:
	s_or_b64 exec, exec, s[6:7]
	s_and_saveexec_b64 s[6:7], s[4:5]
	s_cbranch_execz .LBB12_920
.LBB12_919:
	v_bfe_u32 v11, v2, 16, 3
	v_ffbh_u32_e32 v14, v11
	v_min_u32_e32 v14, 32, v14
	v_lshrrev_b32_e32 v12, 19, v2
	v_subrev_u32_e32 v15, 28, v14
	v_and_b32_e32 v12, 15, v12
	v_lshlrev_b32_sdwa v15, v15, v2 dst_sel:DWORD dst_unused:UNUSED_PAD src0_sel:DWORD src1_sel:WORD_1
	v_bfe_u32 v13, v2, 19, 4
	v_sub_u32_e32 v14, 29, v14
	v_and_b32_e32 v15, 7, v15
	v_cmp_eq_u16_e32 vcc, 0, v12
	v_cndmask_b32_e32 v11, v11, v15, vcc
	v_cndmask_b32_e32 v12, v13, v14, vcc
	v_lshlrev_b32_e32 v13, 8, v2
	v_mov_b32_e32 v14, 0x3b800000
	v_lshlrev_b32_e32 v11, 20, v11
	v_and_b32_e32 v13, 0x80000000, v13
	v_lshl_add_u32 v12, v12, 23, v14
	v_or3_b32 v12, v13, v12, v11
.LBB12_920:
	s_or_b64 exec, exec, s[6:7]
	s_nop 0
	v_mfma_f32_16x16x4f32 a[0:3], v10, v12, a[0:3]
	s_movk_i32 s4, 0x7f
	v_cmp_gt_i16_sdwa s[6:7], v6, s4 src0_sel:BYTE_3 src1_sel:DWORD
	s_mov_b64 s[4:5], 0
                                        ; implicit-def: $sgpr10
	s_and_saveexec_b64 s[8:9], s[6:7]
	s_xor_b64 s[6:7], exec, s[8:9]
	s_cbranch_execnz .LBB12_2969
; %bb.921:
	s_or_saveexec_b64 s[6:7], s[6:7]
	v_mov_b32_e32 v10, s10
	s_xor_b64 exec, exec, s[6:7]
	s_cbranch_execnz .LBB12_2972
.LBB12_922:
	s_or_b64 exec, exec, s[6:7]
	s_and_saveexec_b64 s[6:7], s[4:5]
	s_cbranch_execz .LBB12_924
.LBB12_923:
	v_bfe_u32 v10, v6, 24, 3
	v_ffbh_u32_e32 v14, v10
	v_min_u32_e32 v14, 32, v14
	v_lshrrev_b32_e32 v12, 27, v6
	v_subrev_u32_e32 v15, 28, v14
	v_and_b32_e32 v11, 0x80000000, v6
	v_and_b32_e32 v12, 15, v12
	v_bfe_u32 v13, v6, 27, 4
	v_lshlrev_b32_sdwa v6, v15, v6 dst_sel:DWORD dst_unused:UNUSED_PAD src0_sel:DWORD src1_sel:BYTE_3
	v_sub_u32_e32 v14, 29, v14
	v_and_b32_e32 v6, 7, v6
	v_cmp_eq_u16_e32 vcc, 0, v12
	v_cndmask_b32_e32 v6, v10, v6, vcc
	v_cndmask_b32_e32 v10, v13, v14, vcc
	v_mov_b32_e32 v12, 0x3b800000
	v_lshlrev_b32_e32 v6, 20, v6
	v_lshl_add_u32 v10, v10, 23, v12
	v_or3_b32 v10, v11, v10, v6
.LBB12_924:
	s_or_b64 exec, exec, s[6:7]
	s_movk_i32 s4, 0x7f
	v_cmp_gt_i16_sdwa s[6:7], v2, s4 src0_sel:BYTE_3 src1_sel:DWORD
	s_mov_b64 s[4:5], 0
                                        ; implicit-def: $sgpr10
	s_and_saveexec_b64 s[8:9], s[6:7]
	s_xor_b64 s[6:7], exec, s[8:9]
	s_cbranch_execnz .LBB12_2973
; %bb.925:
	s_or_saveexec_b64 s[6:7], s[6:7]
	v_mov_b32_e32 v6, s10
	s_xor_b64 exec, exec, s[6:7]
	s_cbranch_execnz .LBB12_2976
.LBB12_926:
	s_or_b64 exec, exec, s[6:7]
	s_and_saveexec_b64 s[6:7], s[4:5]
	s_cbranch_execz .LBB12_928
.LBB12_927:
	v_bfe_u32 v6, v2, 24, 3
	v_ffbh_u32_e32 v14, v6
	v_min_u32_e32 v14, 32, v14
	v_lshrrev_b32_e32 v12, 27, v2
	v_subrev_u32_e32 v15, 28, v14
	v_and_b32_e32 v11, 0x80000000, v2
	v_and_b32_e32 v12, 15, v12
	v_bfe_u32 v13, v2, 27, 4
	v_lshlrev_b32_sdwa v2, v15, v2 dst_sel:DWORD dst_unused:UNUSED_PAD src0_sel:DWORD src1_sel:BYTE_3
	v_sub_u32_e32 v14, 29, v14
	v_and_b32_e32 v2, 7, v2
	v_cmp_eq_u16_e32 vcc, 0, v12
	v_cndmask_b32_e32 v2, v6, v2, vcc
	v_cndmask_b32_e32 v6, v13, v14, vcc
	v_mov_b32_e32 v12, 0x3b800000
	v_lshlrev_b32_e32 v2, 20, v2
	v_lshl_add_u32 v6, v6, 23, v12
	v_or3_b32 v6, v11, v6, v2
.LBB12_928:
	s_or_b64 exec, exec, s[6:7]
	s_nop 0
	v_mfma_f32_16x16x4f32 a[0:3], v10, v6, a[0:3]
	s_movk_i32 s4, 0x7f
	v_cmp_gt_i16_sdwa s[6:7], v7, s4 src0_sel:BYTE_0 src1_sel:DWORD
	s_mov_b64 s[4:5], 0
                                        ; implicit-def: $sgpr10
	s_and_saveexec_b64 s[8:9], s[6:7]
	s_xor_b64 s[6:7], exec, s[8:9]
	s_cbranch_execnz .LBB12_2977
; %bb.929:
	s_or_saveexec_b64 s[6:7], s[6:7]
	v_mov_b32_e32 v2, s10
	s_xor_b64 exec, exec, s[6:7]
	s_cbranch_execnz .LBB12_2980
.LBB12_930:
	s_or_b64 exec, exec, s[6:7]
	s_and_saveexec_b64 s[6:7], s[4:5]
	s_cbranch_execz .LBB12_932
.LBB12_931:
	v_and_b32_e32 v2, 7, v7
	v_ffbh_u32_e32 v10, v2
	v_min_u32_e32 v10, 32, v10
	v_lshrrev_b16_e32 v6, 3, v7
	v_subrev_u32_e32 v11, 28, v10
	v_and_b32_e32 v6, 15, v6
	v_lshlrev_b32_e32 v11, v11, v7
	v_sub_u32_e32 v10, 29, v10
	v_and_b32_e32 v11, 7, v11
	v_cmp_eq_u16_e32 vcc, 0, v6
	v_cndmask_b32_e32 v2, v2, v11, vcc
	v_cndmask_b32_e32 v6, v6, v10, vcc
	v_lshlrev_b32_e32 v10, 24, v7
	v_mov_b32_e32 v11, 0x3b800000
	v_lshlrev_b32_e32 v2, 20, v2
	v_and_b32_e32 v10, 0x80000000, v10
	v_lshl_add_u32 v6, v6, 23, v11
	v_or3_b32 v2, v10, v6, v2
.LBB12_932:
	s_or_b64 exec, exec, s[6:7]
	s_movk_i32 s4, 0x7f
	v_cmp_gt_i16_sdwa s[6:7], v3, s4 src0_sel:BYTE_0 src1_sel:DWORD
	s_mov_b64 s[4:5], 0
                                        ; implicit-def: $sgpr10
	s_and_saveexec_b64 s[8:9], s[6:7]
	s_xor_b64 s[6:7], exec, s[8:9]
	s_cbranch_execnz .LBB12_2981
; %bb.933:
	s_or_saveexec_b64 s[6:7], s[6:7]
	v_mov_b32_e32 v6, s10
	s_xor_b64 exec, exec, s[6:7]
	s_cbranch_execnz .LBB12_2984
.LBB12_934:
	s_or_b64 exec, exec, s[6:7]
	s_and_saveexec_b64 s[6:7], s[4:5]
	s_cbranch_execz .LBB12_936
.LBB12_935:
	v_and_b32_e32 v6, 7, v3
	v_ffbh_u32_e32 v11, v6
	v_min_u32_e32 v11, 32, v11
	v_lshrrev_b16_e32 v10, 3, v3
	v_subrev_u32_e32 v12, 28, v11
	v_and_b32_e32 v10, 15, v10
	v_lshlrev_b32_e32 v12, v12, v3
	v_sub_u32_e32 v11, 29, v11
	v_and_b32_e32 v12, 7, v12
	v_cmp_eq_u16_e32 vcc, 0, v10
	v_cndmask_b32_e32 v6, v6, v12, vcc
	v_cndmask_b32_e32 v10, v10, v11, vcc
	v_lshlrev_b32_e32 v11, 24, v3
	v_mov_b32_e32 v12, 0x3b800000
	v_lshlrev_b32_e32 v6, 20, v6
	v_and_b32_e32 v11, 0x80000000, v11
	v_lshl_add_u32 v10, v10, 23, v12
	v_or3_b32 v6, v11, v10, v6
.LBB12_936:
	s_or_b64 exec, exec, s[6:7]
	s_nop 0
	v_mfma_f32_16x16x4f32 a[0:3], v2, v6, a[0:3]
	v_lshrrev_b32_e32 v6, 8, v7
	s_movk_i32 s4, 0x7f
	v_cmp_gt_i16_sdwa s[6:7], v6, s4 src0_sel:BYTE_0 src1_sel:DWORD
	s_mov_b64 s[4:5], 0
                                        ; implicit-def: $sgpr10
	s_and_saveexec_b64 s[8:9], s[6:7]
	s_xor_b64 s[6:7], exec, s[8:9]
	s_cbranch_execnz .LBB12_2985
; %bb.937:
	s_or_saveexec_b64 s[6:7], s[6:7]
	v_mov_b32_e32 v2, s10
	s_xor_b64 exec, exec, s[6:7]
	s_cbranch_execnz .LBB12_2988
.LBB12_938:
	s_or_b64 exec, exec, s[6:7]
	s_and_saveexec_b64 s[6:7], s[4:5]
	s_cbranch_execz .LBB12_940
.LBB12_939:
	v_bfe_u32 v2, v7, 8, 3
	v_ffbh_u32_e32 v11, v2
	v_min_u32_e32 v11, 32, v11
	v_lshrrev_b16_e32 v10, 3, v6
	v_subrev_u32_e32 v12, 28, v11
	v_and_b32_e32 v10, 15, v10
	v_lshlrev_b32_e32 v6, v12, v6
	v_sub_u32_e32 v11, 29, v11
	v_and_b32_e32 v6, 7, v6
	v_cmp_eq_u16_e32 vcc, 0, v10
	v_cndmask_b32_e32 v2, v2, v6, vcc
	v_cndmask_b32_e32 v6, v10, v11, vcc
	v_lshlrev_b32_e32 v10, 16, v7
	v_mov_b32_e32 v11, 0x3b800000
	v_lshlrev_b32_e32 v2, 20, v2
	v_and_b32_e32 v10, 0x80000000, v10
	v_lshl_add_u32 v6, v6, 23, v11
	v_or3_b32 v2, v10, v6, v2
.LBB12_940:
	s_or_b64 exec, exec, s[6:7]
	v_lshrrev_b32_e32 v6, 8, v3
	s_movk_i32 s4, 0x7f
	v_cmp_gt_i16_sdwa s[6:7], v6, s4 src0_sel:BYTE_0 src1_sel:DWORD
	s_mov_b64 s[4:5], 0
                                        ; implicit-def: $sgpr10
	s_and_saveexec_b64 s[8:9], s[6:7]
	s_xor_b64 s[6:7], exec, s[8:9]
	s_cbranch_execnz .LBB12_2989
; %bb.941:
	s_or_saveexec_b64 s[6:7], s[6:7]
	v_mov_b32_e32 v10, s10
	s_xor_b64 exec, exec, s[6:7]
	s_cbranch_execnz .LBB12_2992
.LBB12_942:
	s_or_b64 exec, exec, s[6:7]
	s_and_saveexec_b64 s[6:7], s[4:5]
	s_cbranch_execz .LBB12_944
.LBB12_943:
	v_bfe_u32 v10, v3, 8, 3
	v_ffbh_u32_e32 v12, v10
	v_min_u32_e32 v12, 32, v12
	v_lshrrev_b16_e32 v11, 3, v6
	v_subrev_u32_e32 v13, 28, v12
	v_and_b32_e32 v11, 15, v11
	v_lshlrev_b32_e32 v6, v13, v6
	v_sub_u32_e32 v12, 29, v12
	v_and_b32_e32 v6, 7, v6
	v_cmp_eq_u16_e32 vcc, 0, v11
	v_cndmask_b32_e32 v6, v10, v6, vcc
	v_cndmask_b32_e32 v10, v11, v12, vcc
	v_lshlrev_b32_e32 v11, 16, v3
	v_mov_b32_e32 v12, 0x3b800000
	v_lshlrev_b32_e32 v6, 20, v6
	v_and_b32_e32 v11, 0x80000000, v11
	v_lshl_add_u32 v10, v10, 23, v12
	v_or3_b32 v10, v11, v10, v6
.LBB12_944:
	s_or_b64 exec, exec, s[6:7]
	s_nop 0
	v_mfma_f32_16x16x4f32 a[0:3], v2, v10, a[0:3]
	s_movk_i32 s4, 0xff
	v_and_b32_sdwa v6, v7, s4 dst_sel:DWORD dst_unused:UNUSED_PAD src0_sel:WORD_1 src1_sel:DWORD
	s_movk_i32 s4, 0x7f
	v_cmp_lt_i16_e32 vcc, s4, v6
	s_mov_b64 s[4:5], 0
                                        ; implicit-def: $sgpr10
	s_and_saveexec_b64 s[6:7], vcc
	s_xor_b64 s[6:7], exec, s[6:7]
	s_cbranch_execnz .LBB12_2993
; %bb.945:
	s_or_saveexec_b64 s[6:7], s[6:7]
	v_mov_b32_e32 v2, s10
	s_xor_b64 exec, exec, s[6:7]
	s_cbranch_execnz .LBB12_2996
.LBB12_946:
	s_or_b64 exec, exec, s[6:7]
	s_and_saveexec_b64 s[6:7], s[4:5]
	s_cbranch_execz .LBB12_948
.LBB12_947:
	v_bfe_u32 v2, v7, 16, 3
	v_ffbh_u32_e32 v11, v2
	v_min_u32_e32 v11, 32, v11
	v_lshrrev_b32_e32 v6, 19, v7
	v_subrev_u32_e32 v12, 28, v11
	v_and_b32_e32 v6, 15, v6
	v_lshlrev_b32_sdwa v12, v12, v7 dst_sel:DWORD dst_unused:UNUSED_PAD src0_sel:DWORD src1_sel:WORD_1
	v_bfe_u32 v10, v7, 19, 4
	v_sub_u32_e32 v11, 29, v11
	v_and_b32_e32 v12, 7, v12
	v_cmp_eq_u16_e32 vcc, 0, v6
	v_cndmask_b32_e32 v2, v2, v12, vcc
	v_cndmask_b32_e32 v6, v10, v11, vcc
	v_lshlrev_b32_e32 v10, 8, v7
	v_mov_b32_e32 v11, 0x3b800000
	v_lshlrev_b32_e32 v2, 20, v2
	v_and_b32_e32 v10, 0x80000000, v10
	v_lshl_add_u32 v6, v6, 23, v11
	v_or3_b32 v2, v10, v6, v2
.LBB12_948:
	s_or_b64 exec, exec, s[6:7]
	s_movk_i32 s4, 0xff
	v_and_b32_sdwa v6, v3, s4 dst_sel:DWORD dst_unused:UNUSED_PAD src0_sel:WORD_1 src1_sel:DWORD
	s_movk_i32 s4, 0x7f
	v_cmp_lt_i16_e32 vcc, s4, v6
	s_mov_b64 s[4:5], 0
                                        ; implicit-def: $sgpr10
	s_and_saveexec_b64 s[6:7], vcc
	s_xor_b64 s[6:7], exec, s[6:7]
	s_cbranch_execnz .LBB12_2997
; %bb.949:
	s_or_saveexec_b64 s[6:7], s[6:7]
	v_mov_b32_e32 v10, s10
	s_xor_b64 exec, exec, s[6:7]
	s_cbranch_execnz .LBB12_3000
.LBB12_950:
	s_or_b64 exec, exec, s[6:7]
	s_and_saveexec_b64 s[6:7], s[4:5]
	s_cbranch_execz .LBB12_952
.LBB12_951:
	v_bfe_u32 v6, v3, 16, 3
	v_ffbh_u32_e32 v12, v6
	v_min_u32_e32 v12, 32, v12
	v_lshrrev_b32_e32 v10, 19, v3
	v_subrev_u32_e32 v13, 28, v12
	v_and_b32_e32 v10, 15, v10
	v_lshlrev_b32_sdwa v13, v13, v3 dst_sel:DWORD dst_unused:UNUSED_PAD src0_sel:DWORD src1_sel:WORD_1
	v_bfe_u32 v11, v3, 19, 4
	v_sub_u32_e32 v12, 29, v12
	v_and_b32_e32 v13, 7, v13
	v_cmp_eq_u16_e32 vcc, 0, v10
	v_cndmask_b32_e32 v6, v6, v13, vcc
	v_cndmask_b32_e32 v10, v11, v12, vcc
	v_lshlrev_b32_e32 v11, 8, v3
	v_mov_b32_e32 v12, 0x3b800000
	v_lshlrev_b32_e32 v6, 20, v6
	v_and_b32_e32 v11, 0x80000000, v11
	v_lshl_add_u32 v10, v10, 23, v12
	v_or3_b32 v10, v11, v10, v6
.LBB12_952:
	s_or_b64 exec, exec, s[6:7]
	s_nop 0
	v_mfma_f32_16x16x4f32 a[0:3], v2, v10, a[0:3]
	s_movk_i32 s4, 0x7f
	v_cmp_gt_i16_sdwa s[6:7], v7, s4 src0_sel:BYTE_3 src1_sel:DWORD
	s_mov_b64 s[4:5], 0
                                        ; implicit-def: $sgpr10
	s_and_saveexec_b64 s[8:9], s[6:7]
	s_xor_b64 s[6:7], exec, s[8:9]
	s_cbranch_execnz .LBB12_3001
; %bb.953:
	s_or_saveexec_b64 s[6:7], s[6:7]
	v_mov_b32_e32 v2, s10
	s_xor_b64 exec, exec, s[6:7]
	s_cbranch_execnz .LBB12_3004
.LBB12_954:
	s_or_b64 exec, exec, s[6:7]
	s_and_saveexec_b64 s[6:7], s[4:5]
	s_cbranch_execz .LBB12_956
.LBB12_955:
	v_bfe_u32 v2, v7, 24, 3
	v_ffbh_u32_e32 v12, v2
	v_min_u32_e32 v12, 32, v12
	v_lshrrev_b32_e32 v10, 27, v7
	v_subrev_u32_e32 v13, 28, v12
	v_and_b32_e32 v6, 0x80000000, v7
	v_and_b32_e32 v10, 15, v10
	v_bfe_u32 v11, v7, 27, 4
	v_lshlrev_b32_sdwa v7, v13, v7 dst_sel:DWORD dst_unused:UNUSED_PAD src0_sel:DWORD src1_sel:BYTE_3
	v_sub_u32_e32 v12, 29, v12
	v_and_b32_e32 v7, 7, v7
	v_cmp_eq_u16_e32 vcc, 0, v10
	v_cndmask_b32_e32 v2, v2, v7, vcc
	v_cndmask_b32_e32 v7, v11, v12, vcc
	v_mov_b32_e32 v10, 0x3b800000
	v_lshlrev_b32_e32 v2, 20, v2
	v_lshl_add_u32 v7, v7, 23, v10
	v_or3_b32 v2, v6, v7, v2
.LBB12_956:
	s_or_b64 exec, exec, s[6:7]
	s_movk_i32 s4, 0x7f
	v_cmp_gt_i16_sdwa s[6:7], v3, s4 src0_sel:BYTE_3 src1_sel:DWORD
	s_mov_b64 s[4:5], 0
                                        ; implicit-def: $sgpr10
	s_and_saveexec_b64 s[8:9], s[6:7]
	s_xor_b64 s[6:7], exec, s[8:9]
	s_cbranch_execnz .LBB12_3005
; %bb.957:
	s_or_saveexec_b64 s[6:7], s[6:7]
	v_mov_b32_e32 v6, s10
	s_xor_b64 exec, exec, s[6:7]
	s_cbranch_execnz .LBB12_3008
.LBB12_958:
	s_or_b64 exec, exec, s[6:7]
	s_and_saveexec_b64 s[6:7], s[4:5]
	s_cbranch_execz .LBB12_960
.LBB12_959:
	v_bfe_u32 v6, v3, 24, 3
	v_ffbh_u32_e32 v12, v6
	v_min_u32_e32 v12, 32, v12
	v_lshrrev_b32_e32 v10, 27, v3
	v_subrev_u32_e32 v13, 28, v12
	v_and_b32_e32 v7, 0x80000000, v3
	v_and_b32_e32 v10, 15, v10
	v_bfe_u32 v11, v3, 27, 4
	v_lshlrev_b32_sdwa v3, v13, v3 dst_sel:DWORD dst_unused:UNUSED_PAD src0_sel:DWORD src1_sel:BYTE_3
	v_sub_u32_e32 v12, 29, v12
	v_and_b32_e32 v3, 7, v3
	v_cmp_eq_u16_e32 vcc, 0, v10
	v_cndmask_b32_e32 v3, v6, v3, vcc
	v_cndmask_b32_e32 v6, v11, v12, vcc
	v_mov_b32_e32 v10, 0x3b800000
	v_lshlrev_b32_e32 v3, 20, v3
	v_lshl_add_u32 v6, v6, 23, v10
	v_or3_b32 v6, v7, v6, v3
.LBB12_960:
	s_or_b64 exec, exec, s[6:7]
	s_nop 0
	v_mfma_f32_16x16x4f32 a[0:3], v2, v6, a[0:3]
	s_movk_i32 s4, 0x7f
	v_cmp_gt_i16_sdwa s[6:7], v8, s4 src0_sel:BYTE_0 src1_sel:DWORD
	s_mov_b64 s[4:5], 0
                                        ; implicit-def: $sgpr10
	s_and_saveexec_b64 s[8:9], s[6:7]
	s_xor_b64 s[6:7], exec, s[8:9]
	s_cbranch_execnz .LBB12_3009
; %bb.961:
	s_or_saveexec_b64 s[6:7], s[6:7]
	v_mov_b32_e32 v2, s10
	s_xor_b64 exec, exec, s[6:7]
	s_cbranch_execnz .LBB12_3012
.LBB12_962:
	s_or_b64 exec, exec, s[6:7]
	s_and_saveexec_b64 s[6:7], s[4:5]
	s_cbranch_execz .LBB12_964
.LBB12_963:
	v_and_b32_e32 v2, 7, v8
	v_ffbh_u32_e32 v6, v2
	v_min_u32_e32 v6, 32, v6
	v_lshrrev_b16_e32 v3, 3, v8
	v_subrev_u32_e32 v7, 28, v6
	v_and_b32_e32 v3, 15, v3
	v_lshlrev_b32_e32 v7, v7, v8
	v_sub_u32_e32 v6, 29, v6
	v_and_b32_e32 v7, 7, v7
	v_cmp_eq_u16_e32 vcc, 0, v3
	v_cndmask_b32_e32 v2, v2, v7, vcc
	v_cndmask_b32_e32 v3, v3, v6, vcc
	v_lshlrev_b32_e32 v6, 24, v8
	v_mov_b32_e32 v7, 0x3b800000
	v_lshlrev_b32_e32 v2, 20, v2
	v_and_b32_e32 v6, 0x80000000, v6
	v_lshl_add_u32 v3, v3, 23, v7
	v_or3_b32 v2, v6, v3, v2
.LBB12_964:
	s_or_b64 exec, exec, s[6:7]
	s_movk_i32 s4, 0x7f
	v_cmp_gt_i16_sdwa s[6:7], v4, s4 src0_sel:BYTE_0 src1_sel:DWORD
	s_mov_b64 s[4:5], 0
                                        ; implicit-def: $sgpr10
	s_and_saveexec_b64 s[8:9], s[6:7]
	s_xor_b64 s[6:7], exec, s[8:9]
	s_cbranch_execnz .LBB12_3013
; %bb.965:
	s_or_saveexec_b64 s[6:7], s[6:7]
	v_mov_b32_e32 v3, s10
	s_xor_b64 exec, exec, s[6:7]
	s_cbranch_execnz .LBB12_3016
.LBB12_966:
	s_or_b64 exec, exec, s[6:7]
	s_and_saveexec_b64 s[6:7], s[4:5]
	s_cbranch_execz .LBB12_968
.LBB12_967:
	v_and_b32_e32 v3, 7, v4
	v_ffbh_u32_e32 v7, v3
	v_min_u32_e32 v7, 32, v7
	v_lshrrev_b16_e32 v6, 3, v4
	v_subrev_u32_e32 v10, 28, v7
	v_and_b32_e32 v6, 15, v6
	v_lshlrev_b32_e32 v10, v10, v4
	v_sub_u32_e32 v7, 29, v7
	v_and_b32_e32 v10, 7, v10
	v_cmp_eq_u16_e32 vcc, 0, v6
	v_cndmask_b32_e32 v3, v3, v10, vcc
	v_cndmask_b32_e32 v6, v6, v7, vcc
	v_lshlrev_b32_e32 v7, 24, v4
	v_mov_b32_e32 v10, 0x3b800000
	v_lshlrev_b32_e32 v3, 20, v3
	v_and_b32_e32 v7, 0x80000000, v7
	v_lshl_add_u32 v6, v6, 23, v10
	v_or3_b32 v3, v7, v6, v3
.LBB12_968:
	s_or_b64 exec, exec, s[6:7]
	s_nop 0
	v_mfma_f32_16x16x4f32 a[0:3], v2, v3, a[0:3]
	v_lshrrev_b32_e32 v3, 8, v8
	s_movk_i32 s4, 0x7f
	v_cmp_gt_i16_sdwa s[6:7], v3, s4 src0_sel:BYTE_0 src1_sel:DWORD
	s_mov_b64 s[4:5], 0
                                        ; implicit-def: $sgpr10
	s_and_saveexec_b64 s[8:9], s[6:7]
	s_xor_b64 s[6:7], exec, s[8:9]
	s_cbranch_execnz .LBB12_3017
; %bb.969:
	s_or_saveexec_b64 s[6:7], s[6:7]
	v_mov_b32_e32 v2, s10
	s_xor_b64 exec, exec, s[6:7]
	s_cbranch_execnz .LBB12_3020
.LBB12_970:
	s_or_b64 exec, exec, s[6:7]
	s_and_saveexec_b64 s[6:7], s[4:5]
	s_cbranch_execz .LBB12_972
.LBB12_971:
	v_bfe_u32 v2, v8, 8, 3
	v_ffbh_u32_e32 v7, v2
	v_min_u32_e32 v7, 32, v7
	v_lshrrev_b16_e32 v6, 3, v3
	v_subrev_u32_e32 v10, 28, v7
	v_and_b32_e32 v6, 15, v6
	v_lshlrev_b32_e32 v3, v10, v3
	v_sub_u32_e32 v7, 29, v7
	v_and_b32_e32 v3, 7, v3
	v_cmp_eq_u16_e32 vcc, 0, v6
	v_cndmask_b32_e32 v2, v2, v3, vcc
	v_cndmask_b32_e32 v3, v6, v7, vcc
	v_lshlrev_b32_e32 v6, 16, v8
	v_mov_b32_e32 v7, 0x3b800000
	v_lshlrev_b32_e32 v2, 20, v2
	v_and_b32_e32 v6, 0x80000000, v6
	v_lshl_add_u32 v3, v3, 23, v7
	v_or3_b32 v2, v6, v3, v2
.LBB12_972:
	s_or_b64 exec, exec, s[6:7]
	v_lshrrev_b32_e32 v3, 8, v4
	s_movk_i32 s4, 0x7f
	v_cmp_gt_i16_sdwa s[6:7], v3, s4 src0_sel:BYTE_0 src1_sel:DWORD
	s_mov_b64 s[4:5], 0
                                        ; implicit-def: $sgpr10
	s_and_saveexec_b64 s[8:9], s[6:7]
	s_xor_b64 s[6:7], exec, s[8:9]
	s_cbranch_execnz .LBB12_3021
; %bb.973:
	s_or_saveexec_b64 s[6:7], s[6:7]
	v_mov_b32_e32 v6, s10
	s_xor_b64 exec, exec, s[6:7]
	s_cbranch_execnz .LBB12_3024
.LBB12_974:
	s_or_b64 exec, exec, s[6:7]
	s_and_saveexec_b64 s[6:7], s[4:5]
	s_cbranch_execz .LBB12_976
.LBB12_975:
	v_bfe_u32 v6, v4, 8, 3
	v_ffbh_u32_e32 v10, v6
	v_min_u32_e32 v10, 32, v10
	v_lshrrev_b16_e32 v7, 3, v3
	v_subrev_u32_e32 v11, 28, v10
	v_and_b32_e32 v7, 15, v7
	v_lshlrev_b32_e32 v3, v11, v3
	v_sub_u32_e32 v10, 29, v10
	v_and_b32_e32 v3, 7, v3
	v_cmp_eq_u16_e32 vcc, 0, v7
	v_cndmask_b32_e32 v3, v6, v3, vcc
	v_cndmask_b32_e32 v6, v7, v10, vcc
	v_lshlrev_b32_e32 v7, 16, v4
	v_mov_b32_e32 v10, 0x3b800000
	v_lshlrev_b32_e32 v3, 20, v3
	v_and_b32_e32 v7, 0x80000000, v7
	v_lshl_add_u32 v6, v6, 23, v10
	v_or3_b32 v6, v7, v6, v3
.LBB12_976:
	s_or_b64 exec, exec, s[6:7]
	s_nop 0
	v_mfma_f32_16x16x4f32 a[0:3], v2, v6, a[0:3]
	s_movk_i32 s4, 0xff
	v_and_b32_sdwa v3, v8, s4 dst_sel:DWORD dst_unused:UNUSED_PAD src0_sel:WORD_1 src1_sel:DWORD
	s_movk_i32 s4, 0x7f
	v_cmp_lt_i16_e32 vcc, s4, v3
	s_mov_b64 s[4:5], 0
                                        ; implicit-def: $sgpr10
	s_and_saveexec_b64 s[6:7], vcc
	s_xor_b64 s[6:7], exec, s[6:7]
	s_cbranch_execnz .LBB12_3025
; %bb.977:
	s_or_saveexec_b64 s[6:7], s[6:7]
	v_mov_b32_e32 v2, s10
	s_xor_b64 exec, exec, s[6:7]
	s_cbranch_execnz .LBB12_3028
.LBB12_978:
	s_or_b64 exec, exec, s[6:7]
	s_and_saveexec_b64 s[6:7], s[4:5]
	s_cbranch_execz .LBB12_980
.LBB12_979:
	v_bfe_u32 v2, v8, 16, 3
	v_ffbh_u32_e32 v7, v2
	v_min_u32_e32 v7, 32, v7
	v_lshrrev_b32_e32 v3, 19, v8
	v_subrev_u32_e32 v10, 28, v7
	v_and_b32_e32 v3, 15, v3
	v_lshlrev_b32_sdwa v10, v10, v8 dst_sel:DWORD dst_unused:UNUSED_PAD src0_sel:DWORD src1_sel:WORD_1
	v_bfe_u32 v6, v8, 19, 4
	v_sub_u32_e32 v7, 29, v7
	v_and_b32_e32 v10, 7, v10
	v_cmp_eq_u16_e32 vcc, 0, v3
	v_cndmask_b32_e32 v2, v2, v10, vcc
	v_cndmask_b32_e32 v3, v6, v7, vcc
	v_lshlrev_b32_e32 v6, 8, v8
	v_mov_b32_e32 v7, 0x3b800000
	v_lshlrev_b32_e32 v2, 20, v2
	v_and_b32_e32 v6, 0x80000000, v6
	v_lshl_add_u32 v3, v3, 23, v7
	v_or3_b32 v2, v6, v3, v2
.LBB12_980:
	s_or_b64 exec, exec, s[6:7]
	s_movk_i32 s4, 0xff
	v_and_b32_sdwa v3, v4, s4 dst_sel:DWORD dst_unused:UNUSED_PAD src0_sel:WORD_1 src1_sel:DWORD
	s_movk_i32 s4, 0x7f
	v_cmp_lt_i16_e32 vcc, s4, v3
	s_mov_b64 s[4:5], 0
                                        ; implicit-def: $sgpr10
	s_and_saveexec_b64 s[6:7], vcc
	s_xor_b64 s[6:7], exec, s[6:7]
	s_cbranch_execnz .LBB12_3029
; %bb.981:
	s_or_saveexec_b64 s[6:7], s[6:7]
	v_mov_b32_e32 v6, s10
	s_xor_b64 exec, exec, s[6:7]
	s_cbranch_execnz .LBB12_3032
.LBB12_982:
	s_or_b64 exec, exec, s[6:7]
	s_and_saveexec_b64 s[6:7], s[4:5]
	s_cbranch_execz .LBB12_984
.LBB12_983:
	v_bfe_u32 v3, v4, 16, 3
	v_ffbh_u32_e32 v10, v3
	v_min_u32_e32 v10, 32, v10
	v_lshrrev_b32_e32 v6, 19, v4
	v_subrev_u32_e32 v11, 28, v10
	v_and_b32_e32 v6, 15, v6
	v_lshlrev_b32_sdwa v11, v11, v4 dst_sel:DWORD dst_unused:UNUSED_PAD src0_sel:DWORD src1_sel:WORD_1
	v_bfe_u32 v7, v4, 19, 4
	v_sub_u32_e32 v10, 29, v10
	v_and_b32_e32 v11, 7, v11
	v_cmp_eq_u16_e32 vcc, 0, v6
	v_cndmask_b32_e32 v3, v3, v11, vcc
	v_cndmask_b32_e32 v6, v7, v10, vcc
	v_lshlrev_b32_e32 v7, 8, v4
	v_mov_b32_e32 v10, 0x3b800000
	v_lshlrev_b32_e32 v3, 20, v3
	v_and_b32_e32 v7, 0x80000000, v7
	v_lshl_add_u32 v6, v6, 23, v10
	v_or3_b32 v6, v7, v6, v3
.LBB12_984:
	s_or_b64 exec, exec, s[6:7]
	s_nop 0
	v_mfma_f32_16x16x4f32 a[0:3], v2, v6, a[0:3]
	s_movk_i32 s4, 0x7f
	v_cmp_gt_i16_sdwa s[6:7], v8, s4 src0_sel:BYTE_3 src1_sel:DWORD
	s_mov_b64 s[4:5], 0
                                        ; implicit-def: $sgpr10
	s_and_saveexec_b64 s[8:9], s[6:7]
	s_xor_b64 s[6:7], exec, s[8:9]
	s_cbranch_execnz .LBB12_3033
; %bb.985:
	s_or_saveexec_b64 s[6:7], s[6:7]
	v_mov_b32_e32 v2, s10
	s_xor_b64 exec, exec, s[6:7]
	s_cbranch_execnz .LBB12_3036
.LBB12_986:
	s_or_b64 exec, exec, s[6:7]
	s_and_saveexec_b64 s[6:7], s[4:5]
	s_cbranch_execz .LBB12_988
.LBB12_987:
	v_bfe_u32 v2, v8, 24, 3
	v_ffbh_u32_e32 v10, v2
	v_min_u32_e32 v10, 32, v10
	v_lshrrev_b32_e32 v6, 27, v8
	v_subrev_u32_e32 v11, 28, v10
	v_and_b32_e32 v3, 0x80000000, v8
	v_and_b32_e32 v6, 15, v6
	v_bfe_u32 v7, v8, 27, 4
	v_lshlrev_b32_sdwa v8, v11, v8 dst_sel:DWORD dst_unused:UNUSED_PAD src0_sel:DWORD src1_sel:BYTE_3
	v_sub_u32_e32 v10, 29, v10
	v_and_b32_e32 v8, 7, v8
	v_cmp_eq_u16_e32 vcc, 0, v6
	v_cndmask_b32_e32 v2, v2, v8, vcc
	v_cndmask_b32_e32 v6, v7, v10, vcc
	v_mov_b32_e32 v7, 0x3b800000
	v_lshlrev_b32_e32 v2, 20, v2
	v_lshl_add_u32 v6, v6, 23, v7
	v_or3_b32 v2, v3, v6, v2
.LBB12_988:
	s_or_b64 exec, exec, s[6:7]
	s_movk_i32 s4, 0x7f
	v_cmp_gt_i16_sdwa s[6:7], v4, s4 src0_sel:BYTE_3 src1_sel:DWORD
	s_mov_b64 s[4:5], 0
                                        ; implicit-def: $sgpr10
	s_and_saveexec_b64 s[8:9], s[6:7]
	s_xor_b64 s[6:7], exec, s[8:9]
	s_cbranch_execnz .LBB12_3037
; %bb.989:
	s_or_saveexec_b64 s[6:7], s[6:7]
	v_mov_b32_e32 v3, s10
	s_xor_b64 exec, exec, s[6:7]
	s_cbranch_execnz .LBB12_3040
.LBB12_990:
	s_or_b64 exec, exec, s[6:7]
	s_and_saveexec_b64 s[6:7], s[4:5]
	s_cbranch_execz .LBB12_992
.LBB12_991:
	v_bfe_u32 v3, v4, 24, 3
	v_ffbh_u32_e32 v10, v3
	v_min_u32_e32 v10, 32, v10
	v_lshrrev_b32_e32 v7, 27, v4
	v_subrev_u32_e32 v11, 28, v10
	v_and_b32_e32 v6, 0x80000000, v4
	v_and_b32_e32 v7, 15, v7
	v_bfe_u32 v8, v4, 27, 4
	v_lshlrev_b32_sdwa v4, v11, v4 dst_sel:DWORD dst_unused:UNUSED_PAD src0_sel:DWORD src1_sel:BYTE_3
	v_sub_u32_e32 v10, 29, v10
	v_and_b32_e32 v4, 7, v4
	v_cmp_eq_u16_e32 vcc, 0, v7
	v_cndmask_b32_e32 v3, v3, v4, vcc
	v_cndmask_b32_e32 v4, v8, v10, vcc
	v_mov_b32_e32 v7, 0x3b800000
	v_lshlrev_b32_e32 v3, 20, v3
	v_lshl_add_u32 v4, v4, 23, v7
	v_or3_b32 v3, v6, v4, v3
.LBB12_992:
	s_or_b64 exec, exec, s[6:7]
	s_nop 0
	v_mfma_f32_16x16x4f32 a[0:3], v2, v3, a[0:3]
	s_movk_i32 s4, 0x7f
	v_cmp_gt_i16_sdwa s[6:7], v9, s4 src0_sel:BYTE_0 src1_sel:DWORD
	s_mov_b64 s[4:5], 0
                                        ; implicit-def: $sgpr10
	s_and_saveexec_b64 s[8:9], s[6:7]
	s_xor_b64 s[6:7], exec, s[8:9]
	s_cbranch_execnz .LBB12_3041
; %bb.993:
	s_or_saveexec_b64 s[6:7], s[6:7]
	v_mov_b32_e32 v2, s10
	s_xor_b64 exec, exec, s[6:7]
	s_cbranch_execnz .LBB12_3044
.LBB12_994:
	s_or_b64 exec, exec, s[6:7]
	s_and_saveexec_b64 s[6:7], s[4:5]
	s_cbranch_execz .LBB12_996
.LBB12_995:
	v_mov_b32_e32 v2, 8
	v_and_b32_e32 v3, 7, v9
	v_lshrrev_b32_sdwa v2, v2, v9 dst_sel:BYTE_1 dst_unused:UNUSED_PAD src0_sel:DWORD src1_sel:DWORD
	v_ffbh_u32_e32 v4, v3
	v_or_b32_sdwa v2, v9, v2 dst_sel:DWORD dst_unused:UNUSED_PAD src0_sel:BYTE_0 src1_sel:DWORD
	v_min_u32_e32 v4, 32, v4
	v_lshrrev_b16_e32 v2, 3, v2
	v_subrev_u32_e32 v6, 28, v4
	v_and_b32_e32 v2, 15, v2
	v_lshlrev_b32_e32 v6, v6, v9
	v_sub_u32_e32 v4, 29, v4
	v_and_b32_e32 v6, 7, v6
	v_cmp_eq_u16_e32 vcc, 0, v2
	v_cndmask_b32_e32 v3, v3, v6, vcc
	v_cndmask_b32_e32 v2, v2, v4, vcc
	v_lshlrev_b32_e32 v4, 24, v9
	v_mov_b32_e32 v6, 0x3b800000
	v_lshlrev_b32_e32 v3, 20, v3
	v_and_b32_e32 v4, 0x80000000, v4
	v_lshl_add_u32 v2, v2, 23, v6
	v_or3_b32 v2, v4, v2, v3
.LBB12_996:
	s_or_b64 exec, exec, s[6:7]
	s_movk_i32 s4, 0x7f
	v_cmp_gt_i16_sdwa s[6:7], v5, s4 src0_sel:BYTE_0 src1_sel:DWORD
	s_mov_b64 s[4:5], 0
                                        ; implicit-def: $sgpr10
	s_and_saveexec_b64 s[8:9], s[6:7]
	s_xor_b64 s[6:7], exec, s[8:9]
	s_cbranch_execnz .LBB12_3045
; %bb.997:
	s_or_saveexec_b64 s[6:7], s[6:7]
	v_mov_b32_e32 v3, s10
	s_xor_b64 exec, exec, s[6:7]
	s_cbranch_execnz .LBB12_3048
.LBB12_998:
	s_or_b64 exec, exec, s[6:7]
	s_and_saveexec_b64 s[6:7], s[4:5]
	s_cbranch_execz .LBB12_1000
.LBB12_999:
	v_mov_b32_e32 v3, 8
	v_and_b32_e32 v4, 7, v5
	v_lshrrev_b32_sdwa v3, v3, v5 dst_sel:BYTE_1 dst_unused:UNUSED_PAD src0_sel:DWORD src1_sel:DWORD
	v_ffbh_u32_e32 v6, v4
	v_or_b32_sdwa v3, v5, v3 dst_sel:DWORD dst_unused:UNUSED_PAD src0_sel:BYTE_0 src1_sel:DWORD
	v_min_u32_e32 v6, 32, v6
	v_lshrrev_b16_e32 v3, 3, v3
	v_subrev_u32_e32 v7, 28, v6
	v_and_b32_e32 v3, 15, v3
	v_lshlrev_b32_e32 v7, v7, v5
	v_sub_u32_e32 v6, 29, v6
	v_and_b32_e32 v7, 7, v7
	v_cmp_eq_u16_e32 vcc, 0, v3
	v_cndmask_b32_e32 v4, v4, v7, vcc
	v_cndmask_b32_e32 v3, v3, v6, vcc
	v_lshlrev_b32_e32 v6, 24, v5
	v_mov_b32_e32 v7, 0x3b800000
	v_lshlrev_b32_e32 v4, 20, v4
	v_and_b32_e32 v6, 0x80000000, v6
	v_lshl_add_u32 v3, v3, 23, v7
	v_or3_b32 v3, v6, v3, v4
.LBB12_1000:
	s_or_b64 exec, exec, s[6:7]
	s_nop 0
	v_mfma_f32_16x16x4f32 a[0:3], v2, v3, a[0:3]
	v_lshrrev_b32_e32 v3, 8, v9
	s_movk_i32 s4, 0x7f
	v_cmp_gt_i16_sdwa s[6:7], v3, s4 src0_sel:BYTE_0 src1_sel:DWORD
	s_mov_b64 s[4:5], 0
                                        ; implicit-def: $sgpr10
	s_and_saveexec_b64 s[8:9], s[6:7]
	s_xor_b64 s[6:7], exec, s[8:9]
	s_cbranch_execnz .LBB12_3049
; %bb.1001:
	s_or_saveexec_b64 s[6:7], s[6:7]
	v_mov_b32_e32 v2, s10
	s_xor_b64 exec, exec, s[6:7]
	s_cbranch_execnz .LBB12_3052
.LBB12_1002:
	s_or_b64 exec, exec, s[6:7]
	s_and_saveexec_b64 s[6:7], s[4:5]
	s_cbranch_execz .LBB12_1004
.LBB12_1003:
	v_bfe_u32 v2, v9, 8, 3
	v_ffbh_u32_e32 v6, v2
	v_min_u32_e32 v6, 32, v6
	v_lshrrev_b16_e32 v4, 3, v3
	v_subrev_u32_e32 v7, 28, v6
	v_and_b32_e32 v4, 15, v4
	v_lshlrev_b32_e32 v3, v7, v3
	v_sub_u32_e32 v6, 29, v6
	v_and_b32_e32 v3, 7, v3
	v_cmp_eq_u16_e32 vcc, 0, v4
	v_cndmask_b32_e32 v2, v2, v3, vcc
	v_cndmask_b32_e32 v3, v4, v6, vcc
	v_lshlrev_b32_e32 v4, 16, v9
	v_mov_b32_e32 v6, 0x3b800000
	v_lshlrev_b32_e32 v2, 20, v2
	v_and_b32_e32 v4, 0x80000000, v4
	v_lshl_add_u32 v3, v3, 23, v6
	v_or3_b32 v2, v4, v3, v2
.LBB12_1004:
	s_or_b64 exec, exec, s[6:7]
	v_lshrrev_b32_e32 v3, 8, v5
	s_movk_i32 s4, 0x7f
	v_cmp_gt_i16_sdwa s[6:7], v3, s4 src0_sel:BYTE_0 src1_sel:DWORD
	s_mov_b64 s[4:5], 0
                                        ; implicit-def: $sgpr10
	s_and_saveexec_b64 s[8:9], s[6:7]
	s_xor_b64 s[6:7], exec, s[8:9]
	s_cbranch_execnz .LBB12_3053
; %bb.1005:
	s_or_saveexec_b64 s[6:7], s[6:7]
	v_mov_b32_e32 v4, s10
	s_xor_b64 exec, exec, s[6:7]
	s_cbranch_execnz .LBB12_3056
.LBB12_1006:
	s_or_b64 exec, exec, s[6:7]
	s_and_saveexec_b64 s[6:7], s[4:5]
	s_cbranch_execz .LBB12_1008
.LBB12_1007:
	v_bfe_u32 v4, v5, 8, 3
	v_ffbh_u32_e32 v7, v4
	v_min_u32_e32 v7, 32, v7
	v_lshrrev_b16_e32 v6, 3, v3
	v_subrev_u32_e32 v8, 28, v7
	v_and_b32_e32 v6, 15, v6
	v_lshlrev_b32_e32 v3, v8, v3
	v_sub_u32_e32 v7, 29, v7
	v_and_b32_e32 v3, 7, v3
	v_cmp_eq_u16_e32 vcc, 0, v6
	v_cndmask_b32_e32 v3, v4, v3, vcc
	v_cndmask_b32_e32 v4, v6, v7, vcc
	v_lshlrev_b32_e32 v6, 16, v5
	v_mov_b32_e32 v7, 0x3b800000
	v_lshlrev_b32_e32 v3, 20, v3
	v_and_b32_e32 v6, 0x80000000, v6
	v_lshl_add_u32 v4, v4, 23, v7
	v_or3_b32 v4, v6, v4, v3
.LBB12_1008:
	s_or_b64 exec, exec, s[6:7]
	s_nop 0
	v_mfma_f32_16x16x4f32 a[0:3], v2, v4, a[0:3]
	s_movk_i32 s4, 0xff
	v_and_b32_sdwa v3, v9, s4 dst_sel:DWORD dst_unused:UNUSED_PAD src0_sel:WORD_1 src1_sel:DWORD
	s_movk_i32 s4, 0x7f
	v_cmp_lt_i16_e32 vcc, s4, v3
	s_mov_b64 s[4:5], 0
                                        ; implicit-def: $sgpr10
	s_and_saveexec_b64 s[6:7], vcc
	s_xor_b64 s[6:7], exec, s[6:7]
	s_cbranch_execnz .LBB12_3057
; %bb.1009:
	s_or_saveexec_b64 s[6:7], s[6:7]
	v_mov_b32_e32 v2, s10
	s_xor_b64 exec, exec, s[6:7]
	s_cbranch_execnz .LBB12_3060
.LBB12_1010:
	s_or_b64 exec, exec, s[6:7]
	s_and_saveexec_b64 s[6:7], s[4:5]
	s_cbranch_execz .LBB12_1012
.LBB12_1011:
	v_bfe_u32 v2, v9, 16, 3
	v_ffbh_u32_e32 v6, v2
	v_min_u32_e32 v6, 32, v6
	v_lshrrev_b32_e32 v3, 19, v9
	v_subrev_u32_e32 v7, 28, v6
	v_and_b32_e32 v3, 15, v3
	v_lshlrev_b32_sdwa v7, v7, v9 dst_sel:DWORD dst_unused:UNUSED_PAD src0_sel:DWORD src1_sel:WORD_1
	v_bfe_u32 v4, v9, 19, 4
	v_sub_u32_e32 v6, 29, v6
	v_and_b32_e32 v7, 7, v7
	v_cmp_eq_u16_e32 vcc, 0, v3
	v_cndmask_b32_e32 v2, v2, v7, vcc
	v_cndmask_b32_e32 v3, v4, v6, vcc
	v_lshlrev_b32_e32 v4, 8, v9
	v_mov_b32_e32 v6, 0x3b800000
	v_lshlrev_b32_e32 v2, 20, v2
	v_and_b32_e32 v4, 0x80000000, v4
	v_lshl_add_u32 v3, v3, 23, v6
	v_or3_b32 v2, v4, v3, v2
.LBB12_1012:
	s_or_b64 exec, exec, s[6:7]
	s_movk_i32 s4, 0xff
	v_and_b32_sdwa v3, v5, s4 dst_sel:DWORD dst_unused:UNUSED_PAD src0_sel:WORD_1 src1_sel:DWORD
	s_movk_i32 s4, 0x7f
	v_cmp_lt_i16_e32 vcc, s4, v3
	s_mov_b64 s[4:5], 0
                                        ; implicit-def: $sgpr10
	s_and_saveexec_b64 s[6:7], vcc
	s_xor_b64 s[6:7], exec, s[6:7]
	s_cbranch_execnz .LBB12_3061
; %bb.1013:
	s_or_saveexec_b64 s[6:7], s[6:7]
	v_mov_b32_e32 v4, s10
	s_xor_b64 exec, exec, s[6:7]
	s_cbranch_execnz .LBB12_3064
.LBB12_1014:
	s_or_b64 exec, exec, s[6:7]
	s_and_saveexec_b64 s[6:7], s[4:5]
	s_cbranch_execz .LBB12_1016
.LBB12_1015:
	v_bfe_u32 v3, v5, 16, 3
	v_ffbh_u32_e32 v7, v3
	v_min_u32_e32 v7, 32, v7
	v_lshrrev_b32_e32 v4, 19, v5
	v_subrev_u32_e32 v8, 28, v7
	v_and_b32_e32 v4, 15, v4
	v_lshlrev_b32_sdwa v8, v8, v5 dst_sel:DWORD dst_unused:UNUSED_PAD src0_sel:DWORD src1_sel:WORD_1
	v_bfe_u32 v6, v5, 19, 4
	v_sub_u32_e32 v7, 29, v7
	v_and_b32_e32 v8, 7, v8
	v_cmp_eq_u16_e32 vcc, 0, v4
	v_cndmask_b32_e32 v3, v3, v8, vcc
	v_cndmask_b32_e32 v4, v6, v7, vcc
	v_lshlrev_b32_e32 v6, 8, v5
	v_mov_b32_e32 v7, 0x3b800000
	v_lshlrev_b32_e32 v3, 20, v3
	v_and_b32_e32 v6, 0x80000000, v6
	v_lshl_add_u32 v4, v4, 23, v7
	v_or3_b32 v4, v6, v4, v3
.LBB12_1016:
	s_or_b64 exec, exec, s[6:7]
	s_nop 0
	v_mfma_f32_16x16x4f32 a[0:3], v2, v4, a[0:3]
	s_movk_i32 s4, 0x7f
	v_cmp_gt_i16_sdwa s[6:7], v9, s4 src0_sel:BYTE_3 src1_sel:DWORD
	s_mov_b64 s[4:5], 0
                                        ; implicit-def: $sgpr10
	s_and_saveexec_b64 s[8:9], s[6:7]
	s_xor_b64 s[6:7], exec, s[8:9]
	s_cbranch_execnz .LBB12_3065
; %bb.1017:
	s_or_saveexec_b64 s[6:7], s[6:7]
	v_mov_b32_e32 v2, s10
	s_xor_b64 exec, exec, s[6:7]
	s_cbranch_execnz .LBB12_3068
.LBB12_1018:
	s_or_b64 exec, exec, s[6:7]
	s_and_saveexec_b64 s[6:7], s[4:5]
	s_cbranch_execz .LBB12_1020
.LBB12_1019:
	v_bfe_u32 v2, v9, 24, 3
	v_ffbh_u32_e32 v7, v2
	v_min_u32_e32 v7, 32, v7
	v_lshrrev_b32_e32 v4, 27, v9
	v_subrev_u32_e32 v8, 28, v7
	v_and_b32_e32 v4, 15, v4
	v_lshlrev_b32_sdwa v8, v8, v9 dst_sel:DWORD dst_unused:UNUSED_PAD src0_sel:DWORD src1_sel:BYTE_3
	v_bfe_u32 v6, v9, 27, 4
	v_sub_u32_e32 v7, 29, v7
	v_and_b32_e32 v8, 7, v8
	v_cmp_eq_u16_e32 vcc, 0, v4
	v_cndmask_b32_e32 v2, v2, v8, vcc
	v_cndmask_b32_e32 v4, v6, v7, vcc
	v_mov_b32_e32 v6, 0x3b800000
	v_and_b32_e32 v3, 0x80000000, v9
	v_lshlrev_b32_e32 v2, 20, v2
	v_lshl_add_u32 v4, v4, 23, v6
	v_or3_b32 v2, v3, v4, v2
.LBB12_1020:
	s_or_b64 exec, exec, s[6:7]
	s_movk_i32 s4, 0x7f
	v_cmp_gt_i16_sdwa s[6:7], v5, s4 src0_sel:BYTE_3 src1_sel:DWORD
	s_mov_b64 s[4:5], 0
                                        ; implicit-def: $sgpr10
	s_and_saveexec_b64 s[8:9], s[6:7]
	s_xor_b64 s[6:7], exec, s[8:9]
	s_cbranch_execnz .LBB12_3069
; %bb.1021:
	s_or_saveexec_b64 s[6:7], s[6:7]
	v_mov_b32_e32 v3, s10
	s_xor_b64 exec, exec, s[6:7]
	s_cbranch_execnz .LBB12_3072
.LBB12_1022:
	s_or_b64 exec, exec, s[6:7]
	s_and_saveexec_b64 s[6:7], s[4:5]
	s_cbranch_execz .LBB12_1024
.LBB12_1023:
	v_bfe_u32 v3, v5, 24, 3
	v_ffbh_u32_e32 v8, v3
	v_min_u32_e32 v8, 32, v8
	v_lshrrev_b32_e32 v6, 27, v5
	v_subrev_u32_e32 v9, 28, v8
	v_and_b32_e32 v4, 0x80000000, v5
	v_and_b32_e32 v6, 15, v6
	v_bfe_u32 v7, v5, 27, 4
	v_lshlrev_b32_sdwa v5, v9, v5 dst_sel:DWORD dst_unused:UNUSED_PAD src0_sel:DWORD src1_sel:BYTE_3
	v_sub_u32_e32 v8, 29, v8
	v_and_b32_e32 v5, 7, v5
	v_cmp_eq_u16_e32 vcc, 0, v6
	v_cndmask_b32_e32 v3, v3, v5, vcc
	v_cndmask_b32_e32 v5, v7, v8, vcc
	v_mov_b32_e32 v6, 0x3b800000
	v_lshlrev_b32_e32 v3, 20, v3
	v_lshl_add_u32 v5, v5, 23, v6
	v_or3_b32 v3, v4, v5, v3
.LBB12_1024:
	s_or_b64 exec, exec, s[6:7]
	s_nop 0
	v_mfma_f32_16x16x4f32 a[0:3], v2, v3, a[0:3]
	s_movk_i32 s4, 0x7f
                                        ; implicit-def: $sgpr10
	s_nop 7
	s_nop 1
	flat_store_dwordx4 v[18:19], a[0:3] offset:304
	flat_load_dwordx4 v[20:23], v[0:1] offset:16
	s_nop 0
	flat_load_dwordx2 v[18:19], v[0:1] offset:32
	s_waitcnt vmcnt(0) lgkmcnt(0)
	flat_load_dwordx4 v[14:17], v[20:21]
	flat_load_dwordx4 v[6:9], v[20:21] offset:16
	flat_load_dwordx4 v[10:13], v[22:23] offset:384
	;; [unrolled: 1-line block ×3, first 2 shown]
	s_waitcnt vmcnt(0) lgkmcnt(0)
	v_cmp_gt_i16_sdwa s[6:7], v14, s4 src0_sel:BYTE_0 src1_sel:DWORD
	s_mov_b64 s[4:5], 0
	s_and_saveexec_b64 s[8:9], s[6:7]
	s_xor_b64 s[6:7], exec, s[8:9]
	s_cbranch_execnz .LBB12_3073
; %bb.1025:
	s_or_saveexec_b64 s[6:7], s[6:7]
	v_mov_b32_e32 v20, s10
	s_xor_b64 exec, exec, s[6:7]
	s_cbranch_execnz .LBB12_3076
.LBB12_1026:
	s_or_b64 exec, exec, s[6:7]
	s_and_saveexec_b64 s[6:7], s[4:5]
	s_cbranch_execz .LBB12_1028
.LBB12_1027:
	v_and_b32_e32 v20, 7, v14
	v_ffbh_u32_e32 v22, v20
	v_min_u32_e32 v22, 32, v22
	v_lshrrev_b16_e32 v21, 3, v14
	v_subrev_u32_e32 v23, 28, v22
	v_and_b32_e32 v21, 15, v21
	v_lshlrev_b32_e32 v23, v23, v14
	v_sub_u32_e32 v22, 29, v22
	v_and_b32_e32 v23, 7, v23
	v_cmp_eq_u16_e32 vcc, 0, v21
	v_cndmask_b32_e32 v20, v20, v23, vcc
	v_cndmask_b32_e32 v21, v21, v22, vcc
	v_lshlrev_b32_e32 v22, 24, v14
	v_mov_b32_e32 v23, 0x3b800000
	v_lshlrev_b32_e32 v20, 20, v20
	v_and_b32_e32 v22, 0x80000000, v22
	v_lshl_add_u32 v21, v21, 23, v23
	v_or3_b32 v20, v22, v21, v20
.LBB12_1028:
	s_or_b64 exec, exec, s[6:7]
	s_movk_i32 s4, 0x7f
	v_cmp_gt_i16_sdwa s[6:7], v10, s4 src0_sel:BYTE_0 src1_sel:DWORD
	s_mov_b64 s[4:5], 0
                                        ; implicit-def: $sgpr10
	s_and_saveexec_b64 s[8:9], s[6:7]
	s_xor_b64 s[6:7], exec, s[8:9]
	s_cbranch_execnz .LBB12_3077
; %bb.1029:
	s_or_saveexec_b64 s[6:7], s[6:7]
	v_mov_b32_e32 v21, s10
	s_xor_b64 exec, exec, s[6:7]
	s_cbranch_execnz .LBB12_3080
.LBB12_1030:
	s_or_b64 exec, exec, s[6:7]
	s_and_saveexec_b64 s[6:7], s[4:5]
	s_cbranch_execz .LBB12_1032
.LBB12_1031:
	v_and_b32_e32 v21, 7, v10
	v_ffbh_u32_e32 v23, v21
	v_min_u32_e32 v23, 32, v23
	v_lshrrev_b16_e32 v22, 3, v10
	v_subrev_u32_e32 v24, 28, v23
	v_and_b32_e32 v22, 15, v22
	v_lshlrev_b32_e32 v24, v24, v10
	v_sub_u32_e32 v23, 29, v23
	v_and_b32_e32 v24, 7, v24
	v_cmp_eq_u16_e32 vcc, 0, v22
	v_cndmask_b32_e32 v21, v21, v24, vcc
	v_cndmask_b32_e32 v22, v22, v23, vcc
	v_lshlrev_b32_e32 v23, 24, v10
	v_mov_b32_e32 v24, 0x3b800000
	v_lshlrev_b32_e32 v21, 20, v21
	v_and_b32_e32 v23, 0x80000000, v23
	v_lshl_add_u32 v22, v22, 23, v24
	v_or3_b32 v21, v23, v22, v21
.LBB12_1032:
	s_or_b64 exec, exec, s[6:7]
	flat_load_dwordx4 a[0:3], v[18:19] offset:320
	s_movk_i32 s4, 0x7f
                                        ; implicit-def: $sgpr10
	s_waitcnt vmcnt(0) lgkmcnt(0)
	v_mfma_f32_16x16x4f32 a[0:3], v20, v21, a[0:3]
	v_lshrrev_b32_e32 v21, 8, v14
	v_cmp_gt_i16_sdwa s[6:7], v21, s4 src0_sel:BYTE_0 src1_sel:DWORD
	s_mov_b64 s[4:5], 0
	s_and_saveexec_b64 s[8:9], s[6:7]
	s_xor_b64 s[6:7], exec, s[8:9]
	s_cbranch_execnz .LBB12_3081
; %bb.1033:
	s_or_saveexec_b64 s[6:7], s[6:7]
	v_mov_b32_e32 v20, s10
	s_xor_b64 exec, exec, s[6:7]
	s_cbranch_execnz .LBB12_3084
.LBB12_1034:
	s_or_b64 exec, exec, s[6:7]
	s_and_saveexec_b64 s[6:7], s[4:5]
	s_cbranch_execz .LBB12_1036
.LBB12_1035:
	v_bfe_u32 v20, v14, 8, 3
	v_ffbh_u32_e32 v23, v20
	v_min_u32_e32 v23, 32, v23
	v_lshrrev_b16_e32 v22, 3, v21
	v_subrev_u32_e32 v24, 28, v23
	v_and_b32_e32 v22, 15, v22
	v_lshlrev_b32_e32 v21, v24, v21
	v_sub_u32_e32 v23, 29, v23
	v_and_b32_e32 v21, 7, v21
	v_cmp_eq_u16_e32 vcc, 0, v22
	v_cndmask_b32_e32 v20, v20, v21, vcc
	v_cndmask_b32_e32 v21, v22, v23, vcc
	v_lshlrev_b32_e32 v22, 16, v14
	v_mov_b32_e32 v23, 0x3b800000
	v_lshlrev_b32_e32 v20, 20, v20
	v_and_b32_e32 v22, 0x80000000, v22
	v_lshl_add_u32 v21, v21, 23, v23
	v_or3_b32 v20, v22, v21, v20
.LBB12_1036:
	s_or_b64 exec, exec, s[6:7]
	v_lshrrev_b32_e32 v21, 8, v10
	s_movk_i32 s4, 0x7f
	v_cmp_gt_i16_sdwa s[6:7], v21, s4 src0_sel:BYTE_0 src1_sel:DWORD
	s_mov_b64 s[4:5], 0
                                        ; implicit-def: $sgpr10
	s_and_saveexec_b64 s[8:9], s[6:7]
	s_xor_b64 s[6:7], exec, s[8:9]
	s_cbranch_execnz .LBB12_3085
; %bb.1037:
	s_or_saveexec_b64 s[6:7], s[6:7]
	v_mov_b32_e32 v22, s10
	s_xor_b64 exec, exec, s[6:7]
	s_cbranch_execnz .LBB12_3088
.LBB12_1038:
	s_or_b64 exec, exec, s[6:7]
	s_and_saveexec_b64 s[6:7], s[4:5]
	s_cbranch_execz .LBB12_1040
.LBB12_1039:
	v_bfe_u32 v22, v10, 8, 3
	v_ffbh_u32_e32 v24, v22
	v_min_u32_e32 v24, 32, v24
	v_lshrrev_b16_e32 v23, 3, v21
	v_subrev_u32_e32 v25, 28, v24
	v_and_b32_e32 v23, 15, v23
	v_lshlrev_b32_e32 v21, v25, v21
	v_sub_u32_e32 v24, 29, v24
	v_and_b32_e32 v21, 7, v21
	v_cmp_eq_u16_e32 vcc, 0, v23
	v_cndmask_b32_e32 v21, v22, v21, vcc
	v_cndmask_b32_e32 v22, v23, v24, vcc
	v_lshlrev_b32_e32 v23, 16, v10
	v_mov_b32_e32 v24, 0x3b800000
	v_lshlrev_b32_e32 v21, 20, v21
	v_and_b32_e32 v23, 0x80000000, v23
	v_lshl_add_u32 v22, v22, 23, v24
	v_or3_b32 v22, v23, v22, v21
.LBB12_1040:
	s_or_b64 exec, exec, s[6:7]
	s_nop 0
	v_mfma_f32_16x16x4f32 a[0:3], v20, v22, a[0:3]
	s_movk_i32 s4, 0xff
	v_and_b32_sdwa v21, v14, s4 dst_sel:DWORD dst_unused:UNUSED_PAD src0_sel:WORD_1 src1_sel:DWORD
	s_movk_i32 s4, 0x7f
	v_cmp_lt_i16_e32 vcc, s4, v21
	s_mov_b64 s[4:5], 0
                                        ; implicit-def: $sgpr10
	s_and_saveexec_b64 s[6:7], vcc
	s_xor_b64 s[6:7], exec, s[6:7]
	s_cbranch_execnz .LBB12_3089
; %bb.1041:
	s_or_saveexec_b64 s[6:7], s[6:7]
	v_mov_b32_e32 v20, s10
	s_xor_b64 exec, exec, s[6:7]
	s_cbranch_execnz .LBB12_3092
.LBB12_1042:
	s_or_b64 exec, exec, s[6:7]
	s_and_saveexec_b64 s[6:7], s[4:5]
	s_cbranch_execz .LBB12_1044
.LBB12_1043:
	v_bfe_u32 v20, v14, 16, 3
	v_ffbh_u32_e32 v23, v20
	v_min_u32_e32 v23, 32, v23
	v_lshrrev_b32_e32 v21, 19, v14
	v_subrev_u32_e32 v24, 28, v23
	v_and_b32_e32 v21, 15, v21
	v_lshlrev_b32_sdwa v24, v24, v14 dst_sel:DWORD dst_unused:UNUSED_PAD src0_sel:DWORD src1_sel:WORD_1
	v_bfe_u32 v22, v14, 19, 4
	v_sub_u32_e32 v23, 29, v23
	v_and_b32_e32 v24, 7, v24
	v_cmp_eq_u16_e32 vcc, 0, v21
	v_cndmask_b32_e32 v20, v20, v24, vcc
	v_cndmask_b32_e32 v21, v22, v23, vcc
	v_lshlrev_b32_e32 v22, 8, v14
	v_mov_b32_e32 v23, 0x3b800000
	v_lshlrev_b32_e32 v20, 20, v20
	v_and_b32_e32 v22, 0x80000000, v22
	v_lshl_add_u32 v21, v21, 23, v23
	v_or3_b32 v20, v22, v21, v20
.LBB12_1044:
	s_or_b64 exec, exec, s[6:7]
	s_movk_i32 s4, 0xff
	v_and_b32_sdwa v21, v10, s4 dst_sel:DWORD dst_unused:UNUSED_PAD src0_sel:WORD_1 src1_sel:DWORD
	s_movk_i32 s4, 0x7f
	v_cmp_lt_i16_e32 vcc, s4, v21
	s_mov_b64 s[4:5], 0
                                        ; implicit-def: $sgpr10
	s_and_saveexec_b64 s[6:7], vcc
	s_xor_b64 s[6:7], exec, s[6:7]
	s_cbranch_execnz .LBB12_3093
; %bb.1045:
	s_or_saveexec_b64 s[6:7], s[6:7]
	v_mov_b32_e32 v22, s10
	s_xor_b64 exec, exec, s[6:7]
	s_cbranch_execnz .LBB12_3096
.LBB12_1046:
	s_or_b64 exec, exec, s[6:7]
	s_and_saveexec_b64 s[6:7], s[4:5]
	s_cbranch_execz .LBB12_1048
.LBB12_1047:
	v_bfe_u32 v21, v10, 16, 3
	v_ffbh_u32_e32 v24, v21
	v_min_u32_e32 v24, 32, v24
	v_lshrrev_b32_e32 v22, 19, v10
	v_subrev_u32_e32 v25, 28, v24
	v_and_b32_e32 v22, 15, v22
	v_lshlrev_b32_sdwa v25, v25, v10 dst_sel:DWORD dst_unused:UNUSED_PAD src0_sel:DWORD src1_sel:WORD_1
	v_bfe_u32 v23, v10, 19, 4
	v_sub_u32_e32 v24, 29, v24
	v_and_b32_e32 v25, 7, v25
	v_cmp_eq_u16_e32 vcc, 0, v22
	v_cndmask_b32_e32 v21, v21, v25, vcc
	v_cndmask_b32_e32 v22, v23, v24, vcc
	v_lshlrev_b32_e32 v23, 8, v10
	v_mov_b32_e32 v24, 0x3b800000
	v_lshlrev_b32_e32 v21, 20, v21
	v_and_b32_e32 v23, 0x80000000, v23
	v_lshl_add_u32 v22, v22, 23, v24
	v_or3_b32 v22, v23, v22, v21
.LBB12_1048:
	s_or_b64 exec, exec, s[6:7]
	s_nop 0
	v_mfma_f32_16x16x4f32 a[0:3], v20, v22, a[0:3]
	s_movk_i32 s4, 0x7f
	v_cmp_gt_i16_sdwa s[6:7], v14, s4 src0_sel:BYTE_3 src1_sel:DWORD
	s_mov_b64 s[4:5], 0
                                        ; implicit-def: $sgpr10
	s_and_saveexec_b64 s[8:9], s[6:7]
	s_xor_b64 s[6:7], exec, s[8:9]
	s_cbranch_execnz .LBB12_3097
; %bb.1049:
	s_or_saveexec_b64 s[6:7], s[6:7]
	v_mov_b32_e32 v20, s10
	s_xor_b64 exec, exec, s[6:7]
	s_cbranch_execnz .LBB12_3100
.LBB12_1050:
	s_or_b64 exec, exec, s[6:7]
	s_and_saveexec_b64 s[6:7], s[4:5]
	s_cbranch_execz .LBB12_1052
.LBB12_1051:
	v_bfe_u32 v20, v14, 24, 3
	v_ffbh_u32_e32 v24, v20
	v_min_u32_e32 v24, 32, v24
	v_lshrrev_b32_e32 v22, 27, v14
	v_subrev_u32_e32 v25, 28, v24
	v_and_b32_e32 v21, 0x80000000, v14
	v_and_b32_e32 v22, 15, v22
	v_bfe_u32 v23, v14, 27, 4
	v_lshlrev_b32_sdwa v14, v25, v14 dst_sel:DWORD dst_unused:UNUSED_PAD src0_sel:DWORD src1_sel:BYTE_3
	v_sub_u32_e32 v24, 29, v24
	v_and_b32_e32 v14, 7, v14
	v_cmp_eq_u16_e32 vcc, 0, v22
	v_cndmask_b32_e32 v14, v20, v14, vcc
	v_cndmask_b32_e32 v20, v23, v24, vcc
	v_mov_b32_e32 v22, 0x3b800000
	v_lshlrev_b32_e32 v14, 20, v14
	v_lshl_add_u32 v20, v20, 23, v22
	v_or3_b32 v20, v21, v20, v14
.LBB12_1052:
	s_or_b64 exec, exec, s[6:7]
	s_movk_i32 s4, 0x7f
	v_cmp_gt_i16_sdwa s[6:7], v10, s4 src0_sel:BYTE_3 src1_sel:DWORD
	s_mov_b64 s[4:5], 0
                                        ; implicit-def: $sgpr10
	s_and_saveexec_b64 s[8:9], s[6:7]
	s_xor_b64 s[6:7], exec, s[8:9]
	s_cbranch_execnz .LBB12_3101
; %bb.1053:
	s_or_saveexec_b64 s[6:7], s[6:7]
	v_mov_b32_e32 v14, s10
	s_xor_b64 exec, exec, s[6:7]
	s_cbranch_execnz .LBB12_3104
.LBB12_1054:
	s_or_b64 exec, exec, s[6:7]
	s_and_saveexec_b64 s[6:7], s[4:5]
	s_cbranch_execz .LBB12_1056
.LBB12_1055:
	v_bfe_u32 v14, v10, 24, 3
	v_ffbh_u32_e32 v24, v14
	v_min_u32_e32 v24, 32, v24
	v_lshrrev_b32_e32 v22, 27, v10
	v_subrev_u32_e32 v25, 28, v24
	v_and_b32_e32 v21, 0x80000000, v10
	v_and_b32_e32 v22, 15, v22
	v_bfe_u32 v23, v10, 27, 4
	v_lshlrev_b32_sdwa v10, v25, v10 dst_sel:DWORD dst_unused:UNUSED_PAD src0_sel:DWORD src1_sel:BYTE_3
	v_sub_u32_e32 v24, 29, v24
	v_and_b32_e32 v10, 7, v10
	v_cmp_eq_u16_e32 vcc, 0, v22
	v_cndmask_b32_e32 v10, v14, v10, vcc
	v_cndmask_b32_e32 v14, v23, v24, vcc
	v_mov_b32_e32 v22, 0x3b800000
	v_lshlrev_b32_e32 v10, 20, v10
	v_lshl_add_u32 v14, v14, 23, v22
	v_or3_b32 v14, v21, v14, v10
.LBB12_1056:
	s_or_b64 exec, exec, s[6:7]
	s_nop 0
	v_mfma_f32_16x16x4f32 a[0:3], v20, v14, a[0:3]
	s_movk_i32 s4, 0x7f
	v_cmp_gt_i16_sdwa s[6:7], v15, s4 src0_sel:BYTE_0 src1_sel:DWORD
	s_mov_b64 s[4:5], 0
                                        ; implicit-def: $sgpr10
	s_and_saveexec_b64 s[8:9], s[6:7]
	s_xor_b64 s[6:7], exec, s[8:9]
	s_cbranch_execnz .LBB12_3105
; %bb.1057:
	s_or_saveexec_b64 s[6:7], s[6:7]
	v_mov_b32_e32 v10, s10
	s_xor_b64 exec, exec, s[6:7]
	s_cbranch_execnz .LBB12_3108
.LBB12_1058:
	s_or_b64 exec, exec, s[6:7]
	s_and_saveexec_b64 s[6:7], s[4:5]
	s_cbranch_execz .LBB12_1060
.LBB12_1059:
	v_and_b32_e32 v10, 7, v15
	v_ffbh_u32_e32 v20, v10
	v_min_u32_e32 v20, 32, v20
	v_lshrrev_b16_e32 v14, 3, v15
	v_subrev_u32_e32 v21, 28, v20
	v_and_b32_e32 v14, 15, v14
	v_lshlrev_b32_e32 v21, v21, v15
	v_sub_u32_e32 v20, 29, v20
	v_and_b32_e32 v21, 7, v21
	v_cmp_eq_u16_e32 vcc, 0, v14
	v_cndmask_b32_e32 v10, v10, v21, vcc
	v_cndmask_b32_e32 v14, v14, v20, vcc
	v_lshlrev_b32_e32 v20, 24, v15
	v_mov_b32_e32 v21, 0x3b800000
	v_lshlrev_b32_e32 v10, 20, v10
	v_and_b32_e32 v20, 0x80000000, v20
	v_lshl_add_u32 v14, v14, 23, v21
	v_or3_b32 v10, v20, v14, v10
.LBB12_1060:
	s_or_b64 exec, exec, s[6:7]
	s_movk_i32 s4, 0x7f
	v_cmp_gt_i16_sdwa s[6:7], v11, s4 src0_sel:BYTE_0 src1_sel:DWORD
	s_mov_b64 s[4:5], 0
                                        ; implicit-def: $sgpr10
	s_and_saveexec_b64 s[8:9], s[6:7]
	s_xor_b64 s[6:7], exec, s[8:9]
	s_cbranch_execnz .LBB12_3109
; %bb.1061:
	s_or_saveexec_b64 s[6:7], s[6:7]
	v_mov_b32_e32 v14, s10
	s_xor_b64 exec, exec, s[6:7]
	s_cbranch_execnz .LBB12_3112
.LBB12_1062:
	s_or_b64 exec, exec, s[6:7]
	s_and_saveexec_b64 s[6:7], s[4:5]
	s_cbranch_execz .LBB12_1064
.LBB12_1063:
	v_and_b32_e32 v14, 7, v11
	v_ffbh_u32_e32 v21, v14
	v_min_u32_e32 v21, 32, v21
	v_lshrrev_b16_e32 v20, 3, v11
	v_subrev_u32_e32 v22, 28, v21
	v_and_b32_e32 v20, 15, v20
	v_lshlrev_b32_e32 v22, v22, v11
	v_sub_u32_e32 v21, 29, v21
	v_and_b32_e32 v22, 7, v22
	v_cmp_eq_u16_e32 vcc, 0, v20
	v_cndmask_b32_e32 v14, v14, v22, vcc
	v_cndmask_b32_e32 v20, v20, v21, vcc
	v_lshlrev_b32_e32 v21, 24, v11
	v_mov_b32_e32 v22, 0x3b800000
	v_lshlrev_b32_e32 v14, 20, v14
	v_and_b32_e32 v21, 0x80000000, v21
	v_lshl_add_u32 v20, v20, 23, v22
	v_or3_b32 v14, v21, v20, v14
.LBB12_1064:
	s_or_b64 exec, exec, s[6:7]
	s_nop 0
	v_mfma_f32_16x16x4f32 a[0:3], v10, v14, a[0:3]
	v_lshrrev_b32_e32 v14, 8, v15
	s_movk_i32 s4, 0x7f
	v_cmp_gt_i16_sdwa s[6:7], v14, s4 src0_sel:BYTE_0 src1_sel:DWORD
	s_mov_b64 s[4:5], 0
                                        ; implicit-def: $sgpr10
	s_and_saveexec_b64 s[8:9], s[6:7]
	s_xor_b64 s[6:7], exec, s[8:9]
	s_cbranch_execnz .LBB12_3113
; %bb.1065:
	s_or_saveexec_b64 s[6:7], s[6:7]
	v_mov_b32_e32 v10, s10
	s_xor_b64 exec, exec, s[6:7]
	s_cbranch_execnz .LBB12_3116
.LBB12_1066:
	s_or_b64 exec, exec, s[6:7]
	s_and_saveexec_b64 s[6:7], s[4:5]
	s_cbranch_execz .LBB12_1068
.LBB12_1067:
	v_bfe_u32 v10, v15, 8, 3
	v_ffbh_u32_e32 v21, v10
	v_min_u32_e32 v21, 32, v21
	v_lshrrev_b16_e32 v20, 3, v14
	v_subrev_u32_e32 v22, 28, v21
	v_and_b32_e32 v20, 15, v20
	v_lshlrev_b32_e32 v14, v22, v14
	v_sub_u32_e32 v21, 29, v21
	v_and_b32_e32 v14, 7, v14
	v_cmp_eq_u16_e32 vcc, 0, v20
	v_cndmask_b32_e32 v10, v10, v14, vcc
	v_cndmask_b32_e32 v14, v20, v21, vcc
	v_lshlrev_b32_e32 v20, 16, v15
	v_mov_b32_e32 v21, 0x3b800000
	v_lshlrev_b32_e32 v10, 20, v10
	v_and_b32_e32 v20, 0x80000000, v20
	v_lshl_add_u32 v14, v14, 23, v21
	v_or3_b32 v10, v20, v14, v10
.LBB12_1068:
	s_or_b64 exec, exec, s[6:7]
	v_lshrrev_b32_e32 v14, 8, v11
	s_movk_i32 s4, 0x7f
	v_cmp_gt_i16_sdwa s[6:7], v14, s4 src0_sel:BYTE_0 src1_sel:DWORD
	s_mov_b64 s[4:5], 0
                                        ; implicit-def: $sgpr10
	s_and_saveexec_b64 s[8:9], s[6:7]
	s_xor_b64 s[6:7], exec, s[8:9]
	s_cbranch_execnz .LBB12_3117
; %bb.1069:
	s_or_saveexec_b64 s[6:7], s[6:7]
	v_mov_b32_e32 v20, s10
	s_xor_b64 exec, exec, s[6:7]
	s_cbranch_execnz .LBB12_3120
.LBB12_1070:
	s_or_b64 exec, exec, s[6:7]
	s_and_saveexec_b64 s[6:7], s[4:5]
	s_cbranch_execz .LBB12_1072
.LBB12_1071:
	v_bfe_u32 v20, v11, 8, 3
	v_ffbh_u32_e32 v22, v20
	v_min_u32_e32 v22, 32, v22
	v_lshrrev_b16_e32 v21, 3, v14
	v_subrev_u32_e32 v23, 28, v22
	v_and_b32_e32 v21, 15, v21
	v_lshlrev_b32_e32 v14, v23, v14
	v_sub_u32_e32 v22, 29, v22
	v_and_b32_e32 v14, 7, v14
	v_cmp_eq_u16_e32 vcc, 0, v21
	v_cndmask_b32_e32 v14, v20, v14, vcc
	v_cndmask_b32_e32 v20, v21, v22, vcc
	v_lshlrev_b32_e32 v21, 16, v11
	v_mov_b32_e32 v22, 0x3b800000
	v_lshlrev_b32_e32 v14, 20, v14
	v_and_b32_e32 v21, 0x80000000, v21
	v_lshl_add_u32 v20, v20, 23, v22
	v_or3_b32 v20, v21, v20, v14
.LBB12_1072:
	s_or_b64 exec, exec, s[6:7]
	s_nop 0
	v_mfma_f32_16x16x4f32 a[0:3], v10, v20, a[0:3]
	s_movk_i32 s4, 0xff
	v_and_b32_sdwa v14, v15, s4 dst_sel:DWORD dst_unused:UNUSED_PAD src0_sel:WORD_1 src1_sel:DWORD
	s_movk_i32 s4, 0x7f
	v_cmp_lt_i16_e32 vcc, s4, v14
	s_mov_b64 s[4:5], 0
                                        ; implicit-def: $sgpr10
	s_and_saveexec_b64 s[6:7], vcc
	s_xor_b64 s[6:7], exec, s[6:7]
	s_cbranch_execnz .LBB12_3121
; %bb.1073:
	s_or_saveexec_b64 s[6:7], s[6:7]
	v_mov_b32_e32 v10, s10
	s_xor_b64 exec, exec, s[6:7]
	s_cbranch_execnz .LBB12_3124
.LBB12_1074:
	s_or_b64 exec, exec, s[6:7]
	s_and_saveexec_b64 s[6:7], s[4:5]
	s_cbranch_execz .LBB12_1076
.LBB12_1075:
	v_bfe_u32 v10, v15, 16, 3
	v_ffbh_u32_e32 v21, v10
	v_min_u32_e32 v21, 32, v21
	v_lshrrev_b32_e32 v14, 19, v15
	v_subrev_u32_e32 v22, 28, v21
	v_and_b32_e32 v14, 15, v14
	v_lshlrev_b32_sdwa v22, v22, v15 dst_sel:DWORD dst_unused:UNUSED_PAD src0_sel:DWORD src1_sel:WORD_1
	v_bfe_u32 v20, v15, 19, 4
	v_sub_u32_e32 v21, 29, v21
	v_and_b32_e32 v22, 7, v22
	v_cmp_eq_u16_e32 vcc, 0, v14
	v_cndmask_b32_e32 v10, v10, v22, vcc
	v_cndmask_b32_e32 v14, v20, v21, vcc
	v_lshlrev_b32_e32 v20, 8, v15
	v_mov_b32_e32 v21, 0x3b800000
	v_lshlrev_b32_e32 v10, 20, v10
	v_and_b32_e32 v20, 0x80000000, v20
	v_lshl_add_u32 v14, v14, 23, v21
	v_or3_b32 v10, v20, v14, v10
.LBB12_1076:
	s_or_b64 exec, exec, s[6:7]
	s_movk_i32 s4, 0xff
	v_and_b32_sdwa v14, v11, s4 dst_sel:DWORD dst_unused:UNUSED_PAD src0_sel:WORD_1 src1_sel:DWORD
	s_movk_i32 s4, 0x7f
	v_cmp_lt_i16_e32 vcc, s4, v14
	s_mov_b64 s[4:5], 0
                                        ; implicit-def: $sgpr10
	s_and_saveexec_b64 s[6:7], vcc
	s_xor_b64 s[6:7], exec, s[6:7]
	s_cbranch_execnz .LBB12_3125
; %bb.1077:
	s_or_saveexec_b64 s[6:7], s[6:7]
	v_mov_b32_e32 v20, s10
	s_xor_b64 exec, exec, s[6:7]
	s_cbranch_execnz .LBB12_3128
.LBB12_1078:
	s_or_b64 exec, exec, s[6:7]
	s_and_saveexec_b64 s[6:7], s[4:5]
	s_cbranch_execz .LBB12_1080
.LBB12_1079:
	v_bfe_u32 v14, v11, 16, 3
	v_ffbh_u32_e32 v22, v14
	v_min_u32_e32 v22, 32, v22
	v_lshrrev_b32_e32 v20, 19, v11
	v_subrev_u32_e32 v23, 28, v22
	v_and_b32_e32 v20, 15, v20
	v_lshlrev_b32_sdwa v23, v23, v11 dst_sel:DWORD dst_unused:UNUSED_PAD src0_sel:DWORD src1_sel:WORD_1
	v_bfe_u32 v21, v11, 19, 4
	v_sub_u32_e32 v22, 29, v22
	v_and_b32_e32 v23, 7, v23
	v_cmp_eq_u16_e32 vcc, 0, v20
	v_cndmask_b32_e32 v14, v14, v23, vcc
	v_cndmask_b32_e32 v20, v21, v22, vcc
	v_lshlrev_b32_e32 v21, 8, v11
	v_mov_b32_e32 v22, 0x3b800000
	v_lshlrev_b32_e32 v14, 20, v14
	v_and_b32_e32 v21, 0x80000000, v21
	v_lshl_add_u32 v20, v20, 23, v22
	v_or3_b32 v20, v21, v20, v14
.LBB12_1080:
	s_or_b64 exec, exec, s[6:7]
	s_nop 0
	v_mfma_f32_16x16x4f32 a[0:3], v10, v20, a[0:3]
	s_movk_i32 s4, 0x7f
	v_cmp_gt_i16_sdwa s[6:7], v15, s4 src0_sel:BYTE_3 src1_sel:DWORD
	s_mov_b64 s[4:5], 0
                                        ; implicit-def: $sgpr10
	s_and_saveexec_b64 s[8:9], s[6:7]
	s_xor_b64 s[6:7], exec, s[8:9]
	s_cbranch_execnz .LBB12_3129
; %bb.1081:
	s_or_saveexec_b64 s[6:7], s[6:7]
	v_mov_b32_e32 v10, s10
	s_xor_b64 exec, exec, s[6:7]
	s_cbranch_execnz .LBB12_3132
.LBB12_1082:
	s_or_b64 exec, exec, s[6:7]
	s_and_saveexec_b64 s[6:7], s[4:5]
	s_cbranch_execz .LBB12_1084
.LBB12_1083:
	v_bfe_u32 v10, v15, 24, 3
	v_ffbh_u32_e32 v22, v10
	v_min_u32_e32 v22, 32, v22
	v_lshrrev_b32_e32 v20, 27, v15
	v_subrev_u32_e32 v23, 28, v22
	v_and_b32_e32 v14, 0x80000000, v15
	v_and_b32_e32 v20, 15, v20
	v_bfe_u32 v21, v15, 27, 4
	v_lshlrev_b32_sdwa v15, v23, v15 dst_sel:DWORD dst_unused:UNUSED_PAD src0_sel:DWORD src1_sel:BYTE_3
	v_sub_u32_e32 v22, 29, v22
	v_and_b32_e32 v15, 7, v15
	v_cmp_eq_u16_e32 vcc, 0, v20
	v_cndmask_b32_e32 v10, v10, v15, vcc
	v_cndmask_b32_e32 v15, v21, v22, vcc
	v_mov_b32_e32 v20, 0x3b800000
	v_lshlrev_b32_e32 v10, 20, v10
	v_lshl_add_u32 v15, v15, 23, v20
	v_or3_b32 v10, v14, v15, v10
.LBB12_1084:
	s_or_b64 exec, exec, s[6:7]
	s_movk_i32 s4, 0x7f
	v_cmp_gt_i16_sdwa s[6:7], v11, s4 src0_sel:BYTE_3 src1_sel:DWORD
	s_mov_b64 s[4:5], 0
                                        ; implicit-def: $sgpr10
	s_and_saveexec_b64 s[8:9], s[6:7]
	s_xor_b64 s[6:7], exec, s[8:9]
	s_cbranch_execnz .LBB12_3133
; %bb.1085:
	s_or_saveexec_b64 s[6:7], s[6:7]
	v_mov_b32_e32 v14, s10
	s_xor_b64 exec, exec, s[6:7]
	s_cbranch_execnz .LBB12_3136
.LBB12_1086:
	s_or_b64 exec, exec, s[6:7]
	s_and_saveexec_b64 s[6:7], s[4:5]
	s_cbranch_execz .LBB12_1088
.LBB12_1087:
	v_bfe_u32 v14, v11, 24, 3
	v_ffbh_u32_e32 v22, v14
	v_min_u32_e32 v22, 32, v22
	v_lshrrev_b32_e32 v20, 27, v11
	v_subrev_u32_e32 v23, 28, v22
	v_and_b32_e32 v15, 0x80000000, v11
	v_and_b32_e32 v20, 15, v20
	v_bfe_u32 v21, v11, 27, 4
	v_lshlrev_b32_sdwa v11, v23, v11 dst_sel:DWORD dst_unused:UNUSED_PAD src0_sel:DWORD src1_sel:BYTE_3
	v_sub_u32_e32 v22, 29, v22
	v_and_b32_e32 v11, 7, v11
	v_cmp_eq_u16_e32 vcc, 0, v20
	v_cndmask_b32_e32 v11, v14, v11, vcc
	v_cndmask_b32_e32 v14, v21, v22, vcc
	v_mov_b32_e32 v20, 0x3b800000
	v_lshlrev_b32_e32 v11, 20, v11
	v_lshl_add_u32 v14, v14, 23, v20
	v_or3_b32 v14, v15, v14, v11
.LBB12_1088:
	s_or_b64 exec, exec, s[6:7]
	s_nop 0
	v_mfma_f32_16x16x4f32 a[0:3], v10, v14, a[0:3]
	s_movk_i32 s4, 0x7f
	v_cmp_gt_i16_sdwa s[6:7], v16, s4 src0_sel:BYTE_0 src1_sel:DWORD
	s_mov_b64 s[4:5], 0
                                        ; implicit-def: $sgpr10
	s_and_saveexec_b64 s[8:9], s[6:7]
	s_xor_b64 s[6:7], exec, s[8:9]
	s_cbranch_execnz .LBB12_3137
; %bb.1089:
	s_or_saveexec_b64 s[6:7], s[6:7]
	v_mov_b32_e32 v10, s10
	s_xor_b64 exec, exec, s[6:7]
	s_cbranch_execnz .LBB12_3140
.LBB12_1090:
	s_or_b64 exec, exec, s[6:7]
	s_and_saveexec_b64 s[6:7], s[4:5]
	s_cbranch_execz .LBB12_1092
.LBB12_1091:
	v_and_b32_e32 v10, 7, v16
	v_ffbh_u32_e32 v14, v10
	v_min_u32_e32 v14, 32, v14
	v_lshrrev_b16_e32 v11, 3, v16
	v_subrev_u32_e32 v15, 28, v14
	v_and_b32_e32 v11, 15, v11
	v_lshlrev_b32_e32 v15, v15, v16
	v_sub_u32_e32 v14, 29, v14
	v_and_b32_e32 v15, 7, v15
	v_cmp_eq_u16_e32 vcc, 0, v11
	v_cndmask_b32_e32 v10, v10, v15, vcc
	v_cndmask_b32_e32 v11, v11, v14, vcc
	v_lshlrev_b32_e32 v14, 24, v16
	v_mov_b32_e32 v15, 0x3b800000
	v_lshlrev_b32_e32 v10, 20, v10
	v_and_b32_e32 v14, 0x80000000, v14
	v_lshl_add_u32 v11, v11, 23, v15
	v_or3_b32 v10, v14, v11, v10
.LBB12_1092:
	s_or_b64 exec, exec, s[6:7]
	s_movk_i32 s4, 0x7f
	v_cmp_gt_i16_sdwa s[6:7], v12, s4 src0_sel:BYTE_0 src1_sel:DWORD
	s_mov_b64 s[4:5], 0
                                        ; implicit-def: $sgpr10
	s_and_saveexec_b64 s[8:9], s[6:7]
	s_xor_b64 s[6:7], exec, s[8:9]
	s_cbranch_execnz .LBB12_3141
; %bb.1093:
	s_or_saveexec_b64 s[6:7], s[6:7]
	v_mov_b32_e32 v11, s10
	s_xor_b64 exec, exec, s[6:7]
	s_cbranch_execnz .LBB12_3144
.LBB12_1094:
	s_or_b64 exec, exec, s[6:7]
	s_and_saveexec_b64 s[6:7], s[4:5]
	s_cbranch_execz .LBB12_1096
.LBB12_1095:
	v_and_b32_e32 v11, 7, v12
	v_ffbh_u32_e32 v15, v11
	v_min_u32_e32 v15, 32, v15
	v_lshrrev_b16_e32 v14, 3, v12
	v_subrev_u32_e32 v20, 28, v15
	v_and_b32_e32 v14, 15, v14
	v_lshlrev_b32_e32 v20, v20, v12
	v_sub_u32_e32 v15, 29, v15
	v_and_b32_e32 v20, 7, v20
	v_cmp_eq_u16_e32 vcc, 0, v14
	v_cndmask_b32_e32 v11, v11, v20, vcc
	v_cndmask_b32_e32 v14, v14, v15, vcc
	v_lshlrev_b32_e32 v15, 24, v12
	v_mov_b32_e32 v20, 0x3b800000
	v_lshlrev_b32_e32 v11, 20, v11
	v_and_b32_e32 v15, 0x80000000, v15
	v_lshl_add_u32 v14, v14, 23, v20
	v_or3_b32 v11, v15, v14, v11
.LBB12_1096:
	s_or_b64 exec, exec, s[6:7]
	s_nop 0
	v_mfma_f32_16x16x4f32 a[0:3], v10, v11, a[0:3]
	v_lshrrev_b32_e32 v11, 8, v16
	s_movk_i32 s4, 0x7f
	v_cmp_gt_i16_sdwa s[6:7], v11, s4 src0_sel:BYTE_0 src1_sel:DWORD
	s_mov_b64 s[4:5], 0
                                        ; implicit-def: $sgpr10
	s_and_saveexec_b64 s[8:9], s[6:7]
	s_xor_b64 s[6:7], exec, s[8:9]
	s_cbranch_execnz .LBB12_3145
; %bb.1097:
	s_or_saveexec_b64 s[6:7], s[6:7]
	v_mov_b32_e32 v10, s10
	s_xor_b64 exec, exec, s[6:7]
	s_cbranch_execnz .LBB12_3148
.LBB12_1098:
	s_or_b64 exec, exec, s[6:7]
	s_and_saveexec_b64 s[6:7], s[4:5]
	s_cbranch_execz .LBB12_1100
.LBB12_1099:
	v_bfe_u32 v10, v16, 8, 3
	v_ffbh_u32_e32 v15, v10
	v_min_u32_e32 v15, 32, v15
	v_lshrrev_b16_e32 v14, 3, v11
	v_subrev_u32_e32 v20, 28, v15
	v_and_b32_e32 v14, 15, v14
	v_lshlrev_b32_e32 v11, v20, v11
	v_sub_u32_e32 v15, 29, v15
	v_and_b32_e32 v11, 7, v11
	v_cmp_eq_u16_e32 vcc, 0, v14
	v_cndmask_b32_e32 v10, v10, v11, vcc
	v_cndmask_b32_e32 v11, v14, v15, vcc
	v_lshlrev_b32_e32 v14, 16, v16
	v_mov_b32_e32 v15, 0x3b800000
	v_lshlrev_b32_e32 v10, 20, v10
	v_and_b32_e32 v14, 0x80000000, v14
	v_lshl_add_u32 v11, v11, 23, v15
	v_or3_b32 v10, v14, v11, v10
.LBB12_1100:
	s_or_b64 exec, exec, s[6:7]
	v_lshrrev_b32_e32 v11, 8, v12
	s_movk_i32 s4, 0x7f
	v_cmp_gt_i16_sdwa s[6:7], v11, s4 src0_sel:BYTE_0 src1_sel:DWORD
	s_mov_b64 s[4:5], 0
                                        ; implicit-def: $sgpr10
	s_and_saveexec_b64 s[8:9], s[6:7]
	s_xor_b64 s[6:7], exec, s[8:9]
	s_cbranch_execnz .LBB12_3149
; %bb.1101:
	s_or_saveexec_b64 s[6:7], s[6:7]
	v_mov_b32_e32 v14, s10
	s_xor_b64 exec, exec, s[6:7]
	s_cbranch_execnz .LBB12_3152
.LBB12_1102:
	s_or_b64 exec, exec, s[6:7]
	s_and_saveexec_b64 s[6:7], s[4:5]
	s_cbranch_execz .LBB12_1104
.LBB12_1103:
	v_bfe_u32 v14, v12, 8, 3
	v_ffbh_u32_e32 v20, v14
	v_min_u32_e32 v20, 32, v20
	v_lshrrev_b16_e32 v15, 3, v11
	v_subrev_u32_e32 v21, 28, v20
	v_and_b32_e32 v15, 15, v15
	v_lshlrev_b32_e32 v11, v21, v11
	v_sub_u32_e32 v20, 29, v20
	v_and_b32_e32 v11, 7, v11
	v_cmp_eq_u16_e32 vcc, 0, v15
	v_cndmask_b32_e32 v11, v14, v11, vcc
	v_cndmask_b32_e32 v14, v15, v20, vcc
	v_lshlrev_b32_e32 v15, 16, v12
	v_mov_b32_e32 v20, 0x3b800000
	v_lshlrev_b32_e32 v11, 20, v11
	v_and_b32_e32 v15, 0x80000000, v15
	v_lshl_add_u32 v14, v14, 23, v20
	v_or3_b32 v14, v15, v14, v11
.LBB12_1104:
	s_or_b64 exec, exec, s[6:7]
	s_nop 0
	v_mfma_f32_16x16x4f32 a[0:3], v10, v14, a[0:3]
	s_movk_i32 s4, 0xff
	v_and_b32_sdwa v11, v16, s4 dst_sel:DWORD dst_unused:UNUSED_PAD src0_sel:WORD_1 src1_sel:DWORD
	s_movk_i32 s4, 0x7f
	v_cmp_lt_i16_e32 vcc, s4, v11
	s_mov_b64 s[4:5], 0
                                        ; implicit-def: $sgpr10
	s_and_saveexec_b64 s[6:7], vcc
	s_xor_b64 s[6:7], exec, s[6:7]
	s_cbranch_execnz .LBB12_3153
; %bb.1105:
	s_or_saveexec_b64 s[6:7], s[6:7]
	v_mov_b32_e32 v10, s10
	s_xor_b64 exec, exec, s[6:7]
	s_cbranch_execnz .LBB12_3156
.LBB12_1106:
	s_or_b64 exec, exec, s[6:7]
	s_and_saveexec_b64 s[6:7], s[4:5]
	s_cbranch_execz .LBB12_1108
.LBB12_1107:
	v_bfe_u32 v10, v16, 16, 3
	v_ffbh_u32_e32 v15, v10
	v_min_u32_e32 v15, 32, v15
	v_lshrrev_b32_e32 v11, 19, v16
	v_subrev_u32_e32 v20, 28, v15
	v_and_b32_e32 v11, 15, v11
	v_lshlrev_b32_sdwa v20, v20, v16 dst_sel:DWORD dst_unused:UNUSED_PAD src0_sel:DWORD src1_sel:WORD_1
	v_bfe_u32 v14, v16, 19, 4
	v_sub_u32_e32 v15, 29, v15
	v_and_b32_e32 v20, 7, v20
	v_cmp_eq_u16_e32 vcc, 0, v11
	v_cndmask_b32_e32 v10, v10, v20, vcc
	v_cndmask_b32_e32 v11, v14, v15, vcc
	v_lshlrev_b32_e32 v14, 8, v16
	v_mov_b32_e32 v15, 0x3b800000
	v_lshlrev_b32_e32 v10, 20, v10
	v_and_b32_e32 v14, 0x80000000, v14
	v_lshl_add_u32 v11, v11, 23, v15
	v_or3_b32 v10, v14, v11, v10
.LBB12_1108:
	s_or_b64 exec, exec, s[6:7]
	s_movk_i32 s4, 0xff
	v_and_b32_sdwa v11, v12, s4 dst_sel:DWORD dst_unused:UNUSED_PAD src0_sel:WORD_1 src1_sel:DWORD
	s_movk_i32 s4, 0x7f
	v_cmp_lt_i16_e32 vcc, s4, v11
	s_mov_b64 s[4:5], 0
                                        ; implicit-def: $sgpr10
	s_and_saveexec_b64 s[6:7], vcc
	s_xor_b64 s[6:7], exec, s[6:7]
	s_cbranch_execnz .LBB12_3157
; %bb.1109:
	s_or_saveexec_b64 s[6:7], s[6:7]
	v_mov_b32_e32 v14, s10
	s_xor_b64 exec, exec, s[6:7]
	s_cbranch_execnz .LBB12_3160
.LBB12_1110:
	s_or_b64 exec, exec, s[6:7]
	s_and_saveexec_b64 s[6:7], s[4:5]
	s_cbranch_execz .LBB12_1112
.LBB12_1111:
	v_bfe_u32 v11, v12, 16, 3
	v_ffbh_u32_e32 v20, v11
	v_min_u32_e32 v20, 32, v20
	v_lshrrev_b32_e32 v14, 19, v12
	v_subrev_u32_e32 v21, 28, v20
	v_and_b32_e32 v14, 15, v14
	v_lshlrev_b32_sdwa v21, v21, v12 dst_sel:DWORD dst_unused:UNUSED_PAD src0_sel:DWORD src1_sel:WORD_1
	v_bfe_u32 v15, v12, 19, 4
	v_sub_u32_e32 v20, 29, v20
	v_and_b32_e32 v21, 7, v21
	v_cmp_eq_u16_e32 vcc, 0, v14
	v_cndmask_b32_e32 v11, v11, v21, vcc
	v_cndmask_b32_e32 v14, v15, v20, vcc
	v_lshlrev_b32_e32 v15, 8, v12
	v_mov_b32_e32 v20, 0x3b800000
	v_lshlrev_b32_e32 v11, 20, v11
	v_and_b32_e32 v15, 0x80000000, v15
	v_lshl_add_u32 v14, v14, 23, v20
	v_or3_b32 v14, v15, v14, v11
.LBB12_1112:
	s_or_b64 exec, exec, s[6:7]
	s_nop 0
	v_mfma_f32_16x16x4f32 a[0:3], v10, v14, a[0:3]
	s_movk_i32 s4, 0x7f
	v_cmp_gt_i16_sdwa s[6:7], v16, s4 src0_sel:BYTE_3 src1_sel:DWORD
	s_mov_b64 s[4:5], 0
                                        ; implicit-def: $sgpr10
	s_and_saveexec_b64 s[8:9], s[6:7]
	s_xor_b64 s[6:7], exec, s[8:9]
	s_cbranch_execnz .LBB12_3161
; %bb.1113:
	s_or_saveexec_b64 s[6:7], s[6:7]
	v_mov_b32_e32 v10, s10
	s_xor_b64 exec, exec, s[6:7]
	s_cbranch_execnz .LBB12_3164
.LBB12_1114:
	s_or_b64 exec, exec, s[6:7]
	s_and_saveexec_b64 s[6:7], s[4:5]
	s_cbranch_execz .LBB12_1116
.LBB12_1115:
	v_bfe_u32 v10, v16, 24, 3
	v_ffbh_u32_e32 v20, v10
	v_min_u32_e32 v20, 32, v20
	v_lshrrev_b32_e32 v14, 27, v16
	v_subrev_u32_e32 v21, 28, v20
	v_and_b32_e32 v11, 0x80000000, v16
	v_and_b32_e32 v14, 15, v14
	v_bfe_u32 v15, v16, 27, 4
	v_lshlrev_b32_sdwa v16, v21, v16 dst_sel:DWORD dst_unused:UNUSED_PAD src0_sel:DWORD src1_sel:BYTE_3
	v_sub_u32_e32 v20, 29, v20
	v_and_b32_e32 v16, 7, v16
	v_cmp_eq_u16_e32 vcc, 0, v14
	v_cndmask_b32_e32 v10, v10, v16, vcc
	v_cndmask_b32_e32 v14, v15, v20, vcc
	v_mov_b32_e32 v15, 0x3b800000
	v_lshlrev_b32_e32 v10, 20, v10
	v_lshl_add_u32 v14, v14, 23, v15
	v_or3_b32 v10, v11, v14, v10
.LBB12_1116:
	s_or_b64 exec, exec, s[6:7]
	s_movk_i32 s4, 0x7f
	v_cmp_gt_i16_sdwa s[6:7], v12, s4 src0_sel:BYTE_3 src1_sel:DWORD
	s_mov_b64 s[4:5], 0
                                        ; implicit-def: $sgpr10
	s_and_saveexec_b64 s[8:9], s[6:7]
	s_xor_b64 s[6:7], exec, s[8:9]
	s_cbranch_execnz .LBB12_3165
; %bb.1117:
	s_or_saveexec_b64 s[6:7], s[6:7]
	v_mov_b32_e32 v11, s10
	s_xor_b64 exec, exec, s[6:7]
	s_cbranch_execnz .LBB12_3168
.LBB12_1118:
	s_or_b64 exec, exec, s[6:7]
	s_and_saveexec_b64 s[6:7], s[4:5]
	s_cbranch_execz .LBB12_1120
.LBB12_1119:
	v_bfe_u32 v11, v12, 24, 3
	v_ffbh_u32_e32 v20, v11
	v_min_u32_e32 v20, 32, v20
	v_lshrrev_b32_e32 v15, 27, v12
	v_subrev_u32_e32 v21, 28, v20
	v_and_b32_e32 v14, 0x80000000, v12
	v_and_b32_e32 v15, 15, v15
	v_bfe_u32 v16, v12, 27, 4
	v_lshlrev_b32_sdwa v12, v21, v12 dst_sel:DWORD dst_unused:UNUSED_PAD src0_sel:DWORD src1_sel:BYTE_3
	v_sub_u32_e32 v20, 29, v20
	v_and_b32_e32 v12, 7, v12
	v_cmp_eq_u16_e32 vcc, 0, v15
	v_cndmask_b32_e32 v11, v11, v12, vcc
	v_cndmask_b32_e32 v12, v16, v20, vcc
	v_mov_b32_e32 v15, 0x3b800000
	v_lshlrev_b32_e32 v11, 20, v11
	v_lshl_add_u32 v12, v12, 23, v15
	v_or3_b32 v11, v14, v12, v11
.LBB12_1120:
	s_or_b64 exec, exec, s[6:7]
	s_nop 0
	v_mfma_f32_16x16x4f32 a[0:3], v10, v11, a[0:3]
	s_movk_i32 s4, 0x7f
	v_cmp_gt_i16_sdwa s[6:7], v17, s4 src0_sel:BYTE_0 src1_sel:DWORD
	s_mov_b64 s[4:5], 0
                                        ; implicit-def: $sgpr10
	s_and_saveexec_b64 s[8:9], s[6:7]
	s_xor_b64 s[6:7], exec, s[8:9]
	s_cbranch_execnz .LBB12_3169
; %bb.1121:
	s_or_saveexec_b64 s[6:7], s[6:7]
	v_mov_b32_e32 v10, s10
	s_xor_b64 exec, exec, s[6:7]
	s_cbranch_execnz .LBB12_3172
.LBB12_1122:
	s_or_b64 exec, exec, s[6:7]
	s_and_saveexec_b64 s[6:7], s[4:5]
	s_cbranch_execz .LBB12_1124
.LBB12_1123:
	v_and_b32_e32 v10, 7, v17
	v_ffbh_u32_e32 v12, v10
	v_min_u32_e32 v12, 32, v12
	v_lshrrev_b16_e32 v11, 3, v17
	v_subrev_u32_e32 v14, 28, v12
	v_and_b32_e32 v11, 15, v11
	v_lshlrev_b32_e32 v14, v14, v17
	v_sub_u32_e32 v12, 29, v12
	v_and_b32_e32 v14, 7, v14
	v_cmp_eq_u16_e32 vcc, 0, v11
	v_cndmask_b32_e32 v10, v10, v14, vcc
	v_cndmask_b32_e32 v11, v11, v12, vcc
	v_lshlrev_b32_e32 v12, 24, v17
	v_mov_b32_e32 v14, 0x3b800000
	v_lshlrev_b32_e32 v10, 20, v10
	v_and_b32_e32 v12, 0x80000000, v12
	v_lshl_add_u32 v11, v11, 23, v14
	v_or3_b32 v10, v12, v11, v10
.LBB12_1124:
	s_or_b64 exec, exec, s[6:7]
	s_movk_i32 s4, 0x7f
	v_cmp_gt_i16_sdwa s[6:7], v13, s4 src0_sel:BYTE_0 src1_sel:DWORD
	s_mov_b64 s[4:5], 0
                                        ; implicit-def: $sgpr10
	s_and_saveexec_b64 s[8:9], s[6:7]
	s_xor_b64 s[6:7], exec, s[8:9]
	s_cbranch_execnz .LBB12_3173
; %bb.1125:
	s_or_saveexec_b64 s[6:7], s[6:7]
	v_mov_b32_e32 v11, s10
	s_xor_b64 exec, exec, s[6:7]
	s_cbranch_execnz .LBB12_3176
.LBB12_1126:
	s_or_b64 exec, exec, s[6:7]
	s_and_saveexec_b64 s[6:7], s[4:5]
	s_cbranch_execz .LBB12_1128
.LBB12_1127:
	v_and_b32_e32 v11, 7, v13
	v_ffbh_u32_e32 v14, v11
	v_min_u32_e32 v14, 32, v14
	v_lshrrev_b16_e32 v12, 3, v13
	v_subrev_u32_e32 v15, 28, v14
	v_and_b32_e32 v12, 15, v12
	v_lshlrev_b32_e32 v15, v15, v13
	v_sub_u32_e32 v14, 29, v14
	v_and_b32_e32 v15, 7, v15
	v_cmp_eq_u16_e32 vcc, 0, v12
	v_cndmask_b32_e32 v11, v11, v15, vcc
	v_cndmask_b32_e32 v12, v12, v14, vcc
	v_lshlrev_b32_e32 v14, 24, v13
	v_mov_b32_e32 v15, 0x3b800000
	v_lshlrev_b32_e32 v11, 20, v11
	v_and_b32_e32 v14, 0x80000000, v14
	v_lshl_add_u32 v12, v12, 23, v15
	v_or3_b32 v11, v14, v12, v11
.LBB12_1128:
	s_or_b64 exec, exec, s[6:7]
	s_nop 0
	v_mfma_f32_16x16x4f32 a[0:3], v10, v11, a[0:3]
	v_lshrrev_b32_e32 v11, 8, v17
	s_movk_i32 s4, 0x7f
	v_cmp_gt_i16_sdwa s[6:7], v11, s4 src0_sel:BYTE_0 src1_sel:DWORD
	s_mov_b64 s[4:5], 0
                                        ; implicit-def: $sgpr10
	s_and_saveexec_b64 s[8:9], s[6:7]
	s_xor_b64 s[6:7], exec, s[8:9]
	s_cbranch_execnz .LBB12_3177
; %bb.1129:
	s_or_saveexec_b64 s[6:7], s[6:7]
	v_mov_b32_e32 v10, s10
	s_xor_b64 exec, exec, s[6:7]
	s_cbranch_execnz .LBB12_3180
.LBB12_1130:
	s_or_b64 exec, exec, s[6:7]
	s_and_saveexec_b64 s[6:7], s[4:5]
	s_cbranch_execz .LBB12_1132
.LBB12_1131:
	v_bfe_u32 v10, v17, 8, 3
	v_ffbh_u32_e32 v14, v10
	v_min_u32_e32 v14, 32, v14
	v_lshrrev_b16_e32 v12, 3, v11
	v_subrev_u32_e32 v15, 28, v14
	v_and_b32_e32 v12, 15, v12
	v_lshlrev_b32_e32 v11, v15, v11
	v_sub_u32_e32 v14, 29, v14
	v_and_b32_e32 v11, 7, v11
	v_cmp_eq_u16_e32 vcc, 0, v12
	v_cndmask_b32_e32 v10, v10, v11, vcc
	v_cndmask_b32_e32 v11, v12, v14, vcc
	v_lshlrev_b32_e32 v12, 16, v17
	v_mov_b32_e32 v14, 0x3b800000
	v_lshlrev_b32_e32 v10, 20, v10
	v_and_b32_e32 v12, 0x80000000, v12
	v_lshl_add_u32 v11, v11, 23, v14
	v_or3_b32 v10, v12, v11, v10
.LBB12_1132:
	s_or_b64 exec, exec, s[6:7]
	v_lshrrev_b32_e32 v11, 8, v13
	s_movk_i32 s4, 0x7f
	v_cmp_gt_i16_sdwa s[6:7], v11, s4 src0_sel:BYTE_0 src1_sel:DWORD
	s_mov_b64 s[4:5], 0
                                        ; implicit-def: $sgpr10
	s_and_saveexec_b64 s[8:9], s[6:7]
	s_xor_b64 s[6:7], exec, s[8:9]
	s_cbranch_execnz .LBB12_3181
; %bb.1133:
	s_or_saveexec_b64 s[6:7], s[6:7]
	v_mov_b32_e32 v12, s10
	s_xor_b64 exec, exec, s[6:7]
	s_cbranch_execnz .LBB12_3184
.LBB12_1134:
	s_or_b64 exec, exec, s[6:7]
	s_and_saveexec_b64 s[6:7], s[4:5]
	s_cbranch_execz .LBB12_1136
.LBB12_1135:
	v_bfe_u32 v12, v13, 8, 3
	v_ffbh_u32_e32 v15, v12
	v_min_u32_e32 v15, 32, v15
	v_lshrrev_b16_e32 v14, 3, v11
	v_subrev_u32_e32 v16, 28, v15
	v_and_b32_e32 v14, 15, v14
	v_lshlrev_b32_e32 v11, v16, v11
	v_sub_u32_e32 v15, 29, v15
	v_and_b32_e32 v11, 7, v11
	v_cmp_eq_u16_e32 vcc, 0, v14
	v_cndmask_b32_e32 v11, v12, v11, vcc
	v_cndmask_b32_e32 v12, v14, v15, vcc
	v_lshlrev_b32_e32 v14, 16, v13
	v_mov_b32_e32 v15, 0x3b800000
	v_lshlrev_b32_e32 v11, 20, v11
	v_and_b32_e32 v14, 0x80000000, v14
	v_lshl_add_u32 v12, v12, 23, v15
	v_or3_b32 v12, v14, v12, v11
.LBB12_1136:
	s_or_b64 exec, exec, s[6:7]
	s_nop 0
	v_mfma_f32_16x16x4f32 a[0:3], v10, v12, a[0:3]
	s_movk_i32 s4, 0xff
	v_and_b32_sdwa v11, v17, s4 dst_sel:DWORD dst_unused:UNUSED_PAD src0_sel:WORD_1 src1_sel:DWORD
	s_movk_i32 s4, 0x7f
	v_cmp_lt_i16_e32 vcc, s4, v11
	s_mov_b64 s[4:5], 0
                                        ; implicit-def: $sgpr10
	s_and_saveexec_b64 s[6:7], vcc
	s_xor_b64 s[6:7], exec, s[6:7]
	s_cbranch_execnz .LBB12_3185
; %bb.1137:
	s_or_saveexec_b64 s[6:7], s[6:7]
	v_mov_b32_e32 v10, s10
	s_xor_b64 exec, exec, s[6:7]
	s_cbranch_execnz .LBB12_3188
.LBB12_1138:
	s_or_b64 exec, exec, s[6:7]
	s_and_saveexec_b64 s[6:7], s[4:5]
	s_cbranch_execz .LBB12_1140
.LBB12_1139:
	v_bfe_u32 v10, v17, 16, 3
	v_ffbh_u32_e32 v14, v10
	v_min_u32_e32 v14, 32, v14
	v_lshrrev_b32_e32 v11, 19, v17
	v_subrev_u32_e32 v15, 28, v14
	v_and_b32_e32 v11, 15, v11
	v_lshlrev_b32_sdwa v15, v15, v17 dst_sel:DWORD dst_unused:UNUSED_PAD src0_sel:DWORD src1_sel:WORD_1
	v_bfe_u32 v12, v17, 19, 4
	v_sub_u32_e32 v14, 29, v14
	v_and_b32_e32 v15, 7, v15
	v_cmp_eq_u16_e32 vcc, 0, v11
	v_cndmask_b32_e32 v10, v10, v15, vcc
	v_cndmask_b32_e32 v11, v12, v14, vcc
	v_lshlrev_b32_e32 v12, 8, v17
	v_mov_b32_e32 v14, 0x3b800000
	v_lshlrev_b32_e32 v10, 20, v10
	v_and_b32_e32 v12, 0x80000000, v12
	v_lshl_add_u32 v11, v11, 23, v14
	v_or3_b32 v10, v12, v11, v10
.LBB12_1140:
	s_or_b64 exec, exec, s[6:7]
	s_movk_i32 s4, 0xff
	v_and_b32_sdwa v11, v13, s4 dst_sel:DWORD dst_unused:UNUSED_PAD src0_sel:WORD_1 src1_sel:DWORD
	s_movk_i32 s4, 0x7f
	v_cmp_lt_i16_e32 vcc, s4, v11
	s_mov_b64 s[4:5], 0
                                        ; implicit-def: $sgpr10
	s_and_saveexec_b64 s[6:7], vcc
	s_xor_b64 s[6:7], exec, s[6:7]
	s_cbranch_execnz .LBB12_3189
; %bb.1141:
	s_or_saveexec_b64 s[6:7], s[6:7]
	v_mov_b32_e32 v12, s10
	s_xor_b64 exec, exec, s[6:7]
	s_cbranch_execnz .LBB12_3192
.LBB12_1142:
	s_or_b64 exec, exec, s[6:7]
	s_and_saveexec_b64 s[6:7], s[4:5]
	s_cbranch_execz .LBB12_1144
.LBB12_1143:
	v_bfe_u32 v11, v13, 16, 3
	v_ffbh_u32_e32 v15, v11
	v_min_u32_e32 v15, 32, v15
	v_lshrrev_b32_e32 v12, 19, v13
	v_subrev_u32_e32 v16, 28, v15
	v_and_b32_e32 v12, 15, v12
	v_lshlrev_b32_sdwa v16, v16, v13 dst_sel:DWORD dst_unused:UNUSED_PAD src0_sel:DWORD src1_sel:WORD_1
	v_bfe_u32 v14, v13, 19, 4
	v_sub_u32_e32 v15, 29, v15
	v_and_b32_e32 v16, 7, v16
	v_cmp_eq_u16_e32 vcc, 0, v12
	v_cndmask_b32_e32 v11, v11, v16, vcc
	v_cndmask_b32_e32 v12, v14, v15, vcc
	v_lshlrev_b32_e32 v14, 8, v13
	v_mov_b32_e32 v15, 0x3b800000
	v_lshlrev_b32_e32 v11, 20, v11
	v_and_b32_e32 v14, 0x80000000, v14
	v_lshl_add_u32 v12, v12, 23, v15
	v_or3_b32 v12, v14, v12, v11
.LBB12_1144:
	s_or_b64 exec, exec, s[6:7]
	s_nop 0
	v_mfma_f32_16x16x4f32 a[0:3], v10, v12, a[0:3]
	s_movk_i32 s4, 0x7f
	v_cmp_gt_i16_sdwa s[6:7], v17, s4 src0_sel:BYTE_3 src1_sel:DWORD
	s_mov_b64 s[4:5], 0
                                        ; implicit-def: $sgpr10
	s_and_saveexec_b64 s[8:9], s[6:7]
	s_xor_b64 s[6:7], exec, s[8:9]
	s_cbranch_execnz .LBB12_3193
; %bb.1145:
	s_or_saveexec_b64 s[6:7], s[6:7]
	v_mov_b32_e32 v10, s10
	s_xor_b64 exec, exec, s[6:7]
	s_cbranch_execnz .LBB12_3196
.LBB12_1146:
	s_or_b64 exec, exec, s[6:7]
	s_and_saveexec_b64 s[6:7], s[4:5]
	s_cbranch_execz .LBB12_1148
.LBB12_1147:
	v_bfe_u32 v10, v17, 24, 3
	v_ffbh_u32_e32 v15, v10
	v_min_u32_e32 v15, 32, v15
	v_lshrrev_b32_e32 v12, 27, v17
	v_subrev_u32_e32 v16, 28, v15
	v_and_b32_e32 v12, 15, v12
	v_lshlrev_b32_sdwa v16, v16, v17 dst_sel:DWORD dst_unused:UNUSED_PAD src0_sel:DWORD src1_sel:BYTE_3
	v_bfe_u32 v14, v17, 27, 4
	v_sub_u32_e32 v15, 29, v15
	v_and_b32_e32 v16, 7, v16
	v_cmp_eq_u16_e32 vcc, 0, v12
	v_cndmask_b32_e32 v10, v10, v16, vcc
	v_cndmask_b32_e32 v12, v14, v15, vcc
	v_mov_b32_e32 v14, 0x3b800000
	v_and_b32_e32 v11, 0x80000000, v17
	v_lshlrev_b32_e32 v10, 20, v10
	v_lshl_add_u32 v12, v12, 23, v14
	v_or3_b32 v10, v11, v12, v10
.LBB12_1148:
	s_or_b64 exec, exec, s[6:7]
	s_movk_i32 s4, 0x7f
	v_cmp_gt_i16_sdwa s[6:7], v13, s4 src0_sel:BYTE_3 src1_sel:DWORD
	s_mov_b64 s[4:5], 0
                                        ; implicit-def: $sgpr10
	s_and_saveexec_b64 s[8:9], s[6:7]
	s_xor_b64 s[6:7], exec, s[8:9]
	s_cbranch_execnz .LBB12_3197
; %bb.1149:
	s_or_saveexec_b64 s[6:7], s[6:7]
	v_mov_b32_e32 v11, s10
	s_xor_b64 exec, exec, s[6:7]
	s_cbranch_execnz .LBB12_3200
.LBB12_1150:
	s_or_b64 exec, exec, s[6:7]
	s_and_saveexec_b64 s[6:7], s[4:5]
	s_cbranch_execz .LBB12_1152
.LBB12_1151:
	v_bfe_u32 v11, v13, 24, 3
	v_ffbh_u32_e32 v16, v11
	v_min_u32_e32 v16, 32, v16
	v_lshrrev_b32_e32 v14, 27, v13
	v_subrev_u32_e32 v17, 28, v16
	v_and_b32_e32 v12, 0x80000000, v13
	v_and_b32_e32 v14, 15, v14
	v_bfe_u32 v15, v13, 27, 4
	v_lshlrev_b32_sdwa v13, v17, v13 dst_sel:DWORD dst_unused:UNUSED_PAD src0_sel:DWORD src1_sel:BYTE_3
	v_sub_u32_e32 v16, 29, v16
	v_and_b32_e32 v13, 7, v13
	v_cmp_eq_u16_e32 vcc, 0, v14
	v_cndmask_b32_e32 v11, v11, v13, vcc
	v_cndmask_b32_e32 v13, v15, v16, vcc
	v_mov_b32_e32 v14, 0x3b800000
	v_lshlrev_b32_e32 v11, 20, v11
	v_lshl_add_u32 v13, v13, 23, v14
	v_or3_b32 v11, v12, v13, v11
.LBB12_1152:
	s_or_b64 exec, exec, s[6:7]
	s_nop 0
	v_mfma_f32_16x16x4f32 a[0:3], v10, v11, a[0:3]
	s_movk_i32 s4, 0x7f
	v_cmp_gt_i16_sdwa s[6:7], v6, s4 src0_sel:BYTE_0 src1_sel:DWORD
	s_mov_b64 s[4:5], 0
                                        ; implicit-def: $sgpr10
	s_and_saveexec_b64 s[8:9], s[6:7]
	s_xor_b64 s[6:7], exec, s[8:9]
	s_cbranch_execnz .LBB12_3201
; %bb.1153:
	s_or_saveexec_b64 s[6:7], s[6:7]
	v_mov_b32_e32 v10, s10
	s_xor_b64 exec, exec, s[6:7]
	s_cbranch_execnz .LBB12_3204
.LBB12_1154:
	s_or_b64 exec, exec, s[6:7]
	s_and_saveexec_b64 s[6:7], s[4:5]
	s_cbranch_execz .LBB12_1156
.LBB12_1155:
	v_and_b32_e32 v10, 7, v6
	v_ffbh_u32_e32 v12, v10
	v_min_u32_e32 v12, 32, v12
	v_lshrrev_b16_e32 v11, 3, v6
	v_subrev_u32_e32 v13, 28, v12
	v_and_b32_e32 v11, 15, v11
	v_lshlrev_b32_e32 v13, v13, v6
	v_sub_u32_e32 v12, 29, v12
	v_and_b32_e32 v13, 7, v13
	v_cmp_eq_u16_e32 vcc, 0, v11
	v_cndmask_b32_e32 v10, v10, v13, vcc
	v_cndmask_b32_e32 v11, v11, v12, vcc
	v_lshlrev_b32_e32 v12, 24, v6
	v_mov_b32_e32 v13, 0x3b800000
	v_lshlrev_b32_e32 v10, 20, v10
	v_and_b32_e32 v12, 0x80000000, v12
	v_lshl_add_u32 v11, v11, 23, v13
	v_or3_b32 v10, v12, v11, v10
.LBB12_1156:
	s_or_b64 exec, exec, s[6:7]
	s_movk_i32 s4, 0x7f
	v_cmp_gt_i16_sdwa s[6:7], v2, s4 src0_sel:BYTE_0 src1_sel:DWORD
	s_mov_b64 s[4:5], 0
                                        ; implicit-def: $sgpr10
	s_and_saveexec_b64 s[8:9], s[6:7]
	s_xor_b64 s[6:7], exec, s[8:9]
	s_cbranch_execnz .LBB12_3205
; %bb.1157:
	s_or_saveexec_b64 s[6:7], s[6:7]
	v_mov_b32_e32 v11, s10
	s_xor_b64 exec, exec, s[6:7]
	s_cbranch_execnz .LBB12_3208
.LBB12_1158:
	s_or_b64 exec, exec, s[6:7]
	s_and_saveexec_b64 s[6:7], s[4:5]
	s_cbranch_execz .LBB12_1160
.LBB12_1159:
	v_and_b32_e32 v11, 7, v2
	v_ffbh_u32_e32 v13, v11
	v_min_u32_e32 v13, 32, v13
	v_lshrrev_b16_e32 v12, 3, v2
	v_subrev_u32_e32 v14, 28, v13
	v_and_b32_e32 v12, 15, v12
	v_lshlrev_b32_e32 v14, v14, v2
	v_sub_u32_e32 v13, 29, v13
	v_and_b32_e32 v14, 7, v14
	v_cmp_eq_u16_e32 vcc, 0, v12
	v_cndmask_b32_e32 v11, v11, v14, vcc
	v_cndmask_b32_e32 v12, v12, v13, vcc
	v_lshlrev_b32_e32 v13, 24, v2
	v_mov_b32_e32 v14, 0x3b800000
	v_lshlrev_b32_e32 v11, 20, v11
	v_and_b32_e32 v13, 0x80000000, v13
	v_lshl_add_u32 v12, v12, 23, v14
	v_or3_b32 v11, v13, v12, v11
.LBB12_1160:
	s_or_b64 exec, exec, s[6:7]
	s_nop 0
	v_mfma_f32_16x16x4f32 a[0:3], v10, v11, a[0:3]
	v_lshrrev_b32_e32 v11, 8, v6
	s_movk_i32 s4, 0x7f
	v_cmp_gt_i16_sdwa s[6:7], v11, s4 src0_sel:BYTE_0 src1_sel:DWORD
	s_mov_b64 s[4:5], 0
                                        ; implicit-def: $sgpr10
	s_and_saveexec_b64 s[8:9], s[6:7]
	s_xor_b64 s[6:7], exec, s[8:9]
	s_cbranch_execnz .LBB12_3209
; %bb.1161:
	s_or_saveexec_b64 s[6:7], s[6:7]
	v_mov_b32_e32 v10, s10
	s_xor_b64 exec, exec, s[6:7]
	s_cbranch_execnz .LBB12_3212
.LBB12_1162:
	s_or_b64 exec, exec, s[6:7]
	s_and_saveexec_b64 s[6:7], s[4:5]
	s_cbranch_execz .LBB12_1164
.LBB12_1163:
	v_bfe_u32 v10, v6, 8, 3
	v_ffbh_u32_e32 v13, v10
	v_min_u32_e32 v13, 32, v13
	v_lshrrev_b16_e32 v12, 3, v11
	v_subrev_u32_e32 v14, 28, v13
	v_and_b32_e32 v12, 15, v12
	v_lshlrev_b32_e32 v11, v14, v11
	v_sub_u32_e32 v13, 29, v13
	v_and_b32_e32 v11, 7, v11
	v_cmp_eq_u16_e32 vcc, 0, v12
	v_cndmask_b32_e32 v10, v10, v11, vcc
	v_cndmask_b32_e32 v11, v12, v13, vcc
	v_lshlrev_b32_e32 v12, 16, v6
	v_mov_b32_e32 v13, 0x3b800000
	v_lshlrev_b32_e32 v10, 20, v10
	v_and_b32_e32 v12, 0x80000000, v12
	v_lshl_add_u32 v11, v11, 23, v13
	v_or3_b32 v10, v12, v11, v10
.LBB12_1164:
	s_or_b64 exec, exec, s[6:7]
	v_lshrrev_b32_e32 v11, 8, v2
	s_movk_i32 s4, 0x7f
	v_cmp_gt_i16_sdwa s[6:7], v11, s4 src0_sel:BYTE_0 src1_sel:DWORD
	s_mov_b64 s[4:5], 0
                                        ; implicit-def: $sgpr10
	s_and_saveexec_b64 s[8:9], s[6:7]
	s_xor_b64 s[6:7], exec, s[8:9]
	s_cbranch_execnz .LBB12_3213
; %bb.1165:
	s_or_saveexec_b64 s[6:7], s[6:7]
	v_mov_b32_e32 v12, s10
	s_xor_b64 exec, exec, s[6:7]
	s_cbranch_execnz .LBB12_3216
.LBB12_1166:
	s_or_b64 exec, exec, s[6:7]
	s_and_saveexec_b64 s[6:7], s[4:5]
	s_cbranch_execz .LBB12_1168
.LBB12_1167:
	v_bfe_u32 v12, v2, 8, 3
	v_ffbh_u32_e32 v14, v12
	v_min_u32_e32 v14, 32, v14
	v_lshrrev_b16_e32 v13, 3, v11
	v_subrev_u32_e32 v15, 28, v14
	v_and_b32_e32 v13, 15, v13
	v_lshlrev_b32_e32 v11, v15, v11
	v_sub_u32_e32 v14, 29, v14
	v_and_b32_e32 v11, 7, v11
	v_cmp_eq_u16_e32 vcc, 0, v13
	v_cndmask_b32_e32 v11, v12, v11, vcc
	v_cndmask_b32_e32 v12, v13, v14, vcc
	v_lshlrev_b32_e32 v13, 16, v2
	v_mov_b32_e32 v14, 0x3b800000
	v_lshlrev_b32_e32 v11, 20, v11
	v_and_b32_e32 v13, 0x80000000, v13
	v_lshl_add_u32 v12, v12, 23, v14
	v_or3_b32 v12, v13, v12, v11
.LBB12_1168:
	s_or_b64 exec, exec, s[6:7]
	s_nop 0
	v_mfma_f32_16x16x4f32 a[0:3], v10, v12, a[0:3]
	s_movk_i32 s4, 0xff
	v_and_b32_sdwa v11, v6, s4 dst_sel:DWORD dst_unused:UNUSED_PAD src0_sel:WORD_1 src1_sel:DWORD
	s_movk_i32 s4, 0x7f
	v_cmp_lt_i16_e32 vcc, s4, v11
	s_mov_b64 s[4:5], 0
                                        ; implicit-def: $sgpr10
	s_and_saveexec_b64 s[6:7], vcc
	s_xor_b64 s[6:7], exec, s[6:7]
	s_cbranch_execnz .LBB12_3217
; %bb.1169:
	s_or_saveexec_b64 s[6:7], s[6:7]
	v_mov_b32_e32 v10, s10
	s_xor_b64 exec, exec, s[6:7]
	s_cbranch_execnz .LBB12_3220
.LBB12_1170:
	s_or_b64 exec, exec, s[6:7]
	s_and_saveexec_b64 s[6:7], s[4:5]
	s_cbranch_execz .LBB12_1172
.LBB12_1171:
	v_bfe_u32 v10, v6, 16, 3
	v_ffbh_u32_e32 v13, v10
	v_min_u32_e32 v13, 32, v13
	v_lshrrev_b32_e32 v11, 19, v6
	v_subrev_u32_e32 v14, 28, v13
	v_and_b32_e32 v11, 15, v11
	v_lshlrev_b32_sdwa v14, v14, v6 dst_sel:DWORD dst_unused:UNUSED_PAD src0_sel:DWORD src1_sel:WORD_1
	v_bfe_u32 v12, v6, 19, 4
	v_sub_u32_e32 v13, 29, v13
	v_and_b32_e32 v14, 7, v14
	v_cmp_eq_u16_e32 vcc, 0, v11
	v_cndmask_b32_e32 v10, v10, v14, vcc
	v_cndmask_b32_e32 v11, v12, v13, vcc
	v_lshlrev_b32_e32 v12, 8, v6
	v_mov_b32_e32 v13, 0x3b800000
	v_lshlrev_b32_e32 v10, 20, v10
	v_and_b32_e32 v12, 0x80000000, v12
	v_lshl_add_u32 v11, v11, 23, v13
	v_or3_b32 v10, v12, v11, v10
.LBB12_1172:
	s_or_b64 exec, exec, s[6:7]
	s_movk_i32 s4, 0xff
	v_and_b32_sdwa v11, v2, s4 dst_sel:DWORD dst_unused:UNUSED_PAD src0_sel:WORD_1 src1_sel:DWORD
	s_movk_i32 s4, 0x7f
	v_cmp_lt_i16_e32 vcc, s4, v11
	s_mov_b64 s[4:5], 0
                                        ; implicit-def: $sgpr10
	s_and_saveexec_b64 s[6:7], vcc
	s_xor_b64 s[6:7], exec, s[6:7]
	s_cbranch_execnz .LBB12_3221
; %bb.1173:
	s_or_saveexec_b64 s[6:7], s[6:7]
	v_mov_b32_e32 v12, s10
	s_xor_b64 exec, exec, s[6:7]
	s_cbranch_execnz .LBB12_3224
.LBB12_1174:
	s_or_b64 exec, exec, s[6:7]
	s_and_saveexec_b64 s[6:7], s[4:5]
	s_cbranch_execz .LBB12_1176
.LBB12_1175:
	v_bfe_u32 v11, v2, 16, 3
	v_ffbh_u32_e32 v14, v11
	v_min_u32_e32 v14, 32, v14
	v_lshrrev_b32_e32 v12, 19, v2
	v_subrev_u32_e32 v15, 28, v14
	v_and_b32_e32 v12, 15, v12
	v_lshlrev_b32_sdwa v15, v15, v2 dst_sel:DWORD dst_unused:UNUSED_PAD src0_sel:DWORD src1_sel:WORD_1
	v_bfe_u32 v13, v2, 19, 4
	v_sub_u32_e32 v14, 29, v14
	v_and_b32_e32 v15, 7, v15
	v_cmp_eq_u16_e32 vcc, 0, v12
	v_cndmask_b32_e32 v11, v11, v15, vcc
	v_cndmask_b32_e32 v12, v13, v14, vcc
	v_lshlrev_b32_e32 v13, 8, v2
	v_mov_b32_e32 v14, 0x3b800000
	v_lshlrev_b32_e32 v11, 20, v11
	v_and_b32_e32 v13, 0x80000000, v13
	v_lshl_add_u32 v12, v12, 23, v14
	v_or3_b32 v12, v13, v12, v11
.LBB12_1176:
	s_or_b64 exec, exec, s[6:7]
	s_nop 0
	v_mfma_f32_16x16x4f32 a[0:3], v10, v12, a[0:3]
	s_movk_i32 s4, 0x7f
	v_cmp_gt_i16_sdwa s[6:7], v6, s4 src0_sel:BYTE_3 src1_sel:DWORD
	s_mov_b64 s[4:5], 0
                                        ; implicit-def: $sgpr10
	s_and_saveexec_b64 s[8:9], s[6:7]
	s_xor_b64 s[6:7], exec, s[8:9]
	s_cbranch_execnz .LBB12_3225
; %bb.1177:
	s_or_saveexec_b64 s[6:7], s[6:7]
	v_mov_b32_e32 v10, s10
	s_xor_b64 exec, exec, s[6:7]
	s_cbranch_execnz .LBB12_3228
.LBB12_1178:
	s_or_b64 exec, exec, s[6:7]
	s_and_saveexec_b64 s[6:7], s[4:5]
	s_cbranch_execz .LBB12_1180
.LBB12_1179:
	v_bfe_u32 v10, v6, 24, 3
	v_ffbh_u32_e32 v14, v10
	v_min_u32_e32 v14, 32, v14
	v_lshrrev_b32_e32 v12, 27, v6
	v_subrev_u32_e32 v15, 28, v14
	v_and_b32_e32 v11, 0x80000000, v6
	v_and_b32_e32 v12, 15, v12
	v_bfe_u32 v13, v6, 27, 4
	v_lshlrev_b32_sdwa v6, v15, v6 dst_sel:DWORD dst_unused:UNUSED_PAD src0_sel:DWORD src1_sel:BYTE_3
	v_sub_u32_e32 v14, 29, v14
	v_and_b32_e32 v6, 7, v6
	v_cmp_eq_u16_e32 vcc, 0, v12
	v_cndmask_b32_e32 v6, v10, v6, vcc
	v_cndmask_b32_e32 v10, v13, v14, vcc
	v_mov_b32_e32 v12, 0x3b800000
	v_lshlrev_b32_e32 v6, 20, v6
	v_lshl_add_u32 v10, v10, 23, v12
	v_or3_b32 v10, v11, v10, v6
.LBB12_1180:
	s_or_b64 exec, exec, s[6:7]
	s_movk_i32 s4, 0x7f
	v_cmp_gt_i16_sdwa s[6:7], v2, s4 src0_sel:BYTE_3 src1_sel:DWORD
	s_mov_b64 s[4:5], 0
                                        ; implicit-def: $sgpr10
	s_and_saveexec_b64 s[8:9], s[6:7]
	s_xor_b64 s[6:7], exec, s[8:9]
	s_cbranch_execnz .LBB12_3229
; %bb.1181:
	s_or_saveexec_b64 s[6:7], s[6:7]
	v_mov_b32_e32 v6, s10
	s_xor_b64 exec, exec, s[6:7]
	s_cbranch_execnz .LBB12_3232
.LBB12_1182:
	s_or_b64 exec, exec, s[6:7]
	s_and_saveexec_b64 s[6:7], s[4:5]
	s_cbranch_execz .LBB12_1184
.LBB12_1183:
	v_bfe_u32 v6, v2, 24, 3
	v_ffbh_u32_e32 v14, v6
	v_min_u32_e32 v14, 32, v14
	v_lshrrev_b32_e32 v12, 27, v2
	v_subrev_u32_e32 v15, 28, v14
	v_and_b32_e32 v11, 0x80000000, v2
	v_and_b32_e32 v12, 15, v12
	v_bfe_u32 v13, v2, 27, 4
	v_lshlrev_b32_sdwa v2, v15, v2 dst_sel:DWORD dst_unused:UNUSED_PAD src0_sel:DWORD src1_sel:BYTE_3
	v_sub_u32_e32 v14, 29, v14
	v_and_b32_e32 v2, 7, v2
	v_cmp_eq_u16_e32 vcc, 0, v12
	v_cndmask_b32_e32 v2, v6, v2, vcc
	v_cndmask_b32_e32 v6, v13, v14, vcc
	v_mov_b32_e32 v12, 0x3b800000
	v_lshlrev_b32_e32 v2, 20, v2
	v_lshl_add_u32 v6, v6, 23, v12
	v_or3_b32 v6, v11, v6, v2
.LBB12_1184:
	s_or_b64 exec, exec, s[6:7]
	s_nop 0
	v_mfma_f32_16x16x4f32 a[0:3], v10, v6, a[0:3]
	s_movk_i32 s4, 0x7f
	v_cmp_gt_i16_sdwa s[6:7], v7, s4 src0_sel:BYTE_0 src1_sel:DWORD
	s_mov_b64 s[4:5], 0
                                        ; implicit-def: $sgpr10
	s_and_saveexec_b64 s[8:9], s[6:7]
	s_xor_b64 s[6:7], exec, s[8:9]
	s_cbranch_execnz .LBB12_3233
; %bb.1185:
	s_or_saveexec_b64 s[6:7], s[6:7]
	v_mov_b32_e32 v2, s10
	s_xor_b64 exec, exec, s[6:7]
	s_cbranch_execnz .LBB12_3236
.LBB12_1186:
	s_or_b64 exec, exec, s[6:7]
	s_and_saveexec_b64 s[6:7], s[4:5]
	s_cbranch_execz .LBB12_1188
.LBB12_1187:
	v_and_b32_e32 v2, 7, v7
	v_ffbh_u32_e32 v10, v2
	v_min_u32_e32 v10, 32, v10
	v_lshrrev_b16_e32 v6, 3, v7
	v_subrev_u32_e32 v11, 28, v10
	v_and_b32_e32 v6, 15, v6
	v_lshlrev_b32_e32 v11, v11, v7
	v_sub_u32_e32 v10, 29, v10
	v_and_b32_e32 v11, 7, v11
	v_cmp_eq_u16_e32 vcc, 0, v6
	v_cndmask_b32_e32 v2, v2, v11, vcc
	v_cndmask_b32_e32 v6, v6, v10, vcc
	v_lshlrev_b32_e32 v10, 24, v7
	v_mov_b32_e32 v11, 0x3b800000
	v_lshlrev_b32_e32 v2, 20, v2
	v_and_b32_e32 v10, 0x80000000, v10
	v_lshl_add_u32 v6, v6, 23, v11
	v_or3_b32 v2, v10, v6, v2
.LBB12_1188:
	s_or_b64 exec, exec, s[6:7]
	s_movk_i32 s4, 0x7f
	v_cmp_gt_i16_sdwa s[6:7], v3, s4 src0_sel:BYTE_0 src1_sel:DWORD
	s_mov_b64 s[4:5], 0
                                        ; implicit-def: $sgpr10
	s_and_saveexec_b64 s[8:9], s[6:7]
	s_xor_b64 s[6:7], exec, s[8:9]
	s_cbranch_execnz .LBB12_3237
; %bb.1189:
	s_or_saveexec_b64 s[6:7], s[6:7]
	v_mov_b32_e32 v6, s10
	s_xor_b64 exec, exec, s[6:7]
	s_cbranch_execnz .LBB12_3240
.LBB12_1190:
	s_or_b64 exec, exec, s[6:7]
	s_and_saveexec_b64 s[6:7], s[4:5]
	s_cbranch_execz .LBB12_1192
.LBB12_1191:
	v_and_b32_e32 v6, 7, v3
	v_ffbh_u32_e32 v11, v6
	v_min_u32_e32 v11, 32, v11
	v_lshrrev_b16_e32 v10, 3, v3
	v_subrev_u32_e32 v12, 28, v11
	v_and_b32_e32 v10, 15, v10
	v_lshlrev_b32_e32 v12, v12, v3
	v_sub_u32_e32 v11, 29, v11
	v_and_b32_e32 v12, 7, v12
	v_cmp_eq_u16_e32 vcc, 0, v10
	v_cndmask_b32_e32 v6, v6, v12, vcc
	v_cndmask_b32_e32 v10, v10, v11, vcc
	v_lshlrev_b32_e32 v11, 24, v3
	v_mov_b32_e32 v12, 0x3b800000
	v_lshlrev_b32_e32 v6, 20, v6
	v_and_b32_e32 v11, 0x80000000, v11
	v_lshl_add_u32 v10, v10, 23, v12
	v_or3_b32 v6, v11, v10, v6
.LBB12_1192:
	s_or_b64 exec, exec, s[6:7]
	s_nop 0
	v_mfma_f32_16x16x4f32 a[0:3], v2, v6, a[0:3]
	v_lshrrev_b32_e32 v6, 8, v7
	s_movk_i32 s4, 0x7f
	v_cmp_gt_i16_sdwa s[6:7], v6, s4 src0_sel:BYTE_0 src1_sel:DWORD
	s_mov_b64 s[4:5], 0
                                        ; implicit-def: $sgpr10
	s_and_saveexec_b64 s[8:9], s[6:7]
	s_xor_b64 s[6:7], exec, s[8:9]
	s_cbranch_execnz .LBB12_3241
; %bb.1193:
	s_or_saveexec_b64 s[6:7], s[6:7]
	v_mov_b32_e32 v2, s10
	s_xor_b64 exec, exec, s[6:7]
	s_cbranch_execnz .LBB12_3244
.LBB12_1194:
	s_or_b64 exec, exec, s[6:7]
	s_and_saveexec_b64 s[6:7], s[4:5]
	s_cbranch_execz .LBB12_1196
.LBB12_1195:
	v_bfe_u32 v2, v7, 8, 3
	v_ffbh_u32_e32 v11, v2
	v_min_u32_e32 v11, 32, v11
	v_lshrrev_b16_e32 v10, 3, v6
	v_subrev_u32_e32 v12, 28, v11
	v_and_b32_e32 v10, 15, v10
	v_lshlrev_b32_e32 v6, v12, v6
	v_sub_u32_e32 v11, 29, v11
	v_and_b32_e32 v6, 7, v6
	v_cmp_eq_u16_e32 vcc, 0, v10
	v_cndmask_b32_e32 v2, v2, v6, vcc
	v_cndmask_b32_e32 v6, v10, v11, vcc
	v_lshlrev_b32_e32 v10, 16, v7
	v_mov_b32_e32 v11, 0x3b800000
	v_lshlrev_b32_e32 v2, 20, v2
	v_and_b32_e32 v10, 0x80000000, v10
	v_lshl_add_u32 v6, v6, 23, v11
	v_or3_b32 v2, v10, v6, v2
.LBB12_1196:
	s_or_b64 exec, exec, s[6:7]
	v_lshrrev_b32_e32 v6, 8, v3
	s_movk_i32 s4, 0x7f
	v_cmp_gt_i16_sdwa s[6:7], v6, s4 src0_sel:BYTE_0 src1_sel:DWORD
	s_mov_b64 s[4:5], 0
                                        ; implicit-def: $sgpr10
	s_and_saveexec_b64 s[8:9], s[6:7]
	s_xor_b64 s[6:7], exec, s[8:9]
	s_cbranch_execnz .LBB12_3245
; %bb.1197:
	s_or_saveexec_b64 s[6:7], s[6:7]
	v_mov_b32_e32 v10, s10
	s_xor_b64 exec, exec, s[6:7]
	s_cbranch_execnz .LBB12_3248
.LBB12_1198:
	s_or_b64 exec, exec, s[6:7]
	s_and_saveexec_b64 s[6:7], s[4:5]
	s_cbranch_execz .LBB12_1200
.LBB12_1199:
	v_bfe_u32 v10, v3, 8, 3
	v_ffbh_u32_e32 v12, v10
	v_min_u32_e32 v12, 32, v12
	v_lshrrev_b16_e32 v11, 3, v6
	v_subrev_u32_e32 v13, 28, v12
	v_and_b32_e32 v11, 15, v11
	v_lshlrev_b32_e32 v6, v13, v6
	v_sub_u32_e32 v12, 29, v12
	v_and_b32_e32 v6, 7, v6
	v_cmp_eq_u16_e32 vcc, 0, v11
	v_cndmask_b32_e32 v6, v10, v6, vcc
	v_cndmask_b32_e32 v10, v11, v12, vcc
	v_lshlrev_b32_e32 v11, 16, v3
	v_mov_b32_e32 v12, 0x3b800000
	v_lshlrev_b32_e32 v6, 20, v6
	v_and_b32_e32 v11, 0x80000000, v11
	v_lshl_add_u32 v10, v10, 23, v12
	v_or3_b32 v10, v11, v10, v6
.LBB12_1200:
	s_or_b64 exec, exec, s[6:7]
	s_nop 0
	v_mfma_f32_16x16x4f32 a[0:3], v2, v10, a[0:3]
	s_movk_i32 s4, 0xff
	v_and_b32_sdwa v6, v7, s4 dst_sel:DWORD dst_unused:UNUSED_PAD src0_sel:WORD_1 src1_sel:DWORD
	s_movk_i32 s4, 0x7f
	v_cmp_lt_i16_e32 vcc, s4, v6
	s_mov_b64 s[4:5], 0
                                        ; implicit-def: $sgpr10
	s_and_saveexec_b64 s[6:7], vcc
	s_xor_b64 s[6:7], exec, s[6:7]
	s_cbranch_execnz .LBB12_3249
; %bb.1201:
	s_or_saveexec_b64 s[6:7], s[6:7]
	v_mov_b32_e32 v2, s10
	s_xor_b64 exec, exec, s[6:7]
	s_cbranch_execnz .LBB12_3252
.LBB12_1202:
	s_or_b64 exec, exec, s[6:7]
	s_and_saveexec_b64 s[6:7], s[4:5]
	s_cbranch_execz .LBB12_1204
.LBB12_1203:
	v_bfe_u32 v2, v7, 16, 3
	v_ffbh_u32_e32 v11, v2
	v_min_u32_e32 v11, 32, v11
	v_lshrrev_b32_e32 v6, 19, v7
	v_subrev_u32_e32 v12, 28, v11
	v_and_b32_e32 v6, 15, v6
	v_lshlrev_b32_sdwa v12, v12, v7 dst_sel:DWORD dst_unused:UNUSED_PAD src0_sel:DWORD src1_sel:WORD_1
	v_bfe_u32 v10, v7, 19, 4
	v_sub_u32_e32 v11, 29, v11
	v_and_b32_e32 v12, 7, v12
	v_cmp_eq_u16_e32 vcc, 0, v6
	v_cndmask_b32_e32 v2, v2, v12, vcc
	v_cndmask_b32_e32 v6, v10, v11, vcc
	v_lshlrev_b32_e32 v10, 8, v7
	v_mov_b32_e32 v11, 0x3b800000
	v_lshlrev_b32_e32 v2, 20, v2
	v_and_b32_e32 v10, 0x80000000, v10
	v_lshl_add_u32 v6, v6, 23, v11
	v_or3_b32 v2, v10, v6, v2
.LBB12_1204:
	s_or_b64 exec, exec, s[6:7]
	s_movk_i32 s4, 0xff
	v_and_b32_sdwa v6, v3, s4 dst_sel:DWORD dst_unused:UNUSED_PAD src0_sel:WORD_1 src1_sel:DWORD
	s_movk_i32 s4, 0x7f
	v_cmp_lt_i16_e32 vcc, s4, v6
	s_mov_b64 s[4:5], 0
                                        ; implicit-def: $sgpr10
	s_and_saveexec_b64 s[6:7], vcc
	s_xor_b64 s[6:7], exec, s[6:7]
	s_cbranch_execnz .LBB12_3253
; %bb.1205:
	s_or_saveexec_b64 s[6:7], s[6:7]
	v_mov_b32_e32 v10, s10
	s_xor_b64 exec, exec, s[6:7]
	s_cbranch_execnz .LBB12_3256
.LBB12_1206:
	s_or_b64 exec, exec, s[6:7]
	s_and_saveexec_b64 s[6:7], s[4:5]
	s_cbranch_execz .LBB12_1208
.LBB12_1207:
	v_bfe_u32 v6, v3, 16, 3
	v_ffbh_u32_e32 v12, v6
	v_min_u32_e32 v12, 32, v12
	v_lshrrev_b32_e32 v10, 19, v3
	v_subrev_u32_e32 v13, 28, v12
	v_and_b32_e32 v10, 15, v10
	v_lshlrev_b32_sdwa v13, v13, v3 dst_sel:DWORD dst_unused:UNUSED_PAD src0_sel:DWORD src1_sel:WORD_1
	v_bfe_u32 v11, v3, 19, 4
	v_sub_u32_e32 v12, 29, v12
	v_and_b32_e32 v13, 7, v13
	v_cmp_eq_u16_e32 vcc, 0, v10
	v_cndmask_b32_e32 v6, v6, v13, vcc
	v_cndmask_b32_e32 v10, v11, v12, vcc
	v_lshlrev_b32_e32 v11, 8, v3
	v_mov_b32_e32 v12, 0x3b800000
	v_lshlrev_b32_e32 v6, 20, v6
	v_and_b32_e32 v11, 0x80000000, v11
	v_lshl_add_u32 v10, v10, 23, v12
	v_or3_b32 v10, v11, v10, v6
.LBB12_1208:
	s_or_b64 exec, exec, s[6:7]
	s_nop 0
	v_mfma_f32_16x16x4f32 a[0:3], v2, v10, a[0:3]
	s_movk_i32 s4, 0x7f
	v_cmp_gt_i16_sdwa s[6:7], v7, s4 src0_sel:BYTE_3 src1_sel:DWORD
	s_mov_b64 s[4:5], 0
                                        ; implicit-def: $sgpr10
	s_and_saveexec_b64 s[8:9], s[6:7]
	s_xor_b64 s[6:7], exec, s[8:9]
	s_cbranch_execnz .LBB12_3257
; %bb.1209:
	s_or_saveexec_b64 s[6:7], s[6:7]
	v_mov_b32_e32 v2, s10
	s_xor_b64 exec, exec, s[6:7]
	s_cbranch_execnz .LBB12_3260
.LBB12_1210:
	s_or_b64 exec, exec, s[6:7]
	s_and_saveexec_b64 s[6:7], s[4:5]
	s_cbranch_execz .LBB12_1212
.LBB12_1211:
	v_bfe_u32 v2, v7, 24, 3
	v_ffbh_u32_e32 v12, v2
	v_min_u32_e32 v12, 32, v12
	v_lshrrev_b32_e32 v10, 27, v7
	v_subrev_u32_e32 v13, 28, v12
	v_and_b32_e32 v6, 0x80000000, v7
	v_and_b32_e32 v10, 15, v10
	v_bfe_u32 v11, v7, 27, 4
	v_lshlrev_b32_sdwa v7, v13, v7 dst_sel:DWORD dst_unused:UNUSED_PAD src0_sel:DWORD src1_sel:BYTE_3
	v_sub_u32_e32 v12, 29, v12
	v_and_b32_e32 v7, 7, v7
	v_cmp_eq_u16_e32 vcc, 0, v10
	v_cndmask_b32_e32 v2, v2, v7, vcc
	v_cndmask_b32_e32 v7, v11, v12, vcc
	v_mov_b32_e32 v10, 0x3b800000
	v_lshlrev_b32_e32 v2, 20, v2
	v_lshl_add_u32 v7, v7, 23, v10
	v_or3_b32 v2, v6, v7, v2
.LBB12_1212:
	s_or_b64 exec, exec, s[6:7]
	s_movk_i32 s4, 0x7f
	v_cmp_gt_i16_sdwa s[6:7], v3, s4 src0_sel:BYTE_3 src1_sel:DWORD
	s_mov_b64 s[4:5], 0
                                        ; implicit-def: $sgpr10
	s_and_saveexec_b64 s[8:9], s[6:7]
	s_xor_b64 s[6:7], exec, s[8:9]
	s_cbranch_execnz .LBB12_3261
; %bb.1213:
	s_or_saveexec_b64 s[6:7], s[6:7]
	v_mov_b32_e32 v6, s10
	s_xor_b64 exec, exec, s[6:7]
	s_cbranch_execnz .LBB12_3264
.LBB12_1214:
	s_or_b64 exec, exec, s[6:7]
	s_and_saveexec_b64 s[6:7], s[4:5]
	s_cbranch_execz .LBB12_1216
.LBB12_1215:
	v_bfe_u32 v6, v3, 24, 3
	v_ffbh_u32_e32 v12, v6
	v_min_u32_e32 v12, 32, v12
	v_lshrrev_b32_e32 v10, 27, v3
	v_subrev_u32_e32 v13, 28, v12
	v_and_b32_e32 v7, 0x80000000, v3
	v_and_b32_e32 v10, 15, v10
	v_bfe_u32 v11, v3, 27, 4
	v_lshlrev_b32_sdwa v3, v13, v3 dst_sel:DWORD dst_unused:UNUSED_PAD src0_sel:DWORD src1_sel:BYTE_3
	v_sub_u32_e32 v12, 29, v12
	v_and_b32_e32 v3, 7, v3
	v_cmp_eq_u16_e32 vcc, 0, v10
	v_cndmask_b32_e32 v3, v6, v3, vcc
	v_cndmask_b32_e32 v6, v11, v12, vcc
	v_mov_b32_e32 v10, 0x3b800000
	v_lshlrev_b32_e32 v3, 20, v3
	v_lshl_add_u32 v6, v6, 23, v10
	v_or3_b32 v6, v7, v6, v3
.LBB12_1216:
	s_or_b64 exec, exec, s[6:7]
	s_nop 0
	v_mfma_f32_16x16x4f32 a[0:3], v2, v6, a[0:3]
	s_movk_i32 s4, 0x7f
	v_cmp_gt_i16_sdwa s[6:7], v8, s4 src0_sel:BYTE_0 src1_sel:DWORD
	s_mov_b64 s[4:5], 0
                                        ; implicit-def: $sgpr10
	s_and_saveexec_b64 s[8:9], s[6:7]
	s_xor_b64 s[6:7], exec, s[8:9]
	s_cbranch_execnz .LBB12_3265
; %bb.1217:
	s_or_saveexec_b64 s[6:7], s[6:7]
	v_mov_b32_e32 v2, s10
	s_xor_b64 exec, exec, s[6:7]
	s_cbranch_execnz .LBB12_3268
.LBB12_1218:
	s_or_b64 exec, exec, s[6:7]
	s_and_saveexec_b64 s[6:7], s[4:5]
	s_cbranch_execz .LBB12_1220
.LBB12_1219:
	v_and_b32_e32 v2, 7, v8
	v_ffbh_u32_e32 v6, v2
	v_min_u32_e32 v6, 32, v6
	v_lshrrev_b16_e32 v3, 3, v8
	v_subrev_u32_e32 v7, 28, v6
	v_and_b32_e32 v3, 15, v3
	v_lshlrev_b32_e32 v7, v7, v8
	v_sub_u32_e32 v6, 29, v6
	v_and_b32_e32 v7, 7, v7
	v_cmp_eq_u16_e32 vcc, 0, v3
	v_cndmask_b32_e32 v2, v2, v7, vcc
	v_cndmask_b32_e32 v3, v3, v6, vcc
	v_lshlrev_b32_e32 v6, 24, v8
	v_mov_b32_e32 v7, 0x3b800000
	v_lshlrev_b32_e32 v2, 20, v2
	v_and_b32_e32 v6, 0x80000000, v6
	v_lshl_add_u32 v3, v3, 23, v7
	v_or3_b32 v2, v6, v3, v2
.LBB12_1220:
	s_or_b64 exec, exec, s[6:7]
	s_movk_i32 s4, 0x7f
	v_cmp_gt_i16_sdwa s[6:7], v4, s4 src0_sel:BYTE_0 src1_sel:DWORD
	s_mov_b64 s[4:5], 0
                                        ; implicit-def: $sgpr10
	s_and_saveexec_b64 s[8:9], s[6:7]
	s_xor_b64 s[6:7], exec, s[8:9]
	s_cbranch_execnz .LBB12_3269
; %bb.1221:
	s_or_saveexec_b64 s[6:7], s[6:7]
	v_mov_b32_e32 v3, s10
	s_xor_b64 exec, exec, s[6:7]
	s_cbranch_execnz .LBB12_3272
.LBB12_1222:
	s_or_b64 exec, exec, s[6:7]
	s_and_saveexec_b64 s[6:7], s[4:5]
	s_cbranch_execz .LBB12_1224
.LBB12_1223:
	v_and_b32_e32 v3, 7, v4
	v_ffbh_u32_e32 v7, v3
	v_min_u32_e32 v7, 32, v7
	v_lshrrev_b16_e32 v6, 3, v4
	v_subrev_u32_e32 v10, 28, v7
	v_and_b32_e32 v6, 15, v6
	v_lshlrev_b32_e32 v10, v10, v4
	v_sub_u32_e32 v7, 29, v7
	v_and_b32_e32 v10, 7, v10
	v_cmp_eq_u16_e32 vcc, 0, v6
	v_cndmask_b32_e32 v3, v3, v10, vcc
	v_cndmask_b32_e32 v6, v6, v7, vcc
	v_lshlrev_b32_e32 v7, 24, v4
	v_mov_b32_e32 v10, 0x3b800000
	v_lshlrev_b32_e32 v3, 20, v3
	v_and_b32_e32 v7, 0x80000000, v7
	v_lshl_add_u32 v6, v6, 23, v10
	v_or3_b32 v3, v7, v6, v3
.LBB12_1224:
	s_or_b64 exec, exec, s[6:7]
	s_nop 0
	v_mfma_f32_16x16x4f32 a[0:3], v2, v3, a[0:3]
	v_lshrrev_b32_e32 v3, 8, v8
	s_movk_i32 s4, 0x7f
	v_cmp_gt_i16_sdwa s[6:7], v3, s4 src0_sel:BYTE_0 src1_sel:DWORD
	s_mov_b64 s[4:5], 0
                                        ; implicit-def: $sgpr10
	s_and_saveexec_b64 s[8:9], s[6:7]
	s_xor_b64 s[6:7], exec, s[8:9]
	s_cbranch_execnz .LBB12_3273
; %bb.1225:
	s_or_saveexec_b64 s[6:7], s[6:7]
	v_mov_b32_e32 v2, s10
	s_xor_b64 exec, exec, s[6:7]
	s_cbranch_execnz .LBB12_3276
.LBB12_1226:
	s_or_b64 exec, exec, s[6:7]
	s_and_saveexec_b64 s[6:7], s[4:5]
	s_cbranch_execz .LBB12_1228
.LBB12_1227:
	v_bfe_u32 v2, v8, 8, 3
	v_ffbh_u32_e32 v7, v2
	v_min_u32_e32 v7, 32, v7
	v_lshrrev_b16_e32 v6, 3, v3
	v_subrev_u32_e32 v10, 28, v7
	v_and_b32_e32 v6, 15, v6
	v_lshlrev_b32_e32 v3, v10, v3
	v_sub_u32_e32 v7, 29, v7
	v_and_b32_e32 v3, 7, v3
	v_cmp_eq_u16_e32 vcc, 0, v6
	v_cndmask_b32_e32 v2, v2, v3, vcc
	v_cndmask_b32_e32 v3, v6, v7, vcc
	v_lshlrev_b32_e32 v6, 16, v8
	v_mov_b32_e32 v7, 0x3b800000
	v_lshlrev_b32_e32 v2, 20, v2
	v_and_b32_e32 v6, 0x80000000, v6
	v_lshl_add_u32 v3, v3, 23, v7
	v_or3_b32 v2, v6, v3, v2
.LBB12_1228:
	s_or_b64 exec, exec, s[6:7]
	v_lshrrev_b32_e32 v3, 8, v4
	s_movk_i32 s4, 0x7f
	v_cmp_gt_i16_sdwa s[6:7], v3, s4 src0_sel:BYTE_0 src1_sel:DWORD
	s_mov_b64 s[4:5], 0
                                        ; implicit-def: $sgpr10
	s_and_saveexec_b64 s[8:9], s[6:7]
	s_xor_b64 s[6:7], exec, s[8:9]
	s_cbranch_execnz .LBB12_3277
; %bb.1229:
	s_or_saveexec_b64 s[6:7], s[6:7]
	v_mov_b32_e32 v6, s10
	s_xor_b64 exec, exec, s[6:7]
	s_cbranch_execnz .LBB12_3280
.LBB12_1230:
	s_or_b64 exec, exec, s[6:7]
	s_and_saveexec_b64 s[6:7], s[4:5]
	s_cbranch_execz .LBB12_1232
.LBB12_1231:
	v_bfe_u32 v6, v4, 8, 3
	v_ffbh_u32_e32 v10, v6
	v_min_u32_e32 v10, 32, v10
	v_lshrrev_b16_e32 v7, 3, v3
	v_subrev_u32_e32 v11, 28, v10
	v_and_b32_e32 v7, 15, v7
	v_lshlrev_b32_e32 v3, v11, v3
	v_sub_u32_e32 v10, 29, v10
	v_and_b32_e32 v3, 7, v3
	v_cmp_eq_u16_e32 vcc, 0, v7
	v_cndmask_b32_e32 v3, v6, v3, vcc
	v_cndmask_b32_e32 v6, v7, v10, vcc
	v_lshlrev_b32_e32 v7, 16, v4
	v_mov_b32_e32 v10, 0x3b800000
	v_lshlrev_b32_e32 v3, 20, v3
	v_and_b32_e32 v7, 0x80000000, v7
	v_lshl_add_u32 v6, v6, 23, v10
	v_or3_b32 v6, v7, v6, v3
.LBB12_1232:
	s_or_b64 exec, exec, s[6:7]
	s_nop 0
	v_mfma_f32_16x16x4f32 a[0:3], v2, v6, a[0:3]
	s_movk_i32 s4, 0xff
	v_and_b32_sdwa v3, v8, s4 dst_sel:DWORD dst_unused:UNUSED_PAD src0_sel:WORD_1 src1_sel:DWORD
	s_movk_i32 s4, 0x7f
	v_cmp_lt_i16_e32 vcc, s4, v3
	s_mov_b64 s[4:5], 0
                                        ; implicit-def: $sgpr10
	s_and_saveexec_b64 s[6:7], vcc
	s_xor_b64 s[6:7], exec, s[6:7]
	s_cbranch_execnz .LBB12_3281
; %bb.1233:
	s_or_saveexec_b64 s[6:7], s[6:7]
	v_mov_b32_e32 v2, s10
	s_xor_b64 exec, exec, s[6:7]
	s_cbranch_execnz .LBB12_3284
.LBB12_1234:
	s_or_b64 exec, exec, s[6:7]
	s_and_saveexec_b64 s[6:7], s[4:5]
	s_cbranch_execz .LBB12_1236
.LBB12_1235:
	v_bfe_u32 v2, v8, 16, 3
	v_ffbh_u32_e32 v7, v2
	v_min_u32_e32 v7, 32, v7
	v_lshrrev_b32_e32 v3, 19, v8
	v_subrev_u32_e32 v10, 28, v7
	v_and_b32_e32 v3, 15, v3
	v_lshlrev_b32_sdwa v10, v10, v8 dst_sel:DWORD dst_unused:UNUSED_PAD src0_sel:DWORD src1_sel:WORD_1
	v_bfe_u32 v6, v8, 19, 4
	v_sub_u32_e32 v7, 29, v7
	v_and_b32_e32 v10, 7, v10
	v_cmp_eq_u16_e32 vcc, 0, v3
	v_cndmask_b32_e32 v2, v2, v10, vcc
	v_cndmask_b32_e32 v3, v6, v7, vcc
	v_lshlrev_b32_e32 v6, 8, v8
	v_mov_b32_e32 v7, 0x3b800000
	v_lshlrev_b32_e32 v2, 20, v2
	v_and_b32_e32 v6, 0x80000000, v6
	v_lshl_add_u32 v3, v3, 23, v7
	v_or3_b32 v2, v6, v3, v2
.LBB12_1236:
	s_or_b64 exec, exec, s[6:7]
	s_movk_i32 s4, 0xff
	v_and_b32_sdwa v3, v4, s4 dst_sel:DWORD dst_unused:UNUSED_PAD src0_sel:WORD_1 src1_sel:DWORD
	s_movk_i32 s4, 0x7f
	v_cmp_lt_i16_e32 vcc, s4, v3
	s_mov_b64 s[4:5], 0
                                        ; implicit-def: $sgpr10
	s_and_saveexec_b64 s[6:7], vcc
	s_xor_b64 s[6:7], exec, s[6:7]
	s_cbranch_execnz .LBB12_3285
; %bb.1237:
	s_or_saveexec_b64 s[6:7], s[6:7]
	v_mov_b32_e32 v6, s10
	s_xor_b64 exec, exec, s[6:7]
	s_cbranch_execnz .LBB12_3288
.LBB12_1238:
	s_or_b64 exec, exec, s[6:7]
	s_and_saveexec_b64 s[6:7], s[4:5]
	s_cbranch_execz .LBB12_1240
.LBB12_1239:
	v_bfe_u32 v3, v4, 16, 3
	v_ffbh_u32_e32 v10, v3
	v_min_u32_e32 v10, 32, v10
	v_lshrrev_b32_e32 v6, 19, v4
	v_subrev_u32_e32 v11, 28, v10
	v_and_b32_e32 v6, 15, v6
	v_lshlrev_b32_sdwa v11, v11, v4 dst_sel:DWORD dst_unused:UNUSED_PAD src0_sel:DWORD src1_sel:WORD_1
	v_bfe_u32 v7, v4, 19, 4
	v_sub_u32_e32 v10, 29, v10
	v_and_b32_e32 v11, 7, v11
	v_cmp_eq_u16_e32 vcc, 0, v6
	v_cndmask_b32_e32 v3, v3, v11, vcc
	v_cndmask_b32_e32 v6, v7, v10, vcc
	v_lshlrev_b32_e32 v7, 8, v4
	v_mov_b32_e32 v10, 0x3b800000
	v_lshlrev_b32_e32 v3, 20, v3
	v_and_b32_e32 v7, 0x80000000, v7
	v_lshl_add_u32 v6, v6, 23, v10
	v_or3_b32 v6, v7, v6, v3
.LBB12_1240:
	s_or_b64 exec, exec, s[6:7]
	s_nop 0
	v_mfma_f32_16x16x4f32 a[0:3], v2, v6, a[0:3]
	s_movk_i32 s4, 0x7f
	v_cmp_gt_i16_sdwa s[6:7], v8, s4 src0_sel:BYTE_3 src1_sel:DWORD
	s_mov_b64 s[4:5], 0
                                        ; implicit-def: $sgpr10
	s_and_saveexec_b64 s[8:9], s[6:7]
	s_xor_b64 s[6:7], exec, s[8:9]
	s_cbranch_execnz .LBB12_3289
; %bb.1241:
	s_or_saveexec_b64 s[6:7], s[6:7]
	v_mov_b32_e32 v2, s10
	s_xor_b64 exec, exec, s[6:7]
	s_cbranch_execnz .LBB12_3292
.LBB12_1242:
	s_or_b64 exec, exec, s[6:7]
	s_and_saveexec_b64 s[6:7], s[4:5]
	s_cbranch_execz .LBB12_1244
.LBB12_1243:
	v_bfe_u32 v2, v8, 24, 3
	v_ffbh_u32_e32 v10, v2
	v_min_u32_e32 v10, 32, v10
	v_lshrrev_b32_e32 v6, 27, v8
	v_subrev_u32_e32 v11, 28, v10
	v_and_b32_e32 v3, 0x80000000, v8
	v_and_b32_e32 v6, 15, v6
	v_bfe_u32 v7, v8, 27, 4
	v_lshlrev_b32_sdwa v8, v11, v8 dst_sel:DWORD dst_unused:UNUSED_PAD src0_sel:DWORD src1_sel:BYTE_3
	v_sub_u32_e32 v10, 29, v10
	v_and_b32_e32 v8, 7, v8
	v_cmp_eq_u16_e32 vcc, 0, v6
	v_cndmask_b32_e32 v2, v2, v8, vcc
	v_cndmask_b32_e32 v6, v7, v10, vcc
	v_mov_b32_e32 v7, 0x3b800000
	v_lshlrev_b32_e32 v2, 20, v2
	v_lshl_add_u32 v6, v6, 23, v7
	v_or3_b32 v2, v3, v6, v2
.LBB12_1244:
	s_or_b64 exec, exec, s[6:7]
	s_movk_i32 s4, 0x7f
	v_cmp_gt_i16_sdwa s[6:7], v4, s4 src0_sel:BYTE_3 src1_sel:DWORD
	s_mov_b64 s[4:5], 0
                                        ; implicit-def: $sgpr10
	s_and_saveexec_b64 s[8:9], s[6:7]
	s_xor_b64 s[6:7], exec, s[8:9]
	s_cbranch_execnz .LBB12_3293
; %bb.1245:
	s_or_saveexec_b64 s[6:7], s[6:7]
	v_mov_b32_e32 v3, s10
	s_xor_b64 exec, exec, s[6:7]
	s_cbranch_execnz .LBB12_3296
.LBB12_1246:
	s_or_b64 exec, exec, s[6:7]
	s_and_saveexec_b64 s[6:7], s[4:5]
	s_cbranch_execz .LBB12_1248
.LBB12_1247:
	v_bfe_u32 v3, v4, 24, 3
	v_ffbh_u32_e32 v10, v3
	v_min_u32_e32 v10, 32, v10
	v_lshrrev_b32_e32 v7, 27, v4
	v_subrev_u32_e32 v11, 28, v10
	v_and_b32_e32 v6, 0x80000000, v4
	v_and_b32_e32 v7, 15, v7
	v_bfe_u32 v8, v4, 27, 4
	v_lshlrev_b32_sdwa v4, v11, v4 dst_sel:DWORD dst_unused:UNUSED_PAD src0_sel:DWORD src1_sel:BYTE_3
	v_sub_u32_e32 v10, 29, v10
	v_and_b32_e32 v4, 7, v4
	v_cmp_eq_u16_e32 vcc, 0, v7
	v_cndmask_b32_e32 v3, v3, v4, vcc
	v_cndmask_b32_e32 v4, v8, v10, vcc
	v_mov_b32_e32 v7, 0x3b800000
	v_lshlrev_b32_e32 v3, 20, v3
	v_lshl_add_u32 v4, v4, 23, v7
	v_or3_b32 v3, v6, v4, v3
.LBB12_1248:
	s_or_b64 exec, exec, s[6:7]
	s_nop 0
	v_mfma_f32_16x16x4f32 a[0:3], v2, v3, a[0:3]
	s_movk_i32 s4, 0x7f
	v_cmp_gt_i16_sdwa s[6:7], v9, s4 src0_sel:BYTE_0 src1_sel:DWORD
	s_mov_b64 s[4:5], 0
                                        ; implicit-def: $sgpr10
	s_and_saveexec_b64 s[8:9], s[6:7]
	s_xor_b64 s[6:7], exec, s[8:9]
	s_cbranch_execnz .LBB12_3297
; %bb.1249:
	s_or_saveexec_b64 s[6:7], s[6:7]
	v_mov_b32_e32 v2, s10
	s_xor_b64 exec, exec, s[6:7]
	s_cbranch_execnz .LBB12_3300
.LBB12_1250:
	s_or_b64 exec, exec, s[6:7]
	s_and_saveexec_b64 s[6:7], s[4:5]
	s_cbranch_execz .LBB12_1252
.LBB12_1251:
	v_mov_b32_e32 v2, 8
	v_and_b32_e32 v3, 7, v9
	v_lshrrev_b32_sdwa v2, v2, v9 dst_sel:BYTE_1 dst_unused:UNUSED_PAD src0_sel:DWORD src1_sel:DWORD
	v_ffbh_u32_e32 v4, v3
	v_or_b32_sdwa v2, v9, v2 dst_sel:DWORD dst_unused:UNUSED_PAD src0_sel:BYTE_0 src1_sel:DWORD
	v_min_u32_e32 v4, 32, v4
	v_lshrrev_b16_e32 v2, 3, v2
	v_subrev_u32_e32 v6, 28, v4
	v_and_b32_e32 v2, 15, v2
	v_lshlrev_b32_e32 v6, v6, v9
	v_sub_u32_e32 v4, 29, v4
	v_and_b32_e32 v6, 7, v6
	v_cmp_eq_u16_e32 vcc, 0, v2
	v_cndmask_b32_e32 v3, v3, v6, vcc
	v_cndmask_b32_e32 v2, v2, v4, vcc
	v_lshlrev_b32_e32 v4, 24, v9
	v_mov_b32_e32 v6, 0x3b800000
	v_lshlrev_b32_e32 v3, 20, v3
	v_and_b32_e32 v4, 0x80000000, v4
	v_lshl_add_u32 v2, v2, 23, v6
	v_or3_b32 v2, v4, v2, v3
.LBB12_1252:
	s_or_b64 exec, exec, s[6:7]
	s_movk_i32 s4, 0x7f
	v_cmp_gt_i16_sdwa s[6:7], v5, s4 src0_sel:BYTE_0 src1_sel:DWORD
	s_mov_b64 s[4:5], 0
                                        ; implicit-def: $sgpr10
	s_and_saveexec_b64 s[8:9], s[6:7]
	s_xor_b64 s[6:7], exec, s[8:9]
	s_cbranch_execnz .LBB12_3301
; %bb.1253:
	s_or_saveexec_b64 s[6:7], s[6:7]
	v_mov_b32_e32 v3, s10
	s_xor_b64 exec, exec, s[6:7]
	s_cbranch_execnz .LBB12_3304
.LBB12_1254:
	s_or_b64 exec, exec, s[6:7]
	s_and_saveexec_b64 s[6:7], s[4:5]
	s_cbranch_execz .LBB12_1256
.LBB12_1255:
	v_mov_b32_e32 v3, 8
	v_and_b32_e32 v4, 7, v5
	v_lshrrev_b32_sdwa v3, v3, v5 dst_sel:BYTE_1 dst_unused:UNUSED_PAD src0_sel:DWORD src1_sel:DWORD
	v_ffbh_u32_e32 v6, v4
	v_or_b32_sdwa v3, v5, v3 dst_sel:DWORD dst_unused:UNUSED_PAD src0_sel:BYTE_0 src1_sel:DWORD
	v_min_u32_e32 v6, 32, v6
	v_lshrrev_b16_e32 v3, 3, v3
	v_subrev_u32_e32 v7, 28, v6
	v_and_b32_e32 v3, 15, v3
	v_lshlrev_b32_e32 v7, v7, v5
	v_sub_u32_e32 v6, 29, v6
	v_and_b32_e32 v7, 7, v7
	v_cmp_eq_u16_e32 vcc, 0, v3
	v_cndmask_b32_e32 v4, v4, v7, vcc
	v_cndmask_b32_e32 v3, v3, v6, vcc
	v_lshlrev_b32_e32 v6, 24, v5
	v_mov_b32_e32 v7, 0x3b800000
	v_lshlrev_b32_e32 v4, 20, v4
	v_and_b32_e32 v6, 0x80000000, v6
	v_lshl_add_u32 v3, v3, 23, v7
	v_or3_b32 v3, v6, v3, v4
.LBB12_1256:
	s_or_b64 exec, exec, s[6:7]
	s_nop 0
	v_mfma_f32_16x16x4f32 a[0:3], v2, v3, a[0:3]
	v_lshrrev_b32_e32 v3, 8, v9
	s_movk_i32 s4, 0x7f
	v_cmp_gt_i16_sdwa s[6:7], v3, s4 src0_sel:BYTE_0 src1_sel:DWORD
	s_mov_b64 s[4:5], 0
                                        ; implicit-def: $sgpr10
	s_and_saveexec_b64 s[8:9], s[6:7]
	s_xor_b64 s[6:7], exec, s[8:9]
	s_cbranch_execnz .LBB12_3305
; %bb.1257:
	s_or_saveexec_b64 s[6:7], s[6:7]
	v_mov_b32_e32 v2, s10
	s_xor_b64 exec, exec, s[6:7]
	s_cbranch_execnz .LBB12_3308
.LBB12_1258:
	s_or_b64 exec, exec, s[6:7]
	s_and_saveexec_b64 s[6:7], s[4:5]
	s_cbranch_execz .LBB12_1260
.LBB12_1259:
	v_bfe_u32 v2, v9, 8, 3
	v_ffbh_u32_e32 v6, v2
	v_min_u32_e32 v6, 32, v6
	v_lshrrev_b16_e32 v4, 3, v3
	v_subrev_u32_e32 v7, 28, v6
	v_and_b32_e32 v4, 15, v4
	v_lshlrev_b32_e32 v3, v7, v3
	v_sub_u32_e32 v6, 29, v6
	v_and_b32_e32 v3, 7, v3
	v_cmp_eq_u16_e32 vcc, 0, v4
	v_cndmask_b32_e32 v2, v2, v3, vcc
	v_cndmask_b32_e32 v3, v4, v6, vcc
	v_lshlrev_b32_e32 v4, 16, v9
	v_mov_b32_e32 v6, 0x3b800000
	v_lshlrev_b32_e32 v2, 20, v2
	v_and_b32_e32 v4, 0x80000000, v4
	v_lshl_add_u32 v3, v3, 23, v6
	v_or3_b32 v2, v4, v3, v2
.LBB12_1260:
	s_or_b64 exec, exec, s[6:7]
	v_lshrrev_b32_e32 v3, 8, v5
	s_movk_i32 s4, 0x7f
	v_cmp_gt_i16_sdwa s[6:7], v3, s4 src0_sel:BYTE_0 src1_sel:DWORD
	s_mov_b64 s[4:5], 0
                                        ; implicit-def: $sgpr10
	s_and_saveexec_b64 s[8:9], s[6:7]
	s_xor_b64 s[6:7], exec, s[8:9]
	s_cbranch_execnz .LBB12_3309
; %bb.1261:
	s_or_saveexec_b64 s[6:7], s[6:7]
	v_mov_b32_e32 v4, s10
	s_xor_b64 exec, exec, s[6:7]
	s_cbranch_execnz .LBB12_3312
.LBB12_1262:
	s_or_b64 exec, exec, s[6:7]
	s_and_saveexec_b64 s[6:7], s[4:5]
	s_cbranch_execz .LBB12_1264
.LBB12_1263:
	v_bfe_u32 v4, v5, 8, 3
	v_ffbh_u32_e32 v7, v4
	v_min_u32_e32 v7, 32, v7
	v_lshrrev_b16_e32 v6, 3, v3
	v_subrev_u32_e32 v8, 28, v7
	v_and_b32_e32 v6, 15, v6
	v_lshlrev_b32_e32 v3, v8, v3
	v_sub_u32_e32 v7, 29, v7
	v_and_b32_e32 v3, 7, v3
	v_cmp_eq_u16_e32 vcc, 0, v6
	v_cndmask_b32_e32 v3, v4, v3, vcc
	v_cndmask_b32_e32 v4, v6, v7, vcc
	v_lshlrev_b32_e32 v6, 16, v5
	v_mov_b32_e32 v7, 0x3b800000
	v_lshlrev_b32_e32 v3, 20, v3
	v_and_b32_e32 v6, 0x80000000, v6
	v_lshl_add_u32 v4, v4, 23, v7
	v_or3_b32 v4, v6, v4, v3
.LBB12_1264:
	s_or_b64 exec, exec, s[6:7]
	s_nop 0
	v_mfma_f32_16x16x4f32 a[0:3], v2, v4, a[0:3]
	s_movk_i32 s4, 0xff
	v_and_b32_sdwa v3, v9, s4 dst_sel:DWORD dst_unused:UNUSED_PAD src0_sel:WORD_1 src1_sel:DWORD
	s_movk_i32 s4, 0x7f
	v_cmp_lt_i16_e32 vcc, s4, v3
	s_mov_b64 s[4:5], 0
                                        ; implicit-def: $sgpr10
	s_and_saveexec_b64 s[6:7], vcc
	s_xor_b64 s[6:7], exec, s[6:7]
	s_cbranch_execnz .LBB12_3313
; %bb.1265:
	s_or_saveexec_b64 s[6:7], s[6:7]
	v_mov_b32_e32 v2, s10
	s_xor_b64 exec, exec, s[6:7]
	s_cbranch_execnz .LBB12_3316
.LBB12_1266:
	s_or_b64 exec, exec, s[6:7]
	s_and_saveexec_b64 s[6:7], s[4:5]
	s_cbranch_execz .LBB12_1268
.LBB12_1267:
	v_bfe_u32 v2, v9, 16, 3
	v_ffbh_u32_e32 v6, v2
	v_min_u32_e32 v6, 32, v6
	v_lshrrev_b32_e32 v3, 19, v9
	v_subrev_u32_e32 v7, 28, v6
	v_and_b32_e32 v3, 15, v3
	v_lshlrev_b32_sdwa v7, v7, v9 dst_sel:DWORD dst_unused:UNUSED_PAD src0_sel:DWORD src1_sel:WORD_1
	v_bfe_u32 v4, v9, 19, 4
	v_sub_u32_e32 v6, 29, v6
	v_and_b32_e32 v7, 7, v7
	v_cmp_eq_u16_e32 vcc, 0, v3
	v_cndmask_b32_e32 v2, v2, v7, vcc
	v_cndmask_b32_e32 v3, v4, v6, vcc
	v_lshlrev_b32_e32 v4, 8, v9
	v_mov_b32_e32 v6, 0x3b800000
	v_lshlrev_b32_e32 v2, 20, v2
	v_and_b32_e32 v4, 0x80000000, v4
	v_lshl_add_u32 v3, v3, 23, v6
	v_or3_b32 v2, v4, v3, v2
.LBB12_1268:
	s_or_b64 exec, exec, s[6:7]
	s_movk_i32 s4, 0xff
	v_and_b32_sdwa v3, v5, s4 dst_sel:DWORD dst_unused:UNUSED_PAD src0_sel:WORD_1 src1_sel:DWORD
	s_movk_i32 s4, 0x7f
	v_cmp_lt_i16_e32 vcc, s4, v3
	s_mov_b64 s[4:5], 0
                                        ; implicit-def: $sgpr10
	s_and_saveexec_b64 s[6:7], vcc
	s_xor_b64 s[6:7], exec, s[6:7]
	s_cbranch_execnz .LBB12_3317
; %bb.1269:
	s_or_saveexec_b64 s[6:7], s[6:7]
	v_mov_b32_e32 v4, s10
	s_xor_b64 exec, exec, s[6:7]
	s_cbranch_execnz .LBB12_3320
.LBB12_1270:
	s_or_b64 exec, exec, s[6:7]
	s_and_saveexec_b64 s[6:7], s[4:5]
	s_cbranch_execz .LBB12_1272
.LBB12_1271:
	v_bfe_u32 v3, v5, 16, 3
	v_ffbh_u32_e32 v7, v3
	v_min_u32_e32 v7, 32, v7
	v_lshrrev_b32_e32 v4, 19, v5
	v_subrev_u32_e32 v8, 28, v7
	v_and_b32_e32 v4, 15, v4
	v_lshlrev_b32_sdwa v8, v8, v5 dst_sel:DWORD dst_unused:UNUSED_PAD src0_sel:DWORD src1_sel:WORD_1
	v_bfe_u32 v6, v5, 19, 4
	v_sub_u32_e32 v7, 29, v7
	v_and_b32_e32 v8, 7, v8
	v_cmp_eq_u16_e32 vcc, 0, v4
	v_cndmask_b32_e32 v3, v3, v8, vcc
	v_cndmask_b32_e32 v4, v6, v7, vcc
	v_lshlrev_b32_e32 v6, 8, v5
	v_mov_b32_e32 v7, 0x3b800000
	v_lshlrev_b32_e32 v3, 20, v3
	v_and_b32_e32 v6, 0x80000000, v6
	v_lshl_add_u32 v4, v4, 23, v7
	v_or3_b32 v4, v6, v4, v3
.LBB12_1272:
	s_or_b64 exec, exec, s[6:7]
	s_nop 0
	v_mfma_f32_16x16x4f32 a[0:3], v2, v4, a[0:3]
	s_movk_i32 s4, 0x7f
	v_cmp_gt_i16_sdwa s[6:7], v9, s4 src0_sel:BYTE_3 src1_sel:DWORD
	s_mov_b64 s[4:5], 0
                                        ; implicit-def: $sgpr10
	s_and_saveexec_b64 s[8:9], s[6:7]
	s_xor_b64 s[6:7], exec, s[8:9]
	s_cbranch_execnz .LBB12_3321
; %bb.1273:
	s_or_saveexec_b64 s[6:7], s[6:7]
	v_mov_b32_e32 v2, s10
	s_xor_b64 exec, exec, s[6:7]
	s_cbranch_execnz .LBB12_3324
.LBB12_1274:
	s_or_b64 exec, exec, s[6:7]
	s_and_saveexec_b64 s[6:7], s[4:5]
	s_cbranch_execz .LBB12_1276
.LBB12_1275:
	v_bfe_u32 v2, v9, 24, 3
	v_ffbh_u32_e32 v7, v2
	v_min_u32_e32 v7, 32, v7
	v_lshrrev_b32_e32 v4, 27, v9
	v_subrev_u32_e32 v8, 28, v7
	v_and_b32_e32 v4, 15, v4
	v_lshlrev_b32_sdwa v8, v8, v9 dst_sel:DWORD dst_unused:UNUSED_PAD src0_sel:DWORD src1_sel:BYTE_3
	v_bfe_u32 v6, v9, 27, 4
	v_sub_u32_e32 v7, 29, v7
	v_and_b32_e32 v8, 7, v8
	v_cmp_eq_u16_e32 vcc, 0, v4
	v_cndmask_b32_e32 v2, v2, v8, vcc
	v_cndmask_b32_e32 v4, v6, v7, vcc
	v_mov_b32_e32 v6, 0x3b800000
	v_and_b32_e32 v3, 0x80000000, v9
	v_lshlrev_b32_e32 v2, 20, v2
	v_lshl_add_u32 v4, v4, 23, v6
	v_or3_b32 v2, v3, v4, v2
.LBB12_1276:
	s_or_b64 exec, exec, s[6:7]
	s_movk_i32 s4, 0x7f
	v_cmp_gt_i16_sdwa s[6:7], v5, s4 src0_sel:BYTE_3 src1_sel:DWORD
	s_mov_b64 s[4:5], 0
                                        ; implicit-def: $sgpr10
	s_and_saveexec_b64 s[8:9], s[6:7]
	s_xor_b64 s[6:7], exec, s[8:9]
	s_cbranch_execnz .LBB12_3325
; %bb.1277:
	s_or_saveexec_b64 s[6:7], s[6:7]
	v_mov_b32_e32 v3, s10
	s_xor_b64 exec, exec, s[6:7]
	s_cbranch_execnz .LBB12_3328
.LBB12_1278:
	s_or_b64 exec, exec, s[6:7]
	s_and_saveexec_b64 s[6:7], s[4:5]
	s_cbranch_execz .LBB12_1280
.LBB12_1279:
	v_bfe_u32 v3, v5, 24, 3
	v_ffbh_u32_e32 v8, v3
	v_min_u32_e32 v8, 32, v8
	v_lshrrev_b32_e32 v6, 27, v5
	v_subrev_u32_e32 v9, 28, v8
	v_and_b32_e32 v4, 0x80000000, v5
	v_and_b32_e32 v6, 15, v6
	v_bfe_u32 v7, v5, 27, 4
	v_lshlrev_b32_sdwa v5, v9, v5 dst_sel:DWORD dst_unused:UNUSED_PAD src0_sel:DWORD src1_sel:BYTE_3
	v_sub_u32_e32 v8, 29, v8
	v_and_b32_e32 v5, 7, v5
	v_cmp_eq_u16_e32 vcc, 0, v6
	v_cndmask_b32_e32 v3, v3, v5, vcc
	v_cndmask_b32_e32 v5, v7, v8, vcc
	v_mov_b32_e32 v6, 0x3b800000
	v_lshlrev_b32_e32 v3, 20, v3
	v_lshl_add_u32 v5, v5, 23, v6
	v_or3_b32 v3, v4, v5, v3
.LBB12_1280:
	s_or_b64 exec, exec, s[6:7]
	s_nop 0
	v_mfma_f32_16x16x4f32 a[0:3], v2, v3, a[0:3]
	s_movk_i32 s4, 0x7f
                                        ; implicit-def: $sgpr10
	s_nop 7
	s_nop 1
	flat_store_dwordx4 v[18:19], a[0:3] offset:320
	flat_load_dwordx4 v[20:23], v[0:1] offset:16
	s_nop 0
	flat_load_dwordx2 v[18:19], v[0:1] offset:32
	s_waitcnt vmcnt(0) lgkmcnt(0)
	flat_load_dwordx4 v[14:17], v[20:21]
	flat_load_dwordx4 v[6:9], v[20:21] offset:16
	flat_load_dwordx4 v[10:13], v[22:23] offset:416
	;; [unrolled: 1-line block ×3, first 2 shown]
	s_waitcnt vmcnt(0) lgkmcnt(0)
	v_cmp_gt_i16_sdwa s[6:7], v14, s4 src0_sel:BYTE_0 src1_sel:DWORD
	s_mov_b64 s[4:5], 0
	s_and_saveexec_b64 s[8:9], s[6:7]
	s_xor_b64 s[6:7], exec, s[8:9]
	s_cbranch_execnz .LBB12_3329
; %bb.1281:
	s_or_saveexec_b64 s[6:7], s[6:7]
	v_mov_b32_e32 v20, s10
	s_xor_b64 exec, exec, s[6:7]
	s_cbranch_execnz .LBB12_3332
.LBB12_1282:
	s_or_b64 exec, exec, s[6:7]
	s_and_saveexec_b64 s[6:7], s[4:5]
	s_cbranch_execz .LBB12_1284
.LBB12_1283:
	v_and_b32_e32 v20, 7, v14
	v_ffbh_u32_e32 v22, v20
	v_min_u32_e32 v22, 32, v22
	v_lshrrev_b16_e32 v21, 3, v14
	v_subrev_u32_e32 v23, 28, v22
	v_and_b32_e32 v21, 15, v21
	v_lshlrev_b32_e32 v23, v23, v14
	v_sub_u32_e32 v22, 29, v22
	v_and_b32_e32 v23, 7, v23
	v_cmp_eq_u16_e32 vcc, 0, v21
	v_cndmask_b32_e32 v20, v20, v23, vcc
	v_cndmask_b32_e32 v21, v21, v22, vcc
	v_lshlrev_b32_e32 v22, 24, v14
	v_mov_b32_e32 v23, 0x3b800000
	v_lshlrev_b32_e32 v20, 20, v20
	v_and_b32_e32 v22, 0x80000000, v22
	v_lshl_add_u32 v21, v21, 23, v23
	v_or3_b32 v20, v22, v21, v20
.LBB12_1284:
	s_or_b64 exec, exec, s[6:7]
	s_movk_i32 s4, 0x7f
	v_cmp_gt_i16_sdwa s[6:7], v10, s4 src0_sel:BYTE_0 src1_sel:DWORD
	s_mov_b64 s[4:5], 0
                                        ; implicit-def: $sgpr10
	s_and_saveexec_b64 s[8:9], s[6:7]
	s_xor_b64 s[6:7], exec, s[8:9]
	s_cbranch_execnz .LBB12_3333
; %bb.1285:
	s_or_saveexec_b64 s[6:7], s[6:7]
	v_mov_b32_e32 v21, s10
	s_xor_b64 exec, exec, s[6:7]
	s_cbranch_execnz .LBB12_3336
.LBB12_1286:
	s_or_b64 exec, exec, s[6:7]
	s_and_saveexec_b64 s[6:7], s[4:5]
	s_cbranch_execz .LBB12_1288
.LBB12_1287:
	v_and_b32_e32 v21, 7, v10
	v_ffbh_u32_e32 v23, v21
	v_min_u32_e32 v23, 32, v23
	v_lshrrev_b16_e32 v22, 3, v10
	v_subrev_u32_e32 v24, 28, v23
	v_and_b32_e32 v22, 15, v22
	v_lshlrev_b32_e32 v24, v24, v10
	v_sub_u32_e32 v23, 29, v23
	v_and_b32_e32 v24, 7, v24
	v_cmp_eq_u16_e32 vcc, 0, v22
	v_cndmask_b32_e32 v21, v21, v24, vcc
	v_cndmask_b32_e32 v22, v22, v23, vcc
	v_lshlrev_b32_e32 v23, 24, v10
	v_mov_b32_e32 v24, 0x3b800000
	v_lshlrev_b32_e32 v21, 20, v21
	v_and_b32_e32 v23, 0x80000000, v23
	v_lshl_add_u32 v22, v22, 23, v24
	v_or3_b32 v21, v23, v22, v21
.LBB12_1288:
	s_or_b64 exec, exec, s[6:7]
	flat_load_dwordx4 a[0:3], v[18:19] offset:336
	s_movk_i32 s4, 0x7f
                                        ; implicit-def: $sgpr10
	s_waitcnt vmcnt(0) lgkmcnt(0)
	v_mfma_f32_16x16x4f32 a[0:3], v20, v21, a[0:3]
	v_lshrrev_b32_e32 v21, 8, v14
	v_cmp_gt_i16_sdwa s[6:7], v21, s4 src0_sel:BYTE_0 src1_sel:DWORD
	s_mov_b64 s[4:5], 0
	s_and_saveexec_b64 s[8:9], s[6:7]
	s_xor_b64 s[6:7], exec, s[8:9]
	s_cbranch_execnz .LBB12_3337
; %bb.1289:
	s_or_saveexec_b64 s[6:7], s[6:7]
	v_mov_b32_e32 v20, s10
	s_xor_b64 exec, exec, s[6:7]
	s_cbranch_execnz .LBB12_3340
.LBB12_1290:
	s_or_b64 exec, exec, s[6:7]
	s_and_saveexec_b64 s[6:7], s[4:5]
	s_cbranch_execz .LBB12_1292
.LBB12_1291:
	v_bfe_u32 v20, v14, 8, 3
	v_ffbh_u32_e32 v23, v20
	v_min_u32_e32 v23, 32, v23
	v_lshrrev_b16_e32 v22, 3, v21
	v_subrev_u32_e32 v24, 28, v23
	v_and_b32_e32 v22, 15, v22
	v_lshlrev_b32_e32 v21, v24, v21
	v_sub_u32_e32 v23, 29, v23
	v_and_b32_e32 v21, 7, v21
	v_cmp_eq_u16_e32 vcc, 0, v22
	v_cndmask_b32_e32 v20, v20, v21, vcc
	v_cndmask_b32_e32 v21, v22, v23, vcc
	v_lshlrev_b32_e32 v22, 16, v14
	v_mov_b32_e32 v23, 0x3b800000
	v_lshlrev_b32_e32 v20, 20, v20
	v_and_b32_e32 v22, 0x80000000, v22
	v_lshl_add_u32 v21, v21, 23, v23
	v_or3_b32 v20, v22, v21, v20
.LBB12_1292:
	s_or_b64 exec, exec, s[6:7]
	v_lshrrev_b32_e32 v21, 8, v10
	s_movk_i32 s4, 0x7f
	v_cmp_gt_i16_sdwa s[6:7], v21, s4 src0_sel:BYTE_0 src1_sel:DWORD
	s_mov_b64 s[4:5], 0
                                        ; implicit-def: $sgpr10
	s_and_saveexec_b64 s[8:9], s[6:7]
	s_xor_b64 s[6:7], exec, s[8:9]
	s_cbranch_execnz .LBB12_3341
; %bb.1293:
	s_or_saveexec_b64 s[6:7], s[6:7]
	v_mov_b32_e32 v22, s10
	s_xor_b64 exec, exec, s[6:7]
	s_cbranch_execnz .LBB12_3344
.LBB12_1294:
	s_or_b64 exec, exec, s[6:7]
	s_and_saveexec_b64 s[6:7], s[4:5]
	s_cbranch_execz .LBB12_1296
.LBB12_1295:
	v_bfe_u32 v22, v10, 8, 3
	v_ffbh_u32_e32 v24, v22
	v_min_u32_e32 v24, 32, v24
	v_lshrrev_b16_e32 v23, 3, v21
	v_subrev_u32_e32 v25, 28, v24
	v_and_b32_e32 v23, 15, v23
	v_lshlrev_b32_e32 v21, v25, v21
	v_sub_u32_e32 v24, 29, v24
	v_and_b32_e32 v21, 7, v21
	v_cmp_eq_u16_e32 vcc, 0, v23
	v_cndmask_b32_e32 v21, v22, v21, vcc
	v_cndmask_b32_e32 v22, v23, v24, vcc
	v_lshlrev_b32_e32 v23, 16, v10
	v_mov_b32_e32 v24, 0x3b800000
	v_lshlrev_b32_e32 v21, 20, v21
	v_and_b32_e32 v23, 0x80000000, v23
	v_lshl_add_u32 v22, v22, 23, v24
	v_or3_b32 v22, v23, v22, v21
.LBB12_1296:
	s_or_b64 exec, exec, s[6:7]
	s_nop 0
	v_mfma_f32_16x16x4f32 a[0:3], v20, v22, a[0:3]
	s_movk_i32 s4, 0xff
	v_and_b32_sdwa v21, v14, s4 dst_sel:DWORD dst_unused:UNUSED_PAD src0_sel:WORD_1 src1_sel:DWORD
	s_movk_i32 s4, 0x7f
	v_cmp_lt_i16_e32 vcc, s4, v21
	s_mov_b64 s[4:5], 0
                                        ; implicit-def: $sgpr10
	s_and_saveexec_b64 s[6:7], vcc
	s_xor_b64 s[6:7], exec, s[6:7]
	s_cbranch_execnz .LBB12_3345
; %bb.1297:
	s_or_saveexec_b64 s[6:7], s[6:7]
	v_mov_b32_e32 v20, s10
	s_xor_b64 exec, exec, s[6:7]
	s_cbranch_execnz .LBB12_3348
.LBB12_1298:
	s_or_b64 exec, exec, s[6:7]
	s_and_saveexec_b64 s[6:7], s[4:5]
	s_cbranch_execz .LBB12_1300
.LBB12_1299:
	v_bfe_u32 v20, v14, 16, 3
	v_ffbh_u32_e32 v23, v20
	v_min_u32_e32 v23, 32, v23
	v_lshrrev_b32_e32 v21, 19, v14
	v_subrev_u32_e32 v24, 28, v23
	v_and_b32_e32 v21, 15, v21
	v_lshlrev_b32_sdwa v24, v24, v14 dst_sel:DWORD dst_unused:UNUSED_PAD src0_sel:DWORD src1_sel:WORD_1
	v_bfe_u32 v22, v14, 19, 4
	v_sub_u32_e32 v23, 29, v23
	v_and_b32_e32 v24, 7, v24
	v_cmp_eq_u16_e32 vcc, 0, v21
	v_cndmask_b32_e32 v20, v20, v24, vcc
	v_cndmask_b32_e32 v21, v22, v23, vcc
	v_lshlrev_b32_e32 v22, 8, v14
	v_mov_b32_e32 v23, 0x3b800000
	v_lshlrev_b32_e32 v20, 20, v20
	v_and_b32_e32 v22, 0x80000000, v22
	v_lshl_add_u32 v21, v21, 23, v23
	v_or3_b32 v20, v22, v21, v20
.LBB12_1300:
	s_or_b64 exec, exec, s[6:7]
	s_movk_i32 s4, 0xff
	v_and_b32_sdwa v21, v10, s4 dst_sel:DWORD dst_unused:UNUSED_PAD src0_sel:WORD_1 src1_sel:DWORD
	s_movk_i32 s4, 0x7f
	v_cmp_lt_i16_e32 vcc, s4, v21
	s_mov_b64 s[4:5], 0
                                        ; implicit-def: $sgpr10
	s_and_saveexec_b64 s[6:7], vcc
	s_xor_b64 s[6:7], exec, s[6:7]
	s_cbranch_execnz .LBB12_3349
; %bb.1301:
	s_or_saveexec_b64 s[6:7], s[6:7]
	v_mov_b32_e32 v22, s10
	s_xor_b64 exec, exec, s[6:7]
	s_cbranch_execnz .LBB12_3352
.LBB12_1302:
	s_or_b64 exec, exec, s[6:7]
	s_and_saveexec_b64 s[6:7], s[4:5]
	s_cbranch_execz .LBB12_1304
.LBB12_1303:
	v_bfe_u32 v21, v10, 16, 3
	v_ffbh_u32_e32 v24, v21
	v_min_u32_e32 v24, 32, v24
	v_lshrrev_b32_e32 v22, 19, v10
	v_subrev_u32_e32 v25, 28, v24
	v_and_b32_e32 v22, 15, v22
	v_lshlrev_b32_sdwa v25, v25, v10 dst_sel:DWORD dst_unused:UNUSED_PAD src0_sel:DWORD src1_sel:WORD_1
	v_bfe_u32 v23, v10, 19, 4
	v_sub_u32_e32 v24, 29, v24
	v_and_b32_e32 v25, 7, v25
	v_cmp_eq_u16_e32 vcc, 0, v22
	v_cndmask_b32_e32 v21, v21, v25, vcc
	v_cndmask_b32_e32 v22, v23, v24, vcc
	v_lshlrev_b32_e32 v23, 8, v10
	v_mov_b32_e32 v24, 0x3b800000
	v_lshlrev_b32_e32 v21, 20, v21
	v_and_b32_e32 v23, 0x80000000, v23
	v_lshl_add_u32 v22, v22, 23, v24
	v_or3_b32 v22, v23, v22, v21
.LBB12_1304:
	s_or_b64 exec, exec, s[6:7]
	s_nop 0
	v_mfma_f32_16x16x4f32 a[0:3], v20, v22, a[0:3]
	s_movk_i32 s4, 0x7f
	v_cmp_gt_i16_sdwa s[6:7], v14, s4 src0_sel:BYTE_3 src1_sel:DWORD
	s_mov_b64 s[4:5], 0
                                        ; implicit-def: $sgpr10
	s_and_saveexec_b64 s[8:9], s[6:7]
	s_xor_b64 s[6:7], exec, s[8:9]
	s_cbranch_execnz .LBB12_3353
; %bb.1305:
	s_or_saveexec_b64 s[6:7], s[6:7]
	v_mov_b32_e32 v20, s10
	s_xor_b64 exec, exec, s[6:7]
	s_cbranch_execnz .LBB12_3356
.LBB12_1306:
	s_or_b64 exec, exec, s[6:7]
	s_and_saveexec_b64 s[6:7], s[4:5]
	s_cbranch_execz .LBB12_1308
.LBB12_1307:
	v_bfe_u32 v20, v14, 24, 3
	v_ffbh_u32_e32 v24, v20
	v_min_u32_e32 v24, 32, v24
	v_lshrrev_b32_e32 v22, 27, v14
	v_subrev_u32_e32 v25, 28, v24
	v_and_b32_e32 v21, 0x80000000, v14
	v_and_b32_e32 v22, 15, v22
	v_bfe_u32 v23, v14, 27, 4
	v_lshlrev_b32_sdwa v14, v25, v14 dst_sel:DWORD dst_unused:UNUSED_PAD src0_sel:DWORD src1_sel:BYTE_3
	v_sub_u32_e32 v24, 29, v24
	v_and_b32_e32 v14, 7, v14
	v_cmp_eq_u16_e32 vcc, 0, v22
	v_cndmask_b32_e32 v14, v20, v14, vcc
	v_cndmask_b32_e32 v20, v23, v24, vcc
	v_mov_b32_e32 v22, 0x3b800000
	v_lshlrev_b32_e32 v14, 20, v14
	v_lshl_add_u32 v20, v20, 23, v22
	v_or3_b32 v20, v21, v20, v14
.LBB12_1308:
	s_or_b64 exec, exec, s[6:7]
	s_movk_i32 s4, 0x7f
	v_cmp_gt_i16_sdwa s[6:7], v10, s4 src0_sel:BYTE_3 src1_sel:DWORD
	s_mov_b64 s[4:5], 0
                                        ; implicit-def: $sgpr10
	s_and_saveexec_b64 s[8:9], s[6:7]
	s_xor_b64 s[6:7], exec, s[8:9]
	s_cbranch_execnz .LBB12_3357
; %bb.1309:
	s_or_saveexec_b64 s[6:7], s[6:7]
	v_mov_b32_e32 v14, s10
	s_xor_b64 exec, exec, s[6:7]
	s_cbranch_execnz .LBB12_3360
.LBB12_1310:
	s_or_b64 exec, exec, s[6:7]
	s_and_saveexec_b64 s[6:7], s[4:5]
	s_cbranch_execz .LBB12_1312
.LBB12_1311:
	v_bfe_u32 v14, v10, 24, 3
	v_ffbh_u32_e32 v24, v14
	v_min_u32_e32 v24, 32, v24
	v_lshrrev_b32_e32 v22, 27, v10
	v_subrev_u32_e32 v25, 28, v24
	v_and_b32_e32 v21, 0x80000000, v10
	v_and_b32_e32 v22, 15, v22
	v_bfe_u32 v23, v10, 27, 4
	v_lshlrev_b32_sdwa v10, v25, v10 dst_sel:DWORD dst_unused:UNUSED_PAD src0_sel:DWORD src1_sel:BYTE_3
	v_sub_u32_e32 v24, 29, v24
	v_and_b32_e32 v10, 7, v10
	v_cmp_eq_u16_e32 vcc, 0, v22
	v_cndmask_b32_e32 v10, v14, v10, vcc
	v_cndmask_b32_e32 v14, v23, v24, vcc
	v_mov_b32_e32 v22, 0x3b800000
	v_lshlrev_b32_e32 v10, 20, v10
	v_lshl_add_u32 v14, v14, 23, v22
	v_or3_b32 v14, v21, v14, v10
.LBB12_1312:
	s_or_b64 exec, exec, s[6:7]
	s_nop 0
	v_mfma_f32_16x16x4f32 a[0:3], v20, v14, a[0:3]
	s_movk_i32 s4, 0x7f
	v_cmp_gt_i16_sdwa s[6:7], v15, s4 src0_sel:BYTE_0 src1_sel:DWORD
	s_mov_b64 s[4:5], 0
                                        ; implicit-def: $sgpr10
	s_and_saveexec_b64 s[8:9], s[6:7]
	s_xor_b64 s[6:7], exec, s[8:9]
	s_cbranch_execnz .LBB12_3361
; %bb.1313:
	s_or_saveexec_b64 s[6:7], s[6:7]
	v_mov_b32_e32 v10, s10
	s_xor_b64 exec, exec, s[6:7]
	s_cbranch_execnz .LBB12_3364
.LBB12_1314:
	s_or_b64 exec, exec, s[6:7]
	s_and_saveexec_b64 s[6:7], s[4:5]
	s_cbranch_execz .LBB12_1316
.LBB12_1315:
	v_and_b32_e32 v10, 7, v15
	v_ffbh_u32_e32 v20, v10
	v_min_u32_e32 v20, 32, v20
	v_lshrrev_b16_e32 v14, 3, v15
	v_subrev_u32_e32 v21, 28, v20
	v_and_b32_e32 v14, 15, v14
	v_lshlrev_b32_e32 v21, v21, v15
	v_sub_u32_e32 v20, 29, v20
	v_and_b32_e32 v21, 7, v21
	v_cmp_eq_u16_e32 vcc, 0, v14
	v_cndmask_b32_e32 v10, v10, v21, vcc
	v_cndmask_b32_e32 v14, v14, v20, vcc
	v_lshlrev_b32_e32 v20, 24, v15
	v_mov_b32_e32 v21, 0x3b800000
	v_lshlrev_b32_e32 v10, 20, v10
	v_and_b32_e32 v20, 0x80000000, v20
	v_lshl_add_u32 v14, v14, 23, v21
	v_or3_b32 v10, v20, v14, v10
.LBB12_1316:
	s_or_b64 exec, exec, s[6:7]
	s_movk_i32 s4, 0x7f
	v_cmp_gt_i16_sdwa s[6:7], v11, s4 src0_sel:BYTE_0 src1_sel:DWORD
	s_mov_b64 s[4:5], 0
                                        ; implicit-def: $sgpr10
	s_and_saveexec_b64 s[8:9], s[6:7]
	s_xor_b64 s[6:7], exec, s[8:9]
	s_cbranch_execnz .LBB12_3365
; %bb.1317:
	s_or_saveexec_b64 s[6:7], s[6:7]
	v_mov_b32_e32 v14, s10
	s_xor_b64 exec, exec, s[6:7]
	s_cbranch_execnz .LBB12_3368
.LBB12_1318:
	s_or_b64 exec, exec, s[6:7]
	s_and_saveexec_b64 s[6:7], s[4:5]
	s_cbranch_execz .LBB12_1320
.LBB12_1319:
	v_and_b32_e32 v14, 7, v11
	v_ffbh_u32_e32 v21, v14
	v_min_u32_e32 v21, 32, v21
	v_lshrrev_b16_e32 v20, 3, v11
	v_subrev_u32_e32 v22, 28, v21
	v_and_b32_e32 v20, 15, v20
	v_lshlrev_b32_e32 v22, v22, v11
	v_sub_u32_e32 v21, 29, v21
	v_and_b32_e32 v22, 7, v22
	v_cmp_eq_u16_e32 vcc, 0, v20
	v_cndmask_b32_e32 v14, v14, v22, vcc
	v_cndmask_b32_e32 v20, v20, v21, vcc
	v_lshlrev_b32_e32 v21, 24, v11
	v_mov_b32_e32 v22, 0x3b800000
	v_lshlrev_b32_e32 v14, 20, v14
	v_and_b32_e32 v21, 0x80000000, v21
	v_lshl_add_u32 v20, v20, 23, v22
	v_or3_b32 v14, v21, v20, v14
.LBB12_1320:
	s_or_b64 exec, exec, s[6:7]
	s_nop 0
	v_mfma_f32_16x16x4f32 a[0:3], v10, v14, a[0:3]
	v_lshrrev_b32_e32 v14, 8, v15
	s_movk_i32 s4, 0x7f
	v_cmp_gt_i16_sdwa s[6:7], v14, s4 src0_sel:BYTE_0 src1_sel:DWORD
	s_mov_b64 s[4:5], 0
                                        ; implicit-def: $sgpr10
	s_and_saveexec_b64 s[8:9], s[6:7]
	s_xor_b64 s[6:7], exec, s[8:9]
	s_cbranch_execnz .LBB12_3369
; %bb.1321:
	s_or_saveexec_b64 s[6:7], s[6:7]
	v_mov_b32_e32 v10, s10
	s_xor_b64 exec, exec, s[6:7]
	s_cbranch_execnz .LBB12_3372
.LBB12_1322:
	s_or_b64 exec, exec, s[6:7]
	s_and_saveexec_b64 s[6:7], s[4:5]
	s_cbranch_execz .LBB12_1324
.LBB12_1323:
	v_bfe_u32 v10, v15, 8, 3
	v_ffbh_u32_e32 v21, v10
	v_min_u32_e32 v21, 32, v21
	v_lshrrev_b16_e32 v20, 3, v14
	v_subrev_u32_e32 v22, 28, v21
	v_and_b32_e32 v20, 15, v20
	v_lshlrev_b32_e32 v14, v22, v14
	v_sub_u32_e32 v21, 29, v21
	v_and_b32_e32 v14, 7, v14
	v_cmp_eq_u16_e32 vcc, 0, v20
	v_cndmask_b32_e32 v10, v10, v14, vcc
	v_cndmask_b32_e32 v14, v20, v21, vcc
	v_lshlrev_b32_e32 v20, 16, v15
	v_mov_b32_e32 v21, 0x3b800000
	v_lshlrev_b32_e32 v10, 20, v10
	v_and_b32_e32 v20, 0x80000000, v20
	v_lshl_add_u32 v14, v14, 23, v21
	v_or3_b32 v10, v20, v14, v10
.LBB12_1324:
	s_or_b64 exec, exec, s[6:7]
	v_lshrrev_b32_e32 v14, 8, v11
	s_movk_i32 s4, 0x7f
	v_cmp_gt_i16_sdwa s[6:7], v14, s4 src0_sel:BYTE_0 src1_sel:DWORD
	s_mov_b64 s[4:5], 0
                                        ; implicit-def: $sgpr10
	s_and_saveexec_b64 s[8:9], s[6:7]
	s_xor_b64 s[6:7], exec, s[8:9]
	s_cbranch_execnz .LBB12_3373
; %bb.1325:
	s_or_saveexec_b64 s[6:7], s[6:7]
	v_mov_b32_e32 v20, s10
	s_xor_b64 exec, exec, s[6:7]
	s_cbranch_execnz .LBB12_3376
.LBB12_1326:
	s_or_b64 exec, exec, s[6:7]
	s_and_saveexec_b64 s[6:7], s[4:5]
	s_cbranch_execz .LBB12_1328
.LBB12_1327:
	v_bfe_u32 v20, v11, 8, 3
	v_ffbh_u32_e32 v22, v20
	v_min_u32_e32 v22, 32, v22
	v_lshrrev_b16_e32 v21, 3, v14
	v_subrev_u32_e32 v23, 28, v22
	v_and_b32_e32 v21, 15, v21
	v_lshlrev_b32_e32 v14, v23, v14
	v_sub_u32_e32 v22, 29, v22
	v_and_b32_e32 v14, 7, v14
	v_cmp_eq_u16_e32 vcc, 0, v21
	v_cndmask_b32_e32 v14, v20, v14, vcc
	v_cndmask_b32_e32 v20, v21, v22, vcc
	v_lshlrev_b32_e32 v21, 16, v11
	v_mov_b32_e32 v22, 0x3b800000
	v_lshlrev_b32_e32 v14, 20, v14
	v_and_b32_e32 v21, 0x80000000, v21
	v_lshl_add_u32 v20, v20, 23, v22
	v_or3_b32 v20, v21, v20, v14
.LBB12_1328:
	s_or_b64 exec, exec, s[6:7]
	s_nop 0
	v_mfma_f32_16x16x4f32 a[0:3], v10, v20, a[0:3]
	s_movk_i32 s4, 0xff
	v_and_b32_sdwa v14, v15, s4 dst_sel:DWORD dst_unused:UNUSED_PAD src0_sel:WORD_1 src1_sel:DWORD
	s_movk_i32 s4, 0x7f
	v_cmp_lt_i16_e32 vcc, s4, v14
	s_mov_b64 s[4:5], 0
                                        ; implicit-def: $sgpr10
	s_and_saveexec_b64 s[6:7], vcc
	s_xor_b64 s[6:7], exec, s[6:7]
	s_cbranch_execnz .LBB12_3377
; %bb.1329:
	s_or_saveexec_b64 s[6:7], s[6:7]
	v_mov_b32_e32 v10, s10
	s_xor_b64 exec, exec, s[6:7]
	s_cbranch_execnz .LBB12_3380
.LBB12_1330:
	s_or_b64 exec, exec, s[6:7]
	s_and_saveexec_b64 s[6:7], s[4:5]
	s_cbranch_execz .LBB12_1332
.LBB12_1331:
	v_bfe_u32 v10, v15, 16, 3
	v_ffbh_u32_e32 v21, v10
	v_min_u32_e32 v21, 32, v21
	v_lshrrev_b32_e32 v14, 19, v15
	v_subrev_u32_e32 v22, 28, v21
	v_and_b32_e32 v14, 15, v14
	v_lshlrev_b32_sdwa v22, v22, v15 dst_sel:DWORD dst_unused:UNUSED_PAD src0_sel:DWORD src1_sel:WORD_1
	v_bfe_u32 v20, v15, 19, 4
	v_sub_u32_e32 v21, 29, v21
	v_and_b32_e32 v22, 7, v22
	v_cmp_eq_u16_e32 vcc, 0, v14
	v_cndmask_b32_e32 v10, v10, v22, vcc
	v_cndmask_b32_e32 v14, v20, v21, vcc
	v_lshlrev_b32_e32 v20, 8, v15
	v_mov_b32_e32 v21, 0x3b800000
	v_lshlrev_b32_e32 v10, 20, v10
	v_and_b32_e32 v20, 0x80000000, v20
	v_lshl_add_u32 v14, v14, 23, v21
	v_or3_b32 v10, v20, v14, v10
.LBB12_1332:
	s_or_b64 exec, exec, s[6:7]
	s_movk_i32 s4, 0xff
	v_and_b32_sdwa v14, v11, s4 dst_sel:DWORD dst_unused:UNUSED_PAD src0_sel:WORD_1 src1_sel:DWORD
	s_movk_i32 s4, 0x7f
	v_cmp_lt_i16_e32 vcc, s4, v14
	s_mov_b64 s[4:5], 0
                                        ; implicit-def: $sgpr10
	s_and_saveexec_b64 s[6:7], vcc
	s_xor_b64 s[6:7], exec, s[6:7]
	s_cbranch_execnz .LBB12_3381
; %bb.1333:
	s_or_saveexec_b64 s[6:7], s[6:7]
	v_mov_b32_e32 v20, s10
	s_xor_b64 exec, exec, s[6:7]
	s_cbranch_execnz .LBB12_3384
.LBB12_1334:
	s_or_b64 exec, exec, s[6:7]
	s_and_saveexec_b64 s[6:7], s[4:5]
	s_cbranch_execz .LBB12_1336
.LBB12_1335:
	v_bfe_u32 v14, v11, 16, 3
	v_ffbh_u32_e32 v22, v14
	v_min_u32_e32 v22, 32, v22
	v_lshrrev_b32_e32 v20, 19, v11
	v_subrev_u32_e32 v23, 28, v22
	v_and_b32_e32 v20, 15, v20
	v_lshlrev_b32_sdwa v23, v23, v11 dst_sel:DWORD dst_unused:UNUSED_PAD src0_sel:DWORD src1_sel:WORD_1
	v_bfe_u32 v21, v11, 19, 4
	v_sub_u32_e32 v22, 29, v22
	v_and_b32_e32 v23, 7, v23
	v_cmp_eq_u16_e32 vcc, 0, v20
	v_cndmask_b32_e32 v14, v14, v23, vcc
	v_cndmask_b32_e32 v20, v21, v22, vcc
	v_lshlrev_b32_e32 v21, 8, v11
	v_mov_b32_e32 v22, 0x3b800000
	v_lshlrev_b32_e32 v14, 20, v14
	v_and_b32_e32 v21, 0x80000000, v21
	v_lshl_add_u32 v20, v20, 23, v22
	v_or3_b32 v20, v21, v20, v14
.LBB12_1336:
	s_or_b64 exec, exec, s[6:7]
	s_nop 0
	v_mfma_f32_16x16x4f32 a[0:3], v10, v20, a[0:3]
	s_movk_i32 s4, 0x7f
	v_cmp_gt_i16_sdwa s[6:7], v15, s4 src0_sel:BYTE_3 src1_sel:DWORD
	s_mov_b64 s[4:5], 0
                                        ; implicit-def: $sgpr10
	s_and_saveexec_b64 s[8:9], s[6:7]
	s_xor_b64 s[6:7], exec, s[8:9]
	s_cbranch_execnz .LBB12_3385
; %bb.1337:
	s_or_saveexec_b64 s[6:7], s[6:7]
	v_mov_b32_e32 v10, s10
	s_xor_b64 exec, exec, s[6:7]
	s_cbranch_execnz .LBB12_3388
.LBB12_1338:
	s_or_b64 exec, exec, s[6:7]
	s_and_saveexec_b64 s[6:7], s[4:5]
	s_cbranch_execz .LBB12_1340
.LBB12_1339:
	v_bfe_u32 v10, v15, 24, 3
	v_ffbh_u32_e32 v22, v10
	v_min_u32_e32 v22, 32, v22
	v_lshrrev_b32_e32 v20, 27, v15
	v_subrev_u32_e32 v23, 28, v22
	v_and_b32_e32 v14, 0x80000000, v15
	v_and_b32_e32 v20, 15, v20
	v_bfe_u32 v21, v15, 27, 4
	v_lshlrev_b32_sdwa v15, v23, v15 dst_sel:DWORD dst_unused:UNUSED_PAD src0_sel:DWORD src1_sel:BYTE_3
	v_sub_u32_e32 v22, 29, v22
	v_and_b32_e32 v15, 7, v15
	v_cmp_eq_u16_e32 vcc, 0, v20
	v_cndmask_b32_e32 v10, v10, v15, vcc
	v_cndmask_b32_e32 v15, v21, v22, vcc
	v_mov_b32_e32 v20, 0x3b800000
	v_lshlrev_b32_e32 v10, 20, v10
	v_lshl_add_u32 v15, v15, 23, v20
	v_or3_b32 v10, v14, v15, v10
.LBB12_1340:
	s_or_b64 exec, exec, s[6:7]
	s_movk_i32 s4, 0x7f
	v_cmp_gt_i16_sdwa s[6:7], v11, s4 src0_sel:BYTE_3 src1_sel:DWORD
	s_mov_b64 s[4:5], 0
                                        ; implicit-def: $sgpr10
	s_and_saveexec_b64 s[8:9], s[6:7]
	s_xor_b64 s[6:7], exec, s[8:9]
	s_cbranch_execnz .LBB12_3389
; %bb.1341:
	s_or_saveexec_b64 s[6:7], s[6:7]
	v_mov_b32_e32 v14, s10
	s_xor_b64 exec, exec, s[6:7]
	s_cbranch_execnz .LBB12_3392
.LBB12_1342:
	s_or_b64 exec, exec, s[6:7]
	s_and_saveexec_b64 s[6:7], s[4:5]
	s_cbranch_execz .LBB12_1344
.LBB12_1343:
	v_bfe_u32 v14, v11, 24, 3
	v_ffbh_u32_e32 v22, v14
	v_min_u32_e32 v22, 32, v22
	v_lshrrev_b32_e32 v20, 27, v11
	v_subrev_u32_e32 v23, 28, v22
	v_and_b32_e32 v15, 0x80000000, v11
	v_and_b32_e32 v20, 15, v20
	v_bfe_u32 v21, v11, 27, 4
	v_lshlrev_b32_sdwa v11, v23, v11 dst_sel:DWORD dst_unused:UNUSED_PAD src0_sel:DWORD src1_sel:BYTE_3
	v_sub_u32_e32 v22, 29, v22
	v_and_b32_e32 v11, 7, v11
	v_cmp_eq_u16_e32 vcc, 0, v20
	v_cndmask_b32_e32 v11, v14, v11, vcc
	v_cndmask_b32_e32 v14, v21, v22, vcc
	v_mov_b32_e32 v20, 0x3b800000
	v_lshlrev_b32_e32 v11, 20, v11
	v_lshl_add_u32 v14, v14, 23, v20
	v_or3_b32 v14, v15, v14, v11
.LBB12_1344:
	s_or_b64 exec, exec, s[6:7]
	s_nop 0
	v_mfma_f32_16x16x4f32 a[0:3], v10, v14, a[0:3]
	s_movk_i32 s4, 0x7f
	v_cmp_gt_i16_sdwa s[6:7], v16, s4 src0_sel:BYTE_0 src1_sel:DWORD
	s_mov_b64 s[4:5], 0
                                        ; implicit-def: $sgpr10
	s_and_saveexec_b64 s[8:9], s[6:7]
	s_xor_b64 s[6:7], exec, s[8:9]
	s_cbranch_execnz .LBB12_3393
; %bb.1345:
	s_or_saveexec_b64 s[6:7], s[6:7]
	v_mov_b32_e32 v10, s10
	s_xor_b64 exec, exec, s[6:7]
	s_cbranch_execnz .LBB12_3396
.LBB12_1346:
	s_or_b64 exec, exec, s[6:7]
	s_and_saveexec_b64 s[6:7], s[4:5]
	s_cbranch_execz .LBB12_1348
.LBB12_1347:
	v_and_b32_e32 v10, 7, v16
	v_ffbh_u32_e32 v14, v10
	v_min_u32_e32 v14, 32, v14
	v_lshrrev_b16_e32 v11, 3, v16
	v_subrev_u32_e32 v15, 28, v14
	v_and_b32_e32 v11, 15, v11
	v_lshlrev_b32_e32 v15, v15, v16
	v_sub_u32_e32 v14, 29, v14
	v_and_b32_e32 v15, 7, v15
	v_cmp_eq_u16_e32 vcc, 0, v11
	v_cndmask_b32_e32 v10, v10, v15, vcc
	v_cndmask_b32_e32 v11, v11, v14, vcc
	v_lshlrev_b32_e32 v14, 24, v16
	v_mov_b32_e32 v15, 0x3b800000
	v_lshlrev_b32_e32 v10, 20, v10
	v_and_b32_e32 v14, 0x80000000, v14
	v_lshl_add_u32 v11, v11, 23, v15
	v_or3_b32 v10, v14, v11, v10
.LBB12_1348:
	s_or_b64 exec, exec, s[6:7]
	s_movk_i32 s4, 0x7f
	v_cmp_gt_i16_sdwa s[6:7], v12, s4 src0_sel:BYTE_0 src1_sel:DWORD
	s_mov_b64 s[4:5], 0
                                        ; implicit-def: $sgpr10
	s_and_saveexec_b64 s[8:9], s[6:7]
	s_xor_b64 s[6:7], exec, s[8:9]
	s_cbranch_execnz .LBB12_3397
; %bb.1349:
	s_or_saveexec_b64 s[6:7], s[6:7]
	v_mov_b32_e32 v11, s10
	s_xor_b64 exec, exec, s[6:7]
	s_cbranch_execnz .LBB12_3400
.LBB12_1350:
	s_or_b64 exec, exec, s[6:7]
	s_and_saveexec_b64 s[6:7], s[4:5]
	s_cbranch_execz .LBB12_1352
.LBB12_1351:
	v_and_b32_e32 v11, 7, v12
	v_ffbh_u32_e32 v15, v11
	v_min_u32_e32 v15, 32, v15
	v_lshrrev_b16_e32 v14, 3, v12
	v_subrev_u32_e32 v20, 28, v15
	v_and_b32_e32 v14, 15, v14
	v_lshlrev_b32_e32 v20, v20, v12
	v_sub_u32_e32 v15, 29, v15
	v_and_b32_e32 v20, 7, v20
	v_cmp_eq_u16_e32 vcc, 0, v14
	v_cndmask_b32_e32 v11, v11, v20, vcc
	v_cndmask_b32_e32 v14, v14, v15, vcc
	v_lshlrev_b32_e32 v15, 24, v12
	v_mov_b32_e32 v20, 0x3b800000
	v_lshlrev_b32_e32 v11, 20, v11
	v_and_b32_e32 v15, 0x80000000, v15
	v_lshl_add_u32 v14, v14, 23, v20
	v_or3_b32 v11, v15, v14, v11
.LBB12_1352:
	s_or_b64 exec, exec, s[6:7]
	s_nop 0
	v_mfma_f32_16x16x4f32 a[0:3], v10, v11, a[0:3]
	v_lshrrev_b32_e32 v11, 8, v16
	s_movk_i32 s4, 0x7f
	v_cmp_gt_i16_sdwa s[6:7], v11, s4 src0_sel:BYTE_0 src1_sel:DWORD
	s_mov_b64 s[4:5], 0
                                        ; implicit-def: $sgpr10
	s_and_saveexec_b64 s[8:9], s[6:7]
	s_xor_b64 s[6:7], exec, s[8:9]
	s_cbranch_execnz .LBB12_3401
; %bb.1353:
	s_or_saveexec_b64 s[6:7], s[6:7]
	v_mov_b32_e32 v10, s10
	s_xor_b64 exec, exec, s[6:7]
	s_cbranch_execnz .LBB12_3404
.LBB12_1354:
	s_or_b64 exec, exec, s[6:7]
	s_and_saveexec_b64 s[6:7], s[4:5]
	s_cbranch_execz .LBB12_1356
.LBB12_1355:
	v_bfe_u32 v10, v16, 8, 3
	v_ffbh_u32_e32 v15, v10
	v_min_u32_e32 v15, 32, v15
	v_lshrrev_b16_e32 v14, 3, v11
	v_subrev_u32_e32 v20, 28, v15
	v_and_b32_e32 v14, 15, v14
	v_lshlrev_b32_e32 v11, v20, v11
	v_sub_u32_e32 v15, 29, v15
	v_and_b32_e32 v11, 7, v11
	v_cmp_eq_u16_e32 vcc, 0, v14
	v_cndmask_b32_e32 v10, v10, v11, vcc
	v_cndmask_b32_e32 v11, v14, v15, vcc
	v_lshlrev_b32_e32 v14, 16, v16
	v_mov_b32_e32 v15, 0x3b800000
	v_lshlrev_b32_e32 v10, 20, v10
	v_and_b32_e32 v14, 0x80000000, v14
	v_lshl_add_u32 v11, v11, 23, v15
	v_or3_b32 v10, v14, v11, v10
.LBB12_1356:
	s_or_b64 exec, exec, s[6:7]
	v_lshrrev_b32_e32 v11, 8, v12
	s_movk_i32 s4, 0x7f
	v_cmp_gt_i16_sdwa s[6:7], v11, s4 src0_sel:BYTE_0 src1_sel:DWORD
	s_mov_b64 s[4:5], 0
                                        ; implicit-def: $sgpr10
	s_and_saveexec_b64 s[8:9], s[6:7]
	s_xor_b64 s[6:7], exec, s[8:9]
	s_cbranch_execnz .LBB12_3405
; %bb.1357:
	s_or_saveexec_b64 s[6:7], s[6:7]
	v_mov_b32_e32 v14, s10
	s_xor_b64 exec, exec, s[6:7]
	s_cbranch_execnz .LBB12_3408
.LBB12_1358:
	s_or_b64 exec, exec, s[6:7]
	s_and_saveexec_b64 s[6:7], s[4:5]
	s_cbranch_execz .LBB12_1360
.LBB12_1359:
	v_bfe_u32 v14, v12, 8, 3
	v_ffbh_u32_e32 v20, v14
	v_min_u32_e32 v20, 32, v20
	v_lshrrev_b16_e32 v15, 3, v11
	v_subrev_u32_e32 v21, 28, v20
	v_and_b32_e32 v15, 15, v15
	v_lshlrev_b32_e32 v11, v21, v11
	v_sub_u32_e32 v20, 29, v20
	v_and_b32_e32 v11, 7, v11
	v_cmp_eq_u16_e32 vcc, 0, v15
	v_cndmask_b32_e32 v11, v14, v11, vcc
	v_cndmask_b32_e32 v14, v15, v20, vcc
	v_lshlrev_b32_e32 v15, 16, v12
	v_mov_b32_e32 v20, 0x3b800000
	v_lshlrev_b32_e32 v11, 20, v11
	v_and_b32_e32 v15, 0x80000000, v15
	v_lshl_add_u32 v14, v14, 23, v20
	v_or3_b32 v14, v15, v14, v11
.LBB12_1360:
	s_or_b64 exec, exec, s[6:7]
	s_nop 0
	v_mfma_f32_16x16x4f32 a[0:3], v10, v14, a[0:3]
	s_movk_i32 s4, 0xff
	v_and_b32_sdwa v11, v16, s4 dst_sel:DWORD dst_unused:UNUSED_PAD src0_sel:WORD_1 src1_sel:DWORD
	s_movk_i32 s4, 0x7f
	v_cmp_lt_i16_e32 vcc, s4, v11
	s_mov_b64 s[4:5], 0
                                        ; implicit-def: $sgpr10
	s_and_saveexec_b64 s[6:7], vcc
	s_xor_b64 s[6:7], exec, s[6:7]
	s_cbranch_execnz .LBB12_3409
; %bb.1361:
	s_or_saveexec_b64 s[6:7], s[6:7]
	v_mov_b32_e32 v10, s10
	s_xor_b64 exec, exec, s[6:7]
	s_cbranch_execnz .LBB12_3412
.LBB12_1362:
	s_or_b64 exec, exec, s[6:7]
	s_and_saveexec_b64 s[6:7], s[4:5]
	s_cbranch_execz .LBB12_1364
.LBB12_1363:
	v_bfe_u32 v10, v16, 16, 3
	v_ffbh_u32_e32 v15, v10
	v_min_u32_e32 v15, 32, v15
	v_lshrrev_b32_e32 v11, 19, v16
	v_subrev_u32_e32 v20, 28, v15
	v_and_b32_e32 v11, 15, v11
	v_lshlrev_b32_sdwa v20, v20, v16 dst_sel:DWORD dst_unused:UNUSED_PAD src0_sel:DWORD src1_sel:WORD_1
	v_bfe_u32 v14, v16, 19, 4
	v_sub_u32_e32 v15, 29, v15
	v_and_b32_e32 v20, 7, v20
	v_cmp_eq_u16_e32 vcc, 0, v11
	v_cndmask_b32_e32 v10, v10, v20, vcc
	v_cndmask_b32_e32 v11, v14, v15, vcc
	v_lshlrev_b32_e32 v14, 8, v16
	v_mov_b32_e32 v15, 0x3b800000
	v_lshlrev_b32_e32 v10, 20, v10
	v_and_b32_e32 v14, 0x80000000, v14
	v_lshl_add_u32 v11, v11, 23, v15
	v_or3_b32 v10, v14, v11, v10
.LBB12_1364:
	s_or_b64 exec, exec, s[6:7]
	s_movk_i32 s4, 0xff
	v_and_b32_sdwa v11, v12, s4 dst_sel:DWORD dst_unused:UNUSED_PAD src0_sel:WORD_1 src1_sel:DWORD
	s_movk_i32 s4, 0x7f
	v_cmp_lt_i16_e32 vcc, s4, v11
	s_mov_b64 s[4:5], 0
                                        ; implicit-def: $sgpr10
	s_and_saveexec_b64 s[6:7], vcc
	s_xor_b64 s[6:7], exec, s[6:7]
	s_cbranch_execnz .LBB12_3413
; %bb.1365:
	s_or_saveexec_b64 s[6:7], s[6:7]
	v_mov_b32_e32 v14, s10
	s_xor_b64 exec, exec, s[6:7]
	s_cbranch_execnz .LBB12_3416
.LBB12_1366:
	s_or_b64 exec, exec, s[6:7]
	s_and_saveexec_b64 s[6:7], s[4:5]
	s_cbranch_execz .LBB12_1368
.LBB12_1367:
	v_bfe_u32 v11, v12, 16, 3
	v_ffbh_u32_e32 v20, v11
	v_min_u32_e32 v20, 32, v20
	v_lshrrev_b32_e32 v14, 19, v12
	v_subrev_u32_e32 v21, 28, v20
	v_and_b32_e32 v14, 15, v14
	v_lshlrev_b32_sdwa v21, v21, v12 dst_sel:DWORD dst_unused:UNUSED_PAD src0_sel:DWORD src1_sel:WORD_1
	v_bfe_u32 v15, v12, 19, 4
	v_sub_u32_e32 v20, 29, v20
	v_and_b32_e32 v21, 7, v21
	v_cmp_eq_u16_e32 vcc, 0, v14
	v_cndmask_b32_e32 v11, v11, v21, vcc
	v_cndmask_b32_e32 v14, v15, v20, vcc
	v_lshlrev_b32_e32 v15, 8, v12
	v_mov_b32_e32 v20, 0x3b800000
	v_lshlrev_b32_e32 v11, 20, v11
	v_and_b32_e32 v15, 0x80000000, v15
	v_lshl_add_u32 v14, v14, 23, v20
	v_or3_b32 v14, v15, v14, v11
.LBB12_1368:
	s_or_b64 exec, exec, s[6:7]
	s_nop 0
	v_mfma_f32_16x16x4f32 a[0:3], v10, v14, a[0:3]
	s_movk_i32 s4, 0x7f
	v_cmp_gt_i16_sdwa s[6:7], v16, s4 src0_sel:BYTE_3 src1_sel:DWORD
	s_mov_b64 s[4:5], 0
                                        ; implicit-def: $sgpr10
	s_and_saveexec_b64 s[8:9], s[6:7]
	s_xor_b64 s[6:7], exec, s[8:9]
	s_cbranch_execnz .LBB12_3417
; %bb.1369:
	s_or_saveexec_b64 s[6:7], s[6:7]
	v_mov_b32_e32 v10, s10
	s_xor_b64 exec, exec, s[6:7]
	s_cbranch_execnz .LBB12_3420
.LBB12_1370:
	s_or_b64 exec, exec, s[6:7]
	s_and_saveexec_b64 s[6:7], s[4:5]
	s_cbranch_execz .LBB12_1372
.LBB12_1371:
	v_bfe_u32 v10, v16, 24, 3
	v_ffbh_u32_e32 v20, v10
	v_min_u32_e32 v20, 32, v20
	v_lshrrev_b32_e32 v14, 27, v16
	v_subrev_u32_e32 v21, 28, v20
	v_and_b32_e32 v11, 0x80000000, v16
	v_and_b32_e32 v14, 15, v14
	v_bfe_u32 v15, v16, 27, 4
	v_lshlrev_b32_sdwa v16, v21, v16 dst_sel:DWORD dst_unused:UNUSED_PAD src0_sel:DWORD src1_sel:BYTE_3
	v_sub_u32_e32 v20, 29, v20
	v_and_b32_e32 v16, 7, v16
	v_cmp_eq_u16_e32 vcc, 0, v14
	v_cndmask_b32_e32 v10, v10, v16, vcc
	v_cndmask_b32_e32 v14, v15, v20, vcc
	v_mov_b32_e32 v15, 0x3b800000
	v_lshlrev_b32_e32 v10, 20, v10
	v_lshl_add_u32 v14, v14, 23, v15
	v_or3_b32 v10, v11, v14, v10
.LBB12_1372:
	s_or_b64 exec, exec, s[6:7]
	s_movk_i32 s4, 0x7f
	v_cmp_gt_i16_sdwa s[6:7], v12, s4 src0_sel:BYTE_3 src1_sel:DWORD
	s_mov_b64 s[4:5], 0
                                        ; implicit-def: $sgpr10
	s_and_saveexec_b64 s[8:9], s[6:7]
	s_xor_b64 s[6:7], exec, s[8:9]
	s_cbranch_execnz .LBB12_3421
; %bb.1373:
	s_or_saveexec_b64 s[6:7], s[6:7]
	v_mov_b32_e32 v11, s10
	s_xor_b64 exec, exec, s[6:7]
	s_cbranch_execnz .LBB12_3424
.LBB12_1374:
	s_or_b64 exec, exec, s[6:7]
	s_and_saveexec_b64 s[6:7], s[4:5]
	s_cbranch_execz .LBB12_1376
.LBB12_1375:
	v_bfe_u32 v11, v12, 24, 3
	v_ffbh_u32_e32 v20, v11
	v_min_u32_e32 v20, 32, v20
	v_lshrrev_b32_e32 v15, 27, v12
	v_subrev_u32_e32 v21, 28, v20
	v_and_b32_e32 v14, 0x80000000, v12
	v_and_b32_e32 v15, 15, v15
	v_bfe_u32 v16, v12, 27, 4
	v_lshlrev_b32_sdwa v12, v21, v12 dst_sel:DWORD dst_unused:UNUSED_PAD src0_sel:DWORD src1_sel:BYTE_3
	v_sub_u32_e32 v20, 29, v20
	v_and_b32_e32 v12, 7, v12
	v_cmp_eq_u16_e32 vcc, 0, v15
	v_cndmask_b32_e32 v11, v11, v12, vcc
	v_cndmask_b32_e32 v12, v16, v20, vcc
	v_mov_b32_e32 v15, 0x3b800000
	v_lshlrev_b32_e32 v11, 20, v11
	v_lshl_add_u32 v12, v12, 23, v15
	v_or3_b32 v11, v14, v12, v11
.LBB12_1376:
	s_or_b64 exec, exec, s[6:7]
	s_nop 0
	v_mfma_f32_16x16x4f32 a[0:3], v10, v11, a[0:3]
	s_movk_i32 s4, 0x7f
	v_cmp_gt_i16_sdwa s[6:7], v17, s4 src0_sel:BYTE_0 src1_sel:DWORD
	s_mov_b64 s[4:5], 0
                                        ; implicit-def: $sgpr10
	s_and_saveexec_b64 s[8:9], s[6:7]
	s_xor_b64 s[6:7], exec, s[8:9]
	s_cbranch_execnz .LBB12_3425
; %bb.1377:
	s_or_saveexec_b64 s[6:7], s[6:7]
	v_mov_b32_e32 v10, s10
	s_xor_b64 exec, exec, s[6:7]
	s_cbranch_execnz .LBB12_3428
.LBB12_1378:
	s_or_b64 exec, exec, s[6:7]
	s_and_saveexec_b64 s[6:7], s[4:5]
	s_cbranch_execz .LBB12_1380
.LBB12_1379:
	v_and_b32_e32 v10, 7, v17
	v_ffbh_u32_e32 v12, v10
	v_min_u32_e32 v12, 32, v12
	v_lshrrev_b16_e32 v11, 3, v17
	v_subrev_u32_e32 v14, 28, v12
	v_and_b32_e32 v11, 15, v11
	v_lshlrev_b32_e32 v14, v14, v17
	v_sub_u32_e32 v12, 29, v12
	v_and_b32_e32 v14, 7, v14
	v_cmp_eq_u16_e32 vcc, 0, v11
	v_cndmask_b32_e32 v10, v10, v14, vcc
	v_cndmask_b32_e32 v11, v11, v12, vcc
	v_lshlrev_b32_e32 v12, 24, v17
	v_mov_b32_e32 v14, 0x3b800000
	v_lshlrev_b32_e32 v10, 20, v10
	v_and_b32_e32 v12, 0x80000000, v12
	v_lshl_add_u32 v11, v11, 23, v14
	v_or3_b32 v10, v12, v11, v10
.LBB12_1380:
	s_or_b64 exec, exec, s[6:7]
	s_movk_i32 s4, 0x7f
	v_cmp_gt_i16_sdwa s[6:7], v13, s4 src0_sel:BYTE_0 src1_sel:DWORD
	s_mov_b64 s[4:5], 0
                                        ; implicit-def: $sgpr10
	s_and_saveexec_b64 s[8:9], s[6:7]
	s_xor_b64 s[6:7], exec, s[8:9]
	s_cbranch_execnz .LBB12_3429
; %bb.1381:
	s_or_saveexec_b64 s[6:7], s[6:7]
	v_mov_b32_e32 v11, s10
	s_xor_b64 exec, exec, s[6:7]
	s_cbranch_execnz .LBB12_3432
.LBB12_1382:
	s_or_b64 exec, exec, s[6:7]
	s_and_saveexec_b64 s[6:7], s[4:5]
	s_cbranch_execz .LBB12_1384
.LBB12_1383:
	v_and_b32_e32 v11, 7, v13
	v_ffbh_u32_e32 v14, v11
	v_min_u32_e32 v14, 32, v14
	v_lshrrev_b16_e32 v12, 3, v13
	v_subrev_u32_e32 v15, 28, v14
	v_and_b32_e32 v12, 15, v12
	v_lshlrev_b32_e32 v15, v15, v13
	v_sub_u32_e32 v14, 29, v14
	v_and_b32_e32 v15, 7, v15
	v_cmp_eq_u16_e32 vcc, 0, v12
	v_cndmask_b32_e32 v11, v11, v15, vcc
	v_cndmask_b32_e32 v12, v12, v14, vcc
	v_lshlrev_b32_e32 v14, 24, v13
	v_mov_b32_e32 v15, 0x3b800000
	v_lshlrev_b32_e32 v11, 20, v11
	v_and_b32_e32 v14, 0x80000000, v14
	v_lshl_add_u32 v12, v12, 23, v15
	v_or3_b32 v11, v14, v12, v11
.LBB12_1384:
	s_or_b64 exec, exec, s[6:7]
	s_nop 0
	v_mfma_f32_16x16x4f32 a[0:3], v10, v11, a[0:3]
	v_lshrrev_b32_e32 v11, 8, v17
	s_movk_i32 s4, 0x7f
	v_cmp_gt_i16_sdwa s[6:7], v11, s4 src0_sel:BYTE_0 src1_sel:DWORD
	s_mov_b64 s[4:5], 0
                                        ; implicit-def: $sgpr10
	s_and_saveexec_b64 s[8:9], s[6:7]
	s_xor_b64 s[6:7], exec, s[8:9]
	s_cbranch_execnz .LBB12_3433
; %bb.1385:
	s_or_saveexec_b64 s[6:7], s[6:7]
	v_mov_b32_e32 v10, s10
	s_xor_b64 exec, exec, s[6:7]
	s_cbranch_execnz .LBB12_3436
.LBB12_1386:
	s_or_b64 exec, exec, s[6:7]
	s_and_saveexec_b64 s[6:7], s[4:5]
	s_cbranch_execz .LBB12_1388
.LBB12_1387:
	v_bfe_u32 v10, v17, 8, 3
	v_ffbh_u32_e32 v14, v10
	v_min_u32_e32 v14, 32, v14
	v_lshrrev_b16_e32 v12, 3, v11
	v_subrev_u32_e32 v15, 28, v14
	v_and_b32_e32 v12, 15, v12
	v_lshlrev_b32_e32 v11, v15, v11
	v_sub_u32_e32 v14, 29, v14
	v_and_b32_e32 v11, 7, v11
	v_cmp_eq_u16_e32 vcc, 0, v12
	v_cndmask_b32_e32 v10, v10, v11, vcc
	v_cndmask_b32_e32 v11, v12, v14, vcc
	v_lshlrev_b32_e32 v12, 16, v17
	v_mov_b32_e32 v14, 0x3b800000
	v_lshlrev_b32_e32 v10, 20, v10
	v_and_b32_e32 v12, 0x80000000, v12
	v_lshl_add_u32 v11, v11, 23, v14
	v_or3_b32 v10, v12, v11, v10
.LBB12_1388:
	s_or_b64 exec, exec, s[6:7]
	v_lshrrev_b32_e32 v11, 8, v13
	s_movk_i32 s4, 0x7f
	v_cmp_gt_i16_sdwa s[6:7], v11, s4 src0_sel:BYTE_0 src1_sel:DWORD
	s_mov_b64 s[4:5], 0
                                        ; implicit-def: $sgpr10
	s_and_saveexec_b64 s[8:9], s[6:7]
	s_xor_b64 s[6:7], exec, s[8:9]
	s_cbranch_execnz .LBB12_3437
; %bb.1389:
	s_or_saveexec_b64 s[6:7], s[6:7]
	v_mov_b32_e32 v12, s10
	s_xor_b64 exec, exec, s[6:7]
	s_cbranch_execnz .LBB12_3440
.LBB12_1390:
	s_or_b64 exec, exec, s[6:7]
	s_and_saveexec_b64 s[6:7], s[4:5]
	s_cbranch_execz .LBB12_1392
.LBB12_1391:
	v_bfe_u32 v12, v13, 8, 3
	v_ffbh_u32_e32 v15, v12
	v_min_u32_e32 v15, 32, v15
	v_lshrrev_b16_e32 v14, 3, v11
	v_subrev_u32_e32 v16, 28, v15
	v_and_b32_e32 v14, 15, v14
	v_lshlrev_b32_e32 v11, v16, v11
	v_sub_u32_e32 v15, 29, v15
	v_and_b32_e32 v11, 7, v11
	v_cmp_eq_u16_e32 vcc, 0, v14
	v_cndmask_b32_e32 v11, v12, v11, vcc
	v_cndmask_b32_e32 v12, v14, v15, vcc
	v_lshlrev_b32_e32 v14, 16, v13
	v_mov_b32_e32 v15, 0x3b800000
	v_lshlrev_b32_e32 v11, 20, v11
	v_and_b32_e32 v14, 0x80000000, v14
	v_lshl_add_u32 v12, v12, 23, v15
	v_or3_b32 v12, v14, v12, v11
.LBB12_1392:
	s_or_b64 exec, exec, s[6:7]
	s_nop 0
	v_mfma_f32_16x16x4f32 a[0:3], v10, v12, a[0:3]
	s_movk_i32 s4, 0xff
	v_and_b32_sdwa v11, v17, s4 dst_sel:DWORD dst_unused:UNUSED_PAD src0_sel:WORD_1 src1_sel:DWORD
	s_movk_i32 s4, 0x7f
	v_cmp_lt_i16_e32 vcc, s4, v11
	s_mov_b64 s[4:5], 0
                                        ; implicit-def: $sgpr10
	s_and_saveexec_b64 s[6:7], vcc
	s_xor_b64 s[6:7], exec, s[6:7]
	s_cbranch_execnz .LBB12_3441
; %bb.1393:
	s_or_saveexec_b64 s[6:7], s[6:7]
	v_mov_b32_e32 v10, s10
	s_xor_b64 exec, exec, s[6:7]
	s_cbranch_execnz .LBB12_3444
.LBB12_1394:
	s_or_b64 exec, exec, s[6:7]
	s_and_saveexec_b64 s[6:7], s[4:5]
	s_cbranch_execz .LBB12_1396
.LBB12_1395:
	v_bfe_u32 v10, v17, 16, 3
	v_ffbh_u32_e32 v14, v10
	v_min_u32_e32 v14, 32, v14
	v_lshrrev_b32_e32 v11, 19, v17
	v_subrev_u32_e32 v15, 28, v14
	v_and_b32_e32 v11, 15, v11
	v_lshlrev_b32_sdwa v15, v15, v17 dst_sel:DWORD dst_unused:UNUSED_PAD src0_sel:DWORD src1_sel:WORD_1
	v_bfe_u32 v12, v17, 19, 4
	v_sub_u32_e32 v14, 29, v14
	v_and_b32_e32 v15, 7, v15
	v_cmp_eq_u16_e32 vcc, 0, v11
	v_cndmask_b32_e32 v10, v10, v15, vcc
	v_cndmask_b32_e32 v11, v12, v14, vcc
	v_lshlrev_b32_e32 v12, 8, v17
	v_mov_b32_e32 v14, 0x3b800000
	v_lshlrev_b32_e32 v10, 20, v10
	v_and_b32_e32 v12, 0x80000000, v12
	v_lshl_add_u32 v11, v11, 23, v14
	v_or3_b32 v10, v12, v11, v10
.LBB12_1396:
	s_or_b64 exec, exec, s[6:7]
	s_movk_i32 s4, 0xff
	v_and_b32_sdwa v11, v13, s4 dst_sel:DWORD dst_unused:UNUSED_PAD src0_sel:WORD_1 src1_sel:DWORD
	s_movk_i32 s4, 0x7f
	v_cmp_lt_i16_e32 vcc, s4, v11
	s_mov_b64 s[4:5], 0
                                        ; implicit-def: $sgpr10
	s_and_saveexec_b64 s[6:7], vcc
	s_xor_b64 s[6:7], exec, s[6:7]
	s_cbranch_execnz .LBB12_3445
; %bb.1397:
	s_or_saveexec_b64 s[6:7], s[6:7]
	v_mov_b32_e32 v12, s10
	s_xor_b64 exec, exec, s[6:7]
	s_cbranch_execnz .LBB12_3448
.LBB12_1398:
	s_or_b64 exec, exec, s[6:7]
	s_and_saveexec_b64 s[6:7], s[4:5]
	s_cbranch_execz .LBB12_1400
.LBB12_1399:
	v_bfe_u32 v11, v13, 16, 3
	v_ffbh_u32_e32 v15, v11
	v_min_u32_e32 v15, 32, v15
	v_lshrrev_b32_e32 v12, 19, v13
	v_subrev_u32_e32 v16, 28, v15
	v_and_b32_e32 v12, 15, v12
	v_lshlrev_b32_sdwa v16, v16, v13 dst_sel:DWORD dst_unused:UNUSED_PAD src0_sel:DWORD src1_sel:WORD_1
	v_bfe_u32 v14, v13, 19, 4
	v_sub_u32_e32 v15, 29, v15
	v_and_b32_e32 v16, 7, v16
	v_cmp_eq_u16_e32 vcc, 0, v12
	v_cndmask_b32_e32 v11, v11, v16, vcc
	v_cndmask_b32_e32 v12, v14, v15, vcc
	v_lshlrev_b32_e32 v14, 8, v13
	v_mov_b32_e32 v15, 0x3b800000
	v_lshlrev_b32_e32 v11, 20, v11
	v_and_b32_e32 v14, 0x80000000, v14
	v_lshl_add_u32 v12, v12, 23, v15
	v_or3_b32 v12, v14, v12, v11
.LBB12_1400:
	s_or_b64 exec, exec, s[6:7]
	s_nop 0
	v_mfma_f32_16x16x4f32 a[0:3], v10, v12, a[0:3]
	s_movk_i32 s4, 0x7f
	v_cmp_gt_i16_sdwa s[6:7], v17, s4 src0_sel:BYTE_3 src1_sel:DWORD
	s_mov_b64 s[4:5], 0
                                        ; implicit-def: $sgpr10
	s_and_saveexec_b64 s[8:9], s[6:7]
	s_xor_b64 s[6:7], exec, s[8:9]
	s_cbranch_execnz .LBB12_3449
; %bb.1401:
	s_or_saveexec_b64 s[6:7], s[6:7]
	v_mov_b32_e32 v10, s10
	s_xor_b64 exec, exec, s[6:7]
	s_cbranch_execnz .LBB12_3452
.LBB12_1402:
	s_or_b64 exec, exec, s[6:7]
	s_and_saveexec_b64 s[6:7], s[4:5]
	s_cbranch_execz .LBB12_1404
.LBB12_1403:
	v_bfe_u32 v10, v17, 24, 3
	v_ffbh_u32_e32 v15, v10
	v_min_u32_e32 v15, 32, v15
	v_lshrrev_b32_e32 v12, 27, v17
	v_subrev_u32_e32 v16, 28, v15
	v_and_b32_e32 v12, 15, v12
	v_lshlrev_b32_sdwa v16, v16, v17 dst_sel:DWORD dst_unused:UNUSED_PAD src0_sel:DWORD src1_sel:BYTE_3
	v_bfe_u32 v14, v17, 27, 4
	v_sub_u32_e32 v15, 29, v15
	v_and_b32_e32 v16, 7, v16
	v_cmp_eq_u16_e32 vcc, 0, v12
	v_cndmask_b32_e32 v10, v10, v16, vcc
	v_cndmask_b32_e32 v12, v14, v15, vcc
	v_mov_b32_e32 v14, 0x3b800000
	v_and_b32_e32 v11, 0x80000000, v17
	v_lshlrev_b32_e32 v10, 20, v10
	v_lshl_add_u32 v12, v12, 23, v14
	v_or3_b32 v10, v11, v12, v10
.LBB12_1404:
	s_or_b64 exec, exec, s[6:7]
	s_movk_i32 s4, 0x7f
	v_cmp_gt_i16_sdwa s[6:7], v13, s4 src0_sel:BYTE_3 src1_sel:DWORD
	s_mov_b64 s[4:5], 0
                                        ; implicit-def: $sgpr10
	s_and_saveexec_b64 s[8:9], s[6:7]
	s_xor_b64 s[6:7], exec, s[8:9]
	s_cbranch_execnz .LBB12_3453
; %bb.1405:
	s_or_saveexec_b64 s[6:7], s[6:7]
	v_mov_b32_e32 v11, s10
	s_xor_b64 exec, exec, s[6:7]
	s_cbranch_execnz .LBB12_3456
.LBB12_1406:
	s_or_b64 exec, exec, s[6:7]
	s_and_saveexec_b64 s[6:7], s[4:5]
	s_cbranch_execz .LBB12_1408
.LBB12_1407:
	v_bfe_u32 v11, v13, 24, 3
	v_ffbh_u32_e32 v16, v11
	v_min_u32_e32 v16, 32, v16
	v_lshrrev_b32_e32 v14, 27, v13
	v_subrev_u32_e32 v17, 28, v16
	v_and_b32_e32 v12, 0x80000000, v13
	v_and_b32_e32 v14, 15, v14
	v_bfe_u32 v15, v13, 27, 4
	v_lshlrev_b32_sdwa v13, v17, v13 dst_sel:DWORD dst_unused:UNUSED_PAD src0_sel:DWORD src1_sel:BYTE_3
	v_sub_u32_e32 v16, 29, v16
	v_and_b32_e32 v13, 7, v13
	v_cmp_eq_u16_e32 vcc, 0, v14
	v_cndmask_b32_e32 v11, v11, v13, vcc
	v_cndmask_b32_e32 v13, v15, v16, vcc
	v_mov_b32_e32 v14, 0x3b800000
	v_lshlrev_b32_e32 v11, 20, v11
	v_lshl_add_u32 v13, v13, 23, v14
	v_or3_b32 v11, v12, v13, v11
.LBB12_1408:
	s_or_b64 exec, exec, s[6:7]
	s_nop 0
	v_mfma_f32_16x16x4f32 a[0:3], v10, v11, a[0:3]
	s_movk_i32 s4, 0x7f
	v_cmp_gt_i16_sdwa s[6:7], v6, s4 src0_sel:BYTE_0 src1_sel:DWORD
	s_mov_b64 s[4:5], 0
                                        ; implicit-def: $sgpr10
	s_and_saveexec_b64 s[8:9], s[6:7]
	s_xor_b64 s[6:7], exec, s[8:9]
	s_cbranch_execnz .LBB12_3457
; %bb.1409:
	s_or_saveexec_b64 s[6:7], s[6:7]
	v_mov_b32_e32 v10, s10
	s_xor_b64 exec, exec, s[6:7]
	s_cbranch_execnz .LBB12_3460
.LBB12_1410:
	s_or_b64 exec, exec, s[6:7]
	s_and_saveexec_b64 s[6:7], s[4:5]
	s_cbranch_execz .LBB12_1412
.LBB12_1411:
	v_and_b32_e32 v10, 7, v6
	v_ffbh_u32_e32 v12, v10
	v_min_u32_e32 v12, 32, v12
	v_lshrrev_b16_e32 v11, 3, v6
	v_subrev_u32_e32 v13, 28, v12
	v_and_b32_e32 v11, 15, v11
	v_lshlrev_b32_e32 v13, v13, v6
	v_sub_u32_e32 v12, 29, v12
	v_and_b32_e32 v13, 7, v13
	v_cmp_eq_u16_e32 vcc, 0, v11
	v_cndmask_b32_e32 v10, v10, v13, vcc
	v_cndmask_b32_e32 v11, v11, v12, vcc
	v_lshlrev_b32_e32 v12, 24, v6
	v_mov_b32_e32 v13, 0x3b800000
	v_lshlrev_b32_e32 v10, 20, v10
	v_and_b32_e32 v12, 0x80000000, v12
	v_lshl_add_u32 v11, v11, 23, v13
	v_or3_b32 v10, v12, v11, v10
.LBB12_1412:
	s_or_b64 exec, exec, s[6:7]
	s_movk_i32 s4, 0x7f
	v_cmp_gt_i16_sdwa s[6:7], v2, s4 src0_sel:BYTE_0 src1_sel:DWORD
	s_mov_b64 s[4:5], 0
                                        ; implicit-def: $sgpr10
	s_and_saveexec_b64 s[8:9], s[6:7]
	s_xor_b64 s[6:7], exec, s[8:9]
	s_cbranch_execnz .LBB12_3461
; %bb.1413:
	s_or_saveexec_b64 s[6:7], s[6:7]
	v_mov_b32_e32 v11, s10
	s_xor_b64 exec, exec, s[6:7]
	s_cbranch_execnz .LBB12_3464
.LBB12_1414:
	s_or_b64 exec, exec, s[6:7]
	s_and_saveexec_b64 s[6:7], s[4:5]
	s_cbranch_execz .LBB12_1416
.LBB12_1415:
	v_and_b32_e32 v11, 7, v2
	v_ffbh_u32_e32 v13, v11
	v_min_u32_e32 v13, 32, v13
	v_lshrrev_b16_e32 v12, 3, v2
	v_subrev_u32_e32 v14, 28, v13
	v_and_b32_e32 v12, 15, v12
	v_lshlrev_b32_e32 v14, v14, v2
	v_sub_u32_e32 v13, 29, v13
	v_and_b32_e32 v14, 7, v14
	v_cmp_eq_u16_e32 vcc, 0, v12
	v_cndmask_b32_e32 v11, v11, v14, vcc
	v_cndmask_b32_e32 v12, v12, v13, vcc
	v_lshlrev_b32_e32 v13, 24, v2
	v_mov_b32_e32 v14, 0x3b800000
	v_lshlrev_b32_e32 v11, 20, v11
	v_and_b32_e32 v13, 0x80000000, v13
	v_lshl_add_u32 v12, v12, 23, v14
	v_or3_b32 v11, v13, v12, v11
.LBB12_1416:
	s_or_b64 exec, exec, s[6:7]
	s_nop 0
	v_mfma_f32_16x16x4f32 a[0:3], v10, v11, a[0:3]
	v_lshrrev_b32_e32 v11, 8, v6
	s_movk_i32 s4, 0x7f
	v_cmp_gt_i16_sdwa s[6:7], v11, s4 src0_sel:BYTE_0 src1_sel:DWORD
	s_mov_b64 s[4:5], 0
                                        ; implicit-def: $sgpr10
	s_and_saveexec_b64 s[8:9], s[6:7]
	s_xor_b64 s[6:7], exec, s[8:9]
	s_cbranch_execnz .LBB12_3465
; %bb.1417:
	s_or_saveexec_b64 s[6:7], s[6:7]
	v_mov_b32_e32 v10, s10
	s_xor_b64 exec, exec, s[6:7]
	s_cbranch_execnz .LBB12_3468
.LBB12_1418:
	s_or_b64 exec, exec, s[6:7]
	s_and_saveexec_b64 s[6:7], s[4:5]
	s_cbranch_execz .LBB12_1420
.LBB12_1419:
	v_bfe_u32 v10, v6, 8, 3
	v_ffbh_u32_e32 v13, v10
	v_min_u32_e32 v13, 32, v13
	v_lshrrev_b16_e32 v12, 3, v11
	v_subrev_u32_e32 v14, 28, v13
	v_and_b32_e32 v12, 15, v12
	v_lshlrev_b32_e32 v11, v14, v11
	v_sub_u32_e32 v13, 29, v13
	v_and_b32_e32 v11, 7, v11
	v_cmp_eq_u16_e32 vcc, 0, v12
	v_cndmask_b32_e32 v10, v10, v11, vcc
	v_cndmask_b32_e32 v11, v12, v13, vcc
	v_lshlrev_b32_e32 v12, 16, v6
	v_mov_b32_e32 v13, 0x3b800000
	v_lshlrev_b32_e32 v10, 20, v10
	v_and_b32_e32 v12, 0x80000000, v12
	v_lshl_add_u32 v11, v11, 23, v13
	v_or3_b32 v10, v12, v11, v10
.LBB12_1420:
	s_or_b64 exec, exec, s[6:7]
	v_lshrrev_b32_e32 v11, 8, v2
	s_movk_i32 s4, 0x7f
	v_cmp_gt_i16_sdwa s[6:7], v11, s4 src0_sel:BYTE_0 src1_sel:DWORD
	s_mov_b64 s[4:5], 0
                                        ; implicit-def: $sgpr10
	s_and_saveexec_b64 s[8:9], s[6:7]
	s_xor_b64 s[6:7], exec, s[8:9]
	s_cbranch_execnz .LBB12_3469
; %bb.1421:
	s_or_saveexec_b64 s[6:7], s[6:7]
	v_mov_b32_e32 v12, s10
	s_xor_b64 exec, exec, s[6:7]
	s_cbranch_execnz .LBB12_3472
.LBB12_1422:
	s_or_b64 exec, exec, s[6:7]
	s_and_saveexec_b64 s[6:7], s[4:5]
	s_cbranch_execz .LBB12_1424
.LBB12_1423:
	v_bfe_u32 v12, v2, 8, 3
	v_ffbh_u32_e32 v14, v12
	v_min_u32_e32 v14, 32, v14
	v_lshrrev_b16_e32 v13, 3, v11
	v_subrev_u32_e32 v15, 28, v14
	v_and_b32_e32 v13, 15, v13
	v_lshlrev_b32_e32 v11, v15, v11
	v_sub_u32_e32 v14, 29, v14
	v_and_b32_e32 v11, 7, v11
	v_cmp_eq_u16_e32 vcc, 0, v13
	v_cndmask_b32_e32 v11, v12, v11, vcc
	v_cndmask_b32_e32 v12, v13, v14, vcc
	v_lshlrev_b32_e32 v13, 16, v2
	v_mov_b32_e32 v14, 0x3b800000
	v_lshlrev_b32_e32 v11, 20, v11
	v_and_b32_e32 v13, 0x80000000, v13
	v_lshl_add_u32 v12, v12, 23, v14
	v_or3_b32 v12, v13, v12, v11
.LBB12_1424:
	s_or_b64 exec, exec, s[6:7]
	s_nop 0
	v_mfma_f32_16x16x4f32 a[0:3], v10, v12, a[0:3]
	s_movk_i32 s4, 0xff
	v_and_b32_sdwa v11, v6, s4 dst_sel:DWORD dst_unused:UNUSED_PAD src0_sel:WORD_1 src1_sel:DWORD
	s_movk_i32 s4, 0x7f
	v_cmp_lt_i16_e32 vcc, s4, v11
	s_mov_b64 s[4:5], 0
                                        ; implicit-def: $sgpr10
	s_and_saveexec_b64 s[6:7], vcc
	s_xor_b64 s[6:7], exec, s[6:7]
	s_cbranch_execnz .LBB12_3473
; %bb.1425:
	s_or_saveexec_b64 s[6:7], s[6:7]
	v_mov_b32_e32 v10, s10
	s_xor_b64 exec, exec, s[6:7]
	s_cbranch_execnz .LBB12_3476
.LBB12_1426:
	s_or_b64 exec, exec, s[6:7]
	s_and_saveexec_b64 s[6:7], s[4:5]
	s_cbranch_execz .LBB12_1428
.LBB12_1427:
	v_bfe_u32 v10, v6, 16, 3
	v_ffbh_u32_e32 v13, v10
	v_min_u32_e32 v13, 32, v13
	v_lshrrev_b32_e32 v11, 19, v6
	v_subrev_u32_e32 v14, 28, v13
	v_and_b32_e32 v11, 15, v11
	v_lshlrev_b32_sdwa v14, v14, v6 dst_sel:DWORD dst_unused:UNUSED_PAD src0_sel:DWORD src1_sel:WORD_1
	v_bfe_u32 v12, v6, 19, 4
	v_sub_u32_e32 v13, 29, v13
	v_and_b32_e32 v14, 7, v14
	v_cmp_eq_u16_e32 vcc, 0, v11
	v_cndmask_b32_e32 v10, v10, v14, vcc
	v_cndmask_b32_e32 v11, v12, v13, vcc
	v_lshlrev_b32_e32 v12, 8, v6
	v_mov_b32_e32 v13, 0x3b800000
	v_lshlrev_b32_e32 v10, 20, v10
	v_and_b32_e32 v12, 0x80000000, v12
	v_lshl_add_u32 v11, v11, 23, v13
	v_or3_b32 v10, v12, v11, v10
.LBB12_1428:
	s_or_b64 exec, exec, s[6:7]
	s_movk_i32 s4, 0xff
	v_and_b32_sdwa v11, v2, s4 dst_sel:DWORD dst_unused:UNUSED_PAD src0_sel:WORD_1 src1_sel:DWORD
	s_movk_i32 s4, 0x7f
	v_cmp_lt_i16_e32 vcc, s4, v11
	s_mov_b64 s[4:5], 0
                                        ; implicit-def: $sgpr10
	s_and_saveexec_b64 s[6:7], vcc
	s_xor_b64 s[6:7], exec, s[6:7]
	s_cbranch_execnz .LBB12_3477
; %bb.1429:
	s_or_saveexec_b64 s[6:7], s[6:7]
	v_mov_b32_e32 v12, s10
	s_xor_b64 exec, exec, s[6:7]
	s_cbranch_execnz .LBB12_3480
.LBB12_1430:
	s_or_b64 exec, exec, s[6:7]
	s_and_saveexec_b64 s[6:7], s[4:5]
	s_cbranch_execz .LBB12_1432
.LBB12_1431:
	v_bfe_u32 v11, v2, 16, 3
	v_ffbh_u32_e32 v14, v11
	v_min_u32_e32 v14, 32, v14
	v_lshrrev_b32_e32 v12, 19, v2
	v_subrev_u32_e32 v15, 28, v14
	v_and_b32_e32 v12, 15, v12
	v_lshlrev_b32_sdwa v15, v15, v2 dst_sel:DWORD dst_unused:UNUSED_PAD src0_sel:DWORD src1_sel:WORD_1
	v_bfe_u32 v13, v2, 19, 4
	v_sub_u32_e32 v14, 29, v14
	v_and_b32_e32 v15, 7, v15
	v_cmp_eq_u16_e32 vcc, 0, v12
	v_cndmask_b32_e32 v11, v11, v15, vcc
	v_cndmask_b32_e32 v12, v13, v14, vcc
	v_lshlrev_b32_e32 v13, 8, v2
	v_mov_b32_e32 v14, 0x3b800000
	v_lshlrev_b32_e32 v11, 20, v11
	v_and_b32_e32 v13, 0x80000000, v13
	v_lshl_add_u32 v12, v12, 23, v14
	v_or3_b32 v12, v13, v12, v11
.LBB12_1432:
	s_or_b64 exec, exec, s[6:7]
	s_nop 0
	v_mfma_f32_16x16x4f32 a[0:3], v10, v12, a[0:3]
	s_movk_i32 s4, 0x7f
	v_cmp_gt_i16_sdwa s[6:7], v6, s4 src0_sel:BYTE_3 src1_sel:DWORD
	s_mov_b64 s[4:5], 0
                                        ; implicit-def: $sgpr10
	s_and_saveexec_b64 s[8:9], s[6:7]
	s_xor_b64 s[6:7], exec, s[8:9]
	s_cbranch_execnz .LBB12_3481
; %bb.1433:
	s_or_saveexec_b64 s[6:7], s[6:7]
	v_mov_b32_e32 v10, s10
	s_xor_b64 exec, exec, s[6:7]
	s_cbranch_execnz .LBB12_3484
.LBB12_1434:
	s_or_b64 exec, exec, s[6:7]
	s_and_saveexec_b64 s[6:7], s[4:5]
	s_cbranch_execz .LBB12_1436
.LBB12_1435:
	v_bfe_u32 v10, v6, 24, 3
	v_ffbh_u32_e32 v14, v10
	v_min_u32_e32 v14, 32, v14
	v_lshrrev_b32_e32 v12, 27, v6
	v_subrev_u32_e32 v15, 28, v14
	v_and_b32_e32 v11, 0x80000000, v6
	v_and_b32_e32 v12, 15, v12
	v_bfe_u32 v13, v6, 27, 4
	v_lshlrev_b32_sdwa v6, v15, v6 dst_sel:DWORD dst_unused:UNUSED_PAD src0_sel:DWORD src1_sel:BYTE_3
	v_sub_u32_e32 v14, 29, v14
	v_and_b32_e32 v6, 7, v6
	v_cmp_eq_u16_e32 vcc, 0, v12
	v_cndmask_b32_e32 v6, v10, v6, vcc
	v_cndmask_b32_e32 v10, v13, v14, vcc
	v_mov_b32_e32 v12, 0x3b800000
	v_lshlrev_b32_e32 v6, 20, v6
	v_lshl_add_u32 v10, v10, 23, v12
	v_or3_b32 v10, v11, v10, v6
.LBB12_1436:
	s_or_b64 exec, exec, s[6:7]
	s_movk_i32 s4, 0x7f
	v_cmp_gt_i16_sdwa s[6:7], v2, s4 src0_sel:BYTE_3 src1_sel:DWORD
	s_mov_b64 s[4:5], 0
                                        ; implicit-def: $sgpr10
	s_and_saveexec_b64 s[8:9], s[6:7]
	s_xor_b64 s[6:7], exec, s[8:9]
	s_cbranch_execnz .LBB12_3485
; %bb.1437:
	s_or_saveexec_b64 s[6:7], s[6:7]
	v_mov_b32_e32 v6, s10
	s_xor_b64 exec, exec, s[6:7]
	s_cbranch_execnz .LBB12_3488
.LBB12_1438:
	s_or_b64 exec, exec, s[6:7]
	s_and_saveexec_b64 s[6:7], s[4:5]
	s_cbranch_execz .LBB12_1440
.LBB12_1439:
	v_bfe_u32 v6, v2, 24, 3
	v_ffbh_u32_e32 v14, v6
	v_min_u32_e32 v14, 32, v14
	v_lshrrev_b32_e32 v12, 27, v2
	v_subrev_u32_e32 v15, 28, v14
	v_and_b32_e32 v11, 0x80000000, v2
	v_and_b32_e32 v12, 15, v12
	v_bfe_u32 v13, v2, 27, 4
	v_lshlrev_b32_sdwa v2, v15, v2 dst_sel:DWORD dst_unused:UNUSED_PAD src0_sel:DWORD src1_sel:BYTE_3
	v_sub_u32_e32 v14, 29, v14
	v_and_b32_e32 v2, 7, v2
	v_cmp_eq_u16_e32 vcc, 0, v12
	v_cndmask_b32_e32 v2, v6, v2, vcc
	v_cndmask_b32_e32 v6, v13, v14, vcc
	v_mov_b32_e32 v12, 0x3b800000
	v_lshlrev_b32_e32 v2, 20, v2
	v_lshl_add_u32 v6, v6, 23, v12
	v_or3_b32 v6, v11, v6, v2
.LBB12_1440:
	s_or_b64 exec, exec, s[6:7]
	s_nop 0
	v_mfma_f32_16x16x4f32 a[0:3], v10, v6, a[0:3]
	s_movk_i32 s4, 0x7f
	v_cmp_gt_i16_sdwa s[6:7], v7, s4 src0_sel:BYTE_0 src1_sel:DWORD
	s_mov_b64 s[4:5], 0
                                        ; implicit-def: $sgpr10
	s_and_saveexec_b64 s[8:9], s[6:7]
	s_xor_b64 s[6:7], exec, s[8:9]
	s_cbranch_execnz .LBB12_3489
; %bb.1441:
	s_or_saveexec_b64 s[6:7], s[6:7]
	v_mov_b32_e32 v2, s10
	s_xor_b64 exec, exec, s[6:7]
	s_cbranch_execnz .LBB12_3492
.LBB12_1442:
	s_or_b64 exec, exec, s[6:7]
	s_and_saveexec_b64 s[6:7], s[4:5]
	s_cbranch_execz .LBB12_1444
.LBB12_1443:
	v_and_b32_e32 v2, 7, v7
	v_ffbh_u32_e32 v10, v2
	v_min_u32_e32 v10, 32, v10
	v_lshrrev_b16_e32 v6, 3, v7
	v_subrev_u32_e32 v11, 28, v10
	v_and_b32_e32 v6, 15, v6
	v_lshlrev_b32_e32 v11, v11, v7
	v_sub_u32_e32 v10, 29, v10
	v_and_b32_e32 v11, 7, v11
	v_cmp_eq_u16_e32 vcc, 0, v6
	v_cndmask_b32_e32 v2, v2, v11, vcc
	v_cndmask_b32_e32 v6, v6, v10, vcc
	v_lshlrev_b32_e32 v10, 24, v7
	v_mov_b32_e32 v11, 0x3b800000
	v_lshlrev_b32_e32 v2, 20, v2
	v_and_b32_e32 v10, 0x80000000, v10
	v_lshl_add_u32 v6, v6, 23, v11
	v_or3_b32 v2, v10, v6, v2
.LBB12_1444:
	s_or_b64 exec, exec, s[6:7]
	s_movk_i32 s4, 0x7f
	v_cmp_gt_i16_sdwa s[6:7], v3, s4 src0_sel:BYTE_0 src1_sel:DWORD
	s_mov_b64 s[4:5], 0
                                        ; implicit-def: $sgpr10
	s_and_saveexec_b64 s[8:9], s[6:7]
	s_xor_b64 s[6:7], exec, s[8:9]
	s_cbranch_execnz .LBB12_3493
; %bb.1445:
	s_or_saveexec_b64 s[6:7], s[6:7]
	v_mov_b32_e32 v6, s10
	s_xor_b64 exec, exec, s[6:7]
	s_cbranch_execnz .LBB12_3496
.LBB12_1446:
	s_or_b64 exec, exec, s[6:7]
	s_and_saveexec_b64 s[6:7], s[4:5]
	s_cbranch_execz .LBB12_1448
.LBB12_1447:
	v_and_b32_e32 v6, 7, v3
	v_ffbh_u32_e32 v11, v6
	v_min_u32_e32 v11, 32, v11
	v_lshrrev_b16_e32 v10, 3, v3
	v_subrev_u32_e32 v12, 28, v11
	v_and_b32_e32 v10, 15, v10
	v_lshlrev_b32_e32 v12, v12, v3
	v_sub_u32_e32 v11, 29, v11
	v_and_b32_e32 v12, 7, v12
	v_cmp_eq_u16_e32 vcc, 0, v10
	v_cndmask_b32_e32 v6, v6, v12, vcc
	v_cndmask_b32_e32 v10, v10, v11, vcc
	v_lshlrev_b32_e32 v11, 24, v3
	v_mov_b32_e32 v12, 0x3b800000
	v_lshlrev_b32_e32 v6, 20, v6
	v_and_b32_e32 v11, 0x80000000, v11
	v_lshl_add_u32 v10, v10, 23, v12
	v_or3_b32 v6, v11, v10, v6
.LBB12_1448:
	s_or_b64 exec, exec, s[6:7]
	s_nop 0
	v_mfma_f32_16x16x4f32 a[0:3], v2, v6, a[0:3]
	v_lshrrev_b32_e32 v6, 8, v7
	s_movk_i32 s4, 0x7f
	v_cmp_gt_i16_sdwa s[6:7], v6, s4 src0_sel:BYTE_0 src1_sel:DWORD
	s_mov_b64 s[4:5], 0
                                        ; implicit-def: $sgpr10
	s_and_saveexec_b64 s[8:9], s[6:7]
	s_xor_b64 s[6:7], exec, s[8:9]
	s_cbranch_execnz .LBB12_3497
; %bb.1449:
	s_or_saveexec_b64 s[6:7], s[6:7]
	v_mov_b32_e32 v2, s10
	s_xor_b64 exec, exec, s[6:7]
	s_cbranch_execnz .LBB12_3500
.LBB12_1450:
	s_or_b64 exec, exec, s[6:7]
	s_and_saveexec_b64 s[6:7], s[4:5]
	s_cbranch_execz .LBB12_1452
.LBB12_1451:
	v_bfe_u32 v2, v7, 8, 3
	v_ffbh_u32_e32 v11, v2
	v_min_u32_e32 v11, 32, v11
	v_lshrrev_b16_e32 v10, 3, v6
	v_subrev_u32_e32 v12, 28, v11
	v_and_b32_e32 v10, 15, v10
	v_lshlrev_b32_e32 v6, v12, v6
	v_sub_u32_e32 v11, 29, v11
	v_and_b32_e32 v6, 7, v6
	v_cmp_eq_u16_e32 vcc, 0, v10
	v_cndmask_b32_e32 v2, v2, v6, vcc
	v_cndmask_b32_e32 v6, v10, v11, vcc
	v_lshlrev_b32_e32 v10, 16, v7
	v_mov_b32_e32 v11, 0x3b800000
	v_lshlrev_b32_e32 v2, 20, v2
	v_and_b32_e32 v10, 0x80000000, v10
	v_lshl_add_u32 v6, v6, 23, v11
	v_or3_b32 v2, v10, v6, v2
.LBB12_1452:
	s_or_b64 exec, exec, s[6:7]
	v_lshrrev_b32_e32 v6, 8, v3
	s_movk_i32 s4, 0x7f
	v_cmp_gt_i16_sdwa s[6:7], v6, s4 src0_sel:BYTE_0 src1_sel:DWORD
	s_mov_b64 s[4:5], 0
                                        ; implicit-def: $sgpr10
	s_and_saveexec_b64 s[8:9], s[6:7]
	s_xor_b64 s[6:7], exec, s[8:9]
	s_cbranch_execnz .LBB12_3501
; %bb.1453:
	s_or_saveexec_b64 s[6:7], s[6:7]
	v_mov_b32_e32 v10, s10
	s_xor_b64 exec, exec, s[6:7]
	s_cbranch_execnz .LBB12_3504
.LBB12_1454:
	s_or_b64 exec, exec, s[6:7]
	s_and_saveexec_b64 s[6:7], s[4:5]
	s_cbranch_execz .LBB12_1456
.LBB12_1455:
	v_bfe_u32 v10, v3, 8, 3
	v_ffbh_u32_e32 v12, v10
	v_min_u32_e32 v12, 32, v12
	v_lshrrev_b16_e32 v11, 3, v6
	v_subrev_u32_e32 v13, 28, v12
	v_and_b32_e32 v11, 15, v11
	v_lshlrev_b32_e32 v6, v13, v6
	v_sub_u32_e32 v12, 29, v12
	v_and_b32_e32 v6, 7, v6
	v_cmp_eq_u16_e32 vcc, 0, v11
	v_cndmask_b32_e32 v6, v10, v6, vcc
	v_cndmask_b32_e32 v10, v11, v12, vcc
	v_lshlrev_b32_e32 v11, 16, v3
	v_mov_b32_e32 v12, 0x3b800000
	v_lshlrev_b32_e32 v6, 20, v6
	v_and_b32_e32 v11, 0x80000000, v11
	v_lshl_add_u32 v10, v10, 23, v12
	v_or3_b32 v10, v11, v10, v6
.LBB12_1456:
	s_or_b64 exec, exec, s[6:7]
	s_nop 0
	v_mfma_f32_16x16x4f32 a[0:3], v2, v10, a[0:3]
	s_movk_i32 s4, 0xff
	v_and_b32_sdwa v6, v7, s4 dst_sel:DWORD dst_unused:UNUSED_PAD src0_sel:WORD_1 src1_sel:DWORD
	s_movk_i32 s4, 0x7f
	v_cmp_lt_i16_e32 vcc, s4, v6
	s_mov_b64 s[4:5], 0
                                        ; implicit-def: $sgpr10
	s_and_saveexec_b64 s[6:7], vcc
	s_xor_b64 s[6:7], exec, s[6:7]
	s_cbranch_execnz .LBB12_3505
; %bb.1457:
	s_or_saveexec_b64 s[6:7], s[6:7]
	v_mov_b32_e32 v2, s10
	s_xor_b64 exec, exec, s[6:7]
	s_cbranch_execnz .LBB12_3508
.LBB12_1458:
	s_or_b64 exec, exec, s[6:7]
	s_and_saveexec_b64 s[6:7], s[4:5]
	s_cbranch_execz .LBB12_1460
.LBB12_1459:
	v_bfe_u32 v2, v7, 16, 3
	v_ffbh_u32_e32 v11, v2
	v_min_u32_e32 v11, 32, v11
	v_lshrrev_b32_e32 v6, 19, v7
	v_subrev_u32_e32 v12, 28, v11
	v_and_b32_e32 v6, 15, v6
	v_lshlrev_b32_sdwa v12, v12, v7 dst_sel:DWORD dst_unused:UNUSED_PAD src0_sel:DWORD src1_sel:WORD_1
	v_bfe_u32 v10, v7, 19, 4
	v_sub_u32_e32 v11, 29, v11
	v_and_b32_e32 v12, 7, v12
	v_cmp_eq_u16_e32 vcc, 0, v6
	v_cndmask_b32_e32 v2, v2, v12, vcc
	v_cndmask_b32_e32 v6, v10, v11, vcc
	v_lshlrev_b32_e32 v10, 8, v7
	v_mov_b32_e32 v11, 0x3b800000
	v_lshlrev_b32_e32 v2, 20, v2
	v_and_b32_e32 v10, 0x80000000, v10
	v_lshl_add_u32 v6, v6, 23, v11
	v_or3_b32 v2, v10, v6, v2
.LBB12_1460:
	s_or_b64 exec, exec, s[6:7]
	s_movk_i32 s4, 0xff
	v_and_b32_sdwa v6, v3, s4 dst_sel:DWORD dst_unused:UNUSED_PAD src0_sel:WORD_1 src1_sel:DWORD
	s_movk_i32 s4, 0x7f
	v_cmp_lt_i16_e32 vcc, s4, v6
	s_mov_b64 s[4:5], 0
                                        ; implicit-def: $sgpr10
	s_and_saveexec_b64 s[6:7], vcc
	s_xor_b64 s[6:7], exec, s[6:7]
	s_cbranch_execnz .LBB12_3509
; %bb.1461:
	s_or_saveexec_b64 s[6:7], s[6:7]
	v_mov_b32_e32 v10, s10
	s_xor_b64 exec, exec, s[6:7]
	s_cbranch_execnz .LBB12_3512
.LBB12_1462:
	s_or_b64 exec, exec, s[6:7]
	s_and_saveexec_b64 s[6:7], s[4:5]
	s_cbranch_execz .LBB12_1464
.LBB12_1463:
	v_bfe_u32 v6, v3, 16, 3
	v_ffbh_u32_e32 v12, v6
	v_min_u32_e32 v12, 32, v12
	v_lshrrev_b32_e32 v10, 19, v3
	v_subrev_u32_e32 v13, 28, v12
	v_and_b32_e32 v10, 15, v10
	v_lshlrev_b32_sdwa v13, v13, v3 dst_sel:DWORD dst_unused:UNUSED_PAD src0_sel:DWORD src1_sel:WORD_1
	v_bfe_u32 v11, v3, 19, 4
	v_sub_u32_e32 v12, 29, v12
	v_and_b32_e32 v13, 7, v13
	v_cmp_eq_u16_e32 vcc, 0, v10
	v_cndmask_b32_e32 v6, v6, v13, vcc
	v_cndmask_b32_e32 v10, v11, v12, vcc
	v_lshlrev_b32_e32 v11, 8, v3
	v_mov_b32_e32 v12, 0x3b800000
	v_lshlrev_b32_e32 v6, 20, v6
	v_and_b32_e32 v11, 0x80000000, v11
	v_lshl_add_u32 v10, v10, 23, v12
	v_or3_b32 v10, v11, v10, v6
.LBB12_1464:
	s_or_b64 exec, exec, s[6:7]
	s_nop 0
	v_mfma_f32_16x16x4f32 a[0:3], v2, v10, a[0:3]
	s_movk_i32 s4, 0x7f
	v_cmp_gt_i16_sdwa s[6:7], v7, s4 src0_sel:BYTE_3 src1_sel:DWORD
	s_mov_b64 s[4:5], 0
                                        ; implicit-def: $sgpr10
	s_and_saveexec_b64 s[8:9], s[6:7]
	s_xor_b64 s[6:7], exec, s[8:9]
	s_cbranch_execnz .LBB12_3513
; %bb.1465:
	s_or_saveexec_b64 s[6:7], s[6:7]
	v_mov_b32_e32 v2, s10
	s_xor_b64 exec, exec, s[6:7]
	s_cbranch_execnz .LBB12_3516
.LBB12_1466:
	s_or_b64 exec, exec, s[6:7]
	s_and_saveexec_b64 s[6:7], s[4:5]
	s_cbranch_execz .LBB12_1468
.LBB12_1467:
	v_bfe_u32 v2, v7, 24, 3
	v_ffbh_u32_e32 v12, v2
	v_min_u32_e32 v12, 32, v12
	v_lshrrev_b32_e32 v10, 27, v7
	v_subrev_u32_e32 v13, 28, v12
	v_and_b32_e32 v6, 0x80000000, v7
	v_and_b32_e32 v10, 15, v10
	v_bfe_u32 v11, v7, 27, 4
	v_lshlrev_b32_sdwa v7, v13, v7 dst_sel:DWORD dst_unused:UNUSED_PAD src0_sel:DWORD src1_sel:BYTE_3
	v_sub_u32_e32 v12, 29, v12
	v_and_b32_e32 v7, 7, v7
	v_cmp_eq_u16_e32 vcc, 0, v10
	v_cndmask_b32_e32 v2, v2, v7, vcc
	v_cndmask_b32_e32 v7, v11, v12, vcc
	v_mov_b32_e32 v10, 0x3b800000
	v_lshlrev_b32_e32 v2, 20, v2
	v_lshl_add_u32 v7, v7, 23, v10
	v_or3_b32 v2, v6, v7, v2
.LBB12_1468:
	s_or_b64 exec, exec, s[6:7]
	s_movk_i32 s4, 0x7f
	v_cmp_gt_i16_sdwa s[6:7], v3, s4 src0_sel:BYTE_3 src1_sel:DWORD
	s_mov_b64 s[4:5], 0
                                        ; implicit-def: $sgpr10
	s_and_saveexec_b64 s[8:9], s[6:7]
	s_xor_b64 s[6:7], exec, s[8:9]
	s_cbranch_execnz .LBB12_3517
; %bb.1469:
	s_or_saveexec_b64 s[6:7], s[6:7]
	v_mov_b32_e32 v6, s10
	s_xor_b64 exec, exec, s[6:7]
	s_cbranch_execnz .LBB12_3520
.LBB12_1470:
	s_or_b64 exec, exec, s[6:7]
	s_and_saveexec_b64 s[6:7], s[4:5]
	s_cbranch_execz .LBB12_1472
.LBB12_1471:
	v_bfe_u32 v6, v3, 24, 3
	v_ffbh_u32_e32 v12, v6
	v_min_u32_e32 v12, 32, v12
	v_lshrrev_b32_e32 v10, 27, v3
	v_subrev_u32_e32 v13, 28, v12
	v_and_b32_e32 v7, 0x80000000, v3
	v_and_b32_e32 v10, 15, v10
	v_bfe_u32 v11, v3, 27, 4
	v_lshlrev_b32_sdwa v3, v13, v3 dst_sel:DWORD dst_unused:UNUSED_PAD src0_sel:DWORD src1_sel:BYTE_3
	v_sub_u32_e32 v12, 29, v12
	v_and_b32_e32 v3, 7, v3
	v_cmp_eq_u16_e32 vcc, 0, v10
	v_cndmask_b32_e32 v3, v6, v3, vcc
	v_cndmask_b32_e32 v6, v11, v12, vcc
	v_mov_b32_e32 v10, 0x3b800000
	v_lshlrev_b32_e32 v3, 20, v3
	v_lshl_add_u32 v6, v6, 23, v10
	v_or3_b32 v6, v7, v6, v3
.LBB12_1472:
	s_or_b64 exec, exec, s[6:7]
	s_nop 0
	v_mfma_f32_16x16x4f32 a[0:3], v2, v6, a[0:3]
	s_movk_i32 s4, 0x7f
	v_cmp_gt_i16_sdwa s[6:7], v8, s4 src0_sel:BYTE_0 src1_sel:DWORD
	s_mov_b64 s[4:5], 0
                                        ; implicit-def: $sgpr10
	s_and_saveexec_b64 s[8:9], s[6:7]
	s_xor_b64 s[6:7], exec, s[8:9]
	s_cbranch_execnz .LBB12_3521
; %bb.1473:
	s_or_saveexec_b64 s[6:7], s[6:7]
	v_mov_b32_e32 v2, s10
	s_xor_b64 exec, exec, s[6:7]
	s_cbranch_execnz .LBB12_3524
.LBB12_1474:
	s_or_b64 exec, exec, s[6:7]
	s_and_saveexec_b64 s[6:7], s[4:5]
	s_cbranch_execz .LBB12_1476
.LBB12_1475:
	v_and_b32_e32 v2, 7, v8
	v_ffbh_u32_e32 v6, v2
	v_min_u32_e32 v6, 32, v6
	v_lshrrev_b16_e32 v3, 3, v8
	v_subrev_u32_e32 v7, 28, v6
	v_and_b32_e32 v3, 15, v3
	v_lshlrev_b32_e32 v7, v7, v8
	v_sub_u32_e32 v6, 29, v6
	v_and_b32_e32 v7, 7, v7
	v_cmp_eq_u16_e32 vcc, 0, v3
	v_cndmask_b32_e32 v2, v2, v7, vcc
	v_cndmask_b32_e32 v3, v3, v6, vcc
	v_lshlrev_b32_e32 v6, 24, v8
	v_mov_b32_e32 v7, 0x3b800000
	v_lshlrev_b32_e32 v2, 20, v2
	v_and_b32_e32 v6, 0x80000000, v6
	v_lshl_add_u32 v3, v3, 23, v7
	v_or3_b32 v2, v6, v3, v2
.LBB12_1476:
	s_or_b64 exec, exec, s[6:7]
	s_movk_i32 s4, 0x7f
	v_cmp_gt_i16_sdwa s[6:7], v4, s4 src0_sel:BYTE_0 src1_sel:DWORD
	s_mov_b64 s[4:5], 0
                                        ; implicit-def: $sgpr10
	s_and_saveexec_b64 s[8:9], s[6:7]
	s_xor_b64 s[6:7], exec, s[8:9]
	s_cbranch_execnz .LBB12_3525
; %bb.1477:
	s_or_saveexec_b64 s[6:7], s[6:7]
	v_mov_b32_e32 v3, s10
	s_xor_b64 exec, exec, s[6:7]
	s_cbranch_execnz .LBB12_3528
.LBB12_1478:
	s_or_b64 exec, exec, s[6:7]
	s_and_saveexec_b64 s[6:7], s[4:5]
	s_cbranch_execz .LBB12_1480
.LBB12_1479:
	v_and_b32_e32 v3, 7, v4
	v_ffbh_u32_e32 v7, v3
	v_min_u32_e32 v7, 32, v7
	v_lshrrev_b16_e32 v6, 3, v4
	v_subrev_u32_e32 v10, 28, v7
	v_and_b32_e32 v6, 15, v6
	v_lshlrev_b32_e32 v10, v10, v4
	v_sub_u32_e32 v7, 29, v7
	v_and_b32_e32 v10, 7, v10
	v_cmp_eq_u16_e32 vcc, 0, v6
	v_cndmask_b32_e32 v3, v3, v10, vcc
	v_cndmask_b32_e32 v6, v6, v7, vcc
	v_lshlrev_b32_e32 v7, 24, v4
	v_mov_b32_e32 v10, 0x3b800000
	v_lshlrev_b32_e32 v3, 20, v3
	v_and_b32_e32 v7, 0x80000000, v7
	v_lshl_add_u32 v6, v6, 23, v10
	v_or3_b32 v3, v7, v6, v3
.LBB12_1480:
	s_or_b64 exec, exec, s[6:7]
	s_nop 0
	v_mfma_f32_16x16x4f32 a[0:3], v2, v3, a[0:3]
	v_lshrrev_b32_e32 v3, 8, v8
	s_movk_i32 s4, 0x7f
	v_cmp_gt_i16_sdwa s[6:7], v3, s4 src0_sel:BYTE_0 src1_sel:DWORD
	s_mov_b64 s[4:5], 0
                                        ; implicit-def: $sgpr10
	s_and_saveexec_b64 s[8:9], s[6:7]
	s_xor_b64 s[6:7], exec, s[8:9]
	s_cbranch_execnz .LBB12_3529
; %bb.1481:
	s_or_saveexec_b64 s[6:7], s[6:7]
	v_mov_b32_e32 v2, s10
	s_xor_b64 exec, exec, s[6:7]
	s_cbranch_execnz .LBB12_3532
.LBB12_1482:
	s_or_b64 exec, exec, s[6:7]
	s_and_saveexec_b64 s[6:7], s[4:5]
	s_cbranch_execz .LBB12_1484
.LBB12_1483:
	v_bfe_u32 v2, v8, 8, 3
	v_ffbh_u32_e32 v7, v2
	v_min_u32_e32 v7, 32, v7
	v_lshrrev_b16_e32 v6, 3, v3
	v_subrev_u32_e32 v10, 28, v7
	v_and_b32_e32 v6, 15, v6
	v_lshlrev_b32_e32 v3, v10, v3
	v_sub_u32_e32 v7, 29, v7
	v_and_b32_e32 v3, 7, v3
	v_cmp_eq_u16_e32 vcc, 0, v6
	v_cndmask_b32_e32 v2, v2, v3, vcc
	v_cndmask_b32_e32 v3, v6, v7, vcc
	v_lshlrev_b32_e32 v6, 16, v8
	v_mov_b32_e32 v7, 0x3b800000
	v_lshlrev_b32_e32 v2, 20, v2
	v_and_b32_e32 v6, 0x80000000, v6
	v_lshl_add_u32 v3, v3, 23, v7
	v_or3_b32 v2, v6, v3, v2
.LBB12_1484:
	s_or_b64 exec, exec, s[6:7]
	v_lshrrev_b32_e32 v3, 8, v4
	s_movk_i32 s4, 0x7f
	v_cmp_gt_i16_sdwa s[6:7], v3, s4 src0_sel:BYTE_0 src1_sel:DWORD
	s_mov_b64 s[4:5], 0
                                        ; implicit-def: $sgpr10
	s_and_saveexec_b64 s[8:9], s[6:7]
	s_xor_b64 s[6:7], exec, s[8:9]
	s_cbranch_execnz .LBB12_3533
; %bb.1485:
	s_or_saveexec_b64 s[6:7], s[6:7]
	v_mov_b32_e32 v6, s10
	s_xor_b64 exec, exec, s[6:7]
	s_cbranch_execnz .LBB12_3536
.LBB12_1486:
	s_or_b64 exec, exec, s[6:7]
	s_and_saveexec_b64 s[6:7], s[4:5]
	s_cbranch_execz .LBB12_1488
.LBB12_1487:
	v_bfe_u32 v6, v4, 8, 3
	v_ffbh_u32_e32 v10, v6
	v_min_u32_e32 v10, 32, v10
	v_lshrrev_b16_e32 v7, 3, v3
	v_subrev_u32_e32 v11, 28, v10
	v_and_b32_e32 v7, 15, v7
	v_lshlrev_b32_e32 v3, v11, v3
	v_sub_u32_e32 v10, 29, v10
	v_and_b32_e32 v3, 7, v3
	v_cmp_eq_u16_e32 vcc, 0, v7
	v_cndmask_b32_e32 v3, v6, v3, vcc
	v_cndmask_b32_e32 v6, v7, v10, vcc
	v_lshlrev_b32_e32 v7, 16, v4
	v_mov_b32_e32 v10, 0x3b800000
	v_lshlrev_b32_e32 v3, 20, v3
	v_and_b32_e32 v7, 0x80000000, v7
	v_lshl_add_u32 v6, v6, 23, v10
	v_or3_b32 v6, v7, v6, v3
.LBB12_1488:
	s_or_b64 exec, exec, s[6:7]
	s_nop 0
	v_mfma_f32_16x16x4f32 a[0:3], v2, v6, a[0:3]
	s_movk_i32 s4, 0xff
	v_and_b32_sdwa v3, v8, s4 dst_sel:DWORD dst_unused:UNUSED_PAD src0_sel:WORD_1 src1_sel:DWORD
	s_movk_i32 s4, 0x7f
	v_cmp_lt_i16_e32 vcc, s4, v3
	s_mov_b64 s[4:5], 0
                                        ; implicit-def: $sgpr10
	s_and_saveexec_b64 s[6:7], vcc
	s_xor_b64 s[6:7], exec, s[6:7]
	s_cbranch_execnz .LBB12_3537
; %bb.1489:
	s_or_saveexec_b64 s[6:7], s[6:7]
	v_mov_b32_e32 v2, s10
	s_xor_b64 exec, exec, s[6:7]
	s_cbranch_execnz .LBB12_3540
.LBB12_1490:
	s_or_b64 exec, exec, s[6:7]
	s_and_saveexec_b64 s[6:7], s[4:5]
	s_cbranch_execz .LBB12_1492
.LBB12_1491:
	v_bfe_u32 v2, v8, 16, 3
	v_ffbh_u32_e32 v7, v2
	v_min_u32_e32 v7, 32, v7
	v_lshrrev_b32_e32 v3, 19, v8
	v_subrev_u32_e32 v10, 28, v7
	v_and_b32_e32 v3, 15, v3
	v_lshlrev_b32_sdwa v10, v10, v8 dst_sel:DWORD dst_unused:UNUSED_PAD src0_sel:DWORD src1_sel:WORD_1
	v_bfe_u32 v6, v8, 19, 4
	v_sub_u32_e32 v7, 29, v7
	v_and_b32_e32 v10, 7, v10
	v_cmp_eq_u16_e32 vcc, 0, v3
	v_cndmask_b32_e32 v2, v2, v10, vcc
	v_cndmask_b32_e32 v3, v6, v7, vcc
	v_lshlrev_b32_e32 v6, 8, v8
	v_mov_b32_e32 v7, 0x3b800000
	v_lshlrev_b32_e32 v2, 20, v2
	v_and_b32_e32 v6, 0x80000000, v6
	v_lshl_add_u32 v3, v3, 23, v7
	v_or3_b32 v2, v6, v3, v2
.LBB12_1492:
	s_or_b64 exec, exec, s[6:7]
	s_movk_i32 s4, 0xff
	v_and_b32_sdwa v3, v4, s4 dst_sel:DWORD dst_unused:UNUSED_PAD src0_sel:WORD_1 src1_sel:DWORD
	s_movk_i32 s4, 0x7f
	v_cmp_lt_i16_e32 vcc, s4, v3
	s_mov_b64 s[4:5], 0
                                        ; implicit-def: $sgpr10
	s_and_saveexec_b64 s[6:7], vcc
	s_xor_b64 s[6:7], exec, s[6:7]
	s_cbranch_execnz .LBB12_3541
; %bb.1493:
	s_or_saveexec_b64 s[6:7], s[6:7]
	v_mov_b32_e32 v6, s10
	s_xor_b64 exec, exec, s[6:7]
	s_cbranch_execnz .LBB12_3544
.LBB12_1494:
	s_or_b64 exec, exec, s[6:7]
	s_and_saveexec_b64 s[6:7], s[4:5]
	s_cbranch_execz .LBB12_1496
.LBB12_1495:
	v_bfe_u32 v3, v4, 16, 3
	v_ffbh_u32_e32 v10, v3
	v_min_u32_e32 v10, 32, v10
	v_lshrrev_b32_e32 v6, 19, v4
	v_subrev_u32_e32 v11, 28, v10
	v_and_b32_e32 v6, 15, v6
	v_lshlrev_b32_sdwa v11, v11, v4 dst_sel:DWORD dst_unused:UNUSED_PAD src0_sel:DWORD src1_sel:WORD_1
	v_bfe_u32 v7, v4, 19, 4
	v_sub_u32_e32 v10, 29, v10
	v_and_b32_e32 v11, 7, v11
	v_cmp_eq_u16_e32 vcc, 0, v6
	v_cndmask_b32_e32 v3, v3, v11, vcc
	v_cndmask_b32_e32 v6, v7, v10, vcc
	v_lshlrev_b32_e32 v7, 8, v4
	v_mov_b32_e32 v10, 0x3b800000
	v_lshlrev_b32_e32 v3, 20, v3
	v_and_b32_e32 v7, 0x80000000, v7
	v_lshl_add_u32 v6, v6, 23, v10
	v_or3_b32 v6, v7, v6, v3
.LBB12_1496:
	s_or_b64 exec, exec, s[6:7]
	s_nop 0
	v_mfma_f32_16x16x4f32 a[0:3], v2, v6, a[0:3]
	s_movk_i32 s4, 0x7f
	v_cmp_gt_i16_sdwa s[6:7], v8, s4 src0_sel:BYTE_3 src1_sel:DWORD
	s_mov_b64 s[4:5], 0
                                        ; implicit-def: $sgpr10
	s_and_saveexec_b64 s[8:9], s[6:7]
	s_xor_b64 s[6:7], exec, s[8:9]
	s_cbranch_execnz .LBB12_3545
; %bb.1497:
	s_or_saveexec_b64 s[6:7], s[6:7]
	v_mov_b32_e32 v2, s10
	s_xor_b64 exec, exec, s[6:7]
	s_cbranch_execnz .LBB12_3548
.LBB12_1498:
	s_or_b64 exec, exec, s[6:7]
	s_and_saveexec_b64 s[6:7], s[4:5]
	s_cbranch_execz .LBB12_1500
.LBB12_1499:
	v_bfe_u32 v2, v8, 24, 3
	v_ffbh_u32_e32 v10, v2
	v_min_u32_e32 v10, 32, v10
	v_lshrrev_b32_e32 v6, 27, v8
	v_subrev_u32_e32 v11, 28, v10
	v_and_b32_e32 v3, 0x80000000, v8
	v_and_b32_e32 v6, 15, v6
	v_bfe_u32 v7, v8, 27, 4
	v_lshlrev_b32_sdwa v8, v11, v8 dst_sel:DWORD dst_unused:UNUSED_PAD src0_sel:DWORD src1_sel:BYTE_3
	v_sub_u32_e32 v10, 29, v10
	v_and_b32_e32 v8, 7, v8
	v_cmp_eq_u16_e32 vcc, 0, v6
	v_cndmask_b32_e32 v2, v2, v8, vcc
	v_cndmask_b32_e32 v6, v7, v10, vcc
	v_mov_b32_e32 v7, 0x3b800000
	v_lshlrev_b32_e32 v2, 20, v2
	v_lshl_add_u32 v6, v6, 23, v7
	v_or3_b32 v2, v3, v6, v2
.LBB12_1500:
	s_or_b64 exec, exec, s[6:7]
	s_movk_i32 s4, 0x7f
	v_cmp_gt_i16_sdwa s[6:7], v4, s4 src0_sel:BYTE_3 src1_sel:DWORD
	s_mov_b64 s[4:5], 0
                                        ; implicit-def: $sgpr10
	s_and_saveexec_b64 s[8:9], s[6:7]
	s_xor_b64 s[6:7], exec, s[8:9]
	s_cbranch_execnz .LBB12_3549
; %bb.1501:
	s_or_saveexec_b64 s[6:7], s[6:7]
	v_mov_b32_e32 v3, s10
	s_xor_b64 exec, exec, s[6:7]
	s_cbranch_execnz .LBB12_3552
.LBB12_1502:
	s_or_b64 exec, exec, s[6:7]
	s_and_saveexec_b64 s[6:7], s[4:5]
	s_cbranch_execz .LBB12_1504
.LBB12_1503:
	v_bfe_u32 v3, v4, 24, 3
	v_ffbh_u32_e32 v10, v3
	v_min_u32_e32 v10, 32, v10
	v_lshrrev_b32_e32 v7, 27, v4
	v_subrev_u32_e32 v11, 28, v10
	v_and_b32_e32 v6, 0x80000000, v4
	v_and_b32_e32 v7, 15, v7
	v_bfe_u32 v8, v4, 27, 4
	v_lshlrev_b32_sdwa v4, v11, v4 dst_sel:DWORD dst_unused:UNUSED_PAD src0_sel:DWORD src1_sel:BYTE_3
	v_sub_u32_e32 v10, 29, v10
	v_and_b32_e32 v4, 7, v4
	v_cmp_eq_u16_e32 vcc, 0, v7
	v_cndmask_b32_e32 v3, v3, v4, vcc
	v_cndmask_b32_e32 v4, v8, v10, vcc
	v_mov_b32_e32 v7, 0x3b800000
	v_lshlrev_b32_e32 v3, 20, v3
	v_lshl_add_u32 v4, v4, 23, v7
	v_or3_b32 v3, v6, v4, v3
.LBB12_1504:
	s_or_b64 exec, exec, s[6:7]
	s_nop 0
	v_mfma_f32_16x16x4f32 a[0:3], v2, v3, a[0:3]
	s_movk_i32 s4, 0x7f
	v_cmp_gt_i16_sdwa s[6:7], v9, s4 src0_sel:BYTE_0 src1_sel:DWORD
	s_mov_b64 s[4:5], 0
                                        ; implicit-def: $sgpr10
	s_and_saveexec_b64 s[8:9], s[6:7]
	s_xor_b64 s[6:7], exec, s[8:9]
	s_cbranch_execnz .LBB12_3553
; %bb.1505:
	s_or_saveexec_b64 s[6:7], s[6:7]
	v_mov_b32_e32 v2, s10
	s_xor_b64 exec, exec, s[6:7]
	s_cbranch_execnz .LBB12_3556
.LBB12_1506:
	s_or_b64 exec, exec, s[6:7]
	s_and_saveexec_b64 s[6:7], s[4:5]
	s_cbranch_execz .LBB12_1508
.LBB12_1507:
	v_mov_b32_e32 v2, 8
	v_and_b32_e32 v3, 7, v9
	v_lshrrev_b32_sdwa v2, v2, v9 dst_sel:BYTE_1 dst_unused:UNUSED_PAD src0_sel:DWORD src1_sel:DWORD
	v_ffbh_u32_e32 v4, v3
	v_or_b32_sdwa v2, v9, v2 dst_sel:DWORD dst_unused:UNUSED_PAD src0_sel:BYTE_0 src1_sel:DWORD
	v_min_u32_e32 v4, 32, v4
	v_lshrrev_b16_e32 v2, 3, v2
	v_subrev_u32_e32 v6, 28, v4
	v_and_b32_e32 v2, 15, v2
	v_lshlrev_b32_e32 v6, v6, v9
	v_sub_u32_e32 v4, 29, v4
	v_and_b32_e32 v6, 7, v6
	v_cmp_eq_u16_e32 vcc, 0, v2
	v_cndmask_b32_e32 v3, v3, v6, vcc
	v_cndmask_b32_e32 v2, v2, v4, vcc
	v_lshlrev_b32_e32 v4, 24, v9
	v_mov_b32_e32 v6, 0x3b800000
	v_lshlrev_b32_e32 v3, 20, v3
	v_and_b32_e32 v4, 0x80000000, v4
	v_lshl_add_u32 v2, v2, 23, v6
	v_or3_b32 v2, v4, v2, v3
.LBB12_1508:
	s_or_b64 exec, exec, s[6:7]
	s_movk_i32 s4, 0x7f
	v_cmp_gt_i16_sdwa s[6:7], v5, s4 src0_sel:BYTE_0 src1_sel:DWORD
	s_mov_b64 s[4:5], 0
                                        ; implicit-def: $sgpr10
	s_and_saveexec_b64 s[8:9], s[6:7]
	s_xor_b64 s[6:7], exec, s[8:9]
	s_cbranch_execnz .LBB12_3557
; %bb.1509:
	s_or_saveexec_b64 s[6:7], s[6:7]
	v_mov_b32_e32 v3, s10
	s_xor_b64 exec, exec, s[6:7]
	s_cbranch_execnz .LBB12_3560
.LBB12_1510:
	s_or_b64 exec, exec, s[6:7]
	s_and_saveexec_b64 s[6:7], s[4:5]
	s_cbranch_execz .LBB12_1512
.LBB12_1511:
	v_mov_b32_e32 v3, 8
	v_and_b32_e32 v4, 7, v5
	v_lshrrev_b32_sdwa v3, v3, v5 dst_sel:BYTE_1 dst_unused:UNUSED_PAD src0_sel:DWORD src1_sel:DWORD
	v_ffbh_u32_e32 v6, v4
	v_or_b32_sdwa v3, v5, v3 dst_sel:DWORD dst_unused:UNUSED_PAD src0_sel:BYTE_0 src1_sel:DWORD
	v_min_u32_e32 v6, 32, v6
	v_lshrrev_b16_e32 v3, 3, v3
	v_subrev_u32_e32 v7, 28, v6
	v_and_b32_e32 v3, 15, v3
	v_lshlrev_b32_e32 v7, v7, v5
	v_sub_u32_e32 v6, 29, v6
	v_and_b32_e32 v7, 7, v7
	v_cmp_eq_u16_e32 vcc, 0, v3
	v_cndmask_b32_e32 v4, v4, v7, vcc
	v_cndmask_b32_e32 v3, v3, v6, vcc
	v_lshlrev_b32_e32 v6, 24, v5
	v_mov_b32_e32 v7, 0x3b800000
	v_lshlrev_b32_e32 v4, 20, v4
	v_and_b32_e32 v6, 0x80000000, v6
	v_lshl_add_u32 v3, v3, 23, v7
	v_or3_b32 v3, v6, v3, v4
.LBB12_1512:
	s_or_b64 exec, exec, s[6:7]
	s_nop 0
	v_mfma_f32_16x16x4f32 a[0:3], v2, v3, a[0:3]
	v_lshrrev_b32_e32 v3, 8, v9
	s_movk_i32 s4, 0x7f
	v_cmp_gt_i16_sdwa s[6:7], v3, s4 src0_sel:BYTE_0 src1_sel:DWORD
	s_mov_b64 s[4:5], 0
                                        ; implicit-def: $sgpr10
	s_and_saveexec_b64 s[8:9], s[6:7]
	s_xor_b64 s[6:7], exec, s[8:9]
	s_cbranch_execnz .LBB12_3561
; %bb.1513:
	s_or_saveexec_b64 s[6:7], s[6:7]
	v_mov_b32_e32 v2, s10
	s_xor_b64 exec, exec, s[6:7]
	s_cbranch_execnz .LBB12_3564
.LBB12_1514:
	s_or_b64 exec, exec, s[6:7]
	s_and_saveexec_b64 s[6:7], s[4:5]
	s_cbranch_execz .LBB12_1516
.LBB12_1515:
	v_bfe_u32 v2, v9, 8, 3
	v_ffbh_u32_e32 v6, v2
	v_min_u32_e32 v6, 32, v6
	v_lshrrev_b16_e32 v4, 3, v3
	v_subrev_u32_e32 v7, 28, v6
	v_and_b32_e32 v4, 15, v4
	v_lshlrev_b32_e32 v3, v7, v3
	v_sub_u32_e32 v6, 29, v6
	v_and_b32_e32 v3, 7, v3
	v_cmp_eq_u16_e32 vcc, 0, v4
	v_cndmask_b32_e32 v2, v2, v3, vcc
	v_cndmask_b32_e32 v3, v4, v6, vcc
	v_lshlrev_b32_e32 v4, 16, v9
	v_mov_b32_e32 v6, 0x3b800000
	v_lshlrev_b32_e32 v2, 20, v2
	v_and_b32_e32 v4, 0x80000000, v4
	v_lshl_add_u32 v3, v3, 23, v6
	v_or3_b32 v2, v4, v3, v2
.LBB12_1516:
	s_or_b64 exec, exec, s[6:7]
	v_lshrrev_b32_e32 v3, 8, v5
	s_movk_i32 s4, 0x7f
	v_cmp_gt_i16_sdwa s[6:7], v3, s4 src0_sel:BYTE_0 src1_sel:DWORD
	s_mov_b64 s[4:5], 0
                                        ; implicit-def: $sgpr10
	s_and_saveexec_b64 s[8:9], s[6:7]
	s_xor_b64 s[6:7], exec, s[8:9]
	s_cbranch_execnz .LBB12_3565
; %bb.1517:
	s_or_saveexec_b64 s[6:7], s[6:7]
	v_mov_b32_e32 v4, s10
	s_xor_b64 exec, exec, s[6:7]
	s_cbranch_execnz .LBB12_3568
.LBB12_1518:
	s_or_b64 exec, exec, s[6:7]
	s_and_saveexec_b64 s[6:7], s[4:5]
	s_cbranch_execz .LBB12_1520
.LBB12_1519:
	v_bfe_u32 v4, v5, 8, 3
	v_ffbh_u32_e32 v7, v4
	v_min_u32_e32 v7, 32, v7
	v_lshrrev_b16_e32 v6, 3, v3
	v_subrev_u32_e32 v8, 28, v7
	v_and_b32_e32 v6, 15, v6
	v_lshlrev_b32_e32 v3, v8, v3
	v_sub_u32_e32 v7, 29, v7
	v_and_b32_e32 v3, 7, v3
	v_cmp_eq_u16_e32 vcc, 0, v6
	v_cndmask_b32_e32 v3, v4, v3, vcc
	v_cndmask_b32_e32 v4, v6, v7, vcc
	v_lshlrev_b32_e32 v6, 16, v5
	v_mov_b32_e32 v7, 0x3b800000
	v_lshlrev_b32_e32 v3, 20, v3
	v_and_b32_e32 v6, 0x80000000, v6
	v_lshl_add_u32 v4, v4, 23, v7
	v_or3_b32 v4, v6, v4, v3
.LBB12_1520:
	s_or_b64 exec, exec, s[6:7]
	s_nop 0
	v_mfma_f32_16x16x4f32 a[0:3], v2, v4, a[0:3]
	s_movk_i32 s4, 0xff
	v_and_b32_sdwa v3, v9, s4 dst_sel:DWORD dst_unused:UNUSED_PAD src0_sel:WORD_1 src1_sel:DWORD
	s_movk_i32 s4, 0x7f
	v_cmp_lt_i16_e32 vcc, s4, v3
	s_mov_b64 s[4:5], 0
                                        ; implicit-def: $sgpr10
	s_and_saveexec_b64 s[6:7], vcc
	s_xor_b64 s[6:7], exec, s[6:7]
	s_cbranch_execnz .LBB12_3569
; %bb.1521:
	s_or_saveexec_b64 s[6:7], s[6:7]
	v_mov_b32_e32 v2, s10
	s_xor_b64 exec, exec, s[6:7]
	s_cbranch_execnz .LBB12_3572
.LBB12_1522:
	s_or_b64 exec, exec, s[6:7]
	s_and_saveexec_b64 s[6:7], s[4:5]
	s_cbranch_execz .LBB12_1524
.LBB12_1523:
	v_bfe_u32 v2, v9, 16, 3
	v_ffbh_u32_e32 v6, v2
	v_min_u32_e32 v6, 32, v6
	v_lshrrev_b32_e32 v3, 19, v9
	v_subrev_u32_e32 v7, 28, v6
	v_and_b32_e32 v3, 15, v3
	v_lshlrev_b32_sdwa v7, v7, v9 dst_sel:DWORD dst_unused:UNUSED_PAD src0_sel:DWORD src1_sel:WORD_1
	v_bfe_u32 v4, v9, 19, 4
	v_sub_u32_e32 v6, 29, v6
	v_and_b32_e32 v7, 7, v7
	v_cmp_eq_u16_e32 vcc, 0, v3
	v_cndmask_b32_e32 v2, v2, v7, vcc
	v_cndmask_b32_e32 v3, v4, v6, vcc
	v_lshlrev_b32_e32 v4, 8, v9
	v_mov_b32_e32 v6, 0x3b800000
	v_lshlrev_b32_e32 v2, 20, v2
	v_and_b32_e32 v4, 0x80000000, v4
	v_lshl_add_u32 v3, v3, 23, v6
	v_or3_b32 v2, v4, v3, v2
.LBB12_1524:
	s_or_b64 exec, exec, s[6:7]
	s_movk_i32 s4, 0xff
	v_and_b32_sdwa v3, v5, s4 dst_sel:DWORD dst_unused:UNUSED_PAD src0_sel:WORD_1 src1_sel:DWORD
	s_movk_i32 s4, 0x7f
	v_cmp_lt_i16_e32 vcc, s4, v3
	s_mov_b64 s[4:5], 0
                                        ; implicit-def: $sgpr10
	s_and_saveexec_b64 s[6:7], vcc
	s_xor_b64 s[6:7], exec, s[6:7]
	s_cbranch_execnz .LBB12_3573
; %bb.1525:
	s_or_saveexec_b64 s[6:7], s[6:7]
	v_mov_b32_e32 v4, s10
	s_xor_b64 exec, exec, s[6:7]
	s_cbranch_execnz .LBB12_3576
.LBB12_1526:
	s_or_b64 exec, exec, s[6:7]
	s_and_saveexec_b64 s[6:7], s[4:5]
	s_cbranch_execz .LBB12_1528
.LBB12_1527:
	v_bfe_u32 v3, v5, 16, 3
	v_ffbh_u32_e32 v7, v3
	v_min_u32_e32 v7, 32, v7
	v_lshrrev_b32_e32 v4, 19, v5
	v_subrev_u32_e32 v8, 28, v7
	v_and_b32_e32 v4, 15, v4
	v_lshlrev_b32_sdwa v8, v8, v5 dst_sel:DWORD dst_unused:UNUSED_PAD src0_sel:DWORD src1_sel:WORD_1
	v_bfe_u32 v6, v5, 19, 4
	v_sub_u32_e32 v7, 29, v7
	v_and_b32_e32 v8, 7, v8
	v_cmp_eq_u16_e32 vcc, 0, v4
	v_cndmask_b32_e32 v3, v3, v8, vcc
	v_cndmask_b32_e32 v4, v6, v7, vcc
	v_lshlrev_b32_e32 v6, 8, v5
	v_mov_b32_e32 v7, 0x3b800000
	v_lshlrev_b32_e32 v3, 20, v3
	v_and_b32_e32 v6, 0x80000000, v6
	v_lshl_add_u32 v4, v4, 23, v7
	v_or3_b32 v4, v6, v4, v3
.LBB12_1528:
	s_or_b64 exec, exec, s[6:7]
	s_nop 0
	v_mfma_f32_16x16x4f32 a[0:3], v2, v4, a[0:3]
	s_movk_i32 s4, 0x7f
	v_cmp_gt_i16_sdwa s[6:7], v9, s4 src0_sel:BYTE_3 src1_sel:DWORD
	s_mov_b64 s[4:5], 0
                                        ; implicit-def: $sgpr10
	s_and_saveexec_b64 s[8:9], s[6:7]
	s_xor_b64 s[6:7], exec, s[8:9]
	s_cbranch_execnz .LBB12_3577
; %bb.1529:
	s_or_saveexec_b64 s[6:7], s[6:7]
	v_mov_b32_e32 v2, s10
	s_xor_b64 exec, exec, s[6:7]
	s_cbranch_execnz .LBB12_3580
.LBB12_1530:
	s_or_b64 exec, exec, s[6:7]
	s_and_saveexec_b64 s[6:7], s[4:5]
	s_cbranch_execz .LBB12_1532
.LBB12_1531:
	v_bfe_u32 v2, v9, 24, 3
	v_ffbh_u32_e32 v7, v2
	v_min_u32_e32 v7, 32, v7
	v_lshrrev_b32_e32 v4, 27, v9
	v_subrev_u32_e32 v8, 28, v7
	v_and_b32_e32 v4, 15, v4
	v_lshlrev_b32_sdwa v8, v8, v9 dst_sel:DWORD dst_unused:UNUSED_PAD src0_sel:DWORD src1_sel:BYTE_3
	v_bfe_u32 v6, v9, 27, 4
	v_sub_u32_e32 v7, 29, v7
	v_and_b32_e32 v8, 7, v8
	v_cmp_eq_u16_e32 vcc, 0, v4
	v_cndmask_b32_e32 v2, v2, v8, vcc
	v_cndmask_b32_e32 v4, v6, v7, vcc
	v_mov_b32_e32 v6, 0x3b800000
	v_and_b32_e32 v3, 0x80000000, v9
	v_lshlrev_b32_e32 v2, 20, v2
	v_lshl_add_u32 v4, v4, 23, v6
	v_or3_b32 v2, v3, v4, v2
.LBB12_1532:
	s_or_b64 exec, exec, s[6:7]
	s_movk_i32 s4, 0x7f
	v_cmp_gt_i16_sdwa s[6:7], v5, s4 src0_sel:BYTE_3 src1_sel:DWORD
	s_mov_b64 s[4:5], 0
                                        ; implicit-def: $sgpr10
	s_and_saveexec_b64 s[8:9], s[6:7]
	s_xor_b64 s[6:7], exec, s[8:9]
	s_cbranch_execnz .LBB12_3581
; %bb.1533:
	s_or_saveexec_b64 s[6:7], s[6:7]
	v_mov_b32_e32 v3, s10
	s_xor_b64 exec, exec, s[6:7]
	s_cbranch_execnz .LBB12_3584
.LBB12_1534:
	s_or_b64 exec, exec, s[6:7]
	s_and_saveexec_b64 s[6:7], s[4:5]
	s_cbranch_execz .LBB12_1536
.LBB12_1535:
	v_bfe_u32 v3, v5, 24, 3
	v_ffbh_u32_e32 v8, v3
	v_min_u32_e32 v8, 32, v8
	v_lshrrev_b32_e32 v6, 27, v5
	v_subrev_u32_e32 v9, 28, v8
	v_and_b32_e32 v4, 0x80000000, v5
	v_and_b32_e32 v6, 15, v6
	v_bfe_u32 v7, v5, 27, 4
	v_lshlrev_b32_sdwa v5, v9, v5 dst_sel:DWORD dst_unused:UNUSED_PAD src0_sel:DWORD src1_sel:BYTE_3
	v_sub_u32_e32 v8, 29, v8
	v_and_b32_e32 v5, 7, v5
	v_cmp_eq_u16_e32 vcc, 0, v6
	v_cndmask_b32_e32 v3, v3, v5, vcc
	v_cndmask_b32_e32 v5, v7, v8, vcc
	v_mov_b32_e32 v6, 0x3b800000
	v_lshlrev_b32_e32 v3, 20, v3
	v_lshl_add_u32 v5, v5, 23, v6
	v_or3_b32 v3, v4, v5, v3
.LBB12_1536:
	s_or_b64 exec, exec, s[6:7]
	s_nop 0
	v_mfma_f32_16x16x4f32 a[0:3], v2, v3, a[0:3]
	s_movk_i32 s4, 0x7f
                                        ; implicit-def: $sgpr10
	s_nop 7
	s_nop 1
	flat_store_dwordx4 v[18:19], a[0:3] offset:336
	flat_load_dwordx4 v[20:23], v[0:1] offset:16
	s_nop 0
	flat_load_dwordx2 v[18:19], v[0:1] offset:32
	s_waitcnt vmcnt(0) lgkmcnt(0)
	flat_load_dwordx4 v[14:17], v[20:21]
	flat_load_dwordx4 v[6:9], v[20:21] offset:16
	flat_load_dwordx4 v[10:13], v[22:23] offset:448
	;; [unrolled: 1-line block ×3, first 2 shown]
	s_waitcnt vmcnt(0) lgkmcnt(0)
	v_cmp_gt_i16_sdwa s[6:7], v14, s4 src0_sel:BYTE_0 src1_sel:DWORD
	s_mov_b64 s[4:5], 0
	s_and_saveexec_b64 s[8:9], s[6:7]
	s_xor_b64 s[6:7], exec, s[8:9]
	s_cbranch_execnz .LBB12_3585
; %bb.1537:
	s_or_saveexec_b64 s[6:7], s[6:7]
	v_mov_b32_e32 v20, s10
	s_xor_b64 exec, exec, s[6:7]
	s_cbranch_execnz .LBB12_3588
.LBB12_1538:
	s_or_b64 exec, exec, s[6:7]
	s_and_saveexec_b64 s[6:7], s[4:5]
	s_cbranch_execz .LBB12_1540
.LBB12_1539:
	v_and_b32_e32 v20, 7, v14
	v_ffbh_u32_e32 v22, v20
	v_min_u32_e32 v22, 32, v22
	v_lshrrev_b16_e32 v21, 3, v14
	v_subrev_u32_e32 v23, 28, v22
	v_and_b32_e32 v21, 15, v21
	v_lshlrev_b32_e32 v23, v23, v14
	v_sub_u32_e32 v22, 29, v22
	v_and_b32_e32 v23, 7, v23
	v_cmp_eq_u16_e32 vcc, 0, v21
	v_cndmask_b32_e32 v20, v20, v23, vcc
	v_cndmask_b32_e32 v21, v21, v22, vcc
	v_lshlrev_b32_e32 v22, 24, v14
	v_mov_b32_e32 v23, 0x3b800000
	v_lshlrev_b32_e32 v20, 20, v20
	v_and_b32_e32 v22, 0x80000000, v22
	v_lshl_add_u32 v21, v21, 23, v23
	v_or3_b32 v20, v22, v21, v20
.LBB12_1540:
	s_or_b64 exec, exec, s[6:7]
	s_movk_i32 s4, 0x7f
	v_cmp_gt_i16_sdwa s[6:7], v10, s4 src0_sel:BYTE_0 src1_sel:DWORD
	s_mov_b64 s[4:5], 0
                                        ; implicit-def: $sgpr10
	s_and_saveexec_b64 s[8:9], s[6:7]
	s_xor_b64 s[6:7], exec, s[8:9]
	s_cbranch_execnz .LBB12_3589
; %bb.1541:
	s_or_saveexec_b64 s[6:7], s[6:7]
	v_mov_b32_e32 v21, s10
	s_xor_b64 exec, exec, s[6:7]
	s_cbranch_execnz .LBB12_3592
.LBB12_1542:
	s_or_b64 exec, exec, s[6:7]
	s_and_saveexec_b64 s[6:7], s[4:5]
	s_cbranch_execz .LBB12_1544
.LBB12_1543:
	v_and_b32_e32 v21, 7, v10
	v_ffbh_u32_e32 v23, v21
	v_min_u32_e32 v23, 32, v23
	v_lshrrev_b16_e32 v22, 3, v10
	v_subrev_u32_e32 v24, 28, v23
	v_and_b32_e32 v22, 15, v22
	v_lshlrev_b32_e32 v24, v24, v10
	v_sub_u32_e32 v23, 29, v23
	v_and_b32_e32 v24, 7, v24
	v_cmp_eq_u16_e32 vcc, 0, v22
	v_cndmask_b32_e32 v21, v21, v24, vcc
	v_cndmask_b32_e32 v22, v22, v23, vcc
	v_lshlrev_b32_e32 v23, 24, v10
	v_mov_b32_e32 v24, 0x3b800000
	v_lshlrev_b32_e32 v21, 20, v21
	v_and_b32_e32 v23, 0x80000000, v23
	v_lshl_add_u32 v22, v22, 23, v24
	v_or3_b32 v21, v23, v22, v21
.LBB12_1544:
	s_or_b64 exec, exec, s[6:7]
	flat_load_dwordx4 a[0:3], v[18:19] offset:352
	s_movk_i32 s4, 0x7f
                                        ; implicit-def: $sgpr10
	s_waitcnt vmcnt(0) lgkmcnt(0)
	v_mfma_f32_16x16x4f32 a[0:3], v20, v21, a[0:3]
	v_lshrrev_b32_e32 v21, 8, v14
	v_cmp_gt_i16_sdwa s[6:7], v21, s4 src0_sel:BYTE_0 src1_sel:DWORD
	s_mov_b64 s[4:5], 0
	s_and_saveexec_b64 s[8:9], s[6:7]
	s_xor_b64 s[6:7], exec, s[8:9]
	s_cbranch_execnz .LBB12_3593
; %bb.1545:
	s_or_saveexec_b64 s[6:7], s[6:7]
	v_mov_b32_e32 v20, s10
	s_xor_b64 exec, exec, s[6:7]
	s_cbranch_execnz .LBB12_3596
.LBB12_1546:
	s_or_b64 exec, exec, s[6:7]
	s_and_saveexec_b64 s[6:7], s[4:5]
	s_cbranch_execz .LBB12_1548
.LBB12_1547:
	v_bfe_u32 v20, v14, 8, 3
	v_ffbh_u32_e32 v23, v20
	v_min_u32_e32 v23, 32, v23
	v_lshrrev_b16_e32 v22, 3, v21
	v_subrev_u32_e32 v24, 28, v23
	v_and_b32_e32 v22, 15, v22
	v_lshlrev_b32_e32 v21, v24, v21
	v_sub_u32_e32 v23, 29, v23
	v_and_b32_e32 v21, 7, v21
	v_cmp_eq_u16_e32 vcc, 0, v22
	v_cndmask_b32_e32 v20, v20, v21, vcc
	v_cndmask_b32_e32 v21, v22, v23, vcc
	v_lshlrev_b32_e32 v22, 16, v14
	v_mov_b32_e32 v23, 0x3b800000
	v_lshlrev_b32_e32 v20, 20, v20
	v_and_b32_e32 v22, 0x80000000, v22
	v_lshl_add_u32 v21, v21, 23, v23
	v_or3_b32 v20, v22, v21, v20
.LBB12_1548:
	s_or_b64 exec, exec, s[6:7]
	v_lshrrev_b32_e32 v21, 8, v10
	s_movk_i32 s4, 0x7f
	v_cmp_gt_i16_sdwa s[6:7], v21, s4 src0_sel:BYTE_0 src1_sel:DWORD
	s_mov_b64 s[4:5], 0
                                        ; implicit-def: $sgpr10
	s_and_saveexec_b64 s[8:9], s[6:7]
	s_xor_b64 s[6:7], exec, s[8:9]
	s_cbranch_execnz .LBB12_3597
; %bb.1549:
	s_or_saveexec_b64 s[6:7], s[6:7]
	v_mov_b32_e32 v22, s10
	s_xor_b64 exec, exec, s[6:7]
	s_cbranch_execnz .LBB12_3600
.LBB12_1550:
	s_or_b64 exec, exec, s[6:7]
	s_and_saveexec_b64 s[6:7], s[4:5]
	s_cbranch_execz .LBB12_1552
.LBB12_1551:
	v_bfe_u32 v22, v10, 8, 3
	v_ffbh_u32_e32 v24, v22
	v_min_u32_e32 v24, 32, v24
	v_lshrrev_b16_e32 v23, 3, v21
	v_subrev_u32_e32 v25, 28, v24
	v_and_b32_e32 v23, 15, v23
	v_lshlrev_b32_e32 v21, v25, v21
	v_sub_u32_e32 v24, 29, v24
	v_and_b32_e32 v21, 7, v21
	v_cmp_eq_u16_e32 vcc, 0, v23
	v_cndmask_b32_e32 v21, v22, v21, vcc
	v_cndmask_b32_e32 v22, v23, v24, vcc
	v_lshlrev_b32_e32 v23, 16, v10
	v_mov_b32_e32 v24, 0x3b800000
	v_lshlrev_b32_e32 v21, 20, v21
	v_and_b32_e32 v23, 0x80000000, v23
	v_lshl_add_u32 v22, v22, 23, v24
	v_or3_b32 v22, v23, v22, v21
.LBB12_1552:
	s_or_b64 exec, exec, s[6:7]
	s_nop 0
	v_mfma_f32_16x16x4f32 a[0:3], v20, v22, a[0:3]
	s_movk_i32 s4, 0xff
	v_and_b32_sdwa v21, v14, s4 dst_sel:DWORD dst_unused:UNUSED_PAD src0_sel:WORD_1 src1_sel:DWORD
	s_movk_i32 s4, 0x7f
	v_cmp_lt_i16_e32 vcc, s4, v21
	s_mov_b64 s[4:5], 0
                                        ; implicit-def: $sgpr10
	s_and_saveexec_b64 s[6:7], vcc
	s_xor_b64 s[6:7], exec, s[6:7]
	s_cbranch_execnz .LBB12_3601
; %bb.1553:
	s_or_saveexec_b64 s[6:7], s[6:7]
	v_mov_b32_e32 v20, s10
	s_xor_b64 exec, exec, s[6:7]
	s_cbranch_execnz .LBB12_3604
.LBB12_1554:
	s_or_b64 exec, exec, s[6:7]
	s_and_saveexec_b64 s[6:7], s[4:5]
	s_cbranch_execz .LBB12_1556
.LBB12_1555:
	v_bfe_u32 v20, v14, 16, 3
	v_ffbh_u32_e32 v23, v20
	v_min_u32_e32 v23, 32, v23
	v_lshrrev_b32_e32 v21, 19, v14
	v_subrev_u32_e32 v24, 28, v23
	v_and_b32_e32 v21, 15, v21
	v_lshlrev_b32_sdwa v24, v24, v14 dst_sel:DWORD dst_unused:UNUSED_PAD src0_sel:DWORD src1_sel:WORD_1
	v_bfe_u32 v22, v14, 19, 4
	v_sub_u32_e32 v23, 29, v23
	v_and_b32_e32 v24, 7, v24
	v_cmp_eq_u16_e32 vcc, 0, v21
	v_cndmask_b32_e32 v20, v20, v24, vcc
	v_cndmask_b32_e32 v21, v22, v23, vcc
	v_lshlrev_b32_e32 v22, 8, v14
	v_mov_b32_e32 v23, 0x3b800000
	v_lshlrev_b32_e32 v20, 20, v20
	v_and_b32_e32 v22, 0x80000000, v22
	v_lshl_add_u32 v21, v21, 23, v23
	v_or3_b32 v20, v22, v21, v20
.LBB12_1556:
	s_or_b64 exec, exec, s[6:7]
	s_movk_i32 s4, 0xff
	v_and_b32_sdwa v21, v10, s4 dst_sel:DWORD dst_unused:UNUSED_PAD src0_sel:WORD_1 src1_sel:DWORD
	s_movk_i32 s4, 0x7f
	v_cmp_lt_i16_e32 vcc, s4, v21
	s_mov_b64 s[4:5], 0
                                        ; implicit-def: $sgpr10
	s_and_saveexec_b64 s[6:7], vcc
	s_xor_b64 s[6:7], exec, s[6:7]
	s_cbranch_execnz .LBB12_3605
; %bb.1557:
	s_or_saveexec_b64 s[6:7], s[6:7]
	v_mov_b32_e32 v22, s10
	s_xor_b64 exec, exec, s[6:7]
	s_cbranch_execnz .LBB12_3608
.LBB12_1558:
	s_or_b64 exec, exec, s[6:7]
	s_and_saveexec_b64 s[6:7], s[4:5]
	s_cbranch_execz .LBB12_1560
.LBB12_1559:
	v_bfe_u32 v21, v10, 16, 3
	v_ffbh_u32_e32 v24, v21
	v_min_u32_e32 v24, 32, v24
	v_lshrrev_b32_e32 v22, 19, v10
	v_subrev_u32_e32 v25, 28, v24
	v_and_b32_e32 v22, 15, v22
	v_lshlrev_b32_sdwa v25, v25, v10 dst_sel:DWORD dst_unused:UNUSED_PAD src0_sel:DWORD src1_sel:WORD_1
	v_bfe_u32 v23, v10, 19, 4
	v_sub_u32_e32 v24, 29, v24
	v_and_b32_e32 v25, 7, v25
	v_cmp_eq_u16_e32 vcc, 0, v22
	v_cndmask_b32_e32 v21, v21, v25, vcc
	v_cndmask_b32_e32 v22, v23, v24, vcc
	v_lshlrev_b32_e32 v23, 8, v10
	v_mov_b32_e32 v24, 0x3b800000
	v_lshlrev_b32_e32 v21, 20, v21
	v_and_b32_e32 v23, 0x80000000, v23
	v_lshl_add_u32 v22, v22, 23, v24
	v_or3_b32 v22, v23, v22, v21
.LBB12_1560:
	s_or_b64 exec, exec, s[6:7]
	s_nop 0
	v_mfma_f32_16x16x4f32 a[0:3], v20, v22, a[0:3]
	s_movk_i32 s4, 0x7f
	v_cmp_gt_i16_sdwa s[6:7], v14, s4 src0_sel:BYTE_3 src1_sel:DWORD
	s_mov_b64 s[4:5], 0
                                        ; implicit-def: $sgpr10
	s_and_saveexec_b64 s[8:9], s[6:7]
	s_xor_b64 s[6:7], exec, s[8:9]
	s_cbranch_execnz .LBB12_3609
; %bb.1561:
	s_or_saveexec_b64 s[6:7], s[6:7]
	v_mov_b32_e32 v20, s10
	s_xor_b64 exec, exec, s[6:7]
	s_cbranch_execnz .LBB12_3612
.LBB12_1562:
	s_or_b64 exec, exec, s[6:7]
	s_and_saveexec_b64 s[6:7], s[4:5]
	s_cbranch_execz .LBB12_1564
.LBB12_1563:
	v_bfe_u32 v20, v14, 24, 3
	v_ffbh_u32_e32 v24, v20
	v_min_u32_e32 v24, 32, v24
	v_lshrrev_b32_e32 v22, 27, v14
	v_subrev_u32_e32 v25, 28, v24
	v_and_b32_e32 v21, 0x80000000, v14
	v_and_b32_e32 v22, 15, v22
	v_bfe_u32 v23, v14, 27, 4
	v_lshlrev_b32_sdwa v14, v25, v14 dst_sel:DWORD dst_unused:UNUSED_PAD src0_sel:DWORD src1_sel:BYTE_3
	v_sub_u32_e32 v24, 29, v24
	v_and_b32_e32 v14, 7, v14
	v_cmp_eq_u16_e32 vcc, 0, v22
	v_cndmask_b32_e32 v14, v20, v14, vcc
	v_cndmask_b32_e32 v20, v23, v24, vcc
	v_mov_b32_e32 v22, 0x3b800000
	v_lshlrev_b32_e32 v14, 20, v14
	v_lshl_add_u32 v20, v20, 23, v22
	v_or3_b32 v20, v21, v20, v14
.LBB12_1564:
	s_or_b64 exec, exec, s[6:7]
	s_movk_i32 s4, 0x7f
	v_cmp_gt_i16_sdwa s[6:7], v10, s4 src0_sel:BYTE_3 src1_sel:DWORD
	s_mov_b64 s[4:5], 0
                                        ; implicit-def: $sgpr10
	s_and_saveexec_b64 s[8:9], s[6:7]
	s_xor_b64 s[6:7], exec, s[8:9]
	s_cbranch_execnz .LBB12_3613
; %bb.1565:
	s_or_saveexec_b64 s[6:7], s[6:7]
	v_mov_b32_e32 v14, s10
	s_xor_b64 exec, exec, s[6:7]
	s_cbranch_execnz .LBB12_3616
.LBB12_1566:
	s_or_b64 exec, exec, s[6:7]
	s_and_saveexec_b64 s[6:7], s[4:5]
	s_cbranch_execz .LBB12_1568
.LBB12_1567:
	v_bfe_u32 v14, v10, 24, 3
	v_ffbh_u32_e32 v24, v14
	v_min_u32_e32 v24, 32, v24
	v_lshrrev_b32_e32 v22, 27, v10
	v_subrev_u32_e32 v25, 28, v24
	v_and_b32_e32 v21, 0x80000000, v10
	v_and_b32_e32 v22, 15, v22
	v_bfe_u32 v23, v10, 27, 4
	v_lshlrev_b32_sdwa v10, v25, v10 dst_sel:DWORD dst_unused:UNUSED_PAD src0_sel:DWORD src1_sel:BYTE_3
	v_sub_u32_e32 v24, 29, v24
	v_and_b32_e32 v10, 7, v10
	v_cmp_eq_u16_e32 vcc, 0, v22
	v_cndmask_b32_e32 v10, v14, v10, vcc
	v_cndmask_b32_e32 v14, v23, v24, vcc
	v_mov_b32_e32 v22, 0x3b800000
	v_lshlrev_b32_e32 v10, 20, v10
	v_lshl_add_u32 v14, v14, 23, v22
	v_or3_b32 v14, v21, v14, v10
.LBB12_1568:
	s_or_b64 exec, exec, s[6:7]
	s_nop 0
	v_mfma_f32_16x16x4f32 a[0:3], v20, v14, a[0:3]
	s_movk_i32 s4, 0x7f
	v_cmp_gt_i16_sdwa s[6:7], v15, s4 src0_sel:BYTE_0 src1_sel:DWORD
	s_mov_b64 s[4:5], 0
                                        ; implicit-def: $sgpr10
	s_and_saveexec_b64 s[8:9], s[6:7]
	s_xor_b64 s[6:7], exec, s[8:9]
	s_cbranch_execnz .LBB12_3617
; %bb.1569:
	s_or_saveexec_b64 s[6:7], s[6:7]
	v_mov_b32_e32 v10, s10
	s_xor_b64 exec, exec, s[6:7]
	s_cbranch_execnz .LBB12_3620
.LBB12_1570:
	s_or_b64 exec, exec, s[6:7]
	s_and_saveexec_b64 s[6:7], s[4:5]
	s_cbranch_execz .LBB12_1572
.LBB12_1571:
	v_and_b32_e32 v10, 7, v15
	v_ffbh_u32_e32 v20, v10
	v_min_u32_e32 v20, 32, v20
	v_lshrrev_b16_e32 v14, 3, v15
	v_subrev_u32_e32 v21, 28, v20
	v_and_b32_e32 v14, 15, v14
	v_lshlrev_b32_e32 v21, v21, v15
	v_sub_u32_e32 v20, 29, v20
	v_and_b32_e32 v21, 7, v21
	v_cmp_eq_u16_e32 vcc, 0, v14
	v_cndmask_b32_e32 v10, v10, v21, vcc
	v_cndmask_b32_e32 v14, v14, v20, vcc
	v_lshlrev_b32_e32 v20, 24, v15
	v_mov_b32_e32 v21, 0x3b800000
	v_lshlrev_b32_e32 v10, 20, v10
	v_and_b32_e32 v20, 0x80000000, v20
	v_lshl_add_u32 v14, v14, 23, v21
	v_or3_b32 v10, v20, v14, v10
.LBB12_1572:
	s_or_b64 exec, exec, s[6:7]
	s_movk_i32 s4, 0x7f
	v_cmp_gt_i16_sdwa s[6:7], v11, s4 src0_sel:BYTE_0 src1_sel:DWORD
	s_mov_b64 s[4:5], 0
                                        ; implicit-def: $sgpr10
	s_and_saveexec_b64 s[8:9], s[6:7]
	s_xor_b64 s[6:7], exec, s[8:9]
	s_cbranch_execnz .LBB12_3621
; %bb.1573:
	s_or_saveexec_b64 s[6:7], s[6:7]
	v_mov_b32_e32 v14, s10
	s_xor_b64 exec, exec, s[6:7]
	s_cbranch_execnz .LBB12_3624
.LBB12_1574:
	s_or_b64 exec, exec, s[6:7]
	s_and_saveexec_b64 s[6:7], s[4:5]
	s_cbranch_execz .LBB12_1576
.LBB12_1575:
	v_and_b32_e32 v14, 7, v11
	v_ffbh_u32_e32 v21, v14
	v_min_u32_e32 v21, 32, v21
	v_lshrrev_b16_e32 v20, 3, v11
	v_subrev_u32_e32 v22, 28, v21
	v_and_b32_e32 v20, 15, v20
	v_lshlrev_b32_e32 v22, v22, v11
	v_sub_u32_e32 v21, 29, v21
	v_and_b32_e32 v22, 7, v22
	v_cmp_eq_u16_e32 vcc, 0, v20
	v_cndmask_b32_e32 v14, v14, v22, vcc
	v_cndmask_b32_e32 v20, v20, v21, vcc
	v_lshlrev_b32_e32 v21, 24, v11
	v_mov_b32_e32 v22, 0x3b800000
	v_lshlrev_b32_e32 v14, 20, v14
	v_and_b32_e32 v21, 0x80000000, v21
	v_lshl_add_u32 v20, v20, 23, v22
	v_or3_b32 v14, v21, v20, v14
.LBB12_1576:
	s_or_b64 exec, exec, s[6:7]
	s_nop 0
	v_mfma_f32_16x16x4f32 a[0:3], v10, v14, a[0:3]
	v_lshrrev_b32_e32 v14, 8, v15
	s_movk_i32 s4, 0x7f
	v_cmp_gt_i16_sdwa s[6:7], v14, s4 src0_sel:BYTE_0 src1_sel:DWORD
	s_mov_b64 s[4:5], 0
                                        ; implicit-def: $sgpr10
	s_and_saveexec_b64 s[8:9], s[6:7]
	s_xor_b64 s[6:7], exec, s[8:9]
	s_cbranch_execnz .LBB12_3625
; %bb.1577:
	s_or_saveexec_b64 s[6:7], s[6:7]
	v_mov_b32_e32 v10, s10
	s_xor_b64 exec, exec, s[6:7]
	s_cbranch_execnz .LBB12_3628
.LBB12_1578:
	s_or_b64 exec, exec, s[6:7]
	s_and_saveexec_b64 s[6:7], s[4:5]
	s_cbranch_execz .LBB12_1580
.LBB12_1579:
	v_bfe_u32 v10, v15, 8, 3
	v_ffbh_u32_e32 v21, v10
	v_min_u32_e32 v21, 32, v21
	v_lshrrev_b16_e32 v20, 3, v14
	v_subrev_u32_e32 v22, 28, v21
	v_and_b32_e32 v20, 15, v20
	v_lshlrev_b32_e32 v14, v22, v14
	v_sub_u32_e32 v21, 29, v21
	v_and_b32_e32 v14, 7, v14
	v_cmp_eq_u16_e32 vcc, 0, v20
	v_cndmask_b32_e32 v10, v10, v14, vcc
	v_cndmask_b32_e32 v14, v20, v21, vcc
	v_lshlrev_b32_e32 v20, 16, v15
	v_mov_b32_e32 v21, 0x3b800000
	v_lshlrev_b32_e32 v10, 20, v10
	v_and_b32_e32 v20, 0x80000000, v20
	v_lshl_add_u32 v14, v14, 23, v21
	v_or3_b32 v10, v20, v14, v10
.LBB12_1580:
	s_or_b64 exec, exec, s[6:7]
	v_lshrrev_b32_e32 v14, 8, v11
	s_movk_i32 s4, 0x7f
	v_cmp_gt_i16_sdwa s[6:7], v14, s4 src0_sel:BYTE_0 src1_sel:DWORD
	s_mov_b64 s[4:5], 0
                                        ; implicit-def: $sgpr10
	s_and_saveexec_b64 s[8:9], s[6:7]
	s_xor_b64 s[6:7], exec, s[8:9]
	s_cbranch_execnz .LBB12_3629
; %bb.1581:
	s_or_saveexec_b64 s[6:7], s[6:7]
	v_mov_b32_e32 v20, s10
	s_xor_b64 exec, exec, s[6:7]
	s_cbranch_execnz .LBB12_3632
.LBB12_1582:
	s_or_b64 exec, exec, s[6:7]
	s_and_saveexec_b64 s[6:7], s[4:5]
	s_cbranch_execz .LBB12_1584
.LBB12_1583:
	v_bfe_u32 v20, v11, 8, 3
	v_ffbh_u32_e32 v22, v20
	v_min_u32_e32 v22, 32, v22
	v_lshrrev_b16_e32 v21, 3, v14
	v_subrev_u32_e32 v23, 28, v22
	v_and_b32_e32 v21, 15, v21
	v_lshlrev_b32_e32 v14, v23, v14
	v_sub_u32_e32 v22, 29, v22
	v_and_b32_e32 v14, 7, v14
	v_cmp_eq_u16_e32 vcc, 0, v21
	v_cndmask_b32_e32 v14, v20, v14, vcc
	v_cndmask_b32_e32 v20, v21, v22, vcc
	v_lshlrev_b32_e32 v21, 16, v11
	v_mov_b32_e32 v22, 0x3b800000
	v_lshlrev_b32_e32 v14, 20, v14
	v_and_b32_e32 v21, 0x80000000, v21
	v_lshl_add_u32 v20, v20, 23, v22
	v_or3_b32 v20, v21, v20, v14
.LBB12_1584:
	s_or_b64 exec, exec, s[6:7]
	s_nop 0
	v_mfma_f32_16x16x4f32 a[0:3], v10, v20, a[0:3]
	s_movk_i32 s4, 0xff
	v_and_b32_sdwa v14, v15, s4 dst_sel:DWORD dst_unused:UNUSED_PAD src0_sel:WORD_1 src1_sel:DWORD
	s_movk_i32 s4, 0x7f
	v_cmp_lt_i16_e32 vcc, s4, v14
	s_mov_b64 s[4:5], 0
                                        ; implicit-def: $sgpr10
	s_and_saveexec_b64 s[6:7], vcc
	s_xor_b64 s[6:7], exec, s[6:7]
	s_cbranch_execnz .LBB12_3633
; %bb.1585:
	s_or_saveexec_b64 s[6:7], s[6:7]
	v_mov_b32_e32 v10, s10
	s_xor_b64 exec, exec, s[6:7]
	s_cbranch_execnz .LBB12_3636
.LBB12_1586:
	s_or_b64 exec, exec, s[6:7]
	s_and_saveexec_b64 s[6:7], s[4:5]
	s_cbranch_execz .LBB12_1588
.LBB12_1587:
	v_bfe_u32 v10, v15, 16, 3
	v_ffbh_u32_e32 v21, v10
	v_min_u32_e32 v21, 32, v21
	v_lshrrev_b32_e32 v14, 19, v15
	v_subrev_u32_e32 v22, 28, v21
	v_and_b32_e32 v14, 15, v14
	v_lshlrev_b32_sdwa v22, v22, v15 dst_sel:DWORD dst_unused:UNUSED_PAD src0_sel:DWORD src1_sel:WORD_1
	v_bfe_u32 v20, v15, 19, 4
	v_sub_u32_e32 v21, 29, v21
	v_and_b32_e32 v22, 7, v22
	v_cmp_eq_u16_e32 vcc, 0, v14
	v_cndmask_b32_e32 v10, v10, v22, vcc
	v_cndmask_b32_e32 v14, v20, v21, vcc
	v_lshlrev_b32_e32 v20, 8, v15
	v_mov_b32_e32 v21, 0x3b800000
	v_lshlrev_b32_e32 v10, 20, v10
	v_and_b32_e32 v20, 0x80000000, v20
	v_lshl_add_u32 v14, v14, 23, v21
	v_or3_b32 v10, v20, v14, v10
.LBB12_1588:
	s_or_b64 exec, exec, s[6:7]
	s_movk_i32 s4, 0xff
	v_and_b32_sdwa v14, v11, s4 dst_sel:DWORD dst_unused:UNUSED_PAD src0_sel:WORD_1 src1_sel:DWORD
	s_movk_i32 s4, 0x7f
	v_cmp_lt_i16_e32 vcc, s4, v14
	s_mov_b64 s[4:5], 0
                                        ; implicit-def: $sgpr10
	s_and_saveexec_b64 s[6:7], vcc
	s_xor_b64 s[6:7], exec, s[6:7]
	s_cbranch_execnz .LBB12_3637
; %bb.1589:
	s_or_saveexec_b64 s[6:7], s[6:7]
	v_mov_b32_e32 v20, s10
	s_xor_b64 exec, exec, s[6:7]
	s_cbranch_execnz .LBB12_3640
.LBB12_1590:
	s_or_b64 exec, exec, s[6:7]
	s_and_saveexec_b64 s[6:7], s[4:5]
	s_cbranch_execz .LBB12_1592
.LBB12_1591:
	v_bfe_u32 v14, v11, 16, 3
	v_ffbh_u32_e32 v22, v14
	v_min_u32_e32 v22, 32, v22
	v_lshrrev_b32_e32 v20, 19, v11
	v_subrev_u32_e32 v23, 28, v22
	v_and_b32_e32 v20, 15, v20
	v_lshlrev_b32_sdwa v23, v23, v11 dst_sel:DWORD dst_unused:UNUSED_PAD src0_sel:DWORD src1_sel:WORD_1
	v_bfe_u32 v21, v11, 19, 4
	v_sub_u32_e32 v22, 29, v22
	v_and_b32_e32 v23, 7, v23
	v_cmp_eq_u16_e32 vcc, 0, v20
	v_cndmask_b32_e32 v14, v14, v23, vcc
	v_cndmask_b32_e32 v20, v21, v22, vcc
	v_lshlrev_b32_e32 v21, 8, v11
	v_mov_b32_e32 v22, 0x3b800000
	v_lshlrev_b32_e32 v14, 20, v14
	v_and_b32_e32 v21, 0x80000000, v21
	v_lshl_add_u32 v20, v20, 23, v22
	v_or3_b32 v20, v21, v20, v14
.LBB12_1592:
	s_or_b64 exec, exec, s[6:7]
	s_nop 0
	v_mfma_f32_16x16x4f32 a[0:3], v10, v20, a[0:3]
	s_movk_i32 s4, 0x7f
	v_cmp_gt_i16_sdwa s[6:7], v15, s4 src0_sel:BYTE_3 src1_sel:DWORD
	s_mov_b64 s[4:5], 0
                                        ; implicit-def: $sgpr10
	s_and_saveexec_b64 s[8:9], s[6:7]
	s_xor_b64 s[6:7], exec, s[8:9]
	s_cbranch_execnz .LBB12_3641
; %bb.1593:
	s_or_saveexec_b64 s[6:7], s[6:7]
	v_mov_b32_e32 v10, s10
	s_xor_b64 exec, exec, s[6:7]
	s_cbranch_execnz .LBB12_3644
.LBB12_1594:
	s_or_b64 exec, exec, s[6:7]
	s_and_saveexec_b64 s[6:7], s[4:5]
	s_cbranch_execz .LBB12_1596
.LBB12_1595:
	v_bfe_u32 v10, v15, 24, 3
	v_ffbh_u32_e32 v22, v10
	v_min_u32_e32 v22, 32, v22
	v_lshrrev_b32_e32 v20, 27, v15
	v_subrev_u32_e32 v23, 28, v22
	v_and_b32_e32 v14, 0x80000000, v15
	v_and_b32_e32 v20, 15, v20
	v_bfe_u32 v21, v15, 27, 4
	v_lshlrev_b32_sdwa v15, v23, v15 dst_sel:DWORD dst_unused:UNUSED_PAD src0_sel:DWORD src1_sel:BYTE_3
	v_sub_u32_e32 v22, 29, v22
	v_and_b32_e32 v15, 7, v15
	v_cmp_eq_u16_e32 vcc, 0, v20
	v_cndmask_b32_e32 v10, v10, v15, vcc
	v_cndmask_b32_e32 v15, v21, v22, vcc
	v_mov_b32_e32 v20, 0x3b800000
	v_lshlrev_b32_e32 v10, 20, v10
	v_lshl_add_u32 v15, v15, 23, v20
	v_or3_b32 v10, v14, v15, v10
.LBB12_1596:
	s_or_b64 exec, exec, s[6:7]
	s_movk_i32 s4, 0x7f
	v_cmp_gt_i16_sdwa s[6:7], v11, s4 src0_sel:BYTE_3 src1_sel:DWORD
	s_mov_b64 s[4:5], 0
                                        ; implicit-def: $sgpr10
	s_and_saveexec_b64 s[8:9], s[6:7]
	s_xor_b64 s[6:7], exec, s[8:9]
	s_cbranch_execnz .LBB12_3645
; %bb.1597:
	s_or_saveexec_b64 s[6:7], s[6:7]
	v_mov_b32_e32 v14, s10
	s_xor_b64 exec, exec, s[6:7]
	s_cbranch_execnz .LBB12_3648
.LBB12_1598:
	s_or_b64 exec, exec, s[6:7]
	s_and_saveexec_b64 s[6:7], s[4:5]
	s_cbranch_execz .LBB12_1600
.LBB12_1599:
	v_bfe_u32 v14, v11, 24, 3
	v_ffbh_u32_e32 v22, v14
	v_min_u32_e32 v22, 32, v22
	v_lshrrev_b32_e32 v20, 27, v11
	v_subrev_u32_e32 v23, 28, v22
	v_and_b32_e32 v15, 0x80000000, v11
	v_and_b32_e32 v20, 15, v20
	v_bfe_u32 v21, v11, 27, 4
	v_lshlrev_b32_sdwa v11, v23, v11 dst_sel:DWORD dst_unused:UNUSED_PAD src0_sel:DWORD src1_sel:BYTE_3
	v_sub_u32_e32 v22, 29, v22
	v_and_b32_e32 v11, 7, v11
	v_cmp_eq_u16_e32 vcc, 0, v20
	v_cndmask_b32_e32 v11, v14, v11, vcc
	v_cndmask_b32_e32 v14, v21, v22, vcc
	v_mov_b32_e32 v20, 0x3b800000
	v_lshlrev_b32_e32 v11, 20, v11
	v_lshl_add_u32 v14, v14, 23, v20
	v_or3_b32 v14, v15, v14, v11
.LBB12_1600:
	s_or_b64 exec, exec, s[6:7]
	s_nop 0
	v_mfma_f32_16x16x4f32 a[0:3], v10, v14, a[0:3]
	s_movk_i32 s4, 0x7f
	v_cmp_gt_i16_sdwa s[6:7], v16, s4 src0_sel:BYTE_0 src1_sel:DWORD
	s_mov_b64 s[4:5], 0
                                        ; implicit-def: $sgpr10
	s_and_saveexec_b64 s[8:9], s[6:7]
	s_xor_b64 s[6:7], exec, s[8:9]
	s_cbranch_execnz .LBB12_3649
; %bb.1601:
	s_or_saveexec_b64 s[6:7], s[6:7]
	v_mov_b32_e32 v10, s10
	s_xor_b64 exec, exec, s[6:7]
	s_cbranch_execnz .LBB12_3652
.LBB12_1602:
	s_or_b64 exec, exec, s[6:7]
	s_and_saveexec_b64 s[6:7], s[4:5]
	s_cbranch_execz .LBB12_1604
.LBB12_1603:
	v_and_b32_e32 v10, 7, v16
	v_ffbh_u32_e32 v14, v10
	v_min_u32_e32 v14, 32, v14
	v_lshrrev_b16_e32 v11, 3, v16
	v_subrev_u32_e32 v15, 28, v14
	v_and_b32_e32 v11, 15, v11
	v_lshlrev_b32_e32 v15, v15, v16
	v_sub_u32_e32 v14, 29, v14
	v_and_b32_e32 v15, 7, v15
	v_cmp_eq_u16_e32 vcc, 0, v11
	v_cndmask_b32_e32 v10, v10, v15, vcc
	v_cndmask_b32_e32 v11, v11, v14, vcc
	v_lshlrev_b32_e32 v14, 24, v16
	v_mov_b32_e32 v15, 0x3b800000
	v_lshlrev_b32_e32 v10, 20, v10
	v_and_b32_e32 v14, 0x80000000, v14
	v_lshl_add_u32 v11, v11, 23, v15
	v_or3_b32 v10, v14, v11, v10
.LBB12_1604:
	s_or_b64 exec, exec, s[6:7]
	s_movk_i32 s4, 0x7f
	v_cmp_gt_i16_sdwa s[6:7], v12, s4 src0_sel:BYTE_0 src1_sel:DWORD
	s_mov_b64 s[4:5], 0
                                        ; implicit-def: $sgpr10
	s_and_saveexec_b64 s[8:9], s[6:7]
	s_xor_b64 s[6:7], exec, s[8:9]
	s_cbranch_execnz .LBB12_3653
; %bb.1605:
	s_or_saveexec_b64 s[6:7], s[6:7]
	v_mov_b32_e32 v11, s10
	s_xor_b64 exec, exec, s[6:7]
	s_cbranch_execnz .LBB12_3656
.LBB12_1606:
	s_or_b64 exec, exec, s[6:7]
	s_and_saveexec_b64 s[6:7], s[4:5]
	s_cbranch_execz .LBB12_1608
.LBB12_1607:
	v_and_b32_e32 v11, 7, v12
	v_ffbh_u32_e32 v15, v11
	v_min_u32_e32 v15, 32, v15
	v_lshrrev_b16_e32 v14, 3, v12
	v_subrev_u32_e32 v20, 28, v15
	v_and_b32_e32 v14, 15, v14
	v_lshlrev_b32_e32 v20, v20, v12
	v_sub_u32_e32 v15, 29, v15
	v_and_b32_e32 v20, 7, v20
	v_cmp_eq_u16_e32 vcc, 0, v14
	v_cndmask_b32_e32 v11, v11, v20, vcc
	v_cndmask_b32_e32 v14, v14, v15, vcc
	v_lshlrev_b32_e32 v15, 24, v12
	v_mov_b32_e32 v20, 0x3b800000
	v_lshlrev_b32_e32 v11, 20, v11
	v_and_b32_e32 v15, 0x80000000, v15
	v_lshl_add_u32 v14, v14, 23, v20
	v_or3_b32 v11, v15, v14, v11
.LBB12_1608:
	s_or_b64 exec, exec, s[6:7]
	s_nop 0
	v_mfma_f32_16x16x4f32 a[0:3], v10, v11, a[0:3]
	v_lshrrev_b32_e32 v11, 8, v16
	s_movk_i32 s4, 0x7f
	v_cmp_gt_i16_sdwa s[6:7], v11, s4 src0_sel:BYTE_0 src1_sel:DWORD
	s_mov_b64 s[4:5], 0
                                        ; implicit-def: $sgpr10
	s_and_saveexec_b64 s[8:9], s[6:7]
	s_xor_b64 s[6:7], exec, s[8:9]
	s_cbranch_execnz .LBB12_3657
; %bb.1609:
	s_or_saveexec_b64 s[6:7], s[6:7]
	v_mov_b32_e32 v10, s10
	s_xor_b64 exec, exec, s[6:7]
	s_cbranch_execnz .LBB12_3660
.LBB12_1610:
	s_or_b64 exec, exec, s[6:7]
	s_and_saveexec_b64 s[6:7], s[4:5]
	s_cbranch_execz .LBB12_1612
.LBB12_1611:
	v_bfe_u32 v10, v16, 8, 3
	v_ffbh_u32_e32 v15, v10
	v_min_u32_e32 v15, 32, v15
	v_lshrrev_b16_e32 v14, 3, v11
	v_subrev_u32_e32 v20, 28, v15
	v_and_b32_e32 v14, 15, v14
	v_lshlrev_b32_e32 v11, v20, v11
	v_sub_u32_e32 v15, 29, v15
	v_and_b32_e32 v11, 7, v11
	v_cmp_eq_u16_e32 vcc, 0, v14
	v_cndmask_b32_e32 v10, v10, v11, vcc
	v_cndmask_b32_e32 v11, v14, v15, vcc
	v_lshlrev_b32_e32 v14, 16, v16
	v_mov_b32_e32 v15, 0x3b800000
	v_lshlrev_b32_e32 v10, 20, v10
	v_and_b32_e32 v14, 0x80000000, v14
	v_lshl_add_u32 v11, v11, 23, v15
	v_or3_b32 v10, v14, v11, v10
.LBB12_1612:
	s_or_b64 exec, exec, s[6:7]
	v_lshrrev_b32_e32 v11, 8, v12
	s_movk_i32 s4, 0x7f
	v_cmp_gt_i16_sdwa s[6:7], v11, s4 src0_sel:BYTE_0 src1_sel:DWORD
	s_mov_b64 s[4:5], 0
                                        ; implicit-def: $sgpr10
	s_and_saveexec_b64 s[8:9], s[6:7]
	s_xor_b64 s[6:7], exec, s[8:9]
	s_cbranch_execnz .LBB12_3661
; %bb.1613:
	s_or_saveexec_b64 s[6:7], s[6:7]
	v_mov_b32_e32 v14, s10
	s_xor_b64 exec, exec, s[6:7]
	s_cbranch_execnz .LBB12_3664
.LBB12_1614:
	s_or_b64 exec, exec, s[6:7]
	s_and_saveexec_b64 s[6:7], s[4:5]
	s_cbranch_execz .LBB12_1616
.LBB12_1615:
	v_bfe_u32 v14, v12, 8, 3
	v_ffbh_u32_e32 v20, v14
	v_min_u32_e32 v20, 32, v20
	v_lshrrev_b16_e32 v15, 3, v11
	v_subrev_u32_e32 v21, 28, v20
	v_and_b32_e32 v15, 15, v15
	v_lshlrev_b32_e32 v11, v21, v11
	v_sub_u32_e32 v20, 29, v20
	v_and_b32_e32 v11, 7, v11
	v_cmp_eq_u16_e32 vcc, 0, v15
	v_cndmask_b32_e32 v11, v14, v11, vcc
	v_cndmask_b32_e32 v14, v15, v20, vcc
	v_lshlrev_b32_e32 v15, 16, v12
	v_mov_b32_e32 v20, 0x3b800000
	v_lshlrev_b32_e32 v11, 20, v11
	v_and_b32_e32 v15, 0x80000000, v15
	v_lshl_add_u32 v14, v14, 23, v20
	v_or3_b32 v14, v15, v14, v11
.LBB12_1616:
	s_or_b64 exec, exec, s[6:7]
	s_nop 0
	v_mfma_f32_16x16x4f32 a[0:3], v10, v14, a[0:3]
	s_movk_i32 s4, 0xff
	v_and_b32_sdwa v11, v16, s4 dst_sel:DWORD dst_unused:UNUSED_PAD src0_sel:WORD_1 src1_sel:DWORD
	s_movk_i32 s4, 0x7f
	v_cmp_lt_i16_e32 vcc, s4, v11
	s_mov_b64 s[4:5], 0
                                        ; implicit-def: $sgpr10
	s_and_saveexec_b64 s[6:7], vcc
	s_xor_b64 s[6:7], exec, s[6:7]
	s_cbranch_execnz .LBB12_3665
; %bb.1617:
	s_or_saveexec_b64 s[6:7], s[6:7]
	v_mov_b32_e32 v10, s10
	s_xor_b64 exec, exec, s[6:7]
	s_cbranch_execnz .LBB12_3668
.LBB12_1618:
	s_or_b64 exec, exec, s[6:7]
	s_and_saveexec_b64 s[6:7], s[4:5]
	s_cbranch_execz .LBB12_1620
.LBB12_1619:
	v_bfe_u32 v10, v16, 16, 3
	v_ffbh_u32_e32 v15, v10
	v_min_u32_e32 v15, 32, v15
	v_lshrrev_b32_e32 v11, 19, v16
	v_subrev_u32_e32 v20, 28, v15
	v_and_b32_e32 v11, 15, v11
	v_lshlrev_b32_sdwa v20, v20, v16 dst_sel:DWORD dst_unused:UNUSED_PAD src0_sel:DWORD src1_sel:WORD_1
	v_bfe_u32 v14, v16, 19, 4
	v_sub_u32_e32 v15, 29, v15
	v_and_b32_e32 v20, 7, v20
	v_cmp_eq_u16_e32 vcc, 0, v11
	v_cndmask_b32_e32 v10, v10, v20, vcc
	v_cndmask_b32_e32 v11, v14, v15, vcc
	v_lshlrev_b32_e32 v14, 8, v16
	v_mov_b32_e32 v15, 0x3b800000
	v_lshlrev_b32_e32 v10, 20, v10
	v_and_b32_e32 v14, 0x80000000, v14
	v_lshl_add_u32 v11, v11, 23, v15
	v_or3_b32 v10, v14, v11, v10
.LBB12_1620:
	s_or_b64 exec, exec, s[6:7]
	s_movk_i32 s4, 0xff
	v_and_b32_sdwa v11, v12, s4 dst_sel:DWORD dst_unused:UNUSED_PAD src0_sel:WORD_1 src1_sel:DWORD
	s_movk_i32 s4, 0x7f
	v_cmp_lt_i16_e32 vcc, s4, v11
	s_mov_b64 s[4:5], 0
                                        ; implicit-def: $sgpr10
	s_and_saveexec_b64 s[6:7], vcc
	s_xor_b64 s[6:7], exec, s[6:7]
	s_cbranch_execnz .LBB12_3669
; %bb.1621:
	s_or_saveexec_b64 s[6:7], s[6:7]
	v_mov_b32_e32 v14, s10
	s_xor_b64 exec, exec, s[6:7]
	s_cbranch_execnz .LBB12_3672
.LBB12_1622:
	s_or_b64 exec, exec, s[6:7]
	s_and_saveexec_b64 s[6:7], s[4:5]
	s_cbranch_execz .LBB12_1624
.LBB12_1623:
	v_bfe_u32 v11, v12, 16, 3
	v_ffbh_u32_e32 v20, v11
	v_min_u32_e32 v20, 32, v20
	v_lshrrev_b32_e32 v14, 19, v12
	v_subrev_u32_e32 v21, 28, v20
	v_and_b32_e32 v14, 15, v14
	v_lshlrev_b32_sdwa v21, v21, v12 dst_sel:DWORD dst_unused:UNUSED_PAD src0_sel:DWORD src1_sel:WORD_1
	v_bfe_u32 v15, v12, 19, 4
	v_sub_u32_e32 v20, 29, v20
	v_and_b32_e32 v21, 7, v21
	v_cmp_eq_u16_e32 vcc, 0, v14
	v_cndmask_b32_e32 v11, v11, v21, vcc
	v_cndmask_b32_e32 v14, v15, v20, vcc
	v_lshlrev_b32_e32 v15, 8, v12
	v_mov_b32_e32 v20, 0x3b800000
	v_lshlrev_b32_e32 v11, 20, v11
	v_and_b32_e32 v15, 0x80000000, v15
	v_lshl_add_u32 v14, v14, 23, v20
	v_or3_b32 v14, v15, v14, v11
.LBB12_1624:
	s_or_b64 exec, exec, s[6:7]
	s_nop 0
	v_mfma_f32_16x16x4f32 a[0:3], v10, v14, a[0:3]
	s_movk_i32 s4, 0x7f
	v_cmp_gt_i16_sdwa s[6:7], v16, s4 src0_sel:BYTE_3 src1_sel:DWORD
	s_mov_b64 s[4:5], 0
                                        ; implicit-def: $sgpr10
	s_and_saveexec_b64 s[8:9], s[6:7]
	s_xor_b64 s[6:7], exec, s[8:9]
	s_cbranch_execnz .LBB12_3673
; %bb.1625:
	s_or_saveexec_b64 s[6:7], s[6:7]
	v_mov_b32_e32 v10, s10
	s_xor_b64 exec, exec, s[6:7]
	s_cbranch_execnz .LBB12_3676
.LBB12_1626:
	s_or_b64 exec, exec, s[6:7]
	s_and_saveexec_b64 s[6:7], s[4:5]
	s_cbranch_execz .LBB12_1628
.LBB12_1627:
	v_bfe_u32 v10, v16, 24, 3
	v_ffbh_u32_e32 v20, v10
	v_min_u32_e32 v20, 32, v20
	v_lshrrev_b32_e32 v14, 27, v16
	v_subrev_u32_e32 v21, 28, v20
	v_and_b32_e32 v11, 0x80000000, v16
	v_and_b32_e32 v14, 15, v14
	v_bfe_u32 v15, v16, 27, 4
	v_lshlrev_b32_sdwa v16, v21, v16 dst_sel:DWORD dst_unused:UNUSED_PAD src0_sel:DWORD src1_sel:BYTE_3
	v_sub_u32_e32 v20, 29, v20
	v_and_b32_e32 v16, 7, v16
	v_cmp_eq_u16_e32 vcc, 0, v14
	v_cndmask_b32_e32 v10, v10, v16, vcc
	v_cndmask_b32_e32 v14, v15, v20, vcc
	v_mov_b32_e32 v15, 0x3b800000
	v_lshlrev_b32_e32 v10, 20, v10
	v_lshl_add_u32 v14, v14, 23, v15
	v_or3_b32 v10, v11, v14, v10
.LBB12_1628:
	s_or_b64 exec, exec, s[6:7]
	s_movk_i32 s4, 0x7f
	v_cmp_gt_i16_sdwa s[6:7], v12, s4 src0_sel:BYTE_3 src1_sel:DWORD
	s_mov_b64 s[4:5], 0
                                        ; implicit-def: $sgpr10
	s_and_saveexec_b64 s[8:9], s[6:7]
	s_xor_b64 s[6:7], exec, s[8:9]
	s_cbranch_execnz .LBB12_3677
; %bb.1629:
	s_or_saveexec_b64 s[6:7], s[6:7]
	v_mov_b32_e32 v11, s10
	s_xor_b64 exec, exec, s[6:7]
	s_cbranch_execnz .LBB12_3680
.LBB12_1630:
	s_or_b64 exec, exec, s[6:7]
	s_and_saveexec_b64 s[6:7], s[4:5]
	s_cbranch_execz .LBB12_1632
.LBB12_1631:
	v_bfe_u32 v11, v12, 24, 3
	v_ffbh_u32_e32 v20, v11
	v_min_u32_e32 v20, 32, v20
	v_lshrrev_b32_e32 v15, 27, v12
	v_subrev_u32_e32 v21, 28, v20
	v_and_b32_e32 v14, 0x80000000, v12
	v_and_b32_e32 v15, 15, v15
	v_bfe_u32 v16, v12, 27, 4
	v_lshlrev_b32_sdwa v12, v21, v12 dst_sel:DWORD dst_unused:UNUSED_PAD src0_sel:DWORD src1_sel:BYTE_3
	v_sub_u32_e32 v20, 29, v20
	v_and_b32_e32 v12, 7, v12
	v_cmp_eq_u16_e32 vcc, 0, v15
	v_cndmask_b32_e32 v11, v11, v12, vcc
	v_cndmask_b32_e32 v12, v16, v20, vcc
	v_mov_b32_e32 v15, 0x3b800000
	v_lshlrev_b32_e32 v11, 20, v11
	v_lshl_add_u32 v12, v12, 23, v15
	v_or3_b32 v11, v14, v12, v11
.LBB12_1632:
	s_or_b64 exec, exec, s[6:7]
	s_nop 0
	v_mfma_f32_16x16x4f32 a[0:3], v10, v11, a[0:3]
	s_movk_i32 s4, 0x7f
	v_cmp_gt_i16_sdwa s[6:7], v17, s4 src0_sel:BYTE_0 src1_sel:DWORD
	s_mov_b64 s[4:5], 0
                                        ; implicit-def: $sgpr10
	s_and_saveexec_b64 s[8:9], s[6:7]
	s_xor_b64 s[6:7], exec, s[8:9]
	s_cbranch_execnz .LBB12_3681
; %bb.1633:
	s_or_saveexec_b64 s[6:7], s[6:7]
	v_mov_b32_e32 v10, s10
	s_xor_b64 exec, exec, s[6:7]
	s_cbranch_execnz .LBB12_3684
.LBB12_1634:
	s_or_b64 exec, exec, s[6:7]
	s_and_saveexec_b64 s[6:7], s[4:5]
	s_cbranch_execz .LBB12_1636
.LBB12_1635:
	v_and_b32_e32 v10, 7, v17
	v_ffbh_u32_e32 v12, v10
	v_min_u32_e32 v12, 32, v12
	v_lshrrev_b16_e32 v11, 3, v17
	v_subrev_u32_e32 v14, 28, v12
	v_and_b32_e32 v11, 15, v11
	v_lshlrev_b32_e32 v14, v14, v17
	v_sub_u32_e32 v12, 29, v12
	v_and_b32_e32 v14, 7, v14
	v_cmp_eq_u16_e32 vcc, 0, v11
	v_cndmask_b32_e32 v10, v10, v14, vcc
	v_cndmask_b32_e32 v11, v11, v12, vcc
	v_lshlrev_b32_e32 v12, 24, v17
	v_mov_b32_e32 v14, 0x3b800000
	v_lshlrev_b32_e32 v10, 20, v10
	v_and_b32_e32 v12, 0x80000000, v12
	v_lshl_add_u32 v11, v11, 23, v14
	v_or3_b32 v10, v12, v11, v10
.LBB12_1636:
	s_or_b64 exec, exec, s[6:7]
	s_movk_i32 s4, 0x7f
	v_cmp_gt_i16_sdwa s[6:7], v13, s4 src0_sel:BYTE_0 src1_sel:DWORD
	s_mov_b64 s[4:5], 0
                                        ; implicit-def: $sgpr10
	s_and_saveexec_b64 s[8:9], s[6:7]
	s_xor_b64 s[6:7], exec, s[8:9]
	s_cbranch_execnz .LBB12_3685
; %bb.1637:
	s_or_saveexec_b64 s[6:7], s[6:7]
	v_mov_b32_e32 v11, s10
	s_xor_b64 exec, exec, s[6:7]
	s_cbranch_execnz .LBB12_3688
.LBB12_1638:
	s_or_b64 exec, exec, s[6:7]
	s_and_saveexec_b64 s[6:7], s[4:5]
	s_cbranch_execz .LBB12_1640
.LBB12_1639:
	v_and_b32_e32 v11, 7, v13
	v_ffbh_u32_e32 v14, v11
	v_min_u32_e32 v14, 32, v14
	v_lshrrev_b16_e32 v12, 3, v13
	v_subrev_u32_e32 v15, 28, v14
	v_and_b32_e32 v12, 15, v12
	v_lshlrev_b32_e32 v15, v15, v13
	v_sub_u32_e32 v14, 29, v14
	v_and_b32_e32 v15, 7, v15
	v_cmp_eq_u16_e32 vcc, 0, v12
	v_cndmask_b32_e32 v11, v11, v15, vcc
	v_cndmask_b32_e32 v12, v12, v14, vcc
	v_lshlrev_b32_e32 v14, 24, v13
	v_mov_b32_e32 v15, 0x3b800000
	v_lshlrev_b32_e32 v11, 20, v11
	v_and_b32_e32 v14, 0x80000000, v14
	v_lshl_add_u32 v12, v12, 23, v15
	v_or3_b32 v11, v14, v12, v11
.LBB12_1640:
	s_or_b64 exec, exec, s[6:7]
	s_nop 0
	v_mfma_f32_16x16x4f32 a[0:3], v10, v11, a[0:3]
	v_lshrrev_b32_e32 v11, 8, v17
	s_movk_i32 s4, 0x7f
	v_cmp_gt_i16_sdwa s[6:7], v11, s4 src0_sel:BYTE_0 src1_sel:DWORD
	s_mov_b64 s[4:5], 0
                                        ; implicit-def: $sgpr10
	s_and_saveexec_b64 s[8:9], s[6:7]
	s_xor_b64 s[6:7], exec, s[8:9]
	s_cbranch_execnz .LBB12_3689
; %bb.1641:
	s_or_saveexec_b64 s[6:7], s[6:7]
	v_mov_b32_e32 v10, s10
	s_xor_b64 exec, exec, s[6:7]
	s_cbranch_execnz .LBB12_3692
.LBB12_1642:
	s_or_b64 exec, exec, s[6:7]
	s_and_saveexec_b64 s[6:7], s[4:5]
	s_cbranch_execz .LBB12_1644
.LBB12_1643:
	v_bfe_u32 v10, v17, 8, 3
	v_ffbh_u32_e32 v14, v10
	v_min_u32_e32 v14, 32, v14
	v_lshrrev_b16_e32 v12, 3, v11
	v_subrev_u32_e32 v15, 28, v14
	v_and_b32_e32 v12, 15, v12
	v_lshlrev_b32_e32 v11, v15, v11
	v_sub_u32_e32 v14, 29, v14
	v_and_b32_e32 v11, 7, v11
	v_cmp_eq_u16_e32 vcc, 0, v12
	v_cndmask_b32_e32 v10, v10, v11, vcc
	v_cndmask_b32_e32 v11, v12, v14, vcc
	v_lshlrev_b32_e32 v12, 16, v17
	v_mov_b32_e32 v14, 0x3b800000
	v_lshlrev_b32_e32 v10, 20, v10
	v_and_b32_e32 v12, 0x80000000, v12
	v_lshl_add_u32 v11, v11, 23, v14
	v_or3_b32 v10, v12, v11, v10
.LBB12_1644:
	s_or_b64 exec, exec, s[6:7]
	v_lshrrev_b32_e32 v11, 8, v13
	s_movk_i32 s4, 0x7f
	v_cmp_gt_i16_sdwa s[6:7], v11, s4 src0_sel:BYTE_0 src1_sel:DWORD
	s_mov_b64 s[4:5], 0
                                        ; implicit-def: $sgpr10
	s_and_saveexec_b64 s[8:9], s[6:7]
	s_xor_b64 s[6:7], exec, s[8:9]
	s_cbranch_execnz .LBB12_3693
; %bb.1645:
	s_or_saveexec_b64 s[6:7], s[6:7]
	v_mov_b32_e32 v12, s10
	s_xor_b64 exec, exec, s[6:7]
	s_cbranch_execnz .LBB12_3696
.LBB12_1646:
	s_or_b64 exec, exec, s[6:7]
	s_and_saveexec_b64 s[6:7], s[4:5]
	s_cbranch_execz .LBB12_1648
.LBB12_1647:
	v_bfe_u32 v12, v13, 8, 3
	v_ffbh_u32_e32 v15, v12
	v_min_u32_e32 v15, 32, v15
	v_lshrrev_b16_e32 v14, 3, v11
	v_subrev_u32_e32 v16, 28, v15
	v_and_b32_e32 v14, 15, v14
	v_lshlrev_b32_e32 v11, v16, v11
	v_sub_u32_e32 v15, 29, v15
	v_and_b32_e32 v11, 7, v11
	v_cmp_eq_u16_e32 vcc, 0, v14
	v_cndmask_b32_e32 v11, v12, v11, vcc
	v_cndmask_b32_e32 v12, v14, v15, vcc
	v_lshlrev_b32_e32 v14, 16, v13
	v_mov_b32_e32 v15, 0x3b800000
	v_lshlrev_b32_e32 v11, 20, v11
	v_and_b32_e32 v14, 0x80000000, v14
	v_lshl_add_u32 v12, v12, 23, v15
	v_or3_b32 v12, v14, v12, v11
.LBB12_1648:
	s_or_b64 exec, exec, s[6:7]
	s_nop 0
	v_mfma_f32_16x16x4f32 a[0:3], v10, v12, a[0:3]
	s_movk_i32 s4, 0xff
	v_and_b32_sdwa v11, v17, s4 dst_sel:DWORD dst_unused:UNUSED_PAD src0_sel:WORD_1 src1_sel:DWORD
	s_movk_i32 s4, 0x7f
	v_cmp_lt_i16_e32 vcc, s4, v11
	s_mov_b64 s[4:5], 0
                                        ; implicit-def: $sgpr10
	s_and_saveexec_b64 s[6:7], vcc
	s_xor_b64 s[6:7], exec, s[6:7]
	s_cbranch_execnz .LBB12_3697
; %bb.1649:
	s_or_saveexec_b64 s[6:7], s[6:7]
	v_mov_b32_e32 v10, s10
	s_xor_b64 exec, exec, s[6:7]
	s_cbranch_execnz .LBB12_3700
.LBB12_1650:
	s_or_b64 exec, exec, s[6:7]
	s_and_saveexec_b64 s[6:7], s[4:5]
	s_cbranch_execz .LBB12_1652
.LBB12_1651:
	v_bfe_u32 v10, v17, 16, 3
	v_ffbh_u32_e32 v14, v10
	v_min_u32_e32 v14, 32, v14
	v_lshrrev_b32_e32 v11, 19, v17
	v_subrev_u32_e32 v15, 28, v14
	v_and_b32_e32 v11, 15, v11
	v_lshlrev_b32_sdwa v15, v15, v17 dst_sel:DWORD dst_unused:UNUSED_PAD src0_sel:DWORD src1_sel:WORD_1
	v_bfe_u32 v12, v17, 19, 4
	v_sub_u32_e32 v14, 29, v14
	v_and_b32_e32 v15, 7, v15
	v_cmp_eq_u16_e32 vcc, 0, v11
	v_cndmask_b32_e32 v10, v10, v15, vcc
	v_cndmask_b32_e32 v11, v12, v14, vcc
	v_lshlrev_b32_e32 v12, 8, v17
	v_mov_b32_e32 v14, 0x3b800000
	v_lshlrev_b32_e32 v10, 20, v10
	v_and_b32_e32 v12, 0x80000000, v12
	v_lshl_add_u32 v11, v11, 23, v14
	v_or3_b32 v10, v12, v11, v10
.LBB12_1652:
	s_or_b64 exec, exec, s[6:7]
	s_movk_i32 s4, 0xff
	v_and_b32_sdwa v11, v13, s4 dst_sel:DWORD dst_unused:UNUSED_PAD src0_sel:WORD_1 src1_sel:DWORD
	s_movk_i32 s4, 0x7f
	v_cmp_lt_i16_e32 vcc, s4, v11
	s_mov_b64 s[4:5], 0
                                        ; implicit-def: $sgpr10
	s_and_saveexec_b64 s[6:7], vcc
	s_xor_b64 s[6:7], exec, s[6:7]
	s_cbranch_execnz .LBB12_3701
; %bb.1653:
	s_or_saveexec_b64 s[6:7], s[6:7]
	v_mov_b32_e32 v12, s10
	s_xor_b64 exec, exec, s[6:7]
	s_cbranch_execnz .LBB12_3704
.LBB12_1654:
	s_or_b64 exec, exec, s[6:7]
	s_and_saveexec_b64 s[6:7], s[4:5]
	s_cbranch_execz .LBB12_1656
.LBB12_1655:
	v_bfe_u32 v11, v13, 16, 3
	v_ffbh_u32_e32 v15, v11
	v_min_u32_e32 v15, 32, v15
	v_lshrrev_b32_e32 v12, 19, v13
	v_subrev_u32_e32 v16, 28, v15
	v_and_b32_e32 v12, 15, v12
	v_lshlrev_b32_sdwa v16, v16, v13 dst_sel:DWORD dst_unused:UNUSED_PAD src0_sel:DWORD src1_sel:WORD_1
	v_bfe_u32 v14, v13, 19, 4
	v_sub_u32_e32 v15, 29, v15
	v_and_b32_e32 v16, 7, v16
	v_cmp_eq_u16_e32 vcc, 0, v12
	v_cndmask_b32_e32 v11, v11, v16, vcc
	v_cndmask_b32_e32 v12, v14, v15, vcc
	v_lshlrev_b32_e32 v14, 8, v13
	v_mov_b32_e32 v15, 0x3b800000
	v_lshlrev_b32_e32 v11, 20, v11
	v_and_b32_e32 v14, 0x80000000, v14
	v_lshl_add_u32 v12, v12, 23, v15
	v_or3_b32 v12, v14, v12, v11
.LBB12_1656:
	s_or_b64 exec, exec, s[6:7]
	s_nop 0
	v_mfma_f32_16x16x4f32 a[0:3], v10, v12, a[0:3]
	s_movk_i32 s4, 0x7f
	v_cmp_gt_i16_sdwa s[6:7], v17, s4 src0_sel:BYTE_3 src1_sel:DWORD
	s_mov_b64 s[4:5], 0
                                        ; implicit-def: $sgpr10
	s_and_saveexec_b64 s[8:9], s[6:7]
	s_xor_b64 s[6:7], exec, s[8:9]
	s_cbranch_execnz .LBB12_3705
; %bb.1657:
	s_or_saveexec_b64 s[6:7], s[6:7]
	v_mov_b32_e32 v10, s10
	s_xor_b64 exec, exec, s[6:7]
	s_cbranch_execnz .LBB12_3708
.LBB12_1658:
	s_or_b64 exec, exec, s[6:7]
	s_and_saveexec_b64 s[6:7], s[4:5]
	s_cbranch_execz .LBB12_1660
.LBB12_1659:
	v_bfe_u32 v10, v17, 24, 3
	v_ffbh_u32_e32 v15, v10
	v_min_u32_e32 v15, 32, v15
	v_lshrrev_b32_e32 v12, 27, v17
	v_subrev_u32_e32 v16, 28, v15
	v_and_b32_e32 v12, 15, v12
	v_lshlrev_b32_sdwa v16, v16, v17 dst_sel:DWORD dst_unused:UNUSED_PAD src0_sel:DWORD src1_sel:BYTE_3
	v_bfe_u32 v14, v17, 27, 4
	v_sub_u32_e32 v15, 29, v15
	v_and_b32_e32 v16, 7, v16
	v_cmp_eq_u16_e32 vcc, 0, v12
	v_cndmask_b32_e32 v10, v10, v16, vcc
	v_cndmask_b32_e32 v12, v14, v15, vcc
	v_mov_b32_e32 v14, 0x3b800000
	v_and_b32_e32 v11, 0x80000000, v17
	v_lshlrev_b32_e32 v10, 20, v10
	v_lshl_add_u32 v12, v12, 23, v14
	v_or3_b32 v10, v11, v12, v10
.LBB12_1660:
	s_or_b64 exec, exec, s[6:7]
	s_movk_i32 s4, 0x7f
	v_cmp_gt_i16_sdwa s[6:7], v13, s4 src0_sel:BYTE_3 src1_sel:DWORD
	s_mov_b64 s[4:5], 0
                                        ; implicit-def: $sgpr10
	s_and_saveexec_b64 s[8:9], s[6:7]
	s_xor_b64 s[6:7], exec, s[8:9]
	s_cbranch_execnz .LBB12_3709
; %bb.1661:
	s_or_saveexec_b64 s[6:7], s[6:7]
	v_mov_b32_e32 v11, s10
	s_xor_b64 exec, exec, s[6:7]
	s_cbranch_execnz .LBB12_3712
.LBB12_1662:
	s_or_b64 exec, exec, s[6:7]
	s_and_saveexec_b64 s[6:7], s[4:5]
	s_cbranch_execz .LBB12_1664
.LBB12_1663:
	v_bfe_u32 v11, v13, 24, 3
	v_ffbh_u32_e32 v16, v11
	v_min_u32_e32 v16, 32, v16
	v_lshrrev_b32_e32 v14, 27, v13
	v_subrev_u32_e32 v17, 28, v16
	v_and_b32_e32 v12, 0x80000000, v13
	v_and_b32_e32 v14, 15, v14
	v_bfe_u32 v15, v13, 27, 4
	v_lshlrev_b32_sdwa v13, v17, v13 dst_sel:DWORD dst_unused:UNUSED_PAD src0_sel:DWORD src1_sel:BYTE_3
	v_sub_u32_e32 v16, 29, v16
	v_and_b32_e32 v13, 7, v13
	v_cmp_eq_u16_e32 vcc, 0, v14
	v_cndmask_b32_e32 v11, v11, v13, vcc
	v_cndmask_b32_e32 v13, v15, v16, vcc
	v_mov_b32_e32 v14, 0x3b800000
	v_lshlrev_b32_e32 v11, 20, v11
	v_lshl_add_u32 v13, v13, 23, v14
	v_or3_b32 v11, v12, v13, v11
.LBB12_1664:
	s_or_b64 exec, exec, s[6:7]
	s_nop 0
	v_mfma_f32_16x16x4f32 a[0:3], v10, v11, a[0:3]
	s_movk_i32 s4, 0x7f
	v_cmp_gt_i16_sdwa s[6:7], v6, s4 src0_sel:BYTE_0 src1_sel:DWORD
	s_mov_b64 s[4:5], 0
                                        ; implicit-def: $sgpr10
	s_and_saveexec_b64 s[8:9], s[6:7]
	s_xor_b64 s[6:7], exec, s[8:9]
	s_cbranch_execnz .LBB12_3713
; %bb.1665:
	s_or_saveexec_b64 s[6:7], s[6:7]
	v_mov_b32_e32 v10, s10
	s_xor_b64 exec, exec, s[6:7]
	s_cbranch_execnz .LBB12_3716
.LBB12_1666:
	s_or_b64 exec, exec, s[6:7]
	s_and_saveexec_b64 s[6:7], s[4:5]
	s_cbranch_execz .LBB12_1668
.LBB12_1667:
	v_and_b32_e32 v10, 7, v6
	v_ffbh_u32_e32 v12, v10
	v_min_u32_e32 v12, 32, v12
	v_lshrrev_b16_e32 v11, 3, v6
	v_subrev_u32_e32 v13, 28, v12
	v_and_b32_e32 v11, 15, v11
	v_lshlrev_b32_e32 v13, v13, v6
	v_sub_u32_e32 v12, 29, v12
	v_and_b32_e32 v13, 7, v13
	v_cmp_eq_u16_e32 vcc, 0, v11
	v_cndmask_b32_e32 v10, v10, v13, vcc
	v_cndmask_b32_e32 v11, v11, v12, vcc
	v_lshlrev_b32_e32 v12, 24, v6
	v_mov_b32_e32 v13, 0x3b800000
	v_lshlrev_b32_e32 v10, 20, v10
	v_and_b32_e32 v12, 0x80000000, v12
	v_lshl_add_u32 v11, v11, 23, v13
	v_or3_b32 v10, v12, v11, v10
.LBB12_1668:
	s_or_b64 exec, exec, s[6:7]
	s_movk_i32 s4, 0x7f
	v_cmp_gt_i16_sdwa s[6:7], v2, s4 src0_sel:BYTE_0 src1_sel:DWORD
	s_mov_b64 s[4:5], 0
                                        ; implicit-def: $sgpr10
	s_and_saveexec_b64 s[8:9], s[6:7]
	s_xor_b64 s[6:7], exec, s[8:9]
	s_cbranch_execnz .LBB12_3717
; %bb.1669:
	s_or_saveexec_b64 s[6:7], s[6:7]
	v_mov_b32_e32 v11, s10
	s_xor_b64 exec, exec, s[6:7]
	s_cbranch_execnz .LBB12_3720
.LBB12_1670:
	s_or_b64 exec, exec, s[6:7]
	s_and_saveexec_b64 s[6:7], s[4:5]
	s_cbranch_execz .LBB12_1672
.LBB12_1671:
	v_and_b32_e32 v11, 7, v2
	v_ffbh_u32_e32 v13, v11
	v_min_u32_e32 v13, 32, v13
	v_lshrrev_b16_e32 v12, 3, v2
	v_subrev_u32_e32 v14, 28, v13
	v_and_b32_e32 v12, 15, v12
	v_lshlrev_b32_e32 v14, v14, v2
	v_sub_u32_e32 v13, 29, v13
	v_and_b32_e32 v14, 7, v14
	v_cmp_eq_u16_e32 vcc, 0, v12
	v_cndmask_b32_e32 v11, v11, v14, vcc
	v_cndmask_b32_e32 v12, v12, v13, vcc
	v_lshlrev_b32_e32 v13, 24, v2
	v_mov_b32_e32 v14, 0x3b800000
	v_lshlrev_b32_e32 v11, 20, v11
	v_and_b32_e32 v13, 0x80000000, v13
	v_lshl_add_u32 v12, v12, 23, v14
	v_or3_b32 v11, v13, v12, v11
.LBB12_1672:
	s_or_b64 exec, exec, s[6:7]
	s_nop 0
	v_mfma_f32_16x16x4f32 a[0:3], v10, v11, a[0:3]
	v_lshrrev_b32_e32 v11, 8, v6
	s_movk_i32 s4, 0x7f
	v_cmp_gt_i16_sdwa s[6:7], v11, s4 src0_sel:BYTE_0 src1_sel:DWORD
	s_mov_b64 s[4:5], 0
                                        ; implicit-def: $sgpr10
	s_and_saveexec_b64 s[8:9], s[6:7]
	s_xor_b64 s[6:7], exec, s[8:9]
	s_cbranch_execnz .LBB12_3721
; %bb.1673:
	s_or_saveexec_b64 s[6:7], s[6:7]
	v_mov_b32_e32 v10, s10
	s_xor_b64 exec, exec, s[6:7]
	s_cbranch_execnz .LBB12_3724
.LBB12_1674:
	s_or_b64 exec, exec, s[6:7]
	s_and_saveexec_b64 s[6:7], s[4:5]
	s_cbranch_execz .LBB12_1676
.LBB12_1675:
	v_bfe_u32 v10, v6, 8, 3
	v_ffbh_u32_e32 v13, v10
	v_min_u32_e32 v13, 32, v13
	v_lshrrev_b16_e32 v12, 3, v11
	v_subrev_u32_e32 v14, 28, v13
	v_and_b32_e32 v12, 15, v12
	v_lshlrev_b32_e32 v11, v14, v11
	v_sub_u32_e32 v13, 29, v13
	v_and_b32_e32 v11, 7, v11
	v_cmp_eq_u16_e32 vcc, 0, v12
	v_cndmask_b32_e32 v10, v10, v11, vcc
	v_cndmask_b32_e32 v11, v12, v13, vcc
	v_lshlrev_b32_e32 v12, 16, v6
	v_mov_b32_e32 v13, 0x3b800000
	v_lshlrev_b32_e32 v10, 20, v10
	v_and_b32_e32 v12, 0x80000000, v12
	v_lshl_add_u32 v11, v11, 23, v13
	v_or3_b32 v10, v12, v11, v10
.LBB12_1676:
	s_or_b64 exec, exec, s[6:7]
	v_lshrrev_b32_e32 v11, 8, v2
	s_movk_i32 s4, 0x7f
	v_cmp_gt_i16_sdwa s[6:7], v11, s4 src0_sel:BYTE_0 src1_sel:DWORD
	s_mov_b64 s[4:5], 0
                                        ; implicit-def: $sgpr10
	s_and_saveexec_b64 s[8:9], s[6:7]
	s_xor_b64 s[6:7], exec, s[8:9]
	s_cbranch_execnz .LBB12_3725
; %bb.1677:
	s_or_saveexec_b64 s[6:7], s[6:7]
	v_mov_b32_e32 v12, s10
	s_xor_b64 exec, exec, s[6:7]
	s_cbranch_execnz .LBB12_3728
.LBB12_1678:
	s_or_b64 exec, exec, s[6:7]
	s_and_saveexec_b64 s[6:7], s[4:5]
	s_cbranch_execz .LBB12_1680
.LBB12_1679:
	v_bfe_u32 v12, v2, 8, 3
	v_ffbh_u32_e32 v14, v12
	v_min_u32_e32 v14, 32, v14
	v_lshrrev_b16_e32 v13, 3, v11
	v_subrev_u32_e32 v15, 28, v14
	v_and_b32_e32 v13, 15, v13
	v_lshlrev_b32_e32 v11, v15, v11
	v_sub_u32_e32 v14, 29, v14
	v_and_b32_e32 v11, 7, v11
	v_cmp_eq_u16_e32 vcc, 0, v13
	v_cndmask_b32_e32 v11, v12, v11, vcc
	v_cndmask_b32_e32 v12, v13, v14, vcc
	v_lshlrev_b32_e32 v13, 16, v2
	v_mov_b32_e32 v14, 0x3b800000
	v_lshlrev_b32_e32 v11, 20, v11
	v_and_b32_e32 v13, 0x80000000, v13
	v_lshl_add_u32 v12, v12, 23, v14
	v_or3_b32 v12, v13, v12, v11
.LBB12_1680:
	s_or_b64 exec, exec, s[6:7]
	s_nop 0
	v_mfma_f32_16x16x4f32 a[0:3], v10, v12, a[0:3]
	s_movk_i32 s4, 0xff
	v_and_b32_sdwa v11, v6, s4 dst_sel:DWORD dst_unused:UNUSED_PAD src0_sel:WORD_1 src1_sel:DWORD
	s_movk_i32 s4, 0x7f
	v_cmp_lt_i16_e32 vcc, s4, v11
	s_mov_b64 s[4:5], 0
                                        ; implicit-def: $sgpr10
	s_and_saveexec_b64 s[6:7], vcc
	s_xor_b64 s[6:7], exec, s[6:7]
	s_cbranch_execnz .LBB12_3729
; %bb.1681:
	s_or_saveexec_b64 s[6:7], s[6:7]
	v_mov_b32_e32 v10, s10
	s_xor_b64 exec, exec, s[6:7]
	s_cbranch_execnz .LBB12_3732
.LBB12_1682:
	s_or_b64 exec, exec, s[6:7]
	s_and_saveexec_b64 s[6:7], s[4:5]
	s_cbranch_execz .LBB12_1684
.LBB12_1683:
	v_bfe_u32 v10, v6, 16, 3
	v_ffbh_u32_e32 v13, v10
	v_min_u32_e32 v13, 32, v13
	v_lshrrev_b32_e32 v11, 19, v6
	v_subrev_u32_e32 v14, 28, v13
	v_and_b32_e32 v11, 15, v11
	v_lshlrev_b32_sdwa v14, v14, v6 dst_sel:DWORD dst_unused:UNUSED_PAD src0_sel:DWORD src1_sel:WORD_1
	v_bfe_u32 v12, v6, 19, 4
	v_sub_u32_e32 v13, 29, v13
	v_and_b32_e32 v14, 7, v14
	v_cmp_eq_u16_e32 vcc, 0, v11
	v_cndmask_b32_e32 v10, v10, v14, vcc
	v_cndmask_b32_e32 v11, v12, v13, vcc
	v_lshlrev_b32_e32 v12, 8, v6
	v_mov_b32_e32 v13, 0x3b800000
	v_lshlrev_b32_e32 v10, 20, v10
	v_and_b32_e32 v12, 0x80000000, v12
	v_lshl_add_u32 v11, v11, 23, v13
	v_or3_b32 v10, v12, v11, v10
.LBB12_1684:
	s_or_b64 exec, exec, s[6:7]
	s_movk_i32 s4, 0xff
	v_and_b32_sdwa v11, v2, s4 dst_sel:DWORD dst_unused:UNUSED_PAD src0_sel:WORD_1 src1_sel:DWORD
	s_movk_i32 s4, 0x7f
	v_cmp_lt_i16_e32 vcc, s4, v11
	s_mov_b64 s[4:5], 0
                                        ; implicit-def: $sgpr10
	s_and_saveexec_b64 s[6:7], vcc
	s_xor_b64 s[6:7], exec, s[6:7]
	s_cbranch_execnz .LBB12_3733
; %bb.1685:
	s_or_saveexec_b64 s[6:7], s[6:7]
	v_mov_b32_e32 v12, s10
	s_xor_b64 exec, exec, s[6:7]
	s_cbranch_execnz .LBB12_3736
.LBB12_1686:
	s_or_b64 exec, exec, s[6:7]
	s_and_saveexec_b64 s[6:7], s[4:5]
	s_cbranch_execz .LBB12_1688
.LBB12_1687:
	v_bfe_u32 v11, v2, 16, 3
	v_ffbh_u32_e32 v14, v11
	v_min_u32_e32 v14, 32, v14
	v_lshrrev_b32_e32 v12, 19, v2
	v_subrev_u32_e32 v15, 28, v14
	v_and_b32_e32 v12, 15, v12
	v_lshlrev_b32_sdwa v15, v15, v2 dst_sel:DWORD dst_unused:UNUSED_PAD src0_sel:DWORD src1_sel:WORD_1
	v_bfe_u32 v13, v2, 19, 4
	v_sub_u32_e32 v14, 29, v14
	v_and_b32_e32 v15, 7, v15
	v_cmp_eq_u16_e32 vcc, 0, v12
	v_cndmask_b32_e32 v11, v11, v15, vcc
	v_cndmask_b32_e32 v12, v13, v14, vcc
	v_lshlrev_b32_e32 v13, 8, v2
	v_mov_b32_e32 v14, 0x3b800000
	v_lshlrev_b32_e32 v11, 20, v11
	v_and_b32_e32 v13, 0x80000000, v13
	v_lshl_add_u32 v12, v12, 23, v14
	v_or3_b32 v12, v13, v12, v11
.LBB12_1688:
	s_or_b64 exec, exec, s[6:7]
	s_nop 0
	v_mfma_f32_16x16x4f32 a[0:3], v10, v12, a[0:3]
	s_movk_i32 s4, 0x7f
	v_cmp_gt_i16_sdwa s[6:7], v6, s4 src0_sel:BYTE_3 src1_sel:DWORD
	s_mov_b64 s[4:5], 0
                                        ; implicit-def: $sgpr10
	s_and_saveexec_b64 s[8:9], s[6:7]
	s_xor_b64 s[6:7], exec, s[8:9]
	s_cbranch_execnz .LBB12_3737
; %bb.1689:
	s_or_saveexec_b64 s[6:7], s[6:7]
	v_mov_b32_e32 v10, s10
	s_xor_b64 exec, exec, s[6:7]
	s_cbranch_execnz .LBB12_3740
.LBB12_1690:
	s_or_b64 exec, exec, s[6:7]
	s_and_saveexec_b64 s[6:7], s[4:5]
	s_cbranch_execz .LBB12_1692
.LBB12_1691:
	v_bfe_u32 v10, v6, 24, 3
	v_ffbh_u32_e32 v14, v10
	v_min_u32_e32 v14, 32, v14
	v_lshrrev_b32_e32 v12, 27, v6
	v_subrev_u32_e32 v15, 28, v14
	v_and_b32_e32 v11, 0x80000000, v6
	v_and_b32_e32 v12, 15, v12
	v_bfe_u32 v13, v6, 27, 4
	v_lshlrev_b32_sdwa v6, v15, v6 dst_sel:DWORD dst_unused:UNUSED_PAD src0_sel:DWORD src1_sel:BYTE_3
	v_sub_u32_e32 v14, 29, v14
	v_and_b32_e32 v6, 7, v6
	v_cmp_eq_u16_e32 vcc, 0, v12
	v_cndmask_b32_e32 v6, v10, v6, vcc
	v_cndmask_b32_e32 v10, v13, v14, vcc
	v_mov_b32_e32 v12, 0x3b800000
	v_lshlrev_b32_e32 v6, 20, v6
	v_lshl_add_u32 v10, v10, 23, v12
	v_or3_b32 v10, v11, v10, v6
.LBB12_1692:
	s_or_b64 exec, exec, s[6:7]
	s_movk_i32 s4, 0x7f
	v_cmp_gt_i16_sdwa s[6:7], v2, s4 src0_sel:BYTE_3 src1_sel:DWORD
	s_mov_b64 s[4:5], 0
                                        ; implicit-def: $sgpr10
	s_and_saveexec_b64 s[8:9], s[6:7]
	s_xor_b64 s[6:7], exec, s[8:9]
	s_cbranch_execnz .LBB12_3741
; %bb.1693:
	s_or_saveexec_b64 s[6:7], s[6:7]
	v_mov_b32_e32 v6, s10
	s_xor_b64 exec, exec, s[6:7]
	s_cbranch_execnz .LBB12_3744
.LBB12_1694:
	s_or_b64 exec, exec, s[6:7]
	s_and_saveexec_b64 s[6:7], s[4:5]
	s_cbranch_execz .LBB12_1696
.LBB12_1695:
	v_bfe_u32 v6, v2, 24, 3
	v_ffbh_u32_e32 v14, v6
	v_min_u32_e32 v14, 32, v14
	v_lshrrev_b32_e32 v12, 27, v2
	v_subrev_u32_e32 v15, 28, v14
	v_and_b32_e32 v11, 0x80000000, v2
	v_and_b32_e32 v12, 15, v12
	v_bfe_u32 v13, v2, 27, 4
	v_lshlrev_b32_sdwa v2, v15, v2 dst_sel:DWORD dst_unused:UNUSED_PAD src0_sel:DWORD src1_sel:BYTE_3
	v_sub_u32_e32 v14, 29, v14
	v_and_b32_e32 v2, 7, v2
	v_cmp_eq_u16_e32 vcc, 0, v12
	v_cndmask_b32_e32 v2, v6, v2, vcc
	v_cndmask_b32_e32 v6, v13, v14, vcc
	v_mov_b32_e32 v12, 0x3b800000
	v_lshlrev_b32_e32 v2, 20, v2
	v_lshl_add_u32 v6, v6, 23, v12
	v_or3_b32 v6, v11, v6, v2
.LBB12_1696:
	s_or_b64 exec, exec, s[6:7]
	s_nop 0
	v_mfma_f32_16x16x4f32 a[0:3], v10, v6, a[0:3]
	s_movk_i32 s4, 0x7f
	v_cmp_gt_i16_sdwa s[6:7], v7, s4 src0_sel:BYTE_0 src1_sel:DWORD
	s_mov_b64 s[4:5], 0
                                        ; implicit-def: $sgpr10
	s_and_saveexec_b64 s[8:9], s[6:7]
	s_xor_b64 s[6:7], exec, s[8:9]
	s_cbranch_execnz .LBB12_3745
; %bb.1697:
	s_or_saveexec_b64 s[6:7], s[6:7]
	v_mov_b32_e32 v2, s10
	s_xor_b64 exec, exec, s[6:7]
	s_cbranch_execnz .LBB12_3748
.LBB12_1698:
	s_or_b64 exec, exec, s[6:7]
	s_and_saveexec_b64 s[6:7], s[4:5]
	s_cbranch_execz .LBB12_1700
.LBB12_1699:
	v_and_b32_e32 v2, 7, v7
	v_ffbh_u32_e32 v10, v2
	v_min_u32_e32 v10, 32, v10
	v_lshrrev_b16_e32 v6, 3, v7
	v_subrev_u32_e32 v11, 28, v10
	v_and_b32_e32 v6, 15, v6
	v_lshlrev_b32_e32 v11, v11, v7
	v_sub_u32_e32 v10, 29, v10
	v_and_b32_e32 v11, 7, v11
	v_cmp_eq_u16_e32 vcc, 0, v6
	v_cndmask_b32_e32 v2, v2, v11, vcc
	v_cndmask_b32_e32 v6, v6, v10, vcc
	v_lshlrev_b32_e32 v10, 24, v7
	v_mov_b32_e32 v11, 0x3b800000
	v_lshlrev_b32_e32 v2, 20, v2
	v_and_b32_e32 v10, 0x80000000, v10
	v_lshl_add_u32 v6, v6, 23, v11
	v_or3_b32 v2, v10, v6, v2
.LBB12_1700:
	s_or_b64 exec, exec, s[6:7]
	s_movk_i32 s4, 0x7f
	v_cmp_gt_i16_sdwa s[6:7], v3, s4 src0_sel:BYTE_0 src1_sel:DWORD
	s_mov_b64 s[4:5], 0
                                        ; implicit-def: $sgpr10
	s_and_saveexec_b64 s[8:9], s[6:7]
	s_xor_b64 s[6:7], exec, s[8:9]
	s_cbranch_execnz .LBB12_3749
; %bb.1701:
	s_or_saveexec_b64 s[6:7], s[6:7]
	v_mov_b32_e32 v6, s10
	s_xor_b64 exec, exec, s[6:7]
	s_cbranch_execnz .LBB12_3752
.LBB12_1702:
	s_or_b64 exec, exec, s[6:7]
	s_and_saveexec_b64 s[6:7], s[4:5]
	s_cbranch_execz .LBB12_1704
.LBB12_1703:
	v_and_b32_e32 v6, 7, v3
	v_ffbh_u32_e32 v11, v6
	v_min_u32_e32 v11, 32, v11
	v_lshrrev_b16_e32 v10, 3, v3
	v_subrev_u32_e32 v12, 28, v11
	v_and_b32_e32 v10, 15, v10
	v_lshlrev_b32_e32 v12, v12, v3
	v_sub_u32_e32 v11, 29, v11
	v_and_b32_e32 v12, 7, v12
	v_cmp_eq_u16_e32 vcc, 0, v10
	v_cndmask_b32_e32 v6, v6, v12, vcc
	v_cndmask_b32_e32 v10, v10, v11, vcc
	v_lshlrev_b32_e32 v11, 24, v3
	v_mov_b32_e32 v12, 0x3b800000
	v_lshlrev_b32_e32 v6, 20, v6
	v_and_b32_e32 v11, 0x80000000, v11
	v_lshl_add_u32 v10, v10, 23, v12
	v_or3_b32 v6, v11, v10, v6
.LBB12_1704:
	s_or_b64 exec, exec, s[6:7]
	s_nop 0
	v_mfma_f32_16x16x4f32 a[0:3], v2, v6, a[0:3]
	v_lshrrev_b32_e32 v6, 8, v7
	s_movk_i32 s4, 0x7f
	v_cmp_gt_i16_sdwa s[6:7], v6, s4 src0_sel:BYTE_0 src1_sel:DWORD
	s_mov_b64 s[4:5], 0
                                        ; implicit-def: $sgpr10
	s_and_saveexec_b64 s[8:9], s[6:7]
	s_xor_b64 s[6:7], exec, s[8:9]
	s_cbranch_execnz .LBB12_3753
; %bb.1705:
	s_or_saveexec_b64 s[6:7], s[6:7]
	v_mov_b32_e32 v2, s10
	s_xor_b64 exec, exec, s[6:7]
	s_cbranch_execnz .LBB12_3756
.LBB12_1706:
	s_or_b64 exec, exec, s[6:7]
	s_and_saveexec_b64 s[6:7], s[4:5]
	s_cbranch_execz .LBB12_1708
.LBB12_1707:
	v_bfe_u32 v2, v7, 8, 3
	v_ffbh_u32_e32 v11, v2
	v_min_u32_e32 v11, 32, v11
	v_lshrrev_b16_e32 v10, 3, v6
	v_subrev_u32_e32 v12, 28, v11
	v_and_b32_e32 v10, 15, v10
	v_lshlrev_b32_e32 v6, v12, v6
	v_sub_u32_e32 v11, 29, v11
	v_and_b32_e32 v6, 7, v6
	v_cmp_eq_u16_e32 vcc, 0, v10
	v_cndmask_b32_e32 v2, v2, v6, vcc
	v_cndmask_b32_e32 v6, v10, v11, vcc
	v_lshlrev_b32_e32 v10, 16, v7
	v_mov_b32_e32 v11, 0x3b800000
	v_lshlrev_b32_e32 v2, 20, v2
	v_and_b32_e32 v10, 0x80000000, v10
	v_lshl_add_u32 v6, v6, 23, v11
	v_or3_b32 v2, v10, v6, v2
.LBB12_1708:
	s_or_b64 exec, exec, s[6:7]
	v_lshrrev_b32_e32 v6, 8, v3
	s_movk_i32 s4, 0x7f
	v_cmp_gt_i16_sdwa s[6:7], v6, s4 src0_sel:BYTE_0 src1_sel:DWORD
	s_mov_b64 s[4:5], 0
                                        ; implicit-def: $sgpr10
	s_and_saveexec_b64 s[8:9], s[6:7]
	s_xor_b64 s[6:7], exec, s[8:9]
	s_cbranch_execnz .LBB12_3757
; %bb.1709:
	s_or_saveexec_b64 s[6:7], s[6:7]
	v_mov_b32_e32 v10, s10
	s_xor_b64 exec, exec, s[6:7]
	s_cbranch_execnz .LBB12_3760
.LBB12_1710:
	s_or_b64 exec, exec, s[6:7]
	s_and_saveexec_b64 s[6:7], s[4:5]
	s_cbranch_execz .LBB12_1712
.LBB12_1711:
	v_bfe_u32 v10, v3, 8, 3
	v_ffbh_u32_e32 v12, v10
	v_min_u32_e32 v12, 32, v12
	v_lshrrev_b16_e32 v11, 3, v6
	v_subrev_u32_e32 v13, 28, v12
	v_and_b32_e32 v11, 15, v11
	v_lshlrev_b32_e32 v6, v13, v6
	v_sub_u32_e32 v12, 29, v12
	v_and_b32_e32 v6, 7, v6
	v_cmp_eq_u16_e32 vcc, 0, v11
	v_cndmask_b32_e32 v6, v10, v6, vcc
	v_cndmask_b32_e32 v10, v11, v12, vcc
	v_lshlrev_b32_e32 v11, 16, v3
	v_mov_b32_e32 v12, 0x3b800000
	v_lshlrev_b32_e32 v6, 20, v6
	v_and_b32_e32 v11, 0x80000000, v11
	v_lshl_add_u32 v10, v10, 23, v12
	v_or3_b32 v10, v11, v10, v6
.LBB12_1712:
	s_or_b64 exec, exec, s[6:7]
	s_nop 0
	v_mfma_f32_16x16x4f32 a[0:3], v2, v10, a[0:3]
	s_movk_i32 s4, 0xff
	v_and_b32_sdwa v6, v7, s4 dst_sel:DWORD dst_unused:UNUSED_PAD src0_sel:WORD_1 src1_sel:DWORD
	s_movk_i32 s4, 0x7f
	v_cmp_lt_i16_e32 vcc, s4, v6
	s_mov_b64 s[4:5], 0
                                        ; implicit-def: $sgpr10
	s_and_saveexec_b64 s[6:7], vcc
	s_xor_b64 s[6:7], exec, s[6:7]
	s_cbranch_execnz .LBB12_3761
; %bb.1713:
	s_or_saveexec_b64 s[6:7], s[6:7]
	v_mov_b32_e32 v2, s10
	s_xor_b64 exec, exec, s[6:7]
	s_cbranch_execnz .LBB12_3764
.LBB12_1714:
	s_or_b64 exec, exec, s[6:7]
	s_and_saveexec_b64 s[6:7], s[4:5]
	s_cbranch_execz .LBB12_1716
.LBB12_1715:
	v_bfe_u32 v2, v7, 16, 3
	v_ffbh_u32_e32 v11, v2
	v_min_u32_e32 v11, 32, v11
	v_lshrrev_b32_e32 v6, 19, v7
	v_subrev_u32_e32 v12, 28, v11
	v_and_b32_e32 v6, 15, v6
	v_lshlrev_b32_sdwa v12, v12, v7 dst_sel:DWORD dst_unused:UNUSED_PAD src0_sel:DWORD src1_sel:WORD_1
	v_bfe_u32 v10, v7, 19, 4
	v_sub_u32_e32 v11, 29, v11
	v_and_b32_e32 v12, 7, v12
	v_cmp_eq_u16_e32 vcc, 0, v6
	v_cndmask_b32_e32 v2, v2, v12, vcc
	v_cndmask_b32_e32 v6, v10, v11, vcc
	v_lshlrev_b32_e32 v10, 8, v7
	v_mov_b32_e32 v11, 0x3b800000
	v_lshlrev_b32_e32 v2, 20, v2
	v_and_b32_e32 v10, 0x80000000, v10
	v_lshl_add_u32 v6, v6, 23, v11
	v_or3_b32 v2, v10, v6, v2
.LBB12_1716:
	s_or_b64 exec, exec, s[6:7]
	s_movk_i32 s4, 0xff
	v_and_b32_sdwa v6, v3, s4 dst_sel:DWORD dst_unused:UNUSED_PAD src0_sel:WORD_1 src1_sel:DWORD
	s_movk_i32 s4, 0x7f
	v_cmp_lt_i16_e32 vcc, s4, v6
	s_mov_b64 s[4:5], 0
                                        ; implicit-def: $sgpr10
	s_and_saveexec_b64 s[6:7], vcc
	s_xor_b64 s[6:7], exec, s[6:7]
	s_cbranch_execnz .LBB12_3765
; %bb.1717:
	s_or_saveexec_b64 s[6:7], s[6:7]
	v_mov_b32_e32 v10, s10
	s_xor_b64 exec, exec, s[6:7]
	s_cbranch_execnz .LBB12_3768
.LBB12_1718:
	s_or_b64 exec, exec, s[6:7]
	s_and_saveexec_b64 s[6:7], s[4:5]
	s_cbranch_execz .LBB12_1720
.LBB12_1719:
	v_bfe_u32 v6, v3, 16, 3
	v_ffbh_u32_e32 v12, v6
	v_min_u32_e32 v12, 32, v12
	v_lshrrev_b32_e32 v10, 19, v3
	v_subrev_u32_e32 v13, 28, v12
	v_and_b32_e32 v10, 15, v10
	v_lshlrev_b32_sdwa v13, v13, v3 dst_sel:DWORD dst_unused:UNUSED_PAD src0_sel:DWORD src1_sel:WORD_1
	v_bfe_u32 v11, v3, 19, 4
	v_sub_u32_e32 v12, 29, v12
	v_and_b32_e32 v13, 7, v13
	v_cmp_eq_u16_e32 vcc, 0, v10
	v_cndmask_b32_e32 v6, v6, v13, vcc
	v_cndmask_b32_e32 v10, v11, v12, vcc
	v_lshlrev_b32_e32 v11, 8, v3
	v_mov_b32_e32 v12, 0x3b800000
	v_lshlrev_b32_e32 v6, 20, v6
	v_and_b32_e32 v11, 0x80000000, v11
	v_lshl_add_u32 v10, v10, 23, v12
	v_or3_b32 v10, v11, v10, v6
.LBB12_1720:
	s_or_b64 exec, exec, s[6:7]
	s_nop 0
	v_mfma_f32_16x16x4f32 a[0:3], v2, v10, a[0:3]
	s_movk_i32 s4, 0x7f
	v_cmp_gt_i16_sdwa s[6:7], v7, s4 src0_sel:BYTE_3 src1_sel:DWORD
	s_mov_b64 s[4:5], 0
                                        ; implicit-def: $sgpr10
	s_and_saveexec_b64 s[8:9], s[6:7]
	s_xor_b64 s[6:7], exec, s[8:9]
	s_cbranch_execnz .LBB12_3769
; %bb.1721:
	s_or_saveexec_b64 s[6:7], s[6:7]
	v_mov_b32_e32 v2, s10
	s_xor_b64 exec, exec, s[6:7]
	s_cbranch_execnz .LBB12_3772
.LBB12_1722:
	s_or_b64 exec, exec, s[6:7]
	s_and_saveexec_b64 s[6:7], s[4:5]
	s_cbranch_execz .LBB12_1724
.LBB12_1723:
	v_bfe_u32 v2, v7, 24, 3
	v_ffbh_u32_e32 v12, v2
	v_min_u32_e32 v12, 32, v12
	v_lshrrev_b32_e32 v10, 27, v7
	v_subrev_u32_e32 v13, 28, v12
	v_and_b32_e32 v6, 0x80000000, v7
	v_and_b32_e32 v10, 15, v10
	v_bfe_u32 v11, v7, 27, 4
	v_lshlrev_b32_sdwa v7, v13, v7 dst_sel:DWORD dst_unused:UNUSED_PAD src0_sel:DWORD src1_sel:BYTE_3
	v_sub_u32_e32 v12, 29, v12
	v_and_b32_e32 v7, 7, v7
	v_cmp_eq_u16_e32 vcc, 0, v10
	v_cndmask_b32_e32 v2, v2, v7, vcc
	v_cndmask_b32_e32 v7, v11, v12, vcc
	v_mov_b32_e32 v10, 0x3b800000
	v_lshlrev_b32_e32 v2, 20, v2
	v_lshl_add_u32 v7, v7, 23, v10
	v_or3_b32 v2, v6, v7, v2
.LBB12_1724:
	s_or_b64 exec, exec, s[6:7]
	s_movk_i32 s4, 0x7f
	v_cmp_gt_i16_sdwa s[6:7], v3, s4 src0_sel:BYTE_3 src1_sel:DWORD
	s_mov_b64 s[4:5], 0
                                        ; implicit-def: $sgpr10
	s_and_saveexec_b64 s[8:9], s[6:7]
	s_xor_b64 s[6:7], exec, s[8:9]
	s_cbranch_execnz .LBB12_3773
; %bb.1725:
	s_or_saveexec_b64 s[6:7], s[6:7]
	v_mov_b32_e32 v6, s10
	s_xor_b64 exec, exec, s[6:7]
	s_cbranch_execnz .LBB12_3776
.LBB12_1726:
	s_or_b64 exec, exec, s[6:7]
	s_and_saveexec_b64 s[6:7], s[4:5]
	s_cbranch_execz .LBB12_1728
.LBB12_1727:
	v_bfe_u32 v6, v3, 24, 3
	v_ffbh_u32_e32 v12, v6
	v_min_u32_e32 v12, 32, v12
	v_lshrrev_b32_e32 v10, 27, v3
	v_subrev_u32_e32 v13, 28, v12
	v_and_b32_e32 v7, 0x80000000, v3
	v_and_b32_e32 v10, 15, v10
	v_bfe_u32 v11, v3, 27, 4
	v_lshlrev_b32_sdwa v3, v13, v3 dst_sel:DWORD dst_unused:UNUSED_PAD src0_sel:DWORD src1_sel:BYTE_3
	v_sub_u32_e32 v12, 29, v12
	v_and_b32_e32 v3, 7, v3
	v_cmp_eq_u16_e32 vcc, 0, v10
	v_cndmask_b32_e32 v3, v6, v3, vcc
	v_cndmask_b32_e32 v6, v11, v12, vcc
	v_mov_b32_e32 v10, 0x3b800000
	v_lshlrev_b32_e32 v3, 20, v3
	v_lshl_add_u32 v6, v6, 23, v10
	v_or3_b32 v6, v7, v6, v3
.LBB12_1728:
	s_or_b64 exec, exec, s[6:7]
	s_nop 0
	v_mfma_f32_16x16x4f32 a[0:3], v2, v6, a[0:3]
	s_movk_i32 s4, 0x7f
	v_cmp_gt_i16_sdwa s[6:7], v8, s4 src0_sel:BYTE_0 src1_sel:DWORD
	s_mov_b64 s[4:5], 0
                                        ; implicit-def: $sgpr10
	s_and_saveexec_b64 s[8:9], s[6:7]
	s_xor_b64 s[6:7], exec, s[8:9]
	s_cbranch_execnz .LBB12_3777
; %bb.1729:
	s_or_saveexec_b64 s[6:7], s[6:7]
	v_mov_b32_e32 v2, s10
	s_xor_b64 exec, exec, s[6:7]
	s_cbranch_execnz .LBB12_3780
.LBB12_1730:
	s_or_b64 exec, exec, s[6:7]
	s_and_saveexec_b64 s[6:7], s[4:5]
	s_cbranch_execz .LBB12_1732
.LBB12_1731:
	v_and_b32_e32 v2, 7, v8
	v_ffbh_u32_e32 v6, v2
	v_min_u32_e32 v6, 32, v6
	v_lshrrev_b16_e32 v3, 3, v8
	v_subrev_u32_e32 v7, 28, v6
	v_and_b32_e32 v3, 15, v3
	v_lshlrev_b32_e32 v7, v7, v8
	v_sub_u32_e32 v6, 29, v6
	v_and_b32_e32 v7, 7, v7
	v_cmp_eq_u16_e32 vcc, 0, v3
	v_cndmask_b32_e32 v2, v2, v7, vcc
	v_cndmask_b32_e32 v3, v3, v6, vcc
	v_lshlrev_b32_e32 v6, 24, v8
	v_mov_b32_e32 v7, 0x3b800000
	v_lshlrev_b32_e32 v2, 20, v2
	v_and_b32_e32 v6, 0x80000000, v6
	v_lshl_add_u32 v3, v3, 23, v7
	v_or3_b32 v2, v6, v3, v2
.LBB12_1732:
	s_or_b64 exec, exec, s[6:7]
	s_movk_i32 s4, 0x7f
	v_cmp_gt_i16_sdwa s[6:7], v4, s4 src0_sel:BYTE_0 src1_sel:DWORD
	s_mov_b64 s[4:5], 0
                                        ; implicit-def: $sgpr10
	s_and_saveexec_b64 s[8:9], s[6:7]
	s_xor_b64 s[6:7], exec, s[8:9]
	s_cbranch_execnz .LBB12_3781
; %bb.1733:
	s_or_saveexec_b64 s[6:7], s[6:7]
	v_mov_b32_e32 v3, s10
	s_xor_b64 exec, exec, s[6:7]
	s_cbranch_execnz .LBB12_3784
.LBB12_1734:
	s_or_b64 exec, exec, s[6:7]
	s_and_saveexec_b64 s[6:7], s[4:5]
	s_cbranch_execz .LBB12_1736
.LBB12_1735:
	v_and_b32_e32 v3, 7, v4
	v_ffbh_u32_e32 v7, v3
	v_min_u32_e32 v7, 32, v7
	v_lshrrev_b16_e32 v6, 3, v4
	v_subrev_u32_e32 v10, 28, v7
	v_and_b32_e32 v6, 15, v6
	v_lshlrev_b32_e32 v10, v10, v4
	v_sub_u32_e32 v7, 29, v7
	v_and_b32_e32 v10, 7, v10
	v_cmp_eq_u16_e32 vcc, 0, v6
	v_cndmask_b32_e32 v3, v3, v10, vcc
	v_cndmask_b32_e32 v6, v6, v7, vcc
	v_lshlrev_b32_e32 v7, 24, v4
	v_mov_b32_e32 v10, 0x3b800000
	v_lshlrev_b32_e32 v3, 20, v3
	v_and_b32_e32 v7, 0x80000000, v7
	v_lshl_add_u32 v6, v6, 23, v10
	v_or3_b32 v3, v7, v6, v3
.LBB12_1736:
	s_or_b64 exec, exec, s[6:7]
	s_nop 0
	v_mfma_f32_16x16x4f32 a[0:3], v2, v3, a[0:3]
	v_lshrrev_b32_e32 v3, 8, v8
	s_movk_i32 s4, 0x7f
	v_cmp_gt_i16_sdwa s[6:7], v3, s4 src0_sel:BYTE_0 src1_sel:DWORD
	s_mov_b64 s[4:5], 0
                                        ; implicit-def: $sgpr10
	s_and_saveexec_b64 s[8:9], s[6:7]
	s_xor_b64 s[6:7], exec, s[8:9]
	s_cbranch_execnz .LBB12_3785
; %bb.1737:
	s_or_saveexec_b64 s[6:7], s[6:7]
	v_mov_b32_e32 v2, s10
	s_xor_b64 exec, exec, s[6:7]
	s_cbranch_execnz .LBB12_3788
.LBB12_1738:
	s_or_b64 exec, exec, s[6:7]
	s_and_saveexec_b64 s[6:7], s[4:5]
	s_cbranch_execz .LBB12_1740
.LBB12_1739:
	v_bfe_u32 v2, v8, 8, 3
	v_ffbh_u32_e32 v7, v2
	v_min_u32_e32 v7, 32, v7
	v_lshrrev_b16_e32 v6, 3, v3
	v_subrev_u32_e32 v10, 28, v7
	v_and_b32_e32 v6, 15, v6
	v_lshlrev_b32_e32 v3, v10, v3
	v_sub_u32_e32 v7, 29, v7
	v_and_b32_e32 v3, 7, v3
	v_cmp_eq_u16_e32 vcc, 0, v6
	v_cndmask_b32_e32 v2, v2, v3, vcc
	v_cndmask_b32_e32 v3, v6, v7, vcc
	v_lshlrev_b32_e32 v6, 16, v8
	v_mov_b32_e32 v7, 0x3b800000
	v_lshlrev_b32_e32 v2, 20, v2
	v_and_b32_e32 v6, 0x80000000, v6
	v_lshl_add_u32 v3, v3, 23, v7
	v_or3_b32 v2, v6, v3, v2
.LBB12_1740:
	s_or_b64 exec, exec, s[6:7]
	v_lshrrev_b32_e32 v3, 8, v4
	s_movk_i32 s4, 0x7f
	v_cmp_gt_i16_sdwa s[6:7], v3, s4 src0_sel:BYTE_0 src1_sel:DWORD
	s_mov_b64 s[4:5], 0
                                        ; implicit-def: $sgpr10
	s_and_saveexec_b64 s[8:9], s[6:7]
	s_xor_b64 s[6:7], exec, s[8:9]
	s_cbranch_execnz .LBB12_3789
; %bb.1741:
	s_or_saveexec_b64 s[6:7], s[6:7]
	v_mov_b32_e32 v6, s10
	s_xor_b64 exec, exec, s[6:7]
	s_cbranch_execnz .LBB12_3792
.LBB12_1742:
	s_or_b64 exec, exec, s[6:7]
	s_and_saveexec_b64 s[6:7], s[4:5]
	s_cbranch_execz .LBB12_1744
.LBB12_1743:
	v_bfe_u32 v6, v4, 8, 3
	v_ffbh_u32_e32 v10, v6
	v_min_u32_e32 v10, 32, v10
	v_lshrrev_b16_e32 v7, 3, v3
	v_subrev_u32_e32 v11, 28, v10
	v_and_b32_e32 v7, 15, v7
	v_lshlrev_b32_e32 v3, v11, v3
	v_sub_u32_e32 v10, 29, v10
	v_and_b32_e32 v3, 7, v3
	v_cmp_eq_u16_e32 vcc, 0, v7
	v_cndmask_b32_e32 v3, v6, v3, vcc
	v_cndmask_b32_e32 v6, v7, v10, vcc
	v_lshlrev_b32_e32 v7, 16, v4
	v_mov_b32_e32 v10, 0x3b800000
	v_lshlrev_b32_e32 v3, 20, v3
	v_and_b32_e32 v7, 0x80000000, v7
	v_lshl_add_u32 v6, v6, 23, v10
	v_or3_b32 v6, v7, v6, v3
.LBB12_1744:
	s_or_b64 exec, exec, s[6:7]
	s_nop 0
	v_mfma_f32_16x16x4f32 a[0:3], v2, v6, a[0:3]
	s_movk_i32 s4, 0xff
	v_and_b32_sdwa v3, v8, s4 dst_sel:DWORD dst_unused:UNUSED_PAD src0_sel:WORD_1 src1_sel:DWORD
	s_movk_i32 s4, 0x7f
	v_cmp_lt_i16_e32 vcc, s4, v3
	s_mov_b64 s[4:5], 0
                                        ; implicit-def: $sgpr10
	s_and_saveexec_b64 s[6:7], vcc
	s_xor_b64 s[6:7], exec, s[6:7]
	s_cbranch_execnz .LBB12_3793
; %bb.1745:
	s_or_saveexec_b64 s[6:7], s[6:7]
	v_mov_b32_e32 v2, s10
	s_xor_b64 exec, exec, s[6:7]
	s_cbranch_execnz .LBB12_3796
.LBB12_1746:
	s_or_b64 exec, exec, s[6:7]
	s_and_saveexec_b64 s[6:7], s[4:5]
	s_cbranch_execz .LBB12_1748
.LBB12_1747:
	v_bfe_u32 v2, v8, 16, 3
	v_ffbh_u32_e32 v7, v2
	v_min_u32_e32 v7, 32, v7
	v_lshrrev_b32_e32 v3, 19, v8
	v_subrev_u32_e32 v10, 28, v7
	v_and_b32_e32 v3, 15, v3
	v_lshlrev_b32_sdwa v10, v10, v8 dst_sel:DWORD dst_unused:UNUSED_PAD src0_sel:DWORD src1_sel:WORD_1
	v_bfe_u32 v6, v8, 19, 4
	v_sub_u32_e32 v7, 29, v7
	v_and_b32_e32 v10, 7, v10
	v_cmp_eq_u16_e32 vcc, 0, v3
	v_cndmask_b32_e32 v2, v2, v10, vcc
	v_cndmask_b32_e32 v3, v6, v7, vcc
	v_lshlrev_b32_e32 v6, 8, v8
	v_mov_b32_e32 v7, 0x3b800000
	v_lshlrev_b32_e32 v2, 20, v2
	v_and_b32_e32 v6, 0x80000000, v6
	v_lshl_add_u32 v3, v3, 23, v7
	v_or3_b32 v2, v6, v3, v2
.LBB12_1748:
	s_or_b64 exec, exec, s[6:7]
	s_movk_i32 s4, 0xff
	v_and_b32_sdwa v3, v4, s4 dst_sel:DWORD dst_unused:UNUSED_PAD src0_sel:WORD_1 src1_sel:DWORD
	s_movk_i32 s4, 0x7f
	v_cmp_lt_i16_e32 vcc, s4, v3
	s_mov_b64 s[4:5], 0
                                        ; implicit-def: $sgpr10
	s_and_saveexec_b64 s[6:7], vcc
	s_xor_b64 s[6:7], exec, s[6:7]
	s_cbranch_execnz .LBB12_3797
; %bb.1749:
	s_or_saveexec_b64 s[6:7], s[6:7]
	v_mov_b32_e32 v6, s10
	s_xor_b64 exec, exec, s[6:7]
	s_cbranch_execnz .LBB12_3800
.LBB12_1750:
	s_or_b64 exec, exec, s[6:7]
	s_and_saveexec_b64 s[6:7], s[4:5]
	s_cbranch_execz .LBB12_1752
.LBB12_1751:
	v_bfe_u32 v3, v4, 16, 3
	v_ffbh_u32_e32 v10, v3
	v_min_u32_e32 v10, 32, v10
	v_lshrrev_b32_e32 v6, 19, v4
	v_subrev_u32_e32 v11, 28, v10
	v_and_b32_e32 v6, 15, v6
	v_lshlrev_b32_sdwa v11, v11, v4 dst_sel:DWORD dst_unused:UNUSED_PAD src0_sel:DWORD src1_sel:WORD_1
	v_bfe_u32 v7, v4, 19, 4
	v_sub_u32_e32 v10, 29, v10
	v_and_b32_e32 v11, 7, v11
	v_cmp_eq_u16_e32 vcc, 0, v6
	v_cndmask_b32_e32 v3, v3, v11, vcc
	v_cndmask_b32_e32 v6, v7, v10, vcc
	v_lshlrev_b32_e32 v7, 8, v4
	v_mov_b32_e32 v10, 0x3b800000
	v_lshlrev_b32_e32 v3, 20, v3
	v_and_b32_e32 v7, 0x80000000, v7
	v_lshl_add_u32 v6, v6, 23, v10
	v_or3_b32 v6, v7, v6, v3
.LBB12_1752:
	s_or_b64 exec, exec, s[6:7]
	s_nop 0
	v_mfma_f32_16x16x4f32 a[0:3], v2, v6, a[0:3]
	s_movk_i32 s4, 0x7f
	v_cmp_gt_i16_sdwa s[6:7], v8, s4 src0_sel:BYTE_3 src1_sel:DWORD
	s_mov_b64 s[4:5], 0
                                        ; implicit-def: $sgpr10
	s_and_saveexec_b64 s[8:9], s[6:7]
	s_xor_b64 s[6:7], exec, s[8:9]
	s_cbranch_execnz .LBB12_3801
; %bb.1753:
	s_or_saveexec_b64 s[6:7], s[6:7]
	v_mov_b32_e32 v2, s10
	s_xor_b64 exec, exec, s[6:7]
	s_cbranch_execnz .LBB12_3804
.LBB12_1754:
	s_or_b64 exec, exec, s[6:7]
	s_and_saveexec_b64 s[6:7], s[4:5]
	s_cbranch_execz .LBB12_1756
.LBB12_1755:
	v_bfe_u32 v2, v8, 24, 3
	v_ffbh_u32_e32 v10, v2
	v_min_u32_e32 v10, 32, v10
	v_lshrrev_b32_e32 v6, 27, v8
	v_subrev_u32_e32 v11, 28, v10
	v_and_b32_e32 v3, 0x80000000, v8
	v_and_b32_e32 v6, 15, v6
	v_bfe_u32 v7, v8, 27, 4
	v_lshlrev_b32_sdwa v8, v11, v8 dst_sel:DWORD dst_unused:UNUSED_PAD src0_sel:DWORD src1_sel:BYTE_3
	v_sub_u32_e32 v10, 29, v10
	v_and_b32_e32 v8, 7, v8
	v_cmp_eq_u16_e32 vcc, 0, v6
	v_cndmask_b32_e32 v2, v2, v8, vcc
	v_cndmask_b32_e32 v6, v7, v10, vcc
	v_mov_b32_e32 v7, 0x3b800000
	v_lshlrev_b32_e32 v2, 20, v2
	v_lshl_add_u32 v6, v6, 23, v7
	v_or3_b32 v2, v3, v6, v2
.LBB12_1756:
	s_or_b64 exec, exec, s[6:7]
	s_movk_i32 s4, 0x7f
	v_cmp_gt_i16_sdwa s[6:7], v4, s4 src0_sel:BYTE_3 src1_sel:DWORD
	s_mov_b64 s[4:5], 0
                                        ; implicit-def: $sgpr10
	s_and_saveexec_b64 s[8:9], s[6:7]
	s_xor_b64 s[6:7], exec, s[8:9]
	s_cbranch_execnz .LBB12_3805
; %bb.1757:
	s_or_saveexec_b64 s[6:7], s[6:7]
	v_mov_b32_e32 v3, s10
	s_xor_b64 exec, exec, s[6:7]
	s_cbranch_execnz .LBB12_3808
.LBB12_1758:
	s_or_b64 exec, exec, s[6:7]
	s_and_saveexec_b64 s[6:7], s[4:5]
	s_cbranch_execz .LBB12_1760
.LBB12_1759:
	v_bfe_u32 v3, v4, 24, 3
	v_ffbh_u32_e32 v10, v3
	v_min_u32_e32 v10, 32, v10
	v_lshrrev_b32_e32 v7, 27, v4
	v_subrev_u32_e32 v11, 28, v10
	v_and_b32_e32 v6, 0x80000000, v4
	v_and_b32_e32 v7, 15, v7
	v_bfe_u32 v8, v4, 27, 4
	v_lshlrev_b32_sdwa v4, v11, v4 dst_sel:DWORD dst_unused:UNUSED_PAD src0_sel:DWORD src1_sel:BYTE_3
	v_sub_u32_e32 v10, 29, v10
	v_and_b32_e32 v4, 7, v4
	v_cmp_eq_u16_e32 vcc, 0, v7
	v_cndmask_b32_e32 v3, v3, v4, vcc
	v_cndmask_b32_e32 v4, v8, v10, vcc
	v_mov_b32_e32 v7, 0x3b800000
	v_lshlrev_b32_e32 v3, 20, v3
	v_lshl_add_u32 v4, v4, 23, v7
	v_or3_b32 v3, v6, v4, v3
.LBB12_1760:
	s_or_b64 exec, exec, s[6:7]
	s_nop 0
	v_mfma_f32_16x16x4f32 a[0:3], v2, v3, a[0:3]
	s_movk_i32 s4, 0x7f
	v_cmp_gt_i16_sdwa s[6:7], v9, s4 src0_sel:BYTE_0 src1_sel:DWORD
	s_mov_b64 s[4:5], 0
                                        ; implicit-def: $sgpr10
	s_and_saveexec_b64 s[8:9], s[6:7]
	s_xor_b64 s[6:7], exec, s[8:9]
	s_cbranch_execnz .LBB12_3809
; %bb.1761:
	s_or_saveexec_b64 s[6:7], s[6:7]
	v_mov_b32_e32 v2, s10
	s_xor_b64 exec, exec, s[6:7]
	s_cbranch_execnz .LBB12_3812
.LBB12_1762:
	s_or_b64 exec, exec, s[6:7]
	s_and_saveexec_b64 s[6:7], s[4:5]
	s_cbranch_execz .LBB12_1764
.LBB12_1763:
	v_mov_b32_e32 v2, 8
	v_and_b32_e32 v3, 7, v9
	v_lshrrev_b32_sdwa v2, v2, v9 dst_sel:BYTE_1 dst_unused:UNUSED_PAD src0_sel:DWORD src1_sel:DWORD
	v_ffbh_u32_e32 v4, v3
	v_or_b32_sdwa v2, v9, v2 dst_sel:DWORD dst_unused:UNUSED_PAD src0_sel:BYTE_0 src1_sel:DWORD
	v_min_u32_e32 v4, 32, v4
	v_lshrrev_b16_e32 v2, 3, v2
	v_subrev_u32_e32 v6, 28, v4
	v_and_b32_e32 v2, 15, v2
	v_lshlrev_b32_e32 v6, v6, v9
	v_sub_u32_e32 v4, 29, v4
	v_and_b32_e32 v6, 7, v6
	v_cmp_eq_u16_e32 vcc, 0, v2
	v_cndmask_b32_e32 v3, v3, v6, vcc
	v_cndmask_b32_e32 v2, v2, v4, vcc
	v_lshlrev_b32_e32 v4, 24, v9
	v_mov_b32_e32 v6, 0x3b800000
	v_lshlrev_b32_e32 v3, 20, v3
	v_and_b32_e32 v4, 0x80000000, v4
	v_lshl_add_u32 v2, v2, 23, v6
	v_or3_b32 v2, v4, v2, v3
.LBB12_1764:
	s_or_b64 exec, exec, s[6:7]
	s_movk_i32 s4, 0x7f
	v_cmp_gt_i16_sdwa s[6:7], v5, s4 src0_sel:BYTE_0 src1_sel:DWORD
	s_mov_b64 s[4:5], 0
                                        ; implicit-def: $sgpr10
	s_and_saveexec_b64 s[8:9], s[6:7]
	s_xor_b64 s[6:7], exec, s[8:9]
	s_cbranch_execnz .LBB12_3813
; %bb.1765:
	s_or_saveexec_b64 s[6:7], s[6:7]
	v_mov_b32_e32 v3, s10
	s_xor_b64 exec, exec, s[6:7]
	s_cbranch_execnz .LBB12_3816
.LBB12_1766:
	s_or_b64 exec, exec, s[6:7]
	s_and_saveexec_b64 s[6:7], s[4:5]
	s_cbranch_execz .LBB12_1768
.LBB12_1767:
	v_mov_b32_e32 v3, 8
	v_and_b32_e32 v4, 7, v5
	v_lshrrev_b32_sdwa v3, v3, v5 dst_sel:BYTE_1 dst_unused:UNUSED_PAD src0_sel:DWORD src1_sel:DWORD
	v_ffbh_u32_e32 v6, v4
	v_or_b32_sdwa v3, v5, v3 dst_sel:DWORD dst_unused:UNUSED_PAD src0_sel:BYTE_0 src1_sel:DWORD
	v_min_u32_e32 v6, 32, v6
	v_lshrrev_b16_e32 v3, 3, v3
	v_subrev_u32_e32 v7, 28, v6
	v_and_b32_e32 v3, 15, v3
	v_lshlrev_b32_e32 v7, v7, v5
	v_sub_u32_e32 v6, 29, v6
	v_and_b32_e32 v7, 7, v7
	v_cmp_eq_u16_e32 vcc, 0, v3
	v_cndmask_b32_e32 v4, v4, v7, vcc
	v_cndmask_b32_e32 v3, v3, v6, vcc
	v_lshlrev_b32_e32 v6, 24, v5
	v_mov_b32_e32 v7, 0x3b800000
	v_lshlrev_b32_e32 v4, 20, v4
	v_and_b32_e32 v6, 0x80000000, v6
	v_lshl_add_u32 v3, v3, 23, v7
	v_or3_b32 v3, v6, v3, v4
.LBB12_1768:
	s_or_b64 exec, exec, s[6:7]
	s_nop 0
	v_mfma_f32_16x16x4f32 a[0:3], v2, v3, a[0:3]
	v_lshrrev_b32_e32 v3, 8, v9
	s_movk_i32 s4, 0x7f
	v_cmp_gt_i16_sdwa s[6:7], v3, s4 src0_sel:BYTE_0 src1_sel:DWORD
	s_mov_b64 s[4:5], 0
                                        ; implicit-def: $sgpr10
	s_and_saveexec_b64 s[8:9], s[6:7]
	s_xor_b64 s[6:7], exec, s[8:9]
	s_cbranch_execnz .LBB12_3817
; %bb.1769:
	s_or_saveexec_b64 s[6:7], s[6:7]
	v_mov_b32_e32 v2, s10
	s_xor_b64 exec, exec, s[6:7]
	s_cbranch_execnz .LBB12_3820
.LBB12_1770:
	s_or_b64 exec, exec, s[6:7]
	s_and_saveexec_b64 s[6:7], s[4:5]
	s_cbranch_execz .LBB12_1772
.LBB12_1771:
	v_bfe_u32 v2, v9, 8, 3
	v_ffbh_u32_e32 v6, v2
	v_min_u32_e32 v6, 32, v6
	v_lshrrev_b16_e32 v4, 3, v3
	v_subrev_u32_e32 v7, 28, v6
	v_and_b32_e32 v4, 15, v4
	v_lshlrev_b32_e32 v3, v7, v3
	v_sub_u32_e32 v6, 29, v6
	v_and_b32_e32 v3, 7, v3
	v_cmp_eq_u16_e32 vcc, 0, v4
	v_cndmask_b32_e32 v2, v2, v3, vcc
	v_cndmask_b32_e32 v3, v4, v6, vcc
	v_lshlrev_b32_e32 v4, 16, v9
	v_mov_b32_e32 v6, 0x3b800000
	v_lshlrev_b32_e32 v2, 20, v2
	v_and_b32_e32 v4, 0x80000000, v4
	v_lshl_add_u32 v3, v3, 23, v6
	v_or3_b32 v2, v4, v3, v2
.LBB12_1772:
	s_or_b64 exec, exec, s[6:7]
	v_lshrrev_b32_e32 v3, 8, v5
	s_movk_i32 s4, 0x7f
	v_cmp_gt_i16_sdwa s[6:7], v3, s4 src0_sel:BYTE_0 src1_sel:DWORD
	s_mov_b64 s[4:5], 0
                                        ; implicit-def: $sgpr10
	s_and_saveexec_b64 s[8:9], s[6:7]
	s_xor_b64 s[6:7], exec, s[8:9]
	s_cbranch_execnz .LBB12_3821
; %bb.1773:
	s_or_saveexec_b64 s[6:7], s[6:7]
	v_mov_b32_e32 v4, s10
	s_xor_b64 exec, exec, s[6:7]
	s_cbranch_execnz .LBB12_3824
.LBB12_1774:
	s_or_b64 exec, exec, s[6:7]
	s_and_saveexec_b64 s[6:7], s[4:5]
	s_cbranch_execz .LBB12_1776
.LBB12_1775:
	v_bfe_u32 v4, v5, 8, 3
	v_ffbh_u32_e32 v7, v4
	v_min_u32_e32 v7, 32, v7
	v_lshrrev_b16_e32 v6, 3, v3
	v_subrev_u32_e32 v8, 28, v7
	v_and_b32_e32 v6, 15, v6
	v_lshlrev_b32_e32 v3, v8, v3
	v_sub_u32_e32 v7, 29, v7
	v_and_b32_e32 v3, 7, v3
	v_cmp_eq_u16_e32 vcc, 0, v6
	v_cndmask_b32_e32 v3, v4, v3, vcc
	v_cndmask_b32_e32 v4, v6, v7, vcc
	v_lshlrev_b32_e32 v6, 16, v5
	v_mov_b32_e32 v7, 0x3b800000
	v_lshlrev_b32_e32 v3, 20, v3
	v_and_b32_e32 v6, 0x80000000, v6
	v_lshl_add_u32 v4, v4, 23, v7
	v_or3_b32 v4, v6, v4, v3
.LBB12_1776:
	s_or_b64 exec, exec, s[6:7]
	s_nop 0
	v_mfma_f32_16x16x4f32 a[0:3], v2, v4, a[0:3]
	s_movk_i32 s4, 0xff
	v_and_b32_sdwa v3, v9, s4 dst_sel:DWORD dst_unused:UNUSED_PAD src0_sel:WORD_1 src1_sel:DWORD
	s_movk_i32 s4, 0x7f
	v_cmp_lt_i16_e32 vcc, s4, v3
	s_mov_b64 s[4:5], 0
                                        ; implicit-def: $sgpr10
	s_and_saveexec_b64 s[6:7], vcc
	s_xor_b64 s[6:7], exec, s[6:7]
	s_cbranch_execnz .LBB12_3825
; %bb.1777:
	s_or_saveexec_b64 s[6:7], s[6:7]
	v_mov_b32_e32 v2, s10
	s_xor_b64 exec, exec, s[6:7]
	s_cbranch_execnz .LBB12_3828
.LBB12_1778:
	s_or_b64 exec, exec, s[6:7]
	s_and_saveexec_b64 s[6:7], s[4:5]
	s_cbranch_execz .LBB12_1780
.LBB12_1779:
	v_bfe_u32 v2, v9, 16, 3
	v_ffbh_u32_e32 v6, v2
	v_min_u32_e32 v6, 32, v6
	v_lshrrev_b32_e32 v3, 19, v9
	v_subrev_u32_e32 v7, 28, v6
	v_and_b32_e32 v3, 15, v3
	v_lshlrev_b32_sdwa v7, v7, v9 dst_sel:DWORD dst_unused:UNUSED_PAD src0_sel:DWORD src1_sel:WORD_1
	v_bfe_u32 v4, v9, 19, 4
	v_sub_u32_e32 v6, 29, v6
	v_and_b32_e32 v7, 7, v7
	v_cmp_eq_u16_e32 vcc, 0, v3
	v_cndmask_b32_e32 v2, v2, v7, vcc
	v_cndmask_b32_e32 v3, v4, v6, vcc
	v_lshlrev_b32_e32 v4, 8, v9
	v_mov_b32_e32 v6, 0x3b800000
	v_lshlrev_b32_e32 v2, 20, v2
	v_and_b32_e32 v4, 0x80000000, v4
	v_lshl_add_u32 v3, v3, 23, v6
	v_or3_b32 v2, v4, v3, v2
.LBB12_1780:
	s_or_b64 exec, exec, s[6:7]
	s_movk_i32 s4, 0xff
	v_and_b32_sdwa v3, v5, s4 dst_sel:DWORD dst_unused:UNUSED_PAD src0_sel:WORD_1 src1_sel:DWORD
	s_movk_i32 s4, 0x7f
	v_cmp_lt_i16_e32 vcc, s4, v3
	s_mov_b64 s[4:5], 0
                                        ; implicit-def: $sgpr10
	s_and_saveexec_b64 s[6:7], vcc
	s_xor_b64 s[6:7], exec, s[6:7]
	s_cbranch_execnz .LBB12_3829
; %bb.1781:
	s_or_saveexec_b64 s[6:7], s[6:7]
	v_mov_b32_e32 v4, s10
	s_xor_b64 exec, exec, s[6:7]
	s_cbranch_execnz .LBB12_3832
.LBB12_1782:
	s_or_b64 exec, exec, s[6:7]
	s_and_saveexec_b64 s[6:7], s[4:5]
	s_cbranch_execz .LBB12_1784
.LBB12_1783:
	v_bfe_u32 v3, v5, 16, 3
	v_ffbh_u32_e32 v7, v3
	v_min_u32_e32 v7, 32, v7
	v_lshrrev_b32_e32 v4, 19, v5
	v_subrev_u32_e32 v8, 28, v7
	v_and_b32_e32 v4, 15, v4
	v_lshlrev_b32_sdwa v8, v8, v5 dst_sel:DWORD dst_unused:UNUSED_PAD src0_sel:DWORD src1_sel:WORD_1
	v_bfe_u32 v6, v5, 19, 4
	v_sub_u32_e32 v7, 29, v7
	v_and_b32_e32 v8, 7, v8
	v_cmp_eq_u16_e32 vcc, 0, v4
	v_cndmask_b32_e32 v3, v3, v8, vcc
	v_cndmask_b32_e32 v4, v6, v7, vcc
	v_lshlrev_b32_e32 v6, 8, v5
	v_mov_b32_e32 v7, 0x3b800000
	v_lshlrev_b32_e32 v3, 20, v3
	v_and_b32_e32 v6, 0x80000000, v6
	v_lshl_add_u32 v4, v4, 23, v7
	v_or3_b32 v4, v6, v4, v3
.LBB12_1784:
	s_or_b64 exec, exec, s[6:7]
	s_nop 0
	v_mfma_f32_16x16x4f32 a[0:3], v2, v4, a[0:3]
	s_movk_i32 s4, 0x7f
	v_cmp_gt_i16_sdwa s[6:7], v9, s4 src0_sel:BYTE_3 src1_sel:DWORD
	s_mov_b64 s[4:5], 0
                                        ; implicit-def: $sgpr10
	s_and_saveexec_b64 s[8:9], s[6:7]
	s_xor_b64 s[6:7], exec, s[8:9]
	s_cbranch_execnz .LBB12_3833
; %bb.1785:
	s_or_saveexec_b64 s[6:7], s[6:7]
	v_mov_b32_e32 v2, s10
	s_xor_b64 exec, exec, s[6:7]
	s_cbranch_execnz .LBB12_3836
.LBB12_1786:
	s_or_b64 exec, exec, s[6:7]
	s_and_saveexec_b64 s[6:7], s[4:5]
	s_cbranch_execz .LBB12_1788
.LBB12_1787:
	v_bfe_u32 v2, v9, 24, 3
	v_ffbh_u32_e32 v7, v2
	v_min_u32_e32 v7, 32, v7
	v_lshrrev_b32_e32 v4, 27, v9
	v_subrev_u32_e32 v8, 28, v7
	v_and_b32_e32 v4, 15, v4
	v_lshlrev_b32_sdwa v8, v8, v9 dst_sel:DWORD dst_unused:UNUSED_PAD src0_sel:DWORD src1_sel:BYTE_3
	v_bfe_u32 v6, v9, 27, 4
	v_sub_u32_e32 v7, 29, v7
	v_and_b32_e32 v8, 7, v8
	v_cmp_eq_u16_e32 vcc, 0, v4
	v_cndmask_b32_e32 v2, v2, v8, vcc
	v_cndmask_b32_e32 v4, v6, v7, vcc
	v_mov_b32_e32 v6, 0x3b800000
	v_and_b32_e32 v3, 0x80000000, v9
	v_lshlrev_b32_e32 v2, 20, v2
	v_lshl_add_u32 v4, v4, 23, v6
	v_or3_b32 v2, v3, v4, v2
.LBB12_1788:
	s_or_b64 exec, exec, s[6:7]
	s_movk_i32 s4, 0x7f
	v_cmp_gt_i16_sdwa s[6:7], v5, s4 src0_sel:BYTE_3 src1_sel:DWORD
	s_mov_b64 s[4:5], 0
                                        ; implicit-def: $sgpr10
	s_and_saveexec_b64 s[8:9], s[6:7]
	s_xor_b64 s[6:7], exec, s[8:9]
	s_cbranch_execnz .LBB12_3837
; %bb.1789:
	s_or_saveexec_b64 s[6:7], s[6:7]
	v_mov_b32_e32 v3, s10
	s_xor_b64 exec, exec, s[6:7]
	s_cbranch_execnz .LBB12_3840
.LBB12_1790:
	s_or_b64 exec, exec, s[6:7]
	s_and_saveexec_b64 s[6:7], s[4:5]
	s_cbranch_execz .LBB12_1792
.LBB12_1791:
	v_bfe_u32 v3, v5, 24, 3
	v_ffbh_u32_e32 v8, v3
	v_min_u32_e32 v8, 32, v8
	v_lshrrev_b32_e32 v6, 27, v5
	v_subrev_u32_e32 v9, 28, v8
	v_and_b32_e32 v4, 0x80000000, v5
	v_and_b32_e32 v6, 15, v6
	v_bfe_u32 v7, v5, 27, 4
	v_lshlrev_b32_sdwa v5, v9, v5 dst_sel:DWORD dst_unused:UNUSED_PAD src0_sel:DWORD src1_sel:BYTE_3
	v_sub_u32_e32 v8, 29, v8
	v_and_b32_e32 v5, 7, v5
	v_cmp_eq_u16_e32 vcc, 0, v6
	v_cndmask_b32_e32 v3, v3, v5, vcc
	v_cndmask_b32_e32 v5, v7, v8, vcc
	v_mov_b32_e32 v6, 0x3b800000
	v_lshlrev_b32_e32 v3, 20, v3
	v_lshl_add_u32 v5, v5, 23, v6
	v_or3_b32 v3, v4, v5, v3
.LBB12_1792:
	s_or_b64 exec, exec, s[6:7]
	s_nop 0
	v_mfma_f32_16x16x4f32 a[0:3], v2, v3, a[0:3]
	s_movk_i32 s4, 0x7f
                                        ; implicit-def: $sgpr10
	s_nop 7
	s_nop 1
	flat_store_dwordx4 v[18:19], a[0:3] offset:352
	flat_load_dwordx4 v[18:21], v[0:1] offset:16
	s_nop 0
	flat_load_dwordx2 v[16:17], v[0:1] offset:32
	s_waitcnt vmcnt(0) lgkmcnt(0)
	flat_load_dwordx4 v[12:15], v[18:19]
	flat_load_dwordx4 v[4:7], v[18:19] offset:16
	flat_load_dwordx4 v[8:11], v[20:21] offset:480
	;; [unrolled: 1-line block ×3, first 2 shown]
	s_waitcnt vmcnt(0) lgkmcnt(0)
	v_cmp_gt_i16_sdwa s[6:7], v12, s4 src0_sel:BYTE_0 src1_sel:DWORD
	s_mov_b64 s[4:5], 0
	s_and_saveexec_b64 s[8:9], s[6:7]
	s_xor_b64 s[6:7], exec, s[8:9]
	s_cbranch_execnz .LBB12_3841
; %bb.1793:
	s_or_saveexec_b64 s[6:7], s[6:7]
	v_mov_b32_e32 v18, s10
	s_xor_b64 exec, exec, s[6:7]
	s_cbranch_execnz .LBB12_3844
.LBB12_1794:
	s_or_b64 exec, exec, s[6:7]
	s_and_saveexec_b64 s[6:7], s[4:5]
	s_cbranch_execz .LBB12_1796
.LBB12_1795:
	v_and_b32_e32 v18, 7, v12
	v_ffbh_u32_e32 v20, v18
	v_min_u32_e32 v20, 32, v20
	v_lshrrev_b16_e32 v19, 3, v12
	v_subrev_u32_e32 v21, 28, v20
	v_and_b32_e32 v19, 15, v19
	v_lshlrev_b32_e32 v21, v21, v12
	v_sub_u32_e32 v20, 29, v20
	v_and_b32_e32 v21, 7, v21
	v_cmp_eq_u16_e32 vcc, 0, v19
	v_cndmask_b32_e32 v18, v18, v21, vcc
	v_cndmask_b32_e32 v19, v19, v20, vcc
	v_lshlrev_b32_e32 v20, 24, v12
	v_mov_b32_e32 v21, 0x3b800000
	v_lshlrev_b32_e32 v18, 20, v18
	v_and_b32_e32 v20, 0x80000000, v20
	v_lshl_add_u32 v19, v19, 23, v21
	v_or3_b32 v18, v20, v19, v18
.LBB12_1796:
	s_or_b64 exec, exec, s[6:7]
	s_movk_i32 s4, 0x7f
	v_cmp_gt_i16_sdwa s[6:7], v8, s4 src0_sel:BYTE_0 src1_sel:DWORD
	s_mov_b64 s[4:5], 0
                                        ; implicit-def: $sgpr10
	s_and_saveexec_b64 s[8:9], s[6:7]
	s_xor_b64 s[6:7], exec, s[8:9]
	s_cbranch_execnz .LBB12_3845
; %bb.1797:
	s_or_saveexec_b64 s[6:7], s[6:7]
	v_mov_b32_e32 v19, s10
	s_xor_b64 exec, exec, s[6:7]
	s_cbranch_execnz .LBB12_3848
.LBB12_1798:
	s_or_b64 exec, exec, s[6:7]
	s_and_saveexec_b64 s[6:7], s[4:5]
	s_cbranch_execz .LBB12_1800
.LBB12_1799:
	v_and_b32_e32 v19, 7, v8
	v_ffbh_u32_e32 v21, v19
	v_min_u32_e32 v21, 32, v21
	v_lshrrev_b16_e32 v20, 3, v8
	v_subrev_u32_e32 v22, 28, v21
	v_and_b32_e32 v20, 15, v20
	v_lshlrev_b32_e32 v22, v22, v8
	v_sub_u32_e32 v21, 29, v21
	v_and_b32_e32 v22, 7, v22
	v_cmp_eq_u16_e32 vcc, 0, v20
	v_cndmask_b32_e32 v19, v19, v22, vcc
	v_cndmask_b32_e32 v20, v20, v21, vcc
	v_lshlrev_b32_e32 v21, 24, v8
	v_mov_b32_e32 v22, 0x3b800000
	v_lshlrev_b32_e32 v19, 20, v19
	v_and_b32_e32 v21, 0x80000000, v21
	v_lshl_add_u32 v20, v20, 23, v22
	v_or3_b32 v19, v21, v20, v19
.LBB12_1800:
	s_or_b64 exec, exec, s[6:7]
	flat_load_dwordx4 a[0:3], v[16:17] offset:368
	s_movk_i32 s4, 0x7f
                                        ; implicit-def: $sgpr10
	s_waitcnt vmcnt(0) lgkmcnt(0)
	v_mfma_f32_16x16x4f32 a[0:3], v18, v19, a[0:3]
	v_lshrrev_b32_e32 v19, 8, v12
	v_cmp_gt_i16_sdwa s[6:7], v19, s4 src0_sel:BYTE_0 src1_sel:DWORD
	s_mov_b64 s[4:5], 0
	s_and_saveexec_b64 s[8:9], s[6:7]
	s_xor_b64 s[6:7], exec, s[8:9]
	s_cbranch_execnz .LBB12_3849
; %bb.1801:
	s_or_saveexec_b64 s[6:7], s[6:7]
	v_mov_b32_e32 v18, s10
	s_xor_b64 exec, exec, s[6:7]
	s_cbranch_execnz .LBB12_3852
.LBB12_1802:
	s_or_b64 exec, exec, s[6:7]
	s_and_saveexec_b64 s[6:7], s[4:5]
	s_cbranch_execz .LBB12_1804
.LBB12_1803:
	v_bfe_u32 v18, v12, 8, 3
	v_ffbh_u32_e32 v21, v18
	v_min_u32_e32 v21, 32, v21
	v_lshrrev_b16_e32 v20, 3, v19
	v_subrev_u32_e32 v22, 28, v21
	v_and_b32_e32 v20, 15, v20
	v_lshlrev_b32_e32 v19, v22, v19
	v_sub_u32_e32 v21, 29, v21
	v_and_b32_e32 v19, 7, v19
	v_cmp_eq_u16_e32 vcc, 0, v20
	v_cndmask_b32_e32 v18, v18, v19, vcc
	v_cndmask_b32_e32 v19, v20, v21, vcc
	v_lshlrev_b32_e32 v20, 16, v12
	v_mov_b32_e32 v21, 0x3b800000
	v_lshlrev_b32_e32 v18, 20, v18
	v_and_b32_e32 v20, 0x80000000, v20
	v_lshl_add_u32 v19, v19, 23, v21
	v_or3_b32 v18, v20, v19, v18
.LBB12_1804:
	s_or_b64 exec, exec, s[6:7]
	v_lshrrev_b32_e32 v19, 8, v8
	s_movk_i32 s4, 0x7f
	v_cmp_gt_i16_sdwa s[6:7], v19, s4 src0_sel:BYTE_0 src1_sel:DWORD
	s_mov_b64 s[4:5], 0
                                        ; implicit-def: $sgpr10
	s_and_saveexec_b64 s[8:9], s[6:7]
	s_xor_b64 s[6:7], exec, s[8:9]
	s_cbranch_execnz .LBB12_3853
; %bb.1805:
	s_or_saveexec_b64 s[6:7], s[6:7]
	v_mov_b32_e32 v20, s10
	s_xor_b64 exec, exec, s[6:7]
	s_cbranch_execnz .LBB12_3856
.LBB12_1806:
	s_or_b64 exec, exec, s[6:7]
	s_and_saveexec_b64 s[6:7], s[4:5]
	s_cbranch_execz .LBB12_1808
.LBB12_1807:
	v_bfe_u32 v20, v8, 8, 3
	v_ffbh_u32_e32 v22, v20
	v_min_u32_e32 v22, 32, v22
	v_lshrrev_b16_e32 v21, 3, v19
	v_subrev_u32_e32 v23, 28, v22
	v_and_b32_e32 v21, 15, v21
	v_lshlrev_b32_e32 v19, v23, v19
	v_sub_u32_e32 v22, 29, v22
	v_and_b32_e32 v19, 7, v19
	v_cmp_eq_u16_e32 vcc, 0, v21
	v_cndmask_b32_e32 v19, v20, v19, vcc
	v_cndmask_b32_e32 v20, v21, v22, vcc
	v_lshlrev_b32_e32 v21, 16, v8
	v_mov_b32_e32 v22, 0x3b800000
	v_lshlrev_b32_e32 v19, 20, v19
	v_and_b32_e32 v21, 0x80000000, v21
	v_lshl_add_u32 v20, v20, 23, v22
	v_or3_b32 v20, v21, v20, v19
.LBB12_1808:
	s_or_b64 exec, exec, s[6:7]
	s_nop 0
	v_mfma_f32_16x16x4f32 a[0:3], v18, v20, a[0:3]
	s_movk_i32 s4, 0xff
	v_and_b32_sdwa v19, v12, s4 dst_sel:DWORD dst_unused:UNUSED_PAD src0_sel:WORD_1 src1_sel:DWORD
	s_movk_i32 s4, 0x7f
	v_cmp_lt_i16_e32 vcc, s4, v19
	s_mov_b64 s[4:5], 0
                                        ; implicit-def: $sgpr10
	s_and_saveexec_b64 s[6:7], vcc
	s_xor_b64 s[6:7], exec, s[6:7]
	s_cbranch_execnz .LBB12_3857
; %bb.1809:
	s_or_saveexec_b64 s[6:7], s[6:7]
	v_mov_b32_e32 v18, s10
	s_xor_b64 exec, exec, s[6:7]
	s_cbranch_execnz .LBB12_3860
.LBB12_1810:
	s_or_b64 exec, exec, s[6:7]
	s_and_saveexec_b64 s[6:7], s[4:5]
	s_cbranch_execz .LBB12_1812
.LBB12_1811:
	v_bfe_u32 v18, v12, 16, 3
	v_ffbh_u32_e32 v21, v18
	v_min_u32_e32 v21, 32, v21
	v_lshrrev_b32_e32 v19, 19, v12
	v_subrev_u32_e32 v22, 28, v21
	v_and_b32_e32 v19, 15, v19
	v_lshlrev_b32_sdwa v22, v22, v12 dst_sel:DWORD dst_unused:UNUSED_PAD src0_sel:DWORD src1_sel:WORD_1
	v_bfe_u32 v20, v12, 19, 4
	v_sub_u32_e32 v21, 29, v21
	v_and_b32_e32 v22, 7, v22
	v_cmp_eq_u16_e32 vcc, 0, v19
	v_cndmask_b32_e32 v18, v18, v22, vcc
	v_cndmask_b32_e32 v19, v20, v21, vcc
	v_lshlrev_b32_e32 v20, 8, v12
	v_mov_b32_e32 v21, 0x3b800000
	v_lshlrev_b32_e32 v18, 20, v18
	v_and_b32_e32 v20, 0x80000000, v20
	v_lshl_add_u32 v19, v19, 23, v21
	v_or3_b32 v18, v20, v19, v18
.LBB12_1812:
	s_or_b64 exec, exec, s[6:7]
	s_movk_i32 s4, 0xff
	v_and_b32_sdwa v19, v8, s4 dst_sel:DWORD dst_unused:UNUSED_PAD src0_sel:WORD_1 src1_sel:DWORD
	s_movk_i32 s4, 0x7f
	v_cmp_lt_i16_e32 vcc, s4, v19
	s_mov_b64 s[4:5], 0
                                        ; implicit-def: $sgpr10
	s_and_saveexec_b64 s[6:7], vcc
	s_xor_b64 s[6:7], exec, s[6:7]
	s_cbranch_execnz .LBB12_3861
; %bb.1813:
	s_or_saveexec_b64 s[6:7], s[6:7]
	v_mov_b32_e32 v20, s10
	s_xor_b64 exec, exec, s[6:7]
	s_cbranch_execnz .LBB12_3864
.LBB12_1814:
	s_or_b64 exec, exec, s[6:7]
	s_and_saveexec_b64 s[6:7], s[4:5]
	s_cbranch_execz .LBB12_1816
.LBB12_1815:
	v_bfe_u32 v19, v8, 16, 3
	v_ffbh_u32_e32 v22, v19
	v_min_u32_e32 v22, 32, v22
	v_lshrrev_b32_e32 v20, 19, v8
	v_subrev_u32_e32 v23, 28, v22
	v_and_b32_e32 v20, 15, v20
	v_lshlrev_b32_sdwa v23, v23, v8 dst_sel:DWORD dst_unused:UNUSED_PAD src0_sel:DWORD src1_sel:WORD_1
	v_bfe_u32 v21, v8, 19, 4
	v_sub_u32_e32 v22, 29, v22
	v_and_b32_e32 v23, 7, v23
	v_cmp_eq_u16_e32 vcc, 0, v20
	v_cndmask_b32_e32 v19, v19, v23, vcc
	v_cndmask_b32_e32 v20, v21, v22, vcc
	v_lshlrev_b32_e32 v21, 8, v8
	v_mov_b32_e32 v22, 0x3b800000
	v_lshlrev_b32_e32 v19, 20, v19
	v_and_b32_e32 v21, 0x80000000, v21
	v_lshl_add_u32 v20, v20, 23, v22
	v_or3_b32 v20, v21, v20, v19
.LBB12_1816:
	s_or_b64 exec, exec, s[6:7]
	s_nop 0
	v_mfma_f32_16x16x4f32 a[0:3], v18, v20, a[0:3]
	s_movk_i32 s4, 0x7f
	v_cmp_gt_i16_sdwa s[6:7], v12, s4 src0_sel:BYTE_3 src1_sel:DWORD
	s_mov_b64 s[4:5], 0
                                        ; implicit-def: $sgpr10
	s_and_saveexec_b64 s[8:9], s[6:7]
	s_xor_b64 s[6:7], exec, s[8:9]
	s_cbranch_execnz .LBB12_3865
; %bb.1817:
	s_or_saveexec_b64 s[6:7], s[6:7]
	v_mov_b32_e32 v18, s10
	s_xor_b64 exec, exec, s[6:7]
	s_cbranch_execnz .LBB12_3868
.LBB12_1818:
	s_or_b64 exec, exec, s[6:7]
	s_and_saveexec_b64 s[6:7], s[4:5]
	s_cbranch_execz .LBB12_1820
.LBB12_1819:
	v_bfe_u32 v18, v12, 24, 3
	v_ffbh_u32_e32 v22, v18
	v_min_u32_e32 v22, 32, v22
	v_lshrrev_b32_e32 v20, 27, v12
	v_subrev_u32_e32 v23, 28, v22
	v_and_b32_e32 v19, 0x80000000, v12
	v_and_b32_e32 v20, 15, v20
	v_bfe_u32 v21, v12, 27, 4
	v_lshlrev_b32_sdwa v12, v23, v12 dst_sel:DWORD dst_unused:UNUSED_PAD src0_sel:DWORD src1_sel:BYTE_3
	v_sub_u32_e32 v22, 29, v22
	v_and_b32_e32 v12, 7, v12
	v_cmp_eq_u16_e32 vcc, 0, v20
	v_cndmask_b32_e32 v12, v18, v12, vcc
	v_cndmask_b32_e32 v18, v21, v22, vcc
	v_mov_b32_e32 v20, 0x3b800000
	v_lshlrev_b32_e32 v12, 20, v12
	v_lshl_add_u32 v18, v18, 23, v20
	v_or3_b32 v18, v19, v18, v12
.LBB12_1820:
	s_or_b64 exec, exec, s[6:7]
	s_movk_i32 s4, 0x7f
	v_cmp_gt_i16_sdwa s[6:7], v8, s4 src0_sel:BYTE_3 src1_sel:DWORD
	s_mov_b64 s[4:5], 0
                                        ; implicit-def: $sgpr10
	s_and_saveexec_b64 s[8:9], s[6:7]
	s_xor_b64 s[6:7], exec, s[8:9]
	s_cbranch_execnz .LBB12_3869
; %bb.1821:
	s_or_saveexec_b64 s[6:7], s[6:7]
	v_mov_b32_e32 v12, s10
	s_xor_b64 exec, exec, s[6:7]
	s_cbranch_execnz .LBB12_3872
.LBB12_1822:
	s_or_b64 exec, exec, s[6:7]
	s_and_saveexec_b64 s[6:7], s[4:5]
	s_cbranch_execz .LBB12_1824
.LBB12_1823:
	v_bfe_u32 v12, v8, 24, 3
	v_ffbh_u32_e32 v22, v12
	v_min_u32_e32 v22, 32, v22
	v_lshrrev_b32_e32 v20, 27, v8
	v_subrev_u32_e32 v23, 28, v22
	v_and_b32_e32 v19, 0x80000000, v8
	v_and_b32_e32 v20, 15, v20
	v_bfe_u32 v21, v8, 27, 4
	v_lshlrev_b32_sdwa v8, v23, v8 dst_sel:DWORD dst_unused:UNUSED_PAD src0_sel:DWORD src1_sel:BYTE_3
	v_sub_u32_e32 v22, 29, v22
	v_and_b32_e32 v8, 7, v8
	v_cmp_eq_u16_e32 vcc, 0, v20
	v_cndmask_b32_e32 v8, v12, v8, vcc
	v_cndmask_b32_e32 v12, v21, v22, vcc
	v_mov_b32_e32 v20, 0x3b800000
	v_lshlrev_b32_e32 v8, 20, v8
	v_lshl_add_u32 v12, v12, 23, v20
	v_or3_b32 v12, v19, v12, v8
.LBB12_1824:
	s_or_b64 exec, exec, s[6:7]
	s_nop 0
	v_mfma_f32_16x16x4f32 a[0:3], v18, v12, a[0:3]
	s_movk_i32 s4, 0x7f
	v_cmp_gt_i16_sdwa s[6:7], v13, s4 src0_sel:BYTE_0 src1_sel:DWORD
	s_mov_b64 s[4:5], 0
                                        ; implicit-def: $sgpr10
	s_and_saveexec_b64 s[8:9], s[6:7]
	s_xor_b64 s[6:7], exec, s[8:9]
	s_cbranch_execnz .LBB12_3873
; %bb.1825:
	s_or_saveexec_b64 s[6:7], s[6:7]
	v_mov_b32_e32 v8, s10
	s_xor_b64 exec, exec, s[6:7]
	s_cbranch_execnz .LBB12_3876
.LBB12_1826:
	s_or_b64 exec, exec, s[6:7]
	s_and_saveexec_b64 s[6:7], s[4:5]
	s_cbranch_execz .LBB12_1828
.LBB12_1827:
	v_and_b32_e32 v8, 7, v13
	v_ffbh_u32_e32 v18, v8
	v_min_u32_e32 v18, 32, v18
	v_lshrrev_b16_e32 v12, 3, v13
	v_subrev_u32_e32 v19, 28, v18
	v_and_b32_e32 v12, 15, v12
	v_lshlrev_b32_e32 v19, v19, v13
	v_sub_u32_e32 v18, 29, v18
	v_and_b32_e32 v19, 7, v19
	v_cmp_eq_u16_e32 vcc, 0, v12
	v_cndmask_b32_e32 v8, v8, v19, vcc
	v_cndmask_b32_e32 v12, v12, v18, vcc
	v_lshlrev_b32_e32 v18, 24, v13
	v_mov_b32_e32 v19, 0x3b800000
	v_lshlrev_b32_e32 v8, 20, v8
	v_and_b32_e32 v18, 0x80000000, v18
	v_lshl_add_u32 v12, v12, 23, v19
	v_or3_b32 v8, v18, v12, v8
.LBB12_1828:
	s_or_b64 exec, exec, s[6:7]
	s_movk_i32 s4, 0x7f
	v_cmp_gt_i16_sdwa s[6:7], v9, s4 src0_sel:BYTE_0 src1_sel:DWORD
	s_mov_b64 s[4:5], 0
                                        ; implicit-def: $sgpr10
	s_and_saveexec_b64 s[8:9], s[6:7]
	s_xor_b64 s[6:7], exec, s[8:9]
	s_cbranch_execnz .LBB12_3877
; %bb.1829:
	s_or_saveexec_b64 s[6:7], s[6:7]
	v_mov_b32_e32 v12, s10
	s_xor_b64 exec, exec, s[6:7]
	s_cbranch_execnz .LBB12_3880
.LBB12_1830:
	s_or_b64 exec, exec, s[6:7]
	s_and_saveexec_b64 s[6:7], s[4:5]
	s_cbranch_execz .LBB12_1832
.LBB12_1831:
	v_and_b32_e32 v12, 7, v9
	v_ffbh_u32_e32 v19, v12
	v_min_u32_e32 v19, 32, v19
	v_lshrrev_b16_e32 v18, 3, v9
	v_subrev_u32_e32 v20, 28, v19
	v_and_b32_e32 v18, 15, v18
	v_lshlrev_b32_e32 v20, v20, v9
	v_sub_u32_e32 v19, 29, v19
	v_and_b32_e32 v20, 7, v20
	v_cmp_eq_u16_e32 vcc, 0, v18
	v_cndmask_b32_e32 v12, v12, v20, vcc
	v_cndmask_b32_e32 v18, v18, v19, vcc
	v_lshlrev_b32_e32 v19, 24, v9
	v_mov_b32_e32 v20, 0x3b800000
	v_lshlrev_b32_e32 v12, 20, v12
	v_and_b32_e32 v19, 0x80000000, v19
	v_lshl_add_u32 v18, v18, 23, v20
	v_or3_b32 v12, v19, v18, v12
.LBB12_1832:
	s_or_b64 exec, exec, s[6:7]
	s_nop 0
	v_mfma_f32_16x16x4f32 a[0:3], v8, v12, a[0:3]
	v_lshrrev_b32_e32 v12, 8, v13
	s_movk_i32 s4, 0x7f
	v_cmp_gt_i16_sdwa s[6:7], v12, s4 src0_sel:BYTE_0 src1_sel:DWORD
	s_mov_b64 s[4:5], 0
                                        ; implicit-def: $sgpr10
	s_and_saveexec_b64 s[8:9], s[6:7]
	s_xor_b64 s[6:7], exec, s[8:9]
	s_cbranch_execnz .LBB12_3881
; %bb.1833:
	s_or_saveexec_b64 s[6:7], s[6:7]
	v_mov_b32_e32 v8, s10
	s_xor_b64 exec, exec, s[6:7]
	s_cbranch_execnz .LBB12_3884
.LBB12_1834:
	s_or_b64 exec, exec, s[6:7]
	s_and_saveexec_b64 s[6:7], s[4:5]
	s_cbranch_execz .LBB12_1836
.LBB12_1835:
	v_bfe_u32 v8, v13, 8, 3
	v_ffbh_u32_e32 v19, v8
	v_min_u32_e32 v19, 32, v19
	v_lshrrev_b16_e32 v18, 3, v12
	v_subrev_u32_e32 v20, 28, v19
	v_and_b32_e32 v18, 15, v18
	v_lshlrev_b32_e32 v12, v20, v12
	v_sub_u32_e32 v19, 29, v19
	v_and_b32_e32 v12, 7, v12
	v_cmp_eq_u16_e32 vcc, 0, v18
	v_cndmask_b32_e32 v8, v8, v12, vcc
	v_cndmask_b32_e32 v12, v18, v19, vcc
	v_lshlrev_b32_e32 v18, 16, v13
	v_mov_b32_e32 v19, 0x3b800000
	v_lshlrev_b32_e32 v8, 20, v8
	v_and_b32_e32 v18, 0x80000000, v18
	v_lshl_add_u32 v12, v12, 23, v19
	v_or3_b32 v8, v18, v12, v8
.LBB12_1836:
	s_or_b64 exec, exec, s[6:7]
	v_lshrrev_b32_e32 v12, 8, v9
	s_movk_i32 s4, 0x7f
	v_cmp_gt_i16_sdwa s[6:7], v12, s4 src0_sel:BYTE_0 src1_sel:DWORD
	s_mov_b64 s[4:5], 0
                                        ; implicit-def: $sgpr10
	s_and_saveexec_b64 s[8:9], s[6:7]
	s_xor_b64 s[6:7], exec, s[8:9]
	s_cbranch_execnz .LBB12_3885
; %bb.1837:
	s_or_saveexec_b64 s[6:7], s[6:7]
	v_mov_b32_e32 v18, s10
	s_xor_b64 exec, exec, s[6:7]
	s_cbranch_execnz .LBB12_3888
.LBB12_1838:
	s_or_b64 exec, exec, s[6:7]
	s_and_saveexec_b64 s[6:7], s[4:5]
	s_cbranch_execz .LBB12_1840
.LBB12_1839:
	v_bfe_u32 v18, v9, 8, 3
	v_ffbh_u32_e32 v20, v18
	v_min_u32_e32 v20, 32, v20
	v_lshrrev_b16_e32 v19, 3, v12
	v_subrev_u32_e32 v21, 28, v20
	v_and_b32_e32 v19, 15, v19
	v_lshlrev_b32_e32 v12, v21, v12
	v_sub_u32_e32 v20, 29, v20
	v_and_b32_e32 v12, 7, v12
	v_cmp_eq_u16_e32 vcc, 0, v19
	v_cndmask_b32_e32 v12, v18, v12, vcc
	v_cndmask_b32_e32 v18, v19, v20, vcc
	v_lshlrev_b32_e32 v19, 16, v9
	v_mov_b32_e32 v20, 0x3b800000
	v_lshlrev_b32_e32 v12, 20, v12
	v_and_b32_e32 v19, 0x80000000, v19
	v_lshl_add_u32 v18, v18, 23, v20
	v_or3_b32 v18, v19, v18, v12
.LBB12_1840:
	s_or_b64 exec, exec, s[6:7]
	s_nop 0
	v_mfma_f32_16x16x4f32 a[0:3], v8, v18, a[0:3]
	s_movk_i32 s4, 0xff
	v_and_b32_sdwa v12, v13, s4 dst_sel:DWORD dst_unused:UNUSED_PAD src0_sel:WORD_1 src1_sel:DWORD
	s_movk_i32 s4, 0x7f
	v_cmp_lt_i16_e32 vcc, s4, v12
	s_mov_b64 s[4:5], 0
                                        ; implicit-def: $sgpr10
	s_and_saveexec_b64 s[6:7], vcc
	s_xor_b64 s[6:7], exec, s[6:7]
	s_cbranch_execnz .LBB12_3889
; %bb.1841:
	s_or_saveexec_b64 s[6:7], s[6:7]
	v_mov_b32_e32 v8, s10
	s_xor_b64 exec, exec, s[6:7]
	s_cbranch_execnz .LBB12_3892
.LBB12_1842:
	s_or_b64 exec, exec, s[6:7]
	s_and_saveexec_b64 s[6:7], s[4:5]
	s_cbranch_execz .LBB12_1844
.LBB12_1843:
	v_bfe_u32 v8, v13, 16, 3
	v_ffbh_u32_e32 v19, v8
	v_min_u32_e32 v19, 32, v19
	v_lshrrev_b32_e32 v12, 19, v13
	v_subrev_u32_e32 v20, 28, v19
	v_and_b32_e32 v12, 15, v12
	v_lshlrev_b32_sdwa v20, v20, v13 dst_sel:DWORD dst_unused:UNUSED_PAD src0_sel:DWORD src1_sel:WORD_1
	v_bfe_u32 v18, v13, 19, 4
	v_sub_u32_e32 v19, 29, v19
	v_and_b32_e32 v20, 7, v20
	v_cmp_eq_u16_e32 vcc, 0, v12
	v_cndmask_b32_e32 v8, v8, v20, vcc
	v_cndmask_b32_e32 v12, v18, v19, vcc
	v_lshlrev_b32_e32 v18, 8, v13
	v_mov_b32_e32 v19, 0x3b800000
	v_lshlrev_b32_e32 v8, 20, v8
	v_and_b32_e32 v18, 0x80000000, v18
	v_lshl_add_u32 v12, v12, 23, v19
	v_or3_b32 v8, v18, v12, v8
.LBB12_1844:
	s_or_b64 exec, exec, s[6:7]
	s_movk_i32 s4, 0xff
	v_and_b32_sdwa v12, v9, s4 dst_sel:DWORD dst_unused:UNUSED_PAD src0_sel:WORD_1 src1_sel:DWORD
	s_movk_i32 s4, 0x7f
	v_cmp_lt_i16_e32 vcc, s4, v12
	s_mov_b64 s[4:5], 0
                                        ; implicit-def: $sgpr10
	s_and_saveexec_b64 s[6:7], vcc
	s_xor_b64 s[6:7], exec, s[6:7]
	s_cbranch_execnz .LBB12_3893
; %bb.1845:
	s_or_saveexec_b64 s[6:7], s[6:7]
	v_mov_b32_e32 v18, s10
	s_xor_b64 exec, exec, s[6:7]
	s_cbranch_execnz .LBB12_3896
.LBB12_1846:
	s_or_b64 exec, exec, s[6:7]
	s_and_saveexec_b64 s[6:7], s[4:5]
	s_cbranch_execz .LBB12_1848
.LBB12_1847:
	v_bfe_u32 v12, v9, 16, 3
	v_ffbh_u32_e32 v20, v12
	v_min_u32_e32 v20, 32, v20
	v_lshrrev_b32_e32 v18, 19, v9
	v_subrev_u32_e32 v21, 28, v20
	v_and_b32_e32 v18, 15, v18
	v_lshlrev_b32_sdwa v21, v21, v9 dst_sel:DWORD dst_unused:UNUSED_PAD src0_sel:DWORD src1_sel:WORD_1
	v_bfe_u32 v19, v9, 19, 4
	v_sub_u32_e32 v20, 29, v20
	v_and_b32_e32 v21, 7, v21
	v_cmp_eq_u16_e32 vcc, 0, v18
	v_cndmask_b32_e32 v12, v12, v21, vcc
	v_cndmask_b32_e32 v18, v19, v20, vcc
	v_lshlrev_b32_e32 v19, 8, v9
	v_mov_b32_e32 v20, 0x3b800000
	v_lshlrev_b32_e32 v12, 20, v12
	v_and_b32_e32 v19, 0x80000000, v19
	v_lshl_add_u32 v18, v18, 23, v20
	v_or3_b32 v18, v19, v18, v12
.LBB12_1848:
	s_or_b64 exec, exec, s[6:7]
	s_nop 0
	v_mfma_f32_16x16x4f32 a[0:3], v8, v18, a[0:3]
	s_movk_i32 s4, 0x7f
	v_cmp_gt_i16_sdwa s[6:7], v13, s4 src0_sel:BYTE_3 src1_sel:DWORD
	s_mov_b64 s[4:5], 0
                                        ; implicit-def: $sgpr10
	s_and_saveexec_b64 s[8:9], s[6:7]
	s_xor_b64 s[6:7], exec, s[8:9]
	s_cbranch_execnz .LBB12_3897
; %bb.1849:
	s_or_saveexec_b64 s[6:7], s[6:7]
	v_mov_b32_e32 v8, s10
	s_xor_b64 exec, exec, s[6:7]
	s_cbranch_execnz .LBB12_3900
.LBB12_1850:
	s_or_b64 exec, exec, s[6:7]
	s_and_saveexec_b64 s[6:7], s[4:5]
	s_cbranch_execz .LBB12_1852
.LBB12_1851:
	v_bfe_u32 v8, v13, 24, 3
	v_ffbh_u32_e32 v20, v8
	v_min_u32_e32 v20, 32, v20
	v_lshrrev_b32_e32 v18, 27, v13
	v_subrev_u32_e32 v21, 28, v20
	v_and_b32_e32 v12, 0x80000000, v13
	v_and_b32_e32 v18, 15, v18
	v_bfe_u32 v19, v13, 27, 4
	v_lshlrev_b32_sdwa v13, v21, v13 dst_sel:DWORD dst_unused:UNUSED_PAD src0_sel:DWORD src1_sel:BYTE_3
	v_sub_u32_e32 v20, 29, v20
	v_and_b32_e32 v13, 7, v13
	v_cmp_eq_u16_e32 vcc, 0, v18
	v_cndmask_b32_e32 v8, v8, v13, vcc
	v_cndmask_b32_e32 v13, v19, v20, vcc
	v_mov_b32_e32 v18, 0x3b800000
	v_lshlrev_b32_e32 v8, 20, v8
	v_lshl_add_u32 v13, v13, 23, v18
	v_or3_b32 v8, v12, v13, v8
.LBB12_1852:
	s_or_b64 exec, exec, s[6:7]
	s_movk_i32 s4, 0x7f
	v_cmp_gt_i16_sdwa s[6:7], v9, s4 src0_sel:BYTE_3 src1_sel:DWORD
	s_mov_b64 s[4:5], 0
                                        ; implicit-def: $sgpr10
	s_and_saveexec_b64 s[8:9], s[6:7]
	s_xor_b64 s[6:7], exec, s[8:9]
	s_cbranch_execnz .LBB12_3901
; %bb.1853:
	s_or_saveexec_b64 s[6:7], s[6:7]
	v_mov_b32_e32 v12, s10
	s_xor_b64 exec, exec, s[6:7]
	s_cbranch_execnz .LBB12_3904
.LBB12_1854:
	s_or_b64 exec, exec, s[6:7]
	s_and_saveexec_b64 s[6:7], s[4:5]
	s_cbranch_execz .LBB12_1856
.LBB12_1855:
	v_bfe_u32 v12, v9, 24, 3
	v_ffbh_u32_e32 v20, v12
	v_min_u32_e32 v20, 32, v20
	v_lshrrev_b32_e32 v18, 27, v9
	v_subrev_u32_e32 v21, 28, v20
	v_and_b32_e32 v13, 0x80000000, v9
	v_and_b32_e32 v18, 15, v18
	v_bfe_u32 v19, v9, 27, 4
	v_lshlrev_b32_sdwa v9, v21, v9 dst_sel:DWORD dst_unused:UNUSED_PAD src0_sel:DWORD src1_sel:BYTE_3
	v_sub_u32_e32 v20, 29, v20
	v_and_b32_e32 v9, 7, v9
	v_cmp_eq_u16_e32 vcc, 0, v18
	v_cndmask_b32_e32 v9, v12, v9, vcc
	v_cndmask_b32_e32 v12, v19, v20, vcc
	v_mov_b32_e32 v18, 0x3b800000
	v_lshlrev_b32_e32 v9, 20, v9
	v_lshl_add_u32 v12, v12, 23, v18
	v_or3_b32 v12, v13, v12, v9
.LBB12_1856:
	s_or_b64 exec, exec, s[6:7]
	s_nop 0
	v_mfma_f32_16x16x4f32 a[0:3], v8, v12, a[0:3]
	s_movk_i32 s4, 0x7f
	v_cmp_gt_i16_sdwa s[6:7], v14, s4 src0_sel:BYTE_0 src1_sel:DWORD
	s_mov_b64 s[4:5], 0
                                        ; implicit-def: $sgpr10
	s_and_saveexec_b64 s[8:9], s[6:7]
	s_xor_b64 s[6:7], exec, s[8:9]
	s_cbranch_execnz .LBB12_3905
; %bb.1857:
	s_or_saveexec_b64 s[6:7], s[6:7]
	v_mov_b32_e32 v8, s10
	s_xor_b64 exec, exec, s[6:7]
	s_cbranch_execnz .LBB12_3908
.LBB12_1858:
	s_or_b64 exec, exec, s[6:7]
	s_and_saveexec_b64 s[6:7], s[4:5]
	s_cbranch_execz .LBB12_1860
.LBB12_1859:
	v_and_b32_e32 v8, 7, v14
	v_ffbh_u32_e32 v12, v8
	v_min_u32_e32 v12, 32, v12
	v_lshrrev_b16_e32 v9, 3, v14
	v_subrev_u32_e32 v13, 28, v12
	v_and_b32_e32 v9, 15, v9
	v_lshlrev_b32_e32 v13, v13, v14
	v_sub_u32_e32 v12, 29, v12
	v_and_b32_e32 v13, 7, v13
	v_cmp_eq_u16_e32 vcc, 0, v9
	v_cndmask_b32_e32 v8, v8, v13, vcc
	v_cndmask_b32_e32 v9, v9, v12, vcc
	v_lshlrev_b32_e32 v12, 24, v14
	v_mov_b32_e32 v13, 0x3b800000
	v_lshlrev_b32_e32 v8, 20, v8
	v_and_b32_e32 v12, 0x80000000, v12
	v_lshl_add_u32 v9, v9, 23, v13
	v_or3_b32 v8, v12, v9, v8
.LBB12_1860:
	s_or_b64 exec, exec, s[6:7]
	s_movk_i32 s4, 0x7f
	v_cmp_gt_i16_sdwa s[6:7], v10, s4 src0_sel:BYTE_0 src1_sel:DWORD
	s_mov_b64 s[4:5], 0
                                        ; implicit-def: $sgpr10
	s_and_saveexec_b64 s[8:9], s[6:7]
	s_xor_b64 s[6:7], exec, s[8:9]
	s_cbranch_execnz .LBB12_3909
; %bb.1861:
	s_or_saveexec_b64 s[6:7], s[6:7]
	v_mov_b32_e32 v9, s10
	s_xor_b64 exec, exec, s[6:7]
	s_cbranch_execnz .LBB12_3912
.LBB12_1862:
	s_or_b64 exec, exec, s[6:7]
	s_and_saveexec_b64 s[6:7], s[4:5]
	s_cbranch_execz .LBB12_1864
.LBB12_1863:
	v_and_b32_e32 v9, 7, v10
	v_ffbh_u32_e32 v13, v9
	v_min_u32_e32 v13, 32, v13
	v_lshrrev_b16_e32 v12, 3, v10
	v_subrev_u32_e32 v18, 28, v13
	v_and_b32_e32 v12, 15, v12
	v_lshlrev_b32_e32 v18, v18, v10
	v_sub_u32_e32 v13, 29, v13
	v_and_b32_e32 v18, 7, v18
	v_cmp_eq_u16_e32 vcc, 0, v12
	v_cndmask_b32_e32 v9, v9, v18, vcc
	v_cndmask_b32_e32 v12, v12, v13, vcc
	v_lshlrev_b32_e32 v13, 24, v10
	v_mov_b32_e32 v18, 0x3b800000
	v_lshlrev_b32_e32 v9, 20, v9
	v_and_b32_e32 v13, 0x80000000, v13
	v_lshl_add_u32 v12, v12, 23, v18
	v_or3_b32 v9, v13, v12, v9
.LBB12_1864:
	s_or_b64 exec, exec, s[6:7]
	s_nop 0
	v_mfma_f32_16x16x4f32 a[0:3], v8, v9, a[0:3]
	v_lshrrev_b32_e32 v9, 8, v14
	s_movk_i32 s4, 0x7f
	v_cmp_gt_i16_sdwa s[6:7], v9, s4 src0_sel:BYTE_0 src1_sel:DWORD
	s_mov_b64 s[4:5], 0
                                        ; implicit-def: $sgpr10
	s_and_saveexec_b64 s[8:9], s[6:7]
	s_xor_b64 s[6:7], exec, s[8:9]
	s_cbranch_execnz .LBB12_3913
; %bb.1865:
	s_or_saveexec_b64 s[6:7], s[6:7]
	v_mov_b32_e32 v8, s10
	s_xor_b64 exec, exec, s[6:7]
	s_cbranch_execnz .LBB12_3916
.LBB12_1866:
	s_or_b64 exec, exec, s[6:7]
	s_and_saveexec_b64 s[6:7], s[4:5]
	s_cbranch_execz .LBB12_1868
.LBB12_1867:
	v_bfe_u32 v8, v14, 8, 3
	v_ffbh_u32_e32 v13, v8
	v_min_u32_e32 v13, 32, v13
	v_lshrrev_b16_e32 v12, 3, v9
	v_subrev_u32_e32 v18, 28, v13
	v_and_b32_e32 v12, 15, v12
	v_lshlrev_b32_e32 v9, v18, v9
	v_sub_u32_e32 v13, 29, v13
	v_and_b32_e32 v9, 7, v9
	v_cmp_eq_u16_e32 vcc, 0, v12
	v_cndmask_b32_e32 v8, v8, v9, vcc
	v_cndmask_b32_e32 v9, v12, v13, vcc
	v_lshlrev_b32_e32 v12, 16, v14
	v_mov_b32_e32 v13, 0x3b800000
	v_lshlrev_b32_e32 v8, 20, v8
	v_and_b32_e32 v12, 0x80000000, v12
	v_lshl_add_u32 v9, v9, 23, v13
	v_or3_b32 v8, v12, v9, v8
.LBB12_1868:
	s_or_b64 exec, exec, s[6:7]
	v_lshrrev_b32_e32 v9, 8, v10
	s_movk_i32 s4, 0x7f
	v_cmp_gt_i16_sdwa s[6:7], v9, s4 src0_sel:BYTE_0 src1_sel:DWORD
	s_mov_b64 s[4:5], 0
                                        ; implicit-def: $sgpr10
	s_and_saveexec_b64 s[8:9], s[6:7]
	s_xor_b64 s[6:7], exec, s[8:9]
	s_cbranch_execnz .LBB12_3917
; %bb.1869:
	s_or_saveexec_b64 s[6:7], s[6:7]
	v_mov_b32_e32 v12, s10
	s_xor_b64 exec, exec, s[6:7]
	s_cbranch_execnz .LBB12_3920
.LBB12_1870:
	s_or_b64 exec, exec, s[6:7]
	s_and_saveexec_b64 s[6:7], s[4:5]
	s_cbranch_execz .LBB12_1872
.LBB12_1871:
	v_bfe_u32 v12, v10, 8, 3
	v_ffbh_u32_e32 v18, v12
	v_min_u32_e32 v18, 32, v18
	v_lshrrev_b16_e32 v13, 3, v9
	v_subrev_u32_e32 v19, 28, v18
	v_and_b32_e32 v13, 15, v13
	v_lshlrev_b32_e32 v9, v19, v9
	v_sub_u32_e32 v18, 29, v18
	v_and_b32_e32 v9, 7, v9
	v_cmp_eq_u16_e32 vcc, 0, v13
	v_cndmask_b32_e32 v9, v12, v9, vcc
	v_cndmask_b32_e32 v12, v13, v18, vcc
	v_lshlrev_b32_e32 v13, 16, v10
	v_mov_b32_e32 v18, 0x3b800000
	v_lshlrev_b32_e32 v9, 20, v9
	v_and_b32_e32 v13, 0x80000000, v13
	v_lshl_add_u32 v12, v12, 23, v18
	v_or3_b32 v12, v13, v12, v9
.LBB12_1872:
	s_or_b64 exec, exec, s[6:7]
	s_nop 0
	v_mfma_f32_16x16x4f32 a[0:3], v8, v12, a[0:3]
	s_movk_i32 s4, 0xff
	v_and_b32_sdwa v9, v14, s4 dst_sel:DWORD dst_unused:UNUSED_PAD src0_sel:WORD_1 src1_sel:DWORD
	s_movk_i32 s4, 0x7f
	v_cmp_lt_i16_e32 vcc, s4, v9
	s_mov_b64 s[4:5], 0
                                        ; implicit-def: $sgpr10
	s_and_saveexec_b64 s[6:7], vcc
	s_xor_b64 s[6:7], exec, s[6:7]
	s_cbranch_execnz .LBB12_3921
; %bb.1873:
	s_or_saveexec_b64 s[6:7], s[6:7]
	v_mov_b32_e32 v8, s10
	s_xor_b64 exec, exec, s[6:7]
	s_cbranch_execnz .LBB12_3924
.LBB12_1874:
	s_or_b64 exec, exec, s[6:7]
	s_and_saveexec_b64 s[6:7], s[4:5]
	s_cbranch_execz .LBB12_1876
.LBB12_1875:
	v_bfe_u32 v8, v14, 16, 3
	v_ffbh_u32_e32 v13, v8
	v_min_u32_e32 v13, 32, v13
	v_lshrrev_b32_e32 v9, 19, v14
	v_subrev_u32_e32 v18, 28, v13
	v_and_b32_e32 v9, 15, v9
	v_lshlrev_b32_sdwa v18, v18, v14 dst_sel:DWORD dst_unused:UNUSED_PAD src0_sel:DWORD src1_sel:WORD_1
	v_bfe_u32 v12, v14, 19, 4
	v_sub_u32_e32 v13, 29, v13
	v_and_b32_e32 v18, 7, v18
	v_cmp_eq_u16_e32 vcc, 0, v9
	v_cndmask_b32_e32 v8, v8, v18, vcc
	v_cndmask_b32_e32 v9, v12, v13, vcc
	v_lshlrev_b32_e32 v12, 8, v14
	v_mov_b32_e32 v13, 0x3b800000
	v_lshlrev_b32_e32 v8, 20, v8
	v_and_b32_e32 v12, 0x80000000, v12
	v_lshl_add_u32 v9, v9, 23, v13
	v_or3_b32 v8, v12, v9, v8
.LBB12_1876:
	s_or_b64 exec, exec, s[6:7]
	s_movk_i32 s4, 0xff
	v_and_b32_sdwa v9, v10, s4 dst_sel:DWORD dst_unused:UNUSED_PAD src0_sel:WORD_1 src1_sel:DWORD
	s_movk_i32 s4, 0x7f
	v_cmp_lt_i16_e32 vcc, s4, v9
	s_mov_b64 s[4:5], 0
                                        ; implicit-def: $sgpr10
	s_and_saveexec_b64 s[6:7], vcc
	s_xor_b64 s[6:7], exec, s[6:7]
	s_cbranch_execnz .LBB12_3925
; %bb.1877:
	s_or_saveexec_b64 s[6:7], s[6:7]
	v_mov_b32_e32 v12, s10
	s_xor_b64 exec, exec, s[6:7]
	s_cbranch_execnz .LBB12_3928
.LBB12_1878:
	s_or_b64 exec, exec, s[6:7]
	s_and_saveexec_b64 s[6:7], s[4:5]
	s_cbranch_execz .LBB12_1880
.LBB12_1879:
	v_bfe_u32 v9, v10, 16, 3
	v_ffbh_u32_e32 v18, v9
	v_min_u32_e32 v18, 32, v18
	v_lshrrev_b32_e32 v12, 19, v10
	v_subrev_u32_e32 v19, 28, v18
	v_and_b32_e32 v12, 15, v12
	v_lshlrev_b32_sdwa v19, v19, v10 dst_sel:DWORD dst_unused:UNUSED_PAD src0_sel:DWORD src1_sel:WORD_1
	v_bfe_u32 v13, v10, 19, 4
	v_sub_u32_e32 v18, 29, v18
	v_and_b32_e32 v19, 7, v19
	v_cmp_eq_u16_e32 vcc, 0, v12
	v_cndmask_b32_e32 v9, v9, v19, vcc
	v_cndmask_b32_e32 v12, v13, v18, vcc
	v_lshlrev_b32_e32 v13, 8, v10
	v_mov_b32_e32 v18, 0x3b800000
	v_lshlrev_b32_e32 v9, 20, v9
	v_and_b32_e32 v13, 0x80000000, v13
	v_lshl_add_u32 v12, v12, 23, v18
	v_or3_b32 v12, v13, v12, v9
.LBB12_1880:
	s_or_b64 exec, exec, s[6:7]
	s_nop 0
	v_mfma_f32_16x16x4f32 a[0:3], v8, v12, a[0:3]
	s_movk_i32 s4, 0x7f
	v_cmp_gt_i16_sdwa s[6:7], v14, s4 src0_sel:BYTE_3 src1_sel:DWORD
	s_mov_b64 s[4:5], 0
                                        ; implicit-def: $sgpr10
	s_and_saveexec_b64 s[8:9], s[6:7]
	s_xor_b64 s[6:7], exec, s[8:9]
	s_cbranch_execnz .LBB12_3929
; %bb.1881:
	s_or_saveexec_b64 s[6:7], s[6:7]
	v_mov_b32_e32 v8, s10
	s_xor_b64 exec, exec, s[6:7]
	s_cbranch_execnz .LBB12_3932
.LBB12_1882:
	s_or_b64 exec, exec, s[6:7]
	s_and_saveexec_b64 s[6:7], s[4:5]
	s_cbranch_execz .LBB12_1884
.LBB12_1883:
	v_bfe_u32 v8, v14, 24, 3
	v_ffbh_u32_e32 v18, v8
	v_min_u32_e32 v18, 32, v18
	v_lshrrev_b32_e32 v12, 27, v14
	v_subrev_u32_e32 v19, 28, v18
	v_and_b32_e32 v9, 0x80000000, v14
	v_and_b32_e32 v12, 15, v12
	v_bfe_u32 v13, v14, 27, 4
	v_lshlrev_b32_sdwa v14, v19, v14 dst_sel:DWORD dst_unused:UNUSED_PAD src0_sel:DWORD src1_sel:BYTE_3
	v_sub_u32_e32 v18, 29, v18
	v_and_b32_e32 v14, 7, v14
	v_cmp_eq_u16_e32 vcc, 0, v12
	v_cndmask_b32_e32 v8, v8, v14, vcc
	v_cndmask_b32_e32 v12, v13, v18, vcc
	v_mov_b32_e32 v13, 0x3b800000
	v_lshlrev_b32_e32 v8, 20, v8
	v_lshl_add_u32 v12, v12, 23, v13
	v_or3_b32 v8, v9, v12, v8
.LBB12_1884:
	s_or_b64 exec, exec, s[6:7]
	s_movk_i32 s4, 0x7f
	v_cmp_gt_i16_sdwa s[6:7], v10, s4 src0_sel:BYTE_3 src1_sel:DWORD
	s_mov_b64 s[4:5], 0
                                        ; implicit-def: $sgpr10
	s_and_saveexec_b64 s[8:9], s[6:7]
	s_xor_b64 s[6:7], exec, s[8:9]
	s_cbranch_execnz .LBB12_3933
; %bb.1885:
	s_or_saveexec_b64 s[6:7], s[6:7]
	v_mov_b32_e32 v9, s10
	s_xor_b64 exec, exec, s[6:7]
	s_cbranch_execnz .LBB12_3936
.LBB12_1886:
	s_or_b64 exec, exec, s[6:7]
	s_and_saveexec_b64 s[6:7], s[4:5]
	s_cbranch_execz .LBB12_1888
.LBB12_1887:
	v_bfe_u32 v9, v10, 24, 3
	v_ffbh_u32_e32 v18, v9
	v_min_u32_e32 v18, 32, v18
	v_lshrrev_b32_e32 v13, 27, v10
	v_subrev_u32_e32 v19, 28, v18
	v_and_b32_e32 v12, 0x80000000, v10
	v_and_b32_e32 v13, 15, v13
	v_bfe_u32 v14, v10, 27, 4
	v_lshlrev_b32_sdwa v10, v19, v10 dst_sel:DWORD dst_unused:UNUSED_PAD src0_sel:DWORD src1_sel:BYTE_3
	v_sub_u32_e32 v18, 29, v18
	v_and_b32_e32 v10, 7, v10
	v_cmp_eq_u16_e32 vcc, 0, v13
	v_cndmask_b32_e32 v9, v9, v10, vcc
	v_cndmask_b32_e32 v10, v14, v18, vcc
	v_mov_b32_e32 v13, 0x3b800000
	v_lshlrev_b32_e32 v9, 20, v9
	v_lshl_add_u32 v10, v10, 23, v13
	v_or3_b32 v9, v12, v10, v9
.LBB12_1888:
	s_or_b64 exec, exec, s[6:7]
	s_nop 0
	v_mfma_f32_16x16x4f32 a[0:3], v8, v9, a[0:3]
	s_movk_i32 s4, 0x7f
	v_cmp_gt_i16_sdwa s[6:7], v15, s4 src0_sel:BYTE_0 src1_sel:DWORD
	s_mov_b64 s[4:5], 0
                                        ; implicit-def: $sgpr10
	s_and_saveexec_b64 s[8:9], s[6:7]
	s_xor_b64 s[6:7], exec, s[8:9]
	s_cbranch_execnz .LBB12_3937
; %bb.1889:
	s_or_saveexec_b64 s[6:7], s[6:7]
	v_mov_b32_e32 v8, s10
	s_xor_b64 exec, exec, s[6:7]
	s_cbranch_execnz .LBB12_3940
.LBB12_1890:
	s_or_b64 exec, exec, s[6:7]
	s_and_saveexec_b64 s[6:7], s[4:5]
	s_cbranch_execz .LBB12_1892
.LBB12_1891:
	v_and_b32_e32 v8, 7, v15
	v_ffbh_u32_e32 v10, v8
	v_min_u32_e32 v10, 32, v10
	v_lshrrev_b16_e32 v9, 3, v15
	v_subrev_u32_e32 v12, 28, v10
	v_and_b32_e32 v9, 15, v9
	v_lshlrev_b32_e32 v12, v12, v15
	v_sub_u32_e32 v10, 29, v10
	v_and_b32_e32 v12, 7, v12
	v_cmp_eq_u16_e32 vcc, 0, v9
	v_cndmask_b32_e32 v8, v8, v12, vcc
	v_cndmask_b32_e32 v9, v9, v10, vcc
	v_lshlrev_b32_e32 v10, 24, v15
	v_mov_b32_e32 v12, 0x3b800000
	v_lshlrev_b32_e32 v8, 20, v8
	v_and_b32_e32 v10, 0x80000000, v10
	v_lshl_add_u32 v9, v9, 23, v12
	v_or3_b32 v8, v10, v9, v8
.LBB12_1892:
	s_or_b64 exec, exec, s[6:7]
	s_movk_i32 s4, 0x7f
	v_cmp_gt_i16_sdwa s[6:7], v11, s4 src0_sel:BYTE_0 src1_sel:DWORD
	s_mov_b64 s[4:5], 0
                                        ; implicit-def: $sgpr10
	s_and_saveexec_b64 s[8:9], s[6:7]
	s_xor_b64 s[6:7], exec, s[8:9]
	s_cbranch_execnz .LBB12_3941
; %bb.1893:
	s_or_saveexec_b64 s[6:7], s[6:7]
	v_mov_b32_e32 v9, s10
	s_xor_b64 exec, exec, s[6:7]
	s_cbranch_execnz .LBB12_3944
.LBB12_1894:
	s_or_b64 exec, exec, s[6:7]
	s_and_saveexec_b64 s[6:7], s[4:5]
	s_cbranch_execz .LBB12_1896
.LBB12_1895:
	v_and_b32_e32 v9, 7, v11
	v_ffbh_u32_e32 v12, v9
	v_min_u32_e32 v12, 32, v12
	v_lshrrev_b16_e32 v10, 3, v11
	v_subrev_u32_e32 v13, 28, v12
	v_and_b32_e32 v10, 15, v10
	v_lshlrev_b32_e32 v13, v13, v11
	v_sub_u32_e32 v12, 29, v12
	v_and_b32_e32 v13, 7, v13
	v_cmp_eq_u16_e32 vcc, 0, v10
	v_cndmask_b32_e32 v9, v9, v13, vcc
	v_cndmask_b32_e32 v10, v10, v12, vcc
	v_lshlrev_b32_e32 v12, 24, v11
	v_mov_b32_e32 v13, 0x3b800000
	v_lshlrev_b32_e32 v9, 20, v9
	v_and_b32_e32 v12, 0x80000000, v12
	v_lshl_add_u32 v10, v10, 23, v13
	v_or3_b32 v9, v12, v10, v9
.LBB12_1896:
	s_or_b64 exec, exec, s[6:7]
	s_nop 0
	v_mfma_f32_16x16x4f32 a[0:3], v8, v9, a[0:3]
	v_lshrrev_b32_e32 v9, 8, v15
	s_movk_i32 s4, 0x7f
	v_cmp_gt_i16_sdwa s[6:7], v9, s4 src0_sel:BYTE_0 src1_sel:DWORD
	s_mov_b64 s[4:5], 0
                                        ; implicit-def: $sgpr10
	s_and_saveexec_b64 s[8:9], s[6:7]
	s_xor_b64 s[6:7], exec, s[8:9]
	s_cbranch_execnz .LBB12_3945
; %bb.1897:
	s_or_saveexec_b64 s[6:7], s[6:7]
	v_mov_b32_e32 v8, s10
	s_xor_b64 exec, exec, s[6:7]
	s_cbranch_execnz .LBB12_3948
.LBB12_1898:
	s_or_b64 exec, exec, s[6:7]
	s_and_saveexec_b64 s[6:7], s[4:5]
	s_cbranch_execz .LBB12_1900
.LBB12_1899:
	v_bfe_u32 v8, v15, 8, 3
	v_ffbh_u32_e32 v12, v8
	v_min_u32_e32 v12, 32, v12
	v_lshrrev_b16_e32 v10, 3, v9
	v_subrev_u32_e32 v13, 28, v12
	v_and_b32_e32 v10, 15, v10
	v_lshlrev_b32_e32 v9, v13, v9
	v_sub_u32_e32 v12, 29, v12
	v_and_b32_e32 v9, 7, v9
	v_cmp_eq_u16_e32 vcc, 0, v10
	v_cndmask_b32_e32 v8, v8, v9, vcc
	v_cndmask_b32_e32 v9, v10, v12, vcc
	v_lshlrev_b32_e32 v10, 16, v15
	v_mov_b32_e32 v12, 0x3b800000
	v_lshlrev_b32_e32 v8, 20, v8
	v_and_b32_e32 v10, 0x80000000, v10
	v_lshl_add_u32 v9, v9, 23, v12
	v_or3_b32 v8, v10, v9, v8
.LBB12_1900:
	s_or_b64 exec, exec, s[6:7]
	v_lshrrev_b32_e32 v9, 8, v11
	s_movk_i32 s4, 0x7f
	v_cmp_gt_i16_sdwa s[6:7], v9, s4 src0_sel:BYTE_0 src1_sel:DWORD
	s_mov_b64 s[4:5], 0
                                        ; implicit-def: $sgpr10
	s_and_saveexec_b64 s[8:9], s[6:7]
	s_xor_b64 s[6:7], exec, s[8:9]
	s_cbranch_execnz .LBB12_3949
; %bb.1901:
	s_or_saveexec_b64 s[6:7], s[6:7]
	v_mov_b32_e32 v10, s10
	s_xor_b64 exec, exec, s[6:7]
	s_cbranch_execnz .LBB12_3952
.LBB12_1902:
	s_or_b64 exec, exec, s[6:7]
	s_and_saveexec_b64 s[6:7], s[4:5]
	s_cbranch_execz .LBB12_1904
.LBB12_1903:
	v_bfe_u32 v10, v11, 8, 3
	v_ffbh_u32_e32 v13, v10
	v_min_u32_e32 v13, 32, v13
	v_lshrrev_b16_e32 v12, 3, v9
	v_subrev_u32_e32 v14, 28, v13
	v_and_b32_e32 v12, 15, v12
	v_lshlrev_b32_e32 v9, v14, v9
	v_sub_u32_e32 v13, 29, v13
	v_and_b32_e32 v9, 7, v9
	v_cmp_eq_u16_e32 vcc, 0, v12
	v_cndmask_b32_e32 v9, v10, v9, vcc
	v_cndmask_b32_e32 v10, v12, v13, vcc
	v_lshlrev_b32_e32 v12, 16, v11
	v_mov_b32_e32 v13, 0x3b800000
	v_lshlrev_b32_e32 v9, 20, v9
	v_and_b32_e32 v12, 0x80000000, v12
	v_lshl_add_u32 v10, v10, 23, v13
	v_or3_b32 v10, v12, v10, v9
.LBB12_1904:
	s_or_b64 exec, exec, s[6:7]
	s_nop 0
	v_mfma_f32_16x16x4f32 a[0:3], v8, v10, a[0:3]
	s_movk_i32 s4, 0xff
	v_and_b32_sdwa v9, v15, s4 dst_sel:DWORD dst_unused:UNUSED_PAD src0_sel:WORD_1 src1_sel:DWORD
	s_movk_i32 s4, 0x7f
	v_cmp_lt_i16_e32 vcc, s4, v9
	s_mov_b64 s[4:5], 0
                                        ; implicit-def: $sgpr10
	s_and_saveexec_b64 s[6:7], vcc
	s_xor_b64 s[6:7], exec, s[6:7]
	s_cbranch_execnz .LBB12_3953
; %bb.1905:
	s_or_saveexec_b64 s[6:7], s[6:7]
	v_mov_b32_e32 v8, s10
	s_xor_b64 exec, exec, s[6:7]
	s_cbranch_execnz .LBB12_3956
.LBB12_1906:
	s_or_b64 exec, exec, s[6:7]
	s_and_saveexec_b64 s[6:7], s[4:5]
	s_cbranch_execz .LBB12_1908
.LBB12_1907:
	v_bfe_u32 v8, v15, 16, 3
	v_ffbh_u32_e32 v12, v8
	v_min_u32_e32 v12, 32, v12
	v_lshrrev_b32_e32 v9, 19, v15
	v_subrev_u32_e32 v13, 28, v12
	v_and_b32_e32 v9, 15, v9
	v_lshlrev_b32_sdwa v13, v13, v15 dst_sel:DWORD dst_unused:UNUSED_PAD src0_sel:DWORD src1_sel:WORD_1
	v_bfe_u32 v10, v15, 19, 4
	v_sub_u32_e32 v12, 29, v12
	v_and_b32_e32 v13, 7, v13
	v_cmp_eq_u16_e32 vcc, 0, v9
	v_cndmask_b32_e32 v8, v8, v13, vcc
	v_cndmask_b32_e32 v9, v10, v12, vcc
	v_lshlrev_b32_e32 v10, 8, v15
	v_mov_b32_e32 v12, 0x3b800000
	v_lshlrev_b32_e32 v8, 20, v8
	v_and_b32_e32 v10, 0x80000000, v10
	v_lshl_add_u32 v9, v9, 23, v12
	v_or3_b32 v8, v10, v9, v8
.LBB12_1908:
	s_or_b64 exec, exec, s[6:7]
	s_movk_i32 s4, 0xff
	v_and_b32_sdwa v9, v11, s4 dst_sel:DWORD dst_unused:UNUSED_PAD src0_sel:WORD_1 src1_sel:DWORD
	s_movk_i32 s4, 0x7f
	v_cmp_lt_i16_e32 vcc, s4, v9
	s_mov_b64 s[4:5], 0
                                        ; implicit-def: $sgpr10
	s_and_saveexec_b64 s[6:7], vcc
	s_xor_b64 s[6:7], exec, s[6:7]
	s_cbranch_execnz .LBB12_3957
; %bb.1909:
	s_or_saveexec_b64 s[6:7], s[6:7]
	v_mov_b32_e32 v10, s10
	s_xor_b64 exec, exec, s[6:7]
	s_cbranch_execnz .LBB12_3960
.LBB12_1910:
	s_or_b64 exec, exec, s[6:7]
	s_and_saveexec_b64 s[6:7], s[4:5]
	s_cbranch_execz .LBB12_1912
.LBB12_1911:
	v_bfe_u32 v9, v11, 16, 3
	v_ffbh_u32_e32 v13, v9
	v_min_u32_e32 v13, 32, v13
	v_lshrrev_b32_e32 v10, 19, v11
	v_subrev_u32_e32 v14, 28, v13
	v_and_b32_e32 v10, 15, v10
	v_lshlrev_b32_sdwa v14, v14, v11 dst_sel:DWORD dst_unused:UNUSED_PAD src0_sel:DWORD src1_sel:WORD_1
	v_bfe_u32 v12, v11, 19, 4
	v_sub_u32_e32 v13, 29, v13
	v_and_b32_e32 v14, 7, v14
	v_cmp_eq_u16_e32 vcc, 0, v10
	v_cndmask_b32_e32 v9, v9, v14, vcc
	v_cndmask_b32_e32 v10, v12, v13, vcc
	v_lshlrev_b32_e32 v12, 8, v11
	v_mov_b32_e32 v13, 0x3b800000
	v_lshlrev_b32_e32 v9, 20, v9
	v_and_b32_e32 v12, 0x80000000, v12
	v_lshl_add_u32 v10, v10, 23, v13
	v_or3_b32 v10, v12, v10, v9
.LBB12_1912:
	s_or_b64 exec, exec, s[6:7]
	s_nop 0
	v_mfma_f32_16x16x4f32 a[0:3], v8, v10, a[0:3]
	s_movk_i32 s4, 0x7f
	v_cmp_gt_i16_sdwa s[6:7], v15, s4 src0_sel:BYTE_3 src1_sel:DWORD
	s_mov_b64 s[4:5], 0
                                        ; implicit-def: $sgpr10
	s_and_saveexec_b64 s[8:9], s[6:7]
	s_xor_b64 s[6:7], exec, s[8:9]
	s_cbranch_execnz .LBB12_3961
; %bb.1913:
	s_or_saveexec_b64 s[6:7], s[6:7]
	v_mov_b32_e32 v8, s10
	s_xor_b64 exec, exec, s[6:7]
	s_cbranch_execnz .LBB12_3964
.LBB12_1914:
	s_or_b64 exec, exec, s[6:7]
	s_and_saveexec_b64 s[6:7], s[4:5]
	s_cbranch_execz .LBB12_1916
.LBB12_1915:
	v_bfe_u32 v8, v15, 24, 3
	v_ffbh_u32_e32 v13, v8
	v_min_u32_e32 v13, 32, v13
	v_lshrrev_b32_e32 v10, 27, v15
	v_subrev_u32_e32 v14, 28, v13
	v_and_b32_e32 v10, 15, v10
	v_lshlrev_b32_sdwa v14, v14, v15 dst_sel:DWORD dst_unused:UNUSED_PAD src0_sel:DWORD src1_sel:BYTE_3
	v_bfe_u32 v12, v15, 27, 4
	v_sub_u32_e32 v13, 29, v13
	v_and_b32_e32 v14, 7, v14
	v_cmp_eq_u16_e32 vcc, 0, v10
	v_cndmask_b32_e32 v8, v8, v14, vcc
	v_cndmask_b32_e32 v10, v12, v13, vcc
	v_mov_b32_e32 v12, 0x3b800000
	v_and_b32_e32 v9, 0x80000000, v15
	v_lshlrev_b32_e32 v8, 20, v8
	v_lshl_add_u32 v10, v10, 23, v12
	v_or3_b32 v8, v9, v10, v8
.LBB12_1916:
	s_or_b64 exec, exec, s[6:7]
	s_movk_i32 s4, 0x7f
	v_cmp_gt_i16_sdwa s[6:7], v11, s4 src0_sel:BYTE_3 src1_sel:DWORD
	s_mov_b64 s[4:5], 0
                                        ; implicit-def: $sgpr10
	s_and_saveexec_b64 s[8:9], s[6:7]
	s_xor_b64 s[6:7], exec, s[8:9]
	s_cbranch_execnz .LBB12_3965
; %bb.1917:
	s_or_saveexec_b64 s[6:7], s[6:7]
	v_mov_b32_e32 v9, s10
	s_xor_b64 exec, exec, s[6:7]
	s_cbranch_execnz .LBB12_3968
.LBB12_1918:
	s_or_b64 exec, exec, s[6:7]
	s_and_saveexec_b64 s[6:7], s[4:5]
	s_cbranch_execz .LBB12_1920
.LBB12_1919:
	v_bfe_u32 v9, v11, 24, 3
	v_ffbh_u32_e32 v14, v9
	v_min_u32_e32 v14, 32, v14
	v_lshrrev_b32_e32 v12, 27, v11
	v_subrev_u32_e32 v15, 28, v14
	v_and_b32_e32 v10, 0x80000000, v11
	v_and_b32_e32 v12, 15, v12
	v_bfe_u32 v13, v11, 27, 4
	v_lshlrev_b32_sdwa v11, v15, v11 dst_sel:DWORD dst_unused:UNUSED_PAD src0_sel:DWORD src1_sel:BYTE_3
	v_sub_u32_e32 v14, 29, v14
	v_and_b32_e32 v11, 7, v11
	v_cmp_eq_u16_e32 vcc, 0, v12
	v_cndmask_b32_e32 v9, v9, v11, vcc
	v_cndmask_b32_e32 v11, v13, v14, vcc
	v_mov_b32_e32 v12, 0x3b800000
	v_lshlrev_b32_e32 v9, 20, v9
	v_lshl_add_u32 v11, v11, 23, v12
	v_or3_b32 v9, v10, v11, v9
.LBB12_1920:
	s_or_b64 exec, exec, s[6:7]
	s_nop 0
	v_mfma_f32_16x16x4f32 a[0:3], v8, v9, a[0:3]
	s_movk_i32 s4, 0x7f
	v_cmp_gt_i16_sdwa s[6:7], v4, s4 src0_sel:BYTE_0 src1_sel:DWORD
	s_mov_b64 s[4:5], 0
                                        ; implicit-def: $sgpr10
	s_and_saveexec_b64 s[8:9], s[6:7]
	s_xor_b64 s[6:7], exec, s[8:9]
	s_cbranch_execnz .LBB12_3969
; %bb.1921:
	s_or_saveexec_b64 s[6:7], s[6:7]
	v_mov_b32_e32 v8, s10
	s_xor_b64 exec, exec, s[6:7]
	s_cbranch_execnz .LBB12_3972
.LBB12_1922:
	s_or_b64 exec, exec, s[6:7]
	s_and_saveexec_b64 s[6:7], s[4:5]
	s_cbranch_execz .LBB12_1924
.LBB12_1923:
	v_and_b32_e32 v8, 7, v4
	v_ffbh_u32_e32 v10, v8
	v_min_u32_e32 v10, 32, v10
	v_lshrrev_b16_e32 v9, 3, v4
	v_subrev_u32_e32 v11, 28, v10
	v_and_b32_e32 v9, 15, v9
	v_lshlrev_b32_e32 v11, v11, v4
	v_sub_u32_e32 v10, 29, v10
	v_and_b32_e32 v11, 7, v11
	v_cmp_eq_u16_e32 vcc, 0, v9
	v_cndmask_b32_e32 v8, v8, v11, vcc
	v_cndmask_b32_e32 v9, v9, v10, vcc
	v_lshlrev_b32_e32 v10, 24, v4
	v_mov_b32_e32 v11, 0x3b800000
	v_lshlrev_b32_e32 v8, 20, v8
	v_and_b32_e32 v10, 0x80000000, v10
	v_lshl_add_u32 v9, v9, 23, v11
	v_or3_b32 v8, v10, v9, v8
.LBB12_1924:
	s_or_b64 exec, exec, s[6:7]
	s_movk_i32 s4, 0x7f
	v_cmp_gt_i16_sdwa s[6:7], v0, s4 src0_sel:BYTE_0 src1_sel:DWORD
	s_mov_b64 s[4:5], 0
                                        ; implicit-def: $sgpr10
	s_and_saveexec_b64 s[8:9], s[6:7]
	s_xor_b64 s[6:7], exec, s[8:9]
	s_cbranch_execnz .LBB12_3973
; %bb.1925:
	s_or_saveexec_b64 s[6:7], s[6:7]
	v_mov_b32_e32 v9, s10
	s_xor_b64 exec, exec, s[6:7]
	s_cbranch_execnz .LBB12_3976
.LBB12_1926:
	s_or_b64 exec, exec, s[6:7]
	s_and_saveexec_b64 s[6:7], s[4:5]
	s_cbranch_execz .LBB12_1928
.LBB12_1927:
	v_and_b32_e32 v9, 7, v0
	v_ffbh_u32_e32 v11, v9
	v_min_u32_e32 v11, 32, v11
	v_lshrrev_b16_e32 v10, 3, v0
	v_subrev_u32_e32 v12, 28, v11
	v_and_b32_e32 v10, 15, v10
	v_lshlrev_b32_e32 v12, v12, v0
	v_sub_u32_e32 v11, 29, v11
	v_and_b32_e32 v12, 7, v12
	v_cmp_eq_u16_e32 vcc, 0, v10
	v_cndmask_b32_e32 v9, v9, v12, vcc
	v_cndmask_b32_e32 v10, v10, v11, vcc
	v_lshlrev_b32_e32 v11, 24, v0
	v_mov_b32_e32 v12, 0x3b800000
	v_lshlrev_b32_e32 v9, 20, v9
	v_and_b32_e32 v11, 0x80000000, v11
	v_lshl_add_u32 v10, v10, 23, v12
	v_or3_b32 v9, v11, v10, v9
.LBB12_1928:
	s_or_b64 exec, exec, s[6:7]
	s_nop 0
	v_mfma_f32_16x16x4f32 a[0:3], v8, v9, a[0:3]
	v_lshrrev_b32_e32 v9, 8, v4
	s_movk_i32 s4, 0x7f
	v_cmp_gt_i16_sdwa s[6:7], v9, s4 src0_sel:BYTE_0 src1_sel:DWORD
	s_mov_b64 s[4:5], 0
                                        ; implicit-def: $sgpr10
	s_and_saveexec_b64 s[8:9], s[6:7]
	s_xor_b64 s[6:7], exec, s[8:9]
	s_cbranch_execnz .LBB12_3977
; %bb.1929:
	s_or_saveexec_b64 s[6:7], s[6:7]
	v_mov_b32_e32 v8, s10
	s_xor_b64 exec, exec, s[6:7]
	s_cbranch_execnz .LBB12_3980
.LBB12_1930:
	s_or_b64 exec, exec, s[6:7]
	s_and_saveexec_b64 s[6:7], s[4:5]
	s_cbranch_execz .LBB12_1932
.LBB12_1931:
	v_bfe_u32 v8, v4, 8, 3
	v_ffbh_u32_e32 v11, v8
	v_min_u32_e32 v11, 32, v11
	v_lshrrev_b16_e32 v10, 3, v9
	v_subrev_u32_e32 v12, 28, v11
	v_and_b32_e32 v10, 15, v10
	v_lshlrev_b32_e32 v9, v12, v9
	v_sub_u32_e32 v11, 29, v11
	v_and_b32_e32 v9, 7, v9
	v_cmp_eq_u16_e32 vcc, 0, v10
	v_cndmask_b32_e32 v8, v8, v9, vcc
	v_cndmask_b32_e32 v9, v10, v11, vcc
	v_lshlrev_b32_e32 v10, 16, v4
	v_mov_b32_e32 v11, 0x3b800000
	v_lshlrev_b32_e32 v8, 20, v8
	v_and_b32_e32 v10, 0x80000000, v10
	v_lshl_add_u32 v9, v9, 23, v11
	v_or3_b32 v8, v10, v9, v8
.LBB12_1932:
	s_or_b64 exec, exec, s[6:7]
	v_lshrrev_b32_e32 v9, 8, v0
	s_movk_i32 s4, 0x7f
	v_cmp_gt_i16_sdwa s[6:7], v9, s4 src0_sel:BYTE_0 src1_sel:DWORD
	s_mov_b64 s[4:5], 0
                                        ; implicit-def: $sgpr10
	s_and_saveexec_b64 s[8:9], s[6:7]
	s_xor_b64 s[6:7], exec, s[8:9]
	s_cbranch_execnz .LBB12_3981
; %bb.1933:
	s_or_saveexec_b64 s[6:7], s[6:7]
	v_mov_b32_e32 v10, s10
	s_xor_b64 exec, exec, s[6:7]
	s_cbranch_execnz .LBB12_3984
.LBB12_1934:
	s_or_b64 exec, exec, s[6:7]
	s_and_saveexec_b64 s[6:7], s[4:5]
	s_cbranch_execz .LBB12_1936
.LBB12_1935:
	v_bfe_u32 v10, v0, 8, 3
	v_ffbh_u32_e32 v12, v10
	v_min_u32_e32 v12, 32, v12
	v_lshrrev_b16_e32 v11, 3, v9
	v_subrev_u32_e32 v13, 28, v12
	v_and_b32_e32 v11, 15, v11
	v_lshlrev_b32_e32 v9, v13, v9
	v_sub_u32_e32 v12, 29, v12
	v_and_b32_e32 v9, 7, v9
	v_cmp_eq_u16_e32 vcc, 0, v11
	v_cndmask_b32_e32 v9, v10, v9, vcc
	v_cndmask_b32_e32 v10, v11, v12, vcc
	v_lshlrev_b32_e32 v11, 16, v0
	v_mov_b32_e32 v12, 0x3b800000
	v_lshlrev_b32_e32 v9, 20, v9
	v_and_b32_e32 v11, 0x80000000, v11
	v_lshl_add_u32 v10, v10, 23, v12
	v_or3_b32 v10, v11, v10, v9
.LBB12_1936:
	s_or_b64 exec, exec, s[6:7]
	s_nop 0
	v_mfma_f32_16x16x4f32 a[0:3], v8, v10, a[0:3]
	s_movk_i32 s4, 0xff
	v_and_b32_sdwa v9, v4, s4 dst_sel:DWORD dst_unused:UNUSED_PAD src0_sel:WORD_1 src1_sel:DWORD
	s_movk_i32 s4, 0x7f
	v_cmp_lt_i16_e32 vcc, s4, v9
	s_mov_b64 s[4:5], 0
                                        ; implicit-def: $sgpr10
	s_and_saveexec_b64 s[6:7], vcc
	s_xor_b64 s[6:7], exec, s[6:7]
	s_cbranch_execnz .LBB12_3985
; %bb.1937:
	s_or_saveexec_b64 s[6:7], s[6:7]
	v_mov_b32_e32 v8, s10
	s_xor_b64 exec, exec, s[6:7]
	s_cbranch_execnz .LBB12_3988
.LBB12_1938:
	s_or_b64 exec, exec, s[6:7]
	s_and_saveexec_b64 s[6:7], s[4:5]
	s_cbranch_execz .LBB12_1940
.LBB12_1939:
	v_bfe_u32 v8, v4, 16, 3
	v_ffbh_u32_e32 v11, v8
	v_min_u32_e32 v11, 32, v11
	v_lshrrev_b32_e32 v9, 19, v4
	v_subrev_u32_e32 v12, 28, v11
	v_and_b32_e32 v9, 15, v9
	v_lshlrev_b32_sdwa v12, v12, v4 dst_sel:DWORD dst_unused:UNUSED_PAD src0_sel:DWORD src1_sel:WORD_1
	v_bfe_u32 v10, v4, 19, 4
	v_sub_u32_e32 v11, 29, v11
	v_and_b32_e32 v12, 7, v12
	v_cmp_eq_u16_e32 vcc, 0, v9
	v_cndmask_b32_e32 v8, v8, v12, vcc
	v_cndmask_b32_e32 v9, v10, v11, vcc
	v_lshlrev_b32_e32 v10, 8, v4
	v_mov_b32_e32 v11, 0x3b800000
	v_lshlrev_b32_e32 v8, 20, v8
	v_and_b32_e32 v10, 0x80000000, v10
	v_lshl_add_u32 v9, v9, 23, v11
	v_or3_b32 v8, v10, v9, v8
.LBB12_1940:
	s_or_b64 exec, exec, s[6:7]
	s_movk_i32 s4, 0xff
	v_and_b32_sdwa v9, v0, s4 dst_sel:DWORD dst_unused:UNUSED_PAD src0_sel:WORD_1 src1_sel:DWORD
	s_movk_i32 s4, 0x7f
	v_cmp_lt_i16_e32 vcc, s4, v9
	s_mov_b64 s[4:5], 0
                                        ; implicit-def: $sgpr10
	s_and_saveexec_b64 s[6:7], vcc
	s_xor_b64 s[6:7], exec, s[6:7]
	s_cbranch_execnz .LBB12_3989
; %bb.1941:
	s_or_saveexec_b64 s[6:7], s[6:7]
	v_mov_b32_e32 v10, s10
	s_xor_b64 exec, exec, s[6:7]
	s_cbranch_execnz .LBB12_3992
.LBB12_1942:
	s_or_b64 exec, exec, s[6:7]
	s_and_saveexec_b64 s[6:7], s[4:5]
	s_cbranch_execz .LBB12_1944
.LBB12_1943:
	v_bfe_u32 v9, v0, 16, 3
	v_ffbh_u32_e32 v12, v9
	v_min_u32_e32 v12, 32, v12
	v_lshrrev_b32_e32 v10, 19, v0
	v_subrev_u32_e32 v13, 28, v12
	v_and_b32_e32 v10, 15, v10
	v_lshlrev_b32_sdwa v13, v13, v0 dst_sel:DWORD dst_unused:UNUSED_PAD src0_sel:DWORD src1_sel:WORD_1
	v_bfe_u32 v11, v0, 19, 4
	v_sub_u32_e32 v12, 29, v12
	v_and_b32_e32 v13, 7, v13
	v_cmp_eq_u16_e32 vcc, 0, v10
	v_cndmask_b32_e32 v9, v9, v13, vcc
	v_cndmask_b32_e32 v10, v11, v12, vcc
	v_lshlrev_b32_e32 v11, 8, v0
	v_mov_b32_e32 v12, 0x3b800000
	v_lshlrev_b32_e32 v9, 20, v9
	v_and_b32_e32 v11, 0x80000000, v11
	v_lshl_add_u32 v10, v10, 23, v12
	v_or3_b32 v10, v11, v10, v9
.LBB12_1944:
	s_or_b64 exec, exec, s[6:7]
	s_nop 0
	v_mfma_f32_16x16x4f32 a[0:3], v8, v10, a[0:3]
	s_movk_i32 s4, 0x7f
	v_cmp_gt_i16_sdwa s[6:7], v4, s4 src0_sel:BYTE_3 src1_sel:DWORD
	s_mov_b64 s[4:5], 0
                                        ; implicit-def: $sgpr10
	s_and_saveexec_b64 s[8:9], s[6:7]
	s_xor_b64 s[6:7], exec, s[8:9]
	s_cbranch_execnz .LBB12_3993
; %bb.1945:
	s_or_saveexec_b64 s[6:7], s[6:7]
	v_mov_b32_e32 v8, s10
	s_xor_b64 exec, exec, s[6:7]
	s_cbranch_execnz .LBB12_3996
.LBB12_1946:
	s_or_b64 exec, exec, s[6:7]
	s_and_saveexec_b64 s[6:7], s[4:5]
	s_cbranch_execz .LBB12_1948
.LBB12_1947:
	v_bfe_u32 v8, v4, 24, 3
	v_ffbh_u32_e32 v12, v8
	v_min_u32_e32 v12, 32, v12
	v_lshrrev_b32_e32 v10, 27, v4
	v_subrev_u32_e32 v13, 28, v12
	v_and_b32_e32 v9, 0x80000000, v4
	v_and_b32_e32 v10, 15, v10
	v_bfe_u32 v11, v4, 27, 4
	v_lshlrev_b32_sdwa v4, v13, v4 dst_sel:DWORD dst_unused:UNUSED_PAD src0_sel:DWORD src1_sel:BYTE_3
	v_sub_u32_e32 v12, 29, v12
	v_and_b32_e32 v4, 7, v4
	v_cmp_eq_u16_e32 vcc, 0, v10
	v_cndmask_b32_e32 v4, v8, v4, vcc
	v_cndmask_b32_e32 v8, v11, v12, vcc
	v_mov_b32_e32 v10, 0x3b800000
	v_lshlrev_b32_e32 v4, 20, v4
	v_lshl_add_u32 v8, v8, 23, v10
	v_or3_b32 v8, v9, v8, v4
.LBB12_1948:
	s_or_b64 exec, exec, s[6:7]
	s_movk_i32 s4, 0x7f
	v_cmp_gt_i16_sdwa s[6:7], v0, s4 src0_sel:BYTE_3 src1_sel:DWORD
	s_mov_b64 s[4:5], 0
                                        ; implicit-def: $sgpr10
	s_and_saveexec_b64 s[8:9], s[6:7]
	s_xor_b64 s[6:7], exec, s[8:9]
	s_cbranch_execnz .LBB12_3997
; %bb.1949:
	s_or_saveexec_b64 s[6:7], s[6:7]
	v_mov_b32_e32 v4, s10
	s_xor_b64 exec, exec, s[6:7]
	s_cbranch_execnz .LBB12_4000
.LBB12_1950:
	s_or_b64 exec, exec, s[6:7]
	s_and_saveexec_b64 s[6:7], s[4:5]
	s_cbranch_execz .LBB12_1952
.LBB12_1951:
	v_bfe_u32 v4, v0, 24, 3
	v_ffbh_u32_e32 v12, v4
	v_min_u32_e32 v12, 32, v12
	v_lshrrev_b32_e32 v10, 27, v0
	v_subrev_u32_e32 v13, 28, v12
	v_and_b32_e32 v9, 0x80000000, v0
	v_and_b32_e32 v10, 15, v10
	v_bfe_u32 v11, v0, 27, 4
	v_lshlrev_b32_sdwa v0, v13, v0 dst_sel:DWORD dst_unused:UNUSED_PAD src0_sel:DWORD src1_sel:BYTE_3
	v_sub_u32_e32 v12, 29, v12
	v_and_b32_e32 v0, 7, v0
	v_cmp_eq_u16_e32 vcc, 0, v10
	v_cndmask_b32_e32 v0, v4, v0, vcc
	v_cndmask_b32_e32 v4, v11, v12, vcc
	v_mov_b32_e32 v10, 0x3b800000
	v_lshlrev_b32_e32 v0, 20, v0
	v_lshl_add_u32 v4, v4, 23, v10
	v_or3_b32 v4, v9, v4, v0
.LBB12_1952:
	s_or_b64 exec, exec, s[6:7]
	s_nop 0
	v_mfma_f32_16x16x4f32 a[0:3], v8, v4, a[0:3]
	s_movk_i32 s4, 0x7f
	v_cmp_gt_i16_sdwa s[6:7], v5, s4 src0_sel:BYTE_0 src1_sel:DWORD
	s_mov_b64 s[4:5], 0
                                        ; implicit-def: $sgpr10
	s_and_saveexec_b64 s[8:9], s[6:7]
	s_xor_b64 s[6:7], exec, s[8:9]
	s_cbranch_execnz .LBB12_4001
; %bb.1953:
	s_or_saveexec_b64 s[6:7], s[6:7]
	v_mov_b32_e32 v0, s10
	s_xor_b64 exec, exec, s[6:7]
	s_cbranch_execnz .LBB12_4004
.LBB12_1954:
	s_or_b64 exec, exec, s[6:7]
	s_and_saveexec_b64 s[6:7], s[4:5]
	s_cbranch_execz .LBB12_1956
.LBB12_1955:
	v_and_b32_e32 v0, 7, v5
	v_ffbh_u32_e32 v8, v0
	v_min_u32_e32 v8, 32, v8
	v_lshrrev_b16_e32 v4, 3, v5
	v_subrev_u32_e32 v9, 28, v8
	v_and_b32_e32 v4, 15, v4
	v_lshlrev_b32_e32 v9, v9, v5
	v_sub_u32_e32 v8, 29, v8
	v_and_b32_e32 v9, 7, v9
	v_cmp_eq_u16_e32 vcc, 0, v4
	v_cndmask_b32_e32 v0, v0, v9, vcc
	v_cndmask_b32_e32 v4, v4, v8, vcc
	v_lshlrev_b32_e32 v8, 24, v5
	v_mov_b32_e32 v9, 0x3b800000
	v_lshlrev_b32_e32 v0, 20, v0
	v_and_b32_e32 v8, 0x80000000, v8
	v_lshl_add_u32 v4, v4, 23, v9
	v_or3_b32 v0, v8, v4, v0
.LBB12_1956:
	s_or_b64 exec, exec, s[6:7]
	s_movk_i32 s4, 0x7f
	v_cmp_gt_i16_sdwa s[6:7], v1, s4 src0_sel:BYTE_0 src1_sel:DWORD
	s_mov_b64 s[4:5], 0
                                        ; implicit-def: $sgpr10
	s_and_saveexec_b64 s[8:9], s[6:7]
	s_xor_b64 s[6:7], exec, s[8:9]
	s_cbranch_execnz .LBB12_4005
; %bb.1957:
	s_or_saveexec_b64 s[6:7], s[6:7]
	v_mov_b32_e32 v4, s10
	s_xor_b64 exec, exec, s[6:7]
	s_cbranch_execnz .LBB12_4008
.LBB12_1958:
	s_or_b64 exec, exec, s[6:7]
	s_and_saveexec_b64 s[6:7], s[4:5]
	s_cbranch_execz .LBB12_1960
.LBB12_1959:
	v_and_b32_e32 v4, 7, v1
	v_ffbh_u32_e32 v9, v4
	v_min_u32_e32 v9, 32, v9
	v_lshrrev_b16_e32 v8, 3, v1
	v_subrev_u32_e32 v10, 28, v9
	v_and_b32_e32 v8, 15, v8
	v_lshlrev_b32_e32 v10, v10, v1
	v_sub_u32_e32 v9, 29, v9
	v_and_b32_e32 v10, 7, v10
	v_cmp_eq_u16_e32 vcc, 0, v8
	v_cndmask_b32_e32 v4, v4, v10, vcc
	v_cndmask_b32_e32 v8, v8, v9, vcc
	v_lshlrev_b32_e32 v9, 24, v1
	v_mov_b32_e32 v10, 0x3b800000
	v_lshlrev_b32_e32 v4, 20, v4
	v_and_b32_e32 v9, 0x80000000, v9
	v_lshl_add_u32 v8, v8, 23, v10
	v_or3_b32 v4, v9, v8, v4
.LBB12_1960:
	s_or_b64 exec, exec, s[6:7]
	s_nop 0
	v_mfma_f32_16x16x4f32 a[0:3], v0, v4, a[0:3]
	v_lshrrev_b32_e32 v4, 8, v5
	s_movk_i32 s4, 0x7f
	v_cmp_gt_i16_sdwa s[6:7], v4, s4 src0_sel:BYTE_0 src1_sel:DWORD
	s_mov_b64 s[4:5], 0
                                        ; implicit-def: $sgpr10
	s_and_saveexec_b64 s[8:9], s[6:7]
	s_xor_b64 s[6:7], exec, s[8:9]
	s_cbranch_execnz .LBB12_4009
; %bb.1961:
	s_or_saveexec_b64 s[6:7], s[6:7]
	v_mov_b32_e32 v0, s10
	s_xor_b64 exec, exec, s[6:7]
	s_cbranch_execnz .LBB12_4012
.LBB12_1962:
	s_or_b64 exec, exec, s[6:7]
	s_and_saveexec_b64 s[6:7], s[4:5]
	s_cbranch_execz .LBB12_1964
.LBB12_1963:
	v_bfe_u32 v0, v5, 8, 3
	v_ffbh_u32_e32 v9, v0
	v_min_u32_e32 v9, 32, v9
	v_lshrrev_b16_e32 v8, 3, v4
	v_subrev_u32_e32 v10, 28, v9
	v_and_b32_e32 v8, 15, v8
	v_lshlrev_b32_e32 v4, v10, v4
	v_sub_u32_e32 v9, 29, v9
	v_and_b32_e32 v4, 7, v4
	v_cmp_eq_u16_e32 vcc, 0, v8
	v_cndmask_b32_e32 v0, v0, v4, vcc
	v_cndmask_b32_e32 v4, v8, v9, vcc
	v_lshlrev_b32_e32 v8, 16, v5
	v_mov_b32_e32 v9, 0x3b800000
	v_lshlrev_b32_e32 v0, 20, v0
	v_and_b32_e32 v8, 0x80000000, v8
	v_lshl_add_u32 v4, v4, 23, v9
	v_or3_b32 v0, v8, v4, v0
.LBB12_1964:
	s_or_b64 exec, exec, s[6:7]
	v_lshrrev_b32_e32 v4, 8, v1
	s_movk_i32 s4, 0x7f
	v_cmp_gt_i16_sdwa s[6:7], v4, s4 src0_sel:BYTE_0 src1_sel:DWORD
	s_mov_b64 s[4:5], 0
                                        ; implicit-def: $sgpr10
	s_and_saveexec_b64 s[8:9], s[6:7]
	s_xor_b64 s[6:7], exec, s[8:9]
	s_cbranch_execnz .LBB12_4013
; %bb.1965:
	s_or_saveexec_b64 s[6:7], s[6:7]
	v_mov_b32_e32 v8, s10
	s_xor_b64 exec, exec, s[6:7]
	s_cbranch_execnz .LBB12_4016
.LBB12_1966:
	s_or_b64 exec, exec, s[6:7]
	s_and_saveexec_b64 s[6:7], s[4:5]
	s_cbranch_execz .LBB12_1968
.LBB12_1967:
	v_bfe_u32 v8, v1, 8, 3
	v_ffbh_u32_e32 v10, v8
	v_min_u32_e32 v10, 32, v10
	v_lshrrev_b16_e32 v9, 3, v4
	v_subrev_u32_e32 v11, 28, v10
	v_and_b32_e32 v9, 15, v9
	v_lshlrev_b32_e32 v4, v11, v4
	v_sub_u32_e32 v10, 29, v10
	v_and_b32_e32 v4, 7, v4
	v_cmp_eq_u16_e32 vcc, 0, v9
	v_cndmask_b32_e32 v4, v8, v4, vcc
	v_cndmask_b32_e32 v8, v9, v10, vcc
	v_lshlrev_b32_e32 v9, 16, v1
	v_mov_b32_e32 v10, 0x3b800000
	v_lshlrev_b32_e32 v4, 20, v4
	v_and_b32_e32 v9, 0x80000000, v9
	v_lshl_add_u32 v8, v8, 23, v10
	v_or3_b32 v8, v9, v8, v4
.LBB12_1968:
	s_or_b64 exec, exec, s[6:7]
	s_nop 0
	v_mfma_f32_16x16x4f32 a[0:3], v0, v8, a[0:3]
	s_movk_i32 s4, 0xff
	v_and_b32_sdwa v4, v5, s4 dst_sel:DWORD dst_unused:UNUSED_PAD src0_sel:WORD_1 src1_sel:DWORD
	s_movk_i32 s4, 0x7f
	v_cmp_lt_i16_e32 vcc, s4, v4
	s_mov_b64 s[4:5], 0
                                        ; implicit-def: $sgpr10
	s_and_saveexec_b64 s[6:7], vcc
	s_xor_b64 s[6:7], exec, s[6:7]
	s_cbranch_execnz .LBB12_4017
; %bb.1969:
	s_or_saveexec_b64 s[6:7], s[6:7]
	v_mov_b32_e32 v0, s10
	s_xor_b64 exec, exec, s[6:7]
	s_cbranch_execnz .LBB12_4020
.LBB12_1970:
	s_or_b64 exec, exec, s[6:7]
	s_and_saveexec_b64 s[6:7], s[4:5]
	s_cbranch_execz .LBB12_1972
.LBB12_1971:
	v_bfe_u32 v0, v5, 16, 3
	v_ffbh_u32_e32 v9, v0
	v_min_u32_e32 v9, 32, v9
	v_lshrrev_b32_e32 v4, 19, v5
	v_subrev_u32_e32 v10, 28, v9
	v_and_b32_e32 v4, 15, v4
	v_lshlrev_b32_sdwa v10, v10, v5 dst_sel:DWORD dst_unused:UNUSED_PAD src0_sel:DWORD src1_sel:WORD_1
	v_bfe_u32 v8, v5, 19, 4
	v_sub_u32_e32 v9, 29, v9
	v_and_b32_e32 v10, 7, v10
	v_cmp_eq_u16_e32 vcc, 0, v4
	v_cndmask_b32_e32 v0, v0, v10, vcc
	v_cndmask_b32_e32 v4, v8, v9, vcc
	v_lshlrev_b32_e32 v8, 8, v5
	v_mov_b32_e32 v9, 0x3b800000
	v_lshlrev_b32_e32 v0, 20, v0
	v_and_b32_e32 v8, 0x80000000, v8
	v_lshl_add_u32 v4, v4, 23, v9
	v_or3_b32 v0, v8, v4, v0
.LBB12_1972:
	s_or_b64 exec, exec, s[6:7]
	s_movk_i32 s4, 0xff
	v_and_b32_sdwa v4, v1, s4 dst_sel:DWORD dst_unused:UNUSED_PAD src0_sel:WORD_1 src1_sel:DWORD
	s_movk_i32 s4, 0x7f
	v_cmp_lt_i16_e32 vcc, s4, v4
	s_mov_b64 s[4:5], 0
                                        ; implicit-def: $sgpr10
	s_and_saveexec_b64 s[6:7], vcc
	s_xor_b64 s[6:7], exec, s[6:7]
	s_cbranch_execnz .LBB12_4021
; %bb.1973:
	s_or_saveexec_b64 s[6:7], s[6:7]
	v_mov_b32_e32 v8, s10
	s_xor_b64 exec, exec, s[6:7]
	s_cbranch_execnz .LBB12_4024
.LBB12_1974:
	s_or_b64 exec, exec, s[6:7]
	s_and_saveexec_b64 s[6:7], s[4:5]
	s_cbranch_execz .LBB12_1976
.LBB12_1975:
	v_bfe_u32 v4, v1, 16, 3
	v_ffbh_u32_e32 v10, v4
	v_min_u32_e32 v10, 32, v10
	v_lshrrev_b32_e32 v8, 19, v1
	v_subrev_u32_e32 v11, 28, v10
	v_and_b32_e32 v8, 15, v8
	v_lshlrev_b32_sdwa v11, v11, v1 dst_sel:DWORD dst_unused:UNUSED_PAD src0_sel:DWORD src1_sel:WORD_1
	v_bfe_u32 v9, v1, 19, 4
	v_sub_u32_e32 v10, 29, v10
	v_and_b32_e32 v11, 7, v11
	v_cmp_eq_u16_e32 vcc, 0, v8
	v_cndmask_b32_e32 v4, v4, v11, vcc
	v_cndmask_b32_e32 v8, v9, v10, vcc
	v_lshlrev_b32_e32 v9, 8, v1
	v_mov_b32_e32 v10, 0x3b800000
	v_lshlrev_b32_e32 v4, 20, v4
	v_and_b32_e32 v9, 0x80000000, v9
	v_lshl_add_u32 v8, v8, 23, v10
	v_or3_b32 v8, v9, v8, v4
.LBB12_1976:
	s_or_b64 exec, exec, s[6:7]
	s_nop 0
	v_mfma_f32_16x16x4f32 a[0:3], v0, v8, a[0:3]
	s_movk_i32 s4, 0x7f
	v_cmp_gt_i16_sdwa s[6:7], v5, s4 src0_sel:BYTE_3 src1_sel:DWORD
	s_mov_b64 s[4:5], 0
                                        ; implicit-def: $sgpr10
	s_and_saveexec_b64 s[8:9], s[6:7]
	s_xor_b64 s[6:7], exec, s[8:9]
	s_cbranch_execnz .LBB12_4025
; %bb.1977:
	s_or_saveexec_b64 s[6:7], s[6:7]
	v_mov_b32_e32 v0, s10
	s_xor_b64 exec, exec, s[6:7]
	s_cbranch_execnz .LBB12_4028
.LBB12_1978:
	s_or_b64 exec, exec, s[6:7]
	s_and_saveexec_b64 s[6:7], s[4:5]
	s_cbranch_execz .LBB12_1980
.LBB12_1979:
	v_bfe_u32 v0, v5, 24, 3
	v_ffbh_u32_e32 v10, v0
	v_min_u32_e32 v10, 32, v10
	v_lshrrev_b32_e32 v8, 27, v5
	v_subrev_u32_e32 v11, 28, v10
	v_and_b32_e32 v4, 0x80000000, v5
	v_and_b32_e32 v8, 15, v8
	v_bfe_u32 v9, v5, 27, 4
	v_lshlrev_b32_sdwa v5, v11, v5 dst_sel:DWORD dst_unused:UNUSED_PAD src0_sel:DWORD src1_sel:BYTE_3
	v_sub_u32_e32 v10, 29, v10
	v_and_b32_e32 v5, 7, v5
	v_cmp_eq_u16_e32 vcc, 0, v8
	v_cndmask_b32_e32 v0, v0, v5, vcc
	v_cndmask_b32_e32 v5, v9, v10, vcc
	v_mov_b32_e32 v8, 0x3b800000
	v_lshlrev_b32_e32 v0, 20, v0
	v_lshl_add_u32 v5, v5, 23, v8
	v_or3_b32 v0, v4, v5, v0
.LBB12_1980:
	s_or_b64 exec, exec, s[6:7]
	s_movk_i32 s4, 0x7f
	v_cmp_gt_i16_sdwa s[6:7], v1, s4 src0_sel:BYTE_3 src1_sel:DWORD
	s_mov_b64 s[4:5], 0
                                        ; implicit-def: $sgpr10
	s_and_saveexec_b64 s[8:9], s[6:7]
	s_xor_b64 s[6:7], exec, s[8:9]
	s_cbranch_execnz .LBB12_4029
; %bb.1981:
	s_or_saveexec_b64 s[6:7], s[6:7]
	v_mov_b32_e32 v4, s10
	s_xor_b64 exec, exec, s[6:7]
	s_cbranch_execnz .LBB12_4032
.LBB12_1982:
	s_or_b64 exec, exec, s[6:7]
	s_and_saveexec_b64 s[6:7], s[4:5]
	s_cbranch_execz .LBB12_1984
.LBB12_1983:
	v_bfe_u32 v4, v1, 24, 3
	v_ffbh_u32_e32 v10, v4
	v_min_u32_e32 v10, 32, v10
	v_lshrrev_b32_e32 v8, 27, v1
	v_subrev_u32_e32 v11, 28, v10
	v_and_b32_e32 v5, 0x80000000, v1
	v_and_b32_e32 v8, 15, v8
	v_bfe_u32 v9, v1, 27, 4
	v_lshlrev_b32_sdwa v1, v11, v1 dst_sel:DWORD dst_unused:UNUSED_PAD src0_sel:DWORD src1_sel:BYTE_3
	v_sub_u32_e32 v10, 29, v10
	v_and_b32_e32 v1, 7, v1
	v_cmp_eq_u16_e32 vcc, 0, v8
	v_cndmask_b32_e32 v1, v4, v1, vcc
	v_cndmask_b32_e32 v4, v9, v10, vcc
	v_mov_b32_e32 v8, 0x3b800000
	v_lshlrev_b32_e32 v1, 20, v1
	v_lshl_add_u32 v4, v4, 23, v8
	v_or3_b32 v4, v5, v4, v1
.LBB12_1984:
	s_or_b64 exec, exec, s[6:7]
	s_nop 0
	v_mfma_f32_16x16x4f32 a[0:3], v0, v4, a[0:3]
	s_movk_i32 s4, 0x7f
	v_cmp_gt_i16_sdwa s[6:7], v6, s4 src0_sel:BYTE_0 src1_sel:DWORD
	s_mov_b64 s[4:5], 0
                                        ; implicit-def: $sgpr10
	s_and_saveexec_b64 s[8:9], s[6:7]
	s_xor_b64 s[6:7], exec, s[8:9]
	s_cbranch_execnz .LBB12_4033
; %bb.1985:
	s_or_saveexec_b64 s[6:7], s[6:7]
	v_mov_b32_e32 v0, s10
	s_xor_b64 exec, exec, s[6:7]
	s_cbranch_execnz .LBB12_4036
.LBB12_1986:
	s_or_b64 exec, exec, s[6:7]
	s_and_saveexec_b64 s[6:7], s[4:5]
	s_cbranch_execz .LBB12_1988
.LBB12_1987:
	v_and_b32_e32 v0, 7, v6
	v_ffbh_u32_e32 v4, v0
	v_min_u32_e32 v4, 32, v4
	v_lshrrev_b16_e32 v1, 3, v6
	v_subrev_u32_e32 v5, 28, v4
	v_and_b32_e32 v1, 15, v1
	v_lshlrev_b32_e32 v5, v5, v6
	v_sub_u32_e32 v4, 29, v4
	v_and_b32_e32 v5, 7, v5
	v_cmp_eq_u16_e32 vcc, 0, v1
	v_cndmask_b32_e32 v0, v0, v5, vcc
	v_cndmask_b32_e32 v1, v1, v4, vcc
	v_lshlrev_b32_e32 v4, 24, v6
	v_mov_b32_e32 v5, 0x3b800000
	v_lshlrev_b32_e32 v0, 20, v0
	v_and_b32_e32 v4, 0x80000000, v4
	v_lshl_add_u32 v1, v1, 23, v5
	v_or3_b32 v0, v4, v1, v0
.LBB12_1988:
	s_or_b64 exec, exec, s[6:7]
	s_movk_i32 s4, 0x7f
	v_cmp_gt_i16_sdwa s[6:7], v2, s4 src0_sel:BYTE_0 src1_sel:DWORD
	s_mov_b64 s[4:5], 0
                                        ; implicit-def: $sgpr10
	s_and_saveexec_b64 s[8:9], s[6:7]
	s_xor_b64 s[6:7], exec, s[8:9]
	s_cbranch_execnz .LBB12_4037
; %bb.1989:
	s_or_saveexec_b64 s[6:7], s[6:7]
	v_mov_b32_e32 v1, s10
	s_xor_b64 exec, exec, s[6:7]
	s_cbranch_execnz .LBB12_4040
.LBB12_1990:
	s_or_b64 exec, exec, s[6:7]
	s_and_saveexec_b64 s[6:7], s[4:5]
	s_cbranch_execz .LBB12_1992
.LBB12_1991:
	v_and_b32_e32 v1, 7, v2
	v_ffbh_u32_e32 v5, v1
	v_min_u32_e32 v5, 32, v5
	v_lshrrev_b16_e32 v4, 3, v2
	v_subrev_u32_e32 v8, 28, v5
	v_and_b32_e32 v4, 15, v4
	v_lshlrev_b32_e32 v8, v8, v2
	v_sub_u32_e32 v5, 29, v5
	v_and_b32_e32 v8, 7, v8
	v_cmp_eq_u16_e32 vcc, 0, v4
	v_cndmask_b32_e32 v1, v1, v8, vcc
	v_cndmask_b32_e32 v4, v4, v5, vcc
	v_lshlrev_b32_e32 v5, 24, v2
	v_mov_b32_e32 v8, 0x3b800000
	v_lshlrev_b32_e32 v1, 20, v1
	v_and_b32_e32 v5, 0x80000000, v5
	v_lshl_add_u32 v4, v4, 23, v8
	v_or3_b32 v1, v5, v4, v1
.LBB12_1992:
	s_or_b64 exec, exec, s[6:7]
	s_nop 0
	v_mfma_f32_16x16x4f32 a[0:3], v0, v1, a[0:3]
	v_lshrrev_b32_e32 v1, 8, v6
	s_movk_i32 s4, 0x7f
	v_cmp_gt_i16_sdwa s[6:7], v1, s4 src0_sel:BYTE_0 src1_sel:DWORD
	s_mov_b64 s[4:5], 0
                                        ; implicit-def: $sgpr10
	s_and_saveexec_b64 s[8:9], s[6:7]
	s_xor_b64 s[6:7], exec, s[8:9]
	s_cbranch_execnz .LBB12_4041
; %bb.1993:
	s_or_saveexec_b64 s[6:7], s[6:7]
	v_mov_b32_e32 v0, s10
	s_xor_b64 exec, exec, s[6:7]
	s_cbranch_execnz .LBB12_4044
.LBB12_1994:
	s_or_b64 exec, exec, s[6:7]
	s_and_saveexec_b64 s[6:7], s[4:5]
	s_cbranch_execz .LBB12_1996
.LBB12_1995:
	v_bfe_u32 v0, v6, 8, 3
	v_ffbh_u32_e32 v5, v0
	v_min_u32_e32 v5, 32, v5
	v_lshrrev_b16_e32 v4, 3, v1
	v_subrev_u32_e32 v8, 28, v5
	v_and_b32_e32 v4, 15, v4
	v_lshlrev_b32_e32 v1, v8, v1
	v_sub_u32_e32 v5, 29, v5
	v_and_b32_e32 v1, 7, v1
	v_cmp_eq_u16_e32 vcc, 0, v4
	v_cndmask_b32_e32 v0, v0, v1, vcc
	v_cndmask_b32_e32 v1, v4, v5, vcc
	v_lshlrev_b32_e32 v4, 16, v6
	v_mov_b32_e32 v5, 0x3b800000
	v_lshlrev_b32_e32 v0, 20, v0
	v_and_b32_e32 v4, 0x80000000, v4
	v_lshl_add_u32 v1, v1, 23, v5
	v_or3_b32 v0, v4, v1, v0
.LBB12_1996:
	s_or_b64 exec, exec, s[6:7]
	v_lshrrev_b32_e32 v1, 8, v2
	s_movk_i32 s4, 0x7f
	v_cmp_gt_i16_sdwa s[6:7], v1, s4 src0_sel:BYTE_0 src1_sel:DWORD
	s_mov_b64 s[4:5], 0
                                        ; implicit-def: $sgpr10
	s_and_saveexec_b64 s[8:9], s[6:7]
	s_xor_b64 s[6:7], exec, s[8:9]
	s_cbranch_execnz .LBB12_4045
; %bb.1997:
	s_or_saveexec_b64 s[6:7], s[6:7]
	v_mov_b32_e32 v4, s10
	s_xor_b64 exec, exec, s[6:7]
	s_cbranch_execnz .LBB12_4048
.LBB12_1998:
	s_or_b64 exec, exec, s[6:7]
	s_and_saveexec_b64 s[6:7], s[4:5]
	s_cbranch_execz .LBB12_2000
.LBB12_1999:
	v_bfe_u32 v4, v2, 8, 3
	v_ffbh_u32_e32 v8, v4
	v_min_u32_e32 v8, 32, v8
	v_lshrrev_b16_e32 v5, 3, v1
	v_subrev_u32_e32 v9, 28, v8
	v_and_b32_e32 v5, 15, v5
	v_lshlrev_b32_e32 v1, v9, v1
	v_sub_u32_e32 v8, 29, v8
	v_and_b32_e32 v1, 7, v1
	v_cmp_eq_u16_e32 vcc, 0, v5
	v_cndmask_b32_e32 v1, v4, v1, vcc
	v_cndmask_b32_e32 v4, v5, v8, vcc
	v_lshlrev_b32_e32 v5, 16, v2
	v_mov_b32_e32 v8, 0x3b800000
	v_lshlrev_b32_e32 v1, 20, v1
	v_and_b32_e32 v5, 0x80000000, v5
	v_lshl_add_u32 v4, v4, 23, v8
	v_or3_b32 v4, v5, v4, v1
.LBB12_2000:
	s_or_b64 exec, exec, s[6:7]
	s_nop 0
	v_mfma_f32_16x16x4f32 a[0:3], v0, v4, a[0:3]
	s_movk_i32 s4, 0xff
	v_and_b32_sdwa v1, v6, s4 dst_sel:DWORD dst_unused:UNUSED_PAD src0_sel:WORD_1 src1_sel:DWORD
	s_movk_i32 s4, 0x7f
	v_cmp_lt_i16_e32 vcc, s4, v1
	s_mov_b64 s[4:5], 0
                                        ; implicit-def: $sgpr10
	s_and_saveexec_b64 s[6:7], vcc
	s_xor_b64 s[6:7], exec, s[6:7]
	s_cbranch_execnz .LBB12_4049
; %bb.2001:
	s_or_saveexec_b64 s[6:7], s[6:7]
	v_mov_b32_e32 v0, s10
	s_xor_b64 exec, exec, s[6:7]
	s_cbranch_execnz .LBB12_4052
.LBB12_2002:
	s_or_b64 exec, exec, s[6:7]
	s_and_saveexec_b64 s[6:7], s[4:5]
	s_cbranch_execz .LBB12_2004
.LBB12_2003:
	v_bfe_u32 v0, v6, 16, 3
	v_ffbh_u32_e32 v5, v0
	v_min_u32_e32 v5, 32, v5
	v_lshrrev_b32_e32 v1, 19, v6
	v_subrev_u32_e32 v8, 28, v5
	v_and_b32_e32 v1, 15, v1
	v_lshlrev_b32_sdwa v8, v8, v6 dst_sel:DWORD dst_unused:UNUSED_PAD src0_sel:DWORD src1_sel:WORD_1
	v_bfe_u32 v4, v6, 19, 4
	v_sub_u32_e32 v5, 29, v5
	v_and_b32_e32 v8, 7, v8
	v_cmp_eq_u16_e32 vcc, 0, v1
	v_cndmask_b32_e32 v0, v0, v8, vcc
	v_cndmask_b32_e32 v1, v4, v5, vcc
	v_lshlrev_b32_e32 v4, 8, v6
	v_mov_b32_e32 v5, 0x3b800000
	v_lshlrev_b32_e32 v0, 20, v0
	v_and_b32_e32 v4, 0x80000000, v4
	v_lshl_add_u32 v1, v1, 23, v5
	v_or3_b32 v0, v4, v1, v0
.LBB12_2004:
	s_or_b64 exec, exec, s[6:7]
	s_movk_i32 s4, 0xff
	v_and_b32_sdwa v1, v2, s4 dst_sel:DWORD dst_unused:UNUSED_PAD src0_sel:WORD_1 src1_sel:DWORD
	s_movk_i32 s4, 0x7f
	v_cmp_lt_i16_e32 vcc, s4, v1
	s_mov_b64 s[4:5], 0
                                        ; implicit-def: $sgpr10
	s_and_saveexec_b64 s[6:7], vcc
	s_xor_b64 s[6:7], exec, s[6:7]
	s_cbranch_execnz .LBB12_4053
; %bb.2005:
	s_or_saveexec_b64 s[6:7], s[6:7]
	v_mov_b32_e32 v4, s10
	s_xor_b64 exec, exec, s[6:7]
	s_cbranch_execnz .LBB12_4056
.LBB12_2006:
	s_or_b64 exec, exec, s[6:7]
	s_and_saveexec_b64 s[6:7], s[4:5]
	s_cbranch_execz .LBB12_2008
.LBB12_2007:
	v_bfe_u32 v1, v2, 16, 3
	v_ffbh_u32_e32 v8, v1
	v_min_u32_e32 v8, 32, v8
	v_lshrrev_b32_e32 v4, 19, v2
	v_subrev_u32_e32 v9, 28, v8
	v_and_b32_e32 v4, 15, v4
	v_lshlrev_b32_sdwa v9, v9, v2 dst_sel:DWORD dst_unused:UNUSED_PAD src0_sel:DWORD src1_sel:WORD_1
	v_bfe_u32 v5, v2, 19, 4
	v_sub_u32_e32 v8, 29, v8
	v_and_b32_e32 v9, 7, v9
	v_cmp_eq_u16_e32 vcc, 0, v4
	v_cndmask_b32_e32 v1, v1, v9, vcc
	v_cndmask_b32_e32 v4, v5, v8, vcc
	v_lshlrev_b32_e32 v5, 8, v2
	v_mov_b32_e32 v8, 0x3b800000
	v_lshlrev_b32_e32 v1, 20, v1
	v_and_b32_e32 v5, 0x80000000, v5
	v_lshl_add_u32 v4, v4, 23, v8
	v_or3_b32 v4, v5, v4, v1
.LBB12_2008:
	s_or_b64 exec, exec, s[6:7]
	s_nop 0
	v_mfma_f32_16x16x4f32 a[0:3], v0, v4, a[0:3]
	s_movk_i32 s4, 0x7f
	v_cmp_gt_i16_sdwa s[6:7], v6, s4 src0_sel:BYTE_3 src1_sel:DWORD
	s_mov_b64 s[4:5], 0
                                        ; implicit-def: $sgpr10
	s_and_saveexec_b64 s[8:9], s[6:7]
	s_xor_b64 s[6:7], exec, s[8:9]
	s_cbranch_execnz .LBB12_4057
; %bb.2009:
	s_or_saveexec_b64 s[6:7], s[6:7]
	v_mov_b32_e32 v0, s10
	s_xor_b64 exec, exec, s[6:7]
	s_cbranch_execnz .LBB12_4060
.LBB12_2010:
	s_or_b64 exec, exec, s[6:7]
	s_and_saveexec_b64 s[6:7], s[4:5]
	s_cbranch_execz .LBB12_2012
.LBB12_2011:
	v_bfe_u32 v0, v6, 24, 3
	v_ffbh_u32_e32 v8, v0
	v_min_u32_e32 v8, 32, v8
	v_lshrrev_b32_e32 v4, 27, v6
	v_subrev_u32_e32 v9, 28, v8
	v_and_b32_e32 v1, 0x80000000, v6
	v_and_b32_e32 v4, 15, v4
	v_bfe_u32 v5, v6, 27, 4
	v_lshlrev_b32_sdwa v6, v9, v6 dst_sel:DWORD dst_unused:UNUSED_PAD src0_sel:DWORD src1_sel:BYTE_3
	v_sub_u32_e32 v8, 29, v8
	v_and_b32_e32 v6, 7, v6
	v_cmp_eq_u16_e32 vcc, 0, v4
	v_cndmask_b32_e32 v0, v0, v6, vcc
	v_cndmask_b32_e32 v4, v5, v8, vcc
	v_mov_b32_e32 v5, 0x3b800000
	v_lshlrev_b32_e32 v0, 20, v0
	v_lshl_add_u32 v4, v4, 23, v5
	v_or3_b32 v0, v1, v4, v0
.LBB12_2012:
	s_or_b64 exec, exec, s[6:7]
	s_movk_i32 s4, 0x7f
	v_cmp_gt_i16_sdwa s[6:7], v2, s4 src0_sel:BYTE_3 src1_sel:DWORD
	s_mov_b64 s[4:5], 0
                                        ; implicit-def: $sgpr10
	s_and_saveexec_b64 s[8:9], s[6:7]
	s_xor_b64 s[6:7], exec, s[8:9]
	s_cbranch_execnz .LBB12_4061
; %bb.2013:
	s_or_saveexec_b64 s[6:7], s[6:7]
	v_mov_b32_e32 v1, s10
	s_xor_b64 exec, exec, s[6:7]
	s_cbranch_execnz .LBB12_4064
.LBB12_2014:
	s_or_b64 exec, exec, s[6:7]
	s_and_saveexec_b64 s[6:7], s[4:5]
	s_cbranch_execz .LBB12_2016
.LBB12_2015:
	v_bfe_u32 v1, v2, 24, 3
	v_ffbh_u32_e32 v8, v1
	v_min_u32_e32 v8, 32, v8
	v_lshrrev_b32_e32 v5, 27, v2
	v_subrev_u32_e32 v9, 28, v8
	v_and_b32_e32 v4, 0x80000000, v2
	v_and_b32_e32 v5, 15, v5
	v_bfe_u32 v6, v2, 27, 4
	v_lshlrev_b32_sdwa v2, v9, v2 dst_sel:DWORD dst_unused:UNUSED_PAD src0_sel:DWORD src1_sel:BYTE_3
	v_sub_u32_e32 v8, 29, v8
	v_and_b32_e32 v2, 7, v2
	v_cmp_eq_u16_e32 vcc, 0, v5
	v_cndmask_b32_e32 v1, v1, v2, vcc
	v_cndmask_b32_e32 v2, v6, v8, vcc
	v_mov_b32_e32 v5, 0x3b800000
	v_lshlrev_b32_e32 v1, 20, v1
	v_lshl_add_u32 v2, v2, 23, v5
	v_or3_b32 v1, v4, v2, v1
.LBB12_2016:
	s_or_b64 exec, exec, s[6:7]
	s_nop 0
	v_mfma_f32_16x16x4f32 a[0:3], v0, v1, a[0:3]
	s_movk_i32 s4, 0x7f
	v_cmp_gt_i16_sdwa s[6:7], v7, s4 src0_sel:BYTE_0 src1_sel:DWORD
	s_mov_b64 s[4:5], 0
                                        ; implicit-def: $sgpr10
	s_and_saveexec_b64 s[8:9], s[6:7]
	s_xor_b64 s[6:7], exec, s[8:9]
	s_cbranch_execnz .LBB12_4065
; %bb.2017:
	s_or_saveexec_b64 s[6:7], s[6:7]
	v_mov_b32_e32 v0, s10
	s_xor_b64 exec, exec, s[6:7]
	s_cbranch_execnz .LBB12_4068
.LBB12_2018:
	s_or_b64 exec, exec, s[6:7]
	s_and_saveexec_b64 s[6:7], s[4:5]
	s_cbranch_execz .LBB12_2020
.LBB12_2019:
	v_mov_b32_e32 v0, 8
	v_and_b32_e32 v1, 7, v7
	v_lshrrev_b32_sdwa v0, v0, v7 dst_sel:BYTE_1 dst_unused:UNUSED_PAD src0_sel:DWORD src1_sel:DWORD
	v_ffbh_u32_e32 v2, v1
	v_or_b32_sdwa v0, v7, v0 dst_sel:DWORD dst_unused:UNUSED_PAD src0_sel:BYTE_0 src1_sel:DWORD
	v_min_u32_e32 v2, 32, v2
	v_lshrrev_b16_e32 v0, 3, v0
	v_subrev_u32_e32 v4, 28, v2
	v_and_b32_e32 v0, 15, v0
	v_lshlrev_b32_e32 v4, v4, v7
	v_sub_u32_e32 v2, 29, v2
	v_and_b32_e32 v4, 7, v4
	v_cmp_eq_u16_e32 vcc, 0, v0
	v_cndmask_b32_e32 v1, v1, v4, vcc
	v_cndmask_b32_e32 v0, v0, v2, vcc
	v_lshlrev_b32_e32 v2, 24, v7
	v_mov_b32_e32 v4, 0x3b800000
	v_lshlrev_b32_e32 v1, 20, v1
	v_and_b32_e32 v2, 0x80000000, v2
	v_lshl_add_u32 v0, v0, 23, v4
	v_or3_b32 v0, v2, v0, v1
.LBB12_2020:
	s_or_b64 exec, exec, s[6:7]
	s_movk_i32 s4, 0x7f
	v_cmp_gt_i16_sdwa s[6:7], v3, s4 src0_sel:BYTE_0 src1_sel:DWORD
	s_mov_b64 s[4:5], 0
                                        ; implicit-def: $sgpr10
	s_and_saveexec_b64 s[8:9], s[6:7]
	s_xor_b64 s[6:7], exec, s[8:9]
	s_cbranch_execnz .LBB12_4069
; %bb.2021:
	s_or_saveexec_b64 s[6:7], s[6:7]
	v_mov_b32_e32 v1, s10
	s_xor_b64 exec, exec, s[6:7]
	s_cbranch_execnz .LBB12_4072
.LBB12_2022:
	s_or_b64 exec, exec, s[6:7]
	s_and_saveexec_b64 s[6:7], s[4:5]
	s_cbranch_execz .LBB12_2024
.LBB12_2023:
	v_mov_b32_e32 v1, 8
	v_and_b32_e32 v2, 7, v3
	v_lshrrev_b32_sdwa v1, v1, v3 dst_sel:BYTE_1 dst_unused:UNUSED_PAD src0_sel:DWORD src1_sel:DWORD
	v_ffbh_u32_e32 v4, v2
	v_or_b32_sdwa v1, v3, v1 dst_sel:DWORD dst_unused:UNUSED_PAD src0_sel:BYTE_0 src1_sel:DWORD
	v_min_u32_e32 v4, 32, v4
	v_lshrrev_b16_e32 v1, 3, v1
	v_subrev_u32_e32 v5, 28, v4
	v_and_b32_e32 v1, 15, v1
	v_lshlrev_b32_e32 v5, v5, v3
	v_sub_u32_e32 v4, 29, v4
	v_and_b32_e32 v5, 7, v5
	v_cmp_eq_u16_e32 vcc, 0, v1
	v_cndmask_b32_e32 v2, v2, v5, vcc
	v_cndmask_b32_e32 v1, v1, v4, vcc
	v_lshlrev_b32_e32 v4, 24, v3
	v_mov_b32_e32 v5, 0x3b800000
	v_lshlrev_b32_e32 v2, 20, v2
	v_and_b32_e32 v4, 0x80000000, v4
	v_lshl_add_u32 v1, v1, 23, v5
	v_or3_b32 v1, v4, v1, v2
.LBB12_2024:
	s_or_b64 exec, exec, s[6:7]
	s_nop 0
	v_mfma_f32_16x16x4f32 a[0:3], v0, v1, a[0:3]
	v_lshrrev_b32_e32 v1, 8, v7
	s_movk_i32 s4, 0x7f
	v_cmp_gt_i16_sdwa s[6:7], v1, s4 src0_sel:BYTE_0 src1_sel:DWORD
	s_mov_b64 s[4:5], 0
                                        ; implicit-def: $sgpr10
	s_and_saveexec_b64 s[8:9], s[6:7]
	s_xor_b64 s[6:7], exec, s[8:9]
	s_cbranch_execnz .LBB12_4073
; %bb.2025:
	s_or_saveexec_b64 s[6:7], s[6:7]
	v_mov_b32_e32 v0, s10
	s_xor_b64 exec, exec, s[6:7]
	s_cbranch_execnz .LBB12_4076
.LBB12_2026:
	s_or_b64 exec, exec, s[6:7]
	s_and_saveexec_b64 s[6:7], s[4:5]
	s_cbranch_execz .LBB12_2028
.LBB12_2027:
	v_bfe_u32 v0, v7, 8, 3
	v_ffbh_u32_e32 v4, v0
	v_min_u32_e32 v4, 32, v4
	v_lshrrev_b16_e32 v2, 3, v1
	v_subrev_u32_e32 v5, 28, v4
	v_and_b32_e32 v2, 15, v2
	v_lshlrev_b32_e32 v1, v5, v1
	v_sub_u32_e32 v4, 29, v4
	v_and_b32_e32 v1, 7, v1
	v_cmp_eq_u16_e32 vcc, 0, v2
	v_cndmask_b32_e32 v0, v0, v1, vcc
	v_cndmask_b32_e32 v1, v2, v4, vcc
	v_lshlrev_b32_e32 v2, 16, v7
	v_mov_b32_e32 v4, 0x3b800000
	v_lshlrev_b32_e32 v0, 20, v0
	v_and_b32_e32 v2, 0x80000000, v2
	v_lshl_add_u32 v1, v1, 23, v4
	v_or3_b32 v0, v2, v1, v0
.LBB12_2028:
	s_or_b64 exec, exec, s[6:7]
	v_lshrrev_b32_e32 v1, 8, v3
	s_movk_i32 s4, 0x7f
	v_cmp_gt_i16_sdwa s[6:7], v1, s4 src0_sel:BYTE_0 src1_sel:DWORD
	s_mov_b64 s[4:5], 0
                                        ; implicit-def: $sgpr10
	s_and_saveexec_b64 s[8:9], s[6:7]
	s_xor_b64 s[6:7], exec, s[8:9]
	s_cbranch_execnz .LBB12_4077
; %bb.2029:
	s_or_saveexec_b64 s[6:7], s[6:7]
	v_mov_b32_e32 v2, s10
	s_xor_b64 exec, exec, s[6:7]
	s_cbranch_execnz .LBB12_4080
.LBB12_2030:
	s_or_b64 exec, exec, s[6:7]
	s_and_saveexec_b64 s[6:7], s[4:5]
	s_cbranch_execz .LBB12_2032
.LBB12_2031:
	v_bfe_u32 v2, v3, 8, 3
	v_ffbh_u32_e32 v5, v2
	v_min_u32_e32 v5, 32, v5
	v_lshrrev_b16_e32 v4, 3, v1
	v_subrev_u32_e32 v6, 28, v5
	v_and_b32_e32 v4, 15, v4
	v_lshlrev_b32_e32 v1, v6, v1
	v_sub_u32_e32 v5, 29, v5
	v_and_b32_e32 v1, 7, v1
	v_cmp_eq_u16_e32 vcc, 0, v4
	v_cndmask_b32_e32 v1, v2, v1, vcc
	v_cndmask_b32_e32 v2, v4, v5, vcc
	v_lshlrev_b32_e32 v4, 16, v3
	v_mov_b32_e32 v5, 0x3b800000
	v_lshlrev_b32_e32 v1, 20, v1
	v_and_b32_e32 v4, 0x80000000, v4
	v_lshl_add_u32 v2, v2, 23, v5
	v_or3_b32 v2, v4, v2, v1
.LBB12_2032:
	s_or_b64 exec, exec, s[6:7]
	s_nop 0
	v_mfma_f32_16x16x4f32 a[0:3], v0, v2, a[0:3]
	s_movk_i32 s4, 0xff
	v_and_b32_sdwa v1, v7, s4 dst_sel:DWORD dst_unused:UNUSED_PAD src0_sel:WORD_1 src1_sel:DWORD
	s_movk_i32 s4, 0x7f
	v_cmp_lt_i16_e32 vcc, s4, v1
	s_mov_b64 s[4:5], 0
                                        ; implicit-def: $sgpr10
	s_and_saveexec_b64 s[6:7], vcc
	s_xor_b64 s[6:7], exec, s[6:7]
	s_cbranch_execnz .LBB12_4081
; %bb.2033:
	s_or_saveexec_b64 s[6:7], s[6:7]
	v_mov_b32_e32 v0, s10
	s_xor_b64 exec, exec, s[6:7]
	s_cbranch_execnz .LBB12_4084
.LBB12_2034:
	s_or_b64 exec, exec, s[6:7]
	s_and_saveexec_b64 s[6:7], s[4:5]
	s_cbranch_execz .LBB12_2036
.LBB12_2035:
	v_bfe_u32 v0, v7, 16, 3
	v_ffbh_u32_e32 v4, v0
	v_min_u32_e32 v4, 32, v4
	v_lshrrev_b32_e32 v1, 19, v7
	v_subrev_u32_e32 v5, 28, v4
	v_and_b32_e32 v1, 15, v1
	v_lshlrev_b32_sdwa v5, v5, v7 dst_sel:DWORD dst_unused:UNUSED_PAD src0_sel:DWORD src1_sel:WORD_1
	v_bfe_u32 v2, v7, 19, 4
	v_sub_u32_e32 v4, 29, v4
	v_and_b32_e32 v5, 7, v5
	v_cmp_eq_u16_e32 vcc, 0, v1
	v_cndmask_b32_e32 v0, v0, v5, vcc
	v_cndmask_b32_e32 v1, v2, v4, vcc
	v_lshlrev_b32_e32 v2, 8, v7
	v_mov_b32_e32 v4, 0x3b800000
	v_lshlrev_b32_e32 v0, 20, v0
	v_and_b32_e32 v2, 0x80000000, v2
	v_lshl_add_u32 v1, v1, 23, v4
	v_or3_b32 v0, v2, v1, v0
.LBB12_2036:
	s_or_b64 exec, exec, s[6:7]
	s_movk_i32 s4, 0xff
	v_and_b32_sdwa v1, v3, s4 dst_sel:DWORD dst_unused:UNUSED_PAD src0_sel:WORD_1 src1_sel:DWORD
	s_movk_i32 s4, 0x7f
	v_cmp_lt_i16_e32 vcc, s4, v1
	s_mov_b64 s[4:5], 0
                                        ; implicit-def: $sgpr10
	s_and_saveexec_b64 s[6:7], vcc
	s_xor_b64 s[6:7], exec, s[6:7]
	s_cbranch_execnz .LBB12_4085
; %bb.2037:
	s_or_saveexec_b64 s[6:7], s[6:7]
	v_mov_b32_e32 v2, s10
	s_xor_b64 exec, exec, s[6:7]
	s_cbranch_execnz .LBB12_4088
.LBB12_2038:
	s_or_b64 exec, exec, s[6:7]
	s_and_saveexec_b64 s[6:7], s[4:5]
	s_cbranch_execz .LBB12_2040
.LBB12_2039:
	v_bfe_u32 v1, v3, 16, 3
	v_ffbh_u32_e32 v5, v1
	v_min_u32_e32 v5, 32, v5
	v_lshrrev_b32_e32 v2, 19, v3
	v_subrev_u32_e32 v6, 28, v5
	v_and_b32_e32 v2, 15, v2
	v_lshlrev_b32_sdwa v6, v6, v3 dst_sel:DWORD dst_unused:UNUSED_PAD src0_sel:DWORD src1_sel:WORD_1
	v_bfe_u32 v4, v3, 19, 4
	v_sub_u32_e32 v5, 29, v5
	v_and_b32_e32 v6, 7, v6
	v_cmp_eq_u16_e32 vcc, 0, v2
	v_cndmask_b32_e32 v1, v1, v6, vcc
	v_cndmask_b32_e32 v2, v4, v5, vcc
	v_lshlrev_b32_e32 v4, 8, v3
	v_mov_b32_e32 v5, 0x3b800000
	v_lshlrev_b32_e32 v1, 20, v1
	v_and_b32_e32 v4, 0x80000000, v4
	v_lshl_add_u32 v2, v2, 23, v5
	v_or3_b32 v2, v4, v2, v1
.LBB12_2040:
	s_or_b64 exec, exec, s[6:7]
	s_nop 0
	v_mfma_f32_16x16x4f32 a[0:3], v0, v2, a[0:3]
	s_movk_i32 s4, 0x7f
	v_cmp_gt_i16_sdwa s[6:7], v7, s4 src0_sel:BYTE_3 src1_sel:DWORD
	s_mov_b64 s[4:5], 0
                                        ; implicit-def: $sgpr10
	s_and_saveexec_b64 s[8:9], s[6:7]
	s_xor_b64 s[6:7], exec, s[8:9]
	s_cbranch_execnz .LBB12_4089
; %bb.2041:
	s_or_saveexec_b64 s[6:7], s[6:7]
	v_mov_b32_e32 v0, s10
	s_xor_b64 exec, exec, s[6:7]
	s_cbranch_execnz .LBB12_4092
.LBB12_2042:
	s_or_b64 exec, exec, s[6:7]
	s_and_saveexec_b64 s[6:7], s[4:5]
	s_cbranch_execz .LBB12_2044
.LBB12_2043:
	v_bfe_u32 v0, v7, 24, 3
	v_ffbh_u32_e32 v5, v0
	v_min_u32_e32 v5, 32, v5
	v_lshrrev_b32_e32 v2, 27, v7
	v_subrev_u32_e32 v6, 28, v5
	v_and_b32_e32 v2, 15, v2
	v_lshlrev_b32_sdwa v6, v6, v7 dst_sel:DWORD dst_unused:UNUSED_PAD src0_sel:DWORD src1_sel:BYTE_3
	v_bfe_u32 v4, v7, 27, 4
	v_sub_u32_e32 v5, 29, v5
	v_and_b32_e32 v6, 7, v6
	v_cmp_eq_u16_e32 vcc, 0, v2
	v_cndmask_b32_e32 v0, v0, v6, vcc
	v_cndmask_b32_e32 v2, v4, v5, vcc
	v_mov_b32_e32 v4, 0x3b800000
	v_and_b32_e32 v1, 0x80000000, v7
	v_lshlrev_b32_e32 v0, 20, v0
	v_lshl_add_u32 v2, v2, 23, v4
	v_or3_b32 v0, v1, v2, v0
.LBB12_2044:
	s_or_b64 exec, exec, s[6:7]
	s_movk_i32 s4, 0x7f
	v_cmp_gt_i16_sdwa s[6:7], v3, s4 src0_sel:BYTE_3 src1_sel:DWORD
	s_mov_b64 s[4:5], 0
                                        ; implicit-def: $sgpr10
	s_and_saveexec_b64 s[8:9], s[6:7]
	s_xor_b64 s[6:7], exec, s[8:9]
	s_cbranch_execnz .LBB12_4093
; %bb.2045:
	s_or_saveexec_b64 s[6:7], s[6:7]
	v_mov_b32_e32 v1, s10
	s_xor_b64 exec, exec, s[6:7]
	s_cbranch_execnz .LBB12_4096
.LBB12_2046:
	s_or_b64 exec, exec, s[6:7]
	s_and_saveexec_b64 s[6:7], s[4:5]
	s_cbranch_execz .LBB12_2048
.LBB12_2047:
	v_bfe_u32 v1, v3, 24, 3
	v_ffbh_u32_e32 v6, v1
	v_min_u32_e32 v6, 32, v6
	v_lshrrev_b32_e32 v4, 27, v3
	v_subrev_u32_e32 v7, 28, v6
	v_and_b32_e32 v2, 0x80000000, v3
	v_and_b32_e32 v4, 15, v4
	v_bfe_u32 v5, v3, 27, 4
	v_lshlrev_b32_sdwa v3, v7, v3 dst_sel:DWORD dst_unused:UNUSED_PAD src0_sel:DWORD src1_sel:BYTE_3
	v_sub_u32_e32 v6, 29, v6
	v_and_b32_e32 v3, 7, v3
	v_cmp_eq_u16_e32 vcc, 0, v4
	v_cndmask_b32_e32 v1, v1, v3, vcc
	v_cndmask_b32_e32 v3, v5, v6, vcc
	v_mov_b32_e32 v4, 0x3b800000
	v_lshlrev_b32_e32 v1, 20, v1
	v_lshl_add_u32 v3, v3, 23, v4
	v_or3_b32 v1, v2, v3, v1
.LBB12_2048:
	s_or_b64 exec, exec, s[6:7]
	s_nop 0
	v_mfma_f32_16x16x4f32 a[0:3], v0, v1, a[0:3]
	s_nop 7
	s_nop 2
	flat_store_dwordx4 v[16:17], a[0:3] offset:368
	s_waitcnt vmcnt(0) lgkmcnt(0)
	s_setpc_b64 s[30:31]
.LBB12_2049:
	s_movk_i32 s4, 0x80
	v_cmp_eq_u16_sdwa s[12:13], v14, s4 src0_sel:BYTE_0 src1_sel:DWORD
	s_mov_b64 s[4:5], -1
                                        ; implicit-def: $sgpr10
	s_and_saveexec_b64 s[8:9], s[12:13]
; %bb.2050:
	s_mov_b32 s10, 0x7f800001
	s_xor_b64 s[4:5], exec, -1
; %bb.2051:
	s_or_b64 exec, exec, s[8:9]
	s_and_b64 s[4:5], s[4:5], exec
	s_or_saveexec_b64 s[6:7], s[6:7]
	v_mov_b32_e32 v20, s10
	s_xor_b64 exec, exec, s[6:7]
	s_cbranch_execz .LBB12_2
.LBB12_2052:
	v_mov_b32_e32 v20, 0
	v_cmp_ne_u16_sdwa s[8:9], v14, v20 src0_sel:BYTE_0 src1_sel:DWORD
	s_andn2_b64 s[4:5], s[4:5], exec
	s_and_b64 s[8:9], s[8:9], exec
	s_or_b64 s[4:5], s[4:5], s[8:9]
	s_or_b64 exec, exec, s[6:7]
	s_and_saveexec_b64 s[6:7], s[4:5]
	s_cbranch_execnz .LBB12_3
	s_branch .LBB12_4
.LBB12_2053:
	s_movk_i32 s4, 0x80
	v_cmp_eq_u16_sdwa s[12:13], v10, s4 src0_sel:BYTE_0 src1_sel:DWORD
	s_mov_b64 s[4:5], -1
                                        ; implicit-def: $sgpr10
	s_and_saveexec_b64 s[8:9], s[12:13]
; %bb.2054:
	s_mov_b32 s10, 0x7f800001
	s_xor_b64 s[4:5], exec, -1
; %bb.2055:
	s_or_b64 exec, exec, s[8:9]
	s_and_b64 s[4:5], s[4:5], exec
	s_or_saveexec_b64 s[6:7], s[6:7]
	v_mov_b32_e32 v21, s10
	s_xor_b64 exec, exec, s[6:7]
	s_cbranch_execz .LBB12_6
.LBB12_2056:
	v_mov_b32_e32 v21, 0
	v_cmp_ne_u16_sdwa s[8:9], v10, v21 src0_sel:BYTE_0 src1_sel:DWORD
	s_andn2_b64 s[4:5], s[4:5], exec
	s_and_b64 s[8:9], s[8:9], exec
	s_or_b64 s[4:5], s[4:5], s[8:9]
	s_or_b64 exec, exec, s[6:7]
	s_and_saveexec_b64 s[6:7], s[4:5]
	s_cbranch_execnz .LBB12_7
	s_branch .LBB12_8
.LBB12_2057:
	s_movk_i32 s4, 0x80
	v_cmp_eq_u16_sdwa s[12:13], v21, s4 src0_sel:BYTE_0 src1_sel:DWORD
	s_mov_b64 s[4:5], -1
                                        ; implicit-def: $sgpr10
	s_and_saveexec_b64 s[8:9], s[12:13]
; %bb.2058:
	s_mov_b32 s10, 0x7f800001
	s_xor_b64 s[4:5], exec, -1
; %bb.2059:
	s_or_b64 exec, exec, s[8:9]
	s_and_b64 s[4:5], s[4:5], exec
	s_or_saveexec_b64 s[6:7], s[6:7]
	v_mov_b32_e32 v20, s10
	s_xor_b64 exec, exec, s[6:7]
	s_cbranch_execz .LBB12_10
.LBB12_2060:
	v_mov_b32_e32 v20, 0
	v_cmp_ne_u16_sdwa s[8:9], v21, v20 src0_sel:BYTE_0 src1_sel:DWORD
	s_andn2_b64 s[4:5], s[4:5], exec
	s_and_b64 s[8:9], s[8:9], exec
	s_or_b64 s[4:5], s[4:5], s[8:9]
	s_or_b64 exec, exec, s[6:7]
	s_and_saveexec_b64 s[6:7], s[4:5]
	s_cbranch_execnz .LBB12_11
	s_branch .LBB12_12
.LBB12_2061:
	s_movk_i32 s4, 0x80
	v_cmp_eq_u16_sdwa s[12:13], v21, s4 src0_sel:BYTE_0 src1_sel:DWORD
	s_mov_b64 s[4:5], -1
                                        ; implicit-def: $sgpr10
	s_and_saveexec_b64 s[8:9], s[12:13]
; %bb.2062:
	s_mov_b32 s10, 0x7f800001
	s_xor_b64 s[4:5], exec, -1
; %bb.2063:
	s_or_b64 exec, exec, s[8:9]
	s_and_b64 s[4:5], s[4:5], exec
	s_or_saveexec_b64 s[6:7], s[6:7]
	v_mov_b32_e32 v22, s10
	s_xor_b64 exec, exec, s[6:7]
	s_cbranch_execz .LBB12_14
.LBB12_2064:
	v_mov_b32_e32 v22, 0
	v_cmp_ne_u16_sdwa s[8:9], v21, v22 src0_sel:BYTE_0 src1_sel:DWORD
	s_andn2_b64 s[4:5], s[4:5], exec
	s_and_b64 s[8:9], s[8:9], exec
	s_or_b64 s[4:5], s[4:5], s[8:9]
	s_or_b64 exec, exec, s[6:7]
	s_and_saveexec_b64 s[6:7], s[4:5]
	s_cbranch_execnz .LBB12_15
	s_branch .LBB12_16
.LBB12_2065:
	s_movk_i32 s4, 0x80
	v_cmp_eq_u16_e32 vcc, s4, v21
	s_mov_b64 s[4:5], -1
                                        ; implicit-def: $sgpr10
	s_and_saveexec_b64 s[8:9], vcc
; %bb.2066:
	s_mov_b32 s10, 0x7f800001
	s_xor_b64 s[4:5], exec, -1
; %bb.2067:
	s_or_b64 exec, exec, s[8:9]
	s_and_b64 s[4:5], s[4:5], exec
                                        ; implicit-def: $vgpr21
	s_or_saveexec_b64 s[6:7], s[6:7]
	v_mov_b32_e32 v20, s10
	s_xor_b64 exec, exec, s[6:7]
	s_cbranch_execz .LBB12_18
.LBB12_2068:
	v_cmp_ne_u16_e32 vcc, 0, v21
	s_andn2_b64 s[4:5], s[4:5], exec
	s_and_b64 s[8:9], vcc, exec
	v_mov_b32_e32 v20, 0
	s_or_b64 s[4:5], s[4:5], s[8:9]
	s_or_b64 exec, exec, s[6:7]
	s_and_saveexec_b64 s[6:7], s[4:5]
	s_cbranch_execnz .LBB12_19
	s_branch .LBB12_20
.LBB12_2069:
	s_movk_i32 s4, 0x80
	v_cmp_eq_u16_e32 vcc, s4, v21
	s_mov_b64 s[4:5], -1
                                        ; implicit-def: $sgpr10
	s_and_saveexec_b64 s[8:9], vcc
; %bb.2070:
	s_mov_b32 s10, 0x7f800001
	s_xor_b64 s[4:5], exec, -1
; %bb.2071:
	s_or_b64 exec, exec, s[8:9]
	s_and_b64 s[4:5], s[4:5], exec
                                        ; implicit-def: $vgpr21
	s_or_saveexec_b64 s[6:7], s[6:7]
	v_mov_b32_e32 v22, s10
	s_xor_b64 exec, exec, s[6:7]
	s_cbranch_execz .LBB12_22
.LBB12_2072:
	v_cmp_ne_u16_e32 vcc, 0, v21
	s_andn2_b64 s[4:5], s[4:5], exec
	s_and_b64 s[8:9], vcc, exec
	v_mov_b32_e32 v22, 0
	s_or_b64 s[4:5], s[4:5], s[8:9]
	s_or_b64 exec, exec, s[6:7]
	s_and_saveexec_b64 s[6:7], s[4:5]
	s_cbranch_execnz .LBB12_23
	s_branch .LBB12_24
.LBB12_2073:
	s_movk_i32 s4, 0x80
	v_cmp_eq_u16_sdwa s[12:13], v14, s4 src0_sel:BYTE_3 src1_sel:DWORD
	s_mov_b64 s[4:5], -1
                                        ; implicit-def: $sgpr10
	s_and_saveexec_b64 s[8:9], s[12:13]
; %bb.2074:
	s_mov_b32 s10, 0x7f800001
	s_xor_b64 s[4:5], exec, -1
; %bb.2075:
	s_or_b64 exec, exec, s[8:9]
	s_and_b64 s[4:5], s[4:5], exec
	s_or_saveexec_b64 s[6:7], s[6:7]
	v_mov_b32_e32 v20, s10
	s_xor_b64 exec, exec, s[6:7]
	s_cbranch_execz .LBB12_26
.LBB12_2076:
	v_mov_b32_e32 v20, 0
	v_cmp_ne_u16_sdwa s[8:9], v14, v20 src0_sel:BYTE_3 src1_sel:DWORD
	s_andn2_b64 s[4:5], s[4:5], exec
	s_and_b64 s[8:9], s[8:9], exec
	s_or_b64 s[4:5], s[4:5], s[8:9]
	s_or_b64 exec, exec, s[6:7]
	s_and_saveexec_b64 s[6:7], s[4:5]
	s_cbranch_execnz .LBB12_27
	s_branch .LBB12_28
.LBB12_2077:
	s_movk_i32 s4, 0x80
	v_cmp_eq_u16_sdwa s[12:13], v10, s4 src0_sel:BYTE_3 src1_sel:DWORD
	s_mov_b64 s[4:5], -1
                                        ; implicit-def: $sgpr10
	s_and_saveexec_b64 s[8:9], s[12:13]
; %bb.2078:
	s_mov_b32 s10, 0x7f800001
	s_xor_b64 s[4:5], exec, -1
; %bb.2079:
	s_or_b64 exec, exec, s[8:9]
	s_and_b64 s[4:5], s[4:5], exec
	s_or_saveexec_b64 s[6:7], s[6:7]
	v_mov_b32_e32 v14, s10
	s_xor_b64 exec, exec, s[6:7]
	s_cbranch_execz .LBB12_30
.LBB12_2080:
	v_mov_b32_e32 v14, 0
	v_cmp_ne_u16_sdwa s[8:9], v10, v14 src0_sel:BYTE_3 src1_sel:DWORD
	s_andn2_b64 s[4:5], s[4:5], exec
	s_and_b64 s[8:9], s[8:9], exec
	s_or_b64 s[4:5], s[4:5], s[8:9]
	s_or_b64 exec, exec, s[6:7]
	s_and_saveexec_b64 s[6:7], s[4:5]
	s_cbranch_execnz .LBB12_31
	s_branch .LBB12_32
.LBB12_2081:
	s_movk_i32 s4, 0x80
	v_cmp_eq_u16_sdwa s[12:13], v15, s4 src0_sel:BYTE_0 src1_sel:DWORD
	s_mov_b64 s[4:5], -1
                                        ; implicit-def: $sgpr10
	s_and_saveexec_b64 s[8:9], s[12:13]
; %bb.2082:
	s_mov_b32 s10, 0x7f800001
	s_xor_b64 s[4:5], exec, -1
; %bb.2083:
	s_or_b64 exec, exec, s[8:9]
	s_and_b64 s[4:5], s[4:5], exec
	s_or_saveexec_b64 s[6:7], s[6:7]
	v_mov_b32_e32 v10, s10
	s_xor_b64 exec, exec, s[6:7]
	s_cbranch_execz .LBB12_34
.LBB12_2084:
	v_mov_b32_e32 v10, 0
	v_cmp_ne_u16_sdwa s[8:9], v15, v10 src0_sel:BYTE_0 src1_sel:DWORD
	s_andn2_b64 s[4:5], s[4:5], exec
	s_and_b64 s[8:9], s[8:9], exec
	s_or_b64 s[4:5], s[4:5], s[8:9]
	s_or_b64 exec, exec, s[6:7]
	s_and_saveexec_b64 s[6:7], s[4:5]
	s_cbranch_execnz .LBB12_35
	s_branch .LBB12_36
.LBB12_2085:
	s_movk_i32 s4, 0x80
	v_cmp_eq_u16_sdwa s[12:13], v11, s4 src0_sel:BYTE_0 src1_sel:DWORD
	s_mov_b64 s[4:5], -1
                                        ; implicit-def: $sgpr10
	s_and_saveexec_b64 s[8:9], s[12:13]
; %bb.2086:
	s_mov_b32 s10, 0x7f800001
	s_xor_b64 s[4:5], exec, -1
; %bb.2087:
	s_or_b64 exec, exec, s[8:9]
	s_and_b64 s[4:5], s[4:5], exec
	s_or_saveexec_b64 s[6:7], s[6:7]
	v_mov_b32_e32 v14, s10
	s_xor_b64 exec, exec, s[6:7]
	s_cbranch_execz .LBB12_38
.LBB12_2088:
	v_mov_b32_e32 v14, 0
	v_cmp_ne_u16_sdwa s[8:9], v11, v14 src0_sel:BYTE_0 src1_sel:DWORD
	s_andn2_b64 s[4:5], s[4:5], exec
	s_and_b64 s[8:9], s[8:9], exec
	s_or_b64 s[4:5], s[4:5], s[8:9]
	s_or_b64 exec, exec, s[6:7]
	s_and_saveexec_b64 s[6:7], s[4:5]
	s_cbranch_execnz .LBB12_39
	s_branch .LBB12_40
.LBB12_2089:
	s_movk_i32 s4, 0x80
	v_cmp_eq_u16_sdwa s[12:13], v14, s4 src0_sel:BYTE_0 src1_sel:DWORD
	s_mov_b64 s[4:5], -1
                                        ; implicit-def: $sgpr10
	s_and_saveexec_b64 s[8:9], s[12:13]
; %bb.2090:
	s_mov_b32 s10, 0x7f800001
	s_xor_b64 s[4:5], exec, -1
; %bb.2091:
	s_or_b64 exec, exec, s[8:9]
	s_and_b64 s[4:5], s[4:5], exec
	s_or_saveexec_b64 s[6:7], s[6:7]
	v_mov_b32_e32 v10, s10
	s_xor_b64 exec, exec, s[6:7]
	s_cbranch_execz .LBB12_42
.LBB12_2092:
	v_mov_b32_e32 v10, 0
	v_cmp_ne_u16_sdwa s[8:9], v14, v10 src0_sel:BYTE_0 src1_sel:DWORD
	s_andn2_b64 s[4:5], s[4:5], exec
	s_and_b64 s[8:9], s[8:9], exec
	s_or_b64 s[4:5], s[4:5], s[8:9]
	s_or_b64 exec, exec, s[6:7]
	s_and_saveexec_b64 s[6:7], s[4:5]
	s_cbranch_execnz .LBB12_43
	s_branch .LBB12_44
.LBB12_2093:
	s_movk_i32 s4, 0x80
	v_cmp_eq_u16_sdwa s[12:13], v14, s4 src0_sel:BYTE_0 src1_sel:DWORD
	s_mov_b64 s[4:5], -1
                                        ; implicit-def: $sgpr10
	s_and_saveexec_b64 s[8:9], s[12:13]
; %bb.2094:
	s_mov_b32 s10, 0x7f800001
	s_xor_b64 s[4:5], exec, -1
; %bb.2095:
	s_or_b64 exec, exec, s[8:9]
	s_and_b64 s[4:5], s[4:5], exec
	s_or_saveexec_b64 s[6:7], s[6:7]
	v_mov_b32_e32 v20, s10
	s_xor_b64 exec, exec, s[6:7]
	s_cbranch_execz .LBB12_46
.LBB12_2096:
	v_mov_b32_e32 v20, 0
	v_cmp_ne_u16_sdwa s[8:9], v14, v20 src0_sel:BYTE_0 src1_sel:DWORD
	s_andn2_b64 s[4:5], s[4:5], exec
	s_and_b64 s[8:9], s[8:9], exec
	s_or_b64 s[4:5], s[4:5], s[8:9]
	s_or_b64 exec, exec, s[6:7]
	s_and_saveexec_b64 s[6:7], s[4:5]
	s_cbranch_execnz .LBB12_47
	s_branch .LBB12_48
.LBB12_2097:
	s_movk_i32 s4, 0x80
	v_cmp_eq_u16_e32 vcc, s4, v14
	s_mov_b64 s[4:5], -1
                                        ; implicit-def: $sgpr10
	s_and_saveexec_b64 s[8:9], vcc
; %bb.2098:
	s_mov_b32 s10, 0x7f800001
	s_xor_b64 s[4:5], exec, -1
; %bb.2099:
	s_or_b64 exec, exec, s[8:9]
	s_and_b64 s[4:5], s[4:5], exec
                                        ; implicit-def: $vgpr14
	s_or_saveexec_b64 s[6:7], s[6:7]
	v_mov_b32_e32 v10, s10
	s_xor_b64 exec, exec, s[6:7]
	s_cbranch_execz .LBB12_50
.LBB12_2100:
	v_cmp_ne_u16_e32 vcc, 0, v14
	s_andn2_b64 s[4:5], s[4:5], exec
	s_and_b64 s[8:9], vcc, exec
	v_mov_b32_e32 v10, 0
	s_or_b64 s[4:5], s[4:5], s[8:9]
	s_or_b64 exec, exec, s[6:7]
	s_and_saveexec_b64 s[6:7], s[4:5]
	s_cbranch_execnz .LBB12_51
	s_branch .LBB12_52
.LBB12_2101:
	s_movk_i32 s4, 0x80
	v_cmp_eq_u16_e32 vcc, s4, v14
	s_mov_b64 s[4:5], -1
                                        ; implicit-def: $sgpr10
	s_and_saveexec_b64 s[8:9], vcc
; %bb.2102:
	s_mov_b32 s10, 0x7f800001
	s_xor_b64 s[4:5], exec, -1
; %bb.2103:
	s_or_b64 exec, exec, s[8:9]
	s_and_b64 s[4:5], s[4:5], exec
                                        ; implicit-def: $vgpr14
	s_or_saveexec_b64 s[6:7], s[6:7]
	v_mov_b32_e32 v20, s10
	s_xor_b64 exec, exec, s[6:7]
	s_cbranch_execz .LBB12_54
.LBB12_2104:
	v_cmp_ne_u16_e32 vcc, 0, v14
	s_andn2_b64 s[4:5], s[4:5], exec
	s_and_b64 s[8:9], vcc, exec
	v_mov_b32_e32 v20, 0
	s_or_b64 s[4:5], s[4:5], s[8:9]
	s_or_b64 exec, exec, s[6:7]
	s_and_saveexec_b64 s[6:7], s[4:5]
	s_cbranch_execnz .LBB12_55
	s_branch .LBB12_56
.LBB12_2105:
	s_movk_i32 s4, 0x80
	v_cmp_eq_u16_sdwa s[12:13], v15, s4 src0_sel:BYTE_3 src1_sel:DWORD
	s_mov_b64 s[4:5], -1
                                        ; implicit-def: $sgpr10
	s_and_saveexec_b64 s[8:9], s[12:13]
; %bb.2106:
	s_mov_b32 s10, 0x7f800001
	s_xor_b64 s[4:5], exec, -1
; %bb.2107:
	s_or_b64 exec, exec, s[8:9]
	s_and_b64 s[4:5], s[4:5], exec
	s_or_saveexec_b64 s[6:7], s[6:7]
	v_mov_b32_e32 v10, s10
	s_xor_b64 exec, exec, s[6:7]
	s_cbranch_execz .LBB12_58
.LBB12_2108:
	v_mov_b32_e32 v10, 0
	v_cmp_ne_u16_sdwa s[8:9], v15, v10 src0_sel:BYTE_3 src1_sel:DWORD
	s_andn2_b64 s[4:5], s[4:5], exec
	s_and_b64 s[8:9], s[8:9], exec
	s_or_b64 s[4:5], s[4:5], s[8:9]
	s_or_b64 exec, exec, s[6:7]
	s_and_saveexec_b64 s[6:7], s[4:5]
	s_cbranch_execnz .LBB12_59
	s_branch .LBB12_60
.LBB12_2109:
	s_movk_i32 s4, 0x80
	v_cmp_eq_u16_sdwa s[12:13], v11, s4 src0_sel:BYTE_3 src1_sel:DWORD
	s_mov_b64 s[4:5], -1
                                        ; implicit-def: $sgpr10
	s_and_saveexec_b64 s[8:9], s[12:13]
; %bb.2110:
	s_mov_b32 s10, 0x7f800001
	s_xor_b64 s[4:5], exec, -1
; %bb.2111:
	s_or_b64 exec, exec, s[8:9]
	s_and_b64 s[4:5], s[4:5], exec
	s_or_saveexec_b64 s[6:7], s[6:7]
	v_mov_b32_e32 v14, s10
	s_xor_b64 exec, exec, s[6:7]
	s_cbranch_execz .LBB12_62
.LBB12_2112:
	v_mov_b32_e32 v14, 0
	v_cmp_ne_u16_sdwa s[8:9], v11, v14 src0_sel:BYTE_3 src1_sel:DWORD
	s_andn2_b64 s[4:5], s[4:5], exec
	s_and_b64 s[8:9], s[8:9], exec
	s_or_b64 s[4:5], s[4:5], s[8:9]
	s_or_b64 exec, exec, s[6:7]
	s_and_saveexec_b64 s[6:7], s[4:5]
	s_cbranch_execnz .LBB12_63
	s_branch .LBB12_64
.LBB12_2113:
	s_movk_i32 s4, 0x80
	v_cmp_eq_u16_sdwa s[12:13], v16, s4 src0_sel:BYTE_0 src1_sel:DWORD
	s_mov_b64 s[4:5], -1
                                        ; implicit-def: $sgpr10
	s_and_saveexec_b64 s[8:9], s[12:13]
; %bb.2114:
	s_mov_b32 s10, 0x7f800001
	s_xor_b64 s[4:5], exec, -1
; %bb.2115:
	s_or_b64 exec, exec, s[8:9]
	s_and_b64 s[4:5], s[4:5], exec
	s_or_saveexec_b64 s[6:7], s[6:7]
	v_mov_b32_e32 v10, s10
	s_xor_b64 exec, exec, s[6:7]
	s_cbranch_execz .LBB12_66
.LBB12_2116:
	v_mov_b32_e32 v10, 0
	v_cmp_ne_u16_sdwa s[8:9], v16, v10 src0_sel:BYTE_0 src1_sel:DWORD
	s_andn2_b64 s[4:5], s[4:5], exec
	s_and_b64 s[8:9], s[8:9], exec
	s_or_b64 s[4:5], s[4:5], s[8:9]
	s_or_b64 exec, exec, s[6:7]
	s_and_saveexec_b64 s[6:7], s[4:5]
	s_cbranch_execnz .LBB12_67
	s_branch .LBB12_68
.LBB12_2117:
	s_movk_i32 s4, 0x80
	v_cmp_eq_u16_sdwa s[12:13], v12, s4 src0_sel:BYTE_0 src1_sel:DWORD
	s_mov_b64 s[4:5], -1
                                        ; implicit-def: $sgpr10
	s_and_saveexec_b64 s[8:9], s[12:13]
; %bb.2118:
	s_mov_b32 s10, 0x7f800001
	s_xor_b64 s[4:5], exec, -1
; %bb.2119:
	s_or_b64 exec, exec, s[8:9]
	s_and_b64 s[4:5], s[4:5], exec
	s_or_saveexec_b64 s[6:7], s[6:7]
	v_mov_b32_e32 v11, s10
	s_xor_b64 exec, exec, s[6:7]
	s_cbranch_execz .LBB12_70
.LBB12_2120:
	v_mov_b32_e32 v11, 0
	v_cmp_ne_u16_sdwa s[8:9], v12, v11 src0_sel:BYTE_0 src1_sel:DWORD
	s_andn2_b64 s[4:5], s[4:5], exec
	s_and_b64 s[8:9], s[8:9], exec
	s_or_b64 s[4:5], s[4:5], s[8:9]
	s_or_b64 exec, exec, s[6:7]
	s_and_saveexec_b64 s[6:7], s[4:5]
	s_cbranch_execnz .LBB12_71
	s_branch .LBB12_72
.LBB12_2121:
	s_movk_i32 s4, 0x80
	v_cmp_eq_u16_sdwa s[12:13], v11, s4 src0_sel:BYTE_0 src1_sel:DWORD
	s_mov_b64 s[4:5], -1
                                        ; implicit-def: $sgpr10
	s_and_saveexec_b64 s[8:9], s[12:13]
; %bb.2122:
	s_mov_b32 s10, 0x7f800001
	s_xor_b64 s[4:5], exec, -1
; %bb.2123:
	s_or_b64 exec, exec, s[8:9]
	s_and_b64 s[4:5], s[4:5], exec
	s_or_saveexec_b64 s[6:7], s[6:7]
	v_mov_b32_e32 v10, s10
	s_xor_b64 exec, exec, s[6:7]
	s_cbranch_execz .LBB12_74
.LBB12_2124:
	v_mov_b32_e32 v10, 0
	v_cmp_ne_u16_sdwa s[8:9], v11, v10 src0_sel:BYTE_0 src1_sel:DWORD
	s_andn2_b64 s[4:5], s[4:5], exec
	s_and_b64 s[8:9], s[8:9], exec
	s_or_b64 s[4:5], s[4:5], s[8:9]
	s_or_b64 exec, exec, s[6:7]
	s_and_saveexec_b64 s[6:7], s[4:5]
	s_cbranch_execnz .LBB12_75
	s_branch .LBB12_76
.LBB12_2125:
	s_movk_i32 s4, 0x80
	v_cmp_eq_u16_sdwa s[12:13], v11, s4 src0_sel:BYTE_0 src1_sel:DWORD
	s_mov_b64 s[4:5], -1
                                        ; implicit-def: $sgpr10
	s_and_saveexec_b64 s[8:9], s[12:13]
; %bb.2126:
	s_mov_b32 s10, 0x7f800001
	s_xor_b64 s[4:5], exec, -1
; %bb.2127:
	s_or_b64 exec, exec, s[8:9]
	s_and_b64 s[4:5], s[4:5], exec
	s_or_saveexec_b64 s[6:7], s[6:7]
	v_mov_b32_e32 v14, s10
	s_xor_b64 exec, exec, s[6:7]
	s_cbranch_execz .LBB12_78
.LBB12_2128:
	v_mov_b32_e32 v14, 0
	v_cmp_ne_u16_sdwa s[8:9], v11, v14 src0_sel:BYTE_0 src1_sel:DWORD
	s_andn2_b64 s[4:5], s[4:5], exec
	s_and_b64 s[8:9], s[8:9], exec
	s_or_b64 s[4:5], s[4:5], s[8:9]
	s_or_b64 exec, exec, s[6:7]
	s_and_saveexec_b64 s[6:7], s[4:5]
	s_cbranch_execnz .LBB12_79
	s_branch .LBB12_80
.LBB12_2129:
	s_movk_i32 s4, 0x80
	v_cmp_eq_u16_e32 vcc, s4, v11
	s_mov_b64 s[4:5], -1
                                        ; implicit-def: $sgpr10
	s_and_saveexec_b64 s[8:9], vcc
; %bb.2130:
	s_mov_b32 s10, 0x7f800001
	s_xor_b64 s[4:5], exec, -1
; %bb.2131:
	s_or_b64 exec, exec, s[8:9]
	s_and_b64 s[4:5], s[4:5], exec
                                        ; implicit-def: $vgpr11
	s_or_saveexec_b64 s[6:7], s[6:7]
	v_mov_b32_e32 v10, s10
	s_xor_b64 exec, exec, s[6:7]
	s_cbranch_execz .LBB12_82
.LBB12_2132:
	v_cmp_ne_u16_e32 vcc, 0, v11
	s_andn2_b64 s[4:5], s[4:5], exec
	s_and_b64 s[8:9], vcc, exec
	v_mov_b32_e32 v10, 0
	s_or_b64 s[4:5], s[4:5], s[8:9]
	s_or_b64 exec, exec, s[6:7]
	s_and_saveexec_b64 s[6:7], s[4:5]
	s_cbranch_execnz .LBB12_83
	s_branch .LBB12_84
.LBB12_2133:
	s_movk_i32 s4, 0x80
	v_cmp_eq_u16_e32 vcc, s4, v11
	s_mov_b64 s[4:5], -1
                                        ; implicit-def: $sgpr10
	s_and_saveexec_b64 s[8:9], vcc
; %bb.2134:
	s_mov_b32 s10, 0x7f800001
	s_xor_b64 s[4:5], exec, -1
; %bb.2135:
	s_or_b64 exec, exec, s[8:9]
	s_and_b64 s[4:5], s[4:5], exec
                                        ; implicit-def: $vgpr11
	s_or_saveexec_b64 s[6:7], s[6:7]
	v_mov_b32_e32 v14, s10
	s_xor_b64 exec, exec, s[6:7]
	s_cbranch_execz .LBB12_86
.LBB12_2136:
	v_cmp_ne_u16_e32 vcc, 0, v11
	s_andn2_b64 s[4:5], s[4:5], exec
	s_and_b64 s[8:9], vcc, exec
	v_mov_b32_e32 v14, 0
	s_or_b64 s[4:5], s[4:5], s[8:9]
	s_or_b64 exec, exec, s[6:7]
	s_and_saveexec_b64 s[6:7], s[4:5]
	s_cbranch_execnz .LBB12_87
	s_branch .LBB12_88
.LBB12_2137:
	s_movk_i32 s4, 0x80
	v_cmp_eq_u16_sdwa s[12:13], v16, s4 src0_sel:BYTE_3 src1_sel:DWORD
	s_mov_b64 s[4:5], -1
                                        ; implicit-def: $sgpr10
	s_and_saveexec_b64 s[8:9], s[12:13]
; %bb.2138:
	s_mov_b32 s10, 0x7f800001
	s_xor_b64 s[4:5], exec, -1
; %bb.2139:
	s_or_b64 exec, exec, s[8:9]
	s_and_b64 s[4:5], s[4:5], exec
	s_or_saveexec_b64 s[6:7], s[6:7]
	v_mov_b32_e32 v10, s10
	s_xor_b64 exec, exec, s[6:7]
	s_cbranch_execz .LBB12_90
.LBB12_2140:
	v_mov_b32_e32 v10, 0
	v_cmp_ne_u16_sdwa s[8:9], v16, v10 src0_sel:BYTE_3 src1_sel:DWORD
	s_andn2_b64 s[4:5], s[4:5], exec
	s_and_b64 s[8:9], s[8:9], exec
	s_or_b64 s[4:5], s[4:5], s[8:9]
	s_or_b64 exec, exec, s[6:7]
	s_and_saveexec_b64 s[6:7], s[4:5]
	s_cbranch_execnz .LBB12_91
	s_branch .LBB12_92
.LBB12_2141:
	s_movk_i32 s4, 0x80
	v_cmp_eq_u16_sdwa s[12:13], v12, s4 src0_sel:BYTE_3 src1_sel:DWORD
	s_mov_b64 s[4:5], -1
                                        ; implicit-def: $sgpr10
	s_and_saveexec_b64 s[8:9], s[12:13]
; %bb.2142:
	s_mov_b32 s10, 0x7f800001
	s_xor_b64 s[4:5], exec, -1
; %bb.2143:
	s_or_b64 exec, exec, s[8:9]
	s_and_b64 s[4:5], s[4:5], exec
	s_or_saveexec_b64 s[6:7], s[6:7]
	v_mov_b32_e32 v11, s10
	s_xor_b64 exec, exec, s[6:7]
	s_cbranch_execz .LBB12_94
.LBB12_2144:
	v_mov_b32_e32 v11, 0
	v_cmp_ne_u16_sdwa s[8:9], v12, v11 src0_sel:BYTE_3 src1_sel:DWORD
	s_andn2_b64 s[4:5], s[4:5], exec
	s_and_b64 s[8:9], s[8:9], exec
	s_or_b64 s[4:5], s[4:5], s[8:9]
	s_or_b64 exec, exec, s[6:7]
	s_and_saveexec_b64 s[6:7], s[4:5]
	s_cbranch_execnz .LBB12_95
	s_branch .LBB12_96
.LBB12_2145:
	s_movk_i32 s4, 0x80
	v_cmp_eq_u16_sdwa s[12:13], v17, s4 src0_sel:BYTE_0 src1_sel:DWORD
	s_mov_b64 s[4:5], -1
                                        ; implicit-def: $sgpr10
	s_and_saveexec_b64 s[8:9], s[12:13]
; %bb.2146:
	s_mov_b32 s10, 0x7f800001
	s_xor_b64 s[4:5], exec, -1
; %bb.2147:
	s_or_b64 exec, exec, s[8:9]
	s_and_b64 s[4:5], s[4:5], exec
	s_or_saveexec_b64 s[6:7], s[6:7]
	v_mov_b32_e32 v10, s10
	s_xor_b64 exec, exec, s[6:7]
	s_cbranch_execz .LBB12_98
.LBB12_2148:
	v_mov_b32_e32 v10, 0
	v_cmp_ne_u16_sdwa s[8:9], v17, v10 src0_sel:BYTE_0 src1_sel:DWORD
	s_andn2_b64 s[4:5], s[4:5], exec
	s_and_b64 s[8:9], s[8:9], exec
	s_or_b64 s[4:5], s[4:5], s[8:9]
	s_or_b64 exec, exec, s[6:7]
	s_and_saveexec_b64 s[6:7], s[4:5]
	s_cbranch_execnz .LBB12_99
	s_branch .LBB12_100
.LBB12_2149:
	s_movk_i32 s4, 0x80
	v_cmp_eq_u16_sdwa s[12:13], v13, s4 src0_sel:BYTE_0 src1_sel:DWORD
	s_mov_b64 s[4:5], -1
                                        ; implicit-def: $sgpr10
	s_and_saveexec_b64 s[8:9], s[12:13]
; %bb.2150:
	s_mov_b32 s10, 0x7f800001
	s_xor_b64 s[4:5], exec, -1
; %bb.2151:
	s_or_b64 exec, exec, s[8:9]
	s_and_b64 s[4:5], s[4:5], exec
	s_or_saveexec_b64 s[6:7], s[6:7]
	v_mov_b32_e32 v11, s10
	s_xor_b64 exec, exec, s[6:7]
	s_cbranch_execz .LBB12_102
.LBB12_2152:
	v_mov_b32_e32 v11, 0
	v_cmp_ne_u16_sdwa s[8:9], v13, v11 src0_sel:BYTE_0 src1_sel:DWORD
	s_andn2_b64 s[4:5], s[4:5], exec
	s_and_b64 s[8:9], s[8:9], exec
	s_or_b64 s[4:5], s[4:5], s[8:9]
	s_or_b64 exec, exec, s[6:7]
	s_and_saveexec_b64 s[6:7], s[4:5]
	s_cbranch_execnz .LBB12_103
	s_branch .LBB12_104
.LBB12_2153:
	s_movk_i32 s4, 0x80
	v_cmp_eq_u16_sdwa s[12:13], v11, s4 src0_sel:BYTE_0 src1_sel:DWORD
	s_mov_b64 s[4:5], -1
                                        ; implicit-def: $sgpr10
	s_and_saveexec_b64 s[8:9], s[12:13]
; %bb.2154:
	s_mov_b32 s10, 0x7f800001
	s_xor_b64 s[4:5], exec, -1
; %bb.2155:
	s_or_b64 exec, exec, s[8:9]
	s_and_b64 s[4:5], s[4:5], exec
	s_or_saveexec_b64 s[6:7], s[6:7]
	v_mov_b32_e32 v10, s10
	s_xor_b64 exec, exec, s[6:7]
	s_cbranch_execz .LBB12_106
.LBB12_2156:
	v_mov_b32_e32 v10, 0
	v_cmp_ne_u16_sdwa s[8:9], v11, v10 src0_sel:BYTE_0 src1_sel:DWORD
	s_andn2_b64 s[4:5], s[4:5], exec
	s_and_b64 s[8:9], s[8:9], exec
	s_or_b64 s[4:5], s[4:5], s[8:9]
	s_or_b64 exec, exec, s[6:7]
	s_and_saveexec_b64 s[6:7], s[4:5]
	s_cbranch_execnz .LBB12_107
	s_branch .LBB12_108
.LBB12_2157:
	s_movk_i32 s4, 0x80
	v_cmp_eq_u16_sdwa s[12:13], v11, s4 src0_sel:BYTE_0 src1_sel:DWORD
	s_mov_b64 s[4:5], -1
                                        ; implicit-def: $sgpr10
	s_and_saveexec_b64 s[8:9], s[12:13]
; %bb.2158:
	s_mov_b32 s10, 0x7f800001
	s_xor_b64 s[4:5], exec, -1
; %bb.2159:
	s_or_b64 exec, exec, s[8:9]
	s_and_b64 s[4:5], s[4:5], exec
	s_or_saveexec_b64 s[6:7], s[6:7]
	v_mov_b32_e32 v12, s10
	s_xor_b64 exec, exec, s[6:7]
	s_cbranch_execz .LBB12_110
.LBB12_2160:
	v_mov_b32_e32 v12, 0
	v_cmp_ne_u16_sdwa s[8:9], v11, v12 src0_sel:BYTE_0 src1_sel:DWORD
	s_andn2_b64 s[4:5], s[4:5], exec
	s_and_b64 s[8:9], s[8:9], exec
	s_or_b64 s[4:5], s[4:5], s[8:9]
	s_or_b64 exec, exec, s[6:7]
	s_and_saveexec_b64 s[6:7], s[4:5]
	s_cbranch_execnz .LBB12_111
	s_branch .LBB12_112
.LBB12_2161:
	s_movk_i32 s4, 0x80
	v_cmp_eq_u16_e32 vcc, s4, v11
	s_mov_b64 s[4:5], -1
                                        ; implicit-def: $sgpr10
	s_and_saveexec_b64 s[8:9], vcc
; %bb.2162:
	s_mov_b32 s10, 0x7f800001
	s_xor_b64 s[4:5], exec, -1
; %bb.2163:
	s_or_b64 exec, exec, s[8:9]
	s_and_b64 s[4:5], s[4:5], exec
                                        ; implicit-def: $vgpr11
	s_or_saveexec_b64 s[6:7], s[6:7]
	v_mov_b32_e32 v10, s10
	s_xor_b64 exec, exec, s[6:7]
	s_cbranch_execz .LBB12_114
.LBB12_2164:
	v_cmp_ne_u16_e32 vcc, 0, v11
	s_andn2_b64 s[4:5], s[4:5], exec
	s_and_b64 s[8:9], vcc, exec
	v_mov_b32_e32 v10, 0
	s_or_b64 s[4:5], s[4:5], s[8:9]
	s_or_b64 exec, exec, s[6:7]
	s_and_saveexec_b64 s[6:7], s[4:5]
	s_cbranch_execnz .LBB12_115
	s_branch .LBB12_116
.LBB12_2165:
	s_movk_i32 s4, 0x80
	v_cmp_eq_u16_e32 vcc, s4, v11
	s_mov_b64 s[4:5], -1
                                        ; implicit-def: $sgpr10
	s_and_saveexec_b64 s[8:9], vcc
; %bb.2166:
	s_mov_b32 s10, 0x7f800001
	s_xor_b64 s[4:5], exec, -1
; %bb.2167:
	s_or_b64 exec, exec, s[8:9]
	s_and_b64 s[4:5], s[4:5], exec
                                        ; implicit-def: $vgpr11
	s_or_saveexec_b64 s[6:7], s[6:7]
	v_mov_b32_e32 v12, s10
	s_xor_b64 exec, exec, s[6:7]
	s_cbranch_execz .LBB12_118
.LBB12_2168:
	v_cmp_ne_u16_e32 vcc, 0, v11
	s_andn2_b64 s[4:5], s[4:5], exec
	s_and_b64 s[8:9], vcc, exec
	v_mov_b32_e32 v12, 0
	s_or_b64 s[4:5], s[4:5], s[8:9]
	s_or_b64 exec, exec, s[6:7]
	s_and_saveexec_b64 s[6:7], s[4:5]
	s_cbranch_execnz .LBB12_119
	s_branch .LBB12_120
.LBB12_2169:
	s_movk_i32 s4, 0x80
	v_cmp_eq_u16_sdwa s[12:13], v17, s4 src0_sel:BYTE_3 src1_sel:DWORD
	s_mov_b64 s[4:5], -1
                                        ; implicit-def: $sgpr10
	s_and_saveexec_b64 s[8:9], s[12:13]
; %bb.2170:
	s_mov_b32 s10, 0x7f800001
	s_xor_b64 s[4:5], exec, -1
; %bb.2171:
	s_or_b64 exec, exec, s[8:9]
	s_and_b64 s[4:5], s[4:5], exec
	s_or_saveexec_b64 s[6:7], s[6:7]
	v_mov_b32_e32 v10, s10
	s_xor_b64 exec, exec, s[6:7]
	s_cbranch_execz .LBB12_122
.LBB12_2172:
	v_mov_b32_e32 v10, 0
	v_cmp_ne_u16_sdwa s[8:9], v17, v10 src0_sel:BYTE_3 src1_sel:DWORD
	s_andn2_b64 s[4:5], s[4:5], exec
	s_and_b64 s[8:9], s[8:9], exec
	s_or_b64 s[4:5], s[4:5], s[8:9]
	s_or_b64 exec, exec, s[6:7]
	s_and_saveexec_b64 s[6:7], s[4:5]
	s_cbranch_execnz .LBB12_123
	s_branch .LBB12_124
.LBB12_2173:
	s_movk_i32 s4, 0x80
	v_cmp_eq_u16_sdwa s[12:13], v13, s4 src0_sel:BYTE_3 src1_sel:DWORD
	s_mov_b64 s[4:5], -1
                                        ; implicit-def: $sgpr10
	s_and_saveexec_b64 s[8:9], s[12:13]
; %bb.2174:
	s_mov_b32 s10, 0x7f800001
	s_xor_b64 s[4:5], exec, -1
; %bb.2175:
	s_or_b64 exec, exec, s[8:9]
	s_and_b64 s[4:5], s[4:5], exec
	s_or_saveexec_b64 s[6:7], s[6:7]
	v_mov_b32_e32 v11, s10
	s_xor_b64 exec, exec, s[6:7]
	s_cbranch_execz .LBB12_126
.LBB12_2176:
	v_mov_b32_e32 v11, 0
	v_cmp_ne_u16_sdwa s[8:9], v13, v11 src0_sel:BYTE_3 src1_sel:DWORD
	s_andn2_b64 s[4:5], s[4:5], exec
	s_and_b64 s[8:9], s[8:9], exec
	s_or_b64 s[4:5], s[4:5], s[8:9]
	s_or_b64 exec, exec, s[6:7]
	s_and_saveexec_b64 s[6:7], s[4:5]
	s_cbranch_execnz .LBB12_127
	s_branch .LBB12_128
.LBB12_2177:
	s_movk_i32 s4, 0x80
	v_cmp_eq_u16_sdwa s[12:13], v6, s4 src0_sel:BYTE_0 src1_sel:DWORD
	s_mov_b64 s[4:5], -1
                                        ; implicit-def: $sgpr10
	s_and_saveexec_b64 s[8:9], s[12:13]
; %bb.2178:
	s_mov_b32 s10, 0x7f800001
	s_xor_b64 s[4:5], exec, -1
; %bb.2179:
	s_or_b64 exec, exec, s[8:9]
	s_and_b64 s[4:5], s[4:5], exec
	s_or_saveexec_b64 s[6:7], s[6:7]
	v_mov_b32_e32 v10, s10
	s_xor_b64 exec, exec, s[6:7]
	s_cbranch_execz .LBB12_130
.LBB12_2180:
	v_mov_b32_e32 v10, 0
	v_cmp_ne_u16_sdwa s[8:9], v6, v10 src0_sel:BYTE_0 src1_sel:DWORD
	s_andn2_b64 s[4:5], s[4:5], exec
	s_and_b64 s[8:9], s[8:9], exec
	s_or_b64 s[4:5], s[4:5], s[8:9]
	s_or_b64 exec, exec, s[6:7]
	s_and_saveexec_b64 s[6:7], s[4:5]
	s_cbranch_execnz .LBB12_131
	s_branch .LBB12_132
.LBB12_2181:
	s_movk_i32 s4, 0x80
	v_cmp_eq_u16_sdwa s[12:13], v2, s4 src0_sel:BYTE_0 src1_sel:DWORD
	s_mov_b64 s[4:5], -1
                                        ; implicit-def: $sgpr10
	s_and_saveexec_b64 s[8:9], s[12:13]
; %bb.2182:
	s_mov_b32 s10, 0x7f800001
	s_xor_b64 s[4:5], exec, -1
; %bb.2183:
	s_or_b64 exec, exec, s[8:9]
	s_and_b64 s[4:5], s[4:5], exec
	s_or_saveexec_b64 s[6:7], s[6:7]
	v_mov_b32_e32 v11, s10
	s_xor_b64 exec, exec, s[6:7]
	s_cbranch_execz .LBB12_134
.LBB12_2184:
	v_mov_b32_e32 v11, 0
	v_cmp_ne_u16_sdwa s[8:9], v2, v11 src0_sel:BYTE_0 src1_sel:DWORD
	s_andn2_b64 s[4:5], s[4:5], exec
	s_and_b64 s[8:9], s[8:9], exec
	s_or_b64 s[4:5], s[4:5], s[8:9]
	s_or_b64 exec, exec, s[6:7]
	s_and_saveexec_b64 s[6:7], s[4:5]
	s_cbranch_execnz .LBB12_135
	s_branch .LBB12_136
.LBB12_2185:
	s_movk_i32 s4, 0x80
	v_cmp_eq_u16_sdwa s[12:13], v11, s4 src0_sel:BYTE_0 src1_sel:DWORD
	s_mov_b64 s[4:5], -1
                                        ; implicit-def: $sgpr10
	s_and_saveexec_b64 s[8:9], s[12:13]
; %bb.2186:
	s_mov_b32 s10, 0x7f800001
	s_xor_b64 s[4:5], exec, -1
; %bb.2187:
	s_or_b64 exec, exec, s[8:9]
	s_and_b64 s[4:5], s[4:5], exec
	s_or_saveexec_b64 s[6:7], s[6:7]
	v_mov_b32_e32 v10, s10
	s_xor_b64 exec, exec, s[6:7]
	s_cbranch_execz .LBB12_138
.LBB12_2188:
	v_mov_b32_e32 v10, 0
	v_cmp_ne_u16_sdwa s[8:9], v11, v10 src0_sel:BYTE_0 src1_sel:DWORD
	s_andn2_b64 s[4:5], s[4:5], exec
	s_and_b64 s[8:9], s[8:9], exec
	s_or_b64 s[4:5], s[4:5], s[8:9]
	s_or_b64 exec, exec, s[6:7]
	s_and_saveexec_b64 s[6:7], s[4:5]
	s_cbranch_execnz .LBB12_139
	s_branch .LBB12_140
.LBB12_2189:
	s_movk_i32 s4, 0x80
	v_cmp_eq_u16_sdwa s[12:13], v11, s4 src0_sel:BYTE_0 src1_sel:DWORD
	s_mov_b64 s[4:5], -1
                                        ; implicit-def: $sgpr10
	s_and_saveexec_b64 s[8:9], s[12:13]
; %bb.2190:
	s_mov_b32 s10, 0x7f800001
	s_xor_b64 s[4:5], exec, -1
; %bb.2191:
	s_or_b64 exec, exec, s[8:9]
	s_and_b64 s[4:5], s[4:5], exec
	s_or_saveexec_b64 s[6:7], s[6:7]
	v_mov_b32_e32 v12, s10
	s_xor_b64 exec, exec, s[6:7]
	s_cbranch_execz .LBB12_142
.LBB12_2192:
	v_mov_b32_e32 v12, 0
	v_cmp_ne_u16_sdwa s[8:9], v11, v12 src0_sel:BYTE_0 src1_sel:DWORD
	s_andn2_b64 s[4:5], s[4:5], exec
	s_and_b64 s[8:9], s[8:9], exec
	s_or_b64 s[4:5], s[4:5], s[8:9]
	s_or_b64 exec, exec, s[6:7]
	s_and_saveexec_b64 s[6:7], s[4:5]
	s_cbranch_execnz .LBB12_143
	s_branch .LBB12_144
.LBB12_2193:
	s_movk_i32 s4, 0x80
	v_cmp_eq_u16_e32 vcc, s4, v11
	s_mov_b64 s[4:5], -1
                                        ; implicit-def: $sgpr10
	s_and_saveexec_b64 s[8:9], vcc
; %bb.2194:
	s_mov_b32 s10, 0x7f800001
	s_xor_b64 s[4:5], exec, -1
; %bb.2195:
	s_or_b64 exec, exec, s[8:9]
	s_and_b64 s[4:5], s[4:5], exec
                                        ; implicit-def: $vgpr11
	s_or_saveexec_b64 s[6:7], s[6:7]
	v_mov_b32_e32 v10, s10
	s_xor_b64 exec, exec, s[6:7]
	s_cbranch_execz .LBB12_146
.LBB12_2196:
	v_cmp_ne_u16_e32 vcc, 0, v11
	s_andn2_b64 s[4:5], s[4:5], exec
	s_and_b64 s[8:9], vcc, exec
	v_mov_b32_e32 v10, 0
	s_or_b64 s[4:5], s[4:5], s[8:9]
	s_or_b64 exec, exec, s[6:7]
	s_and_saveexec_b64 s[6:7], s[4:5]
	s_cbranch_execnz .LBB12_147
	s_branch .LBB12_148
.LBB12_2197:
	s_movk_i32 s4, 0x80
	v_cmp_eq_u16_e32 vcc, s4, v11
	s_mov_b64 s[4:5], -1
                                        ; implicit-def: $sgpr10
	s_and_saveexec_b64 s[8:9], vcc
; %bb.2198:
	s_mov_b32 s10, 0x7f800001
	s_xor_b64 s[4:5], exec, -1
; %bb.2199:
	s_or_b64 exec, exec, s[8:9]
	s_and_b64 s[4:5], s[4:5], exec
                                        ; implicit-def: $vgpr11
	s_or_saveexec_b64 s[6:7], s[6:7]
	v_mov_b32_e32 v12, s10
	s_xor_b64 exec, exec, s[6:7]
	s_cbranch_execz .LBB12_150
.LBB12_2200:
	v_cmp_ne_u16_e32 vcc, 0, v11
	s_andn2_b64 s[4:5], s[4:5], exec
	s_and_b64 s[8:9], vcc, exec
	v_mov_b32_e32 v12, 0
	s_or_b64 s[4:5], s[4:5], s[8:9]
	s_or_b64 exec, exec, s[6:7]
	s_and_saveexec_b64 s[6:7], s[4:5]
	s_cbranch_execnz .LBB12_151
	s_branch .LBB12_152
.LBB12_2201:
	s_movk_i32 s4, 0x80
	v_cmp_eq_u16_sdwa s[12:13], v6, s4 src0_sel:BYTE_3 src1_sel:DWORD
	s_mov_b64 s[4:5], -1
                                        ; implicit-def: $sgpr10
	s_and_saveexec_b64 s[8:9], s[12:13]
; %bb.2202:
	s_mov_b32 s10, 0x7f800001
	s_xor_b64 s[4:5], exec, -1
; %bb.2203:
	s_or_b64 exec, exec, s[8:9]
	s_and_b64 s[4:5], s[4:5], exec
	s_or_saveexec_b64 s[6:7], s[6:7]
	v_mov_b32_e32 v10, s10
	s_xor_b64 exec, exec, s[6:7]
	s_cbranch_execz .LBB12_154
.LBB12_2204:
	v_mov_b32_e32 v10, 0
	v_cmp_ne_u16_sdwa s[8:9], v6, v10 src0_sel:BYTE_3 src1_sel:DWORD
	s_andn2_b64 s[4:5], s[4:5], exec
	s_and_b64 s[8:9], s[8:9], exec
	s_or_b64 s[4:5], s[4:5], s[8:9]
	s_or_b64 exec, exec, s[6:7]
	s_and_saveexec_b64 s[6:7], s[4:5]
	s_cbranch_execnz .LBB12_155
	s_branch .LBB12_156
.LBB12_2205:
	s_movk_i32 s4, 0x80
	v_cmp_eq_u16_sdwa s[12:13], v2, s4 src0_sel:BYTE_3 src1_sel:DWORD
	s_mov_b64 s[4:5], -1
                                        ; implicit-def: $sgpr10
	s_and_saveexec_b64 s[8:9], s[12:13]
; %bb.2206:
	s_mov_b32 s10, 0x7f800001
	s_xor_b64 s[4:5], exec, -1
; %bb.2207:
	s_or_b64 exec, exec, s[8:9]
	s_and_b64 s[4:5], s[4:5], exec
	s_or_saveexec_b64 s[6:7], s[6:7]
	v_mov_b32_e32 v6, s10
	s_xor_b64 exec, exec, s[6:7]
	s_cbranch_execz .LBB12_158
.LBB12_2208:
	v_mov_b32_e32 v6, 0
	v_cmp_ne_u16_sdwa s[8:9], v2, v6 src0_sel:BYTE_3 src1_sel:DWORD
	s_andn2_b64 s[4:5], s[4:5], exec
	s_and_b64 s[8:9], s[8:9], exec
	s_or_b64 s[4:5], s[4:5], s[8:9]
	s_or_b64 exec, exec, s[6:7]
	s_and_saveexec_b64 s[6:7], s[4:5]
	s_cbranch_execnz .LBB12_159
	s_branch .LBB12_160
.LBB12_2209:
	s_movk_i32 s4, 0x80
	v_cmp_eq_u16_sdwa s[12:13], v7, s4 src0_sel:BYTE_0 src1_sel:DWORD
	s_mov_b64 s[4:5], -1
                                        ; implicit-def: $sgpr10
	s_and_saveexec_b64 s[8:9], s[12:13]
; %bb.2210:
	s_mov_b32 s10, 0x7f800001
	s_xor_b64 s[4:5], exec, -1
; %bb.2211:
	s_or_b64 exec, exec, s[8:9]
	s_and_b64 s[4:5], s[4:5], exec
	s_or_saveexec_b64 s[6:7], s[6:7]
	v_mov_b32_e32 v2, s10
	s_xor_b64 exec, exec, s[6:7]
	s_cbranch_execz .LBB12_162
.LBB12_2212:
	v_mov_b32_e32 v2, 0
	v_cmp_ne_u16_sdwa s[8:9], v7, v2 src0_sel:BYTE_0 src1_sel:DWORD
	s_andn2_b64 s[4:5], s[4:5], exec
	s_and_b64 s[8:9], s[8:9], exec
	s_or_b64 s[4:5], s[4:5], s[8:9]
	s_or_b64 exec, exec, s[6:7]
	s_and_saveexec_b64 s[6:7], s[4:5]
	s_cbranch_execnz .LBB12_163
	s_branch .LBB12_164
.LBB12_2213:
	s_movk_i32 s4, 0x80
	v_cmp_eq_u16_sdwa s[12:13], v3, s4 src0_sel:BYTE_0 src1_sel:DWORD
	s_mov_b64 s[4:5], -1
                                        ; implicit-def: $sgpr10
	s_and_saveexec_b64 s[8:9], s[12:13]
; %bb.2214:
	s_mov_b32 s10, 0x7f800001
	s_xor_b64 s[4:5], exec, -1
; %bb.2215:
	s_or_b64 exec, exec, s[8:9]
	s_and_b64 s[4:5], s[4:5], exec
	s_or_saveexec_b64 s[6:7], s[6:7]
	v_mov_b32_e32 v6, s10
	s_xor_b64 exec, exec, s[6:7]
	s_cbranch_execz .LBB12_166
.LBB12_2216:
	v_mov_b32_e32 v6, 0
	v_cmp_ne_u16_sdwa s[8:9], v3, v6 src0_sel:BYTE_0 src1_sel:DWORD
	s_andn2_b64 s[4:5], s[4:5], exec
	s_and_b64 s[8:9], s[8:9], exec
	s_or_b64 s[4:5], s[4:5], s[8:9]
	s_or_b64 exec, exec, s[6:7]
	s_and_saveexec_b64 s[6:7], s[4:5]
	s_cbranch_execnz .LBB12_167
	s_branch .LBB12_168
.LBB12_2217:
	s_movk_i32 s4, 0x80
	v_cmp_eq_u16_sdwa s[12:13], v6, s4 src0_sel:BYTE_0 src1_sel:DWORD
	s_mov_b64 s[4:5], -1
                                        ; implicit-def: $sgpr10
	s_and_saveexec_b64 s[8:9], s[12:13]
; %bb.2218:
	s_mov_b32 s10, 0x7f800001
	s_xor_b64 s[4:5], exec, -1
; %bb.2219:
	s_or_b64 exec, exec, s[8:9]
	s_and_b64 s[4:5], s[4:5], exec
	s_or_saveexec_b64 s[6:7], s[6:7]
	v_mov_b32_e32 v2, s10
	s_xor_b64 exec, exec, s[6:7]
	s_cbranch_execz .LBB12_170
.LBB12_2220:
	v_mov_b32_e32 v2, 0
	v_cmp_ne_u16_sdwa s[8:9], v6, v2 src0_sel:BYTE_0 src1_sel:DWORD
	s_andn2_b64 s[4:5], s[4:5], exec
	s_and_b64 s[8:9], s[8:9], exec
	s_or_b64 s[4:5], s[4:5], s[8:9]
	s_or_b64 exec, exec, s[6:7]
	s_and_saveexec_b64 s[6:7], s[4:5]
	s_cbranch_execnz .LBB12_171
	s_branch .LBB12_172
.LBB12_2221:
	s_movk_i32 s4, 0x80
	v_cmp_eq_u16_sdwa s[12:13], v6, s4 src0_sel:BYTE_0 src1_sel:DWORD
	s_mov_b64 s[4:5], -1
                                        ; implicit-def: $sgpr10
	s_and_saveexec_b64 s[8:9], s[12:13]
; %bb.2222:
	s_mov_b32 s10, 0x7f800001
	s_xor_b64 s[4:5], exec, -1
; %bb.2223:
	s_or_b64 exec, exec, s[8:9]
	s_and_b64 s[4:5], s[4:5], exec
	s_or_saveexec_b64 s[6:7], s[6:7]
	v_mov_b32_e32 v10, s10
	s_xor_b64 exec, exec, s[6:7]
	s_cbranch_execz .LBB12_174
.LBB12_2224:
	v_mov_b32_e32 v10, 0
	v_cmp_ne_u16_sdwa s[8:9], v6, v10 src0_sel:BYTE_0 src1_sel:DWORD
	s_andn2_b64 s[4:5], s[4:5], exec
	s_and_b64 s[8:9], s[8:9], exec
	s_or_b64 s[4:5], s[4:5], s[8:9]
	s_or_b64 exec, exec, s[6:7]
	s_and_saveexec_b64 s[6:7], s[4:5]
	s_cbranch_execnz .LBB12_175
	s_branch .LBB12_176
.LBB12_2225:
	s_movk_i32 s4, 0x80
	v_cmp_eq_u16_e32 vcc, s4, v6
	s_mov_b64 s[4:5], -1
                                        ; implicit-def: $sgpr10
	s_and_saveexec_b64 s[8:9], vcc
; %bb.2226:
	s_mov_b32 s10, 0x7f800001
	s_xor_b64 s[4:5], exec, -1
; %bb.2227:
	s_or_b64 exec, exec, s[8:9]
	s_and_b64 s[4:5], s[4:5], exec
                                        ; implicit-def: $vgpr6
	s_or_saveexec_b64 s[6:7], s[6:7]
	v_mov_b32_e32 v2, s10
	s_xor_b64 exec, exec, s[6:7]
	s_cbranch_execz .LBB12_178
.LBB12_2228:
	v_cmp_ne_u16_e32 vcc, 0, v6
	s_andn2_b64 s[4:5], s[4:5], exec
	s_and_b64 s[8:9], vcc, exec
	v_mov_b32_e32 v2, 0
	s_or_b64 s[4:5], s[4:5], s[8:9]
	s_or_b64 exec, exec, s[6:7]
	s_and_saveexec_b64 s[6:7], s[4:5]
	s_cbranch_execnz .LBB12_179
	s_branch .LBB12_180
.LBB12_2229:
	s_movk_i32 s4, 0x80
	v_cmp_eq_u16_e32 vcc, s4, v6
	s_mov_b64 s[4:5], -1
                                        ; implicit-def: $sgpr10
	s_and_saveexec_b64 s[8:9], vcc
; %bb.2230:
	s_mov_b32 s10, 0x7f800001
	s_xor_b64 s[4:5], exec, -1
; %bb.2231:
	s_or_b64 exec, exec, s[8:9]
	s_and_b64 s[4:5], s[4:5], exec
                                        ; implicit-def: $vgpr6
	s_or_saveexec_b64 s[6:7], s[6:7]
	v_mov_b32_e32 v10, s10
	s_xor_b64 exec, exec, s[6:7]
	s_cbranch_execz .LBB12_182
.LBB12_2232:
	v_cmp_ne_u16_e32 vcc, 0, v6
	s_andn2_b64 s[4:5], s[4:5], exec
	s_and_b64 s[8:9], vcc, exec
	v_mov_b32_e32 v10, 0
	s_or_b64 s[4:5], s[4:5], s[8:9]
	s_or_b64 exec, exec, s[6:7]
	s_and_saveexec_b64 s[6:7], s[4:5]
	s_cbranch_execnz .LBB12_183
	s_branch .LBB12_184
.LBB12_2233:
	s_movk_i32 s4, 0x80
	v_cmp_eq_u16_sdwa s[12:13], v7, s4 src0_sel:BYTE_3 src1_sel:DWORD
	s_mov_b64 s[4:5], -1
                                        ; implicit-def: $sgpr10
	s_and_saveexec_b64 s[8:9], s[12:13]
; %bb.2234:
	s_mov_b32 s10, 0x7f800001
	s_xor_b64 s[4:5], exec, -1
; %bb.2235:
	s_or_b64 exec, exec, s[8:9]
	s_and_b64 s[4:5], s[4:5], exec
	s_or_saveexec_b64 s[6:7], s[6:7]
	v_mov_b32_e32 v2, s10
	s_xor_b64 exec, exec, s[6:7]
	s_cbranch_execz .LBB12_186
.LBB12_2236:
	v_mov_b32_e32 v2, 0
	v_cmp_ne_u16_sdwa s[8:9], v7, v2 src0_sel:BYTE_3 src1_sel:DWORD
	s_andn2_b64 s[4:5], s[4:5], exec
	s_and_b64 s[8:9], s[8:9], exec
	s_or_b64 s[4:5], s[4:5], s[8:9]
	s_or_b64 exec, exec, s[6:7]
	s_and_saveexec_b64 s[6:7], s[4:5]
	s_cbranch_execnz .LBB12_187
	s_branch .LBB12_188
.LBB12_2237:
	s_movk_i32 s4, 0x80
	v_cmp_eq_u16_sdwa s[12:13], v3, s4 src0_sel:BYTE_3 src1_sel:DWORD
	s_mov_b64 s[4:5], -1
                                        ; implicit-def: $sgpr10
	s_and_saveexec_b64 s[8:9], s[12:13]
; %bb.2238:
	s_mov_b32 s10, 0x7f800001
	s_xor_b64 s[4:5], exec, -1
; %bb.2239:
	s_or_b64 exec, exec, s[8:9]
	s_and_b64 s[4:5], s[4:5], exec
	s_or_saveexec_b64 s[6:7], s[6:7]
	v_mov_b32_e32 v6, s10
	s_xor_b64 exec, exec, s[6:7]
	s_cbranch_execz .LBB12_190
.LBB12_2240:
	v_mov_b32_e32 v6, 0
	v_cmp_ne_u16_sdwa s[8:9], v3, v6 src0_sel:BYTE_3 src1_sel:DWORD
	s_andn2_b64 s[4:5], s[4:5], exec
	s_and_b64 s[8:9], s[8:9], exec
	s_or_b64 s[4:5], s[4:5], s[8:9]
	s_or_b64 exec, exec, s[6:7]
	s_and_saveexec_b64 s[6:7], s[4:5]
	s_cbranch_execnz .LBB12_191
	s_branch .LBB12_192
.LBB12_2241:
	s_movk_i32 s4, 0x80
	v_cmp_eq_u16_sdwa s[12:13], v8, s4 src0_sel:BYTE_0 src1_sel:DWORD
	s_mov_b64 s[4:5], -1
                                        ; implicit-def: $sgpr10
	s_and_saveexec_b64 s[8:9], s[12:13]
; %bb.2242:
	s_mov_b32 s10, 0x7f800001
	s_xor_b64 s[4:5], exec, -1
; %bb.2243:
	s_or_b64 exec, exec, s[8:9]
	s_and_b64 s[4:5], s[4:5], exec
	s_or_saveexec_b64 s[6:7], s[6:7]
	v_mov_b32_e32 v2, s10
	s_xor_b64 exec, exec, s[6:7]
	s_cbranch_execz .LBB12_194
.LBB12_2244:
	v_mov_b32_e32 v2, 0
	v_cmp_ne_u16_sdwa s[8:9], v8, v2 src0_sel:BYTE_0 src1_sel:DWORD
	s_andn2_b64 s[4:5], s[4:5], exec
	s_and_b64 s[8:9], s[8:9], exec
	s_or_b64 s[4:5], s[4:5], s[8:9]
	s_or_b64 exec, exec, s[6:7]
	s_and_saveexec_b64 s[6:7], s[4:5]
	s_cbranch_execnz .LBB12_195
	s_branch .LBB12_196
.LBB12_2245:
	s_movk_i32 s4, 0x80
	v_cmp_eq_u16_sdwa s[12:13], v4, s4 src0_sel:BYTE_0 src1_sel:DWORD
	s_mov_b64 s[4:5], -1
                                        ; implicit-def: $sgpr10
	s_and_saveexec_b64 s[8:9], s[12:13]
; %bb.2246:
	s_mov_b32 s10, 0x7f800001
	s_xor_b64 s[4:5], exec, -1
; %bb.2247:
	s_or_b64 exec, exec, s[8:9]
	s_and_b64 s[4:5], s[4:5], exec
	s_or_saveexec_b64 s[6:7], s[6:7]
	v_mov_b32_e32 v3, s10
	s_xor_b64 exec, exec, s[6:7]
	s_cbranch_execz .LBB12_198
.LBB12_2248:
	v_mov_b32_e32 v3, 0
	v_cmp_ne_u16_sdwa s[8:9], v4, v3 src0_sel:BYTE_0 src1_sel:DWORD
	s_andn2_b64 s[4:5], s[4:5], exec
	s_and_b64 s[8:9], s[8:9], exec
	s_or_b64 s[4:5], s[4:5], s[8:9]
	s_or_b64 exec, exec, s[6:7]
	s_and_saveexec_b64 s[6:7], s[4:5]
	s_cbranch_execnz .LBB12_199
	s_branch .LBB12_200
.LBB12_2249:
	s_movk_i32 s4, 0x80
	v_cmp_eq_u16_sdwa s[12:13], v3, s4 src0_sel:BYTE_0 src1_sel:DWORD
	s_mov_b64 s[4:5], -1
                                        ; implicit-def: $sgpr10
	s_and_saveexec_b64 s[8:9], s[12:13]
; %bb.2250:
	s_mov_b32 s10, 0x7f800001
	s_xor_b64 s[4:5], exec, -1
; %bb.2251:
	s_or_b64 exec, exec, s[8:9]
	s_and_b64 s[4:5], s[4:5], exec
	s_or_saveexec_b64 s[6:7], s[6:7]
	v_mov_b32_e32 v2, s10
	s_xor_b64 exec, exec, s[6:7]
	s_cbranch_execz .LBB12_202
.LBB12_2252:
	v_mov_b32_e32 v2, 0
	v_cmp_ne_u16_sdwa s[8:9], v3, v2 src0_sel:BYTE_0 src1_sel:DWORD
	s_andn2_b64 s[4:5], s[4:5], exec
	s_and_b64 s[8:9], s[8:9], exec
	s_or_b64 s[4:5], s[4:5], s[8:9]
	s_or_b64 exec, exec, s[6:7]
	s_and_saveexec_b64 s[6:7], s[4:5]
	s_cbranch_execnz .LBB12_203
	s_branch .LBB12_204
.LBB12_2253:
	s_movk_i32 s4, 0x80
	v_cmp_eq_u16_sdwa s[12:13], v3, s4 src0_sel:BYTE_0 src1_sel:DWORD
	s_mov_b64 s[4:5], -1
                                        ; implicit-def: $sgpr10
	s_and_saveexec_b64 s[8:9], s[12:13]
; %bb.2254:
	s_mov_b32 s10, 0x7f800001
	s_xor_b64 s[4:5], exec, -1
; %bb.2255:
	s_or_b64 exec, exec, s[8:9]
	s_and_b64 s[4:5], s[4:5], exec
	s_or_saveexec_b64 s[6:7], s[6:7]
	v_mov_b32_e32 v6, s10
	s_xor_b64 exec, exec, s[6:7]
	s_cbranch_execz .LBB12_206
.LBB12_2256:
	v_mov_b32_e32 v6, 0
	v_cmp_ne_u16_sdwa s[8:9], v3, v6 src0_sel:BYTE_0 src1_sel:DWORD
	s_andn2_b64 s[4:5], s[4:5], exec
	s_and_b64 s[8:9], s[8:9], exec
	s_or_b64 s[4:5], s[4:5], s[8:9]
	s_or_b64 exec, exec, s[6:7]
	s_and_saveexec_b64 s[6:7], s[4:5]
	s_cbranch_execnz .LBB12_207
	s_branch .LBB12_208
.LBB12_2257:
	s_movk_i32 s4, 0x80
	v_cmp_eq_u16_e32 vcc, s4, v3
	s_mov_b64 s[4:5], -1
                                        ; implicit-def: $sgpr10
	s_and_saveexec_b64 s[8:9], vcc
; %bb.2258:
	s_mov_b32 s10, 0x7f800001
	s_xor_b64 s[4:5], exec, -1
; %bb.2259:
	s_or_b64 exec, exec, s[8:9]
	s_and_b64 s[4:5], s[4:5], exec
                                        ; implicit-def: $vgpr3
	s_or_saveexec_b64 s[6:7], s[6:7]
	v_mov_b32_e32 v2, s10
	s_xor_b64 exec, exec, s[6:7]
	s_cbranch_execz .LBB12_210
.LBB12_2260:
	v_cmp_ne_u16_e32 vcc, 0, v3
	s_andn2_b64 s[4:5], s[4:5], exec
	s_and_b64 s[8:9], vcc, exec
	v_mov_b32_e32 v2, 0
	s_or_b64 s[4:5], s[4:5], s[8:9]
	s_or_b64 exec, exec, s[6:7]
	s_and_saveexec_b64 s[6:7], s[4:5]
	s_cbranch_execnz .LBB12_211
	s_branch .LBB12_212
.LBB12_2261:
	s_movk_i32 s4, 0x80
	v_cmp_eq_u16_e32 vcc, s4, v3
	s_mov_b64 s[4:5], -1
                                        ; implicit-def: $sgpr10
	s_and_saveexec_b64 s[8:9], vcc
; %bb.2262:
	s_mov_b32 s10, 0x7f800001
	s_xor_b64 s[4:5], exec, -1
; %bb.2263:
	s_or_b64 exec, exec, s[8:9]
	s_and_b64 s[4:5], s[4:5], exec
                                        ; implicit-def: $vgpr3
	s_or_saveexec_b64 s[6:7], s[6:7]
	v_mov_b32_e32 v6, s10
	s_xor_b64 exec, exec, s[6:7]
	s_cbranch_execz .LBB12_214
.LBB12_2264:
	v_cmp_ne_u16_e32 vcc, 0, v3
	s_andn2_b64 s[4:5], s[4:5], exec
	s_and_b64 s[8:9], vcc, exec
	v_mov_b32_e32 v6, 0
	s_or_b64 s[4:5], s[4:5], s[8:9]
	s_or_b64 exec, exec, s[6:7]
	s_and_saveexec_b64 s[6:7], s[4:5]
	s_cbranch_execnz .LBB12_215
	s_branch .LBB12_216
.LBB12_2265:
	s_movk_i32 s4, 0x80
	v_cmp_eq_u16_sdwa s[12:13], v8, s4 src0_sel:BYTE_3 src1_sel:DWORD
	s_mov_b64 s[4:5], -1
                                        ; implicit-def: $sgpr10
	s_and_saveexec_b64 s[8:9], s[12:13]
; %bb.2266:
	s_mov_b32 s10, 0x7f800001
	s_xor_b64 s[4:5], exec, -1
; %bb.2267:
	s_or_b64 exec, exec, s[8:9]
	s_and_b64 s[4:5], s[4:5], exec
	s_or_saveexec_b64 s[6:7], s[6:7]
	v_mov_b32_e32 v2, s10
	s_xor_b64 exec, exec, s[6:7]
	s_cbranch_execz .LBB12_218
.LBB12_2268:
	v_mov_b32_e32 v2, 0
	v_cmp_ne_u16_sdwa s[8:9], v8, v2 src0_sel:BYTE_3 src1_sel:DWORD
	s_andn2_b64 s[4:5], s[4:5], exec
	s_and_b64 s[8:9], s[8:9], exec
	s_or_b64 s[4:5], s[4:5], s[8:9]
	s_or_b64 exec, exec, s[6:7]
	s_and_saveexec_b64 s[6:7], s[4:5]
	s_cbranch_execnz .LBB12_219
	s_branch .LBB12_220
.LBB12_2269:
	s_movk_i32 s4, 0x80
	v_cmp_eq_u16_sdwa s[12:13], v4, s4 src0_sel:BYTE_3 src1_sel:DWORD
	s_mov_b64 s[4:5], -1
                                        ; implicit-def: $sgpr10
	s_and_saveexec_b64 s[8:9], s[12:13]
; %bb.2270:
	s_mov_b32 s10, 0x7f800001
	s_xor_b64 s[4:5], exec, -1
; %bb.2271:
	s_or_b64 exec, exec, s[8:9]
	s_and_b64 s[4:5], s[4:5], exec
	s_or_saveexec_b64 s[6:7], s[6:7]
	v_mov_b32_e32 v3, s10
	s_xor_b64 exec, exec, s[6:7]
	s_cbranch_execz .LBB12_222
.LBB12_2272:
	v_mov_b32_e32 v3, 0
	v_cmp_ne_u16_sdwa s[8:9], v4, v3 src0_sel:BYTE_3 src1_sel:DWORD
	s_andn2_b64 s[4:5], s[4:5], exec
	s_and_b64 s[8:9], s[8:9], exec
	s_or_b64 s[4:5], s[4:5], s[8:9]
	s_or_b64 exec, exec, s[6:7]
	s_and_saveexec_b64 s[6:7], s[4:5]
	s_cbranch_execnz .LBB12_223
	s_branch .LBB12_224
.LBB12_2273:
	s_movk_i32 s4, 0x80
	v_cmp_eq_u16_sdwa s[12:13], v9, s4 src0_sel:BYTE_0 src1_sel:DWORD
	s_mov_b64 s[4:5], -1
                                        ; implicit-def: $sgpr10
	s_and_saveexec_b64 s[8:9], s[12:13]
; %bb.2274:
	s_mov_b32 s10, 0x7f800001
	s_xor_b64 s[4:5], exec, -1
; %bb.2275:
	s_or_b64 exec, exec, s[8:9]
	s_and_b64 s[4:5], s[4:5], exec
	s_or_saveexec_b64 s[6:7], s[6:7]
	v_mov_b32_e32 v2, s10
	s_xor_b64 exec, exec, s[6:7]
	s_cbranch_execz .LBB12_226
.LBB12_2276:
	v_mov_b32_e32 v2, 0
	v_cmp_ne_u16_sdwa s[8:9], v9, v2 src0_sel:BYTE_0 src1_sel:DWORD
	s_andn2_b64 s[4:5], s[4:5], exec
	s_and_b64 s[8:9], s[8:9], exec
	s_or_b64 s[4:5], s[4:5], s[8:9]
	s_or_b64 exec, exec, s[6:7]
	s_and_saveexec_b64 s[6:7], s[4:5]
	s_cbranch_execnz .LBB12_227
	s_branch .LBB12_228
.LBB12_2277:
	s_movk_i32 s4, 0x80
	v_cmp_eq_u16_sdwa s[12:13], v5, s4 src0_sel:BYTE_0 src1_sel:DWORD
	s_mov_b64 s[4:5], -1
                                        ; implicit-def: $sgpr10
	s_and_saveexec_b64 s[8:9], s[12:13]
; %bb.2278:
	s_mov_b32 s10, 0x7f800001
	s_xor_b64 s[4:5], exec, -1
; %bb.2279:
	s_or_b64 exec, exec, s[8:9]
	s_and_b64 s[4:5], s[4:5], exec
	s_or_saveexec_b64 s[6:7], s[6:7]
	v_mov_b32_e32 v3, s10
	s_xor_b64 exec, exec, s[6:7]
	s_cbranch_execz .LBB12_230
.LBB12_2280:
	v_mov_b32_e32 v3, 0
	v_cmp_ne_u16_sdwa s[8:9], v5, v3 src0_sel:BYTE_0 src1_sel:DWORD
	s_andn2_b64 s[4:5], s[4:5], exec
	s_and_b64 s[8:9], s[8:9], exec
	s_or_b64 s[4:5], s[4:5], s[8:9]
	s_or_b64 exec, exec, s[6:7]
	s_and_saveexec_b64 s[6:7], s[4:5]
	s_cbranch_execnz .LBB12_231
	s_branch .LBB12_232
.LBB12_2281:
	s_movk_i32 s4, 0x80
	v_cmp_eq_u16_sdwa s[12:13], v3, s4 src0_sel:BYTE_0 src1_sel:DWORD
	s_mov_b64 s[4:5], -1
                                        ; implicit-def: $sgpr10
	s_and_saveexec_b64 s[8:9], s[12:13]
; %bb.2282:
	s_mov_b32 s10, 0x7f800001
	s_xor_b64 s[4:5], exec, -1
; %bb.2283:
	s_or_b64 exec, exec, s[8:9]
	s_and_b64 s[4:5], s[4:5], exec
	s_or_saveexec_b64 s[6:7], s[6:7]
	v_mov_b32_e32 v2, s10
	s_xor_b64 exec, exec, s[6:7]
	s_cbranch_execz .LBB12_234
.LBB12_2284:
	v_mov_b32_e32 v2, 0
	v_cmp_ne_u16_sdwa s[8:9], v3, v2 src0_sel:BYTE_0 src1_sel:DWORD
	s_andn2_b64 s[4:5], s[4:5], exec
	s_and_b64 s[8:9], s[8:9], exec
	s_or_b64 s[4:5], s[4:5], s[8:9]
	s_or_b64 exec, exec, s[6:7]
	s_and_saveexec_b64 s[6:7], s[4:5]
	s_cbranch_execnz .LBB12_235
	s_branch .LBB12_236
.LBB12_2285:
	s_movk_i32 s4, 0x80
	v_cmp_eq_u16_sdwa s[12:13], v3, s4 src0_sel:BYTE_0 src1_sel:DWORD
	s_mov_b64 s[4:5], -1
                                        ; implicit-def: $sgpr10
	s_and_saveexec_b64 s[8:9], s[12:13]
; %bb.2286:
	s_mov_b32 s10, 0x7f800001
	s_xor_b64 s[4:5], exec, -1
; %bb.2287:
	s_or_b64 exec, exec, s[8:9]
	s_and_b64 s[4:5], s[4:5], exec
	s_or_saveexec_b64 s[6:7], s[6:7]
	v_mov_b32_e32 v4, s10
	s_xor_b64 exec, exec, s[6:7]
	s_cbranch_execz .LBB12_238
.LBB12_2288:
	v_mov_b32_e32 v4, 0
	v_cmp_ne_u16_sdwa s[8:9], v3, v4 src0_sel:BYTE_0 src1_sel:DWORD
	s_andn2_b64 s[4:5], s[4:5], exec
	s_and_b64 s[8:9], s[8:9], exec
	s_or_b64 s[4:5], s[4:5], s[8:9]
	s_or_b64 exec, exec, s[6:7]
	s_and_saveexec_b64 s[6:7], s[4:5]
	s_cbranch_execnz .LBB12_239
	s_branch .LBB12_240
.LBB12_2289:
	s_movk_i32 s4, 0x80
	v_cmp_eq_u16_e32 vcc, s4, v3
	s_mov_b64 s[4:5], -1
                                        ; implicit-def: $sgpr10
	s_and_saveexec_b64 s[8:9], vcc
; %bb.2290:
	s_mov_b32 s10, 0x7f800001
	s_xor_b64 s[4:5], exec, -1
; %bb.2291:
	s_or_b64 exec, exec, s[8:9]
	s_and_b64 s[4:5], s[4:5], exec
                                        ; implicit-def: $vgpr3
	s_or_saveexec_b64 s[6:7], s[6:7]
	v_mov_b32_e32 v2, s10
	s_xor_b64 exec, exec, s[6:7]
	s_cbranch_execz .LBB12_242
.LBB12_2292:
	v_cmp_ne_u16_e32 vcc, 0, v3
	s_andn2_b64 s[4:5], s[4:5], exec
	s_and_b64 s[8:9], vcc, exec
	v_mov_b32_e32 v2, 0
	s_or_b64 s[4:5], s[4:5], s[8:9]
	s_or_b64 exec, exec, s[6:7]
	s_and_saveexec_b64 s[6:7], s[4:5]
	s_cbranch_execnz .LBB12_243
	s_branch .LBB12_244
.LBB12_2293:
	s_movk_i32 s4, 0x80
	v_cmp_eq_u16_e32 vcc, s4, v3
	s_mov_b64 s[4:5], -1
                                        ; implicit-def: $sgpr10
	s_and_saveexec_b64 s[8:9], vcc
; %bb.2294:
	s_mov_b32 s10, 0x7f800001
	s_xor_b64 s[4:5], exec, -1
; %bb.2295:
	s_or_b64 exec, exec, s[8:9]
	s_and_b64 s[4:5], s[4:5], exec
                                        ; implicit-def: $vgpr3
	s_or_saveexec_b64 s[6:7], s[6:7]
	v_mov_b32_e32 v4, s10
	s_xor_b64 exec, exec, s[6:7]
	s_cbranch_execz .LBB12_246
.LBB12_2296:
	v_cmp_ne_u16_e32 vcc, 0, v3
	s_andn2_b64 s[4:5], s[4:5], exec
	s_and_b64 s[8:9], vcc, exec
	v_mov_b32_e32 v4, 0
	s_or_b64 s[4:5], s[4:5], s[8:9]
	s_or_b64 exec, exec, s[6:7]
	s_and_saveexec_b64 s[6:7], s[4:5]
	s_cbranch_execnz .LBB12_247
	s_branch .LBB12_248
.LBB12_2297:
	s_movk_i32 s4, 0x80
	v_cmp_eq_u16_sdwa s[12:13], v9, s4 src0_sel:BYTE_3 src1_sel:DWORD
	s_mov_b64 s[4:5], -1
                                        ; implicit-def: $sgpr10
	s_and_saveexec_b64 s[8:9], s[12:13]
; %bb.2298:
	s_mov_b32 s10, 0x7f800001
	s_xor_b64 s[4:5], exec, -1
; %bb.2299:
	s_or_b64 exec, exec, s[8:9]
	s_and_b64 s[4:5], s[4:5], exec
	s_or_saveexec_b64 s[6:7], s[6:7]
	v_mov_b32_e32 v2, s10
	s_xor_b64 exec, exec, s[6:7]
	s_cbranch_execz .LBB12_250
.LBB12_2300:
	v_mov_b32_e32 v2, 0
	v_cmp_ne_u16_sdwa s[8:9], v9, v2 src0_sel:BYTE_3 src1_sel:DWORD
	s_andn2_b64 s[4:5], s[4:5], exec
	s_and_b64 s[8:9], s[8:9], exec
	s_or_b64 s[4:5], s[4:5], s[8:9]
	s_or_b64 exec, exec, s[6:7]
	s_and_saveexec_b64 s[6:7], s[4:5]
	s_cbranch_execnz .LBB12_251
	s_branch .LBB12_252
.LBB12_2301:
	s_movk_i32 s4, 0x80
	v_cmp_eq_u16_sdwa s[12:13], v5, s4 src0_sel:BYTE_3 src1_sel:DWORD
	s_mov_b64 s[4:5], -1
                                        ; implicit-def: $sgpr10
	s_and_saveexec_b64 s[8:9], s[12:13]
; %bb.2302:
	s_mov_b32 s10, 0x7f800001
	s_xor_b64 s[4:5], exec, -1
; %bb.2303:
	s_or_b64 exec, exec, s[8:9]
	s_and_b64 s[4:5], s[4:5], exec
	s_or_saveexec_b64 s[6:7], s[6:7]
	v_mov_b32_e32 v3, s10
	s_xor_b64 exec, exec, s[6:7]
	s_cbranch_execz .LBB12_254
.LBB12_2304:
	v_mov_b32_e32 v3, 0
	v_cmp_ne_u16_sdwa s[8:9], v5, v3 src0_sel:BYTE_3 src1_sel:DWORD
	s_andn2_b64 s[4:5], s[4:5], exec
	s_and_b64 s[8:9], s[8:9], exec
	s_or_b64 s[4:5], s[4:5], s[8:9]
	s_or_b64 exec, exec, s[6:7]
	s_and_saveexec_b64 s[6:7], s[4:5]
	s_cbranch_execnz .LBB12_255
	s_branch .LBB12_256
.LBB12_2305:
	s_movk_i32 s4, 0x80
	v_cmp_eq_u16_sdwa s[12:13], v14, s4 src0_sel:BYTE_0 src1_sel:DWORD
	s_mov_b64 s[4:5], -1
                                        ; implicit-def: $sgpr10
	s_and_saveexec_b64 s[8:9], s[12:13]
; %bb.2306:
	s_mov_b32 s10, 0x7f800001
	s_xor_b64 s[4:5], exec, -1
; %bb.2307:
	s_or_b64 exec, exec, s[8:9]
	s_and_b64 s[4:5], s[4:5], exec
	s_or_saveexec_b64 s[6:7], s[6:7]
	v_mov_b32_e32 v20, s10
	s_xor_b64 exec, exec, s[6:7]
	s_cbranch_execz .LBB12_258
.LBB12_2308:
	v_mov_b32_e32 v20, 0
	v_cmp_ne_u16_sdwa s[8:9], v14, v20 src0_sel:BYTE_0 src1_sel:DWORD
	s_andn2_b64 s[4:5], s[4:5], exec
	s_and_b64 s[8:9], s[8:9], exec
	s_or_b64 s[4:5], s[4:5], s[8:9]
	s_or_b64 exec, exec, s[6:7]
	s_and_saveexec_b64 s[6:7], s[4:5]
	s_cbranch_execnz .LBB12_259
	s_branch .LBB12_260
.LBB12_2309:
	s_movk_i32 s4, 0x80
	v_cmp_eq_u16_sdwa s[12:13], v10, s4 src0_sel:BYTE_0 src1_sel:DWORD
	s_mov_b64 s[4:5], -1
                                        ; implicit-def: $sgpr10
	s_and_saveexec_b64 s[8:9], s[12:13]
; %bb.2310:
	s_mov_b32 s10, 0x7f800001
	s_xor_b64 s[4:5], exec, -1
; %bb.2311:
	s_or_b64 exec, exec, s[8:9]
	s_and_b64 s[4:5], s[4:5], exec
	s_or_saveexec_b64 s[6:7], s[6:7]
	v_mov_b32_e32 v21, s10
	s_xor_b64 exec, exec, s[6:7]
	s_cbranch_execz .LBB12_262
.LBB12_2312:
	v_mov_b32_e32 v21, 0
	v_cmp_ne_u16_sdwa s[8:9], v10, v21 src0_sel:BYTE_0 src1_sel:DWORD
	s_andn2_b64 s[4:5], s[4:5], exec
	s_and_b64 s[8:9], s[8:9], exec
	s_or_b64 s[4:5], s[4:5], s[8:9]
	s_or_b64 exec, exec, s[6:7]
	s_and_saveexec_b64 s[6:7], s[4:5]
	s_cbranch_execnz .LBB12_263
	s_branch .LBB12_264
.LBB12_2313:
	s_movk_i32 s4, 0x80
	v_cmp_eq_u16_sdwa s[12:13], v21, s4 src0_sel:BYTE_0 src1_sel:DWORD
	s_mov_b64 s[4:5], -1
                                        ; implicit-def: $sgpr10
	s_and_saveexec_b64 s[8:9], s[12:13]
; %bb.2314:
	s_mov_b32 s10, 0x7f800001
	s_xor_b64 s[4:5], exec, -1
; %bb.2315:
	s_or_b64 exec, exec, s[8:9]
	s_and_b64 s[4:5], s[4:5], exec
	s_or_saveexec_b64 s[6:7], s[6:7]
	v_mov_b32_e32 v20, s10
	s_xor_b64 exec, exec, s[6:7]
	s_cbranch_execz .LBB12_266
.LBB12_2316:
	v_mov_b32_e32 v20, 0
	v_cmp_ne_u16_sdwa s[8:9], v21, v20 src0_sel:BYTE_0 src1_sel:DWORD
	s_andn2_b64 s[4:5], s[4:5], exec
	s_and_b64 s[8:9], s[8:9], exec
	s_or_b64 s[4:5], s[4:5], s[8:9]
	s_or_b64 exec, exec, s[6:7]
	s_and_saveexec_b64 s[6:7], s[4:5]
	s_cbranch_execnz .LBB12_267
	s_branch .LBB12_268
.LBB12_2317:
	s_movk_i32 s4, 0x80
	v_cmp_eq_u16_sdwa s[12:13], v21, s4 src0_sel:BYTE_0 src1_sel:DWORD
	s_mov_b64 s[4:5], -1
                                        ; implicit-def: $sgpr10
	s_and_saveexec_b64 s[8:9], s[12:13]
; %bb.2318:
	s_mov_b32 s10, 0x7f800001
	s_xor_b64 s[4:5], exec, -1
; %bb.2319:
	s_or_b64 exec, exec, s[8:9]
	s_and_b64 s[4:5], s[4:5], exec
	s_or_saveexec_b64 s[6:7], s[6:7]
	v_mov_b32_e32 v22, s10
	s_xor_b64 exec, exec, s[6:7]
	s_cbranch_execz .LBB12_270
.LBB12_2320:
	v_mov_b32_e32 v22, 0
	v_cmp_ne_u16_sdwa s[8:9], v21, v22 src0_sel:BYTE_0 src1_sel:DWORD
	s_andn2_b64 s[4:5], s[4:5], exec
	s_and_b64 s[8:9], s[8:9], exec
	s_or_b64 s[4:5], s[4:5], s[8:9]
	s_or_b64 exec, exec, s[6:7]
	s_and_saveexec_b64 s[6:7], s[4:5]
	s_cbranch_execnz .LBB12_271
	s_branch .LBB12_272
.LBB12_2321:
	s_movk_i32 s4, 0x80
	v_cmp_eq_u16_e32 vcc, s4, v21
	s_mov_b64 s[4:5], -1
                                        ; implicit-def: $sgpr10
	s_and_saveexec_b64 s[8:9], vcc
; %bb.2322:
	s_mov_b32 s10, 0x7f800001
	s_xor_b64 s[4:5], exec, -1
; %bb.2323:
	s_or_b64 exec, exec, s[8:9]
	s_and_b64 s[4:5], s[4:5], exec
                                        ; implicit-def: $vgpr21
	s_or_saveexec_b64 s[6:7], s[6:7]
	v_mov_b32_e32 v20, s10
	s_xor_b64 exec, exec, s[6:7]
	s_cbranch_execz .LBB12_274
.LBB12_2324:
	v_cmp_ne_u16_e32 vcc, 0, v21
	s_andn2_b64 s[4:5], s[4:5], exec
	s_and_b64 s[8:9], vcc, exec
	v_mov_b32_e32 v20, 0
	s_or_b64 s[4:5], s[4:5], s[8:9]
	s_or_b64 exec, exec, s[6:7]
	s_and_saveexec_b64 s[6:7], s[4:5]
	s_cbranch_execnz .LBB12_275
	s_branch .LBB12_276
.LBB12_2325:
	s_movk_i32 s4, 0x80
	v_cmp_eq_u16_e32 vcc, s4, v21
	s_mov_b64 s[4:5], -1
                                        ; implicit-def: $sgpr10
	s_and_saveexec_b64 s[8:9], vcc
; %bb.2326:
	s_mov_b32 s10, 0x7f800001
	s_xor_b64 s[4:5], exec, -1
; %bb.2327:
	s_or_b64 exec, exec, s[8:9]
	s_and_b64 s[4:5], s[4:5], exec
                                        ; implicit-def: $vgpr21
	s_or_saveexec_b64 s[6:7], s[6:7]
	v_mov_b32_e32 v22, s10
	s_xor_b64 exec, exec, s[6:7]
	s_cbranch_execz .LBB12_278
.LBB12_2328:
	v_cmp_ne_u16_e32 vcc, 0, v21
	s_andn2_b64 s[4:5], s[4:5], exec
	s_and_b64 s[8:9], vcc, exec
	v_mov_b32_e32 v22, 0
	s_or_b64 s[4:5], s[4:5], s[8:9]
	s_or_b64 exec, exec, s[6:7]
	s_and_saveexec_b64 s[6:7], s[4:5]
	s_cbranch_execnz .LBB12_279
	s_branch .LBB12_280
.LBB12_2329:
	s_movk_i32 s4, 0x80
	v_cmp_eq_u16_sdwa s[12:13], v14, s4 src0_sel:BYTE_3 src1_sel:DWORD
	s_mov_b64 s[4:5], -1
                                        ; implicit-def: $sgpr10
	s_and_saveexec_b64 s[8:9], s[12:13]
; %bb.2330:
	s_mov_b32 s10, 0x7f800001
	s_xor_b64 s[4:5], exec, -1
; %bb.2331:
	s_or_b64 exec, exec, s[8:9]
	s_and_b64 s[4:5], s[4:5], exec
	s_or_saveexec_b64 s[6:7], s[6:7]
	v_mov_b32_e32 v20, s10
	s_xor_b64 exec, exec, s[6:7]
	s_cbranch_execz .LBB12_282
.LBB12_2332:
	v_mov_b32_e32 v20, 0
	v_cmp_ne_u16_sdwa s[8:9], v14, v20 src0_sel:BYTE_3 src1_sel:DWORD
	s_andn2_b64 s[4:5], s[4:5], exec
	s_and_b64 s[8:9], s[8:9], exec
	s_or_b64 s[4:5], s[4:5], s[8:9]
	s_or_b64 exec, exec, s[6:7]
	s_and_saveexec_b64 s[6:7], s[4:5]
	s_cbranch_execnz .LBB12_283
	s_branch .LBB12_284
.LBB12_2333:
	s_movk_i32 s4, 0x80
	v_cmp_eq_u16_sdwa s[12:13], v10, s4 src0_sel:BYTE_3 src1_sel:DWORD
	s_mov_b64 s[4:5], -1
                                        ; implicit-def: $sgpr10
	s_and_saveexec_b64 s[8:9], s[12:13]
; %bb.2334:
	s_mov_b32 s10, 0x7f800001
	s_xor_b64 s[4:5], exec, -1
; %bb.2335:
	s_or_b64 exec, exec, s[8:9]
	s_and_b64 s[4:5], s[4:5], exec
	s_or_saveexec_b64 s[6:7], s[6:7]
	v_mov_b32_e32 v14, s10
	s_xor_b64 exec, exec, s[6:7]
	s_cbranch_execz .LBB12_286
.LBB12_2336:
	v_mov_b32_e32 v14, 0
	v_cmp_ne_u16_sdwa s[8:9], v10, v14 src0_sel:BYTE_3 src1_sel:DWORD
	s_andn2_b64 s[4:5], s[4:5], exec
	s_and_b64 s[8:9], s[8:9], exec
	s_or_b64 s[4:5], s[4:5], s[8:9]
	s_or_b64 exec, exec, s[6:7]
	s_and_saveexec_b64 s[6:7], s[4:5]
	s_cbranch_execnz .LBB12_287
	s_branch .LBB12_288
.LBB12_2337:
	s_movk_i32 s4, 0x80
	v_cmp_eq_u16_sdwa s[12:13], v15, s4 src0_sel:BYTE_0 src1_sel:DWORD
	s_mov_b64 s[4:5], -1
                                        ; implicit-def: $sgpr10
	s_and_saveexec_b64 s[8:9], s[12:13]
; %bb.2338:
	s_mov_b32 s10, 0x7f800001
	s_xor_b64 s[4:5], exec, -1
; %bb.2339:
	s_or_b64 exec, exec, s[8:9]
	s_and_b64 s[4:5], s[4:5], exec
	s_or_saveexec_b64 s[6:7], s[6:7]
	v_mov_b32_e32 v10, s10
	s_xor_b64 exec, exec, s[6:7]
	s_cbranch_execz .LBB12_290
.LBB12_2340:
	v_mov_b32_e32 v10, 0
	v_cmp_ne_u16_sdwa s[8:9], v15, v10 src0_sel:BYTE_0 src1_sel:DWORD
	s_andn2_b64 s[4:5], s[4:5], exec
	s_and_b64 s[8:9], s[8:9], exec
	s_or_b64 s[4:5], s[4:5], s[8:9]
	s_or_b64 exec, exec, s[6:7]
	s_and_saveexec_b64 s[6:7], s[4:5]
	s_cbranch_execnz .LBB12_291
	s_branch .LBB12_292
.LBB12_2341:
	s_movk_i32 s4, 0x80
	v_cmp_eq_u16_sdwa s[12:13], v11, s4 src0_sel:BYTE_0 src1_sel:DWORD
	s_mov_b64 s[4:5], -1
                                        ; implicit-def: $sgpr10
	s_and_saveexec_b64 s[8:9], s[12:13]
; %bb.2342:
	s_mov_b32 s10, 0x7f800001
	s_xor_b64 s[4:5], exec, -1
; %bb.2343:
	s_or_b64 exec, exec, s[8:9]
	s_and_b64 s[4:5], s[4:5], exec
	s_or_saveexec_b64 s[6:7], s[6:7]
	v_mov_b32_e32 v14, s10
	s_xor_b64 exec, exec, s[6:7]
	s_cbranch_execz .LBB12_294
.LBB12_2344:
	v_mov_b32_e32 v14, 0
	v_cmp_ne_u16_sdwa s[8:9], v11, v14 src0_sel:BYTE_0 src1_sel:DWORD
	s_andn2_b64 s[4:5], s[4:5], exec
	s_and_b64 s[8:9], s[8:9], exec
	s_or_b64 s[4:5], s[4:5], s[8:9]
	s_or_b64 exec, exec, s[6:7]
	s_and_saveexec_b64 s[6:7], s[4:5]
	s_cbranch_execnz .LBB12_295
	s_branch .LBB12_296
.LBB12_2345:
	s_movk_i32 s4, 0x80
	v_cmp_eq_u16_sdwa s[12:13], v14, s4 src0_sel:BYTE_0 src1_sel:DWORD
	s_mov_b64 s[4:5], -1
                                        ; implicit-def: $sgpr10
	s_and_saveexec_b64 s[8:9], s[12:13]
; %bb.2346:
	s_mov_b32 s10, 0x7f800001
	s_xor_b64 s[4:5], exec, -1
; %bb.2347:
	s_or_b64 exec, exec, s[8:9]
	s_and_b64 s[4:5], s[4:5], exec
	s_or_saveexec_b64 s[6:7], s[6:7]
	v_mov_b32_e32 v10, s10
	s_xor_b64 exec, exec, s[6:7]
	s_cbranch_execz .LBB12_298
.LBB12_2348:
	v_mov_b32_e32 v10, 0
	v_cmp_ne_u16_sdwa s[8:9], v14, v10 src0_sel:BYTE_0 src1_sel:DWORD
	s_andn2_b64 s[4:5], s[4:5], exec
	s_and_b64 s[8:9], s[8:9], exec
	s_or_b64 s[4:5], s[4:5], s[8:9]
	s_or_b64 exec, exec, s[6:7]
	s_and_saveexec_b64 s[6:7], s[4:5]
	s_cbranch_execnz .LBB12_299
	s_branch .LBB12_300
.LBB12_2349:
	s_movk_i32 s4, 0x80
	v_cmp_eq_u16_sdwa s[12:13], v14, s4 src0_sel:BYTE_0 src1_sel:DWORD
	s_mov_b64 s[4:5], -1
                                        ; implicit-def: $sgpr10
	s_and_saveexec_b64 s[8:9], s[12:13]
; %bb.2350:
	s_mov_b32 s10, 0x7f800001
	s_xor_b64 s[4:5], exec, -1
; %bb.2351:
	s_or_b64 exec, exec, s[8:9]
	s_and_b64 s[4:5], s[4:5], exec
	s_or_saveexec_b64 s[6:7], s[6:7]
	v_mov_b32_e32 v20, s10
	s_xor_b64 exec, exec, s[6:7]
	s_cbranch_execz .LBB12_302
.LBB12_2352:
	v_mov_b32_e32 v20, 0
	v_cmp_ne_u16_sdwa s[8:9], v14, v20 src0_sel:BYTE_0 src1_sel:DWORD
	s_andn2_b64 s[4:5], s[4:5], exec
	s_and_b64 s[8:9], s[8:9], exec
	s_or_b64 s[4:5], s[4:5], s[8:9]
	s_or_b64 exec, exec, s[6:7]
	s_and_saveexec_b64 s[6:7], s[4:5]
	s_cbranch_execnz .LBB12_303
	s_branch .LBB12_304
.LBB12_2353:
	s_movk_i32 s4, 0x80
	v_cmp_eq_u16_e32 vcc, s4, v14
	s_mov_b64 s[4:5], -1
                                        ; implicit-def: $sgpr10
	s_and_saveexec_b64 s[8:9], vcc
; %bb.2354:
	s_mov_b32 s10, 0x7f800001
	s_xor_b64 s[4:5], exec, -1
; %bb.2355:
	s_or_b64 exec, exec, s[8:9]
	s_and_b64 s[4:5], s[4:5], exec
                                        ; implicit-def: $vgpr14
	s_or_saveexec_b64 s[6:7], s[6:7]
	v_mov_b32_e32 v10, s10
	s_xor_b64 exec, exec, s[6:7]
	s_cbranch_execz .LBB12_306
.LBB12_2356:
	v_cmp_ne_u16_e32 vcc, 0, v14
	s_andn2_b64 s[4:5], s[4:5], exec
	s_and_b64 s[8:9], vcc, exec
	v_mov_b32_e32 v10, 0
	s_or_b64 s[4:5], s[4:5], s[8:9]
	s_or_b64 exec, exec, s[6:7]
	s_and_saveexec_b64 s[6:7], s[4:5]
	s_cbranch_execnz .LBB12_307
	s_branch .LBB12_308
.LBB12_2357:
	s_movk_i32 s4, 0x80
	v_cmp_eq_u16_e32 vcc, s4, v14
	s_mov_b64 s[4:5], -1
                                        ; implicit-def: $sgpr10
	s_and_saveexec_b64 s[8:9], vcc
; %bb.2358:
	s_mov_b32 s10, 0x7f800001
	s_xor_b64 s[4:5], exec, -1
; %bb.2359:
	s_or_b64 exec, exec, s[8:9]
	s_and_b64 s[4:5], s[4:5], exec
                                        ; implicit-def: $vgpr14
	s_or_saveexec_b64 s[6:7], s[6:7]
	v_mov_b32_e32 v20, s10
	s_xor_b64 exec, exec, s[6:7]
	s_cbranch_execz .LBB12_310
.LBB12_2360:
	v_cmp_ne_u16_e32 vcc, 0, v14
	s_andn2_b64 s[4:5], s[4:5], exec
	s_and_b64 s[8:9], vcc, exec
	v_mov_b32_e32 v20, 0
	s_or_b64 s[4:5], s[4:5], s[8:9]
	s_or_b64 exec, exec, s[6:7]
	s_and_saveexec_b64 s[6:7], s[4:5]
	s_cbranch_execnz .LBB12_311
	s_branch .LBB12_312
.LBB12_2361:
	s_movk_i32 s4, 0x80
	v_cmp_eq_u16_sdwa s[12:13], v15, s4 src0_sel:BYTE_3 src1_sel:DWORD
	s_mov_b64 s[4:5], -1
                                        ; implicit-def: $sgpr10
	s_and_saveexec_b64 s[8:9], s[12:13]
; %bb.2362:
	s_mov_b32 s10, 0x7f800001
	s_xor_b64 s[4:5], exec, -1
; %bb.2363:
	s_or_b64 exec, exec, s[8:9]
	s_and_b64 s[4:5], s[4:5], exec
	s_or_saveexec_b64 s[6:7], s[6:7]
	v_mov_b32_e32 v10, s10
	s_xor_b64 exec, exec, s[6:7]
	s_cbranch_execz .LBB12_314
.LBB12_2364:
	v_mov_b32_e32 v10, 0
	v_cmp_ne_u16_sdwa s[8:9], v15, v10 src0_sel:BYTE_3 src1_sel:DWORD
	s_andn2_b64 s[4:5], s[4:5], exec
	s_and_b64 s[8:9], s[8:9], exec
	s_or_b64 s[4:5], s[4:5], s[8:9]
	s_or_b64 exec, exec, s[6:7]
	s_and_saveexec_b64 s[6:7], s[4:5]
	s_cbranch_execnz .LBB12_315
	s_branch .LBB12_316
.LBB12_2365:
	s_movk_i32 s4, 0x80
	v_cmp_eq_u16_sdwa s[12:13], v11, s4 src0_sel:BYTE_3 src1_sel:DWORD
	s_mov_b64 s[4:5], -1
                                        ; implicit-def: $sgpr10
	s_and_saveexec_b64 s[8:9], s[12:13]
; %bb.2366:
	s_mov_b32 s10, 0x7f800001
	s_xor_b64 s[4:5], exec, -1
; %bb.2367:
	s_or_b64 exec, exec, s[8:9]
	s_and_b64 s[4:5], s[4:5], exec
	s_or_saveexec_b64 s[6:7], s[6:7]
	v_mov_b32_e32 v14, s10
	s_xor_b64 exec, exec, s[6:7]
	s_cbranch_execz .LBB12_318
.LBB12_2368:
	v_mov_b32_e32 v14, 0
	v_cmp_ne_u16_sdwa s[8:9], v11, v14 src0_sel:BYTE_3 src1_sel:DWORD
	s_andn2_b64 s[4:5], s[4:5], exec
	s_and_b64 s[8:9], s[8:9], exec
	s_or_b64 s[4:5], s[4:5], s[8:9]
	s_or_b64 exec, exec, s[6:7]
	s_and_saveexec_b64 s[6:7], s[4:5]
	s_cbranch_execnz .LBB12_319
	s_branch .LBB12_320
.LBB12_2369:
	s_movk_i32 s4, 0x80
	v_cmp_eq_u16_sdwa s[12:13], v16, s4 src0_sel:BYTE_0 src1_sel:DWORD
	s_mov_b64 s[4:5], -1
                                        ; implicit-def: $sgpr10
	s_and_saveexec_b64 s[8:9], s[12:13]
; %bb.2370:
	s_mov_b32 s10, 0x7f800001
	s_xor_b64 s[4:5], exec, -1
; %bb.2371:
	s_or_b64 exec, exec, s[8:9]
	s_and_b64 s[4:5], s[4:5], exec
	s_or_saveexec_b64 s[6:7], s[6:7]
	v_mov_b32_e32 v10, s10
	s_xor_b64 exec, exec, s[6:7]
	s_cbranch_execz .LBB12_322
.LBB12_2372:
	v_mov_b32_e32 v10, 0
	v_cmp_ne_u16_sdwa s[8:9], v16, v10 src0_sel:BYTE_0 src1_sel:DWORD
	s_andn2_b64 s[4:5], s[4:5], exec
	s_and_b64 s[8:9], s[8:9], exec
	s_or_b64 s[4:5], s[4:5], s[8:9]
	s_or_b64 exec, exec, s[6:7]
	s_and_saveexec_b64 s[6:7], s[4:5]
	s_cbranch_execnz .LBB12_323
	s_branch .LBB12_324
.LBB12_2373:
	s_movk_i32 s4, 0x80
	v_cmp_eq_u16_sdwa s[12:13], v12, s4 src0_sel:BYTE_0 src1_sel:DWORD
	s_mov_b64 s[4:5], -1
                                        ; implicit-def: $sgpr10
	s_and_saveexec_b64 s[8:9], s[12:13]
; %bb.2374:
	s_mov_b32 s10, 0x7f800001
	s_xor_b64 s[4:5], exec, -1
; %bb.2375:
	s_or_b64 exec, exec, s[8:9]
	s_and_b64 s[4:5], s[4:5], exec
	s_or_saveexec_b64 s[6:7], s[6:7]
	v_mov_b32_e32 v11, s10
	s_xor_b64 exec, exec, s[6:7]
	s_cbranch_execz .LBB12_326
.LBB12_2376:
	v_mov_b32_e32 v11, 0
	v_cmp_ne_u16_sdwa s[8:9], v12, v11 src0_sel:BYTE_0 src1_sel:DWORD
	s_andn2_b64 s[4:5], s[4:5], exec
	s_and_b64 s[8:9], s[8:9], exec
	s_or_b64 s[4:5], s[4:5], s[8:9]
	s_or_b64 exec, exec, s[6:7]
	s_and_saveexec_b64 s[6:7], s[4:5]
	s_cbranch_execnz .LBB12_327
	s_branch .LBB12_328
.LBB12_2377:
	s_movk_i32 s4, 0x80
	v_cmp_eq_u16_sdwa s[12:13], v11, s4 src0_sel:BYTE_0 src1_sel:DWORD
	s_mov_b64 s[4:5], -1
                                        ; implicit-def: $sgpr10
	s_and_saveexec_b64 s[8:9], s[12:13]
; %bb.2378:
	s_mov_b32 s10, 0x7f800001
	s_xor_b64 s[4:5], exec, -1
; %bb.2379:
	s_or_b64 exec, exec, s[8:9]
	s_and_b64 s[4:5], s[4:5], exec
	s_or_saveexec_b64 s[6:7], s[6:7]
	v_mov_b32_e32 v10, s10
	s_xor_b64 exec, exec, s[6:7]
	s_cbranch_execz .LBB12_330
.LBB12_2380:
	v_mov_b32_e32 v10, 0
	v_cmp_ne_u16_sdwa s[8:9], v11, v10 src0_sel:BYTE_0 src1_sel:DWORD
	s_andn2_b64 s[4:5], s[4:5], exec
	s_and_b64 s[8:9], s[8:9], exec
	s_or_b64 s[4:5], s[4:5], s[8:9]
	s_or_b64 exec, exec, s[6:7]
	s_and_saveexec_b64 s[6:7], s[4:5]
	s_cbranch_execnz .LBB12_331
	s_branch .LBB12_332
.LBB12_2381:
	s_movk_i32 s4, 0x80
	v_cmp_eq_u16_sdwa s[12:13], v11, s4 src0_sel:BYTE_0 src1_sel:DWORD
	s_mov_b64 s[4:5], -1
                                        ; implicit-def: $sgpr10
	s_and_saveexec_b64 s[8:9], s[12:13]
; %bb.2382:
	s_mov_b32 s10, 0x7f800001
	s_xor_b64 s[4:5], exec, -1
; %bb.2383:
	s_or_b64 exec, exec, s[8:9]
	s_and_b64 s[4:5], s[4:5], exec
	s_or_saveexec_b64 s[6:7], s[6:7]
	v_mov_b32_e32 v14, s10
	s_xor_b64 exec, exec, s[6:7]
	s_cbranch_execz .LBB12_334
.LBB12_2384:
	v_mov_b32_e32 v14, 0
	v_cmp_ne_u16_sdwa s[8:9], v11, v14 src0_sel:BYTE_0 src1_sel:DWORD
	s_andn2_b64 s[4:5], s[4:5], exec
	s_and_b64 s[8:9], s[8:9], exec
	s_or_b64 s[4:5], s[4:5], s[8:9]
	s_or_b64 exec, exec, s[6:7]
	s_and_saveexec_b64 s[6:7], s[4:5]
	s_cbranch_execnz .LBB12_335
	s_branch .LBB12_336
.LBB12_2385:
	s_movk_i32 s4, 0x80
	v_cmp_eq_u16_e32 vcc, s4, v11
	s_mov_b64 s[4:5], -1
                                        ; implicit-def: $sgpr10
	s_and_saveexec_b64 s[8:9], vcc
; %bb.2386:
	s_mov_b32 s10, 0x7f800001
	s_xor_b64 s[4:5], exec, -1
; %bb.2387:
	s_or_b64 exec, exec, s[8:9]
	s_and_b64 s[4:5], s[4:5], exec
                                        ; implicit-def: $vgpr11
	s_or_saveexec_b64 s[6:7], s[6:7]
	v_mov_b32_e32 v10, s10
	s_xor_b64 exec, exec, s[6:7]
	s_cbranch_execz .LBB12_338
.LBB12_2388:
	v_cmp_ne_u16_e32 vcc, 0, v11
	s_andn2_b64 s[4:5], s[4:5], exec
	s_and_b64 s[8:9], vcc, exec
	v_mov_b32_e32 v10, 0
	s_or_b64 s[4:5], s[4:5], s[8:9]
	s_or_b64 exec, exec, s[6:7]
	s_and_saveexec_b64 s[6:7], s[4:5]
	s_cbranch_execnz .LBB12_339
	s_branch .LBB12_340
.LBB12_2389:
	s_movk_i32 s4, 0x80
	v_cmp_eq_u16_e32 vcc, s4, v11
	s_mov_b64 s[4:5], -1
                                        ; implicit-def: $sgpr10
	s_and_saveexec_b64 s[8:9], vcc
; %bb.2390:
	s_mov_b32 s10, 0x7f800001
	s_xor_b64 s[4:5], exec, -1
; %bb.2391:
	s_or_b64 exec, exec, s[8:9]
	s_and_b64 s[4:5], s[4:5], exec
                                        ; implicit-def: $vgpr11
	s_or_saveexec_b64 s[6:7], s[6:7]
	v_mov_b32_e32 v14, s10
	s_xor_b64 exec, exec, s[6:7]
	s_cbranch_execz .LBB12_342
.LBB12_2392:
	v_cmp_ne_u16_e32 vcc, 0, v11
	s_andn2_b64 s[4:5], s[4:5], exec
	s_and_b64 s[8:9], vcc, exec
	v_mov_b32_e32 v14, 0
	s_or_b64 s[4:5], s[4:5], s[8:9]
	s_or_b64 exec, exec, s[6:7]
	s_and_saveexec_b64 s[6:7], s[4:5]
	s_cbranch_execnz .LBB12_343
	s_branch .LBB12_344
.LBB12_2393:
	s_movk_i32 s4, 0x80
	v_cmp_eq_u16_sdwa s[12:13], v16, s4 src0_sel:BYTE_3 src1_sel:DWORD
	s_mov_b64 s[4:5], -1
                                        ; implicit-def: $sgpr10
	s_and_saveexec_b64 s[8:9], s[12:13]
; %bb.2394:
	s_mov_b32 s10, 0x7f800001
	s_xor_b64 s[4:5], exec, -1
; %bb.2395:
	s_or_b64 exec, exec, s[8:9]
	s_and_b64 s[4:5], s[4:5], exec
	s_or_saveexec_b64 s[6:7], s[6:7]
	v_mov_b32_e32 v10, s10
	s_xor_b64 exec, exec, s[6:7]
	s_cbranch_execz .LBB12_346
.LBB12_2396:
	v_mov_b32_e32 v10, 0
	v_cmp_ne_u16_sdwa s[8:9], v16, v10 src0_sel:BYTE_3 src1_sel:DWORD
	s_andn2_b64 s[4:5], s[4:5], exec
	s_and_b64 s[8:9], s[8:9], exec
	s_or_b64 s[4:5], s[4:5], s[8:9]
	s_or_b64 exec, exec, s[6:7]
	s_and_saveexec_b64 s[6:7], s[4:5]
	s_cbranch_execnz .LBB12_347
	s_branch .LBB12_348
.LBB12_2397:
	s_movk_i32 s4, 0x80
	v_cmp_eq_u16_sdwa s[12:13], v12, s4 src0_sel:BYTE_3 src1_sel:DWORD
	s_mov_b64 s[4:5], -1
                                        ; implicit-def: $sgpr10
	s_and_saveexec_b64 s[8:9], s[12:13]
; %bb.2398:
	s_mov_b32 s10, 0x7f800001
	s_xor_b64 s[4:5], exec, -1
; %bb.2399:
	s_or_b64 exec, exec, s[8:9]
	s_and_b64 s[4:5], s[4:5], exec
	s_or_saveexec_b64 s[6:7], s[6:7]
	v_mov_b32_e32 v11, s10
	s_xor_b64 exec, exec, s[6:7]
	s_cbranch_execz .LBB12_350
.LBB12_2400:
	v_mov_b32_e32 v11, 0
	v_cmp_ne_u16_sdwa s[8:9], v12, v11 src0_sel:BYTE_3 src1_sel:DWORD
	s_andn2_b64 s[4:5], s[4:5], exec
	s_and_b64 s[8:9], s[8:9], exec
	s_or_b64 s[4:5], s[4:5], s[8:9]
	s_or_b64 exec, exec, s[6:7]
	s_and_saveexec_b64 s[6:7], s[4:5]
	s_cbranch_execnz .LBB12_351
	s_branch .LBB12_352
.LBB12_2401:
	s_movk_i32 s4, 0x80
	v_cmp_eq_u16_sdwa s[12:13], v17, s4 src0_sel:BYTE_0 src1_sel:DWORD
	s_mov_b64 s[4:5], -1
                                        ; implicit-def: $sgpr10
	s_and_saveexec_b64 s[8:9], s[12:13]
; %bb.2402:
	s_mov_b32 s10, 0x7f800001
	s_xor_b64 s[4:5], exec, -1
; %bb.2403:
	s_or_b64 exec, exec, s[8:9]
	s_and_b64 s[4:5], s[4:5], exec
	s_or_saveexec_b64 s[6:7], s[6:7]
	v_mov_b32_e32 v10, s10
	s_xor_b64 exec, exec, s[6:7]
	s_cbranch_execz .LBB12_354
.LBB12_2404:
	v_mov_b32_e32 v10, 0
	v_cmp_ne_u16_sdwa s[8:9], v17, v10 src0_sel:BYTE_0 src1_sel:DWORD
	s_andn2_b64 s[4:5], s[4:5], exec
	s_and_b64 s[8:9], s[8:9], exec
	s_or_b64 s[4:5], s[4:5], s[8:9]
	s_or_b64 exec, exec, s[6:7]
	s_and_saveexec_b64 s[6:7], s[4:5]
	s_cbranch_execnz .LBB12_355
	s_branch .LBB12_356
.LBB12_2405:
	s_movk_i32 s4, 0x80
	v_cmp_eq_u16_sdwa s[12:13], v13, s4 src0_sel:BYTE_0 src1_sel:DWORD
	s_mov_b64 s[4:5], -1
                                        ; implicit-def: $sgpr10
	s_and_saveexec_b64 s[8:9], s[12:13]
; %bb.2406:
	s_mov_b32 s10, 0x7f800001
	s_xor_b64 s[4:5], exec, -1
; %bb.2407:
	s_or_b64 exec, exec, s[8:9]
	s_and_b64 s[4:5], s[4:5], exec
	s_or_saveexec_b64 s[6:7], s[6:7]
	v_mov_b32_e32 v11, s10
	s_xor_b64 exec, exec, s[6:7]
	s_cbranch_execz .LBB12_358
.LBB12_2408:
	v_mov_b32_e32 v11, 0
	v_cmp_ne_u16_sdwa s[8:9], v13, v11 src0_sel:BYTE_0 src1_sel:DWORD
	s_andn2_b64 s[4:5], s[4:5], exec
	s_and_b64 s[8:9], s[8:9], exec
	s_or_b64 s[4:5], s[4:5], s[8:9]
	s_or_b64 exec, exec, s[6:7]
	s_and_saveexec_b64 s[6:7], s[4:5]
	s_cbranch_execnz .LBB12_359
	s_branch .LBB12_360
.LBB12_2409:
	s_movk_i32 s4, 0x80
	v_cmp_eq_u16_sdwa s[12:13], v11, s4 src0_sel:BYTE_0 src1_sel:DWORD
	s_mov_b64 s[4:5], -1
                                        ; implicit-def: $sgpr10
	s_and_saveexec_b64 s[8:9], s[12:13]
; %bb.2410:
	s_mov_b32 s10, 0x7f800001
	s_xor_b64 s[4:5], exec, -1
; %bb.2411:
	s_or_b64 exec, exec, s[8:9]
	s_and_b64 s[4:5], s[4:5], exec
	s_or_saveexec_b64 s[6:7], s[6:7]
	v_mov_b32_e32 v10, s10
	s_xor_b64 exec, exec, s[6:7]
	s_cbranch_execz .LBB12_362
.LBB12_2412:
	v_mov_b32_e32 v10, 0
	v_cmp_ne_u16_sdwa s[8:9], v11, v10 src0_sel:BYTE_0 src1_sel:DWORD
	s_andn2_b64 s[4:5], s[4:5], exec
	s_and_b64 s[8:9], s[8:9], exec
	s_or_b64 s[4:5], s[4:5], s[8:9]
	s_or_b64 exec, exec, s[6:7]
	s_and_saveexec_b64 s[6:7], s[4:5]
	s_cbranch_execnz .LBB12_363
	s_branch .LBB12_364
.LBB12_2413:
	s_movk_i32 s4, 0x80
	v_cmp_eq_u16_sdwa s[12:13], v11, s4 src0_sel:BYTE_0 src1_sel:DWORD
	s_mov_b64 s[4:5], -1
                                        ; implicit-def: $sgpr10
	s_and_saveexec_b64 s[8:9], s[12:13]
; %bb.2414:
	s_mov_b32 s10, 0x7f800001
	s_xor_b64 s[4:5], exec, -1
; %bb.2415:
	s_or_b64 exec, exec, s[8:9]
	s_and_b64 s[4:5], s[4:5], exec
	s_or_saveexec_b64 s[6:7], s[6:7]
	v_mov_b32_e32 v12, s10
	s_xor_b64 exec, exec, s[6:7]
	s_cbranch_execz .LBB12_366
.LBB12_2416:
	v_mov_b32_e32 v12, 0
	v_cmp_ne_u16_sdwa s[8:9], v11, v12 src0_sel:BYTE_0 src1_sel:DWORD
	s_andn2_b64 s[4:5], s[4:5], exec
	s_and_b64 s[8:9], s[8:9], exec
	s_or_b64 s[4:5], s[4:5], s[8:9]
	s_or_b64 exec, exec, s[6:7]
	s_and_saveexec_b64 s[6:7], s[4:5]
	s_cbranch_execnz .LBB12_367
	s_branch .LBB12_368
.LBB12_2417:
	s_movk_i32 s4, 0x80
	v_cmp_eq_u16_e32 vcc, s4, v11
	s_mov_b64 s[4:5], -1
                                        ; implicit-def: $sgpr10
	s_and_saveexec_b64 s[8:9], vcc
; %bb.2418:
	s_mov_b32 s10, 0x7f800001
	s_xor_b64 s[4:5], exec, -1
; %bb.2419:
	s_or_b64 exec, exec, s[8:9]
	s_and_b64 s[4:5], s[4:5], exec
                                        ; implicit-def: $vgpr11
	s_or_saveexec_b64 s[6:7], s[6:7]
	v_mov_b32_e32 v10, s10
	s_xor_b64 exec, exec, s[6:7]
	s_cbranch_execz .LBB12_370
.LBB12_2420:
	v_cmp_ne_u16_e32 vcc, 0, v11
	s_andn2_b64 s[4:5], s[4:5], exec
	s_and_b64 s[8:9], vcc, exec
	v_mov_b32_e32 v10, 0
	s_or_b64 s[4:5], s[4:5], s[8:9]
	s_or_b64 exec, exec, s[6:7]
	s_and_saveexec_b64 s[6:7], s[4:5]
	s_cbranch_execnz .LBB12_371
	s_branch .LBB12_372
.LBB12_2421:
	s_movk_i32 s4, 0x80
	v_cmp_eq_u16_e32 vcc, s4, v11
	s_mov_b64 s[4:5], -1
                                        ; implicit-def: $sgpr10
	s_and_saveexec_b64 s[8:9], vcc
; %bb.2422:
	s_mov_b32 s10, 0x7f800001
	s_xor_b64 s[4:5], exec, -1
; %bb.2423:
	s_or_b64 exec, exec, s[8:9]
	s_and_b64 s[4:5], s[4:5], exec
                                        ; implicit-def: $vgpr11
	s_or_saveexec_b64 s[6:7], s[6:7]
	v_mov_b32_e32 v12, s10
	s_xor_b64 exec, exec, s[6:7]
	s_cbranch_execz .LBB12_374
.LBB12_2424:
	v_cmp_ne_u16_e32 vcc, 0, v11
	s_andn2_b64 s[4:5], s[4:5], exec
	s_and_b64 s[8:9], vcc, exec
	v_mov_b32_e32 v12, 0
	s_or_b64 s[4:5], s[4:5], s[8:9]
	s_or_b64 exec, exec, s[6:7]
	s_and_saveexec_b64 s[6:7], s[4:5]
	s_cbranch_execnz .LBB12_375
	s_branch .LBB12_376
.LBB12_2425:
	s_movk_i32 s4, 0x80
	v_cmp_eq_u16_sdwa s[12:13], v17, s4 src0_sel:BYTE_3 src1_sel:DWORD
	s_mov_b64 s[4:5], -1
                                        ; implicit-def: $sgpr10
	s_and_saveexec_b64 s[8:9], s[12:13]
; %bb.2426:
	s_mov_b32 s10, 0x7f800001
	s_xor_b64 s[4:5], exec, -1
; %bb.2427:
	s_or_b64 exec, exec, s[8:9]
	s_and_b64 s[4:5], s[4:5], exec
	s_or_saveexec_b64 s[6:7], s[6:7]
	v_mov_b32_e32 v10, s10
	s_xor_b64 exec, exec, s[6:7]
	s_cbranch_execz .LBB12_378
.LBB12_2428:
	v_mov_b32_e32 v10, 0
	v_cmp_ne_u16_sdwa s[8:9], v17, v10 src0_sel:BYTE_3 src1_sel:DWORD
	s_andn2_b64 s[4:5], s[4:5], exec
	s_and_b64 s[8:9], s[8:9], exec
	s_or_b64 s[4:5], s[4:5], s[8:9]
	s_or_b64 exec, exec, s[6:7]
	s_and_saveexec_b64 s[6:7], s[4:5]
	s_cbranch_execnz .LBB12_379
	s_branch .LBB12_380
.LBB12_2429:
	s_movk_i32 s4, 0x80
	v_cmp_eq_u16_sdwa s[12:13], v13, s4 src0_sel:BYTE_3 src1_sel:DWORD
	s_mov_b64 s[4:5], -1
                                        ; implicit-def: $sgpr10
	s_and_saveexec_b64 s[8:9], s[12:13]
; %bb.2430:
	s_mov_b32 s10, 0x7f800001
	s_xor_b64 s[4:5], exec, -1
; %bb.2431:
	s_or_b64 exec, exec, s[8:9]
	s_and_b64 s[4:5], s[4:5], exec
	s_or_saveexec_b64 s[6:7], s[6:7]
	v_mov_b32_e32 v11, s10
	s_xor_b64 exec, exec, s[6:7]
	s_cbranch_execz .LBB12_382
.LBB12_2432:
	v_mov_b32_e32 v11, 0
	v_cmp_ne_u16_sdwa s[8:9], v13, v11 src0_sel:BYTE_3 src1_sel:DWORD
	s_andn2_b64 s[4:5], s[4:5], exec
	s_and_b64 s[8:9], s[8:9], exec
	s_or_b64 s[4:5], s[4:5], s[8:9]
	s_or_b64 exec, exec, s[6:7]
	s_and_saveexec_b64 s[6:7], s[4:5]
	s_cbranch_execnz .LBB12_383
	s_branch .LBB12_384
.LBB12_2433:
	s_movk_i32 s4, 0x80
	v_cmp_eq_u16_sdwa s[12:13], v6, s4 src0_sel:BYTE_0 src1_sel:DWORD
	s_mov_b64 s[4:5], -1
                                        ; implicit-def: $sgpr10
	s_and_saveexec_b64 s[8:9], s[12:13]
; %bb.2434:
	s_mov_b32 s10, 0x7f800001
	s_xor_b64 s[4:5], exec, -1
; %bb.2435:
	s_or_b64 exec, exec, s[8:9]
	s_and_b64 s[4:5], s[4:5], exec
	s_or_saveexec_b64 s[6:7], s[6:7]
	v_mov_b32_e32 v10, s10
	s_xor_b64 exec, exec, s[6:7]
	s_cbranch_execz .LBB12_386
.LBB12_2436:
	v_mov_b32_e32 v10, 0
	v_cmp_ne_u16_sdwa s[8:9], v6, v10 src0_sel:BYTE_0 src1_sel:DWORD
	s_andn2_b64 s[4:5], s[4:5], exec
	s_and_b64 s[8:9], s[8:9], exec
	s_or_b64 s[4:5], s[4:5], s[8:9]
	s_or_b64 exec, exec, s[6:7]
	s_and_saveexec_b64 s[6:7], s[4:5]
	s_cbranch_execnz .LBB12_387
	s_branch .LBB12_388
.LBB12_2437:
	s_movk_i32 s4, 0x80
	v_cmp_eq_u16_sdwa s[12:13], v2, s4 src0_sel:BYTE_0 src1_sel:DWORD
	s_mov_b64 s[4:5], -1
                                        ; implicit-def: $sgpr10
	s_and_saveexec_b64 s[8:9], s[12:13]
; %bb.2438:
	s_mov_b32 s10, 0x7f800001
	s_xor_b64 s[4:5], exec, -1
; %bb.2439:
	s_or_b64 exec, exec, s[8:9]
	s_and_b64 s[4:5], s[4:5], exec
	s_or_saveexec_b64 s[6:7], s[6:7]
	v_mov_b32_e32 v11, s10
	s_xor_b64 exec, exec, s[6:7]
	s_cbranch_execz .LBB12_390
.LBB12_2440:
	v_mov_b32_e32 v11, 0
	v_cmp_ne_u16_sdwa s[8:9], v2, v11 src0_sel:BYTE_0 src1_sel:DWORD
	s_andn2_b64 s[4:5], s[4:5], exec
	s_and_b64 s[8:9], s[8:9], exec
	s_or_b64 s[4:5], s[4:5], s[8:9]
	s_or_b64 exec, exec, s[6:7]
	s_and_saveexec_b64 s[6:7], s[4:5]
	s_cbranch_execnz .LBB12_391
	s_branch .LBB12_392
.LBB12_2441:
	s_movk_i32 s4, 0x80
	v_cmp_eq_u16_sdwa s[12:13], v11, s4 src0_sel:BYTE_0 src1_sel:DWORD
	s_mov_b64 s[4:5], -1
                                        ; implicit-def: $sgpr10
	s_and_saveexec_b64 s[8:9], s[12:13]
; %bb.2442:
	s_mov_b32 s10, 0x7f800001
	s_xor_b64 s[4:5], exec, -1
; %bb.2443:
	s_or_b64 exec, exec, s[8:9]
	s_and_b64 s[4:5], s[4:5], exec
	s_or_saveexec_b64 s[6:7], s[6:7]
	v_mov_b32_e32 v10, s10
	s_xor_b64 exec, exec, s[6:7]
	s_cbranch_execz .LBB12_394
.LBB12_2444:
	v_mov_b32_e32 v10, 0
	v_cmp_ne_u16_sdwa s[8:9], v11, v10 src0_sel:BYTE_0 src1_sel:DWORD
	s_andn2_b64 s[4:5], s[4:5], exec
	s_and_b64 s[8:9], s[8:9], exec
	s_or_b64 s[4:5], s[4:5], s[8:9]
	s_or_b64 exec, exec, s[6:7]
	s_and_saveexec_b64 s[6:7], s[4:5]
	s_cbranch_execnz .LBB12_395
	s_branch .LBB12_396
.LBB12_2445:
	s_movk_i32 s4, 0x80
	v_cmp_eq_u16_sdwa s[12:13], v11, s4 src0_sel:BYTE_0 src1_sel:DWORD
	s_mov_b64 s[4:5], -1
                                        ; implicit-def: $sgpr10
	s_and_saveexec_b64 s[8:9], s[12:13]
; %bb.2446:
	s_mov_b32 s10, 0x7f800001
	s_xor_b64 s[4:5], exec, -1
; %bb.2447:
	s_or_b64 exec, exec, s[8:9]
	s_and_b64 s[4:5], s[4:5], exec
	s_or_saveexec_b64 s[6:7], s[6:7]
	v_mov_b32_e32 v12, s10
	s_xor_b64 exec, exec, s[6:7]
	s_cbranch_execz .LBB12_398
.LBB12_2448:
	v_mov_b32_e32 v12, 0
	v_cmp_ne_u16_sdwa s[8:9], v11, v12 src0_sel:BYTE_0 src1_sel:DWORD
	s_andn2_b64 s[4:5], s[4:5], exec
	s_and_b64 s[8:9], s[8:9], exec
	s_or_b64 s[4:5], s[4:5], s[8:9]
	s_or_b64 exec, exec, s[6:7]
	s_and_saveexec_b64 s[6:7], s[4:5]
	s_cbranch_execnz .LBB12_399
	s_branch .LBB12_400
.LBB12_2449:
	s_movk_i32 s4, 0x80
	v_cmp_eq_u16_e32 vcc, s4, v11
	s_mov_b64 s[4:5], -1
                                        ; implicit-def: $sgpr10
	s_and_saveexec_b64 s[8:9], vcc
; %bb.2450:
	s_mov_b32 s10, 0x7f800001
	s_xor_b64 s[4:5], exec, -1
; %bb.2451:
	s_or_b64 exec, exec, s[8:9]
	s_and_b64 s[4:5], s[4:5], exec
                                        ; implicit-def: $vgpr11
	s_or_saveexec_b64 s[6:7], s[6:7]
	v_mov_b32_e32 v10, s10
	s_xor_b64 exec, exec, s[6:7]
	s_cbranch_execz .LBB12_402
.LBB12_2452:
	v_cmp_ne_u16_e32 vcc, 0, v11
	s_andn2_b64 s[4:5], s[4:5], exec
	s_and_b64 s[8:9], vcc, exec
	v_mov_b32_e32 v10, 0
	s_or_b64 s[4:5], s[4:5], s[8:9]
	s_or_b64 exec, exec, s[6:7]
	s_and_saveexec_b64 s[6:7], s[4:5]
	s_cbranch_execnz .LBB12_403
	s_branch .LBB12_404
.LBB12_2453:
	s_movk_i32 s4, 0x80
	v_cmp_eq_u16_e32 vcc, s4, v11
	s_mov_b64 s[4:5], -1
                                        ; implicit-def: $sgpr10
	s_and_saveexec_b64 s[8:9], vcc
; %bb.2454:
	s_mov_b32 s10, 0x7f800001
	s_xor_b64 s[4:5], exec, -1
; %bb.2455:
	s_or_b64 exec, exec, s[8:9]
	s_and_b64 s[4:5], s[4:5], exec
                                        ; implicit-def: $vgpr11
	s_or_saveexec_b64 s[6:7], s[6:7]
	v_mov_b32_e32 v12, s10
	s_xor_b64 exec, exec, s[6:7]
	s_cbranch_execz .LBB12_406
.LBB12_2456:
	v_cmp_ne_u16_e32 vcc, 0, v11
	s_andn2_b64 s[4:5], s[4:5], exec
	s_and_b64 s[8:9], vcc, exec
	v_mov_b32_e32 v12, 0
	s_or_b64 s[4:5], s[4:5], s[8:9]
	s_or_b64 exec, exec, s[6:7]
	s_and_saveexec_b64 s[6:7], s[4:5]
	s_cbranch_execnz .LBB12_407
	s_branch .LBB12_408
.LBB12_2457:
	s_movk_i32 s4, 0x80
	v_cmp_eq_u16_sdwa s[12:13], v6, s4 src0_sel:BYTE_3 src1_sel:DWORD
	s_mov_b64 s[4:5], -1
                                        ; implicit-def: $sgpr10
	s_and_saveexec_b64 s[8:9], s[12:13]
; %bb.2458:
	s_mov_b32 s10, 0x7f800001
	s_xor_b64 s[4:5], exec, -1
; %bb.2459:
	s_or_b64 exec, exec, s[8:9]
	s_and_b64 s[4:5], s[4:5], exec
	s_or_saveexec_b64 s[6:7], s[6:7]
	v_mov_b32_e32 v10, s10
	s_xor_b64 exec, exec, s[6:7]
	s_cbranch_execz .LBB12_410
.LBB12_2460:
	v_mov_b32_e32 v10, 0
	v_cmp_ne_u16_sdwa s[8:9], v6, v10 src0_sel:BYTE_3 src1_sel:DWORD
	s_andn2_b64 s[4:5], s[4:5], exec
	s_and_b64 s[8:9], s[8:9], exec
	s_or_b64 s[4:5], s[4:5], s[8:9]
	s_or_b64 exec, exec, s[6:7]
	s_and_saveexec_b64 s[6:7], s[4:5]
	s_cbranch_execnz .LBB12_411
	s_branch .LBB12_412
.LBB12_2461:
	s_movk_i32 s4, 0x80
	v_cmp_eq_u16_sdwa s[12:13], v2, s4 src0_sel:BYTE_3 src1_sel:DWORD
	s_mov_b64 s[4:5], -1
                                        ; implicit-def: $sgpr10
	s_and_saveexec_b64 s[8:9], s[12:13]
; %bb.2462:
	s_mov_b32 s10, 0x7f800001
	s_xor_b64 s[4:5], exec, -1
; %bb.2463:
	s_or_b64 exec, exec, s[8:9]
	s_and_b64 s[4:5], s[4:5], exec
	s_or_saveexec_b64 s[6:7], s[6:7]
	v_mov_b32_e32 v6, s10
	s_xor_b64 exec, exec, s[6:7]
	s_cbranch_execz .LBB12_414
.LBB12_2464:
	v_mov_b32_e32 v6, 0
	v_cmp_ne_u16_sdwa s[8:9], v2, v6 src0_sel:BYTE_3 src1_sel:DWORD
	s_andn2_b64 s[4:5], s[4:5], exec
	s_and_b64 s[8:9], s[8:9], exec
	s_or_b64 s[4:5], s[4:5], s[8:9]
	s_or_b64 exec, exec, s[6:7]
	s_and_saveexec_b64 s[6:7], s[4:5]
	s_cbranch_execnz .LBB12_415
	s_branch .LBB12_416
.LBB12_2465:
	s_movk_i32 s4, 0x80
	v_cmp_eq_u16_sdwa s[12:13], v7, s4 src0_sel:BYTE_0 src1_sel:DWORD
	s_mov_b64 s[4:5], -1
                                        ; implicit-def: $sgpr10
	s_and_saveexec_b64 s[8:9], s[12:13]
; %bb.2466:
	s_mov_b32 s10, 0x7f800001
	s_xor_b64 s[4:5], exec, -1
; %bb.2467:
	s_or_b64 exec, exec, s[8:9]
	s_and_b64 s[4:5], s[4:5], exec
	s_or_saveexec_b64 s[6:7], s[6:7]
	v_mov_b32_e32 v2, s10
	s_xor_b64 exec, exec, s[6:7]
	s_cbranch_execz .LBB12_418
.LBB12_2468:
	v_mov_b32_e32 v2, 0
	v_cmp_ne_u16_sdwa s[8:9], v7, v2 src0_sel:BYTE_0 src1_sel:DWORD
	s_andn2_b64 s[4:5], s[4:5], exec
	s_and_b64 s[8:9], s[8:9], exec
	s_or_b64 s[4:5], s[4:5], s[8:9]
	s_or_b64 exec, exec, s[6:7]
	s_and_saveexec_b64 s[6:7], s[4:5]
	s_cbranch_execnz .LBB12_419
	s_branch .LBB12_420
.LBB12_2469:
	s_movk_i32 s4, 0x80
	v_cmp_eq_u16_sdwa s[12:13], v3, s4 src0_sel:BYTE_0 src1_sel:DWORD
	s_mov_b64 s[4:5], -1
                                        ; implicit-def: $sgpr10
	s_and_saveexec_b64 s[8:9], s[12:13]
; %bb.2470:
	s_mov_b32 s10, 0x7f800001
	s_xor_b64 s[4:5], exec, -1
; %bb.2471:
	s_or_b64 exec, exec, s[8:9]
	s_and_b64 s[4:5], s[4:5], exec
	s_or_saveexec_b64 s[6:7], s[6:7]
	v_mov_b32_e32 v6, s10
	s_xor_b64 exec, exec, s[6:7]
	s_cbranch_execz .LBB12_422
.LBB12_2472:
	v_mov_b32_e32 v6, 0
	v_cmp_ne_u16_sdwa s[8:9], v3, v6 src0_sel:BYTE_0 src1_sel:DWORD
	s_andn2_b64 s[4:5], s[4:5], exec
	s_and_b64 s[8:9], s[8:9], exec
	s_or_b64 s[4:5], s[4:5], s[8:9]
	s_or_b64 exec, exec, s[6:7]
	s_and_saveexec_b64 s[6:7], s[4:5]
	s_cbranch_execnz .LBB12_423
	s_branch .LBB12_424
.LBB12_2473:
	s_movk_i32 s4, 0x80
	v_cmp_eq_u16_sdwa s[12:13], v6, s4 src0_sel:BYTE_0 src1_sel:DWORD
	s_mov_b64 s[4:5], -1
                                        ; implicit-def: $sgpr10
	s_and_saveexec_b64 s[8:9], s[12:13]
; %bb.2474:
	s_mov_b32 s10, 0x7f800001
	s_xor_b64 s[4:5], exec, -1
; %bb.2475:
	s_or_b64 exec, exec, s[8:9]
	s_and_b64 s[4:5], s[4:5], exec
	s_or_saveexec_b64 s[6:7], s[6:7]
	v_mov_b32_e32 v2, s10
	s_xor_b64 exec, exec, s[6:7]
	s_cbranch_execz .LBB12_426
.LBB12_2476:
	v_mov_b32_e32 v2, 0
	v_cmp_ne_u16_sdwa s[8:9], v6, v2 src0_sel:BYTE_0 src1_sel:DWORD
	s_andn2_b64 s[4:5], s[4:5], exec
	s_and_b64 s[8:9], s[8:9], exec
	s_or_b64 s[4:5], s[4:5], s[8:9]
	s_or_b64 exec, exec, s[6:7]
	s_and_saveexec_b64 s[6:7], s[4:5]
	s_cbranch_execnz .LBB12_427
	s_branch .LBB12_428
.LBB12_2477:
	s_movk_i32 s4, 0x80
	v_cmp_eq_u16_sdwa s[12:13], v6, s4 src0_sel:BYTE_0 src1_sel:DWORD
	s_mov_b64 s[4:5], -1
                                        ; implicit-def: $sgpr10
	s_and_saveexec_b64 s[8:9], s[12:13]
; %bb.2478:
	s_mov_b32 s10, 0x7f800001
	s_xor_b64 s[4:5], exec, -1
; %bb.2479:
	s_or_b64 exec, exec, s[8:9]
	s_and_b64 s[4:5], s[4:5], exec
	s_or_saveexec_b64 s[6:7], s[6:7]
	v_mov_b32_e32 v10, s10
	s_xor_b64 exec, exec, s[6:7]
	s_cbranch_execz .LBB12_430
.LBB12_2480:
	v_mov_b32_e32 v10, 0
	v_cmp_ne_u16_sdwa s[8:9], v6, v10 src0_sel:BYTE_0 src1_sel:DWORD
	s_andn2_b64 s[4:5], s[4:5], exec
	s_and_b64 s[8:9], s[8:9], exec
	s_or_b64 s[4:5], s[4:5], s[8:9]
	s_or_b64 exec, exec, s[6:7]
	s_and_saveexec_b64 s[6:7], s[4:5]
	s_cbranch_execnz .LBB12_431
	s_branch .LBB12_432
.LBB12_2481:
	s_movk_i32 s4, 0x80
	v_cmp_eq_u16_e32 vcc, s4, v6
	s_mov_b64 s[4:5], -1
                                        ; implicit-def: $sgpr10
	s_and_saveexec_b64 s[8:9], vcc
; %bb.2482:
	s_mov_b32 s10, 0x7f800001
	s_xor_b64 s[4:5], exec, -1
; %bb.2483:
	s_or_b64 exec, exec, s[8:9]
	s_and_b64 s[4:5], s[4:5], exec
                                        ; implicit-def: $vgpr6
	s_or_saveexec_b64 s[6:7], s[6:7]
	v_mov_b32_e32 v2, s10
	s_xor_b64 exec, exec, s[6:7]
	s_cbranch_execz .LBB12_434
.LBB12_2484:
	v_cmp_ne_u16_e32 vcc, 0, v6
	s_andn2_b64 s[4:5], s[4:5], exec
	s_and_b64 s[8:9], vcc, exec
	v_mov_b32_e32 v2, 0
	s_or_b64 s[4:5], s[4:5], s[8:9]
	s_or_b64 exec, exec, s[6:7]
	s_and_saveexec_b64 s[6:7], s[4:5]
	s_cbranch_execnz .LBB12_435
	s_branch .LBB12_436
.LBB12_2485:
	s_movk_i32 s4, 0x80
	v_cmp_eq_u16_e32 vcc, s4, v6
	s_mov_b64 s[4:5], -1
                                        ; implicit-def: $sgpr10
	s_and_saveexec_b64 s[8:9], vcc
; %bb.2486:
	s_mov_b32 s10, 0x7f800001
	s_xor_b64 s[4:5], exec, -1
; %bb.2487:
	s_or_b64 exec, exec, s[8:9]
	s_and_b64 s[4:5], s[4:5], exec
                                        ; implicit-def: $vgpr6
	s_or_saveexec_b64 s[6:7], s[6:7]
	v_mov_b32_e32 v10, s10
	s_xor_b64 exec, exec, s[6:7]
	s_cbranch_execz .LBB12_438
.LBB12_2488:
	v_cmp_ne_u16_e32 vcc, 0, v6
	s_andn2_b64 s[4:5], s[4:5], exec
	s_and_b64 s[8:9], vcc, exec
	v_mov_b32_e32 v10, 0
	s_or_b64 s[4:5], s[4:5], s[8:9]
	s_or_b64 exec, exec, s[6:7]
	s_and_saveexec_b64 s[6:7], s[4:5]
	s_cbranch_execnz .LBB12_439
	s_branch .LBB12_440
.LBB12_2489:
	s_movk_i32 s4, 0x80
	v_cmp_eq_u16_sdwa s[12:13], v7, s4 src0_sel:BYTE_3 src1_sel:DWORD
	s_mov_b64 s[4:5], -1
                                        ; implicit-def: $sgpr10
	s_and_saveexec_b64 s[8:9], s[12:13]
; %bb.2490:
	s_mov_b32 s10, 0x7f800001
	s_xor_b64 s[4:5], exec, -1
; %bb.2491:
	s_or_b64 exec, exec, s[8:9]
	s_and_b64 s[4:5], s[4:5], exec
	s_or_saveexec_b64 s[6:7], s[6:7]
	v_mov_b32_e32 v2, s10
	s_xor_b64 exec, exec, s[6:7]
	s_cbranch_execz .LBB12_442
.LBB12_2492:
	v_mov_b32_e32 v2, 0
	v_cmp_ne_u16_sdwa s[8:9], v7, v2 src0_sel:BYTE_3 src1_sel:DWORD
	s_andn2_b64 s[4:5], s[4:5], exec
	s_and_b64 s[8:9], s[8:9], exec
	s_or_b64 s[4:5], s[4:5], s[8:9]
	s_or_b64 exec, exec, s[6:7]
	s_and_saveexec_b64 s[6:7], s[4:5]
	s_cbranch_execnz .LBB12_443
	s_branch .LBB12_444
.LBB12_2493:
	s_movk_i32 s4, 0x80
	v_cmp_eq_u16_sdwa s[12:13], v3, s4 src0_sel:BYTE_3 src1_sel:DWORD
	s_mov_b64 s[4:5], -1
                                        ; implicit-def: $sgpr10
	s_and_saveexec_b64 s[8:9], s[12:13]
; %bb.2494:
	s_mov_b32 s10, 0x7f800001
	s_xor_b64 s[4:5], exec, -1
; %bb.2495:
	s_or_b64 exec, exec, s[8:9]
	s_and_b64 s[4:5], s[4:5], exec
	s_or_saveexec_b64 s[6:7], s[6:7]
	v_mov_b32_e32 v6, s10
	s_xor_b64 exec, exec, s[6:7]
	s_cbranch_execz .LBB12_446
.LBB12_2496:
	v_mov_b32_e32 v6, 0
	v_cmp_ne_u16_sdwa s[8:9], v3, v6 src0_sel:BYTE_3 src1_sel:DWORD
	s_andn2_b64 s[4:5], s[4:5], exec
	s_and_b64 s[8:9], s[8:9], exec
	s_or_b64 s[4:5], s[4:5], s[8:9]
	s_or_b64 exec, exec, s[6:7]
	s_and_saveexec_b64 s[6:7], s[4:5]
	s_cbranch_execnz .LBB12_447
	s_branch .LBB12_448
.LBB12_2497:
	s_movk_i32 s4, 0x80
	v_cmp_eq_u16_sdwa s[12:13], v8, s4 src0_sel:BYTE_0 src1_sel:DWORD
	s_mov_b64 s[4:5], -1
                                        ; implicit-def: $sgpr10
	s_and_saveexec_b64 s[8:9], s[12:13]
; %bb.2498:
	s_mov_b32 s10, 0x7f800001
	s_xor_b64 s[4:5], exec, -1
; %bb.2499:
	s_or_b64 exec, exec, s[8:9]
	s_and_b64 s[4:5], s[4:5], exec
	s_or_saveexec_b64 s[6:7], s[6:7]
	v_mov_b32_e32 v2, s10
	s_xor_b64 exec, exec, s[6:7]
	s_cbranch_execz .LBB12_450
.LBB12_2500:
	v_mov_b32_e32 v2, 0
	v_cmp_ne_u16_sdwa s[8:9], v8, v2 src0_sel:BYTE_0 src1_sel:DWORD
	s_andn2_b64 s[4:5], s[4:5], exec
	s_and_b64 s[8:9], s[8:9], exec
	s_or_b64 s[4:5], s[4:5], s[8:9]
	s_or_b64 exec, exec, s[6:7]
	s_and_saveexec_b64 s[6:7], s[4:5]
	s_cbranch_execnz .LBB12_451
	s_branch .LBB12_452
.LBB12_2501:
	s_movk_i32 s4, 0x80
	v_cmp_eq_u16_sdwa s[12:13], v4, s4 src0_sel:BYTE_0 src1_sel:DWORD
	s_mov_b64 s[4:5], -1
                                        ; implicit-def: $sgpr10
	s_and_saveexec_b64 s[8:9], s[12:13]
; %bb.2502:
	s_mov_b32 s10, 0x7f800001
	s_xor_b64 s[4:5], exec, -1
; %bb.2503:
	s_or_b64 exec, exec, s[8:9]
	s_and_b64 s[4:5], s[4:5], exec
	s_or_saveexec_b64 s[6:7], s[6:7]
	v_mov_b32_e32 v3, s10
	s_xor_b64 exec, exec, s[6:7]
	s_cbranch_execz .LBB12_454
.LBB12_2504:
	v_mov_b32_e32 v3, 0
	v_cmp_ne_u16_sdwa s[8:9], v4, v3 src0_sel:BYTE_0 src1_sel:DWORD
	s_andn2_b64 s[4:5], s[4:5], exec
	s_and_b64 s[8:9], s[8:9], exec
	s_or_b64 s[4:5], s[4:5], s[8:9]
	s_or_b64 exec, exec, s[6:7]
	s_and_saveexec_b64 s[6:7], s[4:5]
	s_cbranch_execnz .LBB12_455
	s_branch .LBB12_456
.LBB12_2505:
	s_movk_i32 s4, 0x80
	v_cmp_eq_u16_sdwa s[12:13], v3, s4 src0_sel:BYTE_0 src1_sel:DWORD
	s_mov_b64 s[4:5], -1
                                        ; implicit-def: $sgpr10
	s_and_saveexec_b64 s[8:9], s[12:13]
; %bb.2506:
	s_mov_b32 s10, 0x7f800001
	s_xor_b64 s[4:5], exec, -1
; %bb.2507:
	s_or_b64 exec, exec, s[8:9]
	s_and_b64 s[4:5], s[4:5], exec
	s_or_saveexec_b64 s[6:7], s[6:7]
	v_mov_b32_e32 v2, s10
	s_xor_b64 exec, exec, s[6:7]
	s_cbranch_execz .LBB12_458
.LBB12_2508:
	v_mov_b32_e32 v2, 0
	v_cmp_ne_u16_sdwa s[8:9], v3, v2 src0_sel:BYTE_0 src1_sel:DWORD
	s_andn2_b64 s[4:5], s[4:5], exec
	s_and_b64 s[8:9], s[8:9], exec
	s_or_b64 s[4:5], s[4:5], s[8:9]
	s_or_b64 exec, exec, s[6:7]
	s_and_saveexec_b64 s[6:7], s[4:5]
	s_cbranch_execnz .LBB12_459
	s_branch .LBB12_460
.LBB12_2509:
	s_movk_i32 s4, 0x80
	v_cmp_eq_u16_sdwa s[12:13], v3, s4 src0_sel:BYTE_0 src1_sel:DWORD
	s_mov_b64 s[4:5], -1
                                        ; implicit-def: $sgpr10
	s_and_saveexec_b64 s[8:9], s[12:13]
; %bb.2510:
	s_mov_b32 s10, 0x7f800001
	s_xor_b64 s[4:5], exec, -1
; %bb.2511:
	s_or_b64 exec, exec, s[8:9]
	s_and_b64 s[4:5], s[4:5], exec
	s_or_saveexec_b64 s[6:7], s[6:7]
	v_mov_b32_e32 v6, s10
	s_xor_b64 exec, exec, s[6:7]
	s_cbranch_execz .LBB12_462
.LBB12_2512:
	v_mov_b32_e32 v6, 0
	v_cmp_ne_u16_sdwa s[8:9], v3, v6 src0_sel:BYTE_0 src1_sel:DWORD
	s_andn2_b64 s[4:5], s[4:5], exec
	s_and_b64 s[8:9], s[8:9], exec
	s_or_b64 s[4:5], s[4:5], s[8:9]
	s_or_b64 exec, exec, s[6:7]
	s_and_saveexec_b64 s[6:7], s[4:5]
	s_cbranch_execnz .LBB12_463
	s_branch .LBB12_464
.LBB12_2513:
	s_movk_i32 s4, 0x80
	v_cmp_eq_u16_e32 vcc, s4, v3
	s_mov_b64 s[4:5], -1
                                        ; implicit-def: $sgpr10
	s_and_saveexec_b64 s[8:9], vcc
; %bb.2514:
	s_mov_b32 s10, 0x7f800001
	s_xor_b64 s[4:5], exec, -1
; %bb.2515:
	s_or_b64 exec, exec, s[8:9]
	s_and_b64 s[4:5], s[4:5], exec
                                        ; implicit-def: $vgpr3
	s_or_saveexec_b64 s[6:7], s[6:7]
	v_mov_b32_e32 v2, s10
	s_xor_b64 exec, exec, s[6:7]
	s_cbranch_execz .LBB12_466
.LBB12_2516:
	v_cmp_ne_u16_e32 vcc, 0, v3
	s_andn2_b64 s[4:5], s[4:5], exec
	s_and_b64 s[8:9], vcc, exec
	v_mov_b32_e32 v2, 0
	s_or_b64 s[4:5], s[4:5], s[8:9]
	s_or_b64 exec, exec, s[6:7]
	s_and_saveexec_b64 s[6:7], s[4:5]
	s_cbranch_execnz .LBB12_467
	s_branch .LBB12_468
.LBB12_2517:
	s_movk_i32 s4, 0x80
	v_cmp_eq_u16_e32 vcc, s4, v3
	s_mov_b64 s[4:5], -1
                                        ; implicit-def: $sgpr10
	s_and_saveexec_b64 s[8:9], vcc
; %bb.2518:
	s_mov_b32 s10, 0x7f800001
	s_xor_b64 s[4:5], exec, -1
; %bb.2519:
	s_or_b64 exec, exec, s[8:9]
	s_and_b64 s[4:5], s[4:5], exec
                                        ; implicit-def: $vgpr3
	s_or_saveexec_b64 s[6:7], s[6:7]
	v_mov_b32_e32 v6, s10
	s_xor_b64 exec, exec, s[6:7]
	s_cbranch_execz .LBB12_470
.LBB12_2520:
	v_cmp_ne_u16_e32 vcc, 0, v3
	s_andn2_b64 s[4:5], s[4:5], exec
	s_and_b64 s[8:9], vcc, exec
	v_mov_b32_e32 v6, 0
	s_or_b64 s[4:5], s[4:5], s[8:9]
	s_or_b64 exec, exec, s[6:7]
	s_and_saveexec_b64 s[6:7], s[4:5]
	s_cbranch_execnz .LBB12_471
	s_branch .LBB12_472
.LBB12_2521:
	s_movk_i32 s4, 0x80
	v_cmp_eq_u16_sdwa s[12:13], v8, s4 src0_sel:BYTE_3 src1_sel:DWORD
	s_mov_b64 s[4:5], -1
                                        ; implicit-def: $sgpr10
	s_and_saveexec_b64 s[8:9], s[12:13]
; %bb.2522:
	s_mov_b32 s10, 0x7f800001
	s_xor_b64 s[4:5], exec, -1
; %bb.2523:
	s_or_b64 exec, exec, s[8:9]
	s_and_b64 s[4:5], s[4:5], exec
	s_or_saveexec_b64 s[6:7], s[6:7]
	v_mov_b32_e32 v2, s10
	s_xor_b64 exec, exec, s[6:7]
	s_cbranch_execz .LBB12_474
.LBB12_2524:
	v_mov_b32_e32 v2, 0
	v_cmp_ne_u16_sdwa s[8:9], v8, v2 src0_sel:BYTE_3 src1_sel:DWORD
	s_andn2_b64 s[4:5], s[4:5], exec
	s_and_b64 s[8:9], s[8:9], exec
	s_or_b64 s[4:5], s[4:5], s[8:9]
	s_or_b64 exec, exec, s[6:7]
	s_and_saveexec_b64 s[6:7], s[4:5]
	s_cbranch_execnz .LBB12_475
	s_branch .LBB12_476
.LBB12_2525:
	s_movk_i32 s4, 0x80
	v_cmp_eq_u16_sdwa s[12:13], v4, s4 src0_sel:BYTE_3 src1_sel:DWORD
	s_mov_b64 s[4:5], -1
                                        ; implicit-def: $sgpr10
	s_and_saveexec_b64 s[8:9], s[12:13]
; %bb.2526:
	s_mov_b32 s10, 0x7f800001
	s_xor_b64 s[4:5], exec, -1
; %bb.2527:
	s_or_b64 exec, exec, s[8:9]
	s_and_b64 s[4:5], s[4:5], exec
	s_or_saveexec_b64 s[6:7], s[6:7]
	v_mov_b32_e32 v3, s10
	s_xor_b64 exec, exec, s[6:7]
	s_cbranch_execz .LBB12_478
.LBB12_2528:
	v_mov_b32_e32 v3, 0
	v_cmp_ne_u16_sdwa s[8:9], v4, v3 src0_sel:BYTE_3 src1_sel:DWORD
	s_andn2_b64 s[4:5], s[4:5], exec
	s_and_b64 s[8:9], s[8:9], exec
	s_or_b64 s[4:5], s[4:5], s[8:9]
	s_or_b64 exec, exec, s[6:7]
	s_and_saveexec_b64 s[6:7], s[4:5]
	s_cbranch_execnz .LBB12_479
	s_branch .LBB12_480
.LBB12_2529:
	s_movk_i32 s4, 0x80
	v_cmp_eq_u16_sdwa s[12:13], v9, s4 src0_sel:BYTE_0 src1_sel:DWORD
	s_mov_b64 s[4:5], -1
                                        ; implicit-def: $sgpr10
	s_and_saveexec_b64 s[8:9], s[12:13]
; %bb.2530:
	s_mov_b32 s10, 0x7f800001
	s_xor_b64 s[4:5], exec, -1
; %bb.2531:
	s_or_b64 exec, exec, s[8:9]
	s_and_b64 s[4:5], s[4:5], exec
	s_or_saveexec_b64 s[6:7], s[6:7]
	v_mov_b32_e32 v2, s10
	s_xor_b64 exec, exec, s[6:7]
	s_cbranch_execz .LBB12_482
.LBB12_2532:
	v_mov_b32_e32 v2, 0
	v_cmp_ne_u16_sdwa s[8:9], v9, v2 src0_sel:BYTE_0 src1_sel:DWORD
	s_andn2_b64 s[4:5], s[4:5], exec
	s_and_b64 s[8:9], s[8:9], exec
	s_or_b64 s[4:5], s[4:5], s[8:9]
	s_or_b64 exec, exec, s[6:7]
	s_and_saveexec_b64 s[6:7], s[4:5]
	s_cbranch_execnz .LBB12_483
	s_branch .LBB12_484
.LBB12_2533:
	s_movk_i32 s4, 0x80
	v_cmp_eq_u16_sdwa s[12:13], v5, s4 src0_sel:BYTE_0 src1_sel:DWORD
	s_mov_b64 s[4:5], -1
                                        ; implicit-def: $sgpr10
	s_and_saveexec_b64 s[8:9], s[12:13]
; %bb.2534:
	s_mov_b32 s10, 0x7f800001
	s_xor_b64 s[4:5], exec, -1
; %bb.2535:
	s_or_b64 exec, exec, s[8:9]
	s_and_b64 s[4:5], s[4:5], exec
	s_or_saveexec_b64 s[6:7], s[6:7]
	v_mov_b32_e32 v3, s10
	s_xor_b64 exec, exec, s[6:7]
	s_cbranch_execz .LBB12_486
.LBB12_2536:
	v_mov_b32_e32 v3, 0
	v_cmp_ne_u16_sdwa s[8:9], v5, v3 src0_sel:BYTE_0 src1_sel:DWORD
	s_andn2_b64 s[4:5], s[4:5], exec
	s_and_b64 s[8:9], s[8:9], exec
	s_or_b64 s[4:5], s[4:5], s[8:9]
	s_or_b64 exec, exec, s[6:7]
	s_and_saveexec_b64 s[6:7], s[4:5]
	s_cbranch_execnz .LBB12_487
	s_branch .LBB12_488
.LBB12_2537:
	s_movk_i32 s4, 0x80
	v_cmp_eq_u16_sdwa s[12:13], v3, s4 src0_sel:BYTE_0 src1_sel:DWORD
	s_mov_b64 s[4:5], -1
                                        ; implicit-def: $sgpr10
	s_and_saveexec_b64 s[8:9], s[12:13]
; %bb.2538:
	s_mov_b32 s10, 0x7f800001
	s_xor_b64 s[4:5], exec, -1
; %bb.2539:
	s_or_b64 exec, exec, s[8:9]
	s_and_b64 s[4:5], s[4:5], exec
	s_or_saveexec_b64 s[6:7], s[6:7]
	v_mov_b32_e32 v2, s10
	s_xor_b64 exec, exec, s[6:7]
	s_cbranch_execz .LBB12_490
.LBB12_2540:
	v_mov_b32_e32 v2, 0
	v_cmp_ne_u16_sdwa s[8:9], v3, v2 src0_sel:BYTE_0 src1_sel:DWORD
	s_andn2_b64 s[4:5], s[4:5], exec
	s_and_b64 s[8:9], s[8:9], exec
	s_or_b64 s[4:5], s[4:5], s[8:9]
	s_or_b64 exec, exec, s[6:7]
	s_and_saveexec_b64 s[6:7], s[4:5]
	s_cbranch_execnz .LBB12_491
	s_branch .LBB12_492
.LBB12_2541:
	s_movk_i32 s4, 0x80
	v_cmp_eq_u16_sdwa s[12:13], v3, s4 src0_sel:BYTE_0 src1_sel:DWORD
	s_mov_b64 s[4:5], -1
                                        ; implicit-def: $sgpr10
	s_and_saveexec_b64 s[8:9], s[12:13]
; %bb.2542:
	s_mov_b32 s10, 0x7f800001
	s_xor_b64 s[4:5], exec, -1
; %bb.2543:
	s_or_b64 exec, exec, s[8:9]
	s_and_b64 s[4:5], s[4:5], exec
	s_or_saveexec_b64 s[6:7], s[6:7]
	v_mov_b32_e32 v4, s10
	s_xor_b64 exec, exec, s[6:7]
	s_cbranch_execz .LBB12_494
.LBB12_2544:
	v_mov_b32_e32 v4, 0
	v_cmp_ne_u16_sdwa s[8:9], v3, v4 src0_sel:BYTE_0 src1_sel:DWORD
	s_andn2_b64 s[4:5], s[4:5], exec
	s_and_b64 s[8:9], s[8:9], exec
	s_or_b64 s[4:5], s[4:5], s[8:9]
	s_or_b64 exec, exec, s[6:7]
	s_and_saveexec_b64 s[6:7], s[4:5]
	s_cbranch_execnz .LBB12_495
	s_branch .LBB12_496
.LBB12_2545:
	s_movk_i32 s4, 0x80
	v_cmp_eq_u16_e32 vcc, s4, v3
	s_mov_b64 s[4:5], -1
                                        ; implicit-def: $sgpr10
	s_and_saveexec_b64 s[8:9], vcc
; %bb.2546:
	s_mov_b32 s10, 0x7f800001
	s_xor_b64 s[4:5], exec, -1
; %bb.2547:
	s_or_b64 exec, exec, s[8:9]
	s_and_b64 s[4:5], s[4:5], exec
                                        ; implicit-def: $vgpr3
	s_or_saveexec_b64 s[6:7], s[6:7]
	v_mov_b32_e32 v2, s10
	s_xor_b64 exec, exec, s[6:7]
	s_cbranch_execz .LBB12_498
.LBB12_2548:
	v_cmp_ne_u16_e32 vcc, 0, v3
	s_andn2_b64 s[4:5], s[4:5], exec
	s_and_b64 s[8:9], vcc, exec
	v_mov_b32_e32 v2, 0
	s_or_b64 s[4:5], s[4:5], s[8:9]
	s_or_b64 exec, exec, s[6:7]
	s_and_saveexec_b64 s[6:7], s[4:5]
	s_cbranch_execnz .LBB12_499
	s_branch .LBB12_500
.LBB12_2549:
	s_movk_i32 s4, 0x80
	v_cmp_eq_u16_e32 vcc, s4, v3
	s_mov_b64 s[4:5], -1
                                        ; implicit-def: $sgpr10
	s_and_saveexec_b64 s[8:9], vcc
; %bb.2550:
	s_mov_b32 s10, 0x7f800001
	s_xor_b64 s[4:5], exec, -1
; %bb.2551:
	s_or_b64 exec, exec, s[8:9]
	s_and_b64 s[4:5], s[4:5], exec
                                        ; implicit-def: $vgpr3
	s_or_saveexec_b64 s[6:7], s[6:7]
	v_mov_b32_e32 v4, s10
	s_xor_b64 exec, exec, s[6:7]
	s_cbranch_execz .LBB12_502
.LBB12_2552:
	v_cmp_ne_u16_e32 vcc, 0, v3
	s_andn2_b64 s[4:5], s[4:5], exec
	s_and_b64 s[8:9], vcc, exec
	v_mov_b32_e32 v4, 0
	s_or_b64 s[4:5], s[4:5], s[8:9]
	s_or_b64 exec, exec, s[6:7]
	s_and_saveexec_b64 s[6:7], s[4:5]
	s_cbranch_execnz .LBB12_503
	s_branch .LBB12_504
.LBB12_2553:
	s_movk_i32 s4, 0x80
	v_cmp_eq_u16_sdwa s[12:13], v9, s4 src0_sel:BYTE_3 src1_sel:DWORD
	s_mov_b64 s[4:5], -1
                                        ; implicit-def: $sgpr10
	s_and_saveexec_b64 s[8:9], s[12:13]
; %bb.2554:
	s_mov_b32 s10, 0x7f800001
	s_xor_b64 s[4:5], exec, -1
; %bb.2555:
	s_or_b64 exec, exec, s[8:9]
	s_and_b64 s[4:5], s[4:5], exec
	s_or_saveexec_b64 s[6:7], s[6:7]
	v_mov_b32_e32 v2, s10
	s_xor_b64 exec, exec, s[6:7]
	s_cbranch_execz .LBB12_506
.LBB12_2556:
	v_mov_b32_e32 v2, 0
	v_cmp_ne_u16_sdwa s[8:9], v9, v2 src0_sel:BYTE_3 src1_sel:DWORD
	s_andn2_b64 s[4:5], s[4:5], exec
	s_and_b64 s[8:9], s[8:9], exec
	s_or_b64 s[4:5], s[4:5], s[8:9]
	s_or_b64 exec, exec, s[6:7]
	s_and_saveexec_b64 s[6:7], s[4:5]
	s_cbranch_execnz .LBB12_507
	s_branch .LBB12_508
.LBB12_2557:
	s_movk_i32 s4, 0x80
	v_cmp_eq_u16_sdwa s[12:13], v5, s4 src0_sel:BYTE_3 src1_sel:DWORD
	s_mov_b64 s[4:5], -1
                                        ; implicit-def: $sgpr10
	s_and_saveexec_b64 s[8:9], s[12:13]
; %bb.2558:
	s_mov_b32 s10, 0x7f800001
	s_xor_b64 s[4:5], exec, -1
; %bb.2559:
	s_or_b64 exec, exec, s[8:9]
	s_and_b64 s[4:5], s[4:5], exec
	s_or_saveexec_b64 s[6:7], s[6:7]
	v_mov_b32_e32 v3, s10
	s_xor_b64 exec, exec, s[6:7]
	s_cbranch_execz .LBB12_510
.LBB12_2560:
	v_mov_b32_e32 v3, 0
	v_cmp_ne_u16_sdwa s[8:9], v5, v3 src0_sel:BYTE_3 src1_sel:DWORD
	s_andn2_b64 s[4:5], s[4:5], exec
	s_and_b64 s[8:9], s[8:9], exec
	s_or_b64 s[4:5], s[4:5], s[8:9]
	s_or_b64 exec, exec, s[6:7]
	s_and_saveexec_b64 s[6:7], s[4:5]
	s_cbranch_execnz .LBB12_511
	s_branch .LBB12_512
.LBB12_2561:
	s_movk_i32 s4, 0x80
	v_cmp_eq_u16_sdwa s[12:13], v14, s4 src0_sel:BYTE_0 src1_sel:DWORD
	s_mov_b64 s[4:5], -1
                                        ; implicit-def: $sgpr10
	s_and_saveexec_b64 s[8:9], s[12:13]
; %bb.2562:
	s_mov_b32 s10, 0x7f800001
	s_xor_b64 s[4:5], exec, -1
; %bb.2563:
	s_or_b64 exec, exec, s[8:9]
	s_and_b64 s[4:5], s[4:5], exec
	s_or_saveexec_b64 s[6:7], s[6:7]
	v_mov_b32_e32 v20, s10
	s_xor_b64 exec, exec, s[6:7]
	s_cbranch_execz .LBB12_514
.LBB12_2564:
	v_mov_b32_e32 v20, 0
	v_cmp_ne_u16_sdwa s[8:9], v14, v20 src0_sel:BYTE_0 src1_sel:DWORD
	s_andn2_b64 s[4:5], s[4:5], exec
	s_and_b64 s[8:9], s[8:9], exec
	s_or_b64 s[4:5], s[4:5], s[8:9]
	s_or_b64 exec, exec, s[6:7]
	s_and_saveexec_b64 s[6:7], s[4:5]
	s_cbranch_execnz .LBB12_515
	s_branch .LBB12_516
.LBB12_2565:
	s_movk_i32 s4, 0x80
	v_cmp_eq_u16_sdwa s[12:13], v10, s4 src0_sel:BYTE_0 src1_sel:DWORD
	s_mov_b64 s[4:5], -1
                                        ; implicit-def: $sgpr10
	s_and_saveexec_b64 s[8:9], s[12:13]
; %bb.2566:
	s_mov_b32 s10, 0x7f800001
	s_xor_b64 s[4:5], exec, -1
; %bb.2567:
	s_or_b64 exec, exec, s[8:9]
	s_and_b64 s[4:5], s[4:5], exec
	s_or_saveexec_b64 s[6:7], s[6:7]
	v_mov_b32_e32 v21, s10
	s_xor_b64 exec, exec, s[6:7]
	s_cbranch_execz .LBB12_518
.LBB12_2568:
	v_mov_b32_e32 v21, 0
	v_cmp_ne_u16_sdwa s[8:9], v10, v21 src0_sel:BYTE_0 src1_sel:DWORD
	s_andn2_b64 s[4:5], s[4:5], exec
	s_and_b64 s[8:9], s[8:9], exec
	s_or_b64 s[4:5], s[4:5], s[8:9]
	s_or_b64 exec, exec, s[6:7]
	s_and_saveexec_b64 s[6:7], s[4:5]
	s_cbranch_execnz .LBB12_519
	s_branch .LBB12_520
.LBB12_2569:
	s_movk_i32 s4, 0x80
	v_cmp_eq_u16_sdwa s[12:13], v21, s4 src0_sel:BYTE_0 src1_sel:DWORD
	s_mov_b64 s[4:5], -1
                                        ; implicit-def: $sgpr10
	s_and_saveexec_b64 s[8:9], s[12:13]
; %bb.2570:
	s_mov_b32 s10, 0x7f800001
	s_xor_b64 s[4:5], exec, -1
; %bb.2571:
	s_or_b64 exec, exec, s[8:9]
	s_and_b64 s[4:5], s[4:5], exec
	s_or_saveexec_b64 s[6:7], s[6:7]
	v_mov_b32_e32 v20, s10
	s_xor_b64 exec, exec, s[6:7]
	s_cbranch_execz .LBB12_522
.LBB12_2572:
	v_mov_b32_e32 v20, 0
	v_cmp_ne_u16_sdwa s[8:9], v21, v20 src0_sel:BYTE_0 src1_sel:DWORD
	s_andn2_b64 s[4:5], s[4:5], exec
	s_and_b64 s[8:9], s[8:9], exec
	s_or_b64 s[4:5], s[4:5], s[8:9]
	s_or_b64 exec, exec, s[6:7]
	s_and_saveexec_b64 s[6:7], s[4:5]
	s_cbranch_execnz .LBB12_523
	s_branch .LBB12_524
.LBB12_2573:
	s_movk_i32 s4, 0x80
	v_cmp_eq_u16_sdwa s[12:13], v21, s4 src0_sel:BYTE_0 src1_sel:DWORD
	s_mov_b64 s[4:5], -1
                                        ; implicit-def: $sgpr10
	s_and_saveexec_b64 s[8:9], s[12:13]
; %bb.2574:
	s_mov_b32 s10, 0x7f800001
	s_xor_b64 s[4:5], exec, -1
; %bb.2575:
	s_or_b64 exec, exec, s[8:9]
	s_and_b64 s[4:5], s[4:5], exec
	s_or_saveexec_b64 s[6:7], s[6:7]
	v_mov_b32_e32 v22, s10
	s_xor_b64 exec, exec, s[6:7]
	s_cbranch_execz .LBB12_526
.LBB12_2576:
	v_mov_b32_e32 v22, 0
	v_cmp_ne_u16_sdwa s[8:9], v21, v22 src0_sel:BYTE_0 src1_sel:DWORD
	s_andn2_b64 s[4:5], s[4:5], exec
	s_and_b64 s[8:9], s[8:9], exec
	s_or_b64 s[4:5], s[4:5], s[8:9]
	s_or_b64 exec, exec, s[6:7]
	s_and_saveexec_b64 s[6:7], s[4:5]
	s_cbranch_execnz .LBB12_527
	s_branch .LBB12_528
.LBB12_2577:
	s_movk_i32 s4, 0x80
	v_cmp_eq_u16_e32 vcc, s4, v21
	s_mov_b64 s[4:5], -1
                                        ; implicit-def: $sgpr10
	s_and_saveexec_b64 s[8:9], vcc
; %bb.2578:
	s_mov_b32 s10, 0x7f800001
	s_xor_b64 s[4:5], exec, -1
; %bb.2579:
	s_or_b64 exec, exec, s[8:9]
	s_and_b64 s[4:5], s[4:5], exec
                                        ; implicit-def: $vgpr21
	s_or_saveexec_b64 s[6:7], s[6:7]
	v_mov_b32_e32 v20, s10
	s_xor_b64 exec, exec, s[6:7]
	s_cbranch_execz .LBB12_530
.LBB12_2580:
	v_cmp_ne_u16_e32 vcc, 0, v21
	s_andn2_b64 s[4:5], s[4:5], exec
	s_and_b64 s[8:9], vcc, exec
	v_mov_b32_e32 v20, 0
	s_or_b64 s[4:5], s[4:5], s[8:9]
	s_or_b64 exec, exec, s[6:7]
	s_and_saveexec_b64 s[6:7], s[4:5]
	s_cbranch_execnz .LBB12_531
	s_branch .LBB12_532
.LBB12_2581:
	s_movk_i32 s4, 0x80
	v_cmp_eq_u16_e32 vcc, s4, v21
	s_mov_b64 s[4:5], -1
                                        ; implicit-def: $sgpr10
	s_and_saveexec_b64 s[8:9], vcc
; %bb.2582:
	s_mov_b32 s10, 0x7f800001
	s_xor_b64 s[4:5], exec, -1
; %bb.2583:
	s_or_b64 exec, exec, s[8:9]
	s_and_b64 s[4:5], s[4:5], exec
                                        ; implicit-def: $vgpr21
	s_or_saveexec_b64 s[6:7], s[6:7]
	v_mov_b32_e32 v22, s10
	s_xor_b64 exec, exec, s[6:7]
	s_cbranch_execz .LBB12_534
.LBB12_2584:
	v_cmp_ne_u16_e32 vcc, 0, v21
	s_andn2_b64 s[4:5], s[4:5], exec
	s_and_b64 s[8:9], vcc, exec
	v_mov_b32_e32 v22, 0
	s_or_b64 s[4:5], s[4:5], s[8:9]
	s_or_b64 exec, exec, s[6:7]
	s_and_saveexec_b64 s[6:7], s[4:5]
	s_cbranch_execnz .LBB12_535
	s_branch .LBB12_536
.LBB12_2585:
	s_movk_i32 s4, 0x80
	v_cmp_eq_u16_sdwa s[12:13], v14, s4 src0_sel:BYTE_3 src1_sel:DWORD
	s_mov_b64 s[4:5], -1
                                        ; implicit-def: $sgpr10
	s_and_saveexec_b64 s[8:9], s[12:13]
; %bb.2586:
	s_mov_b32 s10, 0x7f800001
	s_xor_b64 s[4:5], exec, -1
; %bb.2587:
	s_or_b64 exec, exec, s[8:9]
	s_and_b64 s[4:5], s[4:5], exec
	s_or_saveexec_b64 s[6:7], s[6:7]
	v_mov_b32_e32 v20, s10
	s_xor_b64 exec, exec, s[6:7]
	s_cbranch_execz .LBB12_538
.LBB12_2588:
	v_mov_b32_e32 v20, 0
	v_cmp_ne_u16_sdwa s[8:9], v14, v20 src0_sel:BYTE_3 src1_sel:DWORD
	s_andn2_b64 s[4:5], s[4:5], exec
	s_and_b64 s[8:9], s[8:9], exec
	s_or_b64 s[4:5], s[4:5], s[8:9]
	s_or_b64 exec, exec, s[6:7]
	s_and_saveexec_b64 s[6:7], s[4:5]
	s_cbranch_execnz .LBB12_539
	s_branch .LBB12_540
.LBB12_2589:
	s_movk_i32 s4, 0x80
	v_cmp_eq_u16_sdwa s[12:13], v10, s4 src0_sel:BYTE_3 src1_sel:DWORD
	s_mov_b64 s[4:5], -1
                                        ; implicit-def: $sgpr10
	s_and_saveexec_b64 s[8:9], s[12:13]
; %bb.2590:
	s_mov_b32 s10, 0x7f800001
	s_xor_b64 s[4:5], exec, -1
; %bb.2591:
	s_or_b64 exec, exec, s[8:9]
	s_and_b64 s[4:5], s[4:5], exec
	s_or_saveexec_b64 s[6:7], s[6:7]
	v_mov_b32_e32 v14, s10
	s_xor_b64 exec, exec, s[6:7]
	s_cbranch_execz .LBB12_542
.LBB12_2592:
	v_mov_b32_e32 v14, 0
	v_cmp_ne_u16_sdwa s[8:9], v10, v14 src0_sel:BYTE_3 src1_sel:DWORD
	s_andn2_b64 s[4:5], s[4:5], exec
	s_and_b64 s[8:9], s[8:9], exec
	s_or_b64 s[4:5], s[4:5], s[8:9]
	s_or_b64 exec, exec, s[6:7]
	s_and_saveexec_b64 s[6:7], s[4:5]
	s_cbranch_execnz .LBB12_543
	s_branch .LBB12_544
.LBB12_2593:
	s_movk_i32 s4, 0x80
	v_cmp_eq_u16_sdwa s[12:13], v15, s4 src0_sel:BYTE_0 src1_sel:DWORD
	s_mov_b64 s[4:5], -1
                                        ; implicit-def: $sgpr10
	s_and_saveexec_b64 s[8:9], s[12:13]
; %bb.2594:
	s_mov_b32 s10, 0x7f800001
	s_xor_b64 s[4:5], exec, -1
; %bb.2595:
	s_or_b64 exec, exec, s[8:9]
	s_and_b64 s[4:5], s[4:5], exec
	s_or_saveexec_b64 s[6:7], s[6:7]
	v_mov_b32_e32 v10, s10
	s_xor_b64 exec, exec, s[6:7]
	s_cbranch_execz .LBB12_546
.LBB12_2596:
	v_mov_b32_e32 v10, 0
	v_cmp_ne_u16_sdwa s[8:9], v15, v10 src0_sel:BYTE_0 src1_sel:DWORD
	s_andn2_b64 s[4:5], s[4:5], exec
	s_and_b64 s[8:9], s[8:9], exec
	s_or_b64 s[4:5], s[4:5], s[8:9]
	s_or_b64 exec, exec, s[6:7]
	s_and_saveexec_b64 s[6:7], s[4:5]
	s_cbranch_execnz .LBB12_547
	s_branch .LBB12_548
.LBB12_2597:
	s_movk_i32 s4, 0x80
	v_cmp_eq_u16_sdwa s[12:13], v11, s4 src0_sel:BYTE_0 src1_sel:DWORD
	s_mov_b64 s[4:5], -1
                                        ; implicit-def: $sgpr10
	s_and_saveexec_b64 s[8:9], s[12:13]
; %bb.2598:
	s_mov_b32 s10, 0x7f800001
	s_xor_b64 s[4:5], exec, -1
; %bb.2599:
	s_or_b64 exec, exec, s[8:9]
	s_and_b64 s[4:5], s[4:5], exec
	s_or_saveexec_b64 s[6:7], s[6:7]
	v_mov_b32_e32 v14, s10
	s_xor_b64 exec, exec, s[6:7]
	s_cbranch_execz .LBB12_550
.LBB12_2600:
	v_mov_b32_e32 v14, 0
	v_cmp_ne_u16_sdwa s[8:9], v11, v14 src0_sel:BYTE_0 src1_sel:DWORD
	s_andn2_b64 s[4:5], s[4:5], exec
	s_and_b64 s[8:9], s[8:9], exec
	s_or_b64 s[4:5], s[4:5], s[8:9]
	s_or_b64 exec, exec, s[6:7]
	s_and_saveexec_b64 s[6:7], s[4:5]
	s_cbranch_execnz .LBB12_551
	s_branch .LBB12_552
.LBB12_2601:
	s_movk_i32 s4, 0x80
	v_cmp_eq_u16_sdwa s[12:13], v14, s4 src0_sel:BYTE_0 src1_sel:DWORD
	s_mov_b64 s[4:5], -1
                                        ; implicit-def: $sgpr10
	s_and_saveexec_b64 s[8:9], s[12:13]
; %bb.2602:
	s_mov_b32 s10, 0x7f800001
	s_xor_b64 s[4:5], exec, -1
; %bb.2603:
	s_or_b64 exec, exec, s[8:9]
	s_and_b64 s[4:5], s[4:5], exec
	s_or_saveexec_b64 s[6:7], s[6:7]
	v_mov_b32_e32 v10, s10
	s_xor_b64 exec, exec, s[6:7]
	s_cbranch_execz .LBB12_554
.LBB12_2604:
	v_mov_b32_e32 v10, 0
	v_cmp_ne_u16_sdwa s[8:9], v14, v10 src0_sel:BYTE_0 src1_sel:DWORD
	s_andn2_b64 s[4:5], s[4:5], exec
	s_and_b64 s[8:9], s[8:9], exec
	s_or_b64 s[4:5], s[4:5], s[8:9]
	s_or_b64 exec, exec, s[6:7]
	s_and_saveexec_b64 s[6:7], s[4:5]
	s_cbranch_execnz .LBB12_555
	s_branch .LBB12_556
.LBB12_2605:
	s_movk_i32 s4, 0x80
	v_cmp_eq_u16_sdwa s[12:13], v14, s4 src0_sel:BYTE_0 src1_sel:DWORD
	s_mov_b64 s[4:5], -1
                                        ; implicit-def: $sgpr10
	s_and_saveexec_b64 s[8:9], s[12:13]
; %bb.2606:
	s_mov_b32 s10, 0x7f800001
	s_xor_b64 s[4:5], exec, -1
; %bb.2607:
	s_or_b64 exec, exec, s[8:9]
	s_and_b64 s[4:5], s[4:5], exec
	s_or_saveexec_b64 s[6:7], s[6:7]
	v_mov_b32_e32 v20, s10
	s_xor_b64 exec, exec, s[6:7]
	s_cbranch_execz .LBB12_558
.LBB12_2608:
	v_mov_b32_e32 v20, 0
	v_cmp_ne_u16_sdwa s[8:9], v14, v20 src0_sel:BYTE_0 src1_sel:DWORD
	s_andn2_b64 s[4:5], s[4:5], exec
	s_and_b64 s[8:9], s[8:9], exec
	s_or_b64 s[4:5], s[4:5], s[8:9]
	s_or_b64 exec, exec, s[6:7]
	s_and_saveexec_b64 s[6:7], s[4:5]
	s_cbranch_execnz .LBB12_559
	s_branch .LBB12_560
.LBB12_2609:
	s_movk_i32 s4, 0x80
	v_cmp_eq_u16_e32 vcc, s4, v14
	s_mov_b64 s[4:5], -1
                                        ; implicit-def: $sgpr10
	s_and_saveexec_b64 s[8:9], vcc
; %bb.2610:
	s_mov_b32 s10, 0x7f800001
	s_xor_b64 s[4:5], exec, -1
; %bb.2611:
	s_or_b64 exec, exec, s[8:9]
	s_and_b64 s[4:5], s[4:5], exec
                                        ; implicit-def: $vgpr14
	s_or_saveexec_b64 s[6:7], s[6:7]
	v_mov_b32_e32 v10, s10
	s_xor_b64 exec, exec, s[6:7]
	s_cbranch_execz .LBB12_562
.LBB12_2612:
	v_cmp_ne_u16_e32 vcc, 0, v14
	s_andn2_b64 s[4:5], s[4:5], exec
	s_and_b64 s[8:9], vcc, exec
	v_mov_b32_e32 v10, 0
	s_or_b64 s[4:5], s[4:5], s[8:9]
	s_or_b64 exec, exec, s[6:7]
	s_and_saveexec_b64 s[6:7], s[4:5]
	s_cbranch_execnz .LBB12_563
	s_branch .LBB12_564
.LBB12_2613:
	s_movk_i32 s4, 0x80
	v_cmp_eq_u16_e32 vcc, s4, v14
	s_mov_b64 s[4:5], -1
                                        ; implicit-def: $sgpr10
	s_and_saveexec_b64 s[8:9], vcc
; %bb.2614:
	s_mov_b32 s10, 0x7f800001
	s_xor_b64 s[4:5], exec, -1
; %bb.2615:
	s_or_b64 exec, exec, s[8:9]
	s_and_b64 s[4:5], s[4:5], exec
                                        ; implicit-def: $vgpr14
	s_or_saveexec_b64 s[6:7], s[6:7]
	v_mov_b32_e32 v20, s10
	s_xor_b64 exec, exec, s[6:7]
	s_cbranch_execz .LBB12_566
.LBB12_2616:
	v_cmp_ne_u16_e32 vcc, 0, v14
	s_andn2_b64 s[4:5], s[4:5], exec
	s_and_b64 s[8:9], vcc, exec
	v_mov_b32_e32 v20, 0
	s_or_b64 s[4:5], s[4:5], s[8:9]
	s_or_b64 exec, exec, s[6:7]
	s_and_saveexec_b64 s[6:7], s[4:5]
	s_cbranch_execnz .LBB12_567
	s_branch .LBB12_568
.LBB12_2617:
	s_movk_i32 s4, 0x80
	v_cmp_eq_u16_sdwa s[12:13], v15, s4 src0_sel:BYTE_3 src1_sel:DWORD
	s_mov_b64 s[4:5], -1
                                        ; implicit-def: $sgpr10
	s_and_saveexec_b64 s[8:9], s[12:13]
; %bb.2618:
	s_mov_b32 s10, 0x7f800001
	s_xor_b64 s[4:5], exec, -1
; %bb.2619:
	s_or_b64 exec, exec, s[8:9]
	s_and_b64 s[4:5], s[4:5], exec
	s_or_saveexec_b64 s[6:7], s[6:7]
	v_mov_b32_e32 v10, s10
	s_xor_b64 exec, exec, s[6:7]
	s_cbranch_execz .LBB12_570
.LBB12_2620:
	v_mov_b32_e32 v10, 0
	v_cmp_ne_u16_sdwa s[8:9], v15, v10 src0_sel:BYTE_3 src1_sel:DWORD
	s_andn2_b64 s[4:5], s[4:5], exec
	s_and_b64 s[8:9], s[8:9], exec
	s_or_b64 s[4:5], s[4:5], s[8:9]
	s_or_b64 exec, exec, s[6:7]
	s_and_saveexec_b64 s[6:7], s[4:5]
	s_cbranch_execnz .LBB12_571
	s_branch .LBB12_572
.LBB12_2621:
	s_movk_i32 s4, 0x80
	v_cmp_eq_u16_sdwa s[12:13], v11, s4 src0_sel:BYTE_3 src1_sel:DWORD
	s_mov_b64 s[4:5], -1
                                        ; implicit-def: $sgpr10
	s_and_saveexec_b64 s[8:9], s[12:13]
; %bb.2622:
	s_mov_b32 s10, 0x7f800001
	s_xor_b64 s[4:5], exec, -1
; %bb.2623:
	s_or_b64 exec, exec, s[8:9]
	s_and_b64 s[4:5], s[4:5], exec
	s_or_saveexec_b64 s[6:7], s[6:7]
	v_mov_b32_e32 v14, s10
	s_xor_b64 exec, exec, s[6:7]
	s_cbranch_execz .LBB12_574
.LBB12_2624:
	v_mov_b32_e32 v14, 0
	v_cmp_ne_u16_sdwa s[8:9], v11, v14 src0_sel:BYTE_3 src1_sel:DWORD
	s_andn2_b64 s[4:5], s[4:5], exec
	s_and_b64 s[8:9], s[8:9], exec
	s_or_b64 s[4:5], s[4:5], s[8:9]
	s_or_b64 exec, exec, s[6:7]
	s_and_saveexec_b64 s[6:7], s[4:5]
	s_cbranch_execnz .LBB12_575
	s_branch .LBB12_576
.LBB12_2625:
	s_movk_i32 s4, 0x80
	v_cmp_eq_u16_sdwa s[12:13], v16, s4 src0_sel:BYTE_0 src1_sel:DWORD
	s_mov_b64 s[4:5], -1
                                        ; implicit-def: $sgpr10
	s_and_saveexec_b64 s[8:9], s[12:13]
; %bb.2626:
	s_mov_b32 s10, 0x7f800001
	s_xor_b64 s[4:5], exec, -1
; %bb.2627:
	s_or_b64 exec, exec, s[8:9]
	s_and_b64 s[4:5], s[4:5], exec
	s_or_saveexec_b64 s[6:7], s[6:7]
	v_mov_b32_e32 v10, s10
	s_xor_b64 exec, exec, s[6:7]
	s_cbranch_execz .LBB12_578
.LBB12_2628:
	v_mov_b32_e32 v10, 0
	v_cmp_ne_u16_sdwa s[8:9], v16, v10 src0_sel:BYTE_0 src1_sel:DWORD
	s_andn2_b64 s[4:5], s[4:5], exec
	s_and_b64 s[8:9], s[8:9], exec
	s_or_b64 s[4:5], s[4:5], s[8:9]
	s_or_b64 exec, exec, s[6:7]
	s_and_saveexec_b64 s[6:7], s[4:5]
	s_cbranch_execnz .LBB12_579
	s_branch .LBB12_580
.LBB12_2629:
	s_movk_i32 s4, 0x80
	v_cmp_eq_u16_sdwa s[12:13], v12, s4 src0_sel:BYTE_0 src1_sel:DWORD
	s_mov_b64 s[4:5], -1
                                        ; implicit-def: $sgpr10
	s_and_saveexec_b64 s[8:9], s[12:13]
; %bb.2630:
	s_mov_b32 s10, 0x7f800001
	s_xor_b64 s[4:5], exec, -1
; %bb.2631:
	s_or_b64 exec, exec, s[8:9]
	s_and_b64 s[4:5], s[4:5], exec
	s_or_saveexec_b64 s[6:7], s[6:7]
	v_mov_b32_e32 v11, s10
	s_xor_b64 exec, exec, s[6:7]
	s_cbranch_execz .LBB12_582
.LBB12_2632:
	v_mov_b32_e32 v11, 0
	v_cmp_ne_u16_sdwa s[8:9], v12, v11 src0_sel:BYTE_0 src1_sel:DWORD
	s_andn2_b64 s[4:5], s[4:5], exec
	s_and_b64 s[8:9], s[8:9], exec
	s_or_b64 s[4:5], s[4:5], s[8:9]
	s_or_b64 exec, exec, s[6:7]
	s_and_saveexec_b64 s[6:7], s[4:5]
	s_cbranch_execnz .LBB12_583
	s_branch .LBB12_584
.LBB12_2633:
	s_movk_i32 s4, 0x80
	v_cmp_eq_u16_sdwa s[12:13], v11, s4 src0_sel:BYTE_0 src1_sel:DWORD
	s_mov_b64 s[4:5], -1
                                        ; implicit-def: $sgpr10
	s_and_saveexec_b64 s[8:9], s[12:13]
; %bb.2634:
	s_mov_b32 s10, 0x7f800001
	s_xor_b64 s[4:5], exec, -1
; %bb.2635:
	s_or_b64 exec, exec, s[8:9]
	s_and_b64 s[4:5], s[4:5], exec
	s_or_saveexec_b64 s[6:7], s[6:7]
	v_mov_b32_e32 v10, s10
	s_xor_b64 exec, exec, s[6:7]
	s_cbranch_execz .LBB12_586
.LBB12_2636:
	v_mov_b32_e32 v10, 0
	v_cmp_ne_u16_sdwa s[8:9], v11, v10 src0_sel:BYTE_0 src1_sel:DWORD
	s_andn2_b64 s[4:5], s[4:5], exec
	s_and_b64 s[8:9], s[8:9], exec
	s_or_b64 s[4:5], s[4:5], s[8:9]
	s_or_b64 exec, exec, s[6:7]
	s_and_saveexec_b64 s[6:7], s[4:5]
	s_cbranch_execnz .LBB12_587
	s_branch .LBB12_588
.LBB12_2637:
	s_movk_i32 s4, 0x80
	v_cmp_eq_u16_sdwa s[12:13], v11, s4 src0_sel:BYTE_0 src1_sel:DWORD
	s_mov_b64 s[4:5], -1
                                        ; implicit-def: $sgpr10
	s_and_saveexec_b64 s[8:9], s[12:13]
; %bb.2638:
	s_mov_b32 s10, 0x7f800001
	s_xor_b64 s[4:5], exec, -1
; %bb.2639:
	s_or_b64 exec, exec, s[8:9]
	s_and_b64 s[4:5], s[4:5], exec
	s_or_saveexec_b64 s[6:7], s[6:7]
	v_mov_b32_e32 v14, s10
	s_xor_b64 exec, exec, s[6:7]
	s_cbranch_execz .LBB12_590
.LBB12_2640:
	v_mov_b32_e32 v14, 0
	v_cmp_ne_u16_sdwa s[8:9], v11, v14 src0_sel:BYTE_0 src1_sel:DWORD
	s_andn2_b64 s[4:5], s[4:5], exec
	s_and_b64 s[8:9], s[8:9], exec
	s_or_b64 s[4:5], s[4:5], s[8:9]
	s_or_b64 exec, exec, s[6:7]
	s_and_saveexec_b64 s[6:7], s[4:5]
	s_cbranch_execnz .LBB12_591
	s_branch .LBB12_592
.LBB12_2641:
	s_movk_i32 s4, 0x80
	v_cmp_eq_u16_e32 vcc, s4, v11
	s_mov_b64 s[4:5], -1
                                        ; implicit-def: $sgpr10
	s_and_saveexec_b64 s[8:9], vcc
; %bb.2642:
	s_mov_b32 s10, 0x7f800001
	s_xor_b64 s[4:5], exec, -1
; %bb.2643:
	s_or_b64 exec, exec, s[8:9]
	s_and_b64 s[4:5], s[4:5], exec
                                        ; implicit-def: $vgpr11
	s_or_saveexec_b64 s[6:7], s[6:7]
	v_mov_b32_e32 v10, s10
	s_xor_b64 exec, exec, s[6:7]
	s_cbranch_execz .LBB12_594
.LBB12_2644:
	v_cmp_ne_u16_e32 vcc, 0, v11
	s_andn2_b64 s[4:5], s[4:5], exec
	s_and_b64 s[8:9], vcc, exec
	v_mov_b32_e32 v10, 0
	s_or_b64 s[4:5], s[4:5], s[8:9]
	s_or_b64 exec, exec, s[6:7]
	s_and_saveexec_b64 s[6:7], s[4:5]
	s_cbranch_execnz .LBB12_595
	s_branch .LBB12_596
.LBB12_2645:
	s_movk_i32 s4, 0x80
	v_cmp_eq_u16_e32 vcc, s4, v11
	s_mov_b64 s[4:5], -1
                                        ; implicit-def: $sgpr10
	s_and_saveexec_b64 s[8:9], vcc
; %bb.2646:
	s_mov_b32 s10, 0x7f800001
	s_xor_b64 s[4:5], exec, -1
; %bb.2647:
	s_or_b64 exec, exec, s[8:9]
	s_and_b64 s[4:5], s[4:5], exec
                                        ; implicit-def: $vgpr11
	s_or_saveexec_b64 s[6:7], s[6:7]
	v_mov_b32_e32 v14, s10
	s_xor_b64 exec, exec, s[6:7]
	s_cbranch_execz .LBB12_598
.LBB12_2648:
	v_cmp_ne_u16_e32 vcc, 0, v11
	s_andn2_b64 s[4:5], s[4:5], exec
	s_and_b64 s[8:9], vcc, exec
	v_mov_b32_e32 v14, 0
	s_or_b64 s[4:5], s[4:5], s[8:9]
	s_or_b64 exec, exec, s[6:7]
	s_and_saveexec_b64 s[6:7], s[4:5]
	s_cbranch_execnz .LBB12_599
	s_branch .LBB12_600
.LBB12_2649:
	s_movk_i32 s4, 0x80
	v_cmp_eq_u16_sdwa s[12:13], v16, s4 src0_sel:BYTE_3 src1_sel:DWORD
	s_mov_b64 s[4:5], -1
                                        ; implicit-def: $sgpr10
	s_and_saveexec_b64 s[8:9], s[12:13]
; %bb.2650:
	s_mov_b32 s10, 0x7f800001
	s_xor_b64 s[4:5], exec, -1
; %bb.2651:
	s_or_b64 exec, exec, s[8:9]
	s_and_b64 s[4:5], s[4:5], exec
	s_or_saveexec_b64 s[6:7], s[6:7]
	v_mov_b32_e32 v10, s10
	s_xor_b64 exec, exec, s[6:7]
	s_cbranch_execz .LBB12_602
.LBB12_2652:
	v_mov_b32_e32 v10, 0
	v_cmp_ne_u16_sdwa s[8:9], v16, v10 src0_sel:BYTE_3 src1_sel:DWORD
	s_andn2_b64 s[4:5], s[4:5], exec
	s_and_b64 s[8:9], s[8:9], exec
	s_or_b64 s[4:5], s[4:5], s[8:9]
	s_or_b64 exec, exec, s[6:7]
	s_and_saveexec_b64 s[6:7], s[4:5]
	s_cbranch_execnz .LBB12_603
	s_branch .LBB12_604
.LBB12_2653:
	s_movk_i32 s4, 0x80
	v_cmp_eq_u16_sdwa s[12:13], v12, s4 src0_sel:BYTE_3 src1_sel:DWORD
	s_mov_b64 s[4:5], -1
                                        ; implicit-def: $sgpr10
	s_and_saveexec_b64 s[8:9], s[12:13]
; %bb.2654:
	s_mov_b32 s10, 0x7f800001
	s_xor_b64 s[4:5], exec, -1
; %bb.2655:
	s_or_b64 exec, exec, s[8:9]
	s_and_b64 s[4:5], s[4:5], exec
	s_or_saveexec_b64 s[6:7], s[6:7]
	v_mov_b32_e32 v11, s10
	s_xor_b64 exec, exec, s[6:7]
	s_cbranch_execz .LBB12_606
.LBB12_2656:
	v_mov_b32_e32 v11, 0
	v_cmp_ne_u16_sdwa s[8:9], v12, v11 src0_sel:BYTE_3 src1_sel:DWORD
	s_andn2_b64 s[4:5], s[4:5], exec
	s_and_b64 s[8:9], s[8:9], exec
	s_or_b64 s[4:5], s[4:5], s[8:9]
	s_or_b64 exec, exec, s[6:7]
	s_and_saveexec_b64 s[6:7], s[4:5]
	s_cbranch_execnz .LBB12_607
	s_branch .LBB12_608
.LBB12_2657:
	s_movk_i32 s4, 0x80
	v_cmp_eq_u16_sdwa s[12:13], v17, s4 src0_sel:BYTE_0 src1_sel:DWORD
	s_mov_b64 s[4:5], -1
                                        ; implicit-def: $sgpr10
	s_and_saveexec_b64 s[8:9], s[12:13]
; %bb.2658:
	s_mov_b32 s10, 0x7f800001
	s_xor_b64 s[4:5], exec, -1
; %bb.2659:
	s_or_b64 exec, exec, s[8:9]
	s_and_b64 s[4:5], s[4:5], exec
	s_or_saveexec_b64 s[6:7], s[6:7]
	v_mov_b32_e32 v10, s10
	s_xor_b64 exec, exec, s[6:7]
	s_cbranch_execz .LBB12_610
.LBB12_2660:
	v_mov_b32_e32 v10, 0
	v_cmp_ne_u16_sdwa s[8:9], v17, v10 src0_sel:BYTE_0 src1_sel:DWORD
	s_andn2_b64 s[4:5], s[4:5], exec
	s_and_b64 s[8:9], s[8:9], exec
	s_or_b64 s[4:5], s[4:5], s[8:9]
	s_or_b64 exec, exec, s[6:7]
	s_and_saveexec_b64 s[6:7], s[4:5]
	s_cbranch_execnz .LBB12_611
	s_branch .LBB12_612
.LBB12_2661:
	s_movk_i32 s4, 0x80
	v_cmp_eq_u16_sdwa s[12:13], v13, s4 src0_sel:BYTE_0 src1_sel:DWORD
	s_mov_b64 s[4:5], -1
                                        ; implicit-def: $sgpr10
	s_and_saveexec_b64 s[8:9], s[12:13]
; %bb.2662:
	s_mov_b32 s10, 0x7f800001
	s_xor_b64 s[4:5], exec, -1
; %bb.2663:
	s_or_b64 exec, exec, s[8:9]
	s_and_b64 s[4:5], s[4:5], exec
	s_or_saveexec_b64 s[6:7], s[6:7]
	v_mov_b32_e32 v11, s10
	s_xor_b64 exec, exec, s[6:7]
	s_cbranch_execz .LBB12_614
.LBB12_2664:
	v_mov_b32_e32 v11, 0
	v_cmp_ne_u16_sdwa s[8:9], v13, v11 src0_sel:BYTE_0 src1_sel:DWORD
	s_andn2_b64 s[4:5], s[4:5], exec
	s_and_b64 s[8:9], s[8:9], exec
	s_or_b64 s[4:5], s[4:5], s[8:9]
	s_or_b64 exec, exec, s[6:7]
	s_and_saveexec_b64 s[6:7], s[4:5]
	s_cbranch_execnz .LBB12_615
	s_branch .LBB12_616
.LBB12_2665:
	s_movk_i32 s4, 0x80
	v_cmp_eq_u16_sdwa s[12:13], v11, s4 src0_sel:BYTE_0 src1_sel:DWORD
	s_mov_b64 s[4:5], -1
                                        ; implicit-def: $sgpr10
	s_and_saveexec_b64 s[8:9], s[12:13]
; %bb.2666:
	s_mov_b32 s10, 0x7f800001
	s_xor_b64 s[4:5], exec, -1
; %bb.2667:
	s_or_b64 exec, exec, s[8:9]
	s_and_b64 s[4:5], s[4:5], exec
	s_or_saveexec_b64 s[6:7], s[6:7]
	v_mov_b32_e32 v10, s10
	s_xor_b64 exec, exec, s[6:7]
	s_cbranch_execz .LBB12_618
.LBB12_2668:
	v_mov_b32_e32 v10, 0
	v_cmp_ne_u16_sdwa s[8:9], v11, v10 src0_sel:BYTE_0 src1_sel:DWORD
	s_andn2_b64 s[4:5], s[4:5], exec
	s_and_b64 s[8:9], s[8:9], exec
	s_or_b64 s[4:5], s[4:5], s[8:9]
	s_or_b64 exec, exec, s[6:7]
	s_and_saveexec_b64 s[6:7], s[4:5]
	s_cbranch_execnz .LBB12_619
	s_branch .LBB12_620
.LBB12_2669:
	s_movk_i32 s4, 0x80
	v_cmp_eq_u16_sdwa s[12:13], v11, s4 src0_sel:BYTE_0 src1_sel:DWORD
	s_mov_b64 s[4:5], -1
                                        ; implicit-def: $sgpr10
	s_and_saveexec_b64 s[8:9], s[12:13]
; %bb.2670:
	s_mov_b32 s10, 0x7f800001
	s_xor_b64 s[4:5], exec, -1
; %bb.2671:
	s_or_b64 exec, exec, s[8:9]
	s_and_b64 s[4:5], s[4:5], exec
	s_or_saveexec_b64 s[6:7], s[6:7]
	v_mov_b32_e32 v12, s10
	s_xor_b64 exec, exec, s[6:7]
	s_cbranch_execz .LBB12_622
.LBB12_2672:
	v_mov_b32_e32 v12, 0
	v_cmp_ne_u16_sdwa s[8:9], v11, v12 src0_sel:BYTE_0 src1_sel:DWORD
	s_andn2_b64 s[4:5], s[4:5], exec
	s_and_b64 s[8:9], s[8:9], exec
	s_or_b64 s[4:5], s[4:5], s[8:9]
	s_or_b64 exec, exec, s[6:7]
	s_and_saveexec_b64 s[6:7], s[4:5]
	s_cbranch_execnz .LBB12_623
	s_branch .LBB12_624
.LBB12_2673:
	s_movk_i32 s4, 0x80
	v_cmp_eq_u16_e32 vcc, s4, v11
	s_mov_b64 s[4:5], -1
                                        ; implicit-def: $sgpr10
	s_and_saveexec_b64 s[8:9], vcc
; %bb.2674:
	s_mov_b32 s10, 0x7f800001
	s_xor_b64 s[4:5], exec, -1
; %bb.2675:
	s_or_b64 exec, exec, s[8:9]
	s_and_b64 s[4:5], s[4:5], exec
                                        ; implicit-def: $vgpr11
	s_or_saveexec_b64 s[6:7], s[6:7]
	v_mov_b32_e32 v10, s10
	s_xor_b64 exec, exec, s[6:7]
	s_cbranch_execz .LBB12_626
.LBB12_2676:
	v_cmp_ne_u16_e32 vcc, 0, v11
	s_andn2_b64 s[4:5], s[4:5], exec
	s_and_b64 s[8:9], vcc, exec
	v_mov_b32_e32 v10, 0
	s_or_b64 s[4:5], s[4:5], s[8:9]
	s_or_b64 exec, exec, s[6:7]
	s_and_saveexec_b64 s[6:7], s[4:5]
	s_cbranch_execnz .LBB12_627
	s_branch .LBB12_628
.LBB12_2677:
	s_movk_i32 s4, 0x80
	v_cmp_eq_u16_e32 vcc, s4, v11
	s_mov_b64 s[4:5], -1
                                        ; implicit-def: $sgpr10
	s_and_saveexec_b64 s[8:9], vcc
; %bb.2678:
	s_mov_b32 s10, 0x7f800001
	s_xor_b64 s[4:5], exec, -1
; %bb.2679:
	s_or_b64 exec, exec, s[8:9]
	s_and_b64 s[4:5], s[4:5], exec
                                        ; implicit-def: $vgpr11
	s_or_saveexec_b64 s[6:7], s[6:7]
	v_mov_b32_e32 v12, s10
	s_xor_b64 exec, exec, s[6:7]
	s_cbranch_execz .LBB12_630
.LBB12_2680:
	v_cmp_ne_u16_e32 vcc, 0, v11
	s_andn2_b64 s[4:5], s[4:5], exec
	s_and_b64 s[8:9], vcc, exec
	v_mov_b32_e32 v12, 0
	s_or_b64 s[4:5], s[4:5], s[8:9]
	s_or_b64 exec, exec, s[6:7]
	s_and_saveexec_b64 s[6:7], s[4:5]
	s_cbranch_execnz .LBB12_631
	s_branch .LBB12_632
.LBB12_2681:
	s_movk_i32 s4, 0x80
	v_cmp_eq_u16_sdwa s[12:13], v17, s4 src0_sel:BYTE_3 src1_sel:DWORD
	s_mov_b64 s[4:5], -1
                                        ; implicit-def: $sgpr10
	s_and_saveexec_b64 s[8:9], s[12:13]
; %bb.2682:
	s_mov_b32 s10, 0x7f800001
	s_xor_b64 s[4:5], exec, -1
; %bb.2683:
	s_or_b64 exec, exec, s[8:9]
	s_and_b64 s[4:5], s[4:5], exec
	s_or_saveexec_b64 s[6:7], s[6:7]
	v_mov_b32_e32 v10, s10
	s_xor_b64 exec, exec, s[6:7]
	s_cbranch_execz .LBB12_634
.LBB12_2684:
	v_mov_b32_e32 v10, 0
	v_cmp_ne_u16_sdwa s[8:9], v17, v10 src0_sel:BYTE_3 src1_sel:DWORD
	s_andn2_b64 s[4:5], s[4:5], exec
	s_and_b64 s[8:9], s[8:9], exec
	s_or_b64 s[4:5], s[4:5], s[8:9]
	s_or_b64 exec, exec, s[6:7]
	s_and_saveexec_b64 s[6:7], s[4:5]
	s_cbranch_execnz .LBB12_635
	s_branch .LBB12_636
.LBB12_2685:
	s_movk_i32 s4, 0x80
	v_cmp_eq_u16_sdwa s[12:13], v13, s4 src0_sel:BYTE_3 src1_sel:DWORD
	s_mov_b64 s[4:5], -1
                                        ; implicit-def: $sgpr10
	s_and_saveexec_b64 s[8:9], s[12:13]
; %bb.2686:
	s_mov_b32 s10, 0x7f800001
	s_xor_b64 s[4:5], exec, -1
; %bb.2687:
	s_or_b64 exec, exec, s[8:9]
	s_and_b64 s[4:5], s[4:5], exec
	s_or_saveexec_b64 s[6:7], s[6:7]
	v_mov_b32_e32 v11, s10
	s_xor_b64 exec, exec, s[6:7]
	s_cbranch_execz .LBB12_638
.LBB12_2688:
	v_mov_b32_e32 v11, 0
	v_cmp_ne_u16_sdwa s[8:9], v13, v11 src0_sel:BYTE_3 src1_sel:DWORD
	s_andn2_b64 s[4:5], s[4:5], exec
	s_and_b64 s[8:9], s[8:9], exec
	s_or_b64 s[4:5], s[4:5], s[8:9]
	s_or_b64 exec, exec, s[6:7]
	s_and_saveexec_b64 s[6:7], s[4:5]
	s_cbranch_execnz .LBB12_639
	s_branch .LBB12_640
.LBB12_2689:
	s_movk_i32 s4, 0x80
	v_cmp_eq_u16_sdwa s[12:13], v6, s4 src0_sel:BYTE_0 src1_sel:DWORD
	s_mov_b64 s[4:5], -1
                                        ; implicit-def: $sgpr10
	s_and_saveexec_b64 s[8:9], s[12:13]
; %bb.2690:
	s_mov_b32 s10, 0x7f800001
	s_xor_b64 s[4:5], exec, -1
; %bb.2691:
	s_or_b64 exec, exec, s[8:9]
	s_and_b64 s[4:5], s[4:5], exec
	s_or_saveexec_b64 s[6:7], s[6:7]
	v_mov_b32_e32 v10, s10
	s_xor_b64 exec, exec, s[6:7]
	s_cbranch_execz .LBB12_642
.LBB12_2692:
	v_mov_b32_e32 v10, 0
	v_cmp_ne_u16_sdwa s[8:9], v6, v10 src0_sel:BYTE_0 src1_sel:DWORD
	s_andn2_b64 s[4:5], s[4:5], exec
	s_and_b64 s[8:9], s[8:9], exec
	s_or_b64 s[4:5], s[4:5], s[8:9]
	s_or_b64 exec, exec, s[6:7]
	s_and_saveexec_b64 s[6:7], s[4:5]
	s_cbranch_execnz .LBB12_643
	s_branch .LBB12_644
.LBB12_2693:
	s_movk_i32 s4, 0x80
	v_cmp_eq_u16_sdwa s[12:13], v2, s4 src0_sel:BYTE_0 src1_sel:DWORD
	s_mov_b64 s[4:5], -1
                                        ; implicit-def: $sgpr10
	s_and_saveexec_b64 s[8:9], s[12:13]
; %bb.2694:
	s_mov_b32 s10, 0x7f800001
	s_xor_b64 s[4:5], exec, -1
; %bb.2695:
	s_or_b64 exec, exec, s[8:9]
	s_and_b64 s[4:5], s[4:5], exec
	s_or_saveexec_b64 s[6:7], s[6:7]
	v_mov_b32_e32 v11, s10
	s_xor_b64 exec, exec, s[6:7]
	s_cbranch_execz .LBB12_646
.LBB12_2696:
	v_mov_b32_e32 v11, 0
	v_cmp_ne_u16_sdwa s[8:9], v2, v11 src0_sel:BYTE_0 src1_sel:DWORD
	s_andn2_b64 s[4:5], s[4:5], exec
	s_and_b64 s[8:9], s[8:9], exec
	s_or_b64 s[4:5], s[4:5], s[8:9]
	s_or_b64 exec, exec, s[6:7]
	s_and_saveexec_b64 s[6:7], s[4:5]
	s_cbranch_execnz .LBB12_647
	s_branch .LBB12_648
.LBB12_2697:
	s_movk_i32 s4, 0x80
	v_cmp_eq_u16_sdwa s[12:13], v11, s4 src0_sel:BYTE_0 src1_sel:DWORD
	s_mov_b64 s[4:5], -1
                                        ; implicit-def: $sgpr10
	s_and_saveexec_b64 s[8:9], s[12:13]
; %bb.2698:
	s_mov_b32 s10, 0x7f800001
	s_xor_b64 s[4:5], exec, -1
; %bb.2699:
	s_or_b64 exec, exec, s[8:9]
	s_and_b64 s[4:5], s[4:5], exec
	s_or_saveexec_b64 s[6:7], s[6:7]
	v_mov_b32_e32 v10, s10
	s_xor_b64 exec, exec, s[6:7]
	s_cbranch_execz .LBB12_650
.LBB12_2700:
	v_mov_b32_e32 v10, 0
	v_cmp_ne_u16_sdwa s[8:9], v11, v10 src0_sel:BYTE_0 src1_sel:DWORD
	s_andn2_b64 s[4:5], s[4:5], exec
	s_and_b64 s[8:9], s[8:9], exec
	s_or_b64 s[4:5], s[4:5], s[8:9]
	s_or_b64 exec, exec, s[6:7]
	s_and_saveexec_b64 s[6:7], s[4:5]
	s_cbranch_execnz .LBB12_651
	s_branch .LBB12_652
.LBB12_2701:
	s_movk_i32 s4, 0x80
	v_cmp_eq_u16_sdwa s[12:13], v11, s4 src0_sel:BYTE_0 src1_sel:DWORD
	s_mov_b64 s[4:5], -1
                                        ; implicit-def: $sgpr10
	s_and_saveexec_b64 s[8:9], s[12:13]
; %bb.2702:
	s_mov_b32 s10, 0x7f800001
	s_xor_b64 s[4:5], exec, -1
; %bb.2703:
	s_or_b64 exec, exec, s[8:9]
	s_and_b64 s[4:5], s[4:5], exec
	s_or_saveexec_b64 s[6:7], s[6:7]
	v_mov_b32_e32 v12, s10
	s_xor_b64 exec, exec, s[6:7]
	s_cbranch_execz .LBB12_654
.LBB12_2704:
	v_mov_b32_e32 v12, 0
	v_cmp_ne_u16_sdwa s[8:9], v11, v12 src0_sel:BYTE_0 src1_sel:DWORD
	s_andn2_b64 s[4:5], s[4:5], exec
	s_and_b64 s[8:9], s[8:9], exec
	s_or_b64 s[4:5], s[4:5], s[8:9]
	s_or_b64 exec, exec, s[6:7]
	s_and_saveexec_b64 s[6:7], s[4:5]
	s_cbranch_execnz .LBB12_655
	s_branch .LBB12_656
.LBB12_2705:
	s_movk_i32 s4, 0x80
	v_cmp_eq_u16_e32 vcc, s4, v11
	s_mov_b64 s[4:5], -1
                                        ; implicit-def: $sgpr10
	s_and_saveexec_b64 s[8:9], vcc
; %bb.2706:
	s_mov_b32 s10, 0x7f800001
	s_xor_b64 s[4:5], exec, -1
; %bb.2707:
	s_or_b64 exec, exec, s[8:9]
	s_and_b64 s[4:5], s[4:5], exec
                                        ; implicit-def: $vgpr11
	s_or_saveexec_b64 s[6:7], s[6:7]
	v_mov_b32_e32 v10, s10
	s_xor_b64 exec, exec, s[6:7]
	s_cbranch_execz .LBB12_658
.LBB12_2708:
	v_cmp_ne_u16_e32 vcc, 0, v11
	s_andn2_b64 s[4:5], s[4:5], exec
	s_and_b64 s[8:9], vcc, exec
	v_mov_b32_e32 v10, 0
	s_or_b64 s[4:5], s[4:5], s[8:9]
	s_or_b64 exec, exec, s[6:7]
	s_and_saveexec_b64 s[6:7], s[4:5]
	s_cbranch_execnz .LBB12_659
	s_branch .LBB12_660
.LBB12_2709:
	s_movk_i32 s4, 0x80
	v_cmp_eq_u16_e32 vcc, s4, v11
	s_mov_b64 s[4:5], -1
                                        ; implicit-def: $sgpr10
	s_and_saveexec_b64 s[8:9], vcc
; %bb.2710:
	s_mov_b32 s10, 0x7f800001
	s_xor_b64 s[4:5], exec, -1
; %bb.2711:
	s_or_b64 exec, exec, s[8:9]
	s_and_b64 s[4:5], s[4:5], exec
                                        ; implicit-def: $vgpr11
	s_or_saveexec_b64 s[6:7], s[6:7]
	v_mov_b32_e32 v12, s10
	s_xor_b64 exec, exec, s[6:7]
	s_cbranch_execz .LBB12_662
.LBB12_2712:
	v_cmp_ne_u16_e32 vcc, 0, v11
	s_andn2_b64 s[4:5], s[4:5], exec
	s_and_b64 s[8:9], vcc, exec
	v_mov_b32_e32 v12, 0
	s_or_b64 s[4:5], s[4:5], s[8:9]
	s_or_b64 exec, exec, s[6:7]
	s_and_saveexec_b64 s[6:7], s[4:5]
	s_cbranch_execnz .LBB12_663
	s_branch .LBB12_664
.LBB12_2713:
	s_movk_i32 s4, 0x80
	v_cmp_eq_u16_sdwa s[12:13], v6, s4 src0_sel:BYTE_3 src1_sel:DWORD
	s_mov_b64 s[4:5], -1
                                        ; implicit-def: $sgpr10
	s_and_saveexec_b64 s[8:9], s[12:13]
; %bb.2714:
	s_mov_b32 s10, 0x7f800001
	s_xor_b64 s[4:5], exec, -1
; %bb.2715:
	s_or_b64 exec, exec, s[8:9]
	s_and_b64 s[4:5], s[4:5], exec
	s_or_saveexec_b64 s[6:7], s[6:7]
	v_mov_b32_e32 v10, s10
	s_xor_b64 exec, exec, s[6:7]
	s_cbranch_execz .LBB12_666
.LBB12_2716:
	v_mov_b32_e32 v10, 0
	v_cmp_ne_u16_sdwa s[8:9], v6, v10 src0_sel:BYTE_3 src1_sel:DWORD
	s_andn2_b64 s[4:5], s[4:5], exec
	s_and_b64 s[8:9], s[8:9], exec
	s_or_b64 s[4:5], s[4:5], s[8:9]
	s_or_b64 exec, exec, s[6:7]
	s_and_saveexec_b64 s[6:7], s[4:5]
	s_cbranch_execnz .LBB12_667
	s_branch .LBB12_668
.LBB12_2717:
	s_movk_i32 s4, 0x80
	v_cmp_eq_u16_sdwa s[12:13], v2, s4 src0_sel:BYTE_3 src1_sel:DWORD
	s_mov_b64 s[4:5], -1
                                        ; implicit-def: $sgpr10
	s_and_saveexec_b64 s[8:9], s[12:13]
; %bb.2718:
	s_mov_b32 s10, 0x7f800001
	s_xor_b64 s[4:5], exec, -1
; %bb.2719:
	s_or_b64 exec, exec, s[8:9]
	s_and_b64 s[4:5], s[4:5], exec
	s_or_saveexec_b64 s[6:7], s[6:7]
	v_mov_b32_e32 v6, s10
	s_xor_b64 exec, exec, s[6:7]
	s_cbranch_execz .LBB12_670
.LBB12_2720:
	v_mov_b32_e32 v6, 0
	v_cmp_ne_u16_sdwa s[8:9], v2, v6 src0_sel:BYTE_3 src1_sel:DWORD
	s_andn2_b64 s[4:5], s[4:5], exec
	s_and_b64 s[8:9], s[8:9], exec
	s_or_b64 s[4:5], s[4:5], s[8:9]
	s_or_b64 exec, exec, s[6:7]
	s_and_saveexec_b64 s[6:7], s[4:5]
	s_cbranch_execnz .LBB12_671
	s_branch .LBB12_672
.LBB12_2721:
	s_movk_i32 s4, 0x80
	v_cmp_eq_u16_sdwa s[12:13], v7, s4 src0_sel:BYTE_0 src1_sel:DWORD
	s_mov_b64 s[4:5], -1
                                        ; implicit-def: $sgpr10
	s_and_saveexec_b64 s[8:9], s[12:13]
; %bb.2722:
	s_mov_b32 s10, 0x7f800001
	s_xor_b64 s[4:5], exec, -1
; %bb.2723:
	s_or_b64 exec, exec, s[8:9]
	s_and_b64 s[4:5], s[4:5], exec
	s_or_saveexec_b64 s[6:7], s[6:7]
	v_mov_b32_e32 v2, s10
	s_xor_b64 exec, exec, s[6:7]
	s_cbranch_execz .LBB12_674
.LBB12_2724:
	v_mov_b32_e32 v2, 0
	v_cmp_ne_u16_sdwa s[8:9], v7, v2 src0_sel:BYTE_0 src1_sel:DWORD
	s_andn2_b64 s[4:5], s[4:5], exec
	s_and_b64 s[8:9], s[8:9], exec
	s_or_b64 s[4:5], s[4:5], s[8:9]
	s_or_b64 exec, exec, s[6:7]
	s_and_saveexec_b64 s[6:7], s[4:5]
	s_cbranch_execnz .LBB12_675
	s_branch .LBB12_676
.LBB12_2725:
	s_movk_i32 s4, 0x80
	v_cmp_eq_u16_sdwa s[12:13], v3, s4 src0_sel:BYTE_0 src1_sel:DWORD
	s_mov_b64 s[4:5], -1
                                        ; implicit-def: $sgpr10
	s_and_saveexec_b64 s[8:9], s[12:13]
; %bb.2726:
	s_mov_b32 s10, 0x7f800001
	s_xor_b64 s[4:5], exec, -1
; %bb.2727:
	s_or_b64 exec, exec, s[8:9]
	s_and_b64 s[4:5], s[4:5], exec
	s_or_saveexec_b64 s[6:7], s[6:7]
	v_mov_b32_e32 v6, s10
	s_xor_b64 exec, exec, s[6:7]
	s_cbranch_execz .LBB12_678
.LBB12_2728:
	v_mov_b32_e32 v6, 0
	v_cmp_ne_u16_sdwa s[8:9], v3, v6 src0_sel:BYTE_0 src1_sel:DWORD
	s_andn2_b64 s[4:5], s[4:5], exec
	s_and_b64 s[8:9], s[8:9], exec
	s_or_b64 s[4:5], s[4:5], s[8:9]
	s_or_b64 exec, exec, s[6:7]
	s_and_saveexec_b64 s[6:7], s[4:5]
	s_cbranch_execnz .LBB12_679
	s_branch .LBB12_680
.LBB12_2729:
	s_movk_i32 s4, 0x80
	v_cmp_eq_u16_sdwa s[12:13], v6, s4 src0_sel:BYTE_0 src1_sel:DWORD
	s_mov_b64 s[4:5], -1
                                        ; implicit-def: $sgpr10
	s_and_saveexec_b64 s[8:9], s[12:13]
; %bb.2730:
	s_mov_b32 s10, 0x7f800001
	s_xor_b64 s[4:5], exec, -1
; %bb.2731:
	s_or_b64 exec, exec, s[8:9]
	s_and_b64 s[4:5], s[4:5], exec
	s_or_saveexec_b64 s[6:7], s[6:7]
	v_mov_b32_e32 v2, s10
	s_xor_b64 exec, exec, s[6:7]
	s_cbranch_execz .LBB12_682
.LBB12_2732:
	v_mov_b32_e32 v2, 0
	v_cmp_ne_u16_sdwa s[8:9], v6, v2 src0_sel:BYTE_0 src1_sel:DWORD
	s_andn2_b64 s[4:5], s[4:5], exec
	s_and_b64 s[8:9], s[8:9], exec
	s_or_b64 s[4:5], s[4:5], s[8:9]
	s_or_b64 exec, exec, s[6:7]
	s_and_saveexec_b64 s[6:7], s[4:5]
	s_cbranch_execnz .LBB12_683
	s_branch .LBB12_684
.LBB12_2733:
	s_movk_i32 s4, 0x80
	v_cmp_eq_u16_sdwa s[12:13], v6, s4 src0_sel:BYTE_0 src1_sel:DWORD
	s_mov_b64 s[4:5], -1
                                        ; implicit-def: $sgpr10
	s_and_saveexec_b64 s[8:9], s[12:13]
; %bb.2734:
	s_mov_b32 s10, 0x7f800001
	s_xor_b64 s[4:5], exec, -1
; %bb.2735:
	s_or_b64 exec, exec, s[8:9]
	s_and_b64 s[4:5], s[4:5], exec
	s_or_saveexec_b64 s[6:7], s[6:7]
	v_mov_b32_e32 v10, s10
	s_xor_b64 exec, exec, s[6:7]
	s_cbranch_execz .LBB12_686
.LBB12_2736:
	v_mov_b32_e32 v10, 0
	v_cmp_ne_u16_sdwa s[8:9], v6, v10 src0_sel:BYTE_0 src1_sel:DWORD
	s_andn2_b64 s[4:5], s[4:5], exec
	s_and_b64 s[8:9], s[8:9], exec
	s_or_b64 s[4:5], s[4:5], s[8:9]
	s_or_b64 exec, exec, s[6:7]
	s_and_saveexec_b64 s[6:7], s[4:5]
	s_cbranch_execnz .LBB12_687
	s_branch .LBB12_688
.LBB12_2737:
	s_movk_i32 s4, 0x80
	v_cmp_eq_u16_e32 vcc, s4, v6
	s_mov_b64 s[4:5], -1
                                        ; implicit-def: $sgpr10
	s_and_saveexec_b64 s[8:9], vcc
; %bb.2738:
	s_mov_b32 s10, 0x7f800001
	s_xor_b64 s[4:5], exec, -1
; %bb.2739:
	s_or_b64 exec, exec, s[8:9]
	s_and_b64 s[4:5], s[4:5], exec
                                        ; implicit-def: $vgpr6
	s_or_saveexec_b64 s[6:7], s[6:7]
	v_mov_b32_e32 v2, s10
	s_xor_b64 exec, exec, s[6:7]
	s_cbranch_execz .LBB12_690
.LBB12_2740:
	v_cmp_ne_u16_e32 vcc, 0, v6
	s_andn2_b64 s[4:5], s[4:5], exec
	s_and_b64 s[8:9], vcc, exec
	v_mov_b32_e32 v2, 0
	s_or_b64 s[4:5], s[4:5], s[8:9]
	s_or_b64 exec, exec, s[6:7]
	s_and_saveexec_b64 s[6:7], s[4:5]
	s_cbranch_execnz .LBB12_691
	s_branch .LBB12_692
.LBB12_2741:
	s_movk_i32 s4, 0x80
	v_cmp_eq_u16_e32 vcc, s4, v6
	s_mov_b64 s[4:5], -1
                                        ; implicit-def: $sgpr10
	s_and_saveexec_b64 s[8:9], vcc
; %bb.2742:
	s_mov_b32 s10, 0x7f800001
	s_xor_b64 s[4:5], exec, -1
; %bb.2743:
	s_or_b64 exec, exec, s[8:9]
	s_and_b64 s[4:5], s[4:5], exec
                                        ; implicit-def: $vgpr6
	s_or_saveexec_b64 s[6:7], s[6:7]
	v_mov_b32_e32 v10, s10
	s_xor_b64 exec, exec, s[6:7]
	s_cbranch_execz .LBB12_694
.LBB12_2744:
	v_cmp_ne_u16_e32 vcc, 0, v6
	s_andn2_b64 s[4:5], s[4:5], exec
	s_and_b64 s[8:9], vcc, exec
	v_mov_b32_e32 v10, 0
	s_or_b64 s[4:5], s[4:5], s[8:9]
	s_or_b64 exec, exec, s[6:7]
	s_and_saveexec_b64 s[6:7], s[4:5]
	s_cbranch_execnz .LBB12_695
	s_branch .LBB12_696
.LBB12_2745:
	s_movk_i32 s4, 0x80
	v_cmp_eq_u16_sdwa s[12:13], v7, s4 src0_sel:BYTE_3 src1_sel:DWORD
	s_mov_b64 s[4:5], -1
                                        ; implicit-def: $sgpr10
	s_and_saveexec_b64 s[8:9], s[12:13]
; %bb.2746:
	s_mov_b32 s10, 0x7f800001
	s_xor_b64 s[4:5], exec, -1
; %bb.2747:
	s_or_b64 exec, exec, s[8:9]
	s_and_b64 s[4:5], s[4:5], exec
	s_or_saveexec_b64 s[6:7], s[6:7]
	v_mov_b32_e32 v2, s10
	s_xor_b64 exec, exec, s[6:7]
	s_cbranch_execz .LBB12_698
.LBB12_2748:
	v_mov_b32_e32 v2, 0
	v_cmp_ne_u16_sdwa s[8:9], v7, v2 src0_sel:BYTE_3 src1_sel:DWORD
	s_andn2_b64 s[4:5], s[4:5], exec
	s_and_b64 s[8:9], s[8:9], exec
	s_or_b64 s[4:5], s[4:5], s[8:9]
	s_or_b64 exec, exec, s[6:7]
	s_and_saveexec_b64 s[6:7], s[4:5]
	s_cbranch_execnz .LBB12_699
	s_branch .LBB12_700
.LBB12_2749:
	s_movk_i32 s4, 0x80
	v_cmp_eq_u16_sdwa s[12:13], v3, s4 src0_sel:BYTE_3 src1_sel:DWORD
	s_mov_b64 s[4:5], -1
                                        ; implicit-def: $sgpr10
	s_and_saveexec_b64 s[8:9], s[12:13]
; %bb.2750:
	s_mov_b32 s10, 0x7f800001
	s_xor_b64 s[4:5], exec, -1
; %bb.2751:
	s_or_b64 exec, exec, s[8:9]
	s_and_b64 s[4:5], s[4:5], exec
	s_or_saveexec_b64 s[6:7], s[6:7]
	v_mov_b32_e32 v6, s10
	s_xor_b64 exec, exec, s[6:7]
	s_cbranch_execz .LBB12_702
.LBB12_2752:
	v_mov_b32_e32 v6, 0
	v_cmp_ne_u16_sdwa s[8:9], v3, v6 src0_sel:BYTE_3 src1_sel:DWORD
	s_andn2_b64 s[4:5], s[4:5], exec
	s_and_b64 s[8:9], s[8:9], exec
	s_or_b64 s[4:5], s[4:5], s[8:9]
	s_or_b64 exec, exec, s[6:7]
	s_and_saveexec_b64 s[6:7], s[4:5]
	s_cbranch_execnz .LBB12_703
	s_branch .LBB12_704
.LBB12_2753:
	s_movk_i32 s4, 0x80
	v_cmp_eq_u16_sdwa s[12:13], v8, s4 src0_sel:BYTE_0 src1_sel:DWORD
	s_mov_b64 s[4:5], -1
                                        ; implicit-def: $sgpr10
	s_and_saveexec_b64 s[8:9], s[12:13]
; %bb.2754:
	s_mov_b32 s10, 0x7f800001
	s_xor_b64 s[4:5], exec, -1
; %bb.2755:
	s_or_b64 exec, exec, s[8:9]
	s_and_b64 s[4:5], s[4:5], exec
	s_or_saveexec_b64 s[6:7], s[6:7]
	v_mov_b32_e32 v2, s10
	s_xor_b64 exec, exec, s[6:7]
	s_cbranch_execz .LBB12_706
.LBB12_2756:
	v_mov_b32_e32 v2, 0
	v_cmp_ne_u16_sdwa s[8:9], v8, v2 src0_sel:BYTE_0 src1_sel:DWORD
	s_andn2_b64 s[4:5], s[4:5], exec
	s_and_b64 s[8:9], s[8:9], exec
	s_or_b64 s[4:5], s[4:5], s[8:9]
	s_or_b64 exec, exec, s[6:7]
	s_and_saveexec_b64 s[6:7], s[4:5]
	s_cbranch_execnz .LBB12_707
	s_branch .LBB12_708
.LBB12_2757:
	s_movk_i32 s4, 0x80
	v_cmp_eq_u16_sdwa s[12:13], v4, s4 src0_sel:BYTE_0 src1_sel:DWORD
	s_mov_b64 s[4:5], -1
                                        ; implicit-def: $sgpr10
	s_and_saveexec_b64 s[8:9], s[12:13]
; %bb.2758:
	s_mov_b32 s10, 0x7f800001
	s_xor_b64 s[4:5], exec, -1
; %bb.2759:
	s_or_b64 exec, exec, s[8:9]
	s_and_b64 s[4:5], s[4:5], exec
	s_or_saveexec_b64 s[6:7], s[6:7]
	v_mov_b32_e32 v3, s10
	s_xor_b64 exec, exec, s[6:7]
	s_cbranch_execz .LBB12_710
.LBB12_2760:
	v_mov_b32_e32 v3, 0
	v_cmp_ne_u16_sdwa s[8:9], v4, v3 src0_sel:BYTE_0 src1_sel:DWORD
	s_andn2_b64 s[4:5], s[4:5], exec
	s_and_b64 s[8:9], s[8:9], exec
	s_or_b64 s[4:5], s[4:5], s[8:9]
	s_or_b64 exec, exec, s[6:7]
	s_and_saveexec_b64 s[6:7], s[4:5]
	s_cbranch_execnz .LBB12_711
	s_branch .LBB12_712
.LBB12_2761:
	s_movk_i32 s4, 0x80
	v_cmp_eq_u16_sdwa s[12:13], v3, s4 src0_sel:BYTE_0 src1_sel:DWORD
	s_mov_b64 s[4:5], -1
                                        ; implicit-def: $sgpr10
	s_and_saveexec_b64 s[8:9], s[12:13]
; %bb.2762:
	s_mov_b32 s10, 0x7f800001
	s_xor_b64 s[4:5], exec, -1
; %bb.2763:
	s_or_b64 exec, exec, s[8:9]
	s_and_b64 s[4:5], s[4:5], exec
	s_or_saveexec_b64 s[6:7], s[6:7]
	v_mov_b32_e32 v2, s10
	s_xor_b64 exec, exec, s[6:7]
	s_cbranch_execz .LBB12_714
.LBB12_2764:
	v_mov_b32_e32 v2, 0
	v_cmp_ne_u16_sdwa s[8:9], v3, v2 src0_sel:BYTE_0 src1_sel:DWORD
	s_andn2_b64 s[4:5], s[4:5], exec
	s_and_b64 s[8:9], s[8:9], exec
	s_or_b64 s[4:5], s[4:5], s[8:9]
	s_or_b64 exec, exec, s[6:7]
	s_and_saveexec_b64 s[6:7], s[4:5]
	s_cbranch_execnz .LBB12_715
	s_branch .LBB12_716
.LBB12_2765:
	s_movk_i32 s4, 0x80
	v_cmp_eq_u16_sdwa s[12:13], v3, s4 src0_sel:BYTE_0 src1_sel:DWORD
	s_mov_b64 s[4:5], -1
                                        ; implicit-def: $sgpr10
	s_and_saveexec_b64 s[8:9], s[12:13]
; %bb.2766:
	s_mov_b32 s10, 0x7f800001
	s_xor_b64 s[4:5], exec, -1
; %bb.2767:
	s_or_b64 exec, exec, s[8:9]
	s_and_b64 s[4:5], s[4:5], exec
	s_or_saveexec_b64 s[6:7], s[6:7]
	v_mov_b32_e32 v6, s10
	s_xor_b64 exec, exec, s[6:7]
	s_cbranch_execz .LBB12_718
.LBB12_2768:
	v_mov_b32_e32 v6, 0
	v_cmp_ne_u16_sdwa s[8:9], v3, v6 src0_sel:BYTE_0 src1_sel:DWORD
	s_andn2_b64 s[4:5], s[4:5], exec
	s_and_b64 s[8:9], s[8:9], exec
	s_or_b64 s[4:5], s[4:5], s[8:9]
	s_or_b64 exec, exec, s[6:7]
	s_and_saveexec_b64 s[6:7], s[4:5]
	s_cbranch_execnz .LBB12_719
	s_branch .LBB12_720
.LBB12_2769:
	s_movk_i32 s4, 0x80
	v_cmp_eq_u16_e32 vcc, s4, v3
	s_mov_b64 s[4:5], -1
                                        ; implicit-def: $sgpr10
	s_and_saveexec_b64 s[8:9], vcc
; %bb.2770:
	s_mov_b32 s10, 0x7f800001
	s_xor_b64 s[4:5], exec, -1
; %bb.2771:
	s_or_b64 exec, exec, s[8:9]
	s_and_b64 s[4:5], s[4:5], exec
                                        ; implicit-def: $vgpr3
	s_or_saveexec_b64 s[6:7], s[6:7]
	v_mov_b32_e32 v2, s10
	s_xor_b64 exec, exec, s[6:7]
	s_cbranch_execz .LBB12_722
.LBB12_2772:
	v_cmp_ne_u16_e32 vcc, 0, v3
	s_andn2_b64 s[4:5], s[4:5], exec
	s_and_b64 s[8:9], vcc, exec
	v_mov_b32_e32 v2, 0
	s_or_b64 s[4:5], s[4:5], s[8:9]
	s_or_b64 exec, exec, s[6:7]
	s_and_saveexec_b64 s[6:7], s[4:5]
	s_cbranch_execnz .LBB12_723
	s_branch .LBB12_724
.LBB12_2773:
	s_movk_i32 s4, 0x80
	v_cmp_eq_u16_e32 vcc, s4, v3
	s_mov_b64 s[4:5], -1
                                        ; implicit-def: $sgpr10
	s_and_saveexec_b64 s[8:9], vcc
; %bb.2774:
	s_mov_b32 s10, 0x7f800001
	s_xor_b64 s[4:5], exec, -1
; %bb.2775:
	s_or_b64 exec, exec, s[8:9]
	s_and_b64 s[4:5], s[4:5], exec
                                        ; implicit-def: $vgpr3
	s_or_saveexec_b64 s[6:7], s[6:7]
	v_mov_b32_e32 v6, s10
	s_xor_b64 exec, exec, s[6:7]
	s_cbranch_execz .LBB12_726
.LBB12_2776:
	v_cmp_ne_u16_e32 vcc, 0, v3
	s_andn2_b64 s[4:5], s[4:5], exec
	s_and_b64 s[8:9], vcc, exec
	v_mov_b32_e32 v6, 0
	s_or_b64 s[4:5], s[4:5], s[8:9]
	s_or_b64 exec, exec, s[6:7]
	s_and_saveexec_b64 s[6:7], s[4:5]
	s_cbranch_execnz .LBB12_727
	s_branch .LBB12_728
.LBB12_2777:
	s_movk_i32 s4, 0x80
	v_cmp_eq_u16_sdwa s[12:13], v8, s4 src0_sel:BYTE_3 src1_sel:DWORD
	s_mov_b64 s[4:5], -1
                                        ; implicit-def: $sgpr10
	s_and_saveexec_b64 s[8:9], s[12:13]
; %bb.2778:
	s_mov_b32 s10, 0x7f800001
	s_xor_b64 s[4:5], exec, -1
; %bb.2779:
	s_or_b64 exec, exec, s[8:9]
	s_and_b64 s[4:5], s[4:5], exec
	s_or_saveexec_b64 s[6:7], s[6:7]
	v_mov_b32_e32 v2, s10
	s_xor_b64 exec, exec, s[6:7]
	s_cbranch_execz .LBB12_730
.LBB12_2780:
	v_mov_b32_e32 v2, 0
	v_cmp_ne_u16_sdwa s[8:9], v8, v2 src0_sel:BYTE_3 src1_sel:DWORD
	s_andn2_b64 s[4:5], s[4:5], exec
	s_and_b64 s[8:9], s[8:9], exec
	s_or_b64 s[4:5], s[4:5], s[8:9]
	s_or_b64 exec, exec, s[6:7]
	s_and_saveexec_b64 s[6:7], s[4:5]
	s_cbranch_execnz .LBB12_731
	s_branch .LBB12_732
.LBB12_2781:
	s_movk_i32 s4, 0x80
	v_cmp_eq_u16_sdwa s[12:13], v4, s4 src0_sel:BYTE_3 src1_sel:DWORD
	s_mov_b64 s[4:5], -1
                                        ; implicit-def: $sgpr10
	s_and_saveexec_b64 s[8:9], s[12:13]
; %bb.2782:
	s_mov_b32 s10, 0x7f800001
	s_xor_b64 s[4:5], exec, -1
; %bb.2783:
	s_or_b64 exec, exec, s[8:9]
	s_and_b64 s[4:5], s[4:5], exec
	s_or_saveexec_b64 s[6:7], s[6:7]
	v_mov_b32_e32 v3, s10
	s_xor_b64 exec, exec, s[6:7]
	s_cbranch_execz .LBB12_734
.LBB12_2784:
	v_mov_b32_e32 v3, 0
	v_cmp_ne_u16_sdwa s[8:9], v4, v3 src0_sel:BYTE_3 src1_sel:DWORD
	s_andn2_b64 s[4:5], s[4:5], exec
	s_and_b64 s[8:9], s[8:9], exec
	s_or_b64 s[4:5], s[4:5], s[8:9]
	s_or_b64 exec, exec, s[6:7]
	s_and_saveexec_b64 s[6:7], s[4:5]
	s_cbranch_execnz .LBB12_735
	s_branch .LBB12_736
.LBB12_2785:
	s_movk_i32 s4, 0x80
	v_cmp_eq_u16_sdwa s[12:13], v9, s4 src0_sel:BYTE_0 src1_sel:DWORD
	s_mov_b64 s[4:5], -1
                                        ; implicit-def: $sgpr10
	s_and_saveexec_b64 s[8:9], s[12:13]
; %bb.2786:
	s_mov_b32 s10, 0x7f800001
	s_xor_b64 s[4:5], exec, -1
; %bb.2787:
	s_or_b64 exec, exec, s[8:9]
	s_and_b64 s[4:5], s[4:5], exec
	s_or_saveexec_b64 s[6:7], s[6:7]
	v_mov_b32_e32 v2, s10
	s_xor_b64 exec, exec, s[6:7]
	s_cbranch_execz .LBB12_738
.LBB12_2788:
	v_mov_b32_e32 v2, 0
	v_cmp_ne_u16_sdwa s[8:9], v9, v2 src0_sel:BYTE_0 src1_sel:DWORD
	s_andn2_b64 s[4:5], s[4:5], exec
	s_and_b64 s[8:9], s[8:9], exec
	s_or_b64 s[4:5], s[4:5], s[8:9]
	s_or_b64 exec, exec, s[6:7]
	s_and_saveexec_b64 s[6:7], s[4:5]
	s_cbranch_execnz .LBB12_739
	s_branch .LBB12_740
.LBB12_2789:
	s_movk_i32 s4, 0x80
	v_cmp_eq_u16_sdwa s[12:13], v5, s4 src0_sel:BYTE_0 src1_sel:DWORD
	s_mov_b64 s[4:5], -1
                                        ; implicit-def: $sgpr10
	s_and_saveexec_b64 s[8:9], s[12:13]
; %bb.2790:
	s_mov_b32 s10, 0x7f800001
	s_xor_b64 s[4:5], exec, -1
; %bb.2791:
	s_or_b64 exec, exec, s[8:9]
	s_and_b64 s[4:5], s[4:5], exec
	s_or_saveexec_b64 s[6:7], s[6:7]
	v_mov_b32_e32 v3, s10
	s_xor_b64 exec, exec, s[6:7]
	s_cbranch_execz .LBB12_742
.LBB12_2792:
	v_mov_b32_e32 v3, 0
	v_cmp_ne_u16_sdwa s[8:9], v5, v3 src0_sel:BYTE_0 src1_sel:DWORD
	s_andn2_b64 s[4:5], s[4:5], exec
	s_and_b64 s[8:9], s[8:9], exec
	s_or_b64 s[4:5], s[4:5], s[8:9]
	s_or_b64 exec, exec, s[6:7]
	s_and_saveexec_b64 s[6:7], s[4:5]
	s_cbranch_execnz .LBB12_743
	s_branch .LBB12_744
.LBB12_2793:
	s_movk_i32 s4, 0x80
	v_cmp_eq_u16_sdwa s[12:13], v3, s4 src0_sel:BYTE_0 src1_sel:DWORD
	s_mov_b64 s[4:5], -1
                                        ; implicit-def: $sgpr10
	s_and_saveexec_b64 s[8:9], s[12:13]
; %bb.2794:
	s_mov_b32 s10, 0x7f800001
	s_xor_b64 s[4:5], exec, -1
; %bb.2795:
	s_or_b64 exec, exec, s[8:9]
	s_and_b64 s[4:5], s[4:5], exec
	s_or_saveexec_b64 s[6:7], s[6:7]
	v_mov_b32_e32 v2, s10
	s_xor_b64 exec, exec, s[6:7]
	s_cbranch_execz .LBB12_746
.LBB12_2796:
	v_mov_b32_e32 v2, 0
	v_cmp_ne_u16_sdwa s[8:9], v3, v2 src0_sel:BYTE_0 src1_sel:DWORD
	s_andn2_b64 s[4:5], s[4:5], exec
	s_and_b64 s[8:9], s[8:9], exec
	s_or_b64 s[4:5], s[4:5], s[8:9]
	s_or_b64 exec, exec, s[6:7]
	s_and_saveexec_b64 s[6:7], s[4:5]
	s_cbranch_execnz .LBB12_747
	s_branch .LBB12_748
.LBB12_2797:
	s_movk_i32 s4, 0x80
	v_cmp_eq_u16_sdwa s[12:13], v3, s4 src0_sel:BYTE_0 src1_sel:DWORD
	s_mov_b64 s[4:5], -1
                                        ; implicit-def: $sgpr10
	s_and_saveexec_b64 s[8:9], s[12:13]
; %bb.2798:
	s_mov_b32 s10, 0x7f800001
	s_xor_b64 s[4:5], exec, -1
; %bb.2799:
	s_or_b64 exec, exec, s[8:9]
	s_and_b64 s[4:5], s[4:5], exec
	s_or_saveexec_b64 s[6:7], s[6:7]
	v_mov_b32_e32 v4, s10
	s_xor_b64 exec, exec, s[6:7]
	s_cbranch_execz .LBB12_750
.LBB12_2800:
	v_mov_b32_e32 v4, 0
	v_cmp_ne_u16_sdwa s[8:9], v3, v4 src0_sel:BYTE_0 src1_sel:DWORD
	s_andn2_b64 s[4:5], s[4:5], exec
	s_and_b64 s[8:9], s[8:9], exec
	s_or_b64 s[4:5], s[4:5], s[8:9]
	s_or_b64 exec, exec, s[6:7]
	s_and_saveexec_b64 s[6:7], s[4:5]
	s_cbranch_execnz .LBB12_751
	s_branch .LBB12_752
.LBB12_2801:
	s_movk_i32 s4, 0x80
	v_cmp_eq_u16_e32 vcc, s4, v3
	s_mov_b64 s[4:5], -1
                                        ; implicit-def: $sgpr10
	s_and_saveexec_b64 s[8:9], vcc
; %bb.2802:
	s_mov_b32 s10, 0x7f800001
	s_xor_b64 s[4:5], exec, -1
; %bb.2803:
	s_or_b64 exec, exec, s[8:9]
	s_and_b64 s[4:5], s[4:5], exec
                                        ; implicit-def: $vgpr3
	s_or_saveexec_b64 s[6:7], s[6:7]
	v_mov_b32_e32 v2, s10
	s_xor_b64 exec, exec, s[6:7]
	s_cbranch_execz .LBB12_754
.LBB12_2804:
	v_cmp_ne_u16_e32 vcc, 0, v3
	s_andn2_b64 s[4:5], s[4:5], exec
	s_and_b64 s[8:9], vcc, exec
	v_mov_b32_e32 v2, 0
	s_or_b64 s[4:5], s[4:5], s[8:9]
	s_or_b64 exec, exec, s[6:7]
	s_and_saveexec_b64 s[6:7], s[4:5]
	s_cbranch_execnz .LBB12_755
	s_branch .LBB12_756
.LBB12_2805:
	s_movk_i32 s4, 0x80
	v_cmp_eq_u16_e32 vcc, s4, v3
	s_mov_b64 s[4:5], -1
                                        ; implicit-def: $sgpr10
	s_and_saveexec_b64 s[8:9], vcc
; %bb.2806:
	s_mov_b32 s10, 0x7f800001
	s_xor_b64 s[4:5], exec, -1
; %bb.2807:
	s_or_b64 exec, exec, s[8:9]
	s_and_b64 s[4:5], s[4:5], exec
                                        ; implicit-def: $vgpr3
	s_or_saveexec_b64 s[6:7], s[6:7]
	v_mov_b32_e32 v4, s10
	s_xor_b64 exec, exec, s[6:7]
	s_cbranch_execz .LBB12_758
.LBB12_2808:
	v_cmp_ne_u16_e32 vcc, 0, v3
	s_andn2_b64 s[4:5], s[4:5], exec
	s_and_b64 s[8:9], vcc, exec
	v_mov_b32_e32 v4, 0
	s_or_b64 s[4:5], s[4:5], s[8:9]
	s_or_b64 exec, exec, s[6:7]
	s_and_saveexec_b64 s[6:7], s[4:5]
	s_cbranch_execnz .LBB12_759
	s_branch .LBB12_760
.LBB12_2809:
	s_movk_i32 s4, 0x80
	v_cmp_eq_u16_sdwa s[12:13], v9, s4 src0_sel:BYTE_3 src1_sel:DWORD
	s_mov_b64 s[4:5], -1
                                        ; implicit-def: $sgpr10
	s_and_saveexec_b64 s[8:9], s[12:13]
; %bb.2810:
	s_mov_b32 s10, 0x7f800001
	s_xor_b64 s[4:5], exec, -1
; %bb.2811:
	s_or_b64 exec, exec, s[8:9]
	s_and_b64 s[4:5], s[4:5], exec
	s_or_saveexec_b64 s[6:7], s[6:7]
	v_mov_b32_e32 v2, s10
	s_xor_b64 exec, exec, s[6:7]
	s_cbranch_execz .LBB12_762
.LBB12_2812:
	v_mov_b32_e32 v2, 0
	v_cmp_ne_u16_sdwa s[8:9], v9, v2 src0_sel:BYTE_3 src1_sel:DWORD
	s_andn2_b64 s[4:5], s[4:5], exec
	s_and_b64 s[8:9], s[8:9], exec
	s_or_b64 s[4:5], s[4:5], s[8:9]
	s_or_b64 exec, exec, s[6:7]
	s_and_saveexec_b64 s[6:7], s[4:5]
	s_cbranch_execnz .LBB12_763
	s_branch .LBB12_764
.LBB12_2813:
	s_movk_i32 s4, 0x80
	v_cmp_eq_u16_sdwa s[12:13], v5, s4 src0_sel:BYTE_3 src1_sel:DWORD
	s_mov_b64 s[4:5], -1
                                        ; implicit-def: $sgpr10
	s_and_saveexec_b64 s[8:9], s[12:13]
; %bb.2814:
	s_mov_b32 s10, 0x7f800001
	s_xor_b64 s[4:5], exec, -1
; %bb.2815:
	s_or_b64 exec, exec, s[8:9]
	s_and_b64 s[4:5], s[4:5], exec
	s_or_saveexec_b64 s[6:7], s[6:7]
	v_mov_b32_e32 v3, s10
	s_xor_b64 exec, exec, s[6:7]
	s_cbranch_execz .LBB12_766
.LBB12_2816:
	v_mov_b32_e32 v3, 0
	v_cmp_ne_u16_sdwa s[8:9], v5, v3 src0_sel:BYTE_3 src1_sel:DWORD
	s_andn2_b64 s[4:5], s[4:5], exec
	s_and_b64 s[8:9], s[8:9], exec
	s_or_b64 s[4:5], s[4:5], s[8:9]
	s_or_b64 exec, exec, s[6:7]
	s_and_saveexec_b64 s[6:7], s[4:5]
	s_cbranch_execnz .LBB12_767
	s_branch .LBB12_768
.LBB12_2817:
	s_movk_i32 s4, 0x80
	v_cmp_eq_u16_sdwa s[12:13], v14, s4 src0_sel:BYTE_0 src1_sel:DWORD
	s_mov_b64 s[4:5], -1
                                        ; implicit-def: $sgpr10
	s_and_saveexec_b64 s[8:9], s[12:13]
; %bb.2818:
	s_mov_b32 s10, 0x7f800001
	s_xor_b64 s[4:5], exec, -1
; %bb.2819:
	s_or_b64 exec, exec, s[8:9]
	s_and_b64 s[4:5], s[4:5], exec
	s_or_saveexec_b64 s[6:7], s[6:7]
	v_mov_b32_e32 v20, s10
	s_xor_b64 exec, exec, s[6:7]
	s_cbranch_execz .LBB12_770
.LBB12_2820:
	v_mov_b32_e32 v20, 0
	v_cmp_ne_u16_sdwa s[8:9], v14, v20 src0_sel:BYTE_0 src1_sel:DWORD
	s_andn2_b64 s[4:5], s[4:5], exec
	s_and_b64 s[8:9], s[8:9], exec
	s_or_b64 s[4:5], s[4:5], s[8:9]
	s_or_b64 exec, exec, s[6:7]
	s_and_saveexec_b64 s[6:7], s[4:5]
	s_cbranch_execnz .LBB12_771
	s_branch .LBB12_772
.LBB12_2821:
	s_movk_i32 s4, 0x80
	v_cmp_eq_u16_sdwa s[12:13], v10, s4 src0_sel:BYTE_0 src1_sel:DWORD
	s_mov_b64 s[4:5], -1
                                        ; implicit-def: $sgpr10
	s_and_saveexec_b64 s[8:9], s[12:13]
; %bb.2822:
	s_mov_b32 s10, 0x7f800001
	s_xor_b64 s[4:5], exec, -1
; %bb.2823:
	s_or_b64 exec, exec, s[8:9]
	s_and_b64 s[4:5], s[4:5], exec
	s_or_saveexec_b64 s[6:7], s[6:7]
	v_mov_b32_e32 v21, s10
	s_xor_b64 exec, exec, s[6:7]
	s_cbranch_execz .LBB12_774
.LBB12_2824:
	v_mov_b32_e32 v21, 0
	v_cmp_ne_u16_sdwa s[8:9], v10, v21 src0_sel:BYTE_0 src1_sel:DWORD
	s_andn2_b64 s[4:5], s[4:5], exec
	s_and_b64 s[8:9], s[8:9], exec
	s_or_b64 s[4:5], s[4:5], s[8:9]
	s_or_b64 exec, exec, s[6:7]
	s_and_saveexec_b64 s[6:7], s[4:5]
	s_cbranch_execnz .LBB12_775
	s_branch .LBB12_776
.LBB12_2825:
	s_movk_i32 s4, 0x80
	v_cmp_eq_u16_sdwa s[12:13], v21, s4 src0_sel:BYTE_0 src1_sel:DWORD
	s_mov_b64 s[4:5], -1
                                        ; implicit-def: $sgpr10
	s_and_saveexec_b64 s[8:9], s[12:13]
; %bb.2826:
	s_mov_b32 s10, 0x7f800001
	s_xor_b64 s[4:5], exec, -1
; %bb.2827:
	s_or_b64 exec, exec, s[8:9]
	s_and_b64 s[4:5], s[4:5], exec
	s_or_saveexec_b64 s[6:7], s[6:7]
	v_mov_b32_e32 v20, s10
	s_xor_b64 exec, exec, s[6:7]
	s_cbranch_execz .LBB12_778
.LBB12_2828:
	v_mov_b32_e32 v20, 0
	v_cmp_ne_u16_sdwa s[8:9], v21, v20 src0_sel:BYTE_0 src1_sel:DWORD
	s_andn2_b64 s[4:5], s[4:5], exec
	s_and_b64 s[8:9], s[8:9], exec
	s_or_b64 s[4:5], s[4:5], s[8:9]
	s_or_b64 exec, exec, s[6:7]
	s_and_saveexec_b64 s[6:7], s[4:5]
	s_cbranch_execnz .LBB12_779
	s_branch .LBB12_780
.LBB12_2829:
	s_movk_i32 s4, 0x80
	v_cmp_eq_u16_sdwa s[12:13], v21, s4 src0_sel:BYTE_0 src1_sel:DWORD
	s_mov_b64 s[4:5], -1
                                        ; implicit-def: $sgpr10
	s_and_saveexec_b64 s[8:9], s[12:13]
; %bb.2830:
	s_mov_b32 s10, 0x7f800001
	s_xor_b64 s[4:5], exec, -1
; %bb.2831:
	s_or_b64 exec, exec, s[8:9]
	s_and_b64 s[4:5], s[4:5], exec
	s_or_saveexec_b64 s[6:7], s[6:7]
	v_mov_b32_e32 v22, s10
	s_xor_b64 exec, exec, s[6:7]
	s_cbranch_execz .LBB12_782
.LBB12_2832:
	v_mov_b32_e32 v22, 0
	v_cmp_ne_u16_sdwa s[8:9], v21, v22 src0_sel:BYTE_0 src1_sel:DWORD
	s_andn2_b64 s[4:5], s[4:5], exec
	s_and_b64 s[8:9], s[8:9], exec
	s_or_b64 s[4:5], s[4:5], s[8:9]
	s_or_b64 exec, exec, s[6:7]
	s_and_saveexec_b64 s[6:7], s[4:5]
	s_cbranch_execnz .LBB12_783
	s_branch .LBB12_784
.LBB12_2833:
	s_movk_i32 s4, 0x80
	v_cmp_eq_u16_e32 vcc, s4, v21
	s_mov_b64 s[4:5], -1
                                        ; implicit-def: $sgpr10
	s_and_saveexec_b64 s[8:9], vcc
; %bb.2834:
	s_mov_b32 s10, 0x7f800001
	s_xor_b64 s[4:5], exec, -1
; %bb.2835:
	s_or_b64 exec, exec, s[8:9]
	s_and_b64 s[4:5], s[4:5], exec
                                        ; implicit-def: $vgpr21
	s_or_saveexec_b64 s[6:7], s[6:7]
	v_mov_b32_e32 v20, s10
	s_xor_b64 exec, exec, s[6:7]
	s_cbranch_execz .LBB12_786
.LBB12_2836:
	v_cmp_ne_u16_e32 vcc, 0, v21
	s_andn2_b64 s[4:5], s[4:5], exec
	s_and_b64 s[8:9], vcc, exec
	v_mov_b32_e32 v20, 0
	s_or_b64 s[4:5], s[4:5], s[8:9]
	s_or_b64 exec, exec, s[6:7]
	s_and_saveexec_b64 s[6:7], s[4:5]
	s_cbranch_execnz .LBB12_787
	s_branch .LBB12_788
.LBB12_2837:
	s_movk_i32 s4, 0x80
	v_cmp_eq_u16_e32 vcc, s4, v21
	s_mov_b64 s[4:5], -1
                                        ; implicit-def: $sgpr10
	s_and_saveexec_b64 s[8:9], vcc
; %bb.2838:
	s_mov_b32 s10, 0x7f800001
	s_xor_b64 s[4:5], exec, -1
; %bb.2839:
	s_or_b64 exec, exec, s[8:9]
	s_and_b64 s[4:5], s[4:5], exec
                                        ; implicit-def: $vgpr21
	s_or_saveexec_b64 s[6:7], s[6:7]
	v_mov_b32_e32 v22, s10
	s_xor_b64 exec, exec, s[6:7]
	s_cbranch_execz .LBB12_790
.LBB12_2840:
	v_cmp_ne_u16_e32 vcc, 0, v21
	s_andn2_b64 s[4:5], s[4:5], exec
	s_and_b64 s[8:9], vcc, exec
	v_mov_b32_e32 v22, 0
	s_or_b64 s[4:5], s[4:5], s[8:9]
	s_or_b64 exec, exec, s[6:7]
	s_and_saveexec_b64 s[6:7], s[4:5]
	s_cbranch_execnz .LBB12_791
	s_branch .LBB12_792
.LBB12_2841:
	s_movk_i32 s4, 0x80
	v_cmp_eq_u16_sdwa s[12:13], v14, s4 src0_sel:BYTE_3 src1_sel:DWORD
	s_mov_b64 s[4:5], -1
                                        ; implicit-def: $sgpr10
	s_and_saveexec_b64 s[8:9], s[12:13]
; %bb.2842:
	s_mov_b32 s10, 0x7f800001
	s_xor_b64 s[4:5], exec, -1
; %bb.2843:
	s_or_b64 exec, exec, s[8:9]
	s_and_b64 s[4:5], s[4:5], exec
	s_or_saveexec_b64 s[6:7], s[6:7]
	v_mov_b32_e32 v20, s10
	s_xor_b64 exec, exec, s[6:7]
	s_cbranch_execz .LBB12_794
.LBB12_2844:
	v_mov_b32_e32 v20, 0
	v_cmp_ne_u16_sdwa s[8:9], v14, v20 src0_sel:BYTE_3 src1_sel:DWORD
	s_andn2_b64 s[4:5], s[4:5], exec
	s_and_b64 s[8:9], s[8:9], exec
	s_or_b64 s[4:5], s[4:5], s[8:9]
	s_or_b64 exec, exec, s[6:7]
	s_and_saveexec_b64 s[6:7], s[4:5]
	s_cbranch_execnz .LBB12_795
	s_branch .LBB12_796
.LBB12_2845:
	s_movk_i32 s4, 0x80
	v_cmp_eq_u16_sdwa s[12:13], v10, s4 src0_sel:BYTE_3 src1_sel:DWORD
	s_mov_b64 s[4:5], -1
                                        ; implicit-def: $sgpr10
	s_and_saveexec_b64 s[8:9], s[12:13]
; %bb.2846:
	s_mov_b32 s10, 0x7f800001
	s_xor_b64 s[4:5], exec, -1
; %bb.2847:
	s_or_b64 exec, exec, s[8:9]
	s_and_b64 s[4:5], s[4:5], exec
	s_or_saveexec_b64 s[6:7], s[6:7]
	v_mov_b32_e32 v14, s10
	s_xor_b64 exec, exec, s[6:7]
	s_cbranch_execz .LBB12_798
.LBB12_2848:
	v_mov_b32_e32 v14, 0
	v_cmp_ne_u16_sdwa s[8:9], v10, v14 src0_sel:BYTE_3 src1_sel:DWORD
	s_andn2_b64 s[4:5], s[4:5], exec
	s_and_b64 s[8:9], s[8:9], exec
	s_or_b64 s[4:5], s[4:5], s[8:9]
	s_or_b64 exec, exec, s[6:7]
	s_and_saveexec_b64 s[6:7], s[4:5]
	s_cbranch_execnz .LBB12_799
	s_branch .LBB12_800
.LBB12_2849:
	s_movk_i32 s4, 0x80
	v_cmp_eq_u16_sdwa s[12:13], v15, s4 src0_sel:BYTE_0 src1_sel:DWORD
	s_mov_b64 s[4:5], -1
                                        ; implicit-def: $sgpr10
	s_and_saveexec_b64 s[8:9], s[12:13]
; %bb.2850:
	s_mov_b32 s10, 0x7f800001
	s_xor_b64 s[4:5], exec, -1
; %bb.2851:
	s_or_b64 exec, exec, s[8:9]
	s_and_b64 s[4:5], s[4:5], exec
	s_or_saveexec_b64 s[6:7], s[6:7]
	v_mov_b32_e32 v10, s10
	s_xor_b64 exec, exec, s[6:7]
	s_cbranch_execz .LBB12_802
.LBB12_2852:
	v_mov_b32_e32 v10, 0
	v_cmp_ne_u16_sdwa s[8:9], v15, v10 src0_sel:BYTE_0 src1_sel:DWORD
	s_andn2_b64 s[4:5], s[4:5], exec
	s_and_b64 s[8:9], s[8:9], exec
	s_or_b64 s[4:5], s[4:5], s[8:9]
	s_or_b64 exec, exec, s[6:7]
	s_and_saveexec_b64 s[6:7], s[4:5]
	s_cbranch_execnz .LBB12_803
	s_branch .LBB12_804
.LBB12_2853:
	s_movk_i32 s4, 0x80
	v_cmp_eq_u16_sdwa s[12:13], v11, s4 src0_sel:BYTE_0 src1_sel:DWORD
	s_mov_b64 s[4:5], -1
                                        ; implicit-def: $sgpr10
	s_and_saveexec_b64 s[8:9], s[12:13]
; %bb.2854:
	s_mov_b32 s10, 0x7f800001
	s_xor_b64 s[4:5], exec, -1
; %bb.2855:
	s_or_b64 exec, exec, s[8:9]
	s_and_b64 s[4:5], s[4:5], exec
	s_or_saveexec_b64 s[6:7], s[6:7]
	v_mov_b32_e32 v14, s10
	s_xor_b64 exec, exec, s[6:7]
	s_cbranch_execz .LBB12_806
.LBB12_2856:
	v_mov_b32_e32 v14, 0
	v_cmp_ne_u16_sdwa s[8:9], v11, v14 src0_sel:BYTE_0 src1_sel:DWORD
	s_andn2_b64 s[4:5], s[4:5], exec
	s_and_b64 s[8:9], s[8:9], exec
	s_or_b64 s[4:5], s[4:5], s[8:9]
	s_or_b64 exec, exec, s[6:7]
	s_and_saveexec_b64 s[6:7], s[4:5]
	s_cbranch_execnz .LBB12_807
	s_branch .LBB12_808
.LBB12_2857:
	s_movk_i32 s4, 0x80
	v_cmp_eq_u16_sdwa s[12:13], v14, s4 src0_sel:BYTE_0 src1_sel:DWORD
	s_mov_b64 s[4:5], -1
                                        ; implicit-def: $sgpr10
	s_and_saveexec_b64 s[8:9], s[12:13]
; %bb.2858:
	s_mov_b32 s10, 0x7f800001
	s_xor_b64 s[4:5], exec, -1
; %bb.2859:
	s_or_b64 exec, exec, s[8:9]
	s_and_b64 s[4:5], s[4:5], exec
	s_or_saveexec_b64 s[6:7], s[6:7]
	v_mov_b32_e32 v10, s10
	s_xor_b64 exec, exec, s[6:7]
	s_cbranch_execz .LBB12_810
.LBB12_2860:
	v_mov_b32_e32 v10, 0
	v_cmp_ne_u16_sdwa s[8:9], v14, v10 src0_sel:BYTE_0 src1_sel:DWORD
	s_andn2_b64 s[4:5], s[4:5], exec
	s_and_b64 s[8:9], s[8:9], exec
	s_or_b64 s[4:5], s[4:5], s[8:9]
	s_or_b64 exec, exec, s[6:7]
	s_and_saveexec_b64 s[6:7], s[4:5]
	s_cbranch_execnz .LBB12_811
	s_branch .LBB12_812
.LBB12_2861:
	s_movk_i32 s4, 0x80
	v_cmp_eq_u16_sdwa s[12:13], v14, s4 src0_sel:BYTE_0 src1_sel:DWORD
	s_mov_b64 s[4:5], -1
                                        ; implicit-def: $sgpr10
	s_and_saveexec_b64 s[8:9], s[12:13]
; %bb.2862:
	s_mov_b32 s10, 0x7f800001
	s_xor_b64 s[4:5], exec, -1
; %bb.2863:
	s_or_b64 exec, exec, s[8:9]
	s_and_b64 s[4:5], s[4:5], exec
	s_or_saveexec_b64 s[6:7], s[6:7]
	v_mov_b32_e32 v20, s10
	s_xor_b64 exec, exec, s[6:7]
	s_cbranch_execz .LBB12_814
.LBB12_2864:
	v_mov_b32_e32 v20, 0
	v_cmp_ne_u16_sdwa s[8:9], v14, v20 src0_sel:BYTE_0 src1_sel:DWORD
	s_andn2_b64 s[4:5], s[4:5], exec
	s_and_b64 s[8:9], s[8:9], exec
	s_or_b64 s[4:5], s[4:5], s[8:9]
	s_or_b64 exec, exec, s[6:7]
	s_and_saveexec_b64 s[6:7], s[4:5]
	s_cbranch_execnz .LBB12_815
	s_branch .LBB12_816
.LBB12_2865:
	s_movk_i32 s4, 0x80
	v_cmp_eq_u16_e32 vcc, s4, v14
	s_mov_b64 s[4:5], -1
                                        ; implicit-def: $sgpr10
	s_and_saveexec_b64 s[8:9], vcc
; %bb.2866:
	s_mov_b32 s10, 0x7f800001
	s_xor_b64 s[4:5], exec, -1
; %bb.2867:
	s_or_b64 exec, exec, s[8:9]
	s_and_b64 s[4:5], s[4:5], exec
                                        ; implicit-def: $vgpr14
	s_or_saveexec_b64 s[6:7], s[6:7]
	v_mov_b32_e32 v10, s10
	s_xor_b64 exec, exec, s[6:7]
	s_cbranch_execz .LBB12_818
.LBB12_2868:
	v_cmp_ne_u16_e32 vcc, 0, v14
	s_andn2_b64 s[4:5], s[4:5], exec
	s_and_b64 s[8:9], vcc, exec
	v_mov_b32_e32 v10, 0
	s_or_b64 s[4:5], s[4:5], s[8:9]
	s_or_b64 exec, exec, s[6:7]
	s_and_saveexec_b64 s[6:7], s[4:5]
	s_cbranch_execnz .LBB12_819
	s_branch .LBB12_820
.LBB12_2869:
	s_movk_i32 s4, 0x80
	v_cmp_eq_u16_e32 vcc, s4, v14
	s_mov_b64 s[4:5], -1
                                        ; implicit-def: $sgpr10
	s_and_saveexec_b64 s[8:9], vcc
; %bb.2870:
	s_mov_b32 s10, 0x7f800001
	s_xor_b64 s[4:5], exec, -1
; %bb.2871:
	s_or_b64 exec, exec, s[8:9]
	s_and_b64 s[4:5], s[4:5], exec
                                        ; implicit-def: $vgpr14
	s_or_saveexec_b64 s[6:7], s[6:7]
	v_mov_b32_e32 v20, s10
	s_xor_b64 exec, exec, s[6:7]
	s_cbranch_execz .LBB12_822
.LBB12_2872:
	v_cmp_ne_u16_e32 vcc, 0, v14
	s_andn2_b64 s[4:5], s[4:5], exec
	s_and_b64 s[8:9], vcc, exec
	v_mov_b32_e32 v20, 0
	s_or_b64 s[4:5], s[4:5], s[8:9]
	s_or_b64 exec, exec, s[6:7]
	s_and_saveexec_b64 s[6:7], s[4:5]
	s_cbranch_execnz .LBB12_823
	s_branch .LBB12_824
.LBB12_2873:
	s_movk_i32 s4, 0x80
	v_cmp_eq_u16_sdwa s[12:13], v15, s4 src0_sel:BYTE_3 src1_sel:DWORD
	s_mov_b64 s[4:5], -1
                                        ; implicit-def: $sgpr10
	s_and_saveexec_b64 s[8:9], s[12:13]
; %bb.2874:
	s_mov_b32 s10, 0x7f800001
	s_xor_b64 s[4:5], exec, -1
; %bb.2875:
	s_or_b64 exec, exec, s[8:9]
	s_and_b64 s[4:5], s[4:5], exec
	s_or_saveexec_b64 s[6:7], s[6:7]
	v_mov_b32_e32 v10, s10
	s_xor_b64 exec, exec, s[6:7]
	s_cbranch_execz .LBB12_826
.LBB12_2876:
	v_mov_b32_e32 v10, 0
	v_cmp_ne_u16_sdwa s[8:9], v15, v10 src0_sel:BYTE_3 src1_sel:DWORD
	s_andn2_b64 s[4:5], s[4:5], exec
	s_and_b64 s[8:9], s[8:9], exec
	s_or_b64 s[4:5], s[4:5], s[8:9]
	s_or_b64 exec, exec, s[6:7]
	s_and_saveexec_b64 s[6:7], s[4:5]
	s_cbranch_execnz .LBB12_827
	s_branch .LBB12_828
.LBB12_2877:
	s_movk_i32 s4, 0x80
	v_cmp_eq_u16_sdwa s[12:13], v11, s4 src0_sel:BYTE_3 src1_sel:DWORD
	s_mov_b64 s[4:5], -1
                                        ; implicit-def: $sgpr10
	s_and_saveexec_b64 s[8:9], s[12:13]
; %bb.2878:
	s_mov_b32 s10, 0x7f800001
	s_xor_b64 s[4:5], exec, -1
; %bb.2879:
	s_or_b64 exec, exec, s[8:9]
	s_and_b64 s[4:5], s[4:5], exec
	s_or_saveexec_b64 s[6:7], s[6:7]
	v_mov_b32_e32 v14, s10
	s_xor_b64 exec, exec, s[6:7]
	s_cbranch_execz .LBB12_830
.LBB12_2880:
	v_mov_b32_e32 v14, 0
	v_cmp_ne_u16_sdwa s[8:9], v11, v14 src0_sel:BYTE_3 src1_sel:DWORD
	s_andn2_b64 s[4:5], s[4:5], exec
	s_and_b64 s[8:9], s[8:9], exec
	s_or_b64 s[4:5], s[4:5], s[8:9]
	s_or_b64 exec, exec, s[6:7]
	s_and_saveexec_b64 s[6:7], s[4:5]
	s_cbranch_execnz .LBB12_831
	s_branch .LBB12_832
.LBB12_2881:
	s_movk_i32 s4, 0x80
	v_cmp_eq_u16_sdwa s[12:13], v16, s4 src0_sel:BYTE_0 src1_sel:DWORD
	s_mov_b64 s[4:5], -1
                                        ; implicit-def: $sgpr10
	s_and_saveexec_b64 s[8:9], s[12:13]
; %bb.2882:
	s_mov_b32 s10, 0x7f800001
	s_xor_b64 s[4:5], exec, -1
; %bb.2883:
	s_or_b64 exec, exec, s[8:9]
	s_and_b64 s[4:5], s[4:5], exec
	s_or_saveexec_b64 s[6:7], s[6:7]
	v_mov_b32_e32 v10, s10
	s_xor_b64 exec, exec, s[6:7]
	s_cbranch_execz .LBB12_834
.LBB12_2884:
	v_mov_b32_e32 v10, 0
	v_cmp_ne_u16_sdwa s[8:9], v16, v10 src0_sel:BYTE_0 src1_sel:DWORD
	s_andn2_b64 s[4:5], s[4:5], exec
	s_and_b64 s[8:9], s[8:9], exec
	s_or_b64 s[4:5], s[4:5], s[8:9]
	s_or_b64 exec, exec, s[6:7]
	s_and_saveexec_b64 s[6:7], s[4:5]
	s_cbranch_execnz .LBB12_835
	s_branch .LBB12_836
.LBB12_2885:
	s_movk_i32 s4, 0x80
	v_cmp_eq_u16_sdwa s[12:13], v12, s4 src0_sel:BYTE_0 src1_sel:DWORD
	s_mov_b64 s[4:5], -1
                                        ; implicit-def: $sgpr10
	s_and_saveexec_b64 s[8:9], s[12:13]
; %bb.2886:
	s_mov_b32 s10, 0x7f800001
	s_xor_b64 s[4:5], exec, -1
; %bb.2887:
	s_or_b64 exec, exec, s[8:9]
	s_and_b64 s[4:5], s[4:5], exec
	s_or_saveexec_b64 s[6:7], s[6:7]
	v_mov_b32_e32 v11, s10
	s_xor_b64 exec, exec, s[6:7]
	s_cbranch_execz .LBB12_838
.LBB12_2888:
	v_mov_b32_e32 v11, 0
	v_cmp_ne_u16_sdwa s[8:9], v12, v11 src0_sel:BYTE_0 src1_sel:DWORD
	s_andn2_b64 s[4:5], s[4:5], exec
	s_and_b64 s[8:9], s[8:9], exec
	s_or_b64 s[4:5], s[4:5], s[8:9]
	s_or_b64 exec, exec, s[6:7]
	s_and_saveexec_b64 s[6:7], s[4:5]
	s_cbranch_execnz .LBB12_839
	s_branch .LBB12_840
.LBB12_2889:
	s_movk_i32 s4, 0x80
	v_cmp_eq_u16_sdwa s[12:13], v11, s4 src0_sel:BYTE_0 src1_sel:DWORD
	s_mov_b64 s[4:5], -1
                                        ; implicit-def: $sgpr10
	s_and_saveexec_b64 s[8:9], s[12:13]
; %bb.2890:
	s_mov_b32 s10, 0x7f800001
	s_xor_b64 s[4:5], exec, -1
; %bb.2891:
	s_or_b64 exec, exec, s[8:9]
	s_and_b64 s[4:5], s[4:5], exec
	s_or_saveexec_b64 s[6:7], s[6:7]
	v_mov_b32_e32 v10, s10
	s_xor_b64 exec, exec, s[6:7]
	s_cbranch_execz .LBB12_842
.LBB12_2892:
	v_mov_b32_e32 v10, 0
	v_cmp_ne_u16_sdwa s[8:9], v11, v10 src0_sel:BYTE_0 src1_sel:DWORD
	s_andn2_b64 s[4:5], s[4:5], exec
	s_and_b64 s[8:9], s[8:9], exec
	s_or_b64 s[4:5], s[4:5], s[8:9]
	s_or_b64 exec, exec, s[6:7]
	s_and_saveexec_b64 s[6:7], s[4:5]
	s_cbranch_execnz .LBB12_843
	s_branch .LBB12_844
.LBB12_2893:
	s_movk_i32 s4, 0x80
	v_cmp_eq_u16_sdwa s[12:13], v11, s4 src0_sel:BYTE_0 src1_sel:DWORD
	s_mov_b64 s[4:5], -1
                                        ; implicit-def: $sgpr10
	s_and_saveexec_b64 s[8:9], s[12:13]
; %bb.2894:
	s_mov_b32 s10, 0x7f800001
	s_xor_b64 s[4:5], exec, -1
; %bb.2895:
	s_or_b64 exec, exec, s[8:9]
	s_and_b64 s[4:5], s[4:5], exec
	s_or_saveexec_b64 s[6:7], s[6:7]
	v_mov_b32_e32 v14, s10
	s_xor_b64 exec, exec, s[6:7]
	s_cbranch_execz .LBB12_846
.LBB12_2896:
	v_mov_b32_e32 v14, 0
	v_cmp_ne_u16_sdwa s[8:9], v11, v14 src0_sel:BYTE_0 src1_sel:DWORD
	s_andn2_b64 s[4:5], s[4:5], exec
	s_and_b64 s[8:9], s[8:9], exec
	s_or_b64 s[4:5], s[4:5], s[8:9]
	s_or_b64 exec, exec, s[6:7]
	s_and_saveexec_b64 s[6:7], s[4:5]
	s_cbranch_execnz .LBB12_847
	s_branch .LBB12_848
.LBB12_2897:
	s_movk_i32 s4, 0x80
	v_cmp_eq_u16_e32 vcc, s4, v11
	s_mov_b64 s[4:5], -1
                                        ; implicit-def: $sgpr10
	s_and_saveexec_b64 s[8:9], vcc
; %bb.2898:
	s_mov_b32 s10, 0x7f800001
	s_xor_b64 s[4:5], exec, -1
; %bb.2899:
	s_or_b64 exec, exec, s[8:9]
	s_and_b64 s[4:5], s[4:5], exec
                                        ; implicit-def: $vgpr11
	s_or_saveexec_b64 s[6:7], s[6:7]
	v_mov_b32_e32 v10, s10
	s_xor_b64 exec, exec, s[6:7]
	s_cbranch_execz .LBB12_850
.LBB12_2900:
	v_cmp_ne_u16_e32 vcc, 0, v11
	s_andn2_b64 s[4:5], s[4:5], exec
	s_and_b64 s[8:9], vcc, exec
	v_mov_b32_e32 v10, 0
	s_or_b64 s[4:5], s[4:5], s[8:9]
	s_or_b64 exec, exec, s[6:7]
	s_and_saveexec_b64 s[6:7], s[4:5]
	s_cbranch_execnz .LBB12_851
	s_branch .LBB12_852
.LBB12_2901:
	s_movk_i32 s4, 0x80
	v_cmp_eq_u16_e32 vcc, s4, v11
	s_mov_b64 s[4:5], -1
                                        ; implicit-def: $sgpr10
	s_and_saveexec_b64 s[8:9], vcc
; %bb.2902:
	s_mov_b32 s10, 0x7f800001
	s_xor_b64 s[4:5], exec, -1
; %bb.2903:
	s_or_b64 exec, exec, s[8:9]
	s_and_b64 s[4:5], s[4:5], exec
                                        ; implicit-def: $vgpr11
	s_or_saveexec_b64 s[6:7], s[6:7]
	v_mov_b32_e32 v14, s10
	s_xor_b64 exec, exec, s[6:7]
	s_cbranch_execz .LBB12_854
.LBB12_2904:
	v_cmp_ne_u16_e32 vcc, 0, v11
	s_andn2_b64 s[4:5], s[4:5], exec
	s_and_b64 s[8:9], vcc, exec
	v_mov_b32_e32 v14, 0
	s_or_b64 s[4:5], s[4:5], s[8:9]
	s_or_b64 exec, exec, s[6:7]
	s_and_saveexec_b64 s[6:7], s[4:5]
	s_cbranch_execnz .LBB12_855
	s_branch .LBB12_856
.LBB12_2905:
	s_movk_i32 s4, 0x80
	v_cmp_eq_u16_sdwa s[12:13], v16, s4 src0_sel:BYTE_3 src1_sel:DWORD
	s_mov_b64 s[4:5], -1
                                        ; implicit-def: $sgpr10
	s_and_saveexec_b64 s[8:9], s[12:13]
; %bb.2906:
	s_mov_b32 s10, 0x7f800001
	s_xor_b64 s[4:5], exec, -1
; %bb.2907:
	s_or_b64 exec, exec, s[8:9]
	s_and_b64 s[4:5], s[4:5], exec
	s_or_saveexec_b64 s[6:7], s[6:7]
	v_mov_b32_e32 v10, s10
	s_xor_b64 exec, exec, s[6:7]
	s_cbranch_execz .LBB12_858
.LBB12_2908:
	v_mov_b32_e32 v10, 0
	v_cmp_ne_u16_sdwa s[8:9], v16, v10 src0_sel:BYTE_3 src1_sel:DWORD
	s_andn2_b64 s[4:5], s[4:5], exec
	s_and_b64 s[8:9], s[8:9], exec
	s_or_b64 s[4:5], s[4:5], s[8:9]
	s_or_b64 exec, exec, s[6:7]
	s_and_saveexec_b64 s[6:7], s[4:5]
	s_cbranch_execnz .LBB12_859
	s_branch .LBB12_860
.LBB12_2909:
	s_movk_i32 s4, 0x80
	v_cmp_eq_u16_sdwa s[12:13], v12, s4 src0_sel:BYTE_3 src1_sel:DWORD
	s_mov_b64 s[4:5], -1
                                        ; implicit-def: $sgpr10
	s_and_saveexec_b64 s[8:9], s[12:13]
; %bb.2910:
	s_mov_b32 s10, 0x7f800001
	s_xor_b64 s[4:5], exec, -1
; %bb.2911:
	s_or_b64 exec, exec, s[8:9]
	s_and_b64 s[4:5], s[4:5], exec
	s_or_saveexec_b64 s[6:7], s[6:7]
	v_mov_b32_e32 v11, s10
	s_xor_b64 exec, exec, s[6:7]
	s_cbranch_execz .LBB12_862
.LBB12_2912:
	v_mov_b32_e32 v11, 0
	v_cmp_ne_u16_sdwa s[8:9], v12, v11 src0_sel:BYTE_3 src1_sel:DWORD
	s_andn2_b64 s[4:5], s[4:5], exec
	s_and_b64 s[8:9], s[8:9], exec
	s_or_b64 s[4:5], s[4:5], s[8:9]
	s_or_b64 exec, exec, s[6:7]
	s_and_saveexec_b64 s[6:7], s[4:5]
	s_cbranch_execnz .LBB12_863
	s_branch .LBB12_864
.LBB12_2913:
	s_movk_i32 s4, 0x80
	v_cmp_eq_u16_sdwa s[12:13], v17, s4 src0_sel:BYTE_0 src1_sel:DWORD
	s_mov_b64 s[4:5], -1
                                        ; implicit-def: $sgpr10
	s_and_saveexec_b64 s[8:9], s[12:13]
; %bb.2914:
	s_mov_b32 s10, 0x7f800001
	s_xor_b64 s[4:5], exec, -1
; %bb.2915:
	s_or_b64 exec, exec, s[8:9]
	s_and_b64 s[4:5], s[4:5], exec
	s_or_saveexec_b64 s[6:7], s[6:7]
	v_mov_b32_e32 v10, s10
	s_xor_b64 exec, exec, s[6:7]
	s_cbranch_execz .LBB12_866
.LBB12_2916:
	v_mov_b32_e32 v10, 0
	v_cmp_ne_u16_sdwa s[8:9], v17, v10 src0_sel:BYTE_0 src1_sel:DWORD
	s_andn2_b64 s[4:5], s[4:5], exec
	s_and_b64 s[8:9], s[8:9], exec
	s_or_b64 s[4:5], s[4:5], s[8:9]
	s_or_b64 exec, exec, s[6:7]
	s_and_saveexec_b64 s[6:7], s[4:5]
	s_cbranch_execnz .LBB12_867
	s_branch .LBB12_868
.LBB12_2917:
	s_movk_i32 s4, 0x80
	v_cmp_eq_u16_sdwa s[12:13], v13, s4 src0_sel:BYTE_0 src1_sel:DWORD
	s_mov_b64 s[4:5], -1
                                        ; implicit-def: $sgpr10
	s_and_saveexec_b64 s[8:9], s[12:13]
; %bb.2918:
	s_mov_b32 s10, 0x7f800001
	s_xor_b64 s[4:5], exec, -1
; %bb.2919:
	s_or_b64 exec, exec, s[8:9]
	s_and_b64 s[4:5], s[4:5], exec
	s_or_saveexec_b64 s[6:7], s[6:7]
	v_mov_b32_e32 v11, s10
	s_xor_b64 exec, exec, s[6:7]
	s_cbranch_execz .LBB12_870
.LBB12_2920:
	v_mov_b32_e32 v11, 0
	v_cmp_ne_u16_sdwa s[8:9], v13, v11 src0_sel:BYTE_0 src1_sel:DWORD
	s_andn2_b64 s[4:5], s[4:5], exec
	s_and_b64 s[8:9], s[8:9], exec
	s_or_b64 s[4:5], s[4:5], s[8:9]
	s_or_b64 exec, exec, s[6:7]
	s_and_saveexec_b64 s[6:7], s[4:5]
	s_cbranch_execnz .LBB12_871
	s_branch .LBB12_872
.LBB12_2921:
	s_movk_i32 s4, 0x80
	v_cmp_eq_u16_sdwa s[12:13], v11, s4 src0_sel:BYTE_0 src1_sel:DWORD
	s_mov_b64 s[4:5], -1
                                        ; implicit-def: $sgpr10
	s_and_saveexec_b64 s[8:9], s[12:13]
; %bb.2922:
	s_mov_b32 s10, 0x7f800001
	s_xor_b64 s[4:5], exec, -1
; %bb.2923:
	s_or_b64 exec, exec, s[8:9]
	s_and_b64 s[4:5], s[4:5], exec
	s_or_saveexec_b64 s[6:7], s[6:7]
	v_mov_b32_e32 v10, s10
	s_xor_b64 exec, exec, s[6:7]
	s_cbranch_execz .LBB12_874
.LBB12_2924:
	v_mov_b32_e32 v10, 0
	v_cmp_ne_u16_sdwa s[8:9], v11, v10 src0_sel:BYTE_0 src1_sel:DWORD
	s_andn2_b64 s[4:5], s[4:5], exec
	s_and_b64 s[8:9], s[8:9], exec
	s_or_b64 s[4:5], s[4:5], s[8:9]
	s_or_b64 exec, exec, s[6:7]
	s_and_saveexec_b64 s[6:7], s[4:5]
	s_cbranch_execnz .LBB12_875
	s_branch .LBB12_876
.LBB12_2925:
	s_movk_i32 s4, 0x80
	v_cmp_eq_u16_sdwa s[12:13], v11, s4 src0_sel:BYTE_0 src1_sel:DWORD
	s_mov_b64 s[4:5], -1
                                        ; implicit-def: $sgpr10
	s_and_saveexec_b64 s[8:9], s[12:13]
; %bb.2926:
	s_mov_b32 s10, 0x7f800001
	s_xor_b64 s[4:5], exec, -1
; %bb.2927:
	s_or_b64 exec, exec, s[8:9]
	s_and_b64 s[4:5], s[4:5], exec
	s_or_saveexec_b64 s[6:7], s[6:7]
	v_mov_b32_e32 v12, s10
	s_xor_b64 exec, exec, s[6:7]
	s_cbranch_execz .LBB12_878
.LBB12_2928:
	v_mov_b32_e32 v12, 0
	v_cmp_ne_u16_sdwa s[8:9], v11, v12 src0_sel:BYTE_0 src1_sel:DWORD
	s_andn2_b64 s[4:5], s[4:5], exec
	s_and_b64 s[8:9], s[8:9], exec
	s_or_b64 s[4:5], s[4:5], s[8:9]
	s_or_b64 exec, exec, s[6:7]
	s_and_saveexec_b64 s[6:7], s[4:5]
	s_cbranch_execnz .LBB12_879
	s_branch .LBB12_880
.LBB12_2929:
	s_movk_i32 s4, 0x80
	v_cmp_eq_u16_e32 vcc, s4, v11
	s_mov_b64 s[4:5], -1
                                        ; implicit-def: $sgpr10
	s_and_saveexec_b64 s[8:9], vcc
; %bb.2930:
	s_mov_b32 s10, 0x7f800001
	s_xor_b64 s[4:5], exec, -1
; %bb.2931:
	s_or_b64 exec, exec, s[8:9]
	s_and_b64 s[4:5], s[4:5], exec
                                        ; implicit-def: $vgpr11
	s_or_saveexec_b64 s[6:7], s[6:7]
	v_mov_b32_e32 v10, s10
	s_xor_b64 exec, exec, s[6:7]
	s_cbranch_execz .LBB12_882
.LBB12_2932:
	v_cmp_ne_u16_e32 vcc, 0, v11
	s_andn2_b64 s[4:5], s[4:5], exec
	s_and_b64 s[8:9], vcc, exec
	v_mov_b32_e32 v10, 0
	s_or_b64 s[4:5], s[4:5], s[8:9]
	s_or_b64 exec, exec, s[6:7]
	s_and_saveexec_b64 s[6:7], s[4:5]
	s_cbranch_execnz .LBB12_883
	s_branch .LBB12_884
.LBB12_2933:
	s_movk_i32 s4, 0x80
	v_cmp_eq_u16_e32 vcc, s4, v11
	s_mov_b64 s[4:5], -1
                                        ; implicit-def: $sgpr10
	s_and_saveexec_b64 s[8:9], vcc
; %bb.2934:
	s_mov_b32 s10, 0x7f800001
	s_xor_b64 s[4:5], exec, -1
; %bb.2935:
	s_or_b64 exec, exec, s[8:9]
	s_and_b64 s[4:5], s[4:5], exec
                                        ; implicit-def: $vgpr11
	s_or_saveexec_b64 s[6:7], s[6:7]
	v_mov_b32_e32 v12, s10
	s_xor_b64 exec, exec, s[6:7]
	s_cbranch_execz .LBB12_886
.LBB12_2936:
	v_cmp_ne_u16_e32 vcc, 0, v11
	s_andn2_b64 s[4:5], s[4:5], exec
	s_and_b64 s[8:9], vcc, exec
	v_mov_b32_e32 v12, 0
	s_or_b64 s[4:5], s[4:5], s[8:9]
	s_or_b64 exec, exec, s[6:7]
	s_and_saveexec_b64 s[6:7], s[4:5]
	s_cbranch_execnz .LBB12_887
	s_branch .LBB12_888
.LBB12_2937:
	s_movk_i32 s4, 0x80
	v_cmp_eq_u16_sdwa s[12:13], v17, s4 src0_sel:BYTE_3 src1_sel:DWORD
	s_mov_b64 s[4:5], -1
                                        ; implicit-def: $sgpr10
	s_and_saveexec_b64 s[8:9], s[12:13]
; %bb.2938:
	s_mov_b32 s10, 0x7f800001
	s_xor_b64 s[4:5], exec, -1
; %bb.2939:
	s_or_b64 exec, exec, s[8:9]
	s_and_b64 s[4:5], s[4:5], exec
	s_or_saveexec_b64 s[6:7], s[6:7]
	v_mov_b32_e32 v10, s10
	s_xor_b64 exec, exec, s[6:7]
	s_cbranch_execz .LBB12_890
.LBB12_2940:
	v_mov_b32_e32 v10, 0
	v_cmp_ne_u16_sdwa s[8:9], v17, v10 src0_sel:BYTE_3 src1_sel:DWORD
	s_andn2_b64 s[4:5], s[4:5], exec
	s_and_b64 s[8:9], s[8:9], exec
	s_or_b64 s[4:5], s[4:5], s[8:9]
	s_or_b64 exec, exec, s[6:7]
	s_and_saveexec_b64 s[6:7], s[4:5]
	s_cbranch_execnz .LBB12_891
	s_branch .LBB12_892
.LBB12_2941:
	s_movk_i32 s4, 0x80
	v_cmp_eq_u16_sdwa s[12:13], v13, s4 src0_sel:BYTE_3 src1_sel:DWORD
	s_mov_b64 s[4:5], -1
                                        ; implicit-def: $sgpr10
	s_and_saveexec_b64 s[8:9], s[12:13]
; %bb.2942:
	s_mov_b32 s10, 0x7f800001
	s_xor_b64 s[4:5], exec, -1
; %bb.2943:
	s_or_b64 exec, exec, s[8:9]
	s_and_b64 s[4:5], s[4:5], exec
	s_or_saveexec_b64 s[6:7], s[6:7]
	v_mov_b32_e32 v11, s10
	s_xor_b64 exec, exec, s[6:7]
	s_cbranch_execz .LBB12_894
.LBB12_2944:
	v_mov_b32_e32 v11, 0
	v_cmp_ne_u16_sdwa s[8:9], v13, v11 src0_sel:BYTE_3 src1_sel:DWORD
	s_andn2_b64 s[4:5], s[4:5], exec
	s_and_b64 s[8:9], s[8:9], exec
	s_or_b64 s[4:5], s[4:5], s[8:9]
	s_or_b64 exec, exec, s[6:7]
	s_and_saveexec_b64 s[6:7], s[4:5]
	s_cbranch_execnz .LBB12_895
	s_branch .LBB12_896
.LBB12_2945:
	s_movk_i32 s4, 0x80
	v_cmp_eq_u16_sdwa s[12:13], v6, s4 src0_sel:BYTE_0 src1_sel:DWORD
	s_mov_b64 s[4:5], -1
                                        ; implicit-def: $sgpr10
	s_and_saveexec_b64 s[8:9], s[12:13]
; %bb.2946:
	s_mov_b32 s10, 0x7f800001
	s_xor_b64 s[4:5], exec, -1
; %bb.2947:
	s_or_b64 exec, exec, s[8:9]
	s_and_b64 s[4:5], s[4:5], exec
	s_or_saveexec_b64 s[6:7], s[6:7]
	v_mov_b32_e32 v10, s10
	s_xor_b64 exec, exec, s[6:7]
	s_cbranch_execz .LBB12_898
.LBB12_2948:
	v_mov_b32_e32 v10, 0
	v_cmp_ne_u16_sdwa s[8:9], v6, v10 src0_sel:BYTE_0 src1_sel:DWORD
	s_andn2_b64 s[4:5], s[4:5], exec
	s_and_b64 s[8:9], s[8:9], exec
	s_or_b64 s[4:5], s[4:5], s[8:9]
	s_or_b64 exec, exec, s[6:7]
	s_and_saveexec_b64 s[6:7], s[4:5]
	s_cbranch_execnz .LBB12_899
	s_branch .LBB12_900
.LBB12_2949:
	s_movk_i32 s4, 0x80
	v_cmp_eq_u16_sdwa s[12:13], v2, s4 src0_sel:BYTE_0 src1_sel:DWORD
	s_mov_b64 s[4:5], -1
                                        ; implicit-def: $sgpr10
	s_and_saveexec_b64 s[8:9], s[12:13]
; %bb.2950:
	s_mov_b32 s10, 0x7f800001
	s_xor_b64 s[4:5], exec, -1
; %bb.2951:
	s_or_b64 exec, exec, s[8:9]
	s_and_b64 s[4:5], s[4:5], exec
	s_or_saveexec_b64 s[6:7], s[6:7]
	v_mov_b32_e32 v11, s10
	s_xor_b64 exec, exec, s[6:7]
	s_cbranch_execz .LBB12_902
.LBB12_2952:
	v_mov_b32_e32 v11, 0
	v_cmp_ne_u16_sdwa s[8:9], v2, v11 src0_sel:BYTE_0 src1_sel:DWORD
	s_andn2_b64 s[4:5], s[4:5], exec
	s_and_b64 s[8:9], s[8:9], exec
	s_or_b64 s[4:5], s[4:5], s[8:9]
	s_or_b64 exec, exec, s[6:7]
	s_and_saveexec_b64 s[6:7], s[4:5]
	s_cbranch_execnz .LBB12_903
	s_branch .LBB12_904
.LBB12_2953:
	s_movk_i32 s4, 0x80
	v_cmp_eq_u16_sdwa s[12:13], v11, s4 src0_sel:BYTE_0 src1_sel:DWORD
	s_mov_b64 s[4:5], -1
                                        ; implicit-def: $sgpr10
	s_and_saveexec_b64 s[8:9], s[12:13]
; %bb.2954:
	s_mov_b32 s10, 0x7f800001
	s_xor_b64 s[4:5], exec, -1
; %bb.2955:
	s_or_b64 exec, exec, s[8:9]
	s_and_b64 s[4:5], s[4:5], exec
	s_or_saveexec_b64 s[6:7], s[6:7]
	v_mov_b32_e32 v10, s10
	s_xor_b64 exec, exec, s[6:7]
	s_cbranch_execz .LBB12_906
.LBB12_2956:
	v_mov_b32_e32 v10, 0
	v_cmp_ne_u16_sdwa s[8:9], v11, v10 src0_sel:BYTE_0 src1_sel:DWORD
	s_andn2_b64 s[4:5], s[4:5], exec
	s_and_b64 s[8:9], s[8:9], exec
	s_or_b64 s[4:5], s[4:5], s[8:9]
	s_or_b64 exec, exec, s[6:7]
	s_and_saveexec_b64 s[6:7], s[4:5]
	s_cbranch_execnz .LBB12_907
	s_branch .LBB12_908
.LBB12_2957:
	s_movk_i32 s4, 0x80
	v_cmp_eq_u16_sdwa s[12:13], v11, s4 src0_sel:BYTE_0 src1_sel:DWORD
	s_mov_b64 s[4:5], -1
                                        ; implicit-def: $sgpr10
	s_and_saveexec_b64 s[8:9], s[12:13]
; %bb.2958:
	s_mov_b32 s10, 0x7f800001
	s_xor_b64 s[4:5], exec, -1
; %bb.2959:
	s_or_b64 exec, exec, s[8:9]
	s_and_b64 s[4:5], s[4:5], exec
	s_or_saveexec_b64 s[6:7], s[6:7]
	v_mov_b32_e32 v12, s10
	s_xor_b64 exec, exec, s[6:7]
	s_cbranch_execz .LBB12_910
.LBB12_2960:
	v_mov_b32_e32 v12, 0
	v_cmp_ne_u16_sdwa s[8:9], v11, v12 src0_sel:BYTE_0 src1_sel:DWORD
	s_andn2_b64 s[4:5], s[4:5], exec
	s_and_b64 s[8:9], s[8:9], exec
	s_or_b64 s[4:5], s[4:5], s[8:9]
	s_or_b64 exec, exec, s[6:7]
	s_and_saveexec_b64 s[6:7], s[4:5]
	s_cbranch_execnz .LBB12_911
	s_branch .LBB12_912
.LBB12_2961:
	s_movk_i32 s4, 0x80
	v_cmp_eq_u16_e32 vcc, s4, v11
	s_mov_b64 s[4:5], -1
                                        ; implicit-def: $sgpr10
	s_and_saveexec_b64 s[8:9], vcc
; %bb.2962:
	s_mov_b32 s10, 0x7f800001
	s_xor_b64 s[4:5], exec, -1
; %bb.2963:
	s_or_b64 exec, exec, s[8:9]
	s_and_b64 s[4:5], s[4:5], exec
                                        ; implicit-def: $vgpr11
	s_or_saveexec_b64 s[6:7], s[6:7]
	v_mov_b32_e32 v10, s10
	s_xor_b64 exec, exec, s[6:7]
	s_cbranch_execz .LBB12_914
.LBB12_2964:
	v_cmp_ne_u16_e32 vcc, 0, v11
	s_andn2_b64 s[4:5], s[4:5], exec
	s_and_b64 s[8:9], vcc, exec
	v_mov_b32_e32 v10, 0
	s_or_b64 s[4:5], s[4:5], s[8:9]
	s_or_b64 exec, exec, s[6:7]
	s_and_saveexec_b64 s[6:7], s[4:5]
	s_cbranch_execnz .LBB12_915
	s_branch .LBB12_916
.LBB12_2965:
	s_movk_i32 s4, 0x80
	v_cmp_eq_u16_e32 vcc, s4, v11
	s_mov_b64 s[4:5], -1
                                        ; implicit-def: $sgpr10
	s_and_saveexec_b64 s[8:9], vcc
; %bb.2966:
	s_mov_b32 s10, 0x7f800001
	s_xor_b64 s[4:5], exec, -1
; %bb.2967:
	s_or_b64 exec, exec, s[8:9]
	s_and_b64 s[4:5], s[4:5], exec
                                        ; implicit-def: $vgpr11
	s_or_saveexec_b64 s[6:7], s[6:7]
	v_mov_b32_e32 v12, s10
	s_xor_b64 exec, exec, s[6:7]
	s_cbranch_execz .LBB12_918
.LBB12_2968:
	v_cmp_ne_u16_e32 vcc, 0, v11
	s_andn2_b64 s[4:5], s[4:5], exec
	s_and_b64 s[8:9], vcc, exec
	v_mov_b32_e32 v12, 0
	s_or_b64 s[4:5], s[4:5], s[8:9]
	s_or_b64 exec, exec, s[6:7]
	s_and_saveexec_b64 s[6:7], s[4:5]
	s_cbranch_execnz .LBB12_919
	s_branch .LBB12_920
.LBB12_2969:
	s_movk_i32 s4, 0x80
	v_cmp_eq_u16_sdwa s[12:13], v6, s4 src0_sel:BYTE_3 src1_sel:DWORD
	s_mov_b64 s[4:5], -1
                                        ; implicit-def: $sgpr10
	s_and_saveexec_b64 s[8:9], s[12:13]
; %bb.2970:
	s_mov_b32 s10, 0x7f800001
	s_xor_b64 s[4:5], exec, -1
; %bb.2971:
	s_or_b64 exec, exec, s[8:9]
	s_and_b64 s[4:5], s[4:5], exec
	s_or_saveexec_b64 s[6:7], s[6:7]
	v_mov_b32_e32 v10, s10
	s_xor_b64 exec, exec, s[6:7]
	s_cbranch_execz .LBB12_922
.LBB12_2972:
	v_mov_b32_e32 v10, 0
	v_cmp_ne_u16_sdwa s[8:9], v6, v10 src0_sel:BYTE_3 src1_sel:DWORD
	s_andn2_b64 s[4:5], s[4:5], exec
	s_and_b64 s[8:9], s[8:9], exec
	s_or_b64 s[4:5], s[4:5], s[8:9]
	s_or_b64 exec, exec, s[6:7]
	s_and_saveexec_b64 s[6:7], s[4:5]
	s_cbranch_execnz .LBB12_923
	s_branch .LBB12_924
.LBB12_2973:
	s_movk_i32 s4, 0x80
	v_cmp_eq_u16_sdwa s[12:13], v2, s4 src0_sel:BYTE_3 src1_sel:DWORD
	s_mov_b64 s[4:5], -1
                                        ; implicit-def: $sgpr10
	s_and_saveexec_b64 s[8:9], s[12:13]
; %bb.2974:
	s_mov_b32 s10, 0x7f800001
	s_xor_b64 s[4:5], exec, -1
; %bb.2975:
	s_or_b64 exec, exec, s[8:9]
	s_and_b64 s[4:5], s[4:5], exec
	s_or_saveexec_b64 s[6:7], s[6:7]
	v_mov_b32_e32 v6, s10
	s_xor_b64 exec, exec, s[6:7]
	s_cbranch_execz .LBB12_926
.LBB12_2976:
	v_mov_b32_e32 v6, 0
	v_cmp_ne_u16_sdwa s[8:9], v2, v6 src0_sel:BYTE_3 src1_sel:DWORD
	s_andn2_b64 s[4:5], s[4:5], exec
	s_and_b64 s[8:9], s[8:9], exec
	s_or_b64 s[4:5], s[4:5], s[8:9]
	s_or_b64 exec, exec, s[6:7]
	s_and_saveexec_b64 s[6:7], s[4:5]
	s_cbranch_execnz .LBB12_927
	s_branch .LBB12_928
.LBB12_2977:
	s_movk_i32 s4, 0x80
	v_cmp_eq_u16_sdwa s[12:13], v7, s4 src0_sel:BYTE_0 src1_sel:DWORD
	s_mov_b64 s[4:5], -1
                                        ; implicit-def: $sgpr10
	s_and_saveexec_b64 s[8:9], s[12:13]
; %bb.2978:
	s_mov_b32 s10, 0x7f800001
	s_xor_b64 s[4:5], exec, -1
; %bb.2979:
	s_or_b64 exec, exec, s[8:9]
	s_and_b64 s[4:5], s[4:5], exec
	s_or_saveexec_b64 s[6:7], s[6:7]
	v_mov_b32_e32 v2, s10
	s_xor_b64 exec, exec, s[6:7]
	s_cbranch_execz .LBB12_930
.LBB12_2980:
	v_mov_b32_e32 v2, 0
	v_cmp_ne_u16_sdwa s[8:9], v7, v2 src0_sel:BYTE_0 src1_sel:DWORD
	s_andn2_b64 s[4:5], s[4:5], exec
	s_and_b64 s[8:9], s[8:9], exec
	s_or_b64 s[4:5], s[4:5], s[8:9]
	s_or_b64 exec, exec, s[6:7]
	s_and_saveexec_b64 s[6:7], s[4:5]
	s_cbranch_execnz .LBB12_931
	s_branch .LBB12_932
.LBB12_2981:
	s_movk_i32 s4, 0x80
	v_cmp_eq_u16_sdwa s[12:13], v3, s4 src0_sel:BYTE_0 src1_sel:DWORD
	s_mov_b64 s[4:5], -1
                                        ; implicit-def: $sgpr10
	s_and_saveexec_b64 s[8:9], s[12:13]
; %bb.2982:
	s_mov_b32 s10, 0x7f800001
	s_xor_b64 s[4:5], exec, -1
; %bb.2983:
	s_or_b64 exec, exec, s[8:9]
	s_and_b64 s[4:5], s[4:5], exec
	s_or_saveexec_b64 s[6:7], s[6:7]
	v_mov_b32_e32 v6, s10
	s_xor_b64 exec, exec, s[6:7]
	s_cbranch_execz .LBB12_934
.LBB12_2984:
	v_mov_b32_e32 v6, 0
	v_cmp_ne_u16_sdwa s[8:9], v3, v6 src0_sel:BYTE_0 src1_sel:DWORD
	s_andn2_b64 s[4:5], s[4:5], exec
	s_and_b64 s[8:9], s[8:9], exec
	s_or_b64 s[4:5], s[4:5], s[8:9]
	s_or_b64 exec, exec, s[6:7]
	s_and_saveexec_b64 s[6:7], s[4:5]
	s_cbranch_execnz .LBB12_935
	s_branch .LBB12_936
.LBB12_2985:
	s_movk_i32 s4, 0x80
	v_cmp_eq_u16_sdwa s[12:13], v6, s4 src0_sel:BYTE_0 src1_sel:DWORD
	s_mov_b64 s[4:5], -1
                                        ; implicit-def: $sgpr10
	s_and_saveexec_b64 s[8:9], s[12:13]
; %bb.2986:
	s_mov_b32 s10, 0x7f800001
	s_xor_b64 s[4:5], exec, -1
; %bb.2987:
	s_or_b64 exec, exec, s[8:9]
	s_and_b64 s[4:5], s[4:5], exec
	s_or_saveexec_b64 s[6:7], s[6:7]
	v_mov_b32_e32 v2, s10
	s_xor_b64 exec, exec, s[6:7]
	s_cbranch_execz .LBB12_938
.LBB12_2988:
	v_mov_b32_e32 v2, 0
	v_cmp_ne_u16_sdwa s[8:9], v6, v2 src0_sel:BYTE_0 src1_sel:DWORD
	s_andn2_b64 s[4:5], s[4:5], exec
	s_and_b64 s[8:9], s[8:9], exec
	s_or_b64 s[4:5], s[4:5], s[8:9]
	s_or_b64 exec, exec, s[6:7]
	s_and_saveexec_b64 s[6:7], s[4:5]
	s_cbranch_execnz .LBB12_939
	s_branch .LBB12_940
.LBB12_2989:
	s_movk_i32 s4, 0x80
	v_cmp_eq_u16_sdwa s[12:13], v6, s4 src0_sel:BYTE_0 src1_sel:DWORD
	s_mov_b64 s[4:5], -1
                                        ; implicit-def: $sgpr10
	s_and_saveexec_b64 s[8:9], s[12:13]
; %bb.2990:
	s_mov_b32 s10, 0x7f800001
	s_xor_b64 s[4:5], exec, -1
; %bb.2991:
	s_or_b64 exec, exec, s[8:9]
	s_and_b64 s[4:5], s[4:5], exec
	s_or_saveexec_b64 s[6:7], s[6:7]
	v_mov_b32_e32 v10, s10
	s_xor_b64 exec, exec, s[6:7]
	s_cbranch_execz .LBB12_942
.LBB12_2992:
	v_mov_b32_e32 v10, 0
	v_cmp_ne_u16_sdwa s[8:9], v6, v10 src0_sel:BYTE_0 src1_sel:DWORD
	s_andn2_b64 s[4:5], s[4:5], exec
	s_and_b64 s[8:9], s[8:9], exec
	s_or_b64 s[4:5], s[4:5], s[8:9]
	s_or_b64 exec, exec, s[6:7]
	s_and_saveexec_b64 s[6:7], s[4:5]
	s_cbranch_execnz .LBB12_943
	s_branch .LBB12_944
.LBB12_2993:
	s_movk_i32 s4, 0x80
	v_cmp_eq_u16_e32 vcc, s4, v6
	s_mov_b64 s[4:5], -1
                                        ; implicit-def: $sgpr10
	s_and_saveexec_b64 s[8:9], vcc
; %bb.2994:
	s_mov_b32 s10, 0x7f800001
	s_xor_b64 s[4:5], exec, -1
; %bb.2995:
	s_or_b64 exec, exec, s[8:9]
	s_and_b64 s[4:5], s[4:5], exec
                                        ; implicit-def: $vgpr6
	s_or_saveexec_b64 s[6:7], s[6:7]
	v_mov_b32_e32 v2, s10
	s_xor_b64 exec, exec, s[6:7]
	s_cbranch_execz .LBB12_946
.LBB12_2996:
	v_cmp_ne_u16_e32 vcc, 0, v6
	s_andn2_b64 s[4:5], s[4:5], exec
	s_and_b64 s[8:9], vcc, exec
	v_mov_b32_e32 v2, 0
	s_or_b64 s[4:5], s[4:5], s[8:9]
	s_or_b64 exec, exec, s[6:7]
	s_and_saveexec_b64 s[6:7], s[4:5]
	s_cbranch_execnz .LBB12_947
	s_branch .LBB12_948
.LBB12_2997:
	s_movk_i32 s4, 0x80
	v_cmp_eq_u16_e32 vcc, s4, v6
	s_mov_b64 s[4:5], -1
                                        ; implicit-def: $sgpr10
	s_and_saveexec_b64 s[8:9], vcc
; %bb.2998:
	s_mov_b32 s10, 0x7f800001
	s_xor_b64 s[4:5], exec, -1
; %bb.2999:
	s_or_b64 exec, exec, s[8:9]
	s_and_b64 s[4:5], s[4:5], exec
                                        ; implicit-def: $vgpr6
	s_or_saveexec_b64 s[6:7], s[6:7]
	v_mov_b32_e32 v10, s10
	s_xor_b64 exec, exec, s[6:7]
	s_cbranch_execz .LBB12_950
.LBB12_3000:
	v_cmp_ne_u16_e32 vcc, 0, v6
	s_andn2_b64 s[4:5], s[4:5], exec
	s_and_b64 s[8:9], vcc, exec
	v_mov_b32_e32 v10, 0
	s_or_b64 s[4:5], s[4:5], s[8:9]
	s_or_b64 exec, exec, s[6:7]
	s_and_saveexec_b64 s[6:7], s[4:5]
	s_cbranch_execnz .LBB12_951
	s_branch .LBB12_952
.LBB12_3001:
	s_movk_i32 s4, 0x80
	v_cmp_eq_u16_sdwa s[12:13], v7, s4 src0_sel:BYTE_3 src1_sel:DWORD
	s_mov_b64 s[4:5], -1
                                        ; implicit-def: $sgpr10
	s_and_saveexec_b64 s[8:9], s[12:13]
; %bb.3002:
	s_mov_b32 s10, 0x7f800001
	s_xor_b64 s[4:5], exec, -1
; %bb.3003:
	s_or_b64 exec, exec, s[8:9]
	s_and_b64 s[4:5], s[4:5], exec
	s_or_saveexec_b64 s[6:7], s[6:7]
	v_mov_b32_e32 v2, s10
	s_xor_b64 exec, exec, s[6:7]
	s_cbranch_execz .LBB12_954
.LBB12_3004:
	v_mov_b32_e32 v2, 0
	v_cmp_ne_u16_sdwa s[8:9], v7, v2 src0_sel:BYTE_3 src1_sel:DWORD
	s_andn2_b64 s[4:5], s[4:5], exec
	s_and_b64 s[8:9], s[8:9], exec
	s_or_b64 s[4:5], s[4:5], s[8:9]
	s_or_b64 exec, exec, s[6:7]
	s_and_saveexec_b64 s[6:7], s[4:5]
	s_cbranch_execnz .LBB12_955
	s_branch .LBB12_956
.LBB12_3005:
	s_movk_i32 s4, 0x80
	v_cmp_eq_u16_sdwa s[12:13], v3, s4 src0_sel:BYTE_3 src1_sel:DWORD
	s_mov_b64 s[4:5], -1
                                        ; implicit-def: $sgpr10
	s_and_saveexec_b64 s[8:9], s[12:13]
; %bb.3006:
	s_mov_b32 s10, 0x7f800001
	s_xor_b64 s[4:5], exec, -1
; %bb.3007:
	s_or_b64 exec, exec, s[8:9]
	s_and_b64 s[4:5], s[4:5], exec
	s_or_saveexec_b64 s[6:7], s[6:7]
	v_mov_b32_e32 v6, s10
	s_xor_b64 exec, exec, s[6:7]
	s_cbranch_execz .LBB12_958
.LBB12_3008:
	v_mov_b32_e32 v6, 0
	v_cmp_ne_u16_sdwa s[8:9], v3, v6 src0_sel:BYTE_3 src1_sel:DWORD
	s_andn2_b64 s[4:5], s[4:5], exec
	s_and_b64 s[8:9], s[8:9], exec
	s_or_b64 s[4:5], s[4:5], s[8:9]
	s_or_b64 exec, exec, s[6:7]
	s_and_saveexec_b64 s[6:7], s[4:5]
	s_cbranch_execnz .LBB12_959
	s_branch .LBB12_960
.LBB12_3009:
	s_movk_i32 s4, 0x80
	v_cmp_eq_u16_sdwa s[12:13], v8, s4 src0_sel:BYTE_0 src1_sel:DWORD
	s_mov_b64 s[4:5], -1
                                        ; implicit-def: $sgpr10
	s_and_saveexec_b64 s[8:9], s[12:13]
; %bb.3010:
	s_mov_b32 s10, 0x7f800001
	s_xor_b64 s[4:5], exec, -1
; %bb.3011:
	s_or_b64 exec, exec, s[8:9]
	s_and_b64 s[4:5], s[4:5], exec
	s_or_saveexec_b64 s[6:7], s[6:7]
	v_mov_b32_e32 v2, s10
	s_xor_b64 exec, exec, s[6:7]
	s_cbranch_execz .LBB12_962
.LBB12_3012:
	v_mov_b32_e32 v2, 0
	v_cmp_ne_u16_sdwa s[8:9], v8, v2 src0_sel:BYTE_0 src1_sel:DWORD
	s_andn2_b64 s[4:5], s[4:5], exec
	s_and_b64 s[8:9], s[8:9], exec
	s_or_b64 s[4:5], s[4:5], s[8:9]
	s_or_b64 exec, exec, s[6:7]
	s_and_saveexec_b64 s[6:7], s[4:5]
	s_cbranch_execnz .LBB12_963
	s_branch .LBB12_964
.LBB12_3013:
	s_movk_i32 s4, 0x80
	v_cmp_eq_u16_sdwa s[12:13], v4, s4 src0_sel:BYTE_0 src1_sel:DWORD
	s_mov_b64 s[4:5], -1
                                        ; implicit-def: $sgpr10
	s_and_saveexec_b64 s[8:9], s[12:13]
; %bb.3014:
	s_mov_b32 s10, 0x7f800001
	s_xor_b64 s[4:5], exec, -1
; %bb.3015:
	s_or_b64 exec, exec, s[8:9]
	s_and_b64 s[4:5], s[4:5], exec
	s_or_saveexec_b64 s[6:7], s[6:7]
	v_mov_b32_e32 v3, s10
	s_xor_b64 exec, exec, s[6:7]
	s_cbranch_execz .LBB12_966
.LBB12_3016:
	v_mov_b32_e32 v3, 0
	v_cmp_ne_u16_sdwa s[8:9], v4, v3 src0_sel:BYTE_0 src1_sel:DWORD
	s_andn2_b64 s[4:5], s[4:5], exec
	s_and_b64 s[8:9], s[8:9], exec
	s_or_b64 s[4:5], s[4:5], s[8:9]
	s_or_b64 exec, exec, s[6:7]
	s_and_saveexec_b64 s[6:7], s[4:5]
	s_cbranch_execnz .LBB12_967
	s_branch .LBB12_968
.LBB12_3017:
	s_movk_i32 s4, 0x80
	v_cmp_eq_u16_sdwa s[12:13], v3, s4 src0_sel:BYTE_0 src1_sel:DWORD
	s_mov_b64 s[4:5], -1
                                        ; implicit-def: $sgpr10
	s_and_saveexec_b64 s[8:9], s[12:13]
; %bb.3018:
	s_mov_b32 s10, 0x7f800001
	s_xor_b64 s[4:5], exec, -1
; %bb.3019:
	s_or_b64 exec, exec, s[8:9]
	s_and_b64 s[4:5], s[4:5], exec
	s_or_saveexec_b64 s[6:7], s[6:7]
	v_mov_b32_e32 v2, s10
	s_xor_b64 exec, exec, s[6:7]
	s_cbranch_execz .LBB12_970
.LBB12_3020:
	v_mov_b32_e32 v2, 0
	v_cmp_ne_u16_sdwa s[8:9], v3, v2 src0_sel:BYTE_0 src1_sel:DWORD
	s_andn2_b64 s[4:5], s[4:5], exec
	s_and_b64 s[8:9], s[8:9], exec
	s_or_b64 s[4:5], s[4:5], s[8:9]
	s_or_b64 exec, exec, s[6:7]
	s_and_saveexec_b64 s[6:7], s[4:5]
	s_cbranch_execnz .LBB12_971
	s_branch .LBB12_972
.LBB12_3021:
	s_movk_i32 s4, 0x80
	v_cmp_eq_u16_sdwa s[12:13], v3, s4 src0_sel:BYTE_0 src1_sel:DWORD
	s_mov_b64 s[4:5], -1
                                        ; implicit-def: $sgpr10
	s_and_saveexec_b64 s[8:9], s[12:13]
; %bb.3022:
	s_mov_b32 s10, 0x7f800001
	s_xor_b64 s[4:5], exec, -1
; %bb.3023:
	s_or_b64 exec, exec, s[8:9]
	s_and_b64 s[4:5], s[4:5], exec
	s_or_saveexec_b64 s[6:7], s[6:7]
	v_mov_b32_e32 v6, s10
	s_xor_b64 exec, exec, s[6:7]
	s_cbranch_execz .LBB12_974
.LBB12_3024:
	v_mov_b32_e32 v6, 0
	v_cmp_ne_u16_sdwa s[8:9], v3, v6 src0_sel:BYTE_0 src1_sel:DWORD
	s_andn2_b64 s[4:5], s[4:5], exec
	s_and_b64 s[8:9], s[8:9], exec
	s_or_b64 s[4:5], s[4:5], s[8:9]
	s_or_b64 exec, exec, s[6:7]
	s_and_saveexec_b64 s[6:7], s[4:5]
	s_cbranch_execnz .LBB12_975
	s_branch .LBB12_976
.LBB12_3025:
	s_movk_i32 s4, 0x80
	v_cmp_eq_u16_e32 vcc, s4, v3
	s_mov_b64 s[4:5], -1
                                        ; implicit-def: $sgpr10
	s_and_saveexec_b64 s[8:9], vcc
; %bb.3026:
	s_mov_b32 s10, 0x7f800001
	s_xor_b64 s[4:5], exec, -1
; %bb.3027:
	s_or_b64 exec, exec, s[8:9]
	s_and_b64 s[4:5], s[4:5], exec
                                        ; implicit-def: $vgpr3
	s_or_saveexec_b64 s[6:7], s[6:7]
	v_mov_b32_e32 v2, s10
	s_xor_b64 exec, exec, s[6:7]
	s_cbranch_execz .LBB12_978
.LBB12_3028:
	v_cmp_ne_u16_e32 vcc, 0, v3
	s_andn2_b64 s[4:5], s[4:5], exec
	s_and_b64 s[8:9], vcc, exec
	v_mov_b32_e32 v2, 0
	s_or_b64 s[4:5], s[4:5], s[8:9]
	s_or_b64 exec, exec, s[6:7]
	s_and_saveexec_b64 s[6:7], s[4:5]
	s_cbranch_execnz .LBB12_979
	s_branch .LBB12_980
.LBB12_3029:
	s_movk_i32 s4, 0x80
	v_cmp_eq_u16_e32 vcc, s4, v3
	s_mov_b64 s[4:5], -1
                                        ; implicit-def: $sgpr10
	s_and_saveexec_b64 s[8:9], vcc
; %bb.3030:
	s_mov_b32 s10, 0x7f800001
	s_xor_b64 s[4:5], exec, -1
; %bb.3031:
	s_or_b64 exec, exec, s[8:9]
	s_and_b64 s[4:5], s[4:5], exec
                                        ; implicit-def: $vgpr3
	s_or_saveexec_b64 s[6:7], s[6:7]
	v_mov_b32_e32 v6, s10
	s_xor_b64 exec, exec, s[6:7]
	s_cbranch_execz .LBB12_982
.LBB12_3032:
	v_cmp_ne_u16_e32 vcc, 0, v3
	s_andn2_b64 s[4:5], s[4:5], exec
	s_and_b64 s[8:9], vcc, exec
	v_mov_b32_e32 v6, 0
	s_or_b64 s[4:5], s[4:5], s[8:9]
	s_or_b64 exec, exec, s[6:7]
	s_and_saveexec_b64 s[6:7], s[4:5]
	s_cbranch_execnz .LBB12_983
	s_branch .LBB12_984
.LBB12_3033:
	s_movk_i32 s4, 0x80
	v_cmp_eq_u16_sdwa s[12:13], v8, s4 src0_sel:BYTE_3 src1_sel:DWORD
	s_mov_b64 s[4:5], -1
                                        ; implicit-def: $sgpr10
	s_and_saveexec_b64 s[8:9], s[12:13]
; %bb.3034:
	s_mov_b32 s10, 0x7f800001
	s_xor_b64 s[4:5], exec, -1
; %bb.3035:
	s_or_b64 exec, exec, s[8:9]
	s_and_b64 s[4:5], s[4:5], exec
	s_or_saveexec_b64 s[6:7], s[6:7]
	v_mov_b32_e32 v2, s10
	s_xor_b64 exec, exec, s[6:7]
	s_cbranch_execz .LBB12_986
.LBB12_3036:
	v_mov_b32_e32 v2, 0
	v_cmp_ne_u16_sdwa s[8:9], v8, v2 src0_sel:BYTE_3 src1_sel:DWORD
	s_andn2_b64 s[4:5], s[4:5], exec
	s_and_b64 s[8:9], s[8:9], exec
	s_or_b64 s[4:5], s[4:5], s[8:9]
	s_or_b64 exec, exec, s[6:7]
	s_and_saveexec_b64 s[6:7], s[4:5]
	s_cbranch_execnz .LBB12_987
	s_branch .LBB12_988
.LBB12_3037:
	s_movk_i32 s4, 0x80
	v_cmp_eq_u16_sdwa s[12:13], v4, s4 src0_sel:BYTE_3 src1_sel:DWORD
	s_mov_b64 s[4:5], -1
                                        ; implicit-def: $sgpr10
	s_and_saveexec_b64 s[8:9], s[12:13]
; %bb.3038:
	s_mov_b32 s10, 0x7f800001
	s_xor_b64 s[4:5], exec, -1
; %bb.3039:
	s_or_b64 exec, exec, s[8:9]
	s_and_b64 s[4:5], s[4:5], exec
	s_or_saveexec_b64 s[6:7], s[6:7]
	v_mov_b32_e32 v3, s10
	s_xor_b64 exec, exec, s[6:7]
	s_cbranch_execz .LBB12_990
.LBB12_3040:
	v_mov_b32_e32 v3, 0
	v_cmp_ne_u16_sdwa s[8:9], v4, v3 src0_sel:BYTE_3 src1_sel:DWORD
	s_andn2_b64 s[4:5], s[4:5], exec
	s_and_b64 s[8:9], s[8:9], exec
	s_or_b64 s[4:5], s[4:5], s[8:9]
	s_or_b64 exec, exec, s[6:7]
	s_and_saveexec_b64 s[6:7], s[4:5]
	s_cbranch_execnz .LBB12_991
	s_branch .LBB12_992
.LBB12_3041:
	s_movk_i32 s4, 0x80
	v_cmp_eq_u16_sdwa s[12:13], v9, s4 src0_sel:BYTE_0 src1_sel:DWORD
	s_mov_b64 s[4:5], -1
                                        ; implicit-def: $sgpr10
	s_and_saveexec_b64 s[8:9], s[12:13]
; %bb.3042:
	s_mov_b32 s10, 0x7f800001
	s_xor_b64 s[4:5], exec, -1
; %bb.3043:
	s_or_b64 exec, exec, s[8:9]
	s_and_b64 s[4:5], s[4:5], exec
	s_or_saveexec_b64 s[6:7], s[6:7]
	v_mov_b32_e32 v2, s10
	s_xor_b64 exec, exec, s[6:7]
	s_cbranch_execz .LBB12_994
.LBB12_3044:
	v_mov_b32_e32 v2, 0
	v_cmp_ne_u16_sdwa s[8:9], v9, v2 src0_sel:BYTE_0 src1_sel:DWORD
	s_andn2_b64 s[4:5], s[4:5], exec
	s_and_b64 s[8:9], s[8:9], exec
	s_or_b64 s[4:5], s[4:5], s[8:9]
	s_or_b64 exec, exec, s[6:7]
	s_and_saveexec_b64 s[6:7], s[4:5]
	s_cbranch_execnz .LBB12_995
	s_branch .LBB12_996
.LBB12_3045:
	s_movk_i32 s4, 0x80
	v_cmp_eq_u16_sdwa s[12:13], v5, s4 src0_sel:BYTE_0 src1_sel:DWORD
	s_mov_b64 s[4:5], -1
                                        ; implicit-def: $sgpr10
	s_and_saveexec_b64 s[8:9], s[12:13]
; %bb.3046:
	s_mov_b32 s10, 0x7f800001
	s_xor_b64 s[4:5], exec, -1
; %bb.3047:
	s_or_b64 exec, exec, s[8:9]
	s_and_b64 s[4:5], s[4:5], exec
	s_or_saveexec_b64 s[6:7], s[6:7]
	v_mov_b32_e32 v3, s10
	s_xor_b64 exec, exec, s[6:7]
	s_cbranch_execz .LBB12_998
.LBB12_3048:
	v_mov_b32_e32 v3, 0
	v_cmp_ne_u16_sdwa s[8:9], v5, v3 src0_sel:BYTE_0 src1_sel:DWORD
	s_andn2_b64 s[4:5], s[4:5], exec
	s_and_b64 s[8:9], s[8:9], exec
	s_or_b64 s[4:5], s[4:5], s[8:9]
	s_or_b64 exec, exec, s[6:7]
	s_and_saveexec_b64 s[6:7], s[4:5]
	s_cbranch_execnz .LBB12_999
	s_branch .LBB12_1000
.LBB12_3049:
	s_movk_i32 s4, 0x80
	v_cmp_eq_u16_sdwa s[12:13], v3, s4 src0_sel:BYTE_0 src1_sel:DWORD
	s_mov_b64 s[4:5], -1
                                        ; implicit-def: $sgpr10
	s_and_saveexec_b64 s[8:9], s[12:13]
; %bb.3050:
	s_mov_b32 s10, 0x7f800001
	s_xor_b64 s[4:5], exec, -1
; %bb.3051:
	s_or_b64 exec, exec, s[8:9]
	s_and_b64 s[4:5], s[4:5], exec
	s_or_saveexec_b64 s[6:7], s[6:7]
	v_mov_b32_e32 v2, s10
	s_xor_b64 exec, exec, s[6:7]
	s_cbranch_execz .LBB12_1002
.LBB12_3052:
	v_mov_b32_e32 v2, 0
	v_cmp_ne_u16_sdwa s[8:9], v3, v2 src0_sel:BYTE_0 src1_sel:DWORD
	s_andn2_b64 s[4:5], s[4:5], exec
	s_and_b64 s[8:9], s[8:9], exec
	s_or_b64 s[4:5], s[4:5], s[8:9]
	s_or_b64 exec, exec, s[6:7]
	s_and_saveexec_b64 s[6:7], s[4:5]
	s_cbranch_execnz .LBB12_1003
	s_branch .LBB12_1004
.LBB12_3053:
	s_movk_i32 s4, 0x80
	v_cmp_eq_u16_sdwa s[12:13], v3, s4 src0_sel:BYTE_0 src1_sel:DWORD
	s_mov_b64 s[4:5], -1
                                        ; implicit-def: $sgpr10
	s_and_saveexec_b64 s[8:9], s[12:13]
; %bb.3054:
	s_mov_b32 s10, 0x7f800001
	s_xor_b64 s[4:5], exec, -1
; %bb.3055:
	s_or_b64 exec, exec, s[8:9]
	s_and_b64 s[4:5], s[4:5], exec
	s_or_saveexec_b64 s[6:7], s[6:7]
	v_mov_b32_e32 v4, s10
	s_xor_b64 exec, exec, s[6:7]
	s_cbranch_execz .LBB12_1006
.LBB12_3056:
	v_mov_b32_e32 v4, 0
	v_cmp_ne_u16_sdwa s[8:9], v3, v4 src0_sel:BYTE_0 src1_sel:DWORD
	s_andn2_b64 s[4:5], s[4:5], exec
	s_and_b64 s[8:9], s[8:9], exec
	s_or_b64 s[4:5], s[4:5], s[8:9]
	s_or_b64 exec, exec, s[6:7]
	s_and_saveexec_b64 s[6:7], s[4:5]
	s_cbranch_execnz .LBB12_1007
	s_branch .LBB12_1008
.LBB12_3057:
	s_movk_i32 s4, 0x80
	v_cmp_eq_u16_e32 vcc, s4, v3
	s_mov_b64 s[4:5], -1
                                        ; implicit-def: $sgpr10
	s_and_saveexec_b64 s[8:9], vcc
; %bb.3058:
	s_mov_b32 s10, 0x7f800001
	s_xor_b64 s[4:5], exec, -1
; %bb.3059:
	s_or_b64 exec, exec, s[8:9]
	s_and_b64 s[4:5], s[4:5], exec
                                        ; implicit-def: $vgpr3
	s_or_saveexec_b64 s[6:7], s[6:7]
	v_mov_b32_e32 v2, s10
	s_xor_b64 exec, exec, s[6:7]
	s_cbranch_execz .LBB12_1010
.LBB12_3060:
	v_cmp_ne_u16_e32 vcc, 0, v3
	s_andn2_b64 s[4:5], s[4:5], exec
	s_and_b64 s[8:9], vcc, exec
	v_mov_b32_e32 v2, 0
	s_or_b64 s[4:5], s[4:5], s[8:9]
	s_or_b64 exec, exec, s[6:7]
	s_and_saveexec_b64 s[6:7], s[4:5]
	s_cbranch_execnz .LBB12_1011
	s_branch .LBB12_1012
.LBB12_3061:
	s_movk_i32 s4, 0x80
	v_cmp_eq_u16_e32 vcc, s4, v3
	s_mov_b64 s[4:5], -1
                                        ; implicit-def: $sgpr10
	s_and_saveexec_b64 s[8:9], vcc
; %bb.3062:
	s_mov_b32 s10, 0x7f800001
	s_xor_b64 s[4:5], exec, -1
; %bb.3063:
	s_or_b64 exec, exec, s[8:9]
	s_and_b64 s[4:5], s[4:5], exec
                                        ; implicit-def: $vgpr3
	s_or_saveexec_b64 s[6:7], s[6:7]
	v_mov_b32_e32 v4, s10
	s_xor_b64 exec, exec, s[6:7]
	s_cbranch_execz .LBB12_1014
.LBB12_3064:
	v_cmp_ne_u16_e32 vcc, 0, v3
	s_andn2_b64 s[4:5], s[4:5], exec
	s_and_b64 s[8:9], vcc, exec
	v_mov_b32_e32 v4, 0
	s_or_b64 s[4:5], s[4:5], s[8:9]
	s_or_b64 exec, exec, s[6:7]
	s_and_saveexec_b64 s[6:7], s[4:5]
	s_cbranch_execnz .LBB12_1015
	s_branch .LBB12_1016
.LBB12_3065:
	s_movk_i32 s4, 0x80
	v_cmp_eq_u16_sdwa s[12:13], v9, s4 src0_sel:BYTE_3 src1_sel:DWORD
	s_mov_b64 s[4:5], -1
                                        ; implicit-def: $sgpr10
	s_and_saveexec_b64 s[8:9], s[12:13]
; %bb.3066:
	s_mov_b32 s10, 0x7f800001
	s_xor_b64 s[4:5], exec, -1
; %bb.3067:
	s_or_b64 exec, exec, s[8:9]
	s_and_b64 s[4:5], s[4:5], exec
	s_or_saveexec_b64 s[6:7], s[6:7]
	v_mov_b32_e32 v2, s10
	s_xor_b64 exec, exec, s[6:7]
	s_cbranch_execz .LBB12_1018
.LBB12_3068:
	v_mov_b32_e32 v2, 0
	v_cmp_ne_u16_sdwa s[8:9], v9, v2 src0_sel:BYTE_3 src1_sel:DWORD
	s_andn2_b64 s[4:5], s[4:5], exec
	s_and_b64 s[8:9], s[8:9], exec
	s_or_b64 s[4:5], s[4:5], s[8:9]
	s_or_b64 exec, exec, s[6:7]
	s_and_saveexec_b64 s[6:7], s[4:5]
	s_cbranch_execnz .LBB12_1019
	s_branch .LBB12_1020
.LBB12_3069:
	s_movk_i32 s4, 0x80
	v_cmp_eq_u16_sdwa s[12:13], v5, s4 src0_sel:BYTE_3 src1_sel:DWORD
	s_mov_b64 s[4:5], -1
                                        ; implicit-def: $sgpr10
	s_and_saveexec_b64 s[8:9], s[12:13]
; %bb.3070:
	s_mov_b32 s10, 0x7f800001
	s_xor_b64 s[4:5], exec, -1
; %bb.3071:
	s_or_b64 exec, exec, s[8:9]
	s_and_b64 s[4:5], s[4:5], exec
	s_or_saveexec_b64 s[6:7], s[6:7]
	v_mov_b32_e32 v3, s10
	s_xor_b64 exec, exec, s[6:7]
	s_cbranch_execz .LBB12_1022
.LBB12_3072:
	v_mov_b32_e32 v3, 0
	v_cmp_ne_u16_sdwa s[8:9], v5, v3 src0_sel:BYTE_3 src1_sel:DWORD
	s_andn2_b64 s[4:5], s[4:5], exec
	s_and_b64 s[8:9], s[8:9], exec
	s_or_b64 s[4:5], s[4:5], s[8:9]
	s_or_b64 exec, exec, s[6:7]
	s_and_saveexec_b64 s[6:7], s[4:5]
	s_cbranch_execnz .LBB12_1023
	s_branch .LBB12_1024
.LBB12_3073:
	s_movk_i32 s4, 0x80
	v_cmp_eq_u16_sdwa s[12:13], v14, s4 src0_sel:BYTE_0 src1_sel:DWORD
	s_mov_b64 s[4:5], -1
                                        ; implicit-def: $sgpr10
	s_and_saveexec_b64 s[8:9], s[12:13]
; %bb.3074:
	s_mov_b32 s10, 0x7f800001
	s_xor_b64 s[4:5], exec, -1
; %bb.3075:
	s_or_b64 exec, exec, s[8:9]
	s_and_b64 s[4:5], s[4:5], exec
	s_or_saveexec_b64 s[6:7], s[6:7]
	v_mov_b32_e32 v20, s10
	s_xor_b64 exec, exec, s[6:7]
	s_cbranch_execz .LBB12_1026
.LBB12_3076:
	v_mov_b32_e32 v20, 0
	v_cmp_ne_u16_sdwa s[8:9], v14, v20 src0_sel:BYTE_0 src1_sel:DWORD
	s_andn2_b64 s[4:5], s[4:5], exec
	s_and_b64 s[8:9], s[8:9], exec
	s_or_b64 s[4:5], s[4:5], s[8:9]
	s_or_b64 exec, exec, s[6:7]
	s_and_saveexec_b64 s[6:7], s[4:5]
	s_cbranch_execnz .LBB12_1027
	s_branch .LBB12_1028
.LBB12_3077:
	s_movk_i32 s4, 0x80
	v_cmp_eq_u16_sdwa s[12:13], v10, s4 src0_sel:BYTE_0 src1_sel:DWORD
	s_mov_b64 s[4:5], -1
                                        ; implicit-def: $sgpr10
	s_and_saveexec_b64 s[8:9], s[12:13]
; %bb.3078:
	s_mov_b32 s10, 0x7f800001
	s_xor_b64 s[4:5], exec, -1
; %bb.3079:
	s_or_b64 exec, exec, s[8:9]
	s_and_b64 s[4:5], s[4:5], exec
	s_or_saveexec_b64 s[6:7], s[6:7]
	v_mov_b32_e32 v21, s10
	s_xor_b64 exec, exec, s[6:7]
	s_cbranch_execz .LBB12_1030
.LBB12_3080:
	v_mov_b32_e32 v21, 0
	v_cmp_ne_u16_sdwa s[8:9], v10, v21 src0_sel:BYTE_0 src1_sel:DWORD
	s_andn2_b64 s[4:5], s[4:5], exec
	s_and_b64 s[8:9], s[8:9], exec
	s_or_b64 s[4:5], s[4:5], s[8:9]
	s_or_b64 exec, exec, s[6:7]
	s_and_saveexec_b64 s[6:7], s[4:5]
	s_cbranch_execnz .LBB12_1031
	s_branch .LBB12_1032
.LBB12_3081:
	s_movk_i32 s4, 0x80
	v_cmp_eq_u16_sdwa s[12:13], v21, s4 src0_sel:BYTE_0 src1_sel:DWORD
	s_mov_b64 s[4:5], -1
                                        ; implicit-def: $sgpr10
	s_and_saveexec_b64 s[8:9], s[12:13]
; %bb.3082:
	s_mov_b32 s10, 0x7f800001
	s_xor_b64 s[4:5], exec, -1
; %bb.3083:
	s_or_b64 exec, exec, s[8:9]
	s_and_b64 s[4:5], s[4:5], exec
	s_or_saveexec_b64 s[6:7], s[6:7]
	v_mov_b32_e32 v20, s10
	s_xor_b64 exec, exec, s[6:7]
	s_cbranch_execz .LBB12_1034
.LBB12_3084:
	v_mov_b32_e32 v20, 0
	v_cmp_ne_u16_sdwa s[8:9], v21, v20 src0_sel:BYTE_0 src1_sel:DWORD
	s_andn2_b64 s[4:5], s[4:5], exec
	s_and_b64 s[8:9], s[8:9], exec
	s_or_b64 s[4:5], s[4:5], s[8:9]
	s_or_b64 exec, exec, s[6:7]
	s_and_saveexec_b64 s[6:7], s[4:5]
	s_cbranch_execnz .LBB12_1035
	s_branch .LBB12_1036
.LBB12_3085:
	s_movk_i32 s4, 0x80
	v_cmp_eq_u16_sdwa s[12:13], v21, s4 src0_sel:BYTE_0 src1_sel:DWORD
	s_mov_b64 s[4:5], -1
                                        ; implicit-def: $sgpr10
	s_and_saveexec_b64 s[8:9], s[12:13]
; %bb.3086:
	s_mov_b32 s10, 0x7f800001
	s_xor_b64 s[4:5], exec, -1
; %bb.3087:
	s_or_b64 exec, exec, s[8:9]
	s_and_b64 s[4:5], s[4:5], exec
	s_or_saveexec_b64 s[6:7], s[6:7]
	v_mov_b32_e32 v22, s10
	s_xor_b64 exec, exec, s[6:7]
	s_cbranch_execz .LBB12_1038
.LBB12_3088:
	v_mov_b32_e32 v22, 0
	v_cmp_ne_u16_sdwa s[8:9], v21, v22 src0_sel:BYTE_0 src1_sel:DWORD
	s_andn2_b64 s[4:5], s[4:5], exec
	s_and_b64 s[8:9], s[8:9], exec
	s_or_b64 s[4:5], s[4:5], s[8:9]
	s_or_b64 exec, exec, s[6:7]
	s_and_saveexec_b64 s[6:7], s[4:5]
	s_cbranch_execnz .LBB12_1039
	s_branch .LBB12_1040
.LBB12_3089:
	s_movk_i32 s4, 0x80
	v_cmp_eq_u16_e32 vcc, s4, v21
	s_mov_b64 s[4:5], -1
                                        ; implicit-def: $sgpr10
	s_and_saveexec_b64 s[8:9], vcc
; %bb.3090:
	s_mov_b32 s10, 0x7f800001
	s_xor_b64 s[4:5], exec, -1
; %bb.3091:
	s_or_b64 exec, exec, s[8:9]
	s_and_b64 s[4:5], s[4:5], exec
                                        ; implicit-def: $vgpr21
	s_or_saveexec_b64 s[6:7], s[6:7]
	v_mov_b32_e32 v20, s10
	s_xor_b64 exec, exec, s[6:7]
	s_cbranch_execz .LBB12_1042
.LBB12_3092:
	v_cmp_ne_u16_e32 vcc, 0, v21
	s_andn2_b64 s[4:5], s[4:5], exec
	s_and_b64 s[8:9], vcc, exec
	v_mov_b32_e32 v20, 0
	s_or_b64 s[4:5], s[4:5], s[8:9]
	s_or_b64 exec, exec, s[6:7]
	s_and_saveexec_b64 s[6:7], s[4:5]
	s_cbranch_execnz .LBB12_1043
	s_branch .LBB12_1044
.LBB12_3093:
	s_movk_i32 s4, 0x80
	v_cmp_eq_u16_e32 vcc, s4, v21
	s_mov_b64 s[4:5], -1
                                        ; implicit-def: $sgpr10
	s_and_saveexec_b64 s[8:9], vcc
; %bb.3094:
	s_mov_b32 s10, 0x7f800001
	s_xor_b64 s[4:5], exec, -1
; %bb.3095:
	s_or_b64 exec, exec, s[8:9]
	s_and_b64 s[4:5], s[4:5], exec
                                        ; implicit-def: $vgpr21
	s_or_saveexec_b64 s[6:7], s[6:7]
	v_mov_b32_e32 v22, s10
	s_xor_b64 exec, exec, s[6:7]
	s_cbranch_execz .LBB12_1046
.LBB12_3096:
	v_cmp_ne_u16_e32 vcc, 0, v21
	s_andn2_b64 s[4:5], s[4:5], exec
	s_and_b64 s[8:9], vcc, exec
	v_mov_b32_e32 v22, 0
	s_or_b64 s[4:5], s[4:5], s[8:9]
	s_or_b64 exec, exec, s[6:7]
	s_and_saveexec_b64 s[6:7], s[4:5]
	s_cbranch_execnz .LBB12_1047
	s_branch .LBB12_1048
.LBB12_3097:
	s_movk_i32 s4, 0x80
	v_cmp_eq_u16_sdwa s[12:13], v14, s4 src0_sel:BYTE_3 src1_sel:DWORD
	s_mov_b64 s[4:5], -1
                                        ; implicit-def: $sgpr10
	s_and_saveexec_b64 s[8:9], s[12:13]
; %bb.3098:
	s_mov_b32 s10, 0x7f800001
	s_xor_b64 s[4:5], exec, -1
; %bb.3099:
	s_or_b64 exec, exec, s[8:9]
	s_and_b64 s[4:5], s[4:5], exec
	s_or_saveexec_b64 s[6:7], s[6:7]
	v_mov_b32_e32 v20, s10
	s_xor_b64 exec, exec, s[6:7]
	s_cbranch_execz .LBB12_1050
.LBB12_3100:
	v_mov_b32_e32 v20, 0
	v_cmp_ne_u16_sdwa s[8:9], v14, v20 src0_sel:BYTE_3 src1_sel:DWORD
	s_andn2_b64 s[4:5], s[4:5], exec
	s_and_b64 s[8:9], s[8:9], exec
	s_or_b64 s[4:5], s[4:5], s[8:9]
	s_or_b64 exec, exec, s[6:7]
	s_and_saveexec_b64 s[6:7], s[4:5]
	s_cbranch_execnz .LBB12_1051
	s_branch .LBB12_1052
.LBB12_3101:
	s_movk_i32 s4, 0x80
	v_cmp_eq_u16_sdwa s[12:13], v10, s4 src0_sel:BYTE_3 src1_sel:DWORD
	s_mov_b64 s[4:5], -1
                                        ; implicit-def: $sgpr10
	s_and_saveexec_b64 s[8:9], s[12:13]
; %bb.3102:
	s_mov_b32 s10, 0x7f800001
	s_xor_b64 s[4:5], exec, -1
; %bb.3103:
	s_or_b64 exec, exec, s[8:9]
	s_and_b64 s[4:5], s[4:5], exec
	s_or_saveexec_b64 s[6:7], s[6:7]
	v_mov_b32_e32 v14, s10
	s_xor_b64 exec, exec, s[6:7]
	s_cbranch_execz .LBB12_1054
.LBB12_3104:
	v_mov_b32_e32 v14, 0
	v_cmp_ne_u16_sdwa s[8:9], v10, v14 src0_sel:BYTE_3 src1_sel:DWORD
	s_andn2_b64 s[4:5], s[4:5], exec
	s_and_b64 s[8:9], s[8:9], exec
	s_or_b64 s[4:5], s[4:5], s[8:9]
	s_or_b64 exec, exec, s[6:7]
	s_and_saveexec_b64 s[6:7], s[4:5]
	s_cbranch_execnz .LBB12_1055
	s_branch .LBB12_1056
.LBB12_3105:
	s_movk_i32 s4, 0x80
	v_cmp_eq_u16_sdwa s[12:13], v15, s4 src0_sel:BYTE_0 src1_sel:DWORD
	s_mov_b64 s[4:5], -1
                                        ; implicit-def: $sgpr10
	s_and_saveexec_b64 s[8:9], s[12:13]
; %bb.3106:
	s_mov_b32 s10, 0x7f800001
	s_xor_b64 s[4:5], exec, -1
; %bb.3107:
	s_or_b64 exec, exec, s[8:9]
	s_and_b64 s[4:5], s[4:5], exec
	s_or_saveexec_b64 s[6:7], s[6:7]
	v_mov_b32_e32 v10, s10
	s_xor_b64 exec, exec, s[6:7]
	s_cbranch_execz .LBB12_1058
.LBB12_3108:
	v_mov_b32_e32 v10, 0
	v_cmp_ne_u16_sdwa s[8:9], v15, v10 src0_sel:BYTE_0 src1_sel:DWORD
	s_andn2_b64 s[4:5], s[4:5], exec
	s_and_b64 s[8:9], s[8:9], exec
	s_or_b64 s[4:5], s[4:5], s[8:9]
	s_or_b64 exec, exec, s[6:7]
	s_and_saveexec_b64 s[6:7], s[4:5]
	s_cbranch_execnz .LBB12_1059
	s_branch .LBB12_1060
.LBB12_3109:
	s_movk_i32 s4, 0x80
	v_cmp_eq_u16_sdwa s[12:13], v11, s4 src0_sel:BYTE_0 src1_sel:DWORD
	s_mov_b64 s[4:5], -1
                                        ; implicit-def: $sgpr10
	s_and_saveexec_b64 s[8:9], s[12:13]
; %bb.3110:
	s_mov_b32 s10, 0x7f800001
	s_xor_b64 s[4:5], exec, -1
; %bb.3111:
	s_or_b64 exec, exec, s[8:9]
	s_and_b64 s[4:5], s[4:5], exec
	s_or_saveexec_b64 s[6:7], s[6:7]
	v_mov_b32_e32 v14, s10
	s_xor_b64 exec, exec, s[6:7]
	s_cbranch_execz .LBB12_1062
.LBB12_3112:
	v_mov_b32_e32 v14, 0
	v_cmp_ne_u16_sdwa s[8:9], v11, v14 src0_sel:BYTE_0 src1_sel:DWORD
	s_andn2_b64 s[4:5], s[4:5], exec
	s_and_b64 s[8:9], s[8:9], exec
	s_or_b64 s[4:5], s[4:5], s[8:9]
	s_or_b64 exec, exec, s[6:7]
	s_and_saveexec_b64 s[6:7], s[4:5]
	s_cbranch_execnz .LBB12_1063
	s_branch .LBB12_1064
.LBB12_3113:
	s_movk_i32 s4, 0x80
	v_cmp_eq_u16_sdwa s[12:13], v14, s4 src0_sel:BYTE_0 src1_sel:DWORD
	s_mov_b64 s[4:5], -1
                                        ; implicit-def: $sgpr10
	s_and_saveexec_b64 s[8:9], s[12:13]
; %bb.3114:
	s_mov_b32 s10, 0x7f800001
	s_xor_b64 s[4:5], exec, -1
; %bb.3115:
	s_or_b64 exec, exec, s[8:9]
	s_and_b64 s[4:5], s[4:5], exec
	s_or_saveexec_b64 s[6:7], s[6:7]
	v_mov_b32_e32 v10, s10
	s_xor_b64 exec, exec, s[6:7]
	s_cbranch_execz .LBB12_1066
.LBB12_3116:
	v_mov_b32_e32 v10, 0
	v_cmp_ne_u16_sdwa s[8:9], v14, v10 src0_sel:BYTE_0 src1_sel:DWORD
	s_andn2_b64 s[4:5], s[4:5], exec
	s_and_b64 s[8:9], s[8:9], exec
	s_or_b64 s[4:5], s[4:5], s[8:9]
	s_or_b64 exec, exec, s[6:7]
	s_and_saveexec_b64 s[6:7], s[4:5]
	s_cbranch_execnz .LBB12_1067
	s_branch .LBB12_1068
.LBB12_3117:
	s_movk_i32 s4, 0x80
	v_cmp_eq_u16_sdwa s[12:13], v14, s4 src0_sel:BYTE_0 src1_sel:DWORD
	s_mov_b64 s[4:5], -1
                                        ; implicit-def: $sgpr10
	s_and_saveexec_b64 s[8:9], s[12:13]
; %bb.3118:
	s_mov_b32 s10, 0x7f800001
	s_xor_b64 s[4:5], exec, -1
; %bb.3119:
	s_or_b64 exec, exec, s[8:9]
	s_and_b64 s[4:5], s[4:5], exec
	s_or_saveexec_b64 s[6:7], s[6:7]
	v_mov_b32_e32 v20, s10
	s_xor_b64 exec, exec, s[6:7]
	s_cbranch_execz .LBB12_1070
.LBB12_3120:
	v_mov_b32_e32 v20, 0
	v_cmp_ne_u16_sdwa s[8:9], v14, v20 src0_sel:BYTE_0 src1_sel:DWORD
	s_andn2_b64 s[4:5], s[4:5], exec
	s_and_b64 s[8:9], s[8:9], exec
	s_or_b64 s[4:5], s[4:5], s[8:9]
	s_or_b64 exec, exec, s[6:7]
	s_and_saveexec_b64 s[6:7], s[4:5]
	s_cbranch_execnz .LBB12_1071
	s_branch .LBB12_1072
.LBB12_3121:
	s_movk_i32 s4, 0x80
	v_cmp_eq_u16_e32 vcc, s4, v14
	s_mov_b64 s[4:5], -1
                                        ; implicit-def: $sgpr10
	s_and_saveexec_b64 s[8:9], vcc
; %bb.3122:
	s_mov_b32 s10, 0x7f800001
	s_xor_b64 s[4:5], exec, -1
; %bb.3123:
	s_or_b64 exec, exec, s[8:9]
	s_and_b64 s[4:5], s[4:5], exec
                                        ; implicit-def: $vgpr14
	s_or_saveexec_b64 s[6:7], s[6:7]
	v_mov_b32_e32 v10, s10
	s_xor_b64 exec, exec, s[6:7]
	s_cbranch_execz .LBB12_1074
.LBB12_3124:
	v_cmp_ne_u16_e32 vcc, 0, v14
	s_andn2_b64 s[4:5], s[4:5], exec
	s_and_b64 s[8:9], vcc, exec
	v_mov_b32_e32 v10, 0
	s_or_b64 s[4:5], s[4:5], s[8:9]
	s_or_b64 exec, exec, s[6:7]
	s_and_saveexec_b64 s[6:7], s[4:5]
	s_cbranch_execnz .LBB12_1075
	s_branch .LBB12_1076
.LBB12_3125:
	s_movk_i32 s4, 0x80
	v_cmp_eq_u16_e32 vcc, s4, v14
	s_mov_b64 s[4:5], -1
                                        ; implicit-def: $sgpr10
	s_and_saveexec_b64 s[8:9], vcc
; %bb.3126:
	s_mov_b32 s10, 0x7f800001
	s_xor_b64 s[4:5], exec, -1
; %bb.3127:
	s_or_b64 exec, exec, s[8:9]
	s_and_b64 s[4:5], s[4:5], exec
                                        ; implicit-def: $vgpr14
	s_or_saveexec_b64 s[6:7], s[6:7]
	v_mov_b32_e32 v20, s10
	s_xor_b64 exec, exec, s[6:7]
	s_cbranch_execz .LBB12_1078
.LBB12_3128:
	v_cmp_ne_u16_e32 vcc, 0, v14
	s_andn2_b64 s[4:5], s[4:5], exec
	s_and_b64 s[8:9], vcc, exec
	v_mov_b32_e32 v20, 0
	s_or_b64 s[4:5], s[4:5], s[8:9]
	s_or_b64 exec, exec, s[6:7]
	s_and_saveexec_b64 s[6:7], s[4:5]
	s_cbranch_execnz .LBB12_1079
	s_branch .LBB12_1080
.LBB12_3129:
	s_movk_i32 s4, 0x80
	v_cmp_eq_u16_sdwa s[12:13], v15, s4 src0_sel:BYTE_3 src1_sel:DWORD
	s_mov_b64 s[4:5], -1
                                        ; implicit-def: $sgpr10
	s_and_saveexec_b64 s[8:9], s[12:13]
; %bb.3130:
	s_mov_b32 s10, 0x7f800001
	s_xor_b64 s[4:5], exec, -1
; %bb.3131:
	s_or_b64 exec, exec, s[8:9]
	s_and_b64 s[4:5], s[4:5], exec
	s_or_saveexec_b64 s[6:7], s[6:7]
	v_mov_b32_e32 v10, s10
	s_xor_b64 exec, exec, s[6:7]
	s_cbranch_execz .LBB12_1082
.LBB12_3132:
	v_mov_b32_e32 v10, 0
	v_cmp_ne_u16_sdwa s[8:9], v15, v10 src0_sel:BYTE_3 src1_sel:DWORD
	s_andn2_b64 s[4:5], s[4:5], exec
	s_and_b64 s[8:9], s[8:9], exec
	s_or_b64 s[4:5], s[4:5], s[8:9]
	s_or_b64 exec, exec, s[6:7]
	s_and_saveexec_b64 s[6:7], s[4:5]
	s_cbranch_execnz .LBB12_1083
	s_branch .LBB12_1084
.LBB12_3133:
	s_movk_i32 s4, 0x80
	v_cmp_eq_u16_sdwa s[12:13], v11, s4 src0_sel:BYTE_3 src1_sel:DWORD
	s_mov_b64 s[4:5], -1
                                        ; implicit-def: $sgpr10
	s_and_saveexec_b64 s[8:9], s[12:13]
; %bb.3134:
	s_mov_b32 s10, 0x7f800001
	s_xor_b64 s[4:5], exec, -1
; %bb.3135:
	s_or_b64 exec, exec, s[8:9]
	s_and_b64 s[4:5], s[4:5], exec
	s_or_saveexec_b64 s[6:7], s[6:7]
	v_mov_b32_e32 v14, s10
	s_xor_b64 exec, exec, s[6:7]
	s_cbranch_execz .LBB12_1086
.LBB12_3136:
	v_mov_b32_e32 v14, 0
	v_cmp_ne_u16_sdwa s[8:9], v11, v14 src0_sel:BYTE_3 src1_sel:DWORD
	s_andn2_b64 s[4:5], s[4:5], exec
	s_and_b64 s[8:9], s[8:9], exec
	s_or_b64 s[4:5], s[4:5], s[8:9]
	s_or_b64 exec, exec, s[6:7]
	s_and_saveexec_b64 s[6:7], s[4:5]
	s_cbranch_execnz .LBB12_1087
	s_branch .LBB12_1088
.LBB12_3137:
	s_movk_i32 s4, 0x80
	v_cmp_eq_u16_sdwa s[12:13], v16, s4 src0_sel:BYTE_0 src1_sel:DWORD
	s_mov_b64 s[4:5], -1
                                        ; implicit-def: $sgpr10
	s_and_saveexec_b64 s[8:9], s[12:13]
; %bb.3138:
	s_mov_b32 s10, 0x7f800001
	s_xor_b64 s[4:5], exec, -1
; %bb.3139:
	s_or_b64 exec, exec, s[8:9]
	s_and_b64 s[4:5], s[4:5], exec
	s_or_saveexec_b64 s[6:7], s[6:7]
	v_mov_b32_e32 v10, s10
	s_xor_b64 exec, exec, s[6:7]
	s_cbranch_execz .LBB12_1090
.LBB12_3140:
	v_mov_b32_e32 v10, 0
	v_cmp_ne_u16_sdwa s[8:9], v16, v10 src0_sel:BYTE_0 src1_sel:DWORD
	s_andn2_b64 s[4:5], s[4:5], exec
	s_and_b64 s[8:9], s[8:9], exec
	s_or_b64 s[4:5], s[4:5], s[8:9]
	s_or_b64 exec, exec, s[6:7]
	s_and_saveexec_b64 s[6:7], s[4:5]
	s_cbranch_execnz .LBB12_1091
	s_branch .LBB12_1092
.LBB12_3141:
	s_movk_i32 s4, 0x80
	v_cmp_eq_u16_sdwa s[12:13], v12, s4 src0_sel:BYTE_0 src1_sel:DWORD
	s_mov_b64 s[4:5], -1
                                        ; implicit-def: $sgpr10
	s_and_saveexec_b64 s[8:9], s[12:13]
; %bb.3142:
	s_mov_b32 s10, 0x7f800001
	s_xor_b64 s[4:5], exec, -1
; %bb.3143:
	s_or_b64 exec, exec, s[8:9]
	s_and_b64 s[4:5], s[4:5], exec
	s_or_saveexec_b64 s[6:7], s[6:7]
	v_mov_b32_e32 v11, s10
	s_xor_b64 exec, exec, s[6:7]
	s_cbranch_execz .LBB12_1094
.LBB12_3144:
	v_mov_b32_e32 v11, 0
	v_cmp_ne_u16_sdwa s[8:9], v12, v11 src0_sel:BYTE_0 src1_sel:DWORD
	s_andn2_b64 s[4:5], s[4:5], exec
	s_and_b64 s[8:9], s[8:9], exec
	s_or_b64 s[4:5], s[4:5], s[8:9]
	s_or_b64 exec, exec, s[6:7]
	s_and_saveexec_b64 s[6:7], s[4:5]
	s_cbranch_execnz .LBB12_1095
	s_branch .LBB12_1096
.LBB12_3145:
	s_movk_i32 s4, 0x80
	v_cmp_eq_u16_sdwa s[12:13], v11, s4 src0_sel:BYTE_0 src1_sel:DWORD
	s_mov_b64 s[4:5], -1
                                        ; implicit-def: $sgpr10
	s_and_saveexec_b64 s[8:9], s[12:13]
; %bb.3146:
	s_mov_b32 s10, 0x7f800001
	s_xor_b64 s[4:5], exec, -1
; %bb.3147:
	s_or_b64 exec, exec, s[8:9]
	s_and_b64 s[4:5], s[4:5], exec
	s_or_saveexec_b64 s[6:7], s[6:7]
	v_mov_b32_e32 v10, s10
	s_xor_b64 exec, exec, s[6:7]
	s_cbranch_execz .LBB12_1098
.LBB12_3148:
	v_mov_b32_e32 v10, 0
	v_cmp_ne_u16_sdwa s[8:9], v11, v10 src0_sel:BYTE_0 src1_sel:DWORD
	s_andn2_b64 s[4:5], s[4:5], exec
	s_and_b64 s[8:9], s[8:9], exec
	s_or_b64 s[4:5], s[4:5], s[8:9]
	s_or_b64 exec, exec, s[6:7]
	s_and_saveexec_b64 s[6:7], s[4:5]
	s_cbranch_execnz .LBB12_1099
	s_branch .LBB12_1100
.LBB12_3149:
	s_movk_i32 s4, 0x80
	v_cmp_eq_u16_sdwa s[12:13], v11, s4 src0_sel:BYTE_0 src1_sel:DWORD
	s_mov_b64 s[4:5], -1
                                        ; implicit-def: $sgpr10
	s_and_saveexec_b64 s[8:9], s[12:13]
; %bb.3150:
	s_mov_b32 s10, 0x7f800001
	s_xor_b64 s[4:5], exec, -1
; %bb.3151:
	s_or_b64 exec, exec, s[8:9]
	s_and_b64 s[4:5], s[4:5], exec
	s_or_saveexec_b64 s[6:7], s[6:7]
	v_mov_b32_e32 v14, s10
	s_xor_b64 exec, exec, s[6:7]
	s_cbranch_execz .LBB12_1102
.LBB12_3152:
	v_mov_b32_e32 v14, 0
	v_cmp_ne_u16_sdwa s[8:9], v11, v14 src0_sel:BYTE_0 src1_sel:DWORD
	s_andn2_b64 s[4:5], s[4:5], exec
	s_and_b64 s[8:9], s[8:9], exec
	s_or_b64 s[4:5], s[4:5], s[8:9]
	s_or_b64 exec, exec, s[6:7]
	s_and_saveexec_b64 s[6:7], s[4:5]
	s_cbranch_execnz .LBB12_1103
	s_branch .LBB12_1104
.LBB12_3153:
	s_movk_i32 s4, 0x80
	v_cmp_eq_u16_e32 vcc, s4, v11
	s_mov_b64 s[4:5], -1
                                        ; implicit-def: $sgpr10
	s_and_saveexec_b64 s[8:9], vcc
; %bb.3154:
	s_mov_b32 s10, 0x7f800001
	s_xor_b64 s[4:5], exec, -1
; %bb.3155:
	s_or_b64 exec, exec, s[8:9]
	s_and_b64 s[4:5], s[4:5], exec
                                        ; implicit-def: $vgpr11
	s_or_saveexec_b64 s[6:7], s[6:7]
	v_mov_b32_e32 v10, s10
	s_xor_b64 exec, exec, s[6:7]
	s_cbranch_execz .LBB12_1106
.LBB12_3156:
	v_cmp_ne_u16_e32 vcc, 0, v11
	s_andn2_b64 s[4:5], s[4:5], exec
	s_and_b64 s[8:9], vcc, exec
	v_mov_b32_e32 v10, 0
	s_or_b64 s[4:5], s[4:5], s[8:9]
	s_or_b64 exec, exec, s[6:7]
	s_and_saveexec_b64 s[6:7], s[4:5]
	s_cbranch_execnz .LBB12_1107
	s_branch .LBB12_1108
.LBB12_3157:
	s_movk_i32 s4, 0x80
	v_cmp_eq_u16_e32 vcc, s4, v11
	s_mov_b64 s[4:5], -1
                                        ; implicit-def: $sgpr10
	s_and_saveexec_b64 s[8:9], vcc
; %bb.3158:
	s_mov_b32 s10, 0x7f800001
	s_xor_b64 s[4:5], exec, -1
; %bb.3159:
	s_or_b64 exec, exec, s[8:9]
	s_and_b64 s[4:5], s[4:5], exec
                                        ; implicit-def: $vgpr11
	s_or_saveexec_b64 s[6:7], s[6:7]
	v_mov_b32_e32 v14, s10
	s_xor_b64 exec, exec, s[6:7]
	s_cbranch_execz .LBB12_1110
.LBB12_3160:
	v_cmp_ne_u16_e32 vcc, 0, v11
	s_andn2_b64 s[4:5], s[4:5], exec
	s_and_b64 s[8:9], vcc, exec
	v_mov_b32_e32 v14, 0
	s_or_b64 s[4:5], s[4:5], s[8:9]
	s_or_b64 exec, exec, s[6:7]
	s_and_saveexec_b64 s[6:7], s[4:5]
	s_cbranch_execnz .LBB12_1111
	s_branch .LBB12_1112
.LBB12_3161:
	s_movk_i32 s4, 0x80
	v_cmp_eq_u16_sdwa s[12:13], v16, s4 src0_sel:BYTE_3 src1_sel:DWORD
	s_mov_b64 s[4:5], -1
                                        ; implicit-def: $sgpr10
	s_and_saveexec_b64 s[8:9], s[12:13]
; %bb.3162:
	s_mov_b32 s10, 0x7f800001
	s_xor_b64 s[4:5], exec, -1
; %bb.3163:
	s_or_b64 exec, exec, s[8:9]
	s_and_b64 s[4:5], s[4:5], exec
	s_or_saveexec_b64 s[6:7], s[6:7]
	v_mov_b32_e32 v10, s10
	s_xor_b64 exec, exec, s[6:7]
	s_cbranch_execz .LBB12_1114
.LBB12_3164:
	v_mov_b32_e32 v10, 0
	v_cmp_ne_u16_sdwa s[8:9], v16, v10 src0_sel:BYTE_3 src1_sel:DWORD
	s_andn2_b64 s[4:5], s[4:5], exec
	s_and_b64 s[8:9], s[8:9], exec
	s_or_b64 s[4:5], s[4:5], s[8:9]
	s_or_b64 exec, exec, s[6:7]
	s_and_saveexec_b64 s[6:7], s[4:5]
	s_cbranch_execnz .LBB12_1115
	s_branch .LBB12_1116
.LBB12_3165:
	s_movk_i32 s4, 0x80
	v_cmp_eq_u16_sdwa s[12:13], v12, s4 src0_sel:BYTE_3 src1_sel:DWORD
	s_mov_b64 s[4:5], -1
                                        ; implicit-def: $sgpr10
	s_and_saveexec_b64 s[8:9], s[12:13]
; %bb.3166:
	s_mov_b32 s10, 0x7f800001
	s_xor_b64 s[4:5], exec, -1
; %bb.3167:
	s_or_b64 exec, exec, s[8:9]
	s_and_b64 s[4:5], s[4:5], exec
	s_or_saveexec_b64 s[6:7], s[6:7]
	v_mov_b32_e32 v11, s10
	s_xor_b64 exec, exec, s[6:7]
	s_cbranch_execz .LBB12_1118
.LBB12_3168:
	v_mov_b32_e32 v11, 0
	v_cmp_ne_u16_sdwa s[8:9], v12, v11 src0_sel:BYTE_3 src1_sel:DWORD
	s_andn2_b64 s[4:5], s[4:5], exec
	s_and_b64 s[8:9], s[8:9], exec
	s_or_b64 s[4:5], s[4:5], s[8:9]
	s_or_b64 exec, exec, s[6:7]
	s_and_saveexec_b64 s[6:7], s[4:5]
	s_cbranch_execnz .LBB12_1119
	s_branch .LBB12_1120
.LBB12_3169:
	s_movk_i32 s4, 0x80
	v_cmp_eq_u16_sdwa s[12:13], v17, s4 src0_sel:BYTE_0 src1_sel:DWORD
	s_mov_b64 s[4:5], -1
                                        ; implicit-def: $sgpr10
	s_and_saveexec_b64 s[8:9], s[12:13]
; %bb.3170:
	s_mov_b32 s10, 0x7f800001
	s_xor_b64 s[4:5], exec, -1
; %bb.3171:
	s_or_b64 exec, exec, s[8:9]
	s_and_b64 s[4:5], s[4:5], exec
	s_or_saveexec_b64 s[6:7], s[6:7]
	v_mov_b32_e32 v10, s10
	s_xor_b64 exec, exec, s[6:7]
	s_cbranch_execz .LBB12_1122
.LBB12_3172:
	v_mov_b32_e32 v10, 0
	v_cmp_ne_u16_sdwa s[8:9], v17, v10 src0_sel:BYTE_0 src1_sel:DWORD
	s_andn2_b64 s[4:5], s[4:5], exec
	s_and_b64 s[8:9], s[8:9], exec
	s_or_b64 s[4:5], s[4:5], s[8:9]
	s_or_b64 exec, exec, s[6:7]
	s_and_saveexec_b64 s[6:7], s[4:5]
	s_cbranch_execnz .LBB12_1123
	s_branch .LBB12_1124
.LBB12_3173:
	s_movk_i32 s4, 0x80
	v_cmp_eq_u16_sdwa s[12:13], v13, s4 src0_sel:BYTE_0 src1_sel:DWORD
	s_mov_b64 s[4:5], -1
                                        ; implicit-def: $sgpr10
	s_and_saveexec_b64 s[8:9], s[12:13]
; %bb.3174:
	s_mov_b32 s10, 0x7f800001
	s_xor_b64 s[4:5], exec, -1
; %bb.3175:
	s_or_b64 exec, exec, s[8:9]
	s_and_b64 s[4:5], s[4:5], exec
	s_or_saveexec_b64 s[6:7], s[6:7]
	v_mov_b32_e32 v11, s10
	s_xor_b64 exec, exec, s[6:7]
	s_cbranch_execz .LBB12_1126
.LBB12_3176:
	v_mov_b32_e32 v11, 0
	v_cmp_ne_u16_sdwa s[8:9], v13, v11 src0_sel:BYTE_0 src1_sel:DWORD
	s_andn2_b64 s[4:5], s[4:5], exec
	s_and_b64 s[8:9], s[8:9], exec
	s_or_b64 s[4:5], s[4:5], s[8:9]
	s_or_b64 exec, exec, s[6:7]
	s_and_saveexec_b64 s[6:7], s[4:5]
	s_cbranch_execnz .LBB12_1127
	s_branch .LBB12_1128
.LBB12_3177:
	s_movk_i32 s4, 0x80
	v_cmp_eq_u16_sdwa s[12:13], v11, s4 src0_sel:BYTE_0 src1_sel:DWORD
	s_mov_b64 s[4:5], -1
                                        ; implicit-def: $sgpr10
	s_and_saveexec_b64 s[8:9], s[12:13]
; %bb.3178:
	s_mov_b32 s10, 0x7f800001
	s_xor_b64 s[4:5], exec, -1
; %bb.3179:
	s_or_b64 exec, exec, s[8:9]
	s_and_b64 s[4:5], s[4:5], exec
	s_or_saveexec_b64 s[6:7], s[6:7]
	v_mov_b32_e32 v10, s10
	s_xor_b64 exec, exec, s[6:7]
	s_cbranch_execz .LBB12_1130
.LBB12_3180:
	v_mov_b32_e32 v10, 0
	v_cmp_ne_u16_sdwa s[8:9], v11, v10 src0_sel:BYTE_0 src1_sel:DWORD
	s_andn2_b64 s[4:5], s[4:5], exec
	s_and_b64 s[8:9], s[8:9], exec
	s_or_b64 s[4:5], s[4:5], s[8:9]
	s_or_b64 exec, exec, s[6:7]
	s_and_saveexec_b64 s[6:7], s[4:5]
	s_cbranch_execnz .LBB12_1131
	s_branch .LBB12_1132
.LBB12_3181:
	s_movk_i32 s4, 0x80
	v_cmp_eq_u16_sdwa s[12:13], v11, s4 src0_sel:BYTE_0 src1_sel:DWORD
	s_mov_b64 s[4:5], -1
                                        ; implicit-def: $sgpr10
	s_and_saveexec_b64 s[8:9], s[12:13]
; %bb.3182:
	s_mov_b32 s10, 0x7f800001
	s_xor_b64 s[4:5], exec, -1
; %bb.3183:
	s_or_b64 exec, exec, s[8:9]
	s_and_b64 s[4:5], s[4:5], exec
	s_or_saveexec_b64 s[6:7], s[6:7]
	v_mov_b32_e32 v12, s10
	s_xor_b64 exec, exec, s[6:7]
	s_cbranch_execz .LBB12_1134
.LBB12_3184:
	v_mov_b32_e32 v12, 0
	v_cmp_ne_u16_sdwa s[8:9], v11, v12 src0_sel:BYTE_0 src1_sel:DWORD
	s_andn2_b64 s[4:5], s[4:5], exec
	s_and_b64 s[8:9], s[8:9], exec
	s_or_b64 s[4:5], s[4:5], s[8:9]
	s_or_b64 exec, exec, s[6:7]
	s_and_saveexec_b64 s[6:7], s[4:5]
	s_cbranch_execnz .LBB12_1135
	s_branch .LBB12_1136
.LBB12_3185:
	s_movk_i32 s4, 0x80
	v_cmp_eq_u16_e32 vcc, s4, v11
	s_mov_b64 s[4:5], -1
                                        ; implicit-def: $sgpr10
	s_and_saveexec_b64 s[8:9], vcc
; %bb.3186:
	s_mov_b32 s10, 0x7f800001
	s_xor_b64 s[4:5], exec, -1
; %bb.3187:
	s_or_b64 exec, exec, s[8:9]
	s_and_b64 s[4:5], s[4:5], exec
                                        ; implicit-def: $vgpr11
	s_or_saveexec_b64 s[6:7], s[6:7]
	v_mov_b32_e32 v10, s10
	s_xor_b64 exec, exec, s[6:7]
	s_cbranch_execz .LBB12_1138
.LBB12_3188:
	v_cmp_ne_u16_e32 vcc, 0, v11
	s_andn2_b64 s[4:5], s[4:5], exec
	s_and_b64 s[8:9], vcc, exec
	v_mov_b32_e32 v10, 0
	s_or_b64 s[4:5], s[4:5], s[8:9]
	s_or_b64 exec, exec, s[6:7]
	s_and_saveexec_b64 s[6:7], s[4:5]
	s_cbranch_execnz .LBB12_1139
	s_branch .LBB12_1140
.LBB12_3189:
	s_movk_i32 s4, 0x80
	v_cmp_eq_u16_e32 vcc, s4, v11
	s_mov_b64 s[4:5], -1
                                        ; implicit-def: $sgpr10
	s_and_saveexec_b64 s[8:9], vcc
; %bb.3190:
	s_mov_b32 s10, 0x7f800001
	s_xor_b64 s[4:5], exec, -1
; %bb.3191:
	s_or_b64 exec, exec, s[8:9]
	s_and_b64 s[4:5], s[4:5], exec
                                        ; implicit-def: $vgpr11
	s_or_saveexec_b64 s[6:7], s[6:7]
	v_mov_b32_e32 v12, s10
	s_xor_b64 exec, exec, s[6:7]
	s_cbranch_execz .LBB12_1142
.LBB12_3192:
	v_cmp_ne_u16_e32 vcc, 0, v11
	s_andn2_b64 s[4:5], s[4:5], exec
	s_and_b64 s[8:9], vcc, exec
	v_mov_b32_e32 v12, 0
	s_or_b64 s[4:5], s[4:5], s[8:9]
	s_or_b64 exec, exec, s[6:7]
	s_and_saveexec_b64 s[6:7], s[4:5]
	s_cbranch_execnz .LBB12_1143
	s_branch .LBB12_1144
.LBB12_3193:
	s_movk_i32 s4, 0x80
	v_cmp_eq_u16_sdwa s[12:13], v17, s4 src0_sel:BYTE_3 src1_sel:DWORD
	s_mov_b64 s[4:5], -1
                                        ; implicit-def: $sgpr10
	s_and_saveexec_b64 s[8:9], s[12:13]
; %bb.3194:
	s_mov_b32 s10, 0x7f800001
	s_xor_b64 s[4:5], exec, -1
; %bb.3195:
	s_or_b64 exec, exec, s[8:9]
	s_and_b64 s[4:5], s[4:5], exec
	s_or_saveexec_b64 s[6:7], s[6:7]
	v_mov_b32_e32 v10, s10
	s_xor_b64 exec, exec, s[6:7]
	s_cbranch_execz .LBB12_1146
.LBB12_3196:
	v_mov_b32_e32 v10, 0
	v_cmp_ne_u16_sdwa s[8:9], v17, v10 src0_sel:BYTE_3 src1_sel:DWORD
	s_andn2_b64 s[4:5], s[4:5], exec
	s_and_b64 s[8:9], s[8:9], exec
	s_or_b64 s[4:5], s[4:5], s[8:9]
	s_or_b64 exec, exec, s[6:7]
	s_and_saveexec_b64 s[6:7], s[4:5]
	s_cbranch_execnz .LBB12_1147
	s_branch .LBB12_1148
.LBB12_3197:
	s_movk_i32 s4, 0x80
	v_cmp_eq_u16_sdwa s[12:13], v13, s4 src0_sel:BYTE_3 src1_sel:DWORD
	s_mov_b64 s[4:5], -1
                                        ; implicit-def: $sgpr10
	s_and_saveexec_b64 s[8:9], s[12:13]
; %bb.3198:
	s_mov_b32 s10, 0x7f800001
	s_xor_b64 s[4:5], exec, -1
; %bb.3199:
	s_or_b64 exec, exec, s[8:9]
	s_and_b64 s[4:5], s[4:5], exec
	s_or_saveexec_b64 s[6:7], s[6:7]
	v_mov_b32_e32 v11, s10
	s_xor_b64 exec, exec, s[6:7]
	s_cbranch_execz .LBB12_1150
.LBB12_3200:
	v_mov_b32_e32 v11, 0
	v_cmp_ne_u16_sdwa s[8:9], v13, v11 src0_sel:BYTE_3 src1_sel:DWORD
	s_andn2_b64 s[4:5], s[4:5], exec
	s_and_b64 s[8:9], s[8:9], exec
	s_or_b64 s[4:5], s[4:5], s[8:9]
	s_or_b64 exec, exec, s[6:7]
	s_and_saveexec_b64 s[6:7], s[4:5]
	s_cbranch_execnz .LBB12_1151
	s_branch .LBB12_1152
.LBB12_3201:
	s_movk_i32 s4, 0x80
	v_cmp_eq_u16_sdwa s[12:13], v6, s4 src0_sel:BYTE_0 src1_sel:DWORD
	s_mov_b64 s[4:5], -1
                                        ; implicit-def: $sgpr10
	s_and_saveexec_b64 s[8:9], s[12:13]
; %bb.3202:
	s_mov_b32 s10, 0x7f800001
	s_xor_b64 s[4:5], exec, -1
; %bb.3203:
	s_or_b64 exec, exec, s[8:9]
	s_and_b64 s[4:5], s[4:5], exec
	s_or_saveexec_b64 s[6:7], s[6:7]
	v_mov_b32_e32 v10, s10
	s_xor_b64 exec, exec, s[6:7]
	s_cbranch_execz .LBB12_1154
.LBB12_3204:
	v_mov_b32_e32 v10, 0
	v_cmp_ne_u16_sdwa s[8:9], v6, v10 src0_sel:BYTE_0 src1_sel:DWORD
	s_andn2_b64 s[4:5], s[4:5], exec
	s_and_b64 s[8:9], s[8:9], exec
	s_or_b64 s[4:5], s[4:5], s[8:9]
	s_or_b64 exec, exec, s[6:7]
	s_and_saveexec_b64 s[6:7], s[4:5]
	s_cbranch_execnz .LBB12_1155
	s_branch .LBB12_1156
.LBB12_3205:
	s_movk_i32 s4, 0x80
	v_cmp_eq_u16_sdwa s[12:13], v2, s4 src0_sel:BYTE_0 src1_sel:DWORD
	s_mov_b64 s[4:5], -1
                                        ; implicit-def: $sgpr10
	s_and_saveexec_b64 s[8:9], s[12:13]
; %bb.3206:
	s_mov_b32 s10, 0x7f800001
	s_xor_b64 s[4:5], exec, -1
; %bb.3207:
	s_or_b64 exec, exec, s[8:9]
	s_and_b64 s[4:5], s[4:5], exec
	s_or_saveexec_b64 s[6:7], s[6:7]
	v_mov_b32_e32 v11, s10
	s_xor_b64 exec, exec, s[6:7]
	s_cbranch_execz .LBB12_1158
.LBB12_3208:
	v_mov_b32_e32 v11, 0
	v_cmp_ne_u16_sdwa s[8:9], v2, v11 src0_sel:BYTE_0 src1_sel:DWORD
	s_andn2_b64 s[4:5], s[4:5], exec
	s_and_b64 s[8:9], s[8:9], exec
	s_or_b64 s[4:5], s[4:5], s[8:9]
	s_or_b64 exec, exec, s[6:7]
	s_and_saveexec_b64 s[6:7], s[4:5]
	s_cbranch_execnz .LBB12_1159
	s_branch .LBB12_1160
.LBB12_3209:
	s_movk_i32 s4, 0x80
	v_cmp_eq_u16_sdwa s[12:13], v11, s4 src0_sel:BYTE_0 src1_sel:DWORD
	s_mov_b64 s[4:5], -1
                                        ; implicit-def: $sgpr10
	s_and_saveexec_b64 s[8:9], s[12:13]
; %bb.3210:
	s_mov_b32 s10, 0x7f800001
	s_xor_b64 s[4:5], exec, -1
; %bb.3211:
	s_or_b64 exec, exec, s[8:9]
	s_and_b64 s[4:5], s[4:5], exec
	s_or_saveexec_b64 s[6:7], s[6:7]
	v_mov_b32_e32 v10, s10
	s_xor_b64 exec, exec, s[6:7]
	s_cbranch_execz .LBB12_1162
.LBB12_3212:
	v_mov_b32_e32 v10, 0
	v_cmp_ne_u16_sdwa s[8:9], v11, v10 src0_sel:BYTE_0 src1_sel:DWORD
	s_andn2_b64 s[4:5], s[4:5], exec
	s_and_b64 s[8:9], s[8:9], exec
	s_or_b64 s[4:5], s[4:5], s[8:9]
	s_or_b64 exec, exec, s[6:7]
	s_and_saveexec_b64 s[6:7], s[4:5]
	s_cbranch_execnz .LBB12_1163
	s_branch .LBB12_1164
.LBB12_3213:
	s_movk_i32 s4, 0x80
	v_cmp_eq_u16_sdwa s[12:13], v11, s4 src0_sel:BYTE_0 src1_sel:DWORD
	s_mov_b64 s[4:5], -1
                                        ; implicit-def: $sgpr10
	s_and_saveexec_b64 s[8:9], s[12:13]
; %bb.3214:
	s_mov_b32 s10, 0x7f800001
	s_xor_b64 s[4:5], exec, -1
; %bb.3215:
	s_or_b64 exec, exec, s[8:9]
	s_and_b64 s[4:5], s[4:5], exec
	s_or_saveexec_b64 s[6:7], s[6:7]
	v_mov_b32_e32 v12, s10
	s_xor_b64 exec, exec, s[6:7]
	s_cbranch_execz .LBB12_1166
.LBB12_3216:
	v_mov_b32_e32 v12, 0
	v_cmp_ne_u16_sdwa s[8:9], v11, v12 src0_sel:BYTE_0 src1_sel:DWORD
	s_andn2_b64 s[4:5], s[4:5], exec
	s_and_b64 s[8:9], s[8:9], exec
	s_or_b64 s[4:5], s[4:5], s[8:9]
	s_or_b64 exec, exec, s[6:7]
	s_and_saveexec_b64 s[6:7], s[4:5]
	s_cbranch_execnz .LBB12_1167
	s_branch .LBB12_1168
.LBB12_3217:
	s_movk_i32 s4, 0x80
	v_cmp_eq_u16_e32 vcc, s4, v11
	s_mov_b64 s[4:5], -1
                                        ; implicit-def: $sgpr10
	s_and_saveexec_b64 s[8:9], vcc
; %bb.3218:
	s_mov_b32 s10, 0x7f800001
	s_xor_b64 s[4:5], exec, -1
; %bb.3219:
	s_or_b64 exec, exec, s[8:9]
	s_and_b64 s[4:5], s[4:5], exec
                                        ; implicit-def: $vgpr11
	s_or_saveexec_b64 s[6:7], s[6:7]
	v_mov_b32_e32 v10, s10
	s_xor_b64 exec, exec, s[6:7]
	s_cbranch_execz .LBB12_1170
.LBB12_3220:
	v_cmp_ne_u16_e32 vcc, 0, v11
	s_andn2_b64 s[4:5], s[4:5], exec
	s_and_b64 s[8:9], vcc, exec
	v_mov_b32_e32 v10, 0
	s_or_b64 s[4:5], s[4:5], s[8:9]
	s_or_b64 exec, exec, s[6:7]
	s_and_saveexec_b64 s[6:7], s[4:5]
	s_cbranch_execnz .LBB12_1171
	s_branch .LBB12_1172
.LBB12_3221:
	s_movk_i32 s4, 0x80
	v_cmp_eq_u16_e32 vcc, s4, v11
	s_mov_b64 s[4:5], -1
                                        ; implicit-def: $sgpr10
	s_and_saveexec_b64 s[8:9], vcc
; %bb.3222:
	s_mov_b32 s10, 0x7f800001
	s_xor_b64 s[4:5], exec, -1
; %bb.3223:
	s_or_b64 exec, exec, s[8:9]
	s_and_b64 s[4:5], s[4:5], exec
                                        ; implicit-def: $vgpr11
	s_or_saveexec_b64 s[6:7], s[6:7]
	v_mov_b32_e32 v12, s10
	s_xor_b64 exec, exec, s[6:7]
	s_cbranch_execz .LBB12_1174
.LBB12_3224:
	v_cmp_ne_u16_e32 vcc, 0, v11
	s_andn2_b64 s[4:5], s[4:5], exec
	s_and_b64 s[8:9], vcc, exec
	v_mov_b32_e32 v12, 0
	s_or_b64 s[4:5], s[4:5], s[8:9]
	s_or_b64 exec, exec, s[6:7]
	s_and_saveexec_b64 s[6:7], s[4:5]
	s_cbranch_execnz .LBB12_1175
	s_branch .LBB12_1176
.LBB12_3225:
	s_movk_i32 s4, 0x80
	v_cmp_eq_u16_sdwa s[12:13], v6, s4 src0_sel:BYTE_3 src1_sel:DWORD
	s_mov_b64 s[4:5], -1
                                        ; implicit-def: $sgpr10
	s_and_saveexec_b64 s[8:9], s[12:13]
; %bb.3226:
	s_mov_b32 s10, 0x7f800001
	s_xor_b64 s[4:5], exec, -1
; %bb.3227:
	s_or_b64 exec, exec, s[8:9]
	s_and_b64 s[4:5], s[4:5], exec
	s_or_saveexec_b64 s[6:7], s[6:7]
	v_mov_b32_e32 v10, s10
	s_xor_b64 exec, exec, s[6:7]
	s_cbranch_execz .LBB12_1178
.LBB12_3228:
	v_mov_b32_e32 v10, 0
	v_cmp_ne_u16_sdwa s[8:9], v6, v10 src0_sel:BYTE_3 src1_sel:DWORD
	s_andn2_b64 s[4:5], s[4:5], exec
	s_and_b64 s[8:9], s[8:9], exec
	s_or_b64 s[4:5], s[4:5], s[8:9]
	s_or_b64 exec, exec, s[6:7]
	s_and_saveexec_b64 s[6:7], s[4:5]
	s_cbranch_execnz .LBB12_1179
	s_branch .LBB12_1180
.LBB12_3229:
	s_movk_i32 s4, 0x80
	v_cmp_eq_u16_sdwa s[12:13], v2, s4 src0_sel:BYTE_3 src1_sel:DWORD
	s_mov_b64 s[4:5], -1
                                        ; implicit-def: $sgpr10
	s_and_saveexec_b64 s[8:9], s[12:13]
; %bb.3230:
	s_mov_b32 s10, 0x7f800001
	s_xor_b64 s[4:5], exec, -1
; %bb.3231:
	s_or_b64 exec, exec, s[8:9]
	s_and_b64 s[4:5], s[4:5], exec
	s_or_saveexec_b64 s[6:7], s[6:7]
	v_mov_b32_e32 v6, s10
	s_xor_b64 exec, exec, s[6:7]
	s_cbranch_execz .LBB12_1182
.LBB12_3232:
	v_mov_b32_e32 v6, 0
	v_cmp_ne_u16_sdwa s[8:9], v2, v6 src0_sel:BYTE_3 src1_sel:DWORD
	s_andn2_b64 s[4:5], s[4:5], exec
	s_and_b64 s[8:9], s[8:9], exec
	s_or_b64 s[4:5], s[4:5], s[8:9]
	s_or_b64 exec, exec, s[6:7]
	s_and_saveexec_b64 s[6:7], s[4:5]
	s_cbranch_execnz .LBB12_1183
	s_branch .LBB12_1184
.LBB12_3233:
	s_movk_i32 s4, 0x80
	v_cmp_eq_u16_sdwa s[12:13], v7, s4 src0_sel:BYTE_0 src1_sel:DWORD
	s_mov_b64 s[4:5], -1
                                        ; implicit-def: $sgpr10
	s_and_saveexec_b64 s[8:9], s[12:13]
; %bb.3234:
	s_mov_b32 s10, 0x7f800001
	s_xor_b64 s[4:5], exec, -1
; %bb.3235:
	s_or_b64 exec, exec, s[8:9]
	s_and_b64 s[4:5], s[4:5], exec
	s_or_saveexec_b64 s[6:7], s[6:7]
	v_mov_b32_e32 v2, s10
	s_xor_b64 exec, exec, s[6:7]
	s_cbranch_execz .LBB12_1186
.LBB12_3236:
	v_mov_b32_e32 v2, 0
	v_cmp_ne_u16_sdwa s[8:9], v7, v2 src0_sel:BYTE_0 src1_sel:DWORD
	s_andn2_b64 s[4:5], s[4:5], exec
	s_and_b64 s[8:9], s[8:9], exec
	s_or_b64 s[4:5], s[4:5], s[8:9]
	s_or_b64 exec, exec, s[6:7]
	s_and_saveexec_b64 s[6:7], s[4:5]
	s_cbranch_execnz .LBB12_1187
	s_branch .LBB12_1188
.LBB12_3237:
	s_movk_i32 s4, 0x80
	v_cmp_eq_u16_sdwa s[12:13], v3, s4 src0_sel:BYTE_0 src1_sel:DWORD
	s_mov_b64 s[4:5], -1
                                        ; implicit-def: $sgpr10
	s_and_saveexec_b64 s[8:9], s[12:13]
; %bb.3238:
	s_mov_b32 s10, 0x7f800001
	s_xor_b64 s[4:5], exec, -1
; %bb.3239:
	s_or_b64 exec, exec, s[8:9]
	s_and_b64 s[4:5], s[4:5], exec
	s_or_saveexec_b64 s[6:7], s[6:7]
	v_mov_b32_e32 v6, s10
	s_xor_b64 exec, exec, s[6:7]
	s_cbranch_execz .LBB12_1190
.LBB12_3240:
	v_mov_b32_e32 v6, 0
	v_cmp_ne_u16_sdwa s[8:9], v3, v6 src0_sel:BYTE_0 src1_sel:DWORD
	s_andn2_b64 s[4:5], s[4:5], exec
	s_and_b64 s[8:9], s[8:9], exec
	s_or_b64 s[4:5], s[4:5], s[8:9]
	s_or_b64 exec, exec, s[6:7]
	s_and_saveexec_b64 s[6:7], s[4:5]
	s_cbranch_execnz .LBB12_1191
	s_branch .LBB12_1192
.LBB12_3241:
	s_movk_i32 s4, 0x80
	v_cmp_eq_u16_sdwa s[12:13], v6, s4 src0_sel:BYTE_0 src1_sel:DWORD
	s_mov_b64 s[4:5], -1
                                        ; implicit-def: $sgpr10
	s_and_saveexec_b64 s[8:9], s[12:13]
; %bb.3242:
	s_mov_b32 s10, 0x7f800001
	s_xor_b64 s[4:5], exec, -1
; %bb.3243:
	s_or_b64 exec, exec, s[8:9]
	s_and_b64 s[4:5], s[4:5], exec
	s_or_saveexec_b64 s[6:7], s[6:7]
	v_mov_b32_e32 v2, s10
	s_xor_b64 exec, exec, s[6:7]
	s_cbranch_execz .LBB12_1194
.LBB12_3244:
	v_mov_b32_e32 v2, 0
	v_cmp_ne_u16_sdwa s[8:9], v6, v2 src0_sel:BYTE_0 src1_sel:DWORD
	s_andn2_b64 s[4:5], s[4:5], exec
	s_and_b64 s[8:9], s[8:9], exec
	s_or_b64 s[4:5], s[4:5], s[8:9]
	s_or_b64 exec, exec, s[6:7]
	s_and_saveexec_b64 s[6:7], s[4:5]
	s_cbranch_execnz .LBB12_1195
	s_branch .LBB12_1196
.LBB12_3245:
	s_movk_i32 s4, 0x80
	v_cmp_eq_u16_sdwa s[12:13], v6, s4 src0_sel:BYTE_0 src1_sel:DWORD
	s_mov_b64 s[4:5], -1
                                        ; implicit-def: $sgpr10
	s_and_saveexec_b64 s[8:9], s[12:13]
; %bb.3246:
	s_mov_b32 s10, 0x7f800001
	s_xor_b64 s[4:5], exec, -1
; %bb.3247:
	s_or_b64 exec, exec, s[8:9]
	s_and_b64 s[4:5], s[4:5], exec
	s_or_saveexec_b64 s[6:7], s[6:7]
	v_mov_b32_e32 v10, s10
	s_xor_b64 exec, exec, s[6:7]
	s_cbranch_execz .LBB12_1198
.LBB12_3248:
	v_mov_b32_e32 v10, 0
	v_cmp_ne_u16_sdwa s[8:9], v6, v10 src0_sel:BYTE_0 src1_sel:DWORD
	s_andn2_b64 s[4:5], s[4:5], exec
	s_and_b64 s[8:9], s[8:9], exec
	s_or_b64 s[4:5], s[4:5], s[8:9]
	s_or_b64 exec, exec, s[6:7]
	s_and_saveexec_b64 s[6:7], s[4:5]
	s_cbranch_execnz .LBB12_1199
	s_branch .LBB12_1200
.LBB12_3249:
	s_movk_i32 s4, 0x80
	v_cmp_eq_u16_e32 vcc, s4, v6
	s_mov_b64 s[4:5], -1
                                        ; implicit-def: $sgpr10
	s_and_saveexec_b64 s[8:9], vcc
; %bb.3250:
	s_mov_b32 s10, 0x7f800001
	s_xor_b64 s[4:5], exec, -1
; %bb.3251:
	s_or_b64 exec, exec, s[8:9]
	s_and_b64 s[4:5], s[4:5], exec
                                        ; implicit-def: $vgpr6
	s_or_saveexec_b64 s[6:7], s[6:7]
	v_mov_b32_e32 v2, s10
	s_xor_b64 exec, exec, s[6:7]
	s_cbranch_execz .LBB12_1202
.LBB12_3252:
	v_cmp_ne_u16_e32 vcc, 0, v6
	s_andn2_b64 s[4:5], s[4:5], exec
	s_and_b64 s[8:9], vcc, exec
	v_mov_b32_e32 v2, 0
	s_or_b64 s[4:5], s[4:5], s[8:9]
	s_or_b64 exec, exec, s[6:7]
	s_and_saveexec_b64 s[6:7], s[4:5]
	s_cbranch_execnz .LBB12_1203
	s_branch .LBB12_1204
.LBB12_3253:
	s_movk_i32 s4, 0x80
	v_cmp_eq_u16_e32 vcc, s4, v6
	s_mov_b64 s[4:5], -1
                                        ; implicit-def: $sgpr10
	s_and_saveexec_b64 s[8:9], vcc
; %bb.3254:
	s_mov_b32 s10, 0x7f800001
	s_xor_b64 s[4:5], exec, -1
; %bb.3255:
	s_or_b64 exec, exec, s[8:9]
	s_and_b64 s[4:5], s[4:5], exec
                                        ; implicit-def: $vgpr6
	s_or_saveexec_b64 s[6:7], s[6:7]
	v_mov_b32_e32 v10, s10
	s_xor_b64 exec, exec, s[6:7]
	s_cbranch_execz .LBB12_1206
.LBB12_3256:
	v_cmp_ne_u16_e32 vcc, 0, v6
	s_andn2_b64 s[4:5], s[4:5], exec
	s_and_b64 s[8:9], vcc, exec
	v_mov_b32_e32 v10, 0
	s_or_b64 s[4:5], s[4:5], s[8:9]
	s_or_b64 exec, exec, s[6:7]
	s_and_saveexec_b64 s[6:7], s[4:5]
	s_cbranch_execnz .LBB12_1207
	s_branch .LBB12_1208
.LBB12_3257:
	s_movk_i32 s4, 0x80
	v_cmp_eq_u16_sdwa s[12:13], v7, s4 src0_sel:BYTE_3 src1_sel:DWORD
	s_mov_b64 s[4:5], -1
                                        ; implicit-def: $sgpr10
	s_and_saveexec_b64 s[8:9], s[12:13]
; %bb.3258:
	s_mov_b32 s10, 0x7f800001
	s_xor_b64 s[4:5], exec, -1
; %bb.3259:
	s_or_b64 exec, exec, s[8:9]
	s_and_b64 s[4:5], s[4:5], exec
	s_or_saveexec_b64 s[6:7], s[6:7]
	v_mov_b32_e32 v2, s10
	s_xor_b64 exec, exec, s[6:7]
	s_cbranch_execz .LBB12_1210
.LBB12_3260:
	v_mov_b32_e32 v2, 0
	v_cmp_ne_u16_sdwa s[8:9], v7, v2 src0_sel:BYTE_3 src1_sel:DWORD
	s_andn2_b64 s[4:5], s[4:5], exec
	s_and_b64 s[8:9], s[8:9], exec
	s_or_b64 s[4:5], s[4:5], s[8:9]
	s_or_b64 exec, exec, s[6:7]
	s_and_saveexec_b64 s[6:7], s[4:5]
	s_cbranch_execnz .LBB12_1211
	s_branch .LBB12_1212
.LBB12_3261:
	s_movk_i32 s4, 0x80
	v_cmp_eq_u16_sdwa s[12:13], v3, s4 src0_sel:BYTE_3 src1_sel:DWORD
	s_mov_b64 s[4:5], -1
                                        ; implicit-def: $sgpr10
	s_and_saveexec_b64 s[8:9], s[12:13]
; %bb.3262:
	s_mov_b32 s10, 0x7f800001
	s_xor_b64 s[4:5], exec, -1
; %bb.3263:
	s_or_b64 exec, exec, s[8:9]
	s_and_b64 s[4:5], s[4:5], exec
	s_or_saveexec_b64 s[6:7], s[6:7]
	v_mov_b32_e32 v6, s10
	s_xor_b64 exec, exec, s[6:7]
	s_cbranch_execz .LBB12_1214
.LBB12_3264:
	v_mov_b32_e32 v6, 0
	v_cmp_ne_u16_sdwa s[8:9], v3, v6 src0_sel:BYTE_3 src1_sel:DWORD
	s_andn2_b64 s[4:5], s[4:5], exec
	s_and_b64 s[8:9], s[8:9], exec
	s_or_b64 s[4:5], s[4:5], s[8:9]
	s_or_b64 exec, exec, s[6:7]
	s_and_saveexec_b64 s[6:7], s[4:5]
	s_cbranch_execnz .LBB12_1215
	s_branch .LBB12_1216
.LBB12_3265:
	s_movk_i32 s4, 0x80
	v_cmp_eq_u16_sdwa s[12:13], v8, s4 src0_sel:BYTE_0 src1_sel:DWORD
	s_mov_b64 s[4:5], -1
                                        ; implicit-def: $sgpr10
	s_and_saveexec_b64 s[8:9], s[12:13]
; %bb.3266:
	s_mov_b32 s10, 0x7f800001
	s_xor_b64 s[4:5], exec, -1
; %bb.3267:
	s_or_b64 exec, exec, s[8:9]
	s_and_b64 s[4:5], s[4:5], exec
	s_or_saveexec_b64 s[6:7], s[6:7]
	v_mov_b32_e32 v2, s10
	s_xor_b64 exec, exec, s[6:7]
	s_cbranch_execz .LBB12_1218
.LBB12_3268:
	v_mov_b32_e32 v2, 0
	v_cmp_ne_u16_sdwa s[8:9], v8, v2 src0_sel:BYTE_0 src1_sel:DWORD
	s_andn2_b64 s[4:5], s[4:5], exec
	s_and_b64 s[8:9], s[8:9], exec
	s_or_b64 s[4:5], s[4:5], s[8:9]
	s_or_b64 exec, exec, s[6:7]
	s_and_saveexec_b64 s[6:7], s[4:5]
	s_cbranch_execnz .LBB12_1219
	s_branch .LBB12_1220
.LBB12_3269:
	s_movk_i32 s4, 0x80
	v_cmp_eq_u16_sdwa s[12:13], v4, s4 src0_sel:BYTE_0 src1_sel:DWORD
	s_mov_b64 s[4:5], -1
                                        ; implicit-def: $sgpr10
	s_and_saveexec_b64 s[8:9], s[12:13]
; %bb.3270:
	s_mov_b32 s10, 0x7f800001
	s_xor_b64 s[4:5], exec, -1
; %bb.3271:
	s_or_b64 exec, exec, s[8:9]
	s_and_b64 s[4:5], s[4:5], exec
	s_or_saveexec_b64 s[6:7], s[6:7]
	v_mov_b32_e32 v3, s10
	s_xor_b64 exec, exec, s[6:7]
	s_cbranch_execz .LBB12_1222
.LBB12_3272:
	v_mov_b32_e32 v3, 0
	v_cmp_ne_u16_sdwa s[8:9], v4, v3 src0_sel:BYTE_0 src1_sel:DWORD
	s_andn2_b64 s[4:5], s[4:5], exec
	s_and_b64 s[8:9], s[8:9], exec
	s_or_b64 s[4:5], s[4:5], s[8:9]
	s_or_b64 exec, exec, s[6:7]
	s_and_saveexec_b64 s[6:7], s[4:5]
	s_cbranch_execnz .LBB12_1223
	s_branch .LBB12_1224
.LBB12_3273:
	s_movk_i32 s4, 0x80
	v_cmp_eq_u16_sdwa s[12:13], v3, s4 src0_sel:BYTE_0 src1_sel:DWORD
	s_mov_b64 s[4:5], -1
                                        ; implicit-def: $sgpr10
	s_and_saveexec_b64 s[8:9], s[12:13]
; %bb.3274:
	s_mov_b32 s10, 0x7f800001
	s_xor_b64 s[4:5], exec, -1
; %bb.3275:
	s_or_b64 exec, exec, s[8:9]
	s_and_b64 s[4:5], s[4:5], exec
	s_or_saveexec_b64 s[6:7], s[6:7]
	v_mov_b32_e32 v2, s10
	s_xor_b64 exec, exec, s[6:7]
	s_cbranch_execz .LBB12_1226
.LBB12_3276:
	v_mov_b32_e32 v2, 0
	v_cmp_ne_u16_sdwa s[8:9], v3, v2 src0_sel:BYTE_0 src1_sel:DWORD
	s_andn2_b64 s[4:5], s[4:5], exec
	s_and_b64 s[8:9], s[8:9], exec
	s_or_b64 s[4:5], s[4:5], s[8:9]
	s_or_b64 exec, exec, s[6:7]
	s_and_saveexec_b64 s[6:7], s[4:5]
	s_cbranch_execnz .LBB12_1227
	s_branch .LBB12_1228
.LBB12_3277:
	s_movk_i32 s4, 0x80
	v_cmp_eq_u16_sdwa s[12:13], v3, s4 src0_sel:BYTE_0 src1_sel:DWORD
	s_mov_b64 s[4:5], -1
                                        ; implicit-def: $sgpr10
	s_and_saveexec_b64 s[8:9], s[12:13]
; %bb.3278:
	s_mov_b32 s10, 0x7f800001
	s_xor_b64 s[4:5], exec, -1
; %bb.3279:
	s_or_b64 exec, exec, s[8:9]
	s_and_b64 s[4:5], s[4:5], exec
	s_or_saveexec_b64 s[6:7], s[6:7]
	v_mov_b32_e32 v6, s10
	s_xor_b64 exec, exec, s[6:7]
	s_cbranch_execz .LBB12_1230
.LBB12_3280:
	v_mov_b32_e32 v6, 0
	v_cmp_ne_u16_sdwa s[8:9], v3, v6 src0_sel:BYTE_0 src1_sel:DWORD
	s_andn2_b64 s[4:5], s[4:5], exec
	s_and_b64 s[8:9], s[8:9], exec
	s_or_b64 s[4:5], s[4:5], s[8:9]
	s_or_b64 exec, exec, s[6:7]
	s_and_saveexec_b64 s[6:7], s[4:5]
	s_cbranch_execnz .LBB12_1231
	s_branch .LBB12_1232
.LBB12_3281:
	s_movk_i32 s4, 0x80
	v_cmp_eq_u16_e32 vcc, s4, v3
	s_mov_b64 s[4:5], -1
                                        ; implicit-def: $sgpr10
	s_and_saveexec_b64 s[8:9], vcc
; %bb.3282:
	s_mov_b32 s10, 0x7f800001
	s_xor_b64 s[4:5], exec, -1
; %bb.3283:
	s_or_b64 exec, exec, s[8:9]
	s_and_b64 s[4:5], s[4:5], exec
                                        ; implicit-def: $vgpr3
	s_or_saveexec_b64 s[6:7], s[6:7]
	v_mov_b32_e32 v2, s10
	s_xor_b64 exec, exec, s[6:7]
	s_cbranch_execz .LBB12_1234
.LBB12_3284:
	v_cmp_ne_u16_e32 vcc, 0, v3
	s_andn2_b64 s[4:5], s[4:5], exec
	s_and_b64 s[8:9], vcc, exec
	v_mov_b32_e32 v2, 0
	s_or_b64 s[4:5], s[4:5], s[8:9]
	s_or_b64 exec, exec, s[6:7]
	s_and_saveexec_b64 s[6:7], s[4:5]
	s_cbranch_execnz .LBB12_1235
	s_branch .LBB12_1236
.LBB12_3285:
	s_movk_i32 s4, 0x80
	v_cmp_eq_u16_e32 vcc, s4, v3
	s_mov_b64 s[4:5], -1
                                        ; implicit-def: $sgpr10
	s_and_saveexec_b64 s[8:9], vcc
; %bb.3286:
	s_mov_b32 s10, 0x7f800001
	s_xor_b64 s[4:5], exec, -1
; %bb.3287:
	s_or_b64 exec, exec, s[8:9]
	s_and_b64 s[4:5], s[4:5], exec
                                        ; implicit-def: $vgpr3
	s_or_saveexec_b64 s[6:7], s[6:7]
	v_mov_b32_e32 v6, s10
	s_xor_b64 exec, exec, s[6:7]
	s_cbranch_execz .LBB12_1238
.LBB12_3288:
	v_cmp_ne_u16_e32 vcc, 0, v3
	s_andn2_b64 s[4:5], s[4:5], exec
	s_and_b64 s[8:9], vcc, exec
	v_mov_b32_e32 v6, 0
	s_or_b64 s[4:5], s[4:5], s[8:9]
	s_or_b64 exec, exec, s[6:7]
	s_and_saveexec_b64 s[6:7], s[4:5]
	s_cbranch_execnz .LBB12_1239
	s_branch .LBB12_1240
.LBB12_3289:
	s_movk_i32 s4, 0x80
	v_cmp_eq_u16_sdwa s[12:13], v8, s4 src0_sel:BYTE_3 src1_sel:DWORD
	s_mov_b64 s[4:5], -1
                                        ; implicit-def: $sgpr10
	s_and_saveexec_b64 s[8:9], s[12:13]
; %bb.3290:
	s_mov_b32 s10, 0x7f800001
	s_xor_b64 s[4:5], exec, -1
; %bb.3291:
	s_or_b64 exec, exec, s[8:9]
	s_and_b64 s[4:5], s[4:5], exec
	s_or_saveexec_b64 s[6:7], s[6:7]
	v_mov_b32_e32 v2, s10
	s_xor_b64 exec, exec, s[6:7]
	s_cbranch_execz .LBB12_1242
.LBB12_3292:
	v_mov_b32_e32 v2, 0
	v_cmp_ne_u16_sdwa s[8:9], v8, v2 src0_sel:BYTE_3 src1_sel:DWORD
	s_andn2_b64 s[4:5], s[4:5], exec
	s_and_b64 s[8:9], s[8:9], exec
	s_or_b64 s[4:5], s[4:5], s[8:9]
	s_or_b64 exec, exec, s[6:7]
	s_and_saveexec_b64 s[6:7], s[4:5]
	s_cbranch_execnz .LBB12_1243
	s_branch .LBB12_1244
.LBB12_3293:
	s_movk_i32 s4, 0x80
	v_cmp_eq_u16_sdwa s[12:13], v4, s4 src0_sel:BYTE_3 src1_sel:DWORD
	s_mov_b64 s[4:5], -1
                                        ; implicit-def: $sgpr10
	s_and_saveexec_b64 s[8:9], s[12:13]
; %bb.3294:
	s_mov_b32 s10, 0x7f800001
	s_xor_b64 s[4:5], exec, -1
; %bb.3295:
	s_or_b64 exec, exec, s[8:9]
	s_and_b64 s[4:5], s[4:5], exec
	s_or_saveexec_b64 s[6:7], s[6:7]
	v_mov_b32_e32 v3, s10
	s_xor_b64 exec, exec, s[6:7]
	s_cbranch_execz .LBB12_1246
.LBB12_3296:
	v_mov_b32_e32 v3, 0
	v_cmp_ne_u16_sdwa s[8:9], v4, v3 src0_sel:BYTE_3 src1_sel:DWORD
	s_andn2_b64 s[4:5], s[4:5], exec
	s_and_b64 s[8:9], s[8:9], exec
	s_or_b64 s[4:5], s[4:5], s[8:9]
	s_or_b64 exec, exec, s[6:7]
	s_and_saveexec_b64 s[6:7], s[4:5]
	s_cbranch_execnz .LBB12_1247
	s_branch .LBB12_1248
.LBB12_3297:
	s_movk_i32 s4, 0x80
	v_cmp_eq_u16_sdwa s[12:13], v9, s4 src0_sel:BYTE_0 src1_sel:DWORD
	s_mov_b64 s[4:5], -1
                                        ; implicit-def: $sgpr10
	s_and_saveexec_b64 s[8:9], s[12:13]
; %bb.3298:
	s_mov_b32 s10, 0x7f800001
	s_xor_b64 s[4:5], exec, -1
; %bb.3299:
	s_or_b64 exec, exec, s[8:9]
	s_and_b64 s[4:5], s[4:5], exec
	s_or_saveexec_b64 s[6:7], s[6:7]
	v_mov_b32_e32 v2, s10
	s_xor_b64 exec, exec, s[6:7]
	s_cbranch_execz .LBB12_1250
.LBB12_3300:
	v_mov_b32_e32 v2, 0
	v_cmp_ne_u16_sdwa s[8:9], v9, v2 src0_sel:BYTE_0 src1_sel:DWORD
	s_andn2_b64 s[4:5], s[4:5], exec
	s_and_b64 s[8:9], s[8:9], exec
	s_or_b64 s[4:5], s[4:5], s[8:9]
	s_or_b64 exec, exec, s[6:7]
	s_and_saveexec_b64 s[6:7], s[4:5]
	s_cbranch_execnz .LBB12_1251
	s_branch .LBB12_1252
.LBB12_3301:
	s_movk_i32 s4, 0x80
	v_cmp_eq_u16_sdwa s[12:13], v5, s4 src0_sel:BYTE_0 src1_sel:DWORD
	s_mov_b64 s[4:5], -1
                                        ; implicit-def: $sgpr10
	s_and_saveexec_b64 s[8:9], s[12:13]
; %bb.3302:
	s_mov_b32 s10, 0x7f800001
	s_xor_b64 s[4:5], exec, -1
; %bb.3303:
	s_or_b64 exec, exec, s[8:9]
	s_and_b64 s[4:5], s[4:5], exec
	s_or_saveexec_b64 s[6:7], s[6:7]
	v_mov_b32_e32 v3, s10
	s_xor_b64 exec, exec, s[6:7]
	s_cbranch_execz .LBB12_1254
.LBB12_3304:
	v_mov_b32_e32 v3, 0
	v_cmp_ne_u16_sdwa s[8:9], v5, v3 src0_sel:BYTE_0 src1_sel:DWORD
	s_andn2_b64 s[4:5], s[4:5], exec
	s_and_b64 s[8:9], s[8:9], exec
	s_or_b64 s[4:5], s[4:5], s[8:9]
	s_or_b64 exec, exec, s[6:7]
	s_and_saveexec_b64 s[6:7], s[4:5]
	s_cbranch_execnz .LBB12_1255
	s_branch .LBB12_1256
.LBB12_3305:
	s_movk_i32 s4, 0x80
	v_cmp_eq_u16_sdwa s[12:13], v3, s4 src0_sel:BYTE_0 src1_sel:DWORD
	s_mov_b64 s[4:5], -1
                                        ; implicit-def: $sgpr10
	s_and_saveexec_b64 s[8:9], s[12:13]
; %bb.3306:
	s_mov_b32 s10, 0x7f800001
	s_xor_b64 s[4:5], exec, -1
; %bb.3307:
	s_or_b64 exec, exec, s[8:9]
	s_and_b64 s[4:5], s[4:5], exec
	s_or_saveexec_b64 s[6:7], s[6:7]
	v_mov_b32_e32 v2, s10
	s_xor_b64 exec, exec, s[6:7]
	s_cbranch_execz .LBB12_1258
.LBB12_3308:
	v_mov_b32_e32 v2, 0
	v_cmp_ne_u16_sdwa s[8:9], v3, v2 src0_sel:BYTE_0 src1_sel:DWORD
	s_andn2_b64 s[4:5], s[4:5], exec
	s_and_b64 s[8:9], s[8:9], exec
	s_or_b64 s[4:5], s[4:5], s[8:9]
	s_or_b64 exec, exec, s[6:7]
	s_and_saveexec_b64 s[6:7], s[4:5]
	s_cbranch_execnz .LBB12_1259
	s_branch .LBB12_1260
.LBB12_3309:
	s_movk_i32 s4, 0x80
	v_cmp_eq_u16_sdwa s[12:13], v3, s4 src0_sel:BYTE_0 src1_sel:DWORD
	s_mov_b64 s[4:5], -1
                                        ; implicit-def: $sgpr10
	s_and_saveexec_b64 s[8:9], s[12:13]
; %bb.3310:
	s_mov_b32 s10, 0x7f800001
	s_xor_b64 s[4:5], exec, -1
; %bb.3311:
	s_or_b64 exec, exec, s[8:9]
	s_and_b64 s[4:5], s[4:5], exec
	s_or_saveexec_b64 s[6:7], s[6:7]
	v_mov_b32_e32 v4, s10
	s_xor_b64 exec, exec, s[6:7]
	s_cbranch_execz .LBB12_1262
.LBB12_3312:
	v_mov_b32_e32 v4, 0
	v_cmp_ne_u16_sdwa s[8:9], v3, v4 src0_sel:BYTE_0 src1_sel:DWORD
	s_andn2_b64 s[4:5], s[4:5], exec
	s_and_b64 s[8:9], s[8:9], exec
	s_or_b64 s[4:5], s[4:5], s[8:9]
	s_or_b64 exec, exec, s[6:7]
	s_and_saveexec_b64 s[6:7], s[4:5]
	s_cbranch_execnz .LBB12_1263
	s_branch .LBB12_1264
.LBB12_3313:
	s_movk_i32 s4, 0x80
	v_cmp_eq_u16_e32 vcc, s4, v3
	s_mov_b64 s[4:5], -1
                                        ; implicit-def: $sgpr10
	s_and_saveexec_b64 s[8:9], vcc
; %bb.3314:
	s_mov_b32 s10, 0x7f800001
	s_xor_b64 s[4:5], exec, -1
; %bb.3315:
	s_or_b64 exec, exec, s[8:9]
	s_and_b64 s[4:5], s[4:5], exec
                                        ; implicit-def: $vgpr3
	s_or_saveexec_b64 s[6:7], s[6:7]
	v_mov_b32_e32 v2, s10
	s_xor_b64 exec, exec, s[6:7]
	s_cbranch_execz .LBB12_1266
.LBB12_3316:
	v_cmp_ne_u16_e32 vcc, 0, v3
	s_andn2_b64 s[4:5], s[4:5], exec
	s_and_b64 s[8:9], vcc, exec
	v_mov_b32_e32 v2, 0
	s_or_b64 s[4:5], s[4:5], s[8:9]
	s_or_b64 exec, exec, s[6:7]
	s_and_saveexec_b64 s[6:7], s[4:5]
	s_cbranch_execnz .LBB12_1267
	s_branch .LBB12_1268
.LBB12_3317:
	s_movk_i32 s4, 0x80
	v_cmp_eq_u16_e32 vcc, s4, v3
	s_mov_b64 s[4:5], -1
                                        ; implicit-def: $sgpr10
	s_and_saveexec_b64 s[8:9], vcc
; %bb.3318:
	s_mov_b32 s10, 0x7f800001
	s_xor_b64 s[4:5], exec, -1
; %bb.3319:
	s_or_b64 exec, exec, s[8:9]
	s_and_b64 s[4:5], s[4:5], exec
                                        ; implicit-def: $vgpr3
	s_or_saveexec_b64 s[6:7], s[6:7]
	v_mov_b32_e32 v4, s10
	s_xor_b64 exec, exec, s[6:7]
	s_cbranch_execz .LBB12_1270
.LBB12_3320:
	v_cmp_ne_u16_e32 vcc, 0, v3
	s_andn2_b64 s[4:5], s[4:5], exec
	s_and_b64 s[8:9], vcc, exec
	v_mov_b32_e32 v4, 0
	s_or_b64 s[4:5], s[4:5], s[8:9]
	s_or_b64 exec, exec, s[6:7]
	s_and_saveexec_b64 s[6:7], s[4:5]
	s_cbranch_execnz .LBB12_1271
	s_branch .LBB12_1272
.LBB12_3321:
	s_movk_i32 s4, 0x80
	v_cmp_eq_u16_sdwa s[12:13], v9, s4 src0_sel:BYTE_3 src1_sel:DWORD
	s_mov_b64 s[4:5], -1
                                        ; implicit-def: $sgpr10
	s_and_saveexec_b64 s[8:9], s[12:13]
; %bb.3322:
	s_mov_b32 s10, 0x7f800001
	s_xor_b64 s[4:5], exec, -1
; %bb.3323:
	s_or_b64 exec, exec, s[8:9]
	s_and_b64 s[4:5], s[4:5], exec
	s_or_saveexec_b64 s[6:7], s[6:7]
	v_mov_b32_e32 v2, s10
	s_xor_b64 exec, exec, s[6:7]
	s_cbranch_execz .LBB12_1274
.LBB12_3324:
	v_mov_b32_e32 v2, 0
	v_cmp_ne_u16_sdwa s[8:9], v9, v2 src0_sel:BYTE_3 src1_sel:DWORD
	s_andn2_b64 s[4:5], s[4:5], exec
	s_and_b64 s[8:9], s[8:9], exec
	s_or_b64 s[4:5], s[4:5], s[8:9]
	s_or_b64 exec, exec, s[6:7]
	s_and_saveexec_b64 s[6:7], s[4:5]
	s_cbranch_execnz .LBB12_1275
	s_branch .LBB12_1276
.LBB12_3325:
	s_movk_i32 s4, 0x80
	v_cmp_eq_u16_sdwa s[12:13], v5, s4 src0_sel:BYTE_3 src1_sel:DWORD
	s_mov_b64 s[4:5], -1
                                        ; implicit-def: $sgpr10
	s_and_saveexec_b64 s[8:9], s[12:13]
; %bb.3326:
	s_mov_b32 s10, 0x7f800001
	s_xor_b64 s[4:5], exec, -1
; %bb.3327:
	s_or_b64 exec, exec, s[8:9]
	s_and_b64 s[4:5], s[4:5], exec
	s_or_saveexec_b64 s[6:7], s[6:7]
	v_mov_b32_e32 v3, s10
	s_xor_b64 exec, exec, s[6:7]
	s_cbranch_execz .LBB12_1278
.LBB12_3328:
	v_mov_b32_e32 v3, 0
	v_cmp_ne_u16_sdwa s[8:9], v5, v3 src0_sel:BYTE_3 src1_sel:DWORD
	s_andn2_b64 s[4:5], s[4:5], exec
	s_and_b64 s[8:9], s[8:9], exec
	s_or_b64 s[4:5], s[4:5], s[8:9]
	s_or_b64 exec, exec, s[6:7]
	s_and_saveexec_b64 s[6:7], s[4:5]
	s_cbranch_execnz .LBB12_1279
	s_branch .LBB12_1280
.LBB12_3329:
	s_movk_i32 s4, 0x80
	v_cmp_eq_u16_sdwa s[12:13], v14, s4 src0_sel:BYTE_0 src1_sel:DWORD
	s_mov_b64 s[4:5], -1
                                        ; implicit-def: $sgpr10
	s_and_saveexec_b64 s[8:9], s[12:13]
; %bb.3330:
	s_mov_b32 s10, 0x7f800001
	s_xor_b64 s[4:5], exec, -1
; %bb.3331:
	s_or_b64 exec, exec, s[8:9]
	s_and_b64 s[4:5], s[4:5], exec
	s_or_saveexec_b64 s[6:7], s[6:7]
	v_mov_b32_e32 v20, s10
	s_xor_b64 exec, exec, s[6:7]
	s_cbranch_execz .LBB12_1282
.LBB12_3332:
	v_mov_b32_e32 v20, 0
	v_cmp_ne_u16_sdwa s[8:9], v14, v20 src0_sel:BYTE_0 src1_sel:DWORD
	s_andn2_b64 s[4:5], s[4:5], exec
	s_and_b64 s[8:9], s[8:9], exec
	s_or_b64 s[4:5], s[4:5], s[8:9]
	s_or_b64 exec, exec, s[6:7]
	s_and_saveexec_b64 s[6:7], s[4:5]
	s_cbranch_execnz .LBB12_1283
	s_branch .LBB12_1284
.LBB12_3333:
	s_movk_i32 s4, 0x80
	v_cmp_eq_u16_sdwa s[12:13], v10, s4 src0_sel:BYTE_0 src1_sel:DWORD
	s_mov_b64 s[4:5], -1
                                        ; implicit-def: $sgpr10
	s_and_saveexec_b64 s[8:9], s[12:13]
; %bb.3334:
	s_mov_b32 s10, 0x7f800001
	s_xor_b64 s[4:5], exec, -1
; %bb.3335:
	s_or_b64 exec, exec, s[8:9]
	s_and_b64 s[4:5], s[4:5], exec
	s_or_saveexec_b64 s[6:7], s[6:7]
	v_mov_b32_e32 v21, s10
	s_xor_b64 exec, exec, s[6:7]
	s_cbranch_execz .LBB12_1286
.LBB12_3336:
	v_mov_b32_e32 v21, 0
	v_cmp_ne_u16_sdwa s[8:9], v10, v21 src0_sel:BYTE_0 src1_sel:DWORD
	s_andn2_b64 s[4:5], s[4:5], exec
	s_and_b64 s[8:9], s[8:9], exec
	s_or_b64 s[4:5], s[4:5], s[8:9]
	s_or_b64 exec, exec, s[6:7]
	s_and_saveexec_b64 s[6:7], s[4:5]
	s_cbranch_execnz .LBB12_1287
	s_branch .LBB12_1288
.LBB12_3337:
	s_movk_i32 s4, 0x80
	v_cmp_eq_u16_sdwa s[12:13], v21, s4 src0_sel:BYTE_0 src1_sel:DWORD
	s_mov_b64 s[4:5], -1
                                        ; implicit-def: $sgpr10
	s_and_saveexec_b64 s[8:9], s[12:13]
; %bb.3338:
	s_mov_b32 s10, 0x7f800001
	s_xor_b64 s[4:5], exec, -1
; %bb.3339:
	s_or_b64 exec, exec, s[8:9]
	s_and_b64 s[4:5], s[4:5], exec
	s_or_saveexec_b64 s[6:7], s[6:7]
	v_mov_b32_e32 v20, s10
	s_xor_b64 exec, exec, s[6:7]
	s_cbranch_execz .LBB12_1290
.LBB12_3340:
	v_mov_b32_e32 v20, 0
	v_cmp_ne_u16_sdwa s[8:9], v21, v20 src0_sel:BYTE_0 src1_sel:DWORD
	s_andn2_b64 s[4:5], s[4:5], exec
	s_and_b64 s[8:9], s[8:9], exec
	s_or_b64 s[4:5], s[4:5], s[8:9]
	s_or_b64 exec, exec, s[6:7]
	s_and_saveexec_b64 s[6:7], s[4:5]
	s_cbranch_execnz .LBB12_1291
	s_branch .LBB12_1292
.LBB12_3341:
	s_movk_i32 s4, 0x80
	v_cmp_eq_u16_sdwa s[12:13], v21, s4 src0_sel:BYTE_0 src1_sel:DWORD
	s_mov_b64 s[4:5], -1
                                        ; implicit-def: $sgpr10
	s_and_saveexec_b64 s[8:9], s[12:13]
; %bb.3342:
	s_mov_b32 s10, 0x7f800001
	s_xor_b64 s[4:5], exec, -1
; %bb.3343:
	s_or_b64 exec, exec, s[8:9]
	s_and_b64 s[4:5], s[4:5], exec
	s_or_saveexec_b64 s[6:7], s[6:7]
	v_mov_b32_e32 v22, s10
	s_xor_b64 exec, exec, s[6:7]
	s_cbranch_execz .LBB12_1294
.LBB12_3344:
	v_mov_b32_e32 v22, 0
	v_cmp_ne_u16_sdwa s[8:9], v21, v22 src0_sel:BYTE_0 src1_sel:DWORD
	s_andn2_b64 s[4:5], s[4:5], exec
	s_and_b64 s[8:9], s[8:9], exec
	s_or_b64 s[4:5], s[4:5], s[8:9]
	s_or_b64 exec, exec, s[6:7]
	s_and_saveexec_b64 s[6:7], s[4:5]
	s_cbranch_execnz .LBB12_1295
	s_branch .LBB12_1296
.LBB12_3345:
	s_movk_i32 s4, 0x80
	v_cmp_eq_u16_e32 vcc, s4, v21
	s_mov_b64 s[4:5], -1
                                        ; implicit-def: $sgpr10
	s_and_saveexec_b64 s[8:9], vcc
; %bb.3346:
	s_mov_b32 s10, 0x7f800001
	s_xor_b64 s[4:5], exec, -1
; %bb.3347:
	s_or_b64 exec, exec, s[8:9]
	s_and_b64 s[4:5], s[4:5], exec
                                        ; implicit-def: $vgpr21
	s_or_saveexec_b64 s[6:7], s[6:7]
	v_mov_b32_e32 v20, s10
	s_xor_b64 exec, exec, s[6:7]
	s_cbranch_execz .LBB12_1298
.LBB12_3348:
	v_cmp_ne_u16_e32 vcc, 0, v21
	s_andn2_b64 s[4:5], s[4:5], exec
	s_and_b64 s[8:9], vcc, exec
	v_mov_b32_e32 v20, 0
	s_or_b64 s[4:5], s[4:5], s[8:9]
	s_or_b64 exec, exec, s[6:7]
	s_and_saveexec_b64 s[6:7], s[4:5]
	s_cbranch_execnz .LBB12_1299
	s_branch .LBB12_1300
.LBB12_3349:
	s_movk_i32 s4, 0x80
	v_cmp_eq_u16_e32 vcc, s4, v21
	s_mov_b64 s[4:5], -1
                                        ; implicit-def: $sgpr10
	s_and_saveexec_b64 s[8:9], vcc
; %bb.3350:
	s_mov_b32 s10, 0x7f800001
	s_xor_b64 s[4:5], exec, -1
; %bb.3351:
	s_or_b64 exec, exec, s[8:9]
	s_and_b64 s[4:5], s[4:5], exec
                                        ; implicit-def: $vgpr21
	s_or_saveexec_b64 s[6:7], s[6:7]
	v_mov_b32_e32 v22, s10
	s_xor_b64 exec, exec, s[6:7]
	s_cbranch_execz .LBB12_1302
.LBB12_3352:
	v_cmp_ne_u16_e32 vcc, 0, v21
	s_andn2_b64 s[4:5], s[4:5], exec
	s_and_b64 s[8:9], vcc, exec
	v_mov_b32_e32 v22, 0
	s_or_b64 s[4:5], s[4:5], s[8:9]
	s_or_b64 exec, exec, s[6:7]
	s_and_saveexec_b64 s[6:7], s[4:5]
	s_cbranch_execnz .LBB12_1303
	s_branch .LBB12_1304
.LBB12_3353:
	s_movk_i32 s4, 0x80
	v_cmp_eq_u16_sdwa s[12:13], v14, s4 src0_sel:BYTE_3 src1_sel:DWORD
	s_mov_b64 s[4:5], -1
                                        ; implicit-def: $sgpr10
	s_and_saveexec_b64 s[8:9], s[12:13]
; %bb.3354:
	s_mov_b32 s10, 0x7f800001
	s_xor_b64 s[4:5], exec, -1
; %bb.3355:
	s_or_b64 exec, exec, s[8:9]
	s_and_b64 s[4:5], s[4:5], exec
	s_or_saveexec_b64 s[6:7], s[6:7]
	v_mov_b32_e32 v20, s10
	s_xor_b64 exec, exec, s[6:7]
	s_cbranch_execz .LBB12_1306
.LBB12_3356:
	v_mov_b32_e32 v20, 0
	v_cmp_ne_u16_sdwa s[8:9], v14, v20 src0_sel:BYTE_3 src1_sel:DWORD
	s_andn2_b64 s[4:5], s[4:5], exec
	s_and_b64 s[8:9], s[8:9], exec
	s_or_b64 s[4:5], s[4:5], s[8:9]
	s_or_b64 exec, exec, s[6:7]
	s_and_saveexec_b64 s[6:7], s[4:5]
	s_cbranch_execnz .LBB12_1307
	s_branch .LBB12_1308
.LBB12_3357:
	s_movk_i32 s4, 0x80
	v_cmp_eq_u16_sdwa s[12:13], v10, s4 src0_sel:BYTE_3 src1_sel:DWORD
	s_mov_b64 s[4:5], -1
                                        ; implicit-def: $sgpr10
	s_and_saveexec_b64 s[8:9], s[12:13]
; %bb.3358:
	s_mov_b32 s10, 0x7f800001
	s_xor_b64 s[4:5], exec, -1
; %bb.3359:
	s_or_b64 exec, exec, s[8:9]
	s_and_b64 s[4:5], s[4:5], exec
	s_or_saveexec_b64 s[6:7], s[6:7]
	v_mov_b32_e32 v14, s10
	s_xor_b64 exec, exec, s[6:7]
	s_cbranch_execz .LBB12_1310
.LBB12_3360:
	v_mov_b32_e32 v14, 0
	v_cmp_ne_u16_sdwa s[8:9], v10, v14 src0_sel:BYTE_3 src1_sel:DWORD
	s_andn2_b64 s[4:5], s[4:5], exec
	s_and_b64 s[8:9], s[8:9], exec
	s_or_b64 s[4:5], s[4:5], s[8:9]
	s_or_b64 exec, exec, s[6:7]
	s_and_saveexec_b64 s[6:7], s[4:5]
	s_cbranch_execnz .LBB12_1311
	s_branch .LBB12_1312
.LBB12_3361:
	s_movk_i32 s4, 0x80
	v_cmp_eq_u16_sdwa s[12:13], v15, s4 src0_sel:BYTE_0 src1_sel:DWORD
	s_mov_b64 s[4:5], -1
                                        ; implicit-def: $sgpr10
	s_and_saveexec_b64 s[8:9], s[12:13]
; %bb.3362:
	s_mov_b32 s10, 0x7f800001
	s_xor_b64 s[4:5], exec, -1
; %bb.3363:
	s_or_b64 exec, exec, s[8:9]
	s_and_b64 s[4:5], s[4:5], exec
	s_or_saveexec_b64 s[6:7], s[6:7]
	v_mov_b32_e32 v10, s10
	s_xor_b64 exec, exec, s[6:7]
	s_cbranch_execz .LBB12_1314
.LBB12_3364:
	v_mov_b32_e32 v10, 0
	v_cmp_ne_u16_sdwa s[8:9], v15, v10 src0_sel:BYTE_0 src1_sel:DWORD
	s_andn2_b64 s[4:5], s[4:5], exec
	s_and_b64 s[8:9], s[8:9], exec
	s_or_b64 s[4:5], s[4:5], s[8:9]
	s_or_b64 exec, exec, s[6:7]
	s_and_saveexec_b64 s[6:7], s[4:5]
	s_cbranch_execnz .LBB12_1315
	s_branch .LBB12_1316
.LBB12_3365:
	s_movk_i32 s4, 0x80
	v_cmp_eq_u16_sdwa s[12:13], v11, s4 src0_sel:BYTE_0 src1_sel:DWORD
	s_mov_b64 s[4:5], -1
                                        ; implicit-def: $sgpr10
	s_and_saveexec_b64 s[8:9], s[12:13]
; %bb.3366:
	s_mov_b32 s10, 0x7f800001
	s_xor_b64 s[4:5], exec, -1
; %bb.3367:
	s_or_b64 exec, exec, s[8:9]
	s_and_b64 s[4:5], s[4:5], exec
	s_or_saveexec_b64 s[6:7], s[6:7]
	v_mov_b32_e32 v14, s10
	s_xor_b64 exec, exec, s[6:7]
	s_cbranch_execz .LBB12_1318
.LBB12_3368:
	v_mov_b32_e32 v14, 0
	v_cmp_ne_u16_sdwa s[8:9], v11, v14 src0_sel:BYTE_0 src1_sel:DWORD
	s_andn2_b64 s[4:5], s[4:5], exec
	s_and_b64 s[8:9], s[8:9], exec
	s_or_b64 s[4:5], s[4:5], s[8:9]
	s_or_b64 exec, exec, s[6:7]
	s_and_saveexec_b64 s[6:7], s[4:5]
	s_cbranch_execnz .LBB12_1319
	s_branch .LBB12_1320
.LBB12_3369:
	s_movk_i32 s4, 0x80
	v_cmp_eq_u16_sdwa s[12:13], v14, s4 src0_sel:BYTE_0 src1_sel:DWORD
	s_mov_b64 s[4:5], -1
                                        ; implicit-def: $sgpr10
	s_and_saveexec_b64 s[8:9], s[12:13]
; %bb.3370:
	s_mov_b32 s10, 0x7f800001
	s_xor_b64 s[4:5], exec, -1
; %bb.3371:
	s_or_b64 exec, exec, s[8:9]
	s_and_b64 s[4:5], s[4:5], exec
	s_or_saveexec_b64 s[6:7], s[6:7]
	v_mov_b32_e32 v10, s10
	s_xor_b64 exec, exec, s[6:7]
	s_cbranch_execz .LBB12_1322
.LBB12_3372:
	v_mov_b32_e32 v10, 0
	v_cmp_ne_u16_sdwa s[8:9], v14, v10 src0_sel:BYTE_0 src1_sel:DWORD
	s_andn2_b64 s[4:5], s[4:5], exec
	s_and_b64 s[8:9], s[8:9], exec
	s_or_b64 s[4:5], s[4:5], s[8:9]
	s_or_b64 exec, exec, s[6:7]
	s_and_saveexec_b64 s[6:7], s[4:5]
	s_cbranch_execnz .LBB12_1323
	s_branch .LBB12_1324
.LBB12_3373:
	s_movk_i32 s4, 0x80
	v_cmp_eq_u16_sdwa s[12:13], v14, s4 src0_sel:BYTE_0 src1_sel:DWORD
	s_mov_b64 s[4:5], -1
                                        ; implicit-def: $sgpr10
	s_and_saveexec_b64 s[8:9], s[12:13]
; %bb.3374:
	s_mov_b32 s10, 0x7f800001
	s_xor_b64 s[4:5], exec, -1
; %bb.3375:
	s_or_b64 exec, exec, s[8:9]
	s_and_b64 s[4:5], s[4:5], exec
	s_or_saveexec_b64 s[6:7], s[6:7]
	v_mov_b32_e32 v20, s10
	s_xor_b64 exec, exec, s[6:7]
	s_cbranch_execz .LBB12_1326
.LBB12_3376:
	v_mov_b32_e32 v20, 0
	v_cmp_ne_u16_sdwa s[8:9], v14, v20 src0_sel:BYTE_0 src1_sel:DWORD
	s_andn2_b64 s[4:5], s[4:5], exec
	s_and_b64 s[8:9], s[8:9], exec
	s_or_b64 s[4:5], s[4:5], s[8:9]
	s_or_b64 exec, exec, s[6:7]
	s_and_saveexec_b64 s[6:7], s[4:5]
	s_cbranch_execnz .LBB12_1327
	s_branch .LBB12_1328
.LBB12_3377:
	s_movk_i32 s4, 0x80
	v_cmp_eq_u16_e32 vcc, s4, v14
	s_mov_b64 s[4:5], -1
                                        ; implicit-def: $sgpr10
	s_and_saveexec_b64 s[8:9], vcc
; %bb.3378:
	s_mov_b32 s10, 0x7f800001
	s_xor_b64 s[4:5], exec, -1
; %bb.3379:
	s_or_b64 exec, exec, s[8:9]
	s_and_b64 s[4:5], s[4:5], exec
                                        ; implicit-def: $vgpr14
	s_or_saveexec_b64 s[6:7], s[6:7]
	v_mov_b32_e32 v10, s10
	s_xor_b64 exec, exec, s[6:7]
	s_cbranch_execz .LBB12_1330
.LBB12_3380:
	v_cmp_ne_u16_e32 vcc, 0, v14
	s_andn2_b64 s[4:5], s[4:5], exec
	s_and_b64 s[8:9], vcc, exec
	v_mov_b32_e32 v10, 0
	s_or_b64 s[4:5], s[4:5], s[8:9]
	s_or_b64 exec, exec, s[6:7]
	s_and_saveexec_b64 s[6:7], s[4:5]
	s_cbranch_execnz .LBB12_1331
	s_branch .LBB12_1332
.LBB12_3381:
	s_movk_i32 s4, 0x80
	v_cmp_eq_u16_e32 vcc, s4, v14
	s_mov_b64 s[4:5], -1
                                        ; implicit-def: $sgpr10
	s_and_saveexec_b64 s[8:9], vcc
; %bb.3382:
	s_mov_b32 s10, 0x7f800001
	s_xor_b64 s[4:5], exec, -1
; %bb.3383:
	s_or_b64 exec, exec, s[8:9]
	s_and_b64 s[4:5], s[4:5], exec
                                        ; implicit-def: $vgpr14
	s_or_saveexec_b64 s[6:7], s[6:7]
	v_mov_b32_e32 v20, s10
	s_xor_b64 exec, exec, s[6:7]
	s_cbranch_execz .LBB12_1334
.LBB12_3384:
	v_cmp_ne_u16_e32 vcc, 0, v14
	s_andn2_b64 s[4:5], s[4:5], exec
	s_and_b64 s[8:9], vcc, exec
	v_mov_b32_e32 v20, 0
	s_or_b64 s[4:5], s[4:5], s[8:9]
	s_or_b64 exec, exec, s[6:7]
	s_and_saveexec_b64 s[6:7], s[4:5]
	s_cbranch_execnz .LBB12_1335
	s_branch .LBB12_1336
.LBB12_3385:
	s_movk_i32 s4, 0x80
	v_cmp_eq_u16_sdwa s[12:13], v15, s4 src0_sel:BYTE_3 src1_sel:DWORD
	s_mov_b64 s[4:5], -1
                                        ; implicit-def: $sgpr10
	s_and_saveexec_b64 s[8:9], s[12:13]
; %bb.3386:
	s_mov_b32 s10, 0x7f800001
	s_xor_b64 s[4:5], exec, -1
; %bb.3387:
	s_or_b64 exec, exec, s[8:9]
	s_and_b64 s[4:5], s[4:5], exec
	s_or_saveexec_b64 s[6:7], s[6:7]
	v_mov_b32_e32 v10, s10
	s_xor_b64 exec, exec, s[6:7]
	s_cbranch_execz .LBB12_1338
.LBB12_3388:
	v_mov_b32_e32 v10, 0
	v_cmp_ne_u16_sdwa s[8:9], v15, v10 src0_sel:BYTE_3 src1_sel:DWORD
	s_andn2_b64 s[4:5], s[4:5], exec
	s_and_b64 s[8:9], s[8:9], exec
	s_or_b64 s[4:5], s[4:5], s[8:9]
	s_or_b64 exec, exec, s[6:7]
	s_and_saveexec_b64 s[6:7], s[4:5]
	s_cbranch_execnz .LBB12_1339
	s_branch .LBB12_1340
.LBB12_3389:
	s_movk_i32 s4, 0x80
	v_cmp_eq_u16_sdwa s[12:13], v11, s4 src0_sel:BYTE_3 src1_sel:DWORD
	s_mov_b64 s[4:5], -1
                                        ; implicit-def: $sgpr10
	s_and_saveexec_b64 s[8:9], s[12:13]
; %bb.3390:
	s_mov_b32 s10, 0x7f800001
	s_xor_b64 s[4:5], exec, -1
; %bb.3391:
	s_or_b64 exec, exec, s[8:9]
	s_and_b64 s[4:5], s[4:5], exec
	s_or_saveexec_b64 s[6:7], s[6:7]
	v_mov_b32_e32 v14, s10
	s_xor_b64 exec, exec, s[6:7]
	s_cbranch_execz .LBB12_1342
.LBB12_3392:
	v_mov_b32_e32 v14, 0
	v_cmp_ne_u16_sdwa s[8:9], v11, v14 src0_sel:BYTE_3 src1_sel:DWORD
	s_andn2_b64 s[4:5], s[4:5], exec
	s_and_b64 s[8:9], s[8:9], exec
	s_or_b64 s[4:5], s[4:5], s[8:9]
	s_or_b64 exec, exec, s[6:7]
	s_and_saveexec_b64 s[6:7], s[4:5]
	s_cbranch_execnz .LBB12_1343
	s_branch .LBB12_1344
.LBB12_3393:
	s_movk_i32 s4, 0x80
	v_cmp_eq_u16_sdwa s[12:13], v16, s4 src0_sel:BYTE_0 src1_sel:DWORD
	s_mov_b64 s[4:5], -1
                                        ; implicit-def: $sgpr10
	s_and_saveexec_b64 s[8:9], s[12:13]
; %bb.3394:
	s_mov_b32 s10, 0x7f800001
	s_xor_b64 s[4:5], exec, -1
; %bb.3395:
	s_or_b64 exec, exec, s[8:9]
	s_and_b64 s[4:5], s[4:5], exec
	s_or_saveexec_b64 s[6:7], s[6:7]
	v_mov_b32_e32 v10, s10
	s_xor_b64 exec, exec, s[6:7]
	s_cbranch_execz .LBB12_1346
.LBB12_3396:
	v_mov_b32_e32 v10, 0
	v_cmp_ne_u16_sdwa s[8:9], v16, v10 src0_sel:BYTE_0 src1_sel:DWORD
	s_andn2_b64 s[4:5], s[4:5], exec
	s_and_b64 s[8:9], s[8:9], exec
	s_or_b64 s[4:5], s[4:5], s[8:9]
	s_or_b64 exec, exec, s[6:7]
	s_and_saveexec_b64 s[6:7], s[4:5]
	s_cbranch_execnz .LBB12_1347
	s_branch .LBB12_1348
.LBB12_3397:
	s_movk_i32 s4, 0x80
	v_cmp_eq_u16_sdwa s[12:13], v12, s4 src0_sel:BYTE_0 src1_sel:DWORD
	s_mov_b64 s[4:5], -1
                                        ; implicit-def: $sgpr10
	s_and_saveexec_b64 s[8:9], s[12:13]
; %bb.3398:
	s_mov_b32 s10, 0x7f800001
	s_xor_b64 s[4:5], exec, -1
; %bb.3399:
	s_or_b64 exec, exec, s[8:9]
	s_and_b64 s[4:5], s[4:5], exec
	s_or_saveexec_b64 s[6:7], s[6:7]
	v_mov_b32_e32 v11, s10
	s_xor_b64 exec, exec, s[6:7]
	s_cbranch_execz .LBB12_1350
.LBB12_3400:
	v_mov_b32_e32 v11, 0
	v_cmp_ne_u16_sdwa s[8:9], v12, v11 src0_sel:BYTE_0 src1_sel:DWORD
	s_andn2_b64 s[4:5], s[4:5], exec
	s_and_b64 s[8:9], s[8:9], exec
	s_or_b64 s[4:5], s[4:5], s[8:9]
	s_or_b64 exec, exec, s[6:7]
	s_and_saveexec_b64 s[6:7], s[4:5]
	s_cbranch_execnz .LBB12_1351
	s_branch .LBB12_1352
.LBB12_3401:
	s_movk_i32 s4, 0x80
	v_cmp_eq_u16_sdwa s[12:13], v11, s4 src0_sel:BYTE_0 src1_sel:DWORD
	s_mov_b64 s[4:5], -1
                                        ; implicit-def: $sgpr10
	s_and_saveexec_b64 s[8:9], s[12:13]
; %bb.3402:
	s_mov_b32 s10, 0x7f800001
	s_xor_b64 s[4:5], exec, -1
; %bb.3403:
	s_or_b64 exec, exec, s[8:9]
	s_and_b64 s[4:5], s[4:5], exec
	s_or_saveexec_b64 s[6:7], s[6:7]
	v_mov_b32_e32 v10, s10
	s_xor_b64 exec, exec, s[6:7]
	s_cbranch_execz .LBB12_1354
.LBB12_3404:
	v_mov_b32_e32 v10, 0
	v_cmp_ne_u16_sdwa s[8:9], v11, v10 src0_sel:BYTE_0 src1_sel:DWORD
	s_andn2_b64 s[4:5], s[4:5], exec
	s_and_b64 s[8:9], s[8:9], exec
	s_or_b64 s[4:5], s[4:5], s[8:9]
	s_or_b64 exec, exec, s[6:7]
	s_and_saveexec_b64 s[6:7], s[4:5]
	s_cbranch_execnz .LBB12_1355
	s_branch .LBB12_1356
.LBB12_3405:
	s_movk_i32 s4, 0x80
	v_cmp_eq_u16_sdwa s[12:13], v11, s4 src0_sel:BYTE_0 src1_sel:DWORD
	s_mov_b64 s[4:5], -1
                                        ; implicit-def: $sgpr10
	s_and_saveexec_b64 s[8:9], s[12:13]
; %bb.3406:
	s_mov_b32 s10, 0x7f800001
	s_xor_b64 s[4:5], exec, -1
; %bb.3407:
	s_or_b64 exec, exec, s[8:9]
	s_and_b64 s[4:5], s[4:5], exec
	s_or_saveexec_b64 s[6:7], s[6:7]
	v_mov_b32_e32 v14, s10
	s_xor_b64 exec, exec, s[6:7]
	s_cbranch_execz .LBB12_1358
.LBB12_3408:
	v_mov_b32_e32 v14, 0
	v_cmp_ne_u16_sdwa s[8:9], v11, v14 src0_sel:BYTE_0 src1_sel:DWORD
	s_andn2_b64 s[4:5], s[4:5], exec
	s_and_b64 s[8:9], s[8:9], exec
	s_or_b64 s[4:5], s[4:5], s[8:9]
	s_or_b64 exec, exec, s[6:7]
	s_and_saveexec_b64 s[6:7], s[4:5]
	s_cbranch_execnz .LBB12_1359
	s_branch .LBB12_1360
.LBB12_3409:
	s_movk_i32 s4, 0x80
	v_cmp_eq_u16_e32 vcc, s4, v11
	s_mov_b64 s[4:5], -1
                                        ; implicit-def: $sgpr10
	s_and_saveexec_b64 s[8:9], vcc
; %bb.3410:
	s_mov_b32 s10, 0x7f800001
	s_xor_b64 s[4:5], exec, -1
; %bb.3411:
	s_or_b64 exec, exec, s[8:9]
	s_and_b64 s[4:5], s[4:5], exec
                                        ; implicit-def: $vgpr11
	s_or_saveexec_b64 s[6:7], s[6:7]
	v_mov_b32_e32 v10, s10
	s_xor_b64 exec, exec, s[6:7]
	s_cbranch_execz .LBB12_1362
.LBB12_3412:
	v_cmp_ne_u16_e32 vcc, 0, v11
	s_andn2_b64 s[4:5], s[4:5], exec
	s_and_b64 s[8:9], vcc, exec
	v_mov_b32_e32 v10, 0
	s_or_b64 s[4:5], s[4:5], s[8:9]
	s_or_b64 exec, exec, s[6:7]
	s_and_saveexec_b64 s[6:7], s[4:5]
	s_cbranch_execnz .LBB12_1363
	s_branch .LBB12_1364
.LBB12_3413:
	s_movk_i32 s4, 0x80
	v_cmp_eq_u16_e32 vcc, s4, v11
	s_mov_b64 s[4:5], -1
                                        ; implicit-def: $sgpr10
	s_and_saveexec_b64 s[8:9], vcc
; %bb.3414:
	s_mov_b32 s10, 0x7f800001
	s_xor_b64 s[4:5], exec, -1
; %bb.3415:
	s_or_b64 exec, exec, s[8:9]
	s_and_b64 s[4:5], s[4:5], exec
                                        ; implicit-def: $vgpr11
	s_or_saveexec_b64 s[6:7], s[6:7]
	v_mov_b32_e32 v14, s10
	s_xor_b64 exec, exec, s[6:7]
	s_cbranch_execz .LBB12_1366
.LBB12_3416:
	v_cmp_ne_u16_e32 vcc, 0, v11
	s_andn2_b64 s[4:5], s[4:5], exec
	s_and_b64 s[8:9], vcc, exec
	v_mov_b32_e32 v14, 0
	s_or_b64 s[4:5], s[4:5], s[8:9]
	s_or_b64 exec, exec, s[6:7]
	s_and_saveexec_b64 s[6:7], s[4:5]
	s_cbranch_execnz .LBB12_1367
	s_branch .LBB12_1368
.LBB12_3417:
	s_movk_i32 s4, 0x80
	v_cmp_eq_u16_sdwa s[12:13], v16, s4 src0_sel:BYTE_3 src1_sel:DWORD
	s_mov_b64 s[4:5], -1
                                        ; implicit-def: $sgpr10
	s_and_saveexec_b64 s[8:9], s[12:13]
; %bb.3418:
	s_mov_b32 s10, 0x7f800001
	s_xor_b64 s[4:5], exec, -1
; %bb.3419:
	s_or_b64 exec, exec, s[8:9]
	s_and_b64 s[4:5], s[4:5], exec
	s_or_saveexec_b64 s[6:7], s[6:7]
	v_mov_b32_e32 v10, s10
	s_xor_b64 exec, exec, s[6:7]
	s_cbranch_execz .LBB12_1370
.LBB12_3420:
	v_mov_b32_e32 v10, 0
	v_cmp_ne_u16_sdwa s[8:9], v16, v10 src0_sel:BYTE_3 src1_sel:DWORD
	s_andn2_b64 s[4:5], s[4:5], exec
	s_and_b64 s[8:9], s[8:9], exec
	s_or_b64 s[4:5], s[4:5], s[8:9]
	s_or_b64 exec, exec, s[6:7]
	s_and_saveexec_b64 s[6:7], s[4:5]
	s_cbranch_execnz .LBB12_1371
	s_branch .LBB12_1372
.LBB12_3421:
	s_movk_i32 s4, 0x80
	v_cmp_eq_u16_sdwa s[12:13], v12, s4 src0_sel:BYTE_3 src1_sel:DWORD
	s_mov_b64 s[4:5], -1
                                        ; implicit-def: $sgpr10
	s_and_saveexec_b64 s[8:9], s[12:13]
; %bb.3422:
	s_mov_b32 s10, 0x7f800001
	s_xor_b64 s[4:5], exec, -1
; %bb.3423:
	s_or_b64 exec, exec, s[8:9]
	s_and_b64 s[4:5], s[4:5], exec
	s_or_saveexec_b64 s[6:7], s[6:7]
	v_mov_b32_e32 v11, s10
	s_xor_b64 exec, exec, s[6:7]
	s_cbranch_execz .LBB12_1374
.LBB12_3424:
	v_mov_b32_e32 v11, 0
	v_cmp_ne_u16_sdwa s[8:9], v12, v11 src0_sel:BYTE_3 src1_sel:DWORD
	s_andn2_b64 s[4:5], s[4:5], exec
	s_and_b64 s[8:9], s[8:9], exec
	s_or_b64 s[4:5], s[4:5], s[8:9]
	s_or_b64 exec, exec, s[6:7]
	s_and_saveexec_b64 s[6:7], s[4:5]
	s_cbranch_execnz .LBB12_1375
	s_branch .LBB12_1376
.LBB12_3425:
	s_movk_i32 s4, 0x80
	v_cmp_eq_u16_sdwa s[12:13], v17, s4 src0_sel:BYTE_0 src1_sel:DWORD
	s_mov_b64 s[4:5], -1
                                        ; implicit-def: $sgpr10
	s_and_saveexec_b64 s[8:9], s[12:13]
; %bb.3426:
	s_mov_b32 s10, 0x7f800001
	s_xor_b64 s[4:5], exec, -1
; %bb.3427:
	s_or_b64 exec, exec, s[8:9]
	s_and_b64 s[4:5], s[4:5], exec
	s_or_saveexec_b64 s[6:7], s[6:7]
	v_mov_b32_e32 v10, s10
	s_xor_b64 exec, exec, s[6:7]
	s_cbranch_execz .LBB12_1378
.LBB12_3428:
	v_mov_b32_e32 v10, 0
	v_cmp_ne_u16_sdwa s[8:9], v17, v10 src0_sel:BYTE_0 src1_sel:DWORD
	s_andn2_b64 s[4:5], s[4:5], exec
	s_and_b64 s[8:9], s[8:9], exec
	s_or_b64 s[4:5], s[4:5], s[8:9]
	s_or_b64 exec, exec, s[6:7]
	s_and_saveexec_b64 s[6:7], s[4:5]
	s_cbranch_execnz .LBB12_1379
	s_branch .LBB12_1380
.LBB12_3429:
	s_movk_i32 s4, 0x80
	v_cmp_eq_u16_sdwa s[12:13], v13, s4 src0_sel:BYTE_0 src1_sel:DWORD
	s_mov_b64 s[4:5], -1
                                        ; implicit-def: $sgpr10
	s_and_saveexec_b64 s[8:9], s[12:13]
; %bb.3430:
	s_mov_b32 s10, 0x7f800001
	s_xor_b64 s[4:5], exec, -1
; %bb.3431:
	s_or_b64 exec, exec, s[8:9]
	s_and_b64 s[4:5], s[4:5], exec
	s_or_saveexec_b64 s[6:7], s[6:7]
	v_mov_b32_e32 v11, s10
	s_xor_b64 exec, exec, s[6:7]
	s_cbranch_execz .LBB12_1382
.LBB12_3432:
	v_mov_b32_e32 v11, 0
	v_cmp_ne_u16_sdwa s[8:9], v13, v11 src0_sel:BYTE_0 src1_sel:DWORD
	s_andn2_b64 s[4:5], s[4:5], exec
	s_and_b64 s[8:9], s[8:9], exec
	s_or_b64 s[4:5], s[4:5], s[8:9]
	s_or_b64 exec, exec, s[6:7]
	s_and_saveexec_b64 s[6:7], s[4:5]
	s_cbranch_execnz .LBB12_1383
	s_branch .LBB12_1384
.LBB12_3433:
	s_movk_i32 s4, 0x80
	v_cmp_eq_u16_sdwa s[12:13], v11, s4 src0_sel:BYTE_0 src1_sel:DWORD
	s_mov_b64 s[4:5], -1
                                        ; implicit-def: $sgpr10
	s_and_saveexec_b64 s[8:9], s[12:13]
; %bb.3434:
	s_mov_b32 s10, 0x7f800001
	s_xor_b64 s[4:5], exec, -1
; %bb.3435:
	s_or_b64 exec, exec, s[8:9]
	s_and_b64 s[4:5], s[4:5], exec
	s_or_saveexec_b64 s[6:7], s[6:7]
	v_mov_b32_e32 v10, s10
	s_xor_b64 exec, exec, s[6:7]
	s_cbranch_execz .LBB12_1386
.LBB12_3436:
	v_mov_b32_e32 v10, 0
	v_cmp_ne_u16_sdwa s[8:9], v11, v10 src0_sel:BYTE_0 src1_sel:DWORD
	s_andn2_b64 s[4:5], s[4:5], exec
	s_and_b64 s[8:9], s[8:9], exec
	s_or_b64 s[4:5], s[4:5], s[8:9]
	s_or_b64 exec, exec, s[6:7]
	s_and_saveexec_b64 s[6:7], s[4:5]
	s_cbranch_execnz .LBB12_1387
	s_branch .LBB12_1388
.LBB12_3437:
	s_movk_i32 s4, 0x80
	v_cmp_eq_u16_sdwa s[12:13], v11, s4 src0_sel:BYTE_0 src1_sel:DWORD
	s_mov_b64 s[4:5], -1
                                        ; implicit-def: $sgpr10
	s_and_saveexec_b64 s[8:9], s[12:13]
; %bb.3438:
	s_mov_b32 s10, 0x7f800001
	s_xor_b64 s[4:5], exec, -1
; %bb.3439:
	s_or_b64 exec, exec, s[8:9]
	s_and_b64 s[4:5], s[4:5], exec
	s_or_saveexec_b64 s[6:7], s[6:7]
	v_mov_b32_e32 v12, s10
	s_xor_b64 exec, exec, s[6:7]
	s_cbranch_execz .LBB12_1390
.LBB12_3440:
	v_mov_b32_e32 v12, 0
	v_cmp_ne_u16_sdwa s[8:9], v11, v12 src0_sel:BYTE_0 src1_sel:DWORD
	s_andn2_b64 s[4:5], s[4:5], exec
	s_and_b64 s[8:9], s[8:9], exec
	s_or_b64 s[4:5], s[4:5], s[8:9]
	s_or_b64 exec, exec, s[6:7]
	s_and_saveexec_b64 s[6:7], s[4:5]
	s_cbranch_execnz .LBB12_1391
	s_branch .LBB12_1392
.LBB12_3441:
	s_movk_i32 s4, 0x80
	v_cmp_eq_u16_e32 vcc, s4, v11
	s_mov_b64 s[4:5], -1
                                        ; implicit-def: $sgpr10
	s_and_saveexec_b64 s[8:9], vcc
; %bb.3442:
	s_mov_b32 s10, 0x7f800001
	s_xor_b64 s[4:5], exec, -1
; %bb.3443:
	s_or_b64 exec, exec, s[8:9]
	s_and_b64 s[4:5], s[4:5], exec
                                        ; implicit-def: $vgpr11
	s_or_saveexec_b64 s[6:7], s[6:7]
	v_mov_b32_e32 v10, s10
	s_xor_b64 exec, exec, s[6:7]
	s_cbranch_execz .LBB12_1394
.LBB12_3444:
	v_cmp_ne_u16_e32 vcc, 0, v11
	s_andn2_b64 s[4:5], s[4:5], exec
	s_and_b64 s[8:9], vcc, exec
	v_mov_b32_e32 v10, 0
	s_or_b64 s[4:5], s[4:5], s[8:9]
	s_or_b64 exec, exec, s[6:7]
	s_and_saveexec_b64 s[6:7], s[4:5]
	s_cbranch_execnz .LBB12_1395
	s_branch .LBB12_1396
.LBB12_3445:
	s_movk_i32 s4, 0x80
	v_cmp_eq_u16_e32 vcc, s4, v11
	s_mov_b64 s[4:5], -1
                                        ; implicit-def: $sgpr10
	s_and_saveexec_b64 s[8:9], vcc
; %bb.3446:
	s_mov_b32 s10, 0x7f800001
	s_xor_b64 s[4:5], exec, -1
; %bb.3447:
	s_or_b64 exec, exec, s[8:9]
	s_and_b64 s[4:5], s[4:5], exec
                                        ; implicit-def: $vgpr11
	s_or_saveexec_b64 s[6:7], s[6:7]
	v_mov_b32_e32 v12, s10
	s_xor_b64 exec, exec, s[6:7]
	s_cbranch_execz .LBB12_1398
.LBB12_3448:
	v_cmp_ne_u16_e32 vcc, 0, v11
	s_andn2_b64 s[4:5], s[4:5], exec
	s_and_b64 s[8:9], vcc, exec
	v_mov_b32_e32 v12, 0
	s_or_b64 s[4:5], s[4:5], s[8:9]
	s_or_b64 exec, exec, s[6:7]
	s_and_saveexec_b64 s[6:7], s[4:5]
	s_cbranch_execnz .LBB12_1399
	s_branch .LBB12_1400
.LBB12_3449:
	s_movk_i32 s4, 0x80
	v_cmp_eq_u16_sdwa s[12:13], v17, s4 src0_sel:BYTE_3 src1_sel:DWORD
	s_mov_b64 s[4:5], -1
                                        ; implicit-def: $sgpr10
	s_and_saveexec_b64 s[8:9], s[12:13]
; %bb.3450:
	s_mov_b32 s10, 0x7f800001
	s_xor_b64 s[4:5], exec, -1
; %bb.3451:
	s_or_b64 exec, exec, s[8:9]
	s_and_b64 s[4:5], s[4:5], exec
	s_or_saveexec_b64 s[6:7], s[6:7]
	v_mov_b32_e32 v10, s10
	s_xor_b64 exec, exec, s[6:7]
	s_cbranch_execz .LBB12_1402
.LBB12_3452:
	v_mov_b32_e32 v10, 0
	v_cmp_ne_u16_sdwa s[8:9], v17, v10 src0_sel:BYTE_3 src1_sel:DWORD
	s_andn2_b64 s[4:5], s[4:5], exec
	s_and_b64 s[8:9], s[8:9], exec
	s_or_b64 s[4:5], s[4:5], s[8:9]
	s_or_b64 exec, exec, s[6:7]
	s_and_saveexec_b64 s[6:7], s[4:5]
	s_cbranch_execnz .LBB12_1403
	s_branch .LBB12_1404
.LBB12_3453:
	s_movk_i32 s4, 0x80
	v_cmp_eq_u16_sdwa s[12:13], v13, s4 src0_sel:BYTE_3 src1_sel:DWORD
	s_mov_b64 s[4:5], -1
                                        ; implicit-def: $sgpr10
	s_and_saveexec_b64 s[8:9], s[12:13]
; %bb.3454:
	s_mov_b32 s10, 0x7f800001
	s_xor_b64 s[4:5], exec, -1
; %bb.3455:
	s_or_b64 exec, exec, s[8:9]
	s_and_b64 s[4:5], s[4:5], exec
	s_or_saveexec_b64 s[6:7], s[6:7]
	v_mov_b32_e32 v11, s10
	s_xor_b64 exec, exec, s[6:7]
	s_cbranch_execz .LBB12_1406
.LBB12_3456:
	v_mov_b32_e32 v11, 0
	v_cmp_ne_u16_sdwa s[8:9], v13, v11 src0_sel:BYTE_3 src1_sel:DWORD
	s_andn2_b64 s[4:5], s[4:5], exec
	s_and_b64 s[8:9], s[8:9], exec
	s_or_b64 s[4:5], s[4:5], s[8:9]
	s_or_b64 exec, exec, s[6:7]
	s_and_saveexec_b64 s[6:7], s[4:5]
	s_cbranch_execnz .LBB12_1407
	s_branch .LBB12_1408
.LBB12_3457:
	s_movk_i32 s4, 0x80
	v_cmp_eq_u16_sdwa s[12:13], v6, s4 src0_sel:BYTE_0 src1_sel:DWORD
	s_mov_b64 s[4:5], -1
                                        ; implicit-def: $sgpr10
	s_and_saveexec_b64 s[8:9], s[12:13]
; %bb.3458:
	s_mov_b32 s10, 0x7f800001
	s_xor_b64 s[4:5], exec, -1
; %bb.3459:
	s_or_b64 exec, exec, s[8:9]
	s_and_b64 s[4:5], s[4:5], exec
	s_or_saveexec_b64 s[6:7], s[6:7]
	v_mov_b32_e32 v10, s10
	s_xor_b64 exec, exec, s[6:7]
	s_cbranch_execz .LBB12_1410
.LBB12_3460:
	v_mov_b32_e32 v10, 0
	v_cmp_ne_u16_sdwa s[8:9], v6, v10 src0_sel:BYTE_0 src1_sel:DWORD
	s_andn2_b64 s[4:5], s[4:5], exec
	s_and_b64 s[8:9], s[8:9], exec
	s_or_b64 s[4:5], s[4:5], s[8:9]
	s_or_b64 exec, exec, s[6:7]
	s_and_saveexec_b64 s[6:7], s[4:5]
	s_cbranch_execnz .LBB12_1411
	s_branch .LBB12_1412
.LBB12_3461:
	s_movk_i32 s4, 0x80
	v_cmp_eq_u16_sdwa s[12:13], v2, s4 src0_sel:BYTE_0 src1_sel:DWORD
	s_mov_b64 s[4:5], -1
                                        ; implicit-def: $sgpr10
	s_and_saveexec_b64 s[8:9], s[12:13]
; %bb.3462:
	s_mov_b32 s10, 0x7f800001
	s_xor_b64 s[4:5], exec, -1
; %bb.3463:
	s_or_b64 exec, exec, s[8:9]
	s_and_b64 s[4:5], s[4:5], exec
	s_or_saveexec_b64 s[6:7], s[6:7]
	v_mov_b32_e32 v11, s10
	s_xor_b64 exec, exec, s[6:7]
	s_cbranch_execz .LBB12_1414
.LBB12_3464:
	v_mov_b32_e32 v11, 0
	v_cmp_ne_u16_sdwa s[8:9], v2, v11 src0_sel:BYTE_0 src1_sel:DWORD
	s_andn2_b64 s[4:5], s[4:5], exec
	s_and_b64 s[8:9], s[8:9], exec
	s_or_b64 s[4:5], s[4:5], s[8:9]
	s_or_b64 exec, exec, s[6:7]
	s_and_saveexec_b64 s[6:7], s[4:5]
	s_cbranch_execnz .LBB12_1415
	s_branch .LBB12_1416
.LBB12_3465:
	s_movk_i32 s4, 0x80
	v_cmp_eq_u16_sdwa s[12:13], v11, s4 src0_sel:BYTE_0 src1_sel:DWORD
	s_mov_b64 s[4:5], -1
                                        ; implicit-def: $sgpr10
	s_and_saveexec_b64 s[8:9], s[12:13]
; %bb.3466:
	s_mov_b32 s10, 0x7f800001
	s_xor_b64 s[4:5], exec, -1
; %bb.3467:
	s_or_b64 exec, exec, s[8:9]
	s_and_b64 s[4:5], s[4:5], exec
	s_or_saveexec_b64 s[6:7], s[6:7]
	v_mov_b32_e32 v10, s10
	s_xor_b64 exec, exec, s[6:7]
	s_cbranch_execz .LBB12_1418
.LBB12_3468:
	v_mov_b32_e32 v10, 0
	v_cmp_ne_u16_sdwa s[8:9], v11, v10 src0_sel:BYTE_0 src1_sel:DWORD
	s_andn2_b64 s[4:5], s[4:5], exec
	s_and_b64 s[8:9], s[8:9], exec
	s_or_b64 s[4:5], s[4:5], s[8:9]
	s_or_b64 exec, exec, s[6:7]
	s_and_saveexec_b64 s[6:7], s[4:5]
	s_cbranch_execnz .LBB12_1419
	s_branch .LBB12_1420
.LBB12_3469:
	s_movk_i32 s4, 0x80
	v_cmp_eq_u16_sdwa s[12:13], v11, s4 src0_sel:BYTE_0 src1_sel:DWORD
	s_mov_b64 s[4:5], -1
                                        ; implicit-def: $sgpr10
	s_and_saveexec_b64 s[8:9], s[12:13]
; %bb.3470:
	s_mov_b32 s10, 0x7f800001
	s_xor_b64 s[4:5], exec, -1
; %bb.3471:
	s_or_b64 exec, exec, s[8:9]
	s_and_b64 s[4:5], s[4:5], exec
	s_or_saveexec_b64 s[6:7], s[6:7]
	v_mov_b32_e32 v12, s10
	s_xor_b64 exec, exec, s[6:7]
	s_cbranch_execz .LBB12_1422
.LBB12_3472:
	v_mov_b32_e32 v12, 0
	v_cmp_ne_u16_sdwa s[8:9], v11, v12 src0_sel:BYTE_0 src1_sel:DWORD
	s_andn2_b64 s[4:5], s[4:5], exec
	s_and_b64 s[8:9], s[8:9], exec
	s_or_b64 s[4:5], s[4:5], s[8:9]
	s_or_b64 exec, exec, s[6:7]
	s_and_saveexec_b64 s[6:7], s[4:5]
	s_cbranch_execnz .LBB12_1423
	s_branch .LBB12_1424
.LBB12_3473:
	s_movk_i32 s4, 0x80
	v_cmp_eq_u16_e32 vcc, s4, v11
	s_mov_b64 s[4:5], -1
                                        ; implicit-def: $sgpr10
	s_and_saveexec_b64 s[8:9], vcc
; %bb.3474:
	s_mov_b32 s10, 0x7f800001
	s_xor_b64 s[4:5], exec, -1
; %bb.3475:
	s_or_b64 exec, exec, s[8:9]
	s_and_b64 s[4:5], s[4:5], exec
                                        ; implicit-def: $vgpr11
	s_or_saveexec_b64 s[6:7], s[6:7]
	v_mov_b32_e32 v10, s10
	s_xor_b64 exec, exec, s[6:7]
	s_cbranch_execz .LBB12_1426
.LBB12_3476:
	v_cmp_ne_u16_e32 vcc, 0, v11
	s_andn2_b64 s[4:5], s[4:5], exec
	s_and_b64 s[8:9], vcc, exec
	v_mov_b32_e32 v10, 0
	s_or_b64 s[4:5], s[4:5], s[8:9]
	s_or_b64 exec, exec, s[6:7]
	s_and_saveexec_b64 s[6:7], s[4:5]
	s_cbranch_execnz .LBB12_1427
	s_branch .LBB12_1428
.LBB12_3477:
	s_movk_i32 s4, 0x80
	v_cmp_eq_u16_e32 vcc, s4, v11
	s_mov_b64 s[4:5], -1
                                        ; implicit-def: $sgpr10
	s_and_saveexec_b64 s[8:9], vcc
; %bb.3478:
	s_mov_b32 s10, 0x7f800001
	s_xor_b64 s[4:5], exec, -1
; %bb.3479:
	s_or_b64 exec, exec, s[8:9]
	s_and_b64 s[4:5], s[4:5], exec
                                        ; implicit-def: $vgpr11
	s_or_saveexec_b64 s[6:7], s[6:7]
	v_mov_b32_e32 v12, s10
	s_xor_b64 exec, exec, s[6:7]
	s_cbranch_execz .LBB12_1430
.LBB12_3480:
	v_cmp_ne_u16_e32 vcc, 0, v11
	s_andn2_b64 s[4:5], s[4:5], exec
	s_and_b64 s[8:9], vcc, exec
	v_mov_b32_e32 v12, 0
	s_or_b64 s[4:5], s[4:5], s[8:9]
	s_or_b64 exec, exec, s[6:7]
	s_and_saveexec_b64 s[6:7], s[4:5]
	s_cbranch_execnz .LBB12_1431
	s_branch .LBB12_1432
.LBB12_3481:
	s_movk_i32 s4, 0x80
	v_cmp_eq_u16_sdwa s[12:13], v6, s4 src0_sel:BYTE_3 src1_sel:DWORD
	s_mov_b64 s[4:5], -1
                                        ; implicit-def: $sgpr10
	s_and_saveexec_b64 s[8:9], s[12:13]
; %bb.3482:
	s_mov_b32 s10, 0x7f800001
	s_xor_b64 s[4:5], exec, -1
; %bb.3483:
	s_or_b64 exec, exec, s[8:9]
	s_and_b64 s[4:5], s[4:5], exec
	s_or_saveexec_b64 s[6:7], s[6:7]
	v_mov_b32_e32 v10, s10
	s_xor_b64 exec, exec, s[6:7]
	s_cbranch_execz .LBB12_1434
.LBB12_3484:
	v_mov_b32_e32 v10, 0
	v_cmp_ne_u16_sdwa s[8:9], v6, v10 src0_sel:BYTE_3 src1_sel:DWORD
	s_andn2_b64 s[4:5], s[4:5], exec
	s_and_b64 s[8:9], s[8:9], exec
	s_or_b64 s[4:5], s[4:5], s[8:9]
	s_or_b64 exec, exec, s[6:7]
	s_and_saveexec_b64 s[6:7], s[4:5]
	s_cbranch_execnz .LBB12_1435
	s_branch .LBB12_1436
.LBB12_3485:
	s_movk_i32 s4, 0x80
	v_cmp_eq_u16_sdwa s[12:13], v2, s4 src0_sel:BYTE_3 src1_sel:DWORD
	s_mov_b64 s[4:5], -1
                                        ; implicit-def: $sgpr10
	s_and_saveexec_b64 s[8:9], s[12:13]
; %bb.3486:
	s_mov_b32 s10, 0x7f800001
	s_xor_b64 s[4:5], exec, -1
; %bb.3487:
	s_or_b64 exec, exec, s[8:9]
	s_and_b64 s[4:5], s[4:5], exec
	s_or_saveexec_b64 s[6:7], s[6:7]
	v_mov_b32_e32 v6, s10
	s_xor_b64 exec, exec, s[6:7]
	s_cbranch_execz .LBB12_1438
.LBB12_3488:
	v_mov_b32_e32 v6, 0
	v_cmp_ne_u16_sdwa s[8:9], v2, v6 src0_sel:BYTE_3 src1_sel:DWORD
	s_andn2_b64 s[4:5], s[4:5], exec
	s_and_b64 s[8:9], s[8:9], exec
	s_or_b64 s[4:5], s[4:5], s[8:9]
	s_or_b64 exec, exec, s[6:7]
	s_and_saveexec_b64 s[6:7], s[4:5]
	s_cbranch_execnz .LBB12_1439
	s_branch .LBB12_1440
.LBB12_3489:
	s_movk_i32 s4, 0x80
	v_cmp_eq_u16_sdwa s[12:13], v7, s4 src0_sel:BYTE_0 src1_sel:DWORD
	s_mov_b64 s[4:5], -1
                                        ; implicit-def: $sgpr10
	s_and_saveexec_b64 s[8:9], s[12:13]
; %bb.3490:
	s_mov_b32 s10, 0x7f800001
	s_xor_b64 s[4:5], exec, -1
; %bb.3491:
	s_or_b64 exec, exec, s[8:9]
	s_and_b64 s[4:5], s[4:5], exec
	s_or_saveexec_b64 s[6:7], s[6:7]
	v_mov_b32_e32 v2, s10
	s_xor_b64 exec, exec, s[6:7]
	s_cbranch_execz .LBB12_1442
.LBB12_3492:
	v_mov_b32_e32 v2, 0
	v_cmp_ne_u16_sdwa s[8:9], v7, v2 src0_sel:BYTE_0 src1_sel:DWORD
	s_andn2_b64 s[4:5], s[4:5], exec
	s_and_b64 s[8:9], s[8:9], exec
	s_or_b64 s[4:5], s[4:5], s[8:9]
	s_or_b64 exec, exec, s[6:7]
	s_and_saveexec_b64 s[6:7], s[4:5]
	s_cbranch_execnz .LBB12_1443
	s_branch .LBB12_1444
.LBB12_3493:
	s_movk_i32 s4, 0x80
	v_cmp_eq_u16_sdwa s[12:13], v3, s4 src0_sel:BYTE_0 src1_sel:DWORD
	s_mov_b64 s[4:5], -1
                                        ; implicit-def: $sgpr10
	s_and_saveexec_b64 s[8:9], s[12:13]
; %bb.3494:
	s_mov_b32 s10, 0x7f800001
	s_xor_b64 s[4:5], exec, -1
; %bb.3495:
	s_or_b64 exec, exec, s[8:9]
	s_and_b64 s[4:5], s[4:5], exec
	s_or_saveexec_b64 s[6:7], s[6:7]
	v_mov_b32_e32 v6, s10
	s_xor_b64 exec, exec, s[6:7]
	s_cbranch_execz .LBB12_1446
.LBB12_3496:
	v_mov_b32_e32 v6, 0
	v_cmp_ne_u16_sdwa s[8:9], v3, v6 src0_sel:BYTE_0 src1_sel:DWORD
	s_andn2_b64 s[4:5], s[4:5], exec
	s_and_b64 s[8:9], s[8:9], exec
	s_or_b64 s[4:5], s[4:5], s[8:9]
	s_or_b64 exec, exec, s[6:7]
	s_and_saveexec_b64 s[6:7], s[4:5]
	s_cbranch_execnz .LBB12_1447
	s_branch .LBB12_1448
.LBB12_3497:
	s_movk_i32 s4, 0x80
	v_cmp_eq_u16_sdwa s[12:13], v6, s4 src0_sel:BYTE_0 src1_sel:DWORD
	s_mov_b64 s[4:5], -1
                                        ; implicit-def: $sgpr10
	s_and_saveexec_b64 s[8:9], s[12:13]
; %bb.3498:
	s_mov_b32 s10, 0x7f800001
	s_xor_b64 s[4:5], exec, -1
; %bb.3499:
	s_or_b64 exec, exec, s[8:9]
	s_and_b64 s[4:5], s[4:5], exec
	s_or_saveexec_b64 s[6:7], s[6:7]
	v_mov_b32_e32 v2, s10
	s_xor_b64 exec, exec, s[6:7]
	s_cbranch_execz .LBB12_1450
.LBB12_3500:
	v_mov_b32_e32 v2, 0
	v_cmp_ne_u16_sdwa s[8:9], v6, v2 src0_sel:BYTE_0 src1_sel:DWORD
	s_andn2_b64 s[4:5], s[4:5], exec
	s_and_b64 s[8:9], s[8:9], exec
	s_or_b64 s[4:5], s[4:5], s[8:9]
	s_or_b64 exec, exec, s[6:7]
	s_and_saveexec_b64 s[6:7], s[4:5]
	s_cbranch_execnz .LBB12_1451
	s_branch .LBB12_1452
.LBB12_3501:
	s_movk_i32 s4, 0x80
	v_cmp_eq_u16_sdwa s[12:13], v6, s4 src0_sel:BYTE_0 src1_sel:DWORD
	s_mov_b64 s[4:5], -1
                                        ; implicit-def: $sgpr10
	s_and_saveexec_b64 s[8:9], s[12:13]
; %bb.3502:
	s_mov_b32 s10, 0x7f800001
	s_xor_b64 s[4:5], exec, -1
; %bb.3503:
	s_or_b64 exec, exec, s[8:9]
	s_and_b64 s[4:5], s[4:5], exec
	s_or_saveexec_b64 s[6:7], s[6:7]
	v_mov_b32_e32 v10, s10
	s_xor_b64 exec, exec, s[6:7]
	s_cbranch_execz .LBB12_1454
.LBB12_3504:
	v_mov_b32_e32 v10, 0
	v_cmp_ne_u16_sdwa s[8:9], v6, v10 src0_sel:BYTE_0 src1_sel:DWORD
	s_andn2_b64 s[4:5], s[4:5], exec
	s_and_b64 s[8:9], s[8:9], exec
	s_or_b64 s[4:5], s[4:5], s[8:9]
	s_or_b64 exec, exec, s[6:7]
	s_and_saveexec_b64 s[6:7], s[4:5]
	s_cbranch_execnz .LBB12_1455
	s_branch .LBB12_1456
.LBB12_3505:
	s_movk_i32 s4, 0x80
	v_cmp_eq_u16_e32 vcc, s4, v6
	s_mov_b64 s[4:5], -1
                                        ; implicit-def: $sgpr10
	s_and_saveexec_b64 s[8:9], vcc
; %bb.3506:
	s_mov_b32 s10, 0x7f800001
	s_xor_b64 s[4:5], exec, -1
; %bb.3507:
	s_or_b64 exec, exec, s[8:9]
	s_and_b64 s[4:5], s[4:5], exec
                                        ; implicit-def: $vgpr6
	s_or_saveexec_b64 s[6:7], s[6:7]
	v_mov_b32_e32 v2, s10
	s_xor_b64 exec, exec, s[6:7]
	s_cbranch_execz .LBB12_1458
.LBB12_3508:
	v_cmp_ne_u16_e32 vcc, 0, v6
	s_andn2_b64 s[4:5], s[4:5], exec
	s_and_b64 s[8:9], vcc, exec
	v_mov_b32_e32 v2, 0
	s_or_b64 s[4:5], s[4:5], s[8:9]
	s_or_b64 exec, exec, s[6:7]
	s_and_saveexec_b64 s[6:7], s[4:5]
	s_cbranch_execnz .LBB12_1459
	s_branch .LBB12_1460
.LBB12_3509:
	s_movk_i32 s4, 0x80
	v_cmp_eq_u16_e32 vcc, s4, v6
	s_mov_b64 s[4:5], -1
                                        ; implicit-def: $sgpr10
	s_and_saveexec_b64 s[8:9], vcc
; %bb.3510:
	s_mov_b32 s10, 0x7f800001
	s_xor_b64 s[4:5], exec, -1
; %bb.3511:
	s_or_b64 exec, exec, s[8:9]
	s_and_b64 s[4:5], s[4:5], exec
                                        ; implicit-def: $vgpr6
	s_or_saveexec_b64 s[6:7], s[6:7]
	v_mov_b32_e32 v10, s10
	s_xor_b64 exec, exec, s[6:7]
	s_cbranch_execz .LBB12_1462
.LBB12_3512:
	v_cmp_ne_u16_e32 vcc, 0, v6
	s_andn2_b64 s[4:5], s[4:5], exec
	s_and_b64 s[8:9], vcc, exec
	v_mov_b32_e32 v10, 0
	s_or_b64 s[4:5], s[4:5], s[8:9]
	s_or_b64 exec, exec, s[6:7]
	s_and_saveexec_b64 s[6:7], s[4:5]
	s_cbranch_execnz .LBB12_1463
	s_branch .LBB12_1464
.LBB12_3513:
	s_movk_i32 s4, 0x80
	v_cmp_eq_u16_sdwa s[12:13], v7, s4 src0_sel:BYTE_3 src1_sel:DWORD
	s_mov_b64 s[4:5], -1
                                        ; implicit-def: $sgpr10
	s_and_saveexec_b64 s[8:9], s[12:13]
; %bb.3514:
	s_mov_b32 s10, 0x7f800001
	s_xor_b64 s[4:5], exec, -1
; %bb.3515:
	s_or_b64 exec, exec, s[8:9]
	s_and_b64 s[4:5], s[4:5], exec
	s_or_saveexec_b64 s[6:7], s[6:7]
	v_mov_b32_e32 v2, s10
	s_xor_b64 exec, exec, s[6:7]
	s_cbranch_execz .LBB12_1466
.LBB12_3516:
	v_mov_b32_e32 v2, 0
	v_cmp_ne_u16_sdwa s[8:9], v7, v2 src0_sel:BYTE_3 src1_sel:DWORD
	s_andn2_b64 s[4:5], s[4:5], exec
	s_and_b64 s[8:9], s[8:9], exec
	s_or_b64 s[4:5], s[4:5], s[8:9]
	s_or_b64 exec, exec, s[6:7]
	s_and_saveexec_b64 s[6:7], s[4:5]
	s_cbranch_execnz .LBB12_1467
	s_branch .LBB12_1468
.LBB12_3517:
	s_movk_i32 s4, 0x80
	v_cmp_eq_u16_sdwa s[12:13], v3, s4 src0_sel:BYTE_3 src1_sel:DWORD
	s_mov_b64 s[4:5], -1
                                        ; implicit-def: $sgpr10
	s_and_saveexec_b64 s[8:9], s[12:13]
; %bb.3518:
	s_mov_b32 s10, 0x7f800001
	s_xor_b64 s[4:5], exec, -1
; %bb.3519:
	s_or_b64 exec, exec, s[8:9]
	s_and_b64 s[4:5], s[4:5], exec
	s_or_saveexec_b64 s[6:7], s[6:7]
	v_mov_b32_e32 v6, s10
	s_xor_b64 exec, exec, s[6:7]
	s_cbranch_execz .LBB12_1470
.LBB12_3520:
	v_mov_b32_e32 v6, 0
	v_cmp_ne_u16_sdwa s[8:9], v3, v6 src0_sel:BYTE_3 src1_sel:DWORD
	s_andn2_b64 s[4:5], s[4:5], exec
	s_and_b64 s[8:9], s[8:9], exec
	s_or_b64 s[4:5], s[4:5], s[8:9]
	s_or_b64 exec, exec, s[6:7]
	s_and_saveexec_b64 s[6:7], s[4:5]
	s_cbranch_execnz .LBB12_1471
	s_branch .LBB12_1472
.LBB12_3521:
	s_movk_i32 s4, 0x80
	v_cmp_eq_u16_sdwa s[12:13], v8, s4 src0_sel:BYTE_0 src1_sel:DWORD
	s_mov_b64 s[4:5], -1
                                        ; implicit-def: $sgpr10
	s_and_saveexec_b64 s[8:9], s[12:13]
; %bb.3522:
	s_mov_b32 s10, 0x7f800001
	s_xor_b64 s[4:5], exec, -1
; %bb.3523:
	s_or_b64 exec, exec, s[8:9]
	s_and_b64 s[4:5], s[4:5], exec
	s_or_saveexec_b64 s[6:7], s[6:7]
	v_mov_b32_e32 v2, s10
	s_xor_b64 exec, exec, s[6:7]
	s_cbranch_execz .LBB12_1474
.LBB12_3524:
	v_mov_b32_e32 v2, 0
	v_cmp_ne_u16_sdwa s[8:9], v8, v2 src0_sel:BYTE_0 src1_sel:DWORD
	s_andn2_b64 s[4:5], s[4:5], exec
	s_and_b64 s[8:9], s[8:9], exec
	s_or_b64 s[4:5], s[4:5], s[8:9]
	s_or_b64 exec, exec, s[6:7]
	s_and_saveexec_b64 s[6:7], s[4:5]
	s_cbranch_execnz .LBB12_1475
	s_branch .LBB12_1476
.LBB12_3525:
	s_movk_i32 s4, 0x80
	v_cmp_eq_u16_sdwa s[12:13], v4, s4 src0_sel:BYTE_0 src1_sel:DWORD
	s_mov_b64 s[4:5], -1
                                        ; implicit-def: $sgpr10
	s_and_saveexec_b64 s[8:9], s[12:13]
; %bb.3526:
	s_mov_b32 s10, 0x7f800001
	s_xor_b64 s[4:5], exec, -1
; %bb.3527:
	s_or_b64 exec, exec, s[8:9]
	s_and_b64 s[4:5], s[4:5], exec
	s_or_saveexec_b64 s[6:7], s[6:7]
	v_mov_b32_e32 v3, s10
	s_xor_b64 exec, exec, s[6:7]
	s_cbranch_execz .LBB12_1478
.LBB12_3528:
	v_mov_b32_e32 v3, 0
	v_cmp_ne_u16_sdwa s[8:9], v4, v3 src0_sel:BYTE_0 src1_sel:DWORD
	s_andn2_b64 s[4:5], s[4:5], exec
	s_and_b64 s[8:9], s[8:9], exec
	s_or_b64 s[4:5], s[4:5], s[8:9]
	s_or_b64 exec, exec, s[6:7]
	s_and_saveexec_b64 s[6:7], s[4:5]
	s_cbranch_execnz .LBB12_1479
	s_branch .LBB12_1480
.LBB12_3529:
	s_movk_i32 s4, 0x80
	v_cmp_eq_u16_sdwa s[12:13], v3, s4 src0_sel:BYTE_0 src1_sel:DWORD
	s_mov_b64 s[4:5], -1
                                        ; implicit-def: $sgpr10
	s_and_saveexec_b64 s[8:9], s[12:13]
; %bb.3530:
	s_mov_b32 s10, 0x7f800001
	s_xor_b64 s[4:5], exec, -1
; %bb.3531:
	s_or_b64 exec, exec, s[8:9]
	s_and_b64 s[4:5], s[4:5], exec
	s_or_saveexec_b64 s[6:7], s[6:7]
	v_mov_b32_e32 v2, s10
	s_xor_b64 exec, exec, s[6:7]
	s_cbranch_execz .LBB12_1482
.LBB12_3532:
	v_mov_b32_e32 v2, 0
	v_cmp_ne_u16_sdwa s[8:9], v3, v2 src0_sel:BYTE_0 src1_sel:DWORD
	s_andn2_b64 s[4:5], s[4:5], exec
	s_and_b64 s[8:9], s[8:9], exec
	s_or_b64 s[4:5], s[4:5], s[8:9]
	s_or_b64 exec, exec, s[6:7]
	s_and_saveexec_b64 s[6:7], s[4:5]
	s_cbranch_execnz .LBB12_1483
	s_branch .LBB12_1484
.LBB12_3533:
	s_movk_i32 s4, 0x80
	v_cmp_eq_u16_sdwa s[12:13], v3, s4 src0_sel:BYTE_0 src1_sel:DWORD
	s_mov_b64 s[4:5], -1
                                        ; implicit-def: $sgpr10
	s_and_saveexec_b64 s[8:9], s[12:13]
; %bb.3534:
	s_mov_b32 s10, 0x7f800001
	s_xor_b64 s[4:5], exec, -1
; %bb.3535:
	s_or_b64 exec, exec, s[8:9]
	s_and_b64 s[4:5], s[4:5], exec
	s_or_saveexec_b64 s[6:7], s[6:7]
	v_mov_b32_e32 v6, s10
	s_xor_b64 exec, exec, s[6:7]
	s_cbranch_execz .LBB12_1486
.LBB12_3536:
	v_mov_b32_e32 v6, 0
	v_cmp_ne_u16_sdwa s[8:9], v3, v6 src0_sel:BYTE_0 src1_sel:DWORD
	s_andn2_b64 s[4:5], s[4:5], exec
	s_and_b64 s[8:9], s[8:9], exec
	s_or_b64 s[4:5], s[4:5], s[8:9]
	s_or_b64 exec, exec, s[6:7]
	s_and_saveexec_b64 s[6:7], s[4:5]
	s_cbranch_execnz .LBB12_1487
	s_branch .LBB12_1488
.LBB12_3537:
	s_movk_i32 s4, 0x80
	v_cmp_eq_u16_e32 vcc, s4, v3
	s_mov_b64 s[4:5], -1
                                        ; implicit-def: $sgpr10
	s_and_saveexec_b64 s[8:9], vcc
; %bb.3538:
	s_mov_b32 s10, 0x7f800001
	s_xor_b64 s[4:5], exec, -1
; %bb.3539:
	s_or_b64 exec, exec, s[8:9]
	s_and_b64 s[4:5], s[4:5], exec
                                        ; implicit-def: $vgpr3
	s_or_saveexec_b64 s[6:7], s[6:7]
	v_mov_b32_e32 v2, s10
	s_xor_b64 exec, exec, s[6:7]
	s_cbranch_execz .LBB12_1490
.LBB12_3540:
	v_cmp_ne_u16_e32 vcc, 0, v3
	s_andn2_b64 s[4:5], s[4:5], exec
	s_and_b64 s[8:9], vcc, exec
	v_mov_b32_e32 v2, 0
	s_or_b64 s[4:5], s[4:5], s[8:9]
	s_or_b64 exec, exec, s[6:7]
	s_and_saveexec_b64 s[6:7], s[4:5]
	s_cbranch_execnz .LBB12_1491
	s_branch .LBB12_1492
.LBB12_3541:
	s_movk_i32 s4, 0x80
	v_cmp_eq_u16_e32 vcc, s4, v3
	s_mov_b64 s[4:5], -1
                                        ; implicit-def: $sgpr10
	s_and_saveexec_b64 s[8:9], vcc
; %bb.3542:
	s_mov_b32 s10, 0x7f800001
	s_xor_b64 s[4:5], exec, -1
; %bb.3543:
	s_or_b64 exec, exec, s[8:9]
	s_and_b64 s[4:5], s[4:5], exec
                                        ; implicit-def: $vgpr3
	s_or_saveexec_b64 s[6:7], s[6:7]
	v_mov_b32_e32 v6, s10
	s_xor_b64 exec, exec, s[6:7]
	s_cbranch_execz .LBB12_1494
.LBB12_3544:
	v_cmp_ne_u16_e32 vcc, 0, v3
	s_andn2_b64 s[4:5], s[4:5], exec
	s_and_b64 s[8:9], vcc, exec
	v_mov_b32_e32 v6, 0
	s_or_b64 s[4:5], s[4:5], s[8:9]
	s_or_b64 exec, exec, s[6:7]
	s_and_saveexec_b64 s[6:7], s[4:5]
	s_cbranch_execnz .LBB12_1495
	s_branch .LBB12_1496
.LBB12_3545:
	s_movk_i32 s4, 0x80
	v_cmp_eq_u16_sdwa s[12:13], v8, s4 src0_sel:BYTE_3 src1_sel:DWORD
	s_mov_b64 s[4:5], -1
                                        ; implicit-def: $sgpr10
	s_and_saveexec_b64 s[8:9], s[12:13]
; %bb.3546:
	s_mov_b32 s10, 0x7f800001
	s_xor_b64 s[4:5], exec, -1
; %bb.3547:
	s_or_b64 exec, exec, s[8:9]
	s_and_b64 s[4:5], s[4:5], exec
	s_or_saveexec_b64 s[6:7], s[6:7]
	v_mov_b32_e32 v2, s10
	s_xor_b64 exec, exec, s[6:7]
	s_cbranch_execz .LBB12_1498
.LBB12_3548:
	v_mov_b32_e32 v2, 0
	v_cmp_ne_u16_sdwa s[8:9], v8, v2 src0_sel:BYTE_3 src1_sel:DWORD
	s_andn2_b64 s[4:5], s[4:5], exec
	s_and_b64 s[8:9], s[8:9], exec
	s_or_b64 s[4:5], s[4:5], s[8:9]
	s_or_b64 exec, exec, s[6:7]
	s_and_saveexec_b64 s[6:7], s[4:5]
	s_cbranch_execnz .LBB12_1499
	s_branch .LBB12_1500
.LBB12_3549:
	s_movk_i32 s4, 0x80
	v_cmp_eq_u16_sdwa s[12:13], v4, s4 src0_sel:BYTE_3 src1_sel:DWORD
	s_mov_b64 s[4:5], -1
                                        ; implicit-def: $sgpr10
	s_and_saveexec_b64 s[8:9], s[12:13]
; %bb.3550:
	s_mov_b32 s10, 0x7f800001
	s_xor_b64 s[4:5], exec, -1
; %bb.3551:
	s_or_b64 exec, exec, s[8:9]
	s_and_b64 s[4:5], s[4:5], exec
	s_or_saveexec_b64 s[6:7], s[6:7]
	v_mov_b32_e32 v3, s10
	s_xor_b64 exec, exec, s[6:7]
	s_cbranch_execz .LBB12_1502
.LBB12_3552:
	v_mov_b32_e32 v3, 0
	v_cmp_ne_u16_sdwa s[8:9], v4, v3 src0_sel:BYTE_3 src1_sel:DWORD
	s_andn2_b64 s[4:5], s[4:5], exec
	s_and_b64 s[8:9], s[8:9], exec
	s_or_b64 s[4:5], s[4:5], s[8:9]
	s_or_b64 exec, exec, s[6:7]
	s_and_saveexec_b64 s[6:7], s[4:5]
	s_cbranch_execnz .LBB12_1503
	s_branch .LBB12_1504
.LBB12_3553:
	s_movk_i32 s4, 0x80
	v_cmp_eq_u16_sdwa s[12:13], v9, s4 src0_sel:BYTE_0 src1_sel:DWORD
	s_mov_b64 s[4:5], -1
                                        ; implicit-def: $sgpr10
	s_and_saveexec_b64 s[8:9], s[12:13]
; %bb.3554:
	s_mov_b32 s10, 0x7f800001
	s_xor_b64 s[4:5], exec, -1
; %bb.3555:
	s_or_b64 exec, exec, s[8:9]
	s_and_b64 s[4:5], s[4:5], exec
	s_or_saveexec_b64 s[6:7], s[6:7]
	v_mov_b32_e32 v2, s10
	s_xor_b64 exec, exec, s[6:7]
	s_cbranch_execz .LBB12_1506
.LBB12_3556:
	v_mov_b32_e32 v2, 0
	v_cmp_ne_u16_sdwa s[8:9], v9, v2 src0_sel:BYTE_0 src1_sel:DWORD
	s_andn2_b64 s[4:5], s[4:5], exec
	s_and_b64 s[8:9], s[8:9], exec
	s_or_b64 s[4:5], s[4:5], s[8:9]
	s_or_b64 exec, exec, s[6:7]
	s_and_saveexec_b64 s[6:7], s[4:5]
	s_cbranch_execnz .LBB12_1507
	s_branch .LBB12_1508
.LBB12_3557:
	s_movk_i32 s4, 0x80
	v_cmp_eq_u16_sdwa s[12:13], v5, s4 src0_sel:BYTE_0 src1_sel:DWORD
	s_mov_b64 s[4:5], -1
                                        ; implicit-def: $sgpr10
	s_and_saveexec_b64 s[8:9], s[12:13]
; %bb.3558:
	s_mov_b32 s10, 0x7f800001
	s_xor_b64 s[4:5], exec, -1
; %bb.3559:
	s_or_b64 exec, exec, s[8:9]
	s_and_b64 s[4:5], s[4:5], exec
	s_or_saveexec_b64 s[6:7], s[6:7]
	v_mov_b32_e32 v3, s10
	s_xor_b64 exec, exec, s[6:7]
	s_cbranch_execz .LBB12_1510
.LBB12_3560:
	v_mov_b32_e32 v3, 0
	v_cmp_ne_u16_sdwa s[8:9], v5, v3 src0_sel:BYTE_0 src1_sel:DWORD
	s_andn2_b64 s[4:5], s[4:5], exec
	s_and_b64 s[8:9], s[8:9], exec
	s_or_b64 s[4:5], s[4:5], s[8:9]
	s_or_b64 exec, exec, s[6:7]
	s_and_saveexec_b64 s[6:7], s[4:5]
	s_cbranch_execnz .LBB12_1511
	s_branch .LBB12_1512
.LBB12_3561:
	s_movk_i32 s4, 0x80
	v_cmp_eq_u16_sdwa s[12:13], v3, s4 src0_sel:BYTE_0 src1_sel:DWORD
	s_mov_b64 s[4:5], -1
                                        ; implicit-def: $sgpr10
	s_and_saveexec_b64 s[8:9], s[12:13]
; %bb.3562:
	s_mov_b32 s10, 0x7f800001
	s_xor_b64 s[4:5], exec, -1
; %bb.3563:
	s_or_b64 exec, exec, s[8:9]
	s_and_b64 s[4:5], s[4:5], exec
	s_or_saveexec_b64 s[6:7], s[6:7]
	v_mov_b32_e32 v2, s10
	s_xor_b64 exec, exec, s[6:7]
	s_cbranch_execz .LBB12_1514
.LBB12_3564:
	v_mov_b32_e32 v2, 0
	v_cmp_ne_u16_sdwa s[8:9], v3, v2 src0_sel:BYTE_0 src1_sel:DWORD
	s_andn2_b64 s[4:5], s[4:5], exec
	s_and_b64 s[8:9], s[8:9], exec
	s_or_b64 s[4:5], s[4:5], s[8:9]
	s_or_b64 exec, exec, s[6:7]
	s_and_saveexec_b64 s[6:7], s[4:5]
	s_cbranch_execnz .LBB12_1515
	s_branch .LBB12_1516
.LBB12_3565:
	s_movk_i32 s4, 0x80
	v_cmp_eq_u16_sdwa s[12:13], v3, s4 src0_sel:BYTE_0 src1_sel:DWORD
	s_mov_b64 s[4:5], -1
                                        ; implicit-def: $sgpr10
	s_and_saveexec_b64 s[8:9], s[12:13]
; %bb.3566:
	s_mov_b32 s10, 0x7f800001
	s_xor_b64 s[4:5], exec, -1
; %bb.3567:
	s_or_b64 exec, exec, s[8:9]
	s_and_b64 s[4:5], s[4:5], exec
	s_or_saveexec_b64 s[6:7], s[6:7]
	v_mov_b32_e32 v4, s10
	s_xor_b64 exec, exec, s[6:7]
	s_cbranch_execz .LBB12_1518
.LBB12_3568:
	v_mov_b32_e32 v4, 0
	v_cmp_ne_u16_sdwa s[8:9], v3, v4 src0_sel:BYTE_0 src1_sel:DWORD
	s_andn2_b64 s[4:5], s[4:5], exec
	s_and_b64 s[8:9], s[8:9], exec
	s_or_b64 s[4:5], s[4:5], s[8:9]
	s_or_b64 exec, exec, s[6:7]
	s_and_saveexec_b64 s[6:7], s[4:5]
	s_cbranch_execnz .LBB12_1519
	s_branch .LBB12_1520
.LBB12_3569:
	s_movk_i32 s4, 0x80
	v_cmp_eq_u16_e32 vcc, s4, v3
	s_mov_b64 s[4:5], -1
                                        ; implicit-def: $sgpr10
	s_and_saveexec_b64 s[8:9], vcc
; %bb.3570:
	s_mov_b32 s10, 0x7f800001
	s_xor_b64 s[4:5], exec, -1
; %bb.3571:
	s_or_b64 exec, exec, s[8:9]
	s_and_b64 s[4:5], s[4:5], exec
                                        ; implicit-def: $vgpr3
	s_or_saveexec_b64 s[6:7], s[6:7]
	v_mov_b32_e32 v2, s10
	s_xor_b64 exec, exec, s[6:7]
	s_cbranch_execz .LBB12_1522
.LBB12_3572:
	v_cmp_ne_u16_e32 vcc, 0, v3
	s_andn2_b64 s[4:5], s[4:5], exec
	s_and_b64 s[8:9], vcc, exec
	v_mov_b32_e32 v2, 0
	s_or_b64 s[4:5], s[4:5], s[8:9]
	s_or_b64 exec, exec, s[6:7]
	s_and_saveexec_b64 s[6:7], s[4:5]
	s_cbranch_execnz .LBB12_1523
	s_branch .LBB12_1524
.LBB12_3573:
	s_movk_i32 s4, 0x80
	v_cmp_eq_u16_e32 vcc, s4, v3
	s_mov_b64 s[4:5], -1
                                        ; implicit-def: $sgpr10
	s_and_saveexec_b64 s[8:9], vcc
; %bb.3574:
	s_mov_b32 s10, 0x7f800001
	s_xor_b64 s[4:5], exec, -1
; %bb.3575:
	s_or_b64 exec, exec, s[8:9]
	s_and_b64 s[4:5], s[4:5], exec
                                        ; implicit-def: $vgpr3
	s_or_saveexec_b64 s[6:7], s[6:7]
	v_mov_b32_e32 v4, s10
	s_xor_b64 exec, exec, s[6:7]
	s_cbranch_execz .LBB12_1526
.LBB12_3576:
	v_cmp_ne_u16_e32 vcc, 0, v3
	s_andn2_b64 s[4:5], s[4:5], exec
	s_and_b64 s[8:9], vcc, exec
	v_mov_b32_e32 v4, 0
	s_or_b64 s[4:5], s[4:5], s[8:9]
	s_or_b64 exec, exec, s[6:7]
	s_and_saveexec_b64 s[6:7], s[4:5]
	s_cbranch_execnz .LBB12_1527
	s_branch .LBB12_1528
.LBB12_3577:
	s_movk_i32 s4, 0x80
	v_cmp_eq_u16_sdwa s[12:13], v9, s4 src0_sel:BYTE_3 src1_sel:DWORD
	s_mov_b64 s[4:5], -1
                                        ; implicit-def: $sgpr10
	s_and_saveexec_b64 s[8:9], s[12:13]
; %bb.3578:
	s_mov_b32 s10, 0x7f800001
	s_xor_b64 s[4:5], exec, -1
; %bb.3579:
	s_or_b64 exec, exec, s[8:9]
	s_and_b64 s[4:5], s[4:5], exec
	s_or_saveexec_b64 s[6:7], s[6:7]
	v_mov_b32_e32 v2, s10
	s_xor_b64 exec, exec, s[6:7]
	s_cbranch_execz .LBB12_1530
.LBB12_3580:
	v_mov_b32_e32 v2, 0
	v_cmp_ne_u16_sdwa s[8:9], v9, v2 src0_sel:BYTE_3 src1_sel:DWORD
	s_andn2_b64 s[4:5], s[4:5], exec
	s_and_b64 s[8:9], s[8:9], exec
	s_or_b64 s[4:5], s[4:5], s[8:9]
	s_or_b64 exec, exec, s[6:7]
	s_and_saveexec_b64 s[6:7], s[4:5]
	s_cbranch_execnz .LBB12_1531
	s_branch .LBB12_1532
.LBB12_3581:
	s_movk_i32 s4, 0x80
	v_cmp_eq_u16_sdwa s[12:13], v5, s4 src0_sel:BYTE_3 src1_sel:DWORD
	s_mov_b64 s[4:5], -1
                                        ; implicit-def: $sgpr10
	s_and_saveexec_b64 s[8:9], s[12:13]
; %bb.3582:
	s_mov_b32 s10, 0x7f800001
	s_xor_b64 s[4:5], exec, -1
; %bb.3583:
	s_or_b64 exec, exec, s[8:9]
	s_and_b64 s[4:5], s[4:5], exec
	s_or_saveexec_b64 s[6:7], s[6:7]
	v_mov_b32_e32 v3, s10
	s_xor_b64 exec, exec, s[6:7]
	s_cbranch_execz .LBB12_1534
.LBB12_3584:
	v_mov_b32_e32 v3, 0
	v_cmp_ne_u16_sdwa s[8:9], v5, v3 src0_sel:BYTE_3 src1_sel:DWORD
	s_andn2_b64 s[4:5], s[4:5], exec
	s_and_b64 s[8:9], s[8:9], exec
	s_or_b64 s[4:5], s[4:5], s[8:9]
	s_or_b64 exec, exec, s[6:7]
	s_and_saveexec_b64 s[6:7], s[4:5]
	s_cbranch_execnz .LBB12_1535
	s_branch .LBB12_1536
.LBB12_3585:
	s_movk_i32 s4, 0x80
	v_cmp_eq_u16_sdwa s[12:13], v14, s4 src0_sel:BYTE_0 src1_sel:DWORD
	s_mov_b64 s[4:5], -1
                                        ; implicit-def: $sgpr10
	s_and_saveexec_b64 s[8:9], s[12:13]
; %bb.3586:
	s_mov_b32 s10, 0x7f800001
	s_xor_b64 s[4:5], exec, -1
; %bb.3587:
	s_or_b64 exec, exec, s[8:9]
	s_and_b64 s[4:5], s[4:5], exec
	s_or_saveexec_b64 s[6:7], s[6:7]
	v_mov_b32_e32 v20, s10
	s_xor_b64 exec, exec, s[6:7]
	s_cbranch_execz .LBB12_1538
.LBB12_3588:
	v_mov_b32_e32 v20, 0
	v_cmp_ne_u16_sdwa s[8:9], v14, v20 src0_sel:BYTE_0 src1_sel:DWORD
	s_andn2_b64 s[4:5], s[4:5], exec
	s_and_b64 s[8:9], s[8:9], exec
	s_or_b64 s[4:5], s[4:5], s[8:9]
	s_or_b64 exec, exec, s[6:7]
	s_and_saveexec_b64 s[6:7], s[4:5]
	s_cbranch_execnz .LBB12_1539
	s_branch .LBB12_1540
.LBB12_3589:
	s_movk_i32 s4, 0x80
	v_cmp_eq_u16_sdwa s[12:13], v10, s4 src0_sel:BYTE_0 src1_sel:DWORD
	s_mov_b64 s[4:5], -1
                                        ; implicit-def: $sgpr10
	s_and_saveexec_b64 s[8:9], s[12:13]
; %bb.3590:
	s_mov_b32 s10, 0x7f800001
	s_xor_b64 s[4:5], exec, -1
; %bb.3591:
	s_or_b64 exec, exec, s[8:9]
	s_and_b64 s[4:5], s[4:5], exec
	s_or_saveexec_b64 s[6:7], s[6:7]
	v_mov_b32_e32 v21, s10
	s_xor_b64 exec, exec, s[6:7]
	s_cbranch_execz .LBB12_1542
.LBB12_3592:
	v_mov_b32_e32 v21, 0
	v_cmp_ne_u16_sdwa s[8:9], v10, v21 src0_sel:BYTE_0 src1_sel:DWORD
	s_andn2_b64 s[4:5], s[4:5], exec
	s_and_b64 s[8:9], s[8:9], exec
	s_or_b64 s[4:5], s[4:5], s[8:9]
	s_or_b64 exec, exec, s[6:7]
	s_and_saveexec_b64 s[6:7], s[4:5]
	s_cbranch_execnz .LBB12_1543
	s_branch .LBB12_1544
.LBB12_3593:
	s_movk_i32 s4, 0x80
	v_cmp_eq_u16_sdwa s[12:13], v21, s4 src0_sel:BYTE_0 src1_sel:DWORD
	s_mov_b64 s[4:5], -1
                                        ; implicit-def: $sgpr10
	s_and_saveexec_b64 s[8:9], s[12:13]
; %bb.3594:
	s_mov_b32 s10, 0x7f800001
	s_xor_b64 s[4:5], exec, -1
; %bb.3595:
	s_or_b64 exec, exec, s[8:9]
	s_and_b64 s[4:5], s[4:5], exec
	s_or_saveexec_b64 s[6:7], s[6:7]
	v_mov_b32_e32 v20, s10
	s_xor_b64 exec, exec, s[6:7]
	s_cbranch_execz .LBB12_1546
.LBB12_3596:
	v_mov_b32_e32 v20, 0
	v_cmp_ne_u16_sdwa s[8:9], v21, v20 src0_sel:BYTE_0 src1_sel:DWORD
	s_andn2_b64 s[4:5], s[4:5], exec
	s_and_b64 s[8:9], s[8:9], exec
	s_or_b64 s[4:5], s[4:5], s[8:9]
	s_or_b64 exec, exec, s[6:7]
	s_and_saveexec_b64 s[6:7], s[4:5]
	s_cbranch_execnz .LBB12_1547
	s_branch .LBB12_1548
.LBB12_3597:
	s_movk_i32 s4, 0x80
	v_cmp_eq_u16_sdwa s[12:13], v21, s4 src0_sel:BYTE_0 src1_sel:DWORD
	s_mov_b64 s[4:5], -1
                                        ; implicit-def: $sgpr10
	s_and_saveexec_b64 s[8:9], s[12:13]
; %bb.3598:
	s_mov_b32 s10, 0x7f800001
	s_xor_b64 s[4:5], exec, -1
; %bb.3599:
	s_or_b64 exec, exec, s[8:9]
	s_and_b64 s[4:5], s[4:5], exec
	s_or_saveexec_b64 s[6:7], s[6:7]
	v_mov_b32_e32 v22, s10
	s_xor_b64 exec, exec, s[6:7]
	s_cbranch_execz .LBB12_1550
.LBB12_3600:
	v_mov_b32_e32 v22, 0
	v_cmp_ne_u16_sdwa s[8:9], v21, v22 src0_sel:BYTE_0 src1_sel:DWORD
	s_andn2_b64 s[4:5], s[4:5], exec
	s_and_b64 s[8:9], s[8:9], exec
	s_or_b64 s[4:5], s[4:5], s[8:9]
	s_or_b64 exec, exec, s[6:7]
	s_and_saveexec_b64 s[6:7], s[4:5]
	s_cbranch_execnz .LBB12_1551
	s_branch .LBB12_1552
.LBB12_3601:
	s_movk_i32 s4, 0x80
	v_cmp_eq_u16_e32 vcc, s4, v21
	s_mov_b64 s[4:5], -1
                                        ; implicit-def: $sgpr10
	s_and_saveexec_b64 s[8:9], vcc
; %bb.3602:
	s_mov_b32 s10, 0x7f800001
	s_xor_b64 s[4:5], exec, -1
; %bb.3603:
	s_or_b64 exec, exec, s[8:9]
	s_and_b64 s[4:5], s[4:5], exec
                                        ; implicit-def: $vgpr21
	s_or_saveexec_b64 s[6:7], s[6:7]
	v_mov_b32_e32 v20, s10
	s_xor_b64 exec, exec, s[6:7]
	s_cbranch_execz .LBB12_1554
.LBB12_3604:
	v_cmp_ne_u16_e32 vcc, 0, v21
	s_andn2_b64 s[4:5], s[4:5], exec
	s_and_b64 s[8:9], vcc, exec
	v_mov_b32_e32 v20, 0
	s_or_b64 s[4:5], s[4:5], s[8:9]
	s_or_b64 exec, exec, s[6:7]
	s_and_saveexec_b64 s[6:7], s[4:5]
	s_cbranch_execnz .LBB12_1555
	s_branch .LBB12_1556
.LBB12_3605:
	s_movk_i32 s4, 0x80
	v_cmp_eq_u16_e32 vcc, s4, v21
	s_mov_b64 s[4:5], -1
                                        ; implicit-def: $sgpr10
	s_and_saveexec_b64 s[8:9], vcc
; %bb.3606:
	s_mov_b32 s10, 0x7f800001
	s_xor_b64 s[4:5], exec, -1
; %bb.3607:
	s_or_b64 exec, exec, s[8:9]
	s_and_b64 s[4:5], s[4:5], exec
                                        ; implicit-def: $vgpr21
	s_or_saveexec_b64 s[6:7], s[6:7]
	v_mov_b32_e32 v22, s10
	s_xor_b64 exec, exec, s[6:7]
	s_cbranch_execz .LBB12_1558
.LBB12_3608:
	v_cmp_ne_u16_e32 vcc, 0, v21
	s_andn2_b64 s[4:5], s[4:5], exec
	s_and_b64 s[8:9], vcc, exec
	v_mov_b32_e32 v22, 0
	s_or_b64 s[4:5], s[4:5], s[8:9]
	s_or_b64 exec, exec, s[6:7]
	s_and_saveexec_b64 s[6:7], s[4:5]
	s_cbranch_execnz .LBB12_1559
	s_branch .LBB12_1560
.LBB12_3609:
	s_movk_i32 s4, 0x80
	v_cmp_eq_u16_sdwa s[12:13], v14, s4 src0_sel:BYTE_3 src1_sel:DWORD
	s_mov_b64 s[4:5], -1
                                        ; implicit-def: $sgpr10
	s_and_saveexec_b64 s[8:9], s[12:13]
; %bb.3610:
	s_mov_b32 s10, 0x7f800001
	s_xor_b64 s[4:5], exec, -1
; %bb.3611:
	s_or_b64 exec, exec, s[8:9]
	s_and_b64 s[4:5], s[4:5], exec
	s_or_saveexec_b64 s[6:7], s[6:7]
	v_mov_b32_e32 v20, s10
	s_xor_b64 exec, exec, s[6:7]
	s_cbranch_execz .LBB12_1562
.LBB12_3612:
	v_mov_b32_e32 v20, 0
	v_cmp_ne_u16_sdwa s[8:9], v14, v20 src0_sel:BYTE_3 src1_sel:DWORD
	s_andn2_b64 s[4:5], s[4:5], exec
	s_and_b64 s[8:9], s[8:9], exec
	s_or_b64 s[4:5], s[4:5], s[8:9]
	s_or_b64 exec, exec, s[6:7]
	s_and_saveexec_b64 s[6:7], s[4:5]
	s_cbranch_execnz .LBB12_1563
	s_branch .LBB12_1564
.LBB12_3613:
	s_movk_i32 s4, 0x80
	v_cmp_eq_u16_sdwa s[12:13], v10, s4 src0_sel:BYTE_3 src1_sel:DWORD
	s_mov_b64 s[4:5], -1
                                        ; implicit-def: $sgpr10
	s_and_saveexec_b64 s[8:9], s[12:13]
; %bb.3614:
	s_mov_b32 s10, 0x7f800001
	s_xor_b64 s[4:5], exec, -1
; %bb.3615:
	s_or_b64 exec, exec, s[8:9]
	s_and_b64 s[4:5], s[4:5], exec
	s_or_saveexec_b64 s[6:7], s[6:7]
	v_mov_b32_e32 v14, s10
	s_xor_b64 exec, exec, s[6:7]
	s_cbranch_execz .LBB12_1566
.LBB12_3616:
	v_mov_b32_e32 v14, 0
	v_cmp_ne_u16_sdwa s[8:9], v10, v14 src0_sel:BYTE_3 src1_sel:DWORD
	s_andn2_b64 s[4:5], s[4:5], exec
	s_and_b64 s[8:9], s[8:9], exec
	s_or_b64 s[4:5], s[4:5], s[8:9]
	s_or_b64 exec, exec, s[6:7]
	s_and_saveexec_b64 s[6:7], s[4:5]
	s_cbranch_execnz .LBB12_1567
	s_branch .LBB12_1568
.LBB12_3617:
	s_movk_i32 s4, 0x80
	v_cmp_eq_u16_sdwa s[12:13], v15, s4 src0_sel:BYTE_0 src1_sel:DWORD
	s_mov_b64 s[4:5], -1
                                        ; implicit-def: $sgpr10
	s_and_saveexec_b64 s[8:9], s[12:13]
; %bb.3618:
	s_mov_b32 s10, 0x7f800001
	s_xor_b64 s[4:5], exec, -1
; %bb.3619:
	s_or_b64 exec, exec, s[8:9]
	s_and_b64 s[4:5], s[4:5], exec
	s_or_saveexec_b64 s[6:7], s[6:7]
	v_mov_b32_e32 v10, s10
	s_xor_b64 exec, exec, s[6:7]
	s_cbranch_execz .LBB12_1570
.LBB12_3620:
	v_mov_b32_e32 v10, 0
	v_cmp_ne_u16_sdwa s[8:9], v15, v10 src0_sel:BYTE_0 src1_sel:DWORD
	s_andn2_b64 s[4:5], s[4:5], exec
	s_and_b64 s[8:9], s[8:9], exec
	s_or_b64 s[4:5], s[4:5], s[8:9]
	s_or_b64 exec, exec, s[6:7]
	s_and_saveexec_b64 s[6:7], s[4:5]
	s_cbranch_execnz .LBB12_1571
	s_branch .LBB12_1572
.LBB12_3621:
	s_movk_i32 s4, 0x80
	v_cmp_eq_u16_sdwa s[12:13], v11, s4 src0_sel:BYTE_0 src1_sel:DWORD
	s_mov_b64 s[4:5], -1
                                        ; implicit-def: $sgpr10
	s_and_saveexec_b64 s[8:9], s[12:13]
; %bb.3622:
	s_mov_b32 s10, 0x7f800001
	s_xor_b64 s[4:5], exec, -1
; %bb.3623:
	s_or_b64 exec, exec, s[8:9]
	s_and_b64 s[4:5], s[4:5], exec
	s_or_saveexec_b64 s[6:7], s[6:7]
	v_mov_b32_e32 v14, s10
	s_xor_b64 exec, exec, s[6:7]
	s_cbranch_execz .LBB12_1574
.LBB12_3624:
	v_mov_b32_e32 v14, 0
	v_cmp_ne_u16_sdwa s[8:9], v11, v14 src0_sel:BYTE_0 src1_sel:DWORD
	s_andn2_b64 s[4:5], s[4:5], exec
	s_and_b64 s[8:9], s[8:9], exec
	s_or_b64 s[4:5], s[4:5], s[8:9]
	s_or_b64 exec, exec, s[6:7]
	s_and_saveexec_b64 s[6:7], s[4:5]
	s_cbranch_execnz .LBB12_1575
	s_branch .LBB12_1576
.LBB12_3625:
	s_movk_i32 s4, 0x80
	v_cmp_eq_u16_sdwa s[12:13], v14, s4 src0_sel:BYTE_0 src1_sel:DWORD
	s_mov_b64 s[4:5], -1
                                        ; implicit-def: $sgpr10
	s_and_saveexec_b64 s[8:9], s[12:13]
; %bb.3626:
	s_mov_b32 s10, 0x7f800001
	s_xor_b64 s[4:5], exec, -1
; %bb.3627:
	s_or_b64 exec, exec, s[8:9]
	s_and_b64 s[4:5], s[4:5], exec
	s_or_saveexec_b64 s[6:7], s[6:7]
	v_mov_b32_e32 v10, s10
	s_xor_b64 exec, exec, s[6:7]
	s_cbranch_execz .LBB12_1578
.LBB12_3628:
	v_mov_b32_e32 v10, 0
	v_cmp_ne_u16_sdwa s[8:9], v14, v10 src0_sel:BYTE_0 src1_sel:DWORD
	s_andn2_b64 s[4:5], s[4:5], exec
	s_and_b64 s[8:9], s[8:9], exec
	s_or_b64 s[4:5], s[4:5], s[8:9]
	s_or_b64 exec, exec, s[6:7]
	s_and_saveexec_b64 s[6:7], s[4:5]
	s_cbranch_execnz .LBB12_1579
	s_branch .LBB12_1580
.LBB12_3629:
	s_movk_i32 s4, 0x80
	v_cmp_eq_u16_sdwa s[12:13], v14, s4 src0_sel:BYTE_0 src1_sel:DWORD
	s_mov_b64 s[4:5], -1
                                        ; implicit-def: $sgpr10
	s_and_saveexec_b64 s[8:9], s[12:13]
; %bb.3630:
	s_mov_b32 s10, 0x7f800001
	s_xor_b64 s[4:5], exec, -1
; %bb.3631:
	s_or_b64 exec, exec, s[8:9]
	s_and_b64 s[4:5], s[4:5], exec
	s_or_saveexec_b64 s[6:7], s[6:7]
	v_mov_b32_e32 v20, s10
	s_xor_b64 exec, exec, s[6:7]
	s_cbranch_execz .LBB12_1582
.LBB12_3632:
	v_mov_b32_e32 v20, 0
	v_cmp_ne_u16_sdwa s[8:9], v14, v20 src0_sel:BYTE_0 src1_sel:DWORD
	s_andn2_b64 s[4:5], s[4:5], exec
	s_and_b64 s[8:9], s[8:9], exec
	s_or_b64 s[4:5], s[4:5], s[8:9]
	s_or_b64 exec, exec, s[6:7]
	s_and_saveexec_b64 s[6:7], s[4:5]
	s_cbranch_execnz .LBB12_1583
	s_branch .LBB12_1584
.LBB12_3633:
	s_movk_i32 s4, 0x80
	v_cmp_eq_u16_e32 vcc, s4, v14
	s_mov_b64 s[4:5], -1
                                        ; implicit-def: $sgpr10
	s_and_saveexec_b64 s[8:9], vcc
; %bb.3634:
	s_mov_b32 s10, 0x7f800001
	s_xor_b64 s[4:5], exec, -1
; %bb.3635:
	s_or_b64 exec, exec, s[8:9]
	s_and_b64 s[4:5], s[4:5], exec
                                        ; implicit-def: $vgpr14
	s_or_saveexec_b64 s[6:7], s[6:7]
	v_mov_b32_e32 v10, s10
	s_xor_b64 exec, exec, s[6:7]
	s_cbranch_execz .LBB12_1586
.LBB12_3636:
	v_cmp_ne_u16_e32 vcc, 0, v14
	s_andn2_b64 s[4:5], s[4:5], exec
	s_and_b64 s[8:9], vcc, exec
	v_mov_b32_e32 v10, 0
	s_or_b64 s[4:5], s[4:5], s[8:9]
	s_or_b64 exec, exec, s[6:7]
	s_and_saveexec_b64 s[6:7], s[4:5]
	s_cbranch_execnz .LBB12_1587
	s_branch .LBB12_1588
.LBB12_3637:
	s_movk_i32 s4, 0x80
	v_cmp_eq_u16_e32 vcc, s4, v14
	s_mov_b64 s[4:5], -1
                                        ; implicit-def: $sgpr10
	s_and_saveexec_b64 s[8:9], vcc
; %bb.3638:
	s_mov_b32 s10, 0x7f800001
	s_xor_b64 s[4:5], exec, -1
; %bb.3639:
	s_or_b64 exec, exec, s[8:9]
	s_and_b64 s[4:5], s[4:5], exec
                                        ; implicit-def: $vgpr14
	s_or_saveexec_b64 s[6:7], s[6:7]
	v_mov_b32_e32 v20, s10
	s_xor_b64 exec, exec, s[6:7]
	s_cbranch_execz .LBB12_1590
.LBB12_3640:
	v_cmp_ne_u16_e32 vcc, 0, v14
	s_andn2_b64 s[4:5], s[4:5], exec
	s_and_b64 s[8:9], vcc, exec
	v_mov_b32_e32 v20, 0
	s_or_b64 s[4:5], s[4:5], s[8:9]
	s_or_b64 exec, exec, s[6:7]
	s_and_saveexec_b64 s[6:7], s[4:5]
	s_cbranch_execnz .LBB12_1591
	s_branch .LBB12_1592
.LBB12_3641:
	s_movk_i32 s4, 0x80
	v_cmp_eq_u16_sdwa s[12:13], v15, s4 src0_sel:BYTE_3 src1_sel:DWORD
	s_mov_b64 s[4:5], -1
                                        ; implicit-def: $sgpr10
	s_and_saveexec_b64 s[8:9], s[12:13]
; %bb.3642:
	s_mov_b32 s10, 0x7f800001
	s_xor_b64 s[4:5], exec, -1
; %bb.3643:
	s_or_b64 exec, exec, s[8:9]
	s_and_b64 s[4:5], s[4:5], exec
	s_or_saveexec_b64 s[6:7], s[6:7]
	v_mov_b32_e32 v10, s10
	s_xor_b64 exec, exec, s[6:7]
	s_cbranch_execz .LBB12_1594
.LBB12_3644:
	v_mov_b32_e32 v10, 0
	v_cmp_ne_u16_sdwa s[8:9], v15, v10 src0_sel:BYTE_3 src1_sel:DWORD
	s_andn2_b64 s[4:5], s[4:5], exec
	s_and_b64 s[8:9], s[8:9], exec
	s_or_b64 s[4:5], s[4:5], s[8:9]
	s_or_b64 exec, exec, s[6:7]
	s_and_saveexec_b64 s[6:7], s[4:5]
	s_cbranch_execnz .LBB12_1595
	s_branch .LBB12_1596
.LBB12_3645:
	s_movk_i32 s4, 0x80
	v_cmp_eq_u16_sdwa s[12:13], v11, s4 src0_sel:BYTE_3 src1_sel:DWORD
	s_mov_b64 s[4:5], -1
                                        ; implicit-def: $sgpr10
	s_and_saveexec_b64 s[8:9], s[12:13]
; %bb.3646:
	s_mov_b32 s10, 0x7f800001
	s_xor_b64 s[4:5], exec, -1
; %bb.3647:
	s_or_b64 exec, exec, s[8:9]
	s_and_b64 s[4:5], s[4:5], exec
	s_or_saveexec_b64 s[6:7], s[6:7]
	v_mov_b32_e32 v14, s10
	s_xor_b64 exec, exec, s[6:7]
	s_cbranch_execz .LBB12_1598
.LBB12_3648:
	v_mov_b32_e32 v14, 0
	v_cmp_ne_u16_sdwa s[8:9], v11, v14 src0_sel:BYTE_3 src1_sel:DWORD
	s_andn2_b64 s[4:5], s[4:5], exec
	s_and_b64 s[8:9], s[8:9], exec
	s_or_b64 s[4:5], s[4:5], s[8:9]
	s_or_b64 exec, exec, s[6:7]
	s_and_saveexec_b64 s[6:7], s[4:5]
	s_cbranch_execnz .LBB12_1599
	s_branch .LBB12_1600
.LBB12_3649:
	s_movk_i32 s4, 0x80
	v_cmp_eq_u16_sdwa s[12:13], v16, s4 src0_sel:BYTE_0 src1_sel:DWORD
	s_mov_b64 s[4:5], -1
                                        ; implicit-def: $sgpr10
	s_and_saveexec_b64 s[8:9], s[12:13]
; %bb.3650:
	s_mov_b32 s10, 0x7f800001
	s_xor_b64 s[4:5], exec, -1
; %bb.3651:
	s_or_b64 exec, exec, s[8:9]
	s_and_b64 s[4:5], s[4:5], exec
	s_or_saveexec_b64 s[6:7], s[6:7]
	v_mov_b32_e32 v10, s10
	s_xor_b64 exec, exec, s[6:7]
	s_cbranch_execz .LBB12_1602
.LBB12_3652:
	v_mov_b32_e32 v10, 0
	v_cmp_ne_u16_sdwa s[8:9], v16, v10 src0_sel:BYTE_0 src1_sel:DWORD
	s_andn2_b64 s[4:5], s[4:5], exec
	s_and_b64 s[8:9], s[8:9], exec
	s_or_b64 s[4:5], s[4:5], s[8:9]
	s_or_b64 exec, exec, s[6:7]
	s_and_saveexec_b64 s[6:7], s[4:5]
	s_cbranch_execnz .LBB12_1603
	s_branch .LBB12_1604
.LBB12_3653:
	s_movk_i32 s4, 0x80
	v_cmp_eq_u16_sdwa s[12:13], v12, s4 src0_sel:BYTE_0 src1_sel:DWORD
	s_mov_b64 s[4:5], -1
                                        ; implicit-def: $sgpr10
	s_and_saveexec_b64 s[8:9], s[12:13]
; %bb.3654:
	s_mov_b32 s10, 0x7f800001
	s_xor_b64 s[4:5], exec, -1
; %bb.3655:
	s_or_b64 exec, exec, s[8:9]
	s_and_b64 s[4:5], s[4:5], exec
	s_or_saveexec_b64 s[6:7], s[6:7]
	v_mov_b32_e32 v11, s10
	s_xor_b64 exec, exec, s[6:7]
	s_cbranch_execz .LBB12_1606
.LBB12_3656:
	v_mov_b32_e32 v11, 0
	v_cmp_ne_u16_sdwa s[8:9], v12, v11 src0_sel:BYTE_0 src1_sel:DWORD
	s_andn2_b64 s[4:5], s[4:5], exec
	s_and_b64 s[8:9], s[8:9], exec
	s_or_b64 s[4:5], s[4:5], s[8:9]
	s_or_b64 exec, exec, s[6:7]
	s_and_saveexec_b64 s[6:7], s[4:5]
	s_cbranch_execnz .LBB12_1607
	s_branch .LBB12_1608
.LBB12_3657:
	s_movk_i32 s4, 0x80
	v_cmp_eq_u16_sdwa s[12:13], v11, s4 src0_sel:BYTE_0 src1_sel:DWORD
	s_mov_b64 s[4:5], -1
                                        ; implicit-def: $sgpr10
	s_and_saveexec_b64 s[8:9], s[12:13]
; %bb.3658:
	s_mov_b32 s10, 0x7f800001
	s_xor_b64 s[4:5], exec, -1
; %bb.3659:
	s_or_b64 exec, exec, s[8:9]
	s_and_b64 s[4:5], s[4:5], exec
	s_or_saveexec_b64 s[6:7], s[6:7]
	v_mov_b32_e32 v10, s10
	s_xor_b64 exec, exec, s[6:7]
	s_cbranch_execz .LBB12_1610
.LBB12_3660:
	v_mov_b32_e32 v10, 0
	v_cmp_ne_u16_sdwa s[8:9], v11, v10 src0_sel:BYTE_0 src1_sel:DWORD
	s_andn2_b64 s[4:5], s[4:5], exec
	s_and_b64 s[8:9], s[8:9], exec
	s_or_b64 s[4:5], s[4:5], s[8:9]
	s_or_b64 exec, exec, s[6:7]
	s_and_saveexec_b64 s[6:7], s[4:5]
	s_cbranch_execnz .LBB12_1611
	s_branch .LBB12_1612
.LBB12_3661:
	s_movk_i32 s4, 0x80
	v_cmp_eq_u16_sdwa s[12:13], v11, s4 src0_sel:BYTE_0 src1_sel:DWORD
	s_mov_b64 s[4:5], -1
                                        ; implicit-def: $sgpr10
	s_and_saveexec_b64 s[8:9], s[12:13]
; %bb.3662:
	s_mov_b32 s10, 0x7f800001
	s_xor_b64 s[4:5], exec, -1
; %bb.3663:
	s_or_b64 exec, exec, s[8:9]
	s_and_b64 s[4:5], s[4:5], exec
	s_or_saveexec_b64 s[6:7], s[6:7]
	v_mov_b32_e32 v14, s10
	s_xor_b64 exec, exec, s[6:7]
	s_cbranch_execz .LBB12_1614
.LBB12_3664:
	v_mov_b32_e32 v14, 0
	v_cmp_ne_u16_sdwa s[8:9], v11, v14 src0_sel:BYTE_0 src1_sel:DWORD
	s_andn2_b64 s[4:5], s[4:5], exec
	s_and_b64 s[8:9], s[8:9], exec
	s_or_b64 s[4:5], s[4:5], s[8:9]
	s_or_b64 exec, exec, s[6:7]
	s_and_saveexec_b64 s[6:7], s[4:5]
	s_cbranch_execnz .LBB12_1615
	s_branch .LBB12_1616
.LBB12_3665:
	s_movk_i32 s4, 0x80
	v_cmp_eq_u16_e32 vcc, s4, v11
	s_mov_b64 s[4:5], -1
                                        ; implicit-def: $sgpr10
	s_and_saveexec_b64 s[8:9], vcc
; %bb.3666:
	s_mov_b32 s10, 0x7f800001
	s_xor_b64 s[4:5], exec, -1
; %bb.3667:
	s_or_b64 exec, exec, s[8:9]
	s_and_b64 s[4:5], s[4:5], exec
                                        ; implicit-def: $vgpr11
	s_or_saveexec_b64 s[6:7], s[6:7]
	v_mov_b32_e32 v10, s10
	s_xor_b64 exec, exec, s[6:7]
	s_cbranch_execz .LBB12_1618
.LBB12_3668:
	v_cmp_ne_u16_e32 vcc, 0, v11
	s_andn2_b64 s[4:5], s[4:5], exec
	s_and_b64 s[8:9], vcc, exec
	v_mov_b32_e32 v10, 0
	s_or_b64 s[4:5], s[4:5], s[8:9]
	s_or_b64 exec, exec, s[6:7]
	s_and_saveexec_b64 s[6:7], s[4:5]
	s_cbranch_execnz .LBB12_1619
	s_branch .LBB12_1620
.LBB12_3669:
	s_movk_i32 s4, 0x80
	v_cmp_eq_u16_e32 vcc, s4, v11
	s_mov_b64 s[4:5], -1
                                        ; implicit-def: $sgpr10
	s_and_saveexec_b64 s[8:9], vcc
; %bb.3670:
	s_mov_b32 s10, 0x7f800001
	s_xor_b64 s[4:5], exec, -1
; %bb.3671:
	s_or_b64 exec, exec, s[8:9]
	s_and_b64 s[4:5], s[4:5], exec
                                        ; implicit-def: $vgpr11
	s_or_saveexec_b64 s[6:7], s[6:7]
	v_mov_b32_e32 v14, s10
	s_xor_b64 exec, exec, s[6:7]
	s_cbranch_execz .LBB12_1622
.LBB12_3672:
	v_cmp_ne_u16_e32 vcc, 0, v11
	s_andn2_b64 s[4:5], s[4:5], exec
	s_and_b64 s[8:9], vcc, exec
	v_mov_b32_e32 v14, 0
	s_or_b64 s[4:5], s[4:5], s[8:9]
	s_or_b64 exec, exec, s[6:7]
	s_and_saveexec_b64 s[6:7], s[4:5]
	s_cbranch_execnz .LBB12_1623
	s_branch .LBB12_1624
.LBB12_3673:
	s_movk_i32 s4, 0x80
	v_cmp_eq_u16_sdwa s[12:13], v16, s4 src0_sel:BYTE_3 src1_sel:DWORD
	s_mov_b64 s[4:5], -1
                                        ; implicit-def: $sgpr10
	s_and_saveexec_b64 s[8:9], s[12:13]
; %bb.3674:
	s_mov_b32 s10, 0x7f800001
	s_xor_b64 s[4:5], exec, -1
; %bb.3675:
	s_or_b64 exec, exec, s[8:9]
	s_and_b64 s[4:5], s[4:5], exec
	s_or_saveexec_b64 s[6:7], s[6:7]
	v_mov_b32_e32 v10, s10
	s_xor_b64 exec, exec, s[6:7]
	s_cbranch_execz .LBB12_1626
.LBB12_3676:
	v_mov_b32_e32 v10, 0
	v_cmp_ne_u16_sdwa s[8:9], v16, v10 src0_sel:BYTE_3 src1_sel:DWORD
	s_andn2_b64 s[4:5], s[4:5], exec
	s_and_b64 s[8:9], s[8:9], exec
	s_or_b64 s[4:5], s[4:5], s[8:9]
	s_or_b64 exec, exec, s[6:7]
	s_and_saveexec_b64 s[6:7], s[4:5]
	s_cbranch_execnz .LBB12_1627
	s_branch .LBB12_1628
.LBB12_3677:
	s_movk_i32 s4, 0x80
	v_cmp_eq_u16_sdwa s[12:13], v12, s4 src0_sel:BYTE_3 src1_sel:DWORD
	s_mov_b64 s[4:5], -1
                                        ; implicit-def: $sgpr10
	s_and_saveexec_b64 s[8:9], s[12:13]
; %bb.3678:
	s_mov_b32 s10, 0x7f800001
	s_xor_b64 s[4:5], exec, -1
; %bb.3679:
	s_or_b64 exec, exec, s[8:9]
	s_and_b64 s[4:5], s[4:5], exec
	s_or_saveexec_b64 s[6:7], s[6:7]
	v_mov_b32_e32 v11, s10
	s_xor_b64 exec, exec, s[6:7]
	s_cbranch_execz .LBB12_1630
.LBB12_3680:
	v_mov_b32_e32 v11, 0
	v_cmp_ne_u16_sdwa s[8:9], v12, v11 src0_sel:BYTE_3 src1_sel:DWORD
	s_andn2_b64 s[4:5], s[4:5], exec
	s_and_b64 s[8:9], s[8:9], exec
	s_or_b64 s[4:5], s[4:5], s[8:9]
	s_or_b64 exec, exec, s[6:7]
	s_and_saveexec_b64 s[6:7], s[4:5]
	s_cbranch_execnz .LBB12_1631
	s_branch .LBB12_1632
.LBB12_3681:
	s_movk_i32 s4, 0x80
	v_cmp_eq_u16_sdwa s[12:13], v17, s4 src0_sel:BYTE_0 src1_sel:DWORD
	s_mov_b64 s[4:5], -1
                                        ; implicit-def: $sgpr10
	s_and_saveexec_b64 s[8:9], s[12:13]
; %bb.3682:
	s_mov_b32 s10, 0x7f800001
	s_xor_b64 s[4:5], exec, -1
; %bb.3683:
	s_or_b64 exec, exec, s[8:9]
	s_and_b64 s[4:5], s[4:5], exec
	s_or_saveexec_b64 s[6:7], s[6:7]
	v_mov_b32_e32 v10, s10
	s_xor_b64 exec, exec, s[6:7]
	s_cbranch_execz .LBB12_1634
.LBB12_3684:
	v_mov_b32_e32 v10, 0
	v_cmp_ne_u16_sdwa s[8:9], v17, v10 src0_sel:BYTE_0 src1_sel:DWORD
	s_andn2_b64 s[4:5], s[4:5], exec
	s_and_b64 s[8:9], s[8:9], exec
	s_or_b64 s[4:5], s[4:5], s[8:9]
	s_or_b64 exec, exec, s[6:7]
	s_and_saveexec_b64 s[6:7], s[4:5]
	s_cbranch_execnz .LBB12_1635
	s_branch .LBB12_1636
.LBB12_3685:
	s_movk_i32 s4, 0x80
	v_cmp_eq_u16_sdwa s[12:13], v13, s4 src0_sel:BYTE_0 src1_sel:DWORD
	s_mov_b64 s[4:5], -1
                                        ; implicit-def: $sgpr10
	s_and_saveexec_b64 s[8:9], s[12:13]
; %bb.3686:
	s_mov_b32 s10, 0x7f800001
	s_xor_b64 s[4:5], exec, -1
; %bb.3687:
	s_or_b64 exec, exec, s[8:9]
	s_and_b64 s[4:5], s[4:5], exec
	s_or_saveexec_b64 s[6:7], s[6:7]
	v_mov_b32_e32 v11, s10
	s_xor_b64 exec, exec, s[6:7]
	s_cbranch_execz .LBB12_1638
.LBB12_3688:
	v_mov_b32_e32 v11, 0
	v_cmp_ne_u16_sdwa s[8:9], v13, v11 src0_sel:BYTE_0 src1_sel:DWORD
	s_andn2_b64 s[4:5], s[4:5], exec
	s_and_b64 s[8:9], s[8:9], exec
	s_or_b64 s[4:5], s[4:5], s[8:9]
	s_or_b64 exec, exec, s[6:7]
	s_and_saveexec_b64 s[6:7], s[4:5]
	s_cbranch_execnz .LBB12_1639
	s_branch .LBB12_1640
.LBB12_3689:
	s_movk_i32 s4, 0x80
	v_cmp_eq_u16_sdwa s[12:13], v11, s4 src0_sel:BYTE_0 src1_sel:DWORD
	s_mov_b64 s[4:5], -1
                                        ; implicit-def: $sgpr10
	s_and_saveexec_b64 s[8:9], s[12:13]
; %bb.3690:
	s_mov_b32 s10, 0x7f800001
	s_xor_b64 s[4:5], exec, -1
; %bb.3691:
	s_or_b64 exec, exec, s[8:9]
	s_and_b64 s[4:5], s[4:5], exec
	s_or_saveexec_b64 s[6:7], s[6:7]
	v_mov_b32_e32 v10, s10
	s_xor_b64 exec, exec, s[6:7]
	s_cbranch_execz .LBB12_1642
.LBB12_3692:
	v_mov_b32_e32 v10, 0
	v_cmp_ne_u16_sdwa s[8:9], v11, v10 src0_sel:BYTE_0 src1_sel:DWORD
	s_andn2_b64 s[4:5], s[4:5], exec
	s_and_b64 s[8:9], s[8:9], exec
	s_or_b64 s[4:5], s[4:5], s[8:9]
	s_or_b64 exec, exec, s[6:7]
	s_and_saveexec_b64 s[6:7], s[4:5]
	s_cbranch_execnz .LBB12_1643
	s_branch .LBB12_1644
.LBB12_3693:
	s_movk_i32 s4, 0x80
	v_cmp_eq_u16_sdwa s[12:13], v11, s4 src0_sel:BYTE_0 src1_sel:DWORD
	s_mov_b64 s[4:5], -1
                                        ; implicit-def: $sgpr10
	s_and_saveexec_b64 s[8:9], s[12:13]
; %bb.3694:
	s_mov_b32 s10, 0x7f800001
	s_xor_b64 s[4:5], exec, -1
; %bb.3695:
	s_or_b64 exec, exec, s[8:9]
	s_and_b64 s[4:5], s[4:5], exec
	s_or_saveexec_b64 s[6:7], s[6:7]
	v_mov_b32_e32 v12, s10
	s_xor_b64 exec, exec, s[6:7]
	s_cbranch_execz .LBB12_1646
.LBB12_3696:
	v_mov_b32_e32 v12, 0
	v_cmp_ne_u16_sdwa s[8:9], v11, v12 src0_sel:BYTE_0 src1_sel:DWORD
	s_andn2_b64 s[4:5], s[4:5], exec
	s_and_b64 s[8:9], s[8:9], exec
	s_or_b64 s[4:5], s[4:5], s[8:9]
	s_or_b64 exec, exec, s[6:7]
	s_and_saveexec_b64 s[6:7], s[4:5]
	s_cbranch_execnz .LBB12_1647
	s_branch .LBB12_1648
.LBB12_3697:
	s_movk_i32 s4, 0x80
	v_cmp_eq_u16_e32 vcc, s4, v11
	s_mov_b64 s[4:5], -1
                                        ; implicit-def: $sgpr10
	s_and_saveexec_b64 s[8:9], vcc
; %bb.3698:
	s_mov_b32 s10, 0x7f800001
	s_xor_b64 s[4:5], exec, -1
; %bb.3699:
	s_or_b64 exec, exec, s[8:9]
	s_and_b64 s[4:5], s[4:5], exec
                                        ; implicit-def: $vgpr11
	s_or_saveexec_b64 s[6:7], s[6:7]
	v_mov_b32_e32 v10, s10
	s_xor_b64 exec, exec, s[6:7]
	s_cbranch_execz .LBB12_1650
.LBB12_3700:
	v_cmp_ne_u16_e32 vcc, 0, v11
	s_andn2_b64 s[4:5], s[4:5], exec
	s_and_b64 s[8:9], vcc, exec
	v_mov_b32_e32 v10, 0
	s_or_b64 s[4:5], s[4:5], s[8:9]
	s_or_b64 exec, exec, s[6:7]
	s_and_saveexec_b64 s[6:7], s[4:5]
	s_cbranch_execnz .LBB12_1651
	s_branch .LBB12_1652
.LBB12_3701:
	s_movk_i32 s4, 0x80
	v_cmp_eq_u16_e32 vcc, s4, v11
	s_mov_b64 s[4:5], -1
                                        ; implicit-def: $sgpr10
	s_and_saveexec_b64 s[8:9], vcc
; %bb.3702:
	s_mov_b32 s10, 0x7f800001
	s_xor_b64 s[4:5], exec, -1
; %bb.3703:
	s_or_b64 exec, exec, s[8:9]
	s_and_b64 s[4:5], s[4:5], exec
                                        ; implicit-def: $vgpr11
	s_or_saveexec_b64 s[6:7], s[6:7]
	v_mov_b32_e32 v12, s10
	s_xor_b64 exec, exec, s[6:7]
	s_cbranch_execz .LBB12_1654
.LBB12_3704:
	v_cmp_ne_u16_e32 vcc, 0, v11
	s_andn2_b64 s[4:5], s[4:5], exec
	s_and_b64 s[8:9], vcc, exec
	v_mov_b32_e32 v12, 0
	s_or_b64 s[4:5], s[4:5], s[8:9]
	s_or_b64 exec, exec, s[6:7]
	s_and_saveexec_b64 s[6:7], s[4:5]
	s_cbranch_execnz .LBB12_1655
	s_branch .LBB12_1656
.LBB12_3705:
	s_movk_i32 s4, 0x80
	v_cmp_eq_u16_sdwa s[12:13], v17, s4 src0_sel:BYTE_3 src1_sel:DWORD
	s_mov_b64 s[4:5], -1
                                        ; implicit-def: $sgpr10
	s_and_saveexec_b64 s[8:9], s[12:13]
; %bb.3706:
	s_mov_b32 s10, 0x7f800001
	s_xor_b64 s[4:5], exec, -1
; %bb.3707:
	s_or_b64 exec, exec, s[8:9]
	s_and_b64 s[4:5], s[4:5], exec
	s_or_saveexec_b64 s[6:7], s[6:7]
	v_mov_b32_e32 v10, s10
	s_xor_b64 exec, exec, s[6:7]
	s_cbranch_execz .LBB12_1658
.LBB12_3708:
	v_mov_b32_e32 v10, 0
	v_cmp_ne_u16_sdwa s[8:9], v17, v10 src0_sel:BYTE_3 src1_sel:DWORD
	s_andn2_b64 s[4:5], s[4:5], exec
	s_and_b64 s[8:9], s[8:9], exec
	s_or_b64 s[4:5], s[4:5], s[8:9]
	s_or_b64 exec, exec, s[6:7]
	s_and_saveexec_b64 s[6:7], s[4:5]
	s_cbranch_execnz .LBB12_1659
	s_branch .LBB12_1660
.LBB12_3709:
	s_movk_i32 s4, 0x80
	v_cmp_eq_u16_sdwa s[12:13], v13, s4 src0_sel:BYTE_3 src1_sel:DWORD
	s_mov_b64 s[4:5], -1
                                        ; implicit-def: $sgpr10
	s_and_saveexec_b64 s[8:9], s[12:13]
; %bb.3710:
	s_mov_b32 s10, 0x7f800001
	s_xor_b64 s[4:5], exec, -1
; %bb.3711:
	s_or_b64 exec, exec, s[8:9]
	s_and_b64 s[4:5], s[4:5], exec
	s_or_saveexec_b64 s[6:7], s[6:7]
	v_mov_b32_e32 v11, s10
	s_xor_b64 exec, exec, s[6:7]
	s_cbranch_execz .LBB12_1662
.LBB12_3712:
	v_mov_b32_e32 v11, 0
	v_cmp_ne_u16_sdwa s[8:9], v13, v11 src0_sel:BYTE_3 src1_sel:DWORD
	s_andn2_b64 s[4:5], s[4:5], exec
	s_and_b64 s[8:9], s[8:9], exec
	s_or_b64 s[4:5], s[4:5], s[8:9]
	s_or_b64 exec, exec, s[6:7]
	s_and_saveexec_b64 s[6:7], s[4:5]
	s_cbranch_execnz .LBB12_1663
	s_branch .LBB12_1664
.LBB12_3713:
	s_movk_i32 s4, 0x80
	v_cmp_eq_u16_sdwa s[12:13], v6, s4 src0_sel:BYTE_0 src1_sel:DWORD
	s_mov_b64 s[4:5], -1
                                        ; implicit-def: $sgpr10
	s_and_saveexec_b64 s[8:9], s[12:13]
; %bb.3714:
	s_mov_b32 s10, 0x7f800001
	s_xor_b64 s[4:5], exec, -1
; %bb.3715:
	s_or_b64 exec, exec, s[8:9]
	s_and_b64 s[4:5], s[4:5], exec
	s_or_saveexec_b64 s[6:7], s[6:7]
	v_mov_b32_e32 v10, s10
	s_xor_b64 exec, exec, s[6:7]
	s_cbranch_execz .LBB12_1666
.LBB12_3716:
	v_mov_b32_e32 v10, 0
	v_cmp_ne_u16_sdwa s[8:9], v6, v10 src0_sel:BYTE_0 src1_sel:DWORD
	s_andn2_b64 s[4:5], s[4:5], exec
	s_and_b64 s[8:9], s[8:9], exec
	s_or_b64 s[4:5], s[4:5], s[8:9]
	s_or_b64 exec, exec, s[6:7]
	s_and_saveexec_b64 s[6:7], s[4:5]
	s_cbranch_execnz .LBB12_1667
	s_branch .LBB12_1668
.LBB12_3717:
	s_movk_i32 s4, 0x80
	v_cmp_eq_u16_sdwa s[12:13], v2, s4 src0_sel:BYTE_0 src1_sel:DWORD
	s_mov_b64 s[4:5], -1
                                        ; implicit-def: $sgpr10
	s_and_saveexec_b64 s[8:9], s[12:13]
; %bb.3718:
	s_mov_b32 s10, 0x7f800001
	s_xor_b64 s[4:5], exec, -1
; %bb.3719:
	s_or_b64 exec, exec, s[8:9]
	s_and_b64 s[4:5], s[4:5], exec
	s_or_saveexec_b64 s[6:7], s[6:7]
	v_mov_b32_e32 v11, s10
	s_xor_b64 exec, exec, s[6:7]
	s_cbranch_execz .LBB12_1670
.LBB12_3720:
	v_mov_b32_e32 v11, 0
	v_cmp_ne_u16_sdwa s[8:9], v2, v11 src0_sel:BYTE_0 src1_sel:DWORD
	s_andn2_b64 s[4:5], s[4:5], exec
	s_and_b64 s[8:9], s[8:9], exec
	s_or_b64 s[4:5], s[4:5], s[8:9]
	s_or_b64 exec, exec, s[6:7]
	s_and_saveexec_b64 s[6:7], s[4:5]
	s_cbranch_execnz .LBB12_1671
	s_branch .LBB12_1672
.LBB12_3721:
	s_movk_i32 s4, 0x80
	v_cmp_eq_u16_sdwa s[12:13], v11, s4 src0_sel:BYTE_0 src1_sel:DWORD
	s_mov_b64 s[4:5], -1
                                        ; implicit-def: $sgpr10
	s_and_saveexec_b64 s[8:9], s[12:13]
; %bb.3722:
	s_mov_b32 s10, 0x7f800001
	s_xor_b64 s[4:5], exec, -1
; %bb.3723:
	s_or_b64 exec, exec, s[8:9]
	s_and_b64 s[4:5], s[4:5], exec
	s_or_saveexec_b64 s[6:7], s[6:7]
	v_mov_b32_e32 v10, s10
	s_xor_b64 exec, exec, s[6:7]
	s_cbranch_execz .LBB12_1674
.LBB12_3724:
	v_mov_b32_e32 v10, 0
	v_cmp_ne_u16_sdwa s[8:9], v11, v10 src0_sel:BYTE_0 src1_sel:DWORD
	s_andn2_b64 s[4:5], s[4:5], exec
	s_and_b64 s[8:9], s[8:9], exec
	s_or_b64 s[4:5], s[4:5], s[8:9]
	s_or_b64 exec, exec, s[6:7]
	s_and_saveexec_b64 s[6:7], s[4:5]
	s_cbranch_execnz .LBB12_1675
	s_branch .LBB12_1676
.LBB12_3725:
	s_movk_i32 s4, 0x80
	v_cmp_eq_u16_sdwa s[12:13], v11, s4 src0_sel:BYTE_0 src1_sel:DWORD
	s_mov_b64 s[4:5], -1
                                        ; implicit-def: $sgpr10
	s_and_saveexec_b64 s[8:9], s[12:13]
; %bb.3726:
	s_mov_b32 s10, 0x7f800001
	s_xor_b64 s[4:5], exec, -1
; %bb.3727:
	s_or_b64 exec, exec, s[8:9]
	s_and_b64 s[4:5], s[4:5], exec
	s_or_saveexec_b64 s[6:7], s[6:7]
	v_mov_b32_e32 v12, s10
	s_xor_b64 exec, exec, s[6:7]
	s_cbranch_execz .LBB12_1678
.LBB12_3728:
	v_mov_b32_e32 v12, 0
	v_cmp_ne_u16_sdwa s[8:9], v11, v12 src0_sel:BYTE_0 src1_sel:DWORD
	s_andn2_b64 s[4:5], s[4:5], exec
	s_and_b64 s[8:9], s[8:9], exec
	s_or_b64 s[4:5], s[4:5], s[8:9]
	s_or_b64 exec, exec, s[6:7]
	s_and_saveexec_b64 s[6:7], s[4:5]
	s_cbranch_execnz .LBB12_1679
	s_branch .LBB12_1680
.LBB12_3729:
	s_movk_i32 s4, 0x80
	v_cmp_eq_u16_e32 vcc, s4, v11
	s_mov_b64 s[4:5], -1
                                        ; implicit-def: $sgpr10
	s_and_saveexec_b64 s[8:9], vcc
; %bb.3730:
	s_mov_b32 s10, 0x7f800001
	s_xor_b64 s[4:5], exec, -1
; %bb.3731:
	s_or_b64 exec, exec, s[8:9]
	s_and_b64 s[4:5], s[4:5], exec
                                        ; implicit-def: $vgpr11
	s_or_saveexec_b64 s[6:7], s[6:7]
	v_mov_b32_e32 v10, s10
	s_xor_b64 exec, exec, s[6:7]
	s_cbranch_execz .LBB12_1682
.LBB12_3732:
	v_cmp_ne_u16_e32 vcc, 0, v11
	s_andn2_b64 s[4:5], s[4:5], exec
	s_and_b64 s[8:9], vcc, exec
	v_mov_b32_e32 v10, 0
	s_or_b64 s[4:5], s[4:5], s[8:9]
	s_or_b64 exec, exec, s[6:7]
	s_and_saveexec_b64 s[6:7], s[4:5]
	s_cbranch_execnz .LBB12_1683
	s_branch .LBB12_1684
.LBB12_3733:
	s_movk_i32 s4, 0x80
	v_cmp_eq_u16_e32 vcc, s4, v11
	s_mov_b64 s[4:5], -1
                                        ; implicit-def: $sgpr10
	s_and_saveexec_b64 s[8:9], vcc
; %bb.3734:
	s_mov_b32 s10, 0x7f800001
	s_xor_b64 s[4:5], exec, -1
; %bb.3735:
	s_or_b64 exec, exec, s[8:9]
	s_and_b64 s[4:5], s[4:5], exec
                                        ; implicit-def: $vgpr11
	s_or_saveexec_b64 s[6:7], s[6:7]
	v_mov_b32_e32 v12, s10
	s_xor_b64 exec, exec, s[6:7]
	s_cbranch_execz .LBB12_1686
.LBB12_3736:
	v_cmp_ne_u16_e32 vcc, 0, v11
	s_andn2_b64 s[4:5], s[4:5], exec
	s_and_b64 s[8:9], vcc, exec
	v_mov_b32_e32 v12, 0
	s_or_b64 s[4:5], s[4:5], s[8:9]
	s_or_b64 exec, exec, s[6:7]
	s_and_saveexec_b64 s[6:7], s[4:5]
	s_cbranch_execnz .LBB12_1687
	s_branch .LBB12_1688
.LBB12_3737:
	s_movk_i32 s4, 0x80
	v_cmp_eq_u16_sdwa s[12:13], v6, s4 src0_sel:BYTE_3 src1_sel:DWORD
	s_mov_b64 s[4:5], -1
                                        ; implicit-def: $sgpr10
	s_and_saveexec_b64 s[8:9], s[12:13]
; %bb.3738:
	s_mov_b32 s10, 0x7f800001
	s_xor_b64 s[4:5], exec, -1
; %bb.3739:
	s_or_b64 exec, exec, s[8:9]
	s_and_b64 s[4:5], s[4:5], exec
	s_or_saveexec_b64 s[6:7], s[6:7]
	v_mov_b32_e32 v10, s10
	s_xor_b64 exec, exec, s[6:7]
	s_cbranch_execz .LBB12_1690
.LBB12_3740:
	v_mov_b32_e32 v10, 0
	v_cmp_ne_u16_sdwa s[8:9], v6, v10 src0_sel:BYTE_3 src1_sel:DWORD
	s_andn2_b64 s[4:5], s[4:5], exec
	s_and_b64 s[8:9], s[8:9], exec
	s_or_b64 s[4:5], s[4:5], s[8:9]
	s_or_b64 exec, exec, s[6:7]
	s_and_saveexec_b64 s[6:7], s[4:5]
	s_cbranch_execnz .LBB12_1691
	s_branch .LBB12_1692
.LBB12_3741:
	s_movk_i32 s4, 0x80
	v_cmp_eq_u16_sdwa s[12:13], v2, s4 src0_sel:BYTE_3 src1_sel:DWORD
	s_mov_b64 s[4:5], -1
                                        ; implicit-def: $sgpr10
	s_and_saveexec_b64 s[8:9], s[12:13]
; %bb.3742:
	s_mov_b32 s10, 0x7f800001
	s_xor_b64 s[4:5], exec, -1
; %bb.3743:
	s_or_b64 exec, exec, s[8:9]
	s_and_b64 s[4:5], s[4:5], exec
	s_or_saveexec_b64 s[6:7], s[6:7]
	v_mov_b32_e32 v6, s10
	s_xor_b64 exec, exec, s[6:7]
	s_cbranch_execz .LBB12_1694
.LBB12_3744:
	v_mov_b32_e32 v6, 0
	v_cmp_ne_u16_sdwa s[8:9], v2, v6 src0_sel:BYTE_3 src1_sel:DWORD
	s_andn2_b64 s[4:5], s[4:5], exec
	s_and_b64 s[8:9], s[8:9], exec
	s_or_b64 s[4:5], s[4:5], s[8:9]
	s_or_b64 exec, exec, s[6:7]
	s_and_saveexec_b64 s[6:7], s[4:5]
	s_cbranch_execnz .LBB12_1695
	s_branch .LBB12_1696
.LBB12_3745:
	s_movk_i32 s4, 0x80
	v_cmp_eq_u16_sdwa s[12:13], v7, s4 src0_sel:BYTE_0 src1_sel:DWORD
	s_mov_b64 s[4:5], -1
                                        ; implicit-def: $sgpr10
	s_and_saveexec_b64 s[8:9], s[12:13]
; %bb.3746:
	s_mov_b32 s10, 0x7f800001
	s_xor_b64 s[4:5], exec, -1
; %bb.3747:
	s_or_b64 exec, exec, s[8:9]
	s_and_b64 s[4:5], s[4:5], exec
	s_or_saveexec_b64 s[6:7], s[6:7]
	v_mov_b32_e32 v2, s10
	s_xor_b64 exec, exec, s[6:7]
	s_cbranch_execz .LBB12_1698
.LBB12_3748:
	v_mov_b32_e32 v2, 0
	v_cmp_ne_u16_sdwa s[8:9], v7, v2 src0_sel:BYTE_0 src1_sel:DWORD
	s_andn2_b64 s[4:5], s[4:5], exec
	s_and_b64 s[8:9], s[8:9], exec
	s_or_b64 s[4:5], s[4:5], s[8:9]
	s_or_b64 exec, exec, s[6:7]
	s_and_saveexec_b64 s[6:7], s[4:5]
	s_cbranch_execnz .LBB12_1699
	s_branch .LBB12_1700
.LBB12_3749:
	s_movk_i32 s4, 0x80
	v_cmp_eq_u16_sdwa s[12:13], v3, s4 src0_sel:BYTE_0 src1_sel:DWORD
	s_mov_b64 s[4:5], -1
                                        ; implicit-def: $sgpr10
	s_and_saveexec_b64 s[8:9], s[12:13]
; %bb.3750:
	s_mov_b32 s10, 0x7f800001
	s_xor_b64 s[4:5], exec, -1
; %bb.3751:
	s_or_b64 exec, exec, s[8:9]
	s_and_b64 s[4:5], s[4:5], exec
	s_or_saveexec_b64 s[6:7], s[6:7]
	v_mov_b32_e32 v6, s10
	s_xor_b64 exec, exec, s[6:7]
	s_cbranch_execz .LBB12_1702
.LBB12_3752:
	v_mov_b32_e32 v6, 0
	v_cmp_ne_u16_sdwa s[8:9], v3, v6 src0_sel:BYTE_0 src1_sel:DWORD
	s_andn2_b64 s[4:5], s[4:5], exec
	s_and_b64 s[8:9], s[8:9], exec
	s_or_b64 s[4:5], s[4:5], s[8:9]
	s_or_b64 exec, exec, s[6:7]
	s_and_saveexec_b64 s[6:7], s[4:5]
	s_cbranch_execnz .LBB12_1703
	s_branch .LBB12_1704
.LBB12_3753:
	s_movk_i32 s4, 0x80
	v_cmp_eq_u16_sdwa s[12:13], v6, s4 src0_sel:BYTE_0 src1_sel:DWORD
	s_mov_b64 s[4:5], -1
                                        ; implicit-def: $sgpr10
	s_and_saveexec_b64 s[8:9], s[12:13]
; %bb.3754:
	s_mov_b32 s10, 0x7f800001
	s_xor_b64 s[4:5], exec, -1
; %bb.3755:
	s_or_b64 exec, exec, s[8:9]
	s_and_b64 s[4:5], s[4:5], exec
	s_or_saveexec_b64 s[6:7], s[6:7]
	v_mov_b32_e32 v2, s10
	s_xor_b64 exec, exec, s[6:7]
	s_cbranch_execz .LBB12_1706
.LBB12_3756:
	v_mov_b32_e32 v2, 0
	v_cmp_ne_u16_sdwa s[8:9], v6, v2 src0_sel:BYTE_0 src1_sel:DWORD
	s_andn2_b64 s[4:5], s[4:5], exec
	s_and_b64 s[8:9], s[8:9], exec
	s_or_b64 s[4:5], s[4:5], s[8:9]
	s_or_b64 exec, exec, s[6:7]
	s_and_saveexec_b64 s[6:7], s[4:5]
	s_cbranch_execnz .LBB12_1707
	s_branch .LBB12_1708
.LBB12_3757:
	s_movk_i32 s4, 0x80
	v_cmp_eq_u16_sdwa s[12:13], v6, s4 src0_sel:BYTE_0 src1_sel:DWORD
	s_mov_b64 s[4:5], -1
                                        ; implicit-def: $sgpr10
	s_and_saveexec_b64 s[8:9], s[12:13]
; %bb.3758:
	s_mov_b32 s10, 0x7f800001
	s_xor_b64 s[4:5], exec, -1
; %bb.3759:
	s_or_b64 exec, exec, s[8:9]
	s_and_b64 s[4:5], s[4:5], exec
	s_or_saveexec_b64 s[6:7], s[6:7]
	v_mov_b32_e32 v10, s10
	s_xor_b64 exec, exec, s[6:7]
	s_cbranch_execz .LBB12_1710
.LBB12_3760:
	v_mov_b32_e32 v10, 0
	v_cmp_ne_u16_sdwa s[8:9], v6, v10 src0_sel:BYTE_0 src1_sel:DWORD
	s_andn2_b64 s[4:5], s[4:5], exec
	s_and_b64 s[8:9], s[8:9], exec
	s_or_b64 s[4:5], s[4:5], s[8:9]
	s_or_b64 exec, exec, s[6:7]
	s_and_saveexec_b64 s[6:7], s[4:5]
	s_cbranch_execnz .LBB12_1711
	s_branch .LBB12_1712
.LBB12_3761:
	s_movk_i32 s4, 0x80
	v_cmp_eq_u16_e32 vcc, s4, v6
	s_mov_b64 s[4:5], -1
                                        ; implicit-def: $sgpr10
	s_and_saveexec_b64 s[8:9], vcc
; %bb.3762:
	s_mov_b32 s10, 0x7f800001
	s_xor_b64 s[4:5], exec, -1
; %bb.3763:
	s_or_b64 exec, exec, s[8:9]
	s_and_b64 s[4:5], s[4:5], exec
                                        ; implicit-def: $vgpr6
	s_or_saveexec_b64 s[6:7], s[6:7]
	v_mov_b32_e32 v2, s10
	s_xor_b64 exec, exec, s[6:7]
	s_cbranch_execz .LBB12_1714
.LBB12_3764:
	v_cmp_ne_u16_e32 vcc, 0, v6
	s_andn2_b64 s[4:5], s[4:5], exec
	s_and_b64 s[8:9], vcc, exec
	v_mov_b32_e32 v2, 0
	s_or_b64 s[4:5], s[4:5], s[8:9]
	s_or_b64 exec, exec, s[6:7]
	s_and_saveexec_b64 s[6:7], s[4:5]
	s_cbranch_execnz .LBB12_1715
	s_branch .LBB12_1716
.LBB12_3765:
	s_movk_i32 s4, 0x80
	v_cmp_eq_u16_e32 vcc, s4, v6
	s_mov_b64 s[4:5], -1
                                        ; implicit-def: $sgpr10
	s_and_saveexec_b64 s[8:9], vcc
; %bb.3766:
	s_mov_b32 s10, 0x7f800001
	s_xor_b64 s[4:5], exec, -1
; %bb.3767:
	s_or_b64 exec, exec, s[8:9]
	s_and_b64 s[4:5], s[4:5], exec
                                        ; implicit-def: $vgpr6
	s_or_saveexec_b64 s[6:7], s[6:7]
	v_mov_b32_e32 v10, s10
	s_xor_b64 exec, exec, s[6:7]
	s_cbranch_execz .LBB12_1718
.LBB12_3768:
	v_cmp_ne_u16_e32 vcc, 0, v6
	s_andn2_b64 s[4:5], s[4:5], exec
	s_and_b64 s[8:9], vcc, exec
	v_mov_b32_e32 v10, 0
	s_or_b64 s[4:5], s[4:5], s[8:9]
	s_or_b64 exec, exec, s[6:7]
	s_and_saveexec_b64 s[6:7], s[4:5]
	s_cbranch_execnz .LBB12_1719
	s_branch .LBB12_1720
.LBB12_3769:
	s_movk_i32 s4, 0x80
	v_cmp_eq_u16_sdwa s[12:13], v7, s4 src0_sel:BYTE_3 src1_sel:DWORD
	s_mov_b64 s[4:5], -1
                                        ; implicit-def: $sgpr10
	s_and_saveexec_b64 s[8:9], s[12:13]
; %bb.3770:
	s_mov_b32 s10, 0x7f800001
	s_xor_b64 s[4:5], exec, -1
; %bb.3771:
	s_or_b64 exec, exec, s[8:9]
	s_and_b64 s[4:5], s[4:5], exec
	s_or_saveexec_b64 s[6:7], s[6:7]
	v_mov_b32_e32 v2, s10
	s_xor_b64 exec, exec, s[6:7]
	s_cbranch_execz .LBB12_1722
.LBB12_3772:
	v_mov_b32_e32 v2, 0
	v_cmp_ne_u16_sdwa s[8:9], v7, v2 src0_sel:BYTE_3 src1_sel:DWORD
	s_andn2_b64 s[4:5], s[4:5], exec
	s_and_b64 s[8:9], s[8:9], exec
	s_or_b64 s[4:5], s[4:5], s[8:9]
	s_or_b64 exec, exec, s[6:7]
	s_and_saveexec_b64 s[6:7], s[4:5]
	s_cbranch_execnz .LBB12_1723
	s_branch .LBB12_1724
.LBB12_3773:
	s_movk_i32 s4, 0x80
	v_cmp_eq_u16_sdwa s[12:13], v3, s4 src0_sel:BYTE_3 src1_sel:DWORD
	s_mov_b64 s[4:5], -1
                                        ; implicit-def: $sgpr10
	s_and_saveexec_b64 s[8:9], s[12:13]
; %bb.3774:
	s_mov_b32 s10, 0x7f800001
	s_xor_b64 s[4:5], exec, -1
; %bb.3775:
	s_or_b64 exec, exec, s[8:9]
	s_and_b64 s[4:5], s[4:5], exec
	s_or_saveexec_b64 s[6:7], s[6:7]
	v_mov_b32_e32 v6, s10
	s_xor_b64 exec, exec, s[6:7]
	s_cbranch_execz .LBB12_1726
.LBB12_3776:
	v_mov_b32_e32 v6, 0
	v_cmp_ne_u16_sdwa s[8:9], v3, v6 src0_sel:BYTE_3 src1_sel:DWORD
	s_andn2_b64 s[4:5], s[4:5], exec
	s_and_b64 s[8:9], s[8:9], exec
	s_or_b64 s[4:5], s[4:5], s[8:9]
	s_or_b64 exec, exec, s[6:7]
	s_and_saveexec_b64 s[6:7], s[4:5]
	s_cbranch_execnz .LBB12_1727
	s_branch .LBB12_1728
.LBB12_3777:
	s_movk_i32 s4, 0x80
	v_cmp_eq_u16_sdwa s[12:13], v8, s4 src0_sel:BYTE_0 src1_sel:DWORD
	s_mov_b64 s[4:5], -1
                                        ; implicit-def: $sgpr10
	s_and_saveexec_b64 s[8:9], s[12:13]
; %bb.3778:
	s_mov_b32 s10, 0x7f800001
	s_xor_b64 s[4:5], exec, -1
; %bb.3779:
	s_or_b64 exec, exec, s[8:9]
	s_and_b64 s[4:5], s[4:5], exec
	s_or_saveexec_b64 s[6:7], s[6:7]
	v_mov_b32_e32 v2, s10
	s_xor_b64 exec, exec, s[6:7]
	s_cbranch_execz .LBB12_1730
.LBB12_3780:
	v_mov_b32_e32 v2, 0
	v_cmp_ne_u16_sdwa s[8:9], v8, v2 src0_sel:BYTE_0 src1_sel:DWORD
	s_andn2_b64 s[4:5], s[4:5], exec
	s_and_b64 s[8:9], s[8:9], exec
	s_or_b64 s[4:5], s[4:5], s[8:9]
	s_or_b64 exec, exec, s[6:7]
	s_and_saveexec_b64 s[6:7], s[4:5]
	s_cbranch_execnz .LBB12_1731
	s_branch .LBB12_1732
.LBB12_3781:
	s_movk_i32 s4, 0x80
	v_cmp_eq_u16_sdwa s[12:13], v4, s4 src0_sel:BYTE_0 src1_sel:DWORD
	s_mov_b64 s[4:5], -1
                                        ; implicit-def: $sgpr10
	s_and_saveexec_b64 s[8:9], s[12:13]
; %bb.3782:
	s_mov_b32 s10, 0x7f800001
	s_xor_b64 s[4:5], exec, -1
; %bb.3783:
	s_or_b64 exec, exec, s[8:9]
	s_and_b64 s[4:5], s[4:5], exec
	s_or_saveexec_b64 s[6:7], s[6:7]
	v_mov_b32_e32 v3, s10
	s_xor_b64 exec, exec, s[6:7]
	s_cbranch_execz .LBB12_1734
.LBB12_3784:
	v_mov_b32_e32 v3, 0
	v_cmp_ne_u16_sdwa s[8:9], v4, v3 src0_sel:BYTE_0 src1_sel:DWORD
	s_andn2_b64 s[4:5], s[4:5], exec
	s_and_b64 s[8:9], s[8:9], exec
	s_or_b64 s[4:5], s[4:5], s[8:9]
	s_or_b64 exec, exec, s[6:7]
	s_and_saveexec_b64 s[6:7], s[4:5]
	s_cbranch_execnz .LBB12_1735
	s_branch .LBB12_1736
.LBB12_3785:
	s_movk_i32 s4, 0x80
	v_cmp_eq_u16_sdwa s[12:13], v3, s4 src0_sel:BYTE_0 src1_sel:DWORD
	s_mov_b64 s[4:5], -1
                                        ; implicit-def: $sgpr10
	s_and_saveexec_b64 s[8:9], s[12:13]
; %bb.3786:
	s_mov_b32 s10, 0x7f800001
	s_xor_b64 s[4:5], exec, -1
; %bb.3787:
	s_or_b64 exec, exec, s[8:9]
	s_and_b64 s[4:5], s[4:5], exec
	s_or_saveexec_b64 s[6:7], s[6:7]
	v_mov_b32_e32 v2, s10
	s_xor_b64 exec, exec, s[6:7]
	s_cbranch_execz .LBB12_1738
.LBB12_3788:
	v_mov_b32_e32 v2, 0
	v_cmp_ne_u16_sdwa s[8:9], v3, v2 src0_sel:BYTE_0 src1_sel:DWORD
	s_andn2_b64 s[4:5], s[4:5], exec
	s_and_b64 s[8:9], s[8:9], exec
	s_or_b64 s[4:5], s[4:5], s[8:9]
	s_or_b64 exec, exec, s[6:7]
	s_and_saveexec_b64 s[6:7], s[4:5]
	s_cbranch_execnz .LBB12_1739
	s_branch .LBB12_1740
.LBB12_3789:
	s_movk_i32 s4, 0x80
	v_cmp_eq_u16_sdwa s[12:13], v3, s4 src0_sel:BYTE_0 src1_sel:DWORD
	s_mov_b64 s[4:5], -1
                                        ; implicit-def: $sgpr10
	s_and_saveexec_b64 s[8:9], s[12:13]
; %bb.3790:
	s_mov_b32 s10, 0x7f800001
	s_xor_b64 s[4:5], exec, -1
; %bb.3791:
	s_or_b64 exec, exec, s[8:9]
	s_and_b64 s[4:5], s[4:5], exec
	s_or_saveexec_b64 s[6:7], s[6:7]
	v_mov_b32_e32 v6, s10
	s_xor_b64 exec, exec, s[6:7]
	s_cbranch_execz .LBB12_1742
.LBB12_3792:
	v_mov_b32_e32 v6, 0
	v_cmp_ne_u16_sdwa s[8:9], v3, v6 src0_sel:BYTE_0 src1_sel:DWORD
	s_andn2_b64 s[4:5], s[4:5], exec
	s_and_b64 s[8:9], s[8:9], exec
	s_or_b64 s[4:5], s[4:5], s[8:9]
	s_or_b64 exec, exec, s[6:7]
	s_and_saveexec_b64 s[6:7], s[4:5]
	s_cbranch_execnz .LBB12_1743
	s_branch .LBB12_1744
.LBB12_3793:
	s_movk_i32 s4, 0x80
	v_cmp_eq_u16_e32 vcc, s4, v3
	s_mov_b64 s[4:5], -1
                                        ; implicit-def: $sgpr10
	s_and_saveexec_b64 s[8:9], vcc
; %bb.3794:
	s_mov_b32 s10, 0x7f800001
	s_xor_b64 s[4:5], exec, -1
; %bb.3795:
	s_or_b64 exec, exec, s[8:9]
	s_and_b64 s[4:5], s[4:5], exec
                                        ; implicit-def: $vgpr3
	s_or_saveexec_b64 s[6:7], s[6:7]
	v_mov_b32_e32 v2, s10
	s_xor_b64 exec, exec, s[6:7]
	s_cbranch_execz .LBB12_1746
.LBB12_3796:
	v_cmp_ne_u16_e32 vcc, 0, v3
	s_andn2_b64 s[4:5], s[4:5], exec
	s_and_b64 s[8:9], vcc, exec
	v_mov_b32_e32 v2, 0
	s_or_b64 s[4:5], s[4:5], s[8:9]
	s_or_b64 exec, exec, s[6:7]
	s_and_saveexec_b64 s[6:7], s[4:5]
	s_cbranch_execnz .LBB12_1747
	s_branch .LBB12_1748
.LBB12_3797:
	s_movk_i32 s4, 0x80
	v_cmp_eq_u16_e32 vcc, s4, v3
	s_mov_b64 s[4:5], -1
                                        ; implicit-def: $sgpr10
	s_and_saveexec_b64 s[8:9], vcc
; %bb.3798:
	s_mov_b32 s10, 0x7f800001
	s_xor_b64 s[4:5], exec, -1
; %bb.3799:
	s_or_b64 exec, exec, s[8:9]
	s_and_b64 s[4:5], s[4:5], exec
                                        ; implicit-def: $vgpr3
	s_or_saveexec_b64 s[6:7], s[6:7]
	v_mov_b32_e32 v6, s10
	s_xor_b64 exec, exec, s[6:7]
	s_cbranch_execz .LBB12_1750
.LBB12_3800:
	v_cmp_ne_u16_e32 vcc, 0, v3
	s_andn2_b64 s[4:5], s[4:5], exec
	s_and_b64 s[8:9], vcc, exec
	v_mov_b32_e32 v6, 0
	s_or_b64 s[4:5], s[4:5], s[8:9]
	s_or_b64 exec, exec, s[6:7]
	s_and_saveexec_b64 s[6:7], s[4:5]
	s_cbranch_execnz .LBB12_1751
	s_branch .LBB12_1752
.LBB12_3801:
	s_movk_i32 s4, 0x80
	v_cmp_eq_u16_sdwa s[12:13], v8, s4 src0_sel:BYTE_3 src1_sel:DWORD
	s_mov_b64 s[4:5], -1
                                        ; implicit-def: $sgpr10
	s_and_saveexec_b64 s[8:9], s[12:13]
; %bb.3802:
	s_mov_b32 s10, 0x7f800001
	s_xor_b64 s[4:5], exec, -1
; %bb.3803:
	s_or_b64 exec, exec, s[8:9]
	s_and_b64 s[4:5], s[4:5], exec
	s_or_saveexec_b64 s[6:7], s[6:7]
	v_mov_b32_e32 v2, s10
	s_xor_b64 exec, exec, s[6:7]
	s_cbranch_execz .LBB12_1754
.LBB12_3804:
	v_mov_b32_e32 v2, 0
	v_cmp_ne_u16_sdwa s[8:9], v8, v2 src0_sel:BYTE_3 src1_sel:DWORD
	s_andn2_b64 s[4:5], s[4:5], exec
	s_and_b64 s[8:9], s[8:9], exec
	s_or_b64 s[4:5], s[4:5], s[8:9]
	s_or_b64 exec, exec, s[6:7]
	s_and_saveexec_b64 s[6:7], s[4:5]
	s_cbranch_execnz .LBB12_1755
	s_branch .LBB12_1756
.LBB12_3805:
	s_movk_i32 s4, 0x80
	v_cmp_eq_u16_sdwa s[12:13], v4, s4 src0_sel:BYTE_3 src1_sel:DWORD
	s_mov_b64 s[4:5], -1
                                        ; implicit-def: $sgpr10
	s_and_saveexec_b64 s[8:9], s[12:13]
; %bb.3806:
	s_mov_b32 s10, 0x7f800001
	s_xor_b64 s[4:5], exec, -1
; %bb.3807:
	s_or_b64 exec, exec, s[8:9]
	s_and_b64 s[4:5], s[4:5], exec
	s_or_saveexec_b64 s[6:7], s[6:7]
	v_mov_b32_e32 v3, s10
	s_xor_b64 exec, exec, s[6:7]
	s_cbranch_execz .LBB12_1758
.LBB12_3808:
	v_mov_b32_e32 v3, 0
	v_cmp_ne_u16_sdwa s[8:9], v4, v3 src0_sel:BYTE_3 src1_sel:DWORD
	s_andn2_b64 s[4:5], s[4:5], exec
	s_and_b64 s[8:9], s[8:9], exec
	s_or_b64 s[4:5], s[4:5], s[8:9]
	s_or_b64 exec, exec, s[6:7]
	s_and_saveexec_b64 s[6:7], s[4:5]
	s_cbranch_execnz .LBB12_1759
	s_branch .LBB12_1760
.LBB12_3809:
	s_movk_i32 s4, 0x80
	v_cmp_eq_u16_sdwa s[12:13], v9, s4 src0_sel:BYTE_0 src1_sel:DWORD
	s_mov_b64 s[4:5], -1
                                        ; implicit-def: $sgpr10
	s_and_saveexec_b64 s[8:9], s[12:13]
; %bb.3810:
	s_mov_b32 s10, 0x7f800001
	s_xor_b64 s[4:5], exec, -1
; %bb.3811:
	s_or_b64 exec, exec, s[8:9]
	s_and_b64 s[4:5], s[4:5], exec
	s_or_saveexec_b64 s[6:7], s[6:7]
	v_mov_b32_e32 v2, s10
	s_xor_b64 exec, exec, s[6:7]
	s_cbranch_execz .LBB12_1762
.LBB12_3812:
	v_mov_b32_e32 v2, 0
	v_cmp_ne_u16_sdwa s[8:9], v9, v2 src0_sel:BYTE_0 src1_sel:DWORD
	s_andn2_b64 s[4:5], s[4:5], exec
	s_and_b64 s[8:9], s[8:9], exec
	s_or_b64 s[4:5], s[4:5], s[8:9]
	s_or_b64 exec, exec, s[6:7]
	s_and_saveexec_b64 s[6:7], s[4:5]
	s_cbranch_execnz .LBB12_1763
	s_branch .LBB12_1764
.LBB12_3813:
	s_movk_i32 s4, 0x80
	v_cmp_eq_u16_sdwa s[12:13], v5, s4 src0_sel:BYTE_0 src1_sel:DWORD
	s_mov_b64 s[4:5], -1
                                        ; implicit-def: $sgpr10
	s_and_saveexec_b64 s[8:9], s[12:13]
; %bb.3814:
	s_mov_b32 s10, 0x7f800001
	s_xor_b64 s[4:5], exec, -1
; %bb.3815:
	s_or_b64 exec, exec, s[8:9]
	s_and_b64 s[4:5], s[4:5], exec
	s_or_saveexec_b64 s[6:7], s[6:7]
	v_mov_b32_e32 v3, s10
	s_xor_b64 exec, exec, s[6:7]
	s_cbranch_execz .LBB12_1766
.LBB12_3816:
	v_mov_b32_e32 v3, 0
	v_cmp_ne_u16_sdwa s[8:9], v5, v3 src0_sel:BYTE_0 src1_sel:DWORD
	s_andn2_b64 s[4:5], s[4:5], exec
	s_and_b64 s[8:9], s[8:9], exec
	s_or_b64 s[4:5], s[4:5], s[8:9]
	s_or_b64 exec, exec, s[6:7]
	s_and_saveexec_b64 s[6:7], s[4:5]
	s_cbranch_execnz .LBB12_1767
	s_branch .LBB12_1768
.LBB12_3817:
	s_movk_i32 s4, 0x80
	v_cmp_eq_u16_sdwa s[12:13], v3, s4 src0_sel:BYTE_0 src1_sel:DWORD
	s_mov_b64 s[4:5], -1
                                        ; implicit-def: $sgpr10
	s_and_saveexec_b64 s[8:9], s[12:13]
; %bb.3818:
	s_mov_b32 s10, 0x7f800001
	s_xor_b64 s[4:5], exec, -1
; %bb.3819:
	s_or_b64 exec, exec, s[8:9]
	s_and_b64 s[4:5], s[4:5], exec
	s_or_saveexec_b64 s[6:7], s[6:7]
	v_mov_b32_e32 v2, s10
	s_xor_b64 exec, exec, s[6:7]
	s_cbranch_execz .LBB12_1770
.LBB12_3820:
	v_mov_b32_e32 v2, 0
	v_cmp_ne_u16_sdwa s[8:9], v3, v2 src0_sel:BYTE_0 src1_sel:DWORD
	s_andn2_b64 s[4:5], s[4:5], exec
	s_and_b64 s[8:9], s[8:9], exec
	s_or_b64 s[4:5], s[4:5], s[8:9]
	s_or_b64 exec, exec, s[6:7]
	s_and_saveexec_b64 s[6:7], s[4:5]
	s_cbranch_execnz .LBB12_1771
	s_branch .LBB12_1772
.LBB12_3821:
	s_movk_i32 s4, 0x80
	v_cmp_eq_u16_sdwa s[12:13], v3, s4 src0_sel:BYTE_0 src1_sel:DWORD
	s_mov_b64 s[4:5], -1
                                        ; implicit-def: $sgpr10
	s_and_saveexec_b64 s[8:9], s[12:13]
; %bb.3822:
	s_mov_b32 s10, 0x7f800001
	s_xor_b64 s[4:5], exec, -1
; %bb.3823:
	s_or_b64 exec, exec, s[8:9]
	s_and_b64 s[4:5], s[4:5], exec
	s_or_saveexec_b64 s[6:7], s[6:7]
	v_mov_b32_e32 v4, s10
	s_xor_b64 exec, exec, s[6:7]
	s_cbranch_execz .LBB12_1774
.LBB12_3824:
	v_mov_b32_e32 v4, 0
	v_cmp_ne_u16_sdwa s[8:9], v3, v4 src0_sel:BYTE_0 src1_sel:DWORD
	s_andn2_b64 s[4:5], s[4:5], exec
	s_and_b64 s[8:9], s[8:9], exec
	s_or_b64 s[4:5], s[4:5], s[8:9]
	s_or_b64 exec, exec, s[6:7]
	s_and_saveexec_b64 s[6:7], s[4:5]
	s_cbranch_execnz .LBB12_1775
	s_branch .LBB12_1776
.LBB12_3825:
	s_movk_i32 s4, 0x80
	v_cmp_eq_u16_e32 vcc, s4, v3
	s_mov_b64 s[4:5], -1
                                        ; implicit-def: $sgpr10
	s_and_saveexec_b64 s[8:9], vcc
; %bb.3826:
	s_mov_b32 s10, 0x7f800001
	s_xor_b64 s[4:5], exec, -1
; %bb.3827:
	s_or_b64 exec, exec, s[8:9]
	s_and_b64 s[4:5], s[4:5], exec
                                        ; implicit-def: $vgpr3
	s_or_saveexec_b64 s[6:7], s[6:7]
	v_mov_b32_e32 v2, s10
	s_xor_b64 exec, exec, s[6:7]
	s_cbranch_execz .LBB12_1778
.LBB12_3828:
	v_cmp_ne_u16_e32 vcc, 0, v3
	s_andn2_b64 s[4:5], s[4:5], exec
	s_and_b64 s[8:9], vcc, exec
	v_mov_b32_e32 v2, 0
	s_or_b64 s[4:5], s[4:5], s[8:9]
	s_or_b64 exec, exec, s[6:7]
	s_and_saveexec_b64 s[6:7], s[4:5]
	s_cbranch_execnz .LBB12_1779
	s_branch .LBB12_1780
.LBB12_3829:
	s_movk_i32 s4, 0x80
	v_cmp_eq_u16_e32 vcc, s4, v3
	s_mov_b64 s[4:5], -1
                                        ; implicit-def: $sgpr10
	s_and_saveexec_b64 s[8:9], vcc
; %bb.3830:
	s_mov_b32 s10, 0x7f800001
	s_xor_b64 s[4:5], exec, -1
; %bb.3831:
	s_or_b64 exec, exec, s[8:9]
	s_and_b64 s[4:5], s[4:5], exec
                                        ; implicit-def: $vgpr3
	s_or_saveexec_b64 s[6:7], s[6:7]
	v_mov_b32_e32 v4, s10
	s_xor_b64 exec, exec, s[6:7]
	s_cbranch_execz .LBB12_1782
.LBB12_3832:
	v_cmp_ne_u16_e32 vcc, 0, v3
	s_andn2_b64 s[4:5], s[4:5], exec
	s_and_b64 s[8:9], vcc, exec
	v_mov_b32_e32 v4, 0
	s_or_b64 s[4:5], s[4:5], s[8:9]
	s_or_b64 exec, exec, s[6:7]
	s_and_saveexec_b64 s[6:7], s[4:5]
	s_cbranch_execnz .LBB12_1783
	s_branch .LBB12_1784
.LBB12_3833:
	s_movk_i32 s4, 0x80
	v_cmp_eq_u16_sdwa s[12:13], v9, s4 src0_sel:BYTE_3 src1_sel:DWORD
	s_mov_b64 s[4:5], -1
                                        ; implicit-def: $sgpr10
	s_and_saveexec_b64 s[8:9], s[12:13]
; %bb.3834:
	s_mov_b32 s10, 0x7f800001
	s_xor_b64 s[4:5], exec, -1
; %bb.3835:
	s_or_b64 exec, exec, s[8:9]
	s_and_b64 s[4:5], s[4:5], exec
	s_or_saveexec_b64 s[6:7], s[6:7]
	v_mov_b32_e32 v2, s10
	s_xor_b64 exec, exec, s[6:7]
	s_cbranch_execz .LBB12_1786
.LBB12_3836:
	v_mov_b32_e32 v2, 0
	v_cmp_ne_u16_sdwa s[8:9], v9, v2 src0_sel:BYTE_3 src1_sel:DWORD
	s_andn2_b64 s[4:5], s[4:5], exec
	s_and_b64 s[8:9], s[8:9], exec
	s_or_b64 s[4:5], s[4:5], s[8:9]
	s_or_b64 exec, exec, s[6:7]
	s_and_saveexec_b64 s[6:7], s[4:5]
	s_cbranch_execnz .LBB12_1787
	s_branch .LBB12_1788
.LBB12_3837:
	s_movk_i32 s4, 0x80
	v_cmp_eq_u16_sdwa s[12:13], v5, s4 src0_sel:BYTE_3 src1_sel:DWORD
	s_mov_b64 s[4:5], -1
                                        ; implicit-def: $sgpr10
	s_and_saveexec_b64 s[8:9], s[12:13]
; %bb.3838:
	s_mov_b32 s10, 0x7f800001
	s_xor_b64 s[4:5], exec, -1
; %bb.3839:
	s_or_b64 exec, exec, s[8:9]
	s_and_b64 s[4:5], s[4:5], exec
	s_or_saveexec_b64 s[6:7], s[6:7]
	v_mov_b32_e32 v3, s10
	s_xor_b64 exec, exec, s[6:7]
	s_cbranch_execz .LBB12_1790
.LBB12_3840:
	v_mov_b32_e32 v3, 0
	v_cmp_ne_u16_sdwa s[8:9], v5, v3 src0_sel:BYTE_3 src1_sel:DWORD
	s_andn2_b64 s[4:5], s[4:5], exec
	s_and_b64 s[8:9], s[8:9], exec
	s_or_b64 s[4:5], s[4:5], s[8:9]
	s_or_b64 exec, exec, s[6:7]
	s_and_saveexec_b64 s[6:7], s[4:5]
	s_cbranch_execnz .LBB12_1791
	s_branch .LBB12_1792
.LBB12_3841:
	s_movk_i32 s4, 0x80
	v_cmp_eq_u16_sdwa s[12:13], v12, s4 src0_sel:BYTE_0 src1_sel:DWORD
	s_mov_b64 s[4:5], -1
                                        ; implicit-def: $sgpr10
	s_and_saveexec_b64 s[8:9], s[12:13]
; %bb.3842:
	s_mov_b32 s10, 0x7f800001
	s_xor_b64 s[4:5], exec, -1
; %bb.3843:
	s_or_b64 exec, exec, s[8:9]
	s_and_b64 s[4:5], s[4:5], exec
	s_or_saveexec_b64 s[6:7], s[6:7]
	v_mov_b32_e32 v18, s10
	s_xor_b64 exec, exec, s[6:7]
	s_cbranch_execz .LBB12_1794
.LBB12_3844:
	v_mov_b32_e32 v18, 0
	v_cmp_ne_u16_sdwa s[8:9], v12, v18 src0_sel:BYTE_0 src1_sel:DWORD
	s_andn2_b64 s[4:5], s[4:5], exec
	s_and_b64 s[8:9], s[8:9], exec
	s_or_b64 s[4:5], s[4:5], s[8:9]
	s_or_b64 exec, exec, s[6:7]
	s_and_saveexec_b64 s[6:7], s[4:5]
	s_cbranch_execnz .LBB12_1795
	s_branch .LBB12_1796
.LBB12_3845:
	s_movk_i32 s4, 0x80
	v_cmp_eq_u16_sdwa s[12:13], v8, s4 src0_sel:BYTE_0 src1_sel:DWORD
	s_mov_b64 s[4:5], -1
                                        ; implicit-def: $sgpr10
	s_and_saveexec_b64 s[8:9], s[12:13]
; %bb.3846:
	s_mov_b32 s10, 0x7f800001
	s_xor_b64 s[4:5], exec, -1
; %bb.3847:
	s_or_b64 exec, exec, s[8:9]
	s_and_b64 s[4:5], s[4:5], exec
	s_or_saveexec_b64 s[6:7], s[6:7]
	v_mov_b32_e32 v19, s10
	s_xor_b64 exec, exec, s[6:7]
	s_cbranch_execz .LBB12_1798
.LBB12_3848:
	v_mov_b32_e32 v19, 0
	v_cmp_ne_u16_sdwa s[8:9], v8, v19 src0_sel:BYTE_0 src1_sel:DWORD
	s_andn2_b64 s[4:5], s[4:5], exec
	s_and_b64 s[8:9], s[8:9], exec
	s_or_b64 s[4:5], s[4:5], s[8:9]
	s_or_b64 exec, exec, s[6:7]
	s_and_saveexec_b64 s[6:7], s[4:5]
	s_cbranch_execnz .LBB12_1799
	s_branch .LBB12_1800
.LBB12_3849:
	s_movk_i32 s4, 0x80
	v_cmp_eq_u16_sdwa s[12:13], v19, s4 src0_sel:BYTE_0 src1_sel:DWORD
	s_mov_b64 s[4:5], -1
                                        ; implicit-def: $sgpr10
	s_and_saveexec_b64 s[8:9], s[12:13]
; %bb.3850:
	s_mov_b32 s10, 0x7f800001
	s_xor_b64 s[4:5], exec, -1
; %bb.3851:
	s_or_b64 exec, exec, s[8:9]
	s_and_b64 s[4:5], s[4:5], exec
	s_or_saveexec_b64 s[6:7], s[6:7]
	v_mov_b32_e32 v18, s10
	s_xor_b64 exec, exec, s[6:7]
	s_cbranch_execz .LBB12_1802
.LBB12_3852:
	v_mov_b32_e32 v18, 0
	v_cmp_ne_u16_sdwa s[8:9], v19, v18 src0_sel:BYTE_0 src1_sel:DWORD
	s_andn2_b64 s[4:5], s[4:5], exec
	s_and_b64 s[8:9], s[8:9], exec
	s_or_b64 s[4:5], s[4:5], s[8:9]
	s_or_b64 exec, exec, s[6:7]
	s_and_saveexec_b64 s[6:7], s[4:5]
	s_cbranch_execnz .LBB12_1803
	s_branch .LBB12_1804
.LBB12_3853:
	s_movk_i32 s4, 0x80
	v_cmp_eq_u16_sdwa s[12:13], v19, s4 src0_sel:BYTE_0 src1_sel:DWORD
	s_mov_b64 s[4:5], -1
                                        ; implicit-def: $sgpr10
	s_and_saveexec_b64 s[8:9], s[12:13]
; %bb.3854:
	s_mov_b32 s10, 0x7f800001
	s_xor_b64 s[4:5], exec, -1
; %bb.3855:
	s_or_b64 exec, exec, s[8:9]
	s_and_b64 s[4:5], s[4:5], exec
	s_or_saveexec_b64 s[6:7], s[6:7]
	v_mov_b32_e32 v20, s10
	s_xor_b64 exec, exec, s[6:7]
	s_cbranch_execz .LBB12_1806
.LBB12_3856:
	v_mov_b32_e32 v20, 0
	v_cmp_ne_u16_sdwa s[8:9], v19, v20 src0_sel:BYTE_0 src1_sel:DWORD
	s_andn2_b64 s[4:5], s[4:5], exec
	s_and_b64 s[8:9], s[8:9], exec
	s_or_b64 s[4:5], s[4:5], s[8:9]
	s_or_b64 exec, exec, s[6:7]
	s_and_saveexec_b64 s[6:7], s[4:5]
	s_cbranch_execnz .LBB12_1807
	s_branch .LBB12_1808
.LBB12_3857:
	s_movk_i32 s4, 0x80
	v_cmp_eq_u16_e32 vcc, s4, v19
	s_mov_b64 s[4:5], -1
                                        ; implicit-def: $sgpr10
	s_and_saveexec_b64 s[8:9], vcc
; %bb.3858:
	s_mov_b32 s10, 0x7f800001
	s_xor_b64 s[4:5], exec, -1
; %bb.3859:
	s_or_b64 exec, exec, s[8:9]
	s_and_b64 s[4:5], s[4:5], exec
                                        ; implicit-def: $vgpr19
	s_or_saveexec_b64 s[6:7], s[6:7]
	v_mov_b32_e32 v18, s10
	s_xor_b64 exec, exec, s[6:7]
	s_cbranch_execz .LBB12_1810
.LBB12_3860:
	v_cmp_ne_u16_e32 vcc, 0, v19
	s_andn2_b64 s[4:5], s[4:5], exec
	s_and_b64 s[8:9], vcc, exec
	v_mov_b32_e32 v18, 0
	s_or_b64 s[4:5], s[4:5], s[8:9]
	s_or_b64 exec, exec, s[6:7]
	s_and_saveexec_b64 s[6:7], s[4:5]
	s_cbranch_execnz .LBB12_1811
	s_branch .LBB12_1812
.LBB12_3861:
	s_movk_i32 s4, 0x80
	v_cmp_eq_u16_e32 vcc, s4, v19
	s_mov_b64 s[4:5], -1
                                        ; implicit-def: $sgpr10
	s_and_saveexec_b64 s[8:9], vcc
; %bb.3862:
	s_mov_b32 s10, 0x7f800001
	s_xor_b64 s[4:5], exec, -1
; %bb.3863:
	s_or_b64 exec, exec, s[8:9]
	s_and_b64 s[4:5], s[4:5], exec
                                        ; implicit-def: $vgpr19
	s_or_saveexec_b64 s[6:7], s[6:7]
	v_mov_b32_e32 v20, s10
	s_xor_b64 exec, exec, s[6:7]
	s_cbranch_execz .LBB12_1814
.LBB12_3864:
	v_cmp_ne_u16_e32 vcc, 0, v19
	s_andn2_b64 s[4:5], s[4:5], exec
	s_and_b64 s[8:9], vcc, exec
	v_mov_b32_e32 v20, 0
	s_or_b64 s[4:5], s[4:5], s[8:9]
	s_or_b64 exec, exec, s[6:7]
	s_and_saveexec_b64 s[6:7], s[4:5]
	s_cbranch_execnz .LBB12_1815
	s_branch .LBB12_1816
.LBB12_3865:
	s_movk_i32 s4, 0x80
	v_cmp_eq_u16_sdwa s[12:13], v12, s4 src0_sel:BYTE_3 src1_sel:DWORD
	s_mov_b64 s[4:5], -1
                                        ; implicit-def: $sgpr10
	s_and_saveexec_b64 s[8:9], s[12:13]
; %bb.3866:
	s_mov_b32 s10, 0x7f800001
	s_xor_b64 s[4:5], exec, -1
; %bb.3867:
	s_or_b64 exec, exec, s[8:9]
	s_and_b64 s[4:5], s[4:5], exec
	s_or_saveexec_b64 s[6:7], s[6:7]
	v_mov_b32_e32 v18, s10
	s_xor_b64 exec, exec, s[6:7]
	s_cbranch_execz .LBB12_1818
.LBB12_3868:
	v_mov_b32_e32 v18, 0
	v_cmp_ne_u16_sdwa s[8:9], v12, v18 src0_sel:BYTE_3 src1_sel:DWORD
	s_andn2_b64 s[4:5], s[4:5], exec
	s_and_b64 s[8:9], s[8:9], exec
	s_or_b64 s[4:5], s[4:5], s[8:9]
	s_or_b64 exec, exec, s[6:7]
	s_and_saveexec_b64 s[6:7], s[4:5]
	s_cbranch_execnz .LBB12_1819
	s_branch .LBB12_1820
.LBB12_3869:
	s_movk_i32 s4, 0x80
	v_cmp_eq_u16_sdwa s[12:13], v8, s4 src0_sel:BYTE_3 src1_sel:DWORD
	s_mov_b64 s[4:5], -1
                                        ; implicit-def: $sgpr10
	s_and_saveexec_b64 s[8:9], s[12:13]
; %bb.3870:
	s_mov_b32 s10, 0x7f800001
	s_xor_b64 s[4:5], exec, -1
; %bb.3871:
	s_or_b64 exec, exec, s[8:9]
	s_and_b64 s[4:5], s[4:5], exec
	s_or_saveexec_b64 s[6:7], s[6:7]
	v_mov_b32_e32 v12, s10
	s_xor_b64 exec, exec, s[6:7]
	s_cbranch_execz .LBB12_1822
.LBB12_3872:
	v_mov_b32_e32 v12, 0
	v_cmp_ne_u16_sdwa s[8:9], v8, v12 src0_sel:BYTE_3 src1_sel:DWORD
	s_andn2_b64 s[4:5], s[4:5], exec
	s_and_b64 s[8:9], s[8:9], exec
	s_or_b64 s[4:5], s[4:5], s[8:9]
	s_or_b64 exec, exec, s[6:7]
	s_and_saveexec_b64 s[6:7], s[4:5]
	s_cbranch_execnz .LBB12_1823
	s_branch .LBB12_1824
.LBB12_3873:
	s_movk_i32 s4, 0x80
	v_cmp_eq_u16_sdwa s[12:13], v13, s4 src0_sel:BYTE_0 src1_sel:DWORD
	s_mov_b64 s[4:5], -1
                                        ; implicit-def: $sgpr10
	s_and_saveexec_b64 s[8:9], s[12:13]
; %bb.3874:
	s_mov_b32 s10, 0x7f800001
	s_xor_b64 s[4:5], exec, -1
; %bb.3875:
	s_or_b64 exec, exec, s[8:9]
	s_and_b64 s[4:5], s[4:5], exec
	s_or_saveexec_b64 s[6:7], s[6:7]
	v_mov_b32_e32 v8, s10
	s_xor_b64 exec, exec, s[6:7]
	s_cbranch_execz .LBB12_1826
.LBB12_3876:
	v_mov_b32_e32 v8, 0
	v_cmp_ne_u16_sdwa s[8:9], v13, v8 src0_sel:BYTE_0 src1_sel:DWORD
	s_andn2_b64 s[4:5], s[4:5], exec
	s_and_b64 s[8:9], s[8:9], exec
	s_or_b64 s[4:5], s[4:5], s[8:9]
	s_or_b64 exec, exec, s[6:7]
	s_and_saveexec_b64 s[6:7], s[4:5]
	s_cbranch_execnz .LBB12_1827
	s_branch .LBB12_1828
.LBB12_3877:
	s_movk_i32 s4, 0x80
	v_cmp_eq_u16_sdwa s[12:13], v9, s4 src0_sel:BYTE_0 src1_sel:DWORD
	s_mov_b64 s[4:5], -1
                                        ; implicit-def: $sgpr10
	s_and_saveexec_b64 s[8:9], s[12:13]
; %bb.3878:
	s_mov_b32 s10, 0x7f800001
	s_xor_b64 s[4:5], exec, -1
; %bb.3879:
	s_or_b64 exec, exec, s[8:9]
	s_and_b64 s[4:5], s[4:5], exec
	s_or_saveexec_b64 s[6:7], s[6:7]
	v_mov_b32_e32 v12, s10
	s_xor_b64 exec, exec, s[6:7]
	s_cbranch_execz .LBB12_1830
.LBB12_3880:
	v_mov_b32_e32 v12, 0
	v_cmp_ne_u16_sdwa s[8:9], v9, v12 src0_sel:BYTE_0 src1_sel:DWORD
	s_andn2_b64 s[4:5], s[4:5], exec
	s_and_b64 s[8:9], s[8:9], exec
	s_or_b64 s[4:5], s[4:5], s[8:9]
	s_or_b64 exec, exec, s[6:7]
	s_and_saveexec_b64 s[6:7], s[4:5]
	s_cbranch_execnz .LBB12_1831
	s_branch .LBB12_1832
.LBB12_3881:
	s_movk_i32 s4, 0x80
	v_cmp_eq_u16_sdwa s[12:13], v12, s4 src0_sel:BYTE_0 src1_sel:DWORD
	s_mov_b64 s[4:5], -1
                                        ; implicit-def: $sgpr10
	s_and_saveexec_b64 s[8:9], s[12:13]
; %bb.3882:
	s_mov_b32 s10, 0x7f800001
	s_xor_b64 s[4:5], exec, -1
; %bb.3883:
	s_or_b64 exec, exec, s[8:9]
	s_and_b64 s[4:5], s[4:5], exec
	s_or_saveexec_b64 s[6:7], s[6:7]
	v_mov_b32_e32 v8, s10
	s_xor_b64 exec, exec, s[6:7]
	s_cbranch_execz .LBB12_1834
.LBB12_3884:
	v_mov_b32_e32 v8, 0
	v_cmp_ne_u16_sdwa s[8:9], v12, v8 src0_sel:BYTE_0 src1_sel:DWORD
	s_andn2_b64 s[4:5], s[4:5], exec
	s_and_b64 s[8:9], s[8:9], exec
	s_or_b64 s[4:5], s[4:5], s[8:9]
	s_or_b64 exec, exec, s[6:7]
	s_and_saveexec_b64 s[6:7], s[4:5]
	s_cbranch_execnz .LBB12_1835
	s_branch .LBB12_1836
.LBB12_3885:
	s_movk_i32 s4, 0x80
	v_cmp_eq_u16_sdwa s[12:13], v12, s4 src0_sel:BYTE_0 src1_sel:DWORD
	s_mov_b64 s[4:5], -1
                                        ; implicit-def: $sgpr10
	s_and_saveexec_b64 s[8:9], s[12:13]
; %bb.3886:
	s_mov_b32 s10, 0x7f800001
	s_xor_b64 s[4:5], exec, -1
; %bb.3887:
	s_or_b64 exec, exec, s[8:9]
	s_and_b64 s[4:5], s[4:5], exec
	s_or_saveexec_b64 s[6:7], s[6:7]
	v_mov_b32_e32 v18, s10
	s_xor_b64 exec, exec, s[6:7]
	s_cbranch_execz .LBB12_1838
.LBB12_3888:
	v_mov_b32_e32 v18, 0
	v_cmp_ne_u16_sdwa s[8:9], v12, v18 src0_sel:BYTE_0 src1_sel:DWORD
	s_andn2_b64 s[4:5], s[4:5], exec
	s_and_b64 s[8:9], s[8:9], exec
	s_or_b64 s[4:5], s[4:5], s[8:9]
	s_or_b64 exec, exec, s[6:7]
	s_and_saveexec_b64 s[6:7], s[4:5]
	s_cbranch_execnz .LBB12_1839
	s_branch .LBB12_1840
.LBB12_3889:
	s_movk_i32 s4, 0x80
	v_cmp_eq_u16_e32 vcc, s4, v12
	s_mov_b64 s[4:5], -1
                                        ; implicit-def: $sgpr10
	s_and_saveexec_b64 s[8:9], vcc
; %bb.3890:
	s_mov_b32 s10, 0x7f800001
	s_xor_b64 s[4:5], exec, -1
; %bb.3891:
	s_or_b64 exec, exec, s[8:9]
	s_and_b64 s[4:5], s[4:5], exec
                                        ; implicit-def: $vgpr12
	s_or_saveexec_b64 s[6:7], s[6:7]
	v_mov_b32_e32 v8, s10
	s_xor_b64 exec, exec, s[6:7]
	s_cbranch_execz .LBB12_1842
.LBB12_3892:
	v_cmp_ne_u16_e32 vcc, 0, v12
	s_andn2_b64 s[4:5], s[4:5], exec
	s_and_b64 s[8:9], vcc, exec
	v_mov_b32_e32 v8, 0
	s_or_b64 s[4:5], s[4:5], s[8:9]
	s_or_b64 exec, exec, s[6:7]
	s_and_saveexec_b64 s[6:7], s[4:5]
	s_cbranch_execnz .LBB12_1843
	s_branch .LBB12_1844
.LBB12_3893:
	s_movk_i32 s4, 0x80
	v_cmp_eq_u16_e32 vcc, s4, v12
	s_mov_b64 s[4:5], -1
                                        ; implicit-def: $sgpr10
	s_and_saveexec_b64 s[8:9], vcc
; %bb.3894:
	s_mov_b32 s10, 0x7f800001
	s_xor_b64 s[4:5], exec, -1
; %bb.3895:
	s_or_b64 exec, exec, s[8:9]
	s_and_b64 s[4:5], s[4:5], exec
                                        ; implicit-def: $vgpr12
	s_or_saveexec_b64 s[6:7], s[6:7]
	v_mov_b32_e32 v18, s10
	s_xor_b64 exec, exec, s[6:7]
	s_cbranch_execz .LBB12_1846
.LBB12_3896:
	v_cmp_ne_u16_e32 vcc, 0, v12
	s_andn2_b64 s[4:5], s[4:5], exec
	s_and_b64 s[8:9], vcc, exec
	v_mov_b32_e32 v18, 0
	s_or_b64 s[4:5], s[4:5], s[8:9]
	s_or_b64 exec, exec, s[6:7]
	s_and_saveexec_b64 s[6:7], s[4:5]
	s_cbranch_execnz .LBB12_1847
	s_branch .LBB12_1848
.LBB12_3897:
	s_movk_i32 s4, 0x80
	v_cmp_eq_u16_sdwa s[12:13], v13, s4 src0_sel:BYTE_3 src1_sel:DWORD
	s_mov_b64 s[4:5], -1
                                        ; implicit-def: $sgpr10
	s_and_saveexec_b64 s[8:9], s[12:13]
; %bb.3898:
	s_mov_b32 s10, 0x7f800001
	s_xor_b64 s[4:5], exec, -1
; %bb.3899:
	s_or_b64 exec, exec, s[8:9]
	s_and_b64 s[4:5], s[4:5], exec
	s_or_saveexec_b64 s[6:7], s[6:7]
	v_mov_b32_e32 v8, s10
	s_xor_b64 exec, exec, s[6:7]
	s_cbranch_execz .LBB12_1850
.LBB12_3900:
	v_mov_b32_e32 v8, 0
	v_cmp_ne_u16_sdwa s[8:9], v13, v8 src0_sel:BYTE_3 src1_sel:DWORD
	s_andn2_b64 s[4:5], s[4:5], exec
	s_and_b64 s[8:9], s[8:9], exec
	s_or_b64 s[4:5], s[4:5], s[8:9]
	s_or_b64 exec, exec, s[6:7]
	s_and_saveexec_b64 s[6:7], s[4:5]
	s_cbranch_execnz .LBB12_1851
	s_branch .LBB12_1852
.LBB12_3901:
	s_movk_i32 s4, 0x80
	v_cmp_eq_u16_sdwa s[12:13], v9, s4 src0_sel:BYTE_3 src1_sel:DWORD
	s_mov_b64 s[4:5], -1
                                        ; implicit-def: $sgpr10
	s_and_saveexec_b64 s[8:9], s[12:13]
; %bb.3902:
	s_mov_b32 s10, 0x7f800001
	s_xor_b64 s[4:5], exec, -1
; %bb.3903:
	s_or_b64 exec, exec, s[8:9]
	s_and_b64 s[4:5], s[4:5], exec
	s_or_saveexec_b64 s[6:7], s[6:7]
	v_mov_b32_e32 v12, s10
	s_xor_b64 exec, exec, s[6:7]
	s_cbranch_execz .LBB12_1854
.LBB12_3904:
	v_mov_b32_e32 v12, 0
	v_cmp_ne_u16_sdwa s[8:9], v9, v12 src0_sel:BYTE_3 src1_sel:DWORD
	s_andn2_b64 s[4:5], s[4:5], exec
	s_and_b64 s[8:9], s[8:9], exec
	s_or_b64 s[4:5], s[4:5], s[8:9]
	s_or_b64 exec, exec, s[6:7]
	s_and_saveexec_b64 s[6:7], s[4:5]
	s_cbranch_execnz .LBB12_1855
	s_branch .LBB12_1856
.LBB12_3905:
	s_movk_i32 s4, 0x80
	v_cmp_eq_u16_sdwa s[12:13], v14, s4 src0_sel:BYTE_0 src1_sel:DWORD
	s_mov_b64 s[4:5], -1
                                        ; implicit-def: $sgpr10
	s_and_saveexec_b64 s[8:9], s[12:13]
; %bb.3906:
	s_mov_b32 s10, 0x7f800001
	s_xor_b64 s[4:5], exec, -1
; %bb.3907:
	s_or_b64 exec, exec, s[8:9]
	s_and_b64 s[4:5], s[4:5], exec
	s_or_saveexec_b64 s[6:7], s[6:7]
	v_mov_b32_e32 v8, s10
	s_xor_b64 exec, exec, s[6:7]
	s_cbranch_execz .LBB12_1858
.LBB12_3908:
	v_mov_b32_e32 v8, 0
	v_cmp_ne_u16_sdwa s[8:9], v14, v8 src0_sel:BYTE_0 src1_sel:DWORD
	s_andn2_b64 s[4:5], s[4:5], exec
	s_and_b64 s[8:9], s[8:9], exec
	s_or_b64 s[4:5], s[4:5], s[8:9]
	s_or_b64 exec, exec, s[6:7]
	s_and_saveexec_b64 s[6:7], s[4:5]
	s_cbranch_execnz .LBB12_1859
	s_branch .LBB12_1860
.LBB12_3909:
	s_movk_i32 s4, 0x80
	v_cmp_eq_u16_sdwa s[12:13], v10, s4 src0_sel:BYTE_0 src1_sel:DWORD
	s_mov_b64 s[4:5], -1
                                        ; implicit-def: $sgpr10
	s_and_saveexec_b64 s[8:9], s[12:13]
; %bb.3910:
	s_mov_b32 s10, 0x7f800001
	s_xor_b64 s[4:5], exec, -1
; %bb.3911:
	s_or_b64 exec, exec, s[8:9]
	s_and_b64 s[4:5], s[4:5], exec
	s_or_saveexec_b64 s[6:7], s[6:7]
	v_mov_b32_e32 v9, s10
	s_xor_b64 exec, exec, s[6:7]
	s_cbranch_execz .LBB12_1862
.LBB12_3912:
	v_mov_b32_e32 v9, 0
	v_cmp_ne_u16_sdwa s[8:9], v10, v9 src0_sel:BYTE_0 src1_sel:DWORD
	s_andn2_b64 s[4:5], s[4:5], exec
	s_and_b64 s[8:9], s[8:9], exec
	s_or_b64 s[4:5], s[4:5], s[8:9]
	s_or_b64 exec, exec, s[6:7]
	s_and_saveexec_b64 s[6:7], s[4:5]
	s_cbranch_execnz .LBB12_1863
	s_branch .LBB12_1864
.LBB12_3913:
	s_movk_i32 s4, 0x80
	v_cmp_eq_u16_sdwa s[12:13], v9, s4 src0_sel:BYTE_0 src1_sel:DWORD
	s_mov_b64 s[4:5], -1
                                        ; implicit-def: $sgpr10
	s_and_saveexec_b64 s[8:9], s[12:13]
; %bb.3914:
	s_mov_b32 s10, 0x7f800001
	s_xor_b64 s[4:5], exec, -1
; %bb.3915:
	s_or_b64 exec, exec, s[8:9]
	s_and_b64 s[4:5], s[4:5], exec
	s_or_saveexec_b64 s[6:7], s[6:7]
	v_mov_b32_e32 v8, s10
	s_xor_b64 exec, exec, s[6:7]
	s_cbranch_execz .LBB12_1866
.LBB12_3916:
	v_mov_b32_e32 v8, 0
	v_cmp_ne_u16_sdwa s[8:9], v9, v8 src0_sel:BYTE_0 src1_sel:DWORD
	s_andn2_b64 s[4:5], s[4:5], exec
	s_and_b64 s[8:9], s[8:9], exec
	s_or_b64 s[4:5], s[4:5], s[8:9]
	s_or_b64 exec, exec, s[6:7]
	s_and_saveexec_b64 s[6:7], s[4:5]
	s_cbranch_execnz .LBB12_1867
	s_branch .LBB12_1868
.LBB12_3917:
	s_movk_i32 s4, 0x80
	v_cmp_eq_u16_sdwa s[12:13], v9, s4 src0_sel:BYTE_0 src1_sel:DWORD
	s_mov_b64 s[4:5], -1
                                        ; implicit-def: $sgpr10
	s_and_saveexec_b64 s[8:9], s[12:13]
; %bb.3918:
	s_mov_b32 s10, 0x7f800001
	s_xor_b64 s[4:5], exec, -1
; %bb.3919:
	s_or_b64 exec, exec, s[8:9]
	s_and_b64 s[4:5], s[4:5], exec
	s_or_saveexec_b64 s[6:7], s[6:7]
	v_mov_b32_e32 v12, s10
	s_xor_b64 exec, exec, s[6:7]
	s_cbranch_execz .LBB12_1870
.LBB12_3920:
	v_mov_b32_e32 v12, 0
	v_cmp_ne_u16_sdwa s[8:9], v9, v12 src0_sel:BYTE_0 src1_sel:DWORD
	s_andn2_b64 s[4:5], s[4:5], exec
	s_and_b64 s[8:9], s[8:9], exec
	s_or_b64 s[4:5], s[4:5], s[8:9]
	s_or_b64 exec, exec, s[6:7]
	s_and_saveexec_b64 s[6:7], s[4:5]
	s_cbranch_execnz .LBB12_1871
	s_branch .LBB12_1872
.LBB12_3921:
	s_movk_i32 s4, 0x80
	v_cmp_eq_u16_e32 vcc, s4, v9
	s_mov_b64 s[4:5], -1
                                        ; implicit-def: $sgpr10
	s_and_saveexec_b64 s[8:9], vcc
; %bb.3922:
	s_mov_b32 s10, 0x7f800001
	s_xor_b64 s[4:5], exec, -1
; %bb.3923:
	s_or_b64 exec, exec, s[8:9]
	s_and_b64 s[4:5], s[4:5], exec
                                        ; implicit-def: $vgpr9
	s_or_saveexec_b64 s[6:7], s[6:7]
	v_mov_b32_e32 v8, s10
	s_xor_b64 exec, exec, s[6:7]
	s_cbranch_execz .LBB12_1874
.LBB12_3924:
	v_cmp_ne_u16_e32 vcc, 0, v9
	s_andn2_b64 s[4:5], s[4:5], exec
	s_and_b64 s[8:9], vcc, exec
	v_mov_b32_e32 v8, 0
	s_or_b64 s[4:5], s[4:5], s[8:9]
	s_or_b64 exec, exec, s[6:7]
	s_and_saveexec_b64 s[6:7], s[4:5]
	s_cbranch_execnz .LBB12_1875
	s_branch .LBB12_1876
.LBB12_3925:
	s_movk_i32 s4, 0x80
	v_cmp_eq_u16_e32 vcc, s4, v9
	s_mov_b64 s[4:5], -1
                                        ; implicit-def: $sgpr10
	s_and_saveexec_b64 s[8:9], vcc
; %bb.3926:
	s_mov_b32 s10, 0x7f800001
	s_xor_b64 s[4:5], exec, -1
; %bb.3927:
	s_or_b64 exec, exec, s[8:9]
	s_and_b64 s[4:5], s[4:5], exec
                                        ; implicit-def: $vgpr9
	s_or_saveexec_b64 s[6:7], s[6:7]
	v_mov_b32_e32 v12, s10
	s_xor_b64 exec, exec, s[6:7]
	s_cbranch_execz .LBB12_1878
.LBB12_3928:
	v_cmp_ne_u16_e32 vcc, 0, v9
	s_andn2_b64 s[4:5], s[4:5], exec
	s_and_b64 s[8:9], vcc, exec
	v_mov_b32_e32 v12, 0
	s_or_b64 s[4:5], s[4:5], s[8:9]
	s_or_b64 exec, exec, s[6:7]
	s_and_saveexec_b64 s[6:7], s[4:5]
	s_cbranch_execnz .LBB12_1879
	s_branch .LBB12_1880
.LBB12_3929:
	s_movk_i32 s4, 0x80
	v_cmp_eq_u16_sdwa s[12:13], v14, s4 src0_sel:BYTE_3 src1_sel:DWORD
	s_mov_b64 s[4:5], -1
                                        ; implicit-def: $sgpr10
	s_and_saveexec_b64 s[8:9], s[12:13]
; %bb.3930:
	s_mov_b32 s10, 0x7f800001
	s_xor_b64 s[4:5], exec, -1
; %bb.3931:
	s_or_b64 exec, exec, s[8:9]
	s_and_b64 s[4:5], s[4:5], exec
	s_or_saveexec_b64 s[6:7], s[6:7]
	v_mov_b32_e32 v8, s10
	s_xor_b64 exec, exec, s[6:7]
	s_cbranch_execz .LBB12_1882
.LBB12_3932:
	v_mov_b32_e32 v8, 0
	v_cmp_ne_u16_sdwa s[8:9], v14, v8 src0_sel:BYTE_3 src1_sel:DWORD
	s_andn2_b64 s[4:5], s[4:5], exec
	s_and_b64 s[8:9], s[8:9], exec
	s_or_b64 s[4:5], s[4:5], s[8:9]
	s_or_b64 exec, exec, s[6:7]
	s_and_saveexec_b64 s[6:7], s[4:5]
	s_cbranch_execnz .LBB12_1883
	s_branch .LBB12_1884
.LBB12_3933:
	s_movk_i32 s4, 0x80
	v_cmp_eq_u16_sdwa s[12:13], v10, s4 src0_sel:BYTE_3 src1_sel:DWORD
	s_mov_b64 s[4:5], -1
                                        ; implicit-def: $sgpr10
	s_and_saveexec_b64 s[8:9], s[12:13]
; %bb.3934:
	s_mov_b32 s10, 0x7f800001
	s_xor_b64 s[4:5], exec, -1
; %bb.3935:
	s_or_b64 exec, exec, s[8:9]
	s_and_b64 s[4:5], s[4:5], exec
	s_or_saveexec_b64 s[6:7], s[6:7]
	v_mov_b32_e32 v9, s10
	s_xor_b64 exec, exec, s[6:7]
	s_cbranch_execz .LBB12_1886
.LBB12_3936:
	v_mov_b32_e32 v9, 0
	v_cmp_ne_u16_sdwa s[8:9], v10, v9 src0_sel:BYTE_3 src1_sel:DWORD
	s_andn2_b64 s[4:5], s[4:5], exec
	s_and_b64 s[8:9], s[8:9], exec
	s_or_b64 s[4:5], s[4:5], s[8:9]
	s_or_b64 exec, exec, s[6:7]
	s_and_saveexec_b64 s[6:7], s[4:5]
	s_cbranch_execnz .LBB12_1887
	s_branch .LBB12_1888
.LBB12_3937:
	s_movk_i32 s4, 0x80
	v_cmp_eq_u16_sdwa s[12:13], v15, s4 src0_sel:BYTE_0 src1_sel:DWORD
	s_mov_b64 s[4:5], -1
                                        ; implicit-def: $sgpr10
	s_and_saveexec_b64 s[8:9], s[12:13]
; %bb.3938:
	s_mov_b32 s10, 0x7f800001
	s_xor_b64 s[4:5], exec, -1
; %bb.3939:
	s_or_b64 exec, exec, s[8:9]
	s_and_b64 s[4:5], s[4:5], exec
	s_or_saveexec_b64 s[6:7], s[6:7]
	v_mov_b32_e32 v8, s10
	s_xor_b64 exec, exec, s[6:7]
	s_cbranch_execz .LBB12_1890
.LBB12_3940:
	v_mov_b32_e32 v8, 0
	v_cmp_ne_u16_sdwa s[8:9], v15, v8 src0_sel:BYTE_0 src1_sel:DWORD
	s_andn2_b64 s[4:5], s[4:5], exec
	s_and_b64 s[8:9], s[8:9], exec
	s_or_b64 s[4:5], s[4:5], s[8:9]
	s_or_b64 exec, exec, s[6:7]
	s_and_saveexec_b64 s[6:7], s[4:5]
	s_cbranch_execnz .LBB12_1891
	s_branch .LBB12_1892
.LBB12_3941:
	s_movk_i32 s4, 0x80
	v_cmp_eq_u16_sdwa s[12:13], v11, s4 src0_sel:BYTE_0 src1_sel:DWORD
	s_mov_b64 s[4:5], -1
                                        ; implicit-def: $sgpr10
	s_and_saveexec_b64 s[8:9], s[12:13]
; %bb.3942:
	s_mov_b32 s10, 0x7f800001
	s_xor_b64 s[4:5], exec, -1
; %bb.3943:
	s_or_b64 exec, exec, s[8:9]
	s_and_b64 s[4:5], s[4:5], exec
	s_or_saveexec_b64 s[6:7], s[6:7]
	v_mov_b32_e32 v9, s10
	s_xor_b64 exec, exec, s[6:7]
	s_cbranch_execz .LBB12_1894
.LBB12_3944:
	v_mov_b32_e32 v9, 0
	v_cmp_ne_u16_sdwa s[8:9], v11, v9 src0_sel:BYTE_0 src1_sel:DWORD
	s_andn2_b64 s[4:5], s[4:5], exec
	s_and_b64 s[8:9], s[8:9], exec
	s_or_b64 s[4:5], s[4:5], s[8:9]
	s_or_b64 exec, exec, s[6:7]
	s_and_saveexec_b64 s[6:7], s[4:5]
	s_cbranch_execnz .LBB12_1895
	s_branch .LBB12_1896
.LBB12_3945:
	s_movk_i32 s4, 0x80
	v_cmp_eq_u16_sdwa s[12:13], v9, s4 src0_sel:BYTE_0 src1_sel:DWORD
	s_mov_b64 s[4:5], -1
                                        ; implicit-def: $sgpr10
	s_and_saveexec_b64 s[8:9], s[12:13]
; %bb.3946:
	s_mov_b32 s10, 0x7f800001
	s_xor_b64 s[4:5], exec, -1
; %bb.3947:
	s_or_b64 exec, exec, s[8:9]
	s_and_b64 s[4:5], s[4:5], exec
	s_or_saveexec_b64 s[6:7], s[6:7]
	v_mov_b32_e32 v8, s10
	s_xor_b64 exec, exec, s[6:7]
	s_cbranch_execz .LBB12_1898
.LBB12_3948:
	v_mov_b32_e32 v8, 0
	v_cmp_ne_u16_sdwa s[8:9], v9, v8 src0_sel:BYTE_0 src1_sel:DWORD
	s_andn2_b64 s[4:5], s[4:5], exec
	s_and_b64 s[8:9], s[8:9], exec
	s_or_b64 s[4:5], s[4:5], s[8:9]
	s_or_b64 exec, exec, s[6:7]
	s_and_saveexec_b64 s[6:7], s[4:5]
	s_cbranch_execnz .LBB12_1899
	s_branch .LBB12_1900
.LBB12_3949:
	s_movk_i32 s4, 0x80
	v_cmp_eq_u16_sdwa s[12:13], v9, s4 src0_sel:BYTE_0 src1_sel:DWORD
	s_mov_b64 s[4:5], -1
                                        ; implicit-def: $sgpr10
	s_and_saveexec_b64 s[8:9], s[12:13]
; %bb.3950:
	s_mov_b32 s10, 0x7f800001
	s_xor_b64 s[4:5], exec, -1
; %bb.3951:
	s_or_b64 exec, exec, s[8:9]
	s_and_b64 s[4:5], s[4:5], exec
	s_or_saveexec_b64 s[6:7], s[6:7]
	v_mov_b32_e32 v10, s10
	s_xor_b64 exec, exec, s[6:7]
	s_cbranch_execz .LBB12_1902
.LBB12_3952:
	v_mov_b32_e32 v10, 0
	v_cmp_ne_u16_sdwa s[8:9], v9, v10 src0_sel:BYTE_0 src1_sel:DWORD
	s_andn2_b64 s[4:5], s[4:5], exec
	s_and_b64 s[8:9], s[8:9], exec
	s_or_b64 s[4:5], s[4:5], s[8:9]
	s_or_b64 exec, exec, s[6:7]
	s_and_saveexec_b64 s[6:7], s[4:5]
	s_cbranch_execnz .LBB12_1903
	s_branch .LBB12_1904
.LBB12_3953:
	s_movk_i32 s4, 0x80
	v_cmp_eq_u16_e32 vcc, s4, v9
	s_mov_b64 s[4:5], -1
                                        ; implicit-def: $sgpr10
	s_and_saveexec_b64 s[8:9], vcc
; %bb.3954:
	s_mov_b32 s10, 0x7f800001
	s_xor_b64 s[4:5], exec, -1
; %bb.3955:
	s_or_b64 exec, exec, s[8:9]
	s_and_b64 s[4:5], s[4:5], exec
                                        ; implicit-def: $vgpr9
	s_or_saveexec_b64 s[6:7], s[6:7]
	v_mov_b32_e32 v8, s10
	s_xor_b64 exec, exec, s[6:7]
	s_cbranch_execz .LBB12_1906
.LBB12_3956:
	v_cmp_ne_u16_e32 vcc, 0, v9
	s_andn2_b64 s[4:5], s[4:5], exec
	s_and_b64 s[8:9], vcc, exec
	v_mov_b32_e32 v8, 0
	s_or_b64 s[4:5], s[4:5], s[8:9]
	s_or_b64 exec, exec, s[6:7]
	s_and_saveexec_b64 s[6:7], s[4:5]
	s_cbranch_execnz .LBB12_1907
	s_branch .LBB12_1908
.LBB12_3957:
	s_movk_i32 s4, 0x80
	v_cmp_eq_u16_e32 vcc, s4, v9
	s_mov_b64 s[4:5], -1
                                        ; implicit-def: $sgpr10
	s_and_saveexec_b64 s[8:9], vcc
; %bb.3958:
	s_mov_b32 s10, 0x7f800001
	s_xor_b64 s[4:5], exec, -1
; %bb.3959:
	s_or_b64 exec, exec, s[8:9]
	s_and_b64 s[4:5], s[4:5], exec
                                        ; implicit-def: $vgpr9
	s_or_saveexec_b64 s[6:7], s[6:7]
	v_mov_b32_e32 v10, s10
	s_xor_b64 exec, exec, s[6:7]
	s_cbranch_execz .LBB12_1910
.LBB12_3960:
	v_cmp_ne_u16_e32 vcc, 0, v9
	s_andn2_b64 s[4:5], s[4:5], exec
	s_and_b64 s[8:9], vcc, exec
	v_mov_b32_e32 v10, 0
	s_or_b64 s[4:5], s[4:5], s[8:9]
	s_or_b64 exec, exec, s[6:7]
	s_and_saveexec_b64 s[6:7], s[4:5]
	s_cbranch_execnz .LBB12_1911
	s_branch .LBB12_1912
.LBB12_3961:
	s_movk_i32 s4, 0x80
	v_cmp_eq_u16_sdwa s[12:13], v15, s4 src0_sel:BYTE_3 src1_sel:DWORD
	s_mov_b64 s[4:5], -1
                                        ; implicit-def: $sgpr10
	s_and_saveexec_b64 s[8:9], s[12:13]
; %bb.3962:
	s_mov_b32 s10, 0x7f800001
	s_xor_b64 s[4:5], exec, -1
; %bb.3963:
	s_or_b64 exec, exec, s[8:9]
	s_and_b64 s[4:5], s[4:5], exec
	s_or_saveexec_b64 s[6:7], s[6:7]
	v_mov_b32_e32 v8, s10
	s_xor_b64 exec, exec, s[6:7]
	s_cbranch_execz .LBB12_1914
.LBB12_3964:
	v_mov_b32_e32 v8, 0
	v_cmp_ne_u16_sdwa s[8:9], v15, v8 src0_sel:BYTE_3 src1_sel:DWORD
	s_andn2_b64 s[4:5], s[4:5], exec
	s_and_b64 s[8:9], s[8:9], exec
	s_or_b64 s[4:5], s[4:5], s[8:9]
	s_or_b64 exec, exec, s[6:7]
	s_and_saveexec_b64 s[6:7], s[4:5]
	s_cbranch_execnz .LBB12_1915
	s_branch .LBB12_1916
.LBB12_3965:
	s_movk_i32 s4, 0x80
	v_cmp_eq_u16_sdwa s[12:13], v11, s4 src0_sel:BYTE_3 src1_sel:DWORD
	s_mov_b64 s[4:5], -1
                                        ; implicit-def: $sgpr10
	s_and_saveexec_b64 s[8:9], s[12:13]
; %bb.3966:
	s_mov_b32 s10, 0x7f800001
	s_xor_b64 s[4:5], exec, -1
; %bb.3967:
	s_or_b64 exec, exec, s[8:9]
	s_and_b64 s[4:5], s[4:5], exec
	s_or_saveexec_b64 s[6:7], s[6:7]
	v_mov_b32_e32 v9, s10
	s_xor_b64 exec, exec, s[6:7]
	s_cbranch_execz .LBB12_1918
.LBB12_3968:
	v_mov_b32_e32 v9, 0
	v_cmp_ne_u16_sdwa s[8:9], v11, v9 src0_sel:BYTE_3 src1_sel:DWORD
	s_andn2_b64 s[4:5], s[4:5], exec
	s_and_b64 s[8:9], s[8:9], exec
	s_or_b64 s[4:5], s[4:5], s[8:9]
	s_or_b64 exec, exec, s[6:7]
	s_and_saveexec_b64 s[6:7], s[4:5]
	s_cbranch_execnz .LBB12_1919
	s_branch .LBB12_1920
.LBB12_3969:
	s_movk_i32 s4, 0x80
	v_cmp_eq_u16_sdwa s[12:13], v4, s4 src0_sel:BYTE_0 src1_sel:DWORD
	s_mov_b64 s[4:5], -1
                                        ; implicit-def: $sgpr10
	s_and_saveexec_b64 s[8:9], s[12:13]
; %bb.3970:
	s_mov_b32 s10, 0x7f800001
	s_xor_b64 s[4:5], exec, -1
; %bb.3971:
	s_or_b64 exec, exec, s[8:9]
	s_and_b64 s[4:5], s[4:5], exec
	s_or_saveexec_b64 s[6:7], s[6:7]
	v_mov_b32_e32 v8, s10
	s_xor_b64 exec, exec, s[6:7]
	s_cbranch_execz .LBB12_1922
.LBB12_3972:
	v_mov_b32_e32 v8, 0
	v_cmp_ne_u16_sdwa s[8:9], v4, v8 src0_sel:BYTE_0 src1_sel:DWORD
	s_andn2_b64 s[4:5], s[4:5], exec
	s_and_b64 s[8:9], s[8:9], exec
	s_or_b64 s[4:5], s[4:5], s[8:9]
	s_or_b64 exec, exec, s[6:7]
	s_and_saveexec_b64 s[6:7], s[4:5]
	s_cbranch_execnz .LBB12_1923
	s_branch .LBB12_1924
.LBB12_3973:
	s_movk_i32 s4, 0x80
	v_cmp_eq_u16_sdwa s[12:13], v0, s4 src0_sel:BYTE_0 src1_sel:DWORD
	s_mov_b64 s[4:5], -1
                                        ; implicit-def: $sgpr10
	s_and_saveexec_b64 s[8:9], s[12:13]
; %bb.3974:
	s_mov_b32 s10, 0x7f800001
	s_xor_b64 s[4:5], exec, -1
; %bb.3975:
	s_or_b64 exec, exec, s[8:9]
	s_and_b64 s[4:5], s[4:5], exec
	s_or_saveexec_b64 s[6:7], s[6:7]
	v_mov_b32_e32 v9, s10
	s_xor_b64 exec, exec, s[6:7]
	s_cbranch_execz .LBB12_1926
.LBB12_3976:
	v_mov_b32_e32 v9, 0
	v_cmp_ne_u16_sdwa s[8:9], v0, v9 src0_sel:BYTE_0 src1_sel:DWORD
	s_andn2_b64 s[4:5], s[4:5], exec
	s_and_b64 s[8:9], s[8:9], exec
	s_or_b64 s[4:5], s[4:5], s[8:9]
	s_or_b64 exec, exec, s[6:7]
	s_and_saveexec_b64 s[6:7], s[4:5]
	s_cbranch_execnz .LBB12_1927
	s_branch .LBB12_1928
.LBB12_3977:
	s_movk_i32 s4, 0x80
	v_cmp_eq_u16_sdwa s[12:13], v9, s4 src0_sel:BYTE_0 src1_sel:DWORD
	s_mov_b64 s[4:5], -1
                                        ; implicit-def: $sgpr10
	s_and_saveexec_b64 s[8:9], s[12:13]
; %bb.3978:
	s_mov_b32 s10, 0x7f800001
	s_xor_b64 s[4:5], exec, -1
; %bb.3979:
	s_or_b64 exec, exec, s[8:9]
	s_and_b64 s[4:5], s[4:5], exec
	s_or_saveexec_b64 s[6:7], s[6:7]
	v_mov_b32_e32 v8, s10
	s_xor_b64 exec, exec, s[6:7]
	s_cbranch_execz .LBB12_1930
.LBB12_3980:
	v_mov_b32_e32 v8, 0
	v_cmp_ne_u16_sdwa s[8:9], v9, v8 src0_sel:BYTE_0 src1_sel:DWORD
	s_andn2_b64 s[4:5], s[4:5], exec
	s_and_b64 s[8:9], s[8:9], exec
	s_or_b64 s[4:5], s[4:5], s[8:9]
	s_or_b64 exec, exec, s[6:7]
	s_and_saveexec_b64 s[6:7], s[4:5]
	s_cbranch_execnz .LBB12_1931
	s_branch .LBB12_1932
.LBB12_3981:
	s_movk_i32 s4, 0x80
	v_cmp_eq_u16_sdwa s[12:13], v9, s4 src0_sel:BYTE_0 src1_sel:DWORD
	s_mov_b64 s[4:5], -1
                                        ; implicit-def: $sgpr10
	s_and_saveexec_b64 s[8:9], s[12:13]
; %bb.3982:
	s_mov_b32 s10, 0x7f800001
	s_xor_b64 s[4:5], exec, -1
; %bb.3983:
	s_or_b64 exec, exec, s[8:9]
	s_and_b64 s[4:5], s[4:5], exec
	s_or_saveexec_b64 s[6:7], s[6:7]
	v_mov_b32_e32 v10, s10
	s_xor_b64 exec, exec, s[6:7]
	s_cbranch_execz .LBB12_1934
.LBB12_3984:
	v_mov_b32_e32 v10, 0
	v_cmp_ne_u16_sdwa s[8:9], v9, v10 src0_sel:BYTE_0 src1_sel:DWORD
	s_andn2_b64 s[4:5], s[4:5], exec
	s_and_b64 s[8:9], s[8:9], exec
	s_or_b64 s[4:5], s[4:5], s[8:9]
	s_or_b64 exec, exec, s[6:7]
	s_and_saveexec_b64 s[6:7], s[4:5]
	s_cbranch_execnz .LBB12_1935
	s_branch .LBB12_1936
.LBB12_3985:
	s_movk_i32 s4, 0x80
	v_cmp_eq_u16_e32 vcc, s4, v9
	s_mov_b64 s[4:5], -1
                                        ; implicit-def: $sgpr10
	s_and_saveexec_b64 s[8:9], vcc
; %bb.3986:
	s_mov_b32 s10, 0x7f800001
	s_xor_b64 s[4:5], exec, -1
; %bb.3987:
	s_or_b64 exec, exec, s[8:9]
	s_and_b64 s[4:5], s[4:5], exec
                                        ; implicit-def: $vgpr9
	s_or_saveexec_b64 s[6:7], s[6:7]
	v_mov_b32_e32 v8, s10
	s_xor_b64 exec, exec, s[6:7]
	s_cbranch_execz .LBB12_1938
.LBB12_3988:
	v_cmp_ne_u16_e32 vcc, 0, v9
	s_andn2_b64 s[4:5], s[4:5], exec
	s_and_b64 s[8:9], vcc, exec
	v_mov_b32_e32 v8, 0
	s_or_b64 s[4:5], s[4:5], s[8:9]
	s_or_b64 exec, exec, s[6:7]
	s_and_saveexec_b64 s[6:7], s[4:5]
	s_cbranch_execnz .LBB12_1939
	s_branch .LBB12_1940
.LBB12_3989:
	s_movk_i32 s4, 0x80
	v_cmp_eq_u16_e32 vcc, s4, v9
	s_mov_b64 s[4:5], -1
                                        ; implicit-def: $sgpr10
	s_and_saveexec_b64 s[8:9], vcc
; %bb.3990:
	s_mov_b32 s10, 0x7f800001
	s_xor_b64 s[4:5], exec, -1
; %bb.3991:
	s_or_b64 exec, exec, s[8:9]
	s_and_b64 s[4:5], s[4:5], exec
                                        ; implicit-def: $vgpr9
	s_or_saveexec_b64 s[6:7], s[6:7]
	v_mov_b32_e32 v10, s10
	s_xor_b64 exec, exec, s[6:7]
	s_cbranch_execz .LBB12_1942
.LBB12_3992:
	v_cmp_ne_u16_e32 vcc, 0, v9
	s_andn2_b64 s[4:5], s[4:5], exec
	s_and_b64 s[8:9], vcc, exec
	v_mov_b32_e32 v10, 0
	s_or_b64 s[4:5], s[4:5], s[8:9]
	s_or_b64 exec, exec, s[6:7]
	s_and_saveexec_b64 s[6:7], s[4:5]
	s_cbranch_execnz .LBB12_1943
	s_branch .LBB12_1944
.LBB12_3993:
	s_movk_i32 s4, 0x80
	v_cmp_eq_u16_sdwa s[12:13], v4, s4 src0_sel:BYTE_3 src1_sel:DWORD
	s_mov_b64 s[4:5], -1
                                        ; implicit-def: $sgpr10
	s_and_saveexec_b64 s[8:9], s[12:13]
; %bb.3994:
	s_mov_b32 s10, 0x7f800001
	s_xor_b64 s[4:5], exec, -1
; %bb.3995:
	s_or_b64 exec, exec, s[8:9]
	s_and_b64 s[4:5], s[4:5], exec
	s_or_saveexec_b64 s[6:7], s[6:7]
	v_mov_b32_e32 v8, s10
	s_xor_b64 exec, exec, s[6:7]
	s_cbranch_execz .LBB12_1946
.LBB12_3996:
	v_mov_b32_e32 v8, 0
	v_cmp_ne_u16_sdwa s[8:9], v4, v8 src0_sel:BYTE_3 src1_sel:DWORD
	s_andn2_b64 s[4:5], s[4:5], exec
	s_and_b64 s[8:9], s[8:9], exec
	s_or_b64 s[4:5], s[4:5], s[8:9]
	s_or_b64 exec, exec, s[6:7]
	s_and_saveexec_b64 s[6:7], s[4:5]
	s_cbranch_execnz .LBB12_1947
	s_branch .LBB12_1948
.LBB12_3997:
	s_movk_i32 s4, 0x80
	v_cmp_eq_u16_sdwa s[12:13], v0, s4 src0_sel:BYTE_3 src1_sel:DWORD
	s_mov_b64 s[4:5], -1
                                        ; implicit-def: $sgpr10
	s_and_saveexec_b64 s[8:9], s[12:13]
; %bb.3998:
	s_mov_b32 s10, 0x7f800001
	s_xor_b64 s[4:5], exec, -1
; %bb.3999:
	s_or_b64 exec, exec, s[8:9]
	s_and_b64 s[4:5], s[4:5], exec
	s_or_saveexec_b64 s[6:7], s[6:7]
	v_mov_b32_e32 v4, s10
	s_xor_b64 exec, exec, s[6:7]
	s_cbranch_execz .LBB12_1950
.LBB12_4000:
	v_mov_b32_e32 v4, 0
	v_cmp_ne_u16_sdwa s[8:9], v0, v4 src0_sel:BYTE_3 src1_sel:DWORD
	s_andn2_b64 s[4:5], s[4:5], exec
	s_and_b64 s[8:9], s[8:9], exec
	s_or_b64 s[4:5], s[4:5], s[8:9]
	s_or_b64 exec, exec, s[6:7]
	s_and_saveexec_b64 s[6:7], s[4:5]
	s_cbranch_execnz .LBB12_1951
	s_branch .LBB12_1952
.LBB12_4001:
	s_movk_i32 s4, 0x80
	v_cmp_eq_u16_sdwa s[12:13], v5, s4 src0_sel:BYTE_0 src1_sel:DWORD
	s_mov_b64 s[4:5], -1
                                        ; implicit-def: $sgpr10
	s_and_saveexec_b64 s[8:9], s[12:13]
; %bb.4002:
	s_mov_b32 s10, 0x7f800001
	s_xor_b64 s[4:5], exec, -1
; %bb.4003:
	s_or_b64 exec, exec, s[8:9]
	s_and_b64 s[4:5], s[4:5], exec
	s_or_saveexec_b64 s[6:7], s[6:7]
	v_mov_b32_e32 v0, s10
	s_xor_b64 exec, exec, s[6:7]
	s_cbranch_execz .LBB12_1954
.LBB12_4004:
	v_mov_b32_e32 v0, 0
	v_cmp_ne_u16_sdwa s[8:9], v5, v0 src0_sel:BYTE_0 src1_sel:DWORD
	s_andn2_b64 s[4:5], s[4:5], exec
	s_and_b64 s[8:9], s[8:9], exec
	s_or_b64 s[4:5], s[4:5], s[8:9]
	s_or_b64 exec, exec, s[6:7]
	s_and_saveexec_b64 s[6:7], s[4:5]
	s_cbranch_execnz .LBB12_1955
	s_branch .LBB12_1956
.LBB12_4005:
	s_movk_i32 s4, 0x80
	v_cmp_eq_u16_sdwa s[12:13], v1, s4 src0_sel:BYTE_0 src1_sel:DWORD
	s_mov_b64 s[4:5], -1
                                        ; implicit-def: $sgpr10
	s_and_saveexec_b64 s[8:9], s[12:13]
; %bb.4006:
	s_mov_b32 s10, 0x7f800001
	s_xor_b64 s[4:5], exec, -1
; %bb.4007:
	s_or_b64 exec, exec, s[8:9]
	s_and_b64 s[4:5], s[4:5], exec
	s_or_saveexec_b64 s[6:7], s[6:7]
	v_mov_b32_e32 v4, s10
	s_xor_b64 exec, exec, s[6:7]
	s_cbranch_execz .LBB12_1958
.LBB12_4008:
	v_mov_b32_e32 v4, 0
	v_cmp_ne_u16_sdwa s[8:9], v1, v4 src0_sel:BYTE_0 src1_sel:DWORD
	s_andn2_b64 s[4:5], s[4:5], exec
	s_and_b64 s[8:9], s[8:9], exec
	s_or_b64 s[4:5], s[4:5], s[8:9]
	s_or_b64 exec, exec, s[6:7]
	s_and_saveexec_b64 s[6:7], s[4:5]
	s_cbranch_execnz .LBB12_1959
	s_branch .LBB12_1960
.LBB12_4009:
	s_movk_i32 s4, 0x80
	v_cmp_eq_u16_sdwa s[12:13], v4, s4 src0_sel:BYTE_0 src1_sel:DWORD
	s_mov_b64 s[4:5], -1
                                        ; implicit-def: $sgpr10
	s_and_saveexec_b64 s[8:9], s[12:13]
; %bb.4010:
	s_mov_b32 s10, 0x7f800001
	s_xor_b64 s[4:5], exec, -1
; %bb.4011:
	s_or_b64 exec, exec, s[8:9]
	s_and_b64 s[4:5], s[4:5], exec
	s_or_saveexec_b64 s[6:7], s[6:7]
	v_mov_b32_e32 v0, s10
	s_xor_b64 exec, exec, s[6:7]
	s_cbranch_execz .LBB12_1962
.LBB12_4012:
	v_mov_b32_e32 v0, 0
	v_cmp_ne_u16_sdwa s[8:9], v4, v0 src0_sel:BYTE_0 src1_sel:DWORD
	s_andn2_b64 s[4:5], s[4:5], exec
	s_and_b64 s[8:9], s[8:9], exec
	s_or_b64 s[4:5], s[4:5], s[8:9]
	s_or_b64 exec, exec, s[6:7]
	s_and_saveexec_b64 s[6:7], s[4:5]
	s_cbranch_execnz .LBB12_1963
	s_branch .LBB12_1964
.LBB12_4013:
	s_movk_i32 s4, 0x80
	v_cmp_eq_u16_sdwa s[12:13], v4, s4 src0_sel:BYTE_0 src1_sel:DWORD
	s_mov_b64 s[4:5], -1
                                        ; implicit-def: $sgpr10
	s_and_saveexec_b64 s[8:9], s[12:13]
; %bb.4014:
	s_mov_b32 s10, 0x7f800001
	s_xor_b64 s[4:5], exec, -1
; %bb.4015:
	s_or_b64 exec, exec, s[8:9]
	s_and_b64 s[4:5], s[4:5], exec
	s_or_saveexec_b64 s[6:7], s[6:7]
	v_mov_b32_e32 v8, s10
	s_xor_b64 exec, exec, s[6:7]
	s_cbranch_execz .LBB12_1966
.LBB12_4016:
	v_mov_b32_e32 v8, 0
	v_cmp_ne_u16_sdwa s[8:9], v4, v8 src0_sel:BYTE_0 src1_sel:DWORD
	s_andn2_b64 s[4:5], s[4:5], exec
	s_and_b64 s[8:9], s[8:9], exec
	s_or_b64 s[4:5], s[4:5], s[8:9]
	s_or_b64 exec, exec, s[6:7]
	s_and_saveexec_b64 s[6:7], s[4:5]
	s_cbranch_execnz .LBB12_1967
	s_branch .LBB12_1968
.LBB12_4017:
	s_movk_i32 s4, 0x80
	v_cmp_eq_u16_e32 vcc, s4, v4
	s_mov_b64 s[4:5], -1
                                        ; implicit-def: $sgpr10
	s_and_saveexec_b64 s[8:9], vcc
; %bb.4018:
	s_mov_b32 s10, 0x7f800001
	s_xor_b64 s[4:5], exec, -1
; %bb.4019:
	s_or_b64 exec, exec, s[8:9]
	s_and_b64 s[4:5], s[4:5], exec
                                        ; implicit-def: $vgpr4
	s_or_saveexec_b64 s[6:7], s[6:7]
	v_mov_b32_e32 v0, s10
	s_xor_b64 exec, exec, s[6:7]
	s_cbranch_execz .LBB12_1970
.LBB12_4020:
	v_cmp_ne_u16_e32 vcc, 0, v4
	s_andn2_b64 s[4:5], s[4:5], exec
	s_and_b64 s[8:9], vcc, exec
	v_mov_b32_e32 v0, 0
	s_or_b64 s[4:5], s[4:5], s[8:9]
	s_or_b64 exec, exec, s[6:7]
	s_and_saveexec_b64 s[6:7], s[4:5]
	s_cbranch_execnz .LBB12_1971
	s_branch .LBB12_1972
.LBB12_4021:
	s_movk_i32 s4, 0x80
	v_cmp_eq_u16_e32 vcc, s4, v4
	s_mov_b64 s[4:5], -1
                                        ; implicit-def: $sgpr10
	s_and_saveexec_b64 s[8:9], vcc
; %bb.4022:
	s_mov_b32 s10, 0x7f800001
	s_xor_b64 s[4:5], exec, -1
; %bb.4023:
	s_or_b64 exec, exec, s[8:9]
	s_and_b64 s[4:5], s[4:5], exec
                                        ; implicit-def: $vgpr4
	s_or_saveexec_b64 s[6:7], s[6:7]
	v_mov_b32_e32 v8, s10
	s_xor_b64 exec, exec, s[6:7]
	s_cbranch_execz .LBB12_1974
.LBB12_4024:
	v_cmp_ne_u16_e32 vcc, 0, v4
	s_andn2_b64 s[4:5], s[4:5], exec
	s_and_b64 s[8:9], vcc, exec
	v_mov_b32_e32 v8, 0
	s_or_b64 s[4:5], s[4:5], s[8:9]
	s_or_b64 exec, exec, s[6:7]
	s_and_saveexec_b64 s[6:7], s[4:5]
	s_cbranch_execnz .LBB12_1975
	s_branch .LBB12_1976
.LBB12_4025:
	s_movk_i32 s4, 0x80
	v_cmp_eq_u16_sdwa s[12:13], v5, s4 src0_sel:BYTE_3 src1_sel:DWORD
	s_mov_b64 s[4:5], -1
                                        ; implicit-def: $sgpr10
	s_and_saveexec_b64 s[8:9], s[12:13]
; %bb.4026:
	s_mov_b32 s10, 0x7f800001
	s_xor_b64 s[4:5], exec, -1
; %bb.4027:
	s_or_b64 exec, exec, s[8:9]
	s_and_b64 s[4:5], s[4:5], exec
	s_or_saveexec_b64 s[6:7], s[6:7]
	v_mov_b32_e32 v0, s10
	s_xor_b64 exec, exec, s[6:7]
	s_cbranch_execz .LBB12_1978
.LBB12_4028:
	v_mov_b32_e32 v0, 0
	v_cmp_ne_u16_sdwa s[8:9], v5, v0 src0_sel:BYTE_3 src1_sel:DWORD
	s_andn2_b64 s[4:5], s[4:5], exec
	s_and_b64 s[8:9], s[8:9], exec
	s_or_b64 s[4:5], s[4:5], s[8:9]
	s_or_b64 exec, exec, s[6:7]
	s_and_saveexec_b64 s[6:7], s[4:5]
	s_cbranch_execnz .LBB12_1979
	s_branch .LBB12_1980
.LBB12_4029:
	s_movk_i32 s4, 0x80
	v_cmp_eq_u16_sdwa s[12:13], v1, s4 src0_sel:BYTE_3 src1_sel:DWORD
	s_mov_b64 s[4:5], -1
                                        ; implicit-def: $sgpr10
	s_and_saveexec_b64 s[8:9], s[12:13]
; %bb.4030:
	s_mov_b32 s10, 0x7f800001
	s_xor_b64 s[4:5], exec, -1
; %bb.4031:
	s_or_b64 exec, exec, s[8:9]
	s_and_b64 s[4:5], s[4:5], exec
	s_or_saveexec_b64 s[6:7], s[6:7]
	v_mov_b32_e32 v4, s10
	s_xor_b64 exec, exec, s[6:7]
	s_cbranch_execz .LBB12_1982
.LBB12_4032:
	v_mov_b32_e32 v4, 0
	v_cmp_ne_u16_sdwa s[8:9], v1, v4 src0_sel:BYTE_3 src1_sel:DWORD
	s_andn2_b64 s[4:5], s[4:5], exec
	s_and_b64 s[8:9], s[8:9], exec
	s_or_b64 s[4:5], s[4:5], s[8:9]
	s_or_b64 exec, exec, s[6:7]
	s_and_saveexec_b64 s[6:7], s[4:5]
	s_cbranch_execnz .LBB12_1983
	s_branch .LBB12_1984
.LBB12_4033:
	s_movk_i32 s4, 0x80
	v_cmp_eq_u16_sdwa s[12:13], v6, s4 src0_sel:BYTE_0 src1_sel:DWORD
	s_mov_b64 s[4:5], -1
                                        ; implicit-def: $sgpr10
	s_and_saveexec_b64 s[8:9], s[12:13]
; %bb.4034:
	s_mov_b32 s10, 0x7f800001
	s_xor_b64 s[4:5], exec, -1
; %bb.4035:
	s_or_b64 exec, exec, s[8:9]
	s_and_b64 s[4:5], s[4:5], exec
	s_or_saveexec_b64 s[6:7], s[6:7]
	v_mov_b32_e32 v0, s10
	s_xor_b64 exec, exec, s[6:7]
	s_cbranch_execz .LBB12_1986
.LBB12_4036:
	v_mov_b32_e32 v0, 0
	v_cmp_ne_u16_sdwa s[8:9], v6, v0 src0_sel:BYTE_0 src1_sel:DWORD
	s_andn2_b64 s[4:5], s[4:5], exec
	s_and_b64 s[8:9], s[8:9], exec
	s_or_b64 s[4:5], s[4:5], s[8:9]
	s_or_b64 exec, exec, s[6:7]
	s_and_saveexec_b64 s[6:7], s[4:5]
	s_cbranch_execnz .LBB12_1987
	s_branch .LBB12_1988
.LBB12_4037:
	s_movk_i32 s4, 0x80
	v_cmp_eq_u16_sdwa s[12:13], v2, s4 src0_sel:BYTE_0 src1_sel:DWORD
	s_mov_b64 s[4:5], -1
                                        ; implicit-def: $sgpr10
	s_and_saveexec_b64 s[8:9], s[12:13]
; %bb.4038:
	s_mov_b32 s10, 0x7f800001
	s_xor_b64 s[4:5], exec, -1
; %bb.4039:
	s_or_b64 exec, exec, s[8:9]
	s_and_b64 s[4:5], s[4:5], exec
	s_or_saveexec_b64 s[6:7], s[6:7]
	v_mov_b32_e32 v1, s10
	s_xor_b64 exec, exec, s[6:7]
	s_cbranch_execz .LBB12_1990
.LBB12_4040:
	v_mov_b32_e32 v1, 0
	v_cmp_ne_u16_sdwa s[8:9], v2, v1 src0_sel:BYTE_0 src1_sel:DWORD
	s_andn2_b64 s[4:5], s[4:5], exec
	s_and_b64 s[8:9], s[8:9], exec
	s_or_b64 s[4:5], s[4:5], s[8:9]
	s_or_b64 exec, exec, s[6:7]
	s_and_saveexec_b64 s[6:7], s[4:5]
	s_cbranch_execnz .LBB12_1991
	s_branch .LBB12_1992
.LBB12_4041:
	s_movk_i32 s4, 0x80
	v_cmp_eq_u16_sdwa s[12:13], v1, s4 src0_sel:BYTE_0 src1_sel:DWORD
	s_mov_b64 s[4:5], -1
                                        ; implicit-def: $sgpr10
	s_and_saveexec_b64 s[8:9], s[12:13]
; %bb.4042:
	s_mov_b32 s10, 0x7f800001
	s_xor_b64 s[4:5], exec, -1
; %bb.4043:
	s_or_b64 exec, exec, s[8:9]
	s_and_b64 s[4:5], s[4:5], exec
	s_or_saveexec_b64 s[6:7], s[6:7]
	v_mov_b32_e32 v0, s10
	s_xor_b64 exec, exec, s[6:7]
	s_cbranch_execz .LBB12_1994
.LBB12_4044:
	v_mov_b32_e32 v0, 0
	v_cmp_ne_u16_sdwa s[8:9], v1, v0 src0_sel:BYTE_0 src1_sel:DWORD
	s_andn2_b64 s[4:5], s[4:5], exec
	s_and_b64 s[8:9], s[8:9], exec
	s_or_b64 s[4:5], s[4:5], s[8:9]
	s_or_b64 exec, exec, s[6:7]
	s_and_saveexec_b64 s[6:7], s[4:5]
	s_cbranch_execnz .LBB12_1995
	s_branch .LBB12_1996
.LBB12_4045:
	s_movk_i32 s4, 0x80
	v_cmp_eq_u16_sdwa s[12:13], v1, s4 src0_sel:BYTE_0 src1_sel:DWORD
	s_mov_b64 s[4:5], -1
                                        ; implicit-def: $sgpr10
	s_and_saveexec_b64 s[8:9], s[12:13]
; %bb.4046:
	s_mov_b32 s10, 0x7f800001
	s_xor_b64 s[4:5], exec, -1
; %bb.4047:
	s_or_b64 exec, exec, s[8:9]
	s_and_b64 s[4:5], s[4:5], exec
	s_or_saveexec_b64 s[6:7], s[6:7]
	v_mov_b32_e32 v4, s10
	s_xor_b64 exec, exec, s[6:7]
	s_cbranch_execz .LBB12_1998
.LBB12_4048:
	v_mov_b32_e32 v4, 0
	v_cmp_ne_u16_sdwa s[8:9], v1, v4 src0_sel:BYTE_0 src1_sel:DWORD
	s_andn2_b64 s[4:5], s[4:5], exec
	s_and_b64 s[8:9], s[8:9], exec
	s_or_b64 s[4:5], s[4:5], s[8:9]
	s_or_b64 exec, exec, s[6:7]
	s_and_saveexec_b64 s[6:7], s[4:5]
	s_cbranch_execnz .LBB12_1999
	s_branch .LBB12_2000
.LBB12_4049:
	s_movk_i32 s4, 0x80
	v_cmp_eq_u16_e32 vcc, s4, v1
	s_mov_b64 s[4:5], -1
                                        ; implicit-def: $sgpr10
	s_and_saveexec_b64 s[8:9], vcc
; %bb.4050:
	s_mov_b32 s10, 0x7f800001
	s_xor_b64 s[4:5], exec, -1
; %bb.4051:
	s_or_b64 exec, exec, s[8:9]
	s_and_b64 s[4:5], s[4:5], exec
                                        ; implicit-def: $vgpr1
	s_or_saveexec_b64 s[6:7], s[6:7]
	v_mov_b32_e32 v0, s10
	s_xor_b64 exec, exec, s[6:7]
	s_cbranch_execz .LBB12_2002
.LBB12_4052:
	v_cmp_ne_u16_e32 vcc, 0, v1
	s_andn2_b64 s[4:5], s[4:5], exec
	s_and_b64 s[8:9], vcc, exec
	v_mov_b32_e32 v0, 0
	s_or_b64 s[4:5], s[4:5], s[8:9]
	s_or_b64 exec, exec, s[6:7]
	s_and_saveexec_b64 s[6:7], s[4:5]
	s_cbranch_execnz .LBB12_2003
	s_branch .LBB12_2004
.LBB12_4053:
	s_movk_i32 s4, 0x80
	v_cmp_eq_u16_e32 vcc, s4, v1
	s_mov_b64 s[4:5], -1
                                        ; implicit-def: $sgpr10
	s_and_saveexec_b64 s[8:9], vcc
; %bb.4054:
	s_mov_b32 s10, 0x7f800001
	s_xor_b64 s[4:5], exec, -1
; %bb.4055:
	s_or_b64 exec, exec, s[8:9]
	s_and_b64 s[4:5], s[4:5], exec
                                        ; implicit-def: $vgpr1
	s_or_saveexec_b64 s[6:7], s[6:7]
	v_mov_b32_e32 v4, s10
	s_xor_b64 exec, exec, s[6:7]
	s_cbranch_execz .LBB12_2006
.LBB12_4056:
	v_cmp_ne_u16_e32 vcc, 0, v1
	s_andn2_b64 s[4:5], s[4:5], exec
	s_and_b64 s[8:9], vcc, exec
	v_mov_b32_e32 v4, 0
	s_or_b64 s[4:5], s[4:5], s[8:9]
	s_or_b64 exec, exec, s[6:7]
	s_and_saveexec_b64 s[6:7], s[4:5]
	s_cbranch_execnz .LBB12_2007
	s_branch .LBB12_2008
.LBB12_4057:
	s_movk_i32 s4, 0x80
	v_cmp_eq_u16_sdwa s[12:13], v6, s4 src0_sel:BYTE_3 src1_sel:DWORD
	s_mov_b64 s[4:5], -1
                                        ; implicit-def: $sgpr10
	s_and_saveexec_b64 s[8:9], s[12:13]
; %bb.4058:
	s_mov_b32 s10, 0x7f800001
	s_xor_b64 s[4:5], exec, -1
; %bb.4059:
	s_or_b64 exec, exec, s[8:9]
	s_and_b64 s[4:5], s[4:5], exec
	s_or_saveexec_b64 s[6:7], s[6:7]
	v_mov_b32_e32 v0, s10
	s_xor_b64 exec, exec, s[6:7]
	s_cbranch_execz .LBB12_2010
.LBB12_4060:
	v_mov_b32_e32 v0, 0
	v_cmp_ne_u16_sdwa s[8:9], v6, v0 src0_sel:BYTE_3 src1_sel:DWORD
	s_andn2_b64 s[4:5], s[4:5], exec
	s_and_b64 s[8:9], s[8:9], exec
	s_or_b64 s[4:5], s[4:5], s[8:9]
	s_or_b64 exec, exec, s[6:7]
	s_and_saveexec_b64 s[6:7], s[4:5]
	s_cbranch_execnz .LBB12_2011
	s_branch .LBB12_2012
.LBB12_4061:
	s_movk_i32 s4, 0x80
	v_cmp_eq_u16_sdwa s[12:13], v2, s4 src0_sel:BYTE_3 src1_sel:DWORD
	s_mov_b64 s[4:5], -1
                                        ; implicit-def: $sgpr10
	s_and_saveexec_b64 s[8:9], s[12:13]
; %bb.4062:
	s_mov_b32 s10, 0x7f800001
	s_xor_b64 s[4:5], exec, -1
; %bb.4063:
	s_or_b64 exec, exec, s[8:9]
	s_and_b64 s[4:5], s[4:5], exec
	s_or_saveexec_b64 s[6:7], s[6:7]
	v_mov_b32_e32 v1, s10
	s_xor_b64 exec, exec, s[6:7]
	s_cbranch_execz .LBB12_2014
.LBB12_4064:
	v_mov_b32_e32 v1, 0
	v_cmp_ne_u16_sdwa s[8:9], v2, v1 src0_sel:BYTE_3 src1_sel:DWORD
	s_andn2_b64 s[4:5], s[4:5], exec
	s_and_b64 s[8:9], s[8:9], exec
	s_or_b64 s[4:5], s[4:5], s[8:9]
	s_or_b64 exec, exec, s[6:7]
	s_and_saveexec_b64 s[6:7], s[4:5]
	s_cbranch_execnz .LBB12_2015
	s_branch .LBB12_2016
.LBB12_4065:
	s_movk_i32 s4, 0x80
	v_cmp_eq_u16_sdwa s[12:13], v7, s4 src0_sel:BYTE_0 src1_sel:DWORD
	s_mov_b64 s[4:5], -1
                                        ; implicit-def: $sgpr10
	s_and_saveexec_b64 s[8:9], s[12:13]
; %bb.4066:
	s_mov_b32 s10, 0x7f800001
	s_xor_b64 s[4:5], exec, -1
; %bb.4067:
	s_or_b64 exec, exec, s[8:9]
	s_and_b64 s[4:5], s[4:5], exec
	s_or_saveexec_b64 s[6:7], s[6:7]
	v_mov_b32_e32 v0, s10
	s_xor_b64 exec, exec, s[6:7]
	s_cbranch_execz .LBB12_2018
.LBB12_4068:
	v_mov_b32_e32 v0, 0
	v_cmp_ne_u16_sdwa s[8:9], v7, v0 src0_sel:BYTE_0 src1_sel:DWORD
	s_andn2_b64 s[4:5], s[4:5], exec
	s_and_b64 s[8:9], s[8:9], exec
	s_or_b64 s[4:5], s[4:5], s[8:9]
	s_or_b64 exec, exec, s[6:7]
	s_and_saveexec_b64 s[6:7], s[4:5]
	s_cbranch_execnz .LBB12_2019
	s_branch .LBB12_2020
.LBB12_4069:
	s_movk_i32 s4, 0x80
	v_cmp_eq_u16_sdwa s[12:13], v3, s4 src0_sel:BYTE_0 src1_sel:DWORD
	s_mov_b64 s[4:5], -1
                                        ; implicit-def: $sgpr10
	s_and_saveexec_b64 s[8:9], s[12:13]
; %bb.4070:
	s_mov_b32 s10, 0x7f800001
	s_xor_b64 s[4:5], exec, -1
; %bb.4071:
	s_or_b64 exec, exec, s[8:9]
	s_and_b64 s[4:5], s[4:5], exec
	s_or_saveexec_b64 s[6:7], s[6:7]
	v_mov_b32_e32 v1, s10
	s_xor_b64 exec, exec, s[6:7]
	s_cbranch_execz .LBB12_2022
.LBB12_4072:
	v_mov_b32_e32 v1, 0
	v_cmp_ne_u16_sdwa s[8:9], v3, v1 src0_sel:BYTE_0 src1_sel:DWORD
	s_andn2_b64 s[4:5], s[4:5], exec
	s_and_b64 s[8:9], s[8:9], exec
	s_or_b64 s[4:5], s[4:5], s[8:9]
	s_or_b64 exec, exec, s[6:7]
	s_and_saveexec_b64 s[6:7], s[4:5]
	s_cbranch_execnz .LBB12_2023
	s_branch .LBB12_2024
.LBB12_4073:
	s_movk_i32 s4, 0x80
	v_cmp_eq_u16_sdwa s[12:13], v1, s4 src0_sel:BYTE_0 src1_sel:DWORD
	s_mov_b64 s[4:5], -1
                                        ; implicit-def: $sgpr10
	s_and_saveexec_b64 s[8:9], s[12:13]
; %bb.4074:
	s_mov_b32 s10, 0x7f800001
	s_xor_b64 s[4:5], exec, -1
; %bb.4075:
	s_or_b64 exec, exec, s[8:9]
	s_and_b64 s[4:5], s[4:5], exec
	s_or_saveexec_b64 s[6:7], s[6:7]
	v_mov_b32_e32 v0, s10
	s_xor_b64 exec, exec, s[6:7]
	s_cbranch_execz .LBB12_2026
.LBB12_4076:
	v_mov_b32_e32 v0, 0
	v_cmp_ne_u16_sdwa s[8:9], v1, v0 src0_sel:BYTE_0 src1_sel:DWORD
	s_andn2_b64 s[4:5], s[4:5], exec
	s_and_b64 s[8:9], s[8:9], exec
	s_or_b64 s[4:5], s[4:5], s[8:9]
	s_or_b64 exec, exec, s[6:7]
	s_and_saveexec_b64 s[6:7], s[4:5]
	s_cbranch_execnz .LBB12_2027
	s_branch .LBB12_2028
.LBB12_4077:
	s_movk_i32 s4, 0x80
	v_cmp_eq_u16_sdwa s[12:13], v1, s4 src0_sel:BYTE_0 src1_sel:DWORD
	s_mov_b64 s[4:5], -1
                                        ; implicit-def: $sgpr10
	s_and_saveexec_b64 s[8:9], s[12:13]
; %bb.4078:
	s_mov_b32 s10, 0x7f800001
	s_xor_b64 s[4:5], exec, -1
; %bb.4079:
	s_or_b64 exec, exec, s[8:9]
	s_and_b64 s[4:5], s[4:5], exec
	s_or_saveexec_b64 s[6:7], s[6:7]
	v_mov_b32_e32 v2, s10
	s_xor_b64 exec, exec, s[6:7]
	s_cbranch_execz .LBB12_2030
.LBB12_4080:
	v_mov_b32_e32 v2, 0
	v_cmp_ne_u16_sdwa s[8:9], v1, v2 src0_sel:BYTE_0 src1_sel:DWORD
	s_andn2_b64 s[4:5], s[4:5], exec
	s_and_b64 s[8:9], s[8:9], exec
	s_or_b64 s[4:5], s[4:5], s[8:9]
	s_or_b64 exec, exec, s[6:7]
	s_and_saveexec_b64 s[6:7], s[4:5]
	s_cbranch_execnz .LBB12_2031
	s_branch .LBB12_2032
.LBB12_4081:
	s_movk_i32 s4, 0x80
	v_cmp_eq_u16_e32 vcc, s4, v1
	s_mov_b64 s[4:5], -1
                                        ; implicit-def: $sgpr10
	s_and_saveexec_b64 s[8:9], vcc
; %bb.4082:
	s_mov_b32 s10, 0x7f800001
	s_xor_b64 s[4:5], exec, -1
; %bb.4083:
	s_or_b64 exec, exec, s[8:9]
	s_and_b64 s[4:5], s[4:5], exec
                                        ; implicit-def: $vgpr1
	s_or_saveexec_b64 s[6:7], s[6:7]
	v_mov_b32_e32 v0, s10
	s_xor_b64 exec, exec, s[6:7]
	s_cbranch_execz .LBB12_2034
.LBB12_4084:
	v_cmp_ne_u16_e32 vcc, 0, v1
	s_andn2_b64 s[4:5], s[4:5], exec
	s_and_b64 s[8:9], vcc, exec
	v_mov_b32_e32 v0, 0
	s_or_b64 s[4:5], s[4:5], s[8:9]
	s_or_b64 exec, exec, s[6:7]
	s_and_saveexec_b64 s[6:7], s[4:5]
	s_cbranch_execnz .LBB12_2035
	s_branch .LBB12_2036
.LBB12_4085:
	s_movk_i32 s4, 0x80
	v_cmp_eq_u16_e32 vcc, s4, v1
	s_mov_b64 s[4:5], -1
                                        ; implicit-def: $sgpr10
	s_and_saveexec_b64 s[8:9], vcc
; %bb.4086:
	s_mov_b32 s10, 0x7f800001
	s_xor_b64 s[4:5], exec, -1
; %bb.4087:
	s_or_b64 exec, exec, s[8:9]
	s_and_b64 s[4:5], s[4:5], exec
                                        ; implicit-def: $vgpr1
	s_or_saveexec_b64 s[6:7], s[6:7]
	v_mov_b32_e32 v2, s10
	s_xor_b64 exec, exec, s[6:7]
	s_cbranch_execz .LBB12_2038
.LBB12_4088:
	v_cmp_ne_u16_e32 vcc, 0, v1
	s_andn2_b64 s[4:5], s[4:5], exec
	s_and_b64 s[8:9], vcc, exec
	v_mov_b32_e32 v2, 0
	s_or_b64 s[4:5], s[4:5], s[8:9]
	s_or_b64 exec, exec, s[6:7]
	s_and_saveexec_b64 s[6:7], s[4:5]
	s_cbranch_execnz .LBB12_2039
	s_branch .LBB12_2040
.LBB12_4089:
	s_movk_i32 s4, 0x80
	v_cmp_eq_u16_sdwa s[12:13], v7, s4 src0_sel:BYTE_3 src1_sel:DWORD
	s_mov_b64 s[4:5], -1
                                        ; implicit-def: $sgpr10
	s_and_saveexec_b64 s[8:9], s[12:13]
; %bb.4090:
	s_mov_b32 s10, 0x7f800001
	s_xor_b64 s[4:5], exec, -1
; %bb.4091:
	s_or_b64 exec, exec, s[8:9]
	s_and_b64 s[4:5], s[4:5], exec
	s_or_saveexec_b64 s[6:7], s[6:7]
	v_mov_b32_e32 v0, s10
	s_xor_b64 exec, exec, s[6:7]
	s_cbranch_execz .LBB12_2042
.LBB12_4092:
	v_mov_b32_e32 v0, 0
	v_cmp_ne_u16_sdwa s[8:9], v7, v0 src0_sel:BYTE_3 src1_sel:DWORD
	s_andn2_b64 s[4:5], s[4:5], exec
	s_and_b64 s[8:9], s[8:9], exec
	s_or_b64 s[4:5], s[4:5], s[8:9]
	s_or_b64 exec, exec, s[6:7]
	s_and_saveexec_b64 s[6:7], s[4:5]
	s_cbranch_execnz .LBB12_2043
	s_branch .LBB12_2044
.LBB12_4093:
	s_movk_i32 s4, 0x80
	v_cmp_eq_u16_sdwa s[12:13], v3, s4 src0_sel:BYTE_3 src1_sel:DWORD
	s_mov_b64 s[4:5], -1
                                        ; implicit-def: $sgpr10
	s_and_saveexec_b64 s[8:9], s[12:13]
; %bb.4094:
	s_mov_b32 s10, 0x7f800001
	s_xor_b64 s[4:5], exec, -1
; %bb.4095:
	s_or_b64 exec, exec, s[8:9]
	s_and_b64 s[4:5], s[4:5], exec
	s_or_saveexec_b64 s[6:7], s[6:7]
	v_mov_b32_e32 v1, s10
	s_xor_b64 exec, exec, s[6:7]
	s_cbranch_execz .LBB12_2046
.LBB12_4096:
	v_mov_b32_e32 v1, 0
	v_cmp_ne_u16_sdwa s[8:9], v3, v1 src0_sel:BYTE_3 src1_sel:DWORD
	s_andn2_b64 s[4:5], s[4:5], exec
	s_and_b64 s[8:9], s[8:9], exec
	s_or_b64 s[4:5], s[4:5], s[8:9]
	s_or_b64 exec, exec, s[6:7]
	s_and_saveexec_b64 s[6:7], s[4:5]
	s_cbranch_execnz .LBB12_2047
	s_branch .LBB12_2048
.Lfunc_end12:
	.size	_ZNK2ck6detail7applierIiJLi0ELi1ELi2ELi3ELi4ELi5ELi6ELi7EEEclIZNKS_11static_fordINS_8SequenceIJLi1ELi8EEEENS5_IJLi0ELi1EEEEEclIZZZNKS_52BlockwiseGemmXdlops_pipeline_bpreshuffle_bdequant_v3ILNS_26BlockGemmPipelineSchedulerE0ELi256ENS_9f8_fnuz_tENS_7pk_i4_tESC_fNS_16TensorDescriptorINS_5TupleIJNS_5EmbedINSF_IJNS_17integral_constantIiLi8EEENSH_IiLi256EEENSH_IiLi16EEEEEENSF_IJSK_NSH_IiLi128EEENSH_IiLi1EEEEEELb0EEENS_3XorINSF_IJSJ_SI_EEELb1EEENS_11PassThroughISK_EENS_7UnMergeINSF_IJSI_SN_EEELb0EEENST_ISJ_EESU_NST_ISI_EENS_21Merge_v3_division_modINSF_IJSJ_SN_EEEEESU_EEENSF_IJNS5_IJLi0EEEENS5_IJLi2ELi1EEEENS5_IJLi3EEEENS5_IJLi5EEEENS5_IJLi4EEEENS5_IJLi6EEEENS5_IJLi7EEEENS5_IJLi9ELi8EEEENS5_IJLi10EEEEEEENSF_IJNS5_IJLi1ELi2ELi3EEEENS5_IJLi4ELi5EEEES19_NS5_IJLi7ELi8EEEENS5_IJLi9EEEES1C_NS5_IJLi11EEEENS5_IJLi12EEEENS5_IJLi13EEEEEEENS5_IJLi11ELi12ELi13EEEENSH_IlLl32768EEEEENSE_INSF_IJNSV_INSF_IJSI_SN_SN_NSH_IiLi32EEEEEELb0EEEEEENSF_IJS14_EEENSF_IJNS5_IJLi1ELi2ELi3ELi4EEEEEEES1U_NSH_IlLl256EEEEENSE_INSF_IJSP_SS_SU_SX_SY_SU_SZ_S12_SU_NS10_INSF_IJSI_SK_EEEEENSV_INSF_IJSI_NSH_IiLi2EEESK_EEELb0EEEEEENSF_IJS14_S15_S16_S17_S18_S19_S1A_S1B_S1C_NS5_IJLi11ELi13EEEES1J_EEENSF_IJS1E_S1F_S19_S1G_S1H_S1C_S1I_S1J_S1K_NS5_IJLi14EEEENS5_IJLi15ELi16ELi17EEEEEEENS5_IJLi15ELi16ELi17ELi14EEEES1N_EENSE_INSF_IJS1R_NS10_ISW_EES22_EEENSF_IJS14_NS5_IJLi1ELi3EEEENS5_IJLi2EEEEEEENSF_IJS1U_S17_NS5_IJLi6ELi7ELi8EEEEEEENS5_IJLi6ELi7ELi8ELi5EEEES1W_EELi16ELi32ELi256ELi256ELi128ELi16ELi16ELi8ELi8ELi32ELb0EE3RunILb1ELNS_10TailNumberE0ENSE_INSF_IJNSG_INSF_IJiiEEENSF_IJiSN_EEELb0EEENSV_IS2N_Lb0EEENST_IiEEEEENSF_IJS14_S2E_NS5_IJLi1EEEEEEENSF_IJNS5_IJLi1ELi2EEEENS5_IJLi3ELi4EEEES17_EEENS5_IJLi3ELi5ELi4EEEElEES1O_NS_35ThreadGroupTensorSliceTransfer_v4r1INS_15ThisThreadBlockILi256EEENS_16tensor_operation12element_wise11PassThroughES35_LNS_25InMemoryDataOperationEnumE0ENS5_IJLi8ELi256ELi16EEEENS5_IJLi8ELi32ELi1EEEENS5_IJLi1ELi0ELi2EEEESC_SC_RKS2Z_KS1O_S39_NS5_IJLi0ELi1ELi2EEEELi2ELi2ELi16ELi16ELi1ELi1ELb0ELb1ELi2EiEENS_13DynamicBufferILNS_16AddressSpaceEnumE1EKSC_lLb1ELNS_22AmdBufferCoherenceEnumE0EiEENSF_IJNS3F_ILS3G_2ESC_S1N_Lb1ELS3I_0EiEES3K_EEENSF_IJiiiEEENSE_INSF_IJNSG_INSF_IJiiiiEEENSF_IJiiiSN_EEELb0EEEEEES1T_S1V_S1U_lEENS_32ThreadwiseTensorSliceTransfer_v2ISD_SD_RKS3R_KS1X_NS5_IJLi8ELi1ELi1ELi32EEEENS5_IJLi1ELi2ELi0ELi3EEEELi3ELi32ELi0ELb1ELb0ELb0EEENS3F_ILS3G_1EKSD_lLb1ELS3I_0EiEENSF_IJNS_12StaticBufferILS3G_4ESD_Li256ELb1EEES42_EEES3N_NS_25StaticBufferTupleOfVectorILS3G_4EfLi64ELi4ELb1ELb0EEEEEvRKT1_RKT2_RT3_RKT4_RT5_RKT6_RKT7_RT8_RKT9_RT10_RKT11_RT12_iENKUlT_T0_E_clISN_NSH_IiLi0EEEEEDaS51_S52_ENKUlS51_E_clIS20_EEDaS51_EUlS51_E_EEvS51_EUlS51_E_EEvS51_, .Lfunc_end12-_ZNK2ck6detail7applierIiJLi0ELi1ELi2ELi3ELi4ELi5ELi6ELi7EEEclIZNKS_11static_fordINS_8SequenceIJLi1ELi8EEEENS5_IJLi0ELi1EEEEEclIZZZNKS_52BlockwiseGemmXdlops_pipeline_bpreshuffle_bdequant_v3ILNS_26BlockGemmPipelineSchedulerE0ELi256ENS_9f8_fnuz_tENS_7pk_i4_tESC_fNS_16TensorDescriptorINS_5TupleIJNS_5EmbedINSF_IJNS_17integral_constantIiLi8EEENSH_IiLi256EEENSH_IiLi16EEEEEENSF_IJSK_NSH_IiLi128EEENSH_IiLi1EEEEEELb0EEENS_3XorINSF_IJSJ_SI_EEELb1EEENS_11PassThroughISK_EENS_7UnMergeINSF_IJSI_SN_EEELb0EEENST_ISJ_EESU_NST_ISI_EENS_21Merge_v3_division_modINSF_IJSJ_SN_EEEEESU_EEENSF_IJNS5_IJLi0EEEENS5_IJLi2ELi1EEEENS5_IJLi3EEEENS5_IJLi5EEEENS5_IJLi4EEEENS5_IJLi6EEEENS5_IJLi7EEEENS5_IJLi9ELi8EEEENS5_IJLi10EEEEEEENSF_IJNS5_IJLi1ELi2ELi3EEEENS5_IJLi4ELi5EEEES19_NS5_IJLi7ELi8EEEENS5_IJLi9EEEES1C_NS5_IJLi11EEEENS5_IJLi12EEEENS5_IJLi13EEEEEEENS5_IJLi11ELi12ELi13EEEENSH_IlLl32768EEEEENSE_INSF_IJNSV_INSF_IJSI_SN_SN_NSH_IiLi32EEEEEELb0EEEEEENSF_IJS14_EEENSF_IJNS5_IJLi1ELi2ELi3ELi4EEEEEEES1U_NSH_IlLl256EEEEENSE_INSF_IJSP_SS_SU_SX_SY_SU_SZ_S12_SU_NS10_INSF_IJSI_SK_EEEEENSV_INSF_IJSI_NSH_IiLi2EEESK_EEELb0EEEEEENSF_IJS14_S15_S16_S17_S18_S19_S1A_S1B_S1C_NS5_IJLi11ELi13EEEES1J_EEENSF_IJS1E_S1F_S19_S1G_S1H_S1C_S1I_S1J_S1K_NS5_IJLi14EEEENS5_IJLi15ELi16ELi17EEEEEEENS5_IJLi15ELi16ELi17ELi14EEEES1N_EENSE_INSF_IJS1R_NS10_ISW_EES22_EEENSF_IJS14_NS5_IJLi1ELi3EEEENS5_IJLi2EEEEEEENSF_IJS1U_S17_NS5_IJLi6ELi7ELi8EEEEEEENS5_IJLi6ELi7ELi8ELi5EEEES1W_EELi16ELi32ELi256ELi256ELi128ELi16ELi16ELi8ELi8ELi32ELb0EE3RunILb1ELNS_10TailNumberE0ENSE_INSF_IJNSG_INSF_IJiiEEENSF_IJiSN_EEELb0EEENSV_IS2N_Lb0EEENST_IiEEEEENSF_IJS14_S2E_NS5_IJLi1EEEEEEENSF_IJNS5_IJLi1ELi2EEEENS5_IJLi3ELi4EEEES17_EEENS5_IJLi3ELi5ELi4EEEElEES1O_NS_35ThreadGroupTensorSliceTransfer_v4r1INS_15ThisThreadBlockILi256EEENS_16tensor_operation12element_wise11PassThroughES35_LNS_25InMemoryDataOperationEnumE0ENS5_IJLi8ELi256ELi16EEEENS5_IJLi8ELi32ELi1EEEENS5_IJLi1ELi0ELi2EEEESC_SC_RKS2Z_KS1O_S39_NS5_IJLi0ELi1ELi2EEEELi2ELi2ELi16ELi16ELi1ELi1ELb0ELb1ELi2EiEENS_13DynamicBufferILNS_16AddressSpaceEnumE1EKSC_lLb1ELNS_22AmdBufferCoherenceEnumE0EiEENSF_IJNS3F_ILS3G_2ESC_S1N_Lb1ELS3I_0EiEES3K_EEENSF_IJiiiEEENSE_INSF_IJNSG_INSF_IJiiiiEEENSF_IJiiiSN_EEELb0EEEEEES1T_S1V_S1U_lEENS_32ThreadwiseTensorSliceTransfer_v2ISD_SD_RKS3R_KS1X_NS5_IJLi8ELi1ELi1ELi32EEEENS5_IJLi1ELi2ELi0ELi3EEEELi3ELi32ELi0ELb1ELb0ELb0EEENS3F_ILS3G_1EKSD_lLb1ELS3I_0EiEENSF_IJNS_12StaticBufferILS3G_4ESD_Li256ELb1EEES42_EEES3N_NS_25StaticBufferTupleOfVectorILS3G_4EfLi64ELi4ELb1ELb0EEEEEvRKT1_RKT2_RT3_RKT4_RT5_RKT6_RKT7_RT8_RKT9_RT10_RKT11_RT12_iENKUlT_T0_E_clISN_NSH_IiLi0EEEEEDaS51_S52_ENKUlS51_E_clIS20_EEDaS51_EUlS51_E_EEvS51_EUlS51_E_EEvS51_
                                        ; -- End function
	.section	.AMDGPU.csdata,"",@progbits
; Function info:
; codeLenInByte = 133608
; NumSgprs: 36
; NumVgprs: 26
; NumAgprs: 4
; TotalNumVgprs: 32
; ScratchSize: 0
; MemoryBound: 1
	.text
	.p2align	2                               ; -- Begin function _ZNK2ck6detail7applierIiJLi0ELi1ELi2ELi3ELi4ELi5ELi6ELi7EEEclIZNKS_11static_fordINS_8SequenceIJLi1ELi8EEEENS5_IJLi0ELi1EEEEEclIZZZNKS_52BlockwiseGemmXdlops_pipeline_bpreshuffle_bdequant_v3ILNS_26BlockGemmPipelineSchedulerE0ELi256ENS_9f8_fnuz_tENS_7pk_i4_tESC_fNS_16TensorDescriptorINS_5TupleIJNS_5EmbedINSF_IJNS_17integral_constantIiLi8EEENSH_IiLi256EEENSH_IiLi16EEEEEENSF_IJSK_NSH_IiLi128EEENSH_IiLi1EEEEEELb0EEENS_3XorINSF_IJSJ_SI_EEELb1EEENS_11PassThroughISK_EENS_7UnMergeINSF_IJSI_SN_EEELb0EEENST_ISJ_EESU_NST_ISI_EENS_21Merge_v3_division_modINSF_IJSJ_SN_EEEEESU_EEENSF_IJNS5_IJLi0EEEENS5_IJLi2ELi1EEEENS5_IJLi3EEEENS5_IJLi5EEEENS5_IJLi4EEEENS5_IJLi6EEEENS5_IJLi7EEEENS5_IJLi9ELi8EEEENS5_IJLi10EEEEEEENSF_IJNS5_IJLi1ELi2ELi3EEEENS5_IJLi4ELi5EEEES19_NS5_IJLi7ELi8EEEENS5_IJLi9EEEES1C_NS5_IJLi11EEEENS5_IJLi12EEEENS5_IJLi13EEEEEEENS5_IJLi11ELi12ELi13EEEENSH_IlLl32768EEEEENSE_INSF_IJNSV_INSF_IJSI_SN_SN_NSH_IiLi32EEEEEELb0EEEEEENSF_IJS14_EEENSF_IJNS5_IJLi1ELi2ELi3ELi4EEEEEEES1U_NSH_IlLl256EEEEENSE_INSF_IJSP_SS_SU_SX_SY_SU_SZ_S12_SU_NS10_INSF_IJSI_SK_EEEEENSV_INSF_IJSI_NSH_IiLi2EEESK_EEELb0EEEEEENSF_IJS14_S15_S16_S17_S18_S19_S1A_S1B_S1C_NS5_IJLi11ELi13EEEES1J_EEENSF_IJS1E_S1F_S19_S1G_S1H_S1C_S1I_S1J_S1K_NS5_IJLi14EEEENS5_IJLi15ELi16ELi17EEEEEEENS5_IJLi15ELi16ELi17ELi14EEEES1N_EENSE_INSF_IJS1R_NS10_ISW_EES22_EEENSF_IJS14_NS5_IJLi1ELi3EEEENS5_IJLi2EEEEEEENSF_IJS1U_S17_NS5_IJLi6ELi7ELi8EEEEEEENS5_IJLi6ELi7ELi8ELi5EEEES1W_EELi16ELi32ELi256ELi256ELi128ELi16ELi16ELi8ELi8ELi32ELb0EE3RunILb1ELNS_10TailNumberE0ENSE_INSF_IJNSG_INSF_IJiiEEENSF_IJiSN_EEELb0EEENSV_IS2N_Lb0EEENST_IiEEEEENSF_IJS14_S2E_NS5_IJLi1EEEEEEENSF_IJNS5_IJLi1ELi2EEEENS5_IJLi3ELi4EEEES17_EEENS5_IJLi3ELi5ELi4EEEElEES1O_NS_35ThreadGroupTensorSliceTransfer_v4r1INS_15ThisThreadBlockILi256EEENS_16tensor_operation12element_wise11PassThroughES35_LNS_25InMemoryDataOperationEnumE0ENS5_IJLi8ELi256ELi16EEEENS5_IJLi8ELi32ELi1EEEENS5_IJLi1ELi0ELi2EEEESC_SC_RKS2Z_KS1O_S39_NS5_IJLi0ELi1ELi2EEEELi2ELi2ELi16ELi16ELi1ELi1ELb0ELb1ELi2EiEENS_13DynamicBufferILNS_16AddressSpaceEnumE1EKSC_lLb1ELNS_22AmdBufferCoherenceEnumE0EiEENSF_IJNS3F_ILS3G_2ESC_S1N_Lb1ELS3I_0EiEES3K_EEENSF_IJiiiEEENSE_INSF_IJNSG_INSF_IJiiiiEEENSF_IJiiiSN_EEELb0EEEEEES1T_S1V_S1U_lEENS_32ThreadwiseTensorSliceTransfer_v2ISD_SD_RKS3R_KS1X_NS5_IJLi8ELi1ELi1ELi32EEEENS5_IJLi1ELi2ELi0ELi3EEEELi3ELi32ELi0ELb1ELb0ELb0EEENS3F_ILS3G_1EKSD_lLb1ELS3I_0EiEENSF_IJNS_12StaticBufferILS3G_4ESD_Li256ELb1EEES42_EEES3N_NS_25StaticBufferTupleOfVectorILS3G_4EfLi64ELi4ELb1ELb0EEEEEvRKT1_RKT2_RT3_RKT4_RT5_RKT6_RKT7_RT8_RKT9_RT10_RKT11_RT12_iENKUlT_T0_E_clISN_NSH_IiLi0EEEEEDaS51_S52_ENKUlS51_E_clINSH_IiLi3EEEEEDaS51_EUlS51_E_EEvS51_EUlS51_E_EEvS51_
	.type	_ZNK2ck6detail7applierIiJLi0ELi1ELi2ELi3ELi4ELi5ELi6ELi7EEEclIZNKS_11static_fordINS_8SequenceIJLi1ELi8EEEENS5_IJLi0ELi1EEEEEclIZZZNKS_52BlockwiseGemmXdlops_pipeline_bpreshuffle_bdequant_v3ILNS_26BlockGemmPipelineSchedulerE0ELi256ENS_9f8_fnuz_tENS_7pk_i4_tESC_fNS_16TensorDescriptorINS_5TupleIJNS_5EmbedINSF_IJNS_17integral_constantIiLi8EEENSH_IiLi256EEENSH_IiLi16EEEEEENSF_IJSK_NSH_IiLi128EEENSH_IiLi1EEEEEELb0EEENS_3XorINSF_IJSJ_SI_EEELb1EEENS_11PassThroughISK_EENS_7UnMergeINSF_IJSI_SN_EEELb0EEENST_ISJ_EESU_NST_ISI_EENS_21Merge_v3_division_modINSF_IJSJ_SN_EEEEESU_EEENSF_IJNS5_IJLi0EEEENS5_IJLi2ELi1EEEENS5_IJLi3EEEENS5_IJLi5EEEENS5_IJLi4EEEENS5_IJLi6EEEENS5_IJLi7EEEENS5_IJLi9ELi8EEEENS5_IJLi10EEEEEEENSF_IJNS5_IJLi1ELi2ELi3EEEENS5_IJLi4ELi5EEEES19_NS5_IJLi7ELi8EEEENS5_IJLi9EEEES1C_NS5_IJLi11EEEENS5_IJLi12EEEENS5_IJLi13EEEEEEENS5_IJLi11ELi12ELi13EEEENSH_IlLl32768EEEEENSE_INSF_IJNSV_INSF_IJSI_SN_SN_NSH_IiLi32EEEEEELb0EEEEEENSF_IJS14_EEENSF_IJNS5_IJLi1ELi2ELi3ELi4EEEEEEES1U_NSH_IlLl256EEEEENSE_INSF_IJSP_SS_SU_SX_SY_SU_SZ_S12_SU_NS10_INSF_IJSI_SK_EEEEENSV_INSF_IJSI_NSH_IiLi2EEESK_EEELb0EEEEEENSF_IJS14_S15_S16_S17_S18_S19_S1A_S1B_S1C_NS5_IJLi11ELi13EEEES1J_EEENSF_IJS1E_S1F_S19_S1G_S1H_S1C_S1I_S1J_S1K_NS5_IJLi14EEEENS5_IJLi15ELi16ELi17EEEEEEENS5_IJLi15ELi16ELi17ELi14EEEES1N_EENSE_INSF_IJS1R_NS10_ISW_EES22_EEENSF_IJS14_NS5_IJLi1ELi3EEEENS5_IJLi2EEEEEEENSF_IJS1U_S17_NS5_IJLi6ELi7ELi8EEEEEEENS5_IJLi6ELi7ELi8ELi5EEEES1W_EELi16ELi32ELi256ELi256ELi128ELi16ELi16ELi8ELi8ELi32ELb0EE3RunILb1ELNS_10TailNumberE0ENSE_INSF_IJNSG_INSF_IJiiEEENSF_IJiSN_EEELb0EEENSV_IS2N_Lb0EEENST_IiEEEEENSF_IJS14_S2E_NS5_IJLi1EEEEEEENSF_IJNS5_IJLi1ELi2EEEENS5_IJLi3ELi4EEEES17_EEENS5_IJLi3ELi5ELi4EEEElEES1O_NS_35ThreadGroupTensorSliceTransfer_v4r1INS_15ThisThreadBlockILi256EEENS_16tensor_operation12element_wise11PassThroughES35_LNS_25InMemoryDataOperationEnumE0ENS5_IJLi8ELi256ELi16EEEENS5_IJLi8ELi32ELi1EEEENS5_IJLi1ELi0ELi2EEEESC_SC_RKS2Z_KS1O_S39_NS5_IJLi0ELi1ELi2EEEELi2ELi2ELi16ELi16ELi1ELi1ELb0ELb1ELi2EiEENS_13DynamicBufferILNS_16AddressSpaceEnumE1EKSC_lLb1ELNS_22AmdBufferCoherenceEnumE0EiEENSF_IJNS3F_ILS3G_2ESC_S1N_Lb1ELS3I_0EiEES3K_EEENSF_IJiiiEEENSE_INSF_IJNSG_INSF_IJiiiiEEENSF_IJiiiSN_EEELb0EEEEEES1T_S1V_S1U_lEENS_32ThreadwiseTensorSliceTransfer_v2ISD_SD_RKS3R_KS1X_NS5_IJLi8ELi1ELi1ELi32EEEENS5_IJLi1ELi2ELi0ELi3EEEELi3ELi32ELi0ELb1ELb0ELb0EEENS3F_ILS3G_1EKSD_lLb1ELS3I_0EiEENSF_IJNS_12StaticBufferILS3G_4ESD_Li256ELb1EEES42_EEES3N_NS_25StaticBufferTupleOfVectorILS3G_4EfLi64ELi4ELb1ELb0EEEEEvRKT1_RKT2_RT3_RKT4_RT5_RKT6_RKT7_RT8_RKT9_RT10_RKT11_RT12_iENKUlT_T0_E_clISN_NSH_IiLi0EEEEEDaS51_S52_ENKUlS51_E_clINSH_IiLi3EEEEEDaS51_EUlS51_E_EEvS51_EUlS51_E_EEvS51_,@function
_ZNK2ck6detail7applierIiJLi0ELi1ELi2ELi3ELi4ELi5ELi6ELi7EEEclIZNKS_11static_fordINS_8SequenceIJLi1ELi8EEEENS5_IJLi0ELi1EEEEEclIZZZNKS_52BlockwiseGemmXdlops_pipeline_bpreshuffle_bdequant_v3ILNS_26BlockGemmPipelineSchedulerE0ELi256ENS_9f8_fnuz_tENS_7pk_i4_tESC_fNS_16TensorDescriptorINS_5TupleIJNS_5EmbedINSF_IJNS_17integral_constantIiLi8EEENSH_IiLi256EEENSH_IiLi16EEEEEENSF_IJSK_NSH_IiLi128EEENSH_IiLi1EEEEEELb0EEENS_3XorINSF_IJSJ_SI_EEELb1EEENS_11PassThroughISK_EENS_7UnMergeINSF_IJSI_SN_EEELb0EEENST_ISJ_EESU_NST_ISI_EENS_21Merge_v3_division_modINSF_IJSJ_SN_EEEEESU_EEENSF_IJNS5_IJLi0EEEENS5_IJLi2ELi1EEEENS5_IJLi3EEEENS5_IJLi5EEEENS5_IJLi4EEEENS5_IJLi6EEEENS5_IJLi7EEEENS5_IJLi9ELi8EEEENS5_IJLi10EEEEEEENSF_IJNS5_IJLi1ELi2ELi3EEEENS5_IJLi4ELi5EEEES19_NS5_IJLi7ELi8EEEENS5_IJLi9EEEES1C_NS5_IJLi11EEEENS5_IJLi12EEEENS5_IJLi13EEEEEEENS5_IJLi11ELi12ELi13EEEENSH_IlLl32768EEEEENSE_INSF_IJNSV_INSF_IJSI_SN_SN_NSH_IiLi32EEEEEELb0EEEEEENSF_IJS14_EEENSF_IJNS5_IJLi1ELi2ELi3ELi4EEEEEEES1U_NSH_IlLl256EEEEENSE_INSF_IJSP_SS_SU_SX_SY_SU_SZ_S12_SU_NS10_INSF_IJSI_SK_EEEEENSV_INSF_IJSI_NSH_IiLi2EEESK_EEELb0EEEEEENSF_IJS14_S15_S16_S17_S18_S19_S1A_S1B_S1C_NS5_IJLi11ELi13EEEES1J_EEENSF_IJS1E_S1F_S19_S1G_S1H_S1C_S1I_S1J_S1K_NS5_IJLi14EEEENS5_IJLi15ELi16ELi17EEEEEEENS5_IJLi15ELi16ELi17ELi14EEEES1N_EENSE_INSF_IJS1R_NS10_ISW_EES22_EEENSF_IJS14_NS5_IJLi1ELi3EEEENS5_IJLi2EEEEEEENSF_IJS1U_S17_NS5_IJLi6ELi7ELi8EEEEEEENS5_IJLi6ELi7ELi8ELi5EEEES1W_EELi16ELi32ELi256ELi256ELi128ELi16ELi16ELi8ELi8ELi32ELb0EE3RunILb1ELNS_10TailNumberE0ENSE_INSF_IJNSG_INSF_IJiiEEENSF_IJiSN_EEELb0EEENSV_IS2N_Lb0EEENST_IiEEEEENSF_IJS14_S2E_NS5_IJLi1EEEEEEENSF_IJNS5_IJLi1ELi2EEEENS5_IJLi3ELi4EEEES17_EEENS5_IJLi3ELi5ELi4EEEElEES1O_NS_35ThreadGroupTensorSliceTransfer_v4r1INS_15ThisThreadBlockILi256EEENS_16tensor_operation12element_wise11PassThroughES35_LNS_25InMemoryDataOperationEnumE0ENS5_IJLi8ELi256ELi16EEEENS5_IJLi8ELi32ELi1EEEENS5_IJLi1ELi0ELi2EEEESC_SC_RKS2Z_KS1O_S39_NS5_IJLi0ELi1ELi2EEEELi2ELi2ELi16ELi16ELi1ELi1ELb0ELb1ELi2EiEENS_13DynamicBufferILNS_16AddressSpaceEnumE1EKSC_lLb1ELNS_22AmdBufferCoherenceEnumE0EiEENSF_IJNS3F_ILS3G_2ESC_S1N_Lb1ELS3I_0EiEES3K_EEENSF_IJiiiEEENSE_INSF_IJNSG_INSF_IJiiiiEEENSF_IJiiiSN_EEELb0EEEEEES1T_S1V_S1U_lEENS_32ThreadwiseTensorSliceTransfer_v2ISD_SD_RKS3R_KS1X_NS5_IJLi8ELi1ELi1ELi32EEEENS5_IJLi1ELi2ELi0ELi3EEEELi3ELi32ELi0ELb1ELb0ELb0EEENS3F_ILS3G_1EKSD_lLb1ELS3I_0EiEENSF_IJNS_12StaticBufferILS3G_4ESD_Li256ELb1EEES42_EEES3N_NS_25StaticBufferTupleOfVectorILS3G_4EfLi64ELi4ELb1ELb0EEEEEvRKT1_RKT2_RT3_RKT4_RT5_RKT6_RKT7_RT8_RKT9_RT10_RKT11_RT12_iENKUlT_T0_E_clISN_NSH_IiLi0EEEEEDaS51_S52_ENKUlS51_E_clINSH_IiLi3EEEEEDaS51_EUlS51_E_EEvS51_EUlS51_E_EEvS51_: ; @_ZNK2ck6detail7applierIiJLi0ELi1ELi2ELi3ELi4ELi5ELi6ELi7EEEclIZNKS_11static_fordINS_8SequenceIJLi1ELi8EEEENS5_IJLi0ELi1EEEEEclIZZZNKS_52BlockwiseGemmXdlops_pipeline_bpreshuffle_bdequant_v3ILNS_26BlockGemmPipelineSchedulerE0ELi256ENS_9f8_fnuz_tENS_7pk_i4_tESC_fNS_16TensorDescriptorINS_5TupleIJNS_5EmbedINSF_IJNS_17integral_constantIiLi8EEENSH_IiLi256EEENSH_IiLi16EEEEEENSF_IJSK_NSH_IiLi128EEENSH_IiLi1EEEEEELb0EEENS_3XorINSF_IJSJ_SI_EEELb1EEENS_11PassThroughISK_EENS_7UnMergeINSF_IJSI_SN_EEELb0EEENST_ISJ_EESU_NST_ISI_EENS_21Merge_v3_division_modINSF_IJSJ_SN_EEEEESU_EEENSF_IJNS5_IJLi0EEEENS5_IJLi2ELi1EEEENS5_IJLi3EEEENS5_IJLi5EEEENS5_IJLi4EEEENS5_IJLi6EEEENS5_IJLi7EEEENS5_IJLi9ELi8EEEENS5_IJLi10EEEEEEENSF_IJNS5_IJLi1ELi2ELi3EEEENS5_IJLi4ELi5EEEES19_NS5_IJLi7ELi8EEEENS5_IJLi9EEEES1C_NS5_IJLi11EEEENS5_IJLi12EEEENS5_IJLi13EEEEEEENS5_IJLi11ELi12ELi13EEEENSH_IlLl32768EEEEENSE_INSF_IJNSV_INSF_IJSI_SN_SN_NSH_IiLi32EEEEEELb0EEEEEENSF_IJS14_EEENSF_IJNS5_IJLi1ELi2ELi3ELi4EEEEEEES1U_NSH_IlLl256EEEEENSE_INSF_IJSP_SS_SU_SX_SY_SU_SZ_S12_SU_NS10_INSF_IJSI_SK_EEEEENSV_INSF_IJSI_NSH_IiLi2EEESK_EEELb0EEEEEENSF_IJS14_S15_S16_S17_S18_S19_S1A_S1B_S1C_NS5_IJLi11ELi13EEEES1J_EEENSF_IJS1E_S1F_S19_S1G_S1H_S1C_S1I_S1J_S1K_NS5_IJLi14EEEENS5_IJLi15ELi16ELi17EEEEEEENS5_IJLi15ELi16ELi17ELi14EEEES1N_EENSE_INSF_IJS1R_NS10_ISW_EES22_EEENSF_IJS14_NS5_IJLi1ELi3EEEENS5_IJLi2EEEEEEENSF_IJS1U_S17_NS5_IJLi6ELi7ELi8EEEEEEENS5_IJLi6ELi7ELi8ELi5EEEES1W_EELi16ELi32ELi256ELi256ELi128ELi16ELi16ELi8ELi8ELi32ELb0EE3RunILb1ELNS_10TailNumberE0ENSE_INSF_IJNSG_INSF_IJiiEEENSF_IJiSN_EEELb0EEENSV_IS2N_Lb0EEENST_IiEEEEENSF_IJS14_S2E_NS5_IJLi1EEEEEEENSF_IJNS5_IJLi1ELi2EEEENS5_IJLi3ELi4EEEES17_EEENS5_IJLi3ELi5ELi4EEEElEES1O_NS_35ThreadGroupTensorSliceTransfer_v4r1INS_15ThisThreadBlockILi256EEENS_16tensor_operation12element_wise11PassThroughES35_LNS_25InMemoryDataOperationEnumE0ENS5_IJLi8ELi256ELi16EEEENS5_IJLi8ELi32ELi1EEEENS5_IJLi1ELi0ELi2EEEESC_SC_RKS2Z_KS1O_S39_NS5_IJLi0ELi1ELi2EEEELi2ELi2ELi16ELi16ELi1ELi1ELb0ELb1ELi2EiEENS_13DynamicBufferILNS_16AddressSpaceEnumE1EKSC_lLb1ELNS_22AmdBufferCoherenceEnumE0EiEENSF_IJNS3F_ILS3G_2ESC_S1N_Lb1ELS3I_0EiEES3K_EEENSF_IJiiiEEENSE_INSF_IJNSG_INSF_IJiiiiEEENSF_IJiiiSN_EEELb0EEEEEES1T_S1V_S1U_lEENS_32ThreadwiseTensorSliceTransfer_v2ISD_SD_RKS3R_KS1X_NS5_IJLi8ELi1ELi1ELi32EEEENS5_IJLi1ELi2ELi0ELi3EEEELi3ELi32ELi0ELb1ELb0ELb0EEENS3F_ILS3G_1EKSD_lLb1ELS3I_0EiEENSF_IJNS_12StaticBufferILS3G_4ESD_Li256ELb1EEES42_EEES3N_NS_25StaticBufferTupleOfVectorILS3G_4EfLi64ELi4ELb1ELb0EEEEEvRKT1_RKT2_RT3_RKT4_RT5_RKT6_RKT7_RT8_RKT9_RT10_RKT11_RT12_iENKUlT_T0_E_clISN_NSH_IiLi0EEEEEDaS51_S52_ENKUlS51_E_clINSH_IiLi3EEEEEDaS51_EUlS51_E_EEvS51_EUlS51_E_EEvS51_
; %bb.0:
	s_waitcnt vmcnt(0) expcnt(0) lgkmcnt(0)
	flat_load_dwordx4 v[20:23], v[0:1] offset:16
	flat_load_dwordx2 v[18:19], v[0:1] offset:32
	s_movk_i32 s4, 0x7f
                                        ; implicit-def: $sgpr10
	s_waitcnt vmcnt(0) lgkmcnt(0)
	flat_load_dwordx4 v[14:17], v[20:21] offset:32
	flat_load_dwordx4 v[6:9], v[20:21] offset:48
	;; [unrolled: 1-line block ×4, first 2 shown]
	s_waitcnt vmcnt(0) lgkmcnt(0)
	v_cmp_gt_i16_sdwa s[6:7], v14, s4 src0_sel:BYTE_0 src1_sel:DWORD
	s_mov_b64 s[4:5], 0
	s_and_saveexec_b64 s[8:9], s[6:7]
	s_xor_b64 s[6:7], exec, s[8:9]
	s_cbranch_execnz .LBB13_2049
; %bb.1:
	s_or_saveexec_b64 s[6:7], s[6:7]
	v_mov_b32_e32 v20, s10
	s_xor_b64 exec, exec, s[6:7]
	s_cbranch_execnz .LBB13_2052
.LBB13_2:
	s_or_b64 exec, exec, s[6:7]
	s_and_saveexec_b64 s[6:7], s[4:5]
	s_cbranch_execz .LBB13_4
.LBB13_3:
	v_and_b32_e32 v20, 7, v14
	v_ffbh_u32_e32 v22, v20
	v_min_u32_e32 v22, 32, v22
	v_lshrrev_b16_e32 v21, 3, v14
	v_subrev_u32_e32 v23, 28, v22
	v_and_b32_e32 v21, 15, v21
	v_lshlrev_b32_e32 v23, v23, v14
	v_sub_u32_e32 v22, 29, v22
	v_and_b32_e32 v23, 7, v23
	v_cmp_eq_u16_e32 vcc, 0, v21
	v_cndmask_b32_e32 v20, v20, v23, vcc
	v_cndmask_b32_e32 v21, v21, v22, vcc
	v_lshlrev_b32_e32 v22, 24, v14
	v_mov_b32_e32 v23, 0x3b800000
	v_lshlrev_b32_e32 v20, 20, v20
	v_and_b32_e32 v22, 0x80000000, v22
	v_lshl_add_u32 v21, v21, 23, v23
	v_or3_b32 v20, v22, v21, v20
.LBB13_4:
	s_or_b64 exec, exec, s[6:7]
	s_movk_i32 s4, 0x7f
	v_cmp_gt_i16_sdwa s[6:7], v10, s4 src0_sel:BYTE_0 src1_sel:DWORD
	s_mov_b64 s[4:5], 0
                                        ; implicit-def: $sgpr10
	s_and_saveexec_b64 s[8:9], s[6:7]
	s_xor_b64 s[6:7], exec, s[8:9]
	s_cbranch_execnz .LBB13_2053
; %bb.5:
	s_or_saveexec_b64 s[6:7], s[6:7]
	v_mov_b32_e32 v21, s10
	s_xor_b64 exec, exec, s[6:7]
	s_cbranch_execnz .LBB13_2056
.LBB13_6:
	s_or_b64 exec, exec, s[6:7]
	s_and_saveexec_b64 s[6:7], s[4:5]
	s_cbranch_execz .LBB13_8
.LBB13_7:
	v_and_b32_e32 v21, 7, v10
	v_ffbh_u32_e32 v23, v21
	v_min_u32_e32 v23, 32, v23
	v_lshrrev_b16_e32 v22, 3, v10
	v_subrev_u32_e32 v24, 28, v23
	v_and_b32_e32 v22, 15, v22
	v_lshlrev_b32_e32 v24, v24, v10
	v_sub_u32_e32 v23, 29, v23
	v_and_b32_e32 v24, 7, v24
	v_cmp_eq_u16_e32 vcc, 0, v22
	v_cndmask_b32_e32 v21, v21, v24, vcc
	v_cndmask_b32_e32 v22, v22, v23, vcc
	v_lshlrev_b32_e32 v23, 24, v10
	v_mov_b32_e32 v24, 0x3b800000
	v_lshlrev_b32_e32 v21, 20, v21
	v_and_b32_e32 v23, 0x80000000, v23
	v_lshl_add_u32 v22, v22, 23, v24
	v_or3_b32 v21, v23, v22, v21
.LBB13_8:
	s_or_b64 exec, exec, s[6:7]
	flat_load_dwordx4 a[0:3], v[18:19] offset:384
	s_movk_i32 s4, 0x7f
                                        ; implicit-def: $sgpr10
	s_waitcnt vmcnt(0) lgkmcnt(0)
	v_mfma_f32_16x16x4f32 a[0:3], v20, v21, a[0:3]
	v_lshrrev_b32_e32 v21, 8, v14
	v_cmp_gt_i16_sdwa s[6:7], v21, s4 src0_sel:BYTE_0 src1_sel:DWORD
	s_mov_b64 s[4:5], 0
	s_and_saveexec_b64 s[8:9], s[6:7]
	s_xor_b64 s[6:7], exec, s[8:9]
	s_cbranch_execnz .LBB13_2057
; %bb.9:
	s_or_saveexec_b64 s[6:7], s[6:7]
	v_mov_b32_e32 v20, s10
	s_xor_b64 exec, exec, s[6:7]
	s_cbranch_execnz .LBB13_2060
.LBB13_10:
	s_or_b64 exec, exec, s[6:7]
	s_and_saveexec_b64 s[6:7], s[4:5]
	s_cbranch_execz .LBB13_12
.LBB13_11:
	v_bfe_u32 v20, v14, 8, 3
	v_ffbh_u32_e32 v23, v20
	v_min_u32_e32 v23, 32, v23
	v_lshrrev_b16_e32 v22, 3, v21
	v_subrev_u32_e32 v24, 28, v23
	v_and_b32_e32 v22, 15, v22
	v_lshlrev_b32_e32 v21, v24, v21
	v_sub_u32_e32 v23, 29, v23
	v_and_b32_e32 v21, 7, v21
	v_cmp_eq_u16_e32 vcc, 0, v22
	v_cndmask_b32_e32 v20, v20, v21, vcc
	v_cndmask_b32_e32 v21, v22, v23, vcc
	v_lshlrev_b32_e32 v22, 16, v14
	v_mov_b32_e32 v23, 0x3b800000
	v_lshlrev_b32_e32 v20, 20, v20
	v_and_b32_e32 v22, 0x80000000, v22
	v_lshl_add_u32 v21, v21, 23, v23
	v_or3_b32 v20, v22, v21, v20
.LBB13_12:
	s_or_b64 exec, exec, s[6:7]
	v_lshrrev_b32_e32 v21, 8, v10
	s_movk_i32 s4, 0x7f
	v_cmp_gt_i16_sdwa s[6:7], v21, s4 src0_sel:BYTE_0 src1_sel:DWORD
	s_mov_b64 s[4:5], 0
                                        ; implicit-def: $sgpr10
	s_and_saveexec_b64 s[8:9], s[6:7]
	s_xor_b64 s[6:7], exec, s[8:9]
	s_cbranch_execnz .LBB13_2061
; %bb.13:
	s_or_saveexec_b64 s[6:7], s[6:7]
	v_mov_b32_e32 v22, s10
	s_xor_b64 exec, exec, s[6:7]
	s_cbranch_execnz .LBB13_2064
.LBB13_14:
	s_or_b64 exec, exec, s[6:7]
	s_and_saveexec_b64 s[6:7], s[4:5]
	s_cbranch_execz .LBB13_16
.LBB13_15:
	v_bfe_u32 v22, v10, 8, 3
	v_ffbh_u32_e32 v24, v22
	v_min_u32_e32 v24, 32, v24
	v_lshrrev_b16_e32 v23, 3, v21
	v_subrev_u32_e32 v25, 28, v24
	v_and_b32_e32 v23, 15, v23
	v_lshlrev_b32_e32 v21, v25, v21
	v_sub_u32_e32 v24, 29, v24
	v_and_b32_e32 v21, 7, v21
	v_cmp_eq_u16_e32 vcc, 0, v23
	v_cndmask_b32_e32 v21, v22, v21, vcc
	v_cndmask_b32_e32 v22, v23, v24, vcc
	v_lshlrev_b32_e32 v23, 16, v10
	v_mov_b32_e32 v24, 0x3b800000
	v_lshlrev_b32_e32 v21, 20, v21
	v_and_b32_e32 v23, 0x80000000, v23
	v_lshl_add_u32 v22, v22, 23, v24
	v_or3_b32 v22, v23, v22, v21
.LBB13_16:
	s_or_b64 exec, exec, s[6:7]
	s_nop 0
	v_mfma_f32_16x16x4f32 a[0:3], v20, v22, a[0:3]
	s_movk_i32 s4, 0xff
	v_and_b32_sdwa v21, v14, s4 dst_sel:DWORD dst_unused:UNUSED_PAD src0_sel:WORD_1 src1_sel:DWORD
	s_movk_i32 s4, 0x7f
	v_cmp_lt_i16_e32 vcc, s4, v21
	s_mov_b64 s[4:5], 0
                                        ; implicit-def: $sgpr10
	s_and_saveexec_b64 s[6:7], vcc
	s_xor_b64 s[6:7], exec, s[6:7]
	s_cbranch_execnz .LBB13_2065
; %bb.17:
	s_or_saveexec_b64 s[6:7], s[6:7]
	v_mov_b32_e32 v20, s10
	s_xor_b64 exec, exec, s[6:7]
	s_cbranch_execnz .LBB13_2068
.LBB13_18:
	s_or_b64 exec, exec, s[6:7]
	s_and_saveexec_b64 s[6:7], s[4:5]
	s_cbranch_execz .LBB13_20
.LBB13_19:
	v_bfe_u32 v20, v14, 16, 3
	v_ffbh_u32_e32 v23, v20
	v_min_u32_e32 v23, 32, v23
	v_lshrrev_b32_e32 v21, 19, v14
	v_subrev_u32_e32 v24, 28, v23
	v_and_b32_e32 v21, 15, v21
	v_lshlrev_b32_sdwa v24, v24, v14 dst_sel:DWORD dst_unused:UNUSED_PAD src0_sel:DWORD src1_sel:WORD_1
	v_bfe_u32 v22, v14, 19, 4
	v_sub_u32_e32 v23, 29, v23
	v_and_b32_e32 v24, 7, v24
	v_cmp_eq_u16_e32 vcc, 0, v21
	v_cndmask_b32_e32 v20, v20, v24, vcc
	v_cndmask_b32_e32 v21, v22, v23, vcc
	v_lshlrev_b32_e32 v22, 8, v14
	v_mov_b32_e32 v23, 0x3b800000
	v_lshlrev_b32_e32 v20, 20, v20
	v_and_b32_e32 v22, 0x80000000, v22
	v_lshl_add_u32 v21, v21, 23, v23
	v_or3_b32 v20, v22, v21, v20
.LBB13_20:
	s_or_b64 exec, exec, s[6:7]
	s_movk_i32 s4, 0xff
	v_and_b32_sdwa v21, v10, s4 dst_sel:DWORD dst_unused:UNUSED_PAD src0_sel:WORD_1 src1_sel:DWORD
	s_movk_i32 s4, 0x7f
	v_cmp_lt_i16_e32 vcc, s4, v21
	s_mov_b64 s[4:5], 0
                                        ; implicit-def: $sgpr10
	s_and_saveexec_b64 s[6:7], vcc
	s_xor_b64 s[6:7], exec, s[6:7]
	s_cbranch_execnz .LBB13_2069
; %bb.21:
	s_or_saveexec_b64 s[6:7], s[6:7]
	v_mov_b32_e32 v22, s10
	s_xor_b64 exec, exec, s[6:7]
	s_cbranch_execnz .LBB13_2072
.LBB13_22:
	s_or_b64 exec, exec, s[6:7]
	s_and_saveexec_b64 s[6:7], s[4:5]
	s_cbranch_execz .LBB13_24
.LBB13_23:
	v_bfe_u32 v21, v10, 16, 3
	v_ffbh_u32_e32 v24, v21
	v_min_u32_e32 v24, 32, v24
	v_lshrrev_b32_e32 v22, 19, v10
	v_subrev_u32_e32 v25, 28, v24
	v_and_b32_e32 v22, 15, v22
	v_lshlrev_b32_sdwa v25, v25, v10 dst_sel:DWORD dst_unused:UNUSED_PAD src0_sel:DWORD src1_sel:WORD_1
	v_bfe_u32 v23, v10, 19, 4
	v_sub_u32_e32 v24, 29, v24
	v_and_b32_e32 v25, 7, v25
	v_cmp_eq_u16_e32 vcc, 0, v22
	v_cndmask_b32_e32 v21, v21, v25, vcc
	v_cndmask_b32_e32 v22, v23, v24, vcc
	v_lshlrev_b32_e32 v23, 8, v10
	v_mov_b32_e32 v24, 0x3b800000
	v_lshlrev_b32_e32 v21, 20, v21
	v_and_b32_e32 v23, 0x80000000, v23
	v_lshl_add_u32 v22, v22, 23, v24
	v_or3_b32 v22, v23, v22, v21
.LBB13_24:
	s_or_b64 exec, exec, s[6:7]
	s_nop 0
	v_mfma_f32_16x16x4f32 a[0:3], v20, v22, a[0:3]
	s_movk_i32 s4, 0x7f
	v_cmp_gt_i16_sdwa s[6:7], v14, s4 src0_sel:BYTE_3 src1_sel:DWORD
	s_mov_b64 s[4:5], 0
                                        ; implicit-def: $sgpr10
	s_and_saveexec_b64 s[8:9], s[6:7]
	s_xor_b64 s[6:7], exec, s[8:9]
	s_cbranch_execnz .LBB13_2073
; %bb.25:
	s_or_saveexec_b64 s[6:7], s[6:7]
	v_mov_b32_e32 v20, s10
	s_xor_b64 exec, exec, s[6:7]
	s_cbranch_execnz .LBB13_2076
.LBB13_26:
	s_or_b64 exec, exec, s[6:7]
	s_and_saveexec_b64 s[6:7], s[4:5]
	s_cbranch_execz .LBB13_28
.LBB13_27:
	v_bfe_u32 v20, v14, 24, 3
	v_ffbh_u32_e32 v24, v20
	v_min_u32_e32 v24, 32, v24
	v_lshrrev_b32_e32 v22, 27, v14
	v_subrev_u32_e32 v25, 28, v24
	v_and_b32_e32 v21, 0x80000000, v14
	v_and_b32_e32 v22, 15, v22
	v_bfe_u32 v23, v14, 27, 4
	v_lshlrev_b32_sdwa v14, v25, v14 dst_sel:DWORD dst_unused:UNUSED_PAD src0_sel:DWORD src1_sel:BYTE_3
	v_sub_u32_e32 v24, 29, v24
	v_and_b32_e32 v14, 7, v14
	v_cmp_eq_u16_e32 vcc, 0, v22
	v_cndmask_b32_e32 v14, v20, v14, vcc
	v_cndmask_b32_e32 v20, v23, v24, vcc
	v_mov_b32_e32 v22, 0x3b800000
	v_lshlrev_b32_e32 v14, 20, v14
	v_lshl_add_u32 v20, v20, 23, v22
	v_or3_b32 v20, v21, v20, v14
.LBB13_28:
	s_or_b64 exec, exec, s[6:7]
	s_movk_i32 s4, 0x7f
	v_cmp_gt_i16_sdwa s[6:7], v10, s4 src0_sel:BYTE_3 src1_sel:DWORD
	s_mov_b64 s[4:5], 0
                                        ; implicit-def: $sgpr10
	s_and_saveexec_b64 s[8:9], s[6:7]
	s_xor_b64 s[6:7], exec, s[8:9]
	s_cbranch_execnz .LBB13_2077
; %bb.29:
	s_or_saveexec_b64 s[6:7], s[6:7]
	v_mov_b32_e32 v14, s10
	s_xor_b64 exec, exec, s[6:7]
	s_cbranch_execnz .LBB13_2080
.LBB13_30:
	s_or_b64 exec, exec, s[6:7]
	s_and_saveexec_b64 s[6:7], s[4:5]
	s_cbranch_execz .LBB13_32
.LBB13_31:
	v_bfe_u32 v14, v10, 24, 3
	v_ffbh_u32_e32 v24, v14
	v_min_u32_e32 v24, 32, v24
	v_lshrrev_b32_e32 v22, 27, v10
	v_subrev_u32_e32 v25, 28, v24
	v_and_b32_e32 v21, 0x80000000, v10
	v_and_b32_e32 v22, 15, v22
	v_bfe_u32 v23, v10, 27, 4
	v_lshlrev_b32_sdwa v10, v25, v10 dst_sel:DWORD dst_unused:UNUSED_PAD src0_sel:DWORD src1_sel:BYTE_3
	v_sub_u32_e32 v24, 29, v24
	v_and_b32_e32 v10, 7, v10
	v_cmp_eq_u16_e32 vcc, 0, v22
	v_cndmask_b32_e32 v10, v14, v10, vcc
	v_cndmask_b32_e32 v14, v23, v24, vcc
	v_mov_b32_e32 v22, 0x3b800000
	v_lshlrev_b32_e32 v10, 20, v10
	v_lshl_add_u32 v14, v14, 23, v22
	v_or3_b32 v14, v21, v14, v10
.LBB13_32:
	s_or_b64 exec, exec, s[6:7]
	s_nop 0
	v_mfma_f32_16x16x4f32 a[0:3], v20, v14, a[0:3]
	s_movk_i32 s4, 0x7f
	v_cmp_gt_i16_sdwa s[6:7], v15, s4 src0_sel:BYTE_0 src1_sel:DWORD
	s_mov_b64 s[4:5], 0
                                        ; implicit-def: $sgpr10
	s_and_saveexec_b64 s[8:9], s[6:7]
	s_xor_b64 s[6:7], exec, s[8:9]
	s_cbranch_execnz .LBB13_2081
; %bb.33:
	s_or_saveexec_b64 s[6:7], s[6:7]
	v_mov_b32_e32 v10, s10
	s_xor_b64 exec, exec, s[6:7]
	s_cbranch_execnz .LBB13_2084
.LBB13_34:
	s_or_b64 exec, exec, s[6:7]
	s_and_saveexec_b64 s[6:7], s[4:5]
	s_cbranch_execz .LBB13_36
.LBB13_35:
	v_and_b32_e32 v10, 7, v15
	v_ffbh_u32_e32 v20, v10
	v_min_u32_e32 v20, 32, v20
	v_lshrrev_b16_e32 v14, 3, v15
	v_subrev_u32_e32 v21, 28, v20
	v_and_b32_e32 v14, 15, v14
	v_lshlrev_b32_e32 v21, v21, v15
	v_sub_u32_e32 v20, 29, v20
	v_and_b32_e32 v21, 7, v21
	v_cmp_eq_u16_e32 vcc, 0, v14
	v_cndmask_b32_e32 v10, v10, v21, vcc
	v_cndmask_b32_e32 v14, v14, v20, vcc
	v_lshlrev_b32_e32 v20, 24, v15
	v_mov_b32_e32 v21, 0x3b800000
	v_lshlrev_b32_e32 v10, 20, v10
	v_and_b32_e32 v20, 0x80000000, v20
	v_lshl_add_u32 v14, v14, 23, v21
	v_or3_b32 v10, v20, v14, v10
.LBB13_36:
	s_or_b64 exec, exec, s[6:7]
	s_movk_i32 s4, 0x7f
	v_cmp_gt_i16_sdwa s[6:7], v11, s4 src0_sel:BYTE_0 src1_sel:DWORD
	s_mov_b64 s[4:5], 0
                                        ; implicit-def: $sgpr10
	s_and_saveexec_b64 s[8:9], s[6:7]
	s_xor_b64 s[6:7], exec, s[8:9]
	s_cbranch_execnz .LBB13_2085
; %bb.37:
	s_or_saveexec_b64 s[6:7], s[6:7]
	v_mov_b32_e32 v14, s10
	s_xor_b64 exec, exec, s[6:7]
	s_cbranch_execnz .LBB13_2088
.LBB13_38:
	s_or_b64 exec, exec, s[6:7]
	s_and_saveexec_b64 s[6:7], s[4:5]
	s_cbranch_execz .LBB13_40
.LBB13_39:
	v_and_b32_e32 v14, 7, v11
	v_ffbh_u32_e32 v21, v14
	v_min_u32_e32 v21, 32, v21
	v_lshrrev_b16_e32 v20, 3, v11
	v_subrev_u32_e32 v22, 28, v21
	v_and_b32_e32 v20, 15, v20
	v_lshlrev_b32_e32 v22, v22, v11
	v_sub_u32_e32 v21, 29, v21
	v_and_b32_e32 v22, 7, v22
	v_cmp_eq_u16_e32 vcc, 0, v20
	v_cndmask_b32_e32 v14, v14, v22, vcc
	v_cndmask_b32_e32 v20, v20, v21, vcc
	v_lshlrev_b32_e32 v21, 24, v11
	v_mov_b32_e32 v22, 0x3b800000
	v_lshlrev_b32_e32 v14, 20, v14
	v_and_b32_e32 v21, 0x80000000, v21
	v_lshl_add_u32 v20, v20, 23, v22
	v_or3_b32 v14, v21, v20, v14
.LBB13_40:
	s_or_b64 exec, exec, s[6:7]
	s_nop 0
	v_mfma_f32_16x16x4f32 a[0:3], v10, v14, a[0:3]
	v_lshrrev_b32_e32 v14, 8, v15
	s_movk_i32 s4, 0x7f
	v_cmp_gt_i16_sdwa s[6:7], v14, s4 src0_sel:BYTE_0 src1_sel:DWORD
	s_mov_b64 s[4:5], 0
                                        ; implicit-def: $sgpr10
	s_and_saveexec_b64 s[8:9], s[6:7]
	s_xor_b64 s[6:7], exec, s[8:9]
	s_cbranch_execnz .LBB13_2089
; %bb.41:
	s_or_saveexec_b64 s[6:7], s[6:7]
	v_mov_b32_e32 v10, s10
	s_xor_b64 exec, exec, s[6:7]
	s_cbranch_execnz .LBB13_2092
.LBB13_42:
	s_or_b64 exec, exec, s[6:7]
	s_and_saveexec_b64 s[6:7], s[4:5]
	s_cbranch_execz .LBB13_44
.LBB13_43:
	v_bfe_u32 v10, v15, 8, 3
	v_ffbh_u32_e32 v21, v10
	v_min_u32_e32 v21, 32, v21
	v_lshrrev_b16_e32 v20, 3, v14
	v_subrev_u32_e32 v22, 28, v21
	v_and_b32_e32 v20, 15, v20
	v_lshlrev_b32_e32 v14, v22, v14
	v_sub_u32_e32 v21, 29, v21
	v_and_b32_e32 v14, 7, v14
	v_cmp_eq_u16_e32 vcc, 0, v20
	v_cndmask_b32_e32 v10, v10, v14, vcc
	v_cndmask_b32_e32 v14, v20, v21, vcc
	v_lshlrev_b32_e32 v20, 16, v15
	v_mov_b32_e32 v21, 0x3b800000
	v_lshlrev_b32_e32 v10, 20, v10
	v_and_b32_e32 v20, 0x80000000, v20
	v_lshl_add_u32 v14, v14, 23, v21
	v_or3_b32 v10, v20, v14, v10
.LBB13_44:
	s_or_b64 exec, exec, s[6:7]
	v_lshrrev_b32_e32 v14, 8, v11
	s_movk_i32 s4, 0x7f
	v_cmp_gt_i16_sdwa s[6:7], v14, s4 src0_sel:BYTE_0 src1_sel:DWORD
	s_mov_b64 s[4:5], 0
                                        ; implicit-def: $sgpr10
	s_and_saveexec_b64 s[8:9], s[6:7]
	s_xor_b64 s[6:7], exec, s[8:9]
	s_cbranch_execnz .LBB13_2093
; %bb.45:
	s_or_saveexec_b64 s[6:7], s[6:7]
	v_mov_b32_e32 v20, s10
	s_xor_b64 exec, exec, s[6:7]
	s_cbranch_execnz .LBB13_2096
.LBB13_46:
	s_or_b64 exec, exec, s[6:7]
	s_and_saveexec_b64 s[6:7], s[4:5]
	s_cbranch_execz .LBB13_48
.LBB13_47:
	v_bfe_u32 v20, v11, 8, 3
	v_ffbh_u32_e32 v22, v20
	v_min_u32_e32 v22, 32, v22
	v_lshrrev_b16_e32 v21, 3, v14
	v_subrev_u32_e32 v23, 28, v22
	v_and_b32_e32 v21, 15, v21
	v_lshlrev_b32_e32 v14, v23, v14
	v_sub_u32_e32 v22, 29, v22
	v_and_b32_e32 v14, 7, v14
	v_cmp_eq_u16_e32 vcc, 0, v21
	v_cndmask_b32_e32 v14, v20, v14, vcc
	v_cndmask_b32_e32 v20, v21, v22, vcc
	v_lshlrev_b32_e32 v21, 16, v11
	v_mov_b32_e32 v22, 0x3b800000
	v_lshlrev_b32_e32 v14, 20, v14
	v_and_b32_e32 v21, 0x80000000, v21
	v_lshl_add_u32 v20, v20, 23, v22
	v_or3_b32 v20, v21, v20, v14
.LBB13_48:
	s_or_b64 exec, exec, s[6:7]
	s_nop 0
	v_mfma_f32_16x16x4f32 a[0:3], v10, v20, a[0:3]
	s_movk_i32 s4, 0xff
	v_and_b32_sdwa v14, v15, s4 dst_sel:DWORD dst_unused:UNUSED_PAD src0_sel:WORD_1 src1_sel:DWORD
	s_movk_i32 s4, 0x7f
	v_cmp_lt_i16_e32 vcc, s4, v14
	s_mov_b64 s[4:5], 0
                                        ; implicit-def: $sgpr10
	s_and_saveexec_b64 s[6:7], vcc
	s_xor_b64 s[6:7], exec, s[6:7]
	s_cbranch_execnz .LBB13_2097
; %bb.49:
	s_or_saveexec_b64 s[6:7], s[6:7]
	v_mov_b32_e32 v10, s10
	s_xor_b64 exec, exec, s[6:7]
	s_cbranch_execnz .LBB13_2100
.LBB13_50:
	s_or_b64 exec, exec, s[6:7]
	s_and_saveexec_b64 s[6:7], s[4:5]
	s_cbranch_execz .LBB13_52
.LBB13_51:
	v_bfe_u32 v10, v15, 16, 3
	v_ffbh_u32_e32 v21, v10
	v_min_u32_e32 v21, 32, v21
	v_lshrrev_b32_e32 v14, 19, v15
	v_subrev_u32_e32 v22, 28, v21
	v_and_b32_e32 v14, 15, v14
	v_lshlrev_b32_sdwa v22, v22, v15 dst_sel:DWORD dst_unused:UNUSED_PAD src0_sel:DWORD src1_sel:WORD_1
	v_bfe_u32 v20, v15, 19, 4
	v_sub_u32_e32 v21, 29, v21
	v_and_b32_e32 v22, 7, v22
	v_cmp_eq_u16_e32 vcc, 0, v14
	v_cndmask_b32_e32 v10, v10, v22, vcc
	v_cndmask_b32_e32 v14, v20, v21, vcc
	v_lshlrev_b32_e32 v20, 8, v15
	v_mov_b32_e32 v21, 0x3b800000
	v_lshlrev_b32_e32 v10, 20, v10
	v_and_b32_e32 v20, 0x80000000, v20
	v_lshl_add_u32 v14, v14, 23, v21
	v_or3_b32 v10, v20, v14, v10
.LBB13_52:
	s_or_b64 exec, exec, s[6:7]
	s_movk_i32 s4, 0xff
	v_and_b32_sdwa v14, v11, s4 dst_sel:DWORD dst_unused:UNUSED_PAD src0_sel:WORD_1 src1_sel:DWORD
	s_movk_i32 s4, 0x7f
	v_cmp_lt_i16_e32 vcc, s4, v14
	s_mov_b64 s[4:5], 0
                                        ; implicit-def: $sgpr10
	s_and_saveexec_b64 s[6:7], vcc
	s_xor_b64 s[6:7], exec, s[6:7]
	s_cbranch_execnz .LBB13_2101
; %bb.53:
	s_or_saveexec_b64 s[6:7], s[6:7]
	v_mov_b32_e32 v20, s10
	s_xor_b64 exec, exec, s[6:7]
	s_cbranch_execnz .LBB13_2104
.LBB13_54:
	s_or_b64 exec, exec, s[6:7]
	s_and_saveexec_b64 s[6:7], s[4:5]
	s_cbranch_execz .LBB13_56
.LBB13_55:
	v_bfe_u32 v14, v11, 16, 3
	v_ffbh_u32_e32 v22, v14
	v_min_u32_e32 v22, 32, v22
	v_lshrrev_b32_e32 v20, 19, v11
	v_subrev_u32_e32 v23, 28, v22
	v_and_b32_e32 v20, 15, v20
	v_lshlrev_b32_sdwa v23, v23, v11 dst_sel:DWORD dst_unused:UNUSED_PAD src0_sel:DWORD src1_sel:WORD_1
	v_bfe_u32 v21, v11, 19, 4
	v_sub_u32_e32 v22, 29, v22
	v_and_b32_e32 v23, 7, v23
	v_cmp_eq_u16_e32 vcc, 0, v20
	v_cndmask_b32_e32 v14, v14, v23, vcc
	v_cndmask_b32_e32 v20, v21, v22, vcc
	v_lshlrev_b32_e32 v21, 8, v11
	v_mov_b32_e32 v22, 0x3b800000
	v_lshlrev_b32_e32 v14, 20, v14
	v_and_b32_e32 v21, 0x80000000, v21
	v_lshl_add_u32 v20, v20, 23, v22
	v_or3_b32 v20, v21, v20, v14
.LBB13_56:
	s_or_b64 exec, exec, s[6:7]
	s_nop 0
	v_mfma_f32_16x16x4f32 a[0:3], v10, v20, a[0:3]
	s_movk_i32 s4, 0x7f
	v_cmp_gt_i16_sdwa s[6:7], v15, s4 src0_sel:BYTE_3 src1_sel:DWORD
	s_mov_b64 s[4:5], 0
                                        ; implicit-def: $sgpr10
	s_and_saveexec_b64 s[8:9], s[6:7]
	s_xor_b64 s[6:7], exec, s[8:9]
	s_cbranch_execnz .LBB13_2105
; %bb.57:
	s_or_saveexec_b64 s[6:7], s[6:7]
	v_mov_b32_e32 v10, s10
	s_xor_b64 exec, exec, s[6:7]
	s_cbranch_execnz .LBB13_2108
.LBB13_58:
	s_or_b64 exec, exec, s[6:7]
	s_and_saveexec_b64 s[6:7], s[4:5]
	s_cbranch_execz .LBB13_60
.LBB13_59:
	v_bfe_u32 v10, v15, 24, 3
	v_ffbh_u32_e32 v22, v10
	v_min_u32_e32 v22, 32, v22
	v_lshrrev_b32_e32 v20, 27, v15
	v_subrev_u32_e32 v23, 28, v22
	v_and_b32_e32 v14, 0x80000000, v15
	v_and_b32_e32 v20, 15, v20
	v_bfe_u32 v21, v15, 27, 4
	v_lshlrev_b32_sdwa v15, v23, v15 dst_sel:DWORD dst_unused:UNUSED_PAD src0_sel:DWORD src1_sel:BYTE_3
	v_sub_u32_e32 v22, 29, v22
	v_and_b32_e32 v15, 7, v15
	v_cmp_eq_u16_e32 vcc, 0, v20
	v_cndmask_b32_e32 v10, v10, v15, vcc
	v_cndmask_b32_e32 v15, v21, v22, vcc
	v_mov_b32_e32 v20, 0x3b800000
	v_lshlrev_b32_e32 v10, 20, v10
	v_lshl_add_u32 v15, v15, 23, v20
	v_or3_b32 v10, v14, v15, v10
.LBB13_60:
	s_or_b64 exec, exec, s[6:7]
	s_movk_i32 s4, 0x7f
	v_cmp_gt_i16_sdwa s[6:7], v11, s4 src0_sel:BYTE_3 src1_sel:DWORD
	s_mov_b64 s[4:5], 0
                                        ; implicit-def: $sgpr10
	s_and_saveexec_b64 s[8:9], s[6:7]
	s_xor_b64 s[6:7], exec, s[8:9]
	s_cbranch_execnz .LBB13_2109
; %bb.61:
	s_or_saveexec_b64 s[6:7], s[6:7]
	v_mov_b32_e32 v14, s10
	s_xor_b64 exec, exec, s[6:7]
	s_cbranch_execnz .LBB13_2112
.LBB13_62:
	s_or_b64 exec, exec, s[6:7]
	s_and_saveexec_b64 s[6:7], s[4:5]
	s_cbranch_execz .LBB13_64
.LBB13_63:
	v_bfe_u32 v14, v11, 24, 3
	v_ffbh_u32_e32 v22, v14
	v_min_u32_e32 v22, 32, v22
	v_lshrrev_b32_e32 v20, 27, v11
	v_subrev_u32_e32 v23, 28, v22
	v_and_b32_e32 v15, 0x80000000, v11
	v_and_b32_e32 v20, 15, v20
	v_bfe_u32 v21, v11, 27, 4
	v_lshlrev_b32_sdwa v11, v23, v11 dst_sel:DWORD dst_unused:UNUSED_PAD src0_sel:DWORD src1_sel:BYTE_3
	v_sub_u32_e32 v22, 29, v22
	v_and_b32_e32 v11, 7, v11
	v_cmp_eq_u16_e32 vcc, 0, v20
	v_cndmask_b32_e32 v11, v14, v11, vcc
	v_cndmask_b32_e32 v14, v21, v22, vcc
	v_mov_b32_e32 v20, 0x3b800000
	v_lshlrev_b32_e32 v11, 20, v11
	v_lshl_add_u32 v14, v14, 23, v20
	v_or3_b32 v14, v15, v14, v11
.LBB13_64:
	s_or_b64 exec, exec, s[6:7]
	s_nop 0
	v_mfma_f32_16x16x4f32 a[0:3], v10, v14, a[0:3]
	s_movk_i32 s4, 0x7f
	v_cmp_gt_i16_sdwa s[6:7], v16, s4 src0_sel:BYTE_0 src1_sel:DWORD
	s_mov_b64 s[4:5], 0
                                        ; implicit-def: $sgpr10
	s_and_saveexec_b64 s[8:9], s[6:7]
	s_xor_b64 s[6:7], exec, s[8:9]
	s_cbranch_execnz .LBB13_2113
; %bb.65:
	s_or_saveexec_b64 s[6:7], s[6:7]
	v_mov_b32_e32 v10, s10
	s_xor_b64 exec, exec, s[6:7]
	s_cbranch_execnz .LBB13_2116
.LBB13_66:
	s_or_b64 exec, exec, s[6:7]
	s_and_saveexec_b64 s[6:7], s[4:5]
	s_cbranch_execz .LBB13_68
.LBB13_67:
	v_and_b32_e32 v10, 7, v16
	v_ffbh_u32_e32 v14, v10
	v_min_u32_e32 v14, 32, v14
	v_lshrrev_b16_e32 v11, 3, v16
	v_subrev_u32_e32 v15, 28, v14
	v_and_b32_e32 v11, 15, v11
	v_lshlrev_b32_e32 v15, v15, v16
	v_sub_u32_e32 v14, 29, v14
	v_and_b32_e32 v15, 7, v15
	v_cmp_eq_u16_e32 vcc, 0, v11
	v_cndmask_b32_e32 v10, v10, v15, vcc
	v_cndmask_b32_e32 v11, v11, v14, vcc
	v_lshlrev_b32_e32 v14, 24, v16
	v_mov_b32_e32 v15, 0x3b800000
	v_lshlrev_b32_e32 v10, 20, v10
	v_and_b32_e32 v14, 0x80000000, v14
	v_lshl_add_u32 v11, v11, 23, v15
	v_or3_b32 v10, v14, v11, v10
.LBB13_68:
	s_or_b64 exec, exec, s[6:7]
	s_movk_i32 s4, 0x7f
	v_cmp_gt_i16_sdwa s[6:7], v12, s4 src0_sel:BYTE_0 src1_sel:DWORD
	s_mov_b64 s[4:5], 0
                                        ; implicit-def: $sgpr10
	s_and_saveexec_b64 s[8:9], s[6:7]
	s_xor_b64 s[6:7], exec, s[8:9]
	s_cbranch_execnz .LBB13_2117
; %bb.69:
	s_or_saveexec_b64 s[6:7], s[6:7]
	v_mov_b32_e32 v11, s10
	s_xor_b64 exec, exec, s[6:7]
	s_cbranch_execnz .LBB13_2120
.LBB13_70:
	s_or_b64 exec, exec, s[6:7]
	s_and_saveexec_b64 s[6:7], s[4:5]
	s_cbranch_execz .LBB13_72
.LBB13_71:
	v_and_b32_e32 v11, 7, v12
	v_ffbh_u32_e32 v15, v11
	v_min_u32_e32 v15, 32, v15
	v_lshrrev_b16_e32 v14, 3, v12
	v_subrev_u32_e32 v20, 28, v15
	v_and_b32_e32 v14, 15, v14
	v_lshlrev_b32_e32 v20, v20, v12
	v_sub_u32_e32 v15, 29, v15
	v_and_b32_e32 v20, 7, v20
	v_cmp_eq_u16_e32 vcc, 0, v14
	v_cndmask_b32_e32 v11, v11, v20, vcc
	v_cndmask_b32_e32 v14, v14, v15, vcc
	v_lshlrev_b32_e32 v15, 24, v12
	v_mov_b32_e32 v20, 0x3b800000
	v_lshlrev_b32_e32 v11, 20, v11
	v_and_b32_e32 v15, 0x80000000, v15
	v_lshl_add_u32 v14, v14, 23, v20
	v_or3_b32 v11, v15, v14, v11
.LBB13_72:
	s_or_b64 exec, exec, s[6:7]
	s_nop 0
	v_mfma_f32_16x16x4f32 a[0:3], v10, v11, a[0:3]
	v_lshrrev_b32_e32 v11, 8, v16
	s_movk_i32 s4, 0x7f
	v_cmp_gt_i16_sdwa s[6:7], v11, s4 src0_sel:BYTE_0 src1_sel:DWORD
	s_mov_b64 s[4:5], 0
                                        ; implicit-def: $sgpr10
	s_and_saveexec_b64 s[8:9], s[6:7]
	s_xor_b64 s[6:7], exec, s[8:9]
	s_cbranch_execnz .LBB13_2121
; %bb.73:
	s_or_saveexec_b64 s[6:7], s[6:7]
	v_mov_b32_e32 v10, s10
	s_xor_b64 exec, exec, s[6:7]
	s_cbranch_execnz .LBB13_2124
.LBB13_74:
	s_or_b64 exec, exec, s[6:7]
	s_and_saveexec_b64 s[6:7], s[4:5]
	s_cbranch_execz .LBB13_76
.LBB13_75:
	v_bfe_u32 v10, v16, 8, 3
	v_ffbh_u32_e32 v15, v10
	v_min_u32_e32 v15, 32, v15
	v_lshrrev_b16_e32 v14, 3, v11
	v_subrev_u32_e32 v20, 28, v15
	v_and_b32_e32 v14, 15, v14
	v_lshlrev_b32_e32 v11, v20, v11
	v_sub_u32_e32 v15, 29, v15
	v_and_b32_e32 v11, 7, v11
	v_cmp_eq_u16_e32 vcc, 0, v14
	v_cndmask_b32_e32 v10, v10, v11, vcc
	v_cndmask_b32_e32 v11, v14, v15, vcc
	v_lshlrev_b32_e32 v14, 16, v16
	v_mov_b32_e32 v15, 0x3b800000
	v_lshlrev_b32_e32 v10, 20, v10
	v_and_b32_e32 v14, 0x80000000, v14
	v_lshl_add_u32 v11, v11, 23, v15
	v_or3_b32 v10, v14, v11, v10
.LBB13_76:
	s_or_b64 exec, exec, s[6:7]
	v_lshrrev_b32_e32 v11, 8, v12
	s_movk_i32 s4, 0x7f
	v_cmp_gt_i16_sdwa s[6:7], v11, s4 src0_sel:BYTE_0 src1_sel:DWORD
	s_mov_b64 s[4:5], 0
                                        ; implicit-def: $sgpr10
	s_and_saveexec_b64 s[8:9], s[6:7]
	s_xor_b64 s[6:7], exec, s[8:9]
	s_cbranch_execnz .LBB13_2125
; %bb.77:
	s_or_saveexec_b64 s[6:7], s[6:7]
	v_mov_b32_e32 v14, s10
	s_xor_b64 exec, exec, s[6:7]
	s_cbranch_execnz .LBB13_2128
.LBB13_78:
	s_or_b64 exec, exec, s[6:7]
	s_and_saveexec_b64 s[6:7], s[4:5]
	s_cbranch_execz .LBB13_80
.LBB13_79:
	v_bfe_u32 v14, v12, 8, 3
	v_ffbh_u32_e32 v20, v14
	v_min_u32_e32 v20, 32, v20
	v_lshrrev_b16_e32 v15, 3, v11
	v_subrev_u32_e32 v21, 28, v20
	v_and_b32_e32 v15, 15, v15
	v_lshlrev_b32_e32 v11, v21, v11
	v_sub_u32_e32 v20, 29, v20
	v_and_b32_e32 v11, 7, v11
	v_cmp_eq_u16_e32 vcc, 0, v15
	v_cndmask_b32_e32 v11, v14, v11, vcc
	v_cndmask_b32_e32 v14, v15, v20, vcc
	v_lshlrev_b32_e32 v15, 16, v12
	v_mov_b32_e32 v20, 0x3b800000
	v_lshlrev_b32_e32 v11, 20, v11
	v_and_b32_e32 v15, 0x80000000, v15
	v_lshl_add_u32 v14, v14, 23, v20
	v_or3_b32 v14, v15, v14, v11
.LBB13_80:
	s_or_b64 exec, exec, s[6:7]
	s_nop 0
	v_mfma_f32_16x16x4f32 a[0:3], v10, v14, a[0:3]
	s_movk_i32 s4, 0xff
	v_and_b32_sdwa v11, v16, s4 dst_sel:DWORD dst_unused:UNUSED_PAD src0_sel:WORD_1 src1_sel:DWORD
	s_movk_i32 s4, 0x7f
	v_cmp_lt_i16_e32 vcc, s4, v11
	s_mov_b64 s[4:5], 0
                                        ; implicit-def: $sgpr10
	s_and_saveexec_b64 s[6:7], vcc
	s_xor_b64 s[6:7], exec, s[6:7]
	s_cbranch_execnz .LBB13_2129
; %bb.81:
	s_or_saveexec_b64 s[6:7], s[6:7]
	v_mov_b32_e32 v10, s10
	s_xor_b64 exec, exec, s[6:7]
	s_cbranch_execnz .LBB13_2132
.LBB13_82:
	s_or_b64 exec, exec, s[6:7]
	s_and_saveexec_b64 s[6:7], s[4:5]
	s_cbranch_execz .LBB13_84
.LBB13_83:
	v_bfe_u32 v10, v16, 16, 3
	v_ffbh_u32_e32 v15, v10
	v_min_u32_e32 v15, 32, v15
	v_lshrrev_b32_e32 v11, 19, v16
	v_subrev_u32_e32 v20, 28, v15
	v_and_b32_e32 v11, 15, v11
	v_lshlrev_b32_sdwa v20, v20, v16 dst_sel:DWORD dst_unused:UNUSED_PAD src0_sel:DWORD src1_sel:WORD_1
	v_bfe_u32 v14, v16, 19, 4
	v_sub_u32_e32 v15, 29, v15
	v_and_b32_e32 v20, 7, v20
	v_cmp_eq_u16_e32 vcc, 0, v11
	v_cndmask_b32_e32 v10, v10, v20, vcc
	v_cndmask_b32_e32 v11, v14, v15, vcc
	v_lshlrev_b32_e32 v14, 8, v16
	v_mov_b32_e32 v15, 0x3b800000
	v_lshlrev_b32_e32 v10, 20, v10
	v_and_b32_e32 v14, 0x80000000, v14
	v_lshl_add_u32 v11, v11, 23, v15
	v_or3_b32 v10, v14, v11, v10
.LBB13_84:
	s_or_b64 exec, exec, s[6:7]
	s_movk_i32 s4, 0xff
	v_and_b32_sdwa v11, v12, s4 dst_sel:DWORD dst_unused:UNUSED_PAD src0_sel:WORD_1 src1_sel:DWORD
	s_movk_i32 s4, 0x7f
	v_cmp_lt_i16_e32 vcc, s4, v11
	s_mov_b64 s[4:5], 0
                                        ; implicit-def: $sgpr10
	s_and_saveexec_b64 s[6:7], vcc
	s_xor_b64 s[6:7], exec, s[6:7]
	s_cbranch_execnz .LBB13_2133
; %bb.85:
	s_or_saveexec_b64 s[6:7], s[6:7]
	v_mov_b32_e32 v14, s10
	s_xor_b64 exec, exec, s[6:7]
	s_cbranch_execnz .LBB13_2136
.LBB13_86:
	s_or_b64 exec, exec, s[6:7]
	s_and_saveexec_b64 s[6:7], s[4:5]
	s_cbranch_execz .LBB13_88
.LBB13_87:
	v_bfe_u32 v11, v12, 16, 3
	v_ffbh_u32_e32 v20, v11
	v_min_u32_e32 v20, 32, v20
	v_lshrrev_b32_e32 v14, 19, v12
	v_subrev_u32_e32 v21, 28, v20
	v_and_b32_e32 v14, 15, v14
	v_lshlrev_b32_sdwa v21, v21, v12 dst_sel:DWORD dst_unused:UNUSED_PAD src0_sel:DWORD src1_sel:WORD_1
	v_bfe_u32 v15, v12, 19, 4
	v_sub_u32_e32 v20, 29, v20
	v_and_b32_e32 v21, 7, v21
	v_cmp_eq_u16_e32 vcc, 0, v14
	v_cndmask_b32_e32 v11, v11, v21, vcc
	v_cndmask_b32_e32 v14, v15, v20, vcc
	v_lshlrev_b32_e32 v15, 8, v12
	v_mov_b32_e32 v20, 0x3b800000
	v_lshlrev_b32_e32 v11, 20, v11
	v_and_b32_e32 v15, 0x80000000, v15
	v_lshl_add_u32 v14, v14, 23, v20
	v_or3_b32 v14, v15, v14, v11
.LBB13_88:
	s_or_b64 exec, exec, s[6:7]
	s_nop 0
	v_mfma_f32_16x16x4f32 a[0:3], v10, v14, a[0:3]
	s_movk_i32 s4, 0x7f
	v_cmp_gt_i16_sdwa s[6:7], v16, s4 src0_sel:BYTE_3 src1_sel:DWORD
	s_mov_b64 s[4:5], 0
                                        ; implicit-def: $sgpr10
	s_and_saveexec_b64 s[8:9], s[6:7]
	s_xor_b64 s[6:7], exec, s[8:9]
	s_cbranch_execnz .LBB13_2137
; %bb.89:
	s_or_saveexec_b64 s[6:7], s[6:7]
	v_mov_b32_e32 v10, s10
	s_xor_b64 exec, exec, s[6:7]
	s_cbranch_execnz .LBB13_2140
.LBB13_90:
	s_or_b64 exec, exec, s[6:7]
	s_and_saveexec_b64 s[6:7], s[4:5]
	s_cbranch_execz .LBB13_92
.LBB13_91:
	v_bfe_u32 v10, v16, 24, 3
	v_ffbh_u32_e32 v20, v10
	v_min_u32_e32 v20, 32, v20
	v_lshrrev_b32_e32 v14, 27, v16
	v_subrev_u32_e32 v21, 28, v20
	v_and_b32_e32 v11, 0x80000000, v16
	v_and_b32_e32 v14, 15, v14
	v_bfe_u32 v15, v16, 27, 4
	v_lshlrev_b32_sdwa v16, v21, v16 dst_sel:DWORD dst_unused:UNUSED_PAD src0_sel:DWORD src1_sel:BYTE_3
	v_sub_u32_e32 v20, 29, v20
	v_and_b32_e32 v16, 7, v16
	v_cmp_eq_u16_e32 vcc, 0, v14
	v_cndmask_b32_e32 v10, v10, v16, vcc
	v_cndmask_b32_e32 v14, v15, v20, vcc
	v_mov_b32_e32 v15, 0x3b800000
	v_lshlrev_b32_e32 v10, 20, v10
	v_lshl_add_u32 v14, v14, 23, v15
	v_or3_b32 v10, v11, v14, v10
.LBB13_92:
	s_or_b64 exec, exec, s[6:7]
	s_movk_i32 s4, 0x7f
	v_cmp_gt_i16_sdwa s[6:7], v12, s4 src0_sel:BYTE_3 src1_sel:DWORD
	s_mov_b64 s[4:5], 0
                                        ; implicit-def: $sgpr10
	s_and_saveexec_b64 s[8:9], s[6:7]
	s_xor_b64 s[6:7], exec, s[8:9]
	s_cbranch_execnz .LBB13_2141
; %bb.93:
	s_or_saveexec_b64 s[6:7], s[6:7]
	v_mov_b32_e32 v11, s10
	s_xor_b64 exec, exec, s[6:7]
	s_cbranch_execnz .LBB13_2144
.LBB13_94:
	s_or_b64 exec, exec, s[6:7]
	s_and_saveexec_b64 s[6:7], s[4:5]
	s_cbranch_execz .LBB13_96
.LBB13_95:
	v_bfe_u32 v11, v12, 24, 3
	v_ffbh_u32_e32 v20, v11
	v_min_u32_e32 v20, 32, v20
	v_lshrrev_b32_e32 v15, 27, v12
	v_subrev_u32_e32 v21, 28, v20
	v_and_b32_e32 v14, 0x80000000, v12
	v_and_b32_e32 v15, 15, v15
	v_bfe_u32 v16, v12, 27, 4
	v_lshlrev_b32_sdwa v12, v21, v12 dst_sel:DWORD dst_unused:UNUSED_PAD src0_sel:DWORD src1_sel:BYTE_3
	v_sub_u32_e32 v20, 29, v20
	v_and_b32_e32 v12, 7, v12
	v_cmp_eq_u16_e32 vcc, 0, v15
	v_cndmask_b32_e32 v11, v11, v12, vcc
	v_cndmask_b32_e32 v12, v16, v20, vcc
	v_mov_b32_e32 v15, 0x3b800000
	v_lshlrev_b32_e32 v11, 20, v11
	v_lshl_add_u32 v12, v12, 23, v15
	v_or3_b32 v11, v14, v12, v11
.LBB13_96:
	s_or_b64 exec, exec, s[6:7]
	s_nop 0
	v_mfma_f32_16x16x4f32 a[0:3], v10, v11, a[0:3]
	s_movk_i32 s4, 0x7f
	v_cmp_gt_i16_sdwa s[6:7], v17, s4 src0_sel:BYTE_0 src1_sel:DWORD
	s_mov_b64 s[4:5], 0
                                        ; implicit-def: $sgpr10
	s_and_saveexec_b64 s[8:9], s[6:7]
	s_xor_b64 s[6:7], exec, s[8:9]
	s_cbranch_execnz .LBB13_2145
; %bb.97:
	s_or_saveexec_b64 s[6:7], s[6:7]
	v_mov_b32_e32 v10, s10
	s_xor_b64 exec, exec, s[6:7]
	s_cbranch_execnz .LBB13_2148
.LBB13_98:
	s_or_b64 exec, exec, s[6:7]
	s_and_saveexec_b64 s[6:7], s[4:5]
	s_cbranch_execz .LBB13_100
.LBB13_99:
	v_and_b32_e32 v10, 7, v17
	v_ffbh_u32_e32 v12, v10
	v_min_u32_e32 v12, 32, v12
	v_lshrrev_b16_e32 v11, 3, v17
	v_subrev_u32_e32 v14, 28, v12
	v_and_b32_e32 v11, 15, v11
	v_lshlrev_b32_e32 v14, v14, v17
	v_sub_u32_e32 v12, 29, v12
	v_and_b32_e32 v14, 7, v14
	v_cmp_eq_u16_e32 vcc, 0, v11
	v_cndmask_b32_e32 v10, v10, v14, vcc
	v_cndmask_b32_e32 v11, v11, v12, vcc
	v_lshlrev_b32_e32 v12, 24, v17
	v_mov_b32_e32 v14, 0x3b800000
	v_lshlrev_b32_e32 v10, 20, v10
	v_and_b32_e32 v12, 0x80000000, v12
	v_lshl_add_u32 v11, v11, 23, v14
	v_or3_b32 v10, v12, v11, v10
.LBB13_100:
	s_or_b64 exec, exec, s[6:7]
	s_movk_i32 s4, 0x7f
	v_cmp_gt_i16_sdwa s[6:7], v13, s4 src0_sel:BYTE_0 src1_sel:DWORD
	s_mov_b64 s[4:5], 0
                                        ; implicit-def: $sgpr10
	s_and_saveexec_b64 s[8:9], s[6:7]
	s_xor_b64 s[6:7], exec, s[8:9]
	s_cbranch_execnz .LBB13_2149
; %bb.101:
	s_or_saveexec_b64 s[6:7], s[6:7]
	v_mov_b32_e32 v11, s10
	s_xor_b64 exec, exec, s[6:7]
	s_cbranch_execnz .LBB13_2152
.LBB13_102:
	s_or_b64 exec, exec, s[6:7]
	s_and_saveexec_b64 s[6:7], s[4:5]
	s_cbranch_execz .LBB13_104
.LBB13_103:
	v_and_b32_e32 v11, 7, v13
	v_ffbh_u32_e32 v14, v11
	v_min_u32_e32 v14, 32, v14
	v_lshrrev_b16_e32 v12, 3, v13
	v_subrev_u32_e32 v15, 28, v14
	v_and_b32_e32 v12, 15, v12
	v_lshlrev_b32_e32 v15, v15, v13
	v_sub_u32_e32 v14, 29, v14
	v_and_b32_e32 v15, 7, v15
	v_cmp_eq_u16_e32 vcc, 0, v12
	v_cndmask_b32_e32 v11, v11, v15, vcc
	v_cndmask_b32_e32 v12, v12, v14, vcc
	v_lshlrev_b32_e32 v14, 24, v13
	v_mov_b32_e32 v15, 0x3b800000
	v_lshlrev_b32_e32 v11, 20, v11
	v_and_b32_e32 v14, 0x80000000, v14
	v_lshl_add_u32 v12, v12, 23, v15
	v_or3_b32 v11, v14, v12, v11
.LBB13_104:
	s_or_b64 exec, exec, s[6:7]
	s_nop 0
	v_mfma_f32_16x16x4f32 a[0:3], v10, v11, a[0:3]
	v_lshrrev_b32_e32 v11, 8, v17
	s_movk_i32 s4, 0x7f
	v_cmp_gt_i16_sdwa s[6:7], v11, s4 src0_sel:BYTE_0 src1_sel:DWORD
	s_mov_b64 s[4:5], 0
                                        ; implicit-def: $sgpr10
	s_and_saveexec_b64 s[8:9], s[6:7]
	s_xor_b64 s[6:7], exec, s[8:9]
	s_cbranch_execnz .LBB13_2153
; %bb.105:
	s_or_saveexec_b64 s[6:7], s[6:7]
	v_mov_b32_e32 v10, s10
	s_xor_b64 exec, exec, s[6:7]
	s_cbranch_execnz .LBB13_2156
.LBB13_106:
	s_or_b64 exec, exec, s[6:7]
	s_and_saveexec_b64 s[6:7], s[4:5]
	s_cbranch_execz .LBB13_108
.LBB13_107:
	v_bfe_u32 v10, v17, 8, 3
	v_ffbh_u32_e32 v14, v10
	v_min_u32_e32 v14, 32, v14
	v_lshrrev_b16_e32 v12, 3, v11
	v_subrev_u32_e32 v15, 28, v14
	v_and_b32_e32 v12, 15, v12
	v_lshlrev_b32_e32 v11, v15, v11
	v_sub_u32_e32 v14, 29, v14
	v_and_b32_e32 v11, 7, v11
	v_cmp_eq_u16_e32 vcc, 0, v12
	v_cndmask_b32_e32 v10, v10, v11, vcc
	v_cndmask_b32_e32 v11, v12, v14, vcc
	v_lshlrev_b32_e32 v12, 16, v17
	v_mov_b32_e32 v14, 0x3b800000
	v_lshlrev_b32_e32 v10, 20, v10
	v_and_b32_e32 v12, 0x80000000, v12
	v_lshl_add_u32 v11, v11, 23, v14
	v_or3_b32 v10, v12, v11, v10
.LBB13_108:
	s_or_b64 exec, exec, s[6:7]
	v_lshrrev_b32_e32 v11, 8, v13
	s_movk_i32 s4, 0x7f
	v_cmp_gt_i16_sdwa s[6:7], v11, s4 src0_sel:BYTE_0 src1_sel:DWORD
	s_mov_b64 s[4:5], 0
                                        ; implicit-def: $sgpr10
	s_and_saveexec_b64 s[8:9], s[6:7]
	s_xor_b64 s[6:7], exec, s[8:9]
	s_cbranch_execnz .LBB13_2157
; %bb.109:
	s_or_saveexec_b64 s[6:7], s[6:7]
	v_mov_b32_e32 v12, s10
	s_xor_b64 exec, exec, s[6:7]
	s_cbranch_execnz .LBB13_2160
.LBB13_110:
	s_or_b64 exec, exec, s[6:7]
	s_and_saveexec_b64 s[6:7], s[4:5]
	s_cbranch_execz .LBB13_112
.LBB13_111:
	v_bfe_u32 v12, v13, 8, 3
	v_ffbh_u32_e32 v15, v12
	v_min_u32_e32 v15, 32, v15
	v_lshrrev_b16_e32 v14, 3, v11
	v_subrev_u32_e32 v16, 28, v15
	v_and_b32_e32 v14, 15, v14
	v_lshlrev_b32_e32 v11, v16, v11
	v_sub_u32_e32 v15, 29, v15
	v_and_b32_e32 v11, 7, v11
	v_cmp_eq_u16_e32 vcc, 0, v14
	v_cndmask_b32_e32 v11, v12, v11, vcc
	v_cndmask_b32_e32 v12, v14, v15, vcc
	v_lshlrev_b32_e32 v14, 16, v13
	v_mov_b32_e32 v15, 0x3b800000
	v_lshlrev_b32_e32 v11, 20, v11
	v_and_b32_e32 v14, 0x80000000, v14
	v_lshl_add_u32 v12, v12, 23, v15
	v_or3_b32 v12, v14, v12, v11
.LBB13_112:
	s_or_b64 exec, exec, s[6:7]
	s_nop 0
	v_mfma_f32_16x16x4f32 a[0:3], v10, v12, a[0:3]
	s_movk_i32 s4, 0xff
	v_and_b32_sdwa v11, v17, s4 dst_sel:DWORD dst_unused:UNUSED_PAD src0_sel:WORD_1 src1_sel:DWORD
	s_movk_i32 s4, 0x7f
	v_cmp_lt_i16_e32 vcc, s4, v11
	s_mov_b64 s[4:5], 0
                                        ; implicit-def: $sgpr10
	s_and_saveexec_b64 s[6:7], vcc
	s_xor_b64 s[6:7], exec, s[6:7]
	s_cbranch_execnz .LBB13_2161
; %bb.113:
	s_or_saveexec_b64 s[6:7], s[6:7]
	v_mov_b32_e32 v10, s10
	s_xor_b64 exec, exec, s[6:7]
	s_cbranch_execnz .LBB13_2164
.LBB13_114:
	s_or_b64 exec, exec, s[6:7]
	s_and_saveexec_b64 s[6:7], s[4:5]
	s_cbranch_execz .LBB13_116
.LBB13_115:
	v_bfe_u32 v10, v17, 16, 3
	v_ffbh_u32_e32 v14, v10
	v_min_u32_e32 v14, 32, v14
	v_lshrrev_b32_e32 v11, 19, v17
	v_subrev_u32_e32 v15, 28, v14
	v_and_b32_e32 v11, 15, v11
	v_lshlrev_b32_sdwa v15, v15, v17 dst_sel:DWORD dst_unused:UNUSED_PAD src0_sel:DWORD src1_sel:WORD_1
	v_bfe_u32 v12, v17, 19, 4
	v_sub_u32_e32 v14, 29, v14
	v_and_b32_e32 v15, 7, v15
	v_cmp_eq_u16_e32 vcc, 0, v11
	v_cndmask_b32_e32 v10, v10, v15, vcc
	v_cndmask_b32_e32 v11, v12, v14, vcc
	v_lshlrev_b32_e32 v12, 8, v17
	v_mov_b32_e32 v14, 0x3b800000
	v_lshlrev_b32_e32 v10, 20, v10
	v_and_b32_e32 v12, 0x80000000, v12
	v_lshl_add_u32 v11, v11, 23, v14
	v_or3_b32 v10, v12, v11, v10
.LBB13_116:
	s_or_b64 exec, exec, s[6:7]
	s_movk_i32 s4, 0xff
	v_and_b32_sdwa v11, v13, s4 dst_sel:DWORD dst_unused:UNUSED_PAD src0_sel:WORD_1 src1_sel:DWORD
	s_movk_i32 s4, 0x7f
	v_cmp_lt_i16_e32 vcc, s4, v11
	s_mov_b64 s[4:5], 0
                                        ; implicit-def: $sgpr10
	s_and_saveexec_b64 s[6:7], vcc
	s_xor_b64 s[6:7], exec, s[6:7]
	s_cbranch_execnz .LBB13_2165
; %bb.117:
	s_or_saveexec_b64 s[6:7], s[6:7]
	v_mov_b32_e32 v12, s10
	s_xor_b64 exec, exec, s[6:7]
	s_cbranch_execnz .LBB13_2168
.LBB13_118:
	s_or_b64 exec, exec, s[6:7]
	s_and_saveexec_b64 s[6:7], s[4:5]
	s_cbranch_execz .LBB13_120
.LBB13_119:
	v_bfe_u32 v11, v13, 16, 3
	v_ffbh_u32_e32 v15, v11
	v_min_u32_e32 v15, 32, v15
	v_lshrrev_b32_e32 v12, 19, v13
	v_subrev_u32_e32 v16, 28, v15
	v_and_b32_e32 v12, 15, v12
	v_lshlrev_b32_sdwa v16, v16, v13 dst_sel:DWORD dst_unused:UNUSED_PAD src0_sel:DWORD src1_sel:WORD_1
	v_bfe_u32 v14, v13, 19, 4
	v_sub_u32_e32 v15, 29, v15
	v_and_b32_e32 v16, 7, v16
	v_cmp_eq_u16_e32 vcc, 0, v12
	v_cndmask_b32_e32 v11, v11, v16, vcc
	v_cndmask_b32_e32 v12, v14, v15, vcc
	v_lshlrev_b32_e32 v14, 8, v13
	v_mov_b32_e32 v15, 0x3b800000
	v_lshlrev_b32_e32 v11, 20, v11
	v_and_b32_e32 v14, 0x80000000, v14
	v_lshl_add_u32 v12, v12, 23, v15
	v_or3_b32 v12, v14, v12, v11
.LBB13_120:
	s_or_b64 exec, exec, s[6:7]
	s_nop 0
	v_mfma_f32_16x16x4f32 a[0:3], v10, v12, a[0:3]
	s_movk_i32 s4, 0x7f
	v_cmp_gt_i16_sdwa s[6:7], v17, s4 src0_sel:BYTE_3 src1_sel:DWORD
	s_mov_b64 s[4:5], 0
                                        ; implicit-def: $sgpr10
	s_and_saveexec_b64 s[8:9], s[6:7]
	s_xor_b64 s[6:7], exec, s[8:9]
	s_cbranch_execnz .LBB13_2169
; %bb.121:
	s_or_saveexec_b64 s[6:7], s[6:7]
	v_mov_b32_e32 v10, s10
	s_xor_b64 exec, exec, s[6:7]
	s_cbranch_execnz .LBB13_2172
.LBB13_122:
	s_or_b64 exec, exec, s[6:7]
	s_and_saveexec_b64 s[6:7], s[4:5]
	s_cbranch_execz .LBB13_124
.LBB13_123:
	v_bfe_u32 v10, v17, 24, 3
	v_ffbh_u32_e32 v15, v10
	v_min_u32_e32 v15, 32, v15
	v_lshrrev_b32_e32 v12, 27, v17
	v_subrev_u32_e32 v16, 28, v15
	v_and_b32_e32 v12, 15, v12
	v_lshlrev_b32_sdwa v16, v16, v17 dst_sel:DWORD dst_unused:UNUSED_PAD src0_sel:DWORD src1_sel:BYTE_3
	v_bfe_u32 v14, v17, 27, 4
	v_sub_u32_e32 v15, 29, v15
	v_and_b32_e32 v16, 7, v16
	v_cmp_eq_u16_e32 vcc, 0, v12
	v_cndmask_b32_e32 v10, v10, v16, vcc
	v_cndmask_b32_e32 v12, v14, v15, vcc
	v_mov_b32_e32 v14, 0x3b800000
	v_and_b32_e32 v11, 0x80000000, v17
	v_lshlrev_b32_e32 v10, 20, v10
	v_lshl_add_u32 v12, v12, 23, v14
	v_or3_b32 v10, v11, v12, v10
.LBB13_124:
	s_or_b64 exec, exec, s[6:7]
	s_movk_i32 s4, 0x7f
	v_cmp_gt_i16_sdwa s[6:7], v13, s4 src0_sel:BYTE_3 src1_sel:DWORD
	s_mov_b64 s[4:5], 0
                                        ; implicit-def: $sgpr10
	s_and_saveexec_b64 s[8:9], s[6:7]
	s_xor_b64 s[6:7], exec, s[8:9]
	s_cbranch_execnz .LBB13_2173
; %bb.125:
	s_or_saveexec_b64 s[6:7], s[6:7]
	v_mov_b32_e32 v11, s10
	s_xor_b64 exec, exec, s[6:7]
	s_cbranch_execnz .LBB13_2176
.LBB13_126:
	s_or_b64 exec, exec, s[6:7]
	s_and_saveexec_b64 s[6:7], s[4:5]
	s_cbranch_execz .LBB13_128
.LBB13_127:
	v_bfe_u32 v11, v13, 24, 3
	v_ffbh_u32_e32 v16, v11
	v_min_u32_e32 v16, 32, v16
	v_lshrrev_b32_e32 v14, 27, v13
	v_subrev_u32_e32 v17, 28, v16
	v_and_b32_e32 v12, 0x80000000, v13
	v_and_b32_e32 v14, 15, v14
	v_bfe_u32 v15, v13, 27, 4
	v_lshlrev_b32_sdwa v13, v17, v13 dst_sel:DWORD dst_unused:UNUSED_PAD src0_sel:DWORD src1_sel:BYTE_3
	v_sub_u32_e32 v16, 29, v16
	v_and_b32_e32 v13, 7, v13
	v_cmp_eq_u16_e32 vcc, 0, v14
	v_cndmask_b32_e32 v11, v11, v13, vcc
	v_cndmask_b32_e32 v13, v15, v16, vcc
	v_mov_b32_e32 v14, 0x3b800000
	v_lshlrev_b32_e32 v11, 20, v11
	v_lshl_add_u32 v13, v13, 23, v14
	v_or3_b32 v11, v12, v13, v11
.LBB13_128:
	s_or_b64 exec, exec, s[6:7]
	s_nop 0
	v_mfma_f32_16x16x4f32 a[0:3], v10, v11, a[0:3]
	s_movk_i32 s4, 0x7f
	v_cmp_gt_i16_sdwa s[6:7], v6, s4 src0_sel:BYTE_0 src1_sel:DWORD
	s_mov_b64 s[4:5], 0
                                        ; implicit-def: $sgpr10
	s_and_saveexec_b64 s[8:9], s[6:7]
	s_xor_b64 s[6:7], exec, s[8:9]
	s_cbranch_execnz .LBB13_2177
; %bb.129:
	s_or_saveexec_b64 s[6:7], s[6:7]
	v_mov_b32_e32 v10, s10
	s_xor_b64 exec, exec, s[6:7]
	s_cbranch_execnz .LBB13_2180
.LBB13_130:
	s_or_b64 exec, exec, s[6:7]
	s_and_saveexec_b64 s[6:7], s[4:5]
	s_cbranch_execz .LBB13_132
.LBB13_131:
	v_and_b32_e32 v10, 7, v6
	v_ffbh_u32_e32 v12, v10
	v_min_u32_e32 v12, 32, v12
	v_lshrrev_b16_e32 v11, 3, v6
	v_subrev_u32_e32 v13, 28, v12
	v_and_b32_e32 v11, 15, v11
	v_lshlrev_b32_e32 v13, v13, v6
	v_sub_u32_e32 v12, 29, v12
	v_and_b32_e32 v13, 7, v13
	v_cmp_eq_u16_e32 vcc, 0, v11
	v_cndmask_b32_e32 v10, v10, v13, vcc
	v_cndmask_b32_e32 v11, v11, v12, vcc
	v_lshlrev_b32_e32 v12, 24, v6
	v_mov_b32_e32 v13, 0x3b800000
	v_lshlrev_b32_e32 v10, 20, v10
	v_and_b32_e32 v12, 0x80000000, v12
	v_lshl_add_u32 v11, v11, 23, v13
	v_or3_b32 v10, v12, v11, v10
.LBB13_132:
	s_or_b64 exec, exec, s[6:7]
	s_movk_i32 s4, 0x7f
	v_cmp_gt_i16_sdwa s[6:7], v2, s4 src0_sel:BYTE_0 src1_sel:DWORD
	s_mov_b64 s[4:5], 0
                                        ; implicit-def: $sgpr10
	s_and_saveexec_b64 s[8:9], s[6:7]
	s_xor_b64 s[6:7], exec, s[8:9]
	s_cbranch_execnz .LBB13_2181
; %bb.133:
	s_or_saveexec_b64 s[6:7], s[6:7]
	v_mov_b32_e32 v11, s10
	s_xor_b64 exec, exec, s[6:7]
	s_cbranch_execnz .LBB13_2184
.LBB13_134:
	s_or_b64 exec, exec, s[6:7]
	s_and_saveexec_b64 s[6:7], s[4:5]
	s_cbranch_execz .LBB13_136
.LBB13_135:
	v_and_b32_e32 v11, 7, v2
	v_ffbh_u32_e32 v13, v11
	v_min_u32_e32 v13, 32, v13
	v_lshrrev_b16_e32 v12, 3, v2
	v_subrev_u32_e32 v14, 28, v13
	v_and_b32_e32 v12, 15, v12
	v_lshlrev_b32_e32 v14, v14, v2
	v_sub_u32_e32 v13, 29, v13
	v_and_b32_e32 v14, 7, v14
	v_cmp_eq_u16_e32 vcc, 0, v12
	v_cndmask_b32_e32 v11, v11, v14, vcc
	v_cndmask_b32_e32 v12, v12, v13, vcc
	v_lshlrev_b32_e32 v13, 24, v2
	v_mov_b32_e32 v14, 0x3b800000
	v_lshlrev_b32_e32 v11, 20, v11
	v_and_b32_e32 v13, 0x80000000, v13
	v_lshl_add_u32 v12, v12, 23, v14
	v_or3_b32 v11, v13, v12, v11
.LBB13_136:
	s_or_b64 exec, exec, s[6:7]
	s_nop 0
	v_mfma_f32_16x16x4f32 a[0:3], v10, v11, a[0:3]
	v_lshrrev_b32_e32 v11, 8, v6
	s_movk_i32 s4, 0x7f
	v_cmp_gt_i16_sdwa s[6:7], v11, s4 src0_sel:BYTE_0 src1_sel:DWORD
	s_mov_b64 s[4:5], 0
                                        ; implicit-def: $sgpr10
	s_and_saveexec_b64 s[8:9], s[6:7]
	s_xor_b64 s[6:7], exec, s[8:9]
	s_cbranch_execnz .LBB13_2185
; %bb.137:
	s_or_saveexec_b64 s[6:7], s[6:7]
	v_mov_b32_e32 v10, s10
	s_xor_b64 exec, exec, s[6:7]
	s_cbranch_execnz .LBB13_2188
.LBB13_138:
	s_or_b64 exec, exec, s[6:7]
	s_and_saveexec_b64 s[6:7], s[4:5]
	s_cbranch_execz .LBB13_140
.LBB13_139:
	v_bfe_u32 v10, v6, 8, 3
	v_ffbh_u32_e32 v13, v10
	v_min_u32_e32 v13, 32, v13
	v_lshrrev_b16_e32 v12, 3, v11
	v_subrev_u32_e32 v14, 28, v13
	v_and_b32_e32 v12, 15, v12
	v_lshlrev_b32_e32 v11, v14, v11
	v_sub_u32_e32 v13, 29, v13
	v_and_b32_e32 v11, 7, v11
	v_cmp_eq_u16_e32 vcc, 0, v12
	v_cndmask_b32_e32 v10, v10, v11, vcc
	v_cndmask_b32_e32 v11, v12, v13, vcc
	v_lshlrev_b32_e32 v12, 16, v6
	v_mov_b32_e32 v13, 0x3b800000
	v_lshlrev_b32_e32 v10, 20, v10
	v_and_b32_e32 v12, 0x80000000, v12
	v_lshl_add_u32 v11, v11, 23, v13
	v_or3_b32 v10, v12, v11, v10
.LBB13_140:
	s_or_b64 exec, exec, s[6:7]
	v_lshrrev_b32_e32 v11, 8, v2
	s_movk_i32 s4, 0x7f
	v_cmp_gt_i16_sdwa s[6:7], v11, s4 src0_sel:BYTE_0 src1_sel:DWORD
	s_mov_b64 s[4:5], 0
                                        ; implicit-def: $sgpr10
	s_and_saveexec_b64 s[8:9], s[6:7]
	s_xor_b64 s[6:7], exec, s[8:9]
	s_cbranch_execnz .LBB13_2189
; %bb.141:
	s_or_saveexec_b64 s[6:7], s[6:7]
	v_mov_b32_e32 v12, s10
	s_xor_b64 exec, exec, s[6:7]
	s_cbranch_execnz .LBB13_2192
.LBB13_142:
	s_or_b64 exec, exec, s[6:7]
	s_and_saveexec_b64 s[6:7], s[4:5]
	s_cbranch_execz .LBB13_144
.LBB13_143:
	v_bfe_u32 v12, v2, 8, 3
	v_ffbh_u32_e32 v14, v12
	v_min_u32_e32 v14, 32, v14
	v_lshrrev_b16_e32 v13, 3, v11
	v_subrev_u32_e32 v15, 28, v14
	v_and_b32_e32 v13, 15, v13
	v_lshlrev_b32_e32 v11, v15, v11
	v_sub_u32_e32 v14, 29, v14
	v_and_b32_e32 v11, 7, v11
	v_cmp_eq_u16_e32 vcc, 0, v13
	v_cndmask_b32_e32 v11, v12, v11, vcc
	v_cndmask_b32_e32 v12, v13, v14, vcc
	v_lshlrev_b32_e32 v13, 16, v2
	v_mov_b32_e32 v14, 0x3b800000
	v_lshlrev_b32_e32 v11, 20, v11
	v_and_b32_e32 v13, 0x80000000, v13
	v_lshl_add_u32 v12, v12, 23, v14
	v_or3_b32 v12, v13, v12, v11
.LBB13_144:
	s_or_b64 exec, exec, s[6:7]
	s_nop 0
	v_mfma_f32_16x16x4f32 a[0:3], v10, v12, a[0:3]
	s_movk_i32 s4, 0xff
	v_and_b32_sdwa v11, v6, s4 dst_sel:DWORD dst_unused:UNUSED_PAD src0_sel:WORD_1 src1_sel:DWORD
	s_movk_i32 s4, 0x7f
	v_cmp_lt_i16_e32 vcc, s4, v11
	s_mov_b64 s[4:5], 0
                                        ; implicit-def: $sgpr10
	s_and_saveexec_b64 s[6:7], vcc
	s_xor_b64 s[6:7], exec, s[6:7]
	s_cbranch_execnz .LBB13_2193
; %bb.145:
	s_or_saveexec_b64 s[6:7], s[6:7]
	v_mov_b32_e32 v10, s10
	s_xor_b64 exec, exec, s[6:7]
	s_cbranch_execnz .LBB13_2196
.LBB13_146:
	s_or_b64 exec, exec, s[6:7]
	s_and_saveexec_b64 s[6:7], s[4:5]
	s_cbranch_execz .LBB13_148
.LBB13_147:
	v_bfe_u32 v10, v6, 16, 3
	v_ffbh_u32_e32 v13, v10
	v_min_u32_e32 v13, 32, v13
	v_lshrrev_b32_e32 v11, 19, v6
	v_subrev_u32_e32 v14, 28, v13
	v_and_b32_e32 v11, 15, v11
	v_lshlrev_b32_sdwa v14, v14, v6 dst_sel:DWORD dst_unused:UNUSED_PAD src0_sel:DWORD src1_sel:WORD_1
	v_bfe_u32 v12, v6, 19, 4
	v_sub_u32_e32 v13, 29, v13
	v_and_b32_e32 v14, 7, v14
	v_cmp_eq_u16_e32 vcc, 0, v11
	v_cndmask_b32_e32 v10, v10, v14, vcc
	v_cndmask_b32_e32 v11, v12, v13, vcc
	v_lshlrev_b32_e32 v12, 8, v6
	v_mov_b32_e32 v13, 0x3b800000
	v_lshlrev_b32_e32 v10, 20, v10
	v_and_b32_e32 v12, 0x80000000, v12
	v_lshl_add_u32 v11, v11, 23, v13
	v_or3_b32 v10, v12, v11, v10
.LBB13_148:
	s_or_b64 exec, exec, s[6:7]
	s_movk_i32 s4, 0xff
	v_and_b32_sdwa v11, v2, s4 dst_sel:DWORD dst_unused:UNUSED_PAD src0_sel:WORD_1 src1_sel:DWORD
	s_movk_i32 s4, 0x7f
	v_cmp_lt_i16_e32 vcc, s4, v11
	s_mov_b64 s[4:5], 0
                                        ; implicit-def: $sgpr10
	s_and_saveexec_b64 s[6:7], vcc
	s_xor_b64 s[6:7], exec, s[6:7]
	s_cbranch_execnz .LBB13_2197
; %bb.149:
	s_or_saveexec_b64 s[6:7], s[6:7]
	v_mov_b32_e32 v12, s10
	s_xor_b64 exec, exec, s[6:7]
	s_cbranch_execnz .LBB13_2200
.LBB13_150:
	s_or_b64 exec, exec, s[6:7]
	s_and_saveexec_b64 s[6:7], s[4:5]
	s_cbranch_execz .LBB13_152
.LBB13_151:
	v_bfe_u32 v11, v2, 16, 3
	v_ffbh_u32_e32 v14, v11
	v_min_u32_e32 v14, 32, v14
	v_lshrrev_b32_e32 v12, 19, v2
	v_subrev_u32_e32 v15, 28, v14
	v_and_b32_e32 v12, 15, v12
	v_lshlrev_b32_sdwa v15, v15, v2 dst_sel:DWORD dst_unused:UNUSED_PAD src0_sel:DWORD src1_sel:WORD_1
	v_bfe_u32 v13, v2, 19, 4
	v_sub_u32_e32 v14, 29, v14
	v_and_b32_e32 v15, 7, v15
	v_cmp_eq_u16_e32 vcc, 0, v12
	v_cndmask_b32_e32 v11, v11, v15, vcc
	v_cndmask_b32_e32 v12, v13, v14, vcc
	v_lshlrev_b32_e32 v13, 8, v2
	v_mov_b32_e32 v14, 0x3b800000
	v_lshlrev_b32_e32 v11, 20, v11
	v_and_b32_e32 v13, 0x80000000, v13
	v_lshl_add_u32 v12, v12, 23, v14
	v_or3_b32 v12, v13, v12, v11
.LBB13_152:
	s_or_b64 exec, exec, s[6:7]
	s_nop 0
	v_mfma_f32_16x16x4f32 a[0:3], v10, v12, a[0:3]
	s_movk_i32 s4, 0x7f
	v_cmp_gt_i16_sdwa s[6:7], v6, s4 src0_sel:BYTE_3 src1_sel:DWORD
	s_mov_b64 s[4:5], 0
                                        ; implicit-def: $sgpr10
	s_and_saveexec_b64 s[8:9], s[6:7]
	s_xor_b64 s[6:7], exec, s[8:9]
	s_cbranch_execnz .LBB13_2201
; %bb.153:
	s_or_saveexec_b64 s[6:7], s[6:7]
	v_mov_b32_e32 v10, s10
	s_xor_b64 exec, exec, s[6:7]
	s_cbranch_execnz .LBB13_2204
.LBB13_154:
	s_or_b64 exec, exec, s[6:7]
	s_and_saveexec_b64 s[6:7], s[4:5]
	s_cbranch_execz .LBB13_156
.LBB13_155:
	v_bfe_u32 v10, v6, 24, 3
	v_ffbh_u32_e32 v14, v10
	v_min_u32_e32 v14, 32, v14
	v_lshrrev_b32_e32 v12, 27, v6
	v_subrev_u32_e32 v15, 28, v14
	v_and_b32_e32 v11, 0x80000000, v6
	v_and_b32_e32 v12, 15, v12
	v_bfe_u32 v13, v6, 27, 4
	v_lshlrev_b32_sdwa v6, v15, v6 dst_sel:DWORD dst_unused:UNUSED_PAD src0_sel:DWORD src1_sel:BYTE_3
	v_sub_u32_e32 v14, 29, v14
	v_and_b32_e32 v6, 7, v6
	v_cmp_eq_u16_e32 vcc, 0, v12
	v_cndmask_b32_e32 v6, v10, v6, vcc
	v_cndmask_b32_e32 v10, v13, v14, vcc
	v_mov_b32_e32 v12, 0x3b800000
	v_lshlrev_b32_e32 v6, 20, v6
	v_lshl_add_u32 v10, v10, 23, v12
	v_or3_b32 v10, v11, v10, v6
.LBB13_156:
	s_or_b64 exec, exec, s[6:7]
	s_movk_i32 s4, 0x7f
	v_cmp_gt_i16_sdwa s[6:7], v2, s4 src0_sel:BYTE_3 src1_sel:DWORD
	s_mov_b64 s[4:5], 0
                                        ; implicit-def: $sgpr10
	s_and_saveexec_b64 s[8:9], s[6:7]
	s_xor_b64 s[6:7], exec, s[8:9]
	s_cbranch_execnz .LBB13_2205
; %bb.157:
	s_or_saveexec_b64 s[6:7], s[6:7]
	v_mov_b32_e32 v6, s10
	s_xor_b64 exec, exec, s[6:7]
	s_cbranch_execnz .LBB13_2208
.LBB13_158:
	s_or_b64 exec, exec, s[6:7]
	s_and_saveexec_b64 s[6:7], s[4:5]
	s_cbranch_execz .LBB13_160
.LBB13_159:
	v_bfe_u32 v6, v2, 24, 3
	v_ffbh_u32_e32 v14, v6
	v_min_u32_e32 v14, 32, v14
	v_lshrrev_b32_e32 v12, 27, v2
	v_subrev_u32_e32 v15, 28, v14
	v_and_b32_e32 v11, 0x80000000, v2
	v_and_b32_e32 v12, 15, v12
	v_bfe_u32 v13, v2, 27, 4
	v_lshlrev_b32_sdwa v2, v15, v2 dst_sel:DWORD dst_unused:UNUSED_PAD src0_sel:DWORD src1_sel:BYTE_3
	v_sub_u32_e32 v14, 29, v14
	v_and_b32_e32 v2, 7, v2
	v_cmp_eq_u16_e32 vcc, 0, v12
	v_cndmask_b32_e32 v2, v6, v2, vcc
	v_cndmask_b32_e32 v6, v13, v14, vcc
	v_mov_b32_e32 v12, 0x3b800000
	v_lshlrev_b32_e32 v2, 20, v2
	v_lshl_add_u32 v6, v6, 23, v12
	v_or3_b32 v6, v11, v6, v2
.LBB13_160:
	s_or_b64 exec, exec, s[6:7]
	s_nop 0
	v_mfma_f32_16x16x4f32 a[0:3], v10, v6, a[0:3]
	s_movk_i32 s4, 0x7f
	v_cmp_gt_i16_sdwa s[6:7], v7, s4 src0_sel:BYTE_0 src1_sel:DWORD
	s_mov_b64 s[4:5], 0
                                        ; implicit-def: $sgpr10
	s_and_saveexec_b64 s[8:9], s[6:7]
	s_xor_b64 s[6:7], exec, s[8:9]
	s_cbranch_execnz .LBB13_2209
; %bb.161:
	s_or_saveexec_b64 s[6:7], s[6:7]
	v_mov_b32_e32 v2, s10
	s_xor_b64 exec, exec, s[6:7]
	s_cbranch_execnz .LBB13_2212
.LBB13_162:
	s_or_b64 exec, exec, s[6:7]
	s_and_saveexec_b64 s[6:7], s[4:5]
	s_cbranch_execz .LBB13_164
.LBB13_163:
	v_and_b32_e32 v2, 7, v7
	v_ffbh_u32_e32 v10, v2
	v_min_u32_e32 v10, 32, v10
	v_lshrrev_b16_e32 v6, 3, v7
	v_subrev_u32_e32 v11, 28, v10
	v_and_b32_e32 v6, 15, v6
	v_lshlrev_b32_e32 v11, v11, v7
	v_sub_u32_e32 v10, 29, v10
	v_and_b32_e32 v11, 7, v11
	v_cmp_eq_u16_e32 vcc, 0, v6
	v_cndmask_b32_e32 v2, v2, v11, vcc
	v_cndmask_b32_e32 v6, v6, v10, vcc
	v_lshlrev_b32_e32 v10, 24, v7
	v_mov_b32_e32 v11, 0x3b800000
	v_lshlrev_b32_e32 v2, 20, v2
	v_and_b32_e32 v10, 0x80000000, v10
	v_lshl_add_u32 v6, v6, 23, v11
	v_or3_b32 v2, v10, v6, v2
.LBB13_164:
	s_or_b64 exec, exec, s[6:7]
	s_movk_i32 s4, 0x7f
	v_cmp_gt_i16_sdwa s[6:7], v3, s4 src0_sel:BYTE_0 src1_sel:DWORD
	s_mov_b64 s[4:5], 0
                                        ; implicit-def: $sgpr10
	s_and_saveexec_b64 s[8:9], s[6:7]
	s_xor_b64 s[6:7], exec, s[8:9]
	s_cbranch_execnz .LBB13_2213
; %bb.165:
	s_or_saveexec_b64 s[6:7], s[6:7]
	v_mov_b32_e32 v6, s10
	s_xor_b64 exec, exec, s[6:7]
	s_cbranch_execnz .LBB13_2216
.LBB13_166:
	s_or_b64 exec, exec, s[6:7]
	s_and_saveexec_b64 s[6:7], s[4:5]
	s_cbranch_execz .LBB13_168
.LBB13_167:
	v_and_b32_e32 v6, 7, v3
	v_ffbh_u32_e32 v11, v6
	v_min_u32_e32 v11, 32, v11
	v_lshrrev_b16_e32 v10, 3, v3
	v_subrev_u32_e32 v12, 28, v11
	v_and_b32_e32 v10, 15, v10
	v_lshlrev_b32_e32 v12, v12, v3
	v_sub_u32_e32 v11, 29, v11
	v_and_b32_e32 v12, 7, v12
	v_cmp_eq_u16_e32 vcc, 0, v10
	v_cndmask_b32_e32 v6, v6, v12, vcc
	v_cndmask_b32_e32 v10, v10, v11, vcc
	v_lshlrev_b32_e32 v11, 24, v3
	v_mov_b32_e32 v12, 0x3b800000
	v_lshlrev_b32_e32 v6, 20, v6
	v_and_b32_e32 v11, 0x80000000, v11
	v_lshl_add_u32 v10, v10, 23, v12
	v_or3_b32 v6, v11, v10, v6
.LBB13_168:
	s_or_b64 exec, exec, s[6:7]
	s_nop 0
	v_mfma_f32_16x16x4f32 a[0:3], v2, v6, a[0:3]
	v_lshrrev_b32_e32 v6, 8, v7
	s_movk_i32 s4, 0x7f
	v_cmp_gt_i16_sdwa s[6:7], v6, s4 src0_sel:BYTE_0 src1_sel:DWORD
	s_mov_b64 s[4:5], 0
                                        ; implicit-def: $sgpr10
	s_and_saveexec_b64 s[8:9], s[6:7]
	s_xor_b64 s[6:7], exec, s[8:9]
	s_cbranch_execnz .LBB13_2217
; %bb.169:
	s_or_saveexec_b64 s[6:7], s[6:7]
	v_mov_b32_e32 v2, s10
	s_xor_b64 exec, exec, s[6:7]
	s_cbranch_execnz .LBB13_2220
.LBB13_170:
	s_or_b64 exec, exec, s[6:7]
	s_and_saveexec_b64 s[6:7], s[4:5]
	s_cbranch_execz .LBB13_172
.LBB13_171:
	v_bfe_u32 v2, v7, 8, 3
	v_ffbh_u32_e32 v11, v2
	v_min_u32_e32 v11, 32, v11
	v_lshrrev_b16_e32 v10, 3, v6
	v_subrev_u32_e32 v12, 28, v11
	v_and_b32_e32 v10, 15, v10
	v_lshlrev_b32_e32 v6, v12, v6
	v_sub_u32_e32 v11, 29, v11
	v_and_b32_e32 v6, 7, v6
	v_cmp_eq_u16_e32 vcc, 0, v10
	v_cndmask_b32_e32 v2, v2, v6, vcc
	v_cndmask_b32_e32 v6, v10, v11, vcc
	v_lshlrev_b32_e32 v10, 16, v7
	v_mov_b32_e32 v11, 0x3b800000
	v_lshlrev_b32_e32 v2, 20, v2
	v_and_b32_e32 v10, 0x80000000, v10
	v_lshl_add_u32 v6, v6, 23, v11
	v_or3_b32 v2, v10, v6, v2
.LBB13_172:
	s_or_b64 exec, exec, s[6:7]
	v_lshrrev_b32_e32 v6, 8, v3
	s_movk_i32 s4, 0x7f
	v_cmp_gt_i16_sdwa s[6:7], v6, s4 src0_sel:BYTE_0 src1_sel:DWORD
	s_mov_b64 s[4:5], 0
                                        ; implicit-def: $sgpr10
	s_and_saveexec_b64 s[8:9], s[6:7]
	s_xor_b64 s[6:7], exec, s[8:9]
	s_cbranch_execnz .LBB13_2221
; %bb.173:
	s_or_saveexec_b64 s[6:7], s[6:7]
	v_mov_b32_e32 v10, s10
	s_xor_b64 exec, exec, s[6:7]
	s_cbranch_execnz .LBB13_2224
.LBB13_174:
	s_or_b64 exec, exec, s[6:7]
	s_and_saveexec_b64 s[6:7], s[4:5]
	s_cbranch_execz .LBB13_176
.LBB13_175:
	v_bfe_u32 v10, v3, 8, 3
	v_ffbh_u32_e32 v12, v10
	v_min_u32_e32 v12, 32, v12
	v_lshrrev_b16_e32 v11, 3, v6
	v_subrev_u32_e32 v13, 28, v12
	v_and_b32_e32 v11, 15, v11
	v_lshlrev_b32_e32 v6, v13, v6
	v_sub_u32_e32 v12, 29, v12
	v_and_b32_e32 v6, 7, v6
	v_cmp_eq_u16_e32 vcc, 0, v11
	v_cndmask_b32_e32 v6, v10, v6, vcc
	v_cndmask_b32_e32 v10, v11, v12, vcc
	v_lshlrev_b32_e32 v11, 16, v3
	v_mov_b32_e32 v12, 0x3b800000
	v_lshlrev_b32_e32 v6, 20, v6
	v_and_b32_e32 v11, 0x80000000, v11
	v_lshl_add_u32 v10, v10, 23, v12
	v_or3_b32 v10, v11, v10, v6
.LBB13_176:
	s_or_b64 exec, exec, s[6:7]
	s_nop 0
	v_mfma_f32_16x16x4f32 a[0:3], v2, v10, a[0:3]
	s_movk_i32 s4, 0xff
	v_and_b32_sdwa v6, v7, s4 dst_sel:DWORD dst_unused:UNUSED_PAD src0_sel:WORD_1 src1_sel:DWORD
	s_movk_i32 s4, 0x7f
	v_cmp_lt_i16_e32 vcc, s4, v6
	s_mov_b64 s[4:5], 0
                                        ; implicit-def: $sgpr10
	s_and_saveexec_b64 s[6:7], vcc
	s_xor_b64 s[6:7], exec, s[6:7]
	s_cbranch_execnz .LBB13_2225
; %bb.177:
	s_or_saveexec_b64 s[6:7], s[6:7]
	v_mov_b32_e32 v2, s10
	s_xor_b64 exec, exec, s[6:7]
	s_cbranch_execnz .LBB13_2228
.LBB13_178:
	s_or_b64 exec, exec, s[6:7]
	s_and_saveexec_b64 s[6:7], s[4:5]
	s_cbranch_execz .LBB13_180
.LBB13_179:
	v_bfe_u32 v2, v7, 16, 3
	v_ffbh_u32_e32 v11, v2
	v_min_u32_e32 v11, 32, v11
	v_lshrrev_b32_e32 v6, 19, v7
	v_subrev_u32_e32 v12, 28, v11
	v_and_b32_e32 v6, 15, v6
	v_lshlrev_b32_sdwa v12, v12, v7 dst_sel:DWORD dst_unused:UNUSED_PAD src0_sel:DWORD src1_sel:WORD_1
	v_bfe_u32 v10, v7, 19, 4
	v_sub_u32_e32 v11, 29, v11
	v_and_b32_e32 v12, 7, v12
	v_cmp_eq_u16_e32 vcc, 0, v6
	v_cndmask_b32_e32 v2, v2, v12, vcc
	v_cndmask_b32_e32 v6, v10, v11, vcc
	v_lshlrev_b32_e32 v10, 8, v7
	v_mov_b32_e32 v11, 0x3b800000
	v_lshlrev_b32_e32 v2, 20, v2
	v_and_b32_e32 v10, 0x80000000, v10
	v_lshl_add_u32 v6, v6, 23, v11
	v_or3_b32 v2, v10, v6, v2
.LBB13_180:
	s_or_b64 exec, exec, s[6:7]
	s_movk_i32 s4, 0xff
	v_and_b32_sdwa v6, v3, s4 dst_sel:DWORD dst_unused:UNUSED_PAD src0_sel:WORD_1 src1_sel:DWORD
	s_movk_i32 s4, 0x7f
	v_cmp_lt_i16_e32 vcc, s4, v6
	s_mov_b64 s[4:5], 0
                                        ; implicit-def: $sgpr10
	s_and_saveexec_b64 s[6:7], vcc
	s_xor_b64 s[6:7], exec, s[6:7]
	s_cbranch_execnz .LBB13_2229
; %bb.181:
	s_or_saveexec_b64 s[6:7], s[6:7]
	v_mov_b32_e32 v10, s10
	s_xor_b64 exec, exec, s[6:7]
	s_cbranch_execnz .LBB13_2232
.LBB13_182:
	s_or_b64 exec, exec, s[6:7]
	s_and_saveexec_b64 s[6:7], s[4:5]
	s_cbranch_execz .LBB13_184
.LBB13_183:
	v_bfe_u32 v6, v3, 16, 3
	v_ffbh_u32_e32 v12, v6
	v_min_u32_e32 v12, 32, v12
	v_lshrrev_b32_e32 v10, 19, v3
	v_subrev_u32_e32 v13, 28, v12
	v_and_b32_e32 v10, 15, v10
	v_lshlrev_b32_sdwa v13, v13, v3 dst_sel:DWORD dst_unused:UNUSED_PAD src0_sel:DWORD src1_sel:WORD_1
	v_bfe_u32 v11, v3, 19, 4
	v_sub_u32_e32 v12, 29, v12
	v_and_b32_e32 v13, 7, v13
	v_cmp_eq_u16_e32 vcc, 0, v10
	v_cndmask_b32_e32 v6, v6, v13, vcc
	v_cndmask_b32_e32 v10, v11, v12, vcc
	v_lshlrev_b32_e32 v11, 8, v3
	v_mov_b32_e32 v12, 0x3b800000
	v_lshlrev_b32_e32 v6, 20, v6
	v_and_b32_e32 v11, 0x80000000, v11
	v_lshl_add_u32 v10, v10, 23, v12
	v_or3_b32 v10, v11, v10, v6
.LBB13_184:
	s_or_b64 exec, exec, s[6:7]
	s_nop 0
	v_mfma_f32_16x16x4f32 a[0:3], v2, v10, a[0:3]
	s_movk_i32 s4, 0x7f
	v_cmp_gt_i16_sdwa s[6:7], v7, s4 src0_sel:BYTE_3 src1_sel:DWORD
	s_mov_b64 s[4:5], 0
                                        ; implicit-def: $sgpr10
	s_and_saveexec_b64 s[8:9], s[6:7]
	s_xor_b64 s[6:7], exec, s[8:9]
	s_cbranch_execnz .LBB13_2233
; %bb.185:
	s_or_saveexec_b64 s[6:7], s[6:7]
	v_mov_b32_e32 v2, s10
	s_xor_b64 exec, exec, s[6:7]
	s_cbranch_execnz .LBB13_2236
.LBB13_186:
	s_or_b64 exec, exec, s[6:7]
	s_and_saveexec_b64 s[6:7], s[4:5]
	s_cbranch_execz .LBB13_188
.LBB13_187:
	v_bfe_u32 v2, v7, 24, 3
	v_ffbh_u32_e32 v12, v2
	v_min_u32_e32 v12, 32, v12
	v_lshrrev_b32_e32 v10, 27, v7
	v_subrev_u32_e32 v13, 28, v12
	v_and_b32_e32 v6, 0x80000000, v7
	v_and_b32_e32 v10, 15, v10
	v_bfe_u32 v11, v7, 27, 4
	v_lshlrev_b32_sdwa v7, v13, v7 dst_sel:DWORD dst_unused:UNUSED_PAD src0_sel:DWORD src1_sel:BYTE_3
	v_sub_u32_e32 v12, 29, v12
	v_and_b32_e32 v7, 7, v7
	v_cmp_eq_u16_e32 vcc, 0, v10
	v_cndmask_b32_e32 v2, v2, v7, vcc
	v_cndmask_b32_e32 v7, v11, v12, vcc
	v_mov_b32_e32 v10, 0x3b800000
	v_lshlrev_b32_e32 v2, 20, v2
	v_lshl_add_u32 v7, v7, 23, v10
	v_or3_b32 v2, v6, v7, v2
.LBB13_188:
	s_or_b64 exec, exec, s[6:7]
	s_movk_i32 s4, 0x7f
	v_cmp_gt_i16_sdwa s[6:7], v3, s4 src0_sel:BYTE_3 src1_sel:DWORD
	s_mov_b64 s[4:5], 0
                                        ; implicit-def: $sgpr10
	s_and_saveexec_b64 s[8:9], s[6:7]
	s_xor_b64 s[6:7], exec, s[8:9]
	s_cbranch_execnz .LBB13_2237
; %bb.189:
	s_or_saveexec_b64 s[6:7], s[6:7]
	v_mov_b32_e32 v6, s10
	s_xor_b64 exec, exec, s[6:7]
	s_cbranch_execnz .LBB13_2240
.LBB13_190:
	s_or_b64 exec, exec, s[6:7]
	s_and_saveexec_b64 s[6:7], s[4:5]
	s_cbranch_execz .LBB13_192
.LBB13_191:
	v_bfe_u32 v6, v3, 24, 3
	v_ffbh_u32_e32 v12, v6
	v_min_u32_e32 v12, 32, v12
	v_lshrrev_b32_e32 v10, 27, v3
	v_subrev_u32_e32 v13, 28, v12
	v_and_b32_e32 v7, 0x80000000, v3
	v_and_b32_e32 v10, 15, v10
	v_bfe_u32 v11, v3, 27, 4
	v_lshlrev_b32_sdwa v3, v13, v3 dst_sel:DWORD dst_unused:UNUSED_PAD src0_sel:DWORD src1_sel:BYTE_3
	v_sub_u32_e32 v12, 29, v12
	v_and_b32_e32 v3, 7, v3
	v_cmp_eq_u16_e32 vcc, 0, v10
	v_cndmask_b32_e32 v3, v6, v3, vcc
	v_cndmask_b32_e32 v6, v11, v12, vcc
	v_mov_b32_e32 v10, 0x3b800000
	v_lshlrev_b32_e32 v3, 20, v3
	v_lshl_add_u32 v6, v6, 23, v10
	v_or3_b32 v6, v7, v6, v3
.LBB13_192:
	s_or_b64 exec, exec, s[6:7]
	s_nop 0
	v_mfma_f32_16x16x4f32 a[0:3], v2, v6, a[0:3]
	s_movk_i32 s4, 0x7f
	v_cmp_gt_i16_sdwa s[6:7], v8, s4 src0_sel:BYTE_0 src1_sel:DWORD
	s_mov_b64 s[4:5], 0
                                        ; implicit-def: $sgpr10
	s_and_saveexec_b64 s[8:9], s[6:7]
	s_xor_b64 s[6:7], exec, s[8:9]
	s_cbranch_execnz .LBB13_2241
; %bb.193:
	s_or_saveexec_b64 s[6:7], s[6:7]
	v_mov_b32_e32 v2, s10
	s_xor_b64 exec, exec, s[6:7]
	s_cbranch_execnz .LBB13_2244
.LBB13_194:
	s_or_b64 exec, exec, s[6:7]
	s_and_saveexec_b64 s[6:7], s[4:5]
	s_cbranch_execz .LBB13_196
.LBB13_195:
	v_and_b32_e32 v2, 7, v8
	v_ffbh_u32_e32 v6, v2
	v_min_u32_e32 v6, 32, v6
	v_lshrrev_b16_e32 v3, 3, v8
	v_subrev_u32_e32 v7, 28, v6
	v_and_b32_e32 v3, 15, v3
	v_lshlrev_b32_e32 v7, v7, v8
	v_sub_u32_e32 v6, 29, v6
	v_and_b32_e32 v7, 7, v7
	v_cmp_eq_u16_e32 vcc, 0, v3
	v_cndmask_b32_e32 v2, v2, v7, vcc
	v_cndmask_b32_e32 v3, v3, v6, vcc
	v_lshlrev_b32_e32 v6, 24, v8
	v_mov_b32_e32 v7, 0x3b800000
	v_lshlrev_b32_e32 v2, 20, v2
	v_and_b32_e32 v6, 0x80000000, v6
	v_lshl_add_u32 v3, v3, 23, v7
	v_or3_b32 v2, v6, v3, v2
.LBB13_196:
	s_or_b64 exec, exec, s[6:7]
	s_movk_i32 s4, 0x7f
	v_cmp_gt_i16_sdwa s[6:7], v4, s4 src0_sel:BYTE_0 src1_sel:DWORD
	s_mov_b64 s[4:5], 0
                                        ; implicit-def: $sgpr10
	s_and_saveexec_b64 s[8:9], s[6:7]
	s_xor_b64 s[6:7], exec, s[8:9]
	s_cbranch_execnz .LBB13_2245
; %bb.197:
	s_or_saveexec_b64 s[6:7], s[6:7]
	v_mov_b32_e32 v3, s10
	s_xor_b64 exec, exec, s[6:7]
	s_cbranch_execnz .LBB13_2248
.LBB13_198:
	s_or_b64 exec, exec, s[6:7]
	s_and_saveexec_b64 s[6:7], s[4:5]
	s_cbranch_execz .LBB13_200
.LBB13_199:
	v_and_b32_e32 v3, 7, v4
	v_ffbh_u32_e32 v7, v3
	v_min_u32_e32 v7, 32, v7
	v_lshrrev_b16_e32 v6, 3, v4
	v_subrev_u32_e32 v10, 28, v7
	v_and_b32_e32 v6, 15, v6
	v_lshlrev_b32_e32 v10, v10, v4
	v_sub_u32_e32 v7, 29, v7
	v_and_b32_e32 v10, 7, v10
	v_cmp_eq_u16_e32 vcc, 0, v6
	v_cndmask_b32_e32 v3, v3, v10, vcc
	v_cndmask_b32_e32 v6, v6, v7, vcc
	v_lshlrev_b32_e32 v7, 24, v4
	v_mov_b32_e32 v10, 0x3b800000
	v_lshlrev_b32_e32 v3, 20, v3
	v_and_b32_e32 v7, 0x80000000, v7
	v_lshl_add_u32 v6, v6, 23, v10
	v_or3_b32 v3, v7, v6, v3
.LBB13_200:
	s_or_b64 exec, exec, s[6:7]
	s_nop 0
	v_mfma_f32_16x16x4f32 a[0:3], v2, v3, a[0:3]
	v_lshrrev_b32_e32 v3, 8, v8
	s_movk_i32 s4, 0x7f
	v_cmp_gt_i16_sdwa s[6:7], v3, s4 src0_sel:BYTE_0 src1_sel:DWORD
	s_mov_b64 s[4:5], 0
                                        ; implicit-def: $sgpr10
	s_and_saveexec_b64 s[8:9], s[6:7]
	s_xor_b64 s[6:7], exec, s[8:9]
	s_cbranch_execnz .LBB13_2249
; %bb.201:
	s_or_saveexec_b64 s[6:7], s[6:7]
	v_mov_b32_e32 v2, s10
	s_xor_b64 exec, exec, s[6:7]
	s_cbranch_execnz .LBB13_2252
.LBB13_202:
	s_or_b64 exec, exec, s[6:7]
	s_and_saveexec_b64 s[6:7], s[4:5]
	s_cbranch_execz .LBB13_204
.LBB13_203:
	v_bfe_u32 v2, v8, 8, 3
	v_ffbh_u32_e32 v7, v2
	v_min_u32_e32 v7, 32, v7
	v_lshrrev_b16_e32 v6, 3, v3
	v_subrev_u32_e32 v10, 28, v7
	v_and_b32_e32 v6, 15, v6
	v_lshlrev_b32_e32 v3, v10, v3
	v_sub_u32_e32 v7, 29, v7
	v_and_b32_e32 v3, 7, v3
	v_cmp_eq_u16_e32 vcc, 0, v6
	v_cndmask_b32_e32 v2, v2, v3, vcc
	v_cndmask_b32_e32 v3, v6, v7, vcc
	v_lshlrev_b32_e32 v6, 16, v8
	v_mov_b32_e32 v7, 0x3b800000
	v_lshlrev_b32_e32 v2, 20, v2
	v_and_b32_e32 v6, 0x80000000, v6
	v_lshl_add_u32 v3, v3, 23, v7
	v_or3_b32 v2, v6, v3, v2
.LBB13_204:
	s_or_b64 exec, exec, s[6:7]
	v_lshrrev_b32_e32 v3, 8, v4
	s_movk_i32 s4, 0x7f
	v_cmp_gt_i16_sdwa s[6:7], v3, s4 src0_sel:BYTE_0 src1_sel:DWORD
	s_mov_b64 s[4:5], 0
                                        ; implicit-def: $sgpr10
	s_and_saveexec_b64 s[8:9], s[6:7]
	s_xor_b64 s[6:7], exec, s[8:9]
	s_cbranch_execnz .LBB13_2253
; %bb.205:
	s_or_saveexec_b64 s[6:7], s[6:7]
	v_mov_b32_e32 v6, s10
	s_xor_b64 exec, exec, s[6:7]
	s_cbranch_execnz .LBB13_2256
.LBB13_206:
	s_or_b64 exec, exec, s[6:7]
	s_and_saveexec_b64 s[6:7], s[4:5]
	s_cbranch_execz .LBB13_208
.LBB13_207:
	v_bfe_u32 v6, v4, 8, 3
	v_ffbh_u32_e32 v10, v6
	v_min_u32_e32 v10, 32, v10
	v_lshrrev_b16_e32 v7, 3, v3
	v_subrev_u32_e32 v11, 28, v10
	v_and_b32_e32 v7, 15, v7
	v_lshlrev_b32_e32 v3, v11, v3
	v_sub_u32_e32 v10, 29, v10
	v_and_b32_e32 v3, 7, v3
	v_cmp_eq_u16_e32 vcc, 0, v7
	v_cndmask_b32_e32 v3, v6, v3, vcc
	v_cndmask_b32_e32 v6, v7, v10, vcc
	v_lshlrev_b32_e32 v7, 16, v4
	v_mov_b32_e32 v10, 0x3b800000
	v_lshlrev_b32_e32 v3, 20, v3
	v_and_b32_e32 v7, 0x80000000, v7
	v_lshl_add_u32 v6, v6, 23, v10
	v_or3_b32 v6, v7, v6, v3
.LBB13_208:
	s_or_b64 exec, exec, s[6:7]
	s_nop 0
	v_mfma_f32_16x16x4f32 a[0:3], v2, v6, a[0:3]
	s_movk_i32 s4, 0xff
	v_and_b32_sdwa v3, v8, s4 dst_sel:DWORD dst_unused:UNUSED_PAD src0_sel:WORD_1 src1_sel:DWORD
	s_movk_i32 s4, 0x7f
	v_cmp_lt_i16_e32 vcc, s4, v3
	s_mov_b64 s[4:5], 0
                                        ; implicit-def: $sgpr10
	s_and_saveexec_b64 s[6:7], vcc
	s_xor_b64 s[6:7], exec, s[6:7]
	s_cbranch_execnz .LBB13_2257
; %bb.209:
	s_or_saveexec_b64 s[6:7], s[6:7]
	v_mov_b32_e32 v2, s10
	s_xor_b64 exec, exec, s[6:7]
	s_cbranch_execnz .LBB13_2260
.LBB13_210:
	s_or_b64 exec, exec, s[6:7]
	s_and_saveexec_b64 s[6:7], s[4:5]
	s_cbranch_execz .LBB13_212
.LBB13_211:
	v_bfe_u32 v2, v8, 16, 3
	v_ffbh_u32_e32 v7, v2
	v_min_u32_e32 v7, 32, v7
	v_lshrrev_b32_e32 v3, 19, v8
	v_subrev_u32_e32 v10, 28, v7
	v_and_b32_e32 v3, 15, v3
	v_lshlrev_b32_sdwa v10, v10, v8 dst_sel:DWORD dst_unused:UNUSED_PAD src0_sel:DWORD src1_sel:WORD_1
	v_bfe_u32 v6, v8, 19, 4
	v_sub_u32_e32 v7, 29, v7
	v_and_b32_e32 v10, 7, v10
	v_cmp_eq_u16_e32 vcc, 0, v3
	v_cndmask_b32_e32 v2, v2, v10, vcc
	v_cndmask_b32_e32 v3, v6, v7, vcc
	v_lshlrev_b32_e32 v6, 8, v8
	v_mov_b32_e32 v7, 0x3b800000
	v_lshlrev_b32_e32 v2, 20, v2
	v_and_b32_e32 v6, 0x80000000, v6
	v_lshl_add_u32 v3, v3, 23, v7
	v_or3_b32 v2, v6, v3, v2
.LBB13_212:
	s_or_b64 exec, exec, s[6:7]
	s_movk_i32 s4, 0xff
	v_and_b32_sdwa v3, v4, s4 dst_sel:DWORD dst_unused:UNUSED_PAD src0_sel:WORD_1 src1_sel:DWORD
	s_movk_i32 s4, 0x7f
	v_cmp_lt_i16_e32 vcc, s4, v3
	s_mov_b64 s[4:5], 0
                                        ; implicit-def: $sgpr10
	s_and_saveexec_b64 s[6:7], vcc
	s_xor_b64 s[6:7], exec, s[6:7]
	s_cbranch_execnz .LBB13_2261
; %bb.213:
	s_or_saveexec_b64 s[6:7], s[6:7]
	v_mov_b32_e32 v6, s10
	s_xor_b64 exec, exec, s[6:7]
	s_cbranch_execnz .LBB13_2264
.LBB13_214:
	s_or_b64 exec, exec, s[6:7]
	s_and_saveexec_b64 s[6:7], s[4:5]
	s_cbranch_execz .LBB13_216
.LBB13_215:
	v_bfe_u32 v3, v4, 16, 3
	v_ffbh_u32_e32 v10, v3
	v_min_u32_e32 v10, 32, v10
	v_lshrrev_b32_e32 v6, 19, v4
	v_subrev_u32_e32 v11, 28, v10
	v_and_b32_e32 v6, 15, v6
	v_lshlrev_b32_sdwa v11, v11, v4 dst_sel:DWORD dst_unused:UNUSED_PAD src0_sel:DWORD src1_sel:WORD_1
	v_bfe_u32 v7, v4, 19, 4
	v_sub_u32_e32 v10, 29, v10
	v_and_b32_e32 v11, 7, v11
	v_cmp_eq_u16_e32 vcc, 0, v6
	v_cndmask_b32_e32 v3, v3, v11, vcc
	v_cndmask_b32_e32 v6, v7, v10, vcc
	v_lshlrev_b32_e32 v7, 8, v4
	v_mov_b32_e32 v10, 0x3b800000
	v_lshlrev_b32_e32 v3, 20, v3
	v_and_b32_e32 v7, 0x80000000, v7
	v_lshl_add_u32 v6, v6, 23, v10
	v_or3_b32 v6, v7, v6, v3
.LBB13_216:
	s_or_b64 exec, exec, s[6:7]
	s_nop 0
	v_mfma_f32_16x16x4f32 a[0:3], v2, v6, a[0:3]
	s_movk_i32 s4, 0x7f
	v_cmp_gt_i16_sdwa s[6:7], v8, s4 src0_sel:BYTE_3 src1_sel:DWORD
	s_mov_b64 s[4:5], 0
                                        ; implicit-def: $sgpr10
	s_and_saveexec_b64 s[8:9], s[6:7]
	s_xor_b64 s[6:7], exec, s[8:9]
	s_cbranch_execnz .LBB13_2265
; %bb.217:
	s_or_saveexec_b64 s[6:7], s[6:7]
	v_mov_b32_e32 v2, s10
	s_xor_b64 exec, exec, s[6:7]
	s_cbranch_execnz .LBB13_2268
.LBB13_218:
	s_or_b64 exec, exec, s[6:7]
	s_and_saveexec_b64 s[6:7], s[4:5]
	s_cbranch_execz .LBB13_220
.LBB13_219:
	v_bfe_u32 v2, v8, 24, 3
	v_ffbh_u32_e32 v10, v2
	v_min_u32_e32 v10, 32, v10
	v_lshrrev_b32_e32 v6, 27, v8
	v_subrev_u32_e32 v11, 28, v10
	v_and_b32_e32 v3, 0x80000000, v8
	v_and_b32_e32 v6, 15, v6
	v_bfe_u32 v7, v8, 27, 4
	v_lshlrev_b32_sdwa v8, v11, v8 dst_sel:DWORD dst_unused:UNUSED_PAD src0_sel:DWORD src1_sel:BYTE_3
	v_sub_u32_e32 v10, 29, v10
	v_and_b32_e32 v8, 7, v8
	v_cmp_eq_u16_e32 vcc, 0, v6
	v_cndmask_b32_e32 v2, v2, v8, vcc
	v_cndmask_b32_e32 v6, v7, v10, vcc
	v_mov_b32_e32 v7, 0x3b800000
	v_lshlrev_b32_e32 v2, 20, v2
	v_lshl_add_u32 v6, v6, 23, v7
	v_or3_b32 v2, v3, v6, v2
.LBB13_220:
	s_or_b64 exec, exec, s[6:7]
	s_movk_i32 s4, 0x7f
	v_cmp_gt_i16_sdwa s[6:7], v4, s4 src0_sel:BYTE_3 src1_sel:DWORD
	s_mov_b64 s[4:5], 0
                                        ; implicit-def: $sgpr10
	s_and_saveexec_b64 s[8:9], s[6:7]
	s_xor_b64 s[6:7], exec, s[8:9]
	s_cbranch_execnz .LBB13_2269
; %bb.221:
	s_or_saveexec_b64 s[6:7], s[6:7]
	v_mov_b32_e32 v3, s10
	s_xor_b64 exec, exec, s[6:7]
	s_cbranch_execnz .LBB13_2272
.LBB13_222:
	s_or_b64 exec, exec, s[6:7]
	s_and_saveexec_b64 s[6:7], s[4:5]
	s_cbranch_execz .LBB13_224
.LBB13_223:
	v_bfe_u32 v3, v4, 24, 3
	v_ffbh_u32_e32 v10, v3
	v_min_u32_e32 v10, 32, v10
	v_lshrrev_b32_e32 v7, 27, v4
	v_subrev_u32_e32 v11, 28, v10
	v_and_b32_e32 v6, 0x80000000, v4
	v_and_b32_e32 v7, 15, v7
	v_bfe_u32 v8, v4, 27, 4
	v_lshlrev_b32_sdwa v4, v11, v4 dst_sel:DWORD dst_unused:UNUSED_PAD src0_sel:DWORD src1_sel:BYTE_3
	v_sub_u32_e32 v10, 29, v10
	v_and_b32_e32 v4, 7, v4
	v_cmp_eq_u16_e32 vcc, 0, v7
	v_cndmask_b32_e32 v3, v3, v4, vcc
	v_cndmask_b32_e32 v4, v8, v10, vcc
	v_mov_b32_e32 v7, 0x3b800000
	v_lshlrev_b32_e32 v3, 20, v3
	v_lshl_add_u32 v4, v4, 23, v7
	v_or3_b32 v3, v6, v4, v3
.LBB13_224:
	s_or_b64 exec, exec, s[6:7]
	s_nop 0
	v_mfma_f32_16x16x4f32 a[0:3], v2, v3, a[0:3]
	s_movk_i32 s4, 0x7f
	v_cmp_gt_i16_sdwa s[6:7], v9, s4 src0_sel:BYTE_0 src1_sel:DWORD
	s_mov_b64 s[4:5], 0
                                        ; implicit-def: $sgpr10
	s_and_saveexec_b64 s[8:9], s[6:7]
	s_xor_b64 s[6:7], exec, s[8:9]
	s_cbranch_execnz .LBB13_2273
; %bb.225:
	s_or_saveexec_b64 s[6:7], s[6:7]
	v_mov_b32_e32 v2, s10
	s_xor_b64 exec, exec, s[6:7]
	s_cbranch_execnz .LBB13_2276
.LBB13_226:
	s_or_b64 exec, exec, s[6:7]
	s_and_saveexec_b64 s[6:7], s[4:5]
	s_cbranch_execz .LBB13_228
.LBB13_227:
	v_mov_b32_e32 v2, 8
	v_and_b32_e32 v3, 7, v9
	v_lshrrev_b32_sdwa v2, v2, v9 dst_sel:BYTE_1 dst_unused:UNUSED_PAD src0_sel:DWORD src1_sel:DWORD
	v_ffbh_u32_e32 v4, v3
	v_or_b32_sdwa v2, v9, v2 dst_sel:DWORD dst_unused:UNUSED_PAD src0_sel:BYTE_0 src1_sel:DWORD
	v_min_u32_e32 v4, 32, v4
	v_lshrrev_b16_e32 v2, 3, v2
	v_subrev_u32_e32 v6, 28, v4
	v_and_b32_e32 v2, 15, v2
	v_lshlrev_b32_e32 v6, v6, v9
	v_sub_u32_e32 v4, 29, v4
	v_and_b32_e32 v6, 7, v6
	v_cmp_eq_u16_e32 vcc, 0, v2
	v_cndmask_b32_e32 v3, v3, v6, vcc
	v_cndmask_b32_e32 v2, v2, v4, vcc
	v_lshlrev_b32_e32 v4, 24, v9
	v_mov_b32_e32 v6, 0x3b800000
	v_lshlrev_b32_e32 v3, 20, v3
	v_and_b32_e32 v4, 0x80000000, v4
	v_lshl_add_u32 v2, v2, 23, v6
	v_or3_b32 v2, v4, v2, v3
.LBB13_228:
	s_or_b64 exec, exec, s[6:7]
	s_movk_i32 s4, 0x7f
	v_cmp_gt_i16_sdwa s[6:7], v5, s4 src0_sel:BYTE_0 src1_sel:DWORD
	s_mov_b64 s[4:5], 0
                                        ; implicit-def: $sgpr10
	s_and_saveexec_b64 s[8:9], s[6:7]
	s_xor_b64 s[6:7], exec, s[8:9]
	s_cbranch_execnz .LBB13_2277
; %bb.229:
	s_or_saveexec_b64 s[6:7], s[6:7]
	v_mov_b32_e32 v3, s10
	s_xor_b64 exec, exec, s[6:7]
	s_cbranch_execnz .LBB13_2280
.LBB13_230:
	s_or_b64 exec, exec, s[6:7]
	s_and_saveexec_b64 s[6:7], s[4:5]
	s_cbranch_execz .LBB13_232
.LBB13_231:
	v_mov_b32_e32 v3, 8
	v_and_b32_e32 v4, 7, v5
	v_lshrrev_b32_sdwa v3, v3, v5 dst_sel:BYTE_1 dst_unused:UNUSED_PAD src0_sel:DWORD src1_sel:DWORD
	v_ffbh_u32_e32 v6, v4
	v_or_b32_sdwa v3, v5, v3 dst_sel:DWORD dst_unused:UNUSED_PAD src0_sel:BYTE_0 src1_sel:DWORD
	v_min_u32_e32 v6, 32, v6
	v_lshrrev_b16_e32 v3, 3, v3
	v_subrev_u32_e32 v7, 28, v6
	v_and_b32_e32 v3, 15, v3
	v_lshlrev_b32_e32 v7, v7, v5
	v_sub_u32_e32 v6, 29, v6
	v_and_b32_e32 v7, 7, v7
	v_cmp_eq_u16_e32 vcc, 0, v3
	v_cndmask_b32_e32 v4, v4, v7, vcc
	v_cndmask_b32_e32 v3, v3, v6, vcc
	v_lshlrev_b32_e32 v6, 24, v5
	v_mov_b32_e32 v7, 0x3b800000
	v_lshlrev_b32_e32 v4, 20, v4
	v_and_b32_e32 v6, 0x80000000, v6
	v_lshl_add_u32 v3, v3, 23, v7
	v_or3_b32 v3, v6, v3, v4
.LBB13_232:
	s_or_b64 exec, exec, s[6:7]
	s_nop 0
	v_mfma_f32_16x16x4f32 a[0:3], v2, v3, a[0:3]
	v_lshrrev_b32_e32 v3, 8, v9
	s_movk_i32 s4, 0x7f
	v_cmp_gt_i16_sdwa s[6:7], v3, s4 src0_sel:BYTE_0 src1_sel:DWORD
	s_mov_b64 s[4:5], 0
                                        ; implicit-def: $sgpr10
	s_and_saveexec_b64 s[8:9], s[6:7]
	s_xor_b64 s[6:7], exec, s[8:9]
	s_cbranch_execnz .LBB13_2281
; %bb.233:
	s_or_saveexec_b64 s[6:7], s[6:7]
	v_mov_b32_e32 v2, s10
	s_xor_b64 exec, exec, s[6:7]
	s_cbranch_execnz .LBB13_2284
.LBB13_234:
	s_or_b64 exec, exec, s[6:7]
	s_and_saveexec_b64 s[6:7], s[4:5]
	s_cbranch_execz .LBB13_236
.LBB13_235:
	v_bfe_u32 v2, v9, 8, 3
	v_ffbh_u32_e32 v6, v2
	v_min_u32_e32 v6, 32, v6
	v_lshrrev_b16_e32 v4, 3, v3
	v_subrev_u32_e32 v7, 28, v6
	v_and_b32_e32 v4, 15, v4
	v_lshlrev_b32_e32 v3, v7, v3
	v_sub_u32_e32 v6, 29, v6
	v_and_b32_e32 v3, 7, v3
	v_cmp_eq_u16_e32 vcc, 0, v4
	v_cndmask_b32_e32 v2, v2, v3, vcc
	v_cndmask_b32_e32 v3, v4, v6, vcc
	v_lshlrev_b32_e32 v4, 16, v9
	v_mov_b32_e32 v6, 0x3b800000
	v_lshlrev_b32_e32 v2, 20, v2
	v_and_b32_e32 v4, 0x80000000, v4
	v_lshl_add_u32 v3, v3, 23, v6
	v_or3_b32 v2, v4, v3, v2
.LBB13_236:
	s_or_b64 exec, exec, s[6:7]
	v_lshrrev_b32_e32 v3, 8, v5
	s_movk_i32 s4, 0x7f
	v_cmp_gt_i16_sdwa s[6:7], v3, s4 src0_sel:BYTE_0 src1_sel:DWORD
	s_mov_b64 s[4:5], 0
                                        ; implicit-def: $sgpr10
	s_and_saveexec_b64 s[8:9], s[6:7]
	s_xor_b64 s[6:7], exec, s[8:9]
	s_cbranch_execnz .LBB13_2285
; %bb.237:
	s_or_saveexec_b64 s[6:7], s[6:7]
	v_mov_b32_e32 v4, s10
	s_xor_b64 exec, exec, s[6:7]
	s_cbranch_execnz .LBB13_2288
.LBB13_238:
	s_or_b64 exec, exec, s[6:7]
	s_and_saveexec_b64 s[6:7], s[4:5]
	s_cbranch_execz .LBB13_240
.LBB13_239:
	v_bfe_u32 v4, v5, 8, 3
	v_ffbh_u32_e32 v7, v4
	v_min_u32_e32 v7, 32, v7
	v_lshrrev_b16_e32 v6, 3, v3
	v_subrev_u32_e32 v8, 28, v7
	v_and_b32_e32 v6, 15, v6
	v_lshlrev_b32_e32 v3, v8, v3
	v_sub_u32_e32 v7, 29, v7
	v_and_b32_e32 v3, 7, v3
	v_cmp_eq_u16_e32 vcc, 0, v6
	v_cndmask_b32_e32 v3, v4, v3, vcc
	v_cndmask_b32_e32 v4, v6, v7, vcc
	v_lshlrev_b32_e32 v6, 16, v5
	v_mov_b32_e32 v7, 0x3b800000
	v_lshlrev_b32_e32 v3, 20, v3
	v_and_b32_e32 v6, 0x80000000, v6
	v_lshl_add_u32 v4, v4, 23, v7
	v_or3_b32 v4, v6, v4, v3
.LBB13_240:
	s_or_b64 exec, exec, s[6:7]
	s_nop 0
	v_mfma_f32_16x16x4f32 a[0:3], v2, v4, a[0:3]
	s_movk_i32 s4, 0xff
	v_and_b32_sdwa v3, v9, s4 dst_sel:DWORD dst_unused:UNUSED_PAD src0_sel:WORD_1 src1_sel:DWORD
	s_movk_i32 s4, 0x7f
	v_cmp_lt_i16_e32 vcc, s4, v3
	s_mov_b64 s[4:5], 0
                                        ; implicit-def: $sgpr10
	s_and_saveexec_b64 s[6:7], vcc
	s_xor_b64 s[6:7], exec, s[6:7]
	s_cbranch_execnz .LBB13_2289
; %bb.241:
	s_or_saveexec_b64 s[6:7], s[6:7]
	v_mov_b32_e32 v2, s10
	s_xor_b64 exec, exec, s[6:7]
	s_cbranch_execnz .LBB13_2292
.LBB13_242:
	s_or_b64 exec, exec, s[6:7]
	s_and_saveexec_b64 s[6:7], s[4:5]
	s_cbranch_execz .LBB13_244
.LBB13_243:
	v_bfe_u32 v2, v9, 16, 3
	v_ffbh_u32_e32 v6, v2
	v_min_u32_e32 v6, 32, v6
	v_lshrrev_b32_e32 v3, 19, v9
	v_subrev_u32_e32 v7, 28, v6
	v_and_b32_e32 v3, 15, v3
	v_lshlrev_b32_sdwa v7, v7, v9 dst_sel:DWORD dst_unused:UNUSED_PAD src0_sel:DWORD src1_sel:WORD_1
	v_bfe_u32 v4, v9, 19, 4
	v_sub_u32_e32 v6, 29, v6
	v_and_b32_e32 v7, 7, v7
	v_cmp_eq_u16_e32 vcc, 0, v3
	v_cndmask_b32_e32 v2, v2, v7, vcc
	v_cndmask_b32_e32 v3, v4, v6, vcc
	v_lshlrev_b32_e32 v4, 8, v9
	v_mov_b32_e32 v6, 0x3b800000
	v_lshlrev_b32_e32 v2, 20, v2
	v_and_b32_e32 v4, 0x80000000, v4
	v_lshl_add_u32 v3, v3, 23, v6
	v_or3_b32 v2, v4, v3, v2
.LBB13_244:
	s_or_b64 exec, exec, s[6:7]
	s_movk_i32 s4, 0xff
	v_and_b32_sdwa v3, v5, s4 dst_sel:DWORD dst_unused:UNUSED_PAD src0_sel:WORD_1 src1_sel:DWORD
	s_movk_i32 s4, 0x7f
	v_cmp_lt_i16_e32 vcc, s4, v3
	s_mov_b64 s[4:5], 0
                                        ; implicit-def: $sgpr10
	s_and_saveexec_b64 s[6:7], vcc
	s_xor_b64 s[6:7], exec, s[6:7]
	s_cbranch_execnz .LBB13_2293
; %bb.245:
	s_or_saveexec_b64 s[6:7], s[6:7]
	v_mov_b32_e32 v4, s10
	s_xor_b64 exec, exec, s[6:7]
	s_cbranch_execnz .LBB13_2296
.LBB13_246:
	s_or_b64 exec, exec, s[6:7]
	s_and_saveexec_b64 s[6:7], s[4:5]
	s_cbranch_execz .LBB13_248
.LBB13_247:
	v_bfe_u32 v3, v5, 16, 3
	v_ffbh_u32_e32 v7, v3
	v_min_u32_e32 v7, 32, v7
	v_lshrrev_b32_e32 v4, 19, v5
	v_subrev_u32_e32 v8, 28, v7
	v_and_b32_e32 v4, 15, v4
	v_lshlrev_b32_sdwa v8, v8, v5 dst_sel:DWORD dst_unused:UNUSED_PAD src0_sel:DWORD src1_sel:WORD_1
	v_bfe_u32 v6, v5, 19, 4
	v_sub_u32_e32 v7, 29, v7
	v_and_b32_e32 v8, 7, v8
	v_cmp_eq_u16_e32 vcc, 0, v4
	v_cndmask_b32_e32 v3, v3, v8, vcc
	v_cndmask_b32_e32 v4, v6, v7, vcc
	v_lshlrev_b32_e32 v6, 8, v5
	v_mov_b32_e32 v7, 0x3b800000
	v_lshlrev_b32_e32 v3, 20, v3
	v_and_b32_e32 v6, 0x80000000, v6
	v_lshl_add_u32 v4, v4, 23, v7
	v_or3_b32 v4, v6, v4, v3
.LBB13_248:
	s_or_b64 exec, exec, s[6:7]
	s_nop 0
	v_mfma_f32_16x16x4f32 a[0:3], v2, v4, a[0:3]
	s_movk_i32 s4, 0x7f
	v_cmp_gt_i16_sdwa s[6:7], v9, s4 src0_sel:BYTE_3 src1_sel:DWORD
	s_mov_b64 s[4:5], 0
                                        ; implicit-def: $sgpr10
	s_and_saveexec_b64 s[8:9], s[6:7]
	s_xor_b64 s[6:7], exec, s[8:9]
	s_cbranch_execnz .LBB13_2297
; %bb.249:
	s_or_saveexec_b64 s[6:7], s[6:7]
	v_mov_b32_e32 v2, s10
	s_xor_b64 exec, exec, s[6:7]
	s_cbranch_execnz .LBB13_2300
.LBB13_250:
	s_or_b64 exec, exec, s[6:7]
	s_and_saveexec_b64 s[6:7], s[4:5]
	s_cbranch_execz .LBB13_252
.LBB13_251:
	v_bfe_u32 v2, v9, 24, 3
	v_ffbh_u32_e32 v7, v2
	v_min_u32_e32 v7, 32, v7
	v_lshrrev_b32_e32 v4, 27, v9
	v_subrev_u32_e32 v8, 28, v7
	v_and_b32_e32 v4, 15, v4
	v_lshlrev_b32_sdwa v8, v8, v9 dst_sel:DWORD dst_unused:UNUSED_PAD src0_sel:DWORD src1_sel:BYTE_3
	v_bfe_u32 v6, v9, 27, 4
	v_sub_u32_e32 v7, 29, v7
	v_and_b32_e32 v8, 7, v8
	v_cmp_eq_u16_e32 vcc, 0, v4
	v_cndmask_b32_e32 v2, v2, v8, vcc
	v_cndmask_b32_e32 v4, v6, v7, vcc
	v_mov_b32_e32 v6, 0x3b800000
	v_and_b32_e32 v3, 0x80000000, v9
	v_lshlrev_b32_e32 v2, 20, v2
	v_lshl_add_u32 v4, v4, 23, v6
	v_or3_b32 v2, v3, v4, v2
.LBB13_252:
	s_or_b64 exec, exec, s[6:7]
	s_movk_i32 s4, 0x7f
	v_cmp_gt_i16_sdwa s[6:7], v5, s4 src0_sel:BYTE_3 src1_sel:DWORD
	s_mov_b64 s[4:5], 0
                                        ; implicit-def: $sgpr10
	s_and_saveexec_b64 s[8:9], s[6:7]
	s_xor_b64 s[6:7], exec, s[8:9]
	s_cbranch_execnz .LBB13_2301
; %bb.253:
	s_or_saveexec_b64 s[6:7], s[6:7]
	v_mov_b32_e32 v3, s10
	s_xor_b64 exec, exec, s[6:7]
	s_cbranch_execnz .LBB13_2304
.LBB13_254:
	s_or_b64 exec, exec, s[6:7]
	s_and_saveexec_b64 s[6:7], s[4:5]
	s_cbranch_execz .LBB13_256
.LBB13_255:
	v_bfe_u32 v3, v5, 24, 3
	v_ffbh_u32_e32 v8, v3
	v_min_u32_e32 v8, 32, v8
	v_lshrrev_b32_e32 v6, 27, v5
	v_subrev_u32_e32 v9, 28, v8
	v_and_b32_e32 v4, 0x80000000, v5
	v_and_b32_e32 v6, 15, v6
	v_bfe_u32 v7, v5, 27, 4
	v_lshlrev_b32_sdwa v5, v9, v5 dst_sel:DWORD dst_unused:UNUSED_PAD src0_sel:DWORD src1_sel:BYTE_3
	v_sub_u32_e32 v8, 29, v8
	v_and_b32_e32 v5, 7, v5
	v_cmp_eq_u16_e32 vcc, 0, v6
	v_cndmask_b32_e32 v3, v3, v5, vcc
	v_cndmask_b32_e32 v5, v7, v8, vcc
	v_mov_b32_e32 v6, 0x3b800000
	v_lshlrev_b32_e32 v3, 20, v3
	v_lshl_add_u32 v5, v5, 23, v6
	v_or3_b32 v3, v4, v5, v3
.LBB13_256:
	s_or_b64 exec, exec, s[6:7]
	s_nop 0
	v_mfma_f32_16x16x4f32 a[0:3], v2, v3, a[0:3]
	s_movk_i32 s4, 0x7f
                                        ; implicit-def: $sgpr10
	s_nop 7
	s_nop 1
	flat_store_dwordx4 v[18:19], a[0:3] offset:384
	flat_load_dwordx4 v[20:23], v[0:1] offset:16
	s_nop 0
	flat_load_dwordx2 v[18:19], v[0:1] offset:32
	s_waitcnt vmcnt(0) lgkmcnt(0)
	flat_load_dwordx4 v[14:17], v[20:21] offset:32
	flat_load_dwordx4 v[6:9], v[20:21] offset:48
	;; [unrolled: 1-line block ×4, first 2 shown]
	s_waitcnt vmcnt(0) lgkmcnt(0)
	v_cmp_gt_i16_sdwa s[6:7], v14, s4 src0_sel:BYTE_0 src1_sel:DWORD
	s_mov_b64 s[4:5], 0
	s_and_saveexec_b64 s[8:9], s[6:7]
	s_xor_b64 s[6:7], exec, s[8:9]
	s_cbranch_execnz .LBB13_2305
; %bb.257:
	s_or_saveexec_b64 s[6:7], s[6:7]
	v_mov_b32_e32 v20, s10
	s_xor_b64 exec, exec, s[6:7]
	s_cbranch_execnz .LBB13_2308
.LBB13_258:
	s_or_b64 exec, exec, s[6:7]
	s_and_saveexec_b64 s[6:7], s[4:5]
	s_cbranch_execz .LBB13_260
.LBB13_259:
	v_and_b32_e32 v20, 7, v14
	v_ffbh_u32_e32 v22, v20
	v_min_u32_e32 v22, 32, v22
	v_lshrrev_b16_e32 v21, 3, v14
	v_subrev_u32_e32 v23, 28, v22
	v_and_b32_e32 v21, 15, v21
	v_lshlrev_b32_e32 v23, v23, v14
	v_sub_u32_e32 v22, 29, v22
	v_and_b32_e32 v23, 7, v23
	v_cmp_eq_u16_e32 vcc, 0, v21
	v_cndmask_b32_e32 v20, v20, v23, vcc
	v_cndmask_b32_e32 v21, v21, v22, vcc
	v_lshlrev_b32_e32 v22, 24, v14
	v_mov_b32_e32 v23, 0x3b800000
	v_lshlrev_b32_e32 v20, 20, v20
	v_and_b32_e32 v22, 0x80000000, v22
	v_lshl_add_u32 v21, v21, 23, v23
	v_or3_b32 v20, v22, v21, v20
.LBB13_260:
	s_or_b64 exec, exec, s[6:7]
	s_movk_i32 s4, 0x7f
	v_cmp_gt_i16_sdwa s[6:7], v10, s4 src0_sel:BYTE_0 src1_sel:DWORD
	s_mov_b64 s[4:5], 0
                                        ; implicit-def: $sgpr10
	s_and_saveexec_b64 s[8:9], s[6:7]
	s_xor_b64 s[6:7], exec, s[8:9]
	s_cbranch_execnz .LBB13_2309
; %bb.261:
	s_or_saveexec_b64 s[6:7], s[6:7]
	v_mov_b32_e32 v21, s10
	s_xor_b64 exec, exec, s[6:7]
	s_cbranch_execnz .LBB13_2312
.LBB13_262:
	s_or_b64 exec, exec, s[6:7]
	s_and_saveexec_b64 s[6:7], s[4:5]
	s_cbranch_execz .LBB13_264
.LBB13_263:
	v_and_b32_e32 v21, 7, v10
	v_ffbh_u32_e32 v23, v21
	v_min_u32_e32 v23, 32, v23
	v_lshrrev_b16_e32 v22, 3, v10
	v_subrev_u32_e32 v24, 28, v23
	v_and_b32_e32 v22, 15, v22
	v_lshlrev_b32_e32 v24, v24, v10
	v_sub_u32_e32 v23, 29, v23
	v_and_b32_e32 v24, 7, v24
	v_cmp_eq_u16_e32 vcc, 0, v22
	v_cndmask_b32_e32 v21, v21, v24, vcc
	v_cndmask_b32_e32 v22, v22, v23, vcc
	v_lshlrev_b32_e32 v23, 24, v10
	v_mov_b32_e32 v24, 0x3b800000
	v_lshlrev_b32_e32 v21, 20, v21
	v_and_b32_e32 v23, 0x80000000, v23
	v_lshl_add_u32 v22, v22, 23, v24
	v_or3_b32 v21, v23, v22, v21
.LBB13_264:
	s_or_b64 exec, exec, s[6:7]
	flat_load_dwordx4 a[0:3], v[18:19] offset:400
	s_movk_i32 s4, 0x7f
                                        ; implicit-def: $sgpr10
	s_waitcnt vmcnt(0) lgkmcnt(0)
	v_mfma_f32_16x16x4f32 a[0:3], v20, v21, a[0:3]
	v_lshrrev_b32_e32 v21, 8, v14
	v_cmp_gt_i16_sdwa s[6:7], v21, s4 src0_sel:BYTE_0 src1_sel:DWORD
	s_mov_b64 s[4:5], 0
	s_and_saveexec_b64 s[8:9], s[6:7]
	s_xor_b64 s[6:7], exec, s[8:9]
	s_cbranch_execnz .LBB13_2313
; %bb.265:
	s_or_saveexec_b64 s[6:7], s[6:7]
	v_mov_b32_e32 v20, s10
	s_xor_b64 exec, exec, s[6:7]
	s_cbranch_execnz .LBB13_2316
.LBB13_266:
	s_or_b64 exec, exec, s[6:7]
	s_and_saveexec_b64 s[6:7], s[4:5]
	s_cbranch_execz .LBB13_268
.LBB13_267:
	v_bfe_u32 v20, v14, 8, 3
	v_ffbh_u32_e32 v23, v20
	v_min_u32_e32 v23, 32, v23
	v_lshrrev_b16_e32 v22, 3, v21
	v_subrev_u32_e32 v24, 28, v23
	v_and_b32_e32 v22, 15, v22
	v_lshlrev_b32_e32 v21, v24, v21
	v_sub_u32_e32 v23, 29, v23
	v_and_b32_e32 v21, 7, v21
	v_cmp_eq_u16_e32 vcc, 0, v22
	v_cndmask_b32_e32 v20, v20, v21, vcc
	v_cndmask_b32_e32 v21, v22, v23, vcc
	v_lshlrev_b32_e32 v22, 16, v14
	v_mov_b32_e32 v23, 0x3b800000
	v_lshlrev_b32_e32 v20, 20, v20
	v_and_b32_e32 v22, 0x80000000, v22
	v_lshl_add_u32 v21, v21, 23, v23
	v_or3_b32 v20, v22, v21, v20
.LBB13_268:
	s_or_b64 exec, exec, s[6:7]
	v_lshrrev_b32_e32 v21, 8, v10
	s_movk_i32 s4, 0x7f
	v_cmp_gt_i16_sdwa s[6:7], v21, s4 src0_sel:BYTE_0 src1_sel:DWORD
	s_mov_b64 s[4:5], 0
                                        ; implicit-def: $sgpr10
	s_and_saveexec_b64 s[8:9], s[6:7]
	s_xor_b64 s[6:7], exec, s[8:9]
	s_cbranch_execnz .LBB13_2317
; %bb.269:
	s_or_saveexec_b64 s[6:7], s[6:7]
	v_mov_b32_e32 v22, s10
	s_xor_b64 exec, exec, s[6:7]
	s_cbranch_execnz .LBB13_2320
.LBB13_270:
	s_or_b64 exec, exec, s[6:7]
	s_and_saveexec_b64 s[6:7], s[4:5]
	s_cbranch_execz .LBB13_272
.LBB13_271:
	v_bfe_u32 v22, v10, 8, 3
	v_ffbh_u32_e32 v24, v22
	v_min_u32_e32 v24, 32, v24
	v_lshrrev_b16_e32 v23, 3, v21
	v_subrev_u32_e32 v25, 28, v24
	v_and_b32_e32 v23, 15, v23
	v_lshlrev_b32_e32 v21, v25, v21
	v_sub_u32_e32 v24, 29, v24
	v_and_b32_e32 v21, 7, v21
	v_cmp_eq_u16_e32 vcc, 0, v23
	v_cndmask_b32_e32 v21, v22, v21, vcc
	v_cndmask_b32_e32 v22, v23, v24, vcc
	v_lshlrev_b32_e32 v23, 16, v10
	v_mov_b32_e32 v24, 0x3b800000
	v_lshlrev_b32_e32 v21, 20, v21
	v_and_b32_e32 v23, 0x80000000, v23
	v_lshl_add_u32 v22, v22, 23, v24
	v_or3_b32 v22, v23, v22, v21
.LBB13_272:
	s_or_b64 exec, exec, s[6:7]
	s_nop 0
	v_mfma_f32_16x16x4f32 a[0:3], v20, v22, a[0:3]
	s_movk_i32 s4, 0xff
	v_and_b32_sdwa v21, v14, s4 dst_sel:DWORD dst_unused:UNUSED_PAD src0_sel:WORD_1 src1_sel:DWORD
	s_movk_i32 s4, 0x7f
	v_cmp_lt_i16_e32 vcc, s4, v21
	s_mov_b64 s[4:5], 0
                                        ; implicit-def: $sgpr10
	s_and_saveexec_b64 s[6:7], vcc
	s_xor_b64 s[6:7], exec, s[6:7]
	s_cbranch_execnz .LBB13_2321
; %bb.273:
	s_or_saveexec_b64 s[6:7], s[6:7]
	v_mov_b32_e32 v20, s10
	s_xor_b64 exec, exec, s[6:7]
	s_cbranch_execnz .LBB13_2324
.LBB13_274:
	s_or_b64 exec, exec, s[6:7]
	s_and_saveexec_b64 s[6:7], s[4:5]
	s_cbranch_execz .LBB13_276
.LBB13_275:
	v_bfe_u32 v20, v14, 16, 3
	v_ffbh_u32_e32 v23, v20
	v_min_u32_e32 v23, 32, v23
	v_lshrrev_b32_e32 v21, 19, v14
	v_subrev_u32_e32 v24, 28, v23
	v_and_b32_e32 v21, 15, v21
	v_lshlrev_b32_sdwa v24, v24, v14 dst_sel:DWORD dst_unused:UNUSED_PAD src0_sel:DWORD src1_sel:WORD_1
	v_bfe_u32 v22, v14, 19, 4
	v_sub_u32_e32 v23, 29, v23
	v_and_b32_e32 v24, 7, v24
	v_cmp_eq_u16_e32 vcc, 0, v21
	v_cndmask_b32_e32 v20, v20, v24, vcc
	v_cndmask_b32_e32 v21, v22, v23, vcc
	v_lshlrev_b32_e32 v22, 8, v14
	v_mov_b32_e32 v23, 0x3b800000
	v_lshlrev_b32_e32 v20, 20, v20
	v_and_b32_e32 v22, 0x80000000, v22
	v_lshl_add_u32 v21, v21, 23, v23
	v_or3_b32 v20, v22, v21, v20
.LBB13_276:
	s_or_b64 exec, exec, s[6:7]
	s_movk_i32 s4, 0xff
	v_and_b32_sdwa v21, v10, s4 dst_sel:DWORD dst_unused:UNUSED_PAD src0_sel:WORD_1 src1_sel:DWORD
	s_movk_i32 s4, 0x7f
	v_cmp_lt_i16_e32 vcc, s4, v21
	s_mov_b64 s[4:5], 0
                                        ; implicit-def: $sgpr10
	s_and_saveexec_b64 s[6:7], vcc
	s_xor_b64 s[6:7], exec, s[6:7]
	s_cbranch_execnz .LBB13_2325
; %bb.277:
	s_or_saveexec_b64 s[6:7], s[6:7]
	v_mov_b32_e32 v22, s10
	s_xor_b64 exec, exec, s[6:7]
	s_cbranch_execnz .LBB13_2328
.LBB13_278:
	s_or_b64 exec, exec, s[6:7]
	s_and_saveexec_b64 s[6:7], s[4:5]
	s_cbranch_execz .LBB13_280
.LBB13_279:
	v_bfe_u32 v21, v10, 16, 3
	v_ffbh_u32_e32 v24, v21
	v_min_u32_e32 v24, 32, v24
	v_lshrrev_b32_e32 v22, 19, v10
	v_subrev_u32_e32 v25, 28, v24
	v_and_b32_e32 v22, 15, v22
	v_lshlrev_b32_sdwa v25, v25, v10 dst_sel:DWORD dst_unused:UNUSED_PAD src0_sel:DWORD src1_sel:WORD_1
	v_bfe_u32 v23, v10, 19, 4
	v_sub_u32_e32 v24, 29, v24
	v_and_b32_e32 v25, 7, v25
	v_cmp_eq_u16_e32 vcc, 0, v22
	v_cndmask_b32_e32 v21, v21, v25, vcc
	v_cndmask_b32_e32 v22, v23, v24, vcc
	v_lshlrev_b32_e32 v23, 8, v10
	v_mov_b32_e32 v24, 0x3b800000
	v_lshlrev_b32_e32 v21, 20, v21
	v_and_b32_e32 v23, 0x80000000, v23
	v_lshl_add_u32 v22, v22, 23, v24
	v_or3_b32 v22, v23, v22, v21
.LBB13_280:
	s_or_b64 exec, exec, s[6:7]
	s_nop 0
	v_mfma_f32_16x16x4f32 a[0:3], v20, v22, a[0:3]
	s_movk_i32 s4, 0x7f
	v_cmp_gt_i16_sdwa s[6:7], v14, s4 src0_sel:BYTE_3 src1_sel:DWORD
	s_mov_b64 s[4:5], 0
                                        ; implicit-def: $sgpr10
	s_and_saveexec_b64 s[8:9], s[6:7]
	s_xor_b64 s[6:7], exec, s[8:9]
	s_cbranch_execnz .LBB13_2329
; %bb.281:
	s_or_saveexec_b64 s[6:7], s[6:7]
	v_mov_b32_e32 v20, s10
	s_xor_b64 exec, exec, s[6:7]
	s_cbranch_execnz .LBB13_2332
.LBB13_282:
	s_or_b64 exec, exec, s[6:7]
	s_and_saveexec_b64 s[6:7], s[4:5]
	s_cbranch_execz .LBB13_284
.LBB13_283:
	v_bfe_u32 v20, v14, 24, 3
	v_ffbh_u32_e32 v24, v20
	v_min_u32_e32 v24, 32, v24
	v_lshrrev_b32_e32 v22, 27, v14
	v_subrev_u32_e32 v25, 28, v24
	v_and_b32_e32 v21, 0x80000000, v14
	v_and_b32_e32 v22, 15, v22
	v_bfe_u32 v23, v14, 27, 4
	v_lshlrev_b32_sdwa v14, v25, v14 dst_sel:DWORD dst_unused:UNUSED_PAD src0_sel:DWORD src1_sel:BYTE_3
	v_sub_u32_e32 v24, 29, v24
	v_and_b32_e32 v14, 7, v14
	v_cmp_eq_u16_e32 vcc, 0, v22
	v_cndmask_b32_e32 v14, v20, v14, vcc
	v_cndmask_b32_e32 v20, v23, v24, vcc
	v_mov_b32_e32 v22, 0x3b800000
	v_lshlrev_b32_e32 v14, 20, v14
	v_lshl_add_u32 v20, v20, 23, v22
	v_or3_b32 v20, v21, v20, v14
.LBB13_284:
	s_or_b64 exec, exec, s[6:7]
	s_movk_i32 s4, 0x7f
	v_cmp_gt_i16_sdwa s[6:7], v10, s4 src0_sel:BYTE_3 src1_sel:DWORD
	s_mov_b64 s[4:5], 0
                                        ; implicit-def: $sgpr10
	s_and_saveexec_b64 s[8:9], s[6:7]
	s_xor_b64 s[6:7], exec, s[8:9]
	s_cbranch_execnz .LBB13_2333
; %bb.285:
	s_or_saveexec_b64 s[6:7], s[6:7]
	v_mov_b32_e32 v14, s10
	s_xor_b64 exec, exec, s[6:7]
	s_cbranch_execnz .LBB13_2336
.LBB13_286:
	s_or_b64 exec, exec, s[6:7]
	s_and_saveexec_b64 s[6:7], s[4:5]
	s_cbranch_execz .LBB13_288
.LBB13_287:
	v_bfe_u32 v14, v10, 24, 3
	v_ffbh_u32_e32 v24, v14
	v_min_u32_e32 v24, 32, v24
	v_lshrrev_b32_e32 v22, 27, v10
	v_subrev_u32_e32 v25, 28, v24
	v_and_b32_e32 v21, 0x80000000, v10
	v_and_b32_e32 v22, 15, v22
	v_bfe_u32 v23, v10, 27, 4
	v_lshlrev_b32_sdwa v10, v25, v10 dst_sel:DWORD dst_unused:UNUSED_PAD src0_sel:DWORD src1_sel:BYTE_3
	v_sub_u32_e32 v24, 29, v24
	v_and_b32_e32 v10, 7, v10
	v_cmp_eq_u16_e32 vcc, 0, v22
	v_cndmask_b32_e32 v10, v14, v10, vcc
	v_cndmask_b32_e32 v14, v23, v24, vcc
	v_mov_b32_e32 v22, 0x3b800000
	v_lshlrev_b32_e32 v10, 20, v10
	v_lshl_add_u32 v14, v14, 23, v22
	v_or3_b32 v14, v21, v14, v10
.LBB13_288:
	s_or_b64 exec, exec, s[6:7]
	s_nop 0
	v_mfma_f32_16x16x4f32 a[0:3], v20, v14, a[0:3]
	s_movk_i32 s4, 0x7f
	v_cmp_gt_i16_sdwa s[6:7], v15, s4 src0_sel:BYTE_0 src1_sel:DWORD
	s_mov_b64 s[4:5], 0
                                        ; implicit-def: $sgpr10
	s_and_saveexec_b64 s[8:9], s[6:7]
	s_xor_b64 s[6:7], exec, s[8:9]
	s_cbranch_execnz .LBB13_2337
; %bb.289:
	s_or_saveexec_b64 s[6:7], s[6:7]
	v_mov_b32_e32 v10, s10
	s_xor_b64 exec, exec, s[6:7]
	s_cbranch_execnz .LBB13_2340
.LBB13_290:
	s_or_b64 exec, exec, s[6:7]
	s_and_saveexec_b64 s[6:7], s[4:5]
	s_cbranch_execz .LBB13_292
.LBB13_291:
	v_and_b32_e32 v10, 7, v15
	v_ffbh_u32_e32 v20, v10
	v_min_u32_e32 v20, 32, v20
	v_lshrrev_b16_e32 v14, 3, v15
	v_subrev_u32_e32 v21, 28, v20
	v_and_b32_e32 v14, 15, v14
	v_lshlrev_b32_e32 v21, v21, v15
	v_sub_u32_e32 v20, 29, v20
	v_and_b32_e32 v21, 7, v21
	v_cmp_eq_u16_e32 vcc, 0, v14
	v_cndmask_b32_e32 v10, v10, v21, vcc
	v_cndmask_b32_e32 v14, v14, v20, vcc
	v_lshlrev_b32_e32 v20, 24, v15
	v_mov_b32_e32 v21, 0x3b800000
	v_lshlrev_b32_e32 v10, 20, v10
	v_and_b32_e32 v20, 0x80000000, v20
	v_lshl_add_u32 v14, v14, 23, v21
	v_or3_b32 v10, v20, v14, v10
.LBB13_292:
	s_or_b64 exec, exec, s[6:7]
	s_movk_i32 s4, 0x7f
	v_cmp_gt_i16_sdwa s[6:7], v11, s4 src0_sel:BYTE_0 src1_sel:DWORD
	s_mov_b64 s[4:5], 0
                                        ; implicit-def: $sgpr10
	s_and_saveexec_b64 s[8:9], s[6:7]
	s_xor_b64 s[6:7], exec, s[8:9]
	s_cbranch_execnz .LBB13_2341
; %bb.293:
	s_or_saveexec_b64 s[6:7], s[6:7]
	v_mov_b32_e32 v14, s10
	s_xor_b64 exec, exec, s[6:7]
	s_cbranch_execnz .LBB13_2344
.LBB13_294:
	s_or_b64 exec, exec, s[6:7]
	s_and_saveexec_b64 s[6:7], s[4:5]
	s_cbranch_execz .LBB13_296
.LBB13_295:
	v_and_b32_e32 v14, 7, v11
	v_ffbh_u32_e32 v21, v14
	v_min_u32_e32 v21, 32, v21
	v_lshrrev_b16_e32 v20, 3, v11
	v_subrev_u32_e32 v22, 28, v21
	v_and_b32_e32 v20, 15, v20
	v_lshlrev_b32_e32 v22, v22, v11
	v_sub_u32_e32 v21, 29, v21
	v_and_b32_e32 v22, 7, v22
	v_cmp_eq_u16_e32 vcc, 0, v20
	v_cndmask_b32_e32 v14, v14, v22, vcc
	v_cndmask_b32_e32 v20, v20, v21, vcc
	v_lshlrev_b32_e32 v21, 24, v11
	v_mov_b32_e32 v22, 0x3b800000
	v_lshlrev_b32_e32 v14, 20, v14
	v_and_b32_e32 v21, 0x80000000, v21
	v_lshl_add_u32 v20, v20, 23, v22
	v_or3_b32 v14, v21, v20, v14
.LBB13_296:
	s_or_b64 exec, exec, s[6:7]
	s_nop 0
	v_mfma_f32_16x16x4f32 a[0:3], v10, v14, a[0:3]
	v_lshrrev_b32_e32 v14, 8, v15
	s_movk_i32 s4, 0x7f
	v_cmp_gt_i16_sdwa s[6:7], v14, s4 src0_sel:BYTE_0 src1_sel:DWORD
	s_mov_b64 s[4:5], 0
                                        ; implicit-def: $sgpr10
	s_and_saveexec_b64 s[8:9], s[6:7]
	s_xor_b64 s[6:7], exec, s[8:9]
	s_cbranch_execnz .LBB13_2345
; %bb.297:
	s_or_saveexec_b64 s[6:7], s[6:7]
	v_mov_b32_e32 v10, s10
	s_xor_b64 exec, exec, s[6:7]
	s_cbranch_execnz .LBB13_2348
.LBB13_298:
	s_or_b64 exec, exec, s[6:7]
	s_and_saveexec_b64 s[6:7], s[4:5]
	s_cbranch_execz .LBB13_300
.LBB13_299:
	v_bfe_u32 v10, v15, 8, 3
	v_ffbh_u32_e32 v21, v10
	v_min_u32_e32 v21, 32, v21
	v_lshrrev_b16_e32 v20, 3, v14
	v_subrev_u32_e32 v22, 28, v21
	v_and_b32_e32 v20, 15, v20
	v_lshlrev_b32_e32 v14, v22, v14
	v_sub_u32_e32 v21, 29, v21
	v_and_b32_e32 v14, 7, v14
	v_cmp_eq_u16_e32 vcc, 0, v20
	v_cndmask_b32_e32 v10, v10, v14, vcc
	v_cndmask_b32_e32 v14, v20, v21, vcc
	v_lshlrev_b32_e32 v20, 16, v15
	v_mov_b32_e32 v21, 0x3b800000
	v_lshlrev_b32_e32 v10, 20, v10
	v_and_b32_e32 v20, 0x80000000, v20
	v_lshl_add_u32 v14, v14, 23, v21
	v_or3_b32 v10, v20, v14, v10
.LBB13_300:
	s_or_b64 exec, exec, s[6:7]
	v_lshrrev_b32_e32 v14, 8, v11
	s_movk_i32 s4, 0x7f
	v_cmp_gt_i16_sdwa s[6:7], v14, s4 src0_sel:BYTE_0 src1_sel:DWORD
	s_mov_b64 s[4:5], 0
                                        ; implicit-def: $sgpr10
	s_and_saveexec_b64 s[8:9], s[6:7]
	s_xor_b64 s[6:7], exec, s[8:9]
	s_cbranch_execnz .LBB13_2349
; %bb.301:
	s_or_saveexec_b64 s[6:7], s[6:7]
	v_mov_b32_e32 v20, s10
	s_xor_b64 exec, exec, s[6:7]
	s_cbranch_execnz .LBB13_2352
.LBB13_302:
	s_or_b64 exec, exec, s[6:7]
	s_and_saveexec_b64 s[6:7], s[4:5]
	s_cbranch_execz .LBB13_304
.LBB13_303:
	v_bfe_u32 v20, v11, 8, 3
	v_ffbh_u32_e32 v22, v20
	v_min_u32_e32 v22, 32, v22
	v_lshrrev_b16_e32 v21, 3, v14
	v_subrev_u32_e32 v23, 28, v22
	v_and_b32_e32 v21, 15, v21
	v_lshlrev_b32_e32 v14, v23, v14
	v_sub_u32_e32 v22, 29, v22
	v_and_b32_e32 v14, 7, v14
	v_cmp_eq_u16_e32 vcc, 0, v21
	v_cndmask_b32_e32 v14, v20, v14, vcc
	v_cndmask_b32_e32 v20, v21, v22, vcc
	v_lshlrev_b32_e32 v21, 16, v11
	v_mov_b32_e32 v22, 0x3b800000
	v_lshlrev_b32_e32 v14, 20, v14
	v_and_b32_e32 v21, 0x80000000, v21
	v_lshl_add_u32 v20, v20, 23, v22
	v_or3_b32 v20, v21, v20, v14
.LBB13_304:
	s_or_b64 exec, exec, s[6:7]
	s_nop 0
	v_mfma_f32_16x16x4f32 a[0:3], v10, v20, a[0:3]
	s_movk_i32 s4, 0xff
	v_and_b32_sdwa v14, v15, s4 dst_sel:DWORD dst_unused:UNUSED_PAD src0_sel:WORD_1 src1_sel:DWORD
	s_movk_i32 s4, 0x7f
	v_cmp_lt_i16_e32 vcc, s4, v14
	s_mov_b64 s[4:5], 0
                                        ; implicit-def: $sgpr10
	s_and_saveexec_b64 s[6:7], vcc
	s_xor_b64 s[6:7], exec, s[6:7]
	s_cbranch_execnz .LBB13_2353
; %bb.305:
	s_or_saveexec_b64 s[6:7], s[6:7]
	v_mov_b32_e32 v10, s10
	s_xor_b64 exec, exec, s[6:7]
	s_cbranch_execnz .LBB13_2356
.LBB13_306:
	s_or_b64 exec, exec, s[6:7]
	s_and_saveexec_b64 s[6:7], s[4:5]
	s_cbranch_execz .LBB13_308
.LBB13_307:
	v_bfe_u32 v10, v15, 16, 3
	v_ffbh_u32_e32 v21, v10
	v_min_u32_e32 v21, 32, v21
	v_lshrrev_b32_e32 v14, 19, v15
	v_subrev_u32_e32 v22, 28, v21
	v_and_b32_e32 v14, 15, v14
	v_lshlrev_b32_sdwa v22, v22, v15 dst_sel:DWORD dst_unused:UNUSED_PAD src0_sel:DWORD src1_sel:WORD_1
	v_bfe_u32 v20, v15, 19, 4
	v_sub_u32_e32 v21, 29, v21
	v_and_b32_e32 v22, 7, v22
	v_cmp_eq_u16_e32 vcc, 0, v14
	v_cndmask_b32_e32 v10, v10, v22, vcc
	v_cndmask_b32_e32 v14, v20, v21, vcc
	v_lshlrev_b32_e32 v20, 8, v15
	v_mov_b32_e32 v21, 0x3b800000
	v_lshlrev_b32_e32 v10, 20, v10
	v_and_b32_e32 v20, 0x80000000, v20
	v_lshl_add_u32 v14, v14, 23, v21
	v_or3_b32 v10, v20, v14, v10
.LBB13_308:
	s_or_b64 exec, exec, s[6:7]
	s_movk_i32 s4, 0xff
	v_and_b32_sdwa v14, v11, s4 dst_sel:DWORD dst_unused:UNUSED_PAD src0_sel:WORD_1 src1_sel:DWORD
	s_movk_i32 s4, 0x7f
	v_cmp_lt_i16_e32 vcc, s4, v14
	s_mov_b64 s[4:5], 0
                                        ; implicit-def: $sgpr10
	s_and_saveexec_b64 s[6:7], vcc
	s_xor_b64 s[6:7], exec, s[6:7]
	s_cbranch_execnz .LBB13_2357
; %bb.309:
	s_or_saveexec_b64 s[6:7], s[6:7]
	v_mov_b32_e32 v20, s10
	s_xor_b64 exec, exec, s[6:7]
	s_cbranch_execnz .LBB13_2360
.LBB13_310:
	s_or_b64 exec, exec, s[6:7]
	s_and_saveexec_b64 s[6:7], s[4:5]
	s_cbranch_execz .LBB13_312
.LBB13_311:
	v_bfe_u32 v14, v11, 16, 3
	v_ffbh_u32_e32 v22, v14
	v_min_u32_e32 v22, 32, v22
	v_lshrrev_b32_e32 v20, 19, v11
	v_subrev_u32_e32 v23, 28, v22
	v_and_b32_e32 v20, 15, v20
	v_lshlrev_b32_sdwa v23, v23, v11 dst_sel:DWORD dst_unused:UNUSED_PAD src0_sel:DWORD src1_sel:WORD_1
	v_bfe_u32 v21, v11, 19, 4
	v_sub_u32_e32 v22, 29, v22
	v_and_b32_e32 v23, 7, v23
	v_cmp_eq_u16_e32 vcc, 0, v20
	v_cndmask_b32_e32 v14, v14, v23, vcc
	v_cndmask_b32_e32 v20, v21, v22, vcc
	v_lshlrev_b32_e32 v21, 8, v11
	v_mov_b32_e32 v22, 0x3b800000
	v_lshlrev_b32_e32 v14, 20, v14
	v_and_b32_e32 v21, 0x80000000, v21
	v_lshl_add_u32 v20, v20, 23, v22
	v_or3_b32 v20, v21, v20, v14
.LBB13_312:
	s_or_b64 exec, exec, s[6:7]
	s_nop 0
	v_mfma_f32_16x16x4f32 a[0:3], v10, v20, a[0:3]
	s_movk_i32 s4, 0x7f
	v_cmp_gt_i16_sdwa s[6:7], v15, s4 src0_sel:BYTE_3 src1_sel:DWORD
	s_mov_b64 s[4:5], 0
                                        ; implicit-def: $sgpr10
	s_and_saveexec_b64 s[8:9], s[6:7]
	s_xor_b64 s[6:7], exec, s[8:9]
	s_cbranch_execnz .LBB13_2361
; %bb.313:
	s_or_saveexec_b64 s[6:7], s[6:7]
	v_mov_b32_e32 v10, s10
	s_xor_b64 exec, exec, s[6:7]
	s_cbranch_execnz .LBB13_2364
.LBB13_314:
	s_or_b64 exec, exec, s[6:7]
	s_and_saveexec_b64 s[6:7], s[4:5]
	s_cbranch_execz .LBB13_316
.LBB13_315:
	v_bfe_u32 v10, v15, 24, 3
	v_ffbh_u32_e32 v22, v10
	v_min_u32_e32 v22, 32, v22
	v_lshrrev_b32_e32 v20, 27, v15
	v_subrev_u32_e32 v23, 28, v22
	v_and_b32_e32 v14, 0x80000000, v15
	v_and_b32_e32 v20, 15, v20
	v_bfe_u32 v21, v15, 27, 4
	v_lshlrev_b32_sdwa v15, v23, v15 dst_sel:DWORD dst_unused:UNUSED_PAD src0_sel:DWORD src1_sel:BYTE_3
	v_sub_u32_e32 v22, 29, v22
	v_and_b32_e32 v15, 7, v15
	v_cmp_eq_u16_e32 vcc, 0, v20
	v_cndmask_b32_e32 v10, v10, v15, vcc
	v_cndmask_b32_e32 v15, v21, v22, vcc
	v_mov_b32_e32 v20, 0x3b800000
	v_lshlrev_b32_e32 v10, 20, v10
	v_lshl_add_u32 v15, v15, 23, v20
	v_or3_b32 v10, v14, v15, v10
.LBB13_316:
	s_or_b64 exec, exec, s[6:7]
	s_movk_i32 s4, 0x7f
	v_cmp_gt_i16_sdwa s[6:7], v11, s4 src0_sel:BYTE_3 src1_sel:DWORD
	s_mov_b64 s[4:5], 0
                                        ; implicit-def: $sgpr10
	s_and_saveexec_b64 s[8:9], s[6:7]
	s_xor_b64 s[6:7], exec, s[8:9]
	s_cbranch_execnz .LBB13_2365
; %bb.317:
	s_or_saveexec_b64 s[6:7], s[6:7]
	v_mov_b32_e32 v14, s10
	s_xor_b64 exec, exec, s[6:7]
	s_cbranch_execnz .LBB13_2368
.LBB13_318:
	s_or_b64 exec, exec, s[6:7]
	s_and_saveexec_b64 s[6:7], s[4:5]
	s_cbranch_execz .LBB13_320
.LBB13_319:
	v_bfe_u32 v14, v11, 24, 3
	v_ffbh_u32_e32 v22, v14
	v_min_u32_e32 v22, 32, v22
	v_lshrrev_b32_e32 v20, 27, v11
	v_subrev_u32_e32 v23, 28, v22
	v_and_b32_e32 v15, 0x80000000, v11
	v_and_b32_e32 v20, 15, v20
	v_bfe_u32 v21, v11, 27, 4
	v_lshlrev_b32_sdwa v11, v23, v11 dst_sel:DWORD dst_unused:UNUSED_PAD src0_sel:DWORD src1_sel:BYTE_3
	v_sub_u32_e32 v22, 29, v22
	v_and_b32_e32 v11, 7, v11
	v_cmp_eq_u16_e32 vcc, 0, v20
	v_cndmask_b32_e32 v11, v14, v11, vcc
	v_cndmask_b32_e32 v14, v21, v22, vcc
	v_mov_b32_e32 v20, 0x3b800000
	v_lshlrev_b32_e32 v11, 20, v11
	v_lshl_add_u32 v14, v14, 23, v20
	v_or3_b32 v14, v15, v14, v11
.LBB13_320:
	s_or_b64 exec, exec, s[6:7]
	s_nop 0
	v_mfma_f32_16x16x4f32 a[0:3], v10, v14, a[0:3]
	s_movk_i32 s4, 0x7f
	v_cmp_gt_i16_sdwa s[6:7], v16, s4 src0_sel:BYTE_0 src1_sel:DWORD
	s_mov_b64 s[4:5], 0
                                        ; implicit-def: $sgpr10
	s_and_saveexec_b64 s[8:9], s[6:7]
	s_xor_b64 s[6:7], exec, s[8:9]
	s_cbranch_execnz .LBB13_2369
; %bb.321:
	s_or_saveexec_b64 s[6:7], s[6:7]
	v_mov_b32_e32 v10, s10
	s_xor_b64 exec, exec, s[6:7]
	s_cbranch_execnz .LBB13_2372
.LBB13_322:
	s_or_b64 exec, exec, s[6:7]
	s_and_saveexec_b64 s[6:7], s[4:5]
	s_cbranch_execz .LBB13_324
.LBB13_323:
	v_and_b32_e32 v10, 7, v16
	v_ffbh_u32_e32 v14, v10
	v_min_u32_e32 v14, 32, v14
	v_lshrrev_b16_e32 v11, 3, v16
	v_subrev_u32_e32 v15, 28, v14
	v_and_b32_e32 v11, 15, v11
	v_lshlrev_b32_e32 v15, v15, v16
	v_sub_u32_e32 v14, 29, v14
	v_and_b32_e32 v15, 7, v15
	v_cmp_eq_u16_e32 vcc, 0, v11
	v_cndmask_b32_e32 v10, v10, v15, vcc
	v_cndmask_b32_e32 v11, v11, v14, vcc
	v_lshlrev_b32_e32 v14, 24, v16
	v_mov_b32_e32 v15, 0x3b800000
	v_lshlrev_b32_e32 v10, 20, v10
	v_and_b32_e32 v14, 0x80000000, v14
	v_lshl_add_u32 v11, v11, 23, v15
	v_or3_b32 v10, v14, v11, v10
.LBB13_324:
	s_or_b64 exec, exec, s[6:7]
	s_movk_i32 s4, 0x7f
	v_cmp_gt_i16_sdwa s[6:7], v12, s4 src0_sel:BYTE_0 src1_sel:DWORD
	s_mov_b64 s[4:5], 0
                                        ; implicit-def: $sgpr10
	s_and_saveexec_b64 s[8:9], s[6:7]
	s_xor_b64 s[6:7], exec, s[8:9]
	s_cbranch_execnz .LBB13_2373
; %bb.325:
	s_or_saveexec_b64 s[6:7], s[6:7]
	v_mov_b32_e32 v11, s10
	s_xor_b64 exec, exec, s[6:7]
	s_cbranch_execnz .LBB13_2376
.LBB13_326:
	s_or_b64 exec, exec, s[6:7]
	s_and_saveexec_b64 s[6:7], s[4:5]
	s_cbranch_execz .LBB13_328
.LBB13_327:
	v_and_b32_e32 v11, 7, v12
	v_ffbh_u32_e32 v15, v11
	v_min_u32_e32 v15, 32, v15
	v_lshrrev_b16_e32 v14, 3, v12
	v_subrev_u32_e32 v20, 28, v15
	v_and_b32_e32 v14, 15, v14
	v_lshlrev_b32_e32 v20, v20, v12
	v_sub_u32_e32 v15, 29, v15
	v_and_b32_e32 v20, 7, v20
	v_cmp_eq_u16_e32 vcc, 0, v14
	v_cndmask_b32_e32 v11, v11, v20, vcc
	v_cndmask_b32_e32 v14, v14, v15, vcc
	v_lshlrev_b32_e32 v15, 24, v12
	v_mov_b32_e32 v20, 0x3b800000
	v_lshlrev_b32_e32 v11, 20, v11
	v_and_b32_e32 v15, 0x80000000, v15
	v_lshl_add_u32 v14, v14, 23, v20
	v_or3_b32 v11, v15, v14, v11
.LBB13_328:
	s_or_b64 exec, exec, s[6:7]
	s_nop 0
	v_mfma_f32_16x16x4f32 a[0:3], v10, v11, a[0:3]
	v_lshrrev_b32_e32 v11, 8, v16
	s_movk_i32 s4, 0x7f
	v_cmp_gt_i16_sdwa s[6:7], v11, s4 src0_sel:BYTE_0 src1_sel:DWORD
	s_mov_b64 s[4:5], 0
                                        ; implicit-def: $sgpr10
	s_and_saveexec_b64 s[8:9], s[6:7]
	s_xor_b64 s[6:7], exec, s[8:9]
	s_cbranch_execnz .LBB13_2377
; %bb.329:
	s_or_saveexec_b64 s[6:7], s[6:7]
	v_mov_b32_e32 v10, s10
	s_xor_b64 exec, exec, s[6:7]
	s_cbranch_execnz .LBB13_2380
.LBB13_330:
	s_or_b64 exec, exec, s[6:7]
	s_and_saveexec_b64 s[6:7], s[4:5]
	s_cbranch_execz .LBB13_332
.LBB13_331:
	v_bfe_u32 v10, v16, 8, 3
	v_ffbh_u32_e32 v15, v10
	v_min_u32_e32 v15, 32, v15
	v_lshrrev_b16_e32 v14, 3, v11
	v_subrev_u32_e32 v20, 28, v15
	v_and_b32_e32 v14, 15, v14
	v_lshlrev_b32_e32 v11, v20, v11
	v_sub_u32_e32 v15, 29, v15
	v_and_b32_e32 v11, 7, v11
	v_cmp_eq_u16_e32 vcc, 0, v14
	v_cndmask_b32_e32 v10, v10, v11, vcc
	v_cndmask_b32_e32 v11, v14, v15, vcc
	v_lshlrev_b32_e32 v14, 16, v16
	v_mov_b32_e32 v15, 0x3b800000
	v_lshlrev_b32_e32 v10, 20, v10
	v_and_b32_e32 v14, 0x80000000, v14
	v_lshl_add_u32 v11, v11, 23, v15
	v_or3_b32 v10, v14, v11, v10
.LBB13_332:
	s_or_b64 exec, exec, s[6:7]
	v_lshrrev_b32_e32 v11, 8, v12
	s_movk_i32 s4, 0x7f
	v_cmp_gt_i16_sdwa s[6:7], v11, s4 src0_sel:BYTE_0 src1_sel:DWORD
	s_mov_b64 s[4:5], 0
                                        ; implicit-def: $sgpr10
	s_and_saveexec_b64 s[8:9], s[6:7]
	s_xor_b64 s[6:7], exec, s[8:9]
	s_cbranch_execnz .LBB13_2381
; %bb.333:
	s_or_saveexec_b64 s[6:7], s[6:7]
	v_mov_b32_e32 v14, s10
	s_xor_b64 exec, exec, s[6:7]
	s_cbranch_execnz .LBB13_2384
.LBB13_334:
	s_or_b64 exec, exec, s[6:7]
	s_and_saveexec_b64 s[6:7], s[4:5]
	s_cbranch_execz .LBB13_336
.LBB13_335:
	v_bfe_u32 v14, v12, 8, 3
	v_ffbh_u32_e32 v20, v14
	v_min_u32_e32 v20, 32, v20
	v_lshrrev_b16_e32 v15, 3, v11
	v_subrev_u32_e32 v21, 28, v20
	v_and_b32_e32 v15, 15, v15
	v_lshlrev_b32_e32 v11, v21, v11
	v_sub_u32_e32 v20, 29, v20
	v_and_b32_e32 v11, 7, v11
	v_cmp_eq_u16_e32 vcc, 0, v15
	v_cndmask_b32_e32 v11, v14, v11, vcc
	v_cndmask_b32_e32 v14, v15, v20, vcc
	v_lshlrev_b32_e32 v15, 16, v12
	v_mov_b32_e32 v20, 0x3b800000
	v_lshlrev_b32_e32 v11, 20, v11
	v_and_b32_e32 v15, 0x80000000, v15
	v_lshl_add_u32 v14, v14, 23, v20
	v_or3_b32 v14, v15, v14, v11
.LBB13_336:
	s_or_b64 exec, exec, s[6:7]
	s_nop 0
	v_mfma_f32_16x16x4f32 a[0:3], v10, v14, a[0:3]
	s_movk_i32 s4, 0xff
	v_and_b32_sdwa v11, v16, s4 dst_sel:DWORD dst_unused:UNUSED_PAD src0_sel:WORD_1 src1_sel:DWORD
	s_movk_i32 s4, 0x7f
	v_cmp_lt_i16_e32 vcc, s4, v11
	s_mov_b64 s[4:5], 0
                                        ; implicit-def: $sgpr10
	s_and_saveexec_b64 s[6:7], vcc
	s_xor_b64 s[6:7], exec, s[6:7]
	s_cbranch_execnz .LBB13_2385
; %bb.337:
	s_or_saveexec_b64 s[6:7], s[6:7]
	v_mov_b32_e32 v10, s10
	s_xor_b64 exec, exec, s[6:7]
	s_cbranch_execnz .LBB13_2388
.LBB13_338:
	s_or_b64 exec, exec, s[6:7]
	s_and_saveexec_b64 s[6:7], s[4:5]
	s_cbranch_execz .LBB13_340
.LBB13_339:
	v_bfe_u32 v10, v16, 16, 3
	v_ffbh_u32_e32 v15, v10
	v_min_u32_e32 v15, 32, v15
	v_lshrrev_b32_e32 v11, 19, v16
	v_subrev_u32_e32 v20, 28, v15
	v_and_b32_e32 v11, 15, v11
	v_lshlrev_b32_sdwa v20, v20, v16 dst_sel:DWORD dst_unused:UNUSED_PAD src0_sel:DWORD src1_sel:WORD_1
	v_bfe_u32 v14, v16, 19, 4
	v_sub_u32_e32 v15, 29, v15
	v_and_b32_e32 v20, 7, v20
	v_cmp_eq_u16_e32 vcc, 0, v11
	v_cndmask_b32_e32 v10, v10, v20, vcc
	v_cndmask_b32_e32 v11, v14, v15, vcc
	v_lshlrev_b32_e32 v14, 8, v16
	v_mov_b32_e32 v15, 0x3b800000
	v_lshlrev_b32_e32 v10, 20, v10
	v_and_b32_e32 v14, 0x80000000, v14
	v_lshl_add_u32 v11, v11, 23, v15
	v_or3_b32 v10, v14, v11, v10
.LBB13_340:
	s_or_b64 exec, exec, s[6:7]
	s_movk_i32 s4, 0xff
	v_and_b32_sdwa v11, v12, s4 dst_sel:DWORD dst_unused:UNUSED_PAD src0_sel:WORD_1 src1_sel:DWORD
	s_movk_i32 s4, 0x7f
	v_cmp_lt_i16_e32 vcc, s4, v11
	s_mov_b64 s[4:5], 0
                                        ; implicit-def: $sgpr10
	s_and_saveexec_b64 s[6:7], vcc
	s_xor_b64 s[6:7], exec, s[6:7]
	s_cbranch_execnz .LBB13_2389
; %bb.341:
	s_or_saveexec_b64 s[6:7], s[6:7]
	v_mov_b32_e32 v14, s10
	s_xor_b64 exec, exec, s[6:7]
	s_cbranch_execnz .LBB13_2392
.LBB13_342:
	s_or_b64 exec, exec, s[6:7]
	s_and_saveexec_b64 s[6:7], s[4:5]
	s_cbranch_execz .LBB13_344
.LBB13_343:
	v_bfe_u32 v11, v12, 16, 3
	v_ffbh_u32_e32 v20, v11
	v_min_u32_e32 v20, 32, v20
	v_lshrrev_b32_e32 v14, 19, v12
	v_subrev_u32_e32 v21, 28, v20
	v_and_b32_e32 v14, 15, v14
	v_lshlrev_b32_sdwa v21, v21, v12 dst_sel:DWORD dst_unused:UNUSED_PAD src0_sel:DWORD src1_sel:WORD_1
	v_bfe_u32 v15, v12, 19, 4
	v_sub_u32_e32 v20, 29, v20
	v_and_b32_e32 v21, 7, v21
	v_cmp_eq_u16_e32 vcc, 0, v14
	v_cndmask_b32_e32 v11, v11, v21, vcc
	v_cndmask_b32_e32 v14, v15, v20, vcc
	v_lshlrev_b32_e32 v15, 8, v12
	v_mov_b32_e32 v20, 0x3b800000
	v_lshlrev_b32_e32 v11, 20, v11
	v_and_b32_e32 v15, 0x80000000, v15
	v_lshl_add_u32 v14, v14, 23, v20
	v_or3_b32 v14, v15, v14, v11
.LBB13_344:
	s_or_b64 exec, exec, s[6:7]
	s_nop 0
	v_mfma_f32_16x16x4f32 a[0:3], v10, v14, a[0:3]
	s_movk_i32 s4, 0x7f
	v_cmp_gt_i16_sdwa s[6:7], v16, s4 src0_sel:BYTE_3 src1_sel:DWORD
	s_mov_b64 s[4:5], 0
                                        ; implicit-def: $sgpr10
	s_and_saveexec_b64 s[8:9], s[6:7]
	s_xor_b64 s[6:7], exec, s[8:9]
	s_cbranch_execnz .LBB13_2393
; %bb.345:
	s_or_saveexec_b64 s[6:7], s[6:7]
	v_mov_b32_e32 v10, s10
	s_xor_b64 exec, exec, s[6:7]
	s_cbranch_execnz .LBB13_2396
.LBB13_346:
	s_or_b64 exec, exec, s[6:7]
	s_and_saveexec_b64 s[6:7], s[4:5]
	s_cbranch_execz .LBB13_348
.LBB13_347:
	v_bfe_u32 v10, v16, 24, 3
	v_ffbh_u32_e32 v20, v10
	v_min_u32_e32 v20, 32, v20
	v_lshrrev_b32_e32 v14, 27, v16
	v_subrev_u32_e32 v21, 28, v20
	v_and_b32_e32 v11, 0x80000000, v16
	v_and_b32_e32 v14, 15, v14
	v_bfe_u32 v15, v16, 27, 4
	v_lshlrev_b32_sdwa v16, v21, v16 dst_sel:DWORD dst_unused:UNUSED_PAD src0_sel:DWORD src1_sel:BYTE_3
	v_sub_u32_e32 v20, 29, v20
	v_and_b32_e32 v16, 7, v16
	v_cmp_eq_u16_e32 vcc, 0, v14
	v_cndmask_b32_e32 v10, v10, v16, vcc
	v_cndmask_b32_e32 v14, v15, v20, vcc
	v_mov_b32_e32 v15, 0x3b800000
	v_lshlrev_b32_e32 v10, 20, v10
	v_lshl_add_u32 v14, v14, 23, v15
	v_or3_b32 v10, v11, v14, v10
.LBB13_348:
	s_or_b64 exec, exec, s[6:7]
	s_movk_i32 s4, 0x7f
	v_cmp_gt_i16_sdwa s[6:7], v12, s4 src0_sel:BYTE_3 src1_sel:DWORD
	s_mov_b64 s[4:5], 0
                                        ; implicit-def: $sgpr10
	s_and_saveexec_b64 s[8:9], s[6:7]
	s_xor_b64 s[6:7], exec, s[8:9]
	s_cbranch_execnz .LBB13_2397
; %bb.349:
	s_or_saveexec_b64 s[6:7], s[6:7]
	v_mov_b32_e32 v11, s10
	s_xor_b64 exec, exec, s[6:7]
	s_cbranch_execnz .LBB13_2400
.LBB13_350:
	s_or_b64 exec, exec, s[6:7]
	s_and_saveexec_b64 s[6:7], s[4:5]
	s_cbranch_execz .LBB13_352
.LBB13_351:
	v_bfe_u32 v11, v12, 24, 3
	v_ffbh_u32_e32 v20, v11
	v_min_u32_e32 v20, 32, v20
	v_lshrrev_b32_e32 v15, 27, v12
	v_subrev_u32_e32 v21, 28, v20
	v_and_b32_e32 v14, 0x80000000, v12
	v_and_b32_e32 v15, 15, v15
	v_bfe_u32 v16, v12, 27, 4
	v_lshlrev_b32_sdwa v12, v21, v12 dst_sel:DWORD dst_unused:UNUSED_PAD src0_sel:DWORD src1_sel:BYTE_3
	v_sub_u32_e32 v20, 29, v20
	v_and_b32_e32 v12, 7, v12
	v_cmp_eq_u16_e32 vcc, 0, v15
	v_cndmask_b32_e32 v11, v11, v12, vcc
	v_cndmask_b32_e32 v12, v16, v20, vcc
	v_mov_b32_e32 v15, 0x3b800000
	v_lshlrev_b32_e32 v11, 20, v11
	v_lshl_add_u32 v12, v12, 23, v15
	v_or3_b32 v11, v14, v12, v11
.LBB13_352:
	s_or_b64 exec, exec, s[6:7]
	s_nop 0
	v_mfma_f32_16x16x4f32 a[0:3], v10, v11, a[0:3]
	s_movk_i32 s4, 0x7f
	v_cmp_gt_i16_sdwa s[6:7], v17, s4 src0_sel:BYTE_0 src1_sel:DWORD
	s_mov_b64 s[4:5], 0
                                        ; implicit-def: $sgpr10
	s_and_saveexec_b64 s[8:9], s[6:7]
	s_xor_b64 s[6:7], exec, s[8:9]
	s_cbranch_execnz .LBB13_2401
; %bb.353:
	s_or_saveexec_b64 s[6:7], s[6:7]
	v_mov_b32_e32 v10, s10
	s_xor_b64 exec, exec, s[6:7]
	s_cbranch_execnz .LBB13_2404
.LBB13_354:
	s_or_b64 exec, exec, s[6:7]
	s_and_saveexec_b64 s[6:7], s[4:5]
	s_cbranch_execz .LBB13_356
.LBB13_355:
	v_and_b32_e32 v10, 7, v17
	v_ffbh_u32_e32 v12, v10
	v_min_u32_e32 v12, 32, v12
	v_lshrrev_b16_e32 v11, 3, v17
	v_subrev_u32_e32 v14, 28, v12
	v_and_b32_e32 v11, 15, v11
	v_lshlrev_b32_e32 v14, v14, v17
	v_sub_u32_e32 v12, 29, v12
	v_and_b32_e32 v14, 7, v14
	v_cmp_eq_u16_e32 vcc, 0, v11
	v_cndmask_b32_e32 v10, v10, v14, vcc
	v_cndmask_b32_e32 v11, v11, v12, vcc
	v_lshlrev_b32_e32 v12, 24, v17
	v_mov_b32_e32 v14, 0x3b800000
	v_lshlrev_b32_e32 v10, 20, v10
	v_and_b32_e32 v12, 0x80000000, v12
	v_lshl_add_u32 v11, v11, 23, v14
	v_or3_b32 v10, v12, v11, v10
.LBB13_356:
	s_or_b64 exec, exec, s[6:7]
	s_movk_i32 s4, 0x7f
	v_cmp_gt_i16_sdwa s[6:7], v13, s4 src0_sel:BYTE_0 src1_sel:DWORD
	s_mov_b64 s[4:5], 0
                                        ; implicit-def: $sgpr10
	s_and_saveexec_b64 s[8:9], s[6:7]
	s_xor_b64 s[6:7], exec, s[8:9]
	s_cbranch_execnz .LBB13_2405
; %bb.357:
	s_or_saveexec_b64 s[6:7], s[6:7]
	v_mov_b32_e32 v11, s10
	s_xor_b64 exec, exec, s[6:7]
	s_cbranch_execnz .LBB13_2408
.LBB13_358:
	s_or_b64 exec, exec, s[6:7]
	s_and_saveexec_b64 s[6:7], s[4:5]
	s_cbranch_execz .LBB13_360
.LBB13_359:
	v_and_b32_e32 v11, 7, v13
	v_ffbh_u32_e32 v14, v11
	v_min_u32_e32 v14, 32, v14
	v_lshrrev_b16_e32 v12, 3, v13
	v_subrev_u32_e32 v15, 28, v14
	v_and_b32_e32 v12, 15, v12
	v_lshlrev_b32_e32 v15, v15, v13
	v_sub_u32_e32 v14, 29, v14
	v_and_b32_e32 v15, 7, v15
	v_cmp_eq_u16_e32 vcc, 0, v12
	v_cndmask_b32_e32 v11, v11, v15, vcc
	v_cndmask_b32_e32 v12, v12, v14, vcc
	v_lshlrev_b32_e32 v14, 24, v13
	v_mov_b32_e32 v15, 0x3b800000
	v_lshlrev_b32_e32 v11, 20, v11
	v_and_b32_e32 v14, 0x80000000, v14
	v_lshl_add_u32 v12, v12, 23, v15
	v_or3_b32 v11, v14, v12, v11
.LBB13_360:
	s_or_b64 exec, exec, s[6:7]
	s_nop 0
	v_mfma_f32_16x16x4f32 a[0:3], v10, v11, a[0:3]
	v_lshrrev_b32_e32 v11, 8, v17
	s_movk_i32 s4, 0x7f
	v_cmp_gt_i16_sdwa s[6:7], v11, s4 src0_sel:BYTE_0 src1_sel:DWORD
	s_mov_b64 s[4:5], 0
                                        ; implicit-def: $sgpr10
	s_and_saveexec_b64 s[8:9], s[6:7]
	s_xor_b64 s[6:7], exec, s[8:9]
	s_cbranch_execnz .LBB13_2409
; %bb.361:
	s_or_saveexec_b64 s[6:7], s[6:7]
	v_mov_b32_e32 v10, s10
	s_xor_b64 exec, exec, s[6:7]
	s_cbranch_execnz .LBB13_2412
.LBB13_362:
	s_or_b64 exec, exec, s[6:7]
	s_and_saveexec_b64 s[6:7], s[4:5]
	s_cbranch_execz .LBB13_364
.LBB13_363:
	v_bfe_u32 v10, v17, 8, 3
	v_ffbh_u32_e32 v14, v10
	v_min_u32_e32 v14, 32, v14
	v_lshrrev_b16_e32 v12, 3, v11
	v_subrev_u32_e32 v15, 28, v14
	v_and_b32_e32 v12, 15, v12
	v_lshlrev_b32_e32 v11, v15, v11
	v_sub_u32_e32 v14, 29, v14
	v_and_b32_e32 v11, 7, v11
	v_cmp_eq_u16_e32 vcc, 0, v12
	v_cndmask_b32_e32 v10, v10, v11, vcc
	v_cndmask_b32_e32 v11, v12, v14, vcc
	v_lshlrev_b32_e32 v12, 16, v17
	v_mov_b32_e32 v14, 0x3b800000
	v_lshlrev_b32_e32 v10, 20, v10
	v_and_b32_e32 v12, 0x80000000, v12
	v_lshl_add_u32 v11, v11, 23, v14
	v_or3_b32 v10, v12, v11, v10
.LBB13_364:
	s_or_b64 exec, exec, s[6:7]
	v_lshrrev_b32_e32 v11, 8, v13
	s_movk_i32 s4, 0x7f
	v_cmp_gt_i16_sdwa s[6:7], v11, s4 src0_sel:BYTE_0 src1_sel:DWORD
	s_mov_b64 s[4:5], 0
                                        ; implicit-def: $sgpr10
	s_and_saveexec_b64 s[8:9], s[6:7]
	s_xor_b64 s[6:7], exec, s[8:9]
	s_cbranch_execnz .LBB13_2413
; %bb.365:
	s_or_saveexec_b64 s[6:7], s[6:7]
	v_mov_b32_e32 v12, s10
	s_xor_b64 exec, exec, s[6:7]
	s_cbranch_execnz .LBB13_2416
.LBB13_366:
	s_or_b64 exec, exec, s[6:7]
	s_and_saveexec_b64 s[6:7], s[4:5]
	s_cbranch_execz .LBB13_368
.LBB13_367:
	v_bfe_u32 v12, v13, 8, 3
	v_ffbh_u32_e32 v15, v12
	v_min_u32_e32 v15, 32, v15
	v_lshrrev_b16_e32 v14, 3, v11
	v_subrev_u32_e32 v16, 28, v15
	v_and_b32_e32 v14, 15, v14
	v_lshlrev_b32_e32 v11, v16, v11
	v_sub_u32_e32 v15, 29, v15
	v_and_b32_e32 v11, 7, v11
	v_cmp_eq_u16_e32 vcc, 0, v14
	v_cndmask_b32_e32 v11, v12, v11, vcc
	v_cndmask_b32_e32 v12, v14, v15, vcc
	v_lshlrev_b32_e32 v14, 16, v13
	v_mov_b32_e32 v15, 0x3b800000
	v_lshlrev_b32_e32 v11, 20, v11
	v_and_b32_e32 v14, 0x80000000, v14
	v_lshl_add_u32 v12, v12, 23, v15
	v_or3_b32 v12, v14, v12, v11
.LBB13_368:
	s_or_b64 exec, exec, s[6:7]
	s_nop 0
	v_mfma_f32_16x16x4f32 a[0:3], v10, v12, a[0:3]
	s_movk_i32 s4, 0xff
	v_and_b32_sdwa v11, v17, s4 dst_sel:DWORD dst_unused:UNUSED_PAD src0_sel:WORD_1 src1_sel:DWORD
	s_movk_i32 s4, 0x7f
	v_cmp_lt_i16_e32 vcc, s4, v11
	s_mov_b64 s[4:5], 0
                                        ; implicit-def: $sgpr10
	s_and_saveexec_b64 s[6:7], vcc
	s_xor_b64 s[6:7], exec, s[6:7]
	s_cbranch_execnz .LBB13_2417
; %bb.369:
	s_or_saveexec_b64 s[6:7], s[6:7]
	v_mov_b32_e32 v10, s10
	s_xor_b64 exec, exec, s[6:7]
	s_cbranch_execnz .LBB13_2420
.LBB13_370:
	s_or_b64 exec, exec, s[6:7]
	s_and_saveexec_b64 s[6:7], s[4:5]
	s_cbranch_execz .LBB13_372
.LBB13_371:
	v_bfe_u32 v10, v17, 16, 3
	v_ffbh_u32_e32 v14, v10
	v_min_u32_e32 v14, 32, v14
	v_lshrrev_b32_e32 v11, 19, v17
	v_subrev_u32_e32 v15, 28, v14
	v_and_b32_e32 v11, 15, v11
	v_lshlrev_b32_sdwa v15, v15, v17 dst_sel:DWORD dst_unused:UNUSED_PAD src0_sel:DWORD src1_sel:WORD_1
	v_bfe_u32 v12, v17, 19, 4
	v_sub_u32_e32 v14, 29, v14
	v_and_b32_e32 v15, 7, v15
	v_cmp_eq_u16_e32 vcc, 0, v11
	v_cndmask_b32_e32 v10, v10, v15, vcc
	v_cndmask_b32_e32 v11, v12, v14, vcc
	v_lshlrev_b32_e32 v12, 8, v17
	v_mov_b32_e32 v14, 0x3b800000
	v_lshlrev_b32_e32 v10, 20, v10
	v_and_b32_e32 v12, 0x80000000, v12
	v_lshl_add_u32 v11, v11, 23, v14
	v_or3_b32 v10, v12, v11, v10
.LBB13_372:
	s_or_b64 exec, exec, s[6:7]
	s_movk_i32 s4, 0xff
	v_and_b32_sdwa v11, v13, s4 dst_sel:DWORD dst_unused:UNUSED_PAD src0_sel:WORD_1 src1_sel:DWORD
	s_movk_i32 s4, 0x7f
	v_cmp_lt_i16_e32 vcc, s4, v11
	s_mov_b64 s[4:5], 0
                                        ; implicit-def: $sgpr10
	s_and_saveexec_b64 s[6:7], vcc
	s_xor_b64 s[6:7], exec, s[6:7]
	s_cbranch_execnz .LBB13_2421
; %bb.373:
	s_or_saveexec_b64 s[6:7], s[6:7]
	v_mov_b32_e32 v12, s10
	s_xor_b64 exec, exec, s[6:7]
	s_cbranch_execnz .LBB13_2424
.LBB13_374:
	s_or_b64 exec, exec, s[6:7]
	s_and_saveexec_b64 s[6:7], s[4:5]
	s_cbranch_execz .LBB13_376
.LBB13_375:
	v_bfe_u32 v11, v13, 16, 3
	v_ffbh_u32_e32 v15, v11
	v_min_u32_e32 v15, 32, v15
	v_lshrrev_b32_e32 v12, 19, v13
	v_subrev_u32_e32 v16, 28, v15
	v_and_b32_e32 v12, 15, v12
	v_lshlrev_b32_sdwa v16, v16, v13 dst_sel:DWORD dst_unused:UNUSED_PAD src0_sel:DWORD src1_sel:WORD_1
	v_bfe_u32 v14, v13, 19, 4
	v_sub_u32_e32 v15, 29, v15
	v_and_b32_e32 v16, 7, v16
	v_cmp_eq_u16_e32 vcc, 0, v12
	v_cndmask_b32_e32 v11, v11, v16, vcc
	v_cndmask_b32_e32 v12, v14, v15, vcc
	v_lshlrev_b32_e32 v14, 8, v13
	v_mov_b32_e32 v15, 0x3b800000
	v_lshlrev_b32_e32 v11, 20, v11
	v_and_b32_e32 v14, 0x80000000, v14
	v_lshl_add_u32 v12, v12, 23, v15
	v_or3_b32 v12, v14, v12, v11
.LBB13_376:
	s_or_b64 exec, exec, s[6:7]
	s_nop 0
	v_mfma_f32_16x16x4f32 a[0:3], v10, v12, a[0:3]
	s_movk_i32 s4, 0x7f
	v_cmp_gt_i16_sdwa s[6:7], v17, s4 src0_sel:BYTE_3 src1_sel:DWORD
	s_mov_b64 s[4:5], 0
                                        ; implicit-def: $sgpr10
	s_and_saveexec_b64 s[8:9], s[6:7]
	s_xor_b64 s[6:7], exec, s[8:9]
	s_cbranch_execnz .LBB13_2425
; %bb.377:
	s_or_saveexec_b64 s[6:7], s[6:7]
	v_mov_b32_e32 v10, s10
	s_xor_b64 exec, exec, s[6:7]
	s_cbranch_execnz .LBB13_2428
.LBB13_378:
	s_or_b64 exec, exec, s[6:7]
	s_and_saveexec_b64 s[6:7], s[4:5]
	s_cbranch_execz .LBB13_380
.LBB13_379:
	v_bfe_u32 v10, v17, 24, 3
	v_ffbh_u32_e32 v15, v10
	v_min_u32_e32 v15, 32, v15
	v_lshrrev_b32_e32 v12, 27, v17
	v_subrev_u32_e32 v16, 28, v15
	v_and_b32_e32 v12, 15, v12
	v_lshlrev_b32_sdwa v16, v16, v17 dst_sel:DWORD dst_unused:UNUSED_PAD src0_sel:DWORD src1_sel:BYTE_3
	v_bfe_u32 v14, v17, 27, 4
	v_sub_u32_e32 v15, 29, v15
	v_and_b32_e32 v16, 7, v16
	v_cmp_eq_u16_e32 vcc, 0, v12
	v_cndmask_b32_e32 v10, v10, v16, vcc
	v_cndmask_b32_e32 v12, v14, v15, vcc
	v_mov_b32_e32 v14, 0x3b800000
	v_and_b32_e32 v11, 0x80000000, v17
	v_lshlrev_b32_e32 v10, 20, v10
	v_lshl_add_u32 v12, v12, 23, v14
	v_or3_b32 v10, v11, v12, v10
.LBB13_380:
	s_or_b64 exec, exec, s[6:7]
	s_movk_i32 s4, 0x7f
	v_cmp_gt_i16_sdwa s[6:7], v13, s4 src0_sel:BYTE_3 src1_sel:DWORD
	s_mov_b64 s[4:5], 0
                                        ; implicit-def: $sgpr10
	s_and_saveexec_b64 s[8:9], s[6:7]
	s_xor_b64 s[6:7], exec, s[8:9]
	s_cbranch_execnz .LBB13_2429
; %bb.381:
	s_or_saveexec_b64 s[6:7], s[6:7]
	v_mov_b32_e32 v11, s10
	s_xor_b64 exec, exec, s[6:7]
	s_cbranch_execnz .LBB13_2432
.LBB13_382:
	s_or_b64 exec, exec, s[6:7]
	s_and_saveexec_b64 s[6:7], s[4:5]
	s_cbranch_execz .LBB13_384
.LBB13_383:
	v_bfe_u32 v11, v13, 24, 3
	v_ffbh_u32_e32 v16, v11
	v_min_u32_e32 v16, 32, v16
	v_lshrrev_b32_e32 v14, 27, v13
	v_subrev_u32_e32 v17, 28, v16
	v_and_b32_e32 v12, 0x80000000, v13
	v_and_b32_e32 v14, 15, v14
	v_bfe_u32 v15, v13, 27, 4
	v_lshlrev_b32_sdwa v13, v17, v13 dst_sel:DWORD dst_unused:UNUSED_PAD src0_sel:DWORD src1_sel:BYTE_3
	v_sub_u32_e32 v16, 29, v16
	v_and_b32_e32 v13, 7, v13
	v_cmp_eq_u16_e32 vcc, 0, v14
	v_cndmask_b32_e32 v11, v11, v13, vcc
	v_cndmask_b32_e32 v13, v15, v16, vcc
	v_mov_b32_e32 v14, 0x3b800000
	v_lshlrev_b32_e32 v11, 20, v11
	v_lshl_add_u32 v13, v13, 23, v14
	v_or3_b32 v11, v12, v13, v11
.LBB13_384:
	s_or_b64 exec, exec, s[6:7]
	s_nop 0
	v_mfma_f32_16x16x4f32 a[0:3], v10, v11, a[0:3]
	s_movk_i32 s4, 0x7f
	v_cmp_gt_i16_sdwa s[6:7], v6, s4 src0_sel:BYTE_0 src1_sel:DWORD
	s_mov_b64 s[4:5], 0
                                        ; implicit-def: $sgpr10
	s_and_saveexec_b64 s[8:9], s[6:7]
	s_xor_b64 s[6:7], exec, s[8:9]
	s_cbranch_execnz .LBB13_2433
; %bb.385:
	s_or_saveexec_b64 s[6:7], s[6:7]
	v_mov_b32_e32 v10, s10
	s_xor_b64 exec, exec, s[6:7]
	s_cbranch_execnz .LBB13_2436
.LBB13_386:
	s_or_b64 exec, exec, s[6:7]
	s_and_saveexec_b64 s[6:7], s[4:5]
	s_cbranch_execz .LBB13_388
.LBB13_387:
	v_and_b32_e32 v10, 7, v6
	v_ffbh_u32_e32 v12, v10
	v_min_u32_e32 v12, 32, v12
	v_lshrrev_b16_e32 v11, 3, v6
	v_subrev_u32_e32 v13, 28, v12
	v_and_b32_e32 v11, 15, v11
	v_lshlrev_b32_e32 v13, v13, v6
	v_sub_u32_e32 v12, 29, v12
	v_and_b32_e32 v13, 7, v13
	v_cmp_eq_u16_e32 vcc, 0, v11
	v_cndmask_b32_e32 v10, v10, v13, vcc
	v_cndmask_b32_e32 v11, v11, v12, vcc
	v_lshlrev_b32_e32 v12, 24, v6
	v_mov_b32_e32 v13, 0x3b800000
	v_lshlrev_b32_e32 v10, 20, v10
	v_and_b32_e32 v12, 0x80000000, v12
	v_lshl_add_u32 v11, v11, 23, v13
	v_or3_b32 v10, v12, v11, v10
.LBB13_388:
	s_or_b64 exec, exec, s[6:7]
	s_movk_i32 s4, 0x7f
	v_cmp_gt_i16_sdwa s[6:7], v2, s4 src0_sel:BYTE_0 src1_sel:DWORD
	s_mov_b64 s[4:5], 0
                                        ; implicit-def: $sgpr10
	s_and_saveexec_b64 s[8:9], s[6:7]
	s_xor_b64 s[6:7], exec, s[8:9]
	s_cbranch_execnz .LBB13_2437
; %bb.389:
	s_or_saveexec_b64 s[6:7], s[6:7]
	v_mov_b32_e32 v11, s10
	s_xor_b64 exec, exec, s[6:7]
	s_cbranch_execnz .LBB13_2440
.LBB13_390:
	s_or_b64 exec, exec, s[6:7]
	s_and_saveexec_b64 s[6:7], s[4:5]
	s_cbranch_execz .LBB13_392
.LBB13_391:
	v_and_b32_e32 v11, 7, v2
	v_ffbh_u32_e32 v13, v11
	v_min_u32_e32 v13, 32, v13
	v_lshrrev_b16_e32 v12, 3, v2
	v_subrev_u32_e32 v14, 28, v13
	v_and_b32_e32 v12, 15, v12
	v_lshlrev_b32_e32 v14, v14, v2
	v_sub_u32_e32 v13, 29, v13
	v_and_b32_e32 v14, 7, v14
	v_cmp_eq_u16_e32 vcc, 0, v12
	v_cndmask_b32_e32 v11, v11, v14, vcc
	v_cndmask_b32_e32 v12, v12, v13, vcc
	v_lshlrev_b32_e32 v13, 24, v2
	v_mov_b32_e32 v14, 0x3b800000
	v_lshlrev_b32_e32 v11, 20, v11
	v_and_b32_e32 v13, 0x80000000, v13
	v_lshl_add_u32 v12, v12, 23, v14
	v_or3_b32 v11, v13, v12, v11
.LBB13_392:
	s_or_b64 exec, exec, s[6:7]
	s_nop 0
	v_mfma_f32_16x16x4f32 a[0:3], v10, v11, a[0:3]
	v_lshrrev_b32_e32 v11, 8, v6
	s_movk_i32 s4, 0x7f
	v_cmp_gt_i16_sdwa s[6:7], v11, s4 src0_sel:BYTE_0 src1_sel:DWORD
	s_mov_b64 s[4:5], 0
                                        ; implicit-def: $sgpr10
	s_and_saveexec_b64 s[8:9], s[6:7]
	s_xor_b64 s[6:7], exec, s[8:9]
	s_cbranch_execnz .LBB13_2441
; %bb.393:
	s_or_saveexec_b64 s[6:7], s[6:7]
	v_mov_b32_e32 v10, s10
	s_xor_b64 exec, exec, s[6:7]
	s_cbranch_execnz .LBB13_2444
.LBB13_394:
	s_or_b64 exec, exec, s[6:7]
	s_and_saveexec_b64 s[6:7], s[4:5]
	s_cbranch_execz .LBB13_396
.LBB13_395:
	v_bfe_u32 v10, v6, 8, 3
	v_ffbh_u32_e32 v13, v10
	v_min_u32_e32 v13, 32, v13
	v_lshrrev_b16_e32 v12, 3, v11
	v_subrev_u32_e32 v14, 28, v13
	v_and_b32_e32 v12, 15, v12
	v_lshlrev_b32_e32 v11, v14, v11
	v_sub_u32_e32 v13, 29, v13
	v_and_b32_e32 v11, 7, v11
	v_cmp_eq_u16_e32 vcc, 0, v12
	v_cndmask_b32_e32 v10, v10, v11, vcc
	v_cndmask_b32_e32 v11, v12, v13, vcc
	v_lshlrev_b32_e32 v12, 16, v6
	v_mov_b32_e32 v13, 0x3b800000
	v_lshlrev_b32_e32 v10, 20, v10
	v_and_b32_e32 v12, 0x80000000, v12
	v_lshl_add_u32 v11, v11, 23, v13
	v_or3_b32 v10, v12, v11, v10
.LBB13_396:
	s_or_b64 exec, exec, s[6:7]
	v_lshrrev_b32_e32 v11, 8, v2
	s_movk_i32 s4, 0x7f
	v_cmp_gt_i16_sdwa s[6:7], v11, s4 src0_sel:BYTE_0 src1_sel:DWORD
	s_mov_b64 s[4:5], 0
                                        ; implicit-def: $sgpr10
	s_and_saveexec_b64 s[8:9], s[6:7]
	s_xor_b64 s[6:7], exec, s[8:9]
	s_cbranch_execnz .LBB13_2445
; %bb.397:
	s_or_saveexec_b64 s[6:7], s[6:7]
	v_mov_b32_e32 v12, s10
	s_xor_b64 exec, exec, s[6:7]
	s_cbranch_execnz .LBB13_2448
.LBB13_398:
	s_or_b64 exec, exec, s[6:7]
	s_and_saveexec_b64 s[6:7], s[4:5]
	s_cbranch_execz .LBB13_400
.LBB13_399:
	v_bfe_u32 v12, v2, 8, 3
	v_ffbh_u32_e32 v14, v12
	v_min_u32_e32 v14, 32, v14
	v_lshrrev_b16_e32 v13, 3, v11
	v_subrev_u32_e32 v15, 28, v14
	v_and_b32_e32 v13, 15, v13
	v_lshlrev_b32_e32 v11, v15, v11
	v_sub_u32_e32 v14, 29, v14
	v_and_b32_e32 v11, 7, v11
	v_cmp_eq_u16_e32 vcc, 0, v13
	v_cndmask_b32_e32 v11, v12, v11, vcc
	v_cndmask_b32_e32 v12, v13, v14, vcc
	v_lshlrev_b32_e32 v13, 16, v2
	v_mov_b32_e32 v14, 0x3b800000
	v_lshlrev_b32_e32 v11, 20, v11
	v_and_b32_e32 v13, 0x80000000, v13
	v_lshl_add_u32 v12, v12, 23, v14
	v_or3_b32 v12, v13, v12, v11
.LBB13_400:
	s_or_b64 exec, exec, s[6:7]
	s_nop 0
	v_mfma_f32_16x16x4f32 a[0:3], v10, v12, a[0:3]
	s_movk_i32 s4, 0xff
	v_and_b32_sdwa v11, v6, s4 dst_sel:DWORD dst_unused:UNUSED_PAD src0_sel:WORD_1 src1_sel:DWORD
	s_movk_i32 s4, 0x7f
	v_cmp_lt_i16_e32 vcc, s4, v11
	s_mov_b64 s[4:5], 0
                                        ; implicit-def: $sgpr10
	s_and_saveexec_b64 s[6:7], vcc
	s_xor_b64 s[6:7], exec, s[6:7]
	s_cbranch_execnz .LBB13_2449
; %bb.401:
	s_or_saveexec_b64 s[6:7], s[6:7]
	v_mov_b32_e32 v10, s10
	s_xor_b64 exec, exec, s[6:7]
	s_cbranch_execnz .LBB13_2452
.LBB13_402:
	s_or_b64 exec, exec, s[6:7]
	s_and_saveexec_b64 s[6:7], s[4:5]
	s_cbranch_execz .LBB13_404
.LBB13_403:
	v_bfe_u32 v10, v6, 16, 3
	v_ffbh_u32_e32 v13, v10
	v_min_u32_e32 v13, 32, v13
	v_lshrrev_b32_e32 v11, 19, v6
	v_subrev_u32_e32 v14, 28, v13
	v_and_b32_e32 v11, 15, v11
	v_lshlrev_b32_sdwa v14, v14, v6 dst_sel:DWORD dst_unused:UNUSED_PAD src0_sel:DWORD src1_sel:WORD_1
	v_bfe_u32 v12, v6, 19, 4
	v_sub_u32_e32 v13, 29, v13
	v_and_b32_e32 v14, 7, v14
	v_cmp_eq_u16_e32 vcc, 0, v11
	v_cndmask_b32_e32 v10, v10, v14, vcc
	v_cndmask_b32_e32 v11, v12, v13, vcc
	v_lshlrev_b32_e32 v12, 8, v6
	v_mov_b32_e32 v13, 0x3b800000
	v_lshlrev_b32_e32 v10, 20, v10
	v_and_b32_e32 v12, 0x80000000, v12
	v_lshl_add_u32 v11, v11, 23, v13
	v_or3_b32 v10, v12, v11, v10
.LBB13_404:
	s_or_b64 exec, exec, s[6:7]
	s_movk_i32 s4, 0xff
	v_and_b32_sdwa v11, v2, s4 dst_sel:DWORD dst_unused:UNUSED_PAD src0_sel:WORD_1 src1_sel:DWORD
	s_movk_i32 s4, 0x7f
	v_cmp_lt_i16_e32 vcc, s4, v11
	s_mov_b64 s[4:5], 0
                                        ; implicit-def: $sgpr10
	s_and_saveexec_b64 s[6:7], vcc
	s_xor_b64 s[6:7], exec, s[6:7]
	s_cbranch_execnz .LBB13_2453
; %bb.405:
	s_or_saveexec_b64 s[6:7], s[6:7]
	v_mov_b32_e32 v12, s10
	s_xor_b64 exec, exec, s[6:7]
	s_cbranch_execnz .LBB13_2456
.LBB13_406:
	s_or_b64 exec, exec, s[6:7]
	s_and_saveexec_b64 s[6:7], s[4:5]
	s_cbranch_execz .LBB13_408
.LBB13_407:
	v_bfe_u32 v11, v2, 16, 3
	v_ffbh_u32_e32 v14, v11
	v_min_u32_e32 v14, 32, v14
	v_lshrrev_b32_e32 v12, 19, v2
	v_subrev_u32_e32 v15, 28, v14
	v_and_b32_e32 v12, 15, v12
	v_lshlrev_b32_sdwa v15, v15, v2 dst_sel:DWORD dst_unused:UNUSED_PAD src0_sel:DWORD src1_sel:WORD_1
	v_bfe_u32 v13, v2, 19, 4
	v_sub_u32_e32 v14, 29, v14
	v_and_b32_e32 v15, 7, v15
	v_cmp_eq_u16_e32 vcc, 0, v12
	v_cndmask_b32_e32 v11, v11, v15, vcc
	v_cndmask_b32_e32 v12, v13, v14, vcc
	v_lshlrev_b32_e32 v13, 8, v2
	v_mov_b32_e32 v14, 0x3b800000
	v_lshlrev_b32_e32 v11, 20, v11
	v_and_b32_e32 v13, 0x80000000, v13
	v_lshl_add_u32 v12, v12, 23, v14
	v_or3_b32 v12, v13, v12, v11
.LBB13_408:
	s_or_b64 exec, exec, s[6:7]
	s_nop 0
	v_mfma_f32_16x16x4f32 a[0:3], v10, v12, a[0:3]
	s_movk_i32 s4, 0x7f
	v_cmp_gt_i16_sdwa s[6:7], v6, s4 src0_sel:BYTE_3 src1_sel:DWORD
	s_mov_b64 s[4:5], 0
                                        ; implicit-def: $sgpr10
	s_and_saveexec_b64 s[8:9], s[6:7]
	s_xor_b64 s[6:7], exec, s[8:9]
	s_cbranch_execnz .LBB13_2457
; %bb.409:
	s_or_saveexec_b64 s[6:7], s[6:7]
	v_mov_b32_e32 v10, s10
	s_xor_b64 exec, exec, s[6:7]
	s_cbranch_execnz .LBB13_2460
.LBB13_410:
	s_or_b64 exec, exec, s[6:7]
	s_and_saveexec_b64 s[6:7], s[4:5]
	s_cbranch_execz .LBB13_412
.LBB13_411:
	v_bfe_u32 v10, v6, 24, 3
	v_ffbh_u32_e32 v14, v10
	v_min_u32_e32 v14, 32, v14
	v_lshrrev_b32_e32 v12, 27, v6
	v_subrev_u32_e32 v15, 28, v14
	v_and_b32_e32 v11, 0x80000000, v6
	v_and_b32_e32 v12, 15, v12
	v_bfe_u32 v13, v6, 27, 4
	v_lshlrev_b32_sdwa v6, v15, v6 dst_sel:DWORD dst_unused:UNUSED_PAD src0_sel:DWORD src1_sel:BYTE_3
	v_sub_u32_e32 v14, 29, v14
	v_and_b32_e32 v6, 7, v6
	v_cmp_eq_u16_e32 vcc, 0, v12
	v_cndmask_b32_e32 v6, v10, v6, vcc
	v_cndmask_b32_e32 v10, v13, v14, vcc
	v_mov_b32_e32 v12, 0x3b800000
	v_lshlrev_b32_e32 v6, 20, v6
	v_lshl_add_u32 v10, v10, 23, v12
	v_or3_b32 v10, v11, v10, v6
.LBB13_412:
	s_or_b64 exec, exec, s[6:7]
	s_movk_i32 s4, 0x7f
	v_cmp_gt_i16_sdwa s[6:7], v2, s4 src0_sel:BYTE_3 src1_sel:DWORD
	s_mov_b64 s[4:5], 0
                                        ; implicit-def: $sgpr10
	s_and_saveexec_b64 s[8:9], s[6:7]
	s_xor_b64 s[6:7], exec, s[8:9]
	s_cbranch_execnz .LBB13_2461
; %bb.413:
	s_or_saveexec_b64 s[6:7], s[6:7]
	v_mov_b32_e32 v6, s10
	s_xor_b64 exec, exec, s[6:7]
	s_cbranch_execnz .LBB13_2464
.LBB13_414:
	s_or_b64 exec, exec, s[6:7]
	s_and_saveexec_b64 s[6:7], s[4:5]
	s_cbranch_execz .LBB13_416
.LBB13_415:
	v_bfe_u32 v6, v2, 24, 3
	v_ffbh_u32_e32 v14, v6
	v_min_u32_e32 v14, 32, v14
	v_lshrrev_b32_e32 v12, 27, v2
	v_subrev_u32_e32 v15, 28, v14
	v_and_b32_e32 v11, 0x80000000, v2
	v_and_b32_e32 v12, 15, v12
	v_bfe_u32 v13, v2, 27, 4
	v_lshlrev_b32_sdwa v2, v15, v2 dst_sel:DWORD dst_unused:UNUSED_PAD src0_sel:DWORD src1_sel:BYTE_3
	v_sub_u32_e32 v14, 29, v14
	v_and_b32_e32 v2, 7, v2
	v_cmp_eq_u16_e32 vcc, 0, v12
	v_cndmask_b32_e32 v2, v6, v2, vcc
	v_cndmask_b32_e32 v6, v13, v14, vcc
	v_mov_b32_e32 v12, 0x3b800000
	v_lshlrev_b32_e32 v2, 20, v2
	v_lshl_add_u32 v6, v6, 23, v12
	v_or3_b32 v6, v11, v6, v2
.LBB13_416:
	s_or_b64 exec, exec, s[6:7]
	s_nop 0
	v_mfma_f32_16x16x4f32 a[0:3], v10, v6, a[0:3]
	s_movk_i32 s4, 0x7f
	v_cmp_gt_i16_sdwa s[6:7], v7, s4 src0_sel:BYTE_0 src1_sel:DWORD
	s_mov_b64 s[4:5], 0
                                        ; implicit-def: $sgpr10
	s_and_saveexec_b64 s[8:9], s[6:7]
	s_xor_b64 s[6:7], exec, s[8:9]
	s_cbranch_execnz .LBB13_2465
; %bb.417:
	s_or_saveexec_b64 s[6:7], s[6:7]
	v_mov_b32_e32 v2, s10
	s_xor_b64 exec, exec, s[6:7]
	s_cbranch_execnz .LBB13_2468
.LBB13_418:
	s_or_b64 exec, exec, s[6:7]
	s_and_saveexec_b64 s[6:7], s[4:5]
	s_cbranch_execz .LBB13_420
.LBB13_419:
	v_and_b32_e32 v2, 7, v7
	v_ffbh_u32_e32 v10, v2
	v_min_u32_e32 v10, 32, v10
	v_lshrrev_b16_e32 v6, 3, v7
	v_subrev_u32_e32 v11, 28, v10
	v_and_b32_e32 v6, 15, v6
	v_lshlrev_b32_e32 v11, v11, v7
	v_sub_u32_e32 v10, 29, v10
	v_and_b32_e32 v11, 7, v11
	v_cmp_eq_u16_e32 vcc, 0, v6
	v_cndmask_b32_e32 v2, v2, v11, vcc
	v_cndmask_b32_e32 v6, v6, v10, vcc
	v_lshlrev_b32_e32 v10, 24, v7
	v_mov_b32_e32 v11, 0x3b800000
	v_lshlrev_b32_e32 v2, 20, v2
	v_and_b32_e32 v10, 0x80000000, v10
	v_lshl_add_u32 v6, v6, 23, v11
	v_or3_b32 v2, v10, v6, v2
.LBB13_420:
	s_or_b64 exec, exec, s[6:7]
	s_movk_i32 s4, 0x7f
	v_cmp_gt_i16_sdwa s[6:7], v3, s4 src0_sel:BYTE_0 src1_sel:DWORD
	s_mov_b64 s[4:5], 0
                                        ; implicit-def: $sgpr10
	s_and_saveexec_b64 s[8:9], s[6:7]
	s_xor_b64 s[6:7], exec, s[8:9]
	s_cbranch_execnz .LBB13_2469
; %bb.421:
	s_or_saveexec_b64 s[6:7], s[6:7]
	v_mov_b32_e32 v6, s10
	s_xor_b64 exec, exec, s[6:7]
	s_cbranch_execnz .LBB13_2472
.LBB13_422:
	s_or_b64 exec, exec, s[6:7]
	s_and_saveexec_b64 s[6:7], s[4:5]
	s_cbranch_execz .LBB13_424
.LBB13_423:
	v_and_b32_e32 v6, 7, v3
	v_ffbh_u32_e32 v11, v6
	v_min_u32_e32 v11, 32, v11
	v_lshrrev_b16_e32 v10, 3, v3
	v_subrev_u32_e32 v12, 28, v11
	v_and_b32_e32 v10, 15, v10
	v_lshlrev_b32_e32 v12, v12, v3
	v_sub_u32_e32 v11, 29, v11
	v_and_b32_e32 v12, 7, v12
	v_cmp_eq_u16_e32 vcc, 0, v10
	v_cndmask_b32_e32 v6, v6, v12, vcc
	v_cndmask_b32_e32 v10, v10, v11, vcc
	v_lshlrev_b32_e32 v11, 24, v3
	v_mov_b32_e32 v12, 0x3b800000
	v_lshlrev_b32_e32 v6, 20, v6
	v_and_b32_e32 v11, 0x80000000, v11
	v_lshl_add_u32 v10, v10, 23, v12
	v_or3_b32 v6, v11, v10, v6
.LBB13_424:
	s_or_b64 exec, exec, s[6:7]
	s_nop 0
	v_mfma_f32_16x16x4f32 a[0:3], v2, v6, a[0:3]
	v_lshrrev_b32_e32 v6, 8, v7
	s_movk_i32 s4, 0x7f
	v_cmp_gt_i16_sdwa s[6:7], v6, s4 src0_sel:BYTE_0 src1_sel:DWORD
	s_mov_b64 s[4:5], 0
                                        ; implicit-def: $sgpr10
	s_and_saveexec_b64 s[8:9], s[6:7]
	s_xor_b64 s[6:7], exec, s[8:9]
	s_cbranch_execnz .LBB13_2473
; %bb.425:
	s_or_saveexec_b64 s[6:7], s[6:7]
	v_mov_b32_e32 v2, s10
	s_xor_b64 exec, exec, s[6:7]
	s_cbranch_execnz .LBB13_2476
.LBB13_426:
	s_or_b64 exec, exec, s[6:7]
	s_and_saveexec_b64 s[6:7], s[4:5]
	s_cbranch_execz .LBB13_428
.LBB13_427:
	v_bfe_u32 v2, v7, 8, 3
	v_ffbh_u32_e32 v11, v2
	v_min_u32_e32 v11, 32, v11
	v_lshrrev_b16_e32 v10, 3, v6
	v_subrev_u32_e32 v12, 28, v11
	v_and_b32_e32 v10, 15, v10
	v_lshlrev_b32_e32 v6, v12, v6
	v_sub_u32_e32 v11, 29, v11
	v_and_b32_e32 v6, 7, v6
	v_cmp_eq_u16_e32 vcc, 0, v10
	v_cndmask_b32_e32 v2, v2, v6, vcc
	v_cndmask_b32_e32 v6, v10, v11, vcc
	v_lshlrev_b32_e32 v10, 16, v7
	v_mov_b32_e32 v11, 0x3b800000
	v_lshlrev_b32_e32 v2, 20, v2
	v_and_b32_e32 v10, 0x80000000, v10
	v_lshl_add_u32 v6, v6, 23, v11
	v_or3_b32 v2, v10, v6, v2
.LBB13_428:
	s_or_b64 exec, exec, s[6:7]
	v_lshrrev_b32_e32 v6, 8, v3
	s_movk_i32 s4, 0x7f
	v_cmp_gt_i16_sdwa s[6:7], v6, s4 src0_sel:BYTE_0 src1_sel:DWORD
	s_mov_b64 s[4:5], 0
                                        ; implicit-def: $sgpr10
	s_and_saveexec_b64 s[8:9], s[6:7]
	s_xor_b64 s[6:7], exec, s[8:9]
	s_cbranch_execnz .LBB13_2477
; %bb.429:
	s_or_saveexec_b64 s[6:7], s[6:7]
	v_mov_b32_e32 v10, s10
	s_xor_b64 exec, exec, s[6:7]
	s_cbranch_execnz .LBB13_2480
.LBB13_430:
	s_or_b64 exec, exec, s[6:7]
	s_and_saveexec_b64 s[6:7], s[4:5]
	s_cbranch_execz .LBB13_432
.LBB13_431:
	v_bfe_u32 v10, v3, 8, 3
	v_ffbh_u32_e32 v12, v10
	v_min_u32_e32 v12, 32, v12
	v_lshrrev_b16_e32 v11, 3, v6
	v_subrev_u32_e32 v13, 28, v12
	v_and_b32_e32 v11, 15, v11
	v_lshlrev_b32_e32 v6, v13, v6
	v_sub_u32_e32 v12, 29, v12
	v_and_b32_e32 v6, 7, v6
	v_cmp_eq_u16_e32 vcc, 0, v11
	v_cndmask_b32_e32 v6, v10, v6, vcc
	v_cndmask_b32_e32 v10, v11, v12, vcc
	v_lshlrev_b32_e32 v11, 16, v3
	v_mov_b32_e32 v12, 0x3b800000
	v_lshlrev_b32_e32 v6, 20, v6
	v_and_b32_e32 v11, 0x80000000, v11
	v_lshl_add_u32 v10, v10, 23, v12
	v_or3_b32 v10, v11, v10, v6
.LBB13_432:
	s_or_b64 exec, exec, s[6:7]
	s_nop 0
	v_mfma_f32_16x16x4f32 a[0:3], v2, v10, a[0:3]
	s_movk_i32 s4, 0xff
	v_and_b32_sdwa v6, v7, s4 dst_sel:DWORD dst_unused:UNUSED_PAD src0_sel:WORD_1 src1_sel:DWORD
	s_movk_i32 s4, 0x7f
	v_cmp_lt_i16_e32 vcc, s4, v6
	s_mov_b64 s[4:5], 0
                                        ; implicit-def: $sgpr10
	s_and_saveexec_b64 s[6:7], vcc
	s_xor_b64 s[6:7], exec, s[6:7]
	s_cbranch_execnz .LBB13_2481
; %bb.433:
	s_or_saveexec_b64 s[6:7], s[6:7]
	v_mov_b32_e32 v2, s10
	s_xor_b64 exec, exec, s[6:7]
	s_cbranch_execnz .LBB13_2484
.LBB13_434:
	s_or_b64 exec, exec, s[6:7]
	s_and_saveexec_b64 s[6:7], s[4:5]
	s_cbranch_execz .LBB13_436
.LBB13_435:
	v_bfe_u32 v2, v7, 16, 3
	v_ffbh_u32_e32 v11, v2
	v_min_u32_e32 v11, 32, v11
	v_lshrrev_b32_e32 v6, 19, v7
	v_subrev_u32_e32 v12, 28, v11
	v_and_b32_e32 v6, 15, v6
	v_lshlrev_b32_sdwa v12, v12, v7 dst_sel:DWORD dst_unused:UNUSED_PAD src0_sel:DWORD src1_sel:WORD_1
	v_bfe_u32 v10, v7, 19, 4
	v_sub_u32_e32 v11, 29, v11
	v_and_b32_e32 v12, 7, v12
	v_cmp_eq_u16_e32 vcc, 0, v6
	v_cndmask_b32_e32 v2, v2, v12, vcc
	v_cndmask_b32_e32 v6, v10, v11, vcc
	v_lshlrev_b32_e32 v10, 8, v7
	v_mov_b32_e32 v11, 0x3b800000
	v_lshlrev_b32_e32 v2, 20, v2
	v_and_b32_e32 v10, 0x80000000, v10
	v_lshl_add_u32 v6, v6, 23, v11
	v_or3_b32 v2, v10, v6, v2
.LBB13_436:
	s_or_b64 exec, exec, s[6:7]
	s_movk_i32 s4, 0xff
	v_and_b32_sdwa v6, v3, s4 dst_sel:DWORD dst_unused:UNUSED_PAD src0_sel:WORD_1 src1_sel:DWORD
	s_movk_i32 s4, 0x7f
	v_cmp_lt_i16_e32 vcc, s4, v6
	s_mov_b64 s[4:5], 0
                                        ; implicit-def: $sgpr10
	s_and_saveexec_b64 s[6:7], vcc
	s_xor_b64 s[6:7], exec, s[6:7]
	s_cbranch_execnz .LBB13_2485
; %bb.437:
	s_or_saveexec_b64 s[6:7], s[6:7]
	v_mov_b32_e32 v10, s10
	s_xor_b64 exec, exec, s[6:7]
	s_cbranch_execnz .LBB13_2488
.LBB13_438:
	s_or_b64 exec, exec, s[6:7]
	s_and_saveexec_b64 s[6:7], s[4:5]
	s_cbranch_execz .LBB13_440
.LBB13_439:
	v_bfe_u32 v6, v3, 16, 3
	v_ffbh_u32_e32 v12, v6
	v_min_u32_e32 v12, 32, v12
	v_lshrrev_b32_e32 v10, 19, v3
	v_subrev_u32_e32 v13, 28, v12
	v_and_b32_e32 v10, 15, v10
	v_lshlrev_b32_sdwa v13, v13, v3 dst_sel:DWORD dst_unused:UNUSED_PAD src0_sel:DWORD src1_sel:WORD_1
	v_bfe_u32 v11, v3, 19, 4
	v_sub_u32_e32 v12, 29, v12
	v_and_b32_e32 v13, 7, v13
	v_cmp_eq_u16_e32 vcc, 0, v10
	v_cndmask_b32_e32 v6, v6, v13, vcc
	v_cndmask_b32_e32 v10, v11, v12, vcc
	v_lshlrev_b32_e32 v11, 8, v3
	v_mov_b32_e32 v12, 0x3b800000
	v_lshlrev_b32_e32 v6, 20, v6
	v_and_b32_e32 v11, 0x80000000, v11
	v_lshl_add_u32 v10, v10, 23, v12
	v_or3_b32 v10, v11, v10, v6
.LBB13_440:
	s_or_b64 exec, exec, s[6:7]
	s_nop 0
	v_mfma_f32_16x16x4f32 a[0:3], v2, v10, a[0:3]
	s_movk_i32 s4, 0x7f
	v_cmp_gt_i16_sdwa s[6:7], v7, s4 src0_sel:BYTE_3 src1_sel:DWORD
	s_mov_b64 s[4:5], 0
                                        ; implicit-def: $sgpr10
	s_and_saveexec_b64 s[8:9], s[6:7]
	s_xor_b64 s[6:7], exec, s[8:9]
	s_cbranch_execnz .LBB13_2489
; %bb.441:
	s_or_saveexec_b64 s[6:7], s[6:7]
	v_mov_b32_e32 v2, s10
	s_xor_b64 exec, exec, s[6:7]
	s_cbranch_execnz .LBB13_2492
.LBB13_442:
	s_or_b64 exec, exec, s[6:7]
	s_and_saveexec_b64 s[6:7], s[4:5]
	s_cbranch_execz .LBB13_444
.LBB13_443:
	v_bfe_u32 v2, v7, 24, 3
	v_ffbh_u32_e32 v12, v2
	v_min_u32_e32 v12, 32, v12
	v_lshrrev_b32_e32 v10, 27, v7
	v_subrev_u32_e32 v13, 28, v12
	v_and_b32_e32 v6, 0x80000000, v7
	v_and_b32_e32 v10, 15, v10
	v_bfe_u32 v11, v7, 27, 4
	v_lshlrev_b32_sdwa v7, v13, v7 dst_sel:DWORD dst_unused:UNUSED_PAD src0_sel:DWORD src1_sel:BYTE_3
	v_sub_u32_e32 v12, 29, v12
	v_and_b32_e32 v7, 7, v7
	v_cmp_eq_u16_e32 vcc, 0, v10
	v_cndmask_b32_e32 v2, v2, v7, vcc
	v_cndmask_b32_e32 v7, v11, v12, vcc
	v_mov_b32_e32 v10, 0x3b800000
	v_lshlrev_b32_e32 v2, 20, v2
	v_lshl_add_u32 v7, v7, 23, v10
	v_or3_b32 v2, v6, v7, v2
.LBB13_444:
	s_or_b64 exec, exec, s[6:7]
	s_movk_i32 s4, 0x7f
	v_cmp_gt_i16_sdwa s[6:7], v3, s4 src0_sel:BYTE_3 src1_sel:DWORD
	s_mov_b64 s[4:5], 0
                                        ; implicit-def: $sgpr10
	s_and_saveexec_b64 s[8:9], s[6:7]
	s_xor_b64 s[6:7], exec, s[8:9]
	s_cbranch_execnz .LBB13_2493
; %bb.445:
	s_or_saveexec_b64 s[6:7], s[6:7]
	v_mov_b32_e32 v6, s10
	s_xor_b64 exec, exec, s[6:7]
	s_cbranch_execnz .LBB13_2496
.LBB13_446:
	s_or_b64 exec, exec, s[6:7]
	s_and_saveexec_b64 s[6:7], s[4:5]
	s_cbranch_execz .LBB13_448
.LBB13_447:
	v_bfe_u32 v6, v3, 24, 3
	v_ffbh_u32_e32 v12, v6
	v_min_u32_e32 v12, 32, v12
	v_lshrrev_b32_e32 v10, 27, v3
	v_subrev_u32_e32 v13, 28, v12
	v_and_b32_e32 v7, 0x80000000, v3
	v_and_b32_e32 v10, 15, v10
	v_bfe_u32 v11, v3, 27, 4
	v_lshlrev_b32_sdwa v3, v13, v3 dst_sel:DWORD dst_unused:UNUSED_PAD src0_sel:DWORD src1_sel:BYTE_3
	v_sub_u32_e32 v12, 29, v12
	v_and_b32_e32 v3, 7, v3
	v_cmp_eq_u16_e32 vcc, 0, v10
	v_cndmask_b32_e32 v3, v6, v3, vcc
	v_cndmask_b32_e32 v6, v11, v12, vcc
	v_mov_b32_e32 v10, 0x3b800000
	v_lshlrev_b32_e32 v3, 20, v3
	v_lshl_add_u32 v6, v6, 23, v10
	v_or3_b32 v6, v7, v6, v3
.LBB13_448:
	s_or_b64 exec, exec, s[6:7]
	s_nop 0
	v_mfma_f32_16x16x4f32 a[0:3], v2, v6, a[0:3]
	s_movk_i32 s4, 0x7f
	v_cmp_gt_i16_sdwa s[6:7], v8, s4 src0_sel:BYTE_0 src1_sel:DWORD
	s_mov_b64 s[4:5], 0
                                        ; implicit-def: $sgpr10
	s_and_saveexec_b64 s[8:9], s[6:7]
	s_xor_b64 s[6:7], exec, s[8:9]
	s_cbranch_execnz .LBB13_2497
; %bb.449:
	s_or_saveexec_b64 s[6:7], s[6:7]
	v_mov_b32_e32 v2, s10
	s_xor_b64 exec, exec, s[6:7]
	s_cbranch_execnz .LBB13_2500
.LBB13_450:
	s_or_b64 exec, exec, s[6:7]
	s_and_saveexec_b64 s[6:7], s[4:5]
	s_cbranch_execz .LBB13_452
.LBB13_451:
	v_and_b32_e32 v2, 7, v8
	v_ffbh_u32_e32 v6, v2
	v_min_u32_e32 v6, 32, v6
	v_lshrrev_b16_e32 v3, 3, v8
	v_subrev_u32_e32 v7, 28, v6
	v_and_b32_e32 v3, 15, v3
	v_lshlrev_b32_e32 v7, v7, v8
	v_sub_u32_e32 v6, 29, v6
	v_and_b32_e32 v7, 7, v7
	v_cmp_eq_u16_e32 vcc, 0, v3
	v_cndmask_b32_e32 v2, v2, v7, vcc
	v_cndmask_b32_e32 v3, v3, v6, vcc
	v_lshlrev_b32_e32 v6, 24, v8
	v_mov_b32_e32 v7, 0x3b800000
	v_lshlrev_b32_e32 v2, 20, v2
	v_and_b32_e32 v6, 0x80000000, v6
	v_lshl_add_u32 v3, v3, 23, v7
	v_or3_b32 v2, v6, v3, v2
.LBB13_452:
	s_or_b64 exec, exec, s[6:7]
	s_movk_i32 s4, 0x7f
	v_cmp_gt_i16_sdwa s[6:7], v4, s4 src0_sel:BYTE_0 src1_sel:DWORD
	s_mov_b64 s[4:5], 0
                                        ; implicit-def: $sgpr10
	s_and_saveexec_b64 s[8:9], s[6:7]
	s_xor_b64 s[6:7], exec, s[8:9]
	s_cbranch_execnz .LBB13_2501
; %bb.453:
	s_or_saveexec_b64 s[6:7], s[6:7]
	v_mov_b32_e32 v3, s10
	s_xor_b64 exec, exec, s[6:7]
	s_cbranch_execnz .LBB13_2504
.LBB13_454:
	s_or_b64 exec, exec, s[6:7]
	s_and_saveexec_b64 s[6:7], s[4:5]
	s_cbranch_execz .LBB13_456
.LBB13_455:
	v_and_b32_e32 v3, 7, v4
	v_ffbh_u32_e32 v7, v3
	v_min_u32_e32 v7, 32, v7
	v_lshrrev_b16_e32 v6, 3, v4
	v_subrev_u32_e32 v10, 28, v7
	v_and_b32_e32 v6, 15, v6
	v_lshlrev_b32_e32 v10, v10, v4
	v_sub_u32_e32 v7, 29, v7
	v_and_b32_e32 v10, 7, v10
	v_cmp_eq_u16_e32 vcc, 0, v6
	v_cndmask_b32_e32 v3, v3, v10, vcc
	v_cndmask_b32_e32 v6, v6, v7, vcc
	v_lshlrev_b32_e32 v7, 24, v4
	v_mov_b32_e32 v10, 0x3b800000
	v_lshlrev_b32_e32 v3, 20, v3
	v_and_b32_e32 v7, 0x80000000, v7
	v_lshl_add_u32 v6, v6, 23, v10
	v_or3_b32 v3, v7, v6, v3
.LBB13_456:
	s_or_b64 exec, exec, s[6:7]
	s_nop 0
	v_mfma_f32_16x16x4f32 a[0:3], v2, v3, a[0:3]
	v_lshrrev_b32_e32 v3, 8, v8
	s_movk_i32 s4, 0x7f
	v_cmp_gt_i16_sdwa s[6:7], v3, s4 src0_sel:BYTE_0 src1_sel:DWORD
	s_mov_b64 s[4:5], 0
                                        ; implicit-def: $sgpr10
	s_and_saveexec_b64 s[8:9], s[6:7]
	s_xor_b64 s[6:7], exec, s[8:9]
	s_cbranch_execnz .LBB13_2505
; %bb.457:
	s_or_saveexec_b64 s[6:7], s[6:7]
	v_mov_b32_e32 v2, s10
	s_xor_b64 exec, exec, s[6:7]
	s_cbranch_execnz .LBB13_2508
.LBB13_458:
	s_or_b64 exec, exec, s[6:7]
	s_and_saveexec_b64 s[6:7], s[4:5]
	s_cbranch_execz .LBB13_460
.LBB13_459:
	v_bfe_u32 v2, v8, 8, 3
	v_ffbh_u32_e32 v7, v2
	v_min_u32_e32 v7, 32, v7
	v_lshrrev_b16_e32 v6, 3, v3
	v_subrev_u32_e32 v10, 28, v7
	v_and_b32_e32 v6, 15, v6
	v_lshlrev_b32_e32 v3, v10, v3
	v_sub_u32_e32 v7, 29, v7
	v_and_b32_e32 v3, 7, v3
	v_cmp_eq_u16_e32 vcc, 0, v6
	v_cndmask_b32_e32 v2, v2, v3, vcc
	v_cndmask_b32_e32 v3, v6, v7, vcc
	v_lshlrev_b32_e32 v6, 16, v8
	v_mov_b32_e32 v7, 0x3b800000
	v_lshlrev_b32_e32 v2, 20, v2
	v_and_b32_e32 v6, 0x80000000, v6
	v_lshl_add_u32 v3, v3, 23, v7
	v_or3_b32 v2, v6, v3, v2
.LBB13_460:
	s_or_b64 exec, exec, s[6:7]
	v_lshrrev_b32_e32 v3, 8, v4
	s_movk_i32 s4, 0x7f
	v_cmp_gt_i16_sdwa s[6:7], v3, s4 src0_sel:BYTE_0 src1_sel:DWORD
	s_mov_b64 s[4:5], 0
                                        ; implicit-def: $sgpr10
	s_and_saveexec_b64 s[8:9], s[6:7]
	s_xor_b64 s[6:7], exec, s[8:9]
	s_cbranch_execnz .LBB13_2509
; %bb.461:
	s_or_saveexec_b64 s[6:7], s[6:7]
	v_mov_b32_e32 v6, s10
	s_xor_b64 exec, exec, s[6:7]
	s_cbranch_execnz .LBB13_2512
.LBB13_462:
	s_or_b64 exec, exec, s[6:7]
	s_and_saveexec_b64 s[6:7], s[4:5]
	s_cbranch_execz .LBB13_464
.LBB13_463:
	v_bfe_u32 v6, v4, 8, 3
	v_ffbh_u32_e32 v10, v6
	v_min_u32_e32 v10, 32, v10
	v_lshrrev_b16_e32 v7, 3, v3
	v_subrev_u32_e32 v11, 28, v10
	v_and_b32_e32 v7, 15, v7
	v_lshlrev_b32_e32 v3, v11, v3
	v_sub_u32_e32 v10, 29, v10
	v_and_b32_e32 v3, 7, v3
	v_cmp_eq_u16_e32 vcc, 0, v7
	v_cndmask_b32_e32 v3, v6, v3, vcc
	v_cndmask_b32_e32 v6, v7, v10, vcc
	v_lshlrev_b32_e32 v7, 16, v4
	v_mov_b32_e32 v10, 0x3b800000
	v_lshlrev_b32_e32 v3, 20, v3
	v_and_b32_e32 v7, 0x80000000, v7
	v_lshl_add_u32 v6, v6, 23, v10
	v_or3_b32 v6, v7, v6, v3
.LBB13_464:
	s_or_b64 exec, exec, s[6:7]
	s_nop 0
	v_mfma_f32_16x16x4f32 a[0:3], v2, v6, a[0:3]
	s_movk_i32 s4, 0xff
	v_and_b32_sdwa v3, v8, s4 dst_sel:DWORD dst_unused:UNUSED_PAD src0_sel:WORD_1 src1_sel:DWORD
	s_movk_i32 s4, 0x7f
	v_cmp_lt_i16_e32 vcc, s4, v3
	s_mov_b64 s[4:5], 0
                                        ; implicit-def: $sgpr10
	s_and_saveexec_b64 s[6:7], vcc
	s_xor_b64 s[6:7], exec, s[6:7]
	s_cbranch_execnz .LBB13_2513
; %bb.465:
	s_or_saveexec_b64 s[6:7], s[6:7]
	v_mov_b32_e32 v2, s10
	s_xor_b64 exec, exec, s[6:7]
	s_cbranch_execnz .LBB13_2516
.LBB13_466:
	s_or_b64 exec, exec, s[6:7]
	s_and_saveexec_b64 s[6:7], s[4:5]
	s_cbranch_execz .LBB13_468
.LBB13_467:
	v_bfe_u32 v2, v8, 16, 3
	v_ffbh_u32_e32 v7, v2
	v_min_u32_e32 v7, 32, v7
	v_lshrrev_b32_e32 v3, 19, v8
	v_subrev_u32_e32 v10, 28, v7
	v_and_b32_e32 v3, 15, v3
	v_lshlrev_b32_sdwa v10, v10, v8 dst_sel:DWORD dst_unused:UNUSED_PAD src0_sel:DWORD src1_sel:WORD_1
	v_bfe_u32 v6, v8, 19, 4
	v_sub_u32_e32 v7, 29, v7
	v_and_b32_e32 v10, 7, v10
	v_cmp_eq_u16_e32 vcc, 0, v3
	v_cndmask_b32_e32 v2, v2, v10, vcc
	v_cndmask_b32_e32 v3, v6, v7, vcc
	v_lshlrev_b32_e32 v6, 8, v8
	v_mov_b32_e32 v7, 0x3b800000
	v_lshlrev_b32_e32 v2, 20, v2
	v_and_b32_e32 v6, 0x80000000, v6
	v_lshl_add_u32 v3, v3, 23, v7
	v_or3_b32 v2, v6, v3, v2
.LBB13_468:
	s_or_b64 exec, exec, s[6:7]
	s_movk_i32 s4, 0xff
	v_and_b32_sdwa v3, v4, s4 dst_sel:DWORD dst_unused:UNUSED_PAD src0_sel:WORD_1 src1_sel:DWORD
	s_movk_i32 s4, 0x7f
	v_cmp_lt_i16_e32 vcc, s4, v3
	s_mov_b64 s[4:5], 0
                                        ; implicit-def: $sgpr10
	s_and_saveexec_b64 s[6:7], vcc
	s_xor_b64 s[6:7], exec, s[6:7]
	s_cbranch_execnz .LBB13_2517
; %bb.469:
	s_or_saveexec_b64 s[6:7], s[6:7]
	v_mov_b32_e32 v6, s10
	s_xor_b64 exec, exec, s[6:7]
	s_cbranch_execnz .LBB13_2520
.LBB13_470:
	s_or_b64 exec, exec, s[6:7]
	s_and_saveexec_b64 s[6:7], s[4:5]
	s_cbranch_execz .LBB13_472
.LBB13_471:
	v_bfe_u32 v3, v4, 16, 3
	v_ffbh_u32_e32 v10, v3
	v_min_u32_e32 v10, 32, v10
	v_lshrrev_b32_e32 v6, 19, v4
	v_subrev_u32_e32 v11, 28, v10
	v_and_b32_e32 v6, 15, v6
	v_lshlrev_b32_sdwa v11, v11, v4 dst_sel:DWORD dst_unused:UNUSED_PAD src0_sel:DWORD src1_sel:WORD_1
	v_bfe_u32 v7, v4, 19, 4
	v_sub_u32_e32 v10, 29, v10
	v_and_b32_e32 v11, 7, v11
	v_cmp_eq_u16_e32 vcc, 0, v6
	v_cndmask_b32_e32 v3, v3, v11, vcc
	v_cndmask_b32_e32 v6, v7, v10, vcc
	v_lshlrev_b32_e32 v7, 8, v4
	v_mov_b32_e32 v10, 0x3b800000
	v_lshlrev_b32_e32 v3, 20, v3
	v_and_b32_e32 v7, 0x80000000, v7
	v_lshl_add_u32 v6, v6, 23, v10
	v_or3_b32 v6, v7, v6, v3
.LBB13_472:
	s_or_b64 exec, exec, s[6:7]
	s_nop 0
	v_mfma_f32_16x16x4f32 a[0:3], v2, v6, a[0:3]
	s_movk_i32 s4, 0x7f
	v_cmp_gt_i16_sdwa s[6:7], v8, s4 src0_sel:BYTE_3 src1_sel:DWORD
	s_mov_b64 s[4:5], 0
                                        ; implicit-def: $sgpr10
	s_and_saveexec_b64 s[8:9], s[6:7]
	s_xor_b64 s[6:7], exec, s[8:9]
	s_cbranch_execnz .LBB13_2521
; %bb.473:
	s_or_saveexec_b64 s[6:7], s[6:7]
	v_mov_b32_e32 v2, s10
	s_xor_b64 exec, exec, s[6:7]
	s_cbranch_execnz .LBB13_2524
.LBB13_474:
	s_or_b64 exec, exec, s[6:7]
	s_and_saveexec_b64 s[6:7], s[4:5]
	s_cbranch_execz .LBB13_476
.LBB13_475:
	v_bfe_u32 v2, v8, 24, 3
	v_ffbh_u32_e32 v10, v2
	v_min_u32_e32 v10, 32, v10
	v_lshrrev_b32_e32 v6, 27, v8
	v_subrev_u32_e32 v11, 28, v10
	v_and_b32_e32 v3, 0x80000000, v8
	v_and_b32_e32 v6, 15, v6
	v_bfe_u32 v7, v8, 27, 4
	v_lshlrev_b32_sdwa v8, v11, v8 dst_sel:DWORD dst_unused:UNUSED_PAD src0_sel:DWORD src1_sel:BYTE_3
	v_sub_u32_e32 v10, 29, v10
	v_and_b32_e32 v8, 7, v8
	v_cmp_eq_u16_e32 vcc, 0, v6
	v_cndmask_b32_e32 v2, v2, v8, vcc
	v_cndmask_b32_e32 v6, v7, v10, vcc
	v_mov_b32_e32 v7, 0x3b800000
	v_lshlrev_b32_e32 v2, 20, v2
	v_lshl_add_u32 v6, v6, 23, v7
	v_or3_b32 v2, v3, v6, v2
.LBB13_476:
	s_or_b64 exec, exec, s[6:7]
	s_movk_i32 s4, 0x7f
	v_cmp_gt_i16_sdwa s[6:7], v4, s4 src0_sel:BYTE_3 src1_sel:DWORD
	s_mov_b64 s[4:5], 0
                                        ; implicit-def: $sgpr10
	s_and_saveexec_b64 s[8:9], s[6:7]
	s_xor_b64 s[6:7], exec, s[8:9]
	s_cbranch_execnz .LBB13_2525
; %bb.477:
	s_or_saveexec_b64 s[6:7], s[6:7]
	v_mov_b32_e32 v3, s10
	s_xor_b64 exec, exec, s[6:7]
	s_cbranch_execnz .LBB13_2528
.LBB13_478:
	s_or_b64 exec, exec, s[6:7]
	s_and_saveexec_b64 s[6:7], s[4:5]
	s_cbranch_execz .LBB13_480
.LBB13_479:
	v_bfe_u32 v3, v4, 24, 3
	v_ffbh_u32_e32 v10, v3
	v_min_u32_e32 v10, 32, v10
	v_lshrrev_b32_e32 v7, 27, v4
	v_subrev_u32_e32 v11, 28, v10
	v_and_b32_e32 v6, 0x80000000, v4
	v_and_b32_e32 v7, 15, v7
	v_bfe_u32 v8, v4, 27, 4
	v_lshlrev_b32_sdwa v4, v11, v4 dst_sel:DWORD dst_unused:UNUSED_PAD src0_sel:DWORD src1_sel:BYTE_3
	v_sub_u32_e32 v10, 29, v10
	v_and_b32_e32 v4, 7, v4
	v_cmp_eq_u16_e32 vcc, 0, v7
	v_cndmask_b32_e32 v3, v3, v4, vcc
	v_cndmask_b32_e32 v4, v8, v10, vcc
	v_mov_b32_e32 v7, 0x3b800000
	v_lshlrev_b32_e32 v3, 20, v3
	v_lshl_add_u32 v4, v4, 23, v7
	v_or3_b32 v3, v6, v4, v3
.LBB13_480:
	s_or_b64 exec, exec, s[6:7]
	s_nop 0
	v_mfma_f32_16x16x4f32 a[0:3], v2, v3, a[0:3]
	s_movk_i32 s4, 0x7f
	v_cmp_gt_i16_sdwa s[6:7], v9, s4 src0_sel:BYTE_0 src1_sel:DWORD
	s_mov_b64 s[4:5], 0
                                        ; implicit-def: $sgpr10
	s_and_saveexec_b64 s[8:9], s[6:7]
	s_xor_b64 s[6:7], exec, s[8:9]
	s_cbranch_execnz .LBB13_2529
; %bb.481:
	s_or_saveexec_b64 s[6:7], s[6:7]
	v_mov_b32_e32 v2, s10
	s_xor_b64 exec, exec, s[6:7]
	s_cbranch_execnz .LBB13_2532
.LBB13_482:
	s_or_b64 exec, exec, s[6:7]
	s_and_saveexec_b64 s[6:7], s[4:5]
	s_cbranch_execz .LBB13_484
.LBB13_483:
	v_mov_b32_e32 v2, 8
	v_and_b32_e32 v3, 7, v9
	v_lshrrev_b32_sdwa v2, v2, v9 dst_sel:BYTE_1 dst_unused:UNUSED_PAD src0_sel:DWORD src1_sel:DWORD
	v_ffbh_u32_e32 v4, v3
	v_or_b32_sdwa v2, v9, v2 dst_sel:DWORD dst_unused:UNUSED_PAD src0_sel:BYTE_0 src1_sel:DWORD
	v_min_u32_e32 v4, 32, v4
	v_lshrrev_b16_e32 v2, 3, v2
	v_subrev_u32_e32 v6, 28, v4
	v_and_b32_e32 v2, 15, v2
	v_lshlrev_b32_e32 v6, v6, v9
	v_sub_u32_e32 v4, 29, v4
	v_and_b32_e32 v6, 7, v6
	v_cmp_eq_u16_e32 vcc, 0, v2
	v_cndmask_b32_e32 v3, v3, v6, vcc
	v_cndmask_b32_e32 v2, v2, v4, vcc
	v_lshlrev_b32_e32 v4, 24, v9
	v_mov_b32_e32 v6, 0x3b800000
	v_lshlrev_b32_e32 v3, 20, v3
	v_and_b32_e32 v4, 0x80000000, v4
	v_lshl_add_u32 v2, v2, 23, v6
	v_or3_b32 v2, v4, v2, v3
.LBB13_484:
	s_or_b64 exec, exec, s[6:7]
	s_movk_i32 s4, 0x7f
	v_cmp_gt_i16_sdwa s[6:7], v5, s4 src0_sel:BYTE_0 src1_sel:DWORD
	s_mov_b64 s[4:5], 0
                                        ; implicit-def: $sgpr10
	s_and_saveexec_b64 s[8:9], s[6:7]
	s_xor_b64 s[6:7], exec, s[8:9]
	s_cbranch_execnz .LBB13_2533
; %bb.485:
	s_or_saveexec_b64 s[6:7], s[6:7]
	v_mov_b32_e32 v3, s10
	s_xor_b64 exec, exec, s[6:7]
	s_cbranch_execnz .LBB13_2536
.LBB13_486:
	s_or_b64 exec, exec, s[6:7]
	s_and_saveexec_b64 s[6:7], s[4:5]
	s_cbranch_execz .LBB13_488
.LBB13_487:
	v_mov_b32_e32 v3, 8
	v_and_b32_e32 v4, 7, v5
	v_lshrrev_b32_sdwa v3, v3, v5 dst_sel:BYTE_1 dst_unused:UNUSED_PAD src0_sel:DWORD src1_sel:DWORD
	v_ffbh_u32_e32 v6, v4
	v_or_b32_sdwa v3, v5, v3 dst_sel:DWORD dst_unused:UNUSED_PAD src0_sel:BYTE_0 src1_sel:DWORD
	v_min_u32_e32 v6, 32, v6
	v_lshrrev_b16_e32 v3, 3, v3
	v_subrev_u32_e32 v7, 28, v6
	v_and_b32_e32 v3, 15, v3
	v_lshlrev_b32_e32 v7, v7, v5
	v_sub_u32_e32 v6, 29, v6
	v_and_b32_e32 v7, 7, v7
	v_cmp_eq_u16_e32 vcc, 0, v3
	v_cndmask_b32_e32 v4, v4, v7, vcc
	v_cndmask_b32_e32 v3, v3, v6, vcc
	v_lshlrev_b32_e32 v6, 24, v5
	v_mov_b32_e32 v7, 0x3b800000
	v_lshlrev_b32_e32 v4, 20, v4
	v_and_b32_e32 v6, 0x80000000, v6
	v_lshl_add_u32 v3, v3, 23, v7
	v_or3_b32 v3, v6, v3, v4
.LBB13_488:
	s_or_b64 exec, exec, s[6:7]
	s_nop 0
	v_mfma_f32_16x16x4f32 a[0:3], v2, v3, a[0:3]
	v_lshrrev_b32_e32 v3, 8, v9
	s_movk_i32 s4, 0x7f
	v_cmp_gt_i16_sdwa s[6:7], v3, s4 src0_sel:BYTE_0 src1_sel:DWORD
	s_mov_b64 s[4:5], 0
                                        ; implicit-def: $sgpr10
	s_and_saveexec_b64 s[8:9], s[6:7]
	s_xor_b64 s[6:7], exec, s[8:9]
	s_cbranch_execnz .LBB13_2537
; %bb.489:
	s_or_saveexec_b64 s[6:7], s[6:7]
	v_mov_b32_e32 v2, s10
	s_xor_b64 exec, exec, s[6:7]
	s_cbranch_execnz .LBB13_2540
.LBB13_490:
	s_or_b64 exec, exec, s[6:7]
	s_and_saveexec_b64 s[6:7], s[4:5]
	s_cbranch_execz .LBB13_492
.LBB13_491:
	v_bfe_u32 v2, v9, 8, 3
	v_ffbh_u32_e32 v6, v2
	v_min_u32_e32 v6, 32, v6
	v_lshrrev_b16_e32 v4, 3, v3
	v_subrev_u32_e32 v7, 28, v6
	v_and_b32_e32 v4, 15, v4
	v_lshlrev_b32_e32 v3, v7, v3
	v_sub_u32_e32 v6, 29, v6
	v_and_b32_e32 v3, 7, v3
	v_cmp_eq_u16_e32 vcc, 0, v4
	v_cndmask_b32_e32 v2, v2, v3, vcc
	v_cndmask_b32_e32 v3, v4, v6, vcc
	v_lshlrev_b32_e32 v4, 16, v9
	v_mov_b32_e32 v6, 0x3b800000
	v_lshlrev_b32_e32 v2, 20, v2
	v_and_b32_e32 v4, 0x80000000, v4
	v_lshl_add_u32 v3, v3, 23, v6
	v_or3_b32 v2, v4, v3, v2
.LBB13_492:
	s_or_b64 exec, exec, s[6:7]
	v_lshrrev_b32_e32 v3, 8, v5
	s_movk_i32 s4, 0x7f
	v_cmp_gt_i16_sdwa s[6:7], v3, s4 src0_sel:BYTE_0 src1_sel:DWORD
	s_mov_b64 s[4:5], 0
                                        ; implicit-def: $sgpr10
	s_and_saveexec_b64 s[8:9], s[6:7]
	s_xor_b64 s[6:7], exec, s[8:9]
	s_cbranch_execnz .LBB13_2541
; %bb.493:
	s_or_saveexec_b64 s[6:7], s[6:7]
	v_mov_b32_e32 v4, s10
	s_xor_b64 exec, exec, s[6:7]
	s_cbranch_execnz .LBB13_2544
.LBB13_494:
	s_or_b64 exec, exec, s[6:7]
	s_and_saveexec_b64 s[6:7], s[4:5]
	s_cbranch_execz .LBB13_496
.LBB13_495:
	v_bfe_u32 v4, v5, 8, 3
	v_ffbh_u32_e32 v7, v4
	v_min_u32_e32 v7, 32, v7
	v_lshrrev_b16_e32 v6, 3, v3
	v_subrev_u32_e32 v8, 28, v7
	v_and_b32_e32 v6, 15, v6
	v_lshlrev_b32_e32 v3, v8, v3
	v_sub_u32_e32 v7, 29, v7
	v_and_b32_e32 v3, 7, v3
	v_cmp_eq_u16_e32 vcc, 0, v6
	v_cndmask_b32_e32 v3, v4, v3, vcc
	v_cndmask_b32_e32 v4, v6, v7, vcc
	v_lshlrev_b32_e32 v6, 16, v5
	v_mov_b32_e32 v7, 0x3b800000
	v_lshlrev_b32_e32 v3, 20, v3
	v_and_b32_e32 v6, 0x80000000, v6
	v_lshl_add_u32 v4, v4, 23, v7
	v_or3_b32 v4, v6, v4, v3
.LBB13_496:
	s_or_b64 exec, exec, s[6:7]
	s_nop 0
	v_mfma_f32_16x16x4f32 a[0:3], v2, v4, a[0:3]
	s_movk_i32 s4, 0xff
	v_and_b32_sdwa v3, v9, s4 dst_sel:DWORD dst_unused:UNUSED_PAD src0_sel:WORD_1 src1_sel:DWORD
	s_movk_i32 s4, 0x7f
	v_cmp_lt_i16_e32 vcc, s4, v3
	s_mov_b64 s[4:5], 0
                                        ; implicit-def: $sgpr10
	s_and_saveexec_b64 s[6:7], vcc
	s_xor_b64 s[6:7], exec, s[6:7]
	s_cbranch_execnz .LBB13_2545
; %bb.497:
	s_or_saveexec_b64 s[6:7], s[6:7]
	v_mov_b32_e32 v2, s10
	s_xor_b64 exec, exec, s[6:7]
	s_cbranch_execnz .LBB13_2548
.LBB13_498:
	s_or_b64 exec, exec, s[6:7]
	s_and_saveexec_b64 s[6:7], s[4:5]
	s_cbranch_execz .LBB13_500
.LBB13_499:
	v_bfe_u32 v2, v9, 16, 3
	v_ffbh_u32_e32 v6, v2
	v_min_u32_e32 v6, 32, v6
	v_lshrrev_b32_e32 v3, 19, v9
	v_subrev_u32_e32 v7, 28, v6
	v_and_b32_e32 v3, 15, v3
	v_lshlrev_b32_sdwa v7, v7, v9 dst_sel:DWORD dst_unused:UNUSED_PAD src0_sel:DWORD src1_sel:WORD_1
	v_bfe_u32 v4, v9, 19, 4
	v_sub_u32_e32 v6, 29, v6
	v_and_b32_e32 v7, 7, v7
	v_cmp_eq_u16_e32 vcc, 0, v3
	v_cndmask_b32_e32 v2, v2, v7, vcc
	v_cndmask_b32_e32 v3, v4, v6, vcc
	v_lshlrev_b32_e32 v4, 8, v9
	v_mov_b32_e32 v6, 0x3b800000
	v_lshlrev_b32_e32 v2, 20, v2
	v_and_b32_e32 v4, 0x80000000, v4
	v_lshl_add_u32 v3, v3, 23, v6
	v_or3_b32 v2, v4, v3, v2
.LBB13_500:
	s_or_b64 exec, exec, s[6:7]
	s_movk_i32 s4, 0xff
	v_and_b32_sdwa v3, v5, s4 dst_sel:DWORD dst_unused:UNUSED_PAD src0_sel:WORD_1 src1_sel:DWORD
	s_movk_i32 s4, 0x7f
	v_cmp_lt_i16_e32 vcc, s4, v3
	s_mov_b64 s[4:5], 0
                                        ; implicit-def: $sgpr10
	s_and_saveexec_b64 s[6:7], vcc
	s_xor_b64 s[6:7], exec, s[6:7]
	s_cbranch_execnz .LBB13_2549
; %bb.501:
	s_or_saveexec_b64 s[6:7], s[6:7]
	v_mov_b32_e32 v4, s10
	s_xor_b64 exec, exec, s[6:7]
	s_cbranch_execnz .LBB13_2552
.LBB13_502:
	s_or_b64 exec, exec, s[6:7]
	s_and_saveexec_b64 s[6:7], s[4:5]
	s_cbranch_execz .LBB13_504
.LBB13_503:
	v_bfe_u32 v3, v5, 16, 3
	v_ffbh_u32_e32 v7, v3
	v_min_u32_e32 v7, 32, v7
	v_lshrrev_b32_e32 v4, 19, v5
	v_subrev_u32_e32 v8, 28, v7
	v_and_b32_e32 v4, 15, v4
	v_lshlrev_b32_sdwa v8, v8, v5 dst_sel:DWORD dst_unused:UNUSED_PAD src0_sel:DWORD src1_sel:WORD_1
	v_bfe_u32 v6, v5, 19, 4
	v_sub_u32_e32 v7, 29, v7
	v_and_b32_e32 v8, 7, v8
	v_cmp_eq_u16_e32 vcc, 0, v4
	v_cndmask_b32_e32 v3, v3, v8, vcc
	v_cndmask_b32_e32 v4, v6, v7, vcc
	v_lshlrev_b32_e32 v6, 8, v5
	v_mov_b32_e32 v7, 0x3b800000
	v_lshlrev_b32_e32 v3, 20, v3
	v_and_b32_e32 v6, 0x80000000, v6
	v_lshl_add_u32 v4, v4, 23, v7
	v_or3_b32 v4, v6, v4, v3
.LBB13_504:
	s_or_b64 exec, exec, s[6:7]
	s_nop 0
	v_mfma_f32_16x16x4f32 a[0:3], v2, v4, a[0:3]
	s_movk_i32 s4, 0x7f
	v_cmp_gt_i16_sdwa s[6:7], v9, s4 src0_sel:BYTE_3 src1_sel:DWORD
	s_mov_b64 s[4:5], 0
                                        ; implicit-def: $sgpr10
	s_and_saveexec_b64 s[8:9], s[6:7]
	s_xor_b64 s[6:7], exec, s[8:9]
	s_cbranch_execnz .LBB13_2553
; %bb.505:
	s_or_saveexec_b64 s[6:7], s[6:7]
	v_mov_b32_e32 v2, s10
	s_xor_b64 exec, exec, s[6:7]
	s_cbranch_execnz .LBB13_2556
.LBB13_506:
	s_or_b64 exec, exec, s[6:7]
	s_and_saveexec_b64 s[6:7], s[4:5]
	s_cbranch_execz .LBB13_508
.LBB13_507:
	v_bfe_u32 v2, v9, 24, 3
	v_ffbh_u32_e32 v7, v2
	v_min_u32_e32 v7, 32, v7
	v_lshrrev_b32_e32 v4, 27, v9
	v_subrev_u32_e32 v8, 28, v7
	v_and_b32_e32 v4, 15, v4
	v_lshlrev_b32_sdwa v8, v8, v9 dst_sel:DWORD dst_unused:UNUSED_PAD src0_sel:DWORD src1_sel:BYTE_3
	v_bfe_u32 v6, v9, 27, 4
	v_sub_u32_e32 v7, 29, v7
	v_and_b32_e32 v8, 7, v8
	v_cmp_eq_u16_e32 vcc, 0, v4
	v_cndmask_b32_e32 v2, v2, v8, vcc
	v_cndmask_b32_e32 v4, v6, v7, vcc
	v_mov_b32_e32 v6, 0x3b800000
	v_and_b32_e32 v3, 0x80000000, v9
	v_lshlrev_b32_e32 v2, 20, v2
	v_lshl_add_u32 v4, v4, 23, v6
	v_or3_b32 v2, v3, v4, v2
.LBB13_508:
	s_or_b64 exec, exec, s[6:7]
	s_movk_i32 s4, 0x7f
	v_cmp_gt_i16_sdwa s[6:7], v5, s4 src0_sel:BYTE_3 src1_sel:DWORD
	s_mov_b64 s[4:5], 0
                                        ; implicit-def: $sgpr10
	s_and_saveexec_b64 s[8:9], s[6:7]
	s_xor_b64 s[6:7], exec, s[8:9]
	s_cbranch_execnz .LBB13_2557
; %bb.509:
	s_or_saveexec_b64 s[6:7], s[6:7]
	v_mov_b32_e32 v3, s10
	s_xor_b64 exec, exec, s[6:7]
	s_cbranch_execnz .LBB13_2560
.LBB13_510:
	s_or_b64 exec, exec, s[6:7]
	s_and_saveexec_b64 s[6:7], s[4:5]
	s_cbranch_execz .LBB13_512
.LBB13_511:
	v_bfe_u32 v3, v5, 24, 3
	v_ffbh_u32_e32 v8, v3
	v_min_u32_e32 v8, 32, v8
	v_lshrrev_b32_e32 v6, 27, v5
	v_subrev_u32_e32 v9, 28, v8
	v_and_b32_e32 v4, 0x80000000, v5
	v_and_b32_e32 v6, 15, v6
	v_bfe_u32 v7, v5, 27, 4
	v_lshlrev_b32_sdwa v5, v9, v5 dst_sel:DWORD dst_unused:UNUSED_PAD src0_sel:DWORD src1_sel:BYTE_3
	v_sub_u32_e32 v8, 29, v8
	v_and_b32_e32 v5, 7, v5
	v_cmp_eq_u16_e32 vcc, 0, v6
	v_cndmask_b32_e32 v3, v3, v5, vcc
	v_cndmask_b32_e32 v5, v7, v8, vcc
	v_mov_b32_e32 v6, 0x3b800000
	v_lshlrev_b32_e32 v3, 20, v3
	v_lshl_add_u32 v5, v5, 23, v6
	v_or3_b32 v3, v4, v5, v3
.LBB13_512:
	s_or_b64 exec, exec, s[6:7]
	s_nop 0
	v_mfma_f32_16x16x4f32 a[0:3], v2, v3, a[0:3]
	s_movk_i32 s4, 0x7f
                                        ; implicit-def: $sgpr10
	s_nop 7
	s_nop 1
	flat_store_dwordx4 v[18:19], a[0:3] offset:400
	flat_load_dwordx4 v[20:23], v[0:1] offset:16
	s_nop 0
	flat_load_dwordx2 v[18:19], v[0:1] offset:32
	s_waitcnt vmcnt(0) lgkmcnt(0)
	flat_load_dwordx4 v[14:17], v[20:21] offset:32
	flat_load_dwordx4 v[6:9], v[20:21] offset:48
	;; [unrolled: 1-line block ×4, first 2 shown]
	s_waitcnt vmcnt(0) lgkmcnt(0)
	v_cmp_gt_i16_sdwa s[6:7], v14, s4 src0_sel:BYTE_0 src1_sel:DWORD
	s_mov_b64 s[4:5], 0
	s_and_saveexec_b64 s[8:9], s[6:7]
	s_xor_b64 s[6:7], exec, s[8:9]
	s_cbranch_execnz .LBB13_2561
; %bb.513:
	s_or_saveexec_b64 s[6:7], s[6:7]
	v_mov_b32_e32 v20, s10
	s_xor_b64 exec, exec, s[6:7]
	s_cbranch_execnz .LBB13_2564
.LBB13_514:
	s_or_b64 exec, exec, s[6:7]
	s_and_saveexec_b64 s[6:7], s[4:5]
	s_cbranch_execz .LBB13_516
.LBB13_515:
	v_and_b32_e32 v20, 7, v14
	v_ffbh_u32_e32 v22, v20
	v_min_u32_e32 v22, 32, v22
	v_lshrrev_b16_e32 v21, 3, v14
	v_subrev_u32_e32 v23, 28, v22
	v_and_b32_e32 v21, 15, v21
	v_lshlrev_b32_e32 v23, v23, v14
	v_sub_u32_e32 v22, 29, v22
	v_and_b32_e32 v23, 7, v23
	v_cmp_eq_u16_e32 vcc, 0, v21
	v_cndmask_b32_e32 v20, v20, v23, vcc
	v_cndmask_b32_e32 v21, v21, v22, vcc
	v_lshlrev_b32_e32 v22, 24, v14
	v_mov_b32_e32 v23, 0x3b800000
	v_lshlrev_b32_e32 v20, 20, v20
	v_and_b32_e32 v22, 0x80000000, v22
	v_lshl_add_u32 v21, v21, 23, v23
	v_or3_b32 v20, v22, v21, v20
.LBB13_516:
	s_or_b64 exec, exec, s[6:7]
	s_movk_i32 s4, 0x7f
	v_cmp_gt_i16_sdwa s[6:7], v10, s4 src0_sel:BYTE_0 src1_sel:DWORD
	s_mov_b64 s[4:5], 0
                                        ; implicit-def: $sgpr10
	s_and_saveexec_b64 s[8:9], s[6:7]
	s_xor_b64 s[6:7], exec, s[8:9]
	s_cbranch_execnz .LBB13_2565
; %bb.517:
	s_or_saveexec_b64 s[6:7], s[6:7]
	v_mov_b32_e32 v21, s10
	s_xor_b64 exec, exec, s[6:7]
	s_cbranch_execnz .LBB13_2568
.LBB13_518:
	s_or_b64 exec, exec, s[6:7]
	s_and_saveexec_b64 s[6:7], s[4:5]
	s_cbranch_execz .LBB13_520
.LBB13_519:
	v_and_b32_e32 v21, 7, v10
	v_ffbh_u32_e32 v23, v21
	v_min_u32_e32 v23, 32, v23
	v_lshrrev_b16_e32 v22, 3, v10
	v_subrev_u32_e32 v24, 28, v23
	v_and_b32_e32 v22, 15, v22
	v_lshlrev_b32_e32 v24, v24, v10
	v_sub_u32_e32 v23, 29, v23
	v_and_b32_e32 v24, 7, v24
	v_cmp_eq_u16_e32 vcc, 0, v22
	v_cndmask_b32_e32 v21, v21, v24, vcc
	v_cndmask_b32_e32 v22, v22, v23, vcc
	v_lshlrev_b32_e32 v23, 24, v10
	v_mov_b32_e32 v24, 0x3b800000
	v_lshlrev_b32_e32 v21, 20, v21
	v_and_b32_e32 v23, 0x80000000, v23
	v_lshl_add_u32 v22, v22, 23, v24
	v_or3_b32 v21, v23, v22, v21
.LBB13_520:
	s_or_b64 exec, exec, s[6:7]
	flat_load_dwordx4 a[0:3], v[18:19] offset:416
	s_movk_i32 s4, 0x7f
                                        ; implicit-def: $sgpr10
	s_waitcnt vmcnt(0) lgkmcnt(0)
	v_mfma_f32_16x16x4f32 a[0:3], v20, v21, a[0:3]
	v_lshrrev_b32_e32 v21, 8, v14
	v_cmp_gt_i16_sdwa s[6:7], v21, s4 src0_sel:BYTE_0 src1_sel:DWORD
	s_mov_b64 s[4:5], 0
	s_and_saveexec_b64 s[8:9], s[6:7]
	s_xor_b64 s[6:7], exec, s[8:9]
	s_cbranch_execnz .LBB13_2569
; %bb.521:
	s_or_saveexec_b64 s[6:7], s[6:7]
	v_mov_b32_e32 v20, s10
	s_xor_b64 exec, exec, s[6:7]
	s_cbranch_execnz .LBB13_2572
.LBB13_522:
	s_or_b64 exec, exec, s[6:7]
	s_and_saveexec_b64 s[6:7], s[4:5]
	s_cbranch_execz .LBB13_524
.LBB13_523:
	v_bfe_u32 v20, v14, 8, 3
	v_ffbh_u32_e32 v23, v20
	v_min_u32_e32 v23, 32, v23
	v_lshrrev_b16_e32 v22, 3, v21
	v_subrev_u32_e32 v24, 28, v23
	v_and_b32_e32 v22, 15, v22
	v_lshlrev_b32_e32 v21, v24, v21
	v_sub_u32_e32 v23, 29, v23
	v_and_b32_e32 v21, 7, v21
	v_cmp_eq_u16_e32 vcc, 0, v22
	v_cndmask_b32_e32 v20, v20, v21, vcc
	v_cndmask_b32_e32 v21, v22, v23, vcc
	v_lshlrev_b32_e32 v22, 16, v14
	v_mov_b32_e32 v23, 0x3b800000
	v_lshlrev_b32_e32 v20, 20, v20
	v_and_b32_e32 v22, 0x80000000, v22
	v_lshl_add_u32 v21, v21, 23, v23
	v_or3_b32 v20, v22, v21, v20
.LBB13_524:
	s_or_b64 exec, exec, s[6:7]
	v_lshrrev_b32_e32 v21, 8, v10
	s_movk_i32 s4, 0x7f
	v_cmp_gt_i16_sdwa s[6:7], v21, s4 src0_sel:BYTE_0 src1_sel:DWORD
	s_mov_b64 s[4:5], 0
                                        ; implicit-def: $sgpr10
	s_and_saveexec_b64 s[8:9], s[6:7]
	s_xor_b64 s[6:7], exec, s[8:9]
	s_cbranch_execnz .LBB13_2573
; %bb.525:
	s_or_saveexec_b64 s[6:7], s[6:7]
	v_mov_b32_e32 v22, s10
	s_xor_b64 exec, exec, s[6:7]
	s_cbranch_execnz .LBB13_2576
.LBB13_526:
	s_or_b64 exec, exec, s[6:7]
	s_and_saveexec_b64 s[6:7], s[4:5]
	s_cbranch_execz .LBB13_528
.LBB13_527:
	v_bfe_u32 v22, v10, 8, 3
	v_ffbh_u32_e32 v24, v22
	v_min_u32_e32 v24, 32, v24
	v_lshrrev_b16_e32 v23, 3, v21
	v_subrev_u32_e32 v25, 28, v24
	v_and_b32_e32 v23, 15, v23
	v_lshlrev_b32_e32 v21, v25, v21
	v_sub_u32_e32 v24, 29, v24
	v_and_b32_e32 v21, 7, v21
	v_cmp_eq_u16_e32 vcc, 0, v23
	v_cndmask_b32_e32 v21, v22, v21, vcc
	v_cndmask_b32_e32 v22, v23, v24, vcc
	v_lshlrev_b32_e32 v23, 16, v10
	v_mov_b32_e32 v24, 0x3b800000
	v_lshlrev_b32_e32 v21, 20, v21
	v_and_b32_e32 v23, 0x80000000, v23
	v_lshl_add_u32 v22, v22, 23, v24
	v_or3_b32 v22, v23, v22, v21
.LBB13_528:
	s_or_b64 exec, exec, s[6:7]
	s_nop 0
	v_mfma_f32_16x16x4f32 a[0:3], v20, v22, a[0:3]
	s_movk_i32 s4, 0xff
	v_and_b32_sdwa v21, v14, s4 dst_sel:DWORD dst_unused:UNUSED_PAD src0_sel:WORD_1 src1_sel:DWORD
	s_movk_i32 s4, 0x7f
	v_cmp_lt_i16_e32 vcc, s4, v21
	s_mov_b64 s[4:5], 0
                                        ; implicit-def: $sgpr10
	s_and_saveexec_b64 s[6:7], vcc
	s_xor_b64 s[6:7], exec, s[6:7]
	s_cbranch_execnz .LBB13_2577
; %bb.529:
	s_or_saveexec_b64 s[6:7], s[6:7]
	v_mov_b32_e32 v20, s10
	s_xor_b64 exec, exec, s[6:7]
	s_cbranch_execnz .LBB13_2580
.LBB13_530:
	s_or_b64 exec, exec, s[6:7]
	s_and_saveexec_b64 s[6:7], s[4:5]
	s_cbranch_execz .LBB13_532
.LBB13_531:
	v_bfe_u32 v20, v14, 16, 3
	v_ffbh_u32_e32 v23, v20
	v_min_u32_e32 v23, 32, v23
	v_lshrrev_b32_e32 v21, 19, v14
	v_subrev_u32_e32 v24, 28, v23
	v_and_b32_e32 v21, 15, v21
	v_lshlrev_b32_sdwa v24, v24, v14 dst_sel:DWORD dst_unused:UNUSED_PAD src0_sel:DWORD src1_sel:WORD_1
	v_bfe_u32 v22, v14, 19, 4
	v_sub_u32_e32 v23, 29, v23
	v_and_b32_e32 v24, 7, v24
	v_cmp_eq_u16_e32 vcc, 0, v21
	v_cndmask_b32_e32 v20, v20, v24, vcc
	v_cndmask_b32_e32 v21, v22, v23, vcc
	v_lshlrev_b32_e32 v22, 8, v14
	v_mov_b32_e32 v23, 0x3b800000
	v_lshlrev_b32_e32 v20, 20, v20
	v_and_b32_e32 v22, 0x80000000, v22
	v_lshl_add_u32 v21, v21, 23, v23
	v_or3_b32 v20, v22, v21, v20
.LBB13_532:
	s_or_b64 exec, exec, s[6:7]
	s_movk_i32 s4, 0xff
	v_and_b32_sdwa v21, v10, s4 dst_sel:DWORD dst_unused:UNUSED_PAD src0_sel:WORD_1 src1_sel:DWORD
	s_movk_i32 s4, 0x7f
	v_cmp_lt_i16_e32 vcc, s4, v21
	s_mov_b64 s[4:5], 0
                                        ; implicit-def: $sgpr10
	s_and_saveexec_b64 s[6:7], vcc
	s_xor_b64 s[6:7], exec, s[6:7]
	s_cbranch_execnz .LBB13_2581
; %bb.533:
	s_or_saveexec_b64 s[6:7], s[6:7]
	v_mov_b32_e32 v22, s10
	s_xor_b64 exec, exec, s[6:7]
	s_cbranch_execnz .LBB13_2584
.LBB13_534:
	s_or_b64 exec, exec, s[6:7]
	s_and_saveexec_b64 s[6:7], s[4:5]
	s_cbranch_execz .LBB13_536
.LBB13_535:
	v_bfe_u32 v21, v10, 16, 3
	v_ffbh_u32_e32 v24, v21
	v_min_u32_e32 v24, 32, v24
	v_lshrrev_b32_e32 v22, 19, v10
	v_subrev_u32_e32 v25, 28, v24
	v_and_b32_e32 v22, 15, v22
	v_lshlrev_b32_sdwa v25, v25, v10 dst_sel:DWORD dst_unused:UNUSED_PAD src0_sel:DWORD src1_sel:WORD_1
	v_bfe_u32 v23, v10, 19, 4
	v_sub_u32_e32 v24, 29, v24
	v_and_b32_e32 v25, 7, v25
	v_cmp_eq_u16_e32 vcc, 0, v22
	v_cndmask_b32_e32 v21, v21, v25, vcc
	v_cndmask_b32_e32 v22, v23, v24, vcc
	v_lshlrev_b32_e32 v23, 8, v10
	v_mov_b32_e32 v24, 0x3b800000
	v_lshlrev_b32_e32 v21, 20, v21
	v_and_b32_e32 v23, 0x80000000, v23
	v_lshl_add_u32 v22, v22, 23, v24
	v_or3_b32 v22, v23, v22, v21
.LBB13_536:
	s_or_b64 exec, exec, s[6:7]
	s_nop 0
	v_mfma_f32_16x16x4f32 a[0:3], v20, v22, a[0:3]
	s_movk_i32 s4, 0x7f
	v_cmp_gt_i16_sdwa s[6:7], v14, s4 src0_sel:BYTE_3 src1_sel:DWORD
	s_mov_b64 s[4:5], 0
                                        ; implicit-def: $sgpr10
	s_and_saveexec_b64 s[8:9], s[6:7]
	s_xor_b64 s[6:7], exec, s[8:9]
	s_cbranch_execnz .LBB13_2585
; %bb.537:
	s_or_saveexec_b64 s[6:7], s[6:7]
	v_mov_b32_e32 v20, s10
	s_xor_b64 exec, exec, s[6:7]
	s_cbranch_execnz .LBB13_2588
.LBB13_538:
	s_or_b64 exec, exec, s[6:7]
	s_and_saveexec_b64 s[6:7], s[4:5]
	s_cbranch_execz .LBB13_540
.LBB13_539:
	v_bfe_u32 v20, v14, 24, 3
	v_ffbh_u32_e32 v24, v20
	v_min_u32_e32 v24, 32, v24
	v_lshrrev_b32_e32 v22, 27, v14
	v_subrev_u32_e32 v25, 28, v24
	v_and_b32_e32 v21, 0x80000000, v14
	v_and_b32_e32 v22, 15, v22
	v_bfe_u32 v23, v14, 27, 4
	v_lshlrev_b32_sdwa v14, v25, v14 dst_sel:DWORD dst_unused:UNUSED_PAD src0_sel:DWORD src1_sel:BYTE_3
	v_sub_u32_e32 v24, 29, v24
	v_and_b32_e32 v14, 7, v14
	v_cmp_eq_u16_e32 vcc, 0, v22
	v_cndmask_b32_e32 v14, v20, v14, vcc
	v_cndmask_b32_e32 v20, v23, v24, vcc
	v_mov_b32_e32 v22, 0x3b800000
	v_lshlrev_b32_e32 v14, 20, v14
	v_lshl_add_u32 v20, v20, 23, v22
	v_or3_b32 v20, v21, v20, v14
.LBB13_540:
	s_or_b64 exec, exec, s[6:7]
	s_movk_i32 s4, 0x7f
	v_cmp_gt_i16_sdwa s[6:7], v10, s4 src0_sel:BYTE_3 src1_sel:DWORD
	s_mov_b64 s[4:5], 0
                                        ; implicit-def: $sgpr10
	s_and_saveexec_b64 s[8:9], s[6:7]
	s_xor_b64 s[6:7], exec, s[8:9]
	s_cbranch_execnz .LBB13_2589
; %bb.541:
	s_or_saveexec_b64 s[6:7], s[6:7]
	v_mov_b32_e32 v14, s10
	s_xor_b64 exec, exec, s[6:7]
	s_cbranch_execnz .LBB13_2592
.LBB13_542:
	s_or_b64 exec, exec, s[6:7]
	s_and_saveexec_b64 s[6:7], s[4:5]
	s_cbranch_execz .LBB13_544
.LBB13_543:
	v_bfe_u32 v14, v10, 24, 3
	v_ffbh_u32_e32 v24, v14
	v_min_u32_e32 v24, 32, v24
	v_lshrrev_b32_e32 v22, 27, v10
	v_subrev_u32_e32 v25, 28, v24
	v_and_b32_e32 v21, 0x80000000, v10
	v_and_b32_e32 v22, 15, v22
	v_bfe_u32 v23, v10, 27, 4
	v_lshlrev_b32_sdwa v10, v25, v10 dst_sel:DWORD dst_unused:UNUSED_PAD src0_sel:DWORD src1_sel:BYTE_3
	v_sub_u32_e32 v24, 29, v24
	v_and_b32_e32 v10, 7, v10
	v_cmp_eq_u16_e32 vcc, 0, v22
	v_cndmask_b32_e32 v10, v14, v10, vcc
	v_cndmask_b32_e32 v14, v23, v24, vcc
	v_mov_b32_e32 v22, 0x3b800000
	v_lshlrev_b32_e32 v10, 20, v10
	v_lshl_add_u32 v14, v14, 23, v22
	v_or3_b32 v14, v21, v14, v10
.LBB13_544:
	s_or_b64 exec, exec, s[6:7]
	s_nop 0
	v_mfma_f32_16x16x4f32 a[0:3], v20, v14, a[0:3]
	s_movk_i32 s4, 0x7f
	v_cmp_gt_i16_sdwa s[6:7], v15, s4 src0_sel:BYTE_0 src1_sel:DWORD
	s_mov_b64 s[4:5], 0
                                        ; implicit-def: $sgpr10
	s_and_saveexec_b64 s[8:9], s[6:7]
	s_xor_b64 s[6:7], exec, s[8:9]
	s_cbranch_execnz .LBB13_2593
; %bb.545:
	s_or_saveexec_b64 s[6:7], s[6:7]
	v_mov_b32_e32 v10, s10
	s_xor_b64 exec, exec, s[6:7]
	s_cbranch_execnz .LBB13_2596
.LBB13_546:
	s_or_b64 exec, exec, s[6:7]
	s_and_saveexec_b64 s[6:7], s[4:5]
	s_cbranch_execz .LBB13_548
.LBB13_547:
	v_and_b32_e32 v10, 7, v15
	v_ffbh_u32_e32 v20, v10
	v_min_u32_e32 v20, 32, v20
	v_lshrrev_b16_e32 v14, 3, v15
	v_subrev_u32_e32 v21, 28, v20
	v_and_b32_e32 v14, 15, v14
	v_lshlrev_b32_e32 v21, v21, v15
	v_sub_u32_e32 v20, 29, v20
	v_and_b32_e32 v21, 7, v21
	v_cmp_eq_u16_e32 vcc, 0, v14
	v_cndmask_b32_e32 v10, v10, v21, vcc
	v_cndmask_b32_e32 v14, v14, v20, vcc
	v_lshlrev_b32_e32 v20, 24, v15
	v_mov_b32_e32 v21, 0x3b800000
	v_lshlrev_b32_e32 v10, 20, v10
	v_and_b32_e32 v20, 0x80000000, v20
	v_lshl_add_u32 v14, v14, 23, v21
	v_or3_b32 v10, v20, v14, v10
.LBB13_548:
	s_or_b64 exec, exec, s[6:7]
	s_movk_i32 s4, 0x7f
	v_cmp_gt_i16_sdwa s[6:7], v11, s4 src0_sel:BYTE_0 src1_sel:DWORD
	s_mov_b64 s[4:5], 0
                                        ; implicit-def: $sgpr10
	s_and_saveexec_b64 s[8:9], s[6:7]
	s_xor_b64 s[6:7], exec, s[8:9]
	s_cbranch_execnz .LBB13_2597
; %bb.549:
	s_or_saveexec_b64 s[6:7], s[6:7]
	v_mov_b32_e32 v14, s10
	s_xor_b64 exec, exec, s[6:7]
	s_cbranch_execnz .LBB13_2600
.LBB13_550:
	s_or_b64 exec, exec, s[6:7]
	s_and_saveexec_b64 s[6:7], s[4:5]
	s_cbranch_execz .LBB13_552
.LBB13_551:
	v_and_b32_e32 v14, 7, v11
	v_ffbh_u32_e32 v21, v14
	v_min_u32_e32 v21, 32, v21
	v_lshrrev_b16_e32 v20, 3, v11
	v_subrev_u32_e32 v22, 28, v21
	v_and_b32_e32 v20, 15, v20
	v_lshlrev_b32_e32 v22, v22, v11
	v_sub_u32_e32 v21, 29, v21
	v_and_b32_e32 v22, 7, v22
	v_cmp_eq_u16_e32 vcc, 0, v20
	v_cndmask_b32_e32 v14, v14, v22, vcc
	v_cndmask_b32_e32 v20, v20, v21, vcc
	v_lshlrev_b32_e32 v21, 24, v11
	v_mov_b32_e32 v22, 0x3b800000
	v_lshlrev_b32_e32 v14, 20, v14
	v_and_b32_e32 v21, 0x80000000, v21
	v_lshl_add_u32 v20, v20, 23, v22
	v_or3_b32 v14, v21, v20, v14
.LBB13_552:
	s_or_b64 exec, exec, s[6:7]
	s_nop 0
	v_mfma_f32_16x16x4f32 a[0:3], v10, v14, a[0:3]
	v_lshrrev_b32_e32 v14, 8, v15
	s_movk_i32 s4, 0x7f
	v_cmp_gt_i16_sdwa s[6:7], v14, s4 src0_sel:BYTE_0 src1_sel:DWORD
	s_mov_b64 s[4:5], 0
                                        ; implicit-def: $sgpr10
	s_and_saveexec_b64 s[8:9], s[6:7]
	s_xor_b64 s[6:7], exec, s[8:9]
	s_cbranch_execnz .LBB13_2601
; %bb.553:
	s_or_saveexec_b64 s[6:7], s[6:7]
	v_mov_b32_e32 v10, s10
	s_xor_b64 exec, exec, s[6:7]
	s_cbranch_execnz .LBB13_2604
.LBB13_554:
	s_or_b64 exec, exec, s[6:7]
	s_and_saveexec_b64 s[6:7], s[4:5]
	s_cbranch_execz .LBB13_556
.LBB13_555:
	v_bfe_u32 v10, v15, 8, 3
	v_ffbh_u32_e32 v21, v10
	v_min_u32_e32 v21, 32, v21
	v_lshrrev_b16_e32 v20, 3, v14
	v_subrev_u32_e32 v22, 28, v21
	v_and_b32_e32 v20, 15, v20
	v_lshlrev_b32_e32 v14, v22, v14
	v_sub_u32_e32 v21, 29, v21
	v_and_b32_e32 v14, 7, v14
	v_cmp_eq_u16_e32 vcc, 0, v20
	v_cndmask_b32_e32 v10, v10, v14, vcc
	v_cndmask_b32_e32 v14, v20, v21, vcc
	v_lshlrev_b32_e32 v20, 16, v15
	v_mov_b32_e32 v21, 0x3b800000
	v_lshlrev_b32_e32 v10, 20, v10
	v_and_b32_e32 v20, 0x80000000, v20
	v_lshl_add_u32 v14, v14, 23, v21
	v_or3_b32 v10, v20, v14, v10
.LBB13_556:
	s_or_b64 exec, exec, s[6:7]
	v_lshrrev_b32_e32 v14, 8, v11
	s_movk_i32 s4, 0x7f
	v_cmp_gt_i16_sdwa s[6:7], v14, s4 src0_sel:BYTE_0 src1_sel:DWORD
	s_mov_b64 s[4:5], 0
                                        ; implicit-def: $sgpr10
	s_and_saveexec_b64 s[8:9], s[6:7]
	s_xor_b64 s[6:7], exec, s[8:9]
	s_cbranch_execnz .LBB13_2605
; %bb.557:
	s_or_saveexec_b64 s[6:7], s[6:7]
	v_mov_b32_e32 v20, s10
	s_xor_b64 exec, exec, s[6:7]
	s_cbranch_execnz .LBB13_2608
.LBB13_558:
	s_or_b64 exec, exec, s[6:7]
	s_and_saveexec_b64 s[6:7], s[4:5]
	s_cbranch_execz .LBB13_560
.LBB13_559:
	v_bfe_u32 v20, v11, 8, 3
	v_ffbh_u32_e32 v22, v20
	v_min_u32_e32 v22, 32, v22
	v_lshrrev_b16_e32 v21, 3, v14
	v_subrev_u32_e32 v23, 28, v22
	v_and_b32_e32 v21, 15, v21
	v_lshlrev_b32_e32 v14, v23, v14
	v_sub_u32_e32 v22, 29, v22
	v_and_b32_e32 v14, 7, v14
	v_cmp_eq_u16_e32 vcc, 0, v21
	v_cndmask_b32_e32 v14, v20, v14, vcc
	v_cndmask_b32_e32 v20, v21, v22, vcc
	v_lshlrev_b32_e32 v21, 16, v11
	v_mov_b32_e32 v22, 0x3b800000
	v_lshlrev_b32_e32 v14, 20, v14
	v_and_b32_e32 v21, 0x80000000, v21
	v_lshl_add_u32 v20, v20, 23, v22
	v_or3_b32 v20, v21, v20, v14
.LBB13_560:
	s_or_b64 exec, exec, s[6:7]
	s_nop 0
	v_mfma_f32_16x16x4f32 a[0:3], v10, v20, a[0:3]
	s_movk_i32 s4, 0xff
	v_and_b32_sdwa v14, v15, s4 dst_sel:DWORD dst_unused:UNUSED_PAD src0_sel:WORD_1 src1_sel:DWORD
	s_movk_i32 s4, 0x7f
	v_cmp_lt_i16_e32 vcc, s4, v14
	s_mov_b64 s[4:5], 0
                                        ; implicit-def: $sgpr10
	s_and_saveexec_b64 s[6:7], vcc
	s_xor_b64 s[6:7], exec, s[6:7]
	s_cbranch_execnz .LBB13_2609
; %bb.561:
	s_or_saveexec_b64 s[6:7], s[6:7]
	v_mov_b32_e32 v10, s10
	s_xor_b64 exec, exec, s[6:7]
	s_cbranch_execnz .LBB13_2612
.LBB13_562:
	s_or_b64 exec, exec, s[6:7]
	s_and_saveexec_b64 s[6:7], s[4:5]
	s_cbranch_execz .LBB13_564
.LBB13_563:
	v_bfe_u32 v10, v15, 16, 3
	v_ffbh_u32_e32 v21, v10
	v_min_u32_e32 v21, 32, v21
	v_lshrrev_b32_e32 v14, 19, v15
	v_subrev_u32_e32 v22, 28, v21
	v_and_b32_e32 v14, 15, v14
	v_lshlrev_b32_sdwa v22, v22, v15 dst_sel:DWORD dst_unused:UNUSED_PAD src0_sel:DWORD src1_sel:WORD_1
	v_bfe_u32 v20, v15, 19, 4
	v_sub_u32_e32 v21, 29, v21
	v_and_b32_e32 v22, 7, v22
	v_cmp_eq_u16_e32 vcc, 0, v14
	v_cndmask_b32_e32 v10, v10, v22, vcc
	v_cndmask_b32_e32 v14, v20, v21, vcc
	v_lshlrev_b32_e32 v20, 8, v15
	v_mov_b32_e32 v21, 0x3b800000
	v_lshlrev_b32_e32 v10, 20, v10
	v_and_b32_e32 v20, 0x80000000, v20
	v_lshl_add_u32 v14, v14, 23, v21
	v_or3_b32 v10, v20, v14, v10
.LBB13_564:
	s_or_b64 exec, exec, s[6:7]
	s_movk_i32 s4, 0xff
	v_and_b32_sdwa v14, v11, s4 dst_sel:DWORD dst_unused:UNUSED_PAD src0_sel:WORD_1 src1_sel:DWORD
	s_movk_i32 s4, 0x7f
	v_cmp_lt_i16_e32 vcc, s4, v14
	s_mov_b64 s[4:5], 0
                                        ; implicit-def: $sgpr10
	s_and_saveexec_b64 s[6:7], vcc
	s_xor_b64 s[6:7], exec, s[6:7]
	s_cbranch_execnz .LBB13_2613
; %bb.565:
	s_or_saveexec_b64 s[6:7], s[6:7]
	v_mov_b32_e32 v20, s10
	s_xor_b64 exec, exec, s[6:7]
	s_cbranch_execnz .LBB13_2616
.LBB13_566:
	s_or_b64 exec, exec, s[6:7]
	s_and_saveexec_b64 s[6:7], s[4:5]
	s_cbranch_execz .LBB13_568
.LBB13_567:
	v_bfe_u32 v14, v11, 16, 3
	v_ffbh_u32_e32 v22, v14
	v_min_u32_e32 v22, 32, v22
	v_lshrrev_b32_e32 v20, 19, v11
	v_subrev_u32_e32 v23, 28, v22
	v_and_b32_e32 v20, 15, v20
	v_lshlrev_b32_sdwa v23, v23, v11 dst_sel:DWORD dst_unused:UNUSED_PAD src0_sel:DWORD src1_sel:WORD_1
	v_bfe_u32 v21, v11, 19, 4
	v_sub_u32_e32 v22, 29, v22
	v_and_b32_e32 v23, 7, v23
	v_cmp_eq_u16_e32 vcc, 0, v20
	v_cndmask_b32_e32 v14, v14, v23, vcc
	v_cndmask_b32_e32 v20, v21, v22, vcc
	v_lshlrev_b32_e32 v21, 8, v11
	v_mov_b32_e32 v22, 0x3b800000
	v_lshlrev_b32_e32 v14, 20, v14
	v_and_b32_e32 v21, 0x80000000, v21
	v_lshl_add_u32 v20, v20, 23, v22
	v_or3_b32 v20, v21, v20, v14
.LBB13_568:
	s_or_b64 exec, exec, s[6:7]
	s_nop 0
	v_mfma_f32_16x16x4f32 a[0:3], v10, v20, a[0:3]
	s_movk_i32 s4, 0x7f
	v_cmp_gt_i16_sdwa s[6:7], v15, s4 src0_sel:BYTE_3 src1_sel:DWORD
	s_mov_b64 s[4:5], 0
                                        ; implicit-def: $sgpr10
	s_and_saveexec_b64 s[8:9], s[6:7]
	s_xor_b64 s[6:7], exec, s[8:9]
	s_cbranch_execnz .LBB13_2617
; %bb.569:
	s_or_saveexec_b64 s[6:7], s[6:7]
	v_mov_b32_e32 v10, s10
	s_xor_b64 exec, exec, s[6:7]
	s_cbranch_execnz .LBB13_2620
.LBB13_570:
	s_or_b64 exec, exec, s[6:7]
	s_and_saveexec_b64 s[6:7], s[4:5]
	s_cbranch_execz .LBB13_572
.LBB13_571:
	v_bfe_u32 v10, v15, 24, 3
	v_ffbh_u32_e32 v22, v10
	v_min_u32_e32 v22, 32, v22
	v_lshrrev_b32_e32 v20, 27, v15
	v_subrev_u32_e32 v23, 28, v22
	v_and_b32_e32 v14, 0x80000000, v15
	v_and_b32_e32 v20, 15, v20
	v_bfe_u32 v21, v15, 27, 4
	v_lshlrev_b32_sdwa v15, v23, v15 dst_sel:DWORD dst_unused:UNUSED_PAD src0_sel:DWORD src1_sel:BYTE_3
	v_sub_u32_e32 v22, 29, v22
	v_and_b32_e32 v15, 7, v15
	v_cmp_eq_u16_e32 vcc, 0, v20
	v_cndmask_b32_e32 v10, v10, v15, vcc
	v_cndmask_b32_e32 v15, v21, v22, vcc
	v_mov_b32_e32 v20, 0x3b800000
	v_lshlrev_b32_e32 v10, 20, v10
	v_lshl_add_u32 v15, v15, 23, v20
	v_or3_b32 v10, v14, v15, v10
.LBB13_572:
	s_or_b64 exec, exec, s[6:7]
	s_movk_i32 s4, 0x7f
	v_cmp_gt_i16_sdwa s[6:7], v11, s4 src0_sel:BYTE_3 src1_sel:DWORD
	s_mov_b64 s[4:5], 0
                                        ; implicit-def: $sgpr10
	s_and_saveexec_b64 s[8:9], s[6:7]
	s_xor_b64 s[6:7], exec, s[8:9]
	s_cbranch_execnz .LBB13_2621
; %bb.573:
	s_or_saveexec_b64 s[6:7], s[6:7]
	v_mov_b32_e32 v14, s10
	s_xor_b64 exec, exec, s[6:7]
	s_cbranch_execnz .LBB13_2624
.LBB13_574:
	s_or_b64 exec, exec, s[6:7]
	s_and_saveexec_b64 s[6:7], s[4:5]
	s_cbranch_execz .LBB13_576
.LBB13_575:
	v_bfe_u32 v14, v11, 24, 3
	v_ffbh_u32_e32 v22, v14
	v_min_u32_e32 v22, 32, v22
	v_lshrrev_b32_e32 v20, 27, v11
	v_subrev_u32_e32 v23, 28, v22
	v_and_b32_e32 v15, 0x80000000, v11
	v_and_b32_e32 v20, 15, v20
	v_bfe_u32 v21, v11, 27, 4
	v_lshlrev_b32_sdwa v11, v23, v11 dst_sel:DWORD dst_unused:UNUSED_PAD src0_sel:DWORD src1_sel:BYTE_3
	v_sub_u32_e32 v22, 29, v22
	v_and_b32_e32 v11, 7, v11
	v_cmp_eq_u16_e32 vcc, 0, v20
	v_cndmask_b32_e32 v11, v14, v11, vcc
	v_cndmask_b32_e32 v14, v21, v22, vcc
	v_mov_b32_e32 v20, 0x3b800000
	v_lshlrev_b32_e32 v11, 20, v11
	v_lshl_add_u32 v14, v14, 23, v20
	v_or3_b32 v14, v15, v14, v11
.LBB13_576:
	s_or_b64 exec, exec, s[6:7]
	s_nop 0
	v_mfma_f32_16x16x4f32 a[0:3], v10, v14, a[0:3]
	s_movk_i32 s4, 0x7f
	v_cmp_gt_i16_sdwa s[6:7], v16, s4 src0_sel:BYTE_0 src1_sel:DWORD
	s_mov_b64 s[4:5], 0
                                        ; implicit-def: $sgpr10
	s_and_saveexec_b64 s[8:9], s[6:7]
	s_xor_b64 s[6:7], exec, s[8:9]
	s_cbranch_execnz .LBB13_2625
; %bb.577:
	s_or_saveexec_b64 s[6:7], s[6:7]
	v_mov_b32_e32 v10, s10
	s_xor_b64 exec, exec, s[6:7]
	s_cbranch_execnz .LBB13_2628
.LBB13_578:
	s_or_b64 exec, exec, s[6:7]
	s_and_saveexec_b64 s[6:7], s[4:5]
	s_cbranch_execz .LBB13_580
.LBB13_579:
	v_and_b32_e32 v10, 7, v16
	v_ffbh_u32_e32 v14, v10
	v_min_u32_e32 v14, 32, v14
	v_lshrrev_b16_e32 v11, 3, v16
	v_subrev_u32_e32 v15, 28, v14
	v_and_b32_e32 v11, 15, v11
	v_lshlrev_b32_e32 v15, v15, v16
	v_sub_u32_e32 v14, 29, v14
	v_and_b32_e32 v15, 7, v15
	v_cmp_eq_u16_e32 vcc, 0, v11
	v_cndmask_b32_e32 v10, v10, v15, vcc
	v_cndmask_b32_e32 v11, v11, v14, vcc
	v_lshlrev_b32_e32 v14, 24, v16
	v_mov_b32_e32 v15, 0x3b800000
	v_lshlrev_b32_e32 v10, 20, v10
	v_and_b32_e32 v14, 0x80000000, v14
	v_lshl_add_u32 v11, v11, 23, v15
	v_or3_b32 v10, v14, v11, v10
.LBB13_580:
	s_or_b64 exec, exec, s[6:7]
	s_movk_i32 s4, 0x7f
	v_cmp_gt_i16_sdwa s[6:7], v12, s4 src0_sel:BYTE_0 src1_sel:DWORD
	s_mov_b64 s[4:5], 0
                                        ; implicit-def: $sgpr10
	s_and_saveexec_b64 s[8:9], s[6:7]
	s_xor_b64 s[6:7], exec, s[8:9]
	s_cbranch_execnz .LBB13_2629
; %bb.581:
	s_or_saveexec_b64 s[6:7], s[6:7]
	v_mov_b32_e32 v11, s10
	s_xor_b64 exec, exec, s[6:7]
	s_cbranch_execnz .LBB13_2632
.LBB13_582:
	s_or_b64 exec, exec, s[6:7]
	s_and_saveexec_b64 s[6:7], s[4:5]
	s_cbranch_execz .LBB13_584
.LBB13_583:
	v_and_b32_e32 v11, 7, v12
	v_ffbh_u32_e32 v15, v11
	v_min_u32_e32 v15, 32, v15
	v_lshrrev_b16_e32 v14, 3, v12
	v_subrev_u32_e32 v20, 28, v15
	v_and_b32_e32 v14, 15, v14
	v_lshlrev_b32_e32 v20, v20, v12
	v_sub_u32_e32 v15, 29, v15
	v_and_b32_e32 v20, 7, v20
	v_cmp_eq_u16_e32 vcc, 0, v14
	v_cndmask_b32_e32 v11, v11, v20, vcc
	v_cndmask_b32_e32 v14, v14, v15, vcc
	v_lshlrev_b32_e32 v15, 24, v12
	v_mov_b32_e32 v20, 0x3b800000
	v_lshlrev_b32_e32 v11, 20, v11
	v_and_b32_e32 v15, 0x80000000, v15
	v_lshl_add_u32 v14, v14, 23, v20
	v_or3_b32 v11, v15, v14, v11
.LBB13_584:
	s_or_b64 exec, exec, s[6:7]
	s_nop 0
	v_mfma_f32_16x16x4f32 a[0:3], v10, v11, a[0:3]
	v_lshrrev_b32_e32 v11, 8, v16
	s_movk_i32 s4, 0x7f
	v_cmp_gt_i16_sdwa s[6:7], v11, s4 src0_sel:BYTE_0 src1_sel:DWORD
	s_mov_b64 s[4:5], 0
                                        ; implicit-def: $sgpr10
	s_and_saveexec_b64 s[8:9], s[6:7]
	s_xor_b64 s[6:7], exec, s[8:9]
	s_cbranch_execnz .LBB13_2633
; %bb.585:
	s_or_saveexec_b64 s[6:7], s[6:7]
	v_mov_b32_e32 v10, s10
	s_xor_b64 exec, exec, s[6:7]
	s_cbranch_execnz .LBB13_2636
.LBB13_586:
	s_or_b64 exec, exec, s[6:7]
	s_and_saveexec_b64 s[6:7], s[4:5]
	s_cbranch_execz .LBB13_588
.LBB13_587:
	v_bfe_u32 v10, v16, 8, 3
	v_ffbh_u32_e32 v15, v10
	v_min_u32_e32 v15, 32, v15
	v_lshrrev_b16_e32 v14, 3, v11
	v_subrev_u32_e32 v20, 28, v15
	v_and_b32_e32 v14, 15, v14
	v_lshlrev_b32_e32 v11, v20, v11
	v_sub_u32_e32 v15, 29, v15
	v_and_b32_e32 v11, 7, v11
	v_cmp_eq_u16_e32 vcc, 0, v14
	v_cndmask_b32_e32 v10, v10, v11, vcc
	v_cndmask_b32_e32 v11, v14, v15, vcc
	v_lshlrev_b32_e32 v14, 16, v16
	v_mov_b32_e32 v15, 0x3b800000
	v_lshlrev_b32_e32 v10, 20, v10
	v_and_b32_e32 v14, 0x80000000, v14
	v_lshl_add_u32 v11, v11, 23, v15
	v_or3_b32 v10, v14, v11, v10
.LBB13_588:
	s_or_b64 exec, exec, s[6:7]
	v_lshrrev_b32_e32 v11, 8, v12
	s_movk_i32 s4, 0x7f
	v_cmp_gt_i16_sdwa s[6:7], v11, s4 src0_sel:BYTE_0 src1_sel:DWORD
	s_mov_b64 s[4:5], 0
                                        ; implicit-def: $sgpr10
	s_and_saveexec_b64 s[8:9], s[6:7]
	s_xor_b64 s[6:7], exec, s[8:9]
	s_cbranch_execnz .LBB13_2637
; %bb.589:
	s_or_saveexec_b64 s[6:7], s[6:7]
	v_mov_b32_e32 v14, s10
	s_xor_b64 exec, exec, s[6:7]
	s_cbranch_execnz .LBB13_2640
.LBB13_590:
	s_or_b64 exec, exec, s[6:7]
	s_and_saveexec_b64 s[6:7], s[4:5]
	s_cbranch_execz .LBB13_592
.LBB13_591:
	v_bfe_u32 v14, v12, 8, 3
	v_ffbh_u32_e32 v20, v14
	v_min_u32_e32 v20, 32, v20
	v_lshrrev_b16_e32 v15, 3, v11
	v_subrev_u32_e32 v21, 28, v20
	v_and_b32_e32 v15, 15, v15
	v_lshlrev_b32_e32 v11, v21, v11
	v_sub_u32_e32 v20, 29, v20
	v_and_b32_e32 v11, 7, v11
	v_cmp_eq_u16_e32 vcc, 0, v15
	v_cndmask_b32_e32 v11, v14, v11, vcc
	v_cndmask_b32_e32 v14, v15, v20, vcc
	v_lshlrev_b32_e32 v15, 16, v12
	v_mov_b32_e32 v20, 0x3b800000
	v_lshlrev_b32_e32 v11, 20, v11
	v_and_b32_e32 v15, 0x80000000, v15
	v_lshl_add_u32 v14, v14, 23, v20
	v_or3_b32 v14, v15, v14, v11
.LBB13_592:
	s_or_b64 exec, exec, s[6:7]
	s_nop 0
	v_mfma_f32_16x16x4f32 a[0:3], v10, v14, a[0:3]
	s_movk_i32 s4, 0xff
	v_and_b32_sdwa v11, v16, s4 dst_sel:DWORD dst_unused:UNUSED_PAD src0_sel:WORD_1 src1_sel:DWORD
	s_movk_i32 s4, 0x7f
	v_cmp_lt_i16_e32 vcc, s4, v11
	s_mov_b64 s[4:5], 0
                                        ; implicit-def: $sgpr10
	s_and_saveexec_b64 s[6:7], vcc
	s_xor_b64 s[6:7], exec, s[6:7]
	s_cbranch_execnz .LBB13_2641
; %bb.593:
	s_or_saveexec_b64 s[6:7], s[6:7]
	v_mov_b32_e32 v10, s10
	s_xor_b64 exec, exec, s[6:7]
	s_cbranch_execnz .LBB13_2644
.LBB13_594:
	s_or_b64 exec, exec, s[6:7]
	s_and_saveexec_b64 s[6:7], s[4:5]
	s_cbranch_execz .LBB13_596
.LBB13_595:
	v_bfe_u32 v10, v16, 16, 3
	v_ffbh_u32_e32 v15, v10
	v_min_u32_e32 v15, 32, v15
	v_lshrrev_b32_e32 v11, 19, v16
	v_subrev_u32_e32 v20, 28, v15
	v_and_b32_e32 v11, 15, v11
	v_lshlrev_b32_sdwa v20, v20, v16 dst_sel:DWORD dst_unused:UNUSED_PAD src0_sel:DWORD src1_sel:WORD_1
	v_bfe_u32 v14, v16, 19, 4
	v_sub_u32_e32 v15, 29, v15
	v_and_b32_e32 v20, 7, v20
	v_cmp_eq_u16_e32 vcc, 0, v11
	v_cndmask_b32_e32 v10, v10, v20, vcc
	v_cndmask_b32_e32 v11, v14, v15, vcc
	v_lshlrev_b32_e32 v14, 8, v16
	v_mov_b32_e32 v15, 0x3b800000
	v_lshlrev_b32_e32 v10, 20, v10
	v_and_b32_e32 v14, 0x80000000, v14
	v_lshl_add_u32 v11, v11, 23, v15
	v_or3_b32 v10, v14, v11, v10
.LBB13_596:
	s_or_b64 exec, exec, s[6:7]
	s_movk_i32 s4, 0xff
	v_and_b32_sdwa v11, v12, s4 dst_sel:DWORD dst_unused:UNUSED_PAD src0_sel:WORD_1 src1_sel:DWORD
	s_movk_i32 s4, 0x7f
	v_cmp_lt_i16_e32 vcc, s4, v11
	s_mov_b64 s[4:5], 0
                                        ; implicit-def: $sgpr10
	s_and_saveexec_b64 s[6:7], vcc
	s_xor_b64 s[6:7], exec, s[6:7]
	s_cbranch_execnz .LBB13_2645
; %bb.597:
	s_or_saveexec_b64 s[6:7], s[6:7]
	v_mov_b32_e32 v14, s10
	s_xor_b64 exec, exec, s[6:7]
	s_cbranch_execnz .LBB13_2648
.LBB13_598:
	s_or_b64 exec, exec, s[6:7]
	s_and_saveexec_b64 s[6:7], s[4:5]
	s_cbranch_execz .LBB13_600
.LBB13_599:
	v_bfe_u32 v11, v12, 16, 3
	v_ffbh_u32_e32 v20, v11
	v_min_u32_e32 v20, 32, v20
	v_lshrrev_b32_e32 v14, 19, v12
	v_subrev_u32_e32 v21, 28, v20
	v_and_b32_e32 v14, 15, v14
	v_lshlrev_b32_sdwa v21, v21, v12 dst_sel:DWORD dst_unused:UNUSED_PAD src0_sel:DWORD src1_sel:WORD_1
	v_bfe_u32 v15, v12, 19, 4
	v_sub_u32_e32 v20, 29, v20
	v_and_b32_e32 v21, 7, v21
	v_cmp_eq_u16_e32 vcc, 0, v14
	v_cndmask_b32_e32 v11, v11, v21, vcc
	v_cndmask_b32_e32 v14, v15, v20, vcc
	v_lshlrev_b32_e32 v15, 8, v12
	v_mov_b32_e32 v20, 0x3b800000
	v_lshlrev_b32_e32 v11, 20, v11
	v_and_b32_e32 v15, 0x80000000, v15
	v_lshl_add_u32 v14, v14, 23, v20
	v_or3_b32 v14, v15, v14, v11
.LBB13_600:
	s_or_b64 exec, exec, s[6:7]
	s_nop 0
	v_mfma_f32_16x16x4f32 a[0:3], v10, v14, a[0:3]
	s_movk_i32 s4, 0x7f
	v_cmp_gt_i16_sdwa s[6:7], v16, s4 src0_sel:BYTE_3 src1_sel:DWORD
	s_mov_b64 s[4:5], 0
                                        ; implicit-def: $sgpr10
	s_and_saveexec_b64 s[8:9], s[6:7]
	s_xor_b64 s[6:7], exec, s[8:9]
	s_cbranch_execnz .LBB13_2649
; %bb.601:
	s_or_saveexec_b64 s[6:7], s[6:7]
	v_mov_b32_e32 v10, s10
	s_xor_b64 exec, exec, s[6:7]
	s_cbranch_execnz .LBB13_2652
.LBB13_602:
	s_or_b64 exec, exec, s[6:7]
	s_and_saveexec_b64 s[6:7], s[4:5]
	s_cbranch_execz .LBB13_604
.LBB13_603:
	v_bfe_u32 v10, v16, 24, 3
	v_ffbh_u32_e32 v20, v10
	v_min_u32_e32 v20, 32, v20
	v_lshrrev_b32_e32 v14, 27, v16
	v_subrev_u32_e32 v21, 28, v20
	v_and_b32_e32 v11, 0x80000000, v16
	v_and_b32_e32 v14, 15, v14
	v_bfe_u32 v15, v16, 27, 4
	v_lshlrev_b32_sdwa v16, v21, v16 dst_sel:DWORD dst_unused:UNUSED_PAD src0_sel:DWORD src1_sel:BYTE_3
	v_sub_u32_e32 v20, 29, v20
	v_and_b32_e32 v16, 7, v16
	v_cmp_eq_u16_e32 vcc, 0, v14
	v_cndmask_b32_e32 v10, v10, v16, vcc
	v_cndmask_b32_e32 v14, v15, v20, vcc
	v_mov_b32_e32 v15, 0x3b800000
	v_lshlrev_b32_e32 v10, 20, v10
	v_lshl_add_u32 v14, v14, 23, v15
	v_or3_b32 v10, v11, v14, v10
.LBB13_604:
	s_or_b64 exec, exec, s[6:7]
	s_movk_i32 s4, 0x7f
	v_cmp_gt_i16_sdwa s[6:7], v12, s4 src0_sel:BYTE_3 src1_sel:DWORD
	s_mov_b64 s[4:5], 0
                                        ; implicit-def: $sgpr10
	s_and_saveexec_b64 s[8:9], s[6:7]
	s_xor_b64 s[6:7], exec, s[8:9]
	s_cbranch_execnz .LBB13_2653
; %bb.605:
	s_or_saveexec_b64 s[6:7], s[6:7]
	v_mov_b32_e32 v11, s10
	s_xor_b64 exec, exec, s[6:7]
	s_cbranch_execnz .LBB13_2656
.LBB13_606:
	s_or_b64 exec, exec, s[6:7]
	s_and_saveexec_b64 s[6:7], s[4:5]
	s_cbranch_execz .LBB13_608
.LBB13_607:
	v_bfe_u32 v11, v12, 24, 3
	v_ffbh_u32_e32 v20, v11
	v_min_u32_e32 v20, 32, v20
	v_lshrrev_b32_e32 v15, 27, v12
	v_subrev_u32_e32 v21, 28, v20
	v_and_b32_e32 v14, 0x80000000, v12
	v_and_b32_e32 v15, 15, v15
	v_bfe_u32 v16, v12, 27, 4
	v_lshlrev_b32_sdwa v12, v21, v12 dst_sel:DWORD dst_unused:UNUSED_PAD src0_sel:DWORD src1_sel:BYTE_3
	v_sub_u32_e32 v20, 29, v20
	v_and_b32_e32 v12, 7, v12
	v_cmp_eq_u16_e32 vcc, 0, v15
	v_cndmask_b32_e32 v11, v11, v12, vcc
	v_cndmask_b32_e32 v12, v16, v20, vcc
	v_mov_b32_e32 v15, 0x3b800000
	v_lshlrev_b32_e32 v11, 20, v11
	v_lshl_add_u32 v12, v12, 23, v15
	v_or3_b32 v11, v14, v12, v11
.LBB13_608:
	s_or_b64 exec, exec, s[6:7]
	s_nop 0
	v_mfma_f32_16x16x4f32 a[0:3], v10, v11, a[0:3]
	s_movk_i32 s4, 0x7f
	v_cmp_gt_i16_sdwa s[6:7], v17, s4 src0_sel:BYTE_0 src1_sel:DWORD
	s_mov_b64 s[4:5], 0
                                        ; implicit-def: $sgpr10
	s_and_saveexec_b64 s[8:9], s[6:7]
	s_xor_b64 s[6:7], exec, s[8:9]
	s_cbranch_execnz .LBB13_2657
; %bb.609:
	s_or_saveexec_b64 s[6:7], s[6:7]
	v_mov_b32_e32 v10, s10
	s_xor_b64 exec, exec, s[6:7]
	s_cbranch_execnz .LBB13_2660
.LBB13_610:
	s_or_b64 exec, exec, s[6:7]
	s_and_saveexec_b64 s[6:7], s[4:5]
	s_cbranch_execz .LBB13_612
.LBB13_611:
	v_and_b32_e32 v10, 7, v17
	v_ffbh_u32_e32 v12, v10
	v_min_u32_e32 v12, 32, v12
	v_lshrrev_b16_e32 v11, 3, v17
	v_subrev_u32_e32 v14, 28, v12
	v_and_b32_e32 v11, 15, v11
	v_lshlrev_b32_e32 v14, v14, v17
	v_sub_u32_e32 v12, 29, v12
	v_and_b32_e32 v14, 7, v14
	v_cmp_eq_u16_e32 vcc, 0, v11
	v_cndmask_b32_e32 v10, v10, v14, vcc
	v_cndmask_b32_e32 v11, v11, v12, vcc
	v_lshlrev_b32_e32 v12, 24, v17
	v_mov_b32_e32 v14, 0x3b800000
	v_lshlrev_b32_e32 v10, 20, v10
	v_and_b32_e32 v12, 0x80000000, v12
	v_lshl_add_u32 v11, v11, 23, v14
	v_or3_b32 v10, v12, v11, v10
.LBB13_612:
	s_or_b64 exec, exec, s[6:7]
	s_movk_i32 s4, 0x7f
	v_cmp_gt_i16_sdwa s[6:7], v13, s4 src0_sel:BYTE_0 src1_sel:DWORD
	s_mov_b64 s[4:5], 0
                                        ; implicit-def: $sgpr10
	s_and_saveexec_b64 s[8:9], s[6:7]
	s_xor_b64 s[6:7], exec, s[8:9]
	s_cbranch_execnz .LBB13_2661
; %bb.613:
	s_or_saveexec_b64 s[6:7], s[6:7]
	v_mov_b32_e32 v11, s10
	s_xor_b64 exec, exec, s[6:7]
	s_cbranch_execnz .LBB13_2664
.LBB13_614:
	s_or_b64 exec, exec, s[6:7]
	s_and_saveexec_b64 s[6:7], s[4:5]
	s_cbranch_execz .LBB13_616
.LBB13_615:
	v_and_b32_e32 v11, 7, v13
	v_ffbh_u32_e32 v14, v11
	v_min_u32_e32 v14, 32, v14
	v_lshrrev_b16_e32 v12, 3, v13
	v_subrev_u32_e32 v15, 28, v14
	v_and_b32_e32 v12, 15, v12
	v_lshlrev_b32_e32 v15, v15, v13
	v_sub_u32_e32 v14, 29, v14
	v_and_b32_e32 v15, 7, v15
	v_cmp_eq_u16_e32 vcc, 0, v12
	v_cndmask_b32_e32 v11, v11, v15, vcc
	v_cndmask_b32_e32 v12, v12, v14, vcc
	v_lshlrev_b32_e32 v14, 24, v13
	v_mov_b32_e32 v15, 0x3b800000
	v_lshlrev_b32_e32 v11, 20, v11
	v_and_b32_e32 v14, 0x80000000, v14
	v_lshl_add_u32 v12, v12, 23, v15
	v_or3_b32 v11, v14, v12, v11
.LBB13_616:
	s_or_b64 exec, exec, s[6:7]
	s_nop 0
	v_mfma_f32_16x16x4f32 a[0:3], v10, v11, a[0:3]
	v_lshrrev_b32_e32 v11, 8, v17
	s_movk_i32 s4, 0x7f
	v_cmp_gt_i16_sdwa s[6:7], v11, s4 src0_sel:BYTE_0 src1_sel:DWORD
	s_mov_b64 s[4:5], 0
                                        ; implicit-def: $sgpr10
	s_and_saveexec_b64 s[8:9], s[6:7]
	s_xor_b64 s[6:7], exec, s[8:9]
	s_cbranch_execnz .LBB13_2665
; %bb.617:
	s_or_saveexec_b64 s[6:7], s[6:7]
	v_mov_b32_e32 v10, s10
	s_xor_b64 exec, exec, s[6:7]
	s_cbranch_execnz .LBB13_2668
.LBB13_618:
	s_or_b64 exec, exec, s[6:7]
	s_and_saveexec_b64 s[6:7], s[4:5]
	s_cbranch_execz .LBB13_620
.LBB13_619:
	v_bfe_u32 v10, v17, 8, 3
	v_ffbh_u32_e32 v14, v10
	v_min_u32_e32 v14, 32, v14
	v_lshrrev_b16_e32 v12, 3, v11
	v_subrev_u32_e32 v15, 28, v14
	v_and_b32_e32 v12, 15, v12
	v_lshlrev_b32_e32 v11, v15, v11
	v_sub_u32_e32 v14, 29, v14
	v_and_b32_e32 v11, 7, v11
	v_cmp_eq_u16_e32 vcc, 0, v12
	v_cndmask_b32_e32 v10, v10, v11, vcc
	v_cndmask_b32_e32 v11, v12, v14, vcc
	v_lshlrev_b32_e32 v12, 16, v17
	v_mov_b32_e32 v14, 0x3b800000
	v_lshlrev_b32_e32 v10, 20, v10
	v_and_b32_e32 v12, 0x80000000, v12
	v_lshl_add_u32 v11, v11, 23, v14
	v_or3_b32 v10, v12, v11, v10
.LBB13_620:
	s_or_b64 exec, exec, s[6:7]
	v_lshrrev_b32_e32 v11, 8, v13
	s_movk_i32 s4, 0x7f
	v_cmp_gt_i16_sdwa s[6:7], v11, s4 src0_sel:BYTE_0 src1_sel:DWORD
	s_mov_b64 s[4:5], 0
                                        ; implicit-def: $sgpr10
	s_and_saveexec_b64 s[8:9], s[6:7]
	s_xor_b64 s[6:7], exec, s[8:9]
	s_cbranch_execnz .LBB13_2669
; %bb.621:
	s_or_saveexec_b64 s[6:7], s[6:7]
	v_mov_b32_e32 v12, s10
	s_xor_b64 exec, exec, s[6:7]
	s_cbranch_execnz .LBB13_2672
.LBB13_622:
	s_or_b64 exec, exec, s[6:7]
	s_and_saveexec_b64 s[6:7], s[4:5]
	s_cbranch_execz .LBB13_624
.LBB13_623:
	v_bfe_u32 v12, v13, 8, 3
	v_ffbh_u32_e32 v15, v12
	v_min_u32_e32 v15, 32, v15
	v_lshrrev_b16_e32 v14, 3, v11
	v_subrev_u32_e32 v16, 28, v15
	v_and_b32_e32 v14, 15, v14
	v_lshlrev_b32_e32 v11, v16, v11
	v_sub_u32_e32 v15, 29, v15
	v_and_b32_e32 v11, 7, v11
	v_cmp_eq_u16_e32 vcc, 0, v14
	v_cndmask_b32_e32 v11, v12, v11, vcc
	v_cndmask_b32_e32 v12, v14, v15, vcc
	v_lshlrev_b32_e32 v14, 16, v13
	v_mov_b32_e32 v15, 0x3b800000
	v_lshlrev_b32_e32 v11, 20, v11
	v_and_b32_e32 v14, 0x80000000, v14
	v_lshl_add_u32 v12, v12, 23, v15
	v_or3_b32 v12, v14, v12, v11
.LBB13_624:
	s_or_b64 exec, exec, s[6:7]
	s_nop 0
	v_mfma_f32_16x16x4f32 a[0:3], v10, v12, a[0:3]
	s_movk_i32 s4, 0xff
	v_and_b32_sdwa v11, v17, s4 dst_sel:DWORD dst_unused:UNUSED_PAD src0_sel:WORD_1 src1_sel:DWORD
	s_movk_i32 s4, 0x7f
	v_cmp_lt_i16_e32 vcc, s4, v11
	s_mov_b64 s[4:5], 0
                                        ; implicit-def: $sgpr10
	s_and_saveexec_b64 s[6:7], vcc
	s_xor_b64 s[6:7], exec, s[6:7]
	s_cbranch_execnz .LBB13_2673
; %bb.625:
	s_or_saveexec_b64 s[6:7], s[6:7]
	v_mov_b32_e32 v10, s10
	s_xor_b64 exec, exec, s[6:7]
	s_cbranch_execnz .LBB13_2676
.LBB13_626:
	s_or_b64 exec, exec, s[6:7]
	s_and_saveexec_b64 s[6:7], s[4:5]
	s_cbranch_execz .LBB13_628
.LBB13_627:
	v_bfe_u32 v10, v17, 16, 3
	v_ffbh_u32_e32 v14, v10
	v_min_u32_e32 v14, 32, v14
	v_lshrrev_b32_e32 v11, 19, v17
	v_subrev_u32_e32 v15, 28, v14
	v_and_b32_e32 v11, 15, v11
	v_lshlrev_b32_sdwa v15, v15, v17 dst_sel:DWORD dst_unused:UNUSED_PAD src0_sel:DWORD src1_sel:WORD_1
	v_bfe_u32 v12, v17, 19, 4
	v_sub_u32_e32 v14, 29, v14
	v_and_b32_e32 v15, 7, v15
	v_cmp_eq_u16_e32 vcc, 0, v11
	v_cndmask_b32_e32 v10, v10, v15, vcc
	v_cndmask_b32_e32 v11, v12, v14, vcc
	v_lshlrev_b32_e32 v12, 8, v17
	v_mov_b32_e32 v14, 0x3b800000
	v_lshlrev_b32_e32 v10, 20, v10
	v_and_b32_e32 v12, 0x80000000, v12
	v_lshl_add_u32 v11, v11, 23, v14
	v_or3_b32 v10, v12, v11, v10
.LBB13_628:
	s_or_b64 exec, exec, s[6:7]
	s_movk_i32 s4, 0xff
	v_and_b32_sdwa v11, v13, s4 dst_sel:DWORD dst_unused:UNUSED_PAD src0_sel:WORD_1 src1_sel:DWORD
	s_movk_i32 s4, 0x7f
	v_cmp_lt_i16_e32 vcc, s4, v11
	s_mov_b64 s[4:5], 0
                                        ; implicit-def: $sgpr10
	s_and_saveexec_b64 s[6:7], vcc
	s_xor_b64 s[6:7], exec, s[6:7]
	s_cbranch_execnz .LBB13_2677
; %bb.629:
	s_or_saveexec_b64 s[6:7], s[6:7]
	v_mov_b32_e32 v12, s10
	s_xor_b64 exec, exec, s[6:7]
	s_cbranch_execnz .LBB13_2680
.LBB13_630:
	s_or_b64 exec, exec, s[6:7]
	s_and_saveexec_b64 s[6:7], s[4:5]
	s_cbranch_execz .LBB13_632
.LBB13_631:
	v_bfe_u32 v11, v13, 16, 3
	v_ffbh_u32_e32 v15, v11
	v_min_u32_e32 v15, 32, v15
	v_lshrrev_b32_e32 v12, 19, v13
	v_subrev_u32_e32 v16, 28, v15
	v_and_b32_e32 v12, 15, v12
	v_lshlrev_b32_sdwa v16, v16, v13 dst_sel:DWORD dst_unused:UNUSED_PAD src0_sel:DWORD src1_sel:WORD_1
	v_bfe_u32 v14, v13, 19, 4
	v_sub_u32_e32 v15, 29, v15
	v_and_b32_e32 v16, 7, v16
	v_cmp_eq_u16_e32 vcc, 0, v12
	v_cndmask_b32_e32 v11, v11, v16, vcc
	v_cndmask_b32_e32 v12, v14, v15, vcc
	v_lshlrev_b32_e32 v14, 8, v13
	v_mov_b32_e32 v15, 0x3b800000
	v_lshlrev_b32_e32 v11, 20, v11
	v_and_b32_e32 v14, 0x80000000, v14
	v_lshl_add_u32 v12, v12, 23, v15
	v_or3_b32 v12, v14, v12, v11
.LBB13_632:
	s_or_b64 exec, exec, s[6:7]
	s_nop 0
	v_mfma_f32_16x16x4f32 a[0:3], v10, v12, a[0:3]
	s_movk_i32 s4, 0x7f
	v_cmp_gt_i16_sdwa s[6:7], v17, s4 src0_sel:BYTE_3 src1_sel:DWORD
	s_mov_b64 s[4:5], 0
                                        ; implicit-def: $sgpr10
	s_and_saveexec_b64 s[8:9], s[6:7]
	s_xor_b64 s[6:7], exec, s[8:9]
	s_cbranch_execnz .LBB13_2681
; %bb.633:
	s_or_saveexec_b64 s[6:7], s[6:7]
	v_mov_b32_e32 v10, s10
	s_xor_b64 exec, exec, s[6:7]
	s_cbranch_execnz .LBB13_2684
.LBB13_634:
	s_or_b64 exec, exec, s[6:7]
	s_and_saveexec_b64 s[6:7], s[4:5]
	s_cbranch_execz .LBB13_636
.LBB13_635:
	v_bfe_u32 v10, v17, 24, 3
	v_ffbh_u32_e32 v15, v10
	v_min_u32_e32 v15, 32, v15
	v_lshrrev_b32_e32 v12, 27, v17
	v_subrev_u32_e32 v16, 28, v15
	v_and_b32_e32 v12, 15, v12
	v_lshlrev_b32_sdwa v16, v16, v17 dst_sel:DWORD dst_unused:UNUSED_PAD src0_sel:DWORD src1_sel:BYTE_3
	v_bfe_u32 v14, v17, 27, 4
	v_sub_u32_e32 v15, 29, v15
	v_and_b32_e32 v16, 7, v16
	v_cmp_eq_u16_e32 vcc, 0, v12
	v_cndmask_b32_e32 v10, v10, v16, vcc
	v_cndmask_b32_e32 v12, v14, v15, vcc
	v_mov_b32_e32 v14, 0x3b800000
	v_and_b32_e32 v11, 0x80000000, v17
	v_lshlrev_b32_e32 v10, 20, v10
	v_lshl_add_u32 v12, v12, 23, v14
	v_or3_b32 v10, v11, v12, v10
.LBB13_636:
	s_or_b64 exec, exec, s[6:7]
	s_movk_i32 s4, 0x7f
	v_cmp_gt_i16_sdwa s[6:7], v13, s4 src0_sel:BYTE_3 src1_sel:DWORD
	s_mov_b64 s[4:5], 0
                                        ; implicit-def: $sgpr10
	s_and_saveexec_b64 s[8:9], s[6:7]
	s_xor_b64 s[6:7], exec, s[8:9]
	s_cbranch_execnz .LBB13_2685
; %bb.637:
	s_or_saveexec_b64 s[6:7], s[6:7]
	v_mov_b32_e32 v11, s10
	s_xor_b64 exec, exec, s[6:7]
	s_cbranch_execnz .LBB13_2688
.LBB13_638:
	s_or_b64 exec, exec, s[6:7]
	s_and_saveexec_b64 s[6:7], s[4:5]
	s_cbranch_execz .LBB13_640
.LBB13_639:
	v_bfe_u32 v11, v13, 24, 3
	v_ffbh_u32_e32 v16, v11
	v_min_u32_e32 v16, 32, v16
	v_lshrrev_b32_e32 v14, 27, v13
	v_subrev_u32_e32 v17, 28, v16
	v_and_b32_e32 v12, 0x80000000, v13
	v_and_b32_e32 v14, 15, v14
	v_bfe_u32 v15, v13, 27, 4
	v_lshlrev_b32_sdwa v13, v17, v13 dst_sel:DWORD dst_unused:UNUSED_PAD src0_sel:DWORD src1_sel:BYTE_3
	v_sub_u32_e32 v16, 29, v16
	v_and_b32_e32 v13, 7, v13
	v_cmp_eq_u16_e32 vcc, 0, v14
	v_cndmask_b32_e32 v11, v11, v13, vcc
	v_cndmask_b32_e32 v13, v15, v16, vcc
	v_mov_b32_e32 v14, 0x3b800000
	v_lshlrev_b32_e32 v11, 20, v11
	v_lshl_add_u32 v13, v13, 23, v14
	v_or3_b32 v11, v12, v13, v11
.LBB13_640:
	s_or_b64 exec, exec, s[6:7]
	s_nop 0
	v_mfma_f32_16x16x4f32 a[0:3], v10, v11, a[0:3]
	s_movk_i32 s4, 0x7f
	v_cmp_gt_i16_sdwa s[6:7], v6, s4 src0_sel:BYTE_0 src1_sel:DWORD
	s_mov_b64 s[4:5], 0
                                        ; implicit-def: $sgpr10
	s_and_saveexec_b64 s[8:9], s[6:7]
	s_xor_b64 s[6:7], exec, s[8:9]
	s_cbranch_execnz .LBB13_2689
; %bb.641:
	s_or_saveexec_b64 s[6:7], s[6:7]
	v_mov_b32_e32 v10, s10
	s_xor_b64 exec, exec, s[6:7]
	s_cbranch_execnz .LBB13_2692
.LBB13_642:
	s_or_b64 exec, exec, s[6:7]
	s_and_saveexec_b64 s[6:7], s[4:5]
	s_cbranch_execz .LBB13_644
.LBB13_643:
	v_and_b32_e32 v10, 7, v6
	v_ffbh_u32_e32 v12, v10
	v_min_u32_e32 v12, 32, v12
	v_lshrrev_b16_e32 v11, 3, v6
	v_subrev_u32_e32 v13, 28, v12
	v_and_b32_e32 v11, 15, v11
	v_lshlrev_b32_e32 v13, v13, v6
	v_sub_u32_e32 v12, 29, v12
	v_and_b32_e32 v13, 7, v13
	v_cmp_eq_u16_e32 vcc, 0, v11
	v_cndmask_b32_e32 v10, v10, v13, vcc
	v_cndmask_b32_e32 v11, v11, v12, vcc
	v_lshlrev_b32_e32 v12, 24, v6
	v_mov_b32_e32 v13, 0x3b800000
	v_lshlrev_b32_e32 v10, 20, v10
	v_and_b32_e32 v12, 0x80000000, v12
	v_lshl_add_u32 v11, v11, 23, v13
	v_or3_b32 v10, v12, v11, v10
.LBB13_644:
	s_or_b64 exec, exec, s[6:7]
	s_movk_i32 s4, 0x7f
	v_cmp_gt_i16_sdwa s[6:7], v2, s4 src0_sel:BYTE_0 src1_sel:DWORD
	s_mov_b64 s[4:5], 0
                                        ; implicit-def: $sgpr10
	s_and_saveexec_b64 s[8:9], s[6:7]
	s_xor_b64 s[6:7], exec, s[8:9]
	s_cbranch_execnz .LBB13_2693
; %bb.645:
	s_or_saveexec_b64 s[6:7], s[6:7]
	v_mov_b32_e32 v11, s10
	s_xor_b64 exec, exec, s[6:7]
	s_cbranch_execnz .LBB13_2696
.LBB13_646:
	s_or_b64 exec, exec, s[6:7]
	s_and_saveexec_b64 s[6:7], s[4:5]
	s_cbranch_execz .LBB13_648
.LBB13_647:
	v_and_b32_e32 v11, 7, v2
	v_ffbh_u32_e32 v13, v11
	v_min_u32_e32 v13, 32, v13
	v_lshrrev_b16_e32 v12, 3, v2
	v_subrev_u32_e32 v14, 28, v13
	v_and_b32_e32 v12, 15, v12
	v_lshlrev_b32_e32 v14, v14, v2
	v_sub_u32_e32 v13, 29, v13
	v_and_b32_e32 v14, 7, v14
	v_cmp_eq_u16_e32 vcc, 0, v12
	v_cndmask_b32_e32 v11, v11, v14, vcc
	v_cndmask_b32_e32 v12, v12, v13, vcc
	v_lshlrev_b32_e32 v13, 24, v2
	v_mov_b32_e32 v14, 0x3b800000
	v_lshlrev_b32_e32 v11, 20, v11
	v_and_b32_e32 v13, 0x80000000, v13
	v_lshl_add_u32 v12, v12, 23, v14
	v_or3_b32 v11, v13, v12, v11
.LBB13_648:
	s_or_b64 exec, exec, s[6:7]
	s_nop 0
	v_mfma_f32_16x16x4f32 a[0:3], v10, v11, a[0:3]
	v_lshrrev_b32_e32 v11, 8, v6
	s_movk_i32 s4, 0x7f
	v_cmp_gt_i16_sdwa s[6:7], v11, s4 src0_sel:BYTE_0 src1_sel:DWORD
	s_mov_b64 s[4:5], 0
                                        ; implicit-def: $sgpr10
	s_and_saveexec_b64 s[8:9], s[6:7]
	s_xor_b64 s[6:7], exec, s[8:9]
	s_cbranch_execnz .LBB13_2697
; %bb.649:
	s_or_saveexec_b64 s[6:7], s[6:7]
	v_mov_b32_e32 v10, s10
	s_xor_b64 exec, exec, s[6:7]
	s_cbranch_execnz .LBB13_2700
.LBB13_650:
	s_or_b64 exec, exec, s[6:7]
	s_and_saveexec_b64 s[6:7], s[4:5]
	s_cbranch_execz .LBB13_652
.LBB13_651:
	v_bfe_u32 v10, v6, 8, 3
	v_ffbh_u32_e32 v13, v10
	v_min_u32_e32 v13, 32, v13
	v_lshrrev_b16_e32 v12, 3, v11
	v_subrev_u32_e32 v14, 28, v13
	v_and_b32_e32 v12, 15, v12
	v_lshlrev_b32_e32 v11, v14, v11
	v_sub_u32_e32 v13, 29, v13
	v_and_b32_e32 v11, 7, v11
	v_cmp_eq_u16_e32 vcc, 0, v12
	v_cndmask_b32_e32 v10, v10, v11, vcc
	v_cndmask_b32_e32 v11, v12, v13, vcc
	v_lshlrev_b32_e32 v12, 16, v6
	v_mov_b32_e32 v13, 0x3b800000
	v_lshlrev_b32_e32 v10, 20, v10
	v_and_b32_e32 v12, 0x80000000, v12
	v_lshl_add_u32 v11, v11, 23, v13
	v_or3_b32 v10, v12, v11, v10
.LBB13_652:
	s_or_b64 exec, exec, s[6:7]
	v_lshrrev_b32_e32 v11, 8, v2
	s_movk_i32 s4, 0x7f
	v_cmp_gt_i16_sdwa s[6:7], v11, s4 src0_sel:BYTE_0 src1_sel:DWORD
	s_mov_b64 s[4:5], 0
                                        ; implicit-def: $sgpr10
	s_and_saveexec_b64 s[8:9], s[6:7]
	s_xor_b64 s[6:7], exec, s[8:9]
	s_cbranch_execnz .LBB13_2701
; %bb.653:
	s_or_saveexec_b64 s[6:7], s[6:7]
	v_mov_b32_e32 v12, s10
	s_xor_b64 exec, exec, s[6:7]
	s_cbranch_execnz .LBB13_2704
.LBB13_654:
	s_or_b64 exec, exec, s[6:7]
	s_and_saveexec_b64 s[6:7], s[4:5]
	s_cbranch_execz .LBB13_656
.LBB13_655:
	v_bfe_u32 v12, v2, 8, 3
	v_ffbh_u32_e32 v14, v12
	v_min_u32_e32 v14, 32, v14
	v_lshrrev_b16_e32 v13, 3, v11
	v_subrev_u32_e32 v15, 28, v14
	v_and_b32_e32 v13, 15, v13
	v_lshlrev_b32_e32 v11, v15, v11
	v_sub_u32_e32 v14, 29, v14
	v_and_b32_e32 v11, 7, v11
	v_cmp_eq_u16_e32 vcc, 0, v13
	v_cndmask_b32_e32 v11, v12, v11, vcc
	v_cndmask_b32_e32 v12, v13, v14, vcc
	v_lshlrev_b32_e32 v13, 16, v2
	v_mov_b32_e32 v14, 0x3b800000
	v_lshlrev_b32_e32 v11, 20, v11
	v_and_b32_e32 v13, 0x80000000, v13
	v_lshl_add_u32 v12, v12, 23, v14
	v_or3_b32 v12, v13, v12, v11
.LBB13_656:
	s_or_b64 exec, exec, s[6:7]
	s_nop 0
	v_mfma_f32_16x16x4f32 a[0:3], v10, v12, a[0:3]
	s_movk_i32 s4, 0xff
	v_and_b32_sdwa v11, v6, s4 dst_sel:DWORD dst_unused:UNUSED_PAD src0_sel:WORD_1 src1_sel:DWORD
	s_movk_i32 s4, 0x7f
	v_cmp_lt_i16_e32 vcc, s4, v11
	s_mov_b64 s[4:5], 0
                                        ; implicit-def: $sgpr10
	s_and_saveexec_b64 s[6:7], vcc
	s_xor_b64 s[6:7], exec, s[6:7]
	s_cbranch_execnz .LBB13_2705
; %bb.657:
	s_or_saveexec_b64 s[6:7], s[6:7]
	v_mov_b32_e32 v10, s10
	s_xor_b64 exec, exec, s[6:7]
	s_cbranch_execnz .LBB13_2708
.LBB13_658:
	s_or_b64 exec, exec, s[6:7]
	s_and_saveexec_b64 s[6:7], s[4:5]
	s_cbranch_execz .LBB13_660
.LBB13_659:
	v_bfe_u32 v10, v6, 16, 3
	v_ffbh_u32_e32 v13, v10
	v_min_u32_e32 v13, 32, v13
	v_lshrrev_b32_e32 v11, 19, v6
	v_subrev_u32_e32 v14, 28, v13
	v_and_b32_e32 v11, 15, v11
	v_lshlrev_b32_sdwa v14, v14, v6 dst_sel:DWORD dst_unused:UNUSED_PAD src0_sel:DWORD src1_sel:WORD_1
	v_bfe_u32 v12, v6, 19, 4
	v_sub_u32_e32 v13, 29, v13
	v_and_b32_e32 v14, 7, v14
	v_cmp_eq_u16_e32 vcc, 0, v11
	v_cndmask_b32_e32 v10, v10, v14, vcc
	v_cndmask_b32_e32 v11, v12, v13, vcc
	v_lshlrev_b32_e32 v12, 8, v6
	v_mov_b32_e32 v13, 0x3b800000
	v_lshlrev_b32_e32 v10, 20, v10
	v_and_b32_e32 v12, 0x80000000, v12
	v_lshl_add_u32 v11, v11, 23, v13
	v_or3_b32 v10, v12, v11, v10
.LBB13_660:
	s_or_b64 exec, exec, s[6:7]
	s_movk_i32 s4, 0xff
	v_and_b32_sdwa v11, v2, s4 dst_sel:DWORD dst_unused:UNUSED_PAD src0_sel:WORD_1 src1_sel:DWORD
	s_movk_i32 s4, 0x7f
	v_cmp_lt_i16_e32 vcc, s4, v11
	s_mov_b64 s[4:5], 0
                                        ; implicit-def: $sgpr10
	s_and_saveexec_b64 s[6:7], vcc
	s_xor_b64 s[6:7], exec, s[6:7]
	s_cbranch_execnz .LBB13_2709
; %bb.661:
	s_or_saveexec_b64 s[6:7], s[6:7]
	v_mov_b32_e32 v12, s10
	s_xor_b64 exec, exec, s[6:7]
	s_cbranch_execnz .LBB13_2712
.LBB13_662:
	s_or_b64 exec, exec, s[6:7]
	s_and_saveexec_b64 s[6:7], s[4:5]
	s_cbranch_execz .LBB13_664
.LBB13_663:
	v_bfe_u32 v11, v2, 16, 3
	v_ffbh_u32_e32 v14, v11
	v_min_u32_e32 v14, 32, v14
	v_lshrrev_b32_e32 v12, 19, v2
	v_subrev_u32_e32 v15, 28, v14
	v_and_b32_e32 v12, 15, v12
	v_lshlrev_b32_sdwa v15, v15, v2 dst_sel:DWORD dst_unused:UNUSED_PAD src0_sel:DWORD src1_sel:WORD_1
	v_bfe_u32 v13, v2, 19, 4
	v_sub_u32_e32 v14, 29, v14
	v_and_b32_e32 v15, 7, v15
	v_cmp_eq_u16_e32 vcc, 0, v12
	v_cndmask_b32_e32 v11, v11, v15, vcc
	v_cndmask_b32_e32 v12, v13, v14, vcc
	v_lshlrev_b32_e32 v13, 8, v2
	v_mov_b32_e32 v14, 0x3b800000
	v_lshlrev_b32_e32 v11, 20, v11
	v_and_b32_e32 v13, 0x80000000, v13
	v_lshl_add_u32 v12, v12, 23, v14
	v_or3_b32 v12, v13, v12, v11
.LBB13_664:
	s_or_b64 exec, exec, s[6:7]
	s_nop 0
	v_mfma_f32_16x16x4f32 a[0:3], v10, v12, a[0:3]
	s_movk_i32 s4, 0x7f
	v_cmp_gt_i16_sdwa s[6:7], v6, s4 src0_sel:BYTE_3 src1_sel:DWORD
	s_mov_b64 s[4:5], 0
                                        ; implicit-def: $sgpr10
	s_and_saveexec_b64 s[8:9], s[6:7]
	s_xor_b64 s[6:7], exec, s[8:9]
	s_cbranch_execnz .LBB13_2713
; %bb.665:
	s_or_saveexec_b64 s[6:7], s[6:7]
	v_mov_b32_e32 v10, s10
	s_xor_b64 exec, exec, s[6:7]
	s_cbranch_execnz .LBB13_2716
.LBB13_666:
	s_or_b64 exec, exec, s[6:7]
	s_and_saveexec_b64 s[6:7], s[4:5]
	s_cbranch_execz .LBB13_668
.LBB13_667:
	v_bfe_u32 v10, v6, 24, 3
	v_ffbh_u32_e32 v14, v10
	v_min_u32_e32 v14, 32, v14
	v_lshrrev_b32_e32 v12, 27, v6
	v_subrev_u32_e32 v15, 28, v14
	v_and_b32_e32 v11, 0x80000000, v6
	v_and_b32_e32 v12, 15, v12
	v_bfe_u32 v13, v6, 27, 4
	v_lshlrev_b32_sdwa v6, v15, v6 dst_sel:DWORD dst_unused:UNUSED_PAD src0_sel:DWORD src1_sel:BYTE_3
	v_sub_u32_e32 v14, 29, v14
	v_and_b32_e32 v6, 7, v6
	v_cmp_eq_u16_e32 vcc, 0, v12
	v_cndmask_b32_e32 v6, v10, v6, vcc
	v_cndmask_b32_e32 v10, v13, v14, vcc
	v_mov_b32_e32 v12, 0x3b800000
	v_lshlrev_b32_e32 v6, 20, v6
	v_lshl_add_u32 v10, v10, 23, v12
	v_or3_b32 v10, v11, v10, v6
.LBB13_668:
	s_or_b64 exec, exec, s[6:7]
	s_movk_i32 s4, 0x7f
	v_cmp_gt_i16_sdwa s[6:7], v2, s4 src0_sel:BYTE_3 src1_sel:DWORD
	s_mov_b64 s[4:5], 0
                                        ; implicit-def: $sgpr10
	s_and_saveexec_b64 s[8:9], s[6:7]
	s_xor_b64 s[6:7], exec, s[8:9]
	s_cbranch_execnz .LBB13_2717
; %bb.669:
	s_or_saveexec_b64 s[6:7], s[6:7]
	v_mov_b32_e32 v6, s10
	s_xor_b64 exec, exec, s[6:7]
	s_cbranch_execnz .LBB13_2720
.LBB13_670:
	s_or_b64 exec, exec, s[6:7]
	s_and_saveexec_b64 s[6:7], s[4:5]
	s_cbranch_execz .LBB13_672
.LBB13_671:
	v_bfe_u32 v6, v2, 24, 3
	v_ffbh_u32_e32 v14, v6
	v_min_u32_e32 v14, 32, v14
	v_lshrrev_b32_e32 v12, 27, v2
	v_subrev_u32_e32 v15, 28, v14
	v_and_b32_e32 v11, 0x80000000, v2
	v_and_b32_e32 v12, 15, v12
	v_bfe_u32 v13, v2, 27, 4
	v_lshlrev_b32_sdwa v2, v15, v2 dst_sel:DWORD dst_unused:UNUSED_PAD src0_sel:DWORD src1_sel:BYTE_3
	v_sub_u32_e32 v14, 29, v14
	v_and_b32_e32 v2, 7, v2
	v_cmp_eq_u16_e32 vcc, 0, v12
	v_cndmask_b32_e32 v2, v6, v2, vcc
	v_cndmask_b32_e32 v6, v13, v14, vcc
	v_mov_b32_e32 v12, 0x3b800000
	v_lshlrev_b32_e32 v2, 20, v2
	v_lshl_add_u32 v6, v6, 23, v12
	v_or3_b32 v6, v11, v6, v2
.LBB13_672:
	s_or_b64 exec, exec, s[6:7]
	s_nop 0
	v_mfma_f32_16x16x4f32 a[0:3], v10, v6, a[0:3]
	s_movk_i32 s4, 0x7f
	v_cmp_gt_i16_sdwa s[6:7], v7, s4 src0_sel:BYTE_0 src1_sel:DWORD
	s_mov_b64 s[4:5], 0
                                        ; implicit-def: $sgpr10
	s_and_saveexec_b64 s[8:9], s[6:7]
	s_xor_b64 s[6:7], exec, s[8:9]
	s_cbranch_execnz .LBB13_2721
; %bb.673:
	s_or_saveexec_b64 s[6:7], s[6:7]
	v_mov_b32_e32 v2, s10
	s_xor_b64 exec, exec, s[6:7]
	s_cbranch_execnz .LBB13_2724
.LBB13_674:
	s_or_b64 exec, exec, s[6:7]
	s_and_saveexec_b64 s[6:7], s[4:5]
	s_cbranch_execz .LBB13_676
.LBB13_675:
	v_and_b32_e32 v2, 7, v7
	v_ffbh_u32_e32 v10, v2
	v_min_u32_e32 v10, 32, v10
	v_lshrrev_b16_e32 v6, 3, v7
	v_subrev_u32_e32 v11, 28, v10
	v_and_b32_e32 v6, 15, v6
	v_lshlrev_b32_e32 v11, v11, v7
	v_sub_u32_e32 v10, 29, v10
	v_and_b32_e32 v11, 7, v11
	v_cmp_eq_u16_e32 vcc, 0, v6
	v_cndmask_b32_e32 v2, v2, v11, vcc
	v_cndmask_b32_e32 v6, v6, v10, vcc
	v_lshlrev_b32_e32 v10, 24, v7
	v_mov_b32_e32 v11, 0x3b800000
	v_lshlrev_b32_e32 v2, 20, v2
	v_and_b32_e32 v10, 0x80000000, v10
	v_lshl_add_u32 v6, v6, 23, v11
	v_or3_b32 v2, v10, v6, v2
.LBB13_676:
	s_or_b64 exec, exec, s[6:7]
	s_movk_i32 s4, 0x7f
	v_cmp_gt_i16_sdwa s[6:7], v3, s4 src0_sel:BYTE_0 src1_sel:DWORD
	s_mov_b64 s[4:5], 0
                                        ; implicit-def: $sgpr10
	s_and_saveexec_b64 s[8:9], s[6:7]
	s_xor_b64 s[6:7], exec, s[8:9]
	s_cbranch_execnz .LBB13_2725
; %bb.677:
	s_or_saveexec_b64 s[6:7], s[6:7]
	v_mov_b32_e32 v6, s10
	s_xor_b64 exec, exec, s[6:7]
	s_cbranch_execnz .LBB13_2728
.LBB13_678:
	s_or_b64 exec, exec, s[6:7]
	s_and_saveexec_b64 s[6:7], s[4:5]
	s_cbranch_execz .LBB13_680
.LBB13_679:
	v_and_b32_e32 v6, 7, v3
	v_ffbh_u32_e32 v11, v6
	v_min_u32_e32 v11, 32, v11
	v_lshrrev_b16_e32 v10, 3, v3
	v_subrev_u32_e32 v12, 28, v11
	v_and_b32_e32 v10, 15, v10
	v_lshlrev_b32_e32 v12, v12, v3
	v_sub_u32_e32 v11, 29, v11
	v_and_b32_e32 v12, 7, v12
	v_cmp_eq_u16_e32 vcc, 0, v10
	v_cndmask_b32_e32 v6, v6, v12, vcc
	v_cndmask_b32_e32 v10, v10, v11, vcc
	v_lshlrev_b32_e32 v11, 24, v3
	v_mov_b32_e32 v12, 0x3b800000
	v_lshlrev_b32_e32 v6, 20, v6
	v_and_b32_e32 v11, 0x80000000, v11
	v_lshl_add_u32 v10, v10, 23, v12
	v_or3_b32 v6, v11, v10, v6
.LBB13_680:
	s_or_b64 exec, exec, s[6:7]
	s_nop 0
	v_mfma_f32_16x16x4f32 a[0:3], v2, v6, a[0:3]
	v_lshrrev_b32_e32 v6, 8, v7
	s_movk_i32 s4, 0x7f
	v_cmp_gt_i16_sdwa s[6:7], v6, s4 src0_sel:BYTE_0 src1_sel:DWORD
	s_mov_b64 s[4:5], 0
                                        ; implicit-def: $sgpr10
	s_and_saveexec_b64 s[8:9], s[6:7]
	s_xor_b64 s[6:7], exec, s[8:9]
	s_cbranch_execnz .LBB13_2729
; %bb.681:
	s_or_saveexec_b64 s[6:7], s[6:7]
	v_mov_b32_e32 v2, s10
	s_xor_b64 exec, exec, s[6:7]
	s_cbranch_execnz .LBB13_2732
.LBB13_682:
	s_or_b64 exec, exec, s[6:7]
	s_and_saveexec_b64 s[6:7], s[4:5]
	s_cbranch_execz .LBB13_684
.LBB13_683:
	v_bfe_u32 v2, v7, 8, 3
	v_ffbh_u32_e32 v11, v2
	v_min_u32_e32 v11, 32, v11
	v_lshrrev_b16_e32 v10, 3, v6
	v_subrev_u32_e32 v12, 28, v11
	v_and_b32_e32 v10, 15, v10
	v_lshlrev_b32_e32 v6, v12, v6
	v_sub_u32_e32 v11, 29, v11
	v_and_b32_e32 v6, 7, v6
	v_cmp_eq_u16_e32 vcc, 0, v10
	v_cndmask_b32_e32 v2, v2, v6, vcc
	v_cndmask_b32_e32 v6, v10, v11, vcc
	v_lshlrev_b32_e32 v10, 16, v7
	v_mov_b32_e32 v11, 0x3b800000
	v_lshlrev_b32_e32 v2, 20, v2
	v_and_b32_e32 v10, 0x80000000, v10
	v_lshl_add_u32 v6, v6, 23, v11
	v_or3_b32 v2, v10, v6, v2
.LBB13_684:
	s_or_b64 exec, exec, s[6:7]
	v_lshrrev_b32_e32 v6, 8, v3
	s_movk_i32 s4, 0x7f
	v_cmp_gt_i16_sdwa s[6:7], v6, s4 src0_sel:BYTE_0 src1_sel:DWORD
	s_mov_b64 s[4:5], 0
                                        ; implicit-def: $sgpr10
	s_and_saveexec_b64 s[8:9], s[6:7]
	s_xor_b64 s[6:7], exec, s[8:9]
	s_cbranch_execnz .LBB13_2733
; %bb.685:
	s_or_saveexec_b64 s[6:7], s[6:7]
	v_mov_b32_e32 v10, s10
	s_xor_b64 exec, exec, s[6:7]
	s_cbranch_execnz .LBB13_2736
.LBB13_686:
	s_or_b64 exec, exec, s[6:7]
	s_and_saveexec_b64 s[6:7], s[4:5]
	s_cbranch_execz .LBB13_688
.LBB13_687:
	v_bfe_u32 v10, v3, 8, 3
	v_ffbh_u32_e32 v12, v10
	v_min_u32_e32 v12, 32, v12
	v_lshrrev_b16_e32 v11, 3, v6
	v_subrev_u32_e32 v13, 28, v12
	v_and_b32_e32 v11, 15, v11
	v_lshlrev_b32_e32 v6, v13, v6
	v_sub_u32_e32 v12, 29, v12
	v_and_b32_e32 v6, 7, v6
	v_cmp_eq_u16_e32 vcc, 0, v11
	v_cndmask_b32_e32 v6, v10, v6, vcc
	v_cndmask_b32_e32 v10, v11, v12, vcc
	v_lshlrev_b32_e32 v11, 16, v3
	v_mov_b32_e32 v12, 0x3b800000
	v_lshlrev_b32_e32 v6, 20, v6
	v_and_b32_e32 v11, 0x80000000, v11
	v_lshl_add_u32 v10, v10, 23, v12
	v_or3_b32 v10, v11, v10, v6
.LBB13_688:
	s_or_b64 exec, exec, s[6:7]
	s_nop 0
	v_mfma_f32_16x16x4f32 a[0:3], v2, v10, a[0:3]
	s_movk_i32 s4, 0xff
	v_and_b32_sdwa v6, v7, s4 dst_sel:DWORD dst_unused:UNUSED_PAD src0_sel:WORD_1 src1_sel:DWORD
	s_movk_i32 s4, 0x7f
	v_cmp_lt_i16_e32 vcc, s4, v6
	s_mov_b64 s[4:5], 0
                                        ; implicit-def: $sgpr10
	s_and_saveexec_b64 s[6:7], vcc
	s_xor_b64 s[6:7], exec, s[6:7]
	s_cbranch_execnz .LBB13_2737
; %bb.689:
	s_or_saveexec_b64 s[6:7], s[6:7]
	v_mov_b32_e32 v2, s10
	s_xor_b64 exec, exec, s[6:7]
	s_cbranch_execnz .LBB13_2740
.LBB13_690:
	s_or_b64 exec, exec, s[6:7]
	s_and_saveexec_b64 s[6:7], s[4:5]
	s_cbranch_execz .LBB13_692
.LBB13_691:
	v_bfe_u32 v2, v7, 16, 3
	v_ffbh_u32_e32 v11, v2
	v_min_u32_e32 v11, 32, v11
	v_lshrrev_b32_e32 v6, 19, v7
	v_subrev_u32_e32 v12, 28, v11
	v_and_b32_e32 v6, 15, v6
	v_lshlrev_b32_sdwa v12, v12, v7 dst_sel:DWORD dst_unused:UNUSED_PAD src0_sel:DWORD src1_sel:WORD_1
	v_bfe_u32 v10, v7, 19, 4
	v_sub_u32_e32 v11, 29, v11
	v_and_b32_e32 v12, 7, v12
	v_cmp_eq_u16_e32 vcc, 0, v6
	v_cndmask_b32_e32 v2, v2, v12, vcc
	v_cndmask_b32_e32 v6, v10, v11, vcc
	v_lshlrev_b32_e32 v10, 8, v7
	v_mov_b32_e32 v11, 0x3b800000
	v_lshlrev_b32_e32 v2, 20, v2
	v_and_b32_e32 v10, 0x80000000, v10
	v_lshl_add_u32 v6, v6, 23, v11
	v_or3_b32 v2, v10, v6, v2
.LBB13_692:
	s_or_b64 exec, exec, s[6:7]
	s_movk_i32 s4, 0xff
	v_and_b32_sdwa v6, v3, s4 dst_sel:DWORD dst_unused:UNUSED_PAD src0_sel:WORD_1 src1_sel:DWORD
	s_movk_i32 s4, 0x7f
	v_cmp_lt_i16_e32 vcc, s4, v6
	s_mov_b64 s[4:5], 0
                                        ; implicit-def: $sgpr10
	s_and_saveexec_b64 s[6:7], vcc
	s_xor_b64 s[6:7], exec, s[6:7]
	s_cbranch_execnz .LBB13_2741
; %bb.693:
	s_or_saveexec_b64 s[6:7], s[6:7]
	v_mov_b32_e32 v10, s10
	s_xor_b64 exec, exec, s[6:7]
	s_cbranch_execnz .LBB13_2744
.LBB13_694:
	s_or_b64 exec, exec, s[6:7]
	s_and_saveexec_b64 s[6:7], s[4:5]
	s_cbranch_execz .LBB13_696
.LBB13_695:
	v_bfe_u32 v6, v3, 16, 3
	v_ffbh_u32_e32 v12, v6
	v_min_u32_e32 v12, 32, v12
	v_lshrrev_b32_e32 v10, 19, v3
	v_subrev_u32_e32 v13, 28, v12
	v_and_b32_e32 v10, 15, v10
	v_lshlrev_b32_sdwa v13, v13, v3 dst_sel:DWORD dst_unused:UNUSED_PAD src0_sel:DWORD src1_sel:WORD_1
	v_bfe_u32 v11, v3, 19, 4
	v_sub_u32_e32 v12, 29, v12
	v_and_b32_e32 v13, 7, v13
	v_cmp_eq_u16_e32 vcc, 0, v10
	v_cndmask_b32_e32 v6, v6, v13, vcc
	v_cndmask_b32_e32 v10, v11, v12, vcc
	v_lshlrev_b32_e32 v11, 8, v3
	v_mov_b32_e32 v12, 0x3b800000
	v_lshlrev_b32_e32 v6, 20, v6
	v_and_b32_e32 v11, 0x80000000, v11
	v_lshl_add_u32 v10, v10, 23, v12
	v_or3_b32 v10, v11, v10, v6
.LBB13_696:
	s_or_b64 exec, exec, s[6:7]
	s_nop 0
	v_mfma_f32_16x16x4f32 a[0:3], v2, v10, a[0:3]
	s_movk_i32 s4, 0x7f
	v_cmp_gt_i16_sdwa s[6:7], v7, s4 src0_sel:BYTE_3 src1_sel:DWORD
	s_mov_b64 s[4:5], 0
                                        ; implicit-def: $sgpr10
	s_and_saveexec_b64 s[8:9], s[6:7]
	s_xor_b64 s[6:7], exec, s[8:9]
	s_cbranch_execnz .LBB13_2745
; %bb.697:
	s_or_saveexec_b64 s[6:7], s[6:7]
	v_mov_b32_e32 v2, s10
	s_xor_b64 exec, exec, s[6:7]
	s_cbranch_execnz .LBB13_2748
.LBB13_698:
	s_or_b64 exec, exec, s[6:7]
	s_and_saveexec_b64 s[6:7], s[4:5]
	s_cbranch_execz .LBB13_700
.LBB13_699:
	v_bfe_u32 v2, v7, 24, 3
	v_ffbh_u32_e32 v12, v2
	v_min_u32_e32 v12, 32, v12
	v_lshrrev_b32_e32 v10, 27, v7
	v_subrev_u32_e32 v13, 28, v12
	v_and_b32_e32 v6, 0x80000000, v7
	v_and_b32_e32 v10, 15, v10
	v_bfe_u32 v11, v7, 27, 4
	v_lshlrev_b32_sdwa v7, v13, v7 dst_sel:DWORD dst_unused:UNUSED_PAD src0_sel:DWORD src1_sel:BYTE_3
	v_sub_u32_e32 v12, 29, v12
	v_and_b32_e32 v7, 7, v7
	v_cmp_eq_u16_e32 vcc, 0, v10
	v_cndmask_b32_e32 v2, v2, v7, vcc
	v_cndmask_b32_e32 v7, v11, v12, vcc
	v_mov_b32_e32 v10, 0x3b800000
	v_lshlrev_b32_e32 v2, 20, v2
	v_lshl_add_u32 v7, v7, 23, v10
	v_or3_b32 v2, v6, v7, v2
.LBB13_700:
	s_or_b64 exec, exec, s[6:7]
	s_movk_i32 s4, 0x7f
	v_cmp_gt_i16_sdwa s[6:7], v3, s4 src0_sel:BYTE_3 src1_sel:DWORD
	s_mov_b64 s[4:5], 0
                                        ; implicit-def: $sgpr10
	s_and_saveexec_b64 s[8:9], s[6:7]
	s_xor_b64 s[6:7], exec, s[8:9]
	s_cbranch_execnz .LBB13_2749
; %bb.701:
	s_or_saveexec_b64 s[6:7], s[6:7]
	v_mov_b32_e32 v6, s10
	s_xor_b64 exec, exec, s[6:7]
	s_cbranch_execnz .LBB13_2752
.LBB13_702:
	s_or_b64 exec, exec, s[6:7]
	s_and_saveexec_b64 s[6:7], s[4:5]
	s_cbranch_execz .LBB13_704
.LBB13_703:
	v_bfe_u32 v6, v3, 24, 3
	v_ffbh_u32_e32 v12, v6
	v_min_u32_e32 v12, 32, v12
	v_lshrrev_b32_e32 v10, 27, v3
	v_subrev_u32_e32 v13, 28, v12
	v_and_b32_e32 v7, 0x80000000, v3
	v_and_b32_e32 v10, 15, v10
	v_bfe_u32 v11, v3, 27, 4
	v_lshlrev_b32_sdwa v3, v13, v3 dst_sel:DWORD dst_unused:UNUSED_PAD src0_sel:DWORD src1_sel:BYTE_3
	v_sub_u32_e32 v12, 29, v12
	v_and_b32_e32 v3, 7, v3
	v_cmp_eq_u16_e32 vcc, 0, v10
	v_cndmask_b32_e32 v3, v6, v3, vcc
	v_cndmask_b32_e32 v6, v11, v12, vcc
	v_mov_b32_e32 v10, 0x3b800000
	v_lshlrev_b32_e32 v3, 20, v3
	v_lshl_add_u32 v6, v6, 23, v10
	v_or3_b32 v6, v7, v6, v3
.LBB13_704:
	s_or_b64 exec, exec, s[6:7]
	s_nop 0
	v_mfma_f32_16x16x4f32 a[0:3], v2, v6, a[0:3]
	s_movk_i32 s4, 0x7f
	v_cmp_gt_i16_sdwa s[6:7], v8, s4 src0_sel:BYTE_0 src1_sel:DWORD
	s_mov_b64 s[4:5], 0
                                        ; implicit-def: $sgpr10
	s_and_saveexec_b64 s[8:9], s[6:7]
	s_xor_b64 s[6:7], exec, s[8:9]
	s_cbranch_execnz .LBB13_2753
; %bb.705:
	s_or_saveexec_b64 s[6:7], s[6:7]
	v_mov_b32_e32 v2, s10
	s_xor_b64 exec, exec, s[6:7]
	s_cbranch_execnz .LBB13_2756
.LBB13_706:
	s_or_b64 exec, exec, s[6:7]
	s_and_saveexec_b64 s[6:7], s[4:5]
	s_cbranch_execz .LBB13_708
.LBB13_707:
	v_and_b32_e32 v2, 7, v8
	v_ffbh_u32_e32 v6, v2
	v_min_u32_e32 v6, 32, v6
	v_lshrrev_b16_e32 v3, 3, v8
	v_subrev_u32_e32 v7, 28, v6
	v_and_b32_e32 v3, 15, v3
	v_lshlrev_b32_e32 v7, v7, v8
	v_sub_u32_e32 v6, 29, v6
	v_and_b32_e32 v7, 7, v7
	v_cmp_eq_u16_e32 vcc, 0, v3
	v_cndmask_b32_e32 v2, v2, v7, vcc
	v_cndmask_b32_e32 v3, v3, v6, vcc
	v_lshlrev_b32_e32 v6, 24, v8
	v_mov_b32_e32 v7, 0x3b800000
	v_lshlrev_b32_e32 v2, 20, v2
	v_and_b32_e32 v6, 0x80000000, v6
	v_lshl_add_u32 v3, v3, 23, v7
	v_or3_b32 v2, v6, v3, v2
.LBB13_708:
	s_or_b64 exec, exec, s[6:7]
	s_movk_i32 s4, 0x7f
	v_cmp_gt_i16_sdwa s[6:7], v4, s4 src0_sel:BYTE_0 src1_sel:DWORD
	s_mov_b64 s[4:5], 0
                                        ; implicit-def: $sgpr10
	s_and_saveexec_b64 s[8:9], s[6:7]
	s_xor_b64 s[6:7], exec, s[8:9]
	s_cbranch_execnz .LBB13_2757
; %bb.709:
	s_or_saveexec_b64 s[6:7], s[6:7]
	v_mov_b32_e32 v3, s10
	s_xor_b64 exec, exec, s[6:7]
	s_cbranch_execnz .LBB13_2760
.LBB13_710:
	s_or_b64 exec, exec, s[6:7]
	s_and_saveexec_b64 s[6:7], s[4:5]
	s_cbranch_execz .LBB13_712
.LBB13_711:
	v_and_b32_e32 v3, 7, v4
	v_ffbh_u32_e32 v7, v3
	v_min_u32_e32 v7, 32, v7
	v_lshrrev_b16_e32 v6, 3, v4
	v_subrev_u32_e32 v10, 28, v7
	v_and_b32_e32 v6, 15, v6
	v_lshlrev_b32_e32 v10, v10, v4
	v_sub_u32_e32 v7, 29, v7
	v_and_b32_e32 v10, 7, v10
	v_cmp_eq_u16_e32 vcc, 0, v6
	v_cndmask_b32_e32 v3, v3, v10, vcc
	v_cndmask_b32_e32 v6, v6, v7, vcc
	v_lshlrev_b32_e32 v7, 24, v4
	v_mov_b32_e32 v10, 0x3b800000
	v_lshlrev_b32_e32 v3, 20, v3
	v_and_b32_e32 v7, 0x80000000, v7
	v_lshl_add_u32 v6, v6, 23, v10
	v_or3_b32 v3, v7, v6, v3
.LBB13_712:
	s_or_b64 exec, exec, s[6:7]
	s_nop 0
	v_mfma_f32_16x16x4f32 a[0:3], v2, v3, a[0:3]
	v_lshrrev_b32_e32 v3, 8, v8
	s_movk_i32 s4, 0x7f
	v_cmp_gt_i16_sdwa s[6:7], v3, s4 src0_sel:BYTE_0 src1_sel:DWORD
	s_mov_b64 s[4:5], 0
                                        ; implicit-def: $sgpr10
	s_and_saveexec_b64 s[8:9], s[6:7]
	s_xor_b64 s[6:7], exec, s[8:9]
	s_cbranch_execnz .LBB13_2761
; %bb.713:
	s_or_saveexec_b64 s[6:7], s[6:7]
	v_mov_b32_e32 v2, s10
	s_xor_b64 exec, exec, s[6:7]
	s_cbranch_execnz .LBB13_2764
.LBB13_714:
	s_or_b64 exec, exec, s[6:7]
	s_and_saveexec_b64 s[6:7], s[4:5]
	s_cbranch_execz .LBB13_716
.LBB13_715:
	v_bfe_u32 v2, v8, 8, 3
	v_ffbh_u32_e32 v7, v2
	v_min_u32_e32 v7, 32, v7
	v_lshrrev_b16_e32 v6, 3, v3
	v_subrev_u32_e32 v10, 28, v7
	v_and_b32_e32 v6, 15, v6
	v_lshlrev_b32_e32 v3, v10, v3
	v_sub_u32_e32 v7, 29, v7
	v_and_b32_e32 v3, 7, v3
	v_cmp_eq_u16_e32 vcc, 0, v6
	v_cndmask_b32_e32 v2, v2, v3, vcc
	v_cndmask_b32_e32 v3, v6, v7, vcc
	v_lshlrev_b32_e32 v6, 16, v8
	v_mov_b32_e32 v7, 0x3b800000
	v_lshlrev_b32_e32 v2, 20, v2
	v_and_b32_e32 v6, 0x80000000, v6
	v_lshl_add_u32 v3, v3, 23, v7
	v_or3_b32 v2, v6, v3, v2
.LBB13_716:
	s_or_b64 exec, exec, s[6:7]
	v_lshrrev_b32_e32 v3, 8, v4
	s_movk_i32 s4, 0x7f
	v_cmp_gt_i16_sdwa s[6:7], v3, s4 src0_sel:BYTE_0 src1_sel:DWORD
	s_mov_b64 s[4:5], 0
                                        ; implicit-def: $sgpr10
	s_and_saveexec_b64 s[8:9], s[6:7]
	s_xor_b64 s[6:7], exec, s[8:9]
	s_cbranch_execnz .LBB13_2765
; %bb.717:
	s_or_saveexec_b64 s[6:7], s[6:7]
	v_mov_b32_e32 v6, s10
	s_xor_b64 exec, exec, s[6:7]
	s_cbranch_execnz .LBB13_2768
.LBB13_718:
	s_or_b64 exec, exec, s[6:7]
	s_and_saveexec_b64 s[6:7], s[4:5]
	s_cbranch_execz .LBB13_720
.LBB13_719:
	v_bfe_u32 v6, v4, 8, 3
	v_ffbh_u32_e32 v10, v6
	v_min_u32_e32 v10, 32, v10
	v_lshrrev_b16_e32 v7, 3, v3
	v_subrev_u32_e32 v11, 28, v10
	v_and_b32_e32 v7, 15, v7
	v_lshlrev_b32_e32 v3, v11, v3
	v_sub_u32_e32 v10, 29, v10
	v_and_b32_e32 v3, 7, v3
	v_cmp_eq_u16_e32 vcc, 0, v7
	v_cndmask_b32_e32 v3, v6, v3, vcc
	v_cndmask_b32_e32 v6, v7, v10, vcc
	v_lshlrev_b32_e32 v7, 16, v4
	v_mov_b32_e32 v10, 0x3b800000
	v_lshlrev_b32_e32 v3, 20, v3
	v_and_b32_e32 v7, 0x80000000, v7
	v_lshl_add_u32 v6, v6, 23, v10
	v_or3_b32 v6, v7, v6, v3
.LBB13_720:
	s_or_b64 exec, exec, s[6:7]
	s_nop 0
	v_mfma_f32_16x16x4f32 a[0:3], v2, v6, a[0:3]
	s_movk_i32 s4, 0xff
	v_and_b32_sdwa v3, v8, s4 dst_sel:DWORD dst_unused:UNUSED_PAD src0_sel:WORD_1 src1_sel:DWORD
	s_movk_i32 s4, 0x7f
	v_cmp_lt_i16_e32 vcc, s4, v3
	s_mov_b64 s[4:5], 0
                                        ; implicit-def: $sgpr10
	s_and_saveexec_b64 s[6:7], vcc
	s_xor_b64 s[6:7], exec, s[6:7]
	s_cbranch_execnz .LBB13_2769
; %bb.721:
	s_or_saveexec_b64 s[6:7], s[6:7]
	v_mov_b32_e32 v2, s10
	s_xor_b64 exec, exec, s[6:7]
	s_cbranch_execnz .LBB13_2772
.LBB13_722:
	s_or_b64 exec, exec, s[6:7]
	s_and_saveexec_b64 s[6:7], s[4:5]
	s_cbranch_execz .LBB13_724
.LBB13_723:
	v_bfe_u32 v2, v8, 16, 3
	v_ffbh_u32_e32 v7, v2
	v_min_u32_e32 v7, 32, v7
	v_lshrrev_b32_e32 v3, 19, v8
	v_subrev_u32_e32 v10, 28, v7
	v_and_b32_e32 v3, 15, v3
	v_lshlrev_b32_sdwa v10, v10, v8 dst_sel:DWORD dst_unused:UNUSED_PAD src0_sel:DWORD src1_sel:WORD_1
	v_bfe_u32 v6, v8, 19, 4
	v_sub_u32_e32 v7, 29, v7
	v_and_b32_e32 v10, 7, v10
	v_cmp_eq_u16_e32 vcc, 0, v3
	v_cndmask_b32_e32 v2, v2, v10, vcc
	v_cndmask_b32_e32 v3, v6, v7, vcc
	v_lshlrev_b32_e32 v6, 8, v8
	v_mov_b32_e32 v7, 0x3b800000
	v_lshlrev_b32_e32 v2, 20, v2
	v_and_b32_e32 v6, 0x80000000, v6
	v_lshl_add_u32 v3, v3, 23, v7
	v_or3_b32 v2, v6, v3, v2
.LBB13_724:
	s_or_b64 exec, exec, s[6:7]
	s_movk_i32 s4, 0xff
	v_and_b32_sdwa v3, v4, s4 dst_sel:DWORD dst_unused:UNUSED_PAD src0_sel:WORD_1 src1_sel:DWORD
	s_movk_i32 s4, 0x7f
	v_cmp_lt_i16_e32 vcc, s4, v3
	s_mov_b64 s[4:5], 0
                                        ; implicit-def: $sgpr10
	s_and_saveexec_b64 s[6:7], vcc
	s_xor_b64 s[6:7], exec, s[6:7]
	s_cbranch_execnz .LBB13_2773
; %bb.725:
	s_or_saveexec_b64 s[6:7], s[6:7]
	v_mov_b32_e32 v6, s10
	s_xor_b64 exec, exec, s[6:7]
	s_cbranch_execnz .LBB13_2776
.LBB13_726:
	s_or_b64 exec, exec, s[6:7]
	s_and_saveexec_b64 s[6:7], s[4:5]
	s_cbranch_execz .LBB13_728
.LBB13_727:
	v_bfe_u32 v3, v4, 16, 3
	v_ffbh_u32_e32 v10, v3
	v_min_u32_e32 v10, 32, v10
	v_lshrrev_b32_e32 v6, 19, v4
	v_subrev_u32_e32 v11, 28, v10
	v_and_b32_e32 v6, 15, v6
	v_lshlrev_b32_sdwa v11, v11, v4 dst_sel:DWORD dst_unused:UNUSED_PAD src0_sel:DWORD src1_sel:WORD_1
	v_bfe_u32 v7, v4, 19, 4
	v_sub_u32_e32 v10, 29, v10
	v_and_b32_e32 v11, 7, v11
	v_cmp_eq_u16_e32 vcc, 0, v6
	v_cndmask_b32_e32 v3, v3, v11, vcc
	v_cndmask_b32_e32 v6, v7, v10, vcc
	v_lshlrev_b32_e32 v7, 8, v4
	v_mov_b32_e32 v10, 0x3b800000
	v_lshlrev_b32_e32 v3, 20, v3
	v_and_b32_e32 v7, 0x80000000, v7
	v_lshl_add_u32 v6, v6, 23, v10
	v_or3_b32 v6, v7, v6, v3
.LBB13_728:
	s_or_b64 exec, exec, s[6:7]
	s_nop 0
	v_mfma_f32_16x16x4f32 a[0:3], v2, v6, a[0:3]
	s_movk_i32 s4, 0x7f
	v_cmp_gt_i16_sdwa s[6:7], v8, s4 src0_sel:BYTE_3 src1_sel:DWORD
	s_mov_b64 s[4:5], 0
                                        ; implicit-def: $sgpr10
	s_and_saveexec_b64 s[8:9], s[6:7]
	s_xor_b64 s[6:7], exec, s[8:9]
	s_cbranch_execnz .LBB13_2777
; %bb.729:
	s_or_saveexec_b64 s[6:7], s[6:7]
	v_mov_b32_e32 v2, s10
	s_xor_b64 exec, exec, s[6:7]
	s_cbranch_execnz .LBB13_2780
.LBB13_730:
	s_or_b64 exec, exec, s[6:7]
	s_and_saveexec_b64 s[6:7], s[4:5]
	s_cbranch_execz .LBB13_732
.LBB13_731:
	v_bfe_u32 v2, v8, 24, 3
	v_ffbh_u32_e32 v10, v2
	v_min_u32_e32 v10, 32, v10
	v_lshrrev_b32_e32 v6, 27, v8
	v_subrev_u32_e32 v11, 28, v10
	v_and_b32_e32 v3, 0x80000000, v8
	v_and_b32_e32 v6, 15, v6
	v_bfe_u32 v7, v8, 27, 4
	v_lshlrev_b32_sdwa v8, v11, v8 dst_sel:DWORD dst_unused:UNUSED_PAD src0_sel:DWORD src1_sel:BYTE_3
	v_sub_u32_e32 v10, 29, v10
	v_and_b32_e32 v8, 7, v8
	v_cmp_eq_u16_e32 vcc, 0, v6
	v_cndmask_b32_e32 v2, v2, v8, vcc
	v_cndmask_b32_e32 v6, v7, v10, vcc
	v_mov_b32_e32 v7, 0x3b800000
	v_lshlrev_b32_e32 v2, 20, v2
	v_lshl_add_u32 v6, v6, 23, v7
	v_or3_b32 v2, v3, v6, v2
.LBB13_732:
	s_or_b64 exec, exec, s[6:7]
	s_movk_i32 s4, 0x7f
	v_cmp_gt_i16_sdwa s[6:7], v4, s4 src0_sel:BYTE_3 src1_sel:DWORD
	s_mov_b64 s[4:5], 0
                                        ; implicit-def: $sgpr10
	s_and_saveexec_b64 s[8:9], s[6:7]
	s_xor_b64 s[6:7], exec, s[8:9]
	s_cbranch_execnz .LBB13_2781
; %bb.733:
	s_or_saveexec_b64 s[6:7], s[6:7]
	v_mov_b32_e32 v3, s10
	s_xor_b64 exec, exec, s[6:7]
	s_cbranch_execnz .LBB13_2784
.LBB13_734:
	s_or_b64 exec, exec, s[6:7]
	s_and_saveexec_b64 s[6:7], s[4:5]
	s_cbranch_execz .LBB13_736
.LBB13_735:
	v_bfe_u32 v3, v4, 24, 3
	v_ffbh_u32_e32 v10, v3
	v_min_u32_e32 v10, 32, v10
	v_lshrrev_b32_e32 v7, 27, v4
	v_subrev_u32_e32 v11, 28, v10
	v_and_b32_e32 v6, 0x80000000, v4
	v_and_b32_e32 v7, 15, v7
	v_bfe_u32 v8, v4, 27, 4
	v_lshlrev_b32_sdwa v4, v11, v4 dst_sel:DWORD dst_unused:UNUSED_PAD src0_sel:DWORD src1_sel:BYTE_3
	v_sub_u32_e32 v10, 29, v10
	v_and_b32_e32 v4, 7, v4
	v_cmp_eq_u16_e32 vcc, 0, v7
	v_cndmask_b32_e32 v3, v3, v4, vcc
	v_cndmask_b32_e32 v4, v8, v10, vcc
	v_mov_b32_e32 v7, 0x3b800000
	v_lshlrev_b32_e32 v3, 20, v3
	v_lshl_add_u32 v4, v4, 23, v7
	v_or3_b32 v3, v6, v4, v3
.LBB13_736:
	s_or_b64 exec, exec, s[6:7]
	s_nop 0
	v_mfma_f32_16x16x4f32 a[0:3], v2, v3, a[0:3]
	s_movk_i32 s4, 0x7f
	v_cmp_gt_i16_sdwa s[6:7], v9, s4 src0_sel:BYTE_0 src1_sel:DWORD
	s_mov_b64 s[4:5], 0
                                        ; implicit-def: $sgpr10
	s_and_saveexec_b64 s[8:9], s[6:7]
	s_xor_b64 s[6:7], exec, s[8:9]
	s_cbranch_execnz .LBB13_2785
; %bb.737:
	s_or_saveexec_b64 s[6:7], s[6:7]
	v_mov_b32_e32 v2, s10
	s_xor_b64 exec, exec, s[6:7]
	s_cbranch_execnz .LBB13_2788
.LBB13_738:
	s_or_b64 exec, exec, s[6:7]
	s_and_saveexec_b64 s[6:7], s[4:5]
	s_cbranch_execz .LBB13_740
.LBB13_739:
	v_mov_b32_e32 v2, 8
	v_and_b32_e32 v3, 7, v9
	v_lshrrev_b32_sdwa v2, v2, v9 dst_sel:BYTE_1 dst_unused:UNUSED_PAD src0_sel:DWORD src1_sel:DWORD
	v_ffbh_u32_e32 v4, v3
	v_or_b32_sdwa v2, v9, v2 dst_sel:DWORD dst_unused:UNUSED_PAD src0_sel:BYTE_0 src1_sel:DWORD
	v_min_u32_e32 v4, 32, v4
	v_lshrrev_b16_e32 v2, 3, v2
	v_subrev_u32_e32 v6, 28, v4
	v_and_b32_e32 v2, 15, v2
	v_lshlrev_b32_e32 v6, v6, v9
	v_sub_u32_e32 v4, 29, v4
	v_and_b32_e32 v6, 7, v6
	v_cmp_eq_u16_e32 vcc, 0, v2
	v_cndmask_b32_e32 v3, v3, v6, vcc
	v_cndmask_b32_e32 v2, v2, v4, vcc
	v_lshlrev_b32_e32 v4, 24, v9
	v_mov_b32_e32 v6, 0x3b800000
	v_lshlrev_b32_e32 v3, 20, v3
	v_and_b32_e32 v4, 0x80000000, v4
	v_lshl_add_u32 v2, v2, 23, v6
	v_or3_b32 v2, v4, v2, v3
.LBB13_740:
	s_or_b64 exec, exec, s[6:7]
	s_movk_i32 s4, 0x7f
	v_cmp_gt_i16_sdwa s[6:7], v5, s4 src0_sel:BYTE_0 src1_sel:DWORD
	s_mov_b64 s[4:5], 0
                                        ; implicit-def: $sgpr10
	s_and_saveexec_b64 s[8:9], s[6:7]
	s_xor_b64 s[6:7], exec, s[8:9]
	s_cbranch_execnz .LBB13_2789
; %bb.741:
	s_or_saveexec_b64 s[6:7], s[6:7]
	v_mov_b32_e32 v3, s10
	s_xor_b64 exec, exec, s[6:7]
	s_cbranch_execnz .LBB13_2792
.LBB13_742:
	s_or_b64 exec, exec, s[6:7]
	s_and_saveexec_b64 s[6:7], s[4:5]
	s_cbranch_execz .LBB13_744
.LBB13_743:
	v_mov_b32_e32 v3, 8
	v_and_b32_e32 v4, 7, v5
	v_lshrrev_b32_sdwa v3, v3, v5 dst_sel:BYTE_1 dst_unused:UNUSED_PAD src0_sel:DWORD src1_sel:DWORD
	v_ffbh_u32_e32 v6, v4
	v_or_b32_sdwa v3, v5, v3 dst_sel:DWORD dst_unused:UNUSED_PAD src0_sel:BYTE_0 src1_sel:DWORD
	v_min_u32_e32 v6, 32, v6
	v_lshrrev_b16_e32 v3, 3, v3
	v_subrev_u32_e32 v7, 28, v6
	v_and_b32_e32 v3, 15, v3
	v_lshlrev_b32_e32 v7, v7, v5
	v_sub_u32_e32 v6, 29, v6
	v_and_b32_e32 v7, 7, v7
	v_cmp_eq_u16_e32 vcc, 0, v3
	v_cndmask_b32_e32 v4, v4, v7, vcc
	v_cndmask_b32_e32 v3, v3, v6, vcc
	v_lshlrev_b32_e32 v6, 24, v5
	v_mov_b32_e32 v7, 0x3b800000
	v_lshlrev_b32_e32 v4, 20, v4
	v_and_b32_e32 v6, 0x80000000, v6
	v_lshl_add_u32 v3, v3, 23, v7
	v_or3_b32 v3, v6, v3, v4
.LBB13_744:
	s_or_b64 exec, exec, s[6:7]
	s_nop 0
	v_mfma_f32_16x16x4f32 a[0:3], v2, v3, a[0:3]
	v_lshrrev_b32_e32 v3, 8, v9
	s_movk_i32 s4, 0x7f
	v_cmp_gt_i16_sdwa s[6:7], v3, s4 src0_sel:BYTE_0 src1_sel:DWORD
	s_mov_b64 s[4:5], 0
                                        ; implicit-def: $sgpr10
	s_and_saveexec_b64 s[8:9], s[6:7]
	s_xor_b64 s[6:7], exec, s[8:9]
	s_cbranch_execnz .LBB13_2793
; %bb.745:
	s_or_saveexec_b64 s[6:7], s[6:7]
	v_mov_b32_e32 v2, s10
	s_xor_b64 exec, exec, s[6:7]
	s_cbranch_execnz .LBB13_2796
.LBB13_746:
	s_or_b64 exec, exec, s[6:7]
	s_and_saveexec_b64 s[6:7], s[4:5]
	s_cbranch_execz .LBB13_748
.LBB13_747:
	v_bfe_u32 v2, v9, 8, 3
	v_ffbh_u32_e32 v6, v2
	v_min_u32_e32 v6, 32, v6
	v_lshrrev_b16_e32 v4, 3, v3
	v_subrev_u32_e32 v7, 28, v6
	v_and_b32_e32 v4, 15, v4
	v_lshlrev_b32_e32 v3, v7, v3
	v_sub_u32_e32 v6, 29, v6
	v_and_b32_e32 v3, 7, v3
	v_cmp_eq_u16_e32 vcc, 0, v4
	v_cndmask_b32_e32 v2, v2, v3, vcc
	v_cndmask_b32_e32 v3, v4, v6, vcc
	v_lshlrev_b32_e32 v4, 16, v9
	v_mov_b32_e32 v6, 0x3b800000
	v_lshlrev_b32_e32 v2, 20, v2
	v_and_b32_e32 v4, 0x80000000, v4
	v_lshl_add_u32 v3, v3, 23, v6
	v_or3_b32 v2, v4, v3, v2
.LBB13_748:
	s_or_b64 exec, exec, s[6:7]
	v_lshrrev_b32_e32 v3, 8, v5
	s_movk_i32 s4, 0x7f
	v_cmp_gt_i16_sdwa s[6:7], v3, s4 src0_sel:BYTE_0 src1_sel:DWORD
	s_mov_b64 s[4:5], 0
                                        ; implicit-def: $sgpr10
	s_and_saveexec_b64 s[8:9], s[6:7]
	s_xor_b64 s[6:7], exec, s[8:9]
	s_cbranch_execnz .LBB13_2797
; %bb.749:
	s_or_saveexec_b64 s[6:7], s[6:7]
	v_mov_b32_e32 v4, s10
	s_xor_b64 exec, exec, s[6:7]
	s_cbranch_execnz .LBB13_2800
.LBB13_750:
	s_or_b64 exec, exec, s[6:7]
	s_and_saveexec_b64 s[6:7], s[4:5]
	s_cbranch_execz .LBB13_752
.LBB13_751:
	v_bfe_u32 v4, v5, 8, 3
	v_ffbh_u32_e32 v7, v4
	v_min_u32_e32 v7, 32, v7
	v_lshrrev_b16_e32 v6, 3, v3
	v_subrev_u32_e32 v8, 28, v7
	v_and_b32_e32 v6, 15, v6
	v_lshlrev_b32_e32 v3, v8, v3
	v_sub_u32_e32 v7, 29, v7
	v_and_b32_e32 v3, 7, v3
	v_cmp_eq_u16_e32 vcc, 0, v6
	v_cndmask_b32_e32 v3, v4, v3, vcc
	v_cndmask_b32_e32 v4, v6, v7, vcc
	v_lshlrev_b32_e32 v6, 16, v5
	v_mov_b32_e32 v7, 0x3b800000
	v_lshlrev_b32_e32 v3, 20, v3
	v_and_b32_e32 v6, 0x80000000, v6
	v_lshl_add_u32 v4, v4, 23, v7
	v_or3_b32 v4, v6, v4, v3
.LBB13_752:
	s_or_b64 exec, exec, s[6:7]
	s_nop 0
	v_mfma_f32_16x16x4f32 a[0:3], v2, v4, a[0:3]
	s_movk_i32 s4, 0xff
	v_and_b32_sdwa v3, v9, s4 dst_sel:DWORD dst_unused:UNUSED_PAD src0_sel:WORD_1 src1_sel:DWORD
	s_movk_i32 s4, 0x7f
	v_cmp_lt_i16_e32 vcc, s4, v3
	s_mov_b64 s[4:5], 0
                                        ; implicit-def: $sgpr10
	s_and_saveexec_b64 s[6:7], vcc
	s_xor_b64 s[6:7], exec, s[6:7]
	s_cbranch_execnz .LBB13_2801
; %bb.753:
	s_or_saveexec_b64 s[6:7], s[6:7]
	v_mov_b32_e32 v2, s10
	s_xor_b64 exec, exec, s[6:7]
	s_cbranch_execnz .LBB13_2804
.LBB13_754:
	s_or_b64 exec, exec, s[6:7]
	s_and_saveexec_b64 s[6:7], s[4:5]
	s_cbranch_execz .LBB13_756
.LBB13_755:
	v_bfe_u32 v2, v9, 16, 3
	v_ffbh_u32_e32 v6, v2
	v_min_u32_e32 v6, 32, v6
	v_lshrrev_b32_e32 v3, 19, v9
	v_subrev_u32_e32 v7, 28, v6
	v_and_b32_e32 v3, 15, v3
	v_lshlrev_b32_sdwa v7, v7, v9 dst_sel:DWORD dst_unused:UNUSED_PAD src0_sel:DWORD src1_sel:WORD_1
	v_bfe_u32 v4, v9, 19, 4
	v_sub_u32_e32 v6, 29, v6
	v_and_b32_e32 v7, 7, v7
	v_cmp_eq_u16_e32 vcc, 0, v3
	v_cndmask_b32_e32 v2, v2, v7, vcc
	v_cndmask_b32_e32 v3, v4, v6, vcc
	v_lshlrev_b32_e32 v4, 8, v9
	v_mov_b32_e32 v6, 0x3b800000
	v_lshlrev_b32_e32 v2, 20, v2
	v_and_b32_e32 v4, 0x80000000, v4
	v_lshl_add_u32 v3, v3, 23, v6
	v_or3_b32 v2, v4, v3, v2
.LBB13_756:
	s_or_b64 exec, exec, s[6:7]
	s_movk_i32 s4, 0xff
	v_and_b32_sdwa v3, v5, s4 dst_sel:DWORD dst_unused:UNUSED_PAD src0_sel:WORD_1 src1_sel:DWORD
	s_movk_i32 s4, 0x7f
	v_cmp_lt_i16_e32 vcc, s4, v3
	s_mov_b64 s[4:5], 0
                                        ; implicit-def: $sgpr10
	s_and_saveexec_b64 s[6:7], vcc
	s_xor_b64 s[6:7], exec, s[6:7]
	s_cbranch_execnz .LBB13_2805
; %bb.757:
	s_or_saveexec_b64 s[6:7], s[6:7]
	v_mov_b32_e32 v4, s10
	s_xor_b64 exec, exec, s[6:7]
	s_cbranch_execnz .LBB13_2808
.LBB13_758:
	s_or_b64 exec, exec, s[6:7]
	s_and_saveexec_b64 s[6:7], s[4:5]
	s_cbranch_execz .LBB13_760
.LBB13_759:
	v_bfe_u32 v3, v5, 16, 3
	v_ffbh_u32_e32 v7, v3
	v_min_u32_e32 v7, 32, v7
	v_lshrrev_b32_e32 v4, 19, v5
	v_subrev_u32_e32 v8, 28, v7
	v_and_b32_e32 v4, 15, v4
	v_lshlrev_b32_sdwa v8, v8, v5 dst_sel:DWORD dst_unused:UNUSED_PAD src0_sel:DWORD src1_sel:WORD_1
	v_bfe_u32 v6, v5, 19, 4
	v_sub_u32_e32 v7, 29, v7
	v_and_b32_e32 v8, 7, v8
	v_cmp_eq_u16_e32 vcc, 0, v4
	v_cndmask_b32_e32 v3, v3, v8, vcc
	v_cndmask_b32_e32 v4, v6, v7, vcc
	v_lshlrev_b32_e32 v6, 8, v5
	v_mov_b32_e32 v7, 0x3b800000
	v_lshlrev_b32_e32 v3, 20, v3
	v_and_b32_e32 v6, 0x80000000, v6
	v_lshl_add_u32 v4, v4, 23, v7
	v_or3_b32 v4, v6, v4, v3
.LBB13_760:
	s_or_b64 exec, exec, s[6:7]
	s_nop 0
	v_mfma_f32_16x16x4f32 a[0:3], v2, v4, a[0:3]
	s_movk_i32 s4, 0x7f
	v_cmp_gt_i16_sdwa s[6:7], v9, s4 src0_sel:BYTE_3 src1_sel:DWORD
	s_mov_b64 s[4:5], 0
                                        ; implicit-def: $sgpr10
	s_and_saveexec_b64 s[8:9], s[6:7]
	s_xor_b64 s[6:7], exec, s[8:9]
	s_cbranch_execnz .LBB13_2809
; %bb.761:
	s_or_saveexec_b64 s[6:7], s[6:7]
	v_mov_b32_e32 v2, s10
	s_xor_b64 exec, exec, s[6:7]
	s_cbranch_execnz .LBB13_2812
.LBB13_762:
	s_or_b64 exec, exec, s[6:7]
	s_and_saveexec_b64 s[6:7], s[4:5]
	s_cbranch_execz .LBB13_764
.LBB13_763:
	v_bfe_u32 v2, v9, 24, 3
	v_ffbh_u32_e32 v7, v2
	v_min_u32_e32 v7, 32, v7
	v_lshrrev_b32_e32 v4, 27, v9
	v_subrev_u32_e32 v8, 28, v7
	v_and_b32_e32 v4, 15, v4
	v_lshlrev_b32_sdwa v8, v8, v9 dst_sel:DWORD dst_unused:UNUSED_PAD src0_sel:DWORD src1_sel:BYTE_3
	v_bfe_u32 v6, v9, 27, 4
	v_sub_u32_e32 v7, 29, v7
	v_and_b32_e32 v8, 7, v8
	v_cmp_eq_u16_e32 vcc, 0, v4
	v_cndmask_b32_e32 v2, v2, v8, vcc
	v_cndmask_b32_e32 v4, v6, v7, vcc
	v_mov_b32_e32 v6, 0x3b800000
	v_and_b32_e32 v3, 0x80000000, v9
	v_lshlrev_b32_e32 v2, 20, v2
	v_lshl_add_u32 v4, v4, 23, v6
	v_or3_b32 v2, v3, v4, v2
.LBB13_764:
	s_or_b64 exec, exec, s[6:7]
	s_movk_i32 s4, 0x7f
	v_cmp_gt_i16_sdwa s[6:7], v5, s4 src0_sel:BYTE_3 src1_sel:DWORD
	s_mov_b64 s[4:5], 0
                                        ; implicit-def: $sgpr10
	s_and_saveexec_b64 s[8:9], s[6:7]
	s_xor_b64 s[6:7], exec, s[8:9]
	s_cbranch_execnz .LBB13_2813
; %bb.765:
	s_or_saveexec_b64 s[6:7], s[6:7]
	v_mov_b32_e32 v3, s10
	s_xor_b64 exec, exec, s[6:7]
	s_cbranch_execnz .LBB13_2816
.LBB13_766:
	s_or_b64 exec, exec, s[6:7]
	s_and_saveexec_b64 s[6:7], s[4:5]
	s_cbranch_execz .LBB13_768
.LBB13_767:
	v_bfe_u32 v3, v5, 24, 3
	v_ffbh_u32_e32 v8, v3
	v_min_u32_e32 v8, 32, v8
	v_lshrrev_b32_e32 v6, 27, v5
	v_subrev_u32_e32 v9, 28, v8
	v_and_b32_e32 v4, 0x80000000, v5
	v_and_b32_e32 v6, 15, v6
	v_bfe_u32 v7, v5, 27, 4
	v_lshlrev_b32_sdwa v5, v9, v5 dst_sel:DWORD dst_unused:UNUSED_PAD src0_sel:DWORD src1_sel:BYTE_3
	v_sub_u32_e32 v8, 29, v8
	v_and_b32_e32 v5, 7, v5
	v_cmp_eq_u16_e32 vcc, 0, v6
	v_cndmask_b32_e32 v3, v3, v5, vcc
	v_cndmask_b32_e32 v5, v7, v8, vcc
	v_mov_b32_e32 v6, 0x3b800000
	v_lshlrev_b32_e32 v3, 20, v3
	v_lshl_add_u32 v5, v5, 23, v6
	v_or3_b32 v3, v4, v5, v3
.LBB13_768:
	s_or_b64 exec, exec, s[6:7]
	s_nop 0
	v_mfma_f32_16x16x4f32 a[0:3], v2, v3, a[0:3]
	s_movk_i32 s4, 0x7f
                                        ; implicit-def: $sgpr10
	s_nop 7
	s_nop 1
	flat_store_dwordx4 v[18:19], a[0:3] offset:416
	flat_load_dwordx4 v[20:23], v[0:1] offset:16
	s_nop 0
	flat_load_dwordx2 v[18:19], v[0:1] offset:32
	s_waitcnt vmcnt(0) lgkmcnt(0)
	flat_load_dwordx4 v[14:17], v[20:21] offset:32
	flat_load_dwordx4 v[6:9], v[20:21] offset:48
	flat_load_dwordx4 v[10:13], v[22:23] offset:352
	flat_load_dwordx4 v[2:5], v[22:23] offset:368
	s_waitcnt vmcnt(0) lgkmcnt(0)
	v_cmp_gt_i16_sdwa s[6:7], v14, s4 src0_sel:BYTE_0 src1_sel:DWORD
	s_mov_b64 s[4:5], 0
	s_and_saveexec_b64 s[8:9], s[6:7]
	s_xor_b64 s[6:7], exec, s[8:9]
	s_cbranch_execnz .LBB13_2817
; %bb.769:
	s_or_saveexec_b64 s[6:7], s[6:7]
	v_mov_b32_e32 v20, s10
	s_xor_b64 exec, exec, s[6:7]
	s_cbranch_execnz .LBB13_2820
.LBB13_770:
	s_or_b64 exec, exec, s[6:7]
	s_and_saveexec_b64 s[6:7], s[4:5]
	s_cbranch_execz .LBB13_772
.LBB13_771:
	v_and_b32_e32 v20, 7, v14
	v_ffbh_u32_e32 v22, v20
	v_min_u32_e32 v22, 32, v22
	v_lshrrev_b16_e32 v21, 3, v14
	v_subrev_u32_e32 v23, 28, v22
	v_and_b32_e32 v21, 15, v21
	v_lshlrev_b32_e32 v23, v23, v14
	v_sub_u32_e32 v22, 29, v22
	v_and_b32_e32 v23, 7, v23
	v_cmp_eq_u16_e32 vcc, 0, v21
	v_cndmask_b32_e32 v20, v20, v23, vcc
	v_cndmask_b32_e32 v21, v21, v22, vcc
	v_lshlrev_b32_e32 v22, 24, v14
	v_mov_b32_e32 v23, 0x3b800000
	v_lshlrev_b32_e32 v20, 20, v20
	v_and_b32_e32 v22, 0x80000000, v22
	v_lshl_add_u32 v21, v21, 23, v23
	v_or3_b32 v20, v22, v21, v20
.LBB13_772:
	s_or_b64 exec, exec, s[6:7]
	s_movk_i32 s4, 0x7f
	v_cmp_gt_i16_sdwa s[6:7], v10, s4 src0_sel:BYTE_0 src1_sel:DWORD
	s_mov_b64 s[4:5], 0
                                        ; implicit-def: $sgpr10
	s_and_saveexec_b64 s[8:9], s[6:7]
	s_xor_b64 s[6:7], exec, s[8:9]
	s_cbranch_execnz .LBB13_2821
; %bb.773:
	s_or_saveexec_b64 s[6:7], s[6:7]
	v_mov_b32_e32 v21, s10
	s_xor_b64 exec, exec, s[6:7]
	s_cbranch_execnz .LBB13_2824
.LBB13_774:
	s_or_b64 exec, exec, s[6:7]
	s_and_saveexec_b64 s[6:7], s[4:5]
	s_cbranch_execz .LBB13_776
.LBB13_775:
	v_and_b32_e32 v21, 7, v10
	v_ffbh_u32_e32 v23, v21
	v_min_u32_e32 v23, 32, v23
	v_lshrrev_b16_e32 v22, 3, v10
	v_subrev_u32_e32 v24, 28, v23
	v_and_b32_e32 v22, 15, v22
	v_lshlrev_b32_e32 v24, v24, v10
	v_sub_u32_e32 v23, 29, v23
	v_and_b32_e32 v24, 7, v24
	v_cmp_eq_u16_e32 vcc, 0, v22
	v_cndmask_b32_e32 v21, v21, v24, vcc
	v_cndmask_b32_e32 v22, v22, v23, vcc
	v_lshlrev_b32_e32 v23, 24, v10
	v_mov_b32_e32 v24, 0x3b800000
	v_lshlrev_b32_e32 v21, 20, v21
	v_and_b32_e32 v23, 0x80000000, v23
	v_lshl_add_u32 v22, v22, 23, v24
	v_or3_b32 v21, v23, v22, v21
.LBB13_776:
	s_or_b64 exec, exec, s[6:7]
	flat_load_dwordx4 a[0:3], v[18:19] offset:432
	s_movk_i32 s4, 0x7f
                                        ; implicit-def: $sgpr10
	s_waitcnt vmcnt(0) lgkmcnt(0)
	v_mfma_f32_16x16x4f32 a[0:3], v20, v21, a[0:3]
	v_lshrrev_b32_e32 v21, 8, v14
	v_cmp_gt_i16_sdwa s[6:7], v21, s4 src0_sel:BYTE_0 src1_sel:DWORD
	s_mov_b64 s[4:5], 0
	s_and_saveexec_b64 s[8:9], s[6:7]
	s_xor_b64 s[6:7], exec, s[8:9]
	s_cbranch_execnz .LBB13_2825
; %bb.777:
	s_or_saveexec_b64 s[6:7], s[6:7]
	v_mov_b32_e32 v20, s10
	s_xor_b64 exec, exec, s[6:7]
	s_cbranch_execnz .LBB13_2828
.LBB13_778:
	s_or_b64 exec, exec, s[6:7]
	s_and_saveexec_b64 s[6:7], s[4:5]
	s_cbranch_execz .LBB13_780
.LBB13_779:
	v_bfe_u32 v20, v14, 8, 3
	v_ffbh_u32_e32 v23, v20
	v_min_u32_e32 v23, 32, v23
	v_lshrrev_b16_e32 v22, 3, v21
	v_subrev_u32_e32 v24, 28, v23
	v_and_b32_e32 v22, 15, v22
	v_lshlrev_b32_e32 v21, v24, v21
	v_sub_u32_e32 v23, 29, v23
	v_and_b32_e32 v21, 7, v21
	v_cmp_eq_u16_e32 vcc, 0, v22
	v_cndmask_b32_e32 v20, v20, v21, vcc
	v_cndmask_b32_e32 v21, v22, v23, vcc
	v_lshlrev_b32_e32 v22, 16, v14
	v_mov_b32_e32 v23, 0x3b800000
	v_lshlrev_b32_e32 v20, 20, v20
	v_and_b32_e32 v22, 0x80000000, v22
	v_lshl_add_u32 v21, v21, 23, v23
	v_or3_b32 v20, v22, v21, v20
.LBB13_780:
	s_or_b64 exec, exec, s[6:7]
	v_lshrrev_b32_e32 v21, 8, v10
	s_movk_i32 s4, 0x7f
	v_cmp_gt_i16_sdwa s[6:7], v21, s4 src0_sel:BYTE_0 src1_sel:DWORD
	s_mov_b64 s[4:5], 0
                                        ; implicit-def: $sgpr10
	s_and_saveexec_b64 s[8:9], s[6:7]
	s_xor_b64 s[6:7], exec, s[8:9]
	s_cbranch_execnz .LBB13_2829
; %bb.781:
	s_or_saveexec_b64 s[6:7], s[6:7]
	v_mov_b32_e32 v22, s10
	s_xor_b64 exec, exec, s[6:7]
	s_cbranch_execnz .LBB13_2832
.LBB13_782:
	s_or_b64 exec, exec, s[6:7]
	s_and_saveexec_b64 s[6:7], s[4:5]
	s_cbranch_execz .LBB13_784
.LBB13_783:
	v_bfe_u32 v22, v10, 8, 3
	v_ffbh_u32_e32 v24, v22
	v_min_u32_e32 v24, 32, v24
	v_lshrrev_b16_e32 v23, 3, v21
	v_subrev_u32_e32 v25, 28, v24
	v_and_b32_e32 v23, 15, v23
	v_lshlrev_b32_e32 v21, v25, v21
	v_sub_u32_e32 v24, 29, v24
	v_and_b32_e32 v21, 7, v21
	v_cmp_eq_u16_e32 vcc, 0, v23
	v_cndmask_b32_e32 v21, v22, v21, vcc
	v_cndmask_b32_e32 v22, v23, v24, vcc
	v_lshlrev_b32_e32 v23, 16, v10
	v_mov_b32_e32 v24, 0x3b800000
	v_lshlrev_b32_e32 v21, 20, v21
	v_and_b32_e32 v23, 0x80000000, v23
	v_lshl_add_u32 v22, v22, 23, v24
	v_or3_b32 v22, v23, v22, v21
.LBB13_784:
	s_or_b64 exec, exec, s[6:7]
	s_nop 0
	v_mfma_f32_16x16x4f32 a[0:3], v20, v22, a[0:3]
	s_movk_i32 s4, 0xff
	v_and_b32_sdwa v21, v14, s4 dst_sel:DWORD dst_unused:UNUSED_PAD src0_sel:WORD_1 src1_sel:DWORD
	s_movk_i32 s4, 0x7f
	v_cmp_lt_i16_e32 vcc, s4, v21
	s_mov_b64 s[4:5], 0
                                        ; implicit-def: $sgpr10
	s_and_saveexec_b64 s[6:7], vcc
	s_xor_b64 s[6:7], exec, s[6:7]
	s_cbranch_execnz .LBB13_2833
; %bb.785:
	s_or_saveexec_b64 s[6:7], s[6:7]
	v_mov_b32_e32 v20, s10
	s_xor_b64 exec, exec, s[6:7]
	s_cbranch_execnz .LBB13_2836
.LBB13_786:
	s_or_b64 exec, exec, s[6:7]
	s_and_saveexec_b64 s[6:7], s[4:5]
	s_cbranch_execz .LBB13_788
.LBB13_787:
	v_bfe_u32 v20, v14, 16, 3
	v_ffbh_u32_e32 v23, v20
	v_min_u32_e32 v23, 32, v23
	v_lshrrev_b32_e32 v21, 19, v14
	v_subrev_u32_e32 v24, 28, v23
	v_and_b32_e32 v21, 15, v21
	v_lshlrev_b32_sdwa v24, v24, v14 dst_sel:DWORD dst_unused:UNUSED_PAD src0_sel:DWORD src1_sel:WORD_1
	v_bfe_u32 v22, v14, 19, 4
	v_sub_u32_e32 v23, 29, v23
	v_and_b32_e32 v24, 7, v24
	v_cmp_eq_u16_e32 vcc, 0, v21
	v_cndmask_b32_e32 v20, v20, v24, vcc
	v_cndmask_b32_e32 v21, v22, v23, vcc
	v_lshlrev_b32_e32 v22, 8, v14
	v_mov_b32_e32 v23, 0x3b800000
	v_lshlrev_b32_e32 v20, 20, v20
	v_and_b32_e32 v22, 0x80000000, v22
	v_lshl_add_u32 v21, v21, 23, v23
	v_or3_b32 v20, v22, v21, v20
.LBB13_788:
	s_or_b64 exec, exec, s[6:7]
	s_movk_i32 s4, 0xff
	v_and_b32_sdwa v21, v10, s4 dst_sel:DWORD dst_unused:UNUSED_PAD src0_sel:WORD_1 src1_sel:DWORD
	s_movk_i32 s4, 0x7f
	v_cmp_lt_i16_e32 vcc, s4, v21
	s_mov_b64 s[4:5], 0
                                        ; implicit-def: $sgpr10
	s_and_saveexec_b64 s[6:7], vcc
	s_xor_b64 s[6:7], exec, s[6:7]
	s_cbranch_execnz .LBB13_2837
; %bb.789:
	s_or_saveexec_b64 s[6:7], s[6:7]
	v_mov_b32_e32 v22, s10
	s_xor_b64 exec, exec, s[6:7]
	s_cbranch_execnz .LBB13_2840
.LBB13_790:
	s_or_b64 exec, exec, s[6:7]
	s_and_saveexec_b64 s[6:7], s[4:5]
	s_cbranch_execz .LBB13_792
.LBB13_791:
	v_bfe_u32 v21, v10, 16, 3
	v_ffbh_u32_e32 v24, v21
	v_min_u32_e32 v24, 32, v24
	v_lshrrev_b32_e32 v22, 19, v10
	v_subrev_u32_e32 v25, 28, v24
	v_and_b32_e32 v22, 15, v22
	v_lshlrev_b32_sdwa v25, v25, v10 dst_sel:DWORD dst_unused:UNUSED_PAD src0_sel:DWORD src1_sel:WORD_1
	v_bfe_u32 v23, v10, 19, 4
	v_sub_u32_e32 v24, 29, v24
	v_and_b32_e32 v25, 7, v25
	v_cmp_eq_u16_e32 vcc, 0, v22
	v_cndmask_b32_e32 v21, v21, v25, vcc
	v_cndmask_b32_e32 v22, v23, v24, vcc
	v_lshlrev_b32_e32 v23, 8, v10
	v_mov_b32_e32 v24, 0x3b800000
	v_lshlrev_b32_e32 v21, 20, v21
	v_and_b32_e32 v23, 0x80000000, v23
	v_lshl_add_u32 v22, v22, 23, v24
	v_or3_b32 v22, v23, v22, v21
.LBB13_792:
	s_or_b64 exec, exec, s[6:7]
	s_nop 0
	v_mfma_f32_16x16x4f32 a[0:3], v20, v22, a[0:3]
	s_movk_i32 s4, 0x7f
	v_cmp_gt_i16_sdwa s[6:7], v14, s4 src0_sel:BYTE_3 src1_sel:DWORD
	s_mov_b64 s[4:5], 0
                                        ; implicit-def: $sgpr10
	s_and_saveexec_b64 s[8:9], s[6:7]
	s_xor_b64 s[6:7], exec, s[8:9]
	s_cbranch_execnz .LBB13_2841
; %bb.793:
	s_or_saveexec_b64 s[6:7], s[6:7]
	v_mov_b32_e32 v20, s10
	s_xor_b64 exec, exec, s[6:7]
	s_cbranch_execnz .LBB13_2844
.LBB13_794:
	s_or_b64 exec, exec, s[6:7]
	s_and_saveexec_b64 s[6:7], s[4:5]
	s_cbranch_execz .LBB13_796
.LBB13_795:
	v_bfe_u32 v20, v14, 24, 3
	v_ffbh_u32_e32 v24, v20
	v_min_u32_e32 v24, 32, v24
	v_lshrrev_b32_e32 v22, 27, v14
	v_subrev_u32_e32 v25, 28, v24
	v_and_b32_e32 v21, 0x80000000, v14
	v_and_b32_e32 v22, 15, v22
	v_bfe_u32 v23, v14, 27, 4
	v_lshlrev_b32_sdwa v14, v25, v14 dst_sel:DWORD dst_unused:UNUSED_PAD src0_sel:DWORD src1_sel:BYTE_3
	v_sub_u32_e32 v24, 29, v24
	v_and_b32_e32 v14, 7, v14
	v_cmp_eq_u16_e32 vcc, 0, v22
	v_cndmask_b32_e32 v14, v20, v14, vcc
	v_cndmask_b32_e32 v20, v23, v24, vcc
	v_mov_b32_e32 v22, 0x3b800000
	v_lshlrev_b32_e32 v14, 20, v14
	v_lshl_add_u32 v20, v20, 23, v22
	v_or3_b32 v20, v21, v20, v14
.LBB13_796:
	s_or_b64 exec, exec, s[6:7]
	s_movk_i32 s4, 0x7f
	v_cmp_gt_i16_sdwa s[6:7], v10, s4 src0_sel:BYTE_3 src1_sel:DWORD
	s_mov_b64 s[4:5], 0
                                        ; implicit-def: $sgpr10
	s_and_saveexec_b64 s[8:9], s[6:7]
	s_xor_b64 s[6:7], exec, s[8:9]
	s_cbranch_execnz .LBB13_2845
; %bb.797:
	s_or_saveexec_b64 s[6:7], s[6:7]
	v_mov_b32_e32 v14, s10
	s_xor_b64 exec, exec, s[6:7]
	s_cbranch_execnz .LBB13_2848
.LBB13_798:
	s_or_b64 exec, exec, s[6:7]
	s_and_saveexec_b64 s[6:7], s[4:5]
	s_cbranch_execz .LBB13_800
.LBB13_799:
	v_bfe_u32 v14, v10, 24, 3
	v_ffbh_u32_e32 v24, v14
	v_min_u32_e32 v24, 32, v24
	v_lshrrev_b32_e32 v22, 27, v10
	v_subrev_u32_e32 v25, 28, v24
	v_and_b32_e32 v21, 0x80000000, v10
	v_and_b32_e32 v22, 15, v22
	v_bfe_u32 v23, v10, 27, 4
	v_lshlrev_b32_sdwa v10, v25, v10 dst_sel:DWORD dst_unused:UNUSED_PAD src0_sel:DWORD src1_sel:BYTE_3
	v_sub_u32_e32 v24, 29, v24
	v_and_b32_e32 v10, 7, v10
	v_cmp_eq_u16_e32 vcc, 0, v22
	v_cndmask_b32_e32 v10, v14, v10, vcc
	v_cndmask_b32_e32 v14, v23, v24, vcc
	v_mov_b32_e32 v22, 0x3b800000
	v_lshlrev_b32_e32 v10, 20, v10
	v_lshl_add_u32 v14, v14, 23, v22
	v_or3_b32 v14, v21, v14, v10
.LBB13_800:
	s_or_b64 exec, exec, s[6:7]
	s_nop 0
	v_mfma_f32_16x16x4f32 a[0:3], v20, v14, a[0:3]
	s_movk_i32 s4, 0x7f
	v_cmp_gt_i16_sdwa s[6:7], v15, s4 src0_sel:BYTE_0 src1_sel:DWORD
	s_mov_b64 s[4:5], 0
                                        ; implicit-def: $sgpr10
	s_and_saveexec_b64 s[8:9], s[6:7]
	s_xor_b64 s[6:7], exec, s[8:9]
	s_cbranch_execnz .LBB13_2849
; %bb.801:
	s_or_saveexec_b64 s[6:7], s[6:7]
	v_mov_b32_e32 v10, s10
	s_xor_b64 exec, exec, s[6:7]
	s_cbranch_execnz .LBB13_2852
.LBB13_802:
	s_or_b64 exec, exec, s[6:7]
	s_and_saveexec_b64 s[6:7], s[4:5]
	s_cbranch_execz .LBB13_804
.LBB13_803:
	v_and_b32_e32 v10, 7, v15
	v_ffbh_u32_e32 v20, v10
	v_min_u32_e32 v20, 32, v20
	v_lshrrev_b16_e32 v14, 3, v15
	v_subrev_u32_e32 v21, 28, v20
	v_and_b32_e32 v14, 15, v14
	v_lshlrev_b32_e32 v21, v21, v15
	v_sub_u32_e32 v20, 29, v20
	v_and_b32_e32 v21, 7, v21
	v_cmp_eq_u16_e32 vcc, 0, v14
	v_cndmask_b32_e32 v10, v10, v21, vcc
	v_cndmask_b32_e32 v14, v14, v20, vcc
	v_lshlrev_b32_e32 v20, 24, v15
	v_mov_b32_e32 v21, 0x3b800000
	v_lshlrev_b32_e32 v10, 20, v10
	v_and_b32_e32 v20, 0x80000000, v20
	v_lshl_add_u32 v14, v14, 23, v21
	v_or3_b32 v10, v20, v14, v10
.LBB13_804:
	s_or_b64 exec, exec, s[6:7]
	s_movk_i32 s4, 0x7f
	v_cmp_gt_i16_sdwa s[6:7], v11, s4 src0_sel:BYTE_0 src1_sel:DWORD
	s_mov_b64 s[4:5], 0
                                        ; implicit-def: $sgpr10
	s_and_saveexec_b64 s[8:9], s[6:7]
	s_xor_b64 s[6:7], exec, s[8:9]
	s_cbranch_execnz .LBB13_2853
; %bb.805:
	s_or_saveexec_b64 s[6:7], s[6:7]
	v_mov_b32_e32 v14, s10
	s_xor_b64 exec, exec, s[6:7]
	s_cbranch_execnz .LBB13_2856
.LBB13_806:
	s_or_b64 exec, exec, s[6:7]
	s_and_saveexec_b64 s[6:7], s[4:5]
	s_cbranch_execz .LBB13_808
.LBB13_807:
	v_and_b32_e32 v14, 7, v11
	v_ffbh_u32_e32 v21, v14
	v_min_u32_e32 v21, 32, v21
	v_lshrrev_b16_e32 v20, 3, v11
	v_subrev_u32_e32 v22, 28, v21
	v_and_b32_e32 v20, 15, v20
	v_lshlrev_b32_e32 v22, v22, v11
	v_sub_u32_e32 v21, 29, v21
	v_and_b32_e32 v22, 7, v22
	v_cmp_eq_u16_e32 vcc, 0, v20
	v_cndmask_b32_e32 v14, v14, v22, vcc
	v_cndmask_b32_e32 v20, v20, v21, vcc
	v_lshlrev_b32_e32 v21, 24, v11
	v_mov_b32_e32 v22, 0x3b800000
	v_lshlrev_b32_e32 v14, 20, v14
	v_and_b32_e32 v21, 0x80000000, v21
	v_lshl_add_u32 v20, v20, 23, v22
	v_or3_b32 v14, v21, v20, v14
.LBB13_808:
	s_or_b64 exec, exec, s[6:7]
	s_nop 0
	v_mfma_f32_16x16x4f32 a[0:3], v10, v14, a[0:3]
	v_lshrrev_b32_e32 v14, 8, v15
	s_movk_i32 s4, 0x7f
	v_cmp_gt_i16_sdwa s[6:7], v14, s4 src0_sel:BYTE_0 src1_sel:DWORD
	s_mov_b64 s[4:5], 0
                                        ; implicit-def: $sgpr10
	s_and_saveexec_b64 s[8:9], s[6:7]
	s_xor_b64 s[6:7], exec, s[8:9]
	s_cbranch_execnz .LBB13_2857
; %bb.809:
	s_or_saveexec_b64 s[6:7], s[6:7]
	v_mov_b32_e32 v10, s10
	s_xor_b64 exec, exec, s[6:7]
	s_cbranch_execnz .LBB13_2860
.LBB13_810:
	s_or_b64 exec, exec, s[6:7]
	s_and_saveexec_b64 s[6:7], s[4:5]
	s_cbranch_execz .LBB13_812
.LBB13_811:
	v_bfe_u32 v10, v15, 8, 3
	v_ffbh_u32_e32 v21, v10
	v_min_u32_e32 v21, 32, v21
	v_lshrrev_b16_e32 v20, 3, v14
	v_subrev_u32_e32 v22, 28, v21
	v_and_b32_e32 v20, 15, v20
	v_lshlrev_b32_e32 v14, v22, v14
	v_sub_u32_e32 v21, 29, v21
	v_and_b32_e32 v14, 7, v14
	v_cmp_eq_u16_e32 vcc, 0, v20
	v_cndmask_b32_e32 v10, v10, v14, vcc
	v_cndmask_b32_e32 v14, v20, v21, vcc
	v_lshlrev_b32_e32 v20, 16, v15
	v_mov_b32_e32 v21, 0x3b800000
	v_lshlrev_b32_e32 v10, 20, v10
	v_and_b32_e32 v20, 0x80000000, v20
	v_lshl_add_u32 v14, v14, 23, v21
	v_or3_b32 v10, v20, v14, v10
.LBB13_812:
	s_or_b64 exec, exec, s[6:7]
	v_lshrrev_b32_e32 v14, 8, v11
	s_movk_i32 s4, 0x7f
	v_cmp_gt_i16_sdwa s[6:7], v14, s4 src0_sel:BYTE_0 src1_sel:DWORD
	s_mov_b64 s[4:5], 0
                                        ; implicit-def: $sgpr10
	s_and_saveexec_b64 s[8:9], s[6:7]
	s_xor_b64 s[6:7], exec, s[8:9]
	s_cbranch_execnz .LBB13_2861
; %bb.813:
	s_or_saveexec_b64 s[6:7], s[6:7]
	v_mov_b32_e32 v20, s10
	s_xor_b64 exec, exec, s[6:7]
	s_cbranch_execnz .LBB13_2864
.LBB13_814:
	s_or_b64 exec, exec, s[6:7]
	s_and_saveexec_b64 s[6:7], s[4:5]
	s_cbranch_execz .LBB13_816
.LBB13_815:
	v_bfe_u32 v20, v11, 8, 3
	v_ffbh_u32_e32 v22, v20
	v_min_u32_e32 v22, 32, v22
	v_lshrrev_b16_e32 v21, 3, v14
	v_subrev_u32_e32 v23, 28, v22
	v_and_b32_e32 v21, 15, v21
	v_lshlrev_b32_e32 v14, v23, v14
	v_sub_u32_e32 v22, 29, v22
	v_and_b32_e32 v14, 7, v14
	v_cmp_eq_u16_e32 vcc, 0, v21
	v_cndmask_b32_e32 v14, v20, v14, vcc
	v_cndmask_b32_e32 v20, v21, v22, vcc
	v_lshlrev_b32_e32 v21, 16, v11
	v_mov_b32_e32 v22, 0x3b800000
	v_lshlrev_b32_e32 v14, 20, v14
	v_and_b32_e32 v21, 0x80000000, v21
	v_lshl_add_u32 v20, v20, 23, v22
	v_or3_b32 v20, v21, v20, v14
.LBB13_816:
	s_or_b64 exec, exec, s[6:7]
	s_nop 0
	v_mfma_f32_16x16x4f32 a[0:3], v10, v20, a[0:3]
	s_movk_i32 s4, 0xff
	v_and_b32_sdwa v14, v15, s4 dst_sel:DWORD dst_unused:UNUSED_PAD src0_sel:WORD_1 src1_sel:DWORD
	s_movk_i32 s4, 0x7f
	v_cmp_lt_i16_e32 vcc, s4, v14
	s_mov_b64 s[4:5], 0
                                        ; implicit-def: $sgpr10
	s_and_saveexec_b64 s[6:7], vcc
	s_xor_b64 s[6:7], exec, s[6:7]
	s_cbranch_execnz .LBB13_2865
; %bb.817:
	s_or_saveexec_b64 s[6:7], s[6:7]
	v_mov_b32_e32 v10, s10
	s_xor_b64 exec, exec, s[6:7]
	s_cbranch_execnz .LBB13_2868
.LBB13_818:
	s_or_b64 exec, exec, s[6:7]
	s_and_saveexec_b64 s[6:7], s[4:5]
	s_cbranch_execz .LBB13_820
.LBB13_819:
	v_bfe_u32 v10, v15, 16, 3
	v_ffbh_u32_e32 v21, v10
	v_min_u32_e32 v21, 32, v21
	v_lshrrev_b32_e32 v14, 19, v15
	v_subrev_u32_e32 v22, 28, v21
	v_and_b32_e32 v14, 15, v14
	v_lshlrev_b32_sdwa v22, v22, v15 dst_sel:DWORD dst_unused:UNUSED_PAD src0_sel:DWORD src1_sel:WORD_1
	v_bfe_u32 v20, v15, 19, 4
	v_sub_u32_e32 v21, 29, v21
	v_and_b32_e32 v22, 7, v22
	v_cmp_eq_u16_e32 vcc, 0, v14
	v_cndmask_b32_e32 v10, v10, v22, vcc
	v_cndmask_b32_e32 v14, v20, v21, vcc
	v_lshlrev_b32_e32 v20, 8, v15
	v_mov_b32_e32 v21, 0x3b800000
	v_lshlrev_b32_e32 v10, 20, v10
	v_and_b32_e32 v20, 0x80000000, v20
	v_lshl_add_u32 v14, v14, 23, v21
	v_or3_b32 v10, v20, v14, v10
.LBB13_820:
	s_or_b64 exec, exec, s[6:7]
	s_movk_i32 s4, 0xff
	v_and_b32_sdwa v14, v11, s4 dst_sel:DWORD dst_unused:UNUSED_PAD src0_sel:WORD_1 src1_sel:DWORD
	s_movk_i32 s4, 0x7f
	v_cmp_lt_i16_e32 vcc, s4, v14
	s_mov_b64 s[4:5], 0
                                        ; implicit-def: $sgpr10
	s_and_saveexec_b64 s[6:7], vcc
	s_xor_b64 s[6:7], exec, s[6:7]
	s_cbranch_execnz .LBB13_2869
; %bb.821:
	s_or_saveexec_b64 s[6:7], s[6:7]
	v_mov_b32_e32 v20, s10
	s_xor_b64 exec, exec, s[6:7]
	s_cbranch_execnz .LBB13_2872
.LBB13_822:
	s_or_b64 exec, exec, s[6:7]
	s_and_saveexec_b64 s[6:7], s[4:5]
	s_cbranch_execz .LBB13_824
.LBB13_823:
	v_bfe_u32 v14, v11, 16, 3
	v_ffbh_u32_e32 v22, v14
	v_min_u32_e32 v22, 32, v22
	v_lshrrev_b32_e32 v20, 19, v11
	v_subrev_u32_e32 v23, 28, v22
	v_and_b32_e32 v20, 15, v20
	v_lshlrev_b32_sdwa v23, v23, v11 dst_sel:DWORD dst_unused:UNUSED_PAD src0_sel:DWORD src1_sel:WORD_1
	v_bfe_u32 v21, v11, 19, 4
	v_sub_u32_e32 v22, 29, v22
	v_and_b32_e32 v23, 7, v23
	v_cmp_eq_u16_e32 vcc, 0, v20
	v_cndmask_b32_e32 v14, v14, v23, vcc
	v_cndmask_b32_e32 v20, v21, v22, vcc
	v_lshlrev_b32_e32 v21, 8, v11
	v_mov_b32_e32 v22, 0x3b800000
	v_lshlrev_b32_e32 v14, 20, v14
	v_and_b32_e32 v21, 0x80000000, v21
	v_lshl_add_u32 v20, v20, 23, v22
	v_or3_b32 v20, v21, v20, v14
.LBB13_824:
	s_or_b64 exec, exec, s[6:7]
	s_nop 0
	v_mfma_f32_16x16x4f32 a[0:3], v10, v20, a[0:3]
	s_movk_i32 s4, 0x7f
	v_cmp_gt_i16_sdwa s[6:7], v15, s4 src0_sel:BYTE_3 src1_sel:DWORD
	s_mov_b64 s[4:5], 0
                                        ; implicit-def: $sgpr10
	s_and_saveexec_b64 s[8:9], s[6:7]
	s_xor_b64 s[6:7], exec, s[8:9]
	s_cbranch_execnz .LBB13_2873
; %bb.825:
	s_or_saveexec_b64 s[6:7], s[6:7]
	v_mov_b32_e32 v10, s10
	s_xor_b64 exec, exec, s[6:7]
	s_cbranch_execnz .LBB13_2876
.LBB13_826:
	s_or_b64 exec, exec, s[6:7]
	s_and_saveexec_b64 s[6:7], s[4:5]
	s_cbranch_execz .LBB13_828
.LBB13_827:
	v_bfe_u32 v10, v15, 24, 3
	v_ffbh_u32_e32 v22, v10
	v_min_u32_e32 v22, 32, v22
	v_lshrrev_b32_e32 v20, 27, v15
	v_subrev_u32_e32 v23, 28, v22
	v_and_b32_e32 v14, 0x80000000, v15
	v_and_b32_e32 v20, 15, v20
	v_bfe_u32 v21, v15, 27, 4
	v_lshlrev_b32_sdwa v15, v23, v15 dst_sel:DWORD dst_unused:UNUSED_PAD src0_sel:DWORD src1_sel:BYTE_3
	v_sub_u32_e32 v22, 29, v22
	v_and_b32_e32 v15, 7, v15
	v_cmp_eq_u16_e32 vcc, 0, v20
	v_cndmask_b32_e32 v10, v10, v15, vcc
	v_cndmask_b32_e32 v15, v21, v22, vcc
	v_mov_b32_e32 v20, 0x3b800000
	v_lshlrev_b32_e32 v10, 20, v10
	v_lshl_add_u32 v15, v15, 23, v20
	v_or3_b32 v10, v14, v15, v10
.LBB13_828:
	s_or_b64 exec, exec, s[6:7]
	s_movk_i32 s4, 0x7f
	v_cmp_gt_i16_sdwa s[6:7], v11, s4 src0_sel:BYTE_3 src1_sel:DWORD
	s_mov_b64 s[4:5], 0
                                        ; implicit-def: $sgpr10
	s_and_saveexec_b64 s[8:9], s[6:7]
	s_xor_b64 s[6:7], exec, s[8:9]
	s_cbranch_execnz .LBB13_2877
; %bb.829:
	s_or_saveexec_b64 s[6:7], s[6:7]
	v_mov_b32_e32 v14, s10
	s_xor_b64 exec, exec, s[6:7]
	s_cbranch_execnz .LBB13_2880
.LBB13_830:
	s_or_b64 exec, exec, s[6:7]
	s_and_saveexec_b64 s[6:7], s[4:5]
	s_cbranch_execz .LBB13_832
.LBB13_831:
	v_bfe_u32 v14, v11, 24, 3
	v_ffbh_u32_e32 v22, v14
	v_min_u32_e32 v22, 32, v22
	v_lshrrev_b32_e32 v20, 27, v11
	v_subrev_u32_e32 v23, 28, v22
	v_and_b32_e32 v15, 0x80000000, v11
	v_and_b32_e32 v20, 15, v20
	v_bfe_u32 v21, v11, 27, 4
	v_lshlrev_b32_sdwa v11, v23, v11 dst_sel:DWORD dst_unused:UNUSED_PAD src0_sel:DWORD src1_sel:BYTE_3
	v_sub_u32_e32 v22, 29, v22
	v_and_b32_e32 v11, 7, v11
	v_cmp_eq_u16_e32 vcc, 0, v20
	v_cndmask_b32_e32 v11, v14, v11, vcc
	v_cndmask_b32_e32 v14, v21, v22, vcc
	v_mov_b32_e32 v20, 0x3b800000
	v_lshlrev_b32_e32 v11, 20, v11
	v_lshl_add_u32 v14, v14, 23, v20
	v_or3_b32 v14, v15, v14, v11
.LBB13_832:
	s_or_b64 exec, exec, s[6:7]
	s_nop 0
	v_mfma_f32_16x16x4f32 a[0:3], v10, v14, a[0:3]
	s_movk_i32 s4, 0x7f
	v_cmp_gt_i16_sdwa s[6:7], v16, s4 src0_sel:BYTE_0 src1_sel:DWORD
	s_mov_b64 s[4:5], 0
                                        ; implicit-def: $sgpr10
	s_and_saveexec_b64 s[8:9], s[6:7]
	s_xor_b64 s[6:7], exec, s[8:9]
	s_cbranch_execnz .LBB13_2881
; %bb.833:
	s_or_saveexec_b64 s[6:7], s[6:7]
	v_mov_b32_e32 v10, s10
	s_xor_b64 exec, exec, s[6:7]
	s_cbranch_execnz .LBB13_2884
.LBB13_834:
	s_or_b64 exec, exec, s[6:7]
	s_and_saveexec_b64 s[6:7], s[4:5]
	s_cbranch_execz .LBB13_836
.LBB13_835:
	v_and_b32_e32 v10, 7, v16
	v_ffbh_u32_e32 v14, v10
	v_min_u32_e32 v14, 32, v14
	v_lshrrev_b16_e32 v11, 3, v16
	v_subrev_u32_e32 v15, 28, v14
	v_and_b32_e32 v11, 15, v11
	v_lshlrev_b32_e32 v15, v15, v16
	v_sub_u32_e32 v14, 29, v14
	v_and_b32_e32 v15, 7, v15
	v_cmp_eq_u16_e32 vcc, 0, v11
	v_cndmask_b32_e32 v10, v10, v15, vcc
	v_cndmask_b32_e32 v11, v11, v14, vcc
	v_lshlrev_b32_e32 v14, 24, v16
	v_mov_b32_e32 v15, 0x3b800000
	v_lshlrev_b32_e32 v10, 20, v10
	v_and_b32_e32 v14, 0x80000000, v14
	v_lshl_add_u32 v11, v11, 23, v15
	v_or3_b32 v10, v14, v11, v10
.LBB13_836:
	s_or_b64 exec, exec, s[6:7]
	s_movk_i32 s4, 0x7f
	v_cmp_gt_i16_sdwa s[6:7], v12, s4 src0_sel:BYTE_0 src1_sel:DWORD
	s_mov_b64 s[4:5], 0
                                        ; implicit-def: $sgpr10
	s_and_saveexec_b64 s[8:9], s[6:7]
	s_xor_b64 s[6:7], exec, s[8:9]
	s_cbranch_execnz .LBB13_2885
; %bb.837:
	s_or_saveexec_b64 s[6:7], s[6:7]
	v_mov_b32_e32 v11, s10
	s_xor_b64 exec, exec, s[6:7]
	s_cbranch_execnz .LBB13_2888
.LBB13_838:
	s_or_b64 exec, exec, s[6:7]
	s_and_saveexec_b64 s[6:7], s[4:5]
	s_cbranch_execz .LBB13_840
.LBB13_839:
	v_and_b32_e32 v11, 7, v12
	v_ffbh_u32_e32 v15, v11
	v_min_u32_e32 v15, 32, v15
	v_lshrrev_b16_e32 v14, 3, v12
	v_subrev_u32_e32 v20, 28, v15
	v_and_b32_e32 v14, 15, v14
	v_lshlrev_b32_e32 v20, v20, v12
	v_sub_u32_e32 v15, 29, v15
	v_and_b32_e32 v20, 7, v20
	v_cmp_eq_u16_e32 vcc, 0, v14
	v_cndmask_b32_e32 v11, v11, v20, vcc
	v_cndmask_b32_e32 v14, v14, v15, vcc
	v_lshlrev_b32_e32 v15, 24, v12
	v_mov_b32_e32 v20, 0x3b800000
	v_lshlrev_b32_e32 v11, 20, v11
	v_and_b32_e32 v15, 0x80000000, v15
	v_lshl_add_u32 v14, v14, 23, v20
	v_or3_b32 v11, v15, v14, v11
.LBB13_840:
	s_or_b64 exec, exec, s[6:7]
	s_nop 0
	v_mfma_f32_16x16x4f32 a[0:3], v10, v11, a[0:3]
	v_lshrrev_b32_e32 v11, 8, v16
	s_movk_i32 s4, 0x7f
	v_cmp_gt_i16_sdwa s[6:7], v11, s4 src0_sel:BYTE_0 src1_sel:DWORD
	s_mov_b64 s[4:5], 0
                                        ; implicit-def: $sgpr10
	s_and_saveexec_b64 s[8:9], s[6:7]
	s_xor_b64 s[6:7], exec, s[8:9]
	s_cbranch_execnz .LBB13_2889
; %bb.841:
	s_or_saveexec_b64 s[6:7], s[6:7]
	v_mov_b32_e32 v10, s10
	s_xor_b64 exec, exec, s[6:7]
	s_cbranch_execnz .LBB13_2892
.LBB13_842:
	s_or_b64 exec, exec, s[6:7]
	s_and_saveexec_b64 s[6:7], s[4:5]
	s_cbranch_execz .LBB13_844
.LBB13_843:
	v_bfe_u32 v10, v16, 8, 3
	v_ffbh_u32_e32 v15, v10
	v_min_u32_e32 v15, 32, v15
	v_lshrrev_b16_e32 v14, 3, v11
	v_subrev_u32_e32 v20, 28, v15
	v_and_b32_e32 v14, 15, v14
	v_lshlrev_b32_e32 v11, v20, v11
	v_sub_u32_e32 v15, 29, v15
	v_and_b32_e32 v11, 7, v11
	v_cmp_eq_u16_e32 vcc, 0, v14
	v_cndmask_b32_e32 v10, v10, v11, vcc
	v_cndmask_b32_e32 v11, v14, v15, vcc
	v_lshlrev_b32_e32 v14, 16, v16
	v_mov_b32_e32 v15, 0x3b800000
	v_lshlrev_b32_e32 v10, 20, v10
	v_and_b32_e32 v14, 0x80000000, v14
	v_lshl_add_u32 v11, v11, 23, v15
	v_or3_b32 v10, v14, v11, v10
.LBB13_844:
	s_or_b64 exec, exec, s[6:7]
	v_lshrrev_b32_e32 v11, 8, v12
	s_movk_i32 s4, 0x7f
	v_cmp_gt_i16_sdwa s[6:7], v11, s4 src0_sel:BYTE_0 src1_sel:DWORD
	s_mov_b64 s[4:5], 0
                                        ; implicit-def: $sgpr10
	s_and_saveexec_b64 s[8:9], s[6:7]
	s_xor_b64 s[6:7], exec, s[8:9]
	s_cbranch_execnz .LBB13_2893
; %bb.845:
	s_or_saveexec_b64 s[6:7], s[6:7]
	v_mov_b32_e32 v14, s10
	s_xor_b64 exec, exec, s[6:7]
	s_cbranch_execnz .LBB13_2896
.LBB13_846:
	s_or_b64 exec, exec, s[6:7]
	s_and_saveexec_b64 s[6:7], s[4:5]
	s_cbranch_execz .LBB13_848
.LBB13_847:
	v_bfe_u32 v14, v12, 8, 3
	v_ffbh_u32_e32 v20, v14
	v_min_u32_e32 v20, 32, v20
	v_lshrrev_b16_e32 v15, 3, v11
	v_subrev_u32_e32 v21, 28, v20
	v_and_b32_e32 v15, 15, v15
	v_lshlrev_b32_e32 v11, v21, v11
	v_sub_u32_e32 v20, 29, v20
	v_and_b32_e32 v11, 7, v11
	v_cmp_eq_u16_e32 vcc, 0, v15
	v_cndmask_b32_e32 v11, v14, v11, vcc
	v_cndmask_b32_e32 v14, v15, v20, vcc
	v_lshlrev_b32_e32 v15, 16, v12
	v_mov_b32_e32 v20, 0x3b800000
	v_lshlrev_b32_e32 v11, 20, v11
	v_and_b32_e32 v15, 0x80000000, v15
	v_lshl_add_u32 v14, v14, 23, v20
	v_or3_b32 v14, v15, v14, v11
.LBB13_848:
	s_or_b64 exec, exec, s[6:7]
	s_nop 0
	v_mfma_f32_16x16x4f32 a[0:3], v10, v14, a[0:3]
	s_movk_i32 s4, 0xff
	v_and_b32_sdwa v11, v16, s4 dst_sel:DWORD dst_unused:UNUSED_PAD src0_sel:WORD_1 src1_sel:DWORD
	s_movk_i32 s4, 0x7f
	v_cmp_lt_i16_e32 vcc, s4, v11
	s_mov_b64 s[4:5], 0
                                        ; implicit-def: $sgpr10
	s_and_saveexec_b64 s[6:7], vcc
	s_xor_b64 s[6:7], exec, s[6:7]
	s_cbranch_execnz .LBB13_2897
; %bb.849:
	s_or_saveexec_b64 s[6:7], s[6:7]
	v_mov_b32_e32 v10, s10
	s_xor_b64 exec, exec, s[6:7]
	s_cbranch_execnz .LBB13_2900
.LBB13_850:
	s_or_b64 exec, exec, s[6:7]
	s_and_saveexec_b64 s[6:7], s[4:5]
	s_cbranch_execz .LBB13_852
.LBB13_851:
	v_bfe_u32 v10, v16, 16, 3
	v_ffbh_u32_e32 v15, v10
	v_min_u32_e32 v15, 32, v15
	v_lshrrev_b32_e32 v11, 19, v16
	v_subrev_u32_e32 v20, 28, v15
	v_and_b32_e32 v11, 15, v11
	v_lshlrev_b32_sdwa v20, v20, v16 dst_sel:DWORD dst_unused:UNUSED_PAD src0_sel:DWORD src1_sel:WORD_1
	v_bfe_u32 v14, v16, 19, 4
	v_sub_u32_e32 v15, 29, v15
	v_and_b32_e32 v20, 7, v20
	v_cmp_eq_u16_e32 vcc, 0, v11
	v_cndmask_b32_e32 v10, v10, v20, vcc
	v_cndmask_b32_e32 v11, v14, v15, vcc
	v_lshlrev_b32_e32 v14, 8, v16
	v_mov_b32_e32 v15, 0x3b800000
	v_lshlrev_b32_e32 v10, 20, v10
	v_and_b32_e32 v14, 0x80000000, v14
	v_lshl_add_u32 v11, v11, 23, v15
	v_or3_b32 v10, v14, v11, v10
.LBB13_852:
	s_or_b64 exec, exec, s[6:7]
	s_movk_i32 s4, 0xff
	v_and_b32_sdwa v11, v12, s4 dst_sel:DWORD dst_unused:UNUSED_PAD src0_sel:WORD_1 src1_sel:DWORD
	s_movk_i32 s4, 0x7f
	v_cmp_lt_i16_e32 vcc, s4, v11
	s_mov_b64 s[4:5], 0
                                        ; implicit-def: $sgpr10
	s_and_saveexec_b64 s[6:7], vcc
	s_xor_b64 s[6:7], exec, s[6:7]
	s_cbranch_execnz .LBB13_2901
; %bb.853:
	s_or_saveexec_b64 s[6:7], s[6:7]
	v_mov_b32_e32 v14, s10
	s_xor_b64 exec, exec, s[6:7]
	s_cbranch_execnz .LBB13_2904
.LBB13_854:
	s_or_b64 exec, exec, s[6:7]
	s_and_saveexec_b64 s[6:7], s[4:5]
	s_cbranch_execz .LBB13_856
.LBB13_855:
	v_bfe_u32 v11, v12, 16, 3
	v_ffbh_u32_e32 v20, v11
	v_min_u32_e32 v20, 32, v20
	v_lshrrev_b32_e32 v14, 19, v12
	v_subrev_u32_e32 v21, 28, v20
	v_and_b32_e32 v14, 15, v14
	v_lshlrev_b32_sdwa v21, v21, v12 dst_sel:DWORD dst_unused:UNUSED_PAD src0_sel:DWORD src1_sel:WORD_1
	v_bfe_u32 v15, v12, 19, 4
	v_sub_u32_e32 v20, 29, v20
	v_and_b32_e32 v21, 7, v21
	v_cmp_eq_u16_e32 vcc, 0, v14
	v_cndmask_b32_e32 v11, v11, v21, vcc
	v_cndmask_b32_e32 v14, v15, v20, vcc
	v_lshlrev_b32_e32 v15, 8, v12
	v_mov_b32_e32 v20, 0x3b800000
	v_lshlrev_b32_e32 v11, 20, v11
	v_and_b32_e32 v15, 0x80000000, v15
	v_lshl_add_u32 v14, v14, 23, v20
	v_or3_b32 v14, v15, v14, v11
.LBB13_856:
	s_or_b64 exec, exec, s[6:7]
	s_nop 0
	v_mfma_f32_16x16x4f32 a[0:3], v10, v14, a[0:3]
	s_movk_i32 s4, 0x7f
	v_cmp_gt_i16_sdwa s[6:7], v16, s4 src0_sel:BYTE_3 src1_sel:DWORD
	s_mov_b64 s[4:5], 0
                                        ; implicit-def: $sgpr10
	s_and_saveexec_b64 s[8:9], s[6:7]
	s_xor_b64 s[6:7], exec, s[8:9]
	s_cbranch_execnz .LBB13_2905
; %bb.857:
	s_or_saveexec_b64 s[6:7], s[6:7]
	v_mov_b32_e32 v10, s10
	s_xor_b64 exec, exec, s[6:7]
	s_cbranch_execnz .LBB13_2908
.LBB13_858:
	s_or_b64 exec, exec, s[6:7]
	s_and_saveexec_b64 s[6:7], s[4:5]
	s_cbranch_execz .LBB13_860
.LBB13_859:
	v_bfe_u32 v10, v16, 24, 3
	v_ffbh_u32_e32 v20, v10
	v_min_u32_e32 v20, 32, v20
	v_lshrrev_b32_e32 v14, 27, v16
	v_subrev_u32_e32 v21, 28, v20
	v_and_b32_e32 v11, 0x80000000, v16
	v_and_b32_e32 v14, 15, v14
	v_bfe_u32 v15, v16, 27, 4
	v_lshlrev_b32_sdwa v16, v21, v16 dst_sel:DWORD dst_unused:UNUSED_PAD src0_sel:DWORD src1_sel:BYTE_3
	v_sub_u32_e32 v20, 29, v20
	v_and_b32_e32 v16, 7, v16
	v_cmp_eq_u16_e32 vcc, 0, v14
	v_cndmask_b32_e32 v10, v10, v16, vcc
	v_cndmask_b32_e32 v14, v15, v20, vcc
	v_mov_b32_e32 v15, 0x3b800000
	v_lshlrev_b32_e32 v10, 20, v10
	v_lshl_add_u32 v14, v14, 23, v15
	v_or3_b32 v10, v11, v14, v10
.LBB13_860:
	s_or_b64 exec, exec, s[6:7]
	s_movk_i32 s4, 0x7f
	v_cmp_gt_i16_sdwa s[6:7], v12, s4 src0_sel:BYTE_3 src1_sel:DWORD
	s_mov_b64 s[4:5], 0
                                        ; implicit-def: $sgpr10
	s_and_saveexec_b64 s[8:9], s[6:7]
	s_xor_b64 s[6:7], exec, s[8:9]
	s_cbranch_execnz .LBB13_2909
; %bb.861:
	s_or_saveexec_b64 s[6:7], s[6:7]
	v_mov_b32_e32 v11, s10
	s_xor_b64 exec, exec, s[6:7]
	s_cbranch_execnz .LBB13_2912
.LBB13_862:
	s_or_b64 exec, exec, s[6:7]
	s_and_saveexec_b64 s[6:7], s[4:5]
	s_cbranch_execz .LBB13_864
.LBB13_863:
	v_bfe_u32 v11, v12, 24, 3
	v_ffbh_u32_e32 v20, v11
	v_min_u32_e32 v20, 32, v20
	v_lshrrev_b32_e32 v15, 27, v12
	v_subrev_u32_e32 v21, 28, v20
	v_and_b32_e32 v14, 0x80000000, v12
	v_and_b32_e32 v15, 15, v15
	v_bfe_u32 v16, v12, 27, 4
	v_lshlrev_b32_sdwa v12, v21, v12 dst_sel:DWORD dst_unused:UNUSED_PAD src0_sel:DWORD src1_sel:BYTE_3
	v_sub_u32_e32 v20, 29, v20
	v_and_b32_e32 v12, 7, v12
	v_cmp_eq_u16_e32 vcc, 0, v15
	v_cndmask_b32_e32 v11, v11, v12, vcc
	v_cndmask_b32_e32 v12, v16, v20, vcc
	v_mov_b32_e32 v15, 0x3b800000
	v_lshlrev_b32_e32 v11, 20, v11
	v_lshl_add_u32 v12, v12, 23, v15
	v_or3_b32 v11, v14, v12, v11
.LBB13_864:
	s_or_b64 exec, exec, s[6:7]
	s_nop 0
	v_mfma_f32_16x16x4f32 a[0:3], v10, v11, a[0:3]
	s_movk_i32 s4, 0x7f
	v_cmp_gt_i16_sdwa s[6:7], v17, s4 src0_sel:BYTE_0 src1_sel:DWORD
	s_mov_b64 s[4:5], 0
                                        ; implicit-def: $sgpr10
	s_and_saveexec_b64 s[8:9], s[6:7]
	s_xor_b64 s[6:7], exec, s[8:9]
	s_cbranch_execnz .LBB13_2913
; %bb.865:
	s_or_saveexec_b64 s[6:7], s[6:7]
	v_mov_b32_e32 v10, s10
	s_xor_b64 exec, exec, s[6:7]
	s_cbranch_execnz .LBB13_2916
.LBB13_866:
	s_or_b64 exec, exec, s[6:7]
	s_and_saveexec_b64 s[6:7], s[4:5]
	s_cbranch_execz .LBB13_868
.LBB13_867:
	v_and_b32_e32 v10, 7, v17
	v_ffbh_u32_e32 v12, v10
	v_min_u32_e32 v12, 32, v12
	v_lshrrev_b16_e32 v11, 3, v17
	v_subrev_u32_e32 v14, 28, v12
	v_and_b32_e32 v11, 15, v11
	v_lshlrev_b32_e32 v14, v14, v17
	v_sub_u32_e32 v12, 29, v12
	v_and_b32_e32 v14, 7, v14
	v_cmp_eq_u16_e32 vcc, 0, v11
	v_cndmask_b32_e32 v10, v10, v14, vcc
	v_cndmask_b32_e32 v11, v11, v12, vcc
	v_lshlrev_b32_e32 v12, 24, v17
	v_mov_b32_e32 v14, 0x3b800000
	v_lshlrev_b32_e32 v10, 20, v10
	v_and_b32_e32 v12, 0x80000000, v12
	v_lshl_add_u32 v11, v11, 23, v14
	v_or3_b32 v10, v12, v11, v10
.LBB13_868:
	s_or_b64 exec, exec, s[6:7]
	s_movk_i32 s4, 0x7f
	v_cmp_gt_i16_sdwa s[6:7], v13, s4 src0_sel:BYTE_0 src1_sel:DWORD
	s_mov_b64 s[4:5], 0
                                        ; implicit-def: $sgpr10
	s_and_saveexec_b64 s[8:9], s[6:7]
	s_xor_b64 s[6:7], exec, s[8:9]
	s_cbranch_execnz .LBB13_2917
; %bb.869:
	s_or_saveexec_b64 s[6:7], s[6:7]
	v_mov_b32_e32 v11, s10
	s_xor_b64 exec, exec, s[6:7]
	s_cbranch_execnz .LBB13_2920
.LBB13_870:
	s_or_b64 exec, exec, s[6:7]
	s_and_saveexec_b64 s[6:7], s[4:5]
	s_cbranch_execz .LBB13_872
.LBB13_871:
	v_and_b32_e32 v11, 7, v13
	v_ffbh_u32_e32 v14, v11
	v_min_u32_e32 v14, 32, v14
	v_lshrrev_b16_e32 v12, 3, v13
	v_subrev_u32_e32 v15, 28, v14
	v_and_b32_e32 v12, 15, v12
	v_lshlrev_b32_e32 v15, v15, v13
	v_sub_u32_e32 v14, 29, v14
	v_and_b32_e32 v15, 7, v15
	v_cmp_eq_u16_e32 vcc, 0, v12
	v_cndmask_b32_e32 v11, v11, v15, vcc
	v_cndmask_b32_e32 v12, v12, v14, vcc
	v_lshlrev_b32_e32 v14, 24, v13
	v_mov_b32_e32 v15, 0x3b800000
	v_lshlrev_b32_e32 v11, 20, v11
	v_and_b32_e32 v14, 0x80000000, v14
	v_lshl_add_u32 v12, v12, 23, v15
	v_or3_b32 v11, v14, v12, v11
.LBB13_872:
	s_or_b64 exec, exec, s[6:7]
	s_nop 0
	v_mfma_f32_16x16x4f32 a[0:3], v10, v11, a[0:3]
	v_lshrrev_b32_e32 v11, 8, v17
	s_movk_i32 s4, 0x7f
	v_cmp_gt_i16_sdwa s[6:7], v11, s4 src0_sel:BYTE_0 src1_sel:DWORD
	s_mov_b64 s[4:5], 0
                                        ; implicit-def: $sgpr10
	s_and_saveexec_b64 s[8:9], s[6:7]
	s_xor_b64 s[6:7], exec, s[8:9]
	s_cbranch_execnz .LBB13_2921
; %bb.873:
	s_or_saveexec_b64 s[6:7], s[6:7]
	v_mov_b32_e32 v10, s10
	s_xor_b64 exec, exec, s[6:7]
	s_cbranch_execnz .LBB13_2924
.LBB13_874:
	s_or_b64 exec, exec, s[6:7]
	s_and_saveexec_b64 s[6:7], s[4:5]
	s_cbranch_execz .LBB13_876
.LBB13_875:
	v_bfe_u32 v10, v17, 8, 3
	v_ffbh_u32_e32 v14, v10
	v_min_u32_e32 v14, 32, v14
	v_lshrrev_b16_e32 v12, 3, v11
	v_subrev_u32_e32 v15, 28, v14
	v_and_b32_e32 v12, 15, v12
	v_lshlrev_b32_e32 v11, v15, v11
	v_sub_u32_e32 v14, 29, v14
	v_and_b32_e32 v11, 7, v11
	v_cmp_eq_u16_e32 vcc, 0, v12
	v_cndmask_b32_e32 v10, v10, v11, vcc
	v_cndmask_b32_e32 v11, v12, v14, vcc
	v_lshlrev_b32_e32 v12, 16, v17
	v_mov_b32_e32 v14, 0x3b800000
	v_lshlrev_b32_e32 v10, 20, v10
	v_and_b32_e32 v12, 0x80000000, v12
	v_lshl_add_u32 v11, v11, 23, v14
	v_or3_b32 v10, v12, v11, v10
.LBB13_876:
	s_or_b64 exec, exec, s[6:7]
	v_lshrrev_b32_e32 v11, 8, v13
	s_movk_i32 s4, 0x7f
	v_cmp_gt_i16_sdwa s[6:7], v11, s4 src0_sel:BYTE_0 src1_sel:DWORD
	s_mov_b64 s[4:5], 0
                                        ; implicit-def: $sgpr10
	s_and_saveexec_b64 s[8:9], s[6:7]
	s_xor_b64 s[6:7], exec, s[8:9]
	s_cbranch_execnz .LBB13_2925
; %bb.877:
	s_or_saveexec_b64 s[6:7], s[6:7]
	v_mov_b32_e32 v12, s10
	s_xor_b64 exec, exec, s[6:7]
	s_cbranch_execnz .LBB13_2928
.LBB13_878:
	s_or_b64 exec, exec, s[6:7]
	s_and_saveexec_b64 s[6:7], s[4:5]
	s_cbranch_execz .LBB13_880
.LBB13_879:
	v_bfe_u32 v12, v13, 8, 3
	v_ffbh_u32_e32 v15, v12
	v_min_u32_e32 v15, 32, v15
	v_lshrrev_b16_e32 v14, 3, v11
	v_subrev_u32_e32 v16, 28, v15
	v_and_b32_e32 v14, 15, v14
	v_lshlrev_b32_e32 v11, v16, v11
	v_sub_u32_e32 v15, 29, v15
	v_and_b32_e32 v11, 7, v11
	v_cmp_eq_u16_e32 vcc, 0, v14
	v_cndmask_b32_e32 v11, v12, v11, vcc
	v_cndmask_b32_e32 v12, v14, v15, vcc
	v_lshlrev_b32_e32 v14, 16, v13
	v_mov_b32_e32 v15, 0x3b800000
	v_lshlrev_b32_e32 v11, 20, v11
	v_and_b32_e32 v14, 0x80000000, v14
	v_lshl_add_u32 v12, v12, 23, v15
	v_or3_b32 v12, v14, v12, v11
.LBB13_880:
	s_or_b64 exec, exec, s[6:7]
	s_nop 0
	v_mfma_f32_16x16x4f32 a[0:3], v10, v12, a[0:3]
	s_movk_i32 s4, 0xff
	v_and_b32_sdwa v11, v17, s4 dst_sel:DWORD dst_unused:UNUSED_PAD src0_sel:WORD_1 src1_sel:DWORD
	s_movk_i32 s4, 0x7f
	v_cmp_lt_i16_e32 vcc, s4, v11
	s_mov_b64 s[4:5], 0
                                        ; implicit-def: $sgpr10
	s_and_saveexec_b64 s[6:7], vcc
	s_xor_b64 s[6:7], exec, s[6:7]
	s_cbranch_execnz .LBB13_2929
; %bb.881:
	s_or_saveexec_b64 s[6:7], s[6:7]
	v_mov_b32_e32 v10, s10
	s_xor_b64 exec, exec, s[6:7]
	s_cbranch_execnz .LBB13_2932
.LBB13_882:
	s_or_b64 exec, exec, s[6:7]
	s_and_saveexec_b64 s[6:7], s[4:5]
	s_cbranch_execz .LBB13_884
.LBB13_883:
	v_bfe_u32 v10, v17, 16, 3
	v_ffbh_u32_e32 v14, v10
	v_min_u32_e32 v14, 32, v14
	v_lshrrev_b32_e32 v11, 19, v17
	v_subrev_u32_e32 v15, 28, v14
	v_and_b32_e32 v11, 15, v11
	v_lshlrev_b32_sdwa v15, v15, v17 dst_sel:DWORD dst_unused:UNUSED_PAD src0_sel:DWORD src1_sel:WORD_1
	v_bfe_u32 v12, v17, 19, 4
	v_sub_u32_e32 v14, 29, v14
	v_and_b32_e32 v15, 7, v15
	v_cmp_eq_u16_e32 vcc, 0, v11
	v_cndmask_b32_e32 v10, v10, v15, vcc
	v_cndmask_b32_e32 v11, v12, v14, vcc
	v_lshlrev_b32_e32 v12, 8, v17
	v_mov_b32_e32 v14, 0x3b800000
	v_lshlrev_b32_e32 v10, 20, v10
	v_and_b32_e32 v12, 0x80000000, v12
	v_lshl_add_u32 v11, v11, 23, v14
	v_or3_b32 v10, v12, v11, v10
.LBB13_884:
	s_or_b64 exec, exec, s[6:7]
	s_movk_i32 s4, 0xff
	v_and_b32_sdwa v11, v13, s4 dst_sel:DWORD dst_unused:UNUSED_PAD src0_sel:WORD_1 src1_sel:DWORD
	s_movk_i32 s4, 0x7f
	v_cmp_lt_i16_e32 vcc, s4, v11
	s_mov_b64 s[4:5], 0
                                        ; implicit-def: $sgpr10
	s_and_saveexec_b64 s[6:7], vcc
	s_xor_b64 s[6:7], exec, s[6:7]
	s_cbranch_execnz .LBB13_2933
; %bb.885:
	s_or_saveexec_b64 s[6:7], s[6:7]
	v_mov_b32_e32 v12, s10
	s_xor_b64 exec, exec, s[6:7]
	s_cbranch_execnz .LBB13_2936
.LBB13_886:
	s_or_b64 exec, exec, s[6:7]
	s_and_saveexec_b64 s[6:7], s[4:5]
	s_cbranch_execz .LBB13_888
.LBB13_887:
	v_bfe_u32 v11, v13, 16, 3
	v_ffbh_u32_e32 v15, v11
	v_min_u32_e32 v15, 32, v15
	v_lshrrev_b32_e32 v12, 19, v13
	v_subrev_u32_e32 v16, 28, v15
	v_and_b32_e32 v12, 15, v12
	v_lshlrev_b32_sdwa v16, v16, v13 dst_sel:DWORD dst_unused:UNUSED_PAD src0_sel:DWORD src1_sel:WORD_1
	v_bfe_u32 v14, v13, 19, 4
	v_sub_u32_e32 v15, 29, v15
	v_and_b32_e32 v16, 7, v16
	v_cmp_eq_u16_e32 vcc, 0, v12
	v_cndmask_b32_e32 v11, v11, v16, vcc
	v_cndmask_b32_e32 v12, v14, v15, vcc
	v_lshlrev_b32_e32 v14, 8, v13
	v_mov_b32_e32 v15, 0x3b800000
	v_lshlrev_b32_e32 v11, 20, v11
	v_and_b32_e32 v14, 0x80000000, v14
	v_lshl_add_u32 v12, v12, 23, v15
	v_or3_b32 v12, v14, v12, v11
.LBB13_888:
	s_or_b64 exec, exec, s[6:7]
	s_nop 0
	v_mfma_f32_16x16x4f32 a[0:3], v10, v12, a[0:3]
	s_movk_i32 s4, 0x7f
	v_cmp_gt_i16_sdwa s[6:7], v17, s4 src0_sel:BYTE_3 src1_sel:DWORD
	s_mov_b64 s[4:5], 0
                                        ; implicit-def: $sgpr10
	s_and_saveexec_b64 s[8:9], s[6:7]
	s_xor_b64 s[6:7], exec, s[8:9]
	s_cbranch_execnz .LBB13_2937
; %bb.889:
	s_or_saveexec_b64 s[6:7], s[6:7]
	v_mov_b32_e32 v10, s10
	s_xor_b64 exec, exec, s[6:7]
	s_cbranch_execnz .LBB13_2940
.LBB13_890:
	s_or_b64 exec, exec, s[6:7]
	s_and_saveexec_b64 s[6:7], s[4:5]
	s_cbranch_execz .LBB13_892
.LBB13_891:
	v_bfe_u32 v10, v17, 24, 3
	v_ffbh_u32_e32 v15, v10
	v_min_u32_e32 v15, 32, v15
	v_lshrrev_b32_e32 v12, 27, v17
	v_subrev_u32_e32 v16, 28, v15
	v_and_b32_e32 v12, 15, v12
	v_lshlrev_b32_sdwa v16, v16, v17 dst_sel:DWORD dst_unused:UNUSED_PAD src0_sel:DWORD src1_sel:BYTE_3
	v_bfe_u32 v14, v17, 27, 4
	v_sub_u32_e32 v15, 29, v15
	v_and_b32_e32 v16, 7, v16
	v_cmp_eq_u16_e32 vcc, 0, v12
	v_cndmask_b32_e32 v10, v10, v16, vcc
	v_cndmask_b32_e32 v12, v14, v15, vcc
	v_mov_b32_e32 v14, 0x3b800000
	v_and_b32_e32 v11, 0x80000000, v17
	v_lshlrev_b32_e32 v10, 20, v10
	v_lshl_add_u32 v12, v12, 23, v14
	v_or3_b32 v10, v11, v12, v10
.LBB13_892:
	s_or_b64 exec, exec, s[6:7]
	s_movk_i32 s4, 0x7f
	v_cmp_gt_i16_sdwa s[6:7], v13, s4 src0_sel:BYTE_3 src1_sel:DWORD
	s_mov_b64 s[4:5], 0
                                        ; implicit-def: $sgpr10
	s_and_saveexec_b64 s[8:9], s[6:7]
	s_xor_b64 s[6:7], exec, s[8:9]
	s_cbranch_execnz .LBB13_2941
; %bb.893:
	s_or_saveexec_b64 s[6:7], s[6:7]
	v_mov_b32_e32 v11, s10
	s_xor_b64 exec, exec, s[6:7]
	s_cbranch_execnz .LBB13_2944
.LBB13_894:
	s_or_b64 exec, exec, s[6:7]
	s_and_saveexec_b64 s[6:7], s[4:5]
	s_cbranch_execz .LBB13_896
.LBB13_895:
	v_bfe_u32 v11, v13, 24, 3
	v_ffbh_u32_e32 v16, v11
	v_min_u32_e32 v16, 32, v16
	v_lshrrev_b32_e32 v14, 27, v13
	v_subrev_u32_e32 v17, 28, v16
	v_and_b32_e32 v12, 0x80000000, v13
	v_and_b32_e32 v14, 15, v14
	v_bfe_u32 v15, v13, 27, 4
	v_lshlrev_b32_sdwa v13, v17, v13 dst_sel:DWORD dst_unused:UNUSED_PAD src0_sel:DWORD src1_sel:BYTE_3
	v_sub_u32_e32 v16, 29, v16
	v_and_b32_e32 v13, 7, v13
	v_cmp_eq_u16_e32 vcc, 0, v14
	v_cndmask_b32_e32 v11, v11, v13, vcc
	v_cndmask_b32_e32 v13, v15, v16, vcc
	v_mov_b32_e32 v14, 0x3b800000
	v_lshlrev_b32_e32 v11, 20, v11
	v_lshl_add_u32 v13, v13, 23, v14
	v_or3_b32 v11, v12, v13, v11
.LBB13_896:
	s_or_b64 exec, exec, s[6:7]
	s_nop 0
	v_mfma_f32_16x16x4f32 a[0:3], v10, v11, a[0:3]
	s_movk_i32 s4, 0x7f
	v_cmp_gt_i16_sdwa s[6:7], v6, s4 src0_sel:BYTE_0 src1_sel:DWORD
	s_mov_b64 s[4:5], 0
                                        ; implicit-def: $sgpr10
	s_and_saveexec_b64 s[8:9], s[6:7]
	s_xor_b64 s[6:7], exec, s[8:9]
	s_cbranch_execnz .LBB13_2945
; %bb.897:
	s_or_saveexec_b64 s[6:7], s[6:7]
	v_mov_b32_e32 v10, s10
	s_xor_b64 exec, exec, s[6:7]
	s_cbranch_execnz .LBB13_2948
.LBB13_898:
	s_or_b64 exec, exec, s[6:7]
	s_and_saveexec_b64 s[6:7], s[4:5]
	s_cbranch_execz .LBB13_900
.LBB13_899:
	v_and_b32_e32 v10, 7, v6
	v_ffbh_u32_e32 v12, v10
	v_min_u32_e32 v12, 32, v12
	v_lshrrev_b16_e32 v11, 3, v6
	v_subrev_u32_e32 v13, 28, v12
	v_and_b32_e32 v11, 15, v11
	v_lshlrev_b32_e32 v13, v13, v6
	v_sub_u32_e32 v12, 29, v12
	v_and_b32_e32 v13, 7, v13
	v_cmp_eq_u16_e32 vcc, 0, v11
	v_cndmask_b32_e32 v10, v10, v13, vcc
	v_cndmask_b32_e32 v11, v11, v12, vcc
	v_lshlrev_b32_e32 v12, 24, v6
	v_mov_b32_e32 v13, 0x3b800000
	v_lshlrev_b32_e32 v10, 20, v10
	v_and_b32_e32 v12, 0x80000000, v12
	v_lshl_add_u32 v11, v11, 23, v13
	v_or3_b32 v10, v12, v11, v10
.LBB13_900:
	s_or_b64 exec, exec, s[6:7]
	s_movk_i32 s4, 0x7f
	v_cmp_gt_i16_sdwa s[6:7], v2, s4 src0_sel:BYTE_0 src1_sel:DWORD
	s_mov_b64 s[4:5], 0
                                        ; implicit-def: $sgpr10
	s_and_saveexec_b64 s[8:9], s[6:7]
	s_xor_b64 s[6:7], exec, s[8:9]
	s_cbranch_execnz .LBB13_2949
; %bb.901:
	s_or_saveexec_b64 s[6:7], s[6:7]
	v_mov_b32_e32 v11, s10
	s_xor_b64 exec, exec, s[6:7]
	s_cbranch_execnz .LBB13_2952
.LBB13_902:
	s_or_b64 exec, exec, s[6:7]
	s_and_saveexec_b64 s[6:7], s[4:5]
	s_cbranch_execz .LBB13_904
.LBB13_903:
	v_and_b32_e32 v11, 7, v2
	v_ffbh_u32_e32 v13, v11
	v_min_u32_e32 v13, 32, v13
	v_lshrrev_b16_e32 v12, 3, v2
	v_subrev_u32_e32 v14, 28, v13
	v_and_b32_e32 v12, 15, v12
	v_lshlrev_b32_e32 v14, v14, v2
	v_sub_u32_e32 v13, 29, v13
	v_and_b32_e32 v14, 7, v14
	v_cmp_eq_u16_e32 vcc, 0, v12
	v_cndmask_b32_e32 v11, v11, v14, vcc
	v_cndmask_b32_e32 v12, v12, v13, vcc
	v_lshlrev_b32_e32 v13, 24, v2
	v_mov_b32_e32 v14, 0x3b800000
	v_lshlrev_b32_e32 v11, 20, v11
	v_and_b32_e32 v13, 0x80000000, v13
	v_lshl_add_u32 v12, v12, 23, v14
	v_or3_b32 v11, v13, v12, v11
.LBB13_904:
	s_or_b64 exec, exec, s[6:7]
	s_nop 0
	v_mfma_f32_16x16x4f32 a[0:3], v10, v11, a[0:3]
	v_lshrrev_b32_e32 v11, 8, v6
	s_movk_i32 s4, 0x7f
	v_cmp_gt_i16_sdwa s[6:7], v11, s4 src0_sel:BYTE_0 src1_sel:DWORD
	s_mov_b64 s[4:5], 0
                                        ; implicit-def: $sgpr10
	s_and_saveexec_b64 s[8:9], s[6:7]
	s_xor_b64 s[6:7], exec, s[8:9]
	s_cbranch_execnz .LBB13_2953
; %bb.905:
	s_or_saveexec_b64 s[6:7], s[6:7]
	v_mov_b32_e32 v10, s10
	s_xor_b64 exec, exec, s[6:7]
	s_cbranch_execnz .LBB13_2956
.LBB13_906:
	s_or_b64 exec, exec, s[6:7]
	s_and_saveexec_b64 s[6:7], s[4:5]
	s_cbranch_execz .LBB13_908
.LBB13_907:
	v_bfe_u32 v10, v6, 8, 3
	v_ffbh_u32_e32 v13, v10
	v_min_u32_e32 v13, 32, v13
	v_lshrrev_b16_e32 v12, 3, v11
	v_subrev_u32_e32 v14, 28, v13
	v_and_b32_e32 v12, 15, v12
	v_lshlrev_b32_e32 v11, v14, v11
	v_sub_u32_e32 v13, 29, v13
	v_and_b32_e32 v11, 7, v11
	v_cmp_eq_u16_e32 vcc, 0, v12
	v_cndmask_b32_e32 v10, v10, v11, vcc
	v_cndmask_b32_e32 v11, v12, v13, vcc
	v_lshlrev_b32_e32 v12, 16, v6
	v_mov_b32_e32 v13, 0x3b800000
	v_lshlrev_b32_e32 v10, 20, v10
	v_and_b32_e32 v12, 0x80000000, v12
	v_lshl_add_u32 v11, v11, 23, v13
	v_or3_b32 v10, v12, v11, v10
.LBB13_908:
	s_or_b64 exec, exec, s[6:7]
	v_lshrrev_b32_e32 v11, 8, v2
	s_movk_i32 s4, 0x7f
	v_cmp_gt_i16_sdwa s[6:7], v11, s4 src0_sel:BYTE_0 src1_sel:DWORD
	s_mov_b64 s[4:5], 0
                                        ; implicit-def: $sgpr10
	s_and_saveexec_b64 s[8:9], s[6:7]
	s_xor_b64 s[6:7], exec, s[8:9]
	s_cbranch_execnz .LBB13_2957
; %bb.909:
	s_or_saveexec_b64 s[6:7], s[6:7]
	v_mov_b32_e32 v12, s10
	s_xor_b64 exec, exec, s[6:7]
	s_cbranch_execnz .LBB13_2960
.LBB13_910:
	s_or_b64 exec, exec, s[6:7]
	s_and_saveexec_b64 s[6:7], s[4:5]
	s_cbranch_execz .LBB13_912
.LBB13_911:
	v_bfe_u32 v12, v2, 8, 3
	v_ffbh_u32_e32 v14, v12
	v_min_u32_e32 v14, 32, v14
	v_lshrrev_b16_e32 v13, 3, v11
	v_subrev_u32_e32 v15, 28, v14
	v_and_b32_e32 v13, 15, v13
	v_lshlrev_b32_e32 v11, v15, v11
	v_sub_u32_e32 v14, 29, v14
	v_and_b32_e32 v11, 7, v11
	v_cmp_eq_u16_e32 vcc, 0, v13
	v_cndmask_b32_e32 v11, v12, v11, vcc
	v_cndmask_b32_e32 v12, v13, v14, vcc
	v_lshlrev_b32_e32 v13, 16, v2
	v_mov_b32_e32 v14, 0x3b800000
	v_lshlrev_b32_e32 v11, 20, v11
	v_and_b32_e32 v13, 0x80000000, v13
	v_lshl_add_u32 v12, v12, 23, v14
	v_or3_b32 v12, v13, v12, v11
.LBB13_912:
	s_or_b64 exec, exec, s[6:7]
	s_nop 0
	v_mfma_f32_16x16x4f32 a[0:3], v10, v12, a[0:3]
	s_movk_i32 s4, 0xff
	v_and_b32_sdwa v11, v6, s4 dst_sel:DWORD dst_unused:UNUSED_PAD src0_sel:WORD_1 src1_sel:DWORD
	s_movk_i32 s4, 0x7f
	v_cmp_lt_i16_e32 vcc, s4, v11
	s_mov_b64 s[4:5], 0
                                        ; implicit-def: $sgpr10
	s_and_saveexec_b64 s[6:7], vcc
	s_xor_b64 s[6:7], exec, s[6:7]
	s_cbranch_execnz .LBB13_2961
; %bb.913:
	s_or_saveexec_b64 s[6:7], s[6:7]
	v_mov_b32_e32 v10, s10
	s_xor_b64 exec, exec, s[6:7]
	s_cbranch_execnz .LBB13_2964
.LBB13_914:
	s_or_b64 exec, exec, s[6:7]
	s_and_saveexec_b64 s[6:7], s[4:5]
	s_cbranch_execz .LBB13_916
.LBB13_915:
	v_bfe_u32 v10, v6, 16, 3
	v_ffbh_u32_e32 v13, v10
	v_min_u32_e32 v13, 32, v13
	v_lshrrev_b32_e32 v11, 19, v6
	v_subrev_u32_e32 v14, 28, v13
	v_and_b32_e32 v11, 15, v11
	v_lshlrev_b32_sdwa v14, v14, v6 dst_sel:DWORD dst_unused:UNUSED_PAD src0_sel:DWORD src1_sel:WORD_1
	v_bfe_u32 v12, v6, 19, 4
	v_sub_u32_e32 v13, 29, v13
	v_and_b32_e32 v14, 7, v14
	v_cmp_eq_u16_e32 vcc, 0, v11
	v_cndmask_b32_e32 v10, v10, v14, vcc
	v_cndmask_b32_e32 v11, v12, v13, vcc
	v_lshlrev_b32_e32 v12, 8, v6
	v_mov_b32_e32 v13, 0x3b800000
	v_lshlrev_b32_e32 v10, 20, v10
	v_and_b32_e32 v12, 0x80000000, v12
	v_lshl_add_u32 v11, v11, 23, v13
	v_or3_b32 v10, v12, v11, v10
.LBB13_916:
	s_or_b64 exec, exec, s[6:7]
	s_movk_i32 s4, 0xff
	v_and_b32_sdwa v11, v2, s4 dst_sel:DWORD dst_unused:UNUSED_PAD src0_sel:WORD_1 src1_sel:DWORD
	s_movk_i32 s4, 0x7f
	v_cmp_lt_i16_e32 vcc, s4, v11
	s_mov_b64 s[4:5], 0
                                        ; implicit-def: $sgpr10
	s_and_saveexec_b64 s[6:7], vcc
	s_xor_b64 s[6:7], exec, s[6:7]
	s_cbranch_execnz .LBB13_2965
; %bb.917:
	s_or_saveexec_b64 s[6:7], s[6:7]
	v_mov_b32_e32 v12, s10
	s_xor_b64 exec, exec, s[6:7]
	s_cbranch_execnz .LBB13_2968
.LBB13_918:
	s_or_b64 exec, exec, s[6:7]
	s_and_saveexec_b64 s[6:7], s[4:5]
	s_cbranch_execz .LBB13_920
.LBB13_919:
	v_bfe_u32 v11, v2, 16, 3
	v_ffbh_u32_e32 v14, v11
	v_min_u32_e32 v14, 32, v14
	v_lshrrev_b32_e32 v12, 19, v2
	v_subrev_u32_e32 v15, 28, v14
	v_and_b32_e32 v12, 15, v12
	v_lshlrev_b32_sdwa v15, v15, v2 dst_sel:DWORD dst_unused:UNUSED_PAD src0_sel:DWORD src1_sel:WORD_1
	v_bfe_u32 v13, v2, 19, 4
	v_sub_u32_e32 v14, 29, v14
	v_and_b32_e32 v15, 7, v15
	v_cmp_eq_u16_e32 vcc, 0, v12
	v_cndmask_b32_e32 v11, v11, v15, vcc
	v_cndmask_b32_e32 v12, v13, v14, vcc
	v_lshlrev_b32_e32 v13, 8, v2
	v_mov_b32_e32 v14, 0x3b800000
	v_lshlrev_b32_e32 v11, 20, v11
	v_and_b32_e32 v13, 0x80000000, v13
	v_lshl_add_u32 v12, v12, 23, v14
	v_or3_b32 v12, v13, v12, v11
.LBB13_920:
	s_or_b64 exec, exec, s[6:7]
	s_nop 0
	v_mfma_f32_16x16x4f32 a[0:3], v10, v12, a[0:3]
	s_movk_i32 s4, 0x7f
	v_cmp_gt_i16_sdwa s[6:7], v6, s4 src0_sel:BYTE_3 src1_sel:DWORD
	s_mov_b64 s[4:5], 0
                                        ; implicit-def: $sgpr10
	s_and_saveexec_b64 s[8:9], s[6:7]
	s_xor_b64 s[6:7], exec, s[8:9]
	s_cbranch_execnz .LBB13_2969
; %bb.921:
	s_or_saveexec_b64 s[6:7], s[6:7]
	v_mov_b32_e32 v10, s10
	s_xor_b64 exec, exec, s[6:7]
	s_cbranch_execnz .LBB13_2972
.LBB13_922:
	s_or_b64 exec, exec, s[6:7]
	s_and_saveexec_b64 s[6:7], s[4:5]
	s_cbranch_execz .LBB13_924
.LBB13_923:
	v_bfe_u32 v10, v6, 24, 3
	v_ffbh_u32_e32 v14, v10
	v_min_u32_e32 v14, 32, v14
	v_lshrrev_b32_e32 v12, 27, v6
	v_subrev_u32_e32 v15, 28, v14
	v_and_b32_e32 v11, 0x80000000, v6
	v_and_b32_e32 v12, 15, v12
	v_bfe_u32 v13, v6, 27, 4
	v_lshlrev_b32_sdwa v6, v15, v6 dst_sel:DWORD dst_unused:UNUSED_PAD src0_sel:DWORD src1_sel:BYTE_3
	v_sub_u32_e32 v14, 29, v14
	v_and_b32_e32 v6, 7, v6
	v_cmp_eq_u16_e32 vcc, 0, v12
	v_cndmask_b32_e32 v6, v10, v6, vcc
	v_cndmask_b32_e32 v10, v13, v14, vcc
	v_mov_b32_e32 v12, 0x3b800000
	v_lshlrev_b32_e32 v6, 20, v6
	v_lshl_add_u32 v10, v10, 23, v12
	v_or3_b32 v10, v11, v10, v6
.LBB13_924:
	s_or_b64 exec, exec, s[6:7]
	s_movk_i32 s4, 0x7f
	v_cmp_gt_i16_sdwa s[6:7], v2, s4 src0_sel:BYTE_3 src1_sel:DWORD
	s_mov_b64 s[4:5], 0
                                        ; implicit-def: $sgpr10
	s_and_saveexec_b64 s[8:9], s[6:7]
	s_xor_b64 s[6:7], exec, s[8:9]
	s_cbranch_execnz .LBB13_2973
; %bb.925:
	s_or_saveexec_b64 s[6:7], s[6:7]
	v_mov_b32_e32 v6, s10
	s_xor_b64 exec, exec, s[6:7]
	s_cbranch_execnz .LBB13_2976
.LBB13_926:
	s_or_b64 exec, exec, s[6:7]
	s_and_saveexec_b64 s[6:7], s[4:5]
	s_cbranch_execz .LBB13_928
.LBB13_927:
	v_bfe_u32 v6, v2, 24, 3
	v_ffbh_u32_e32 v14, v6
	v_min_u32_e32 v14, 32, v14
	v_lshrrev_b32_e32 v12, 27, v2
	v_subrev_u32_e32 v15, 28, v14
	v_and_b32_e32 v11, 0x80000000, v2
	v_and_b32_e32 v12, 15, v12
	v_bfe_u32 v13, v2, 27, 4
	v_lshlrev_b32_sdwa v2, v15, v2 dst_sel:DWORD dst_unused:UNUSED_PAD src0_sel:DWORD src1_sel:BYTE_3
	v_sub_u32_e32 v14, 29, v14
	v_and_b32_e32 v2, 7, v2
	v_cmp_eq_u16_e32 vcc, 0, v12
	v_cndmask_b32_e32 v2, v6, v2, vcc
	v_cndmask_b32_e32 v6, v13, v14, vcc
	v_mov_b32_e32 v12, 0x3b800000
	v_lshlrev_b32_e32 v2, 20, v2
	v_lshl_add_u32 v6, v6, 23, v12
	v_or3_b32 v6, v11, v6, v2
.LBB13_928:
	s_or_b64 exec, exec, s[6:7]
	s_nop 0
	v_mfma_f32_16x16x4f32 a[0:3], v10, v6, a[0:3]
	s_movk_i32 s4, 0x7f
	v_cmp_gt_i16_sdwa s[6:7], v7, s4 src0_sel:BYTE_0 src1_sel:DWORD
	s_mov_b64 s[4:5], 0
                                        ; implicit-def: $sgpr10
	s_and_saveexec_b64 s[8:9], s[6:7]
	s_xor_b64 s[6:7], exec, s[8:9]
	s_cbranch_execnz .LBB13_2977
; %bb.929:
	s_or_saveexec_b64 s[6:7], s[6:7]
	v_mov_b32_e32 v2, s10
	s_xor_b64 exec, exec, s[6:7]
	s_cbranch_execnz .LBB13_2980
.LBB13_930:
	s_or_b64 exec, exec, s[6:7]
	s_and_saveexec_b64 s[6:7], s[4:5]
	s_cbranch_execz .LBB13_932
.LBB13_931:
	v_and_b32_e32 v2, 7, v7
	v_ffbh_u32_e32 v10, v2
	v_min_u32_e32 v10, 32, v10
	v_lshrrev_b16_e32 v6, 3, v7
	v_subrev_u32_e32 v11, 28, v10
	v_and_b32_e32 v6, 15, v6
	v_lshlrev_b32_e32 v11, v11, v7
	v_sub_u32_e32 v10, 29, v10
	v_and_b32_e32 v11, 7, v11
	v_cmp_eq_u16_e32 vcc, 0, v6
	v_cndmask_b32_e32 v2, v2, v11, vcc
	v_cndmask_b32_e32 v6, v6, v10, vcc
	v_lshlrev_b32_e32 v10, 24, v7
	v_mov_b32_e32 v11, 0x3b800000
	v_lshlrev_b32_e32 v2, 20, v2
	v_and_b32_e32 v10, 0x80000000, v10
	v_lshl_add_u32 v6, v6, 23, v11
	v_or3_b32 v2, v10, v6, v2
.LBB13_932:
	s_or_b64 exec, exec, s[6:7]
	s_movk_i32 s4, 0x7f
	v_cmp_gt_i16_sdwa s[6:7], v3, s4 src0_sel:BYTE_0 src1_sel:DWORD
	s_mov_b64 s[4:5], 0
                                        ; implicit-def: $sgpr10
	s_and_saveexec_b64 s[8:9], s[6:7]
	s_xor_b64 s[6:7], exec, s[8:9]
	s_cbranch_execnz .LBB13_2981
; %bb.933:
	s_or_saveexec_b64 s[6:7], s[6:7]
	v_mov_b32_e32 v6, s10
	s_xor_b64 exec, exec, s[6:7]
	s_cbranch_execnz .LBB13_2984
.LBB13_934:
	s_or_b64 exec, exec, s[6:7]
	s_and_saveexec_b64 s[6:7], s[4:5]
	s_cbranch_execz .LBB13_936
.LBB13_935:
	v_and_b32_e32 v6, 7, v3
	v_ffbh_u32_e32 v11, v6
	v_min_u32_e32 v11, 32, v11
	v_lshrrev_b16_e32 v10, 3, v3
	v_subrev_u32_e32 v12, 28, v11
	v_and_b32_e32 v10, 15, v10
	v_lshlrev_b32_e32 v12, v12, v3
	v_sub_u32_e32 v11, 29, v11
	v_and_b32_e32 v12, 7, v12
	v_cmp_eq_u16_e32 vcc, 0, v10
	v_cndmask_b32_e32 v6, v6, v12, vcc
	v_cndmask_b32_e32 v10, v10, v11, vcc
	v_lshlrev_b32_e32 v11, 24, v3
	v_mov_b32_e32 v12, 0x3b800000
	v_lshlrev_b32_e32 v6, 20, v6
	v_and_b32_e32 v11, 0x80000000, v11
	v_lshl_add_u32 v10, v10, 23, v12
	v_or3_b32 v6, v11, v10, v6
.LBB13_936:
	s_or_b64 exec, exec, s[6:7]
	s_nop 0
	v_mfma_f32_16x16x4f32 a[0:3], v2, v6, a[0:3]
	v_lshrrev_b32_e32 v6, 8, v7
	s_movk_i32 s4, 0x7f
	v_cmp_gt_i16_sdwa s[6:7], v6, s4 src0_sel:BYTE_0 src1_sel:DWORD
	s_mov_b64 s[4:5], 0
                                        ; implicit-def: $sgpr10
	s_and_saveexec_b64 s[8:9], s[6:7]
	s_xor_b64 s[6:7], exec, s[8:9]
	s_cbranch_execnz .LBB13_2985
; %bb.937:
	s_or_saveexec_b64 s[6:7], s[6:7]
	v_mov_b32_e32 v2, s10
	s_xor_b64 exec, exec, s[6:7]
	s_cbranch_execnz .LBB13_2988
.LBB13_938:
	s_or_b64 exec, exec, s[6:7]
	s_and_saveexec_b64 s[6:7], s[4:5]
	s_cbranch_execz .LBB13_940
.LBB13_939:
	v_bfe_u32 v2, v7, 8, 3
	v_ffbh_u32_e32 v11, v2
	v_min_u32_e32 v11, 32, v11
	v_lshrrev_b16_e32 v10, 3, v6
	v_subrev_u32_e32 v12, 28, v11
	v_and_b32_e32 v10, 15, v10
	v_lshlrev_b32_e32 v6, v12, v6
	v_sub_u32_e32 v11, 29, v11
	v_and_b32_e32 v6, 7, v6
	v_cmp_eq_u16_e32 vcc, 0, v10
	v_cndmask_b32_e32 v2, v2, v6, vcc
	v_cndmask_b32_e32 v6, v10, v11, vcc
	v_lshlrev_b32_e32 v10, 16, v7
	v_mov_b32_e32 v11, 0x3b800000
	v_lshlrev_b32_e32 v2, 20, v2
	v_and_b32_e32 v10, 0x80000000, v10
	v_lshl_add_u32 v6, v6, 23, v11
	v_or3_b32 v2, v10, v6, v2
.LBB13_940:
	s_or_b64 exec, exec, s[6:7]
	v_lshrrev_b32_e32 v6, 8, v3
	s_movk_i32 s4, 0x7f
	v_cmp_gt_i16_sdwa s[6:7], v6, s4 src0_sel:BYTE_0 src1_sel:DWORD
	s_mov_b64 s[4:5], 0
                                        ; implicit-def: $sgpr10
	s_and_saveexec_b64 s[8:9], s[6:7]
	s_xor_b64 s[6:7], exec, s[8:9]
	s_cbranch_execnz .LBB13_2989
; %bb.941:
	s_or_saveexec_b64 s[6:7], s[6:7]
	v_mov_b32_e32 v10, s10
	s_xor_b64 exec, exec, s[6:7]
	s_cbranch_execnz .LBB13_2992
.LBB13_942:
	s_or_b64 exec, exec, s[6:7]
	s_and_saveexec_b64 s[6:7], s[4:5]
	s_cbranch_execz .LBB13_944
.LBB13_943:
	v_bfe_u32 v10, v3, 8, 3
	v_ffbh_u32_e32 v12, v10
	v_min_u32_e32 v12, 32, v12
	v_lshrrev_b16_e32 v11, 3, v6
	v_subrev_u32_e32 v13, 28, v12
	v_and_b32_e32 v11, 15, v11
	v_lshlrev_b32_e32 v6, v13, v6
	v_sub_u32_e32 v12, 29, v12
	v_and_b32_e32 v6, 7, v6
	v_cmp_eq_u16_e32 vcc, 0, v11
	v_cndmask_b32_e32 v6, v10, v6, vcc
	v_cndmask_b32_e32 v10, v11, v12, vcc
	v_lshlrev_b32_e32 v11, 16, v3
	v_mov_b32_e32 v12, 0x3b800000
	v_lshlrev_b32_e32 v6, 20, v6
	v_and_b32_e32 v11, 0x80000000, v11
	v_lshl_add_u32 v10, v10, 23, v12
	v_or3_b32 v10, v11, v10, v6
.LBB13_944:
	s_or_b64 exec, exec, s[6:7]
	s_nop 0
	v_mfma_f32_16x16x4f32 a[0:3], v2, v10, a[0:3]
	s_movk_i32 s4, 0xff
	v_and_b32_sdwa v6, v7, s4 dst_sel:DWORD dst_unused:UNUSED_PAD src0_sel:WORD_1 src1_sel:DWORD
	s_movk_i32 s4, 0x7f
	v_cmp_lt_i16_e32 vcc, s4, v6
	s_mov_b64 s[4:5], 0
                                        ; implicit-def: $sgpr10
	s_and_saveexec_b64 s[6:7], vcc
	s_xor_b64 s[6:7], exec, s[6:7]
	s_cbranch_execnz .LBB13_2993
; %bb.945:
	s_or_saveexec_b64 s[6:7], s[6:7]
	v_mov_b32_e32 v2, s10
	s_xor_b64 exec, exec, s[6:7]
	s_cbranch_execnz .LBB13_2996
.LBB13_946:
	s_or_b64 exec, exec, s[6:7]
	s_and_saveexec_b64 s[6:7], s[4:5]
	s_cbranch_execz .LBB13_948
.LBB13_947:
	v_bfe_u32 v2, v7, 16, 3
	v_ffbh_u32_e32 v11, v2
	v_min_u32_e32 v11, 32, v11
	v_lshrrev_b32_e32 v6, 19, v7
	v_subrev_u32_e32 v12, 28, v11
	v_and_b32_e32 v6, 15, v6
	v_lshlrev_b32_sdwa v12, v12, v7 dst_sel:DWORD dst_unused:UNUSED_PAD src0_sel:DWORD src1_sel:WORD_1
	v_bfe_u32 v10, v7, 19, 4
	v_sub_u32_e32 v11, 29, v11
	v_and_b32_e32 v12, 7, v12
	v_cmp_eq_u16_e32 vcc, 0, v6
	v_cndmask_b32_e32 v2, v2, v12, vcc
	v_cndmask_b32_e32 v6, v10, v11, vcc
	v_lshlrev_b32_e32 v10, 8, v7
	v_mov_b32_e32 v11, 0x3b800000
	v_lshlrev_b32_e32 v2, 20, v2
	v_and_b32_e32 v10, 0x80000000, v10
	v_lshl_add_u32 v6, v6, 23, v11
	v_or3_b32 v2, v10, v6, v2
.LBB13_948:
	s_or_b64 exec, exec, s[6:7]
	s_movk_i32 s4, 0xff
	v_and_b32_sdwa v6, v3, s4 dst_sel:DWORD dst_unused:UNUSED_PAD src0_sel:WORD_1 src1_sel:DWORD
	s_movk_i32 s4, 0x7f
	v_cmp_lt_i16_e32 vcc, s4, v6
	s_mov_b64 s[4:5], 0
                                        ; implicit-def: $sgpr10
	s_and_saveexec_b64 s[6:7], vcc
	s_xor_b64 s[6:7], exec, s[6:7]
	s_cbranch_execnz .LBB13_2997
; %bb.949:
	s_or_saveexec_b64 s[6:7], s[6:7]
	v_mov_b32_e32 v10, s10
	s_xor_b64 exec, exec, s[6:7]
	s_cbranch_execnz .LBB13_3000
.LBB13_950:
	s_or_b64 exec, exec, s[6:7]
	s_and_saveexec_b64 s[6:7], s[4:5]
	s_cbranch_execz .LBB13_952
.LBB13_951:
	v_bfe_u32 v6, v3, 16, 3
	v_ffbh_u32_e32 v12, v6
	v_min_u32_e32 v12, 32, v12
	v_lshrrev_b32_e32 v10, 19, v3
	v_subrev_u32_e32 v13, 28, v12
	v_and_b32_e32 v10, 15, v10
	v_lshlrev_b32_sdwa v13, v13, v3 dst_sel:DWORD dst_unused:UNUSED_PAD src0_sel:DWORD src1_sel:WORD_1
	v_bfe_u32 v11, v3, 19, 4
	v_sub_u32_e32 v12, 29, v12
	v_and_b32_e32 v13, 7, v13
	v_cmp_eq_u16_e32 vcc, 0, v10
	v_cndmask_b32_e32 v6, v6, v13, vcc
	v_cndmask_b32_e32 v10, v11, v12, vcc
	v_lshlrev_b32_e32 v11, 8, v3
	v_mov_b32_e32 v12, 0x3b800000
	v_lshlrev_b32_e32 v6, 20, v6
	v_and_b32_e32 v11, 0x80000000, v11
	v_lshl_add_u32 v10, v10, 23, v12
	v_or3_b32 v10, v11, v10, v6
.LBB13_952:
	s_or_b64 exec, exec, s[6:7]
	s_nop 0
	v_mfma_f32_16x16x4f32 a[0:3], v2, v10, a[0:3]
	s_movk_i32 s4, 0x7f
	v_cmp_gt_i16_sdwa s[6:7], v7, s4 src0_sel:BYTE_3 src1_sel:DWORD
	s_mov_b64 s[4:5], 0
                                        ; implicit-def: $sgpr10
	s_and_saveexec_b64 s[8:9], s[6:7]
	s_xor_b64 s[6:7], exec, s[8:9]
	s_cbranch_execnz .LBB13_3001
; %bb.953:
	s_or_saveexec_b64 s[6:7], s[6:7]
	v_mov_b32_e32 v2, s10
	s_xor_b64 exec, exec, s[6:7]
	s_cbranch_execnz .LBB13_3004
.LBB13_954:
	s_or_b64 exec, exec, s[6:7]
	s_and_saveexec_b64 s[6:7], s[4:5]
	s_cbranch_execz .LBB13_956
.LBB13_955:
	v_bfe_u32 v2, v7, 24, 3
	v_ffbh_u32_e32 v12, v2
	v_min_u32_e32 v12, 32, v12
	v_lshrrev_b32_e32 v10, 27, v7
	v_subrev_u32_e32 v13, 28, v12
	v_and_b32_e32 v6, 0x80000000, v7
	v_and_b32_e32 v10, 15, v10
	v_bfe_u32 v11, v7, 27, 4
	v_lshlrev_b32_sdwa v7, v13, v7 dst_sel:DWORD dst_unused:UNUSED_PAD src0_sel:DWORD src1_sel:BYTE_3
	v_sub_u32_e32 v12, 29, v12
	v_and_b32_e32 v7, 7, v7
	v_cmp_eq_u16_e32 vcc, 0, v10
	v_cndmask_b32_e32 v2, v2, v7, vcc
	v_cndmask_b32_e32 v7, v11, v12, vcc
	v_mov_b32_e32 v10, 0x3b800000
	v_lshlrev_b32_e32 v2, 20, v2
	v_lshl_add_u32 v7, v7, 23, v10
	v_or3_b32 v2, v6, v7, v2
.LBB13_956:
	s_or_b64 exec, exec, s[6:7]
	s_movk_i32 s4, 0x7f
	v_cmp_gt_i16_sdwa s[6:7], v3, s4 src0_sel:BYTE_3 src1_sel:DWORD
	s_mov_b64 s[4:5], 0
                                        ; implicit-def: $sgpr10
	s_and_saveexec_b64 s[8:9], s[6:7]
	s_xor_b64 s[6:7], exec, s[8:9]
	s_cbranch_execnz .LBB13_3005
; %bb.957:
	s_or_saveexec_b64 s[6:7], s[6:7]
	v_mov_b32_e32 v6, s10
	s_xor_b64 exec, exec, s[6:7]
	s_cbranch_execnz .LBB13_3008
.LBB13_958:
	s_or_b64 exec, exec, s[6:7]
	s_and_saveexec_b64 s[6:7], s[4:5]
	s_cbranch_execz .LBB13_960
.LBB13_959:
	v_bfe_u32 v6, v3, 24, 3
	v_ffbh_u32_e32 v12, v6
	v_min_u32_e32 v12, 32, v12
	v_lshrrev_b32_e32 v10, 27, v3
	v_subrev_u32_e32 v13, 28, v12
	v_and_b32_e32 v7, 0x80000000, v3
	v_and_b32_e32 v10, 15, v10
	v_bfe_u32 v11, v3, 27, 4
	v_lshlrev_b32_sdwa v3, v13, v3 dst_sel:DWORD dst_unused:UNUSED_PAD src0_sel:DWORD src1_sel:BYTE_3
	v_sub_u32_e32 v12, 29, v12
	v_and_b32_e32 v3, 7, v3
	v_cmp_eq_u16_e32 vcc, 0, v10
	v_cndmask_b32_e32 v3, v6, v3, vcc
	v_cndmask_b32_e32 v6, v11, v12, vcc
	v_mov_b32_e32 v10, 0x3b800000
	v_lshlrev_b32_e32 v3, 20, v3
	v_lshl_add_u32 v6, v6, 23, v10
	v_or3_b32 v6, v7, v6, v3
.LBB13_960:
	s_or_b64 exec, exec, s[6:7]
	s_nop 0
	v_mfma_f32_16x16x4f32 a[0:3], v2, v6, a[0:3]
	s_movk_i32 s4, 0x7f
	v_cmp_gt_i16_sdwa s[6:7], v8, s4 src0_sel:BYTE_0 src1_sel:DWORD
	s_mov_b64 s[4:5], 0
                                        ; implicit-def: $sgpr10
	s_and_saveexec_b64 s[8:9], s[6:7]
	s_xor_b64 s[6:7], exec, s[8:9]
	s_cbranch_execnz .LBB13_3009
; %bb.961:
	s_or_saveexec_b64 s[6:7], s[6:7]
	v_mov_b32_e32 v2, s10
	s_xor_b64 exec, exec, s[6:7]
	s_cbranch_execnz .LBB13_3012
.LBB13_962:
	s_or_b64 exec, exec, s[6:7]
	s_and_saveexec_b64 s[6:7], s[4:5]
	s_cbranch_execz .LBB13_964
.LBB13_963:
	v_and_b32_e32 v2, 7, v8
	v_ffbh_u32_e32 v6, v2
	v_min_u32_e32 v6, 32, v6
	v_lshrrev_b16_e32 v3, 3, v8
	v_subrev_u32_e32 v7, 28, v6
	v_and_b32_e32 v3, 15, v3
	v_lshlrev_b32_e32 v7, v7, v8
	v_sub_u32_e32 v6, 29, v6
	v_and_b32_e32 v7, 7, v7
	v_cmp_eq_u16_e32 vcc, 0, v3
	v_cndmask_b32_e32 v2, v2, v7, vcc
	v_cndmask_b32_e32 v3, v3, v6, vcc
	v_lshlrev_b32_e32 v6, 24, v8
	v_mov_b32_e32 v7, 0x3b800000
	v_lshlrev_b32_e32 v2, 20, v2
	v_and_b32_e32 v6, 0x80000000, v6
	v_lshl_add_u32 v3, v3, 23, v7
	v_or3_b32 v2, v6, v3, v2
.LBB13_964:
	s_or_b64 exec, exec, s[6:7]
	s_movk_i32 s4, 0x7f
	v_cmp_gt_i16_sdwa s[6:7], v4, s4 src0_sel:BYTE_0 src1_sel:DWORD
	s_mov_b64 s[4:5], 0
                                        ; implicit-def: $sgpr10
	s_and_saveexec_b64 s[8:9], s[6:7]
	s_xor_b64 s[6:7], exec, s[8:9]
	s_cbranch_execnz .LBB13_3013
; %bb.965:
	s_or_saveexec_b64 s[6:7], s[6:7]
	v_mov_b32_e32 v3, s10
	s_xor_b64 exec, exec, s[6:7]
	s_cbranch_execnz .LBB13_3016
.LBB13_966:
	s_or_b64 exec, exec, s[6:7]
	s_and_saveexec_b64 s[6:7], s[4:5]
	s_cbranch_execz .LBB13_968
.LBB13_967:
	v_and_b32_e32 v3, 7, v4
	v_ffbh_u32_e32 v7, v3
	v_min_u32_e32 v7, 32, v7
	v_lshrrev_b16_e32 v6, 3, v4
	v_subrev_u32_e32 v10, 28, v7
	v_and_b32_e32 v6, 15, v6
	v_lshlrev_b32_e32 v10, v10, v4
	v_sub_u32_e32 v7, 29, v7
	v_and_b32_e32 v10, 7, v10
	v_cmp_eq_u16_e32 vcc, 0, v6
	v_cndmask_b32_e32 v3, v3, v10, vcc
	v_cndmask_b32_e32 v6, v6, v7, vcc
	v_lshlrev_b32_e32 v7, 24, v4
	v_mov_b32_e32 v10, 0x3b800000
	v_lshlrev_b32_e32 v3, 20, v3
	v_and_b32_e32 v7, 0x80000000, v7
	v_lshl_add_u32 v6, v6, 23, v10
	v_or3_b32 v3, v7, v6, v3
.LBB13_968:
	s_or_b64 exec, exec, s[6:7]
	s_nop 0
	v_mfma_f32_16x16x4f32 a[0:3], v2, v3, a[0:3]
	v_lshrrev_b32_e32 v3, 8, v8
	s_movk_i32 s4, 0x7f
	v_cmp_gt_i16_sdwa s[6:7], v3, s4 src0_sel:BYTE_0 src1_sel:DWORD
	s_mov_b64 s[4:5], 0
                                        ; implicit-def: $sgpr10
	s_and_saveexec_b64 s[8:9], s[6:7]
	s_xor_b64 s[6:7], exec, s[8:9]
	s_cbranch_execnz .LBB13_3017
; %bb.969:
	s_or_saveexec_b64 s[6:7], s[6:7]
	v_mov_b32_e32 v2, s10
	s_xor_b64 exec, exec, s[6:7]
	s_cbranch_execnz .LBB13_3020
.LBB13_970:
	s_or_b64 exec, exec, s[6:7]
	s_and_saveexec_b64 s[6:7], s[4:5]
	s_cbranch_execz .LBB13_972
.LBB13_971:
	v_bfe_u32 v2, v8, 8, 3
	v_ffbh_u32_e32 v7, v2
	v_min_u32_e32 v7, 32, v7
	v_lshrrev_b16_e32 v6, 3, v3
	v_subrev_u32_e32 v10, 28, v7
	v_and_b32_e32 v6, 15, v6
	v_lshlrev_b32_e32 v3, v10, v3
	v_sub_u32_e32 v7, 29, v7
	v_and_b32_e32 v3, 7, v3
	v_cmp_eq_u16_e32 vcc, 0, v6
	v_cndmask_b32_e32 v2, v2, v3, vcc
	v_cndmask_b32_e32 v3, v6, v7, vcc
	v_lshlrev_b32_e32 v6, 16, v8
	v_mov_b32_e32 v7, 0x3b800000
	v_lshlrev_b32_e32 v2, 20, v2
	v_and_b32_e32 v6, 0x80000000, v6
	v_lshl_add_u32 v3, v3, 23, v7
	v_or3_b32 v2, v6, v3, v2
.LBB13_972:
	s_or_b64 exec, exec, s[6:7]
	v_lshrrev_b32_e32 v3, 8, v4
	s_movk_i32 s4, 0x7f
	v_cmp_gt_i16_sdwa s[6:7], v3, s4 src0_sel:BYTE_0 src1_sel:DWORD
	s_mov_b64 s[4:5], 0
                                        ; implicit-def: $sgpr10
	s_and_saveexec_b64 s[8:9], s[6:7]
	s_xor_b64 s[6:7], exec, s[8:9]
	s_cbranch_execnz .LBB13_3021
; %bb.973:
	s_or_saveexec_b64 s[6:7], s[6:7]
	v_mov_b32_e32 v6, s10
	s_xor_b64 exec, exec, s[6:7]
	s_cbranch_execnz .LBB13_3024
.LBB13_974:
	s_or_b64 exec, exec, s[6:7]
	s_and_saveexec_b64 s[6:7], s[4:5]
	s_cbranch_execz .LBB13_976
.LBB13_975:
	v_bfe_u32 v6, v4, 8, 3
	v_ffbh_u32_e32 v10, v6
	v_min_u32_e32 v10, 32, v10
	v_lshrrev_b16_e32 v7, 3, v3
	v_subrev_u32_e32 v11, 28, v10
	v_and_b32_e32 v7, 15, v7
	v_lshlrev_b32_e32 v3, v11, v3
	v_sub_u32_e32 v10, 29, v10
	v_and_b32_e32 v3, 7, v3
	v_cmp_eq_u16_e32 vcc, 0, v7
	v_cndmask_b32_e32 v3, v6, v3, vcc
	v_cndmask_b32_e32 v6, v7, v10, vcc
	v_lshlrev_b32_e32 v7, 16, v4
	v_mov_b32_e32 v10, 0x3b800000
	v_lshlrev_b32_e32 v3, 20, v3
	v_and_b32_e32 v7, 0x80000000, v7
	v_lshl_add_u32 v6, v6, 23, v10
	v_or3_b32 v6, v7, v6, v3
.LBB13_976:
	s_or_b64 exec, exec, s[6:7]
	s_nop 0
	v_mfma_f32_16x16x4f32 a[0:3], v2, v6, a[0:3]
	s_movk_i32 s4, 0xff
	v_and_b32_sdwa v3, v8, s4 dst_sel:DWORD dst_unused:UNUSED_PAD src0_sel:WORD_1 src1_sel:DWORD
	s_movk_i32 s4, 0x7f
	v_cmp_lt_i16_e32 vcc, s4, v3
	s_mov_b64 s[4:5], 0
                                        ; implicit-def: $sgpr10
	s_and_saveexec_b64 s[6:7], vcc
	s_xor_b64 s[6:7], exec, s[6:7]
	s_cbranch_execnz .LBB13_3025
; %bb.977:
	s_or_saveexec_b64 s[6:7], s[6:7]
	v_mov_b32_e32 v2, s10
	s_xor_b64 exec, exec, s[6:7]
	s_cbranch_execnz .LBB13_3028
.LBB13_978:
	s_or_b64 exec, exec, s[6:7]
	s_and_saveexec_b64 s[6:7], s[4:5]
	s_cbranch_execz .LBB13_980
.LBB13_979:
	v_bfe_u32 v2, v8, 16, 3
	v_ffbh_u32_e32 v7, v2
	v_min_u32_e32 v7, 32, v7
	v_lshrrev_b32_e32 v3, 19, v8
	v_subrev_u32_e32 v10, 28, v7
	v_and_b32_e32 v3, 15, v3
	v_lshlrev_b32_sdwa v10, v10, v8 dst_sel:DWORD dst_unused:UNUSED_PAD src0_sel:DWORD src1_sel:WORD_1
	v_bfe_u32 v6, v8, 19, 4
	v_sub_u32_e32 v7, 29, v7
	v_and_b32_e32 v10, 7, v10
	v_cmp_eq_u16_e32 vcc, 0, v3
	v_cndmask_b32_e32 v2, v2, v10, vcc
	v_cndmask_b32_e32 v3, v6, v7, vcc
	v_lshlrev_b32_e32 v6, 8, v8
	v_mov_b32_e32 v7, 0x3b800000
	v_lshlrev_b32_e32 v2, 20, v2
	v_and_b32_e32 v6, 0x80000000, v6
	v_lshl_add_u32 v3, v3, 23, v7
	v_or3_b32 v2, v6, v3, v2
.LBB13_980:
	s_or_b64 exec, exec, s[6:7]
	s_movk_i32 s4, 0xff
	v_and_b32_sdwa v3, v4, s4 dst_sel:DWORD dst_unused:UNUSED_PAD src0_sel:WORD_1 src1_sel:DWORD
	s_movk_i32 s4, 0x7f
	v_cmp_lt_i16_e32 vcc, s4, v3
	s_mov_b64 s[4:5], 0
                                        ; implicit-def: $sgpr10
	s_and_saveexec_b64 s[6:7], vcc
	s_xor_b64 s[6:7], exec, s[6:7]
	s_cbranch_execnz .LBB13_3029
; %bb.981:
	s_or_saveexec_b64 s[6:7], s[6:7]
	v_mov_b32_e32 v6, s10
	s_xor_b64 exec, exec, s[6:7]
	s_cbranch_execnz .LBB13_3032
.LBB13_982:
	s_or_b64 exec, exec, s[6:7]
	s_and_saveexec_b64 s[6:7], s[4:5]
	s_cbranch_execz .LBB13_984
.LBB13_983:
	v_bfe_u32 v3, v4, 16, 3
	v_ffbh_u32_e32 v10, v3
	v_min_u32_e32 v10, 32, v10
	v_lshrrev_b32_e32 v6, 19, v4
	v_subrev_u32_e32 v11, 28, v10
	v_and_b32_e32 v6, 15, v6
	v_lshlrev_b32_sdwa v11, v11, v4 dst_sel:DWORD dst_unused:UNUSED_PAD src0_sel:DWORD src1_sel:WORD_1
	v_bfe_u32 v7, v4, 19, 4
	v_sub_u32_e32 v10, 29, v10
	v_and_b32_e32 v11, 7, v11
	v_cmp_eq_u16_e32 vcc, 0, v6
	v_cndmask_b32_e32 v3, v3, v11, vcc
	v_cndmask_b32_e32 v6, v7, v10, vcc
	v_lshlrev_b32_e32 v7, 8, v4
	v_mov_b32_e32 v10, 0x3b800000
	v_lshlrev_b32_e32 v3, 20, v3
	v_and_b32_e32 v7, 0x80000000, v7
	v_lshl_add_u32 v6, v6, 23, v10
	v_or3_b32 v6, v7, v6, v3
.LBB13_984:
	s_or_b64 exec, exec, s[6:7]
	s_nop 0
	v_mfma_f32_16x16x4f32 a[0:3], v2, v6, a[0:3]
	s_movk_i32 s4, 0x7f
	v_cmp_gt_i16_sdwa s[6:7], v8, s4 src0_sel:BYTE_3 src1_sel:DWORD
	s_mov_b64 s[4:5], 0
                                        ; implicit-def: $sgpr10
	s_and_saveexec_b64 s[8:9], s[6:7]
	s_xor_b64 s[6:7], exec, s[8:9]
	s_cbranch_execnz .LBB13_3033
; %bb.985:
	s_or_saveexec_b64 s[6:7], s[6:7]
	v_mov_b32_e32 v2, s10
	s_xor_b64 exec, exec, s[6:7]
	s_cbranch_execnz .LBB13_3036
.LBB13_986:
	s_or_b64 exec, exec, s[6:7]
	s_and_saveexec_b64 s[6:7], s[4:5]
	s_cbranch_execz .LBB13_988
.LBB13_987:
	v_bfe_u32 v2, v8, 24, 3
	v_ffbh_u32_e32 v10, v2
	v_min_u32_e32 v10, 32, v10
	v_lshrrev_b32_e32 v6, 27, v8
	v_subrev_u32_e32 v11, 28, v10
	v_and_b32_e32 v3, 0x80000000, v8
	v_and_b32_e32 v6, 15, v6
	v_bfe_u32 v7, v8, 27, 4
	v_lshlrev_b32_sdwa v8, v11, v8 dst_sel:DWORD dst_unused:UNUSED_PAD src0_sel:DWORD src1_sel:BYTE_3
	v_sub_u32_e32 v10, 29, v10
	v_and_b32_e32 v8, 7, v8
	v_cmp_eq_u16_e32 vcc, 0, v6
	v_cndmask_b32_e32 v2, v2, v8, vcc
	v_cndmask_b32_e32 v6, v7, v10, vcc
	v_mov_b32_e32 v7, 0x3b800000
	v_lshlrev_b32_e32 v2, 20, v2
	v_lshl_add_u32 v6, v6, 23, v7
	v_or3_b32 v2, v3, v6, v2
.LBB13_988:
	s_or_b64 exec, exec, s[6:7]
	s_movk_i32 s4, 0x7f
	v_cmp_gt_i16_sdwa s[6:7], v4, s4 src0_sel:BYTE_3 src1_sel:DWORD
	s_mov_b64 s[4:5], 0
                                        ; implicit-def: $sgpr10
	s_and_saveexec_b64 s[8:9], s[6:7]
	s_xor_b64 s[6:7], exec, s[8:9]
	s_cbranch_execnz .LBB13_3037
; %bb.989:
	s_or_saveexec_b64 s[6:7], s[6:7]
	v_mov_b32_e32 v3, s10
	s_xor_b64 exec, exec, s[6:7]
	s_cbranch_execnz .LBB13_3040
.LBB13_990:
	s_or_b64 exec, exec, s[6:7]
	s_and_saveexec_b64 s[6:7], s[4:5]
	s_cbranch_execz .LBB13_992
.LBB13_991:
	v_bfe_u32 v3, v4, 24, 3
	v_ffbh_u32_e32 v10, v3
	v_min_u32_e32 v10, 32, v10
	v_lshrrev_b32_e32 v7, 27, v4
	v_subrev_u32_e32 v11, 28, v10
	v_and_b32_e32 v6, 0x80000000, v4
	v_and_b32_e32 v7, 15, v7
	v_bfe_u32 v8, v4, 27, 4
	v_lshlrev_b32_sdwa v4, v11, v4 dst_sel:DWORD dst_unused:UNUSED_PAD src0_sel:DWORD src1_sel:BYTE_3
	v_sub_u32_e32 v10, 29, v10
	v_and_b32_e32 v4, 7, v4
	v_cmp_eq_u16_e32 vcc, 0, v7
	v_cndmask_b32_e32 v3, v3, v4, vcc
	v_cndmask_b32_e32 v4, v8, v10, vcc
	v_mov_b32_e32 v7, 0x3b800000
	v_lshlrev_b32_e32 v3, 20, v3
	v_lshl_add_u32 v4, v4, 23, v7
	v_or3_b32 v3, v6, v4, v3
.LBB13_992:
	s_or_b64 exec, exec, s[6:7]
	s_nop 0
	v_mfma_f32_16x16x4f32 a[0:3], v2, v3, a[0:3]
	s_movk_i32 s4, 0x7f
	v_cmp_gt_i16_sdwa s[6:7], v9, s4 src0_sel:BYTE_0 src1_sel:DWORD
	s_mov_b64 s[4:5], 0
                                        ; implicit-def: $sgpr10
	s_and_saveexec_b64 s[8:9], s[6:7]
	s_xor_b64 s[6:7], exec, s[8:9]
	s_cbranch_execnz .LBB13_3041
; %bb.993:
	s_or_saveexec_b64 s[6:7], s[6:7]
	v_mov_b32_e32 v2, s10
	s_xor_b64 exec, exec, s[6:7]
	s_cbranch_execnz .LBB13_3044
.LBB13_994:
	s_or_b64 exec, exec, s[6:7]
	s_and_saveexec_b64 s[6:7], s[4:5]
	s_cbranch_execz .LBB13_996
.LBB13_995:
	v_mov_b32_e32 v2, 8
	v_and_b32_e32 v3, 7, v9
	v_lshrrev_b32_sdwa v2, v2, v9 dst_sel:BYTE_1 dst_unused:UNUSED_PAD src0_sel:DWORD src1_sel:DWORD
	v_ffbh_u32_e32 v4, v3
	v_or_b32_sdwa v2, v9, v2 dst_sel:DWORD dst_unused:UNUSED_PAD src0_sel:BYTE_0 src1_sel:DWORD
	v_min_u32_e32 v4, 32, v4
	v_lshrrev_b16_e32 v2, 3, v2
	v_subrev_u32_e32 v6, 28, v4
	v_and_b32_e32 v2, 15, v2
	v_lshlrev_b32_e32 v6, v6, v9
	v_sub_u32_e32 v4, 29, v4
	v_and_b32_e32 v6, 7, v6
	v_cmp_eq_u16_e32 vcc, 0, v2
	v_cndmask_b32_e32 v3, v3, v6, vcc
	v_cndmask_b32_e32 v2, v2, v4, vcc
	v_lshlrev_b32_e32 v4, 24, v9
	v_mov_b32_e32 v6, 0x3b800000
	v_lshlrev_b32_e32 v3, 20, v3
	v_and_b32_e32 v4, 0x80000000, v4
	v_lshl_add_u32 v2, v2, 23, v6
	v_or3_b32 v2, v4, v2, v3
.LBB13_996:
	s_or_b64 exec, exec, s[6:7]
	s_movk_i32 s4, 0x7f
	v_cmp_gt_i16_sdwa s[6:7], v5, s4 src0_sel:BYTE_0 src1_sel:DWORD
	s_mov_b64 s[4:5], 0
                                        ; implicit-def: $sgpr10
	s_and_saveexec_b64 s[8:9], s[6:7]
	s_xor_b64 s[6:7], exec, s[8:9]
	s_cbranch_execnz .LBB13_3045
; %bb.997:
	s_or_saveexec_b64 s[6:7], s[6:7]
	v_mov_b32_e32 v3, s10
	s_xor_b64 exec, exec, s[6:7]
	s_cbranch_execnz .LBB13_3048
.LBB13_998:
	s_or_b64 exec, exec, s[6:7]
	s_and_saveexec_b64 s[6:7], s[4:5]
	s_cbranch_execz .LBB13_1000
.LBB13_999:
	v_mov_b32_e32 v3, 8
	v_and_b32_e32 v4, 7, v5
	v_lshrrev_b32_sdwa v3, v3, v5 dst_sel:BYTE_1 dst_unused:UNUSED_PAD src0_sel:DWORD src1_sel:DWORD
	v_ffbh_u32_e32 v6, v4
	v_or_b32_sdwa v3, v5, v3 dst_sel:DWORD dst_unused:UNUSED_PAD src0_sel:BYTE_0 src1_sel:DWORD
	v_min_u32_e32 v6, 32, v6
	v_lshrrev_b16_e32 v3, 3, v3
	v_subrev_u32_e32 v7, 28, v6
	v_and_b32_e32 v3, 15, v3
	v_lshlrev_b32_e32 v7, v7, v5
	v_sub_u32_e32 v6, 29, v6
	v_and_b32_e32 v7, 7, v7
	v_cmp_eq_u16_e32 vcc, 0, v3
	v_cndmask_b32_e32 v4, v4, v7, vcc
	v_cndmask_b32_e32 v3, v3, v6, vcc
	v_lshlrev_b32_e32 v6, 24, v5
	v_mov_b32_e32 v7, 0x3b800000
	v_lshlrev_b32_e32 v4, 20, v4
	v_and_b32_e32 v6, 0x80000000, v6
	v_lshl_add_u32 v3, v3, 23, v7
	v_or3_b32 v3, v6, v3, v4
.LBB13_1000:
	s_or_b64 exec, exec, s[6:7]
	s_nop 0
	v_mfma_f32_16x16x4f32 a[0:3], v2, v3, a[0:3]
	v_lshrrev_b32_e32 v3, 8, v9
	s_movk_i32 s4, 0x7f
	v_cmp_gt_i16_sdwa s[6:7], v3, s4 src0_sel:BYTE_0 src1_sel:DWORD
	s_mov_b64 s[4:5], 0
                                        ; implicit-def: $sgpr10
	s_and_saveexec_b64 s[8:9], s[6:7]
	s_xor_b64 s[6:7], exec, s[8:9]
	s_cbranch_execnz .LBB13_3049
; %bb.1001:
	s_or_saveexec_b64 s[6:7], s[6:7]
	v_mov_b32_e32 v2, s10
	s_xor_b64 exec, exec, s[6:7]
	s_cbranch_execnz .LBB13_3052
.LBB13_1002:
	s_or_b64 exec, exec, s[6:7]
	s_and_saveexec_b64 s[6:7], s[4:5]
	s_cbranch_execz .LBB13_1004
.LBB13_1003:
	v_bfe_u32 v2, v9, 8, 3
	v_ffbh_u32_e32 v6, v2
	v_min_u32_e32 v6, 32, v6
	v_lshrrev_b16_e32 v4, 3, v3
	v_subrev_u32_e32 v7, 28, v6
	v_and_b32_e32 v4, 15, v4
	v_lshlrev_b32_e32 v3, v7, v3
	v_sub_u32_e32 v6, 29, v6
	v_and_b32_e32 v3, 7, v3
	v_cmp_eq_u16_e32 vcc, 0, v4
	v_cndmask_b32_e32 v2, v2, v3, vcc
	v_cndmask_b32_e32 v3, v4, v6, vcc
	v_lshlrev_b32_e32 v4, 16, v9
	v_mov_b32_e32 v6, 0x3b800000
	v_lshlrev_b32_e32 v2, 20, v2
	v_and_b32_e32 v4, 0x80000000, v4
	v_lshl_add_u32 v3, v3, 23, v6
	v_or3_b32 v2, v4, v3, v2
.LBB13_1004:
	s_or_b64 exec, exec, s[6:7]
	v_lshrrev_b32_e32 v3, 8, v5
	s_movk_i32 s4, 0x7f
	v_cmp_gt_i16_sdwa s[6:7], v3, s4 src0_sel:BYTE_0 src1_sel:DWORD
	s_mov_b64 s[4:5], 0
                                        ; implicit-def: $sgpr10
	s_and_saveexec_b64 s[8:9], s[6:7]
	s_xor_b64 s[6:7], exec, s[8:9]
	s_cbranch_execnz .LBB13_3053
; %bb.1005:
	s_or_saveexec_b64 s[6:7], s[6:7]
	v_mov_b32_e32 v4, s10
	s_xor_b64 exec, exec, s[6:7]
	s_cbranch_execnz .LBB13_3056
.LBB13_1006:
	s_or_b64 exec, exec, s[6:7]
	s_and_saveexec_b64 s[6:7], s[4:5]
	s_cbranch_execz .LBB13_1008
.LBB13_1007:
	v_bfe_u32 v4, v5, 8, 3
	v_ffbh_u32_e32 v7, v4
	v_min_u32_e32 v7, 32, v7
	v_lshrrev_b16_e32 v6, 3, v3
	v_subrev_u32_e32 v8, 28, v7
	v_and_b32_e32 v6, 15, v6
	v_lshlrev_b32_e32 v3, v8, v3
	v_sub_u32_e32 v7, 29, v7
	v_and_b32_e32 v3, 7, v3
	v_cmp_eq_u16_e32 vcc, 0, v6
	v_cndmask_b32_e32 v3, v4, v3, vcc
	v_cndmask_b32_e32 v4, v6, v7, vcc
	v_lshlrev_b32_e32 v6, 16, v5
	v_mov_b32_e32 v7, 0x3b800000
	v_lshlrev_b32_e32 v3, 20, v3
	v_and_b32_e32 v6, 0x80000000, v6
	v_lshl_add_u32 v4, v4, 23, v7
	v_or3_b32 v4, v6, v4, v3
.LBB13_1008:
	s_or_b64 exec, exec, s[6:7]
	s_nop 0
	v_mfma_f32_16x16x4f32 a[0:3], v2, v4, a[0:3]
	s_movk_i32 s4, 0xff
	v_and_b32_sdwa v3, v9, s4 dst_sel:DWORD dst_unused:UNUSED_PAD src0_sel:WORD_1 src1_sel:DWORD
	s_movk_i32 s4, 0x7f
	v_cmp_lt_i16_e32 vcc, s4, v3
	s_mov_b64 s[4:5], 0
                                        ; implicit-def: $sgpr10
	s_and_saveexec_b64 s[6:7], vcc
	s_xor_b64 s[6:7], exec, s[6:7]
	s_cbranch_execnz .LBB13_3057
; %bb.1009:
	s_or_saveexec_b64 s[6:7], s[6:7]
	v_mov_b32_e32 v2, s10
	s_xor_b64 exec, exec, s[6:7]
	s_cbranch_execnz .LBB13_3060
.LBB13_1010:
	s_or_b64 exec, exec, s[6:7]
	s_and_saveexec_b64 s[6:7], s[4:5]
	s_cbranch_execz .LBB13_1012
.LBB13_1011:
	v_bfe_u32 v2, v9, 16, 3
	v_ffbh_u32_e32 v6, v2
	v_min_u32_e32 v6, 32, v6
	v_lshrrev_b32_e32 v3, 19, v9
	v_subrev_u32_e32 v7, 28, v6
	v_and_b32_e32 v3, 15, v3
	v_lshlrev_b32_sdwa v7, v7, v9 dst_sel:DWORD dst_unused:UNUSED_PAD src0_sel:DWORD src1_sel:WORD_1
	v_bfe_u32 v4, v9, 19, 4
	v_sub_u32_e32 v6, 29, v6
	v_and_b32_e32 v7, 7, v7
	v_cmp_eq_u16_e32 vcc, 0, v3
	v_cndmask_b32_e32 v2, v2, v7, vcc
	v_cndmask_b32_e32 v3, v4, v6, vcc
	v_lshlrev_b32_e32 v4, 8, v9
	v_mov_b32_e32 v6, 0x3b800000
	v_lshlrev_b32_e32 v2, 20, v2
	v_and_b32_e32 v4, 0x80000000, v4
	v_lshl_add_u32 v3, v3, 23, v6
	v_or3_b32 v2, v4, v3, v2
.LBB13_1012:
	s_or_b64 exec, exec, s[6:7]
	s_movk_i32 s4, 0xff
	v_and_b32_sdwa v3, v5, s4 dst_sel:DWORD dst_unused:UNUSED_PAD src0_sel:WORD_1 src1_sel:DWORD
	s_movk_i32 s4, 0x7f
	v_cmp_lt_i16_e32 vcc, s4, v3
	s_mov_b64 s[4:5], 0
                                        ; implicit-def: $sgpr10
	s_and_saveexec_b64 s[6:7], vcc
	s_xor_b64 s[6:7], exec, s[6:7]
	s_cbranch_execnz .LBB13_3061
; %bb.1013:
	s_or_saveexec_b64 s[6:7], s[6:7]
	v_mov_b32_e32 v4, s10
	s_xor_b64 exec, exec, s[6:7]
	s_cbranch_execnz .LBB13_3064
.LBB13_1014:
	s_or_b64 exec, exec, s[6:7]
	s_and_saveexec_b64 s[6:7], s[4:5]
	s_cbranch_execz .LBB13_1016
.LBB13_1015:
	v_bfe_u32 v3, v5, 16, 3
	v_ffbh_u32_e32 v7, v3
	v_min_u32_e32 v7, 32, v7
	v_lshrrev_b32_e32 v4, 19, v5
	v_subrev_u32_e32 v8, 28, v7
	v_and_b32_e32 v4, 15, v4
	v_lshlrev_b32_sdwa v8, v8, v5 dst_sel:DWORD dst_unused:UNUSED_PAD src0_sel:DWORD src1_sel:WORD_1
	v_bfe_u32 v6, v5, 19, 4
	v_sub_u32_e32 v7, 29, v7
	v_and_b32_e32 v8, 7, v8
	v_cmp_eq_u16_e32 vcc, 0, v4
	v_cndmask_b32_e32 v3, v3, v8, vcc
	v_cndmask_b32_e32 v4, v6, v7, vcc
	v_lshlrev_b32_e32 v6, 8, v5
	v_mov_b32_e32 v7, 0x3b800000
	v_lshlrev_b32_e32 v3, 20, v3
	v_and_b32_e32 v6, 0x80000000, v6
	v_lshl_add_u32 v4, v4, 23, v7
	v_or3_b32 v4, v6, v4, v3
.LBB13_1016:
	s_or_b64 exec, exec, s[6:7]
	s_nop 0
	v_mfma_f32_16x16x4f32 a[0:3], v2, v4, a[0:3]
	s_movk_i32 s4, 0x7f
	v_cmp_gt_i16_sdwa s[6:7], v9, s4 src0_sel:BYTE_3 src1_sel:DWORD
	s_mov_b64 s[4:5], 0
                                        ; implicit-def: $sgpr10
	s_and_saveexec_b64 s[8:9], s[6:7]
	s_xor_b64 s[6:7], exec, s[8:9]
	s_cbranch_execnz .LBB13_3065
; %bb.1017:
	s_or_saveexec_b64 s[6:7], s[6:7]
	v_mov_b32_e32 v2, s10
	s_xor_b64 exec, exec, s[6:7]
	s_cbranch_execnz .LBB13_3068
.LBB13_1018:
	s_or_b64 exec, exec, s[6:7]
	s_and_saveexec_b64 s[6:7], s[4:5]
	s_cbranch_execz .LBB13_1020
.LBB13_1019:
	v_bfe_u32 v2, v9, 24, 3
	v_ffbh_u32_e32 v7, v2
	v_min_u32_e32 v7, 32, v7
	v_lshrrev_b32_e32 v4, 27, v9
	v_subrev_u32_e32 v8, 28, v7
	v_and_b32_e32 v4, 15, v4
	v_lshlrev_b32_sdwa v8, v8, v9 dst_sel:DWORD dst_unused:UNUSED_PAD src0_sel:DWORD src1_sel:BYTE_3
	v_bfe_u32 v6, v9, 27, 4
	v_sub_u32_e32 v7, 29, v7
	v_and_b32_e32 v8, 7, v8
	v_cmp_eq_u16_e32 vcc, 0, v4
	v_cndmask_b32_e32 v2, v2, v8, vcc
	v_cndmask_b32_e32 v4, v6, v7, vcc
	v_mov_b32_e32 v6, 0x3b800000
	v_and_b32_e32 v3, 0x80000000, v9
	v_lshlrev_b32_e32 v2, 20, v2
	v_lshl_add_u32 v4, v4, 23, v6
	v_or3_b32 v2, v3, v4, v2
.LBB13_1020:
	s_or_b64 exec, exec, s[6:7]
	s_movk_i32 s4, 0x7f
	v_cmp_gt_i16_sdwa s[6:7], v5, s4 src0_sel:BYTE_3 src1_sel:DWORD
	s_mov_b64 s[4:5], 0
                                        ; implicit-def: $sgpr10
	s_and_saveexec_b64 s[8:9], s[6:7]
	s_xor_b64 s[6:7], exec, s[8:9]
	s_cbranch_execnz .LBB13_3069
; %bb.1021:
	s_or_saveexec_b64 s[6:7], s[6:7]
	v_mov_b32_e32 v3, s10
	s_xor_b64 exec, exec, s[6:7]
	s_cbranch_execnz .LBB13_3072
.LBB13_1022:
	s_or_b64 exec, exec, s[6:7]
	s_and_saveexec_b64 s[6:7], s[4:5]
	s_cbranch_execz .LBB13_1024
.LBB13_1023:
	v_bfe_u32 v3, v5, 24, 3
	v_ffbh_u32_e32 v8, v3
	v_min_u32_e32 v8, 32, v8
	v_lshrrev_b32_e32 v6, 27, v5
	v_subrev_u32_e32 v9, 28, v8
	v_and_b32_e32 v4, 0x80000000, v5
	v_and_b32_e32 v6, 15, v6
	v_bfe_u32 v7, v5, 27, 4
	v_lshlrev_b32_sdwa v5, v9, v5 dst_sel:DWORD dst_unused:UNUSED_PAD src0_sel:DWORD src1_sel:BYTE_3
	v_sub_u32_e32 v8, 29, v8
	v_and_b32_e32 v5, 7, v5
	v_cmp_eq_u16_e32 vcc, 0, v6
	v_cndmask_b32_e32 v3, v3, v5, vcc
	v_cndmask_b32_e32 v5, v7, v8, vcc
	v_mov_b32_e32 v6, 0x3b800000
	v_lshlrev_b32_e32 v3, 20, v3
	v_lshl_add_u32 v5, v5, 23, v6
	v_or3_b32 v3, v4, v5, v3
.LBB13_1024:
	s_or_b64 exec, exec, s[6:7]
	s_nop 0
	v_mfma_f32_16x16x4f32 a[0:3], v2, v3, a[0:3]
	s_movk_i32 s4, 0x7f
                                        ; implicit-def: $sgpr10
	s_nop 7
	s_nop 1
	flat_store_dwordx4 v[18:19], a[0:3] offset:432
	flat_load_dwordx4 v[20:23], v[0:1] offset:16
	s_nop 0
	flat_load_dwordx2 v[18:19], v[0:1] offset:32
	s_waitcnt vmcnt(0) lgkmcnt(0)
	flat_load_dwordx4 v[14:17], v[20:21] offset:32
	flat_load_dwordx4 v[6:9], v[20:21] offset:48
	;; [unrolled: 1-line block ×4, first 2 shown]
	s_waitcnt vmcnt(0) lgkmcnt(0)
	v_cmp_gt_i16_sdwa s[6:7], v14, s4 src0_sel:BYTE_0 src1_sel:DWORD
	s_mov_b64 s[4:5], 0
	s_and_saveexec_b64 s[8:9], s[6:7]
	s_xor_b64 s[6:7], exec, s[8:9]
	s_cbranch_execnz .LBB13_3073
; %bb.1025:
	s_or_saveexec_b64 s[6:7], s[6:7]
	v_mov_b32_e32 v20, s10
	s_xor_b64 exec, exec, s[6:7]
	s_cbranch_execnz .LBB13_3076
.LBB13_1026:
	s_or_b64 exec, exec, s[6:7]
	s_and_saveexec_b64 s[6:7], s[4:5]
	s_cbranch_execz .LBB13_1028
.LBB13_1027:
	v_and_b32_e32 v20, 7, v14
	v_ffbh_u32_e32 v22, v20
	v_min_u32_e32 v22, 32, v22
	v_lshrrev_b16_e32 v21, 3, v14
	v_subrev_u32_e32 v23, 28, v22
	v_and_b32_e32 v21, 15, v21
	v_lshlrev_b32_e32 v23, v23, v14
	v_sub_u32_e32 v22, 29, v22
	v_and_b32_e32 v23, 7, v23
	v_cmp_eq_u16_e32 vcc, 0, v21
	v_cndmask_b32_e32 v20, v20, v23, vcc
	v_cndmask_b32_e32 v21, v21, v22, vcc
	v_lshlrev_b32_e32 v22, 24, v14
	v_mov_b32_e32 v23, 0x3b800000
	v_lshlrev_b32_e32 v20, 20, v20
	v_and_b32_e32 v22, 0x80000000, v22
	v_lshl_add_u32 v21, v21, 23, v23
	v_or3_b32 v20, v22, v21, v20
.LBB13_1028:
	s_or_b64 exec, exec, s[6:7]
	s_movk_i32 s4, 0x7f
	v_cmp_gt_i16_sdwa s[6:7], v10, s4 src0_sel:BYTE_0 src1_sel:DWORD
	s_mov_b64 s[4:5], 0
                                        ; implicit-def: $sgpr10
	s_and_saveexec_b64 s[8:9], s[6:7]
	s_xor_b64 s[6:7], exec, s[8:9]
	s_cbranch_execnz .LBB13_3077
; %bb.1029:
	s_or_saveexec_b64 s[6:7], s[6:7]
	v_mov_b32_e32 v21, s10
	s_xor_b64 exec, exec, s[6:7]
	s_cbranch_execnz .LBB13_3080
.LBB13_1030:
	s_or_b64 exec, exec, s[6:7]
	s_and_saveexec_b64 s[6:7], s[4:5]
	s_cbranch_execz .LBB13_1032
.LBB13_1031:
	v_and_b32_e32 v21, 7, v10
	v_ffbh_u32_e32 v23, v21
	v_min_u32_e32 v23, 32, v23
	v_lshrrev_b16_e32 v22, 3, v10
	v_subrev_u32_e32 v24, 28, v23
	v_and_b32_e32 v22, 15, v22
	v_lshlrev_b32_e32 v24, v24, v10
	v_sub_u32_e32 v23, 29, v23
	v_and_b32_e32 v24, 7, v24
	v_cmp_eq_u16_e32 vcc, 0, v22
	v_cndmask_b32_e32 v21, v21, v24, vcc
	v_cndmask_b32_e32 v22, v22, v23, vcc
	v_lshlrev_b32_e32 v23, 24, v10
	v_mov_b32_e32 v24, 0x3b800000
	v_lshlrev_b32_e32 v21, 20, v21
	v_and_b32_e32 v23, 0x80000000, v23
	v_lshl_add_u32 v22, v22, 23, v24
	v_or3_b32 v21, v23, v22, v21
.LBB13_1032:
	s_or_b64 exec, exec, s[6:7]
	flat_load_dwordx4 a[0:3], v[18:19] offset:448
	s_movk_i32 s4, 0x7f
                                        ; implicit-def: $sgpr10
	s_waitcnt vmcnt(0) lgkmcnt(0)
	v_mfma_f32_16x16x4f32 a[0:3], v20, v21, a[0:3]
	v_lshrrev_b32_e32 v21, 8, v14
	v_cmp_gt_i16_sdwa s[6:7], v21, s4 src0_sel:BYTE_0 src1_sel:DWORD
	s_mov_b64 s[4:5], 0
	s_and_saveexec_b64 s[8:9], s[6:7]
	s_xor_b64 s[6:7], exec, s[8:9]
	s_cbranch_execnz .LBB13_3081
; %bb.1033:
	s_or_saveexec_b64 s[6:7], s[6:7]
	v_mov_b32_e32 v20, s10
	s_xor_b64 exec, exec, s[6:7]
	s_cbranch_execnz .LBB13_3084
.LBB13_1034:
	s_or_b64 exec, exec, s[6:7]
	s_and_saveexec_b64 s[6:7], s[4:5]
	s_cbranch_execz .LBB13_1036
.LBB13_1035:
	v_bfe_u32 v20, v14, 8, 3
	v_ffbh_u32_e32 v23, v20
	v_min_u32_e32 v23, 32, v23
	v_lshrrev_b16_e32 v22, 3, v21
	v_subrev_u32_e32 v24, 28, v23
	v_and_b32_e32 v22, 15, v22
	v_lshlrev_b32_e32 v21, v24, v21
	v_sub_u32_e32 v23, 29, v23
	v_and_b32_e32 v21, 7, v21
	v_cmp_eq_u16_e32 vcc, 0, v22
	v_cndmask_b32_e32 v20, v20, v21, vcc
	v_cndmask_b32_e32 v21, v22, v23, vcc
	v_lshlrev_b32_e32 v22, 16, v14
	v_mov_b32_e32 v23, 0x3b800000
	v_lshlrev_b32_e32 v20, 20, v20
	v_and_b32_e32 v22, 0x80000000, v22
	v_lshl_add_u32 v21, v21, 23, v23
	v_or3_b32 v20, v22, v21, v20
.LBB13_1036:
	s_or_b64 exec, exec, s[6:7]
	v_lshrrev_b32_e32 v21, 8, v10
	s_movk_i32 s4, 0x7f
	v_cmp_gt_i16_sdwa s[6:7], v21, s4 src0_sel:BYTE_0 src1_sel:DWORD
	s_mov_b64 s[4:5], 0
                                        ; implicit-def: $sgpr10
	s_and_saveexec_b64 s[8:9], s[6:7]
	s_xor_b64 s[6:7], exec, s[8:9]
	s_cbranch_execnz .LBB13_3085
; %bb.1037:
	s_or_saveexec_b64 s[6:7], s[6:7]
	v_mov_b32_e32 v22, s10
	s_xor_b64 exec, exec, s[6:7]
	s_cbranch_execnz .LBB13_3088
.LBB13_1038:
	s_or_b64 exec, exec, s[6:7]
	s_and_saveexec_b64 s[6:7], s[4:5]
	s_cbranch_execz .LBB13_1040
.LBB13_1039:
	v_bfe_u32 v22, v10, 8, 3
	v_ffbh_u32_e32 v24, v22
	v_min_u32_e32 v24, 32, v24
	v_lshrrev_b16_e32 v23, 3, v21
	v_subrev_u32_e32 v25, 28, v24
	v_and_b32_e32 v23, 15, v23
	v_lshlrev_b32_e32 v21, v25, v21
	v_sub_u32_e32 v24, 29, v24
	v_and_b32_e32 v21, 7, v21
	v_cmp_eq_u16_e32 vcc, 0, v23
	v_cndmask_b32_e32 v21, v22, v21, vcc
	v_cndmask_b32_e32 v22, v23, v24, vcc
	v_lshlrev_b32_e32 v23, 16, v10
	v_mov_b32_e32 v24, 0x3b800000
	v_lshlrev_b32_e32 v21, 20, v21
	v_and_b32_e32 v23, 0x80000000, v23
	v_lshl_add_u32 v22, v22, 23, v24
	v_or3_b32 v22, v23, v22, v21
.LBB13_1040:
	s_or_b64 exec, exec, s[6:7]
	s_nop 0
	v_mfma_f32_16x16x4f32 a[0:3], v20, v22, a[0:3]
	s_movk_i32 s4, 0xff
	v_and_b32_sdwa v21, v14, s4 dst_sel:DWORD dst_unused:UNUSED_PAD src0_sel:WORD_1 src1_sel:DWORD
	s_movk_i32 s4, 0x7f
	v_cmp_lt_i16_e32 vcc, s4, v21
	s_mov_b64 s[4:5], 0
                                        ; implicit-def: $sgpr10
	s_and_saveexec_b64 s[6:7], vcc
	s_xor_b64 s[6:7], exec, s[6:7]
	s_cbranch_execnz .LBB13_3089
; %bb.1041:
	s_or_saveexec_b64 s[6:7], s[6:7]
	v_mov_b32_e32 v20, s10
	s_xor_b64 exec, exec, s[6:7]
	s_cbranch_execnz .LBB13_3092
.LBB13_1042:
	s_or_b64 exec, exec, s[6:7]
	s_and_saveexec_b64 s[6:7], s[4:5]
	s_cbranch_execz .LBB13_1044
.LBB13_1043:
	v_bfe_u32 v20, v14, 16, 3
	v_ffbh_u32_e32 v23, v20
	v_min_u32_e32 v23, 32, v23
	v_lshrrev_b32_e32 v21, 19, v14
	v_subrev_u32_e32 v24, 28, v23
	v_and_b32_e32 v21, 15, v21
	v_lshlrev_b32_sdwa v24, v24, v14 dst_sel:DWORD dst_unused:UNUSED_PAD src0_sel:DWORD src1_sel:WORD_1
	v_bfe_u32 v22, v14, 19, 4
	v_sub_u32_e32 v23, 29, v23
	v_and_b32_e32 v24, 7, v24
	v_cmp_eq_u16_e32 vcc, 0, v21
	v_cndmask_b32_e32 v20, v20, v24, vcc
	v_cndmask_b32_e32 v21, v22, v23, vcc
	v_lshlrev_b32_e32 v22, 8, v14
	v_mov_b32_e32 v23, 0x3b800000
	v_lshlrev_b32_e32 v20, 20, v20
	v_and_b32_e32 v22, 0x80000000, v22
	v_lshl_add_u32 v21, v21, 23, v23
	v_or3_b32 v20, v22, v21, v20
.LBB13_1044:
	s_or_b64 exec, exec, s[6:7]
	s_movk_i32 s4, 0xff
	v_and_b32_sdwa v21, v10, s4 dst_sel:DWORD dst_unused:UNUSED_PAD src0_sel:WORD_1 src1_sel:DWORD
	s_movk_i32 s4, 0x7f
	v_cmp_lt_i16_e32 vcc, s4, v21
	s_mov_b64 s[4:5], 0
                                        ; implicit-def: $sgpr10
	s_and_saveexec_b64 s[6:7], vcc
	s_xor_b64 s[6:7], exec, s[6:7]
	s_cbranch_execnz .LBB13_3093
; %bb.1045:
	s_or_saveexec_b64 s[6:7], s[6:7]
	v_mov_b32_e32 v22, s10
	s_xor_b64 exec, exec, s[6:7]
	s_cbranch_execnz .LBB13_3096
.LBB13_1046:
	s_or_b64 exec, exec, s[6:7]
	s_and_saveexec_b64 s[6:7], s[4:5]
	s_cbranch_execz .LBB13_1048
.LBB13_1047:
	v_bfe_u32 v21, v10, 16, 3
	v_ffbh_u32_e32 v24, v21
	v_min_u32_e32 v24, 32, v24
	v_lshrrev_b32_e32 v22, 19, v10
	v_subrev_u32_e32 v25, 28, v24
	v_and_b32_e32 v22, 15, v22
	v_lshlrev_b32_sdwa v25, v25, v10 dst_sel:DWORD dst_unused:UNUSED_PAD src0_sel:DWORD src1_sel:WORD_1
	v_bfe_u32 v23, v10, 19, 4
	v_sub_u32_e32 v24, 29, v24
	v_and_b32_e32 v25, 7, v25
	v_cmp_eq_u16_e32 vcc, 0, v22
	v_cndmask_b32_e32 v21, v21, v25, vcc
	v_cndmask_b32_e32 v22, v23, v24, vcc
	v_lshlrev_b32_e32 v23, 8, v10
	v_mov_b32_e32 v24, 0x3b800000
	v_lshlrev_b32_e32 v21, 20, v21
	v_and_b32_e32 v23, 0x80000000, v23
	v_lshl_add_u32 v22, v22, 23, v24
	v_or3_b32 v22, v23, v22, v21
.LBB13_1048:
	s_or_b64 exec, exec, s[6:7]
	s_nop 0
	v_mfma_f32_16x16x4f32 a[0:3], v20, v22, a[0:3]
	s_movk_i32 s4, 0x7f
	v_cmp_gt_i16_sdwa s[6:7], v14, s4 src0_sel:BYTE_3 src1_sel:DWORD
	s_mov_b64 s[4:5], 0
                                        ; implicit-def: $sgpr10
	s_and_saveexec_b64 s[8:9], s[6:7]
	s_xor_b64 s[6:7], exec, s[8:9]
	s_cbranch_execnz .LBB13_3097
; %bb.1049:
	s_or_saveexec_b64 s[6:7], s[6:7]
	v_mov_b32_e32 v20, s10
	s_xor_b64 exec, exec, s[6:7]
	s_cbranch_execnz .LBB13_3100
.LBB13_1050:
	s_or_b64 exec, exec, s[6:7]
	s_and_saveexec_b64 s[6:7], s[4:5]
	s_cbranch_execz .LBB13_1052
.LBB13_1051:
	v_bfe_u32 v20, v14, 24, 3
	v_ffbh_u32_e32 v24, v20
	v_min_u32_e32 v24, 32, v24
	v_lshrrev_b32_e32 v22, 27, v14
	v_subrev_u32_e32 v25, 28, v24
	v_and_b32_e32 v21, 0x80000000, v14
	v_and_b32_e32 v22, 15, v22
	v_bfe_u32 v23, v14, 27, 4
	v_lshlrev_b32_sdwa v14, v25, v14 dst_sel:DWORD dst_unused:UNUSED_PAD src0_sel:DWORD src1_sel:BYTE_3
	v_sub_u32_e32 v24, 29, v24
	v_and_b32_e32 v14, 7, v14
	v_cmp_eq_u16_e32 vcc, 0, v22
	v_cndmask_b32_e32 v14, v20, v14, vcc
	v_cndmask_b32_e32 v20, v23, v24, vcc
	v_mov_b32_e32 v22, 0x3b800000
	v_lshlrev_b32_e32 v14, 20, v14
	v_lshl_add_u32 v20, v20, 23, v22
	v_or3_b32 v20, v21, v20, v14
.LBB13_1052:
	s_or_b64 exec, exec, s[6:7]
	s_movk_i32 s4, 0x7f
	v_cmp_gt_i16_sdwa s[6:7], v10, s4 src0_sel:BYTE_3 src1_sel:DWORD
	s_mov_b64 s[4:5], 0
                                        ; implicit-def: $sgpr10
	s_and_saveexec_b64 s[8:9], s[6:7]
	s_xor_b64 s[6:7], exec, s[8:9]
	s_cbranch_execnz .LBB13_3101
; %bb.1053:
	s_or_saveexec_b64 s[6:7], s[6:7]
	v_mov_b32_e32 v14, s10
	s_xor_b64 exec, exec, s[6:7]
	s_cbranch_execnz .LBB13_3104
.LBB13_1054:
	s_or_b64 exec, exec, s[6:7]
	s_and_saveexec_b64 s[6:7], s[4:5]
	s_cbranch_execz .LBB13_1056
.LBB13_1055:
	v_bfe_u32 v14, v10, 24, 3
	v_ffbh_u32_e32 v24, v14
	v_min_u32_e32 v24, 32, v24
	v_lshrrev_b32_e32 v22, 27, v10
	v_subrev_u32_e32 v25, 28, v24
	v_and_b32_e32 v21, 0x80000000, v10
	v_and_b32_e32 v22, 15, v22
	v_bfe_u32 v23, v10, 27, 4
	v_lshlrev_b32_sdwa v10, v25, v10 dst_sel:DWORD dst_unused:UNUSED_PAD src0_sel:DWORD src1_sel:BYTE_3
	v_sub_u32_e32 v24, 29, v24
	v_and_b32_e32 v10, 7, v10
	v_cmp_eq_u16_e32 vcc, 0, v22
	v_cndmask_b32_e32 v10, v14, v10, vcc
	v_cndmask_b32_e32 v14, v23, v24, vcc
	v_mov_b32_e32 v22, 0x3b800000
	v_lshlrev_b32_e32 v10, 20, v10
	v_lshl_add_u32 v14, v14, 23, v22
	v_or3_b32 v14, v21, v14, v10
.LBB13_1056:
	s_or_b64 exec, exec, s[6:7]
	s_nop 0
	v_mfma_f32_16x16x4f32 a[0:3], v20, v14, a[0:3]
	s_movk_i32 s4, 0x7f
	v_cmp_gt_i16_sdwa s[6:7], v15, s4 src0_sel:BYTE_0 src1_sel:DWORD
	s_mov_b64 s[4:5], 0
                                        ; implicit-def: $sgpr10
	s_and_saveexec_b64 s[8:9], s[6:7]
	s_xor_b64 s[6:7], exec, s[8:9]
	s_cbranch_execnz .LBB13_3105
; %bb.1057:
	s_or_saveexec_b64 s[6:7], s[6:7]
	v_mov_b32_e32 v10, s10
	s_xor_b64 exec, exec, s[6:7]
	s_cbranch_execnz .LBB13_3108
.LBB13_1058:
	s_or_b64 exec, exec, s[6:7]
	s_and_saveexec_b64 s[6:7], s[4:5]
	s_cbranch_execz .LBB13_1060
.LBB13_1059:
	v_and_b32_e32 v10, 7, v15
	v_ffbh_u32_e32 v20, v10
	v_min_u32_e32 v20, 32, v20
	v_lshrrev_b16_e32 v14, 3, v15
	v_subrev_u32_e32 v21, 28, v20
	v_and_b32_e32 v14, 15, v14
	v_lshlrev_b32_e32 v21, v21, v15
	v_sub_u32_e32 v20, 29, v20
	v_and_b32_e32 v21, 7, v21
	v_cmp_eq_u16_e32 vcc, 0, v14
	v_cndmask_b32_e32 v10, v10, v21, vcc
	v_cndmask_b32_e32 v14, v14, v20, vcc
	v_lshlrev_b32_e32 v20, 24, v15
	v_mov_b32_e32 v21, 0x3b800000
	v_lshlrev_b32_e32 v10, 20, v10
	v_and_b32_e32 v20, 0x80000000, v20
	v_lshl_add_u32 v14, v14, 23, v21
	v_or3_b32 v10, v20, v14, v10
.LBB13_1060:
	s_or_b64 exec, exec, s[6:7]
	s_movk_i32 s4, 0x7f
	v_cmp_gt_i16_sdwa s[6:7], v11, s4 src0_sel:BYTE_0 src1_sel:DWORD
	s_mov_b64 s[4:5], 0
                                        ; implicit-def: $sgpr10
	s_and_saveexec_b64 s[8:9], s[6:7]
	s_xor_b64 s[6:7], exec, s[8:9]
	s_cbranch_execnz .LBB13_3109
; %bb.1061:
	s_or_saveexec_b64 s[6:7], s[6:7]
	v_mov_b32_e32 v14, s10
	s_xor_b64 exec, exec, s[6:7]
	s_cbranch_execnz .LBB13_3112
.LBB13_1062:
	s_or_b64 exec, exec, s[6:7]
	s_and_saveexec_b64 s[6:7], s[4:5]
	s_cbranch_execz .LBB13_1064
.LBB13_1063:
	v_and_b32_e32 v14, 7, v11
	v_ffbh_u32_e32 v21, v14
	v_min_u32_e32 v21, 32, v21
	v_lshrrev_b16_e32 v20, 3, v11
	v_subrev_u32_e32 v22, 28, v21
	v_and_b32_e32 v20, 15, v20
	v_lshlrev_b32_e32 v22, v22, v11
	v_sub_u32_e32 v21, 29, v21
	v_and_b32_e32 v22, 7, v22
	v_cmp_eq_u16_e32 vcc, 0, v20
	v_cndmask_b32_e32 v14, v14, v22, vcc
	v_cndmask_b32_e32 v20, v20, v21, vcc
	v_lshlrev_b32_e32 v21, 24, v11
	v_mov_b32_e32 v22, 0x3b800000
	v_lshlrev_b32_e32 v14, 20, v14
	v_and_b32_e32 v21, 0x80000000, v21
	v_lshl_add_u32 v20, v20, 23, v22
	v_or3_b32 v14, v21, v20, v14
.LBB13_1064:
	s_or_b64 exec, exec, s[6:7]
	s_nop 0
	v_mfma_f32_16x16x4f32 a[0:3], v10, v14, a[0:3]
	v_lshrrev_b32_e32 v14, 8, v15
	s_movk_i32 s4, 0x7f
	v_cmp_gt_i16_sdwa s[6:7], v14, s4 src0_sel:BYTE_0 src1_sel:DWORD
	s_mov_b64 s[4:5], 0
                                        ; implicit-def: $sgpr10
	s_and_saveexec_b64 s[8:9], s[6:7]
	s_xor_b64 s[6:7], exec, s[8:9]
	s_cbranch_execnz .LBB13_3113
; %bb.1065:
	s_or_saveexec_b64 s[6:7], s[6:7]
	v_mov_b32_e32 v10, s10
	s_xor_b64 exec, exec, s[6:7]
	s_cbranch_execnz .LBB13_3116
.LBB13_1066:
	s_or_b64 exec, exec, s[6:7]
	s_and_saveexec_b64 s[6:7], s[4:5]
	s_cbranch_execz .LBB13_1068
.LBB13_1067:
	v_bfe_u32 v10, v15, 8, 3
	v_ffbh_u32_e32 v21, v10
	v_min_u32_e32 v21, 32, v21
	v_lshrrev_b16_e32 v20, 3, v14
	v_subrev_u32_e32 v22, 28, v21
	v_and_b32_e32 v20, 15, v20
	v_lshlrev_b32_e32 v14, v22, v14
	v_sub_u32_e32 v21, 29, v21
	v_and_b32_e32 v14, 7, v14
	v_cmp_eq_u16_e32 vcc, 0, v20
	v_cndmask_b32_e32 v10, v10, v14, vcc
	v_cndmask_b32_e32 v14, v20, v21, vcc
	v_lshlrev_b32_e32 v20, 16, v15
	v_mov_b32_e32 v21, 0x3b800000
	v_lshlrev_b32_e32 v10, 20, v10
	v_and_b32_e32 v20, 0x80000000, v20
	v_lshl_add_u32 v14, v14, 23, v21
	v_or3_b32 v10, v20, v14, v10
.LBB13_1068:
	s_or_b64 exec, exec, s[6:7]
	v_lshrrev_b32_e32 v14, 8, v11
	s_movk_i32 s4, 0x7f
	v_cmp_gt_i16_sdwa s[6:7], v14, s4 src0_sel:BYTE_0 src1_sel:DWORD
	s_mov_b64 s[4:5], 0
                                        ; implicit-def: $sgpr10
	s_and_saveexec_b64 s[8:9], s[6:7]
	s_xor_b64 s[6:7], exec, s[8:9]
	s_cbranch_execnz .LBB13_3117
; %bb.1069:
	s_or_saveexec_b64 s[6:7], s[6:7]
	v_mov_b32_e32 v20, s10
	s_xor_b64 exec, exec, s[6:7]
	s_cbranch_execnz .LBB13_3120
.LBB13_1070:
	s_or_b64 exec, exec, s[6:7]
	s_and_saveexec_b64 s[6:7], s[4:5]
	s_cbranch_execz .LBB13_1072
.LBB13_1071:
	v_bfe_u32 v20, v11, 8, 3
	v_ffbh_u32_e32 v22, v20
	v_min_u32_e32 v22, 32, v22
	v_lshrrev_b16_e32 v21, 3, v14
	v_subrev_u32_e32 v23, 28, v22
	v_and_b32_e32 v21, 15, v21
	v_lshlrev_b32_e32 v14, v23, v14
	v_sub_u32_e32 v22, 29, v22
	v_and_b32_e32 v14, 7, v14
	v_cmp_eq_u16_e32 vcc, 0, v21
	v_cndmask_b32_e32 v14, v20, v14, vcc
	v_cndmask_b32_e32 v20, v21, v22, vcc
	v_lshlrev_b32_e32 v21, 16, v11
	v_mov_b32_e32 v22, 0x3b800000
	v_lshlrev_b32_e32 v14, 20, v14
	v_and_b32_e32 v21, 0x80000000, v21
	v_lshl_add_u32 v20, v20, 23, v22
	v_or3_b32 v20, v21, v20, v14
.LBB13_1072:
	s_or_b64 exec, exec, s[6:7]
	s_nop 0
	v_mfma_f32_16x16x4f32 a[0:3], v10, v20, a[0:3]
	s_movk_i32 s4, 0xff
	v_and_b32_sdwa v14, v15, s4 dst_sel:DWORD dst_unused:UNUSED_PAD src0_sel:WORD_1 src1_sel:DWORD
	s_movk_i32 s4, 0x7f
	v_cmp_lt_i16_e32 vcc, s4, v14
	s_mov_b64 s[4:5], 0
                                        ; implicit-def: $sgpr10
	s_and_saveexec_b64 s[6:7], vcc
	s_xor_b64 s[6:7], exec, s[6:7]
	s_cbranch_execnz .LBB13_3121
; %bb.1073:
	s_or_saveexec_b64 s[6:7], s[6:7]
	v_mov_b32_e32 v10, s10
	s_xor_b64 exec, exec, s[6:7]
	s_cbranch_execnz .LBB13_3124
.LBB13_1074:
	s_or_b64 exec, exec, s[6:7]
	s_and_saveexec_b64 s[6:7], s[4:5]
	s_cbranch_execz .LBB13_1076
.LBB13_1075:
	v_bfe_u32 v10, v15, 16, 3
	v_ffbh_u32_e32 v21, v10
	v_min_u32_e32 v21, 32, v21
	v_lshrrev_b32_e32 v14, 19, v15
	v_subrev_u32_e32 v22, 28, v21
	v_and_b32_e32 v14, 15, v14
	v_lshlrev_b32_sdwa v22, v22, v15 dst_sel:DWORD dst_unused:UNUSED_PAD src0_sel:DWORD src1_sel:WORD_1
	v_bfe_u32 v20, v15, 19, 4
	v_sub_u32_e32 v21, 29, v21
	v_and_b32_e32 v22, 7, v22
	v_cmp_eq_u16_e32 vcc, 0, v14
	v_cndmask_b32_e32 v10, v10, v22, vcc
	v_cndmask_b32_e32 v14, v20, v21, vcc
	v_lshlrev_b32_e32 v20, 8, v15
	v_mov_b32_e32 v21, 0x3b800000
	v_lshlrev_b32_e32 v10, 20, v10
	v_and_b32_e32 v20, 0x80000000, v20
	v_lshl_add_u32 v14, v14, 23, v21
	v_or3_b32 v10, v20, v14, v10
.LBB13_1076:
	s_or_b64 exec, exec, s[6:7]
	s_movk_i32 s4, 0xff
	v_and_b32_sdwa v14, v11, s4 dst_sel:DWORD dst_unused:UNUSED_PAD src0_sel:WORD_1 src1_sel:DWORD
	s_movk_i32 s4, 0x7f
	v_cmp_lt_i16_e32 vcc, s4, v14
	s_mov_b64 s[4:5], 0
                                        ; implicit-def: $sgpr10
	s_and_saveexec_b64 s[6:7], vcc
	s_xor_b64 s[6:7], exec, s[6:7]
	s_cbranch_execnz .LBB13_3125
; %bb.1077:
	s_or_saveexec_b64 s[6:7], s[6:7]
	v_mov_b32_e32 v20, s10
	s_xor_b64 exec, exec, s[6:7]
	s_cbranch_execnz .LBB13_3128
.LBB13_1078:
	s_or_b64 exec, exec, s[6:7]
	s_and_saveexec_b64 s[6:7], s[4:5]
	s_cbranch_execz .LBB13_1080
.LBB13_1079:
	v_bfe_u32 v14, v11, 16, 3
	v_ffbh_u32_e32 v22, v14
	v_min_u32_e32 v22, 32, v22
	v_lshrrev_b32_e32 v20, 19, v11
	v_subrev_u32_e32 v23, 28, v22
	v_and_b32_e32 v20, 15, v20
	v_lshlrev_b32_sdwa v23, v23, v11 dst_sel:DWORD dst_unused:UNUSED_PAD src0_sel:DWORD src1_sel:WORD_1
	v_bfe_u32 v21, v11, 19, 4
	v_sub_u32_e32 v22, 29, v22
	v_and_b32_e32 v23, 7, v23
	v_cmp_eq_u16_e32 vcc, 0, v20
	v_cndmask_b32_e32 v14, v14, v23, vcc
	v_cndmask_b32_e32 v20, v21, v22, vcc
	v_lshlrev_b32_e32 v21, 8, v11
	v_mov_b32_e32 v22, 0x3b800000
	v_lshlrev_b32_e32 v14, 20, v14
	v_and_b32_e32 v21, 0x80000000, v21
	v_lshl_add_u32 v20, v20, 23, v22
	v_or3_b32 v20, v21, v20, v14
.LBB13_1080:
	s_or_b64 exec, exec, s[6:7]
	s_nop 0
	v_mfma_f32_16x16x4f32 a[0:3], v10, v20, a[0:3]
	s_movk_i32 s4, 0x7f
	v_cmp_gt_i16_sdwa s[6:7], v15, s4 src0_sel:BYTE_3 src1_sel:DWORD
	s_mov_b64 s[4:5], 0
                                        ; implicit-def: $sgpr10
	s_and_saveexec_b64 s[8:9], s[6:7]
	s_xor_b64 s[6:7], exec, s[8:9]
	s_cbranch_execnz .LBB13_3129
; %bb.1081:
	s_or_saveexec_b64 s[6:7], s[6:7]
	v_mov_b32_e32 v10, s10
	s_xor_b64 exec, exec, s[6:7]
	s_cbranch_execnz .LBB13_3132
.LBB13_1082:
	s_or_b64 exec, exec, s[6:7]
	s_and_saveexec_b64 s[6:7], s[4:5]
	s_cbranch_execz .LBB13_1084
.LBB13_1083:
	v_bfe_u32 v10, v15, 24, 3
	v_ffbh_u32_e32 v22, v10
	v_min_u32_e32 v22, 32, v22
	v_lshrrev_b32_e32 v20, 27, v15
	v_subrev_u32_e32 v23, 28, v22
	v_and_b32_e32 v14, 0x80000000, v15
	v_and_b32_e32 v20, 15, v20
	v_bfe_u32 v21, v15, 27, 4
	v_lshlrev_b32_sdwa v15, v23, v15 dst_sel:DWORD dst_unused:UNUSED_PAD src0_sel:DWORD src1_sel:BYTE_3
	v_sub_u32_e32 v22, 29, v22
	v_and_b32_e32 v15, 7, v15
	v_cmp_eq_u16_e32 vcc, 0, v20
	v_cndmask_b32_e32 v10, v10, v15, vcc
	v_cndmask_b32_e32 v15, v21, v22, vcc
	v_mov_b32_e32 v20, 0x3b800000
	v_lshlrev_b32_e32 v10, 20, v10
	v_lshl_add_u32 v15, v15, 23, v20
	v_or3_b32 v10, v14, v15, v10
.LBB13_1084:
	s_or_b64 exec, exec, s[6:7]
	s_movk_i32 s4, 0x7f
	v_cmp_gt_i16_sdwa s[6:7], v11, s4 src0_sel:BYTE_3 src1_sel:DWORD
	s_mov_b64 s[4:5], 0
                                        ; implicit-def: $sgpr10
	s_and_saveexec_b64 s[8:9], s[6:7]
	s_xor_b64 s[6:7], exec, s[8:9]
	s_cbranch_execnz .LBB13_3133
; %bb.1085:
	s_or_saveexec_b64 s[6:7], s[6:7]
	v_mov_b32_e32 v14, s10
	s_xor_b64 exec, exec, s[6:7]
	s_cbranch_execnz .LBB13_3136
.LBB13_1086:
	s_or_b64 exec, exec, s[6:7]
	s_and_saveexec_b64 s[6:7], s[4:5]
	s_cbranch_execz .LBB13_1088
.LBB13_1087:
	v_bfe_u32 v14, v11, 24, 3
	v_ffbh_u32_e32 v22, v14
	v_min_u32_e32 v22, 32, v22
	v_lshrrev_b32_e32 v20, 27, v11
	v_subrev_u32_e32 v23, 28, v22
	v_and_b32_e32 v15, 0x80000000, v11
	v_and_b32_e32 v20, 15, v20
	v_bfe_u32 v21, v11, 27, 4
	v_lshlrev_b32_sdwa v11, v23, v11 dst_sel:DWORD dst_unused:UNUSED_PAD src0_sel:DWORD src1_sel:BYTE_3
	v_sub_u32_e32 v22, 29, v22
	v_and_b32_e32 v11, 7, v11
	v_cmp_eq_u16_e32 vcc, 0, v20
	v_cndmask_b32_e32 v11, v14, v11, vcc
	v_cndmask_b32_e32 v14, v21, v22, vcc
	v_mov_b32_e32 v20, 0x3b800000
	v_lshlrev_b32_e32 v11, 20, v11
	v_lshl_add_u32 v14, v14, 23, v20
	v_or3_b32 v14, v15, v14, v11
.LBB13_1088:
	s_or_b64 exec, exec, s[6:7]
	s_nop 0
	v_mfma_f32_16x16x4f32 a[0:3], v10, v14, a[0:3]
	s_movk_i32 s4, 0x7f
	v_cmp_gt_i16_sdwa s[6:7], v16, s4 src0_sel:BYTE_0 src1_sel:DWORD
	s_mov_b64 s[4:5], 0
                                        ; implicit-def: $sgpr10
	s_and_saveexec_b64 s[8:9], s[6:7]
	s_xor_b64 s[6:7], exec, s[8:9]
	s_cbranch_execnz .LBB13_3137
; %bb.1089:
	s_or_saveexec_b64 s[6:7], s[6:7]
	v_mov_b32_e32 v10, s10
	s_xor_b64 exec, exec, s[6:7]
	s_cbranch_execnz .LBB13_3140
.LBB13_1090:
	s_or_b64 exec, exec, s[6:7]
	s_and_saveexec_b64 s[6:7], s[4:5]
	s_cbranch_execz .LBB13_1092
.LBB13_1091:
	v_and_b32_e32 v10, 7, v16
	v_ffbh_u32_e32 v14, v10
	v_min_u32_e32 v14, 32, v14
	v_lshrrev_b16_e32 v11, 3, v16
	v_subrev_u32_e32 v15, 28, v14
	v_and_b32_e32 v11, 15, v11
	v_lshlrev_b32_e32 v15, v15, v16
	v_sub_u32_e32 v14, 29, v14
	v_and_b32_e32 v15, 7, v15
	v_cmp_eq_u16_e32 vcc, 0, v11
	v_cndmask_b32_e32 v10, v10, v15, vcc
	v_cndmask_b32_e32 v11, v11, v14, vcc
	v_lshlrev_b32_e32 v14, 24, v16
	v_mov_b32_e32 v15, 0x3b800000
	v_lshlrev_b32_e32 v10, 20, v10
	v_and_b32_e32 v14, 0x80000000, v14
	v_lshl_add_u32 v11, v11, 23, v15
	v_or3_b32 v10, v14, v11, v10
.LBB13_1092:
	s_or_b64 exec, exec, s[6:7]
	s_movk_i32 s4, 0x7f
	v_cmp_gt_i16_sdwa s[6:7], v12, s4 src0_sel:BYTE_0 src1_sel:DWORD
	s_mov_b64 s[4:5], 0
                                        ; implicit-def: $sgpr10
	s_and_saveexec_b64 s[8:9], s[6:7]
	s_xor_b64 s[6:7], exec, s[8:9]
	s_cbranch_execnz .LBB13_3141
; %bb.1093:
	s_or_saveexec_b64 s[6:7], s[6:7]
	v_mov_b32_e32 v11, s10
	s_xor_b64 exec, exec, s[6:7]
	s_cbranch_execnz .LBB13_3144
.LBB13_1094:
	s_or_b64 exec, exec, s[6:7]
	s_and_saveexec_b64 s[6:7], s[4:5]
	s_cbranch_execz .LBB13_1096
.LBB13_1095:
	v_and_b32_e32 v11, 7, v12
	v_ffbh_u32_e32 v15, v11
	v_min_u32_e32 v15, 32, v15
	v_lshrrev_b16_e32 v14, 3, v12
	v_subrev_u32_e32 v20, 28, v15
	v_and_b32_e32 v14, 15, v14
	v_lshlrev_b32_e32 v20, v20, v12
	v_sub_u32_e32 v15, 29, v15
	v_and_b32_e32 v20, 7, v20
	v_cmp_eq_u16_e32 vcc, 0, v14
	v_cndmask_b32_e32 v11, v11, v20, vcc
	v_cndmask_b32_e32 v14, v14, v15, vcc
	v_lshlrev_b32_e32 v15, 24, v12
	v_mov_b32_e32 v20, 0x3b800000
	v_lshlrev_b32_e32 v11, 20, v11
	v_and_b32_e32 v15, 0x80000000, v15
	v_lshl_add_u32 v14, v14, 23, v20
	v_or3_b32 v11, v15, v14, v11
.LBB13_1096:
	s_or_b64 exec, exec, s[6:7]
	s_nop 0
	v_mfma_f32_16x16x4f32 a[0:3], v10, v11, a[0:3]
	v_lshrrev_b32_e32 v11, 8, v16
	s_movk_i32 s4, 0x7f
	v_cmp_gt_i16_sdwa s[6:7], v11, s4 src0_sel:BYTE_0 src1_sel:DWORD
	s_mov_b64 s[4:5], 0
                                        ; implicit-def: $sgpr10
	s_and_saveexec_b64 s[8:9], s[6:7]
	s_xor_b64 s[6:7], exec, s[8:9]
	s_cbranch_execnz .LBB13_3145
; %bb.1097:
	s_or_saveexec_b64 s[6:7], s[6:7]
	v_mov_b32_e32 v10, s10
	s_xor_b64 exec, exec, s[6:7]
	s_cbranch_execnz .LBB13_3148
.LBB13_1098:
	s_or_b64 exec, exec, s[6:7]
	s_and_saveexec_b64 s[6:7], s[4:5]
	s_cbranch_execz .LBB13_1100
.LBB13_1099:
	v_bfe_u32 v10, v16, 8, 3
	v_ffbh_u32_e32 v15, v10
	v_min_u32_e32 v15, 32, v15
	v_lshrrev_b16_e32 v14, 3, v11
	v_subrev_u32_e32 v20, 28, v15
	v_and_b32_e32 v14, 15, v14
	v_lshlrev_b32_e32 v11, v20, v11
	v_sub_u32_e32 v15, 29, v15
	v_and_b32_e32 v11, 7, v11
	v_cmp_eq_u16_e32 vcc, 0, v14
	v_cndmask_b32_e32 v10, v10, v11, vcc
	v_cndmask_b32_e32 v11, v14, v15, vcc
	v_lshlrev_b32_e32 v14, 16, v16
	v_mov_b32_e32 v15, 0x3b800000
	v_lshlrev_b32_e32 v10, 20, v10
	v_and_b32_e32 v14, 0x80000000, v14
	v_lshl_add_u32 v11, v11, 23, v15
	v_or3_b32 v10, v14, v11, v10
.LBB13_1100:
	s_or_b64 exec, exec, s[6:7]
	v_lshrrev_b32_e32 v11, 8, v12
	s_movk_i32 s4, 0x7f
	v_cmp_gt_i16_sdwa s[6:7], v11, s4 src0_sel:BYTE_0 src1_sel:DWORD
	s_mov_b64 s[4:5], 0
                                        ; implicit-def: $sgpr10
	s_and_saveexec_b64 s[8:9], s[6:7]
	s_xor_b64 s[6:7], exec, s[8:9]
	s_cbranch_execnz .LBB13_3149
; %bb.1101:
	s_or_saveexec_b64 s[6:7], s[6:7]
	v_mov_b32_e32 v14, s10
	s_xor_b64 exec, exec, s[6:7]
	s_cbranch_execnz .LBB13_3152
.LBB13_1102:
	s_or_b64 exec, exec, s[6:7]
	s_and_saveexec_b64 s[6:7], s[4:5]
	s_cbranch_execz .LBB13_1104
.LBB13_1103:
	v_bfe_u32 v14, v12, 8, 3
	v_ffbh_u32_e32 v20, v14
	v_min_u32_e32 v20, 32, v20
	v_lshrrev_b16_e32 v15, 3, v11
	v_subrev_u32_e32 v21, 28, v20
	v_and_b32_e32 v15, 15, v15
	v_lshlrev_b32_e32 v11, v21, v11
	v_sub_u32_e32 v20, 29, v20
	v_and_b32_e32 v11, 7, v11
	v_cmp_eq_u16_e32 vcc, 0, v15
	v_cndmask_b32_e32 v11, v14, v11, vcc
	v_cndmask_b32_e32 v14, v15, v20, vcc
	v_lshlrev_b32_e32 v15, 16, v12
	v_mov_b32_e32 v20, 0x3b800000
	v_lshlrev_b32_e32 v11, 20, v11
	v_and_b32_e32 v15, 0x80000000, v15
	v_lshl_add_u32 v14, v14, 23, v20
	v_or3_b32 v14, v15, v14, v11
.LBB13_1104:
	s_or_b64 exec, exec, s[6:7]
	s_nop 0
	v_mfma_f32_16x16x4f32 a[0:3], v10, v14, a[0:3]
	s_movk_i32 s4, 0xff
	v_and_b32_sdwa v11, v16, s4 dst_sel:DWORD dst_unused:UNUSED_PAD src0_sel:WORD_1 src1_sel:DWORD
	s_movk_i32 s4, 0x7f
	v_cmp_lt_i16_e32 vcc, s4, v11
	s_mov_b64 s[4:5], 0
                                        ; implicit-def: $sgpr10
	s_and_saveexec_b64 s[6:7], vcc
	s_xor_b64 s[6:7], exec, s[6:7]
	s_cbranch_execnz .LBB13_3153
; %bb.1105:
	s_or_saveexec_b64 s[6:7], s[6:7]
	v_mov_b32_e32 v10, s10
	s_xor_b64 exec, exec, s[6:7]
	s_cbranch_execnz .LBB13_3156
.LBB13_1106:
	s_or_b64 exec, exec, s[6:7]
	s_and_saveexec_b64 s[6:7], s[4:5]
	s_cbranch_execz .LBB13_1108
.LBB13_1107:
	v_bfe_u32 v10, v16, 16, 3
	v_ffbh_u32_e32 v15, v10
	v_min_u32_e32 v15, 32, v15
	v_lshrrev_b32_e32 v11, 19, v16
	v_subrev_u32_e32 v20, 28, v15
	v_and_b32_e32 v11, 15, v11
	v_lshlrev_b32_sdwa v20, v20, v16 dst_sel:DWORD dst_unused:UNUSED_PAD src0_sel:DWORD src1_sel:WORD_1
	v_bfe_u32 v14, v16, 19, 4
	v_sub_u32_e32 v15, 29, v15
	v_and_b32_e32 v20, 7, v20
	v_cmp_eq_u16_e32 vcc, 0, v11
	v_cndmask_b32_e32 v10, v10, v20, vcc
	v_cndmask_b32_e32 v11, v14, v15, vcc
	v_lshlrev_b32_e32 v14, 8, v16
	v_mov_b32_e32 v15, 0x3b800000
	v_lshlrev_b32_e32 v10, 20, v10
	v_and_b32_e32 v14, 0x80000000, v14
	v_lshl_add_u32 v11, v11, 23, v15
	v_or3_b32 v10, v14, v11, v10
.LBB13_1108:
	s_or_b64 exec, exec, s[6:7]
	s_movk_i32 s4, 0xff
	v_and_b32_sdwa v11, v12, s4 dst_sel:DWORD dst_unused:UNUSED_PAD src0_sel:WORD_1 src1_sel:DWORD
	s_movk_i32 s4, 0x7f
	v_cmp_lt_i16_e32 vcc, s4, v11
	s_mov_b64 s[4:5], 0
                                        ; implicit-def: $sgpr10
	s_and_saveexec_b64 s[6:7], vcc
	s_xor_b64 s[6:7], exec, s[6:7]
	s_cbranch_execnz .LBB13_3157
; %bb.1109:
	s_or_saveexec_b64 s[6:7], s[6:7]
	v_mov_b32_e32 v14, s10
	s_xor_b64 exec, exec, s[6:7]
	s_cbranch_execnz .LBB13_3160
.LBB13_1110:
	s_or_b64 exec, exec, s[6:7]
	s_and_saveexec_b64 s[6:7], s[4:5]
	s_cbranch_execz .LBB13_1112
.LBB13_1111:
	v_bfe_u32 v11, v12, 16, 3
	v_ffbh_u32_e32 v20, v11
	v_min_u32_e32 v20, 32, v20
	v_lshrrev_b32_e32 v14, 19, v12
	v_subrev_u32_e32 v21, 28, v20
	v_and_b32_e32 v14, 15, v14
	v_lshlrev_b32_sdwa v21, v21, v12 dst_sel:DWORD dst_unused:UNUSED_PAD src0_sel:DWORD src1_sel:WORD_1
	v_bfe_u32 v15, v12, 19, 4
	v_sub_u32_e32 v20, 29, v20
	v_and_b32_e32 v21, 7, v21
	v_cmp_eq_u16_e32 vcc, 0, v14
	v_cndmask_b32_e32 v11, v11, v21, vcc
	v_cndmask_b32_e32 v14, v15, v20, vcc
	v_lshlrev_b32_e32 v15, 8, v12
	v_mov_b32_e32 v20, 0x3b800000
	v_lshlrev_b32_e32 v11, 20, v11
	v_and_b32_e32 v15, 0x80000000, v15
	v_lshl_add_u32 v14, v14, 23, v20
	v_or3_b32 v14, v15, v14, v11
.LBB13_1112:
	s_or_b64 exec, exec, s[6:7]
	s_nop 0
	v_mfma_f32_16x16x4f32 a[0:3], v10, v14, a[0:3]
	s_movk_i32 s4, 0x7f
	v_cmp_gt_i16_sdwa s[6:7], v16, s4 src0_sel:BYTE_3 src1_sel:DWORD
	s_mov_b64 s[4:5], 0
                                        ; implicit-def: $sgpr10
	s_and_saveexec_b64 s[8:9], s[6:7]
	s_xor_b64 s[6:7], exec, s[8:9]
	s_cbranch_execnz .LBB13_3161
; %bb.1113:
	s_or_saveexec_b64 s[6:7], s[6:7]
	v_mov_b32_e32 v10, s10
	s_xor_b64 exec, exec, s[6:7]
	s_cbranch_execnz .LBB13_3164
.LBB13_1114:
	s_or_b64 exec, exec, s[6:7]
	s_and_saveexec_b64 s[6:7], s[4:5]
	s_cbranch_execz .LBB13_1116
.LBB13_1115:
	v_bfe_u32 v10, v16, 24, 3
	v_ffbh_u32_e32 v20, v10
	v_min_u32_e32 v20, 32, v20
	v_lshrrev_b32_e32 v14, 27, v16
	v_subrev_u32_e32 v21, 28, v20
	v_and_b32_e32 v11, 0x80000000, v16
	v_and_b32_e32 v14, 15, v14
	v_bfe_u32 v15, v16, 27, 4
	v_lshlrev_b32_sdwa v16, v21, v16 dst_sel:DWORD dst_unused:UNUSED_PAD src0_sel:DWORD src1_sel:BYTE_3
	v_sub_u32_e32 v20, 29, v20
	v_and_b32_e32 v16, 7, v16
	v_cmp_eq_u16_e32 vcc, 0, v14
	v_cndmask_b32_e32 v10, v10, v16, vcc
	v_cndmask_b32_e32 v14, v15, v20, vcc
	v_mov_b32_e32 v15, 0x3b800000
	v_lshlrev_b32_e32 v10, 20, v10
	v_lshl_add_u32 v14, v14, 23, v15
	v_or3_b32 v10, v11, v14, v10
.LBB13_1116:
	s_or_b64 exec, exec, s[6:7]
	s_movk_i32 s4, 0x7f
	v_cmp_gt_i16_sdwa s[6:7], v12, s4 src0_sel:BYTE_3 src1_sel:DWORD
	s_mov_b64 s[4:5], 0
                                        ; implicit-def: $sgpr10
	s_and_saveexec_b64 s[8:9], s[6:7]
	s_xor_b64 s[6:7], exec, s[8:9]
	s_cbranch_execnz .LBB13_3165
; %bb.1117:
	s_or_saveexec_b64 s[6:7], s[6:7]
	v_mov_b32_e32 v11, s10
	s_xor_b64 exec, exec, s[6:7]
	s_cbranch_execnz .LBB13_3168
.LBB13_1118:
	s_or_b64 exec, exec, s[6:7]
	s_and_saveexec_b64 s[6:7], s[4:5]
	s_cbranch_execz .LBB13_1120
.LBB13_1119:
	v_bfe_u32 v11, v12, 24, 3
	v_ffbh_u32_e32 v20, v11
	v_min_u32_e32 v20, 32, v20
	v_lshrrev_b32_e32 v15, 27, v12
	v_subrev_u32_e32 v21, 28, v20
	v_and_b32_e32 v14, 0x80000000, v12
	v_and_b32_e32 v15, 15, v15
	v_bfe_u32 v16, v12, 27, 4
	v_lshlrev_b32_sdwa v12, v21, v12 dst_sel:DWORD dst_unused:UNUSED_PAD src0_sel:DWORD src1_sel:BYTE_3
	v_sub_u32_e32 v20, 29, v20
	v_and_b32_e32 v12, 7, v12
	v_cmp_eq_u16_e32 vcc, 0, v15
	v_cndmask_b32_e32 v11, v11, v12, vcc
	v_cndmask_b32_e32 v12, v16, v20, vcc
	v_mov_b32_e32 v15, 0x3b800000
	v_lshlrev_b32_e32 v11, 20, v11
	v_lshl_add_u32 v12, v12, 23, v15
	v_or3_b32 v11, v14, v12, v11
.LBB13_1120:
	s_or_b64 exec, exec, s[6:7]
	s_nop 0
	v_mfma_f32_16x16x4f32 a[0:3], v10, v11, a[0:3]
	s_movk_i32 s4, 0x7f
	v_cmp_gt_i16_sdwa s[6:7], v17, s4 src0_sel:BYTE_0 src1_sel:DWORD
	s_mov_b64 s[4:5], 0
                                        ; implicit-def: $sgpr10
	s_and_saveexec_b64 s[8:9], s[6:7]
	s_xor_b64 s[6:7], exec, s[8:9]
	s_cbranch_execnz .LBB13_3169
; %bb.1121:
	s_or_saveexec_b64 s[6:7], s[6:7]
	v_mov_b32_e32 v10, s10
	s_xor_b64 exec, exec, s[6:7]
	s_cbranch_execnz .LBB13_3172
.LBB13_1122:
	s_or_b64 exec, exec, s[6:7]
	s_and_saveexec_b64 s[6:7], s[4:5]
	s_cbranch_execz .LBB13_1124
.LBB13_1123:
	v_and_b32_e32 v10, 7, v17
	v_ffbh_u32_e32 v12, v10
	v_min_u32_e32 v12, 32, v12
	v_lshrrev_b16_e32 v11, 3, v17
	v_subrev_u32_e32 v14, 28, v12
	v_and_b32_e32 v11, 15, v11
	v_lshlrev_b32_e32 v14, v14, v17
	v_sub_u32_e32 v12, 29, v12
	v_and_b32_e32 v14, 7, v14
	v_cmp_eq_u16_e32 vcc, 0, v11
	v_cndmask_b32_e32 v10, v10, v14, vcc
	v_cndmask_b32_e32 v11, v11, v12, vcc
	v_lshlrev_b32_e32 v12, 24, v17
	v_mov_b32_e32 v14, 0x3b800000
	v_lshlrev_b32_e32 v10, 20, v10
	v_and_b32_e32 v12, 0x80000000, v12
	v_lshl_add_u32 v11, v11, 23, v14
	v_or3_b32 v10, v12, v11, v10
.LBB13_1124:
	s_or_b64 exec, exec, s[6:7]
	s_movk_i32 s4, 0x7f
	v_cmp_gt_i16_sdwa s[6:7], v13, s4 src0_sel:BYTE_0 src1_sel:DWORD
	s_mov_b64 s[4:5], 0
                                        ; implicit-def: $sgpr10
	s_and_saveexec_b64 s[8:9], s[6:7]
	s_xor_b64 s[6:7], exec, s[8:9]
	s_cbranch_execnz .LBB13_3173
; %bb.1125:
	s_or_saveexec_b64 s[6:7], s[6:7]
	v_mov_b32_e32 v11, s10
	s_xor_b64 exec, exec, s[6:7]
	s_cbranch_execnz .LBB13_3176
.LBB13_1126:
	s_or_b64 exec, exec, s[6:7]
	s_and_saveexec_b64 s[6:7], s[4:5]
	s_cbranch_execz .LBB13_1128
.LBB13_1127:
	v_and_b32_e32 v11, 7, v13
	v_ffbh_u32_e32 v14, v11
	v_min_u32_e32 v14, 32, v14
	v_lshrrev_b16_e32 v12, 3, v13
	v_subrev_u32_e32 v15, 28, v14
	v_and_b32_e32 v12, 15, v12
	v_lshlrev_b32_e32 v15, v15, v13
	v_sub_u32_e32 v14, 29, v14
	v_and_b32_e32 v15, 7, v15
	v_cmp_eq_u16_e32 vcc, 0, v12
	v_cndmask_b32_e32 v11, v11, v15, vcc
	v_cndmask_b32_e32 v12, v12, v14, vcc
	v_lshlrev_b32_e32 v14, 24, v13
	v_mov_b32_e32 v15, 0x3b800000
	v_lshlrev_b32_e32 v11, 20, v11
	v_and_b32_e32 v14, 0x80000000, v14
	v_lshl_add_u32 v12, v12, 23, v15
	v_or3_b32 v11, v14, v12, v11
.LBB13_1128:
	s_or_b64 exec, exec, s[6:7]
	s_nop 0
	v_mfma_f32_16x16x4f32 a[0:3], v10, v11, a[0:3]
	v_lshrrev_b32_e32 v11, 8, v17
	s_movk_i32 s4, 0x7f
	v_cmp_gt_i16_sdwa s[6:7], v11, s4 src0_sel:BYTE_0 src1_sel:DWORD
	s_mov_b64 s[4:5], 0
                                        ; implicit-def: $sgpr10
	s_and_saveexec_b64 s[8:9], s[6:7]
	s_xor_b64 s[6:7], exec, s[8:9]
	s_cbranch_execnz .LBB13_3177
; %bb.1129:
	s_or_saveexec_b64 s[6:7], s[6:7]
	v_mov_b32_e32 v10, s10
	s_xor_b64 exec, exec, s[6:7]
	s_cbranch_execnz .LBB13_3180
.LBB13_1130:
	s_or_b64 exec, exec, s[6:7]
	s_and_saveexec_b64 s[6:7], s[4:5]
	s_cbranch_execz .LBB13_1132
.LBB13_1131:
	v_bfe_u32 v10, v17, 8, 3
	v_ffbh_u32_e32 v14, v10
	v_min_u32_e32 v14, 32, v14
	v_lshrrev_b16_e32 v12, 3, v11
	v_subrev_u32_e32 v15, 28, v14
	v_and_b32_e32 v12, 15, v12
	v_lshlrev_b32_e32 v11, v15, v11
	v_sub_u32_e32 v14, 29, v14
	v_and_b32_e32 v11, 7, v11
	v_cmp_eq_u16_e32 vcc, 0, v12
	v_cndmask_b32_e32 v10, v10, v11, vcc
	v_cndmask_b32_e32 v11, v12, v14, vcc
	v_lshlrev_b32_e32 v12, 16, v17
	v_mov_b32_e32 v14, 0x3b800000
	v_lshlrev_b32_e32 v10, 20, v10
	v_and_b32_e32 v12, 0x80000000, v12
	v_lshl_add_u32 v11, v11, 23, v14
	v_or3_b32 v10, v12, v11, v10
.LBB13_1132:
	s_or_b64 exec, exec, s[6:7]
	v_lshrrev_b32_e32 v11, 8, v13
	s_movk_i32 s4, 0x7f
	v_cmp_gt_i16_sdwa s[6:7], v11, s4 src0_sel:BYTE_0 src1_sel:DWORD
	s_mov_b64 s[4:5], 0
                                        ; implicit-def: $sgpr10
	s_and_saveexec_b64 s[8:9], s[6:7]
	s_xor_b64 s[6:7], exec, s[8:9]
	s_cbranch_execnz .LBB13_3181
; %bb.1133:
	s_or_saveexec_b64 s[6:7], s[6:7]
	v_mov_b32_e32 v12, s10
	s_xor_b64 exec, exec, s[6:7]
	s_cbranch_execnz .LBB13_3184
.LBB13_1134:
	s_or_b64 exec, exec, s[6:7]
	s_and_saveexec_b64 s[6:7], s[4:5]
	s_cbranch_execz .LBB13_1136
.LBB13_1135:
	v_bfe_u32 v12, v13, 8, 3
	v_ffbh_u32_e32 v15, v12
	v_min_u32_e32 v15, 32, v15
	v_lshrrev_b16_e32 v14, 3, v11
	v_subrev_u32_e32 v16, 28, v15
	v_and_b32_e32 v14, 15, v14
	v_lshlrev_b32_e32 v11, v16, v11
	v_sub_u32_e32 v15, 29, v15
	v_and_b32_e32 v11, 7, v11
	v_cmp_eq_u16_e32 vcc, 0, v14
	v_cndmask_b32_e32 v11, v12, v11, vcc
	v_cndmask_b32_e32 v12, v14, v15, vcc
	v_lshlrev_b32_e32 v14, 16, v13
	v_mov_b32_e32 v15, 0x3b800000
	v_lshlrev_b32_e32 v11, 20, v11
	v_and_b32_e32 v14, 0x80000000, v14
	v_lshl_add_u32 v12, v12, 23, v15
	v_or3_b32 v12, v14, v12, v11
.LBB13_1136:
	s_or_b64 exec, exec, s[6:7]
	s_nop 0
	v_mfma_f32_16x16x4f32 a[0:3], v10, v12, a[0:3]
	s_movk_i32 s4, 0xff
	v_and_b32_sdwa v11, v17, s4 dst_sel:DWORD dst_unused:UNUSED_PAD src0_sel:WORD_1 src1_sel:DWORD
	s_movk_i32 s4, 0x7f
	v_cmp_lt_i16_e32 vcc, s4, v11
	s_mov_b64 s[4:5], 0
                                        ; implicit-def: $sgpr10
	s_and_saveexec_b64 s[6:7], vcc
	s_xor_b64 s[6:7], exec, s[6:7]
	s_cbranch_execnz .LBB13_3185
; %bb.1137:
	s_or_saveexec_b64 s[6:7], s[6:7]
	v_mov_b32_e32 v10, s10
	s_xor_b64 exec, exec, s[6:7]
	s_cbranch_execnz .LBB13_3188
.LBB13_1138:
	s_or_b64 exec, exec, s[6:7]
	s_and_saveexec_b64 s[6:7], s[4:5]
	s_cbranch_execz .LBB13_1140
.LBB13_1139:
	v_bfe_u32 v10, v17, 16, 3
	v_ffbh_u32_e32 v14, v10
	v_min_u32_e32 v14, 32, v14
	v_lshrrev_b32_e32 v11, 19, v17
	v_subrev_u32_e32 v15, 28, v14
	v_and_b32_e32 v11, 15, v11
	v_lshlrev_b32_sdwa v15, v15, v17 dst_sel:DWORD dst_unused:UNUSED_PAD src0_sel:DWORD src1_sel:WORD_1
	v_bfe_u32 v12, v17, 19, 4
	v_sub_u32_e32 v14, 29, v14
	v_and_b32_e32 v15, 7, v15
	v_cmp_eq_u16_e32 vcc, 0, v11
	v_cndmask_b32_e32 v10, v10, v15, vcc
	v_cndmask_b32_e32 v11, v12, v14, vcc
	v_lshlrev_b32_e32 v12, 8, v17
	v_mov_b32_e32 v14, 0x3b800000
	v_lshlrev_b32_e32 v10, 20, v10
	v_and_b32_e32 v12, 0x80000000, v12
	v_lshl_add_u32 v11, v11, 23, v14
	v_or3_b32 v10, v12, v11, v10
.LBB13_1140:
	s_or_b64 exec, exec, s[6:7]
	s_movk_i32 s4, 0xff
	v_and_b32_sdwa v11, v13, s4 dst_sel:DWORD dst_unused:UNUSED_PAD src0_sel:WORD_1 src1_sel:DWORD
	s_movk_i32 s4, 0x7f
	v_cmp_lt_i16_e32 vcc, s4, v11
	s_mov_b64 s[4:5], 0
                                        ; implicit-def: $sgpr10
	s_and_saveexec_b64 s[6:7], vcc
	s_xor_b64 s[6:7], exec, s[6:7]
	s_cbranch_execnz .LBB13_3189
; %bb.1141:
	s_or_saveexec_b64 s[6:7], s[6:7]
	v_mov_b32_e32 v12, s10
	s_xor_b64 exec, exec, s[6:7]
	s_cbranch_execnz .LBB13_3192
.LBB13_1142:
	s_or_b64 exec, exec, s[6:7]
	s_and_saveexec_b64 s[6:7], s[4:5]
	s_cbranch_execz .LBB13_1144
.LBB13_1143:
	v_bfe_u32 v11, v13, 16, 3
	v_ffbh_u32_e32 v15, v11
	v_min_u32_e32 v15, 32, v15
	v_lshrrev_b32_e32 v12, 19, v13
	v_subrev_u32_e32 v16, 28, v15
	v_and_b32_e32 v12, 15, v12
	v_lshlrev_b32_sdwa v16, v16, v13 dst_sel:DWORD dst_unused:UNUSED_PAD src0_sel:DWORD src1_sel:WORD_1
	v_bfe_u32 v14, v13, 19, 4
	v_sub_u32_e32 v15, 29, v15
	v_and_b32_e32 v16, 7, v16
	v_cmp_eq_u16_e32 vcc, 0, v12
	v_cndmask_b32_e32 v11, v11, v16, vcc
	v_cndmask_b32_e32 v12, v14, v15, vcc
	v_lshlrev_b32_e32 v14, 8, v13
	v_mov_b32_e32 v15, 0x3b800000
	v_lshlrev_b32_e32 v11, 20, v11
	v_and_b32_e32 v14, 0x80000000, v14
	v_lshl_add_u32 v12, v12, 23, v15
	v_or3_b32 v12, v14, v12, v11
.LBB13_1144:
	s_or_b64 exec, exec, s[6:7]
	s_nop 0
	v_mfma_f32_16x16x4f32 a[0:3], v10, v12, a[0:3]
	s_movk_i32 s4, 0x7f
	v_cmp_gt_i16_sdwa s[6:7], v17, s4 src0_sel:BYTE_3 src1_sel:DWORD
	s_mov_b64 s[4:5], 0
                                        ; implicit-def: $sgpr10
	s_and_saveexec_b64 s[8:9], s[6:7]
	s_xor_b64 s[6:7], exec, s[8:9]
	s_cbranch_execnz .LBB13_3193
; %bb.1145:
	s_or_saveexec_b64 s[6:7], s[6:7]
	v_mov_b32_e32 v10, s10
	s_xor_b64 exec, exec, s[6:7]
	s_cbranch_execnz .LBB13_3196
.LBB13_1146:
	s_or_b64 exec, exec, s[6:7]
	s_and_saveexec_b64 s[6:7], s[4:5]
	s_cbranch_execz .LBB13_1148
.LBB13_1147:
	v_bfe_u32 v10, v17, 24, 3
	v_ffbh_u32_e32 v15, v10
	v_min_u32_e32 v15, 32, v15
	v_lshrrev_b32_e32 v12, 27, v17
	v_subrev_u32_e32 v16, 28, v15
	v_and_b32_e32 v12, 15, v12
	v_lshlrev_b32_sdwa v16, v16, v17 dst_sel:DWORD dst_unused:UNUSED_PAD src0_sel:DWORD src1_sel:BYTE_3
	v_bfe_u32 v14, v17, 27, 4
	v_sub_u32_e32 v15, 29, v15
	v_and_b32_e32 v16, 7, v16
	v_cmp_eq_u16_e32 vcc, 0, v12
	v_cndmask_b32_e32 v10, v10, v16, vcc
	v_cndmask_b32_e32 v12, v14, v15, vcc
	v_mov_b32_e32 v14, 0x3b800000
	v_and_b32_e32 v11, 0x80000000, v17
	v_lshlrev_b32_e32 v10, 20, v10
	v_lshl_add_u32 v12, v12, 23, v14
	v_or3_b32 v10, v11, v12, v10
.LBB13_1148:
	s_or_b64 exec, exec, s[6:7]
	s_movk_i32 s4, 0x7f
	v_cmp_gt_i16_sdwa s[6:7], v13, s4 src0_sel:BYTE_3 src1_sel:DWORD
	s_mov_b64 s[4:5], 0
                                        ; implicit-def: $sgpr10
	s_and_saveexec_b64 s[8:9], s[6:7]
	s_xor_b64 s[6:7], exec, s[8:9]
	s_cbranch_execnz .LBB13_3197
; %bb.1149:
	s_or_saveexec_b64 s[6:7], s[6:7]
	v_mov_b32_e32 v11, s10
	s_xor_b64 exec, exec, s[6:7]
	s_cbranch_execnz .LBB13_3200
.LBB13_1150:
	s_or_b64 exec, exec, s[6:7]
	s_and_saveexec_b64 s[6:7], s[4:5]
	s_cbranch_execz .LBB13_1152
.LBB13_1151:
	v_bfe_u32 v11, v13, 24, 3
	v_ffbh_u32_e32 v16, v11
	v_min_u32_e32 v16, 32, v16
	v_lshrrev_b32_e32 v14, 27, v13
	v_subrev_u32_e32 v17, 28, v16
	v_and_b32_e32 v12, 0x80000000, v13
	v_and_b32_e32 v14, 15, v14
	v_bfe_u32 v15, v13, 27, 4
	v_lshlrev_b32_sdwa v13, v17, v13 dst_sel:DWORD dst_unused:UNUSED_PAD src0_sel:DWORD src1_sel:BYTE_3
	v_sub_u32_e32 v16, 29, v16
	v_and_b32_e32 v13, 7, v13
	v_cmp_eq_u16_e32 vcc, 0, v14
	v_cndmask_b32_e32 v11, v11, v13, vcc
	v_cndmask_b32_e32 v13, v15, v16, vcc
	v_mov_b32_e32 v14, 0x3b800000
	v_lshlrev_b32_e32 v11, 20, v11
	v_lshl_add_u32 v13, v13, 23, v14
	v_or3_b32 v11, v12, v13, v11
.LBB13_1152:
	s_or_b64 exec, exec, s[6:7]
	s_nop 0
	v_mfma_f32_16x16x4f32 a[0:3], v10, v11, a[0:3]
	s_movk_i32 s4, 0x7f
	v_cmp_gt_i16_sdwa s[6:7], v6, s4 src0_sel:BYTE_0 src1_sel:DWORD
	s_mov_b64 s[4:5], 0
                                        ; implicit-def: $sgpr10
	s_and_saveexec_b64 s[8:9], s[6:7]
	s_xor_b64 s[6:7], exec, s[8:9]
	s_cbranch_execnz .LBB13_3201
; %bb.1153:
	s_or_saveexec_b64 s[6:7], s[6:7]
	v_mov_b32_e32 v10, s10
	s_xor_b64 exec, exec, s[6:7]
	s_cbranch_execnz .LBB13_3204
.LBB13_1154:
	s_or_b64 exec, exec, s[6:7]
	s_and_saveexec_b64 s[6:7], s[4:5]
	s_cbranch_execz .LBB13_1156
.LBB13_1155:
	v_and_b32_e32 v10, 7, v6
	v_ffbh_u32_e32 v12, v10
	v_min_u32_e32 v12, 32, v12
	v_lshrrev_b16_e32 v11, 3, v6
	v_subrev_u32_e32 v13, 28, v12
	v_and_b32_e32 v11, 15, v11
	v_lshlrev_b32_e32 v13, v13, v6
	v_sub_u32_e32 v12, 29, v12
	v_and_b32_e32 v13, 7, v13
	v_cmp_eq_u16_e32 vcc, 0, v11
	v_cndmask_b32_e32 v10, v10, v13, vcc
	v_cndmask_b32_e32 v11, v11, v12, vcc
	v_lshlrev_b32_e32 v12, 24, v6
	v_mov_b32_e32 v13, 0x3b800000
	v_lshlrev_b32_e32 v10, 20, v10
	v_and_b32_e32 v12, 0x80000000, v12
	v_lshl_add_u32 v11, v11, 23, v13
	v_or3_b32 v10, v12, v11, v10
.LBB13_1156:
	s_or_b64 exec, exec, s[6:7]
	s_movk_i32 s4, 0x7f
	v_cmp_gt_i16_sdwa s[6:7], v2, s4 src0_sel:BYTE_0 src1_sel:DWORD
	s_mov_b64 s[4:5], 0
                                        ; implicit-def: $sgpr10
	s_and_saveexec_b64 s[8:9], s[6:7]
	s_xor_b64 s[6:7], exec, s[8:9]
	s_cbranch_execnz .LBB13_3205
; %bb.1157:
	s_or_saveexec_b64 s[6:7], s[6:7]
	v_mov_b32_e32 v11, s10
	s_xor_b64 exec, exec, s[6:7]
	s_cbranch_execnz .LBB13_3208
.LBB13_1158:
	s_or_b64 exec, exec, s[6:7]
	s_and_saveexec_b64 s[6:7], s[4:5]
	s_cbranch_execz .LBB13_1160
.LBB13_1159:
	v_and_b32_e32 v11, 7, v2
	v_ffbh_u32_e32 v13, v11
	v_min_u32_e32 v13, 32, v13
	v_lshrrev_b16_e32 v12, 3, v2
	v_subrev_u32_e32 v14, 28, v13
	v_and_b32_e32 v12, 15, v12
	v_lshlrev_b32_e32 v14, v14, v2
	v_sub_u32_e32 v13, 29, v13
	v_and_b32_e32 v14, 7, v14
	v_cmp_eq_u16_e32 vcc, 0, v12
	v_cndmask_b32_e32 v11, v11, v14, vcc
	v_cndmask_b32_e32 v12, v12, v13, vcc
	v_lshlrev_b32_e32 v13, 24, v2
	v_mov_b32_e32 v14, 0x3b800000
	v_lshlrev_b32_e32 v11, 20, v11
	v_and_b32_e32 v13, 0x80000000, v13
	v_lshl_add_u32 v12, v12, 23, v14
	v_or3_b32 v11, v13, v12, v11
.LBB13_1160:
	s_or_b64 exec, exec, s[6:7]
	s_nop 0
	v_mfma_f32_16x16x4f32 a[0:3], v10, v11, a[0:3]
	v_lshrrev_b32_e32 v11, 8, v6
	s_movk_i32 s4, 0x7f
	v_cmp_gt_i16_sdwa s[6:7], v11, s4 src0_sel:BYTE_0 src1_sel:DWORD
	s_mov_b64 s[4:5], 0
                                        ; implicit-def: $sgpr10
	s_and_saveexec_b64 s[8:9], s[6:7]
	s_xor_b64 s[6:7], exec, s[8:9]
	s_cbranch_execnz .LBB13_3209
; %bb.1161:
	s_or_saveexec_b64 s[6:7], s[6:7]
	v_mov_b32_e32 v10, s10
	s_xor_b64 exec, exec, s[6:7]
	s_cbranch_execnz .LBB13_3212
.LBB13_1162:
	s_or_b64 exec, exec, s[6:7]
	s_and_saveexec_b64 s[6:7], s[4:5]
	s_cbranch_execz .LBB13_1164
.LBB13_1163:
	v_bfe_u32 v10, v6, 8, 3
	v_ffbh_u32_e32 v13, v10
	v_min_u32_e32 v13, 32, v13
	v_lshrrev_b16_e32 v12, 3, v11
	v_subrev_u32_e32 v14, 28, v13
	v_and_b32_e32 v12, 15, v12
	v_lshlrev_b32_e32 v11, v14, v11
	v_sub_u32_e32 v13, 29, v13
	v_and_b32_e32 v11, 7, v11
	v_cmp_eq_u16_e32 vcc, 0, v12
	v_cndmask_b32_e32 v10, v10, v11, vcc
	v_cndmask_b32_e32 v11, v12, v13, vcc
	v_lshlrev_b32_e32 v12, 16, v6
	v_mov_b32_e32 v13, 0x3b800000
	v_lshlrev_b32_e32 v10, 20, v10
	v_and_b32_e32 v12, 0x80000000, v12
	v_lshl_add_u32 v11, v11, 23, v13
	v_or3_b32 v10, v12, v11, v10
.LBB13_1164:
	s_or_b64 exec, exec, s[6:7]
	v_lshrrev_b32_e32 v11, 8, v2
	s_movk_i32 s4, 0x7f
	v_cmp_gt_i16_sdwa s[6:7], v11, s4 src0_sel:BYTE_0 src1_sel:DWORD
	s_mov_b64 s[4:5], 0
                                        ; implicit-def: $sgpr10
	s_and_saveexec_b64 s[8:9], s[6:7]
	s_xor_b64 s[6:7], exec, s[8:9]
	s_cbranch_execnz .LBB13_3213
; %bb.1165:
	s_or_saveexec_b64 s[6:7], s[6:7]
	v_mov_b32_e32 v12, s10
	s_xor_b64 exec, exec, s[6:7]
	s_cbranch_execnz .LBB13_3216
.LBB13_1166:
	s_or_b64 exec, exec, s[6:7]
	s_and_saveexec_b64 s[6:7], s[4:5]
	s_cbranch_execz .LBB13_1168
.LBB13_1167:
	v_bfe_u32 v12, v2, 8, 3
	v_ffbh_u32_e32 v14, v12
	v_min_u32_e32 v14, 32, v14
	v_lshrrev_b16_e32 v13, 3, v11
	v_subrev_u32_e32 v15, 28, v14
	v_and_b32_e32 v13, 15, v13
	v_lshlrev_b32_e32 v11, v15, v11
	v_sub_u32_e32 v14, 29, v14
	v_and_b32_e32 v11, 7, v11
	v_cmp_eq_u16_e32 vcc, 0, v13
	v_cndmask_b32_e32 v11, v12, v11, vcc
	v_cndmask_b32_e32 v12, v13, v14, vcc
	v_lshlrev_b32_e32 v13, 16, v2
	v_mov_b32_e32 v14, 0x3b800000
	v_lshlrev_b32_e32 v11, 20, v11
	v_and_b32_e32 v13, 0x80000000, v13
	v_lshl_add_u32 v12, v12, 23, v14
	v_or3_b32 v12, v13, v12, v11
.LBB13_1168:
	s_or_b64 exec, exec, s[6:7]
	s_nop 0
	v_mfma_f32_16x16x4f32 a[0:3], v10, v12, a[0:3]
	s_movk_i32 s4, 0xff
	v_and_b32_sdwa v11, v6, s4 dst_sel:DWORD dst_unused:UNUSED_PAD src0_sel:WORD_1 src1_sel:DWORD
	s_movk_i32 s4, 0x7f
	v_cmp_lt_i16_e32 vcc, s4, v11
	s_mov_b64 s[4:5], 0
                                        ; implicit-def: $sgpr10
	s_and_saveexec_b64 s[6:7], vcc
	s_xor_b64 s[6:7], exec, s[6:7]
	s_cbranch_execnz .LBB13_3217
; %bb.1169:
	s_or_saveexec_b64 s[6:7], s[6:7]
	v_mov_b32_e32 v10, s10
	s_xor_b64 exec, exec, s[6:7]
	s_cbranch_execnz .LBB13_3220
.LBB13_1170:
	s_or_b64 exec, exec, s[6:7]
	s_and_saveexec_b64 s[6:7], s[4:5]
	s_cbranch_execz .LBB13_1172
.LBB13_1171:
	v_bfe_u32 v10, v6, 16, 3
	v_ffbh_u32_e32 v13, v10
	v_min_u32_e32 v13, 32, v13
	v_lshrrev_b32_e32 v11, 19, v6
	v_subrev_u32_e32 v14, 28, v13
	v_and_b32_e32 v11, 15, v11
	v_lshlrev_b32_sdwa v14, v14, v6 dst_sel:DWORD dst_unused:UNUSED_PAD src0_sel:DWORD src1_sel:WORD_1
	v_bfe_u32 v12, v6, 19, 4
	v_sub_u32_e32 v13, 29, v13
	v_and_b32_e32 v14, 7, v14
	v_cmp_eq_u16_e32 vcc, 0, v11
	v_cndmask_b32_e32 v10, v10, v14, vcc
	v_cndmask_b32_e32 v11, v12, v13, vcc
	v_lshlrev_b32_e32 v12, 8, v6
	v_mov_b32_e32 v13, 0x3b800000
	v_lshlrev_b32_e32 v10, 20, v10
	v_and_b32_e32 v12, 0x80000000, v12
	v_lshl_add_u32 v11, v11, 23, v13
	v_or3_b32 v10, v12, v11, v10
.LBB13_1172:
	s_or_b64 exec, exec, s[6:7]
	s_movk_i32 s4, 0xff
	v_and_b32_sdwa v11, v2, s4 dst_sel:DWORD dst_unused:UNUSED_PAD src0_sel:WORD_1 src1_sel:DWORD
	s_movk_i32 s4, 0x7f
	v_cmp_lt_i16_e32 vcc, s4, v11
	s_mov_b64 s[4:5], 0
                                        ; implicit-def: $sgpr10
	s_and_saveexec_b64 s[6:7], vcc
	s_xor_b64 s[6:7], exec, s[6:7]
	s_cbranch_execnz .LBB13_3221
; %bb.1173:
	s_or_saveexec_b64 s[6:7], s[6:7]
	v_mov_b32_e32 v12, s10
	s_xor_b64 exec, exec, s[6:7]
	s_cbranch_execnz .LBB13_3224
.LBB13_1174:
	s_or_b64 exec, exec, s[6:7]
	s_and_saveexec_b64 s[6:7], s[4:5]
	s_cbranch_execz .LBB13_1176
.LBB13_1175:
	v_bfe_u32 v11, v2, 16, 3
	v_ffbh_u32_e32 v14, v11
	v_min_u32_e32 v14, 32, v14
	v_lshrrev_b32_e32 v12, 19, v2
	v_subrev_u32_e32 v15, 28, v14
	v_and_b32_e32 v12, 15, v12
	v_lshlrev_b32_sdwa v15, v15, v2 dst_sel:DWORD dst_unused:UNUSED_PAD src0_sel:DWORD src1_sel:WORD_1
	v_bfe_u32 v13, v2, 19, 4
	v_sub_u32_e32 v14, 29, v14
	v_and_b32_e32 v15, 7, v15
	v_cmp_eq_u16_e32 vcc, 0, v12
	v_cndmask_b32_e32 v11, v11, v15, vcc
	v_cndmask_b32_e32 v12, v13, v14, vcc
	v_lshlrev_b32_e32 v13, 8, v2
	v_mov_b32_e32 v14, 0x3b800000
	v_lshlrev_b32_e32 v11, 20, v11
	v_and_b32_e32 v13, 0x80000000, v13
	v_lshl_add_u32 v12, v12, 23, v14
	v_or3_b32 v12, v13, v12, v11
.LBB13_1176:
	s_or_b64 exec, exec, s[6:7]
	s_nop 0
	v_mfma_f32_16x16x4f32 a[0:3], v10, v12, a[0:3]
	s_movk_i32 s4, 0x7f
	v_cmp_gt_i16_sdwa s[6:7], v6, s4 src0_sel:BYTE_3 src1_sel:DWORD
	s_mov_b64 s[4:5], 0
                                        ; implicit-def: $sgpr10
	s_and_saveexec_b64 s[8:9], s[6:7]
	s_xor_b64 s[6:7], exec, s[8:9]
	s_cbranch_execnz .LBB13_3225
; %bb.1177:
	s_or_saveexec_b64 s[6:7], s[6:7]
	v_mov_b32_e32 v10, s10
	s_xor_b64 exec, exec, s[6:7]
	s_cbranch_execnz .LBB13_3228
.LBB13_1178:
	s_or_b64 exec, exec, s[6:7]
	s_and_saveexec_b64 s[6:7], s[4:5]
	s_cbranch_execz .LBB13_1180
.LBB13_1179:
	v_bfe_u32 v10, v6, 24, 3
	v_ffbh_u32_e32 v14, v10
	v_min_u32_e32 v14, 32, v14
	v_lshrrev_b32_e32 v12, 27, v6
	v_subrev_u32_e32 v15, 28, v14
	v_and_b32_e32 v11, 0x80000000, v6
	v_and_b32_e32 v12, 15, v12
	v_bfe_u32 v13, v6, 27, 4
	v_lshlrev_b32_sdwa v6, v15, v6 dst_sel:DWORD dst_unused:UNUSED_PAD src0_sel:DWORD src1_sel:BYTE_3
	v_sub_u32_e32 v14, 29, v14
	v_and_b32_e32 v6, 7, v6
	v_cmp_eq_u16_e32 vcc, 0, v12
	v_cndmask_b32_e32 v6, v10, v6, vcc
	v_cndmask_b32_e32 v10, v13, v14, vcc
	v_mov_b32_e32 v12, 0x3b800000
	v_lshlrev_b32_e32 v6, 20, v6
	v_lshl_add_u32 v10, v10, 23, v12
	v_or3_b32 v10, v11, v10, v6
.LBB13_1180:
	s_or_b64 exec, exec, s[6:7]
	s_movk_i32 s4, 0x7f
	v_cmp_gt_i16_sdwa s[6:7], v2, s4 src0_sel:BYTE_3 src1_sel:DWORD
	s_mov_b64 s[4:5], 0
                                        ; implicit-def: $sgpr10
	s_and_saveexec_b64 s[8:9], s[6:7]
	s_xor_b64 s[6:7], exec, s[8:9]
	s_cbranch_execnz .LBB13_3229
; %bb.1181:
	s_or_saveexec_b64 s[6:7], s[6:7]
	v_mov_b32_e32 v6, s10
	s_xor_b64 exec, exec, s[6:7]
	s_cbranch_execnz .LBB13_3232
.LBB13_1182:
	s_or_b64 exec, exec, s[6:7]
	s_and_saveexec_b64 s[6:7], s[4:5]
	s_cbranch_execz .LBB13_1184
.LBB13_1183:
	v_bfe_u32 v6, v2, 24, 3
	v_ffbh_u32_e32 v14, v6
	v_min_u32_e32 v14, 32, v14
	v_lshrrev_b32_e32 v12, 27, v2
	v_subrev_u32_e32 v15, 28, v14
	v_and_b32_e32 v11, 0x80000000, v2
	v_and_b32_e32 v12, 15, v12
	v_bfe_u32 v13, v2, 27, 4
	v_lshlrev_b32_sdwa v2, v15, v2 dst_sel:DWORD dst_unused:UNUSED_PAD src0_sel:DWORD src1_sel:BYTE_3
	v_sub_u32_e32 v14, 29, v14
	v_and_b32_e32 v2, 7, v2
	v_cmp_eq_u16_e32 vcc, 0, v12
	v_cndmask_b32_e32 v2, v6, v2, vcc
	v_cndmask_b32_e32 v6, v13, v14, vcc
	v_mov_b32_e32 v12, 0x3b800000
	v_lshlrev_b32_e32 v2, 20, v2
	v_lshl_add_u32 v6, v6, 23, v12
	v_or3_b32 v6, v11, v6, v2
.LBB13_1184:
	s_or_b64 exec, exec, s[6:7]
	s_nop 0
	v_mfma_f32_16x16x4f32 a[0:3], v10, v6, a[0:3]
	s_movk_i32 s4, 0x7f
	v_cmp_gt_i16_sdwa s[6:7], v7, s4 src0_sel:BYTE_0 src1_sel:DWORD
	s_mov_b64 s[4:5], 0
                                        ; implicit-def: $sgpr10
	s_and_saveexec_b64 s[8:9], s[6:7]
	s_xor_b64 s[6:7], exec, s[8:9]
	s_cbranch_execnz .LBB13_3233
; %bb.1185:
	s_or_saveexec_b64 s[6:7], s[6:7]
	v_mov_b32_e32 v2, s10
	s_xor_b64 exec, exec, s[6:7]
	s_cbranch_execnz .LBB13_3236
.LBB13_1186:
	s_or_b64 exec, exec, s[6:7]
	s_and_saveexec_b64 s[6:7], s[4:5]
	s_cbranch_execz .LBB13_1188
.LBB13_1187:
	v_and_b32_e32 v2, 7, v7
	v_ffbh_u32_e32 v10, v2
	v_min_u32_e32 v10, 32, v10
	v_lshrrev_b16_e32 v6, 3, v7
	v_subrev_u32_e32 v11, 28, v10
	v_and_b32_e32 v6, 15, v6
	v_lshlrev_b32_e32 v11, v11, v7
	v_sub_u32_e32 v10, 29, v10
	v_and_b32_e32 v11, 7, v11
	v_cmp_eq_u16_e32 vcc, 0, v6
	v_cndmask_b32_e32 v2, v2, v11, vcc
	v_cndmask_b32_e32 v6, v6, v10, vcc
	v_lshlrev_b32_e32 v10, 24, v7
	v_mov_b32_e32 v11, 0x3b800000
	v_lshlrev_b32_e32 v2, 20, v2
	v_and_b32_e32 v10, 0x80000000, v10
	v_lshl_add_u32 v6, v6, 23, v11
	v_or3_b32 v2, v10, v6, v2
.LBB13_1188:
	s_or_b64 exec, exec, s[6:7]
	s_movk_i32 s4, 0x7f
	v_cmp_gt_i16_sdwa s[6:7], v3, s4 src0_sel:BYTE_0 src1_sel:DWORD
	s_mov_b64 s[4:5], 0
                                        ; implicit-def: $sgpr10
	s_and_saveexec_b64 s[8:9], s[6:7]
	s_xor_b64 s[6:7], exec, s[8:9]
	s_cbranch_execnz .LBB13_3237
; %bb.1189:
	s_or_saveexec_b64 s[6:7], s[6:7]
	v_mov_b32_e32 v6, s10
	s_xor_b64 exec, exec, s[6:7]
	s_cbranch_execnz .LBB13_3240
.LBB13_1190:
	s_or_b64 exec, exec, s[6:7]
	s_and_saveexec_b64 s[6:7], s[4:5]
	s_cbranch_execz .LBB13_1192
.LBB13_1191:
	v_and_b32_e32 v6, 7, v3
	v_ffbh_u32_e32 v11, v6
	v_min_u32_e32 v11, 32, v11
	v_lshrrev_b16_e32 v10, 3, v3
	v_subrev_u32_e32 v12, 28, v11
	v_and_b32_e32 v10, 15, v10
	v_lshlrev_b32_e32 v12, v12, v3
	v_sub_u32_e32 v11, 29, v11
	v_and_b32_e32 v12, 7, v12
	v_cmp_eq_u16_e32 vcc, 0, v10
	v_cndmask_b32_e32 v6, v6, v12, vcc
	v_cndmask_b32_e32 v10, v10, v11, vcc
	v_lshlrev_b32_e32 v11, 24, v3
	v_mov_b32_e32 v12, 0x3b800000
	v_lshlrev_b32_e32 v6, 20, v6
	v_and_b32_e32 v11, 0x80000000, v11
	v_lshl_add_u32 v10, v10, 23, v12
	v_or3_b32 v6, v11, v10, v6
.LBB13_1192:
	s_or_b64 exec, exec, s[6:7]
	s_nop 0
	v_mfma_f32_16x16x4f32 a[0:3], v2, v6, a[0:3]
	v_lshrrev_b32_e32 v6, 8, v7
	s_movk_i32 s4, 0x7f
	v_cmp_gt_i16_sdwa s[6:7], v6, s4 src0_sel:BYTE_0 src1_sel:DWORD
	s_mov_b64 s[4:5], 0
                                        ; implicit-def: $sgpr10
	s_and_saveexec_b64 s[8:9], s[6:7]
	s_xor_b64 s[6:7], exec, s[8:9]
	s_cbranch_execnz .LBB13_3241
; %bb.1193:
	s_or_saveexec_b64 s[6:7], s[6:7]
	v_mov_b32_e32 v2, s10
	s_xor_b64 exec, exec, s[6:7]
	s_cbranch_execnz .LBB13_3244
.LBB13_1194:
	s_or_b64 exec, exec, s[6:7]
	s_and_saveexec_b64 s[6:7], s[4:5]
	s_cbranch_execz .LBB13_1196
.LBB13_1195:
	v_bfe_u32 v2, v7, 8, 3
	v_ffbh_u32_e32 v11, v2
	v_min_u32_e32 v11, 32, v11
	v_lshrrev_b16_e32 v10, 3, v6
	v_subrev_u32_e32 v12, 28, v11
	v_and_b32_e32 v10, 15, v10
	v_lshlrev_b32_e32 v6, v12, v6
	v_sub_u32_e32 v11, 29, v11
	v_and_b32_e32 v6, 7, v6
	v_cmp_eq_u16_e32 vcc, 0, v10
	v_cndmask_b32_e32 v2, v2, v6, vcc
	v_cndmask_b32_e32 v6, v10, v11, vcc
	v_lshlrev_b32_e32 v10, 16, v7
	v_mov_b32_e32 v11, 0x3b800000
	v_lshlrev_b32_e32 v2, 20, v2
	v_and_b32_e32 v10, 0x80000000, v10
	v_lshl_add_u32 v6, v6, 23, v11
	v_or3_b32 v2, v10, v6, v2
.LBB13_1196:
	s_or_b64 exec, exec, s[6:7]
	v_lshrrev_b32_e32 v6, 8, v3
	s_movk_i32 s4, 0x7f
	v_cmp_gt_i16_sdwa s[6:7], v6, s4 src0_sel:BYTE_0 src1_sel:DWORD
	s_mov_b64 s[4:5], 0
                                        ; implicit-def: $sgpr10
	s_and_saveexec_b64 s[8:9], s[6:7]
	s_xor_b64 s[6:7], exec, s[8:9]
	s_cbranch_execnz .LBB13_3245
; %bb.1197:
	s_or_saveexec_b64 s[6:7], s[6:7]
	v_mov_b32_e32 v10, s10
	s_xor_b64 exec, exec, s[6:7]
	s_cbranch_execnz .LBB13_3248
.LBB13_1198:
	s_or_b64 exec, exec, s[6:7]
	s_and_saveexec_b64 s[6:7], s[4:5]
	s_cbranch_execz .LBB13_1200
.LBB13_1199:
	v_bfe_u32 v10, v3, 8, 3
	v_ffbh_u32_e32 v12, v10
	v_min_u32_e32 v12, 32, v12
	v_lshrrev_b16_e32 v11, 3, v6
	v_subrev_u32_e32 v13, 28, v12
	v_and_b32_e32 v11, 15, v11
	v_lshlrev_b32_e32 v6, v13, v6
	v_sub_u32_e32 v12, 29, v12
	v_and_b32_e32 v6, 7, v6
	v_cmp_eq_u16_e32 vcc, 0, v11
	v_cndmask_b32_e32 v6, v10, v6, vcc
	v_cndmask_b32_e32 v10, v11, v12, vcc
	v_lshlrev_b32_e32 v11, 16, v3
	v_mov_b32_e32 v12, 0x3b800000
	v_lshlrev_b32_e32 v6, 20, v6
	v_and_b32_e32 v11, 0x80000000, v11
	v_lshl_add_u32 v10, v10, 23, v12
	v_or3_b32 v10, v11, v10, v6
.LBB13_1200:
	s_or_b64 exec, exec, s[6:7]
	s_nop 0
	v_mfma_f32_16x16x4f32 a[0:3], v2, v10, a[0:3]
	s_movk_i32 s4, 0xff
	v_and_b32_sdwa v6, v7, s4 dst_sel:DWORD dst_unused:UNUSED_PAD src0_sel:WORD_1 src1_sel:DWORD
	s_movk_i32 s4, 0x7f
	v_cmp_lt_i16_e32 vcc, s4, v6
	s_mov_b64 s[4:5], 0
                                        ; implicit-def: $sgpr10
	s_and_saveexec_b64 s[6:7], vcc
	s_xor_b64 s[6:7], exec, s[6:7]
	s_cbranch_execnz .LBB13_3249
; %bb.1201:
	s_or_saveexec_b64 s[6:7], s[6:7]
	v_mov_b32_e32 v2, s10
	s_xor_b64 exec, exec, s[6:7]
	s_cbranch_execnz .LBB13_3252
.LBB13_1202:
	s_or_b64 exec, exec, s[6:7]
	s_and_saveexec_b64 s[6:7], s[4:5]
	s_cbranch_execz .LBB13_1204
.LBB13_1203:
	v_bfe_u32 v2, v7, 16, 3
	v_ffbh_u32_e32 v11, v2
	v_min_u32_e32 v11, 32, v11
	v_lshrrev_b32_e32 v6, 19, v7
	v_subrev_u32_e32 v12, 28, v11
	v_and_b32_e32 v6, 15, v6
	v_lshlrev_b32_sdwa v12, v12, v7 dst_sel:DWORD dst_unused:UNUSED_PAD src0_sel:DWORD src1_sel:WORD_1
	v_bfe_u32 v10, v7, 19, 4
	v_sub_u32_e32 v11, 29, v11
	v_and_b32_e32 v12, 7, v12
	v_cmp_eq_u16_e32 vcc, 0, v6
	v_cndmask_b32_e32 v2, v2, v12, vcc
	v_cndmask_b32_e32 v6, v10, v11, vcc
	v_lshlrev_b32_e32 v10, 8, v7
	v_mov_b32_e32 v11, 0x3b800000
	v_lshlrev_b32_e32 v2, 20, v2
	v_and_b32_e32 v10, 0x80000000, v10
	v_lshl_add_u32 v6, v6, 23, v11
	v_or3_b32 v2, v10, v6, v2
.LBB13_1204:
	s_or_b64 exec, exec, s[6:7]
	s_movk_i32 s4, 0xff
	v_and_b32_sdwa v6, v3, s4 dst_sel:DWORD dst_unused:UNUSED_PAD src0_sel:WORD_1 src1_sel:DWORD
	s_movk_i32 s4, 0x7f
	v_cmp_lt_i16_e32 vcc, s4, v6
	s_mov_b64 s[4:5], 0
                                        ; implicit-def: $sgpr10
	s_and_saveexec_b64 s[6:7], vcc
	s_xor_b64 s[6:7], exec, s[6:7]
	s_cbranch_execnz .LBB13_3253
; %bb.1205:
	s_or_saveexec_b64 s[6:7], s[6:7]
	v_mov_b32_e32 v10, s10
	s_xor_b64 exec, exec, s[6:7]
	s_cbranch_execnz .LBB13_3256
.LBB13_1206:
	s_or_b64 exec, exec, s[6:7]
	s_and_saveexec_b64 s[6:7], s[4:5]
	s_cbranch_execz .LBB13_1208
.LBB13_1207:
	v_bfe_u32 v6, v3, 16, 3
	v_ffbh_u32_e32 v12, v6
	v_min_u32_e32 v12, 32, v12
	v_lshrrev_b32_e32 v10, 19, v3
	v_subrev_u32_e32 v13, 28, v12
	v_and_b32_e32 v10, 15, v10
	v_lshlrev_b32_sdwa v13, v13, v3 dst_sel:DWORD dst_unused:UNUSED_PAD src0_sel:DWORD src1_sel:WORD_1
	v_bfe_u32 v11, v3, 19, 4
	v_sub_u32_e32 v12, 29, v12
	v_and_b32_e32 v13, 7, v13
	v_cmp_eq_u16_e32 vcc, 0, v10
	v_cndmask_b32_e32 v6, v6, v13, vcc
	v_cndmask_b32_e32 v10, v11, v12, vcc
	v_lshlrev_b32_e32 v11, 8, v3
	v_mov_b32_e32 v12, 0x3b800000
	v_lshlrev_b32_e32 v6, 20, v6
	v_and_b32_e32 v11, 0x80000000, v11
	v_lshl_add_u32 v10, v10, 23, v12
	v_or3_b32 v10, v11, v10, v6
.LBB13_1208:
	s_or_b64 exec, exec, s[6:7]
	s_nop 0
	v_mfma_f32_16x16x4f32 a[0:3], v2, v10, a[0:3]
	s_movk_i32 s4, 0x7f
	v_cmp_gt_i16_sdwa s[6:7], v7, s4 src0_sel:BYTE_3 src1_sel:DWORD
	s_mov_b64 s[4:5], 0
                                        ; implicit-def: $sgpr10
	s_and_saveexec_b64 s[8:9], s[6:7]
	s_xor_b64 s[6:7], exec, s[8:9]
	s_cbranch_execnz .LBB13_3257
; %bb.1209:
	s_or_saveexec_b64 s[6:7], s[6:7]
	v_mov_b32_e32 v2, s10
	s_xor_b64 exec, exec, s[6:7]
	s_cbranch_execnz .LBB13_3260
.LBB13_1210:
	s_or_b64 exec, exec, s[6:7]
	s_and_saveexec_b64 s[6:7], s[4:5]
	s_cbranch_execz .LBB13_1212
.LBB13_1211:
	v_bfe_u32 v2, v7, 24, 3
	v_ffbh_u32_e32 v12, v2
	v_min_u32_e32 v12, 32, v12
	v_lshrrev_b32_e32 v10, 27, v7
	v_subrev_u32_e32 v13, 28, v12
	v_and_b32_e32 v6, 0x80000000, v7
	v_and_b32_e32 v10, 15, v10
	v_bfe_u32 v11, v7, 27, 4
	v_lshlrev_b32_sdwa v7, v13, v7 dst_sel:DWORD dst_unused:UNUSED_PAD src0_sel:DWORD src1_sel:BYTE_3
	v_sub_u32_e32 v12, 29, v12
	v_and_b32_e32 v7, 7, v7
	v_cmp_eq_u16_e32 vcc, 0, v10
	v_cndmask_b32_e32 v2, v2, v7, vcc
	v_cndmask_b32_e32 v7, v11, v12, vcc
	v_mov_b32_e32 v10, 0x3b800000
	v_lshlrev_b32_e32 v2, 20, v2
	v_lshl_add_u32 v7, v7, 23, v10
	v_or3_b32 v2, v6, v7, v2
.LBB13_1212:
	s_or_b64 exec, exec, s[6:7]
	s_movk_i32 s4, 0x7f
	v_cmp_gt_i16_sdwa s[6:7], v3, s4 src0_sel:BYTE_3 src1_sel:DWORD
	s_mov_b64 s[4:5], 0
                                        ; implicit-def: $sgpr10
	s_and_saveexec_b64 s[8:9], s[6:7]
	s_xor_b64 s[6:7], exec, s[8:9]
	s_cbranch_execnz .LBB13_3261
; %bb.1213:
	s_or_saveexec_b64 s[6:7], s[6:7]
	v_mov_b32_e32 v6, s10
	s_xor_b64 exec, exec, s[6:7]
	s_cbranch_execnz .LBB13_3264
.LBB13_1214:
	s_or_b64 exec, exec, s[6:7]
	s_and_saveexec_b64 s[6:7], s[4:5]
	s_cbranch_execz .LBB13_1216
.LBB13_1215:
	v_bfe_u32 v6, v3, 24, 3
	v_ffbh_u32_e32 v12, v6
	v_min_u32_e32 v12, 32, v12
	v_lshrrev_b32_e32 v10, 27, v3
	v_subrev_u32_e32 v13, 28, v12
	v_and_b32_e32 v7, 0x80000000, v3
	v_and_b32_e32 v10, 15, v10
	v_bfe_u32 v11, v3, 27, 4
	v_lshlrev_b32_sdwa v3, v13, v3 dst_sel:DWORD dst_unused:UNUSED_PAD src0_sel:DWORD src1_sel:BYTE_3
	v_sub_u32_e32 v12, 29, v12
	v_and_b32_e32 v3, 7, v3
	v_cmp_eq_u16_e32 vcc, 0, v10
	v_cndmask_b32_e32 v3, v6, v3, vcc
	v_cndmask_b32_e32 v6, v11, v12, vcc
	v_mov_b32_e32 v10, 0x3b800000
	v_lshlrev_b32_e32 v3, 20, v3
	v_lshl_add_u32 v6, v6, 23, v10
	v_or3_b32 v6, v7, v6, v3
.LBB13_1216:
	s_or_b64 exec, exec, s[6:7]
	s_nop 0
	v_mfma_f32_16x16x4f32 a[0:3], v2, v6, a[0:3]
	s_movk_i32 s4, 0x7f
	v_cmp_gt_i16_sdwa s[6:7], v8, s4 src0_sel:BYTE_0 src1_sel:DWORD
	s_mov_b64 s[4:5], 0
                                        ; implicit-def: $sgpr10
	s_and_saveexec_b64 s[8:9], s[6:7]
	s_xor_b64 s[6:7], exec, s[8:9]
	s_cbranch_execnz .LBB13_3265
; %bb.1217:
	s_or_saveexec_b64 s[6:7], s[6:7]
	v_mov_b32_e32 v2, s10
	s_xor_b64 exec, exec, s[6:7]
	s_cbranch_execnz .LBB13_3268
.LBB13_1218:
	s_or_b64 exec, exec, s[6:7]
	s_and_saveexec_b64 s[6:7], s[4:5]
	s_cbranch_execz .LBB13_1220
.LBB13_1219:
	v_and_b32_e32 v2, 7, v8
	v_ffbh_u32_e32 v6, v2
	v_min_u32_e32 v6, 32, v6
	v_lshrrev_b16_e32 v3, 3, v8
	v_subrev_u32_e32 v7, 28, v6
	v_and_b32_e32 v3, 15, v3
	v_lshlrev_b32_e32 v7, v7, v8
	v_sub_u32_e32 v6, 29, v6
	v_and_b32_e32 v7, 7, v7
	v_cmp_eq_u16_e32 vcc, 0, v3
	v_cndmask_b32_e32 v2, v2, v7, vcc
	v_cndmask_b32_e32 v3, v3, v6, vcc
	v_lshlrev_b32_e32 v6, 24, v8
	v_mov_b32_e32 v7, 0x3b800000
	v_lshlrev_b32_e32 v2, 20, v2
	v_and_b32_e32 v6, 0x80000000, v6
	v_lshl_add_u32 v3, v3, 23, v7
	v_or3_b32 v2, v6, v3, v2
.LBB13_1220:
	s_or_b64 exec, exec, s[6:7]
	s_movk_i32 s4, 0x7f
	v_cmp_gt_i16_sdwa s[6:7], v4, s4 src0_sel:BYTE_0 src1_sel:DWORD
	s_mov_b64 s[4:5], 0
                                        ; implicit-def: $sgpr10
	s_and_saveexec_b64 s[8:9], s[6:7]
	s_xor_b64 s[6:7], exec, s[8:9]
	s_cbranch_execnz .LBB13_3269
; %bb.1221:
	s_or_saveexec_b64 s[6:7], s[6:7]
	v_mov_b32_e32 v3, s10
	s_xor_b64 exec, exec, s[6:7]
	s_cbranch_execnz .LBB13_3272
.LBB13_1222:
	s_or_b64 exec, exec, s[6:7]
	s_and_saveexec_b64 s[6:7], s[4:5]
	s_cbranch_execz .LBB13_1224
.LBB13_1223:
	v_and_b32_e32 v3, 7, v4
	v_ffbh_u32_e32 v7, v3
	v_min_u32_e32 v7, 32, v7
	v_lshrrev_b16_e32 v6, 3, v4
	v_subrev_u32_e32 v10, 28, v7
	v_and_b32_e32 v6, 15, v6
	v_lshlrev_b32_e32 v10, v10, v4
	v_sub_u32_e32 v7, 29, v7
	v_and_b32_e32 v10, 7, v10
	v_cmp_eq_u16_e32 vcc, 0, v6
	v_cndmask_b32_e32 v3, v3, v10, vcc
	v_cndmask_b32_e32 v6, v6, v7, vcc
	v_lshlrev_b32_e32 v7, 24, v4
	v_mov_b32_e32 v10, 0x3b800000
	v_lshlrev_b32_e32 v3, 20, v3
	v_and_b32_e32 v7, 0x80000000, v7
	v_lshl_add_u32 v6, v6, 23, v10
	v_or3_b32 v3, v7, v6, v3
.LBB13_1224:
	s_or_b64 exec, exec, s[6:7]
	s_nop 0
	v_mfma_f32_16x16x4f32 a[0:3], v2, v3, a[0:3]
	v_lshrrev_b32_e32 v3, 8, v8
	s_movk_i32 s4, 0x7f
	v_cmp_gt_i16_sdwa s[6:7], v3, s4 src0_sel:BYTE_0 src1_sel:DWORD
	s_mov_b64 s[4:5], 0
                                        ; implicit-def: $sgpr10
	s_and_saveexec_b64 s[8:9], s[6:7]
	s_xor_b64 s[6:7], exec, s[8:9]
	s_cbranch_execnz .LBB13_3273
; %bb.1225:
	s_or_saveexec_b64 s[6:7], s[6:7]
	v_mov_b32_e32 v2, s10
	s_xor_b64 exec, exec, s[6:7]
	s_cbranch_execnz .LBB13_3276
.LBB13_1226:
	s_or_b64 exec, exec, s[6:7]
	s_and_saveexec_b64 s[6:7], s[4:5]
	s_cbranch_execz .LBB13_1228
.LBB13_1227:
	v_bfe_u32 v2, v8, 8, 3
	v_ffbh_u32_e32 v7, v2
	v_min_u32_e32 v7, 32, v7
	v_lshrrev_b16_e32 v6, 3, v3
	v_subrev_u32_e32 v10, 28, v7
	v_and_b32_e32 v6, 15, v6
	v_lshlrev_b32_e32 v3, v10, v3
	v_sub_u32_e32 v7, 29, v7
	v_and_b32_e32 v3, 7, v3
	v_cmp_eq_u16_e32 vcc, 0, v6
	v_cndmask_b32_e32 v2, v2, v3, vcc
	v_cndmask_b32_e32 v3, v6, v7, vcc
	v_lshlrev_b32_e32 v6, 16, v8
	v_mov_b32_e32 v7, 0x3b800000
	v_lshlrev_b32_e32 v2, 20, v2
	v_and_b32_e32 v6, 0x80000000, v6
	v_lshl_add_u32 v3, v3, 23, v7
	v_or3_b32 v2, v6, v3, v2
.LBB13_1228:
	s_or_b64 exec, exec, s[6:7]
	v_lshrrev_b32_e32 v3, 8, v4
	s_movk_i32 s4, 0x7f
	v_cmp_gt_i16_sdwa s[6:7], v3, s4 src0_sel:BYTE_0 src1_sel:DWORD
	s_mov_b64 s[4:5], 0
                                        ; implicit-def: $sgpr10
	s_and_saveexec_b64 s[8:9], s[6:7]
	s_xor_b64 s[6:7], exec, s[8:9]
	s_cbranch_execnz .LBB13_3277
; %bb.1229:
	s_or_saveexec_b64 s[6:7], s[6:7]
	v_mov_b32_e32 v6, s10
	s_xor_b64 exec, exec, s[6:7]
	s_cbranch_execnz .LBB13_3280
.LBB13_1230:
	s_or_b64 exec, exec, s[6:7]
	s_and_saveexec_b64 s[6:7], s[4:5]
	s_cbranch_execz .LBB13_1232
.LBB13_1231:
	v_bfe_u32 v6, v4, 8, 3
	v_ffbh_u32_e32 v10, v6
	v_min_u32_e32 v10, 32, v10
	v_lshrrev_b16_e32 v7, 3, v3
	v_subrev_u32_e32 v11, 28, v10
	v_and_b32_e32 v7, 15, v7
	v_lshlrev_b32_e32 v3, v11, v3
	v_sub_u32_e32 v10, 29, v10
	v_and_b32_e32 v3, 7, v3
	v_cmp_eq_u16_e32 vcc, 0, v7
	v_cndmask_b32_e32 v3, v6, v3, vcc
	v_cndmask_b32_e32 v6, v7, v10, vcc
	v_lshlrev_b32_e32 v7, 16, v4
	v_mov_b32_e32 v10, 0x3b800000
	v_lshlrev_b32_e32 v3, 20, v3
	v_and_b32_e32 v7, 0x80000000, v7
	v_lshl_add_u32 v6, v6, 23, v10
	v_or3_b32 v6, v7, v6, v3
.LBB13_1232:
	s_or_b64 exec, exec, s[6:7]
	s_nop 0
	v_mfma_f32_16x16x4f32 a[0:3], v2, v6, a[0:3]
	s_movk_i32 s4, 0xff
	v_and_b32_sdwa v3, v8, s4 dst_sel:DWORD dst_unused:UNUSED_PAD src0_sel:WORD_1 src1_sel:DWORD
	s_movk_i32 s4, 0x7f
	v_cmp_lt_i16_e32 vcc, s4, v3
	s_mov_b64 s[4:5], 0
                                        ; implicit-def: $sgpr10
	s_and_saveexec_b64 s[6:7], vcc
	s_xor_b64 s[6:7], exec, s[6:7]
	s_cbranch_execnz .LBB13_3281
; %bb.1233:
	s_or_saveexec_b64 s[6:7], s[6:7]
	v_mov_b32_e32 v2, s10
	s_xor_b64 exec, exec, s[6:7]
	s_cbranch_execnz .LBB13_3284
.LBB13_1234:
	s_or_b64 exec, exec, s[6:7]
	s_and_saveexec_b64 s[6:7], s[4:5]
	s_cbranch_execz .LBB13_1236
.LBB13_1235:
	v_bfe_u32 v2, v8, 16, 3
	v_ffbh_u32_e32 v7, v2
	v_min_u32_e32 v7, 32, v7
	v_lshrrev_b32_e32 v3, 19, v8
	v_subrev_u32_e32 v10, 28, v7
	v_and_b32_e32 v3, 15, v3
	v_lshlrev_b32_sdwa v10, v10, v8 dst_sel:DWORD dst_unused:UNUSED_PAD src0_sel:DWORD src1_sel:WORD_1
	v_bfe_u32 v6, v8, 19, 4
	v_sub_u32_e32 v7, 29, v7
	v_and_b32_e32 v10, 7, v10
	v_cmp_eq_u16_e32 vcc, 0, v3
	v_cndmask_b32_e32 v2, v2, v10, vcc
	v_cndmask_b32_e32 v3, v6, v7, vcc
	v_lshlrev_b32_e32 v6, 8, v8
	v_mov_b32_e32 v7, 0x3b800000
	v_lshlrev_b32_e32 v2, 20, v2
	v_and_b32_e32 v6, 0x80000000, v6
	v_lshl_add_u32 v3, v3, 23, v7
	v_or3_b32 v2, v6, v3, v2
.LBB13_1236:
	s_or_b64 exec, exec, s[6:7]
	s_movk_i32 s4, 0xff
	v_and_b32_sdwa v3, v4, s4 dst_sel:DWORD dst_unused:UNUSED_PAD src0_sel:WORD_1 src1_sel:DWORD
	s_movk_i32 s4, 0x7f
	v_cmp_lt_i16_e32 vcc, s4, v3
	s_mov_b64 s[4:5], 0
                                        ; implicit-def: $sgpr10
	s_and_saveexec_b64 s[6:7], vcc
	s_xor_b64 s[6:7], exec, s[6:7]
	s_cbranch_execnz .LBB13_3285
; %bb.1237:
	s_or_saveexec_b64 s[6:7], s[6:7]
	v_mov_b32_e32 v6, s10
	s_xor_b64 exec, exec, s[6:7]
	s_cbranch_execnz .LBB13_3288
.LBB13_1238:
	s_or_b64 exec, exec, s[6:7]
	s_and_saveexec_b64 s[6:7], s[4:5]
	s_cbranch_execz .LBB13_1240
.LBB13_1239:
	v_bfe_u32 v3, v4, 16, 3
	v_ffbh_u32_e32 v10, v3
	v_min_u32_e32 v10, 32, v10
	v_lshrrev_b32_e32 v6, 19, v4
	v_subrev_u32_e32 v11, 28, v10
	v_and_b32_e32 v6, 15, v6
	v_lshlrev_b32_sdwa v11, v11, v4 dst_sel:DWORD dst_unused:UNUSED_PAD src0_sel:DWORD src1_sel:WORD_1
	v_bfe_u32 v7, v4, 19, 4
	v_sub_u32_e32 v10, 29, v10
	v_and_b32_e32 v11, 7, v11
	v_cmp_eq_u16_e32 vcc, 0, v6
	v_cndmask_b32_e32 v3, v3, v11, vcc
	v_cndmask_b32_e32 v6, v7, v10, vcc
	v_lshlrev_b32_e32 v7, 8, v4
	v_mov_b32_e32 v10, 0x3b800000
	v_lshlrev_b32_e32 v3, 20, v3
	v_and_b32_e32 v7, 0x80000000, v7
	v_lshl_add_u32 v6, v6, 23, v10
	v_or3_b32 v6, v7, v6, v3
.LBB13_1240:
	s_or_b64 exec, exec, s[6:7]
	s_nop 0
	v_mfma_f32_16x16x4f32 a[0:3], v2, v6, a[0:3]
	s_movk_i32 s4, 0x7f
	v_cmp_gt_i16_sdwa s[6:7], v8, s4 src0_sel:BYTE_3 src1_sel:DWORD
	s_mov_b64 s[4:5], 0
                                        ; implicit-def: $sgpr10
	s_and_saveexec_b64 s[8:9], s[6:7]
	s_xor_b64 s[6:7], exec, s[8:9]
	s_cbranch_execnz .LBB13_3289
; %bb.1241:
	s_or_saveexec_b64 s[6:7], s[6:7]
	v_mov_b32_e32 v2, s10
	s_xor_b64 exec, exec, s[6:7]
	s_cbranch_execnz .LBB13_3292
.LBB13_1242:
	s_or_b64 exec, exec, s[6:7]
	s_and_saveexec_b64 s[6:7], s[4:5]
	s_cbranch_execz .LBB13_1244
.LBB13_1243:
	v_bfe_u32 v2, v8, 24, 3
	v_ffbh_u32_e32 v10, v2
	v_min_u32_e32 v10, 32, v10
	v_lshrrev_b32_e32 v6, 27, v8
	v_subrev_u32_e32 v11, 28, v10
	v_and_b32_e32 v3, 0x80000000, v8
	v_and_b32_e32 v6, 15, v6
	v_bfe_u32 v7, v8, 27, 4
	v_lshlrev_b32_sdwa v8, v11, v8 dst_sel:DWORD dst_unused:UNUSED_PAD src0_sel:DWORD src1_sel:BYTE_3
	v_sub_u32_e32 v10, 29, v10
	v_and_b32_e32 v8, 7, v8
	v_cmp_eq_u16_e32 vcc, 0, v6
	v_cndmask_b32_e32 v2, v2, v8, vcc
	v_cndmask_b32_e32 v6, v7, v10, vcc
	v_mov_b32_e32 v7, 0x3b800000
	v_lshlrev_b32_e32 v2, 20, v2
	v_lshl_add_u32 v6, v6, 23, v7
	v_or3_b32 v2, v3, v6, v2
.LBB13_1244:
	s_or_b64 exec, exec, s[6:7]
	s_movk_i32 s4, 0x7f
	v_cmp_gt_i16_sdwa s[6:7], v4, s4 src0_sel:BYTE_3 src1_sel:DWORD
	s_mov_b64 s[4:5], 0
                                        ; implicit-def: $sgpr10
	s_and_saveexec_b64 s[8:9], s[6:7]
	s_xor_b64 s[6:7], exec, s[8:9]
	s_cbranch_execnz .LBB13_3293
; %bb.1245:
	s_or_saveexec_b64 s[6:7], s[6:7]
	v_mov_b32_e32 v3, s10
	s_xor_b64 exec, exec, s[6:7]
	s_cbranch_execnz .LBB13_3296
.LBB13_1246:
	s_or_b64 exec, exec, s[6:7]
	s_and_saveexec_b64 s[6:7], s[4:5]
	s_cbranch_execz .LBB13_1248
.LBB13_1247:
	v_bfe_u32 v3, v4, 24, 3
	v_ffbh_u32_e32 v10, v3
	v_min_u32_e32 v10, 32, v10
	v_lshrrev_b32_e32 v7, 27, v4
	v_subrev_u32_e32 v11, 28, v10
	v_and_b32_e32 v6, 0x80000000, v4
	v_and_b32_e32 v7, 15, v7
	v_bfe_u32 v8, v4, 27, 4
	v_lshlrev_b32_sdwa v4, v11, v4 dst_sel:DWORD dst_unused:UNUSED_PAD src0_sel:DWORD src1_sel:BYTE_3
	v_sub_u32_e32 v10, 29, v10
	v_and_b32_e32 v4, 7, v4
	v_cmp_eq_u16_e32 vcc, 0, v7
	v_cndmask_b32_e32 v3, v3, v4, vcc
	v_cndmask_b32_e32 v4, v8, v10, vcc
	v_mov_b32_e32 v7, 0x3b800000
	v_lshlrev_b32_e32 v3, 20, v3
	v_lshl_add_u32 v4, v4, 23, v7
	v_or3_b32 v3, v6, v4, v3
.LBB13_1248:
	s_or_b64 exec, exec, s[6:7]
	s_nop 0
	v_mfma_f32_16x16x4f32 a[0:3], v2, v3, a[0:3]
	s_movk_i32 s4, 0x7f
	v_cmp_gt_i16_sdwa s[6:7], v9, s4 src0_sel:BYTE_0 src1_sel:DWORD
	s_mov_b64 s[4:5], 0
                                        ; implicit-def: $sgpr10
	s_and_saveexec_b64 s[8:9], s[6:7]
	s_xor_b64 s[6:7], exec, s[8:9]
	s_cbranch_execnz .LBB13_3297
; %bb.1249:
	s_or_saveexec_b64 s[6:7], s[6:7]
	v_mov_b32_e32 v2, s10
	s_xor_b64 exec, exec, s[6:7]
	s_cbranch_execnz .LBB13_3300
.LBB13_1250:
	s_or_b64 exec, exec, s[6:7]
	s_and_saveexec_b64 s[6:7], s[4:5]
	s_cbranch_execz .LBB13_1252
.LBB13_1251:
	v_mov_b32_e32 v2, 8
	v_and_b32_e32 v3, 7, v9
	v_lshrrev_b32_sdwa v2, v2, v9 dst_sel:BYTE_1 dst_unused:UNUSED_PAD src0_sel:DWORD src1_sel:DWORD
	v_ffbh_u32_e32 v4, v3
	v_or_b32_sdwa v2, v9, v2 dst_sel:DWORD dst_unused:UNUSED_PAD src0_sel:BYTE_0 src1_sel:DWORD
	v_min_u32_e32 v4, 32, v4
	v_lshrrev_b16_e32 v2, 3, v2
	v_subrev_u32_e32 v6, 28, v4
	v_and_b32_e32 v2, 15, v2
	v_lshlrev_b32_e32 v6, v6, v9
	v_sub_u32_e32 v4, 29, v4
	v_and_b32_e32 v6, 7, v6
	v_cmp_eq_u16_e32 vcc, 0, v2
	v_cndmask_b32_e32 v3, v3, v6, vcc
	v_cndmask_b32_e32 v2, v2, v4, vcc
	v_lshlrev_b32_e32 v4, 24, v9
	v_mov_b32_e32 v6, 0x3b800000
	v_lshlrev_b32_e32 v3, 20, v3
	v_and_b32_e32 v4, 0x80000000, v4
	v_lshl_add_u32 v2, v2, 23, v6
	v_or3_b32 v2, v4, v2, v3
.LBB13_1252:
	s_or_b64 exec, exec, s[6:7]
	s_movk_i32 s4, 0x7f
	v_cmp_gt_i16_sdwa s[6:7], v5, s4 src0_sel:BYTE_0 src1_sel:DWORD
	s_mov_b64 s[4:5], 0
                                        ; implicit-def: $sgpr10
	s_and_saveexec_b64 s[8:9], s[6:7]
	s_xor_b64 s[6:7], exec, s[8:9]
	s_cbranch_execnz .LBB13_3301
; %bb.1253:
	s_or_saveexec_b64 s[6:7], s[6:7]
	v_mov_b32_e32 v3, s10
	s_xor_b64 exec, exec, s[6:7]
	s_cbranch_execnz .LBB13_3304
.LBB13_1254:
	s_or_b64 exec, exec, s[6:7]
	s_and_saveexec_b64 s[6:7], s[4:5]
	s_cbranch_execz .LBB13_1256
.LBB13_1255:
	v_mov_b32_e32 v3, 8
	v_and_b32_e32 v4, 7, v5
	v_lshrrev_b32_sdwa v3, v3, v5 dst_sel:BYTE_1 dst_unused:UNUSED_PAD src0_sel:DWORD src1_sel:DWORD
	v_ffbh_u32_e32 v6, v4
	v_or_b32_sdwa v3, v5, v3 dst_sel:DWORD dst_unused:UNUSED_PAD src0_sel:BYTE_0 src1_sel:DWORD
	v_min_u32_e32 v6, 32, v6
	v_lshrrev_b16_e32 v3, 3, v3
	v_subrev_u32_e32 v7, 28, v6
	v_and_b32_e32 v3, 15, v3
	v_lshlrev_b32_e32 v7, v7, v5
	v_sub_u32_e32 v6, 29, v6
	v_and_b32_e32 v7, 7, v7
	v_cmp_eq_u16_e32 vcc, 0, v3
	v_cndmask_b32_e32 v4, v4, v7, vcc
	v_cndmask_b32_e32 v3, v3, v6, vcc
	v_lshlrev_b32_e32 v6, 24, v5
	v_mov_b32_e32 v7, 0x3b800000
	v_lshlrev_b32_e32 v4, 20, v4
	v_and_b32_e32 v6, 0x80000000, v6
	v_lshl_add_u32 v3, v3, 23, v7
	v_or3_b32 v3, v6, v3, v4
.LBB13_1256:
	s_or_b64 exec, exec, s[6:7]
	s_nop 0
	v_mfma_f32_16x16x4f32 a[0:3], v2, v3, a[0:3]
	v_lshrrev_b32_e32 v3, 8, v9
	s_movk_i32 s4, 0x7f
	v_cmp_gt_i16_sdwa s[6:7], v3, s4 src0_sel:BYTE_0 src1_sel:DWORD
	s_mov_b64 s[4:5], 0
                                        ; implicit-def: $sgpr10
	s_and_saveexec_b64 s[8:9], s[6:7]
	s_xor_b64 s[6:7], exec, s[8:9]
	s_cbranch_execnz .LBB13_3305
; %bb.1257:
	s_or_saveexec_b64 s[6:7], s[6:7]
	v_mov_b32_e32 v2, s10
	s_xor_b64 exec, exec, s[6:7]
	s_cbranch_execnz .LBB13_3308
.LBB13_1258:
	s_or_b64 exec, exec, s[6:7]
	s_and_saveexec_b64 s[6:7], s[4:5]
	s_cbranch_execz .LBB13_1260
.LBB13_1259:
	v_bfe_u32 v2, v9, 8, 3
	v_ffbh_u32_e32 v6, v2
	v_min_u32_e32 v6, 32, v6
	v_lshrrev_b16_e32 v4, 3, v3
	v_subrev_u32_e32 v7, 28, v6
	v_and_b32_e32 v4, 15, v4
	v_lshlrev_b32_e32 v3, v7, v3
	v_sub_u32_e32 v6, 29, v6
	v_and_b32_e32 v3, 7, v3
	v_cmp_eq_u16_e32 vcc, 0, v4
	v_cndmask_b32_e32 v2, v2, v3, vcc
	v_cndmask_b32_e32 v3, v4, v6, vcc
	v_lshlrev_b32_e32 v4, 16, v9
	v_mov_b32_e32 v6, 0x3b800000
	v_lshlrev_b32_e32 v2, 20, v2
	v_and_b32_e32 v4, 0x80000000, v4
	v_lshl_add_u32 v3, v3, 23, v6
	v_or3_b32 v2, v4, v3, v2
.LBB13_1260:
	s_or_b64 exec, exec, s[6:7]
	v_lshrrev_b32_e32 v3, 8, v5
	s_movk_i32 s4, 0x7f
	v_cmp_gt_i16_sdwa s[6:7], v3, s4 src0_sel:BYTE_0 src1_sel:DWORD
	s_mov_b64 s[4:5], 0
                                        ; implicit-def: $sgpr10
	s_and_saveexec_b64 s[8:9], s[6:7]
	s_xor_b64 s[6:7], exec, s[8:9]
	s_cbranch_execnz .LBB13_3309
; %bb.1261:
	s_or_saveexec_b64 s[6:7], s[6:7]
	v_mov_b32_e32 v4, s10
	s_xor_b64 exec, exec, s[6:7]
	s_cbranch_execnz .LBB13_3312
.LBB13_1262:
	s_or_b64 exec, exec, s[6:7]
	s_and_saveexec_b64 s[6:7], s[4:5]
	s_cbranch_execz .LBB13_1264
.LBB13_1263:
	v_bfe_u32 v4, v5, 8, 3
	v_ffbh_u32_e32 v7, v4
	v_min_u32_e32 v7, 32, v7
	v_lshrrev_b16_e32 v6, 3, v3
	v_subrev_u32_e32 v8, 28, v7
	v_and_b32_e32 v6, 15, v6
	v_lshlrev_b32_e32 v3, v8, v3
	v_sub_u32_e32 v7, 29, v7
	v_and_b32_e32 v3, 7, v3
	v_cmp_eq_u16_e32 vcc, 0, v6
	v_cndmask_b32_e32 v3, v4, v3, vcc
	v_cndmask_b32_e32 v4, v6, v7, vcc
	v_lshlrev_b32_e32 v6, 16, v5
	v_mov_b32_e32 v7, 0x3b800000
	v_lshlrev_b32_e32 v3, 20, v3
	v_and_b32_e32 v6, 0x80000000, v6
	v_lshl_add_u32 v4, v4, 23, v7
	v_or3_b32 v4, v6, v4, v3
.LBB13_1264:
	s_or_b64 exec, exec, s[6:7]
	s_nop 0
	v_mfma_f32_16x16x4f32 a[0:3], v2, v4, a[0:3]
	s_movk_i32 s4, 0xff
	v_and_b32_sdwa v3, v9, s4 dst_sel:DWORD dst_unused:UNUSED_PAD src0_sel:WORD_1 src1_sel:DWORD
	s_movk_i32 s4, 0x7f
	v_cmp_lt_i16_e32 vcc, s4, v3
	s_mov_b64 s[4:5], 0
                                        ; implicit-def: $sgpr10
	s_and_saveexec_b64 s[6:7], vcc
	s_xor_b64 s[6:7], exec, s[6:7]
	s_cbranch_execnz .LBB13_3313
; %bb.1265:
	s_or_saveexec_b64 s[6:7], s[6:7]
	v_mov_b32_e32 v2, s10
	s_xor_b64 exec, exec, s[6:7]
	s_cbranch_execnz .LBB13_3316
.LBB13_1266:
	s_or_b64 exec, exec, s[6:7]
	s_and_saveexec_b64 s[6:7], s[4:5]
	s_cbranch_execz .LBB13_1268
.LBB13_1267:
	v_bfe_u32 v2, v9, 16, 3
	v_ffbh_u32_e32 v6, v2
	v_min_u32_e32 v6, 32, v6
	v_lshrrev_b32_e32 v3, 19, v9
	v_subrev_u32_e32 v7, 28, v6
	v_and_b32_e32 v3, 15, v3
	v_lshlrev_b32_sdwa v7, v7, v9 dst_sel:DWORD dst_unused:UNUSED_PAD src0_sel:DWORD src1_sel:WORD_1
	v_bfe_u32 v4, v9, 19, 4
	v_sub_u32_e32 v6, 29, v6
	v_and_b32_e32 v7, 7, v7
	v_cmp_eq_u16_e32 vcc, 0, v3
	v_cndmask_b32_e32 v2, v2, v7, vcc
	v_cndmask_b32_e32 v3, v4, v6, vcc
	v_lshlrev_b32_e32 v4, 8, v9
	v_mov_b32_e32 v6, 0x3b800000
	v_lshlrev_b32_e32 v2, 20, v2
	v_and_b32_e32 v4, 0x80000000, v4
	v_lshl_add_u32 v3, v3, 23, v6
	v_or3_b32 v2, v4, v3, v2
.LBB13_1268:
	s_or_b64 exec, exec, s[6:7]
	s_movk_i32 s4, 0xff
	v_and_b32_sdwa v3, v5, s4 dst_sel:DWORD dst_unused:UNUSED_PAD src0_sel:WORD_1 src1_sel:DWORD
	s_movk_i32 s4, 0x7f
	v_cmp_lt_i16_e32 vcc, s4, v3
	s_mov_b64 s[4:5], 0
                                        ; implicit-def: $sgpr10
	s_and_saveexec_b64 s[6:7], vcc
	s_xor_b64 s[6:7], exec, s[6:7]
	s_cbranch_execnz .LBB13_3317
; %bb.1269:
	s_or_saveexec_b64 s[6:7], s[6:7]
	v_mov_b32_e32 v4, s10
	s_xor_b64 exec, exec, s[6:7]
	s_cbranch_execnz .LBB13_3320
.LBB13_1270:
	s_or_b64 exec, exec, s[6:7]
	s_and_saveexec_b64 s[6:7], s[4:5]
	s_cbranch_execz .LBB13_1272
.LBB13_1271:
	v_bfe_u32 v3, v5, 16, 3
	v_ffbh_u32_e32 v7, v3
	v_min_u32_e32 v7, 32, v7
	v_lshrrev_b32_e32 v4, 19, v5
	v_subrev_u32_e32 v8, 28, v7
	v_and_b32_e32 v4, 15, v4
	v_lshlrev_b32_sdwa v8, v8, v5 dst_sel:DWORD dst_unused:UNUSED_PAD src0_sel:DWORD src1_sel:WORD_1
	v_bfe_u32 v6, v5, 19, 4
	v_sub_u32_e32 v7, 29, v7
	v_and_b32_e32 v8, 7, v8
	v_cmp_eq_u16_e32 vcc, 0, v4
	v_cndmask_b32_e32 v3, v3, v8, vcc
	v_cndmask_b32_e32 v4, v6, v7, vcc
	v_lshlrev_b32_e32 v6, 8, v5
	v_mov_b32_e32 v7, 0x3b800000
	v_lshlrev_b32_e32 v3, 20, v3
	v_and_b32_e32 v6, 0x80000000, v6
	v_lshl_add_u32 v4, v4, 23, v7
	v_or3_b32 v4, v6, v4, v3
.LBB13_1272:
	s_or_b64 exec, exec, s[6:7]
	s_nop 0
	v_mfma_f32_16x16x4f32 a[0:3], v2, v4, a[0:3]
	s_movk_i32 s4, 0x7f
	v_cmp_gt_i16_sdwa s[6:7], v9, s4 src0_sel:BYTE_3 src1_sel:DWORD
	s_mov_b64 s[4:5], 0
                                        ; implicit-def: $sgpr10
	s_and_saveexec_b64 s[8:9], s[6:7]
	s_xor_b64 s[6:7], exec, s[8:9]
	s_cbranch_execnz .LBB13_3321
; %bb.1273:
	s_or_saveexec_b64 s[6:7], s[6:7]
	v_mov_b32_e32 v2, s10
	s_xor_b64 exec, exec, s[6:7]
	s_cbranch_execnz .LBB13_3324
.LBB13_1274:
	s_or_b64 exec, exec, s[6:7]
	s_and_saveexec_b64 s[6:7], s[4:5]
	s_cbranch_execz .LBB13_1276
.LBB13_1275:
	v_bfe_u32 v2, v9, 24, 3
	v_ffbh_u32_e32 v7, v2
	v_min_u32_e32 v7, 32, v7
	v_lshrrev_b32_e32 v4, 27, v9
	v_subrev_u32_e32 v8, 28, v7
	v_and_b32_e32 v4, 15, v4
	v_lshlrev_b32_sdwa v8, v8, v9 dst_sel:DWORD dst_unused:UNUSED_PAD src0_sel:DWORD src1_sel:BYTE_3
	v_bfe_u32 v6, v9, 27, 4
	v_sub_u32_e32 v7, 29, v7
	v_and_b32_e32 v8, 7, v8
	v_cmp_eq_u16_e32 vcc, 0, v4
	v_cndmask_b32_e32 v2, v2, v8, vcc
	v_cndmask_b32_e32 v4, v6, v7, vcc
	v_mov_b32_e32 v6, 0x3b800000
	v_and_b32_e32 v3, 0x80000000, v9
	v_lshlrev_b32_e32 v2, 20, v2
	v_lshl_add_u32 v4, v4, 23, v6
	v_or3_b32 v2, v3, v4, v2
.LBB13_1276:
	s_or_b64 exec, exec, s[6:7]
	s_movk_i32 s4, 0x7f
	v_cmp_gt_i16_sdwa s[6:7], v5, s4 src0_sel:BYTE_3 src1_sel:DWORD
	s_mov_b64 s[4:5], 0
                                        ; implicit-def: $sgpr10
	s_and_saveexec_b64 s[8:9], s[6:7]
	s_xor_b64 s[6:7], exec, s[8:9]
	s_cbranch_execnz .LBB13_3325
; %bb.1277:
	s_or_saveexec_b64 s[6:7], s[6:7]
	v_mov_b32_e32 v3, s10
	s_xor_b64 exec, exec, s[6:7]
	s_cbranch_execnz .LBB13_3328
.LBB13_1278:
	s_or_b64 exec, exec, s[6:7]
	s_and_saveexec_b64 s[6:7], s[4:5]
	s_cbranch_execz .LBB13_1280
.LBB13_1279:
	v_bfe_u32 v3, v5, 24, 3
	v_ffbh_u32_e32 v8, v3
	v_min_u32_e32 v8, 32, v8
	v_lshrrev_b32_e32 v6, 27, v5
	v_subrev_u32_e32 v9, 28, v8
	v_and_b32_e32 v4, 0x80000000, v5
	v_and_b32_e32 v6, 15, v6
	v_bfe_u32 v7, v5, 27, 4
	v_lshlrev_b32_sdwa v5, v9, v5 dst_sel:DWORD dst_unused:UNUSED_PAD src0_sel:DWORD src1_sel:BYTE_3
	v_sub_u32_e32 v8, 29, v8
	v_and_b32_e32 v5, 7, v5
	v_cmp_eq_u16_e32 vcc, 0, v6
	v_cndmask_b32_e32 v3, v3, v5, vcc
	v_cndmask_b32_e32 v5, v7, v8, vcc
	v_mov_b32_e32 v6, 0x3b800000
	v_lshlrev_b32_e32 v3, 20, v3
	v_lshl_add_u32 v5, v5, 23, v6
	v_or3_b32 v3, v4, v5, v3
.LBB13_1280:
	s_or_b64 exec, exec, s[6:7]
	s_nop 0
	v_mfma_f32_16x16x4f32 a[0:3], v2, v3, a[0:3]
	s_movk_i32 s4, 0x7f
                                        ; implicit-def: $sgpr10
	s_nop 7
	s_nop 1
	flat_store_dwordx4 v[18:19], a[0:3] offset:448
	flat_load_dwordx4 v[20:23], v[0:1] offset:16
	s_nop 0
	flat_load_dwordx2 v[18:19], v[0:1] offset:32
	s_waitcnt vmcnt(0) lgkmcnt(0)
	flat_load_dwordx4 v[14:17], v[20:21] offset:32
	flat_load_dwordx4 v[6:9], v[20:21] offset:48
	;; [unrolled: 1-line block ×4, first 2 shown]
	s_waitcnt vmcnt(0) lgkmcnt(0)
	v_cmp_gt_i16_sdwa s[6:7], v14, s4 src0_sel:BYTE_0 src1_sel:DWORD
	s_mov_b64 s[4:5], 0
	s_and_saveexec_b64 s[8:9], s[6:7]
	s_xor_b64 s[6:7], exec, s[8:9]
	s_cbranch_execnz .LBB13_3329
; %bb.1281:
	s_or_saveexec_b64 s[6:7], s[6:7]
	v_mov_b32_e32 v20, s10
	s_xor_b64 exec, exec, s[6:7]
	s_cbranch_execnz .LBB13_3332
.LBB13_1282:
	s_or_b64 exec, exec, s[6:7]
	s_and_saveexec_b64 s[6:7], s[4:5]
	s_cbranch_execz .LBB13_1284
.LBB13_1283:
	v_and_b32_e32 v20, 7, v14
	v_ffbh_u32_e32 v22, v20
	v_min_u32_e32 v22, 32, v22
	v_lshrrev_b16_e32 v21, 3, v14
	v_subrev_u32_e32 v23, 28, v22
	v_and_b32_e32 v21, 15, v21
	v_lshlrev_b32_e32 v23, v23, v14
	v_sub_u32_e32 v22, 29, v22
	v_and_b32_e32 v23, 7, v23
	v_cmp_eq_u16_e32 vcc, 0, v21
	v_cndmask_b32_e32 v20, v20, v23, vcc
	v_cndmask_b32_e32 v21, v21, v22, vcc
	v_lshlrev_b32_e32 v22, 24, v14
	v_mov_b32_e32 v23, 0x3b800000
	v_lshlrev_b32_e32 v20, 20, v20
	v_and_b32_e32 v22, 0x80000000, v22
	v_lshl_add_u32 v21, v21, 23, v23
	v_or3_b32 v20, v22, v21, v20
.LBB13_1284:
	s_or_b64 exec, exec, s[6:7]
	s_movk_i32 s4, 0x7f
	v_cmp_gt_i16_sdwa s[6:7], v10, s4 src0_sel:BYTE_0 src1_sel:DWORD
	s_mov_b64 s[4:5], 0
                                        ; implicit-def: $sgpr10
	s_and_saveexec_b64 s[8:9], s[6:7]
	s_xor_b64 s[6:7], exec, s[8:9]
	s_cbranch_execnz .LBB13_3333
; %bb.1285:
	s_or_saveexec_b64 s[6:7], s[6:7]
	v_mov_b32_e32 v21, s10
	s_xor_b64 exec, exec, s[6:7]
	s_cbranch_execnz .LBB13_3336
.LBB13_1286:
	s_or_b64 exec, exec, s[6:7]
	s_and_saveexec_b64 s[6:7], s[4:5]
	s_cbranch_execz .LBB13_1288
.LBB13_1287:
	v_and_b32_e32 v21, 7, v10
	v_ffbh_u32_e32 v23, v21
	v_min_u32_e32 v23, 32, v23
	v_lshrrev_b16_e32 v22, 3, v10
	v_subrev_u32_e32 v24, 28, v23
	v_and_b32_e32 v22, 15, v22
	v_lshlrev_b32_e32 v24, v24, v10
	v_sub_u32_e32 v23, 29, v23
	v_and_b32_e32 v24, 7, v24
	v_cmp_eq_u16_e32 vcc, 0, v22
	v_cndmask_b32_e32 v21, v21, v24, vcc
	v_cndmask_b32_e32 v22, v22, v23, vcc
	v_lshlrev_b32_e32 v23, 24, v10
	v_mov_b32_e32 v24, 0x3b800000
	v_lshlrev_b32_e32 v21, 20, v21
	v_and_b32_e32 v23, 0x80000000, v23
	v_lshl_add_u32 v22, v22, 23, v24
	v_or3_b32 v21, v23, v22, v21
.LBB13_1288:
	s_or_b64 exec, exec, s[6:7]
	flat_load_dwordx4 a[0:3], v[18:19] offset:464
	s_movk_i32 s4, 0x7f
                                        ; implicit-def: $sgpr10
	s_waitcnt vmcnt(0) lgkmcnt(0)
	v_mfma_f32_16x16x4f32 a[0:3], v20, v21, a[0:3]
	v_lshrrev_b32_e32 v21, 8, v14
	v_cmp_gt_i16_sdwa s[6:7], v21, s4 src0_sel:BYTE_0 src1_sel:DWORD
	s_mov_b64 s[4:5], 0
	s_and_saveexec_b64 s[8:9], s[6:7]
	s_xor_b64 s[6:7], exec, s[8:9]
	s_cbranch_execnz .LBB13_3337
; %bb.1289:
	s_or_saveexec_b64 s[6:7], s[6:7]
	v_mov_b32_e32 v20, s10
	s_xor_b64 exec, exec, s[6:7]
	s_cbranch_execnz .LBB13_3340
.LBB13_1290:
	s_or_b64 exec, exec, s[6:7]
	s_and_saveexec_b64 s[6:7], s[4:5]
	s_cbranch_execz .LBB13_1292
.LBB13_1291:
	v_bfe_u32 v20, v14, 8, 3
	v_ffbh_u32_e32 v23, v20
	v_min_u32_e32 v23, 32, v23
	v_lshrrev_b16_e32 v22, 3, v21
	v_subrev_u32_e32 v24, 28, v23
	v_and_b32_e32 v22, 15, v22
	v_lshlrev_b32_e32 v21, v24, v21
	v_sub_u32_e32 v23, 29, v23
	v_and_b32_e32 v21, 7, v21
	v_cmp_eq_u16_e32 vcc, 0, v22
	v_cndmask_b32_e32 v20, v20, v21, vcc
	v_cndmask_b32_e32 v21, v22, v23, vcc
	v_lshlrev_b32_e32 v22, 16, v14
	v_mov_b32_e32 v23, 0x3b800000
	v_lshlrev_b32_e32 v20, 20, v20
	v_and_b32_e32 v22, 0x80000000, v22
	v_lshl_add_u32 v21, v21, 23, v23
	v_or3_b32 v20, v22, v21, v20
.LBB13_1292:
	s_or_b64 exec, exec, s[6:7]
	v_lshrrev_b32_e32 v21, 8, v10
	s_movk_i32 s4, 0x7f
	v_cmp_gt_i16_sdwa s[6:7], v21, s4 src0_sel:BYTE_0 src1_sel:DWORD
	s_mov_b64 s[4:5], 0
                                        ; implicit-def: $sgpr10
	s_and_saveexec_b64 s[8:9], s[6:7]
	s_xor_b64 s[6:7], exec, s[8:9]
	s_cbranch_execnz .LBB13_3341
; %bb.1293:
	s_or_saveexec_b64 s[6:7], s[6:7]
	v_mov_b32_e32 v22, s10
	s_xor_b64 exec, exec, s[6:7]
	s_cbranch_execnz .LBB13_3344
.LBB13_1294:
	s_or_b64 exec, exec, s[6:7]
	s_and_saveexec_b64 s[6:7], s[4:5]
	s_cbranch_execz .LBB13_1296
.LBB13_1295:
	v_bfe_u32 v22, v10, 8, 3
	v_ffbh_u32_e32 v24, v22
	v_min_u32_e32 v24, 32, v24
	v_lshrrev_b16_e32 v23, 3, v21
	v_subrev_u32_e32 v25, 28, v24
	v_and_b32_e32 v23, 15, v23
	v_lshlrev_b32_e32 v21, v25, v21
	v_sub_u32_e32 v24, 29, v24
	v_and_b32_e32 v21, 7, v21
	v_cmp_eq_u16_e32 vcc, 0, v23
	v_cndmask_b32_e32 v21, v22, v21, vcc
	v_cndmask_b32_e32 v22, v23, v24, vcc
	v_lshlrev_b32_e32 v23, 16, v10
	v_mov_b32_e32 v24, 0x3b800000
	v_lshlrev_b32_e32 v21, 20, v21
	v_and_b32_e32 v23, 0x80000000, v23
	v_lshl_add_u32 v22, v22, 23, v24
	v_or3_b32 v22, v23, v22, v21
.LBB13_1296:
	s_or_b64 exec, exec, s[6:7]
	s_nop 0
	v_mfma_f32_16x16x4f32 a[0:3], v20, v22, a[0:3]
	s_movk_i32 s4, 0xff
	v_and_b32_sdwa v21, v14, s4 dst_sel:DWORD dst_unused:UNUSED_PAD src0_sel:WORD_1 src1_sel:DWORD
	s_movk_i32 s4, 0x7f
	v_cmp_lt_i16_e32 vcc, s4, v21
	s_mov_b64 s[4:5], 0
                                        ; implicit-def: $sgpr10
	s_and_saveexec_b64 s[6:7], vcc
	s_xor_b64 s[6:7], exec, s[6:7]
	s_cbranch_execnz .LBB13_3345
; %bb.1297:
	s_or_saveexec_b64 s[6:7], s[6:7]
	v_mov_b32_e32 v20, s10
	s_xor_b64 exec, exec, s[6:7]
	s_cbranch_execnz .LBB13_3348
.LBB13_1298:
	s_or_b64 exec, exec, s[6:7]
	s_and_saveexec_b64 s[6:7], s[4:5]
	s_cbranch_execz .LBB13_1300
.LBB13_1299:
	v_bfe_u32 v20, v14, 16, 3
	v_ffbh_u32_e32 v23, v20
	v_min_u32_e32 v23, 32, v23
	v_lshrrev_b32_e32 v21, 19, v14
	v_subrev_u32_e32 v24, 28, v23
	v_and_b32_e32 v21, 15, v21
	v_lshlrev_b32_sdwa v24, v24, v14 dst_sel:DWORD dst_unused:UNUSED_PAD src0_sel:DWORD src1_sel:WORD_1
	v_bfe_u32 v22, v14, 19, 4
	v_sub_u32_e32 v23, 29, v23
	v_and_b32_e32 v24, 7, v24
	v_cmp_eq_u16_e32 vcc, 0, v21
	v_cndmask_b32_e32 v20, v20, v24, vcc
	v_cndmask_b32_e32 v21, v22, v23, vcc
	v_lshlrev_b32_e32 v22, 8, v14
	v_mov_b32_e32 v23, 0x3b800000
	v_lshlrev_b32_e32 v20, 20, v20
	v_and_b32_e32 v22, 0x80000000, v22
	v_lshl_add_u32 v21, v21, 23, v23
	v_or3_b32 v20, v22, v21, v20
.LBB13_1300:
	s_or_b64 exec, exec, s[6:7]
	s_movk_i32 s4, 0xff
	v_and_b32_sdwa v21, v10, s4 dst_sel:DWORD dst_unused:UNUSED_PAD src0_sel:WORD_1 src1_sel:DWORD
	s_movk_i32 s4, 0x7f
	v_cmp_lt_i16_e32 vcc, s4, v21
	s_mov_b64 s[4:5], 0
                                        ; implicit-def: $sgpr10
	s_and_saveexec_b64 s[6:7], vcc
	s_xor_b64 s[6:7], exec, s[6:7]
	s_cbranch_execnz .LBB13_3349
; %bb.1301:
	s_or_saveexec_b64 s[6:7], s[6:7]
	v_mov_b32_e32 v22, s10
	s_xor_b64 exec, exec, s[6:7]
	s_cbranch_execnz .LBB13_3352
.LBB13_1302:
	s_or_b64 exec, exec, s[6:7]
	s_and_saveexec_b64 s[6:7], s[4:5]
	s_cbranch_execz .LBB13_1304
.LBB13_1303:
	v_bfe_u32 v21, v10, 16, 3
	v_ffbh_u32_e32 v24, v21
	v_min_u32_e32 v24, 32, v24
	v_lshrrev_b32_e32 v22, 19, v10
	v_subrev_u32_e32 v25, 28, v24
	v_and_b32_e32 v22, 15, v22
	v_lshlrev_b32_sdwa v25, v25, v10 dst_sel:DWORD dst_unused:UNUSED_PAD src0_sel:DWORD src1_sel:WORD_1
	v_bfe_u32 v23, v10, 19, 4
	v_sub_u32_e32 v24, 29, v24
	v_and_b32_e32 v25, 7, v25
	v_cmp_eq_u16_e32 vcc, 0, v22
	v_cndmask_b32_e32 v21, v21, v25, vcc
	v_cndmask_b32_e32 v22, v23, v24, vcc
	v_lshlrev_b32_e32 v23, 8, v10
	v_mov_b32_e32 v24, 0x3b800000
	v_lshlrev_b32_e32 v21, 20, v21
	v_and_b32_e32 v23, 0x80000000, v23
	v_lshl_add_u32 v22, v22, 23, v24
	v_or3_b32 v22, v23, v22, v21
.LBB13_1304:
	s_or_b64 exec, exec, s[6:7]
	s_nop 0
	v_mfma_f32_16x16x4f32 a[0:3], v20, v22, a[0:3]
	s_movk_i32 s4, 0x7f
	v_cmp_gt_i16_sdwa s[6:7], v14, s4 src0_sel:BYTE_3 src1_sel:DWORD
	s_mov_b64 s[4:5], 0
                                        ; implicit-def: $sgpr10
	s_and_saveexec_b64 s[8:9], s[6:7]
	s_xor_b64 s[6:7], exec, s[8:9]
	s_cbranch_execnz .LBB13_3353
; %bb.1305:
	s_or_saveexec_b64 s[6:7], s[6:7]
	v_mov_b32_e32 v20, s10
	s_xor_b64 exec, exec, s[6:7]
	s_cbranch_execnz .LBB13_3356
.LBB13_1306:
	s_or_b64 exec, exec, s[6:7]
	s_and_saveexec_b64 s[6:7], s[4:5]
	s_cbranch_execz .LBB13_1308
.LBB13_1307:
	v_bfe_u32 v20, v14, 24, 3
	v_ffbh_u32_e32 v24, v20
	v_min_u32_e32 v24, 32, v24
	v_lshrrev_b32_e32 v22, 27, v14
	v_subrev_u32_e32 v25, 28, v24
	v_and_b32_e32 v21, 0x80000000, v14
	v_and_b32_e32 v22, 15, v22
	v_bfe_u32 v23, v14, 27, 4
	v_lshlrev_b32_sdwa v14, v25, v14 dst_sel:DWORD dst_unused:UNUSED_PAD src0_sel:DWORD src1_sel:BYTE_3
	v_sub_u32_e32 v24, 29, v24
	v_and_b32_e32 v14, 7, v14
	v_cmp_eq_u16_e32 vcc, 0, v22
	v_cndmask_b32_e32 v14, v20, v14, vcc
	v_cndmask_b32_e32 v20, v23, v24, vcc
	v_mov_b32_e32 v22, 0x3b800000
	v_lshlrev_b32_e32 v14, 20, v14
	v_lshl_add_u32 v20, v20, 23, v22
	v_or3_b32 v20, v21, v20, v14
.LBB13_1308:
	s_or_b64 exec, exec, s[6:7]
	s_movk_i32 s4, 0x7f
	v_cmp_gt_i16_sdwa s[6:7], v10, s4 src0_sel:BYTE_3 src1_sel:DWORD
	s_mov_b64 s[4:5], 0
                                        ; implicit-def: $sgpr10
	s_and_saveexec_b64 s[8:9], s[6:7]
	s_xor_b64 s[6:7], exec, s[8:9]
	s_cbranch_execnz .LBB13_3357
; %bb.1309:
	s_or_saveexec_b64 s[6:7], s[6:7]
	v_mov_b32_e32 v14, s10
	s_xor_b64 exec, exec, s[6:7]
	s_cbranch_execnz .LBB13_3360
.LBB13_1310:
	s_or_b64 exec, exec, s[6:7]
	s_and_saveexec_b64 s[6:7], s[4:5]
	s_cbranch_execz .LBB13_1312
.LBB13_1311:
	v_bfe_u32 v14, v10, 24, 3
	v_ffbh_u32_e32 v24, v14
	v_min_u32_e32 v24, 32, v24
	v_lshrrev_b32_e32 v22, 27, v10
	v_subrev_u32_e32 v25, 28, v24
	v_and_b32_e32 v21, 0x80000000, v10
	v_and_b32_e32 v22, 15, v22
	v_bfe_u32 v23, v10, 27, 4
	v_lshlrev_b32_sdwa v10, v25, v10 dst_sel:DWORD dst_unused:UNUSED_PAD src0_sel:DWORD src1_sel:BYTE_3
	v_sub_u32_e32 v24, 29, v24
	v_and_b32_e32 v10, 7, v10
	v_cmp_eq_u16_e32 vcc, 0, v22
	v_cndmask_b32_e32 v10, v14, v10, vcc
	v_cndmask_b32_e32 v14, v23, v24, vcc
	v_mov_b32_e32 v22, 0x3b800000
	v_lshlrev_b32_e32 v10, 20, v10
	v_lshl_add_u32 v14, v14, 23, v22
	v_or3_b32 v14, v21, v14, v10
.LBB13_1312:
	s_or_b64 exec, exec, s[6:7]
	s_nop 0
	v_mfma_f32_16x16x4f32 a[0:3], v20, v14, a[0:3]
	s_movk_i32 s4, 0x7f
	v_cmp_gt_i16_sdwa s[6:7], v15, s4 src0_sel:BYTE_0 src1_sel:DWORD
	s_mov_b64 s[4:5], 0
                                        ; implicit-def: $sgpr10
	s_and_saveexec_b64 s[8:9], s[6:7]
	s_xor_b64 s[6:7], exec, s[8:9]
	s_cbranch_execnz .LBB13_3361
; %bb.1313:
	s_or_saveexec_b64 s[6:7], s[6:7]
	v_mov_b32_e32 v10, s10
	s_xor_b64 exec, exec, s[6:7]
	s_cbranch_execnz .LBB13_3364
.LBB13_1314:
	s_or_b64 exec, exec, s[6:7]
	s_and_saveexec_b64 s[6:7], s[4:5]
	s_cbranch_execz .LBB13_1316
.LBB13_1315:
	v_and_b32_e32 v10, 7, v15
	v_ffbh_u32_e32 v20, v10
	v_min_u32_e32 v20, 32, v20
	v_lshrrev_b16_e32 v14, 3, v15
	v_subrev_u32_e32 v21, 28, v20
	v_and_b32_e32 v14, 15, v14
	v_lshlrev_b32_e32 v21, v21, v15
	v_sub_u32_e32 v20, 29, v20
	v_and_b32_e32 v21, 7, v21
	v_cmp_eq_u16_e32 vcc, 0, v14
	v_cndmask_b32_e32 v10, v10, v21, vcc
	v_cndmask_b32_e32 v14, v14, v20, vcc
	v_lshlrev_b32_e32 v20, 24, v15
	v_mov_b32_e32 v21, 0x3b800000
	v_lshlrev_b32_e32 v10, 20, v10
	v_and_b32_e32 v20, 0x80000000, v20
	v_lshl_add_u32 v14, v14, 23, v21
	v_or3_b32 v10, v20, v14, v10
.LBB13_1316:
	s_or_b64 exec, exec, s[6:7]
	s_movk_i32 s4, 0x7f
	v_cmp_gt_i16_sdwa s[6:7], v11, s4 src0_sel:BYTE_0 src1_sel:DWORD
	s_mov_b64 s[4:5], 0
                                        ; implicit-def: $sgpr10
	s_and_saveexec_b64 s[8:9], s[6:7]
	s_xor_b64 s[6:7], exec, s[8:9]
	s_cbranch_execnz .LBB13_3365
; %bb.1317:
	s_or_saveexec_b64 s[6:7], s[6:7]
	v_mov_b32_e32 v14, s10
	s_xor_b64 exec, exec, s[6:7]
	s_cbranch_execnz .LBB13_3368
.LBB13_1318:
	s_or_b64 exec, exec, s[6:7]
	s_and_saveexec_b64 s[6:7], s[4:5]
	s_cbranch_execz .LBB13_1320
.LBB13_1319:
	v_and_b32_e32 v14, 7, v11
	v_ffbh_u32_e32 v21, v14
	v_min_u32_e32 v21, 32, v21
	v_lshrrev_b16_e32 v20, 3, v11
	v_subrev_u32_e32 v22, 28, v21
	v_and_b32_e32 v20, 15, v20
	v_lshlrev_b32_e32 v22, v22, v11
	v_sub_u32_e32 v21, 29, v21
	v_and_b32_e32 v22, 7, v22
	v_cmp_eq_u16_e32 vcc, 0, v20
	v_cndmask_b32_e32 v14, v14, v22, vcc
	v_cndmask_b32_e32 v20, v20, v21, vcc
	v_lshlrev_b32_e32 v21, 24, v11
	v_mov_b32_e32 v22, 0x3b800000
	v_lshlrev_b32_e32 v14, 20, v14
	v_and_b32_e32 v21, 0x80000000, v21
	v_lshl_add_u32 v20, v20, 23, v22
	v_or3_b32 v14, v21, v20, v14
.LBB13_1320:
	s_or_b64 exec, exec, s[6:7]
	s_nop 0
	v_mfma_f32_16x16x4f32 a[0:3], v10, v14, a[0:3]
	v_lshrrev_b32_e32 v14, 8, v15
	s_movk_i32 s4, 0x7f
	v_cmp_gt_i16_sdwa s[6:7], v14, s4 src0_sel:BYTE_0 src1_sel:DWORD
	s_mov_b64 s[4:5], 0
                                        ; implicit-def: $sgpr10
	s_and_saveexec_b64 s[8:9], s[6:7]
	s_xor_b64 s[6:7], exec, s[8:9]
	s_cbranch_execnz .LBB13_3369
; %bb.1321:
	s_or_saveexec_b64 s[6:7], s[6:7]
	v_mov_b32_e32 v10, s10
	s_xor_b64 exec, exec, s[6:7]
	s_cbranch_execnz .LBB13_3372
.LBB13_1322:
	s_or_b64 exec, exec, s[6:7]
	s_and_saveexec_b64 s[6:7], s[4:5]
	s_cbranch_execz .LBB13_1324
.LBB13_1323:
	v_bfe_u32 v10, v15, 8, 3
	v_ffbh_u32_e32 v21, v10
	v_min_u32_e32 v21, 32, v21
	v_lshrrev_b16_e32 v20, 3, v14
	v_subrev_u32_e32 v22, 28, v21
	v_and_b32_e32 v20, 15, v20
	v_lshlrev_b32_e32 v14, v22, v14
	v_sub_u32_e32 v21, 29, v21
	v_and_b32_e32 v14, 7, v14
	v_cmp_eq_u16_e32 vcc, 0, v20
	v_cndmask_b32_e32 v10, v10, v14, vcc
	v_cndmask_b32_e32 v14, v20, v21, vcc
	v_lshlrev_b32_e32 v20, 16, v15
	v_mov_b32_e32 v21, 0x3b800000
	v_lshlrev_b32_e32 v10, 20, v10
	v_and_b32_e32 v20, 0x80000000, v20
	v_lshl_add_u32 v14, v14, 23, v21
	v_or3_b32 v10, v20, v14, v10
.LBB13_1324:
	s_or_b64 exec, exec, s[6:7]
	v_lshrrev_b32_e32 v14, 8, v11
	s_movk_i32 s4, 0x7f
	v_cmp_gt_i16_sdwa s[6:7], v14, s4 src0_sel:BYTE_0 src1_sel:DWORD
	s_mov_b64 s[4:5], 0
                                        ; implicit-def: $sgpr10
	s_and_saveexec_b64 s[8:9], s[6:7]
	s_xor_b64 s[6:7], exec, s[8:9]
	s_cbranch_execnz .LBB13_3373
; %bb.1325:
	s_or_saveexec_b64 s[6:7], s[6:7]
	v_mov_b32_e32 v20, s10
	s_xor_b64 exec, exec, s[6:7]
	s_cbranch_execnz .LBB13_3376
.LBB13_1326:
	s_or_b64 exec, exec, s[6:7]
	s_and_saveexec_b64 s[6:7], s[4:5]
	s_cbranch_execz .LBB13_1328
.LBB13_1327:
	v_bfe_u32 v20, v11, 8, 3
	v_ffbh_u32_e32 v22, v20
	v_min_u32_e32 v22, 32, v22
	v_lshrrev_b16_e32 v21, 3, v14
	v_subrev_u32_e32 v23, 28, v22
	v_and_b32_e32 v21, 15, v21
	v_lshlrev_b32_e32 v14, v23, v14
	v_sub_u32_e32 v22, 29, v22
	v_and_b32_e32 v14, 7, v14
	v_cmp_eq_u16_e32 vcc, 0, v21
	v_cndmask_b32_e32 v14, v20, v14, vcc
	v_cndmask_b32_e32 v20, v21, v22, vcc
	v_lshlrev_b32_e32 v21, 16, v11
	v_mov_b32_e32 v22, 0x3b800000
	v_lshlrev_b32_e32 v14, 20, v14
	v_and_b32_e32 v21, 0x80000000, v21
	v_lshl_add_u32 v20, v20, 23, v22
	v_or3_b32 v20, v21, v20, v14
.LBB13_1328:
	s_or_b64 exec, exec, s[6:7]
	s_nop 0
	v_mfma_f32_16x16x4f32 a[0:3], v10, v20, a[0:3]
	s_movk_i32 s4, 0xff
	v_and_b32_sdwa v14, v15, s4 dst_sel:DWORD dst_unused:UNUSED_PAD src0_sel:WORD_1 src1_sel:DWORD
	s_movk_i32 s4, 0x7f
	v_cmp_lt_i16_e32 vcc, s4, v14
	s_mov_b64 s[4:5], 0
                                        ; implicit-def: $sgpr10
	s_and_saveexec_b64 s[6:7], vcc
	s_xor_b64 s[6:7], exec, s[6:7]
	s_cbranch_execnz .LBB13_3377
; %bb.1329:
	s_or_saveexec_b64 s[6:7], s[6:7]
	v_mov_b32_e32 v10, s10
	s_xor_b64 exec, exec, s[6:7]
	s_cbranch_execnz .LBB13_3380
.LBB13_1330:
	s_or_b64 exec, exec, s[6:7]
	s_and_saveexec_b64 s[6:7], s[4:5]
	s_cbranch_execz .LBB13_1332
.LBB13_1331:
	v_bfe_u32 v10, v15, 16, 3
	v_ffbh_u32_e32 v21, v10
	v_min_u32_e32 v21, 32, v21
	v_lshrrev_b32_e32 v14, 19, v15
	v_subrev_u32_e32 v22, 28, v21
	v_and_b32_e32 v14, 15, v14
	v_lshlrev_b32_sdwa v22, v22, v15 dst_sel:DWORD dst_unused:UNUSED_PAD src0_sel:DWORD src1_sel:WORD_1
	v_bfe_u32 v20, v15, 19, 4
	v_sub_u32_e32 v21, 29, v21
	v_and_b32_e32 v22, 7, v22
	v_cmp_eq_u16_e32 vcc, 0, v14
	v_cndmask_b32_e32 v10, v10, v22, vcc
	v_cndmask_b32_e32 v14, v20, v21, vcc
	v_lshlrev_b32_e32 v20, 8, v15
	v_mov_b32_e32 v21, 0x3b800000
	v_lshlrev_b32_e32 v10, 20, v10
	v_and_b32_e32 v20, 0x80000000, v20
	v_lshl_add_u32 v14, v14, 23, v21
	v_or3_b32 v10, v20, v14, v10
.LBB13_1332:
	s_or_b64 exec, exec, s[6:7]
	s_movk_i32 s4, 0xff
	v_and_b32_sdwa v14, v11, s4 dst_sel:DWORD dst_unused:UNUSED_PAD src0_sel:WORD_1 src1_sel:DWORD
	s_movk_i32 s4, 0x7f
	v_cmp_lt_i16_e32 vcc, s4, v14
	s_mov_b64 s[4:5], 0
                                        ; implicit-def: $sgpr10
	s_and_saveexec_b64 s[6:7], vcc
	s_xor_b64 s[6:7], exec, s[6:7]
	s_cbranch_execnz .LBB13_3381
; %bb.1333:
	s_or_saveexec_b64 s[6:7], s[6:7]
	v_mov_b32_e32 v20, s10
	s_xor_b64 exec, exec, s[6:7]
	s_cbranch_execnz .LBB13_3384
.LBB13_1334:
	s_or_b64 exec, exec, s[6:7]
	s_and_saveexec_b64 s[6:7], s[4:5]
	s_cbranch_execz .LBB13_1336
.LBB13_1335:
	v_bfe_u32 v14, v11, 16, 3
	v_ffbh_u32_e32 v22, v14
	v_min_u32_e32 v22, 32, v22
	v_lshrrev_b32_e32 v20, 19, v11
	v_subrev_u32_e32 v23, 28, v22
	v_and_b32_e32 v20, 15, v20
	v_lshlrev_b32_sdwa v23, v23, v11 dst_sel:DWORD dst_unused:UNUSED_PAD src0_sel:DWORD src1_sel:WORD_1
	v_bfe_u32 v21, v11, 19, 4
	v_sub_u32_e32 v22, 29, v22
	v_and_b32_e32 v23, 7, v23
	v_cmp_eq_u16_e32 vcc, 0, v20
	v_cndmask_b32_e32 v14, v14, v23, vcc
	v_cndmask_b32_e32 v20, v21, v22, vcc
	v_lshlrev_b32_e32 v21, 8, v11
	v_mov_b32_e32 v22, 0x3b800000
	v_lshlrev_b32_e32 v14, 20, v14
	v_and_b32_e32 v21, 0x80000000, v21
	v_lshl_add_u32 v20, v20, 23, v22
	v_or3_b32 v20, v21, v20, v14
.LBB13_1336:
	s_or_b64 exec, exec, s[6:7]
	s_nop 0
	v_mfma_f32_16x16x4f32 a[0:3], v10, v20, a[0:3]
	s_movk_i32 s4, 0x7f
	v_cmp_gt_i16_sdwa s[6:7], v15, s4 src0_sel:BYTE_3 src1_sel:DWORD
	s_mov_b64 s[4:5], 0
                                        ; implicit-def: $sgpr10
	s_and_saveexec_b64 s[8:9], s[6:7]
	s_xor_b64 s[6:7], exec, s[8:9]
	s_cbranch_execnz .LBB13_3385
; %bb.1337:
	s_or_saveexec_b64 s[6:7], s[6:7]
	v_mov_b32_e32 v10, s10
	s_xor_b64 exec, exec, s[6:7]
	s_cbranch_execnz .LBB13_3388
.LBB13_1338:
	s_or_b64 exec, exec, s[6:7]
	s_and_saveexec_b64 s[6:7], s[4:5]
	s_cbranch_execz .LBB13_1340
.LBB13_1339:
	v_bfe_u32 v10, v15, 24, 3
	v_ffbh_u32_e32 v22, v10
	v_min_u32_e32 v22, 32, v22
	v_lshrrev_b32_e32 v20, 27, v15
	v_subrev_u32_e32 v23, 28, v22
	v_and_b32_e32 v14, 0x80000000, v15
	v_and_b32_e32 v20, 15, v20
	v_bfe_u32 v21, v15, 27, 4
	v_lshlrev_b32_sdwa v15, v23, v15 dst_sel:DWORD dst_unused:UNUSED_PAD src0_sel:DWORD src1_sel:BYTE_3
	v_sub_u32_e32 v22, 29, v22
	v_and_b32_e32 v15, 7, v15
	v_cmp_eq_u16_e32 vcc, 0, v20
	v_cndmask_b32_e32 v10, v10, v15, vcc
	v_cndmask_b32_e32 v15, v21, v22, vcc
	v_mov_b32_e32 v20, 0x3b800000
	v_lshlrev_b32_e32 v10, 20, v10
	v_lshl_add_u32 v15, v15, 23, v20
	v_or3_b32 v10, v14, v15, v10
.LBB13_1340:
	s_or_b64 exec, exec, s[6:7]
	s_movk_i32 s4, 0x7f
	v_cmp_gt_i16_sdwa s[6:7], v11, s4 src0_sel:BYTE_3 src1_sel:DWORD
	s_mov_b64 s[4:5], 0
                                        ; implicit-def: $sgpr10
	s_and_saveexec_b64 s[8:9], s[6:7]
	s_xor_b64 s[6:7], exec, s[8:9]
	s_cbranch_execnz .LBB13_3389
; %bb.1341:
	s_or_saveexec_b64 s[6:7], s[6:7]
	v_mov_b32_e32 v14, s10
	s_xor_b64 exec, exec, s[6:7]
	s_cbranch_execnz .LBB13_3392
.LBB13_1342:
	s_or_b64 exec, exec, s[6:7]
	s_and_saveexec_b64 s[6:7], s[4:5]
	s_cbranch_execz .LBB13_1344
.LBB13_1343:
	v_bfe_u32 v14, v11, 24, 3
	v_ffbh_u32_e32 v22, v14
	v_min_u32_e32 v22, 32, v22
	v_lshrrev_b32_e32 v20, 27, v11
	v_subrev_u32_e32 v23, 28, v22
	v_and_b32_e32 v15, 0x80000000, v11
	v_and_b32_e32 v20, 15, v20
	v_bfe_u32 v21, v11, 27, 4
	v_lshlrev_b32_sdwa v11, v23, v11 dst_sel:DWORD dst_unused:UNUSED_PAD src0_sel:DWORD src1_sel:BYTE_3
	v_sub_u32_e32 v22, 29, v22
	v_and_b32_e32 v11, 7, v11
	v_cmp_eq_u16_e32 vcc, 0, v20
	v_cndmask_b32_e32 v11, v14, v11, vcc
	v_cndmask_b32_e32 v14, v21, v22, vcc
	v_mov_b32_e32 v20, 0x3b800000
	v_lshlrev_b32_e32 v11, 20, v11
	v_lshl_add_u32 v14, v14, 23, v20
	v_or3_b32 v14, v15, v14, v11
.LBB13_1344:
	s_or_b64 exec, exec, s[6:7]
	s_nop 0
	v_mfma_f32_16x16x4f32 a[0:3], v10, v14, a[0:3]
	s_movk_i32 s4, 0x7f
	v_cmp_gt_i16_sdwa s[6:7], v16, s4 src0_sel:BYTE_0 src1_sel:DWORD
	s_mov_b64 s[4:5], 0
                                        ; implicit-def: $sgpr10
	s_and_saveexec_b64 s[8:9], s[6:7]
	s_xor_b64 s[6:7], exec, s[8:9]
	s_cbranch_execnz .LBB13_3393
; %bb.1345:
	s_or_saveexec_b64 s[6:7], s[6:7]
	v_mov_b32_e32 v10, s10
	s_xor_b64 exec, exec, s[6:7]
	s_cbranch_execnz .LBB13_3396
.LBB13_1346:
	s_or_b64 exec, exec, s[6:7]
	s_and_saveexec_b64 s[6:7], s[4:5]
	s_cbranch_execz .LBB13_1348
.LBB13_1347:
	v_and_b32_e32 v10, 7, v16
	v_ffbh_u32_e32 v14, v10
	v_min_u32_e32 v14, 32, v14
	v_lshrrev_b16_e32 v11, 3, v16
	v_subrev_u32_e32 v15, 28, v14
	v_and_b32_e32 v11, 15, v11
	v_lshlrev_b32_e32 v15, v15, v16
	v_sub_u32_e32 v14, 29, v14
	v_and_b32_e32 v15, 7, v15
	v_cmp_eq_u16_e32 vcc, 0, v11
	v_cndmask_b32_e32 v10, v10, v15, vcc
	v_cndmask_b32_e32 v11, v11, v14, vcc
	v_lshlrev_b32_e32 v14, 24, v16
	v_mov_b32_e32 v15, 0x3b800000
	v_lshlrev_b32_e32 v10, 20, v10
	v_and_b32_e32 v14, 0x80000000, v14
	v_lshl_add_u32 v11, v11, 23, v15
	v_or3_b32 v10, v14, v11, v10
.LBB13_1348:
	s_or_b64 exec, exec, s[6:7]
	s_movk_i32 s4, 0x7f
	v_cmp_gt_i16_sdwa s[6:7], v12, s4 src0_sel:BYTE_0 src1_sel:DWORD
	s_mov_b64 s[4:5], 0
                                        ; implicit-def: $sgpr10
	s_and_saveexec_b64 s[8:9], s[6:7]
	s_xor_b64 s[6:7], exec, s[8:9]
	s_cbranch_execnz .LBB13_3397
; %bb.1349:
	s_or_saveexec_b64 s[6:7], s[6:7]
	v_mov_b32_e32 v11, s10
	s_xor_b64 exec, exec, s[6:7]
	s_cbranch_execnz .LBB13_3400
.LBB13_1350:
	s_or_b64 exec, exec, s[6:7]
	s_and_saveexec_b64 s[6:7], s[4:5]
	s_cbranch_execz .LBB13_1352
.LBB13_1351:
	v_and_b32_e32 v11, 7, v12
	v_ffbh_u32_e32 v15, v11
	v_min_u32_e32 v15, 32, v15
	v_lshrrev_b16_e32 v14, 3, v12
	v_subrev_u32_e32 v20, 28, v15
	v_and_b32_e32 v14, 15, v14
	v_lshlrev_b32_e32 v20, v20, v12
	v_sub_u32_e32 v15, 29, v15
	v_and_b32_e32 v20, 7, v20
	v_cmp_eq_u16_e32 vcc, 0, v14
	v_cndmask_b32_e32 v11, v11, v20, vcc
	v_cndmask_b32_e32 v14, v14, v15, vcc
	v_lshlrev_b32_e32 v15, 24, v12
	v_mov_b32_e32 v20, 0x3b800000
	v_lshlrev_b32_e32 v11, 20, v11
	v_and_b32_e32 v15, 0x80000000, v15
	v_lshl_add_u32 v14, v14, 23, v20
	v_or3_b32 v11, v15, v14, v11
.LBB13_1352:
	s_or_b64 exec, exec, s[6:7]
	s_nop 0
	v_mfma_f32_16x16x4f32 a[0:3], v10, v11, a[0:3]
	v_lshrrev_b32_e32 v11, 8, v16
	s_movk_i32 s4, 0x7f
	v_cmp_gt_i16_sdwa s[6:7], v11, s4 src0_sel:BYTE_0 src1_sel:DWORD
	s_mov_b64 s[4:5], 0
                                        ; implicit-def: $sgpr10
	s_and_saveexec_b64 s[8:9], s[6:7]
	s_xor_b64 s[6:7], exec, s[8:9]
	s_cbranch_execnz .LBB13_3401
; %bb.1353:
	s_or_saveexec_b64 s[6:7], s[6:7]
	v_mov_b32_e32 v10, s10
	s_xor_b64 exec, exec, s[6:7]
	s_cbranch_execnz .LBB13_3404
.LBB13_1354:
	s_or_b64 exec, exec, s[6:7]
	s_and_saveexec_b64 s[6:7], s[4:5]
	s_cbranch_execz .LBB13_1356
.LBB13_1355:
	v_bfe_u32 v10, v16, 8, 3
	v_ffbh_u32_e32 v15, v10
	v_min_u32_e32 v15, 32, v15
	v_lshrrev_b16_e32 v14, 3, v11
	v_subrev_u32_e32 v20, 28, v15
	v_and_b32_e32 v14, 15, v14
	v_lshlrev_b32_e32 v11, v20, v11
	v_sub_u32_e32 v15, 29, v15
	v_and_b32_e32 v11, 7, v11
	v_cmp_eq_u16_e32 vcc, 0, v14
	v_cndmask_b32_e32 v10, v10, v11, vcc
	v_cndmask_b32_e32 v11, v14, v15, vcc
	v_lshlrev_b32_e32 v14, 16, v16
	v_mov_b32_e32 v15, 0x3b800000
	v_lshlrev_b32_e32 v10, 20, v10
	v_and_b32_e32 v14, 0x80000000, v14
	v_lshl_add_u32 v11, v11, 23, v15
	v_or3_b32 v10, v14, v11, v10
.LBB13_1356:
	s_or_b64 exec, exec, s[6:7]
	v_lshrrev_b32_e32 v11, 8, v12
	s_movk_i32 s4, 0x7f
	v_cmp_gt_i16_sdwa s[6:7], v11, s4 src0_sel:BYTE_0 src1_sel:DWORD
	s_mov_b64 s[4:5], 0
                                        ; implicit-def: $sgpr10
	s_and_saveexec_b64 s[8:9], s[6:7]
	s_xor_b64 s[6:7], exec, s[8:9]
	s_cbranch_execnz .LBB13_3405
; %bb.1357:
	s_or_saveexec_b64 s[6:7], s[6:7]
	v_mov_b32_e32 v14, s10
	s_xor_b64 exec, exec, s[6:7]
	s_cbranch_execnz .LBB13_3408
.LBB13_1358:
	s_or_b64 exec, exec, s[6:7]
	s_and_saveexec_b64 s[6:7], s[4:5]
	s_cbranch_execz .LBB13_1360
.LBB13_1359:
	v_bfe_u32 v14, v12, 8, 3
	v_ffbh_u32_e32 v20, v14
	v_min_u32_e32 v20, 32, v20
	v_lshrrev_b16_e32 v15, 3, v11
	v_subrev_u32_e32 v21, 28, v20
	v_and_b32_e32 v15, 15, v15
	v_lshlrev_b32_e32 v11, v21, v11
	v_sub_u32_e32 v20, 29, v20
	v_and_b32_e32 v11, 7, v11
	v_cmp_eq_u16_e32 vcc, 0, v15
	v_cndmask_b32_e32 v11, v14, v11, vcc
	v_cndmask_b32_e32 v14, v15, v20, vcc
	v_lshlrev_b32_e32 v15, 16, v12
	v_mov_b32_e32 v20, 0x3b800000
	v_lshlrev_b32_e32 v11, 20, v11
	v_and_b32_e32 v15, 0x80000000, v15
	v_lshl_add_u32 v14, v14, 23, v20
	v_or3_b32 v14, v15, v14, v11
.LBB13_1360:
	s_or_b64 exec, exec, s[6:7]
	s_nop 0
	v_mfma_f32_16x16x4f32 a[0:3], v10, v14, a[0:3]
	s_movk_i32 s4, 0xff
	v_and_b32_sdwa v11, v16, s4 dst_sel:DWORD dst_unused:UNUSED_PAD src0_sel:WORD_1 src1_sel:DWORD
	s_movk_i32 s4, 0x7f
	v_cmp_lt_i16_e32 vcc, s4, v11
	s_mov_b64 s[4:5], 0
                                        ; implicit-def: $sgpr10
	s_and_saveexec_b64 s[6:7], vcc
	s_xor_b64 s[6:7], exec, s[6:7]
	s_cbranch_execnz .LBB13_3409
; %bb.1361:
	s_or_saveexec_b64 s[6:7], s[6:7]
	v_mov_b32_e32 v10, s10
	s_xor_b64 exec, exec, s[6:7]
	s_cbranch_execnz .LBB13_3412
.LBB13_1362:
	s_or_b64 exec, exec, s[6:7]
	s_and_saveexec_b64 s[6:7], s[4:5]
	s_cbranch_execz .LBB13_1364
.LBB13_1363:
	v_bfe_u32 v10, v16, 16, 3
	v_ffbh_u32_e32 v15, v10
	v_min_u32_e32 v15, 32, v15
	v_lshrrev_b32_e32 v11, 19, v16
	v_subrev_u32_e32 v20, 28, v15
	v_and_b32_e32 v11, 15, v11
	v_lshlrev_b32_sdwa v20, v20, v16 dst_sel:DWORD dst_unused:UNUSED_PAD src0_sel:DWORD src1_sel:WORD_1
	v_bfe_u32 v14, v16, 19, 4
	v_sub_u32_e32 v15, 29, v15
	v_and_b32_e32 v20, 7, v20
	v_cmp_eq_u16_e32 vcc, 0, v11
	v_cndmask_b32_e32 v10, v10, v20, vcc
	v_cndmask_b32_e32 v11, v14, v15, vcc
	v_lshlrev_b32_e32 v14, 8, v16
	v_mov_b32_e32 v15, 0x3b800000
	v_lshlrev_b32_e32 v10, 20, v10
	v_and_b32_e32 v14, 0x80000000, v14
	v_lshl_add_u32 v11, v11, 23, v15
	v_or3_b32 v10, v14, v11, v10
.LBB13_1364:
	s_or_b64 exec, exec, s[6:7]
	s_movk_i32 s4, 0xff
	v_and_b32_sdwa v11, v12, s4 dst_sel:DWORD dst_unused:UNUSED_PAD src0_sel:WORD_1 src1_sel:DWORD
	s_movk_i32 s4, 0x7f
	v_cmp_lt_i16_e32 vcc, s4, v11
	s_mov_b64 s[4:5], 0
                                        ; implicit-def: $sgpr10
	s_and_saveexec_b64 s[6:7], vcc
	s_xor_b64 s[6:7], exec, s[6:7]
	s_cbranch_execnz .LBB13_3413
; %bb.1365:
	s_or_saveexec_b64 s[6:7], s[6:7]
	v_mov_b32_e32 v14, s10
	s_xor_b64 exec, exec, s[6:7]
	s_cbranch_execnz .LBB13_3416
.LBB13_1366:
	s_or_b64 exec, exec, s[6:7]
	s_and_saveexec_b64 s[6:7], s[4:5]
	s_cbranch_execz .LBB13_1368
.LBB13_1367:
	v_bfe_u32 v11, v12, 16, 3
	v_ffbh_u32_e32 v20, v11
	v_min_u32_e32 v20, 32, v20
	v_lshrrev_b32_e32 v14, 19, v12
	v_subrev_u32_e32 v21, 28, v20
	v_and_b32_e32 v14, 15, v14
	v_lshlrev_b32_sdwa v21, v21, v12 dst_sel:DWORD dst_unused:UNUSED_PAD src0_sel:DWORD src1_sel:WORD_1
	v_bfe_u32 v15, v12, 19, 4
	v_sub_u32_e32 v20, 29, v20
	v_and_b32_e32 v21, 7, v21
	v_cmp_eq_u16_e32 vcc, 0, v14
	v_cndmask_b32_e32 v11, v11, v21, vcc
	v_cndmask_b32_e32 v14, v15, v20, vcc
	v_lshlrev_b32_e32 v15, 8, v12
	v_mov_b32_e32 v20, 0x3b800000
	v_lshlrev_b32_e32 v11, 20, v11
	v_and_b32_e32 v15, 0x80000000, v15
	v_lshl_add_u32 v14, v14, 23, v20
	v_or3_b32 v14, v15, v14, v11
.LBB13_1368:
	s_or_b64 exec, exec, s[6:7]
	s_nop 0
	v_mfma_f32_16x16x4f32 a[0:3], v10, v14, a[0:3]
	s_movk_i32 s4, 0x7f
	v_cmp_gt_i16_sdwa s[6:7], v16, s4 src0_sel:BYTE_3 src1_sel:DWORD
	s_mov_b64 s[4:5], 0
                                        ; implicit-def: $sgpr10
	s_and_saveexec_b64 s[8:9], s[6:7]
	s_xor_b64 s[6:7], exec, s[8:9]
	s_cbranch_execnz .LBB13_3417
; %bb.1369:
	s_or_saveexec_b64 s[6:7], s[6:7]
	v_mov_b32_e32 v10, s10
	s_xor_b64 exec, exec, s[6:7]
	s_cbranch_execnz .LBB13_3420
.LBB13_1370:
	s_or_b64 exec, exec, s[6:7]
	s_and_saveexec_b64 s[6:7], s[4:5]
	s_cbranch_execz .LBB13_1372
.LBB13_1371:
	v_bfe_u32 v10, v16, 24, 3
	v_ffbh_u32_e32 v20, v10
	v_min_u32_e32 v20, 32, v20
	v_lshrrev_b32_e32 v14, 27, v16
	v_subrev_u32_e32 v21, 28, v20
	v_and_b32_e32 v11, 0x80000000, v16
	v_and_b32_e32 v14, 15, v14
	v_bfe_u32 v15, v16, 27, 4
	v_lshlrev_b32_sdwa v16, v21, v16 dst_sel:DWORD dst_unused:UNUSED_PAD src0_sel:DWORD src1_sel:BYTE_3
	v_sub_u32_e32 v20, 29, v20
	v_and_b32_e32 v16, 7, v16
	v_cmp_eq_u16_e32 vcc, 0, v14
	v_cndmask_b32_e32 v10, v10, v16, vcc
	v_cndmask_b32_e32 v14, v15, v20, vcc
	v_mov_b32_e32 v15, 0x3b800000
	v_lshlrev_b32_e32 v10, 20, v10
	v_lshl_add_u32 v14, v14, 23, v15
	v_or3_b32 v10, v11, v14, v10
.LBB13_1372:
	s_or_b64 exec, exec, s[6:7]
	s_movk_i32 s4, 0x7f
	v_cmp_gt_i16_sdwa s[6:7], v12, s4 src0_sel:BYTE_3 src1_sel:DWORD
	s_mov_b64 s[4:5], 0
                                        ; implicit-def: $sgpr10
	s_and_saveexec_b64 s[8:9], s[6:7]
	s_xor_b64 s[6:7], exec, s[8:9]
	s_cbranch_execnz .LBB13_3421
; %bb.1373:
	s_or_saveexec_b64 s[6:7], s[6:7]
	v_mov_b32_e32 v11, s10
	s_xor_b64 exec, exec, s[6:7]
	s_cbranch_execnz .LBB13_3424
.LBB13_1374:
	s_or_b64 exec, exec, s[6:7]
	s_and_saveexec_b64 s[6:7], s[4:5]
	s_cbranch_execz .LBB13_1376
.LBB13_1375:
	v_bfe_u32 v11, v12, 24, 3
	v_ffbh_u32_e32 v20, v11
	v_min_u32_e32 v20, 32, v20
	v_lshrrev_b32_e32 v15, 27, v12
	v_subrev_u32_e32 v21, 28, v20
	v_and_b32_e32 v14, 0x80000000, v12
	v_and_b32_e32 v15, 15, v15
	v_bfe_u32 v16, v12, 27, 4
	v_lshlrev_b32_sdwa v12, v21, v12 dst_sel:DWORD dst_unused:UNUSED_PAD src0_sel:DWORD src1_sel:BYTE_3
	v_sub_u32_e32 v20, 29, v20
	v_and_b32_e32 v12, 7, v12
	v_cmp_eq_u16_e32 vcc, 0, v15
	v_cndmask_b32_e32 v11, v11, v12, vcc
	v_cndmask_b32_e32 v12, v16, v20, vcc
	v_mov_b32_e32 v15, 0x3b800000
	v_lshlrev_b32_e32 v11, 20, v11
	v_lshl_add_u32 v12, v12, 23, v15
	v_or3_b32 v11, v14, v12, v11
.LBB13_1376:
	s_or_b64 exec, exec, s[6:7]
	s_nop 0
	v_mfma_f32_16x16x4f32 a[0:3], v10, v11, a[0:3]
	s_movk_i32 s4, 0x7f
	v_cmp_gt_i16_sdwa s[6:7], v17, s4 src0_sel:BYTE_0 src1_sel:DWORD
	s_mov_b64 s[4:5], 0
                                        ; implicit-def: $sgpr10
	s_and_saveexec_b64 s[8:9], s[6:7]
	s_xor_b64 s[6:7], exec, s[8:9]
	s_cbranch_execnz .LBB13_3425
; %bb.1377:
	s_or_saveexec_b64 s[6:7], s[6:7]
	v_mov_b32_e32 v10, s10
	s_xor_b64 exec, exec, s[6:7]
	s_cbranch_execnz .LBB13_3428
.LBB13_1378:
	s_or_b64 exec, exec, s[6:7]
	s_and_saveexec_b64 s[6:7], s[4:5]
	s_cbranch_execz .LBB13_1380
.LBB13_1379:
	v_and_b32_e32 v10, 7, v17
	v_ffbh_u32_e32 v12, v10
	v_min_u32_e32 v12, 32, v12
	v_lshrrev_b16_e32 v11, 3, v17
	v_subrev_u32_e32 v14, 28, v12
	v_and_b32_e32 v11, 15, v11
	v_lshlrev_b32_e32 v14, v14, v17
	v_sub_u32_e32 v12, 29, v12
	v_and_b32_e32 v14, 7, v14
	v_cmp_eq_u16_e32 vcc, 0, v11
	v_cndmask_b32_e32 v10, v10, v14, vcc
	v_cndmask_b32_e32 v11, v11, v12, vcc
	v_lshlrev_b32_e32 v12, 24, v17
	v_mov_b32_e32 v14, 0x3b800000
	v_lshlrev_b32_e32 v10, 20, v10
	v_and_b32_e32 v12, 0x80000000, v12
	v_lshl_add_u32 v11, v11, 23, v14
	v_or3_b32 v10, v12, v11, v10
.LBB13_1380:
	s_or_b64 exec, exec, s[6:7]
	s_movk_i32 s4, 0x7f
	v_cmp_gt_i16_sdwa s[6:7], v13, s4 src0_sel:BYTE_0 src1_sel:DWORD
	s_mov_b64 s[4:5], 0
                                        ; implicit-def: $sgpr10
	s_and_saveexec_b64 s[8:9], s[6:7]
	s_xor_b64 s[6:7], exec, s[8:9]
	s_cbranch_execnz .LBB13_3429
; %bb.1381:
	s_or_saveexec_b64 s[6:7], s[6:7]
	v_mov_b32_e32 v11, s10
	s_xor_b64 exec, exec, s[6:7]
	s_cbranch_execnz .LBB13_3432
.LBB13_1382:
	s_or_b64 exec, exec, s[6:7]
	s_and_saveexec_b64 s[6:7], s[4:5]
	s_cbranch_execz .LBB13_1384
.LBB13_1383:
	v_and_b32_e32 v11, 7, v13
	v_ffbh_u32_e32 v14, v11
	v_min_u32_e32 v14, 32, v14
	v_lshrrev_b16_e32 v12, 3, v13
	v_subrev_u32_e32 v15, 28, v14
	v_and_b32_e32 v12, 15, v12
	v_lshlrev_b32_e32 v15, v15, v13
	v_sub_u32_e32 v14, 29, v14
	v_and_b32_e32 v15, 7, v15
	v_cmp_eq_u16_e32 vcc, 0, v12
	v_cndmask_b32_e32 v11, v11, v15, vcc
	v_cndmask_b32_e32 v12, v12, v14, vcc
	v_lshlrev_b32_e32 v14, 24, v13
	v_mov_b32_e32 v15, 0x3b800000
	v_lshlrev_b32_e32 v11, 20, v11
	v_and_b32_e32 v14, 0x80000000, v14
	v_lshl_add_u32 v12, v12, 23, v15
	v_or3_b32 v11, v14, v12, v11
.LBB13_1384:
	s_or_b64 exec, exec, s[6:7]
	s_nop 0
	v_mfma_f32_16x16x4f32 a[0:3], v10, v11, a[0:3]
	v_lshrrev_b32_e32 v11, 8, v17
	s_movk_i32 s4, 0x7f
	v_cmp_gt_i16_sdwa s[6:7], v11, s4 src0_sel:BYTE_0 src1_sel:DWORD
	s_mov_b64 s[4:5], 0
                                        ; implicit-def: $sgpr10
	s_and_saveexec_b64 s[8:9], s[6:7]
	s_xor_b64 s[6:7], exec, s[8:9]
	s_cbranch_execnz .LBB13_3433
; %bb.1385:
	s_or_saveexec_b64 s[6:7], s[6:7]
	v_mov_b32_e32 v10, s10
	s_xor_b64 exec, exec, s[6:7]
	s_cbranch_execnz .LBB13_3436
.LBB13_1386:
	s_or_b64 exec, exec, s[6:7]
	s_and_saveexec_b64 s[6:7], s[4:5]
	s_cbranch_execz .LBB13_1388
.LBB13_1387:
	v_bfe_u32 v10, v17, 8, 3
	v_ffbh_u32_e32 v14, v10
	v_min_u32_e32 v14, 32, v14
	v_lshrrev_b16_e32 v12, 3, v11
	v_subrev_u32_e32 v15, 28, v14
	v_and_b32_e32 v12, 15, v12
	v_lshlrev_b32_e32 v11, v15, v11
	v_sub_u32_e32 v14, 29, v14
	v_and_b32_e32 v11, 7, v11
	v_cmp_eq_u16_e32 vcc, 0, v12
	v_cndmask_b32_e32 v10, v10, v11, vcc
	v_cndmask_b32_e32 v11, v12, v14, vcc
	v_lshlrev_b32_e32 v12, 16, v17
	v_mov_b32_e32 v14, 0x3b800000
	v_lshlrev_b32_e32 v10, 20, v10
	v_and_b32_e32 v12, 0x80000000, v12
	v_lshl_add_u32 v11, v11, 23, v14
	v_or3_b32 v10, v12, v11, v10
.LBB13_1388:
	s_or_b64 exec, exec, s[6:7]
	v_lshrrev_b32_e32 v11, 8, v13
	s_movk_i32 s4, 0x7f
	v_cmp_gt_i16_sdwa s[6:7], v11, s4 src0_sel:BYTE_0 src1_sel:DWORD
	s_mov_b64 s[4:5], 0
                                        ; implicit-def: $sgpr10
	s_and_saveexec_b64 s[8:9], s[6:7]
	s_xor_b64 s[6:7], exec, s[8:9]
	s_cbranch_execnz .LBB13_3437
; %bb.1389:
	s_or_saveexec_b64 s[6:7], s[6:7]
	v_mov_b32_e32 v12, s10
	s_xor_b64 exec, exec, s[6:7]
	s_cbranch_execnz .LBB13_3440
.LBB13_1390:
	s_or_b64 exec, exec, s[6:7]
	s_and_saveexec_b64 s[6:7], s[4:5]
	s_cbranch_execz .LBB13_1392
.LBB13_1391:
	v_bfe_u32 v12, v13, 8, 3
	v_ffbh_u32_e32 v15, v12
	v_min_u32_e32 v15, 32, v15
	v_lshrrev_b16_e32 v14, 3, v11
	v_subrev_u32_e32 v16, 28, v15
	v_and_b32_e32 v14, 15, v14
	v_lshlrev_b32_e32 v11, v16, v11
	v_sub_u32_e32 v15, 29, v15
	v_and_b32_e32 v11, 7, v11
	v_cmp_eq_u16_e32 vcc, 0, v14
	v_cndmask_b32_e32 v11, v12, v11, vcc
	v_cndmask_b32_e32 v12, v14, v15, vcc
	v_lshlrev_b32_e32 v14, 16, v13
	v_mov_b32_e32 v15, 0x3b800000
	v_lshlrev_b32_e32 v11, 20, v11
	v_and_b32_e32 v14, 0x80000000, v14
	v_lshl_add_u32 v12, v12, 23, v15
	v_or3_b32 v12, v14, v12, v11
.LBB13_1392:
	s_or_b64 exec, exec, s[6:7]
	s_nop 0
	v_mfma_f32_16x16x4f32 a[0:3], v10, v12, a[0:3]
	s_movk_i32 s4, 0xff
	v_and_b32_sdwa v11, v17, s4 dst_sel:DWORD dst_unused:UNUSED_PAD src0_sel:WORD_1 src1_sel:DWORD
	s_movk_i32 s4, 0x7f
	v_cmp_lt_i16_e32 vcc, s4, v11
	s_mov_b64 s[4:5], 0
                                        ; implicit-def: $sgpr10
	s_and_saveexec_b64 s[6:7], vcc
	s_xor_b64 s[6:7], exec, s[6:7]
	s_cbranch_execnz .LBB13_3441
; %bb.1393:
	s_or_saveexec_b64 s[6:7], s[6:7]
	v_mov_b32_e32 v10, s10
	s_xor_b64 exec, exec, s[6:7]
	s_cbranch_execnz .LBB13_3444
.LBB13_1394:
	s_or_b64 exec, exec, s[6:7]
	s_and_saveexec_b64 s[6:7], s[4:5]
	s_cbranch_execz .LBB13_1396
.LBB13_1395:
	v_bfe_u32 v10, v17, 16, 3
	v_ffbh_u32_e32 v14, v10
	v_min_u32_e32 v14, 32, v14
	v_lshrrev_b32_e32 v11, 19, v17
	v_subrev_u32_e32 v15, 28, v14
	v_and_b32_e32 v11, 15, v11
	v_lshlrev_b32_sdwa v15, v15, v17 dst_sel:DWORD dst_unused:UNUSED_PAD src0_sel:DWORD src1_sel:WORD_1
	v_bfe_u32 v12, v17, 19, 4
	v_sub_u32_e32 v14, 29, v14
	v_and_b32_e32 v15, 7, v15
	v_cmp_eq_u16_e32 vcc, 0, v11
	v_cndmask_b32_e32 v10, v10, v15, vcc
	v_cndmask_b32_e32 v11, v12, v14, vcc
	v_lshlrev_b32_e32 v12, 8, v17
	v_mov_b32_e32 v14, 0x3b800000
	v_lshlrev_b32_e32 v10, 20, v10
	v_and_b32_e32 v12, 0x80000000, v12
	v_lshl_add_u32 v11, v11, 23, v14
	v_or3_b32 v10, v12, v11, v10
.LBB13_1396:
	s_or_b64 exec, exec, s[6:7]
	s_movk_i32 s4, 0xff
	v_and_b32_sdwa v11, v13, s4 dst_sel:DWORD dst_unused:UNUSED_PAD src0_sel:WORD_1 src1_sel:DWORD
	s_movk_i32 s4, 0x7f
	v_cmp_lt_i16_e32 vcc, s4, v11
	s_mov_b64 s[4:5], 0
                                        ; implicit-def: $sgpr10
	s_and_saveexec_b64 s[6:7], vcc
	s_xor_b64 s[6:7], exec, s[6:7]
	s_cbranch_execnz .LBB13_3445
; %bb.1397:
	s_or_saveexec_b64 s[6:7], s[6:7]
	v_mov_b32_e32 v12, s10
	s_xor_b64 exec, exec, s[6:7]
	s_cbranch_execnz .LBB13_3448
.LBB13_1398:
	s_or_b64 exec, exec, s[6:7]
	s_and_saveexec_b64 s[6:7], s[4:5]
	s_cbranch_execz .LBB13_1400
.LBB13_1399:
	v_bfe_u32 v11, v13, 16, 3
	v_ffbh_u32_e32 v15, v11
	v_min_u32_e32 v15, 32, v15
	v_lshrrev_b32_e32 v12, 19, v13
	v_subrev_u32_e32 v16, 28, v15
	v_and_b32_e32 v12, 15, v12
	v_lshlrev_b32_sdwa v16, v16, v13 dst_sel:DWORD dst_unused:UNUSED_PAD src0_sel:DWORD src1_sel:WORD_1
	v_bfe_u32 v14, v13, 19, 4
	v_sub_u32_e32 v15, 29, v15
	v_and_b32_e32 v16, 7, v16
	v_cmp_eq_u16_e32 vcc, 0, v12
	v_cndmask_b32_e32 v11, v11, v16, vcc
	v_cndmask_b32_e32 v12, v14, v15, vcc
	v_lshlrev_b32_e32 v14, 8, v13
	v_mov_b32_e32 v15, 0x3b800000
	v_lshlrev_b32_e32 v11, 20, v11
	v_and_b32_e32 v14, 0x80000000, v14
	v_lshl_add_u32 v12, v12, 23, v15
	v_or3_b32 v12, v14, v12, v11
.LBB13_1400:
	s_or_b64 exec, exec, s[6:7]
	s_nop 0
	v_mfma_f32_16x16x4f32 a[0:3], v10, v12, a[0:3]
	s_movk_i32 s4, 0x7f
	v_cmp_gt_i16_sdwa s[6:7], v17, s4 src0_sel:BYTE_3 src1_sel:DWORD
	s_mov_b64 s[4:5], 0
                                        ; implicit-def: $sgpr10
	s_and_saveexec_b64 s[8:9], s[6:7]
	s_xor_b64 s[6:7], exec, s[8:9]
	s_cbranch_execnz .LBB13_3449
; %bb.1401:
	s_or_saveexec_b64 s[6:7], s[6:7]
	v_mov_b32_e32 v10, s10
	s_xor_b64 exec, exec, s[6:7]
	s_cbranch_execnz .LBB13_3452
.LBB13_1402:
	s_or_b64 exec, exec, s[6:7]
	s_and_saveexec_b64 s[6:7], s[4:5]
	s_cbranch_execz .LBB13_1404
.LBB13_1403:
	v_bfe_u32 v10, v17, 24, 3
	v_ffbh_u32_e32 v15, v10
	v_min_u32_e32 v15, 32, v15
	v_lshrrev_b32_e32 v12, 27, v17
	v_subrev_u32_e32 v16, 28, v15
	v_and_b32_e32 v12, 15, v12
	v_lshlrev_b32_sdwa v16, v16, v17 dst_sel:DWORD dst_unused:UNUSED_PAD src0_sel:DWORD src1_sel:BYTE_3
	v_bfe_u32 v14, v17, 27, 4
	v_sub_u32_e32 v15, 29, v15
	v_and_b32_e32 v16, 7, v16
	v_cmp_eq_u16_e32 vcc, 0, v12
	v_cndmask_b32_e32 v10, v10, v16, vcc
	v_cndmask_b32_e32 v12, v14, v15, vcc
	v_mov_b32_e32 v14, 0x3b800000
	v_and_b32_e32 v11, 0x80000000, v17
	v_lshlrev_b32_e32 v10, 20, v10
	v_lshl_add_u32 v12, v12, 23, v14
	v_or3_b32 v10, v11, v12, v10
.LBB13_1404:
	s_or_b64 exec, exec, s[6:7]
	s_movk_i32 s4, 0x7f
	v_cmp_gt_i16_sdwa s[6:7], v13, s4 src0_sel:BYTE_3 src1_sel:DWORD
	s_mov_b64 s[4:5], 0
                                        ; implicit-def: $sgpr10
	s_and_saveexec_b64 s[8:9], s[6:7]
	s_xor_b64 s[6:7], exec, s[8:9]
	s_cbranch_execnz .LBB13_3453
; %bb.1405:
	s_or_saveexec_b64 s[6:7], s[6:7]
	v_mov_b32_e32 v11, s10
	s_xor_b64 exec, exec, s[6:7]
	s_cbranch_execnz .LBB13_3456
.LBB13_1406:
	s_or_b64 exec, exec, s[6:7]
	s_and_saveexec_b64 s[6:7], s[4:5]
	s_cbranch_execz .LBB13_1408
.LBB13_1407:
	v_bfe_u32 v11, v13, 24, 3
	v_ffbh_u32_e32 v16, v11
	v_min_u32_e32 v16, 32, v16
	v_lshrrev_b32_e32 v14, 27, v13
	v_subrev_u32_e32 v17, 28, v16
	v_and_b32_e32 v12, 0x80000000, v13
	v_and_b32_e32 v14, 15, v14
	v_bfe_u32 v15, v13, 27, 4
	v_lshlrev_b32_sdwa v13, v17, v13 dst_sel:DWORD dst_unused:UNUSED_PAD src0_sel:DWORD src1_sel:BYTE_3
	v_sub_u32_e32 v16, 29, v16
	v_and_b32_e32 v13, 7, v13
	v_cmp_eq_u16_e32 vcc, 0, v14
	v_cndmask_b32_e32 v11, v11, v13, vcc
	v_cndmask_b32_e32 v13, v15, v16, vcc
	v_mov_b32_e32 v14, 0x3b800000
	v_lshlrev_b32_e32 v11, 20, v11
	v_lshl_add_u32 v13, v13, 23, v14
	v_or3_b32 v11, v12, v13, v11
.LBB13_1408:
	s_or_b64 exec, exec, s[6:7]
	s_nop 0
	v_mfma_f32_16x16x4f32 a[0:3], v10, v11, a[0:3]
	s_movk_i32 s4, 0x7f
	v_cmp_gt_i16_sdwa s[6:7], v6, s4 src0_sel:BYTE_0 src1_sel:DWORD
	s_mov_b64 s[4:5], 0
                                        ; implicit-def: $sgpr10
	s_and_saveexec_b64 s[8:9], s[6:7]
	s_xor_b64 s[6:7], exec, s[8:9]
	s_cbranch_execnz .LBB13_3457
; %bb.1409:
	s_or_saveexec_b64 s[6:7], s[6:7]
	v_mov_b32_e32 v10, s10
	s_xor_b64 exec, exec, s[6:7]
	s_cbranch_execnz .LBB13_3460
.LBB13_1410:
	s_or_b64 exec, exec, s[6:7]
	s_and_saveexec_b64 s[6:7], s[4:5]
	s_cbranch_execz .LBB13_1412
.LBB13_1411:
	v_and_b32_e32 v10, 7, v6
	v_ffbh_u32_e32 v12, v10
	v_min_u32_e32 v12, 32, v12
	v_lshrrev_b16_e32 v11, 3, v6
	v_subrev_u32_e32 v13, 28, v12
	v_and_b32_e32 v11, 15, v11
	v_lshlrev_b32_e32 v13, v13, v6
	v_sub_u32_e32 v12, 29, v12
	v_and_b32_e32 v13, 7, v13
	v_cmp_eq_u16_e32 vcc, 0, v11
	v_cndmask_b32_e32 v10, v10, v13, vcc
	v_cndmask_b32_e32 v11, v11, v12, vcc
	v_lshlrev_b32_e32 v12, 24, v6
	v_mov_b32_e32 v13, 0x3b800000
	v_lshlrev_b32_e32 v10, 20, v10
	v_and_b32_e32 v12, 0x80000000, v12
	v_lshl_add_u32 v11, v11, 23, v13
	v_or3_b32 v10, v12, v11, v10
.LBB13_1412:
	s_or_b64 exec, exec, s[6:7]
	s_movk_i32 s4, 0x7f
	v_cmp_gt_i16_sdwa s[6:7], v2, s4 src0_sel:BYTE_0 src1_sel:DWORD
	s_mov_b64 s[4:5], 0
                                        ; implicit-def: $sgpr10
	s_and_saveexec_b64 s[8:9], s[6:7]
	s_xor_b64 s[6:7], exec, s[8:9]
	s_cbranch_execnz .LBB13_3461
; %bb.1413:
	s_or_saveexec_b64 s[6:7], s[6:7]
	v_mov_b32_e32 v11, s10
	s_xor_b64 exec, exec, s[6:7]
	s_cbranch_execnz .LBB13_3464
.LBB13_1414:
	s_or_b64 exec, exec, s[6:7]
	s_and_saveexec_b64 s[6:7], s[4:5]
	s_cbranch_execz .LBB13_1416
.LBB13_1415:
	v_and_b32_e32 v11, 7, v2
	v_ffbh_u32_e32 v13, v11
	v_min_u32_e32 v13, 32, v13
	v_lshrrev_b16_e32 v12, 3, v2
	v_subrev_u32_e32 v14, 28, v13
	v_and_b32_e32 v12, 15, v12
	v_lshlrev_b32_e32 v14, v14, v2
	v_sub_u32_e32 v13, 29, v13
	v_and_b32_e32 v14, 7, v14
	v_cmp_eq_u16_e32 vcc, 0, v12
	v_cndmask_b32_e32 v11, v11, v14, vcc
	v_cndmask_b32_e32 v12, v12, v13, vcc
	v_lshlrev_b32_e32 v13, 24, v2
	v_mov_b32_e32 v14, 0x3b800000
	v_lshlrev_b32_e32 v11, 20, v11
	v_and_b32_e32 v13, 0x80000000, v13
	v_lshl_add_u32 v12, v12, 23, v14
	v_or3_b32 v11, v13, v12, v11
.LBB13_1416:
	s_or_b64 exec, exec, s[6:7]
	s_nop 0
	v_mfma_f32_16x16x4f32 a[0:3], v10, v11, a[0:3]
	v_lshrrev_b32_e32 v11, 8, v6
	s_movk_i32 s4, 0x7f
	v_cmp_gt_i16_sdwa s[6:7], v11, s4 src0_sel:BYTE_0 src1_sel:DWORD
	s_mov_b64 s[4:5], 0
                                        ; implicit-def: $sgpr10
	s_and_saveexec_b64 s[8:9], s[6:7]
	s_xor_b64 s[6:7], exec, s[8:9]
	s_cbranch_execnz .LBB13_3465
; %bb.1417:
	s_or_saveexec_b64 s[6:7], s[6:7]
	v_mov_b32_e32 v10, s10
	s_xor_b64 exec, exec, s[6:7]
	s_cbranch_execnz .LBB13_3468
.LBB13_1418:
	s_or_b64 exec, exec, s[6:7]
	s_and_saveexec_b64 s[6:7], s[4:5]
	s_cbranch_execz .LBB13_1420
.LBB13_1419:
	v_bfe_u32 v10, v6, 8, 3
	v_ffbh_u32_e32 v13, v10
	v_min_u32_e32 v13, 32, v13
	v_lshrrev_b16_e32 v12, 3, v11
	v_subrev_u32_e32 v14, 28, v13
	v_and_b32_e32 v12, 15, v12
	v_lshlrev_b32_e32 v11, v14, v11
	v_sub_u32_e32 v13, 29, v13
	v_and_b32_e32 v11, 7, v11
	v_cmp_eq_u16_e32 vcc, 0, v12
	v_cndmask_b32_e32 v10, v10, v11, vcc
	v_cndmask_b32_e32 v11, v12, v13, vcc
	v_lshlrev_b32_e32 v12, 16, v6
	v_mov_b32_e32 v13, 0x3b800000
	v_lshlrev_b32_e32 v10, 20, v10
	v_and_b32_e32 v12, 0x80000000, v12
	v_lshl_add_u32 v11, v11, 23, v13
	v_or3_b32 v10, v12, v11, v10
.LBB13_1420:
	s_or_b64 exec, exec, s[6:7]
	v_lshrrev_b32_e32 v11, 8, v2
	s_movk_i32 s4, 0x7f
	v_cmp_gt_i16_sdwa s[6:7], v11, s4 src0_sel:BYTE_0 src1_sel:DWORD
	s_mov_b64 s[4:5], 0
                                        ; implicit-def: $sgpr10
	s_and_saveexec_b64 s[8:9], s[6:7]
	s_xor_b64 s[6:7], exec, s[8:9]
	s_cbranch_execnz .LBB13_3469
; %bb.1421:
	s_or_saveexec_b64 s[6:7], s[6:7]
	v_mov_b32_e32 v12, s10
	s_xor_b64 exec, exec, s[6:7]
	s_cbranch_execnz .LBB13_3472
.LBB13_1422:
	s_or_b64 exec, exec, s[6:7]
	s_and_saveexec_b64 s[6:7], s[4:5]
	s_cbranch_execz .LBB13_1424
.LBB13_1423:
	v_bfe_u32 v12, v2, 8, 3
	v_ffbh_u32_e32 v14, v12
	v_min_u32_e32 v14, 32, v14
	v_lshrrev_b16_e32 v13, 3, v11
	v_subrev_u32_e32 v15, 28, v14
	v_and_b32_e32 v13, 15, v13
	v_lshlrev_b32_e32 v11, v15, v11
	v_sub_u32_e32 v14, 29, v14
	v_and_b32_e32 v11, 7, v11
	v_cmp_eq_u16_e32 vcc, 0, v13
	v_cndmask_b32_e32 v11, v12, v11, vcc
	v_cndmask_b32_e32 v12, v13, v14, vcc
	v_lshlrev_b32_e32 v13, 16, v2
	v_mov_b32_e32 v14, 0x3b800000
	v_lshlrev_b32_e32 v11, 20, v11
	v_and_b32_e32 v13, 0x80000000, v13
	v_lshl_add_u32 v12, v12, 23, v14
	v_or3_b32 v12, v13, v12, v11
.LBB13_1424:
	s_or_b64 exec, exec, s[6:7]
	s_nop 0
	v_mfma_f32_16x16x4f32 a[0:3], v10, v12, a[0:3]
	s_movk_i32 s4, 0xff
	v_and_b32_sdwa v11, v6, s4 dst_sel:DWORD dst_unused:UNUSED_PAD src0_sel:WORD_1 src1_sel:DWORD
	s_movk_i32 s4, 0x7f
	v_cmp_lt_i16_e32 vcc, s4, v11
	s_mov_b64 s[4:5], 0
                                        ; implicit-def: $sgpr10
	s_and_saveexec_b64 s[6:7], vcc
	s_xor_b64 s[6:7], exec, s[6:7]
	s_cbranch_execnz .LBB13_3473
; %bb.1425:
	s_or_saveexec_b64 s[6:7], s[6:7]
	v_mov_b32_e32 v10, s10
	s_xor_b64 exec, exec, s[6:7]
	s_cbranch_execnz .LBB13_3476
.LBB13_1426:
	s_or_b64 exec, exec, s[6:7]
	s_and_saveexec_b64 s[6:7], s[4:5]
	s_cbranch_execz .LBB13_1428
.LBB13_1427:
	v_bfe_u32 v10, v6, 16, 3
	v_ffbh_u32_e32 v13, v10
	v_min_u32_e32 v13, 32, v13
	v_lshrrev_b32_e32 v11, 19, v6
	v_subrev_u32_e32 v14, 28, v13
	v_and_b32_e32 v11, 15, v11
	v_lshlrev_b32_sdwa v14, v14, v6 dst_sel:DWORD dst_unused:UNUSED_PAD src0_sel:DWORD src1_sel:WORD_1
	v_bfe_u32 v12, v6, 19, 4
	v_sub_u32_e32 v13, 29, v13
	v_and_b32_e32 v14, 7, v14
	v_cmp_eq_u16_e32 vcc, 0, v11
	v_cndmask_b32_e32 v10, v10, v14, vcc
	v_cndmask_b32_e32 v11, v12, v13, vcc
	v_lshlrev_b32_e32 v12, 8, v6
	v_mov_b32_e32 v13, 0x3b800000
	v_lshlrev_b32_e32 v10, 20, v10
	v_and_b32_e32 v12, 0x80000000, v12
	v_lshl_add_u32 v11, v11, 23, v13
	v_or3_b32 v10, v12, v11, v10
.LBB13_1428:
	s_or_b64 exec, exec, s[6:7]
	s_movk_i32 s4, 0xff
	v_and_b32_sdwa v11, v2, s4 dst_sel:DWORD dst_unused:UNUSED_PAD src0_sel:WORD_1 src1_sel:DWORD
	s_movk_i32 s4, 0x7f
	v_cmp_lt_i16_e32 vcc, s4, v11
	s_mov_b64 s[4:5], 0
                                        ; implicit-def: $sgpr10
	s_and_saveexec_b64 s[6:7], vcc
	s_xor_b64 s[6:7], exec, s[6:7]
	s_cbranch_execnz .LBB13_3477
; %bb.1429:
	s_or_saveexec_b64 s[6:7], s[6:7]
	v_mov_b32_e32 v12, s10
	s_xor_b64 exec, exec, s[6:7]
	s_cbranch_execnz .LBB13_3480
.LBB13_1430:
	s_or_b64 exec, exec, s[6:7]
	s_and_saveexec_b64 s[6:7], s[4:5]
	s_cbranch_execz .LBB13_1432
.LBB13_1431:
	v_bfe_u32 v11, v2, 16, 3
	v_ffbh_u32_e32 v14, v11
	v_min_u32_e32 v14, 32, v14
	v_lshrrev_b32_e32 v12, 19, v2
	v_subrev_u32_e32 v15, 28, v14
	v_and_b32_e32 v12, 15, v12
	v_lshlrev_b32_sdwa v15, v15, v2 dst_sel:DWORD dst_unused:UNUSED_PAD src0_sel:DWORD src1_sel:WORD_1
	v_bfe_u32 v13, v2, 19, 4
	v_sub_u32_e32 v14, 29, v14
	v_and_b32_e32 v15, 7, v15
	v_cmp_eq_u16_e32 vcc, 0, v12
	v_cndmask_b32_e32 v11, v11, v15, vcc
	v_cndmask_b32_e32 v12, v13, v14, vcc
	v_lshlrev_b32_e32 v13, 8, v2
	v_mov_b32_e32 v14, 0x3b800000
	v_lshlrev_b32_e32 v11, 20, v11
	v_and_b32_e32 v13, 0x80000000, v13
	v_lshl_add_u32 v12, v12, 23, v14
	v_or3_b32 v12, v13, v12, v11
.LBB13_1432:
	s_or_b64 exec, exec, s[6:7]
	s_nop 0
	v_mfma_f32_16x16x4f32 a[0:3], v10, v12, a[0:3]
	s_movk_i32 s4, 0x7f
	v_cmp_gt_i16_sdwa s[6:7], v6, s4 src0_sel:BYTE_3 src1_sel:DWORD
	s_mov_b64 s[4:5], 0
                                        ; implicit-def: $sgpr10
	s_and_saveexec_b64 s[8:9], s[6:7]
	s_xor_b64 s[6:7], exec, s[8:9]
	s_cbranch_execnz .LBB13_3481
; %bb.1433:
	s_or_saveexec_b64 s[6:7], s[6:7]
	v_mov_b32_e32 v10, s10
	s_xor_b64 exec, exec, s[6:7]
	s_cbranch_execnz .LBB13_3484
.LBB13_1434:
	s_or_b64 exec, exec, s[6:7]
	s_and_saveexec_b64 s[6:7], s[4:5]
	s_cbranch_execz .LBB13_1436
.LBB13_1435:
	v_bfe_u32 v10, v6, 24, 3
	v_ffbh_u32_e32 v14, v10
	v_min_u32_e32 v14, 32, v14
	v_lshrrev_b32_e32 v12, 27, v6
	v_subrev_u32_e32 v15, 28, v14
	v_and_b32_e32 v11, 0x80000000, v6
	v_and_b32_e32 v12, 15, v12
	v_bfe_u32 v13, v6, 27, 4
	v_lshlrev_b32_sdwa v6, v15, v6 dst_sel:DWORD dst_unused:UNUSED_PAD src0_sel:DWORD src1_sel:BYTE_3
	v_sub_u32_e32 v14, 29, v14
	v_and_b32_e32 v6, 7, v6
	v_cmp_eq_u16_e32 vcc, 0, v12
	v_cndmask_b32_e32 v6, v10, v6, vcc
	v_cndmask_b32_e32 v10, v13, v14, vcc
	v_mov_b32_e32 v12, 0x3b800000
	v_lshlrev_b32_e32 v6, 20, v6
	v_lshl_add_u32 v10, v10, 23, v12
	v_or3_b32 v10, v11, v10, v6
.LBB13_1436:
	s_or_b64 exec, exec, s[6:7]
	s_movk_i32 s4, 0x7f
	v_cmp_gt_i16_sdwa s[6:7], v2, s4 src0_sel:BYTE_3 src1_sel:DWORD
	s_mov_b64 s[4:5], 0
                                        ; implicit-def: $sgpr10
	s_and_saveexec_b64 s[8:9], s[6:7]
	s_xor_b64 s[6:7], exec, s[8:9]
	s_cbranch_execnz .LBB13_3485
; %bb.1437:
	s_or_saveexec_b64 s[6:7], s[6:7]
	v_mov_b32_e32 v6, s10
	s_xor_b64 exec, exec, s[6:7]
	s_cbranch_execnz .LBB13_3488
.LBB13_1438:
	s_or_b64 exec, exec, s[6:7]
	s_and_saveexec_b64 s[6:7], s[4:5]
	s_cbranch_execz .LBB13_1440
.LBB13_1439:
	v_bfe_u32 v6, v2, 24, 3
	v_ffbh_u32_e32 v14, v6
	v_min_u32_e32 v14, 32, v14
	v_lshrrev_b32_e32 v12, 27, v2
	v_subrev_u32_e32 v15, 28, v14
	v_and_b32_e32 v11, 0x80000000, v2
	v_and_b32_e32 v12, 15, v12
	v_bfe_u32 v13, v2, 27, 4
	v_lshlrev_b32_sdwa v2, v15, v2 dst_sel:DWORD dst_unused:UNUSED_PAD src0_sel:DWORD src1_sel:BYTE_3
	v_sub_u32_e32 v14, 29, v14
	v_and_b32_e32 v2, 7, v2
	v_cmp_eq_u16_e32 vcc, 0, v12
	v_cndmask_b32_e32 v2, v6, v2, vcc
	v_cndmask_b32_e32 v6, v13, v14, vcc
	v_mov_b32_e32 v12, 0x3b800000
	v_lshlrev_b32_e32 v2, 20, v2
	v_lshl_add_u32 v6, v6, 23, v12
	v_or3_b32 v6, v11, v6, v2
.LBB13_1440:
	s_or_b64 exec, exec, s[6:7]
	s_nop 0
	v_mfma_f32_16x16x4f32 a[0:3], v10, v6, a[0:3]
	s_movk_i32 s4, 0x7f
	v_cmp_gt_i16_sdwa s[6:7], v7, s4 src0_sel:BYTE_0 src1_sel:DWORD
	s_mov_b64 s[4:5], 0
                                        ; implicit-def: $sgpr10
	s_and_saveexec_b64 s[8:9], s[6:7]
	s_xor_b64 s[6:7], exec, s[8:9]
	s_cbranch_execnz .LBB13_3489
; %bb.1441:
	s_or_saveexec_b64 s[6:7], s[6:7]
	v_mov_b32_e32 v2, s10
	s_xor_b64 exec, exec, s[6:7]
	s_cbranch_execnz .LBB13_3492
.LBB13_1442:
	s_or_b64 exec, exec, s[6:7]
	s_and_saveexec_b64 s[6:7], s[4:5]
	s_cbranch_execz .LBB13_1444
.LBB13_1443:
	v_and_b32_e32 v2, 7, v7
	v_ffbh_u32_e32 v10, v2
	v_min_u32_e32 v10, 32, v10
	v_lshrrev_b16_e32 v6, 3, v7
	v_subrev_u32_e32 v11, 28, v10
	v_and_b32_e32 v6, 15, v6
	v_lshlrev_b32_e32 v11, v11, v7
	v_sub_u32_e32 v10, 29, v10
	v_and_b32_e32 v11, 7, v11
	v_cmp_eq_u16_e32 vcc, 0, v6
	v_cndmask_b32_e32 v2, v2, v11, vcc
	v_cndmask_b32_e32 v6, v6, v10, vcc
	v_lshlrev_b32_e32 v10, 24, v7
	v_mov_b32_e32 v11, 0x3b800000
	v_lshlrev_b32_e32 v2, 20, v2
	v_and_b32_e32 v10, 0x80000000, v10
	v_lshl_add_u32 v6, v6, 23, v11
	v_or3_b32 v2, v10, v6, v2
.LBB13_1444:
	s_or_b64 exec, exec, s[6:7]
	s_movk_i32 s4, 0x7f
	v_cmp_gt_i16_sdwa s[6:7], v3, s4 src0_sel:BYTE_0 src1_sel:DWORD
	s_mov_b64 s[4:5], 0
                                        ; implicit-def: $sgpr10
	s_and_saveexec_b64 s[8:9], s[6:7]
	s_xor_b64 s[6:7], exec, s[8:9]
	s_cbranch_execnz .LBB13_3493
; %bb.1445:
	s_or_saveexec_b64 s[6:7], s[6:7]
	v_mov_b32_e32 v6, s10
	s_xor_b64 exec, exec, s[6:7]
	s_cbranch_execnz .LBB13_3496
.LBB13_1446:
	s_or_b64 exec, exec, s[6:7]
	s_and_saveexec_b64 s[6:7], s[4:5]
	s_cbranch_execz .LBB13_1448
.LBB13_1447:
	v_and_b32_e32 v6, 7, v3
	v_ffbh_u32_e32 v11, v6
	v_min_u32_e32 v11, 32, v11
	v_lshrrev_b16_e32 v10, 3, v3
	v_subrev_u32_e32 v12, 28, v11
	v_and_b32_e32 v10, 15, v10
	v_lshlrev_b32_e32 v12, v12, v3
	v_sub_u32_e32 v11, 29, v11
	v_and_b32_e32 v12, 7, v12
	v_cmp_eq_u16_e32 vcc, 0, v10
	v_cndmask_b32_e32 v6, v6, v12, vcc
	v_cndmask_b32_e32 v10, v10, v11, vcc
	v_lshlrev_b32_e32 v11, 24, v3
	v_mov_b32_e32 v12, 0x3b800000
	v_lshlrev_b32_e32 v6, 20, v6
	v_and_b32_e32 v11, 0x80000000, v11
	v_lshl_add_u32 v10, v10, 23, v12
	v_or3_b32 v6, v11, v10, v6
.LBB13_1448:
	s_or_b64 exec, exec, s[6:7]
	s_nop 0
	v_mfma_f32_16x16x4f32 a[0:3], v2, v6, a[0:3]
	v_lshrrev_b32_e32 v6, 8, v7
	s_movk_i32 s4, 0x7f
	v_cmp_gt_i16_sdwa s[6:7], v6, s4 src0_sel:BYTE_0 src1_sel:DWORD
	s_mov_b64 s[4:5], 0
                                        ; implicit-def: $sgpr10
	s_and_saveexec_b64 s[8:9], s[6:7]
	s_xor_b64 s[6:7], exec, s[8:9]
	s_cbranch_execnz .LBB13_3497
; %bb.1449:
	s_or_saveexec_b64 s[6:7], s[6:7]
	v_mov_b32_e32 v2, s10
	s_xor_b64 exec, exec, s[6:7]
	s_cbranch_execnz .LBB13_3500
.LBB13_1450:
	s_or_b64 exec, exec, s[6:7]
	s_and_saveexec_b64 s[6:7], s[4:5]
	s_cbranch_execz .LBB13_1452
.LBB13_1451:
	v_bfe_u32 v2, v7, 8, 3
	v_ffbh_u32_e32 v11, v2
	v_min_u32_e32 v11, 32, v11
	v_lshrrev_b16_e32 v10, 3, v6
	v_subrev_u32_e32 v12, 28, v11
	v_and_b32_e32 v10, 15, v10
	v_lshlrev_b32_e32 v6, v12, v6
	v_sub_u32_e32 v11, 29, v11
	v_and_b32_e32 v6, 7, v6
	v_cmp_eq_u16_e32 vcc, 0, v10
	v_cndmask_b32_e32 v2, v2, v6, vcc
	v_cndmask_b32_e32 v6, v10, v11, vcc
	v_lshlrev_b32_e32 v10, 16, v7
	v_mov_b32_e32 v11, 0x3b800000
	v_lshlrev_b32_e32 v2, 20, v2
	v_and_b32_e32 v10, 0x80000000, v10
	v_lshl_add_u32 v6, v6, 23, v11
	v_or3_b32 v2, v10, v6, v2
.LBB13_1452:
	s_or_b64 exec, exec, s[6:7]
	v_lshrrev_b32_e32 v6, 8, v3
	s_movk_i32 s4, 0x7f
	v_cmp_gt_i16_sdwa s[6:7], v6, s4 src0_sel:BYTE_0 src1_sel:DWORD
	s_mov_b64 s[4:5], 0
                                        ; implicit-def: $sgpr10
	s_and_saveexec_b64 s[8:9], s[6:7]
	s_xor_b64 s[6:7], exec, s[8:9]
	s_cbranch_execnz .LBB13_3501
; %bb.1453:
	s_or_saveexec_b64 s[6:7], s[6:7]
	v_mov_b32_e32 v10, s10
	s_xor_b64 exec, exec, s[6:7]
	s_cbranch_execnz .LBB13_3504
.LBB13_1454:
	s_or_b64 exec, exec, s[6:7]
	s_and_saveexec_b64 s[6:7], s[4:5]
	s_cbranch_execz .LBB13_1456
.LBB13_1455:
	v_bfe_u32 v10, v3, 8, 3
	v_ffbh_u32_e32 v12, v10
	v_min_u32_e32 v12, 32, v12
	v_lshrrev_b16_e32 v11, 3, v6
	v_subrev_u32_e32 v13, 28, v12
	v_and_b32_e32 v11, 15, v11
	v_lshlrev_b32_e32 v6, v13, v6
	v_sub_u32_e32 v12, 29, v12
	v_and_b32_e32 v6, 7, v6
	v_cmp_eq_u16_e32 vcc, 0, v11
	v_cndmask_b32_e32 v6, v10, v6, vcc
	v_cndmask_b32_e32 v10, v11, v12, vcc
	v_lshlrev_b32_e32 v11, 16, v3
	v_mov_b32_e32 v12, 0x3b800000
	v_lshlrev_b32_e32 v6, 20, v6
	v_and_b32_e32 v11, 0x80000000, v11
	v_lshl_add_u32 v10, v10, 23, v12
	v_or3_b32 v10, v11, v10, v6
.LBB13_1456:
	s_or_b64 exec, exec, s[6:7]
	s_nop 0
	v_mfma_f32_16x16x4f32 a[0:3], v2, v10, a[0:3]
	s_movk_i32 s4, 0xff
	v_and_b32_sdwa v6, v7, s4 dst_sel:DWORD dst_unused:UNUSED_PAD src0_sel:WORD_1 src1_sel:DWORD
	s_movk_i32 s4, 0x7f
	v_cmp_lt_i16_e32 vcc, s4, v6
	s_mov_b64 s[4:5], 0
                                        ; implicit-def: $sgpr10
	s_and_saveexec_b64 s[6:7], vcc
	s_xor_b64 s[6:7], exec, s[6:7]
	s_cbranch_execnz .LBB13_3505
; %bb.1457:
	s_or_saveexec_b64 s[6:7], s[6:7]
	v_mov_b32_e32 v2, s10
	s_xor_b64 exec, exec, s[6:7]
	s_cbranch_execnz .LBB13_3508
.LBB13_1458:
	s_or_b64 exec, exec, s[6:7]
	s_and_saveexec_b64 s[6:7], s[4:5]
	s_cbranch_execz .LBB13_1460
.LBB13_1459:
	v_bfe_u32 v2, v7, 16, 3
	v_ffbh_u32_e32 v11, v2
	v_min_u32_e32 v11, 32, v11
	v_lshrrev_b32_e32 v6, 19, v7
	v_subrev_u32_e32 v12, 28, v11
	v_and_b32_e32 v6, 15, v6
	v_lshlrev_b32_sdwa v12, v12, v7 dst_sel:DWORD dst_unused:UNUSED_PAD src0_sel:DWORD src1_sel:WORD_1
	v_bfe_u32 v10, v7, 19, 4
	v_sub_u32_e32 v11, 29, v11
	v_and_b32_e32 v12, 7, v12
	v_cmp_eq_u16_e32 vcc, 0, v6
	v_cndmask_b32_e32 v2, v2, v12, vcc
	v_cndmask_b32_e32 v6, v10, v11, vcc
	v_lshlrev_b32_e32 v10, 8, v7
	v_mov_b32_e32 v11, 0x3b800000
	v_lshlrev_b32_e32 v2, 20, v2
	v_and_b32_e32 v10, 0x80000000, v10
	v_lshl_add_u32 v6, v6, 23, v11
	v_or3_b32 v2, v10, v6, v2
.LBB13_1460:
	s_or_b64 exec, exec, s[6:7]
	s_movk_i32 s4, 0xff
	v_and_b32_sdwa v6, v3, s4 dst_sel:DWORD dst_unused:UNUSED_PAD src0_sel:WORD_1 src1_sel:DWORD
	s_movk_i32 s4, 0x7f
	v_cmp_lt_i16_e32 vcc, s4, v6
	s_mov_b64 s[4:5], 0
                                        ; implicit-def: $sgpr10
	s_and_saveexec_b64 s[6:7], vcc
	s_xor_b64 s[6:7], exec, s[6:7]
	s_cbranch_execnz .LBB13_3509
; %bb.1461:
	s_or_saveexec_b64 s[6:7], s[6:7]
	v_mov_b32_e32 v10, s10
	s_xor_b64 exec, exec, s[6:7]
	s_cbranch_execnz .LBB13_3512
.LBB13_1462:
	s_or_b64 exec, exec, s[6:7]
	s_and_saveexec_b64 s[6:7], s[4:5]
	s_cbranch_execz .LBB13_1464
.LBB13_1463:
	v_bfe_u32 v6, v3, 16, 3
	v_ffbh_u32_e32 v12, v6
	v_min_u32_e32 v12, 32, v12
	v_lshrrev_b32_e32 v10, 19, v3
	v_subrev_u32_e32 v13, 28, v12
	v_and_b32_e32 v10, 15, v10
	v_lshlrev_b32_sdwa v13, v13, v3 dst_sel:DWORD dst_unused:UNUSED_PAD src0_sel:DWORD src1_sel:WORD_1
	v_bfe_u32 v11, v3, 19, 4
	v_sub_u32_e32 v12, 29, v12
	v_and_b32_e32 v13, 7, v13
	v_cmp_eq_u16_e32 vcc, 0, v10
	v_cndmask_b32_e32 v6, v6, v13, vcc
	v_cndmask_b32_e32 v10, v11, v12, vcc
	v_lshlrev_b32_e32 v11, 8, v3
	v_mov_b32_e32 v12, 0x3b800000
	v_lshlrev_b32_e32 v6, 20, v6
	v_and_b32_e32 v11, 0x80000000, v11
	v_lshl_add_u32 v10, v10, 23, v12
	v_or3_b32 v10, v11, v10, v6
.LBB13_1464:
	s_or_b64 exec, exec, s[6:7]
	s_nop 0
	v_mfma_f32_16x16x4f32 a[0:3], v2, v10, a[0:3]
	s_movk_i32 s4, 0x7f
	v_cmp_gt_i16_sdwa s[6:7], v7, s4 src0_sel:BYTE_3 src1_sel:DWORD
	s_mov_b64 s[4:5], 0
                                        ; implicit-def: $sgpr10
	s_and_saveexec_b64 s[8:9], s[6:7]
	s_xor_b64 s[6:7], exec, s[8:9]
	s_cbranch_execnz .LBB13_3513
; %bb.1465:
	s_or_saveexec_b64 s[6:7], s[6:7]
	v_mov_b32_e32 v2, s10
	s_xor_b64 exec, exec, s[6:7]
	s_cbranch_execnz .LBB13_3516
.LBB13_1466:
	s_or_b64 exec, exec, s[6:7]
	s_and_saveexec_b64 s[6:7], s[4:5]
	s_cbranch_execz .LBB13_1468
.LBB13_1467:
	v_bfe_u32 v2, v7, 24, 3
	v_ffbh_u32_e32 v12, v2
	v_min_u32_e32 v12, 32, v12
	v_lshrrev_b32_e32 v10, 27, v7
	v_subrev_u32_e32 v13, 28, v12
	v_and_b32_e32 v6, 0x80000000, v7
	v_and_b32_e32 v10, 15, v10
	v_bfe_u32 v11, v7, 27, 4
	v_lshlrev_b32_sdwa v7, v13, v7 dst_sel:DWORD dst_unused:UNUSED_PAD src0_sel:DWORD src1_sel:BYTE_3
	v_sub_u32_e32 v12, 29, v12
	v_and_b32_e32 v7, 7, v7
	v_cmp_eq_u16_e32 vcc, 0, v10
	v_cndmask_b32_e32 v2, v2, v7, vcc
	v_cndmask_b32_e32 v7, v11, v12, vcc
	v_mov_b32_e32 v10, 0x3b800000
	v_lshlrev_b32_e32 v2, 20, v2
	v_lshl_add_u32 v7, v7, 23, v10
	v_or3_b32 v2, v6, v7, v2
.LBB13_1468:
	s_or_b64 exec, exec, s[6:7]
	s_movk_i32 s4, 0x7f
	v_cmp_gt_i16_sdwa s[6:7], v3, s4 src0_sel:BYTE_3 src1_sel:DWORD
	s_mov_b64 s[4:5], 0
                                        ; implicit-def: $sgpr10
	s_and_saveexec_b64 s[8:9], s[6:7]
	s_xor_b64 s[6:7], exec, s[8:9]
	s_cbranch_execnz .LBB13_3517
; %bb.1469:
	s_or_saveexec_b64 s[6:7], s[6:7]
	v_mov_b32_e32 v6, s10
	s_xor_b64 exec, exec, s[6:7]
	s_cbranch_execnz .LBB13_3520
.LBB13_1470:
	s_or_b64 exec, exec, s[6:7]
	s_and_saveexec_b64 s[6:7], s[4:5]
	s_cbranch_execz .LBB13_1472
.LBB13_1471:
	v_bfe_u32 v6, v3, 24, 3
	v_ffbh_u32_e32 v12, v6
	v_min_u32_e32 v12, 32, v12
	v_lshrrev_b32_e32 v10, 27, v3
	v_subrev_u32_e32 v13, 28, v12
	v_and_b32_e32 v7, 0x80000000, v3
	v_and_b32_e32 v10, 15, v10
	v_bfe_u32 v11, v3, 27, 4
	v_lshlrev_b32_sdwa v3, v13, v3 dst_sel:DWORD dst_unused:UNUSED_PAD src0_sel:DWORD src1_sel:BYTE_3
	v_sub_u32_e32 v12, 29, v12
	v_and_b32_e32 v3, 7, v3
	v_cmp_eq_u16_e32 vcc, 0, v10
	v_cndmask_b32_e32 v3, v6, v3, vcc
	v_cndmask_b32_e32 v6, v11, v12, vcc
	v_mov_b32_e32 v10, 0x3b800000
	v_lshlrev_b32_e32 v3, 20, v3
	v_lshl_add_u32 v6, v6, 23, v10
	v_or3_b32 v6, v7, v6, v3
.LBB13_1472:
	s_or_b64 exec, exec, s[6:7]
	s_nop 0
	v_mfma_f32_16x16x4f32 a[0:3], v2, v6, a[0:3]
	s_movk_i32 s4, 0x7f
	v_cmp_gt_i16_sdwa s[6:7], v8, s4 src0_sel:BYTE_0 src1_sel:DWORD
	s_mov_b64 s[4:5], 0
                                        ; implicit-def: $sgpr10
	s_and_saveexec_b64 s[8:9], s[6:7]
	s_xor_b64 s[6:7], exec, s[8:9]
	s_cbranch_execnz .LBB13_3521
; %bb.1473:
	s_or_saveexec_b64 s[6:7], s[6:7]
	v_mov_b32_e32 v2, s10
	s_xor_b64 exec, exec, s[6:7]
	s_cbranch_execnz .LBB13_3524
.LBB13_1474:
	s_or_b64 exec, exec, s[6:7]
	s_and_saveexec_b64 s[6:7], s[4:5]
	s_cbranch_execz .LBB13_1476
.LBB13_1475:
	v_and_b32_e32 v2, 7, v8
	v_ffbh_u32_e32 v6, v2
	v_min_u32_e32 v6, 32, v6
	v_lshrrev_b16_e32 v3, 3, v8
	v_subrev_u32_e32 v7, 28, v6
	v_and_b32_e32 v3, 15, v3
	v_lshlrev_b32_e32 v7, v7, v8
	v_sub_u32_e32 v6, 29, v6
	v_and_b32_e32 v7, 7, v7
	v_cmp_eq_u16_e32 vcc, 0, v3
	v_cndmask_b32_e32 v2, v2, v7, vcc
	v_cndmask_b32_e32 v3, v3, v6, vcc
	v_lshlrev_b32_e32 v6, 24, v8
	v_mov_b32_e32 v7, 0x3b800000
	v_lshlrev_b32_e32 v2, 20, v2
	v_and_b32_e32 v6, 0x80000000, v6
	v_lshl_add_u32 v3, v3, 23, v7
	v_or3_b32 v2, v6, v3, v2
.LBB13_1476:
	s_or_b64 exec, exec, s[6:7]
	s_movk_i32 s4, 0x7f
	v_cmp_gt_i16_sdwa s[6:7], v4, s4 src0_sel:BYTE_0 src1_sel:DWORD
	s_mov_b64 s[4:5], 0
                                        ; implicit-def: $sgpr10
	s_and_saveexec_b64 s[8:9], s[6:7]
	s_xor_b64 s[6:7], exec, s[8:9]
	s_cbranch_execnz .LBB13_3525
; %bb.1477:
	s_or_saveexec_b64 s[6:7], s[6:7]
	v_mov_b32_e32 v3, s10
	s_xor_b64 exec, exec, s[6:7]
	s_cbranch_execnz .LBB13_3528
.LBB13_1478:
	s_or_b64 exec, exec, s[6:7]
	s_and_saveexec_b64 s[6:7], s[4:5]
	s_cbranch_execz .LBB13_1480
.LBB13_1479:
	v_and_b32_e32 v3, 7, v4
	v_ffbh_u32_e32 v7, v3
	v_min_u32_e32 v7, 32, v7
	v_lshrrev_b16_e32 v6, 3, v4
	v_subrev_u32_e32 v10, 28, v7
	v_and_b32_e32 v6, 15, v6
	v_lshlrev_b32_e32 v10, v10, v4
	v_sub_u32_e32 v7, 29, v7
	v_and_b32_e32 v10, 7, v10
	v_cmp_eq_u16_e32 vcc, 0, v6
	v_cndmask_b32_e32 v3, v3, v10, vcc
	v_cndmask_b32_e32 v6, v6, v7, vcc
	v_lshlrev_b32_e32 v7, 24, v4
	v_mov_b32_e32 v10, 0x3b800000
	v_lshlrev_b32_e32 v3, 20, v3
	v_and_b32_e32 v7, 0x80000000, v7
	v_lshl_add_u32 v6, v6, 23, v10
	v_or3_b32 v3, v7, v6, v3
.LBB13_1480:
	s_or_b64 exec, exec, s[6:7]
	s_nop 0
	v_mfma_f32_16x16x4f32 a[0:3], v2, v3, a[0:3]
	v_lshrrev_b32_e32 v3, 8, v8
	s_movk_i32 s4, 0x7f
	v_cmp_gt_i16_sdwa s[6:7], v3, s4 src0_sel:BYTE_0 src1_sel:DWORD
	s_mov_b64 s[4:5], 0
                                        ; implicit-def: $sgpr10
	s_and_saveexec_b64 s[8:9], s[6:7]
	s_xor_b64 s[6:7], exec, s[8:9]
	s_cbranch_execnz .LBB13_3529
; %bb.1481:
	s_or_saveexec_b64 s[6:7], s[6:7]
	v_mov_b32_e32 v2, s10
	s_xor_b64 exec, exec, s[6:7]
	s_cbranch_execnz .LBB13_3532
.LBB13_1482:
	s_or_b64 exec, exec, s[6:7]
	s_and_saveexec_b64 s[6:7], s[4:5]
	s_cbranch_execz .LBB13_1484
.LBB13_1483:
	v_bfe_u32 v2, v8, 8, 3
	v_ffbh_u32_e32 v7, v2
	v_min_u32_e32 v7, 32, v7
	v_lshrrev_b16_e32 v6, 3, v3
	v_subrev_u32_e32 v10, 28, v7
	v_and_b32_e32 v6, 15, v6
	v_lshlrev_b32_e32 v3, v10, v3
	v_sub_u32_e32 v7, 29, v7
	v_and_b32_e32 v3, 7, v3
	v_cmp_eq_u16_e32 vcc, 0, v6
	v_cndmask_b32_e32 v2, v2, v3, vcc
	v_cndmask_b32_e32 v3, v6, v7, vcc
	v_lshlrev_b32_e32 v6, 16, v8
	v_mov_b32_e32 v7, 0x3b800000
	v_lshlrev_b32_e32 v2, 20, v2
	v_and_b32_e32 v6, 0x80000000, v6
	v_lshl_add_u32 v3, v3, 23, v7
	v_or3_b32 v2, v6, v3, v2
.LBB13_1484:
	s_or_b64 exec, exec, s[6:7]
	v_lshrrev_b32_e32 v3, 8, v4
	s_movk_i32 s4, 0x7f
	v_cmp_gt_i16_sdwa s[6:7], v3, s4 src0_sel:BYTE_0 src1_sel:DWORD
	s_mov_b64 s[4:5], 0
                                        ; implicit-def: $sgpr10
	s_and_saveexec_b64 s[8:9], s[6:7]
	s_xor_b64 s[6:7], exec, s[8:9]
	s_cbranch_execnz .LBB13_3533
; %bb.1485:
	s_or_saveexec_b64 s[6:7], s[6:7]
	v_mov_b32_e32 v6, s10
	s_xor_b64 exec, exec, s[6:7]
	s_cbranch_execnz .LBB13_3536
.LBB13_1486:
	s_or_b64 exec, exec, s[6:7]
	s_and_saveexec_b64 s[6:7], s[4:5]
	s_cbranch_execz .LBB13_1488
.LBB13_1487:
	v_bfe_u32 v6, v4, 8, 3
	v_ffbh_u32_e32 v10, v6
	v_min_u32_e32 v10, 32, v10
	v_lshrrev_b16_e32 v7, 3, v3
	v_subrev_u32_e32 v11, 28, v10
	v_and_b32_e32 v7, 15, v7
	v_lshlrev_b32_e32 v3, v11, v3
	v_sub_u32_e32 v10, 29, v10
	v_and_b32_e32 v3, 7, v3
	v_cmp_eq_u16_e32 vcc, 0, v7
	v_cndmask_b32_e32 v3, v6, v3, vcc
	v_cndmask_b32_e32 v6, v7, v10, vcc
	v_lshlrev_b32_e32 v7, 16, v4
	v_mov_b32_e32 v10, 0x3b800000
	v_lshlrev_b32_e32 v3, 20, v3
	v_and_b32_e32 v7, 0x80000000, v7
	v_lshl_add_u32 v6, v6, 23, v10
	v_or3_b32 v6, v7, v6, v3
.LBB13_1488:
	s_or_b64 exec, exec, s[6:7]
	s_nop 0
	v_mfma_f32_16x16x4f32 a[0:3], v2, v6, a[0:3]
	s_movk_i32 s4, 0xff
	v_and_b32_sdwa v3, v8, s4 dst_sel:DWORD dst_unused:UNUSED_PAD src0_sel:WORD_1 src1_sel:DWORD
	s_movk_i32 s4, 0x7f
	v_cmp_lt_i16_e32 vcc, s4, v3
	s_mov_b64 s[4:5], 0
                                        ; implicit-def: $sgpr10
	s_and_saveexec_b64 s[6:7], vcc
	s_xor_b64 s[6:7], exec, s[6:7]
	s_cbranch_execnz .LBB13_3537
; %bb.1489:
	s_or_saveexec_b64 s[6:7], s[6:7]
	v_mov_b32_e32 v2, s10
	s_xor_b64 exec, exec, s[6:7]
	s_cbranch_execnz .LBB13_3540
.LBB13_1490:
	s_or_b64 exec, exec, s[6:7]
	s_and_saveexec_b64 s[6:7], s[4:5]
	s_cbranch_execz .LBB13_1492
.LBB13_1491:
	v_bfe_u32 v2, v8, 16, 3
	v_ffbh_u32_e32 v7, v2
	v_min_u32_e32 v7, 32, v7
	v_lshrrev_b32_e32 v3, 19, v8
	v_subrev_u32_e32 v10, 28, v7
	v_and_b32_e32 v3, 15, v3
	v_lshlrev_b32_sdwa v10, v10, v8 dst_sel:DWORD dst_unused:UNUSED_PAD src0_sel:DWORD src1_sel:WORD_1
	v_bfe_u32 v6, v8, 19, 4
	v_sub_u32_e32 v7, 29, v7
	v_and_b32_e32 v10, 7, v10
	v_cmp_eq_u16_e32 vcc, 0, v3
	v_cndmask_b32_e32 v2, v2, v10, vcc
	v_cndmask_b32_e32 v3, v6, v7, vcc
	v_lshlrev_b32_e32 v6, 8, v8
	v_mov_b32_e32 v7, 0x3b800000
	v_lshlrev_b32_e32 v2, 20, v2
	v_and_b32_e32 v6, 0x80000000, v6
	v_lshl_add_u32 v3, v3, 23, v7
	v_or3_b32 v2, v6, v3, v2
.LBB13_1492:
	s_or_b64 exec, exec, s[6:7]
	s_movk_i32 s4, 0xff
	v_and_b32_sdwa v3, v4, s4 dst_sel:DWORD dst_unused:UNUSED_PAD src0_sel:WORD_1 src1_sel:DWORD
	s_movk_i32 s4, 0x7f
	v_cmp_lt_i16_e32 vcc, s4, v3
	s_mov_b64 s[4:5], 0
                                        ; implicit-def: $sgpr10
	s_and_saveexec_b64 s[6:7], vcc
	s_xor_b64 s[6:7], exec, s[6:7]
	s_cbranch_execnz .LBB13_3541
; %bb.1493:
	s_or_saveexec_b64 s[6:7], s[6:7]
	v_mov_b32_e32 v6, s10
	s_xor_b64 exec, exec, s[6:7]
	s_cbranch_execnz .LBB13_3544
.LBB13_1494:
	s_or_b64 exec, exec, s[6:7]
	s_and_saveexec_b64 s[6:7], s[4:5]
	s_cbranch_execz .LBB13_1496
.LBB13_1495:
	v_bfe_u32 v3, v4, 16, 3
	v_ffbh_u32_e32 v10, v3
	v_min_u32_e32 v10, 32, v10
	v_lshrrev_b32_e32 v6, 19, v4
	v_subrev_u32_e32 v11, 28, v10
	v_and_b32_e32 v6, 15, v6
	v_lshlrev_b32_sdwa v11, v11, v4 dst_sel:DWORD dst_unused:UNUSED_PAD src0_sel:DWORD src1_sel:WORD_1
	v_bfe_u32 v7, v4, 19, 4
	v_sub_u32_e32 v10, 29, v10
	v_and_b32_e32 v11, 7, v11
	v_cmp_eq_u16_e32 vcc, 0, v6
	v_cndmask_b32_e32 v3, v3, v11, vcc
	v_cndmask_b32_e32 v6, v7, v10, vcc
	v_lshlrev_b32_e32 v7, 8, v4
	v_mov_b32_e32 v10, 0x3b800000
	v_lshlrev_b32_e32 v3, 20, v3
	v_and_b32_e32 v7, 0x80000000, v7
	v_lshl_add_u32 v6, v6, 23, v10
	v_or3_b32 v6, v7, v6, v3
.LBB13_1496:
	s_or_b64 exec, exec, s[6:7]
	s_nop 0
	v_mfma_f32_16x16x4f32 a[0:3], v2, v6, a[0:3]
	s_movk_i32 s4, 0x7f
	v_cmp_gt_i16_sdwa s[6:7], v8, s4 src0_sel:BYTE_3 src1_sel:DWORD
	s_mov_b64 s[4:5], 0
                                        ; implicit-def: $sgpr10
	s_and_saveexec_b64 s[8:9], s[6:7]
	s_xor_b64 s[6:7], exec, s[8:9]
	s_cbranch_execnz .LBB13_3545
; %bb.1497:
	s_or_saveexec_b64 s[6:7], s[6:7]
	v_mov_b32_e32 v2, s10
	s_xor_b64 exec, exec, s[6:7]
	s_cbranch_execnz .LBB13_3548
.LBB13_1498:
	s_or_b64 exec, exec, s[6:7]
	s_and_saveexec_b64 s[6:7], s[4:5]
	s_cbranch_execz .LBB13_1500
.LBB13_1499:
	v_bfe_u32 v2, v8, 24, 3
	v_ffbh_u32_e32 v10, v2
	v_min_u32_e32 v10, 32, v10
	v_lshrrev_b32_e32 v6, 27, v8
	v_subrev_u32_e32 v11, 28, v10
	v_and_b32_e32 v3, 0x80000000, v8
	v_and_b32_e32 v6, 15, v6
	v_bfe_u32 v7, v8, 27, 4
	v_lshlrev_b32_sdwa v8, v11, v8 dst_sel:DWORD dst_unused:UNUSED_PAD src0_sel:DWORD src1_sel:BYTE_3
	v_sub_u32_e32 v10, 29, v10
	v_and_b32_e32 v8, 7, v8
	v_cmp_eq_u16_e32 vcc, 0, v6
	v_cndmask_b32_e32 v2, v2, v8, vcc
	v_cndmask_b32_e32 v6, v7, v10, vcc
	v_mov_b32_e32 v7, 0x3b800000
	v_lshlrev_b32_e32 v2, 20, v2
	v_lshl_add_u32 v6, v6, 23, v7
	v_or3_b32 v2, v3, v6, v2
.LBB13_1500:
	s_or_b64 exec, exec, s[6:7]
	s_movk_i32 s4, 0x7f
	v_cmp_gt_i16_sdwa s[6:7], v4, s4 src0_sel:BYTE_3 src1_sel:DWORD
	s_mov_b64 s[4:5], 0
                                        ; implicit-def: $sgpr10
	s_and_saveexec_b64 s[8:9], s[6:7]
	s_xor_b64 s[6:7], exec, s[8:9]
	s_cbranch_execnz .LBB13_3549
; %bb.1501:
	s_or_saveexec_b64 s[6:7], s[6:7]
	v_mov_b32_e32 v3, s10
	s_xor_b64 exec, exec, s[6:7]
	s_cbranch_execnz .LBB13_3552
.LBB13_1502:
	s_or_b64 exec, exec, s[6:7]
	s_and_saveexec_b64 s[6:7], s[4:5]
	s_cbranch_execz .LBB13_1504
.LBB13_1503:
	v_bfe_u32 v3, v4, 24, 3
	v_ffbh_u32_e32 v10, v3
	v_min_u32_e32 v10, 32, v10
	v_lshrrev_b32_e32 v7, 27, v4
	v_subrev_u32_e32 v11, 28, v10
	v_and_b32_e32 v6, 0x80000000, v4
	v_and_b32_e32 v7, 15, v7
	v_bfe_u32 v8, v4, 27, 4
	v_lshlrev_b32_sdwa v4, v11, v4 dst_sel:DWORD dst_unused:UNUSED_PAD src0_sel:DWORD src1_sel:BYTE_3
	v_sub_u32_e32 v10, 29, v10
	v_and_b32_e32 v4, 7, v4
	v_cmp_eq_u16_e32 vcc, 0, v7
	v_cndmask_b32_e32 v3, v3, v4, vcc
	v_cndmask_b32_e32 v4, v8, v10, vcc
	v_mov_b32_e32 v7, 0x3b800000
	v_lshlrev_b32_e32 v3, 20, v3
	v_lshl_add_u32 v4, v4, 23, v7
	v_or3_b32 v3, v6, v4, v3
.LBB13_1504:
	s_or_b64 exec, exec, s[6:7]
	s_nop 0
	v_mfma_f32_16x16x4f32 a[0:3], v2, v3, a[0:3]
	s_movk_i32 s4, 0x7f
	v_cmp_gt_i16_sdwa s[6:7], v9, s4 src0_sel:BYTE_0 src1_sel:DWORD
	s_mov_b64 s[4:5], 0
                                        ; implicit-def: $sgpr10
	s_and_saveexec_b64 s[8:9], s[6:7]
	s_xor_b64 s[6:7], exec, s[8:9]
	s_cbranch_execnz .LBB13_3553
; %bb.1505:
	s_or_saveexec_b64 s[6:7], s[6:7]
	v_mov_b32_e32 v2, s10
	s_xor_b64 exec, exec, s[6:7]
	s_cbranch_execnz .LBB13_3556
.LBB13_1506:
	s_or_b64 exec, exec, s[6:7]
	s_and_saveexec_b64 s[6:7], s[4:5]
	s_cbranch_execz .LBB13_1508
.LBB13_1507:
	v_mov_b32_e32 v2, 8
	v_and_b32_e32 v3, 7, v9
	v_lshrrev_b32_sdwa v2, v2, v9 dst_sel:BYTE_1 dst_unused:UNUSED_PAD src0_sel:DWORD src1_sel:DWORD
	v_ffbh_u32_e32 v4, v3
	v_or_b32_sdwa v2, v9, v2 dst_sel:DWORD dst_unused:UNUSED_PAD src0_sel:BYTE_0 src1_sel:DWORD
	v_min_u32_e32 v4, 32, v4
	v_lshrrev_b16_e32 v2, 3, v2
	v_subrev_u32_e32 v6, 28, v4
	v_and_b32_e32 v2, 15, v2
	v_lshlrev_b32_e32 v6, v6, v9
	v_sub_u32_e32 v4, 29, v4
	v_and_b32_e32 v6, 7, v6
	v_cmp_eq_u16_e32 vcc, 0, v2
	v_cndmask_b32_e32 v3, v3, v6, vcc
	v_cndmask_b32_e32 v2, v2, v4, vcc
	v_lshlrev_b32_e32 v4, 24, v9
	v_mov_b32_e32 v6, 0x3b800000
	v_lshlrev_b32_e32 v3, 20, v3
	v_and_b32_e32 v4, 0x80000000, v4
	v_lshl_add_u32 v2, v2, 23, v6
	v_or3_b32 v2, v4, v2, v3
.LBB13_1508:
	s_or_b64 exec, exec, s[6:7]
	s_movk_i32 s4, 0x7f
	v_cmp_gt_i16_sdwa s[6:7], v5, s4 src0_sel:BYTE_0 src1_sel:DWORD
	s_mov_b64 s[4:5], 0
                                        ; implicit-def: $sgpr10
	s_and_saveexec_b64 s[8:9], s[6:7]
	s_xor_b64 s[6:7], exec, s[8:9]
	s_cbranch_execnz .LBB13_3557
; %bb.1509:
	s_or_saveexec_b64 s[6:7], s[6:7]
	v_mov_b32_e32 v3, s10
	s_xor_b64 exec, exec, s[6:7]
	s_cbranch_execnz .LBB13_3560
.LBB13_1510:
	s_or_b64 exec, exec, s[6:7]
	s_and_saveexec_b64 s[6:7], s[4:5]
	s_cbranch_execz .LBB13_1512
.LBB13_1511:
	v_mov_b32_e32 v3, 8
	v_and_b32_e32 v4, 7, v5
	v_lshrrev_b32_sdwa v3, v3, v5 dst_sel:BYTE_1 dst_unused:UNUSED_PAD src0_sel:DWORD src1_sel:DWORD
	v_ffbh_u32_e32 v6, v4
	v_or_b32_sdwa v3, v5, v3 dst_sel:DWORD dst_unused:UNUSED_PAD src0_sel:BYTE_0 src1_sel:DWORD
	v_min_u32_e32 v6, 32, v6
	v_lshrrev_b16_e32 v3, 3, v3
	v_subrev_u32_e32 v7, 28, v6
	v_and_b32_e32 v3, 15, v3
	v_lshlrev_b32_e32 v7, v7, v5
	v_sub_u32_e32 v6, 29, v6
	v_and_b32_e32 v7, 7, v7
	v_cmp_eq_u16_e32 vcc, 0, v3
	v_cndmask_b32_e32 v4, v4, v7, vcc
	v_cndmask_b32_e32 v3, v3, v6, vcc
	v_lshlrev_b32_e32 v6, 24, v5
	v_mov_b32_e32 v7, 0x3b800000
	v_lshlrev_b32_e32 v4, 20, v4
	v_and_b32_e32 v6, 0x80000000, v6
	v_lshl_add_u32 v3, v3, 23, v7
	v_or3_b32 v3, v6, v3, v4
.LBB13_1512:
	s_or_b64 exec, exec, s[6:7]
	s_nop 0
	v_mfma_f32_16x16x4f32 a[0:3], v2, v3, a[0:3]
	v_lshrrev_b32_e32 v3, 8, v9
	s_movk_i32 s4, 0x7f
	v_cmp_gt_i16_sdwa s[6:7], v3, s4 src0_sel:BYTE_0 src1_sel:DWORD
	s_mov_b64 s[4:5], 0
                                        ; implicit-def: $sgpr10
	s_and_saveexec_b64 s[8:9], s[6:7]
	s_xor_b64 s[6:7], exec, s[8:9]
	s_cbranch_execnz .LBB13_3561
; %bb.1513:
	s_or_saveexec_b64 s[6:7], s[6:7]
	v_mov_b32_e32 v2, s10
	s_xor_b64 exec, exec, s[6:7]
	s_cbranch_execnz .LBB13_3564
.LBB13_1514:
	s_or_b64 exec, exec, s[6:7]
	s_and_saveexec_b64 s[6:7], s[4:5]
	s_cbranch_execz .LBB13_1516
.LBB13_1515:
	v_bfe_u32 v2, v9, 8, 3
	v_ffbh_u32_e32 v6, v2
	v_min_u32_e32 v6, 32, v6
	v_lshrrev_b16_e32 v4, 3, v3
	v_subrev_u32_e32 v7, 28, v6
	v_and_b32_e32 v4, 15, v4
	v_lshlrev_b32_e32 v3, v7, v3
	v_sub_u32_e32 v6, 29, v6
	v_and_b32_e32 v3, 7, v3
	v_cmp_eq_u16_e32 vcc, 0, v4
	v_cndmask_b32_e32 v2, v2, v3, vcc
	v_cndmask_b32_e32 v3, v4, v6, vcc
	v_lshlrev_b32_e32 v4, 16, v9
	v_mov_b32_e32 v6, 0x3b800000
	v_lshlrev_b32_e32 v2, 20, v2
	v_and_b32_e32 v4, 0x80000000, v4
	v_lshl_add_u32 v3, v3, 23, v6
	v_or3_b32 v2, v4, v3, v2
.LBB13_1516:
	s_or_b64 exec, exec, s[6:7]
	v_lshrrev_b32_e32 v3, 8, v5
	s_movk_i32 s4, 0x7f
	v_cmp_gt_i16_sdwa s[6:7], v3, s4 src0_sel:BYTE_0 src1_sel:DWORD
	s_mov_b64 s[4:5], 0
                                        ; implicit-def: $sgpr10
	s_and_saveexec_b64 s[8:9], s[6:7]
	s_xor_b64 s[6:7], exec, s[8:9]
	s_cbranch_execnz .LBB13_3565
; %bb.1517:
	s_or_saveexec_b64 s[6:7], s[6:7]
	v_mov_b32_e32 v4, s10
	s_xor_b64 exec, exec, s[6:7]
	s_cbranch_execnz .LBB13_3568
.LBB13_1518:
	s_or_b64 exec, exec, s[6:7]
	s_and_saveexec_b64 s[6:7], s[4:5]
	s_cbranch_execz .LBB13_1520
.LBB13_1519:
	v_bfe_u32 v4, v5, 8, 3
	v_ffbh_u32_e32 v7, v4
	v_min_u32_e32 v7, 32, v7
	v_lshrrev_b16_e32 v6, 3, v3
	v_subrev_u32_e32 v8, 28, v7
	v_and_b32_e32 v6, 15, v6
	v_lshlrev_b32_e32 v3, v8, v3
	v_sub_u32_e32 v7, 29, v7
	v_and_b32_e32 v3, 7, v3
	v_cmp_eq_u16_e32 vcc, 0, v6
	v_cndmask_b32_e32 v3, v4, v3, vcc
	v_cndmask_b32_e32 v4, v6, v7, vcc
	v_lshlrev_b32_e32 v6, 16, v5
	v_mov_b32_e32 v7, 0x3b800000
	v_lshlrev_b32_e32 v3, 20, v3
	v_and_b32_e32 v6, 0x80000000, v6
	v_lshl_add_u32 v4, v4, 23, v7
	v_or3_b32 v4, v6, v4, v3
.LBB13_1520:
	s_or_b64 exec, exec, s[6:7]
	s_nop 0
	v_mfma_f32_16x16x4f32 a[0:3], v2, v4, a[0:3]
	s_movk_i32 s4, 0xff
	v_and_b32_sdwa v3, v9, s4 dst_sel:DWORD dst_unused:UNUSED_PAD src0_sel:WORD_1 src1_sel:DWORD
	s_movk_i32 s4, 0x7f
	v_cmp_lt_i16_e32 vcc, s4, v3
	s_mov_b64 s[4:5], 0
                                        ; implicit-def: $sgpr10
	s_and_saveexec_b64 s[6:7], vcc
	s_xor_b64 s[6:7], exec, s[6:7]
	s_cbranch_execnz .LBB13_3569
; %bb.1521:
	s_or_saveexec_b64 s[6:7], s[6:7]
	v_mov_b32_e32 v2, s10
	s_xor_b64 exec, exec, s[6:7]
	s_cbranch_execnz .LBB13_3572
.LBB13_1522:
	s_or_b64 exec, exec, s[6:7]
	s_and_saveexec_b64 s[6:7], s[4:5]
	s_cbranch_execz .LBB13_1524
.LBB13_1523:
	v_bfe_u32 v2, v9, 16, 3
	v_ffbh_u32_e32 v6, v2
	v_min_u32_e32 v6, 32, v6
	v_lshrrev_b32_e32 v3, 19, v9
	v_subrev_u32_e32 v7, 28, v6
	v_and_b32_e32 v3, 15, v3
	v_lshlrev_b32_sdwa v7, v7, v9 dst_sel:DWORD dst_unused:UNUSED_PAD src0_sel:DWORD src1_sel:WORD_1
	v_bfe_u32 v4, v9, 19, 4
	v_sub_u32_e32 v6, 29, v6
	v_and_b32_e32 v7, 7, v7
	v_cmp_eq_u16_e32 vcc, 0, v3
	v_cndmask_b32_e32 v2, v2, v7, vcc
	v_cndmask_b32_e32 v3, v4, v6, vcc
	v_lshlrev_b32_e32 v4, 8, v9
	v_mov_b32_e32 v6, 0x3b800000
	v_lshlrev_b32_e32 v2, 20, v2
	v_and_b32_e32 v4, 0x80000000, v4
	v_lshl_add_u32 v3, v3, 23, v6
	v_or3_b32 v2, v4, v3, v2
.LBB13_1524:
	s_or_b64 exec, exec, s[6:7]
	s_movk_i32 s4, 0xff
	v_and_b32_sdwa v3, v5, s4 dst_sel:DWORD dst_unused:UNUSED_PAD src0_sel:WORD_1 src1_sel:DWORD
	s_movk_i32 s4, 0x7f
	v_cmp_lt_i16_e32 vcc, s4, v3
	s_mov_b64 s[4:5], 0
                                        ; implicit-def: $sgpr10
	s_and_saveexec_b64 s[6:7], vcc
	s_xor_b64 s[6:7], exec, s[6:7]
	s_cbranch_execnz .LBB13_3573
; %bb.1525:
	s_or_saveexec_b64 s[6:7], s[6:7]
	v_mov_b32_e32 v4, s10
	s_xor_b64 exec, exec, s[6:7]
	s_cbranch_execnz .LBB13_3576
.LBB13_1526:
	s_or_b64 exec, exec, s[6:7]
	s_and_saveexec_b64 s[6:7], s[4:5]
	s_cbranch_execz .LBB13_1528
.LBB13_1527:
	v_bfe_u32 v3, v5, 16, 3
	v_ffbh_u32_e32 v7, v3
	v_min_u32_e32 v7, 32, v7
	v_lshrrev_b32_e32 v4, 19, v5
	v_subrev_u32_e32 v8, 28, v7
	v_and_b32_e32 v4, 15, v4
	v_lshlrev_b32_sdwa v8, v8, v5 dst_sel:DWORD dst_unused:UNUSED_PAD src0_sel:DWORD src1_sel:WORD_1
	v_bfe_u32 v6, v5, 19, 4
	v_sub_u32_e32 v7, 29, v7
	v_and_b32_e32 v8, 7, v8
	v_cmp_eq_u16_e32 vcc, 0, v4
	v_cndmask_b32_e32 v3, v3, v8, vcc
	v_cndmask_b32_e32 v4, v6, v7, vcc
	v_lshlrev_b32_e32 v6, 8, v5
	v_mov_b32_e32 v7, 0x3b800000
	v_lshlrev_b32_e32 v3, 20, v3
	v_and_b32_e32 v6, 0x80000000, v6
	v_lshl_add_u32 v4, v4, 23, v7
	v_or3_b32 v4, v6, v4, v3
.LBB13_1528:
	s_or_b64 exec, exec, s[6:7]
	s_nop 0
	v_mfma_f32_16x16x4f32 a[0:3], v2, v4, a[0:3]
	s_movk_i32 s4, 0x7f
	v_cmp_gt_i16_sdwa s[6:7], v9, s4 src0_sel:BYTE_3 src1_sel:DWORD
	s_mov_b64 s[4:5], 0
                                        ; implicit-def: $sgpr10
	s_and_saveexec_b64 s[8:9], s[6:7]
	s_xor_b64 s[6:7], exec, s[8:9]
	s_cbranch_execnz .LBB13_3577
; %bb.1529:
	s_or_saveexec_b64 s[6:7], s[6:7]
	v_mov_b32_e32 v2, s10
	s_xor_b64 exec, exec, s[6:7]
	s_cbranch_execnz .LBB13_3580
.LBB13_1530:
	s_or_b64 exec, exec, s[6:7]
	s_and_saveexec_b64 s[6:7], s[4:5]
	s_cbranch_execz .LBB13_1532
.LBB13_1531:
	v_bfe_u32 v2, v9, 24, 3
	v_ffbh_u32_e32 v7, v2
	v_min_u32_e32 v7, 32, v7
	v_lshrrev_b32_e32 v4, 27, v9
	v_subrev_u32_e32 v8, 28, v7
	v_and_b32_e32 v4, 15, v4
	v_lshlrev_b32_sdwa v8, v8, v9 dst_sel:DWORD dst_unused:UNUSED_PAD src0_sel:DWORD src1_sel:BYTE_3
	v_bfe_u32 v6, v9, 27, 4
	v_sub_u32_e32 v7, 29, v7
	v_and_b32_e32 v8, 7, v8
	v_cmp_eq_u16_e32 vcc, 0, v4
	v_cndmask_b32_e32 v2, v2, v8, vcc
	v_cndmask_b32_e32 v4, v6, v7, vcc
	v_mov_b32_e32 v6, 0x3b800000
	v_and_b32_e32 v3, 0x80000000, v9
	v_lshlrev_b32_e32 v2, 20, v2
	v_lshl_add_u32 v4, v4, 23, v6
	v_or3_b32 v2, v3, v4, v2
.LBB13_1532:
	s_or_b64 exec, exec, s[6:7]
	s_movk_i32 s4, 0x7f
	v_cmp_gt_i16_sdwa s[6:7], v5, s4 src0_sel:BYTE_3 src1_sel:DWORD
	s_mov_b64 s[4:5], 0
                                        ; implicit-def: $sgpr10
	s_and_saveexec_b64 s[8:9], s[6:7]
	s_xor_b64 s[6:7], exec, s[8:9]
	s_cbranch_execnz .LBB13_3581
; %bb.1533:
	s_or_saveexec_b64 s[6:7], s[6:7]
	v_mov_b32_e32 v3, s10
	s_xor_b64 exec, exec, s[6:7]
	s_cbranch_execnz .LBB13_3584
.LBB13_1534:
	s_or_b64 exec, exec, s[6:7]
	s_and_saveexec_b64 s[6:7], s[4:5]
	s_cbranch_execz .LBB13_1536
.LBB13_1535:
	v_bfe_u32 v3, v5, 24, 3
	v_ffbh_u32_e32 v8, v3
	v_min_u32_e32 v8, 32, v8
	v_lshrrev_b32_e32 v6, 27, v5
	v_subrev_u32_e32 v9, 28, v8
	v_and_b32_e32 v4, 0x80000000, v5
	v_and_b32_e32 v6, 15, v6
	v_bfe_u32 v7, v5, 27, 4
	v_lshlrev_b32_sdwa v5, v9, v5 dst_sel:DWORD dst_unused:UNUSED_PAD src0_sel:DWORD src1_sel:BYTE_3
	v_sub_u32_e32 v8, 29, v8
	v_and_b32_e32 v5, 7, v5
	v_cmp_eq_u16_e32 vcc, 0, v6
	v_cndmask_b32_e32 v3, v3, v5, vcc
	v_cndmask_b32_e32 v5, v7, v8, vcc
	v_mov_b32_e32 v6, 0x3b800000
	v_lshlrev_b32_e32 v3, 20, v3
	v_lshl_add_u32 v5, v5, 23, v6
	v_or3_b32 v3, v4, v5, v3
.LBB13_1536:
	s_or_b64 exec, exec, s[6:7]
	s_nop 0
	v_mfma_f32_16x16x4f32 a[0:3], v2, v3, a[0:3]
	s_movk_i32 s4, 0x7f
                                        ; implicit-def: $sgpr10
	s_nop 7
	s_nop 1
	flat_store_dwordx4 v[18:19], a[0:3] offset:464
	flat_load_dwordx4 v[20:23], v[0:1] offset:16
	s_nop 0
	flat_load_dwordx2 v[18:19], v[0:1] offset:32
	s_waitcnt vmcnt(0) lgkmcnt(0)
	flat_load_dwordx4 v[14:17], v[20:21] offset:32
	flat_load_dwordx4 v[6:9], v[20:21] offset:48
	;; [unrolled: 1-line block ×4, first 2 shown]
	s_waitcnt vmcnt(0) lgkmcnt(0)
	v_cmp_gt_i16_sdwa s[6:7], v14, s4 src0_sel:BYTE_0 src1_sel:DWORD
	s_mov_b64 s[4:5], 0
	s_and_saveexec_b64 s[8:9], s[6:7]
	s_xor_b64 s[6:7], exec, s[8:9]
	s_cbranch_execnz .LBB13_3585
; %bb.1537:
	s_or_saveexec_b64 s[6:7], s[6:7]
	v_mov_b32_e32 v20, s10
	s_xor_b64 exec, exec, s[6:7]
	s_cbranch_execnz .LBB13_3588
.LBB13_1538:
	s_or_b64 exec, exec, s[6:7]
	s_and_saveexec_b64 s[6:7], s[4:5]
	s_cbranch_execz .LBB13_1540
.LBB13_1539:
	v_and_b32_e32 v20, 7, v14
	v_ffbh_u32_e32 v22, v20
	v_min_u32_e32 v22, 32, v22
	v_lshrrev_b16_e32 v21, 3, v14
	v_subrev_u32_e32 v23, 28, v22
	v_and_b32_e32 v21, 15, v21
	v_lshlrev_b32_e32 v23, v23, v14
	v_sub_u32_e32 v22, 29, v22
	v_and_b32_e32 v23, 7, v23
	v_cmp_eq_u16_e32 vcc, 0, v21
	v_cndmask_b32_e32 v20, v20, v23, vcc
	v_cndmask_b32_e32 v21, v21, v22, vcc
	v_lshlrev_b32_e32 v22, 24, v14
	v_mov_b32_e32 v23, 0x3b800000
	v_lshlrev_b32_e32 v20, 20, v20
	v_and_b32_e32 v22, 0x80000000, v22
	v_lshl_add_u32 v21, v21, 23, v23
	v_or3_b32 v20, v22, v21, v20
.LBB13_1540:
	s_or_b64 exec, exec, s[6:7]
	s_movk_i32 s4, 0x7f
	v_cmp_gt_i16_sdwa s[6:7], v10, s4 src0_sel:BYTE_0 src1_sel:DWORD
	s_mov_b64 s[4:5], 0
                                        ; implicit-def: $sgpr10
	s_and_saveexec_b64 s[8:9], s[6:7]
	s_xor_b64 s[6:7], exec, s[8:9]
	s_cbranch_execnz .LBB13_3589
; %bb.1541:
	s_or_saveexec_b64 s[6:7], s[6:7]
	v_mov_b32_e32 v21, s10
	s_xor_b64 exec, exec, s[6:7]
	s_cbranch_execnz .LBB13_3592
.LBB13_1542:
	s_or_b64 exec, exec, s[6:7]
	s_and_saveexec_b64 s[6:7], s[4:5]
	s_cbranch_execz .LBB13_1544
.LBB13_1543:
	v_and_b32_e32 v21, 7, v10
	v_ffbh_u32_e32 v23, v21
	v_min_u32_e32 v23, 32, v23
	v_lshrrev_b16_e32 v22, 3, v10
	v_subrev_u32_e32 v24, 28, v23
	v_and_b32_e32 v22, 15, v22
	v_lshlrev_b32_e32 v24, v24, v10
	v_sub_u32_e32 v23, 29, v23
	v_and_b32_e32 v24, 7, v24
	v_cmp_eq_u16_e32 vcc, 0, v22
	v_cndmask_b32_e32 v21, v21, v24, vcc
	v_cndmask_b32_e32 v22, v22, v23, vcc
	v_lshlrev_b32_e32 v23, 24, v10
	v_mov_b32_e32 v24, 0x3b800000
	v_lshlrev_b32_e32 v21, 20, v21
	v_and_b32_e32 v23, 0x80000000, v23
	v_lshl_add_u32 v22, v22, 23, v24
	v_or3_b32 v21, v23, v22, v21
.LBB13_1544:
	s_or_b64 exec, exec, s[6:7]
	flat_load_dwordx4 a[0:3], v[18:19] offset:480
	s_movk_i32 s4, 0x7f
                                        ; implicit-def: $sgpr10
	s_waitcnt vmcnt(0) lgkmcnt(0)
	v_mfma_f32_16x16x4f32 a[0:3], v20, v21, a[0:3]
	v_lshrrev_b32_e32 v21, 8, v14
	v_cmp_gt_i16_sdwa s[6:7], v21, s4 src0_sel:BYTE_0 src1_sel:DWORD
	s_mov_b64 s[4:5], 0
	s_and_saveexec_b64 s[8:9], s[6:7]
	s_xor_b64 s[6:7], exec, s[8:9]
	s_cbranch_execnz .LBB13_3593
; %bb.1545:
	s_or_saveexec_b64 s[6:7], s[6:7]
	v_mov_b32_e32 v20, s10
	s_xor_b64 exec, exec, s[6:7]
	s_cbranch_execnz .LBB13_3596
.LBB13_1546:
	s_or_b64 exec, exec, s[6:7]
	s_and_saveexec_b64 s[6:7], s[4:5]
	s_cbranch_execz .LBB13_1548
.LBB13_1547:
	v_bfe_u32 v20, v14, 8, 3
	v_ffbh_u32_e32 v23, v20
	v_min_u32_e32 v23, 32, v23
	v_lshrrev_b16_e32 v22, 3, v21
	v_subrev_u32_e32 v24, 28, v23
	v_and_b32_e32 v22, 15, v22
	v_lshlrev_b32_e32 v21, v24, v21
	v_sub_u32_e32 v23, 29, v23
	v_and_b32_e32 v21, 7, v21
	v_cmp_eq_u16_e32 vcc, 0, v22
	v_cndmask_b32_e32 v20, v20, v21, vcc
	v_cndmask_b32_e32 v21, v22, v23, vcc
	v_lshlrev_b32_e32 v22, 16, v14
	v_mov_b32_e32 v23, 0x3b800000
	v_lshlrev_b32_e32 v20, 20, v20
	v_and_b32_e32 v22, 0x80000000, v22
	v_lshl_add_u32 v21, v21, 23, v23
	v_or3_b32 v20, v22, v21, v20
.LBB13_1548:
	s_or_b64 exec, exec, s[6:7]
	v_lshrrev_b32_e32 v21, 8, v10
	s_movk_i32 s4, 0x7f
	v_cmp_gt_i16_sdwa s[6:7], v21, s4 src0_sel:BYTE_0 src1_sel:DWORD
	s_mov_b64 s[4:5], 0
                                        ; implicit-def: $sgpr10
	s_and_saveexec_b64 s[8:9], s[6:7]
	s_xor_b64 s[6:7], exec, s[8:9]
	s_cbranch_execnz .LBB13_3597
; %bb.1549:
	s_or_saveexec_b64 s[6:7], s[6:7]
	v_mov_b32_e32 v22, s10
	s_xor_b64 exec, exec, s[6:7]
	s_cbranch_execnz .LBB13_3600
.LBB13_1550:
	s_or_b64 exec, exec, s[6:7]
	s_and_saveexec_b64 s[6:7], s[4:5]
	s_cbranch_execz .LBB13_1552
.LBB13_1551:
	v_bfe_u32 v22, v10, 8, 3
	v_ffbh_u32_e32 v24, v22
	v_min_u32_e32 v24, 32, v24
	v_lshrrev_b16_e32 v23, 3, v21
	v_subrev_u32_e32 v25, 28, v24
	v_and_b32_e32 v23, 15, v23
	v_lshlrev_b32_e32 v21, v25, v21
	v_sub_u32_e32 v24, 29, v24
	v_and_b32_e32 v21, 7, v21
	v_cmp_eq_u16_e32 vcc, 0, v23
	v_cndmask_b32_e32 v21, v22, v21, vcc
	v_cndmask_b32_e32 v22, v23, v24, vcc
	v_lshlrev_b32_e32 v23, 16, v10
	v_mov_b32_e32 v24, 0x3b800000
	v_lshlrev_b32_e32 v21, 20, v21
	v_and_b32_e32 v23, 0x80000000, v23
	v_lshl_add_u32 v22, v22, 23, v24
	v_or3_b32 v22, v23, v22, v21
.LBB13_1552:
	s_or_b64 exec, exec, s[6:7]
	s_nop 0
	v_mfma_f32_16x16x4f32 a[0:3], v20, v22, a[0:3]
	s_movk_i32 s4, 0xff
	v_and_b32_sdwa v21, v14, s4 dst_sel:DWORD dst_unused:UNUSED_PAD src0_sel:WORD_1 src1_sel:DWORD
	s_movk_i32 s4, 0x7f
	v_cmp_lt_i16_e32 vcc, s4, v21
	s_mov_b64 s[4:5], 0
                                        ; implicit-def: $sgpr10
	s_and_saveexec_b64 s[6:7], vcc
	s_xor_b64 s[6:7], exec, s[6:7]
	s_cbranch_execnz .LBB13_3601
; %bb.1553:
	s_or_saveexec_b64 s[6:7], s[6:7]
	v_mov_b32_e32 v20, s10
	s_xor_b64 exec, exec, s[6:7]
	s_cbranch_execnz .LBB13_3604
.LBB13_1554:
	s_or_b64 exec, exec, s[6:7]
	s_and_saveexec_b64 s[6:7], s[4:5]
	s_cbranch_execz .LBB13_1556
.LBB13_1555:
	v_bfe_u32 v20, v14, 16, 3
	v_ffbh_u32_e32 v23, v20
	v_min_u32_e32 v23, 32, v23
	v_lshrrev_b32_e32 v21, 19, v14
	v_subrev_u32_e32 v24, 28, v23
	v_and_b32_e32 v21, 15, v21
	v_lshlrev_b32_sdwa v24, v24, v14 dst_sel:DWORD dst_unused:UNUSED_PAD src0_sel:DWORD src1_sel:WORD_1
	v_bfe_u32 v22, v14, 19, 4
	v_sub_u32_e32 v23, 29, v23
	v_and_b32_e32 v24, 7, v24
	v_cmp_eq_u16_e32 vcc, 0, v21
	v_cndmask_b32_e32 v20, v20, v24, vcc
	v_cndmask_b32_e32 v21, v22, v23, vcc
	v_lshlrev_b32_e32 v22, 8, v14
	v_mov_b32_e32 v23, 0x3b800000
	v_lshlrev_b32_e32 v20, 20, v20
	v_and_b32_e32 v22, 0x80000000, v22
	v_lshl_add_u32 v21, v21, 23, v23
	v_or3_b32 v20, v22, v21, v20
.LBB13_1556:
	s_or_b64 exec, exec, s[6:7]
	s_movk_i32 s4, 0xff
	v_and_b32_sdwa v21, v10, s4 dst_sel:DWORD dst_unused:UNUSED_PAD src0_sel:WORD_1 src1_sel:DWORD
	s_movk_i32 s4, 0x7f
	v_cmp_lt_i16_e32 vcc, s4, v21
	s_mov_b64 s[4:5], 0
                                        ; implicit-def: $sgpr10
	s_and_saveexec_b64 s[6:7], vcc
	s_xor_b64 s[6:7], exec, s[6:7]
	s_cbranch_execnz .LBB13_3605
; %bb.1557:
	s_or_saveexec_b64 s[6:7], s[6:7]
	v_mov_b32_e32 v22, s10
	s_xor_b64 exec, exec, s[6:7]
	s_cbranch_execnz .LBB13_3608
.LBB13_1558:
	s_or_b64 exec, exec, s[6:7]
	s_and_saveexec_b64 s[6:7], s[4:5]
	s_cbranch_execz .LBB13_1560
.LBB13_1559:
	v_bfe_u32 v21, v10, 16, 3
	v_ffbh_u32_e32 v24, v21
	v_min_u32_e32 v24, 32, v24
	v_lshrrev_b32_e32 v22, 19, v10
	v_subrev_u32_e32 v25, 28, v24
	v_and_b32_e32 v22, 15, v22
	v_lshlrev_b32_sdwa v25, v25, v10 dst_sel:DWORD dst_unused:UNUSED_PAD src0_sel:DWORD src1_sel:WORD_1
	v_bfe_u32 v23, v10, 19, 4
	v_sub_u32_e32 v24, 29, v24
	v_and_b32_e32 v25, 7, v25
	v_cmp_eq_u16_e32 vcc, 0, v22
	v_cndmask_b32_e32 v21, v21, v25, vcc
	v_cndmask_b32_e32 v22, v23, v24, vcc
	v_lshlrev_b32_e32 v23, 8, v10
	v_mov_b32_e32 v24, 0x3b800000
	v_lshlrev_b32_e32 v21, 20, v21
	v_and_b32_e32 v23, 0x80000000, v23
	v_lshl_add_u32 v22, v22, 23, v24
	v_or3_b32 v22, v23, v22, v21
.LBB13_1560:
	s_or_b64 exec, exec, s[6:7]
	s_nop 0
	v_mfma_f32_16x16x4f32 a[0:3], v20, v22, a[0:3]
	s_movk_i32 s4, 0x7f
	v_cmp_gt_i16_sdwa s[6:7], v14, s4 src0_sel:BYTE_3 src1_sel:DWORD
	s_mov_b64 s[4:5], 0
                                        ; implicit-def: $sgpr10
	s_and_saveexec_b64 s[8:9], s[6:7]
	s_xor_b64 s[6:7], exec, s[8:9]
	s_cbranch_execnz .LBB13_3609
; %bb.1561:
	s_or_saveexec_b64 s[6:7], s[6:7]
	v_mov_b32_e32 v20, s10
	s_xor_b64 exec, exec, s[6:7]
	s_cbranch_execnz .LBB13_3612
.LBB13_1562:
	s_or_b64 exec, exec, s[6:7]
	s_and_saveexec_b64 s[6:7], s[4:5]
	s_cbranch_execz .LBB13_1564
.LBB13_1563:
	v_bfe_u32 v20, v14, 24, 3
	v_ffbh_u32_e32 v24, v20
	v_min_u32_e32 v24, 32, v24
	v_lshrrev_b32_e32 v22, 27, v14
	v_subrev_u32_e32 v25, 28, v24
	v_and_b32_e32 v21, 0x80000000, v14
	v_and_b32_e32 v22, 15, v22
	v_bfe_u32 v23, v14, 27, 4
	v_lshlrev_b32_sdwa v14, v25, v14 dst_sel:DWORD dst_unused:UNUSED_PAD src0_sel:DWORD src1_sel:BYTE_3
	v_sub_u32_e32 v24, 29, v24
	v_and_b32_e32 v14, 7, v14
	v_cmp_eq_u16_e32 vcc, 0, v22
	v_cndmask_b32_e32 v14, v20, v14, vcc
	v_cndmask_b32_e32 v20, v23, v24, vcc
	v_mov_b32_e32 v22, 0x3b800000
	v_lshlrev_b32_e32 v14, 20, v14
	v_lshl_add_u32 v20, v20, 23, v22
	v_or3_b32 v20, v21, v20, v14
.LBB13_1564:
	s_or_b64 exec, exec, s[6:7]
	s_movk_i32 s4, 0x7f
	v_cmp_gt_i16_sdwa s[6:7], v10, s4 src0_sel:BYTE_3 src1_sel:DWORD
	s_mov_b64 s[4:5], 0
                                        ; implicit-def: $sgpr10
	s_and_saveexec_b64 s[8:9], s[6:7]
	s_xor_b64 s[6:7], exec, s[8:9]
	s_cbranch_execnz .LBB13_3613
; %bb.1565:
	s_or_saveexec_b64 s[6:7], s[6:7]
	v_mov_b32_e32 v14, s10
	s_xor_b64 exec, exec, s[6:7]
	s_cbranch_execnz .LBB13_3616
.LBB13_1566:
	s_or_b64 exec, exec, s[6:7]
	s_and_saveexec_b64 s[6:7], s[4:5]
	s_cbranch_execz .LBB13_1568
.LBB13_1567:
	v_bfe_u32 v14, v10, 24, 3
	v_ffbh_u32_e32 v24, v14
	v_min_u32_e32 v24, 32, v24
	v_lshrrev_b32_e32 v22, 27, v10
	v_subrev_u32_e32 v25, 28, v24
	v_and_b32_e32 v21, 0x80000000, v10
	v_and_b32_e32 v22, 15, v22
	v_bfe_u32 v23, v10, 27, 4
	v_lshlrev_b32_sdwa v10, v25, v10 dst_sel:DWORD dst_unused:UNUSED_PAD src0_sel:DWORD src1_sel:BYTE_3
	v_sub_u32_e32 v24, 29, v24
	v_and_b32_e32 v10, 7, v10
	v_cmp_eq_u16_e32 vcc, 0, v22
	v_cndmask_b32_e32 v10, v14, v10, vcc
	v_cndmask_b32_e32 v14, v23, v24, vcc
	v_mov_b32_e32 v22, 0x3b800000
	v_lshlrev_b32_e32 v10, 20, v10
	v_lshl_add_u32 v14, v14, 23, v22
	v_or3_b32 v14, v21, v14, v10
.LBB13_1568:
	s_or_b64 exec, exec, s[6:7]
	s_nop 0
	v_mfma_f32_16x16x4f32 a[0:3], v20, v14, a[0:3]
	s_movk_i32 s4, 0x7f
	v_cmp_gt_i16_sdwa s[6:7], v15, s4 src0_sel:BYTE_0 src1_sel:DWORD
	s_mov_b64 s[4:5], 0
                                        ; implicit-def: $sgpr10
	s_and_saveexec_b64 s[8:9], s[6:7]
	s_xor_b64 s[6:7], exec, s[8:9]
	s_cbranch_execnz .LBB13_3617
; %bb.1569:
	s_or_saveexec_b64 s[6:7], s[6:7]
	v_mov_b32_e32 v10, s10
	s_xor_b64 exec, exec, s[6:7]
	s_cbranch_execnz .LBB13_3620
.LBB13_1570:
	s_or_b64 exec, exec, s[6:7]
	s_and_saveexec_b64 s[6:7], s[4:5]
	s_cbranch_execz .LBB13_1572
.LBB13_1571:
	v_and_b32_e32 v10, 7, v15
	v_ffbh_u32_e32 v20, v10
	v_min_u32_e32 v20, 32, v20
	v_lshrrev_b16_e32 v14, 3, v15
	v_subrev_u32_e32 v21, 28, v20
	v_and_b32_e32 v14, 15, v14
	v_lshlrev_b32_e32 v21, v21, v15
	v_sub_u32_e32 v20, 29, v20
	v_and_b32_e32 v21, 7, v21
	v_cmp_eq_u16_e32 vcc, 0, v14
	v_cndmask_b32_e32 v10, v10, v21, vcc
	v_cndmask_b32_e32 v14, v14, v20, vcc
	v_lshlrev_b32_e32 v20, 24, v15
	v_mov_b32_e32 v21, 0x3b800000
	v_lshlrev_b32_e32 v10, 20, v10
	v_and_b32_e32 v20, 0x80000000, v20
	v_lshl_add_u32 v14, v14, 23, v21
	v_or3_b32 v10, v20, v14, v10
.LBB13_1572:
	s_or_b64 exec, exec, s[6:7]
	s_movk_i32 s4, 0x7f
	v_cmp_gt_i16_sdwa s[6:7], v11, s4 src0_sel:BYTE_0 src1_sel:DWORD
	s_mov_b64 s[4:5], 0
                                        ; implicit-def: $sgpr10
	s_and_saveexec_b64 s[8:9], s[6:7]
	s_xor_b64 s[6:7], exec, s[8:9]
	s_cbranch_execnz .LBB13_3621
; %bb.1573:
	s_or_saveexec_b64 s[6:7], s[6:7]
	v_mov_b32_e32 v14, s10
	s_xor_b64 exec, exec, s[6:7]
	s_cbranch_execnz .LBB13_3624
.LBB13_1574:
	s_or_b64 exec, exec, s[6:7]
	s_and_saveexec_b64 s[6:7], s[4:5]
	s_cbranch_execz .LBB13_1576
.LBB13_1575:
	v_and_b32_e32 v14, 7, v11
	v_ffbh_u32_e32 v21, v14
	v_min_u32_e32 v21, 32, v21
	v_lshrrev_b16_e32 v20, 3, v11
	v_subrev_u32_e32 v22, 28, v21
	v_and_b32_e32 v20, 15, v20
	v_lshlrev_b32_e32 v22, v22, v11
	v_sub_u32_e32 v21, 29, v21
	v_and_b32_e32 v22, 7, v22
	v_cmp_eq_u16_e32 vcc, 0, v20
	v_cndmask_b32_e32 v14, v14, v22, vcc
	v_cndmask_b32_e32 v20, v20, v21, vcc
	v_lshlrev_b32_e32 v21, 24, v11
	v_mov_b32_e32 v22, 0x3b800000
	v_lshlrev_b32_e32 v14, 20, v14
	v_and_b32_e32 v21, 0x80000000, v21
	v_lshl_add_u32 v20, v20, 23, v22
	v_or3_b32 v14, v21, v20, v14
.LBB13_1576:
	s_or_b64 exec, exec, s[6:7]
	s_nop 0
	v_mfma_f32_16x16x4f32 a[0:3], v10, v14, a[0:3]
	v_lshrrev_b32_e32 v14, 8, v15
	s_movk_i32 s4, 0x7f
	v_cmp_gt_i16_sdwa s[6:7], v14, s4 src0_sel:BYTE_0 src1_sel:DWORD
	s_mov_b64 s[4:5], 0
                                        ; implicit-def: $sgpr10
	s_and_saveexec_b64 s[8:9], s[6:7]
	s_xor_b64 s[6:7], exec, s[8:9]
	s_cbranch_execnz .LBB13_3625
; %bb.1577:
	s_or_saveexec_b64 s[6:7], s[6:7]
	v_mov_b32_e32 v10, s10
	s_xor_b64 exec, exec, s[6:7]
	s_cbranch_execnz .LBB13_3628
.LBB13_1578:
	s_or_b64 exec, exec, s[6:7]
	s_and_saveexec_b64 s[6:7], s[4:5]
	s_cbranch_execz .LBB13_1580
.LBB13_1579:
	v_bfe_u32 v10, v15, 8, 3
	v_ffbh_u32_e32 v21, v10
	v_min_u32_e32 v21, 32, v21
	v_lshrrev_b16_e32 v20, 3, v14
	v_subrev_u32_e32 v22, 28, v21
	v_and_b32_e32 v20, 15, v20
	v_lshlrev_b32_e32 v14, v22, v14
	v_sub_u32_e32 v21, 29, v21
	v_and_b32_e32 v14, 7, v14
	v_cmp_eq_u16_e32 vcc, 0, v20
	v_cndmask_b32_e32 v10, v10, v14, vcc
	v_cndmask_b32_e32 v14, v20, v21, vcc
	v_lshlrev_b32_e32 v20, 16, v15
	v_mov_b32_e32 v21, 0x3b800000
	v_lshlrev_b32_e32 v10, 20, v10
	v_and_b32_e32 v20, 0x80000000, v20
	v_lshl_add_u32 v14, v14, 23, v21
	v_or3_b32 v10, v20, v14, v10
.LBB13_1580:
	s_or_b64 exec, exec, s[6:7]
	v_lshrrev_b32_e32 v14, 8, v11
	s_movk_i32 s4, 0x7f
	v_cmp_gt_i16_sdwa s[6:7], v14, s4 src0_sel:BYTE_0 src1_sel:DWORD
	s_mov_b64 s[4:5], 0
                                        ; implicit-def: $sgpr10
	s_and_saveexec_b64 s[8:9], s[6:7]
	s_xor_b64 s[6:7], exec, s[8:9]
	s_cbranch_execnz .LBB13_3629
; %bb.1581:
	s_or_saveexec_b64 s[6:7], s[6:7]
	v_mov_b32_e32 v20, s10
	s_xor_b64 exec, exec, s[6:7]
	s_cbranch_execnz .LBB13_3632
.LBB13_1582:
	s_or_b64 exec, exec, s[6:7]
	s_and_saveexec_b64 s[6:7], s[4:5]
	s_cbranch_execz .LBB13_1584
.LBB13_1583:
	v_bfe_u32 v20, v11, 8, 3
	v_ffbh_u32_e32 v22, v20
	v_min_u32_e32 v22, 32, v22
	v_lshrrev_b16_e32 v21, 3, v14
	v_subrev_u32_e32 v23, 28, v22
	v_and_b32_e32 v21, 15, v21
	v_lshlrev_b32_e32 v14, v23, v14
	v_sub_u32_e32 v22, 29, v22
	v_and_b32_e32 v14, 7, v14
	v_cmp_eq_u16_e32 vcc, 0, v21
	v_cndmask_b32_e32 v14, v20, v14, vcc
	v_cndmask_b32_e32 v20, v21, v22, vcc
	v_lshlrev_b32_e32 v21, 16, v11
	v_mov_b32_e32 v22, 0x3b800000
	v_lshlrev_b32_e32 v14, 20, v14
	v_and_b32_e32 v21, 0x80000000, v21
	v_lshl_add_u32 v20, v20, 23, v22
	v_or3_b32 v20, v21, v20, v14
.LBB13_1584:
	s_or_b64 exec, exec, s[6:7]
	s_nop 0
	v_mfma_f32_16x16x4f32 a[0:3], v10, v20, a[0:3]
	s_movk_i32 s4, 0xff
	v_and_b32_sdwa v14, v15, s4 dst_sel:DWORD dst_unused:UNUSED_PAD src0_sel:WORD_1 src1_sel:DWORD
	s_movk_i32 s4, 0x7f
	v_cmp_lt_i16_e32 vcc, s4, v14
	s_mov_b64 s[4:5], 0
                                        ; implicit-def: $sgpr10
	s_and_saveexec_b64 s[6:7], vcc
	s_xor_b64 s[6:7], exec, s[6:7]
	s_cbranch_execnz .LBB13_3633
; %bb.1585:
	s_or_saveexec_b64 s[6:7], s[6:7]
	v_mov_b32_e32 v10, s10
	s_xor_b64 exec, exec, s[6:7]
	s_cbranch_execnz .LBB13_3636
.LBB13_1586:
	s_or_b64 exec, exec, s[6:7]
	s_and_saveexec_b64 s[6:7], s[4:5]
	s_cbranch_execz .LBB13_1588
.LBB13_1587:
	v_bfe_u32 v10, v15, 16, 3
	v_ffbh_u32_e32 v21, v10
	v_min_u32_e32 v21, 32, v21
	v_lshrrev_b32_e32 v14, 19, v15
	v_subrev_u32_e32 v22, 28, v21
	v_and_b32_e32 v14, 15, v14
	v_lshlrev_b32_sdwa v22, v22, v15 dst_sel:DWORD dst_unused:UNUSED_PAD src0_sel:DWORD src1_sel:WORD_1
	v_bfe_u32 v20, v15, 19, 4
	v_sub_u32_e32 v21, 29, v21
	v_and_b32_e32 v22, 7, v22
	v_cmp_eq_u16_e32 vcc, 0, v14
	v_cndmask_b32_e32 v10, v10, v22, vcc
	v_cndmask_b32_e32 v14, v20, v21, vcc
	v_lshlrev_b32_e32 v20, 8, v15
	v_mov_b32_e32 v21, 0x3b800000
	v_lshlrev_b32_e32 v10, 20, v10
	v_and_b32_e32 v20, 0x80000000, v20
	v_lshl_add_u32 v14, v14, 23, v21
	v_or3_b32 v10, v20, v14, v10
.LBB13_1588:
	s_or_b64 exec, exec, s[6:7]
	s_movk_i32 s4, 0xff
	v_and_b32_sdwa v14, v11, s4 dst_sel:DWORD dst_unused:UNUSED_PAD src0_sel:WORD_1 src1_sel:DWORD
	s_movk_i32 s4, 0x7f
	v_cmp_lt_i16_e32 vcc, s4, v14
	s_mov_b64 s[4:5], 0
                                        ; implicit-def: $sgpr10
	s_and_saveexec_b64 s[6:7], vcc
	s_xor_b64 s[6:7], exec, s[6:7]
	s_cbranch_execnz .LBB13_3637
; %bb.1589:
	s_or_saveexec_b64 s[6:7], s[6:7]
	v_mov_b32_e32 v20, s10
	s_xor_b64 exec, exec, s[6:7]
	s_cbranch_execnz .LBB13_3640
.LBB13_1590:
	s_or_b64 exec, exec, s[6:7]
	s_and_saveexec_b64 s[6:7], s[4:5]
	s_cbranch_execz .LBB13_1592
.LBB13_1591:
	v_bfe_u32 v14, v11, 16, 3
	v_ffbh_u32_e32 v22, v14
	v_min_u32_e32 v22, 32, v22
	v_lshrrev_b32_e32 v20, 19, v11
	v_subrev_u32_e32 v23, 28, v22
	v_and_b32_e32 v20, 15, v20
	v_lshlrev_b32_sdwa v23, v23, v11 dst_sel:DWORD dst_unused:UNUSED_PAD src0_sel:DWORD src1_sel:WORD_1
	v_bfe_u32 v21, v11, 19, 4
	v_sub_u32_e32 v22, 29, v22
	v_and_b32_e32 v23, 7, v23
	v_cmp_eq_u16_e32 vcc, 0, v20
	v_cndmask_b32_e32 v14, v14, v23, vcc
	v_cndmask_b32_e32 v20, v21, v22, vcc
	v_lshlrev_b32_e32 v21, 8, v11
	v_mov_b32_e32 v22, 0x3b800000
	v_lshlrev_b32_e32 v14, 20, v14
	v_and_b32_e32 v21, 0x80000000, v21
	v_lshl_add_u32 v20, v20, 23, v22
	v_or3_b32 v20, v21, v20, v14
.LBB13_1592:
	s_or_b64 exec, exec, s[6:7]
	s_nop 0
	v_mfma_f32_16x16x4f32 a[0:3], v10, v20, a[0:3]
	s_movk_i32 s4, 0x7f
	v_cmp_gt_i16_sdwa s[6:7], v15, s4 src0_sel:BYTE_3 src1_sel:DWORD
	s_mov_b64 s[4:5], 0
                                        ; implicit-def: $sgpr10
	s_and_saveexec_b64 s[8:9], s[6:7]
	s_xor_b64 s[6:7], exec, s[8:9]
	s_cbranch_execnz .LBB13_3641
; %bb.1593:
	s_or_saveexec_b64 s[6:7], s[6:7]
	v_mov_b32_e32 v10, s10
	s_xor_b64 exec, exec, s[6:7]
	s_cbranch_execnz .LBB13_3644
.LBB13_1594:
	s_or_b64 exec, exec, s[6:7]
	s_and_saveexec_b64 s[6:7], s[4:5]
	s_cbranch_execz .LBB13_1596
.LBB13_1595:
	v_bfe_u32 v10, v15, 24, 3
	v_ffbh_u32_e32 v22, v10
	v_min_u32_e32 v22, 32, v22
	v_lshrrev_b32_e32 v20, 27, v15
	v_subrev_u32_e32 v23, 28, v22
	v_and_b32_e32 v14, 0x80000000, v15
	v_and_b32_e32 v20, 15, v20
	v_bfe_u32 v21, v15, 27, 4
	v_lshlrev_b32_sdwa v15, v23, v15 dst_sel:DWORD dst_unused:UNUSED_PAD src0_sel:DWORD src1_sel:BYTE_3
	v_sub_u32_e32 v22, 29, v22
	v_and_b32_e32 v15, 7, v15
	v_cmp_eq_u16_e32 vcc, 0, v20
	v_cndmask_b32_e32 v10, v10, v15, vcc
	v_cndmask_b32_e32 v15, v21, v22, vcc
	v_mov_b32_e32 v20, 0x3b800000
	v_lshlrev_b32_e32 v10, 20, v10
	v_lshl_add_u32 v15, v15, 23, v20
	v_or3_b32 v10, v14, v15, v10
.LBB13_1596:
	s_or_b64 exec, exec, s[6:7]
	s_movk_i32 s4, 0x7f
	v_cmp_gt_i16_sdwa s[6:7], v11, s4 src0_sel:BYTE_3 src1_sel:DWORD
	s_mov_b64 s[4:5], 0
                                        ; implicit-def: $sgpr10
	s_and_saveexec_b64 s[8:9], s[6:7]
	s_xor_b64 s[6:7], exec, s[8:9]
	s_cbranch_execnz .LBB13_3645
; %bb.1597:
	s_or_saveexec_b64 s[6:7], s[6:7]
	v_mov_b32_e32 v14, s10
	s_xor_b64 exec, exec, s[6:7]
	s_cbranch_execnz .LBB13_3648
.LBB13_1598:
	s_or_b64 exec, exec, s[6:7]
	s_and_saveexec_b64 s[6:7], s[4:5]
	s_cbranch_execz .LBB13_1600
.LBB13_1599:
	v_bfe_u32 v14, v11, 24, 3
	v_ffbh_u32_e32 v22, v14
	v_min_u32_e32 v22, 32, v22
	v_lshrrev_b32_e32 v20, 27, v11
	v_subrev_u32_e32 v23, 28, v22
	v_and_b32_e32 v15, 0x80000000, v11
	v_and_b32_e32 v20, 15, v20
	v_bfe_u32 v21, v11, 27, 4
	v_lshlrev_b32_sdwa v11, v23, v11 dst_sel:DWORD dst_unused:UNUSED_PAD src0_sel:DWORD src1_sel:BYTE_3
	v_sub_u32_e32 v22, 29, v22
	v_and_b32_e32 v11, 7, v11
	v_cmp_eq_u16_e32 vcc, 0, v20
	v_cndmask_b32_e32 v11, v14, v11, vcc
	v_cndmask_b32_e32 v14, v21, v22, vcc
	v_mov_b32_e32 v20, 0x3b800000
	v_lshlrev_b32_e32 v11, 20, v11
	v_lshl_add_u32 v14, v14, 23, v20
	v_or3_b32 v14, v15, v14, v11
.LBB13_1600:
	s_or_b64 exec, exec, s[6:7]
	s_nop 0
	v_mfma_f32_16x16x4f32 a[0:3], v10, v14, a[0:3]
	s_movk_i32 s4, 0x7f
	v_cmp_gt_i16_sdwa s[6:7], v16, s4 src0_sel:BYTE_0 src1_sel:DWORD
	s_mov_b64 s[4:5], 0
                                        ; implicit-def: $sgpr10
	s_and_saveexec_b64 s[8:9], s[6:7]
	s_xor_b64 s[6:7], exec, s[8:9]
	s_cbranch_execnz .LBB13_3649
; %bb.1601:
	s_or_saveexec_b64 s[6:7], s[6:7]
	v_mov_b32_e32 v10, s10
	s_xor_b64 exec, exec, s[6:7]
	s_cbranch_execnz .LBB13_3652
.LBB13_1602:
	s_or_b64 exec, exec, s[6:7]
	s_and_saveexec_b64 s[6:7], s[4:5]
	s_cbranch_execz .LBB13_1604
.LBB13_1603:
	v_and_b32_e32 v10, 7, v16
	v_ffbh_u32_e32 v14, v10
	v_min_u32_e32 v14, 32, v14
	v_lshrrev_b16_e32 v11, 3, v16
	v_subrev_u32_e32 v15, 28, v14
	v_and_b32_e32 v11, 15, v11
	v_lshlrev_b32_e32 v15, v15, v16
	v_sub_u32_e32 v14, 29, v14
	v_and_b32_e32 v15, 7, v15
	v_cmp_eq_u16_e32 vcc, 0, v11
	v_cndmask_b32_e32 v10, v10, v15, vcc
	v_cndmask_b32_e32 v11, v11, v14, vcc
	v_lshlrev_b32_e32 v14, 24, v16
	v_mov_b32_e32 v15, 0x3b800000
	v_lshlrev_b32_e32 v10, 20, v10
	v_and_b32_e32 v14, 0x80000000, v14
	v_lshl_add_u32 v11, v11, 23, v15
	v_or3_b32 v10, v14, v11, v10
.LBB13_1604:
	s_or_b64 exec, exec, s[6:7]
	s_movk_i32 s4, 0x7f
	v_cmp_gt_i16_sdwa s[6:7], v12, s4 src0_sel:BYTE_0 src1_sel:DWORD
	s_mov_b64 s[4:5], 0
                                        ; implicit-def: $sgpr10
	s_and_saveexec_b64 s[8:9], s[6:7]
	s_xor_b64 s[6:7], exec, s[8:9]
	s_cbranch_execnz .LBB13_3653
; %bb.1605:
	s_or_saveexec_b64 s[6:7], s[6:7]
	v_mov_b32_e32 v11, s10
	s_xor_b64 exec, exec, s[6:7]
	s_cbranch_execnz .LBB13_3656
.LBB13_1606:
	s_or_b64 exec, exec, s[6:7]
	s_and_saveexec_b64 s[6:7], s[4:5]
	s_cbranch_execz .LBB13_1608
.LBB13_1607:
	v_and_b32_e32 v11, 7, v12
	v_ffbh_u32_e32 v15, v11
	v_min_u32_e32 v15, 32, v15
	v_lshrrev_b16_e32 v14, 3, v12
	v_subrev_u32_e32 v20, 28, v15
	v_and_b32_e32 v14, 15, v14
	v_lshlrev_b32_e32 v20, v20, v12
	v_sub_u32_e32 v15, 29, v15
	v_and_b32_e32 v20, 7, v20
	v_cmp_eq_u16_e32 vcc, 0, v14
	v_cndmask_b32_e32 v11, v11, v20, vcc
	v_cndmask_b32_e32 v14, v14, v15, vcc
	v_lshlrev_b32_e32 v15, 24, v12
	v_mov_b32_e32 v20, 0x3b800000
	v_lshlrev_b32_e32 v11, 20, v11
	v_and_b32_e32 v15, 0x80000000, v15
	v_lshl_add_u32 v14, v14, 23, v20
	v_or3_b32 v11, v15, v14, v11
.LBB13_1608:
	s_or_b64 exec, exec, s[6:7]
	s_nop 0
	v_mfma_f32_16x16x4f32 a[0:3], v10, v11, a[0:3]
	v_lshrrev_b32_e32 v11, 8, v16
	s_movk_i32 s4, 0x7f
	v_cmp_gt_i16_sdwa s[6:7], v11, s4 src0_sel:BYTE_0 src1_sel:DWORD
	s_mov_b64 s[4:5], 0
                                        ; implicit-def: $sgpr10
	s_and_saveexec_b64 s[8:9], s[6:7]
	s_xor_b64 s[6:7], exec, s[8:9]
	s_cbranch_execnz .LBB13_3657
; %bb.1609:
	s_or_saveexec_b64 s[6:7], s[6:7]
	v_mov_b32_e32 v10, s10
	s_xor_b64 exec, exec, s[6:7]
	s_cbranch_execnz .LBB13_3660
.LBB13_1610:
	s_or_b64 exec, exec, s[6:7]
	s_and_saveexec_b64 s[6:7], s[4:5]
	s_cbranch_execz .LBB13_1612
.LBB13_1611:
	v_bfe_u32 v10, v16, 8, 3
	v_ffbh_u32_e32 v15, v10
	v_min_u32_e32 v15, 32, v15
	v_lshrrev_b16_e32 v14, 3, v11
	v_subrev_u32_e32 v20, 28, v15
	v_and_b32_e32 v14, 15, v14
	v_lshlrev_b32_e32 v11, v20, v11
	v_sub_u32_e32 v15, 29, v15
	v_and_b32_e32 v11, 7, v11
	v_cmp_eq_u16_e32 vcc, 0, v14
	v_cndmask_b32_e32 v10, v10, v11, vcc
	v_cndmask_b32_e32 v11, v14, v15, vcc
	v_lshlrev_b32_e32 v14, 16, v16
	v_mov_b32_e32 v15, 0x3b800000
	v_lshlrev_b32_e32 v10, 20, v10
	v_and_b32_e32 v14, 0x80000000, v14
	v_lshl_add_u32 v11, v11, 23, v15
	v_or3_b32 v10, v14, v11, v10
.LBB13_1612:
	s_or_b64 exec, exec, s[6:7]
	v_lshrrev_b32_e32 v11, 8, v12
	s_movk_i32 s4, 0x7f
	v_cmp_gt_i16_sdwa s[6:7], v11, s4 src0_sel:BYTE_0 src1_sel:DWORD
	s_mov_b64 s[4:5], 0
                                        ; implicit-def: $sgpr10
	s_and_saveexec_b64 s[8:9], s[6:7]
	s_xor_b64 s[6:7], exec, s[8:9]
	s_cbranch_execnz .LBB13_3661
; %bb.1613:
	s_or_saveexec_b64 s[6:7], s[6:7]
	v_mov_b32_e32 v14, s10
	s_xor_b64 exec, exec, s[6:7]
	s_cbranch_execnz .LBB13_3664
.LBB13_1614:
	s_or_b64 exec, exec, s[6:7]
	s_and_saveexec_b64 s[6:7], s[4:5]
	s_cbranch_execz .LBB13_1616
.LBB13_1615:
	v_bfe_u32 v14, v12, 8, 3
	v_ffbh_u32_e32 v20, v14
	v_min_u32_e32 v20, 32, v20
	v_lshrrev_b16_e32 v15, 3, v11
	v_subrev_u32_e32 v21, 28, v20
	v_and_b32_e32 v15, 15, v15
	v_lshlrev_b32_e32 v11, v21, v11
	v_sub_u32_e32 v20, 29, v20
	v_and_b32_e32 v11, 7, v11
	v_cmp_eq_u16_e32 vcc, 0, v15
	v_cndmask_b32_e32 v11, v14, v11, vcc
	v_cndmask_b32_e32 v14, v15, v20, vcc
	v_lshlrev_b32_e32 v15, 16, v12
	v_mov_b32_e32 v20, 0x3b800000
	v_lshlrev_b32_e32 v11, 20, v11
	v_and_b32_e32 v15, 0x80000000, v15
	v_lshl_add_u32 v14, v14, 23, v20
	v_or3_b32 v14, v15, v14, v11
.LBB13_1616:
	s_or_b64 exec, exec, s[6:7]
	s_nop 0
	v_mfma_f32_16x16x4f32 a[0:3], v10, v14, a[0:3]
	s_movk_i32 s4, 0xff
	v_and_b32_sdwa v11, v16, s4 dst_sel:DWORD dst_unused:UNUSED_PAD src0_sel:WORD_1 src1_sel:DWORD
	s_movk_i32 s4, 0x7f
	v_cmp_lt_i16_e32 vcc, s4, v11
	s_mov_b64 s[4:5], 0
                                        ; implicit-def: $sgpr10
	s_and_saveexec_b64 s[6:7], vcc
	s_xor_b64 s[6:7], exec, s[6:7]
	s_cbranch_execnz .LBB13_3665
; %bb.1617:
	s_or_saveexec_b64 s[6:7], s[6:7]
	v_mov_b32_e32 v10, s10
	s_xor_b64 exec, exec, s[6:7]
	s_cbranch_execnz .LBB13_3668
.LBB13_1618:
	s_or_b64 exec, exec, s[6:7]
	s_and_saveexec_b64 s[6:7], s[4:5]
	s_cbranch_execz .LBB13_1620
.LBB13_1619:
	v_bfe_u32 v10, v16, 16, 3
	v_ffbh_u32_e32 v15, v10
	v_min_u32_e32 v15, 32, v15
	v_lshrrev_b32_e32 v11, 19, v16
	v_subrev_u32_e32 v20, 28, v15
	v_and_b32_e32 v11, 15, v11
	v_lshlrev_b32_sdwa v20, v20, v16 dst_sel:DWORD dst_unused:UNUSED_PAD src0_sel:DWORD src1_sel:WORD_1
	v_bfe_u32 v14, v16, 19, 4
	v_sub_u32_e32 v15, 29, v15
	v_and_b32_e32 v20, 7, v20
	v_cmp_eq_u16_e32 vcc, 0, v11
	v_cndmask_b32_e32 v10, v10, v20, vcc
	v_cndmask_b32_e32 v11, v14, v15, vcc
	v_lshlrev_b32_e32 v14, 8, v16
	v_mov_b32_e32 v15, 0x3b800000
	v_lshlrev_b32_e32 v10, 20, v10
	v_and_b32_e32 v14, 0x80000000, v14
	v_lshl_add_u32 v11, v11, 23, v15
	v_or3_b32 v10, v14, v11, v10
.LBB13_1620:
	s_or_b64 exec, exec, s[6:7]
	s_movk_i32 s4, 0xff
	v_and_b32_sdwa v11, v12, s4 dst_sel:DWORD dst_unused:UNUSED_PAD src0_sel:WORD_1 src1_sel:DWORD
	s_movk_i32 s4, 0x7f
	v_cmp_lt_i16_e32 vcc, s4, v11
	s_mov_b64 s[4:5], 0
                                        ; implicit-def: $sgpr10
	s_and_saveexec_b64 s[6:7], vcc
	s_xor_b64 s[6:7], exec, s[6:7]
	s_cbranch_execnz .LBB13_3669
; %bb.1621:
	s_or_saveexec_b64 s[6:7], s[6:7]
	v_mov_b32_e32 v14, s10
	s_xor_b64 exec, exec, s[6:7]
	s_cbranch_execnz .LBB13_3672
.LBB13_1622:
	s_or_b64 exec, exec, s[6:7]
	s_and_saveexec_b64 s[6:7], s[4:5]
	s_cbranch_execz .LBB13_1624
.LBB13_1623:
	v_bfe_u32 v11, v12, 16, 3
	v_ffbh_u32_e32 v20, v11
	v_min_u32_e32 v20, 32, v20
	v_lshrrev_b32_e32 v14, 19, v12
	v_subrev_u32_e32 v21, 28, v20
	v_and_b32_e32 v14, 15, v14
	v_lshlrev_b32_sdwa v21, v21, v12 dst_sel:DWORD dst_unused:UNUSED_PAD src0_sel:DWORD src1_sel:WORD_1
	v_bfe_u32 v15, v12, 19, 4
	v_sub_u32_e32 v20, 29, v20
	v_and_b32_e32 v21, 7, v21
	v_cmp_eq_u16_e32 vcc, 0, v14
	v_cndmask_b32_e32 v11, v11, v21, vcc
	v_cndmask_b32_e32 v14, v15, v20, vcc
	v_lshlrev_b32_e32 v15, 8, v12
	v_mov_b32_e32 v20, 0x3b800000
	v_lshlrev_b32_e32 v11, 20, v11
	v_and_b32_e32 v15, 0x80000000, v15
	v_lshl_add_u32 v14, v14, 23, v20
	v_or3_b32 v14, v15, v14, v11
.LBB13_1624:
	s_or_b64 exec, exec, s[6:7]
	s_nop 0
	v_mfma_f32_16x16x4f32 a[0:3], v10, v14, a[0:3]
	s_movk_i32 s4, 0x7f
	v_cmp_gt_i16_sdwa s[6:7], v16, s4 src0_sel:BYTE_3 src1_sel:DWORD
	s_mov_b64 s[4:5], 0
                                        ; implicit-def: $sgpr10
	s_and_saveexec_b64 s[8:9], s[6:7]
	s_xor_b64 s[6:7], exec, s[8:9]
	s_cbranch_execnz .LBB13_3673
; %bb.1625:
	s_or_saveexec_b64 s[6:7], s[6:7]
	v_mov_b32_e32 v10, s10
	s_xor_b64 exec, exec, s[6:7]
	s_cbranch_execnz .LBB13_3676
.LBB13_1626:
	s_or_b64 exec, exec, s[6:7]
	s_and_saveexec_b64 s[6:7], s[4:5]
	s_cbranch_execz .LBB13_1628
.LBB13_1627:
	v_bfe_u32 v10, v16, 24, 3
	v_ffbh_u32_e32 v20, v10
	v_min_u32_e32 v20, 32, v20
	v_lshrrev_b32_e32 v14, 27, v16
	v_subrev_u32_e32 v21, 28, v20
	v_and_b32_e32 v11, 0x80000000, v16
	v_and_b32_e32 v14, 15, v14
	v_bfe_u32 v15, v16, 27, 4
	v_lshlrev_b32_sdwa v16, v21, v16 dst_sel:DWORD dst_unused:UNUSED_PAD src0_sel:DWORD src1_sel:BYTE_3
	v_sub_u32_e32 v20, 29, v20
	v_and_b32_e32 v16, 7, v16
	v_cmp_eq_u16_e32 vcc, 0, v14
	v_cndmask_b32_e32 v10, v10, v16, vcc
	v_cndmask_b32_e32 v14, v15, v20, vcc
	v_mov_b32_e32 v15, 0x3b800000
	v_lshlrev_b32_e32 v10, 20, v10
	v_lshl_add_u32 v14, v14, 23, v15
	v_or3_b32 v10, v11, v14, v10
.LBB13_1628:
	s_or_b64 exec, exec, s[6:7]
	s_movk_i32 s4, 0x7f
	v_cmp_gt_i16_sdwa s[6:7], v12, s4 src0_sel:BYTE_3 src1_sel:DWORD
	s_mov_b64 s[4:5], 0
                                        ; implicit-def: $sgpr10
	s_and_saveexec_b64 s[8:9], s[6:7]
	s_xor_b64 s[6:7], exec, s[8:9]
	s_cbranch_execnz .LBB13_3677
; %bb.1629:
	s_or_saveexec_b64 s[6:7], s[6:7]
	v_mov_b32_e32 v11, s10
	s_xor_b64 exec, exec, s[6:7]
	s_cbranch_execnz .LBB13_3680
.LBB13_1630:
	s_or_b64 exec, exec, s[6:7]
	s_and_saveexec_b64 s[6:7], s[4:5]
	s_cbranch_execz .LBB13_1632
.LBB13_1631:
	v_bfe_u32 v11, v12, 24, 3
	v_ffbh_u32_e32 v20, v11
	v_min_u32_e32 v20, 32, v20
	v_lshrrev_b32_e32 v15, 27, v12
	v_subrev_u32_e32 v21, 28, v20
	v_and_b32_e32 v14, 0x80000000, v12
	v_and_b32_e32 v15, 15, v15
	v_bfe_u32 v16, v12, 27, 4
	v_lshlrev_b32_sdwa v12, v21, v12 dst_sel:DWORD dst_unused:UNUSED_PAD src0_sel:DWORD src1_sel:BYTE_3
	v_sub_u32_e32 v20, 29, v20
	v_and_b32_e32 v12, 7, v12
	v_cmp_eq_u16_e32 vcc, 0, v15
	v_cndmask_b32_e32 v11, v11, v12, vcc
	v_cndmask_b32_e32 v12, v16, v20, vcc
	v_mov_b32_e32 v15, 0x3b800000
	v_lshlrev_b32_e32 v11, 20, v11
	v_lshl_add_u32 v12, v12, 23, v15
	v_or3_b32 v11, v14, v12, v11
.LBB13_1632:
	s_or_b64 exec, exec, s[6:7]
	s_nop 0
	v_mfma_f32_16x16x4f32 a[0:3], v10, v11, a[0:3]
	s_movk_i32 s4, 0x7f
	v_cmp_gt_i16_sdwa s[6:7], v17, s4 src0_sel:BYTE_0 src1_sel:DWORD
	s_mov_b64 s[4:5], 0
                                        ; implicit-def: $sgpr10
	s_and_saveexec_b64 s[8:9], s[6:7]
	s_xor_b64 s[6:7], exec, s[8:9]
	s_cbranch_execnz .LBB13_3681
; %bb.1633:
	s_or_saveexec_b64 s[6:7], s[6:7]
	v_mov_b32_e32 v10, s10
	s_xor_b64 exec, exec, s[6:7]
	s_cbranch_execnz .LBB13_3684
.LBB13_1634:
	s_or_b64 exec, exec, s[6:7]
	s_and_saveexec_b64 s[6:7], s[4:5]
	s_cbranch_execz .LBB13_1636
.LBB13_1635:
	v_and_b32_e32 v10, 7, v17
	v_ffbh_u32_e32 v12, v10
	v_min_u32_e32 v12, 32, v12
	v_lshrrev_b16_e32 v11, 3, v17
	v_subrev_u32_e32 v14, 28, v12
	v_and_b32_e32 v11, 15, v11
	v_lshlrev_b32_e32 v14, v14, v17
	v_sub_u32_e32 v12, 29, v12
	v_and_b32_e32 v14, 7, v14
	v_cmp_eq_u16_e32 vcc, 0, v11
	v_cndmask_b32_e32 v10, v10, v14, vcc
	v_cndmask_b32_e32 v11, v11, v12, vcc
	v_lshlrev_b32_e32 v12, 24, v17
	v_mov_b32_e32 v14, 0x3b800000
	v_lshlrev_b32_e32 v10, 20, v10
	v_and_b32_e32 v12, 0x80000000, v12
	v_lshl_add_u32 v11, v11, 23, v14
	v_or3_b32 v10, v12, v11, v10
.LBB13_1636:
	s_or_b64 exec, exec, s[6:7]
	s_movk_i32 s4, 0x7f
	v_cmp_gt_i16_sdwa s[6:7], v13, s4 src0_sel:BYTE_0 src1_sel:DWORD
	s_mov_b64 s[4:5], 0
                                        ; implicit-def: $sgpr10
	s_and_saveexec_b64 s[8:9], s[6:7]
	s_xor_b64 s[6:7], exec, s[8:9]
	s_cbranch_execnz .LBB13_3685
; %bb.1637:
	s_or_saveexec_b64 s[6:7], s[6:7]
	v_mov_b32_e32 v11, s10
	s_xor_b64 exec, exec, s[6:7]
	s_cbranch_execnz .LBB13_3688
.LBB13_1638:
	s_or_b64 exec, exec, s[6:7]
	s_and_saveexec_b64 s[6:7], s[4:5]
	s_cbranch_execz .LBB13_1640
.LBB13_1639:
	v_and_b32_e32 v11, 7, v13
	v_ffbh_u32_e32 v14, v11
	v_min_u32_e32 v14, 32, v14
	v_lshrrev_b16_e32 v12, 3, v13
	v_subrev_u32_e32 v15, 28, v14
	v_and_b32_e32 v12, 15, v12
	v_lshlrev_b32_e32 v15, v15, v13
	v_sub_u32_e32 v14, 29, v14
	v_and_b32_e32 v15, 7, v15
	v_cmp_eq_u16_e32 vcc, 0, v12
	v_cndmask_b32_e32 v11, v11, v15, vcc
	v_cndmask_b32_e32 v12, v12, v14, vcc
	v_lshlrev_b32_e32 v14, 24, v13
	v_mov_b32_e32 v15, 0x3b800000
	v_lshlrev_b32_e32 v11, 20, v11
	v_and_b32_e32 v14, 0x80000000, v14
	v_lshl_add_u32 v12, v12, 23, v15
	v_or3_b32 v11, v14, v12, v11
.LBB13_1640:
	s_or_b64 exec, exec, s[6:7]
	s_nop 0
	v_mfma_f32_16x16x4f32 a[0:3], v10, v11, a[0:3]
	v_lshrrev_b32_e32 v11, 8, v17
	s_movk_i32 s4, 0x7f
	v_cmp_gt_i16_sdwa s[6:7], v11, s4 src0_sel:BYTE_0 src1_sel:DWORD
	s_mov_b64 s[4:5], 0
                                        ; implicit-def: $sgpr10
	s_and_saveexec_b64 s[8:9], s[6:7]
	s_xor_b64 s[6:7], exec, s[8:9]
	s_cbranch_execnz .LBB13_3689
; %bb.1641:
	s_or_saveexec_b64 s[6:7], s[6:7]
	v_mov_b32_e32 v10, s10
	s_xor_b64 exec, exec, s[6:7]
	s_cbranch_execnz .LBB13_3692
.LBB13_1642:
	s_or_b64 exec, exec, s[6:7]
	s_and_saveexec_b64 s[6:7], s[4:5]
	s_cbranch_execz .LBB13_1644
.LBB13_1643:
	v_bfe_u32 v10, v17, 8, 3
	v_ffbh_u32_e32 v14, v10
	v_min_u32_e32 v14, 32, v14
	v_lshrrev_b16_e32 v12, 3, v11
	v_subrev_u32_e32 v15, 28, v14
	v_and_b32_e32 v12, 15, v12
	v_lshlrev_b32_e32 v11, v15, v11
	v_sub_u32_e32 v14, 29, v14
	v_and_b32_e32 v11, 7, v11
	v_cmp_eq_u16_e32 vcc, 0, v12
	v_cndmask_b32_e32 v10, v10, v11, vcc
	v_cndmask_b32_e32 v11, v12, v14, vcc
	v_lshlrev_b32_e32 v12, 16, v17
	v_mov_b32_e32 v14, 0x3b800000
	v_lshlrev_b32_e32 v10, 20, v10
	v_and_b32_e32 v12, 0x80000000, v12
	v_lshl_add_u32 v11, v11, 23, v14
	v_or3_b32 v10, v12, v11, v10
.LBB13_1644:
	s_or_b64 exec, exec, s[6:7]
	v_lshrrev_b32_e32 v11, 8, v13
	s_movk_i32 s4, 0x7f
	v_cmp_gt_i16_sdwa s[6:7], v11, s4 src0_sel:BYTE_0 src1_sel:DWORD
	s_mov_b64 s[4:5], 0
                                        ; implicit-def: $sgpr10
	s_and_saveexec_b64 s[8:9], s[6:7]
	s_xor_b64 s[6:7], exec, s[8:9]
	s_cbranch_execnz .LBB13_3693
; %bb.1645:
	s_or_saveexec_b64 s[6:7], s[6:7]
	v_mov_b32_e32 v12, s10
	s_xor_b64 exec, exec, s[6:7]
	s_cbranch_execnz .LBB13_3696
.LBB13_1646:
	s_or_b64 exec, exec, s[6:7]
	s_and_saveexec_b64 s[6:7], s[4:5]
	s_cbranch_execz .LBB13_1648
.LBB13_1647:
	v_bfe_u32 v12, v13, 8, 3
	v_ffbh_u32_e32 v15, v12
	v_min_u32_e32 v15, 32, v15
	v_lshrrev_b16_e32 v14, 3, v11
	v_subrev_u32_e32 v16, 28, v15
	v_and_b32_e32 v14, 15, v14
	v_lshlrev_b32_e32 v11, v16, v11
	v_sub_u32_e32 v15, 29, v15
	v_and_b32_e32 v11, 7, v11
	v_cmp_eq_u16_e32 vcc, 0, v14
	v_cndmask_b32_e32 v11, v12, v11, vcc
	v_cndmask_b32_e32 v12, v14, v15, vcc
	v_lshlrev_b32_e32 v14, 16, v13
	v_mov_b32_e32 v15, 0x3b800000
	v_lshlrev_b32_e32 v11, 20, v11
	v_and_b32_e32 v14, 0x80000000, v14
	v_lshl_add_u32 v12, v12, 23, v15
	v_or3_b32 v12, v14, v12, v11
.LBB13_1648:
	s_or_b64 exec, exec, s[6:7]
	s_nop 0
	v_mfma_f32_16x16x4f32 a[0:3], v10, v12, a[0:3]
	s_movk_i32 s4, 0xff
	v_and_b32_sdwa v11, v17, s4 dst_sel:DWORD dst_unused:UNUSED_PAD src0_sel:WORD_1 src1_sel:DWORD
	s_movk_i32 s4, 0x7f
	v_cmp_lt_i16_e32 vcc, s4, v11
	s_mov_b64 s[4:5], 0
                                        ; implicit-def: $sgpr10
	s_and_saveexec_b64 s[6:7], vcc
	s_xor_b64 s[6:7], exec, s[6:7]
	s_cbranch_execnz .LBB13_3697
; %bb.1649:
	s_or_saveexec_b64 s[6:7], s[6:7]
	v_mov_b32_e32 v10, s10
	s_xor_b64 exec, exec, s[6:7]
	s_cbranch_execnz .LBB13_3700
.LBB13_1650:
	s_or_b64 exec, exec, s[6:7]
	s_and_saveexec_b64 s[6:7], s[4:5]
	s_cbranch_execz .LBB13_1652
.LBB13_1651:
	v_bfe_u32 v10, v17, 16, 3
	v_ffbh_u32_e32 v14, v10
	v_min_u32_e32 v14, 32, v14
	v_lshrrev_b32_e32 v11, 19, v17
	v_subrev_u32_e32 v15, 28, v14
	v_and_b32_e32 v11, 15, v11
	v_lshlrev_b32_sdwa v15, v15, v17 dst_sel:DWORD dst_unused:UNUSED_PAD src0_sel:DWORD src1_sel:WORD_1
	v_bfe_u32 v12, v17, 19, 4
	v_sub_u32_e32 v14, 29, v14
	v_and_b32_e32 v15, 7, v15
	v_cmp_eq_u16_e32 vcc, 0, v11
	v_cndmask_b32_e32 v10, v10, v15, vcc
	v_cndmask_b32_e32 v11, v12, v14, vcc
	v_lshlrev_b32_e32 v12, 8, v17
	v_mov_b32_e32 v14, 0x3b800000
	v_lshlrev_b32_e32 v10, 20, v10
	v_and_b32_e32 v12, 0x80000000, v12
	v_lshl_add_u32 v11, v11, 23, v14
	v_or3_b32 v10, v12, v11, v10
.LBB13_1652:
	s_or_b64 exec, exec, s[6:7]
	s_movk_i32 s4, 0xff
	v_and_b32_sdwa v11, v13, s4 dst_sel:DWORD dst_unused:UNUSED_PAD src0_sel:WORD_1 src1_sel:DWORD
	s_movk_i32 s4, 0x7f
	v_cmp_lt_i16_e32 vcc, s4, v11
	s_mov_b64 s[4:5], 0
                                        ; implicit-def: $sgpr10
	s_and_saveexec_b64 s[6:7], vcc
	s_xor_b64 s[6:7], exec, s[6:7]
	s_cbranch_execnz .LBB13_3701
; %bb.1653:
	s_or_saveexec_b64 s[6:7], s[6:7]
	v_mov_b32_e32 v12, s10
	s_xor_b64 exec, exec, s[6:7]
	s_cbranch_execnz .LBB13_3704
.LBB13_1654:
	s_or_b64 exec, exec, s[6:7]
	s_and_saveexec_b64 s[6:7], s[4:5]
	s_cbranch_execz .LBB13_1656
.LBB13_1655:
	v_bfe_u32 v11, v13, 16, 3
	v_ffbh_u32_e32 v15, v11
	v_min_u32_e32 v15, 32, v15
	v_lshrrev_b32_e32 v12, 19, v13
	v_subrev_u32_e32 v16, 28, v15
	v_and_b32_e32 v12, 15, v12
	v_lshlrev_b32_sdwa v16, v16, v13 dst_sel:DWORD dst_unused:UNUSED_PAD src0_sel:DWORD src1_sel:WORD_1
	v_bfe_u32 v14, v13, 19, 4
	v_sub_u32_e32 v15, 29, v15
	v_and_b32_e32 v16, 7, v16
	v_cmp_eq_u16_e32 vcc, 0, v12
	v_cndmask_b32_e32 v11, v11, v16, vcc
	v_cndmask_b32_e32 v12, v14, v15, vcc
	v_lshlrev_b32_e32 v14, 8, v13
	v_mov_b32_e32 v15, 0x3b800000
	v_lshlrev_b32_e32 v11, 20, v11
	v_and_b32_e32 v14, 0x80000000, v14
	v_lshl_add_u32 v12, v12, 23, v15
	v_or3_b32 v12, v14, v12, v11
.LBB13_1656:
	s_or_b64 exec, exec, s[6:7]
	s_nop 0
	v_mfma_f32_16x16x4f32 a[0:3], v10, v12, a[0:3]
	s_movk_i32 s4, 0x7f
	v_cmp_gt_i16_sdwa s[6:7], v17, s4 src0_sel:BYTE_3 src1_sel:DWORD
	s_mov_b64 s[4:5], 0
                                        ; implicit-def: $sgpr10
	s_and_saveexec_b64 s[8:9], s[6:7]
	s_xor_b64 s[6:7], exec, s[8:9]
	s_cbranch_execnz .LBB13_3705
; %bb.1657:
	s_or_saveexec_b64 s[6:7], s[6:7]
	v_mov_b32_e32 v10, s10
	s_xor_b64 exec, exec, s[6:7]
	s_cbranch_execnz .LBB13_3708
.LBB13_1658:
	s_or_b64 exec, exec, s[6:7]
	s_and_saveexec_b64 s[6:7], s[4:5]
	s_cbranch_execz .LBB13_1660
.LBB13_1659:
	v_bfe_u32 v10, v17, 24, 3
	v_ffbh_u32_e32 v15, v10
	v_min_u32_e32 v15, 32, v15
	v_lshrrev_b32_e32 v12, 27, v17
	v_subrev_u32_e32 v16, 28, v15
	v_and_b32_e32 v12, 15, v12
	v_lshlrev_b32_sdwa v16, v16, v17 dst_sel:DWORD dst_unused:UNUSED_PAD src0_sel:DWORD src1_sel:BYTE_3
	v_bfe_u32 v14, v17, 27, 4
	v_sub_u32_e32 v15, 29, v15
	v_and_b32_e32 v16, 7, v16
	v_cmp_eq_u16_e32 vcc, 0, v12
	v_cndmask_b32_e32 v10, v10, v16, vcc
	v_cndmask_b32_e32 v12, v14, v15, vcc
	v_mov_b32_e32 v14, 0x3b800000
	v_and_b32_e32 v11, 0x80000000, v17
	v_lshlrev_b32_e32 v10, 20, v10
	v_lshl_add_u32 v12, v12, 23, v14
	v_or3_b32 v10, v11, v12, v10
.LBB13_1660:
	s_or_b64 exec, exec, s[6:7]
	s_movk_i32 s4, 0x7f
	v_cmp_gt_i16_sdwa s[6:7], v13, s4 src0_sel:BYTE_3 src1_sel:DWORD
	s_mov_b64 s[4:5], 0
                                        ; implicit-def: $sgpr10
	s_and_saveexec_b64 s[8:9], s[6:7]
	s_xor_b64 s[6:7], exec, s[8:9]
	s_cbranch_execnz .LBB13_3709
; %bb.1661:
	s_or_saveexec_b64 s[6:7], s[6:7]
	v_mov_b32_e32 v11, s10
	s_xor_b64 exec, exec, s[6:7]
	s_cbranch_execnz .LBB13_3712
.LBB13_1662:
	s_or_b64 exec, exec, s[6:7]
	s_and_saveexec_b64 s[6:7], s[4:5]
	s_cbranch_execz .LBB13_1664
.LBB13_1663:
	v_bfe_u32 v11, v13, 24, 3
	v_ffbh_u32_e32 v16, v11
	v_min_u32_e32 v16, 32, v16
	v_lshrrev_b32_e32 v14, 27, v13
	v_subrev_u32_e32 v17, 28, v16
	v_and_b32_e32 v12, 0x80000000, v13
	v_and_b32_e32 v14, 15, v14
	v_bfe_u32 v15, v13, 27, 4
	v_lshlrev_b32_sdwa v13, v17, v13 dst_sel:DWORD dst_unused:UNUSED_PAD src0_sel:DWORD src1_sel:BYTE_3
	v_sub_u32_e32 v16, 29, v16
	v_and_b32_e32 v13, 7, v13
	v_cmp_eq_u16_e32 vcc, 0, v14
	v_cndmask_b32_e32 v11, v11, v13, vcc
	v_cndmask_b32_e32 v13, v15, v16, vcc
	v_mov_b32_e32 v14, 0x3b800000
	v_lshlrev_b32_e32 v11, 20, v11
	v_lshl_add_u32 v13, v13, 23, v14
	v_or3_b32 v11, v12, v13, v11
.LBB13_1664:
	s_or_b64 exec, exec, s[6:7]
	s_nop 0
	v_mfma_f32_16x16x4f32 a[0:3], v10, v11, a[0:3]
	s_movk_i32 s4, 0x7f
	v_cmp_gt_i16_sdwa s[6:7], v6, s4 src0_sel:BYTE_0 src1_sel:DWORD
	s_mov_b64 s[4:5], 0
                                        ; implicit-def: $sgpr10
	s_and_saveexec_b64 s[8:9], s[6:7]
	s_xor_b64 s[6:7], exec, s[8:9]
	s_cbranch_execnz .LBB13_3713
; %bb.1665:
	s_or_saveexec_b64 s[6:7], s[6:7]
	v_mov_b32_e32 v10, s10
	s_xor_b64 exec, exec, s[6:7]
	s_cbranch_execnz .LBB13_3716
.LBB13_1666:
	s_or_b64 exec, exec, s[6:7]
	s_and_saveexec_b64 s[6:7], s[4:5]
	s_cbranch_execz .LBB13_1668
.LBB13_1667:
	v_and_b32_e32 v10, 7, v6
	v_ffbh_u32_e32 v12, v10
	v_min_u32_e32 v12, 32, v12
	v_lshrrev_b16_e32 v11, 3, v6
	v_subrev_u32_e32 v13, 28, v12
	v_and_b32_e32 v11, 15, v11
	v_lshlrev_b32_e32 v13, v13, v6
	v_sub_u32_e32 v12, 29, v12
	v_and_b32_e32 v13, 7, v13
	v_cmp_eq_u16_e32 vcc, 0, v11
	v_cndmask_b32_e32 v10, v10, v13, vcc
	v_cndmask_b32_e32 v11, v11, v12, vcc
	v_lshlrev_b32_e32 v12, 24, v6
	v_mov_b32_e32 v13, 0x3b800000
	v_lshlrev_b32_e32 v10, 20, v10
	v_and_b32_e32 v12, 0x80000000, v12
	v_lshl_add_u32 v11, v11, 23, v13
	v_or3_b32 v10, v12, v11, v10
.LBB13_1668:
	s_or_b64 exec, exec, s[6:7]
	s_movk_i32 s4, 0x7f
	v_cmp_gt_i16_sdwa s[6:7], v2, s4 src0_sel:BYTE_0 src1_sel:DWORD
	s_mov_b64 s[4:5], 0
                                        ; implicit-def: $sgpr10
	s_and_saveexec_b64 s[8:9], s[6:7]
	s_xor_b64 s[6:7], exec, s[8:9]
	s_cbranch_execnz .LBB13_3717
; %bb.1669:
	s_or_saveexec_b64 s[6:7], s[6:7]
	v_mov_b32_e32 v11, s10
	s_xor_b64 exec, exec, s[6:7]
	s_cbranch_execnz .LBB13_3720
.LBB13_1670:
	s_or_b64 exec, exec, s[6:7]
	s_and_saveexec_b64 s[6:7], s[4:5]
	s_cbranch_execz .LBB13_1672
.LBB13_1671:
	v_and_b32_e32 v11, 7, v2
	v_ffbh_u32_e32 v13, v11
	v_min_u32_e32 v13, 32, v13
	v_lshrrev_b16_e32 v12, 3, v2
	v_subrev_u32_e32 v14, 28, v13
	v_and_b32_e32 v12, 15, v12
	v_lshlrev_b32_e32 v14, v14, v2
	v_sub_u32_e32 v13, 29, v13
	v_and_b32_e32 v14, 7, v14
	v_cmp_eq_u16_e32 vcc, 0, v12
	v_cndmask_b32_e32 v11, v11, v14, vcc
	v_cndmask_b32_e32 v12, v12, v13, vcc
	v_lshlrev_b32_e32 v13, 24, v2
	v_mov_b32_e32 v14, 0x3b800000
	v_lshlrev_b32_e32 v11, 20, v11
	v_and_b32_e32 v13, 0x80000000, v13
	v_lshl_add_u32 v12, v12, 23, v14
	v_or3_b32 v11, v13, v12, v11
.LBB13_1672:
	s_or_b64 exec, exec, s[6:7]
	s_nop 0
	v_mfma_f32_16x16x4f32 a[0:3], v10, v11, a[0:3]
	v_lshrrev_b32_e32 v11, 8, v6
	s_movk_i32 s4, 0x7f
	v_cmp_gt_i16_sdwa s[6:7], v11, s4 src0_sel:BYTE_0 src1_sel:DWORD
	s_mov_b64 s[4:5], 0
                                        ; implicit-def: $sgpr10
	s_and_saveexec_b64 s[8:9], s[6:7]
	s_xor_b64 s[6:7], exec, s[8:9]
	s_cbranch_execnz .LBB13_3721
; %bb.1673:
	s_or_saveexec_b64 s[6:7], s[6:7]
	v_mov_b32_e32 v10, s10
	s_xor_b64 exec, exec, s[6:7]
	s_cbranch_execnz .LBB13_3724
.LBB13_1674:
	s_or_b64 exec, exec, s[6:7]
	s_and_saveexec_b64 s[6:7], s[4:5]
	s_cbranch_execz .LBB13_1676
.LBB13_1675:
	v_bfe_u32 v10, v6, 8, 3
	v_ffbh_u32_e32 v13, v10
	v_min_u32_e32 v13, 32, v13
	v_lshrrev_b16_e32 v12, 3, v11
	v_subrev_u32_e32 v14, 28, v13
	v_and_b32_e32 v12, 15, v12
	v_lshlrev_b32_e32 v11, v14, v11
	v_sub_u32_e32 v13, 29, v13
	v_and_b32_e32 v11, 7, v11
	v_cmp_eq_u16_e32 vcc, 0, v12
	v_cndmask_b32_e32 v10, v10, v11, vcc
	v_cndmask_b32_e32 v11, v12, v13, vcc
	v_lshlrev_b32_e32 v12, 16, v6
	v_mov_b32_e32 v13, 0x3b800000
	v_lshlrev_b32_e32 v10, 20, v10
	v_and_b32_e32 v12, 0x80000000, v12
	v_lshl_add_u32 v11, v11, 23, v13
	v_or3_b32 v10, v12, v11, v10
.LBB13_1676:
	s_or_b64 exec, exec, s[6:7]
	v_lshrrev_b32_e32 v11, 8, v2
	s_movk_i32 s4, 0x7f
	v_cmp_gt_i16_sdwa s[6:7], v11, s4 src0_sel:BYTE_0 src1_sel:DWORD
	s_mov_b64 s[4:5], 0
                                        ; implicit-def: $sgpr10
	s_and_saveexec_b64 s[8:9], s[6:7]
	s_xor_b64 s[6:7], exec, s[8:9]
	s_cbranch_execnz .LBB13_3725
; %bb.1677:
	s_or_saveexec_b64 s[6:7], s[6:7]
	v_mov_b32_e32 v12, s10
	s_xor_b64 exec, exec, s[6:7]
	s_cbranch_execnz .LBB13_3728
.LBB13_1678:
	s_or_b64 exec, exec, s[6:7]
	s_and_saveexec_b64 s[6:7], s[4:5]
	s_cbranch_execz .LBB13_1680
.LBB13_1679:
	v_bfe_u32 v12, v2, 8, 3
	v_ffbh_u32_e32 v14, v12
	v_min_u32_e32 v14, 32, v14
	v_lshrrev_b16_e32 v13, 3, v11
	v_subrev_u32_e32 v15, 28, v14
	v_and_b32_e32 v13, 15, v13
	v_lshlrev_b32_e32 v11, v15, v11
	v_sub_u32_e32 v14, 29, v14
	v_and_b32_e32 v11, 7, v11
	v_cmp_eq_u16_e32 vcc, 0, v13
	v_cndmask_b32_e32 v11, v12, v11, vcc
	v_cndmask_b32_e32 v12, v13, v14, vcc
	v_lshlrev_b32_e32 v13, 16, v2
	v_mov_b32_e32 v14, 0x3b800000
	v_lshlrev_b32_e32 v11, 20, v11
	v_and_b32_e32 v13, 0x80000000, v13
	v_lshl_add_u32 v12, v12, 23, v14
	v_or3_b32 v12, v13, v12, v11
.LBB13_1680:
	s_or_b64 exec, exec, s[6:7]
	s_nop 0
	v_mfma_f32_16x16x4f32 a[0:3], v10, v12, a[0:3]
	s_movk_i32 s4, 0xff
	v_and_b32_sdwa v11, v6, s4 dst_sel:DWORD dst_unused:UNUSED_PAD src0_sel:WORD_1 src1_sel:DWORD
	s_movk_i32 s4, 0x7f
	v_cmp_lt_i16_e32 vcc, s4, v11
	s_mov_b64 s[4:5], 0
                                        ; implicit-def: $sgpr10
	s_and_saveexec_b64 s[6:7], vcc
	s_xor_b64 s[6:7], exec, s[6:7]
	s_cbranch_execnz .LBB13_3729
; %bb.1681:
	s_or_saveexec_b64 s[6:7], s[6:7]
	v_mov_b32_e32 v10, s10
	s_xor_b64 exec, exec, s[6:7]
	s_cbranch_execnz .LBB13_3732
.LBB13_1682:
	s_or_b64 exec, exec, s[6:7]
	s_and_saveexec_b64 s[6:7], s[4:5]
	s_cbranch_execz .LBB13_1684
.LBB13_1683:
	v_bfe_u32 v10, v6, 16, 3
	v_ffbh_u32_e32 v13, v10
	v_min_u32_e32 v13, 32, v13
	v_lshrrev_b32_e32 v11, 19, v6
	v_subrev_u32_e32 v14, 28, v13
	v_and_b32_e32 v11, 15, v11
	v_lshlrev_b32_sdwa v14, v14, v6 dst_sel:DWORD dst_unused:UNUSED_PAD src0_sel:DWORD src1_sel:WORD_1
	v_bfe_u32 v12, v6, 19, 4
	v_sub_u32_e32 v13, 29, v13
	v_and_b32_e32 v14, 7, v14
	v_cmp_eq_u16_e32 vcc, 0, v11
	v_cndmask_b32_e32 v10, v10, v14, vcc
	v_cndmask_b32_e32 v11, v12, v13, vcc
	v_lshlrev_b32_e32 v12, 8, v6
	v_mov_b32_e32 v13, 0x3b800000
	v_lshlrev_b32_e32 v10, 20, v10
	v_and_b32_e32 v12, 0x80000000, v12
	v_lshl_add_u32 v11, v11, 23, v13
	v_or3_b32 v10, v12, v11, v10
.LBB13_1684:
	s_or_b64 exec, exec, s[6:7]
	s_movk_i32 s4, 0xff
	v_and_b32_sdwa v11, v2, s4 dst_sel:DWORD dst_unused:UNUSED_PAD src0_sel:WORD_1 src1_sel:DWORD
	s_movk_i32 s4, 0x7f
	v_cmp_lt_i16_e32 vcc, s4, v11
	s_mov_b64 s[4:5], 0
                                        ; implicit-def: $sgpr10
	s_and_saveexec_b64 s[6:7], vcc
	s_xor_b64 s[6:7], exec, s[6:7]
	s_cbranch_execnz .LBB13_3733
; %bb.1685:
	s_or_saveexec_b64 s[6:7], s[6:7]
	v_mov_b32_e32 v12, s10
	s_xor_b64 exec, exec, s[6:7]
	s_cbranch_execnz .LBB13_3736
.LBB13_1686:
	s_or_b64 exec, exec, s[6:7]
	s_and_saveexec_b64 s[6:7], s[4:5]
	s_cbranch_execz .LBB13_1688
.LBB13_1687:
	v_bfe_u32 v11, v2, 16, 3
	v_ffbh_u32_e32 v14, v11
	v_min_u32_e32 v14, 32, v14
	v_lshrrev_b32_e32 v12, 19, v2
	v_subrev_u32_e32 v15, 28, v14
	v_and_b32_e32 v12, 15, v12
	v_lshlrev_b32_sdwa v15, v15, v2 dst_sel:DWORD dst_unused:UNUSED_PAD src0_sel:DWORD src1_sel:WORD_1
	v_bfe_u32 v13, v2, 19, 4
	v_sub_u32_e32 v14, 29, v14
	v_and_b32_e32 v15, 7, v15
	v_cmp_eq_u16_e32 vcc, 0, v12
	v_cndmask_b32_e32 v11, v11, v15, vcc
	v_cndmask_b32_e32 v12, v13, v14, vcc
	v_lshlrev_b32_e32 v13, 8, v2
	v_mov_b32_e32 v14, 0x3b800000
	v_lshlrev_b32_e32 v11, 20, v11
	v_and_b32_e32 v13, 0x80000000, v13
	v_lshl_add_u32 v12, v12, 23, v14
	v_or3_b32 v12, v13, v12, v11
.LBB13_1688:
	s_or_b64 exec, exec, s[6:7]
	s_nop 0
	v_mfma_f32_16x16x4f32 a[0:3], v10, v12, a[0:3]
	s_movk_i32 s4, 0x7f
	v_cmp_gt_i16_sdwa s[6:7], v6, s4 src0_sel:BYTE_3 src1_sel:DWORD
	s_mov_b64 s[4:5], 0
                                        ; implicit-def: $sgpr10
	s_and_saveexec_b64 s[8:9], s[6:7]
	s_xor_b64 s[6:7], exec, s[8:9]
	s_cbranch_execnz .LBB13_3737
; %bb.1689:
	s_or_saveexec_b64 s[6:7], s[6:7]
	v_mov_b32_e32 v10, s10
	s_xor_b64 exec, exec, s[6:7]
	s_cbranch_execnz .LBB13_3740
.LBB13_1690:
	s_or_b64 exec, exec, s[6:7]
	s_and_saveexec_b64 s[6:7], s[4:5]
	s_cbranch_execz .LBB13_1692
.LBB13_1691:
	v_bfe_u32 v10, v6, 24, 3
	v_ffbh_u32_e32 v14, v10
	v_min_u32_e32 v14, 32, v14
	v_lshrrev_b32_e32 v12, 27, v6
	v_subrev_u32_e32 v15, 28, v14
	v_and_b32_e32 v11, 0x80000000, v6
	v_and_b32_e32 v12, 15, v12
	v_bfe_u32 v13, v6, 27, 4
	v_lshlrev_b32_sdwa v6, v15, v6 dst_sel:DWORD dst_unused:UNUSED_PAD src0_sel:DWORD src1_sel:BYTE_3
	v_sub_u32_e32 v14, 29, v14
	v_and_b32_e32 v6, 7, v6
	v_cmp_eq_u16_e32 vcc, 0, v12
	v_cndmask_b32_e32 v6, v10, v6, vcc
	v_cndmask_b32_e32 v10, v13, v14, vcc
	v_mov_b32_e32 v12, 0x3b800000
	v_lshlrev_b32_e32 v6, 20, v6
	v_lshl_add_u32 v10, v10, 23, v12
	v_or3_b32 v10, v11, v10, v6
.LBB13_1692:
	s_or_b64 exec, exec, s[6:7]
	s_movk_i32 s4, 0x7f
	v_cmp_gt_i16_sdwa s[6:7], v2, s4 src0_sel:BYTE_3 src1_sel:DWORD
	s_mov_b64 s[4:5], 0
                                        ; implicit-def: $sgpr10
	s_and_saveexec_b64 s[8:9], s[6:7]
	s_xor_b64 s[6:7], exec, s[8:9]
	s_cbranch_execnz .LBB13_3741
; %bb.1693:
	s_or_saveexec_b64 s[6:7], s[6:7]
	v_mov_b32_e32 v6, s10
	s_xor_b64 exec, exec, s[6:7]
	s_cbranch_execnz .LBB13_3744
.LBB13_1694:
	s_or_b64 exec, exec, s[6:7]
	s_and_saveexec_b64 s[6:7], s[4:5]
	s_cbranch_execz .LBB13_1696
.LBB13_1695:
	v_bfe_u32 v6, v2, 24, 3
	v_ffbh_u32_e32 v14, v6
	v_min_u32_e32 v14, 32, v14
	v_lshrrev_b32_e32 v12, 27, v2
	v_subrev_u32_e32 v15, 28, v14
	v_and_b32_e32 v11, 0x80000000, v2
	v_and_b32_e32 v12, 15, v12
	v_bfe_u32 v13, v2, 27, 4
	v_lshlrev_b32_sdwa v2, v15, v2 dst_sel:DWORD dst_unused:UNUSED_PAD src0_sel:DWORD src1_sel:BYTE_3
	v_sub_u32_e32 v14, 29, v14
	v_and_b32_e32 v2, 7, v2
	v_cmp_eq_u16_e32 vcc, 0, v12
	v_cndmask_b32_e32 v2, v6, v2, vcc
	v_cndmask_b32_e32 v6, v13, v14, vcc
	v_mov_b32_e32 v12, 0x3b800000
	v_lshlrev_b32_e32 v2, 20, v2
	v_lshl_add_u32 v6, v6, 23, v12
	v_or3_b32 v6, v11, v6, v2
.LBB13_1696:
	s_or_b64 exec, exec, s[6:7]
	s_nop 0
	v_mfma_f32_16x16x4f32 a[0:3], v10, v6, a[0:3]
	s_movk_i32 s4, 0x7f
	v_cmp_gt_i16_sdwa s[6:7], v7, s4 src0_sel:BYTE_0 src1_sel:DWORD
	s_mov_b64 s[4:5], 0
                                        ; implicit-def: $sgpr10
	s_and_saveexec_b64 s[8:9], s[6:7]
	s_xor_b64 s[6:7], exec, s[8:9]
	s_cbranch_execnz .LBB13_3745
; %bb.1697:
	s_or_saveexec_b64 s[6:7], s[6:7]
	v_mov_b32_e32 v2, s10
	s_xor_b64 exec, exec, s[6:7]
	s_cbranch_execnz .LBB13_3748
.LBB13_1698:
	s_or_b64 exec, exec, s[6:7]
	s_and_saveexec_b64 s[6:7], s[4:5]
	s_cbranch_execz .LBB13_1700
.LBB13_1699:
	v_and_b32_e32 v2, 7, v7
	v_ffbh_u32_e32 v10, v2
	v_min_u32_e32 v10, 32, v10
	v_lshrrev_b16_e32 v6, 3, v7
	v_subrev_u32_e32 v11, 28, v10
	v_and_b32_e32 v6, 15, v6
	v_lshlrev_b32_e32 v11, v11, v7
	v_sub_u32_e32 v10, 29, v10
	v_and_b32_e32 v11, 7, v11
	v_cmp_eq_u16_e32 vcc, 0, v6
	v_cndmask_b32_e32 v2, v2, v11, vcc
	v_cndmask_b32_e32 v6, v6, v10, vcc
	v_lshlrev_b32_e32 v10, 24, v7
	v_mov_b32_e32 v11, 0x3b800000
	v_lshlrev_b32_e32 v2, 20, v2
	v_and_b32_e32 v10, 0x80000000, v10
	v_lshl_add_u32 v6, v6, 23, v11
	v_or3_b32 v2, v10, v6, v2
.LBB13_1700:
	s_or_b64 exec, exec, s[6:7]
	s_movk_i32 s4, 0x7f
	v_cmp_gt_i16_sdwa s[6:7], v3, s4 src0_sel:BYTE_0 src1_sel:DWORD
	s_mov_b64 s[4:5], 0
                                        ; implicit-def: $sgpr10
	s_and_saveexec_b64 s[8:9], s[6:7]
	s_xor_b64 s[6:7], exec, s[8:9]
	s_cbranch_execnz .LBB13_3749
; %bb.1701:
	s_or_saveexec_b64 s[6:7], s[6:7]
	v_mov_b32_e32 v6, s10
	s_xor_b64 exec, exec, s[6:7]
	s_cbranch_execnz .LBB13_3752
.LBB13_1702:
	s_or_b64 exec, exec, s[6:7]
	s_and_saveexec_b64 s[6:7], s[4:5]
	s_cbranch_execz .LBB13_1704
.LBB13_1703:
	v_and_b32_e32 v6, 7, v3
	v_ffbh_u32_e32 v11, v6
	v_min_u32_e32 v11, 32, v11
	v_lshrrev_b16_e32 v10, 3, v3
	v_subrev_u32_e32 v12, 28, v11
	v_and_b32_e32 v10, 15, v10
	v_lshlrev_b32_e32 v12, v12, v3
	v_sub_u32_e32 v11, 29, v11
	v_and_b32_e32 v12, 7, v12
	v_cmp_eq_u16_e32 vcc, 0, v10
	v_cndmask_b32_e32 v6, v6, v12, vcc
	v_cndmask_b32_e32 v10, v10, v11, vcc
	v_lshlrev_b32_e32 v11, 24, v3
	v_mov_b32_e32 v12, 0x3b800000
	v_lshlrev_b32_e32 v6, 20, v6
	v_and_b32_e32 v11, 0x80000000, v11
	v_lshl_add_u32 v10, v10, 23, v12
	v_or3_b32 v6, v11, v10, v6
.LBB13_1704:
	s_or_b64 exec, exec, s[6:7]
	s_nop 0
	v_mfma_f32_16x16x4f32 a[0:3], v2, v6, a[0:3]
	v_lshrrev_b32_e32 v6, 8, v7
	s_movk_i32 s4, 0x7f
	v_cmp_gt_i16_sdwa s[6:7], v6, s4 src0_sel:BYTE_0 src1_sel:DWORD
	s_mov_b64 s[4:5], 0
                                        ; implicit-def: $sgpr10
	s_and_saveexec_b64 s[8:9], s[6:7]
	s_xor_b64 s[6:7], exec, s[8:9]
	s_cbranch_execnz .LBB13_3753
; %bb.1705:
	s_or_saveexec_b64 s[6:7], s[6:7]
	v_mov_b32_e32 v2, s10
	s_xor_b64 exec, exec, s[6:7]
	s_cbranch_execnz .LBB13_3756
.LBB13_1706:
	s_or_b64 exec, exec, s[6:7]
	s_and_saveexec_b64 s[6:7], s[4:5]
	s_cbranch_execz .LBB13_1708
.LBB13_1707:
	v_bfe_u32 v2, v7, 8, 3
	v_ffbh_u32_e32 v11, v2
	v_min_u32_e32 v11, 32, v11
	v_lshrrev_b16_e32 v10, 3, v6
	v_subrev_u32_e32 v12, 28, v11
	v_and_b32_e32 v10, 15, v10
	v_lshlrev_b32_e32 v6, v12, v6
	v_sub_u32_e32 v11, 29, v11
	v_and_b32_e32 v6, 7, v6
	v_cmp_eq_u16_e32 vcc, 0, v10
	v_cndmask_b32_e32 v2, v2, v6, vcc
	v_cndmask_b32_e32 v6, v10, v11, vcc
	v_lshlrev_b32_e32 v10, 16, v7
	v_mov_b32_e32 v11, 0x3b800000
	v_lshlrev_b32_e32 v2, 20, v2
	v_and_b32_e32 v10, 0x80000000, v10
	v_lshl_add_u32 v6, v6, 23, v11
	v_or3_b32 v2, v10, v6, v2
.LBB13_1708:
	s_or_b64 exec, exec, s[6:7]
	v_lshrrev_b32_e32 v6, 8, v3
	s_movk_i32 s4, 0x7f
	v_cmp_gt_i16_sdwa s[6:7], v6, s4 src0_sel:BYTE_0 src1_sel:DWORD
	s_mov_b64 s[4:5], 0
                                        ; implicit-def: $sgpr10
	s_and_saveexec_b64 s[8:9], s[6:7]
	s_xor_b64 s[6:7], exec, s[8:9]
	s_cbranch_execnz .LBB13_3757
; %bb.1709:
	s_or_saveexec_b64 s[6:7], s[6:7]
	v_mov_b32_e32 v10, s10
	s_xor_b64 exec, exec, s[6:7]
	s_cbranch_execnz .LBB13_3760
.LBB13_1710:
	s_or_b64 exec, exec, s[6:7]
	s_and_saveexec_b64 s[6:7], s[4:5]
	s_cbranch_execz .LBB13_1712
.LBB13_1711:
	v_bfe_u32 v10, v3, 8, 3
	v_ffbh_u32_e32 v12, v10
	v_min_u32_e32 v12, 32, v12
	v_lshrrev_b16_e32 v11, 3, v6
	v_subrev_u32_e32 v13, 28, v12
	v_and_b32_e32 v11, 15, v11
	v_lshlrev_b32_e32 v6, v13, v6
	v_sub_u32_e32 v12, 29, v12
	v_and_b32_e32 v6, 7, v6
	v_cmp_eq_u16_e32 vcc, 0, v11
	v_cndmask_b32_e32 v6, v10, v6, vcc
	v_cndmask_b32_e32 v10, v11, v12, vcc
	v_lshlrev_b32_e32 v11, 16, v3
	v_mov_b32_e32 v12, 0x3b800000
	v_lshlrev_b32_e32 v6, 20, v6
	v_and_b32_e32 v11, 0x80000000, v11
	v_lshl_add_u32 v10, v10, 23, v12
	v_or3_b32 v10, v11, v10, v6
.LBB13_1712:
	s_or_b64 exec, exec, s[6:7]
	s_nop 0
	v_mfma_f32_16x16x4f32 a[0:3], v2, v10, a[0:3]
	s_movk_i32 s4, 0xff
	v_and_b32_sdwa v6, v7, s4 dst_sel:DWORD dst_unused:UNUSED_PAD src0_sel:WORD_1 src1_sel:DWORD
	s_movk_i32 s4, 0x7f
	v_cmp_lt_i16_e32 vcc, s4, v6
	s_mov_b64 s[4:5], 0
                                        ; implicit-def: $sgpr10
	s_and_saveexec_b64 s[6:7], vcc
	s_xor_b64 s[6:7], exec, s[6:7]
	s_cbranch_execnz .LBB13_3761
; %bb.1713:
	s_or_saveexec_b64 s[6:7], s[6:7]
	v_mov_b32_e32 v2, s10
	s_xor_b64 exec, exec, s[6:7]
	s_cbranch_execnz .LBB13_3764
.LBB13_1714:
	s_or_b64 exec, exec, s[6:7]
	s_and_saveexec_b64 s[6:7], s[4:5]
	s_cbranch_execz .LBB13_1716
.LBB13_1715:
	v_bfe_u32 v2, v7, 16, 3
	v_ffbh_u32_e32 v11, v2
	v_min_u32_e32 v11, 32, v11
	v_lshrrev_b32_e32 v6, 19, v7
	v_subrev_u32_e32 v12, 28, v11
	v_and_b32_e32 v6, 15, v6
	v_lshlrev_b32_sdwa v12, v12, v7 dst_sel:DWORD dst_unused:UNUSED_PAD src0_sel:DWORD src1_sel:WORD_1
	v_bfe_u32 v10, v7, 19, 4
	v_sub_u32_e32 v11, 29, v11
	v_and_b32_e32 v12, 7, v12
	v_cmp_eq_u16_e32 vcc, 0, v6
	v_cndmask_b32_e32 v2, v2, v12, vcc
	v_cndmask_b32_e32 v6, v10, v11, vcc
	v_lshlrev_b32_e32 v10, 8, v7
	v_mov_b32_e32 v11, 0x3b800000
	v_lshlrev_b32_e32 v2, 20, v2
	v_and_b32_e32 v10, 0x80000000, v10
	v_lshl_add_u32 v6, v6, 23, v11
	v_or3_b32 v2, v10, v6, v2
.LBB13_1716:
	s_or_b64 exec, exec, s[6:7]
	s_movk_i32 s4, 0xff
	v_and_b32_sdwa v6, v3, s4 dst_sel:DWORD dst_unused:UNUSED_PAD src0_sel:WORD_1 src1_sel:DWORD
	s_movk_i32 s4, 0x7f
	v_cmp_lt_i16_e32 vcc, s4, v6
	s_mov_b64 s[4:5], 0
                                        ; implicit-def: $sgpr10
	s_and_saveexec_b64 s[6:7], vcc
	s_xor_b64 s[6:7], exec, s[6:7]
	s_cbranch_execnz .LBB13_3765
; %bb.1717:
	s_or_saveexec_b64 s[6:7], s[6:7]
	v_mov_b32_e32 v10, s10
	s_xor_b64 exec, exec, s[6:7]
	s_cbranch_execnz .LBB13_3768
.LBB13_1718:
	s_or_b64 exec, exec, s[6:7]
	s_and_saveexec_b64 s[6:7], s[4:5]
	s_cbranch_execz .LBB13_1720
.LBB13_1719:
	v_bfe_u32 v6, v3, 16, 3
	v_ffbh_u32_e32 v12, v6
	v_min_u32_e32 v12, 32, v12
	v_lshrrev_b32_e32 v10, 19, v3
	v_subrev_u32_e32 v13, 28, v12
	v_and_b32_e32 v10, 15, v10
	v_lshlrev_b32_sdwa v13, v13, v3 dst_sel:DWORD dst_unused:UNUSED_PAD src0_sel:DWORD src1_sel:WORD_1
	v_bfe_u32 v11, v3, 19, 4
	v_sub_u32_e32 v12, 29, v12
	v_and_b32_e32 v13, 7, v13
	v_cmp_eq_u16_e32 vcc, 0, v10
	v_cndmask_b32_e32 v6, v6, v13, vcc
	v_cndmask_b32_e32 v10, v11, v12, vcc
	v_lshlrev_b32_e32 v11, 8, v3
	v_mov_b32_e32 v12, 0x3b800000
	v_lshlrev_b32_e32 v6, 20, v6
	v_and_b32_e32 v11, 0x80000000, v11
	v_lshl_add_u32 v10, v10, 23, v12
	v_or3_b32 v10, v11, v10, v6
.LBB13_1720:
	s_or_b64 exec, exec, s[6:7]
	s_nop 0
	v_mfma_f32_16x16x4f32 a[0:3], v2, v10, a[0:3]
	s_movk_i32 s4, 0x7f
	v_cmp_gt_i16_sdwa s[6:7], v7, s4 src0_sel:BYTE_3 src1_sel:DWORD
	s_mov_b64 s[4:5], 0
                                        ; implicit-def: $sgpr10
	s_and_saveexec_b64 s[8:9], s[6:7]
	s_xor_b64 s[6:7], exec, s[8:9]
	s_cbranch_execnz .LBB13_3769
; %bb.1721:
	s_or_saveexec_b64 s[6:7], s[6:7]
	v_mov_b32_e32 v2, s10
	s_xor_b64 exec, exec, s[6:7]
	s_cbranch_execnz .LBB13_3772
.LBB13_1722:
	s_or_b64 exec, exec, s[6:7]
	s_and_saveexec_b64 s[6:7], s[4:5]
	s_cbranch_execz .LBB13_1724
.LBB13_1723:
	v_bfe_u32 v2, v7, 24, 3
	v_ffbh_u32_e32 v12, v2
	v_min_u32_e32 v12, 32, v12
	v_lshrrev_b32_e32 v10, 27, v7
	v_subrev_u32_e32 v13, 28, v12
	v_and_b32_e32 v6, 0x80000000, v7
	v_and_b32_e32 v10, 15, v10
	v_bfe_u32 v11, v7, 27, 4
	v_lshlrev_b32_sdwa v7, v13, v7 dst_sel:DWORD dst_unused:UNUSED_PAD src0_sel:DWORD src1_sel:BYTE_3
	v_sub_u32_e32 v12, 29, v12
	v_and_b32_e32 v7, 7, v7
	v_cmp_eq_u16_e32 vcc, 0, v10
	v_cndmask_b32_e32 v2, v2, v7, vcc
	v_cndmask_b32_e32 v7, v11, v12, vcc
	v_mov_b32_e32 v10, 0x3b800000
	v_lshlrev_b32_e32 v2, 20, v2
	v_lshl_add_u32 v7, v7, 23, v10
	v_or3_b32 v2, v6, v7, v2
.LBB13_1724:
	s_or_b64 exec, exec, s[6:7]
	s_movk_i32 s4, 0x7f
	v_cmp_gt_i16_sdwa s[6:7], v3, s4 src0_sel:BYTE_3 src1_sel:DWORD
	s_mov_b64 s[4:5], 0
                                        ; implicit-def: $sgpr10
	s_and_saveexec_b64 s[8:9], s[6:7]
	s_xor_b64 s[6:7], exec, s[8:9]
	s_cbranch_execnz .LBB13_3773
; %bb.1725:
	s_or_saveexec_b64 s[6:7], s[6:7]
	v_mov_b32_e32 v6, s10
	s_xor_b64 exec, exec, s[6:7]
	s_cbranch_execnz .LBB13_3776
.LBB13_1726:
	s_or_b64 exec, exec, s[6:7]
	s_and_saveexec_b64 s[6:7], s[4:5]
	s_cbranch_execz .LBB13_1728
.LBB13_1727:
	v_bfe_u32 v6, v3, 24, 3
	v_ffbh_u32_e32 v12, v6
	v_min_u32_e32 v12, 32, v12
	v_lshrrev_b32_e32 v10, 27, v3
	v_subrev_u32_e32 v13, 28, v12
	v_and_b32_e32 v7, 0x80000000, v3
	v_and_b32_e32 v10, 15, v10
	v_bfe_u32 v11, v3, 27, 4
	v_lshlrev_b32_sdwa v3, v13, v3 dst_sel:DWORD dst_unused:UNUSED_PAD src0_sel:DWORD src1_sel:BYTE_3
	v_sub_u32_e32 v12, 29, v12
	v_and_b32_e32 v3, 7, v3
	v_cmp_eq_u16_e32 vcc, 0, v10
	v_cndmask_b32_e32 v3, v6, v3, vcc
	v_cndmask_b32_e32 v6, v11, v12, vcc
	v_mov_b32_e32 v10, 0x3b800000
	v_lshlrev_b32_e32 v3, 20, v3
	v_lshl_add_u32 v6, v6, 23, v10
	v_or3_b32 v6, v7, v6, v3
.LBB13_1728:
	s_or_b64 exec, exec, s[6:7]
	s_nop 0
	v_mfma_f32_16x16x4f32 a[0:3], v2, v6, a[0:3]
	s_movk_i32 s4, 0x7f
	v_cmp_gt_i16_sdwa s[6:7], v8, s4 src0_sel:BYTE_0 src1_sel:DWORD
	s_mov_b64 s[4:5], 0
                                        ; implicit-def: $sgpr10
	s_and_saveexec_b64 s[8:9], s[6:7]
	s_xor_b64 s[6:7], exec, s[8:9]
	s_cbranch_execnz .LBB13_3777
; %bb.1729:
	s_or_saveexec_b64 s[6:7], s[6:7]
	v_mov_b32_e32 v2, s10
	s_xor_b64 exec, exec, s[6:7]
	s_cbranch_execnz .LBB13_3780
.LBB13_1730:
	s_or_b64 exec, exec, s[6:7]
	s_and_saveexec_b64 s[6:7], s[4:5]
	s_cbranch_execz .LBB13_1732
.LBB13_1731:
	v_and_b32_e32 v2, 7, v8
	v_ffbh_u32_e32 v6, v2
	v_min_u32_e32 v6, 32, v6
	v_lshrrev_b16_e32 v3, 3, v8
	v_subrev_u32_e32 v7, 28, v6
	v_and_b32_e32 v3, 15, v3
	v_lshlrev_b32_e32 v7, v7, v8
	v_sub_u32_e32 v6, 29, v6
	v_and_b32_e32 v7, 7, v7
	v_cmp_eq_u16_e32 vcc, 0, v3
	v_cndmask_b32_e32 v2, v2, v7, vcc
	v_cndmask_b32_e32 v3, v3, v6, vcc
	v_lshlrev_b32_e32 v6, 24, v8
	v_mov_b32_e32 v7, 0x3b800000
	v_lshlrev_b32_e32 v2, 20, v2
	v_and_b32_e32 v6, 0x80000000, v6
	v_lshl_add_u32 v3, v3, 23, v7
	v_or3_b32 v2, v6, v3, v2
.LBB13_1732:
	s_or_b64 exec, exec, s[6:7]
	s_movk_i32 s4, 0x7f
	v_cmp_gt_i16_sdwa s[6:7], v4, s4 src0_sel:BYTE_0 src1_sel:DWORD
	s_mov_b64 s[4:5], 0
                                        ; implicit-def: $sgpr10
	s_and_saveexec_b64 s[8:9], s[6:7]
	s_xor_b64 s[6:7], exec, s[8:9]
	s_cbranch_execnz .LBB13_3781
; %bb.1733:
	s_or_saveexec_b64 s[6:7], s[6:7]
	v_mov_b32_e32 v3, s10
	s_xor_b64 exec, exec, s[6:7]
	s_cbranch_execnz .LBB13_3784
.LBB13_1734:
	s_or_b64 exec, exec, s[6:7]
	s_and_saveexec_b64 s[6:7], s[4:5]
	s_cbranch_execz .LBB13_1736
.LBB13_1735:
	v_and_b32_e32 v3, 7, v4
	v_ffbh_u32_e32 v7, v3
	v_min_u32_e32 v7, 32, v7
	v_lshrrev_b16_e32 v6, 3, v4
	v_subrev_u32_e32 v10, 28, v7
	v_and_b32_e32 v6, 15, v6
	v_lshlrev_b32_e32 v10, v10, v4
	v_sub_u32_e32 v7, 29, v7
	v_and_b32_e32 v10, 7, v10
	v_cmp_eq_u16_e32 vcc, 0, v6
	v_cndmask_b32_e32 v3, v3, v10, vcc
	v_cndmask_b32_e32 v6, v6, v7, vcc
	v_lshlrev_b32_e32 v7, 24, v4
	v_mov_b32_e32 v10, 0x3b800000
	v_lshlrev_b32_e32 v3, 20, v3
	v_and_b32_e32 v7, 0x80000000, v7
	v_lshl_add_u32 v6, v6, 23, v10
	v_or3_b32 v3, v7, v6, v3
.LBB13_1736:
	s_or_b64 exec, exec, s[6:7]
	s_nop 0
	v_mfma_f32_16x16x4f32 a[0:3], v2, v3, a[0:3]
	v_lshrrev_b32_e32 v3, 8, v8
	s_movk_i32 s4, 0x7f
	v_cmp_gt_i16_sdwa s[6:7], v3, s4 src0_sel:BYTE_0 src1_sel:DWORD
	s_mov_b64 s[4:5], 0
                                        ; implicit-def: $sgpr10
	s_and_saveexec_b64 s[8:9], s[6:7]
	s_xor_b64 s[6:7], exec, s[8:9]
	s_cbranch_execnz .LBB13_3785
; %bb.1737:
	s_or_saveexec_b64 s[6:7], s[6:7]
	v_mov_b32_e32 v2, s10
	s_xor_b64 exec, exec, s[6:7]
	s_cbranch_execnz .LBB13_3788
.LBB13_1738:
	s_or_b64 exec, exec, s[6:7]
	s_and_saveexec_b64 s[6:7], s[4:5]
	s_cbranch_execz .LBB13_1740
.LBB13_1739:
	v_bfe_u32 v2, v8, 8, 3
	v_ffbh_u32_e32 v7, v2
	v_min_u32_e32 v7, 32, v7
	v_lshrrev_b16_e32 v6, 3, v3
	v_subrev_u32_e32 v10, 28, v7
	v_and_b32_e32 v6, 15, v6
	v_lshlrev_b32_e32 v3, v10, v3
	v_sub_u32_e32 v7, 29, v7
	v_and_b32_e32 v3, 7, v3
	v_cmp_eq_u16_e32 vcc, 0, v6
	v_cndmask_b32_e32 v2, v2, v3, vcc
	v_cndmask_b32_e32 v3, v6, v7, vcc
	v_lshlrev_b32_e32 v6, 16, v8
	v_mov_b32_e32 v7, 0x3b800000
	v_lshlrev_b32_e32 v2, 20, v2
	v_and_b32_e32 v6, 0x80000000, v6
	v_lshl_add_u32 v3, v3, 23, v7
	v_or3_b32 v2, v6, v3, v2
.LBB13_1740:
	s_or_b64 exec, exec, s[6:7]
	v_lshrrev_b32_e32 v3, 8, v4
	s_movk_i32 s4, 0x7f
	v_cmp_gt_i16_sdwa s[6:7], v3, s4 src0_sel:BYTE_0 src1_sel:DWORD
	s_mov_b64 s[4:5], 0
                                        ; implicit-def: $sgpr10
	s_and_saveexec_b64 s[8:9], s[6:7]
	s_xor_b64 s[6:7], exec, s[8:9]
	s_cbranch_execnz .LBB13_3789
; %bb.1741:
	s_or_saveexec_b64 s[6:7], s[6:7]
	v_mov_b32_e32 v6, s10
	s_xor_b64 exec, exec, s[6:7]
	s_cbranch_execnz .LBB13_3792
.LBB13_1742:
	s_or_b64 exec, exec, s[6:7]
	s_and_saveexec_b64 s[6:7], s[4:5]
	s_cbranch_execz .LBB13_1744
.LBB13_1743:
	v_bfe_u32 v6, v4, 8, 3
	v_ffbh_u32_e32 v10, v6
	v_min_u32_e32 v10, 32, v10
	v_lshrrev_b16_e32 v7, 3, v3
	v_subrev_u32_e32 v11, 28, v10
	v_and_b32_e32 v7, 15, v7
	v_lshlrev_b32_e32 v3, v11, v3
	v_sub_u32_e32 v10, 29, v10
	v_and_b32_e32 v3, 7, v3
	v_cmp_eq_u16_e32 vcc, 0, v7
	v_cndmask_b32_e32 v3, v6, v3, vcc
	v_cndmask_b32_e32 v6, v7, v10, vcc
	v_lshlrev_b32_e32 v7, 16, v4
	v_mov_b32_e32 v10, 0x3b800000
	v_lshlrev_b32_e32 v3, 20, v3
	v_and_b32_e32 v7, 0x80000000, v7
	v_lshl_add_u32 v6, v6, 23, v10
	v_or3_b32 v6, v7, v6, v3
.LBB13_1744:
	s_or_b64 exec, exec, s[6:7]
	s_nop 0
	v_mfma_f32_16x16x4f32 a[0:3], v2, v6, a[0:3]
	s_movk_i32 s4, 0xff
	v_and_b32_sdwa v3, v8, s4 dst_sel:DWORD dst_unused:UNUSED_PAD src0_sel:WORD_1 src1_sel:DWORD
	s_movk_i32 s4, 0x7f
	v_cmp_lt_i16_e32 vcc, s4, v3
	s_mov_b64 s[4:5], 0
                                        ; implicit-def: $sgpr10
	s_and_saveexec_b64 s[6:7], vcc
	s_xor_b64 s[6:7], exec, s[6:7]
	s_cbranch_execnz .LBB13_3793
; %bb.1745:
	s_or_saveexec_b64 s[6:7], s[6:7]
	v_mov_b32_e32 v2, s10
	s_xor_b64 exec, exec, s[6:7]
	s_cbranch_execnz .LBB13_3796
.LBB13_1746:
	s_or_b64 exec, exec, s[6:7]
	s_and_saveexec_b64 s[6:7], s[4:5]
	s_cbranch_execz .LBB13_1748
.LBB13_1747:
	v_bfe_u32 v2, v8, 16, 3
	v_ffbh_u32_e32 v7, v2
	v_min_u32_e32 v7, 32, v7
	v_lshrrev_b32_e32 v3, 19, v8
	v_subrev_u32_e32 v10, 28, v7
	v_and_b32_e32 v3, 15, v3
	v_lshlrev_b32_sdwa v10, v10, v8 dst_sel:DWORD dst_unused:UNUSED_PAD src0_sel:DWORD src1_sel:WORD_1
	v_bfe_u32 v6, v8, 19, 4
	v_sub_u32_e32 v7, 29, v7
	v_and_b32_e32 v10, 7, v10
	v_cmp_eq_u16_e32 vcc, 0, v3
	v_cndmask_b32_e32 v2, v2, v10, vcc
	v_cndmask_b32_e32 v3, v6, v7, vcc
	v_lshlrev_b32_e32 v6, 8, v8
	v_mov_b32_e32 v7, 0x3b800000
	v_lshlrev_b32_e32 v2, 20, v2
	v_and_b32_e32 v6, 0x80000000, v6
	v_lshl_add_u32 v3, v3, 23, v7
	v_or3_b32 v2, v6, v3, v2
.LBB13_1748:
	s_or_b64 exec, exec, s[6:7]
	s_movk_i32 s4, 0xff
	v_and_b32_sdwa v3, v4, s4 dst_sel:DWORD dst_unused:UNUSED_PAD src0_sel:WORD_1 src1_sel:DWORD
	s_movk_i32 s4, 0x7f
	v_cmp_lt_i16_e32 vcc, s4, v3
	s_mov_b64 s[4:5], 0
                                        ; implicit-def: $sgpr10
	s_and_saveexec_b64 s[6:7], vcc
	s_xor_b64 s[6:7], exec, s[6:7]
	s_cbranch_execnz .LBB13_3797
; %bb.1749:
	s_or_saveexec_b64 s[6:7], s[6:7]
	v_mov_b32_e32 v6, s10
	s_xor_b64 exec, exec, s[6:7]
	s_cbranch_execnz .LBB13_3800
.LBB13_1750:
	s_or_b64 exec, exec, s[6:7]
	s_and_saveexec_b64 s[6:7], s[4:5]
	s_cbranch_execz .LBB13_1752
.LBB13_1751:
	v_bfe_u32 v3, v4, 16, 3
	v_ffbh_u32_e32 v10, v3
	v_min_u32_e32 v10, 32, v10
	v_lshrrev_b32_e32 v6, 19, v4
	v_subrev_u32_e32 v11, 28, v10
	v_and_b32_e32 v6, 15, v6
	v_lshlrev_b32_sdwa v11, v11, v4 dst_sel:DWORD dst_unused:UNUSED_PAD src0_sel:DWORD src1_sel:WORD_1
	v_bfe_u32 v7, v4, 19, 4
	v_sub_u32_e32 v10, 29, v10
	v_and_b32_e32 v11, 7, v11
	v_cmp_eq_u16_e32 vcc, 0, v6
	v_cndmask_b32_e32 v3, v3, v11, vcc
	v_cndmask_b32_e32 v6, v7, v10, vcc
	v_lshlrev_b32_e32 v7, 8, v4
	v_mov_b32_e32 v10, 0x3b800000
	v_lshlrev_b32_e32 v3, 20, v3
	v_and_b32_e32 v7, 0x80000000, v7
	v_lshl_add_u32 v6, v6, 23, v10
	v_or3_b32 v6, v7, v6, v3
.LBB13_1752:
	s_or_b64 exec, exec, s[6:7]
	s_nop 0
	v_mfma_f32_16x16x4f32 a[0:3], v2, v6, a[0:3]
	s_movk_i32 s4, 0x7f
	v_cmp_gt_i16_sdwa s[6:7], v8, s4 src0_sel:BYTE_3 src1_sel:DWORD
	s_mov_b64 s[4:5], 0
                                        ; implicit-def: $sgpr10
	s_and_saveexec_b64 s[8:9], s[6:7]
	s_xor_b64 s[6:7], exec, s[8:9]
	s_cbranch_execnz .LBB13_3801
; %bb.1753:
	s_or_saveexec_b64 s[6:7], s[6:7]
	v_mov_b32_e32 v2, s10
	s_xor_b64 exec, exec, s[6:7]
	s_cbranch_execnz .LBB13_3804
.LBB13_1754:
	s_or_b64 exec, exec, s[6:7]
	s_and_saveexec_b64 s[6:7], s[4:5]
	s_cbranch_execz .LBB13_1756
.LBB13_1755:
	v_bfe_u32 v2, v8, 24, 3
	v_ffbh_u32_e32 v10, v2
	v_min_u32_e32 v10, 32, v10
	v_lshrrev_b32_e32 v6, 27, v8
	v_subrev_u32_e32 v11, 28, v10
	v_and_b32_e32 v3, 0x80000000, v8
	v_and_b32_e32 v6, 15, v6
	v_bfe_u32 v7, v8, 27, 4
	v_lshlrev_b32_sdwa v8, v11, v8 dst_sel:DWORD dst_unused:UNUSED_PAD src0_sel:DWORD src1_sel:BYTE_3
	v_sub_u32_e32 v10, 29, v10
	v_and_b32_e32 v8, 7, v8
	v_cmp_eq_u16_e32 vcc, 0, v6
	v_cndmask_b32_e32 v2, v2, v8, vcc
	v_cndmask_b32_e32 v6, v7, v10, vcc
	v_mov_b32_e32 v7, 0x3b800000
	v_lshlrev_b32_e32 v2, 20, v2
	v_lshl_add_u32 v6, v6, 23, v7
	v_or3_b32 v2, v3, v6, v2
.LBB13_1756:
	s_or_b64 exec, exec, s[6:7]
	s_movk_i32 s4, 0x7f
	v_cmp_gt_i16_sdwa s[6:7], v4, s4 src0_sel:BYTE_3 src1_sel:DWORD
	s_mov_b64 s[4:5], 0
                                        ; implicit-def: $sgpr10
	s_and_saveexec_b64 s[8:9], s[6:7]
	s_xor_b64 s[6:7], exec, s[8:9]
	s_cbranch_execnz .LBB13_3805
; %bb.1757:
	s_or_saveexec_b64 s[6:7], s[6:7]
	v_mov_b32_e32 v3, s10
	s_xor_b64 exec, exec, s[6:7]
	s_cbranch_execnz .LBB13_3808
.LBB13_1758:
	s_or_b64 exec, exec, s[6:7]
	s_and_saveexec_b64 s[6:7], s[4:5]
	s_cbranch_execz .LBB13_1760
.LBB13_1759:
	v_bfe_u32 v3, v4, 24, 3
	v_ffbh_u32_e32 v10, v3
	v_min_u32_e32 v10, 32, v10
	v_lshrrev_b32_e32 v7, 27, v4
	v_subrev_u32_e32 v11, 28, v10
	v_and_b32_e32 v6, 0x80000000, v4
	v_and_b32_e32 v7, 15, v7
	v_bfe_u32 v8, v4, 27, 4
	v_lshlrev_b32_sdwa v4, v11, v4 dst_sel:DWORD dst_unused:UNUSED_PAD src0_sel:DWORD src1_sel:BYTE_3
	v_sub_u32_e32 v10, 29, v10
	v_and_b32_e32 v4, 7, v4
	v_cmp_eq_u16_e32 vcc, 0, v7
	v_cndmask_b32_e32 v3, v3, v4, vcc
	v_cndmask_b32_e32 v4, v8, v10, vcc
	v_mov_b32_e32 v7, 0x3b800000
	v_lshlrev_b32_e32 v3, 20, v3
	v_lshl_add_u32 v4, v4, 23, v7
	v_or3_b32 v3, v6, v4, v3
.LBB13_1760:
	s_or_b64 exec, exec, s[6:7]
	s_nop 0
	v_mfma_f32_16x16x4f32 a[0:3], v2, v3, a[0:3]
	s_movk_i32 s4, 0x7f
	v_cmp_gt_i16_sdwa s[6:7], v9, s4 src0_sel:BYTE_0 src1_sel:DWORD
	s_mov_b64 s[4:5], 0
                                        ; implicit-def: $sgpr10
	s_and_saveexec_b64 s[8:9], s[6:7]
	s_xor_b64 s[6:7], exec, s[8:9]
	s_cbranch_execnz .LBB13_3809
; %bb.1761:
	s_or_saveexec_b64 s[6:7], s[6:7]
	v_mov_b32_e32 v2, s10
	s_xor_b64 exec, exec, s[6:7]
	s_cbranch_execnz .LBB13_3812
.LBB13_1762:
	s_or_b64 exec, exec, s[6:7]
	s_and_saveexec_b64 s[6:7], s[4:5]
	s_cbranch_execz .LBB13_1764
.LBB13_1763:
	v_mov_b32_e32 v2, 8
	v_and_b32_e32 v3, 7, v9
	v_lshrrev_b32_sdwa v2, v2, v9 dst_sel:BYTE_1 dst_unused:UNUSED_PAD src0_sel:DWORD src1_sel:DWORD
	v_ffbh_u32_e32 v4, v3
	v_or_b32_sdwa v2, v9, v2 dst_sel:DWORD dst_unused:UNUSED_PAD src0_sel:BYTE_0 src1_sel:DWORD
	v_min_u32_e32 v4, 32, v4
	v_lshrrev_b16_e32 v2, 3, v2
	v_subrev_u32_e32 v6, 28, v4
	v_and_b32_e32 v2, 15, v2
	v_lshlrev_b32_e32 v6, v6, v9
	v_sub_u32_e32 v4, 29, v4
	v_and_b32_e32 v6, 7, v6
	v_cmp_eq_u16_e32 vcc, 0, v2
	v_cndmask_b32_e32 v3, v3, v6, vcc
	v_cndmask_b32_e32 v2, v2, v4, vcc
	v_lshlrev_b32_e32 v4, 24, v9
	v_mov_b32_e32 v6, 0x3b800000
	v_lshlrev_b32_e32 v3, 20, v3
	v_and_b32_e32 v4, 0x80000000, v4
	v_lshl_add_u32 v2, v2, 23, v6
	v_or3_b32 v2, v4, v2, v3
.LBB13_1764:
	s_or_b64 exec, exec, s[6:7]
	s_movk_i32 s4, 0x7f
	v_cmp_gt_i16_sdwa s[6:7], v5, s4 src0_sel:BYTE_0 src1_sel:DWORD
	s_mov_b64 s[4:5], 0
                                        ; implicit-def: $sgpr10
	s_and_saveexec_b64 s[8:9], s[6:7]
	s_xor_b64 s[6:7], exec, s[8:9]
	s_cbranch_execnz .LBB13_3813
; %bb.1765:
	s_or_saveexec_b64 s[6:7], s[6:7]
	v_mov_b32_e32 v3, s10
	s_xor_b64 exec, exec, s[6:7]
	s_cbranch_execnz .LBB13_3816
.LBB13_1766:
	s_or_b64 exec, exec, s[6:7]
	s_and_saveexec_b64 s[6:7], s[4:5]
	s_cbranch_execz .LBB13_1768
.LBB13_1767:
	v_mov_b32_e32 v3, 8
	v_and_b32_e32 v4, 7, v5
	v_lshrrev_b32_sdwa v3, v3, v5 dst_sel:BYTE_1 dst_unused:UNUSED_PAD src0_sel:DWORD src1_sel:DWORD
	v_ffbh_u32_e32 v6, v4
	v_or_b32_sdwa v3, v5, v3 dst_sel:DWORD dst_unused:UNUSED_PAD src0_sel:BYTE_0 src1_sel:DWORD
	v_min_u32_e32 v6, 32, v6
	v_lshrrev_b16_e32 v3, 3, v3
	v_subrev_u32_e32 v7, 28, v6
	v_and_b32_e32 v3, 15, v3
	v_lshlrev_b32_e32 v7, v7, v5
	v_sub_u32_e32 v6, 29, v6
	v_and_b32_e32 v7, 7, v7
	v_cmp_eq_u16_e32 vcc, 0, v3
	v_cndmask_b32_e32 v4, v4, v7, vcc
	v_cndmask_b32_e32 v3, v3, v6, vcc
	v_lshlrev_b32_e32 v6, 24, v5
	v_mov_b32_e32 v7, 0x3b800000
	v_lshlrev_b32_e32 v4, 20, v4
	v_and_b32_e32 v6, 0x80000000, v6
	v_lshl_add_u32 v3, v3, 23, v7
	v_or3_b32 v3, v6, v3, v4
.LBB13_1768:
	s_or_b64 exec, exec, s[6:7]
	s_nop 0
	v_mfma_f32_16x16x4f32 a[0:3], v2, v3, a[0:3]
	v_lshrrev_b32_e32 v3, 8, v9
	s_movk_i32 s4, 0x7f
	v_cmp_gt_i16_sdwa s[6:7], v3, s4 src0_sel:BYTE_0 src1_sel:DWORD
	s_mov_b64 s[4:5], 0
                                        ; implicit-def: $sgpr10
	s_and_saveexec_b64 s[8:9], s[6:7]
	s_xor_b64 s[6:7], exec, s[8:9]
	s_cbranch_execnz .LBB13_3817
; %bb.1769:
	s_or_saveexec_b64 s[6:7], s[6:7]
	v_mov_b32_e32 v2, s10
	s_xor_b64 exec, exec, s[6:7]
	s_cbranch_execnz .LBB13_3820
.LBB13_1770:
	s_or_b64 exec, exec, s[6:7]
	s_and_saveexec_b64 s[6:7], s[4:5]
	s_cbranch_execz .LBB13_1772
.LBB13_1771:
	v_bfe_u32 v2, v9, 8, 3
	v_ffbh_u32_e32 v6, v2
	v_min_u32_e32 v6, 32, v6
	v_lshrrev_b16_e32 v4, 3, v3
	v_subrev_u32_e32 v7, 28, v6
	v_and_b32_e32 v4, 15, v4
	v_lshlrev_b32_e32 v3, v7, v3
	v_sub_u32_e32 v6, 29, v6
	v_and_b32_e32 v3, 7, v3
	v_cmp_eq_u16_e32 vcc, 0, v4
	v_cndmask_b32_e32 v2, v2, v3, vcc
	v_cndmask_b32_e32 v3, v4, v6, vcc
	v_lshlrev_b32_e32 v4, 16, v9
	v_mov_b32_e32 v6, 0x3b800000
	v_lshlrev_b32_e32 v2, 20, v2
	v_and_b32_e32 v4, 0x80000000, v4
	v_lshl_add_u32 v3, v3, 23, v6
	v_or3_b32 v2, v4, v3, v2
.LBB13_1772:
	s_or_b64 exec, exec, s[6:7]
	v_lshrrev_b32_e32 v3, 8, v5
	s_movk_i32 s4, 0x7f
	v_cmp_gt_i16_sdwa s[6:7], v3, s4 src0_sel:BYTE_0 src1_sel:DWORD
	s_mov_b64 s[4:5], 0
                                        ; implicit-def: $sgpr10
	s_and_saveexec_b64 s[8:9], s[6:7]
	s_xor_b64 s[6:7], exec, s[8:9]
	s_cbranch_execnz .LBB13_3821
; %bb.1773:
	s_or_saveexec_b64 s[6:7], s[6:7]
	v_mov_b32_e32 v4, s10
	s_xor_b64 exec, exec, s[6:7]
	s_cbranch_execnz .LBB13_3824
.LBB13_1774:
	s_or_b64 exec, exec, s[6:7]
	s_and_saveexec_b64 s[6:7], s[4:5]
	s_cbranch_execz .LBB13_1776
.LBB13_1775:
	v_bfe_u32 v4, v5, 8, 3
	v_ffbh_u32_e32 v7, v4
	v_min_u32_e32 v7, 32, v7
	v_lshrrev_b16_e32 v6, 3, v3
	v_subrev_u32_e32 v8, 28, v7
	v_and_b32_e32 v6, 15, v6
	v_lshlrev_b32_e32 v3, v8, v3
	v_sub_u32_e32 v7, 29, v7
	v_and_b32_e32 v3, 7, v3
	v_cmp_eq_u16_e32 vcc, 0, v6
	v_cndmask_b32_e32 v3, v4, v3, vcc
	v_cndmask_b32_e32 v4, v6, v7, vcc
	v_lshlrev_b32_e32 v6, 16, v5
	v_mov_b32_e32 v7, 0x3b800000
	v_lshlrev_b32_e32 v3, 20, v3
	v_and_b32_e32 v6, 0x80000000, v6
	v_lshl_add_u32 v4, v4, 23, v7
	v_or3_b32 v4, v6, v4, v3
.LBB13_1776:
	s_or_b64 exec, exec, s[6:7]
	s_nop 0
	v_mfma_f32_16x16x4f32 a[0:3], v2, v4, a[0:3]
	s_movk_i32 s4, 0xff
	v_and_b32_sdwa v3, v9, s4 dst_sel:DWORD dst_unused:UNUSED_PAD src0_sel:WORD_1 src1_sel:DWORD
	s_movk_i32 s4, 0x7f
	v_cmp_lt_i16_e32 vcc, s4, v3
	s_mov_b64 s[4:5], 0
                                        ; implicit-def: $sgpr10
	s_and_saveexec_b64 s[6:7], vcc
	s_xor_b64 s[6:7], exec, s[6:7]
	s_cbranch_execnz .LBB13_3825
; %bb.1777:
	s_or_saveexec_b64 s[6:7], s[6:7]
	v_mov_b32_e32 v2, s10
	s_xor_b64 exec, exec, s[6:7]
	s_cbranch_execnz .LBB13_3828
.LBB13_1778:
	s_or_b64 exec, exec, s[6:7]
	s_and_saveexec_b64 s[6:7], s[4:5]
	s_cbranch_execz .LBB13_1780
.LBB13_1779:
	v_bfe_u32 v2, v9, 16, 3
	v_ffbh_u32_e32 v6, v2
	v_min_u32_e32 v6, 32, v6
	v_lshrrev_b32_e32 v3, 19, v9
	v_subrev_u32_e32 v7, 28, v6
	v_and_b32_e32 v3, 15, v3
	v_lshlrev_b32_sdwa v7, v7, v9 dst_sel:DWORD dst_unused:UNUSED_PAD src0_sel:DWORD src1_sel:WORD_1
	v_bfe_u32 v4, v9, 19, 4
	v_sub_u32_e32 v6, 29, v6
	v_and_b32_e32 v7, 7, v7
	v_cmp_eq_u16_e32 vcc, 0, v3
	v_cndmask_b32_e32 v2, v2, v7, vcc
	v_cndmask_b32_e32 v3, v4, v6, vcc
	v_lshlrev_b32_e32 v4, 8, v9
	v_mov_b32_e32 v6, 0x3b800000
	v_lshlrev_b32_e32 v2, 20, v2
	v_and_b32_e32 v4, 0x80000000, v4
	v_lshl_add_u32 v3, v3, 23, v6
	v_or3_b32 v2, v4, v3, v2
.LBB13_1780:
	s_or_b64 exec, exec, s[6:7]
	s_movk_i32 s4, 0xff
	v_and_b32_sdwa v3, v5, s4 dst_sel:DWORD dst_unused:UNUSED_PAD src0_sel:WORD_1 src1_sel:DWORD
	s_movk_i32 s4, 0x7f
	v_cmp_lt_i16_e32 vcc, s4, v3
	s_mov_b64 s[4:5], 0
                                        ; implicit-def: $sgpr10
	s_and_saveexec_b64 s[6:7], vcc
	s_xor_b64 s[6:7], exec, s[6:7]
	s_cbranch_execnz .LBB13_3829
; %bb.1781:
	s_or_saveexec_b64 s[6:7], s[6:7]
	v_mov_b32_e32 v4, s10
	s_xor_b64 exec, exec, s[6:7]
	s_cbranch_execnz .LBB13_3832
.LBB13_1782:
	s_or_b64 exec, exec, s[6:7]
	s_and_saveexec_b64 s[6:7], s[4:5]
	s_cbranch_execz .LBB13_1784
.LBB13_1783:
	v_bfe_u32 v3, v5, 16, 3
	v_ffbh_u32_e32 v7, v3
	v_min_u32_e32 v7, 32, v7
	v_lshrrev_b32_e32 v4, 19, v5
	v_subrev_u32_e32 v8, 28, v7
	v_and_b32_e32 v4, 15, v4
	v_lshlrev_b32_sdwa v8, v8, v5 dst_sel:DWORD dst_unused:UNUSED_PAD src0_sel:DWORD src1_sel:WORD_1
	v_bfe_u32 v6, v5, 19, 4
	v_sub_u32_e32 v7, 29, v7
	v_and_b32_e32 v8, 7, v8
	v_cmp_eq_u16_e32 vcc, 0, v4
	v_cndmask_b32_e32 v3, v3, v8, vcc
	v_cndmask_b32_e32 v4, v6, v7, vcc
	v_lshlrev_b32_e32 v6, 8, v5
	v_mov_b32_e32 v7, 0x3b800000
	v_lshlrev_b32_e32 v3, 20, v3
	v_and_b32_e32 v6, 0x80000000, v6
	v_lshl_add_u32 v4, v4, 23, v7
	v_or3_b32 v4, v6, v4, v3
.LBB13_1784:
	s_or_b64 exec, exec, s[6:7]
	s_nop 0
	v_mfma_f32_16x16x4f32 a[0:3], v2, v4, a[0:3]
	s_movk_i32 s4, 0x7f
	v_cmp_gt_i16_sdwa s[6:7], v9, s4 src0_sel:BYTE_3 src1_sel:DWORD
	s_mov_b64 s[4:5], 0
                                        ; implicit-def: $sgpr10
	s_and_saveexec_b64 s[8:9], s[6:7]
	s_xor_b64 s[6:7], exec, s[8:9]
	s_cbranch_execnz .LBB13_3833
; %bb.1785:
	s_or_saveexec_b64 s[6:7], s[6:7]
	v_mov_b32_e32 v2, s10
	s_xor_b64 exec, exec, s[6:7]
	s_cbranch_execnz .LBB13_3836
.LBB13_1786:
	s_or_b64 exec, exec, s[6:7]
	s_and_saveexec_b64 s[6:7], s[4:5]
	s_cbranch_execz .LBB13_1788
.LBB13_1787:
	v_bfe_u32 v2, v9, 24, 3
	v_ffbh_u32_e32 v7, v2
	v_min_u32_e32 v7, 32, v7
	v_lshrrev_b32_e32 v4, 27, v9
	v_subrev_u32_e32 v8, 28, v7
	v_and_b32_e32 v4, 15, v4
	v_lshlrev_b32_sdwa v8, v8, v9 dst_sel:DWORD dst_unused:UNUSED_PAD src0_sel:DWORD src1_sel:BYTE_3
	v_bfe_u32 v6, v9, 27, 4
	v_sub_u32_e32 v7, 29, v7
	v_and_b32_e32 v8, 7, v8
	v_cmp_eq_u16_e32 vcc, 0, v4
	v_cndmask_b32_e32 v2, v2, v8, vcc
	v_cndmask_b32_e32 v4, v6, v7, vcc
	v_mov_b32_e32 v6, 0x3b800000
	v_and_b32_e32 v3, 0x80000000, v9
	v_lshlrev_b32_e32 v2, 20, v2
	v_lshl_add_u32 v4, v4, 23, v6
	v_or3_b32 v2, v3, v4, v2
.LBB13_1788:
	s_or_b64 exec, exec, s[6:7]
	s_movk_i32 s4, 0x7f
	v_cmp_gt_i16_sdwa s[6:7], v5, s4 src0_sel:BYTE_3 src1_sel:DWORD
	s_mov_b64 s[4:5], 0
                                        ; implicit-def: $sgpr10
	s_and_saveexec_b64 s[8:9], s[6:7]
	s_xor_b64 s[6:7], exec, s[8:9]
	s_cbranch_execnz .LBB13_3837
; %bb.1789:
	s_or_saveexec_b64 s[6:7], s[6:7]
	v_mov_b32_e32 v3, s10
	s_xor_b64 exec, exec, s[6:7]
	s_cbranch_execnz .LBB13_3840
.LBB13_1790:
	s_or_b64 exec, exec, s[6:7]
	s_and_saveexec_b64 s[6:7], s[4:5]
	s_cbranch_execz .LBB13_1792
.LBB13_1791:
	v_bfe_u32 v3, v5, 24, 3
	v_ffbh_u32_e32 v8, v3
	v_min_u32_e32 v8, 32, v8
	v_lshrrev_b32_e32 v6, 27, v5
	v_subrev_u32_e32 v9, 28, v8
	v_and_b32_e32 v4, 0x80000000, v5
	v_and_b32_e32 v6, 15, v6
	v_bfe_u32 v7, v5, 27, 4
	v_lshlrev_b32_sdwa v5, v9, v5 dst_sel:DWORD dst_unused:UNUSED_PAD src0_sel:DWORD src1_sel:BYTE_3
	v_sub_u32_e32 v8, 29, v8
	v_and_b32_e32 v5, 7, v5
	v_cmp_eq_u16_e32 vcc, 0, v6
	v_cndmask_b32_e32 v3, v3, v5, vcc
	v_cndmask_b32_e32 v5, v7, v8, vcc
	v_mov_b32_e32 v6, 0x3b800000
	v_lshlrev_b32_e32 v3, 20, v3
	v_lshl_add_u32 v5, v5, 23, v6
	v_or3_b32 v3, v4, v5, v3
.LBB13_1792:
	s_or_b64 exec, exec, s[6:7]
	s_nop 0
	v_mfma_f32_16x16x4f32 a[0:3], v2, v3, a[0:3]
	s_movk_i32 s4, 0x7f
                                        ; implicit-def: $sgpr10
	s_nop 7
	s_nop 1
	flat_store_dwordx4 v[18:19], a[0:3] offset:480
	flat_load_dwordx4 v[18:21], v[0:1] offset:16
	s_nop 0
	flat_load_dwordx2 v[16:17], v[0:1] offset:32
	s_waitcnt vmcnt(0) lgkmcnt(0)
	flat_load_dwordx4 v[12:15], v[18:19] offset:32
	flat_load_dwordx4 v[4:7], v[18:19] offset:48
	;; [unrolled: 1-line block ×4, first 2 shown]
	s_waitcnt vmcnt(0) lgkmcnt(0)
	v_cmp_gt_i16_sdwa s[6:7], v12, s4 src0_sel:BYTE_0 src1_sel:DWORD
	s_mov_b64 s[4:5], 0
	s_and_saveexec_b64 s[8:9], s[6:7]
	s_xor_b64 s[6:7], exec, s[8:9]
	s_cbranch_execnz .LBB13_3841
; %bb.1793:
	s_or_saveexec_b64 s[6:7], s[6:7]
	v_mov_b32_e32 v18, s10
	s_xor_b64 exec, exec, s[6:7]
	s_cbranch_execnz .LBB13_3844
.LBB13_1794:
	s_or_b64 exec, exec, s[6:7]
	s_and_saveexec_b64 s[6:7], s[4:5]
	s_cbranch_execz .LBB13_1796
.LBB13_1795:
	v_and_b32_e32 v18, 7, v12
	v_ffbh_u32_e32 v20, v18
	v_min_u32_e32 v20, 32, v20
	v_lshrrev_b16_e32 v19, 3, v12
	v_subrev_u32_e32 v21, 28, v20
	v_and_b32_e32 v19, 15, v19
	v_lshlrev_b32_e32 v21, v21, v12
	v_sub_u32_e32 v20, 29, v20
	v_and_b32_e32 v21, 7, v21
	v_cmp_eq_u16_e32 vcc, 0, v19
	v_cndmask_b32_e32 v18, v18, v21, vcc
	v_cndmask_b32_e32 v19, v19, v20, vcc
	v_lshlrev_b32_e32 v20, 24, v12
	v_mov_b32_e32 v21, 0x3b800000
	v_lshlrev_b32_e32 v18, 20, v18
	v_and_b32_e32 v20, 0x80000000, v20
	v_lshl_add_u32 v19, v19, 23, v21
	v_or3_b32 v18, v20, v19, v18
.LBB13_1796:
	s_or_b64 exec, exec, s[6:7]
	s_movk_i32 s4, 0x7f
	v_cmp_gt_i16_sdwa s[6:7], v8, s4 src0_sel:BYTE_0 src1_sel:DWORD
	s_mov_b64 s[4:5], 0
                                        ; implicit-def: $sgpr10
	s_and_saveexec_b64 s[8:9], s[6:7]
	s_xor_b64 s[6:7], exec, s[8:9]
	s_cbranch_execnz .LBB13_3845
; %bb.1797:
	s_or_saveexec_b64 s[6:7], s[6:7]
	v_mov_b32_e32 v19, s10
	s_xor_b64 exec, exec, s[6:7]
	s_cbranch_execnz .LBB13_3848
.LBB13_1798:
	s_or_b64 exec, exec, s[6:7]
	s_and_saveexec_b64 s[6:7], s[4:5]
	s_cbranch_execz .LBB13_1800
.LBB13_1799:
	v_and_b32_e32 v19, 7, v8
	v_ffbh_u32_e32 v21, v19
	v_min_u32_e32 v21, 32, v21
	v_lshrrev_b16_e32 v20, 3, v8
	v_subrev_u32_e32 v22, 28, v21
	v_and_b32_e32 v20, 15, v20
	v_lshlrev_b32_e32 v22, v22, v8
	v_sub_u32_e32 v21, 29, v21
	v_and_b32_e32 v22, 7, v22
	v_cmp_eq_u16_e32 vcc, 0, v20
	v_cndmask_b32_e32 v19, v19, v22, vcc
	v_cndmask_b32_e32 v20, v20, v21, vcc
	v_lshlrev_b32_e32 v21, 24, v8
	v_mov_b32_e32 v22, 0x3b800000
	v_lshlrev_b32_e32 v19, 20, v19
	v_and_b32_e32 v21, 0x80000000, v21
	v_lshl_add_u32 v20, v20, 23, v22
	v_or3_b32 v19, v21, v20, v19
.LBB13_1800:
	s_or_b64 exec, exec, s[6:7]
	flat_load_dwordx4 a[0:3], v[16:17] offset:496
	s_movk_i32 s4, 0x7f
                                        ; implicit-def: $sgpr10
	s_waitcnt vmcnt(0) lgkmcnt(0)
	v_mfma_f32_16x16x4f32 a[0:3], v18, v19, a[0:3]
	v_lshrrev_b32_e32 v19, 8, v12
	v_cmp_gt_i16_sdwa s[6:7], v19, s4 src0_sel:BYTE_0 src1_sel:DWORD
	s_mov_b64 s[4:5], 0
	s_and_saveexec_b64 s[8:9], s[6:7]
	s_xor_b64 s[6:7], exec, s[8:9]
	s_cbranch_execnz .LBB13_3849
; %bb.1801:
	s_or_saveexec_b64 s[6:7], s[6:7]
	v_mov_b32_e32 v18, s10
	s_xor_b64 exec, exec, s[6:7]
	s_cbranch_execnz .LBB13_3852
.LBB13_1802:
	s_or_b64 exec, exec, s[6:7]
	s_and_saveexec_b64 s[6:7], s[4:5]
	s_cbranch_execz .LBB13_1804
.LBB13_1803:
	v_bfe_u32 v18, v12, 8, 3
	v_ffbh_u32_e32 v21, v18
	v_min_u32_e32 v21, 32, v21
	v_lshrrev_b16_e32 v20, 3, v19
	v_subrev_u32_e32 v22, 28, v21
	v_and_b32_e32 v20, 15, v20
	v_lshlrev_b32_e32 v19, v22, v19
	v_sub_u32_e32 v21, 29, v21
	v_and_b32_e32 v19, 7, v19
	v_cmp_eq_u16_e32 vcc, 0, v20
	v_cndmask_b32_e32 v18, v18, v19, vcc
	v_cndmask_b32_e32 v19, v20, v21, vcc
	v_lshlrev_b32_e32 v20, 16, v12
	v_mov_b32_e32 v21, 0x3b800000
	v_lshlrev_b32_e32 v18, 20, v18
	v_and_b32_e32 v20, 0x80000000, v20
	v_lshl_add_u32 v19, v19, 23, v21
	v_or3_b32 v18, v20, v19, v18
.LBB13_1804:
	s_or_b64 exec, exec, s[6:7]
	v_lshrrev_b32_e32 v19, 8, v8
	s_movk_i32 s4, 0x7f
	v_cmp_gt_i16_sdwa s[6:7], v19, s4 src0_sel:BYTE_0 src1_sel:DWORD
	s_mov_b64 s[4:5], 0
                                        ; implicit-def: $sgpr10
	s_and_saveexec_b64 s[8:9], s[6:7]
	s_xor_b64 s[6:7], exec, s[8:9]
	s_cbranch_execnz .LBB13_3853
; %bb.1805:
	s_or_saveexec_b64 s[6:7], s[6:7]
	v_mov_b32_e32 v20, s10
	s_xor_b64 exec, exec, s[6:7]
	s_cbranch_execnz .LBB13_3856
.LBB13_1806:
	s_or_b64 exec, exec, s[6:7]
	s_and_saveexec_b64 s[6:7], s[4:5]
	s_cbranch_execz .LBB13_1808
.LBB13_1807:
	v_bfe_u32 v20, v8, 8, 3
	v_ffbh_u32_e32 v22, v20
	v_min_u32_e32 v22, 32, v22
	v_lshrrev_b16_e32 v21, 3, v19
	v_subrev_u32_e32 v23, 28, v22
	v_and_b32_e32 v21, 15, v21
	v_lshlrev_b32_e32 v19, v23, v19
	v_sub_u32_e32 v22, 29, v22
	v_and_b32_e32 v19, 7, v19
	v_cmp_eq_u16_e32 vcc, 0, v21
	v_cndmask_b32_e32 v19, v20, v19, vcc
	v_cndmask_b32_e32 v20, v21, v22, vcc
	v_lshlrev_b32_e32 v21, 16, v8
	v_mov_b32_e32 v22, 0x3b800000
	v_lshlrev_b32_e32 v19, 20, v19
	v_and_b32_e32 v21, 0x80000000, v21
	v_lshl_add_u32 v20, v20, 23, v22
	v_or3_b32 v20, v21, v20, v19
.LBB13_1808:
	s_or_b64 exec, exec, s[6:7]
	s_nop 0
	v_mfma_f32_16x16x4f32 a[0:3], v18, v20, a[0:3]
	s_movk_i32 s4, 0xff
	v_and_b32_sdwa v19, v12, s4 dst_sel:DWORD dst_unused:UNUSED_PAD src0_sel:WORD_1 src1_sel:DWORD
	s_movk_i32 s4, 0x7f
	v_cmp_lt_i16_e32 vcc, s4, v19
	s_mov_b64 s[4:5], 0
                                        ; implicit-def: $sgpr10
	s_and_saveexec_b64 s[6:7], vcc
	s_xor_b64 s[6:7], exec, s[6:7]
	s_cbranch_execnz .LBB13_3857
; %bb.1809:
	s_or_saveexec_b64 s[6:7], s[6:7]
	v_mov_b32_e32 v18, s10
	s_xor_b64 exec, exec, s[6:7]
	s_cbranch_execnz .LBB13_3860
.LBB13_1810:
	s_or_b64 exec, exec, s[6:7]
	s_and_saveexec_b64 s[6:7], s[4:5]
	s_cbranch_execz .LBB13_1812
.LBB13_1811:
	v_bfe_u32 v18, v12, 16, 3
	v_ffbh_u32_e32 v21, v18
	v_min_u32_e32 v21, 32, v21
	v_lshrrev_b32_e32 v19, 19, v12
	v_subrev_u32_e32 v22, 28, v21
	v_and_b32_e32 v19, 15, v19
	v_lshlrev_b32_sdwa v22, v22, v12 dst_sel:DWORD dst_unused:UNUSED_PAD src0_sel:DWORD src1_sel:WORD_1
	v_bfe_u32 v20, v12, 19, 4
	v_sub_u32_e32 v21, 29, v21
	v_and_b32_e32 v22, 7, v22
	v_cmp_eq_u16_e32 vcc, 0, v19
	v_cndmask_b32_e32 v18, v18, v22, vcc
	v_cndmask_b32_e32 v19, v20, v21, vcc
	v_lshlrev_b32_e32 v20, 8, v12
	v_mov_b32_e32 v21, 0x3b800000
	v_lshlrev_b32_e32 v18, 20, v18
	v_and_b32_e32 v20, 0x80000000, v20
	v_lshl_add_u32 v19, v19, 23, v21
	v_or3_b32 v18, v20, v19, v18
.LBB13_1812:
	s_or_b64 exec, exec, s[6:7]
	s_movk_i32 s4, 0xff
	v_and_b32_sdwa v19, v8, s4 dst_sel:DWORD dst_unused:UNUSED_PAD src0_sel:WORD_1 src1_sel:DWORD
	s_movk_i32 s4, 0x7f
	v_cmp_lt_i16_e32 vcc, s4, v19
	s_mov_b64 s[4:5], 0
                                        ; implicit-def: $sgpr10
	s_and_saveexec_b64 s[6:7], vcc
	s_xor_b64 s[6:7], exec, s[6:7]
	s_cbranch_execnz .LBB13_3861
; %bb.1813:
	s_or_saveexec_b64 s[6:7], s[6:7]
	v_mov_b32_e32 v20, s10
	s_xor_b64 exec, exec, s[6:7]
	s_cbranch_execnz .LBB13_3864
.LBB13_1814:
	s_or_b64 exec, exec, s[6:7]
	s_and_saveexec_b64 s[6:7], s[4:5]
	s_cbranch_execz .LBB13_1816
.LBB13_1815:
	v_bfe_u32 v19, v8, 16, 3
	v_ffbh_u32_e32 v22, v19
	v_min_u32_e32 v22, 32, v22
	v_lshrrev_b32_e32 v20, 19, v8
	v_subrev_u32_e32 v23, 28, v22
	v_and_b32_e32 v20, 15, v20
	v_lshlrev_b32_sdwa v23, v23, v8 dst_sel:DWORD dst_unused:UNUSED_PAD src0_sel:DWORD src1_sel:WORD_1
	v_bfe_u32 v21, v8, 19, 4
	v_sub_u32_e32 v22, 29, v22
	v_and_b32_e32 v23, 7, v23
	v_cmp_eq_u16_e32 vcc, 0, v20
	v_cndmask_b32_e32 v19, v19, v23, vcc
	v_cndmask_b32_e32 v20, v21, v22, vcc
	v_lshlrev_b32_e32 v21, 8, v8
	v_mov_b32_e32 v22, 0x3b800000
	v_lshlrev_b32_e32 v19, 20, v19
	v_and_b32_e32 v21, 0x80000000, v21
	v_lshl_add_u32 v20, v20, 23, v22
	v_or3_b32 v20, v21, v20, v19
.LBB13_1816:
	s_or_b64 exec, exec, s[6:7]
	s_nop 0
	v_mfma_f32_16x16x4f32 a[0:3], v18, v20, a[0:3]
	s_movk_i32 s4, 0x7f
	v_cmp_gt_i16_sdwa s[6:7], v12, s4 src0_sel:BYTE_3 src1_sel:DWORD
	s_mov_b64 s[4:5], 0
                                        ; implicit-def: $sgpr10
	s_and_saveexec_b64 s[8:9], s[6:7]
	s_xor_b64 s[6:7], exec, s[8:9]
	s_cbranch_execnz .LBB13_3865
; %bb.1817:
	s_or_saveexec_b64 s[6:7], s[6:7]
	v_mov_b32_e32 v18, s10
	s_xor_b64 exec, exec, s[6:7]
	s_cbranch_execnz .LBB13_3868
.LBB13_1818:
	s_or_b64 exec, exec, s[6:7]
	s_and_saveexec_b64 s[6:7], s[4:5]
	s_cbranch_execz .LBB13_1820
.LBB13_1819:
	v_bfe_u32 v18, v12, 24, 3
	v_ffbh_u32_e32 v22, v18
	v_min_u32_e32 v22, 32, v22
	v_lshrrev_b32_e32 v20, 27, v12
	v_subrev_u32_e32 v23, 28, v22
	v_and_b32_e32 v19, 0x80000000, v12
	v_and_b32_e32 v20, 15, v20
	v_bfe_u32 v21, v12, 27, 4
	v_lshlrev_b32_sdwa v12, v23, v12 dst_sel:DWORD dst_unused:UNUSED_PAD src0_sel:DWORD src1_sel:BYTE_3
	v_sub_u32_e32 v22, 29, v22
	v_and_b32_e32 v12, 7, v12
	v_cmp_eq_u16_e32 vcc, 0, v20
	v_cndmask_b32_e32 v12, v18, v12, vcc
	v_cndmask_b32_e32 v18, v21, v22, vcc
	v_mov_b32_e32 v20, 0x3b800000
	v_lshlrev_b32_e32 v12, 20, v12
	v_lshl_add_u32 v18, v18, 23, v20
	v_or3_b32 v18, v19, v18, v12
.LBB13_1820:
	s_or_b64 exec, exec, s[6:7]
	s_movk_i32 s4, 0x7f
	v_cmp_gt_i16_sdwa s[6:7], v8, s4 src0_sel:BYTE_3 src1_sel:DWORD
	s_mov_b64 s[4:5], 0
                                        ; implicit-def: $sgpr10
	s_and_saveexec_b64 s[8:9], s[6:7]
	s_xor_b64 s[6:7], exec, s[8:9]
	s_cbranch_execnz .LBB13_3869
; %bb.1821:
	s_or_saveexec_b64 s[6:7], s[6:7]
	v_mov_b32_e32 v12, s10
	s_xor_b64 exec, exec, s[6:7]
	s_cbranch_execnz .LBB13_3872
.LBB13_1822:
	s_or_b64 exec, exec, s[6:7]
	s_and_saveexec_b64 s[6:7], s[4:5]
	s_cbranch_execz .LBB13_1824
.LBB13_1823:
	v_bfe_u32 v12, v8, 24, 3
	v_ffbh_u32_e32 v22, v12
	v_min_u32_e32 v22, 32, v22
	v_lshrrev_b32_e32 v20, 27, v8
	v_subrev_u32_e32 v23, 28, v22
	v_and_b32_e32 v19, 0x80000000, v8
	v_and_b32_e32 v20, 15, v20
	v_bfe_u32 v21, v8, 27, 4
	v_lshlrev_b32_sdwa v8, v23, v8 dst_sel:DWORD dst_unused:UNUSED_PAD src0_sel:DWORD src1_sel:BYTE_3
	v_sub_u32_e32 v22, 29, v22
	v_and_b32_e32 v8, 7, v8
	v_cmp_eq_u16_e32 vcc, 0, v20
	v_cndmask_b32_e32 v8, v12, v8, vcc
	v_cndmask_b32_e32 v12, v21, v22, vcc
	v_mov_b32_e32 v20, 0x3b800000
	v_lshlrev_b32_e32 v8, 20, v8
	v_lshl_add_u32 v12, v12, 23, v20
	v_or3_b32 v12, v19, v12, v8
.LBB13_1824:
	s_or_b64 exec, exec, s[6:7]
	s_nop 0
	v_mfma_f32_16x16x4f32 a[0:3], v18, v12, a[0:3]
	s_movk_i32 s4, 0x7f
	v_cmp_gt_i16_sdwa s[6:7], v13, s4 src0_sel:BYTE_0 src1_sel:DWORD
	s_mov_b64 s[4:5], 0
                                        ; implicit-def: $sgpr10
	s_and_saveexec_b64 s[8:9], s[6:7]
	s_xor_b64 s[6:7], exec, s[8:9]
	s_cbranch_execnz .LBB13_3873
; %bb.1825:
	s_or_saveexec_b64 s[6:7], s[6:7]
	v_mov_b32_e32 v8, s10
	s_xor_b64 exec, exec, s[6:7]
	s_cbranch_execnz .LBB13_3876
.LBB13_1826:
	s_or_b64 exec, exec, s[6:7]
	s_and_saveexec_b64 s[6:7], s[4:5]
	s_cbranch_execz .LBB13_1828
.LBB13_1827:
	v_and_b32_e32 v8, 7, v13
	v_ffbh_u32_e32 v18, v8
	v_min_u32_e32 v18, 32, v18
	v_lshrrev_b16_e32 v12, 3, v13
	v_subrev_u32_e32 v19, 28, v18
	v_and_b32_e32 v12, 15, v12
	v_lshlrev_b32_e32 v19, v19, v13
	v_sub_u32_e32 v18, 29, v18
	v_and_b32_e32 v19, 7, v19
	v_cmp_eq_u16_e32 vcc, 0, v12
	v_cndmask_b32_e32 v8, v8, v19, vcc
	v_cndmask_b32_e32 v12, v12, v18, vcc
	v_lshlrev_b32_e32 v18, 24, v13
	v_mov_b32_e32 v19, 0x3b800000
	v_lshlrev_b32_e32 v8, 20, v8
	v_and_b32_e32 v18, 0x80000000, v18
	v_lshl_add_u32 v12, v12, 23, v19
	v_or3_b32 v8, v18, v12, v8
.LBB13_1828:
	s_or_b64 exec, exec, s[6:7]
	s_movk_i32 s4, 0x7f
	v_cmp_gt_i16_sdwa s[6:7], v9, s4 src0_sel:BYTE_0 src1_sel:DWORD
	s_mov_b64 s[4:5], 0
                                        ; implicit-def: $sgpr10
	s_and_saveexec_b64 s[8:9], s[6:7]
	s_xor_b64 s[6:7], exec, s[8:9]
	s_cbranch_execnz .LBB13_3877
; %bb.1829:
	s_or_saveexec_b64 s[6:7], s[6:7]
	v_mov_b32_e32 v12, s10
	s_xor_b64 exec, exec, s[6:7]
	s_cbranch_execnz .LBB13_3880
.LBB13_1830:
	s_or_b64 exec, exec, s[6:7]
	s_and_saveexec_b64 s[6:7], s[4:5]
	s_cbranch_execz .LBB13_1832
.LBB13_1831:
	v_and_b32_e32 v12, 7, v9
	v_ffbh_u32_e32 v19, v12
	v_min_u32_e32 v19, 32, v19
	v_lshrrev_b16_e32 v18, 3, v9
	v_subrev_u32_e32 v20, 28, v19
	v_and_b32_e32 v18, 15, v18
	v_lshlrev_b32_e32 v20, v20, v9
	v_sub_u32_e32 v19, 29, v19
	v_and_b32_e32 v20, 7, v20
	v_cmp_eq_u16_e32 vcc, 0, v18
	v_cndmask_b32_e32 v12, v12, v20, vcc
	v_cndmask_b32_e32 v18, v18, v19, vcc
	v_lshlrev_b32_e32 v19, 24, v9
	v_mov_b32_e32 v20, 0x3b800000
	v_lshlrev_b32_e32 v12, 20, v12
	v_and_b32_e32 v19, 0x80000000, v19
	v_lshl_add_u32 v18, v18, 23, v20
	v_or3_b32 v12, v19, v18, v12
.LBB13_1832:
	s_or_b64 exec, exec, s[6:7]
	s_nop 0
	v_mfma_f32_16x16x4f32 a[0:3], v8, v12, a[0:3]
	v_lshrrev_b32_e32 v12, 8, v13
	s_movk_i32 s4, 0x7f
	v_cmp_gt_i16_sdwa s[6:7], v12, s4 src0_sel:BYTE_0 src1_sel:DWORD
	s_mov_b64 s[4:5], 0
                                        ; implicit-def: $sgpr10
	s_and_saveexec_b64 s[8:9], s[6:7]
	s_xor_b64 s[6:7], exec, s[8:9]
	s_cbranch_execnz .LBB13_3881
; %bb.1833:
	s_or_saveexec_b64 s[6:7], s[6:7]
	v_mov_b32_e32 v8, s10
	s_xor_b64 exec, exec, s[6:7]
	s_cbranch_execnz .LBB13_3884
.LBB13_1834:
	s_or_b64 exec, exec, s[6:7]
	s_and_saveexec_b64 s[6:7], s[4:5]
	s_cbranch_execz .LBB13_1836
.LBB13_1835:
	v_bfe_u32 v8, v13, 8, 3
	v_ffbh_u32_e32 v19, v8
	v_min_u32_e32 v19, 32, v19
	v_lshrrev_b16_e32 v18, 3, v12
	v_subrev_u32_e32 v20, 28, v19
	v_and_b32_e32 v18, 15, v18
	v_lshlrev_b32_e32 v12, v20, v12
	v_sub_u32_e32 v19, 29, v19
	v_and_b32_e32 v12, 7, v12
	v_cmp_eq_u16_e32 vcc, 0, v18
	v_cndmask_b32_e32 v8, v8, v12, vcc
	v_cndmask_b32_e32 v12, v18, v19, vcc
	v_lshlrev_b32_e32 v18, 16, v13
	v_mov_b32_e32 v19, 0x3b800000
	v_lshlrev_b32_e32 v8, 20, v8
	v_and_b32_e32 v18, 0x80000000, v18
	v_lshl_add_u32 v12, v12, 23, v19
	v_or3_b32 v8, v18, v12, v8
.LBB13_1836:
	s_or_b64 exec, exec, s[6:7]
	v_lshrrev_b32_e32 v12, 8, v9
	s_movk_i32 s4, 0x7f
	v_cmp_gt_i16_sdwa s[6:7], v12, s4 src0_sel:BYTE_0 src1_sel:DWORD
	s_mov_b64 s[4:5], 0
                                        ; implicit-def: $sgpr10
	s_and_saveexec_b64 s[8:9], s[6:7]
	s_xor_b64 s[6:7], exec, s[8:9]
	s_cbranch_execnz .LBB13_3885
; %bb.1837:
	s_or_saveexec_b64 s[6:7], s[6:7]
	v_mov_b32_e32 v18, s10
	s_xor_b64 exec, exec, s[6:7]
	s_cbranch_execnz .LBB13_3888
.LBB13_1838:
	s_or_b64 exec, exec, s[6:7]
	s_and_saveexec_b64 s[6:7], s[4:5]
	s_cbranch_execz .LBB13_1840
.LBB13_1839:
	v_bfe_u32 v18, v9, 8, 3
	v_ffbh_u32_e32 v20, v18
	v_min_u32_e32 v20, 32, v20
	v_lshrrev_b16_e32 v19, 3, v12
	v_subrev_u32_e32 v21, 28, v20
	v_and_b32_e32 v19, 15, v19
	v_lshlrev_b32_e32 v12, v21, v12
	v_sub_u32_e32 v20, 29, v20
	v_and_b32_e32 v12, 7, v12
	v_cmp_eq_u16_e32 vcc, 0, v19
	v_cndmask_b32_e32 v12, v18, v12, vcc
	v_cndmask_b32_e32 v18, v19, v20, vcc
	v_lshlrev_b32_e32 v19, 16, v9
	v_mov_b32_e32 v20, 0x3b800000
	v_lshlrev_b32_e32 v12, 20, v12
	v_and_b32_e32 v19, 0x80000000, v19
	v_lshl_add_u32 v18, v18, 23, v20
	v_or3_b32 v18, v19, v18, v12
.LBB13_1840:
	s_or_b64 exec, exec, s[6:7]
	s_nop 0
	v_mfma_f32_16x16x4f32 a[0:3], v8, v18, a[0:3]
	s_movk_i32 s4, 0xff
	v_and_b32_sdwa v12, v13, s4 dst_sel:DWORD dst_unused:UNUSED_PAD src0_sel:WORD_1 src1_sel:DWORD
	s_movk_i32 s4, 0x7f
	v_cmp_lt_i16_e32 vcc, s4, v12
	s_mov_b64 s[4:5], 0
                                        ; implicit-def: $sgpr10
	s_and_saveexec_b64 s[6:7], vcc
	s_xor_b64 s[6:7], exec, s[6:7]
	s_cbranch_execnz .LBB13_3889
; %bb.1841:
	s_or_saveexec_b64 s[6:7], s[6:7]
	v_mov_b32_e32 v8, s10
	s_xor_b64 exec, exec, s[6:7]
	s_cbranch_execnz .LBB13_3892
.LBB13_1842:
	s_or_b64 exec, exec, s[6:7]
	s_and_saveexec_b64 s[6:7], s[4:5]
	s_cbranch_execz .LBB13_1844
.LBB13_1843:
	v_bfe_u32 v8, v13, 16, 3
	v_ffbh_u32_e32 v19, v8
	v_min_u32_e32 v19, 32, v19
	v_lshrrev_b32_e32 v12, 19, v13
	v_subrev_u32_e32 v20, 28, v19
	v_and_b32_e32 v12, 15, v12
	v_lshlrev_b32_sdwa v20, v20, v13 dst_sel:DWORD dst_unused:UNUSED_PAD src0_sel:DWORD src1_sel:WORD_1
	v_bfe_u32 v18, v13, 19, 4
	v_sub_u32_e32 v19, 29, v19
	v_and_b32_e32 v20, 7, v20
	v_cmp_eq_u16_e32 vcc, 0, v12
	v_cndmask_b32_e32 v8, v8, v20, vcc
	v_cndmask_b32_e32 v12, v18, v19, vcc
	v_lshlrev_b32_e32 v18, 8, v13
	v_mov_b32_e32 v19, 0x3b800000
	v_lshlrev_b32_e32 v8, 20, v8
	v_and_b32_e32 v18, 0x80000000, v18
	v_lshl_add_u32 v12, v12, 23, v19
	v_or3_b32 v8, v18, v12, v8
.LBB13_1844:
	s_or_b64 exec, exec, s[6:7]
	s_movk_i32 s4, 0xff
	v_and_b32_sdwa v12, v9, s4 dst_sel:DWORD dst_unused:UNUSED_PAD src0_sel:WORD_1 src1_sel:DWORD
	s_movk_i32 s4, 0x7f
	v_cmp_lt_i16_e32 vcc, s4, v12
	s_mov_b64 s[4:5], 0
                                        ; implicit-def: $sgpr10
	s_and_saveexec_b64 s[6:7], vcc
	s_xor_b64 s[6:7], exec, s[6:7]
	s_cbranch_execnz .LBB13_3893
; %bb.1845:
	s_or_saveexec_b64 s[6:7], s[6:7]
	v_mov_b32_e32 v18, s10
	s_xor_b64 exec, exec, s[6:7]
	s_cbranch_execnz .LBB13_3896
.LBB13_1846:
	s_or_b64 exec, exec, s[6:7]
	s_and_saveexec_b64 s[6:7], s[4:5]
	s_cbranch_execz .LBB13_1848
.LBB13_1847:
	v_bfe_u32 v12, v9, 16, 3
	v_ffbh_u32_e32 v20, v12
	v_min_u32_e32 v20, 32, v20
	v_lshrrev_b32_e32 v18, 19, v9
	v_subrev_u32_e32 v21, 28, v20
	v_and_b32_e32 v18, 15, v18
	v_lshlrev_b32_sdwa v21, v21, v9 dst_sel:DWORD dst_unused:UNUSED_PAD src0_sel:DWORD src1_sel:WORD_1
	v_bfe_u32 v19, v9, 19, 4
	v_sub_u32_e32 v20, 29, v20
	v_and_b32_e32 v21, 7, v21
	v_cmp_eq_u16_e32 vcc, 0, v18
	v_cndmask_b32_e32 v12, v12, v21, vcc
	v_cndmask_b32_e32 v18, v19, v20, vcc
	v_lshlrev_b32_e32 v19, 8, v9
	v_mov_b32_e32 v20, 0x3b800000
	v_lshlrev_b32_e32 v12, 20, v12
	v_and_b32_e32 v19, 0x80000000, v19
	v_lshl_add_u32 v18, v18, 23, v20
	v_or3_b32 v18, v19, v18, v12
.LBB13_1848:
	s_or_b64 exec, exec, s[6:7]
	s_nop 0
	v_mfma_f32_16x16x4f32 a[0:3], v8, v18, a[0:3]
	s_movk_i32 s4, 0x7f
	v_cmp_gt_i16_sdwa s[6:7], v13, s4 src0_sel:BYTE_3 src1_sel:DWORD
	s_mov_b64 s[4:5], 0
                                        ; implicit-def: $sgpr10
	s_and_saveexec_b64 s[8:9], s[6:7]
	s_xor_b64 s[6:7], exec, s[8:9]
	s_cbranch_execnz .LBB13_3897
; %bb.1849:
	s_or_saveexec_b64 s[6:7], s[6:7]
	v_mov_b32_e32 v8, s10
	s_xor_b64 exec, exec, s[6:7]
	s_cbranch_execnz .LBB13_3900
.LBB13_1850:
	s_or_b64 exec, exec, s[6:7]
	s_and_saveexec_b64 s[6:7], s[4:5]
	s_cbranch_execz .LBB13_1852
.LBB13_1851:
	v_bfe_u32 v8, v13, 24, 3
	v_ffbh_u32_e32 v20, v8
	v_min_u32_e32 v20, 32, v20
	v_lshrrev_b32_e32 v18, 27, v13
	v_subrev_u32_e32 v21, 28, v20
	v_and_b32_e32 v12, 0x80000000, v13
	v_and_b32_e32 v18, 15, v18
	v_bfe_u32 v19, v13, 27, 4
	v_lshlrev_b32_sdwa v13, v21, v13 dst_sel:DWORD dst_unused:UNUSED_PAD src0_sel:DWORD src1_sel:BYTE_3
	v_sub_u32_e32 v20, 29, v20
	v_and_b32_e32 v13, 7, v13
	v_cmp_eq_u16_e32 vcc, 0, v18
	v_cndmask_b32_e32 v8, v8, v13, vcc
	v_cndmask_b32_e32 v13, v19, v20, vcc
	v_mov_b32_e32 v18, 0x3b800000
	v_lshlrev_b32_e32 v8, 20, v8
	v_lshl_add_u32 v13, v13, 23, v18
	v_or3_b32 v8, v12, v13, v8
.LBB13_1852:
	s_or_b64 exec, exec, s[6:7]
	s_movk_i32 s4, 0x7f
	v_cmp_gt_i16_sdwa s[6:7], v9, s4 src0_sel:BYTE_3 src1_sel:DWORD
	s_mov_b64 s[4:5], 0
                                        ; implicit-def: $sgpr10
	s_and_saveexec_b64 s[8:9], s[6:7]
	s_xor_b64 s[6:7], exec, s[8:9]
	s_cbranch_execnz .LBB13_3901
; %bb.1853:
	s_or_saveexec_b64 s[6:7], s[6:7]
	v_mov_b32_e32 v12, s10
	s_xor_b64 exec, exec, s[6:7]
	s_cbranch_execnz .LBB13_3904
.LBB13_1854:
	s_or_b64 exec, exec, s[6:7]
	s_and_saveexec_b64 s[6:7], s[4:5]
	s_cbranch_execz .LBB13_1856
.LBB13_1855:
	v_bfe_u32 v12, v9, 24, 3
	v_ffbh_u32_e32 v20, v12
	v_min_u32_e32 v20, 32, v20
	v_lshrrev_b32_e32 v18, 27, v9
	v_subrev_u32_e32 v21, 28, v20
	v_and_b32_e32 v13, 0x80000000, v9
	v_and_b32_e32 v18, 15, v18
	v_bfe_u32 v19, v9, 27, 4
	v_lshlrev_b32_sdwa v9, v21, v9 dst_sel:DWORD dst_unused:UNUSED_PAD src0_sel:DWORD src1_sel:BYTE_3
	v_sub_u32_e32 v20, 29, v20
	v_and_b32_e32 v9, 7, v9
	v_cmp_eq_u16_e32 vcc, 0, v18
	v_cndmask_b32_e32 v9, v12, v9, vcc
	v_cndmask_b32_e32 v12, v19, v20, vcc
	v_mov_b32_e32 v18, 0x3b800000
	v_lshlrev_b32_e32 v9, 20, v9
	v_lshl_add_u32 v12, v12, 23, v18
	v_or3_b32 v12, v13, v12, v9
.LBB13_1856:
	s_or_b64 exec, exec, s[6:7]
	s_nop 0
	v_mfma_f32_16x16x4f32 a[0:3], v8, v12, a[0:3]
	s_movk_i32 s4, 0x7f
	v_cmp_gt_i16_sdwa s[6:7], v14, s4 src0_sel:BYTE_0 src1_sel:DWORD
	s_mov_b64 s[4:5], 0
                                        ; implicit-def: $sgpr10
	s_and_saveexec_b64 s[8:9], s[6:7]
	s_xor_b64 s[6:7], exec, s[8:9]
	s_cbranch_execnz .LBB13_3905
; %bb.1857:
	s_or_saveexec_b64 s[6:7], s[6:7]
	v_mov_b32_e32 v8, s10
	s_xor_b64 exec, exec, s[6:7]
	s_cbranch_execnz .LBB13_3908
.LBB13_1858:
	s_or_b64 exec, exec, s[6:7]
	s_and_saveexec_b64 s[6:7], s[4:5]
	s_cbranch_execz .LBB13_1860
.LBB13_1859:
	v_and_b32_e32 v8, 7, v14
	v_ffbh_u32_e32 v12, v8
	v_min_u32_e32 v12, 32, v12
	v_lshrrev_b16_e32 v9, 3, v14
	v_subrev_u32_e32 v13, 28, v12
	v_and_b32_e32 v9, 15, v9
	v_lshlrev_b32_e32 v13, v13, v14
	v_sub_u32_e32 v12, 29, v12
	v_and_b32_e32 v13, 7, v13
	v_cmp_eq_u16_e32 vcc, 0, v9
	v_cndmask_b32_e32 v8, v8, v13, vcc
	v_cndmask_b32_e32 v9, v9, v12, vcc
	v_lshlrev_b32_e32 v12, 24, v14
	v_mov_b32_e32 v13, 0x3b800000
	v_lshlrev_b32_e32 v8, 20, v8
	v_and_b32_e32 v12, 0x80000000, v12
	v_lshl_add_u32 v9, v9, 23, v13
	v_or3_b32 v8, v12, v9, v8
.LBB13_1860:
	s_or_b64 exec, exec, s[6:7]
	s_movk_i32 s4, 0x7f
	v_cmp_gt_i16_sdwa s[6:7], v10, s4 src0_sel:BYTE_0 src1_sel:DWORD
	s_mov_b64 s[4:5], 0
                                        ; implicit-def: $sgpr10
	s_and_saveexec_b64 s[8:9], s[6:7]
	s_xor_b64 s[6:7], exec, s[8:9]
	s_cbranch_execnz .LBB13_3909
; %bb.1861:
	s_or_saveexec_b64 s[6:7], s[6:7]
	v_mov_b32_e32 v9, s10
	s_xor_b64 exec, exec, s[6:7]
	s_cbranch_execnz .LBB13_3912
.LBB13_1862:
	s_or_b64 exec, exec, s[6:7]
	s_and_saveexec_b64 s[6:7], s[4:5]
	s_cbranch_execz .LBB13_1864
.LBB13_1863:
	v_and_b32_e32 v9, 7, v10
	v_ffbh_u32_e32 v13, v9
	v_min_u32_e32 v13, 32, v13
	v_lshrrev_b16_e32 v12, 3, v10
	v_subrev_u32_e32 v18, 28, v13
	v_and_b32_e32 v12, 15, v12
	v_lshlrev_b32_e32 v18, v18, v10
	v_sub_u32_e32 v13, 29, v13
	v_and_b32_e32 v18, 7, v18
	v_cmp_eq_u16_e32 vcc, 0, v12
	v_cndmask_b32_e32 v9, v9, v18, vcc
	v_cndmask_b32_e32 v12, v12, v13, vcc
	v_lshlrev_b32_e32 v13, 24, v10
	v_mov_b32_e32 v18, 0x3b800000
	v_lshlrev_b32_e32 v9, 20, v9
	v_and_b32_e32 v13, 0x80000000, v13
	v_lshl_add_u32 v12, v12, 23, v18
	v_or3_b32 v9, v13, v12, v9
.LBB13_1864:
	s_or_b64 exec, exec, s[6:7]
	s_nop 0
	v_mfma_f32_16x16x4f32 a[0:3], v8, v9, a[0:3]
	v_lshrrev_b32_e32 v9, 8, v14
	s_movk_i32 s4, 0x7f
	v_cmp_gt_i16_sdwa s[6:7], v9, s4 src0_sel:BYTE_0 src1_sel:DWORD
	s_mov_b64 s[4:5], 0
                                        ; implicit-def: $sgpr10
	s_and_saveexec_b64 s[8:9], s[6:7]
	s_xor_b64 s[6:7], exec, s[8:9]
	s_cbranch_execnz .LBB13_3913
; %bb.1865:
	s_or_saveexec_b64 s[6:7], s[6:7]
	v_mov_b32_e32 v8, s10
	s_xor_b64 exec, exec, s[6:7]
	s_cbranch_execnz .LBB13_3916
.LBB13_1866:
	s_or_b64 exec, exec, s[6:7]
	s_and_saveexec_b64 s[6:7], s[4:5]
	s_cbranch_execz .LBB13_1868
.LBB13_1867:
	v_bfe_u32 v8, v14, 8, 3
	v_ffbh_u32_e32 v13, v8
	v_min_u32_e32 v13, 32, v13
	v_lshrrev_b16_e32 v12, 3, v9
	v_subrev_u32_e32 v18, 28, v13
	v_and_b32_e32 v12, 15, v12
	v_lshlrev_b32_e32 v9, v18, v9
	v_sub_u32_e32 v13, 29, v13
	v_and_b32_e32 v9, 7, v9
	v_cmp_eq_u16_e32 vcc, 0, v12
	v_cndmask_b32_e32 v8, v8, v9, vcc
	v_cndmask_b32_e32 v9, v12, v13, vcc
	v_lshlrev_b32_e32 v12, 16, v14
	v_mov_b32_e32 v13, 0x3b800000
	v_lshlrev_b32_e32 v8, 20, v8
	v_and_b32_e32 v12, 0x80000000, v12
	v_lshl_add_u32 v9, v9, 23, v13
	v_or3_b32 v8, v12, v9, v8
.LBB13_1868:
	s_or_b64 exec, exec, s[6:7]
	v_lshrrev_b32_e32 v9, 8, v10
	s_movk_i32 s4, 0x7f
	v_cmp_gt_i16_sdwa s[6:7], v9, s4 src0_sel:BYTE_0 src1_sel:DWORD
	s_mov_b64 s[4:5], 0
                                        ; implicit-def: $sgpr10
	s_and_saveexec_b64 s[8:9], s[6:7]
	s_xor_b64 s[6:7], exec, s[8:9]
	s_cbranch_execnz .LBB13_3917
; %bb.1869:
	s_or_saveexec_b64 s[6:7], s[6:7]
	v_mov_b32_e32 v12, s10
	s_xor_b64 exec, exec, s[6:7]
	s_cbranch_execnz .LBB13_3920
.LBB13_1870:
	s_or_b64 exec, exec, s[6:7]
	s_and_saveexec_b64 s[6:7], s[4:5]
	s_cbranch_execz .LBB13_1872
.LBB13_1871:
	v_bfe_u32 v12, v10, 8, 3
	v_ffbh_u32_e32 v18, v12
	v_min_u32_e32 v18, 32, v18
	v_lshrrev_b16_e32 v13, 3, v9
	v_subrev_u32_e32 v19, 28, v18
	v_and_b32_e32 v13, 15, v13
	v_lshlrev_b32_e32 v9, v19, v9
	v_sub_u32_e32 v18, 29, v18
	v_and_b32_e32 v9, 7, v9
	v_cmp_eq_u16_e32 vcc, 0, v13
	v_cndmask_b32_e32 v9, v12, v9, vcc
	v_cndmask_b32_e32 v12, v13, v18, vcc
	v_lshlrev_b32_e32 v13, 16, v10
	v_mov_b32_e32 v18, 0x3b800000
	v_lshlrev_b32_e32 v9, 20, v9
	v_and_b32_e32 v13, 0x80000000, v13
	v_lshl_add_u32 v12, v12, 23, v18
	v_or3_b32 v12, v13, v12, v9
.LBB13_1872:
	s_or_b64 exec, exec, s[6:7]
	s_nop 0
	v_mfma_f32_16x16x4f32 a[0:3], v8, v12, a[0:3]
	s_movk_i32 s4, 0xff
	v_and_b32_sdwa v9, v14, s4 dst_sel:DWORD dst_unused:UNUSED_PAD src0_sel:WORD_1 src1_sel:DWORD
	s_movk_i32 s4, 0x7f
	v_cmp_lt_i16_e32 vcc, s4, v9
	s_mov_b64 s[4:5], 0
                                        ; implicit-def: $sgpr10
	s_and_saveexec_b64 s[6:7], vcc
	s_xor_b64 s[6:7], exec, s[6:7]
	s_cbranch_execnz .LBB13_3921
; %bb.1873:
	s_or_saveexec_b64 s[6:7], s[6:7]
	v_mov_b32_e32 v8, s10
	s_xor_b64 exec, exec, s[6:7]
	s_cbranch_execnz .LBB13_3924
.LBB13_1874:
	s_or_b64 exec, exec, s[6:7]
	s_and_saveexec_b64 s[6:7], s[4:5]
	s_cbranch_execz .LBB13_1876
.LBB13_1875:
	v_bfe_u32 v8, v14, 16, 3
	v_ffbh_u32_e32 v13, v8
	v_min_u32_e32 v13, 32, v13
	v_lshrrev_b32_e32 v9, 19, v14
	v_subrev_u32_e32 v18, 28, v13
	v_and_b32_e32 v9, 15, v9
	v_lshlrev_b32_sdwa v18, v18, v14 dst_sel:DWORD dst_unused:UNUSED_PAD src0_sel:DWORD src1_sel:WORD_1
	v_bfe_u32 v12, v14, 19, 4
	v_sub_u32_e32 v13, 29, v13
	v_and_b32_e32 v18, 7, v18
	v_cmp_eq_u16_e32 vcc, 0, v9
	v_cndmask_b32_e32 v8, v8, v18, vcc
	v_cndmask_b32_e32 v9, v12, v13, vcc
	v_lshlrev_b32_e32 v12, 8, v14
	v_mov_b32_e32 v13, 0x3b800000
	v_lshlrev_b32_e32 v8, 20, v8
	v_and_b32_e32 v12, 0x80000000, v12
	v_lshl_add_u32 v9, v9, 23, v13
	v_or3_b32 v8, v12, v9, v8
.LBB13_1876:
	s_or_b64 exec, exec, s[6:7]
	s_movk_i32 s4, 0xff
	v_and_b32_sdwa v9, v10, s4 dst_sel:DWORD dst_unused:UNUSED_PAD src0_sel:WORD_1 src1_sel:DWORD
	s_movk_i32 s4, 0x7f
	v_cmp_lt_i16_e32 vcc, s4, v9
	s_mov_b64 s[4:5], 0
                                        ; implicit-def: $sgpr10
	s_and_saveexec_b64 s[6:7], vcc
	s_xor_b64 s[6:7], exec, s[6:7]
	s_cbranch_execnz .LBB13_3925
; %bb.1877:
	s_or_saveexec_b64 s[6:7], s[6:7]
	v_mov_b32_e32 v12, s10
	s_xor_b64 exec, exec, s[6:7]
	s_cbranch_execnz .LBB13_3928
.LBB13_1878:
	s_or_b64 exec, exec, s[6:7]
	s_and_saveexec_b64 s[6:7], s[4:5]
	s_cbranch_execz .LBB13_1880
.LBB13_1879:
	v_bfe_u32 v9, v10, 16, 3
	v_ffbh_u32_e32 v18, v9
	v_min_u32_e32 v18, 32, v18
	v_lshrrev_b32_e32 v12, 19, v10
	v_subrev_u32_e32 v19, 28, v18
	v_and_b32_e32 v12, 15, v12
	v_lshlrev_b32_sdwa v19, v19, v10 dst_sel:DWORD dst_unused:UNUSED_PAD src0_sel:DWORD src1_sel:WORD_1
	v_bfe_u32 v13, v10, 19, 4
	v_sub_u32_e32 v18, 29, v18
	v_and_b32_e32 v19, 7, v19
	v_cmp_eq_u16_e32 vcc, 0, v12
	v_cndmask_b32_e32 v9, v9, v19, vcc
	v_cndmask_b32_e32 v12, v13, v18, vcc
	v_lshlrev_b32_e32 v13, 8, v10
	v_mov_b32_e32 v18, 0x3b800000
	v_lshlrev_b32_e32 v9, 20, v9
	v_and_b32_e32 v13, 0x80000000, v13
	v_lshl_add_u32 v12, v12, 23, v18
	v_or3_b32 v12, v13, v12, v9
.LBB13_1880:
	s_or_b64 exec, exec, s[6:7]
	s_nop 0
	v_mfma_f32_16x16x4f32 a[0:3], v8, v12, a[0:3]
	s_movk_i32 s4, 0x7f
	v_cmp_gt_i16_sdwa s[6:7], v14, s4 src0_sel:BYTE_3 src1_sel:DWORD
	s_mov_b64 s[4:5], 0
                                        ; implicit-def: $sgpr10
	s_and_saveexec_b64 s[8:9], s[6:7]
	s_xor_b64 s[6:7], exec, s[8:9]
	s_cbranch_execnz .LBB13_3929
; %bb.1881:
	s_or_saveexec_b64 s[6:7], s[6:7]
	v_mov_b32_e32 v8, s10
	s_xor_b64 exec, exec, s[6:7]
	s_cbranch_execnz .LBB13_3932
.LBB13_1882:
	s_or_b64 exec, exec, s[6:7]
	s_and_saveexec_b64 s[6:7], s[4:5]
	s_cbranch_execz .LBB13_1884
.LBB13_1883:
	v_bfe_u32 v8, v14, 24, 3
	v_ffbh_u32_e32 v18, v8
	v_min_u32_e32 v18, 32, v18
	v_lshrrev_b32_e32 v12, 27, v14
	v_subrev_u32_e32 v19, 28, v18
	v_and_b32_e32 v9, 0x80000000, v14
	v_and_b32_e32 v12, 15, v12
	v_bfe_u32 v13, v14, 27, 4
	v_lshlrev_b32_sdwa v14, v19, v14 dst_sel:DWORD dst_unused:UNUSED_PAD src0_sel:DWORD src1_sel:BYTE_3
	v_sub_u32_e32 v18, 29, v18
	v_and_b32_e32 v14, 7, v14
	v_cmp_eq_u16_e32 vcc, 0, v12
	v_cndmask_b32_e32 v8, v8, v14, vcc
	v_cndmask_b32_e32 v12, v13, v18, vcc
	v_mov_b32_e32 v13, 0x3b800000
	v_lshlrev_b32_e32 v8, 20, v8
	v_lshl_add_u32 v12, v12, 23, v13
	v_or3_b32 v8, v9, v12, v8
.LBB13_1884:
	s_or_b64 exec, exec, s[6:7]
	s_movk_i32 s4, 0x7f
	v_cmp_gt_i16_sdwa s[6:7], v10, s4 src0_sel:BYTE_3 src1_sel:DWORD
	s_mov_b64 s[4:5], 0
                                        ; implicit-def: $sgpr10
	s_and_saveexec_b64 s[8:9], s[6:7]
	s_xor_b64 s[6:7], exec, s[8:9]
	s_cbranch_execnz .LBB13_3933
; %bb.1885:
	s_or_saveexec_b64 s[6:7], s[6:7]
	v_mov_b32_e32 v9, s10
	s_xor_b64 exec, exec, s[6:7]
	s_cbranch_execnz .LBB13_3936
.LBB13_1886:
	s_or_b64 exec, exec, s[6:7]
	s_and_saveexec_b64 s[6:7], s[4:5]
	s_cbranch_execz .LBB13_1888
.LBB13_1887:
	v_bfe_u32 v9, v10, 24, 3
	v_ffbh_u32_e32 v18, v9
	v_min_u32_e32 v18, 32, v18
	v_lshrrev_b32_e32 v13, 27, v10
	v_subrev_u32_e32 v19, 28, v18
	v_and_b32_e32 v12, 0x80000000, v10
	v_and_b32_e32 v13, 15, v13
	v_bfe_u32 v14, v10, 27, 4
	v_lshlrev_b32_sdwa v10, v19, v10 dst_sel:DWORD dst_unused:UNUSED_PAD src0_sel:DWORD src1_sel:BYTE_3
	v_sub_u32_e32 v18, 29, v18
	v_and_b32_e32 v10, 7, v10
	v_cmp_eq_u16_e32 vcc, 0, v13
	v_cndmask_b32_e32 v9, v9, v10, vcc
	v_cndmask_b32_e32 v10, v14, v18, vcc
	v_mov_b32_e32 v13, 0x3b800000
	v_lshlrev_b32_e32 v9, 20, v9
	v_lshl_add_u32 v10, v10, 23, v13
	v_or3_b32 v9, v12, v10, v9
.LBB13_1888:
	s_or_b64 exec, exec, s[6:7]
	s_nop 0
	v_mfma_f32_16x16x4f32 a[0:3], v8, v9, a[0:3]
	s_movk_i32 s4, 0x7f
	v_cmp_gt_i16_sdwa s[6:7], v15, s4 src0_sel:BYTE_0 src1_sel:DWORD
	s_mov_b64 s[4:5], 0
                                        ; implicit-def: $sgpr10
	s_and_saveexec_b64 s[8:9], s[6:7]
	s_xor_b64 s[6:7], exec, s[8:9]
	s_cbranch_execnz .LBB13_3937
; %bb.1889:
	s_or_saveexec_b64 s[6:7], s[6:7]
	v_mov_b32_e32 v8, s10
	s_xor_b64 exec, exec, s[6:7]
	s_cbranch_execnz .LBB13_3940
.LBB13_1890:
	s_or_b64 exec, exec, s[6:7]
	s_and_saveexec_b64 s[6:7], s[4:5]
	s_cbranch_execz .LBB13_1892
.LBB13_1891:
	v_and_b32_e32 v8, 7, v15
	v_ffbh_u32_e32 v10, v8
	v_min_u32_e32 v10, 32, v10
	v_lshrrev_b16_e32 v9, 3, v15
	v_subrev_u32_e32 v12, 28, v10
	v_and_b32_e32 v9, 15, v9
	v_lshlrev_b32_e32 v12, v12, v15
	v_sub_u32_e32 v10, 29, v10
	v_and_b32_e32 v12, 7, v12
	v_cmp_eq_u16_e32 vcc, 0, v9
	v_cndmask_b32_e32 v8, v8, v12, vcc
	v_cndmask_b32_e32 v9, v9, v10, vcc
	v_lshlrev_b32_e32 v10, 24, v15
	v_mov_b32_e32 v12, 0x3b800000
	v_lshlrev_b32_e32 v8, 20, v8
	v_and_b32_e32 v10, 0x80000000, v10
	v_lshl_add_u32 v9, v9, 23, v12
	v_or3_b32 v8, v10, v9, v8
.LBB13_1892:
	s_or_b64 exec, exec, s[6:7]
	s_movk_i32 s4, 0x7f
	v_cmp_gt_i16_sdwa s[6:7], v11, s4 src0_sel:BYTE_0 src1_sel:DWORD
	s_mov_b64 s[4:5], 0
                                        ; implicit-def: $sgpr10
	s_and_saveexec_b64 s[8:9], s[6:7]
	s_xor_b64 s[6:7], exec, s[8:9]
	s_cbranch_execnz .LBB13_3941
; %bb.1893:
	s_or_saveexec_b64 s[6:7], s[6:7]
	v_mov_b32_e32 v9, s10
	s_xor_b64 exec, exec, s[6:7]
	s_cbranch_execnz .LBB13_3944
.LBB13_1894:
	s_or_b64 exec, exec, s[6:7]
	s_and_saveexec_b64 s[6:7], s[4:5]
	s_cbranch_execz .LBB13_1896
.LBB13_1895:
	v_and_b32_e32 v9, 7, v11
	v_ffbh_u32_e32 v12, v9
	v_min_u32_e32 v12, 32, v12
	v_lshrrev_b16_e32 v10, 3, v11
	v_subrev_u32_e32 v13, 28, v12
	v_and_b32_e32 v10, 15, v10
	v_lshlrev_b32_e32 v13, v13, v11
	v_sub_u32_e32 v12, 29, v12
	v_and_b32_e32 v13, 7, v13
	v_cmp_eq_u16_e32 vcc, 0, v10
	v_cndmask_b32_e32 v9, v9, v13, vcc
	v_cndmask_b32_e32 v10, v10, v12, vcc
	v_lshlrev_b32_e32 v12, 24, v11
	v_mov_b32_e32 v13, 0x3b800000
	v_lshlrev_b32_e32 v9, 20, v9
	v_and_b32_e32 v12, 0x80000000, v12
	v_lshl_add_u32 v10, v10, 23, v13
	v_or3_b32 v9, v12, v10, v9
.LBB13_1896:
	s_or_b64 exec, exec, s[6:7]
	s_nop 0
	v_mfma_f32_16x16x4f32 a[0:3], v8, v9, a[0:3]
	v_lshrrev_b32_e32 v9, 8, v15
	s_movk_i32 s4, 0x7f
	v_cmp_gt_i16_sdwa s[6:7], v9, s4 src0_sel:BYTE_0 src1_sel:DWORD
	s_mov_b64 s[4:5], 0
                                        ; implicit-def: $sgpr10
	s_and_saveexec_b64 s[8:9], s[6:7]
	s_xor_b64 s[6:7], exec, s[8:9]
	s_cbranch_execnz .LBB13_3945
; %bb.1897:
	s_or_saveexec_b64 s[6:7], s[6:7]
	v_mov_b32_e32 v8, s10
	s_xor_b64 exec, exec, s[6:7]
	s_cbranch_execnz .LBB13_3948
.LBB13_1898:
	s_or_b64 exec, exec, s[6:7]
	s_and_saveexec_b64 s[6:7], s[4:5]
	s_cbranch_execz .LBB13_1900
.LBB13_1899:
	v_bfe_u32 v8, v15, 8, 3
	v_ffbh_u32_e32 v12, v8
	v_min_u32_e32 v12, 32, v12
	v_lshrrev_b16_e32 v10, 3, v9
	v_subrev_u32_e32 v13, 28, v12
	v_and_b32_e32 v10, 15, v10
	v_lshlrev_b32_e32 v9, v13, v9
	v_sub_u32_e32 v12, 29, v12
	v_and_b32_e32 v9, 7, v9
	v_cmp_eq_u16_e32 vcc, 0, v10
	v_cndmask_b32_e32 v8, v8, v9, vcc
	v_cndmask_b32_e32 v9, v10, v12, vcc
	v_lshlrev_b32_e32 v10, 16, v15
	v_mov_b32_e32 v12, 0x3b800000
	v_lshlrev_b32_e32 v8, 20, v8
	v_and_b32_e32 v10, 0x80000000, v10
	v_lshl_add_u32 v9, v9, 23, v12
	v_or3_b32 v8, v10, v9, v8
.LBB13_1900:
	s_or_b64 exec, exec, s[6:7]
	v_lshrrev_b32_e32 v9, 8, v11
	s_movk_i32 s4, 0x7f
	v_cmp_gt_i16_sdwa s[6:7], v9, s4 src0_sel:BYTE_0 src1_sel:DWORD
	s_mov_b64 s[4:5], 0
                                        ; implicit-def: $sgpr10
	s_and_saveexec_b64 s[8:9], s[6:7]
	s_xor_b64 s[6:7], exec, s[8:9]
	s_cbranch_execnz .LBB13_3949
; %bb.1901:
	s_or_saveexec_b64 s[6:7], s[6:7]
	v_mov_b32_e32 v10, s10
	s_xor_b64 exec, exec, s[6:7]
	s_cbranch_execnz .LBB13_3952
.LBB13_1902:
	s_or_b64 exec, exec, s[6:7]
	s_and_saveexec_b64 s[6:7], s[4:5]
	s_cbranch_execz .LBB13_1904
.LBB13_1903:
	v_bfe_u32 v10, v11, 8, 3
	v_ffbh_u32_e32 v13, v10
	v_min_u32_e32 v13, 32, v13
	v_lshrrev_b16_e32 v12, 3, v9
	v_subrev_u32_e32 v14, 28, v13
	v_and_b32_e32 v12, 15, v12
	v_lshlrev_b32_e32 v9, v14, v9
	v_sub_u32_e32 v13, 29, v13
	v_and_b32_e32 v9, 7, v9
	v_cmp_eq_u16_e32 vcc, 0, v12
	v_cndmask_b32_e32 v9, v10, v9, vcc
	v_cndmask_b32_e32 v10, v12, v13, vcc
	v_lshlrev_b32_e32 v12, 16, v11
	v_mov_b32_e32 v13, 0x3b800000
	v_lshlrev_b32_e32 v9, 20, v9
	v_and_b32_e32 v12, 0x80000000, v12
	v_lshl_add_u32 v10, v10, 23, v13
	v_or3_b32 v10, v12, v10, v9
.LBB13_1904:
	s_or_b64 exec, exec, s[6:7]
	s_nop 0
	v_mfma_f32_16x16x4f32 a[0:3], v8, v10, a[0:3]
	s_movk_i32 s4, 0xff
	v_and_b32_sdwa v9, v15, s4 dst_sel:DWORD dst_unused:UNUSED_PAD src0_sel:WORD_1 src1_sel:DWORD
	s_movk_i32 s4, 0x7f
	v_cmp_lt_i16_e32 vcc, s4, v9
	s_mov_b64 s[4:5], 0
                                        ; implicit-def: $sgpr10
	s_and_saveexec_b64 s[6:7], vcc
	s_xor_b64 s[6:7], exec, s[6:7]
	s_cbranch_execnz .LBB13_3953
; %bb.1905:
	s_or_saveexec_b64 s[6:7], s[6:7]
	v_mov_b32_e32 v8, s10
	s_xor_b64 exec, exec, s[6:7]
	s_cbranch_execnz .LBB13_3956
.LBB13_1906:
	s_or_b64 exec, exec, s[6:7]
	s_and_saveexec_b64 s[6:7], s[4:5]
	s_cbranch_execz .LBB13_1908
.LBB13_1907:
	v_bfe_u32 v8, v15, 16, 3
	v_ffbh_u32_e32 v12, v8
	v_min_u32_e32 v12, 32, v12
	v_lshrrev_b32_e32 v9, 19, v15
	v_subrev_u32_e32 v13, 28, v12
	v_and_b32_e32 v9, 15, v9
	v_lshlrev_b32_sdwa v13, v13, v15 dst_sel:DWORD dst_unused:UNUSED_PAD src0_sel:DWORD src1_sel:WORD_1
	v_bfe_u32 v10, v15, 19, 4
	v_sub_u32_e32 v12, 29, v12
	v_and_b32_e32 v13, 7, v13
	v_cmp_eq_u16_e32 vcc, 0, v9
	v_cndmask_b32_e32 v8, v8, v13, vcc
	v_cndmask_b32_e32 v9, v10, v12, vcc
	v_lshlrev_b32_e32 v10, 8, v15
	v_mov_b32_e32 v12, 0x3b800000
	v_lshlrev_b32_e32 v8, 20, v8
	v_and_b32_e32 v10, 0x80000000, v10
	v_lshl_add_u32 v9, v9, 23, v12
	v_or3_b32 v8, v10, v9, v8
.LBB13_1908:
	s_or_b64 exec, exec, s[6:7]
	s_movk_i32 s4, 0xff
	v_and_b32_sdwa v9, v11, s4 dst_sel:DWORD dst_unused:UNUSED_PAD src0_sel:WORD_1 src1_sel:DWORD
	s_movk_i32 s4, 0x7f
	v_cmp_lt_i16_e32 vcc, s4, v9
	s_mov_b64 s[4:5], 0
                                        ; implicit-def: $sgpr10
	s_and_saveexec_b64 s[6:7], vcc
	s_xor_b64 s[6:7], exec, s[6:7]
	s_cbranch_execnz .LBB13_3957
; %bb.1909:
	s_or_saveexec_b64 s[6:7], s[6:7]
	v_mov_b32_e32 v10, s10
	s_xor_b64 exec, exec, s[6:7]
	s_cbranch_execnz .LBB13_3960
.LBB13_1910:
	s_or_b64 exec, exec, s[6:7]
	s_and_saveexec_b64 s[6:7], s[4:5]
	s_cbranch_execz .LBB13_1912
.LBB13_1911:
	v_bfe_u32 v9, v11, 16, 3
	v_ffbh_u32_e32 v13, v9
	v_min_u32_e32 v13, 32, v13
	v_lshrrev_b32_e32 v10, 19, v11
	v_subrev_u32_e32 v14, 28, v13
	v_and_b32_e32 v10, 15, v10
	v_lshlrev_b32_sdwa v14, v14, v11 dst_sel:DWORD dst_unused:UNUSED_PAD src0_sel:DWORD src1_sel:WORD_1
	v_bfe_u32 v12, v11, 19, 4
	v_sub_u32_e32 v13, 29, v13
	v_and_b32_e32 v14, 7, v14
	v_cmp_eq_u16_e32 vcc, 0, v10
	v_cndmask_b32_e32 v9, v9, v14, vcc
	v_cndmask_b32_e32 v10, v12, v13, vcc
	v_lshlrev_b32_e32 v12, 8, v11
	v_mov_b32_e32 v13, 0x3b800000
	v_lshlrev_b32_e32 v9, 20, v9
	v_and_b32_e32 v12, 0x80000000, v12
	v_lshl_add_u32 v10, v10, 23, v13
	v_or3_b32 v10, v12, v10, v9
.LBB13_1912:
	s_or_b64 exec, exec, s[6:7]
	s_nop 0
	v_mfma_f32_16x16x4f32 a[0:3], v8, v10, a[0:3]
	s_movk_i32 s4, 0x7f
	v_cmp_gt_i16_sdwa s[6:7], v15, s4 src0_sel:BYTE_3 src1_sel:DWORD
	s_mov_b64 s[4:5], 0
                                        ; implicit-def: $sgpr10
	s_and_saveexec_b64 s[8:9], s[6:7]
	s_xor_b64 s[6:7], exec, s[8:9]
	s_cbranch_execnz .LBB13_3961
; %bb.1913:
	s_or_saveexec_b64 s[6:7], s[6:7]
	v_mov_b32_e32 v8, s10
	s_xor_b64 exec, exec, s[6:7]
	s_cbranch_execnz .LBB13_3964
.LBB13_1914:
	s_or_b64 exec, exec, s[6:7]
	s_and_saveexec_b64 s[6:7], s[4:5]
	s_cbranch_execz .LBB13_1916
.LBB13_1915:
	v_bfe_u32 v8, v15, 24, 3
	v_ffbh_u32_e32 v13, v8
	v_min_u32_e32 v13, 32, v13
	v_lshrrev_b32_e32 v10, 27, v15
	v_subrev_u32_e32 v14, 28, v13
	v_and_b32_e32 v10, 15, v10
	v_lshlrev_b32_sdwa v14, v14, v15 dst_sel:DWORD dst_unused:UNUSED_PAD src0_sel:DWORD src1_sel:BYTE_3
	v_bfe_u32 v12, v15, 27, 4
	v_sub_u32_e32 v13, 29, v13
	v_and_b32_e32 v14, 7, v14
	v_cmp_eq_u16_e32 vcc, 0, v10
	v_cndmask_b32_e32 v8, v8, v14, vcc
	v_cndmask_b32_e32 v10, v12, v13, vcc
	v_mov_b32_e32 v12, 0x3b800000
	v_and_b32_e32 v9, 0x80000000, v15
	v_lshlrev_b32_e32 v8, 20, v8
	v_lshl_add_u32 v10, v10, 23, v12
	v_or3_b32 v8, v9, v10, v8
.LBB13_1916:
	s_or_b64 exec, exec, s[6:7]
	s_movk_i32 s4, 0x7f
	v_cmp_gt_i16_sdwa s[6:7], v11, s4 src0_sel:BYTE_3 src1_sel:DWORD
	s_mov_b64 s[4:5], 0
                                        ; implicit-def: $sgpr10
	s_and_saveexec_b64 s[8:9], s[6:7]
	s_xor_b64 s[6:7], exec, s[8:9]
	s_cbranch_execnz .LBB13_3965
; %bb.1917:
	s_or_saveexec_b64 s[6:7], s[6:7]
	v_mov_b32_e32 v9, s10
	s_xor_b64 exec, exec, s[6:7]
	s_cbranch_execnz .LBB13_3968
.LBB13_1918:
	s_or_b64 exec, exec, s[6:7]
	s_and_saveexec_b64 s[6:7], s[4:5]
	s_cbranch_execz .LBB13_1920
.LBB13_1919:
	v_bfe_u32 v9, v11, 24, 3
	v_ffbh_u32_e32 v14, v9
	v_min_u32_e32 v14, 32, v14
	v_lshrrev_b32_e32 v12, 27, v11
	v_subrev_u32_e32 v15, 28, v14
	v_and_b32_e32 v10, 0x80000000, v11
	v_and_b32_e32 v12, 15, v12
	v_bfe_u32 v13, v11, 27, 4
	v_lshlrev_b32_sdwa v11, v15, v11 dst_sel:DWORD dst_unused:UNUSED_PAD src0_sel:DWORD src1_sel:BYTE_3
	v_sub_u32_e32 v14, 29, v14
	v_and_b32_e32 v11, 7, v11
	v_cmp_eq_u16_e32 vcc, 0, v12
	v_cndmask_b32_e32 v9, v9, v11, vcc
	v_cndmask_b32_e32 v11, v13, v14, vcc
	v_mov_b32_e32 v12, 0x3b800000
	v_lshlrev_b32_e32 v9, 20, v9
	v_lshl_add_u32 v11, v11, 23, v12
	v_or3_b32 v9, v10, v11, v9
.LBB13_1920:
	s_or_b64 exec, exec, s[6:7]
	s_nop 0
	v_mfma_f32_16x16x4f32 a[0:3], v8, v9, a[0:3]
	s_movk_i32 s4, 0x7f
	v_cmp_gt_i16_sdwa s[6:7], v4, s4 src0_sel:BYTE_0 src1_sel:DWORD
	s_mov_b64 s[4:5], 0
                                        ; implicit-def: $sgpr10
	s_and_saveexec_b64 s[8:9], s[6:7]
	s_xor_b64 s[6:7], exec, s[8:9]
	s_cbranch_execnz .LBB13_3969
; %bb.1921:
	s_or_saveexec_b64 s[6:7], s[6:7]
	v_mov_b32_e32 v8, s10
	s_xor_b64 exec, exec, s[6:7]
	s_cbranch_execnz .LBB13_3972
.LBB13_1922:
	s_or_b64 exec, exec, s[6:7]
	s_and_saveexec_b64 s[6:7], s[4:5]
	s_cbranch_execz .LBB13_1924
.LBB13_1923:
	v_and_b32_e32 v8, 7, v4
	v_ffbh_u32_e32 v10, v8
	v_min_u32_e32 v10, 32, v10
	v_lshrrev_b16_e32 v9, 3, v4
	v_subrev_u32_e32 v11, 28, v10
	v_and_b32_e32 v9, 15, v9
	v_lshlrev_b32_e32 v11, v11, v4
	v_sub_u32_e32 v10, 29, v10
	v_and_b32_e32 v11, 7, v11
	v_cmp_eq_u16_e32 vcc, 0, v9
	v_cndmask_b32_e32 v8, v8, v11, vcc
	v_cndmask_b32_e32 v9, v9, v10, vcc
	v_lshlrev_b32_e32 v10, 24, v4
	v_mov_b32_e32 v11, 0x3b800000
	v_lshlrev_b32_e32 v8, 20, v8
	v_and_b32_e32 v10, 0x80000000, v10
	v_lshl_add_u32 v9, v9, 23, v11
	v_or3_b32 v8, v10, v9, v8
.LBB13_1924:
	s_or_b64 exec, exec, s[6:7]
	s_movk_i32 s4, 0x7f
	v_cmp_gt_i16_sdwa s[6:7], v0, s4 src0_sel:BYTE_0 src1_sel:DWORD
	s_mov_b64 s[4:5], 0
                                        ; implicit-def: $sgpr10
	s_and_saveexec_b64 s[8:9], s[6:7]
	s_xor_b64 s[6:7], exec, s[8:9]
	s_cbranch_execnz .LBB13_3973
; %bb.1925:
	s_or_saveexec_b64 s[6:7], s[6:7]
	v_mov_b32_e32 v9, s10
	s_xor_b64 exec, exec, s[6:7]
	s_cbranch_execnz .LBB13_3976
.LBB13_1926:
	s_or_b64 exec, exec, s[6:7]
	s_and_saveexec_b64 s[6:7], s[4:5]
	s_cbranch_execz .LBB13_1928
.LBB13_1927:
	v_and_b32_e32 v9, 7, v0
	v_ffbh_u32_e32 v11, v9
	v_min_u32_e32 v11, 32, v11
	v_lshrrev_b16_e32 v10, 3, v0
	v_subrev_u32_e32 v12, 28, v11
	v_and_b32_e32 v10, 15, v10
	v_lshlrev_b32_e32 v12, v12, v0
	v_sub_u32_e32 v11, 29, v11
	v_and_b32_e32 v12, 7, v12
	v_cmp_eq_u16_e32 vcc, 0, v10
	v_cndmask_b32_e32 v9, v9, v12, vcc
	v_cndmask_b32_e32 v10, v10, v11, vcc
	v_lshlrev_b32_e32 v11, 24, v0
	v_mov_b32_e32 v12, 0x3b800000
	v_lshlrev_b32_e32 v9, 20, v9
	v_and_b32_e32 v11, 0x80000000, v11
	v_lshl_add_u32 v10, v10, 23, v12
	v_or3_b32 v9, v11, v10, v9
.LBB13_1928:
	s_or_b64 exec, exec, s[6:7]
	s_nop 0
	v_mfma_f32_16x16x4f32 a[0:3], v8, v9, a[0:3]
	v_lshrrev_b32_e32 v9, 8, v4
	s_movk_i32 s4, 0x7f
	v_cmp_gt_i16_sdwa s[6:7], v9, s4 src0_sel:BYTE_0 src1_sel:DWORD
	s_mov_b64 s[4:5], 0
                                        ; implicit-def: $sgpr10
	s_and_saveexec_b64 s[8:9], s[6:7]
	s_xor_b64 s[6:7], exec, s[8:9]
	s_cbranch_execnz .LBB13_3977
; %bb.1929:
	s_or_saveexec_b64 s[6:7], s[6:7]
	v_mov_b32_e32 v8, s10
	s_xor_b64 exec, exec, s[6:7]
	s_cbranch_execnz .LBB13_3980
.LBB13_1930:
	s_or_b64 exec, exec, s[6:7]
	s_and_saveexec_b64 s[6:7], s[4:5]
	s_cbranch_execz .LBB13_1932
.LBB13_1931:
	v_bfe_u32 v8, v4, 8, 3
	v_ffbh_u32_e32 v11, v8
	v_min_u32_e32 v11, 32, v11
	v_lshrrev_b16_e32 v10, 3, v9
	v_subrev_u32_e32 v12, 28, v11
	v_and_b32_e32 v10, 15, v10
	v_lshlrev_b32_e32 v9, v12, v9
	v_sub_u32_e32 v11, 29, v11
	v_and_b32_e32 v9, 7, v9
	v_cmp_eq_u16_e32 vcc, 0, v10
	v_cndmask_b32_e32 v8, v8, v9, vcc
	v_cndmask_b32_e32 v9, v10, v11, vcc
	v_lshlrev_b32_e32 v10, 16, v4
	v_mov_b32_e32 v11, 0x3b800000
	v_lshlrev_b32_e32 v8, 20, v8
	v_and_b32_e32 v10, 0x80000000, v10
	v_lshl_add_u32 v9, v9, 23, v11
	v_or3_b32 v8, v10, v9, v8
.LBB13_1932:
	s_or_b64 exec, exec, s[6:7]
	v_lshrrev_b32_e32 v9, 8, v0
	s_movk_i32 s4, 0x7f
	v_cmp_gt_i16_sdwa s[6:7], v9, s4 src0_sel:BYTE_0 src1_sel:DWORD
	s_mov_b64 s[4:5], 0
                                        ; implicit-def: $sgpr10
	s_and_saveexec_b64 s[8:9], s[6:7]
	s_xor_b64 s[6:7], exec, s[8:9]
	s_cbranch_execnz .LBB13_3981
; %bb.1933:
	s_or_saveexec_b64 s[6:7], s[6:7]
	v_mov_b32_e32 v10, s10
	s_xor_b64 exec, exec, s[6:7]
	s_cbranch_execnz .LBB13_3984
.LBB13_1934:
	s_or_b64 exec, exec, s[6:7]
	s_and_saveexec_b64 s[6:7], s[4:5]
	s_cbranch_execz .LBB13_1936
.LBB13_1935:
	v_bfe_u32 v10, v0, 8, 3
	v_ffbh_u32_e32 v12, v10
	v_min_u32_e32 v12, 32, v12
	v_lshrrev_b16_e32 v11, 3, v9
	v_subrev_u32_e32 v13, 28, v12
	v_and_b32_e32 v11, 15, v11
	v_lshlrev_b32_e32 v9, v13, v9
	v_sub_u32_e32 v12, 29, v12
	v_and_b32_e32 v9, 7, v9
	v_cmp_eq_u16_e32 vcc, 0, v11
	v_cndmask_b32_e32 v9, v10, v9, vcc
	v_cndmask_b32_e32 v10, v11, v12, vcc
	v_lshlrev_b32_e32 v11, 16, v0
	v_mov_b32_e32 v12, 0x3b800000
	v_lshlrev_b32_e32 v9, 20, v9
	v_and_b32_e32 v11, 0x80000000, v11
	v_lshl_add_u32 v10, v10, 23, v12
	v_or3_b32 v10, v11, v10, v9
.LBB13_1936:
	s_or_b64 exec, exec, s[6:7]
	s_nop 0
	v_mfma_f32_16x16x4f32 a[0:3], v8, v10, a[0:3]
	s_movk_i32 s4, 0xff
	v_and_b32_sdwa v9, v4, s4 dst_sel:DWORD dst_unused:UNUSED_PAD src0_sel:WORD_1 src1_sel:DWORD
	s_movk_i32 s4, 0x7f
	v_cmp_lt_i16_e32 vcc, s4, v9
	s_mov_b64 s[4:5], 0
                                        ; implicit-def: $sgpr10
	s_and_saveexec_b64 s[6:7], vcc
	s_xor_b64 s[6:7], exec, s[6:7]
	s_cbranch_execnz .LBB13_3985
; %bb.1937:
	s_or_saveexec_b64 s[6:7], s[6:7]
	v_mov_b32_e32 v8, s10
	s_xor_b64 exec, exec, s[6:7]
	s_cbranch_execnz .LBB13_3988
.LBB13_1938:
	s_or_b64 exec, exec, s[6:7]
	s_and_saveexec_b64 s[6:7], s[4:5]
	s_cbranch_execz .LBB13_1940
.LBB13_1939:
	v_bfe_u32 v8, v4, 16, 3
	v_ffbh_u32_e32 v11, v8
	v_min_u32_e32 v11, 32, v11
	v_lshrrev_b32_e32 v9, 19, v4
	v_subrev_u32_e32 v12, 28, v11
	v_and_b32_e32 v9, 15, v9
	v_lshlrev_b32_sdwa v12, v12, v4 dst_sel:DWORD dst_unused:UNUSED_PAD src0_sel:DWORD src1_sel:WORD_1
	v_bfe_u32 v10, v4, 19, 4
	v_sub_u32_e32 v11, 29, v11
	v_and_b32_e32 v12, 7, v12
	v_cmp_eq_u16_e32 vcc, 0, v9
	v_cndmask_b32_e32 v8, v8, v12, vcc
	v_cndmask_b32_e32 v9, v10, v11, vcc
	v_lshlrev_b32_e32 v10, 8, v4
	v_mov_b32_e32 v11, 0x3b800000
	v_lshlrev_b32_e32 v8, 20, v8
	v_and_b32_e32 v10, 0x80000000, v10
	v_lshl_add_u32 v9, v9, 23, v11
	v_or3_b32 v8, v10, v9, v8
.LBB13_1940:
	s_or_b64 exec, exec, s[6:7]
	s_movk_i32 s4, 0xff
	v_and_b32_sdwa v9, v0, s4 dst_sel:DWORD dst_unused:UNUSED_PAD src0_sel:WORD_1 src1_sel:DWORD
	s_movk_i32 s4, 0x7f
	v_cmp_lt_i16_e32 vcc, s4, v9
	s_mov_b64 s[4:5], 0
                                        ; implicit-def: $sgpr10
	s_and_saveexec_b64 s[6:7], vcc
	s_xor_b64 s[6:7], exec, s[6:7]
	s_cbranch_execnz .LBB13_3989
; %bb.1941:
	s_or_saveexec_b64 s[6:7], s[6:7]
	v_mov_b32_e32 v10, s10
	s_xor_b64 exec, exec, s[6:7]
	s_cbranch_execnz .LBB13_3992
.LBB13_1942:
	s_or_b64 exec, exec, s[6:7]
	s_and_saveexec_b64 s[6:7], s[4:5]
	s_cbranch_execz .LBB13_1944
.LBB13_1943:
	v_bfe_u32 v9, v0, 16, 3
	v_ffbh_u32_e32 v12, v9
	v_min_u32_e32 v12, 32, v12
	v_lshrrev_b32_e32 v10, 19, v0
	v_subrev_u32_e32 v13, 28, v12
	v_and_b32_e32 v10, 15, v10
	v_lshlrev_b32_sdwa v13, v13, v0 dst_sel:DWORD dst_unused:UNUSED_PAD src0_sel:DWORD src1_sel:WORD_1
	v_bfe_u32 v11, v0, 19, 4
	v_sub_u32_e32 v12, 29, v12
	v_and_b32_e32 v13, 7, v13
	v_cmp_eq_u16_e32 vcc, 0, v10
	v_cndmask_b32_e32 v9, v9, v13, vcc
	v_cndmask_b32_e32 v10, v11, v12, vcc
	v_lshlrev_b32_e32 v11, 8, v0
	v_mov_b32_e32 v12, 0x3b800000
	v_lshlrev_b32_e32 v9, 20, v9
	v_and_b32_e32 v11, 0x80000000, v11
	v_lshl_add_u32 v10, v10, 23, v12
	v_or3_b32 v10, v11, v10, v9
.LBB13_1944:
	s_or_b64 exec, exec, s[6:7]
	s_nop 0
	v_mfma_f32_16x16x4f32 a[0:3], v8, v10, a[0:3]
	s_movk_i32 s4, 0x7f
	v_cmp_gt_i16_sdwa s[6:7], v4, s4 src0_sel:BYTE_3 src1_sel:DWORD
	s_mov_b64 s[4:5], 0
                                        ; implicit-def: $sgpr10
	s_and_saveexec_b64 s[8:9], s[6:7]
	s_xor_b64 s[6:7], exec, s[8:9]
	s_cbranch_execnz .LBB13_3993
; %bb.1945:
	s_or_saveexec_b64 s[6:7], s[6:7]
	v_mov_b32_e32 v8, s10
	s_xor_b64 exec, exec, s[6:7]
	s_cbranch_execnz .LBB13_3996
.LBB13_1946:
	s_or_b64 exec, exec, s[6:7]
	s_and_saveexec_b64 s[6:7], s[4:5]
	s_cbranch_execz .LBB13_1948
.LBB13_1947:
	v_bfe_u32 v8, v4, 24, 3
	v_ffbh_u32_e32 v12, v8
	v_min_u32_e32 v12, 32, v12
	v_lshrrev_b32_e32 v10, 27, v4
	v_subrev_u32_e32 v13, 28, v12
	v_and_b32_e32 v9, 0x80000000, v4
	v_and_b32_e32 v10, 15, v10
	v_bfe_u32 v11, v4, 27, 4
	v_lshlrev_b32_sdwa v4, v13, v4 dst_sel:DWORD dst_unused:UNUSED_PAD src0_sel:DWORD src1_sel:BYTE_3
	v_sub_u32_e32 v12, 29, v12
	v_and_b32_e32 v4, 7, v4
	v_cmp_eq_u16_e32 vcc, 0, v10
	v_cndmask_b32_e32 v4, v8, v4, vcc
	v_cndmask_b32_e32 v8, v11, v12, vcc
	v_mov_b32_e32 v10, 0x3b800000
	v_lshlrev_b32_e32 v4, 20, v4
	v_lshl_add_u32 v8, v8, 23, v10
	v_or3_b32 v8, v9, v8, v4
.LBB13_1948:
	s_or_b64 exec, exec, s[6:7]
	s_movk_i32 s4, 0x7f
	v_cmp_gt_i16_sdwa s[6:7], v0, s4 src0_sel:BYTE_3 src1_sel:DWORD
	s_mov_b64 s[4:5], 0
                                        ; implicit-def: $sgpr10
	s_and_saveexec_b64 s[8:9], s[6:7]
	s_xor_b64 s[6:7], exec, s[8:9]
	s_cbranch_execnz .LBB13_3997
; %bb.1949:
	s_or_saveexec_b64 s[6:7], s[6:7]
	v_mov_b32_e32 v4, s10
	s_xor_b64 exec, exec, s[6:7]
	s_cbranch_execnz .LBB13_4000
.LBB13_1950:
	s_or_b64 exec, exec, s[6:7]
	s_and_saveexec_b64 s[6:7], s[4:5]
	s_cbranch_execz .LBB13_1952
.LBB13_1951:
	v_bfe_u32 v4, v0, 24, 3
	v_ffbh_u32_e32 v12, v4
	v_min_u32_e32 v12, 32, v12
	v_lshrrev_b32_e32 v10, 27, v0
	v_subrev_u32_e32 v13, 28, v12
	v_and_b32_e32 v9, 0x80000000, v0
	v_and_b32_e32 v10, 15, v10
	v_bfe_u32 v11, v0, 27, 4
	v_lshlrev_b32_sdwa v0, v13, v0 dst_sel:DWORD dst_unused:UNUSED_PAD src0_sel:DWORD src1_sel:BYTE_3
	v_sub_u32_e32 v12, 29, v12
	v_and_b32_e32 v0, 7, v0
	v_cmp_eq_u16_e32 vcc, 0, v10
	v_cndmask_b32_e32 v0, v4, v0, vcc
	v_cndmask_b32_e32 v4, v11, v12, vcc
	v_mov_b32_e32 v10, 0x3b800000
	v_lshlrev_b32_e32 v0, 20, v0
	v_lshl_add_u32 v4, v4, 23, v10
	v_or3_b32 v4, v9, v4, v0
.LBB13_1952:
	s_or_b64 exec, exec, s[6:7]
	s_nop 0
	v_mfma_f32_16x16x4f32 a[0:3], v8, v4, a[0:3]
	s_movk_i32 s4, 0x7f
	v_cmp_gt_i16_sdwa s[6:7], v5, s4 src0_sel:BYTE_0 src1_sel:DWORD
	s_mov_b64 s[4:5], 0
                                        ; implicit-def: $sgpr10
	s_and_saveexec_b64 s[8:9], s[6:7]
	s_xor_b64 s[6:7], exec, s[8:9]
	s_cbranch_execnz .LBB13_4001
; %bb.1953:
	s_or_saveexec_b64 s[6:7], s[6:7]
	v_mov_b32_e32 v0, s10
	s_xor_b64 exec, exec, s[6:7]
	s_cbranch_execnz .LBB13_4004
.LBB13_1954:
	s_or_b64 exec, exec, s[6:7]
	s_and_saveexec_b64 s[6:7], s[4:5]
	s_cbranch_execz .LBB13_1956
.LBB13_1955:
	v_and_b32_e32 v0, 7, v5
	v_ffbh_u32_e32 v8, v0
	v_min_u32_e32 v8, 32, v8
	v_lshrrev_b16_e32 v4, 3, v5
	v_subrev_u32_e32 v9, 28, v8
	v_and_b32_e32 v4, 15, v4
	v_lshlrev_b32_e32 v9, v9, v5
	v_sub_u32_e32 v8, 29, v8
	v_and_b32_e32 v9, 7, v9
	v_cmp_eq_u16_e32 vcc, 0, v4
	v_cndmask_b32_e32 v0, v0, v9, vcc
	v_cndmask_b32_e32 v4, v4, v8, vcc
	v_lshlrev_b32_e32 v8, 24, v5
	v_mov_b32_e32 v9, 0x3b800000
	v_lshlrev_b32_e32 v0, 20, v0
	v_and_b32_e32 v8, 0x80000000, v8
	v_lshl_add_u32 v4, v4, 23, v9
	v_or3_b32 v0, v8, v4, v0
.LBB13_1956:
	s_or_b64 exec, exec, s[6:7]
	s_movk_i32 s4, 0x7f
	v_cmp_gt_i16_sdwa s[6:7], v1, s4 src0_sel:BYTE_0 src1_sel:DWORD
	s_mov_b64 s[4:5], 0
                                        ; implicit-def: $sgpr10
	s_and_saveexec_b64 s[8:9], s[6:7]
	s_xor_b64 s[6:7], exec, s[8:9]
	s_cbranch_execnz .LBB13_4005
; %bb.1957:
	s_or_saveexec_b64 s[6:7], s[6:7]
	v_mov_b32_e32 v4, s10
	s_xor_b64 exec, exec, s[6:7]
	s_cbranch_execnz .LBB13_4008
.LBB13_1958:
	s_or_b64 exec, exec, s[6:7]
	s_and_saveexec_b64 s[6:7], s[4:5]
	s_cbranch_execz .LBB13_1960
.LBB13_1959:
	v_and_b32_e32 v4, 7, v1
	v_ffbh_u32_e32 v9, v4
	v_min_u32_e32 v9, 32, v9
	v_lshrrev_b16_e32 v8, 3, v1
	v_subrev_u32_e32 v10, 28, v9
	v_and_b32_e32 v8, 15, v8
	v_lshlrev_b32_e32 v10, v10, v1
	v_sub_u32_e32 v9, 29, v9
	v_and_b32_e32 v10, 7, v10
	v_cmp_eq_u16_e32 vcc, 0, v8
	v_cndmask_b32_e32 v4, v4, v10, vcc
	v_cndmask_b32_e32 v8, v8, v9, vcc
	v_lshlrev_b32_e32 v9, 24, v1
	v_mov_b32_e32 v10, 0x3b800000
	v_lshlrev_b32_e32 v4, 20, v4
	v_and_b32_e32 v9, 0x80000000, v9
	v_lshl_add_u32 v8, v8, 23, v10
	v_or3_b32 v4, v9, v8, v4
.LBB13_1960:
	s_or_b64 exec, exec, s[6:7]
	s_nop 0
	v_mfma_f32_16x16x4f32 a[0:3], v0, v4, a[0:3]
	v_lshrrev_b32_e32 v4, 8, v5
	s_movk_i32 s4, 0x7f
	v_cmp_gt_i16_sdwa s[6:7], v4, s4 src0_sel:BYTE_0 src1_sel:DWORD
	s_mov_b64 s[4:5], 0
                                        ; implicit-def: $sgpr10
	s_and_saveexec_b64 s[8:9], s[6:7]
	s_xor_b64 s[6:7], exec, s[8:9]
	s_cbranch_execnz .LBB13_4009
; %bb.1961:
	s_or_saveexec_b64 s[6:7], s[6:7]
	v_mov_b32_e32 v0, s10
	s_xor_b64 exec, exec, s[6:7]
	s_cbranch_execnz .LBB13_4012
.LBB13_1962:
	s_or_b64 exec, exec, s[6:7]
	s_and_saveexec_b64 s[6:7], s[4:5]
	s_cbranch_execz .LBB13_1964
.LBB13_1963:
	v_bfe_u32 v0, v5, 8, 3
	v_ffbh_u32_e32 v9, v0
	v_min_u32_e32 v9, 32, v9
	v_lshrrev_b16_e32 v8, 3, v4
	v_subrev_u32_e32 v10, 28, v9
	v_and_b32_e32 v8, 15, v8
	v_lshlrev_b32_e32 v4, v10, v4
	v_sub_u32_e32 v9, 29, v9
	v_and_b32_e32 v4, 7, v4
	v_cmp_eq_u16_e32 vcc, 0, v8
	v_cndmask_b32_e32 v0, v0, v4, vcc
	v_cndmask_b32_e32 v4, v8, v9, vcc
	v_lshlrev_b32_e32 v8, 16, v5
	v_mov_b32_e32 v9, 0x3b800000
	v_lshlrev_b32_e32 v0, 20, v0
	v_and_b32_e32 v8, 0x80000000, v8
	v_lshl_add_u32 v4, v4, 23, v9
	v_or3_b32 v0, v8, v4, v0
.LBB13_1964:
	s_or_b64 exec, exec, s[6:7]
	v_lshrrev_b32_e32 v4, 8, v1
	s_movk_i32 s4, 0x7f
	v_cmp_gt_i16_sdwa s[6:7], v4, s4 src0_sel:BYTE_0 src1_sel:DWORD
	s_mov_b64 s[4:5], 0
                                        ; implicit-def: $sgpr10
	s_and_saveexec_b64 s[8:9], s[6:7]
	s_xor_b64 s[6:7], exec, s[8:9]
	s_cbranch_execnz .LBB13_4013
; %bb.1965:
	s_or_saveexec_b64 s[6:7], s[6:7]
	v_mov_b32_e32 v8, s10
	s_xor_b64 exec, exec, s[6:7]
	s_cbranch_execnz .LBB13_4016
.LBB13_1966:
	s_or_b64 exec, exec, s[6:7]
	s_and_saveexec_b64 s[6:7], s[4:5]
	s_cbranch_execz .LBB13_1968
.LBB13_1967:
	v_bfe_u32 v8, v1, 8, 3
	v_ffbh_u32_e32 v10, v8
	v_min_u32_e32 v10, 32, v10
	v_lshrrev_b16_e32 v9, 3, v4
	v_subrev_u32_e32 v11, 28, v10
	v_and_b32_e32 v9, 15, v9
	v_lshlrev_b32_e32 v4, v11, v4
	v_sub_u32_e32 v10, 29, v10
	v_and_b32_e32 v4, 7, v4
	v_cmp_eq_u16_e32 vcc, 0, v9
	v_cndmask_b32_e32 v4, v8, v4, vcc
	v_cndmask_b32_e32 v8, v9, v10, vcc
	v_lshlrev_b32_e32 v9, 16, v1
	v_mov_b32_e32 v10, 0x3b800000
	v_lshlrev_b32_e32 v4, 20, v4
	v_and_b32_e32 v9, 0x80000000, v9
	v_lshl_add_u32 v8, v8, 23, v10
	v_or3_b32 v8, v9, v8, v4
.LBB13_1968:
	s_or_b64 exec, exec, s[6:7]
	s_nop 0
	v_mfma_f32_16x16x4f32 a[0:3], v0, v8, a[0:3]
	s_movk_i32 s4, 0xff
	v_and_b32_sdwa v4, v5, s4 dst_sel:DWORD dst_unused:UNUSED_PAD src0_sel:WORD_1 src1_sel:DWORD
	s_movk_i32 s4, 0x7f
	v_cmp_lt_i16_e32 vcc, s4, v4
	s_mov_b64 s[4:5], 0
                                        ; implicit-def: $sgpr10
	s_and_saveexec_b64 s[6:7], vcc
	s_xor_b64 s[6:7], exec, s[6:7]
	s_cbranch_execnz .LBB13_4017
; %bb.1969:
	s_or_saveexec_b64 s[6:7], s[6:7]
	v_mov_b32_e32 v0, s10
	s_xor_b64 exec, exec, s[6:7]
	s_cbranch_execnz .LBB13_4020
.LBB13_1970:
	s_or_b64 exec, exec, s[6:7]
	s_and_saveexec_b64 s[6:7], s[4:5]
	s_cbranch_execz .LBB13_1972
.LBB13_1971:
	v_bfe_u32 v0, v5, 16, 3
	v_ffbh_u32_e32 v9, v0
	v_min_u32_e32 v9, 32, v9
	v_lshrrev_b32_e32 v4, 19, v5
	v_subrev_u32_e32 v10, 28, v9
	v_and_b32_e32 v4, 15, v4
	v_lshlrev_b32_sdwa v10, v10, v5 dst_sel:DWORD dst_unused:UNUSED_PAD src0_sel:DWORD src1_sel:WORD_1
	v_bfe_u32 v8, v5, 19, 4
	v_sub_u32_e32 v9, 29, v9
	v_and_b32_e32 v10, 7, v10
	v_cmp_eq_u16_e32 vcc, 0, v4
	v_cndmask_b32_e32 v0, v0, v10, vcc
	v_cndmask_b32_e32 v4, v8, v9, vcc
	v_lshlrev_b32_e32 v8, 8, v5
	v_mov_b32_e32 v9, 0x3b800000
	v_lshlrev_b32_e32 v0, 20, v0
	v_and_b32_e32 v8, 0x80000000, v8
	v_lshl_add_u32 v4, v4, 23, v9
	v_or3_b32 v0, v8, v4, v0
.LBB13_1972:
	s_or_b64 exec, exec, s[6:7]
	s_movk_i32 s4, 0xff
	v_and_b32_sdwa v4, v1, s4 dst_sel:DWORD dst_unused:UNUSED_PAD src0_sel:WORD_1 src1_sel:DWORD
	s_movk_i32 s4, 0x7f
	v_cmp_lt_i16_e32 vcc, s4, v4
	s_mov_b64 s[4:5], 0
                                        ; implicit-def: $sgpr10
	s_and_saveexec_b64 s[6:7], vcc
	s_xor_b64 s[6:7], exec, s[6:7]
	s_cbranch_execnz .LBB13_4021
; %bb.1973:
	s_or_saveexec_b64 s[6:7], s[6:7]
	v_mov_b32_e32 v8, s10
	s_xor_b64 exec, exec, s[6:7]
	s_cbranch_execnz .LBB13_4024
.LBB13_1974:
	s_or_b64 exec, exec, s[6:7]
	s_and_saveexec_b64 s[6:7], s[4:5]
	s_cbranch_execz .LBB13_1976
.LBB13_1975:
	v_bfe_u32 v4, v1, 16, 3
	v_ffbh_u32_e32 v10, v4
	v_min_u32_e32 v10, 32, v10
	v_lshrrev_b32_e32 v8, 19, v1
	v_subrev_u32_e32 v11, 28, v10
	v_and_b32_e32 v8, 15, v8
	v_lshlrev_b32_sdwa v11, v11, v1 dst_sel:DWORD dst_unused:UNUSED_PAD src0_sel:DWORD src1_sel:WORD_1
	v_bfe_u32 v9, v1, 19, 4
	v_sub_u32_e32 v10, 29, v10
	v_and_b32_e32 v11, 7, v11
	v_cmp_eq_u16_e32 vcc, 0, v8
	v_cndmask_b32_e32 v4, v4, v11, vcc
	v_cndmask_b32_e32 v8, v9, v10, vcc
	v_lshlrev_b32_e32 v9, 8, v1
	v_mov_b32_e32 v10, 0x3b800000
	v_lshlrev_b32_e32 v4, 20, v4
	v_and_b32_e32 v9, 0x80000000, v9
	v_lshl_add_u32 v8, v8, 23, v10
	v_or3_b32 v8, v9, v8, v4
.LBB13_1976:
	s_or_b64 exec, exec, s[6:7]
	s_nop 0
	v_mfma_f32_16x16x4f32 a[0:3], v0, v8, a[0:3]
	s_movk_i32 s4, 0x7f
	v_cmp_gt_i16_sdwa s[6:7], v5, s4 src0_sel:BYTE_3 src1_sel:DWORD
	s_mov_b64 s[4:5], 0
                                        ; implicit-def: $sgpr10
	s_and_saveexec_b64 s[8:9], s[6:7]
	s_xor_b64 s[6:7], exec, s[8:9]
	s_cbranch_execnz .LBB13_4025
; %bb.1977:
	s_or_saveexec_b64 s[6:7], s[6:7]
	v_mov_b32_e32 v0, s10
	s_xor_b64 exec, exec, s[6:7]
	s_cbranch_execnz .LBB13_4028
.LBB13_1978:
	s_or_b64 exec, exec, s[6:7]
	s_and_saveexec_b64 s[6:7], s[4:5]
	s_cbranch_execz .LBB13_1980
.LBB13_1979:
	v_bfe_u32 v0, v5, 24, 3
	v_ffbh_u32_e32 v10, v0
	v_min_u32_e32 v10, 32, v10
	v_lshrrev_b32_e32 v8, 27, v5
	v_subrev_u32_e32 v11, 28, v10
	v_and_b32_e32 v4, 0x80000000, v5
	v_and_b32_e32 v8, 15, v8
	v_bfe_u32 v9, v5, 27, 4
	v_lshlrev_b32_sdwa v5, v11, v5 dst_sel:DWORD dst_unused:UNUSED_PAD src0_sel:DWORD src1_sel:BYTE_3
	v_sub_u32_e32 v10, 29, v10
	v_and_b32_e32 v5, 7, v5
	v_cmp_eq_u16_e32 vcc, 0, v8
	v_cndmask_b32_e32 v0, v0, v5, vcc
	v_cndmask_b32_e32 v5, v9, v10, vcc
	v_mov_b32_e32 v8, 0x3b800000
	v_lshlrev_b32_e32 v0, 20, v0
	v_lshl_add_u32 v5, v5, 23, v8
	v_or3_b32 v0, v4, v5, v0
.LBB13_1980:
	s_or_b64 exec, exec, s[6:7]
	s_movk_i32 s4, 0x7f
	v_cmp_gt_i16_sdwa s[6:7], v1, s4 src0_sel:BYTE_3 src1_sel:DWORD
	s_mov_b64 s[4:5], 0
                                        ; implicit-def: $sgpr10
	s_and_saveexec_b64 s[8:9], s[6:7]
	s_xor_b64 s[6:7], exec, s[8:9]
	s_cbranch_execnz .LBB13_4029
; %bb.1981:
	s_or_saveexec_b64 s[6:7], s[6:7]
	v_mov_b32_e32 v4, s10
	s_xor_b64 exec, exec, s[6:7]
	s_cbranch_execnz .LBB13_4032
.LBB13_1982:
	s_or_b64 exec, exec, s[6:7]
	s_and_saveexec_b64 s[6:7], s[4:5]
	s_cbranch_execz .LBB13_1984
.LBB13_1983:
	v_bfe_u32 v4, v1, 24, 3
	v_ffbh_u32_e32 v10, v4
	v_min_u32_e32 v10, 32, v10
	v_lshrrev_b32_e32 v8, 27, v1
	v_subrev_u32_e32 v11, 28, v10
	v_and_b32_e32 v5, 0x80000000, v1
	v_and_b32_e32 v8, 15, v8
	v_bfe_u32 v9, v1, 27, 4
	v_lshlrev_b32_sdwa v1, v11, v1 dst_sel:DWORD dst_unused:UNUSED_PAD src0_sel:DWORD src1_sel:BYTE_3
	v_sub_u32_e32 v10, 29, v10
	v_and_b32_e32 v1, 7, v1
	v_cmp_eq_u16_e32 vcc, 0, v8
	v_cndmask_b32_e32 v1, v4, v1, vcc
	v_cndmask_b32_e32 v4, v9, v10, vcc
	v_mov_b32_e32 v8, 0x3b800000
	v_lshlrev_b32_e32 v1, 20, v1
	v_lshl_add_u32 v4, v4, 23, v8
	v_or3_b32 v4, v5, v4, v1
.LBB13_1984:
	s_or_b64 exec, exec, s[6:7]
	s_nop 0
	v_mfma_f32_16x16x4f32 a[0:3], v0, v4, a[0:3]
	s_movk_i32 s4, 0x7f
	v_cmp_gt_i16_sdwa s[6:7], v6, s4 src0_sel:BYTE_0 src1_sel:DWORD
	s_mov_b64 s[4:5], 0
                                        ; implicit-def: $sgpr10
	s_and_saveexec_b64 s[8:9], s[6:7]
	s_xor_b64 s[6:7], exec, s[8:9]
	s_cbranch_execnz .LBB13_4033
; %bb.1985:
	s_or_saveexec_b64 s[6:7], s[6:7]
	v_mov_b32_e32 v0, s10
	s_xor_b64 exec, exec, s[6:7]
	s_cbranch_execnz .LBB13_4036
.LBB13_1986:
	s_or_b64 exec, exec, s[6:7]
	s_and_saveexec_b64 s[6:7], s[4:5]
	s_cbranch_execz .LBB13_1988
.LBB13_1987:
	v_and_b32_e32 v0, 7, v6
	v_ffbh_u32_e32 v4, v0
	v_min_u32_e32 v4, 32, v4
	v_lshrrev_b16_e32 v1, 3, v6
	v_subrev_u32_e32 v5, 28, v4
	v_and_b32_e32 v1, 15, v1
	v_lshlrev_b32_e32 v5, v5, v6
	v_sub_u32_e32 v4, 29, v4
	v_and_b32_e32 v5, 7, v5
	v_cmp_eq_u16_e32 vcc, 0, v1
	v_cndmask_b32_e32 v0, v0, v5, vcc
	v_cndmask_b32_e32 v1, v1, v4, vcc
	v_lshlrev_b32_e32 v4, 24, v6
	v_mov_b32_e32 v5, 0x3b800000
	v_lshlrev_b32_e32 v0, 20, v0
	v_and_b32_e32 v4, 0x80000000, v4
	v_lshl_add_u32 v1, v1, 23, v5
	v_or3_b32 v0, v4, v1, v0
.LBB13_1988:
	s_or_b64 exec, exec, s[6:7]
	s_movk_i32 s4, 0x7f
	v_cmp_gt_i16_sdwa s[6:7], v2, s4 src0_sel:BYTE_0 src1_sel:DWORD
	s_mov_b64 s[4:5], 0
                                        ; implicit-def: $sgpr10
	s_and_saveexec_b64 s[8:9], s[6:7]
	s_xor_b64 s[6:7], exec, s[8:9]
	s_cbranch_execnz .LBB13_4037
; %bb.1989:
	s_or_saveexec_b64 s[6:7], s[6:7]
	v_mov_b32_e32 v1, s10
	s_xor_b64 exec, exec, s[6:7]
	s_cbranch_execnz .LBB13_4040
.LBB13_1990:
	s_or_b64 exec, exec, s[6:7]
	s_and_saveexec_b64 s[6:7], s[4:5]
	s_cbranch_execz .LBB13_1992
.LBB13_1991:
	v_and_b32_e32 v1, 7, v2
	v_ffbh_u32_e32 v5, v1
	v_min_u32_e32 v5, 32, v5
	v_lshrrev_b16_e32 v4, 3, v2
	v_subrev_u32_e32 v8, 28, v5
	v_and_b32_e32 v4, 15, v4
	v_lshlrev_b32_e32 v8, v8, v2
	v_sub_u32_e32 v5, 29, v5
	v_and_b32_e32 v8, 7, v8
	v_cmp_eq_u16_e32 vcc, 0, v4
	v_cndmask_b32_e32 v1, v1, v8, vcc
	v_cndmask_b32_e32 v4, v4, v5, vcc
	v_lshlrev_b32_e32 v5, 24, v2
	v_mov_b32_e32 v8, 0x3b800000
	v_lshlrev_b32_e32 v1, 20, v1
	v_and_b32_e32 v5, 0x80000000, v5
	v_lshl_add_u32 v4, v4, 23, v8
	v_or3_b32 v1, v5, v4, v1
.LBB13_1992:
	s_or_b64 exec, exec, s[6:7]
	s_nop 0
	v_mfma_f32_16x16x4f32 a[0:3], v0, v1, a[0:3]
	v_lshrrev_b32_e32 v1, 8, v6
	s_movk_i32 s4, 0x7f
	v_cmp_gt_i16_sdwa s[6:7], v1, s4 src0_sel:BYTE_0 src1_sel:DWORD
	s_mov_b64 s[4:5], 0
                                        ; implicit-def: $sgpr10
	s_and_saveexec_b64 s[8:9], s[6:7]
	s_xor_b64 s[6:7], exec, s[8:9]
	s_cbranch_execnz .LBB13_4041
; %bb.1993:
	s_or_saveexec_b64 s[6:7], s[6:7]
	v_mov_b32_e32 v0, s10
	s_xor_b64 exec, exec, s[6:7]
	s_cbranch_execnz .LBB13_4044
.LBB13_1994:
	s_or_b64 exec, exec, s[6:7]
	s_and_saveexec_b64 s[6:7], s[4:5]
	s_cbranch_execz .LBB13_1996
.LBB13_1995:
	v_bfe_u32 v0, v6, 8, 3
	v_ffbh_u32_e32 v5, v0
	v_min_u32_e32 v5, 32, v5
	v_lshrrev_b16_e32 v4, 3, v1
	v_subrev_u32_e32 v8, 28, v5
	v_and_b32_e32 v4, 15, v4
	v_lshlrev_b32_e32 v1, v8, v1
	v_sub_u32_e32 v5, 29, v5
	v_and_b32_e32 v1, 7, v1
	v_cmp_eq_u16_e32 vcc, 0, v4
	v_cndmask_b32_e32 v0, v0, v1, vcc
	v_cndmask_b32_e32 v1, v4, v5, vcc
	v_lshlrev_b32_e32 v4, 16, v6
	v_mov_b32_e32 v5, 0x3b800000
	v_lshlrev_b32_e32 v0, 20, v0
	v_and_b32_e32 v4, 0x80000000, v4
	v_lshl_add_u32 v1, v1, 23, v5
	v_or3_b32 v0, v4, v1, v0
.LBB13_1996:
	s_or_b64 exec, exec, s[6:7]
	v_lshrrev_b32_e32 v1, 8, v2
	s_movk_i32 s4, 0x7f
	v_cmp_gt_i16_sdwa s[6:7], v1, s4 src0_sel:BYTE_0 src1_sel:DWORD
	s_mov_b64 s[4:5], 0
                                        ; implicit-def: $sgpr10
	s_and_saveexec_b64 s[8:9], s[6:7]
	s_xor_b64 s[6:7], exec, s[8:9]
	s_cbranch_execnz .LBB13_4045
; %bb.1997:
	s_or_saveexec_b64 s[6:7], s[6:7]
	v_mov_b32_e32 v4, s10
	s_xor_b64 exec, exec, s[6:7]
	s_cbranch_execnz .LBB13_4048
.LBB13_1998:
	s_or_b64 exec, exec, s[6:7]
	s_and_saveexec_b64 s[6:7], s[4:5]
	s_cbranch_execz .LBB13_2000
.LBB13_1999:
	v_bfe_u32 v4, v2, 8, 3
	v_ffbh_u32_e32 v8, v4
	v_min_u32_e32 v8, 32, v8
	v_lshrrev_b16_e32 v5, 3, v1
	v_subrev_u32_e32 v9, 28, v8
	v_and_b32_e32 v5, 15, v5
	v_lshlrev_b32_e32 v1, v9, v1
	v_sub_u32_e32 v8, 29, v8
	v_and_b32_e32 v1, 7, v1
	v_cmp_eq_u16_e32 vcc, 0, v5
	v_cndmask_b32_e32 v1, v4, v1, vcc
	v_cndmask_b32_e32 v4, v5, v8, vcc
	v_lshlrev_b32_e32 v5, 16, v2
	v_mov_b32_e32 v8, 0x3b800000
	v_lshlrev_b32_e32 v1, 20, v1
	v_and_b32_e32 v5, 0x80000000, v5
	v_lshl_add_u32 v4, v4, 23, v8
	v_or3_b32 v4, v5, v4, v1
.LBB13_2000:
	s_or_b64 exec, exec, s[6:7]
	s_nop 0
	v_mfma_f32_16x16x4f32 a[0:3], v0, v4, a[0:3]
	s_movk_i32 s4, 0xff
	v_and_b32_sdwa v1, v6, s4 dst_sel:DWORD dst_unused:UNUSED_PAD src0_sel:WORD_1 src1_sel:DWORD
	s_movk_i32 s4, 0x7f
	v_cmp_lt_i16_e32 vcc, s4, v1
	s_mov_b64 s[4:5], 0
                                        ; implicit-def: $sgpr10
	s_and_saveexec_b64 s[6:7], vcc
	s_xor_b64 s[6:7], exec, s[6:7]
	s_cbranch_execnz .LBB13_4049
; %bb.2001:
	s_or_saveexec_b64 s[6:7], s[6:7]
	v_mov_b32_e32 v0, s10
	s_xor_b64 exec, exec, s[6:7]
	s_cbranch_execnz .LBB13_4052
.LBB13_2002:
	s_or_b64 exec, exec, s[6:7]
	s_and_saveexec_b64 s[6:7], s[4:5]
	s_cbranch_execz .LBB13_2004
.LBB13_2003:
	v_bfe_u32 v0, v6, 16, 3
	v_ffbh_u32_e32 v5, v0
	v_min_u32_e32 v5, 32, v5
	v_lshrrev_b32_e32 v1, 19, v6
	v_subrev_u32_e32 v8, 28, v5
	v_and_b32_e32 v1, 15, v1
	v_lshlrev_b32_sdwa v8, v8, v6 dst_sel:DWORD dst_unused:UNUSED_PAD src0_sel:DWORD src1_sel:WORD_1
	v_bfe_u32 v4, v6, 19, 4
	v_sub_u32_e32 v5, 29, v5
	v_and_b32_e32 v8, 7, v8
	v_cmp_eq_u16_e32 vcc, 0, v1
	v_cndmask_b32_e32 v0, v0, v8, vcc
	v_cndmask_b32_e32 v1, v4, v5, vcc
	v_lshlrev_b32_e32 v4, 8, v6
	v_mov_b32_e32 v5, 0x3b800000
	v_lshlrev_b32_e32 v0, 20, v0
	v_and_b32_e32 v4, 0x80000000, v4
	v_lshl_add_u32 v1, v1, 23, v5
	v_or3_b32 v0, v4, v1, v0
.LBB13_2004:
	s_or_b64 exec, exec, s[6:7]
	s_movk_i32 s4, 0xff
	v_and_b32_sdwa v1, v2, s4 dst_sel:DWORD dst_unused:UNUSED_PAD src0_sel:WORD_1 src1_sel:DWORD
	s_movk_i32 s4, 0x7f
	v_cmp_lt_i16_e32 vcc, s4, v1
	s_mov_b64 s[4:5], 0
                                        ; implicit-def: $sgpr10
	s_and_saveexec_b64 s[6:7], vcc
	s_xor_b64 s[6:7], exec, s[6:7]
	s_cbranch_execnz .LBB13_4053
; %bb.2005:
	s_or_saveexec_b64 s[6:7], s[6:7]
	v_mov_b32_e32 v4, s10
	s_xor_b64 exec, exec, s[6:7]
	s_cbranch_execnz .LBB13_4056
.LBB13_2006:
	s_or_b64 exec, exec, s[6:7]
	s_and_saveexec_b64 s[6:7], s[4:5]
	s_cbranch_execz .LBB13_2008
.LBB13_2007:
	v_bfe_u32 v1, v2, 16, 3
	v_ffbh_u32_e32 v8, v1
	v_min_u32_e32 v8, 32, v8
	v_lshrrev_b32_e32 v4, 19, v2
	v_subrev_u32_e32 v9, 28, v8
	v_and_b32_e32 v4, 15, v4
	v_lshlrev_b32_sdwa v9, v9, v2 dst_sel:DWORD dst_unused:UNUSED_PAD src0_sel:DWORD src1_sel:WORD_1
	v_bfe_u32 v5, v2, 19, 4
	v_sub_u32_e32 v8, 29, v8
	v_and_b32_e32 v9, 7, v9
	v_cmp_eq_u16_e32 vcc, 0, v4
	v_cndmask_b32_e32 v1, v1, v9, vcc
	v_cndmask_b32_e32 v4, v5, v8, vcc
	v_lshlrev_b32_e32 v5, 8, v2
	v_mov_b32_e32 v8, 0x3b800000
	v_lshlrev_b32_e32 v1, 20, v1
	v_and_b32_e32 v5, 0x80000000, v5
	v_lshl_add_u32 v4, v4, 23, v8
	v_or3_b32 v4, v5, v4, v1
.LBB13_2008:
	s_or_b64 exec, exec, s[6:7]
	s_nop 0
	v_mfma_f32_16x16x4f32 a[0:3], v0, v4, a[0:3]
	s_movk_i32 s4, 0x7f
	v_cmp_gt_i16_sdwa s[6:7], v6, s4 src0_sel:BYTE_3 src1_sel:DWORD
	s_mov_b64 s[4:5], 0
                                        ; implicit-def: $sgpr10
	s_and_saveexec_b64 s[8:9], s[6:7]
	s_xor_b64 s[6:7], exec, s[8:9]
	s_cbranch_execnz .LBB13_4057
; %bb.2009:
	s_or_saveexec_b64 s[6:7], s[6:7]
	v_mov_b32_e32 v0, s10
	s_xor_b64 exec, exec, s[6:7]
	s_cbranch_execnz .LBB13_4060
.LBB13_2010:
	s_or_b64 exec, exec, s[6:7]
	s_and_saveexec_b64 s[6:7], s[4:5]
	s_cbranch_execz .LBB13_2012
.LBB13_2011:
	v_bfe_u32 v0, v6, 24, 3
	v_ffbh_u32_e32 v8, v0
	v_min_u32_e32 v8, 32, v8
	v_lshrrev_b32_e32 v4, 27, v6
	v_subrev_u32_e32 v9, 28, v8
	v_and_b32_e32 v1, 0x80000000, v6
	v_and_b32_e32 v4, 15, v4
	v_bfe_u32 v5, v6, 27, 4
	v_lshlrev_b32_sdwa v6, v9, v6 dst_sel:DWORD dst_unused:UNUSED_PAD src0_sel:DWORD src1_sel:BYTE_3
	v_sub_u32_e32 v8, 29, v8
	v_and_b32_e32 v6, 7, v6
	v_cmp_eq_u16_e32 vcc, 0, v4
	v_cndmask_b32_e32 v0, v0, v6, vcc
	v_cndmask_b32_e32 v4, v5, v8, vcc
	v_mov_b32_e32 v5, 0x3b800000
	v_lshlrev_b32_e32 v0, 20, v0
	v_lshl_add_u32 v4, v4, 23, v5
	v_or3_b32 v0, v1, v4, v0
.LBB13_2012:
	s_or_b64 exec, exec, s[6:7]
	s_movk_i32 s4, 0x7f
	v_cmp_gt_i16_sdwa s[6:7], v2, s4 src0_sel:BYTE_3 src1_sel:DWORD
	s_mov_b64 s[4:5], 0
                                        ; implicit-def: $sgpr10
	s_and_saveexec_b64 s[8:9], s[6:7]
	s_xor_b64 s[6:7], exec, s[8:9]
	s_cbranch_execnz .LBB13_4061
; %bb.2013:
	s_or_saveexec_b64 s[6:7], s[6:7]
	v_mov_b32_e32 v1, s10
	s_xor_b64 exec, exec, s[6:7]
	s_cbranch_execnz .LBB13_4064
.LBB13_2014:
	s_or_b64 exec, exec, s[6:7]
	s_and_saveexec_b64 s[6:7], s[4:5]
	s_cbranch_execz .LBB13_2016
.LBB13_2015:
	v_bfe_u32 v1, v2, 24, 3
	v_ffbh_u32_e32 v8, v1
	v_min_u32_e32 v8, 32, v8
	v_lshrrev_b32_e32 v5, 27, v2
	v_subrev_u32_e32 v9, 28, v8
	v_and_b32_e32 v4, 0x80000000, v2
	v_and_b32_e32 v5, 15, v5
	v_bfe_u32 v6, v2, 27, 4
	v_lshlrev_b32_sdwa v2, v9, v2 dst_sel:DWORD dst_unused:UNUSED_PAD src0_sel:DWORD src1_sel:BYTE_3
	v_sub_u32_e32 v8, 29, v8
	v_and_b32_e32 v2, 7, v2
	v_cmp_eq_u16_e32 vcc, 0, v5
	v_cndmask_b32_e32 v1, v1, v2, vcc
	v_cndmask_b32_e32 v2, v6, v8, vcc
	v_mov_b32_e32 v5, 0x3b800000
	v_lshlrev_b32_e32 v1, 20, v1
	v_lshl_add_u32 v2, v2, 23, v5
	v_or3_b32 v1, v4, v2, v1
.LBB13_2016:
	s_or_b64 exec, exec, s[6:7]
	s_nop 0
	v_mfma_f32_16x16x4f32 a[0:3], v0, v1, a[0:3]
	s_movk_i32 s4, 0x7f
	v_cmp_gt_i16_sdwa s[6:7], v7, s4 src0_sel:BYTE_0 src1_sel:DWORD
	s_mov_b64 s[4:5], 0
                                        ; implicit-def: $sgpr10
	s_and_saveexec_b64 s[8:9], s[6:7]
	s_xor_b64 s[6:7], exec, s[8:9]
	s_cbranch_execnz .LBB13_4065
; %bb.2017:
	s_or_saveexec_b64 s[6:7], s[6:7]
	v_mov_b32_e32 v0, s10
	s_xor_b64 exec, exec, s[6:7]
	s_cbranch_execnz .LBB13_4068
.LBB13_2018:
	s_or_b64 exec, exec, s[6:7]
	s_and_saveexec_b64 s[6:7], s[4:5]
	s_cbranch_execz .LBB13_2020
.LBB13_2019:
	v_mov_b32_e32 v0, 8
	v_and_b32_e32 v1, 7, v7
	v_lshrrev_b32_sdwa v0, v0, v7 dst_sel:BYTE_1 dst_unused:UNUSED_PAD src0_sel:DWORD src1_sel:DWORD
	v_ffbh_u32_e32 v2, v1
	v_or_b32_sdwa v0, v7, v0 dst_sel:DWORD dst_unused:UNUSED_PAD src0_sel:BYTE_0 src1_sel:DWORD
	v_min_u32_e32 v2, 32, v2
	v_lshrrev_b16_e32 v0, 3, v0
	v_subrev_u32_e32 v4, 28, v2
	v_and_b32_e32 v0, 15, v0
	v_lshlrev_b32_e32 v4, v4, v7
	v_sub_u32_e32 v2, 29, v2
	v_and_b32_e32 v4, 7, v4
	v_cmp_eq_u16_e32 vcc, 0, v0
	v_cndmask_b32_e32 v1, v1, v4, vcc
	v_cndmask_b32_e32 v0, v0, v2, vcc
	v_lshlrev_b32_e32 v2, 24, v7
	v_mov_b32_e32 v4, 0x3b800000
	v_lshlrev_b32_e32 v1, 20, v1
	v_and_b32_e32 v2, 0x80000000, v2
	v_lshl_add_u32 v0, v0, 23, v4
	v_or3_b32 v0, v2, v0, v1
.LBB13_2020:
	s_or_b64 exec, exec, s[6:7]
	s_movk_i32 s4, 0x7f
	v_cmp_gt_i16_sdwa s[6:7], v3, s4 src0_sel:BYTE_0 src1_sel:DWORD
	s_mov_b64 s[4:5], 0
                                        ; implicit-def: $sgpr10
	s_and_saveexec_b64 s[8:9], s[6:7]
	s_xor_b64 s[6:7], exec, s[8:9]
	s_cbranch_execnz .LBB13_4069
; %bb.2021:
	s_or_saveexec_b64 s[6:7], s[6:7]
	v_mov_b32_e32 v1, s10
	s_xor_b64 exec, exec, s[6:7]
	s_cbranch_execnz .LBB13_4072
.LBB13_2022:
	s_or_b64 exec, exec, s[6:7]
	s_and_saveexec_b64 s[6:7], s[4:5]
	s_cbranch_execz .LBB13_2024
.LBB13_2023:
	v_mov_b32_e32 v1, 8
	v_and_b32_e32 v2, 7, v3
	v_lshrrev_b32_sdwa v1, v1, v3 dst_sel:BYTE_1 dst_unused:UNUSED_PAD src0_sel:DWORD src1_sel:DWORD
	v_ffbh_u32_e32 v4, v2
	v_or_b32_sdwa v1, v3, v1 dst_sel:DWORD dst_unused:UNUSED_PAD src0_sel:BYTE_0 src1_sel:DWORD
	v_min_u32_e32 v4, 32, v4
	v_lshrrev_b16_e32 v1, 3, v1
	v_subrev_u32_e32 v5, 28, v4
	v_and_b32_e32 v1, 15, v1
	v_lshlrev_b32_e32 v5, v5, v3
	v_sub_u32_e32 v4, 29, v4
	v_and_b32_e32 v5, 7, v5
	v_cmp_eq_u16_e32 vcc, 0, v1
	v_cndmask_b32_e32 v2, v2, v5, vcc
	v_cndmask_b32_e32 v1, v1, v4, vcc
	v_lshlrev_b32_e32 v4, 24, v3
	v_mov_b32_e32 v5, 0x3b800000
	v_lshlrev_b32_e32 v2, 20, v2
	v_and_b32_e32 v4, 0x80000000, v4
	v_lshl_add_u32 v1, v1, 23, v5
	v_or3_b32 v1, v4, v1, v2
.LBB13_2024:
	s_or_b64 exec, exec, s[6:7]
	s_nop 0
	v_mfma_f32_16x16x4f32 a[0:3], v0, v1, a[0:3]
	v_lshrrev_b32_e32 v1, 8, v7
	s_movk_i32 s4, 0x7f
	v_cmp_gt_i16_sdwa s[6:7], v1, s4 src0_sel:BYTE_0 src1_sel:DWORD
	s_mov_b64 s[4:5], 0
                                        ; implicit-def: $sgpr10
	s_and_saveexec_b64 s[8:9], s[6:7]
	s_xor_b64 s[6:7], exec, s[8:9]
	s_cbranch_execnz .LBB13_4073
; %bb.2025:
	s_or_saveexec_b64 s[6:7], s[6:7]
	v_mov_b32_e32 v0, s10
	s_xor_b64 exec, exec, s[6:7]
	s_cbranch_execnz .LBB13_4076
.LBB13_2026:
	s_or_b64 exec, exec, s[6:7]
	s_and_saveexec_b64 s[6:7], s[4:5]
	s_cbranch_execz .LBB13_2028
.LBB13_2027:
	v_bfe_u32 v0, v7, 8, 3
	v_ffbh_u32_e32 v4, v0
	v_min_u32_e32 v4, 32, v4
	v_lshrrev_b16_e32 v2, 3, v1
	v_subrev_u32_e32 v5, 28, v4
	v_and_b32_e32 v2, 15, v2
	v_lshlrev_b32_e32 v1, v5, v1
	v_sub_u32_e32 v4, 29, v4
	v_and_b32_e32 v1, 7, v1
	v_cmp_eq_u16_e32 vcc, 0, v2
	v_cndmask_b32_e32 v0, v0, v1, vcc
	v_cndmask_b32_e32 v1, v2, v4, vcc
	v_lshlrev_b32_e32 v2, 16, v7
	v_mov_b32_e32 v4, 0x3b800000
	v_lshlrev_b32_e32 v0, 20, v0
	v_and_b32_e32 v2, 0x80000000, v2
	v_lshl_add_u32 v1, v1, 23, v4
	v_or3_b32 v0, v2, v1, v0
.LBB13_2028:
	s_or_b64 exec, exec, s[6:7]
	v_lshrrev_b32_e32 v1, 8, v3
	s_movk_i32 s4, 0x7f
	v_cmp_gt_i16_sdwa s[6:7], v1, s4 src0_sel:BYTE_0 src1_sel:DWORD
	s_mov_b64 s[4:5], 0
                                        ; implicit-def: $sgpr10
	s_and_saveexec_b64 s[8:9], s[6:7]
	s_xor_b64 s[6:7], exec, s[8:9]
	s_cbranch_execnz .LBB13_4077
; %bb.2029:
	s_or_saveexec_b64 s[6:7], s[6:7]
	v_mov_b32_e32 v2, s10
	s_xor_b64 exec, exec, s[6:7]
	s_cbranch_execnz .LBB13_4080
.LBB13_2030:
	s_or_b64 exec, exec, s[6:7]
	s_and_saveexec_b64 s[6:7], s[4:5]
	s_cbranch_execz .LBB13_2032
.LBB13_2031:
	v_bfe_u32 v2, v3, 8, 3
	v_ffbh_u32_e32 v5, v2
	v_min_u32_e32 v5, 32, v5
	v_lshrrev_b16_e32 v4, 3, v1
	v_subrev_u32_e32 v6, 28, v5
	v_and_b32_e32 v4, 15, v4
	v_lshlrev_b32_e32 v1, v6, v1
	v_sub_u32_e32 v5, 29, v5
	v_and_b32_e32 v1, 7, v1
	v_cmp_eq_u16_e32 vcc, 0, v4
	v_cndmask_b32_e32 v1, v2, v1, vcc
	v_cndmask_b32_e32 v2, v4, v5, vcc
	v_lshlrev_b32_e32 v4, 16, v3
	v_mov_b32_e32 v5, 0x3b800000
	v_lshlrev_b32_e32 v1, 20, v1
	v_and_b32_e32 v4, 0x80000000, v4
	v_lshl_add_u32 v2, v2, 23, v5
	v_or3_b32 v2, v4, v2, v1
.LBB13_2032:
	s_or_b64 exec, exec, s[6:7]
	s_nop 0
	v_mfma_f32_16x16x4f32 a[0:3], v0, v2, a[0:3]
	s_movk_i32 s4, 0xff
	v_and_b32_sdwa v1, v7, s4 dst_sel:DWORD dst_unused:UNUSED_PAD src0_sel:WORD_1 src1_sel:DWORD
	s_movk_i32 s4, 0x7f
	v_cmp_lt_i16_e32 vcc, s4, v1
	s_mov_b64 s[4:5], 0
                                        ; implicit-def: $sgpr10
	s_and_saveexec_b64 s[6:7], vcc
	s_xor_b64 s[6:7], exec, s[6:7]
	s_cbranch_execnz .LBB13_4081
; %bb.2033:
	s_or_saveexec_b64 s[6:7], s[6:7]
	v_mov_b32_e32 v0, s10
	s_xor_b64 exec, exec, s[6:7]
	s_cbranch_execnz .LBB13_4084
.LBB13_2034:
	s_or_b64 exec, exec, s[6:7]
	s_and_saveexec_b64 s[6:7], s[4:5]
	s_cbranch_execz .LBB13_2036
.LBB13_2035:
	v_bfe_u32 v0, v7, 16, 3
	v_ffbh_u32_e32 v4, v0
	v_min_u32_e32 v4, 32, v4
	v_lshrrev_b32_e32 v1, 19, v7
	v_subrev_u32_e32 v5, 28, v4
	v_and_b32_e32 v1, 15, v1
	v_lshlrev_b32_sdwa v5, v5, v7 dst_sel:DWORD dst_unused:UNUSED_PAD src0_sel:DWORD src1_sel:WORD_1
	v_bfe_u32 v2, v7, 19, 4
	v_sub_u32_e32 v4, 29, v4
	v_and_b32_e32 v5, 7, v5
	v_cmp_eq_u16_e32 vcc, 0, v1
	v_cndmask_b32_e32 v0, v0, v5, vcc
	v_cndmask_b32_e32 v1, v2, v4, vcc
	v_lshlrev_b32_e32 v2, 8, v7
	v_mov_b32_e32 v4, 0x3b800000
	v_lshlrev_b32_e32 v0, 20, v0
	v_and_b32_e32 v2, 0x80000000, v2
	v_lshl_add_u32 v1, v1, 23, v4
	v_or3_b32 v0, v2, v1, v0
.LBB13_2036:
	s_or_b64 exec, exec, s[6:7]
	s_movk_i32 s4, 0xff
	v_and_b32_sdwa v1, v3, s4 dst_sel:DWORD dst_unused:UNUSED_PAD src0_sel:WORD_1 src1_sel:DWORD
	s_movk_i32 s4, 0x7f
	v_cmp_lt_i16_e32 vcc, s4, v1
	s_mov_b64 s[4:5], 0
                                        ; implicit-def: $sgpr10
	s_and_saveexec_b64 s[6:7], vcc
	s_xor_b64 s[6:7], exec, s[6:7]
	s_cbranch_execnz .LBB13_4085
; %bb.2037:
	s_or_saveexec_b64 s[6:7], s[6:7]
	v_mov_b32_e32 v2, s10
	s_xor_b64 exec, exec, s[6:7]
	s_cbranch_execnz .LBB13_4088
.LBB13_2038:
	s_or_b64 exec, exec, s[6:7]
	s_and_saveexec_b64 s[6:7], s[4:5]
	s_cbranch_execz .LBB13_2040
.LBB13_2039:
	v_bfe_u32 v1, v3, 16, 3
	v_ffbh_u32_e32 v5, v1
	v_min_u32_e32 v5, 32, v5
	v_lshrrev_b32_e32 v2, 19, v3
	v_subrev_u32_e32 v6, 28, v5
	v_and_b32_e32 v2, 15, v2
	v_lshlrev_b32_sdwa v6, v6, v3 dst_sel:DWORD dst_unused:UNUSED_PAD src0_sel:DWORD src1_sel:WORD_1
	v_bfe_u32 v4, v3, 19, 4
	v_sub_u32_e32 v5, 29, v5
	v_and_b32_e32 v6, 7, v6
	v_cmp_eq_u16_e32 vcc, 0, v2
	v_cndmask_b32_e32 v1, v1, v6, vcc
	v_cndmask_b32_e32 v2, v4, v5, vcc
	v_lshlrev_b32_e32 v4, 8, v3
	v_mov_b32_e32 v5, 0x3b800000
	v_lshlrev_b32_e32 v1, 20, v1
	v_and_b32_e32 v4, 0x80000000, v4
	v_lshl_add_u32 v2, v2, 23, v5
	v_or3_b32 v2, v4, v2, v1
.LBB13_2040:
	s_or_b64 exec, exec, s[6:7]
	s_nop 0
	v_mfma_f32_16x16x4f32 a[0:3], v0, v2, a[0:3]
	s_movk_i32 s4, 0x7f
	v_cmp_gt_i16_sdwa s[6:7], v7, s4 src0_sel:BYTE_3 src1_sel:DWORD
	s_mov_b64 s[4:5], 0
                                        ; implicit-def: $sgpr10
	s_and_saveexec_b64 s[8:9], s[6:7]
	s_xor_b64 s[6:7], exec, s[8:9]
	s_cbranch_execnz .LBB13_4089
; %bb.2041:
	s_or_saveexec_b64 s[6:7], s[6:7]
	v_mov_b32_e32 v0, s10
	s_xor_b64 exec, exec, s[6:7]
	s_cbranch_execnz .LBB13_4092
.LBB13_2042:
	s_or_b64 exec, exec, s[6:7]
	s_and_saveexec_b64 s[6:7], s[4:5]
	s_cbranch_execz .LBB13_2044
.LBB13_2043:
	v_bfe_u32 v0, v7, 24, 3
	v_ffbh_u32_e32 v5, v0
	v_min_u32_e32 v5, 32, v5
	v_lshrrev_b32_e32 v2, 27, v7
	v_subrev_u32_e32 v6, 28, v5
	v_and_b32_e32 v2, 15, v2
	v_lshlrev_b32_sdwa v6, v6, v7 dst_sel:DWORD dst_unused:UNUSED_PAD src0_sel:DWORD src1_sel:BYTE_3
	v_bfe_u32 v4, v7, 27, 4
	v_sub_u32_e32 v5, 29, v5
	v_and_b32_e32 v6, 7, v6
	v_cmp_eq_u16_e32 vcc, 0, v2
	v_cndmask_b32_e32 v0, v0, v6, vcc
	v_cndmask_b32_e32 v2, v4, v5, vcc
	v_mov_b32_e32 v4, 0x3b800000
	v_and_b32_e32 v1, 0x80000000, v7
	v_lshlrev_b32_e32 v0, 20, v0
	v_lshl_add_u32 v2, v2, 23, v4
	v_or3_b32 v0, v1, v2, v0
.LBB13_2044:
	s_or_b64 exec, exec, s[6:7]
	s_movk_i32 s4, 0x7f
	v_cmp_gt_i16_sdwa s[6:7], v3, s4 src0_sel:BYTE_3 src1_sel:DWORD
	s_mov_b64 s[4:5], 0
                                        ; implicit-def: $sgpr10
	s_and_saveexec_b64 s[8:9], s[6:7]
	s_xor_b64 s[6:7], exec, s[8:9]
	s_cbranch_execnz .LBB13_4093
; %bb.2045:
	s_or_saveexec_b64 s[6:7], s[6:7]
	v_mov_b32_e32 v1, s10
	s_xor_b64 exec, exec, s[6:7]
	s_cbranch_execnz .LBB13_4096
.LBB13_2046:
	s_or_b64 exec, exec, s[6:7]
	s_and_saveexec_b64 s[6:7], s[4:5]
	s_cbranch_execz .LBB13_2048
.LBB13_2047:
	v_bfe_u32 v1, v3, 24, 3
	v_ffbh_u32_e32 v6, v1
	v_min_u32_e32 v6, 32, v6
	v_lshrrev_b32_e32 v4, 27, v3
	v_subrev_u32_e32 v7, 28, v6
	v_and_b32_e32 v2, 0x80000000, v3
	v_and_b32_e32 v4, 15, v4
	v_bfe_u32 v5, v3, 27, 4
	v_lshlrev_b32_sdwa v3, v7, v3 dst_sel:DWORD dst_unused:UNUSED_PAD src0_sel:DWORD src1_sel:BYTE_3
	v_sub_u32_e32 v6, 29, v6
	v_and_b32_e32 v3, 7, v3
	v_cmp_eq_u16_e32 vcc, 0, v4
	v_cndmask_b32_e32 v1, v1, v3, vcc
	v_cndmask_b32_e32 v3, v5, v6, vcc
	v_mov_b32_e32 v4, 0x3b800000
	v_lshlrev_b32_e32 v1, 20, v1
	v_lshl_add_u32 v3, v3, 23, v4
	v_or3_b32 v1, v2, v3, v1
.LBB13_2048:
	s_or_b64 exec, exec, s[6:7]
	s_nop 0
	v_mfma_f32_16x16x4f32 a[0:3], v0, v1, a[0:3]
	s_nop 7
	s_nop 2
	flat_store_dwordx4 v[16:17], a[0:3] offset:496
	s_waitcnt vmcnt(0) lgkmcnt(0)
	s_setpc_b64 s[30:31]
.LBB13_2049:
	s_movk_i32 s4, 0x80
	v_cmp_eq_u16_sdwa s[12:13], v14, s4 src0_sel:BYTE_0 src1_sel:DWORD
	s_mov_b64 s[4:5], -1
                                        ; implicit-def: $sgpr10
	s_and_saveexec_b64 s[8:9], s[12:13]
; %bb.2050:
	s_mov_b32 s10, 0x7f800001
	s_xor_b64 s[4:5], exec, -1
; %bb.2051:
	s_or_b64 exec, exec, s[8:9]
	s_and_b64 s[4:5], s[4:5], exec
	s_or_saveexec_b64 s[6:7], s[6:7]
	v_mov_b32_e32 v20, s10
	s_xor_b64 exec, exec, s[6:7]
	s_cbranch_execz .LBB13_2
.LBB13_2052:
	v_mov_b32_e32 v20, 0
	v_cmp_ne_u16_sdwa s[8:9], v14, v20 src0_sel:BYTE_0 src1_sel:DWORD
	s_andn2_b64 s[4:5], s[4:5], exec
	s_and_b64 s[8:9], s[8:9], exec
	s_or_b64 s[4:5], s[4:5], s[8:9]
	s_or_b64 exec, exec, s[6:7]
	s_and_saveexec_b64 s[6:7], s[4:5]
	s_cbranch_execnz .LBB13_3
	s_branch .LBB13_4
.LBB13_2053:
	s_movk_i32 s4, 0x80
	v_cmp_eq_u16_sdwa s[12:13], v10, s4 src0_sel:BYTE_0 src1_sel:DWORD
	s_mov_b64 s[4:5], -1
                                        ; implicit-def: $sgpr10
	s_and_saveexec_b64 s[8:9], s[12:13]
; %bb.2054:
	s_mov_b32 s10, 0x7f800001
	s_xor_b64 s[4:5], exec, -1
; %bb.2055:
	s_or_b64 exec, exec, s[8:9]
	s_and_b64 s[4:5], s[4:5], exec
	s_or_saveexec_b64 s[6:7], s[6:7]
	v_mov_b32_e32 v21, s10
	s_xor_b64 exec, exec, s[6:7]
	s_cbranch_execz .LBB13_6
.LBB13_2056:
	v_mov_b32_e32 v21, 0
	v_cmp_ne_u16_sdwa s[8:9], v10, v21 src0_sel:BYTE_0 src1_sel:DWORD
	s_andn2_b64 s[4:5], s[4:5], exec
	s_and_b64 s[8:9], s[8:9], exec
	s_or_b64 s[4:5], s[4:5], s[8:9]
	s_or_b64 exec, exec, s[6:7]
	s_and_saveexec_b64 s[6:7], s[4:5]
	s_cbranch_execnz .LBB13_7
	s_branch .LBB13_8
.LBB13_2057:
	s_movk_i32 s4, 0x80
	v_cmp_eq_u16_sdwa s[12:13], v21, s4 src0_sel:BYTE_0 src1_sel:DWORD
	s_mov_b64 s[4:5], -1
                                        ; implicit-def: $sgpr10
	s_and_saveexec_b64 s[8:9], s[12:13]
; %bb.2058:
	s_mov_b32 s10, 0x7f800001
	s_xor_b64 s[4:5], exec, -1
; %bb.2059:
	s_or_b64 exec, exec, s[8:9]
	s_and_b64 s[4:5], s[4:5], exec
	s_or_saveexec_b64 s[6:7], s[6:7]
	v_mov_b32_e32 v20, s10
	s_xor_b64 exec, exec, s[6:7]
	s_cbranch_execz .LBB13_10
.LBB13_2060:
	v_mov_b32_e32 v20, 0
	v_cmp_ne_u16_sdwa s[8:9], v21, v20 src0_sel:BYTE_0 src1_sel:DWORD
	s_andn2_b64 s[4:5], s[4:5], exec
	s_and_b64 s[8:9], s[8:9], exec
	s_or_b64 s[4:5], s[4:5], s[8:9]
	s_or_b64 exec, exec, s[6:7]
	s_and_saveexec_b64 s[6:7], s[4:5]
	s_cbranch_execnz .LBB13_11
	s_branch .LBB13_12
.LBB13_2061:
	s_movk_i32 s4, 0x80
	v_cmp_eq_u16_sdwa s[12:13], v21, s4 src0_sel:BYTE_0 src1_sel:DWORD
	s_mov_b64 s[4:5], -1
                                        ; implicit-def: $sgpr10
	s_and_saveexec_b64 s[8:9], s[12:13]
; %bb.2062:
	s_mov_b32 s10, 0x7f800001
	s_xor_b64 s[4:5], exec, -1
; %bb.2063:
	s_or_b64 exec, exec, s[8:9]
	s_and_b64 s[4:5], s[4:5], exec
	s_or_saveexec_b64 s[6:7], s[6:7]
	v_mov_b32_e32 v22, s10
	s_xor_b64 exec, exec, s[6:7]
	s_cbranch_execz .LBB13_14
.LBB13_2064:
	v_mov_b32_e32 v22, 0
	v_cmp_ne_u16_sdwa s[8:9], v21, v22 src0_sel:BYTE_0 src1_sel:DWORD
	s_andn2_b64 s[4:5], s[4:5], exec
	s_and_b64 s[8:9], s[8:9], exec
	s_or_b64 s[4:5], s[4:5], s[8:9]
	s_or_b64 exec, exec, s[6:7]
	s_and_saveexec_b64 s[6:7], s[4:5]
	s_cbranch_execnz .LBB13_15
	s_branch .LBB13_16
.LBB13_2065:
	s_movk_i32 s4, 0x80
	v_cmp_eq_u16_e32 vcc, s4, v21
	s_mov_b64 s[4:5], -1
                                        ; implicit-def: $sgpr10
	s_and_saveexec_b64 s[8:9], vcc
; %bb.2066:
	s_mov_b32 s10, 0x7f800001
	s_xor_b64 s[4:5], exec, -1
; %bb.2067:
	s_or_b64 exec, exec, s[8:9]
	s_and_b64 s[4:5], s[4:5], exec
                                        ; implicit-def: $vgpr21
	s_or_saveexec_b64 s[6:7], s[6:7]
	v_mov_b32_e32 v20, s10
	s_xor_b64 exec, exec, s[6:7]
	s_cbranch_execz .LBB13_18
.LBB13_2068:
	v_cmp_ne_u16_e32 vcc, 0, v21
	s_andn2_b64 s[4:5], s[4:5], exec
	s_and_b64 s[8:9], vcc, exec
	v_mov_b32_e32 v20, 0
	s_or_b64 s[4:5], s[4:5], s[8:9]
	s_or_b64 exec, exec, s[6:7]
	s_and_saveexec_b64 s[6:7], s[4:5]
	s_cbranch_execnz .LBB13_19
	s_branch .LBB13_20
.LBB13_2069:
	s_movk_i32 s4, 0x80
	v_cmp_eq_u16_e32 vcc, s4, v21
	s_mov_b64 s[4:5], -1
                                        ; implicit-def: $sgpr10
	s_and_saveexec_b64 s[8:9], vcc
; %bb.2070:
	s_mov_b32 s10, 0x7f800001
	s_xor_b64 s[4:5], exec, -1
; %bb.2071:
	s_or_b64 exec, exec, s[8:9]
	s_and_b64 s[4:5], s[4:5], exec
                                        ; implicit-def: $vgpr21
	s_or_saveexec_b64 s[6:7], s[6:7]
	v_mov_b32_e32 v22, s10
	s_xor_b64 exec, exec, s[6:7]
	s_cbranch_execz .LBB13_22
.LBB13_2072:
	v_cmp_ne_u16_e32 vcc, 0, v21
	s_andn2_b64 s[4:5], s[4:5], exec
	s_and_b64 s[8:9], vcc, exec
	v_mov_b32_e32 v22, 0
	s_or_b64 s[4:5], s[4:5], s[8:9]
	s_or_b64 exec, exec, s[6:7]
	s_and_saveexec_b64 s[6:7], s[4:5]
	s_cbranch_execnz .LBB13_23
	s_branch .LBB13_24
.LBB13_2073:
	s_movk_i32 s4, 0x80
	v_cmp_eq_u16_sdwa s[12:13], v14, s4 src0_sel:BYTE_3 src1_sel:DWORD
	s_mov_b64 s[4:5], -1
                                        ; implicit-def: $sgpr10
	s_and_saveexec_b64 s[8:9], s[12:13]
; %bb.2074:
	s_mov_b32 s10, 0x7f800001
	s_xor_b64 s[4:5], exec, -1
; %bb.2075:
	s_or_b64 exec, exec, s[8:9]
	s_and_b64 s[4:5], s[4:5], exec
	s_or_saveexec_b64 s[6:7], s[6:7]
	v_mov_b32_e32 v20, s10
	s_xor_b64 exec, exec, s[6:7]
	s_cbranch_execz .LBB13_26
.LBB13_2076:
	v_mov_b32_e32 v20, 0
	v_cmp_ne_u16_sdwa s[8:9], v14, v20 src0_sel:BYTE_3 src1_sel:DWORD
	s_andn2_b64 s[4:5], s[4:5], exec
	s_and_b64 s[8:9], s[8:9], exec
	s_or_b64 s[4:5], s[4:5], s[8:9]
	s_or_b64 exec, exec, s[6:7]
	s_and_saveexec_b64 s[6:7], s[4:5]
	s_cbranch_execnz .LBB13_27
	s_branch .LBB13_28
.LBB13_2077:
	s_movk_i32 s4, 0x80
	v_cmp_eq_u16_sdwa s[12:13], v10, s4 src0_sel:BYTE_3 src1_sel:DWORD
	s_mov_b64 s[4:5], -1
                                        ; implicit-def: $sgpr10
	s_and_saveexec_b64 s[8:9], s[12:13]
; %bb.2078:
	s_mov_b32 s10, 0x7f800001
	s_xor_b64 s[4:5], exec, -1
; %bb.2079:
	s_or_b64 exec, exec, s[8:9]
	s_and_b64 s[4:5], s[4:5], exec
	s_or_saveexec_b64 s[6:7], s[6:7]
	v_mov_b32_e32 v14, s10
	s_xor_b64 exec, exec, s[6:7]
	s_cbranch_execz .LBB13_30
.LBB13_2080:
	v_mov_b32_e32 v14, 0
	v_cmp_ne_u16_sdwa s[8:9], v10, v14 src0_sel:BYTE_3 src1_sel:DWORD
	s_andn2_b64 s[4:5], s[4:5], exec
	s_and_b64 s[8:9], s[8:9], exec
	s_or_b64 s[4:5], s[4:5], s[8:9]
	s_or_b64 exec, exec, s[6:7]
	s_and_saveexec_b64 s[6:7], s[4:5]
	s_cbranch_execnz .LBB13_31
	s_branch .LBB13_32
.LBB13_2081:
	s_movk_i32 s4, 0x80
	v_cmp_eq_u16_sdwa s[12:13], v15, s4 src0_sel:BYTE_0 src1_sel:DWORD
	s_mov_b64 s[4:5], -1
                                        ; implicit-def: $sgpr10
	s_and_saveexec_b64 s[8:9], s[12:13]
; %bb.2082:
	s_mov_b32 s10, 0x7f800001
	s_xor_b64 s[4:5], exec, -1
; %bb.2083:
	s_or_b64 exec, exec, s[8:9]
	s_and_b64 s[4:5], s[4:5], exec
	s_or_saveexec_b64 s[6:7], s[6:7]
	v_mov_b32_e32 v10, s10
	s_xor_b64 exec, exec, s[6:7]
	s_cbranch_execz .LBB13_34
.LBB13_2084:
	v_mov_b32_e32 v10, 0
	v_cmp_ne_u16_sdwa s[8:9], v15, v10 src0_sel:BYTE_0 src1_sel:DWORD
	s_andn2_b64 s[4:5], s[4:5], exec
	s_and_b64 s[8:9], s[8:9], exec
	s_or_b64 s[4:5], s[4:5], s[8:9]
	s_or_b64 exec, exec, s[6:7]
	s_and_saveexec_b64 s[6:7], s[4:5]
	s_cbranch_execnz .LBB13_35
	s_branch .LBB13_36
.LBB13_2085:
	s_movk_i32 s4, 0x80
	v_cmp_eq_u16_sdwa s[12:13], v11, s4 src0_sel:BYTE_0 src1_sel:DWORD
	s_mov_b64 s[4:5], -1
                                        ; implicit-def: $sgpr10
	s_and_saveexec_b64 s[8:9], s[12:13]
; %bb.2086:
	s_mov_b32 s10, 0x7f800001
	s_xor_b64 s[4:5], exec, -1
; %bb.2087:
	s_or_b64 exec, exec, s[8:9]
	s_and_b64 s[4:5], s[4:5], exec
	s_or_saveexec_b64 s[6:7], s[6:7]
	v_mov_b32_e32 v14, s10
	s_xor_b64 exec, exec, s[6:7]
	s_cbranch_execz .LBB13_38
.LBB13_2088:
	v_mov_b32_e32 v14, 0
	v_cmp_ne_u16_sdwa s[8:9], v11, v14 src0_sel:BYTE_0 src1_sel:DWORD
	s_andn2_b64 s[4:5], s[4:5], exec
	s_and_b64 s[8:9], s[8:9], exec
	s_or_b64 s[4:5], s[4:5], s[8:9]
	s_or_b64 exec, exec, s[6:7]
	s_and_saveexec_b64 s[6:7], s[4:5]
	s_cbranch_execnz .LBB13_39
	s_branch .LBB13_40
.LBB13_2089:
	s_movk_i32 s4, 0x80
	v_cmp_eq_u16_sdwa s[12:13], v14, s4 src0_sel:BYTE_0 src1_sel:DWORD
	s_mov_b64 s[4:5], -1
                                        ; implicit-def: $sgpr10
	s_and_saveexec_b64 s[8:9], s[12:13]
; %bb.2090:
	s_mov_b32 s10, 0x7f800001
	s_xor_b64 s[4:5], exec, -1
; %bb.2091:
	s_or_b64 exec, exec, s[8:9]
	s_and_b64 s[4:5], s[4:5], exec
	s_or_saveexec_b64 s[6:7], s[6:7]
	v_mov_b32_e32 v10, s10
	s_xor_b64 exec, exec, s[6:7]
	s_cbranch_execz .LBB13_42
.LBB13_2092:
	v_mov_b32_e32 v10, 0
	v_cmp_ne_u16_sdwa s[8:9], v14, v10 src0_sel:BYTE_0 src1_sel:DWORD
	s_andn2_b64 s[4:5], s[4:5], exec
	s_and_b64 s[8:9], s[8:9], exec
	s_or_b64 s[4:5], s[4:5], s[8:9]
	s_or_b64 exec, exec, s[6:7]
	s_and_saveexec_b64 s[6:7], s[4:5]
	s_cbranch_execnz .LBB13_43
	s_branch .LBB13_44
.LBB13_2093:
	s_movk_i32 s4, 0x80
	v_cmp_eq_u16_sdwa s[12:13], v14, s4 src0_sel:BYTE_0 src1_sel:DWORD
	s_mov_b64 s[4:5], -1
                                        ; implicit-def: $sgpr10
	s_and_saveexec_b64 s[8:9], s[12:13]
; %bb.2094:
	s_mov_b32 s10, 0x7f800001
	s_xor_b64 s[4:5], exec, -1
; %bb.2095:
	s_or_b64 exec, exec, s[8:9]
	s_and_b64 s[4:5], s[4:5], exec
	s_or_saveexec_b64 s[6:7], s[6:7]
	v_mov_b32_e32 v20, s10
	s_xor_b64 exec, exec, s[6:7]
	s_cbranch_execz .LBB13_46
.LBB13_2096:
	v_mov_b32_e32 v20, 0
	v_cmp_ne_u16_sdwa s[8:9], v14, v20 src0_sel:BYTE_0 src1_sel:DWORD
	s_andn2_b64 s[4:5], s[4:5], exec
	s_and_b64 s[8:9], s[8:9], exec
	s_or_b64 s[4:5], s[4:5], s[8:9]
	s_or_b64 exec, exec, s[6:7]
	s_and_saveexec_b64 s[6:7], s[4:5]
	s_cbranch_execnz .LBB13_47
	s_branch .LBB13_48
.LBB13_2097:
	s_movk_i32 s4, 0x80
	v_cmp_eq_u16_e32 vcc, s4, v14
	s_mov_b64 s[4:5], -1
                                        ; implicit-def: $sgpr10
	s_and_saveexec_b64 s[8:9], vcc
; %bb.2098:
	s_mov_b32 s10, 0x7f800001
	s_xor_b64 s[4:5], exec, -1
; %bb.2099:
	s_or_b64 exec, exec, s[8:9]
	s_and_b64 s[4:5], s[4:5], exec
                                        ; implicit-def: $vgpr14
	s_or_saveexec_b64 s[6:7], s[6:7]
	v_mov_b32_e32 v10, s10
	s_xor_b64 exec, exec, s[6:7]
	s_cbranch_execz .LBB13_50
.LBB13_2100:
	v_cmp_ne_u16_e32 vcc, 0, v14
	s_andn2_b64 s[4:5], s[4:5], exec
	s_and_b64 s[8:9], vcc, exec
	v_mov_b32_e32 v10, 0
	s_or_b64 s[4:5], s[4:5], s[8:9]
	s_or_b64 exec, exec, s[6:7]
	s_and_saveexec_b64 s[6:7], s[4:5]
	s_cbranch_execnz .LBB13_51
	s_branch .LBB13_52
.LBB13_2101:
	s_movk_i32 s4, 0x80
	v_cmp_eq_u16_e32 vcc, s4, v14
	s_mov_b64 s[4:5], -1
                                        ; implicit-def: $sgpr10
	s_and_saveexec_b64 s[8:9], vcc
; %bb.2102:
	s_mov_b32 s10, 0x7f800001
	s_xor_b64 s[4:5], exec, -1
; %bb.2103:
	s_or_b64 exec, exec, s[8:9]
	s_and_b64 s[4:5], s[4:5], exec
                                        ; implicit-def: $vgpr14
	s_or_saveexec_b64 s[6:7], s[6:7]
	v_mov_b32_e32 v20, s10
	s_xor_b64 exec, exec, s[6:7]
	s_cbranch_execz .LBB13_54
.LBB13_2104:
	v_cmp_ne_u16_e32 vcc, 0, v14
	s_andn2_b64 s[4:5], s[4:5], exec
	s_and_b64 s[8:9], vcc, exec
	v_mov_b32_e32 v20, 0
	s_or_b64 s[4:5], s[4:5], s[8:9]
	s_or_b64 exec, exec, s[6:7]
	s_and_saveexec_b64 s[6:7], s[4:5]
	s_cbranch_execnz .LBB13_55
	s_branch .LBB13_56
.LBB13_2105:
	s_movk_i32 s4, 0x80
	v_cmp_eq_u16_sdwa s[12:13], v15, s4 src0_sel:BYTE_3 src1_sel:DWORD
	s_mov_b64 s[4:5], -1
                                        ; implicit-def: $sgpr10
	s_and_saveexec_b64 s[8:9], s[12:13]
; %bb.2106:
	s_mov_b32 s10, 0x7f800001
	s_xor_b64 s[4:5], exec, -1
; %bb.2107:
	s_or_b64 exec, exec, s[8:9]
	s_and_b64 s[4:5], s[4:5], exec
	s_or_saveexec_b64 s[6:7], s[6:7]
	v_mov_b32_e32 v10, s10
	s_xor_b64 exec, exec, s[6:7]
	s_cbranch_execz .LBB13_58
.LBB13_2108:
	v_mov_b32_e32 v10, 0
	v_cmp_ne_u16_sdwa s[8:9], v15, v10 src0_sel:BYTE_3 src1_sel:DWORD
	s_andn2_b64 s[4:5], s[4:5], exec
	s_and_b64 s[8:9], s[8:9], exec
	s_or_b64 s[4:5], s[4:5], s[8:9]
	s_or_b64 exec, exec, s[6:7]
	s_and_saveexec_b64 s[6:7], s[4:5]
	s_cbranch_execnz .LBB13_59
	s_branch .LBB13_60
.LBB13_2109:
	s_movk_i32 s4, 0x80
	v_cmp_eq_u16_sdwa s[12:13], v11, s4 src0_sel:BYTE_3 src1_sel:DWORD
	s_mov_b64 s[4:5], -1
                                        ; implicit-def: $sgpr10
	s_and_saveexec_b64 s[8:9], s[12:13]
; %bb.2110:
	s_mov_b32 s10, 0x7f800001
	s_xor_b64 s[4:5], exec, -1
; %bb.2111:
	s_or_b64 exec, exec, s[8:9]
	s_and_b64 s[4:5], s[4:5], exec
	s_or_saveexec_b64 s[6:7], s[6:7]
	v_mov_b32_e32 v14, s10
	s_xor_b64 exec, exec, s[6:7]
	s_cbranch_execz .LBB13_62
.LBB13_2112:
	v_mov_b32_e32 v14, 0
	v_cmp_ne_u16_sdwa s[8:9], v11, v14 src0_sel:BYTE_3 src1_sel:DWORD
	s_andn2_b64 s[4:5], s[4:5], exec
	s_and_b64 s[8:9], s[8:9], exec
	s_or_b64 s[4:5], s[4:5], s[8:9]
	s_or_b64 exec, exec, s[6:7]
	s_and_saveexec_b64 s[6:7], s[4:5]
	s_cbranch_execnz .LBB13_63
	s_branch .LBB13_64
.LBB13_2113:
	s_movk_i32 s4, 0x80
	v_cmp_eq_u16_sdwa s[12:13], v16, s4 src0_sel:BYTE_0 src1_sel:DWORD
	s_mov_b64 s[4:5], -1
                                        ; implicit-def: $sgpr10
	s_and_saveexec_b64 s[8:9], s[12:13]
; %bb.2114:
	s_mov_b32 s10, 0x7f800001
	s_xor_b64 s[4:5], exec, -1
; %bb.2115:
	s_or_b64 exec, exec, s[8:9]
	s_and_b64 s[4:5], s[4:5], exec
	s_or_saveexec_b64 s[6:7], s[6:7]
	v_mov_b32_e32 v10, s10
	s_xor_b64 exec, exec, s[6:7]
	s_cbranch_execz .LBB13_66
.LBB13_2116:
	v_mov_b32_e32 v10, 0
	v_cmp_ne_u16_sdwa s[8:9], v16, v10 src0_sel:BYTE_0 src1_sel:DWORD
	s_andn2_b64 s[4:5], s[4:5], exec
	s_and_b64 s[8:9], s[8:9], exec
	s_or_b64 s[4:5], s[4:5], s[8:9]
	s_or_b64 exec, exec, s[6:7]
	s_and_saveexec_b64 s[6:7], s[4:5]
	s_cbranch_execnz .LBB13_67
	s_branch .LBB13_68
.LBB13_2117:
	s_movk_i32 s4, 0x80
	v_cmp_eq_u16_sdwa s[12:13], v12, s4 src0_sel:BYTE_0 src1_sel:DWORD
	s_mov_b64 s[4:5], -1
                                        ; implicit-def: $sgpr10
	s_and_saveexec_b64 s[8:9], s[12:13]
; %bb.2118:
	s_mov_b32 s10, 0x7f800001
	s_xor_b64 s[4:5], exec, -1
; %bb.2119:
	s_or_b64 exec, exec, s[8:9]
	s_and_b64 s[4:5], s[4:5], exec
	s_or_saveexec_b64 s[6:7], s[6:7]
	v_mov_b32_e32 v11, s10
	s_xor_b64 exec, exec, s[6:7]
	s_cbranch_execz .LBB13_70
.LBB13_2120:
	v_mov_b32_e32 v11, 0
	v_cmp_ne_u16_sdwa s[8:9], v12, v11 src0_sel:BYTE_0 src1_sel:DWORD
	s_andn2_b64 s[4:5], s[4:5], exec
	s_and_b64 s[8:9], s[8:9], exec
	s_or_b64 s[4:5], s[4:5], s[8:9]
	s_or_b64 exec, exec, s[6:7]
	s_and_saveexec_b64 s[6:7], s[4:5]
	s_cbranch_execnz .LBB13_71
	s_branch .LBB13_72
.LBB13_2121:
	s_movk_i32 s4, 0x80
	v_cmp_eq_u16_sdwa s[12:13], v11, s4 src0_sel:BYTE_0 src1_sel:DWORD
	s_mov_b64 s[4:5], -1
                                        ; implicit-def: $sgpr10
	s_and_saveexec_b64 s[8:9], s[12:13]
; %bb.2122:
	s_mov_b32 s10, 0x7f800001
	s_xor_b64 s[4:5], exec, -1
; %bb.2123:
	s_or_b64 exec, exec, s[8:9]
	s_and_b64 s[4:5], s[4:5], exec
	s_or_saveexec_b64 s[6:7], s[6:7]
	v_mov_b32_e32 v10, s10
	s_xor_b64 exec, exec, s[6:7]
	s_cbranch_execz .LBB13_74
.LBB13_2124:
	v_mov_b32_e32 v10, 0
	v_cmp_ne_u16_sdwa s[8:9], v11, v10 src0_sel:BYTE_0 src1_sel:DWORD
	s_andn2_b64 s[4:5], s[4:5], exec
	s_and_b64 s[8:9], s[8:9], exec
	s_or_b64 s[4:5], s[4:5], s[8:9]
	s_or_b64 exec, exec, s[6:7]
	s_and_saveexec_b64 s[6:7], s[4:5]
	s_cbranch_execnz .LBB13_75
	s_branch .LBB13_76
.LBB13_2125:
	s_movk_i32 s4, 0x80
	v_cmp_eq_u16_sdwa s[12:13], v11, s4 src0_sel:BYTE_0 src1_sel:DWORD
	s_mov_b64 s[4:5], -1
                                        ; implicit-def: $sgpr10
	s_and_saveexec_b64 s[8:9], s[12:13]
; %bb.2126:
	s_mov_b32 s10, 0x7f800001
	s_xor_b64 s[4:5], exec, -1
; %bb.2127:
	s_or_b64 exec, exec, s[8:9]
	s_and_b64 s[4:5], s[4:5], exec
	s_or_saveexec_b64 s[6:7], s[6:7]
	v_mov_b32_e32 v14, s10
	s_xor_b64 exec, exec, s[6:7]
	s_cbranch_execz .LBB13_78
.LBB13_2128:
	v_mov_b32_e32 v14, 0
	v_cmp_ne_u16_sdwa s[8:9], v11, v14 src0_sel:BYTE_0 src1_sel:DWORD
	s_andn2_b64 s[4:5], s[4:5], exec
	s_and_b64 s[8:9], s[8:9], exec
	s_or_b64 s[4:5], s[4:5], s[8:9]
	s_or_b64 exec, exec, s[6:7]
	s_and_saveexec_b64 s[6:7], s[4:5]
	s_cbranch_execnz .LBB13_79
	s_branch .LBB13_80
.LBB13_2129:
	s_movk_i32 s4, 0x80
	v_cmp_eq_u16_e32 vcc, s4, v11
	s_mov_b64 s[4:5], -1
                                        ; implicit-def: $sgpr10
	s_and_saveexec_b64 s[8:9], vcc
; %bb.2130:
	s_mov_b32 s10, 0x7f800001
	s_xor_b64 s[4:5], exec, -1
; %bb.2131:
	s_or_b64 exec, exec, s[8:9]
	s_and_b64 s[4:5], s[4:5], exec
                                        ; implicit-def: $vgpr11
	s_or_saveexec_b64 s[6:7], s[6:7]
	v_mov_b32_e32 v10, s10
	s_xor_b64 exec, exec, s[6:7]
	s_cbranch_execz .LBB13_82
.LBB13_2132:
	v_cmp_ne_u16_e32 vcc, 0, v11
	s_andn2_b64 s[4:5], s[4:5], exec
	s_and_b64 s[8:9], vcc, exec
	v_mov_b32_e32 v10, 0
	s_or_b64 s[4:5], s[4:5], s[8:9]
	s_or_b64 exec, exec, s[6:7]
	s_and_saveexec_b64 s[6:7], s[4:5]
	s_cbranch_execnz .LBB13_83
	s_branch .LBB13_84
.LBB13_2133:
	s_movk_i32 s4, 0x80
	v_cmp_eq_u16_e32 vcc, s4, v11
	s_mov_b64 s[4:5], -1
                                        ; implicit-def: $sgpr10
	s_and_saveexec_b64 s[8:9], vcc
; %bb.2134:
	s_mov_b32 s10, 0x7f800001
	s_xor_b64 s[4:5], exec, -1
; %bb.2135:
	s_or_b64 exec, exec, s[8:9]
	s_and_b64 s[4:5], s[4:5], exec
                                        ; implicit-def: $vgpr11
	s_or_saveexec_b64 s[6:7], s[6:7]
	v_mov_b32_e32 v14, s10
	s_xor_b64 exec, exec, s[6:7]
	s_cbranch_execz .LBB13_86
.LBB13_2136:
	v_cmp_ne_u16_e32 vcc, 0, v11
	s_andn2_b64 s[4:5], s[4:5], exec
	s_and_b64 s[8:9], vcc, exec
	v_mov_b32_e32 v14, 0
	s_or_b64 s[4:5], s[4:5], s[8:9]
	s_or_b64 exec, exec, s[6:7]
	s_and_saveexec_b64 s[6:7], s[4:5]
	s_cbranch_execnz .LBB13_87
	s_branch .LBB13_88
.LBB13_2137:
	s_movk_i32 s4, 0x80
	v_cmp_eq_u16_sdwa s[12:13], v16, s4 src0_sel:BYTE_3 src1_sel:DWORD
	s_mov_b64 s[4:5], -1
                                        ; implicit-def: $sgpr10
	s_and_saveexec_b64 s[8:9], s[12:13]
; %bb.2138:
	s_mov_b32 s10, 0x7f800001
	s_xor_b64 s[4:5], exec, -1
; %bb.2139:
	s_or_b64 exec, exec, s[8:9]
	s_and_b64 s[4:5], s[4:5], exec
	s_or_saveexec_b64 s[6:7], s[6:7]
	v_mov_b32_e32 v10, s10
	s_xor_b64 exec, exec, s[6:7]
	s_cbranch_execz .LBB13_90
.LBB13_2140:
	v_mov_b32_e32 v10, 0
	v_cmp_ne_u16_sdwa s[8:9], v16, v10 src0_sel:BYTE_3 src1_sel:DWORD
	s_andn2_b64 s[4:5], s[4:5], exec
	s_and_b64 s[8:9], s[8:9], exec
	s_or_b64 s[4:5], s[4:5], s[8:9]
	s_or_b64 exec, exec, s[6:7]
	s_and_saveexec_b64 s[6:7], s[4:5]
	s_cbranch_execnz .LBB13_91
	s_branch .LBB13_92
.LBB13_2141:
	s_movk_i32 s4, 0x80
	v_cmp_eq_u16_sdwa s[12:13], v12, s4 src0_sel:BYTE_3 src1_sel:DWORD
	s_mov_b64 s[4:5], -1
                                        ; implicit-def: $sgpr10
	s_and_saveexec_b64 s[8:9], s[12:13]
; %bb.2142:
	s_mov_b32 s10, 0x7f800001
	s_xor_b64 s[4:5], exec, -1
; %bb.2143:
	s_or_b64 exec, exec, s[8:9]
	s_and_b64 s[4:5], s[4:5], exec
	s_or_saveexec_b64 s[6:7], s[6:7]
	v_mov_b32_e32 v11, s10
	s_xor_b64 exec, exec, s[6:7]
	s_cbranch_execz .LBB13_94
.LBB13_2144:
	v_mov_b32_e32 v11, 0
	v_cmp_ne_u16_sdwa s[8:9], v12, v11 src0_sel:BYTE_3 src1_sel:DWORD
	s_andn2_b64 s[4:5], s[4:5], exec
	s_and_b64 s[8:9], s[8:9], exec
	s_or_b64 s[4:5], s[4:5], s[8:9]
	s_or_b64 exec, exec, s[6:7]
	s_and_saveexec_b64 s[6:7], s[4:5]
	s_cbranch_execnz .LBB13_95
	s_branch .LBB13_96
.LBB13_2145:
	s_movk_i32 s4, 0x80
	v_cmp_eq_u16_sdwa s[12:13], v17, s4 src0_sel:BYTE_0 src1_sel:DWORD
	s_mov_b64 s[4:5], -1
                                        ; implicit-def: $sgpr10
	s_and_saveexec_b64 s[8:9], s[12:13]
; %bb.2146:
	s_mov_b32 s10, 0x7f800001
	s_xor_b64 s[4:5], exec, -1
; %bb.2147:
	s_or_b64 exec, exec, s[8:9]
	s_and_b64 s[4:5], s[4:5], exec
	s_or_saveexec_b64 s[6:7], s[6:7]
	v_mov_b32_e32 v10, s10
	s_xor_b64 exec, exec, s[6:7]
	s_cbranch_execz .LBB13_98
.LBB13_2148:
	v_mov_b32_e32 v10, 0
	v_cmp_ne_u16_sdwa s[8:9], v17, v10 src0_sel:BYTE_0 src1_sel:DWORD
	s_andn2_b64 s[4:5], s[4:5], exec
	s_and_b64 s[8:9], s[8:9], exec
	s_or_b64 s[4:5], s[4:5], s[8:9]
	s_or_b64 exec, exec, s[6:7]
	s_and_saveexec_b64 s[6:7], s[4:5]
	s_cbranch_execnz .LBB13_99
	s_branch .LBB13_100
.LBB13_2149:
	s_movk_i32 s4, 0x80
	v_cmp_eq_u16_sdwa s[12:13], v13, s4 src0_sel:BYTE_0 src1_sel:DWORD
	s_mov_b64 s[4:5], -1
                                        ; implicit-def: $sgpr10
	s_and_saveexec_b64 s[8:9], s[12:13]
; %bb.2150:
	s_mov_b32 s10, 0x7f800001
	s_xor_b64 s[4:5], exec, -1
; %bb.2151:
	s_or_b64 exec, exec, s[8:9]
	s_and_b64 s[4:5], s[4:5], exec
	s_or_saveexec_b64 s[6:7], s[6:7]
	v_mov_b32_e32 v11, s10
	s_xor_b64 exec, exec, s[6:7]
	s_cbranch_execz .LBB13_102
.LBB13_2152:
	v_mov_b32_e32 v11, 0
	v_cmp_ne_u16_sdwa s[8:9], v13, v11 src0_sel:BYTE_0 src1_sel:DWORD
	s_andn2_b64 s[4:5], s[4:5], exec
	s_and_b64 s[8:9], s[8:9], exec
	s_or_b64 s[4:5], s[4:5], s[8:9]
	s_or_b64 exec, exec, s[6:7]
	s_and_saveexec_b64 s[6:7], s[4:5]
	s_cbranch_execnz .LBB13_103
	s_branch .LBB13_104
.LBB13_2153:
	s_movk_i32 s4, 0x80
	v_cmp_eq_u16_sdwa s[12:13], v11, s4 src0_sel:BYTE_0 src1_sel:DWORD
	s_mov_b64 s[4:5], -1
                                        ; implicit-def: $sgpr10
	s_and_saveexec_b64 s[8:9], s[12:13]
; %bb.2154:
	s_mov_b32 s10, 0x7f800001
	s_xor_b64 s[4:5], exec, -1
; %bb.2155:
	s_or_b64 exec, exec, s[8:9]
	s_and_b64 s[4:5], s[4:5], exec
	s_or_saveexec_b64 s[6:7], s[6:7]
	v_mov_b32_e32 v10, s10
	s_xor_b64 exec, exec, s[6:7]
	s_cbranch_execz .LBB13_106
.LBB13_2156:
	v_mov_b32_e32 v10, 0
	v_cmp_ne_u16_sdwa s[8:9], v11, v10 src0_sel:BYTE_0 src1_sel:DWORD
	s_andn2_b64 s[4:5], s[4:5], exec
	s_and_b64 s[8:9], s[8:9], exec
	s_or_b64 s[4:5], s[4:5], s[8:9]
	s_or_b64 exec, exec, s[6:7]
	s_and_saveexec_b64 s[6:7], s[4:5]
	s_cbranch_execnz .LBB13_107
	s_branch .LBB13_108
.LBB13_2157:
	s_movk_i32 s4, 0x80
	v_cmp_eq_u16_sdwa s[12:13], v11, s4 src0_sel:BYTE_0 src1_sel:DWORD
	s_mov_b64 s[4:5], -1
                                        ; implicit-def: $sgpr10
	s_and_saveexec_b64 s[8:9], s[12:13]
; %bb.2158:
	s_mov_b32 s10, 0x7f800001
	s_xor_b64 s[4:5], exec, -1
; %bb.2159:
	s_or_b64 exec, exec, s[8:9]
	s_and_b64 s[4:5], s[4:5], exec
	s_or_saveexec_b64 s[6:7], s[6:7]
	v_mov_b32_e32 v12, s10
	s_xor_b64 exec, exec, s[6:7]
	s_cbranch_execz .LBB13_110
.LBB13_2160:
	v_mov_b32_e32 v12, 0
	v_cmp_ne_u16_sdwa s[8:9], v11, v12 src0_sel:BYTE_0 src1_sel:DWORD
	s_andn2_b64 s[4:5], s[4:5], exec
	s_and_b64 s[8:9], s[8:9], exec
	s_or_b64 s[4:5], s[4:5], s[8:9]
	s_or_b64 exec, exec, s[6:7]
	s_and_saveexec_b64 s[6:7], s[4:5]
	s_cbranch_execnz .LBB13_111
	s_branch .LBB13_112
.LBB13_2161:
	s_movk_i32 s4, 0x80
	v_cmp_eq_u16_e32 vcc, s4, v11
	s_mov_b64 s[4:5], -1
                                        ; implicit-def: $sgpr10
	s_and_saveexec_b64 s[8:9], vcc
; %bb.2162:
	s_mov_b32 s10, 0x7f800001
	s_xor_b64 s[4:5], exec, -1
; %bb.2163:
	s_or_b64 exec, exec, s[8:9]
	s_and_b64 s[4:5], s[4:5], exec
                                        ; implicit-def: $vgpr11
	s_or_saveexec_b64 s[6:7], s[6:7]
	v_mov_b32_e32 v10, s10
	s_xor_b64 exec, exec, s[6:7]
	s_cbranch_execz .LBB13_114
.LBB13_2164:
	v_cmp_ne_u16_e32 vcc, 0, v11
	s_andn2_b64 s[4:5], s[4:5], exec
	s_and_b64 s[8:9], vcc, exec
	v_mov_b32_e32 v10, 0
	s_or_b64 s[4:5], s[4:5], s[8:9]
	s_or_b64 exec, exec, s[6:7]
	s_and_saveexec_b64 s[6:7], s[4:5]
	s_cbranch_execnz .LBB13_115
	s_branch .LBB13_116
.LBB13_2165:
	s_movk_i32 s4, 0x80
	v_cmp_eq_u16_e32 vcc, s4, v11
	s_mov_b64 s[4:5], -1
                                        ; implicit-def: $sgpr10
	s_and_saveexec_b64 s[8:9], vcc
; %bb.2166:
	s_mov_b32 s10, 0x7f800001
	s_xor_b64 s[4:5], exec, -1
; %bb.2167:
	s_or_b64 exec, exec, s[8:9]
	s_and_b64 s[4:5], s[4:5], exec
                                        ; implicit-def: $vgpr11
	s_or_saveexec_b64 s[6:7], s[6:7]
	v_mov_b32_e32 v12, s10
	s_xor_b64 exec, exec, s[6:7]
	s_cbranch_execz .LBB13_118
.LBB13_2168:
	v_cmp_ne_u16_e32 vcc, 0, v11
	s_andn2_b64 s[4:5], s[4:5], exec
	s_and_b64 s[8:9], vcc, exec
	v_mov_b32_e32 v12, 0
	s_or_b64 s[4:5], s[4:5], s[8:9]
	s_or_b64 exec, exec, s[6:7]
	s_and_saveexec_b64 s[6:7], s[4:5]
	s_cbranch_execnz .LBB13_119
	s_branch .LBB13_120
.LBB13_2169:
	s_movk_i32 s4, 0x80
	v_cmp_eq_u16_sdwa s[12:13], v17, s4 src0_sel:BYTE_3 src1_sel:DWORD
	s_mov_b64 s[4:5], -1
                                        ; implicit-def: $sgpr10
	s_and_saveexec_b64 s[8:9], s[12:13]
; %bb.2170:
	s_mov_b32 s10, 0x7f800001
	s_xor_b64 s[4:5], exec, -1
; %bb.2171:
	s_or_b64 exec, exec, s[8:9]
	s_and_b64 s[4:5], s[4:5], exec
	s_or_saveexec_b64 s[6:7], s[6:7]
	v_mov_b32_e32 v10, s10
	s_xor_b64 exec, exec, s[6:7]
	s_cbranch_execz .LBB13_122
.LBB13_2172:
	v_mov_b32_e32 v10, 0
	v_cmp_ne_u16_sdwa s[8:9], v17, v10 src0_sel:BYTE_3 src1_sel:DWORD
	s_andn2_b64 s[4:5], s[4:5], exec
	s_and_b64 s[8:9], s[8:9], exec
	s_or_b64 s[4:5], s[4:5], s[8:9]
	s_or_b64 exec, exec, s[6:7]
	s_and_saveexec_b64 s[6:7], s[4:5]
	s_cbranch_execnz .LBB13_123
	s_branch .LBB13_124
.LBB13_2173:
	s_movk_i32 s4, 0x80
	v_cmp_eq_u16_sdwa s[12:13], v13, s4 src0_sel:BYTE_3 src1_sel:DWORD
	s_mov_b64 s[4:5], -1
                                        ; implicit-def: $sgpr10
	s_and_saveexec_b64 s[8:9], s[12:13]
; %bb.2174:
	s_mov_b32 s10, 0x7f800001
	s_xor_b64 s[4:5], exec, -1
; %bb.2175:
	s_or_b64 exec, exec, s[8:9]
	s_and_b64 s[4:5], s[4:5], exec
	s_or_saveexec_b64 s[6:7], s[6:7]
	v_mov_b32_e32 v11, s10
	s_xor_b64 exec, exec, s[6:7]
	s_cbranch_execz .LBB13_126
.LBB13_2176:
	v_mov_b32_e32 v11, 0
	v_cmp_ne_u16_sdwa s[8:9], v13, v11 src0_sel:BYTE_3 src1_sel:DWORD
	s_andn2_b64 s[4:5], s[4:5], exec
	s_and_b64 s[8:9], s[8:9], exec
	s_or_b64 s[4:5], s[4:5], s[8:9]
	s_or_b64 exec, exec, s[6:7]
	s_and_saveexec_b64 s[6:7], s[4:5]
	s_cbranch_execnz .LBB13_127
	s_branch .LBB13_128
.LBB13_2177:
	s_movk_i32 s4, 0x80
	v_cmp_eq_u16_sdwa s[12:13], v6, s4 src0_sel:BYTE_0 src1_sel:DWORD
	s_mov_b64 s[4:5], -1
                                        ; implicit-def: $sgpr10
	s_and_saveexec_b64 s[8:9], s[12:13]
; %bb.2178:
	s_mov_b32 s10, 0x7f800001
	s_xor_b64 s[4:5], exec, -1
; %bb.2179:
	s_or_b64 exec, exec, s[8:9]
	s_and_b64 s[4:5], s[4:5], exec
	s_or_saveexec_b64 s[6:7], s[6:7]
	v_mov_b32_e32 v10, s10
	s_xor_b64 exec, exec, s[6:7]
	s_cbranch_execz .LBB13_130
.LBB13_2180:
	v_mov_b32_e32 v10, 0
	v_cmp_ne_u16_sdwa s[8:9], v6, v10 src0_sel:BYTE_0 src1_sel:DWORD
	s_andn2_b64 s[4:5], s[4:5], exec
	s_and_b64 s[8:9], s[8:9], exec
	s_or_b64 s[4:5], s[4:5], s[8:9]
	s_or_b64 exec, exec, s[6:7]
	s_and_saveexec_b64 s[6:7], s[4:5]
	s_cbranch_execnz .LBB13_131
	s_branch .LBB13_132
.LBB13_2181:
	s_movk_i32 s4, 0x80
	v_cmp_eq_u16_sdwa s[12:13], v2, s4 src0_sel:BYTE_0 src1_sel:DWORD
	s_mov_b64 s[4:5], -1
                                        ; implicit-def: $sgpr10
	s_and_saveexec_b64 s[8:9], s[12:13]
; %bb.2182:
	s_mov_b32 s10, 0x7f800001
	s_xor_b64 s[4:5], exec, -1
; %bb.2183:
	s_or_b64 exec, exec, s[8:9]
	s_and_b64 s[4:5], s[4:5], exec
	s_or_saveexec_b64 s[6:7], s[6:7]
	v_mov_b32_e32 v11, s10
	s_xor_b64 exec, exec, s[6:7]
	s_cbranch_execz .LBB13_134
.LBB13_2184:
	v_mov_b32_e32 v11, 0
	v_cmp_ne_u16_sdwa s[8:9], v2, v11 src0_sel:BYTE_0 src1_sel:DWORD
	s_andn2_b64 s[4:5], s[4:5], exec
	s_and_b64 s[8:9], s[8:9], exec
	s_or_b64 s[4:5], s[4:5], s[8:9]
	s_or_b64 exec, exec, s[6:7]
	s_and_saveexec_b64 s[6:7], s[4:5]
	s_cbranch_execnz .LBB13_135
	s_branch .LBB13_136
.LBB13_2185:
	s_movk_i32 s4, 0x80
	v_cmp_eq_u16_sdwa s[12:13], v11, s4 src0_sel:BYTE_0 src1_sel:DWORD
	s_mov_b64 s[4:5], -1
                                        ; implicit-def: $sgpr10
	s_and_saveexec_b64 s[8:9], s[12:13]
; %bb.2186:
	s_mov_b32 s10, 0x7f800001
	s_xor_b64 s[4:5], exec, -1
; %bb.2187:
	s_or_b64 exec, exec, s[8:9]
	s_and_b64 s[4:5], s[4:5], exec
	s_or_saveexec_b64 s[6:7], s[6:7]
	v_mov_b32_e32 v10, s10
	s_xor_b64 exec, exec, s[6:7]
	s_cbranch_execz .LBB13_138
.LBB13_2188:
	v_mov_b32_e32 v10, 0
	v_cmp_ne_u16_sdwa s[8:9], v11, v10 src0_sel:BYTE_0 src1_sel:DWORD
	s_andn2_b64 s[4:5], s[4:5], exec
	s_and_b64 s[8:9], s[8:9], exec
	s_or_b64 s[4:5], s[4:5], s[8:9]
	s_or_b64 exec, exec, s[6:7]
	s_and_saveexec_b64 s[6:7], s[4:5]
	s_cbranch_execnz .LBB13_139
	s_branch .LBB13_140
.LBB13_2189:
	s_movk_i32 s4, 0x80
	v_cmp_eq_u16_sdwa s[12:13], v11, s4 src0_sel:BYTE_0 src1_sel:DWORD
	s_mov_b64 s[4:5], -1
                                        ; implicit-def: $sgpr10
	s_and_saveexec_b64 s[8:9], s[12:13]
; %bb.2190:
	s_mov_b32 s10, 0x7f800001
	s_xor_b64 s[4:5], exec, -1
; %bb.2191:
	s_or_b64 exec, exec, s[8:9]
	s_and_b64 s[4:5], s[4:5], exec
	s_or_saveexec_b64 s[6:7], s[6:7]
	v_mov_b32_e32 v12, s10
	s_xor_b64 exec, exec, s[6:7]
	s_cbranch_execz .LBB13_142
.LBB13_2192:
	v_mov_b32_e32 v12, 0
	v_cmp_ne_u16_sdwa s[8:9], v11, v12 src0_sel:BYTE_0 src1_sel:DWORD
	s_andn2_b64 s[4:5], s[4:5], exec
	s_and_b64 s[8:9], s[8:9], exec
	s_or_b64 s[4:5], s[4:5], s[8:9]
	s_or_b64 exec, exec, s[6:7]
	s_and_saveexec_b64 s[6:7], s[4:5]
	s_cbranch_execnz .LBB13_143
	s_branch .LBB13_144
.LBB13_2193:
	s_movk_i32 s4, 0x80
	v_cmp_eq_u16_e32 vcc, s4, v11
	s_mov_b64 s[4:5], -1
                                        ; implicit-def: $sgpr10
	s_and_saveexec_b64 s[8:9], vcc
; %bb.2194:
	s_mov_b32 s10, 0x7f800001
	s_xor_b64 s[4:5], exec, -1
; %bb.2195:
	s_or_b64 exec, exec, s[8:9]
	s_and_b64 s[4:5], s[4:5], exec
                                        ; implicit-def: $vgpr11
	s_or_saveexec_b64 s[6:7], s[6:7]
	v_mov_b32_e32 v10, s10
	s_xor_b64 exec, exec, s[6:7]
	s_cbranch_execz .LBB13_146
.LBB13_2196:
	v_cmp_ne_u16_e32 vcc, 0, v11
	s_andn2_b64 s[4:5], s[4:5], exec
	s_and_b64 s[8:9], vcc, exec
	v_mov_b32_e32 v10, 0
	s_or_b64 s[4:5], s[4:5], s[8:9]
	s_or_b64 exec, exec, s[6:7]
	s_and_saveexec_b64 s[6:7], s[4:5]
	s_cbranch_execnz .LBB13_147
	s_branch .LBB13_148
.LBB13_2197:
	s_movk_i32 s4, 0x80
	v_cmp_eq_u16_e32 vcc, s4, v11
	s_mov_b64 s[4:5], -1
                                        ; implicit-def: $sgpr10
	s_and_saveexec_b64 s[8:9], vcc
; %bb.2198:
	s_mov_b32 s10, 0x7f800001
	s_xor_b64 s[4:5], exec, -1
; %bb.2199:
	s_or_b64 exec, exec, s[8:9]
	s_and_b64 s[4:5], s[4:5], exec
                                        ; implicit-def: $vgpr11
	s_or_saveexec_b64 s[6:7], s[6:7]
	v_mov_b32_e32 v12, s10
	s_xor_b64 exec, exec, s[6:7]
	s_cbranch_execz .LBB13_150
.LBB13_2200:
	v_cmp_ne_u16_e32 vcc, 0, v11
	s_andn2_b64 s[4:5], s[4:5], exec
	s_and_b64 s[8:9], vcc, exec
	v_mov_b32_e32 v12, 0
	s_or_b64 s[4:5], s[4:5], s[8:9]
	s_or_b64 exec, exec, s[6:7]
	s_and_saveexec_b64 s[6:7], s[4:5]
	s_cbranch_execnz .LBB13_151
	s_branch .LBB13_152
.LBB13_2201:
	s_movk_i32 s4, 0x80
	v_cmp_eq_u16_sdwa s[12:13], v6, s4 src0_sel:BYTE_3 src1_sel:DWORD
	s_mov_b64 s[4:5], -1
                                        ; implicit-def: $sgpr10
	s_and_saveexec_b64 s[8:9], s[12:13]
; %bb.2202:
	s_mov_b32 s10, 0x7f800001
	s_xor_b64 s[4:5], exec, -1
; %bb.2203:
	s_or_b64 exec, exec, s[8:9]
	s_and_b64 s[4:5], s[4:5], exec
	s_or_saveexec_b64 s[6:7], s[6:7]
	v_mov_b32_e32 v10, s10
	s_xor_b64 exec, exec, s[6:7]
	s_cbranch_execz .LBB13_154
.LBB13_2204:
	v_mov_b32_e32 v10, 0
	v_cmp_ne_u16_sdwa s[8:9], v6, v10 src0_sel:BYTE_3 src1_sel:DWORD
	s_andn2_b64 s[4:5], s[4:5], exec
	s_and_b64 s[8:9], s[8:9], exec
	s_or_b64 s[4:5], s[4:5], s[8:9]
	s_or_b64 exec, exec, s[6:7]
	s_and_saveexec_b64 s[6:7], s[4:5]
	s_cbranch_execnz .LBB13_155
	s_branch .LBB13_156
.LBB13_2205:
	s_movk_i32 s4, 0x80
	v_cmp_eq_u16_sdwa s[12:13], v2, s4 src0_sel:BYTE_3 src1_sel:DWORD
	s_mov_b64 s[4:5], -1
                                        ; implicit-def: $sgpr10
	s_and_saveexec_b64 s[8:9], s[12:13]
; %bb.2206:
	s_mov_b32 s10, 0x7f800001
	s_xor_b64 s[4:5], exec, -1
; %bb.2207:
	s_or_b64 exec, exec, s[8:9]
	s_and_b64 s[4:5], s[4:5], exec
	s_or_saveexec_b64 s[6:7], s[6:7]
	v_mov_b32_e32 v6, s10
	s_xor_b64 exec, exec, s[6:7]
	s_cbranch_execz .LBB13_158
.LBB13_2208:
	v_mov_b32_e32 v6, 0
	v_cmp_ne_u16_sdwa s[8:9], v2, v6 src0_sel:BYTE_3 src1_sel:DWORD
	s_andn2_b64 s[4:5], s[4:5], exec
	s_and_b64 s[8:9], s[8:9], exec
	s_or_b64 s[4:5], s[4:5], s[8:9]
	s_or_b64 exec, exec, s[6:7]
	s_and_saveexec_b64 s[6:7], s[4:5]
	s_cbranch_execnz .LBB13_159
	s_branch .LBB13_160
.LBB13_2209:
	s_movk_i32 s4, 0x80
	v_cmp_eq_u16_sdwa s[12:13], v7, s4 src0_sel:BYTE_0 src1_sel:DWORD
	s_mov_b64 s[4:5], -1
                                        ; implicit-def: $sgpr10
	s_and_saveexec_b64 s[8:9], s[12:13]
; %bb.2210:
	s_mov_b32 s10, 0x7f800001
	s_xor_b64 s[4:5], exec, -1
; %bb.2211:
	s_or_b64 exec, exec, s[8:9]
	s_and_b64 s[4:5], s[4:5], exec
	s_or_saveexec_b64 s[6:7], s[6:7]
	v_mov_b32_e32 v2, s10
	s_xor_b64 exec, exec, s[6:7]
	s_cbranch_execz .LBB13_162
.LBB13_2212:
	v_mov_b32_e32 v2, 0
	v_cmp_ne_u16_sdwa s[8:9], v7, v2 src0_sel:BYTE_0 src1_sel:DWORD
	s_andn2_b64 s[4:5], s[4:5], exec
	s_and_b64 s[8:9], s[8:9], exec
	s_or_b64 s[4:5], s[4:5], s[8:9]
	s_or_b64 exec, exec, s[6:7]
	s_and_saveexec_b64 s[6:7], s[4:5]
	s_cbranch_execnz .LBB13_163
	s_branch .LBB13_164
.LBB13_2213:
	s_movk_i32 s4, 0x80
	v_cmp_eq_u16_sdwa s[12:13], v3, s4 src0_sel:BYTE_0 src1_sel:DWORD
	s_mov_b64 s[4:5], -1
                                        ; implicit-def: $sgpr10
	s_and_saveexec_b64 s[8:9], s[12:13]
; %bb.2214:
	s_mov_b32 s10, 0x7f800001
	s_xor_b64 s[4:5], exec, -1
; %bb.2215:
	s_or_b64 exec, exec, s[8:9]
	s_and_b64 s[4:5], s[4:5], exec
	s_or_saveexec_b64 s[6:7], s[6:7]
	v_mov_b32_e32 v6, s10
	s_xor_b64 exec, exec, s[6:7]
	s_cbranch_execz .LBB13_166
.LBB13_2216:
	v_mov_b32_e32 v6, 0
	v_cmp_ne_u16_sdwa s[8:9], v3, v6 src0_sel:BYTE_0 src1_sel:DWORD
	s_andn2_b64 s[4:5], s[4:5], exec
	s_and_b64 s[8:9], s[8:9], exec
	s_or_b64 s[4:5], s[4:5], s[8:9]
	s_or_b64 exec, exec, s[6:7]
	s_and_saveexec_b64 s[6:7], s[4:5]
	s_cbranch_execnz .LBB13_167
	s_branch .LBB13_168
.LBB13_2217:
	s_movk_i32 s4, 0x80
	v_cmp_eq_u16_sdwa s[12:13], v6, s4 src0_sel:BYTE_0 src1_sel:DWORD
	s_mov_b64 s[4:5], -1
                                        ; implicit-def: $sgpr10
	s_and_saveexec_b64 s[8:9], s[12:13]
; %bb.2218:
	s_mov_b32 s10, 0x7f800001
	s_xor_b64 s[4:5], exec, -1
; %bb.2219:
	s_or_b64 exec, exec, s[8:9]
	s_and_b64 s[4:5], s[4:5], exec
	s_or_saveexec_b64 s[6:7], s[6:7]
	v_mov_b32_e32 v2, s10
	s_xor_b64 exec, exec, s[6:7]
	s_cbranch_execz .LBB13_170
.LBB13_2220:
	v_mov_b32_e32 v2, 0
	v_cmp_ne_u16_sdwa s[8:9], v6, v2 src0_sel:BYTE_0 src1_sel:DWORD
	s_andn2_b64 s[4:5], s[4:5], exec
	s_and_b64 s[8:9], s[8:9], exec
	s_or_b64 s[4:5], s[4:5], s[8:9]
	s_or_b64 exec, exec, s[6:7]
	s_and_saveexec_b64 s[6:7], s[4:5]
	s_cbranch_execnz .LBB13_171
	s_branch .LBB13_172
.LBB13_2221:
	s_movk_i32 s4, 0x80
	v_cmp_eq_u16_sdwa s[12:13], v6, s4 src0_sel:BYTE_0 src1_sel:DWORD
	s_mov_b64 s[4:5], -1
                                        ; implicit-def: $sgpr10
	s_and_saveexec_b64 s[8:9], s[12:13]
; %bb.2222:
	s_mov_b32 s10, 0x7f800001
	s_xor_b64 s[4:5], exec, -1
; %bb.2223:
	s_or_b64 exec, exec, s[8:9]
	s_and_b64 s[4:5], s[4:5], exec
	s_or_saveexec_b64 s[6:7], s[6:7]
	v_mov_b32_e32 v10, s10
	s_xor_b64 exec, exec, s[6:7]
	s_cbranch_execz .LBB13_174
.LBB13_2224:
	v_mov_b32_e32 v10, 0
	v_cmp_ne_u16_sdwa s[8:9], v6, v10 src0_sel:BYTE_0 src1_sel:DWORD
	s_andn2_b64 s[4:5], s[4:5], exec
	s_and_b64 s[8:9], s[8:9], exec
	s_or_b64 s[4:5], s[4:5], s[8:9]
	s_or_b64 exec, exec, s[6:7]
	s_and_saveexec_b64 s[6:7], s[4:5]
	s_cbranch_execnz .LBB13_175
	s_branch .LBB13_176
.LBB13_2225:
	s_movk_i32 s4, 0x80
	v_cmp_eq_u16_e32 vcc, s4, v6
	s_mov_b64 s[4:5], -1
                                        ; implicit-def: $sgpr10
	s_and_saveexec_b64 s[8:9], vcc
; %bb.2226:
	s_mov_b32 s10, 0x7f800001
	s_xor_b64 s[4:5], exec, -1
; %bb.2227:
	s_or_b64 exec, exec, s[8:9]
	s_and_b64 s[4:5], s[4:5], exec
                                        ; implicit-def: $vgpr6
	s_or_saveexec_b64 s[6:7], s[6:7]
	v_mov_b32_e32 v2, s10
	s_xor_b64 exec, exec, s[6:7]
	s_cbranch_execz .LBB13_178
.LBB13_2228:
	v_cmp_ne_u16_e32 vcc, 0, v6
	s_andn2_b64 s[4:5], s[4:5], exec
	s_and_b64 s[8:9], vcc, exec
	v_mov_b32_e32 v2, 0
	s_or_b64 s[4:5], s[4:5], s[8:9]
	s_or_b64 exec, exec, s[6:7]
	s_and_saveexec_b64 s[6:7], s[4:5]
	s_cbranch_execnz .LBB13_179
	s_branch .LBB13_180
.LBB13_2229:
	s_movk_i32 s4, 0x80
	v_cmp_eq_u16_e32 vcc, s4, v6
	s_mov_b64 s[4:5], -1
                                        ; implicit-def: $sgpr10
	s_and_saveexec_b64 s[8:9], vcc
; %bb.2230:
	s_mov_b32 s10, 0x7f800001
	s_xor_b64 s[4:5], exec, -1
; %bb.2231:
	s_or_b64 exec, exec, s[8:9]
	s_and_b64 s[4:5], s[4:5], exec
                                        ; implicit-def: $vgpr6
	s_or_saveexec_b64 s[6:7], s[6:7]
	v_mov_b32_e32 v10, s10
	s_xor_b64 exec, exec, s[6:7]
	s_cbranch_execz .LBB13_182
.LBB13_2232:
	v_cmp_ne_u16_e32 vcc, 0, v6
	s_andn2_b64 s[4:5], s[4:5], exec
	s_and_b64 s[8:9], vcc, exec
	v_mov_b32_e32 v10, 0
	s_or_b64 s[4:5], s[4:5], s[8:9]
	s_or_b64 exec, exec, s[6:7]
	s_and_saveexec_b64 s[6:7], s[4:5]
	s_cbranch_execnz .LBB13_183
	s_branch .LBB13_184
.LBB13_2233:
	s_movk_i32 s4, 0x80
	v_cmp_eq_u16_sdwa s[12:13], v7, s4 src0_sel:BYTE_3 src1_sel:DWORD
	s_mov_b64 s[4:5], -1
                                        ; implicit-def: $sgpr10
	s_and_saveexec_b64 s[8:9], s[12:13]
; %bb.2234:
	s_mov_b32 s10, 0x7f800001
	s_xor_b64 s[4:5], exec, -1
; %bb.2235:
	s_or_b64 exec, exec, s[8:9]
	s_and_b64 s[4:5], s[4:5], exec
	s_or_saveexec_b64 s[6:7], s[6:7]
	v_mov_b32_e32 v2, s10
	s_xor_b64 exec, exec, s[6:7]
	s_cbranch_execz .LBB13_186
.LBB13_2236:
	v_mov_b32_e32 v2, 0
	v_cmp_ne_u16_sdwa s[8:9], v7, v2 src0_sel:BYTE_3 src1_sel:DWORD
	s_andn2_b64 s[4:5], s[4:5], exec
	s_and_b64 s[8:9], s[8:9], exec
	s_or_b64 s[4:5], s[4:5], s[8:9]
	s_or_b64 exec, exec, s[6:7]
	s_and_saveexec_b64 s[6:7], s[4:5]
	s_cbranch_execnz .LBB13_187
	s_branch .LBB13_188
.LBB13_2237:
	s_movk_i32 s4, 0x80
	v_cmp_eq_u16_sdwa s[12:13], v3, s4 src0_sel:BYTE_3 src1_sel:DWORD
	s_mov_b64 s[4:5], -1
                                        ; implicit-def: $sgpr10
	s_and_saveexec_b64 s[8:9], s[12:13]
; %bb.2238:
	s_mov_b32 s10, 0x7f800001
	s_xor_b64 s[4:5], exec, -1
; %bb.2239:
	s_or_b64 exec, exec, s[8:9]
	s_and_b64 s[4:5], s[4:5], exec
	s_or_saveexec_b64 s[6:7], s[6:7]
	v_mov_b32_e32 v6, s10
	s_xor_b64 exec, exec, s[6:7]
	s_cbranch_execz .LBB13_190
.LBB13_2240:
	v_mov_b32_e32 v6, 0
	v_cmp_ne_u16_sdwa s[8:9], v3, v6 src0_sel:BYTE_3 src1_sel:DWORD
	s_andn2_b64 s[4:5], s[4:5], exec
	s_and_b64 s[8:9], s[8:9], exec
	s_or_b64 s[4:5], s[4:5], s[8:9]
	s_or_b64 exec, exec, s[6:7]
	s_and_saveexec_b64 s[6:7], s[4:5]
	s_cbranch_execnz .LBB13_191
	s_branch .LBB13_192
.LBB13_2241:
	s_movk_i32 s4, 0x80
	v_cmp_eq_u16_sdwa s[12:13], v8, s4 src0_sel:BYTE_0 src1_sel:DWORD
	s_mov_b64 s[4:5], -1
                                        ; implicit-def: $sgpr10
	s_and_saveexec_b64 s[8:9], s[12:13]
; %bb.2242:
	s_mov_b32 s10, 0x7f800001
	s_xor_b64 s[4:5], exec, -1
; %bb.2243:
	s_or_b64 exec, exec, s[8:9]
	s_and_b64 s[4:5], s[4:5], exec
	s_or_saveexec_b64 s[6:7], s[6:7]
	v_mov_b32_e32 v2, s10
	s_xor_b64 exec, exec, s[6:7]
	s_cbranch_execz .LBB13_194
.LBB13_2244:
	v_mov_b32_e32 v2, 0
	v_cmp_ne_u16_sdwa s[8:9], v8, v2 src0_sel:BYTE_0 src1_sel:DWORD
	s_andn2_b64 s[4:5], s[4:5], exec
	s_and_b64 s[8:9], s[8:9], exec
	s_or_b64 s[4:5], s[4:5], s[8:9]
	s_or_b64 exec, exec, s[6:7]
	s_and_saveexec_b64 s[6:7], s[4:5]
	s_cbranch_execnz .LBB13_195
	s_branch .LBB13_196
.LBB13_2245:
	s_movk_i32 s4, 0x80
	v_cmp_eq_u16_sdwa s[12:13], v4, s4 src0_sel:BYTE_0 src1_sel:DWORD
	s_mov_b64 s[4:5], -1
                                        ; implicit-def: $sgpr10
	s_and_saveexec_b64 s[8:9], s[12:13]
; %bb.2246:
	s_mov_b32 s10, 0x7f800001
	s_xor_b64 s[4:5], exec, -1
; %bb.2247:
	s_or_b64 exec, exec, s[8:9]
	s_and_b64 s[4:5], s[4:5], exec
	s_or_saveexec_b64 s[6:7], s[6:7]
	v_mov_b32_e32 v3, s10
	s_xor_b64 exec, exec, s[6:7]
	s_cbranch_execz .LBB13_198
.LBB13_2248:
	v_mov_b32_e32 v3, 0
	v_cmp_ne_u16_sdwa s[8:9], v4, v3 src0_sel:BYTE_0 src1_sel:DWORD
	s_andn2_b64 s[4:5], s[4:5], exec
	s_and_b64 s[8:9], s[8:9], exec
	s_or_b64 s[4:5], s[4:5], s[8:9]
	s_or_b64 exec, exec, s[6:7]
	s_and_saveexec_b64 s[6:7], s[4:5]
	s_cbranch_execnz .LBB13_199
	s_branch .LBB13_200
.LBB13_2249:
	s_movk_i32 s4, 0x80
	v_cmp_eq_u16_sdwa s[12:13], v3, s4 src0_sel:BYTE_0 src1_sel:DWORD
	s_mov_b64 s[4:5], -1
                                        ; implicit-def: $sgpr10
	s_and_saveexec_b64 s[8:9], s[12:13]
; %bb.2250:
	s_mov_b32 s10, 0x7f800001
	s_xor_b64 s[4:5], exec, -1
; %bb.2251:
	s_or_b64 exec, exec, s[8:9]
	s_and_b64 s[4:5], s[4:5], exec
	s_or_saveexec_b64 s[6:7], s[6:7]
	v_mov_b32_e32 v2, s10
	s_xor_b64 exec, exec, s[6:7]
	s_cbranch_execz .LBB13_202
.LBB13_2252:
	v_mov_b32_e32 v2, 0
	v_cmp_ne_u16_sdwa s[8:9], v3, v2 src0_sel:BYTE_0 src1_sel:DWORD
	s_andn2_b64 s[4:5], s[4:5], exec
	s_and_b64 s[8:9], s[8:9], exec
	s_or_b64 s[4:5], s[4:5], s[8:9]
	s_or_b64 exec, exec, s[6:7]
	s_and_saveexec_b64 s[6:7], s[4:5]
	s_cbranch_execnz .LBB13_203
	s_branch .LBB13_204
.LBB13_2253:
	s_movk_i32 s4, 0x80
	v_cmp_eq_u16_sdwa s[12:13], v3, s4 src0_sel:BYTE_0 src1_sel:DWORD
	s_mov_b64 s[4:5], -1
                                        ; implicit-def: $sgpr10
	s_and_saveexec_b64 s[8:9], s[12:13]
; %bb.2254:
	s_mov_b32 s10, 0x7f800001
	s_xor_b64 s[4:5], exec, -1
; %bb.2255:
	s_or_b64 exec, exec, s[8:9]
	s_and_b64 s[4:5], s[4:5], exec
	s_or_saveexec_b64 s[6:7], s[6:7]
	v_mov_b32_e32 v6, s10
	s_xor_b64 exec, exec, s[6:7]
	s_cbranch_execz .LBB13_206
.LBB13_2256:
	v_mov_b32_e32 v6, 0
	v_cmp_ne_u16_sdwa s[8:9], v3, v6 src0_sel:BYTE_0 src1_sel:DWORD
	s_andn2_b64 s[4:5], s[4:5], exec
	s_and_b64 s[8:9], s[8:9], exec
	s_or_b64 s[4:5], s[4:5], s[8:9]
	s_or_b64 exec, exec, s[6:7]
	s_and_saveexec_b64 s[6:7], s[4:5]
	s_cbranch_execnz .LBB13_207
	s_branch .LBB13_208
.LBB13_2257:
	s_movk_i32 s4, 0x80
	v_cmp_eq_u16_e32 vcc, s4, v3
	s_mov_b64 s[4:5], -1
                                        ; implicit-def: $sgpr10
	s_and_saveexec_b64 s[8:9], vcc
; %bb.2258:
	s_mov_b32 s10, 0x7f800001
	s_xor_b64 s[4:5], exec, -1
; %bb.2259:
	s_or_b64 exec, exec, s[8:9]
	s_and_b64 s[4:5], s[4:5], exec
                                        ; implicit-def: $vgpr3
	s_or_saveexec_b64 s[6:7], s[6:7]
	v_mov_b32_e32 v2, s10
	s_xor_b64 exec, exec, s[6:7]
	s_cbranch_execz .LBB13_210
.LBB13_2260:
	v_cmp_ne_u16_e32 vcc, 0, v3
	s_andn2_b64 s[4:5], s[4:5], exec
	s_and_b64 s[8:9], vcc, exec
	v_mov_b32_e32 v2, 0
	s_or_b64 s[4:5], s[4:5], s[8:9]
	s_or_b64 exec, exec, s[6:7]
	s_and_saveexec_b64 s[6:7], s[4:5]
	s_cbranch_execnz .LBB13_211
	s_branch .LBB13_212
.LBB13_2261:
	s_movk_i32 s4, 0x80
	v_cmp_eq_u16_e32 vcc, s4, v3
	s_mov_b64 s[4:5], -1
                                        ; implicit-def: $sgpr10
	s_and_saveexec_b64 s[8:9], vcc
; %bb.2262:
	s_mov_b32 s10, 0x7f800001
	s_xor_b64 s[4:5], exec, -1
; %bb.2263:
	s_or_b64 exec, exec, s[8:9]
	s_and_b64 s[4:5], s[4:5], exec
                                        ; implicit-def: $vgpr3
	s_or_saveexec_b64 s[6:7], s[6:7]
	v_mov_b32_e32 v6, s10
	s_xor_b64 exec, exec, s[6:7]
	s_cbranch_execz .LBB13_214
.LBB13_2264:
	v_cmp_ne_u16_e32 vcc, 0, v3
	s_andn2_b64 s[4:5], s[4:5], exec
	s_and_b64 s[8:9], vcc, exec
	v_mov_b32_e32 v6, 0
	s_or_b64 s[4:5], s[4:5], s[8:9]
	s_or_b64 exec, exec, s[6:7]
	s_and_saveexec_b64 s[6:7], s[4:5]
	s_cbranch_execnz .LBB13_215
	s_branch .LBB13_216
.LBB13_2265:
	s_movk_i32 s4, 0x80
	v_cmp_eq_u16_sdwa s[12:13], v8, s4 src0_sel:BYTE_3 src1_sel:DWORD
	s_mov_b64 s[4:5], -1
                                        ; implicit-def: $sgpr10
	s_and_saveexec_b64 s[8:9], s[12:13]
; %bb.2266:
	s_mov_b32 s10, 0x7f800001
	s_xor_b64 s[4:5], exec, -1
; %bb.2267:
	s_or_b64 exec, exec, s[8:9]
	s_and_b64 s[4:5], s[4:5], exec
	s_or_saveexec_b64 s[6:7], s[6:7]
	v_mov_b32_e32 v2, s10
	s_xor_b64 exec, exec, s[6:7]
	s_cbranch_execz .LBB13_218
.LBB13_2268:
	v_mov_b32_e32 v2, 0
	v_cmp_ne_u16_sdwa s[8:9], v8, v2 src0_sel:BYTE_3 src1_sel:DWORD
	s_andn2_b64 s[4:5], s[4:5], exec
	s_and_b64 s[8:9], s[8:9], exec
	s_or_b64 s[4:5], s[4:5], s[8:9]
	s_or_b64 exec, exec, s[6:7]
	s_and_saveexec_b64 s[6:7], s[4:5]
	s_cbranch_execnz .LBB13_219
	s_branch .LBB13_220
.LBB13_2269:
	s_movk_i32 s4, 0x80
	v_cmp_eq_u16_sdwa s[12:13], v4, s4 src0_sel:BYTE_3 src1_sel:DWORD
	s_mov_b64 s[4:5], -1
                                        ; implicit-def: $sgpr10
	s_and_saveexec_b64 s[8:9], s[12:13]
; %bb.2270:
	s_mov_b32 s10, 0x7f800001
	s_xor_b64 s[4:5], exec, -1
; %bb.2271:
	s_or_b64 exec, exec, s[8:9]
	s_and_b64 s[4:5], s[4:5], exec
	s_or_saveexec_b64 s[6:7], s[6:7]
	v_mov_b32_e32 v3, s10
	s_xor_b64 exec, exec, s[6:7]
	s_cbranch_execz .LBB13_222
.LBB13_2272:
	v_mov_b32_e32 v3, 0
	v_cmp_ne_u16_sdwa s[8:9], v4, v3 src0_sel:BYTE_3 src1_sel:DWORD
	s_andn2_b64 s[4:5], s[4:5], exec
	s_and_b64 s[8:9], s[8:9], exec
	s_or_b64 s[4:5], s[4:5], s[8:9]
	s_or_b64 exec, exec, s[6:7]
	s_and_saveexec_b64 s[6:7], s[4:5]
	s_cbranch_execnz .LBB13_223
	s_branch .LBB13_224
.LBB13_2273:
	s_movk_i32 s4, 0x80
	v_cmp_eq_u16_sdwa s[12:13], v9, s4 src0_sel:BYTE_0 src1_sel:DWORD
	s_mov_b64 s[4:5], -1
                                        ; implicit-def: $sgpr10
	s_and_saveexec_b64 s[8:9], s[12:13]
; %bb.2274:
	s_mov_b32 s10, 0x7f800001
	s_xor_b64 s[4:5], exec, -1
; %bb.2275:
	s_or_b64 exec, exec, s[8:9]
	s_and_b64 s[4:5], s[4:5], exec
	s_or_saveexec_b64 s[6:7], s[6:7]
	v_mov_b32_e32 v2, s10
	s_xor_b64 exec, exec, s[6:7]
	s_cbranch_execz .LBB13_226
.LBB13_2276:
	v_mov_b32_e32 v2, 0
	v_cmp_ne_u16_sdwa s[8:9], v9, v2 src0_sel:BYTE_0 src1_sel:DWORD
	s_andn2_b64 s[4:5], s[4:5], exec
	s_and_b64 s[8:9], s[8:9], exec
	s_or_b64 s[4:5], s[4:5], s[8:9]
	s_or_b64 exec, exec, s[6:7]
	s_and_saveexec_b64 s[6:7], s[4:5]
	s_cbranch_execnz .LBB13_227
	s_branch .LBB13_228
.LBB13_2277:
	s_movk_i32 s4, 0x80
	v_cmp_eq_u16_sdwa s[12:13], v5, s4 src0_sel:BYTE_0 src1_sel:DWORD
	s_mov_b64 s[4:5], -1
                                        ; implicit-def: $sgpr10
	s_and_saveexec_b64 s[8:9], s[12:13]
; %bb.2278:
	s_mov_b32 s10, 0x7f800001
	s_xor_b64 s[4:5], exec, -1
; %bb.2279:
	s_or_b64 exec, exec, s[8:9]
	s_and_b64 s[4:5], s[4:5], exec
	s_or_saveexec_b64 s[6:7], s[6:7]
	v_mov_b32_e32 v3, s10
	s_xor_b64 exec, exec, s[6:7]
	s_cbranch_execz .LBB13_230
.LBB13_2280:
	v_mov_b32_e32 v3, 0
	v_cmp_ne_u16_sdwa s[8:9], v5, v3 src0_sel:BYTE_0 src1_sel:DWORD
	s_andn2_b64 s[4:5], s[4:5], exec
	s_and_b64 s[8:9], s[8:9], exec
	s_or_b64 s[4:5], s[4:5], s[8:9]
	s_or_b64 exec, exec, s[6:7]
	s_and_saveexec_b64 s[6:7], s[4:5]
	s_cbranch_execnz .LBB13_231
	s_branch .LBB13_232
.LBB13_2281:
	s_movk_i32 s4, 0x80
	v_cmp_eq_u16_sdwa s[12:13], v3, s4 src0_sel:BYTE_0 src1_sel:DWORD
	s_mov_b64 s[4:5], -1
                                        ; implicit-def: $sgpr10
	s_and_saveexec_b64 s[8:9], s[12:13]
; %bb.2282:
	s_mov_b32 s10, 0x7f800001
	s_xor_b64 s[4:5], exec, -1
; %bb.2283:
	s_or_b64 exec, exec, s[8:9]
	s_and_b64 s[4:5], s[4:5], exec
	s_or_saveexec_b64 s[6:7], s[6:7]
	v_mov_b32_e32 v2, s10
	s_xor_b64 exec, exec, s[6:7]
	s_cbranch_execz .LBB13_234
.LBB13_2284:
	v_mov_b32_e32 v2, 0
	v_cmp_ne_u16_sdwa s[8:9], v3, v2 src0_sel:BYTE_0 src1_sel:DWORD
	s_andn2_b64 s[4:5], s[4:5], exec
	s_and_b64 s[8:9], s[8:9], exec
	s_or_b64 s[4:5], s[4:5], s[8:9]
	s_or_b64 exec, exec, s[6:7]
	s_and_saveexec_b64 s[6:7], s[4:5]
	s_cbranch_execnz .LBB13_235
	s_branch .LBB13_236
.LBB13_2285:
	s_movk_i32 s4, 0x80
	v_cmp_eq_u16_sdwa s[12:13], v3, s4 src0_sel:BYTE_0 src1_sel:DWORD
	s_mov_b64 s[4:5], -1
                                        ; implicit-def: $sgpr10
	s_and_saveexec_b64 s[8:9], s[12:13]
; %bb.2286:
	s_mov_b32 s10, 0x7f800001
	s_xor_b64 s[4:5], exec, -1
; %bb.2287:
	s_or_b64 exec, exec, s[8:9]
	s_and_b64 s[4:5], s[4:5], exec
	s_or_saveexec_b64 s[6:7], s[6:7]
	v_mov_b32_e32 v4, s10
	s_xor_b64 exec, exec, s[6:7]
	s_cbranch_execz .LBB13_238
.LBB13_2288:
	v_mov_b32_e32 v4, 0
	v_cmp_ne_u16_sdwa s[8:9], v3, v4 src0_sel:BYTE_0 src1_sel:DWORD
	s_andn2_b64 s[4:5], s[4:5], exec
	s_and_b64 s[8:9], s[8:9], exec
	s_or_b64 s[4:5], s[4:5], s[8:9]
	s_or_b64 exec, exec, s[6:7]
	s_and_saveexec_b64 s[6:7], s[4:5]
	s_cbranch_execnz .LBB13_239
	s_branch .LBB13_240
.LBB13_2289:
	s_movk_i32 s4, 0x80
	v_cmp_eq_u16_e32 vcc, s4, v3
	s_mov_b64 s[4:5], -1
                                        ; implicit-def: $sgpr10
	s_and_saveexec_b64 s[8:9], vcc
; %bb.2290:
	s_mov_b32 s10, 0x7f800001
	s_xor_b64 s[4:5], exec, -1
; %bb.2291:
	s_or_b64 exec, exec, s[8:9]
	s_and_b64 s[4:5], s[4:5], exec
                                        ; implicit-def: $vgpr3
	s_or_saveexec_b64 s[6:7], s[6:7]
	v_mov_b32_e32 v2, s10
	s_xor_b64 exec, exec, s[6:7]
	s_cbranch_execz .LBB13_242
.LBB13_2292:
	v_cmp_ne_u16_e32 vcc, 0, v3
	s_andn2_b64 s[4:5], s[4:5], exec
	s_and_b64 s[8:9], vcc, exec
	v_mov_b32_e32 v2, 0
	s_or_b64 s[4:5], s[4:5], s[8:9]
	s_or_b64 exec, exec, s[6:7]
	s_and_saveexec_b64 s[6:7], s[4:5]
	s_cbranch_execnz .LBB13_243
	s_branch .LBB13_244
.LBB13_2293:
	s_movk_i32 s4, 0x80
	v_cmp_eq_u16_e32 vcc, s4, v3
	s_mov_b64 s[4:5], -1
                                        ; implicit-def: $sgpr10
	s_and_saveexec_b64 s[8:9], vcc
; %bb.2294:
	s_mov_b32 s10, 0x7f800001
	s_xor_b64 s[4:5], exec, -1
; %bb.2295:
	s_or_b64 exec, exec, s[8:9]
	s_and_b64 s[4:5], s[4:5], exec
                                        ; implicit-def: $vgpr3
	s_or_saveexec_b64 s[6:7], s[6:7]
	v_mov_b32_e32 v4, s10
	s_xor_b64 exec, exec, s[6:7]
	s_cbranch_execz .LBB13_246
.LBB13_2296:
	v_cmp_ne_u16_e32 vcc, 0, v3
	s_andn2_b64 s[4:5], s[4:5], exec
	s_and_b64 s[8:9], vcc, exec
	v_mov_b32_e32 v4, 0
	s_or_b64 s[4:5], s[4:5], s[8:9]
	s_or_b64 exec, exec, s[6:7]
	s_and_saveexec_b64 s[6:7], s[4:5]
	s_cbranch_execnz .LBB13_247
	s_branch .LBB13_248
.LBB13_2297:
	s_movk_i32 s4, 0x80
	v_cmp_eq_u16_sdwa s[12:13], v9, s4 src0_sel:BYTE_3 src1_sel:DWORD
	s_mov_b64 s[4:5], -1
                                        ; implicit-def: $sgpr10
	s_and_saveexec_b64 s[8:9], s[12:13]
; %bb.2298:
	s_mov_b32 s10, 0x7f800001
	s_xor_b64 s[4:5], exec, -1
; %bb.2299:
	s_or_b64 exec, exec, s[8:9]
	s_and_b64 s[4:5], s[4:5], exec
	s_or_saveexec_b64 s[6:7], s[6:7]
	v_mov_b32_e32 v2, s10
	s_xor_b64 exec, exec, s[6:7]
	s_cbranch_execz .LBB13_250
.LBB13_2300:
	v_mov_b32_e32 v2, 0
	v_cmp_ne_u16_sdwa s[8:9], v9, v2 src0_sel:BYTE_3 src1_sel:DWORD
	s_andn2_b64 s[4:5], s[4:5], exec
	s_and_b64 s[8:9], s[8:9], exec
	s_or_b64 s[4:5], s[4:5], s[8:9]
	s_or_b64 exec, exec, s[6:7]
	s_and_saveexec_b64 s[6:7], s[4:5]
	s_cbranch_execnz .LBB13_251
	s_branch .LBB13_252
.LBB13_2301:
	s_movk_i32 s4, 0x80
	v_cmp_eq_u16_sdwa s[12:13], v5, s4 src0_sel:BYTE_3 src1_sel:DWORD
	s_mov_b64 s[4:5], -1
                                        ; implicit-def: $sgpr10
	s_and_saveexec_b64 s[8:9], s[12:13]
; %bb.2302:
	s_mov_b32 s10, 0x7f800001
	s_xor_b64 s[4:5], exec, -1
; %bb.2303:
	s_or_b64 exec, exec, s[8:9]
	s_and_b64 s[4:5], s[4:5], exec
	s_or_saveexec_b64 s[6:7], s[6:7]
	v_mov_b32_e32 v3, s10
	s_xor_b64 exec, exec, s[6:7]
	s_cbranch_execz .LBB13_254
.LBB13_2304:
	v_mov_b32_e32 v3, 0
	v_cmp_ne_u16_sdwa s[8:9], v5, v3 src0_sel:BYTE_3 src1_sel:DWORD
	s_andn2_b64 s[4:5], s[4:5], exec
	s_and_b64 s[8:9], s[8:9], exec
	s_or_b64 s[4:5], s[4:5], s[8:9]
	s_or_b64 exec, exec, s[6:7]
	s_and_saveexec_b64 s[6:7], s[4:5]
	s_cbranch_execnz .LBB13_255
	s_branch .LBB13_256
.LBB13_2305:
	s_movk_i32 s4, 0x80
	v_cmp_eq_u16_sdwa s[12:13], v14, s4 src0_sel:BYTE_0 src1_sel:DWORD
	s_mov_b64 s[4:5], -1
                                        ; implicit-def: $sgpr10
	s_and_saveexec_b64 s[8:9], s[12:13]
; %bb.2306:
	s_mov_b32 s10, 0x7f800001
	s_xor_b64 s[4:5], exec, -1
; %bb.2307:
	s_or_b64 exec, exec, s[8:9]
	s_and_b64 s[4:5], s[4:5], exec
	s_or_saveexec_b64 s[6:7], s[6:7]
	v_mov_b32_e32 v20, s10
	s_xor_b64 exec, exec, s[6:7]
	s_cbranch_execz .LBB13_258
.LBB13_2308:
	v_mov_b32_e32 v20, 0
	v_cmp_ne_u16_sdwa s[8:9], v14, v20 src0_sel:BYTE_0 src1_sel:DWORD
	s_andn2_b64 s[4:5], s[4:5], exec
	s_and_b64 s[8:9], s[8:9], exec
	s_or_b64 s[4:5], s[4:5], s[8:9]
	s_or_b64 exec, exec, s[6:7]
	s_and_saveexec_b64 s[6:7], s[4:5]
	s_cbranch_execnz .LBB13_259
	s_branch .LBB13_260
.LBB13_2309:
	s_movk_i32 s4, 0x80
	v_cmp_eq_u16_sdwa s[12:13], v10, s4 src0_sel:BYTE_0 src1_sel:DWORD
	s_mov_b64 s[4:5], -1
                                        ; implicit-def: $sgpr10
	s_and_saveexec_b64 s[8:9], s[12:13]
; %bb.2310:
	s_mov_b32 s10, 0x7f800001
	s_xor_b64 s[4:5], exec, -1
; %bb.2311:
	s_or_b64 exec, exec, s[8:9]
	s_and_b64 s[4:5], s[4:5], exec
	s_or_saveexec_b64 s[6:7], s[6:7]
	v_mov_b32_e32 v21, s10
	s_xor_b64 exec, exec, s[6:7]
	s_cbranch_execz .LBB13_262
.LBB13_2312:
	v_mov_b32_e32 v21, 0
	v_cmp_ne_u16_sdwa s[8:9], v10, v21 src0_sel:BYTE_0 src1_sel:DWORD
	s_andn2_b64 s[4:5], s[4:5], exec
	s_and_b64 s[8:9], s[8:9], exec
	s_or_b64 s[4:5], s[4:5], s[8:9]
	s_or_b64 exec, exec, s[6:7]
	s_and_saveexec_b64 s[6:7], s[4:5]
	s_cbranch_execnz .LBB13_263
	s_branch .LBB13_264
.LBB13_2313:
	s_movk_i32 s4, 0x80
	v_cmp_eq_u16_sdwa s[12:13], v21, s4 src0_sel:BYTE_0 src1_sel:DWORD
	s_mov_b64 s[4:5], -1
                                        ; implicit-def: $sgpr10
	s_and_saveexec_b64 s[8:9], s[12:13]
; %bb.2314:
	s_mov_b32 s10, 0x7f800001
	s_xor_b64 s[4:5], exec, -1
; %bb.2315:
	s_or_b64 exec, exec, s[8:9]
	s_and_b64 s[4:5], s[4:5], exec
	s_or_saveexec_b64 s[6:7], s[6:7]
	v_mov_b32_e32 v20, s10
	s_xor_b64 exec, exec, s[6:7]
	s_cbranch_execz .LBB13_266
.LBB13_2316:
	v_mov_b32_e32 v20, 0
	v_cmp_ne_u16_sdwa s[8:9], v21, v20 src0_sel:BYTE_0 src1_sel:DWORD
	s_andn2_b64 s[4:5], s[4:5], exec
	s_and_b64 s[8:9], s[8:9], exec
	s_or_b64 s[4:5], s[4:5], s[8:9]
	s_or_b64 exec, exec, s[6:7]
	s_and_saveexec_b64 s[6:7], s[4:5]
	s_cbranch_execnz .LBB13_267
	s_branch .LBB13_268
.LBB13_2317:
	s_movk_i32 s4, 0x80
	v_cmp_eq_u16_sdwa s[12:13], v21, s4 src0_sel:BYTE_0 src1_sel:DWORD
	s_mov_b64 s[4:5], -1
                                        ; implicit-def: $sgpr10
	s_and_saveexec_b64 s[8:9], s[12:13]
; %bb.2318:
	s_mov_b32 s10, 0x7f800001
	s_xor_b64 s[4:5], exec, -1
; %bb.2319:
	s_or_b64 exec, exec, s[8:9]
	s_and_b64 s[4:5], s[4:5], exec
	s_or_saveexec_b64 s[6:7], s[6:7]
	v_mov_b32_e32 v22, s10
	s_xor_b64 exec, exec, s[6:7]
	s_cbranch_execz .LBB13_270
.LBB13_2320:
	v_mov_b32_e32 v22, 0
	v_cmp_ne_u16_sdwa s[8:9], v21, v22 src0_sel:BYTE_0 src1_sel:DWORD
	s_andn2_b64 s[4:5], s[4:5], exec
	s_and_b64 s[8:9], s[8:9], exec
	s_or_b64 s[4:5], s[4:5], s[8:9]
	s_or_b64 exec, exec, s[6:7]
	s_and_saveexec_b64 s[6:7], s[4:5]
	s_cbranch_execnz .LBB13_271
	s_branch .LBB13_272
.LBB13_2321:
	s_movk_i32 s4, 0x80
	v_cmp_eq_u16_e32 vcc, s4, v21
	s_mov_b64 s[4:5], -1
                                        ; implicit-def: $sgpr10
	s_and_saveexec_b64 s[8:9], vcc
; %bb.2322:
	s_mov_b32 s10, 0x7f800001
	s_xor_b64 s[4:5], exec, -1
; %bb.2323:
	s_or_b64 exec, exec, s[8:9]
	s_and_b64 s[4:5], s[4:5], exec
                                        ; implicit-def: $vgpr21
	s_or_saveexec_b64 s[6:7], s[6:7]
	v_mov_b32_e32 v20, s10
	s_xor_b64 exec, exec, s[6:7]
	s_cbranch_execz .LBB13_274
.LBB13_2324:
	v_cmp_ne_u16_e32 vcc, 0, v21
	s_andn2_b64 s[4:5], s[4:5], exec
	s_and_b64 s[8:9], vcc, exec
	v_mov_b32_e32 v20, 0
	s_or_b64 s[4:5], s[4:5], s[8:9]
	s_or_b64 exec, exec, s[6:7]
	s_and_saveexec_b64 s[6:7], s[4:5]
	s_cbranch_execnz .LBB13_275
	s_branch .LBB13_276
.LBB13_2325:
	s_movk_i32 s4, 0x80
	v_cmp_eq_u16_e32 vcc, s4, v21
	s_mov_b64 s[4:5], -1
                                        ; implicit-def: $sgpr10
	s_and_saveexec_b64 s[8:9], vcc
; %bb.2326:
	s_mov_b32 s10, 0x7f800001
	s_xor_b64 s[4:5], exec, -1
; %bb.2327:
	s_or_b64 exec, exec, s[8:9]
	s_and_b64 s[4:5], s[4:5], exec
                                        ; implicit-def: $vgpr21
	s_or_saveexec_b64 s[6:7], s[6:7]
	v_mov_b32_e32 v22, s10
	s_xor_b64 exec, exec, s[6:7]
	s_cbranch_execz .LBB13_278
.LBB13_2328:
	v_cmp_ne_u16_e32 vcc, 0, v21
	s_andn2_b64 s[4:5], s[4:5], exec
	s_and_b64 s[8:9], vcc, exec
	v_mov_b32_e32 v22, 0
	s_or_b64 s[4:5], s[4:5], s[8:9]
	s_or_b64 exec, exec, s[6:7]
	s_and_saveexec_b64 s[6:7], s[4:5]
	s_cbranch_execnz .LBB13_279
	s_branch .LBB13_280
.LBB13_2329:
	s_movk_i32 s4, 0x80
	v_cmp_eq_u16_sdwa s[12:13], v14, s4 src0_sel:BYTE_3 src1_sel:DWORD
	s_mov_b64 s[4:5], -1
                                        ; implicit-def: $sgpr10
	s_and_saveexec_b64 s[8:9], s[12:13]
; %bb.2330:
	s_mov_b32 s10, 0x7f800001
	s_xor_b64 s[4:5], exec, -1
; %bb.2331:
	s_or_b64 exec, exec, s[8:9]
	s_and_b64 s[4:5], s[4:5], exec
	s_or_saveexec_b64 s[6:7], s[6:7]
	v_mov_b32_e32 v20, s10
	s_xor_b64 exec, exec, s[6:7]
	s_cbranch_execz .LBB13_282
.LBB13_2332:
	v_mov_b32_e32 v20, 0
	v_cmp_ne_u16_sdwa s[8:9], v14, v20 src0_sel:BYTE_3 src1_sel:DWORD
	s_andn2_b64 s[4:5], s[4:5], exec
	s_and_b64 s[8:9], s[8:9], exec
	s_or_b64 s[4:5], s[4:5], s[8:9]
	s_or_b64 exec, exec, s[6:7]
	s_and_saveexec_b64 s[6:7], s[4:5]
	s_cbranch_execnz .LBB13_283
	s_branch .LBB13_284
.LBB13_2333:
	s_movk_i32 s4, 0x80
	v_cmp_eq_u16_sdwa s[12:13], v10, s4 src0_sel:BYTE_3 src1_sel:DWORD
	s_mov_b64 s[4:5], -1
                                        ; implicit-def: $sgpr10
	s_and_saveexec_b64 s[8:9], s[12:13]
; %bb.2334:
	s_mov_b32 s10, 0x7f800001
	s_xor_b64 s[4:5], exec, -1
; %bb.2335:
	s_or_b64 exec, exec, s[8:9]
	s_and_b64 s[4:5], s[4:5], exec
	s_or_saveexec_b64 s[6:7], s[6:7]
	v_mov_b32_e32 v14, s10
	s_xor_b64 exec, exec, s[6:7]
	s_cbranch_execz .LBB13_286
.LBB13_2336:
	v_mov_b32_e32 v14, 0
	v_cmp_ne_u16_sdwa s[8:9], v10, v14 src0_sel:BYTE_3 src1_sel:DWORD
	s_andn2_b64 s[4:5], s[4:5], exec
	s_and_b64 s[8:9], s[8:9], exec
	s_or_b64 s[4:5], s[4:5], s[8:9]
	s_or_b64 exec, exec, s[6:7]
	s_and_saveexec_b64 s[6:7], s[4:5]
	s_cbranch_execnz .LBB13_287
	s_branch .LBB13_288
.LBB13_2337:
	s_movk_i32 s4, 0x80
	v_cmp_eq_u16_sdwa s[12:13], v15, s4 src0_sel:BYTE_0 src1_sel:DWORD
	s_mov_b64 s[4:5], -1
                                        ; implicit-def: $sgpr10
	s_and_saveexec_b64 s[8:9], s[12:13]
; %bb.2338:
	s_mov_b32 s10, 0x7f800001
	s_xor_b64 s[4:5], exec, -1
; %bb.2339:
	s_or_b64 exec, exec, s[8:9]
	s_and_b64 s[4:5], s[4:5], exec
	s_or_saveexec_b64 s[6:7], s[6:7]
	v_mov_b32_e32 v10, s10
	s_xor_b64 exec, exec, s[6:7]
	s_cbranch_execz .LBB13_290
.LBB13_2340:
	v_mov_b32_e32 v10, 0
	v_cmp_ne_u16_sdwa s[8:9], v15, v10 src0_sel:BYTE_0 src1_sel:DWORD
	s_andn2_b64 s[4:5], s[4:5], exec
	s_and_b64 s[8:9], s[8:9], exec
	s_or_b64 s[4:5], s[4:5], s[8:9]
	s_or_b64 exec, exec, s[6:7]
	s_and_saveexec_b64 s[6:7], s[4:5]
	s_cbranch_execnz .LBB13_291
	s_branch .LBB13_292
.LBB13_2341:
	s_movk_i32 s4, 0x80
	v_cmp_eq_u16_sdwa s[12:13], v11, s4 src0_sel:BYTE_0 src1_sel:DWORD
	s_mov_b64 s[4:5], -1
                                        ; implicit-def: $sgpr10
	s_and_saveexec_b64 s[8:9], s[12:13]
; %bb.2342:
	s_mov_b32 s10, 0x7f800001
	s_xor_b64 s[4:5], exec, -1
; %bb.2343:
	s_or_b64 exec, exec, s[8:9]
	s_and_b64 s[4:5], s[4:5], exec
	s_or_saveexec_b64 s[6:7], s[6:7]
	v_mov_b32_e32 v14, s10
	s_xor_b64 exec, exec, s[6:7]
	s_cbranch_execz .LBB13_294
.LBB13_2344:
	v_mov_b32_e32 v14, 0
	v_cmp_ne_u16_sdwa s[8:9], v11, v14 src0_sel:BYTE_0 src1_sel:DWORD
	s_andn2_b64 s[4:5], s[4:5], exec
	s_and_b64 s[8:9], s[8:9], exec
	s_or_b64 s[4:5], s[4:5], s[8:9]
	s_or_b64 exec, exec, s[6:7]
	s_and_saveexec_b64 s[6:7], s[4:5]
	s_cbranch_execnz .LBB13_295
	s_branch .LBB13_296
.LBB13_2345:
	s_movk_i32 s4, 0x80
	v_cmp_eq_u16_sdwa s[12:13], v14, s4 src0_sel:BYTE_0 src1_sel:DWORD
	s_mov_b64 s[4:5], -1
                                        ; implicit-def: $sgpr10
	s_and_saveexec_b64 s[8:9], s[12:13]
; %bb.2346:
	s_mov_b32 s10, 0x7f800001
	s_xor_b64 s[4:5], exec, -1
; %bb.2347:
	s_or_b64 exec, exec, s[8:9]
	s_and_b64 s[4:5], s[4:5], exec
	s_or_saveexec_b64 s[6:7], s[6:7]
	v_mov_b32_e32 v10, s10
	s_xor_b64 exec, exec, s[6:7]
	s_cbranch_execz .LBB13_298
.LBB13_2348:
	v_mov_b32_e32 v10, 0
	v_cmp_ne_u16_sdwa s[8:9], v14, v10 src0_sel:BYTE_0 src1_sel:DWORD
	s_andn2_b64 s[4:5], s[4:5], exec
	s_and_b64 s[8:9], s[8:9], exec
	s_or_b64 s[4:5], s[4:5], s[8:9]
	s_or_b64 exec, exec, s[6:7]
	s_and_saveexec_b64 s[6:7], s[4:5]
	s_cbranch_execnz .LBB13_299
	s_branch .LBB13_300
.LBB13_2349:
	s_movk_i32 s4, 0x80
	v_cmp_eq_u16_sdwa s[12:13], v14, s4 src0_sel:BYTE_0 src1_sel:DWORD
	s_mov_b64 s[4:5], -1
                                        ; implicit-def: $sgpr10
	s_and_saveexec_b64 s[8:9], s[12:13]
; %bb.2350:
	s_mov_b32 s10, 0x7f800001
	s_xor_b64 s[4:5], exec, -1
; %bb.2351:
	s_or_b64 exec, exec, s[8:9]
	s_and_b64 s[4:5], s[4:5], exec
	s_or_saveexec_b64 s[6:7], s[6:7]
	v_mov_b32_e32 v20, s10
	s_xor_b64 exec, exec, s[6:7]
	s_cbranch_execz .LBB13_302
.LBB13_2352:
	v_mov_b32_e32 v20, 0
	v_cmp_ne_u16_sdwa s[8:9], v14, v20 src0_sel:BYTE_0 src1_sel:DWORD
	s_andn2_b64 s[4:5], s[4:5], exec
	s_and_b64 s[8:9], s[8:9], exec
	s_or_b64 s[4:5], s[4:5], s[8:9]
	s_or_b64 exec, exec, s[6:7]
	s_and_saveexec_b64 s[6:7], s[4:5]
	s_cbranch_execnz .LBB13_303
	s_branch .LBB13_304
.LBB13_2353:
	s_movk_i32 s4, 0x80
	v_cmp_eq_u16_e32 vcc, s4, v14
	s_mov_b64 s[4:5], -1
                                        ; implicit-def: $sgpr10
	s_and_saveexec_b64 s[8:9], vcc
; %bb.2354:
	s_mov_b32 s10, 0x7f800001
	s_xor_b64 s[4:5], exec, -1
; %bb.2355:
	s_or_b64 exec, exec, s[8:9]
	s_and_b64 s[4:5], s[4:5], exec
                                        ; implicit-def: $vgpr14
	s_or_saveexec_b64 s[6:7], s[6:7]
	v_mov_b32_e32 v10, s10
	s_xor_b64 exec, exec, s[6:7]
	s_cbranch_execz .LBB13_306
.LBB13_2356:
	v_cmp_ne_u16_e32 vcc, 0, v14
	s_andn2_b64 s[4:5], s[4:5], exec
	s_and_b64 s[8:9], vcc, exec
	v_mov_b32_e32 v10, 0
	s_or_b64 s[4:5], s[4:5], s[8:9]
	s_or_b64 exec, exec, s[6:7]
	s_and_saveexec_b64 s[6:7], s[4:5]
	s_cbranch_execnz .LBB13_307
	s_branch .LBB13_308
.LBB13_2357:
	s_movk_i32 s4, 0x80
	v_cmp_eq_u16_e32 vcc, s4, v14
	s_mov_b64 s[4:5], -1
                                        ; implicit-def: $sgpr10
	s_and_saveexec_b64 s[8:9], vcc
; %bb.2358:
	s_mov_b32 s10, 0x7f800001
	s_xor_b64 s[4:5], exec, -1
; %bb.2359:
	s_or_b64 exec, exec, s[8:9]
	s_and_b64 s[4:5], s[4:5], exec
                                        ; implicit-def: $vgpr14
	s_or_saveexec_b64 s[6:7], s[6:7]
	v_mov_b32_e32 v20, s10
	s_xor_b64 exec, exec, s[6:7]
	s_cbranch_execz .LBB13_310
.LBB13_2360:
	v_cmp_ne_u16_e32 vcc, 0, v14
	s_andn2_b64 s[4:5], s[4:5], exec
	s_and_b64 s[8:9], vcc, exec
	v_mov_b32_e32 v20, 0
	s_or_b64 s[4:5], s[4:5], s[8:9]
	s_or_b64 exec, exec, s[6:7]
	s_and_saveexec_b64 s[6:7], s[4:5]
	s_cbranch_execnz .LBB13_311
	s_branch .LBB13_312
.LBB13_2361:
	s_movk_i32 s4, 0x80
	v_cmp_eq_u16_sdwa s[12:13], v15, s4 src0_sel:BYTE_3 src1_sel:DWORD
	s_mov_b64 s[4:5], -1
                                        ; implicit-def: $sgpr10
	s_and_saveexec_b64 s[8:9], s[12:13]
; %bb.2362:
	s_mov_b32 s10, 0x7f800001
	s_xor_b64 s[4:5], exec, -1
; %bb.2363:
	s_or_b64 exec, exec, s[8:9]
	s_and_b64 s[4:5], s[4:5], exec
	s_or_saveexec_b64 s[6:7], s[6:7]
	v_mov_b32_e32 v10, s10
	s_xor_b64 exec, exec, s[6:7]
	s_cbranch_execz .LBB13_314
.LBB13_2364:
	v_mov_b32_e32 v10, 0
	v_cmp_ne_u16_sdwa s[8:9], v15, v10 src0_sel:BYTE_3 src1_sel:DWORD
	s_andn2_b64 s[4:5], s[4:5], exec
	s_and_b64 s[8:9], s[8:9], exec
	s_or_b64 s[4:5], s[4:5], s[8:9]
	s_or_b64 exec, exec, s[6:7]
	s_and_saveexec_b64 s[6:7], s[4:5]
	s_cbranch_execnz .LBB13_315
	s_branch .LBB13_316
.LBB13_2365:
	s_movk_i32 s4, 0x80
	v_cmp_eq_u16_sdwa s[12:13], v11, s4 src0_sel:BYTE_3 src1_sel:DWORD
	s_mov_b64 s[4:5], -1
                                        ; implicit-def: $sgpr10
	s_and_saveexec_b64 s[8:9], s[12:13]
; %bb.2366:
	s_mov_b32 s10, 0x7f800001
	s_xor_b64 s[4:5], exec, -1
; %bb.2367:
	s_or_b64 exec, exec, s[8:9]
	s_and_b64 s[4:5], s[4:5], exec
	s_or_saveexec_b64 s[6:7], s[6:7]
	v_mov_b32_e32 v14, s10
	s_xor_b64 exec, exec, s[6:7]
	s_cbranch_execz .LBB13_318
.LBB13_2368:
	v_mov_b32_e32 v14, 0
	v_cmp_ne_u16_sdwa s[8:9], v11, v14 src0_sel:BYTE_3 src1_sel:DWORD
	s_andn2_b64 s[4:5], s[4:5], exec
	s_and_b64 s[8:9], s[8:9], exec
	s_or_b64 s[4:5], s[4:5], s[8:9]
	s_or_b64 exec, exec, s[6:7]
	s_and_saveexec_b64 s[6:7], s[4:5]
	s_cbranch_execnz .LBB13_319
	s_branch .LBB13_320
.LBB13_2369:
	s_movk_i32 s4, 0x80
	v_cmp_eq_u16_sdwa s[12:13], v16, s4 src0_sel:BYTE_0 src1_sel:DWORD
	s_mov_b64 s[4:5], -1
                                        ; implicit-def: $sgpr10
	s_and_saveexec_b64 s[8:9], s[12:13]
; %bb.2370:
	s_mov_b32 s10, 0x7f800001
	s_xor_b64 s[4:5], exec, -1
; %bb.2371:
	s_or_b64 exec, exec, s[8:9]
	s_and_b64 s[4:5], s[4:5], exec
	s_or_saveexec_b64 s[6:7], s[6:7]
	v_mov_b32_e32 v10, s10
	s_xor_b64 exec, exec, s[6:7]
	s_cbranch_execz .LBB13_322
.LBB13_2372:
	v_mov_b32_e32 v10, 0
	v_cmp_ne_u16_sdwa s[8:9], v16, v10 src0_sel:BYTE_0 src1_sel:DWORD
	s_andn2_b64 s[4:5], s[4:5], exec
	s_and_b64 s[8:9], s[8:9], exec
	s_or_b64 s[4:5], s[4:5], s[8:9]
	s_or_b64 exec, exec, s[6:7]
	s_and_saveexec_b64 s[6:7], s[4:5]
	s_cbranch_execnz .LBB13_323
	s_branch .LBB13_324
.LBB13_2373:
	s_movk_i32 s4, 0x80
	v_cmp_eq_u16_sdwa s[12:13], v12, s4 src0_sel:BYTE_0 src1_sel:DWORD
	s_mov_b64 s[4:5], -1
                                        ; implicit-def: $sgpr10
	s_and_saveexec_b64 s[8:9], s[12:13]
; %bb.2374:
	s_mov_b32 s10, 0x7f800001
	s_xor_b64 s[4:5], exec, -1
; %bb.2375:
	s_or_b64 exec, exec, s[8:9]
	s_and_b64 s[4:5], s[4:5], exec
	s_or_saveexec_b64 s[6:7], s[6:7]
	v_mov_b32_e32 v11, s10
	s_xor_b64 exec, exec, s[6:7]
	s_cbranch_execz .LBB13_326
.LBB13_2376:
	v_mov_b32_e32 v11, 0
	v_cmp_ne_u16_sdwa s[8:9], v12, v11 src0_sel:BYTE_0 src1_sel:DWORD
	s_andn2_b64 s[4:5], s[4:5], exec
	s_and_b64 s[8:9], s[8:9], exec
	s_or_b64 s[4:5], s[4:5], s[8:9]
	s_or_b64 exec, exec, s[6:7]
	s_and_saveexec_b64 s[6:7], s[4:5]
	s_cbranch_execnz .LBB13_327
	s_branch .LBB13_328
.LBB13_2377:
	s_movk_i32 s4, 0x80
	v_cmp_eq_u16_sdwa s[12:13], v11, s4 src0_sel:BYTE_0 src1_sel:DWORD
	s_mov_b64 s[4:5], -1
                                        ; implicit-def: $sgpr10
	s_and_saveexec_b64 s[8:9], s[12:13]
; %bb.2378:
	s_mov_b32 s10, 0x7f800001
	s_xor_b64 s[4:5], exec, -1
; %bb.2379:
	s_or_b64 exec, exec, s[8:9]
	s_and_b64 s[4:5], s[4:5], exec
	s_or_saveexec_b64 s[6:7], s[6:7]
	v_mov_b32_e32 v10, s10
	s_xor_b64 exec, exec, s[6:7]
	s_cbranch_execz .LBB13_330
.LBB13_2380:
	v_mov_b32_e32 v10, 0
	v_cmp_ne_u16_sdwa s[8:9], v11, v10 src0_sel:BYTE_0 src1_sel:DWORD
	s_andn2_b64 s[4:5], s[4:5], exec
	s_and_b64 s[8:9], s[8:9], exec
	s_or_b64 s[4:5], s[4:5], s[8:9]
	s_or_b64 exec, exec, s[6:7]
	s_and_saveexec_b64 s[6:7], s[4:5]
	s_cbranch_execnz .LBB13_331
	s_branch .LBB13_332
.LBB13_2381:
	s_movk_i32 s4, 0x80
	v_cmp_eq_u16_sdwa s[12:13], v11, s4 src0_sel:BYTE_0 src1_sel:DWORD
	s_mov_b64 s[4:5], -1
                                        ; implicit-def: $sgpr10
	s_and_saveexec_b64 s[8:9], s[12:13]
; %bb.2382:
	s_mov_b32 s10, 0x7f800001
	s_xor_b64 s[4:5], exec, -1
; %bb.2383:
	s_or_b64 exec, exec, s[8:9]
	s_and_b64 s[4:5], s[4:5], exec
	s_or_saveexec_b64 s[6:7], s[6:7]
	v_mov_b32_e32 v14, s10
	s_xor_b64 exec, exec, s[6:7]
	s_cbranch_execz .LBB13_334
.LBB13_2384:
	v_mov_b32_e32 v14, 0
	v_cmp_ne_u16_sdwa s[8:9], v11, v14 src0_sel:BYTE_0 src1_sel:DWORD
	s_andn2_b64 s[4:5], s[4:5], exec
	s_and_b64 s[8:9], s[8:9], exec
	s_or_b64 s[4:5], s[4:5], s[8:9]
	s_or_b64 exec, exec, s[6:7]
	s_and_saveexec_b64 s[6:7], s[4:5]
	s_cbranch_execnz .LBB13_335
	s_branch .LBB13_336
.LBB13_2385:
	s_movk_i32 s4, 0x80
	v_cmp_eq_u16_e32 vcc, s4, v11
	s_mov_b64 s[4:5], -1
                                        ; implicit-def: $sgpr10
	s_and_saveexec_b64 s[8:9], vcc
; %bb.2386:
	s_mov_b32 s10, 0x7f800001
	s_xor_b64 s[4:5], exec, -1
; %bb.2387:
	s_or_b64 exec, exec, s[8:9]
	s_and_b64 s[4:5], s[4:5], exec
                                        ; implicit-def: $vgpr11
	s_or_saveexec_b64 s[6:7], s[6:7]
	v_mov_b32_e32 v10, s10
	s_xor_b64 exec, exec, s[6:7]
	s_cbranch_execz .LBB13_338
.LBB13_2388:
	v_cmp_ne_u16_e32 vcc, 0, v11
	s_andn2_b64 s[4:5], s[4:5], exec
	s_and_b64 s[8:9], vcc, exec
	v_mov_b32_e32 v10, 0
	s_or_b64 s[4:5], s[4:5], s[8:9]
	s_or_b64 exec, exec, s[6:7]
	s_and_saveexec_b64 s[6:7], s[4:5]
	s_cbranch_execnz .LBB13_339
	s_branch .LBB13_340
.LBB13_2389:
	s_movk_i32 s4, 0x80
	v_cmp_eq_u16_e32 vcc, s4, v11
	s_mov_b64 s[4:5], -1
                                        ; implicit-def: $sgpr10
	s_and_saveexec_b64 s[8:9], vcc
; %bb.2390:
	s_mov_b32 s10, 0x7f800001
	s_xor_b64 s[4:5], exec, -1
; %bb.2391:
	s_or_b64 exec, exec, s[8:9]
	s_and_b64 s[4:5], s[4:5], exec
                                        ; implicit-def: $vgpr11
	s_or_saveexec_b64 s[6:7], s[6:7]
	v_mov_b32_e32 v14, s10
	s_xor_b64 exec, exec, s[6:7]
	s_cbranch_execz .LBB13_342
.LBB13_2392:
	v_cmp_ne_u16_e32 vcc, 0, v11
	s_andn2_b64 s[4:5], s[4:5], exec
	s_and_b64 s[8:9], vcc, exec
	v_mov_b32_e32 v14, 0
	s_or_b64 s[4:5], s[4:5], s[8:9]
	s_or_b64 exec, exec, s[6:7]
	s_and_saveexec_b64 s[6:7], s[4:5]
	s_cbranch_execnz .LBB13_343
	s_branch .LBB13_344
.LBB13_2393:
	s_movk_i32 s4, 0x80
	v_cmp_eq_u16_sdwa s[12:13], v16, s4 src0_sel:BYTE_3 src1_sel:DWORD
	s_mov_b64 s[4:5], -1
                                        ; implicit-def: $sgpr10
	s_and_saveexec_b64 s[8:9], s[12:13]
; %bb.2394:
	s_mov_b32 s10, 0x7f800001
	s_xor_b64 s[4:5], exec, -1
; %bb.2395:
	s_or_b64 exec, exec, s[8:9]
	s_and_b64 s[4:5], s[4:5], exec
	s_or_saveexec_b64 s[6:7], s[6:7]
	v_mov_b32_e32 v10, s10
	s_xor_b64 exec, exec, s[6:7]
	s_cbranch_execz .LBB13_346
.LBB13_2396:
	v_mov_b32_e32 v10, 0
	v_cmp_ne_u16_sdwa s[8:9], v16, v10 src0_sel:BYTE_3 src1_sel:DWORD
	s_andn2_b64 s[4:5], s[4:5], exec
	s_and_b64 s[8:9], s[8:9], exec
	s_or_b64 s[4:5], s[4:5], s[8:9]
	s_or_b64 exec, exec, s[6:7]
	s_and_saveexec_b64 s[6:7], s[4:5]
	s_cbranch_execnz .LBB13_347
	s_branch .LBB13_348
.LBB13_2397:
	s_movk_i32 s4, 0x80
	v_cmp_eq_u16_sdwa s[12:13], v12, s4 src0_sel:BYTE_3 src1_sel:DWORD
	s_mov_b64 s[4:5], -1
                                        ; implicit-def: $sgpr10
	s_and_saveexec_b64 s[8:9], s[12:13]
; %bb.2398:
	s_mov_b32 s10, 0x7f800001
	s_xor_b64 s[4:5], exec, -1
; %bb.2399:
	s_or_b64 exec, exec, s[8:9]
	s_and_b64 s[4:5], s[4:5], exec
	s_or_saveexec_b64 s[6:7], s[6:7]
	v_mov_b32_e32 v11, s10
	s_xor_b64 exec, exec, s[6:7]
	s_cbranch_execz .LBB13_350
.LBB13_2400:
	v_mov_b32_e32 v11, 0
	v_cmp_ne_u16_sdwa s[8:9], v12, v11 src0_sel:BYTE_3 src1_sel:DWORD
	s_andn2_b64 s[4:5], s[4:5], exec
	s_and_b64 s[8:9], s[8:9], exec
	s_or_b64 s[4:5], s[4:5], s[8:9]
	s_or_b64 exec, exec, s[6:7]
	s_and_saveexec_b64 s[6:7], s[4:5]
	s_cbranch_execnz .LBB13_351
	s_branch .LBB13_352
.LBB13_2401:
	s_movk_i32 s4, 0x80
	v_cmp_eq_u16_sdwa s[12:13], v17, s4 src0_sel:BYTE_0 src1_sel:DWORD
	s_mov_b64 s[4:5], -1
                                        ; implicit-def: $sgpr10
	s_and_saveexec_b64 s[8:9], s[12:13]
; %bb.2402:
	s_mov_b32 s10, 0x7f800001
	s_xor_b64 s[4:5], exec, -1
; %bb.2403:
	s_or_b64 exec, exec, s[8:9]
	s_and_b64 s[4:5], s[4:5], exec
	s_or_saveexec_b64 s[6:7], s[6:7]
	v_mov_b32_e32 v10, s10
	s_xor_b64 exec, exec, s[6:7]
	s_cbranch_execz .LBB13_354
.LBB13_2404:
	v_mov_b32_e32 v10, 0
	v_cmp_ne_u16_sdwa s[8:9], v17, v10 src0_sel:BYTE_0 src1_sel:DWORD
	s_andn2_b64 s[4:5], s[4:5], exec
	s_and_b64 s[8:9], s[8:9], exec
	s_or_b64 s[4:5], s[4:5], s[8:9]
	s_or_b64 exec, exec, s[6:7]
	s_and_saveexec_b64 s[6:7], s[4:5]
	s_cbranch_execnz .LBB13_355
	s_branch .LBB13_356
.LBB13_2405:
	s_movk_i32 s4, 0x80
	v_cmp_eq_u16_sdwa s[12:13], v13, s4 src0_sel:BYTE_0 src1_sel:DWORD
	s_mov_b64 s[4:5], -1
                                        ; implicit-def: $sgpr10
	s_and_saveexec_b64 s[8:9], s[12:13]
; %bb.2406:
	s_mov_b32 s10, 0x7f800001
	s_xor_b64 s[4:5], exec, -1
; %bb.2407:
	s_or_b64 exec, exec, s[8:9]
	s_and_b64 s[4:5], s[4:5], exec
	s_or_saveexec_b64 s[6:7], s[6:7]
	v_mov_b32_e32 v11, s10
	s_xor_b64 exec, exec, s[6:7]
	s_cbranch_execz .LBB13_358
.LBB13_2408:
	v_mov_b32_e32 v11, 0
	v_cmp_ne_u16_sdwa s[8:9], v13, v11 src0_sel:BYTE_0 src1_sel:DWORD
	s_andn2_b64 s[4:5], s[4:5], exec
	s_and_b64 s[8:9], s[8:9], exec
	s_or_b64 s[4:5], s[4:5], s[8:9]
	s_or_b64 exec, exec, s[6:7]
	s_and_saveexec_b64 s[6:7], s[4:5]
	s_cbranch_execnz .LBB13_359
	s_branch .LBB13_360
.LBB13_2409:
	s_movk_i32 s4, 0x80
	v_cmp_eq_u16_sdwa s[12:13], v11, s4 src0_sel:BYTE_0 src1_sel:DWORD
	s_mov_b64 s[4:5], -1
                                        ; implicit-def: $sgpr10
	s_and_saveexec_b64 s[8:9], s[12:13]
; %bb.2410:
	s_mov_b32 s10, 0x7f800001
	s_xor_b64 s[4:5], exec, -1
; %bb.2411:
	s_or_b64 exec, exec, s[8:9]
	s_and_b64 s[4:5], s[4:5], exec
	s_or_saveexec_b64 s[6:7], s[6:7]
	v_mov_b32_e32 v10, s10
	s_xor_b64 exec, exec, s[6:7]
	s_cbranch_execz .LBB13_362
.LBB13_2412:
	v_mov_b32_e32 v10, 0
	v_cmp_ne_u16_sdwa s[8:9], v11, v10 src0_sel:BYTE_0 src1_sel:DWORD
	s_andn2_b64 s[4:5], s[4:5], exec
	s_and_b64 s[8:9], s[8:9], exec
	s_or_b64 s[4:5], s[4:5], s[8:9]
	s_or_b64 exec, exec, s[6:7]
	s_and_saveexec_b64 s[6:7], s[4:5]
	s_cbranch_execnz .LBB13_363
	s_branch .LBB13_364
.LBB13_2413:
	s_movk_i32 s4, 0x80
	v_cmp_eq_u16_sdwa s[12:13], v11, s4 src0_sel:BYTE_0 src1_sel:DWORD
	s_mov_b64 s[4:5], -1
                                        ; implicit-def: $sgpr10
	s_and_saveexec_b64 s[8:9], s[12:13]
; %bb.2414:
	s_mov_b32 s10, 0x7f800001
	s_xor_b64 s[4:5], exec, -1
; %bb.2415:
	s_or_b64 exec, exec, s[8:9]
	s_and_b64 s[4:5], s[4:5], exec
	s_or_saveexec_b64 s[6:7], s[6:7]
	v_mov_b32_e32 v12, s10
	s_xor_b64 exec, exec, s[6:7]
	s_cbranch_execz .LBB13_366
.LBB13_2416:
	v_mov_b32_e32 v12, 0
	v_cmp_ne_u16_sdwa s[8:9], v11, v12 src0_sel:BYTE_0 src1_sel:DWORD
	s_andn2_b64 s[4:5], s[4:5], exec
	s_and_b64 s[8:9], s[8:9], exec
	s_or_b64 s[4:5], s[4:5], s[8:9]
	s_or_b64 exec, exec, s[6:7]
	s_and_saveexec_b64 s[6:7], s[4:5]
	s_cbranch_execnz .LBB13_367
	s_branch .LBB13_368
.LBB13_2417:
	s_movk_i32 s4, 0x80
	v_cmp_eq_u16_e32 vcc, s4, v11
	s_mov_b64 s[4:5], -1
                                        ; implicit-def: $sgpr10
	s_and_saveexec_b64 s[8:9], vcc
; %bb.2418:
	s_mov_b32 s10, 0x7f800001
	s_xor_b64 s[4:5], exec, -1
; %bb.2419:
	s_or_b64 exec, exec, s[8:9]
	s_and_b64 s[4:5], s[4:5], exec
                                        ; implicit-def: $vgpr11
	s_or_saveexec_b64 s[6:7], s[6:7]
	v_mov_b32_e32 v10, s10
	s_xor_b64 exec, exec, s[6:7]
	s_cbranch_execz .LBB13_370
.LBB13_2420:
	v_cmp_ne_u16_e32 vcc, 0, v11
	s_andn2_b64 s[4:5], s[4:5], exec
	s_and_b64 s[8:9], vcc, exec
	v_mov_b32_e32 v10, 0
	s_or_b64 s[4:5], s[4:5], s[8:9]
	s_or_b64 exec, exec, s[6:7]
	s_and_saveexec_b64 s[6:7], s[4:5]
	s_cbranch_execnz .LBB13_371
	s_branch .LBB13_372
.LBB13_2421:
	s_movk_i32 s4, 0x80
	v_cmp_eq_u16_e32 vcc, s4, v11
	s_mov_b64 s[4:5], -1
                                        ; implicit-def: $sgpr10
	s_and_saveexec_b64 s[8:9], vcc
; %bb.2422:
	s_mov_b32 s10, 0x7f800001
	s_xor_b64 s[4:5], exec, -1
; %bb.2423:
	s_or_b64 exec, exec, s[8:9]
	s_and_b64 s[4:5], s[4:5], exec
                                        ; implicit-def: $vgpr11
	s_or_saveexec_b64 s[6:7], s[6:7]
	v_mov_b32_e32 v12, s10
	s_xor_b64 exec, exec, s[6:7]
	s_cbranch_execz .LBB13_374
.LBB13_2424:
	v_cmp_ne_u16_e32 vcc, 0, v11
	s_andn2_b64 s[4:5], s[4:5], exec
	s_and_b64 s[8:9], vcc, exec
	v_mov_b32_e32 v12, 0
	s_or_b64 s[4:5], s[4:5], s[8:9]
	s_or_b64 exec, exec, s[6:7]
	s_and_saveexec_b64 s[6:7], s[4:5]
	s_cbranch_execnz .LBB13_375
	s_branch .LBB13_376
.LBB13_2425:
	s_movk_i32 s4, 0x80
	v_cmp_eq_u16_sdwa s[12:13], v17, s4 src0_sel:BYTE_3 src1_sel:DWORD
	s_mov_b64 s[4:5], -1
                                        ; implicit-def: $sgpr10
	s_and_saveexec_b64 s[8:9], s[12:13]
; %bb.2426:
	s_mov_b32 s10, 0x7f800001
	s_xor_b64 s[4:5], exec, -1
; %bb.2427:
	s_or_b64 exec, exec, s[8:9]
	s_and_b64 s[4:5], s[4:5], exec
	s_or_saveexec_b64 s[6:7], s[6:7]
	v_mov_b32_e32 v10, s10
	s_xor_b64 exec, exec, s[6:7]
	s_cbranch_execz .LBB13_378
.LBB13_2428:
	v_mov_b32_e32 v10, 0
	v_cmp_ne_u16_sdwa s[8:9], v17, v10 src0_sel:BYTE_3 src1_sel:DWORD
	s_andn2_b64 s[4:5], s[4:5], exec
	s_and_b64 s[8:9], s[8:9], exec
	s_or_b64 s[4:5], s[4:5], s[8:9]
	s_or_b64 exec, exec, s[6:7]
	s_and_saveexec_b64 s[6:7], s[4:5]
	s_cbranch_execnz .LBB13_379
	s_branch .LBB13_380
.LBB13_2429:
	s_movk_i32 s4, 0x80
	v_cmp_eq_u16_sdwa s[12:13], v13, s4 src0_sel:BYTE_3 src1_sel:DWORD
	s_mov_b64 s[4:5], -1
                                        ; implicit-def: $sgpr10
	s_and_saveexec_b64 s[8:9], s[12:13]
; %bb.2430:
	s_mov_b32 s10, 0x7f800001
	s_xor_b64 s[4:5], exec, -1
; %bb.2431:
	s_or_b64 exec, exec, s[8:9]
	s_and_b64 s[4:5], s[4:5], exec
	s_or_saveexec_b64 s[6:7], s[6:7]
	v_mov_b32_e32 v11, s10
	s_xor_b64 exec, exec, s[6:7]
	s_cbranch_execz .LBB13_382
.LBB13_2432:
	v_mov_b32_e32 v11, 0
	v_cmp_ne_u16_sdwa s[8:9], v13, v11 src0_sel:BYTE_3 src1_sel:DWORD
	s_andn2_b64 s[4:5], s[4:5], exec
	s_and_b64 s[8:9], s[8:9], exec
	s_or_b64 s[4:5], s[4:5], s[8:9]
	s_or_b64 exec, exec, s[6:7]
	s_and_saveexec_b64 s[6:7], s[4:5]
	s_cbranch_execnz .LBB13_383
	s_branch .LBB13_384
.LBB13_2433:
	s_movk_i32 s4, 0x80
	v_cmp_eq_u16_sdwa s[12:13], v6, s4 src0_sel:BYTE_0 src1_sel:DWORD
	s_mov_b64 s[4:5], -1
                                        ; implicit-def: $sgpr10
	s_and_saveexec_b64 s[8:9], s[12:13]
; %bb.2434:
	s_mov_b32 s10, 0x7f800001
	s_xor_b64 s[4:5], exec, -1
; %bb.2435:
	s_or_b64 exec, exec, s[8:9]
	s_and_b64 s[4:5], s[4:5], exec
	s_or_saveexec_b64 s[6:7], s[6:7]
	v_mov_b32_e32 v10, s10
	s_xor_b64 exec, exec, s[6:7]
	s_cbranch_execz .LBB13_386
.LBB13_2436:
	v_mov_b32_e32 v10, 0
	v_cmp_ne_u16_sdwa s[8:9], v6, v10 src0_sel:BYTE_0 src1_sel:DWORD
	s_andn2_b64 s[4:5], s[4:5], exec
	s_and_b64 s[8:9], s[8:9], exec
	s_or_b64 s[4:5], s[4:5], s[8:9]
	s_or_b64 exec, exec, s[6:7]
	s_and_saveexec_b64 s[6:7], s[4:5]
	s_cbranch_execnz .LBB13_387
	s_branch .LBB13_388
.LBB13_2437:
	s_movk_i32 s4, 0x80
	v_cmp_eq_u16_sdwa s[12:13], v2, s4 src0_sel:BYTE_0 src1_sel:DWORD
	s_mov_b64 s[4:5], -1
                                        ; implicit-def: $sgpr10
	s_and_saveexec_b64 s[8:9], s[12:13]
; %bb.2438:
	s_mov_b32 s10, 0x7f800001
	s_xor_b64 s[4:5], exec, -1
; %bb.2439:
	s_or_b64 exec, exec, s[8:9]
	s_and_b64 s[4:5], s[4:5], exec
	s_or_saveexec_b64 s[6:7], s[6:7]
	v_mov_b32_e32 v11, s10
	s_xor_b64 exec, exec, s[6:7]
	s_cbranch_execz .LBB13_390
.LBB13_2440:
	v_mov_b32_e32 v11, 0
	v_cmp_ne_u16_sdwa s[8:9], v2, v11 src0_sel:BYTE_0 src1_sel:DWORD
	s_andn2_b64 s[4:5], s[4:5], exec
	s_and_b64 s[8:9], s[8:9], exec
	s_or_b64 s[4:5], s[4:5], s[8:9]
	s_or_b64 exec, exec, s[6:7]
	s_and_saveexec_b64 s[6:7], s[4:5]
	s_cbranch_execnz .LBB13_391
	s_branch .LBB13_392
.LBB13_2441:
	s_movk_i32 s4, 0x80
	v_cmp_eq_u16_sdwa s[12:13], v11, s4 src0_sel:BYTE_0 src1_sel:DWORD
	s_mov_b64 s[4:5], -1
                                        ; implicit-def: $sgpr10
	s_and_saveexec_b64 s[8:9], s[12:13]
; %bb.2442:
	s_mov_b32 s10, 0x7f800001
	s_xor_b64 s[4:5], exec, -1
; %bb.2443:
	s_or_b64 exec, exec, s[8:9]
	s_and_b64 s[4:5], s[4:5], exec
	s_or_saveexec_b64 s[6:7], s[6:7]
	v_mov_b32_e32 v10, s10
	s_xor_b64 exec, exec, s[6:7]
	s_cbranch_execz .LBB13_394
.LBB13_2444:
	v_mov_b32_e32 v10, 0
	v_cmp_ne_u16_sdwa s[8:9], v11, v10 src0_sel:BYTE_0 src1_sel:DWORD
	s_andn2_b64 s[4:5], s[4:5], exec
	s_and_b64 s[8:9], s[8:9], exec
	s_or_b64 s[4:5], s[4:5], s[8:9]
	s_or_b64 exec, exec, s[6:7]
	s_and_saveexec_b64 s[6:7], s[4:5]
	s_cbranch_execnz .LBB13_395
	s_branch .LBB13_396
.LBB13_2445:
	s_movk_i32 s4, 0x80
	v_cmp_eq_u16_sdwa s[12:13], v11, s4 src0_sel:BYTE_0 src1_sel:DWORD
	s_mov_b64 s[4:5], -1
                                        ; implicit-def: $sgpr10
	s_and_saveexec_b64 s[8:9], s[12:13]
; %bb.2446:
	s_mov_b32 s10, 0x7f800001
	s_xor_b64 s[4:5], exec, -1
; %bb.2447:
	s_or_b64 exec, exec, s[8:9]
	s_and_b64 s[4:5], s[4:5], exec
	s_or_saveexec_b64 s[6:7], s[6:7]
	v_mov_b32_e32 v12, s10
	s_xor_b64 exec, exec, s[6:7]
	s_cbranch_execz .LBB13_398
.LBB13_2448:
	v_mov_b32_e32 v12, 0
	v_cmp_ne_u16_sdwa s[8:9], v11, v12 src0_sel:BYTE_0 src1_sel:DWORD
	s_andn2_b64 s[4:5], s[4:5], exec
	s_and_b64 s[8:9], s[8:9], exec
	s_or_b64 s[4:5], s[4:5], s[8:9]
	s_or_b64 exec, exec, s[6:7]
	s_and_saveexec_b64 s[6:7], s[4:5]
	s_cbranch_execnz .LBB13_399
	s_branch .LBB13_400
.LBB13_2449:
	s_movk_i32 s4, 0x80
	v_cmp_eq_u16_e32 vcc, s4, v11
	s_mov_b64 s[4:5], -1
                                        ; implicit-def: $sgpr10
	s_and_saveexec_b64 s[8:9], vcc
; %bb.2450:
	s_mov_b32 s10, 0x7f800001
	s_xor_b64 s[4:5], exec, -1
; %bb.2451:
	s_or_b64 exec, exec, s[8:9]
	s_and_b64 s[4:5], s[4:5], exec
                                        ; implicit-def: $vgpr11
	s_or_saveexec_b64 s[6:7], s[6:7]
	v_mov_b32_e32 v10, s10
	s_xor_b64 exec, exec, s[6:7]
	s_cbranch_execz .LBB13_402
.LBB13_2452:
	v_cmp_ne_u16_e32 vcc, 0, v11
	s_andn2_b64 s[4:5], s[4:5], exec
	s_and_b64 s[8:9], vcc, exec
	v_mov_b32_e32 v10, 0
	s_or_b64 s[4:5], s[4:5], s[8:9]
	s_or_b64 exec, exec, s[6:7]
	s_and_saveexec_b64 s[6:7], s[4:5]
	s_cbranch_execnz .LBB13_403
	s_branch .LBB13_404
.LBB13_2453:
	s_movk_i32 s4, 0x80
	v_cmp_eq_u16_e32 vcc, s4, v11
	s_mov_b64 s[4:5], -1
                                        ; implicit-def: $sgpr10
	s_and_saveexec_b64 s[8:9], vcc
; %bb.2454:
	s_mov_b32 s10, 0x7f800001
	s_xor_b64 s[4:5], exec, -1
; %bb.2455:
	s_or_b64 exec, exec, s[8:9]
	s_and_b64 s[4:5], s[4:5], exec
                                        ; implicit-def: $vgpr11
	s_or_saveexec_b64 s[6:7], s[6:7]
	v_mov_b32_e32 v12, s10
	s_xor_b64 exec, exec, s[6:7]
	s_cbranch_execz .LBB13_406
.LBB13_2456:
	v_cmp_ne_u16_e32 vcc, 0, v11
	s_andn2_b64 s[4:5], s[4:5], exec
	s_and_b64 s[8:9], vcc, exec
	v_mov_b32_e32 v12, 0
	s_or_b64 s[4:5], s[4:5], s[8:9]
	s_or_b64 exec, exec, s[6:7]
	s_and_saveexec_b64 s[6:7], s[4:5]
	s_cbranch_execnz .LBB13_407
	s_branch .LBB13_408
.LBB13_2457:
	s_movk_i32 s4, 0x80
	v_cmp_eq_u16_sdwa s[12:13], v6, s4 src0_sel:BYTE_3 src1_sel:DWORD
	s_mov_b64 s[4:5], -1
                                        ; implicit-def: $sgpr10
	s_and_saveexec_b64 s[8:9], s[12:13]
; %bb.2458:
	s_mov_b32 s10, 0x7f800001
	s_xor_b64 s[4:5], exec, -1
; %bb.2459:
	s_or_b64 exec, exec, s[8:9]
	s_and_b64 s[4:5], s[4:5], exec
	s_or_saveexec_b64 s[6:7], s[6:7]
	v_mov_b32_e32 v10, s10
	s_xor_b64 exec, exec, s[6:7]
	s_cbranch_execz .LBB13_410
.LBB13_2460:
	v_mov_b32_e32 v10, 0
	v_cmp_ne_u16_sdwa s[8:9], v6, v10 src0_sel:BYTE_3 src1_sel:DWORD
	s_andn2_b64 s[4:5], s[4:5], exec
	s_and_b64 s[8:9], s[8:9], exec
	s_or_b64 s[4:5], s[4:5], s[8:9]
	s_or_b64 exec, exec, s[6:7]
	s_and_saveexec_b64 s[6:7], s[4:5]
	s_cbranch_execnz .LBB13_411
	s_branch .LBB13_412
.LBB13_2461:
	s_movk_i32 s4, 0x80
	v_cmp_eq_u16_sdwa s[12:13], v2, s4 src0_sel:BYTE_3 src1_sel:DWORD
	s_mov_b64 s[4:5], -1
                                        ; implicit-def: $sgpr10
	s_and_saveexec_b64 s[8:9], s[12:13]
; %bb.2462:
	s_mov_b32 s10, 0x7f800001
	s_xor_b64 s[4:5], exec, -1
; %bb.2463:
	s_or_b64 exec, exec, s[8:9]
	s_and_b64 s[4:5], s[4:5], exec
	s_or_saveexec_b64 s[6:7], s[6:7]
	v_mov_b32_e32 v6, s10
	s_xor_b64 exec, exec, s[6:7]
	s_cbranch_execz .LBB13_414
.LBB13_2464:
	v_mov_b32_e32 v6, 0
	v_cmp_ne_u16_sdwa s[8:9], v2, v6 src0_sel:BYTE_3 src1_sel:DWORD
	s_andn2_b64 s[4:5], s[4:5], exec
	s_and_b64 s[8:9], s[8:9], exec
	s_or_b64 s[4:5], s[4:5], s[8:9]
	s_or_b64 exec, exec, s[6:7]
	s_and_saveexec_b64 s[6:7], s[4:5]
	s_cbranch_execnz .LBB13_415
	s_branch .LBB13_416
.LBB13_2465:
	s_movk_i32 s4, 0x80
	v_cmp_eq_u16_sdwa s[12:13], v7, s4 src0_sel:BYTE_0 src1_sel:DWORD
	s_mov_b64 s[4:5], -1
                                        ; implicit-def: $sgpr10
	s_and_saveexec_b64 s[8:9], s[12:13]
; %bb.2466:
	s_mov_b32 s10, 0x7f800001
	s_xor_b64 s[4:5], exec, -1
; %bb.2467:
	s_or_b64 exec, exec, s[8:9]
	s_and_b64 s[4:5], s[4:5], exec
	s_or_saveexec_b64 s[6:7], s[6:7]
	v_mov_b32_e32 v2, s10
	s_xor_b64 exec, exec, s[6:7]
	s_cbranch_execz .LBB13_418
.LBB13_2468:
	v_mov_b32_e32 v2, 0
	v_cmp_ne_u16_sdwa s[8:9], v7, v2 src0_sel:BYTE_0 src1_sel:DWORD
	s_andn2_b64 s[4:5], s[4:5], exec
	s_and_b64 s[8:9], s[8:9], exec
	s_or_b64 s[4:5], s[4:5], s[8:9]
	s_or_b64 exec, exec, s[6:7]
	s_and_saveexec_b64 s[6:7], s[4:5]
	s_cbranch_execnz .LBB13_419
	s_branch .LBB13_420
.LBB13_2469:
	s_movk_i32 s4, 0x80
	v_cmp_eq_u16_sdwa s[12:13], v3, s4 src0_sel:BYTE_0 src1_sel:DWORD
	s_mov_b64 s[4:5], -1
                                        ; implicit-def: $sgpr10
	s_and_saveexec_b64 s[8:9], s[12:13]
; %bb.2470:
	s_mov_b32 s10, 0x7f800001
	s_xor_b64 s[4:5], exec, -1
; %bb.2471:
	s_or_b64 exec, exec, s[8:9]
	s_and_b64 s[4:5], s[4:5], exec
	s_or_saveexec_b64 s[6:7], s[6:7]
	v_mov_b32_e32 v6, s10
	s_xor_b64 exec, exec, s[6:7]
	s_cbranch_execz .LBB13_422
.LBB13_2472:
	v_mov_b32_e32 v6, 0
	v_cmp_ne_u16_sdwa s[8:9], v3, v6 src0_sel:BYTE_0 src1_sel:DWORD
	s_andn2_b64 s[4:5], s[4:5], exec
	s_and_b64 s[8:9], s[8:9], exec
	s_or_b64 s[4:5], s[4:5], s[8:9]
	s_or_b64 exec, exec, s[6:7]
	s_and_saveexec_b64 s[6:7], s[4:5]
	s_cbranch_execnz .LBB13_423
	s_branch .LBB13_424
.LBB13_2473:
	s_movk_i32 s4, 0x80
	v_cmp_eq_u16_sdwa s[12:13], v6, s4 src0_sel:BYTE_0 src1_sel:DWORD
	s_mov_b64 s[4:5], -1
                                        ; implicit-def: $sgpr10
	s_and_saveexec_b64 s[8:9], s[12:13]
; %bb.2474:
	s_mov_b32 s10, 0x7f800001
	s_xor_b64 s[4:5], exec, -1
; %bb.2475:
	s_or_b64 exec, exec, s[8:9]
	s_and_b64 s[4:5], s[4:5], exec
	s_or_saveexec_b64 s[6:7], s[6:7]
	v_mov_b32_e32 v2, s10
	s_xor_b64 exec, exec, s[6:7]
	s_cbranch_execz .LBB13_426
.LBB13_2476:
	v_mov_b32_e32 v2, 0
	v_cmp_ne_u16_sdwa s[8:9], v6, v2 src0_sel:BYTE_0 src1_sel:DWORD
	s_andn2_b64 s[4:5], s[4:5], exec
	s_and_b64 s[8:9], s[8:9], exec
	s_or_b64 s[4:5], s[4:5], s[8:9]
	s_or_b64 exec, exec, s[6:7]
	s_and_saveexec_b64 s[6:7], s[4:5]
	s_cbranch_execnz .LBB13_427
	s_branch .LBB13_428
.LBB13_2477:
	s_movk_i32 s4, 0x80
	v_cmp_eq_u16_sdwa s[12:13], v6, s4 src0_sel:BYTE_0 src1_sel:DWORD
	s_mov_b64 s[4:5], -1
                                        ; implicit-def: $sgpr10
	s_and_saveexec_b64 s[8:9], s[12:13]
; %bb.2478:
	s_mov_b32 s10, 0x7f800001
	s_xor_b64 s[4:5], exec, -1
; %bb.2479:
	s_or_b64 exec, exec, s[8:9]
	s_and_b64 s[4:5], s[4:5], exec
	s_or_saveexec_b64 s[6:7], s[6:7]
	v_mov_b32_e32 v10, s10
	s_xor_b64 exec, exec, s[6:7]
	s_cbranch_execz .LBB13_430
.LBB13_2480:
	v_mov_b32_e32 v10, 0
	v_cmp_ne_u16_sdwa s[8:9], v6, v10 src0_sel:BYTE_0 src1_sel:DWORD
	s_andn2_b64 s[4:5], s[4:5], exec
	s_and_b64 s[8:9], s[8:9], exec
	s_or_b64 s[4:5], s[4:5], s[8:9]
	s_or_b64 exec, exec, s[6:7]
	s_and_saveexec_b64 s[6:7], s[4:5]
	s_cbranch_execnz .LBB13_431
	s_branch .LBB13_432
.LBB13_2481:
	s_movk_i32 s4, 0x80
	v_cmp_eq_u16_e32 vcc, s4, v6
	s_mov_b64 s[4:5], -1
                                        ; implicit-def: $sgpr10
	s_and_saveexec_b64 s[8:9], vcc
; %bb.2482:
	s_mov_b32 s10, 0x7f800001
	s_xor_b64 s[4:5], exec, -1
; %bb.2483:
	s_or_b64 exec, exec, s[8:9]
	s_and_b64 s[4:5], s[4:5], exec
                                        ; implicit-def: $vgpr6
	s_or_saveexec_b64 s[6:7], s[6:7]
	v_mov_b32_e32 v2, s10
	s_xor_b64 exec, exec, s[6:7]
	s_cbranch_execz .LBB13_434
.LBB13_2484:
	v_cmp_ne_u16_e32 vcc, 0, v6
	s_andn2_b64 s[4:5], s[4:5], exec
	s_and_b64 s[8:9], vcc, exec
	v_mov_b32_e32 v2, 0
	s_or_b64 s[4:5], s[4:5], s[8:9]
	s_or_b64 exec, exec, s[6:7]
	s_and_saveexec_b64 s[6:7], s[4:5]
	s_cbranch_execnz .LBB13_435
	s_branch .LBB13_436
.LBB13_2485:
	s_movk_i32 s4, 0x80
	v_cmp_eq_u16_e32 vcc, s4, v6
	s_mov_b64 s[4:5], -1
                                        ; implicit-def: $sgpr10
	s_and_saveexec_b64 s[8:9], vcc
; %bb.2486:
	s_mov_b32 s10, 0x7f800001
	s_xor_b64 s[4:5], exec, -1
; %bb.2487:
	s_or_b64 exec, exec, s[8:9]
	s_and_b64 s[4:5], s[4:5], exec
                                        ; implicit-def: $vgpr6
	s_or_saveexec_b64 s[6:7], s[6:7]
	v_mov_b32_e32 v10, s10
	s_xor_b64 exec, exec, s[6:7]
	s_cbranch_execz .LBB13_438
.LBB13_2488:
	v_cmp_ne_u16_e32 vcc, 0, v6
	s_andn2_b64 s[4:5], s[4:5], exec
	s_and_b64 s[8:9], vcc, exec
	v_mov_b32_e32 v10, 0
	s_or_b64 s[4:5], s[4:5], s[8:9]
	s_or_b64 exec, exec, s[6:7]
	s_and_saveexec_b64 s[6:7], s[4:5]
	s_cbranch_execnz .LBB13_439
	s_branch .LBB13_440
.LBB13_2489:
	s_movk_i32 s4, 0x80
	v_cmp_eq_u16_sdwa s[12:13], v7, s4 src0_sel:BYTE_3 src1_sel:DWORD
	s_mov_b64 s[4:5], -1
                                        ; implicit-def: $sgpr10
	s_and_saveexec_b64 s[8:9], s[12:13]
; %bb.2490:
	s_mov_b32 s10, 0x7f800001
	s_xor_b64 s[4:5], exec, -1
; %bb.2491:
	s_or_b64 exec, exec, s[8:9]
	s_and_b64 s[4:5], s[4:5], exec
	s_or_saveexec_b64 s[6:7], s[6:7]
	v_mov_b32_e32 v2, s10
	s_xor_b64 exec, exec, s[6:7]
	s_cbranch_execz .LBB13_442
.LBB13_2492:
	v_mov_b32_e32 v2, 0
	v_cmp_ne_u16_sdwa s[8:9], v7, v2 src0_sel:BYTE_3 src1_sel:DWORD
	s_andn2_b64 s[4:5], s[4:5], exec
	s_and_b64 s[8:9], s[8:9], exec
	s_or_b64 s[4:5], s[4:5], s[8:9]
	s_or_b64 exec, exec, s[6:7]
	s_and_saveexec_b64 s[6:7], s[4:5]
	s_cbranch_execnz .LBB13_443
	s_branch .LBB13_444
.LBB13_2493:
	s_movk_i32 s4, 0x80
	v_cmp_eq_u16_sdwa s[12:13], v3, s4 src0_sel:BYTE_3 src1_sel:DWORD
	s_mov_b64 s[4:5], -1
                                        ; implicit-def: $sgpr10
	s_and_saveexec_b64 s[8:9], s[12:13]
; %bb.2494:
	s_mov_b32 s10, 0x7f800001
	s_xor_b64 s[4:5], exec, -1
; %bb.2495:
	s_or_b64 exec, exec, s[8:9]
	s_and_b64 s[4:5], s[4:5], exec
	s_or_saveexec_b64 s[6:7], s[6:7]
	v_mov_b32_e32 v6, s10
	s_xor_b64 exec, exec, s[6:7]
	s_cbranch_execz .LBB13_446
.LBB13_2496:
	v_mov_b32_e32 v6, 0
	v_cmp_ne_u16_sdwa s[8:9], v3, v6 src0_sel:BYTE_3 src1_sel:DWORD
	s_andn2_b64 s[4:5], s[4:5], exec
	s_and_b64 s[8:9], s[8:9], exec
	s_or_b64 s[4:5], s[4:5], s[8:9]
	s_or_b64 exec, exec, s[6:7]
	s_and_saveexec_b64 s[6:7], s[4:5]
	s_cbranch_execnz .LBB13_447
	s_branch .LBB13_448
.LBB13_2497:
	s_movk_i32 s4, 0x80
	v_cmp_eq_u16_sdwa s[12:13], v8, s4 src0_sel:BYTE_0 src1_sel:DWORD
	s_mov_b64 s[4:5], -1
                                        ; implicit-def: $sgpr10
	s_and_saveexec_b64 s[8:9], s[12:13]
; %bb.2498:
	s_mov_b32 s10, 0x7f800001
	s_xor_b64 s[4:5], exec, -1
; %bb.2499:
	s_or_b64 exec, exec, s[8:9]
	s_and_b64 s[4:5], s[4:5], exec
	s_or_saveexec_b64 s[6:7], s[6:7]
	v_mov_b32_e32 v2, s10
	s_xor_b64 exec, exec, s[6:7]
	s_cbranch_execz .LBB13_450
.LBB13_2500:
	v_mov_b32_e32 v2, 0
	v_cmp_ne_u16_sdwa s[8:9], v8, v2 src0_sel:BYTE_0 src1_sel:DWORD
	s_andn2_b64 s[4:5], s[4:5], exec
	s_and_b64 s[8:9], s[8:9], exec
	s_or_b64 s[4:5], s[4:5], s[8:9]
	s_or_b64 exec, exec, s[6:7]
	s_and_saveexec_b64 s[6:7], s[4:5]
	s_cbranch_execnz .LBB13_451
	s_branch .LBB13_452
.LBB13_2501:
	s_movk_i32 s4, 0x80
	v_cmp_eq_u16_sdwa s[12:13], v4, s4 src0_sel:BYTE_0 src1_sel:DWORD
	s_mov_b64 s[4:5], -1
                                        ; implicit-def: $sgpr10
	s_and_saveexec_b64 s[8:9], s[12:13]
; %bb.2502:
	s_mov_b32 s10, 0x7f800001
	s_xor_b64 s[4:5], exec, -1
; %bb.2503:
	s_or_b64 exec, exec, s[8:9]
	s_and_b64 s[4:5], s[4:5], exec
	s_or_saveexec_b64 s[6:7], s[6:7]
	v_mov_b32_e32 v3, s10
	s_xor_b64 exec, exec, s[6:7]
	s_cbranch_execz .LBB13_454
.LBB13_2504:
	v_mov_b32_e32 v3, 0
	v_cmp_ne_u16_sdwa s[8:9], v4, v3 src0_sel:BYTE_0 src1_sel:DWORD
	s_andn2_b64 s[4:5], s[4:5], exec
	s_and_b64 s[8:9], s[8:9], exec
	s_or_b64 s[4:5], s[4:5], s[8:9]
	s_or_b64 exec, exec, s[6:7]
	s_and_saveexec_b64 s[6:7], s[4:5]
	s_cbranch_execnz .LBB13_455
	s_branch .LBB13_456
.LBB13_2505:
	s_movk_i32 s4, 0x80
	v_cmp_eq_u16_sdwa s[12:13], v3, s4 src0_sel:BYTE_0 src1_sel:DWORD
	s_mov_b64 s[4:5], -1
                                        ; implicit-def: $sgpr10
	s_and_saveexec_b64 s[8:9], s[12:13]
; %bb.2506:
	s_mov_b32 s10, 0x7f800001
	s_xor_b64 s[4:5], exec, -1
; %bb.2507:
	s_or_b64 exec, exec, s[8:9]
	s_and_b64 s[4:5], s[4:5], exec
	s_or_saveexec_b64 s[6:7], s[6:7]
	v_mov_b32_e32 v2, s10
	s_xor_b64 exec, exec, s[6:7]
	s_cbranch_execz .LBB13_458
.LBB13_2508:
	v_mov_b32_e32 v2, 0
	v_cmp_ne_u16_sdwa s[8:9], v3, v2 src0_sel:BYTE_0 src1_sel:DWORD
	s_andn2_b64 s[4:5], s[4:5], exec
	s_and_b64 s[8:9], s[8:9], exec
	s_or_b64 s[4:5], s[4:5], s[8:9]
	s_or_b64 exec, exec, s[6:7]
	s_and_saveexec_b64 s[6:7], s[4:5]
	s_cbranch_execnz .LBB13_459
	s_branch .LBB13_460
.LBB13_2509:
	s_movk_i32 s4, 0x80
	v_cmp_eq_u16_sdwa s[12:13], v3, s4 src0_sel:BYTE_0 src1_sel:DWORD
	s_mov_b64 s[4:5], -1
                                        ; implicit-def: $sgpr10
	s_and_saveexec_b64 s[8:9], s[12:13]
; %bb.2510:
	s_mov_b32 s10, 0x7f800001
	s_xor_b64 s[4:5], exec, -1
; %bb.2511:
	s_or_b64 exec, exec, s[8:9]
	s_and_b64 s[4:5], s[4:5], exec
	s_or_saveexec_b64 s[6:7], s[6:7]
	v_mov_b32_e32 v6, s10
	s_xor_b64 exec, exec, s[6:7]
	s_cbranch_execz .LBB13_462
.LBB13_2512:
	v_mov_b32_e32 v6, 0
	v_cmp_ne_u16_sdwa s[8:9], v3, v6 src0_sel:BYTE_0 src1_sel:DWORD
	s_andn2_b64 s[4:5], s[4:5], exec
	s_and_b64 s[8:9], s[8:9], exec
	s_or_b64 s[4:5], s[4:5], s[8:9]
	s_or_b64 exec, exec, s[6:7]
	s_and_saveexec_b64 s[6:7], s[4:5]
	s_cbranch_execnz .LBB13_463
	s_branch .LBB13_464
.LBB13_2513:
	s_movk_i32 s4, 0x80
	v_cmp_eq_u16_e32 vcc, s4, v3
	s_mov_b64 s[4:5], -1
                                        ; implicit-def: $sgpr10
	s_and_saveexec_b64 s[8:9], vcc
; %bb.2514:
	s_mov_b32 s10, 0x7f800001
	s_xor_b64 s[4:5], exec, -1
; %bb.2515:
	s_or_b64 exec, exec, s[8:9]
	s_and_b64 s[4:5], s[4:5], exec
                                        ; implicit-def: $vgpr3
	s_or_saveexec_b64 s[6:7], s[6:7]
	v_mov_b32_e32 v2, s10
	s_xor_b64 exec, exec, s[6:7]
	s_cbranch_execz .LBB13_466
.LBB13_2516:
	v_cmp_ne_u16_e32 vcc, 0, v3
	s_andn2_b64 s[4:5], s[4:5], exec
	s_and_b64 s[8:9], vcc, exec
	v_mov_b32_e32 v2, 0
	s_or_b64 s[4:5], s[4:5], s[8:9]
	s_or_b64 exec, exec, s[6:7]
	s_and_saveexec_b64 s[6:7], s[4:5]
	s_cbranch_execnz .LBB13_467
	s_branch .LBB13_468
.LBB13_2517:
	s_movk_i32 s4, 0x80
	v_cmp_eq_u16_e32 vcc, s4, v3
	s_mov_b64 s[4:5], -1
                                        ; implicit-def: $sgpr10
	s_and_saveexec_b64 s[8:9], vcc
; %bb.2518:
	s_mov_b32 s10, 0x7f800001
	s_xor_b64 s[4:5], exec, -1
; %bb.2519:
	s_or_b64 exec, exec, s[8:9]
	s_and_b64 s[4:5], s[4:5], exec
                                        ; implicit-def: $vgpr3
	s_or_saveexec_b64 s[6:7], s[6:7]
	v_mov_b32_e32 v6, s10
	s_xor_b64 exec, exec, s[6:7]
	s_cbranch_execz .LBB13_470
.LBB13_2520:
	v_cmp_ne_u16_e32 vcc, 0, v3
	s_andn2_b64 s[4:5], s[4:5], exec
	s_and_b64 s[8:9], vcc, exec
	v_mov_b32_e32 v6, 0
	s_or_b64 s[4:5], s[4:5], s[8:9]
	s_or_b64 exec, exec, s[6:7]
	s_and_saveexec_b64 s[6:7], s[4:5]
	s_cbranch_execnz .LBB13_471
	s_branch .LBB13_472
.LBB13_2521:
	s_movk_i32 s4, 0x80
	v_cmp_eq_u16_sdwa s[12:13], v8, s4 src0_sel:BYTE_3 src1_sel:DWORD
	s_mov_b64 s[4:5], -1
                                        ; implicit-def: $sgpr10
	s_and_saveexec_b64 s[8:9], s[12:13]
; %bb.2522:
	s_mov_b32 s10, 0x7f800001
	s_xor_b64 s[4:5], exec, -1
; %bb.2523:
	s_or_b64 exec, exec, s[8:9]
	s_and_b64 s[4:5], s[4:5], exec
	s_or_saveexec_b64 s[6:7], s[6:7]
	v_mov_b32_e32 v2, s10
	s_xor_b64 exec, exec, s[6:7]
	s_cbranch_execz .LBB13_474
.LBB13_2524:
	v_mov_b32_e32 v2, 0
	v_cmp_ne_u16_sdwa s[8:9], v8, v2 src0_sel:BYTE_3 src1_sel:DWORD
	s_andn2_b64 s[4:5], s[4:5], exec
	s_and_b64 s[8:9], s[8:9], exec
	s_or_b64 s[4:5], s[4:5], s[8:9]
	s_or_b64 exec, exec, s[6:7]
	s_and_saveexec_b64 s[6:7], s[4:5]
	s_cbranch_execnz .LBB13_475
	s_branch .LBB13_476
.LBB13_2525:
	s_movk_i32 s4, 0x80
	v_cmp_eq_u16_sdwa s[12:13], v4, s4 src0_sel:BYTE_3 src1_sel:DWORD
	s_mov_b64 s[4:5], -1
                                        ; implicit-def: $sgpr10
	s_and_saveexec_b64 s[8:9], s[12:13]
; %bb.2526:
	s_mov_b32 s10, 0x7f800001
	s_xor_b64 s[4:5], exec, -1
; %bb.2527:
	s_or_b64 exec, exec, s[8:9]
	s_and_b64 s[4:5], s[4:5], exec
	s_or_saveexec_b64 s[6:7], s[6:7]
	v_mov_b32_e32 v3, s10
	s_xor_b64 exec, exec, s[6:7]
	s_cbranch_execz .LBB13_478
.LBB13_2528:
	v_mov_b32_e32 v3, 0
	v_cmp_ne_u16_sdwa s[8:9], v4, v3 src0_sel:BYTE_3 src1_sel:DWORD
	s_andn2_b64 s[4:5], s[4:5], exec
	s_and_b64 s[8:9], s[8:9], exec
	s_or_b64 s[4:5], s[4:5], s[8:9]
	s_or_b64 exec, exec, s[6:7]
	s_and_saveexec_b64 s[6:7], s[4:5]
	s_cbranch_execnz .LBB13_479
	s_branch .LBB13_480
.LBB13_2529:
	s_movk_i32 s4, 0x80
	v_cmp_eq_u16_sdwa s[12:13], v9, s4 src0_sel:BYTE_0 src1_sel:DWORD
	s_mov_b64 s[4:5], -1
                                        ; implicit-def: $sgpr10
	s_and_saveexec_b64 s[8:9], s[12:13]
; %bb.2530:
	s_mov_b32 s10, 0x7f800001
	s_xor_b64 s[4:5], exec, -1
; %bb.2531:
	s_or_b64 exec, exec, s[8:9]
	s_and_b64 s[4:5], s[4:5], exec
	s_or_saveexec_b64 s[6:7], s[6:7]
	v_mov_b32_e32 v2, s10
	s_xor_b64 exec, exec, s[6:7]
	s_cbranch_execz .LBB13_482
.LBB13_2532:
	v_mov_b32_e32 v2, 0
	v_cmp_ne_u16_sdwa s[8:9], v9, v2 src0_sel:BYTE_0 src1_sel:DWORD
	s_andn2_b64 s[4:5], s[4:5], exec
	s_and_b64 s[8:9], s[8:9], exec
	s_or_b64 s[4:5], s[4:5], s[8:9]
	s_or_b64 exec, exec, s[6:7]
	s_and_saveexec_b64 s[6:7], s[4:5]
	s_cbranch_execnz .LBB13_483
	s_branch .LBB13_484
.LBB13_2533:
	s_movk_i32 s4, 0x80
	v_cmp_eq_u16_sdwa s[12:13], v5, s4 src0_sel:BYTE_0 src1_sel:DWORD
	s_mov_b64 s[4:5], -1
                                        ; implicit-def: $sgpr10
	s_and_saveexec_b64 s[8:9], s[12:13]
; %bb.2534:
	s_mov_b32 s10, 0x7f800001
	s_xor_b64 s[4:5], exec, -1
; %bb.2535:
	s_or_b64 exec, exec, s[8:9]
	s_and_b64 s[4:5], s[4:5], exec
	s_or_saveexec_b64 s[6:7], s[6:7]
	v_mov_b32_e32 v3, s10
	s_xor_b64 exec, exec, s[6:7]
	s_cbranch_execz .LBB13_486
.LBB13_2536:
	v_mov_b32_e32 v3, 0
	v_cmp_ne_u16_sdwa s[8:9], v5, v3 src0_sel:BYTE_0 src1_sel:DWORD
	s_andn2_b64 s[4:5], s[4:5], exec
	s_and_b64 s[8:9], s[8:9], exec
	s_or_b64 s[4:5], s[4:5], s[8:9]
	s_or_b64 exec, exec, s[6:7]
	s_and_saveexec_b64 s[6:7], s[4:5]
	s_cbranch_execnz .LBB13_487
	s_branch .LBB13_488
.LBB13_2537:
	s_movk_i32 s4, 0x80
	v_cmp_eq_u16_sdwa s[12:13], v3, s4 src0_sel:BYTE_0 src1_sel:DWORD
	s_mov_b64 s[4:5], -1
                                        ; implicit-def: $sgpr10
	s_and_saveexec_b64 s[8:9], s[12:13]
; %bb.2538:
	s_mov_b32 s10, 0x7f800001
	s_xor_b64 s[4:5], exec, -1
; %bb.2539:
	s_or_b64 exec, exec, s[8:9]
	s_and_b64 s[4:5], s[4:5], exec
	s_or_saveexec_b64 s[6:7], s[6:7]
	v_mov_b32_e32 v2, s10
	s_xor_b64 exec, exec, s[6:7]
	s_cbranch_execz .LBB13_490
.LBB13_2540:
	v_mov_b32_e32 v2, 0
	v_cmp_ne_u16_sdwa s[8:9], v3, v2 src0_sel:BYTE_0 src1_sel:DWORD
	s_andn2_b64 s[4:5], s[4:5], exec
	s_and_b64 s[8:9], s[8:9], exec
	s_or_b64 s[4:5], s[4:5], s[8:9]
	s_or_b64 exec, exec, s[6:7]
	s_and_saveexec_b64 s[6:7], s[4:5]
	s_cbranch_execnz .LBB13_491
	s_branch .LBB13_492
.LBB13_2541:
	s_movk_i32 s4, 0x80
	v_cmp_eq_u16_sdwa s[12:13], v3, s4 src0_sel:BYTE_0 src1_sel:DWORD
	s_mov_b64 s[4:5], -1
                                        ; implicit-def: $sgpr10
	s_and_saveexec_b64 s[8:9], s[12:13]
; %bb.2542:
	s_mov_b32 s10, 0x7f800001
	s_xor_b64 s[4:5], exec, -1
; %bb.2543:
	s_or_b64 exec, exec, s[8:9]
	s_and_b64 s[4:5], s[4:5], exec
	s_or_saveexec_b64 s[6:7], s[6:7]
	v_mov_b32_e32 v4, s10
	s_xor_b64 exec, exec, s[6:7]
	s_cbranch_execz .LBB13_494
.LBB13_2544:
	v_mov_b32_e32 v4, 0
	v_cmp_ne_u16_sdwa s[8:9], v3, v4 src0_sel:BYTE_0 src1_sel:DWORD
	s_andn2_b64 s[4:5], s[4:5], exec
	s_and_b64 s[8:9], s[8:9], exec
	s_or_b64 s[4:5], s[4:5], s[8:9]
	s_or_b64 exec, exec, s[6:7]
	s_and_saveexec_b64 s[6:7], s[4:5]
	s_cbranch_execnz .LBB13_495
	s_branch .LBB13_496
.LBB13_2545:
	s_movk_i32 s4, 0x80
	v_cmp_eq_u16_e32 vcc, s4, v3
	s_mov_b64 s[4:5], -1
                                        ; implicit-def: $sgpr10
	s_and_saveexec_b64 s[8:9], vcc
; %bb.2546:
	s_mov_b32 s10, 0x7f800001
	s_xor_b64 s[4:5], exec, -1
; %bb.2547:
	s_or_b64 exec, exec, s[8:9]
	s_and_b64 s[4:5], s[4:5], exec
                                        ; implicit-def: $vgpr3
	s_or_saveexec_b64 s[6:7], s[6:7]
	v_mov_b32_e32 v2, s10
	s_xor_b64 exec, exec, s[6:7]
	s_cbranch_execz .LBB13_498
.LBB13_2548:
	v_cmp_ne_u16_e32 vcc, 0, v3
	s_andn2_b64 s[4:5], s[4:5], exec
	s_and_b64 s[8:9], vcc, exec
	v_mov_b32_e32 v2, 0
	s_or_b64 s[4:5], s[4:5], s[8:9]
	s_or_b64 exec, exec, s[6:7]
	s_and_saveexec_b64 s[6:7], s[4:5]
	s_cbranch_execnz .LBB13_499
	s_branch .LBB13_500
.LBB13_2549:
	s_movk_i32 s4, 0x80
	v_cmp_eq_u16_e32 vcc, s4, v3
	s_mov_b64 s[4:5], -1
                                        ; implicit-def: $sgpr10
	s_and_saveexec_b64 s[8:9], vcc
; %bb.2550:
	s_mov_b32 s10, 0x7f800001
	s_xor_b64 s[4:5], exec, -1
; %bb.2551:
	s_or_b64 exec, exec, s[8:9]
	s_and_b64 s[4:5], s[4:5], exec
                                        ; implicit-def: $vgpr3
	s_or_saveexec_b64 s[6:7], s[6:7]
	v_mov_b32_e32 v4, s10
	s_xor_b64 exec, exec, s[6:7]
	s_cbranch_execz .LBB13_502
.LBB13_2552:
	v_cmp_ne_u16_e32 vcc, 0, v3
	s_andn2_b64 s[4:5], s[4:5], exec
	s_and_b64 s[8:9], vcc, exec
	v_mov_b32_e32 v4, 0
	s_or_b64 s[4:5], s[4:5], s[8:9]
	s_or_b64 exec, exec, s[6:7]
	s_and_saveexec_b64 s[6:7], s[4:5]
	s_cbranch_execnz .LBB13_503
	s_branch .LBB13_504
.LBB13_2553:
	s_movk_i32 s4, 0x80
	v_cmp_eq_u16_sdwa s[12:13], v9, s4 src0_sel:BYTE_3 src1_sel:DWORD
	s_mov_b64 s[4:5], -1
                                        ; implicit-def: $sgpr10
	s_and_saveexec_b64 s[8:9], s[12:13]
; %bb.2554:
	s_mov_b32 s10, 0x7f800001
	s_xor_b64 s[4:5], exec, -1
; %bb.2555:
	s_or_b64 exec, exec, s[8:9]
	s_and_b64 s[4:5], s[4:5], exec
	s_or_saveexec_b64 s[6:7], s[6:7]
	v_mov_b32_e32 v2, s10
	s_xor_b64 exec, exec, s[6:7]
	s_cbranch_execz .LBB13_506
.LBB13_2556:
	v_mov_b32_e32 v2, 0
	v_cmp_ne_u16_sdwa s[8:9], v9, v2 src0_sel:BYTE_3 src1_sel:DWORD
	s_andn2_b64 s[4:5], s[4:5], exec
	s_and_b64 s[8:9], s[8:9], exec
	s_or_b64 s[4:5], s[4:5], s[8:9]
	s_or_b64 exec, exec, s[6:7]
	s_and_saveexec_b64 s[6:7], s[4:5]
	s_cbranch_execnz .LBB13_507
	s_branch .LBB13_508
.LBB13_2557:
	s_movk_i32 s4, 0x80
	v_cmp_eq_u16_sdwa s[12:13], v5, s4 src0_sel:BYTE_3 src1_sel:DWORD
	s_mov_b64 s[4:5], -1
                                        ; implicit-def: $sgpr10
	s_and_saveexec_b64 s[8:9], s[12:13]
; %bb.2558:
	s_mov_b32 s10, 0x7f800001
	s_xor_b64 s[4:5], exec, -1
; %bb.2559:
	s_or_b64 exec, exec, s[8:9]
	s_and_b64 s[4:5], s[4:5], exec
	s_or_saveexec_b64 s[6:7], s[6:7]
	v_mov_b32_e32 v3, s10
	s_xor_b64 exec, exec, s[6:7]
	s_cbranch_execz .LBB13_510
.LBB13_2560:
	v_mov_b32_e32 v3, 0
	v_cmp_ne_u16_sdwa s[8:9], v5, v3 src0_sel:BYTE_3 src1_sel:DWORD
	s_andn2_b64 s[4:5], s[4:5], exec
	s_and_b64 s[8:9], s[8:9], exec
	s_or_b64 s[4:5], s[4:5], s[8:9]
	s_or_b64 exec, exec, s[6:7]
	s_and_saveexec_b64 s[6:7], s[4:5]
	s_cbranch_execnz .LBB13_511
	s_branch .LBB13_512
.LBB13_2561:
	s_movk_i32 s4, 0x80
	v_cmp_eq_u16_sdwa s[12:13], v14, s4 src0_sel:BYTE_0 src1_sel:DWORD
	s_mov_b64 s[4:5], -1
                                        ; implicit-def: $sgpr10
	s_and_saveexec_b64 s[8:9], s[12:13]
; %bb.2562:
	s_mov_b32 s10, 0x7f800001
	s_xor_b64 s[4:5], exec, -1
; %bb.2563:
	s_or_b64 exec, exec, s[8:9]
	s_and_b64 s[4:5], s[4:5], exec
	s_or_saveexec_b64 s[6:7], s[6:7]
	v_mov_b32_e32 v20, s10
	s_xor_b64 exec, exec, s[6:7]
	s_cbranch_execz .LBB13_514
.LBB13_2564:
	v_mov_b32_e32 v20, 0
	v_cmp_ne_u16_sdwa s[8:9], v14, v20 src0_sel:BYTE_0 src1_sel:DWORD
	s_andn2_b64 s[4:5], s[4:5], exec
	s_and_b64 s[8:9], s[8:9], exec
	s_or_b64 s[4:5], s[4:5], s[8:9]
	s_or_b64 exec, exec, s[6:7]
	s_and_saveexec_b64 s[6:7], s[4:5]
	s_cbranch_execnz .LBB13_515
	s_branch .LBB13_516
.LBB13_2565:
	s_movk_i32 s4, 0x80
	v_cmp_eq_u16_sdwa s[12:13], v10, s4 src0_sel:BYTE_0 src1_sel:DWORD
	s_mov_b64 s[4:5], -1
                                        ; implicit-def: $sgpr10
	s_and_saveexec_b64 s[8:9], s[12:13]
; %bb.2566:
	s_mov_b32 s10, 0x7f800001
	s_xor_b64 s[4:5], exec, -1
; %bb.2567:
	s_or_b64 exec, exec, s[8:9]
	s_and_b64 s[4:5], s[4:5], exec
	s_or_saveexec_b64 s[6:7], s[6:7]
	v_mov_b32_e32 v21, s10
	s_xor_b64 exec, exec, s[6:7]
	s_cbranch_execz .LBB13_518
.LBB13_2568:
	v_mov_b32_e32 v21, 0
	v_cmp_ne_u16_sdwa s[8:9], v10, v21 src0_sel:BYTE_0 src1_sel:DWORD
	s_andn2_b64 s[4:5], s[4:5], exec
	s_and_b64 s[8:9], s[8:9], exec
	s_or_b64 s[4:5], s[4:5], s[8:9]
	s_or_b64 exec, exec, s[6:7]
	s_and_saveexec_b64 s[6:7], s[4:5]
	s_cbranch_execnz .LBB13_519
	s_branch .LBB13_520
.LBB13_2569:
	s_movk_i32 s4, 0x80
	v_cmp_eq_u16_sdwa s[12:13], v21, s4 src0_sel:BYTE_0 src1_sel:DWORD
	s_mov_b64 s[4:5], -1
                                        ; implicit-def: $sgpr10
	s_and_saveexec_b64 s[8:9], s[12:13]
; %bb.2570:
	s_mov_b32 s10, 0x7f800001
	s_xor_b64 s[4:5], exec, -1
; %bb.2571:
	s_or_b64 exec, exec, s[8:9]
	s_and_b64 s[4:5], s[4:5], exec
	s_or_saveexec_b64 s[6:7], s[6:7]
	v_mov_b32_e32 v20, s10
	s_xor_b64 exec, exec, s[6:7]
	s_cbranch_execz .LBB13_522
.LBB13_2572:
	v_mov_b32_e32 v20, 0
	v_cmp_ne_u16_sdwa s[8:9], v21, v20 src0_sel:BYTE_0 src1_sel:DWORD
	s_andn2_b64 s[4:5], s[4:5], exec
	s_and_b64 s[8:9], s[8:9], exec
	s_or_b64 s[4:5], s[4:5], s[8:9]
	s_or_b64 exec, exec, s[6:7]
	s_and_saveexec_b64 s[6:7], s[4:5]
	s_cbranch_execnz .LBB13_523
	s_branch .LBB13_524
.LBB13_2573:
	s_movk_i32 s4, 0x80
	v_cmp_eq_u16_sdwa s[12:13], v21, s4 src0_sel:BYTE_0 src1_sel:DWORD
	s_mov_b64 s[4:5], -1
                                        ; implicit-def: $sgpr10
	s_and_saveexec_b64 s[8:9], s[12:13]
; %bb.2574:
	s_mov_b32 s10, 0x7f800001
	s_xor_b64 s[4:5], exec, -1
; %bb.2575:
	s_or_b64 exec, exec, s[8:9]
	s_and_b64 s[4:5], s[4:5], exec
	s_or_saveexec_b64 s[6:7], s[6:7]
	v_mov_b32_e32 v22, s10
	s_xor_b64 exec, exec, s[6:7]
	s_cbranch_execz .LBB13_526
.LBB13_2576:
	v_mov_b32_e32 v22, 0
	v_cmp_ne_u16_sdwa s[8:9], v21, v22 src0_sel:BYTE_0 src1_sel:DWORD
	s_andn2_b64 s[4:5], s[4:5], exec
	s_and_b64 s[8:9], s[8:9], exec
	s_or_b64 s[4:5], s[4:5], s[8:9]
	s_or_b64 exec, exec, s[6:7]
	s_and_saveexec_b64 s[6:7], s[4:5]
	s_cbranch_execnz .LBB13_527
	s_branch .LBB13_528
.LBB13_2577:
	s_movk_i32 s4, 0x80
	v_cmp_eq_u16_e32 vcc, s4, v21
	s_mov_b64 s[4:5], -1
                                        ; implicit-def: $sgpr10
	s_and_saveexec_b64 s[8:9], vcc
; %bb.2578:
	s_mov_b32 s10, 0x7f800001
	s_xor_b64 s[4:5], exec, -1
; %bb.2579:
	s_or_b64 exec, exec, s[8:9]
	s_and_b64 s[4:5], s[4:5], exec
                                        ; implicit-def: $vgpr21
	s_or_saveexec_b64 s[6:7], s[6:7]
	v_mov_b32_e32 v20, s10
	s_xor_b64 exec, exec, s[6:7]
	s_cbranch_execz .LBB13_530
.LBB13_2580:
	v_cmp_ne_u16_e32 vcc, 0, v21
	s_andn2_b64 s[4:5], s[4:5], exec
	s_and_b64 s[8:9], vcc, exec
	v_mov_b32_e32 v20, 0
	s_or_b64 s[4:5], s[4:5], s[8:9]
	s_or_b64 exec, exec, s[6:7]
	s_and_saveexec_b64 s[6:7], s[4:5]
	s_cbranch_execnz .LBB13_531
	s_branch .LBB13_532
.LBB13_2581:
	s_movk_i32 s4, 0x80
	v_cmp_eq_u16_e32 vcc, s4, v21
	s_mov_b64 s[4:5], -1
                                        ; implicit-def: $sgpr10
	s_and_saveexec_b64 s[8:9], vcc
; %bb.2582:
	s_mov_b32 s10, 0x7f800001
	s_xor_b64 s[4:5], exec, -1
; %bb.2583:
	s_or_b64 exec, exec, s[8:9]
	s_and_b64 s[4:5], s[4:5], exec
                                        ; implicit-def: $vgpr21
	s_or_saveexec_b64 s[6:7], s[6:7]
	v_mov_b32_e32 v22, s10
	s_xor_b64 exec, exec, s[6:7]
	s_cbranch_execz .LBB13_534
.LBB13_2584:
	v_cmp_ne_u16_e32 vcc, 0, v21
	s_andn2_b64 s[4:5], s[4:5], exec
	s_and_b64 s[8:9], vcc, exec
	v_mov_b32_e32 v22, 0
	s_or_b64 s[4:5], s[4:5], s[8:9]
	s_or_b64 exec, exec, s[6:7]
	s_and_saveexec_b64 s[6:7], s[4:5]
	s_cbranch_execnz .LBB13_535
	s_branch .LBB13_536
.LBB13_2585:
	s_movk_i32 s4, 0x80
	v_cmp_eq_u16_sdwa s[12:13], v14, s4 src0_sel:BYTE_3 src1_sel:DWORD
	s_mov_b64 s[4:5], -1
                                        ; implicit-def: $sgpr10
	s_and_saveexec_b64 s[8:9], s[12:13]
; %bb.2586:
	s_mov_b32 s10, 0x7f800001
	s_xor_b64 s[4:5], exec, -1
; %bb.2587:
	s_or_b64 exec, exec, s[8:9]
	s_and_b64 s[4:5], s[4:5], exec
	s_or_saveexec_b64 s[6:7], s[6:7]
	v_mov_b32_e32 v20, s10
	s_xor_b64 exec, exec, s[6:7]
	s_cbranch_execz .LBB13_538
.LBB13_2588:
	v_mov_b32_e32 v20, 0
	v_cmp_ne_u16_sdwa s[8:9], v14, v20 src0_sel:BYTE_3 src1_sel:DWORD
	s_andn2_b64 s[4:5], s[4:5], exec
	s_and_b64 s[8:9], s[8:9], exec
	s_or_b64 s[4:5], s[4:5], s[8:9]
	s_or_b64 exec, exec, s[6:7]
	s_and_saveexec_b64 s[6:7], s[4:5]
	s_cbranch_execnz .LBB13_539
	s_branch .LBB13_540
.LBB13_2589:
	s_movk_i32 s4, 0x80
	v_cmp_eq_u16_sdwa s[12:13], v10, s4 src0_sel:BYTE_3 src1_sel:DWORD
	s_mov_b64 s[4:5], -1
                                        ; implicit-def: $sgpr10
	s_and_saveexec_b64 s[8:9], s[12:13]
; %bb.2590:
	s_mov_b32 s10, 0x7f800001
	s_xor_b64 s[4:5], exec, -1
; %bb.2591:
	s_or_b64 exec, exec, s[8:9]
	s_and_b64 s[4:5], s[4:5], exec
	s_or_saveexec_b64 s[6:7], s[6:7]
	v_mov_b32_e32 v14, s10
	s_xor_b64 exec, exec, s[6:7]
	s_cbranch_execz .LBB13_542
.LBB13_2592:
	v_mov_b32_e32 v14, 0
	v_cmp_ne_u16_sdwa s[8:9], v10, v14 src0_sel:BYTE_3 src1_sel:DWORD
	s_andn2_b64 s[4:5], s[4:5], exec
	s_and_b64 s[8:9], s[8:9], exec
	s_or_b64 s[4:5], s[4:5], s[8:9]
	s_or_b64 exec, exec, s[6:7]
	s_and_saveexec_b64 s[6:7], s[4:5]
	s_cbranch_execnz .LBB13_543
	s_branch .LBB13_544
.LBB13_2593:
	s_movk_i32 s4, 0x80
	v_cmp_eq_u16_sdwa s[12:13], v15, s4 src0_sel:BYTE_0 src1_sel:DWORD
	s_mov_b64 s[4:5], -1
                                        ; implicit-def: $sgpr10
	s_and_saveexec_b64 s[8:9], s[12:13]
; %bb.2594:
	s_mov_b32 s10, 0x7f800001
	s_xor_b64 s[4:5], exec, -1
; %bb.2595:
	s_or_b64 exec, exec, s[8:9]
	s_and_b64 s[4:5], s[4:5], exec
	s_or_saveexec_b64 s[6:7], s[6:7]
	v_mov_b32_e32 v10, s10
	s_xor_b64 exec, exec, s[6:7]
	s_cbranch_execz .LBB13_546
.LBB13_2596:
	v_mov_b32_e32 v10, 0
	v_cmp_ne_u16_sdwa s[8:9], v15, v10 src0_sel:BYTE_0 src1_sel:DWORD
	s_andn2_b64 s[4:5], s[4:5], exec
	s_and_b64 s[8:9], s[8:9], exec
	s_or_b64 s[4:5], s[4:5], s[8:9]
	s_or_b64 exec, exec, s[6:7]
	s_and_saveexec_b64 s[6:7], s[4:5]
	s_cbranch_execnz .LBB13_547
	s_branch .LBB13_548
.LBB13_2597:
	s_movk_i32 s4, 0x80
	v_cmp_eq_u16_sdwa s[12:13], v11, s4 src0_sel:BYTE_0 src1_sel:DWORD
	s_mov_b64 s[4:5], -1
                                        ; implicit-def: $sgpr10
	s_and_saveexec_b64 s[8:9], s[12:13]
; %bb.2598:
	s_mov_b32 s10, 0x7f800001
	s_xor_b64 s[4:5], exec, -1
; %bb.2599:
	s_or_b64 exec, exec, s[8:9]
	s_and_b64 s[4:5], s[4:5], exec
	s_or_saveexec_b64 s[6:7], s[6:7]
	v_mov_b32_e32 v14, s10
	s_xor_b64 exec, exec, s[6:7]
	s_cbranch_execz .LBB13_550
.LBB13_2600:
	v_mov_b32_e32 v14, 0
	v_cmp_ne_u16_sdwa s[8:9], v11, v14 src0_sel:BYTE_0 src1_sel:DWORD
	s_andn2_b64 s[4:5], s[4:5], exec
	s_and_b64 s[8:9], s[8:9], exec
	s_or_b64 s[4:5], s[4:5], s[8:9]
	s_or_b64 exec, exec, s[6:7]
	s_and_saveexec_b64 s[6:7], s[4:5]
	s_cbranch_execnz .LBB13_551
	s_branch .LBB13_552
.LBB13_2601:
	s_movk_i32 s4, 0x80
	v_cmp_eq_u16_sdwa s[12:13], v14, s4 src0_sel:BYTE_0 src1_sel:DWORD
	s_mov_b64 s[4:5], -1
                                        ; implicit-def: $sgpr10
	s_and_saveexec_b64 s[8:9], s[12:13]
; %bb.2602:
	s_mov_b32 s10, 0x7f800001
	s_xor_b64 s[4:5], exec, -1
; %bb.2603:
	s_or_b64 exec, exec, s[8:9]
	s_and_b64 s[4:5], s[4:5], exec
	s_or_saveexec_b64 s[6:7], s[6:7]
	v_mov_b32_e32 v10, s10
	s_xor_b64 exec, exec, s[6:7]
	s_cbranch_execz .LBB13_554
.LBB13_2604:
	v_mov_b32_e32 v10, 0
	v_cmp_ne_u16_sdwa s[8:9], v14, v10 src0_sel:BYTE_0 src1_sel:DWORD
	s_andn2_b64 s[4:5], s[4:5], exec
	s_and_b64 s[8:9], s[8:9], exec
	s_or_b64 s[4:5], s[4:5], s[8:9]
	s_or_b64 exec, exec, s[6:7]
	s_and_saveexec_b64 s[6:7], s[4:5]
	s_cbranch_execnz .LBB13_555
	s_branch .LBB13_556
.LBB13_2605:
	s_movk_i32 s4, 0x80
	v_cmp_eq_u16_sdwa s[12:13], v14, s4 src0_sel:BYTE_0 src1_sel:DWORD
	s_mov_b64 s[4:5], -1
                                        ; implicit-def: $sgpr10
	s_and_saveexec_b64 s[8:9], s[12:13]
; %bb.2606:
	s_mov_b32 s10, 0x7f800001
	s_xor_b64 s[4:5], exec, -1
; %bb.2607:
	s_or_b64 exec, exec, s[8:9]
	s_and_b64 s[4:5], s[4:5], exec
	s_or_saveexec_b64 s[6:7], s[6:7]
	v_mov_b32_e32 v20, s10
	s_xor_b64 exec, exec, s[6:7]
	s_cbranch_execz .LBB13_558
.LBB13_2608:
	v_mov_b32_e32 v20, 0
	v_cmp_ne_u16_sdwa s[8:9], v14, v20 src0_sel:BYTE_0 src1_sel:DWORD
	s_andn2_b64 s[4:5], s[4:5], exec
	s_and_b64 s[8:9], s[8:9], exec
	s_or_b64 s[4:5], s[4:5], s[8:9]
	s_or_b64 exec, exec, s[6:7]
	s_and_saveexec_b64 s[6:7], s[4:5]
	s_cbranch_execnz .LBB13_559
	s_branch .LBB13_560
.LBB13_2609:
	s_movk_i32 s4, 0x80
	v_cmp_eq_u16_e32 vcc, s4, v14
	s_mov_b64 s[4:5], -1
                                        ; implicit-def: $sgpr10
	s_and_saveexec_b64 s[8:9], vcc
; %bb.2610:
	s_mov_b32 s10, 0x7f800001
	s_xor_b64 s[4:5], exec, -1
; %bb.2611:
	s_or_b64 exec, exec, s[8:9]
	s_and_b64 s[4:5], s[4:5], exec
                                        ; implicit-def: $vgpr14
	s_or_saveexec_b64 s[6:7], s[6:7]
	v_mov_b32_e32 v10, s10
	s_xor_b64 exec, exec, s[6:7]
	s_cbranch_execz .LBB13_562
.LBB13_2612:
	v_cmp_ne_u16_e32 vcc, 0, v14
	s_andn2_b64 s[4:5], s[4:5], exec
	s_and_b64 s[8:9], vcc, exec
	v_mov_b32_e32 v10, 0
	s_or_b64 s[4:5], s[4:5], s[8:9]
	s_or_b64 exec, exec, s[6:7]
	s_and_saveexec_b64 s[6:7], s[4:5]
	s_cbranch_execnz .LBB13_563
	s_branch .LBB13_564
.LBB13_2613:
	s_movk_i32 s4, 0x80
	v_cmp_eq_u16_e32 vcc, s4, v14
	s_mov_b64 s[4:5], -1
                                        ; implicit-def: $sgpr10
	s_and_saveexec_b64 s[8:9], vcc
; %bb.2614:
	s_mov_b32 s10, 0x7f800001
	s_xor_b64 s[4:5], exec, -1
; %bb.2615:
	s_or_b64 exec, exec, s[8:9]
	s_and_b64 s[4:5], s[4:5], exec
                                        ; implicit-def: $vgpr14
	s_or_saveexec_b64 s[6:7], s[6:7]
	v_mov_b32_e32 v20, s10
	s_xor_b64 exec, exec, s[6:7]
	s_cbranch_execz .LBB13_566
.LBB13_2616:
	v_cmp_ne_u16_e32 vcc, 0, v14
	s_andn2_b64 s[4:5], s[4:5], exec
	s_and_b64 s[8:9], vcc, exec
	v_mov_b32_e32 v20, 0
	s_or_b64 s[4:5], s[4:5], s[8:9]
	s_or_b64 exec, exec, s[6:7]
	s_and_saveexec_b64 s[6:7], s[4:5]
	s_cbranch_execnz .LBB13_567
	s_branch .LBB13_568
.LBB13_2617:
	s_movk_i32 s4, 0x80
	v_cmp_eq_u16_sdwa s[12:13], v15, s4 src0_sel:BYTE_3 src1_sel:DWORD
	s_mov_b64 s[4:5], -1
                                        ; implicit-def: $sgpr10
	s_and_saveexec_b64 s[8:9], s[12:13]
; %bb.2618:
	s_mov_b32 s10, 0x7f800001
	s_xor_b64 s[4:5], exec, -1
; %bb.2619:
	s_or_b64 exec, exec, s[8:9]
	s_and_b64 s[4:5], s[4:5], exec
	s_or_saveexec_b64 s[6:7], s[6:7]
	v_mov_b32_e32 v10, s10
	s_xor_b64 exec, exec, s[6:7]
	s_cbranch_execz .LBB13_570
.LBB13_2620:
	v_mov_b32_e32 v10, 0
	v_cmp_ne_u16_sdwa s[8:9], v15, v10 src0_sel:BYTE_3 src1_sel:DWORD
	s_andn2_b64 s[4:5], s[4:5], exec
	s_and_b64 s[8:9], s[8:9], exec
	s_or_b64 s[4:5], s[4:5], s[8:9]
	s_or_b64 exec, exec, s[6:7]
	s_and_saveexec_b64 s[6:7], s[4:5]
	s_cbranch_execnz .LBB13_571
	s_branch .LBB13_572
.LBB13_2621:
	s_movk_i32 s4, 0x80
	v_cmp_eq_u16_sdwa s[12:13], v11, s4 src0_sel:BYTE_3 src1_sel:DWORD
	s_mov_b64 s[4:5], -1
                                        ; implicit-def: $sgpr10
	s_and_saveexec_b64 s[8:9], s[12:13]
; %bb.2622:
	s_mov_b32 s10, 0x7f800001
	s_xor_b64 s[4:5], exec, -1
; %bb.2623:
	s_or_b64 exec, exec, s[8:9]
	s_and_b64 s[4:5], s[4:5], exec
	s_or_saveexec_b64 s[6:7], s[6:7]
	v_mov_b32_e32 v14, s10
	s_xor_b64 exec, exec, s[6:7]
	s_cbranch_execz .LBB13_574
.LBB13_2624:
	v_mov_b32_e32 v14, 0
	v_cmp_ne_u16_sdwa s[8:9], v11, v14 src0_sel:BYTE_3 src1_sel:DWORD
	s_andn2_b64 s[4:5], s[4:5], exec
	s_and_b64 s[8:9], s[8:9], exec
	s_or_b64 s[4:5], s[4:5], s[8:9]
	s_or_b64 exec, exec, s[6:7]
	s_and_saveexec_b64 s[6:7], s[4:5]
	s_cbranch_execnz .LBB13_575
	s_branch .LBB13_576
.LBB13_2625:
	s_movk_i32 s4, 0x80
	v_cmp_eq_u16_sdwa s[12:13], v16, s4 src0_sel:BYTE_0 src1_sel:DWORD
	s_mov_b64 s[4:5], -1
                                        ; implicit-def: $sgpr10
	s_and_saveexec_b64 s[8:9], s[12:13]
; %bb.2626:
	s_mov_b32 s10, 0x7f800001
	s_xor_b64 s[4:5], exec, -1
; %bb.2627:
	s_or_b64 exec, exec, s[8:9]
	s_and_b64 s[4:5], s[4:5], exec
	s_or_saveexec_b64 s[6:7], s[6:7]
	v_mov_b32_e32 v10, s10
	s_xor_b64 exec, exec, s[6:7]
	s_cbranch_execz .LBB13_578
.LBB13_2628:
	v_mov_b32_e32 v10, 0
	v_cmp_ne_u16_sdwa s[8:9], v16, v10 src0_sel:BYTE_0 src1_sel:DWORD
	s_andn2_b64 s[4:5], s[4:5], exec
	s_and_b64 s[8:9], s[8:9], exec
	s_or_b64 s[4:5], s[4:5], s[8:9]
	s_or_b64 exec, exec, s[6:7]
	s_and_saveexec_b64 s[6:7], s[4:5]
	s_cbranch_execnz .LBB13_579
	s_branch .LBB13_580
.LBB13_2629:
	s_movk_i32 s4, 0x80
	v_cmp_eq_u16_sdwa s[12:13], v12, s4 src0_sel:BYTE_0 src1_sel:DWORD
	s_mov_b64 s[4:5], -1
                                        ; implicit-def: $sgpr10
	s_and_saveexec_b64 s[8:9], s[12:13]
; %bb.2630:
	s_mov_b32 s10, 0x7f800001
	s_xor_b64 s[4:5], exec, -1
; %bb.2631:
	s_or_b64 exec, exec, s[8:9]
	s_and_b64 s[4:5], s[4:5], exec
	s_or_saveexec_b64 s[6:7], s[6:7]
	v_mov_b32_e32 v11, s10
	s_xor_b64 exec, exec, s[6:7]
	s_cbranch_execz .LBB13_582
.LBB13_2632:
	v_mov_b32_e32 v11, 0
	v_cmp_ne_u16_sdwa s[8:9], v12, v11 src0_sel:BYTE_0 src1_sel:DWORD
	s_andn2_b64 s[4:5], s[4:5], exec
	s_and_b64 s[8:9], s[8:9], exec
	s_or_b64 s[4:5], s[4:5], s[8:9]
	s_or_b64 exec, exec, s[6:7]
	s_and_saveexec_b64 s[6:7], s[4:5]
	s_cbranch_execnz .LBB13_583
	s_branch .LBB13_584
.LBB13_2633:
	s_movk_i32 s4, 0x80
	v_cmp_eq_u16_sdwa s[12:13], v11, s4 src0_sel:BYTE_0 src1_sel:DWORD
	s_mov_b64 s[4:5], -1
                                        ; implicit-def: $sgpr10
	s_and_saveexec_b64 s[8:9], s[12:13]
; %bb.2634:
	s_mov_b32 s10, 0x7f800001
	s_xor_b64 s[4:5], exec, -1
; %bb.2635:
	s_or_b64 exec, exec, s[8:9]
	s_and_b64 s[4:5], s[4:5], exec
	s_or_saveexec_b64 s[6:7], s[6:7]
	v_mov_b32_e32 v10, s10
	s_xor_b64 exec, exec, s[6:7]
	s_cbranch_execz .LBB13_586
.LBB13_2636:
	v_mov_b32_e32 v10, 0
	v_cmp_ne_u16_sdwa s[8:9], v11, v10 src0_sel:BYTE_0 src1_sel:DWORD
	s_andn2_b64 s[4:5], s[4:5], exec
	s_and_b64 s[8:9], s[8:9], exec
	s_or_b64 s[4:5], s[4:5], s[8:9]
	s_or_b64 exec, exec, s[6:7]
	s_and_saveexec_b64 s[6:7], s[4:5]
	s_cbranch_execnz .LBB13_587
	s_branch .LBB13_588
.LBB13_2637:
	s_movk_i32 s4, 0x80
	v_cmp_eq_u16_sdwa s[12:13], v11, s4 src0_sel:BYTE_0 src1_sel:DWORD
	s_mov_b64 s[4:5], -1
                                        ; implicit-def: $sgpr10
	s_and_saveexec_b64 s[8:9], s[12:13]
; %bb.2638:
	s_mov_b32 s10, 0x7f800001
	s_xor_b64 s[4:5], exec, -1
; %bb.2639:
	s_or_b64 exec, exec, s[8:9]
	s_and_b64 s[4:5], s[4:5], exec
	s_or_saveexec_b64 s[6:7], s[6:7]
	v_mov_b32_e32 v14, s10
	s_xor_b64 exec, exec, s[6:7]
	s_cbranch_execz .LBB13_590
.LBB13_2640:
	v_mov_b32_e32 v14, 0
	v_cmp_ne_u16_sdwa s[8:9], v11, v14 src0_sel:BYTE_0 src1_sel:DWORD
	s_andn2_b64 s[4:5], s[4:5], exec
	s_and_b64 s[8:9], s[8:9], exec
	s_or_b64 s[4:5], s[4:5], s[8:9]
	s_or_b64 exec, exec, s[6:7]
	s_and_saveexec_b64 s[6:7], s[4:5]
	s_cbranch_execnz .LBB13_591
	s_branch .LBB13_592
.LBB13_2641:
	s_movk_i32 s4, 0x80
	v_cmp_eq_u16_e32 vcc, s4, v11
	s_mov_b64 s[4:5], -1
                                        ; implicit-def: $sgpr10
	s_and_saveexec_b64 s[8:9], vcc
; %bb.2642:
	s_mov_b32 s10, 0x7f800001
	s_xor_b64 s[4:5], exec, -1
; %bb.2643:
	s_or_b64 exec, exec, s[8:9]
	s_and_b64 s[4:5], s[4:5], exec
                                        ; implicit-def: $vgpr11
	s_or_saveexec_b64 s[6:7], s[6:7]
	v_mov_b32_e32 v10, s10
	s_xor_b64 exec, exec, s[6:7]
	s_cbranch_execz .LBB13_594
.LBB13_2644:
	v_cmp_ne_u16_e32 vcc, 0, v11
	s_andn2_b64 s[4:5], s[4:5], exec
	s_and_b64 s[8:9], vcc, exec
	v_mov_b32_e32 v10, 0
	s_or_b64 s[4:5], s[4:5], s[8:9]
	s_or_b64 exec, exec, s[6:7]
	s_and_saveexec_b64 s[6:7], s[4:5]
	s_cbranch_execnz .LBB13_595
	s_branch .LBB13_596
.LBB13_2645:
	s_movk_i32 s4, 0x80
	v_cmp_eq_u16_e32 vcc, s4, v11
	s_mov_b64 s[4:5], -1
                                        ; implicit-def: $sgpr10
	s_and_saveexec_b64 s[8:9], vcc
; %bb.2646:
	s_mov_b32 s10, 0x7f800001
	s_xor_b64 s[4:5], exec, -1
; %bb.2647:
	s_or_b64 exec, exec, s[8:9]
	s_and_b64 s[4:5], s[4:5], exec
                                        ; implicit-def: $vgpr11
	s_or_saveexec_b64 s[6:7], s[6:7]
	v_mov_b32_e32 v14, s10
	s_xor_b64 exec, exec, s[6:7]
	s_cbranch_execz .LBB13_598
.LBB13_2648:
	v_cmp_ne_u16_e32 vcc, 0, v11
	s_andn2_b64 s[4:5], s[4:5], exec
	s_and_b64 s[8:9], vcc, exec
	v_mov_b32_e32 v14, 0
	s_or_b64 s[4:5], s[4:5], s[8:9]
	s_or_b64 exec, exec, s[6:7]
	s_and_saveexec_b64 s[6:7], s[4:5]
	s_cbranch_execnz .LBB13_599
	s_branch .LBB13_600
.LBB13_2649:
	s_movk_i32 s4, 0x80
	v_cmp_eq_u16_sdwa s[12:13], v16, s4 src0_sel:BYTE_3 src1_sel:DWORD
	s_mov_b64 s[4:5], -1
                                        ; implicit-def: $sgpr10
	s_and_saveexec_b64 s[8:9], s[12:13]
; %bb.2650:
	s_mov_b32 s10, 0x7f800001
	s_xor_b64 s[4:5], exec, -1
; %bb.2651:
	s_or_b64 exec, exec, s[8:9]
	s_and_b64 s[4:5], s[4:5], exec
	s_or_saveexec_b64 s[6:7], s[6:7]
	v_mov_b32_e32 v10, s10
	s_xor_b64 exec, exec, s[6:7]
	s_cbranch_execz .LBB13_602
.LBB13_2652:
	v_mov_b32_e32 v10, 0
	v_cmp_ne_u16_sdwa s[8:9], v16, v10 src0_sel:BYTE_3 src1_sel:DWORD
	s_andn2_b64 s[4:5], s[4:5], exec
	s_and_b64 s[8:9], s[8:9], exec
	s_or_b64 s[4:5], s[4:5], s[8:9]
	s_or_b64 exec, exec, s[6:7]
	s_and_saveexec_b64 s[6:7], s[4:5]
	s_cbranch_execnz .LBB13_603
	s_branch .LBB13_604
.LBB13_2653:
	s_movk_i32 s4, 0x80
	v_cmp_eq_u16_sdwa s[12:13], v12, s4 src0_sel:BYTE_3 src1_sel:DWORD
	s_mov_b64 s[4:5], -1
                                        ; implicit-def: $sgpr10
	s_and_saveexec_b64 s[8:9], s[12:13]
; %bb.2654:
	s_mov_b32 s10, 0x7f800001
	s_xor_b64 s[4:5], exec, -1
; %bb.2655:
	s_or_b64 exec, exec, s[8:9]
	s_and_b64 s[4:5], s[4:5], exec
	s_or_saveexec_b64 s[6:7], s[6:7]
	v_mov_b32_e32 v11, s10
	s_xor_b64 exec, exec, s[6:7]
	s_cbranch_execz .LBB13_606
.LBB13_2656:
	v_mov_b32_e32 v11, 0
	v_cmp_ne_u16_sdwa s[8:9], v12, v11 src0_sel:BYTE_3 src1_sel:DWORD
	s_andn2_b64 s[4:5], s[4:5], exec
	s_and_b64 s[8:9], s[8:9], exec
	s_or_b64 s[4:5], s[4:5], s[8:9]
	s_or_b64 exec, exec, s[6:7]
	s_and_saveexec_b64 s[6:7], s[4:5]
	s_cbranch_execnz .LBB13_607
	s_branch .LBB13_608
.LBB13_2657:
	s_movk_i32 s4, 0x80
	v_cmp_eq_u16_sdwa s[12:13], v17, s4 src0_sel:BYTE_0 src1_sel:DWORD
	s_mov_b64 s[4:5], -1
                                        ; implicit-def: $sgpr10
	s_and_saveexec_b64 s[8:9], s[12:13]
; %bb.2658:
	s_mov_b32 s10, 0x7f800001
	s_xor_b64 s[4:5], exec, -1
; %bb.2659:
	s_or_b64 exec, exec, s[8:9]
	s_and_b64 s[4:5], s[4:5], exec
	s_or_saveexec_b64 s[6:7], s[6:7]
	v_mov_b32_e32 v10, s10
	s_xor_b64 exec, exec, s[6:7]
	s_cbranch_execz .LBB13_610
.LBB13_2660:
	v_mov_b32_e32 v10, 0
	v_cmp_ne_u16_sdwa s[8:9], v17, v10 src0_sel:BYTE_0 src1_sel:DWORD
	s_andn2_b64 s[4:5], s[4:5], exec
	s_and_b64 s[8:9], s[8:9], exec
	s_or_b64 s[4:5], s[4:5], s[8:9]
	s_or_b64 exec, exec, s[6:7]
	s_and_saveexec_b64 s[6:7], s[4:5]
	s_cbranch_execnz .LBB13_611
	s_branch .LBB13_612
.LBB13_2661:
	s_movk_i32 s4, 0x80
	v_cmp_eq_u16_sdwa s[12:13], v13, s4 src0_sel:BYTE_0 src1_sel:DWORD
	s_mov_b64 s[4:5], -1
                                        ; implicit-def: $sgpr10
	s_and_saveexec_b64 s[8:9], s[12:13]
; %bb.2662:
	s_mov_b32 s10, 0x7f800001
	s_xor_b64 s[4:5], exec, -1
; %bb.2663:
	s_or_b64 exec, exec, s[8:9]
	s_and_b64 s[4:5], s[4:5], exec
	s_or_saveexec_b64 s[6:7], s[6:7]
	v_mov_b32_e32 v11, s10
	s_xor_b64 exec, exec, s[6:7]
	s_cbranch_execz .LBB13_614
.LBB13_2664:
	v_mov_b32_e32 v11, 0
	v_cmp_ne_u16_sdwa s[8:9], v13, v11 src0_sel:BYTE_0 src1_sel:DWORD
	s_andn2_b64 s[4:5], s[4:5], exec
	s_and_b64 s[8:9], s[8:9], exec
	s_or_b64 s[4:5], s[4:5], s[8:9]
	s_or_b64 exec, exec, s[6:7]
	s_and_saveexec_b64 s[6:7], s[4:5]
	s_cbranch_execnz .LBB13_615
	s_branch .LBB13_616
.LBB13_2665:
	s_movk_i32 s4, 0x80
	v_cmp_eq_u16_sdwa s[12:13], v11, s4 src0_sel:BYTE_0 src1_sel:DWORD
	s_mov_b64 s[4:5], -1
                                        ; implicit-def: $sgpr10
	s_and_saveexec_b64 s[8:9], s[12:13]
; %bb.2666:
	s_mov_b32 s10, 0x7f800001
	s_xor_b64 s[4:5], exec, -1
; %bb.2667:
	s_or_b64 exec, exec, s[8:9]
	s_and_b64 s[4:5], s[4:5], exec
	s_or_saveexec_b64 s[6:7], s[6:7]
	v_mov_b32_e32 v10, s10
	s_xor_b64 exec, exec, s[6:7]
	s_cbranch_execz .LBB13_618
.LBB13_2668:
	v_mov_b32_e32 v10, 0
	v_cmp_ne_u16_sdwa s[8:9], v11, v10 src0_sel:BYTE_0 src1_sel:DWORD
	s_andn2_b64 s[4:5], s[4:5], exec
	s_and_b64 s[8:9], s[8:9], exec
	s_or_b64 s[4:5], s[4:5], s[8:9]
	s_or_b64 exec, exec, s[6:7]
	s_and_saveexec_b64 s[6:7], s[4:5]
	s_cbranch_execnz .LBB13_619
	s_branch .LBB13_620
.LBB13_2669:
	s_movk_i32 s4, 0x80
	v_cmp_eq_u16_sdwa s[12:13], v11, s4 src0_sel:BYTE_0 src1_sel:DWORD
	s_mov_b64 s[4:5], -1
                                        ; implicit-def: $sgpr10
	s_and_saveexec_b64 s[8:9], s[12:13]
; %bb.2670:
	s_mov_b32 s10, 0x7f800001
	s_xor_b64 s[4:5], exec, -1
; %bb.2671:
	s_or_b64 exec, exec, s[8:9]
	s_and_b64 s[4:5], s[4:5], exec
	s_or_saveexec_b64 s[6:7], s[6:7]
	v_mov_b32_e32 v12, s10
	s_xor_b64 exec, exec, s[6:7]
	s_cbranch_execz .LBB13_622
.LBB13_2672:
	v_mov_b32_e32 v12, 0
	v_cmp_ne_u16_sdwa s[8:9], v11, v12 src0_sel:BYTE_0 src1_sel:DWORD
	s_andn2_b64 s[4:5], s[4:5], exec
	s_and_b64 s[8:9], s[8:9], exec
	s_or_b64 s[4:5], s[4:5], s[8:9]
	s_or_b64 exec, exec, s[6:7]
	s_and_saveexec_b64 s[6:7], s[4:5]
	s_cbranch_execnz .LBB13_623
	s_branch .LBB13_624
.LBB13_2673:
	s_movk_i32 s4, 0x80
	v_cmp_eq_u16_e32 vcc, s4, v11
	s_mov_b64 s[4:5], -1
                                        ; implicit-def: $sgpr10
	s_and_saveexec_b64 s[8:9], vcc
; %bb.2674:
	s_mov_b32 s10, 0x7f800001
	s_xor_b64 s[4:5], exec, -1
; %bb.2675:
	s_or_b64 exec, exec, s[8:9]
	s_and_b64 s[4:5], s[4:5], exec
                                        ; implicit-def: $vgpr11
	s_or_saveexec_b64 s[6:7], s[6:7]
	v_mov_b32_e32 v10, s10
	s_xor_b64 exec, exec, s[6:7]
	s_cbranch_execz .LBB13_626
.LBB13_2676:
	v_cmp_ne_u16_e32 vcc, 0, v11
	s_andn2_b64 s[4:5], s[4:5], exec
	s_and_b64 s[8:9], vcc, exec
	v_mov_b32_e32 v10, 0
	s_or_b64 s[4:5], s[4:5], s[8:9]
	s_or_b64 exec, exec, s[6:7]
	s_and_saveexec_b64 s[6:7], s[4:5]
	s_cbranch_execnz .LBB13_627
	s_branch .LBB13_628
.LBB13_2677:
	s_movk_i32 s4, 0x80
	v_cmp_eq_u16_e32 vcc, s4, v11
	s_mov_b64 s[4:5], -1
                                        ; implicit-def: $sgpr10
	s_and_saveexec_b64 s[8:9], vcc
; %bb.2678:
	s_mov_b32 s10, 0x7f800001
	s_xor_b64 s[4:5], exec, -1
; %bb.2679:
	s_or_b64 exec, exec, s[8:9]
	s_and_b64 s[4:5], s[4:5], exec
                                        ; implicit-def: $vgpr11
	s_or_saveexec_b64 s[6:7], s[6:7]
	v_mov_b32_e32 v12, s10
	s_xor_b64 exec, exec, s[6:7]
	s_cbranch_execz .LBB13_630
.LBB13_2680:
	v_cmp_ne_u16_e32 vcc, 0, v11
	s_andn2_b64 s[4:5], s[4:5], exec
	s_and_b64 s[8:9], vcc, exec
	v_mov_b32_e32 v12, 0
	s_or_b64 s[4:5], s[4:5], s[8:9]
	s_or_b64 exec, exec, s[6:7]
	s_and_saveexec_b64 s[6:7], s[4:5]
	s_cbranch_execnz .LBB13_631
	s_branch .LBB13_632
.LBB13_2681:
	s_movk_i32 s4, 0x80
	v_cmp_eq_u16_sdwa s[12:13], v17, s4 src0_sel:BYTE_3 src1_sel:DWORD
	s_mov_b64 s[4:5], -1
                                        ; implicit-def: $sgpr10
	s_and_saveexec_b64 s[8:9], s[12:13]
; %bb.2682:
	s_mov_b32 s10, 0x7f800001
	s_xor_b64 s[4:5], exec, -1
; %bb.2683:
	s_or_b64 exec, exec, s[8:9]
	s_and_b64 s[4:5], s[4:5], exec
	s_or_saveexec_b64 s[6:7], s[6:7]
	v_mov_b32_e32 v10, s10
	s_xor_b64 exec, exec, s[6:7]
	s_cbranch_execz .LBB13_634
.LBB13_2684:
	v_mov_b32_e32 v10, 0
	v_cmp_ne_u16_sdwa s[8:9], v17, v10 src0_sel:BYTE_3 src1_sel:DWORD
	s_andn2_b64 s[4:5], s[4:5], exec
	s_and_b64 s[8:9], s[8:9], exec
	s_or_b64 s[4:5], s[4:5], s[8:9]
	s_or_b64 exec, exec, s[6:7]
	s_and_saveexec_b64 s[6:7], s[4:5]
	s_cbranch_execnz .LBB13_635
	s_branch .LBB13_636
.LBB13_2685:
	s_movk_i32 s4, 0x80
	v_cmp_eq_u16_sdwa s[12:13], v13, s4 src0_sel:BYTE_3 src1_sel:DWORD
	s_mov_b64 s[4:5], -1
                                        ; implicit-def: $sgpr10
	s_and_saveexec_b64 s[8:9], s[12:13]
; %bb.2686:
	s_mov_b32 s10, 0x7f800001
	s_xor_b64 s[4:5], exec, -1
; %bb.2687:
	s_or_b64 exec, exec, s[8:9]
	s_and_b64 s[4:5], s[4:5], exec
	s_or_saveexec_b64 s[6:7], s[6:7]
	v_mov_b32_e32 v11, s10
	s_xor_b64 exec, exec, s[6:7]
	s_cbranch_execz .LBB13_638
.LBB13_2688:
	v_mov_b32_e32 v11, 0
	v_cmp_ne_u16_sdwa s[8:9], v13, v11 src0_sel:BYTE_3 src1_sel:DWORD
	s_andn2_b64 s[4:5], s[4:5], exec
	s_and_b64 s[8:9], s[8:9], exec
	s_or_b64 s[4:5], s[4:5], s[8:9]
	s_or_b64 exec, exec, s[6:7]
	s_and_saveexec_b64 s[6:7], s[4:5]
	s_cbranch_execnz .LBB13_639
	s_branch .LBB13_640
.LBB13_2689:
	s_movk_i32 s4, 0x80
	v_cmp_eq_u16_sdwa s[12:13], v6, s4 src0_sel:BYTE_0 src1_sel:DWORD
	s_mov_b64 s[4:5], -1
                                        ; implicit-def: $sgpr10
	s_and_saveexec_b64 s[8:9], s[12:13]
; %bb.2690:
	s_mov_b32 s10, 0x7f800001
	s_xor_b64 s[4:5], exec, -1
; %bb.2691:
	s_or_b64 exec, exec, s[8:9]
	s_and_b64 s[4:5], s[4:5], exec
	s_or_saveexec_b64 s[6:7], s[6:7]
	v_mov_b32_e32 v10, s10
	s_xor_b64 exec, exec, s[6:7]
	s_cbranch_execz .LBB13_642
.LBB13_2692:
	v_mov_b32_e32 v10, 0
	v_cmp_ne_u16_sdwa s[8:9], v6, v10 src0_sel:BYTE_0 src1_sel:DWORD
	s_andn2_b64 s[4:5], s[4:5], exec
	s_and_b64 s[8:9], s[8:9], exec
	s_or_b64 s[4:5], s[4:5], s[8:9]
	s_or_b64 exec, exec, s[6:7]
	s_and_saveexec_b64 s[6:7], s[4:5]
	s_cbranch_execnz .LBB13_643
	s_branch .LBB13_644
.LBB13_2693:
	s_movk_i32 s4, 0x80
	v_cmp_eq_u16_sdwa s[12:13], v2, s4 src0_sel:BYTE_0 src1_sel:DWORD
	s_mov_b64 s[4:5], -1
                                        ; implicit-def: $sgpr10
	s_and_saveexec_b64 s[8:9], s[12:13]
; %bb.2694:
	s_mov_b32 s10, 0x7f800001
	s_xor_b64 s[4:5], exec, -1
; %bb.2695:
	s_or_b64 exec, exec, s[8:9]
	s_and_b64 s[4:5], s[4:5], exec
	s_or_saveexec_b64 s[6:7], s[6:7]
	v_mov_b32_e32 v11, s10
	s_xor_b64 exec, exec, s[6:7]
	s_cbranch_execz .LBB13_646
.LBB13_2696:
	v_mov_b32_e32 v11, 0
	v_cmp_ne_u16_sdwa s[8:9], v2, v11 src0_sel:BYTE_0 src1_sel:DWORD
	s_andn2_b64 s[4:5], s[4:5], exec
	s_and_b64 s[8:9], s[8:9], exec
	s_or_b64 s[4:5], s[4:5], s[8:9]
	s_or_b64 exec, exec, s[6:7]
	s_and_saveexec_b64 s[6:7], s[4:5]
	s_cbranch_execnz .LBB13_647
	s_branch .LBB13_648
.LBB13_2697:
	s_movk_i32 s4, 0x80
	v_cmp_eq_u16_sdwa s[12:13], v11, s4 src0_sel:BYTE_0 src1_sel:DWORD
	s_mov_b64 s[4:5], -1
                                        ; implicit-def: $sgpr10
	s_and_saveexec_b64 s[8:9], s[12:13]
; %bb.2698:
	s_mov_b32 s10, 0x7f800001
	s_xor_b64 s[4:5], exec, -1
; %bb.2699:
	s_or_b64 exec, exec, s[8:9]
	s_and_b64 s[4:5], s[4:5], exec
	s_or_saveexec_b64 s[6:7], s[6:7]
	v_mov_b32_e32 v10, s10
	s_xor_b64 exec, exec, s[6:7]
	s_cbranch_execz .LBB13_650
.LBB13_2700:
	v_mov_b32_e32 v10, 0
	v_cmp_ne_u16_sdwa s[8:9], v11, v10 src0_sel:BYTE_0 src1_sel:DWORD
	s_andn2_b64 s[4:5], s[4:5], exec
	s_and_b64 s[8:9], s[8:9], exec
	s_or_b64 s[4:5], s[4:5], s[8:9]
	s_or_b64 exec, exec, s[6:7]
	s_and_saveexec_b64 s[6:7], s[4:5]
	s_cbranch_execnz .LBB13_651
	s_branch .LBB13_652
.LBB13_2701:
	s_movk_i32 s4, 0x80
	v_cmp_eq_u16_sdwa s[12:13], v11, s4 src0_sel:BYTE_0 src1_sel:DWORD
	s_mov_b64 s[4:5], -1
                                        ; implicit-def: $sgpr10
	s_and_saveexec_b64 s[8:9], s[12:13]
; %bb.2702:
	s_mov_b32 s10, 0x7f800001
	s_xor_b64 s[4:5], exec, -1
; %bb.2703:
	s_or_b64 exec, exec, s[8:9]
	s_and_b64 s[4:5], s[4:5], exec
	s_or_saveexec_b64 s[6:7], s[6:7]
	v_mov_b32_e32 v12, s10
	s_xor_b64 exec, exec, s[6:7]
	s_cbranch_execz .LBB13_654
.LBB13_2704:
	v_mov_b32_e32 v12, 0
	v_cmp_ne_u16_sdwa s[8:9], v11, v12 src0_sel:BYTE_0 src1_sel:DWORD
	s_andn2_b64 s[4:5], s[4:5], exec
	s_and_b64 s[8:9], s[8:9], exec
	s_or_b64 s[4:5], s[4:5], s[8:9]
	s_or_b64 exec, exec, s[6:7]
	s_and_saveexec_b64 s[6:7], s[4:5]
	s_cbranch_execnz .LBB13_655
	s_branch .LBB13_656
.LBB13_2705:
	s_movk_i32 s4, 0x80
	v_cmp_eq_u16_e32 vcc, s4, v11
	s_mov_b64 s[4:5], -1
                                        ; implicit-def: $sgpr10
	s_and_saveexec_b64 s[8:9], vcc
; %bb.2706:
	s_mov_b32 s10, 0x7f800001
	s_xor_b64 s[4:5], exec, -1
; %bb.2707:
	s_or_b64 exec, exec, s[8:9]
	s_and_b64 s[4:5], s[4:5], exec
                                        ; implicit-def: $vgpr11
	s_or_saveexec_b64 s[6:7], s[6:7]
	v_mov_b32_e32 v10, s10
	s_xor_b64 exec, exec, s[6:7]
	s_cbranch_execz .LBB13_658
.LBB13_2708:
	v_cmp_ne_u16_e32 vcc, 0, v11
	s_andn2_b64 s[4:5], s[4:5], exec
	s_and_b64 s[8:9], vcc, exec
	v_mov_b32_e32 v10, 0
	s_or_b64 s[4:5], s[4:5], s[8:9]
	s_or_b64 exec, exec, s[6:7]
	s_and_saveexec_b64 s[6:7], s[4:5]
	s_cbranch_execnz .LBB13_659
	s_branch .LBB13_660
.LBB13_2709:
	s_movk_i32 s4, 0x80
	v_cmp_eq_u16_e32 vcc, s4, v11
	s_mov_b64 s[4:5], -1
                                        ; implicit-def: $sgpr10
	s_and_saveexec_b64 s[8:9], vcc
; %bb.2710:
	s_mov_b32 s10, 0x7f800001
	s_xor_b64 s[4:5], exec, -1
; %bb.2711:
	s_or_b64 exec, exec, s[8:9]
	s_and_b64 s[4:5], s[4:5], exec
                                        ; implicit-def: $vgpr11
	s_or_saveexec_b64 s[6:7], s[6:7]
	v_mov_b32_e32 v12, s10
	s_xor_b64 exec, exec, s[6:7]
	s_cbranch_execz .LBB13_662
.LBB13_2712:
	v_cmp_ne_u16_e32 vcc, 0, v11
	s_andn2_b64 s[4:5], s[4:5], exec
	s_and_b64 s[8:9], vcc, exec
	v_mov_b32_e32 v12, 0
	s_or_b64 s[4:5], s[4:5], s[8:9]
	s_or_b64 exec, exec, s[6:7]
	s_and_saveexec_b64 s[6:7], s[4:5]
	s_cbranch_execnz .LBB13_663
	s_branch .LBB13_664
.LBB13_2713:
	s_movk_i32 s4, 0x80
	v_cmp_eq_u16_sdwa s[12:13], v6, s4 src0_sel:BYTE_3 src1_sel:DWORD
	s_mov_b64 s[4:5], -1
                                        ; implicit-def: $sgpr10
	s_and_saveexec_b64 s[8:9], s[12:13]
; %bb.2714:
	s_mov_b32 s10, 0x7f800001
	s_xor_b64 s[4:5], exec, -1
; %bb.2715:
	s_or_b64 exec, exec, s[8:9]
	s_and_b64 s[4:5], s[4:5], exec
	s_or_saveexec_b64 s[6:7], s[6:7]
	v_mov_b32_e32 v10, s10
	s_xor_b64 exec, exec, s[6:7]
	s_cbranch_execz .LBB13_666
.LBB13_2716:
	v_mov_b32_e32 v10, 0
	v_cmp_ne_u16_sdwa s[8:9], v6, v10 src0_sel:BYTE_3 src1_sel:DWORD
	s_andn2_b64 s[4:5], s[4:5], exec
	s_and_b64 s[8:9], s[8:9], exec
	s_or_b64 s[4:5], s[4:5], s[8:9]
	s_or_b64 exec, exec, s[6:7]
	s_and_saveexec_b64 s[6:7], s[4:5]
	s_cbranch_execnz .LBB13_667
	s_branch .LBB13_668
.LBB13_2717:
	s_movk_i32 s4, 0x80
	v_cmp_eq_u16_sdwa s[12:13], v2, s4 src0_sel:BYTE_3 src1_sel:DWORD
	s_mov_b64 s[4:5], -1
                                        ; implicit-def: $sgpr10
	s_and_saveexec_b64 s[8:9], s[12:13]
; %bb.2718:
	s_mov_b32 s10, 0x7f800001
	s_xor_b64 s[4:5], exec, -1
; %bb.2719:
	s_or_b64 exec, exec, s[8:9]
	s_and_b64 s[4:5], s[4:5], exec
	s_or_saveexec_b64 s[6:7], s[6:7]
	v_mov_b32_e32 v6, s10
	s_xor_b64 exec, exec, s[6:7]
	s_cbranch_execz .LBB13_670
.LBB13_2720:
	v_mov_b32_e32 v6, 0
	v_cmp_ne_u16_sdwa s[8:9], v2, v6 src0_sel:BYTE_3 src1_sel:DWORD
	s_andn2_b64 s[4:5], s[4:5], exec
	s_and_b64 s[8:9], s[8:9], exec
	s_or_b64 s[4:5], s[4:5], s[8:9]
	s_or_b64 exec, exec, s[6:7]
	s_and_saveexec_b64 s[6:7], s[4:5]
	s_cbranch_execnz .LBB13_671
	s_branch .LBB13_672
.LBB13_2721:
	s_movk_i32 s4, 0x80
	v_cmp_eq_u16_sdwa s[12:13], v7, s4 src0_sel:BYTE_0 src1_sel:DWORD
	s_mov_b64 s[4:5], -1
                                        ; implicit-def: $sgpr10
	s_and_saveexec_b64 s[8:9], s[12:13]
; %bb.2722:
	s_mov_b32 s10, 0x7f800001
	s_xor_b64 s[4:5], exec, -1
; %bb.2723:
	s_or_b64 exec, exec, s[8:9]
	s_and_b64 s[4:5], s[4:5], exec
	s_or_saveexec_b64 s[6:7], s[6:7]
	v_mov_b32_e32 v2, s10
	s_xor_b64 exec, exec, s[6:7]
	s_cbranch_execz .LBB13_674
.LBB13_2724:
	v_mov_b32_e32 v2, 0
	v_cmp_ne_u16_sdwa s[8:9], v7, v2 src0_sel:BYTE_0 src1_sel:DWORD
	s_andn2_b64 s[4:5], s[4:5], exec
	s_and_b64 s[8:9], s[8:9], exec
	s_or_b64 s[4:5], s[4:5], s[8:9]
	s_or_b64 exec, exec, s[6:7]
	s_and_saveexec_b64 s[6:7], s[4:5]
	s_cbranch_execnz .LBB13_675
	s_branch .LBB13_676
.LBB13_2725:
	s_movk_i32 s4, 0x80
	v_cmp_eq_u16_sdwa s[12:13], v3, s4 src0_sel:BYTE_0 src1_sel:DWORD
	s_mov_b64 s[4:5], -1
                                        ; implicit-def: $sgpr10
	s_and_saveexec_b64 s[8:9], s[12:13]
; %bb.2726:
	s_mov_b32 s10, 0x7f800001
	s_xor_b64 s[4:5], exec, -1
; %bb.2727:
	s_or_b64 exec, exec, s[8:9]
	s_and_b64 s[4:5], s[4:5], exec
	s_or_saveexec_b64 s[6:7], s[6:7]
	v_mov_b32_e32 v6, s10
	s_xor_b64 exec, exec, s[6:7]
	s_cbranch_execz .LBB13_678
.LBB13_2728:
	v_mov_b32_e32 v6, 0
	v_cmp_ne_u16_sdwa s[8:9], v3, v6 src0_sel:BYTE_0 src1_sel:DWORD
	s_andn2_b64 s[4:5], s[4:5], exec
	s_and_b64 s[8:9], s[8:9], exec
	s_or_b64 s[4:5], s[4:5], s[8:9]
	s_or_b64 exec, exec, s[6:7]
	s_and_saveexec_b64 s[6:7], s[4:5]
	s_cbranch_execnz .LBB13_679
	s_branch .LBB13_680
.LBB13_2729:
	s_movk_i32 s4, 0x80
	v_cmp_eq_u16_sdwa s[12:13], v6, s4 src0_sel:BYTE_0 src1_sel:DWORD
	s_mov_b64 s[4:5], -1
                                        ; implicit-def: $sgpr10
	s_and_saveexec_b64 s[8:9], s[12:13]
; %bb.2730:
	s_mov_b32 s10, 0x7f800001
	s_xor_b64 s[4:5], exec, -1
; %bb.2731:
	s_or_b64 exec, exec, s[8:9]
	s_and_b64 s[4:5], s[4:5], exec
	s_or_saveexec_b64 s[6:7], s[6:7]
	v_mov_b32_e32 v2, s10
	s_xor_b64 exec, exec, s[6:7]
	s_cbranch_execz .LBB13_682
.LBB13_2732:
	v_mov_b32_e32 v2, 0
	v_cmp_ne_u16_sdwa s[8:9], v6, v2 src0_sel:BYTE_0 src1_sel:DWORD
	s_andn2_b64 s[4:5], s[4:5], exec
	s_and_b64 s[8:9], s[8:9], exec
	s_or_b64 s[4:5], s[4:5], s[8:9]
	s_or_b64 exec, exec, s[6:7]
	s_and_saveexec_b64 s[6:7], s[4:5]
	s_cbranch_execnz .LBB13_683
	s_branch .LBB13_684
.LBB13_2733:
	s_movk_i32 s4, 0x80
	v_cmp_eq_u16_sdwa s[12:13], v6, s4 src0_sel:BYTE_0 src1_sel:DWORD
	s_mov_b64 s[4:5], -1
                                        ; implicit-def: $sgpr10
	s_and_saveexec_b64 s[8:9], s[12:13]
; %bb.2734:
	s_mov_b32 s10, 0x7f800001
	s_xor_b64 s[4:5], exec, -1
; %bb.2735:
	s_or_b64 exec, exec, s[8:9]
	s_and_b64 s[4:5], s[4:5], exec
	s_or_saveexec_b64 s[6:7], s[6:7]
	v_mov_b32_e32 v10, s10
	s_xor_b64 exec, exec, s[6:7]
	s_cbranch_execz .LBB13_686
.LBB13_2736:
	v_mov_b32_e32 v10, 0
	v_cmp_ne_u16_sdwa s[8:9], v6, v10 src0_sel:BYTE_0 src1_sel:DWORD
	s_andn2_b64 s[4:5], s[4:5], exec
	s_and_b64 s[8:9], s[8:9], exec
	s_or_b64 s[4:5], s[4:5], s[8:9]
	s_or_b64 exec, exec, s[6:7]
	s_and_saveexec_b64 s[6:7], s[4:5]
	s_cbranch_execnz .LBB13_687
	s_branch .LBB13_688
.LBB13_2737:
	s_movk_i32 s4, 0x80
	v_cmp_eq_u16_e32 vcc, s4, v6
	s_mov_b64 s[4:5], -1
                                        ; implicit-def: $sgpr10
	s_and_saveexec_b64 s[8:9], vcc
; %bb.2738:
	s_mov_b32 s10, 0x7f800001
	s_xor_b64 s[4:5], exec, -1
; %bb.2739:
	s_or_b64 exec, exec, s[8:9]
	s_and_b64 s[4:5], s[4:5], exec
                                        ; implicit-def: $vgpr6
	s_or_saveexec_b64 s[6:7], s[6:7]
	v_mov_b32_e32 v2, s10
	s_xor_b64 exec, exec, s[6:7]
	s_cbranch_execz .LBB13_690
.LBB13_2740:
	v_cmp_ne_u16_e32 vcc, 0, v6
	s_andn2_b64 s[4:5], s[4:5], exec
	s_and_b64 s[8:9], vcc, exec
	v_mov_b32_e32 v2, 0
	s_or_b64 s[4:5], s[4:5], s[8:9]
	s_or_b64 exec, exec, s[6:7]
	s_and_saveexec_b64 s[6:7], s[4:5]
	s_cbranch_execnz .LBB13_691
	s_branch .LBB13_692
.LBB13_2741:
	s_movk_i32 s4, 0x80
	v_cmp_eq_u16_e32 vcc, s4, v6
	s_mov_b64 s[4:5], -1
                                        ; implicit-def: $sgpr10
	s_and_saveexec_b64 s[8:9], vcc
; %bb.2742:
	s_mov_b32 s10, 0x7f800001
	s_xor_b64 s[4:5], exec, -1
; %bb.2743:
	s_or_b64 exec, exec, s[8:9]
	s_and_b64 s[4:5], s[4:5], exec
                                        ; implicit-def: $vgpr6
	s_or_saveexec_b64 s[6:7], s[6:7]
	v_mov_b32_e32 v10, s10
	s_xor_b64 exec, exec, s[6:7]
	s_cbranch_execz .LBB13_694
.LBB13_2744:
	v_cmp_ne_u16_e32 vcc, 0, v6
	s_andn2_b64 s[4:5], s[4:5], exec
	s_and_b64 s[8:9], vcc, exec
	v_mov_b32_e32 v10, 0
	s_or_b64 s[4:5], s[4:5], s[8:9]
	s_or_b64 exec, exec, s[6:7]
	s_and_saveexec_b64 s[6:7], s[4:5]
	s_cbranch_execnz .LBB13_695
	s_branch .LBB13_696
.LBB13_2745:
	s_movk_i32 s4, 0x80
	v_cmp_eq_u16_sdwa s[12:13], v7, s4 src0_sel:BYTE_3 src1_sel:DWORD
	s_mov_b64 s[4:5], -1
                                        ; implicit-def: $sgpr10
	s_and_saveexec_b64 s[8:9], s[12:13]
; %bb.2746:
	s_mov_b32 s10, 0x7f800001
	s_xor_b64 s[4:5], exec, -1
; %bb.2747:
	s_or_b64 exec, exec, s[8:9]
	s_and_b64 s[4:5], s[4:5], exec
	s_or_saveexec_b64 s[6:7], s[6:7]
	v_mov_b32_e32 v2, s10
	s_xor_b64 exec, exec, s[6:7]
	s_cbranch_execz .LBB13_698
.LBB13_2748:
	v_mov_b32_e32 v2, 0
	v_cmp_ne_u16_sdwa s[8:9], v7, v2 src0_sel:BYTE_3 src1_sel:DWORD
	s_andn2_b64 s[4:5], s[4:5], exec
	s_and_b64 s[8:9], s[8:9], exec
	s_or_b64 s[4:5], s[4:5], s[8:9]
	s_or_b64 exec, exec, s[6:7]
	s_and_saveexec_b64 s[6:7], s[4:5]
	s_cbranch_execnz .LBB13_699
	s_branch .LBB13_700
.LBB13_2749:
	s_movk_i32 s4, 0x80
	v_cmp_eq_u16_sdwa s[12:13], v3, s4 src0_sel:BYTE_3 src1_sel:DWORD
	s_mov_b64 s[4:5], -1
                                        ; implicit-def: $sgpr10
	s_and_saveexec_b64 s[8:9], s[12:13]
; %bb.2750:
	s_mov_b32 s10, 0x7f800001
	s_xor_b64 s[4:5], exec, -1
; %bb.2751:
	s_or_b64 exec, exec, s[8:9]
	s_and_b64 s[4:5], s[4:5], exec
	s_or_saveexec_b64 s[6:7], s[6:7]
	v_mov_b32_e32 v6, s10
	s_xor_b64 exec, exec, s[6:7]
	s_cbranch_execz .LBB13_702
.LBB13_2752:
	v_mov_b32_e32 v6, 0
	v_cmp_ne_u16_sdwa s[8:9], v3, v6 src0_sel:BYTE_3 src1_sel:DWORD
	s_andn2_b64 s[4:5], s[4:5], exec
	s_and_b64 s[8:9], s[8:9], exec
	s_or_b64 s[4:5], s[4:5], s[8:9]
	s_or_b64 exec, exec, s[6:7]
	s_and_saveexec_b64 s[6:7], s[4:5]
	s_cbranch_execnz .LBB13_703
	s_branch .LBB13_704
.LBB13_2753:
	s_movk_i32 s4, 0x80
	v_cmp_eq_u16_sdwa s[12:13], v8, s4 src0_sel:BYTE_0 src1_sel:DWORD
	s_mov_b64 s[4:5], -1
                                        ; implicit-def: $sgpr10
	s_and_saveexec_b64 s[8:9], s[12:13]
; %bb.2754:
	s_mov_b32 s10, 0x7f800001
	s_xor_b64 s[4:5], exec, -1
; %bb.2755:
	s_or_b64 exec, exec, s[8:9]
	s_and_b64 s[4:5], s[4:5], exec
	s_or_saveexec_b64 s[6:7], s[6:7]
	v_mov_b32_e32 v2, s10
	s_xor_b64 exec, exec, s[6:7]
	s_cbranch_execz .LBB13_706
.LBB13_2756:
	v_mov_b32_e32 v2, 0
	v_cmp_ne_u16_sdwa s[8:9], v8, v2 src0_sel:BYTE_0 src1_sel:DWORD
	s_andn2_b64 s[4:5], s[4:5], exec
	s_and_b64 s[8:9], s[8:9], exec
	s_or_b64 s[4:5], s[4:5], s[8:9]
	s_or_b64 exec, exec, s[6:7]
	s_and_saveexec_b64 s[6:7], s[4:5]
	s_cbranch_execnz .LBB13_707
	s_branch .LBB13_708
.LBB13_2757:
	s_movk_i32 s4, 0x80
	v_cmp_eq_u16_sdwa s[12:13], v4, s4 src0_sel:BYTE_0 src1_sel:DWORD
	s_mov_b64 s[4:5], -1
                                        ; implicit-def: $sgpr10
	s_and_saveexec_b64 s[8:9], s[12:13]
; %bb.2758:
	s_mov_b32 s10, 0x7f800001
	s_xor_b64 s[4:5], exec, -1
; %bb.2759:
	s_or_b64 exec, exec, s[8:9]
	s_and_b64 s[4:5], s[4:5], exec
	s_or_saveexec_b64 s[6:7], s[6:7]
	v_mov_b32_e32 v3, s10
	s_xor_b64 exec, exec, s[6:7]
	s_cbranch_execz .LBB13_710
.LBB13_2760:
	v_mov_b32_e32 v3, 0
	v_cmp_ne_u16_sdwa s[8:9], v4, v3 src0_sel:BYTE_0 src1_sel:DWORD
	s_andn2_b64 s[4:5], s[4:5], exec
	s_and_b64 s[8:9], s[8:9], exec
	s_or_b64 s[4:5], s[4:5], s[8:9]
	s_or_b64 exec, exec, s[6:7]
	s_and_saveexec_b64 s[6:7], s[4:5]
	s_cbranch_execnz .LBB13_711
	s_branch .LBB13_712
.LBB13_2761:
	s_movk_i32 s4, 0x80
	v_cmp_eq_u16_sdwa s[12:13], v3, s4 src0_sel:BYTE_0 src1_sel:DWORD
	s_mov_b64 s[4:5], -1
                                        ; implicit-def: $sgpr10
	s_and_saveexec_b64 s[8:9], s[12:13]
; %bb.2762:
	s_mov_b32 s10, 0x7f800001
	s_xor_b64 s[4:5], exec, -1
; %bb.2763:
	s_or_b64 exec, exec, s[8:9]
	s_and_b64 s[4:5], s[4:5], exec
	s_or_saveexec_b64 s[6:7], s[6:7]
	v_mov_b32_e32 v2, s10
	s_xor_b64 exec, exec, s[6:7]
	s_cbranch_execz .LBB13_714
.LBB13_2764:
	v_mov_b32_e32 v2, 0
	v_cmp_ne_u16_sdwa s[8:9], v3, v2 src0_sel:BYTE_0 src1_sel:DWORD
	s_andn2_b64 s[4:5], s[4:5], exec
	s_and_b64 s[8:9], s[8:9], exec
	s_or_b64 s[4:5], s[4:5], s[8:9]
	s_or_b64 exec, exec, s[6:7]
	s_and_saveexec_b64 s[6:7], s[4:5]
	s_cbranch_execnz .LBB13_715
	s_branch .LBB13_716
.LBB13_2765:
	s_movk_i32 s4, 0x80
	v_cmp_eq_u16_sdwa s[12:13], v3, s4 src0_sel:BYTE_0 src1_sel:DWORD
	s_mov_b64 s[4:5], -1
                                        ; implicit-def: $sgpr10
	s_and_saveexec_b64 s[8:9], s[12:13]
; %bb.2766:
	s_mov_b32 s10, 0x7f800001
	s_xor_b64 s[4:5], exec, -1
; %bb.2767:
	s_or_b64 exec, exec, s[8:9]
	s_and_b64 s[4:5], s[4:5], exec
	s_or_saveexec_b64 s[6:7], s[6:7]
	v_mov_b32_e32 v6, s10
	s_xor_b64 exec, exec, s[6:7]
	s_cbranch_execz .LBB13_718
.LBB13_2768:
	v_mov_b32_e32 v6, 0
	v_cmp_ne_u16_sdwa s[8:9], v3, v6 src0_sel:BYTE_0 src1_sel:DWORD
	s_andn2_b64 s[4:5], s[4:5], exec
	s_and_b64 s[8:9], s[8:9], exec
	s_or_b64 s[4:5], s[4:5], s[8:9]
	s_or_b64 exec, exec, s[6:7]
	s_and_saveexec_b64 s[6:7], s[4:5]
	s_cbranch_execnz .LBB13_719
	s_branch .LBB13_720
.LBB13_2769:
	s_movk_i32 s4, 0x80
	v_cmp_eq_u16_e32 vcc, s4, v3
	s_mov_b64 s[4:5], -1
                                        ; implicit-def: $sgpr10
	s_and_saveexec_b64 s[8:9], vcc
; %bb.2770:
	s_mov_b32 s10, 0x7f800001
	s_xor_b64 s[4:5], exec, -1
; %bb.2771:
	s_or_b64 exec, exec, s[8:9]
	s_and_b64 s[4:5], s[4:5], exec
                                        ; implicit-def: $vgpr3
	s_or_saveexec_b64 s[6:7], s[6:7]
	v_mov_b32_e32 v2, s10
	s_xor_b64 exec, exec, s[6:7]
	s_cbranch_execz .LBB13_722
.LBB13_2772:
	v_cmp_ne_u16_e32 vcc, 0, v3
	s_andn2_b64 s[4:5], s[4:5], exec
	s_and_b64 s[8:9], vcc, exec
	v_mov_b32_e32 v2, 0
	s_or_b64 s[4:5], s[4:5], s[8:9]
	s_or_b64 exec, exec, s[6:7]
	s_and_saveexec_b64 s[6:7], s[4:5]
	s_cbranch_execnz .LBB13_723
	s_branch .LBB13_724
.LBB13_2773:
	s_movk_i32 s4, 0x80
	v_cmp_eq_u16_e32 vcc, s4, v3
	s_mov_b64 s[4:5], -1
                                        ; implicit-def: $sgpr10
	s_and_saveexec_b64 s[8:9], vcc
; %bb.2774:
	s_mov_b32 s10, 0x7f800001
	s_xor_b64 s[4:5], exec, -1
; %bb.2775:
	s_or_b64 exec, exec, s[8:9]
	s_and_b64 s[4:5], s[4:5], exec
                                        ; implicit-def: $vgpr3
	s_or_saveexec_b64 s[6:7], s[6:7]
	v_mov_b32_e32 v6, s10
	s_xor_b64 exec, exec, s[6:7]
	s_cbranch_execz .LBB13_726
.LBB13_2776:
	v_cmp_ne_u16_e32 vcc, 0, v3
	s_andn2_b64 s[4:5], s[4:5], exec
	s_and_b64 s[8:9], vcc, exec
	v_mov_b32_e32 v6, 0
	s_or_b64 s[4:5], s[4:5], s[8:9]
	s_or_b64 exec, exec, s[6:7]
	s_and_saveexec_b64 s[6:7], s[4:5]
	s_cbranch_execnz .LBB13_727
	s_branch .LBB13_728
.LBB13_2777:
	s_movk_i32 s4, 0x80
	v_cmp_eq_u16_sdwa s[12:13], v8, s4 src0_sel:BYTE_3 src1_sel:DWORD
	s_mov_b64 s[4:5], -1
                                        ; implicit-def: $sgpr10
	s_and_saveexec_b64 s[8:9], s[12:13]
; %bb.2778:
	s_mov_b32 s10, 0x7f800001
	s_xor_b64 s[4:5], exec, -1
; %bb.2779:
	s_or_b64 exec, exec, s[8:9]
	s_and_b64 s[4:5], s[4:5], exec
	s_or_saveexec_b64 s[6:7], s[6:7]
	v_mov_b32_e32 v2, s10
	s_xor_b64 exec, exec, s[6:7]
	s_cbranch_execz .LBB13_730
.LBB13_2780:
	v_mov_b32_e32 v2, 0
	v_cmp_ne_u16_sdwa s[8:9], v8, v2 src0_sel:BYTE_3 src1_sel:DWORD
	s_andn2_b64 s[4:5], s[4:5], exec
	s_and_b64 s[8:9], s[8:9], exec
	s_or_b64 s[4:5], s[4:5], s[8:9]
	s_or_b64 exec, exec, s[6:7]
	s_and_saveexec_b64 s[6:7], s[4:5]
	s_cbranch_execnz .LBB13_731
	s_branch .LBB13_732
.LBB13_2781:
	s_movk_i32 s4, 0x80
	v_cmp_eq_u16_sdwa s[12:13], v4, s4 src0_sel:BYTE_3 src1_sel:DWORD
	s_mov_b64 s[4:5], -1
                                        ; implicit-def: $sgpr10
	s_and_saveexec_b64 s[8:9], s[12:13]
; %bb.2782:
	s_mov_b32 s10, 0x7f800001
	s_xor_b64 s[4:5], exec, -1
; %bb.2783:
	s_or_b64 exec, exec, s[8:9]
	s_and_b64 s[4:5], s[4:5], exec
	s_or_saveexec_b64 s[6:7], s[6:7]
	v_mov_b32_e32 v3, s10
	s_xor_b64 exec, exec, s[6:7]
	s_cbranch_execz .LBB13_734
.LBB13_2784:
	v_mov_b32_e32 v3, 0
	v_cmp_ne_u16_sdwa s[8:9], v4, v3 src0_sel:BYTE_3 src1_sel:DWORD
	s_andn2_b64 s[4:5], s[4:5], exec
	s_and_b64 s[8:9], s[8:9], exec
	s_or_b64 s[4:5], s[4:5], s[8:9]
	s_or_b64 exec, exec, s[6:7]
	s_and_saveexec_b64 s[6:7], s[4:5]
	s_cbranch_execnz .LBB13_735
	s_branch .LBB13_736
.LBB13_2785:
	s_movk_i32 s4, 0x80
	v_cmp_eq_u16_sdwa s[12:13], v9, s4 src0_sel:BYTE_0 src1_sel:DWORD
	s_mov_b64 s[4:5], -1
                                        ; implicit-def: $sgpr10
	s_and_saveexec_b64 s[8:9], s[12:13]
; %bb.2786:
	s_mov_b32 s10, 0x7f800001
	s_xor_b64 s[4:5], exec, -1
; %bb.2787:
	s_or_b64 exec, exec, s[8:9]
	s_and_b64 s[4:5], s[4:5], exec
	s_or_saveexec_b64 s[6:7], s[6:7]
	v_mov_b32_e32 v2, s10
	s_xor_b64 exec, exec, s[6:7]
	s_cbranch_execz .LBB13_738
.LBB13_2788:
	v_mov_b32_e32 v2, 0
	v_cmp_ne_u16_sdwa s[8:9], v9, v2 src0_sel:BYTE_0 src1_sel:DWORD
	s_andn2_b64 s[4:5], s[4:5], exec
	s_and_b64 s[8:9], s[8:9], exec
	s_or_b64 s[4:5], s[4:5], s[8:9]
	s_or_b64 exec, exec, s[6:7]
	s_and_saveexec_b64 s[6:7], s[4:5]
	s_cbranch_execnz .LBB13_739
	s_branch .LBB13_740
.LBB13_2789:
	s_movk_i32 s4, 0x80
	v_cmp_eq_u16_sdwa s[12:13], v5, s4 src0_sel:BYTE_0 src1_sel:DWORD
	s_mov_b64 s[4:5], -1
                                        ; implicit-def: $sgpr10
	s_and_saveexec_b64 s[8:9], s[12:13]
; %bb.2790:
	s_mov_b32 s10, 0x7f800001
	s_xor_b64 s[4:5], exec, -1
; %bb.2791:
	s_or_b64 exec, exec, s[8:9]
	s_and_b64 s[4:5], s[4:5], exec
	s_or_saveexec_b64 s[6:7], s[6:7]
	v_mov_b32_e32 v3, s10
	s_xor_b64 exec, exec, s[6:7]
	s_cbranch_execz .LBB13_742
.LBB13_2792:
	v_mov_b32_e32 v3, 0
	v_cmp_ne_u16_sdwa s[8:9], v5, v3 src0_sel:BYTE_0 src1_sel:DWORD
	s_andn2_b64 s[4:5], s[4:5], exec
	s_and_b64 s[8:9], s[8:9], exec
	s_or_b64 s[4:5], s[4:5], s[8:9]
	s_or_b64 exec, exec, s[6:7]
	s_and_saveexec_b64 s[6:7], s[4:5]
	s_cbranch_execnz .LBB13_743
	s_branch .LBB13_744
.LBB13_2793:
	s_movk_i32 s4, 0x80
	v_cmp_eq_u16_sdwa s[12:13], v3, s4 src0_sel:BYTE_0 src1_sel:DWORD
	s_mov_b64 s[4:5], -1
                                        ; implicit-def: $sgpr10
	s_and_saveexec_b64 s[8:9], s[12:13]
; %bb.2794:
	s_mov_b32 s10, 0x7f800001
	s_xor_b64 s[4:5], exec, -1
; %bb.2795:
	s_or_b64 exec, exec, s[8:9]
	s_and_b64 s[4:5], s[4:5], exec
	s_or_saveexec_b64 s[6:7], s[6:7]
	v_mov_b32_e32 v2, s10
	s_xor_b64 exec, exec, s[6:7]
	s_cbranch_execz .LBB13_746
.LBB13_2796:
	v_mov_b32_e32 v2, 0
	v_cmp_ne_u16_sdwa s[8:9], v3, v2 src0_sel:BYTE_0 src1_sel:DWORD
	s_andn2_b64 s[4:5], s[4:5], exec
	s_and_b64 s[8:9], s[8:9], exec
	s_or_b64 s[4:5], s[4:5], s[8:9]
	s_or_b64 exec, exec, s[6:7]
	s_and_saveexec_b64 s[6:7], s[4:5]
	s_cbranch_execnz .LBB13_747
	s_branch .LBB13_748
.LBB13_2797:
	s_movk_i32 s4, 0x80
	v_cmp_eq_u16_sdwa s[12:13], v3, s4 src0_sel:BYTE_0 src1_sel:DWORD
	s_mov_b64 s[4:5], -1
                                        ; implicit-def: $sgpr10
	s_and_saveexec_b64 s[8:9], s[12:13]
; %bb.2798:
	s_mov_b32 s10, 0x7f800001
	s_xor_b64 s[4:5], exec, -1
; %bb.2799:
	s_or_b64 exec, exec, s[8:9]
	s_and_b64 s[4:5], s[4:5], exec
	s_or_saveexec_b64 s[6:7], s[6:7]
	v_mov_b32_e32 v4, s10
	s_xor_b64 exec, exec, s[6:7]
	s_cbranch_execz .LBB13_750
.LBB13_2800:
	v_mov_b32_e32 v4, 0
	v_cmp_ne_u16_sdwa s[8:9], v3, v4 src0_sel:BYTE_0 src1_sel:DWORD
	s_andn2_b64 s[4:5], s[4:5], exec
	s_and_b64 s[8:9], s[8:9], exec
	s_or_b64 s[4:5], s[4:5], s[8:9]
	s_or_b64 exec, exec, s[6:7]
	s_and_saveexec_b64 s[6:7], s[4:5]
	s_cbranch_execnz .LBB13_751
	s_branch .LBB13_752
.LBB13_2801:
	s_movk_i32 s4, 0x80
	v_cmp_eq_u16_e32 vcc, s4, v3
	s_mov_b64 s[4:5], -1
                                        ; implicit-def: $sgpr10
	s_and_saveexec_b64 s[8:9], vcc
; %bb.2802:
	s_mov_b32 s10, 0x7f800001
	s_xor_b64 s[4:5], exec, -1
; %bb.2803:
	s_or_b64 exec, exec, s[8:9]
	s_and_b64 s[4:5], s[4:5], exec
                                        ; implicit-def: $vgpr3
	s_or_saveexec_b64 s[6:7], s[6:7]
	v_mov_b32_e32 v2, s10
	s_xor_b64 exec, exec, s[6:7]
	s_cbranch_execz .LBB13_754
.LBB13_2804:
	v_cmp_ne_u16_e32 vcc, 0, v3
	s_andn2_b64 s[4:5], s[4:5], exec
	s_and_b64 s[8:9], vcc, exec
	v_mov_b32_e32 v2, 0
	s_or_b64 s[4:5], s[4:5], s[8:9]
	s_or_b64 exec, exec, s[6:7]
	s_and_saveexec_b64 s[6:7], s[4:5]
	s_cbranch_execnz .LBB13_755
	s_branch .LBB13_756
.LBB13_2805:
	s_movk_i32 s4, 0x80
	v_cmp_eq_u16_e32 vcc, s4, v3
	s_mov_b64 s[4:5], -1
                                        ; implicit-def: $sgpr10
	s_and_saveexec_b64 s[8:9], vcc
; %bb.2806:
	s_mov_b32 s10, 0x7f800001
	s_xor_b64 s[4:5], exec, -1
; %bb.2807:
	s_or_b64 exec, exec, s[8:9]
	s_and_b64 s[4:5], s[4:5], exec
                                        ; implicit-def: $vgpr3
	s_or_saveexec_b64 s[6:7], s[6:7]
	v_mov_b32_e32 v4, s10
	s_xor_b64 exec, exec, s[6:7]
	s_cbranch_execz .LBB13_758
.LBB13_2808:
	v_cmp_ne_u16_e32 vcc, 0, v3
	s_andn2_b64 s[4:5], s[4:5], exec
	s_and_b64 s[8:9], vcc, exec
	v_mov_b32_e32 v4, 0
	s_or_b64 s[4:5], s[4:5], s[8:9]
	s_or_b64 exec, exec, s[6:7]
	s_and_saveexec_b64 s[6:7], s[4:5]
	s_cbranch_execnz .LBB13_759
	s_branch .LBB13_760
.LBB13_2809:
	s_movk_i32 s4, 0x80
	v_cmp_eq_u16_sdwa s[12:13], v9, s4 src0_sel:BYTE_3 src1_sel:DWORD
	s_mov_b64 s[4:5], -1
                                        ; implicit-def: $sgpr10
	s_and_saveexec_b64 s[8:9], s[12:13]
; %bb.2810:
	s_mov_b32 s10, 0x7f800001
	s_xor_b64 s[4:5], exec, -1
; %bb.2811:
	s_or_b64 exec, exec, s[8:9]
	s_and_b64 s[4:5], s[4:5], exec
	s_or_saveexec_b64 s[6:7], s[6:7]
	v_mov_b32_e32 v2, s10
	s_xor_b64 exec, exec, s[6:7]
	s_cbranch_execz .LBB13_762
.LBB13_2812:
	v_mov_b32_e32 v2, 0
	v_cmp_ne_u16_sdwa s[8:9], v9, v2 src0_sel:BYTE_3 src1_sel:DWORD
	s_andn2_b64 s[4:5], s[4:5], exec
	s_and_b64 s[8:9], s[8:9], exec
	s_or_b64 s[4:5], s[4:5], s[8:9]
	s_or_b64 exec, exec, s[6:7]
	s_and_saveexec_b64 s[6:7], s[4:5]
	s_cbranch_execnz .LBB13_763
	s_branch .LBB13_764
.LBB13_2813:
	s_movk_i32 s4, 0x80
	v_cmp_eq_u16_sdwa s[12:13], v5, s4 src0_sel:BYTE_3 src1_sel:DWORD
	s_mov_b64 s[4:5], -1
                                        ; implicit-def: $sgpr10
	s_and_saveexec_b64 s[8:9], s[12:13]
; %bb.2814:
	s_mov_b32 s10, 0x7f800001
	s_xor_b64 s[4:5], exec, -1
; %bb.2815:
	s_or_b64 exec, exec, s[8:9]
	s_and_b64 s[4:5], s[4:5], exec
	s_or_saveexec_b64 s[6:7], s[6:7]
	v_mov_b32_e32 v3, s10
	s_xor_b64 exec, exec, s[6:7]
	s_cbranch_execz .LBB13_766
.LBB13_2816:
	v_mov_b32_e32 v3, 0
	v_cmp_ne_u16_sdwa s[8:9], v5, v3 src0_sel:BYTE_3 src1_sel:DWORD
	s_andn2_b64 s[4:5], s[4:5], exec
	s_and_b64 s[8:9], s[8:9], exec
	s_or_b64 s[4:5], s[4:5], s[8:9]
	s_or_b64 exec, exec, s[6:7]
	s_and_saveexec_b64 s[6:7], s[4:5]
	s_cbranch_execnz .LBB13_767
	s_branch .LBB13_768
.LBB13_2817:
	s_movk_i32 s4, 0x80
	v_cmp_eq_u16_sdwa s[12:13], v14, s4 src0_sel:BYTE_0 src1_sel:DWORD
	s_mov_b64 s[4:5], -1
                                        ; implicit-def: $sgpr10
	s_and_saveexec_b64 s[8:9], s[12:13]
; %bb.2818:
	s_mov_b32 s10, 0x7f800001
	s_xor_b64 s[4:5], exec, -1
; %bb.2819:
	s_or_b64 exec, exec, s[8:9]
	s_and_b64 s[4:5], s[4:5], exec
	s_or_saveexec_b64 s[6:7], s[6:7]
	v_mov_b32_e32 v20, s10
	s_xor_b64 exec, exec, s[6:7]
	s_cbranch_execz .LBB13_770
.LBB13_2820:
	v_mov_b32_e32 v20, 0
	v_cmp_ne_u16_sdwa s[8:9], v14, v20 src0_sel:BYTE_0 src1_sel:DWORD
	s_andn2_b64 s[4:5], s[4:5], exec
	s_and_b64 s[8:9], s[8:9], exec
	s_or_b64 s[4:5], s[4:5], s[8:9]
	s_or_b64 exec, exec, s[6:7]
	s_and_saveexec_b64 s[6:7], s[4:5]
	s_cbranch_execnz .LBB13_771
	s_branch .LBB13_772
.LBB13_2821:
	s_movk_i32 s4, 0x80
	v_cmp_eq_u16_sdwa s[12:13], v10, s4 src0_sel:BYTE_0 src1_sel:DWORD
	s_mov_b64 s[4:5], -1
                                        ; implicit-def: $sgpr10
	s_and_saveexec_b64 s[8:9], s[12:13]
; %bb.2822:
	s_mov_b32 s10, 0x7f800001
	s_xor_b64 s[4:5], exec, -1
; %bb.2823:
	s_or_b64 exec, exec, s[8:9]
	s_and_b64 s[4:5], s[4:5], exec
	s_or_saveexec_b64 s[6:7], s[6:7]
	v_mov_b32_e32 v21, s10
	s_xor_b64 exec, exec, s[6:7]
	s_cbranch_execz .LBB13_774
.LBB13_2824:
	v_mov_b32_e32 v21, 0
	v_cmp_ne_u16_sdwa s[8:9], v10, v21 src0_sel:BYTE_0 src1_sel:DWORD
	s_andn2_b64 s[4:5], s[4:5], exec
	s_and_b64 s[8:9], s[8:9], exec
	s_or_b64 s[4:5], s[4:5], s[8:9]
	s_or_b64 exec, exec, s[6:7]
	s_and_saveexec_b64 s[6:7], s[4:5]
	s_cbranch_execnz .LBB13_775
	s_branch .LBB13_776
.LBB13_2825:
	s_movk_i32 s4, 0x80
	v_cmp_eq_u16_sdwa s[12:13], v21, s4 src0_sel:BYTE_0 src1_sel:DWORD
	s_mov_b64 s[4:5], -1
                                        ; implicit-def: $sgpr10
	s_and_saveexec_b64 s[8:9], s[12:13]
; %bb.2826:
	s_mov_b32 s10, 0x7f800001
	s_xor_b64 s[4:5], exec, -1
; %bb.2827:
	s_or_b64 exec, exec, s[8:9]
	s_and_b64 s[4:5], s[4:5], exec
	s_or_saveexec_b64 s[6:7], s[6:7]
	v_mov_b32_e32 v20, s10
	s_xor_b64 exec, exec, s[6:7]
	s_cbranch_execz .LBB13_778
.LBB13_2828:
	v_mov_b32_e32 v20, 0
	v_cmp_ne_u16_sdwa s[8:9], v21, v20 src0_sel:BYTE_0 src1_sel:DWORD
	s_andn2_b64 s[4:5], s[4:5], exec
	s_and_b64 s[8:9], s[8:9], exec
	s_or_b64 s[4:5], s[4:5], s[8:9]
	s_or_b64 exec, exec, s[6:7]
	s_and_saveexec_b64 s[6:7], s[4:5]
	s_cbranch_execnz .LBB13_779
	s_branch .LBB13_780
.LBB13_2829:
	s_movk_i32 s4, 0x80
	v_cmp_eq_u16_sdwa s[12:13], v21, s4 src0_sel:BYTE_0 src1_sel:DWORD
	s_mov_b64 s[4:5], -1
                                        ; implicit-def: $sgpr10
	s_and_saveexec_b64 s[8:9], s[12:13]
; %bb.2830:
	s_mov_b32 s10, 0x7f800001
	s_xor_b64 s[4:5], exec, -1
; %bb.2831:
	s_or_b64 exec, exec, s[8:9]
	s_and_b64 s[4:5], s[4:5], exec
	s_or_saveexec_b64 s[6:7], s[6:7]
	v_mov_b32_e32 v22, s10
	s_xor_b64 exec, exec, s[6:7]
	s_cbranch_execz .LBB13_782
.LBB13_2832:
	v_mov_b32_e32 v22, 0
	v_cmp_ne_u16_sdwa s[8:9], v21, v22 src0_sel:BYTE_0 src1_sel:DWORD
	s_andn2_b64 s[4:5], s[4:5], exec
	s_and_b64 s[8:9], s[8:9], exec
	s_or_b64 s[4:5], s[4:5], s[8:9]
	s_or_b64 exec, exec, s[6:7]
	s_and_saveexec_b64 s[6:7], s[4:5]
	s_cbranch_execnz .LBB13_783
	s_branch .LBB13_784
.LBB13_2833:
	s_movk_i32 s4, 0x80
	v_cmp_eq_u16_e32 vcc, s4, v21
	s_mov_b64 s[4:5], -1
                                        ; implicit-def: $sgpr10
	s_and_saveexec_b64 s[8:9], vcc
; %bb.2834:
	s_mov_b32 s10, 0x7f800001
	s_xor_b64 s[4:5], exec, -1
; %bb.2835:
	s_or_b64 exec, exec, s[8:9]
	s_and_b64 s[4:5], s[4:5], exec
                                        ; implicit-def: $vgpr21
	s_or_saveexec_b64 s[6:7], s[6:7]
	v_mov_b32_e32 v20, s10
	s_xor_b64 exec, exec, s[6:7]
	s_cbranch_execz .LBB13_786
.LBB13_2836:
	v_cmp_ne_u16_e32 vcc, 0, v21
	s_andn2_b64 s[4:5], s[4:5], exec
	s_and_b64 s[8:9], vcc, exec
	v_mov_b32_e32 v20, 0
	s_or_b64 s[4:5], s[4:5], s[8:9]
	s_or_b64 exec, exec, s[6:7]
	s_and_saveexec_b64 s[6:7], s[4:5]
	s_cbranch_execnz .LBB13_787
	s_branch .LBB13_788
.LBB13_2837:
	s_movk_i32 s4, 0x80
	v_cmp_eq_u16_e32 vcc, s4, v21
	s_mov_b64 s[4:5], -1
                                        ; implicit-def: $sgpr10
	s_and_saveexec_b64 s[8:9], vcc
; %bb.2838:
	s_mov_b32 s10, 0x7f800001
	s_xor_b64 s[4:5], exec, -1
; %bb.2839:
	s_or_b64 exec, exec, s[8:9]
	s_and_b64 s[4:5], s[4:5], exec
                                        ; implicit-def: $vgpr21
	s_or_saveexec_b64 s[6:7], s[6:7]
	v_mov_b32_e32 v22, s10
	s_xor_b64 exec, exec, s[6:7]
	s_cbranch_execz .LBB13_790
.LBB13_2840:
	v_cmp_ne_u16_e32 vcc, 0, v21
	s_andn2_b64 s[4:5], s[4:5], exec
	s_and_b64 s[8:9], vcc, exec
	v_mov_b32_e32 v22, 0
	s_or_b64 s[4:5], s[4:5], s[8:9]
	s_or_b64 exec, exec, s[6:7]
	s_and_saveexec_b64 s[6:7], s[4:5]
	s_cbranch_execnz .LBB13_791
	s_branch .LBB13_792
.LBB13_2841:
	s_movk_i32 s4, 0x80
	v_cmp_eq_u16_sdwa s[12:13], v14, s4 src0_sel:BYTE_3 src1_sel:DWORD
	s_mov_b64 s[4:5], -1
                                        ; implicit-def: $sgpr10
	s_and_saveexec_b64 s[8:9], s[12:13]
; %bb.2842:
	s_mov_b32 s10, 0x7f800001
	s_xor_b64 s[4:5], exec, -1
; %bb.2843:
	s_or_b64 exec, exec, s[8:9]
	s_and_b64 s[4:5], s[4:5], exec
	s_or_saveexec_b64 s[6:7], s[6:7]
	v_mov_b32_e32 v20, s10
	s_xor_b64 exec, exec, s[6:7]
	s_cbranch_execz .LBB13_794
.LBB13_2844:
	v_mov_b32_e32 v20, 0
	v_cmp_ne_u16_sdwa s[8:9], v14, v20 src0_sel:BYTE_3 src1_sel:DWORD
	s_andn2_b64 s[4:5], s[4:5], exec
	s_and_b64 s[8:9], s[8:9], exec
	s_or_b64 s[4:5], s[4:5], s[8:9]
	s_or_b64 exec, exec, s[6:7]
	s_and_saveexec_b64 s[6:7], s[4:5]
	s_cbranch_execnz .LBB13_795
	s_branch .LBB13_796
.LBB13_2845:
	s_movk_i32 s4, 0x80
	v_cmp_eq_u16_sdwa s[12:13], v10, s4 src0_sel:BYTE_3 src1_sel:DWORD
	s_mov_b64 s[4:5], -1
                                        ; implicit-def: $sgpr10
	s_and_saveexec_b64 s[8:9], s[12:13]
; %bb.2846:
	s_mov_b32 s10, 0x7f800001
	s_xor_b64 s[4:5], exec, -1
; %bb.2847:
	s_or_b64 exec, exec, s[8:9]
	s_and_b64 s[4:5], s[4:5], exec
	s_or_saveexec_b64 s[6:7], s[6:7]
	v_mov_b32_e32 v14, s10
	s_xor_b64 exec, exec, s[6:7]
	s_cbranch_execz .LBB13_798
.LBB13_2848:
	v_mov_b32_e32 v14, 0
	v_cmp_ne_u16_sdwa s[8:9], v10, v14 src0_sel:BYTE_3 src1_sel:DWORD
	s_andn2_b64 s[4:5], s[4:5], exec
	s_and_b64 s[8:9], s[8:9], exec
	s_or_b64 s[4:5], s[4:5], s[8:9]
	s_or_b64 exec, exec, s[6:7]
	s_and_saveexec_b64 s[6:7], s[4:5]
	s_cbranch_execnz .LBB13_799
	s_branch .LBB13_800
.LBB13_2849:
	s_movk_i32 s4, 0x80
	v_cmp_eq_u16_sdwa s[12:13], v15, s4 src0_sel:BYTE_0 src1_sel:DWORD
	s_mov_b64 s[4:5], -1
                                        ; implicit-def: $sgpr10
	s_and_saveexec_b64 s[8:9], s[12:13]
; %bb.2850:
	s_mov_b32 s10, 0x7f800001
	s_xor_b64 s[4:5], exec, -1
; %bb.2851:
	s_or_b64 exec, exec, s[8:9]
	s_and_b64 s[4:5], s[4:5], exec
	s_or_saveexec_b64 s[6:7], s[6:7]
	v_mov_b32_e32 v10, s10
	s_xor_b64 exec, exec, s[6:7]
	s_cbranch_execz .LBB13_802
.LBB13_2852:
	v_mov_b32_e32 v10, 0
	v_cmp_ne_u16_sdwa s[8:9], v15, v10 src0_sel:BYTE_0 src1_sel:DWORD
	s_andn2_b64 s[4:5], s[4:5], exec
	s_and_b64 s[8:9], s[8:9], exec
	s_or_b64 s[4:5], s[4:5], s[8:9]
	s_or_b64 exec, exec, s[6:7]
	s_and_saveexec_b64 s[6:7], s[4:5]
	s_cbranch_execnz .LBB13_803
	s_branch .LBB13_804
.LBB13_2853:
	s_movk_i32 s4, 0x80
	v_cmp_eq_u16_sdwa s[12:13], v11, s4 src0_sel:BYTE_0 src1_sel:DWORD
	s_mov_b64 s[4:5], -1
                                        ; implicit-def: $sgpr10
	s_and_saveexec_b64 s[8:9], s[12:13]
; %bb.2854:
	s_mov_b32 s10, 0x7f800001
	s_xor_b64 s[4:5], exec, -1
; %bb.2855:
	s_or_b64 exec, exec, s[8:9]
	s_and_b64 s[4:5], s[4:5], exec
	s_or_saveexec_b64 s[6:7], s[6:7]
	v_mov_b32_e32 v14, s10
	s_xor_b64 exec, exec, s[6:7]
	s_cbranch_execz .LBB13_806
.LBB13_2856:
	v_mov_b32_e32 v14, 0
	v_cmp_ne_u16_sdwa s[8:9], v11, v14 src0_sel:BYTE_0 src1_sel:DWORD
	s_andn2_b64 s[4:5], s[4:5], exec
	s_and_b64 s[8:9], s[8:9], exec
	s_or_b64 s[4:5], s[4:5], s[8:9]
	s_or_b64 exec, exec, s[6:7]
	s_and_saveexec_b64 s[6:7], s[4:5]
	s_cbranch_execnz .LBB13_807
	s_branch .LBB13_808
.LBB13_2857:
	s_movk_i32 s4, 0x80
	v_cmp_eq_u16_sdwa s[12:13], v14, s4 src0_sel:BYTE_0 src1_sel:DWORD
	s_mov_b64 s[4:5], -1
                                        ; implicit-def: $sgpr10
	s_and_saveexec_b64 s[8:9], s[12:13]
; %bb.2858:
	s_mov_b32 s10, 0x7f800001
	s_xor_b64 s[4:5], exec, -1
; %bb.2859:
	s_or_b64 exec, exec, s[8:9]
	s_and_b64 s[4:5], s[4:5], exec
	s_or_saveexec_b64 s[6:7], s[6:7]
	v_mov_b32_e32 v10, s10
	s_xor_b64 exec, exec, s[6:7]
	s_cbranch_execz .LBB13_810
.LBB13_2860:
	v_mov_b32_e32 v10, 0
	v_cmp_ne_u16_sdwa s[8:9], v14, v10 src0_sel:BYTE_0 src1_sel:DWORD
	s_andn2_b64 s[4:5], s[4:5], exec
	s_and_b64 s[8:9], s[8:9], exec
	s_or_b64 s[4:5], s[4:5], s[8:9]
	s_or_b64 exec, exec, s[6:7]
	s_and_saveexec_b64 s[6:7], s[4:5]
	s_cbranch_execnz .LBB13_811
	s_branch .LBB13_812
.LBB13_2861:
	s_movk_i32 s4, 0x80
	v_cmp_eq_u16_sdwa s[12:13], v14, s4 src0_sel:BYTE_0 src1_sel:DWORD
	s_mov_b64 s[4:5], -1
                                        ; implicit-def: $sgpr10
	s_and_saveexec_b64 s[8:9], s[12:13]
; %bb.2862:
	s_mov_b32 s10, 0x7f800001
	s_xor_b64 s[4:5], exec, -1
; %bb.2863:
	s_or_b64 exec, exec, s[8:9]
	s_and_b64 s[4:5], s[4:5], exec
	s_or_saveexec_b64 s[6:7], s[6:7]
	v_mov_b32_e32 v20, s10
	s_xor_b64 exec, exec, s[6:7]
	s_cbranch_execz .LBB13_814
.LBB13_2864:
	v_mov_b32_e32 v20, 0
	v_cmp_ne_u16_sdwa s[8:9], v14, v20 src0_sel:BYTE_0 src1_sel:DWORD
	s_andn2_b64 s[4:5], s[4:5], exec
	s_and_b64 s[8:9], s[8:9], exec
	s_or_b64 s[4:5], s[4:5], s[8:9]
	s_or_b64 exec, exec, s[6:7]
	s_and_saveexec_b64 s[6:7], s[4:5]
	s_cbranch_execnz .LBB13_815
	s_branch .LBB13_816
.LBB13_2865:
	s_movk_i32 s4, 0x80
	v_cmp_eq_u16_e32 vcc, s4, v14
	s_mov_b64 s[4:5], -1
                                        ; implicit-def: $sgpr10
	s_and_saveexec_b64 s[8:9], vcc
; %bb.2866:
	s_mov_b32 s10, 0x7f800001
	s_xor_b64 s[4:5], exec, -1
; %bb.2867:
	s_or_b64 exec, exec, s[8:9]
	s_and_b64 s[4:5], s[4:5], exec
                                        ; implicit-def: $vgpr14
	s_or_saveexec_b64 s[6:7], s[6:7]
	v_mov_b32_e32 v10, s10
	s_xor_b64 exec, exec, s[6:7]
	s_cbranch_execz .LBB13_818
.LBB13_2868:
	v_cmp_ne_u16_e32 vcc, 0, v14
	s_andn2_b64 s[4:5], s[4:5], exec
	s_and_b64 s[8:9], vcc, exec
	v_mov_b32_e32 v10, 0
	s_or_b64 s[4:5], s[4:5], s[8:9]
	s_or_b64 exec, exec, s[6:7]
	s_and_saveexec_b64 s[6:7], s[4:5]
	s_cbranch_execnz .LBB13_819
	s_branch .LBB13_820
.LBB13_2869:
	s_movk_i32 s4, 0x80
	v_cmp_eq_u16_e32 vcc, s4, v14
	s_mov_b64 s[4:5], -1
                                        ; implicit-def: $sgpr10
	s_and_saveexec_b64 s[8:9], vcc
; %bb.2870:
	s_mov_b32 s10, 0x7f800001
	s_xor_b64 s[4:5], exec, -1
; %bb.2871:
	s_or_b64 exec, exec, s[8:9]
	s_and_b64 s[4:5], s[4:5], exec
                                        ; implicit-def: $vgpr14
	s_or_saveexec_b64 s[6:7], s[6:7]
	v_mov_b32_e32 v20, s10
	s_xor_b64 exec, exec, s[6:7]
	s_cbranch_execz .LBB13_822
.LBB13_2872:
	v_cmp_ne_u16_e32 vcc, 0, v14
	s_andn2_b64 s[4:5], s[4:5], exec
	s_and_b64 s[8:9], vcc, exec
	v_mov_b32_e32 v20, 0
	s_or_b64 s[4:5], s[4:5], s[8:9]
	s_or_b64 exec, exec, s[6:7]
	s_and_saveexec_b64 s[6:7], s[4:5]
	s_cbranch_execnz .LBB13_823
	s_branch .LBB13_824
.LBB13_2873:
	s_movk_i32 s4, 0x80
	v_cmp_eq_u16_sdwa s[12:13], v15, s4 src0_sel:BYTE_3 src1_sel:DWORD
	s_mov_b64 s[4:5], -1
                                        ; implicit-def: $sgpr10
	s_and_saveexec_b64 s[8:9], s[12:13]
; %bb.2874:
	s_mov_b32 s10, 0x7f800001
	s_xor_b64 s[4:5], exec, -1
; %bb.2875:
	s_or_b64 exec, exec, s[8:9]
	s_and_b64 s[4:5], s[4:5], exec
	s_or_saveexec_b64 s[6:7], s[6:7]
	v_mov_b32_e32 v10, s10
	s_xor_b64 exec, exec, s[6:7]
	s_cbranch_execz .LBB13_826
.LBB13_2876:
	v_mov_b32_e32 v10, 0
	v_cmp_ne_u16_sdwa s[8:9], v15, v10 src0_sel:BYTE_3 src1_sel:DWORD
	s_andn2_b64 s[4:5], s[4:5], exec
	s_and_b64 s[8:9], s[8:9], exec
	s_or_b64 s[4:5], s[4:5], s[8:9]
	s_or_b64 exec, exec, s[6:7]
	s_and_saveexec_b64 s[6:7], s[4:5]
	s_cbranch_execnz .LBB13_827
	s_branch .LBB13_828
.LBB13_2877:
	s_movk_i32 s4, 0x80
	v_cmp_eq_u16_sdwa s[12:13], v11, s4 src0_sel:BYTE_3 src1_sel:DWORD
	s_mov_b64 s[4:5], -1
                                        ; implicit-def: $sgpr10
	s_and_saveexec_b64 s[8:9], s[12:13]
; %bb.2878:
	s_mov_b32 s10, 0x7f800001
	s_xor_b64 s[4:5], exec, -1
; %bb.2879:
	s_or_b64 exec, exec, s[8:9]
	s_and_b64 s[4:5], s[4:5], exec
	s_or_saveexec_b64 s[6:7], s[6:7]
	v_mov_b32_e32 v14, s10
	s_xor_b64 exec, exec, s[6:7]
	s_cbranch_execz .LBB13_830
.LBB13_2880:
	v_mov_b32_e32 v14, 0
	v_cmp_ne_u16_sdwa s[8:9], v11, v14 src0_sel:BYTE_3 src1_sel:DWORD
	s_andn2_b64 s[4:5], s[4:5], exec
	s_and_b64 s[8:9], s[8:9], exec
	s_or_b64 s[4:5], s[4:5], s[8:9]
	s_or_b64 exec, exec, s[6:7]
	s_and_saveexec_b64 s[6:7], s[4:5]
	s_cbranch_execnz .LBB13_831
	s_branch .LBB13_832
.LBB13_2881:
	s_movk_i32 s4, 0x80
	v_cmp_eq_u16_sdwa s[12:13], v16, s4 src0_sel:BYTE_0 src1_sel:DWORD
	s_mov_b64 s[4:5], -1
                                        ; implicit-def: $sgpr10
	s_and_saveexec_b64 s[8:9], s[12:13]
; %bb.2882:
	s_mov_b32 s10, 0x7f800001
	s_xor_b64 s[4:5], exec, -1
; %bb.2883:
	s_or_b64 exec, exec, s[8:9]
	s_and_b64 s[4:5], s[4:5], exec
	s_or_saveexec_b64 s[6:7], s[6:7]
	v_mov_b32_e32 v10, s10
	s_xor_b64 exec, exec, s[6:7]
	s_cbranch_execz .LBB13_834
.LBB13_2884:
	v_mov_b32_e32 v10, 0
	v_cmp_ne_u16_sdwa s[8:9], v16, v10 src0_sel:BYTE_0 src1_sel:DWORD
	s_andn2_b64 s[4:5], s[4:5], exec
	s_and_b64 s[8:9], s[8:9], exec
	s_or_b64 s[4:5], s[4:5], s[8:9]
	s_or_b64 exec, exec, s[6:7]
	s_and_saveexec_b64 s[6:7], s[4:5]
	s_cbranch_execnz .LBB13_835
	s_branch .LBB13_836
.LBB13_2885:
	s_movk_i32 s4, 0x80
	v_cmp_eq_u16_sdwa s[12:13], v12, s4 src0_sel:BYTE_0 src1_sel:DWORD
	s_mov_b64 s[4:5], -1
                                        ; implicit-def: $sgpr10
	s_and_saveexec_b64 s[8:9], s[12:13]
; %bb.2886:
	s_mov_b32 s10, 0x7f800001
	s_xor_b64 s[4:5], exec, -1
; %bb.2887:
	s_or_b64 exec, exec, s[8:9]
	s_and_b64 s[4:5], s[4:5], exec
	s_or_saveexec_b64 s[6:7], s[6:7]
	v_mov_b32_e32 v11, s10
	s_xor_b64 exec, exec, s[6:7]
	s_cbranch_execz .LBB13_838
.LBB13_2888:
	v_mov_b32_e32 v11, 0
	v_cmp_ne_u16_sdwa s[8:9], v12, v11 src0_sel:BYTE_0 src1_sel:DWORD
	s_andn2_b64 s[4:5], s[4:5], exec
	s_and_b64 s[8:9], s[8:9], exec
	s_or_b64 s[4:5], s[4:5], s[8:9]
	s_or_b64 exec, exec, s[6:7]
	s_and_saveexec_b64 s[6:7], s[4:5]
	s_cbranch_execnz .LBB13_839
	s_branch .LBB13_840
.LBB13_2889:
	s_movk_i32 s4, 0x80
	v_cmp_eq_u16_sdwa s[12:13], v11, s4 src0_sel:BYTE_0 src1_sel:DWORD
	s_mov_b64 s[4:5], -1
                                        ; implicit-def: $sgpr10
	s_and_saveexec_b64 s[8:9], s[12:13]
; %bb.2890:
	s_mov_b32 s10, 0x7f800001
	s_xor_b64 s[4:5], exec, -1
; %bb.2891:
	s_or_b64 exec, exec, s[8:9]
	s_and_b64 s[4:5], s[4:5], exec
	s_or_saveexec_b64 s[6:7], s[6:7]
	v_mov_b32_e32 v10, s10
	s_xor_b64 exec, exec, s[6:7]
	s_cbranch_execz .LBB13_842
.LBB13_2892:
	v_mov_b32_e32 v10, 0
	v_cmp_ne_u16_sdwa s[8:9], v11, v10 src0_sel:BYTE_0 src1_sel:DWORD
	s_andn2_b64 s[4:5], s[4:5], exec
	s_and_b64 s[8:9], s[8:9], exec
	s_or_b64 s[4:5], s[4:5], s[8:9]
	s_or_b64 exec, exec, s[6:7]
	s_and_saveexec_b64 s[6:7], s[4:5]
	s_cbranch_execnz .LBB13_843
	s_branch .LBB13_844
.LBB13_2893:
	s_movk_i32 s4, 0x80
	v_cmp_eq_u16_sdwa s[12:13], v11, s4 src0_sel:BYTE_0 src1_sel:DWORD
	s_mov_b64 s[4:5], -1
                                        ; implicit-def: $sgpr10
	s_and_saveexec_b64 s[8:9], s[12:13]
; %bb.2894:
	s_mov_b32 s10, 0x7f800001
	s_xor_b64 s[4:5], exec, -1
; %bb.2895:
	s_or_b64 exec, exec, s[8:9]
	s_and_b64 s[4:5], s[4:5], exec
	s_or_saveexec_b64 s[6:7], s[6:7]
	v_mov_b32_e32 v14, s10
	s_xor_b64 exec, exec, s[6:7]
	s_cbranch_execz .LBB13_846
.LBB13_2896:
	v_mov_b32_e32 v14, 0
	v_cmp_ne_u16_sdwa s[8:9], v11, v14 src0_sel:BYTE_0 src1_sel:DWORD
	s_andn2_b64 s[4:5], s[4:5], exec
	s_and_b64 s[8:9], s[8:9], exec
	s_or_b64 s[4:5], s[4:5], s[8:9]
	s_or_b64 exec, exec, s[6:7]
	s_and_saveexec_b64 s[6:7], s[4:5]
	s_cbranch_execnz .LBB13_847
	s_branch .LBB13_848
.LBB13_2897:
	s_movk_i32 s4, 0x80
	v_cmp_eq_u16_e32 vcc, s4, v11
	s_mov_b64 s[4:5], -1
                                        ; implicit-def: $sgpr10
	s_and_saveexec_b64 s[8:9], vcc
; %bb.2898:
	s_mov_b32 s10, 0x7f800001
	s_xor_b64 s[4:5], exec, -1
; %bb.2899:
	s_or_b64 exec, exec, s[8:9]
	s_and_b64 s[4:5], s[4:5], exec
                                        ; implicit-def: $vgpr11
	s_or_saveexec_b64 s[6:7], s[6:7]
	v_mov_b32_e32 v10, s10
	s_xor_b64 exec, exec, s[6:7]
	s_cbranch_execz .LBB13_850
.LBB13_2900:
	v_cmp_ne_u16_e32 vcc, 0, v11
	s_andn2_b64 s[4:5], s[4:5], exec
	s_and_b64 s[8:9], vcc, exec
	v_mov_b32_e32 v10, 0
	s_or_b64 s[4:5], s[4:5], s[8:9]
	s_or_b64 exec, exec, s[6:7]
	s_and_saveexec_b64 s[6:7], s[4:5]
	s_cbranch_execnz .LBB13_851
	s_branch .LBB13_852
.LBB13_2901:
	s_movk_i32 s4, 0x80
	v_cmp_eq_u16_e32 vcc, s4, v11
	s_mov_b64 s[4:5], -1
                                        ; implicit-def: $sgpr10
	s_and_saveexec_b64 s[8:9], vcc
; %bb.2902:
	s_mov_b32 s10, 0x7f800001
	s_xor_b64 s[4:5], exec, -1
; %bb.2903:
	s_or_b64 exec, exec, s[8:9]
	s_and_b64 s[4:5], s[4:5], exec
                                        ; implicit-def: $vgpr11
	s_or_saveexec_b64 s[6:7], s[6:7]
	v_mov_b32_e32 v14, s10
	s_xor_b64 exec, exec, s[6:7]
	s_cbranch_execz .LBB13_854
.LBB13_2904:
	v_cmp_ne_u16_e32 vcc, 0, v11
	s_andn2_b64 s[4:5], s[4:5], exec
	s_and_b64 s[8:9], vcc, exec
	v_mov_b32_e32 v14, 0
	s_or_b64 s[4:5], s[4:5], s[8:9]
	s_or_b64 exec, exec, s[6:7]
	s_and_saveexec_b64 s[6:7], s[4:5]
	s_cbranch_execnz .LBB13_855
	s_branch .LBB13_856
.LBB13_2905:
	s_movk_i32 s4, 0x80
	v_cmp_eq_u16_sdwa s[12:13], v16, s4 src0_sel:BYTE_3 src1_sel:DWORD
	s_mov_b64 s[4:5], -1
                                        ; implicit-def: $sgpr10
	s_and_saveexec_b64 s[8:9], s[12:13]
; %bb.2906:
	s_mov_b32 s10, 0x7f800001
	s_xor_b64 s[4:5], exec, -1
; %bb.2907:
	s_or_b64 exec, exec, s[8:9]
	s_and_b64 s[4:5], s[4:5], exec
	s_or_saveexec_b64 s[6:7], s[6:7]
	v_mov_b32_e32 v10, s10
	s_xor_b64 exec, exec, s[6:7]
	s_cbranch_execz .LBB13_858
.LBB13_2908:
	v_mov_b32_e32 v10, 0
	v_cmp_ne_u16_sdwa s[8:9], v16, v10 src0_sel:BYTE_3 src1_sel:DWORD
	s_andn2_b64 s[4:5], s[4:5], exec
	s_and_b64 s[8:9], s[8:9], exec
	s_or_b64 s[4:5], s[4:5], s[8:9]
	s_or_b64 exec, exec, s[6:7]
	s_and_saveexec_b64 s[6:7], s[4:5]
	s_cbranch_execnz .LBB13_859
	s_branch .LBB13_860
.LBB13_2909:
	s_movk_i32 s4, 0x80
	v_cmp_eq_u16_sdwa s[12:13], v12, s4 src0_sel:BYTE_3 src1_sel:DWORD
	s_mov_b64 s[4:5], -1
                                        ; implicit-def: $sgpr10
	s_and_saveexec_b64 s[8:9], s[12:13]
; %bb.2910:
	s_mov_b32 s10, 0x7f800001
	s_xor_b64 s[4:5], exec, -1
; %bb.2911:
	s_or_b64 exec, exec, s[8:9]
	s_and_b64 s[4:5], s[4:5], exec
	s_or_saveexec_b64 s[6:7], s[6:7]
	v_mov_b32_e32 v11, s10
	s_xor_b64 exec, exec, s[6:7]
	s_cbranch_execz .LBB13_862
.LBB13_2912:
	v_mov_b32_e32 v11, 0
	v_cmp_ne_u16_sdwa s[8:9], v12, v11 src0_sel:BYTE_3 src1_sel:DWORD
	s_andn2_b64 s[4:5], s[4:5], exec
	s_and_b64 s[8:9], s[8:9], exec
	s_or_b64 s[4:5], s[4:5], s[8:9]
	s_or_b64 exec, exec, s[6:7]
	s_and_saveexec_b64 s[6:7], s[4:5]
	s_cbranch_execnz .LBB13_863
	s_branch .LBB13_864
.LBB13_2913:
	s_movk_i32 s4, 0x80
	v_cmp_eq_u16_sdwa s[12:13], v17, s4 src0_sel:BYTE_0 src1_sel:DWORD
	s_mov_b64 s[4:5], -1
                                        ; implicit-def: $sgpr10
	s_and_saveexec_b64 s[8:9], s[12:13]
; %bb.2914:
	s_mov_b32 s10, 0x7f800001
	s_xor_b64 s[4:5], exec, -1
; %bb.2915:
	s_or_b64 exec, exec, s[8:9]
	s_and_b64 s[4:5], s[4:5], exec
	s_or_saveexec_b64 s[6:7], s[6:7]
	v_mov_b32_e32 v10, s10
	s_xor_b64 exec, exec, s[6:7]
	s_cbranch_execz .LBB13_866
.LBB13_2916:
	v_mov_b32_e32 v10, 0
	v_cmp_ne_u16_sdwa s[8:9], v17, v10 src0_sel:BYTE_0 src1_sel:DWORD
	s_andn2_b64 s[4:5], s[4:5], exec
	s_and_b64 s[8:9], s[8:9], exec
	s_or_b64 s[4:5], s[4:5], s[8:9]
	s_or_b64 exec, exec, s[6:7]
	s_and_saveexec_b64 s[6:7], s[4:5]
	s_cbranch_execnz .LBB13_867
	s_branch .LBB13_868
.LBB13_2917:
	s_movk_i32 s4, 0x80
	v_cmp_eq_u16_sdwa s[12:13], v13, s4 src0_sel:BYTE_0 src1_sel:DWORD
	s_mov_b64 s[4:5], -1
                                        ; implicit-def: $sgpr10
	s_and_saveexec_b64 s[8:9], s[12:13]
; %bb.2918:
	s_mov_b32 s10, 0x7f800001
	s_xor_b64 s[4:5], exec, -1
; %bb.2919:
	s_or_b64 exec, exec, s[8:9]
	s_and_b64 s[4:5], s[4:5], exec
	s_or_saveexec_b64 s[6:7], s[6:7]
	v_mov_b32_e32 v11, s10
	s_xor_b64 exec, exec, s[6:7]
	s_cbranch_execz .LBB13_870
.LBB13_2920:
	v_mov_b32_e32 v11, 0
	v_cmp_ne_u16_sdwa s[8:9], v13, v11 src0_sel:BYTE_0 src1_sel:DWORD
	s_andn2_b64 s[4:5], s[4:5], exec
	s_and_b64 s[8:9], s[8:9], exec
	s_or_b64 s[4:5], s[4:5], s[8:9]
	s_or_b64 exec, exec, s[6:7]
	s_and_saveexec_b64 s[6:7], s[4:5]
	s_cbranch_execnz .LBB13_871
	s_branch .LBB13_872
.LBB13_2921:
	s_movk_i32 s4, 0x80
	v_cmp_eq_u16_sdwa s[12:13], v11, s4 src0_sel:BYTE_0 src1_sel:DWORD
	s_mov_b64 s[4:5], -1
                                        ; implicit-def: $sgpr10
	s_and_saveexec_b64 s[8:9], s[12:13]
; %bb.2922:
	s_mov_b32 s10, 0x7f800001
	s_xor_b64 s[4:5], exec, -1
; %bb.2923:
	s_or_b64 exec, exec, s[8:9]
	s_and_b64 s[4:5], s[4:5], exec
	s_or_saveexec_b64 s[6:7], s[6:7]
	v_mov_b32_e32 v10, s10
	s_xor_b64 exec, exec, s[6:7]
	s_cbranch_execz .LBB13_874
.LBB13_2924:
	v_mov_b32_e32 v10, 0
	v_cmp_ne_u16_sdwa s[8:9], v11, v10 src0_sel:BYTE_0 src1_sel:DWORD
	s_andn2_b64 s[4:5], s[4:5], exec
	s_and_b64 s[8:9], s[8:9], exec
	s_or_b64 s[4:5], s[4:5], s[8:9]
	s_or_b64 exec, exec, s[6:7]
	s_and_saveexec_b64 s[6:7], s[4:5]
	s_cbranch_execnz .LBB13_875
	s_branch .LBB13_876
.LBB13_2925:
	s_movk_i32 s4, 0x80
	v_cmp_eq_u16_sdwa s[12:13], v11, s4 src0_sel:BYTE_0 src1_sel:DWORD
	s_mov_b64 s[4:5], -1
                                        ; implicit-def: $sgpr10
	s_and_saveexec_b64 s[8:9], s[12:13]
; %bb.2926:
	s_mov_b32 s10, 0x7f800001
	s_xor_b64 s[4:5], exec, -1
; %bb.2927:
	s_or_b64 exec, exec, s[8:9]
	s_and_b64 s[4:5], s[4:5], exec
	s_or_saveexec_b64 s[6:7], s[6:7]
	v_mov_b32_e32 v12, s10
	s_xor_b64 exec, exec, s[6:7]
	s_cbranch_execz .LBB13_878
.LBB13_2928:
	v_mov_b32_e32 v12, 0
	v_cmp_ne_u16_sdwa s[8:9], v11, v12 src0_sel:BYTE_0 src1_sel:DWORD
	s_andn2_b64 s[4:5], s[4:5], exec
	s_and_b64 s[8:9], s[8:9], exec
	s_or_b64 s[4:5], s[4:5], s[8:9]
	s_or_b64 exec, exec, s[6:7]
	s_and_saveexec_b64 s[6:7], s[4:5]
	s_cbranch_execnz .LBB13_879
	s_branch .LBB13_880
.LBB13_2929:
	s_movk_i32 s4, 0x80
	v_cmp_eq_u16_e32 vcc, s4, v11
	s_mov_b64 s[4:5], -1
                                        ; implicit-def: $sgpr10
	s_and_saveexec_b64 s[8:9], vcc
; %bb.2930:
	s_mov_b32 s10, 0x7f800001
	s_xor_b64 s[4:5], exec, -1
; %bb.2931:
	s_or_b64 exec, exec, s[8:9]
	s_and_b64 s[4:5], s[4:5], exec
                                        ; implicit-def: $vgpr11
	s_or_saveexec_b64 s[6:7], s[6:7]
	v_mov_b32_e32 v10, s10
	s_xor_b64 exec, exec, s[6:7]
	s_cbranch_execz .LBB13_882
.LBB13_2932:
	v_cmp_ne_u16_e32 vcc, 0, v11
	s_andn2_b64 s[4:5], s[4:5], exec
	s_and_b64 s[8:9], vcc, exec
	v_mov_b32_e32 v10, 0
	s_or_b64 s[4:5], s[4:5], s[8:9]
	s_or_b64 exec, exec, s[6:7]
	s_and_saveexec_b64 s[6:7], s[4:5]
	s_cbranch_execnz .LBB13_883
	s_branch .LBB13_884
.LBB13_2933:
	s_movk_i32 s4, 0x80
	v_cmp_eq_u16_e32 vcc, s4, v11
	s_mov_b64 s[4:5], -1
                                        ; implicit-def: $sgpr10
	s_and_saveexec_b64 s[8:9], vcc
; %bb.2934:
	s_mov_b32 s10, 0x7f800001
	s_xor_b64 s[4:5], exec, -1
; %bb.2935:
	s_or_b64 exec, exec, s[8:9]
	s_and_b64 s[4:5], s[4:5], exec
                                        ; implicit-def: $vgpr11
	s_or_saveexec_b64 s[6:7], s[6:7]
	v_mov_b32_e32 v12, s10
	s_xor_b64 exec, exec, s[6:7]
	s_cbranch_execz .LBB13_886
.LBB13_2936:
	v_cmp_ne_u16_e32 vcc, 0, v11
	s_andn2_b64 s[4:5], s[4:5], exec
	s_and_b64 s[8:9], vcc, exec
	v_mov_b32_e32 v12, 0
	s_or_b64 s[4:5], s[4:5], s[8:9]
	s_or_b64 exec, exec, s[6:7]
	s_and_saveexec_b64 s[6:7], s[4:5]
	s_cbranch_execnz .LBB13_887
	s_branch .LBB13_888
.LBB13_2937:
	s_movk_i32 s4, 0x80
	v_cmp_eq_u16_sdwa s[12:13], v17, s4 src0_sel:BYTE_3 src1_sel:DWORD
	s_mov_b64 s[4:5], -1
                                        ; implicit-def: $sgpr10
	s_and_saveexec_b64 s[8:9], s[12:13]
; %bb.2938:
	s_mov_b32 s10, 0x7f800001
	s_xor_b64 s[4:5], exec, -1
; %bb.2939:
	s_or_b64 exec, exec, s[8:9]
	s_and_b64 s[4:5], s[4:5], exec
	s_or_saveexec_b64 s[6:7], s[6:7]
	v_mov_b32_e32 v10, s10
	s_xor_b64 exec, exec, s[6:7]
	s_cbranch_execz .LBB13_890
.LBB13_2940:
	v_mov_b32_e32 v10, 0
	v_cmp_ne_u16_sdwa s[8:9], v17, v10 src0_sel:BYTE_3 src1_sel:DWORD
	s_andn2_b64 s[4:5], s[4:5], exec
	s_and_b64 s[8:9], s[8:9], exec
	s_or_b64 s[4:5], s[4:5], s[8:9]
	s_or_b64 exec, exec, s[6:7]
	s_and_saveexec_b64 s[6:7], s[4:5]
	s_cbranch_execnz .LBB13_891
	s_branch .LBB13_892
.LBB13_2941:
	s_movk_i32 s4, 0x80
	v_cmp_eq_u16_sdwa s[12:13], v13, s4 src0_sel:BYTE_3 src1_sel:DWORD
	s_mov_b64 s[4:5], -1
                                        ; implicit-def: $sgpr10
	s_and_saveexec_b64 s[8:9], s[12:13]
; %bb.2942:
	s_mov_b32 s10, 0x7f800001
	s_xor_b64 s[4:5], exec, -1
; %bb.2943:
	s_or_b64 exec, exec, s[8:9]
	s_and_b64 s[4:5], s[4:5], exec
	s_or_saveexec_b64 s[6:7], s[6:7]
	v_mov_b32_e32 v11, s10
	s_xor_b64 exec, exec, s[6:7]
	s_cbranch_execz .LBB13_894
.LBB13_2944:
	v_mov_b32_e32 v11, 0
	v_cmp_ne_u16_sdwa s[8:9], v13, v11 src0_sel:BYTE_3 src1_sel:DWORD
	s_andn2_b64 s[4:5], s[4:5], exec
	s_and_b64 s[8:9], s[8:9], exec
	s_or_b64 s[4:5], s[4:5], s[8:9]
	s_or_b64 exec, exec, s[6:7]
	s_and_saveexec_b64 s[6:7], s[4:5]
	s_cbranch_execnz .LBB13_895
	s_branch .LBB13_896
.LBB13_2945:
	s_movk_i32 s4, 0x80
	v_cmp_eq_u16_sdwa s[12:13], v6, s4 src0_sel:BYTE_0 src1_sel:DWORD
	s_mov_b64 s[4:5], -1
                                        ; implicit-def: $sgpr10
	s_and_saveexec_b64 s[8:9], s[12:13]
; %bb.2946:
	s_mov_b32 s10, 0x7f800001
	s_xor_b64 s[4:5], exec, -1
; %bb.2947:
	s_or_b64 exec, exec, s[8:9]
	s_and_b64 s[4:5], s[4:5], exec
	s_or_saveexec_b64 s[6:7], s[6:7]
	v_mov_b32_e32 v10, s10
	s_xor_b64 exec, exec, s[6:7]
	s_cbranch_execz .LBB13_898
.LBB13_2948:
	v_mov_b32_e32 v10, 0
	v_cmp_ne_u16_sdwa s[8:9], v6, v10 src0_sel:BYTE_0 src1_sel:DWORD
	s_andn2_b64 s[4:5], s[4:5], exec
	s_and_b64 s[8:9], s[8:9], exec
	s_or_b64 s[4:5], s[4:5], s[8:9]
	s_or_b64 exec, exec, s[6:7]
	s_and_saveexec_b64 s[6:7], s[4:5]
	s_cbranch_execnz .LBB13_899
	s_branch .LBB13_900
.LBB13_2949:
	s_movk_i32 s4, 0x80
	v_cmp_eq_u16_sdwa s[12:13], v2, s4 src0_sel:BYTE_0 src1_sel:DWORD
	s_mov_b64 s[4:5], -1
                                        ; implicit-def: $sgpr10
	s_and_saveexec_b64 s[8:9], s[12:13]
; %bb.2950:
	s_mov_b32 s10, 0x7f800001
	s_xor_b64 s[4:5], exec, -1
; %bb.2951:
	s_or_b64 exec, exec, s[8:9]
	s_and_b64 s[4:5], s[4:5], exec
	s_or_saveexec_b64 s[6:7], s[6:7]
	v_mov_b32_e32 v11, s10
	s_xor_b64 exec, exec, s[6:7]
	s_cbranch_execz .LBB13_902
.LBB13_2952:
	v_mov_b32_e32 v11, 0
	v_cmp_ne_u16_sdwa s[8:9], v2, v11 src0_sel:BYTE_0 src1_sel:DWORD
	s_andn2_b64 s[4:5], s[4:5], exec
	s_and_b64 s[8:9], s[8:9], exec
	s_or_b64 s[4:5], s[4:5], s[8:9]
	s_or_b64 exec, exec, s[6:7]
	s_and_saveexec_b64 s[6:7], s[4:5]
	s_cbranch_execnz .LBB13_903
	s_branch .LBB13_904
.LBB13_2953:
	s_movk_i32 s4, 0x80
	v_cmp_eq_u16_sdwa s[12:13], v11, s4 src0_sel:BYTE_0 src1_sel:DWORD
	s_mov_b64 s[4:5], -1
                                        ; implicit-def: $sgpr10
	s_and_saveexec_b64 s[8:9], s[12:13]
; %bb.2954:
	s_mov_b32 s10, 0x7f800001
	s_xor_b64 s[4:5], exec, -1
; %bb.2955:
	s_or_b64 exec, exec, s[8:9]
	s_and_b64 s[4:5], s[4:5], exec
	s_or_saveexec_b64 s[6:7], s[6:7]
	v_mov_b32_e32 v10, s10
	s_xor_b64 exec, exec, s[6:7]
	s_cbranch_execz .LBB13_906
.LBB13_2956:
	v_mov_b32_e32 v10, 0
	v_cmp_ne_u16_sdwa s[8:9], v11, v10 src0_sel:BYTE_0 src1_sel:DWORD
	s_andn2_b64 s[4:5], s[4:5], exec
	s_and_b64 s[8:9], s[8:9], exec
	s_or_b64 s[4:5], s[4:5], s[8:9]
	s_or_b64 exec, exec, s[6:7]
	s_and_saveexec_b64 s[6:7], s[4:5]
	s_cbranch_execnz .LBB13_907
	s_branch .LBB13_908
.LBB13_2957:
	s_movk_i32 s4, 0x80
	v_cmp_eq_u16_sdwa s[12:13], v11, s4 src0_sel:BYTE_0 src1_sel:DWORD
	s_mov_b64 s[4:5], -1
                                        ; implicit-def: $sgpr10
	s_and_saveexec_b64 s[8:9], s[12:13]
; %bb.2958:
	s_mov_b32 s10, 0x7f800001
	s_xor_b64 s[4:5], exec, -1
; %bb.2959:
	s_or_b64 exec, exec, s[8:9]
	s_and_b64 s[4:5], s[4:5], exec
	s_or_saveexec_b64 s[6:7], s[6:7]
	v_mov_b32_e32 v12, s10
	s_xor_b64 exec, exec, s[6:7]
	s_cbranch_execz .LBB13_910
.LBB13_2960:
	v_mov_b32_e32 v12, 0
	v_cmp_ne_u16_sdwa s[8:9], v11, v12 src0_sel:BYTE_0 src1_sel:DWORD
	s_andn2_b64 s[4:5], s[4:5], exec
	s_and_b64 s[8:9], s[8:9], exec
	s_or_b64 s[4:5], s[4:5], s[8:9]
	s_or_b64 exec, exec, s[6:7]
	s_and_saveexec_b64 s[6:7], s[4:5]
	s_cbranch_execnz .LBB13_911
	s_branch .LBB13_912
.LBB13_2961:
	s_movk_i32 s4, 0x80
	v_cmp_eq_u16_e32 vcc, s4, v11
	s_mov_b64 s[4:5], -1
                                        ; implicit-def: $sgpr10
	s_and_saveexec_b64 s[8:9], vcc
; %bb.2962:
	s_mov_b32 s10, 0x7f800001
	s_xor_b64 s[4:5], exec, -1
; %bb.2963:
	s_or_b64 exec, exec, s[8:9]
	s_and_b64 s[4:5], s[4:5], exec
                                        ; implicit-def: $vgpr11
	s_or_saveexec_b64 s[6:7], s[6:7]
	v_mov_b32_e32 v10, s10
	s_xor_b64 exec, exec, s[6:7]
	s_cbranch_execz .LBB13_914
.LBB13_2964:
	v_cmp_ne_u16_e32 vcc, 0, v11
	s_andn2_b64 s[4:5], s[4:5], exec
	s_and_b64 s[8:9], vcc, exec
	v_mov_b32_e32 v10, 0
	s_or_b64 s[4:5], s[4:5], s[8:9]
	s_or_b64 exec, exec, s[6:7]
	s_and_saveexec_b64 s[6:7], s[4:5]
	s_cbranch_execnz .LBB13_915
	s_branch .LBB13_916
.LBB13_2965:
	s_movk_i32 s4, 0x80
	v_cmp_eq_u16_e32 vcc, s4, v11
	s_mov_b64 s[4:5], -1
                                        ; implicit-def: $sgpr10
	s_and_saveexec_b64 s[8:9], vcc
; %bb.2966:
	s_mov_b32 s10, 0x7f800001
	s_xor_b64 s[4:5], exec, -1
; %bb.2967:
	s_or_b64 exec, exec, s[8:9]
	s_and_b64 s[4:5], s[4:5], exec
                                        ; implicit-def: $vgpr11
	s_or_saveexec_b64 s[6:7], s[6:7]
	v_mov_b32_e32 v12, s10
	s_xor_b64 exec, exec, s[6:7]
	s_cbranch_execz .LBB13_918
.LBB13_2968:
	v_cmp_ne_u16_e32 vcc, 0, v11
	s_andn2_b64 s[4:5], s[4:5], exec
	s_and_b64 s[8:9], vcc, exec
	v_mov_b32_e32 v12, 0
	s_or_b64 s[4:5], s[4:5], s[8:9]
	s_or_b64 exec, exec, s[6:7]
	s_and_saveexec_b64 s[6:7], s[4:5]
	s_cbranch_execnz .LBB13_919
	s_branch .LBB13_920
.LBB13_2969:
	s_movk_i32 s4, 0x80
	v_cmp_eq_u16_sdwa s[12:13], v6, s4 src0_sel:BYTE_3 src1_sel:DWORD
	s_mov_b64 s[4:5], -1
                                        ; implicit-def: $sgpr10
	s_and_saveexec_b64 s[8:9], s[12:13]
; %bb.2970:
	s_mov_b32 s10, 0x7f800001
	s_xor_b64 s[4:5], exec, -1
; %bb.2971:
	s_or_b64 exec, exec, s[8:9]
	s_and_b64 s[4:5], s[4:5], exec
	s_or_saveexec_b64 s[6:7], s[6:7]
	v_mov_b32_e32 v10, s10
	s_xor_b64 exec, exec, s[6:7]
	s_cbranch_execz .LBB13_922
.LBB13_2972:
	v_mov_b32_e32 v10, 0
	v_cmp_ne_u16_sdwa s[8:9], v6, v10 src0_sel:BYTE_3 src1_sel:DWORD
	s_andn2_b64 s[4:5], s[4:5], exec
	s_and_b64 s[8:9], s[8:9], exec
	s_or_b64 s[4:5], s[4:5], s[8:9]
	s_or_b64 exec, exec, s[6:7]
	s_and_saveexec_b64 s[6:7], s[4:5]
	s_cbranch_execnz .LBB13_923
	s_branch .LBB13_924
.LBB13_2973:
	s_movk_i32 s4, 0x80
	v_cmp_eq_u16_sdwa s[12:13], v2, s4 src0_sel:BYTE_3 src1_sel:DWORD
	s_mov_b64 s[4:5], -1
                                        ; implicit-def: $sgpr10
	s_and_saveexec_b64 s[8:9], s[12:13]
; %bb.2974:
	s_mov_b32 s10, 0x7f800001
	s_xor_b64 s[4:5], exec, -1
; %bb.2975:
	s_or_b64 exec, exec, s[8:9]
	s_and_b64 s[4:5], s[4:5], exec
	s_or_saveexec_b64 s[6:7], s[6:7]
	v_mov_b32_e32 v6, s10
	s_xor_b64 exec, exec, s[6:7]
	s_cbranch_execz .LBB13_926
.LBB13_2976:
	v_mov_b32_e32 v6, 0
	v_cmp_ne_u16_sdwa s[8:9], v2, v6 src0_sel:BYTE_3 src1_sel:DWORD
	s_andn2_b64 s[4:5], s[4:5], exec
	s_and_b64 s[8:9], s[8:9], exec
	s_or_b64 s[4:5], s[4:5], s[8:9]
	s_or_b64 exec, exec, s[6:7]
	s_and_saveexec_b64 s[6:7], s[4:5]
	s_cbranch_execnz .LBB13_927
	s_branch .LBB13_928
.LBB13_2977:
	s_movk_i32 s4, 0x80
	v_cmp_eq_u16_sdwa s[12:13], v7, s4 src0_sel:BYTE_0 src1_sel:DWORD
	s_mov_b64 s[4:5], -1
                                        ; implicit-def: $sgpr10
	s_and_saveexec_b64 s[8:9], s[12:13]
; %bb.2978:
	s_mov_b32 s10, 0x7f800001
	s_xor_b64 s[4:5], exec, -1
; %bb.2979:
	s_or_b64 exec, exec, s[8:9]
	s_and_b64 s[4:5], s[4:5], exec
	s_or_saveexec_b64 s[6:7], s[6:7]
	v_mov_b32_e32 v2, s10
	s_xor_b64 exec, exec, s[6:7]
	s_cbranch_execz .LBB13_930
.LBB13_2980:
	v_mov_b32_e32 v2, 0
	v_cmp_ne_u16_sdwa s[8:9], v7, v2 src0_sel:BYTE_0 src1_sel:DWORD
	s_andn2_b64 s[4:5], s[4:5], exec
	s_and_b64 s[8:9], s[8:9], exec
	s_or_b64 s[4:5], s[4:5], s[8:9]
	s_or_b64 exec, exec, s[6:7]
	s_and_saveexec_b64 s[6:7], s[4:5]
	s_cbranch_execnz .LBB13_931
	s_branch .LBB13_932
.LBB13_2981:
	s_movk_i32 s4, 0x80
	v_cmp_eq_u16_sdwa s[12:13], v3, s4 src0_sel:BYTE_0 src1_sel:DWORD
	s_mov_b64 s[4:5], -1
                                        ; implicit-def: $sgpr10
	s_and_saveexec_b64 s[8:9], s[12:13]
; %bb.2982:
	s_mov_b32 s10, 0x7f800001
	s_xor_b64 s[4:5], exec, -1
; %bb.2983:
	s_or_b64 exec, exec, s[8:9]
	s_and_b64 s[4:5], s[4:5], exec
	s_or_saveexec_b64 s[6:7], s[6:7]
	v_mov_b32_e32 v6, s10
	s_xor_b64 exec, exec, s[6:7]
	s_cbranch_execz .LBB13_934
.LBB13_2984:
	v_mov_b32_e32 v6, 0
	v_cmp_ne_u16_sdwa s[8:9], v3, v6 src0_sel:BYTE_0 src1_sel:DWORD
	s_andn2_b64 s[4:5], s[4:5], exec
	s_and_b64 s[8:9], s[8:9], exec
	s_or_b64 s[4:5], s[4:5], s[8:9]
	s_or_b64 exec, exec, s[6:7]
	s_and_saveexec_b64 s[6:7], s[4:5]
	s_cbranch_execnz .LBB13_935
	s_branch .LBB13_936
.LBB13_2985:
	s_movk_i32 s4, 0x80
	v_cmp_eq_u16_sdwa s[12:13], v6, s4 src0_sel:BYTE_0 src1_sel:DWORD
	s_mov_b64 s[4:5], -1
                                        ; implicit-def: $sgpr10
	s_and_saveexec_b64 s[8:9], s[12:13]
; %bb.2986:
	s_mov_b32 s10, 0x7f800001
	s_xor_b64 s[4:5], exec, -1
; %bb.2987:
	s_or_b64 exec, exec, s[8:9]
	s_and_b64 s[4:5], s[4:5], exec
	s_or_saveexec_b64 s[6:7], s[6:7]
	v_mov_b32_e32 v2, s10
	s_xor_b64 exec, exec, s[6:7]
	s_cbranch_execz .LBB13_938
.LBB13_2988:
	v_mov_b32_e32 v2, 0
	v_cmp_ne_u16_sdwa s[8:9], v6, v2 src0_sel:BYTE_0 src1_sel:DWORD
	s_andn2_b64 s[4:5], s[4:5], exec
	s_and_b64 s[8:9], s[8:9], exec
	s_or_b64 s[4:5], s[4:5], s[8:9]
	s_or_b64 exec, exec, s[6:7]
	s_and_saveexec_b64 s[6:7], s[4:5]
	s_cbranch_execnz .LBB13_939
	s_branch .LBB13_940
.LBB13_2989:
	s_movk_i32 s4, 0x80
	v_cmp_eq_u16_sdwa s[12:13], v6, s4 src0_sel:BYTE_0 src1_sel:DWORD
	s_mov_b64 s[4:5], -1
                                        ; implicit-def: $sgpr10
	s_and_saveexec_b64 s[8:9], s[12:13]
; %bb.2990:
	s_mov_b32 s10, 0x7f800001
	s_xor_b64 s[4:5], exec, -1
; %bb.2991:
	s_or_b64 exec, exec, s[8:9]
	s_and_b64 s[4:5], s[4:5], exec
	s_or_saveexec_b64 s[6:7], s[6:7]
	v_mov_b32_e32 v10, s10
	s_xor_b64 exec, exec, s[6:7]
	s_cbranch_execz .LBB13_942
.LBB13_2992:
	v_mov_b32_e32 v10, 0
	v_cmp_ne_u16_sdwa s[8:9], v6, v10 src0_sel:BYTE_0 src1_sel:DWORD
	s_andn2_b64 s[4:5], s[4:5], exec
	s_and_b64 s[8:9], s[8:9], exec
	s_or_b64 s[4:5], s[4:5], s[8:9]
	s_or_b64 exec, exec, s[6:7]
	s_and_saveexec_b64 s[6:7], s[4:5]
	s_cbranch_execnz .LBB13_943
	s_branch .LBB13_944
.LBB13_2993:
	s_movk_i32 s4, 0x80
	v_cmp_eq_u16_e32 vcc, s4, v6
	s_mov_b64 s[4:5], -1
                                        ; implicit-def: $sgpr10
	s_and_saveexec_b64 s[8:9], vcc
; %bb.2994:
	s_mov_b32 s10, 0x7f800001
	s_xor_b64 s[4:5], exec, -1
; %bb.2995:
	s_or_b64 exec, exec, s[8:9]
	s_and_b64 s[4:5], s[4:5], exec
                                        ; implicit-def: $vgpr6
	s_or_saveexec_b64 s[6:7], s[6:7]
	v_mov_b32_e32 v2, s10
	s_xor_b64 exec, exec, s[6:7]
	s_cbranch_execz .LBB13_946
.LBB13_2996:
	v_cmp_ne_u16_e32 vcc, 0, v6
	s_andn2_b64 s[4:5], s[4:5], exec
	s_and_b64 s[8:9], vcc, exec
	v_mov_b32_e32 v2, 0
	s_or_b64 s[4:5], s[4:5], s[8:9]
	s_or_b64 exec, exec, s[6:7]
	s_and_saveexec_b64 s[6:7], s[4:5]
	s_cbranch_execnz .LBB13_947
	s_branch .LBB13_948
.LBB13_2997:
	s_movk_i32 s4, 0x80
	v_cmp_eq_u16_e32 vcc, s4, v6
	s_mov_b64 s[4:5], -1
                                        ; implicit-def: $sgpr10
	s_and_saveexec_b64 s[8:9], vcc
; %bb.2998:
	s_mov_b32 s10, 0x7f800001
	s_xor_b64 s[4:5], exec, -1
; %bb.2999:
	s_or_b64 exec, exec, s[8:9]
	s_and_b64 s[4:5], s[4:5], exec
                                        ; implicit-def: $vgpr6
	s_or_saveexec_b64 s[6:7], s[6:7]
	v_mov_b32_e32 v10, s10
	s_xor_b64 exec, exec, s[6:7]
	s_cbranch_execz .LBB13_950
.LBB13_3000:
	v_cmp_ne_u16_e32 vcc, 0, v6
	s_andn2_b64 s[4:5], s[4:5], exec
	s_and_b64 s[8:9], vcc, exec
	v_mov_b32_e32 v10, 0
	s_or_b64 s[4:5], s[4:5], s[8:9]
	s_or_b64 exec, exec, s[6:7]
	s_and_saveexec_b64 s[6:7], s[4:5]
	s_cbranch_execnz .LBB13_951
	s_branch .LBB13_952
.LBB13_3001:
	s_movk_i32 s4, 0x80
	v_cmp_eq_u16_sdwa s[12:13], v7, s4 src0_sel:BYTE_3 src1_sel:DWORD
	s_mov_b64 s[4:5], -1
                                        ; implicit-def: $sgpr10
	s_and_saveexec_b64 s[8:9], s[12:13]
; %bb.3002:
	s_mov_b32 s10, 0x7f800001
	s_xor_b64 s[4:5], exec, -1
; %bb.3003:
	s_or_b64 exec, exec, s[8:9]
	s_and_b64 s[4:5], s[4:5], exec
	s_or_saveexec_b64 s[6:7], s[6:7]
	v_mov_b32_e32 v2, s10
	s_xor_b64 exec, exec, s[6:7]
	s_cbranch_execz .LBB13_954
.LBB13_3004:
	v_mov_b32_e32 v2, 0
	v_cmp_ne_u16_sdwa s[8:9], v7, v2 src0_sel:BYTE_3 src1_sel:DWORD
	s_andn2_b64 s[4:5], s[4:5], exec
	s_and_b64 s[8:9], s[8:9], exec
	s_or_b64 s[4:5], s[4:5], s[8:9]
	s_or_b64 exec, exec, s[6:7]
	s_and_saveexec_b64 s[6:7], s[4:5]
	s_cbranch_execnz .LBB13_955
	s_branch .LBB13_956
.LBB13_3005:
	s_movk_i32 s4, 0x80
	v_cmp_eq_u16_sdwa s[12:13], v3, s4 src0_sel:BYTE_3 src1_sel:DWORD
	s_mov_b64 s[4:5], -1
                                        ; implicit-def: $sgpr10
	s_and_saveexec_b64 s[8:9], s[12:13]
; %bb.3006:
	s_mov_b32 s10, 0x7f800001
	s_xor_b64 s[4:5], exec, -1
; %bb.3007:
	s_or_b64 exec, exec, s[8:9]
	s_and_b64 s[4:5], s[4:5], exec
	s_or_saveexec_b64 s[6:7], s[6:7]
	v_mov_b32_e32 v6, s10
	s_xor_b64 exec, exec, s[6:7]
	s_cbranch_execz .LBB13_958
.LBB13_3008:
	v_mov_b32_e32 v6, 0
	v_cmp_ne_u16_sdwa s[8:9], v3, v6 src0_sel:BYTE_3 src1_sel:DWORD
	s_andn2_b64 s[4:5], s[4:5], exec
	s_and_b64 s[8:9], s[8:9], exec
	s_or_b64 s[4:5], s[4:5], s[8:9]
	s_or_b64 exec, exec, s[6:7]
	s_and_saveexec_b64 s[6:7], s[4:5]
	s_cbranch_execnz .LBB13_959
	s_branch .LBB13_960
.LBB13_3009:
	s_movk_i32 s4, 0x80
	v_cmp_eq_u16_sdwa s[12:13], v8, s4 src0_sel:BYTE_0 src1_sel:DWORD
	s_mov_b64 s[4:5], -1
                                        ; implicit-def: $sgpr10
	s_and_saveexec_b64 s[8:9], s[12:13]
; %bb.3010:
	s_mov_b32 s10, 0x7f800001
	s_xor_b64 s[4:5], exec, -1
; %bb.3011:
	s_or_b64 exec, exec, s[8:9]
	s_and_b64 s[4:5], s[4:5], exec
	s_or_saveexec_b64 s[6:7], s[6:7]
	v_mov_b32_e32 v2, s10
	s_xor_b64 exec, exec, s[6:7]
	s_cbranch_execz .LBB13_962
.LBB13_3012:
	v_mov_b32_e32 v2, 0
	v_cmp_ne_u16_sdwa s[8:9], v8, v2 src0_sel:BYTE_0 src1_sel:DWORD
	s_andn2_b64 s[4:5], s[4:5], exec
	s_and_b64 s[8:9], s[8:9], exec
	s_or_b64 s[4:5], s[4:5], s[8:9]
	s_or_b64 exec, exec, s[6:7]
	s_and_saveexec_b64 s[6:7], s[4:5]
	s_cbranch_execnz .LBB13_963
	s_branch .LBB13_964
.LBB13_3013:
	s_movk_i32 s4, 0x80
	v_cmp_eq_u16_sdwa s[12:13], v4, s4 src0_sel:BYTE_0 src1_sel:DWORD
	s_mov_b64 s[4:5], -1
                                        ; implicit-def: $sgpr10
	s_and_saveexec_b64 s[8:9], s[12:13]
; %bb.3014:
	s_mov_b32 s10, 0x7f800001
	s_xor_b64 s[4:5], exec, -1
; %bb.3015:
	s_or_b64 exec, exec, s[8:9]
	s_and_b64 s[4:5], s[4:5], exec
	s_or_saveexec_b64 s[6:7], s[6:7]
	v_mov_b32_e32 v3, s10
	s_xor_b64 exec, exec, s[6:7]
	s_cbranch_execz .LBB13_966
.LBB13_3016:
	v_mov_b32_e32 v3, 0
	v_cmp_ne_u16_sdwa s[8:9], v4, v3 src0_sel:BYTE_0 src1_sel:DWORD
	s_andn2_b64 s[4:5], s[4:5], exec
	s_and_b64 s[8:9], s[8:9], exec
	s_or_b64 s[4:5], s[4:5], s[8:9]
	s_or_b64 exec, exec, s[6:7]
	s_and_saveexec_b64 s[6:7], s[4:5]
	s_cbranch_execnz .LBB13_967
	s_branch .LBB13_968
.LBB13_3017:
	s_movk_i32 s4, 0x80
	v_cmp_eq_u16_sdwa s[12:13], v3, s4 src0_sel:BYTE_0 src1_sel:DWORD
	s_mov_b64 s[4:5], -1
                                        ; implicit-def: $sgpr10
	s_and_saveexec_b64 s[8:9], s[12:13]
; %bb.3018:
	s_mov_b32 s10, 0x7f800001
	s_xor_b64 s[4:5], exec, -1
; %bb.3019:
	s_or_b64 exec, exec, s[8:9]
	s_and_b64 s[4:5], s[4:5], exec
	s_or_saveexec_b64 s[6:7], s[6:7]
	v_mov_b32_e32 v2, s10
	s_xor_b64 exec, exec, s[6:7]
	s_cbranch_execz .LBB13_970
.LBB13_3020:
	v_mov_b32_e32 v2, 0
	v_cmp_ne_u16_sdwa s[8:9], v3, v2 src0_sel:BYTE_0 src1_sel:DWORD
	s_andn2_b64 s[4:5], s[4:5], exec
	s_and_b64 s[8:9], s[8:9], exec
	s_or_b64 s[4:5], s[4:5], s[8:9]
	s_or_b64 exec, exec, s[6:7]
	s_and_saveexec_b64 s[6:7], s[4:5]
	s_cbranch_execnz .LBB13_971
	s_branch .LBB13_972
.LBB13_3021:
	s_movk_i32 s4, 0x80
	v_cmp_eq_u16_sdwa s[12:13], v3, s4 src0_sel:BYTE_0 src1_sel:DWORD
	s_mov_b64 s[4:5], -1
                                        ; implicit-def: $sgpr10
	s_and_saveexec_b64 s[8:9], s[12:13]
; %bb.3022:
	s_mov_b32 s10, 0x7f800001
	s_xor_b64 s[4:5], exec, -1
; %bb.3023:
	s_or_b64 exec, exec, s[8:9]
	s_and_b64 s[4:5], s[4:5], exec
	s_or_saveexec_b64 s[6:7], s[6:7]
	v_mov_b32_e32 v6, s10
	s_xor_b64 exec, exec, s[6:7]
	s_cbranch_execz .LBB13_974
.LBB13_3024:
	v_mov_b32_e32 v6, 0
	v_cmp_ne_u16_sdwa s[8:9], v3, v6 src0_sel:BYTE_0 src1_sel:DWORD
	s_andn2_b64 s[4:5], s[4:5], exec
	s_and_b64 s[8:9], s[8:9], exec
	s_or_b64 s[4:5], s[4:5], s[8:9]
	s_or_b64 exec, exec, s[6:7]
	s_and_saveexec_b64 s[6:7], s[4:5]
	s_cbranch_execnz .LBB13_975
	s_branch .LBB13_976
.LBB13_3025:
	s_movk_i32 s4, 0x80
	v_cmp_eq_u16_e32 vcc, s4, v3
	s_mov_b64 s[4:5], -1
                                        ; implicit-def: $sgpr10
	s_and_saveexec_b64 s[8:9], vcc
; %bb.3026:
	s_mov_b32 s10, 0x7f800001
	s_xor_b64 s[4:5], exec, -1
; %bb.3027:
	s_or_b64 exec, exec, s[8:9]
	s_and_b64 s[4:5], s[4:5], exec
                                        ; implicit-def: $vgpr3
	s_or_saveexec_b64 s[6:7], s[6:7]
	v_mov_b32_e32 v2, s10
	s_xor_b64 exec, exec, s[6:7]
	s_cbranch_execz .LBB13_978
.LBB13_3028:
	v_cmp_ne_u16_e32 vcc, 0, v3
	s_andn2_b64 s[4:5], s[4:5], exec
	s_and_b64 s[8:9], vcc, exec
	v_mov_b32_e32 v2, 0
	s_or_b64 s[4:5], s[4:5], s[8:9]
	s_or_b64 exec, exec, s[6:7]
	s_and_saveexec_b64 s[6:7], s[4:5]
	s_cbranch_execnz .LBB13_979
	s_branch .LBB13_980
.LBB13_3029:
	s_movk_i32 s4, 0x80
	v_cmp_eq_u16_e32 vcc, s4, v3
	s_mov_b64 s[4:5], -1
                                        ; implicit-def: $sgpr10
	s_and_saveexec_b64 s[8:9], vcc
; %bb.3030:
	s_mov_b32 s10, 0x7f800001
	s_xor_b64 s[4:5], exec, -1
; %bb.3031:
	s_or_b64 exec, exec, s[8:9]
	s_and_b64 s[4:5], s[4:5], exec
                                        ; implicit-def: $vgpr3
	s_or_saveexec_b64 s[6:7], s[6:7]
	v_mov_b32_e32 v6, s10
	s_xor_b64 exec, exec, s[6:7]
	s_cbranch_execz .LBB13_982
.LBB13_3032:
	v_cmp_ne_u16_e32 vcc, 0, v3
	s_andn2_b64 s[4:5], s[4:5], exec
	s_and_b64 s[8:9], vcc, exec
	v_mov_b32_e32 v6, 0
	s_or_b64 s[4:5], s[4:5], s[8:9]
	s_or_b64 exec, exec, s[6:7]
	s_and_saveexec_b64 s[6:7], s[4:5]
	s_cbranch_execnz .LBB13_983
	s_branch .LBB13_984
.LBB13_3033:
	s_movk_i32 s4, 0x80
	v_cmp_eq_u16_sdwa s[12:13], v8, s4 src0_sel:BYTE_3 src1_sel:DWORD
	s_mov_b64 s[4:5], -1
                                        ; implicit-def: $sgpr10
	s_and_saveexec_b64 s[8:9], s[12:13]
; %bb.3034:
	s_mov_b32 s10, 0x7f800001
	s_xor_b64 s[4:5], exec, -1
; %bb.3035:
	s_or_b64 exec, exec, s[8:9]
	s_and_b64 s[4:5], s[4:5], exec
	s_or_saveexec_b64 s[6:7], s[6:7]
	v_mov_b32_e32 v2, s10
	s_xor_b64 exec, exec, s[6:7]
	s_cbranch_execz .LBB13_986
.LBB13_3036:
	v_mov_b32_e32 v2, 0
	v_cmp_ne_u16_sdwa s[8:9], v8, v2 src0_sel:BYTE_3 src1_sel:DWORD
	s_andn2_b64 s[4:5], s[4:5], exec
	s_and_b64 s[8:9], s[8:9], exec
	s_or_b64 s[4:5], s[4:5], s[8:9]
	s_or_b64 exec, exec, s[6:7]
	s_and_saveexec_b64 s[6:7], s[4:5]
	s_cbranch_execnz .LBB13_987
	s_branch .LBB13_988
.LBB13_3037:
	s_movk_i32 s4, 0x80
	v_cmp_eq_u16_sdwa s[12:13], v4, s4 src0_sel:BYTE_3 src1_sel:DWORD
	s_mov_b64 s[4:5], -1
                                        ; implicit-def: $sgpr10
	s_and_saveexec_b64 s[8:9], s[12:13]
; %bb.3038:
	s_mov_b32 s10, 0x7f800001
	s_xor_b64 s[4:5], exec, -1
; %bb.3039:
	s_or_b64 exec, exec, s[8:9]
	s_and_b64 s[4:5], s[4:5], exec
	s_or_saveexec_b64 s[6:7], s[6:7]
	v_mov_b32_e32 v3, s10
	s_xor_b64 exec, exec, s[6:7]
	s_cbranch_execz .LBB13_990
.LBB13_3040:
	v_mov_b32_e32 v3, 0
	v_cmp_ne_u16_sdwa s[8:9], v4, v3 src0_sel:BYTE_3 src1_sel:DWORD
	s_andn2_b64 s[4:5], s[4:5], exec
	s_and_b64 s[8:9], s[8:9], exec
	s_or_b64 s[4:5], s[4:5], s[8:9]
	s_or_b64 exec, exec, s[6:7]
	s_and_saveexec_b64 s[6:7], s[4:5]
	s_cbranch_execnz .LBB13_991
	s_branch .LBB13_992
.LBB13_3041:
	s_movk_i32 s4, 0x80
	v_cmp_eq_u16_sdwa s[12:13], v9, s4 src0_sel:BYTE_0 src1_sel:DWORD
	s_mov_b64 s[4:5], -1
                                        ; implicit-def: $sgpr10
	s_and_saveexec_b64 s[8:9], s[12:13]
; %bb.3042:
	s_mov_b32 s10, 0x7f800001
	s_xor_b64 s[4:5], exec, -1
; %bb.3043:
	s_or_b64 exec, exec, s[8:9]
	s_and_b64 s[4:5], s[4:5], exec
	s_or_saveexec_b64 s[6:7], s[6:7]
	v_mov_b32_e32 v2, s10
	s_xor_b64 exec, exec, s[6:7]
	s_cbranch_execz .LBB13_994
.LBB13_3044:
	v_mov_b32_e32 v2, 0
	v_cmp_ne_u16_sdwa s[8:9], v9, v2 src0_sel:BYTE_0 src1_sel:DWORD
	s_andn2_b64 s[4:5], s[4:5], exec
	s_and_b64 s[8:9], s[8:9], exec
	s_or_b64 s[4:5], s[4:5], s[8:9]
	s_or_b64 exec, exec, s[6:7]
	s_and_saveexec_b64 s[6:7], s[4:5]
	s_cbranch_execnz .LBB13_995
	s_branch .LBB13_996
.LBB13_3045:
	s_movk_i32 s4, 0x80
	v_cmp_eq_u16_sdwa s[12:13], v5, s4 src0_sel:BYTE_0 src1_sel:DWORD
	s_mov_b64 s[4:5], -1
                                        ; implicit-def: $sgpr10
	s_and_saveexec_b64 s[8:9], s[12:13]
; %bb.3046:
	s_mov_b32 s10, 0x7f800001
	s_xor_b64 s[4:5], exec, -1
; %bb.3047:
	s_or_b64 exec, exec, s[8:9]
	s_and_b64 s[4:5], s[4:5], exec
	s_or_saveexec_b64 s[6:7], s[6:7]
	v_mov_b32_e32 v3, s10
	s_xor_b64 exec, exec, s[6:7]
	s_cbranch_execz .LBB13_998
.LBB13_3048:
	v_mov_b32_e32 v3, 0
	v_cmp_ne_u16_sdwa s[8:9], v5, v3 src0_sel:BYTE_0 src1_sel:DWORD
	s_andn2_b64 s[4:5], s[4:5], exec
	s_and_b64 s[8:9], s[8:9], exec
	s_or_b64 s[4:5], s[4:5], s[8:9]
	s_or_b64 exec, exec, s[6:7]
	s_and_saveexec_b64 s[6:7], s[4:5]
	s_cbranch_execnz .LBB13_999
	s_branch .LBB13_1000
.LBB13_3049:
	s_movk_i32 s4, 0x80
	v_cmp_eq_u16_sdwa s[12:13], v3, s4 src0_sel:BYTE_0 src1_sel:DWORD
	s_mov_b64 s[4:5], -1
                                        ; implicit-def: $sgpr10
	s_and_saveexec_b64 s[8:9], s[12:13]
; %bb.3050:
	s_mov_b32 s10, 0x7f800001
	s_xor_b64 s[4:5], exec, -1
; %bb.3051:
	s_or_b64 exec, exec, s[8:9]
	s_and_b64 s[4:5], s[4:5], exec
	s_or_saveexec_b64 s[6:7], s[6:7]
	v_mov_b32_e32 v2, s10
	s_xor_b64 exec, exec, s[6:7]
	s_cbranch_execz .LBB13_1002
.LBB13_3052:
	v_mov_b32_e32 v2, 0
	v_cmp_ne_u16_sdwa s[8:9], v3, v2 src0_sel:BYTE_0 src1_sel:DWORD
	s_andn2_b64 s[4:5], s[4:5], exec
	s_and_b64 s[8:9], s[8:9], exec
	s_or_b64 s[4:5], s[4:5], s[8:9]
	s_or_b64 exec, exec, s[6:7]
	s_and_saveexec_b64 s[6:7], s[4:5]
	s_cbranch_execnz .LBB13_1003
	s_branch .LBB13_1004
.LBB13_3053:
	s_movk_i32 s4, 0x80
	v_cmp_eq_u16_sdwa s[12:13], v3, s4 src0_sel:BYTE_0 src1_sel:DWORD
	s_mov_b64 s[4:5], -1
                                        ; implicit-def: $sgpr10
	s_and_saveexec_b64 s[8:9], s[12:13]
; %bb.3054:
	s_mov_b32 s10, 0x7f800001
	s_xor_b64 s[4:5], exec, -1
; %bb.3055:
	s_or_b64 exec, exec, s[8:9]
	s_and_b64 s[4:5], s[4:5], exec
	s_or_saveexec_b64 s[6:7], s[6:7]
	v_mov_b32_e32 v4, s10
	s_xor_b64 exec, exec, s[6:7]
	s_cbranch_execz .LBB13_1006
.LBB13_3056:
	v_mov_b32_e32 v4, 0
	v_cmp_ne_u16_sdwa s[8:9], v3, v4 src0_sel:BYTE_0 src1_sel:DWORD
	s_andn2_b64 s[4:5], s[4:5], exec
	s_and_b64 s[8:9], s[8:9], exec
	s_or_b64 s[4:5], s[4:5], s[8:9]
	s_or_b64 exec, exec, s[6:7]
	s_and_saveexec_b64 s[6:7], s[4:5]
	s_cbranch_execnz .LBB13_1007
	s_branch .LBB13_1008
.LBB13_3057:
	s_movk_i32 s4, 0x80
	v_cmp_eq_u16_e32 vcc, s4, v3
	s_mov_b64 s[4:5], -1
                                        ; implicit-def: $sgpr10
	s_and_saveexec_b64 s[8:9], vcc
; %bb.3058:
	s_mov_b32 s10, 0x7f800001
	s_xor_b64 s[4:5], exec, -1
; %bb.3059:
	s_or_b64 exec, exec, s[8:9]
	s_and_b64 s[4:5], s[4:5], exec
                                        ; implicit-def: $vgpr3
	s_or_saveexec_b64 s[6:7], s[6:7]
	v_mov_b32_e32 v2, s10
	s_xor_b64 exec, exec, s[6:7]
	s_cbranch_execz .LBB13_1010
.LBB13_3060:
	v_cmp_ne_u16_e32 vcc, 0, v3
	s_andn2_b64 s[4:5], s[4:5], exec
	s_and_b64 s[8:9], vcc, exec
	v_mov_b32_e32 v2, 0
	s_or_b64 s[4:5], s[4:5], s[8:9]
	s_or_b64 exec, exec, s[6:7]
	s_and_saveexec_b64 s[6:7], s[4:5]
	s_cbranch_execnz .LBB13_1011
	s_branch .LBB13_1012
.LBB13_3061:
	s_movk_i32 s4, 0x80
	v_cmp_eq_u16_e32 vcc, s4, v3
	s_mov_b64 s[4:5], -1
                                        ; implicit-def: $sgpr10
	s_and_saveexec_b64 s[8:9], vcc
; %bb.3062:
	s_mov_b32 s10, 0x7f800001
	s_xor_b64 s[4:5], exec, -1
; %bb.3063:
	s_or_b64 exec, exec, s[8:9]
	s_and_b64 s[4:5], s[4:5], exec
                                        ; implicit-def: $vgpr3
	s_or_saveexec_b64 s[6:7], s[6:7]
	v_mov_b32_e32 v4, s10
	s_xor_b64 exec, exec, s[6:7]
	s_cbranch_execz .LBB13_1014
.LBB13_3064:
	v_cmp_ne_u16_e32 vcc, 0, v3
	s_andn2_b64 s[4:5], s[4:5], exec
	s_and_b64 s[8:9], vcc, exec
	v_mov_b32_e32 v4, 0
	s_or_b64 s[4:5], s[4:5], s[8:9]
	s_or_b64 exec, exec, s[6:7]
	s_and_saveexec_b64 s[6:7], s[4:5]
	s_cbranch_execnz .LBB13_1015
	s_branch .LBB13_1016
.LBB13_3065:
	s_movk_i32 s4, 0x80
	v_cmp_eq_u16_sdwa s[12:13], v9, s4 src0_sel:BYTE_3 src1_sel:DWORD
	s_mov_b64 s[4:5], -1
                                        ; implicit-def: $sgpr10
	s_and_saveexec_b64 s[8:9], s[12:13]
; %bb.3066:
	s_mov_b32 s10, 0x7f800001
	s_xor_b64 s[4:5], exec, -1
; %bb.3067:
	s_or_b64 exec, exec, s[8:9]
	s_and_b64 s[4:5], s[4:5], exec
	s_or_saveexec_b64 s[6:7], s[6:7]
	v_mov_b32_e32 v2, s10
	s_xor_b64 exec, exec, s[6:7]
	s_cbranch_execz .LBB13_1018
.LBB13_3068:
	v_mov_b32_e32 v2, 0
	v_cmp_ne_u16_sdwa s[8:9], v9, v2 src0_sel:BYTE_3 src1_sel:DWORD
	s_andn2_b64 s[4:5], s[4:5], exec
	s_and_b64 s[8:9], s[8:9], exec
	s_or_b64 s[4:5], s[4:5], s[8:9]
	s_or_b64 exec, exec, s[6:7]
	s_and_saveexec_b64 s[6:7], s[4:5]
	s_cbranch_execnz .LBB13_1019
	s_branch .LBB13_1020
.LBB13_3069:
	s_movk_i32 s4, 0x80
	v_cmp_eq_u16_sdwa s[12:13], v5, s4 src0_sel:BYTE_3 src1_sel:DWORD
	s_mov_b64 s[4:5], -1
                                        ; implicit-def: $sgpr10
	s_and_saveexec_b64 s[8:9], s[12:13]
; %bb.3070:
	s_mov_b32 s10, 0x7f800001
	s_xor_b64 s[4:5], exec, -1
; %bb.3071:
	s_or_b64 exec, exec, s[8:9]
	s_and_b64 s[4:5], s[4:5], exec
	s_or_saveexec_b64 s[6:7], s[6:7]
	v_mov_b32_e32 v3, s10
	s_xor_b64 exec, exec, s[6:7]
	s_cbranch_execz .LBB13_1022
.LBB13_3072:
	v_mov_b32_e32 v3, 0
	v_cmp_ne_u16_sdwa s[8:9], v5, v3 src0_sel:BYTE_3 src1_sel:DWORD
	s_andn2_b64 s[4:5], s[4:5], exec
	s_and_b64 s[8:9], s[8:9], exec
	s_or_b64 s[4:5], s[4:5], s[8:9]
	s_or_b64 exec, exec, s[6:7]
	s_and_saveexec_b64 s[6:7], s[4:5]
	s_cbranch_execnz .LBB13_1023
	s_branch .LBB13_1024
.LBB13_3073:
	s_movk_i32 s4, 0x80
	v_cmp_eq_u16_sdwa s[12:13], v14, s4 src0_sel:BYTE_0 src1_sel:DWORD
	s_mov_b64 s[4:5], -1
                                        ; implicit-def: $sgpr10
	s_and_saveexec_b64 s[8:9], s[12:13]
; %bb.3074:
	s_mov_b32 s10, 0x7f800001
	s_xor_b64 s[4:5], exec, -1
; %bb.3075:
	s_or_b64 exec, exec, s[8:9]
	s_and_b64 s[4:5], s[4:5], exec
	s_or_saveexec_b64 s[6:7], s[6:7]
	v_mov_b32_e32 v20, s10
	s_xor_b64 exec, exec, s[6:7]
	s_cbranch_execz .LBB13_1026
.LBB13_3076:
	v_mov_b32_e32 v20, 0
	v_cmp_ne_u16_sdwa s[8:9], v14, v20 src0_sel:BYTE_0 src1_sel:DWORD
	s_andn2_b64 s[4:5], s[4:5], exec
	s_and_b64 s[8:9], s[8:9], exec
	s_or_b64 s[4:5], s[4:5], s[8:9]
	s_or_b64 exec, exec, s[6:7]
	s_and_saveexec_b64 s[6:7], s[4:5]
	s_cbranch_execnz .LBB13_1027
	s_branch .LBB13_1028
.LBB13_3077:
	s_movk_i32 s4, 0x80
	v_cmp_eq_u16_sdwa s[12:13], v10, s4 src0_sel:BYTE_0 src1_sel:DWORD
	s_mov_b64 s[4:5], -1
                                        ; implicit-def: $sgpr10
	s_and_saveexec_b64 s[8:9], s[12:13]
; %bb.3078:
	s_mov_b32 s10, 0x7f800001
	s_xor_b64 s[4:5], exec, -1
; %bb.3079:
	s_or_b64 exec, exec, s[8:9]
	s_and_b64 s[4:5], s[4:5], exec
	s_or_saveexec_b64 s[6:7], s[6:7]
	v_mov_b32_e32 v21, s10
	s_xor_b64 exec, exec, s[6:7]
	s_cbranch_execz .LBB13_1030
.LBB13_3080:
	v_mov_b32_e32 v21, 0
	v_cmp_ne_u16_sdwa s[8:9], v10, v21 src0_sel:BYTE_0 src1_sel:DWORD
	s_andn2_b64 s[4:5], s[4:5], exec
	s_and_b64 s[8:9], s[8:9], exec
	s_or_b64 s[4:5], s[4:5], s[8:9]
	s_or_b64 exec, exec, s[6:7]
	s_and_saveexec_b64 s[6:7], s[4:5]
	s_cbranch_execnz .LBB13_1031
	s_branch .LBB13_1032
.LBB13_3081:
	s_movk_i32 s4, 0x80
	v_cmp_eq_u16_sdwa s[12:13], v21, s4 src0_sel:BYTE_0 src1_sel:DWORD
	s_mov_b64 s[4:5], -1
                                        ; implicit-def: $sgpr10
	s_and_saveexec_b64 s[8:9], s[12:13]
; %bb.3082:
	s_mov_b32 s10, 0x7f800001
	s_xor_b64 s[4:5], exec, -1
; %bb.3083:
	s_or_b64 exec, exec, s[8:9]
	s_and_b64 s[4:5], s[4:5], exec
	s_or_saveexec_b64 s[6:7], s[6:7]
	v_mov_b32_e32 v20, s10
	s_xor_b64 exec, exec, s[6:7]
	s_cbranch_execz .LBB13_1034
.LBB13_3084:
	v_mov_b32_e32 v20, 0
	v_cmp_ne_u16_sdwa s[8:9], v21, v20 src0_sel:BYTE_0 src1_sel:DWORD
	s_andn2_b64 s[4:5], s[4:5], exec
	s_and_b64 s[8:9], s[8:9], exec
	s_or_b64 s[4:5], s[4:5], s[8:9]
	s_or_b64 exec, exec, s[6:7]
	s_and_saveexec_b64 s[6:7], s[4:5]
	s_cbranch_execnz .LBB13_1035
	s_branch .LBB13_1036
.LBB13_3085:
	s_movk_i32 s4, 0x80
	v_cmp_eq_u16_sdwa s[12:13], v21, s4 src0_sel:BYTE_0 src1_sel:DWORD
	s_mov_b64 s[4:5], -1
                                        ; implicit-def: $sgpr10
	s_and_saveexec_b64 s[8:9], s[12:13]
; %bb.3086:
	s_mov_b32 s10, 0x7f800001
	s_xor_b64 s[4:5], exec, -1
; %bb.3087:
	s_or_b64 exec, exec, s[8:9]
	s_and_b64 s[4:5], s[4:5], exec
	s_or_saveexec_b64 s[6:7], s[6:7]
	v_mov_b32_e32 v22, s10
	s_xor_b64 exec, exec, s[6:7]
	s_cbranch_execz .LBB13_1038
.LBB13_3088:
	v_mov_b32_e32 v22, 0
	v_cmp_ne_u16_sdwa s[8:9], v21, v22 src0_sel:BYTE_0 src1_sel:DWORD
	s_andn2_b64 s[4:5], s[4:5], exec
	s_and_b64 s[8:9], s[8:9], exec
	s_or_b64 s[4:5], s[4:5], s[8:9]
	s_or_b64 exec, exec, s[6:7]
	s_and_saveexec_b64 s[6:7], s[4:5]
	s_cbranch_execnz .LBB13_1039
	s_branch .LBB13_1040
.LBB13_3089:
	s_movk_i32 s4, 0x80
	v_cmp_eq_u16_e32 vcc, s4, v21
	s_mov_b64 s[4:5], -1
                                        ; implicit-def: $sgpr10
	s_and_saveexec_b64 s[8:9], vcc
; %bb.3090:
	s_mov_b32 s10, 0x7f800001
	s_xor_b64 s[4:5], exec, -1
; %bb.3091:
	s_or_b64 exec, exec, s[8:9]
	s_and_b64 s[4:5], s[4:5], exec
                                        ; implicit-def: $vgpr21
	s_or_saveexec_b64 s[6:7], s[6:7]
	v_mov_b32_e32 v20, s10
	s_xor_b64 exec, exec, s[6:7]
	s_cbranch_execz .LBB13_1042
.LBB13_3092:
	v_cmp_ne_u16_e32 vcc, 0, v21
	s_andn2_b64 s[4:5], s[4:5], exec
	s_and_b64 s[8:9], vcc, exec
	v_mov_b32_e32 v20, 0
	s_or_b64 s[4:5], s[4:5], s[8:9]
	s_or_b64 exec, exec, s[6:7]
	s_and_saveexec_b64 s[6:7], s[4:5]
	s_cbranch_execnz .LBB13_1043
	s_branch .LBB13_1044
.LBB13_3093:
	s_movk_i32 s4, 0x80
	v_cmp_eq_u16_e32 vcc, s4, v21
	s_mov_b64 s[4:5], -1
                                        ; implicit-def: $sgpr10
	s_and_saveexec_b64 s[8:9], vcc
; %bb.3094:
	s_mov_b32 s10, 0x7f800001
	s_xor_b64 s[4:5], exec, -1
; %bb.3095:
	s_or_b64 exec, exec, s[8:9]
	s_and_b64 s[4:5], s[4:5], exec
                                        ; implicit-def: $vgpr21
	s_or_saveexec_b64 s[6:7], s[6:7]
	v_mov_b32_e32 v22, s10
	s_xor_b64 exec, exec, s[6:7]
	s_cbranch_execz .LBB13_1046
.LBB13_3096:
	v_cmp_ne_u16_e32 vcc, 0, v21
	s_andn2_b64 s[4:5], s[4:5], exec
	s_and_b64 s[8:9], vcc, exec
	v_mov_b32_e32 v22, 0
	s_or_b64 s[4:5], s[4:5], s[8:9]
	s_or_b64 exec, exec, s[6:7]
	s_and_saveexec_b64 s[6:7], s[4:5]
	s_cbranch_execnz .LBB13_1047
	s_branch .LBB13_1048
.LBB13_3097:
	s_movk_i32 s4, 0x80
	v_cmp_eq_u16_sdwa s[12:13], v14, s4 src0_sel:BYTE_3 src1_sel:DWORD
	s_mov_b64 s[4:5], -1
                                        ; implicit-def: $sgpr10
	s_and_saveexec_b64 s[8:9], s[12:13]
; %bb.3098:
	s_mov_b32 s10, 0x7f800001
	s_xor_b64 s[4:5], exec, -1
; %bb.3099:
	s_or_b64 exec, exec, s[8:9]
	s_and_b64 s[4:5], s[4:5], exec
	s_or_saveexec_b64 s[6:7], s[6:7]
	v_mov_b32_e32 v20, s10
	s_xor_b64 exec, exec, s[6:7]
	s_cbranch_execz .LBB13_1050
.LBB13_3100:
	v_mov_b32_e32 v20, 0
	v_cmp_ne_u16_sdwa s[8:9], v14, v20 src0_sel:BYTE_3 src1_sel:DWORD
	s_andn2_b64 s[4:5], s[4:5], exec
	s_and_b64 s[8:9], s[8:9], exec
	s_or_b64 s[4:5], s[4:5], s[8:9]
	s_or_b64 exec, exec, s[6:7]
	s_and_saveexec_b64 s[6:7], s[4:5]
	s_cbranch_execnz .LBB13_1051
	s_branch .LBB13_1052
.LBB13_3101:
	s_movk_i32 s4, 0x80
	v_cmp_eq_u16_sdwa s[12:13], v10, s4 src0_sel:BYTE_3 src1_sel:DWORD
	s_mov_b64 s[4:5], -1
                                        ; implicit-def: $sgpr10
	s_and_saveexec_b64 s[8:9], s[12:13]
; %bb.3102:
	s_mov_b32 s10, 0x7f800001
	s_xor_b64 s[4:5], exec, -1
; %bb.3103:
	s_or_b64 exec, exec, s[8:9]
	s_and_b64 s[4:5], s[4:5], exec
	s_or_saveexec_b64 s[6:7], s[6:7]
	v_mov_b32_e32 v14, s10
	s_xor_b64 exec, exec, s[6:7]
	s_cbranch_execz .LBB13_1054
.LBB13_3104:
	v_mov_b32_e32 v14, 0
	v_cmp_ne_u16_sdwa s[8:9], v10, v14 src0_sel:BYTE_3 src1_sel:DWORD
	s_andn2_b64 s[4:5], s[4:5], exec
	s_and_b64 s[8:9], s[8:9], exec
	s_or_b64 s[4:5], s[4:5], s[8:9]
	s_or_b64 exec, exec, s[6:7]
	s_and_saveexec_b64 s[6:7], s[4:5]
	s_cbranch_execnz .LBB13_1055
	s_branch .LBB13_1056
.LBB13_3105:
	s_movk_i32 s4, 0x80
	v_cmp_eq_u16_sdwa s[12:13], v15, s4 src0_sel:BYTE_0 src1_sel:DWORD
	s_mov_b64 s[4:5], -1
                                        ; implicit-def: $sgpr10
	s_and_saveexec_b64 s[8:9], s[12:13]
; %bb.3106:
	s_mov_b32 s10, 0x7f800001
	s_xor_b64 s[4:5], exec, -1
; %bb.3107:
	s_or_b64 exec, exec, s[8:9]
	s_and_b64 s[4:5], s[4:5], exec
	s_or_saveexec_b64 s[6:7], s[6:7]
	v_mov_b32_e32 v10, s10
	s_xor_b64 exec, exec, s[6:7]
	s_cbranch_execz .LBB13_1058
.LBB13_3108:
	v_mov_b32_e32 v10, 0
	v_cmp_ne_u16_sdwa s[8:9], v15, v10 src0_sel:BYTE_0 src1_sel:DWORD
	s_andn2_b64 s[4:5], s[4:5], exec
	s_and_b64 s[8:9], s[8:9], exec
	s_or_b64 s[4:5], s[4:5], s[8:9]
	s_or_b64 exec, exec, s[6:7]
	s_and_saveexec_b64 s[6:7], s[4:5]
	s_cbranch_execnz .LBB13_1059
	s_branch .LBB13_1060
.LBB13_3109:
	s_movk_i32 s4, 0x80
	v_cmp_eq_u16_sdwa s[12:13], v11, s4 src0_sel:BYTE_0 src1_sel:DWORD
	s_mov_b64 s[4:5], -1
                                        ; implicit-def: $sgpr10
	s_and_saveexec_b64 s[8:9], s[12:13]
; %bb.3110:
	s_mov_b32 s10, 0x7f800001
	s_xor_b64 s[4:5], exec, -1
; %bb.3111:
	s_or_b64 exec, exec, s[8:9]
	s_and_b64 s[4:5], s[4:5], exec
	s_or_saveexec_b64 s[6:7], s[6:7]
	v_mov_b32_e32 v14, s10
	s_xor_b64 exec, exec, s[6:7]
	s_cbranch_execz .LBB13_1062
.LBB13_3112:
	v_mov_b32_e32 v14, 0
	v_cmp_ne_u16_sdwa s[8:9], v11, v14 src0_sel:BYTE_0 src1_sel:DWORD
	s_andn2_b64 s[4:5], s[4:5], exec
	s_and_b64 s[8:9], s[8:9], exec
	s_or_b64 s[4:5], s[4:5], s[8:9]
	s_or_b64 exec, exec, s[6:7]
	s_and_saveexec_b64 s[6:7], s[4:5]
	s_cbranch_execnz .LBB13_1063
	s_branch .LBB13_1064
.LBB13_3113:
	s_movk_i32 s4, 0x80
	v_cmp_eq_u16_sdwa s[12:13], v14, s4 src0_sel:BYTE_0 src1_sel:DWORD
	s_mov_b64 s[4:5], -1
                                        ; implicit-def: $sgpr10
	s_and_saveexec_b64 s[8:9], s[12:13]
; %bb.3114:
	s_mov_b32 s10, 0x7f800001
	s_xor_b64 s[4:5], exec, -1
; %bb.3115:
	s_or_b64 exec, exec, s[8:9]
	s_and_b64 s[4:5], s[4:5], exec
	s_or_saveexec_b64 s[6:7], s[6:7]
	v_mov_b32_e32 v10, s10
	s_xor_b64 exec, exec, s[6:7]
	s_cbranch_execz .LBB13_1066
.LBB13_3116:
	v_mov_b32_e32 v10, 0
	v_cmp_ne_u16_sdwa s[8:9], v14, v10 src0_sel:BYTE_0 src1_sel:DWORD
	s_andn2_b64 s[4:5], s[4:5], exec
	s_and_b64 s[8:9], s[8:9], exec
	s_or_b64 s[4:5], s[4:5], s[8:9]
	s_or_b64 exec, exec, s[6:7]
	s_and_saveexec_b64 s[6:7], s[4:5]
	s_cbranch_execnz .LBB13_1067
	s_branch .LBB13_1068
.LBB13_3117:
	s_movk_i32 s4, 0x80
	v_cmp_eq_u16_sdwa s[12:13], v14, s4 src0_sel:BYTE_0 src1_sel:DWORD
	s_mov_b64 s[4:5], -1
                                        ; implicit-def: $sgpr10
	s_and_saveexec_b64 s[8:9], s[12:13]
; %bb.3118:
	s_mov_b32 s10, 0x7f800001
	s_xor_b64 s[4:5], exec, -1
; %bb.3119:
	s_or_b64 exec, exec, s[8:9]
	s_and_b64 s[4:5], s[4:5], exec
	s_or_saveexec_b64 s[6:7], s[6:7]
	v_mov_b32_e32 v20, s10
	s_xor_b64 exec, exec, s[6:7]
	s_cbranch_execz .LBB13_1070
.LBB13_3120:
	v_mov_b32_e32 v20, 0
	v_cmp_ne_u16_sdwa s[8:9], v14, v20 src0_sel:BYTE_0 src1_sel:DWORD
	s_andn2_b64 s[4:5], s[4:5], exec
	s_and_b64 s[8:9], s[8:9], exec
	s_or_b64 s[4:5], s[4:5], s[8:9]
	s_or_b64 exec, exec, s[6:7]
	s_and_saveexec_b64 s[6:7], s[4:5]
	s_cbranch_execnz .LBB13_1071
	s_branch .LBB13_1072
.LBB13_3121:
	s_movk_i32 s4, 0x80
	v_cmp_eq_u16_e32 vcc, s4, v14
	s_mov_b64 s[4:5], -1
                                        ; implicit-def: $sgpr10
	s_and_saveexec_b64 s[8:9], vcc
; %bb.3122:
	s_mov_b32 s10, 0x7f800001
	s_xor_b64 s[4:5], exec, -1
; %bb.3123:
	s_or_b64 exec, exec, s[8:9]
	s_and_b64 s[4:5], s[4:5], exec
                                        ; implicit-def: $vgpr14
	s_or_saveexec_b64 s[6:7], s[6:7]
	v_mov_b32_e32 v10, s10
	s_xor_b64 exec, exec, s[6:7]
	s_cbranch_execz .LBB13_1074
.LBB13_3124:
	v_cmp_ne_u16_e32 vcc, 0, v14
	s_andn2_b64 s[4:5], s[4:5], exec
	s_and_b64 s[8:9], vcc, exec
	v_mov_b32_e32 v10, 0
	s_or_b64 s[4:5], s[4:5], s[8:9]
	s_or_b64 exec, exec, s[6:7]
	s_and_saveexec_b64 s[6:7], s[4:5]
	s_cbranch_execnz .LBB13_1075
	s_branch .LBB13_1076
.LBB13_3125:
	s_movk_i32 s4, 0x80
	v_cmp_eq_u16_e32 vcc, s4, v14
	s_mov_b64 s[4:5], -1
                                        ; implicit-def: $sgpr10
	s_and_saveexec_b64 s[8:9], vcc
; %bb.3126:
	s_mov_b32 s10, 0x7f800001
	s_xor_b64 s[4:5], exec, -1
; %bb.3127:
	s_or_b64 exec, exec, s[8:9]
	s_and_b64 s[4:5], s[4:5], exec
                                        ; implicit-def: $vgpr14
	s_or_saveexec_b64 s[6:7], s[6:7]
	v_mov_b32_e32 v20, s10
	s_xor_b64 exec, exec, s[6:7]
	s_cbranch_execz .LBB13_1078
.LBB13_3128:
	v_cmp_ne_u16_e32 vcc, 0, v14
	s_andn2_b64 s[4:5], s[4:5], exec
	s_and_b64 s[8:9], vcc, exec
	v_mov_b32_e32 v20, 0
	s_or_b64 s[4:5], s[4:5], s[8:9]
	s_or_b64 exec, exec, s[6:7]
	s_and_saveexec_b64 s[6:7], s[4:5]
	s_cbranch_execnz .LBB13_1079
	s_branch .LBB13_1080
.LBB13_3129:
	s_movk_i32 s4, 0x80
	v_cmp_eq_u16_sdwa s[12:13], v15, s4 src0_sel:BYTE_3 src1_sel:DWORD
	s_mov_b64 s[4:5], -1
                                        ; implicit-def: $sgpr10
	s_and_saveexec_b64 s[8:9], s[12:13]
; %bb.3130:
	s_mov_b32 s10, 0x7f800001
	s_xor_b64 s[4:5], exec, -1
; %bb.3131:
	s_or_b64 exec, exec, s[8:9]
	s_and_b64 s[4:5], s[4:5], exec
	s_or_saveexec_b64 s[6:7], s[6:7]
	v_mov_b32_e32 v10, s10
	s_xor_b64 exec, exec, s[6:7]
	s_cbranch_execz .LBB13_1082
.LBB13_3132:
	v_mov_b32_e32 v10, 0
	v_cmp_ne_u16_sdwa s[8:9], v15, v10 src0_sel:BYTE_3 src1_sel:DWORD
	s_andn2_b64 s[4:5], s[4:5], exec
	s_and_b64 s[8:9], s[8:9], exec
	s_or_b64 s[4:5], s[4:5], s[8:9]
	s_or_b64 exec, exec, s[6:7]
	s_and_saveexec_b64 s[6:7], s[4:5]
	s_cbranch_execnz .LBB13_1083
	s_branch .LBB13_1084
.LBB13_3133:
	s_movk_i32 s4, 0x80
	v_cmp_eq_u16_sdwa s[12:13], v11, s4 src0_sel:BYTE_3 src1_sel:DWORD
	s_mov_b64 s[4:5], -1
                                        ; implicit-def: $sgpr10
	s_and_saveexec_b64 s[8:9], s[12:13]
; %bb.3134:
	s_mov_b32 s10, 0x7f800001
	s_xor_b64 s[4:5], exec, -1
; %bb.3135:
	s_or_b64 exec, exec, s[8:9]
	s_and_b64 s[4:5], s[4:5], exec
	s_or_saveexec_b64 s[6:7], s[6:7]
	v_mov_b32_e32 v14, s10
	s_xor_b64 exec, exec, s[6:7]
	s_cbranch_execz .LBB13_1086
.LBB13_3136:
	v_mov_b32_e32 v14, 0
	v_cmp_ne_u16_sdwa s[8:9], v11, v14 src0_sel:BYTE_3 src1_sel:DWORD
	s_andn2_b64 s[4:5], s[4:5], exec
	s_and_b64 s[8:9], s[8:9], exec
	s_or_b64 s[4:5], s[4:5], s[8:9]
	s_or_b64 exec, exec, s[6:7]
	s_and_saveexec_b64 s[6:7], s[4:5]
	s_cbranch_execnz .LBB13_1087
	s_branch .LBB13_1088
.LBB13_3137:
	s_movk_i32 s4, 0x80
	v_cmp_eq_u16_sdwa s[12:13], v16, s4 src0_sel:BYTE_0 src1_sel:DWORD
	s_mov_b64 s[4:5], -1
                                        ; implicit-def: $sgpr10
	s_and_saveexec_b64 s[8:9], s[12:13]
; %bb.3138:
	s_mov_b32 s10, 0x7f800001
	s_xor_b64 s[4:5], exec, -1
; %bb.3139:
	s_or_b64 exec, exec, s[8:9]
	s_and_b64 s[4:5], s[4:5], exec
	s_or_saveexec_b64 s[6:7], s[6:7]
	v_mov_b32_e32 v10, s10
	s_xor_b64 exec, exec, s[6:7]
	s_cbranch_execz .LBB13_1090
.LBB13_3140:
	v_mov_b32_e32 v10, 0
	v_cmp_ne_u16_sdwa s[8:9], v16, v10 src0_sel:BYTE_0 src1_sel:DWORD
	s_andn2_b64 s[4:5], s[4:5], exec
	s_and_b64 s[8:9], s[8:9], exec
	s_or_b64 s[4:5], s[4:5], s[8:9]
	s_or_b64 exec, exec, s[6:7]
	s_and_saveexec_b64 s[6:7], s[4:5]
	s_cbranch_execnz .LBB13_1091
	s_branch .LBB13_1092
.LBB13_3141:
	s_movk_i32 s4, 0x80
	v_cmp_eq_u16_sdwa s[12:13], v12, s4 src0_sel:BYTE_0 src1_sel:DWORD
	s_mov_b64 s[4:5], -1
                                        ; implicit-def: $sgpr10
	s_and_saveexec_b64 s[8:9], s[12:13]
; %bb.3142:
	s_mov_b32 s10, 0x7f800001
	s_xor_b64 s[4:5], exec, -1
; %bb.3143:
	s_or_b64 exec, exec, s[8:9]
	s_and_b64 s[4:5], s[4:5], exec
	s_or_saveexec_b64 s[6:7], s[6:7]
	v_mov_b32_e32 v11, s10
	s_xor_b64 exec, exec, s[6:7]
	s_cbranch_execz .LBB13_1094
.LBB13_3144:
	v_mov_b32_e32 v11, 0
	v_cmp_ne_u16_sdwa s[8:9], v12, v11 src0_sel:BYTE_0 src1_sel:DWORD
	s_andn2_b64 s[4:5], s[4:5], exec
	s_and_b64 s[8:9], s[8:9], exec
	s_or_b64 s[4:5], s[4:5], s[8:9]
	s_or_b64 exec, exec, s[6:7]
	s_and_saveexec_b64 s[6:7], s[4:5]
	s_cbranch_execnz .LBB13_1095
	s_branch .LBB13_1096
.LBB13_3145:
	s_movk_i32 s4, 0x80
	v_cmp_eq_u16_sdwa s[12:13], v11, s4 src0_sel:BYTE_0 src1_sel:DWORD
	s_mov_b64 s[4:5], -1
                                        ; implicit-def: $sgpr10
	s_and_saveexec_b64 s[8:9], s[12:13]
; %bb.3146:
	s_mov_b32 s10, 0x7f800001
	s_xor_b64 s[4:5], exec, -1
; %bb.3147:
	s_or_b64 exec, exec, s[8:9]
	s_and_b64 s[4:5], s[4:5], exec
	s_or_saveexec_b64 s[6:7], s[6:7]
	v_mov_b32_e32 v10, s10
	s_xor_b64 exec, exec, s[6:7]
	s_cbranch_execz .LBB13_1098
.LBB13_3148:
	v_mov_b32_e32 v10, 0
	v_cmp_ne_u16_sdwa s[8:9], v11, v10 src0_sel:BYTE_0 src1_sel:DWORD
	s_andn2_b64 s[4:5], s[4:5], exec
	s_and_b64 s[8:9], s[8:9], exec
	s_or_b64 s[4:5], s[4:5], s[8:9]
	s_or_b64 exec, exec, s[6:7]
	s_and_saveexec_b64 s[6:7], s[4:5]
	s_cbranch_execnz .LBB13_1099
	s_branch .LBB13_1100
.LBB13_3149:
	s_movk_i32 s4, 0x80
	v_cmp_eq_u16_sdwa s[12:13], v11, s4 src0_sel:BYTE_0 src1_sel:DWORD
	s_mov_b64 s[4:5], -1
                                        ; implicit-def: $sgpr10
	s_and_saveexec_b64 s[8:9], s[12:13]
; %bb.3150:
	s_mov_b32 s10, 0x7f800001
	s_xor_b64 s[4:5], exec, -1
; %bb.3151:
	s_or_b64 exec, exec, s[8:9]
	s_and_b64 s[4:5], s[4:5], exec
	s_or_saveexec_b64 s[6:7], s[6:7]
	v_mov_b32_e32 v14, s10
	s_xor_b64 exec, exec, s[6:7]
	s_cbranch_execz .LBB13_1102
.LBB13_3152:
	v_mov_b32_e32 v14, 0
	v_cmp_ne_u16_sdwa s[8:9], v11, v14 src0_sel:BYTE_0 src1_sel:DWORD
	s_andn2_b64 s[4:5], s[4:5], exec
	s_and_b64 s[8:9], s[8:9], exec
	s_or_b64 s[4:5], s[4:5], s[8:9]
	s_or_b64 exec, exec, s[6:7]
	s_and_saveexec_b64 s[6:7], s[4:5]
	s_cbranch_execnz .LBB13_1103
	s_branch .LBB13_1104
.LBB13_3153:
	s_movk_i32 s4, 0x80
	v_cmp_eq_u16_e32 vcc, s4, v11
	s_mov_b64 s[4:5], -1
                                        ; implicit-def: $sgpr10
	s_and_saveexec_b64 s[8:9], vcc
; %bb.3154:
	s_mov_b32 s10, 0x7f800001
	s_xor_b64 s[4:5], exec, -1
; %bb.3155:
	s_or_b64 exec, exec, s[8:9]
	s_and_b64 s[4:5], s[4:5], exec
                                        ; implicit-def: $vgpr11
	s_or_saveexec_b64 s[6:7], s[6:7]
	v_mov_b32_e32 v10, s10
	s_xor_b64 exec, exec, s[6:7]
	s_cbranch_execz .LBB13_1106
.LBB13_3156:
	v_cmp_ne_u16_e32 vcc, 0, v11
	s_andn2_b64 s[4:5], s[4:5], exec
	s_and_b64 s[8:9], vcc, exec
	v_mov_b32_e32 v10, 0
	s_or_b64 s[4:5], s[4:5], s[8:9]
	s_or_b64 exec, exec, s[6:7]
	s_and_saveexec_b64 s[6:7], s[4:5]
	s_cbranch_execnz .LBB13_1107
	s_branch .LBB13_1108
.LBB13_3157:
	s_movk_i32 s4, 0x80
	v_cmp_eq_u16_e32 vcc, s4, v11
	s_mov_b64 s[4:5], -1
                                        ; implicit-def: $sgpr10
	s_and_saveexec_b64 s[8:9], vcc
; %bb.3158:
	s_mov_b32 s10, 0x7f800001
	s_xor_b64 s[4:5], exec, -1
; %bb.3159:
	s_or_b64 exec, exec, s[8:9]
	s_and_b64 s[4:5], s[4:5], exec
                                        ; implicit-def: $vgpr11
	s_or_saveexec_b64 s[6:7], s[6:7]
	v_mov_b32_e32 v14, s10
	s_xor_b64 exec, exec, s[6:7]
	s_cbranch_execz .LBB13_1110
.LBB13_3160:
	v_cmp_ne_u16_e32 vcc, 0, v11
	s_andn2_b64 s[4:5], s[4:5], exec
	s_and_b64 s[8:9], vcc, exec
	v_mov_b32_e32 v14, 0
	s_or_b64 s[4:5], s[4:5], s[8:9]
	s_or_b64 exec, exec, s[6:7]
	s_and_saveexec_b64 s[6:7], s[4:5]
	s_cbranch_execnz .LBB13_1111
	s_branch .LBB13_1112
.LBB13_3161:
	s_movk_i32 s4, 0x80
	v_cmp_eq_u16_sdwa s[12:13], v16, s4 src0_sel:BYTE_3 src1_sel:DWORD
	s_mov_b64 s[4:5], -1
                                        ; implicit-def: $sgpr10
	s_and_saveexec_b64 s[8:9], s[12:13]
; %bb.3162:
	s_mov_b32 s10, 0x7f800001
	s_xor_b64 s[4:5], exec, -1
; %bb.3163:
	s_or_b64 exec, exec, s[8:9]
	s_and_b64 s[4:5], s[4:5], exec
	s_or_saveexec_b64 s[6:7], s[6:7]
	v_mov_b32_e32 v10, s10
	s_xor_b64 exec, exec, s[6:7]
	s_cbranch_execz .LBB13_1114
.LBB13_3164:
	v_mov_b32_e32 v10, 0
	v_cmp_ne_u16_sdwa s[8:9], v16, v10 src0_sel:BYTE_3 src1_sel:DWORD
	s_andn2_b64 s[4:5], s[4:5], exec
	s_and_b64 s[8:9], s[8:9], exec
	s_or_b64 s[4:5], s[4:5], s[8:9]
	s_or_b64 exec, exec, s[6:7]
	s_and_saveexec_b64 s[6:7], s[4:5]
	s_cbranch_execnz .LBB13_1115
	s_branch .LBB13_1116
.LBB13_3165:
	s_movk_i32 s4, 0x80
	v_cmp_eq_u16_sdwa s[12:13], v12, s4 src0_sel:BYTE_3 src1_sel:DWORD
	s_mov_b64 s[4:5], -1
                                        ; implicit-def: $sgpr10
	s_and_saveexec_b64 s[8:9], s[12:13]
; %bb.3166:
	s_mov_b32 s10, 0x7f800001
	s_xor_b64 s[4:5], exec, -1
; %bb.3167:
	s_or_b64 exec, exec, s[8:9]
	s_and_b64 s[4:5], s[4:5], exec
	s_or_saveexec_b64 s[6:7], s[6:7]
	v_mov_b32_e32 v11, s10
	s_xor_b64 exec, exec, s[6:7]
	s_cbranch_execz .LBB13_1118
.LBB13_3168:
	v_mov_b32_e32 v11, 0
	v_cmp_ne_u16_sdwa s[8:9], v12, v11 src0_sel:BYTE_3 src1_sel:DWORD
	s_andn2_b64 s[4:5], s[4:5], exec
	s_and_b64 s[8:9], s[8:9], exec
	s_or_b64 s[4:5], s[4:5], s[8:9]
	s_or_b64 exec, exec, s[6:7]
	s_and_saveexec_b64 s[6:7], s[4:5]
	s_cbranch_execnz .LBB13_1119
	s_branch .LBB13_1120
.LBB13_3169:
	s_movk_i32 s4, 0x80
	v_cmp_eq_u16_sdwa s[12:13], v17, s4 src0_sel:BYTE_0 src1_sel:DWORD
	s_mov_b64 s[4:5], -1
                                        ; implicit-def: $sgpr10
	s_and_saveexec_b64 s[8:9], s[12:13]
; %bb.3170:
	s_mov_b32 s10, 0x7f800001
	s_xor_b64 s[4:5], exec, -1
; %bb.3171:
	s_or_b64 exec, exec, s[8:9]
	s_and_b64 s[4:5], s[4:5], exec
	s_or_saveexec_b64 s[6:7], s[6:7]
	v_mov_b32_e32 v10, s10
	s_xor_b64 exec, exec, s[6:7]
	s_cbranch_execz .LBB13_1122
.LBB13_3172:
	v_mov_b32_e32 v10, 0
	v_cmp_ne_u16_sdwa s[8:9], v17, v10 src0_sel:BYTE_0 src1_sel:DWORD
	s_andn2_b64 s[4:5], s[4:5], exec
	s_and_b64 s[8:9], s[8:9], exec
	s_or_b64 s[4:5], s[4:5], s[8:9]
	s_or_b64 exec, exec, s[6:7]
	s_and_saveexec_b64 s[6:7], s[4:5]
	s_cbranch_execnz .LBB13_1123
	s_branch .LBB13_1124
.LBB13_3173:
	s_movk_i32 s4, 0x80
	v_cmp_eq_u16_sdwa s[12:13], v13, s4 src0_sel:BYTE_0 src1_sel:DWORD
	s_mov_b64 s[4:5], -1
                                        ; implicit-def: $sgpr10
	s_and_saveexec_b64 s[8:9], s[12:13]
; %bb.3174:
	s_mov_b32 s10, 0x7f800001
	s_xor_b64 s[4:5], exec, -1
; %bb.3175:
	s_or_b64 exec, exec, s[8:9]
	s_and_b64 s[4:5], s[4:5], exec
	s_or_saveexec_b64 s[6:7], s[6:7]
	v_mov_b32_e32 v11, s10
	s_xor_b64 exec, exec, s[6:7]
	s_cbranch_execz .LBB13_1126
.LBB13_3176:
	v_mov_b32_e32 v11, 0
	v_cmp_ne_u16_sdwa s[8:9], v13, v11 src0_sel:BYTE_0 src1_sel:DWORD
	s_andn2_b64 s[4:5], s[4:5], exec
	s_and_b64 s[8:9], s[8:9], exec
	s_or_b64 s[4:5], s[4:5], s[8:9]
	s_or_b64 exec, exec, s[6:7]
	s_and_saveexec_b64 s[6:7], s[4:5]
	s_cbranch_execnz .LBB13_1127
	s_branch .LBB13_1128
.LBB13_3177:
	s_movk_i32 s4, 0x80
	v_cmp_eq_u16_sdwa s[12:13], v11, s4 src0_sel:BYTE_0 src1_sel:DWORD
	s_mov_b64 s[4:5], -1
                                        ; implicit-def: $sgpr10
	s_and_saveexec_b64 s[8:9], s[12:13]
; %bb.3178:
	s_mov_b32 s10, 0x7f800001
	s_xor_b64 s[4:5], exec, -1
; %bb.3179:
	s_or_b64 exec, exec, s[8:9]
	s_and_b64 s[4:5], s[4:5], exec
	s_or_saveexec_b64 s[6:7], s[6:7]
	v_mov_b32_e32 v10, s10
	s_xor_b64 exec, exec, s[6:7]
	s_cbranch_execz .LBB13_1130
.LBB13_3180:
	v_mov_b32_e32 v10, 0
	v_cmp_ne_u16_sdwa s[8:9], v11, v10 src0_sel:BYTE_0 src1_sel:DWORD
	s_andn2_b64 s[4:5], s[4:5], exec
	s_and_b64 s[8:9], s[8:9], exec
	s_or_b64 s[4:5], s[4:5], s[8:9]
	s_or_b64 exec, exec, s[6:7]
	s_and_saveexec_b64 s[6:7], s[4:5]
	s_cbranch_execnz .LBB13_1131
	s_branch .LBB13_1132
.LBB13_3181:
	s_movk_i32 s4, 0x80
	v_cmp_eq_u16_sdwa s[12:13], v11, s4 src0_sel:BYTE_0 src1_sel:DWORD
	s_mov_b64 s[4:5], -1
                                        ; implicit-def: $sgpr10
	s_and_saveexec_b64 s[8:9], s[12:13]
; %bb.3182:
	s_mov_b32 s10, 0x7f800001
	s_xor_b64 s[4:5], exec, -1
; %bb.3183:
	s_or_b64 exec, exec, s[8:9]
	s_and_b64 s[4:5], s[4:5], exec
	s_or_saveexec_b64 s[6:7], s[6:7]
	v_mov_b32_e32 v12, s10
	s_xor_b64 exec, exec, s[6:7]
	s_cbranch_execz .LBB13_1134
.LBB13_3184:
	v_mov_b32_e32 v12, 0
	v_cmp_ne_u16_sdwa s[8:9], v11, v12 src0_sel:BYTE_0 src1_sel:DWORD
	s_andn2_b64 s[4:5], s[4:5], exec
	s_and_b64 s[8:9], s[8:9], exec
	s_or_b64 s[4:5], s[4:5], s[8:9]
	s_or_b64 exec, exec, s[6:7]
	s_and_saveexec_b64 s[6:7], s[4:5]
	s_cbranch_execnz .LBB13_1135
	s_branch .LBB13_1136
.LBB13_3185:
	s_movk_i32 s4, 0x80
	v_cmp_eq_u16_e32 vcc, s4, v11
	s_mov_b64 s[4:5], -1
                                        ; implicit-def: $sgpr10
	s_and_saveexec_b64 s[8:9], vcc
; %bb.3186:
	s_mov_b32 s10, 0x7f800001
	s_xor_b64 s[4:5], exec, -1
; %bb.3187:
	s_or_b64 exec, exec, s[8:9]
	s_and_b64 s[4:5], s[4:5], exec
                                        ; implicit-def: $vgpr11
	s_or_saveexec_b64 s[6:7], s[6:7]
	v_mov_b32_e32 v10, s10
	s_xor_b64 exec, exec, s[6:7]
	s_cbranch_execz .LBB13_1138
.LBB13_3188:
	v_cmp_ne_u16_e32 vcc, 0, v11
	s_andn2_b64 s[4:5], s[4:5], exec
	s_and_b64 s[8:9], vcc, exec
	v_mov_b32_e32 v10, 0
	s_or_b64 s[4:5], s[4:5], s[8:9]
	s_or_b64 exec, exec, s[6:7]
	s_and_saveexec_b64 s[6:7], s[4:5]
	s_cbranch_execnz .LBB13_1139
	s_branch .LBB13_1140
.LBB13_3189:
	s_movk_i32 s4, 0x80
	v_cmp_eq_u16_e32 vcc, s4, v11
	s_mov_b64 s[4:5], -1
                                        ; implicit-def: $sgpr10
	s_and_saveexec_b64 s[8:9], vcc
; %bb.3190:
	s_mov_b32 s10, 0x7f800001
	s_xor_b64 s[4:5], exec, -1
; %bb.3191:
	s_or_b64 exec, exec, s[8:9]
	s_and_b64 s[4:5], s[4:5], exec
                                        ; implicit-def: $vgpr11
	s_or_saveexec_b64 s[6:7], s[6:7]
	v_mov_b32_e32 v12, s10
	s_xor_b64 exec, exec, s[6:7]
	s_cbranch_execz .LBB13_1142
.LBB13_3192:
	v_cmp_ne_u16_e32 vcc, 0, v11
	s_andn2_b64 s[4:5], s[4:5], exec
	s_and_b64 s[8:9], vcc, exec
	v_mov_b32_e32 v12, 0
	s_or_b64 s[4:5], s[4:5], s[8:9]
	s_or_b64 exec, exec, s[6:7]
	s_and_saveexec_b64 s[6:7], s[4:5]
	s_cbranch_execnz .LBB13_1143
	s_branch .LBB13_1144
.LBB13_3193:
	s_movk_i32 s4, 0x80
	v_cmp_eq_u16_sdwa s[12:13], v17, s4 src0_sel:BYTE_3 src1_sel:DWORD
	s_mov_b64 s[4:5], -1
                                        ; implicit-def: $sgpr10
	s_and_saveexec_b64 s[8:9], s[12:13]
; %bb.3194:
	s_mov_b32 s10, 0x7f800001
	s_xor_b64 s[4:5], exec, -1
; %bb.3195:
	s_or_b64 exec, exec, s[8:9]
	s_and_b64 s[4:5], s[4:5], exec
	s_or_saveexec_b64 s[6:7], s[6:7]
	v_mov_b32_e32 v10, s10
	s_xor_b64 exec, exec, s[6:7]
	s_cbranch_execz .LBB13_1146
.LBB13_3196:
	v_mov_b32_e32 v10, 0
	v_cmp_ne_u16_sdwa s[8:9], v17, v10 src0_sel:BYTE_3 src1_sel:DWORD
	s_andn2_b64 s[4:5], s[4:5], exec
	s_and_b64 s[8:9], s[8:9], exec
	s_or_b64 s[4:5], s[4:5], s[8:9]
	s_or_b64 exec, exec, s[6:7]
	s_and_saveexec_b64 s[6:7], s[4:5]
	s_cbranch_execnz .LBB13_1147
	s_branch .LBB13_1148
.LBB13_3197:
	s_movk_i32 s4, 0x80
	v_cmp_eq_u16_sdwa s[12:13], v13, s4 src0_sel:BYTE_3 src1_sel:DWORD
	s_mov_b64 s[4:5], -1
                                        ; implicit-def: $sgpr10
	s_and_saveexec_b64 s[8:9], s[12:13]
; %bb.3198:
	s_mov_b32 s10, 0x7f800001
	s_xor_b64 s[4:5], exec, -1
; %bb.3199:
	s_or_b64 exec, exec, s[8:9]
	s_and_b64 s[4:5], s[4:5], exec
	s_or_saveexec_b64 s[6:7], s[6:7]
	v_mov_b32_e32 v11, s10
	s_xor_b64 exec, exec, s[6:7]
	s_cbranch_execz .LBB13_1150
.LBB13_3200:
	v_mov_b32_e32 v11, 0
	v_cmp_ne_u16_sdwa s[8:9], v13, v11 src0_sel:BYTE_3 src1_sel:DWORD
	s_andn2_b64 s[4:5], s[4:5], exec
	s_and_b64 s[8:9], s[8:9], exec
	s_or_b64 s[4:5], s[4:5], s[8:9]
	s_or_b64 exec, exec, s[6:7]
	s_and_saveexec_b64 s[6:7], s[4:5]
	s_cbranch_execnz .LBB13_1151
	s_branch .LBB13_1152
.LBB13_3201:
	s_movk_i32 s4, 0x80
	v_cmp_eq_u16_sdwa s[12:13], v6, s4 src0_sel:BYTE_0 src1_sel:DWORD
	s_mov_b64 s[4:5], -1
                                        ; implicit-def: $sgpr10
	s_and_saveexec_b64 s[8:9], s[12:13]
; %bb.3202:
	s_mov_b32 s10, 0x7f800001
	s_xor_b64 s[4:5], exec, -1
; %bb.3203:
	s_or_b64 exec, exec, s[8:9]
	s_and_b64 s[4:5], s[4:5], exec
	s_or_saveexec_b64 s[6:7], s[6:7]
	v_mov_b32_e32 v10, s10
	s_xor_b64 exec, exec, s[6:7]
	s_cbranch_execz .LBB13_1154
.LBB13_3204:
	v_mov_b32_e32 v10, 0
	v_cmp_ne_u16_sdwa s[8:9], v6, v10 src0_sel:BYTE_0 src1_sel:DWORD
	s_andn2_b64 s[4:5], s[4:5], exec
	s_and_b64 s[8:9], s[8:9], exec
	s_or_b64 s[4:5], s[4:5], s[8:9]
	s_or_b64 exec, exec, s[6:7]
	s_and_saveexec_b64 s[6:7], s[4:5]
	s_cbranch_execnz .LBB13_1155
	s_branch .LBB13_1156
.LBB13_3205:
	s_movk_i32 s4, 0x80
	v_cmp_eq_u16_sdwa s[12:13], v2, s4 src0_sel:BYTE_0 src1_sel:DWORD
	s_mov_b64 s[4:5], -1
                                        ; implicit-def: $sgpr10
	s_and_saveexec_b64 s[8:9], s[12:13]
; %bb.3206:
	s_mov_b32 s10, 0x7f800001
	s_xor_b64 s[4:5], exec, -1
; %bb.3207:
	s_or_b64 exec, exec, s[8:9]
	s_and_b64 s[4:5], s[4:5], exec
	s_or_saveexec_b64 s[6:7], s[6:7]
	v_mov_b32_e32 v11, s10
	s_xor_b64 exec, exec, s[6:7]
	s_cbranch_execz .LBB13_1158
.LBB13_3208:
	v_mov_b32_e32 v11, 0
	v_cmp_ne_u16_sdwa s[8:9], v2, v11 src0_sel:BYTE_0 src1_sel:DWORD
	s_andn2_b64 s[4:5], s[4:5], exec
	s_and_b64 s[8:9], s[8:9], exec
	s_or_b64 s[4:5], s[4:5], s[8:9]
	s_or_b64 exec, exec, s[6:7]
	s_and_saveexec_b64 s[6:7], s[4:5]
	s_cbranch_execnz .LBB13_1159
	s_branch .LBB13_1160
.LBB13_3209:
	s_movk_i32 s4, 0x80
	v_cmp_eq_u16_sdwa s[12:13], v11, s4 src0_sel:BYTE_0 src1_sel:DWORD
	s_mov_b64 s[4:5], -1
                                        ; implicit-def: $sgpr10
	s_and_saveexec_b64 s[8:9], s[12:13]
; %bb.3210:
	s_mov_b32 s10, 0x7f800001
	s_xor_b64 s[4:5], exec, -1
; %bb.3211:
	s_or_b64 exec, exec, s[8:9]
	s_and_b64 s[4:5], s[4:5], exec
	s_or_saveexec_b64 s[6:7], s[6:7]
	v_mov_b32_e32 v10, s10
	s_xor_b64 exec, exec, s[6:7]
	s_cbranch_execz .LBB13_1162
.LBB13_3212:
	v_mov_b32_e32 v10, 0
	v_cmp_ne_u16_sdwa s[8:9], v11, v10 src0_sel:BYTE_0 src1_sel:DWORD
	s_andn2_b64 s[4:5], s[4:5], exec
	s_and_b64 s[8:9], s[8:9], exec
	s_or_b64 s[4:5], s[4:5], s[8:9]
	s_or_b64 exec, exec, s[6:7]
	s_and_saveexec_b64 s[6:7], s[4:5]
	s_cbranch_execnz .LBB13_1163
	s_branch .LBB13_1164
.LBB13_3213:
	s_movk_i32 s4, 0x80
	v_cmp_eq_u16_sdwa s[12:13], v11, s4 src0_sel:BYTE_0 src1_sel:DWORD
	s_mov_b64 s[4:5], -1
                                        ; implicit-def: $sgpr10
	s_and_saveexec_b64 s[8:9], s[12:13]
; %bb.3214:
	s_mov_b32 s10, 0x7f800001
	s_xor_b64 s[4:5], exec, -1
; %bb.3215:
	s_or_b64 exec, exec, s[8:9]
	s_and_b64 s[4:5], s[4:5], exec
	s_or_saveexec_b64 s[6:7], s[6:7]
	v_mov_b32_e32 v12, s10
	s_xor_b64 exec, exec, s[6:7]
	s_cbranch_execz .LBB13_1166
.LBB13_3216:
	v_mov_b32_e32 v12, 0
	v_cmp_ne_u16_sdwa s[8:9], v11, v12 src0_sel:BYTE_0 src1_sel:DWORD
	s_andn2_b64 s[4:5], s[4:5], exec
	s_and_b64 s[8:9], s[8:9], exec
	s_or_b64 s[4:5], s[4:5], s[8:9]
	s_or_b64 exec, exec, s[6:7]
	s_and_saveexec_b64 s[6:7], s[4:5]
	s_cbranch_execnz .LBB13_1167
	s_branch .LBB13_1168
.LBB13_3217:
	s_movk_i32 s4, 0x80
	v_cmp_eq_u16_e32 vcc, s4, v11
	s_mov_b64 s[4:5], -1
                                        ; implicit-def: $sgpr10
	s_and_saveexec_b64 s[8:9], vcc
; %bb.3218:
	s_mov_b32 s10, 0x7f800001
	s_xor_b64 s[4:5], exec, -1
; %bb.3219:
	s_or_b64 exec, exec, s[8:9]
	s_and_b64 s[4:5], s[4:5], exec
                                        ; implicit-def: $vgpr11
	s_or_saveexec_b64 s[6:7], s[6:7]
	v_mov_b32_e32 v10, s10
	s_xor_b64 exec, exec, s[6:7]
	s_cbranch_execz .LBB13_1170
.LBB13_3220:
	v_cmp_ne_u16_e32 vcc, 0, v11
	s_andn2_b64 s[4:5], s[4:5], exec
	s_and_b64 s[8:9], vcc, exec
	v_mov_b32_e32 v10, 0
	s_or_b64 s[4:5], s[4:5], s[8:9]
	s_or_b64 exec, exec, s[6:7]
	s_and_saveexec_b64 s[6:7], s[4:5]
	s_cbranch_execnz .LBB13_1171
	s_branch .LBB13_1172
.LBB13_3221:
	s_movk_i32 s4, 0x80
	v_cmp_eq_u16_e32 vcc, s4, v11
	s_mov_b64 s[4:5], -1
                                        ; implicit-def: $sgpr10
	s_and_saveexec_b64 s[8:9], vcc
; %bb.3222:
	s_mov_b32 s10, 0x7f800001
	s_xor_b64 s[4:5], exec, -1
; %bb.3223:
	s_or_b64 exec, exec, s[8:9]
	s_and_b64 s[4:5], s[4:5], exec
                                        ; implicit-def: $vgpr11
	s_or_saveexec_b64 s[6:7], s[6:7]
	v_mov_b32_e32 v12, s10
	s_xor_b64 exec, exec, s[6:7]
	s_cbranch_execz .LBB13_1174
.LBB13_3224:
	v_cmp_ne_u16_e32 vcc, 0, v11
	s_andn2_b64 s[4:5], s[4:5], exec
	s_and_b64 s[8:9], vcc, exec
	v_mov_b32_e32 v12, 0
	s_or_b64 s[4:5], s[4:5], s[8:9]
	s_or_b64 exec, exec, s[6:7]
	s_and_saveexec_b64 s[6:7], s[4:5]
	s_cbranch_execnz .LBB13_1175
	s_branch .LBB13_1176
.LBB13_3225:
	s_movk_i32 s4, 0x80
	v_cmp_eq_u16_sdwa s[12:13], v6, s4 src0_sel:BYTE_3 src1_sel:DWORD
	s_mov_b64 s[4:5], -1
                                        ; implicit-def: $sgpr10
	s_and_saveexec_b64 s[8:9], s[12:13]
; %bb.3226:
	s_mov_b32 s10, 0x7f800001
	s_xor_b64 s[4:5], exec, -1
; %bb.3227:
	s_or_b64 exec, exec, s[8:9]
	s_and_b64 s[4:5], s[4:5], exec
	s_or_saveexec_b64 s[6:7], s[6:7]
	v_mov_b32_e32 v10, s10
	s_xor_b64 exec, exec, s[6:7]
	s_cbranch_execz .LBB13_1178
.LBB13_3228:
	v_mov_b32_e32 v10, 0
	v_cmp_ne_u16_sdwa s[8:9], v6, v10 src0_sel:BYTE_3 src1_sel:DWORD
	s_andn2_b64 s[4:5], s[4:5], exec
	s_and_b64 s[8:9], s[8:9], exec
	s_or_b64 s[4:5], s[4:5], s[8:9]
	s_or_b64 exec, exec, s[6:7]
	s_and_saveexec_b64 s[6:7], s[4:5]
	s_cbranch_execnz .LBB13_1179
	s_branch .LBB13_1180
.LBB13_3229:
	s_movk_i32 s4, 0x80
	v_cmp_eq_u16_sdwa s[12:13], v2, s4 src0_sel:BYTE_3 src1_sel:DWORD
	s_mov_b64 s[4:5], -1
                                        ; implicit-def: $sgpr10
	s_and_saveexec_b64 s[8:9], s[12:13]
; %bb.3230:
	s_mov_b32 s10, 0x7f800001
	s_xor_b64 s[4:5], exec, -1
; %bb.3231:
	s_or_b64 exec, exec, s[8:9]
	s_and_b64 s[4:5], s[4:5], exec
	s_or_saveexec_b64 s[6:7], s[6:7]
	v_mov_b32_e32 v6, s10
	s_xor_b64 exec, exec, s[6:7]
	s_cbranch_execz .LBB13_1182
.LBB13_3232:
	v_mov_b32_e32 v6, 0
	v_cmp_ne_u16_sdwa s[8:9], v2, v6 src0_sel:BYTE_3 src1_sel:DWORD
	s_andn2_b64 s[4:5], s[4:5], exec
	s_and_b64 s[8:9], s[8:9], exec
	s_or_b64 s[4:5], s[4:5], s[8:9]
	s_or_b64 exec, exec, s[6:7]
	s_and_saveexec_b64 s[6:7], s[4:5]
	s_cbranch_execnz .LBB13_1183
	s_branch .LBB13_1184
.LBB13_3233:
	s_movk_i32 s4, 0x80
	v_cmp_eq_u16_sdwa s[12:13], v7, s4 src0_sel:BYTE_0 src1_sel:DWORD
	s_mov_b64 s[4:5], -1
                                        ; implicit-def: $sgpr10
	s_and_saveexec_b64 s[8:9], s[12:13]
; %bb.3234:
	s_mov_b32 s10, 0x7f800001
	s_xor_b64 s[4:5], exec, -1
; %bb.3235:
	s_or_b64 exec, exec, s[8:9]
	s_and_b64 s[4:5], s[4:5], exec
	s_or_saveexec_b64 s[6:7], s[6:7]
	v_mov_b32_e32 v2, s10
	s_xor_b64 exec, exec, s[6:7]
	s_cbranch_execz .LBB13_1186
.LBB13_3236:
	v_mov_b32_e32 v2, 0
	v_cmp_ne_u16_sdwa s[8:9], v7, v2 src0_sel:BYTE_0 src1_sel:DWORD
	s_andn2_b64 s[4:5], s[4:5], exec
	s_and_b64 s[8:9], s[8:9], exec
	s_or_b64 s[4:5], s[4:5], s[8:9]
	s_or_b64 exec, exec, s[6:7]
	s_and_saveexec_b64 s[6:7], s[4:5]
	s_cbranch_execnz .LBB13_1187
	s_branch .LBB13_1188
.LBB13_3237:
	s_movk_i32 s4, 0x80
	v_cmp_eq_u16_sdwa s[12:13], v3, s4 src0_sel:BYTE_0 src1_sel:DWORD
	s_mov_b64 s[4:5], -1
                                        ; implicit-def: $sgpr10
	s_and_saveexec_b64 s[8:9], s[12:13]
; %bb.3238:
	s_mov_b32 s10, 0x7f800001
	s_xor_b64 s[4:5], exec, -1
; %bb.3239:
	s_or_b64 exec, exec, s[8:9]
	s_and_b64 s[4:5], s[4:5], exec
	s_or_saveexec_b64 s[6:7], s[6:7]
	v_mov_b32_e32 v6, s10
	s_xor_b64 exec, exec, s[6:7]
	s_cbranch_execz .LBB13_1190
.LBB13_3240:
	v_mov_b32_e32 v6, 0
	v_cmp_ne_u16_sdwa s[8:9], v3, v6 src0_sel:BYTE_0 src1_sel:DWORD
	s_andn2_b64 s[4:5], s[4:5], exec
	s_and_b64 s[8:9], s[8:9], exec
	s_or_b64 s[4:5], s[4:5], s[8:9]
	s_or_b64 exec, exec, s[6:7]
	s_and_saveexec_b64 s[6:7], s[4:5]
	s_cbranch_execnz .LBB13_1191
	s_branch .LBB13_1192
.LBB13_3241:
	s_movk_i32 s4, 0x80
	v_cmp_eq_u16_sdwa s[12:13], v6, s4 src0_sel:BYTE_0 src1_sel:DWORD
	s_mov_b64 s[4:5], -1
                                        ; implicit-def: $sgpr10
	s_and_saveexec_b64 s[8:9], s[12:13]
; %bb.3242:
	s_mov_b32 s10, 0x7f800001
	s_xor_b64 s[4:5], exec, -1
; %bb.3243:
	s_or_b64 exec, exec, s[8:9]
	s_and_b64 s[4:5], s[4:5], exec
	s_or_saveexec_b64 s[6:7], s[6:7]
	v_mov_b32_e32 v2, s10
	s_xor_b64 exec, exec, s[6:7]
	s_cbranch_execz .LBB13_1194
.LBB13_3244:
	v_mov_b32_e32 v2, 0
	v_cmp_ne_u16_sdwa s[8:9], v6, v2 src0_sel:BYTE_0 src1_sel:DWORD
	s_andn2_b64 s[4:5], s[4:5], exec
	s_and_b64 s[8:9], s[8:9], exec
	s_or_b64 s[4:5], s[4:5], s[8:9]
	s_or_b64 exec, exec, s[6:7]
	s_and_saveexec_b64 s[6:7], s[4:5]
	s_cbranch_execnz .LBB13_1195
	s_branch .LBB13_1196
.LBB13_3245:
	s_movk_i32 s4, 0x80
	v_cmp_eq_u16_sdwa s[12:13], v6, s4 src0_sel:BYTE_0 src1_sel:DWORD
	s_mov_b64 s[4:5], -1
                                        ; implicit-def: $sgpr10
	s_and_saveexec_b64 s[8:9], s[12:13]
; %bb.3246:
	s_mov_b32 s10, 0x7f800001
	s_xor_b64 s[4:5], exec, -1
; %bb.3247:
	s_or_b64 exec, exec, s[8:9]
	s_and_b64 s[4:5], s[4:5], exec
	s_or_saveexec_b64 s[6:7], s[6:7]
	v_mov_b32_e32 v10, s10
	s_xor_b64 exec, exec, s[6:7]
	s_cbranch_execz .LBB13_1198
.LBB13_3248:
	v_mov_b32_e32 v10, 0
	v_cmp_ne_u16_sdwa s[8:9], v6, v10 src0_sel:BYTE_0 src1_sel:DWORD
	s_andn2_b64 s[4:5], s[4:5], exec
	s_and_b64 s[8:9], s[8:9], exec
	s_or_b64 s[4:5], s[4:5], s[8:9]
	s_or_b64 exec, exec, s[6:7]
	s_and_saveexec_b64 s[6:7], s[4:5]
	s_cbranch_execnz .LBB13_1199
	s_branch .LBB13_1200
.LBB13_3249:
	s_movk_i32 s4, 0x80
	v_cmp_eq_u16_e32 vcc, s4, v6
	s_mov_b64 s[4:5], -1
                                        ; implicit-def: $sgpr10
	s_and_saveexec_b64 s[8:9], vcc
; %bb.3250:
	s_mov_b32 s10, 0x7f800001
	s_xor_b64 s[4:5], exec, -1
; %bb.3251:
	s_or_b64 exec, exec, s[8:9]
	s_and_b64 s[4:5], s[4:5], exec
                                        ; implicit-def: $vgpr6
	s_or_saveexec_b64 s[6:7], s[6:7]
	v_mov_b32_e32 v2, s10
	s_xor_b64 exec, exec, s[6:7]
	s_cbranch_execz .LBB13_1202
.LBB13_3252:
	v_cmp_ne_u16_e32 vcc, 0, v6
	s_andn2_b64 s[4:5], s[4:5], exec
	s_and_b64 s[8:9], vcc, exec
	v_mov_b32_e32 v2, 0
	s_or_b64 s[4:5], s[4:5], s[8:9]
	s_or_b64 exec, exec, s[6:7]
	s_and_saveexec_b64 s[6:7], s[4:5]
	s_cbranch_execnz .LBB13_1203
	s_branch .LBB13_1204
.LBB13_3253:
	s_movk_i32 s4, 0x80
	v_cmp_eq_u16_e32 vcc, s4, v6
	s_mov_b64 s[4:5], -1
                                        ; implicit-def: $sgpr10
	s_and_saveexec_b64 s[8:9], vcc
; %bb.3254:
	s_mov_b32 s10, 0x7f800001
	s_xor_b64 s[4:5], exec, -1
; %bb.3255:
	s_or_b64 exec, exec, s[8:9]
	s_and_b64 s[4:5], s[4:5], exec
                                        ; implicit-def: $vgpr6
	s_or_saveexec_b64 s[6:7], s[6:7]
	v_mov_b32_e32 v10, s10
	s_xor_b64 exec, exec, s[6:7]
	s_cbranch_execz .LBB13_1206
.LBB13_3256:
	v_cmp_ne_u16_e32 vcc, 0, v6
	s_andn2_b64 s[4:5], s[4:5], exec
	s_and_b64 s[8:9], vcc, exec
	v_mov_b32_e32 v10, 0
	s_or_b64 s[4:5], s[4:5], s[8:9]
	s_or_b64 exec, exec, s[6:7]
	s_and_saveexec_b64 s[6:7], s[4:5]
	s_cbranch_execnz .LBB13_1207
	s_branch .LBB13_1208
.LBB13_3257:
	s_movk_i32 s4, 0x80
	v_cmp_eq_u16_sdwa s[12:13], v7, s4 src0_sel:BYTE_3 src1_sel:DWORD
	s_mov_b64 s[4:5], -1
                                        ; implicit-def: $sgpr10
	s_and_saveexec_b64 s[8:9], s[12:13]
; %bb.3258:
	s_mov_b32 s10, 0x7f800001
	s_xor_b64 s[4:5], exec, -1
; %bb.3259:
	s_or_b64 exec, exec, s[8:9]
	s_and_b64 s[4:5], s[4:5], exec
	s_or_saveexec_b64 s[6:7], s[6:7]
	v_mov_b32_e32 v2, s10
	s_xor_b64 exec, exec, s[6:7]
	s_cbranch_execz .LBB13_1210
.LBB13_3260:
	v_mov_b32_e32 v2, 0
	v_cmp_ne_u16_sdwa s[8:9], v7, v2 src0_sel:BYTE_3 src1_sel:DWORD
	s_andn2_b64 s[4:5], s[4:5], exec
	s_and_b64 s[8:9], s[8:9], exec
	s_or_b64 s[4:5], s[4:5], s[8:9]
	s_or_b64 exec, exec, s[6:7]
	s_and_saveexec_b64 s[6:7], s[4:5]
	s_cbranch_execnz .LBB13_1211
	s_branch .LBB13_1212
.LBB13_3261:
	s_movk_i32 s4, 0x80
	v_cmp_eq_u16_sdwa s[12:13], v3, s4 src0_sel:BYTE_3 src1_sel:DWORD
	s_mov_b64 s[4:5], -1
                                        ; implicit-def: $sgpr10
	s_and_saveexec_b64 s[8:9], s[12:13]
; %bb.3262:
	s_mov_b32 s10, 0x7f800001
	s_xor_b64 s[4:5], exec, -1
; %bb.3263:
	s_or_b64 exec, exec, s[8:9]
	s_and_b64 s[4:5], s[4:5], exec
	s_or_saveexec_b64 s[6:7], s[6:7]
	v_mov_b32_e32 v6, s10
	s_xor_b64 exec, exec, s[6:7]
	s_cbranch_execz .LBB13_1214
.LBB13_3264:
	v_mov_b32_e32 v6, 0
	v_cmp_ne_u16_sdwa s[8:9], v3, v6 src0_sel:BYTE_3 src1_sel:DWORD
	s_andn2_b64 s[4:5], s[4:5], exec
	s_and_b64 s[8:9], s[8:9], exec
	s_or_b64 s[4:5], s[4:5], s[8:9]
	s_or_b64 exec, exec, s[6:7]
	s_and_saveexec_b64 s[6:7], s[4:5]
	s_cbranch_execnz .LBB13_1215
	s_branch .LBB13_1216
.LBB13_3265:
	s_movk_i32 s4, 0x80
	v_cmp_eq_u16_sdwa s[12:13], v8, s4 src0_sel:BYTE_0 src1_sel:DWORD
	s_mov_b64 s[4:5], -1
                                        ; implicit-def: $sgpr10
	s_and_saveexec_b64 s[8:9], s[12:13]
; %bb.3266:
	s_mov_b32 s10, 0x7f800001
	s_xor_b64 s[4:5], exec, -1
; %bb.3267:
	s_or_b64 exec, exec, s[8:9]
	s_and_b64 s[4:5], s[4:5], exec
	s_or_saveexec_b64 s[6:7], s[6:7]
	v_mov_b32_e32 v2, s10
	s_xor_b64 exec, exec, s[6:7]
	s_cbranch_execz .LBB13_1218
.LBB13_3268:
	v_mov_b32_e32 v2, 0
	v_cmp_ne_u16_sdwa s[8:9], v8, v2 src0_sel:BYTE_0 src1_sel:DWORD
	s_andn2_b64 s[4:5], s[4:5], exec
	s_and_b64 s[8:9], s[8:9], exec
	s_or_b64 s[4:5], s[4:5], s[8:9]
	s_or_b64 exec, exec, s[6:7]
	s_and_saveexec_b64 s[6:7], s[4:5]
	s_cbranch_execnz .LBB13_1219
	s_branch .LBB13_1220
.LBB13_3269:
	s_movk_i32 s4, 0x80
	v_cmp_eq_u16_sdwa s[12:13], v4, s4 src0_sel:BYTE_0 src1_sel:DWORD
	s_mov_b64 s[4:5], -1
                                        ; implicit-def: $sgpr10
	s_and_saveexec_b64 s[8:9], s[12:13]
; %bb.3270:
	s_mov_b32 s10, 0x7f800001
	s_xor_b64 s[4:5], exec, -1
; %bb.3271:
	s_or_b64 exec, exec, s[8:9]
	s_and_b64 s[4:5], s[4:5], exec
	s_or_saveexec_b64 s[6:7], s[6:7]
	v_mov_b32_e32 v3, s10
	s_xor_b64 exec, exec, s[6:7]
	s_cbranch_execz .LBB13_1222
.LBB13_3272:
	v_mov_b32_e32 v3, 0
	v_cmp_ne_u16_sdwa s[8:9], v4, v3 src0_sel:BYTE_0 src1_sel:DWORD
	s_andn2_b64 s[4:5], s[4:5], exec
	s_and_b64 s[8:9], s[8:9], exec
	s_or_b64 s[4:5], s[4:5], s[8:9]
	s_or_b64 exec, exec, s[6:7]
	s_and_saveexec_b64 s[6:7], s[4:5]
	s_cbranch_execnz .LBB13_1223
	s_branch .LBB13_1224
.LBB13_3273:
	s_movk_i32 s4, 0x80
	v_cmp_eq_u16_sdwa s[12:13], v3, s4 src0_sel:BYTE_0 src1_sel:DWORD
	s_mov_b64 s[4:5], -1
                                        ; implicit-def: $sgpr10
	s_and_saveexec_b64 s[8:9], s[12:13]
; %bb.3274:
	s_mov_b32 s10, 0x7f800001
	s_xor_b64 s[4:5], exec, -1
; %bb.3275:
	s_or_b64 exec, exec, s[8:9]
	s_and_b64 s[4:5], s[4:5], exec
	s_or_saveexec_b64 s[6:7], s[6:7]
	v_mov_b32_e32 v2, s10
	s_xor_b64 exec, exec, s[6:7]
	s_cbranch_execz .LBB13_1226
.LBB13_3276:
	v_mov_b32_e32 v2, 0
	v_cmp_ne_u16_sdwa s[8:9], v3, v2 src0_sel:BYTE_0 src1_sel:DWORD
	s_andn2_b64 s[4:5], s[4:5], exec
	s_and_b64 s[8:9], s[8:9], exec
	s_or_b64 s[4:5], s[4:5], s[8:9]
	s_or_b64 exec, exec, s[6:7]
	s_and_saveexec_b64 s[6:7], s[4:5]
	s_cbranch_execnz .LBB13_1227
	s_branch .LBB13_1228
.LBB13_3277:
	s_movk_i32 s4, 0x80
	v_cmp_eq_u16_sdwa s[12:13], v3, s4 src0_sel:BYTE_0 src1_sel:DWORD
	s_mov_b64 s[4:5], -1
                                        ; implicit-def: $sgpr10
	s_and_saveexec_b64 s[8:9], s[12:13]
; %bb.3278:
	s_mov_b32 s10, 0x7f800001
	s_xor_b64 s[4:5], exec, -1
; %bb.3279:
	s_or_b64 exec, exec, s[8:9]
	s_and_b64 s[4:5], s[4:5], exec
	s_or_saveexec_b64 s[6:7], s[6:7]
	v_mov_b32_e32 v6, s10
	s_xor_b64 exec, exec, s[6:7]
	s_cbranch_execz .LBB13_1230
.LBB13_3280:
	v_mov_b32_e32 v6, 0
	v_cmp_ne_u16_sdwa s[8:9], v3, v6 src0_sel:BYTE_0 src1_sel:DWORD
	s_andn2_b64 s[4:5], s[4:5], exec
	s_and_b64 s[8:9], s[8:9], exec
	s_or_b64 s[4:5], s[4:5], s[8:9]
	s_or_b64 exec, exec, s[6:7]
	s_and_saveexec_b64 s[6:7], s[4:5]
	s_cbranch_execnz .LBB13_1231
	s_branch .LBB13_1232
.LBB13_3281:
	s_movk_i32 s4, 0x80
	v_cmp_eq_u16_e32 vcc, s4, v3
	s_mov_b64 s[4:5], -1
                                        ; implicit-def: $sgpr10
	s_and_saveexec_b64 s[8:9], vcc
; %bb.3282:
	s_mov_b32 s10, 0x7f800001
	s_xor_b64 s[4:5], exec, -1
; %bb.3283:
	s_or_b64 exec, exec, s[8:9]
	s_and_b64 s[4:5], s[4:5], exec
                                        ; implicit-def: $vgpr3
	s_or_saveexec_b64 s[6:7], s[6:7]
	v_mov_b32_e32 v2, s10
	s_xor_b64 exec, exec, s[6:7]
	s_cbranch_execz .LBB13_1234
.LBB13_3284:
	v_cmp_ne_u16_e32 vcc, 0, v3
	s_andn2_b64 s[4:5], s[4:5], exec
	s_and_b64 s[8:9], vcc, exec
	v_mov_b32_e32 v2, 0
	s_or_b64 s[4:5], s[4:5], s[8:9]
	s_or_b64 exec, exec, s[6:7]
	s_and_saveexec_b64 s[6:7], s[4:5]
	s_cbranch_execnz .LBB13_1235
	s_branch .LBB13_1236
.LBB13_3285:
	s_movk_i32 s4, 0x80
	v_cmp_eq_u16_e32 vcc, s4, v3
	s_mov_b64 s[4:5], -1
                                        ; implicit-def: $sgpr10
	s_and_saveexec_b64 s[8:9], vcc
; %bb.3286:
	s_mov_b32 s10, 0x7f800001
	s_xor_b64 s[4:5], exec, -1
; %bb.3287:
	s_or_b64 exec, exec, s[8:9]
	s_and_b64 s[4:5], s[4:5], exec
                                        ; implicit-def: $vgpr3
	s_or_saveexec_b64 s[6:7], s[6:7]
	v_mov_b32_e32 v6, s10
	s_xor_b64 exec, exec, s[6:7]
	s_cbranch_execz .LBB13_1238
.LBB13_3288:
	v_cmp_ne_u16_e32 vcc, 0, v3
	s_andn2_b64 s[4:5], s[4:5], exec
	s_and_b64 s[8:9], vcc, exec
	v_mov_b32_e32 v6, 0
	s_or_b64 s[4:5], s[4:5], s[8:9]
	s_or_b64 exec, exec, s[6:7]
	s_and_saveexec_b64 s[6:7], s[4:5]
	s_cbranch_execnz .LBB13_1239
	s_branch .LBB13_1240
.LBB13_3289:
	s_movk_i32 s4, 0x80
	v_cmp_eq_u16_sdwa s[12:13], v8, s4 src0_sel:BYTE_3 src1_sel:DWORD
	s_mov_b64 s[4:5], -1
                                        ; implicit-def: $sgpr10
	s_and_saveexec_b64 s[8:9], s[12:13]
; %bb.3290:
	s_mov_b32 s10, 0x7f800001
	s_xor_b64 s[4:5], exec, -1
; %bb.3291:
	s_or_b64 exec, exec, s[8:9]
	s_and_b64 s[4:5], s[4:5], exec
	s_or_saveexec_b64 s[6:7], s[6:7]
	v_mov_b32_e32 v2, s10
	s_xor_b64 exec, exec, s[6:7]
	s_cbranch_execz .LBB13_1242
.LBB13_3292:
	v_mov_b32_e32 v2, 0
	v_cmp_ne_u16_sdwa s[8:9], v8, v2 src0_sel:BYTE_3 src1_sel:DWORD
	s_andn2_b64 s[4:5], s[4:5], exec
	s_and_b64 s[8:9], s[8:9], exec
	s_or_b64 s[4:5], s[4:5], s[8:9]
	s_or_b64 exec, exec, s[6:7]
	s_and_saveexec_b64 s[6:7], s[4:5]
	s_cbranch_execnz .LBB13_1243
	s_branch .LBB13_1244
.LBB13_3293:
	s_movk_i32 s4, 0x80
	v_cmp_eq_u16_sdwa s[12:13], v4, s4 src0_sel:BYTE_3 src1_sel:DWORD
	s_mov_b64 s[4:5], -1
                                        ; implicit-def: $sgpr10
	s_and_saveexec_b64 s[8:9], s[12:13]
; %bb.3294:
	s_mov_b32 s10, 0x7f800001
	s_xor_b64 s[4:5], exec, -1
; %bb.3295:
	s_or_b64 exec, exec, s[8:9]
	s_and_b64 s[4:5], s[4:5], exec
	s_or_saveexec_b64 s[6:7], s[6:7]
	v_mov_b32_e32 v3, s10
	s_xor_b64 exec, exec, s[6:7]
	s_cbranch_execz .LBB13_1246
.LBB13_3296:
	v_mov_b32_e32 v3, 0
	v_cmp_ne_u16_sdwa s[8:9], v4, v3 src0_sel:BYTE_3 src1_sel:DWORD
	s_andn2_b64 s[4:5], s[4:5], exec
	s_and_b64 s[8:9], s[8:9], exec
	s_or_b64 s[4:5], s[4:5], s[8:9]
	s_or_b64 exec, exec, s[6:7]
	s_and_saveexec_b64 s[6:7], s[4:5]
	s_cbranch_execnz .LBB13_1247
	s_branch .LBB13_1248
.LBB13_3297:
	s_movk_i32 s4, 0x80
	v_cmp_eq_u16_sdwa s[12:13], v9, s4 src0_sel:BYTE_0 src1_sel:DWORD
	s_mov_b64 s[4:5], -1
                                        ; implicit-def: $sgpr10
	s_and_saveexec_b64 s[8:9], s[12:13]
; %bb.3298:
	s_mov_b32 s10, 0x7f800001
	s_xor_b64 s[4:5], exec, -1
; %bb.3299:
	s_or_b64 exec, exec, s[8:9]
	s_and_b64 s[4:5], s[4:5], exec
	s_or_saveexec_b64 s[6:7], s[6:7]
	v_mov_b32_e32 v2, s10
	s_xor_b64 exec, exec, s[6:7]
	s_cbranch_execz .LBB13_1250
.LBB13_3300:
	v_mov_b32_e32 v2, 0
	v_cmp_ne_u16_sdwa s[8:9], v9, v2 src0_sel:BYTE_0 src1_sel:DWORD
	s_andn2_b64 s[4:5], s[4:5], exec
	s_and_b64 s[8:9], s[8:9], exec
	s_or_b64 s[4:5], s[4:5], s[8:9]
	s_or_b64 exec, exec, s[6:7]
	s_and_saveexec_b64 s[6:7], s[4:5]
	s_cbranch_execnz .LBB13_1251
	s_branch .LBB13_1252
.LBB13_3301:
	s_movk_i32 s4, 0x80
	v_cmp_eq_u16_sdwa s[12:13], v5, s4 src0_sel:BYTE_0 src1_sel:DWORD
	s_mov_b64 s[4:5], -1
                                        ; implicit-def: $sgpr10
	s_and_saveexec_b64 s[8:9], s[12:13]
; %bb.3302:
	s_mov_b32 s10, 0x7f800001
	s_xor_b64 s[4:5], exec, -1
; %bb.3303:
	s_or_b64 exec, exec, s[8:9]
	s_and_b64 s[4:5], s[4:5], exec
	s_or_saveexec_b64 s[6:7], s[6:7]
	v_mov_b32_e32 v3, s10
	s_xor_b64 exec, exec, s[6:7]
	s_cbranch_execz .LBB13_1254
.LBB13_3304:
	v_mov_b32_e32 v3, 0
	v_cmp_ne_u16_sdwa s[8:9], v5, v3 src0_sel:BYTE_0 src1_sel:DWORD
	s_andn2_b64 s[4:5], s[4:5], exec
	s_and_b64 s[8:9], s[8:9], exec
	s_or_b64 s[4:5], s[4:5], s[8:9]
	s_or_b64 exec, exec, s[6:7]
	s_and_saveexec_b64 s[6:7], s[4:5]
	s_cbranch_execnz .LBB13_1255
	s_branch .LBB13_1256
.LBB13_3305:
	s_movk_i32 s4, 0x80
	v_cmp_eq_u16_sdwa s[12:13], v3, s4 src0_sel:BYTE_0 src1_sel:DWORD
	s_mov_b64 s[4:5], -1
                                        ; implicit-def: $sgpr10
	s_and_saveexec_b64 s[8:9], s[12:13]
; %bb.3306:
	s_mov_b32 s10, 0x7f800001
	s_xor_b64 s[4:5], exec, -1
; %bb.3307:
	s_or_b64 exec, exec, s[8:9]
	s_and_b64 s[4:5], s[4:5], exec
	s_or_saveexec_b64 s[6:7], s[6:7]
	v_mov_b32_e32 v2, s10
	s_xor_b64 exec, exec, s[6:7]
	s_cbranch_execz .LBB13_1258
.LBB13_3308:
	v_mov_b32_e32 v2, 0
	v_cmp_ne_u16_sdwa s[8:9], v3, v2 src0_sel:BYTE_0 src1_sel:DWORD
	s_andn2_b64 s[4:5], s[4:5], exec
	s_and_b64 s[8:9], s[8:9], exec
	s_or_b64 s[4:5], s[4:5], s[8:9]
	s_or_b64 exec, exec, s[6:7]
	s_and_saveexec_b64 s[6:7], s[4:5]
	s_cbranch_execnz .LBB13_1259
	s_branch .LBB13_1260
.LBB13_3309:
	s_movk_i32 s4, 0x80
	v_cmp_eq_u16_sdwa s[12:13], v3, s4 src0_sel:BYTE_0 src1_sel:DWORD
	s_mov_b64 s[4:5], -1
                                        ; implicit-def: $sgpr10
	s_and_saveexec_b64 s[8:9], s[12:13]
; %bb.3310:
	s_mov_b32 s10, 0x7f800001
	s_xor_b64 s[4:5], exec, -1
; %bb.3311:
	s_or_b64 exec, exec, s[8:9]
	s_and_b64 s[4:5], s[4:5], exec
	s_or_saveexec_b64 s[6:7], s[6:7]
	v_mov_b32_e32 v4, s10
	s_xor_b64 exec, exec, s[6:7]
	s_cbranch_execz .LBB13_1262
.LBB13_3312:
	v_mov_b32_e32 v4, 0
	v_cmp_ne_u16_sdwa s[8:9], v3, v4 src0_sel:BYTE_0 src1_sel:DWORD
	s_andn2_b64 s[4:5], s[4:5], exec
	s_and_b64 s[8:9], s[8:9], exec
	s_or_b64 s[4:5], s[4:5], s[8:9]
	s_or_b64 exec, exec, s[6:7]
	s_and_saveexec_b64 s[6:7], s[4:5]
	s_cbranch_execnz .LBB13_1263
	s_branch .LBB13_1264
.LBB13_3313:
	s_movk_i32 s4, 0x80
	v_cmp_eq_u16_e32 vcc, s4, v3
	s_mov_b64 s[4:5], -1
                                        ; implicit-def: $sgpr10
	s_and_saveexec_b64 s[8:9], vcc
; %bb.3314:
	s_mov_b32 s10, 0x7f800001
	s_xor_b64 s[4:5], exec, -1
; %bb.3315:
	s_or_b64 exec, exec, s[8:9]
	s_and_b64 s[4:5], s[4:5], exec
                                        ; implicit-def: $vgpr3
	s_or_saveexec_b64 s[6:7], s[6:7]
	v_mov_b32_e32 v2, s10
	s_xor_b64 exec, exec, s[6:7]
	s_cbranch_execz .LBB13_1266
.LBB13_3316:
	v_cmp_ne_u16_e32 vcc, 0, v3
	s_andn2_b64 s[4:5], s[4:5], exec
	s_and_b64 s[8:9], vcc, exec
	v_mov_b32_e32 v2, 0
	s_or_b64 s[4:5], s[4:5], s[8:9]
	s_or_b64 exec, exec, s[6:7]
	s_and_saveexec_b64 s[6:7], s[4:5]
	s_cbranch_execnz .LBB13_1267
	s_branch .LBB13_1268
.LBB13_3317:
	s_movk_i32 s4, 0x80
	v_cmp_eq_u16_e32 vcc, s4, v3
	s_mov_b64 s[4:5], -1
                                        ; implicit-def: $sgpr10
	s_and_saveexec_b64 s[8:9], vcc
; %bb.3318:
	s_mov_b32 s10, 0x7f800001
	s_xor_b64 s[4:5], exec, -1
; %bb.3319:
	s_or_b64 exec, exec, s[8:9]
	s_and_b64 s[4:5], s[4:5], exec
                                        ; implicit-def: $vgpr3
	s_or_saveexec_b64 s[6:7], s[6:7]
	v_mov_b32_e32 v4, s10
	s_xor_b64 exec, exec, s[6:7]
	s_cbranch_execz .LBB13_1270
.LBB13_3320:
	v_cmp_ne_u16_e32 vcc, 0, v3
	s_andn2_b64 s[4:5], s[4:5], exec
	s_and_b64 s[8:9], vcc, exec
	v_mov_b32_e32 v4, 0
	s_or_b64 s[4:5], s[4:5], s[8:9]
	s_or_b64 exec, exec, s[6:7]
	s_and_saveexec_b64 s[6:7], s[4:5]
	s_cbranch_execnz .LBB13_1271
	s_branch .LBB13_1272
.LBB13_3321:
	s_movk_i32 s4, 0x80
	v_cmp_eq_u16_sdwa s[12:13], v9, s4 src0_sel:BYTE_3 src1_sel:DWORD
	s_mov_b64 s[4:5], -1
                                        ; implicit-def: $sgpr10
	s_and_saveexec_b64 s[8:9], s[12:13]
; %bb.3322:
	s_mov_b32 s10, 0x7f800001
	s_xor_b64 s[4:5], exec, -1
; %bb.3323:
	s_or_b64 exec, exec, s[8:9]
	s_and_b64 s[4:5], s[4:5], exec
	s_or_saveexec_b64 s[6:7], s[6:7]
	v_mov_b32_e32 v2, s10
	s_xor_b64 exec, exec, s[6:7]
	s_cbranch_execz .LBB13_1274
.LBB13_3324:
	v_mov_b32_e32 v2, 0
	v_cmp_ne_u16_sdwa s[8:9], v9, v2 src0_sel:BYTE_3 src1_sel:DWORD
	s_andn2_b64 s[4:5], s[4:5], exec
	s_and_b64 s[8:9], s[8:9], exec
	s_or_b64 s[4:5], s[4:5], s[8:9]
	s_or_b64 exec, exec, s[6:7]
	s_and_saveexec_b64 s[6:7], s[4:5]
	s_cbranch_execnz .LBB13_1275
	s_branch .LBB13_1276
.LBB13_3325:
	s_movk_i32 s4, 0x80
	v_cmp_eq_u16_sdwa s[12:13], v5, s4 src0_sel:BYTE_3 src1_sel:DWORD
	s_mov_b64 s[4:5], -1
                                        ; implicit-def: $sgpr10
	s_and_saveexec_b64 s[8:9], s[12:13]
; %bb.3326:
	s_mov_b32 s10, 0x7f800001
	s_xor_b64 s[4:5], exec, -1
; %bb.3327:
	s_or_b64 exec, exec, s[8:9]
	s_and_b64 s[4:5], s[4:5], exec
	s_or_saveexec_b64 s[6:7], s[6:7]
	v_mov_b32_e32 v3, s10
	s_xor_b64 exec, exec, s[6:7]
	s_cbranch_execz .LBB13_1278
.LBB13_3328:
	v_mov_b32_e32 v3, 0
	v_cmp_ne_u16_sdwa s[8:9], v5, v3 src0_sel:BYTE_3 src1_sel:DWORD
	s_andn2_b64 s[4:5], s[4:5], exec
	s_and_b64 s[8:9], s[8:9], exec
	s_or_b64 s[4:5], s[4:5], s[8:9]
	s_or_b64 exec, exec, s[6:7]
	s_and_saveexec_b64 s[6:7], s[4:5]
	s_cbranch_execnz .LBB13_1279
	s_branch .LBB13_1280
.LBB13_3329:
	s_movk_i32 s4, 0x80
	v_cmp_eq_u16_sdwa s[12:13], v14, s4 src0_sel:BYTE_0 src1_sel:DWORD
	s_mov_b64 s[4:5], -1
                                        ; implicit-def: $sgpr10
	s_and_saveexec_b64 s[8:9], s[12:13]
; %bb.3330:
	s_mov_b32 s10, 0x7f800001
	s_xor_b64 s[4:5], exec, -1
; %bb.3331:
	s_or_b64 exec, exec, s[8:9]
	s_and_b64 s[4:5], s[4:5], exec
	s_or_saveexec_b64 s[6:7], s[6:7]
	v_mov_b32_e32 v20, s10
	s_xor_b64 exec, exec, s[6:7]
	s_cbranch_execz .LBB13_1282
.LBB13_3332:
	v_mov_b32_e32 v20, 0
	v_cmp_ne_u16_sdwa s[8:9], v14, v20 src0_sel:BYTE_0 src1_sel:DWORD
	s_andn2_b64 s[4:5], s[4:5], exec
	s_and_b64 s[8:9], s[8:9], exec
	s_or_b64 s[4:5], s[4:5], s[8:9]
	s_or_b64 exec, exec, s[6:7]
	s_and_saveexec_b64 s[6:7], s[4:5]
	s_cbranch_execnz .LBB13_1283
	s_branch .LBB13_1284
.LBB13_3333:
	s_movk_i32 s4, 0x80
	v_cmp_eq_u16_sdwa s[12:13], v10, s4 src0_sel:BYTE_0 src1_sel:DWORD
	s_mov_b64 s[4:5], -1
                                        ; implicit-def: $sgpr10
	s_and_saveexec_b64 s[8:9], s[12:13]
; %bb.3334:
	s_mov_b32 s10, 0x7f800001
	s_xor_b64 s[4:5], exec, -1
; %bb.3335:
	s_or_b64 exec, exec, s[8:9]
	s_and_b64 s[4:5], s[4:5], exec
	s_or_saveexec_b64 s[6:7], s[6:7]
	v_mov_b32_e32 v21, s10
	s_xor_b64 exec, exec, s[6:7]
	s_cbranch_execz .LBB13_1286
.LBB13_3336:
	v_mov_b32_e32 v21, 0
	v_cmp_ne_u16_sdwa s[8:9], v10, v21 src0_sel:BYTE_0 src1_sel:DWORD
	s_andn2_b64 s[4:5], s[4:5], exec
	s_and_b64 s[8:9], s[8:9], exec
	s_or_b64 s[4:5], s[4:5], s[8:9]
	s_or_b64 exec, exec, s[6:7]
	s_and_saveexec_b64 s[6:7], s[4:5]
	s_cbranch_execnz .LBB13_1287
	s_branch .LBB13_1288
.LBB13_3337:
	s_movk_i32 s4, 0x80
	v_cmp_eq_u16_sdwa s[12:13], v21, s4 src0_sel:BYTE_0 src1_sel:DWORD
	s_mov_b64 s[4:5], -1
                                        ; implicit-def: $sgpr10
	s_and_saveexec_b64 s[8:9], s[12:13]
; %bb.3338:
	s_mov_b32 s10, 0x7f800001
	s_xor_b64 s[4:5], exec, -1
; %bb.3339:
	s_or_b64 exec, exec, s[8:9]
	s_and_b64 s[4:5], s[4:5], exec
	s_or_saveexec_b64 s[6:7], s[6:7]
	v_mov_b32_e32 v20, s10
	s_xor_b64 exec, exec, s[6:7]
	s_cbranch_execz .LBB13_1290
.LBB13_3340:
	v_mov_b32_e32 v20, 0
	v_cmp_ne_u16_sdwa s[8:9], v21, v20 src0_sel:BYTE_0 src1_sel:DWORD
	s_andn2_b64 s[4:5], s[4:5], exec
	s_and_b64 s[8:9], s[8:9], exec
	s_or_b64 s[4:5], s[4:5], s[8:9]
	s_or_b64 exec, exec, s[6:7]
	s_and_saveexec_b64 s[6:7], s[4:5]
	s_cbranch_execnz .LBB13_1291
	s_branch .LBB13_1292
.LBB13_3341:
	s_movk_i32 s4, 0x80
	v_cmp_eq_u16_sdwa s[12:13], v21, s4 src0_sel:BYTE_0 src1_sel:DWORD
	s_mov_b64 s[4:5], -1
                                        ; implicit-def: $sgpr10
	s_and_saveexec_b64 s[8:9], s[12:13]
; %bb.3342:
	s_mov_b32 s10, 0x7f800001
	s_xor_b64 s[4:5], exec, -1
; %bb.3343:
	s_or_b64 exec, exec, s[8:9]
	s_and_b64 s[4:5], s[4:5], exec
	s_or_saveexec_b64 s[6:7], s[6:7]
	v_mov_b32_e32 v22, s10
	s_xor_b64 exec, exec, s[6:7]
	s_cbranch_execz .LBB13_1294
.LBB13_3344:
	v_mov_b32_e32 v22, 0
	v_cmp_ne_u16_sdwa s[8:9], v21, v22 src0_sel:BYTE_0 src1_sel:DWORD
	s_andn2_b64 s[4:5], s[4:5], exec
	s_and_b64 s[8:9], s[8:9], exec
	s_or_b64 s[4:5], s[4:5], s[8:9]
	s_or_b64 exec, exec, s[6:7]
	s_and_saveexec_b64 s[6:7], s[4:5]
	s_cbranch_execnz .LBB13_1295
	s_branch .LBB13_1296
.LBB13_3345:
	s_movk_i32 s4, 0x80
	v_cmp_eq_u16_e32 vcc, s4, v21
	s_mov_b64 s[4:5], -1
                                        ; implicit-def: $sgpr10
	s_and_saveexec_b64 s[8:9], vcc
; %bb.3346:
	s_mov_b32 s10, 0x7f800001
	s_xor_b64 s[4:5], exec, -1
; %bb.3347:
	s_or_b64 exec, exec, s[8:9]
	s_and_b64 s[4:5], s[4:5], exec
                                        ; implicit-def: $vgpr21
	s_or_saveexec_b64 s[6:7], s[6:7]
	v_mov_b32_e32 v20, s10
	s_xor_b64 exec, exec, s[6:7]
	s_cbranch_execz .LBB13_1298
.LBB13_3348:
	v_cmp_ne_u16_e32 vcc, 0, v21
	s_andn2_b64 s[4:5], s[4:5], exec
	s_and_b64 s[8:9], vcc, exec
	v_mov_b32_e32 v20, 0
	s_or_b64 s[4:5], s[4:5], s[8:9]
	s_or_b64 exec, exec, s[6:7]
	s_and_saveexec_b64 s[6:7], s[4:5]
	s_cbranch_execnz .LBB13_1299
	s_branch .LBB13_1300
.LBB13_3349:
	s_movk_i32 s4, 0x80
	v_cmp_eq_u16_e32 vcc, s4, v21
	s_mov_b64 s[4:5], -1
                                        ; implicit-def: $sgpr10
	s_and_saveexec_b64 s[8:9], vcc
; %bb.3350:
	s_mov_b32 s10, 0x7f800001
	s_xor_b64 s[4:5], exec, -1
; %bb.3351:
	s_or_b64 exec, exec, s[8:9]
	s_and_b64 s[4:5], s[4:5], exec
                                        ; implicit-def: $vgpr21
	s_or_saveexec_b64 s[6:7], s[6:7]
	v_mov_b32_e32 v22, s10
	s_xor_b64 exec, exec, s[6:7]
	s_cbranch_execz .LBB13_1302
.LBB13_3352:
	v_cmp_ne_u16_e32 vcc, 0, v21
	s_andn2_b64 s[4:5], s[4:5], exec
	s_and_b64 s[8:9], vcc, exec
	v_mov_b32_e32 v22, 0
	s_or_b64 s[4:5], s[4:5], s[8:9]
	s_or_b64 exec, exec, s[6:7]
	s_and_saveexec_b64 s[6:7], s[4:5]
	s_cbranch_execnz .LBB13_1303
	s_branch .LBB13_1304
.LBB13_3353:
	s_movk_i32 s4, 0x80
	v_cmp_eq_u16_sdwa s[12:13], v14, s4 src0_sel:BYTE_3 src1_sel:DWORD
	s_mov_b64 s[4:5], -1
                                        ; implicit-def: $sgpr10
	s_and_saveexec_b64 s[8:9], s[12:13]
; %bb.3354:
	s_mov_b32 s10, 0x7f800001
	s_xor_b64 s[4:5], exec, -1
; %bb.3355:
	s_or_b64 exec, exec, s[8:9]
	s_and_b64 s[4:5], s[4:5], exec
	s_or_saveexec_b64 s[6:7], s[6:7]
	v_mov_b32_e32 v20, s10
	s_xor_b64 exec, exec, s[6:7]
	s_cbranch_execz .LBB13_1306
.LBB13_3356:
	v_mov_b32_e32 v20, 0
	v_cmp_ne_u16_sdwa s[8:9], v14, v20 src0_sel:BYTE_3 src1_sel:DWORD
	s_andn2_b64 s[4:5], s[4:5], exec
	s_and_b64 s[8:9], s[8:9], exec
	s_or_b64 s[4:5], s[4:5], s[8:9]
	s_or_b64 exec, exec, s[6:7]
	s_and_saveexec_b64 s[6:7], s[4:5]
	s_cbranch_execnz .LBB13_1307
	s_branch .LBB13_1308
.LBB13_3357:
	s_movk_i32 s4, 0x80
	v_cmp_eq_u16_sdwa s[12:13], v10, s4 src0_sel:BYTE_3 src1_sel:DWORD
	s_mov_b64 s[4:5], -1
                                        ; implicit-def: $sgpr10
	s_and_saveexec_b64 s[8:9], s[12:13]
; %bb.3358:
	s_mov_b32 s10, 0x7f800001
	s_xor_b64 s[4:5], exec, -1
; %bb.3359:
	s_or_b64 exec, exec, s[8:9]
	s_and_b64 s[4:5], s[4:5], exec
	s_or_saveexec_b64 s[6:7], s[6:7]
	v_mov_b32_e32 v14, s10
	s_xor_b64 exec, exec, s[6:7]
	s_cbranch_execz .LBB13_1310
.LBB13_3360:
	v_mov_b32_e32 v14, 0
	v_cmp_ne_u16_sdwa s[8:9], v10, v14 src0_sel:BYTE_3 src1_sel:DWORD
	s_andn2_b64 s[4:5], s[4:5], exec
	s_and_b64 s[8:9], s[8:9], exec
	s_or_b64 s[4:5], s[4:5], s[8:9]
	s_or_b64 exec, exec, s[6:7]
	s_and_saveexec_b64 s[6:7], s[4:5]
	s_cbranch_execnz .LBB13_1311
	s_branch .LBB13_1312
.LBB13_3361:
	s_movk_i32 s4, 0x80
	v_cmp_eq_u16_sdwa s[12:13], v15, s4 src0_sel:BYTE_0 src1_sel:DWORD
	s_mov_b64 s[4:5], -1
                                        ; implicit-def: $sgpr10
	s_and_saveexec_b64 s[8:9], s[12:13]
; %bb.3362:
	s_mov_b32 s10, 0x7f800001
	s_xor_b64 s[4:5], exec, -1
; %bb.3363:
	s_or_b64 exec, exec, s[8:9]
	s_and_b64 s[4:5], s[4:5], exec
	s_or_saveexec_b64 s[6:7], s[6:7]
	v_mov_b32_e32 v10, s10
	s_xor_b64 exec, exec, s[6:7]
	s_cbranch_execz .LBB13_1314
.LBB13_3364:
	v_mov_b32_e32 v10, 0
	v_cmp_ne_u16_sdwa s[8:9], v15, v10 src0_sel:BYTE_0 src1_sel:DWORD
	s_andn2_b64 s[4:5], s[4:5], exec
	s_and_b64 s[8:9], s[8:9], exec
	s_or_b64 s[4:5], s[4:5], s[8:9]
	s_or_b64 exec, exec, s[6:7]
	s_and_saveexec_b64 s[6:7], s[4:5]
	s_cbranch_execnz .LBB13_1315
	s_branch .LBB13_1316
.LBB13_3365:
	s_movk_i32 s4, 0x80
	v_cmp_eq_u16_sdwa s[12:13], v11, s4 src0_sel:BYTE_0 src1_sel:DWORD
	s_mov_b64 s[4:5], -1
                                        ; implicit-def: $sgpr10
	s_and_saveexec_b64 s[8:9], s[12:13]
; %bb.3366:
	s_mov_b32 s10, 0x7f800001
	s_xor_b64 s[4:5], exec, -1
; %bb.3367:
	s_or_b64 exec, exec, s[8:9]
	s_and_b64 s[4:5], s[4:5], exec
	s_or_saveexec_b64 s[6:7], s[6:7]
	v_mov_b32_e32 v14, s10
	s_xor_b64 exec, exec, s[6:7]
	s_cbranch_execz .LBB13_1318
.LBB13_3368:
	v_mov_b32_e32 v14, 0
	v_cmp_ne_u16_sdwa s[8:9], v11, v14 src0_sel:BYTE_0 src1_sel:DWORD
	s_andn2_b64 s[4:5], s[4:5], exec
	s_and_b64 s[8:9], s[8:9], exec
	s_or_b64 s[4:5], s[4:5], s[8:9]
	s_or_b64 exec, exec, s[6:7]
	s_and_saveexec_b64 s[6:7], s[4:5]
	s_cbranch_execnz .LBB13_1319
	s_branch .LBB13_1320
.LBB13_3369:
	s_movk_i32 s4, 0x80
	v_cmp_eq_u16_sdwa s[12:13], v14, s4 src0_sel:BYTE_0 src1_sel:DWORD
	s_mov_b64 s[4:5], -1
                                        ; implicit-def: $sgpr10
	s_and_saveexec_b64 s[8:9], s[12:13]
; %bb.3370:
	s_mov_b32 s10, 0x7f800001
	s_xor_b64 s[4:5], exec, -1
; %bb.3371:
	s_or_b64 exec, exec, s[8:9]
	s_and_b64 s[4:5], s[4:5], exec
	s_or_saveexec_b64 s[6:7], s[6:7]
	v_mov_b32_e32 v10, s10
	s_xor_b64 exec, exec, s[6:7]
	s_cbranch_execz .LBB13_1322
.LBB13_3372:
	v_mov_b32_e32 v10, 0
	v_cmp_ne_u16_sdwa s[8:9], v14, v10 src0_sel:BYTE_0 src1_sel:DWORD
	s_andn2_b64 s[4:5], s[4:5], exec
	s_and_b64 s[8:9], s[8:9], exec
	s_or_b64 s[4:5], s[4:5], s[8:9]
	s_or_b64 exec, exec, s[6:7]
	s_and_saveexec_b64 s[6:7], s[4:5]
	s_cbranch_execnz .LBB13_1323
	s_branch .LBB13_1324
.LBB13_3373:
	s_movk_i32 s4, 0x80
	v_cmp_eq_u16_sdwa s[12:13], v14, s4 src0_sel:BYTE_0 src1_sel:DWORD
	s_mov_b64 s[4:5], -1
                                        ; implicit-def: $sgpr10
	s_and_saveexec_b64 s[8:9], s[12:13]
; %bb.3374:
	s_mov_b32 s10, 0x7f800001
	s_xor_b64 s[4:5], exec, -1
; %bb.3375:
	s_or_b64 exec, exec, s[8:9]
	s_and_b64 s[4:5], s[4:5], exec
	s_or_saveexec_b64 s[6:7], s[6:7]
	v_mov_b32_e32 v20, s10
	s_xor_b64 exec, exec, s[6:7]
	s_cbranch_execz .LBB13_1326
.LBB13_3376:
	v_mov_b32_e32 v20, 0
	v_cmp_ne_u16_sdwa s[8:9], v14, v20 src0_sel:BYTE_0 src1_sel:DWORD
	s_andn2_b64 s[4:5], s[4:5], exec
	s_and_b64 s[8:9], s[8:9], exec
	s_or_b64 s[4:5], s[4:5], s[8:9]
	s_or_b64 exec, exec, s[6:7]
	s_and_saveexec_b64 s[6:7], s[4:5]
	s_cbranch_execnz .LBB13_1327
	s_branch .LBB13_1328
.LBB13_3377:
	s_movk_i32 s4, 0x80
	v_cmp_eq_u16_e32 vcc, s4, v14
	s_mov_b64 s[4:5], -1
                                        ; implicit-def: $sgpr10
	s_and_saveexec_b64 s[8:9], vcc
; %bb.3378:
	s_mov_b32 s10, 0x7f800001
	s_xor_b64 s[4:5], exec, -1
; %bb.3379:
	s_or_b64 exec, exec, s[8:9]
	s_and_b64 s[4:5], s[4:5], exec
                                        ; implicit-def: $vgpr14
	s_or_saveexec_b64 s[6:7], s[6:7]
	v_mov_b32_e32 v10, s10
	s_xor_b64 exec, exec, s[6:7]
	s_cbranch_execz .LBB13_1330
.LBB13_3380:
	v_cmp_ne_u16_e32 vcc, 0, v14
	s_andn2_b64 s[4:5], s[4:5], exec
	s_and_b64 s[8:9], vcc, exec
	v_mov_b32_e32 v10, 0
	s_or_b64 s[4:5], s[4:5], s[8:9]
	s_or_b64 exec, exec, s[6:7]
	s_and_saveexec_b64 s[6:7], s[4:5]
	s_cbranch_execnz .LBB13_1331
	s_branch .LBB13_1332
.LBB13_3381:
	s_movk_i32 s4, 0x80
	v_cmp_eq_u16_e32 vcc, s4, v14
	s_mov_b64 s[4:5], -1
                                        ; implicit-def: $sgpr10
	s_and_saveexec_b64 s[8:9], vcc
; %bb.3382:
	s_mov_b32 s10, 0x7f800001
	s_xor_b64 s[4:5], exec, -1
; %bb.3383:
	s_or_b64 exec, exec, s[8:9]
	s_and_b64 s[4:5], s[4:5], exec
                                        ; implicit-def: $vgpr14
	s_or_saveexec_b64 s[6:7], s[6:7]
	v_mov_b32_e32 v20, s10
	s_xor_b64 exec, exec, s[6:7]
	s_cbranch_execz .LBB13_1334
.LBB13_3384:
	v_cmp_ne_u16_e32 vcc, 0, v14
	s_andn2_b64 s[4:5], s[4:5], exec
	s_and_b64 s[8:9], vcc, exec
	v_mov_b32_e32 v20, 0
	s_or_b64 s[4:5], s[4:5], s[8:9]
	s_or_b64 exec, exec, s[6:7]
	s_and_saveexec_b64 s[6:7], s[4:5]
	s_cbranch_execnz .LBB13_1335
	s_branch .LBB13_1336
.LBB13_3385:
	s_movk_i32 s4, 0x80
	v_cmp_eq_u16_sdwa s[12:13], v15, s4 src0_sel:BYTE_3 src1_sel:DWORD
	s_mov_b64 s[4:5], -1
                                        ; implicit-def: $sgpr10
	s_and_saveexec_b64 s[8:9], s[12:13]
; %bb.3386:
	s_mov_b32 s10, 0x7f800001
	s_xor_b64 s[4:5], exec, -1
; %bb.3387:
	s_or_b64 exec, exec, s[8:9]
	s_and_b64 s[4:5], s[4:5], exec
	s_or_saveexec_b64 s[6:7], s[6:7]
	v_mov_b32_e32 v10, s10
	s_xor_b64 exec, exec, s[6:7]
	s_cbranch_execz .LBB13_1338
.LBB13_3388:
	v_mov_b32_e32 v10, 0
	v_cmp_ne_u16_sdwa s[8:9], v15, v10 src0_sel:BYTE_3 src1_sel:DWORD
	s_andn2_b64 s[4:5], s[4:5], exec
	s_and_b64 s[8:9], s[8:9], exec
	s_or_b64 s[4:5], s[4:5], s[8:9]
	s_or_b64 exec, exec, s[6:7]
	s_and_saveexec_b64 s[6:7], s[4:5]
	s_cbranch_execnz .LBB13_1339
	s_branch .LBB13_1340
.LBB13_3389:
	s_movk_i32 s4, 0x80
	v_cmp_eq_u16_sdwa s[12:13], v11, s4 src0_sel:BYTE_3 src1_sel:DWORD
	s_mov_b64 s[4:5], -1
                                        ; implicit-def: $sgpr10
	s_and_saveexec_b64 s[8:9], s[12:13]
; %bb.3390:
	s_mov_b32 s10, 0x7f800001
	s_xor_b64 s[4:5], exec, -1
; %bb.3391:
	s_or_b64 exec, exec, s[8:9]
	s_and_b64 s[4:5], s[4:5], exec
	s_or_saveexec_b64 s[6:7], s[6:7]
	v_mov_b32_e32 v14, s10
	s_xor_b64 exec, exec, s[6:7]
	s_cbranch_execz .LBB13_1342
.LBB13_3392:
	v_mov_b32_e32 v14, 0
	v_cmp_ne_u16_sdwa s[8:9], v11, v14 src0_sel:BYTE_3 src1_sel:DWORD
	s_andn2_b64 s[4:5], s[4:5], exec
	s_and_b64 s[8:9], s[8:9], exec
	s_or_b64 s[4:5], s[4:5], s[8:9]
	s_or_b64 exec, exec, s[6:7]
	s_and_saveexec_b64 s[6:7], s[4:5]
	s_cbranch_execnz .LBB13_1343
	s_branch .LBB13_1344
.LBB13_3393:
	s_movk_i32 s4, 0x80
	v_cmp_eq_u16_sdwa s[12:13], v16, s4 src0_sel:BYTE_0 src1_sel:DWORD
	s_mov_b64 s[4:5], -1
                                        ; implicit-def: $sgpr10
	s_and_saveexec_b64 s[8:9], s[12:13]
; %bb.3394:
	s_mov_b32 s10, 0x7f800001
	s_xor_b64 s[4:5], exec, -1
; %bb.3395:
	s_or_b64 exec, exec, s[8:9]
	s_and_b64 s[4:5], s[4:5], exec
	s_or_saveexec_b64 s[6:7], s[6:7]
	v_mov_b32_e32 v10, s10
	s_xor_b64 exec, exec, s[6:7]
	s_cbranch_execz .LBB13_1346
.LBB13_3396:
	v_mov_b32_e32 v10, 0
	v_cmp_ne_u16_sdwa s[8:9], v16, v10 src0_sel:BYTE_0 src1_sel:DWORD
	s_andn2_b64 s[4:5], s[4:5], exec
	s_and_b64 s[8:9], s[8:9], exec
	s_or_b64 s[4:5], s[4:5], s[8:9]
	s_or_b64 exec, exec, s[6:7]
	s_and_saveexec_b64 s[6:7], s[4:5]
	s_cbranch_execnz .LBB13_1347
	s_branch .LBB13_1348
.LBB13_3397:
	s_movk_i32 s4, 0x80
	v_cmp_eq_u16_sdwa s[12:13], v12, s4 src0_sel:BYTE_0 src1_sel:DWORD
	s_mov_b64 s[4:5], -1
                                        ; implicit-def: $sgpr10
	s_and_saveexec_b64 s[8:9], s[12:13]
; %bb.3398:
	s_mov_b32 s10, 0x7f800001
	s_xor_b64 s[4:5], exec, -1
; %bb.3399:
	s_or_b64 exec, exec, s[8:9]
	s_and_b64 s[4:5], s[4:5], exec
	s_or_saveexec_b64 s[6:7], s[6:7]
	v_mov_b32_e32 v11, s10
	s_xor_b64 exec, exec, s[6:7]
	s_cbranch_execz .LBB13_1350
.LBB13_3400:
	v_mov_b32_e32 v11, 0
	v_cmp_ne_u16_sdwa s[8:9], v12, v11 src0_sel:BYTE_0 src1_sel:DWORD
	s_andn2_b64 s[4:5], s[4:5], exec
	s_and_b64 s[8:9], s[8:9], exec
	s_or_b64 s[4:5], s[4:5], s[8:9]
	s_or_b64 exec, exec, s[6:7]
	s_and_saveexec_b64 s[6:7], s[4:5]
	s_cbranch_execnz .LBB13_1351
	s_branch .LBB13_1352
.LBB13_3401:
	s_movk_i32 s4, 0x80
	v_cmp_eq_u16_sdwa s[12:13], v11, s4 src0_sel:BYTE_0 src1_sel:DWORD
	s_mov_b64 s[4:5], -1
                                        ; implicit-def: $sgpr10
	s_and_saveexec_b64 s[8:9], s[12:13]
; %bb.3402:
	s_mov_b32 s10, 0x7f800001
	s_xor_b64 s[4:5], exec, -1
; %bb.3403:
	s_or_b64 exec, exec, s[8:9]
	s_and_b64 s[4:5], s[4:5], exec
	s_or_saveexec_b64 s[6:7], s[6:7]
	v_mov_b32_e32 v10, s10
	s_xor_b64 exec, exec, s[6:7]
	s_cbranch_execz .LBB13_1354
.LBB13_3404:
	v_mov_b32_e32 v10, 0
	v_cmp_ne_u16_sdwa s[8:9], v11, v10 src0_sel:BYTE_0 src1_sel:DWORD
	s_andn2_b64 s[4:5], s[4:5], exec
	s_and_b64 s[8:9], s[8:9], exec
	s_or_b64 s[4:5], s[4:5], s[8:9]
	s_or_b64 exec, exec, s[6:7]
	s_and_saveexec_b64 s[6:7], s[4:5]
	s_cbranch_execnz .LBB13_1355
	s_branch .LBB13_1356
.LBB13_3405:
	s_movk_i32 s4, 0x80
	v_cmp_eq_u16_sdwa s[12:13], v11, s4 src0_sel:BYTE_0 src1_sel:DWORD
	s_mov_b64 s[4:5], -1
                                        ; implicit-def: $sgpr10
	s_and_saveexec_b64 s[8:9], s[12:13]
; %bb.3406:
	s_mov_b32 s10, 0x7f800001
	s_xor_b64 s[4:5], exec, -1
; %bb.3407:
	s_or_b64 exec, exec, s[8:9]
	s_and_b64 s[4:5], s[4:5], exec
	s_or_saveexec_b64 s[6:7], s[6:7]
	v_mov_b32_e32 v14, s10
	s_xor_b64 exec, exec, s[6:7]
	s_cbranch_execz .LBB13_1358
.LBB13_3408:
	v_mov_b32_e32 v14, 0
	v_cmp_ne_u16_sdwa s[8:9], v11, v14 src0_sel:BYTE_0 src1_sel:DWORD
	s_andn2_b64 s[4:5], s[4:5], exec
	s_and_b64 s[8:9], s[8:9], exec
	s_or_b64 s[4:5], s[4:5], s[8:9]
	s_or_b64 exec, exec, s[6:7]
	s_and_saveexec_b64 s[6:7], s[4:5]
	s_cbranch_execnz .LBB13_1359
	s_branch .LBB13_1360
.LBB13_3409:
	s_movk_i32 s4, 0x80
	v_cmp_eq_u16_e32 vcc, s4, v11
	s_mov_b64 s[4:5], -1
                                        ; implicit-def: $sgpr10
	s_and_saveexec_b64 s[8:9], vcc
; %bb.3410:
	s_mov_b32 s10, 0x7f800001
	s_xor_b64 s[4:5], exec, -1
; %bb.3411:
	s_or_b64 exec, exec, s[8:9]
	s_and_b64 s[4:5], s[4:5], exec
                                        ; implicit-def: $vgpr11
	s_or_saveexec_b64 s[6:7], s[6:7]
	v_mov_b32_e32 v10, s10
	s_xor_b64 exec, exec, s[6:7]
	s_cbranch_execz .LBB13_1362
.LBB13_3412:
	v_cmp_ne_u16_e32 vcc, 0, v11
	s_andn2_b64 s[4:5], s[4:5], exec
	s_and_b64 s[8:9], vcc, exec
	v_mov_b32_e32 v10, 0
	s_or_b64 s[4:5], s[4:5], s[8:9]
	s_or_b64 exec, exec, s[6:7]
	s_and_saveexec_b64 s[6:7], s[4:5]
	s_cbranch_execnz .LBB13_1363
	s_branch .LBB13_1364
.LBB13_3413:
	s_movk_i32 s4, 0x80
	v_cmp_eq_u16_e32 vcc, s4, v11
	s_mov_b64 s[4:5], -1
                                        ; implicit-def: $sgpr10
	s_and_saveexec_b64 s[8:9], vcc
; %bb.3414:
	s_mov_b32 s10, 0x7f800001
	s_xor_b64 s[4:5], exec, -1
; %bb.3415:
	s_or_b64 exec, exec, s[8:9]
	s_and_b64 s[4:5], s[4:5], exec
                                        ; implicit-def: $vgpr11
	s_or_saveexec_b64 s[6:7], s[6:7]
	v_mov_b32_e32 v14, s10
	s_xor_b64 exec, exec, s[6:7]
	s_cbranch_execz .LBB13_1366
.LBB13_3416:
	v_cmp_ne_u16_e32 vcc, 0, v11
	s_andn2_b64 s[4:5], s[4:5], exec
	s_and_b64 s[8:9], vcc, exec
	v_mov_b32_e32 v14, 0
	s_or_b64 s[4:5], s[4:5], s[8:9]
	s_or_b64 exec, exec, s[6:7]
	s_and_saveexec_b64 s[6:7], s[4:5]
	s_cbranch_execnz .LBB13_1367
	s_branch .LBB13_1368
.LBB13_3417:
	s_movk_i32 s4, 0x80
	v_cmp_eq_u16_sdwa s[12:13], v16, s4 src0_sel:BYTE_3 src1_sel:DWORD
	s_mov_b64 s[4:5], -1
                                        ; implicit-def: $sgpr10
	s_and_saveexec_b64 s[8:9], s[12:13]
; %bb.3418:
	s_mov_b32 s10, 0x7f800001
	s_xor_b64 s[4:5], exec, -1
; %bb.3419:
	s_or_b64 exec, exec, s[8:9]
	s_and_b64 s[4:5], s[4:5], exec
	s_or_saveexec_b64 s[6:7], s[6:7]
	v_mov_b32_e32 v10, s10
	s_xor_b64 exec, exec, s[6:7]
	s_cbranch_execz .LBB13_1370
.LBB13_3420:
	v_mov_b32_e32 v10, 0
	v_cmp_ne_u16_sdwa s[8:9], v16, v10 src0_sel:BYTE_3 src1_sel:DWORD
	s_andn2_b64 s[4:5], s[4:5], exec
	s_and_b64 s[8:9], s[8:9], exec
	s_or_b64 s[4:5], s[4:5], s[8:9]
	s_or_b64 exec, exec, s[6:7]
	s_and_saveexec_b64 s[6:7], s[4:5]
	s_cbranch_execnz .LBB13_1371
	s_branch .LBB13_1372
.LBB13_3421:
	s_movk_i32 s4, 0x80
	v_cmp_eq_u16_sdwa s[12:13], v12, s4 src0_sel:BYTE_3 src1_sel:DWORD
	s_mov_b64 s[4:5], -1
                                        ; implicit-def: $sgpr10
	s_and_saveexec_b64 s[8:9], s[12:13]
; %bb.3422:
	s_mov_b32 s10, 0x7f800001
	s_xor_b64 s[4:5], exec, -1
; %bb.3423:
	s_or_b64 exec, exec, s[8:9]
	s_and_b64 s[4:5], s[4:5], exec
	s_or_saveexec_b64 s[6:7], s[6:7]
	v_mov_b32_e32 v11, s10
	s_xor_b64 exec, exec, s[6:7]
	s_cbranch_execz .LBB13_1374
.LBB13_3424:
	v_mov_b32_e32 v11, 0
	v_cmp_ne_u16_sdwa s[8:9], v12, v11 src0_sel:BYTE_3 src1_sel:DWORD
	s_andn2_b64 s[4:5], s[4:5], exec
	s_and_b64 s[8:9], s[8:9], exec
	s_or_b64 s[4:5], s[4:5], s[8:9]
	s_or_b64 exec, exec, s[6:7]
	s_and_saveexec_b64 s[6:7], s[4:5]
	s_cbranch_execnz .LBB13_1375
	s_branch .LBB13_1376
.LBB13_3425:
	s_movk_i32 s4, 0x80
	v_cmp_eq_u16_sdwa s[12:13], v17, s4 src0_sel:BYTE_0 src1_sel:DWORD
	s_mov_b64 s[4:5], -1
                                        ; implicit-def: $sgpr10
	s_and_saveexec_b64 s[8:9], s[12:13]
; %bb.3426:
	s_mov_b32 s10, 0x7f800001
	s_xor_b64 s[4:5], exec, -1
; %bb.3427:
	s_or_b64 exec, exec, s[8:9]
	s_and_b64 s[4:5], s[4:5], exec
	s_or_saveexec_b64 s[6:7], s[6:7]
	v_mov_b32_e32 v10, s10
	s_xor_b64 exec, exec, s[6:7]
	s_cbranch_execz .LBB13_1378
.LBB13_3428:
	v_mov_b32_e32 v10, 0
	v_cmp_ne_u16_sdwa s[8:9], v17, v10 src0_sel:BYTE_0 src1_sel:DWORD
	s_andn2_b64 s[4:5], s[4:5], exec
	s_and_b64 s[8:9], s[8:9], exec
	s_or_b64 s[4:5], s[4:5], s[8:9]
	s_or_b64 exec, exec, s[6:7]
	s_and_saveexec_b64 s[6:7], s[4:5]
	s_cbranch_execnz .LBB13_1379
	s_branch .LBB13_1380
.LBB13_3429:
	s_movk_i32 s4, 0x80
	v_cmp_eq_u16_sdwa s[12:13], v13, s4 src0_sel:BYTE_0 src1_sel:DWORD
	s_mov_b64 s[4:5], -1
                                        ; implicit-def: $sgpr10
	s_and_saveexec_b64 s[8:9], s[12:13]
; %bb.3430:
	s_mov_b32 s10, 0x7f800001
	s_xor_b64 s[4:5], exec, -1
; %bb.3431:
	s_or_b64 exec, exec, s[8:9]
	s_and_b64 s[4:5], s[4:5], exec
	s_or_saveexec_b64 s[6:7], s[6:7]
	v_mov_b32_e32 v11, s10
	s_xor_b64 exec, exec, s[6:7]
	s_cbranch_execz .LBB13_1382
.LBB13_3432:
	v_mov_b32_e32 v11, 0
	v_cmp_ne_u16_sdwa s[8:9], v13, v11 src0_sel:BYTE_0 src1_sel:DWORD
	s_andn2_b64 s[4:5], s[4:5], exec
	s_and_b64 s[8:9], s[8:9], exec
	s_or_b64 s[4:5], s[4:5], s[8:9]
	s_or_b64 exec, exec, s[6:7]
	s_and_saveexec_b64 s[6:7], s[4:5]
	s_cbranch_execnz .LBB13_1383
	s_branch .LBB13_1384
.LBB13_3433:
	s_movk_i32 s4, 0x80
	v_cmp_eq_u16_sdwa s[12:13], v11, s4 src0_sel:BYTE_0 src1_sel:DWORD
	s_mov_b64 s[4:5], -1
                                        ; implicit-def: $sgpr10
	s_and_saveexec_b64 s[8:9], s[12:13]
; %bb.3434:
	s_mov_b32 s10, 0x7f800001
	s_xor_b64 s[4:5], exec, -1
; %bb.3435:
	s_or_b64 exec, exec, s[8:9]
	s_and_b64 s[4:5], s[4:5], exec
	s_or_saveexec_b64 s[6:7], s[6:7]
	v_mov_b32_e32 v10, s10
	s_xor_b64 exec, exec, s[6:7]
	s_cbranch_execz .LBB13_1386
.LBB13_3436:
	v_mov_b32_e32 v10, 0
	v_cmp_ne_u16_sdwa s[8:9], v11, v10 src0_sel:BYTE_0 src1_sel:DWORD
	s_andn2_b64 s[4:5], s[4:5], exec
	s_and_b64 s[8:9], s[8:9], exec
	s_or_b64 s[4:5], s[4:5], s[8:9]
	s_or_b64 exec, exec, s[6:7]
	s_and_saveexec_b64 s[6:7], s[4:5]
	s_cbranch_execnz .LBB13_1387
	s_branch .LBB13_1388
.LBB13_3437:
	s_movk_i32 s4, 0x80
	v_cmp_eq_u16_sdwa s[12:13], v11, s4 src0_sel:BYTE_0 src1_sel:DWORD
	s_mov_b64 s[4:5], -1
                                        ; implicit-def: $sgpr10
	s_and_saveexec_b64 s[8:9], s[12:13]
; %bb.3438:
	s_mov_b32 s10, 0x7f800001
	s_xor_b64 s[4:5], exec, -1
; %bb.3439:
	s_or_b64 exec, exec, s[8:9]
	s_and_b64 s[4:5], s[4:5], exec
	s_or_saveexec_b64 s[6:7], s[6:7]
	v_mov_b32_e32 v12, s10
	s_xor_b64 exec, exec, s[6:7]
	s_cbranch_execz .LBB13_1390
.LBB13_3440:
	v_mov_b32_e32 v12, 0
	v_cmp_ne_u16_sdwa s[8:9], v11, v12 src0_sel:BYTE_0 src1_sel:DWORD
	s_andn2_b64 s[4:5], s[4:5], exec
	s_and_b64 s[8:9], s[8:9], exec
	s_or_b64 s[4:5], s[4:5], s[8:9]
	s_or_b64 exec, exec, s[6:7]
	s_and_saveexec_b64 s[6:7], s[4:5]
	s_cbranch_execnz .LBB13_1391
	s_branch .LBB13_1392
.LBB13_3441:
	s_movk_i32 s4, 0x80
	v_cmp_eq_u16_e32 vcc, s4, v11
	s_mov_b64 s[4:5], -1
                                        ; implicit-def: $sgpr10
	s_and_saveexec_b64 s[8:9], vcc
; %bb.3442:
	s_mov_b32 s10, 0x7f800001
	s_xor_b64 s[4:5], exec, -1
; %bb.3443:
	s_or_b64 exec, exec, s[8:9]
	s_and_b64 s[4:5], s[4:5], exec
                                        ; implicit-def: $vgpr11
	s_or_saveexec_b64 s[6:7], s[6:7]
	v_mov_b32_e32 v10, s10
	s_xor_b64 exec, exec, s[6:7]
	s_cbranch_execz .LBB13_1394
.LBB13_3444:
	v_cmp_ne_u16_e32 vcc, 0, v11
	s_andn2_b64 s[4:5], s[4:5], exec
	s_and_b64 s[8:9], vcc, exec
	v_mov_b32_e32 v10, 0
	s_or_b64 s[4:5], s[4:5], s[8:9]
	s_or_b64 exec, exec, s[6:7]
	s_and_saveexec_b64 s[6:7], s[4:5]
	s_cbranch_execnz .LBB13_1395
	s_branch .LBB13_1396
.LBB13_3445:
	s_movk_i32 s4, 0x80
	v_cmp_eq_u16_e32 vcc, s4, v11
	s_mov_b64 s[4:5], -1
                                        ; implicit-def: $sgpr10
	s_and_saveexec_b64 s[8:9], vcc
; %bb.3446:
	s_mov_b32 s10, 0x7f800001
	s_xor_b64 s[4:5], exec, -1
; %bb.3447:
	s_or_b64 exec, exec, s[8:9]
	s_and_b64 s[4:5], s[4:5], exec
                                        ; implicit-def: $vgpr11
	s_or_saveexec_b64 s[6:7], s[6:7]
	v_mov_b32_e32 v12, s10
	s_xor_b64 exec, exec, s[6:7]
	s_cbranch_execz .LBB13_1398
.LBB13_3448:
	v_cmp_ne_u16_e32 vcc, 0, v11
	s_andn2_b64 s[4:5], s[4:5], exec
	s_and_b64 s[8:9], vcc, exec
	v_mov_b32_e32 v12, 0
	s_or_b64 s[4:5], s[4:5], s[8:9]
	s_or_b64 exec, exec, s[6:7]
	s_and_saveexec_b64 s[6:7], s[4:5]
	s_cbranch_execnz .LBB13_1399
	s_branch .LBB13_1400
.LBB13_3449:
	s_movk_i32 s4, 0x80
	v_cmp_eq_u16_sdwa s[12:13], v17, s4 src0_sel:BYTE_3 src1_sel:DWORD
	s_mov_b64 s[4:5], -1
                                        ; implicit-def: $sgpr10
	s_and_saveexec_b64 s[8:9], s[12:13]
; %bb.3450:
	s_mov_b32 s10, 0x7f800001
	s_xor_b64 s[4:5], exec, -1
; %bb.3451:
	s_or_b64 exec, exec, s[8:9]
	s_and_b64 s[4:5], s[4:5], exec
	s_or_saveexec_b64 s[6:7], s[6:7]
	v_mov_b32_e32 v10, s10
	s_xor_b64 exec, exec, s[6:7]
	s_cbranch_execz .LBB13_1402
.LBB13_3452:
	v_mov_b32_e32 v10, 0
	v_cmp_ne_u16_sdwa s[8:9], v17, v10 src0_sel:BYTE_3 src1_sel:DWORD
	s_andn2_b64 s[4:5], s[4:5], exec
	s_and_b64 s[8:9], s[8:9], exec
	s_or_b64 s[4:5], s[4:5], s[8:9]
	s_or_b64 exec, exec, s[6:7]
	s_and_saveexec_b64 s[6:7], s[4:5]
	s_cbranch_execnz .LBB13_1403
	s_branch .LBB13_1404
.LBB13_3453:
	s_movk_i32 s4, 0x80
	v_cmp_eq_u16_sdwa s[12:13], v13, s4 src0_sel:BYTE_3 src1_sel:DWORD
	s_mov_b64 s[4:5], -1
                                        ; implicit-def: $sgpr10
	s_and_saveexec_b64 s[8:9], s[12:13]
; %bb.3454:
	s_mov_b32 s10, 0x7f800001
	s_xor_b64 s[4:5], exec, -1
; %bb.3455:
	s_or_b64 exec, exec, s[8:9]
	s_and_b64 s[4:5], s[4:5], exec
	s_or_saveexec_b64 s[6:7], s[6:7]
	v_mov_b32_e32 v11, s10
	s_xor_b64 exec, exec, s[6:7]
	s_cbranch_execz .LBB13_1406
.LBB13_3456:
	v_mov_b32_e32 v11, 0
	v_cmp_ne_u16_sdwa s[8:9], v13, v11 src0_sel:BYTE_3 src1_sel:DWORD
	s_andn2_b64 s[4:5], s[4:5], exec
	s_and_b64 s[8:9], s[8:9], exec
	s_or_b64 s[4:5], s[4:5], s[8:9]
	s_or_b64 exec, exec, s[6:7]
	s_and_saveexec_b64 s[6:7], s[4:5]
	s_cbranch_execnz .LBB13_1407
	s_branch .LBB13_1408
.LBB13_3457:
	s_movk_i32 s4, 0x80
	v_cmp_eq_u16_sdwa s[12:13], v6, s4 src0_sel:BYTE_0 src1_sel:DWORD
	s_mov_b64 s[4:5], -1
                                        ; implicit-def: $sgpr10
	s_and_saveexec_b64 s[8:9], s[12:13]
; %bb.3458:
	s_mov_b32 s10, 0x7f800001
	s_xor_b64 s[4:5], exec, -1
; %bb.3459:
	s_or_b64 exec, exec, s[8:9]
	s_and_b64 s[4:5], s[4:5], exec
	s_or_saveexec_b64 s[6:7], s[6:7]
	v_mov_b32_e32 v10, s10
	s_xor_b64 exec, exec, s[6:7]
	s_cbranch_execz .LBB13_1410
.LBB13_3460:
	v_mov_b32_e32 v10, 0
	v_cmp_ne_u16_sdwa s[8:9], v6, v10 src0_sel:BYTE_0 src1_sel:DWORD
	s_andn2_b64 s[4:5], s[4:5], exec
	s_and_b64 s[8:9], s[8:9], exec
	s_or_b64 s[4:5], s[4:5], s[8:9]
	s_or_b64 exec, exec, s[6:7]
	s_and_saveexec_b64 s[6:7], s[4:5]
	s_cbranch_execnz .LBB13_1411
	s_branch .LBB13_1412
.LBB13_3461:
	s_movk_i32 s4, 0x80
	v_cmp_eq_u16_sdwa s[12:13], v2, s4 src0_sel:BYTE_0 src1_sel:DWORD
	s_mov_b64 s[4:5], -1
                                        ; implicit-def: $sgpr10
	s_and_saveexec_b64 s[8:9], s[12:13]
; %bb.3462:
	s_mov_b32 s10, 0x7f800001
	s_xor_b64 s[4:5], exec, -1
; %bb.3463:
	s_or_b64 exec, exec, s[8:9]
	s_and_b64 s[4:5], s[4:5], exec
	s_or_saveexec_b64 s[6:7], s[6:7]
	v_mov_b32_e32 v11, s10
	s_xor_b64 exec, exec, s[6:7]
	s_cbranch_execz .LBB13_1414
.LBB13_3464:
	v_mov_b32_e32 v11, 0
	v_cmp_ne_u16_sdwa s[8:9], v2, v11 src0_sel:BYTE_0 src1_sel:DWORD
	s_andn2_b64 s[4:5], s[4:5], exec
	s_and_b64 s[8:9], s[8:9], exec
	s_or_b64 s[4:5], s[4:5], s[8:9]
	s_or_b64 exec, exec, s[6:7]
	s_and_saveexec_b64 s[6:7], s[4:5]
	s_cbranch_execnz .LBB13_1415
	s_branch .LBB13_1416
.LBB13_3465:
	s_movk_i32 s4, 0x80
	v_cmp_eq_u16_sdwa s[12:13], v11, s4 src0_sel:BYTE_0 src1_sel:DWORD
	s_mov_b64 s[4:5], -1
                                        ; implicit-def: $sgpr10
	s_and_saveexec_b64 s[8:9], s[12:13]
; %bb.3466:
	s_mov_b32 s10, 0x7f800001
	s_xor_b64 s[4:5], exec, -1
; %bb.3467:
	s_or_b64 exec, exec, s[8:9]
	s_and_b64 s[4:5], s[4:5], exec
	s_or_saveexec_b64 s[6:7], s[6:7]
	v_mov_b32_e32 v10, s10
	s_xor_b64 exec, exec, s[6:7]
	s_cbranch_execz .LBB13_1418
.LBB13_3468:
	v_mov_b32_e32 v10, 0
	v_cmp_ne_u16_sdwa s[8:9], v11, v10 src0_sel:BYTE_0 src1_sel:DWORD
	s_andn2_b64 s[4:5], s[4:5], exec
	s_and_b64 s[8:9], s[8:9], exec
	s_or_b64 s[4:5], s[4:5], s[8:9]
	s_or_b64 exec, exec, s[6:7]
	s_and_saveexec_b64 s[6:7], s[4:5]
	s_cbranch_execnz .LBB13_1419
	s_branch .LBB13_1420
.LBB13_3469:
	s_movk_i32 s4, 0x80
	v_cmp_eq_u16_sdwa s[12:13], v11, s4 src0_sel:BYTE_0 src1_sel:DWORD
	s_mov_b64 s[4:5], -1
                                        ; implicit-def: $sgpr10
	s_and_saveexec_b64 s[8:9], s[12:13]
; %bb.3470:
	s_mov_b32 s10, 0x7f800001
	s_xor_b64 s[4:5], exec, -1
; %bb.3471:
	s_or_b64 exec, exec, s[8:9]
	s_and_b64 s[4:5], s[4:5], exec
	s_or_saveexec_b64 s[6:7], s[6:7]
	v_mov_b32_e32 v12, s10
	s_xor_b64 exec, exec, s[6:7]
	s_cbranch_execz .LBB13_1422
.LBB13_3472:
	v_mov_b32_e32 v12, 0
	v_cmp_ne_u16_sdwa s[8:9], v11, v12 src0_sel:BYTE_0 src1_sel:DWORD
	s_andn2_b64 s[4:5], s[4:5], exec
	s_and_b64 s[8:9], s[8:9], exec
	s_or_b64 s[4:5], s[4:5], s[8:9]
	s_or_b64 exec, exec, s[6:7]
	s_and_saveexec_b64 s[6:7], s[4:5]
	s_cbranch_execnz .LBB13_1423
	s_branch .LBB13_1424
.LBB13_3473:
	s_movk_i32 s4, 0x80
	v_cmp_eq_u16_e32 vcc, s4, v11
	s_mov_b64 s[4:5], -1
                                        ; implicit-def: $sgpr10
	s_and_saveexec_b64 s[8:9], vcc
; %bb.3474:
	s_mov_b32 s10, 0x7f800001
	s_xor_b64 s[4:5], exec, -1
; %bb.3475:
	s_or_b64 exec, exec, s[8:9]
	s_and_b64 s[4:5], s[4:5], exec
                                        ; implicit-def: $vgpr11
	s_or_saveexec_b64 s[6:7], s[6:7]
	v_mov_b32_e32 v10, s10
	s_xor_b64 exec, exec, s[6:7]
	s_cbranch_execz .LBB13_1426
.LBB13_3476:
	v_cmp_ne_u16_e32 vcc, 0, v11
	s_andn2_b64 s[4:5], s[4:5], exec
	s_and_b64 s[8:9], vcc, exec
	v_mov_b32_e32 v10, 0
	s_or_b64 s[4:5], s[4:5], s[8:9]
	s_or_b64 exec, exec, s[6:7]
	s_and_saveexec_b64 s[6:7], s[4:5]
	s_cbranch_execnz .LBB13_1427
	s_branch .LBB13_1428
.LBB13_3477:
	s_movk_i32 s4, 0x80
	v_cmp_eq_u16_e32 vcc, s4, v11
	s_mov_b64 s[4:5], -1
                                        ; implicit-def: $sgpr10
	s_and_saveexec_b64 s[8:9], vcc
; %bb.3478:
	s_mov_b32 s10, 0x7f800001
	s_xor_b64 s[4:5], exec, -1
; %bb.3479:
	s_or_b64 exec, exec, s[8:9]
	s_and_b64 s[4:5], s[4:5], exec
                                        ; implicit-def: $vgpr11
	s_or_saveexec_b64 s[6:7], s[6:7]
	v_mov_b32_e32 v12, s10
	s_xor_b64 exec, exec, s[6:7]
	s_cbranch_execz .LBB13_1430
.LBB13_3480:
	v_cmp_ne_u16_e32 vcc, 0, v11
	s_andn2_b64 s[4:5], s[4:5], exec
	s_and_b64 s[8:9], vcc, exec
	v_mov_b32_e32 v12, 0
	s_or_b64 s[4:5], s[4:5], s[8:9]
	s_or_b64 exec, exec, s[6:7]
	s_and_saveexec_b64 s[6:7], s[4:5]
	s_cbranch_execnz .LBB13_1431
	s_branch .LBB13_1432
.LBB13_3481:
	s_movk_i32 s4, 0x80
	v_cmp_eq_u16_sdwa s[12:13], v6, s4 src0_sel:BYTE_3 src1_sel:DWORD
	s_mov_b64 s[4:5], -1
                                        ; implicit-def: $sgpr10
	s_and_saveexec_b64 s[8:9], s[12:13]
; %bb.3482:
	s_mov_b32 s10, 0x7f800001
	s_xor_b64 s[4:5], exec, -1
; %bb.3483:
	s_or_b64 exec, exec, s[8:9]
	s_and_b64 s[4:5], s[4:5], exec
	s_or_saveexec_b64 s[6:7], s[6:7]
	v_mov_b32_e32 v10, s10
	s_xor_b64 exec, exec, s[6:7]
	s_cbranch_execz .LBB13_1434
.LBB13_3484:
	v_mov_b32_e32 v10, 0
	v_cmp_ne_u16_sdwa s[8:9], v6, v10 src0_sel:BYTE_3 src1_sel:DWORD
	s_andn2_b64 s[4:5], s[4:5], exec
	s_and_b64 s[8:9], s[8:9], exec
	s_or_b64 s[4:5], s[4:5], s[8:9]
	s_or_b64 exec, exec, s[6:7]
	s_and_saveexec_b64 s[6:7], s[4:5]
	s_cbranch_execnz .LBB13_1435
	s_branch .LBB13_1436
.LBB13_3485:
	s_movk_i32 s4, 0x80
	v_cmp_eq_u16_sdwa s[12:13], v2, s4 src0_sel:BYTE_3 src1_sel:DWORD
	s_mov_b64 s[4:5], -1
                                        ; implicit-def: $sgpr10
	s_and_saveexec_b64 s[8:9], s[12:13]
; %bb.3486:
	s_mov_b32 s10, 0x7f800001
	s_xor_b64 s[4:5], exec, -1
; %bb.3487:
	s_or_b64 exec, exec, s[8:9]
	s_and_b64 s[4:5], s[4:5], exec
	s_or_saveexec_b64 s[6:7], s[6:7]
	v_mov_b32_e32 v6, s10
	s_xor_b64 exec, exec, s[6:7]
	s_cbranch_execz .LBB13_1438
.LBB13_3488:
	v_mov_b32_e32 v6, 0
	v_cmp_ne_u16_sdwa s[8:9], v2, v6 src0_sel:BYTE_3 src1_sel:DWORD
	s_andn2_b64 s[4:5], s[4:5], exec
	s_and_b64 s[8:9], s[8:9], exec
	s_or_b64 s[4:5], s[4:5], s[8:9]
	s_or_b64 exec, exec, s[6:7]
	s_and_saveexec_b64 s[6:7], s[4:5]
	s_cbranch_execnz .LBB13_1439
	s_branch .LBB13_1440
.LBB13_3489:
	s_movk_i32 s4, 0x80
	v_cmp_eq_u16_sdwa s[12:13], v7, s4 src0_sel:BYTE_0 src1_sel:DWORD
	s_mov_b64 s[4:5], -1
                                        ; implicit-def: $sgpr10
	s_and_saveexec_b64 s[8:9], s[12:13]
; %bb.3490:
	s_mov_b32 s10, 0x7f800001
	s_xor_b64 s[4:5], exec, -1
; %bb.3491:
	s_or_b64 exec, exec, s[8:9]
	s_and_b64 s[4:5], s[4:5], exec
	s_or_saveexec_b64 s[6:7], s[6:7]
	v_mov_b32_e32 v2, s10
	s_xor_b64 exec, exec, s[6:7]
	s_cbranch_execz .LBB13_1442
.LBB13_3492:
	v_mov_b32_e32 v2, 0
	v_cmp_ne_u16_sdwa s[8:9], v7, v2 src0_sel:BYTE_0 src1_sel:DWORD
	s_andn2_b64 s[4:5], s[4:5], exec
	s_and_b64 s[8:9], s[8:9], exec
	s_or_b64 s[4:5], s[4:5], s[8:9]
	s_or_b64 exec, exec, s[6:7]
	s_and_saveexec_b64 s[6:7], s[4:5]
	s_cbranch_execnz .LBB13_1443
	s_branch .LBB13_1444
.LBB13_3493:
	s_movk_i32 s4, 0x80
	v_cmp_eq_u16_sdwa s[12:13], v3, s4 src0_sel:BYTE_0 src1_sel:DWORD
	s_mov_b64 s[4:5], -1
                                        ; implicit-def: $sgpr10
	s_and_saveexec_b64 s[8:9], s[12:13]
; %bb.3494:
	s_mov_b32 s10, 0x7f800001
	s_xor_b64 s[4:5], exec, -1
; %bb.3495:
	s_or_b64 exec, exec, s[8:9]
	s_and_b64 s[4:5], s[4:5], exec
	s_or_saveexec_b64 s[6:7], s[6:7]
	v_mov_b32_e32 v6, s10
	s_xor_b64 exec, exec, s[6:7]
	s_cbranch_execz .LBB13_1446
.LBB13_3496:
	v_mov_b32_e32 v6, 0
	v_cmp_ne_u16_sdwa s[8:9], v3, v6 src0_sel:BYTE_0 src1_sel:DWORD
	s_andn2_b64 s[4:5], s[4:5], exec
	s_and_b64 s[8:9], s[8:9], exec
	s_or_b64 s[4:5], s[4:5], s[8:9]
	s_or_b64 exec, exec, s[6:7]
	s_and_saveexec_b64 s[6:7], s[4:5]
	s_cbranch_execnz .LBB13_1447
	s_branch .LBB13_1448
.LBB13_3497:
	s_movk_i32 s4, 0x80
	v_cmp_eq_u16_sdwa s[12:13], v6, s4 src0_sel:BYTE_0 src1_sel:DWORD
	s_mov_b64 s[4:5], -1
                                        ; implicit-def: $sgpr10
	s_and_saveexec_b64 s[8:9], s[12:13]
; %bb.3498:
	s_mov_b32 s10, 0x7f800001
	s_xor_b64 s[4:5], exec, -1
; %bb.3499:
	s_or_b64 exec, exec, s[8:9]
	s_and_b64 s[4:5], s[4:5], exec
	s_or_saveexec_b64 s[6:7], s[6:7]
	v_mov_b32_e32 v2, s10
	s_xor_b64 exec, exec, s[6:7]
	s_cbranch_execz .LBB13_1450
.LBB13_3500:
	v_mov_b32_e32 v2, 0
	v_cmp_ne_u16_sdwa s[8:9], v6, v2 src0_sel:BYTE_0 src1_sel:DWORD
	s_andn2_b64 s[4:5], s[4:5], exec
	s_and_b64 s[8:9], s[8:9], exec
	s_or_b64 s[4:5], s[4:5], s[8:9]
	s_or_b64 exec, exec, s[6:7]
	s_and_saveexec_b64 s[6:7], s[4:5]
	s_cbranch_execnz .LBB13_1451
	s_branch .LBB13_1452
.LBB13_3501:
	s_movk_i32 s4, 0x80
	v_cmp_eq_u16_sdwa s[12:13], v6, s4 src0_sel:BYTE_0 src1_sel:DWORD
	s_mov_b64 s[4:5], -1
                                        ; implicit-def: $sgpr10
	s_and_saveexec_b64 s[8:9], s[12:13]
; %bb.3502:
	s_mov_b32 s10, 0x7f800001
	s_xor_b64 s[4:5], exec, -1
; %bb.3503:
	s_or_b64 exec, exec, s[8:9]
	s_and_b64 s[4:5], s[4:5], exec
	s_or_saveexec_b64 s[6:7], s[6:7]
	v_mov_b32_e32 v10, s10
	s_xor_b64 exec, exec, s[6:7]
	s_cbranch_execz .LBB13_1454
.LBB13_3504:
	v_mov_b32_e32 v10, 0
	v_cmp_ne_u16_sdwa s[8:9], v6, v10 src0_sel:BYTE_0 src1_sel:DWORD
	s_andn2_b64 s[4:5], s[4:5], exec
	s_and_b64 s[8:9], s[8:9], exec
	s_or_b64 s[4:5], s[4:5], s[8:9]
	s_or_b64 exec, exec, s[6:7]
	s_and_saveexec_b64 s[6:7], s[4:5]
	s_cbranch_execnz .LBB13_1455
	s_branch .LBB13_1456
.LBB13_3505:
	s_movk_i32 s4, 0x80
	v_cmp_eq_u16_e32 vcc, s4, v6
	s_mov_b64 s[4:5], -1
                                        ; implicit-def: $sgpr10
	s_and_saveexec_b64 s[8:9], vcc
; %bb.3506:
	s_mov_b32 s10, 0x7f800001
	s_xor_b64 s[4:5], exec, -1
; %bb.3507:
	s_or_b64 exec, exec, s[8:9]
	s_and_b64 s[4:5], s[4:5], exec
                                        ; implicit-def: $vgpr6
	s_or_saveexec_b64 s[6:7], s[6:7]
	v_mov_b32_e32 v2, s10
	s_xor_b64 exec, exec, s[6:7]
	s_cbranch_execz .LBB13_1458
.LBB13_3508:
	v_cmp_ne_u16_e32 vcc, 0, v6
	s_andn2_b64 s[4:5], s[4:5], exec
	s_and_b64 s[8:9], vcc, exec
	v_mov_b32_e32 v2, 0
	s_or_b64 s[4:5], s[4:5], s[8:9]
	s_or_b64 exec, exec, s[6:7]
	s_and_saveexec_b64 s[6:7], s[4:5]
	s_cbranch_execnz .LBB13_1459
	s_branch .LBB13_1460
.LBB13_3509:
	s_movk_i32 s4, 0x80
	v_cmp_eq_u16_e32 vcc, s4, v6
	s_mov_b64 s[4:5], -1
                                        ; implicit-def: $sgpr10
	s_and_saveexec_b64 s[8:9], vcc
; %bb.3510:
	s_mov_b32 s10, 0x7f800001
	s_xor_b64 s[4:5], exec, -1
; %bb.3511:
	s_or_b64 exec, exec, s[8:9]
	s_and_b64 s[4:5], s[4:5], exec
                                        ; implicit-def: $vgpr6
	s_or_saveexec_b64 s[6:7], s[6:7]
	v_mov_b32_e32 v10, s10
	s_xor_b64 exec, exec, s[6:7]
	s_cbranch_execz .LBB13_1462
.LBB13_3512:
	v_cmp_ne_u16_e32 vcc, 0, v6
	s_andn2_b64 s[4:5], s[4:5], exec
	s_and_b64 s[8:9], vcc, exec
	v_mov_b32_e32 v10, 0
	s_or_b64 s[4:5], s[4:5], s[8:9]
	s_or_b64 exec, exec, s[6:7]
	s_and_saveexec_b64 s[6:7], s[4:5]
	s_cbranch_execnz .LBB13_1463
	s_branch .LBB13_1464
.LBB13_3513:
	s_movk_i32 s4, 0x80
	v_cmp_eq_u16_sdwa s[12:13], v7, s4 src0_sel:BYTE_3 src1_sel:DWORD
	s_mov_b64 s[4:5], -1
                                        ; implicit-def: $sgpr10
	s_and_saveexec_b64 s[8:9], s[12:13]
; %bb.3514:
	s_mov_b32 s10, 0x7f800001
	s_xor_b64 s[4:5], exec, -1
; %bb.3515:
	s_or_b64 exec, exec, s[8:9]
	s_and_b64 s[4:5], s[4:5], exec
	s_or_saveexec_b64 s[6:7], s[6:7]
	v_mov_b32_e32 v2, s10
	s_xor_b64 exec, exec, s[6:7]
	s_cbranch_execz .LBB13_1466
.LBB13_3516:
	v_mov_b32_e32 v2, 0
	v_cmp_ne_u16_sdwa s[8:9], v7, v2 src0_sel:BYTE_3 src1_sel:DWORD
	s_andn2_b64 s[4:5], s[4:5], exec
	s_and_b64 s[8:9], s[8:9], exec
	s_or_b64 s[4:5], s[4:5], s[8:9]
	s_or_b64 exec, exec, s[6:7]
	s_and_saveexec_b64 s[6:7], s[4:5]
	s_cbranch_execnz .LBB13_1467
	s_branch .LBB13_1468
.LBB13_3517:
	s_movk_i32 s4, 0x80
	v_cmp_eq_u16_sdwa s[12:13], v3, s4 src0_sel:BYTE_3 src1_sel:DWORD
	s_mov_b64 s[4:5], -1
                                        ; implicit-def: $sgpr10
	s_and_saveexec_b64 s[8:9], s[12:13]
; %bb.3518:
	s_mov_b32 s10, 0x7f800001
	s_xor_b64 s[4:5], exec, -1
; %bb.3519:
	s_or_b64 exec, exec, s[8:9]
	s_and_b64 s[4:5], s[4:5], exec
	s_or_saveexec_b64 s[6:7], s[6:7]
	v_mov_b32_e32 v6, s10
	s_xor_b64 exec, exec, s[6:7]
	s_cbranch_execz .LBB13_1470
.LBB13_3520:
	v_mov_b32_e32 v6, 0
	v_cmp_ne_u16_sdwa s[8:9], v3, v6 src0_sel:BYTE_3 src1_sel:DWORD
	s_andn2_b64 s[4:5], s[4:5], exec
	s_and_b64 s[8:9], s[8:9], exec
	s_or_b64 s[4:5], s[4:5], s[8:9]
	s_or_b64 exec, exec, s[6:7]
	s_and_saveexec_b64 s[6:7], s[4:5]
	s_cbranch_execnz .LBB13_1471
	s_branch .LBB13_1472
.LBB13_3521:
	s_movk_i32 s4, 0x80
	v_cmp_eq_u16_sdwa s[12:13], v8, s4 src0_sel:BYTE_0 src1_sel:DWORD
	s_mov_b64 s[4:5], -1
                                        ; implicit-def: $sgpr10
	s_and_saveexec_b64 s[8:9], s[12:13]
; %bb.3522:
	s_mov_b32 s10, 0x7f800001
	s_xor_b64 s[4:5], exec, -1
; %bb.3523:
	s_or_b64 exec, exec, s[8:9]
	s_and_b64 s[4:5], s[4:5], exec
	s_or_saveexec_b64 s[6:7], s[6:7]
	v_mov_b32_e32 v2, s10
	s_xor_b64 exec, exec, s[6:7]
	s_cbranch_execz .LBB13_1474
.LBB13_3524:
	v_mov_b32_e32 v2, 0
	v_cmp_ne_u16_sdwa s[8:9], v8, v2 src0_sel:BYTE_0 src1_sel:DWORD
	s_andn2_b64 s[4:5], s[4:5], exec
	s_and_b64 s[8:9], s[8:9], exec
	s_or_b64 s[4:5], s[4:5], s[8:9]
	s_or_b64 exec, exec, s[6:7]
	s_and_saveexec_b64 s[6:7], s[4:5]
	s_cbranch_execnz .LBB13_1475
	s_branch .LBB13_1476
.LBB13_3525:
	s_movk_i32 s4, 0x80
	v_cmp_eq_u16_sdwa s[12:13], v4, s4 src0_sel:BYTE_0 src1_sel:DWORD
	s_mov_b64 s[4:5], -1
                                        ; implicit-def: $sgpr10
	s_and_saveexec_b64 s[8:9], s[12:13]
; %bb.3526:
	s_mov_b32 s10, 0x7f800001
	s_xor_b64 s[4:5], exec, -1
; %bb.3527:
	s_or_b64 exec, exec, s[8:9]
	s_and_b64 s[4:5], s[4:5], exec
	s_or_saveexec_b64 s[6:7], s[6:7]
	v_mov_b32_e32 v3, s10
	s_xor_b64 exec, exec, s[6:7]
	s_cbranch_execz .LBB13_1478
.LBB13_3528:
	v_mov_b32_e32 v3, 0
	v_cmp_ne_u16_sdwa s[8:9], v4, v3 src0_sel:BYTE_0 src1_sel:DWORD
	s_andn2_b64 s[4:5], s[4:5], exec
	s_and_b64 s[8:9], s[8:9], exec
	s_or_b64 s[4:5], s[4:5], s[8:9]
	s_or_b64 exec, exec, s[6:7]
	s_and_saveexec_b64 s[6:7], s[4:5]
	s_cbranch_execnz .LBB13_1479
	s_branch .LBB13_1480
.LBB13_3529:
	s_movk_i32 s4, 0x80
	v_cmp_eq_u16_sdwa s[12:13], v3, s4 src0_sel:BYTE_0 src1_sel:DWORD
	s_mov_b64 s[4:5], -1
                                        ; implicit-def: $sgpr10
	s_and_saveexec_b64 s[8:9], s[12:13]
; %bb.3530:
	s_mov_b32 s10, 0x7f800001
	s_xor_b64 s[4:5], exec, -1
; %bb.3531:
	s_or_b64 exec, exec, s[8:9]
	s_and_b64 s[4:5], s[4:5], exec
	s_or_saveexec_b64 s[6:7], s[6:7]
	v_mov_b32_e32 v2, s10
	s_xor_b64 exec, exec, s[6:7]
	s_cbranch_execz .LBB13_1482
.LBB13_3532:
	v_mov_b32_e32 v2, 0
	v_cmp_ne_u16_sdwa s[8:9], v3, v2 src0_sel:BYTE_0 src1_sel:DWORD
	s_andn2_b64 s[4:5], s[4:5], exec
	s_and_b64 s[8:9], s[8:9], exec
	s_or_b64 s[4:5], s[4:5], s[8:9]
	s_or_b64 exec, exec, s[6:7]
	s_and_saveexec_b64 s[6:7], s[4:5]
	s_cbranch_execnz .LBB13_1483
	s_branch .LBB13_1484
.LBB13_3533:
	s_movk_i32 s4, 0x80
	v_cmp_eq_u16_sdwa s[12:13], v3, s4 src0_sel:BYTE_0 src1_sel:DWORD
	s_mov_b64 s[4:5], -1
                                        ; implicit-def: $sgpr10
	s_and_saveexec_b64 s[8:9], s[12:13]
; %bb.3534:
	s_mov_b32 s10, 0x7f800001
	s_xor_b64 s[4:5], exec, -1
; %bb.3535:
	s_or_b64 exec, exec, s[8:9]
	s_and_b64 s[4:5], s[4:5], exec
	s_or_saveexec_b64 s[6:7], s[6:7]
	v_mov_b32_e32 v6, s10
	s_xor_b64 exec, exec, s[6:7]
	s_cbranch_execz .LBB13_1486
.LBB13_3536:
	v_mov_b32_e32 v6, 0
	v_cmp_ne_u16_sdwa s[8:9], v3, v6 src0_sel:BYTE_0 src1_sel:DWORD
	s_andn2_b64 s[4:5], s[4:5], exec
	s_and_b64 s[8:9], s[8:9], exec
	s_or_b64 s[4:5], s[4:5], s[8:9]
	s_or_b64 exec, exec, s[6:7]
	s_and_saveexec_b64 s[6:7], s[4:5]
	s_cbranch_execnz .LBB13_1487
	s_branch .LBB13_1488
.LBB13_3537:
	s_movk_i32 s4, 0x80
	v_cmp_eq_u16_e32 vcc, s4, v3
	s_mov_b64 s[4:5], -1
                                        ; implicit-def: $sgpr10
	s_and_saveexec_b64 s[8:9], vcc
; %bb.3538:
	s_mov_b32 s10, 0x7f800001
	s_xor_b64 s[4:5], exec, -1
; %bb.3539:
	s_or_b64 exec, exec, s[8:9]
	s_and_b64 s[4:5], s[4:5], exec
                                        ; implicit-def: $vgpr3
	s_or_saveexec_b64 s[6:7], s[6:7]
	v_mov_b32_e32 v2, s10
	s_xor_b64 exec, exec, s[6:7]
	s_cbranch_execz .LBB13_1490
.LBB13_3540:
	v_cmp_ne_u16_e32 vcc, 0, v3
	s_andn2_b64 s[4:5], s[4:5], exec
	s_and_b64 s[8:9], vcc, exec
	v_mov_b32_e32 v2, 0
	s_or_b64 s[4:5], s[4:5], s[8:9]
	s_or_b64 exec, exec, s[6:7]
	s_and_saveexec_b64 s[6:7], s[4:5]
	s_cbranch_execnz .LBB13_1491
	s_branch .LBB13_1492
.LBB13_3541:
	s_movk_i32 s4, 0x80
	v_cmp_eq_u16_e32 vcc, s4, v3
	s_mov_b64 s[4:5], -1
                                        ; implicit-def: $sgpr10
	s_and_saveexec_b64 s[8:9], vcc
; %bb.3542:
	s_mov_b32 s10, 0x7f800001
	s_xor_b64 s[4:5], exec, -1
; %bb.3543:
	s_or_b64 exec, exec, s[8:9]
	s_and_b64 s[4:5], s[4:5], exec
                                        ; implicit-def: $vgpr3
	s_or_saveexec_b64 s[6:7], s[6:7]
	v_mov_b32_e32 v6, s10
	s_xor_b64 exec, exec, s[6:7]
	s_cbranch_execz .LBB13_1494
.LBB13_3544:
	v_cmp_ne_u16_e32 vcc, 0, v3
	s_andn2_b64 s[4:5], s[4:5], exec
	s_and_b64 s[8:9], vcc, exec
	v_mov_b32_e32 v6, 0
	s_or_b64 s[4:5], s[4:5], s[8:9]
	s_or_b64 exec, exec, s[6:7]
	s_and_saveexec_b64 s[6:7], s[4:5]
	s_cbranch_execnz .LBB13_1495
	s_branch .LBB13_1496
.LBB13_3545:
	s_movk_i32 s4, 0x80
	v_cmp_eq_u16_sdwa s[12:13], v8, s4 src0_sel:BYTE_3 src1_sel:DWORD
	s_mov_b64 s[4:5], -1
                                        ; implicit-def: $sgpr10
	s_and_saveexec_b64 s[8:9], s[12:13]
; %bb.3546:
	s_mov_b32 s10, 0x7f800001
	s_xor_b64 s[4:5], exec, -1
; %bb.3547:
	s_or_b64 exec, exec, s[8:9]
	s_and_b64 s[4:5], s[4:5], exec
	s_or_saveexec_b64 s[6:7], s[6:7]
	v_mov_b32_e32 v2, s10
	s_xor_b64 exec, exec, s[6:7]
	s_cbranch_execz .LBB13_1498
.LBB13_3548:
	v_mov_b32_e32 v2, 0
	v_cmp_ne_u16_sdwa s[8:9], v8, v2 src0_sel:BYTE_3 src1_sel:DWORD
	s_andn2_b64 s[4:5], s[4:5], exec
	s_and_b64 s[8:9], s[8:9], exec
	s_or_b64 s[4:5], s[4:5], s[8:9]
	s_or_b64 exec, exec, s[6:7]
	s_and_saveexec_b64 s[6:7], s[4:5]
	s_cbranch_execnz .LBB13_1499
	s_branch .LBB13_1500
.LBB13_3549:
	s_movk_i32 s4, 0x80
	v_cmp_eq_u16_sdwa s[12:13], v4, s4 src0_sel:BYTE_3 src1_sel:DWORD
	s_mov_b64 s[4:5], -1
                                        ; implicit-def: $sgpr10
	s_and_saveexec_b64 s[8:9], s[12:13]
; %bb.3550:
	s_mov_b32 s10, 0x7f800001
	s_xor_b64 s[4:5], exec, -1
; %bb.3551:
	s_or_b64 exec, exec, s[8:9]
	s_and_b64 s[4:5], s[4:5], exec
	s_or_saveexec_b64 s[6:7], s[6:7]
	v_mov_b32_e32 v3, s10
	s_xor_b64 exec, exec, s[6:7]
	s_cbranch_execz .LBB13_1502
.LBB13_3552:
	v_mov_b32_e32 v3, 0
	v_cmp_ne_u16_sdwa s[8:9], v4, v3 src0_sel:BYTE_3 src1_sel:DWORD
	s_andn2_b64 s[4:5], s[4:5], exec
	s_and_b64 s[8:9], s[8:9], exec
	s_or_b64 s[4:5], s[4:5], s[8:9]
	s_or_b64 exec, exec, s[6:7]
	s_and_saveexec_b64 s[6:7], s[4:5]
	s_cbranch_execnz .LBB13_1503
	s_branch .LBB13_1504
.LBB13_3553:
	s_movk_i32 s4, 0x80
	v_cmp_eq_u16_sdwa s[12:13], v9, s4 src0_sel:BYTE_0 src1_sel:DWORD
	s_mov_b64 s[4:5], -1
                                        ; implicit-def: $sgpr10
	s_and_saveexec_b64 s[8:9], s[12:13]
; %bb.3554:
	s_mov_b32 s10, 0x7f800001
	s_xor_b64 s[4:5], exec, -1
; %bb.3555:
	s_or_b64 exec, exec, s[8:9]
	s_and_b64 s[4:5], s[4:5], exec
	s_or_saveexec_b64 s[6:7], s[6:7]
	v_mov_b32_e32 v2, s10
	s_xor_b64 exec, exec, s[6:7]
	s_cbranch_execz .LBB13_1506
.LBB13_3556:
	v_mov_b32_e32 v2, 0
	v_cmp_ne_u16_sdwa s[8:9], v9, v2 src0_sel:BYTE_0 src1_sel:DWORD
	s_andn2_b64 s[4:5], s[4:5], exec
	s_and_b64 s[8:9], s[8:9], exec
	s_or_b64 s[4:5], s[4:5], s[8:9]
	s_or_b64 exec, exec, s[6:7]
	s_and_saveexec_b64 s[6:7], s[4:5]
	s_cbranch_execnz .LBB13_1507
	s_branch .LBB13_1508
.LBB13_3557:
	s_movk_i32 s4, 0x80
	v_cmp_eq_u16_sdwa s[12:13], v5, s4 src0_sel:BYTE_0 src1_sel:DWORD
	s_mov_b64 s[4:5], -1
                                        ; implicit-def: $sgpr10
	s_and_saveexec_b64 s[8:9], s[12:13]
; %bb.3558:
	s_mov_b32 s10, 0x7f800001
	s_xor_b64 s[4:5], exec, -1
; %bb.3559:
	s_or_b64 exec, exec, s[8:9]
	s_and_b64 s[4:5], s[4:5], exec
	s_or_saveexec_b64 s[6:7], s[6:7]
	v_mov_b32_e32 v3, s10
	s_xor_b64 exec, exec, s[6:7]
	s_cbranch_execz .LBB13_1510
.LBB13_3560:
	v_mov_b32_e32 v3, 0
	v_cmp_ne_u16_sdwa s[8:9], v5, v3 src0_sel:BYTE_0 src1_sel:DWORD
	s_andn2_b64 s[4:5], s[4:5], exec
	s_and_b64 s[8:9], s[8:9], exec
	s_or_b64 s[4:5], s[4:5], s[8:9]
	s_or_b64 exec, exec, s[6:7]
	s_and_saveexec_b64 s[6:7], s[4:5]
	s_cbranch_execnz .LBB13_1511
	s_branch .LBB13_1512
.LBB13_3561:
	s_movk_i32 s4, 0x80
	v_cmp_eq_u16_sdwa s[12:13], v3, s4 src0_sel:BYTE_0 src1_sel:DWORD
	s_mov_b64 s[4:5], -1
                                        ; implicit-def: $sgpr10
	s_and_saveexec_b64 s[8:9], s[12:13]
; %bb.3562:
	s_mov_b32 s10, 0x7f800001
	s_xor_b64 s[4:5], exec, -1
; %bb.3563:
	s_or_b64 exec, exec, s[8:9]
	s_and_b64 s[4:5], s[4:5], exec
	s_or_saveexec_b64 s[6:7], s[6:7]
	v_mov_b32_e32 v2, s10
	s_xor_b64 exec, exec, s[6:7]
	s_cbranch_execz .LBB13_1514
.LBB13_3564:
	v_mov_b32_e32 v2, 0
	v_cmp_ne_u16_sdwa s[8:9], v3, v2 src0_sel:BYTE_0 src1_sel:DWORD
	s_andn2_b64 s[4:5], s[4:5], exec
	s_and_b64 s[8:9], s[8:9], exec
	s_or_b64 s[4:5], s[4:5], s[8:9]
	s_or_b64 exec, exec, s[6:7]
	s_and_saveexec_b64 s[6:7], s[4:5]
	s_cbranch_execnz .LBB13_1515
	s_branch .LBB13_1516
.LBB13_3565:
	s_movk_i32 s4, 0x80
	v_cmp_eq_u16_sdwa s[12:13], v3, s4 src0_sel:BYTE_0 src1_sel:DWORD
	s_mov_b64 s[4:5], -1
                                        ; implicit-def: $sgpr10
	s_and_saveexec_b64 s[8:9], s[12:13]
; %bb.3566:
	s_mov_b32 s10, 0x7f800001
	s_xor_b64 s[4:5], exec, -1
; %bb.3567:
	s_or_b64 exec, exec, s[8:9]
	s_and_b64 s[4:5], s[4:5], exec
	s_or_saveexec_b64 s[6:7], s[6:7]
	v_mov_b32_e32 v4, s10
	s_xor_b64 exec, exec, s[6:7]
	s_cbranch_execz .LBB13_1518
.LBB13_3568:
	v_mov_b32_e32 v4, 0
	v_cmp_ne_u16_sdwa s[8:9], v3, v4 src0_sel:BYTE_0 src1_sel:DWORD
	s_andn2_b64 s[4:5], s[4:5], exec
	s_and_b64 s[8:9], s[8:9], exec
	s_or_b64 s[4:5], s[4:5], s[8:9]
	s_or_b64 exec, exec, s[6:7]
	s_and_saveexec_b64 s[6:7], s[4:5]
	s_cbranch_execnz .LBB13_1519
	s_branch .LBB13_1520
.LBB13_3569:
	s_movk_i32 s4, 0x80
	v_cmp_eq_u16_e32 vcc, s4, v3
	s_mov_b64 s[4:5], -1
                                        ; implicit-def: $sgpr10
	s_and_saveexec_b64 s[8:9], vcc
; %bb.3570:
	s_mov_b32 s10, 0x7f800001
	s_xor_b64 s[4:5], exec, -1
; %bb.3571:
	s_or_b64 exec, exec, s[8:9]
	s_and_b64 s[4:5], s[4:5], exec
                                        ; implicit-def: $vgpr3
	s_or_saveexec_b64 s[6:7], s[6:7]
	v_mov_b32_e32 v2, s10
	s_xor_b64 exec, exec, s[6:7]
	s_cbranch_execz .LBB13_1522
.LBB13_3572:
	v_cmp_ne_u16_e32 vcc, 0, v3
	s_andn2_b64 s[4:5], s[4:5], exec
	s_and_b64 s[8:9], vcc, exec
	v_mov_b32_e32 v2, 0
	s_or_b64 s[4:5], s[4:5], s[8:9]
	s_or_b64 exec, exec, s[6:7]
	s_and_saveexec_b64 s[6:7], s[4:5]
	s_cbranch_execnz .LBB13_1523
	s_branch .LBB13_1524
.LBB13_3573:
	s_movk_i32 s4, 0x80
	v_cmp_eq_u16_e32 vcc, s4, v3
	s_mov_b64 s[4:5], -1
                                        ; implicit-def: $sgpr10
	s_and_saveexec_b64 s[8:9], vcc
; %bb.3574:
	s_mov_b32 s10, 0x7f800001
	s_xor_b64 s[4:5], exec, -1
; %bb.3575:
	s_or_b64 exec, exec, s[8:9]
	s_and_b64 s[4:5], s[4:5], exec
                                        ; implicit-def: $vgpr3
	s_or_saveexec_b64 s[6:7], s[6:7]
	v_mov_b32_e32 v4, s10
	s_xor_b64 exec, exec, s[6:7]
	s_cbranch_execz .LBB13_1526
.LBB13_3576:
	v_cmp_ne_u16_e32 vcc, 0, v3
	s_andn2_b64 s[4:5], s[4:5], exec
	s_and_b64 s[8:9], vcc, exec
	v_mov_b32_e32 v4, 0
	s_or_b64 s[4:5], s[4:5], s[8:9]
	s_or_b64 exec, exec, s[6:7]
	s_and_saveexec_b64 s[6:7], s[4:5]
	s_cbranch_execnz .LBB13_1527
	s_branch .LBB13_1528
.LBB13_3577:
	s_movk_i32 s4, 0x80
	v_cmp_eq_u16_sdwa s[12:13], v9, s4 src0_sel:BYTE_3 src1_sel:DWORD
	s_mov_b64 s[4:5], -1
                                        ; implicit-def: $sgpr10
	s_and_saveexec_b64 s[8:9], s[12:13]
; %bb.3578:
	s_mov_b32 s10, 0x7f800001
	s_xor_b64 s[4:5], exec, -1
; %bb.3579:
	s_or_b64 exec, exec, s[8:9]
	s_and_b64 s[4:5], s[4:5], exec
	s_or_saveexec_b64 s[6:7], s[6:7]
	v_mov_b32_e32 v2, s10
	s_xor_b64 exec, exec, s[6:7]
	s_cbranch_execz .LBB13_1530
.LBB13_3580:
	v_mov_b32_e32 v2, 0
	v_cmp_ne_u16_sdwa s[8:9], v9, v2 src0_sel:BYTE_3 src1_sel:DWORD
	s_andn2_b64 s[4:5], s[4:5], exec
	s_and_b64 s[8:9], s[8:9], exec
	s_or_b64 s[4:5], s[4:5], s[8:9]
	s_or_b64 exec, exec, s[6:7]
	s_and_saveexec_b64 s[6:7], s[4:5]
	s_cbranch_execnz .LBB13_1531
	s_branch .LBB13_1532
.LBB13_3581:
	s_movk_i32 s4, 0x80
	v_cmp_eq_u16_sdwa s[12:13], v5, s4 src0_sel:BYTE_3 src1_sel:DWORD
	s_mov_b64 s[4:5], -1
                                        ; implicit-def: $sgpr10
	s_and_saveexec_b64 s[8:9], s[12:13]
; %bb.3582:
	s_mov_b32 s10, 0x7f800001
	s_xor_b64 s[4:5], exec, -1
; %bb.3583:
	s_or_b64 exec, exec, s[8:9]
	s_and_b64 s[4:5], s[4:5], exec
	s_or_saveexec_b64 s[6:7], s[6:7]
	v_mov_b32_e32 v3, s10
	s_xor_b64 exec, exec, s[6:7]
	s_cbranch_execz .LBB13_1534
.LBB13_3584:
	v_mov_b32_e32 v3, 0
	v_cmp_ne_u16_sdwa s[8:9], v5, v3 src0_sel:BYTE_3 src1_sel:DWORD
	s_andn2_b64 s[4:5], s[4:5], exec
	s_and_b64 s[8:9], s[8:9], exec
	s_or_b64 s[4:5], s[4:5], s[8:9]
	s_or_b64 exec, exec, s[6:7]
	s_and_saveexec_b64 s[6:7], s[4:5]
	s_cbranch_execnz .LBB13_1535
	s_branch .LBB13_1536
.LBB13_3585:
	s_movk_i32 s4, 0x80
	v_cmp_eq_u16_sdwa s[12:13], v14, s4 src0_sel:BYTE_0 src1_sel:DWORD
	s_mov_b64 s[4:5], -1
                                        ; implicit-def: $sgpr10
	s_and_saveexec_b64 s[8:9], s[12:13]
; %bb.3586:
	s_mov_b32 s10, 0x7f800001
	s_xor_b64 s[4:5], exec, -1
; %bb.3587:
	s_or_b64 exec, exec, s[8:9]
	s_and_b64 s[4:5], s[4:5], exec
	s_or_saveexec_b64 s[6:7], s[6:7]
	v_mov_b32_e32 v20, s10
	s_xor_b64 exec, exec, s[6:7]
	s_cbranch_execz .LBB13_1538
.LBB13_3588:
	v_mov_b32_e32 v20, 0
	v_cmp_ne_u16_sdwa s[8:9], v14, v20 src0_sel:BYTE_0 src1_sel:DWORD
	s_andn2_b64 s[4:5], s[4:5], exec
	s_and_b64 s[8:9], s[8:9], exec
	s_or_b64 s[4:5], s[4:5], s[8:9]
	s_or_b64 exec, exec, s[6:7]
	s_and_saveexec_b64 s[6:7], s[4:5]
	s_cbranch_execnz .LBB13_1539
	s_branch .LBB13_1540
.LBB13_3589:
	s_movk_i32 s4, 0x80
	v_cmp_eq_u16_sdwa s[12:13], v10, s4 src0_sel:BYTE_0 src1_sel:DWORD
	s_mov_b64 s[4:5], -1
                                        ; implicit-def: $sgpr10
	s_and_saveexec_b64 s[8:9], s[12:13]
; %bb.3590:
	s_mov_b32 s10, 0x7f800001
	s_xor_b64 s[4:5], exec, -1
; %bb.3591:
	s_or_b64 exec, exec, s[8:9]
	s_and_b64 s[4:5], s[4:5], exec
	s_or_saveexec_b64 s[6:7], s[6:7]
	v_mov_b32_e32 v21, s10
	s_xor_b64 exec, exec, s[6:7]
	s_cbranch_execz .LBB13_1542
.LBB13_3592:
	v_mov_b32_e32 v21, 0
	v_cmp_ne_u16_sdwa s[8:9], v10, v21 src0_sel:BYTE_0 src1_sel:DWORD
	s_andn2_b64 s[4:5], s[4:5], exec
	s_and_b64 s[8:9], s[8:9], exec
	s_or_b64 s[4:5], s[4:5], s[8:9]
	s_or_b64 exec, exec, s[6:7]
	s_and_saveexec_b64 s[6:7], s[4:5]
	s_cbranch_execnz .LBB13_1543
	s_branch .LBB13_1544
.LBB13_3593:
	s_movk_i32 s4, 0x80
	v_cmp_eq_u16_sdwa s[12:13], v21, s4 src0_sel:BYTE_0 src1_sel:DWORD
	s_mov_b64 s[4:5], -1
                                        ; implicit-def: $sgpr10
	s_and_saveexec_b64 s[8:9], s[12:13]
; %bb.3594:
	s_mov_b32 s10, 0x7f800001
	s_xor_b64 s[4:5], exec, -1
; %bb.3595:
	s_or_b64 exec, exec, s[8:9]
	s_and_b64 s[4:5], s[4:5], exec
	s_or_saveexec_b64 s[6:7], s[6:7]
	v_mov_b32_e32 v20, s10
	s_xor_b64 exec, exec, s[6:7]
	s_cbranch_execz .LBB13_1546
.LBB13_3596:
	v_mov_b32_e32 v20, 0
	v_cmp_ne_u16_sdwa s[8:9], v21, v20 src0_sel:BYTE_0 src1_sel:DWORD
	s_andn2_b64 s[4:5], s[4:5], exec
	s_and_b64 s[8:9], s[8:9], exec
	s_or_b64 s[4:5], s[4:5], s[8:9]
	s_or_b64 exec, exec, s[6:7]
	s_and_saveexec_b64 s[6:7], s[4:5]
	s_cbranch_execnz .LBB13_1547
	s_branch .LBB13_1548
.LBB13_3597:
	s_movk_i32 s4, 0x80
	v_cmp_eq_u16_sdwa s[12:13], v21, s4 src0_sel:BYTE_0 src1_sel:DWORD
	s_mov_b64 s[4:5], -1
                                        ; implicit-def: $sgpr10
	s_and_saveexec_b64 s[8:9], s[12:13]
; %bb.3598:
	s_mov_b32 s10, 0x7f800001
	s_xor_b64 s[4:5], exec, -1
; %bb.3599:
	s_or_b64 exec, exec, s[8:9]
	s_and_b64 s[4:5], s[4:5], exec
	s_or_saveexec_b64 s[6:7], s[6:7]
	v_mov_b32_e32 v22, s10
	s_xor_b64 exec, exec, s[6:7]
	s_cbranch_execz .LBB13_1550
.LBB13_3600:
	v_mov_b32_e32 v22, 0
	v_cmp_ne_u16_sdwa s[8:9], v21, v22 src0_sel:BYTE_0 src1_sel:DWORD
	s_andn2_b64 s[4:5], s[4:5], exec
	s_and_b64 s[8:9], s[8:9], exec
	s_or_b64 s[4:5], s[4:5], s[8:9]
	s_or_b64 exec, exec, s[6:7]
	s_and_saveexec_b64 s[6:7], s[4:5]
	s_cbranch_execnz .LBB13_1551
	s_branch .LBB13_1552
.LBB13_3601:
	s_movk_i32 s4, 0x80
	v_cmp_eq_u16_e32 vcc, s4, v21
	s_mov_b64 s[4:5], -1
                                        ; implicit-def: $sgpr10
	s_and_saveexec_b64 s[8:9], vcc
; %bb.3602:
	s_mov_b32 s10, 0x7f800001
	s_xor_b64 s[4:5], exec, -1
; %bb.3603:
	s_or_b64 exec, exec, s[8:9]
	s_and_b64 s[4:5], s[4:5], exec
                                        ; implicit-def: $vgpr21
	s_or_saveexec_b64 s[6:7], s[6:7]
	v_mov_b32_e32 v20, s10
	s_xor_b64 exec, exec, s[6:7]
	s_cbranch_execz .LBB13_1554
.LBB13_3604:
	v_cmp_ne_u16_e32 vcc, 0, v21
	s_andn2_b64 s[4:5], s[4:5], exec
	s_and_b64 s[8:9], vcc, exec
	v_mov_b32_e32 v20, 0
	s_or_b64 s[4:5], s[4:5], s[8:9]
	s_or_b64 exec, exec, s[6:7]
	s_and_saveexec_b64 s[6:7], s[4:5]
	s_cbranch_execnz .LBB13_1555
	s_branch .LBB13_1556
.LBB13_3605:
	s_movk_i32 s4, 0x80
	v_cmp_eq_u16_e32 vcc, s4, v21
	s_mov_b64 s[4:5], -1
                                        ; implicit-def: $sgpr10
	s_and_saveexec_b64 s[8:9], vcc
; %bb.3606:
	s_mov_b32 s10, 0x7f800001
	s_xor_b64 s[4:5], exec, -1
; %bb.3607:
	s_or_b64 exec, exec, s[8:9]
	s_and_b64 s[4:5], s[4:5], exec
                                        ; implicit-def: $vgpr21
	s_or_saveexec_b64 s[6:7], s[6:7]
	v_mov_b32_e32 v22, s10
	s_xor_b64 exec, exec, s[6:7]
	s_cbranch_execz .LBB13_1558
.LBB13_3608:
	v_cmp_ne_u16_e32 vcc, 0, v21
	s_andn2_b64 s[4:5], s[4:5], exec
	s_and_b64 s[8:9], vcc, exec
	v_mov_b32_e32 v22, 0
	s_or_b64 s[4:5], s[4:5], s[8:9]
	s_or_b64 exec, exec, s[6:7]
	s_and_saveexec_b64 s[6:7], s[4:5]
	s_cbranch_execnz .LBB13_1559
	s_branch .LBB13_1560
.LBB13_3609:
	s_movk_i32 s4, 0x80
	v_cmp_eq_u16_sdwa s[12:13], v14, s4 src0_sel:BYTE_3 src1_sel:DWORD
	s_mov_b64 s[4:5], -1
                                        ; implicit-def: $sgpr10
	s_and_saveexec_b64 s[8:9], s[12:13]
; %bb.3610:
	s_mov_b32 s10, 0x7f800001
	s_xor_b64 s[4:5], exec, -1
; %bb.3611:
	s_or_b64 exec, exec, s[8:9]
	s_and_b64 s[4:5], s[4:5], exec
	s_or_saveexec_b64 s[6:7], s[6:7]
	v_mov_b32_e32 v20, s10
	s_xor_b64 exec, exec, s[6:7]
	s_cbranch_execz .LBB13_1562
.LBB13_3612:
	v_mov_b32_e32 v20, 0
	v_cmp_ne_u16_sdwa s[8:9], v14, v20 src0_sel:BYTE_3 src1_sel:DWORD
	s_andn2_b64 s[4:5], s[4:5], exec
	s_and_b64 s[8:9], s[8:9], exec
	s_or_b64 s[4:5], s[4:5], s[8:9]
	s_or_b64 exec, exec, s[6:7]
	s_and_saveexec_b64 s[6:7], s[4:5]
	s_cbranch_execnz .LBB13_1563
	s_branch .LBB13_1564
.LBB13_3613:
	s_movk_i32 s4, 0x80
	v_cmp_eq_u16_sdwa s[12:13], v10, s4 src0_sel:BYTE_3 src1_sel:DWORD
	s_mov_b64 s[4:5], -1
                                        ; implicit-def: $sgpr10
	s_and_saveexec_b64 s[8:9], s[12:13]
; %bb.3614:
	s_mov_b32 s10, 0x7f800001
	s_xor_b64 s[4:5], exec, -1
; %bb.3615:
	s_or_b64 exec, exec, s[8:9]
	s_and_b64 s[4:5], s[4:5], exec
	s_or_saveexec_b64 s[6:7], s[6:7]
	v_mov_b32_e32 v14, s10
	s_xor_b64 exec, exec, s[6:7]
	s_cbranch_execz .LBB13_1566
.LBB13_3616:
	v_mov_b32_e32 v14, 0
	v_cmp_ne_u16_sdwa s[8:9], v10, v14 src0_sel:BYTE_3 src1_sel:DWORD
	s_andn2_b64 s[4:5], s[4:5], exec
	s_and_b64 s[8:9], s[8:9], exec
	s_or_b64 s[4:5], s[4:5], s[8:9]
	s_or_b64 exec, exec, s[6:7]
	s_and_saveexec_b64 s[6:7], s[4:5]
	s_cbranch_execnz .LBB13_1567
	s_branch .LBB13_1568
.LBB13_3617:
	s_movk_i32 s4, 0x80
	v_cmp_eq_u16_sdwa s[12:13], v15, s4 src0_sel:BYTE_0 src1_sel:DWORD
	s_mov_b64 s[4:5], -1
                                        ; implicit-def: $sgpr10
	s_and_saveexec_b64 s[8:9], s[12:13]
; %bb.3618:
	s_mov_b32 s10, 0x7f800001
	s_xor_b64 s[4:5], exec, -1
; %bb.3619:
	s_or_b64 exec, exec, s[8:9]
	s_and_b64 s[4:5], s[4:5], exec
	s_or_saveexec_b64 s[6:7], s[6:7]
	v_mov_b32_e32 v10, s10
	s_xor_b64 exec, exec, s[6:7]
	s_cbranch_execz .LBB13_1570
.LBB13_3620:
	v_mov_b32_e32 v10, 0
	v_cmp_ne_u16_sdwa s[8:9], v15, v10 src0_sel:BYTE_0 src1_sel:DWORD
	s_andn2_b64 s[4:5], s[4:5], exec
	s_and_b64 s[8:9], s[8:9], exec
	s_or_b64 s[4:5], s[4:5], s[8:9]
	s_or_b64 exec, exec, s[6:7]
	s_and_saveexec_b64 s[6:7], s[4:5]
	s_cbranch_execnz .LBB13_1571
	s_branch .LBB13_1572
.LBB13_3621:
	s_movk_i32 s4, 0x80
	v_cmp_eq_u16_sdwa s[12:13], v11, s4 src0_sel:BYTE_0 src1_sel:DWORD
	s_mov_b64 s[4:5], -1
                                        ; implicit-def: $sgpr10
	s_and_saveexec_b64 s[8:9], s[12:13]
; %bb.3622:
	s_mov_b32 s10, 0x7f800001
	s_xor_b64 s[4:5], exec, -1
; %bb.3623:
	s_or_b64 exec, exec, s[8:9]
	s_and_b64 s[4:5], s[4:5], exec
	s_or_saveexec_b64 s[6:7], s[6:7]
	v_mov_b32_e32 v14, s10
	s_xor_b64 exec, exec, s[6:7]
	s_cbranch_execz .LBB13_1574
.LBB13_3624:
	v_mov_b32_e32 v14, 0
	v_cmp_ne_u16_sdwa s[8:9], v11, v14 src0_sel:BYTE_0 src1_sel:DWORD
	s_andn2_b64 s[4:5], s[4:5], exec
	s_and_b64 s[8:9], s[8:9], exec
	s_or_b64 s[4:5], s[4:5], s[8:9]
	s_or_b64 exec, exec, s[6:7]
	s_and_saveexec_b64 s[6:7], s[4:5]
	s_cbranch_execnz .LBB13_1575
	s_branch .LBB13_1576
.LBB13_3625:
	s_movk_i32 s4, 0x80
	v_cmp_eq_u16_sdwa s[12:13], v14, s4 src0_sel:BYTE_0 src1_sel:DWORD
	s_mov_b64 s[4:5], -1
                                        ; implicit-def: $sgpr10
	s_and_saveexec_b64 s[8:9], s[12:13]
; %bb.3626:
	s_mov_b32 s10, 0x7f800001
	s_xor_b64 s[4:5], exec, -1
; %bb.3627:
	s_or_b64 exec, exec, s[8:9]
	s_and_b64 s[4:5], s[4:5], exec
	s_or_saveexec_b64 s[6:7], s[6:7]
	v_mov_b32_e32 v10, s10
	s_xor_b64 exec, exec, s[6:7]
	s_cbranch_execz .LBB13_1578
.LBB13_3628:
	v_mov_b32_e32 v10, 0
	v_cmp_ne_u16_sdwa s[8:9], v14, v10 src0_sel:BYTE_0 src1_sel:DWORD
	s_andn2_b64 s[4:5], s[4:5], exec
	s_and_b64 s[8:9], s[8:9], exec
	s_or_b64 s[4:5], s[4:5], s[8:9]
	s_or_b64 exec, exec, s[6:7]
	s_and_saveexec_b64 s[6:7], s[4:5]
	s_cbranch_execnz .LBB13_1579
	s_branch .LBB13_1580
.LBB13_3629:
	s_movk_i32 s4, 0x80
	v_cmp_eq_u16_sdwa s[12:13], v14, s4 src0_sel:BYTE_0 src1_sel:DWORD
	s_mov_b64 s[4:5], -1
                                        ; implicit-def: $sgpr10
	s_and_saveexec_b64 s[8:9], s[12:13]
; %bb.3630:
	s_mov_b32 s10, 0x7f800001
	s_xor_b64 s[4:5], exec, -1
; %bb.3631:
	s_or_b64 exec, exec, s[8:9]
	s_and_b64 s[4:5], s[4:5], exec
	s_or_saveexec_b64 s[6:7], s[6:7]
	v_mov_b32_e32 v20, s10
	s_xor_b64 exec, exec, s[6:7]
	s_cbranch_execz .LBB13_1582
.LBB13_3632:
	v_mov_b32_e32 v20, 0
	v_cmp_ne_u16_sdwa s[8:9], v14, v20 src0_sel:BYTE_0 src1_sel:DWORD
	s_andn2_b64 s[4:5], s[4:5], exec
	s_and_b64 s[8:9], s[8:9], exec
	s_or_b64 s[4:5], s[4:5], s[8:9]
	s_or_b64 exec, exec, s[6:7]
	s_and_saveexec_b64 s[6:7], s[4:5]
	s_cbranch_execnz .LBB13_1583
	s_branch .LBB13_1584
.LBB13_3633:
	s_movk_i32 s4, 0x80
	v_cmp_eq_u16_e32 vcc, s4, v14
	s_mov_b64 s[4:5], -1
                                        ; implicit-def: $sgpr10
	s_and_saveexec_b64 s[8:9], vcc
; %bb.3634:
	s_mov_b32 s10, 0x7f800001
	s_xor_b64 s[4:5], exec, -1
; %bb.3635:
	s_or_b64 exec, exec, s[8:9]
	s_and_b64 s[4:5], s[4:5], exec
                                        ; implicit-def: $vgpr14
	s_or_saveexec_b64 s[6:7], s[6:7]
	v_mov_b32_e32 v10, s10
	s_xor_b64 exec, exec, s[6:7]
	s_cbranch_execz .LBB13_1586
.LBB13_3636:
	v_cmp_ne_u16_e32 vcc, 0, v14
	s_andn2_b64 s[4:5], s[4:5], exec
	s_and_b64 s[8:9], vcc, exec
	v_mov_b32_e32 v10, 0
	s_or_b64 s[4:5], s[4:5], s[8:9]
	s_or_b64 exec, exec, s[6:7]
	s_and_saveexec_b64 s[6:7], s[4:5]
	s_cbranch_execnz .LBB13_1587
	s_branch .LBB13_1588
.LBB13_3637:
	s_movk_i32 s4, 0x80
	v_cmp_eq_u16_e32 vcc, s4, v14
	s_mov_b64 s[4:5], -1
                                        ; implicit-def: $sgpr10
	s_and_saveexec_b64 s[8:9], vcc
; %bb.3638:
	s_mov_b32 s10, 0x7f800001
	s_xor_b64 s[4:5], exec, -1
; %bb.3639:
	s_or_b64 exec, exec, s[8:9]
	s_and_b64 s[4:5], s[4:5], exec
                                        ; implicit-def: $vgpr14
	s_or_saveexec_b64 s[6:7], s[6:7]
	v_mov_b32_e32 v20, s10
	s_xor_b64 exec, exec, s[6:7]
	s_cbranch_execz .LBB13_1590
.LBB13_3640:
	v_cmp_ne_u16_e32 vcc, 0, v14
	s_andn2_b64 s[4:5], s[4:5], exec
	s_and_b64 s[8:9], vcc, exec
	v_mov_b32_e32 v20, 0
	s_or_b64 s[4:5], s[4:5], s[8:9]
	s_or_b64 exec, exec, s[6:7]
	s_and_saveexec_b64 s[6:7], s[4:5]
	s_cbranch_execnz .LBB13_1591
	s_branch .LBB13_1592
.LBB13_3641:
	s_movk_i32 s4, 0x80
	v_cmp_eq_u16_sdwa s[12:13], v15, s4 src0_sel:BYTE_3 src1_sel:DWORD
	s_mov_b64 s[4:5], -1
                                        ; implicit-def: $sgpr10
	s_and_saveexec_b64 s[8:9], s[12:13]
; %bb.3642:
	s_mov_b32 s10, 0x7f800001
	s_xor_b64 s[4:5], exec, -1
; %bb.3643:
	s_or_b64 exec, exec, s[8:9]
	s_and_b64 s[4:5], s[4:5], exec
	s_or_saveexec_b64 s[6:7], s[6:7]
	v_mov_b32_e32 v10, s10
	s_xor_b64 exec, exec, s[6:7]
	s_cbranch_execz .LBB13_1594
.LBB13_3644:
	v_mov_b32_e32 v10, 0
	v_cmp_ne_u16_sdwa s[8:9], v15, v10 src0_sel:BYTE_3 src1_sel:DWORD
	s_andn2_b64 s[4:5], s[4:5], exec
	s_and_b64 s[8:9], s[8:9], exec
	s_or_b64 s[4:5], s[4:5], s[8:9]
	s_or_b64 exec, exec, s[6:7]
	s_and_saveexec_b64 s[6:7], s[4:5]
	s_cbranch_execnz .LBB13_1595
	s_branch .LBB13_1596
.LBB13_3645:
	s_movk_i32 s4, 0x80
	v_cmp_eq_u16_sdwa s[12:13], v11, s4 src0_sel:BYTE_3 src1_sel:DWORD
	s_mov_b64 s[4:5], -1
                                        ; implicit-def: $sgpr10
	s_and_saveexec_b64 s[8:9], s[12:13]
; %bb.3646:
	s_mov_b32 s10, 0x7f800001
	s_xor_b64 s[4:5], exec, -1
; %bb.3647:
	s_or_b64 exec, exec, s[8:9]
	s_and_b64 s[4:5], s[4:5], exec
	s_or_saveexec_b64 s[6:7], s[6:7]
	v_mov_b32_e32 v14, s10
	s_xor_b64 exec, exec, s[6:7]
	s_cbranch_execz .LBB13_1598
.LBB13_3648:
	v_mov_b32_e32 v14, 0
	v_cmp_ne_u16_sdwa s[8:9], v11, v14 src0_sel:BYTE_3 src1_sel:DWORD
	s_andn2_b64 s[4:5], s[4:5], exec
	s_and_b64 s[8:9], s[8:9], exec
	s_or_b64 s[4:5], s[4:5], s[8:9]
	s_or_b64 exec, exec, s[6:7]
	s_and_saveexec_b64 s[6:7], s[4:5]
	s_cbranch_execnz .LBB13_1599
	s_branch .LBB13_1600
.LBB13_3649:
	s_movk_i32 s4, 0x80
	v_cmp_eq_u16_sdwa s[12:13], v16, s4 src0_sel:BYTE_0 src1_sel:DWORD
	s_mov_b64 s[4:5], -1
                                        ; implicit-def: $sgpr10
	s_and_saveexec_b64 s[8:9], s[12:13]
; %bb.3650:
	s_mov_b32 s10, 0x7f800001
	s_xor_b64 s[4:5], exec, -1
; %bb.3651:
	s_or_b64 exec, exec, s[8:9]
	s_and_b64 s[4:5], s[4:5], exec
	s_or_saveexec_b64 s[6:7], s[6:7]
	v_mov_b32_e32 v10, s10
	s_xor_b64 exec, exec, s[6:7]
	s_cbranch_execz .LBB13_1602
.LBB13_3652:
	v_mov_b32_e32 v10, 0
	v_cmp_ne_u16_sdwa s[8:9], v16, v10 src0_sel:BYTE_0 src1_sel:DWORD
	s_andn2_b64 s[4:5], s[4:5], exec
	s_and_b64 s[8:9], s[8:9], exec
	s_or_b64 s[4:5], s[4:5], s[8:9]
	s_or_b64 exec, exec, s[6:7]
	s_and_saveexec_b64 s[6:7], s[4:5]
	s_cbranch_execnz .LBB13_1603
	s_branch .LBB13_1604
.LBB13_3653:
	s_movk_i32 s4, 0x80
	v_cmp_eq_u16_sdwa s[12:13], v12, s4 src0_sel:BYTE_0 src1_sel:DWORD
	s_mov_b64 s[4:5], -1
                                        ; implicit-def: $sgpr10
	s_and_saveexec_b64 s[8:9], s[12:13]
; %bb.3654:
	s_mov_b32 s10, 0x7f800001
	s_xor_b64 s[4:5], exec, -1
; %bb.3655:
	s_or_b64 exec, exec, s[8:9]
	s_and_b64 s[4:5], s[4:5], exec
	s_or_saveexec_b64 s[6:7], s[6:7]
	v_mov_b32_e32 v11, s10
	s_xor_b64 exec, exec, s[6:7]
	s_cbranch_execz .LBB13_1606
.LBB13_3656:
	v_mov_b32_e32 v11, 0
	v_cmp_ne_u16_sdwa s[8:9], v12, v11 src0_sel:BYTE_0 src1_sel:DWORD
	s_andn2_b64 s[4:5], s[4:5], exec
	s_and_b64 s[8:9], s[8:9], exec
	s_or_b64 s[4:5], s[4:5], s[8:9]
	s_or_b64 exec, exec, s[6:7]
	s_and_saveexec_b64 s[6:7], s[4:5]
	s_cbranch_execnz .LBB13_1607
	s_branch .LBB13_1608
.LBB13_3657:
	s_movk_i32 s4, 0x80
	v_cmp_eq_u16_sdwa s[12:13], v11, s4 src0_sel:BYTE_0 src1_sel:DWORD
	s_mov_b64 s[4:5], -1
                                        ; implicit-def: $sgpr10
	s_and_saveexec_b64 s[8:9], s[12:13]
; %bb.3658:
	s_mov_b32 s10, 0x7f800001
	s_xor_b64 s[4:5], exec, -1
; %bb.3659:
	s_or_b64 exec, exec, s[8:9]
	s_and_b64 s[4:5], s[4:5], exec
	s_or_saveexec_b64 s[6:7], s[6:7]
	v_mov_b32_e32 v10, s10
	s_xor_b64 exec, exec, s[6:7]
	s_cbranch_execz .LBB13_1610
.LBB13_3660:
	v_mov_b32_e32 v10, 0
	v_cmp_ne_u16_sdwa s[8:9], v11, v10 src0_sel:BYTE_0 src1_sel:DWORD
	s_andn2_b64 s[4:5], s[4:5], exec
	s_and_b64 s[8:9], s[8:9], exec
	s_or_b64 s[4:5], s[4:5], s[8:9]
	s_or_b64 exec, exec, s[6:7]
	s_and_saveexec_b64 s[6:7], s[4:5]
	s_cbranch_execnz .LBB13_1611
	s_branch .LBB13_1612
.LBB13_3661:
	s_movk_i32 s4, 0x80
	v_cmp_eq_u16_sdwa s[12:13], v11, s4 src0_sel:BYTE_0 src1_sel:DWORD
	s_mov_b64 s[4:5], -1
                                        ; implicit-def: $sgpr10
	s_and_saveexec_b64 s[8:9], s[12:13]
; %bb.3662:
	s_mov_b32 s10, 0x7f800001
	s_xor_b64 s[4:5], exec, -1
; %bb.3663:
	s_or_b64 exec, exec, s[8:9]
	s_and_b64 s[4:5], s[4:5], exec
	s_or_saveexec_b64 s[6:7], s[6:7]
	v_mov_b32_e32 v14, s10
	s_xor_b64 exec, exec, s[6:7]
	s_cbranch_execz .LBB13_1614
.LBB13_3664:
	v_mov_b32_e32 v14, 0
	v_cmp_ne_u16_sdwa s[8:9], v11, v14 src0_sel:BYTE_0 src1_sel:DWORD
	s_andn2_b64 s[4:5], s[4:5], exec
	s_and_b64 s[8:9], s[8:9], exec
	s_or_b64 s[4:5], s[4:5], s[8:9]
	s_or_b64 exec, exec, s[6:7]
	s_and_saveexec_b64 s[6:7], s[4:5]
	s_cbranch_execnz .LBB13_1615
	s_branch .LBB13_1616
.LBB13_3665:
	s_movk_i32 s4, 0x80
	v_cmp_eq_u16_e32 vcc, s4, v11
	s_mov_b64 s[4:5], -1
                                        ; implicit-def: $sgpr10
	s_and_saveexec_b64 s[8:9], vcc
; %bb.3666:
	s_mov_b32 s10, 0x7f800001
	s_xor_b64 s[4:5], exec, -1
; %bb.3667:
	s_or_b64 exec, exec, s[8:9]
	s_and_b64 s[4:5], s[4:5], exec
                                        ; implicit-def: $vgpr11
	s_or_saveexec_b64 s[6:7], s[6:7]
	v_mov_b32_e32 v10, s10
	s_xor_b64 exec, exec, s[6:7]
	s_cbranch_execz .LBB13_1618
.LBB13_3668:
	v_cmp_ne_u16_e32 vcc, 0, v11
	s_andn2_b64 s[4:5], s[4:5], exec
	s_and_b64 s[8:9], vcc, exec
	v_mov_b32_e32 v10, 0
	s_or_b64 s[4:5], s[4:5], s[8:9]
	s_or_b64 exec, exec, s[6:7]
	s_and_saveexec_b64 s[6:7], s[4:5]
	s_cbranch_execnz .LBB13_1619
	s_branch .LBB13_1620
.LBB13_3669:
	s_movk_i32 s4, 0x80
	v_cmp_eq_u16_e32 vcc, s4, v11
	s_mov_b64 s[4:5], -1
                                        ; implicit-def: $sgpr10
	s_and_saveexec_b64 s[8:9], vcc
; %bb.3670:
	s_mov_b32 s10, 0x7f800001
	s_xor_b64 s[4:5], exec, -1
; %bb.3671:
	s_or_b64 exec, exec, s[8:9]
	s_and_b64 s[4:5], s[4:5], exec
                                        ; implicit-def: $vgpr11
	s_or_saveexec_b64 s[6:7], s[6:7]
	v_mov_b32_e32 v14, s10
	s_xor_b64 exec, exec, s[6:7]
	s_cbranch_execz .LBB13_1622
.LBB13_3672:
	v_cmp_ne_u16_e32 vcc, 0, v11
	s_andn2_b64 s[4:5], s[4:5], exec
	s_and_b64 s[8:9], vcc, exec
	v_mov_b32_e32 v14, 0
	s_or_b64 s[4:5], s[4:5], s[8:9]
	s_or_b64 exec, exec, s[6:7]
	s_and_saveexec_b64 s[6:7], s[4:5]
	s_cbranch_execnz .LBB13_1623
	s_branch .LBB13_1624
.LBB13_3673:
	s_movk_i32 s4, 0x80
	v_cmp_eq_u16_sdwa s[12:13], v16, s4 src0_sel:BYTE_3 src1_sel:DWORD
	s_mov_b64 s[4:5], -1
                                        ; implicit-def: $sgpr10
	s_and_saveexec_b64 s[8:9], s[12:13]
; %bb.3674:
	s_mov_b32 s10, 0x7f800001
	s_xor_b64 s[4:5], exec, -1
; %bb.3675:
	s_or_b64 exec, exec, s[8:9]
	s_and_b64 s[4:5], s[4:5], exec
	s_or_saveexec_b64 s[6:7], s[6:7]
	v_mov_b32_e32 v10, s10
	s_xor_b64 exec, exec, s[6:7]
	s_cbranch_execz .LBB13_1626
.LBB13_3676:
	v_mov_b32_e32 v10, 0
	v_cmp_ne_u16_sdwa s[8:9], v16, v10 src0_sel:BYTE_3 src1_sel:DWORD
	s_andn2_b64 s[4:5], s[4:5], exec
	s_and_b64 s[8:9], s[8:9], exec
	s_or_b64 s[4:5], s[4:5], s[8:9]
	s_or_b64 exec, exec, s[6:7]
	s_and_saveexec_b64 s[6:7], s[4:5]
	s_cbranch_execnz .LBB13_1627
	s_branch .LBB13_1628
.LBB13_3677:
	s_movk_i32 s4, 0x80
	v_cmp_eq_u16_sdwa s[12:13], v12, s4 src0_sel:BYTE_3 src1_sel:DWORD
	s_mov_b64 s[4:5], -1
                                        ; implicit-def: $sgpr10
	s_and_saveexec_b64 s[8:9], s[12:13]
; %bb.3678:
	s_mov_b32 s10, 0x7f800001
	s_xor_b64 s[4:5], exec, -1
; %bb.3679:
	s_or_b64 exec, exec, s[8:9]
	s_and_b64 s[4:5], s[4:5], exec
	s_or_saveexec_b64 s[6:7], s[6:7]
	v_mov_b32_e32 v11, s10
	s_xor_b64 exec, exec, s[6:7]
	s_cbranch_execz .LBB13_1630
.LBB13_3680:
	v_mov_b32_e32 v11, 0
	v_cmp_ne_u16_sdwa s[8:9], v12, v11 src0_sel:BYTE_3 src1_sel:DWORD
	s_andn2_b64 s[4:5], s[4:5], exec
	s_and_b64 s[8:9], s[8:9], exec
	s_or_b64 s[4:5], s[4:5], s[8:9]
	s_or_b64 exec, exec, s[6:7]
	s_and_saveexec_b64 s[6:7], s[4:5]
	s_cbranch_execnz .LBB13_1631
	s_branch .LBB13_1632
.LBB13_3681:
	s_movk_i32 s4, 0x80
	v_cmp_eq_u16_sdwa s[12:13], v17, s4 src0_sel:BYTE_0 src1_sel:DWORD
	s_mov_b64 s[4:5], -1
                                        ; implicit-def: $sgpr10
	s_and_saveexec_b64 s[8:9], s[12:13]
; %bb.3682:
	s_mov_b32 s10, 0x7f800001
	s_xor_b64 s[4:5], exec, -1
; %bb.3683:
	s_or_b64 exec, exec, s[8:9]
	s_and_b64 s[4:5], s[4:5], exec
	s_or_saveexec_b64 s[6:7], s[6:7]
	v_mov_b32_e32 v10, s10
	s_xor_b64 exec, exec, s[6:7]
	s_cbranch_execz .LBB13_1634
.LBB13_3684:
	v_mov_b32_e32 v10, 0
	v_cmp_ne_u16_sdwa s[8:9], v17, v10 src0_sel:BYTE_0 src1_sel:DWORD
	s_andn2_b64 s[4:5], s[4:5], exec
	s_and_b64 s[8:9], s[8:9], exec
	s_or_b64 s[4:5], s[4:5], s[8:9]
	s_or_b64 exec, exec, s[6:7]
	s_and_saveexec_b64 s[6:7], s[4:5]
	s_cbranch_execnz .LBB13_1635
	s_branch .LBB13_1636
.LBB13_3685:
	s_movk_i32 s4, 0x80
	v_cmp_eq_u16_sdwa s[12:13], v13, s4 src0_sel:BYTE_0 src1_sel:DWORD
	s_mov_b64 s[4:5], -1
                                        ; implicit-def: $sgpr10
	s_and_saveexec_b64 s[8:9], s[12:13]
; %bb.3686:
	s_mov_b32 s10, 0x7f800001
	s_xor_b64 s[4:5], exec, -1
; %bb.3687:
	s_or_b64 exec, exec, s[8:9]
	s_and_b64 s[4:5], s[4:5], exec
	s_or_saveexec_b64 s[6:7], s[6:7]
	v_mov_b32_e32 v11, s10
	s_xor_b64 exec, exec, s[6:7]
	s_cbranch_execz .LBB13_1638
.LBB13_3688:
	v_mov_b32_e32 v11, 0
	v_cmp_ne_u16_sdwa s[8:9], v13, v11 src0_sel:BYTE_0 src1_sel:DWORD
	s_andn2_b64 s[4:5], s[4:5], exec
	s_and_b64 s[8:9], s[8:9], exec
	s_or_b64 s[4:5], s[4:5], s[8:9]
	s_or_b64 exec, exec, s[6:7]
	s_and_saveexec_b64 s[6:7], s[4:5]
	s_cbranch_execnz .LBB13_1639
	s_branch .LBB13_1640
.LBB13_3689:
	s_movk_i32 s4, 0x80
	v_cmp_eq_u16_sdwa s[12:13], v11, s4 src0_sel:BYTE_0 src1_sel:DWORD
	s_mov_b64 s[4:5], -1
                                        ; implicit-def: $sgpr10
	s_and_saveexec_b64 s[8:9], s[12:13]
; %bb.3690:
	s_mov_b32 s10, 0x7f800001
	s_xor_b64 s[4:5], exec, -1
; %bb.3691:
	s_or_b64 exec, exec, s[8:9]
	s_and_b64 s[4:5], s[4:5], exec
	s_or_saveexec_b64 s[6:7], s[6:7]
	v_mov_b32_e32 v10, s10
	s_xor_b64 exec, exec, s[6:7]
	s_cbranch_execz .LBB13_1642
.LBB13_3692:
	v_mov_b32_e32 v10, 0
	v_cmp_ne_u16_sdwa s[8:9], v11, v10 src0_sel:BYTE_0 src1_sel:DWORD
	s_andn2_b64 s[4:5], s[4:5], exec
	s_and_b64 s[8:9], s[8:9], exec
	s_or_b64 s[4:5], s[4:5], s[8:9]
	s_or_b64 exec, exec, s[6:7]
	s_and_saveexec_b64 s[6:7], s[4:5]
	s_cbranch_execnz .LBB13_1643
	s_branch .LBB13_1644
.LBB13_3693:
	s_movk_i32 s4, 0x80
	v_cmp_eq_u16_sdwa s[12:13], v11, s4 src0_sel:BYTE_0 src1_sel:DWORD
	s_mov_b64 s[4:5], -1
                                        ; implicit-def: $sgpr10
	s_and_saveexec_b64 s[8:9], s[12:13]
; %bb.3694:
	s_mov_b32 s10, 0x7f800001
	s_xor_b64 s[4:5], exec, -1
; %bb.3695:
	s_or_b64 exec, exec, s[8:9]
	s_and_b64 s[4:5], s[4:5], exec
	s_or_saveexec_b64 s[6:7], s[6:7]
	v_mov_b32_e32 v12, s10
	s_xor_b64 exec, exec, s[6:7]
	s_cbranch_execz .LBB13_1646
.LBB13_3696:
	v_mov_b32_e32 v12, 0
	v_cmp_ne_u16_sdwa s[8:9], v11, v12 src0_sel:BYTE_0 src1_sel:DWORD
	s_andn2_b64 s[4:5], s[4:5], exec
	s_and_b64 s[8:9], s[8:9], exec
	s_or_b64 s[4:5], s[4:5], s[8:9]
	s_or_b64 exec, exec, s[6:7]
	s_and_saveexec_b64 s[6:7], s[4:5]
	s_cbranch_execnz .LBB13_1647
	s_branch .LBB13_1648
.LBB13_3697:
	s_movk_i32 s4, 0x80
	v_cmp_eq_u16_e32 vcc, s4, v11
	s_mov_b64 s[4:5], -1
                                        ; implicit-def: $sgpr10
	s_and_saveexec_b64 s[8:9], vcc
; %bb.3698:
	s_mov_b32 s10, 0x7f800001
	s_xor_b64 s[4:5], exec, -1
; %bb.3699:
	s_or_b64 exec, exec, s[8:9]
	s_and_b64 s[4:5], s[4:5], exec
                                        ; implicit-def: $vgpr11
	s_or_saveexec_b64 s[6:7], s[6:7]
	v_mov_b32_e32 v10, s10
	s_xor_b64 exec, exec, s[6:7]
	s_cbranch_execz .LBB13_1650
.LBB13_3700:
	v_cmp_ne_u16_e32 vcc, 0, v11
	s_andn2_b64 s[4:5], s[4:5], exec
	s_and_b64 s[8:9], vcc, exec
	v_mov_b32_e32 v10, 0
	s_or_b64 s[4:5], s[4:5], s[8:9]
	s_or_b64 exec, exec, s[6:7]
	s_and_saveexec_b64 s[6:7], s[4:5]
	s_cbranch_execnz .LBB13_1651
	s_branch .LBB13_1652
.LBB13_3701:
	s_movk_i32 s4, 0x80
	v_cmp_eq_u16_e32 vcc, s4, v11
	s_mov_b64 s[4:5], -1
                                        ; implicit-def: $sgpr10
	s_and_saveexec_b64 s[8:9], vcc
; %bb.3702:
	s_mov_b32 s10, 0x7f800001
	s_xor_b64 s[4:5], exec, -1
; %bb.3703:
	s_or_b64 exec, exec, s[8:9]
	s_and_b64 s[4:5], s[4:5], exec
                                        ; implicit-def: $vgpr11
	s_or_saveexec_b64 s[6:7], s[6:7]
	v_mov_b32_e32 v12, s10
	s_xor_b64 exec, exec, s[6:7]
	s_cbranch_execz .LBB13_1654
.LBB13_3704:
	v_cmp_ne_u16_e32 vcc, 0, v11
	s_andn2_b64 s[4:5], s[4:5], exec
	s_and_b64 s[8:9], vcc, exec
	v_mov_b32_e32 v12, 0
	s_or_b64 s[4:5], s[4:5], s[8:9]
	s_or_b64 exec, exec, s[6:7]
	s_and_saveexec_b64 s[6:7], s[4:5]
	s_cbranch_execnz .LBB13_1655
	s_branch .LBB13_1656
.LBB13_3705:
	s_movk_i32 s4, 0x80
	v_cmp_eq_u16_sdwa s[12:13], v17, s4 src0_sel:BYTE_3 src1_sel:DWORD
	s_mov_b64 s[4:5], -1
                                        ; implicit-def: $sgpr10
	s_and_saveexec_b64 s[8:9], s[12:13]
; %bb.3706:
	s_mov_b32 s10, 0x7f800001
	s_xor_b64 s[4:5], exec, -1
; %bb.3707:
	s_or_b64 exec, exec, s[8:9]
	s_and_b64 s[4:5], s[4:5], exec
	s_or_saveexec_b64 s[6:7], s[6:7]
	v_mov_b32_e32 v10, s10
	s_xor_b64 exec, exec, s[6:7]
	s_cbranch_execz .LBB13_1658
.LBB13_3708:
	v_mov_b32_e32 v10, 0
	v_cmp_ne_u16_sdwa s[8:9], v17, v10 src0_sel:BYTE_3 src1_sel:DWORD
	s_andn2_b64 s[4:5], s[4:5], exec
	s_and_b64 s[8:9], s[8:9], exec
	s_or_b64 s[4:5], s[4:5], s[8:9]
	s_or_b64 exec, exec, s[6:7]
	s_and_saveexec_b64 s[6:7], s[4:5]
	s_cbranch_execnz .LBB13_1659
	s_branch .LBB13_1660
.LBB13_3709:
	s_movk_i32 s4, 0x80
	v_cmp_eq_u16_sdwa s[12:13], v13, s4 src0_sel:BYTE_3 src1_sel:DWORD
	s_mov_b64 s[4:5], -1
                                        ; implicit-def: $sgpr10
	s_and_saveexec_b64 s[8:9], s[12:13]
; %bb.3710:
	s_mov_b32 s10, 0x7f800001
	s_xor_b64 s[4:5], exec, -1
; %bb.3711:
	s_or_b64 exec, exec, s[8:9]
	s_and_b64 s[4:5], s[4:5], exec
	s_or_saveexec_b64 s[6:7], s[6:7]
	v_mov_b32_e32 v11, s10
	s_xor_b64 exec, exec, s[6:7]
	s_cbranch_execz .LBB13_1662
.LBB13_3712:
	v_mov_b32_e32 v11, 0
	v_cmp_ne_u16_sdwa s[8:9], v13, v11 src0_sel:BYTE_3 src1_sel:DWORD
	s_andn2_b64 s[4:5], s[4:5], exec
	s_and_b64 s[8:9], s[8:9], exec
	s_or_b64 s[4:5], s[4:5], s[8:9]
	s_or_b64 exec, exec, s[6:7]
	s_and_saveexec_b64 s[6:7], s[4:5]
	s_cbranch_execnz .LBB13_1663
	s_branch .LBB13_1664
.LBB13_3713:
	s_movk_i32 s4, 0x80
	v_cmp_eq_u16_sdwa s[12:13], v6, s4 src0_sel:BYTE_0 src1_sel:DWORD
	s_mov_b64 s[4:5], -1
                                        ; implicit-def: $sgpr10
	s_and_saveexec_b64 s[8:9], s[12:13]
; %bb.3714:
	s_mov_b32 s10, 0x7f800001
	s_xor_b64 s[4:5], exec, -1
; %bb.3715:
	s_or_b64 exec, exec, s[8:9]
	s_and_b64 s[4:5], s[4:5], exec
	s_or_saveexec_b64 s[6:7], s[6:7]
	v_mov_b32_e32 v10, s10
	s_xor_b64 exec, exec, s[6:7]
	s_cbranch_execz .LBB13_1666
.LBB13_3716:
	v_mov_b32_e32 v10, 0
	v_cmp_ne_u16_sdwa s[8:9], v6, v10 src0_sel:BYTE_0 src1_sel:DWORD
	s_andn2_b64 s[4:5], s[4:5], exec
	s_and_b64 s[8:9], s[8:9], exec
	s_or_b64 s[4:5], s[4:5], s[8:9]
	s_or_b64 exec, exec, s[6:7]
	s_and_saveexec_b64 s[6:7], s[4:5]
	s_cbranch_execnz .LBB13_1667
	s_branch .LBB13_1668
.LBB13_3717:
	s_movk_i32 s4, 0x80
	v_cmp_eq_u16_sdwa s[12:13], v2, s4 src0_sel:BYTE_0 src1_sel:DWORD
	s_mov_b64 s[4:5], -1
                                        ; implicit-def: $sgpr10
	s_and_saveexec_b64 s[8:9], s[12:13]
; %bb.3718:
	s_mov_b32 s10, 0x7f800001
	s_xor_b64 s[4:5], exec, -1
; %bb.3719:
	s_or_b64 exec, exec, s[8:9]
	s_and_b64 s[4:5], s[4:5], exec
	s_or_saveexec_b64 s[6:7], s[6:7]
	v_mov_b32_e32 v11, s10
	s_xor_b64 exec, exec, s[6:7]
	s_cbranch_execz .LBB13_1670
.LBB13_3720:
	v_mov_b32_e32 v11, 0
	v_cmp_ne_u16_sdwa s[8:9], v2, v11 src0_sel:BYTE_0 src1_sel:DWORD
	s_andn2_b64 s[4:5], s[4:5], exec
	s_and_b64 s[8:9], s[8:9], exec
	s_or_b64 s[4:5], s[4:5], s[8:9]
	s_or_b64 exec, exec, s[6:7]
	s_and_saveexec_b64 s[6:7], s[4:5]
	s_cbranch_execnz .LBB13_1671
	s_branch .LBB13_1672
.LBB13_3721:
	s_movk_i32 s4, 0x80
	v_cmp_eq_u16_sdwa s[12:13], v11, s4 src0_sel:BYTE_0 src1_sel:DWORD
	s_mov_b64 s[4:5], -1
                                        ; implicit-def: $sgpr10
	s_and_saveexec_b64 s[8:9], s[12:13]
; %bb.3722:
	s_mov_b32 s10, 0x7f800001
	s_xor_b64 s[4:5], exec, -1
; %bb.3723:
	s_or_b64 exec, exec, s[8:9]
	s_and_b64 s[4:5], s[4:5], exec
	s_or_saveexec_b64 s[6:7], s[6:7]
	v_mov_b32_e32 v10, s10
	s_xor_b64 exec, exec, s[6:7]
	s_cbranch_execz .LBB13_1674
.LBB13_3724:
	v_mov_b32_e32 v10, 0
	v_cmp_ne_u16_sdwa s[8:9], v11, v10 src0_sel:BYTE_0 src1_sel:DWORD
	s_andn2_b64 s[4:5], s[4:5], exec
	s_and_b64 s[8:9], s[8:9], exec
	s_or_b64 s[4:5], s[4:5], s[8:9]
	s_or_b64 exec, exec, s[6:7]
	s_and_saveexec_b64 s[6:7], s[4:5]
	s_cbranch_execnz .LBB13_1675
	s_branch .LBB13_1676
.LBB13_3725:
	s_movk_i32 s4, 0x80
	v_cmp_eq_u16_sdwa s[12:13], v11, s4 src0_sel:BYTE_0 src1_sel:DWORD
	s_mov_b64 s[4:5], -1
                                        ; implicit-def: $sgpr10
	s_and_saveexec_b64 s[8:9], s[12:13]
; %bb.3726:
	s_mov_b32 s10, 0x7f800001
	s_xor_b64 s[4:5], exec, -1
; %bb.3727:
	s_or_b64 exec, exec, s[8:9]
	s_and_b64 s[4:5], s[4:5], exec
	s_or_saveexec_b64 s[6:7], s[6:7]
	v_mov_b32_e32 v12, s10
	s_xor_b64 exec, exec, s[6:7]
	s_cbranch_execz .LBB13_1678
.LBB13_3728:
	v_mov_b32_e32 v12, 0
	v_cmp_ne_u16_sdwa s[8:9], v11, v12 src0_sel:BYTE_0 src1_sel:DWORD
	s_andn2_b64 s[4:5], s[4:5], exec
	s_and_b64 s[8:9], s[8:9], exec
	s_or_b64 s[4:5], s[4:5], s[8:9]
	s_or_b64 exec, exec, s[6:7]
	s_and_saveexec_b64 s[6:7], s[4:5]
	s_cbranch_execnz .LBB13_1679
	s_branch .LBB13_1680
.LBB13_3729:
	s_movk_i32 s4, 0x80
	v_cmp_eq_u16_e32 vcc, s4, v11
	s_mov_b64 s[4:5], -1
                                        ; implicit-def: $sgpr10
	s_and_saveexec_b64 s[8:9], vcc
; %bb.3730:
	s_mov_b32 s10, 0x7f800001
	s_xor_b64 s[4:5], exec, -1
; %bb.3731:
	s_or_b64 exec, exec, s[8:9]
	s_and_b64 s[4:5], s[4:5], exec
                                        ; implicit-def: $vgpr11
	s_or_saveexec_b64 s[6:7], s[6:7]
	v_mov_b32_e32 v10, s10
	s_xor_b64 exec, exec, s[6:7]
	s_cbranch_execz .LBB13_1682
.LBB13_3732:
	v_cmp_ne_u16_e32 vcc, 0, v11
	s_andn2_b64 s[4:5], s[4:5], exec
	s_and_b64 s[8:9], vcc, exec
	v_mov_b32_e32 v10, 0
	s_or_b64 s[4:5], s[4:5], s[8:9]
	s_or_b64 exec, exec, s[6:7]
	s_and_saveexec_b64 s[6:7], s[4:5]
	s_cbranch_execnz .LBB13_1683
	s_branch .LBB13_1684
.LBB13_3733:
	s_movk_i32 s4, 0x80
	v_cmp_eq_u16_e32 vcc, s4, v11
	s_mov_b64 s[4:5], -1
                                        ; implicit-def: $sgpr10
	s_and_saveexec_b64 s[8:9], vcc
; %bb.3734:
	s_mov_b32 s10, 0x7f800001
	s_xor_b64 s[4:5], exec, -1
; %bb.3735:
	s_or_b64 exec, exec, s[8:9]
	s_and_b64 s[4:5], s[4:5], exec
                                        ; implicit-def: $vgpr11
	s_or_saveexec_b64 s[6:7], s[6:7]
	v_mov_b32_e32 v12, s10
	s_xor_b64 exec, exec, s[6:7]
	s_cbranch_execz .LBB13_1686
.LBB13_3736:
	v_cmp_ne_u16_e32 vcc, 0, v11
	s_andn2_b64 s[4:5], s[4:5], exec
	s_and_b64 s[8:9], vcc, exec
	v_mov_b32_e32 v12, 0
	s_or_b64 s[4:5], s[4:5], s[8:9]
	s_or_b64 exec, exec, s[6:7]
	s_and_saveexec_b64 s[6:7], s[4:5]
	s_cbranch_execnz .LBB13_1687
	s_branch .LBB13_1688
.LBB13_3737:
	s_movk_i32 s4, 0x80
	v_cmp_eq_u16_sdwa s[12:13], v6, s4 src0_sel:BYTE_3 src1_sel:DWORD
	s_mov_b64 s[4:5], -1
                                        ; implicit-def: $sgpr10
	s_and_saveexec_b64 s[8:9], s[12:13]
; %bb.3738:
	s_mov_b32 s10, 0x7f800001
	s_xor_b64 s[4:5], exec, -1
; %bb.3739:
	s_or_b64 exec, exec, s[8:9]
	s_and_b64 s[4:5], s[4:5], exec
	s_or_saveexec_b64 s[6:7], s[6:7]
	v_mov_b32_e32 v10, s10
	s_xor_b64 exec, exec, s[6:7]
	s_cbranch_execz .LBB13_1690
.LBB13_3740:
	v_mov_b32_e32 v10, 0
	v_cmp_ne_u16_sdwa s[8:9], v6, v10 src0_sel:BYTE_3 src1_sel:DWORD
	s_andn2_b64 s[4:5], s[4:5], exec
	s_and_b64 s[8:9], s[8:9], exec
	s_or_b64 s[4:5], s[4:5], s[8:9]
	s_or_b64 exec, exec, s[6:7]
	s_and_saveexec_b64 s[6:7], s[4:5]
	s_cbranch_execnz .LBB13_1691
	s_branch .LBB13_1692
.LBB13_3741:
	s_movk_i32 s4, 0x80
	v_cmp_eq_u16_sdwa s[12:13], v2, s4 src0_sel:BYTE_3 src1_sel:DWORD
	s_mov_b64 s[4:5], -1
                                        ; implicit-def: $sgpr10
	s_and_saveexec_b64 s[8:9], s[12:13]
; %bb.3742:
	s_mov_b32 s10, 0x7f800001
	s_xor_b64 s[4:5], exec, -1
; %bb.3743:
	s_or_b64 exec, exec, s[8:9]
	s_and_b64 s[4:5], s[4:5], exec
	s_or_saveexec_b64 s[6:7], s[6:7]
	v_mov_b32_e32 v6, s10
	s_xor_b64 exec, exec, s[6:7]
	s_cbranch_execz .LBB13_1694
.LBB13_3744:
	v_mov_b32_e32 v6, 0
	v_cmp_ne_u16_sdwa s[8:9], v2, v6 src0_sel:BYTE_3 src1_sel:DWORD
	s_andn2_b64 s[4:5], s[4:5], exec
	s_and_b64 s[8:9], s[8:9], exec
	s_or_b64 s[4:5], s[4:5], s[8:9]
	s_or_b64 exec, exec, s[6:7]
	s_and_saveexec_b64 s[6:7], s[4:5]
	s_cbranch_execnz .LBB13_1695
	s_branch .LBB13_1696
.LBB13_3745:
	s_movk_i32 s4, 0x80
	v_cmp_eq_u16_sdwa s[12:13], v7, s4 src0_sel:BYTE_0 src1_sel:DWORD
	s_mov_b64 s[4:5], -1
                                        ; implicit-def: $sgpr10
	s_and_saveexec_b64 s[8:9], s[12:13]
; %bb.3746:
	s_mov_b32 s10, 0x7f800001
	s_xor_b64 s[4:5], exec, -1
; %bb.3747:
	s_or_b64 exec, exec, s[8:9]
	s_and_b64 s[4:5], s[4:5], exec
	s_or_saveexec_b64 s[6:7], s[6:7]
	v_mov_b32_e32 v2, s10
	s_xor_b64 exec, exec, s[6:7]
	s_cbranch_execz .LBB13_1698
.LBB13_3748:
	v_mov_b32_e32 v2, 0
	v_cmp_ne_u16_sdwa s[8:9], v7, v2 src0_sel:BYTE_0 src1_sel:DWORD
	s_andn2_b64 s[4:5], s[4:5], exec
	s_and_b64 s[8:9], s[8:9], exec
	s_or_b64 s[4:5], s[4:5], s[8:9]
	s_or_b64 exec, exec, s[6:7]
	s_and_saveexec_b64 s[6:7], s[4:5]
	s_cbranch_execnz .LBB13_1699
	s_branch .LBB13_1700
.LBB13_3749:
	s_movk_i32 s4, 0x80
	v_cmp_eq_u16_sdwa s[12:13], v3, s4 src0_sel:BYTE_0 src1_sel:DWORD
	s_mov_b64 s[4:5], -1
                                        ; implicit-def: $sgpr10
	s_and_saveexec_b64 s[8:9], s[12:13]
; %bb.3750:
	s_mov_b32 s10, 0x7f800001
	s_xor_b64 s[4:5], exec, -1
; %bb.3751:
	s_or_b64 exec, exec, s[8:9]
	s_and_b64 s[4:5], s[4:5], exec
	s_or_saveexec_b64 s[6:7], s[6:7]
	v_mov_b32_e32 v6, s10
	s_xor_b64 exec, exec, s[6:7]
	s_cbranch_execz .LBB13_1702
.LBB13_3752:
	v_mov_b32_e32 v6, 0
	v_cmp_ne_u16_sdwa s[8:9], v3, v6 src0_sel:BYTE_0 src1_sel:DWORD
	s_andn2_b64 s[4:5], s[4:5], exec
	s_and_b64 s[8:9], s[8:9], exec
	s_or_b64 s[4:5], s[4:5], s[8:9]
	s_or_b64 exec, exec, s[6:7]
	s_and_saveexec_b64 s[6:7], s[4:5]
	s_cbranch_execnz .LBB13_1703
	s_branch .LBB13_1704
.LBB13_3753:
	s_movk_i32 s4, 0x80
	v_cmp_eq_u16_sdwa s[12:13], v6, s4 src0_sel:BYTE_0 src1_sel:DWORD
	s_mov_b64 s[4:5], -1
                                        ; implicit-def: $sgpr10
	s_and_saveexec_b64 s[8:9], s[12:13]
; %bb.3754:
	s_mov_b32 s10, 0x7f800001
	s_xor_b64 s[4:5], exec, -1
; %bb.3755:
	s_or_b64 exec, exec, s[8:9]
	s_and_b64 s[4:5], s[4:5], exec
	s_or_saveexec_b64 s[6:7], s[6:7]
	v_mov_b32_e32 v2, s10
	s_xor_b64 exec, exec, s[6:7]
	s_cbranch_execz .LBB13_1706
.LBB13_3756:
	v_mov_b32_e32 v2, 0
	v_cmp_ne_u16_sdwa s[8:9], v6, v2 src0_sel:BYTE_0 src1_sel:DWORD
	s_andn2_b64 s[4:5], s[4:5], exec
	s_and_b64 s[8:9], s[8:9], exec
	s_or_b64 s[4:5], s[4:5], s[8:9]
	s_or_b64 exec, exec, s[6:7]
	s_and_saveexec_b64 s[6:7], s[4:5]
	s_cbranch_execnz .LBB13_1707
	s_branch .LBB13_1708
.LBB13_3757:
	s_movk_i32 s4, 0x80
	v_cmp_eq_u16_sdwa s[12:13], v6, s4 src0_sel:BYTE_0 src1_sel:DWORD
	s_mov_b64 s[4:5], -1
                                        ; implicit-def: $sgpr10
	s_and_saveexec_b64 s[8:9], s[12:13]
; %bb.3758:
	s_mov_b32 s10, 0x7f800001
	s_xor_b64 s[4:5], exec, -1
; %bb.3759:
	s_or_b64 exec, exec, s[8:9]
	s_and_b64 s[4:5], s[4:5], exec
	s_or_saveexec_b64 s[6:7], s[6:7]
	v_mov_b32_e32 v10, s10
	s_xor_b64 exec, exec, s[6:7]
	s_cbranch_execz .LBB13_1710
.LBB13_3760:
	v_mov_b32_e32 v10, 0
	v_cmp_ne_u16_sdwa s[8:9], v6, v10 src0_sel:BYTE_0 src1_sel:DWORD
	s_andn2_b64 s[4:5], s[4:5], exec
	s_and_b64 s[8:9], s[8:9], exec
	s_or_b64 s[4:5], s[4:5], s[8:9]
	s_or_b64 exec, exec, s[6:7]
	s_and_saveexec_b64 s[6:7], s[4:5]
	s_cbranch_execnz .LBB13_1711
	s_branch .LBB13_1712
.LBB13_3761:
	s_movk_i32 s4, 0x80
	v_cmp_eq_u16_e32 vcc, s4, v6
	s_mov_b64 s[4:5], -1
                                        ; implicit-def: $sgpr10
	s_and_saveexec_b64 s[8:9], vcc
; %bb.3762:
	s_mov_b32 s10, 0x7f800001
	s_xor_b64 s[4:5], exec, -1
; %bb.3763:
	s_or_b64 exec, exec, s[8:9]
	s_and_b64 s[4:5], s[4:5], exec
                                        ; implicit-def: $vgpr6
	s_or_saveexec_b64 s[6:7], s[6:7]
	v_mov_b32_e32 v2, s10
	s_xor_b64 exec, exec, s[6:7]
	s_cbranch_execz .LBB13_1714
.LBB13_3764:
	v_cmp_ne_u16_e32 vcc, 0, v6
	s_andn2_b64 s[4:5], s[4:5], exec
	s_and_b64 s[8:9], vcc, exec
	v_mov_b32_e32 v2, 0
	s_or_b64 s[4:5], s[4:5], s[8:9]
	s_or_b64 exec, exec, s[6:7]
	s_and_saveexec_b64 s[6:7], s[4:5]
	s_cbranch_execnz .LBB13_1715
	s_branch .LBB13_1716
.LBB13_3765:
	s_movk_i32 s4, 0x80
	v_cmp_eq_u16_e32 vcc, s4, v6
	s_mov_b64 s[4:5], -1
                                        ; implicit-def: $sgpr10
	s_and_saveexec_b64 s[8:9], vcc
; %bb.3766:
	s_mov_b32 s10, 0x7f800001
	s_xor_b64 s[4:5], exec, -1
; %bb.3767:
	s_or_b64 exec, exec, s[8:9]
	s_and_b64 s[4:5], s[4:5], exec
                                        ; implicit-def: $vgpr6
	s_or_saveexec_b64 s[6:7], s[6:7]
	v_mov_b32_e32 v10, s10
	s_xor_b64 exec, exec, s[6:7]
	s_cbranch_execz .LBB13_1718
.LBB13_3768:
	v_cmp_ne_u16_e32 vcc, 0, v6
	s_andn2_b64 s[4:5], s[4:5], exec
	s_and_b64 s[8:9], vcc, exec
	v_mov_b32_e32 v10, 0
	s_or_b64 s[4:5], s[4:5], s[8:9]
	s_or_b64 exec, exec, s[6:7]
	s_and_saveexec_b64 s[6:7], s[4:5]
	s_cbranch_execnz .LBB13_1719
	s_branch .LBB13_1720
.LBB13_3769:
	s_movk_i32 s4, 0x80
	v_cmp_eq_u16_sdwa s[12:13], v7, s4 src0_sel:BYTE_3 src1_sel:DWORD
	s_mov_b64 s[4:5], -1
                                        ; implicit-def: $sgpr10
	s_and_saveexec_b64 s[8:9], s[12:13]
; %bb.3770:
	s_mov_b32 s10, 0x7f800001
	s_xor_b64 s[4:5], exec, -1
; %bb.3771:
	s_or_b64 exec, exec, s[8:9]
	s_and_b64 s[4:5], s[4:5], exec
	s_or_saveexec_b64 s[6:7], s[6:7]
	v_mov_b32_e32 v2, s10
	s_xor_b64 exec, exec, s[6:7]
	s_cbranch_execz .LBB13_1722
.LBB13_3772:
	v_mov_b32_e32 v2, 0
	v_cmp_ne_u16_sdwa s[8:9], v7, v2 src0_sel:BYTE_3 src1_sel:DWORD
	s_andn2_b64 s[4:5], s[4:5], exec
	s_and_b64 s[8:9], s[8:9], exec
	s_or_b64 s[4:5], s[4:5], s[8:9]
	s_or_b64 exec, exec, s[6:7]
	s_and_saveexec_b64 s[6:7], s[4:5]
	s_cbranch_execnz .LBB13_1723
	s_branch .LBB13_1724
.LBB13_3773:
	s_movk_i32 s4, 0x80
	v_cmp_eq_u16_sdwa s[12:13], v3, s4 src0_sel:BYTE_3 src1_sel:DWORD
	s_mov_b64 s[4:5], -1
                                        ; implicit-def: $sgpr10
	s_and_saveexec_b64 s[8:9], s[12:13]
; %bb.3774:
	s_mov_b32 s10, 0x7f800001
	s_xor_b64 s[4:5], exec, -1
; %bb.3775:
	s_or_b64 exec, exec, s[8:9]
	s_and_b64 s[4:5], s[4:5], exec
	s_or_saveexec_b64 s[6:7], s[6:7]
	v_mov_b32_e32 v6, s10
	s_xor_b64 exec, exec, s[6:7]
	s_cbranch_execz .LBB13_1726
.LBB13_3776:
	v_mov_b32_e32 v6, 0
	v_cmp_ne_u16_sdwa s[8:9], v3, v6 src0_sel:BYTE_3 src1_sel:DWORD
	s_andn2_b64 s[4:5], s[4:5], exec
	s_and_b64 s[8:9], s[8:9], exec
	s_or_b64 s[4:5], s[4:5], s[8:9]
	s_or_b64 exec, exec, s[6:7]
	s_and_saveexec_b64 s[6:7], s[4:5]
	s_cbranch_execnz .LBB13_1727
	s_branch .LBB13_1728
.LBB13_3777:
	s_movk_i32 s4, 0x80
	v_cmp_eq_u16_sdwa s[12:13], v8, s4 src0_sel:BYTE_0 src1_sel:DWORD
	s_mov_b64 s[4:5], -1
                                        ; implicit-def: $sgpr10
	s_and_saveexec_b64 s[8:9], s[12:13]
; %bb.3778:
	s_mov_b32 s10, 0x7f800001
	s_xor_b64 s[4:5], exec, -1
; %bb.3779:
	s_or_b64 exec, exec, s[8:9]
	s_and_b64 s[4:5], s[4:5], exec
	s_or_saveexec_b64 s[6:7], s[6:7]
	v_mov_b32_e32 v2, s10
	s_xor_b64 exec, exec, s[6:7]
	s_cbranch_execz .LBB13_1730
.LBB13_3780:
	v_mov_b32_e32 v2, 0
	v_cmp_ne_u16_sdwa s[8:9], v8, v2 src0_sel:BYTE_0 src1_sel:DWORD
	s_andn2_b64 s[4:5], s[4:5], exec
	s_and_b64 s[8:9], s[8:9], exec
	s_or_b64 s[4:5], s[4:5], s[8:9]
	s_or_b64 exec, exec, s[6:7]
	s_and_saveexec_b64 s[6:7], s[4:5]
	s_cbranch_execnz .LBB13_1731
	s_branch .LBB13_1732
.LBB13_3781:
	s_movk_i32 s4, 0x80
	v_cmp_eq_u16_sdwa s[12:13], v4, s4 src0_sel:BYTE_0 src1_sel:DWORD
	s_mov_b64 s[4:5], -1
                                        ; implicit-def: $sgpr10
	s_and_saveexec_b64 s[8:9], s[12:13]
; %bb.3782:
	s_mov_b32 s10, 0x7f800001
	s_xor_b64 s[4:5], exec, -1
; %bb.3783:
	s_or_b64 exec, exec, s[8:9]
	s_and_b64 s[4:5], s[4:5], exec
	s_or_saveexec_b64 s[6:7], s[6:7]
	v_mov_b32_e32 v3, s10
	s_xor_b64 exec, exec, s[6:7]
	s_cbranch_execz .LBB13_1734
.LBB13_3784:
	v_mov_b32_e32 v3, 0
	v_cmp_ne_u16_sdwa s[8:9], v4, v3 src0_sel:BYTE_0 src1_sel:DWORD
	s_andn2_b64 s[4:5], s[4:5], exec
	s_and_b64 s[8:9], s[8:9], exec
	s_or_b64 s[4:5], s[4:5], s[8:9]
	s_or_b64 exec, exec, s[6:7]
	s_and_saveexec_b64 s[6:7], s[4:5]
	s_cbranch_execnz .LBB13_1735
	s_branch .LBB13_1736
.LBB13_3785:
	s_movk_i32 s4, 0x80
	v_cmp_eq_u16_sdwa s[12:13], v3, s4 src0_sel:BYTE_0 src1_sel:DWORD
	s_mov_b64 s[4:5], -1
                                        ; implicit-def: $sgpr10
	s_and_saveexec_b64 s[8:9], s[12:13]
; %bb.3786:
	s_mov_b32 s10, 0x7f800001
	s_xor_b64 s[4:5], exec, -1
; %bb.3787:
	s_or_b64 exec, exec, s[8:9]
	s_and_b64 s[4:5], s[4:5], exec
	s_or_saveexec_b64 s[6:7], s[6:7]
	v_mov_b32_e32 v2, s10
	s_xor_b64 exec, exec, s[6:7]
	s_cbranch_execz .LBB13_1738
.LBB13_3788:
	v_mov_b32_e32 v2, 0
	v_cmp_ne_u16_sdwa s[8:9], v3, v2 src0_sel:BYTE_0 src1_sel:DWORD
	s_andn2_b64 s[4:5], s[4:5], exec
	s_and_b64 s[8:9], s[8:9], exec
	s_or_b64 s[4:5], s[4:5], s[8:9]
	s_or_b64 exec, exec, s[6:7]
	s_and_saveexec_b64 s[6:7], s[4:5]
	s_cbranch_execnz .LBB13_1739
	s_branch .LBB13_1740
.LBB13_3789:
	s_movk_i32 s4, 0x80
	v_cmp_eq_u16_sdwa s[12:13], v3, s4 src0_sel:BYTE_0 src1_sel:DWORD
	s_mov_b64 s[4:5], -1
                                        ; implicit-def: $sgpr10
	s_and_saveexec_b64 s[8:9], s[12:13]
; %bb.3790:
	s_mov_b32 s10, 0x7f800001
	s_xor_b64 s[4:5], exec, -1
; %bb.3791:
	s_or_b64 exec, exec, s[8:9]
	s_and_b64 s[4:5], s[4:5], exec
	s_or_saveexec_b64 s[6:7], s[6:7]
	v_mov_b32_e32 v6, s10
	s_xor_b64 exec, exec, s[6:7]
	s_cbranch_execz .LBB13_1742
.LBB13_3792:
	v_mov_b32_e32 v6, 0
	v_cmp_ne_u16_sdwa s[8:9], v3, v6 src0_sel:BYTE_0 src1_sel:DWORD
	s_andn2_b64 s[4:5], s[4:5], exec
	s_and_b64 s[8:9], s[8:9], exec
	s_or_b64 s[4:5], s[4:5], s[8:9]
	s_or_b64 exec, exec, s[6:7]
	s_and_saveexec_b64 s[6:7], s[4:5]
	s_cbranch_execnz .LBB13_1743
	s_branch .LBB13_1744
.LBB13_3793:
	s_movk_i32 s4, 0x80
	v_cmp_eq_u16_e32 vcc, s4, v3
	s_mov_b64 s[4:5], -1
                                        ; implicit-def: $sgpr10
	s_and_saveexec_b64 s[8:9], vcc
; %bb.3794:
	s_mov_b32 s10, 0x7f800001
	s_xor_b64 s[4:5], exec, -1
; %bb.3795:
	s_or_b64 exec, exec, s[8:9]
	s_and_b64 s[4:5], s[4:5], exec
                                        ; implicit-def: $vgpr3
	s_or_saveexec_b64 s[6:7], s[6:7]
	v_mov_b32_e32 v2, s10
	s_xor_b64 exec, exec, s[6:7]
	s_cbranch_execz .LBB13_1746
.LBB13_3796:
	v_cmp_ne_u16_e32 vcc, 0, v3
	s_andn2_b64 s[4:5], s[4:5], exec
	s_and_b64 s[8:9], vcc, exec
	v_mov_b32_e32 v2, 0
	s_or_b64 s[4:5], s[4:5], s[8:9]
	s_or_b64 exec, exec, s[6:7]
	s_and_saveexec_b64 s[6:7], s[4:5]
	s_cbranch_execnz .LBB13_1747
	s_branch .LBB13_1748
.LBB13_3797:
	s_movk_i32 s4, 0x80
	v_cmp_eq_u16_e32 vcc, s4, v3
	s_mov_b64 s[4:5], -1
                                        ; implicit-def: $sgpr10
	s_and_saveexec_b64 s[8:9], vcc
; %bb.3798:
	s_mov_b32 s10, 0x7f800001
	s_xor_b64 s[4:5], exec, -1
; %bb.3799:
	s_or_b64 exec, exec, s[8:9]
	s_and_b64 s[4:5], s[4:5], exec
                                        ; implicit-def: $vgpr3
	s_or_saveexec_b64 s[6:7], s[6:7]
	v_mov_b32_e32 v6, s10
	s_xor_b64 exec, exec, s[6:7]
	s_cbranch_execz .LBB13_1750
.LBB13_3800:
	v_cmp_ne_u16_e32 vcc, 0, v3
	s_andn2_b64 s[4:5], s[4:5], exec
	s_and_b64 s[8:9], vcc, exec
	v_mov_b32_e32 v6, 0
	s_or_b64 s[4:5], s[4:5], s[8:9]
	s_or_b64 exec, exec, s[6:7]
	s_and_saveexec_b64 s[6:7], s[4:5]
	s_cbranch_execnz .LBB13_1751
	s_branch .LBB13_1752
.LBB13_3801:
	s_movk_i32 s4, 0x80
	v_cmp_eq_u16_sdwa s[12:13], v8, s4 src0_sel:BYTE_3 src1_sel:DWORD
	s_mov_b64 s[4:5], -1
                                        ; implicit-def: $sgpr10
	s_and_saveexec_b64 s[8:9], s[12:13]
; %bb.3802:
	s_mov_b32 s10, 0x7f800001
	s_xor_b64 s[4:5], exec, -1
; %bb.3803:
	s_or_b64 exec, exec, s[8:9]
	s_and_b64 s[4:5], s[4:5], exec
	s_or_saveexec_b64 s[6:7], s[6:7]
	v_mov_b32_e32 v2, s10
	s_xor_b64 exec, exec, s[6:7]
	s_cbranch_execz .LBB13_1754
.LBB13_3804:
	v_mov_b32_e32 v2, 0
	v_cmp_ne_u16_sdwa s[8:9], v8, v2 src0_sel:BYTE_3 src1_sel:DWORD
	s_andn2_b64 s[4:5], s[4:5], exec
	s_and_b64 s[8:9], s[8:9], exec
	s_or_b64 s[4:5], s[4:5], s[8:9]
	s_or_b64 exec, exec, s[6:7]
	s_and_saveexec_b64 s[6:7], s[4:5]
	s_cbranch_execnz .LBB13_1755
	s_branch .LBB13_1756
.LBB13_3805:
	s_movk_i32 s4, 0x80
	v_cmp_eq_u16_sdwa s[12:13], v4, s4 src0_sel:BYTE_3 src1_sel:DWORD
	s_mov_b64 s[4:5], -1
                                        ; implicit-def: $sgpr10
	s_and_saveexec_b64 s[8:9], s[12:13]
; %bb.3806:
	s_mov_b32 s10, 0x7f800001
	s_xor_b64 s[4:5], exec, -1
; %bb.3807:
	s_or_b64 exec, exec, s[8:9]
	s_and_b64 s[4:5], s[4:5], exec
	s_or_saveexec_b64 s[6:7], s[6:7]
	v_mov_b32_e32 v3, s10
	s_xor_b64 exec, exec, s[6:7]
	s_cbranch_execz .LBB13_1758
.LBB13_3808:
	v_mov_b32_e32 v3, 0
	v_cmp_ne_u16_sdwa s[8:9], v4, v3 src0_sel:BYTE_3 src1_sel:DWORD
	s_andn2_b64 s[4:5], s[4:5], exec
	s_and_b64 s[8:9], s[8:9], exec
	s_or_b64 s[4:5], s[4:5], s[8:9]
	s_or_b64 exec, exec, s[6:7]
	s_and_saveexec_b64 s[6:7], s[4:5]
	s_cbranch_execnz .LBB13_1759
	s_branch .LBB13_1760
.LBB13_3809:
	s_movk_i32 s4, 0x80
	v_cmp_eq_u16_sdwa s[12:13], v9, s4 src0_sel:BYTE_0 src1_sel:DWORD
	s_mov_b64 s[4:5], -1
                                        ; implicit-def: $sgpr10
	s_and_saveexec_b64 s[8:9], s[12:13]
; %bb.3810:
	s_mov_b32 s10, 0x7f800001
	s_xor_b64 s[4:5], exec, -1
; %bb.3811:
	s_or_b64 exec, exec, s[8:9]
	s_and_b64 s[4:5], s[4:5], exec
	s_or_saveexec_b64 s[6:7], s[6:7]
	v_mov_b32_e32 v2, s10
	s_xor_b64 exec, exec, s[6:7]
	s_cbranch_execz .LBB13_1762
.LBB13_3812:
	v_mov_b32_e32 v2, 0
	v_cmp_ne_u16_sdwa s[8:9], v9, v2 src0_sel:BYTE_0 src1_sel:DWORD
	s_andn2_b64 s[4:5], s[4:5], exec
	s_and_b64 s[8:9], s[8:9], exec
	s_or_b64 s[4:5], s[4:5], s[8:9]
	s_or_b64 exec, exec, s[6:7]
	s_and_saveexec_b64 s[6:7], s[4:5]
	s_cbranch_execnz .LBB13_1763
	s_branch .LBB13_1764
.LBB13_3813:
	s_movk_i32 s4, 0x80
	v_cmp_eq_u16_sdwa s[12:13], v5, s4 src0_sel:BYTE_0 src1_sel:DWORD
	s_mov_b64 s[4:5], -1
                                        ; implicit-def: $sgpr10
	s_and_saveexec_b64 s[8:9], s[12:13]
; %bb.3814:
	s_mov_b32 s10, 0x7f800001
	s_xor_b64 s[4:5], exec, -1
; %bb.3815:
	s_or_b64 exec, exec, s[8:9]
	s_and_b64 s[4:5], s[4:5], exec
	s_or_saveexec_b64 s[6:7], s[6:7]
	v_mov_b32_e32 v3, s10
	s_xor_b64 exec, exec, s[6:7]
	s_cbranch_execz .LBB13_1766
.LBB13_3816:
	v_mov_b32_e32 v3, 0
	v_cmp_ne_u16_sdwa s[8:9], v5, v3 src0_sel:BYTE_0 src1_sel:DWORD
	s_andn2_b64 s[4:5], s[4:5], exec
	s_and_b64 s[8:9], s[8:9], exec
	s_or_b64 s[4:5], s[4:5], s[8:9]
	s_or_b64 exec, exec, s[6:7]
	s_and_saveexec_b64 s[6:7], s[4:5]
	s_cbranch_execnz .LBB13_1767
	s_branch .LBB13_1768
.LBB13_3817:
	s_movk_i32 s4, 0x80
	v_cmp_eq_u16_sdwa s[12:13], v3, s4 src0_sel:BYTE_0 src1_sel:DWORD
	s_mov_b64 s[4:5], -1
                                        ; implicit-def: $sgpr10
	s_and_saveexec_b64 s[8:9], s[12:13]
; %bb.3818:
	s_mov_b32 s10, 0x7f800001
	s_xor_b64 s[4:5], exec, -1
; %bb.3819:
	s_or_b64 exec, exec, s[8:9]
	s_and_b64 s[4:5], s[4:5], exec
	s_or_saveexec_b64 s[6:7], s[6:7]
	v_mov_b32_e32 v2, s10
	s_xor_b64 exec, exec, s[6:7]
	s_cbranch_execz .LBB13_1770
.LBB13_3820:
	v_mov_b32_e32 v2, 0
	v_cmp_ne_u16_sdwa s[8:9], v3, v2 src0_sel:BYTE_0 src1_sel:DWORD
	s_andn2_b64 s[4:5], s[4:5], exec
	s_and_b64 s[8:9], s[8:9], exec
	s_or_b64 s[4:5], s[4:5], s[8:9]
	s_or_b64 exec, exec, s[6:7]
	s_and_saveexec_b64 s[6:7], s[4:5]
	s_cbranch_execnz .LBB13_1771
	s_branch .LBB13_1772
.LBB13_3821:
	s_movk_i32 s4, 0x80
	v_cmp_eq_u16_sdwa s[12:13], v3, s4 src0_sel:BYTE_0 src1_sel:DWORD
	s_mov_b64 s[4:5], -1
                                        ; implicit-def: $sgpr10
	s_and_saveexec_b64 s[8:9], s[12:13]
; %bb.3822:
	s_mov_b32 s10, 0x7f800001
	s_xor_b64 s[4:5], exec, -1
; %bb.3823:
	s_or_b64 exec, exec, s[8:9]
	s_and_b64 s[4:5], s[4:5], exec
	s_or_saveexec_b64 s[6:7], s[6:7]
	v_mov_b32_e32 v4, s10
	s_xor_b64 exec, exec, s[6:7]
	s_cbranch_execz .LBB13_1774
.LBB13_3824:
	v_mov_b32_e32 v4, 0
	v_cmp_ne_u16_sdwa s[8:9], v3, v4 src0_sel:BYTE_0 src1_sel:DWORD
	s_andn2_b64 s[4:5], s[4:5], exec
	s_and_b64 s[8:9], s[8:9], exec
	s_or_b64 s[4:5], s[4:5], s[8:9]
	s_or_b64 exec, exec, s[6:7]
	s_and_saveexec_b64 s[6:7], s[4:5]
	s_cbranch_execnz .LBB13_1775
	s_branch .LBB13_1776
.LBB13_3825:
	s_movk_i32 s4, 0x80
	v_cmp_eq_u16_e32 vcc, s4, v3
	s_mov_b64 s[4:5], -1
                                        ; implicit-def: $sgpr10
	s_and_saveexec_b64 s[8:9], vcc
; %bb.3826:
	s_mov_b32 s10, 0x7f800001
	s_xor_b64 s[4:5], exec, -1
; %bb.3827:
	s_or_b64 exec, exec, s[8:9]
	s_and_b64 s[4:5], s[4:5], exec
                                        ; implicit-def: $vgpr3
	s_or_saveexec_b64 s[6:7], s[6:7]
	v_mov_b32_e32 v2, s10
	s_xor_b64 exec, exec, s[6:7]
	s_cbranch_execz .LBB13_1778
.LBB13_3828:
	v_cmp_ne_u16_e32 vcc, 0, v3
	s_andn2_b64 s[4:5], s[4:5], exec
	s_and_b64 s[8:9], vcc, exec
	v_mov_b32_e32 v2, 0
	s_or_b64 s[4:5], s[4:5], s[8:9]
	s_or_b64 exec, exec, s[6:7]
	s_and_saveexec_b64 s[6:7], s[4:5]
	s_cbranch_execnz .LBB13_1779
	s_branch .LBB13_1780
.LBB13_3829:
	s_movk_i32 s4, 0x80
	v_cmp_eq_u16_e32 vcc, s4, v3
	s_mov_b64 s[4:5], -1
                                        ; implicit-def: $sgpr10
	s_and_saveexec_b64 s[8:9], vcc
; %bb.3830:
	s_mov_b32 s10, 0x7f800001
	s_xor_b64 s[4:5], exec, -1
; %bb.3831:
	s_or_b64 exec, exec, s[8:9]
	s_and_b64 s[4:5], s[4:5], exec
                                        ; implicit-def: $vgpr3
	s_or_saveexec_b64 s[6:7], s[6:7]
	v_mov_b32_e32 v4, s10
	s_xor_b64 exec, exec, s[6:7]
	s_cbranch_execz .LBB13_1782
.LBB13_3832:
	v_cmp_ne_u16_e32 vcc, 0, v3
	s_andn2_b64 s[4:5], s[4:5], exec
	s_and_b64 s[8:9], vcc, exec
	v_mov_b32_e32 v4, 0
	s_or_b64 s[4:5], s[4:5], s[8:9]
	s_or_b64 exec, exec, s[6:7]
	s_and_saveexec_b64 s[6:7], s[4:5]
	s_cbranch_execnz .LBB13_1783
	s_branch .LBB13_1784
.LBB13_3833:
	s_movk_i32 s4, 0x80
	v_cmp_eq_u16_sdwa s[12:13], v9, s4 src0_sel:BYTE_3 src1_sel:DWORD
	s_mov_b64 s[4:5], -1
                                        ; implicit-def: $sgpr10
	s_and_saveexec_b64 s[8:9], s[12:13]
; %bb.3834:
	s_mov_b32 s10, 0x7f800001
	s_xor_b64 s[4:5], exec, -1
; %bb.3835:
	s_or_b64 exec, exec, s[8:9]
	s_and_b64 s[4:5], s[4:5], exec
	s_or_saveexec_b64 s[6:7], s[6:7]
	v_mov_b32_e32 v2, s10
	s_xor_b64 exec, exec, s[6:7]
	s_cbranch_execz .LBB13_1786
.LBB13_3836:
	v_mov_b32_e32 v2, 0
	v_cmp_ne_u16_sdwa s[8:9], v9, v2 src0_sel:BYTE_3 src1_sel:DWORD
	s_andn2_b64 s[4:5], s[4:5], exec
	s_and_b64 s[8:9], s[8:9], exec
	s_or_b64 s[4:5], s[4:5], s[8:9]
	s_or_b64 exec, exec, s[6:7]
	s_and_saveexec_b64 s[6:7], s[4:5]
	s_cbranch_execnz .LBB13_1787
	s_branch .LBB13_1788
.LBB13_3837:
	s_movk_i32 s4, 0x80
	v_cmp_eq_u16_sdwa s[12:13], v5, s4 src0_sel:BYTE_3 src1_sel:DWORD
	s_mov_b64 s[4:5], -1
                                        ; implicit-def: $sgpr10
	s_and_saveexec_b64 s[8:9], s[12:13]
; %bb.3838:
	s_mov_b32 s10, 0x7f800001
	s_xor_b64 s[4:5], exec, -1
; %bb.3839:
	s_or_b64 exec, exec, s[8:9]
	s_and_b64 s[4:5], s[4:5], exec
	s_or_saveexec_b64 s[6:7], s[6:7]
	v_mov_b32_e32 v3, s10
	s_xor_b64 exec, exec, s[6:7]
	s_cbranch_execz .LBB13_1790
.LBB13_3840:
	v_mov_b32_e32 v3, 0
	v_cmp_ne_u16_sdwa s[8:9], v5, v3 src0_sel:BYTE_3 src1_sel:DWORD
	s_andn2_b64 s[4:5], s[4:5], exec
	s_and_b64 s[8:9], s[8:9], exec
	s_or_b64 s[4:5], s[4:5], s[8:9]
	s_or_b64 exec, exec, s[6:7]
	s_and_saveexec_b64 s[6:7], s[4:5]
	s_cbranch_execnz .LBB13_1791
	s_branch .LBB13_1792
.LBB13_3841:
	s_movk_i32 s4, 0x80
	v_cmp_eq_u16_sdwa s[12:13], v12, s4 src0_sel:BYTE_0 src1_sel:DWORD
	s_mov_b64 s[4:5], -1
                                        ; implicit-def: $sgpr10
	s_and_saveexec_b64 s[8:9], s[12:13]
; %bb.3842:
	s_mov_b32 s10, 0x7f800001
	s_xor_b64 s[4:5], exec, -1
; %bb.3843:
	s_or_b64 exec, exec, s[8:9]
	s_and_b64 s[4:5], s[4:5], exec
	s_or_saveexec_b64 s[6:7], s[6:7]
	v_mov_b32_e32 v18, s10
	s_xor_b64 exec, exec, s[6:7]
	s_cbranch_execz .LBB13_1794
.LBB13_3844:
	v_mov_b32_e32 v18, 0
	v_cmp_ne_u16_sdwa s[8:9], v12, v18 src0_sel:BYTE_0 src1_sel:DWORD
	s_andn2_b64 s[4:5], s[4:5], exec
	s_and_b64 s[8:9], s[8:9], exec
	s_or_b64 s[4:5], s[4:5], s[8:9]
	s_or_b64 exec, exec, s[6:7]
	s_and_saveexec_b64 s[6:7], s[4:5]
	s_cbranch_execnz .LBB13_1795
	s_branch .LBB13_1796
.LBB13_3845:
	s_movk_i32 s4, 0x80
	v_cmp_eq_u16_sdwa s[12:13], v8, s4 src0_sel:BYTE_0 src1_sel:DWORD
	s_mov_b64 s[4:5], -1
                                        ; implicit-def: $sgpr10
	s_and_saveexec_b64 s[8:9], s[12:13]
; %bb.3846:
	s_mov_b32 s10, 0x7f800001
	s_xor_b64 s[4:5], exec, -1
; %bb.3847:
	s_or_b64 exec, exec, s[8:9]
	s_and_b64 s[4:5], s[4:5], exec
	s_or_saveexec_b64 s[6:7], s[6:7]
	v_mov_b32_e32 v19, s10
	s_xor_b64 exec, exec, s[6:7]
	s_cbranch_execz .LBB13_1798
.LBB13_3848:
	v_mov_b32_e32 v19, 0
	v_cmp_ne_u16_sdwa s[8:9], v8, v19 src0_sel:BYTE_0 src1_sel:DWORD
	s_andn2_b64 s[4:5], s[4:5], exec
	s_and_b64 s[8:9], s[8:9], exec
	s_or_b64 s[4:5], s[4:5], s[8:9]
	s_or_b64 exec, exec, s[6:7]
	s_and_saveexec_b64 s[6:7], s[4:5]
	s_cbranch_execnz .LBB13_1799
	s_branch .LBB13_1800
.LBB13_3849:
	s_movk_i32 s4, 0x80
	v_cmp_eq_u16_sdwa s[12:13], v19, s4 src0_sel:BYTE_0 src1_sel:DWORD
	s_mov_b64 s[4:5], -1
                                        ; implicit-def: $sgpr10
	s_and_saveexec_b64 s[8:9], s[12:13]
; %bb.3850:
	s_mov_b32 s10, 0x7f800001
	s_xor_b64 s[4:5], exec, -1
; %bb.3851:
	s_or_b64 exec, exec, s[8:9]
	s_and_b64 s[4:5], s[4:5], exec
	s_or_saveexec_b64 s[6:7], s[6:7]
	v_mov_b32_e32 v18, s10
	s_xor_b64 exec, exec, s[6:7]
	s_cbranch_execz .LBB13_1802
.LBB13_3852:
	v_mov_b32_e32 v18, 0
	v_cmp_ne_u16_sdwa s[8:9], v19, v18 src0_sel:BYTE_0 src1_sel:DWORD
	s_andn2_b64 s[4:5], s[4:5], exec
	s_and_b64 s[8:9], s[8:9], exec
	s_or_b64 s[4:5], s[4:5], s[8:9]
	s_or_b64 exec, exec, s[6:7]
	s_and_saveexec_b64 s[6:7], s[4:5]
	s_cbranch_execnz .LBB13_1803
	s_branch .LBB13_1804
.LBB13_3853:
	s_movk_i32 s4, 0x80
	v_cmp_eq_u16_sdwa s[12:13], v19, s4 src0_sel:BYTE_0 src1_sel:DWORD
	s_mov_b64 s[4:5], -1
                                        ; implicit-def: $sgpr10
	s_and_saveexec_b64 s[8:9], s[12:13]
; %bb.3854:
	s_mov_b32 s10, 0x7f800001
	s_xor_b64 s[4:5], exec, -1
; %bb.3855:
	s_or_b64 exec, exec, s[8:9]
	s_and_b64 s[4:5], s[4:5], exec
	s_or_saveexec_b64 s[6:7], s[6:7]
	v_mov_b32_e32 v20, s10
	s_xor_b64 exec, exec, s[6:7]
	s_cbranch_execz .LBB13_1806
.LBB13_3856:
	v_mov_b32_e32 v20, 0
	v_cmp_ne_u16_sdwa s[8:9], v19, v20 src0_sel:BYTE_0 src1_sel:DWORD
	s_andn2_b64 s[4:5], s[4:5], exec
	s_and_b64 s[8:9], s[8:9], exec
	s_or_b64 s[4:5], s[4:5], s[8:9]
	s_or_b64 exec, exec, s[6:7]
	s_and_saveexec_b64 s[6:7], s[4:5]
	s_cbranch_execnz .LBB13_1807
	s_branch .LBB13_1808
.LBB13_3857:
	s_movk_i32 s4, 0x80
	v_cmp_eq_u16_e32 vcc, s4, v19
	s_mov_b64 s[4:5], -1
                                        ; implicit-def: $sgpr10
	s_and_saveexec_b64 s[8:9], vcc
; %bb.3858:
	s_mov_b32 s10, 0x7f800001
	s_xor_b64 s[4:5], exec, -1
; %bb.3859:
	s_or_b64 exec, exec, s[8:9]
	s_and_b64 s[4:5], s[4:5], exec
                                        ; implicit-def: $vgpr19
	s_or_saveexec_b64 s[6:7], s[6:7]
	v_mov_b32_e32 v18, s10
	s_xor_b64 exec, exec, s[6:7]
	s_cbranch_execz .LBB13_1810
.LBB13_3860:
	v_cmp_ne_u16_e32 vcc, 0, v19
	s_andn2_b64 s[4:5], s[4:5], exec
	s_and_b64 s[8:9], vcc, exec
	v_mov_b32_e32 v18, 0
	s_or_b64 s[4:5], s[4:5], s[8:9]
	s_or_b64 exec, exec, s[6:7]
	s_and_saveexec_b64 s[6:7], s[4:5]
	s_cbranch_execnz .LBB13_1811
	s_branch .LBB13_1812
.LBB13_3861:
	s_movk_i32 s4, 0x80
	v_cmp_eq_u16_e32 vcc, s4, v19
	s_mov_b64 s[4:5], -1
                                        ; implicit-def: $sgpr10
	s_and_saveexec_b64 s[8:9], vcc
; %bb.3862:
	s_mov_b32 s10, 0x7f800001
	s_xor_b64 s[4:5], exec, -1
; %bb.3863:
	s_or_b64 exec, exec, s[8:9]
	s_and_b64 s[4:5], s[4:5], exec
                                        ; implicit-def: $vgpr19
	s_or_saveexec_b64 s[6:7], s[6:7]
	v_mov_b32_e32 v20, s10
	s_xor_b64 exec, exec, s[6:7]
	s_cbranch_execz .LBB13_1814
.LBB13_3864:
	v_cmp_ne_u16_e32 vcc, 0, v19
	s_andn2_b64 s[4:5], s[4:5], exec
	s_and_b64 s[8:9], vcc, exec
	v_mov_b32_e32 v20, 0
	s_or_b64 s[4:5], s[4:5], s[8:9]
	s_or_b64 exec, exec, s[6:7]
	s_and_saveexec_b64 s[6:7], s[4:5]
	s_cbranch_execnz .LBB13_1815
	s_branch .LBB13_1816
.LBB13_3865:
	s_movk_i32 s4, 0x80
	v_cmp_eq_u16_sdwa s[12:13], v12, s4 src0_sel:BYTE_3 src1_sel:DWORD
	s_mov_b64 s[4:5], -1
                                        ; implicit-def: $sgpr10
	s_and_saveexec_b64 s[8:9], s[12:13]
; %bb.3866:
	s_mov_b32 s10, 0x7f800001
	s_xor_b64 s[4:5], exec, -1
; %bb.3867:
	s_or_b64 exec, exec, s[8:9]
	s_and_b64 s[4:5], s[4:5], exec
	s_or_saveexec_b64 s[6:7], s[6:7]
	v_mov_b32_e32 v18, s10
	s_xor_b64 exec, exec, s[6:7]
	s_cbranch_execz .LBB13_1818
.LBB13_3868:
	v_mov_b32_e32 v18, 0
	v_cmp_ne_u16_sdwa s[8:9], v12, v18 src0_sel:BYTE_3 src1_sel:DWORD
	s_andn2_b64 s[4:5], s[4:5], exec
	s_and_b64 s[8:9], s[8:9], exec
	s_or_b64 s[4:5], s[4:5], s[8:9]
	s_or_b64 exec, exec, s[6:7]
	s_and_saveexec_b64 s[6:7], s[4:5]
	s_cbranch_execnz .LBB13_1819
	s_branch .LBB13_1820
.LBB13_3869:
	s_movk_i32 s4, 0x80
	v_cmp_eq_u16_sdwa s[12:13], v8, s4 src0_sel:BYTE_3 src1_sel:DWORD
	s_mov_b64 s[4:5], -1
                                        ; implicit-def: $sgpr10
	s_and_saveexec_b64 s[8:9], s[12:13]
; %bb.3870:
	s_mov_b32 s10, 0x7f800001
	s_xor_b64 s[4:5], exec, -1
; %bb.3871:
	s_or_b64 exec, exec, s[8:9]
	s_and_b64 s[4:5], s[4:5], exec
	s_or_saveexec_b64 s[6:7], s[6:7]
	v_mov_b32_e32 v12, s10
	s_xor_b64 exec, exec, s[6:7]
	s_cbranch_execz .LBB13_1822
.LBB13_3872:
	v_mov_b32_e32 v12, 0
	v_cmp_ne_u16_sdwa s[8:9], v8, v12 src0_sel:BYTE_3 src1_sel:DWORD
	s_andn2_b64 s[4:5], s[4:5], exec
	s_and_b64 s[8:9], s[8:9], exec
	s_or_b64 s[4:5], s[4:5], s[8:9]
	s_or_b64 exec, exec, s[6:7]
	s_and_saveexec_b64 s[6:7], s[4:5]
	s_cbranch_execnz .LBB13_1823
	s_branch .LBB13_1824
.LBB13_3873:
	s_movk_i32 s4, 0x80
	v_cmp_eq_u16_sdwa s[12:13], v13, s4 src0_sel:BYTE_0 src1_sel:DWORD
	s_mov_b64 s[4:5], -1
                                        ; implicit-def: $sgpr10
	s_and_saveexec_b64 s[8:9], s[12:13]
; %bb.3874:
	s_mov_b32 s10, 0x7f800001
	s_xor_b64 s[4:5], exec, -1
; %bb.3875:
	s_or_b64 exec, exec, s[8:9]
	s_and_b64 s[4:5], s[4:5], exec
	s_or_saveexec_b64 s[6:7], s[6:7]
	v_mov_b32_e32 v8, s10
	s_xor_b64 exec, exec, s[6:7]
	s_cbranch_execz .LBB13_1826
.LBB13_3876:
	v_mov_b32_e32 v8, 0
	v_cmp_ne_u16_sdwa s[8:9], v13, v8 src0_sel:BYTE_0 src1_sel:DWORD
	s_andn2_b64 s[4:5], s[4:5], exec
	s_and_b64 s[8:9], s[8:9], exec
	s_or_b64 s[4:5], s[4:5], s[8:9]
	s_or_b64 exec, exec, s[6:7]
	s_and_saveexec_b64 s[6:7], s[4:5]
	s_cbranch_execnz .LBB13_1827
	s_branch .LBB13_1828
.LBB13_3877:
	s_movk_i32 s4, 0x80
	v_cmp_eq_u16_sdwa s[12:13], v9, s4 src0_sel:BYTE_0 src1_sel:DWORD
	s_mov_b64 s[4:5], -1
                                        ; implicit-def: $sgpr10
	s_and_saveexec_b64 s[8:9], s[12:13]
; %bb.3878:
	s_mov_b32 s10, 0x7f800001
	s_xor_b64 s[4:5], exec, -1
; %bb.3879:
	s_or_b64 exec, exec, s[8:9]
	s_and_b64 s[4:5], s[4:5], exec
	s_or_saveexec_b64 s[6:7], s[6:7]
	v_mov_b32_e32 v12, s10
	s_xor_b64 exec, exec, s[6:7]
	s_cbranch_execz .LBB13_1830
.LBB13_3880:
	v_mov_b32_e32 v12, 0
	v_cmp_ne_u16_sdwa s[8:9], v9, v12 src0_sel:BYTE_0 src1_sel:DWORD
	s_andn2_b64 s[4:5], s[4:5], exec
	s_and_b64 s[8:9], s[8:9], exec
	s_or_b64 s[4:5], s[4:5], s[8:9]
	s_or_b64 exec, exec, s[6:7]
	s_and_saveexec_b64 s[6:7], s[4:5]
	s_cbranch_execnz .LBB13_1831
	s_branch .LBB13_1832
.LBB13_3881:
	s_movk_i32 s4, 0x80
	v_cmp_eq_u16_sdwa s[12:13], v12, s4 src0_sel:BYTE_0 src1_sel:DWORD
	s_mov_b64 s[4:5], -1
                                        ; implicit-def: $sgpr10
	s_and_saveexec_b64 s[8:9], s[12:13]
; %bb.3882:
	s_mov_b32 s10, 0x7f800001
	s_xor_b64 s[4:5], exec, -1
; %bb.3883:
	s_or_b64 exec, exec, s[8:9]
	s_and_b64 s[4:5], s[4:5], exec
	s_or_saveexec_b64 s[6:7], s[6:7]
	v_mov_b32_e32 v8, s10
	s_xor_b64 exec, exec, s[6:7]
	s_cbranch_execz .LBB13_1834
.LBB13_3884:
	v_mov_b32_e32 v8, 0
	v_cmp_ne_u16_sdwa s[8:9], v12, v8 src0_sel:BYTE_0 src1_sel:DWORD
	s_andn2_b64 s[4:5], s[4:5], exec
	s_and_b64 s[8:9], s[8:9], exec
	s_or_b64 s[4:5], s[4:5], s[8:9]
	s_or_b64 exec, exec, s[6:7]
	s_and_saveexec_b64 s[6:7], s[4:5]
	s_cbranch_execnz .LBB13_1835
	s_branch .LBB13_1836
.LBB13_3885:
	s_movk_i32 s4, 0x80
	v_cmp_eq_u16_sdwa s[12:13], v12, s4 src0_sel:BYTE_0 src1_sel:DWORD
	s_mov_b64 s[4:5], -1
                                        ; implicit-def: $sgpr10
	s_and_saveexec_b64 s[8:9], s[12:13]
; %bb.3886:
	s_mov_b32 s10, 0x7f800001
	s_xor_b64 s[4:5], exec, -1
; %bb.3887:
	s_or_b64 exec, exec, s[8:9]
	s_and_b64 s[4:5], s[4:5], exec
	s_or_saveexec_b64 s[6:7], s[6:7]
	v_mov_b32_e32 v18, s10
	s_xor_b64 exec, exec, s[6:7]
	s_cbranch_execz .LBB13_1838
.LBB13_3888:
	v_mov_b32_e32 v18, 0
	v_cmp_ne_u16_sdwa s[8:9], v12, v18 src0_sel:BYTE_0 src1_sel:DWORD
	s_andn2_b64 s[4:5], s[4:5], exec
	s_and_b64 s[8:9], s[8:9], exec
	s_or_b64 s[4:5], s[4:5], s[8:9]
	s_or_b64 exec, exec, s[6:7]
	s_and_saveexec_b64 s[6:7], s[4:5]
	s_cbranch_execnz .LBB13_1839
	s_branch .LBB13_1840
.LBB13_3889:
	s_movk_i32 s4, 0x80
	v_cmp_eq_u16_e32 vcc, s4, v12
	s_mov_b64 s[4:5], -1
                                        ; implicit-def: $sgpr10
	s_and_saveexec_b64 s[8:9], vcc
; %bb.3890:
	s_mov_b32 s10, 0x7f800001
	s_xor_b64 s[4:5], exec, -1
; %bb.3891:
	s_or_b64 exec, exec, s[8:9]
	s_and_b64 s[4:5], s[4:5], exec
                                        ; implicit-def: $vgpr12
	s_or_saveexec_b64 s[6:7], s[6:7]
	v_mov_b32_e32 v8, s10
	s_xor_b64 exec, exec, s[6:7]
	s_cbranch_execz .LBB13_1842
.LBB13_3892:
	v_cmp_ne_u16_e32 vcc, 0, v12
	s_andn2_b64 s[4:5], s[4:5], exec
	s_and_b64 s[8:9], vcc, exec
	v_mov_b32_e32 v8, 0
	s_or_b64 s[4:5], s[4:5], s[8:9]
	s_or_b64 exec, exec, s[6:7]
	s_and_saveexec_b64 s[6:7], s[4:5]
	s_cbranch_execnz .LBB13_1843
	s_branch .LBB13_1844
.LBB13_3893:
	s_movk_i32 s4, 0x80
	v_cmp_eq_u16_e32 vcc, s4, v12
	s_mov_b64 s[4:5], -1
                                        ; implicit-def: $sgpr10
	s_and_saveexec_b64 s[8:9], vcc
; %bb.3894:
	s_mov_b32 s10, 0x7f800001
	s_xor_b64 s[4:5], exec, -1
; %bb.3895:
	s_or_b64 exec, exec, s[8:9]
	s_and_b64 s[4:5], s[4:5], exec
                                        ; implicit-def: $vgpr12
	s_or_saveexec_b64 s[6:7], s[6:7]
	v_mov_b32_e32 v18, s10
	s_xor_b64 exec, exec, s[6:7]
	s_cbranch_execz .LBB13_1846
.LBB13_3896:
	v_cmp_ne_u16_e32 vcc, 0, v12
	s_andn2_b64 s[4:5], s[4:5], exec
	s_and_b64 s[8:9], vcc, exec
	v_mov_b32_e32 v18, 0
	s_or_b64 s[4:5], s[4:5], s[8:9]
	s_or_b64 exec, exec, s[6:7]
	s_and_saveexec_b64 s[6:7], s[4:5]
	s_cbranch_execnz .LBB13_1847
	s_branch .LBB13_1848
.LBB13_3897:
	s_movk_i32 s4, 0x80
	v_cmp_eq_u16_sdwa s[12:13], v13, s4 src0_sel:BYTE_3 src1_sel:DWORD
	s_mov_b64 s[4:5], -1
                                        ; implicit-def: $sgpr10
	s_and_saveexec_b64 s[8:9], s[12:13]
; %bb.3898:
	s_mov_b32 s10, 0x7f800001
	s_xor_b64 s[4:5], exec, -1
; %bb.3899:
	s_or_b64 exec, exec, s[8:9]
	s_and_b64 s[4:5], s[4:5], exec
	s_or_saveexec_b64 s[6:7], s[6:7]
	v_mov_b32_e32 v8, s10
	s_xor_b64 exec, exec, s[6:7]
	s_cbranch_execz .LBB13_1850
.LBB13_3900:
	v_mov_b32_e32 v8, 0
	v_cmp_ne_u16_sdwa s[8:9], v13, v8 src0_sel:BYTE_3 src1_sel:DWORD
	s_andn2_b64 s[4:5], s[4:5], exec
	s_and_b64 s[8:9], s[8:9], exec
	s_or_b64 s[4:5], s[4:5], s[8:9]
	s_or_b64 exec, exec, s[6:7]
	s_and_saveexec_b64 s[6:7], s[4:5]
	s_cbranch_execnz .LBB13_1851
	s_branch .LBB13_1852
.LBB13_3901:
	s_movk_i32 s4, 0x80
	v_cmp_eq_u16_sdwa s[12:13], v9, s4 src0_sel:BYTE_3 src1_sel:DWORD
	s_mov_b64 s[4:5], -1
                                        ; implicit-def: $sgpr10
	s_and_saveexec_b64 s[8:9], s[12:13]
; %bb.3902:
	s_mov_b32 s10, 0x7f800001
	s_xor_b64 s[4:5], exec, -1
; %bb.3903:
	s_or_b64 exec, exec, s[8:9]
	s_and_b64 s[4:5], s[4:5], exec
	s_or_saveexec_b64 s[6:7], s[6:7]
	v_mov_b32_e32 v12, s10
	s_xor_b64 exec, exec, s[6:7]
	s_cbranch_execz .LBB13_1854
.LBB13_3904:
	v_mov_b32_e32 v12, 0
	v_cmp_ne_u16_sdwa s[8:9], v9, v12 src0_sel:BYTE_3 src1_sel:DWORD
	s_andn2_b64 s[4:5], s[4:5], exec
	s_and_b64 s[8:9], s[8:9], exec
	s_or_b64 s[4:5], s[4:5], s[8:9]
	s_or_b64 exec, exec, s[6:7]
	s_and_saveexec_b64 s[6:7], s[4:5]
	s_cbranch_execnz .LBB13_1855
	s_branch .LBB13_1856
.LBB13_3905:
	s_movk_i32 s4, 0x80
	v_cmp_eq_u16_sdwa s[12:13], v14, s4 src0_sel:BYTE_0 src1_sel:DWORD
	s_mov_b64 s[4:5], -1
                                        ; implicit-def: $sgpr10
	s_and_saveexec_b64 s[8:9], s[12:13]
; %bb.3906:
	s_mov_b32 s10, 0x7f800001
	s_xor_b64 s[4:5], exec, -1
; %bb.3907:
	s_or_b64 exec, exec, s[8:9]
	s_and_b64 s[4:5], s[4:5], exec
	s_or_saveexec_b64 s[6:7], s[6:7]
	v_mov_b32_e32 v8, s10
	s_xor_b64 exec, exec, s[6:7]
	s_cbranch_execz .LBB13_1858
.LBB13_3908:
	v_mov_b32_e32 v8, 0
	v_cmp_ne_u16_sdwa s[8:9], v14, v8 src0_sel:BYTE_0 src1_sel:DWORD
	s_andn2_b64 s[4:5], s[4:5], exec
	s_and_b64 s[8:9], s[8:9], exec
	s_or_b64 s[4:5], s[4:5], s[8:9]
	s_or_b64 exec, exec, s[6:7]
	s_and_saveexec_b64 s[6:7], s[4:5]
	s_cbranch_execnz .LBB13_1859
	s_branch .LBB13_1860
.LBB13_3909:
	s_movk_i32 s4, 0x80
	v_cmp_eq_u16_sdwa s[12:13], v10, s4 src0_sel:BYTE_0 src1_sel:DWORD
	s_mov_b64 s[4:5], -1
                                        ; implicit-def: $sgpr10
	s_and_saveexec_b64 s[8:9], s[12:13]
; %bb.3910:
	s_mov_b32 s10, 0x7f800001
	s_xor_b64 s[4:5], exec, -1
; %bb.3911:
	s_or_b64 exec, exec, s[8:9]
	s_and_b64 s[4:5], s[4:5], exec
	s_or_saveexec_b64 s[6:7], s[6:7]
	v_mov_b32_e32 v9, s10
	s_xor_b64 exec, exec, s[6:7]
	s_cbranch_execz .LBB13_1862
.LBB13_3912:
	v_mov_b32_e32 v9, 0
	v_cmp_ne_u16_sdwa s[8:9], v10, v9 src0_sel:BYTE_0 src1_sel:DWORD
	s_andn2_b64 s[4:5], s[4:5], exec
	s_and_b64 s[8:9], s[8:9], exec
	s_or_b64 s[4:5], s[4:5], s[8:9]
	s_or_b64 exec, exec, s[6:7]
	s_and_saveexec_b64 s[6:7], s[4:5]
	s_cbranch_execnz .LBB13_1863
	s_branch .LBB13_1864
.LBB13_3913:
	s_movk_i32 s4, 0x80
	v_cmp_eq_u16_sdwa s[12:13], v9, s4 src0_sel:BYTE_0 src1_sel:DWORD
	s_mov_b64 s[4:5], -1
                                        ; implicit-def: $sgpr10
	s_and_saveexec_b64 s[8:9], s[12:13]
; %bb.3914:
	s_mov_b32 s10, 0x7f800001
	s_xor_b64 s[4:5], exec, -1
; %bb.3915:
	s_or_b64 exec, exec, s[8:9]
	s_and_b64 s[4:5], s[4:5], exec
	s_or_saveexec_b64 s[6:7], s[6:7]
	v_mov_b32_e32 v8, s10
	s_xor_b64 exec, exec, s[6:7]
	s_cbranch_execz .LBB13_1866
.LBB13_3916:
	v_mov_b32_e32 v8, 0
	v_cmp_ne_u16_sdwa s[8:9], v9, v8 src0_sel:BYTE_0 src1_sel:DWORD
	s_andn2_b64 s[4:5], s[4:5], exec
	s_and_b64 s[8:9], s[8:9], exec
	s_or_b64 s[4:5], s[4:5], s[8:9]
	s_or_b64 exec, exec, s[6:7]
	s_and_saveexec_b64 s[6:7], s[4:5]
	s_cbranch_execnz .LBB13_1867
	s_branch .LBB13_1868
.LBB13_3917:
	s_movk_i32 s4, 0x80
	v_cmp_eq_u16_sdwa s[12:13], v9, s4 src0_sel:BYTE_0 src1_sel:DWORD
	s_mov_b64 s[4:5], -1
                                        ; implicit-def: $sgpr10
	s_and_saveexec_b64 s[8:9], s[12:13]
; %bb.3918:
	s_mov_b32 s10, 0x7f800001
	s_xor_b64 s[4:5], exec, -1
; %bb.3919:
	s_or_b64 exec, exec, s[8:9]
	s_and_b64 s[4:5], s[4:5], exec
	s_or_saveexec_b64 s[6:7], s[6:7]
	v_mov_b32_e32 v12, s10
	s_xor_b64 exec, exec, s[6:7]
	s_cbranch_execz .LBB13_1870
.LBB13_3920:
	v_mov_b32_e32 v12, 0
	v_cmp_ne_u16_sdwa s[8:9], v9, v12 src0_sel:BYTE_0 src1_sel:DWORD
	s_andn2_b64 s[4:5], s[4:5], exec
	s_and_b64 s[8:9], s[8:9], exec
	s_or_b64 s[4:5], s[4:5], s[8:9]
	s_or_b64 exec, exec, s[6:7]
	s_and_saveexec_b64 s[6:7], s[4:5]
	s_cbranch_execnz .LBB13_1871
	s_branch .LBB13_1872
.LBB13_3921:
	s_movk_i32 s4, 0x80
	v_cmp_eq_u16_e32 vcc, s4, v9
	s_mov_b64 s[4:5], -1
                                        ; implicit-def: $sgpr10
	s_and_saveexec_b64 s[8:9], vcc
; %bb.3922:
	s_mov_b32 s10, 0x7f800001
	s_xor_b64 s[4:5], exec, -1
; %bb.3923:
	s_or_b64 exec, exec, s[8:9]
	s_and_b64 s[4:5], s[4:5], exec
                                        ; implicit-def: $vgpr9
	s_or_saveexec_b64 s[6:7], s[6:7]
	v_mov_b32_e32 v8, s10
	s_xor_b64 exec, exec, s[6:7]
	s_cbranch_execz .LBB13_1874
.LBB13_3924:
	v_cmp_ne_u16_e32 vcc, 0, v9
	s_andn2_b64 s[4:5], s[4:5], exec
	s_and_b64 s[8:9], vcc, exec
	v_mov_b32_e32 v8, 0
	s_or_b64 s[4:5], s[4:5], s[8:9]
	s_or_b64 exec, exec, s[6:7]
	s_and_saveexec_b64 s[6:7], s[4:5]
	s_cbranch_execnz .LBB13_1875
	s_branch .LBB13_1876
.LBB13_3925:
	s_movk_i32 s4, 0x80
	v_cmp_eq_u16_e32 vcc, s4, v9
	s_mov_b64 s[4:5], -1
                                        ; implicit-def: $sgpr10
	s_and_saveexec_b64 s[8:9], vcc
; %bb.3926:
	s_mov_b32 s10, 0x7f800001
	s_xor_b64 s[4:5], exec, -1
; %bb.3927:
	s_or_b64 exec, exec, s[8:9]
	s_and_b64 s[4:5], s[4:5], exec
                                        ; implicit-def: $vgpr9
	s_or_saveexec_b64 s[6:7], s[6:7]
	v_mov_b32_e32 v12, s10
	s_xor_b64 exec, exec, s[6:7]
	s_cbranch_execz .LBB13_1878
.LBB13_3928:
	v_cmp_ne_u16_e32 vcc, 0, v9
	s_andn2_b64 s[4:5], s[4:5], exec
	s_and_b64 s[8:9], vcc, exec
	v_mov_b32_e32 v12, 0
	s_or_b64 s[4:5], s[4:5], s[8:9]
	s_or_b64 exec, exec, s[6:7]
	s_and_saveexec_b64 s[6:7], s[4:5]
	s_cbranch_execnz .LBB13_1879
	s_branch .LBB13_1880
.LBB13_3929:
	s_movk_i32 s4, 0x80
	v_cmp_eq_u16_sdwa s[12:13], v14, s4 src0_sel:BYTE_3 src1_sel:DWORD
	s_mov_b64 s[4:5], -1
                                        ; implicit-def: $sgpr10
	s_and_saveexec_b64 s[8:9], s[12:13]
; %bb.3930:
	s_mov_b32 s10, 0x7f800001
	s_xor_b64 s[4:5], exec, -1
; %bb.3931:
	s_or_b64 exec, exec, s[8:9]
	s_and_b64 s[4:5], s[4:5], exec
	s_or_saveexec_b64 s[6:7], s[6:7]
	v_mov_b32_e32 v8, s10
	s_xor_b64 exec, exec, s[6:7]
	s_cbranch_execz .LBB13_1882
.LBB13_3932:
	v_mov_b32_e32 v8, 0
	v_cmp_ne_u16_sdwa s[8:9], v14, v8 src0_sel:BYTE_3 src1_sel:DWORD
	s_andn2_b64 s[4:5], s[4:5], exec
	s_and_b64 s[8:9], s[8:9], exec
	s_or_b64 s[4:5], s[4:5], s[8:9]
	s_or_b64 exec, exec, s[6:7]
	s_and_saveexec_b64 s[6:7], s[4:5]
	s_cbranch_execnz .LBB13_1883
	s_branch .LBB13_1884
.LBB13_3933:
	s_movk_i32 s4, 0x80
	v_cmp_eq_u16_sdwa s[12:13], v10, s4 src0_sel:BYTE_3 src1_sel:DWORD
	s_mov_b64 s[4:5], -1
                                        ; implicit-def: $sgpr10
	s_and_saveexec_b64 s[8:9], s[12:13]
; %bb.3934:
	s_mov_b32 s10, 0x7f800001
	s_xor_b64 s[4:5], exec, -1
; %bb.3935:
	s_or_b64 exec, exec, s[8:9]
	s_and_b64 s[4:5], s[4:5], exec
	s_or_saveexec_b64 s[6:7], s[6:7]
	v_mov_b32_e32 v9, s10
	s_xor_b64 exec, exec, s[6:7]
	s_cbranch_execz .LBB13_1886
.LBB13_3936:
	v_mov_b32_e32 v9, 0
	v_cmp_ne_u16_sdwa s[8:9], v10, v9 src0_sel:BYTE_3 src1_sel:DWORD
	s_andn2_b64 s[4:5], s[4:5], exec
	s_and_b64 s[8:9], s[8:9], exec
	s_or_b64 s[4:5], s[4:5], s[8:9]
	s_or_b64 exec, exec, s[6:7]
	s_and_saveexec_b64 s[6:7], s[4:5]
	s_cbranch_execnz .LBB13_1887
	s_branch .LBB13_1888
.LBB13_3937:
	s_movk_i32 s4, 0x80
	v_cmp_eq_u16_sdwa s[12:13], v15, s4 src0_sel:BYTE_0 src1_sel:DWORD
	s_mov_b64 s[4:5], -1
                                        ; implicit-def: $sgpr10
	s_and_saveexec_b64 s[8:9], s[12:13]
; %bb.3938:
	s_mov_b32 s10, 0x7f800001
	s_xor_b64 s[4:5], exec, -1
; %bb.3939:
	s_or_b64 exec, exec, s[8:9]
	s_and_b64 s[4:5], s[4:5], exec
	s_or_saveexec_b64 s[6:7], s[6:7]
	v_mov_b32_e32 v8, s10
	s_xor_b64 exec, exec, s[6:7]
	s_cbranch_execz .LBB13_1890
.LBB13_3940:
	v_mov_b32_e32 v8, 0
	v_cmp_ne_u16_sdwa s[8:9], v15, v8 src0_sel:BYTE_0 src1_sel:DWORD
	s_andn2_b64 s[4:5], s[4:5], exec
	s_and_b64 s[8:9], s[8:9], exec
	s_or_b64 s[4:5], s[4:5], s[8:9]
	s_or_b64 exec, exec, s[6:7]
	s_and_saveexec_b64 s[6:7], s[4:5]
	s_cbranch_execnz .LBB13_1891
	s_branch .LBB13_1892
.LBB13_3941:
	s_movk_i32 s4, 0x80
	v_cmp_eq_u16_sdwa s[12:13], v11, s4 src0_sel:BYTE_0 src1_sel:DWORD
	s_mov_b64 s[4:5], -1
                                        ; implicit-def: $sgpr10
	s_and_saveexec_b64 s[8:9], s[12:13]
; %bb.3942:
	s_mov_b32 s10, 0x7f800001
	s_xor_b64 s[4:5], exec, -1
; %bb.3943:
	s_or_b64 exec, exec, s[8:9]
	s_and_b64 s[4:5], s[4:5], exec
	s_or_saveexec_b64 s[6:7], s[6:7]
	v_mov_b32_e32 v9, s10
	s_xor_b64 exec, exec, s[6:7]
	s_cbranch_execz .LBB13_1894
.LBB13_3944:
	v_mov_b32_e32 v9, 0
	v_cmp_ne_u16_sdwa s[8:9], v11, v9 src0_sel:BYTE_0 src1_sel:DWORD
	s_andn2_b64 s[4:5], s[4:5], exec
	s_and_b64 s[8:9], s[8:9], exec
	s_or_b64 s[4:5], s[4:5], s[8:9]
	s_or_b64 exec, exec, s[6:7]
	s_and_saveexec_b64 s[6:7], s[4:5]
	s_cbranch_execnz .LBB13_1895
	s_branch .LBB13_1896
.LBB13_3945:
	s_movk_i32 s4, 0x80
	v_cmp_eq_u16_sdwa s[12:13], v9, s4 src0_sel:BYTE_0 src1_sel:DWORD
	s_mov_b64 s[4:5], -1
                                        ; implicit-def: $sgpr10
	s_and_saveexec_b64 s[8:9], s[12:13]
; %bb.3946:
	s_mov_b32 s10, 0x7f800001
	s_xor_b64 s[4:5], exec, -1
; %bb.3947:
	s_or_b64 exec, exec, s[8:9]
	s_and_b64 s[4:5], s[4:5], exec
	s_or_saveexec_b64 s[6:7], s[6:7]
	v_mov_b32_e32 v8, s10
	s_xor_b64 exec, exec, s[6:7]
	s_cbranch_execz .LBB13_1898
.LBB13_3948:
	v_mov_b32_e32 v8, 0
	v_cmp_ne_u16_sdwa s[8:9], v9, v8 src0_sel:BYTE_0 src1_sel:DWORD
	s_andn2_b64 s[4:5], s[4:5], exec
	s_and_b64 s[8:9], s[8:9], exec
	s_or_b64 s[4:5], s[4:5], s[8:9]
	s_or_b64 exec, exec, s[6:7]
	s_and_saveexec_b64 s[6:7], s[4:5]
	s_cbranch_execnz .LBB13_1899
	s_branch .LBB13_1900
.LBB13_3949:
	s_movk_i32 s4, 0x80
	v_cmp_eq_u16_sdwa s[12:13], v9, s4 src0_sel:BYTE_0 src1_sel:DWORD
	s_mov_b64 s[4:5], -1
                                        ; implicit-def: $sgpr10
	s_and_saveexec_b64 s[8:9], s[12:13]
; %bb.3950:
	s_mov_b32 s10, 0x7f800001
	s_xor_b64 s[4:5], exec, -1
; %bb.3951:
	s_or_b64 exec, exec, s[8:9]
	s_and_b64 s[4:5], s[4:5], exec
	s_or_saveexec_b64 s[6:7], s[6:7]
	v_mov_b32_e32 v10, s10
	s_xor_b64 exec, exec, s[6:7]
	s_cbranch_execz .LBB13_1902
.LBB13_3952:
	v_mov_b32_e32 v10, 0
	v_cmp_ne_u16_sdwa s[8:9], v9, v10 src0_sel:BYTE_0 src1_sel:DWORD
	s_andn2_b64 s[4:5], s[4:5], exec
	s_and_b64 s[8:9], s[8:9], exec
	s_or_b64 s[4:5], s[4:5], s[8:9]
	s_or_b64 exec, exec, s[6:7]
	s_and_saveexec_b64 s[6:7], s[4:5]
	s_cbranch_execnz .LBB13_1903
	s_branch .LBB13_1904
.LBB13_3953:
	s_movk_i32 s4, 0x80
	v_cmp_eq_u16_e32 vcc, s4, v9
	s_mov_b64 s[4:5], -1
                                        ; implicit-def: $sgpr10
	s_and_saveexec_b64 s[8:9], vcc
; %bb.3954:
	s_mov_b32 s10, 0x7f800001
	s_xor_b64 s[4:5], exec, -1
; %bb.3955:
	s_or_b64 exec, exec, s[8:9]
	s_and_b64 s[4:5], s[4:5], exec
                                        ; implicit-def: $vgpr9
	s_or_saveexec_b64 s[6:7], s[6:7]
	v_mov_b32_e32 v8, s10
	s_xor_b64 exec, exec, s[6:7]
	s_cbranch_execz .LBB13_1906
.LBB13_3956:
	v_cmp_ne_u16_e32 vcc, 0, v9
	s_andn2_b64 s[4:5], s[4:5], exec
	s_and_b64 s[8:9], vcc, exec
	v_mov_b32_e32 v8, 0
	s_or_b64 s[4:5], s[4:5], s[8:9]
	s_or_b64 exec, exec, s[6:7]
	s_and_saveexec_b64 s[6:7], s[4:5]
	s_cbranch_execnz .LBB13_1907
	s_branch .LBB13_1908
.LBB13_3957:
	s_movk_i32 s4, 0x80
	v_cmp_eq_u16_e32 vcc, s4, v9
	s_mov_b64 s[4:5], -1
                                        ; implicit-def: $sgpr10
	s_and_saveexec_b64 s[8:9], vcc
; %bb.3958:
	s_mov_b32 s10, 0x7f800001
	s_xor_b64 s[4:5], exec, -1
; %bb.3959:
	s_or_b64 exec, exec, s[8:9]
	s_and_b64 s[4:5], s[4:5], exec
                                        ; implicit-def: $vgpr9
	s_or_saveexec_b64 s[6:7], s[6:7]
	v_mov_b32_e32 v10, s10
	s_xor_b64 exec, exec, s[6:7]
	s_cbranch_execz .LBB13_1910
.LBB13_3960:
	v_cmp_ne_u16_e32 vcc, 0, v9
	s_andn2_b64 s[4:5], s[4:5], exec
	s_and_b64 s[8:9], vcc, exec
	v_mov_b32_e32 v10, 0
	s_or_b64 s[4:5], s[4:5], s[8:9]
	s_or_b64 exec, exec, s[6:7]
	s_and_saveexec_b64 s[6:7], s[4:5]
	s_cbranch_execnz .LBB13_1911
	s_branch .LBB13_1912
.LBB13_3961:
	s_movk_i32 s4, 0x80
	v_cmp_eq_u16_sdwa s[12:13], v15, s4 src0_sel:BYTE_3 src1_sel:DWORD
	s_mov_b64 s[4:5], -1
                                        ; implicit-def: $sgpr10
	s_and_saveexec_b64 s[8:9], s[12:13]
; %bb.3962:
	s_mov_b32 s10, 0x7f800001
	s_xor_b64 s[4:5], exec, -1
; %bb.3963:
	s_or_b64 exec, exec, s[8:9]
	s_and_b64 s[4:5], s[4:5], exec
	s_or_saveexec_b64 s[6:7], s[6:7]
	v_mov_b32_e32 v8, s10
	s_xor_b64 exec, exec, s[6:7]
	s_cbranch_execz .LBB13_1914
.LBB13_3964:
	v_mov_b32_e32 v8, 0
	v_cmp_ne_u16_sdwa s[8:9], v15, v8 src0_sel:BYTE_3 src1_sel:DWORD
	s_andn2_b64 s[4:5], s[4:5], exec
	s_and_b64 s[8:9], s[8:9], exec
	s_or_b64 s[4:5], s[4:5], s[8:9]
	s_or_b64 exec, exec, s[6:7]
	s_and_saveexec_b64 s[6:7], s[4:5]
	s_cbranch_execnz .LBB13_1915
	s_branch .LBB13_1916
.LBB13_3965:
	s_movk_i32 s4, 0x80
	v_cmp_eq_u16_sdwa s[12:13], v11, s4 src0_sel:BYTE_3 src1_sel:DWORD
	s_mov_b64 s[4:5], -1
                                        ; implicit-def: $sgpr10
	s_and_saveexec_b64 s[8:9], s[12:13]
; %bb.3966:
	s_mov_b32 s10, 0x7f800001
	s_xor_b64 s[4:5], exec, -1
; %bb.3967:
	s_or_b64 exec, exec, s[8:9]
	s_and_b64 s[4:5], s[4:5], exec
	s_or_saveexec_b64 s[6:7], s[6:7]
	v_mov_b32_e32 v9, s10
	s_xor_b64 exec, exec, s[6:7]
	s_cbranch_execz .LBB13_1918
.LBB13_3968:
	v_mov_b32_e32 v9, 0
	v_cmp_ne_u16_sdwa s[8:9], v11, v9 src0_sel:BYTE_3 src1_sel:DWORD
	s_andn2_b64 s[4:5], s[4:5], exec
	s_and_b64 s[8:9], s[8:9], exec
	s_or_b64 s[4:5], s[4:5], s[8:9]
	s_or_b64 exec, exec, s[6:7]
	s_and_saveexec_b64 s[6:7], s[4:5]
	s_cbranch_execnz .LBB13_1919
	s_branch .LBB13_1920
.LBB13_3969:
	s_movk_i32 s4, 0x80
	v_cmp_eq_u16_sdwa s[12:13], v4, s4 src0_sel:BYTE_0 src1_sel:DWORD
	s_mov_b64 s[4:5], -1
                                        ; implicit-def: $sgpr10
	s_and_saveexec_b64 s[8:9], s[12:13]
; %bb.3970:
	s_mov_b32 s10, 0x7f800001
	s_xor_b64 s[4:5], exec, -1
; %bb.3971:
	s_or_b64 exec, exec, s[8:9]
	s_and_b64 s[4:5], s[4:5], exec
	s_or_saveexec_b64 s[6:7], s[6:7]
	v_mov_b32_e32 v8, s10
	s_xor_b64 exec, exec, s[6:7]
	s_cbranch_execz .LBB13_1922
.LBB13_3972:
	v_mov_b32_e32 v8, 0
	v_cmp_ne_u16_sdwa s[8:9], v4, v8 src0_sel:BYTE_0 src1_sel:DWORD
	s_andn2_b64 s[4:5], s[4:5], exec
	s_and_b64 s[8:9], s[8:9], exec
	s_or_b64 s[4:5], s[4:5], s[8:9]
	s_or_b64 exec, exec, s[6:7]
	s_and_saveexec_b64 s[6:7], s[4:5]
	s_cbranch_execnz .LBB13_1923
	s_branch .LBB13_1924
.LBB13_3973:
	s_movk_i32 s4, 0x80
	v_cmp_eq_u16_sdwa s[12:13], v0, s4 src0_sel:BYTE_0 src1_sel:DWORD
	s_mov_b64 s[4:5], -1
                                        ; implicit-def: $sgpr10
	s_and_saveexec_b64 s[8:9], s[12:13]
; %bb.3974:
	s_mov_b32 s10, 0x7f800001
	s_xor_b64 s[4:5], exec, -1
; %bb.3975:
	s_or_b64 exec, exec, s[8:9]
	s_and_b64 s[4:5], s[4:5], exec
	s_or_saveexec_b64 s[6:7], s[6:7]
	v_mov_b32_e32 v9, s10
	s_xor_b64 exec, exec, s[6:7]
	s_cbranch_execz .LBB13_1926
.LBB13_3976:
	v_mov_b32_e32 v9, 0
	v_cmp_ne_u16_sdwa s[8:9], v0, v9 src0_sel:BYTE_0 src1_sel:DWORD
	s_andn2_b64 s[4:5], s[4:5], exec
	s_and_b64 s[8:9], s[8:9], exec
	s_or_b64 s[4:5], s[4:5], s[8:9]
	s_or_b64 exec, exec, s[6:7]
	s_and_saveexec_b64 s[6:7], s[4:5]
	s_cbranch_execnz .LBB13_1927
	s_branch .LBB13_1928
.LBB13_3977:
	s_movk_i32 s4, 0x80
	v_cmp_eq_u16_sdwa s[12:13], v9, s4 src0_sel:BYTE_0 src1_sel:DWORD
	s_mov_b64 s[4:5], -1
                                        ; implicit-def: $sgpr10
	s_and_saveexec_b64 s[8:9], s[12:13]
; %bb.3978:
	s_mov_b32 s10, 0x7f800001
	s_xor_b64 s[4:5], exec, -1
; %bb.3979:
	s_or_b64 exec, exec, s[8:9]
	s_and_b64 s[4:5], s[4:5], exec
	s_or_saveexec_b64 s[6:7], s[6:7]
	v_mov_b32_e32 v8, s10
	s_xor_b64 exec, exec, s[6:7]
	s_cbranch_execz .LBB13_1930
.LBB13_3980:
	v_mov_b32_e32 v8, 0
	v_cmp_ne_u16_sdwa s[8:9], v9, v8 src0_sel:BYTE_0 src1_sel:DWORD
	s_andn2_b64 s[4:5], s[4:5], exec
	s_and_b64 s[8:9], s[8:9], exec
	s_or_b64 s[4:5], s[4:5], s[8:9]
	s_or_b64 exec, exec, s[6:7]
	s_and_saveexec_b64 s[6:7], s[4:5]
	s_cbranch_execnz .LBB13_1931
	s_branch .LBB13_1932
.LBB13_3981:
	s_movk_i32 s4, 0x80
	v_cmp_eq_u16_sdwa s[12:13], v9, s4 src0_sel:BYTE_0 src1_sel:DWORD
	s_mov_b64 s[4:5], -1
                                        ; implicit-def: $sgpr10
	s_and_saveexec_b64 s[8:9], s[12:13]
; %bb.3982:
	s_mov_b32 s10, 0x7f800001
	s_xor_b64 s[4:5], exec, -1
; %bb.3983:
	s_or_b64 exec, exec, s[8:9]
	s_and_b64 s[4:5], s[4:5], exec
	s_or_saveexec_b64 s[6:7], s[6:7]
	v_mov_b32_e32 v10, s10
	s_xor_b64 exec, exec, s[6:7]
	s_cbranch_execz .LBB13_1934
.LBB13_3984:
	v_mov_b32_e32 v10, 0
	v_cmp_ne_u16_sdwa s[8:9], v9, v10 src0_sel:BYTE_0 src1_sel:DWORD
	s_andn2_b64 s[4:5], s[4:5], exec
	s_and_b64 s[8:9], s[8:9], exec
	s_or_b64 s[4:5], s[4:5], s[8:9]
	s_or_b64 exec, exec, s[6:7]
	s_and_saveexec_b64 s[6:7], s[4:5]
	s_cbranch_execnz .LBB13_1935
	s_branch .LBB13_1936
.LBB13_3985:
	s_movk_i32 s4, 0x80
	v_cmp_eq_u16_e32 vcc, s4, v9
	s_mov_b64 s[4:5], -1
                                        ; implicit-def: $sgpr10
	s_and_saveexec_b64 s[8:9], vcc
; %bb.3986:
	s_mov_b32 s10, 0x7f800001
	s_xor_b64 s[4:5], exec, -1
; %bb.3987:
	s_or_b64 exec, exec, s[8:9]
	s_and_b64 s[4:5], s[4:5], exec
                                        ; implicit-def: $vgpr9
	s_or_saveexec_b64 s[6:7], s[6:7]
	v_mov_b32_e32 v8, s10
	s_xor_b64 exec, exec, s[6:7]
	s_cbranch_execz .LBB13_1938
.LBB13_3988:
	v_cmp_ne_u16_e32 vcc, 0, v9
	s_andn2_b64 s[4:5], s[4:5], exec
	s_and_b64 s[8:9], vcc, exec
	v_mov_b32_e32 v8, 0
	s_or_b64 s[4:5], s[4:5], s[8:9]
	s_or_b64 exec, exec, s[6:7]
	s_and_saveexec_b64 s[6:7], s[4:5]
	s_cbranch_execnz .LBB13_1939
	s_branch .LBB13_1940
.LBB13_3989:
	s_movk_i32 s4, 0x80
	v_cmp_eq_u16_e32 vcc, s4, v9
	s_mov_b64 s[4:5], -1
                                        ; implicit-def: $sgpr10
	s_and_saveexec_b64 s[8:9], vcc
; %bb.3990:
	s_mov_b32 s10, 0x7f800001
	s_xor_b64 s[4:5], exec, -1
; %bb.3991:
	s_or_b64 exec, exec, s[8:9]
	s_and_b64 s[4:5], s[4:5], exec
                                        ; implicit-def: $vgpr9
	s_or_saveexec_b64 s[6:7], s[6:7]
	v_mov_b32_e32 v10, s10
	s_xor_b64 exec, exec, s[6:7]
	s_cbranch_execz .LBB13_1942
.LBB13_3992:
	v_cmp_ne_u16_e32 vcc, 0, v9
	s_andn2_b64 s[4:5], s[4:5], exec
	s_and_b64 s[8:9], vcc, exec
	v_mov_b32_e32 v10, 0
	s_or_b64 s[4:5], s[4:5], s[8:9]
	s_or_b64 exec, exec, s[6:7]
	s_and_saveexec_b64 s[6:7], s[4:5]
	s_cbranch_execnz .LBB13_1943
	s_branch .LBB13_1944
.LBB13_3993:
	s_movk_i32 s4, 0x80
	v_cmp_eq_u16_sdwa s[12:13], v4, s4 src0_sel:BYTE_3 src1_sel:DWORD
	s_mov_b64 s[4:5], -1
                                        ; implicit-def: $sgpr10
	s_and_saveexec_b64 s[8:9], s[12:13]
; %bb.3994:
	s_mov_b32 s10, 0x7f800001
	s_xor_b64 s[4:5], exec, -1
; %bb.3995:
	s_or_b64 exec, exec, s[8:9]
	s_and_b64 s[4:5], s[4:5], exec
	s_or_saveexec_b64 s[6:7], s[6:7]
	v_mov_b32_e32 v8, s10
	s_xor_b64 exec, exec, s[6:7]
	s_cbranch_execz .LBB13_1946
.LBB13_3996:
	v_mov_b32_e32 v8, 0
	v_cmp_ne_u16_sdwa s[8:9], v4, v8 src0_sel:BYTE_3 src1_sel:DWORD
	s_andn2_b64 s[4:5], s[4:5], exec
	s_and_b64 s[8:9], s[8:9], exec
	s_or_b64 s[4:5], s[4:5], s[8:9]
	s_or_b64 exec, exec, s[6:7]
	s_and_saveexec_b64 s[6:7], s[4:5]
	s_cbranch_execnz .LBB13_1947
	s_branch .LBB13_1948
.LBB13_3997:
	s_movk_i32 s4, 0x80
	v_cmp_eq_u16_sdwa s[12:13], v0, s4 src0_sel:BYTE_3 src1_sel:DWORD
	s_mov_b64 s[4:5], -1
                                        ; implicit-def: $sgpr10
	s_and_saveexec_b64 s[8:9], s[12:13]
; %bb.3998:
	s_mov_b32 s10, 0x7f800001
	s_xor_b64 s[4:5], exec, -1
; %bb.3999:
	s_or_b64 exec, exec, s[8:9]
	s_and_b64 s[4:5], s[4:5], exec
	s_or_saveexec_b64 s[6:7], s[6:7]
	v_mov_b32_e32 v4, s10
	s_xor_b64 exec, exec, s[6:7]
	s_cbranch_execz .LBB13_1950
.LBB13_4000:
	v_mov_b32_e32 v4, 0
	v_cmp_ne_u16_sdwa s[8:9], v0, v4 src0_sel:BYTE_3 src1_sel:DWORD
	s_andn2_b64 s[4:5], s[4:5], exec
	s_and_b64 s[8:9], s[8:9], exec
	s_or_b64 s[4:5], s[4:5], s[8:9]
	s_or_b64 exec, exec, s[6:7]
	s_and_saveexec_b64 s[6:7], s[4:5]
	s_cbranch_execnz .LBB13_1951
	s_branch .LBB13_1952
.LBB13_4001:
	s_movk_i32 s4, 0x80
	v_cmp_eq_u16_sdwa s[12:13], v5, s4 src0_sel:BYTE_0 src1_sel:DWORD
	s_mov_b64 s[4:5], -1
                                        ; implicit-def: $sgpr10
	s_and_saveexec_b64 s[8:9], s[12:13]
; %bb.4002:
	s_mov_b32 s10, 0x7f800001
	s_xor_b64 s[4:5], exec, -1
; %bb.4003:
	s_or_b64 exec, exec, s[8:9]
	s_and_b64 s[4:5], s[4:5], exec
	s_or_saveexec_b64 s[6:7], s[6:7]
	v_mov_b32_e32 v0, s10
	s_xor_b64 exec, exec, s[6:7]
	s_cbranch_execz .LBB13_1954
.LBB13_4004:
	v_mov_b32_e32 v0, 0
	v_cmp_ne_u16_sdwa s[8:9], v5, v0 src0_sel:BYTE_0 src1_sel:DWORD
	s_andn2_b64 s[4:5], s[4:5], exec
	s_and_b64 s[8:9], s[8:9], exec
	s_or_b64 s[4:5], s[4:5], s[8:9]
	s_or_b64 exec, exec, s[6:7]
	s_and_saveexec_b64 s[6:7], s[4:5]
	s_cbranch_execnz .LBB13_1955
	s_branch .LBB13_1956
.LBB13_4005:
	s_movk_i32 s4, 0x80
	v_cmp_eq_u16_sdwa s[12:13], v1, s4 src0_sel:BYTE_0 src1_sel:DWORD
	s_mov_b64 s[4:5], -1
                                        ; implicit-def: $sgpr10
	s_and_saveexec_b64 s[8:9], s[12:13]
; %bb.4006:
	s_mov_b32 s10, 0x7f800001
	s_xor_b64 s[4:5], exec, -1
; %bb.4007:
	s_or_b64 exec, exec, s[8:9]
	s_and_b64 s[4:5], s[4:5], exec
	s_or_saveexec_b64 s[6:7], s[6:7]
	v_mov_b32_e32 v4, s10
	s_xor_b64 exec, exec, s[6:7]
	s_cbranch_execz .LBB13_1958
.LBB13_4008:
	v_mov_b32_e32 v4, 0
	v_cmp_ne_u16_sdwa s[8:9], v1, v4 src0_sel:BYTE_0 src1_sel:DWORD
	s_andn2_b64 s[4:5], s[4:5], exec
	s_and_b64 s[8:9], s[8:9], exec
	s_or_b64 s[4:5], s[4:5], s[8:9]
	s_or_b64 exec, exec, s[6:7]
	s_and_saveexec_b64 s[6:7], s[4:5]
	s_cbranch_execnz .LBB13_1959
	s_branch .LBB13_1960
.LBB13_4009:
	s_movk_i32 s4, 0x80
	v_cmp_eq_u16_sdwa s[12:13], v4, s4 src0_sel:BYTE_0 src1_sel:DWORD
	s_mov_b64 s[4:5], -1
                                        ; implicit-def: $sgpr10
	s_and_saveexec_b64 s[8:9], s[12:13]
; %bb.4010:
	s_mov_b32 s10, 0x7f800001
	s_xor_b64 s[4:5], exec, -1
; %bb.4011:
	s_or_b64 exec, exec, s[8:9]
	s_and_b64 s[4:5], s[4:5], exec
	s_or_saveexec_b64 s[6:7], s[6:7]
	v_mov_b32_e32 v0, s10
	s_xor_b64 exec, exec, s[6:7]
	s_cbranch_execz .LBB13_1962
.LBB13_4012:
	v_mov_b32_e32 v0, 0
	v_cmp_ne_u16_sdwa s[8:9], v4, v0 src0_sel:BYTE_0 src1_sel:DWORD
	s_andn2_b64 s[4:5], s[4:5], exec
	s_and_b64 s[8:9], s[8:9], exec
	s_or_b64 s[4:5], s[4:5], s[8:9]
	s_or_b64 exec, exec, s[6:7]
	s_and_saveexec_b64 s[6:7], s[4:5]
	s_cbranch_execnz .LBB13_1963
	s_branch .LBB13_1964
.LBB13_4013:
	s_movk_i32 s4, 0x80
	v_cmp_eq_u16_sdwa s[12:13], v4, s4 src0_sel:BYTE_0 src1_sel:DWORD
	s_mov_b64 s[4:5], -1
                                        ; implicit-def: $sgpr10
	s_and_saveexec_b64 s[8:9], s[12:13]
; %bb.4014:
	s_mov_b32 s10, 0x7f800001
	s_xor_b64 s[4:5], exec, -1
; %bb.4015:
	s_or_b64 exec, exec, s[8:9]
	s_and_b64 s[4:5], s[4:5], exec
	s_or_saveexec_b64 s[6:7], s[6:7]
	v_mov_b32_e32 v8, s10
	s_xor_b64 exec, exec, s[6:7]
	s_cbranch_execz .LBB13_1966
.LBB13_4016:
	v_mov_b32_e32 v8, 0
	v_cmp_ne_u16_sdwa s[8:9], v4, v8 src0_sel:BYTE_0 src1_sel:DWORD
	s_andn2_b64 s[4:5], s[4:5], exec
	s_and_b64 s[8:9], s[8:9], exec
	s_or_b64 s[4:5], s[4:5], s[8:9]
	s_or_b64 exec, exec, s[6:7]
	s_and_saveexec_b64 s[6:7], s[4:5]
	s_cbranch_execnz .LBB13_1967
	s_branch .LBB13_1968
.LBB13_4017:
	s_movk_i32 s4, 0x80
	v_cmp_eq_u16_e32 vcc, s4, v4
	s_mov_b64 s[4:5], -1
                                        ; implicit-def: $sgpr10
	s_and_saveexec_b64 s[8:9], vcc
; %bb.4018:
	s_mov_b32 s10, 0x7f800001
	s_xor_b64 s[4:5], exec, -1
; %bb.4019:
	s_or_b64 exec, exec, s[8:9]
	s_and_b64 s[4:5], s[4:5], exec
                                        ; implicit-def: $vgpr4
	s_or_saveexec_b64 s[6:7], s[6:7]
	v_mov_b32_e32 v0, s10
	s_xor_b64 exec, exec, s[6:7]
	s_cbranch_execz .LBB13_1970
.LBB13_4020:
	v_cmp_ne_u16_e32 vcc, 0, v4
	s_andn2_b64 s[4:5], s[4:5], exec
	s_and_b64 s[8:9], vcc, exec
	v_mov_b32_e32 v0, 0
	s_or_b64 s[4:5], s[4:5], s[8:9]
	s_or_b64 exec, exec, s[6:7]
	s_and_saveexec_b64 s[6:7], s[4:5]
	s_cbranch_execnz .LBB13_1971
	s_branch .LBB13_1972
.LBB13_4021:
	s_movk_i32 s4, 0x80
	v_cmp_eq_u16_e32 vcc, s4, v4
	s_mov_b64 s[4:5], -1
                                        ; implicit-def: $sgpr10
	s_and_saveexec_b64 s[8:9], vcc
; %bb.4022:
	s_mov_b32 s10, 0x7f800001
	s_xor_b64 s[4:5], exec, -1
; %bb.4023:
	s_or_b64 exec, exec, s[8:9]
	s_and_b64 s[4:5], s[4:5], exec
                                        ; implicit-def: $vgpr4
	s_or_saveexec_b64 s[6:7], s[6:7]
	v_mov_b32_e32 v8, s10
	s_xor_b64 exec, exec, s[6:7]
	s_cbranch_execz .LBB13_1974
.LBB13_4024:
	v_cmp_ne_u16_e32 vcc, 0, v4
	s_andn2_b64 s[4:5], s[4:5], exec
	s_and_b64 s[8:9], vcc, exec
	v_mov_b32_e32 v8, 0
	s_or_b64 s[4:5], s[4:5], s[8:9]
	s_or_b64 exec, exec, s[6:7]
	s_and_saveexec_b64 s[6:7], s[4:5]
	s_cbranch_execnz .LBB13_1975
	s_branch .LBB13_1976
.LBB13_4025:
	s_movk_i32 s4, 0x80
	v_cmp_eq_u16_sdwa s[12:13], v5, s4 src0_sel:BYTE_3 src1_sel:DWORD
	s_mov_b64 s[4:5], -1
                                        ; implicit-def: $sgpr10
	s_and_saveexec_b64 s[8:9], s[12:13]
; %bb.4026:
	s_mov_b32 s10, 0x7f800001
	s_xor_b64 s[4:5], exec, -1
; %bb.4027:
	s_or_b64 exec, exec, s[8:9]
	s_and_b64 s[4:5], s[4:5], exec
	s_or_saveexec_b64 s[6:7], s[6:7]
	v_mov_b32_e32 v0, s10
	s_xor_b64 exec, exec, s[6:7]
	s_cbranch_execz .LBB13_1978
.LBB13_4028:
	v_mov_b32_e32 v0, 0
	v_cmp_ne_u16_sdwa s[8:9], v5, v0 src0_sel:BYTE_3 src1_sel:DWORD
	s_andn2_b64 s[4:5], s[4:5], exec
	s_and_b64 s[8:9], s[8:9], exec
	s_or_b64 s[4:5], s[4:5], s[8:9]
	s_or_b64 exec, exec, s[6:7]
	s_and_saveexec_b64 s[6:7], s[4:5]
	s_cbranch_execnz .LBB13_1979
	s_branch .LBB13_1980
.LBB13_4029:
	s_movk_i32 s4, 0x80
	v_cmp_eq_u16_sdwa s[12:13], v1, s4 src0_sel:BYTE_3 src1_sel:DWORD
	s_mov_b64 s[4:5], -1
                                        ; implicit-def: $sgpr10
	s_and_saveexec_b64 s[8:9], s[12:13]
; %bb.4030:
	s_mov_b32 s10, 0x7f800001
	s_xor_b64 s[4:5], exec, -1
; %bb.4031:
	s_or_b64 exec, exec, s[8:9]
	s_and_b64 s[4:5], s[4:5], exec
	s_or_saveexec_b64 s[6:7], s[6:7]
	v_mov_b32_e32 v4, s10
	s_xor_b64 exec, exec, s[6:7]
	s_cbranch_execz .LBB13_1982
.LBB13_4032:
	v_mov_b32_e32 v4, 0
	v_cmp_ne_u16_sdwa s[8:9], v1, v4 src0_sel:BYTE_3 src1_sel:DWORD
	s_andn2_b64 s[4:5], s[4:5], exec
	s_and_b64 s[8:9], s[8:9], exec
	s_or_b64 s[4:5], s[4:5], s[8:9]
	s_or_b64 exec, exec, s[6:7]
	s_and_saveexec_b64 s[6:7], s[4:5]
	s_cbranch_execnz .LBB13_1983
	s_branch .LBB13_1984
.LBB13_4033:
	s_movk_i32 s4, 0x80
	v_cmp_eq_u16_sdwa s[12:13], v6, s4 src0_sel:BYTE_0 src1_sel:DWORD
	s_mov_b64 s[4:5], -1
                                        ; implicit-def: $sgpr10
	s_and_saveexec_b64 s[8:9], s[12:13]
; %bb.4034:
	s_mov_b32 s10, 0x7f800001
	s_xor_b64 s[4:5], exec, -1
; %bb.4035:
	s_or_b64 exec, exec, s[8:9]
	s_and_b64 s[4:5], s[4:5], exec
	s_or_saveexec_b64 s[6:7], s[6:7]
	v_mov_b32_e32 v0, s10
	s_xor_b64 exec, exec, s[6:7]
	s_cbranch_execz .LBB13_1986
.LBB13_4036:
	v_mov_b32_e32 v0, 0
	v_cmp_ne_u16_sdwa s[8:9], v6, v0 src0_sel:BYTE_0 src1_sel:DWORD
	s_andn2_b64 s[4:5], s[4:5], exec
	s_and_b64 s[8:9], s[8:9], exec
	s_or_b64 s[4:5], s[4:5], s[8:9]
	s_or_b64 exec, exec, s[6:7]
	s_and_saveexec_b64 s[6:7], s[4:5]
	s_cbranch_execnz .LBB13_1987
	s_branch .LBB13_1988
.LBB13_4037:
	s_movk_i32 s4, 0x80
	v_cmp_eq_u16_sdwa s[12:13], v2, s4 src0_sel:BYTE_0 src1_sel:DWORD
	s_mov_b64 s[4:5], -1
                                        ; implicit-def: $sgpr10
	s_and_saveexec_b64 s[8:9], s[12:13]
; %bb.4038:
	s_mov_b32 s10, 0x7f800001
	s_xor_b64 s[4:5], exec, -1
; %bb.4039:
	s_or_b64 exec, exec, s[8:9]
	s_and_b64 s[4:5], s[4:5], exec
	s_or_saveexec_b64 s[6:7], s[6:7]
	v_mov_b32_e32 v1, s10
	s_xor_b64 exec, exec, s[6:7]
	s_cbranch_execz .LBB13_1990
.LBB13_4040:
	v_mov_b32_e32 v1, 0
	v_cmp_ne_u16_sdwa s[8:9], v2, v1 src0_sel:BYTE_0 src1_sel:DWORD
	s_andn2_b64 s[4:5], s[4:5], exec
	s_and_b64 s[8:9], s[8:9], exec
	s_or_b64 s[4:5], s[4:5], s[8:9]
	s_or_b64 exec, exec, s[6:7]
	s_and_saveexec_b64 s[6:7], s[4:5]
	s_cbranch_execnz .LBB13_1991
	s_branch .LBB13_1992
.LBB13_4041:
	s_movk_i32 s4, 0x80
	v_cmp_eq_u16_sdwa s[12:13], v1, s4 src0_sel:BYTE_0 src1_sel:DWORD
	s_mov_b64 s[4:5], -1
                                        ; implicit-def: $sgpr10
	s_and_saveexec_b64 s[8:9], s[12:13]
; %bb.4042:
	s_mov_b32 s10, 0x7f800001
	s_xor_b64 s[4:5], exec, -1
; %bb.4043:
	s_or_b64 exec, exec, s[8:9]
	s_and_b64 s[4:5], s[4:5], exec
	s_or_saveexec_b64 s[6:7], s[6:7]
	v_mov_b32_e32 v0, s10
	s_xor_b64 exec, exec, s[6:7]
	s_cbranch_execz .LBB13_1994
.LBB13_4044:
	v_mov_b32_e32 v0, 0
	v_cmp_ne_u16_sdwa s[8:9], v1, v0 src0_sel:BYTE_0 src1_sel:DWORD
	s_andn2_b64 s[4:5], s[4:5], exec
	s_and_b64 s[8:9], s[8:9], exec
	s_or_b64 s[4:5], s[4:5], s[8:9]
	s_or_b64 exec, exec, s[6:7]
	s_and_saveexec_b64 s[6:7], s[4:5]
	s_cbranch_execnz .LBB13_1995
	s_branch .LBB13_1996
.LBB13_4045:
	s_movk_i32 s4, 0x80
	v_cmp_eq_u16_sdwa s[12:13], v1, s4 src0_sel:BYTE_0 src1_sel:DWORD
	s_mov_b64 s[4:5], -1
                                        ; implicit-def: $sgpr10
	s_and_saveexec_b64 s[8:9], s[12:13]
; %bb.4046:
	s_mov_b32 s10, 0x7f800001
	s_xor_b64 s[4:5], exec, -1
; %bb.4047:
	s_or_b64 exec, exec, s[8:9]
	s_and_b64 s[4:5], s[4:5], exec
	s_or_saveexec_b64 s[6:7], s[6:7]
	v_mov_b32_e32 v4, s10
	s_xor_b64 exec, exec, s[6:7]
	s_cbranch_execz .LBB13_1998
.LBB13_4048:
	v_mov_b32_e32 v4, 0
	v_cmp_ne_u16_sdwa s[8:9], v1, v4 src0_sel:BYTE_0 src1_sel:DWORD
	s_andn2_b64 s[4:5], s[4:5], exec
	s_and_b64 s[8:9], s[8:9], exec
	s_or_b64 s[4:5], s[4:5], s[8:9]
	s_or_b64 exec, exec, s[6:7]
	s_and_saveexec_b64 s[6:7], s[4:5]
	s_cbranch_execnz .LBB13_1999
	s_branch .LBB13_2000
.LBB13_4049:
	s_movk_i32 s4, 0x80
	v_cmp_eq_u16_e32 vcc, s4, v1
	s_mov_b64 s[4:5], -1
                                        ; implicit-def: $sgpr10
	s_and_saveexec_b64 s[8:9], vcc
; %bb.4050:
	s_mov_b32 s10, 0x7f800001
	s_xor_b64 s[4:5], exec, -1
; %bb.4051:
	s_or_b64 exec, exec, s[8:9]
	s_and_b64 s[4:5], s[4:5], exec
                                        ; implicit-def: $vgpr1
	s_or_saveexec_b64 s[6:7], s[6:7]
	v_mov_b32_e32 v0, s10
	s_xor_b64 exec, exec, s[6:7]
	s_cbranch_execz .LBB13_2002
.LBB13_4052:
	v_cmp_ne_u16_e32 vcc, 0, v1
	s_andn2_b64 s[4:5], s[4:5], exec
	s_and_b64 s[8:9], vcc, exec
	v_mov_b32_e32 v0, 0
	s_or_b64 s[4:5], s[4:5], s[8:9]
	s_or_b64 exec, exec, s[6:7]
	s_and_saveexec_b64 s[6:7], s[4:5]
	s_cbranch_execnz .LBB13_2003
	s_branch .LBB13_2004
.LBB13_4053:
	s_movk_i32 s4, 0x80
	v_cmp_eq_u16_e32 vcc, s4, v1
	s_mov_b64 s[4:5], -1
                                        ; implicit-def: $sgpr10
	s_and_saveexec_b64 s[8:9], vcc
; %bb.4054:
	s_mov_b32 s10, 0x7f800001
	s_xor_b64 s[4:5], exec, -1
; %bb.4055:
	s_or_b64 exec, exec, s[8:9]
	s_and_b64 s[4:5], s[4:5], exec
                                        ; implicit-def: $vgpr1
	s_or_saveexec_b64 s[6:7], s[6:7]
	v_mov_b32_e32 v4, s10
	s_xor_b64 exec, exec, s[6:7]
	s_cbranch_execz .LBB13_2006
.LBB13_4056:
	v_cmp_ne_u16_e32 vcc, 0, v1
	s_andn2_b64 s[4:5], s[4:5], exec
	s_and_b64 s[8:9], vcc, exec
	v_mov_b32_e32 v4, 0
	s_or_b64 s[4:5], s[4:5], s[8:9]
	s_or_b64 exec, exec, s[6:7]
	s_and_saveexec_b64 s[6:7], s[4:5]
	s_cbranch_execnz .LBB13_2007
	s_branch .LBB13_2008
.LBB13_4057:
	s_movk_i32 s4, 0x80
	v_cmp_eq_u16_sdwa s[12:13], v6, s4 src0_sel:BYTE_3 src1_sel:DWORD
	s_mov_b64 s[4:5], -1
                                        ; implicit-def: $sgpr10
	s_and_saveexec_b64 s[8:9], s[12:13]
; %bb.4058:
	s_mov_b32 s10, 0x7f800001
	s_xor_b64 s[4:5], exec, -1
; %bb.4059:
	s_or_b64 exec, exec, s[8:9]
	s_and_b64 s[4:5], s[4:5], exec
	s_or_saveexec_b64 s[6:7], s[6:7]
	v_mov_b32_e32 v0, s10
	s_xor_b64 exec, exec, s[6:7]
	s_cbranch_execz .LBB13_2010
.LBB13_4060:
	v_mov_b32_e32 v0, 0
	v_cmp_ne_u16_sdwa s[8:9], v6, v0 src0_sel:BYTE_3 src1_sel:DWORD
	s_andn2_b64 s[4:5], s[4:5], exec
	s_and_b64 s[8:9], s[8:9], exec
	s_or_b64 s[4:5], s[4:5], s[8:9]
	s_or_b64 exec, exec, s[6:7]
	s_and_saveexec_b64 s[6:7], s[4:5]
	s_cbranch_execnz .LBB13_2011
	s_branch .LBB13_2012
.LBB13_4061:
	s_movk_i32 s4, 0x80
	v_cmp_eq_u16_sdwa s[12:13], v2, s4 src0_sel:BYTE_3 src1_sel:DWORD
	s_mov_b64 s[4:5], -1
                                        ; implicit-def: $sgpr10
	s_and_saveexec_b64 s[8:9], s[12:13]
; %bb.4062:
	s_mov_b32 s10, 0x7f800001
	s_xor_b64 s[4:5], exec, -1
; %bb.4063:
	s_or_b64 exec, exec, s[8:9]
	s_and_b64 s[4:5], s[4:5], exec
	s_or_saveexec_b64 s[6:7], s[6:7]
	v_mov_b32_e32 v1, s10
	s_xor_b64 exec, exec, s[6:7]
	s_cbranch_execz .LBB13_2014
.LBB13_4064:
	v_mov_b32_e32 v1, 0
	v_cmp_ne_u16_sdwa s[8:9], v2, v1 src0_sel:BYTE_3 src1_sel:DWORD
	s_andn2_b64 s[4:5], s[4:5], exec
	s_and_b64 s[8:9], s[8:9], exec
	s_or_b64 s[4:5], s[4:5], s[8:9]
	s_or_b64 exec, exec, s[6:7]
	s_and_saveexec_b64 s[6:7], s[4:5]
	s_cbranch_execnz .LBB13_2015
	s_branch .LBB13_2016
.LBB13_4065:
	s_movk_i32 s4, 0x80
	v_cmp_eq_u16_sdwa s[12:13], v7, s4 src0_sel:BYTE_0 src1_sel:DWORD
	s_mov_b64 s[4:5], -1
                                        ; implicit-def: $sgpr10
	s_and_saveexec_b64 s[8:9], s[12:13]
; %bb.4066:
	s_mov_b32 s10, 0x7f800001
	s_xor_b64 s[4:5], exec, -1
; %bb.4067:
	s_or_b64 exec, exec, s[8:9]
	s_and_b64 s[4:5], s[4:5], exec
	s_or_saveexec_b64 s[6:7], s[6:7]
	v_mov_b32_e32 v0, s10
	s_xor_b64 exec, exec, s[6:7]
	s_cbranch_execz .LBB13_2018
.LBB13_4068:
	v_mov_b32_e32 v0, 0
	v_cmp_ne_u16_sdwa s[8:9], v7, v0 src0_sel:BYTE_0 src1_sel:DWORD
	s_andn2_b64 s[4:5], s[4:5], exec
	s_and_b64 s[8:9], s[8:9], exec
	s_or_b64 s[4:5], s[4:5], s[8:9]
	s_or_b64 exec, exec, s[6:7]
	s_and_saveexec_b64 s[6:7], s[4:5]
	s_cbranch_execnz .LBB13_2019
	s_branch .LBB13_2020
.LBB13_4069:
	s_movk_i32 s4, 0x80
	v_cmp_eq_u16_sdwa s[12:13], v3, s4 src0_sel:BYTE_0 src1_sel:DWORD
	s_mov_b64 s[4:5], -1
                                        ; implicit-def: $sgpr10
	s_and_saveexec_b64 s[8:9], s[12:13]
; %bb.4070:
	s_mov_b32 s10, 0x7f800001
	s_xor_b64 s[4:5], exec, -1
; %bb.4071:
	s_or_b64 exec, exec, s[8:9]
	s_and_b64 s[4:5], s[4:5], exec
	s_or_saveexec_b64 s[6:7], s[6:7]
	v_mov_b32_e32 v1, s10
	s_xor_b64 exec, exec, s[6:7]
	s_cbranch_execz .LBB13_2022
.LBB13_4072:
	v_mov_b32_e32 v1, 0
	v_cmp_ne_u16_sdwa s[8:9], v3, v1 src0_sel:BYTE_0 src1_sel:DWORD
	s_andn2_b64 s[4:5], s[4:5], exec
	s_and_b64 s[8:9], s[8:9], exec
	s_or_b64 s[4:5], s[4:5], s[8:9]
	s_or_b64 exec, exec, s[6:7]
	s_and_saveexec_b64 s[6:7], s[4:5]
	s_cbranch_execnz .LBB13_2023
	s_branch .LBB13_2024
.LBB13_4073:
	s_movk_i32 s4, 0x80
	v_cmp_eq_u16_sdwa s[12:13], v1, s4 src0_sel:BYTE_0 src1_sel:DWORD
	s_mov_b64 s[4:5], -1
                                        ; implicit-def: $sgpr10
	s_and_saveexec_b64 s[8:9], s[12:13]
; %bb.4074:
	s_mov_b32 s10, 0x7f800001
	s_xor_b64 s[4:5], exec, -1
; %bb.4075:
	s_or_b64 exec, exec, s[8:9]
	s_and_b64 s[4:5], s[4:5], exec
	s_or_saveexec_b64 s[6:7], s[6:7]
	v_mov_b32_e32 v0, s10
	s_xor_b64 exec, exec, s[6:7]
	s_cbranch_execz .LBB13_2026
.LBB13_4076:
	v_mov_b32_e32 v0, 0
	v_cmp_ne_u16_sdwa s[8:9], v1, v0 src0_sel:BYTE_0 src1_sel:DWORD
	s_andn2_b64 s[4:5], s[4:5], exec
	s_and_b64 s[8:9], s[8:9], exec
	s_or_b64 s[4:5], s[4:5], s[8:9]
	s_or_b64 exec, exec, s[6:7]
	s_and_saveexec_b64 s[6:7], s[4:5]
	s_cbranch_execnz .LBB13_2027
	s_branch .LBB13_2028
.LBB13_4077:
	s_movk_i32 s4, 0x80
	v_cmp_eq_u16_sdwa s[12:13], v1, s4 src0_sel:BYTE_0 src1_sel:DWORD
	s_mov_b64 s[4:5], -1
                                        ; implicit-def: $sgpr10
	s_and_saveexec_b64 s[8:9], s[12:13]
; %bb.4078:
	s_mov_b32 s10, 0x7f800001
	s_xor_b64 s[4:5], exec, -1
; %bb.4079:
	s_or_b64 exec, exec, s[8:9]
	s_and_b64 s[4:5], s[4:5], exec
	s_or_saveexec_b64 s[6:7], s[6:7]
	v_mov_b32_e32 v2, s10
	s_xor_b64 exec, exec, s[6:7]
	s_cbranch_execz .LBB13_2030
.LBB13_4080:
	v_mov_b32_e32 v2, 0
	v_cmp_ne_u16_sdwa s[8:9], v1, v2 src0_sel:BYTE_0 src1_sel:DWORD
	s_andn2_b64 s[4:5], s[4:5], exec
	s_and_b64 s[8:9], s[8:9], exec
	s_or_b64 s[4:5], s[4:5], s[8:9]
	s_or_b64 exec, exec, s[6:7]
	s_and_saveexec_b64 s[6:7], s[4:5]
	s_cbranch_execnz .LBB13_2031
	s_branch .LBB13_2032
.LBB13_4081:
	s_movk_i32 s4, 0x80
	v_cmp_eq_u16_e32 vcc, s4, v1
	s_mov_b64 s[4:5], -1
                                        ; implicit-def: $sgpr10
	s_and_saveexec_b64 s[8:9], vcc
; %bb.4082:
	s_mov_b32 s10, 0x7f800001
	s_xor_b64 s[4:5], exec, -1
; %bb.4083:
	s_or_b64 exec, exec, s[8:9]
	s_and_b64 s[4:5], s[4:5], exec
                                        ; implicit-def: $vgpr1
	s_or_saveexec_b64 s[6:7], s[6:7]
	v_mov_b32_e32 v0, s10
	s_xor_b64 exec, exec, s[6:7]
	s_cbranch_execz .LBB13_2034
.LBB13_4084:
	v_cmp_ne_u16_e32 vcc, 0, v1
	s_andn2_b64 s[4:5], s[4:5], exec
	s_and_b64 s[8:9], vcc, exec
	v_mov_b32_e32 v0, 0
	s_or_b64 s[4:5], s[4:5], s[8:9]
	s_or_b64 exec, exec, s[6:7]
	s_and_saveexec_b64 s[6:7], s[4:5]
	s_cbranch_execnz .LBB13_2035
	s_branch .LBB13_2036
.LBB13_4085:
	s_movk_i32 s4, 0x80
	v_cmp_eq_u16_e32 vcc, s4, v1
	s_mov_b64 s[4:5], -1
                                        ; implicit-def: $sgpr10
	s_and_saveexec_b64 s[8:9], vcc
; %bb.4086:
	s_mov_b32 s10, 0x7f800001
	s_xor_b64 s[4:5], exec, -1
; %bb.4087:
	s_or_b64 exec, exec, s[8:9]
	s_and_b64 s[4:5], s[4:5], exec
                                        ; implicit-def: $vgpr1
	s_or_saveexec_b64 s[6:7], s[6:7]
	v_mov_b32_e32 v2, s10
	s_xor_b64 exec, exec, s[6:7]
	s_cbranch_execz .LBB13_2038
.LBB13_4088:
	v_cmp_ne_u16_e32 vcc, 0, v1
	s_andn2_b64 s[4:5], s[4:5], exec
	s_and_b64 s[8:9], vcc, exec
	v_mov_b32_e32 v2, 0
	s_or_b64 s[4:5], s[4:5], s[8:9]
	s_or_b64 exec, exec, s[6:7]
	s_and_saveexec_b64 s[6:7], s[4:5]
	s_cbranch_execnz .LBB13_2039
	s_branch .LBB13_2040
.LBB13_4089:
	s_movk_i32 s4, 0x80
	v_cmp_eq_u16_sdwa s[12:13], v7, s4 src0_sel:BYTE_3 src1_sel:DWORD
	s_mov_b64 s[4:5], -1
                                        ; implicit-def: $sgpr10
	s_and_saveexec_b64 s[8:9], s[12:13]
; %bb.4090:
	s_mov_b32 s10, 0x7f800001
	s_xor_b64 s[4:5], exec, -1
; %bb.4091:
	s_or_b64 exec, exec, s[8:9]
	s_and_b64 s[4:5], s[4:5], exec
	s_or_saveexec_b64 s[6:7], s[6:7]
	v_mov_b32_e32 v0, s10
	s_xor_b64 exec, exec, s[6:7]
	s_cbranch_execz .LBB13_2042
.LBB13_4092:
	v_mov_b32_e32 v0, 0
	v_cmp_ne_u16_sdwa s[8:9], v7, v0 src0_sel:BYTE_3 src1_sel:DWORD
	s_andn2_b64 s[4:5], s[4:5], exec
	s_and_b64 s[8:9], s[8:9], exec
	s_or_b64 s[4:5], s[4:5], s[8:9]
	s_or_b64 exec, exec, s[6:7]
	s_and_saveexec_b64 s[6:7], s[4:5]
	s_cbranch_execnz .LBB13_2043
	s_branch .LBB13_2044
.LBB13_4093:
	s_movk_i32 s4, 0x80
	v_cmp_eq_u16_sdwa s[12:13], v3, s4 src0_sel:BYTE_3 src1_sel:DWORD
	s_mov_b64 s[4:5], -1
                                        ; implicit-def: $sgpr10
	s_and_saveexec_b64 s[8:9], s[12:13]
; %bb.4094:
	s_mov_b32 s10, 0x7f800001
	s_xor_b64 s[4:5], exec, -1
; %bb.4095:
	s_or_b64 exec, exec, s[8:9]
	s_and_b64 s[4:5], s[4:5], exec
	s_or_saveexec_b64 s[6:7], s[6:7]
	v_mov_b32_e32 v1, s10
	s_xor_b64 exec, exec, s[6:7]
	s_cbranch_execz .LBB13_2046
.LBB13_4096:
	v_mov_b32_e32 v1, 0
	v_cmp_ne_u16_sdwa s[8:9], v3, v1 src0_sel:BYTE_3 src1_sel:DWORD
	s_andn2_b64 s[4:5], s[4:5], exec
	s_and_b64 s[8:9], s[8:9], exec
	s_or_b64 s[4:5], s[4:5], s[8:9]
	s_or_b64 exec, exec, s[6:7]
	s_and_saveexec_b64 s[6:7], s[4:5]
	s_cbranch_execnz .LBB13_2047
	s_branch .LBB13_2048
.Lfunc_end13:
	.size	_ZNK2ck6detail7applierIiJLi0ELi1ELi2ELi3ELi4ELi5ELi6ELi7EEEclIZNKS_11static_fordINS_8SequenceIJLi1ELi8EEEENS5_IJLi0ELi1EEEEEclIZZZNKS_52BlockwiseGemmXdlops_pipeline_bpreshuffle_bdequant_v3ILNS_26BlockGemmPipelineSchedulerE0ELi256ENS_9f8_fnuz_tENS_7pk_i4_tESC_fNS_16TensorDescriptorINS_5TupleIJNS_5EmbedINSF_IJNS_17integral_constantIiLi8EEENSH_IiLi256EEENSH_IiLi16EEEEEENSF_IJSK_NSH_IiLi128EEENSH_IiLi1EEEEEELb0EEENS_3XorINSF_IJSJ_SI_EEELb1EEENS_11PassThroughISK_EENS_7UnMergeINSF_IJSI_SN_EEELb0EEENST_ISJ_EESU_NST_ISI_EENS_21Merge_v3_division_modINSF_IJSJ_SN_EEEEESU_EEENSF_IJNS5_IJLi0EEEENS5_IJLi2ELi1EEEENS5_IJLi3EEEENS5_IJLi5EEEENS5_IJLi4EEEENS5_IJLi6EEEENS5_IJLi7EEEENS5_IJLi9ELi8EEEENS5_IJLi10EEEEEEENSF_IJNS5_IJLi1ELi2ELi3EEEENS5_IJLi4ELi5EEEES19_NS5_IJLi7ELi8EEEENS5_IJLi9EEEES1C_NS5_IJLi11EEEENS5_IJLi12EEEENS5_IJLi13EEEEEEENS5_IJLi11ELi12ELi13EEEENSH_IlLl32768EEEEENSE_INSF_IJNSV_INSF_IJSI_SN_SN_NSH_IiLi32EEEEEELb0EEEEEENSF_IJS14_EEENSF_IJNS5_IJLi1ELi2ELi3ELi4EEEEEEES1U_NSH_IlLl256EEEEENSE_INSF_IJSP_SS_SU_SX_SY_SU_SZ_S12_SU_NS10_INSF_IJSI_SK_EEEEENSV_INSF_IJSI_NSH_IiLi2EEESK_EEELb0EEEEEENSF_IJS14_S15_S16_S17_S18_S19_S1A_S1B_S1C_NS5_IJLi11ELi13EEEES1J_EEENSF_IJS1E_S1F_S19_S1G_S1H_S1C_S1I_S1J_S1K_NS5_IJLi14EEEENS5_IJLi15ELi16ELi17EEEEEEENS5_IJLi15ELi16ELi17ELi14EEEES1N_EENSE_INSF_IJS1R_NS10_ISW_EES22_EEENSF_IJS14_NS5_IJLi1ELi3EEEENS5_IJLi2EEEEEEENSF_IJS1U_S17_NS5_IJLi6ELi7ELi8EEEEEEENS5_IJLi6ELi7ELi8ELi5EEEES1W_EELi16ELi32ELi256ELi256ELi128ELi16ELi16ELi8ELi8ELi32ELb0EE3RunILb1ELNS_10TailNumberE0ENSE_INSF_IJNSG_INSF_IJiiEEENSF_IJiSN_EEELb0EEENSV_IS2N_Lb0EEENST_IiEEEEENSF_IJS14_S2E_NS5_IJLi1EEEEEEENSF_IJNS5_IJLi1ELi2EEEENS5_IJLi3ELi4EEEES17_EEENS5_IJLi3ELi5ELi4EEEElEES1O_NS_35ThreadGroupTensorSliceTransfer_v4r1INS_15ThisThreadBlockILi256EEENS_16tensor_operation12element_wise11PassThroughES35_LNS_25InMemoryDataOperationEnumE0ENS5_IJLi8ELi256ELi16EEEENS5_IJLi8ELi32ELi1EEEENS5_IJLi1ELi0ELi2EEEESC_SC_RKS2Z_KS1O_S39_NS5_IJLi0ELi1ELi2EEEELi2ELi2ELi16ELi16ELi1ELi1ELb0ELb1ELi2EiEENS_13DynamicBufferILNS_16AddressSpaceEnumE1EKSC_lLb1ELNS_22AmdBufferCoherenceEnumE0EiEENSF_IJNS3F_ILS3G_2ESC_S1N_Lb1ELS3I_0EiEES3K_EEENSF_IJiiiEEENSE_INSF_IJNSG_INSF_IJiiiiEEENSF_IJiiiSN_EEELb0EEEEEES1T_S1V_S1U_lEENS_32ThreadwiseTensorSliceTransfer_v2ISD_SD_RKS3R_KS1X_NS5_IJLi8ELi1ELi1ELi32EEEENS5_IJLi1ELi2ELi0ELi3EEEELi3ELi32ELi0ELb1ELb0ELb0EEENS3F_ILS3G_1EKSD_lLb1ELS3I_0EiEENSF_IJNS_12StaticBufferILS3G_4ESD_Li256ELb1EEES42_EEES3N_NS_25StaticBufferTupleOfVectorILS3G_4EfLi64ELi4ELb1ELb0EEEEEvRKT1_RKT2_RT3_RKT4_RT5_RKT6_RKT7_RT8_RKT9_RT10_RKT11_RT12_iENKUlT_T0_E_clISN_NSH_IiLi0EEEEEDaS51_S52_ENKUlS51_E_clINSH_IiLi3EEEEEDaS51_EUlS51_E_EEvS51_EUlS51_E_EEvS51_, .Lfunc_end13-_ZNK2ck6detail7applierIiJLi0ELi1ELi2ELi3ELi4ELi5ELi6ELi7EEEclIZNKS_11static_fordINS_8SequenceIJLi1ELi8EEEENS5_IJLi0ELi1EEEEEclIZZZNKS_52BlockwiseGemmXdlops_pipeline_bpreshuffle_bdequant_v3ILNS_26BlockGemmPipelineSchedulerE0ELi256ENS_9f8_fnuz_tENS_7pk_i4_tESC_fNS_16TensorDescriptorINS_5TupleIJNS_5EmbedINSF_IJNS_17integral_constantIiLi8EEENSH_IiLi256EEENSH_IiLi16EEEEEENSF_IJSK_NSH_IiLi128EEENSH_IiLi1EEEEEELb0EEENS_3XorINSF_IJSJ_SI_EEELb1EEENS_11PassThroughISK_EENS_7UnMergeINSF_IJSI_SN_EEELb0EEENST_ISJ_EESU_NST_ISI_EENS_21Merge_v3_division_modINSF_IJSJ_SN_EEEEESU_EEENSF_IJNS5_IJLi0EEEENS5_IJLi2ELi1EEEENS5_IJLi3EEEENS5_IJLi5EEEENS5_IJLi4EEEENS5_IJLi6EEEENS5_IJLi7EEEENS5_IJLi9ELi8EEEENS5_IJLi10EEEEEEENSF_IJNS5_IJLi1ELi2ELi3EEEENS5_IJLi4ELi5EEEES19_NS5_IJLi7ELi8EEEENS5_IJLi9EEEES1C_NS5_IJLi11EEEENS5_IJLi12EEEENS5_IJLi13EEEEEEENS5_IJLi11ELi12ELi13EEEENSH_IlLl32768EEEEENSE_INSF_IJNSV_INSF_IJSI_SN_SN_NSH_IiLi32EEEEEELb0EEEEEENSF_IJS14_EEENSF_IJNS5_IJLi1ELi2ELi3ELi4EEEEEEES1U_NSH_IlLl256EEEEENSE_INSF_IJSP_SS_SU_SX_SY_SU_SZ_S12_SU_NS10_INSF_IJSI_SK_EEEEENSV_INSF_IJSI_NSH_IiLi2EEESK_EEELb0EEEEEENSF_IJS14_S15_S16_S17_S18_S19_S1A_S1B_S1C_NS5_IJLi11ELi13EEEES1J_EEENSF_IJS1E_S1F_S19_S1G_S1H_S1C_S1I_S1J_S1K_NS5_IJLi14EEEENS5_IJLi15ELi16ELi17EEEEEEENS5_IJLi15ELi16ELi17ELi14EEEES1N_EENSE_INSF_IJS1R_NS10_ISW_EES22_EEENSF_IJS14_NS5_IJLi1ELi3EEEENS5_IJLi2EEEEEEENSF_IJS1U_S17_NS5_IJLi6ELi7ELi8EEEEEEENS5_IJLi6ELi7ELi8ELi5EEEES1W_EELi16ELi32ELi256ELi256ELi128ELi16ELi16ELi8ELi8ELi32ELb0EE3RunILb1ELNS_10TailNumberE0ENSE_INSF_IJNSG_INSF_IJiiEEENSF_IJiSN_EEELb0EEENSV_IS2N_Lb0EEENST_IiEEEEENSF_IJS14_S2E_NS5_IJLi1EEEEEEENSF_IJNS5_IJLi1ELi2EEEENS5_IJLi3ELi4EEEES17_EEENS5_IJLi3ELi5ELi4EEEElEES1O_NS_35ThreadGroupTensorSliceTransfer_v4r1INS_15ThisThreadBlockILi256EEENS_16tensor_operation12element_wise11PassThroughES35_LNS_25InMemoryDataOperationEnumE0ENS5_IJLi8ELi256ELi16EEEENS5_IJLi8ELi32ELi1EEEENS5_IJLi1ELi0ELi2EEEESC_SC_RKS2Z_KS1O_S39_NS5_IJLi0ELi1ELi2EEEELi2ELi2ELi16ELi16ELi1ELi1ELb0ELb1ELi2EiEENS_13DynamicBufferILNS_16AddressSpaceEnumE1EKSC_lLb1ELNS_22AmdBufferCoherenceEnumE0EiEENSF_IJNS3F_ILS3G_2ESC_S1N_Lb1ELS3I_0EiEES3K_EEENSF_IJiiiEEENSE_INSF_IJNSG_INSF_IJiiiiEEENSF_IJiiiSN_EEELb0EEEEEES1T_S1V_S1U_lEENS_32ThreadwiseTensorSliceTransfer_v2ISD_SD_RKS3R_KS1X_NS5_IJLi8ELi1ELi1ELi32EEEENS5_IJLi1ELi2ELi0ELi3EEEELi3ELi32ELi0ELb1ELb0ELb0EEENS3F_ILS3G_1EKSD_lLb1ELS3I_0EiEENSF_IJNS_12StaticBufferILS3G_4ESD_Li256ELb1EEES42_EEES3N_NS_25StaticBufferTupleOfVectorILS3G_4EfLi64ELi4ELb1ELb0EEEEEvRKT1_RKT2_RT3_RKT4_RT5_RKT6_RKT7_RT8_RKT9_RT10_RKT11_RT12_iENKUlT_T0_E_clISN_NSH_IiLi0EEEEEDaS51_S52_ENKUlS51_E_clINSH_IiLi3EEEEEDaS51_EUlS51_E_EEvS51_EUlS51_E_EEvS51_
                                        ; -- End function
	.section	.AMDGPU.csdata,"",@progbits
; Function info:
; codeLenInByte = 133608
; NumSgprs: 36
; NumVgprs: 26
; NumAgprs: 4
; TotalNumVgprs: 32
; ScratchSize: 0
; MemoryBound: 1
	.text
	.p2align	2                               ; -- Begin function _ZNK2ck6detail7applierIiJLi0ELi1ELi2ELi3ELi4ELi5ELi6ELi7EEEclIZNKS_11static_fordINS_8SequenceIJLi1ELi8EEEENS5_IJLi0ELi1EEEEEclIZZZNKS_52BlockwiseGemmXdlops_pipeline_bpreshuffle_bdequant_v3ILNS_26BlockGemmPipelineSchedulerE0ELi256ENS_9f8_fnuz_tENS_7pk_i4_tESC_fNS_16TensorDescriptorINS_5TupleIJNS_5EmbedINSF_IJNS_17integral_constantIiLi8EEENSH_IiLi256EEENSH_IiLi16EEEEEENSF_IJSK_NSH_IiLi128EEENSH_IiLi1EEEEEELb0EEENS_3XorINSF_IJSJ_SI_EEELb1EEENS_11PassThroughISK_EENS_7UnMergeINSF_IJSI_SN_EEELb0EEENST_ISJ_EESU_NST_ISI_EENS_21Merge_v3_division_modINSF_IJSJ_SN_EEEEESU_EEENSF_IJNS5_IJLi0EEEENS5_IJLi2ELi1EEEENS5_IJLi3EEEENS5_IJLi5EEEENS5_IJLi4EEEENS5_IJLi6EEEENS5_IJLi7EEEENS5_IJLi9ELi8EEEENS5_IJLi10EEEEEEENSF_IJNS5_IJLi1ELi2ELi3EEEENS5_IJLi4ELi5EEEES19_NS5_IJLi7ELi8EEEENS5_IJLi9EEEES1C_NS5_IJLi11EEEENS5_IJLi12EEEENS5_IJLi13EEEEEEENS5_IJLi11ELi12ELi13EEEENSH_IlLl32768EEEEENSE_INSF_IJNSV_INSF_IJSI_SN_SN_NSH_IiLi32EEEEEELb0EEEEEENSF_IJS14_EEENSF_IJNS5_IJLi1ELi2ELi3ELi4EEEEEEES1U_NSH_IlLl256EEEEENSE_INSF_IJSP_SS_SU_SX_SY_SU_SZ_S12_SU_NS10_INSF_IJSI_SK_EEEEENSV_INSF_IJSI_NSH_IiLi2EEESK_EEELb0EEEEEENSF_IJS14_S15_S16_S17_S18_S19_S1A_S1B_S1C_NS5_IJLi11ELi13EEEES1J_EEENSF_IJS1E_S1F_S19_S1G_S1H_S1C_S1I_S1J_S1K_NS5_IJLi14EEEENS5_IJLi15ELi16ELi17EEEEEEENS5_IJLi15ELi16ELi17ELi14EEEES1N_EENSE_INSF_IJS1R_NS10_ISW_EES22_EEENSF_IJS14_NS5_IJLi1ELi3EEEENS5_IJLi2EEEEEEENSF_IJS1U_S17_NS5_IJLi6ELi7ELi8EEEEEEENS5_IJLi6ELi7ELi8ELi5EEEES1W_EELi16ELi32ELi256ELi256ELi128ELi16ELi16ELi8ELi8ELi32ELb0EE3RunILb1ELNS_10TailNumberE0ENSE_INSF_IJNSG_INSF_IJiiEEENSF_IJiSN_EEELb0EEENSV_IS2N_Lb0EEENST_IiEEEEENSF_IJS14_S2E_NS5_IJLi1EEEEEEENSF_IJNS5_IJLi1ELi2EEEENS5_IJLi3ELi4EEEES17_EEENS5_IJLi3ELi5ELi4EEEElEES1O_NS_35ThreadGroupTensorSliceTransfer_v4r1INS_15ThisThreadBlockILi256EEENS_16tensor_operation12element_wise11PassThroughES35_LNS_25InMemoryDataOperationEnumE0ENS5_IJLi8ELi256ELi16EEEENS5_IJLi8ELi32ELi1EEEENS5_IJLi1ELi0ELi2EEEESC_SC_RKS2Z_KS1O_S39_NS5_IJLi0ELi1ELi2EEEELi2ELi2ELi16ELi16ELi1ELi1ELb0ELb1ELi2EiEENS_13DynamicBufferILNS_16AddressSpaceEnumE1EKSC_lLb1ELNS_22AmdBufferCoherenceEnumE0EiEENSF_IJNS3F_ILS3G_2ESC_S1N_Lb1ELS3I_0EiEES3K_EEENSF_IJiiiEEENSE_INSF_IJNSG_INSF_IJiiiiEEENSF_IJiiiSN_EEELb0EEEEEES1T_S1V_S1U_lEENS_32ThreadwiseTensorSliceTransfer_v2ISD_SD_RKS3R_KS1X_NS5_IJLi8ELi1ELi1ELi32EEEENS5_IJLi1ELi2ELi0ELi3EEEELi3ELi32ELi0ELb1ELb0ELb0EEENS3F_ILS3G_1EKSD_lLb1ELS3I_0EiEENSF_IJNS_12StaticBufferILS3G_4ESD_Li256ELb1EEES42_EEES3N_NS_25StaticBufferTupleOfVectorILS3G_4EfLi64ELi4ELb1ELb0EEEEEvRKT1_RKT2_RT3_RKT4_RT5_RKT6_RKT7_RT8_RKT9_RT10_RKT11_RT12_iENKUlT_T0_E_clISN_NSH_IiLi0EEEEEDaS51_S52_ENKUlS51_E_clINSH_IiLi4EEEEEDaS51_EUlS51_E_EEvS51_EUlS51_E_EEvS51_
	.type	_ZNK2ck6detail7applierIiJLi0ELi1ELi2ELi3ELi4ELi5ELi6ELi7EEEclIZNKS_11static_fordINS_8SequenceIJLi1ELi8EEEENS5_IJLi0ELi1EEEEEclIZZZNKS_52BlockwiseGemmXdlops_pipeline_bpreshuffle_bdequant_v3ILNS_26BlockGemmPipelineSchedulerE0ELi256ENS_9f8_fnuz_tENS_7pk_i4_tESC_fNS_16TensorDescriptorINS_5TupleIJNS_5EmbedINSF_IJNS_17integral_constantIiLi8EEENSH_IiLi256EEENSH_IiLi16EEEEEENSF_IJSK_NSH_IiLi128EEENSH_IiLi1EEEEEELb0EEENS_3XorINSF_IJSJ_SI_EEELb1EEENS_11PassThroughISK_EENS_7UnMergeINSF_IJSI_SN_EEELb0EEENST_ISJ_EESU_NST_ISI_EENS_21Merge_v3_division_modINSF_IJSJ_SN_EEEEESU_EEENSF_IJNS5_IJLi0EEEENS5_IJLi2ELi1EEEENS5_IJLi3EEEENS5_IJLi5EEEENS5_IJLi4EEEENS5_IJLi6EEEENS5_IJLi7EEEENS5_IJLi9ELi8EEEENS5_IJLi10EEEEEEENSF_IJNS5_IJLi1ELi2ELi3EEEENS5_IJLi4ELi5EEEES19_NS5_IJLi7ELi8EEEENS5_IJLi9EEEES1C_NS5_IJLi11EEEENS5_IJLi12EEEENS5_IJLi13EEEEEEENS5_IJLi11ELi12ELi13EEEENSH_IlLl32768EEEEENSE_INSF_IJNSV_INSF_IJSI_SN_SN_NSH_IiLi32EEEEEELb0EEEEEENSF_IJS14_EEENSF_IJNS5_IJLi1ELi2ELi3ELi4EEEEEEES1U_NSH_IlLl256EEEEENSE_INSF_IJSP_SS_SU_SX_SY_SU_SZ_S12_SU_NS10_INSF_IJSI_SK_EEEEENSV_INSF_IJSI_NSH_IiLi2EEESK_EEELb0EEEEEENSF_IJS14_S15_S16_S17_S18_S19_S1A_S1B_S1C_NS5_IJLi11ELi13EEEES1J_EEENSF_IJS1E_S1F_S19_S1G_S1H_S1C_S1I_S1J_S1K_NS5_IJLi14EEEENS5_IJLi15ELi16ELi17EEEEEEENS5_IJLi15ELi16ELi17ELi14EEEES1N_EENSE_INSF_IJS1R_NS10_ISW_EES22_EEENSF_IJS14_NS5_IJLi1ELi3EEEENS5_IJLi2EEEEEEENSF_IJS1U_S17_NS5_IJLi6ELi7ELi8EEEEEEENS5_IJLi6ELi7ELi8ELi5EEEES1W_EELi16ELi32ELi256ELi256ELi128ELi16ELi16ELi8ELi8ELi32ELb0EE3RunILb1ELNS_10TailNumberE0ENSE_INSF_IJNSG_INSF_IJiiEEENSF_IJiSN_EEELb0EEENSV_IS2N_Lb0EEENST_IiEEEEENSF_IJS14_S2E_NS5_IJLi1EEEEEEENSF_IJNS5_IJLi1ELi2EEEENS5_IJLi3ELi4EEEES17_EEENS5_IJLi3ELi5ELi4EEEElEES1O_NS_35ThreadGroupTensorSliceTransfer_v4r1INS_15ThisThreadBlockILi256EEENS_16tensor_operation12element_wise11PassThroughES35_LNS_25InMemoryDataOperationEnumE0ENS5_IJLi8ELi256ELi16EEEENS5_IJLi8ELi32ELi1EEEENS5_IJLi1ELi0ELi2EEEESC_SC_RKS2Z_KS1O_S39_NS5_IJLi0ELi1ELi2EEEELi2ELi2ELi16ELi16ELi1ELi1ELb0ELb1ELi2EiEENS_13DynamicBufferILNS_16AddressSpaceEnumE1EKSC_lLb1ELNS_22AmdBufferCoherenceEnumE0EiEENSF_IJNS3F_ILS3G_2ESC_S1N_Lb1ELS3I_0EiEES3K_EEENSF_IJiiiEEENSE_INSF_IJNSG_INSF_IJiiiiEEENSF_IJiiiSN_EEELb0EEEEEES1T_S1V_S1U_lEENS_32ThreadwiseTensorSliceTransfer_v2ISD_SD_RKS3R_KS1X_NS5_IJLi8ELi1ELi1ELi32EEEENS5_IJLi1ELi2ELi0ELi3EEEELi3ELi32ELi0ELb1ELb0ELb0EEENS3F_ILS3G_1EKSD_lLb1ELS3I_0EiEENSF_IJNS_12StaticBufferILS3G_4ESD_Li256ELb1EEES42_EEES3N_NS_25StaticBufferTupleOfVectorILS3G_4EfLi64ELi4ELb1ELb0EEEEEvRKT1_RKT2_RT3_RKT4_RT5_RKT6_RKT7_RT8_RKT9_RT10_RKT11_RT12_iENKUlT_T0_E_clISN_NSH_IiLi0EEEEEDaS51_S52_ENKUlS51_E_clINSH_IiLi4EEEEEDaS51_EUlS51_E_EEvS51_EUlS51_E_EEvS51_,@function
_ZNK2ck6detail7applierIiJLi0ELi1ELi2ELi3ELi4ELi5ELi6ELi7EEEclIZNKS_11static_fordINS_8SequenceIJLi1ELi8EEEENS5_IJLi0ELi1EEEEEclIZZZNKS_52BlockwiseGemmXdlops_pipeline_bpreshuffle_bdequant_v3ILNS_26BlockGemmPipelineSchedulerE0ELi256ENS_9f8_fnuz_tENS_7pk_i4_tESC_fNS_16TensorDescriptorINS_5TupleIJNS_5EmbedINSF_IJNS_17integral_constantIiLi8EEENSH_IiLi256EEENSH_IiLi16EEEEEENSF_IJSK_NSH_IiLi128EEENSH_IiLi1EEEEEELb0EEENS_3XorINSF_IJSJ_SI_EEELb1EEENS_11PassThroughISK_EENS_7UnMergeINSF_IJSI_SN_EEELb0EEENST_ISJ_EESU_NST_ISI_EENS_21Merge_v3_division_modINSF_IJSJ_SN_EEEEESU_EEENSF_IJNS5_IJLi0EEEENS5_IJLi2ELi1EEEENS5_IJLi3EEEENS5_IJLi5EEEENS5_IJLi4EEEENS5_IJLi6EEEENS5_IJLi7EEEENS5_IJLi9ELi8EEEENS5_IJLi10EEEEEEENSF_IJNS5_IJLi1ELi2ELi3EEEENS5_IJLi4ELi5EEEES19_NS5_IJLi7ELi8EEEENS5_IJLi9EEEES1C_NS5_IJLi11EEEENS5_IJLi12EEEENS5_IJLi13EEEEEEENS5_IJLi11ELi12ELi13EEEENSH_IlLl32768EEEEENSE_INSF_IJNSV_INSF_IJSI_SN_SN_NSH_IiLi32EEEEEELb0EEEEEENSF_IJS14_EEENSF_IJNS5_IJLi1ELi2ELi3ELi4EEEEEEES1U_NSH_IlLl256EEEEENSE_INSF_IJSP_SS_SU_SX_SY_SU_SZ_S12_SU_NS10_INSF_IJSI_SK_EEEEENSV_INSF_IJSI_NSH_IiLi2EEESK_EEELb0EEEEEENSF_IJS14_S15_S16_S17_S18_S19_S1A_S1B_S1C_NS5_IJLi11ELi13EEEES1J_EEENSF_IJS1E_S1F_S19_S1G_S1H_S1C_S1I_S1J_S1K_NS5_IJLi14EEEENS5_IJLi15ELi16ELi17EEEEEEENS5_IJLi15ELi16ELi17ELi14EEEES1N_EENSE_INSF_IJS1R_NS10_ISW_EES22_EEENSF_IJS14_NS5_IJLi1ELi3EEEENS5_IJLi2EEEEEEENSF_IJS1U_S17_NS5_IJLi6ELi7ELi8EEEEEEENS5_IJLi6ELi7ELi8ELi5EEEES1W_EELi16ELi32ELi256ELi256ELi128ELi16ELi16ELi8ELi8ELi32ELb0EE3RunILb1ELNS_10TailNumberE0ENSE_INSF_IJNSG_INSF_IJiiEEENSF_IJiSN_EEELb0EEENSV_IS2N_Lb0EEENST_IiEEEEENSF_IJS14_S2E_NS5_IJLi1EEEEEEENSF_IJNS5_IJLi1ELi2EEEENS5_IJLi3ELi4EEEES17_EEENS5_IJLi3ELi5ELi4EEEElEES1O_NS_35ThreadGroupTensorSliceTransfer_v4r1INS_15ThisThreadBlockILi256EEENS_16tensor_operation12element_wise11PassThroughES35_LNS_25InMemoryDataOperationEnumE0ENS5_IJLi8ELi256ELi16EEEENS5_IJLi8ELi32ELi1EEEENS5_IJLi1ELi0ELi2EEEESC_SC_RKS2Z_KS1O_S39_NS5_IJLi0ELi1ELi2EEEELi2ELi2ELi16ELi16ELi1ELi1ELb0ELb1ELi2EiEENS_13DynamicBufferILNS_16AddressSpaceEnumE1EKSC_lLb1ELNS_22AmdBufferCoherenceEnumE0EiEENSF_IJNS3F_ILS3G_2ESC_S1N_Lb1ELS3I_0EiEES3K_EEENSF_IJiiiEEENSE_INSF_IJNSG_INSF_IJiiiiEEENSF_IJiiiSN_EEELb0EEEEEES1T_S1V_S1U_lEENS_32ThreadwiseTensorSliceTransfer_v2ISD_SD_RKS3R_KS1X_NS5_IJLi8ELi1ELi1ELi32EEEENS5_IJLi1ELi2ELi0ELi3EEEELi3ELi32ELi0ELb1ELb0ELb0EEENS3F_ILS3G_1EKSD_lLb1ELS3I_0EiEENSF_IJNS_12StaticBufferILS3G_4ESD_Li256ELb1EEES42_EEES3N_NS_25StaticBufferTupleOfVectorILS3G_4EfLi64ELi4ELb1ELb0EEEEEvRKT1_RKT2_RT3_RKT4_RT5_RKT6_RKT7_RT8_RKT9_RT10_RKT11_RT12_iENKUlT_T0_E_clISN_NSH_IiLi0EEEEEDaS51_S52_ENKUlS51_E_clINSH_IiLi4EEEEEDaS51_EUlS51_E_EEvS51_EUlS51_E_EEvS51_: ; @_ZNK2ck6detail7applierIiJLi0ELi1ELi2ELi3ELi4ELi5ELi6ELi7EEEclIZNKS_11static_fordINS_8SequenceIJLi1ELi8EEEENS5_IJLi0ELi1EEEEEclIZZZNKS_52BlockwiseGemmXdlops_pipeline_bpreshuffle_bdequant_v3ILNS_26BlockGemmPipelineSchedulerE0ELi256ENS_9f8_fnuz_tENS_7pk_i4_tESC_fNS_16TensorDescriptorINS_5TupleIJNS_5EmbedINSF_IJNS_17integral_constantIiLi8EEENSH_IiLi256EEENSH_IiLi16EEEEEENSF_IJSK_NSH_IiLi128EEENSH_IiLi1EEEEEELb0EEENS_3XorINSF_IJSJ_SI_EEELb1EEENS_11PassThroughISK_EENS_7UnMergeINSF_IJSI_SN_EEELb0EEENST_ISJ_EESU_NST_ISI_EENS_21Merge_v3_division_modINSF_IJSJ_SN_EEEEESU_EEENSF_IJNS5_IJLi0EEEENS5_IJLi2ELi1EEEENS5_IJLi3EEEENS5_IJLi5EEEENS5_IJLi4EEEENS5_IJLi6EEEENS5_IJLi7EEEENS5_IJLi9ELi8EEEENS5_IJLi10EEEEEEENSF_IJNS5_IJLi1ELi2ELi3EEEENS5_IJLi4ELi5EEEES19_NS5_IJLi7ELi8EEEENS5_IJLi9EEEES1C_NS5_IJLi11EEEENS5_IJLi12EEEENS5_IJLi13EEEEEEENS5_IJLi11ELi12ELi13EEEENSH_IlLl32768EEEEENSE_INSF_IJNSV_INSF_IJSI_SN_SN_NSH_IiLi32EEEEEELb0EEEEEENSF_IJS14_EEENSF_IJNS5_IJLi1ELi2ELi3ELi4EEEEEEES1U_NSH_IlLl256EEEEENSE_INSF_IJSP_SS_SU_SX_SY_SU_SZ_S12_SU_NS10_INSF_IJSI_SK_EEEEENSV_INSF_IJSI_NSH_IiLi2EEESK_EEELb0EEEEEENSF_IJS14_S15_S16_S17_S18_S19_S1A_S1B_S1C_NS5_IJLi11ELi13EEEES1J_EEENSF_IJS1E_S1F_S19_S1G_S1H_S1C_S1I_S1J_S1K_NS5_IJLi14EEEENS5_IJLi15ELi16ELi17EEEEEEENS5_IJLi15ELi16ELi17ELi14EEEES1N_EENSE_INSF_IJS1R_NS10_ISW_EES22_EEENSF_IJS14_NS5_IJLi1ELi3EEEENS5_IJLi2EEEEEEENSF_IJS1U_S17_NS5_IJLi6ELi7ELi8EEEEEEENS5_IJLi6ELi7ELi8ELi5EEEES1W_EELi16ELi32ELi256ELi256ELi128ELi16ELi16ELi8ELi8ELi32ELb0EE3RunILb1ELNS_10TailNumberE0ENSE_INSF_IJNSG_INSF_IJiiEEENSF_IJiSN_EEELb0EEENSV_IS2N_Lb0EEENST_IiEEEEENSF_IJS14_S2E_NS5_IJLi1EEEEEEENSF_IJNS5_IJLi1ELi2EEEENS5_IJLi3ELi4EEEES17_EEENS5_IJLi3ELi5ELi4EEEElEES1O_NS_35ThreadGroupTensorSliceTransfer_v4r1INS_15ThisThreadBlockILi256EEENS_16tensor_operation12element_wise11PassThroughES35_LNS_25InMemoryDataOperationEnumE0ENS5_IJLi8ELi256ELi16EEEENS5_IJLi8ELi32ELi1EEEENS5_IJLi1ELi0ELi2EEEESC_SC_RKS2Z_KS1O_S39_NS5_IJLi0ELi1ELi2EEEELi2ELi2ELi16ELi16ELi1ELi1ELb0ELb1ELi2EiEENS_13DynamicBufferILNS_16AddressSpaceEnumE1EKSC_lLb1ELNS_22AmdBufferCoherenceEnumE0EiEENSF_IJNS3F_ILS3G_2ESC_S1N_Lb1ELS3I_0EiEES3K_EEENSF_IJiiiEEENSE_INSF_IJNSG_INSF_IJiiiiEEENSF_IJiiiSN_EEELb0EEEEEES1T_S1V_S1U_lEENS_32ThreadwiseTensorSliceTransfer_v2ISD_SD_RKS3R_KS1X_NS5_IJLi8ELi1ELi1ELi32EEEENS5_IJLi1ELi2ELi0ELi3EEEELi3ELi32ELi0ELb1ELb0ELb0EEENS3F_ILS3G_1EKSD_lLb1ELS3I_0EiEENSF_IJNS_12StaticBufferILS3G_4ESD_Li256ELb1EEES42_EEES3N_NS_25StaticBufferTupleOfVectorILS3G_4EfLi64ELi4ELb1ELb0EEEEEvRKT1_RKT2_RT3_RKT4_RT5_RKT6_RKT7_RT8_RKT9_RT10_RKT11_RT12_iENKUlT_T0_E_clISN_NSH_IiLi0EEEEEDaS51_S52_ENKUlS51_E_clINSH_IiLi4EEEEEDaS51_EUlS51_E_EEvS51_EUlS51_E_EEvS51_
; %bb.0:
	s_waitcnt vmcnt(0) expcnt(0) lgkmcnt(0)
	flat_load_dwordx4 v[20:23], v[0:1] offset:16
	flat_load_dwordx2 v[18:19], v[0:1] offset:32
	s_movk_i32 s4, 0x7f
                                        ; implicit-def: $sgpr10
	s_waitcnt vmcnt(0) lgkmcnt(0)
	flat_load_dwordx4 v[14:17], v[20:21]
	flat_load_dwordx4 v[6:9], v[20:21] offset:16
	flat_load_dwordx4 v[10:13], v[22:23] offset:256
	;; [unrolled: 1-line block ×3, first 2 shown]
	s_waitcnt vmcnt(0) lgkmcnt(0)
	v_cmp_gt_i16_sdwa s[6:7], v14, s4 src0_sel:BYTE_0 src1_sel:DWORD
	s_mov_b64 s[4:5], 0
	s_and_saveexec_b64 s[8:9], s[6:7]
	s_xor_b64 s[6:7], exec, s[8:9]
	s_cbranch_execnz .LBB14_2049
; %bb.1:
	s_or_saveexec_b64 s[6:7], s[6:7]
	v_mov_b32_e32 v20, s10
	s_xor_b64 exec, exec, s[6:7]
	s_cbranch_execnz .LBB14_2052
.LBB14_2:
	s_or_b64 exec, exec, s[6:7]
	s_and_saveexec_b64 s[6:7], s[4:5]
	s_cbranch_execz .LBB14_4
.LBB14_3:
	v_and_b32_e32 v20, 7, v14
	v_ffbh_u32_e32 v22, v20
	v_min_u32_e32 v22, 32, v22
	v_lshrrev_b16_e32 v21, 3, v14
	v_subrev_u32_e32 v23, 28, v22
	v_and_b32_e32 v21, 15, v21
	v_lshlrev_b32_e32 v23, v23, v14
	v_sub_u32_e32 v22, 29, v22
	v_and_b32_e32 v23, 7, v23
	v_cmp_eq_u16_e32 vcc, 0, v21
	v_cndmask_b32_e32 v20, v20, v23, vcc
	v_cndmask_b32_e32 v21, v21, v22, vcc
	v_lshlrev_b32_e32 v22, 24, v14
	v_mov_b32_e32 v23, 0x3b800000
	v_lshlrev_b32_e32 v20, 20, v20
	v_and_b32_e32 v22, 0x80000000, v22
	v_lshl_add_u32 v21, v21, 23, v23
	v_or3_b32 v20, v22, v21, v20
.LBB14_4:
	s_or_b64 exec, exec, s[6:7]
	s_movk_i32 s4, 0x7f
	v_cmp_gt_i16_sdwa s[6:7], v10, s4 src0_sel:BYTE_0 src1_sel:DWORD
	s_mov_b64 s[4:5], 0
                                        ; implicit-def: $sgpr10
	s_and_saveexec_b64 s[8:9], s[6:7]
	s_xor_b64 s[6:7], exec, s[8:9]
	s_cbranch_execnz .LBB14_2053
; %bb.5:
	s_or_saveexec_b64 s[6:7], s[6:7]
	v_mov_b32_e32 v21, s10
	s_xor_b64 exec, exec, s[6:7]
	s_cbranch_execnz .LBB14_2056
.LBB14_6:
	s_or_b64 exec, exec, s[6:7]
	s_and_saveexec_b64 s[6:7], s[4:5]
	s_cbranch_execz .LBB14_8
.LBB14_7:
	v_and_b32_e32 v21, 7, v10
	v_ffbh_u32_e32 v23, v21
	v_min_u32_e32 v23, 32, v23
	v_lshrrev_b16_e32 v22, 3, v10
	v_subrev_u32_e32 v24, 28, v23
	v_and_b32_e32 v22, 15, v22
	v_lshlrev_b32_e32 v24, v24, v10
	v_sub_u32_e32 v23, 29, v23
	v_and_b32_e32 v24, 7, v24
	v_cmp_eq_u16_e32 vcc, 0, v22
	v_cndmask_b32_e32 v21, v21, v24, vcc
	v_cndmask_b32_e32 v22, v22, v23, vcc
	v_lshlrev_b32_e32 v23, 24, v10
	v_mov_b32_e32 v24, 0x3b800000
	v_lshlrev_b32_e32 v21, 20, v21
	v_and_b32_e32 v23, 0x80000000, v23
	v_lshl_add_u32 v22, v22, 23, v24
	v_or3_b32 v21, v23, v22, v21
.LBB14_8:
	s_or_b64 exec, exec, s[6:7]
	flat_load_dwordx4 a[0:3], v[18:19] offset:512
	s_movk_i32 s4, 0x7f
                                        ; implicit-def: $sgpr10
	s_waitcnt vmcnt(0) lgkmcnt(0)
	v_mfma_f32_16x16x4f32 a[0:3], v20, v21, a[0:3]
	v_lshrrev_b32_e32 v21, 8, v14
	v_cmp_gt_i16_sdwa s[6:7], v21, s4 src0_sel:BYTE_0 src1_sel:DWORD
	s_mov_b64 s[4:5], 0
	s_and_saveexec_b64 s[8:9], s[6:7]
	s_xor_b64 s[6:7], exec, s[8:9]
	s_cbranch_execnz .LBB14_2057
; %bb.9:
	s_or_saveexec_b64 s[6:7], s[6:7]
	v_mov_b32_e32 v20, s10
	s_xor_b64 exec, exec, s[6:7]
	s_cbranch_execnz .LBB14_2060
.LBB14_10:
	s_or_b64 exec, exec, s[6:7]
	s_and_saveexec_b64 s[6:7], s[4:5]
	s_cbranch_execz .LBB14_12
.LBB14_11:
	v_bfe_u32 v20, v14, 8, 3
	v_ffbh_u32_e32 v23, v20
	v_min_u32_e32 v23, 32, v23
	v_lshrrev_b16_e32 v22, 3, v21
	v_subrev_u32_e32 v24, 28, v23
	v_and_b32_e32 v22, 15, v22
	v_lshlrev_b32_e32 v21, v24, v21
	v_sub_u32_e32 v23, 29, v23
	v_and_b32_e32 v21, 7, v21
	v_cmp_eq_u16_e32 vcc, 0, v22
	v_cndmask_b32_e32 v20, v20, v21, vcc
	v_cndmask_b32_e32 v21, v22, v23, vcc
	v_lshlrev_b32_e32 v22, 16, v14
	v_mov_b32_e32 v23, 0x3b800000
	v_lshlrev_b32_e32 v20, 20, v20
	v_and_b32_e32 v22, 0x80000000, v22
	v_lshl_add_u32 v21, v21, 23, v23
	v_or3_b32 v20, v22, v21, v20
.LBB14_12:
	s_or_b64 exec, exec, s[6:7]
	v_lshrrev_b32_e32 v21, 8, v10
	s_movk_i32 s4, 0x7f
	v_cmp_gt_i16_sdwa s[6:7], v21, s4 src0_sel:BYTE_0 src1_sel:DWORD
	s_mov_b64 s[4:5], 0
                                        ; implicit-def: $sgpr10
	s_and_saveexec_b64 s[8:9], s[6:7]
	s_xor_b64 s[6:7], exec, s[8:9]
	s_cbranch_execnz .LBB14_2061
; %bb.13:
	s_or_saveexec_b64 s[6:7], s[6:7]
	v_mov_b32_e32 v22, s10
	s_xor_b64 exec, exec, s[6:7]
	s_cbranch_execnz .LBB14_2064
.LBB14_14:
	s_or_b64 exec, exec, s[6:7]
	s_and_saveexec_b64 s[6:7], s[4:5]
	s_cbranch_execz .LBB14_16
.LBB14_15:
	v_bfe_u32 v22, v10, 8, 3
	v_ffbh_u32_e32 v24, v22
	v_min_u32_e32 v24, 32, v24
	v_lshrrev_b16_e32 v23, 3, v21
	v_subrev_u32_e32 v25, 28, v24
	v_and_b32_e32 v23, 15, v23
	v_lshlrev_b32_e32 v21, v25, v21
	v_sub_u32_e32 v24, 29, v24
	v_and_b32_e32 v21, 7, v21
	v_cmp_eq_u16_e32 vcc, 0, v23
	v_cndmask_b32_e32 v21, v22, v21, vcc
	v_cndmask_b32_e32 v22, v23, v24, vcc
	v_lshlrev_b32_e32 v23, 16, v10
	v_mov_b32_e32 v24, 0x3b800000
	v_lshlrev_b32_e32 v21, 20, v21
	v_and_b32_e32 v23, 0x80000000, v23
	v_lshl_add_u32 v22, v22, 23, v24
	v_or3_b32 v22, v23, v22, v21
.LBB14_16:
	s_or_b64 exec, exec, s[6:7]
	s_nop 0
	v_mfma_f32_16x16x4f32 a[0:3], v20, v22, a[0:3]
	s_movk_i32 s4, 0xff
	v_and_b32_sdwa v21, v14, s4 dst_sel:DWORD dst_unused:UNUSED_PAD src0_sel:WORD_1 src1_sel:DWORD
	s_movk_i32 s4, 0x7f
	v_cmp_lt_i16_e32 vcc, s4, v21
	s_mov_b64 s[4:5], 0
                                        ; implicit-def: $sgpr10
	s_and_saveexec_b64 s[6:7], vcc
	s_xor_b64 s[6:7], exec, s[6:7]
	s_cbranch_execnz .LBB14_2065
; %bb.17:
	s_or_saveexec_b64 s[6:7], s[6:7]
	v_mov_b32_e32 v20, s10
	s_xor_b64 exec, exec, s[6:7]
	s_cbranch_execnz .LBB14_2068
.LBB14_18:
	s_or_b64 exec, exec, s[6:7]
	s_and_saveexec_b64 s[6:7], s[4:5]
	s_cbranch_execz .LBB14_20
.LBB14_19:
	v_bfe_u32 v20, v14, 16, 3
	v_ffbh_u32_e32 v23, v20
	v_min_u32_e32 v23, 32, v23
	v_lshrrev_b32_e32 v21, 19, v14
	v_subrev_u32_e32 v24, 28, v23
	v_and_b32_e32 v21, 15, v21
	v_lshlrev_b32_sdwa v24, v24, v14 dst_sel:DWORD dst_unused:UNUSED_PAD src0_sel:DWORD src1_sel:WORD_1
	v_bfe_u32 v22, v14, 19, 4
	v_sub_u32_e32 v23, 29, v23
	v_and_b32_e32 v24, 7, v24
	v_cmp_eq_u16_e32 vcc, 0, v21
	v_cndmask_b32_e32 v20, v20, v24, vcc
	v_cndmask_b32_e32 v21, v22, v23, vcc
	v_lshlrev_b32_e32 v22, 8, v14
	v_mov_b32_e32 v23, 0x3b800000
	v_lshlrev_b32_e32 v20, 20, v20
	v_and_b32_e32 v22, 0x80000000, v22
	v_lshl_add_u32 v21, v21, 23, v23
	v_or3_b32 v20, v22, v21, v20
.LBB14_20:
	s_or_b64 exec, exec, s[6:7]
	s_movk_i32 s4, 0xff
	v_and_b32_sdwa v21, v10, s4 dst_sel:DWORD dst_unused:UNUSED_PAD src0_sel:WORD_1 src1_sel:DWORD
	s_movk_i32 s4, 0x7f
	v_cmp_lt_i16_e32 vcc, s4, v21
	s_mov_b64 s[4:5], 0
                                        ; implicit-def: $sgpr10
	s_and_saveexec_b64 s[6:7], vcc
	s_xor_b64 s[6:7], exec, s[6:7]
	s_cbranch_execnz .LBB14_2069
; %bb.21:
	s_or_saveexec_b64 s[6:7], s[6:7]
	v_mov_b32_e32 v22, s10
	s_xor_b64 exec, exec, s[6:7]
	s_cbranch_execnz .LBB14_2072
.LBB14_22:
	s_or_b64 exec, exec, s[6:7]
	s_and_saveexec_b64 s[6:7], s[4:5]
	s_cbranch_execz .LBB14_24
.LBB14_23:
	v_bfe_u32 v21, v10, 16, 3
	v_ffbh_u32_e32 v24, v21
	v_min_u32_e32 v24, 32, v24
	v_lshrrev_b32_e32 v22, 19, v10
	v_subrev_u32_e32 v25, 28, v24
	v_and_b32_e32 v22, 15, v22
	v_lshlrev_b32_sdwa v25, v25, v10 dst_sel:DWORD dst_unused:UNUSED_PAD src0_sel:DWORD src1_sel:WORD_1
	v_bfe_u32 v23, v10, 19, 4
	v_sub_u32_e32 v24, 29, v24
	v_and_b32_e32 v25, 7, v25
	v_cmp_eq_u16_e32 vcc, 0, v22
	v_cndmask_b32_e32 v21, v21, v25, vcc
	v_cndmask_b32_e32 v22, v23, v24, vcc
	v_lshlrev_b32_e32 v23, 8, v10
	v_mov_b32_e32 v24, 0x3b800000
	v_lshlrev_b32_e32 v21, 20, v21
	v_and_b32_e32 v23, 0x80000000, v23
	v_lshl_add_u32 v22, v22, 23, v24
	v_or3_b32 v22, v23, v22, v21
.LBB14_24:
	s_or_b64 exec, exec, s[6:7]
	s_nop 0
	v_mfma_f32_16x16x4f32 a[0:3], v20, v22, a[0:3]
	s_movk_i32 s4, 0x7f
	v_cmp_gt_i16_sdwa s[6:7], v14, s4 src0_sel:BYTE_3 src1_sel:DWORD
	s_mov_b64 s[4:5], 0
                                        ; implicit-def: $sgpr10
	s_and_saveexec_b64 s[8:9], s[6:7]
	s_xor_b64 s[6:7], exec, s[8:9]
	s_cbranch_execnz .LBB14_2073
; %bb.25:
	s_or_saveexec_b64 s[6:7], s[6:7]
	v_mov_b32_e32 v20, s10
	s_xor_b64 exec, exec, s[6:7]
	s_cbranch_execnz .LBB14_2076
.LBB14_26:
	s_or_b64 exec, exec, s[6:7]
	s_and_saveexec_b64 s[6:7], s[4:5]
	s_cbranch_execz .LBB14_28
.LBB14_27:
	v_bfe_u32 v20, v14, 24, 3
	v_ffbh_u32_e32 v24, v20
	v_min_u32_e32 v24, 32, v24
	v_lshrrev_b32_e32 v22, 27, v14
	v_subrev_u32_e32 v25, 28, v24
	v_and_b32_e32 v21, 0x80000000, v14
	v_and_b32_e32 v22, 15, v22
	v_bfe_u32 v23, v14, 27, 4
	v_lshlrev_b32_sdwa v14, v25, v14 dst_sel:DWORD dst_unused:UNUSED_PAD src0_sel:DWORD src1_sel:BYTE_3
	v_sub_u32_e32 v24, 29, v24
	v_and_b32_e32 v14, 7, v14
	v_cmp_eq_u16_e32 vcc, 0, v22
	v_cndmask_b32_e32 v14, v20, v14, vcc
	v_cndmask_b32_e32 v20, v23, v24, vcc
	v_mov_b32_e32 v22, 0x3b800000
	v_lshlrev_b32_e32 v14, 20, v14
	v_lshl_add_u32 v20, v20, 23, v22
	v_or3_b32 v20, v21, v20, v14
.LBB14_28:
	s_or_b64 exec, exec, s[6:7]
	s_movk_i32 s4, 0x7f
	v_cmp_gt_i16_sdwa s[6:7], v10, s4 src0_sel:BYTE_3 src1_sel:DWORD
	s_mov_b64 s[4:5], 0
                                        ; implicit-def: $sgpr10
	s_and_saveexec_b64 s[8:9], s[6:7]
	s_xor_b64 s[6:7], exec, s[8:9]
	s_cbranch_execnz .LBB14_2077
; %bb.29:
	s_or_saveexec_b64 s[6:7], s[6:7]
	v_mov_b32_e32 v14, s10
	s_xor_b64 exec, exec, s[6:7]
	s_cbranch_execnz .LBB14_2080
.LBB14_30:
	s_or_b64 exec, exec, s[6:7]
	s_and_saveexec_b64 s[6:7], s[4:5]
	s_cbranch_execz .LBB14_32
.LBB14_31:
	v_bfe_u32 v14, v10, 24, 3
	v_ffbh_u32_e32 v24, v14
	v_min_u32_e32 v24, 32, v24
	v_lshrrev_b32_e32 v22, 27, v10
	v_subrev_u32_e32 v25, 28, v24
	v_and_b32_e32 v21, 0x80000000, v10
	v_and_b32_e32 v22, 15, v22
	v_bfe_u32 v23, v10, 27, 4
	v_lshlrev_b32_sdwa v10, v25, v10 dst_sel:DWORD dst_unused:UNUSED_PAD src0_sel:DWORD src1_sel:BYTE_3
	v_sub_u32_e32 v24, 29, v24
	v_and_b32_e32 v10, 7, v10
	v_cmp_eq_u16_e32 vcc, 0, v22
	v_cndmask_b32_e32 v10, v14, v10, vcc
	v_cndmask_b32_e32 v14, v23, v24, vcc
	v_mov_b32_e32 v22, 0x3b800000
	v_lshlrev_b32_e32 v10, 20, v10
	v_lshl_add_u32 v14, v14, 23, v22
	v_or3_b32 v14, v21, v14, v10
.LBB14_32:
	s_or_b64 exec, exec, s[6:7]
	s_nop 0
	v_mfma_f32_16x16x4f32 a[0:3], v20, v14, a[0:3]
	s_movk_i32 s4, 0x7f
	v_cmp_gt_i16_sdwa s[6:7], v15, s4 src0_sel:BYTE_0 src1_sel:DWORD
	s_mov_b64 s[4:5], 0
                                        ; implicit-def: $sgpr10
	s_and_saveexec_b64 s[8:9], s[6:7]
	s_xor_b64 s[6:7], exec, s[8:9]
	s_cbranch_execnz .LBB14_2081
; %bb.33:
	s_or_saveexec_b64 s[6:7], s[6:7]
	v_mov_b32_e32 v10, s10
	s_xor_b64 exec, exec, s[6:7]
	s_cbranch_execnz .LBB14_2084
.LBB14_34:
	s_or_b64 exec, exec, s[6:7]
	s_and_saveexec_b64 s[6:7], s[4:5]
	s_cbranch_execz .LBB14_36
.LBB14_35:
	v_and_b32_e32 v10, 7, v15
	v_ffbh_u32_e32 v20, v10
	v_min_u32_e32 v20, 32, v20
	v_lshrrev_b16_e32 v14, 3, v15
	v_subrev_u32_e32 v21, 28, v20
	v_and_b32_e32 v14, 15, v14
	v_lshlrev_b32_e32 v21, v21, v15
	v_sub_u32_e32 v20, 29, v20
	v_and_b32_e32 v21, 7, v21
	v_cmp_eq_u16_e32 vcc, 0, v14
	v_cndmask_b32_e32 v10, v10, v21, vcc
	v_cndmask_b32_e32 v14, v14, v20, vcc
	v_lshlrev_b32_e32 v20, 24, v15
	v_mov_b32_e32 v21, 0x3b800000
	v_lshlrev_b32_e32 v10, 20, v10
	v_and_b32_e32 v20, 0x80000000, v20
	v_lshl_add_u32 v14, v14, 23, v21
	v_or3_b32 v10, v20, v14, v10
.LBB14_36:
	s_or_b64 exec, exec, s[6:7]
	s_movk_i32 s4, 0x7f
	v_cmp_gt_i16_sdwa s[6:7], v11, s4 src0_sel:BYTE_0 src1_sel:DWORD
	s_mov_b64 s[4:5], 0
                                        ; implicit-def: $sgpr10
	s_and_saveexec_b64 s[8:9], s[6:7]
	s_xor_b64 s[6:7], exec, s[8:9]
	s_cbranch_execnz .LBB14_2085
; %bb.37:
	s_or_saveexec_b64 s[6:7], s[6:7]
	v_mov_b32_e32 v14, s10
	s_xor_b64 exec, exec, s[6:7]
	s_cbranch_execnz .LBB14_2088
.LBB14_38:
	s_or_b64 exec, exec, s[6:7]
	s_and_saveexec_b64 s[6:7], s[4:5]
	s_cbranch_execz .LBB14_40
.LBB14_39:
	v_and_b32_e32 v14, 7, v11
	v_ffbh_u32_e32 v21, v14
	v_min_u32_e32 v21, 32, v21
	v_lshrrev_b16_e32 v20, 3, v11
	v_subrev_u32_e32 v22, 28, v21
	v_and_b32_e32 v20, 15, v20
	v_lshlrev_b32_e32 v22, v22, v11
	v_sub_u32_e32 v21, 29, v21
	v_and_b32_e32 v22, 7, v22
	v_cmp_eq_u16_e32 vcc, 0, v20
	v_cndmask_b32_e32 v14, v14, v22, vcc
	v_cndmask_b32_e32 v20, v20, v21, vcc
	v_lshlrev_b32_e32 v21, 24, v11
	v_mov_b32_e32 v22, 0x3b800000
	v_lshlrev_b32_e32 v14, 20, v14
	v_and_b32_e32 v21, 0x80000000, v21
	v_lshl_add_u32 v20, v20, 23, v22
	v_or3_b32 v14, v21, v20, v14
.LBB14_40:
	s_or_b64 exec, exec, s[6:7]
	s_nop 0
	v_mfma_f32_16x16x4f32 a[0:3], v10, v14, a[0:3]
	v_lshrrev_b32_e32 v14, 8, v15
	s_movk_i32 s4, 0x7f
	v_cmp_gt_i16_sdwa s[6:7], v14, s4 src0_sel:BYTE_0 src1_sel:DWORD
	s_mov_b64 s[4:5], 0
                                        ; implicit-def: $sgpr10
	s_and_saveexec_b64 s[8:9], s[6:7]
	s_xor_b64 s[6:7], exec, s[8:9]
	s_cbranch_execnz .LBB14_2089
; %bb.41:
	s_or_saveexec_b64 s[6:7], s[6:7]
	v_mov_b32_e32 v10, s10
	s_xor_b64 exec, exec, s[6:7]
	s_cbranch_execnz .LBB14_2092
.LBB14_42:
	s_or_b64 exec, exec, s[6:7]
	s_and_saveexec_b64 s[6:7], s[4:5]
	s_cbranch_execz .LBB14_44
.LBB14_43:
	v_bfe_u32 v10, v15, 8, 3
	v_ffbh_u32_e32 v21, v10
	v_min_u32_e32 v21, 32, v21
	v_lshrrev_b16_e32 v20, 3, v14
	v_subrev_u32_e32 v22, 28, v21
	v_and_b32_e32 v20, 15, v20
	v_lshlrev_b32_e32 v14, v22, v14
	v_sub_u32_e32 v21, 29, v21
	v_and_b32_e32 v14, 7, v14
	v_cmp_eq_u16_e32 vcc, 0, v20
	v_cndmask_b32_e32 v10, v10, v14, vcc
	v_cndmask_b32_e32 v14, v20, v21, vcc
	v_lshlrev_b32_e32 v20, 16, v15
	v_mov_b32_e32 v21, 0x3b800000
	v_lshlrev_b32_e32 v10, 20, v10
	v_and_b32_e32 v20, 0x80000000, v20
	v_lshl_add_u32 v14, v14, 23, v21
	v_or3_b32 v10, v20, v14, v10
.LBB14_44:
	s_or_b64 exec, exec, s[6:7]
	v_lshrrev_b32_e32 v14, 8, v11
	s_movk_i32 s4, 0x7f
	v_cmp_gt_i16_sdwa s[6:7], v14, s4 src0_sel:BYTE_0 src1_sel:DWORD
	s_mov_b64 s[4:5], 0
                                        ; implicit-def: $sgpr10
	s_and_saveexec_b64 s[8:9], s[6:7]
	s_xor_b64 s[6:7], exec, s[8:9]
	s_cbranch_execnz .LBB14_2093
; %bb.45:
	s_or_saveexec_b64 s[6:7], s[6:7]
	v_mov_b32_e32 v20, s10
	s_xor_b64 exec, exec, s[6:7]
	s_cbranch_execnz .LBB14_2096
.LBB14_46:
	s_or_b64 exec, exec, s[6:7]
	s_and_saveexec_b64 s[6:7], s[4:5]
	s_cbranch_execz .LBB14_48
.LBB14_47:
	v_bfe_u32 v20, v11, 8, 3
	v_ffbh_u32_e32 v22, v20
	v_min_u32_e32 v22, 32, v22
	v_lshrrev_b16_e32 v21, 3, v14
	v_subrev_u32_e32 v23, 28, v22
	v_and_b32_e32 v21, 15, v21
	v_lshlrev_b32_e32 v14, v23, v14
	v_sub_u32_e32 v22, 29, v22
	v_and_b32_e32 v14, 7, v14
	v_cmp_eq_u16_e32 vcc, 0, v21
	v_cndmask_b32_e32 v14, v20, v14, vcc
	v_cndmask_b32_e32 v20, v21, v22, vcc
	v_lshlrev_b32_e32 v21, 16, v11
	v_mov_b32_e32 v22, 0x3b800000
	v_lshlrev_b32_e32 v14, 20, v14
	v_and_b32_e32 v21, 0x80000000, v21
	v_lshl_add_u32 v20, v20, 23, v22
	v_or3_b32 v20, v21, v20, v14
.LBB14_48:
	s_or_b64 exec, exec, s[6:7]
	s_nop 0
	v_mfma_f32_16x16x4f32 a[0:3], v10, v20, a[0:3]
	s_movk_i32 s4, 0xff
	v_and_b32_sdwa v14, v15, s4 dst_sel:DWORD dst_unused:UNUSED_PAD src0_sel:WORD_1 src1_sel:DWORD
	s_movk_i32 s4, 0x7f
	v_cmp_lt_i16_e32 vcc, s4, v14
	s_mov_b64 s[4:5], 0
                                        ; implicit-def: $sgpr10
	s_and_saveexec_b64 s[6:7], vcc
	s_xor_b64 s[6:7], exec, s[6:7]
	s_cbranch_execnz .LBB14_2097
; %bb.49:
	s_or_saveexec_b64 s[6:7], s[6:7]
	v_mov_b32_e32 v10, s10
	s_xor_b64 exec, exec, s[6:7]
	s_cbranch_execnz .LBB14_2100
.LBB14_50:
	s_or_b64 exec, exec, s[6:7]
	s_and_saveexec_b64 s[6:7], s[4:5]
	s_cbranch_execz .LBB14_52
.LBB14_51:
	v_bfe_u32 v10, v15, 16, 3
	v_ffbh_u32_e32 v21, v10
	v_min_u32_e32 v21, 32, v21
	v_lshrrev_b32_e32 v14, 19, v15
	v_subrev_u32_e32 v22, 28, v21
	v_and_b32_e32 v14, 15, v14
	v_lshlrev_b32_sdwa v22, v22, v15 dst_sel:DWORD dst_unused:UNUSED_PAD src0_sel:DWORD src1_sel:WORD_1
	v_bfe_u32 v20, v15, 19, 4
	v_sub_u32_e32 v21, 29, v21
	v_and_b32_e32 v22, 7, v22
	v_cmp_eq_u16_e32 vcc, 0, v14
	v_cndmask_b32_e32 v10, v10, v22, vcc
	v_cndmask_b32_e32 v14, v20, v21, vcc
	v_lshlrev_b32_e32 v20, 8, v15
	v_mov_b32_e32 v21, 0x3b800000
	v_lshlrev_b32_e32 v10, 20, v10
	v_and_b32_e32 v20, 0x80000000, v20
	v_lshl_add_u32 v14, v14, 23, v21
	v_or3_b32 v10, v20, v14, v10
.LBB14_52:
	s_or_b64 exec, exec, s[6:7]
	s_movk_i32 s4, 0xff
	v_and_b32_sdwa v14, v11, s4 dst_sel:DWORD dst_unused:UNUSED_PAD src0_sel:WORD_1 src1_sel:DWORD
	s_movk_i32 s4, 0x7f
	v_cmp_lt_i16_e32 vcc, s4, v14
	s_mov_b64 s[4:5], 0
                                        ; implicit-def: $sgpr10
	s_and_saveexec_b64 s[6:7], vcc
	s_xor_b64 s[6:7], exec, s[6:7]
	s_cbranch_execnz .LBB14_2101
; %bb.53:
	s_or_saveexec_b64 s[6:7], s[6:7]
	v_mov_b32_e32 v20, s10
	s_xor_b64 exec, exec, s[6:7]
	s_cbranch_execnz .LBB14_2104
.LBB14_54:
	s_or_b64 exec, exec, s[6:7]
	s_and_saveexec_b64 s[6:7], s[4:5]
	s_cbranch_execz .LBB14_56
.LBB14_55:
	v_bfe_u32 v14, v11, 16, 3
	v_ffbh_u32_e32 v22, v14
	v_min_u32_e32 v22, 32, v22
	v_lshrrev_b32_e32 v20, 19, v11
	v_subrev_u32_e32 v23, 28, v22
	v_and_b32_e32 v20, 15, v20
	v_lshlrev_b32_sdwa v23, v23, v11 dst_sel:DWORD dst_unused:UNUSED_PAD src0_sel:DWORD src1_sel:WORD_1
	v_bfe_u32 v21, v11, 19, 4
	v_sub_u32_e32 v22, 29, v22
	v_and_b32_e32 v23, 7, v23
	v_cmp_eq_u16_e32 vcc, 0, v20
	v_cndmask_b32_e32 v14, v14, v23, vcc
	v_cndmask_b32_e32 v20, v21, v22, vcc
	v_lshlrev_b32_e32 v21, 8, v11
	v_mov_b32_e32 v22, 0x3b800000
	v_lshlrev_b32_e32 v14, 20, v14
	v_and_b32_e32 v21, 0x80000000, v21
	v_lshl_add_u32 v20, v20, 23, v22
	v_or3_b32 v20, v21, v20, v14
.LBB14_56:
	s_or_b64 exec, exec, s[6:7]
	s_nop 0
	v_mfma_f32_16x16x4f32 a[0:3], v10, v20, a[0:3]
	s_movk_i32 s4, 0x7f
	v_cmp_gt_i16_sdwa s[6:7], v15, s4 src0_sel:BYTE_3 src1_sel:DWORD
	s_mov_b64 s[4:5], 0
                                        ; implicit-def: $sgpr10
	s_and_saveexec_b64 s[8:9], s[6:7]
	s_xor_b64 s[6:7], exec, s[8:9]
	s_cbranch_execnz .LBB14_2105
; %bb.57:
	s_or_saveexec_b64 s[6:7], s[6:7]
	v_mov_b32_e32 v10, s10
	s_xor_b64 exec, exec, s[6:7]
	s_cbranch_execnz .LBB14_2108
.LBB14_58:
	s_or_b64 exec, exec, s[6:7]
	s_and_saveexec_b64 s[6:7], s[4:5]
	s_cbranch_execz .LBB14_60
.LBB14_59:
	v_bfe_u32 v10, v15, 24, 3
	v_ffbh_u32_e32 v22, v10
	v_min_u32_e32 v22, 32, v22
	v_lshrrev_b32_e32 v20, 27, v15
	v_subrev_u32_e32 v23, 28, v22
	v_and_b32_e32 v14, 0x80000000, v15
	v_and_b32_e32 v20, 15, v20
	v_bfe_u32 v21, v15, 27, 4
	v_lshlrev_b32_sdwa v15, v23, v15 dst_sel:DWORD dst_unused:UNUSED_PAD src0_sel:DWORD src1_sel:BYTE_3
	v_sub_u32_e32 v22, 29, v22
	v_and_b32_e32 v15, 7, v15
	v_cmp_eq_u16_e32 vcc, 0, v20
	v_cndmask_b32_e32 v10, v10, v15, vcc
	v_cndmask_b32_e32 v15, v21, v22, vcc
	v_mov_b32_e32 v20, 0x3b800000
	v_lshlrev_b32_e32 v10, 20, v10
	v_lshl_add_u32 v15, v15, 23, v20
	v_or3_b32 v10, v14, v15, v10
.LBB14_60:
	s_or_b64 exec, exec, s[6:7]
	s_movk_i32 s4, 0x7f
	v_cmp_gt_i16_sdwa s[6:7], v11, s4 src0_sel:BYTE_3 src1_sel:DWORD
	s_mov_b64 s[4:5], 0
                                        ; implicit-def: $sgpr10
	s_and_saveexec_b64 s[8:9], s[6:7]
	s_xor_b64 s[6:7], exec, s[8:9]
	s_cbranch_execnz .LBB14_2109
; %bb.61:
	s_or_saveexec_b64 s[6:7], s[6:7]
	v_mov_b32_e32 v14, s10
	s_xor_b64 exec, exec, s[6:7]
	s_cbranch_execnz .LBB14_2112
.LBB14_62:
	s_or_b64 exec, exec, s[6:7]
	s_and_saveexec_b64 s[6:7], s[4:5]
	s_cbranch_execz .LBB14_64
.LBB14_63:
	v_bfe_u32 v14, v11, 24, 3
	v_ffbh_u32_e32 v22, v14
	v_min_u32_e32 v22, 32, v22
	v_lshrrev_b32_e32 v20, 27, v11
	v_subrev_u32_e32 v23, 28, v22
	v_and_b32_e32 v15, 0x80000000, v11
	v_and_b32_e32 v20, 15, v20
	v_bfe_u32 v21, v11, 27, 4
	v_lshlrev_b32_sdwa v11, v23, v11 dst_sel:DWORD dst_unused:UNUSED_PAD src0_sel:DWORD src1_sel:BYTE_3
	v_sub_u32_e32 v22, 29, v22
	v_and_b32_e32 v11, 7, v11
	v_cmp_eq_u16_e32 vcc, 0, v20
	v_cndmask_b32_e32 v11, v14, v11, vcc
	v_cndmask_b32_e32 v14, v21, v22, vcc
	v_mov_b32_e32 v20, 0x3b800000
	v_lshlrev_b32_e32 v11, 20, v11
	v_lshl_add_u32 v14, v14, 23, v20
	v_or3_b32 v14, v15, v14, v11
.LBB14_64:
	s_or_b64 exec, exec, s[6:7]
	s_nop 0
	v_mfma_f32_16x16x4f32 a[0:3], v10, v14, a[0:3]
	s_movk_i32 s4, 0x7f
	v_cmp_gt_i16_sdwa s[6:7], v16, s4 src0_sel:BYTE_0 src1_sel:DWORD
	s_mov_b64 s[4:5], 0
                                        ; implicit-def: $sgpr10
	s_and_saveexec_b64 s[8:9], s[6:7]
	s_xor_b64 s[6:7], exec, s[8:9]
	s_cbranch_execnz .LBB14_2113
; %bb.65:
	s_or_saveexec_b64 s[6:7], s[6:7]
	v_mov_b32_e32 v10, s10
	s_xor_b64 exec, exec, s[6:7]
	s_cbranch_execnz .LBB14_2116
.LBB14_66:
	s_or_b64 exec, exec, s[6:7]
	s_and_saveexec_b64 s[6:7], s[4:5]
	s_cbranch_execz .LBB14_68
.LBB14_67:
	v_and_b32_e32 v10, 7, v16
	v_ffbh_u32_e32 v14, v10
	v_min_u32_e32 v14, 32, v14
	v_lshrrev_b16_e32 v11, 3, v16
	v_subrev_u32_e32 v15, 28, v14
	v_and_b32_e32 v11, 15, v11
	v_lshlrev_b32_e32 v15, v15, v16
	v_sub_u32_e32 v14, 29, v14
	v_and_b32_e32 v15, 7, v15
	v_cmp_eq_u16_e32 vcc, 0, v11
	v_cndmask_b32_e32 v10, v10, v15, vcc
	v_cndmask_b32_e32 v11, v11, v14, vcc
	v_lshlrev_b32_e32 v14, 24, v16
	v_mov_b32_e32 v15, 0x3b800000
	v_lshlrev_b32_e32 v10, 20, v10
	v_and_b32_e32 v14, 0x80000000, v14
	v_lshl_add_u32 v11, v11, 23, v15
	v_or3_b32 v10, v14, v11, v10
.LBB14_68:
	s_or_b64 exec, exec, s[6:7]
	s_movk_i32 s4, 0x7f
	v_cmp_gt_i16_sdwa s[6:7], v12, s4 src0_sel:BYTE_0 src1_sel:DWORD
	s_mov_b64 s[4:5], 0
                                        ; implicit-def: $sgpr10
	s_and_saveexec_b64 s[8:9], s[6:7]
	s_xor_b64 s[6:7], exec, s[8:9]
	s_cbranch_execnz .LBB14_2117
; %bb.69:
	s_or_saveexec_b64 s[6:7], s[6:7]
	v_mov_b32_e32 v11, s10
	s_xor_b64 exec, exec, s[6:7]
	s_cbranch_execnz .LBB14_2120
.LBB14_70:
	s_or_b64 exec, exec, s[6:7]
	s_and_saveexec_b64 s[6:7], s[4:5]
	s_cbranch_execz .LBB14_72
.LBB14_71:
	v_and_b32_e32 v11, 7, v12
	v_ffbh_u32_e32 v15, v11
	v_min_u32_e32 v15, 32, v15
	v_lshrrev_b16_e32 v14, 3, v12
	v_subrev_u32_e32 v20, 28, v15
	v_and_b32_e32 v14, 15, v14
	v_lshlrev_b32_e32 v20, v20, v12
	v_sub_u32_e32 v15, 29, v15
	v_and_b32_e32 v20, 7, v20
	v_cmp_eq_u16_e32 vcc, 0, v14
	v_cndmask_b32_e32 v11, v11, v20, vcc
	v_cndmask_b32_e32 v14, v14, v15, vcc
	v_lshlrev_b32_e32 v15, 24, v12
	v_mov_b32_e32 v20, 0x3b800000
	v_lshlrev_b32_e32 v11, 20, v11
	v_and_b32_e32 v15, 0x80000000, v15
	v_lshl_add_u32 v14, v14, 23, v20
	v_or3_b32 v11, v15, v14, v11
.LBB14_72:
	s_or_b64 exec, exec, s[6:7]
	s_nop 0
	v_mfma_f32_16x16x4f32 a[0:3], v10, v11, a[0:3]
	v_lshrrev_b32_e32 v11, 8, v16
	s_movk_i32 s4, 0x7f
	v_cmp_gt_i16_sdwa s[6:7], v11, s4 src0_sel:BYTE_0 src1_sel:DWORD
	s_mov_b64 s[4:5], 0
                                        ; implicit-def: $sgpr10
	s_and_saveexec_b64 s[8:9], s[6:7]
	s_xor_b64 s[6:7], exec, s[8:9]
	s_cbranch_execnz .LBB14_2121
; %bb.73:
	s_or_saveexec_b64 s[6:7], s[6:7]
	v_mov_b32_e32 v10, s10
	s_xor_b64 exec, exec, s[6:7]
	s_cbranch_execnz .LBB14_2124
.LBB14_74:
	s_or_b64 exec, exec, s[6:7]
	s_and_saveexec_b64 s[6:7], s[4:5]
	s_cbranch_execz .LBB14_76
.LBB14_75:
	v_bfe_u32 v10, v16, 8, 3
	v_ffbh_u32_e32 v15, v10
	v_min_u32_e32 v15, 32, v15
	v_lshrrev_b16_e32 v14, 3, v11
	v_subrev_u32_e32 v20, 28, v15
	v_and_b32_e32 v14, 15, v14
	v_lshlrev_b32_e32 v11, v20, v11
	v_sub_u32_e32 v15, 29, v15
	v_and_b32_e32 v11, 7, v11
	v_cmp_eq_u16_e32 vcc, 0, v14
	v_cndmask_b32_e32 v10, v10, v11, vcc
	v_cndmask_b32_e32 v11, v14, v15, vcc
	v_lshlrev_b32_e32 v14, 16, v16
	v_mov_b32_e32 v15, 0x3b800000
	v_lshlrev_b32_e32 v10, 20, v10
	v_and_b32_e32 v14, 0x80000000, v14
	v_lshl_add_u32 v11, v11, 23, v15
	v_or3_b32 v10, v14, v11, v10
.LBB14_76:
	s_or_b64 exec, exec, s[6:7]
	v_lshrrev_b32_e32 v11, 8, v12
	s_movk_i32 s4, 0x7f
	v_cmp_gt_i16_sdwa s[6:7], v11, s4 src0_sel:BYTE_0 src1_sel:DWORD
	s_mov_b64 s[4:5], 0
                                        ; implicit-def: $sgpr10
	s_and_saveexec_b64 s[8:9], s[6:7]
	s_xor_b64 s[6:7], exec, s[8:9]
	s_cbranch_execnz .LBB14_2125
; %bb.77:
	s_or_saveexec_b64 s[6:7], s[6:7]
	v_mov_b32_e32 v14, s10
	s_xor_b64 exec, exec, s[6:7]
	s_cbranch_execnz .LBB14_2128
.LBB14_78:
	s_or_b64 exec, exec, s[6:7]
	s_and_saveexec_b64 s[6:7], s[4:5]
	s_cbranch_execz .LBB14_80
.LBB14_79:
	v_bfe_u32 v14, v12, 8, 3
	v_ffbh_u32_e32 v20, v14
	v_min_u32_e32 v20, 32, v20
	v_lshrrev_b16_e32 v15, 3, v11
	v_subrev_u32_e32 v21, 28, v20
	v_and_b32_e32 v15, 15, v15
	v_lshlrev_b32_e32 v11, v21, v11
	v_sub_u32_e32 v20, 29, v20
	v_and_b32_e32 v11, 7, v11
	v_cmp_eq_u16_e32 vcc, 0, v15
	v_cndmask_b32_e32 v11, v14, v11, vcc
	v_cndmask_b32_e32 v14, v15, v20, vcc
	v_lshlrev_b32_e32 v15, 16, v12
	v_mov_b32_e32 v20, 0x3b800000
	v_lshlrev_b32_e32 v11, 20, v11
	v_and_b32_e32 v15, 0x80000000, v15
	v_lshl_add_u32 v14, v14, 23, v20
	v_or3_b32 v14, v15, v14, v11
.LBB14_80:
	s_or_b64 exec, exec, s[6:7]
	s_nop 0
	v_mfma_f32_16x16x4f32 a[0:3], v10, v14, a[0:3]
	s_movk_i32 s4, 0xff
	v_and_b32_sdwa v11, v16, s4 dst_sel:DWORD dst_unused:UNUSED_PAD src0_sel:WORD_1 src1_sel:DWORD
	s_movk_i32 s4, 0x7f
	v_cmp_lt_i16_e32 vcc, s4, v11
	s_mov_b64 s[4:5], 0
                                        ; implicit-def: $sgpr10
	s_and_saveexec_b64 s[6:7], vcc
	s_xor_b64 s[6:7], exec, s[6:7]
	s_cbranch_execnz .LBB14_2129
; %bb.81:
	s_or_saveexec_b64 s[6:7], s[6:7]
	v_mov_b32_e32 v10, s10
	s_xor_b64 exec, exec, s[6:7]
	s_cbranch_execnz .LBB14_2132
.LBB14_82:
	s_or_b64 exec, exec, s[6:7]
	s_and_saveexec_b64 s[6:7], s[4:5]
	s_cbranch_execz .LBB14_84
.LBB14_83:
	v_bfe_u32 v10, v16, 16, 3
	v_ffbh_u32_e32 v15, v10
	v_min_u32_e32 v15, 32, v15
	v_lshrrev_b32_e32 v11, 19, v16
	v_subrev_u32_e32 v20, 28, v15
	v_and_b32_e32 v11, 15, v11
	v_lshlrev_b32_sdwa v20, v20, v16 dst_sel:DWORD dst_unused:UNUSED_PAD src0_sel:DWORD src1_sel:WORD_1
	v_bfe_u32 v14, v16, 19, 4
	v_sub_u32_e32 v15, 29, v15
	v_and_b32_e32 v20, 7, v20
	v_cmp_eq_u16_e32 vcc, 0, v11
	v_cndmask_b32_e32 v10, v10, v20, vcc
	v_cndmask_b32_e32 v11, v14, v15, vcc
	v_lshlrev_b32_e32 v14, 8, v16
	v_mov_b32_e32 v15, 0x3b800000
	v_lshlrev_b32_e32 v10, 20, v10
	v_and_b32_e32 v14, 0x80000000, v14
	v_lshl_add_u32 v11, v11, 23, v15
	v_or3_b32 v10, v14, v11, v10
.LBB14_84:
	s_or_b64 exec, exec, s[6:7]
	s_movk_i32 s4, 0xff
	v_and_b32_sdwa v11, v12, s4 dst_sel:DWORD dst_unused:UNUSED_PAD src0_sel:WORD_1 src1_sel:DWORD
	s_movk_i32 s4, 0x7f
	v_cmp_lt_i16_e32 vcc, s4, v11
	s_mov_b64 s[4:5], 0
                                        ; implicit-def: $sgpr10
	s_and_saveexec_b64 s[6:7], vcc
	s_xor_b64 s[6:7], exec, s[6:7]
	s_cbranch_execnz .LBB14_2133
; %bb.85:
	s_or_saveexec_b64 s[6:7], s[6:7]
	v_mov_b32_e32 v14, s10
	s_xor_b64 exec, exec, s[6:7]
	s_cbranch_execnz .LBB14_2136
.LBB14_86:
	s_or_b64 exec, exec, s[6:7]
	s_and_saveexec_b64 s[6:7], s[4:5]
	s_cbranch_execz .LBB14_88
.LBB14_87:
	v_bfe_u32 v11, v12, 16, 3
	v_ffbh_u32_e32 v20, v11
	v_min_u32_e32 v20, 32, v20
	v_lshrrev_b32_e32 v14, 19, v12
	v_subrev_u32_e32 v21, 28, v20
	v_and_b32_e32 v14, 15, v14
	v_lshlrev_b32_sdwa v21, v21, v12 dst_sel:DWORD dst_unused:UNUSED_PAD src0_sel:DWORD src1_sel:WORD_1
	v_bfe_u32 v15, v12, 19, 4
	v_sub_u32_e32 v20, 29, v20
	v_and_b32_e32 v21, 7, v21
	v_cmp_eq_u16_e32 vcc, 0, v14
	v_cndmask_b32_e32 v11, v11, v21, vcc
	v_cndmask_b32_e32 v14, v15, v20, vcc
	v_lshlrev_b32_e32 v15, 8, v12
	v_mov_b32_e32 v20, 0x3b800000
	v_lshlrev_b32_e32 v11, 20, v11
	v_and_b32_e32 v15, 0x80000000, v15
	v_lshl_add_u32 v14, v14, 23, v20
	v_or3_b32 v14, v15, v14, v11
.LBB14_88:
	s_or_b64 exec, exec, s[6:7]
	s_nop 0
	v_mfma_f32_16x16x4f32 a[0:3], v10, v14, a[0:3]
	s_movk_i32 s4, 0x7f
	v_cmp_gt_i16_sdwa s[6:7], v16, s4 src0_sel:BYTE_3 src1_sel:DWORD
	s_mov_b64 s[4:5], 0
                                        ; implicit-def: $sgpr10
	s_and_saveexec_b64 s[8:9], s[6:7]
	s_xor_b64 s[6:7], exec, s[8:9]
	s_cbranch_execnz .LBB14_2137
; %bb.89:
	s_or_saveexec_b64 s[6:7], s[6:7]
	v_mov_b32_e32 v10, s10
	s_xor_b64 exec, exec, s[6:7]
	s_cbranch_execnz .LBB14_2140
.LBB14_90:
	s_or_b64 exec, exec, s[6:7]
	s_and_saveexec_b64 s[6:7], s[4:5]
	s_cbranch_execz .LBB14_92
.LBB14_91:
	v_bfe_u32 v10, v16, 24, 3
	v_ffbh_u32_e32 v20, v10
	v_min_u32_e32 v20, 32, v20
	v_lshrrev_b32_e32 v14, 27, v16
	v_subrev_u32_e32 v21, 28, v20
	v_and_b32_e32 v11, 0x80000000, v16
	v_and_b32_e32 v14, 15, v14
	v_bfe_u32 v15, v16, 27, 4
	v_lshlrev_b32_sdwa v16, v21, v16 dst_sel:DWORD dst_unused:UNUSED_PAD src0_sel:DWORD src1_sel:BYTE_3
	v_sub_u32_e32 v20, 29, v20
	v_and_b32_e32 v16, 7, v16
	v_cmp_eq_u16_e32 vcc, 0, v14
	v_cndmask_b32_e32 v10, v10, v16, vcc
	v_cndmask_b32_e32 v14, v15, v20, vcc
	v_mov_b32_e32 v15, 0x3b800000
	v_lshlrev_b32_e32 v10, 20, v10
	v_lshl_add_u32 v14, v14, 23, v15
	v_or3_b32 v10, v11, v14, v10
.LBB14_92:
	s_or_b64 exec, exec, s[6:7]
	s_movk_i32 s4, 0x7f
	v_cmp_gt_i16_sdwa s[6:7], v12, s4 src0_sel:BYTE_3 src1_sel:DWORD
	s_mov_b64 s[4:5], 0
                                        ; implicit-def: $sgpr10
	s_and_saveexec_b64 s[8:9], s[6:7]
	s_xor_b64 s[6:7], exec, s[8:9]
	s_cbranch_execnz .LBB14_2141
; %bb.93:
	s_or_saveexec_b64 s[6:7], s[6:7]
	v_mov_b32_e32 v11, s10
	s_xor_b64 exec, exec, s[6:7]
	s_cbranch_execnz .LBB14_2144
.LBB14_94:
	s_or_b64 exec, exec, s[6:7]
	s_and_saveexec_b64 s[6:7], s[4:5]
	s_cbranch_execz .LBB14_96
.LBB14_95:
	v_bfe_u32 v11, v12, 24, 3
	v_ffbh_u32_e32 v20, v11
	v_min_u32_e32 v20, 32, v20
	v_lshrrev_b32_e32 v15, 27, v12
	v_subrev_u32_e32 v21, 28, v20
	v_and_b32_e32 v14, 0x80000000, v12
	v_and_b32_e32 v15, 15, v15
	v_bfe_u32 v16, v12, 27, 4
	v_lshlrev_b32_sdwa v12, v21, v12 dst_sel:DWORD dst_unused:UNUSED_PAD src0_sel:DWORD src1_sel:BYTE_3
	v_sub_u32_e32 v20, 29, v20
	v_and_b32_e32 v12, 7, v12
	v_cmp_eq_u16_e32 vcc, 0, v15
	v_cndmask_b32_e32 v11, v11, v12, vcc
	v_cndmask_b32_e32 v12, v16, v20, vcc
	v_mov_b32_e32 v15, 0x3b800000
	v_lshlrev_b32_e32 v11, 20, v11
	v_lshl_add_u32 v12, v12, 23, v15
	v_or3_b32 v11, v14, v12, v11
.LBB14_96:
	s_or_b64 exec, exec, s[6:7]
	s_nop 0
	v_mfma_f32_16x16x4f32 a[0:3], v10, v11, a[0:3]
	s_movk_i32 s4, 0x7f
	v_cmp_gt_i16_sdwa s[6:7], v17, s4 src0_sel:BYTE_0 src1_sel:DWORD
	s_mov_b64 s[4:5], 0
                                        ; implicit-def: $sgpr10
	s_and_saveexec_b64 s[8:9], s[6:7]
	s_xor_b64 s[6:7], exec, s[8:9]
	s_cbranch_execnz .LBB14_2145
; %bb.97:
	s_or_saveexec_b64 s[6:7], s[6:7]
	v_mov_b32_e32 v10, s10
	s_xor_b64 exec, exec, s[6:7]
	s_cbranch_execnz .LBB14_2148
.LBB14_98:
	s_or_b64 exec, exec, s[6:7]
	s_and_saveexec_b64 s[6:7], s[4:5]
	s_cbranch_execz .LBB14_100
.LBB14_99:
	v_and_b32_e32 v10, 7, v17
	v_ffbh_u32_e32 v12, v10
	v_min_u32_e32 v12, 32, v12
	v_lshrrev_b16_e32 v11, 3, v17
	v_subrev_u32_e32 v14, 28, v12
	v_and_b32_e32 v11, 15, v11
	v_lshlrev_b32_e32 v14, v14, v17
	v_sub_u32_e32 v12, 29, v12
	v_and_b32_e32 v14, 7, v14
	v_cmp_eq_u16_e32 vcc, 0, v11
	v_cndmask_b32_e32 v10, v10, v14, vcc
	v_cndmask_b32_e32 v11, v11, v12, vcc
	v_lshlrev_b32_e32 v12, 24, v17
	v_mov_b32_e32 v14, 0x3b800000
	v_lshlrev_b32_e32 v10, 20, v10
	v_and_b32_e32 v12, 0x80000000, v12
	v_lshl_add_u32 v11, v11, 23, v14
	v_or3_b32 v10, v12, v11, v10
.LBB14_100:
	s_or_b64 exec, exec, s[6:7]
	s_movk_i32 s4, 0x7f
	v_cmp_gt_i16_sdwa s[6:7], v13, s4 src0_sel:BYTE_0 src1_sel:DWORD
	s_mov_b64 s[4:5], 0
                                        ; implicit-def: $sgpr10
	s_and_saveexec_b64 s[8:9], s[6:7]
	s_xor_b64 s[6:7], exec, s[8:9]
	s_cbranch_execnz .LBB14_2149
; %bb.101:
	s_or_saveexec_b64 s[6:7], s[6:7]
	v_mov_b32_e32 v11, s10
	s_xor_b64 exec, exec, s[6:7]
	s_cbranch_execnz .LBB14_2152
.LBB14_102:
	s_or_b64 exec, exec, s[6:7]
	s_and_saveexec_b64 s[6:7], s[4:5]
	s_cbranch_execz .LBB14_104
.LBB14_103:
	v_and_b32_e32 v11, 7, v13
	v_ffbh_u32_e32 v14, v11
	v_min_u32_e32 v14, 32, v14
	v_lshrrev_b16_e32 v12, 3, v13
	v_subrev_u32_e32 v15, 28, v14
	v_and_b32_e32 v12, 15, v12
	v_lshlrev_b32_e32 v15, v15, v13
	v_sub_u32_e32 v14, 29, v14
	v_and_b32_e32 v15, 7, v15
	v_cmp_eq_u16_e32 vcc, 0, v12
	v_cndmask_b32_e32 v11, v11, v15, vcc
	v_cndmask_b32_e32 v12, v12, v14, vcc
	v_lshlrev_b32_e32 v14, 24, v13
	v_mov_b32_e32 v15, 0x3b800000
	v_lshlrev_b32_e32 v11, 20, v11
	v_and_b32_e32 v14, 0x80000000, v14
	v_lshl_add_u32 v12, v12, 23, v15
	v_or3_b32 v11, v14, v12, v11
.LBB14_104:
	s_or_b64 exec, exec, s[6:7]
	s_nop 0
	v_mfma_f32_16x16x4f32 a[0:3], v10, v11, a[0:3]
	v_lshrrev_b32_e32 v11, 8, v17
	s_movk_i32 s4, 0x7f
	v_cmp_gt_i16_sdwa s[6:7], v11, s4 src0_sel:BYTE_0 src1_sel:DWORD
	s_mov_b64 s[4:5], 0
                                        ; implicit-def: $sgpr10
	s_and_saveexec_b64 s[8:9], s[6:7]
	s_xor_b64 s[6:7], exec, s[8:9]
	s_cbranch_execnz .LBB14_2153
; %bb.105:
	s_or_saveexec_b64 s[6:7], s[6:7]
	v_mov_b32_e32 v10, s10
	s_xor_b64 exec, exec, s[6:7]
	s_cbranch_execnz .LBB14_2156
.LBB14_106:
	s_or_b64 exec, exec, s[6:7]
	s_and_saveexec_b64 s[6:7], s[4:5]
	s_cbranch_execz .LBB14_108
.LBB14_107:
	v_bfe_u32 v10, v17, 8, 3
	v_ffbh_u32_e32 v14, v10
	v_min_u32_e32 v14, 32, v14
	v_lshrrev_b16_e32 v12, 3, v11
	v_subrev_u32_e32 v15, 28, v14
	v_and_b32_e32 v12, 15, v12
	v_lshlrev_b32_e32 v11, v15, v11
	v_sub_u32_e32 v14, 29, v14
	v_and_b32_e32 v11, 7, v11
	v_cmp_eq_u16_e32 vcc, 0, v12
	v_cndmask_b32_e32 v10, v10, v11, vcc
	v_cndmask_b32_e32 v11, v12, v14, vcc
	v_lshlrev_b32_e32 v12, 16, v17
	v_mov_b32_e32 v14, 0x3b800000
	v_lshlrev_b32_e32 v10, 20, v10
	v_and_b32_e32 v12, 0x80000000, v12
	v_lshl_add_u32 v11, v11, 23, v14
	v_or3_b32 v10, v12, v11, v10
.LBB14_108:
	s_or_b64 exec, exec, s[6:7]
	v_lshrrev_b32_e32 v11, 8, v13
	s_movk_i32 s4, 0x7f
	v_cmp_gt_i16_sdwa s[6:7], v11, s4 src0_sel:BYTE_0 src1_sel:DWORD
	s_mov_b64 s[4:5], 0
                                        ; implicit-def: $sgpr10
	s_and_saveexec_b64 s[8:9], s[6:7]
	s_xor_b64 s[6:7], exec, s[8:9]
	s_cbranch_execnz .LBB14_2157
; %bb.109:
	s_or_saveexec_b64 s[6:7], s[6:7]
	v_mov_b32_e32 v12, s10
	s_xor_b64 exec, exec, s[6:7]
	s_cbranch_execnz .LBB14_2160
.LBB14_110:
	s_or_b64 exec, exec, s[6:7]
	s_and_saveexec_b64 s[6:7], s[4:5]
	s_cbranch_execz .LBB14_112
.LBB14_111:
	v_bfe_u32 v12, v13, 8, 3
	v_ffbh_u32_e32 v15, v12
	v_min_u32_e32 v15, 32, v15
	v_lshrrev_b16_e32 v14, 3, v11
	v_subrev_u32_e32 v16, 28, v15
	v_and_b32_e32 v14, 15, v14
	v_lshlrev_b32_e32 v11, v16, v11
	v_sub_u32_e32 v15, 29, v15
	v_and_b32_e32 v11, 7, v11
	v_cmp_eq_u16_e32 vcc, 0, v14
	v_cndmask_b32_e32 v11, v12, v11, vcc
	v_cndmask_b32_e32 v12, v14, v15, vcc
	v_lshlrev_b32_e32 v14, 16, v13
	v_mov_b32_e32 v15, 0x3b800000
	v_lshlrev_b32_e32 v11, 20, v11
	v_and_b32_e32 v14, 0x80000000, v14
	v_lshl_add_u32 v12, v12, 23, v15
	v_or3_b32 v12, v14, v12, v11
.LBB14_112:
	s_or_b64 exec, exec, s[6:7]
	s_nop 0
	v_mfma_f32_16x16x4f32 a[0:3], v10, v12, a[0:3]
	s_movk_i32 s4, 0xff
	v_and_b32_sdwa v11, v17, s4 dst_sel:DWORD dst_unused:UNUSED_PAD src0_sel:WORD_1 src1_sel:DWORD
	s_movk_i32 s4, 0x7f
	v_cmp_lt_i16_e32 vcc, s4, v11
	s_mov_b64 s[4:5], 0
                                        ; implicit-def: $sgpr10
	s_and_saveexec_b64 s[6:7], vcc
	s_xor_b64 s[6:7], exec, s[6:7]
	s_cbranch_execnz .LBB14_2161
; %bb.113:
	s_or_saveexec_b64 s[6:7], s[6:7]
	v_mov_b32_e32 v10, s10
	s_xor_b64 exec, exec, s[6:7]
	s_cbranch_execnz .LBB14_2164
.LBB14_114:
	s_or_b64 exec, exec, s[6:7]
	s_and_saveexec_b64 s[6:7], s[4:5]
	s_cbranch_execz .LBB14_116
.LBB14_115:
	v_bfe_u32 v10, v17, 16, 3
	v_ffbh_u32_e32 v14, v10
	v_min_u32_e32 v14, 32, v14
	v_lshrrev_b32_e32 v11, 19, v17
	v_subrev_u32_e32 v15, 28, v14
	v_and_b32_e32 v11, 15, v11
	v_lshlrev_b32_sdwa v15, v15, v17 dst_sel:DWORD dst_unused:UNUSED_PAD src0_sel:DWORD src1_sel:WORD_1
	v_bfe_u32 v12, v17, 19, 4
	v_sub_u32_e32 v14, 29, v14
	v_and_b32_e32 v15, 7, v15
	v_cmp_eq_u16_e32 vcc, 0, v11
	v_cndmask_b32_e32 v10, v10, v15, vcc
	v_cndmask_b32_e32 v11, v12, v14, vcc
	v_lshlrev_b32_e32 v12, 8, v17
	v_mov_b32_e32 v14, 0x3b800000
	v_lshlrev_b32_e32 v10, 20, v10
	v_and_b32_e32 v12, 0x80000000, v12
	v_lshl_add_u32 v11, v11, 23, v14
	v_or3_b32 v10, v12, v11, v10
.LBB14_116:
	s_or_b64 exec, exec, s[6:7]
	s_movk_i32 s4, 0xff
	v_and_b32_sdwa v11, v13, s4 dst_sel:DWORD dst_unused:UNUSED_PAD src0_sel:WORD_1 src1_sel:DWORD
	s_movk_i32 s4, 0x7f
	v_cmp_lt_i16_e32 vcc, s4, v11
	s_mov_b64 s[4:5], 0
                                        ; implicit-def: $sgpr10
	s_and_saveexec_b64 s[6:7], vcc
	s_xor_b64 s[6:7], exec, s[6:7]
	s_cbranch_execnz .LBB14_2165
; %bb.117:
	s_or_saveexec_b64 s[6:7], s[6:7]
	v_mov_b32_e32 v12, s10
	s_xor_b64 exec, exec, s[6:7]
	s_cbranch_execnz .LBB14_2168
.LBB14_118:
	s_or_b64 exec, exec, s[6:7]
	s_and_saveexec_b64 s[6:7], s[4:5]
	s_cbranch_execz .LBB14_120
.LBB14_119:
	v_bfe_u32 v11, v13, 16, 3
	v_ffbh_u32_e32 v15, v11
	v_min_u32_e32 v15, 32, v15
	v_lshrrev_b32_e32 v12, 19, v13
	v_subrev_u32_e32 v16, 28, v15
	v_and_b32_e32 v12, 15, v12
	v_lshlrev_b32_sdwa v16, v16, v13 dst_sel:DWORD dst_unused:UNUSED_PAD src0_sel:DWORD src1_sel:WORD_1
	v_bfe_u32 v14, v13, 19, 4
	v_sub_u32_e32 v15, 29, v15
	v_and_b32_e32 v16, 7, v16
	v_cmp_eq_u16_e32 vcc, 0, v12
	v_cndmask_b32_e32 v11, v11, v16, vcc
	v_cndmask_b32_e32 v12, v14, v15, vcc
	v_lshlrev_b32_e32 v14, 8, v13
	v_mov_b32_e32 v15, 0x3b800000
	v_lshlrev_b32_e32 v11, 20, v11
	v_and_b32_e32 v14, 0x80000000, v14
	v_lshl_add_u32 v12, v12, 23, v15
	v_or3_b32 v12, v14, v12, v11
.LBB14_120:
	s_or_b64 exec, exec, s[6:7]
	s_nop 0
	v_mfma_f32_16x16x4f32 a[0:3], v10, v12, a[0:3]
	s_movk_i32 s4, 0x7f
	v_cmp_gt_i16_sdwa s[6:7], v17, s4 src0_sel:BYTE_3 src1_sel:DWORD
	s_mov_b64 s[4:5], 0
                                        ; implicit-def: $sgpr10
	s_and_saveexec_b64 s[8:9], s[6:7]
	s_xor_b64 s[6:7], exec, s[8:9]
	s_cbranch_execnz .LBB14_2169
; %bb.121:
	s_or_saveexec_b64 s[6:7], s[6:7]
	v_mov_b32_e32 v10, s10
	s_xor_b64 exec, exec, s[6:7]
	s_cbranch_execnz .LBB14_2172
.LBB14_122:
	s_or_b64 exec, exec, s[6:7]
	s_and_saveexec_b64 s[6:7], s[4:5]
	s_cbranch_execz .LBB14_124
.LBB14_123:
	v_bfe_u32 v10, v17, 24, 3
	v_ffbh_u32_e32 v15, v10
	v_min_u32_e32 v15, 32, v15
	v_lshrrev_b32_e32 v12, 27, v17
	v_subrev_u32_e32 v16, 28, v15
	v_and_b32_e32 v12, 15, v12
	v_lshlrev_b32_sdwa v16, v16, v17 dst_sel:DWORD dst_unused:UNUSED_PAD src0_sel:DWORD src1_sel:BYTE_3
	v_bfe_u32 v14, v17, 27, 4
	v_sub_u32_e32 v15, 29, v15
	v_and_b32_e32 v16, 7, v16
	v_cmp_eq_u16_e32 vcc, 0, v12
	v_cndmask_b32_e32 v10, v10, v16, vcc
	v_cndmask_b32_e32 v12, v14, v15, vcc
	v_mov_b32_e32 v14, 0x3b800000
	v_and_b32_e32 v11, 0x80000000, v17
	v_lshlrev_b32_e32 v10, 20, v10
	v_lshl_add_u32 v12, v12, 23, v14
	v_or3_b32 v10, v11, v12, v10
.LBB14_124:
	s_or_b64 exec, exec, s[6:7]
	s_movk_i32 s4, 0x7f
	v_cmp_gt_i16_sdwa s[6:7], v13, s4 src0_sel:BYTE_3 src1_sel:DWORD
	s_mov_b64 s[4:5], 0
                                        ; implicit-def: $sgpr10
	s_and_saveexec_b64 s[8:9], s[6:7]
	s_xor_b64 s[6:7], exec, s[8:9]
	s_cbranch_execnz .LBB14_2173
; %bb.125:
	s_or_saveexec_b64 s[6:7], s[6:7]
	v_mov_b32_e32 v11, s10
	s_xor_b64 exec, exec, s[6:7]
	s_cbranch_execnz .LBB14_2176
.LBB14_126:
	s_or_b64 exec, exec, s[6:7]
	s_and_saveexec_b64 s[6:7], s[4:5]
	s_cbranch_execz .LBB14_128
.LBB14_127:
	v_bfe_u32 v11, v13, 24, 3
	v_ffbh_u32_e32 v16, v11
	v_min_u32_e32 v16, 32, v16
	v_lshrrev_b32_e32 v14, 27, v13
	v_subrev_u32_e32 v17, 28, v16
	v_and_b32_e32 v12, 0x80000000, v13
	v_and_b32_e32 v14, 15, v14
	v_bfe_u32 v15, v13, 27, 4
	v_lshlrev_b32_sdwa v13, v17, v13 dst_sel:DWORD dst_unused:UNUSED_PAD src0_sel:DWORD src1_sel:BYTE_3
	v_sub_u32_e32 v16, 29, v16
	v_and_b32_e32 v13, 7, v13
	v_cmp_eq_u16_e32 vcc, 0, v14
	v_cndmask_b32_e32 v11, v11, v13, vcc
	v_cndmask_b32_e32 v13, v15, v16, vcc
	v_mov_b32_e32 v14, 0x3b800000
	v_lshlrev_b32_e32 v11, 20, v11
	v_lshl_add_u32 v13, v13, 23, v14
	v_or3_b32 v11, v12, v13, v11
.LBB14_128:
	s_or_b64 exec, exec, s[6:7]
	s_nop 0
	v_mfma_f32_16x16x4f32 a[0:3], v10, v11, a[0:3]
	s_movk_i32 s4, 0x7f
	v_cmp_gt_i16_sdwa s[6:7], v6, s4 src0_sel:BYTE_0 src1_sel:DWORD
	s_mov_b64 s[4:5], 0
                                        ; implicit-def: $sgpr10
	s_and_saveexec_b64 s[8:9], s[6:7]
	s_xor_b64 s[6:7], exec, s[8:9]
	s_cbranch_execnz .LBB14_2177
; %bb.129:
	s_or_saveexec_b64 s[6:7], s[6:7]
	v_mov_b32_e32 v10, s10
	s_xor_b64 exec, exec, s[6:7]
	s_cbranch_execnz .LBB14_2180
.LBB14_130:
	s_or_b64 exec, exec, s[6:7]
	s_and_saveexec_b64 s[6:7], s[4:5]
	s_cbranch_execz .LBB14_132
.LBB14_131:
	v_and_b32_e32 v10, 7, v6
	v_ffbh_u32_e32 v12, v10
	v_min_u32_e32 v12, 32, v12
	v_lshrrev_b16_e32 v11, 3, v6
	v_subrev_u32_e32 v13, 28, v12
	v_and_b32_e32 v11, 15, v11
	v_lshlrev_b32_e32 v13, v13, v6
	v_sub_u32_e32 v12, 29, v12
	v_and_b32_e32 v13, 7, v13
	v_cmp_eq_u16_e32 vcc, 0, v11
	v_cndmask_b32_e32 v10, v10, v13, vcc
	v_cndmask_b32_e32 v11, v11, v12, vcc
	v_lshlrev_b32_e32 v12, 24, v6
	v_mov_b32_e32 v13, 0x3b800000
	v_lshlrev_b32_e32 v10, 20, v10
	v_and_b32_e32 v12, 0x80000000, v12
	v_lshl_add_u32 v11, v11, 23, v13
	v_or3_b32 v10, v12, v11, v10
.LBB14_132:
	s_or_b64 exec, exec, s[6:7]
	s_movk_i32 s4, 0x7f
	v_cmp_gt_i16_sdwa s[6:7], v2, s4 src0_sel:BYTE_0 src1_sel:DWORD
	s_mov_b64 s[4:5], 0
                                        ; implicit-def: $sgpr10
	s_and_saveexec_b64 s[8:9], s[6:7]
	s_xor_b64 s[6:7], exec, s[8:9]
	s_cbranch_execnz .LBB14_2181
; %bb.133:
	s_or_saveexec_b64 s[6:7], s[6:7]
	v_mov_b32_e32 v11, s10
	s_xor_b64 exec, exec, s[6:7]
	s_cbranch_execnz .LBB14_2184
.LBB14_134:
	s_or_b64 exec, exec, s[6:7]
	s_and_saveexec_b64 s[6:7], s[4:5]
	s_cbranch_execz .LBB14_136
.LBB14_135:
	v_and_b32_e32 v11, 7, v2
	v_ffbh_u32_e32 v13, v11
	v_min_u32_e32 v13, 32, v13
	v_lshrrev_b16_e32 v12, 3, v2
	v_subrev_u32_e32 v14, 28, v13
	v_and_b32_e32 v12, 15, v12
	v_lshlrev_b32_e32 v14, v14, v2
	v_sub_u32_e32 v13, 29, v13
	v_and_b32_e32 v14, 7, v14
	v_cmp_eq_u16_e32 vcc, 0, v12
	v_cndmask_b32_e32 v11, v11, v14, vcc
	v_cndmask_b32_e32 v12, v12, v13, vcc
	v_lshlrev_b32_e32 v13, 24, v2
	v_mov_b32_e32 v14, 0x3b800000
	v_lshlrev_b32_e32 v11, 20, v11
	v_and_b32_e32 v13, 0x80000000, v13
	v_lshl_add_u32 v12, v12, 23, v14
	v_or3_b32 v11, v13, v12, v11
.LBB14_136:
	s_or_b64 exec, exec, s[6:7]
	s_nop 0
	v_mfma_f32_16x16x4f32 a[0:3], v10, v11, a[0:3]
	v_lshrrev_b32_e32 v11, 8, v6
	s_movk_i32 s4, 0x7f
	v_cmp_gt_i16_sdwa s[6:7], v11, s4 src0_sel:BYTE_0 src1_sel:DWORD
	s_mov_b64 s[4:5], 0
                                        ; implicit-def: $sgpr10
	s_and_saveexec_b64 s[8:9], s[6:7]
	s_xor_b64 s[6:7], exec, s[8:9]
	s_cbranch_execnz .LBB14_2185
; %bb.137:
	s_or_saveexec_b64 s[6:7], s[6:7]
	v_mov_b32_e32 v10, s10
	s_xor_b64 exec, exec, s[6:7]
	s_cbranch_execnz .LBB14_2188
.LBB14_138:
	s_or_b64 exec, exec, s[6:7]
	s_and_saveexec_b64 s[6:7], s[4:5]
	s_cbranch_execz .LBB14_140
.LBB14_139:
	v_bfe_u32 v10, v6, 8, 3
	v_ffbh_u32_e32 v13, v10
	v_min_u32_e32 v13, 32, v13
	v_lshrrev_b16_e32 v12, 3, v11
	v_subrev_u32_e32 v14, 28, v13
	v_and_b32_e32 v12, 15, v12
	v_lshlrev_b32_e32 v11, v14, v11
	v_sub_u32_e32 v13, 29, v13
	v_and_b32_e32 v11, 7, v11
	v_cmp_eq_u16_e32 vcc, 0, v12
	v_cndmask_b32_e32 v10, v10, v11, vcc
	v_cndmask_b32_e32 v11, v12, v13, vcc
	v_lshlrev_b32_e32 v12, 16, v6
	v_mov_b32_e32 v13, 0x3b800000
	v_lshlrev_b32_e32 v10, 20, v10
	v_and_b32_e32 v12, 0x80000000, v12
	v_lshl_add_u32 v11, v11, 23, v13
	v_or3_b32 v10, v12, v11, v10
.LBB14_140:
	s_or_b64 exec, exec, s[6:7]
	v_lshrrev_b32_e32 v11, 8, v2
	s_movk_i32 s4, 0x7f
	v_cmp_gt_i16_sdwa s[6:7], v11, s4 src0_sel:BYTE_0 src1_sel:DWORD
	s_mov_b64 s[4:5], 0
                                        ; implicit-def: $sgpr10
	s_and_saveexec_b64 s[8:9], s[6:7]
	s_xor_b64 s[6:7], exec, s[8:9]
	s_cbranch_execnz .LBB14_2189
; %bb.141:
	s_or_saveexec_b64 s[6:7], s[6:7]
	v_mov_b32_e32 v12, s10
	s_xor_b64 exec, exec, s[6:7]
	s_cbranch_execnz .LBB14_2192
.LBB14_142:
	s_or_b64 exec, exec, s[6:7]
	s_and_saveexec_b64 s[6:7], s[4:5]
	s_cbranch_execz .LBB14_144
.LBB14_143:
	v_bfe_u32 v12, v2, 8, 3
	v_ffbh_u32_e32 v14, v12
	v_min_u32_e32 v14, 32, v14
	v_lshrrev_b16_e32 v13, 3, v11
	v_subrev_u32_e32 v15, 28, v14
	v_and_b32_e32 v13, 15, v13
	v_lshlrev_b32_e32 v11, v15, v11
	v_sub_u32_e32 v14, 29, v14
	v_and_b32_e32 v11, 7, v11
	v_cmp_eq_u16_e32 vcc, 0, v13
	v_cndmask_b32_e32 v11, v12, v11, vcc
	v_cndmask_b32_e32 v12, v13, v14, vcc
	v_lshlrev_b32_e32 v13, 16, v2
	v_mov_b32_e32 v14, 0x3b800000
	v_lshlrev_b32_e32 v11, 20, v11
	v_and_b32_e32 v13, 0x80000000, v13
	v_lshl_add_u32 v12, v12, 23, v14
	v_or3_b32 v12, v13, v12, v11
.LBB14_144:
	s_or_b64 exec, exec, s[6:7]
	s_nop 0
	v_mfma_f32_16x16x4f32 a[0:3], v10, v12, a[0:3]
	s_movk_i32 s4, 0xff
	v_and_b32_sdwa v11, v6, s4 dst_sel:DWORD dst_unused:UNUSED_PAD src0_sel:WORD_1 src1_sel:DWORD
	s_movk_i32 s4, 0x7f
	v_cmp_lt_i16_e32 vcc, s4, v11
	s_mov_b64 s[4:5], 0
                                        ; implicit-def: $sgpr10
	s_and_saveexec_b64 s[6:7], vcc
	s_xor_b64 s[6:7], exec, s[6:7]
	s_cbranch_execnz .LBB14_2193
; %bb.145:
	s_or_saveexec_b64 s[6:7], s[6:7]
	v_mov_b32_e32 v10, s10
	s_xor_b64 exec, exec, s[6:7]
	s_cbranch_execnz .LBB14_2196
.LBB14_146:
	s_or_b64 exec, exec, s[6:7]
	s_and_saveexec_b64 s[6:7], s[4:5]
	s_cbranch_execz .LBB14_148
.LBB14_147:
	v_bfe_u32 v10, v6, 16, 3
	v_ffbh_u32_e32 v13, v10
	v_min_u32_e32 v13, 32, v13
	v_lshrrev_b32_e32 v11, 19, v6
	v_subrev_u32_e32 v14, 28, v13
	v_and_b32_e32 v11, 15, v11
	v_lshlrev_b32_sdwa v14, v14, v6 dst_sel:DWORD dst_unused:UNUSED_PAD src0_sel:DWORD src1_sel:WORD_1
	v_bfe_u32 v12, v6, 19, 4
	v_sub_u32_e32 v13, 29, v13
	v_and_b32_e32 v14, 7, v14
	v_cmp_eq_u16_e32 vcc, 0, v11
	v_cndmask_b32_e32 v10, v10, v14, vcc
	v_cndmask_b32_e32 v11, v12, v13, vcc
	v_lshlrev_b32_e32 v12, 8, v6
	v_mov_b32_e32 v13, 0x3b800000
	v_lshlrev_b32_e32 v10, 20, v10
	v_and_b32_e32 v12, 0x80000000, v12
	v_lshl_add_u32 v11, v11, 23, v13
	v_or3_b32 v10, v12, v11, v10
.LBB14_148:
	s_or_b64 exec, exec, s[6:7]
	s_movk_i32 s4, 0xff
	v_and_b32_sdwa v11, v2, s4 dst_sel:DWORD dst_unused:UNUSED_PAD src0_sel:WORD_1 src1_sel:DWORD
	s_movk_i32 s4, 0x7f
	v_cmp_lt_i16_e32 vcc, s4, v11
	s_mov_b64 s[4:5], 0
                                        ; implicit-def: $sgpr10
	s_and_saveexec_b64 s[6:7], vcc
	s_xor_b64 s[6:7], exec, s[6:7]
	s_cbranch_execnz .LBB14_2197
; %bb.149:
	s_or_saveexec_b64 s[6:7], s[6:7]
	v_mov_b32_e32 v12, s10
	s_xor_b64 exec, exec, s[6:7]
	s_cbranch_execnz .LBB14_2200
.LBB14_150:
	s_or_b64 exec, exec, s[6:7]
	s_and_saveexec_b64 s[6:7], s[4:5]
	s_cbranch_execz .LBB14_152
.LBB14_151:
	v_bfe_u32 v11, v2, 16, 3
	v_ffbh_u32_e32 v14, v11
	v_min_u32_e32 v14, 32, v14
	v_lshrrev_b32_e32 v12, 19, v2
	v_subrev_u32_e32 v15, 28, v14
	v_and_b32_e32 v12, 15, v12
	v_lshlrev_b32_sdwa v15, v15, v2 dst_sel:DWORD dst_unused:UNUSED_PAD src0_sel:DWORD src1_sel:WORD_1
	v_bfe_u32 v13, v2, 19, 4
	v_sub_u32_e32 v14, 29, v14
	v_and_b32_e32 v15, 7, v15
	v_cmp_eq_u16_e32 vcc, 0, v12
	v_cndmask_b32_e32 v11, v11, v15, vcc
	v_cndmask_b32_e32 v12, v13, v14, vcc
	v_lshlrev_b32_e32 v13, 8, v2
	v_mov_b32_e32 v14, 0x3b800000
	v_lshlrev_b32_e32 v11, 20, v11
	v_and_b32_e32 v13, 0x80000000, v13
	v_lshl_add_u32 v12, v12, 23, v14
	v_or3_b32 v12, v13, v12, v11
.LBB14_152:
	s_or_b64 exec, exec, s[6:7]
	s_nop 0
	v_mfma_f32_16x16x4f32 a[0:3], v10, v12, a[0:3]
	s_movk_i32 s4, 0x7f
	v_cmp_gt_i16_sdwa s[6:7], v6, s4 src0_sel:BYTE_3 src1_sel:DWORD
	s_mov_b64 s[4:5], 0
                                        ; implicit-def: $sgpr10
	s_and_saveexec_b64 s[8:9], s[6:7]
	s_xor_b64 s[6:7], exec, s[8:9]
	s_cbranch_execnz .LBB14_2201
; %bb.153:
	s_or_saveexec_b64 s[6:7], s[6:7]
	v_mov_b32_e32 v10, s10
	s_xor_b64 exec, exec, s[6:7]
	s_cbranch_execnz .LBB14_2204
.LBB14_154:
	s_or_b64 exec, exec, s[6:7]
	s_and_saveexec_b64 s[6:7], s[4:5]
	s_cbranch_execz .LBB14_156
.LBB14_155:
	v_bfe_u32 v10, v6, 24, 3
	v_ffbh_u32_e32 v14, v10
	v_min_u32_e32 v14, 32, v14
	v_lshrrev_b32_e32 v12, 27, v6
	v_subrev_u32_e32 v15, 28, v14
	v_and_b32_e32 v11, 0x80000000, v6
	v_and_b32_e32 v12, 15, v12
	v_bfe_u32 v13, v6, 27, 4
	v_lshlrev_b32_sdwa v6, v15, v6 dst_sel:DWORD dst_unused:UNUSED_PAD src0_sel:DWORD src1_sel:BYTE_3
	v_sub_u32_e32 v14, 29, v14
	v_and_b32_e32 v6, 7, v6
	v_cmp_eq_u16_e32 vcc, 0, v12
	v_cndmask_b32_e32 v6, v10, v6, vcc
	v_cndmask_b32_e32 v10, v13, v14, vcc
	v_mov_b32_e32 v12, 0x3b800000
	v_lshlrev_b32_e32 v6, 20, v6
	v_lshl_add_u32 v10, v10, 23, v12
	v_or3_b32 v10, v11, v10, v6
.LBB14_156:
	s_or_b64 exec, exec, s[6:7]
	s_movk_i32 s4, 0x7f
	v_cmp_gt_i16_sdwa s[6:7], v2, s4 src0_sel:BYTE_3 src1_sel:DWORD
	s_mov_b64 s[4:5], 0
                                        ; implicit-def: $sgpr10
	s_and_saveexec_b64 s[8:9], s[6:7]
	s_xor_b64 s[6:7], exec, s[8:9]
	s_cbranch_execnz .LBB14_2205
; %bb.157:
	s_or_saveexec_b64 s[6:7], s[6:7]
	v_mov_b32_e32 v6, s10
	s_xor_b64 exec, exec, s[6:7]
	s_cbranch_execnz .LBB14_2208
.LBB14_158:
	s_or_b64 exec, exec, s[6:7]
	s_and_saveexec_b64 s[6:7], s[4:5]
	s_cbranch_execz .LBB14_160
.LBB14_159:
	v_bfe_u32 v6, v2, 24, 3
	v_ffbh_u32_e32 v14, v6
	v_min_u32_e32 v14, 32, v14
	v_lshrrev_b32_e32 v12, 27, v2
	v_subrev_u32_e32 v15, 28, v14
	v_and_b32_e32 v11, 0x80000000, v2
	v_and_b32_e32 v12, 15, v12
	v_bfe_u32 v13, v2, 27, 4
	v_lshlrev_b32_sdwa v2, v15, v2 dst_sel:DWORD dst_unused:UNUSED_PAD src0_sel:DWORD src1_sel:BYTE_3
	v_sub_u32_e32 v14, 29, v14
	v_and_b32_e32 v2, 7, v2
	v_cmp_eq_u16_e32 vcc, 0, v12
	v_cndmask_b32_e32 v2, v6, v2, vcc
	v_cndmask_b32_e32 v6, v13, v14, vcc
	v_mov_b32_e32 v12, 0x3b800000
	v_lshlrev_b32_e32 v2, 20, v2
	v_lshl_add_u32 v6, v6, 23, v12
	v_or3_b32 v6, v11, v6, v2
.LBB14_160:
	s_or_b64 exec, exec, s[6:7]
	s_nop 0
	v_mfma_f32_16x16x4f32 a[0:3], v10, v6, a[0:3]
	s_movk_i32 s4, 0x7f
	v_cmp_gt_i16_sdwa s[6:7], v7, s4 src0_sel:BYTE_0 src1_sel:DWORD
	s_mov_b64 s[4:5], 0
                                        ; implicit-def: $sgpr10
	s_and_saveexec_b64 s[8:9], s[6:7]
	s_xor_b64 s[6:7], exec, s[8:9]
	s_cbranch_execnz .LBB14_2209
; %bb.161:
	s_or_saveexec_b64 s[6:7], s[6:7]
	v_mov_b32_e32 v2, s10
	s_xor_b64 exec, exec, s[6:7]
	s_cbranch_execnz .LBB14_2212
.LBB14_162:
	s_or_b64 exec, exec, s[6:7]
	s_and_saveexec_b64 s[6:7], s[4:5]
	s_cbranch_execz .LBB14_164
.LBB14_163:
	v_and_b32_e32 v2, 7, v7
	v_ffbh_u32_e32 v10, v2
	v_min_u32_e32 v10, 32, v10
	v_lshrrev_b16_e32 v6, 3, v7
	v_subrev_u32_e32 v11, 28, v10
	v_and_b32_e32 v6, 15, v6
	v_lshlrev_b32_e32 v11, v11, v7
	v_sub_u32_e32 v10, 29, v10
	v_and_b32_e32 v11, 7, v11
	v_cmp_eq_u16_e32 vcc, 0, v6
	v_cndmask_b32_e32 v2, v2, v11, vcc
	v_cndmask_b32_e32 v6, v6, v10, vcc
	v_lshlrev_b32_e32 v10, 24, v7
	v_mov_b32_e32 v11, 0x3b800000
	v_lshlrev_b32_e32 v2, 20, v2
	v_and_b32_e32 v10, 0x80000000, v10
	v_lshl_add_u32 v6, v6, 23, v11
	v_or3_b32 v2, v10, v6, v2
.LBB14_164:
	s_or_b64 exec, exec, s[6:7]
	s_movk_i32 s4, 0x7f
	v_cmp_gt_i16_sdwa s[6:7], v3, s4 src0_sel:BYTE_0 src1_sel:DWORD
	s_mov_b64 s[4:5], 0
                                        ; implicit-def: $sgpr10
	s_and_saveexec_b64 s[8:9], s[6:7]
	s_xor_b64 s[6:7], exec, s[8:9]
	s_cbranch_execnz .LBB14_2213
; %bb.165:
	s_or_saveexec_b64 s[6:7], s[6:7]
	v_mov_b32_e32 v6, s10
	s_xor_b64 exec, exec, s[6:7]
	s_cbranch_execnz .LBB14_2216
.LBB14_166:
	s_or_b64 exec, exec, s[6:7]
	s_and_saveexec_b64 s[6:7], s[4:5]
	s_cbranch_execz .LBB14_168
.LBB14_167:
	v_and_b32_e32 v6, 7, v3
	v_ffbh_u32_e32 v11, v6
	v_min_u32_e32 v11, 32, v11
	v_lshrrev_b16_e32 v10, 3, v3
	v_subrev_u32_e32 v12, 28, v11
	v_and_b32_e32 v10, 15, v10
	v_lshlrev_b32_e32 v12, v12, v3
	v_sub_u32_e32 v11, 29, v11
	v_and_b32_e32 v12, 7, v12
	v_cmp_eq_u16_e32 vcc, 0, v10
	v_cndmask_b32_e32 v6, v6, v12, vcc
	v_cndmask_b32_e32 v10, v10, v11, vcc
	v_lshlrev_b32_e32 v11, 24, v3
	v_mov_b32_e32 v12, 0x3b800000
	v_lshlrev_b32_e32 v6, 20, v6
	v_and_b32_e32 v11, 0x80000000, v11
	v_lshl_add_u32 v10, v10, 23, v12
	v_or3_b32 v6, v11, v10, v6
.LBB14_168:
	s_or_b64 exec, exec, s[6:7]
	s_nop 0
	v_mfma_f32_16x16x4f32 a[0:3], v2, v6, a[0:3]
	v_lshrrev_b32_e32 v6, 8, v7
	s_movk_i32 s4, 0x7f
	v_cmp_gt_i16_sdwa s[6:7], v6, s4 src0_sel:BYTE_0 src1_sel:DWORD
	s_mov_b64 s[4:5], 0
                                        ; implicit-def: $sgpr10
	s_and_saveexec_b64 s[8:9], s[6:7]
	s_xor_b64 s[6:7], exec, s[8:9]
	s_cbranch_execnz .LBB14_2217
; %bb.169:
	s_or_saveexec_b64 s[6:7], s[6:7]
	v_mov_b32_e32 v2, s10
	s_xor_b64 exec, exec, s[6:7]
	s_cbranch_execnz .LBB14_2220
.LBB14_170:
	s_or_b64 exec, exec, s[6:7]
	s_and_saveexec_b64 s[6:7], s[4:5]
	s_cbranch_execz .LBB14_172
.LBB14_171:
	v_bfe_u32 v2, v7, 8, 3
	v_ffbh_u32_e32 v11, v2
	v_min_u32_e32 v11, 32, v11
	v_lshrrev_b16_e32 v10, 3, v6
	v_subrev_u32_e32 v12, 28, v11
	v_and_b32_e32 v10, 15, v10
	v_lshlrev_b32_e32 v6, v12, v6
	v_sub_u32_e32 v11, 29, v11
	v_and_b32_e32 v6, 7, v6
	v_cmp_eq_u16_e32 vcc, 0, v10
	v_cndmask_b32_e32 v2, v2, v6, vcc
	v_cndmask_b32_e32 v6, v10, v11, vcc
	v_lshlrev_b32_e32 v10, 16, v7
	v_mov_b32_e32 v11, 0x3b800000
	v_lshlrev_b32_e32 v2, 20, v2
	v_and_b32_e32 v10, 0x80000000, v10
	v_lshl_add_u32 v6, v6, 23, v11
	v_or3_b32 v2, v10, v6, v2
.LBB14_172:
	s_or_b64 exec, exec, s[6:7]
	v_lshrrev_b32_e32 v6, 8, v3
	s_movk_i32 s4, 0x7f
	v_cmp_gt_i16_sdwa s[6:7], v6, s4 src0_sel:BYTE_0 src1_sel:DWORD
	s_mov_b64 s[4:5], 0
                                        ; implicit-def: $sgpr10
	s_and_saveexec_b64 s[8:9], s[6:7]
	s_xor_b64 s[6:7], exec, s[8:9]
	s_cbranch_execnz .LBB14_2221
; %bb.173:
	s_or_saveexec_b64 s[6:7], s[6:7]
	v_mov_b32_e32 v10, s10
	s_xor_b64 exec, exec, s[6:7]
	s_cbranch_execnz .LBB14_2224
.LBB14_174:
	s_or_b64 exec, exec, s[6:7]
	s_and_saveexec_b64 s[6:7], s[4:5]
	s_cbranch_execz .LBB14_176
.LBB14_175:
	v_bfe_u32 v10, v3, 8, 3
	v_ffbh_u32_e32 v12, v10
	v_min_u32_e32 v12, 32, v12
	v_lshrrev_b16_e32 v11, 3, v6
	v_subrev_u32_e32 v13, 28, v12
	v_and_b32_e32 v11, 15, v11
	v_lshlrev_b32_e32 v6, v13, v6
	v_sub_u32_e32 v12, 29, v12
	v_and_b32_e32 v6, 7, v6
	v_cmp_eq_u16_e32 vcc, 0, v11
	v_cndmask_b32_e32 v6, v10, v6, vcc
	v_cndmask_b32_e32 v10, v11, v12, vcc
	v_lshlrev_b32_e32 v11, 16, v3
	v_mov_b32_e32 v12, 0x3b800000
	v_lshlrev_b32_e32 v6, 20, v6
	v_and_b32_e32 v11, 0x80000000, v11
	v_lshl_add_u32 v10, v10, 23, v12
	v_or3_b32 v10, v11, v10, v6
.LBB14_176:
	s_or_b64 exec, exec, s[6:7]
	s_nop 0
	v_mfma_f32_16x16x4f32 a[0:3], v2, v10, a[0:3]
	s_movk_i32 s4, 0xff
	v_and_b32_sdwa v6, v7, s4 dst_sel:DWORD dst_unused:UNUSED_PAD src0_sel:WORD_1 src1_sel:DWORD
	s_movk_i32 s4, 0x7f
	v_cmp_lt_i16_e32 vcc, s4, v6
	s_mov_b64 s[4:5], 0
                                        ; implicit-def: $sgpr10
	s_and_saveexec_b64 s[6:7], vcc
	s_xor_b64 s[6:7], exec, s[6:7]
	s_cbranch_execnz .LBB14_2225
; %bb.177:
	s_or_saveexec_b64 s[6:7], s[6:7]
	v_mov_b32_e32 v2, s10
	s_xor_b64 exec, exec, s[6:7]
	s_cbranch_execnz .LBB14_2228
.LBB14_178:
	s_or_b64 exec, exec, s[6:7]
	s_and_saveexec_b64 s[6:7], s[4:5]
	s_cbranch_execz .LBB14_180
.LBB14_179:
	v_bfe_u32 v2, v7, 16, 3
	v_ffbh_u32_e32 v11, v2
	v_min_u32_e32 v11, 32, v11
	v_lshrrev_b32_e32 v6, 19, v7
	v_subrev_u32_e32 v12, 28, v11
	v_and_b32_e32 v6, 15, v6
	v_lshlrev_b32_sdwa v12, v12, v7 dst_sel:DWORD dst_unused:UNUSED_PAD src0_sel:DWORD src1_sel:WORD_1
	v_bfe_u32 v10, v7, 19, 4
	v_sub_u32_e32 v11, 29, v11
	v_and_b32_e32 v12, 7, v12
	v_cmp_eq_u16_e32 vcc, 0, v6
	v_cndmask_b32_e32 v2, v2, v12, vcc
	v_cndmask_b32_e32 v6, v10, v11, vcc
	v_lshlrev_b32_e32 v10, 8, v7
	v_mov_b32_e32 v11, 0x3b800000
	v_lshlrev_b32_e32 v2, 20, v2
	v_and_b32_e32 v10, 0x80000000, v10
	v_lshl_add_u32 v6, v6, 23, v11
	v_or3_b32 v2, v10, v6, v2
.LBB14_180:
	s_or_b64 exec, exec, s[6:7]
	s_movk_i32 s4, 0xff
	v_and_b32_sdwa v6, v3, s4 dst_sel:DWORD dst_unused:UNUSED_PAD src0_sel:WORD_1 src1_sel:DWORD
	s_movk_i32 s4, 0x7f
	v_cmp_lt_i16_e32 vcc, s4, v6
	s_mov_b64 s[4:5], 0
                                        ; implicit-def: $sgpr10
	s_and_saveexec_b64 s[6:7], vcc
	s_xor_b64 s[6:7], exec, s[6:7]
	s_cbranch_execnz .LBB14_2229
; %bb.181:
	s_or_saveexec_b64 s[6:7], s[6:7]
	v_mov_b32_e32 v10, s10
	s_xor_b64 exec, exec, s[6:7]
	s_cbranch_execnz .LBB14_2232
.LBB14_182:
	s_or_b64 exec, exec, s[6:7]
	s_and_saveexec_b64 s[6:7], s[4:5]
	s_cbranch_execz .LBB14_184
.LBB14_183:
	v_bfe_u32 v6, v3, 16, 3
	v_ffbh_u32_e32 v12, v6
	v_min_u32_e32 v12, 32, v12
	v_lshrrev_b32_e32 v10, 19, v3
	v_subrev_u32_e32 v13, 28, v12
	v_and_b32_e32 v10, 15, v10
	v_lshlrev_b32_sdwa v13, v13, v3 dst_sel:DWORD dst_unused:UNUSED_PAD src0_sel:DWORD src1_sel:WORD_1
	v_bfe_u32 v11, v3, 19, 4
	v_sub_u32_e32 v12, 29, v12
	v_and_b32_e32 v13, 7, v13
	v_cmp_eq_u16_e32 vcc, 0, v10
	v_cndmask_b32_e32 v6, v6, v13, vcc
	v_cndmask_b32_e32 v10, v11, v12, vcc
	v_lshlrev_b32_e32 v11, 8, v3
	v_mov_b32_e32 v12, 0x3b800000
	v_lshlrev_b32_e32 v6, 20, v6
	v_and_b32_e32 v11, 0x80000000, v11
	v_lshl_add_u32 v10, v10, 23, v12
	v_or3_b32 v10, v11, v10, v6
.LBB14_184:
	s_or_b64 exec, exec, s[6:7]
	s_nop 0
	v_mfma_f32_16x16x4f32 a[0:3], v2, v10, a[0:3]
	s_movk_i32 s4, 0x7f
	v_cmp_gt_i16_sdwa s[6:7], v7, s4 src0_sel:BYTE_3 src1_sel:DWORD
	s_mov_b64 s[4:5], 0
                                        ; implicit-def: $sgpr10
	s_and_saveexec_b64 s[8:9], s[6:7]
	s_xor_b64 s[6:7], exec, s[8:9]
	s_cbranch_execnz .LBB14_2233
; %bb.185:
	s_or_saveexec_b64 s[6:7], s[6:7]
	v_mov_b32_e32 v2, s10
	s_xor_b64 exec, exec, s[6:7]
	s_cbranch_execnz .LBB14_2236
.LBB14_186:
	s_or_b64 exec, exec, s[6:7]
	s_and_saveexec_b64 s[6:7], s[4:5]
	s_cbranch_execz .LBB14_188
.LBB14_187:
	v_bfe_u32 v2, v7, 24, 3
	v_ffbh_u32_e32 v12, v2
	v_min_u32_e32 v12, 32, v12
	v_lshrrev_b32_e32 v10, 27, v7
	v_subrev_u32_e32 v13, 28, v12
	v_and_b32_e32 v6, 0x80000000, v7
	v_and_b32_e32 v10, 15, v10
	v_bfe_u32 v11, v7, 27, 4
	v_lshlrev_b32_sdwa v7, v13, v7 dst_sel:DWORD dst_unused:UNUSED_PAD src0_sel:DWORD src1_sel:BYTE_3
	v_sub_u32_e32 v12, 29, v12
	v_and_b32_e32 v7, 7, v7
	v_cmp_eq_u16_e32 vcc, 0, v10
	v_cndmask_b32_e32 v2, v2, v7, vcc
	v_cndmask_b32_e32 v7, v11, v12, vcc
	v_mov_b32_e32 v10, 0x3b800000
	v_lshlrev_b32_e32 v2, 20, v2
	v_lshl_add_u32 v7, v7, 23, v10
	v_or3_b32 v2, v6, v7, v2
.LBB14_188:
	s_or_b64 exec, exec, s[6:7]
	s_movk_i32 s4, 0x7f
	v_cmp_gt_i16_sdwa s[6:7], v3, s4 src0_sel:BYTE_3 src1_sel:DWORD
	s_mov_b64 s[4:5], 0
                                        ; implicit-def: $sgpr10
	s_and_saveexec_b64 s[8:9], s[6:7]
	s_xor_b64 s[6:7], exec, s[8:9]
	s_cbranch_execnz .LBB14_2237
; %bb.189:
	s_or_saveexec_b64 s[6:7], s[6:7]
	v_mov_b32_e32 v6, s10
	s_xor_b64 exec, exec, s[6:7]
	s_cbranch_execnz .LBB14_2240
.LBB14_190:
	s_or_b64 exec, exec, s[6:7]
	s_and_saveexec_b64 s[6:7], s[4:5]
	s_cbranch_execz .LBB14_192
.LBB14_191:
	v_bfe_u32 v6, v3, 24, 3
	v_ffbh_u32_e32 v12, v6
	v_min_u32_e32 v12, 32, v12
	v_lshrrev_b32_e32 v10, 27, v3
	v_subrev_u32_e32 v13, 28, v12
	v_and_b32_e32 v7, 0x80000000, v3
	v_and_b32_e32 v10, 15, v10
	v_bfe_u32 v11, v3, 27, 4
	v_lshlrev_b32_sdwa v3, v13, v3 dst_sel:DWORD dst_unused:UNUSED_PAD src0_sel:DWORD src1_sel:BYTE_3
	v_sub_u32_e32 v12, 29, v12
	v_and_b32_e32 v3, 7, v3
	v_cmp_eq_u16_e32 vcc, 0, v10
	v_cndmask_b32_e32 v3, v6, v3, vcc
	v_cndmask_b32_e32 v6, v11, v12, vcc
	v_mov_b32_e32 v10, 0x3b800000
	v_lshlrev_b32_e32 v3, 20, v3
	v_lshl_add_u32 v6, v6, 23, v10
	v_or3_b32 v6, v7, v6, v3
.LBB14_192:
	s_or_b64 exec, exec, s[6:7]
	s_nop 0
	v_mfma_f32_16x16x4f32 a[0:3], v2, v6, a[0:3]
	s_movk_i32 s4, 0x7f
	v_cmp_gt_i16_sdwa s[6:7], v8, s4 src0_sel:BYTE_0 src1_sel:DWORD
	s_mov_b64 s[4:5], 0
                                        ; implicit-def: $sgpr10
	s_and_saveexec_b64 s[8:9], s[6:7]
	s_xor_b64 s[6:7], exec, s[8:9]
	s_cbranch_execnz .LBB14_2241
; %bb.193:
	s_or_saveexec_b64 s[6:7], s[6:7]
	v_mov_b32_e32 v2, s10
	s_xor_b64 exec, exec, s[6:7]
	s_cbranch_execnz .LBB14_2244
.LBB14_194:
	s_or_b64 exec, exec, s[6:7]
	s_and_saveexec_b64 s[6:7], s[4:5]
	s_cbranch_execz .LBB14_196
.LBB14_195:
	v_and_b32_e32 v2, 7, v8
	v_ffbh_u32_e32 v6, v2
	v_min_u32_e32 v6, 32, v6
	v_lshrrev_b16_e32 v3, 3, v8
	v_subrev_u32_e32 v7, 28, v6
	v_and_b32_e32 v3, 15, v3
	v_lshlrev_b32_e32 v7, v7, v8
	v_sub_u32_e32 v6, 29, v6
	v_and_b32_e32 v7, 7, v7
	v_cmp_eq_u16_e32 vcc, 0, v3
	v_cndmask_b32_e32 v2, v2, v7, vcc
	v_cndmask_b32_e32 v3, v3, v6, vcc
	v_lshlrev_b32_e32 v6, 24, v8
	v_mov_b32_e32 v7, 0x3b800000
	v_lshlrev_b32_e32 v2, 20, v2
	v_and_b32_e32 v6, 0x80000000, v6
	v_lshl_add_u32 v3, v3, 23, v7
	v_or3_b32 v2, v6, v3, v2
.LBB14_196:
	s_or_b64 exec, exec, s[6:7]
	s_movk_i32 s4, 0x7f
	v_cmp_gt_i16_sdwa s[6:7], v4, s4 src0_sel:BYTE_0 src1_sel:DWORD
	s_mov_b64 s[4:5], 0
                                        ; implicit-def: $sgpr10
	s_and_saveexec_b64 s[8:9], s[6:7]
	s_xor_b64 s[6:7], exec, s[8:9]
	s_cbranch_execnz .LBB14_2245
; %bb.197:
	s_or_saveexec_b64 s[6:7], s[6:7]
	v_mov_b32_e32 v3, s10
	s_xor_b64 exec, exec, s[6:7]
	s_cbranch_execnz .LBB14_2248
.LBB14_198:
	s_or_b64 exec, exec, s[6:7]
	s_and_saveexec_b64 s[6:7], s[4:5]
	s_cbranch_execz .LBB14_200
.LBB14_199:
	v_and_b32_e32 v3, 7, v4
	v_ffbh_u32_e32 v7, v3
	v_min_u32_e32 v7, 32, v7
	v_lshrrev_b16_e32 v6, 3, v4
	v_subrev_u32_e32 v10, 28, v7
	v_and_b32_e32 v6, 15, v6
	v_lshlrev_b32_e32 v10, v10, v4
	v_sub_u32_e32 v7, 29, v7
	v_and_b32_e32 v10, 7, v10
	v_cmp_eq_u16_e32 vcc, 0, v6
	v_cndmask_b32_e32 v3, v3, v10, vcc
	v_cndmask_b32_e32 v6, v6, v7, vcc
	v_lshlrev_b32_e32 v7, 24, v4
	v_mov_b32_e32 v10, 0x3b800000
	v_lshlrev_b32_e32 v3, 20, v3
	v_and_b32_e32 v7, 0x80000000, v7
	v_lshl_add_u32 v6, v6, 23, v10
	v_or3_b32 v3, v7, v6, v3
.LBB14_200:
	s_or_b64 exec, exec, s[6:7]
	s_nop 0
	v_mfma_f32_16x16x4f32 a[0:3], v2, v3, a[0:3]
	v_lshrrev_b32_e32 v3, 8, v8
	s_movk_i32 s4, 0x7f
	v_cmp_gt_i16_sdwa s[6:7], v3, s4 src0_sel:BYTE_0 src1_sel:DWORD
	s_mov_b64 s[4:5], 0
                                        ; implicit-def: $sgpr10
	s_and_saveexec_b64 s[8:9], s[6:7]
	s_xor_b64 s[6:7], exec, s[8:9]
	s_cbranch_execnz .LBB14_2249
; %bb.201:
	s_or_saveexec_b64 s[6:7], s[6:7]
	v_mov_b32_e32 v2, s10
	s_xor_b64 exec, exec, s[6:7]
	s_cbranch_execnz .LBB14_2252
.LBB14_202:
	s_or_b64 exec, exec, s[6:7]
	s_and_saveexec_b64 s[6:7], s[4:5]
	s_cbranch_execz .LBB14_204
.LBB14_203:
	v_bfe_u32 v2, v8, 8, 3
	v_ffbh_u32_e32 v7, v2
	v_min_u32_e32 v7, 32, v7
	v_lshrrev_b16_e32 v6, 3, v3
	v_subrev_u32_e32 v10, 28, v7
	v_and_b32_e32 v6, 15, v6
	v_lshlrev_b32_e32 v3, v10, v3
	v_sub_u32_e32 v7, 29, v7
	v_and_b32_e32 v3, 7, v3
	v_cmp_eq_u16_e32 vcc, 0, v6
	v_cndmask_b32_e32 v2, v2, v3, vcc
	v_cndmask_b32_e32 v3, v6, v7, vcc
	v_lshlrev_b32_e32 v6, 16, v8
	v_mov_b32_e32 v7, 0x3b800000
	v_lshlrev_b32_e32 v2, 20, v2
	v_and_b32_e32 v6, 0x80000000, v6
	v_lshl_add_u32 v3, v3, 23, v7
	v_or3_b32 v2, v6, v3, v2
.LBB14_204:
	s_or_b64 exec, exec, s[6:7]
	v_lshrrev_b32_e32 v3, 8, v4
	s_movk_i32 s4, 0x7f
	v_cmp_gt_i16_sdwa s[6:7], v3, s4 src0_sel:BYTE_0 src1_sel:DWORD
	s_mov_b64 s[4:5], 0
                                        ; implicit-def: $sgpr10
	s_and_saveexec_b64 s[8:9], s[6:7]
	s_xor_b64 s[6:7], exec, s[8:9]
	s_cbranch_execnz .LBB14_2253
; %bb.205:
	s_or_saveexec_b64 s[6:7], s[6:7]
	v_mov_b32_e32 v6, s10
	s_xor_b64 exec, exec, s[6:7]
	s_cbranch_execnz .LBB14_2256
.LBB14_206:
	s_or_b64 exec, exec, s[6:7]
	s_and_saveexec_b64 s[6:7], s[4:5]
	s_cbranch_execz .LBB14_208
.LBB14_207:
	v_bfe_u32 v6, v4, 8, 3
	v_ffbh_u32_e32 v10, v6
	v_min_u32_e32 v10, 32, v10
	v_lshrrev_b16_e32 v7, 3, v3
	v_subrev_u32_e32 v11, 28, v10
	v_and_b32_e32 v7, 15, v7
	v_lshlrev_b32_e32 v3, v11, v3
	v_sub_u32_e32 v10, 29, v10
	v_and_b32_e32 v3, 7, v3
	v_cmp_eq_u16_e32 vcc, 0, v7
	v_cndmask_b32_e32 v3, v6, v3, vcc
	v_cndmask_b32_e32 v6, v7, v10, vcc
	v_lshlrev_b32_e32 v7, 16, v4
	v_mov_b32_e32 v10, 0x3b800000
	v_lshlrev_b32_e32 v3, 20, v3
	v_and_b32_e32 v7, 0x80000000, v7
	v_lshl_add_u32 v6, v6, 23, v10
	v_or3_b32 v6, v7, v6, v3
.LBB14_208:
	s_or_b64 exec, exec, s[6:7]
	s_nop 0
	v_mfma_f32_16x16x4f32 a[0:3], v2, v6, a[0:3]
	s_movk_i32 s4, 0xff
	v_and_b32_sdwa v3, v8, s4 dst_sel:DWORD dst_unused:UNUSED_PAD src0_sel:WORD_1 src1_sel:DWORD
	s_movk_i32 s4, 0x7f
	v_cmp_lt_i16_e32 vcc, s4, v3
	s_mov_b64 s[4:5], 0
                                        ; implicit-def: $sgpr10
	s_and_saveexec_b64 s[6:7], vcc
	s_xor_b64 s[6:7], exec, s[6:7]
	s_cbranch_execnz .LBB14_2257
; %bb.209:
	s_or_saveexec_b64 s[6:7], s[6:7]
	v_mov_b32_e32 v2, s10
	s_xor_b64 exec, exec, s[6:7]
	s_cbranch_execnz .LBB14_2260
.LBB14_210:
	s_or_b64 exec, exec, s[6:7]
	s_and_saveexec_b64 s[6:7], s[4:5]
	s_cbranch_execz .LBB14_212
.LBB14_211:
	v_bfe_u32 v2, v8, 16, 3
	v_ffbh_u32_e32 v7, v2
	v_min_u32_e32 v7, 32, v7
	v_lshrrev_b32_e32 v3, 19, v8
	v_subrev_u32_e32 v10, 28, v7
	v_and_b32_e32 v3, 15, v3
	v_lshlrev_b32_sdwa v10, v10, v8 dst_sel:DWORD dst_unused:UNUSED_PAD src0_sel:DWORD src1_sel:WORD_1
	v_bfe_u32 v6, v8, 19, 4
	v_sub_u32_e32 v7, 29, v7
	v_and_b32_e32 v10, 7, v10
	v_cmp_eq_u16_e32 vcc, 0, v3
	v_cndmask_b32_e32 v2, v2, v10, vcc
	v_cndmask_b32_e32 v3, v6, v7, vcc
	v_lshlrev_b32_e32 v6, 8, v8
	v_mov_b32_e32 v7, 0x3b800000
	v_lshlrev_b32_e32 v2, 20, v2
	v_and_b32_e32 v6, 0x80000000, v6
	v_lshl_add_u32 v3, v3, 23, v7
	v_or3_b32 v2, v6, v3, v2
.LBB14_212:
	s_or_b64 exec, exec, s[6:7]
	s_movk_i32 s4, 0xff
	v_and_b32_sdwa v3, v4, s4 dst_sel:DWORD dst_unused:UNUSED_PAD src0_sel:WORD_1 src1_sel:DWORD
	s_movk_i32 s4, 0x7f
	v_cmp_lt_i16_e32 vcc, s4, v3
	s_mov_b64 s[4:5], 0
                                        ; implicit-def: $sgpr10
	s_and_saveexec_b64 s[6:7], vcc
	s_xor_b64 s[6:7], exec, s[6:7]
	s_cbranch_execnz .LBB14_2261
; %bb.213:
	s_or_saveexec_b64 s[6:7], s[6:7]
	v_mov_b32_e32 v6, s10
	s_xor_b64 exec, exec, s[6:7]
	s_cbranch_execnz .LBB14_2264
.LBB14_214:
	s_or_b64 exec, exec, s[6:7]
	s_and_saveexec_b64 s[6:7], s[4:5]
	s_cbranch_execz .LBB14_216
.LBB14_215:
	v_bfe_u32 v3, v4, 16, 3
	v_ffbh_u32_e32 v10, v3
	v_min_u32_e32 v10, 32, v10
	v_lshrrev_b32_e32 v6, 19, v4
	v_subrev_u32_e32 v11, 28, v10
	v_and_b32_e32 v6, 15, v6
	v_lshlrev_b32_sdwa v11, v11, v4 dst_sel:DWORD dst_unused:UNUSED_PAD src0_sel:DWORD src1_sel:WORD_1
	v_bfe_u32 v7, v4, 19, 4
	v_sub_u32_e32 v10, 29, v10
	v_and_b32_e32 v11, 7, v11
	v_cmp_eq_u16_e32 vcc, 0, v6
	v_cndmask_b32_e32 v3, v3, v11, vcc
	v_cndmask_b32_e32 v6, v7, v10, vcc
	v_lshlrev_b32_e32 v7, 8, v4
	v_mov_b32_e32 v10, 0x3b800000
	v_lshlrev_b32_e32 v3, 20, v3
	v_and_b32_e32 v7, 0x80000000, v7
	v_lshl_add_u32 v6, v6, 23, v10
	v_or3_b32 v6, v7, v6, v3
.LBB14_216:
	s_or_b64 exec, exec, s[6:7]
	s_nop 0
	v_mfma_f32_16x16x4f32 a[0:3], v2, v6, a[0:3]
	s_movk_i32 s4, 0x7f
	v_cmp_gt_i16_sdwa s[6:7], v8, s4 src0_sel:BYTE_3 src1_sel:DWORD
	s_mov_b64 s[4:5], 0
                                        ; implicit-def: $sgpr10
	s_and_saveexec_b64 s[8:9], s[6:7]
	s_xor_b64 s[6:7], exec, s[8:9]
	s_cbranch_execnz .LBB14_2265
; %bb.217:
	s_or_saveexec_b64 s[6:7], s[6:7]
	v_mov_b32_e32 v2, s10
	s_xor_b64 exec, exec, s[6:7]
	s_cbranch_execnz .LBB14_2268
.LBB14_218:
	s_or_b64 exec, exec, s[6:7]
	s_and_saveexec_b64 s[6:7], s[4:5]
	s_cbranch_execz .LBB14_220
.LBB14_219:
	v_bfe_u32 v2, v8, 24, 3
	v_ffbh_u32_e32 v10, v2
	v_min_u32_e32 v10, 32, v10
	v_lshrrev_b32_e32 v6, 27, v8
	v_subrev_u32_e32 v11, 28, v10
	v_and_b32_e32 v3, 0x80000000, v8
	v_and_b32_e32 v6, 15, v6
	v_bfe_u32 v7, v8, 27, 4
	v_lshlrev_b32_sdwa v8, v11, v8 dst_sel:DWORD dst_unused:UNUSED_PAD src0_sel:DWORD src1_sel:BYTE_3
	v_sub_u32_e32 v10, 29, v10
	v_and_b32_e32 v8, 7, v8
	v_cmp_eq_u16_e32 vcc, 0, v6
	v_cndmask_b32_e32 v2, v2, v8, vcc
	v_cndmask_b32_e32 v6, v7, v10, vcc
	v_mov_b32_e32 v7, 0x3b800000
	v_lshlrev_b32_e32 v2, 20, v2
	v_lshl_add_u32 v6, v6, 23, v7
	v_or3_b32 v2, v3, v6, v2
.LBB14_220:
	s_or_b64 exec, exec, s[6:7]
	s_movk_i32 s4, 0x7f
	v_cmp_gt_i16_sdwa s[6:7], v4, s4 src0_sel:BYTE_3 src1_sel:DWORD
	s_mov_b64 s[4:5], 0
                                        ; implicit-def: $sgpr10
	s_and_saveexec_b64 s[8:9], s[6:7]
	s_xor_b64 s[6:7], exec, s[8:9]
	s_cbranch_execnz .LBB14_2269
; %bb.221:
	s_or_saveexec_b64 s[6:7], s[6:7]
	v_mov_b32_e32 v3, s10
	s_xor_b64 exec, exec, s[6:7]
	s_cbranch_execnz .LBB14_2272
.LBB14_222:
	s_or_b64 exec, exec, s[6:7]
	s_and_saveexec_b64 s[6:7], s[4:5]
	s_cbranch_execz .LBB14_224
.LBB14_223:
	v_bfe_u32 v3, v4, 24, 3
	v_ffbh_u32_e32 v10, v3
	v_min_u32_e32 v10, 32, v10
	v_lshrrev_b32_e32 v7, 27, v4
	v_subrev_u32_e32 v11, 28, v10
	v_and_b32_e32 v6, 0x80000000, v4
	v_and_b32_e32 v7, 15, v7
	v_bfe_u32 v8, v4, 27, 4
	v_lshlrev_b32_sdwa v4, v11, v4 dst_sel:DWORD dst_unused:UNUSED_PAD src0_sel:DWORD src1_sel:BYTE_3
	v_sub_u32_e32 v10, 29, v10
	v_and_b32_e32 v4, 7, v4
	v_cmp_eq_u16_e32 vcc, 0, v7
	v_cndmask_b32_e32 v3, v3, v4, vcc
	v_cndmask_b32_e32 v4, v8, v10, vcc
	v_mov_b32_e32 v7, 0x3b800000
	v_lshlrev_b32_e32 v3, 20, v3
	v_lshl_add_u32 v4, v4, 23, v7
	v_or3_b32 v3, v6, v4, v3
.LBB14_224:
	s_or_b64 exec, exec, s[6:7]
	s_nop 0
	v_mfma_f32_16x16x4f32 a[0:3], v2, v3, a[0:3]
	s_movk_i32 s4, 0x7f
	v_cmp_gt_i16_sdwa s[6:7], v9, s4 src0_sel:BYTE_0 src1_sel:DWORD
	s_mov_b64 s[4:5], 0
                                        ; implicit-def: $sgpr10
	s_and_saveexec_b64 s[8:9], s[6:7]
	s_xor_b64 s[6:7], exec, s[8:9]
	s_cbranch_execnz .LBB14_2273
; %bb.225:
	s_or_saveexec_b64 s[6:7], s[6:7]
	v_mov_b32_e32 v2, s10
	s_xor_b64 exec, exec, s[6:7]
	s_cbranch_execnz .LBB14_2276
.LBB14_226:
	s_or_b64 exec, exec, s[6:7]
	s_and_saveexec_b64 s[6:7], s[4:5]
	s_cbranch_execz .LBB14_228
.LBB14_227:
	v_mov_b32_e32 v2, 8
	v_and_b32_e32 v3, 7, v9
	v_lshrrev_b32_sdwa v2, v2, v9 dst_sel:BYTE_1 dst_unused:UNUSED_PAD src0_sel:DWORD src1_sel:DWORD
	v_ffbh_u32_e32 v4, v3
	v_or_b32_sdwa v2, v9, v2 dst_sel:DWORD dst_unused:UNUSED_PAD src0_sel:BYTE_0 src1_sel:DWORD
	v_min_u32_e32 v4, 32, v4
	v_lshrrev_b16_e32 v2, 3, v2
	v_subrev_u32_e32 v6, 28, v4
	v_and_b32_e32 v2, 15, v2
	v_lshlrev_b32_e32 v6, v6, v9
	v_sub_u32_e32 v4, 29, v4
	v_and_b32_e32 v6, 7, v6
	v_cmp_eq_u16_e32 vcc, 0, v2
	v_cndmask_b32_e32 v3, v3, v6, vcc
	v_cndmask_b32_e32 v2, v2, v4, vcc
	v_lshlrev_b32_e32 v4, 24, v9
	v_mov_b32_e32 v6, 0x3b800000
	v_lshlrev_b32_e32 v3, 20, v3
	v_and_b32_e32 v4, 0x80000000, v4
	v_lshl_add_u32 v2, v2, 23, v6
	v_or3_b32 v2, v4, v2, v3
.LBB14_228:
	s_or_b64 exec, exec, s[6:7]
	s_movk_i32 s4, 0x7f
	v_cmp_gt_i16_sdwa s[6:7], v5, s4 src0_sel:BYTE_0 src1_sel:DWORD
	s_mov_b64 s[4:5], 0
                                        ; implicit-def: $sgpr10
	s_and_saveexec_b64 s[8:9], s[6:7]
	s_xor_b64 s[6:7], exec, s[8:9]
	s_cbranch_execnz .LBB14_2277
; %bb.229:
	s_or_saveexec_b64 s[6:7], s[6:7]
	v_mov_b32_e32 v3, s10
	s_xor_b64 exec, exec, s[6:7]
	s_cbranch_execnz .LBB14_2280
.LBB14_230:
	s_or_b64 exec, exec, s[6:7]
	s_and_saveexec_b64 s[6:7], s[4:5]
	s_cbranch_execz .LBB14_232
.LBB14_231:
	v_mov_b32_e32 v3, 8
	v_and_b32_e32 v4, 7, v5
	v_lshrrev_b32_sdwa v3, v3, v5 dst_sel:BYTE_1 dst_unused:UNUSED_PAD src0_sel:DWORD src1_sel:DWORD
	v_ffbh_u32_e32 v6, v4
	v_or_b32_sdwa v3, v5, v3 dst_sel:DWORD dst_unused:UNUSED_PAD src0_sel:BYTE_0 src1_sel:DWORD
	v_min_u32_e32 v6, 32, v6
	v_lshrrev_b16_e32 v3, 3, v3
	v_subrev_u32_e32 v7, 28, v6
	v_and_b32_e32 v3, 15, v3
	v_lshlrev_b32_e32 v7, v7, v5
	v_sub_u32_e32 v6, 29, v6
	v_and_b32_e32 v7, 7, v7
	v_cmp_eq_u16_e32 vcc, 0, v3
	v_cndmask_b32_e32 v4, v4, v7, vcc
	v_cndmask_b32_e32 v3, v3, v6, vcc
	v_lshlrev_b32_e32 v6, 24, v5
	v_mov_b32_e32 v7, 0x3b800000
	v_lshlrev_b32_e32 v4, 20, v4
	v_and_b32_e32 v6, 0x80000000, v6
	v_lshl_add_u32 v3, v3, 23, v7
	v_or3_b32 v3, v6, v3, v4
.LBB14_232:
	s_or_b64 exec, exec, s[6:7]
	s_nop 0
	v_mfma_f32_16x16x4f32 a[0:3], v2, v3, a[0:3]
	v_lshrrev_b32_e32 v3, 8, v9
	s_movk_i32 s4, 0x7f
	v_cmp_gt_i16_sdwa s[6:7], v3, s4 src0_sel:BYTE_0 src1_sel:DWORD
	s_mov_b64 s[4:5], 0
                                        ; implicit-def: $sgpr10
	s_and_saveexec_b64 s[8:9], s[6:7]
	s_xor_b64 s[6:7], exec, s[8:9]
	s_cbranch_execnz .LBB14_2281
; %bb.233:
	s_or_saveexec_b64 s[6:7], s[6:7]
	v_mov_b32_e32 v2, s10
	s_xor_b64 exec, exec, s[6:7]
	s_cbranch_execnz .LBB14_2284
.LBB14_234:
	s_or_b64 exec, exec, s[6:7]
	s_and_saveexec_b64 s[6:7], s[4:5]
	s_cbranch_execz .LBB14_236
.LBB14_235:
	v_bfe_u32 v2, v9, 8, 3
	v_ffbh_u32_e32 v6, v2
	v_min_u32_e32 v6, 32, v6
	v_lshrrev_b16_e32 v4, 3, v3
	v_subrev_u32_e32 v7, 28, v6
	v_and_b32_e32 v4, 15, v4
	v_lshlrev_b32_e32 v3, v7, v3
	v_sub_u32_e32 v6, 29, v6
	v_and_b32_e32 v3, 7, v3
	v_cmp_eq_u16_e32 vcc, 0, v4
	v_cndmask_b32_e32 v2, v2, v3, vcc
	v_cndmask_b32_e32 v3, v4, v6, vcc
	v_lshlrev_b32_e32 v4, 16, v9
	v_mov_b32_e32 v6, 0x3b800000
	v_lshlrev_b32_e32 v2, 20, v2
	v_and_b32_e32 v4, 0x80000000, v4
	v_lshl_add_u32 v3, v3, 23, v6
	v_or3_b32 v2, v4, v3, v2
.LBB14_236:
	s_or_b64 exec, exec, s[6:7]
	v_lshrrev_b32_e32 v3, 8, v5
	s_movk_i32 s4, 0x7f
	v_cmp_gt_i16_sdwa s[6:7], v3, s4 src0_sel:BYTE_0 src1_sel:DWORD
	s_mov_b64 s[4:5], 0
                                        ; implicit-def: $sgpr10
	s_and_saveexec_b64 s[8:9], s[6:7]
	s_xor_b64 s[6:7], exec, s[8:9]
	s_cbranch_execnz .LBB14_2285
; %bb.237:
	s_or_saveexec_b64 s[6:7], s[6:7]
	v_mov_b32_e32 v4, s10
	s_xor_b64 exec, exec, s[6:7]
	s_cbranch_execnz .LBB14_2288
.LBB14_238:
	s_or_b64 exec, exec, s[6:7]
	s_and_saveexec_b64 s[6:7], s[4:5]
	s_cbranch_execz .LBB14_240
.LBB14_239:
	v_bfe_u32 v4, v5, 8, 3
	v_ffbh_u32_e32 v7, v4
	v_min_u32_e32 v7, 32, v7
	v_lshrrev_b16_e32 v6, 3, v3
	v_subrev_u32_e32 v8, 28, v7
	v_and_b32_e32 v6, 15, v6
	v_lshlrev_b32_e32 v3, v8, v3
	v_sub_u32_e32 v7, 29, v7
	v_and_b32_e32 v3, 7, v3
	v_cmp_eq_u16_e32 vcc, 0, v6
	v_cndmask_b32_e32 v3, v4, v3, vcc
	v_cndmask_b32_e32 v4, v6, v7, vcc
	v_lshlrev_b32_e32 v6, 16, v5
	v_mov_b32_e32 v7, 0x3b800000
	v_lshlrev_b32_e32 v3, 20, v3
	v_and_b32_e32 v6, 0x80000000, v6
	v_lshl_add_u32 v4, v4, 23, v7
	v_or3_b32 v4, v6, v4, v3
.LBB14_240:
	s_or_b64 exec, exec, s[6:7]
	s_nop 0
	v_mfma_f32_16x16x4f32 a[0:3], v2, v4, a[0:3]
	s_movk_i32 s4, 0xff
	v_and_b32_sdwa v3, v9, s4 dst_sel:DWORD dst_unused:UNUSED_PAD src0_sel:WORD_1 src1_sel:DWORD
	s_movk_i32 s4, 0x7f
	v_cmp_lt_i16_e32 vcc, s4, v3
	s_mov_b64 s[4:5], 0
                                        ; implicit-def: $sgpr10
	s_and_saveexec_b64 s[6:7], vcc
	s_xor_b64 s[6:7], exec, s[6:7]
	s_cbranch_execnz .LBB14_2289
; %bb.241:
	s_or_saveexec_b64 s[6:7], s[6:7]
	v_mov_b32_e32 v2, s10
	s_xor_b64 exec, exec, s[6:7]
	s_cbranch_execnz .LBB14_2292
.LBB14_242:
	s_or_b64 exec, exec, s[6:7]
	s_and_saveexec_b64 s[6:7], s[4:5]
	s_cbranch_execz .LBB14_244
.LBB14_243:
	v_bfe_u32 v2, v9, 16, 3
	v_ffbh_u32_e32 v6, v2
	v_min_u32_e32 v6, 32, v6
	v_lshrrev_b32_e32 v3, 19, v9
	v_subrev_u32_e32 v7, 28, v6
	v_and_b32_e32 v3, 15, v3
	v_lshlrev_b32_sdwa v7, v7, v9 dst_sel:DWORD dst_unused:UNUSED_PAD src0_sel:DWORD src1_sel:WORD_1
	v_bfe_u32 v4, v9, 19, 4
	v_sub_u32_e32 v6, 29, v6
	v_and_b32_e32 v7, 7, v7
	v_cmp_eq_u16_e32 vcc, 0, v3
	v_cndmask_b32_e32 v2, v2, v7, vcc
	v_cndmask_b32_e32 v3, v4, v6, vcc
	v_lshlrev_b32_e32 v4, 8, v9
	v_mov_b32_e32 v6, 0x3b800000
	v_lshlrev_b32_e32 v2, 20, v2
	v_and_b32_e32 v4, 0x80000000, v4
	v_lshl_add_u32 v3, v3, 23, v6
	v_or3_b32 v2, v4, v3, v2
.LBB14_244:
	s_or_b64 exec, exec, s[6:7]
	s_movk_i32 s4, 0xff
	v_and_b32_sdwa v3, v5, s4 dst_sel:DWORD dst_unused:UNUSED_PAD src0_sel:WORD_1 src1_sel:DWORD
	s_movk_i32 s4, 0x7f
	v_cmp_lt_i16_e32 vcc, s4, v3
	s_mov_b64 s[4:5], 0
                                        ; implicit-def: $sgpr10
	s_and_saveexec_b64 s[6:7], vcc
	s_xor_b64 s[6:7], exec, s[6:7]
	s_cbranch_execnz .LBB14_2293
; %bb.245:
	s_or_saveexec_b64 s[6:7], s[6:7]
	v_mov_b32_e32 v4, s10
	s_xor_b64 exec, exec, s[6:7]
	s_cbranch_execnz .LBB14_2296
.LBB14_246:
	s_or_b64 exec, exec, s[6:7]
	s_and_saveexec_b64 s[6:7], s[4:5]
	s_cbranch_execz .LBB14_248
.LBB14_247:
	v_bfe_u32 v3, v5, 16, 3
	v_ffbh_u32_e32 v7, v3
	v_min_u32_e32 v7, 32, v7
	v_lshrrev_b32_e32 v4, 19, v5
	v_subrev_u32_e32 v8, 28, v7
	v_and_b32_e32 v4, 15, v4
	v_lshlrev_b32_sdwa v8, v8, v5 dst_sel:DWORD dst_unused:UNUSED_PAD src0_sel:DWORD src1_sel:WORD_1
	v_bfe_u32 v6, v5, 19, 4
	v_sub_u32_e32 v7, 29, v7
	v_and_b32_e32 v8, 7, v8
	v_cmp_eq_u16_e32 vcc, 0, v4
	v_cndmask_b32_e32 v3, v3, v8, vcc
	v_cndmask_b32_e32 v4, v6, v7, vcc
	v_lshlrev_b32_e32 v6, 8, v5
	v_mov_b32_e32 v7, 0x3b800000
	v_lshlrev_b32_e32 v3, 20, v3
	v_and_b32_e32 v6, 0x80000000, v6
	v_lshl_add_u32 v4, v4, 23, v7
	v_or3_b32 v4, v6, v4, v3
.LBB14_248:
	s_or_b64 exec, exec, s[6:7]
	s_nop 0
	v_mfma_f32_16x16x4f32 a[0:3], v2, v4, a[0:3]
	s_movk_i32 s4, 0x7f
	v_cmp_gt_i16_sdwa s[6:7], v9, s4 src0_sel:BYTE_3 src1_sel:DWORD
	s_mov_b64 s[4:5], 0
                                        ; implicit-def: $sgpr10
	s_and_saveexec_b64 s[8:9], s[6:7]
	s_xor_b64 s[6:7], exec, s[8:9]
	s_cbranch_execnz .LBB14_2297
; %bb.249:
	s_or_saveexec_b64 s[6:7], s[6:7]
	v_mov_b32_e32 v2, s10
	s_xor_b64 exec, exec, s[6:7]
	s_cbranch_execnz .LBB14_2300
.LBB14_250:
	s_or_b64 exec, exec, s[6:7]
	s_and_saveexec_b64 s[6:7], s[4:5]
	s_cbranch_execz .LBB14_252
.LBB14_251:
	v_bfe_u32 v2, v9, 24, 3
	v_ffbh_u32_e32 v7, v2
	v_min_u32_e32 v7, 32, v7
	v_lshrrev_b32_e32 v4, 27, v9
	v_subrev_u32_e32 v8, 28, v7
	v_and_b32_e32 v4, 15, v4
	v_lshlrev_b32_sdwa v8, v8, v9 dst_sel:DWORD dst_unused:UNUSED_PAD src0_sel:DWORD src1_sel:BYTE_3
	v_bfe_u32 v6, v9, 27, 4
	v_sub_u32_e32 v7, 29, v7
	v_and_b32_e32 v8, 7, v8
	v_cmp_eq_u16_e32 vcc, 0, v4
	v_cndmask_b32_e32 v2, v2, v8, vcc
	v_cndmask_b32_e32 v4, v6, v7, vcc
	v_mov_b32_e32 v6, 0x3b800000
	v_and_b32_e32 v3, 0x80000000, v9
	v_lshlrev_b32_e32 v2, 20, v2
	v_lshl_add_u32 v4, v4, 23, v6
	v_or3_b32 v2, v3, v4, v2
.LBB14_252:
	s_or_b64 exec, exec, s[6:7]
	s_movk_i32 s4, 0x7f
	v_cmp_gt_i16_sdwa s[6:7], v5, s4 src0_sel:BYTE_3 src1_sel:DWORD
	s_mov_b64 s[4:5], 0
                                        ; implicit-def: $sgpr10
	s_and_saveexec_b64 s[8:9], s[6:7]
	s_xor_b64 s[6:7], exec, s[8:9]
	s_cbranch_execnz .LBB14_2301
; %bb.253:
	s_or_saveexec_b64 s[6:7], s[6:7]
	v_mov_b32_e32 v3, s10
	s_xor_b64 exec, exec, s[6:7]
	s_cbranch_execnz .LBB14_2304
.LBB14_254:
	s_or_b64 exec, exec, s[6:7]
	s_and_saveexec_b64 s[6:7], s[4:5]
	s_cbranch_execz .LBB14_256
.LBB14_255:
	v_bfe_u32 v3, v5, 24, 3
	v_ffbh_u32_e32 v8, v3
	v_min_u32_e32 v8, 32, v8
	v_lshrrev_b32_e32 v6, 27, v5
	v_subrev_u32_e32 v9, 28, v8
	v_and_b32_e32 v4, 0x80000000, v5
	v_and_b32_e32 v6, 15, v6
	v_bfe_u32 v7, v5, 27, 4
	v_lshlrev_b32_sdwa v5, v9, v5 dst_sel:DWORD dst_unused:UNUSED_PAD src0_sel:DWORD src1_sel:BYTE_3
	v_sub_u32_e32 v8, 29, v8
	v_and_b32_e32 v5, 7, v5
	v_cmp_eq_u16_e32 vcc, 0, v6
	v_cndmask_b32_e32 v3, v3, v5, vcc
	v_cndmask_b32_e32 v5, v7, v8, vcc
	v_mov_b32_e32 v6, 0x3b800000
	v_lshlrev_b32_e32 v3, 20, v3
	v_lshl_add_u32 v5, v5, 23, v6
	v_or3_b32 v3, v4, v5, v3
.LBB14_256:
	s_or_b64 exec, exec, s[6:7]
	s_nop 0
	v_mfma_f32_16x16x4f32 a[0:3], v2, v3, a[0:3]
	s_movk_i32 s4, 0x7f
                                        ; implicit-def: $sgpr10
	s_nop 7
	s_nop 1
	flat_store_dwordx4 v[18:19], a[0:3] offset:512
	flat_load_dwordx4 v[20:23], v[0:1] offset:16
	s_nop 0
	flat_load_dwordx2 v[18:19], v[0:1] offset:32
	s_waitcnt vmcnt(0) lgkmcnt(0)
	flat_load_dwordx4 v[14:17], v[20:21]
	flat_load_dwordx4 v[6:9], v[20:21] offset:16
	flat_load_dwordx4 v[10:13], v[22:23] offset:288
	;; [unrolled: 1-line block ×3, first 2 shown]
	s_waitcnt vmcnt(0) lgkmcnt(0)
	v_cmp_gt_i16_sdwa s[6:7], v14, s4 src0_sel:BYTE_0 src1_sel:DWORD
	s_mov_b64 s[4:5], 0
	s_and_saveexec_b64 s[8:9], s[6:7]
	s_xor_b64 s[6:7], exec, s[8:9]
	s_cbranch_execnz .LBB14_2305
; %bb.257:
	s_or_saveexec_b64 s[6:7], s[6:7]
	v_mov_b32_e32 v20, s10
	s_xor_b64 exec, exec, s[6:7]
	s_cbranch_execnz .LBB14_2308
.LBB14_258:
	s_or_b64 exec, exec, s[6:7]
	s_and_saveexec_b64 s[6:7], s[4:5]
	s_cbranch_execz .LBB14_260
.LBB14_259:
	v_and_b32_e32 v20, 7, v14
	v_ffbh_u32_e32 v22, v20
	v_min_u32_e32 v22, 32, v22
	v_lshrrev_b16_e32 v21, 3, v14
	v_subrev_u32_e32 v23, 28, v22
	v_and_b32_e32 v21, 15, v21
	v_lshlrev_b32_e32 v23, v23, v14
	v_sub_u32_e32 v22, 29, v22
	v_and_b32_e32 v23, 7, v23
	v_cmp_eq_u16_e32 vcc, 0, v21
	v_cndmask_b32_e32 v20, v20, v23, vcc
	v_cndmask_b32_e32 v21, v21, v22, vcc
	v_lshlrev_b32_e32 v22, 24, v14
	v_mov_b32_e32 v23, 0x3b800000
	v_lshlrev_b32_e32 v20, 20, v20
	v_and_b32_e32 v22, 0x80000000, v22
	v_lshl_add_u32 v21, v21, 23, v23
	v_or3_b32 v20, v22, v21, v20
.LBB14_260:
	s_or_b64 exec, exec, s[6:7]
	s_movk_i32 s4, 0x7f
	v_cmp_gt_i16_sdwa s[6:7], v10, s4 src0_sel:BYTE_0 src1_sel:DWORD
	s_mov_b64 s[4:5], 0
                                        ; implicit-def: $sgpr10
	s_and_saveexec_b64 s[8:9], s[6:7]
	s_xor_b64 s[6:7], exec, s[8:9]
	s_cbranch_execnz .LBB14_2309
; %bb.261:
	s_or_saveexec_b64 s[6:7], s[6:7]
	v_mov_b32_e32 v21, s10
	s_xor_b64 exec, exec, s[6:7]
	s_cbranch_execnz .LBB14_2312
.LBB14_262:
	s_or_b64 exec, exec, s[6:7]
	s_and_saveexec_b64 s[6:7], s[4:5]
	s_cbranch_execz .LBB14_264
.LBB14_263:
	v_and_b32_e32 v21, 7, v10
	v_ffbh_u32_e32 v23, v21
	v_min_u32_e32 v23, 32, v23
	v_lshrrev_b16_e32 v22, 3, v10
	v_subrev_u32_e32 v24, 28, v23
	v_and_b32_e32 v22, 15, v22
	v_lshlrev_b32_e32 v24, v24, v10
	v_sub_u32_e32 v23, 29, v23
	v_and_b32_e32 v24, 7, v24
	v_cmp_eq_u16_e32 vcc, 0, v22
	v_cndmask_b32_e32 v21, v21, v24, vcc
	v_cndmask_b32_e32 v22, v22, v23, vcc
	v_lshlrev_b32_e32 v23, 24, v10
	v_mov_b32_e32 v24, 0x3b800000
	v_lshlrev_b32_e32 v21, 20, v21
	v_and_b32_e32 v23, 0x80000000, v23
	v_lshl_add_u32 v22, v22, 23, v24
	v_or3_b32 v21, v23, v22, v21
.LBB14_264:
	s_or_b64 exec, exec, s[6:7]
	flat_load_dwordx4 a[0:3], v[18:19] offset:528
	s_movk_i32 s4, 0x7f
                                        ; implicit-def: $sgpr10
	s_waitcnt vmcnt(0) lgkmcnt(0)
	v_mfma_f32_16x16x4f32 a[0:3], v20, v21, a[0:3]
	v_lshrrev_b32_e32 v21, 8, v14
	v_cmp_gt_i16_sdwa s[6:7], v21, s4 src0_sel:BYTE_0 src1_sel:DWORD
	s_mov_b64 s[4:5], 0
	s_and_saveexec_b64 s[8:9], s[6:7]
	s_xor_b64 s[6:7], exec, s[8:9]
	s_cbranch_execnz .LBB14_2313
; %bb.265:
	s_or_saveexec_b64 s[6:7], s[6:7]
	v_mov_b32_e32 v20, s10
	s_xor_b64 exec, exec, s[6:7]
	s_cbranch_execnz .LBB14_2316
.LBB14_266:
	s_or_b64 exec, exec, s[6:7]
	s_and_saveexec_b64 s[6:7], s[4:5]
	s_cbranch_execz .LBB14_268
.LBB14_267:
	v_bfe_u32 v20, v14, 8, 3
	v_ffbh_u32_e32 v23, v20
	v_min_u32_e32 v23, 32, v23
	v_lshrrev_b16_e32 v22, 3, v21
	v_subrev_u32_e32 v24, 28, v23
	v_and_b32_e32 v22, 15, v22
	v_lshlrev_b32_e32 v21, v24, v21
	v_sub_u32_e32 v23, 29, v23
	v_and_b32_e32 v21, 7, v21
	v_cmp_eq_u16_e32 vcc, 0, v22
	v_cndmask_b32_e32 v20, v20, v21, vcc
	v_cndmask_b32_e32 v21, v22, v23, vcc
	v_lshlrev_b32_e32 v22, 16, v14
	v_mov_b32_e32 v23, 0x3b800000
	v_lshlrev_b32_e32 v20, 20, v20
	v_and_b32_e32 v22, 0x80000000, v22
	v_lshl_add_u32 v21, v21, 23, v23
	v_or3_b32 v20, v22, v21, v20
.LBB14_268:
	s_or_b64 exec, exec, s[6:7]
	v_lshrrev_b32_e32 v21, 8, v10
	s_movk_i32 s4, 0x7f
	v_cmp_gt_i16_sdwa s[6:7], v21, s4 src0_sel:BYTE_0 src1_sel:DWORD
	s_mov_b64 s[4:5], 0
                                        ; implicit-def: $sgpr10
	s_and_saveexec_b64 s[8:9], s[6:7]
	s_xor_b64 s[6:7], exec, s[8:9]
	s_cbranch_execnz .LBB14_2317
; %bb.269:
	s_or_saveexec_b64 s[6:7], s[6:7]
	v_mov_b32_e32 v22, s10
	s_xor_b64 exec, exec, s[6:7]
	s_cbranch_execnz .LBB14_2320
.LBB14_270:
	s_or_b64 exec, exec, s[6:7]
	s_and_saveexec_b64 s[6:7], s[4:5]
	s_cbranch_execz .LBB14_272
.LBB14_271:
	v_bfe_u32 v22, v10, 8, 3
	v_ffbh_u32_e32 v24, v22
	v_min_u32_e32 v24, 32, v24
	v_lshrrev_b16_e32 v23, 3, v21
	v_subrev_u32_e32 v25, 28, v24
	v_and_b32_e32 v23, 15, v23
	v_lshlrev_b32_e32 v21, v25, v21
	v_sub_u32_e32 v24, 29, v24
	v_and_b32_e32 v21, 7, v21
	v_cmp_eq_u16_e32 vcc, 0, v23
	v_cndmask_b32_e32 v21, v22, v21, vcc
	v_cndmask_b32_e32 v22, v23, v24, vcc
	v_lshlrev_b32_e32 v23, 16, v10
	v_mov_b32_e32 v24, 0x3b800000
	v_lshlrev_b32_e32 v21, 20, v21
	v_and_b32_e32 v23, 0x80000000, v23
	v_lshl_add_u32 v22, v22, 23, v24
	v_or3_b32 v22, v23, v22, v21
.LBB14_272:
	s_or_b64 exec, exec, s[6:7]
	s_nop 0
	v_mfma_f32_16x16x4f32 a[0:3], v20, v22, a[0:3]
	s_movk_i32 s4, 0xff
	v_and_b32_sdwa v21, v14, s4 dst_sel:DWORD dst_unused:UNUSED_PAD src0_sel:WORD_1 src1_sel:DWORD
	s_movk_i32 s4, 0x7f
	v_cmp_lt_i16_e32 vcc, s4, v21
	s_mov_b64 s[4:5], 0
                                        ; implicit-def: $sgpr10
	s_and_saveexec_b64 s[6:7], vcc
	s_xor_b64 s[6:7], exec, s[6:7]
	s_cbranch_execnz .LBB14_2321
; %bb.273:
	s_or_saveexec_b64 s[6:7], s[6:7]
	v_mov_b32_e32 v20, s10
	s_xor_b64 exec, exec, s[6:7]
	s_cbranch_execnz .LBB14_2324
.LBB14_274:
	s_or_b64 exec, exec, s[6:7]
	s_and_saveexec_b64 s[6:7], s[4:5]
	s_cbranch_execz .LBB14_276
.LBB14_275:
	v_bfe_u32 v20, v14, 16, 3
	v_ffbh_u32_e32 v23, v20
	v_min_u32_e32 v23, 32, v23
	v_lshrrev_b32_e32 v21, 19, v14
	v_subrev_u32_e32 v24, 28, v23
	v_and_b32_e32 v21, 15, v21
	v_lshlrev_b32_sdwa v24, v24, v14 dst_sel:DWORD dst_unused:UNUSED_PAD src0_sel:DWORD src1_sel:WORD_1
	v_bfe_u32 v22, v14, 19, 4
	v_sub_u32_e32 v23, 29, v23
	v_and_b32_e32 v24, 7, v24
	v_cmp_eq_u16_e32 vcc, 0, v21
	v_cndmask_b32_e32 v20, v20, v24, vcc
	v_cndmask_b32_e32 v21, v22, v23, vcc
	v_lshlrev_b32_e32 v22, 8, v14
	v_mov_b32_e32 v23, 0x3b800000
	v_lshlrev_b32_e32 v20, 20, v20
	v_and_b32_e32 v22, 0x80000000, v22
	v_lshl_add_u32 v21, v21, 23, v23
	v_or3_b32 v20, v22, v21, v20
.LBB14_276:
	s_or_b64 exec, exec, s[6:7]
	s_movk_i32 s4, 0xff
	v_and_b32_sdwa v21, v10, s4 dst_sel:DWORD dst_unused:UNUSED_PAD src0_sel:WORD_1 src1_sel:DWORD
	s_movk_i32 s4, 0x7f
	v_cmp_lt_i16_e32 vcc, s4, v21
	s_mov_b64 s[4:5], 0
                                        ; implicit-def: $sgpr10
	s_and_saveexec_b64 s[6:7], vcc
	s_xor_b64 s[6:7], exec, s[6:7]
	s_cbranch_execnz .LBB14_2325
; %bb.277:
	s_or_saveexec_b64 s[6:7], s[6:7]
	v_mov_b32_e32 v22, s10
	s_xor_b64 exec, exec, s[6:7]
	s_cbranch_execnz .LBB14_2328
.LBB14_278:
	s_or_b64 exec, exec, s[6:7]
	s_and_saveexec_b64 s[6:7], s[4:5]
	s_cbranch_execz .LBB14_280
.LBB14_279:
	v_bfe_u32 v21, v10, 16, 3
	v_ffbh_u32_e32 v24, v21
	v_min_u32_e32 v24, 32, v24
	v_lshrrev_b32_e32 v22, 19, v10
	v_subrev_u32_e32 v25, 28, v24
	v_and_b32_e32 v22, 15, v22
	v_lshlrev_b32_sdwa v25, v25, v10 dst_sel:DWORD dst_unused:UNUSED_PAD src0_sel:DWORD src1_sel:WORD_1
	v_bfe_u32 v23, v10, 19, 4
	v_sub_u32_e32 v24, 29, v24
	v_and_b32_e32 v25, 7, v25
	v_cmp_eq_u16_e32 vcc, 0, v22
	v_cndmask_b32_e32 v21, v21, v25, vcc
	v_cndmask_b32_e32 v22, v23, v24, vcc
	v_lshlrev_b32_e32 v23, 8, v10
	v_mov_b32_e32 v24, 0x3b800000
	v_lshlrev_b32_e32 v21, 20, v21
	v_and_b32_e32 v23, 0x80000000, v23
	v_lshl_add_u32 v22, v22, 23, v24
	v_or3_b32 v22, v23, v22, v21
.LBB14_280:
	s_or_b64 exec, exec, s[6:7]
	s_nop 0
	v_mfma_f32_16x16x4f32 a[0:3], v20, v22, a[0:3]
	s_movk_i32 s4, 0x7f
	v_cmp_gt_i16_sdwa s[6:7], v14, s4 src0_sel:BYTE_3 src1_sel:DWORD
	s_mov_b64 s[4:5], 0
                                        ; implicit-def: $sgpr10
	s_and_saveexec_b64 s[8:9], s[6:7]
	s_xor_b64 s[6:7], exec, s[8:9]
	s_cbranch_execnz .LBB14_2329
; %bb.281:
	s_or_saveexec_b64 s[6:7], s[6:7]
	v_mov_b32_e32 v20, s10
	s_xor_b64 exec, exec, s[6:7]
	s_cbranch_execnz .LBB14_2332
.LBB14_282:
	s_or_b64 exec, exec, s[6:7]
	s_and_saveexec_b64 s[6:7], s[4:5]
	s_cbranch_execz .LBB14_284
.LBB14_283:
	v_bfe_u32 v20, v14, 24, 3
	v_ffbh_u32_e32 v24, v20
	v_min_u32_e32 v24, 32, v24
	v_lshrrev_b32_e32 v22, 27, v14
	v_subrev_u32_e32 v25, 28, v24
	v_and_b32_e32 v21, 0x80000000, v14
	v_and_b32_e32 v22, 15, v22
	v_bfe_u32 v23, v14, 27, 4
	v_lshlrev_b32_sdwa v14, v25, v14 dst_sel:DWORD dst_unused:UNUSED_PAD src0_sel:DWORD src1_sel:BYTE_3
	v_sub_u32_e32 v24, 29, v24
	v_and_b32_e32 v14, 7, v14
	v_cmp_eq_u16_e32 vcc, 0, v22
	v_cndmask_b32_e32 v14, v20, v14, vcc
	v_cndmask_b32_e32 v20, v23, v24, vcc
	v_mov_b32_e32 v22, 0x3b800000
	v_lshlrev_b32_e32 v14, 20, v14
	v_lshl_add_u32 v20, v20, 23, v22
	v_or3_b32 v20, v21, v20, v14
.LBB14_284:
	s_or_b64 exec, exec, s[6:7]
	s_movk_i32 s4, 0x7f
	v_cmp_gt_i16_sdwa s[6:7], v10, s4 src0_sel:BYTE_3 src1_sel:DWORD
	s_mov_b64 s[4:5], 0
                                        ; implicit-def: $sgpr10
	s_and_saveexec_b64 s[8:9], s[6:7]
	s_xor_b64 s[6:7], exec, s[8:9]
	s_cbranch_execnz .LBB14_2333
; %bb.285:
	s_or_saveexec_b64 s[6:7], s[6:7]
	v_mov_b32_e32 v14, s10
	s_xor_b64 exec, exec, s[6:7]
	s_cbranch_execnz .LBB14_2336
.LBB14_286:
	s_or_b64 exec, exec, s[6:7]
	s_and_saveexec_b64 s[6:7], s[4:5]
	s_cbranch_execz .LBB14_288
.LBB14_287:
	v_bfe_u32 v14, v10, 24, 3
	v_ffbh_u32_e32 v24, v14
	v_min_u32_e32 v24, 32, v24
	v_lshrrev_b32_e32 v22, 27, v10
	v_subrev_u32_e32 v25, 28, v24
	v_and_b32_e32 v21, 0x80000000, v10
	v_and_b32_e32 v22, 15, v22
	v_bfe_u32 v23, v10, 27, 4
	v_lshlrev_b32_sdwa v10, v25, v10 dst_sel:DWORD dst_unused:UNUSED_PAD src0_sel:DWORD src1_sel:BYTE_3
	v_sub_u32_e32 v24, 29, v24
	v_and_b32_e32 v10, 7, v10
	v_cmp_eq_u16_e32 vcc, 0, v22
	v_cndmask_b32_e32 v10, v14, v10, vcc
	v_cndmask_b32_e32 v14, v23, v24, vcc
	v_mov_b32_e32 v22, 0x3b800000
	v_lshlrev_b32_e32 v10, 20, v10
	v_lshl_add_u32 v14, v14, 23, v22
	v_or3_b32 v14, v21, v14, v10
.LBB14_288:
	s_or_b64 exec, exec, s[6:7]
	s_nop 0
	v_mfma_f32_16x16x4f32 a[0:3], v20, v14, a[0:3]
	s_movk_i32 s4, 0x7f
	v_cmp_gt_i16_sdwa s[6:7], v15, s4 src0_sel:BYTE_0 src1_sel:DWORD
	s_mov_b64 s[4:5], 0
                                        ; implicit-def: $sgpr10
	s_and_saveexec_b64 s[8:9], s[6:7]
	s_xor_b64 s[6:7], exec, s[8:9]
	s_cbranch_execnz .LBB14_2337
; %bb.289:
	s_or_saveexec_b64 s[6:7], s[6:7]
	v_mov_b32_e32 v10, s10
	s_xor_b64 exec, exec, s[6:7]
	s_cbranch_execnz .LBB14_2340
.LBB14_290:
	s_or_b64 exec, exec, s[6:7]
	s_and_saveexec_b64 s[6:7], s[4:5]
	s_cbranch_execz .LBB14_292
.LBB14_291:
	v_and_b32_e32 v10, 7, v15
	v_ffbh_u32_e32 v20, v10
	v_min_u32_e32 v20, 32, v20
	v_lshrrev_b16_e32 v14, 3, v15
	v_subrev_u32_e32 v21, 28, v20
	v_and_b32_e32 v14, 15, v14
	v_lshlrev_b32_e32 v21, v21, v15
	v_sub_u32_e32 v20, 29, v20
	v_and_b32_e32 v21, 7, v21
	v_cmp_eq_u16_e32 vcc, 0, v14
	v_cndmask_b32_e32 v10, v10, v21, vcc
	v_cndmask_b32_e32 v14, v14, v20, vcc
	v_lshlrev_b32_e32 v20, 24, v15
	v_mov_b32_e32 v21, 0x3b800000
	v_lshlrev_b32_e32 v10, 20, v10
	v_and_b32_e32 v20, 0x80000000, v20
	v_lshl_add_u32 v14, v14, 23, v21
	v_or3_b32 v10, v20, v14, v10
.LBB14_292:
	s_or_b64 exec, exec, s[6:7]
	s_movk_i32 s4, 0x7f
	v_cmp_gt_i16_sdwa s[6:7], v11, s4 src0_sel:BYTE_0 src1_sel:DWORD
	s_mov_b64 s[4:5], 0
                                        ; implicit-def: $sgpr10
	s_and_saveexec_b64 s[8:9], s[6:7]
	s_xor_b64 s[6:7], exec, s[8:9]
	s_cbranch_execnz .LBB14_2341
; %bb.293:
	s_or_saveexec_b64 s[6:7], s[6:7]
	v_mov_b32_e32 v14, s10
	s_xor_b64 exec, exec, s[6:7]
	s_cbranch_execnz .LBB14_2344
.LBB14_294:
	s_or_b64 exec, exec, s[6:7]
	s_and_saveexec_b64 s[6:7], s[4:5]
	s_cbranch_execz .LBB14_296
.LBB14_295:
	v_and_b32_e32 v14, 7, v11
	v_ffbh_u32_e32 v21, v14
	v_min_u32_e32 v21, 32, v21
	v_lshrrev_b16_e32 v20, 3, v11
	v_subrev_u32_e32 v22, 28, v21
	v_and_b32_e32 v20, 15, v20
	v_lshlrev_b32_e32 v22, v22, v11
	v_sub_u32_e32 v21, 29, v21
	v_and_b32_e32 v22, 7, v22
	v_cmp_eq_u16_e32 vcc, 0, v20
	v_cndmask_b32_e32 v14, v14, v22, vcc
	v_cndmask_b32_e32 v20, v20, v21, vcc
	v_lshlrev_b32_e32 v21, 24, v11
	v_mov_b32_e32 v22, 0x3b800000
	v_lshlrev_b32_e32 v14, 20, v14
	v_and_b32_e32 v21, 0x80000000, v21
	v_lshl_add_u32 v20, v20, 23, v22
	v_or3_b32 v14, v21, v20, v14
.LBB14_296:
	s_or_b64 exec, exec, s[6:7]
	s_nop 0
	v_mfma_f32_16x16x4f32 a[0:3], v10, v14, a[0:3]
	v_lshrrev_b32_e32 v14, 8, v15
	s_movk_i32 s4, 0x7f
	v_cmp_gt_i16_sdwa s[6:7], v14, s4 src0_sel:BYTE_0 src1_sel:DWORD
	s_mov_b64 s[4:5], 0
                                        ; implicit-def: $sgpr10
	s_and_saveexec_b64 s[8:9], s[6:7]
	s_xor_b64 s[6:7], exec, s[8:9]
	s_cbranch_execnz .LBB14_2345
; %bb.297:
	s_or_saveexec_b64 s[6:7], s[6:7]
	v_mov_b32_e32 v10, s10
	s_xor_b64 exec, exec, s[6:7]
	s_cbranch_execnz .LBB14_2348
.LBB14_298:
	s_or_b64 exec, exec, s[6:7]
	s_and_saveexec_b64 s[6:7], s[4:5]
	s_cbranch_execz .LBB14_300
.LBB14_299:
	v_bfe_u32 v10, v15, 8, 3
	v_ffbh_u32_e32 v21, v10
	v_min_u32_e32 v21, 32, v21
	v_lshrrev_b16_e32 v20, 3, v14
	v_subrev_u32_e32 v22, 28, v21
	v_and_b32_e32 v20, 15, v20
	v_lshlrev_b32_e32 v14, v22, v14
	v_sub_u32_e32 v21, 29, v21
	v_and_b32_e32 v14, 7, v14
	v_cmp_eq_u16_e32 vcc, 0, v20
	v_cndmask_b32_e32 v10, v10, v14, vcc
	v_cndmask_b32_e32 v14, v20, v21, vcc
	v_lshlrev_b32_e32 v20, 16, v15
	v_mov_b32_e32 v21, 0x3b800000
	v_lshlrev_b32_e32 v10, 20, v10
	v_and_b32_e32 v20, 0x80000000, v20
	v_lshl_add_u32 v14, v14, 23, v21
	v_or3_b32 v10, v20, v14, v10
.LBB14_300:
	s_or_b64 exec, exec, s[6:7]
	v_lshrrev_b32_e32 v14, 8, v11
	s_movk_i32 s4, 0x7f
	v_cmp_gt_i16_sdwa s[6:7], v14, s4 src0_sel:BYTE_0 src1_sel:DWORD
	s_mov_b64 s[4:5], 0
                                        ; implicit-def: $sgpr10
	s_and_saveexec_b64 s[8:9], s[6:7]
	s_xor_b64 s[6:7], exec, s[8:9]
	s_cbranch_execnz .LBB14_2349
; %bb.301:
	s_or_saveexec_b64 s[6:7], s[6:7]
	v_mov_b32_e32 v20, s10
	s_xor_b64 exec, exec, s[6:7]
	s_cbranch_execnz .LBB14_2352
.LBB14_302:
	s_or_b64 exec, exec, s[6:7]
	s_and_saveexec_b64 s[6:7], s[4:5]
	s_cbranch_execz .LBB14_304
.LBB14_303:
	v_bfe_u32 v20, v11, 8, 3
	v_ffbh_u32_e32 v22, v20
	v_min_u32_e32 v22, 32, v22
	v_lshrrev_b16_e32 v21, 3, v14
	v_subrev_u32_e32 v23, 28, v22
	v_and_b32_e32 v21, 15, v21
	v_lshlrev_b32_e32 v14, v23, v14
	v_sub_u32_e32 v22, 29, v22
	v_and_b32_e32 v14, 7, v14
	v_cmp_eq_u16_e32 vcc, 0, v21
	v_cndmask_b32_e32 v14, v20, v14, vcc
	v_cndmask_b32_e32 v20, v21, v22, vcc
	v_lshlrev_b32_e32 v21, 16, v11
	v_mov_b32_e32 v22, 0x3b800000
	v_lshlrev_b32_e32 v14, 20, v14
	v_and_b32_e32 v21, 0x80000000, v21
	v_lshl_add_u32 v20, v20, 23, v22
	v_or3_b32 v20, v21, v20, v14
.LBB14_304:
	s_or_b64 exec, exec, s[6:7]
	s_nop 0
	v_mfma_f32_16x16x4f32 a[0:3], v10, v20, a[0:3]
	s_movk_i32 s4, 0xff
	v_and_b32_sdwa v14, v15, s4 dst_sel:DWORD dst_unused:UNUSED_PAD src0_sel:WORD_1 src1_sel:DWORD
	s_movk_i32 s4, 0x7f
	v_cmp_lt_i16_e32 vcc, s4, v14
	s_mov_b64 s[4:5], 0
                                        ; implicit-def: $sgpr10
	s_and_saveexec_b64 s[6:7], vcc
	s_xor_b64 s[6:7], exec, s[6:7]
	s_cbranch_execnz .LBB14_2353
; %bb.305:
	s_or_saveexec_b64 s[6:7], s[6:7]
	v_mov_b32_e32 v10, s10
	s_xor_b64 exec, exec, s[6:7]
	s_cbranch_execnz .LBB14_2356
.LBB14_306:
	s_or_b64 exec, exec, s[6:7]
	s_and_saveexec_b64 s[6:7], s[4:5]
	s_cbranch_execz .LBB14_308
.LBB14_307:
	v_bfe_u32 v10, v15, 16, 3
	v_ffbh_u32_e32 v21, v10
	v_min_u32_e32 v21, 32, v21
	v_lshrrev_b32_e32 v14, 19, v15
	v_subrev_u32_e32 v22, 28, v21
	v_and_b32_e32 v14, 15, v14
	v_lshlrev_b32_sdwa v22, v22, v15 dst_sel:DWORD dst_unused:UNUSED_PAD src0_sel:DWORD src1_sel:WORD_1
	v_bfe_u32 v20, v15, 19, 4
	v_sub_u32_e32 v21, 29, v21
	v_and_b32_e32 v22, 7, v22
	v_cmp_eq_u16_e32 vcc, 0, v14
	v_cndmask_b32_e32 v10, v10, v22, vcc
	v_cndmask_b32_e32 v14, v20, v21, vcc
	v_lshlrev_b32_e32 v20, 8, v15
	v_mov_b32_e32 v21, 0x3b800000
	v_lshlrev_b32_e32 v10, 20, v10
	v_and_b32_e32 v20, 0x80000000, v20
	v_lshl_add_u32 v14, v14, 23, v21
	v_or3_b32 v10, v20, v14, v10
.LBB14_308:
	s_or_b64 exec, exec, s[6:7]
	s_movk_i32 s4, 0xff
	v_and_b32_sdwa v14, v11, s4 dst_sel:DWORD dst_unused:UNUSED_PAD src0_sel:WORD_1 src1_sel:DWORD
	s_movk_i32 s4, 0x7f
	v_cmp_lt_i16_e32 vcc, s4, v14
	s_mov_b64 s[4:5], 0
                                        ; implicit-def: $sgpr10
	s_and_saveexec_b64 s[6:7], vcc
	s_xor_b64 s[6:7], exec, s[6:7]
	s_cbranch_execnz .LBB14_2357
; %bb.309:
	s_or_saveexec_b64 s[6:7], s[6:7]
	v_mov_b32_e32 v20, s10
	s_xor_b64 exec, exec, s[6:7]
	s_cbranch_execnz .LBB14_2360
.LBB14_310:
	s_or_b64 exec, exec, s[6:7]
	s_and_saveexec_b64 s[6:7], s[4:5]
	s_cbranch_execz .LBB14_312
.LBB14_311:
	v_bfe_u32 v14, v11, 16, 3
	v_ffbh_u32_e32 v22, v14
	v_min_u32_e32 v22, 32, v22
	v_lshrrev_b32_e32 v20, 19, v11
	v_subrev_u32_e32 v23, 28, v22
	v_and_b32_e32 v20, 15, v20
	v_lshlrev_b32_sdwa v23, v23, v11 dst_sel:DWORD dst_unused:UNUSED_PAD src0_sel:DWORD src1_sel:WORD_1
	v_bfe_u32 v21, v11, 19, 4
	v_sub_u32_e32 v22, 29, v22
	v_and_b32_e32 v23, 7, v23
	v_cmp_eq_u16_e32 vcc, 0, v20
	v_cndmask_b32_e32 v14, v14, v23, vcc
	v_cndmask_b32_e32 v20, v21, v22, vcc
	v_lshlrev_b32_e32 v21, 8, v11
	v_mov_b32_e32 v22, 0x3b800000
	v_lshlrev_b32_e32 v14, 20, v14
	v_and_b32_e32 v21, 0x80000000, v21
	v_lshl_add_u32 v20, v20, 23, v22
	v_or3_b32 v20, v21, v20, v14
.LBB14_312:
	s_or_b64 exec, exec, s[6:7]
	s_nop 0
	v_mfma_f32_16x16x4f32 a[0:3], v10, v20, a[0:3]
	s_movk_i32 s4, 0x7f
	v_cmp_gt_i16_sdwa s[6:7], v15, s4 src0_sel:BYTE_3 src1_sel:DWORD
	s_mov_b64 s[4:5], 0
                                        ; implicit-def: $sgpr10
	s_and_saveexec_b64 s[8:9], s[6:7]
	s_xor_b64 s[6:7], exec, s[8:9]
	s_cbranch_execnz .LBB14_2361
; %bb.313:
	s_or_saveexec_b64 s[6:7], s[6:7]
	v_mov_b32_e32 v10, s10
	s_xor_b64 exec, exec, s[6:7]
	s_cbranch_execnz .LBB14_2364
.LBB14_314:
	s_or_b64 exec, exec, s[6:7]
	s_and_saveexec_b64 s[6:7], s[4:5]
	s_cbranch_execz .LBB14_316
.LBB14_315:
	v_bfe_u32 v10, v15, 24, 3
	v_ffbh_u32_e32 v22, v10
	v_min_u32_e32 v22, 32, v22
	v_lshrrev_b32_e32 v20, 27, v15
	v_subrev_u32_e32 v23, 28, v22
	v_and_b32_e32 v14, 0x80000000, v15
	v_and_b32_e32 v20, 15, v20
	v_bfe_u32 v21, v15, 27, 4
	v_lshlrev_b32_sdwa v15, v23, v15 dst_sel:DWORD dst_unused:UNUSED_PAD src0_sel:DWORD src1_sel:BYTE_3
	v_sub_u32_e32 v22, 29, v22
	v_and_b32_e32 v15, 7, v15
	v_cmp_eq_u16_e32 vcc, 0, v20
	v_cndmask_b32_e32 v10, v10, v15, vcc
	v_cndmask_b32_e32 v15, v21, v22, vcc
	v_mov_b32_e32 v20, 0x3b800000
	v_lshlrev_b32_e32 v10, 20, v10
	v_lshl_add_u32 v15, v15, 23, v20
	v_or3_b32 v10, v14, v15, v10
.LBB14_316:
	s_or_b64 exec, exec, s[6:7]
	s_movk_i32 s4, 0x7f
	v_cmp_gt_i16_sdwa s[6:7], v11, s4 src0_sel:BYTE_3 src1_sel:DWORD
	s_mov_b64 s[4:5], 0
                                        ; implicit-def: $sgpr10
	s_and_saveexec_b64 s[8:9], s[6:7]
	s_xor_b64 s[6:7], exec, s[8:9]
	s_cbranch_execnz .LBB14_2365
; %bb.317:
	s_or_saveexec_b64 s[6:7], s[6:7]
	v_mov_b32_e32 v14, s10
	s_xor_b64 exec, exec, s[6:7]
	s_cbranch_execnz .LBB14_2368
.LBB14_318:
	s_or_b64 exec, exec, s[6:7]
	s_and_saveexec_b64 s[6:7], s[4:5]
	s_cbranch_execz .LBB14_320
.LBB14_319:
	v_bfe_u32 v14, v11, 24, 3
	v_ffbh_u32_e32 v22, v14
	v_min_u32_e32 v22, 32, v22
	v_lshrrev_b32_e32 v20, 27, v11
	v_subrev_u32_e32 v23, 28, v22
	v_and_b32_e32 v15, 0x80000000, v11
	v_and_b32_e32 v20, 15, v20
	v_bfe_u32 v21, v11, 27, 4
	v_lshlrev_b32_sdwa v11, v23, v11 dst_sel:DWORD dst_unused:UNUSED_PAD src0_sel:DWORD src1_sel:BYTE_3
	v_sub_u32_e32 v22, 29, v22
	v_and_b32_e32 v11, 7, v11
	v_cmp_eq_u16_e32 vcc, 0, v20
	v_cndmask_b32_e32 v11, v14, v11, vcc
	v_cndmask_b32_e32 v14, v21, v22, vcc
	v_mov_b32_e32 v20, 0x3b800000
	v_lshlrev_b32_e32 v11, 20, v11
	v_lshl_add_u32 v14, v14, 23, v20
	v_or3_b32 v14, v15, v14, v11
.LBB14_320:
	s_or_b64 exec, exec, s[6:7]
	s_nop 0
	v_mfma_f32_16x16x4f32 a[0:3], v10, v14, a[0:3]
	s_movk_i32 s4, 0x7f
	v_cmp_gt_i16_sdwa s[6:7], v16, s4 src0_sel:BYTE_0 src1_sel:DWORD
	s_mov_b64 s[4:5], 0
                                        ; implicit-def: $sgpr10
	s_and_saveexec_b64 s[8:9], s[6:7]
	s_xor_b64 s[6:7], exec, s[8:9]
	s_cbranch_execnz .LBB14_2369
; %bb.321:
	s_or_saveexec_b64 s[6:7], s[6:7]
	v_mov_b32_e32 v10, s10
	s_xor_b64 exec, exec, s[6:7]
	s_cbranch_execnz .LBB14_2372
.LBB14_322:
	s_or_b64 exec, exec, s[6:7]
	s_and_saveexec_b64 s[6:7], s[4:5]
	s_cbranch_execz .LBB14_324
.LBB14_323:
	v_and_b32_e32 v10, 7, v16
	v_ffbh_u32_e32 v14, v10
	v_min_u32_e32 v14, 32, v14
	v_lshrrev_b16_e32 v11, 3, v16
	v_subrev_u32_e32 v15, 28, v14
	v_and_b32_e32 v11, 15, v11
	v_lshlrev_b32_e32 v15, v15, v16
	v_sub_u32_e32 v14, 29, v14
	v_and_b32_e32 v15, 7, v15
	v_cmp_eq_u16_e32 vcc, 0, v11
	v_cndmask_b32_e32 v10, v10, v15, vcc
	v_cndmask_b32_e32 v11, v11, v14, vcc
	v_lshlrev_b32_e32 v14, 24, v16
	v_mov_b32_e32 v15, 0x3b800000
	v_lshlrev_b32_e32 v10, 20, v10
	v_and_b32_e32 v14, 0x80000000, v14
	v_lshl_add_u32 v11, v11, 23, v15
	v_or3_b32 v10, v14, v11, v10
.LBB14_324:
	s_or_b64 exec, exec, s[6:7]
	s_movk_i32 s4, 0x7f
	v_cmp_gt_i16_sdwa s[6:7], v12, s4 src0_sel:BYTE_0 src1_sel:DWORD
	s_mov_b64 s[4:5], 0
                                        ; implicit-def: $sgpr10
	s_and_saveexec_b64 s[8:9], s[6:7]
	s_xor_b64 s[6:7], exec, s[8:9]
	s_cbranch_execnz .LBB14_2373
; %bb.325:
	s_or_saveexec_b64 s[6:7], s[6:7]
	v_mov_b32_e32 v11, s10
	s_xor_b64 exec, exec, s[6:7]
	s_cbranch_execnz .LBB14_2376
.LBB14_326:
	s_or_b64 exec, exec, s[6:7]
	s_and_saveexec_b64 s[6:7], s[4:5]
	s_cbranch_execz .LBB14_328
.LBB14_327:
	v_and_b32_e32 v11, 7, v12
	v_ffbh_u32_e32 v15, v11
	v_min_u32_e32 v15, 32, v15
	v_lshrrev_b16_e32 v14, 3, v12
	v_subrev_u32_e32 v20, 28, v15
	v_and_b32_e32 v14, 15, v14
	v_lshlrev_b32_e32 v20, v20, v12
	v_sub_u32_e32 v15, 29, v15
	v_and_b32_e32 v20, 7, v20
	v_cmp_eq_u16_e32 vcc, 0, v14
	v_cndmask_b32_e32 v11, v11, v20, vcc
	v_cndmask_b32_e32 v14, v14, v15, vcc
	v_lshlrev_b32_e32 v15, 24, v12
	v_mov_b32_e32 v20, 0x3b800000
	v_lshlrev_b32_e32 v11, 20, v11
	v_and_b32_e32 v15, 0x80000000, v15
	v_lshl_add_u32 v14, v14, 23, v20
	v_or3_b32 v11, v15, v14, v11
.LBB14_328:
	s_or_b64 exec, exec, s[6:7]
	s_nop 0
	v_mfma_f32_16x16x4f32 a[0:3], v10, v11, a[0:3]
	v_lshrrev_b32_e32 v11, 8, v16
	s_movk_i32 s4, 0x7f
	v_cmp_gt_i16_sdwa s[6:7], v11, s4 src0_sel:BYTE_0 src1_sel:DWORD
	s_mov_b64 s[4:5], 0
                                        ; implicit-def: $sgpr10
	s_and_saveexec_b64 s[8:9], s[6:7]
	s_xor_b64 s[6:7], exec, s[8:9]
	s_cbranch_execnz .LBB14_2377
; %bb.329:
	s_or_saveexec_b64 s[6:7], s[6:7]
	v_mov_b32_e32 v10, s10
	s_xor_b64 exec, exec, s[6:7]
	s_cbranch_execnz .LBB14_2380
.LBB14_330:
	s_or_b64 exec, exec, s[6:7]
	s_and_saveexec_b64 s[6:7], s[4:5]
	s_cbranch_execz .LBB14_332
.LBB14_331:
	v_bfe_u32 v10, v16, 8, 3
	v_ffbh_u32_e32 v15, v10
	v_min_u32_e32 v15, 32, v15
	v_lshrrev_b16_e32 v14, 3, v11
	v_subrev_u32_e32 v20, 28, v15
	v_and_b32_e32 v14, 15, v14
	v_lshlrev_b32_e32 v11, v20, v11
	v_sub_u32_e32 v15, 29, v15
	v_and_b32_e32 v11, 7, v11
	v_cmp_eq_u16_e32 vcc, 0, v14
	v_cndmask_b32_e32 v10, v10, v11, vcc
	v_cndmask_b32_e32 v11, v14, v15, vcc
	v_lshlrev_b32_e32 v14, 16, v16
	v_mov_b32_e32 v15, 0x3b800000
	v_lshlrev_b32_e32 v10, 20, v10
	v_and_b32_e32 v14, 0x80000000, v14
	v_lshl_add_u32 v11, v11, 23, v15
	v_or3_b32 v10, v14, v11, v10
.LBB14_332:
	s_or_b64 exec, exec, s[6:7]
	v_lshrrev_b32_e32 v11, 8, v12
	s_movk_i32 s4, 0x7f
	v_cmp_gt_i16_sdwa s[6:7], v11, s4 src0_sel:BYTE_0 src1_sel:DWORD
	s_mov_b64 s[4:5], 0
                                        ; implicit-def: $sgpr10
	s_and_saveexec_b64 s[8:9], s[6:7]
	s_xor_b64 s[6:7], exec, s[8:9]
	s_cbranch_execnz .LBB14_2381
; %bb.333:
	s_or_saveexec_b64 s[6:7], s[6:7]
	v_mov_b32_e32 v14, s10
	s_xor_b64 exec, exec, s[6:7]
	s_cbranch_execnz .LBB14_2384
.LBB14_334:
	s_or_b64 exec, exec, s[6:7]
	s_and_saveexec_b64 s[6:7], s[4:5]
	s_cbranch_execz .LBB14_336
.LBB14_335:
	v_bfe_u32 v14, v12, 8, 3
	v_ffbh_u32_e32 v20, v14
	v_min_u32_e32 v20, 32, v20
	v_lshrrev_b16_e32 v15, 3, v11
	v_subrev_u32_e32 v21, 28, v20
	v_and_b32_e32 v15, 15, v15
	v_lshlrev_b32_e32 v11, v21, v11
	v_sub_u32_e32 v20, 29, v20
	v_and_b32_e32 v11, 7, v11
	v_cmp_eq_u16_e32 vcc, 0, v15
	v_cndmask_b32_e32 v11, v14, v11, vcc
	v_cndmask_b32_e32 v14, v15, v20, vcc
	v_lshlrev_b32_e32 v15, 16, v12
	v_mov_b32_e32 v20, 0x3b800000
	v_lshlrev_b32_e32 v11, 20, v11
	v_and_b32_e32 v15, 0x80000000, v15
	v_lshl_add_u32 v14, v14, 23, v20
	v_or3_b32 v14, v15, v14, v11
.LBB14_336:
	s_or_b64 exec, exec, s[6:7]
	s_nop 0
	v_mfma_f32_16x16x4f32 a[0:3], v10, v14, a[0:3]
	s_movk_i32 s4, 0xff
	v_and_b32_sdwa v11, v16, s4 dst_sel:DWORD dst_unused:UNUSED_PAD src0_sel:WORD_1 src1_sel:DWORD
	s_movk_i32 s4, 0x7f
	v_cmp_lt_i16_e32 vcc, s4, v11
	s_mov_b64 s[4:5], 0
                                        ; implicit-def: $sgpr10
	s_and_saveexec_b64 s[6:7], vcc
	s_xor_b64 s[6:7], exec, s[6:7]
	s_cbranch_execnz .LBB14_2385
; %bb.337:
	s_or_saveexec_b64 s[6:7], s[6:7]
	v_mov_b32_e32 v10, s10
	s_xor_b64 exec, exec, s[6:7]
	s_cbranch_execnz .LBB14_2388
.LBB14_338:
	s_or_b64 exec, exec, s[6:7]
	s_and_saveexec_b64 s[6:7], s[4:5]
	s_cbranch_execz .LBB14_340
.LBB14_339:
	v_bfe_u32 v10, v16, 16, 3
	v_ffbh_u32_e32 v15, v10
	v_min_u32_e32 v15, 32, v15
	v_lshrrev_b32_e32 v11, 19, v16
	v_subrev_u32_e32 v20, 28, v15
	v_and_b32_e32 v11, 15, v11
	v_lshlrev_b32_sdwa v20, v20, v16 dst_sel:DWORD dst_unused:UNUSED_PAD src0_sel:DWORD src1_sel:WORD_1
	v_bfe_u32 v14, v16, 19, 4
	v_sub_u32_e32 v15, 29, v15
	v_and_b32_e32 v20, 7, v20
	v_cmp_eq_u16_e32 vcc, 0, v11
	v_cndmask_b32_e32 v10, v10, v20, vcc
	v_cndmask_b32_e32 v11, v14, v15, vcc
	v_lshlrev_b32_e32 v14, 8, v16
	v_mov_b32_e32 v15, 0x3b800000
	v_lshlrev_b32_e32 v10, 20, v10
	v_and_b32_e32 v14, 0x80000000, v14
	v_lshl_add_u32 v11, v11, 23, v15
	v_or3_b32 v10, v14, v11, v10
.LBB14_340:
	s_or_b64 exec, exec, s[6:7]
	s_movk_i32 s4, 0xff
	v_and_b32_sdwa v11, v12, s4 dst_sel:DWORD dst_unused:UNUSED_PAD src0_sel:WORD_1 src1_sel:DWORD
	s_movk_i32 s4, 0x7f
	v_cmp_lt_i16_e32 vcc, s4, v11
	s_mov_b64 s[4:5], 0
                                        ; implicit-def: $sgpr10
	s_and_saveexec_b64 s[6:7], vcc
	s_xor_b64 s[6:7], exec, s[6:7]
	s_cbranch_execnz .LBB14_2389
; %bb.341:
	s_or_saveexec_b64 s[6:7], s[6:7]
	v_mov_b32_e32 v14, s10
	s_xor_b64 exec, exec, s[6:7]
	s_cbranch_execnz .LBB14_2392
.LBB14_342:
	s_or_b64 exec, exec, s[6:7]
	s_and_saveexec_b64 s[6:7], s[4:5]
	s_cbranch_execz .LBB14_344
.LBB14_343:
	v_bfe_u32 v11, v12, 16, 3
	v_ffbh_u32_e32 v20, v11
	v_min_u32_e32 v20, 32, v20
	v_lshrrev_b32_e32 v14, 19, v12
	v_subrev_u32_e32 v21, 28, v20
	v_and_b32_e32 v14, 15, v14
	v_lshlrev_b32_sdwa v21, v21, v12 dst_sel:DWORD dst_unused:UNUSED_PAD src0_sel:DWORD src1_sel:WORD_1
	v_bfe_u32 v15, v12, 19, 4
	v_sub_u32_e32 v20, 29, v20
	v_and_b32_e32 v21, 7, v21
	v_cmp_eq_u16_e32 vcc, 0, v14
	v_cndmask_b32_e32 v11, v11, v21, vcc
	v_cndmask_b32_e32 v14, v15, v20, vcc
	v_lshlrev_b32_e32 v15, 8, v12
	v_mov_b32_e32 v20, 0x3b800000
	v_lshlrev_b32_e32 v11, 20, v11
	v_and_b32_e32 v15, 0x80000000, v15
	v_lshl_add_u32 v14, v14, 23, v20
	v_or3_b32 v14, v15, v14, v11
.LBB14_344:
	s_or_b64 exec, exec, s[6:7]
	s_nop 0
	v_mfma_f32_16x16x4f32 a[0:3], v10, v14, a[0:3]
	s_movk_i32 s4, 0x7f
	v_cmp_gt_i16_sdwa s[6:7], v16, s4 src0_sel:BYTE_3 src1_sel:DWORD
	s_mov_b64 s[4:5], 0
                                        ; implicit-def: $sgpr10
	s_and_saveexec_b64 s[8:9], s[6:7]
	s_xor_b64 s[6:7], exec, s[8:9]
	s_cbranch_execnz .LBB14_2393
; %bb.345:
	s_or_saveexec_b64 s[6:7], s[6:7]
	v_mov_b32_e32 v10, s10
	s_xor_b64 exec, exec, s[6:7]
	s_cbranch_execnz .LBB14_2396
.LBB14_346:
	s_or_b64 exec, exec, s[6:7]
	s_and_saveexec_b64 s[6:7], s[4:5]
	s_cbranch_execz .LBB14_348
.LBB14_347:
	v_bfe_u32 v10, v16, 24, 3
	v_ffbh_u32_e32 v20, v10
	v_min_u32_e32 v20, 32, v20
	v_lshrrev_b32_e32 v14, 27, v16
	v_subrev_u32_e32 v21, 28, v20
	v_and_b32_e32 v11, 0x80000000, v16
	v_and_b32_e32 v14, 15, v14
	v_bfe_u32 v15, v16, 27, 4
	v_lshlrev_b32_sdwa v16, v21, v16 dst_sel:DWORD dst_unused:UNUSED_PAD src0_sel:DWORD src1_sel:BYTE_3
	v_sub_u32_e32 v20, 29, v20
	v_and_b32_e32 v16, 7, v16
	v_cmp_eq_u16_e32 vcc, 0, v14
	v_cndmask_b32_e32 v10, v10, v16, vcc
	v_cndmask_b32_e32 v14, v15, v20, vcc
	v_mov_b32_e32 v15, 0x3b800000
	v_lshlrev_b32_e32 v10, 20, v10
	v_lshl_add_u32 v14, v14, 23, v15
	v_or3_b32 v10, v11, v14, v10
.LBB14_348:
	s_or_b64 exec, exec, s[6:7]
	s_movk_i32 s4, 0x7f
	v_cmp_gt_i16_sdwa s[6:7], v12, s4 src0_sel:BYTE_3 src1_sel:DWORD
	s_mov_b64 s[4:5], 0
                                        ; implicit-def: $sgpr10
	s_and_saveexec_b64 s[8:9], s[6:7]
	s_xor_b64 s[6:7], exec, s[8:9]
	s_cbranch_execnz .LBB14_2397
; %bb.349:
	s_or_saveexec_b64 s[6:7], s[6:7]
	v_mov_b32_e32 v11, s10
	s_xor_b64 exec, exec, s[6:7]
	s_cbranch_execnz .LBB14_2400
.LBB14_350:
	s_or_b64 exec, exec, s[6:7]
	s_and_saveexec_b64 s[6:7], s[4:5]
	s_cbranch_execz .LBB14_352
.LBB14_351:
	v_bfe_u32 v11, v12, 24, 3
	v_ffbh_u32_e32 v20, v11
	v_min_u32_e32 v20, 32, v20
	v_lshrrev_b32_e32 v15, 27, v12
	v_subrev_u32_e32 v21, 28, v20
	v_and_b32_e32 v14, 0x80000000, v12
	v_and_b32_e32 v15, 15, v15
	v_bfe_u32 v16, v12, 27, 4
	v_lshlrev_b32_sdwa v12, v21, v12 dst_sel:DWORD dst_unused:UNUSED_PAD src0_sel:DWORD src1_sel:BYTE_3
	v_sub_u32_e32 v20, 29, v20
	v_and_b32_e32 v12, 7, v12
	v_cmp_eq_u16_e32 vcc, 0, v15
	v_cndmask_b32_e32 v11, v11, v12, vcc
	v_cndmask_b32_e32 v12, v16, v20, vcc
	v_mov_b32_e32 v15, 0x3b800000
	v_lshlrev_b32_e32 v11, 20, v11
	v_lshl_add_u32 v12, v12, 23, v15
	v_or3_b32 v11, v14, v12, v11
.LBB14_352:
	s_or_b64 exec, exec, s[6:7]
	s_nop 0
	v_mfma_f32_16x16x4f32 a[0:3], v10, v11, a[0:3]
	s_movk_i32 s4, 0x7f
	v_cmp_gt_i16_sdwa s[6:7], v17, s4 src0_sel:BYTE_0 src1_sel:DWORD
	s_mov_b64 s[4:5], 0
                                        ; implicit-def: $sgpr10
	s_and_saveexec_b64 s[8:9], s[6:7]
	s_xor_b64 s[6:7], exec, s[8:9]
	s_cbranch_execnz .LBB14_2401
; %bb.353:
	s_or_saveexec_b64 s[6:7], s[6:7]
	v_mov_b32_e32 v10, s10
	s_xor_b64 exec, exec, s[6:7]
	s_cbranch_execnz .LBB14_2404
.LBB14_354:
	s_or_b64 exec, exec, s[6:7]
	s_and_saveexec_b64 s[6:7], s[4:5]
	s_cbranch_execz .LBB14_356
.LBB14_355:
	v_and_b32_e32 v10, 7, v17
	v_ffbh_u32_e32 v12, v10
	v_min_u32_e32 v12, 32, v12
	v_lshrrev_b16_e32 v11, 3, v17
	v_subrev_u32_e32 v14, 28, v12
	v_and_b32_e32 v11, 15, v11
	v_lshlrev_b32_e32 v14, v14, v17
	v_sub_u32_e32 v12, 29, v12
	v_and_b32_e32 v14, 7, v14
	v_cmp_eq_u16_e32 vcc, 0, v11
	v_cndmask_b32_e32 v10, v10, v14, vcc
	v_cndmask_b32_e32 v11, v11, v12, vcc
	v_lshlrev_b32_e32 v12, 24, v17
	v_mov_b32_e32 v14, 0x3b800000
	v_lshlrev_b32_e32 v10, 20, v10
	v_and_b32_e32 v12, 0x80000000, v12
	v_lshl_add_u32 v11, v11, 23, v14
	v_or3_b32 v10, v12, v11, v10
.LBB14_356:
	s_or_b64 exec, exec, s[6:7]
	s_movk_i32 s4, 0x7f
	v_cmp_gt_i16_sdwa s[6:7], v13, s4 src0_sel:BYTE_0 src1_sel:DWORD
	s_mov_b64 s[4:5], 0
                                        ; implicit-def: $sgpr10
	s_and_saveexec_b64 s[8:9], s[6:7]
	s_xor_b64 s[6:7], exec, s[8:9]
	s_cbranch_execnz .LBB14_2405
; %bb.357:
	s_or_saveexec_b64 s[6:7], s[6:7]
	v_mov_b32_e32 v11, s10
	s_xor_b64 exec, exec, s[6:7]
	s_cbranch_execnz .LBB14_2408
.LBB14_358:
	s_or_b64 exec, exec, s[6:7]
	s_and_saveexec_b64 s[6:7], s[4:5]
	s_cbranch_execz .LBB14_360
.LBB14_359:
	v_and_b32_e32 v11, 7, v13
	v_ffbh_u32_e32 v14, v11
	v_min_u32_e32 v14, 32, v14
	v_lshrrev_b16_e32 v12, 3, v13
	v_subrev_u32_e32 v15, 28, v14
	v_and_b32_e32 v12, 15, v12
	v_lshlrev_b32_e32 v15, v15, v13
	v_sub_u32_e32 v14, 29, v14
	v_and_b32_e32 v15, 7, v15
	v_cmp_eq_u16_e32 vcc, 0, v12
	v_cndmask_b32_e32 v11, v11, v15, vcc
	v_cndmask_b32_e32 v12, v12, v14, vcc
	v_lshlrev_b32_e32 v14, 24, v13
	v_mov_b32_e32 v15, 0x3b800000
	v_lshlrev_b32_e32 v11, 20, v11
	v_and_b32_e32 v14, 0x80000000, v14
	v_lshl_add_u32 v12, v12, 23, v15
	v_or3_b32 v11, v14, v12, v11
.LBB14_360:
	s_or_b64 exec, exec, s[6:7]
	s_nop 0
	v_mfma_f32_16x16x4f32 a[0:3], v10, v11, a[0:3]
	v_lshrrev_b32_e32 v11, 8, v17
	s_movk_i32 s4, 0x7f
	v_cmp_gt_i16_sdwa s[6:7], v11, s4 src0_sel:BYTE_0 src1_sel:DWORD
	s_mov_b64 s[4:5], 0
                                        ; implicit-def: $sgpr10
	s_and_saveexec_b64 s[8:9], s[6:7]
	s_xor_b64 s[6:7], exec, s[8:9]
	s_cbranch_execnz .LBB14_2409
; %bb.361:
	s_or_saveexec_b64 s[6:7], s[6:7]
	v_mov_b32_e32 v10, s10
	s_xor_b64 exec, exec, s[6:7]
	s_cbranch_execnz .LBB14_2412
.LBB14_362:
	s_or_b64 exec, exec, s[6:7]
	s_and_saveexec_b64 s[6:7], s[4:5]
	s_cbranch_execz .LBB14_364
.LBB14_363:
	v_bfe_u32 v10, v17, 8, 3
	v_ffbh_u32_e32 v14, v10
	v_min_u32_e32 v14, 32, v14
	v_lshrrev_b16_e32 v12, 3, v11
	v_subrev_u32_e32 v15, 28, v14
	v_and_b32_e32 v12, 15, v12
	v_lshlrev_b32_e32 v11, v15, v11
	v_sub_u32_e32 v14, 29, v14
	v_and_b32_e32 v11, 7, v11
	v_cmp_eq_u16_e32 vcc, 0, v12
	v_cndmask_b32_e32 v10, v10, v11, vcc
	v_cndmask_b32_e32 v11, v12, v14, vcc
	v_lshlrev_b32_e32 v12, 16, v17
	v_mov_b32_e32 v14, 0x3b800000
	v_lshlrev_b32_e32 v10, 20, v10
	v_and_b32_e32 v12, 0x80000000, v12
	v_lshl_add_u32 v11, v11, 23, v14
	v_or3_b32 v10, v12, v11, v10
.LBB14_364:
	s_or_b64 exec, exec, s[6:7]
	v_lshrrev_b32_e32 v11, 8, v13
	s_movk_i32 s4, 0x7f
	v_cmp_gt_i16_sdwa s[6:7], v11, s4 src0_sel:BYTE_0 src1_sel:DWORD
	s_mov_b64 s[4:5], 0
                                        ; implicit-def: $sgpr10
	s_and_saveexec_b64 s[8:9], s[6:7]
	s_xor_b64 s[6:7], exec, s[8:9]
	s_cbranch_execnz .LBB14_2413
; %bb.365:
	s_or_saveexec_b64 s[6:7], s[6:7]
	v_mov_b32_e32 v12, s10
	s_xor_b64 exec, exec, s[6:7]
	s_cbranch_execnz .LBB14_2416
.LBB14_366:
	s_or_b64 exec, exec, s[6:7]
	s_and_saveexec_b64 s[6:7], s[4:5]
	s_cbranch_execz .LBB14_368
.LBB14_367:
	v_bfe_u32 v12, v13, 8, 3
	v_ffbh_u32_e32 v15, v12
	v_min_u32_e32 v15, 32, v15
	v_lshrrev_b16_e32 v14, 3, v11
	v_subrev_u32_e32 v16, 28, v15
	v_and_b32_e32 v14, 15, v14
	v_lshlrev_b32_e32 v11, v16, v11
	v_sub_u32_e32 v15, 29, v15
	v_and_b32_e32 v11, 7, v11
	v_cmp_eq_u16_e32 vcc, 0, v14
	v_cndmask_b32_e32 v11, v12, v11, vcc
	v_cndmask_b32_e32 v12, v14, v15, vcc
	v_lshlrev_b32_e32 v14, 16, v13
	v_mov_b32_e32 v15, 0x3b800000
	v_lshlrev_b32_e32 v11, 20, v11
	v_and_b32_e32 v14, 0x80000000, v14
	v_lshl_add_u32 v12, v12, 23, v15
	v_or3_b32 v12, v14, v12, v11
.LBB14_368:
	s_or_b64 exec, exec, s[6:7]
	s_nop 0
	v_mfma_f32_16x16x4f32 a[0:3], v10, v12, a[0:3]
	s_movk_i32 s4, 0xff
	v_and_b32_sdwa v11, v17, s4 dst_sel:DWORD dst_unused:UNUSED_PAD src0_sel:WORD_1 src1_sel:DWORD
	s_movk_i32 s4, 0x7f
	v_cmp_lt_i16_e32 vcc, s4, v11
	s_mov_b64 s[4:5], 0
                                        ; implicit-def: $sgpr10
	s_and_saveexec_b64 s[6:7], vcc
	s_xor_b64 s[6:7], exec, s[6:7]
	s_cbranch_execnz .LBB14_2417
; %bb.369:
	s_or_saveexec_b64 s[6:7], s[6:7]
	v_mov_b32_e32 v10, s10
	s_xor_b64 exec, exec, s[6:7]
	s_cbranch_execnz .LBB14_2420
.LBB14_370:
	s_or_b64 exec, exec, s[6:7]
	s_and_saveexec_b64 s[6:7], s[4:5]
	s_cbranch_execz .LBB14_372
.LBB14_371:
	v_bfe_u32 v10, v17, 16, 3
	v_ffbh_u32_e32 v14, v10
	v_min_u32_e32 v14, 32, v14
	v_lshrrev_b32_e32 v11, 19, v17
	v_subrev_u32_e32 v15, 28, v14
	v_and_b32_e32 v11, 15, v11
	v_lshlrev_b32_sdwa v15, v15, v17 dst_sel:DWORD dst_unused:UNUSED_PAD src0_sel:DWORD src1_sel:WORD_1
	v_bfe_u32 v12, v17, 19, 4
	v_sub_u32_e32 v14, 29, v14
	v_and_b32_e32 v15, 7, v15
	v_cmp_eq_u16_e32 vcc, 0, v11
	v_cndmask_b32_e32 v10, v10, v15, vcc
	v_cndmask_b32_e32 v11, v12, v14, vcc
	v_lshlrev_b32_e32 v12, 8, v17
	v_mov_b32_e32 v14, 0x3b800000
	v_lshlrev_b32_e32 v10, 20, v10
	v_and_b32_e32 v12, 0x80000000, v12
	v_lshl_add_u32 v11, v11, 23, v14
	v_or3_b32 v10, v12, v11, v10
.LBB14_372:
	s_or_b64 exec, exec, s[6:7]
	s_movk_i32 s4, 0xff
	v_and_b32_sdwa v11, v13, s4 dst_sel:DWORD dst_unused:UNUSED_PAD src0_sel:WORD_1 src1_sel:DWORD
	s_movk_i32 s4, 0x7f
	v_cmp_lt_i16_e32 vcc, s4, v11
	s_mov_b64 s[4:5], 0
                                        ; implicit-def: $sgpr10
	s_and_saveexec_b64 s[6:7], vcc
	s_xor_b64 s[6:7], exec, s[6:7]
	s_cbranch_execnz .LBB14_2421
; %bb.373:
	s_or_saveexec_b64 s[6:7], s[6:7]
	v_mov_b32_e32 v12, s10
	s_xor_b64 exec, exec, s[6:7]
	s_cbranch_execnz .LBB14_2424
.LBB14_374:
	s_or_b64 exec, exec, s[6:7]
	s_and_saveexec_b64 s[6:7], s[4:5]
	s_cbranch_execz .LBB14_376
.LBB14_375:
	v_bfe_u32 v11, v13, 16, 3
	v_ffbh_u32_e32 v15, v11
	v_min_u32_e32 v15, 32, v15
	v_lshrrev_b32_e32 v12, 19, v13
	v_subrev_u32_e32 v16, 28, v15
	v_and_b32_e32 v12, 15, v12
	v_lshlrev_b32_sdwa v16, v16, v13 dst_sel:DWORD dst_unused:UNUSED_PAD src0_sel:DWORD src1_sel:WORD_1
	v_bfe_u32 v14, v13, 19, 4
	v_sub_u32_e32 v15, 29, v15
	v_and_b32_e32 v16, 7, v16
	v_cmp_eq_u16_e32 vcc, 0, v12
	v_cndmask_b32_e32 v11, v11, v16, vcc
	v_cndmask_b32_e32 v12, v14, v15, vcc
	v_lshlrev_b32_e32 v14, 8, v13
	v_mov_b32_e32 v15, 0x3b800000
	v_lshlrev_b32_e32 v11, 20, v11
	v_and_b32_e32 v14, 0x80000000, v14
	v_lshl_add_u32 v12, v12, 23, v15
	v_or3_b32 v12, v14, v12, v11
.LBB14_376:
	s_or_b64 exec, exec, s[6:7]
	s_nop 0
	v_mfma_f32_16x16x4f32 a[0:3], v10, v12, a[0:3]
	s_movk_i32 s4, 0x7f
	v_cmp_gt_i16_sdwa s[6:7], v17, s4 src0_sel:BYTE_3 src1_sel:DWORD
	s_mov_b64 s[4:5], 0
                                        ; implicit-def: $sgpr10
	s_and_saveexec_b64 s[8:9], s[6:7]
	s_xor_b64 s[6:7], exec, s[8:9]
	s_cbranch_execnz .LBB14_2425
; %bb.377:
	s_or_saveexec_b64 s[6:7], s[6:7]
	v_mov_b32_e32 v10, s10
	s_xor_b64 exec, exec, s[6:7]
	s_cbranch_execnz .LBB14_2428
.LBB14_378:
	s_or_b64 exec, exec, s[6:7]
	s_and_saveexec_b64 s[6:7], s[4:5]
	s_cbranch_execz .LBB14_380
.LBB14_379:
	v_bfe_u32 v10, v17, 24, 3
	v_ffbh_u32_e32 v15, v10
	v_min_u32_e32 v15, 32, v15
	v_lshrrev_b32_e32 v12, 27, v17
	v_subrev_u32_e32 v16, 28, v15
	v_and_b32_e32 v12, 15, v12
	v_lshlrev_b32_sdwa v16, v16, v17 dst_sel:DWORD dst_unused:UNUSED_PAD src0_sel:DWORD src1_sel:BYTE_3
	v_bfe_u32 v14, v17, 27, 4
	v_sub_u32_e32 v15, 29, v15
	v_and_b32_e32 v16, 7, v16
	v_cmp_eq_u16_e32 vcc, 0, v12
	v_cndmask_b32_e32 v10, v10, v16, vcc
	v_cndmask_b32_e32 v12, v14, v15, vcc
	v_mov_b32_e32 v14, 0x3b800000
	v_and_b32_e32 v11, 0x80000000, v17
	v_lshlrev_b32_e32 v10, 20, v10
	v_lshl_add_u32 v12, v12, 23, v14
	v_or3_b32 v10, v11, v12, v10
.LBB14_380:
	s_or_b64 exec, exec, s[6:7]
	s_movk_i32 s4, 0x7f
	v_cmp_gt_i16_sdwa s[6:7], v13, s4 src0_sel:BYTE_3 src1_sel:DWORD
	s_mov_b64 s[4:5], 0
                                        ; implicit-def: $sgpr10
	s_and_saveexec_b64 s[8:9], s[6:7]
	s_xor_b64 s[6:7], exec, s[8:9]
	s_cbranch_execnz .LBB14_2429
; %bb.381:
	s_or_saveexec_b64 s[6:7], s[6:7]
	v_mov_b32_e32 v11, s10
	s_xor_b64 exec, exec, s[6:7]
	s_cbranch_execnz .LBB14_2432
.LBB14_382:
	s_or_b64 exec, exec, s[6:7]
	s_and_saveexec_b64 s[6:7], s[4:5]
	s_cbranch_execz .LBB14_384
.LBB14_383:
	v_bfe_u32 v11, v13, 24, 3
	v_ffbh_u32_e32 v16, v11
	v_min_u32_e32 v16, 32, v16
	v_lshrrev_b32_e32 v14, 27, v13
	v_subrev_u32_e32 v17, 28, v16
	v_and_b32_e32 v12, 0x80000000, v13
	v_and_b32_e32 v14, 15, v14
	v_bfe_u32 v15, v13, 27, 4
	v_lshlrev_b32_sdwa v13, v17, v13 dst_sel:DWORD dst_unused:UNUSED_PAD src0_sel:DWORD src1_sel:BYTE_3
	v_sub_u32_e32 v16, 29, v16
	v_and_b32_e32 v13, 7, v13
	v_cmp_eq_u16_e32 vcc, 0, v14
	v_cndmask_b32_e32 v11, v11, v13, vcc
	v_cndmask_b32_e32 v13, v15, v16, vcc
	v_mov_b32_e32 v14, 0x3b800000
	v_lshlrev_b32_e32 v11, 20, v11
	v_lshl_add_u32 v13, v13, 23, v14
	v_or3_b32 v11, v12, v13, v11
.LBB14_384:
	s_or_b64 exec, exec, s[6:7]
	s_nop 0
	v_mfma_f32_16x16x4f32 a[0:3], v10, v11, a[0:3]
	s_movk_i32 s4, 0x7f
	v_cmp_gt_i16_sdwa s[6:7], v6, s4 src0_sel:BYTE_0 src1_sel:DWORD
	s_mov_b64 s[4:5], 0
                                        ; implicit-def: $sgpr10
	s_and_saveexec_b64 s[8:9], s[6:7]
	s_xor_b64 s[6:7], exec, s[8:9]
	s_cbranch_execnz .LBB14_2433
; %bb.385:
	s_or_saveexec_b64 s[6:7], s[6:7]
	v_mov_b32_e32 v10, s10
	s_xor_b64 exec, exec, s[6:7]
	s_cbranch_execnz .LBB14_2436
.LBB14_386:
	s_or_b64 exec, exec, s[6:7]
	s_and_saveexec_b64 s[6:7], s[4:5]
	s_cbranch_execz .LBB14_388
.LBB14_387:
	v_and_b32_e32 v10, 7, v6
	v_ffbh_u32_e32 v12, v10
	v_min_u32_e32 v12, 32, v12
	v_lshrrev_b16_e32 v11, 3, v6
	v_subrev_u32_e32 v13, 28, v12
	v_and_b32_e32 v11, 15, v11
	v_lshlrev_b32_e32 v13, v13, v6
	v_sub_u32_e32 v12, 29, v12
	v_and_b32_e32 v13, 7, v13
	v_cmp_eq_u16_e32 vcc, 0, v11
	v_cndmask_b32_e32 v10, v10, v13, vcc
	v_cndmask_b32_e32 v11, v11, v12, vcc
	v_lshlrev_b32_e32 v12, 24, v6
	v_mov_b32_e32 v13, 0x3b800000
	v_lshlrev_b32_e32 v10, 20, v10
	v_and_b32_e32 v12, 0x80000000, v12
	v_lshl_add_u32 v11, v11, 23, v13
	v_or3_b32 v10, v12, v11, v10
.LBB14_388:
	s_or_b64 exec, exec, s[6:7]
	s_movk_i32 s4, 0x7f
	v_cmp_gt_i16_sdwa s[6:7], v2, s4 src0_sel:BYTE_0 src1_sel:DWORD
	s_mov_b64 s[4:5], 0
                                        ; implicit-def: $sgpr10
	s_and_saveexec_b64 s[8:9], s[6:7]
	s_xor_b64 s[6:7], exec, s[8:9]
	s_cbranch_execnz .LBB14_2437
; %bb.389:
	s_or_saveexec_b64 s[6:7], s[6:7]
	v_mov_b32_e32 v11, s10
	s_xor_b64 exec, exec, s[6:7]
	s_cbranch_execnz .LBB14_2440
.LBB14_390:
	s_or_b64 exec, exec, s[6:7]
	s_and_saveexec_b64 s[6:7], s[4:5]
	s_cbranch_execz .LBB14_392
.LBB14_391:
	v_and_b32_e32 v11, 7, v2
	v_ffbh_u32_e32 v13, v11
	v_min_u32_e32 v13, 32, v13
	v_lshrrev_b16_e32 v12, 3, v2
	v_subrev_u32_e32 v14, 28, v13
	v_and_b32_e32 v12, 15, v12
	v_lshlrev_b32_e32 v14, v14, v2
	v_sub_u32_e32 v13, 29, v13
	v_and_b32_e32 v14, 7, v14
	v_cmp_eq_u16_e32 vcc, 0, v12
	v_cndmask_b32_e32 v11, v11, v14, vcc
	v_cndmask_b32_e32 v12, v12, v13, vcc
	v_lshlrev_b32_e32 v13, 24, v2
	v_mov_b32_e32 v14, 0x3b800000
	v_lshlrev_b32_e32 v11, 20, v11
	v_and_b32_e32 v13, 0x80000000, v13
	v_lshl_add_u32 v12, v12, 23, v14
	v_or3_b32 v11, v13, v12, v11
.LBB14_392:
	s_or_b64 exec, exec, s[6:7]
	s_nop 0
	v_mfma_f32_16x16x4f32 a[0:3], v10, v11, a[0:3]
	v_lshrrev_b32_e32 v11, 8, v6
	s_movk_i32 s4, 0x7f
	v_cmp_gt_i16_sdwa s[6:7], v11, s4 src0_sel:BYTE_0 src1_sel:DWORD
	s_mov_b64 s[4:5], 0
                                        ; implicit-def: $sgpr10
	s_and_saveexec_b64 s[8:9], s[6:7]
	s_xor_b64 s[6:7], exec, s[8:9]
	s_cbranch_execnz .LBB14_2441
; %bb.393:
	s_or_saveexec_b64 s[6:7], s[6:7]
	v_mov_b32_e32 v10, s10
	s_xor_b64 exec, exec, s[6:7]
	s_cbranch_execnz .LBB14_2444
.LBB14_394:
	s_or_b64 exec, exec, s[6:7]
	s_and_saveexec_b64 s[6:7], s[4:5]
	s_cbranch_execz .LBB14_396
.LBB14_395:
	v_bfe_u32 v10, v6, 8, 3
	v_ffbh_u32_e32 v13, v10
	v_min_u32_e32 v13, 32, v13
	v_lshrrev_b16_e32 v12, 3, v11
	v_subrev_u32_e32 v14, 28, v13
	v_and_b32_e32 v12, 15, v12
	v_lshlrev_b32_e32 v11, v14, v11
	v_sub_u32_e32 v13, 29, v13
	v_and_b32_e32 v11, 7, v11
	v_cmp_eq_u16_e32 vcc, 0, v12
	v_cndmask_b32_e32 v10, v10, v11, vcc
	v_cndmask_b32_e32 v11, v12, v13, vcc
	v_lshlrev_b32_e32 v12, 16, v6
	v_mov_b32_e32 v13, 0x3b800000
	v_lshlrev_b32_e32 v10, 20, v10
	v_and_b32_e32 v12, 0x80000000, v12
	v_lshl_add_u32 v11, v11, 23, v13
	v_or3_b32 v10, v12, v11, v10
.LBB14_396:
	s_or_b64 exec, exec, s[6:7]
	v_lshrrev_b32_e32 v11, 8, v2
	s_movk_i32 s4, 0x7f
	v_cmp_gt_i16_sdwa s[6:7], v11, s4 src0_sel:BYTE_0 src1_sel:DWORD
	s_mov_b64 s[4:5], 0
                                        ; implicit-def: $sgpr10
	s_and_saveexec_b64 s[8:9], s[6:7]
	s_xor_b64 s[6:7], exec, s[8:9]
	s_cbranch_execnz .LBB14_2445
; %bb.397:
	s_or_saveexec_b64 s[6:7], s[6:7]
	v_mov_b32_e32 v12, s10
	s_xor_b64 exec, exec, s[6:7]
	s_cbranch_execnz .LBB14_2448
.LBB14_398:
	s_or_b64 exec, exec, s[6:7]
	s_and_saveexec_b64 s[6:7], s[4:5]
	s_cbranch_execz .LBB14_400
.LBB14_399:
	v_bfe_u32 v12, v2, 8, 3
	v_ffbh_u32_e32 v14, v12
	v_min_u32_e32 v14, 32, v14
	v_lshrrev_b16_e32 v13, 3, v11
	v_subrev_u32_e32 v15, 28, v14
	v_and_b32_e32 v13, 15, v13
	v_lshlrev_b32_e32 v11, v15, v11
	v_sub_u32_e32 v14, 29, v14
	v_and_b32_e32 v11, 7, v11
	v_cmp_eq_u16_e32 vcc, 0, v13
	v_cndmask_b32_e32 v11, v12, v11, vcc
	v_cndmask_b32_e32 v12, v13, v14, vcc
	v_lshlrev_b32_e32 v13, 16, v2
	v_mov_b32_e32 v14, 0x3b800000
	v_lshlrev_b32_e32 v11, 20, v11
	v_and_b32_e32 v13, 0x80000000, v13
	v_lshl_add_u32 v12, v12, 23, v14
	v_or3_b32 v12, v13, v12, v11
.LBB14_400:
	s_or_b64 exec, exec, s[6:7]
	s_nop 0
	v_mfma_f32_16x16x4f32 a[0:3], v10, v12, a[0:3]
	s_movk_i32 s4, 0xff
	v_and_b32_sdwa v11, v6, s4 dst_sel:DWORD dst_unused:UNUSED_PAD src0_sel:WORD_1 src1_sel:DWORD
	s_movk_i32 s4, 0x7f
	v_cmp_lt_i16_e32 vcc, s4, v11
	s_mov_b64 s[4:5], 0
                                        ; implicit-def: $sgpr10
	s_and_saveexec_b64 s[6:7], vcc
	s_xor_b64 s[6:7], exec, s[6:7]
	s_cbranch_execnz .LBB14_2449
; %bb.401:
	s_or_saveexec_b64 s[6:7], s[6:7]
	v_mov_b32_e32 v10, s10
	s_xor_b64 exec, exec, s[6:7]
	s_cbranch_execnz .LBB14_2452
.LBB14_402:
	s_or_b64 exec, exec, s[6:7]
	s_and_saveexec_b64 s[6:7], s[4:5]
	s_cbranch_execz .LBB14_404
.LBB14_403:
	v_bfe_u32 v10, v6, 16, 3
	v_ffbh_u32_e32 v13, v10
	v_min_u32_e32 v13, 32, v13
	v_lshrrev_b32_e32 v11, 19, v6
	v_subrev_u32_e32 v14, 28, v13
	v_and_b32_e32 v11, 15, v11
	v_lshlrev_b32_sdwa v14, v14, v6 dst_sel:DWORD dst_unused:UNUSED_PAD src0_sel:DWORD src1_sel:WORD_1
	v_bfe_u32 v12, v6, 19, 4
	v_sub_u32_e32 v13, 29, v13
	v_and_b32_e32 v14, 7, v14
	v_cmp_eq_u16_e32 vcc, 0, v11
	v_cndmask_b32_e32 v10, v10, v14, vcc
	v_cndmask_b32_e32 v11, v12, v13, vcc
	v_lshlrev_b32_e32 v12, 8, v6
	v_mov_b32_e32 v13, 0x3b800000
	v_lshlrev_b32_e32 v10, 20, v10
	v_and_b32_e32 v12, 0x80000000, v12
	v_lshl_add_u32 v11, v11, 23, v13
	v_or3_b32 v10, v12, v11, v10
.LBB14_404:
	s_or_b64 exec, exec, s[6:7]
	s_movk_i32 s4, 0xff
	v_and_b32_sdwa v11, v2, s4 dst_sel:DWORD dst_unused:UNUSED_PAD src0_sel:WORD_1 src1_sel:DWORD
	s_movk_i32 s4, 0x7f
	v_cmp_lt_i16_e32 vcc, s4, v11
	s_mov_b64 s[4:5], 0
                                        ; implicit-def: $sgpr10
	s_and_saveexec_b64 s[6:7], vcc
	s_xor_b64 s[6:7], exec, s[6:7]
	s_cbranch_execnz .LBB14_2453
; %bb.405:
	s_or_saveexec_b64 s[6:7], s[6:7]
	v_mov_b32_e32 v12, s10
	s_xor_b64 exec, exec, s[6:7]
	s_cbranch_execnz .LBB14_2456
.LBB14_406:
	s_or_b64 exec, exec, s[6:7]
	s_and_saveexec_b64 s[6:7], s[4:5]
	s_cbranch_execz .LBB14_408
.LBB14_407:
	v_bfe_u32 v11, v2, 16, 3
	v_ffbh_u32_e32 v14, v11
	v_min_u32_e32 v14, 32, v14
	v_lshrrev_b32_e32 v12, 19, v2
	v_subrev_u32_e32 v15, 28, v14
	v_and_b32_e32 v12, 15, v12
	v_lshlrev_b32_sdwa v15, v15, v2 dst_sel:DWORD dst_unused:UNUSED_PAD src0_sel:DWORD src1_sel:WORD_1
	v_bfe_u32 v13, v2, 19, 4
	v_sub_u32_e32 v14, 29, v14
	v_and_b32_e32 v15, 7, v15
	v_cmp_eq_u16_e32 vcc, 0, v12
	v_cndmask_b32_e32 v11, v11, v15, vcc
	v_cndmask_b32_e32 v12, v13, v14, vcc
	v_lshlrev_b32_e32 v13, 8, v2
	v_mov_b32_e32 v14, 0x3b800000
	v_lshlrev_b32_e32 v11, 20, v11
	v_and_b32_e32 v13, 0x80000000, v13
	v_lshl_add_u32 v12, v12, 23, v14
	v_or3_b32 v12, v13, v12, v11
.LBB14_408:
	s_or_b64 exec, exec, s[6:7]
	s_nop 0
	v_mfma_f32_16x16x4f32 a[0:3], v10, v12, a[0:3]
	s_movk_i32 s4, 0x7f
	v_cmp_gt_i16_sdwa s[6:7], v6, s4 src0_sel:BYTE_3 src1_sel:DWORD
	s_mov_b64 s[4:5], 0
                                        ; implicit-def: $sgpr10
	s_and_saveexec_b64 s[8:9], s[6:7]
	s_xor_b64 s[6:7], exec, s[8:9]
	s_cbranch_execnz .LBB14_2457
; %bb.409:
	s_or_saveexec_b64 s[6:7], s[6:7]
	v_mov_b32_e32 v10, s10
	s_xor_b64 exec, exec, s[6:7]
	s_cbranch_execnz .LBB14_2460
.LBB14_410:
	s_or_b64 exec, exec, s[6:7]
	s_and_saveexec_b64 s[6:7], s[4:5]
	s_cbranch_execz .LBB14_412
.LBB14_411:
	v_bfe_u32 v10, v6, 24, 3
	v_ffbh_u32_e32 v14, v10
	v_min_u32_e32 v14, 32, v14
	v_lshrrev_b32_e32 v12, 27, v6
	v_subrev_u32_e32 v15, 28, v14
	v_and_b32_e32 v11, 0x80000000, v6
	v_and_b32_e32 v12, 15, v12
	v_bfe_u32 v13, v6, 27, 4
	v_lshlrev_b32_sdwa v6, v15, v6 dst_sel:DWORD dst_unused:UNUSED_PAD src0_sel:DWORD src1_sel:BYTE_3
	v_sub_u32_e32 v14, 29, v14
	v_and_b32_e32 v6, 7, v6
	v_cmp_eq_u16_e32 vcc, 0, v12
	v_cndmask_b32_e32 v6, v10, v6, vcc
	v_cndmask_b32_e32 v10, v13, v14, vcc
	v_mov_b32_e32 v12, 0x3b800000
	v_lshlrev_b32_e32 v6, 20, v6
	v_lshl_add_u32 v10, v10, 23, v12
	v_or3_b32 v10, v11, v10, v6
.LBB14_412:
	s_or_b64 exec, exec, s[6:7]
	s_movk_i32 s4, 0x7f
	v_cmp_gt_i16_sdwa s[6:7], v2, s4 src0_sel:BYTE_3 src1_sel:DWORD
	s_mov_b64 s[4:5], 0
                                        ; implicit-def: $sgpr10
	s_and_saveexec_b64 s[8:9], s[6:7]
	s_xor_b64 s[6:7], exec, s[8:9]
	s_cbranch_execnz .LBB14_2461
; %bb.413:
	s_or_saveexec_b64 s[6:7], s[6:7]
	v_mov_b32_e32 v6, s10
	s_xor_b64 exec, exec, s[6:7]
	s_cbranch_execnz .LBB14_2464
.LBB14_414:
	s_or_b64 exec, exec, s[6:7]
	s_and_saveexec_b64 s[6:7], s[4:5]
	s_cbranch_execz .LBB14_416
.LBB14_415:
	v_bfe_u32 v6, v2, 24, 3
	v_ffbh_u32_e32 v14, v6
	v_min_u32_e32 v14, 32, v14
	v_lshrrev_b32_e32 v12, 27, v2
	v_subrev_u32_e32 v15, 28, v14
	v_and_b32_e32 v11, 0x80000000, v2
	v_and_b32_e32 v12, 15, v12
	v_bfe_u32 v13, v2, 27, 4
	v_lshlrev_b32_sdwa v2, v15, v2 dst_sel:DWORD dst_unused:UNUSED_PAD src0_sel:DWORD src1_sel:BYTE_3
	v_sub_u32_e32 v14, 29, v14
	v_and_b32_e32 v2, 7, v2
	v_cmp_eq_u16_e32 vcc, 0, v12
	v_cndmask_b32_e32 v2, v6, v2, vcc
	v_cndmask_b32_e32 v6, v13, v14, vcc
	v_mov_b32_e32 v12, 0x3b800000
	v_lshlrev_b32_e32 v2, 20, v2
	v_lshl_add_u32 v6, v6, 23, v12
	v_or3_b32 v6, v11, v6, v2
.LBB14_416:
	s_or_b64 exec, exec, s[6:7]
	s_nop 0
	v_mfma_f32_16x16x4f32 a[0:3], v10, v6, a[0:3]
	s_movk_i32 s4, 0x7f
	v_cmp_gt_i16_sdwa s[6:7], v7, s4 src0_sel:BYTE_0 src1_sel:DWORD
	s_mov_b64 s[4:5], 0
                                        ; implicit-def: $sgpr10
	s_and_saveexec_b64 s[8:9], s[6:7]
	s_xor_b64 s[6:7], exec, s[8:9]
	s_cbranch_execnz .LBB14_2465
; %bb.417:
	s_or_saveexec_b64 s[6:7], s[6:7]
	v_mov_b32_e32 v2, s10
	s_xor_b64 exec, exec, s[6:7]
	s_cbranch_execnz .LBB14_2468
.LBB14_418:
	s_or_b64 exec, exec, s[6:7]
	s_and_saveexec_b64 s[6:7], s[4:5]
	s_cbranch_execz .LBB14_420
.LBB14_419:
	v_and_b32_e32 v2, 7, v7
	v_ffbh_u32_e32 v10, v2
	v_min_u32_e32 v10, 32, v10
	v_lshrrev_b16_e32 v6, 3, v7
	v_subrev_u32_e32 v11, 28, v10
	v_and_b32_e32 v6, 15, v6
	v_lshlrev_b32_e32 v11, v11, v7
	v_sub_u32_e32 v10, 29, v10
	v_and_b32_e32 v11, 7, v11
	v_cmp_eq_u16_e32 vcc, 0, v6
	v_cndmask_b32_e32 v2, v2, v11, vcc
	v_cndmask_b32_e32 v6, v6, v10, vcc
	v_lshlrev_b32_e32 v10, 24, v7
	v_mov_b32_e32 v11, 0x3b800000
	v_lshlrev_b32_e32 v2, 20, v2
	v_and_b32_e32 v10, 0x80000000, v10
	v_lshl_add_u32 v6, v6, 23, v11
	v_or3_b32 v2, v10, v6, v2
.LBB14_420:
	s_or_b64 exec, exec, s[6:7]
	s_movk_i32 s4, 0x7f
	v_cmp_gt_i16_sdwa s[6:7], v3, s4 src0_sel:BYTE_0 src1_sel:DWORD
	s_mov_b64 s[4:5], 0
                                        ; implicit-def: $sgpr10
	s_and_saveexec_b64 s[8:9], s[6:7]
	s_xor_b64 s[6:7], exec, s[8:9]
	s_cbranch_execnz .LBB14_2469
; %bb.421:
	s_or_saveexec_b64 s[6:7], s[6:7]
	v_mov_b32_e32 v6, s10
	s_xor_b64 exec, exec, s[6:7]
	s_cbranch_execnz .LBB14_2472
.LBB14_422:
	s_or_b64 exec, exec, s[6:7]
	s_and_saveexec_b64 s[6:7], s[4:5]
	s_cbranch_execz .LBB14_424
.LBB14_423:
	v_and_b32_e32 v6, 7, v3
	v_ffbh_u32_e32 v11, v6
	v_min_u32_e32 v11, 32, v11
	v_lshrrev_b16_e32 v10, 3, v3
	v_subrev_u32_e32 v12, 28, v11
	v_and_b32_e32 v10, 15, v10
	v_lshlrev_b32_e32 v12, v12, v3
	v_sub_u32_e32 v11, 29, v11
	v_and_b32_e32 v12, 7, v12
	v_cmp_eq_u16_e32 vcc, 0, v10
	v_cndmask_b32_e32 v6, v6, v12, vcc
	v_cndmask_b32_e32 v10, v10, v11, vcc
	v_lshlrev_b32_e32 v11, 24, v3
	v_mov_b32_e32 v12, 0x3b800000
	v_lshlrev_b32_e32 v6, 20, v6
	v_and_b32_e32 v11, 0x80000000, v11
	v_lshl_add_u32 v10, v10, 23, v12
	v_or3_b32 v6, v11, v10, v6
.LBB14_424:
	s_or_b64 exec, exec, s[6:7]
	s_nop 0
	v_mfma_f32_16x16x4f32 a[0:3], v2, v6, a[0:3]
	v_lshrrev_b32_e32 v6, 8, v7
	s_movk_i32 s4, 0x7f
	v_cmp_gt_i16_sdwa s[6:7], v6, s4 src0_sel:BYTE_0 src1_sel:DWORD
	s_mov_b64 s[4:5], 0
                                        ; implicit-def: $sgpr10
	s_and_saveexec_b64 s[8:9], s[6:7]
	s_xor_b64 s[6:7], exec, s[8:9]
	s_cbranch_execnz .LBB14_2473
; %bb.425:
	s_or_saveexec_b64 s[6:7], s[6:7]
	v_mov_b32_e32 v2, s10
	s_xor_b64 exec, exec, s[6:7]
	s_cbranch_execnz .LBB14_2476
.LBB14_426:
	s_or_b64 exec, exec, s[6:7]
	s_and_saveexec_b64 s[6:7], s[4:5]
	s_cbranch_execz .LBB14_428
.LBB14_427:
	v_bfe_u32 v2, v7, 8, 3
	v_ffbh_u32_e32 v11, v2
	v_min_u32_e32 v11, 32, v11
	v_lshrrev_b16_e32 v10, 3, v6
	v_subrev_u32_e32 v12, 28, v11
	v_and_b32_e32 v10, 15, v10
	v_lshlrev_b32_e32 v6, v12, v6
	v_sub_u32_e32 v11, 29, v11
	v_and_b32_e32 v6, 7, v6
	v_cmp_eq_u16_e32 vcc, 0, v10
	v_cndmask_b32_e32 v2, v2, v6, vcc
	v_cndmask_b32_e32 v6, v10, v11, vcc
	v_lshlrev_b32_e32 v10, 16, v7
	v_mov_b32_e32 v11, 0x3b800000
	v_lshlrev_b32_e32 v2, 20, v2
	v_and_b32_e32 v10, 0x80000000, v10
	v_lshl_add_u32 v6, v6, 23, v11
	v_or3_b32 v2, v10, v6, v2
.LBB14_428:
	s_or_b64 exec, exec, s[6:7]
	v_lshrrev_b32_e32 v6, 8, v3
	s_movk_i32 s4, 0x7f
	v_cmp_gt_i16_sdwa s[6:7], v6, s4 src0_sel:BYTE_0 src1_sel:DWORD
	s_mov_b64 s[4:5], 0
                                        ; implicit-def: $sgpr10
	s_and_saveexec_b64 s[8:9], s[6:7]
	s_xor_b64 s[6:7], exec, s[8:9]
	s_cbranch_execnz .LBB14_2477
; %bb.429:
	s_or_saveexec_b64 s[6:7], s[6:7]
	v_mov_b32_e32 v10, s10
	s_xor_b64 exec, exec, s[6:7]
	s_cbranch_execnz .LBB14_2480
.LBB14_430:
	s_or_b64 exec, exec, s[6:7]
	s_and_saveexec_b64 s[6:7], s[4:5]
	s_cbranch_execz .LBB14_432
.LBB14_431:
	v_bfe_u32 v10, v3, 8, 3
	v_ffbh_u32_e32 v12, v10
	v_min_u32_e32 v12, 32, v12
	v_lshrrev_b16_e32 v11, 3, v6
	v_subrev_u32_e32 v13, 28, v12
	v_and_b32_e32 v11, 15, v11
	v_lshlrev_b32_e32 v6, v13, v6
	v_sub_u32_e32 v12, 29, v12
	v_and_b32_e32 v6, 7, v6
	v_cmp_eq_u16_e32 vcc, 0, v11
	v_cndmask_b32_e32 v6, v10, v6, vcc
	v_cndmask_b32_e32 v10, v11, v12, vcc
	v_lshlrev_b32_e32 v11, 16, v3
	v_mov_b32_e32 v12, 0x3b800000
	v_lshlrev_b32_e32 v6, 20, v6
	v_and_b32_e32 v11, 0x80000000, v11
	v_lshl_add_u32 v10, v10, 23, v12
	v_or3_b32 v10, v11, v10, v6
.LBB14_432:
	s_or_b64 exec, exec, s[6:7]
	s_nop 0
	v_mfma_f32_16x16x4f32 a[0:3], v2, v10, a[0:3]
	s_movk_i32 s4, 0xff
	v_and_b32_sdwa v6, v7, s4 dst_sel:DWORD dst_unused:UNUSED_PAD src0_sel:WORD_1 src1_sel:DWORD
	s_movk_i32 s4, 0x7f
	v_cmp_lt_i16_e32 vcc, s4, v6
	s_mov_b64 s[4:5], 0
                                        ; implicit-def: $sgpr10
	s_and_saveexec_b64 s[6:7], vcc
	s_xor_b64 s[6:7], exec, s[6:7]
	s_cbranch_execnz .LBB14_2481
; %bb.433:
	s_or_saveexec_b64 s[6:7], s[6:7]
	v_mov_b32_e32 v2, s10
	s_xor_b64 exec, exec, s[6:7]
	s_cbranch_execnz .LBB14_2484
.LBB14_434:
	s_or_b64 exec, exec, s[6:7]
	s_and_saveexec_b64 s[6:7], s[4:5]
	s_cbranch_execz .LBB14_436
.LBB14_435:
	v_bfe_u32 v2, v7, 16, 3
	v_ffbh_u32_e32 v11, v2
	v_min_u32_e32 v11, 32, v11
	v_lshrrev_b32_e32 v6, 19, v7
	v_subrev_u32_e32 v12, 28, v11
	v_and_b32_e32 v6, 15, v6
	v_lshlrev_b32_sdwa v12, v12, v7 dst_sel:DWORD dst_unused:UNUSED_PAD src0_sel:DWORD src1_sel:WORD_1
	v_bfe_u32 v10, v7, 19, 4
	v_sub_u32_e32 v11, 29, v11
	v_and_b32_e32 v12, 7, v12
	v_cmp_eq_u16_e32 vcc, 0, v6
	v_cndmask_b32_e32 v2, v2, v12, vcc
	v_cndmask_b32_e32 v6, v10, v11, vcc
	v_lshlrev_b32_e32 v10, 8, v7
	v_mov_b32_e32 v11, 0x3b800000
	v_lshlrev_b32_e32 v2, 20, v2
	v_and_b32_e32 v10, 0x80000000, v10
	v_lshl_add_u32 v6, v6, 23, v11
	v_or3_b32 v2, v10, v6, v2
.LBB14_436:
	s_or_b64 exec, exec, s[6:7]
	s_movk_i32 s4, 0xff
	v_and_b32_sdwa v6, v3, s4 dst_sel:DWORD dst_unused:UNUSED_PAD src0_sel:WORD_1 src1_sel:DWORD
	s_movk_i32 s4, 0x7f
	v_cmp_lt_i16_e32 vcc, s4, v6
	s_mov_b64 s[4:5], 0
                                        ; implicit-def: $sgpr10
	s_and_saveexec_b64 s[6:7], vcc
	s_xor_b64 s[6:7], exec, s[6:7]
	s_cbranch_execnz .LBB14_2485
; %bb.437:
	s_or_saveexec_b64 s[6:7], s[6:7]
	v_mov_b32_e32 v10, s10
	s_xor_b64 exec, exec, s[6:7]
	s_cbranch_execnz .LBB14_2488
.LBB14_438:
	s_or_b64 exec, exec, s[6:7]
	s_and_saveexec_b64 s[6:7], s[4:5]
	s_cbranch_execz .LBB14_440
.LBB14_439:
	v_bfe_u32 v6, v3, 16, 3
	v_ffbh_u32_e32 v12, v6
	v_min_u32_e32 v12, 32, v12
	v_lshrrev_b32_e32 v10, 19, v3
	v_subrev_u32_e32 v13, 28, v12
	v_and_b32_e32 v10, 15, v10
	v_lshlrev_b32_sdwa v13, v13, v3 dst_sel:DWORD dst_unused:UNUSED_PAD src0_sel:DWORD src1_sel:WORD_1
	v_bfe_u32 v11, v3, 19, 4
	v_sub_u32_e32 v12, 29, v12
	v_and_b32_e32 v13, 7, v13
	v_cmp_eq_u16_e32 vcc, 0, v10
	v_cndmask_b32_e32 v6, v6, v13, vcc
	v_cndmask_b32_e32 v10, v11, v12, vcc
	v_lshlrev_b32_e32 v11, 8, v3
	v_mov_b32_e32 v12, 0x3b800000
	v_lshlrev_b32_e32 v6, 20, v6
	v_and_b32_e32 v11, 0x80000000, v11
	v_lshl_add_u32 v10, v10, 23, v12
	v_or3_b32 v10, v11, v10, v6
.LBB14_440:
	s_or_b64 exec, exec, s[6:7]
	s_nop 0
	v_mfma_f32_16x16x4f32 a[0:3], v2, v10, a[0:3]
	s_movk_i32 s4, 0x7f
	v_cmp_gt_i16_sdwa s[6:7], v7, s4 src0_sel:BYTE_3 src1_sel:DWORD
	s_mov_b64 s[4:5], 0
                                        ; implicit-def: $sgpr10
	s_and_saveexec_b64 s[8:9], s[6:7]
	s_xor_b64 s[6:7], exec, s[8:9]
	s_cbranch_execnz .LBB14_2489
; %bb.441:
	s_or_saveexec_b64 s[6:7], s[6:7]
	v_mov_b32_e32 v2, s10
	s_xor_b64 exec, exec, s[6:7]
	s_cbranch_execnz .LBB14_2492
.LBB14_442:
	s_or_b64 exec, exec, s[6:7]
	s_and_saveexec_b64 s[6:7], s[4:5]
	s_cbranch_execz .LBB14_444
.LBB14_443:
	v_bfe_u32 v2, v7, 24, 3
	v_ffbh_u32_e32 v12, v2
	v_min_u32_e32 v12, 32, v12
	v_lshrrev_b32_e32 v10, 27, v7
	v_subrev_u32_e32 v13, 28, v12
	v_and_b32_e32 v6, 0x80000000, v7
	v_and_b32_e32 v10, 15, v10
	v_bfe_u32 v11, v7, 27, 4
	v_lshlrev_b32_sdwa v7, v13, v7 dst_sel:DWORD dst_unused:UNUSED_PAD src0_sel:DWORD src1_sel:BYTE_3
	v_sub_u32_e32 v12, 29, v12
	v_and_b32_e32 v7, 7, v7
	v_cmp_eq_u16_e32 vcc, 0, v10
	v_cndmask_b32_e32 v2, v2, v7, vcc
	v_cndmask_b32_e32 v7, v11, v12, vcc
	v_mov_b32_e32 v10, 0x3b800000
	v_lshlrev_b32_e32 v2, 20, v2
	v_lshl_add_u32 v7, v7, 23, v10
	v_or3_b32 v2, v6, v7, v2
.LBB14_444:
	s_or_b64 exec, exec, s[6:7]
	s_movk_i32 s4, 0x7f
	v_cmp_gt_i16_sdwa s[6:7], v3, s4 src0_sel:BYTE_3 src1_sel:DWORD
	s_mov_b64 s[4:5], 0
                                        ; implicit-def: $sgpr10
	s_and_saveexec_b64 s[8:9], s[6:7]
	s_xor_b64 s[6:7], exec, s[8:9]
	s_cbranch_execnz .LBB14_2493
; %bb.445:
	s_or_saveexec_b64 s[6:7], s[6:7]
	v_mov_b32_e32 v6, s10
	s_xor_b64 exec, exec, s[6:7]
	s_cbranch_execnz .LBB14_2496
.LBB14_446:
	s_or_b64 exec, exec, s[6:7]
	s_and_saveexec_b64 s[6:7], s[4:5]
	s_cbranch_execz .LBB14_448
.LBB14_447:
	v_bfe_u32 v6, v3, 24, 3
	v_ffbh_u32_e32 v12, v6
	v_min_u32_e32 v12, 32, v12
	v_lshrrev_b32_e32 v10, 27, v3
	v_subrev_u32_e32 v13, 28, v12
	v_and_b32_e32 v7, 0x80000000, v3
	v_and_b32_e32 v10, 15, v10
	v_bfe_u32 v11, v3, 27, 4
	v_lshlrev_b32_sdwa v3, v13, v3 dst_sel:DWORD dst_unused:UNUSED_PAD src0_sel:DWORD src1_sel:BYTE_3
	v_sub_u32_e32 v12, 29, v12
	v_and_b32_e32 v3, 7, v3
	v_cmp_eq_u16_e32 vcc, 0, v10
	v_cndmask_b32_e32 v3, v6, v3, vcc
	v_cndmask_b32_e32 v6, v11, v12, vcc
	v_mov_b32_e32 v10, 0x3b800000
	v_lshlrev_b32_e32 v3, 20, v3
	v_lshl_add_u32 v6, v6, 23, v10
	v_or3_b32 v6, v7, v6, v3
.LBB14_448:
	s_or_b64 exec, exec, s[6:7]
	s_nop 0
	v_mfma_f32_16x16x4f32 a[0:3], v2, v6, a[0:3]
	s_movk_i32 s4, 0x7f
	v_cmp_gt_i16_sdwa s[6:7], v8, s4 src0_sel:BYTE_0 src1_sel:DWORD
	s_mov_b64 s[4:5], 0
                                        ; implicit-def: $sgpr10
	s_and_saveexec_b64 s[8:9], s[6:7]
	s_xor_b64 s[6:7], exec, s[8:9]
	s_cbranch_execnz .LBB14_2497
; %bb.449:
	s_or_saveexec_b64 s[6:7], s[6:7]
	v_mov_b32_e32 v2, s10
	s_xor_b64 exec, exec, s[6:7]
	s_cbranch_execnz .LBB14_2500
.LBB14_450:
	s_or_b64 exec, exec, s[6:7]
	s_and_saveexec_b64 s[6:7], s[4:5]
	s_cbranch_execz .LBB14_452
.LBB14_451:
	v_and_b32_e32 v2, 7, v8
	v_ffbh_u32_e32 v6, v2
	v_min_u32_e32 v6, 32, v6
	v_lshrrev_b16_e32 v3, 3, v8
	v_subrev_u32_e32 v7, 28, v6
	v_and_b32_e32 v3, 15, v3
	v_lshlrev_b32_e32 v7, v7, v8
	v_sub_u32_e32 v6, 29, v6
	v_and_b32_e32 v7, 7, v7
	v_cmp_eq_u16_e32 vcc, 0, v3
	v_cndmask_b32_e32 v2, v2, v7, vcc
	v_cndmask_b32_e32 v3, v3, v6, vcc
	v_lshlrev_b32_e32 v6, 24, v8
	v_mov_b32_e32 v7, 0x3b800000
	v_lshlrev_b32_e32 v2, 20, v2
	v_and_b32_e32 v6, 0x80000000, v6
	v_lshl_add_u32 v3, v3, 23, v7
	v_or3_b32 v2, v6, v3, v2
.LBB14_452:
	s_or_b64 exec, exec, s[6:7]
	s_movk_i32 s4, 0x7f
	v_cmp_gt_i16_sdwa s[6:7], v4, s4 src0_sel:BYTE_0 src1_sel:DWORD
	s_mov_b64 s[4:5], 0
                                        ; implicit-def: $sgpr10
	s_and_saveexec_b64 s[8:9], s[6:7]
	s_xor_b64 s[6:7], exec, s[8:9]
	s_cbranch_execnz .LBB14_2501
; %bb.453:
	s_or_saveexec_b64 s[6:7], s[6:7]
	v_mov_b32_e32 v3, s10
	s_xor_b64 exec, exec, s[6:7]
	s_cbranch_execnz .LBB14_2504
.LBB14_454:
	s_or_b64 exec, exec, s[6:7]
	s_and_saveexec_b64 s[6:7], s[4:5]
	s_cbranch_execz .LBB14_456
.LBB14_455:
	v_and_b32_e32 v3, 7, v4
	v_ffbh_u32_e32 v7, v3
	v_min_u32_e32 v7, 32, v7
	v_lshrrev_b16_e32 v6, 3, v4
	v_subrev_u32_e32 v10, 28, v7
	v_and_b32_e32 v6, 15, v6
	v_lshlrev_b32_e32 v10, v10, v4
	v_sub_u32_e32 v7, 29, v7
	v_and_b32_e32 v10, 7, v10
	v_cmp_eq_u16_e32 vcc, 0, v6
	v_cndmask_b32_e32 v3, v3, v10, vcc
	v_cndmask_b32_e32 v6, v6, v7, vcc
	v_lshlrev_b32_e32 v7, 24, v4
	v_mov_b32_e32 v10, 0x3b800000
	v_lshlrev_b32_e32 v3, 20, v3
	v_and_b32_e32 v7, 0x80000000, v7
	v_lshl_add_u32 v6, v6, 23, v10
	v_or3_b32 v3, v7, v6, v3
.LBB14_456:
	s_or_b64 exec, exec, s[6:7]
	s_nop 0
	v_mfma_f32_16x16x4f32 a[0:3], v2, v3, a[0:3]
	v_lshrrev_b32_e32 v3, 8, v8
	s_movk_i32 s4, 0x7f
	v_cmp_gt_i16_sdwa s[6:7], v3, s4 src0_sel:BYTE_0 src1_sel:DWORD
	s_mov_b64 s[4:5], 0
                                        ; implicit-def: $sgpr10
	s_and_saveexec_b64 s[8:9], s[6:7]
	s_xor_b64 s[6:7], exec, s[8:9]
	s_cbranch_execnz .LBB14_2505
; %bb.457:
	s_or_saveexec_b64 s[6:7], s[6:7]
	v_mov_b32_e32 v2, s10
	s_xor_b64 exec, exec, s[6:7]
	s_cbranch_execnz .LBB14_2508
.LBB14_458:
	s_or_b64 exec, exec, s[6:7]
	s_and_saveexec_b64 s[6:7], s[4:5]
	s_cbranch_execz .LBB14_460
.LBB14_459:
	v_bfe_u32 v2, v8, 8, 3
	v_ffbh_u32_e32 v7, v2
	v_min_u32_e32 v7, 32, v7
	v_lshrrev_b16_e32 v6, 3, v3
	v_subrev_u32_e32 v10, 28, v7
	v_and_b32_e32 v6, 15, v6
	v_lshlrev_b32_e32 v3, v10, v3
	v_sub_u32_e32 v7, 29, v7
	v_and_b32_e32 v3, 7, v3
	v_cmp_eq_u16_e32 vcc, 0, v6
	v_cndmask_b32_e32 v2, v2, v3, vcc
	v_cndmask_b32_e32 v3, v6, v7, vcc
	v_lshlrev_b32_e32 v6, 16, v8
	v_mov_b32_e32 v7, 0x3b800000
	v_lshlrev_b32_e32 v2, 20, v2
	v_and_b32_e32 v6, 0x80000000, v6
	v_lshl_add_u32 v3, v3, 23, v7
	v_or3_b32 v2, v6, v3, v2
.LBB14_460:
	s_or_b64 exec, exec, s[6:7]
	v_lshrrev_b32_e32 v3, 8, v4
	s_movk_i32 s4, 0x7f
	v_cmp_gt_i16_sdwa s[6:7], v3, s4 src0_sel:BYTE_0 src1_sel:DWORD
	s_mov_b64 s[4:5], 0
                                        ; implicit-def: $sgpr10
	s_and_saveexec_b64 s[8:9], s[6:7]
	s_xor_b64 s[6:7], exec, s[8:9]
	s_cbranch_execnz .LBB14_2509
; %bb.461:
	s_or_saveexec_b64 s[6:7], s[6:7]
	v_mov_b32_e32 v6, s10
	s_xor_b64 exec, exec, s[6:7]
	s_cbranch_execnz .LBB14_2512
.LBB14_462:
	s_or_b64 exec, exec, s[6:7]
	s_and_saveexec_b64 s[6:7], s[4:5]
	s_cbranch_execz .LBB14_464
.LBB14_463:
	v_bfe_u32 v6, v4, 8, 3
	v_ffbh_u32_e32 v10, v6
	v_min_u32_e32 v10, 32, v10
	v_lshrrev_b16_e32 v7, 3, v3
	v_subrev_u32_e32 v11, 28, v10
	v_and_b32_e32 v7, 15, v7
	v_lshlrev_b32_e32 v3, v11, v3
	v_sub_u32_e32 v10, 29, v10
	v_and_b32_e32 v3, 7, v3
	v_cmp_eq_u16_e32 vcc, 0, v7
	v_cndmask_b32_e32 v3, v6, v3, vcc
	v_cndmask_b32_e32 v6, v7, v10, vcc
	v_lshlrev_b32_e32 v7, 16, v4
	v_mov_b32_e32 v10, 0x3b800000
	v_lshlrev_b32_e32 v3, 20, v3
	v_and_b32_e32 v7, 0x80000000, v7
	v_lshl_add_u32 v6, v6, 23, v10
	v_or3_b32 v6, v7, v6, v3
.LBB14_464:
	s_or_b64 exec, exec, s[6:7]
	s_nop 0
	v_mfma_f32_16x16x4f32 a[0:3], v2, v6, a[0:3]
	s_movk_i32 s4, 0xff
	v_and_b32_sdwa v3, v8, s4 dst_sel:DWORD dst_unused:UNUSED_PAD src0_sel:WORD_1 src1_sel:DWORD
	s_movk_i32 s4, 0x7f
	v_cmp_lt_i16_e32 vcc, s4, v3
	s_mov_b64 s[4:5], 0
                                        ; implicit-def: $sgpr10
	s_and_saveexec_b64 s[6:7], vcc
	s_xor_b64 s[6:7], exec, s[6:7]
	s_cbranch_execnz .LBB14_2513
; %bb.465:
	s_or_saveexec_b64 s[6:7], s[6:7]
	v_mov_b32_e32 v2, s10
	s_xor_b64 exec, exec, s[6:7]
	s_cbranch_execnz .LBB14_2516
.LBB14_466:
	s_or_b64 exec, exec, s[6:7]
	s_and_saveexec_b64 s[6:7], s[4:5]
	s_cbranch_execz .LBB14_468
.LBB14_467:
	v_bfe_u32 v2, v8, 16, 3
	v_ffbh_u32_e32 v7, v2
	v_min_u32_e32 v7, 32, v7
	v_lshrrev_b32_e32 v3, 19, v8
	v_subrev_u32_e32 v10, 28, v7
	v_and_b32_e32 v3, 15, v3
	v_lshlrev_b32_sdwa v10, v10, v8 dst_sel:DWORD dst_unused:UNUSED_PAD src0_sel:DWORD src1_sel:WORD_1
	v_bfe_u32 v6, v8, 19, 4
	v_sub_u32_e32 v7, 29, v7
	v_and_b32_e32 v10, 7, v10
	v_cmp_eq_u16_e32 vcc, 0, v3
	v_cndmask_b32_e32 v2, v2, v10, vcc
	v_cndmask_b32_e32 v3, v6, v7, vcc
	v_lshlrev_b32_e32 v6, 8, v8
	v_mov_b32_e32 v7, 0x3b800000
	v_lshlrev_b32_e32 v2, 20, v2
	v_and_b32_e32 v6, 0x80000000, v6
	v_lshl_add_u32 v3, v3, 23, v7
	v_or3_b32 v2, v6, v3, v2
.LBB14_468:
	s_or_b64 exec, exec, s[6:7]
	s_movk_i32 s4, 0xff
	v_and_b32_sdwa v3, v4, s4 dst_sel:DWORD dst_unused:UNUSED_PAD src0_sel:WORD_1 src1_sel:DWORD
	s_movk_i32 s4, 0x7f
	v_cmp_lt_i16_e32 vcc, s4, v3
	s_mov_b64 s[4:5], 0
                                        ; implicit-def: $sgpr10
	s_and_saveexec_b64 s[6:7], vcc
	s_xor_b64 s[6:7], exec, s[6:7]
	s_cbranch_execnz .LBB14_2517
; %bb.469:
	s_or_saveexec_b64 s[6:7], s[6:7]
	v_mov_b32_e32 v6, s10
	s_xor_b64 exec, exec, s[6:7]
	s_cbranch_execnz .LBB14_2520
.LBB14_470:
	s_or_b64 exec, exec, s[6:7]
	s_and_saveexec_b64 s[6:7], s[4:5]
	s_cbranch_execz .LBB14_472
.LBB14_471:
	v_bfe_u32 v3, v4, 16, 3
	v_ffbh_u32_e32 v10, v3
	v_min_u32_e32 v10, 32, v10
	v_lshrrev_b32_e32 v6, 19, v4
	v_subrev_u32_e32 v11, 28, v10
	v_and_b32_e32 v6, 15, v6
	v_lshlrev_b32_sdwa v11, v11, v4 dst_sel:DWORD dst_unused:UNUSED_PAD src0_sel:DWORD src1_sel:WORD_1
	v_bfe_u32 v7, v4, 19, 4
	v_sub_u32_e32 v10, 29, v10
	v_and_b32_e32 v11, 7, v11
	v_cmp_eq_u16_e32 vcc, 0, v6
	v_cndmask_b32_e32 v3, v3, v11, vcc
	v_cndmask_b32_e32 v6, v7, v10, vcc
	v_lshlrev_b32_e32 v7, 8, v4
	v_mov_b32_e32 v10, 0x3b800000
	v_lshlrev_b32_e32 v3, 20, v3
	v_and_b32_e32 v7, 0x80000000, v7
	v_lshl_add_u32 v6, v6, 23, v10
	v_or3_b32 v6, v7, v6, v3
.LBB14_472:
	s_or_b64 exec, exec, s[6:7]
	s_nop 0
	v_mfma_f32_16x16x4f32 a[0:3], v2, v6, a[0:3]
	s_movk_i32 s4, 0x7f
	v_cmp_gt_i16_sdwa s[6:7], v8, s4 src0_sel:BYTE_3 src1_sel:DWORD
	s_mov_b64 s[4:5], 0
                                        ; implicit-def: $sgpr10
	s_and_saveexec_b64 s[8:9], s[6:7]
	s_xor_b64 s[6:7], exec, s[8:9]
	s_cbranch_execnz .LBB14_2521
; %bb.473:
	s_or_saveexec_b64 s[6:7], s[6:7]
	v_mov_b32_e32 v2, s10
	s_xor_b64 exec, exec, s[6:7]
	s_cbranch_execnz .LBB14_2524
.LBB14_474:
	s_or_b64 exec, exec, s[6:7]
	s_and_saveexec_b64 s[6:7], s[4:5]
	s_cbranch_execz .LBB14_476
.LBB14_475:
	v_bfe_u32 v2, v8, 24, 3
	v_ffbh_u32_e32 v10, v2
	v_min_u32_e32 v10, 32, v10
	v_lshrrev_b32_e32 v6, 27, v8
	v_subrev_u32_e32 v11, 28, v10
	v_and_b32_e32 v3, 0x80000000, v8
	v_and_b32_e32 v6, 15, v6
	v_bfe_u32 v7, v8, 27, 4
	v_lshlrev_b32_sdwa v8, v11, v8 dst_sel:DWORD dst_unused:UNUSED_PAD src0_sel:DWORD src1_sel:BYTE_3
	v_sub_u32_e32 v10, 29, v10
	v_and_b32_e32 v8, 7, v8
	v_cmp_eq_u16_e32 vcc, 0, v6
	v_cndmask_b32_e32 v2, v2, v8, vcc
	v_cndmask_b32_e32 v6, v7, v10, vcc
	v_mov_b32_e32 v7, 0x3b800000
	v_lshlrev_b32_e32 v2, 20, v2
	v_lshl_add_u32 v6, v6, 23, v7
	v_or3_b32 v2, v3, v6, v2
.LBB14_476:
	s_or_b64 exec, exec, s[6:7]
	s_movk_i32 s4, 0x7f
	v_cmp_gt_i16_sdwa s[6:7], v4, s4 src0_sel:BYTE_3 src1_sel:DWORD
	s_mov_b64 s[4:5], 0
                                        ; implicit-def: $sgpr10
	s_and_saveexec_b64 s[8:9], s[6:7]
	s_xor_b64 s[6:7], exec, s[8:9]
	s_cbranch_execnz .LBB14_2525
; %bb.477:
	s_or_saveexec_b64 s[6:7], s[6:7]
	v_mov_b32_e32 v3, s10
	s_xor_b64 exec, exec, s[6:7]
	s_cbranch_execnz .LBB14_2528
.LBB14_478:
	s_or_b64 exec, exec, s[6:7]
	s_and_saveexec_b64 s[6:7], s[4:5]
	s_cbranch_execz .LBB14_480
.LBB14_479:
	v_bfe_u32 v3, v4, 24, 3
	v_ffbh_u32_e32 v10, v3
	v_min_u32_e32 v10, 32, v10
	v_lshrrev_b32_e32 v7, 27, v4
	v_subrev_u32_e32 v11, 28, v10
	v_and_b32_e32 v6, 0x80000000, v4
	v_and_b32_e32 v7, 15, v7
	v_bfe_u32 v8, v4, 27, 4
	v_lshlrev_b32_sdwa v4, v11, v4 dst_sel:DWORD dst_unused:UNUSED_PAD src0_sel:DWORD src1_sel:BYTE_3
	v_sub_u32_e32 v10, 29, v10
	v_and_b32_e32 v4, 7, v4
	v_cmp_eq_u16_e32 vcc, 0, v7
	v_cndmask_b32_e32 v3, v3, v4, vcc
	v_cndmask_b32_e32 v4, v8, v10, vcc
	v_mov_b32_e32 v7, 0x3b800000
	v_lshlrev_b32_e32 v3, 20, v3
	v_lshl_add_u32 v4, v4, 23, v7
	v_or3_b32 v3, v6, v4, v3
.LBB14_480:
	s_or_b64 exec, exec, s[6:7]
	s_nop 0
	v_mfma_f32_16x16x4f32 a[0:3], v2, v3, a[0:3]
	s_movk_i32 s4, 0x7f
	v_cmp_gt_i16_sdwa s[6:7], v9, s4 src0_sel:BYTE_0 src1_sel:DWORD
	s_mov_b64 s[4:5], 0
                                        ; implicit-def: $sgpr10
	s_and_saveexec_b64 s[8:9], s[6:7]
	s_xor_b64 s[6:7], exec, s[8:9]
	s_cbranch_execnz .LBB14_2529
; %bb.481:
	s_or_saveexec_b64 s[6:7], s[6:7]
	v_mov_b32_e32 v2, s10
	s_xor_b64 exec, exec, s[6:7]
	s_cbranch_execnz .LBB14_2532
.LBB14_482:
	s_or_b64 exec, exec, s[6:7]
	s_and_saveexec_b64 s[6:7], s[4:5]
	s_cbranch_execz .LBB14_484
.LBB14_483:
	v_mov_b32_e32 v2, 8
	v_and_b32_e32 v3, 7, v9
	v_lshrrev_b32_sdwa v2, v2, v9 dst_sel:BYTE_1 dst_unused:UNUSED_PAD src0_sel:DWORD src1_sel:DWORD
	v_ffbh_u32_e32 v4, v3
	v_or_b32_sdwa v2, v9, v2 dst_sel:DWORD dst_unused:UNUSED_PAD src0_sel:BYTE_0 src1_sel:DWORD
	v_min_u32_e32 v4, 32, v4
	v_lshrrev_b16_e32 v2, 3, v2
	v_subrev_u32_e32 v6, 28, v4
	v_and_b32_e32 v2, 15, v2
	v_lshlrev_b32_e32 v6, v6, v9
	v_sub_u32_e32 v4, 29, v4
	v_and_b32_e32 v6, 7, v6
	v_cmp_eq_u16_e32 vcc, 0, v2
	v_cndmask_b32_e32 v3, v3, v6, vcc
	v_cndmask_b32_e32 v2, v2, v4, vcc
	v_lshlrev_b32_e32 v4, 24, v9
	v_mov_b32_e32 v6, 0x3b800000
	v_lshlrev_b32_e32 v3, 20, v3
	v_and_b32_e32 v4, 0x80000000, v4
	v_lshl_add_u32 v2, v2, 23, v6
	v_or3_b32 v2, v4, v2, v3
.LBB14_484:
	s_or_b64 exec, exec, s[6:7]
	s_movk_i32 s4, 0x7f
	v_cmp_gt_i16_sdwa s[6:7], v5, s4 src0_sel:BYTE_0 src1_sel:DWORD
	s_mov_b64 s[4:5], 0
                                        ; implicit-def: $sgpr10
	s_and_saveexec_b64 s[8:9], s[6:7]
	s_xor_b64 s[6:7], exec, s[8:9]
	s_cbranch_execnz .LBB14_2533
; %bb.485:
	s_or_saveexec_b64 s[6:7], s[6:7]
	v_mov_b32_e32 v3, s10
	s_xor_b64 exec, exec, s[6:7]
	s_cbranch_execnz .LBB14_2536
.LBB14_486:
	s_or_b64 exec, exec, s[6:7]
	s_and_saveexec_b64 s[6:7], s[4:5]
	s_cbranch_execz .LBB14_488
.LBB14_487:
	v_mov_b32_e32 v3, 8
	v_and_b32_e32 v4, 7, v5
	v_lshrrev_b32_sdwa v3, v3, v5 dst_sel:BYTE_1 dst_unused:UNUSED_PAD src0_sel:DWORD src1_sel:DWORD
	v_ffbh_u32_e32 v6, v4
	v_or_b32_sdwa v3, v5, v3 dst_sel:DWORD dst_unused:UNUSED_PAD src0_sel:BYTE_0 src1_sel:DWORD
	v_min_u32_e32 v6, 32, v6
	v_lshrrev_b16_e32 v3, 3, v3
	v_subrev_u32_e32 v7, 28, v6
	v_and_b32_e32 v3, 15, v3
	v_lshlrev_b32_e32 v7, v7, v5
	v_sub_u32_e32 v6, 29, v6
	v_and_b32_e32 v7, 7, v7
	v_cmp_eq_u16_e32 vcc, 0, v3
	v_cndmask_b32_e32 v4, v4, v7, vcc
	v_cndmask_b32_e32 v3, v3, v6, vcc
	v_lshlrev_b32_e32 v6, 24, v5
	v_mov_b32_e32 v7, 0x3b800000
	v_lshlrev_b32_e32 v4, 20, v4
	v_and_b32_e32 v6, 0x80000000, v6
	v_lshl_add_u32 v3, v3, 23, v7
	v_or3_b32 v3, v6, v3, v4
.LBB14_488:
	s_or_b64 exec, exec, s[6:7]
	s_nop 0
	v_mfma_f32_16x16x4f32 a[0:3], v2, v3, a[0:3]
	v_lshrrev_b32_e32 v3, 8, v9
	s_movk_i32 s4, 0x7f
	v_cmp_gt_i16_sdwa s[6:7], v3, s4 src0_sel:BYTE_0 src1_sel:DWORD
	s_mov_b64 s[4:5], 0
                                        ; implicit-def: $sgpr10
	s_and_saveexec_b64 s[8:9], s[6:7]
	s_xor_b64 s[6:7], exec, s[8:9]
	s_cbranch_execnz .LBB14_2537
; %bb.489:
	s_or_saveexec_b64 s[6:7], s[6:7]
	v_mov_b32_e32 v2, s10
	s_xor_b64 exec, exec, s[6:7]
	s_cbranch_execnz .LBB14_2540
.LBB14_490:
	s_or_b64 exec, exec, s[6:7]
	s_and_saveexec_b64 s[6:7], s[4:5]
	s_cbranch_execz .LBB14_492
.LBB14_491:
	v_bfe_u32 v2, v9, 8, 3
	v_ffbh_u32_e32 v6, v2
	v_min_u32_e32 v6, 32, v6
	v_lshrrev_b16_e32 v4, 3, v3
	v_subrev_u32_e32 v7, 28, v6
	v_and_b32_e32 v4, 15, v4
	v_lshlrev_b32_e32 v3, v7, v3
	v_sub_u32_e32 v6, 29, v6
	v_and_b32_e32 v3, 7, v3
	v_cmp_eq_u16_e32 vcc, 0, v4
	v_cndmask_b32_e32 v2, v2, v3, vcc
	v_cndmask_b32_e32 v3, v4, v6, vcc
	v_lshlrev_b32_e32 v4, 16, v9
	v_mov_b32_e32 v6, 0x3b800000
	v_lshlrev_b32_e32 v2, 20, v2
	v_and_b32_e32 v4, 0x80000000, v4
	v_lshl_add_u32 v3, v3, 23, v6
	v_or3_b32 v2, v4, v3, v2
.LBB14_492:
	s_or_b64 exec, exec, s[6:7]
	v_lshrrev_b32_e32 v3, 8, v5
	s_movk_i32 s4, 0x7f
	v_cmp_gt_i16_sdwa s[6:7], v3, s4 src0_sel:BYTE_0 src1_sel:DWORD
	s_mov_b64 s[4:5], 0
                                        ; implicit-def: $sgpr10
	s_and_saveexec_b64 s[8:9], s[6:7]
	s_xor_b64 s[6:7], exec, s[8:9]
	s_cbranch_execnz .LBB14_2541
; %bb.493:
	s_or_saveexec_b64 s[6:7], s[6:7]
	v_mov_b32_e32 v4, s10
	s_xor_b64 exec, exec, s[6:7]
	s_cbranch_execnz .LBB14_2544
.LBB14_494:
	s_or_b64 exec, exec, s[6:7]
	s_and_saveexec_b64 s[6:7], s[4:5]
	s_cbranch_execz .LBB14_496
.LBB14_495:
	v_bfe_u32 v4, v5, 8, 3
	v_ffbh_u32_e32 v7, v4
	v_min_u32_e32 v7, 32, v7
	v_lshrrev_b16_e32 v6, 3, v3
	v_subrev_u32_e32 v8, 28, v7
	v_and_b32_e32 v6, 15, v6
	v_lshlrev_b32_e32 v3, v8, v3
	v_sub_u32_e32 v7, 29, v7
	v_and_b32_e32 v3, 7, v3
	v_cmp_eq_u16_e32 vcc, 0, v6
	v_cndmask_b32_e32 v3, v4, v3, vcc
	v_cndmask_b32_e32 v4, v6, v7, vcc
	v_lshlrev_b32_e32 v6, 16, v5
	v_mov_b32_e32 v7, 0x3b800000
	v_lshlrev_b32_e32 v3, 20, v3
	v_and_b32_e32 v6, 0x80000000, v6
	v_lshl_add_u32 v4, v4, 23, v7
	v_or3_b32 v4, v6, v4, v3
.LBB14_496:
	s_or_b64 exec, exec, s[6:7]
	s_nop 0
	v_mfma_f32_16x16x4f32 a[0:3], v2, v4, a[0:3]
	s_movk_i32 s4, 0xff
	v_and_b32_sdwa v3, v9, s4 dst_sel:DWORD dst_unused:UNUSED_PAD src0_sel:WORD_1 src1_sel:DWORD
	s_movk_i32 s4, 0x7f
	v_cmp_lt_i16_e32 vcc, s4, v3
	s_mov_b64 s[4:5], 0
                                        ; implicit-def: $sgpr10
	s_and_saveexec_b64 s[6:7], vcc
	s_xor_b64 s[6:7], exec, s[6:7]
	s_cbranch_execnz .LBB14_2545
; %bb.497:
	s_or_saveexec_b64 s[6:7], s[6:7]
	v_mov_b32_e32 v2, s10
	s_xor_b64 exec, exec, s[6:7]
	s_cbranch_execnz .LBB14_2548
.LBB14_498:
	s_or_b64 exec, exec, s[6:7]
	s_and_saveexec_b64 s[6:7], s[4:5]
	s_cbranch_execz .LBB14_500
.LBB14_499:
	v_bfe_u32 v2, v9, 16, 3
	v_ffbh_u32_e32 v6, v2
	v_min_u32_e32 v6, 32, v6
	v_lshrrev_b32_e32 v3, 19, v9
	v_subrev_u32_e32 v7, 28, v6
	v_and_b32_e32 v3, 15, v3
	v_lshlrev_b32_sdwa v7, v7, v9 dst_sel:DWORD dst_unused:UNUSED_PAD src0_sel:DWORD src1_sel:WORD_1
	v_bfe_u32 v4, v9, 19, 4
	v_sub_u32_e32 v6, 29, v6
	v_and_b32_e32 v7, 7, v7
	v_cmp_eq_u16_e32 vcc, 0, v3
	v_cndmask_b32_e32 v2, v2, v7, vcc
	v_cndmask_b32_e32 v3, v4, v6, vcc
	v_lshlrev_b32_e32 v4, 8, v9
	v_mov_b32_e32 v6, 0x3b800000
	v_lshlrev_b32_e32 v2, 20, v2
	v_and_b32_e32 v4, 0x80000000, v4
	v_lshl_add_u32 v3, v3, 23, v6
	v_or3_b32 v2, v4, v3, v2
.LBB14_500:
	s_or_b64 exec, exec, s[6:7]
	s_movk_i32 s4, 0xff
	v_and_b32_sdwa v3, v5, s4 dst_sel:DWORD dst_unused:UNUSED_PAD src0_sel:WORD_1 src1_sel:DWORD
	s_movk_i32 s4, 0x7f
	v_cmp_lt_i16_e32 vcc, s4, v3
	s_mov_b64 s[4:5], 0
                                        ; implicit-def: $sgpr10
	s_and_saveexec_b64 s[6:7], vcc
	s_xor_b64 s[6:7], exec, s[6:7]
	s_cbranch_execnz .LBB14_2549
; %bb.501:
	s_or_saveexec_b64 s[6:7], s[6:7]
	v_mov_b32_e32 v4, s10
	s_xor_b64 exec, exec, s[6:7]
	s_cbranch_execnz .LBB14_2552
.LBB14_502:
	s_or_b64 exec, exec, s[6:7]
	s_and_saveexec_b64 s[6:7], s[4:5]
	s_cbranch_execz .LBB14_504
.LBB14_503:
	v_bfe_u32 v3, v5, 16, 3
	v_ffbh_u32_e32 v7, v3
	v_min_u32_e32 v7, 32, v7
	v_lshrrev_b32_e32 v4, 19, v5
	v_subrev_u32_e32 v8, 28, v7
	v_and_b32_e32 v4, 15, v4
	v_lshlrev_b32_sdwa v8, v8, v5 dst_sel:DWORD dst_unused:UNUSED_PAD src0_sel:DWORD src1_sel:WORD_1
	v_bfe_u32 v6, v5, 19, 4
	v_sub_u32_e32 v7, 29, v7
	v_and_b32_e32 v8, 7, v8
	v_cmp_eq_u16_e32 vcc, 0, v4
	v_cndmask_b32_e32 v3, v3, v8, vcc
	v_cndmask_b32_e32 v4, v6, v7, vcc
	v_lshlrev_b32_e32 v6, 8, v5
	v_mov_b32_e32 v7, 0x3b800000
	v_lshlrev_b32_e32 v3, 20, v3
	v_and_b32_e32 v6, 0x80000000, v6
	v_lshl_add_u32 v4, v4, 23, v7
	v_or3_b32 v4, v6, v4, v3
.LBB14_504:
	s_or_b64 exec, exec, s[6:7]
	s_nop 0
	v_mfma_f32_16x16x4f32 a[0:3], v2, v4, a[0:3]
	s_movk_i32 s4, 0x7f
	v_cmp_gt_i16_sdwa s[6:7], v9, s4 src0_sel:BYTE_3 src1_sel:DWORD
	s_mov_b64 s[4:5], 0
                                        ; implicit-def: $sgpr10
	s_and_saveexec_b64 s[8:9], s[6:7]
	s_xor_b64 s[6:7], exec, s[8:9]
	s_cbranch_execnz .LBB14_2553
; %bb.505:
	s_or_saveexec_b64 s[6:7], s[6:7]
	v_mov_b32_e32 v2, s10
	s_xor_b64 exec, exec, s[6:7]
	s_cbranch_execnz .LBB14_2556
.LBB14_506:
	s_or_b64 exec, exec, s[6:7]
	s_and_saveexec_b64 s[6:7], s[4:5]
	s_cbranch_execz .LBB14_508
.LBB14_507:
	v_bfe_u32 v2, v9, 24, 3
	v_ffbh_u32_e32 v7, v2
	v_min_u32_e32 v7, 32, v7
	v_lshrrev_b32_e32 v4, 27, v9
	v_subrev_u32_e32 v8, 28, v7
	v_and_b32_e32 v4, 15, v4
	v_lshlrev_b32_sdwa v8, v8, v9 dst_sel:DWORD dst_unused:UNUSED_PAD src0_sel:DWORD src1_sel:BYTE_3
	v_bfe_u32 v6, v9, 27, 4
	v_sub_u32_e32 v7, 29, v7
	v_and_b32_e32 v8, 7, v8
	v_cmp_eq_u16_e32 vcc, 0, v4
	v_cndmask_b32_e32 v2, v2, v8, vcc
	v_cndmask_b32_e32 v4, v6, v7, vcc
	v_mov_b32_e32 v6, 0x3b800000
	v_and_b32_e32 v3, 0x80000000, v9
	v_lshlrev_b32_e32 v2, 20, v2
	v_lshl_add_u32 v4, v4, 23, v6
	v_or3_b32 v2, v3, v4, v2
.LBB14_508:
	s_or_b64 exec, exec, s[6:7]
	s_movk_i32 s4, 0x7f
	v_cmp_gt_i16_sdwa s[6:7], v5, s4 src0_sel:BYTE_3 src1_sel:DWORD
	s_mov_b64 s[4:5], 0
                                        ; implicit-def: $sgpr10
	s_and_saveexec_b64 s[8:9], s[6:7]
	s_xor_b64 s[6:7], exec, s[8:9]
	s_cbranch_execnz .LBB14_2557
; %bb.509:
	s_or_saveexec_b64 s[6:7], s[6:7]
	v_mov_b32_e32 v3, s10
	s_xor_b64 exec, exec, s[6:7]
	s_cbranch_execnz .LBB14_2560
.LBB14_510:
	s_or_b64 exec, exec, s[6:7]
	s_and_saveexec_b64 s[6:7], s[4:5]
	s_cbranch_execz .LBB14_512
.LBB14_511:
	v_bfe_u32 v3, v5, 24, 3
	v_ffbh_u32_e32 v8, v3
	v_min_u32_e32 v8, 32, v8
	v_lshrrev_b32_e32 v6, 27, v5
	v_subrev_u32_e32 v9, 28, v8
	v_and_b32_e32 v4, 0x80000000, v5
	v_and_b32_e32 v6, 15, v6
	v_bfe_u32 v7, v5, 27, 4
	v_lshlrev_b32_sdwa v5, v9, v5 dst_sel:DWORD dst_unused:UNUSED_PAD src0_sel:DWORD src1_sel:BYTE_3
	v_sub_u32_e32 v8, 29, v8
	v_and_b32_e32 v5, 7, v5
	v_cmp_eq_u16_e32 vcc, 0, v6
	v_cndmask_b32_e32 v3, v3, v5, vcc
	v_cndmask_b32_e32 v5, v7, v8, vcc
	v_mov_b32_e32 v6, 0x3b800000
	v_lshlrev_b32_e32 v3, 20, v3
	v_lshl_add_u32 v5, v5, 23, v6
	v_or3_b32 v3, v4, v5, v3
.LBB14_512:
	s_or_b64 exec, exec, s[6:7]
	s_nop 0
	v_mfma_f32_16x16x4f32 a[0:3], v2, v3, a[0:3]
	s_movk_i32 s4, 0x7f
                                        ; implicit-def: $sgpr10
	s_nop 7
	s_nop 1
	flat_store_dwordx4 v[18:19], a[0:3] offset:528
	flat_load_dwordx4 v[20:23], v[0:1] offset:16
	s_nop 0
	flat_load_dwordx2 v[18:19], v[0:1] offset:32
	s_waitcnt vmcnt(0) lgkmcnt(0)
	flat_load_dwordx4 v[14:17], v[20:21]
	flat_load_dwordx4 v[6:9], v[20:21] offset:16
	flat_load_dwordx4 v[10:13], v[22:23] offset:320
	;; [unrolled: 1-line block ×3, first 2 shown]
	s_waitcnt vmcnt(0) lgkmcnt(0)
	v_cmp_gt_i16_sdwa s[6:7], v14, s4 src0_sel:BYTE_0 src1_sel:DWORD
	s_mov_b64 s[4:5], 0
	s_and_saveexec_b64 s[8:9], s[6:7]
	s_xor_b64 s[6:7], exec, s[8:9]
	s_cbranch_execnz .LBB14_2561
; %bb.513:
	s_or_saveexec_b64 s[6:7], s[6:7]
	v_mov_b32_e32 v20, s10
	s_xor_b64 exec, exec, s[6:7]
	s_cbranch_execnz .LBB14_2564
.LBB14_514:
	s_or_b64 exec, exec, s[6:7]
	s_and_saveexec_b64 s[6:7], s[4:5]
	s_cbranch_execz .LBB14_516
.LBB14_515:
	v_and_b32_e32 v20, 7, v14
	v_ffbh_u32_e32 v22, v20
	v_min_u32_e32 v22, 32, v22
	v_lshrrev_b16_e32 v21, 3, v14
	v_subrev_u32_e32 v23, 28, v22
	v_and_b32_e32 v21, 15, v21
	v_lshlrev_b32_e32 v23, v23, v14
	v_sub_u32_e32 v22, 29, v22
	v_and_b32_e32 v23, 7, v23
	v_cmp_eq_u16_e32 vcc, 0, v21
	v_cndmask_b32_e32 v20, v20, v23, vcc
	v_cndmask_b32_e32 v21, v21, v22, vcc
	v_lshlrev_b32_e32 v22, 24, v14
	v_mov_b32_e32 v23, 0x3b800000
	v_lshlrev_b32_e32 v20, 20, v20
	v_and_b32_e32 v22, 0x80000000, v22
	v_lshl_add_u32 v21, v21, 23, v23
	v_or3_b32 v20, v22, v21, v20
.LBB14_516:
	s_or_b64 exec, exec, s[6:7]
	s_movk_i32 s4, 0x7f
	v_cmp_gt_i16_sdwa s[6:7], v10, s4 src0_sel:BYTE_0 src1_sel:DWORD
	s_mov_b64 s[4:5], 0
                                        ; implicit-def: $sgpr10
	s_and_saveexec_b64 s[8:9], s[6:7]
	s_xor_b64 s[6:7], exec, s[8:9]
	s_cbranch_execnz .LBB14_2565
; %bb.517:
	s_or_saveexec_b64 s[6:7], s[6:7]
	v_mov_b32_e32 v21, s10
	s_xor_b64 exec, exec, s[6:7]
	s_cbranch_execnz .LBB14_2568
.LBB14_518:
	s_or_b64 exec, exec, s[6:7]
	s_and_saveexec_b64 s[6:7], s[4:5]
	s_cbranch_execz .LBB14_520
.LBB14_519:
	v_and_b32_e32 v21, 7, v10
	v_ffbh_u32_e32 v23, v21
	v_min_u32_e32 v23, 32, v23
	v_lshrrev_b16_e32 v22, 3, v10
	v_subrev_u32_e32 v24, 28, v23
	v_and_b32_e32 v22, 15, v22
	v_lshlrev_b32_e32 v24, v24, v10
	v_sub_u32_e32 v23, 29, v23
	v_and_b32_e32 v24, 7, v24
	v_cmp_eq_u16_e32 vcc, 0, v22
	v_cndmask_b32_e32 v21, v21, v24, vcc
	v_cndmask_b32_e32 v22, v22, v23, vcc
	v_lshlrev_b32_e32 v23, 24, v10
	v_mov_b32_e32 v24, 0x3b800000
	v_lshlrev_b32_e32 v21, 20, v21
	v_and_b32_e32 v23, 0x80000000, v23
	v_lshl_add_u32 v22, v22, 23, v24
	v_or3_b32 v21, v23, v22, v21
.LBB14_520:
	s_or_b64 exec, exec, s[6:7]
	flat_load_dwordx4 a[0:3], v[18:19] offset:544
	s_movk_i32 s4, 0x7f
                                        ; implicit-def: $sgpr10
	s_waitcnt vmcnt(0) lgkmcnt(0)
	v_mfma_f32_16x16x4f32 a[0:3], v20, v21, a[0:3]
	v_lshrrev_b32_e32 v21, 8, v14
	v_cmp_gt_i16_sdwa s[6:7], v21, s4 src0_sel:BYTE_0 src1_sel:DWORD
	s_mov_b64 s[4:5], 0
	s_and_saveexec_b64 s[8:9], s[6:7]
	s_xor_b64 s[6:7], exec, s[8:9]
	s_cbranch_execnz .LBB14_2569
; %bb.521:
	s_or_saveexec_b64 s[6:7], s[6:7]
	v_mov_b32_e32 v20, s10
	s_xor_b64 exec, exec, s[6:7]
	s_cbranch_execnz .LBB14_2572
.LBB14_522:
	s_or_b64 exec, exec, s[6:7]
	s_and_saveexec_b64 s[6:7], s[4:5]
	s_cbranch_execz .LBB14_524
.LBB14_523:
	v_bfe_u32 v20, v14, 8, 3
	v_ffbh_u32_e32 v23, v20
	v_min_u32_e32 v23, 32, v23
	v_lshrrev_b16_e32 v22, 3, v21
	v_subrev_u32_e32 v24, 28, v23
	v_and_b32_e32 v22, 15, v22
	v_lshlrev_b32_e32 v21, v24, v21
	v_sub_u32_e32 v23, 29, v23
	v_and_b32_e32 v21, 7, v21
	v_cmp_eq_u16_e32 vcc, 0, v22
	v_cndmask_b32_e32 v20, v20, v21, vcc
	v_cndmask_b32_e32 v21, v22, v23, vcc
	v_lshlrev_b32_e32 v22, 16, v14
	v_mov_b32_e32 v23, 0x3b800000
	v_lshlrev_b32_e32 v20, 20, v20
	v_and_b32_e32 v22, 0x80000000, v22
	v_lshl_add_u32 v21, v21, 23, v23
	v_or3_b32 v20, v22, v21, v20
.LBB14_524:
	s_or_b64 exec, exec, s[6:7]
	v_lshrrev_b32_e32 v21, 8, v10
	s_movk_i32 s4, 0x7f
	v_cmp_gt_i16_sdwa s[6:7], v21, s4 src0_sel:BYTE_0 src1_sel:DWORD
	s_mov_b64 s[4:5], 0
                                        ; implicit-def: $sgpr10
	s_and_saveexec_b64 s[8:9], s[6:7]
	s_xor_b64 s[6:7], exec, s[8:9]
	s_cbranch_execnz .LBB14_2573
; %bb.525:
	s_or_saveexec_b64 s[6:7], s[6:7]
	v_mov_b32_e32 v22, s10
	s_xor_b64 exec, exec, s[6:7]
	s_cbranch_execnz .LBB14_2576
.LBB14_526:
	s_or_b64 exec, exec, s[6:7]
	s_and_saveexec_b64 s[6:7], s[4:5]
	s_cbranch_execz .LBB14_528
.LBB14_527:
	v_bfe_u32 v22, v10, 8, 3
	v_ffbh_u32_e32 v24, v22
	v_min_u32_e32 v24, 32, v24
	v_lshrrev_b16_e32 v23, 3, v21
	v_subrev_u32_e32 v25, 28, v24
	v_and_b32_e32 v23, 15, v23
	v_lshlrev_b32_e32 v21, v25, v21
	v_sub_u32_e32 v24, 29, v24
	v_and_b32_e32 v21, 7, v21
	v_cmp_eq_u16_e32 vcc, 0, v23
	v_cndmask_b32_e32 v21, v22, v21, vcc
	v_cndmask_b32_e32 v22, v23, v24, vcc
	v_lshlrev_b32_e32 v23, 16, v10
	v_mov_b32_e32 v24, 0x3b800000
	v_lshlrev_b32_e32 v21, 20, v21
	v_and_b32_e32 v23, 0x80000000, v23
	v_lshl_add_u32 v22, v22, 23, v24
	v_or3_b32 v22, v23, v22, v21
.LBB14_528:
	s_or_b64 exec, exec, s[6:7]
	s_nop 0
	v_mfma_f32_16x16x4f32 a[0:3], v20, v22, a[0:3]
	s_movk_i32 s4, 0xff
	v_and_b32_sdwa v21, v14, s4 dst_sel:DWORD dst_unused:UNUSED_PAD src0_sel:WORD_1 src1_sel:DWORD
	s_movk_i32 s4, 0x7f
	v_cmp_lt_i16_e32 vcc, s4, v21
	s_mov_b64 s[4:5], 0
                                        ; implicit-def: $sgpr10
	s_and_saveexec_b64 s[6:7], vcc
	s_xor_b64 s[6:7], exec, s[6:7]
	s_cbranch_execnz .LBB14_2577
; %bb.529:
	s_or_saveexec_b64 s[6:7], s[6:7]
	v_mov_b32_e32 v20, s10
	s_xor_b64 exec, exec, s[6:7]
	s_cbranch_execnz .LBB14_2580
.LBB14_530:
	s_or_b64 exec, exec, s[6:7]
	s_and_saveexec_b64 s[6:7], s[4:5]
	s_cbranch_execz .LBB14_532
.LBB14_531:
	v_bfe_u32 v20, v14, 16, 3
	v_ffbh_u32_e32 v23, v20
	v_min_u32_e32 v23, 32, v23
	v_lshrrev_b32_e32 v21, 19, v14
	v_subrev_u32_e32 v24, 28, v23
	v_and_b32_e32 v21, 15, v21
	v_lshlrev_b32_sdwa v24, v24, v14 dst_sel:DWORD dst_unused:UNUSED_PAD src0_sel:DWORD src1_sel:WORD_1
	v_bfe_u32 v22, v14, 19, 4
	v_sub_u32_e32 v23, 29, v23
	v_and_b32_e32 v24, 7, v24
	v_cmp_eq_u16_e32 vcc, 0, v21
	v_cndmask_b32_e32 v20, v20, v24, vcc
	v_cndmask_b32_e32 v21, v22, v23, vcc
	v_lshlrev_b32_e32 v22, 8, v14
	v_mov_b32_e32 v23, 0x3b800000
	v_lshlrev_b32_e32 v20, 20, v20
	v_and_b32_e32 v22, 0x80000000, v22
	v_lshl_add_u32 v21, v21, 23, v23
	v_or3_b32 v20, v22, v21, v20
.LBB14_532:
	s_or_b64 exec, exec, s[6:7]
	s_movk_i32 s4, 0xff
	v_and_b32_sdwa v21, v10, s4 dst_sel:DWORD dst_unused:UNUSED_PAD src0_sel:WORD_1 src1_sel:DWORD
	s_movk_i32 s4, 0x7f
	v_cmp_lt_i16_e32 vcc, s4, v21
	s_mov_b64 s[4:5], 0
                                        ; implicit-def: $sgpr10
	s_and_saveexec_b64 s[6:7], vcc
	s_xor_b64 s[6:7], exec, s[6:7]
	s_cbranch_execnz .LBB14_2581
; %bb.533:
	s_or_saveexec_b64 s[6:7], s[6:7]
	v_mov_b32_e32 v22, s10
	s_xor_b64 exec, exec, s[6:7]
	s_cbranch_execnz .LBB14_2584
.LBB14_534:
	s_or_b64 exec, exec, s[6:7]
	s_and_saveexec_b64 s[6:7], s[4:5]
	s_cbranch_execz .LBB14_536
.LBB14_535:
	v_bfe_u32 v21, v10, 16, 3
	v_ffbh_u32_e32 v24, v21
	v_min_u32_e32 v24, 32, v24
	v_lshrrev_b32_e32 v22, 19, v10
	v_subrev_u32_e32 v25, 28, v24
	v_and_b32_e32 v22, 15, v22
	v_lshlrev_b32_sdwa v25, v25, v10 dst_sel:DWORD dst_unused:UNUSED_PAD src0_sel:DWORD src1_sel:WORD_1
	v_bfe_u32 v23, v10, 19, 4
	v_sub_u32_e32 v24, 29, v24
	v_and_b32_e32 v25, 7, v25
	v_cmp_eq_u16_e32 vcc, 0, v22
	v_cndmask_b32_e32 v21, v21, v25, vcc
	v_cndmask_b32_e32 v22, v23, v24, vcc
	v_lshlrev_b32_e32 v23, 8, v10
	v_mov_b32_e32 v24, 0x3b800000
	v_lshlrev_b32_e32 v21, 20, v21
	v_and_b32_e32 v23, 0x80000000, v23
	v_lshl_add_u32 v22, v22, 23, v24
	v_or3_b32 v22, v23, v22, v21
.LBB14_536:
	s_or_b64 exec, exec, s[6:7]
	s_nop 0
	v_mfma_f32_16x16x4f32 a[0:3], v20, v22, a[0:3]
	s_movk_i32 s4, 0x7f
	v_cmp_gt_i16_sdwa s[6:7], v14, s4 src0_sel:BYTE_3 src1_sel:DWORD
	s_mov_b64 s[4:5], 0
                                        ; implicit-def: $sgpr10
	s_and_saveexec_b64 s[8:9], s[6:7]
	s_xor_b64 s[6:7], exec, s[8:9]
	s_cbranch_execnz .LBB14_2585
; %bb.537:
	s_or_saveexec_b64 s[6:7], s[6:7]
	v_mov_b32_e32 v20, s10
	s_xor_b64 exec, exec, s[6:7]
	s_cbranch_execnz .LBB14_2588
.LBB14_538:
	s_or_b64 exec, exec, s[6:7]
	s_and_saveexec_b64 s[6:7], s[4:5]
	s_cbranch_execz .LBB14_540
.LBB14_539:
	v_bfe_u32 v20, v14, 24, 3
	v_ffbh_u32_e32 v24, v20
	v_min_u32_e32 v24, 32, v24
	v_lshrrev_b32_e32 v22, 27, v14
	v_subrev_u32_e32 v25, 28, v24
	v_and_b32_e32 v21, 0x80000000, v14
	v_and_b32_e32 v22, 15, v22
	v_bfe_u32 v23, v14, 27, 4
	v_lshlrev_b32_sdwa v14, v25, v14 dst_sel:DWORD dst_unused:UNUSED_PAD src0_sel:DWORD src1_sel:BYTE_3
	v_sub_u32_e32 v24, 29, v24
	v_and_b32_e32 v14, 7, v14
	v_cmp_eq_u16_e32 vcc, 0, v22
	v_cndmask_b32_e32 v14, v20, v14, vcc
	v_cndmask_b32_e32 v20, v23, v24, vcc
	v_mov_b32_e32 v22, 0x3b800000
	v_lshlrev_b32_e32 v14, 20, v14
	v_lshl_add_u32 v20, v20, 23, v22
	v_or3_b32 v20, v21, v20, v14
.LBB14_540:
	s_or_b64 exec, exec, s[6:7]
	s_movk_i32 s4, 0x7f
	v_cmp_gt_i16_sdwa s[6:7], v10, s4 src0_sel:BYTE_3 src1_sel:DWORD
	s_mov_b64 s[4:5], 0
                                        ; implicit-def: $sgpr10
	s_and_saveexec_b64 s[8:9], s[6:7]
	s_xor_b64 s[6:7], exec, s[8:9]
	s_cbranch_execnz .LBB14_2589
; %bb.541:
	s_or_saveexec_b64 s[6:7], s[6:7]
	v_mov_b32_e32 v14, s10
	s_xor_b64 exec, exec, s[6:7]
	s_cbranch_execnz .LBB14_2592
.LBB14_542:
	s_or_b64 exec, exec, s[6:7]
	s_and_saveexec_b64 s[6:7], s[4:5]
	s_cbranch_execz .LBB14_544
.LBB14_543:
	v_bfe_u32 v14, v10, 24, 3
	v_ffbh_u32_e32 v24, v14
	v_min_u32_e32 v24, 32, v24
	v_lshrrev_b32_e32 v22, 27, v10
	v_subrev_u32_e32 v25, 28, v24
	v_and_b32_e32 v21, 0x80000000, v10
	v_and_b32_e32 v22, 15, v22
	v_bfe_u32 v23, v10, 27, 4
	v_lshlrev_b32_sdwa v10, v25, v10 dst_sel:DWORD dst_unused:UNUSED_PAD src0_sel:DWORD src1_sel:BYTE_3
	v_sub_u32_e32 v24, 29, v24
	v_and_b32_e32 v10, 7, v10
	v_cmp_eq_u16_e32 vcc, 0, v22
	v_cndmask_b32_e32 v10, v14, v10, vcc
	v_cndmask_b32_e32 v14, v23, v24, vcc
	v_mov_b32_e32 v22, 0x3b800000
	v_lshlrev_b32_e32 v10, 20, v10
	v_lshl_add_u32 v14, v14, 23, v22
	v_or3_b32 v14, v21, v14, v10
.LBB14_544:
	s_or_b64 exec, exec, s[6:7]
	s_nop 0
	v_mfma_f32_16x16x4f32 a[0:3], v20, v14, a[0:3]
	s_movk_i32 s4, 0x7f
	v_cmp_gt_i16_sdwa s[6:7], v15, s4 src0_sel:BYTE_0 src1_sel:DWORD
	s_mov_b64 s[4:5], 0
                                        ; implicit-def: $sgpr10
	s_and_saveexec_b64 s[8:9], s[6:7]
	s_xor_b64 s[6:7], exec, s[8:9]
	s_cbranch_execnz .LBB14_2593
; %bb.545:
	s_or_saveexec_b64 s[6:7], s[6:7]
	v_mov_b32_e32 v10, s10
	s_xor_b64 exec, exec, s[6:7]
	s_cbranch_execnz .LBB14_2596
.LBB14_546:
	s_or_b64 exec, exec, s[6:7]
	s_and_saveexec_b64 s[6:7], s[4:5]
	s_cbranch_execz .LBB14_548
.LBB14_547:
	v_and_b32_e32 v10, 7, v15
	v_ffbh_u32_e32 v20, v10
	v_min_u32_e32 v20, 32, v20
	v_lshrrev_b16_e32 v14, 3, v15
	v_subrev_u32_e32 v21, 28, v20
	v_and_b32_e32 v14, 15, v14
	v_lshlrev_b32_e32 v21, v21, v15
	v_sub_u32_e32 v20, 29, v20
	v_and_b32_e32 v21, 7, v21
	v_cmp_eq_u16_e32 vcc, 0, v14
	v_cndmask_b32_e32 v10, v10, v21, vcc
	v_cndmask_b32_e32 v14, v14, v20, vcc
	v_lshlrev_b32_e32 v20, 24, v15
	v_mov_b32_e32 v21, 0x3b800000
	v_lshlrev_b32_e32 v10, 20, v10
	v_and_b32_e32 v20, 0x80000000, v20
	v_lshl_add_u32 v14, v14, 23, v21
	v_or3_b32 v10, v20, v14, v10
.LBB14_548:
	s_or_b64 exec, exec, s[6:7]
	s_movk_i32 s4, 0x7f
	v_cmp_gt_i16_sdwa s[6:7], v11, s4 src0_sel:BYTE_0 src1_sel:DWORD
	s_mov_b64 s[4:5], 0
                                        ; implicit-def: $sgpr10
	s_and_saveexec_b64 s[8:9], s[6:7]
	s_xor_b64 s[6:7], exec, s[8:9]
	s_cbranch_execnz .LBB14_2597
; %bb.549:
	s_or_saveexec_b64 s[6:7], s[6:7]
	v_mov_b32_e32 v14, s10
	s_xor_b64 exec, exec, s[6:7]
	s_cbranch_execnz .LBB14_2600
.LBB14_550:
	s_or_b64 exec, exec, s[6:7]
	s_and_saveexec_b64 s[6:7], s[4:5]
	s_cbranch_execz .LBB14_552
.LBB14_551:
	v_and_b32_e32 v14, 7, v11
	v_ffbh_u32_e32 v21, v14
	v_min_u32_e32 v21, 32, v21
	v_lshrrev_b16_e32 v20, 3, v11
	v_subrev_u32_e32 v22, 28, v21
	v_and_b32_e32 v20, 15, v20
	v_lshlrev_b32_e32 v22, v22, v11
	v_sub_u32_e32 v21, 29, v21
	v_and_b32_e32 v22, 7, v22
	v_cmp_eq_u16_e32 vcc, 0, v20
	v_cndmask_b32_e32 v14, v14, v22, vcc
	v_cndmask_b32_e32 v20, v20, v21, vcc
	v_lshlrev_b32_e32 v21, 24, v11
	v_mov_b32_e32 v22, 0x3b800000
	v_lshlrev_b32_e32 v14, 20, v14
	v_and_b32_e32 v21, 0x80000000, v21
	v_lshl_add_u32 v20, v20, 23, v22
	v_or3_b32 v14, v21, v20, v14
.LBB14_552:
	s_or_b64 exec, exec, s[6:7]
	s_nop 0
	v_mfma_f32_16x16x4f32 a[0:3], v10, v14, a[0:3]
	v_lshrrev_b32_e32 v14, 8, v15
	s_movk_i32 s4, 0x7f
	v_cmp_gt_i16_sdwa s[6:7], v14, s4 src0_sel:BYTE_0 src1_sel:DWORD
	s_mov_b64 s[4:5], 0
                                        ; implicit-def: $sgpr10
	s_and_saveexec_b64 s[8:9], s[6:7]
	s_xor_b64 s[6:7], exec, s[8:9]
	s_cbranch_execnz .LBB14_2601
; %bb.553:
	s_or_saveexec_b64 s[6:7], s[6:7]
	v_mov_b32_e32 v10, s10
	s_xor_b64 exec, exec, s[6:7]
	s_cbranch_execnz .LBB14_2604
.LBB14_554:
	s_or_b64 exec, exec, s[6:7]
	s_and_saveexec_b64 s[6:7], s[4:5]
	s_cbranch_execz .LBB14_556
.LBB14_555:
	v_bfe_u32 v10, v15, 8, 3
	v_ffbh_u32_e32 v21, v10
	v_min_u32_e32 v21, 32, v21
	v_lshrrev_b16_e32 v20, 3, v14
	v_subrev_u32_e32 v22, 28, v21
	v_and_b32_e32 v20, 15, v20
	v_lshlrev_b32_e32 v14, v22, v14
	v_sub_u32_e32 v21, 29, v21
	v_and_b32_e32 v14, 7, v14
	v_cmp_eq_u16_e32 vcc, 0, v20
	v_cndmask_b32_e32 v10, v10, v14, vcc
	v_cndmask_b32_e32 v14, v20, v21, vcc
	v_lshlrev_b32_e32 v20, 16, v15
	v_mov_b32_e32 v21, 0x3b800000
	v_lshlrev_b32_e32 v10, 20, v10
	v_and_b32_e32 v20, 0x80000000, v20
	v_lshl_add_u32 v14, v14, 23, v21
	v_or3_b32 v10, v20, v14, v10
.LBB14_556:
	s_or_b64 exec, exec, s[6:7]
	v_lshrrev_b32_e32 v14, 8, v11
	s_movk_i32 s4, 0x7f
	v_cmp_gt_i16_sdwa s[6:7], v14, s4 src0_sel:BYTE_0 src1_sel:DWORD
	s_mov_b64 s[4:5], 0
                                        ; implicit-def: $sgpr10
	s_and_saveexec_b64 s[8:9], s[6:7]
	s_xor_b64 s[6:7], exec, s[8:9]
	s_cbranch_execnz .LBB14_2605
; %bb.557:
	s_or_saveexec_b64 s[6:7], s[6:7]
	v_mov_b32_e32 v20, s10
	s_xor_b64 exec, exec, s[6:7]
	s_cbranch_execnz .LBB14_2608
.LBB14_558:
	s_or_b64 exec, exec, s[6:7]
	s_and_saveexec_b64 s[6:7], s[4:5]
	s_cbranch_execz .LBB14_560
.LBB14_559:
	v_bfe_u32 v20, v11, 8, 3
	v_ffbh_u32_e32 v22, v20
	v_min_u32_e32 v22, 32, v22
	v_lshrrev_b16_e32 v21, 3, v14
	v_subrev_u32_e32 v23, 28, v22
	v_and_b32_e32 v21, 15, v21
	v_lshlrev_b32_e32 v14, v23, v14
	v_sub_u32_e32 v22, 29, v22
	v_and_b32_e32 v14, 7, v14
	v_cmp_eq_u16_e32 vcc, 0, v21
	v_cndmask_b32_e32 v14, v20, v14, vcc
	v_cndmask_b32_e32 v20, v21, v22, vcc
	v_lshlrev_b32_e32 v21, 16, v11
	v_mov_b32_e32 v22, 0x3b800000
	v_lshlrev_b32_e32 v14, 20, v14
	v_and_b32_e32 v21, 0x80000000, v21
	v_lshl_add_u32 v20, v20, 23, v22
	v_or3_b32 v20, v21, v20, v14
.LBB14_560:
	s_or_b64 exec, exec, s[6:7]
	s_nop 0
	v_mfma_f32_16x16x4f32 a[0:3], v10, v20, a[0:3]
	s_movk_i32 s4, 0xff
	v_and_b32_sdwa v14, v15, s4 dst_sel:DWORD dst_unused:UNUSED_PAD src0_sel:WORD_1 src1_sel:DWORD
	s_movk_i32 s4, 0x7f
	v_cmp_lt_i16_e32 vcc, s4, v14
	s_mov_b64 s[4:5], 0
                                        ; implicit-def: $sgpr10
	s_and_saveexec_b64 s[6:7], vcc
	s_xor_b64 s[6:7], exec, s[6:7]
	s_cbranch_execnz .LBB14_2609
; %bb.561:
	s_or_saveexec_b64 s[6:7], s[6:7]
	v_mov_b32_e32 v10, s10
	s_xor_b64 exec, exec, s[6:7]
	s_cbranch_execnz .LBB14_2612
.LBB14_562:
	s_or_b64 exec, exec, s[6:7]
	s_and_saveexec_b64 s[6:7], s[4:5]
	s_cbranch_execz .LBB14_564
.LBB14_563:
	v_bfe_u32 v10, v15, 16, 3
	v_ffbh_u32_e32 v21, v10
	v_min_u32_e32 v21, 32, v21
	v_lshrrev_b32_e32 v14, 19, v15
	v_subrev_u32_e32 v22, 28, v21
	v_and_b32_e32 v14, 15, v14
	v_lshlrev_b32_sdwa v22, v22, v15 dst_sel:DWORD dst_unused:UNUSED_PAD src0_sel:DWORD src1_sel:WORD_1
	v_bfe_u32 v20, v15, 19, 4
	v_sub_u32_e32 v21, 29, v21
	v_and_b32_e32 v22, 7, v22
	v_cmp_eq_u16_e32 vcc, 0, v14
	v_cndmask_b32_e32 v10, v10, v22, vcc
	v_cndmask_b32_e32 v14, v20, v21, vcc
	v_lshlrev_b32_e32 v20, 8, v15
	v_mov_b32_e32 v21, 0x3b800000
	v_lshlrev_b32_e32 v10, 20, v10
	v_and_b32_e32 v20, 0x80000000, v20
	v_lshl_add_u32 v14, v14, 23, v21
	v_or3_b32 v10, v20, v14, v10
.LBB14_564:
	s_or_b64 exec, exec, s[6:7]
	s_movk_i32 s4, 0xff
	v_and_b32_sdwa v14, v11, s4 dst_sel:DWORD dst_unused:UNUSED_PAD src0_sel:WORD_1 src1_sel:DWORD
	s_movk_i32 s4, 0x7f
	v_cmp_lt_i16_e32 vcc, s4, v14
	s_mov_b64 s[4:5], 0
                                        ; implicit-def: $sgpr10
	s_and_saveexec_b64 s[6:7], vcc
	s_xor_b64 s[6:7], exec, s[6:7]
	s_cbranch_execnz .LBB14_2613
; %bb.565:
	s_or_saveexec_b64 s[6:7], s[6:7]
	v_mov_b32_e32 v20, s10
	s_xor_b64 exec, exec, s[6:7]
	s_cbranch_execnz .LBB14_2616
.LBB14_566:
	s_or_b64 exec, exec, s[6:7]
	s_and_saveexec_b64 s[6:7], s[4:5]
	s_cbranch_execz .LBB14_568
.LBB14_567:
	v_bfe_u32 v14, v11, 16, 3
	v_ffbh_u32_e32 v22, v14
	v_min_u32_e32 v22, 32, v22
	v_lshrrev_b32_e32 v20, 19, v11
	v_subrev_u32_e32 v23, 28, v22
	v_and_b32_e32 v20, 15, v20
	v_lshlrev_b32_sdwa v23, v23, v11 dst_sel:DWORD dst_unused:UNUSED_PAD src0_sel:DWORD src1_sel:WORD_1
	v_bfe_u32 v21, v11, 19, 4
	v_sub_u32_e32 v22, 29, v22
	v_and_b32_e32 v23, 7, v23
	v_cmp_eq_u16_e32 vcc, 0, v20
	v_cndmask_b32_e32 v14, v14, v23, vcc
	v_cndmask_b32_e32 v20, v21, v22, vcc
	v_lshlrev_b32_e32 v21, 8, v11
	v_mov_b32_e32 v22, 0x3b800000
	v_lshlrev_b32_e32 v14, 20, v14
	v_and_b32_e32 v21, 0x80000000, v21
	v_lshl_add_u32 v20, v20, 23, v22
	v_or3_b32 v20, v21, v20, v14
.LBB14_568:
	s_or_b64 exec, exec, s[6:7]
	s_nop 0
	v_mfma_f32_16x16x4f32 a[0:3], v10, v20, a[0:3]
	s_movk_i32 s4, 0x7f
	v_cmp_gt_i16_sdwa s[6:7], v15, s4 src0_sel:BYTE_3 src1_sel:DWORD
	s_mov_b64 s[4:5], 0
                                        ; implicit-def: $sgpr10
	s_and_saveexec_b64 s[8:9], s[6:7]
	s_xor_b64 s[6:7], exec, s[8:9]
	s_cbranch_execnz .LBB14_2617
; %bb.569:
	s_or_saveexec_b64 s[6:7], s[6:7]
	v_mov_b32_e32 v10, s10
	s_xor_b64 exec, exec, s[6:7]
	s_cbranch_execnz .LBB14_2620
.LBB14_570:
	s_or_b64 exec, exec, s[6:7]
	s_and_saveexec_b64 s[6:7], s[4:5]
	s_cbranch_execz .LBB14_572
.LBB14_571:
	v_bfe_u32 v10, v15, 24, 3
	v_ffbh_u32_e32 v22, v10
	v_min_u32_e32 v22, 32, v22
	v_lshrrev_b32_e32 v20, 27, v15
	v_subrev_u32_e32 v23, 28, v22
	v_and_b32_e32 v14, 0x80000000, v15
	v_and_b32_e32 v20, 15, v20
	v_bfe_u32 v21, v15, 27, 4
	v_lshlrev_b32_sdwa v15, v23, v15 dst_sel:DWORD dst_unused:UNUSED_PAD src0_sel:DWORD src1_sel:BYTE_3
	v_sub_u32_e32 v22, 29, v22
	v_and_b32_e32 v15, 7, v15
	v_cmp_eq_u16_e32 vcc, 0, v20
	v_cndmask_b32_e32 v10, v10, v15, vcc
	v_cndmask_b32_e32 v15, v21, v22, vcc
	v_mov_b32_e32 v20, 0x3b800000
	v_lshlrev_b32_e32 v10, 20, v10
	v_lshl_add_u32 v15, v15, 23, v20
	v_or3_b32 v10, v14, v15, v10
.LBB14_572:
	s_or_b64 exec, exec, s[6:7]
	s_movk_i32 s4, 0x7f
	v_cmp_gt_i16_sdwa s[6:7], v11, s4 src0_sel:BYTE_3 src1_sel:DWORD
	s_mov_b64 s[4:5], 0
                                        ; implicit-def: $sgpr10
	s_and_saveexec_b64 s[8:9], s[6:7]
	s_xor_b64 s[6:7], exec, s[8:9]
	s_cbranch_execnz .LBB14_2621
; %bb.573:
	s_or_saveexec_b64 s[6:7], s[6:7]
	v_mov_b32_e32 v14, s10
	s_xor_b64 exec, exec, s[6:7]
	s_cbranch_execnz .LBB14_2624
.LBB14_574:
	s_or_b64 exec, exec, s[6:7]
	s_and_saveexec_b64 s[6:7], s[4:5]
	s_cbranch_execz .LBB14_576
.LBB14_575:
	v_bfe_u32 v14, v11, 24, 3
	v_ffbh_u32_e32 v22, v14
	v_min_u32_e32 v22, 32, v22
	v_lshrrev_b32_e32 v20, 27, v11
	v_subrev_u32_e32 v23, 28, v22
	v_and_b32_e32 v15, 0x80000000, v11
	v_and_b32_e32 v20, 15, v20
	v_bfe_u32 v21, v11, 27, 4
	v_lshlrev_b32_sdwa v11, v23, v11 dst_sel:DWORD dst_unused:UNUSED_PAD src0_sel:DWORD src1_sel:BYTE_3
	v_sub_u32_e32 v22, 29, v22
	v_and_b32_e32 v11, 7, v11
	v_cmp_eq_u16_e32 vcc, 0, v20
	v_cndmask_b32_e32 v11, v14, v11, vcc
	v_cndmask_b32_e32 v14, v21, v22, vcc
	v_mov_b32_e32 v20, 0x3b800000
	v_lshlrev_b32_e32 v11, 20, v11
	v_lshl_add_u32 v14, v14, 23, v20
	v_or3_b32 v14, v15, v14, v11
.LBB14_576:
	s_or_b64 exec, exec, s[6:7]
	s_nop 0
	v_mfma_f32_16x16x4f32 a[0:3], v10, v14, a[0:3]
	s_movk_i32 s4, 0x7f
	v_cmp_gt_i16_sdwa s[6:7], v16, s4 src0_sel:BYTE_0 src1_sel:DWORD
	s_mov_b64 s[4:5], 0
                                        ; implicit-def: $sgpr10
	s_and_saveexec_b64 s[8:9], s[6:7]
	s_xor_b64 s[6:7], exec, s[8:9]
	s_cbranch_execnz .LBB14_2625
; %bb.577:
	s_or_saveexec_b64 s[6:7], s[6:7]
	v_mov_b32_e32 v10, s10
	s_xor_b64 exec, exec, s[6:7]
	s_cbranch_execnz .LBB14_2628
.LBB14_578:
	s_or_b64 exec, exec, s[6:7]
	s_and_saveexec_b64 s[6:7], s[4:5]
	s_cbranch_execz .LBB14_580
.LBB14_579:
	v_and_b32_e32 v10, 7, v16
	v_ffbh_u32_e32 v14, v10
	v_min_u32_e32 v14, 32, v14
	v_lshrrev_b16_e32 v11, 3, v16
	v_subrev_u32_e32 v15, 28, v14
	v_and_b32_e32 v11, 15, v11
	v_lshlrev_b32_e32 v15, v15, v16
	v_sub_u32_e32 v14, 29, v14
	v_and_b32_e32 v15, 7, v15
	v_cmp_eq_u16_e32 vcc, 0, v11
	v_cndmask_b32_e32 v10, v10, v15, vcc
	v_cndmask_b32_e32 v11, v11, v14, vcc
	v_lshlrev_b32_e32 v14, 24, v16
	v_mov_b32_e32 v15, 0x3b800000
	v_lshlrev_b32_e32 v10, 20, v10
	v_and_b32_e32 v14, 0x80000000, v14
	v_lshl_add_u32 v11, v11, 23, v15
	v_or3_b32 v10, v14, v11, v10
.LBB14_580:
	s_or_b64 exec, exec, s[6:7]
	s_movk_i32 s4, 0x7f
	v_cmp_gt_i16_sdwa s[6:7], v12, s4 src0_sel:BYTE_0 src1_sel:DWORD
	s_mov_b64 s[4:5], 0
                                        ; implicit-def: $sgpr10
	s_and_saveexec_b64 s[8:9], s[6:7]
	s_xor_b64 s[6:7], exec, s[8:9]
	s_cbranch_execnz .LBB14_2629
; %bb.581:
	s_or_saveexec_b64 s[6:7], s[6:7]
	v_mov_b32_e32 v11, s10
	s_xor_b64 exec, exec, s[6:7]
	s_cbranch_execnz .LBB14_2632
.LBB14_582:
	s_or_b64 exec, exec, s[6:7]
	s_and_saveexec_b64 s[6:7], s[4:5]
	s_cbranch_execz .LBB14_584
.LBB14_583:
	v_and_b32_e32 v11, 7, v12
	v_ffbh_u32_e32 v15, v11
	v_min_u32_e32 v15, 32, v15
	v_lshrrev_b16_e32 v14, 3, v12
	v_subrev_u32_e32 v20, 28, v15
	v_and_b32_e32 v14, 15, v14
	v_lshlrev_b32_e32 v20, v20, v12
	v_sub_u32_e32 v15, 29, v15
	v_and_b32_e32 v20, 7, v20
	v_cmp_eq_u16_e32 vcc, 0, v14
	v_cndmask_b32_e32 v11, v11, v20, vcc
	v_cndmask_b32_e32 v14, v14, v15, vcc
	v_lshlrev_b32_e32 v15, 24, v12
	v_mov_b32_e32 v20, 0x3b800000
	v_lshlrev_b32_e32 v11, 20, v11
	v_and_b32_e32 v15, 0x80000000, v15
	v_lshl_add_u32 v14, v14, 23, v20
	v_or3_b32 v11, v15, v14, v11
.LBB14_584:
	s_or_b64 exec, exec, s[6:7]
	s_nop 0
	v_mfma_f32_16x16x4f32 a[0:3], v10, v11, a[0:3]
	v_lshrrev_b32_e32 v11, 8, v16
	s_movk_i32 s4, 0x7f
	v_cmp_gt_i16_sdwa s[6:7], v11, s4 src0_sel:BYTE_0 src1_sel:DWORD
	s_mov_b64 s[4:5], 0
                                        ; implicit-def: $sgpr10
	s_and_saveexec_b64 s[8:9], s[6:7]
	s_xor_b64 s[6:7], exec, s[8:9]
	s_cbranch_execnz .LBB14_2633
; %bb.585:
	s_or_saveexec_b64 s[6:7], s[6:7]
	v_mov_b32_e32 v10, s10
	s_xor_b64 exec, exec, s[6:7]
	s_cbranch_execnz .LBB14_2636
.LBB14_586:
	s_or_b64 exec, exec, s[6:7]
	s_and_saveexec_b64 s[6:7], s[4:5]
	s_cbranch_execz .LBB14_588
.LBB14_587:
	v_bfe_u32 v10, v16, 8, 3
	v_ffbh_u32_e32 v15, v10
	v_min_u32_e32 v15, 32, v15
	v_lshrrev_b16_e32 v14, 3, v11
	v_subrev_u32_e32 v20, 28, v15
	v_and_b32_e32 v14, 15, v14
	v_lshlrev_b32_e32 v11, v20, v11
	v_sub_u32_e32 v15, 29, v15
	v_and_b32_e32 v11, 7, v11
	v_cmp_eq_u16_e32 vcc, 0, v14
	v_cndmask_b32_e32 v10, v10, v11, vcc
	v_cndmask_b32_e32 v11, v14, v15, vcc
	v_lshlrev_b32_e32 v14, 16, v16
	v_mov_b32_e32 v15, 0x3b800000
	v_lshlrev_b32_e32 v10, 20, v10
	v_and_b32_e32 v14, 0x80000000, v14
	v_lshl_add_u32 v11, v11, 23, v15
	v_or3_b32 v10, v14, v11, v10
.LBB14_588:
	s_or_b64 exec, exec, s[6:7]
	v_lshrrev_b32_e32 v11, 8, v12
	s_movk_i32 s4, 0x7f
	v_cmp_gt_i16_sdwa s[6:7], v11, s4 src0_sel:BYTE_0 src1_sel:DWORD
	s_mov_b64 s[4:5], 0
                                        ; implicit-def: $sgpr10
	s_and_saveexec_b64 s[8:9], s[6:7]
	s_xor_b64 s[6:7], exec, s[8:9]
	s_cbranch_execnz .LBB14_2637
; %bb.589:
	s_or_saveexec_b64 s[6:7], s[6:7]
	v_mov_b32_e32 v14, s10
	s_xor_b64 exec, exec, s[6:7]
	s_cbranch_execnz .LBB14_2640
.LBB14_590:
	s_or_b64 exec, exec, s[6:7]
	s_and_saveexec_b64 s[6:7], s[4:5]
	s_cbranch_execz .LBB14_592
.LBB14_591:
	v_bfe_u32 v14, v12, 8, 3
	v_ffbh_u32_e32 v20, v14
	v_min_u32_e32 v20, 32, v20
	v_lshrrev_b16_e32 v15, 3, v11
	v_subrev_u32_e32 v21, 28, v20
	v_and_b32_e32 v15, 15, v15
	v_lshlrev_b32_e32 v11, v21, v11
	v_sub_u32_e32 v20, 29, v20
	v_and_b32_e32 v11, 7, v11
	v_cmp_eq_u16_e32 vcc, 0, v15
	v_cndmask_b32_e32 v11, v14, v11, vcc
	v_cndmask_b32_e32 v14, v15, v20, vcc
	v_lshlrev_b32_e32 v15, 16, v12
	v_mov_b32_e32 v20, 0x3b800000
	v_lshlrev_b32_e32 v11, 20, v11
	v_and_b32_e32 v15, 0x80000000, v15
	v_lshl_add_u32 v14, v14, 23, v20
	v_or3_b32 v14, v15, v14, v11
.LBB14_592:
	s_or_b64 exec, exec, s[6:7]
	s_nop 0
	v_mfma_f32_16x16x4f32 a[0:3], v10, v14, a[0:3]
	s_movk_i32 s4, 0xff
	v_and_b32_sdwa v11, v16, s4 dst_sel:DWORD dst_unused:UNUSED_PAD src0_sel:WORD_1 src1_sel:DWORD
	s_movk_i32 s4, 0x7f
	v_cmp_lt_i16_e32 vcc, s4, v11
	s_mov_b64 s[4:5], 0
                                        ; implicit-def: $sgpr10
	s_and_saveexec_b64 s[6:7], vcc
	s_xor_b64 s[6:7], exec, s[6:7]
	s_cbranch_execnz .LBB14_2641
; %bb.593:
	s_or_saveexec_b64 s[6:7], s[6:7]
	v_mov_b32_e32 v10, s10
	s_xor_b64 exec, exec, s[6:7]
	s_cbranch_execnz .LBB14_2644
.LBB14_594:
	s_or_b64 exec, exec, s[6:7]
	s_and_saveexec_b64 s[6:7], s[4:5]
	s_cbranch_execz .LBB14_596
.LBB14_595:
	v_bfe_u32 v10, v16, 16, 3
	v_ffbh_u32_e32 v15, v10
	v_min_u32_e32 v15, 32, v15
	v_lshrrev_b32_e32 v11, 19, v16
	v_subrev_u32_e32 v20, 28, v15
	v_and_b32_e32 v11, 15, v11
	v_lshlrev_b32_sdwa v20, v20, v16 dst_sel:DWORD dst_unused:UNUSED_PAD src0_sel:DWORD src1_sel:WORD_1
	v_bfe_u32 v14, v16, 19, 4
	v_sub_u32_e32 v15, 29, v15
	v_and_b32_e32 v20, 7, v20
	v_cmp_eq_u16_e32 vcc, 0, v11
	v_cndmask_b32_e32 v10, v10, v20, vcc
	v_cndmask_b32_e32 v11, v14, v15, vcc
	v_lshlrev_b32_e32 v14, 8, v16
	v_mov_b32_e32 v15, 0x3b800000
	v_lshlrev_b32_e32 v10, 20, v10
	v_and_b32_e32 v14, 0x80000000, v14
	v_lshl_add_u32 v11, v11, 23, v15
	v_or3_b32 v10, v14, v11, v10
.LBB14_596:
	s_or_b64 exec, exec, s[6:7]
	s_movk_i32 s4, 0xff
	v_and_b32_sdwa v11, v12, s4 dst_sel:DWORD dst_unused:UNUSED_PAD src0_sel:WORD_1 src1_sel:DWORD
	s_movk_i32 s4, 0x7f
	v_cmp_lt_i16_e32 vcc, s4, v11
	s_mov_b64 s[4:5], 0
                                        ; implicit-def: $sgpr10
	s_and_saveexec_b64 s[6:7], vcc
	s_xor_b64 s[6:7], exec, s[6:7]
	s_cbranch_execnz .LBB14_2645
; %bb.597:
	s_or_saveexec_b64 s[6:7], s[6:7]
	v_mov_b32_e32 v14, s10
	s_xor_b64 exec, exec, s[6:7]
	s_cbranch_execnz .LBB14_2648
.LBB14_598:
	s_or_b64 exec, exec, s[6:7]
	s_and_saveexec_b64 s[6:7], s[4:5]
	s_cbranch_execz .LBB14_600
.LBB14_599:
	v_bfe_u32 v11, v12, 16, 3
	v_ffbh_u32_e32 v20, v11
	v_min_u32_e32 v20, 32, v20
	v_lshrrev_b32_e32 v14, 19, v12
	v_subrev_u32_e32 v21, 28, v20
	v_and_b32_e32 v14, 15, v14
	v_lshlrev_b32_sdwa v21, v21, v12 dst_sel:DWORD dst_unused:UNUSED_PAD src0_sel:DWORD src1_sel:WORD_1
	v_bfe_u32 v15, v12, 19, 4
	v_sub_u32_e32 v20, 29, v20
	v_and_b32_e32 v21, 7, v21
	v_cmp_eq_u16_e32 vcc, 0, v14
	v_cndmask_b32_e32 v11, v11, v21, vcc
	v_cndmask_b32_e32 v14, v15, v20, vcc
	v_lshlrev_b32_e32 v15, 8, v12
	v_mov_b32_e32 v20, 0x3b800000
	v_lshlrev_b32_e32 v11, 20, v11
	v_and_b32_e32 v15, 0x80000000, v15
	v_lshl_add_u32 v14, v14, 23, v20
	v_or3_b32 v14, v15, v14, v11
.LBB14_600:
	s_or_b64 exec, exec, s[6:7]
	s_nop 0
	v_mfma_f32_16x16x4f32 a[0:3], v10, v14, a[0:3]
	s_movk_i32 s4, 0x7f
	v_cmp_gt_i16_sdwa s[6:7], v16, s4 src0_sel:BYTE_3 src1_sel:DWORD
	s_mov_b64 s[4:5], 0
                                        ; implicit-def: $sgpr10
	s_and_saveexec_b64 s[8:9], s[6:7]
	s_xor_b64 s[6:7], exec, s[8:9]
	s_cbranch_execnz .LBB14_2649
; %bb.601:
	s_or_saveexec_b64 s[6:7], s[6:7]
	v_mov_b32_e32 v10, s10
	s_xor_b64 exec, exec, s[6:7]
	s_cbranch_execnz .LBB14_2652
.LBB14_602:
	s_or_b64 exec, exec, s[6:7]
	s_and_saveexec_b64 s[6:7], s[4:5]
	s_cbranch_execz .LBB14_604
.LBB14_603:
	v_bfe_u32 v10, v16, 24, 3
	v_ffbh_u32_e32 v20, v10
	v_min_u32_e32 v20, 32, v20
	v_lshrrev_b32_e32 v14, 27, v16
	v_subrev_u32_e32 v21, 28, v20
	v_and_b32_e32 v11, 0x80000000, v16
	v_and_b32_e32 v14, 15, v14
	v_bfe_u32 v15, v16, 27, 4
	v_lshlrev_b32_sdwa v16, v21, v16 dst_sel:DWORD dst_unused:UNUSED_PAD src0_sel:DWORD src1_sel:BYTE_3
	v_sub_u32_e32 v20, 29, v20
	v_and_b32_e32 v16, 7, v16
	v_cmp_eq_u16_e32 vcc, 0, v14
	v_cndmask_b32_e32 v10, v10, v16, vcc
	v_cndmask_b32_e32 v14, v15, v20, vcc
	v_mov_b32_e32 v15, 0x3b800000
	v_lshlrev_b32_e32 v10, 20, v10
	v_lshl_add_u32 v14, v14, 23, v15
	v_or3_b32 v10, v11, v14, v10
.LBB14_604:
	s_or_b64 exec, exec, s[6:7]
	s_movk_i32 s4, 0x7f
	v_cmp_gt_i16_sdwa s[6:7], v12, s4 src0_sel:BYTE_3 src1_sel:DWORD
	s_mov_b64 s[4:5], 0
                                        ; implicit-def: $sgpr10
	s_and_saveexec_b64 s[8:9], s[6:7]
	s_xor_b64 s[6:7], exec, s[8:9]
	s_cbranch_execnz .LBB14_2653
; %bb.605:
	s_or_saveexec_b64 s[6:7], s[6:7]
	v_mov_b32_e32 v11, s10
	s_xor_b64 exec, exec, s[6:7]
	s_cbranch_execnz .LBB14_2656
.LBB14_606:
	s_or_b64 exec, exec, s[6:7]
	s_and_saveexec_b64 s[6:7], s[4:5]
	s_cbranch_execz .LBB14_608
.LBB14_607:
	v_bfe_u32 v11, v12, 24, 3
	v_ffbh_u32_e32 v20, v11
	v_min_u32_e32 v20, 32, v20
	v_lshrrev_b32_e32 v15, 27, v12
	v_subrev_u32_e32 v21, 28, v20
	v_and_b32_e32 v14, 0x80000000, v12
	v_and_b32_e32 v15, 15, v15
	v_bfe_u32 v16, v12, 27, 4
	v_lshlrev_b32_sdwa v12, v21, v12 dst_sel:DWORD dst_unused:UNUSED_PAD src0_sel:DWORD src1_sel:BYTE_3
	v_sub_u32_e32 v20, 29, v20
	v_and_b32_e32 v12, 7, v12
	v_cmp_eq_u16_e32 vcc, 0, v15
	v_cndmask_b32_e32 v11, v11, v12, vcc
	v_cndmask_b32_e32 v12, v16, v20, vcc
	v_mov_b32_e32 v15, 0x3b800000
	v_lshlrev_b32_e32 v11, 20, v11
	v_lshl_add_u32 v12, v12, 23, v15
	v_or3_b32 v11, v14, v12, v11
.LBB14_608:
	s_or_b64 exec, exec, s[6:7]
	s_nop 0
	v_mfma_f32_16x16x4f32 a[0:3], v10, v11, a[0:3]
	s_movk_i32 s4, 0x7f
	v_cmp_gt_i16_sdwa s[6:7], v17, s4 src0_sel:BYTE_0 src1_sel:DWORD
	s_mov_b64 s[4:5], 0
                                        ; implicit-def: $sgpr10
	s_and_saveexec_b64 s[8:9], s[6:7]
	s_xor_b64 s[6:7], exec, s[8:9]
	s_cbranch_execnz .LBB14_2657
; %bb.609:
	s_or_saveexec_b64 s[6:7], s[6:7]
	v_mov_b32_e32 v10, s10
	s_xor_b64 exec, exec, s[6:7]
	s_cbranch_execnz .LBB14_2660
.LBB14_610:
	s_or_b64 exec, exec, s[6:7]
	s_and_saveexec_b64 s[6:7], s[4:5]
	s_cbranch_execz .LBB14_612
.LBB14_611:
	v_and_b32_e32 v10, 7, v17
	v_ffbh_u32_e32 v12, v10
	v_min_u32_e32 v12, 32, v12
	v_lshrrev_b16_e32 v11, 3, v17
	v_subrev_u32_e32 v14, 28, v12
	v_and_b32_e32 v11, 15, v11
	v_lshlrev_b32_e32 v14, v14, v17
	v_sub_u32_e32 v12, 29, v12
	v_and_b32_e32 v14, 7, v14
	v_cmp_eq_u16_e32 vcc, 0, v11
	v_cndmask_b32_e32 v10, v10, v14, vcc
	v_cndmask_b32_e32 v11, v11, v12, vcc
	v_lshlrev_b32_e32 v12, 24, v17
	v_mov_b32_e32 v14, 0x3b800000
	v_lshlrev_b32_e32 v10, 20, v10
	v_and_b32_e32 v12, 0x80000000, v12
	v_lshl_add_u32 v11, v11, 23, v14
	v_or3_b32 v10, v12, v11, v10
.LBB14_612:
	s_or_b64 exec, exec, s[6:7]
	s_movk_i32 s4, 0x7f
	v_cmp_gt_i16_sdwa s[6:7], v13, s4 src0_sel:BYTE_0 src1_sel:DWORD
	s_mov_b64 s[4:5], 0
                                        ; implicit-def: $sgpr10
	s_and_saveexec_b64 s[8:9], s[6:7]
	s_xor_b64 s[6:7], exec, s[8:9]
	s_cbranch_execnz .LBB14_2661
; %bb.613:
	s_or_saveexec_b64 s[6:7], s[6:7]
	v_mov_b32_e32 v11, s10
	s_xor_b64 exec, exec, s[6:7]
	s_cbranch_execnz .LBB14_2664
.LBB14_614:
	s_or_b64 exec, exec, s[6:7]
	s_and_saveexec_b64 s[6:7], s[4:5]
	s_cbranch_execz .LBB14_616
.LBB14_615:
	v_and_b32_e32 v11, 7, v13
	v_ffbh_u32_e32 v14, v11
	v_min_u32_e32 v14, 32, v14
	v_lshrrev_b16_e32 v12, 3, v13
	v_subrev_u32_e32 v15, 28, v14
	v_and_b32_e32 v12, 15, v12
	v_lshlrev_b32_e32 v15, v15, v13
	v_sub_u32_e32 v14, 29, v14
	v_and_b32_e32 v15, 7, v15
	v_cmp_eq_u16_e32 vcc, 0, v12
	v_cndmask_b32_e32 v11, v11, v15, vcc
	v_cndmask_b32_e32 v12, v12, v14, vcc
	v_lshlrev_b32_e32 v14, 24, v13
	v_mov_b32_e32 v15, 0x3b800000
	v_lshlrev_b32_e32 v11, 20, v11
	v_and_b32_e32 v14, 0x80000000, v14
	v_lshl_add_u32 v12, v12, 23, v15
	v_or3_b32 v11, v14, v12, v11
.LBB14_616:
	s_or_b64 exec, exec, s[6:7]
	s_nop 0
	v_mfma_f32_16x16x4f32 a[0:3], v10, v11, a[0:3]
	v_lshrrev_b32_e32 v11, 8, v17
	s_movk_i32 s4, 0x7f
	v_cmp_gt_i16_sdwa s[6:7], v11, s4 src0_sel:BYTE_0 src1_sel:DWORD
	s_mov_b64 s[4:5], 0
                                        ; implicit-def: $sgpr10
	s_and_saveexec_b64 s[8:9], s[6:7]
	s_xor_b64 s[6:7], exec, s[8:9]
	s_cbranch_execnz .LBB14_2665
; %bb.617:
	s_or_saveexec_b64 s[6:7], s[6:7]
	v_mov_b32_e32 v10, s10
	s_xor_b64 exec, exec, s[6:7]
	s_cbranch_execnz .LBB14_2668
.LBB14_618:
	s_or_b64 exec, exec, s[6:7]
	s_and_saveexec_b64 s[6:7], s[4:5]
	s_cbranch_execz .LBB14_620
.LBB14_619:
	v_bfe_u32 v10, v17, 8, 3
	v_ffbh_u32_e32 v14, v10
	v_min_u32_e32 v14, 32, v14
	v_lshrrev_b16_e32 v12, 3, v11
	v_subrev_u32_e32 v15, 28, v14
	v_and_b32_e32 v12, 15, v12
	v_lshlrev_b32_e32 v11, v15, v11
	v_sub_u32_e32 v14, 29, v14
	v_and_b32_e32 v11, 7, v11
	v_cmp_eq_u16_e32 vcc, 0, v12
	v_cndmask_b32_e32 v10, v10, v11, vcc
	v_cndmask_b32_e32 v11, v12, v14, vcc
	v_lshlrev_b32_e32 v12, 16, v17
	v_mov_b32_e32 v14, 0x3b800000
	v_lshlrev_b32_e32 v10, 20, v10
	v_and_b32_e32 v12, 0x80000000, v12
	v_lshl_add_u32 v11, v11, 23, v14
	v_or3_b32 v10, v12, v11, v10
.LBB14_620:
	s_or_b64 exec, exec, s[6:7]
	v_lshrrev_b32_e32 v11, 8, v13
	s_movk_i32 s4, 0x7f
	v_cmp_gt_i16_sdwa s[6:7], v11, s4 src0_sel:BYTE_0 src1_sel:DWORD
	s_mov_b64 s[4:5], 0
                                        ; implicit-def: $sgpr10
	s_and_saveexec_b64 s[8:9], s[6:7]
	s_xor_b64 s[6:7], exec, s[8:9]
	s_cbranch_execnz .LBB14_2669
; %bb.621:
	s_or_saveexec_b64 s[6:7], s[6:7]
	v_mov_b32_e32 v12, s10
	s_xor_b64 exec, exec, s[6:7]
	s_cbranch_execnz .LBB14_2672
.LBB14_622:
	s_or_b64 exec, exec, s[6:7]
	s_and_saveexec_b64 s[6:7], s[4:5]
	s_cbranch_execz .LBB14_624
.LBB14_623:
	v_bfe_u32 v12, v13, 8, 3
	v_ffbh_u32_e32 v15, v12
	v_min_u32_e32 v15, 32, v15
	v_lshrrev_b16_e32 v14, 3, v11
	v_subrev_u32_e32 v16, 28, v15
	v_and_b32_e32 v14, 15, v14
	v_lshlrev_b32_e32 v11, v16, v11
	v_sub_u32_e32 v15, 29, v15
	v_and_b32_e32 v11, 7, v11
	v_cmp_eq_u16_e32 vcc, 0, v14
	v_cndmask_b32_e32 v11, v12, v11, vcc
	v_cndmask_b32_e32 v12, v14, v15, vcc
	v_lshlrev_b32_e32 v14, 16, v13
	v_mov_b32_e32 v15, 0x3b800000
	v_lshlrev_b32_e32 v11, 20, v11
	v_and_b32_e32 v14, 0x80000000, v14
	v_lshl_add_u32 v12, v12, 23, v15
	v_or3_b32 v12, v14, v12, v11
.LBB14_624:
	s_or_b64 exec, exec, s[6:7]
	s_nop 0
	v_mfma_f32_16x16x4f32 a[0:3], v10, v12, a[0:3]
	s_movk_i32 s4, 0xff
	v_and_b32_sdwa v11, v17, s4 dst_sel:DWORD dst_unused:UNUSED_PAD src0_sel:WORD_1 src1_sel:DWORD
	s_movk_i32 s4, 0x7f
	v_cmp_lt_i16_e32 vcc, s4, v11
	s_mov_b64 s[4:5], 0
                                        ; implicit-def: $sgpr10
	s_and_saveexec_b64 s[6:7], vcc
	s_xor_b64 s[6:7], exec, s[6:7]
	s_cbranch_execnz .LBB14_2673
; %bb.625:
	s_or_saveexec_b64 s[6:7], s[6:7]
	v_mov_b32_e32 v10, s10
	s_xor_b64 exec, exec, s[6:7]
	s_cbranch_execnz .LBB14_2676
.LBB14_626:
	s_or_b64 exec, exec, s[6:7]
	s_and_saveexec_b64 s[6:7], s[4:5]
	s_cbranch_execz .LBB14_628
.LBB14_627:
	v_bfe_u32 v10, v17, 16, 3
	v_ffbh_u32_e32 v14, v10
	v_min_u32_e32 v14, 32, v14
	v_lshrrev_b32_e32 v11, 19, v17
	v_subrev_u32_e32 v15, 28, v14
	v_and_b32_e32 v11, 15, v11
	v_lshlrev_b32_sdwa v15, v15, v17 dst_sel:DWORD dst_unused:UNUSED_PAD src0_sel:DWORD src1_sel:WORD_1
	v_bfe_u32 v12, v17, 19, 4
	v_sub_u32_e32 v14, 29, v14
	v_and_b32_e32 v15, 7, v15
	v_cmp_eq_u16_e32 vcc, 0, v11
	v_cndmask_b32_e32 v10, v10, v15, vcc
	v_cndmask_b32_e32 v11, v12, v14, vcc
	v_lshlrev_b32_e32 v12, 8, v17
	v_mov_b32_e32 v14, 0x3b800000
	v_lshlrev_b32_e32 v10, 20, v10
	v_and_b32_e32 v12, 0x80000000, v12
	v_lshl_add_u32 v11, v11, 23, v14
	v_or3_b32 v10, v12, v11, v10
.LBB14_628:
	s_or_b64 exec, exec, s[6:7]
	s_movk_i32 s4, 0xff
	v_and_b32_sdwa v11, v13, s4 dst_sel:DWORD dst_unused:UNUSED_PAD src0_sel:WORD_1 src1_sel:DWORD
	s_movk_i32 s4, 0x7f
	v_cmp_lt_i16_e32 vcc, s4, v11
	s_mov_b64 s[4:5], 0
                                        ; implicit-def: $sgpr10
	s_and_saveexec_b64 s[6:7], vcc
	s_xor_b64 s[6:7], exec, s[6:7]
	s_cbranch_execnz .LBB14_2677
; %bb.629:
	s_or_saveexec_b64 s[6:7], s[6:7]
	v_mov_b32_e32 v12, s10
	s_xor_b64 exec, exec, s[6:7]
	s_cbranch_execnz .LBB14_2680
.LBB14_630:
	s_or_b64 exec, exec, s[6:7]
	s_and_saveexec_b64 s[6:7], s[4:5]
	s_cbranch_execz .LBB14_632
.LBB14_631:
	v_bfe_u32 v11, v13, 16, 3
	v_ffbh_u32_e32 v15, v11
	v_min_u32_e32 v15, 32, v15
	v_lshrrev_b32_e32 v12, 19, v13
	v_subrev_u32_e32 v16, 28, v15
	v_and_b32_e32 v12, 15, v12
	v_lshlrev_b32_sdwa v16, v16, v13 dst_sel:DWORD dst_unused:UNUSED_PAD src0_sel:DWORD src1_sel:WORD_1
	v_bfe_u32 v14, v13, 19, 4
	v_sub_u32_e32 v15, 29, v15
	v_and_b32_e32 v16, 7, v16
	v_cmp_eq_u16_e32 vcc, 0, v12
	v_cndmask_b32_e32 v11, v11, v16, vcc
	v_cndmask_b32_e32 v12, v14, v15, vcc
	v_lshlrev_b32_e32 v14, 8, v13
	v_mov_b32_e32 v15, 0x3b800000
	v_lshlrev_b32_e32 v11, 20, v11
	v_and_b32_e32 v14, 0x80000000, v14
	v_lshl_add_u32 v12, v12, 23, v15
	v_or3_b32 v12, v14, v12, v11
.LBB14_632:
	s_or_b64 exec, exec, s[6:7]
	s_nop 0
	v_mfma_f32_16x16x4f32 a[0:3], v10, v12, a[0:3]
	s_movk_i32 s4, 0x7f
	v_cmp_gt_i16_sdwa s[6:7], v17, s4 src0_sel:BYTE_3 src1_sel:DWORD
	s_mov_b64 s[4:5], 0
                                        ; implicit-def: $sgpr10
	s_and_saveexec_b64 s[8:9], s[6:7]
	s_xor_b64 s[6:7], exec, s[8:9]
	s_cbranch_execnz .LBB14_2681
; %bb.633:
	s_or_saveexec_b64 s[6:7], s[6:7]
	v_mov_b32_e32 v10, s10
	s_xor_b64 exec, exec, s[6:7]
	s_cbranch_execnz .LBB14_2684
.LBB14_634:
	s_or_b64 exec, exec, s[6:7]
	s_and_saveexec_b64 s[6:7], s[4:5]
	s_cbranch_execz .LBB14_636
.LBB14_635:
	v_bfe_u32 v10, v17, 24, 3
	v_ffbh_u32_e32 v15, v10
	v_min_u32_e32 v15, 32, v15
	v_lshrrev_b32_e32 v12, 27, v17
	v_subrev_u32_e32 v16, 28, v15
	v_and_b32_e32 v12, 15, v12
	v_lshlrev_b32_sdwa v16, v16, v17 dst_sel:DWORD dst_unused:UNUSED_PAD src0_sel:DWORD src1_sel:BYTE_3
	v_bfe_u32 v14, v17, 27, 4
	v_sub_u32_e32 v15, 29, v15
	v_and_b32_e32 v16, 7, v16
	v_cmp_eq_u16_e32 vcc, 0, v12
	v_cndmask_b32_e32 v10, v10, v16, vcc
	v_cndmask_b32_e32 v12, v14, v15, vcc
	v_mov_b32_e32 v14, 0x3b800000
	v_and_b32_e32 v11, 0x80000000, v17
	v_lshlrev_b32_e32 v10, 20, v10
	v_lshl_add_u32 v12, v12, 23, v14
	v_or3_b32 v10, v11, v12, v10
.LBB14_636:
	s_or_b64 exec, exec, s[6:7]
	s_movk_i32 s4, 0x7f
	v_cmp_gt_i16_sdwa s[6:7], v13, s4 src0_sel:BYTE_3 src1_sel:DWORD
	s_mov_b64 s[4:5], 0
                                        ; implicit-def: $sgpr10
	s_and_saveexec_b64 s[8:9], s[6:7]
	s_xor_b64 s[6:7], exec, s[8:9]
	s_cbranch_execnz .LBB14_2685
; %bb.637:
	s_or_saveexec_b64 s[6:7], s[6:7]
	v_mov_b32_e32 v11, s10
	s_xor_b64 exec, exec, s[6:7]
	s_cbranch_execnz .LBB14_2688
.LBB14_638:
	s_or_b64 exec, exec, s[6:7]
	s_and_saveexec_b64 s[6:7], s[4:5]
	s_cbranch_execz .LBB14_640
.LBB14_639:
	v_bfe_u32 v11, v13, 24, 3
	v_ffbh_u32_e32 v16, v11
	v_min_u32_e32 v16, 32, v16
	v_lshrrev_b32_e32 v14, 27, v13
	v_subrev_u32_e32 v17, 28, v16
	v_and_b32_e32 v12, 0x80000000, v13
	v_and_b32_e32 v14, 15, v14
	v_bfe_u32 v15, v13, 27, 4
	v_lshlrev_b32_sdwa v13, v17, v13 dst_sel:DWORD dst_unused:UNUSED_PAD src0_sel:DWORD src1_sel:BYTE_3
	v_sub_u32_e32 v16, 29, v16
	v_and_b32_e32 v13, 7, v13
	v_cmp_eq_u16_e32 vcc, 0, v14
	v_cndmask_b32_e32 v11, v11, v13, vcc
	v_cndmask_b32_e32 v13, v15, v16, vcc
	v_mov_b32_e32 v14, 0x3b800000
	v_lshlrev_b32_e32 v11, 20, v11
	v_lshl_add_u32 v13, v13, 23, v14
	v_or3_b32 v11, v12, v13, v11
.LBB14_640:
	s_or_b64 exec, exec, s[6:7]
	s_nop 0
	v_mfma_f32_16x16x4f32 a[0:3], v10, v11, a[0:3]
	s_movk_i32 s4, 0x7f
	v_cmp_gt_i16_sdwa s[6:7], v6, s4 src0_sel:BYTE_0 src1_sel:DWORD
	s_mov_b64 s[4:5], 0
                                        ; implicit-def: $sgpr10
	s_and_saveexec_b64 s[8:9], s[6:7]
	s_xor_b64 s[6:7], exec, s[8:9]
	s_cbranch_execnz .LBB14_2689
; %bb.641:
	s_or_saveexec_b64 s[6:7], s[6:7]
	v_mov_b32_e32 v10, s10
	s_xor_b64 exec, exec, s[6:7]
	s_cbranch_execnz .LBB14_2692
.LBB14_642:
	s_or_b64 exec, exec, s[6:7]
	s_and_saveexec_b64 s[6:7], s[4:5]
	s_cbranch_execz .LBB14_644
.LBB14_643:
	v_and_b32_e32 v10, 7, v6
	v_ffbh_u32_e32 v12, v10
	v_min_u32_e32 v12, 32, v12
	v_lshrrev_b16_e32 v11, 3, v6
	v_subrev_u32_e32 v13, 28, v12
	v_and_b32_e32 v11, 15, v11
	v_lshlrev_b32_e32 v13, v13, v6
	v_sub_u32_e32 v12, 29, v12
	v_and_b32_e32 v13, 7, v13
	v_cmp_eq_u16_e32 vcc, 0, v11
	v_cndmask_b32_e32 v10, v10, v13, vcc
	v_cndmask_b32_e32 v11, v11, v12, vcc
	v_lshlrev_b32_e32 v12, 24, v6
	v_mov_b32_e32 v13, 0x3b800000
	v_lshlrev_b32_e32 v10, 20, v10
	v_and_b32_e32 v12, 0x80000000, v12
	v_lshl_add_u32 v11, v11, 23, v13
	v_or3_b32 v10, v12, v11, v10
.LBB14_644:
	s_or_b64 exec, exec, s[6:7]
	s_movk_i32 s4, 0x7f
	v_cmp_gt_i16_sdwa s[6:7], v2, s4 src0_sel:BYTE_0 src1_sel:DWORD
	s_mov_b64 s[4:5], 0
                                        ; implicit-def: $sgpr10
	s_and_saveexec_b64 s[8:9], s[6:7]
	s_xor_b64 s[6:7], exec, s[8:9]
	s_cbranch_execnz .LBB14_2693
; %bb.645:
	s_or_saveexec_b64 s[6:7], s[6:7]
	v_mov_b32_e32 v11, s10
	s_xor_b64 exec, exec, s[6:7]
	s_cbranch_execnz .LBB14_2696
.LBB14_646:
	s_or_b64 exec, exec, s[6:7]
	s_and_saveexec_b64 s[6:7], s[4:5]
	s_cbranch_execz .LBB14_648
.LBB14_647:
	v_and_b32_e32 v11, 7, v2
	v_ffbh_u32_e32 v13, v11
	v_min_u32_e32 v13, 32, v13
	v_lshrrev_b16_e32 v12, 3, v2
	v_subrev_u32_e32 v14, 28, v13
	v_and_b32_e32 v12, 15, v12
	v_lshlrev_b32_e32 v14, v14, v2
	v_sub_u32_e32 v13, 29, v13
	v_and_b32_e32 v14, 7, v14
	v_cmp_eq_u16_e32 vcc, 0, v12
	v_cndmask_b32_e32 v11, v11, v14, vcc
	v_cndmask_b32_e32 v12, v12, v13, vcc
	v_lshlrev_b32_e32 v13, 24, v2
	v_mov_b32_e32 v14, 0x3b800000
	v_lshlrev_b32_e32 v11, 20, v11
	v_and_b32_e32 v13, 0x80000000, v13
	v_lshl_add_u32 v12, v12, 23, v14
	v_or3_b32 v11, v13, v12, v11
.LBB14_648:
	s_or_b64 exec, exec, s[6:7]
	s_nop 0
	v_mfma_f32_16x16x4f32 a[0:3], v10, v11, a[0:3]
	v_lshrrev_b32_e32 v11, 8, v6
	s_movk_i32 s4, 0x7f
	v_cmp_gt_i16_sdwa s[6:7], v11, s4 src0_sel:BYTE_0 src1_sel:DWORD
	s_mov_b64 s[4:5], 0
                                        ; implicit-def: $sgpr10
	s_and_saveexec_b64 s[8:9], s[6:7]
	s_xor_b64 s[6:7], exec, s[8:9]
	s_cbranch_execnz .LBB14_2697
; %bb.649:
	s_or_saveexec_b64 s[6:7], s[6:7]
	v_mov_b32_e32 v10, s10
	s_xor_b64 exec, exec, s[6:7]
	s_cbranch_execnz .LBB14_2700
.LBB14_650:
	s_or_b64 exec, exec, s[6:7]
	s_and_saveexec_b64 s[6:7], s[4:5]
	s_cbranch_execz .LBB14_652
.LBB14_651:
	v_bfe_u32 v10, v6, 8, 3
	v_ffbh_u32_e32 v13, v10
	v_min_u32_e32 v13, 32, v13
	v_lshrrev_b16_e32 v12, 3, v11
	v_subrev_u32_e32 v14, 28, v13
	v_and_b32_e32 v12, 15, v12
	v_lshlrev_b32_e32 v11, v14, v11
	v_sub_u32_e32 v13, 29, v13
	v_and_b32_e32 v11, 7, v11
	v_cmp_eq_u16_e32 vcc, 0, v12
	v_cndmask_b32_e32 v10, v10, v11, vcc
	v_cndmask_b32_e32 v11, v12, v13, vcc
	v_lshlrev_b32_e32 v12, 16, v6
	v_mov_b32_e32 v13, 0x3b800000
	v_lshlrev_b32_e32 v10, 20, v10
	v_and_b32_e32 v12, 0x80000000, v12
	v_lshl_add_u32 v11, v11, 23, v13
	v_or3_b32 v10, v12, v11, v10
.LBB14_652:
	s_or_b64 exec, exec, s[6:7]
	v_lshrrev_b32_e32 v11, 8, v2
	s_movk_i32 s4, 0x7f
	v_cmp_gt_i16_sdwa s[6:7], v11, s4 src0_sel:BYTE_0 src1_sel:DWORD
	s_mov_b64 s[4:5], 0
                                        ; implicit-def: $sgpr10
	s_and_saveexec_b64 s[8:9], s[6:7]
	s_xor_b64 s[6:7], exec, s[8:9]
	s_cbranch_execnz .LBB14_2701
; %bb.653:
	s_or_saveexec_b64 s[6:7], s[6:7]
	v_mov_b32_e32 v12, s10
	s_xor_b64 exec, exec, s[6:7]
	s_cbranch_execnz .LBB14_2704
.LBB14_654:
	s_or_b64 exec, exec, s[6:7]
	s_and_saveexec_b64 s[6:7], s[4:5]
	s_cbranch_execz .LBB14_656
.LBB14_655:
	v_bfe_u32 v12, v2, 8, 3
	v_ffbh_u32_e32 v14, v12
	v_min_u32_e32 v14, 32, v14
	v_lshrrev_b16_e32 v13, 3, v11
	v_subrev_u32_e32 v15, 28, v14
	v_and_b32_e32 v13, 15, v13
	v_lshlrev_b32_e32 v11, v15, v11
	v_sub_u32_e32 v14, 29, v14
	v_and_b32_e32 v11, 7, v11
	v_cmp_eq_u16_e32 vcc, 0, v13
	v_cndmask_b32_e32 v11, v12, v11, vcc
	v_cndmask_b32_e32 v12, v13, v14, vcc
	v_lshlrev_b32_e32 v13, 16, v2
	v_mov_b32_e32 v14, 0x3b800000
	v_lshlrev_b32_e32 v11, 20, v11
	v_and_b32_e32 v13, 0x80000000, v13
	v_lshl_add_u32 v12, v12, 23, v14
	v_or3_b32 v12, v13, v12, v11
.LBB14_656:
	s_or_b64 exec, exec, s[6:7]
	s_nop 0
	v_mfma_f32_16x16x4f32 a[0:3], v10, v12, a[0:3]
	s_movk_i32 s4, 0xff
	v_and_b32_sdwa v11, v6, s4 dst_sel:DWORD dst_unused:UNUSED_PAD src0_sel:WORD_1 src1_sel:DWORD
	s_movk_i32 s4, 0x7f
	v_cmp_lt_i16_e32 vcc, s4, v11
	s_mov_b64 s[4:5], 0
                                        ; implicit-def: $sgpr10
	s_and_saveexec_b64 s[6:7], vcc
	s_xor_b64 s[6:7], exec, s[6:7]
	s_cbranch_execnz .LBB14_2705
; %bb.657:
	s_or_saveexec_b64 s[6:7], s[6:7]
	v_mov_b32_e32 v10, s10
	s_xor_b64 exec, exec, s[6:7]
	s_cbranch_execnz .LBB14_2708
.LBB14_658:
	s_or_b64 exec, exec, s[6:7]
	s_and_saveexec_b64 s[6:7], s[4:5]
	s_cbranch_execz .LBB14_660
.LBB14_659:
	v_bfe_u32 v10, v6, 16, 3
	v_ffbh_u32_e32 v13, v10
	v_min_u32_e32 v13, 32, v13
	v_lshrrev_b32_e32 v11, 19, v6
	v_subrev_u32_e32 v14, 28, v13
	v_and_b32_e32 v11, 15, v11
	v_lshlrev_b32_sdwa v14, v14, v6 dst_sel:DWORD dst_unused:UNUSED_PAD src0_sel:DWORD src1_sel:WORD_1
	v_bfe_u32 v12, v6, 19, 4
	v_sub_u32_e32 v13, 29, v13
	v_and_b32_e32 v14, 7, v14
	v_cmp_eq_u16_e32 vcc, 0, v11
	v_cndmask_b32_e32 v10, v10, v14, vcc
	v_cndmask_b32_e32 v11, v12, v13, vcc
	v_lshlrev_b32_e32 v12, 8, v6
	v_mov_b32_e32 v13, 0x3b800000
	v_lshlrev_b32_e32 v10, 20, v10
	v_and_b32_e32 v12, 0x80000000, v12
	v_lshl_add_u32 v11, v11, 23, v13
	v_or3_b32 v10, v12, v11, v10
.LBB14_660:
	s_or_b64 exec, exec, s[6:7]
	s_movk_i32 s4, 0xff
	v_and_b32_sdwa v11, v2, s4 dst_sel:DWORD dst_unused:UNUSED_PAD src0_sel:WORD_1 src1_sel:DWORD
	s_movk_i32 s4, 0x7f
	v_cmp_lt_i16_e32 vcc, s4, v11
	s_mov_b64 s[4:5], 0
                                        ; implicit-def: $sgpr10
	s_and_saveexec_b64 s[6:7], vcc
	s_xor_b64 s[6:7], exec, s[6:7]
	s_cbranch_execnz .LBB14_2709
; %bb.661:
	s_or_saveexec_b64 s[6:7], s[6:7]
	v_mov_b32_e32 v12, s10
	s_xor_b64 exec, exec, s[6:7]
	s_cbranch_execnz .LBB14_2712
.LBB14_662:
	s_or_b64 exec, exec, s[6:7]
	s_and_saveexec_b64 s[6:7], s[4:5]
	s_cbranch_execz .LBB14_664
.LBB14_663:
	v_bfe_u32 v11, v2, 16, 3
	v_ffbh_u32_e32 v14, v11
	v_min_u32_e32 v14, 32, v14
	v_lshrrev_b32_e32 v12, 19, v2
	v_subrev_u32_e32 v15, 28, v14
	v_and_b32_e32 v12, 15, v12
	v_lshlrev_b32_sdwa v15, v15, v2 dst_sel:DWORD dst_unused:UNUSED_PAD src0_sel:DWORD src1_sel:WORD_1
	v_bfe_u32 v13, v2, 19, 4
	v_sub_u32_e32 v14, 29, v14
	v_and_b32_e32 v15, 7, v15
	v_cmp_eq_u16_e32 vcc, 0, v12
	v_cndmask_b32_e32 v11, v11, v15, vcc
	v_cndmask_b32_e32 v12, v13, v14, vcc
	v_lshlrev_b32_e32 v13, 8, v2
	v_mov_b32_e32 v14, 0x3b800000
	v_lshlrev_b32_e32 v11, 20, v11
	v_and_b32_e32 v13, 0x80000000, v13
	v_lshl_add_u32 v12, v12, 23, v14
	v_or3_b32 v12, v13, v12, v11
.LBB14_664:
	s_or_b64 exec, exec, s[6:7]
	s_nop 0
	v_mfma_f32_16x16x4f32 a[0:3], v10, v12, a[0:3]
	s_movk_i32 s4, 0x7f
	v_cmp_gt_i16_sdwa s[6:7], v6, s4 src0_sel:BYTE_3 src1_sel:DWORD
	s_mov_b64 s[4:5], 0
                                        ; implicit-def: $sgpr10
	s_and_saveexec_b64 s[8:9], s[6:7]
	s_xor_b64 s[6:7], exec, s[8:9]
	s_cbranch_execnz .LBB14_2713
; %bb.665:
	s_or_saveexec_b64 s[6:7], s[6:7]
	v_mov_b32_e32 v10, s10
	s_xor_b64 exec, exec, s[6:7]
	s_cbranch_execnz .LBB14_2716
.LBB14_666:
	s_or_b64 exec, exec, s[6:7]
	s_and_saveexec_b64 s[6:7], s[4:5]
	s_cbranch_execz .LBB14_668
.LBB14_667:
	v_bfe_u32 v10, v6, 24, 3
	v_ffbh_u32_e32 v14, v10
	v_min_u32_e32 v14, 32, v14
	v_lshrrev_b32_e32 v12, 27, v6
	v_subrev_u32_e32 v15, 28, v14
	v_and_b32_e32 v11, 0x80000000, v6
	v_and_b32_e32 v12, 15, v12
	v_bfe_u32 v13, v6, 27, 4
	v_lshlrev_b32_sdwa v6, v15, v6 dst_sel:DWORD dst_unused:UNUSED_PAD src0_sel:DWORD src1_sel:BYTE_3
	v_sub_u32_e32 v14, 29, v14
	v_and_b32_e32 v6, 7, v6
	v_cmp_eq_u16_e32 vcc, 0, v12
	v_cndmask_b32_e32 v6, v10, v6, vcc
	v_cndmask_b32_e32 v10, v13, v14, vcc
	v_mov_b32_e32 v12, 0x3b800000
	v_lshlrev_b32_e32 v6, 20, v6
	v_lshl_add_u32 v10, v10, 23, v12
	v_or3_b32 v10, v11, v10, v6
.LBB14_668:
	s_or_b64 exec, exec, s[6:7]
	s_movk_i32 s4, 0x7f
	v_cmp_gt_i16_sdwa s[6:7], v2, s4 src0_sel:BYTE_3 src1_sel:DWORD
	s_mov_b64 s[4:5], 0
                                        ; implicit-def: $sgpr10
	s_and_saveexec_b64 s[8:9], s[6:7]
	s_xor_b64 s[6:7], exec, s[8:9]
	s_cbranch_execnz .LBB14_2717
; %bb.669:
	s_or_saveexec_b64 s[6:7], s[6:7]
	v_mov_b32_e32 v6, s10
	s_xor_b64 exec, exec, s[6:7]
	s_cbranch_execnz .LBB14_2720
.LBB14_670:
	s_or_b64 exec, exec, s[6:7]
	s_and_saveexec_b64 s[6:7], s[4:5]
	s_cbranch_execz .LBB14_672
.LBB14_671:
	v_bfe_u32 v6, v2, 24, 3
	v_ffbh_u32_e32 v14, v6
	v_min_u32_e32 v14, 32, v14
	v_lshrrev_b32_e32 v12, 27, v2
	v_subrev_u32_e32 v15, 28, v14
	v_and_b32_e32 v11, 0x80000000, v2
	v_and_b32_e32 v12, 15, v12
	v_bfe_u32 v13, v2, 27, 4
	v_lshlrev_b32_sdwa v2, v15, v2 dst_sel:DWORD dst_unused:UNUSED_PAD src0_sel:DWORD src1_sel:BYTE_3
	v_sub_u32_e32 v14, 29, v14
	v_and_b32_e32 v2, 7, v2
	v_cmp_eq_u16_e32 vcc, 0, v12
	v_cndmask_b32_e32 v2, v6, v2, vcc
	v_cndmask_b32_e32 v6, v13, v14, vcc
	v_mov_b32_e32 v12, 0x3b800000
	v_lshlrev_b32_e32 v2, 20, v2
	v_lshl_add_u32 v6, v6, 23, v12
	v_or3_b32 v6, v11, v6, v2
.LBB14_672:
	s_or_b64 exec, exec, s[6:7]
	s_nop 0
	v_mfma_f32_16x16x4f32 a[0:3], v10, v6, a[0:3]
	s_movk_i32 s4, 0x7f
	v_cmp_gt_i16_sdwa s[6:7], v7, s4 src0_sel:BYTE_0 src1_sel:DWORD
	s_mov_b64 s[4:5], 0
                                        ; implicit-def: $sgpr10
	s_and_saveexec_b64 s[8:9], s[6:7]
	s_xor_b64 s[6:7], exec, s[8:9]
	s_cbranch_execnz .LBB14_2721
; %bb.673:
	s_or_saveexec_b64 s[6:7], s[6:7]
	v_mov_b32_e32 v2, s10
	s_xor_b64 exec, exec, s[6:7]
	s_cbranch_execnz .LBB14_2724
.LBB14_674:
	s_or_b64 exec, exec, s[6:7]
	s_and_saveexec_b64 s[6:7], s[4:5]
	s_cbranch_execz .LBB14_676
.LBB14_675:
	v_and_b32_e32 v2, 7, v7
	v_ffbh_u32_e32 v10, v2
	v_min_u32_e32 v10, 32, v10
	v_lshrrev_b16_e32 v6, 3, v7
	v_subrev_u32_e32 v11, 28, v10
	v_and_b32_e32 v6, 15, v6
	v_lshlrev_b32_e32 v11, v11, v7
	v_sub_u32_e32 v10, 29, v10
	v_and_b32_e32 v11, 7, v11
	v_cmp_eq_u16_e32 vcc, 0, v6
	v_cndmask_b32_e32 v2, v2, v11, vcc
	v_cndmask_b32_e32 v6, v6, v10, vcc
	v_lshlrev_b32_e32 v10, 24, v7
	v_mov_b32_e32 v11, 0x3b800000
	v_lshlrev_b32_e32 v2, 20, v2
	v_and_b32_e32 v10, 0x80000000, v10
	v_lshl_add_u32 v6, v6, 23, v11
	v_or3_b32 v2, v10, v6, v2
.LBB14_676:
	s_or_b64 exec, exec, s[6:7]
	s_movk_i32 s4, 0x7f
	v_cmp_gt_i16_sdwa s[6:7], v3, s4 src0_sel:BYTE_0 src1_sel:DWORD
	s_mov_b64 s[4:5], 0
                                        ; implicit-def: $sgpr10
	s_and_saveexec_b64 s[8:9], s[6:7]
	s_xor_b64 s[6:7], exec, s[8:9]
	s_cbranch_execnz .LBB14_2725
; %bb.677:
	s_or_saveexec_b64 s[6:7], s[6:7]
	v_mov_b32_e32 v6, s10
	s_xor_b64 exec, exec, s[6:7]
	s_cbranch_execnz .LBB14_2728
.LBB14_678:
	s_or_b64 exec, exec, s[6:7]
	s_and_saveexec_b64 s[6:7], s[4:5]
	s_cbranch_execz .LBB14_680
.LBB14_679:
	v_and_b32_e32 v6, 7, v3
	v_ffbh_u32_e32 v11, v6
	v_min_u32_e32 v11, 32, v11
	v_lshrrev_b16_e32 v10, 3, v3
	v_subrev_u32_e32 v12, 28, v11
	v_and_b32_e32 v10, 15, v10
	v_lshlrev_b32_e32 v12, v12, v3
	v_sub_u32_e32 v11, 29, v11
	v_and_b32_e32 v12, 7, v12
	v_cmp_eq_u16_e32 vcc, 0, v10
	v_cndmask_b32_e32 v6, v6, v12, vcc
	v_cndmask_b32_e32 v10, v10, v11, vcc
	v_lshlrev_b32_e32 v11, 24, v3
	v_mov_b32_e32 v12, 0x3b800000
	v_lshlrev_b32_e32 v6, 20, v6
	v_and_b32_e32 v11, 0x80000000, v11
	v_lshl_add_u32 v10, v10, 23, v12
	v_or3_b32 v6, v11, v10, v6
.LBB14_680:
	s_or_b64 exec, exec, s[6:7]
	s_nop 0
	v_mfma_f32_16x16x4f32 a[0:3], v2, v6, a[0:3]
	v_lshrrev_b32_e32 v6, 8, v7
	s_movk_i32 s4, 0x7f
	v_cmp_gt_i16_sdwa s[6:7], v6, s4 src0_sel:BYTE_0 src1_sel:DWORD
	s_mov_b64 s[4:5], 0
                                        ; implicit-def: $sgpr10
	s_and_saveexec_b64 s[8:9], s[6:7]
	s_xor_b64 s[6:7], exec, s[8:9]
	s_cbranch_execnz .LBB14_2729
; %bb.681:
	s_or_saveexec_b64 s[6:7], s[6:7]
	v_mov_b32_e32 v2, s10
	s_xor_b64 exec, exec, s[6:7]
	s_cbranch_execnz .LBB14_2732
.LBB14_682:
	s_or_b64 exec, exec, s[6:7]
	s_and_saveexec_b64 s[6:7], s[4:5]
	s_cbranch_execz .LBB14_684
.LBB14_683:
	v_bfe_u32 v2, v7, 8, 3
	v_ffbh_u32_e32 v11, v2
	v_min_u32_e32 v11, 32, v11
	v_lshrrev_b16_e32 v10, 3, v6
	v_subrev_u32_e32 v12, 28, v11
	v_and_b32_e32 v10, 15, v10
	v_lshlrev_b32_e32 v6, v12, v6
	v_sub_u32_e32 v11, 29, v11
	v_and_b32_e32 v6, 7, v6
	v_cmp_eq_u16_e32 vcc, 0, v10
	v_cndmask_b32_e32 v2, v2, v6, vcc
	v_cndmask_b32_e32 v6, v10, v11, vcc
	v_lshlrev_b32_e32 v10, 16, v7
	v_mov_b32_e32 v11, 0x3b800000
	v_lshlrev_b32_e32 v2, 20, v2
	v_and_b32_e32 v10, 0x80000000, v10
	v_lshl_add_u32 v6, v6, 23, v11
	v_or3_b32 v2, v10, v6, v2
.LBB14_684:
	s_or_b64 exec, exec, s[6:7]
	v_lshrrev_b32_e32 v6, 8, v3
	s_movk_i32 s4, 0x7f
	v_cmp_gt_i16_sdwa s[6:7], v6, s4 src0_sel:BYTE_0 src1_sel:DWORD
	s_mov_b64 s[4:5], 0
                                        ; implicit-def: $sgpr10
	s_and_saveexec_b64 s[8:9], s[6:7]
	s_xor_b64 s[6:7], exec, s[8:9]
	s_cbranch_execnz .LBB14_2733
; %bb.685:
	s_or_saveexec_b64 s[6:7], s[6:7]
	v_mov_b32_e32 v10, s10
	s_xor_b64 exec, exec, s[6:7]
	s_cbranch_execnz .LBB14_2736
.LBB14_686:
	s_or_b64 exec, exec, s[6:7]
	s_and_saveexec_b64 s[6:7], s[4:5]
	s_cbranch_execz .LBB14_688
.LBB14_687:
	v_bfe_u32 v10, v3, 8, 3
	v_ffbh_u32_e32 v12, v10
	v_min_u32_e32 v12, 32, v12
	v_lshrrev_b16_e32 v11, 3, v6
	v_subrev_u32_e32 v13, 28, v12
	v_and_b32_e32 v11, 15, v11
	v_lshlrev_b32_e32 v6, v13, v6
	v_sub_u32_e32 v12, 29, v12
	v_and_b32_e32 v6, 7, v6
	v_cmp_eq_u16_e32 vcc, 0, v11
	v_cndmask_b32_e32 v6, v10, v6, vcc
	v_cndmask_b32_e32 v10, v11, v12, vcc
	v_lshlrev_b32_e32 v11, 16, v3
	v_mov_b32_e32 v12, 0x3b800000
	v_lshlrev_b32_e32 v6, 20, v6
	v_and_b32_e32 v11, 0x80000000, v11
	v_lshl_add_u32 v10, v10, 23, v12
	v_or3_b32 v10, v11, v10, v6
.LBB14_688:
	s_or_b64 exec, exec, s[6:7]
	s_nop 0
	v_mfma_f32_16x16x4f32 a[0:3], v2, v10, a[0:3]
	s_movk_i32 s4, 0xff
	v_and_b32_sdwa v6, v7, s4 dst_sel:DWORD dst_unused:UNUSED_PAD src0_sel:WORD_1 src1_sel:DWORD
	s_movk_i32 s4, 0x7f
	v_cmp_lt_i16_e32 vcc, s4, v6
	s_mov_b64 s[4:5], 0
                                        ; implicit-def: $sgpr10
	s_and_saveexec_b64 s[6:7], vcc
	s_xor_b64 s[6:7], exec, s[6:7]
	s_cbranch_execnz .LBB14_2737
; %bb.689:
	s_or_saveexec_b64 s[6:7], s[6:7]
	v_mov_b32_e32 v2, s10
	s_xor_b64 exec, exec, s[6:7]
	s_cbranch_execnz .LBB14_2740
.LBB14_690:
	s_or_b64 exec, exec, s[6:7]
	s_and_saveexec_b64 s[6:7], s[4:5]
	s_cbranch_execz .LBB14_692
.LBB14_691:
	v_bfe_u32 v2, v7, 16, 3
	v_ffbh_u32_e32 v11, v2
	v_min_u32_e32 v11, 32, v11
	v_lshrrev_b32_e32 v6, 19, v7
	v_subrev_u32_e32 v12, 28, v11
	v_and_b32_e32 v6, 15, v6
	v_lshlrev_b32_sdwa v12, v12, v7 dst_sel:DWORD dst_unused:UNUSED_PAD src0_sel:DWORD src1_sel:WORD_1
	v_bfe_u32 v10, v7, 19, 4
	v_sub_u32_e32 v11, 29, v11
	v_and_b32_e32 v12, 7, v12
	v_cmp_eq_u16_e32 vcc, 0, v6
	v_cndmask_b32_e32 v2, v2, v12, vcc
	v_cndmask_b32_e32 v6, v10, v11, vcc
	v_lshlrev_b32_e32 v10, 8, v7
	v_mov_b32_e32 v11, 0x3b800000
	v_lshlrev_b32_e32 v2, 20, v2
	v_and_b32_e32 v10, 0x80000000, v10
	v_lshl_add_u32 v6, v6, 23, v11
	v_or3_b32 v2, v10, v6, v2
.LBB14_692:
	s_or_b64 exec, exec, s[6:7]
	s_movk_i32 s4, 0xff
	v_and_b32_sdwa v6, v3, s4 dst_sel:DWORD dst_unused:UNUSED_PAD src0_sel:WORD_1 src1_sel:DWORD
	s_movk_i32 s4, 0x7f
	v_cmp_lt_i16_e32 vcc, s4, v6
	s_mov_b64 s[4:5], 0
                                        ; implicit-def: $sgpr10
	s_and_saveexec_b64 s[6:7], vcc
	s_xor_b64 s[6:7], exec, s[6:7]
	s_cbranch_execnz .LBB14_2741
; %bb.693:
	s_or_saveexec_b64 s[6:7], s[6:7]
	v_mov_b32_e32 v10, s10
	s_xor_b64 exec, exec, s[6:7]
	s_cbranch_execnz .LBB14_2744
.LBB14_694:
	s_or_b64 exec, exec, s[6:7]
	s_and_saveexec_b64 s[6:7], s[4:5]
	s_cbranch_execz .LBB14_696
.LBB14_695:
	v_bfe_u32 v6, v3, 16, 3
	v_ffbh_u32_e32 v12, v6
	v_min_u32_e32 v12, 32, v12
	v_lshrrev_b32_e32 v10, 19, v3
	v_subrev_u32_e32 v13, 28, v12
	v_and_b32_e32 v10, 15, v10
	v_lshlrev_b32_sdwa v13, v13, v3 dst_sel:DWORD dst_unused:UNUSED_PAD src0_sel:DWORD src1_sel:WORD_1
	v_bfe_u32 v11, v3, 19, 4
	v_sub_u32_e32 v12, 29, v12
	v_and_b32_e32 v13, 7, v13
	v_cmp_eq_u16_e32 vcc, 0, v10
	v_cndmask_b32_e32 v6, v6, v13, vcc
	v_cndmask_b32_e32 v10, v11, v12, vcc
	v_lshlrev_b32_e32 v11, 8, v3
	v_mov_b32_e32 v12, 0x3b800000
	v_lshlrev_b32_e32 v6, 20, v6
	v_and_b32_e32 v11, 0x80000000, v11
	v_lshl_add_u32 v10, v10, 23, v12
	v_or3_b32 v10, v11, v10, v6
.LBB14_696:
	s_or_b64 exec, exec, s[6:7]
	s_nop 0
	v_mfma_f32_16x16x4f32 a[0:3], v2, v10, a[0:3]
	s_movk_i32 s4, 0x7f
	v_cmp_gt_i16_sdwa s[6:7], v7, s4 src0_sel:BYTE_3 src1_sel:DWORD
	s_mov_b64 s[4:5], 0
                                        ; implicit-def: $sgpr10
	s_and_saveexec_b64 s[8:9], s[6:7]
	s_xor_b64 s[6:7], exec, s[8:9]
	s_cbranch_execnz .LBB14_2745
; %bb.697:
	s_or_saveexec_b64 s[6:7], s[6:7]
	v_mov_b32_e32 v2, s10
	s_xor_b64 exec, exec, s[6:7]
	s_cbranch_execnz .LBB14_2748
.LBB14_698:
	s_or_b64 exec, exec, s[6:7]
	s_and_saveexec_b64 s[6:7], s[4:5]
	s_cbranch_execz .LBB14_700
.LBB14_699:
	v_bfe_u32 v2, v7, 24, 3
	v_ffbh_u32_e32 v12, v2
	v_min_u32_e32 v12, 32, v12
	v_lshrrev_b32_e32 v10, 27, v7
	v_subrev_u32_e32 v13, 28, v12
	v_and_b32_e32 v6, 0x80000000, v7
	v_and_b32_e32 v10, 15, v10
	v_bfe_u32 v11, v7, 27, 4
	v_lshlrev_b32_sdwa v7, v13, v7 dst_sel:DWORD dst_unused:UNUSED_PAD src0_sel:DWORD src1_sel:BYTE_3
	v_sub_u32_e32 v12, 29, v12
	v_and_b32_e32 v7, 7, v7
	v_cmp_eq_u16_e32 vcc, 0, v10
	v_cndmask_b32_e32 v2, v2, v7, vcc
	v_cndmask_b32_e32 v7, v11, v12, vcc
	v_mov_b32_e32 v10, 0x3b800000
	v_lshlrev_b32_e32 v2, 20, v2
	v_lshl_add_u32 v7, v7, 23, v10
	v_or3_b32 v2, v6, v7, v2
.LBB14_700:
	s_or_b64 exec, exec, s[6:7]
	s_movk_i32 s4, 0x7f
	v_cmp_gt_i16_sdwa s[6:7], v3, s4 src0_sel:BYTE_3 src1_sel:DWORD
	s_mov_b64 s[4:5], 0
                                        ; implicit-def: $sgpr10
	s_and_saveexec_b64 s[8:9], s[6:7]
	s_xor_b64 s[6:7], exec, s[8:9]
	s_cbranch_execnz .LBB14_2749
; %bb.701:
	s_or_saveexec_b64 s[6:7], s[6:7]
	v_mov_b32_e32 v6, s10
	s_xor_b64 exec, exec, s[6:7]
	s_cbranch_execnz .LBB14_2752
.LBB14_702:
	s_or_b64 exec, exec, s[6:7]
	s_and_saveexec_b64 s[6:7], s[4:5]
	s_cbranch_execz .LBB14_704
.LBB14_703:
	v_bfe_u32 v6, v3, 24, 3
	v_ffbh_u32_e32 v12, v6
	v_min_u32_e32 v12, 32, v12
	v_lshrrev_b32_e32 v10, 27, v3
	v_subrev_u32_e32 v13, 28, v12
	v_and_b32_e32 v7, 0x80000000, v3
	v_and_b32_e32 v10, 15, v10
	v_bfe_u32 v11, v3, 27, 4
	v_lshlrev_b32_sdwa v3, v13, v3 dst_sel:DWORD dst_unused:UNUSED_PAD src0_sel:DWORD src1_sel:BYTE_3
	v_sub_u32_e32 v12, 29, v12
	v_and_b32_e32 v3, 7, v3
	v_cmp_eq_u16_e32 vcc, 0, v10
	v_cndmask_b32_e32 v3, v6, v3, vcc
	v_cndmask_b32_e32 v6, v11, v12, vcc
	v_mov_b32_e32 v10, 0x3b800000
	v_lshlrev_b32_e32 v3, 20, v3
	v_lshl_add_u32 v6, v6, 23, v10
	v_or3_b32 v6, v7, v6, v3
.LBB14_704:
	s_or_b64 exec, exec, s[6:7]
	s_nop 0
	v_mfma_f32_16x16x4f32 a[0:3], v2, v6, a[0:3]
	s_movk_i32 s4, 0x7f
	v_cmp_gt_i16_sdwa s[6:7], v8, s4 src0_sel:BYTE_0 src1_sel:DWORD
	s_mov_b64 s[4:5], 0
                                        ; implicit-def: $sgpr10
	s_and_saveexec_b64 s[8:9], s[6:7]
	s_xor_b64 s[6:7], exec, s[8:9]
	s_cbranch_execnz .LBB14_2753
; %bb.705:
	s_or_saveexec_b64 s[6:7], s[6:7]
	v_mov_b32_e32 v2, s10
	s_xor_b64 exec, exec, s[6:7]
	s_cbranch_execnz .LBB14_2756
.LBB14_706:
	s_or_b64 exec, exec, s[6:7]
	s_and_saveexec_b64 s[6:7], s[4:5]
	s_cbranch_execz .LBB14_708
.LBB14_707:
	v_and_b32_e32 v2, 7, v8
	v_ffbh_u32_e32 v6, v2
	v_min_u32_e32 v6, 32, v6
	v_lshrrev_b16_e32 v3, 3, v8
	v_subrev_u32_e32 v7, 28, v6
	v_and_b32_e32 v3, 15, v3
	v_lshlrev_b32_e32 v7, v7, v8
	v_sub_u32_e32 v6, 29, v6
	v_and_b32_e32 v7, 7, v7
	v_cmp_eq_u16_e32 vcc, 0, v3
	v_cndmask_b32_e32 v2, v2, v7, vcc
	v_cndmask_b32_e32 v3, v3, v6, vcc
	v_lshlrev_b32_e32 v6, 24, v8
	v_mov_b32_e32 v7, 0x3b800000
	v_lshlrev_b32_e32 v2, 20, v2
	v_and_b32_e32 v6, 0x80000000, v6
	v_lshl_add_u32 v3, v3, 23, v7
	v_or3_b32 v2, v6, v3, v2
.LBB14_708:
	s_or_b64 exec, exec, s[6:7]
	s_movk_i32 s4, 0x7f
	v_cmp_gt_i16_sdwa s[6:7], v4, s4 src0_sel:BYTE_0 src1_sel:DWORD
	s_mov_b64 s[4:5], 0
                                        ; implicit-def: $sgpr10
	s_and_saveexec_b64 s[8:9], s[6:7]
	s_xor_b64 s[6:7], exec, s[8:9]
	s_cbranch_execnz .LBB14_2757
; %bb.709:
	s_or_saveexec_b64 s[6:7], s[6:7]
	v_mov_b32_e32 v3, s10
	s_xor_b64 exec, exec, s[6:7]
	s_cbranch_execnz .LBB14_2760
.LBB14_710:
	s_or_b64 exec, exec, s[6:7]
	s_and_saveexec_b64 s[6:7], s[4:5]
	s_cbranch_execz .LBB14_712
.LBB14_711:
	v_and_b32_e32 v3, 7, v4
	v_ffbh_u32_e32 v7, v3
	v_min_u32_e32 v7, 32, v7
	v_lshrrev_b16_e32 v6, 3, v4
	v_subrev_u32_e32 v10, 28, v7
	v_and_b32_e32 v6, 15, v6
	v_lshlrev_b32_e32 v10, v10, v4
	v_sub_u32_e32 v7, 29, v7
	v_and_b32_e32 v10, 7, v10
	v_cmp_eq_u16_e32 vcc, 0, v6
	v_cndmask_b32_e32 v3, v3, v10, vcc
	v_cndmask_b32_e32 v6, v6, v7, vcc
	v_lshlrev_b32_e32 v7, 24, v4
	v_mov_b32_e32 v10, 0x3b800000
	v_lshlrev_b32_e32 v3, 20, v3
	v_and_b32_e32 v7, 0x80000000, v7
	v_lshl_add_u32 v6, v6, 23, v10
	v_or3_b32 v3, v7, v6, v3
.LBB14_712:
	s_or_b64 exec, exec, s[6:7]
	s_nop 0
	v_mfma_f32_16x16x4f32 a[0:3], v2, v3, a[0:3]
	v_lshrrev_b32_e32 v3, 8, v8
	s_movk_i32 s4, 0x7f
	v_cmp_gt_i16_sdwa s[6:7], v3, s4 src0_sel:BYTE_0 src1_sel:DWORD
	s_mov_b64 s[4:5], 0
                                        ; implicit-def: $sgpr10
	s_and_saveexec_b64 s[8:9], s[6:7]
	s_xor_b64 s[6:7], exec, s[8:9]
	s_cbranch_execnz .LBB14_2761
; %bb.713:
	s_or_saveexec_b64 s[6:7], s[6:7]
	v_mov_b32_e32 v2, s10
	s_xor_b64 exec, exec, s[6:7]
	s_cbranch_execnz .LBB14_2764
.LBB14_714:
	s_or_b64 exec, exec, s[6:7]
	s_and_saveexec_b64 s[6:7], s[4:5]
	s_cbranch_execz .LBB14_716
.LBB14_715:
	v_bfe_u32 v2, v8, 8, 3
	v_ffbh_u32_e32 v7, v2
	v_min_u32_e32 v7, 32, v7
	v_lshrrev_b16_e32 v6, 3, v3
	v_subrev_u32_e32 v10, 28, v7
	v_and_b32_e32 v6, 15, v6
	v_lshlrev_b32_e32 v3, v10, v3
	v_sub_u32_e32 v7, 29, v7
	v_and_b32_e32 v3, 7, v3
	v_cmp_eq_u16_e32 vcc, 0, v6
	v_cndmask_b32_e32 v2, v2, v3, vcc
	v_cndmask_b32_e32 v3, v6, v7, vcc
	v_lshlrev_b32_e32 v6, 16, v8
	v_mov_b32_e32 v7, 0x3b800000
	v_lshlrev_b32_e32 v2, 20, v2
	v_and_b32_e32 v6, 0x80000000, v6
	v_lshl_add_u32 v3, v3, 23, v7
	v_or3_b32 v2, v6, v3, v2
.LBB14_716:
	s_or_b64 exec, exec, s[6:7]
	v_lshrrev_b32_e32 v3, 8, v4
	s_movk_i32 s4, 0x7f
	v_cmp_gt_i16_sdwa s[6:7], v3, s4 src0_sel:BYTE_0 src1_sel:DWORD
	s_mov_b64 s[4:5], 0
                                        ; implicit-def: $sgpr10
	s_and_saveexec_b64 s[8:9], s[6:7]
	s_xor_b64 s[6:7], exec, s[8:9]
	s_cbranch_execnz .LBB14_2765
; %bb.717:
	s_or_saveexec_b64 s[6:7], s[6:7]
	v_mov_b32_e32 v6, s10
	s_xor_b64 exec, exec, s[6:7]
	s_cbranch_execnz .LBB14_2768
.LBB14_718:
	s_or_b64 exec, exec, s[6:7]
	s_and_saveexec_b64 s[6:7], s[4:5]
	s_cbranch_execz .LBB14_720
.LBB14_719:
	v_bfe_u32 v6, v4, 8, 3
	v_ffbh_u32_e32 v10, v6
	v_min_u32_e32 v10, 32, v10
	v_lshrrev_b16_e32 v7, 3, v3
	v_subrev_u32_e32 v11, 28, v10
	v_and_b32_e32 v7, 15, v7
	v_lshlrev_b32_e32 v3, v11, v3
	v_sub_u32_e32 v10, 29, v10
	v_and_b32_e32 v3, 7, v3
	v_cmp_eq_u16_e32 vcc, 0, v7
	v_cndmask_b32_e32 v3, v6, v3, vcc
	v_cndmask_b32_e32 v6, v7, v10, vcc
	v_lshlrev_b32_e32 v7, 16, v4
	v_mov_b32_e32 v10, 0x3b800000
	v_lshlrev_b32_e32 v3, 20, v3
	v_and_b32_e32 v7, 0x80000000, v7
	v_lshl_add_u32 v6, v6, 23, v10
	v_or3_b32 v6, v7, v6, v3
.LBB14_720:
	s_or_b64 exec, exec, s[6:7]
	s_nop 0
	v_mfma_f32_16x16x4f32 a[0:3], v2, v6, a[0:3]
	s_movk_i32 s4, 0xff
	v_and_b32_sdwa v3, v8, s4 dst_sel:DWORD dst_unused:UNUSED_PAD src0_sel:WORD_1 src1_sel:DWORD
	s_movk_i32 s4, 0x7f
	v_cmp_lt_i16_e32 vcc, s4, v3
	s_mov_b64 s[4:5], 0
                                        ; implicit-def: $sgpr10
	s_and_saveexec_b64 s[6:7], vcc
	s_xor_b64 s[6:7], exec, s[6:7]
	s_cbranch_execnz .LBB14_2769
; %bb.721:
	s_or_saveexec_b64 s[6:7], s[6:7]
	v_mov_b32_e32 v2, s10
	s_xor_b64 exec, exec, s[6:7]
	s_cbranch_execnz .LBB14_2772
.LBB14_722:
	s_or_b64 exec, exec, s[6:7]
	s_and_saveexec_b64 s[6:7], s[4:5]
	s_cbranch_execz .LBB14_724
.LBB14_723:
	v_bfe_u32 v2, v8, 16, 3
	v_ffbh_u32_e32 v7, v2
	v_min_u32_e32 v7, 32, v7
	v_lshrrev_b32_e32 v3, 19, v8
	v_subrev_u32_e32 v10, 28, v7
	v_and_b32_e32 v3, 15, v3
	v_lshlrev_b32_sdwa v10, v10, v8 dst_sel:DWORD dst_unused:UNUSED_PAD src0_sel:DWORD src1_sel:WORD_1
	v_bfe_u32 v6, v8, 19, 4
	v_sub_u32_e32 v7, 29, v7
	v_and_b32_e32 v10, 7, v10
	v_cmp_eq_u16_e32 vcc, 0, v3
	v_cndmask_b32_e32 v2, v2, v10, vcc
	v_cndmask_b32_e32 v3, v6, v7, vcc
	v_lshlrev_b32_e32 v6, 8, v8
	v_mov_b32_e32 v7, 0x3b800000
	v_lshlrev_b32_e32 v2, 20, v2
	v_and_b32_e32 v6, 0x80000000, v6
	v_lshl_add_u32 v3, v3, 23, v7
	v_or3_b32 v2, v6, v3, v2
.LBB14_724:
	s_or_b64 exec, exec, s[6:7]
	s_movk_i32 s4, 0xff
	v_and_b32_sdwa v3, v4, s4 dst_sel:DWORD dst_unused:UNUSED_PAD src0_sel:WORD_1 src1_sel:DWORD
	s_movk_i32 s4, 0x7f
	v_cmp_lt_i16_e32 vcc, s4, v3
	s_mov_b64 s[4:5], 0
                                        ; implicit-def: $sgpr10
	s_and_saveexec_b64 s[6:7], vcc
	s_xor_b64 s[6:7], exec, s[6:7]
	s_cbranch_execnz .LBB14_2773
; %bb.725:
	s_or_saveexec_b64 s[6:7], s[6:7]
	v_mov_b32_e32 v6, s10
	s_xor_b64 exec, exec, s[6:7]
	s_cbranch_execnz .LBB14_2776
.LBB14_726:
	s_or_b64 exec, exec, s[6:7]
	s_and_saveexec_b64 s[6:7], s[4:5]
	s_cbranch_execz .LBB14_728
.LBB14_727:
	v_bfe_u32 v3, v4, 16, 3
	v_ffbh_u32_e32 v10, v3
	v_min_u32_e32 v10, 32, v10
	v_lshrrev_b32_e32 v6, 19, v4
	v_subrev_u32_e32 v11, 28, v10
	v_and_b32_e32 v6, 15, v6
	v_lshlrev_b32_sdwa v11, v11, v4 dst_sel:DWORD dst_unused:UNUSED_PAD src0_sel:DWORD src1_sel:WORD_1
	v_bfe_u32 v7, v4, 19, 4
	v_sub_u32_e32 v10, 29, v10
	v_and_b32_e32 v11, 7, v11
	v_cmp_eq_u16_e32 vcc, 0, v6
	v_cndmask_b32_e32 v3, v3, v11, vcc
	v_cndmask_b32_e32 v6, v7, v10, vcc
	v_lshlrev_b32_e32 v7, 8, v4
	v_mov_b32_e32 v10, 0x3b800000
	v_lshlrev_b32_e32 v3, 20, v3
	v_and_b32_e32 v7, 0x80000000, v7
	v_lshl_add_u32 v6, v6, 23, v10
	v_or3_b32 v6, v7, v6, v3
.LBB14_728:
	s_or_b64 exec, exec, s[6:7]
	s_nop 0
	v_mfma_f32_16x16x4f32 a[0:3], v2, v6, a[0:3]
	s_movk_i32 s4, 0x7f
	v_cmp_gt_i16_sdwa s[6:7], v8, s4 src0_sel:BYTE_3 src1_sel:DWORD
	s_mov_b64 s[4:5], 0
                                        ; implicit-def: $sgpr10
	s_and_saveexec_b64 s[8:9], s[6:7]
	s_xor_b64 s[6:7], exec, s[8:9]
	s_cbranch_execnz .LBB14_2777
; %bb.729:
	s_or_saveexec_b64 s[6:7], s[6:7]
	v_mov_b32_e32 v2, s10
	s_xor_b64 exec, exec, s[6:7]
	s_cbranch_execnz .LBB14_2780
.LBB14_730:
	s_or_b64 exec, exec, s[6:7]
	s_and_saveexec_b64 s[6:7], s[4:5]
	s_cbranch_execz .LBB14_732
.LBB14_731:
	v_bfe_u32 v2, v8, 24, 3
	v_ffbh_u32_e32 v10, v2
	v_min_u32_e32 v10, 32, v10
	v_lshrrev_b32_e32 v6, 27, v8
	v_subrev_u32_e32 v11, 28, v10
	v_and_b32_e32 v3, 0x80000000, v8
	v_and_b32_e32 v6, 15, v6
	v_bfe_u32 v7, v8, 27, 4
	v_lshlrev_b32_sdwa v8, v11, v8 dst_sel:DWORD dst_unused:UNUSED_PAD src0_sel:DWORD src1_sel:BYTE_3
	v_sub_u32_e32 v10, 29, v10
	v_and_b32_e32 v8, 7, v8
	v_cmp_eq_u16_e32 vcc, 0, v6
	v_cndmask_b32_e32 v2, v2, v8, vcc
	v_cndmask_b32_e32 v6, v7, v10, vcc
	v_mov_b32_e32 v7, 0x3b800000
	v_lshlrev_b32_e32 v2, 20, v2
	v_lshl_add_u32 v6, v6, 23, v7
	v_or3_b32 v2, v3, v6, v2
.LBB14_732:
	s_or_b64 exec, exec, s[6:7]
	s_movk_i32 s4, 0x7f
	v_cmp_gt_i16_sdwa s[6:7], v4, s4 src0_sel:BYTE_3 src1_sel:DWORD
	s_mov_b64 s[4:5], 0
                                        ; implicit-def: $sgpr10
	s_and_saveexec_b64 s[8:9], s[6:7]
	s_xor_b64 s[6:7], exec, s[8:9]
	s_cbranch_execnz .LBB14_2781
; %bb.733:
	s_or_saveexec_b64 s[6:7], s[6:7]
	v_mov_b32_e32 v3, s10
	s_xor_b64 exec, exec, s[6:7]
	s_cbranch_execnz .LBB14_2784
.LBB14_734:
	s_or_b64 exec, exec, s[6:7]
	s_and_saveexec_b64 s[6:7], s[4:5]
	s_cbranch_execz .LBB14_736
.LBB14_735:
	v_bfe_u32 v3, v4, 24, 3
	v_ffbh_u32_e32 v10, v3
	v_min_u32_e32 v10, 32, v10
	v_lshrrev_b32_e32 v7, 27, v4
	v_subrev_u32_e32 v11, 28, v10
	v_and_b32_e32 v6, 0x80000000, v4
	v_and_b32_e32 v7, 15, v7
	v_bfe_u32 v8, v4, 27, 4
	v_lshlrev_b32_sdwa v4, v11, v4 dst_sel:DWORD dst_unused:UNUSED_PAD src0_sel:DWORD src1_sel:BYTE_3
	v_sub_u32_e32 v10, 29, v10
	v_and_b32_e32 v4, 7, v4
	v_cmp_eq_u16_e32 vcc, 0, v7
	v_cndmask_b32_e32 v3, v3, v4, vcc
	v_cndmask_b32_e32 v4, v8, v10, vcc
	v_mov_b32_e32 v7, 0x3b800000
	v_lshlrev_b32_e32 v3, 20, v3
	v_lshl_add_u32 v4, v4, 23, v7
	v_or3_b32 v3, v6, v4, v3
.LBB14_736:
	s_or_b64 exec, exec, s[6:7]
	s_nop 0
	v_mfma_f32_16x16x4f32 a[0:3], v2, v3, a[0:3]
	s_movk_i32 s4, 0x7f
	v_cmp_gt_i16_sdwa s[6:7], v9, s4 src0_sel:BYTE_0 src1_sel:DWORD
	s_mov_b64 s[4:5], 0
                                        ; implicit-def: $sgpr10
	s_and_saveexec_b64 s[8:9], s[6:7]
	s_xor_b64 s[6:7], exec, s[8:9]
	s_cbranch_execnz .LBB14_2785
; %bb.737:
	s_or_saveexec_b64 s[6:7], s[6:7]
	v_mov_b32_e32 v2, s10
	s_xor_b64 exec, exec, s[6:7]
	s_cbranch_execnz .LBB14_2788
.LBB14_738:
	s_or_b64 exec, exec, s[6:7]
	s_and_saveexec_b64 s[6:7], s[4:5]
	s_cbranch_execz .LBB14_740
.LBB14_739:
	v_mov_b32_e32 v2, 8
	v_and_b32_e32 v3, 7, v9
	v_lshrrev_b32_sdwa v2, v2, v9 dst_sel:BYTE_1 dst_unused:UNUSED_PAD src0_sel:DWORD src1_sel:DWORD
	v_ffbh_u32_e32 v4, v3
	v_or_b32_sdwa v2, v9, v2 dst_sel:DWORD dst_unused:UNUSED_PAD src0_sel:BYTE_0 src1_sel:DWORD
	v_min_u32_e32 v4, 32, v4
	v_lshrrev_b16_e32 v2, 3, v2
	v_subrev_u32_e32 v6, 28, v4
	v_and_b32_e32 v2, 15, v2
	v_lshlrev_b32_e32 v6, v6, v9
	v_sub_u32_e32 v4, 29, v4
	v_and_b32_e32 v6, 7, v6
	v_cmp_eq_u16_e32 vcc, 0, v2
	v_cndmask_b32_e32 v3, v3, v6, vcc
	v_cndmask_b32_e32 v2, v2, v4, vcc
	v_lshlrev_b32_e32 v4, 24, v9
	v_mov_b32_e32 v6, 0x3b800000
	v_lshlrev_b32_e32 v3, 20, v3
	v_and_b32_e32 v4, 0x80000000, v4
	v_lshl_add_u32 v2, v2, 23, v6
	v_or3_b32 v2, v4, v2, v3
.LBB14_740:
	s_or_b64 exec, exec, s[6:7]
	s_movk_i32 s4, 0x7f
	v_cmp_gt_i16_sdwa s[6:7], v5, s4 src0_sel:BYTE_0 src1_sel:DWORD
	s_mov_b64 s[4:5], 0
                                        ; implicit-def: $sgpr10
	s_and_saveexec_b64 s[8:9], s[6:7]
	s_xor_b64 s[6:7], exec, s[8:9]
	s_cbranch_execnz .LBB14_2789
; %bb.741:
	s_or_saveexec_b64 s[6:7], s[6:7]
	v_mov_b32_e32 v3, s10
	s_xor_b64 exec, exec, s[6:7]
	s_cbranch_execnz .LBB14_2792
.LBB14_742:
	s_or_b64 exec, exec, s[6:7]
	s_and_saveexec_b64 s[6:7], s[4:5]
	s_cbranch_execz .LBB14_744
.LBB14_743:
	v_mov_b32_e32 v3, 8
	v_and_b32_e32 v4, 7, v5
	v_lshrrev_b32_sdwa v3, v3, v5 dst_sel:BYTE_1 dst_unused:UNUSED_PAD src0_sel:DWORD src1_sel:DWORD
	v_ffbh_u32_e32 v6, v4
	v_or_b32_sdwa v3, v5, v3 dst_sel:DWORD dst_unused:UNUSED_PAD src0_sel:BYTE_0 src1_sel:DWORD
	v_min_u32_e32 v6, 32, v6
	v_lshrrev_b16_e32 v3, 3, v3
	v_subrev_u32_e32 v7, 28, v6
	v_and_b32_e32 v3, 15, v3
	v_lshlrev_b32_e32 v7, v7, v5
	v_sub_u32_e32 v6, 29, v6
	v_and_b32_e32 v7, 7, v7
	v_cmp_eq_u16_e32 vcc, 0, v3
	v_cndmask_b32_e32 v4, v4, v7, vcc
	v_cndmask_b32_e32 v3, v3, v6, vcc
	v_lshlrev_b32_e32 v6, 24, v5
	v_mov_b32_e32 v7, 0x3b800000
	v_lshlrev_b32_e32 v4, 20, v4
	v_and_b32_e32 v6, 0x80000000, v6
	v_lshl_add_u32 v3, v3, 23, v7
	v_or3_b32 v3, v6, v3, v4
.LBB14_744:
	s_or_b64 exec, exec, s[6:7]
	s_nop 0
	v_mfma_f32_16x16x4f32 a[0:3], v2, v3, a[0:3]
	v_lshrrev_b32_e32 v3, 8, v9
	s_movk_i32 s4, 0x7f
	v_cmp_gt_i16_sdwa s[6:7], v3, s4 src0_sel:BYTE_0 src1_sel:DWORD
	s_mov_b64 s[4:5], 0
                                        ; implicit-def: $sgpr10
	s_and_saveexec_b64 s[8:9], s[6:7]
	s_xor_b64 s[6:7], exec, s[8:9]
	s_cbranch_execnz .LBB14_2793
; %bb.745:
	s_or_saveexec_b64 s[6:7], s[6:7]
	v_mov_b32_e32 v2, s10
	s_xor_b64 exec, exec, s[6:7]
	s_cbranch_execnz .LBB14_2796
.LBB14_746:
	s_or_b64 exec, exec, s[6:7]
	s_and_saveexec_b64 s[6:7], s[4:5]
	s_cbranch_execz .LBB14_748
.LBB14_747:
	v_bfe_u32 v2, v9, 8, 3
	v_ffbh_u32_e32 v6, v2
	v_min_u32_e32 v6, 32, v6
	v_lshrrev_b16_e32 v4, 3, v3
	v_subrev_u32_e32 v7, 28, v6
	v_and_b32_e32 v4, 15, v4
	v_lshlrev_b32_e32 v3, v7, v3
	v_sub_u32_e32 v6, 29, v6
	v_and_b32_e32 v3, 7, v3
	v_cmp_eq_u16_e32 vcc, 0, v4
	v_cndmask_b32_e32 v2, v2, v3, vcc
	v_cndmask_b32_e32 v3, v4, v6, vcc
	v_lshlrev_b32_e32 v4, 16, v9
	v_mov_b32_e32 v6, 0x3b800000
	v_lshlrev_b32_e32 v2, 20, v2
	v_and_b32_e32 v4, 0x80000000, v4
	v_lshl_add_u32 v3, v3, 23, v6
	v_or3_b32 v2, v4, v3, v2
.LBB14_748:
	s_or_b64 exec, exec, s[6:7]
	v_lshrrev_b32_e32 v3, 8, v5
	s_movk_i32 s4, 0x7f
	v_cmp_gt_i16_sdwa s[6:7], v3, s4 src0_sel:BYTE_0 src1_sel:DWORD
	s_mov_b64 s[4:5], 0
                                        ; implicit-def: $sgpr10
	s_and_saveexec_b64 s[8:9], s[6:7]
	s_xor_b64 s[6:7], exec, s[8:9]
	s_cbranch_execnz .LBB14_2797
; %bb.749:
	s_or_saveexec_b64 s[6:7], s[6:7]
	v_mov_b32_e32 v4, s10
	s_xor_b64 exec, exec, s[6:7]
	s_cbranch_execnz .LBB14_2800
.LBB14_750:
	s_or_b64 exec, exec, s[6:7]
	s_and_saveexec_b64 s[6:7], s[4:5]
	s_cbranch_execz .LBB14_752
.LBB14_751:
	v_bfe_u32 v4, v5, 8, 3
	v_ffbh_u32_e32 v7, v4
	v_min_u32_e32 v7, 32, v7
	v_lshrrev_b16_e32 v6, 3, v3
	v_subrev_u32_e32 v8, 28, v7
	v_and_b32_e32 v6, 15, v6
	v_lshlrev_b32_e32 v3, v8, v3
	v_sub_u32_e32 v7, 29, v7
	v_and_b32_e32 v3, 7, v3
	v_cmp_eq_u16_e32 vcc, 0, v6
	v_cndmask_b32_e32 v3, v4, v3, vcc
	v_cndmask_b32_e32 v4, v6, v7, vcc
	v_lshlrev_b32_e32 v6, 16, v5
	v_mov_b32_e32 v7, 0x3b800000
	v_lshlrev_b32_e32 v3, 20, v3
	v_and_b32_e32 v6, 0x80000000, v6
	v_lshl_add_u32 v4, v4, 23, v7
	v_or3_b32 v4, v6, v4, v3
.LBB14_752:
	s_or_b64 exec, exec, s[6:7]
	s_nop 0
	v_mfma_f32_16x16x4f32 a[0:3], v2, v4, a[0:3]
	s_movk_i32 s4, 0xff
	v_and_b32_sdwa v3, v9, s4 dst_sel:DWORD dst_unused:UNUSED_PAD src0_sel:WORD_1 src1_sel:DWORD
	s_movk_i32 s4, 0x7f
	v_cmp_lt_i16_e32 vcc, s4, v3
	s_mov_b64 s[4:5], 0
                                        ; implicit-def: $sgpr10
	s_and_saveexec_b64 s[6:7], vcc
	s_xor_b64 s[6:7], exec, s[6:7]
	s_cbranch_execnz .LBB14_2801
; %bb.753:
	s_or_saveexec_b64 s[6:7], s[6:7]
	v_mov_b32_e32 v2, s10
	s_xor_b64 exec, exec, s[6:7]
	s_cbranch_execnz .LBB14_2804
.LBB14_754:
	s_or_b64 exec, exec, s[6:7]
	s_and_saveexec_b64 s[6:7], s[4:5]
	s_cbranch_execz .LBB14_756
.LBB14_755:
	v_bfe_u32 v2, v9, 16, 3
	v_ffbh_u32_e32 v6, v2
	v_min_u32_e32 v6, 32, v6
	v_lshrrev_b32_e32 v3, 19, v9
	v_subrev_u32_e32 v7, 28, v6
	v_and_b32_e32 v3, 15, v3
	v_lshlrev_b32_sdwa v7, v7, v9 dst_sel:DWORD dst_unused:UNUSED_PAD src0_sel:DWORD src1_sel:WORD_1
	v_bfe_u32 v4, v9, 19, 4
	v_sub_u32_e32 v6, 29, v6
	v_and_b32_e32 v7, 7, v7
	v_cmp_eq_u16_e32 vcc, 0, v3
	v_cndmask_b32_e32 v2, v2, v7, vcc
	v_cndmask_b32_e32 v3, v4, v6, vcc
	v_lshlrev_b32_e32 v4, 8, v9
	v_mov_b32_e32 v6, 0x3b800000
	v_lshlrev_b32_e32 v2, 20, v2
	v_and_b32_e32 v4, 0x80000000, v4
	v_lshl_add_u32 v3, v3, 23, v6
	v_or3_b32 v2, v4, v3, v2
.LBB14_756:
	s_or_b64 exec, exec, s[6:7]
	s_movk_i32 s4, 0xff
	v_and_b32_sdwa v3, v5, s4 dst_sel:DWORD dst_unused:UNUSED_PAD src0_sel:WORD_1 src1_sel:DWORD
	s_movk_i32 s4, 0x7f
	v_cmp_lt_i16_e32 vcc, s4, v3
	s_mov_b64 s[4:5], 0
                                        ; implicit-def: $sgpr10
	s_and_saveexec_b64 s[6:7], vcc
	s_xor_b64 s[6:7], exec, s[6:7]
	s_cbranch_execnz .LBB14_2805
; %bb.757:
	s_or_saveexec_b64 s[6:7], s[6:7]
	v_mov_b32_e32 v4, s10
	s_xor_b64 exec, exec, s[6:7]
	s_cbranch_execnz .LBB14_2808
.LBB14_758:
	s_or_b64 exec, exec, s[6:7]
	s_and_saveexec_b64 s[6:7], s[4:5]
	s_cbranch_execz .LBB14_760
.LBB14_759:
	v_bfe_u32 v3, v5, 16, 3
	v_ffbh_u32_e32 v7, v3
	v_min_u32_e32 v7, 32, v7
	v_lshrrev_b32_e32 v4, 19, v5
	v_subrev_u32_e32 v8, 28, v7
	v_and_b32_e32 v4, 15, v4
	v_lshlrev_b32_sdwa v8, v8, v5 dst_sel:DWORD dst_unused:UNUSED_PAD src0_sel:DWORD src1_sel:WORD_1
	v_bfe_u32 v6, v5, 19, 4
	v_sub_u32_e32 v7, 29, v7
	v_and_b32_e32 v8, 7, v8
	v_cmp_eq_u16_e32 vcc, 0, v4
	v_cndmask_b32_e32 v3, v3, v8, vcc
	v_cndmask_b32_e32 v4, v6, v7, vcc
	v_lshlrev_b32_e32 v6, 8, v5
	v_mov_b32_e32 v7, 0x3b800000
	v_lshlrev_b32_e32 v3, 20, v3
	v_and_b32_e32 v6, 0x80000000, v6
	v_lshl_add_u32 v4, v4, 23, v7
	v_or3_b32 v4, v6, v4, v3
.LBB14_760:
	s_or_b64 exec, exec, s[6:7]
	s_nop 0
	v_mfma_f32_16x16x4f32 a[0:3], v2, v4, a[0:3]
	s_movk_i32 s4, 0x7f
	v_cmp_gt_i16_sdwa s[6:7], v9, s4 src0_sel:BYTE_3 src1_sel:DWORD
	s_mov_b64 s[4:5], 0
                                        ; implicit-def: $sgpr10
	s_and_saveexec_b64 s[8:9], s[6:7]
	s_xor_b64 s[6:7], exec, s[8:9]
	s_cbranch_execnz .LBB14_2809
; %bb.761:
	s_or_saveexec_b64 s[6:7], s[6:7]
	v_mov_b32_e32 v2, s10
	s_xor_b64 exec, exec, s[6:7]
	s_cbranch_execnz .LBB14_2812
.LBB14_762:
	s_or_b64 exec, exec, s[6:7]
	s_and_saveexec_b64 s[6:7], s[4:5]
	s_cbranch_execz .LBB14_764
.LBB14_763:
	v_bfe_u32 v2, v9, 24, 3
	v_ffbh_u32_e32 v7, v2
	v_min_u32_e32 v7, 32, v7
	v_lshrrev_b32_e32 v4, 27, v9
	v_subrev_u32_e32 v8, 28, v7
	v_and_b32_e32 v4, 15, v4
	v_lshlrev_b32_sdwa v8, v8, v9 dst_sel:DWORD dst_unused:UNUSED_PAD src0_sel:DWORD src1_sel:BYTE_3
	v_bfe_u32 v6, v9, 27, 4
	v_sub_u32_e32 v7, 29, v7
	v_and_b32_e32 v8, 7, v8
	v_cmp_eq_u16_e32 vcc, 0, v4
	v_cndmask_b32_e32 v2, v2, v8, vcc
	v_cndmask_b32_e32 v4, v6, v7, vcc
	v_mov_b32_e32 v6, 0x3b800000
	v_and_b32_e32 v3, 0x80000000, v9
	v_lshlrev_b32_e32 v2, 20, v2
	v_lshl_add_u32 v4, v4, 23, v6
	v_or3_b32 v2, v3, v4, v2
.LBB14_764:
	s_or_b64 exec, exec, s[6:7]
	s_movk_i32 s4, 0x7f
	v_cmp_gt_i16_sdwa s[6:7], v5, s4 src0_sel:BYTE_3 src1_sel:DWORD
	s_mov_b64 s[4:5], 0
                                        ; implicit-def: $sgpr10
	s_and_saveexec_b64 s[8:9], s[6:7]
	s_xor_b64 s[6:7], exec, s[8:9]
	s_cbranch_execnz .LBB14_2813
; %bb.765:
	s_or_saveexec_b64 s[6:7], s[6:7]
	v_mov_b32_e32 v3, s10
	s_xor_b64 exec, exec, s[6:7]
	s_cbranch_execnz .LBB14_2816
.LBB14_766:
	s_or_b64 exec, exec, s[6:7]
	s_and_saveexec_b64 s[6:7], s[4:5]
	s_cbranch_execz .LBB14_768
.LBB14_767:
	v_bfe_u32 v3, v5, 24, 3
	v_ffbh_u32_e32 v8, v3
	v_min_u32_e32 v8, 32, v8
	v_lshrrev_b32_e32 v6, 27, v5
	v_subrev_u32_e32 v9, 28, v8
	v_and_b32_e32 v4, 0x80000000, v5
	v_and_b32_e32 v6, 15, v6
	v_bfe_u32 v7, v5, 27, 4
	v_lshlrev_b32_sdwa v5, v9, v5 dst_sel:DWORD dst_unused:UNUSED_PAD src0_sel:DWORD src1_sel:BYTE_3
	v_sub_u32_e32 v8, 29, v8
	v_and_b32_e32 v5, 7, v5
	v_cmp_eq_u16_e32 vcc, 0, v6
	v_cndmask_b32_e32 v3, v3, v5, vcc
	v_cndmask_b32_e32 v5, v7, v8, vcc
	v_mov_b32_e32 v6, 0x3b800000
	v_lshlrev_b32_e32 v3, 20, v3
	v_lshl_add_u32 v5, v5, 23, v6
	v_or3_b32 v3, v4, v5, v3
.LBB14_768:
	s_or_b64 exec, exec, s[6:7]
	s_nop 0
	v_mfma_f32_16x16x4f32 a[0:3], v2, v3, a[0:3]
	s_movk_i32 s4, 0x7f
                                        ; implicit-def: $sgpr10
	s_nop 7
	s_nop 1
	flat_store_dwordx4 v[18:19], a[0:3] offset:544
	flat_load_dwordx4 v[20:23], v[0:1] offset:16
	s_nop 0
	flat_load_dwordx2 v[18:19], v[0:1] offset:32
	s_waitcnt vmcnt(0) lgkmcnt(0)
	flat_load_dwordx4 v[14:17], v[20:21]
	flat_load_dwordx4 v[6:9], v[20:21] offset:16
	flat_load_dwordx4 v[10:13], v[22:23] offset:352
	;; [unrolled: 1-line block ×3, first 2 shown]
	s_waitcnt vmcnt(0) lgkmcnt(0)
	v_cmp_gt_i16_sdwa s[6:7], v14, s4 src0_sel:BYTE_0 src1_sel:DWORD
	s_mov_b64 s[4:5], 0
	s_and_saveexec_b64 s[8:9], s[6:7]
	s_xor_b64 s[6:7], exec, s[8:9]
	s_cbranch_execnz .LBB14_2817
; %bb.769:
	s_or_saveexec_b64 s[6:7], s[6:7]
	v_mov_b32_e32 v20, s10
	s_xor_b64 exec, exec, s[6:7]
	s_cbranch_execnz .LBB14_2820
.LBB14_770:
	s_or_b64 exec, exec, s[6:7]
	s_and_saveexec_b64 s[6:7], s[4:5]
	s_cbranch_execz .LBB14_772
.LBB14_771:
	v_and_b32_e32 v20, 7, v14
	v_ffbh_u32_e32 v22, v20
	v_min_u32_e32 v22, 32, v22
	v_lshrrev_b16_e32 v21, 3, v14
	v_subrev_u32_e32 v23, 28, v22
	v_and_b32_e32 v21, 15, v21
	v_lshlrev_b32_e32 v23, v23, v14
	v_sub_u32_e32 v22, 29, v22
	v_and_b32_e32 v23, 7, v23
	v_cmp_eq_u16_e32 vcc, 0, v21
	v_cndmask_b32_e32 v20, v20, v23, vcc
	v_cndmask_b32_e32 v21, v21, v22, vcc
	v_lshlrev_b32_e32 v22, 24, v14
	v_mov_b32_e32 v23, 0x3b800000
	v_lshlrev_b32_e32 v20, 20, v20
	v_and_b32_e32 v22, 0x80000000, v22
	v_lshl_add_u32 v21, v21, 23, v23
	v_or3_b32 v20, v22, v21, v20
.LBB14_772:
	s_or_b64 exec, exec, s[6:7]
	s_movk_i32 s4, 0x7f
	v_cmp_gt_i16_sdwa s[6:7], v10, s4 src0_sel:BYTE_0 src1_sel:DWORD
	s_mov_b64 s[4:5], 0
                                        ; implicit-def: $sgpr10
	s_and_saveexec_b64 s[8:9], s[6:7]
	s_xor_b64 s[6:7], exec, s[8:9]
	s_cbranch_execnz .LBB14_2821
; %bb.773:
	s_or_saveexec_b64 s[6:7], s[6:7]
	v_mov_b32_e32 v21, s10
	s_xor_b64 exec, exec, s[6:7]
	s_cbranch_execnz .LBB14_2824
.LBB14_774:
	s_or_b64 exec, exec, s[6:7]
	s_and_saveexec_b64 s[6:7], s[4:5]
	s_cbranch_execz .LBB14_776
.LBB14_775:
	v_and_b32_e32 v21, 7, v10
	v_ffbh_u32_e32 v23, v21
	v_min_u32_e32 v23, 32, v23
	v_lshrrev_b16_e32 v22, 3, v10
	v_subrev_u32_e32 v24, 28, v23
	v_and_b32_e32 v22, 15, v22
	v_lshlrev_b32_e32 v24, v24, v10
	v_sub_u32_e32 v23, 29, v23
	v_and_b32_e32 v24, 7, v24
	v_cmp_eq_u16_e32 vcc, 0, v22
	v_cndmask_b32_e32 v21, v21, v24, vcc
	v_cndmask_b32_e32 v22, v22, v23, vcc
	v_lshlrev_b32_e32 v23, 24, v10
	v_mov_b32_e32 v24, 0x3b800000
	v_lshlrev_b32_e32 v21, 20, v21
	v_and_b32_e32 v23, 0x80000000, v23
	v_lshl_add_u32 v22, v22, 23, v24
	v_or3_b32 v21, v23, v22, v21
.LBB14_776:
	s_or_b64 exec, exec, s[6:7]
	flat_load_dwordx4 a[0:3], v[18:19] offset:560
	s_movk_i32 s4, 0x7f
                                        ; implicit-def: $sgpr10
	s_waitcnt vmcnt(0) lgkmcnt(0)
	v_mfma_f32_16x16x4f32 a[0:3], v20, v21, a[0:3]
	v_lshrrev_b32_e32 v21, 8, v14
	v_cmp_gt_i16_sdwa s[6:7], v21, s4 src0_sel:BYTE_0 src1_sel:DWORD
	s_mov_b64 s[4:5], 0
	s_and_saveexec_b64 s[8:9], s[6:7]
	s_xor_b64 s[6:7], exec, s[8:9]
	s_cbranch_execnz .LBB14_2825
; %bb.777:
	s_or_saveexec_b64 s[6:7], s[6:7]
	v_mov_b32_e32 v20, s10
	s_xor_b64 exec, exec, s[6:7]
	s_cbranch_execnz .LBB14_2828
.LBB14_778:
	s_or_b64 exec, exec, s[6:7]
	s_and_saveexec_b64 s[6:7], s[4:5]
	s_cbranch_execz .LBB14_780
.LBB14_779:
	v_bfe_u32 v20, v14, 8, 3
	v_ffbh_u32_e32 v23, v20
	v_min_u32_e32 v23, 32, v23
	v_lshrrev_b16_e32 v22, 3, v21
	v_subrev_u32_e32 v24, 28, v23
	v_and_b32_e32 v22, 15, v22
	v_lshlrev_b32_e32 v21, v24, v21
	v_sub_u32_e32 v23, 29, v23
	v_and_b32_e32 v21, 7, v21
	v_cmp_eq_u16_e32 vcc, 0, v22
	v_cndmask_b32_e32 v20, v20, v21, vcc
	v_cndmask_b32_e32 v21, v22, v23, vcc
	v_lshlrev_b32_e32 v22, 16, v14
	v_mov_b32_e32 v23, 0x3b800000
	v_lshlrev_b32_e32 v20, 20, v20
	v_and_b32_e32 v22, 0x80000000, v22
	v_lshl_add_u32 v21, v21, 23, v23
	v_or3_b32 v20, v22, v21, v20
.LBB14_780:
	s_or_b64 exec, exec, s[6:7]
	v_lshrrev_b32_e32 v21, 8, v10
	s_movk_i32 s4, 0x7f
	v_cmp_gt_i16_sdwa s[6:7], v21, s4 src0_sel:BYTE_0 src1_sel:DWORD
	s_mov_b64 s[4:5], 0
                                        ; implicit-def: $sgpr10
	s_and_saveexec_b64 s[8:9], s[6:7]
	s_xor_b64 s[6:7], exec, s[8:9]
	s_cbranch_execnz .LBB14_2829
; %bb.781:
	s_or_saveexec_b64 s[6:7], s[6:7]
	v_mov_b32_e32 v22, s10
	s_xor_b64 exec, exec, s[6:7]
	s_cbranch_execnz .LBB14_2832
.LBB14_782:
	s_or_b64 exec, exec, s[6:7]
	s_and_saveexec_b64 s[6:7], s[4:5]
	s_cbranch_execz .LBB14_784
.LBB14_783:
	v_bfe_u32 v22, v10, 8, 3
	v_ffbh_u32_e32 v24, v22
	v_min_u32_e32 v24, 32, v24
	v_lshrrev_b16_e32 v23, 3, v21
	v_subrev_u32_e32 v25, 28, v24
	v_and_b32_e32 v23, 15, v23
	v_lshlrev_b32_e32 v21, v25, v21
	v_sub_u32_e32 v24, 29, v24
	v_and_b32_e32 v21, 7, v21
	v_cmp_eq_u16_e32 vcc, 0, v23
	v_cndmask_b32_e32 v21, v22, v21, vcc
	v_cndmask_b32_e32 v22, v23, v24, vcc
	v_lshlrev_b32_e32 v23, 16, v10
	v_mov_b32_e32 v24, 0x3b800000
	v_lshlrev_b32_e32 v21, 20, v21
	v_and_b32_e32 v23, 0x80000000, v23
	v_lshl_add_u32 v22, v22, 23, v24
	v_or3_b32 v22, v23, v22, v21
.LBB14_784:
	s_or_b64 exec, exec, s[6:7]
	s_nop 0
	v_mfma_f32_16x16x4f32 a[0:3], v20, v22, a[0:3]
	s_movk_i32 s4, 0xff
	v_and_b32_sdwa v21, v14, s4 dst_sel:DWORD dst_unused:UNUSED_PAD src0_sel:WORD_1 src1_sel:DWORD
	s_movk_i32 s4, 0x7f
	v_cmp_lt_i16_e32 vcc, s4, v21
	s_mov_b64 s[4:5], 0
                                        ; implicit-def: $sgpr10
	s_and_saveexec_b64 s[6:7], vcc
	s_xor_b64 s[6:7], exec, s[6:7]
	s_cbranch_execnz .LBB14_2833
; %bb.785:
	s_or_saveexec_b64 s[6:7], s[6:7]
	v_mov_b32_e32 v20, s10
	s_xor_b64 exec, exec, s[6:7]
	s_cbranch_execnz .LBB14_2836
.LBB14_786:
	s_or_b64 exec, exec, s[6:7]
	s_and_saveexec_b64 s[6:7], s[4:5]
	s_cbranch_execz .LBB14_788
.LBB14_787:
	v_bfe_u32 v20, v14, 16, 3
	v_ffbh_u32_e32 v23, v20
	v_min_u32_e32 v23, 32, v23
	v_lshrrev_b32_e32 v21, 19, v14
	v_subrev_u32_e32 v24, 28, v23
	v_and_b32_e32 v21, 15, v21
	v_lshlrev_b32_sdwa v24, v24, v14 dst_sel:DWORD dst_unused:UNUSED_PAD src0_sel:DWORD src1_sel:WORD_1
	v_bfe_u32 v22, v14, 19, 4
	v_sub_u32_e32 v23, 29, v23
	v_and_b32_e32 v24, 7, v24
	v_cmp_eq_u16_e32 vcc, 0, v21
	v_cndmask_b32_e32 v20, v20, v24, vcc
	v_cndmask_b32_e32 v21, v22, v23, vcc
	v_lshlrev_b32_e32 v22, 8, v14
	v_mov_b32_e32 v23, 0x3b800000
	v_lshlrev_b32_e32 v20, 20, v20
	v_and_b32_e32 v22, 0x80000000, v22
	v_lshl_add_u32 v21, v21, 23, v23
	v_or3_b32 v20, v22, v21, v20
.LBB14_788:
	s_or_b64 exec, exec, s[6:7]
	s_movk_i32 s4, 0xff
	v_and_b32_sdwa v21, v10, s4 dst_sel:DWORD dst_unused:UNUSED_PAD src0_sel:WORD_1 src1_sel:DWORD
	s_movk_i32 s4, 0x7f
	v_cmp_lt_i16_e32 vcc, s4, v21
	s_mov_b64 s[4:5], 0
                                        ; implicit-def: $sgpr10
	s_and_saveexec_b64 s[6:7], vcc
	s_xor_b64 s[6:7], exec, s[6:7]
	s_cbranch_execnz .LBB14_2837
; %bb.789:
	s_or_saveexec_b64 s[6:7], s[6:7]
	v_mov_b32_e32 v22, s10
	s_xor_b64 exec, exec, s[6:7]
	s_cbranch_execnz .LBB14_2840
.LBB14_790:
	s_or_b64 exec, exec, s[6:7]
	s_and_saveexec_b64 s[6:7], s[4:5]
	s_cbranch_execz .LBB14_792
.LBB14_791:
	v_bfe_u32 v21, v10, 16, 3
	v_ffbh_u32_e32 v24, v21
	v_min_u32_e32 v24, 32, v24
	v_lshrrev_b32_e32 v22, 19, v10
	v_subrev_u32_e32 v25, 28, v24
	v_and_b32_e32 v22, 15, v22
	v_lshlrev_b32_sdwa v25, v25, v10 dst_sel:DWORD dst_unused:UNUSED_PAD src0_sel:DWORD src1_sel:WORD_1
	v_bfe_u32 v23, v10, 19, 4
	v_sub_u32_e32 v24, 29, v24
	v_and_b32_e32 v25, 7, v25
	v_cmp_eq_u16_e32 vcc, 0, v22
	v_cndmask_b32_e32 v21, v21, v25, vcc
	v_cndmask_b32_e32 v22, v23, v24, vcc
	v_lshlrev_b32_e32 v23, 8, v10
	v_mov_b32_e32 v24, 0x3b800000
	v_lshlrev_b32_e32 v21, 20, v21
	v_and_b32_e32 v23, 0x80000000, v23
	v_lshl_add_u32 v22, v22, 23, v24
	v_or3_b32 v22, v23, v22, v21
.LBB14_792:
	s_or_b64 exec, exec, s[6:7]
	s_nop 0
	v_mfma_f32_16x16x4f32 a[0:3], v20, v22, a[0:3]
	s_movk_i32 s4, 0x7f
	v_cmp_gt_i16_sdwa s[6:7], v14, s4 src0_sel:BYTE_3 src1_sel:DWORD
	s_mov_b64 s[4:5], 0
                                        ; implicit-def: $sgpr10
	s_and_saveexec_b64 s[8:9], s[6:7]
	s_xor_b64 s[6:7], exec, s[8:9]
	s_cbranch_execnz .LBB14_2841
; %bb.793:
	s_or_saveexec_b64 s[6:7], s[6:7]
	v_mov_b32_e32 v20, s10
	s_xor_b64 exec, exec, s[6:7]
	s_cbranch_execnz .LBB14_2844
.LBB14_794:
	s_or_b64 exec, exec, s[6:7]
	s_and_saveexec_b64 s[6:7], s[4:5]
	s_cbranch_execz .LBB14_796
.LBB14_795:
	v_bfe_u32 v20, v14, 24, 3
	v_ffbh_u32_e32 v24, v20
	v_min_u32_e32 v24, 32, v24
	v_lshrrev_b32_e32 v22, 27, v14
	v_subrev_u32_e32 v25, 28, v24
	v_and_b32_e32 v21, 0x80000000, v14
	v_and_b32_e32 v22, 15, v22
	v_bfe_u32 v23, v14, 27, 4
	v_lshlrev_b32_sdwa v14, v25, v14 dst_sel:DWORD dst_unused:UNUSED_PAD src0_sel:DWORD src1_sel:BYTE_3
	v_sub_u32_e32 v24, 29, v24
	v_and_b32_e32 v14, 7, v14
	v_cmp_eq_u16_e32 vcc, 0, v22
	v_cndmask_b32_e32 v14, v20, v14, vcc
	v_cndmask_b32_e32 v20, v23, v24, vcc
	v_mov_b32_e32 v22, 0x3b800000
	v_lshlrev_b32_e32 v14, 20, v14
	v_lshl_add_u32 v20, v20, 23, v22
	v_or3_b32 v20, v21, v20, v14
.LBB14_796:
	s_or_b64 exec, exec, s[6:7]
	s_movk_i32 s4, 0x7f
	v_cmp_gt_i16_sdwa s[6:7], v10, s4 src0_sel:BYTE_3 src1_sel:DWORD
	s_mov_b64 s[4:5], 0
                                        ; implicit-def: $sgpr10
	s_and_saveexec_b64 s[8:9], s[6:7]
	s_xor_b64 s[6:7], exec, s[8:9]
	s_cbranch_execnz .LBB14_2845
; %bb.797:
	s_or_saveexec_b64 s[6:7], s[6:7]
	v_mov_b32_e32 v14, s10
	s_xor_b64 exec, exec, s[6:7]
	s_cbranch_execnz .LBB14_2848
.LBB14_798:
	s_or_b64 exec, exec, s[6:7]
	s_and_saveexec_b64 s[6:7], s[4:5]
	s_cbranch_execz .LBB14_800
.LBB14_799:
	v_bfe_u32 v14, v10, 24, 3
	v_ffbh_u32_e32 v24, v14
	v_min_u32_e32 v24, 32, v24
	v_lshrrev_b32_e32 v22, 27, v10
	v_subrev_u32_e32 v25, 28, v24
	v_and_b32_e32 v21, 0x80000000, v10
	v_and_b32_e32 v22, 15, v22
	v_bfe_u32 v23, v10, 27, 4
	v_lshlrev_b32_sdwa v10, v25, v10 dst_sel:DWORD dst_unused:UNUSED_PAD src0_sel:DWORD src1_sel:BYTE_3
	v_sub_u32_e32 v24, 29, v24
	v_and_b32_e32 v10, 7, v10
	v_cmp_eq_u16_e32 vcc, 0, v22
	v_cndmask_b32_e32 v10, v14, v10, vcc
	v_cndmask_b32_e32 v14, v23, v24, vcc
	v_mov_b32_e32 v22, 0x3b800000
	v_lshlrev_b32_e32 v10, 20, v10
	v_lshl_add_u32 v14, v14, 23, v22
	v_or3_b32 v14, v21, v14, v10
.LBB14_800:
	s_or_b64 exec, exec, s[6:7]
	s_nop 0
	v_mfma_f32_16x16x4f32 a[0:3], v20, v14, a[0:3]
	s_movk_i32 s4, 0x7f
	v_cmp_gt_i16_sdwa s[6:7], v15, s4 src0_sel:BYTE_0 src1_sel:DWORD
	s_mov_b64 s[4:5], 0
                                        ; implicit-def: $sgpr10
	s_and_saveexec_b64 s[8:9], s[6:7]
	s_xor_b64 s[6:7], exec, s[8:9]
	s_cbranch_execnz .LBB14_2849
; %bb.801:
	s_or_saveexec_b64 s[6:7], s[6:7]
	v_mov_b32_e32 v10, s10
	s_xor_b64 exec, exec, s[6:7]
	s_cbranch_execnz .LBB14_2852
.LBB14_802:
	s_or_b64 exec, exec, s[6:7]
	s_and_saveexec_b64 s[6:7], s[4:5]
	s_cbranch_execz .LBB14_804
.LBB14_803:
	v_and_b32_e32 v10, 7, v15
	v_ffbh_u32_e32 v20, v10
	v_min_u32_e32 v20, 32, v20
	v_lshrrev_b16_e32 v14, 3, v15
	v_subrev_u32_e32 v21, 28, v20
	v_and_b32_e32 v14, 15, v14
	v_lshlrev_b32_e32 v21, v21, v15
	v_sub_u32_e32 v20, 29, v20
	v_and_b32_e32 v21, 7, v21
	v_cmp_eq_u16_e32 vcc, 0, v14
	v_cndmask_b32_e32 v10, v10, v21, vcc
	v_cndmask_b32_e32 v14, v14, v20, vcc
	v_lshlrev_b32_e32 v20, 24, v15
	v_mov_b32_e32 v21, 0x3b800000
	v_lshlrev_b32_e32 v10, 20, v10
	v_and_b32_e32 v20, 0x80000000, v20
	v_lshl_add_u32 v14, v14, 23, v21
	v_or3_b32 v10, v20, v14, v10
.LBB14_804:
	s_or_b64 exec, exec, s[6:7]
	s_movk_i32 s4, 0x7f
	v_cmp_gt_i16_sdwa s[6:7], v11, s4 src0_sel:BYTE_0 src1_sel:DWORD
	s_mov_b64 s[4:5], 0
                                        ; implicit-def: $sgpr10
	s_and_saveexec_b64 s[8:9], s[6:7]
	s_xor_b64 s[6:7], exec, s[8:9]
	s_cbranch_execnz .LBB14_2853
; %bb.805:
	s_or_saveexec_b64 s[6:7], s[6:7]
	v_mov_b32_e32 v14, s10
	s_xor_b64 exec, exec, s[6:7]
	s_cbranch_execnz .LBB14_2856
.LBB14_806:
	s_or_b64 exec, exec, s[6:7]
	s_and_saveexec_b64 s[6:7], s[4:5]
	s_cbranch_execz .LBB14_808
.LBB14_807:
	v_and_b32_e32 v14, 7, v11
	v_ffbh_u32_e32 v21, v14
	v_min_u32_e32 v21, 32, v21
	v_lshrrev_b16_e32 v20, 3, v11
	v_subrev_u32_e32 v22, 28, v21
	v_and_b32_e32 v20, 15, v20
	v_lshlrev_b32_e32 v22, v22, v11
	v_sub_u32_e32 v21, 29, v21
	v_and_b32_e32 v22, 7, v22
	v_cmp_eq_u16_e32 vcc, 0, v20
	v_cndmask_b32_e32 v14, v14, v22, vcc
	v_cndmask_b32_e32 v20, v20, v21, vcc
	v_lshlrev_b32_e32 v21, 24, v11
	v_mov_b32_e32 v22, 0x3b800000
	v_lshlrev_b32_e32 v14, 20, v14
	v_and_b32_e32 v21, 0x80000000, v21
	v_lshl_add_u32 v20, v20, 23, v22
	v_or3_b32 v14, v21, v20, v14
.LBB14_808:
	s_or_b64 exec, exec, s[6:7]
	s_nop 0
	v_mfma_f32_16x16x4f32 a[0:3], v10, v14, a[0:3]
	v_lshrrev_b32_e32 v14, 8, v15
	s_movk_i32 s4, 0x7f
	v_cmp_gt_i16_sdwa s[6:7], v14, s4 src0_sel:BYTE_0 src1_sel:DWORD
	s_mov_b64 s[4:5], 0
                                        ; implicit-def: $sgpr10
	s_and_saveexec_b64 s[8:9], s[6:7]
	s_xor_b64 s[6:7], exec, s[8:9]
	s_cbranch_execnz .LBB14_2857
; %bb.809:
	s_or_saveexec_b64 s[6:7], s[6:7]
	v_mov_b32_e32 v10, s10
	s_xor_b64 exec, exec, s[6:7]
	s_cbranch_execnz .LBB14_2860
.LBB14_810:
	s_or_b64 exec, exec, s[6:7]
	s_and_saveexec_b64 s[6:7], s[4:5]
	s_cbranch_execz .LBB14_812
.LBB14_811:
	v_bfe_u32 v10, v15, 8, 3
	v_ffbh_u32_e32 v21, v10
	v_min_u32_e32 v21, 32, v21
	v_lshrrev_b16_e32 v20, 3, v14
	v_subrev_u32_e32 v22, 28, v21
	v_and_b32_e32 v20, 15, v20
	v_lshlrev_b32_e32 v14, v22, v14
	v_sub_u32_e32 v21, 29, v21
	v_and_b32_e32 v14, 7, v14
	v_cmp_eq_u16_e32 vcc, 0, v20
	v_cndmask_b32_e32 v10, v10, v14, vcc
	v_cndmask_b32_e32 v14, v20, v21, vcc
	v_lshlrev_b32_e32 v20, 16, v15
	v_mov_b32_e32 v21, 0x3b800000
	v_lshlrev_b32_e32 v10, 20, v10
	v_and_b32_e32 v20, 0x80000000, v20
	v_lshl_add_u32 v14, v14, 23, v21
	v_or3_b32 v10, v20, v14, v10
.LBB14_812:
	s_or_b64 exec, exec, s[6:7]
	v_lshrrev_b32_e32 v14, 8, v11
	s_movk_i32 s4, 0x7f
	v_cmp_gt_i16_sdwa s[6:7], v14, s4 src0_sel:BYTE_0 src1_sel:DWORD
	s_mov_b64 s[4:5], 0
                                        ; implicit-def: $sgpr10
	s_and_saveexec_b64 s[8:9], s[6:7]
	s_xor_b64 s[6:7], exec, s[8:9]
	s_cbranch_execnz .LBB14_2861
; %bb.813:
	s_or_saveexec_b64 s[6:7], s[6:7]
	v_mov_b32_e32 v20, s10
	s_xor_b64 exec, exec, s[6:7]
	s_cbranch_execnz .LBB14_2864
.LBB14_814:
	s_or_b64 exec, exec, s[6:7]
	s_and_saveexec_b64 s[6:7], s[4:5]
	s_cbranch_execz .LBB14_816
.LBB14_815:
	v_bfe_u32 v20, v11, 8, 3
	v_ffbh_u32_e32 v22, v20
	v_min_u32_e32 v22, 32, v22
	v_lshrrev_b16_e32 v21, 3, v14
	v_subrev_u32_e32 v23, 28, v22
	v_and_b32_e32 v21, 15, v21
	v_lshlrev_b32_e32 v14, v23, v14
	v_sub_u32_e32 v22, 29, v22
	v_and_b32_e32 v14, 7, v14
	v_cmp_eq_u16_e32 vcc, 0, v21
	v_cndmask_b32_e32 v14, v20, v14, vcc
	v_cndmask_b32_e32 v20, v21, v22, vcc
	v_lshlrev_b32_e32 v21, 16, v11
	v_mov_b32_e32 v22, 0x3b800000
	v_lshlrev_b32_e32 v14, 20, v14
	v_and_b32_e32 v21, 0x80000000, v21
	v_lshl_add_u32 v20, v20, 23, v22
	v_or3_b32 v20, v21, v20, v14
.LBB14_816:
	s_or_b64 exec, exec, s[6:7]
	s_nop 0
	v_mfma_f32_16x16x4f32 a[0:3], v10, v20, a[0:3]
	s_movk_i32 s4, 0xff
	v_and_b32_sdwa v14, v15, s4 dst_sel:DWORD dst_unused:UNUSED_PAD src0_sel:WORD_1 src1_sel:DWORD
	s_movk_i32 s4, 0x7f
	v_cmp_lt_i16_e32 vcc, s4, v14
	s_mov_b64 s[4:5], 0
                                        ; implicit-def: $sgpr10
	s_and_saveexec_b64 s[6:7], vcc
	s_xor_b64 s[6:7], exec, s[6:7]
	s_cbranch_execnz .LBB14_2865
; %bb.817:
	s_or_saveexec_b64 s[6:7], s[6:7]
	v_mov_b32_e32 v10, s10
	s_xor_b64 exec, exec, s[6:7]
	s_cbranch_execnz .LBB14_2868
.LBB14_818:
	s_or_b64 exec, exec, s[6:7]
	s_and_saveexec_b64 s[6:7], s[4:5]
	s_cbranch_execz .LBB14_820
.LBB14_819:
	v_bfe_u32 v10, v15, 16, 3
	v_ffbh_u32_e32 v21, v10
	v_min_u32_e32 v21, 32, v21
	v_lshrrev_b32_e32 v14, 19, v15
	v_subrev_u32_e32 v22, 28, v21
	v_and_b32_e32 v14, 15, v14
	v_lshlrev_b32_sdwa v22, v22, v15 dst_sel:DWORD dst_unused:UNUSED_PAD src0_sel:DWORD src1_sel:WORD_1
	v_bfe_u32 v20, v15, 19, 4
	v_sub_u32_e32 v21, 29, v21
	v_and_b32_e32 v22, 7, v22
	v_cmp_eq_u16_e32 vcc, 0, v14
	v_cndmask_b32_e32 v10, v10, v22, vcc
	v_cndmask_b32_e32 v14, v20, v21, vcc
	v_lshlrev_b32_e32 v20, 8, v15
	v_mov_b32_e32 v21, 0x3b800000
	v_lshlrev_b32_e32 v10, 20, v10
	v_and_b32_e32 v20, 0x80000000, v20
	v_lshl_add_u32 v14, v14, 23, v21
	v_or3_b32 v10, v20, v14, v10
.LBB14_820:
	s_or_b64 exec, exec, s[6:7]
	s_movk_i32 s4, 0xff
	v_and_b32_sdwa v14, v11, s4 dst_sel:DWORD dst_unused:UNUSED_PAD src0_sel:WORD_1 src1_sel:DWORD
	s_movk_i32 s4, 0x7f
	v_cmp_lt_i16_e32 vcc, s4, v14
	s_mov_b64 s[4:5], 0
                                        ; implicit-def: $sgpr10
	s_and_saveexec_b64 s[6:7], vcc
	s_xor_b64 s[6:7], exec, s[6:7]
	s_cbranch_execnz .LBB14_2869
; %bb.821:
	s_or_saveexec_b64 s[6:7], s[6:7]
	v_mov_b32_e32 v20, s10
	s_xor_b64 exec, exec, s[6:7]
	s_cbranch_execnz .LBB14_2872
.LBB14_822:
	s_or_b64 exec, exec, s[6:7]
	s_and_saveexec_b64 s[6:7], s[4:5]
	s_cbranch_execz .LBB14_824
.LBB14_823:
	v_bfe_u32 v14, v11, 16, 3
	v_ffbh_u32_e32 v22, v14
	v_min_u32_e32 v22, 32, v22
	v_lshrrev_b32_e32 v20, 19, v11
	v_subrev_u32_e32 v23, 28, v22
	v_and_b32_e32 v20, 15, v20
	v_lshlrev_b32_sdwa v23, v23, v11 dst_sel:DWORD dst_unused:UNUSED_PAD src0_sel:DWORD src1_sel:WORD_1
	v_bfe_u32 v21, v11, 19, 4
	v_sub_u32_e32 v22, 29, v22
	v_and_b32_e32 v23, 7, v23
	v_cmp_eq_u16_e32 vcc, 0, v20
	v_cndmask_b32_e32 v14, v14, v23, vcc
	v_cndmask_b32_e32 v20, v21, v22, vcc
	v_lshlrev_b32_e32 v21, 8, v11
	v_mov_b32_e32 v22, 0x3b800000
	v_lshlrev_b32_e32 v14, 20, v14
	v_and_b32_e32 v21, 0x80000000, v21
	v_lshl_add_u32 v20, v20, 23, v22
	v_or3_b32 v20, v21, v20, v14
.LBB14_824:
	s_or_b64 exec, exec, s[6:7]
	s_nop 0
	v_mfma_f32_16x16x4f32 a[0:3], v10, v20, a[0:3]
	s_movk_i32 s4, 0x7f
	v_cmp_gt_i16_sdwa s[6:7], v15, s4 src0_sel:BYTE_3 src1_sel:DWORD
	s_mov_b64 s[4:5], 0
                                        ; implicit-def: $sgpr10
	s_and_saveexec_b64 s[8:9], s[6:7]
	s_xor_b64 s[6:7], exec, s[8:9]
	s_cbranch_execnz .LBB14_2873
; %bb.825:
	s_or_saveexec_b64 s[6:7], s[6:7]
	v_mov_b32_e32 v10, s10
	s_xor_b64 exec, exec, s[6:7]
	s_cbranch_execnz .LBB14_2876
.LBB14_826:
	s_or_b64 exec, exec, s[6:7]
	s_and_saveexec_b64 s[6:7], s[4:5]
	s_cbranch_execz .LBB14_828
.LBB14_827:
	v_bfe_u32 v10, v15, 24, 3
	v_ffbh_u32_e32 v22, v10
	v_min_u32_e32 v22, 32, v22
	v_lshrrev_b32_e32 v20, 27, v15
	v_subrev_u32_e32 v23, 28, v22
	v_and_b32_e32 v14, 0x80000000, v15
	v_and_b32_e32 v20, 15, v20
	v_bfe_u32 v21, v15, 27, 4
	v_lshlrev_b32_sdwa v15, v23, v15 dst_sel:DWORD dst_unused:UNUSED_PAD src0_sel:DWORD src1_sel:BYTE_3
	v_sub_u32_e32 v22, 29, v22
	v_and_b32_e32 v15, 7, v15
	v_cmp_eq_u16_e32 vcc, 0, v20
	v_cndmask_b32_e32 v10, v10, v15, vcc
	v_cndmask_b32_e32 v15, v21, v22, vcc
	v_mov_b32_e32 v20, 0x3b800000
	v_lshlrev_b32_e32 v10, 20, v10
	v_lshl_add_u32 v15, v15, 23, v20
	v_or3_b32 v10, v14, v15, v10
.LBB14_828:
	s_or_b64 exec, exec, s[6:7]
	s_movk_i32 s4, 0x7f
	v_cmp_gt_i16_sdwa s[6:7], v11, s4 src0_sel:BYTE_3 src1_sel:DWORD
	s_mov_b64 s[4:5], 0
                                        ; implicit-def: $sgpr10
	s_and_saveexec_b64 s[8:9], s[6:7]
	s_xor_b64 s[6:7], exec, s[8:9]
	s_cbranch_execnz .LBB14_2877
; %bb.829:
	s_or_saveexec_b64 s[6:7], s[6:7]
	v_mov_b32_e32 v14, s10
	s_xor_b64 exec, exec, s[6:7]
	s_cbranch_execnz .LBB14_2880
.LBB14_830:
	s_or_b64 exec, exec, s[6:7]
	s_and_saveexec_b64 s[6:7], s[4:5]
	s_cbranch_execz .LBB14_832
.LBB14_831:
	v_bfe_u32 v14, v11, 24, 3
	v_ffbh_u32_e32 v22, v14
	v_min_u32_e32 v22, 32, v22
	v_lshrrev_b32_e32 v20, 27, v11
	v_subrev_u32_e32 v23, 28, v22
	v_and_b32_e32 v15, 0x80000000, v11
	v_and_b32_e32 v20, 15, v20
	v_bfe_u32 v21, v11, 27, 4
	v_lshlrev_b32_sdwa v11, v23, v11 dst_sel:DWORD dst_unused:UNUSED_PAD src0_sel:DWORD src1_sel:BYTE_3
	v_sub_u32_e32 v22, 29, v22
	v_and_b32_e32 v11, 7, v11
	v_cmp_eq_u16_e32 vcc, 0, v20
	v_cndmask_b32_e32 v11, v14, v11, vcc
	v_cndmask_b32_e32 v14, v21, v22, vcc
	v_mov_b32_e32 v20, 0x3b800000
	v_lshlrev_b32_e32 v11, 20, v11
	v_lshl_add_u32 v14, v14, 23, v20
	v_or3_b32 v14, v15, v14, v11
.LBB14_832:
	s_or_b64 exec, exec, s[6:7]
	s_nop 0
	v_mfma_f32_16x16x4f32 a[0:3], v10, v14, a[0:3]
	s_movk_i32 s4, 0x7f
	v_cmp_gt_i16_sdwa s[6:7], v16, s4 src0_sel:BYTE_0 src1_sel:DWORD
	s_mov_b64 s[4:5], 0
                                        ; implicit-def: $sgpr10
	s_and_saveexec_b64 s[8:9], s[6:7]
	s_xor_b64 s[6:7], exec, s[8:9]
	s_cbranch_execnz .LBB14_2881
; %bb.833:
	s_or_saveexec_b64 s[6:7], s[6:7]
	v_mov_b32_e32 v10, s10
	s_xor_b64 exec, exec, s[6:7]
	s_cbranch_execnz .LBB14_2884
.LBB14_834:
	s_or_b64 exec, exec, s[6:7]
	s_and_saveexec_b64 s[6:7], s[4:5]
	s_cbranch_execz .LBB14_836
.LBB14_835:
	v_and_b32_e32 v10, 7, v16
	v_ffbh_u32_e32 v14, v10
	v_min_u32_e32 v14, 32, v14
	v_lshrrev_b16_e32 v11, 3, v16
	v_subrev_u32_e32 v15, 28, v14
	v_and_b32_e32 v11, 15, v11
	v_lshlrev_b32_e32 v15, v15, v16
	v_sub_u32_e32 v14, 29, v14
	v_and_b32_e32 v15, 7, v15
	v_cmp_eq_u16_e32 vcc, 0, v11
	v_cndmask_b32_e32 v10, v10, v15, vcc
	v_cndmask_b32_e32 v11, v11, v14, vcc
	v_lshlrev_b32_e32 v14, 24, v16
	v_mov_b32_e32 v15, 0x3b800000
	v_lshlrev_b32_e32 v10, 20, v10
	v_and_b32_e32 v14, 0x80000000, v14
	v_lshl_add_u32 v11, v11, 23, v15
	v_or3_b32 v10, v14, v11, v10
.LBB14_836:
	s_or_b64 exec, exec, s[6:7]
	s_movk_i32 s4, 0x7f
	v_cmp_gt_i16_sdwa s[6:7], v12, s4 src0_sel:BYTE_0 src1_sel:DWORD
	s_mov_b64 s[4:5], 0
                                        ; implicit-def: $sgpr10
	s_and_saveexec_b64 s[8:9], s[6:7]
	s_xor_b64 s[6:7], exec, s[8:9]
	s_cbranch_execnz .LBB14_2885
; %bb.837:
	s_or_saveexec_b64 s[6:7], s[6:7]
	v_mov_b32_e32 v11, s10
	s_xor_b64 exec, exec, s[6:7]
	s_cbranch_execnz .LBB14_2888
.LBB14_838:
	s_or_b64 exec, exec, s[6:7]
	s_and_saveexec_b64 s[6:7], s[4:5]
	s_cbranch_execz .LBB14_840
.LBB14_839:
	v_and_b32_e32 v11, 7, v12
	v_ffbh_u32_e32 v15, v11
	v_min_u32_e32 v15, 32, v15
	v_lshrrev_b16_e32 v14, 3, v12
	v_subrev_u32_e32 v20, 28, v15
	v_and_b32_e32 v14, 15, v14
	v_lshlrev_b32_e32 v20, v20, v12
	v_sub_u32_e32 v15, 29, v15
	v_and_b32_e32 v20, 7, v20
	v_cmp_eq_u16_e32 vcc, 0, v14
	v_cndmask_b32_e32 v11, v11, v20, vcc
	v_cndmask_b32_e32 v14, v14, v15, vcc
	v_lshlrev_b32_e32 v15, 24, v12
	v_mov_b32_e32 v20, 0x3b800000
	v_lshlrev_b32_e32 v11, 20, v11
	v_and_b32_e32 v15, 0x80000000, v15
	v_lshl_add_u32 v14, v14, 23, v20
	v_or3_b32 v11, v15, v14, v11
.LBB14_840:
	s_or_b64 exec, exec, s[6:7]
	s_nop 0
	v_mfma_f32_16x16x4f32 a[0:3], v10, v11, a[0:3]
	v_lshrrev_b32_e32 v11, 8, v16
	s_movk_i32 s4, 0x7f
	v_cmp_gt_i16_sdwa s[6:7], v11, s4 src0_sel:BYTE_0 src1_sel:DWORD
	s_mov_b64 s[4:5], 0
                                        ; implicit-def: $sgpr10
	s_and_saveexec_b64 s[8:9], s[6:7]
	s_xor_b64 s[6:7], exec, s[8:9]
	s_cbranch_execnz .LBB14_2889
; %bb.841:
	s_or_saveexec_b64 s[6:7], s[6:7]
	v_mov_b32_e32 v10, s10
	s_xor_b64 exec, exec, s[6:7]
	s_cbranch_execnz .LBB14_2892
.LBB14_842:
	s_or_b64 exec, exec, s[6:7]
	s_and_saveexec_b64 s[6:7], s[4:5]
	s_cbranch_execz .LBB14_844
.LBB14_843:
	v_bfe_u32 v10, v16, 8, 3
	v_ffbh_u32_e32 v15, v10
	v_min_u32_e32 v15, 32, v15
	v_lshrrev_b16_e32 v14, 3, v11
	v_subrev_u32_e32 v20, 28, v15
	v_and_b32_e32 v14, 15, v14
	v_lshlrev_b32_e32 v11, v20, v11
	v_sub_u32_e32 v15, 29, v15
	v_and_b32_e32 v11, 7, v11
	v_cmp_eq_u16_e32 vcc, 0, v14
	v_cndmask_b32_e32 v10, v10, v11, vcc
	v_cndmask_b32_e32 v11, v14, v15, vcc
	v_lshlrev_b32_e32 v14, 16, v16
	v_mov_b32_e32 v15, 0x3b800000
	v_lshlrev_b32_e32 v10, 20, v10
	v_and_b32_e32 v14, 0x80000000, v14
	v_lshl_add_u32 v11, v11, 23, v15
	v_or3_b32 v10, v14, v11, v10
.LBB14_844:
	s_or_b64 exec, exec, s[6:7]
	v_lshrrev_b32_e32 v11, 8, v12
	s_movk_i32 s4, 0x7f
	v_cmp_gt_i16_sdwa s[6:7], v11, s4 src0_sel:BYTE_0 src1_sel:DWORD
	s_mov_b64 s[4:5], 0
                                        ; implicit-def: $sgpr10
	s_and_saveexec_b64 s[8:9], s[6:7]
	s_xor_b64 s[6:7], exec, s[8:9]
	s_cbranch_execnz .LBB14_2893
; %bb.845:
	s_or_saveexec_b64 s[6:7], s[6:7]
	v_mov_b32_e32 v14, s10
	s_xor_b64 exec, exec, s[6:7]
	s_cbranch_execnz .LBB14_2896
.LBB14_846:
	s_or_b64 exec, exec, s[6:7]
	s_and_saveexec_b64 s[6:7], s[4:5]
	s_cbranch_execz .LBB14_848
.LBB14_847:
	v_bfe_u32 v14, v12, 8, 3
	v_ffbh_u32_e32 v20, v14
	v_min_u32_e32 v20, 32, v20
	v_lshrrev_b16_e32 v15, 3, v11
	v_subrev_u32_e32 v21, 28, v20
	v_and_b32_e32 v15, 15, v15
	v_lshlrev_b32_e32 v11, v21, v11
	v_sub_u32_e32 v20, 29, v20
	v_and_b32_e32 v11, 7, v11
	v_cmp_eq_u16_e32 vcc, 0, v15
	v_cndmask_b32_e32 v11, v14, v11, vcc
	v_cndmask_b32_e32 v14, v15, v20, vcc
	v_lshlrev_b32_e32 v15, 16, v12
	v_mov_b32_e32 v20, 0x3b800000
	v_lshlrev_b32_e32 v11, 20, v11
	v_and_b32_e32 v15, 0x80000000, v15
	v_lshl_add_u32 v14, v14, 23, v20
	v_or3_b32 v14, v15, v14, v11
.LBB14_848:
	s_or_b64 exec, exec, s[6:7]
	s_nop 0
	v_mfma_f32_16x16x4f32 a[0:3], v10, v14, a[0:3]
	s_movk_i32 s4, 0xff
	v_and_b32_sdwa v11, v16, s4 dst_sel:DWORD dst_unused:UNUSED_PAD src0_sel:WORD_1 src1_sel:DWORD
	s_movk_i32 s4, 0x7f
	v_cmp_lt_i16_e32 vcc, s4, v11
	s_mov_b64 s[4:5], 0
                                        ; implicit-def: $sgpr10
	s_and_saveexec_b64 s[6:7], vcc
	s_xor_b64 s[6:7], exec, s[6:7]
	s_cbranch_execnz .LBB14_2897
; %bb.849:
	s_or_saveexec_b64 s[6:7], s[6:7]
	v_mov_b32_e32 v10, s10
	s_xor_b64 exec, exec, s[6:7]
	s_cbranch_execnz .LBB14_2900
.LBB14_850:
	s_or_b64 exec, exec, s[6:7]
	s_and_saveexec_b64 s[6:7], s[4:5]
	s_cbranch_execz .LBB14_852
.LBB14_851:
	v_bfe_u32 v10, v16, 16, 3
	v_ffbh_u32_e32 v15, v10
	v_min_u32_e32 v15, 32, v15
	v_lshrrev_b32_e32 v11, 19, v16
	v_subrev_u32_e32 v20, 28, v15
	v_and_b32_e32 v11, 15, v11
	v_lshlrev_b32_sdwa v20, v20, v16 dst_sel:DWORD dst_unused:UNUSED_PAD src0_sel:DWORD src1_sel:WORD_1
	v_bfe_u32 v14, v16, 19, 4
	v_sub_u32_e32 v15, 29, v15
	v_and_b32_e32 v20, 7, v20
	v_cmp_eq_u16_e32 vcc, 0, v11
	v_cndmask_b32_e32 v10, v10, v20, vcc
	v_cndmask_b32_e32 v11, v14, v15, vcc
	v_lshlrev_b32_e32 v14, 8, v16
	v_mov_b32_e32 v15, 0x3b800000
	v_lshlrev_b32_e32 v10, 20, v10
	v_and_b32_e32 v14, 0x80000000, v14
	v_lshl_add_u32 v11, v11, 23, v15
	v_or3_b32 v10, v14, v11, v10
.LBB14_852:
	s_or_b64 exec, exec, s[6:7]
	s_movk_i32 s4, 0xff
	v_and_b32_sdwa v11, v12, s4 dst_sel:DWORD dst_unused:UNUSED_PAD src0_sel:WORD_1 src1_sel:DWORD
	s_movk_i32 s4, 0x7f
	v_cmp_lt_i16_e32 vcc, s4, v11
	s_mov_b64 s[4:5], 0
                                        ; implicit-def: $sgpr10
	s_and_saveexec_b64 s[6:7], vcc
	s_xor_b64 s[6:7], exec, s[6:7]
	s_cbranch_execnz .LBB14_2901
; %bb.853:
	s_or_saveexec_b64 s[6:7], s[6:7]
	v_mov_b32_e32 v14, s10
	s_xor_b64 exec, exec, s[6:7]
	s_cbranch_execnz .LBB14_2904
.LBB14_854:
	s_or_b64 exec, exec, s[6:7]
	s_and_saveexec_b64 s[6:7], s[4:5]
	s_cbranch_execz .LBB14_856
.LBB14_855:
	v_bfe_u32 v11, v12, 16, 3
	v_ffbh_u32_e32 v20, v11
	v_min_u32_e32 v20, 32, v20
	v_lshrrev_b32_e32 v14, 19, v12
	v_subrev_u32_e32 v21, 28, v20
	v_and_b32_e32 v14, 15, v14
	v_lshlrev_b32_sdwa v21, v21, v12 dst_sel:DWORD dst_unused:UNUSED_PAD src0_sel:DWORD src1_sel:WORD_1
	v_bfe_u32 v15, v12, 19, 4
	v_sub_u32_e32 v20, 29, v20
	v_and_b32_e32 v21, 7, v21
	v_cmp_eq_u16_e32 vcc, 0, v14
	v_cndmask_b32_e32 v11, v11, v21, vcc
	v_cndmask_b32_e32 v14, v15, v20, vcc
	v_lshlrev_b32_e32 v15, 8, v12
	v_mov_b32_e32 v20, 0x3b800000
	v_lshlrev_b32_e32 v11, 20, v11
	v_and_b32_e32 v15, 0x80000000, v15
	v_lshl_add_u32 v14, v14, 23, v20
	v_or3_b32 v14, v15, v14, v11
.LBB14_856:
	s_or_b64 exec, exec, s[6:7]
	s_nop 0
	v_mfma_f32_16x16x4f32 a[0:3], v10, v14, a[0:3]
	s_movk_i32 s4, 0x7f
	v_cmp_gt_i16_sdwa s[6:7], v16, s4 src0_sel:BYTE_3 src1_sel:DWORD
	s_mov_b64 s[4:5], 0
                                        ; implicit-def: $sgpr10
	s_and_saveexec_b64 s[8:9], s[6:7]
	s_xor_b64 s[6:7], exec, s[8:9]
	s_cbranch_execnz .LBB14_2905
; %bb.857:
	s_or_saveexec_b64 s[6:7], s[6:7]
	v_mov_b32_e32 v10, s10
	s_xor_b64 exec, exec, s[6:7]
	s_cbranch_execnz .LBB14_2908
.LBB14_858:
	s_or_b64 exec, exec, s[6:7]
	s_and_saveexec_b64 s[6:7], s[4:5]
	s_cbranch_execz .LBB14_860
.LBB14_859:
	v_bfe_u32 v10, v16, 24, 3
	v_ffbh_u32_e32 v20, v10
	v_min_u32_e32 v20, 32, v20
	v_lshrrev_b32_e32 v14, 27, v16
	v_subrev_u32_e32 v21, 28, v20
	v_and_b32_e32 v11, 0x80000000, v16
	v_and_b32_e32 v14, 15, v14
	v_bfe_u32 v15, v16, 27, 4
	v_lshlrev_b32_sdwa v16, v21, v16 dst_sel:DWORD dst_unused:UNUSED_PAD src0_sel:DWORD src1_sel:BYTE_3
	v_sub_u32_e32 v20, 29, v20
	v_and_b32_e32 v16, 7, v16
	v_cmp_eq_u16_e32 vcc, 0, v14
	v_cndmask_b32_e32 v10, v10, v16, vcc
	v_cndmask_b32_e32 v14, v15, v20, vcc
	v_mov_b32_e32 v15, 0x3b800000
	v_lshlrev_b32_e32 v10, 20, v10
	v_lshl_add_u32 v14, v14, 23, v15
	v_or3_b32 v10, v11, v14, v10
.LBB14_860:
	s_or_b64 exec, exec, s[6:7]
	s_movk_i32 s4, 0x7f
	v_cmp_gt_i16_sdwa s[6:7], v12, s4 src0_sel:BYTE_3 src1_sel:DWORD
	s_mov_b64 s[4:5], 0
                                        ; implicit-def: $sgpr10
	s_and_saveexec_b64 s[8:9], s[6:7]
	s_xor_b64 s[6:7], exec, s[8:9]
	s_cbranch_execnz .LBB14_2909
; %bb.861:
	s_or_saveexec_b64 s[6:7], s[6:7]
	v_mov_b32_e32 v11, s10
	s_xor_b64 exec, exec, s[6:7]
	s_cbranch_execnz .LBB14_2912
.LBB14_862:
	s_or_b64 exec, exec, s[6:7]
	s_and_saveexec_b64 s[6:7], s[4:5]
	s_cbranch_execz .LBB14_864
.LBB14_863:
	v_bfe_u32 v11, v12, 24, 3
	v_ffbh_u32_e32 v20, v11
	v_min_u32_e32 v20, 32, v20
	v_lshrrev_b32_e32 v15, 27, v12
	v_subrev_u32_e32 v21, 28, v20
	v_and_b32_e32 v14, 0x80000000, v12
	v_and_b32_e32 v15, 15, v15
	v_bfe_u32 v16, v12, 27, 4
	v_lshlrev_b32_sdwa v12, v21, v12 dst_sel:DWORD dst_unused:UNUSED_PAD src0_sel:DWORD src1_sel:BYTE_3
	v_sub_u32_e32 v20, 29, v20
	v_and_b32_e32 v12, 7, v12
	v_cmp_eq_u16_e32 vcc, 0, v15
	v_cndmask_b32_e32 v11, v11, v12, vcc
	v_cndmask_b32_e32 v12, v16, v20, vcc
	v_mov_b32_e32 v15, 0x3b800000
	v_lshlrev_b32_e32 v11, 20, v11
	v_lshl_add_u32 v12, v12, 23, v15
	v_or3_b32 v11, v14, v12, v11
.LBB14_864:
	s_or_b64 exec, exec, s[6:7]
	s_nop 0
	v_mfma_f32_16x16x4f32 a[0:3], v10, v11, a[0:3]
	s_movk_i32 s4, 0x7f
	v_cmp_gt_i16_sdwa s[6:7], v17, s4 src0_sel:BYTE_0 src1_sel:DWORD
	s_mov_b64 s[4:5], 0
                                        ; implicit-def: $sgpr10
	s_and_saveexec_b64 s[8:9], s[6:7]
	s_xor_b64 s[6:7], exec, s[8:9]
	s_cbranch_execnz .LBB14_2913
; %bb.865:
	s_or_saveexec_b64 s[6:7], s[6:7]
	v_mov_b32_e32 v10, s10
	s_xor_b64 exec, exec, s[6:7]
	s_cbranch_execnz .LBB14_2916
.LBB14_866:
	s_or_b64 exec, exec, s[6:7]
	s_and_saveexec_b64 s[6:7], s[4:5]
	s_cbranch_execz .LBB14_868
.LBB14_867:
	v_and_b32_e32 v10, 7, v17
	v_ffbh_u32_e32 v12, v10
	v_min_u32_e32 v12, 32, v12
	v_lshrrev_b16_e32 v11, 3, v17
	v_subrev_u32_e32 v14, 28, v12
	v_and_b32_e32 v11, 15, v11
	v_lshlrev_b32_e32 v14, v14, v17
	v_sub_u32_e32 v12, 29, v12
	v_and_b32_e32 v14, 7, v14
	v_cmp_eq_u16_e32 vcc, 0, v11
	v_cndmask_b32_e32 v10, v10, v14, vcc
	v_cndmask_b32_e32 v11, v11, v12, vcc
	v_lshlrev_b32_e32 v12, 24, v17
	v_mov_b32_e32 v14, 0x3b800000
	v_lshlrev_b32_e32 v10, 20, v10
	v_and_b32_e32 v12, 0x80000000, v12
	v_lshl_add_u32 v11, v11, 23, v14
	v_or3_b32 v10, v12, v11, v10
.LBB14_868:
	s_or_b64 exec, exec, s[6:7]
	s_movk_i32 s4, 0x7f
	v_cmp_gt_i16_sdwa s[6:7], v13, s4 src0_sel:BYTE_0 src1_sel:DWORD
	s_mov_b64 s[4:5], 0
                                        ; implicit-def: $sgpr10
	s_and_saveexec_b64 s[8:9], s[6:7]
	s_xor_b64 s[6:7], exec, s[8:9]
	s_cbranch_execnz .LBB14_2917
; %bb.869:
	s_or_saveexec_b64 s[6:7], s[6:7]
	v_mov_b32_e32 v11, s10
	s_xor_b64 exec, exec, s[6:7]
	s_cbranch_execnz .LBB14_2920
.LBB14_870:
	s_or_b64 exec, exec, s[6:7]
	s_and_saveexec_b64 s[6:7], s[4:5]
	s_cbranch_execz .LBB14_872
.LBB14_871:
	v_and_b32_e32 v11, 7, v13
	v_ffbh_u32_e32 v14, v11
	v_min_u32_e32 v14, 32, v14
	v_lshrrev_b16_e32 v12, 3, v13
	v_subrev_u32_e32 v15, 28, v14
	v_and_b32_e32 v12, 15, v12
	v_lshlrev_b32_e32 v15, v15, v13
	v_sub_u32_e32 v14, 29, v14
	v_and_b32_e32 v15, 7, v15
	v_cmp_eq_u16_e32 vcc, 0, v12
	v_cndmask_b32_e32 v11, v11, v15, vcc
	v_cndmask_b32_e32 v12, v12, v14, vcc
	v_lshlrev_b32_e32 v14, 24, v13
	v_mov_b32_e32 v15, 0x3b800000
	v_lshlrev_b32_e32 v11, 20, v11
	v_and_b32_e32 v14, 0x80000000, v14
	v_lshl_add_u32 v12, v12, 23, v15
	v_or3_b32 v11, v14, v12, v11
.LBB14_872:
	s_or_b64 exec, exec, s[6:7]
	s_nop 0
	v_mfma_f32_16x16x4f32 a[0:3], v10, v11, a[0:3]
	v_lshrrev_b32_e32 v11, 8, v17
	s_movk_i32 s4, 0x7f
	v_cmp_gt_i16_sdwa s[6:7], v11, s4 src0_sel:BYTE_0 src1_sel:DWORD
	s_mov_b64 s[4:5], 0
                                        ; implicit-def: $sgpr10
	s_and_saveexec_b64 s[8:9], s[6:7]
	s_xor_b64 s[6:7], exec, s[8:9]
	s_cbranch_execnz .LBB14_2921
; %bb.873:
	s_or_saveexec_b64 s[6:7], s[6:7]
	v_mov_b32_e32 v10, s10
	s_xor_b64 exec, exec, s[6:7]
	s_cbranch_execnz .LBB14_2924
.LBB14_874:
	s_or_b64 exec, exec, s[6:7]
	s_and_saveexec_b64 s[6:7], s[4:5]
	s_cbranch_execz .LBB14_876
.LBB14_875:
	v_bfe_u32 v10, v17, 8, 3
	v_ffbh_u32_e32 v14, v10
	v_min_u32_e32 v14, 32, v14
	v_lshrrev_b16_e32 v12, 3, v11
	v_subrev_u32_e32 v15, 28, v14
	v_and_b32_e32 v12, 15, v12
	v_lshlrev_b32_e32 v11, v15, v11
	v_sub_u32_e32 v14, 29, v14
	v_and_b32_e32 v11, 7, v11
	v_cmp_eq_u16_e32 vcc, 0, v12
	v_cndmask_b32_e32 v10, v10, v11, vcc
	v_cndmask_b32_e32 v11, v12, v14, vcc
	v_lshlrev_b32_e32 v12, 16, v17
	v_mov_b32_e32 v14, 0x3b800000
	v_lshlrev_b32_e32 v10, 20, v10
	v_and_b32_e32 v12, 0x80000000, v12
	v_lshl_add_u32 v11, v11, 23, v14
	v_or3_b32 v10, v12, v11, v10
.LBB14_876:
	s_or_b64 exec, exec, s[6:7]
	v_lshrrev_b32_e32 v11, 8, v13
	s_movk_i32 s4, 0x7f
	v_cmp_gt_i16_sdwa s[6:7], v11, s4 src0_sel:BYTE_0 src1_sel:DWORD
	s_mov_b64 s[4:5], 0
                                        ; implicit-def: $sgpr10
	s_and_saveexec_b64 s[8:9], s[6:7]
	s_xor_b64 s[6:7], exec, s[8:9]
	s_cbranch_execnz .LBB14_2925
; %bb.877:
	s_or_saveexec_b64 s[6:7], s[6:7]
	v_mov_b32_e32 v12, s10
	s_xor_b64 exec, exec, s[6:7]
	s_cbranch_execnz .LBB14_2928
.LBB14_878:
	s_or_b64 exec, exec, s[6:7]
	s_and_saveexec_b64 s[6:7], s[4:5]
	s_cbranch_execz .LBB14_880
.LBB14_879:
	v_bfe_u32 v12, v13, 8, 3
	v_ffbh_u32_e32 v15, v12
	v_min_u32_e32 v15, 32, v15
	v_lshrrev_b16_e32 v14, 3, v11
	v_subrev_u32_e32 v16, 28, v15
	v_and_b32_e32 v14, 15, v14
	v_lshlrev_b32_e32 v11, v16, v11
	v_sub_u32_e32 v15, 29, v15
	v_and_b32_e32 v11, 7, v11
	v_cmp_eq_u16_e32 vcc, 0, v14
	v_cndmask_b32_e32 v11, v12, v11, vcc
	v_cndmask_b32_e32 v12, v14, v15, vcc
	v_lshlrev_b32_e32 v14, 16, v13
	v_mov_b32_e32 v15, 0x3b800000
	v_lshlrev_b32_e32 v11, 20, v11
	v_and_b32_e32 v14, 0x80000000, v14
	v_lshl_add_u32 v12, v12, 23, v15
	v_or3_b32 v12, v14, v12, v11
.LBB14_880:
	s_or_b64 exec, exec, s[6:7]
	s_nop 0
	v_mfma_f32_16x16x4f32 a[0:3], v10, v12, a[0:3]
	s_movk_i32 s4, 0xff
	v_and_b32_sdwa v11, v17, s4 dst_sel:DWORD dst_unused:UNUSED_PAD src0_sel:WORD_1 src1_sel:DWORD
	s_movk_i32 s4, 0x7f
	v_cmp_lt_i16_e32 vcc, s4, v11
	s_mov_b64 s[4:5], 0
                                        ; implicit-def: $sgpr10
	s_and_saveexec_b64 s[6:7], vcc
	s_xor_b64 s[6:7], exec, s[6:7]
	s_cbranch_execnz .LBB14_2929
; %bb.881:
	s_or_saveexec_b64 s[6:7], s[6:7]
	v_mov_b32_e32 v10, s10
	s_xor_b64 exec, exec, s[6:7]
	s_cbranch_execnz .LBB14_2932
.LBB14_882:
	s_or_b64 exec, exec, s[6:7]
	s_and_saveexec_b64 s[6:7], s[4:5]
	s_cbranch_execz .LBB14_884
.LBB14_883:
	v_bfe_u32 v10, v17, 16, 3
	v_ffbh_u32_e32 v14, v10
	v_min_u32_e32 v14, 32, v14
	v_lshrrev_b32_e32 v11, 19, v17
	v_subrev_u32_e32 v15, 28, v14
	v_and_b32_e32 v11, 15, v11
	v_lshlrev_b32_sdwa v15, v15, v17 dst_sel:DWORD dst_unused:UNUSED_PAD src0_sel:DWORD src1_sel:WORD_1
	v_bfe_u32 v12, v17, 19, 4
	v_sub_u32_e32 v14, 29, v14
	v_and_b32_e32 v15, 7, v15
	v_cmp_eq_u16_e32 vcc, 0, v11
	v_cndmask_b32_e32 v10, v10, v15, vcc
	v_cndmask_b32_e32 v11, v12, v14, vcc
	v_lshlrev_b32_e32 v12, 8, v17
	v_mov_b32_e32 v14, 0x3b800000
	v_lshlrev_b32_e32 v10, 20, v10
	v_and_b32_e32 v12, 0x80000000, v12
	v_lshl_add_u32 v11, v11, 23, v14
	v_or3_b32 v10, v12, v11, v10
.LBB14_884:
	s_or_b64 exec, exec, s[6:7]
	s_movk_i32 s4, 0xff
	v_and_b32_sdwa v11, v13, s4 dst_sel:DWORD dst_unused:UNUSED_PAD src0_sel:WORD_1 src1_sel:DWORD
	s_movk_i32 s4, 0x7f
	v_cmp_lt_i16_e32 vcc, s4, v11
	s_mov_b64 s[4:5], 0
                                        ; implicit-def: $sgpr10
	s_and_saveexec_b64 s[6:7], vcc
	s_xor_b64 s[6:7], exec, s[6:7]
	s_cbranch_execnz .LBB14_2933
; %bb.885:
	s_or_saveexec_b64 s[6:7], s[6:7]
	v_mov_b32_e32 v12, s10
	s_xor_b64 exec, exec, s[6:7]
	s_cbranch_execnz .LBB14_2936
.LBB14_886:
	s_or_b64 exec, exec, s[6:7]
	s_and_saveexec_b64 s[6:7], s[4:5]
	s_cbranch_execz .LBB14_888
.LBB14_887:
	v_bfe_u32 v11, v13, 16, 3
	v_ffbh_u32_e32 v15, v11
	v_min_u32_e32 v15, 32, v15
	v_lshrrev_b32_e32 v12, 19, v13
	v_subrev_u32_e32 v16, 28, v15
	v_and_b32_e32 v12, 15, v12
	v_lshlrev_b32_sdwa v16, v16, v13 dst_sel:DWORD dst_unused:UNUSED_PAD src0_sel:DWORD src1_sel:WORD_1
	v_bfe_u32 v14, v13, 19, 4
	v_sub_u32_e32 v15, 29, v15
	v_and_b32_e32 v16, 7, v16
	v_cmp_eq_u16_e32 vcc, 0, v12
	v_cndmask_b32_e32 v11, v11, v16, vcc
	v_cndmask_b32_e32 v12, v14, v15, vcc
	v_lshlrev_b32_e32 v14, 8, v13
	v_mov_b32_e32 v15, 0x3b800000
	v_lshlrev_b32_e32 v11, 20, v11
	v_and_b32_e32 v14, 0x80000000, v14
	v_lshl_add_u32 v12, v12, 23, v15
	v_or3_b32 v12, v14, v12, v11
.LBB14_888:
	s_or_b64 exec, exec, s[6:7]
	s_nop 0
	v_mfma_f32_16x16x4f32 a[0:3], v10, v12, a[0:3]
	s_movk_i32 s4, 0x7f
	v_cmp_gt_i16_sdwa s[6:7], v17, s4 src0_sel:BYTE_3 src1_sel:DWORD
	s_mov_b64 s[4:5], 0
                                        ; implicit-def: $sgpr10
	s_and_saveexec_b64 s[8:9], s[6:7]
	s_xor_b64 s[6:7], exec, s[8:9]
	s_cbranch_execnz .LBB14_2937
; %bb.889:
	s_or_saveexec_b64 s[6:7], s[6:7]
	v_mov_b32_e32 v10, s10
	s_xor_b64 exec, exec, s[6:7]
	s_cbranch_execnz .LBB14_2940
.LBB14_890:
	s_or_b64 exec, exec, s[6:7]
	s_and_saveexec_b64 s[6:7], s[4:5]
	s_cbranch_execz .LBB14_892
.LBB14_891:
	v_bfe_u32 v10, v17, 24, 3
	v_ffbh_u32_e32 v15, v10
	v_min_u32_e32 v15, 32, v15
	v_lshrrev_b32_e32 v12, 27, v17
	v_subrev_u32_e32 v16, 28, v15
	v_and_b32_e32 v12, 15, v12
	v_lshlrev_b32_sdwa v16, v16, v17 dst_sel:DWORD dst_unused:UNUSED_PAD src0_sel:DWORD src1_sel:BYTE_3
	v_bfe_u32 v14, v17, 27, 4
	v_sub_u32_e32 v15, 29, v15
	v_and_b32_e32 v16, 7, v16
	v_cmp_eq_u16_e32 vcc, 0, v12
	v_cndmask_b32_e32 v10, v10, v16, vcc
	v_cndmask_b32_e32 v12, v14, v15, vcc
	v_mov_b32_e32 v14, 0x3b800000
	v_and_b32_e32 v11, 0x80000000, v17
	v_lshlrev_b32_e32 v10, 20, v10
	v_lshl_add_u32 v12, v12, 23, v14
	v_or3_b32 v10, v11, v12, v10
.LBB14_892:
	s_or_b64 exec, exec, s[6:7]
	s_movk_i32 s4, 0x7f
	v_cmp_gt_i16_sdwa s[6:7], v13, s4 src0_sel:BYTE_3 src1_sel:DWORD
	s_mov_b64 s[4:5], 0
                                        ; implicit-def: $sgpr10
	s_and_saveexec_b64 s[8:9], s[6:7]
	s_xor_b64 s[6:7], exec, s[8:9]
	s_cbranch_execnz .LBB14_2941
; %bb.893:
	s_or_saveexec_b64 s[6:7], s[6:7]
	v_mov_b32_e32 v11, s10
	s_xor_b64 exec, exec, s[6:7]
	s_cbranch_execnz .LBB14_2944
.LBB14_894:
	s_or_b64 exec, exec, s[6:7]
	s_and_saveexec_b64 s[6:7], s[4:5]
	s_cbranch_execz .LBB14_896
.LBB14_895:
	v_bfe_u32 v11, v13, 24, 3
	v_ffbh_u32_e32 v16, v11
	v_min_u32_e32 v16, 32, v16
	v_lshrrev_b32_e32 v14, 27, v13
	v_subrev_u32_e32 v17, 28, v16
	v_and_b32_e32 v12, 0x80000000, v13
	v_and_b32_e32 v14, 15, v14
	v_bfe_u32 v15, v13, 27, 4
	v_lshlrev_b32_sdwa v13, v17, v13 dst_sel:DWORD dst_unused:UNUSED_PAD src0_sel:DWORD src1_sel:BYTE_3
	v_sub_u32_e32 v16, 29, v16
	v_and_b32_e32 v13, 7, v13
	v_cmp_eq_u16_e32 vcc, 0, v14
	v_cndmask_b32_e32 v11, v11, v13, vcc
	v_cndmask_b32_e32 v13, v15, v16, vcc
	v_mov_b32_e32 v14, 0x3b800000
	v_lshlrev_b32_e32 v11, 20, v11
	v_lshl_add_u32 v13, v13, 23, v14
	v_or3_b32 v11, v12, v13, v11
.LBB14_896:
	s_or_b64 exec, exec, s[6:7]
	s_nop 0
	v_mfma_f32_16x16x4f32 a[0:3], v10, v11, a[0:3]
	s_movk_i32 s4, 0x7f
	v_cmp_gt_i16_sdwa s[6:7], v6, s4 src0_sel:BYTE_0 src1_sel:DWORD
	s_mov_b64 s[4:5], 0
                                        ; implicit-def: $sgpr10
	s_and_saveexec_b64 s[8:9], s[6:7]
	s_xor_b64 s[6:7], exec, s[8:9]
	s_cbranch_execnz .LBB14_2945
; %bb.897:
	s_or_saveexec_b64 s[6:7], s[6:7]
	v_mov_b32_e32 v10, s10
	s_xor_b64 exec, exec, s[6:7]
	s_cbranch_execnz .LBB14_2948
.LBB14_898:
	s_or_b64 exec, exec, s[6:7]
	s_and_saveexec_b64 s[6:7], s[4:5]
	s_cbranch_execz .LBB14_900
.LBB14_899:
	v_and_b32_e32 v10, 7, v6
	v_ffbh_u32_e32 v12, v10
	v_min_u32_e32 v12, 32, v12
	v_lshrrev_b16_e32 v11, 3, v6
	v_subrev_u32_e32 v13, 28, v12
	v_and_b32_e32 v11, 15, v11
	v_lshlrev_b32_e32 v13, v13, v6
	v_sub_u32_e32 v12, 29, v12
	v_and_b32_e32 v13, 7, v13
	v_cmp_eq_u16_e32 vcc, 0, v11
	v_cndmask_b32_e32 v10, v10, v13, vcc
	v_cndmask_b32_e32 v11, v11, v12, vcc
	v_lshlrev_b32_e32 v12, 24, v6
	v_mov_b32_e32 v13, 0x3b800000
	v_lshlrev_b32_e32 v10, 20, v10
	v_and_b32_e32 v12, 0x80000000, v12
	v_lshl_add_u32 v11, v11, 23, v13
	v_or3_b32 v10, v12, v11, v10
.LBB14_900:
	s_or_b64 exec, exec, s[6:7]
	s_movk_i32 s4, 0x7f
	v_cmp_gt_i16_sdwa s[6:7], v2, s4 src0_sel:BYTE_0 src1_sel:DWORD
	s_mov_b64 s[4:5], 0
                                        ; implicit-def: $sgpr10
	s_and_saveexec_b64 s[8:9], s[6:7]
	s_xor_b64 s[6:7], exec, s[8:9]
	s_cbranch_execnz .LBB14_2949
; %bb.901:
	s_or_saveexec_b64 s[6:7], s[6:7]
	v_mov_b32_e32 v11, s10
	s_xor_b64 exec, exec, s[6:7]
	s_cbranch_execnz .LBB14_2952
.LBB14_902:
	s_or_b64 exec, exec, s[6:7]
	s_and_saveexec_b64 s[6:7], s[4:5]
	s_cbranch_execz .LBB14_904
.LBB14_903:
	v_and_b32_e32 v11, 7, v2
	v_ffbh_u32_e32 v13, v11
	v_min_u32_e32 v13, 32, v13
	v_lshrrev_b16_e32 v12, 3, v2
	v_subrev_u32_e32 v14, 28, v13
	v_and_b32_e32 v12, 15, v12
	v_lshlrev_b32_e32 v14, v14, v2
	v_sub_u32_e32 v13, 29, v13
	v_and_b32_e32 v14, 7, v14
	v_cmp_eq_u16_e32 vcc, 0, v12
	v_cndmask_b32_e32 v11, v11, v14, vcc
	v_cndmask_b32_e32 v12, v12, v13, vcc
	v_lshlrev_b32_e32 v13, 24, v2
	v_mov_b32_e32 v14, 0x3b800000
	v_lshlrev_b32_e32 v11, 20, v11
	v_and_b32_e32 v13, 0x80000000, v13
	v_lshl_add_u32 v12, v12, 23, v14
	v_or3_b32 v11, v13, v12, v11
.LBB14_904:
	s_or_b64 exec, exec, s[6:7]
	s_nop 0
	v_mfma_f32_16x16x4f32 a[0:3], v10, v11, a[0:3]
	v_lshrrev_b32_e32 v11, 8, v6
	s_movk_i32 s4, 0x7f
	v_cmp_gt_i16_sdwa s[6:7], v11, s4 src0_sel:BYTE_0 src1_sel:DWORD
	s_mov_b64 s[4:5], 0
                                        ; implicit-def: $sgpr10
	s_and_saveexec_b64 s[8:9], s[6:7]
	s_xor_b64 s[6:7], exec, s[8:9]
	s_cbranch_execnz .LBB14_2953
; %bb.905:
	s_or_saveexec_b64 s[6:7], s[6:7]
	v_mov_b32_e32 v10, s10
	s_xor_b64 exec, exec, s[6:7]
	s_cbranch_execnz .LBB14_2956
.LBB14_906:
	s_or_b64 exec, exec, s[6:7]
	s_and_saveexec_b64 s[6:7], s[4:5]
	s_cbranch_execz .LBB14_908
.LBB14_907:
	v_bfe_u32 v10, v6, 8, 3
	v_ffbh_u32_e32 v13, v10
	v_min_u32_e32 v13, 32, v13
	v_lshrrev_b16_e32 v12, 3, v11
	v_subrev_u32_e32 v14, 28, v13
	v_and_b32_e32 v12, 15, v12
	v_lshlrev_b32_e32 v11, v14, v11
	v_sub_u32_e32 v13, 29, v13
	v_and_b32_e32 v11, 7, v11
	v_cmp_eq_u16_e32 vcc, 0, v12
	v_cndmask_b32_e32 v10, v10, v11, vcc
	v_cndmask_b32_e32 v11, v12, v13, vcc
	v_lshlrev_b32_e32 v12, 16, v6
	v_mov_b32_e32 v13, 0x3b800000
	v_lshlrev_b32_e32 v10, 20, v10
	v_and_b32_e32 v12, 0x80000000, v12
	v_lshl_add_u32 v11, v11, 23, v13
	v_or3_b32 v10, v12, v11, v10
.LBB14_908:
	s_or_b64 exec, exec, s[6:7]
	v_lshrrev_b32_e32 v11, 8, v2
	s_movk_i32 s4, 0x7f
	v_cmp_gt_i16_sdwa s[6:7], v11, s4 src0_sel:BYTE_0 src1_sel:DWORD
	s_mov_b64 s[4:5], 0
                                        ; implicit-def: $sgpr10
	s_and_saveexec_b64 s[8:9], s[6:7]
	s_xor_b64 s[6:7], exec, s[8:9]
	s_cbranch_execnz .LBB14_2957
; %bb.909:
	s_or_saveexec_b64 s[6:7], s[6:7]
	v_mov_b32_e32 v12, s10
	s_xor_b64 exec, exec, s[6:7]
	s_cbranch_execnz .LBB14_2960
.LBB14_910:
	s_or_b64 exec, exec, s[6:7]
	s_and_saveexec_b64 s[6:7], s[4:5]
	s_cbranch_execz .LBB14_912
.LBB14_911:
	v_bfe_u32 v12, v2, 8, 3
	v_ffbh_u32_e32 v14, v12
	v_min_u32_e32 v14, 32, v14
	v_lshrrev_b16_e32 v13, 3, v11
	v_subrev_u32_e32 v15, 28, v14
	v_and_b32_e32 v13, 15, v13
	v_lshlrev_b32_e32 v11, v15, v11
	v_sub_u32_e32 v14, 29, v14
	v_and_b32_e32 v11, 7, v11
	v_cmp_eq_u16_e32 vcc, 0, v13
	v_cndmask_b32_e32 v11, v12, v11, vcc
	v_cndmask_b32_e32 v12, v13, v14, vcc
	v_lshlrev_b32_e32 v13, 16, v2
	v_mov_b32_e32 v14, 0x3b800000
	v_lshlrev_b32_e32 v11, 20, v11
	v_and_b32_e32 v13, 0x80000000, v13
	v_lshl_add_u32 v12, v12, 23, v14
	v_or3_b32 v12, v13, v12, v11
.LBB14_912:
	s_or_b64 exec, exec, s[6:7]
	s_nop 0
	v_mfma_f32_16x16x4f32 a[0:3], v10, v12, a[0:3]
	s_movk_i32 s4, 0xff
	v_and_b32_sdwa v11, v6, s4 dst_sel:DWORD dst_unused:UNUSED_PAD src0_sel:WORD_1 src1_sel:DWORD
	s_movk_i32 s4, 0x7f
	v_cmp_lt_i16_e32 vcc, s4, v11
	s_mov_b64 s[4:5], 0
                                        ; implicit-def: $sgpr10
	s_and_saveexec_b64 s[6:7], vcc
	s_xor_b64 s[6:7], exec, s[6:7]
	s_cbranch_execnz .LBB14_2961
; %bb.913:
	s_or_saveexec_b64 s[6:7], s[6:7]
	v_mov_b32_e32 v10, s10
	s_xor_b64 exec, exec, s[6:7]
	s_cbranch_execnz .LBB14_2964
.LBB14_914:
	s_or_b64 exec, exec, s[6:7]
	s_and_saveexec_b64 s[6:7], s[4:5]
	s_cbranch_execz .LBB14_916
.LBB14_915:
	v_bfe_u32 v10, v6, 16, 3
	v_ffbh_u32_e32 v13, v10
	v_min_u32_e32 v13, 32, v13
	v_lshrrev_b32_e32 v11, 19, v6
	v_subrev_u32_e32 v14, 28, v13
	v_and_b32_e32 v11, 15, v11
	v_lshlrev_b32_sdwa v14, v14, v6 dst_sel:DWORD dst_unused:UNUSED_PAD src0_sel:DWORD src1_sel:WORD_1
	v_bfe_u32 v12, v6, 19, 4
	v_sub_u32_e32 v13, 29, v13
	v_and_b32_e32 v14, 7, v14
	v_cmp_eq_u16_e32 vcc, 0, v11
	v_cndmask_b32_e32 v10, v10, v14, vcc
	v_cndmask_b32_e32 v11, v12, v13, vcc
	v_lshlrev_b32_e32 v12, 8, v6
	v_mov_b32_e32 v13, 0x3b800000
	v_lshlrev_b32_e32 v10, 20, v10
	v_and_b32_e32 v12, 0x80000000, v12
	v_lshl_add_u32 v11, v11, 23, v13
	v_or3_b32 v10, v12, v11, v10
.LBB14_916:
	s_or_b64 exec, exec, s[6:7]
	s_movk_i32 s4, 0xff
	v_and_b32_sdwa v11, v2, s4 dst_sel:DWORD dst_unused:UNUSED_PAD src0_sel:WORD_1 src1_sel:DWORD
	s_movk_i32 s4, 0x7f
	v_cmp_lt_i16_e32 vcc, s4, v11
	s_mov_b64 s[4:5], 0
                                        ; implicit-def: $sgpr10
	s_and_saveexec_b64 s[6:7], vcc
	s_xor_b64 s[6:7], exec, s[6:7]
	s_cbranch_execnz .LBB14_2965
; %bb.917:
	s_or_saveexec_b64 s[6:7], s[6:7]
	v_mov_b32_e32 v12, s10
	s_xor_b64 exec, exec, s[6:7]
	s_cbranch_execnz .LBB14_2968
.LBB14_918:
	s_or_b64 exec, exec, s[6:7]
	s_and_saveexec_b64 s[6:7], s[4:5]
	s_cbranch_execz .LBB14_920
.LBB14_919:
	v_bfe_u32 v11, v2, 16, 3
	v_ffbh_u32_e32 v14, v11
	v_min_u32_e32 v14, 32, v14
	v_lshrrev_b32_e32 v12, 19, v2
	v_subrev_u32_e32 v15, 28, v14
	v_and_b32_e32 v12, 15, v12
	v_lshlrev_b32_sdwa v15, v15, v2 dst_sel:DWORD dst_unused:UNUSED_PAD src0_sel:DWORD src1_sel:WORD_1
	v_bfe_u32 v13, v2, 19, 4
	v_sub_u32_e32 v14, 29, v14
	v_and_b32_e32 v15, 7, v15
	v_cmp_eq_u16_e32 vcc, 0, v12
	v_cndmask_b32_e32 v11, v11, v15, vcc
	v_cndmask_b32_e32 v12, v13, v14, vcc
	v_lshlrev_b32_e32 v13, 8, v2
	v_mov_b32_e32 v14, 0x3b800000
	v_lshlrev_b32_e32 v11, 20, v11
	v_and_b32_e32 v13, 0x80000000, v13
	v_lshl_add_u32 v12, v12, 23, v14
	v_or3_b32 v12, v13, v12, v11
.LBB14_920:
	s_or_b64 exec, exec, s[6:7]
	s_nop 0
	v_mfma_f32_16x16x4f32 a[0:3], v10, v12, a[0:3]
	s_movk_i32 s4, 0x7f
	v_cmp_gt_i16_sdwa s[6:7], v6, s4 src0_sel:BYTE_3 src1_sel:DWORD
	s_mov_b64 s[4:5], 0
                                        ; implicit-def: $sgpr10
	s_and_saveexec_b64 s[8:9], s[6:7]
	s_xor_b64 s[6:7], exec, s[8:9]
	s_cbranch_execnz .LBB14_2969
; %bb.921:
	s_or_saveexec_b64 s[6:7], s[6:7]
	v_mov_b32_e32 v10, s10
	s_xor_b64 exec, exec, s[6:7]
	s_cbranch_execnz .LBB14_2972
.LBB14_922:
	s_or_b64 exec, exec, s[6:7]
	s_and_saveexec_b64 s[6:7], s[4:5]
	s_cbranch_execz .LBB14_924
.LBB14_923:
	v_bfe_u32 v10, v6, 24, 3
	v_ffbh_u32_e32 v14, v10
	v_min_u32_e32 v14, 32, v14
	v_lshrrev_b32_e32 v12, 27, v6
	v_subrev_u32_e32 v15, 28, v14
	v_and_b32_e32 v11, 0x80000000, v6
	v_and_b32_e32 v12, 15, v12
	v_bfe_u32 v13, v6, 27, 4
	v_lshlrev_b32_sdwa v6, v15, v6 dst_sel:DWORD dst_unused:UNUSED_PAD src0_sel:DWORD src1_sel:BYTE_3
	v_sub_u32_e32 v14, 29, v14
	v_and_b32_e32 v6, 7, v6
	v_cmp_eq_u16_e32 vcc, 0, v12
	v_cndmask_b32_e32 v6, v10, v6, vcc
	v_cndmask_b32_e32 v10, v13, v14, vcc
	v_mov_b32_e32 v12, 0x3b800000
	v_lshlrev_b32_e32 v6, 20, v6
	v_lshl_add_u32 v10, v10, 23, v12
	v_or3_b32 v10, v11, v10, v6
.LBB14_924:
	s_or_b64 exec, exec, s[6:7]
	s_movk_i32 s4, 0x7f
	v_cmp_gt_i16_sdwa s[6:7], v2, s4 src0_sel:BYTE_3 src1_sel:DWORD
	s_mov_b64 s[4:5], 0
                                        ; implicit-def: $sgpr10
	s_and_saveexec_b64 s[8:9], s[6:7]
	s_xor_b64 s[6:7], exec, s[8:9]
	s_cbranch_execnz .LBB14_2973
; %bb.925:
	s_or_saveexec_b64 s[6:7], s[6:7]
	v_mov_b32_e32 v6, s10
	s_xor_b64 exec, exec, s[6:7]
	s_cbranch_execnz .LBB14_2976
.LBB14_926:
	s_or_b64 exec, exec, s[6:7]
	s_and_saveexec_b64 s[6:7], s[4:5]
	s_cbranch_execz .LBB14_928
.LBB14_927:
	v_bfe_u32 v6, v2, 24, 3
	v_ffbh_u32_e32 v14, v6
	v_min_u32_e32 v14, 32, v14
	v_lshrrev_b32_e32 v12, 27, v2
	v_subrev_u32_e32 v15, 28, v14
	v_and_b32_e32 v11, 0x80000000, v2
	v_and_b32_e32 v12, 15, v12
	v_bfe_u32 v13, v2, 27, 4
	v_lshlrev_b32_sdwa v2, v15, v2 dst_sel:DWORD dst_unused:UNUSED_PAD src0_sel:DWORD src1_sel:BYTE_3
	v_sub_u32_e32 v14, 29, v14
	v_and_b32_e32 v2, 7, v2
	v_cmp_eq_u16_e32 vcc, 0, v12
	v_cndmask_b32_e32 v2, v6, v2, vcc
	v_cndmask_b32_e32 v6, v13, v14, vcc
	v_mov_b32_e32 v12, 0x3b800000
	v_lshlrev_b32_e32 v2, 20, v2
	v_lshl_add_u32 v6, v6, 23, v12
	v_or3_b32 v6, v11, v6, v2
.LBB14_928:
	s_or_b64 exec, exec, s[6:7]
	s_nop 0
	v_mfma_f32_16x16x4f32 a[0:3], v10, v6, a[0:3]
	s_movk_i32 s4, 0x7f
	v_cmp_gt_i16_sdwa s[6:7], v7, s4 src0_sel:BYTE_0 src1_sel:DWORD
	s_mov_b64 s[4:5], 0
                                        ; implicit-def: $sgpr10
	s_and_saveexec_b64 s[8:9], s[6:7]
	s_xor_b64 s[6:7], exec, s[8:9]
	s_cbranch_execnz .LBB14_2977
; %bb.929:
	s_or_saveexec_b64 s[6:7], s[6:7]
	v_mov_b32_e32 v2, s10
	s_xor_b64 exec, exec, s[6:7]
	s_cbranch_execnz .LBB14_2980
.LBB14_930:
	s_or_b64 exec, exec, s[6:7]
	s_and_saveexec_b64 s[6:7], s[4:5]
	s_cbranch_execz .LBB14_932
.LBB14_931:
	v_and_b32_e32 v2, 7, v7
	v_ffbh_u32_e32 v10, v2
	v_min_u32_e32 v10, 32, v10
	v_lshrrev_b16_e32 v6, 3, v7
	v_subrev_u32_e32 v11, 28, v10
	v_and_b32_e32 v6, 15, v6
	v_lshlrev_b32_e32 v11, v11, v7
	v_sub_u32_e32 v10, 29, v10
	v_and_b32_e32 v11, 7, v11
	v_cmp_eq_u16_e32 vcc, 0, v6
	v_cndmask_b32_e32 v2, v2, v11, vcc
	v_cndmask_b32_e32 v6, v6, v10, vcc
	v_lshlrev_b32_e32 v10, 24, v7
	v_mov_b32_e32 v11, 0x3b800000
	v_lshlrev_b32_e32 v2, 20, v2
	v_and_b32_e32 v10, 0x80000000, v10
	v_lshl_add_u32 v6, v6, 23, v11
	v_or3_b32 v2, v10, v6, v2
.LBB14_932:
	s_or_b64 exec, exec, s[6:7]
	s_movk_i32 s4, 0x7f
	v_cmp_gt_i16_sdwa s[6:7], v3, s4 src0_sel:BYTE_0 src1_sel:DWORD
	s_mov_b64 s[4:5], 0
                                        ; implicit-def: $sgpr10
	s_and_saveexec_b64 s[8:9], s[6:7]
	s_xor_b64 s[6:7], exec, s[8:9]
	s_cbranch_execnz .LBB14_2981
; %bb.933:
	s_or_saveexec_b64 s[6:7], s[6:7]
	v_mov_b32_e32 v6, s10
	s_xor_b64 exec, exec, s[6:7]
	s_cbranch_execnz .LBB14_2984
.LBB14_934:
	s_or_b64 exec, exec, s[6:7]
	s_and_saveexec_b64 s[6:7], s[4:5]
	s_cbranch_execz .LBB14_936
.LBB14_935:
	v_and_b32_e32 v6, 7, v3
	v_ffbh_u32_e32 v11, v6
	v_min_u32_e32 v11, 32, v11
	v_lshrrev_b16_e32 v10, 3, v3
	v_subrev_u32_e32 v12, 28, v11
	v_and_b32_e32 v10, 15, v10
	v_lshlrev_b32_e32 v12, v12, v3
	v_sub_u32_e32 v11, 29, v11
	v_and_b32_e32 v12, 7, v12
	v_cmp_eq_u16_e32 vcc, 0, v10
	v_cndmask_b32_e32 v6, v6, v12, vcc
	v_cndmask_b32_e32 v10, v10, v11, vcc
	v_lshlrev_b32_e32 v11, 24, v3
	v_mov_b32_e32 v12, 0x3b800000
	v_lshlrev_b32_e32 v6, 20, v6
	v_and_b32_e32 v11, 0x80000000, v11
	v_lshl_add_u32 v10, v10, 23, v12
	v_or3_b32 v6, v11, v10, v6
.LBB14_936:
	s_or_b64 exec, exec, s[6:7]
	s_nop 0
	v_mfma_f32_16x16x4f32 a[0:3], v2, v6, a[0:3]
	v_lshrrev_b32_e32 v6, 8, v7
	s_movk_i32 s4, 0x7f
	v_cmp_gt_i16_sdwa s[6:7], v6, s4 src0_sel:BYTE_0 src1_sel:DWORD
	s_mov_b64 s[4:5], 0
                                        ; implicit-def: $sgpr10
	s_and_saveexec_b64 s[8:9], s[6:7]
	s_xor_b64 s[6:7], exec, s[8:9]
	s_cbranch_execnz .LBB14_2985
; %bb.937:
	s_or_saveexec_b64 s[6:7], s[6:7]
	v_mov_b32_e32 v2, s10
	s_xor_b64 exec, exec, s[6:7]
	s_cbranch_execnz .LBB14_2988
.LBB14_938:
	s_or_b64 exec, exec, s[6:7]
	s_and_saveexec_b64 s[6:7], s[4:5]
	s_cbranch_execz .LBB14_940
.LBB14_939:
	v_bfe_u32 v2, v7, 8, 3
	v_ffbh_u32_e32 v11, v2
	v_min_u32_e32 v11, 32, v11
	v_lshrrev_b16_e32 v10, 3, v6
	v_subrev_u32_e32 v12, 28, v11
	v_and_b32_e32 v10, 15, v10
	v_lshlrev_b32_e32 v6, v12, v6
	v_sub_u32_e32 v11, 29, v11
	v_and_b32_e32 v6, 7, v6
	v_cmp_eq_u16_e32 vcc, 0, v10
	v_cndmask_b32_e32 v2, v2, v6, vcc
	v_cndmask_b32_e32 v6, v10, v11, vcc
	v_lshlrev_b32_e32 v10, 16, v7
	v_mov_b32_e32 v11, 0x3b800000
	v_lshlrev_b32_e32 v2, 20, v2
	v_and_b32_e32 v10, 0x80000000, v10
	v_lshl_add_u32 v6, v6, 23, v11
	v_or3_b32 v2, v10, v6, v2
.LBB14_940:
	s_or_b64 exec, exec, s[6:7]
	v_lshrrev_b32_e32 v6, 8, v3
	s_movk_i32 s4, 0x7f
	v_cmp_gt_i16_sdwa s[6:7], v6, s4 src0_sel:BYTE_0 src1_sel:DWORD
	s_mov_b64 s[4:5], 0
                                        ; implicit-def: $sgpr10
	s_and_saveexec_b64 s[8:9], s[6:7]
	s_xor_b64 s[6:7], exec, s[8:9]
	s_cbranch_execnz .LBB14_2989
; %bb.941:
	s_or_saveexec_b64 s[6:7], s[6:7]
	v_mov_b32_e32 v10, s10
	s_xor_b64 exec, exec, s[6:7]
	s_cbranch_execnz .LBB14_2992
.LBB14_942:
	s_or_b64 exec, exec, s[6:7]
	s_and_saveexec_b64 s[6:7], s[4:5]
	s_cbranch_execz .LBB14_944
.LBB14_943:
	v_bfe_u32 v10, v3, 8, 3
	v_ffbh_u32_e32 v12, v10
	v_min_u32_e32 v12, 32, v12
	v_lshrrev_b16_e32 v11, 3, v6
	v_subrev_u32_e32 v13, 28, v12
	v_and_b32_e32 v11, 15, v11
	v_lshlrev_b32_e32 v6, v13, v6
	v_sub_u32_e32 v12, 29, v12
	v_and_b32_e32 v6, 7, v6
	v_cmp_eq_u16_e32 vcc, 0, v11
	v_cndmask_b32_e32 v6, v10, v6, vcc
	v_cndmask_b32_e32 v10, v11, v12, vcc
	v_lshlrev_b32_e32 v11, 16, v3
	v_mov_b32_e32 v12, 0x3b800000
	v_lshlrev_b32_e32 v6, 20, v6
	v_and_b32_e32 v11, 0x80000000, v11
	v_lshl_add_u32 v10, v10, 23, v12
	v_or3_b32 v10, v11, v10, v6
.LBB14_944:
	s_or_b64 exec, exec, s[6:7]
	s_nop 0
	v_mfma_f32_16x16x4f32 a[0:3], v2, v10, a[0:3]
	s_movk_i32 s4, 0xff
	v_and_b32_sdwa v6, v7, s4 dst_sel:DWORD dst_unused:UNUSED_PAD src0_sel:WORD_1 src1_sel:DWORD
	s_movk_i32 s4, 0x7f
	v_cmp_lt_i16_e32 vcc, s4, v6
	s_mov_b64 s[4:5], 0
                                        ; implicit-def: $sgpr10
	s_and_saveexec_b64 s[6:7], vcc
	s_xor_b64 s[6:7], exec, s[6:7]
	s_cbranch_execnz .LBB14_2993
; %bb.945:
	s_or_saveexec_b64 s[6:7], s[6:7]
	v_mov_b32_e32 v2, s10
	s_xor_b64 exec, exec, s[6:7]
	s_cbranch_execnz .LBB14_2996
.LBB14_946:
	s_or_b64 exec, exec, s[6:7]
	s_and_saveexec_b64 s[6:7], s[4:5]
	s_cbranch_execz .LBB14_948
.LBB14_947:
	v_bfe_u32 v2, v7, 16, 3
	v_ffbh_u32_e32 v11, v2
	v_min_u32_e32 v11, 32, v11
	v_lshrrev_b32_e32 v6, 19, v7
	v_subrev_u32_e32 v12, 28, v11
	v_and_b32_e32 v6, 15, v6
	v_lshlrev_b32_sdwa v12, v12, v7 dst_sel:DWORD dst_unused:UNUSED_PAD src0_sel:DWORD src1_sel:WORD_1
	v_bfe_u32 v10, v7, 19, 4
	v_sub_u32_e32 v11, 29, v11
	v_and_b32_e32 v12, 7, v12
	v_cmp_eq_u16_e32 vcc, 0, v6
	v_cndmask_b32_e32 v2, v2, v12, vcc
	v_cndmask_b32_e32 v6, v10, v11, vcc
	v_lshlrev_b32_e32 v10, 8, v7
	v_mov_b32_e32 v11, 0x3b800000
	v_lshlrev_b32_e32 v2, 20, v2
	v_and_b32_e32 v10, 0x80000000, v10
	v_lshl_add_u32 v6, v6, 23, v11
	v_or3_b32 v2, v10, v6, v2
.LBB14_948:
	s_or_b64 exec, exec, s[6:7]
	s_movk_i32 s4, 0xff
	v_and_b32_sdwa v6, v3, s4 dst_sel:DWORD dst_unused:UNUSED_PAD src0_sel:WORD_1 src1_sel:DWORD
	s_movk_i32 s4, 0x7f
	v_cmp_lt_i16_e32 vcc, s4, v6
	s_mov_b64 s[4:5], 0
                                        ; implicit-def: $sgpr10
	s_and_saveexec_b64 s[6:7], vcc
	s_xor_b64 s[6:7], exec, s[6:7]
	s_cbranch_execnz .LBB14_2997
; %bb.949:
	s_or_saveexec_b64 s[6:7], s[6:7]
	v_mov_b32_e32 v10, s10
	s_xor_b64 exec, exec, s[6:7]
	s_cbranch_execnz .LBB14_3000
.LBB14_950:
	s_or_b64 exec, exec, s[6:7]
	s_and_saveexec_b64 s[6:7], s[4:5]
	s_cbranch_execz .LBB14_952
.LBB14_951:
	v_bfe_u32 v6, v3, 16, 3
	v_ffbh_u32_e32 v12, v6
	v_min_u32_e32 v12, 32, v12
	v_lshrrev_b32_e32 v10, 19, v3
	v_subrev_u32_e32 v13, 28, v12
	v_and_b32_e32 v10, 15, v10
	v_lshlrev_b32_sdwa v13, v13, v3 dst_sel:DWORD dst_unused:UNUSED_PAD src0_sel:DWORD src1_sel:WORD_1
	v_bfe_u32 v11, v3, 19, 4
	v_sub_u32_e32 v12, 29, v12
	v_and_b32_e32 v13, 7, v13
	v_cmp_eq_u16_e32 vcc, 0, v10
	v_cndmask_b32_e32 v6, v6, v13, vcc
	v_cndmask_b32_e32 v10, v11, v12, vcc
	v_lshlrev_b32_e32 v11, 8, v3
	v_mov_b32_e32 v12, 0x3b800000
	v_lshlrev_b32_e32 v6, 20, v6
	v_and_b32_e32 v11, 0x80000000, v11
	v_lshl_add_u32 v10, v10, 23, v12
	v_or3_b32 v10, v11, v10, v6
.LBB14_952:
	s_or_b64 exec, exec, s[6:7]
	s_nop 0
	v_mfma_f32_16x16x4f32 a[0:3], v2, v10, a[0:3]
	s_movk_i32 s4, 0x7f
	v_cmp_gt_i16_sdwa s[6:7], v7, s4 src0_sel:BYTE_3 src1_sel:DWORD
	s_mov_b64 s[4:5], 0
                                        ; implicit-def: $sgpr10
	s_and_saveexec_b64 s[8:9], s[6:7]
	s_xor_b64 s[6:7], exec, s[8:9]
	s_cbranch_execnz .LBB14_3001
; %bb.953:
	s_or_saveexec_b64 s[6:7], s[6:7]
	v_mov_b32_e32 v2, s10
	s_xor_b64 exec, exec, s[6:7]
	s_cbranch_execnz .LBB14_3004
.LBB14_954:
	s_or_b64 exec, exec, s[6:7]
	s_and_saveexec_b64 s[6:7], s[4:5]
	s_cbranch_execz .LBB14_956
.LBB14_955:
	v_bfe_u32 v2, v7, 24, 3
	v_ffbh_u32_e32 v12, v2
	v_min_u32_e32 v12, 32, v12
	v_lshrrev_b32_e32 v10, 27, v7
	v_subrev_u32_e32 v13, 28, v12
	v_and_b32_e32 v6, 0x80000000, v7
	v_and_b32_e32 v10, 15, v10
	v_bfe_u32 v11, v7, 27, 4
	v_lshlrev_b32_sdwa v7, v13, v7 dst_sel:DWORD dst_unused:UNUSED_PAD src0_sel:DWORD src1_sel:BYTE_3
	v_sub_u32_e32 v12, 29, v12
	v_and_b32_e32 v7, 7, v7
	v_cmp_eq_u16_e32 vcc, 0, v10
	v_cndmask_b32_e32 v2, v2, v7, vcc
	v_cndmask_b32_e32 v7, v11, v12, vcc
	v_mov_b32_e32 v10, 0x3b800000
	v_lshlrev_b32_e32 v2, 20, v2
	v_lshl_add_u32 v7, v7, 23, v10
	v_or3_b32 v2, v6, v7, v2
.LBB14_956:
	s_or_b64 exec, exec, s[6:7]
	s_movk_i32 s4, 0x7f
	v_cmp_gt_i16_sdwa s[6:7], v3, s4 src0_sel:BYTE_3 src1_sel:DWORD
	s_mov_b64 s[4:5], 0
                                        ; implicit-def: $sgpr10
	s_and_saveexec_b64 s[8:9], s[6:7]
	s_xor_b64 s[6:7], exec, s[8:9]
	s_cbranch_execnz .LBB14_3005
; %bb.957:
	s_or_saveexec_b64 s[6:7], s[6:7]
	v_mov_b32_e32 v6, s10
	s_xor_b64 exec, exec, s[6:7]
	s_cbranch_execnz .LBB14_3008
.LBB14_958:
	s_or_b64 exec, exec, s[6:7]
	s_and_saveexec_b64 s[6:7], s[4:5]
	s_cbranch_execz .LBB14_960
.LBB14_959:
	v_bfe_u32 v6, v3, 24, 3
	v_ffbh_u32_e32 v12, v6
	v_min_u32_e32 v12, 32, v12
	v_lshrrev_b32_e32 v10, 27, v3
	v_subrev_u32_e32 v13, 28, v12
	v_and_b32_e32 v7, 0x80000000, v3
	v_and_b32_e32 v10, 15, v10
	v_bfe_u32 v11, v3, 27, 4
	v_lshlrev_b32_sdwa v3, v13, v3 dst_sel:DWORD dst_unused:UNUSED_PAD src0_sel:DWORD src1_sel:BYTE_3
	v_sub_u32_e32 v12, 29, v12
	v_and_b32_e32 v3, 7, v3
	v_cmp_eq_u16_e32 vcc, 0, v10
	v_cndmask_b32_e32 v3, v6, v3, vcc
	v_cndmask_b32_e32 v6, v11, v12, vcc
	v_mov_b32_e32 v10, 0x3b800000
	v_lshlrev_b32_e32 v3, 20, v3
	v_lshl_add_u32 v6, v6, 23, v10
	v_or3_b32 v6, v7, v6, v3
.LBB14_960:
	s_or_b64 exec, exec, s[6:7]
	s_nop 0
	v_mfma_f32_16x16x4f32 a[0:3], v2, v6, a[0:3]
	s_movk_i32 s4, 0x7f
	v_cmp_gt_i16_sdwa s[6:7], v8, s4 src0_sel:BYTE_0 src1_sel:DWORD
	s_mov_b64 s[4:5], 0
                                        ; implicit-def: $sgpr10
	s_and_saveexec_b64 s[8:9], s[6:7]
	s_xor_b64 s[6:7], exec, s[8:9]
	s_cbranch_execnz .LBB14_3009
; %bb.961:
	s_or_saveexec_b64 s[6:7], s[6:7]
	v_mov_b32_e32 v2, s10
	s_xor_b64 exec, exec, s[6:7]
	s_cbranch_execnz .LBB14_3012
.LBB14_962:
	s_or_b64 exec, exec, s[6:7]
	s_and_saveexec_b64 s[6:7], s[4:5]
	s_cbranch_execz .LBB14_964
.LBB14_963:
	v_and_b32_e32 v2, 7, v8
	v_ffbh_u32_e32 v6, v2
	v_min_u32_e32 v6, 32, v6
	v_lshrrev_b16_e32 v3, 3, v8
	v_subrev_u32_e32 v7, 28, v6
	v_and_b32_e32 v3, 15, v3
	v_lshlrev_b32_e32 v7, v7, v8
	v_sub_u32_e32 v6, 29, v6
	v_and_b32_e32 v7, 7, v7
	v_cmp_eq_u16_e32 vcc, 0, v3
	v_cndmask_b32_e32 v2, v2, v7, vcc
	v_cndmask_b32_e32 v3, v3, v6, vcc
	v_lshlrev_b32_e32 v6, 24, v8
	v_mov_b32_e32 v7, 0x3b800000
	v_lshlrev_b32_e32 v2, 20, v2
	v_and_b32_e32 v6, 0x80000000, v6
	v_lshl_add_u32 v3, v3, 23, v7
	v_or3_b32 v2, v6, v3, v2
.LBB14_964:
	s_or_b64 exec, exec, s[6:7]
	s_movk_i32 s4, 0x7f
	v_cmp_gt_i16_sdwa s[6:7], v4, s4 src0_sel:BYTE_0 src1_sel:DWORD
	s_mov_b64 s[4:5], 0
                                        ; implicit-def: $sgpr10
	s_and_saveexec_b64 s[8:9], s[6:7]
	s_xor_b64 s[6:7], exec, s[8:9]
	s_cbranch_execnz .LBB14_3013
; %bb.965:
	s_or_saveexec_b64 s[6:7], s[6:7]
	v_mov_b32_e32 v3, s10
	s_xor_b64 exec, exec, s[6:7]
	s_cbranch_execnz .LBB14_3016
.LBB14_966:
	s_or_b64 exec, exec, s[6:7]
	s_and_saveexec_b64 s[6:7], s[4:5]
	s_cbranch_execz .LBB14_968
.LBB14_967:
	v_and_b32_e32 v3, 7, v4
	v_ffbh_u32_e32 v7, v3
	v_min_u32_e32 v7, 32, v7
	v_lshrrev_b16_e32 v6, 3, v4
	v_subrev_u32_e32 v10, 28, v7
	v_and_b32_e32 v6, 15, v6
	v_lshlrev_b32_e32 v10, v10, v4
	v_sub_u32_e32 v7, 29, v7
	v_and_b32_e32 v10, 7, v10
	v_cmp_eq_u16_e32 vcc, 0, v6
	v_cndmask_b32_e32 v3, v3, v10, vcc
	v_cndmask_b32_e32 v6, v6, v7, vcc
	v_lshlrev_b32_e32 v7, 24, v4
	v_mov_b32_e32 v10, 0x3b800000
	v_lshlrev_b32_e32 v3, 20, v3
	v_and_b32_e32 v7, 0x80000000, v7
	v_lshl_add_u32 v6, v6, 23, v10
	v_or3_b32 v3, v7, v6, v3
.LBB14_968:
	s_or_b64 exec, exec, s[6:7]
	s_nop 0
	v_mfma_f32_16x16x4f32 a[0:3], v2, v3, a[0:3]
	v_lshrrev_b32_e32 v3, 8, v8
	s_movk_i32 s4, 0x7f
	v_cmp_gt_i16_sdwa s[6:7], v3, s4 src0_sel:BYTE_0 src1_sel:DWORD
	s_mov_b64 s[4:5], 0
                                        ; implicit-def: $sgpr10
	s_and_saveexec_b64 s[8:9], s[6:7]
	s_xor_b64 s[6:7], exec, s[8:9]
	s_cbranch_execnz .LBB14_3017
; %bb.969:
	s_or_saveexec_b64 s[6:7], s[6:7]
	v_mov_b32_e32 v2, s10
	s_xor_b64 exec, exec, s[6:7]
	s_cbranch_execnz .LBB14_3020
.LBB14_970:
	s_or_b64 exec, exec, s[6:7]
	s_and_saveexec_b64 s[6:7], s[4:5]
	s_cbranch_execz .LBB14_972
.LBB14_971:
	v_bfe_u32 v2, v8, 8, 3
	v_ffbh_u32_e32 v7, v2
	v_min_u32_e32 v7, 32, v7
	v_lshrrev_b16_e32 v6, 3, v3
	v_subrev_u32_e32 v10, 28, v7
	v_and_b32_e32 v6, 15, v6
	v_lshlrev_b32_e32 v3, v10, v3
	v_sub_u32_e32 v7, 29, v7
	v_and_b32_e32 v3, 7, v3
	v_cmp_eq_u16_e32 vcc, 0, v6
	v_cndmask_b32_e32 v2, v2, v3, vcc
	v_cndmask_b32_e32 v3, v6, v7, vcc
	v_lshlrev_b32_e32 v6, 16, v8
	v_mov_b32_e32 v7, 0x3b800000
	v_lshlrev_b32_e32 v2, 20, v2
	v_and_b32_e32 v6, 0x80000000, v6
	v_lshl_add_u32 v3, v3, 23, v7
	v_or3_b32 v2, v6, v3, v2
.LBB14_972:
	s_or_b64 exec, exec, s[6:7]
	v_lshrrev_b32_e32 v3, 8, v4
	s_movk_i32 s4, 0x7f
	v_cmp_gt_i16_sdwa s[6:7], v3, s4 src0_sel:BYTE_0 src1_sel:DWORD
	s_mov_b64 s[4:5], 0
                                        ; implicit-def: $sgpr10
	s_and_saveexec_b64 s[8:9], s[6:7]
	s_xor_b64 s[6:7], exec, s[8:9]
	s_cbranch_execnz .LBB14_3021
; %bb.973:
	s_or_saveexec_b64 s[6:7], s[6:7]
	v_mov_b32_e32 v6, s10
	s_xor_b64 exec, exec, s[6:7]
	s_cbranch_execnz .LBB14_3024
.LBB14_974:
	s_or_b64 exec, exec, s[6:7]
	s_and_saveexec_b64 s[6:7], s[4:5]
	s_cbranch_execz .LBB14_976
.LBB14_975:
	v_bfe_u32 v6, v4, 8, 3
	v_ffbh_u32_e32 v10, v6
	v_min_u32_e32 v10, 32, v10
	v_lshrrev_b16_e32 v7, 3, v3
	v_subrev_u32_e32 v11, 28, v10
	v_and_b32_e32 v7, 15, v7
	v_lshlrev_b32_e32 v3, v11, v3
	v_sub_u32_e32 v10, 29, v10
	v_and_b32_e32 v3, 7, v3
	v_cmp_eq_u16_e32 vcc, 0, v7
	v_cndmask_b32_e32 v3, v6, v3, vcc
	v_cndmask_b32_e32 v6, v7, v10, vcc
	v_lshlrev_b32_e32 v7, 16, v4
	v_mov_b32_e32 v10, 0x3b800000
	v_lshlrev_b32_e32 v3, 20, v3
	v_and_b32_e32 v7, 0x80000000, v7
	v_lshl_add_u32 v6, v6, 23, v10
	v_or3_b32 v6, v7, v6, v3
.LBB14_976:
	s_or_b64 exec, exec, s[6:7]
	s_nop 0
	v_mfma_f32_16x16x4f32 a[0:3], v2, v6, a[0:3]
	s_movk_i32 s4, 0xff
	v_and_b32_sdwa v3, v8, s4 dst_sel:DWORD dst_unused:UNUSED_PAD src0_sel:WORD_1 src1_sel:DWORD
	s_movk_i32 s4, 0x7f
	v_cmp_lt_i16_e32 vcc, s4, v3
	s_mov_b64 s[4:5], 0
                                        ; implicit-def: $sgpr10
	s_and_saveexec_b64 s[6:7], vcc
	s_xor_b64 s[6:7], exec, s[6:7]
	s_cbranch_execnz .LBB14_3025
; %bb.977:
	s_or_saveexec_b64 s[6:7], s[6:7]
	v_mov_b32_e32 v2, s10
	s_xor_b64 exec, exec, s[6:7]
	s_cbranch_execnz .LBB14_3028
.LBB14_978:
	s_or_b64 exec, exec, s[6:7]
	s_and_saveexec_b64 s[6:7], s[4:5]
	s_cbranch_execz .LBB14_980
.LBB14_979:
	v_bfe_u32 v2, v8, 16, 3
	v_ffbh_u32_e32 v7, v2
	v_min_u32_e32 v7, 32, v7
	v_lshrrev_b32_e32 v3, 19, v8
	v_subrev_u32_e32 v10, 28, v7
	v_and_b32_e32 v3, 15, v3
	v_lshlrev_b32_sdwa v10, v10, v8 dst_sel:DWORD dst_unused:UNUSED_PAD src0_sel:DWORD src1_sel:WORD_1
	v_bfe_u32 v6, v8, 19, 4
	v_sub_u32_e32 v7, 29, v7
	v_and_b32_e32 v10, 7, v10
	v_cmp_eq_u16_e32 vcc, 0, v3
	v_cndmask_b32_e32 v2, v2, v10, vcc
	v_cndmask_b32_e32 v3, v6, v7, vcc
	v_lshlrev_b32_e32 v6, 8, v8
	v_mov_b32_e32 v7, 0x3b800000
	v_lshlrev_b32_e32 v2, 20, v2
	v_and_b32_e32 v6, 0x80000000, v6
	v_lshl_add_u32 v3, v3, 23, v7
	v_or3_b32 v2, v6, v3, v2
.LBB14_980:
	s_or_b64 exec, exec, s[6:7]
	s_movk_i32 s4, 0xff
	v_and_b32_sdwa v3, v4, s4 dst_sel:DWORD dst_unused:UNUSED_PAD src0_sel:WORD_1 src1_sel:DWORD
	s_movk_i32 s4, 0x7f
	v_cmp_lt_i16_e32 vcc, s4, v3
	s_mov_b64 s[4:5], 0
                                        ; implicit-def: $sgpr10
	s_and_saveexec_b64 s[6:7], vcc
	s_xor_b64 s[6:7], exec, s[6:7]
	s_cbranch_execnz .LBB14_3029
; %bb.981:
	s_or_saveexec_b64 s[6:7], s[6:7]
	v_mov_b32_e32 v6, s10
	s_xor_b64 exec, exec, s[6:7]
	s_cbranch_execnz .LBB14_3032
.LBB14_982:
	s_or_b64 exec, exec, s[6:7]
	s_and_saveexec_b64 s[6:7], s[4:5]
	s_cbranch_execz .LBB14_984
.LBB14_983:
	v_bfe_u32 v3, v4, 16, 3
	v_ffbh_u32_e32 v10, v3
	v_min_u32_e32 v10, 32, v10
	v_lshrrev_b32_e32 v6, 19, v4
	v_subrev_u32_e32 v11, 28, v10
	v_and_b32_e32 v6, 15, v6
	v_lshlrev_b32_sdwa v11, v11, v4 dst_sel:DWORD dst_unused:UNUSED_PAD src0_sel:DWORD src1_sel:WORD_1
	v_bfe_u32 v7, v4, 19, 4
	v_sub_u32_e32 v10, 29, v10
	v_and_b32_e32 v11, 7, v11
	v_cmp_eq_u16_e32 vcc, 0, v6
	v_cndmask_b32_e32 v3, v3, v11, vcc
	v_cndmask_b32_e32 v6, v7, v10, vcc
	v_lshlrev_b32_e32 v7, 8, v4
	v_mov_b32_e32 v10, 0x3b800000
	v_lshlrev_b32_e32 v3, 20, v3
	v_and_b32_e32 v7, 0x80000000, v7
	v_lshl_add_u32 v6, v6, 23, v10
	v_or3_b32 v6, v7, v6, v3
.LBB14_984:
	s_or_b64 exec, exec, s[6:7]
	s_nop 0
	v_mfma_f32_16x16x4f32 a[0:3], v2, v6, a[0:3]
	s_movk_i32 s4, 0x7f
	v_cmp_gt_i16_sdwa s[6:7], v8, s4 src0_sel:BYTE_3 src1_sel:DWORD
	s_mov_b64 s[4:5], 0
                                        ; implicit-def: $sgpr10
	s_and_saveexec_b64 s[8:9], s[6:7]
	s_xor_b64 s[6:7], exec, s[8:9]
	s_cbranch_execnz .LBB14_3033
; %bb.985:
	s_or_saveexec_b64 s[6:7], s[6:7]
	v_mov_b32_e32 v2, s10
	s_xor_b64 exec, exec, s[6:7]
	s_cbranch_execnz .LBB14_3036
.LBB14_986:
	s_or_b64 exec, exec, s[6:7]
	s_and_saveexec_b64 s[6:7], s[4:5]
	s_cbranch_execz .LBB14_988
.LBB14_987:
	v_bfe_u32 v2, v8, 24, 3
	v_ffbh_u32_e32 v10, v2
	v_min_u32_e32 v10, 32, v10
	v_lshrrev_b32_e32 v6, 27, v8
	v_subrev_u32_e32 v11, 28, v10
	v_and_b32_e32 v3, 0x80000000, v8
	v_and_b32_e32 v6, 15, v6
	v_bfe_u32 v7, v8, 27, 4
	v_lshlrev_b32_sdwa v8, v11, v8 dst_sel:DWORD dst_unused:UNUSED_PAD src0_sel:DWORD src1_sel:BYTE_3
	v_sub_u32_e32 v10, 29, v10
	v_and_b32_e32 v8, 7, v8
	v_cmp_eq_u16_e32 vcc, 0, v6
	v_cndmask_b32_e32 v2, v2, v8, vcc
	v_cndmask_b32_e32 v6, v7, v10, vcc
	v_mov_b32_e32 v7, 0x3b800000
	v_lshlrev_b32_e32 v2, 20, v2
	v_lshl_add_u32 v6, v6, 23, v7
	v_or3_b32 v2, v3, v6, v2
.LBB14_988:
	s_or_b64 exec, exec, s[6:7]
	s_movk_i32 s4, 0x7f
	v_cmp_gt_i16_sdwa s[6:7], v4, s4 src0_sel:BYTE_3 src1_sel:DWORD
	s_mov_b64 s[4:5], 0
                                        ; implicit-def: $sgpr10
	s_and_saveexec_b64 s[8:9], s[6:7]
	s_xor_b64 s[6:7], exec, s[8:9]
	s_cbranch_execnz .LBB14_3037
; %bb.989:
	s_or_saveexec_b64 s[6:7], s[6:7]
	v_mov_b32_e32 v3, s10
	s_xor_b64 exec, exec, s[6:7]
	s_cbranch_execnz .LBB14_3040
.LBB14_990:
	s_or_b64 exec, exec, s[6:7]
	s_and_saveexec_b64 s[6:7], s[4:5]
	s_cbranch_execz .LBB14_992
.LBB14_991:
	v_bfe_u32 v3, v4, 24, 3
	v_ffbh_u32_e32 v10, v3
	v_min_u32_e32 v10, 32, v10
	v_lshrrev_b32_e32 v7, 27, v4
	v_subrev_u32_e32 v11, 28, v10
	v_and_b32_e32 v6, 0x80000000, v4
	v_and_b32_e32 v7, 15, v7
	v_bfe_u32 v8, v4, 27, 4
	v_lshlrev_b32_sdwa v4, v11, v4 dst_sel:DWORD dst_unused:UNUSED_PAD src0_sel:DWORD src1_sel:BYTE_3
	v_sub_u32_e32 v10, 29, v10
	v_and_b32_e32 v4, 7, v4
	v_cmp_eq_u16_e32 vcc, 0, v7
	v_cndmask_b32_e32 v3, v3, v4, vcc
	v_cndmask_b32_e32 v4, v8, v10, vcc
	v_mov_b32_e32 v7, 0x3b800000
	v_lshlrev_b32_e32 v3, 20, v3
	v_lshl_add_u32 v4, v4, 23, v7
	v_or3_b32 v3, v6, v4, v3
.LBB14_992:
	s_or_b64 exec, exec, s[6:7]
	s_nop 0
	v_mfma_f32_16x16x4f32 a[0:3], v2, v3, a[0:3]
	s_movk_i32 s4, 0x7f
	v_cmp_gt_i16_sdwa s[6:7], v9, s4 src0_sel:BYTE_0 src1_sel:DWORD
	s_mov_b64 s[4:5], 0
                                        ; implicit-def: $sgpr10
	s_and_saveexec_b64 s[8:9], s[6:7]
	s_xor_b64 s[6:7], exec, s[8:9]
	s_cbranch_execnz .LBB14_3041
; %bb.993:
	s_or_saveexec_b64 s[6:7], s[6:7]
	v_mov_b32_e32 v2, s10
	s_xor_b64 exec, exec, s[6:7]
	s_cbranch_execnz .LBB14_3044
.LBB14_994:
	s_or_b64 exec, exec, s[6:7]
	s_and_saveexec_b64 s[6:7], s[4:5]
	s_cbranch_execz .LBB14_996
.LBB14_995:
	v_mov_b32_e32 v2, 8
	v_and_b32_e32 v3, 7, v9
	v_lshrrev_b32_sdwa v2, v2, v9 dst_sel:BYTE_1 dst_unused:UNUSED_PAD src0_sel:DWORD src1_sel:DWORD
	v_ffbh_u32_e32 v4, v3
	v_or_b32_sdwa v2, v9, v2 dst_sel:DWORD dst_unused:UNUSED_PAD src0_sel:BYTE_0 src1_sel:DWORD
	v_min_u32_e32 v4, 32, v4
	v_lshrrev_b16_e32 v2, 3, v2
	v_subrev_u32_e32 v6, 28, v4
	v_and_b32_e32 v2, 15, v2
	v_lshlrev_b32_e32 v6, v6, v9
	v_sub_u32_e32 v4, 29, v4
	v_and_b32_e32 v6, 7, v6
	v_cmp_eq_u16_e32 vcc, 0, v2
	v_cndmask_b32_e32 v3, v3, v6, vcc
	v_cndmask_b32_e32 v2, v2, v4, vcc
	v_lshlrev_b32_e32 v4, 24, v9
	v_mov_b32_e32 v6, 0x3b800000
	v_lshlrev_b32_e32 v3, 20, v3
	v_and_b32_e32 v4, 0x80000000, v4
	v_lshl_add_u32 v2, v2, 23, v6
	v_or3_b32 v2, v4, v2, v3
.LBB14_996:
	s_or_b64 exec, exec, s[6:7]
	s_movk_i32 s4, 0x7f
	v_cmp_gt_i16_sdwa s[6:7], v5, s4 src0_sel:BYTE_0 src1_sel:DWORD
	s_mov_b64 s[4:5], 0
                                        ; implicit-def: $sgpr10
	s_and_saveexec_b64 s[8:9], s[6:7]
	s_xor_b64 s[6:7], exec, s[8:9]
	s_cbranch_execnz .LBB14_3045
; %bb.997:
	s_or_saveexec_b64 s[6:7], s[6:7]
	v_mov_b32_e32 v3, s10
	s_xor_b64 exec, exec, s[6:7]
	s_cbranch_execnz .LBB14_3048
.LBB14_998:
	s_or_b64 exec, exec, s[6:7]
	s_and_saveexec_b64 s[6:7], s[4:5]
	s_cbranch_execz .LBB14_1000
.LBB14_999:
	v_mov_b32_e32 v3, 8
	v_and_b32_e32 v4, 7, v5
	v_lshrrev_b32_sdwa v3, v3, v5 dst_sel:BYTE_1 dst_unused:UNUSED_PAD src0_sel:DWORD src1_sel:DWORD
	v_ffbh_u32_e32 v6, v4
	v_or_b32_sdwa v3, v5, v3 dst_sel:DWORD dst_unused:UNUSED_PAD src0_sel:BYTE_0 src1_sel:DWORD
	v_min_u32_e32 v6, 32, v6
	v_lshrrev_b16_e32 v3, 3, v3
	v_subrev_u32_e32 v7, 28, v6
	v_and_b32_e32 v3, 15, v3
	v_lshlrev_b32_e32 v7, v7, v5
	v_sub_u32_e32 v6, 29, v6
	v_and_b32_e32 v7, 7, v7
	v_cmp_eq_u16_e32 vcc, 0, v3
	v_cndmask_b32_e32 v4, v4, v7, vcc
	v_cndmask_b32_e32 v3, v3, v6, vcc
	v_lshlrev_b32_e32 v6, 24, v5
	v_mov_b32_e32 v7, 0x3b800000
	v_lshlrev_b32_e32 v4, 20, v4
	v_and_b32_e32 v6, 0x80000000, v6
	v_lshl_add_u32 v3, v3, 23, v7
	v_or3_b32 v3, v6, v3, v4
.LBB14_1000:
	s_or_b64 exec, exec, s[6:7]
	s_nop 0
	v_mfma_f32_16x16x4f32 a[0:3], v2, v3, a[0:3]
	v_lshrrev_b32_e32 v3, 8, v9
	s_movk_i32 s4, 0x7f
	v_cmp_gt_i16_sdwa s[6:7], v3, s4 src0_sel:BYTE_0 src1_sel:DWORD
	s_mov_b64 s[4:5], 0
                                        ; implicit-def: $sgpr10
	s_and_saveexec_b64 s[8:9], s[6:7]
	s_xor_b64 s[6:7], exec, s[8:9]
	s_cbranch_execnz .LBB14_3049
; %bb.1001:
	s_or_saveexec_b64 s[6:7], s[6:7]
	v_mov_b32_e32 v2, s10
	s_xor_b64 exec, exec, s[6:7]
	s_cbranch_execnz .LBB14_3052
.LBB14_1002:
	s_or_b64 exec, exec, s[6:7]
	s_and_saveexec_b64 s[6:7], s[4:5]
	s_cbranch_execz .LBB14_1004
.LBB14_1003:
	v_bfe_u32 v2, v9, 8, 3
	v_ffbh_u32_e32 v6, v2
	v_min_u32_e32 v6, 32, v6
	v_lshrrev_b16_e32 v4, 3, v3
	v_subrev_u32_e32 v7, 28, v6
	v_and_b32_e32 v4, 15, v4
	v_lshlrev_b32_e32 v3, v7, v3
	v_sub_u32_e32 v6, 29, v6
	v_and_b32_e32 v3, 7, v3
	v_cmp_eq_u16_e32 vcc, 0, v4
	v_cndmask_b32_e32 v2, v2, v3, vcc
	v_cndmask_b32_e32 v3, v4, v6, vcc
	v_lshlrev_b32_e32 v4, 16, v9
	v_mov_b32_e32 v6, 0x3b800000
	v_lshlrev_b32_e32 v2, 20, v2
	v_and_b32_e32 v4, 0x80000000, v4
	v_lshl_add_u32 v3, v3, 23, v6
	v_or3_b32 v2, v4, v3, v2
.LBB14_1004:
	s_or_b64 exec, exec, s[6:7]
	v_lshrrev_b32_e32 v3, 8, v5
	s_movk_i32 s4, 0x7f
	v_cmp_gt_i16_sdwa s[6:7], v3, s4 src0_sel:BYTE_0 src1_sel:DWORD
	s_mov_b64 s[4:5], 0
                                        ; implicit-def: $sgpr10
	s_and_saveexec_b64 s[8:9], s[6:7]
	s_xor_b64 s[6:7], exec, s[8:9]
	s_cbranch_execnz .LBB14_3053
; %bb.1005:
	s_or_saveexec_b64 s[6:7], s[6:7]
	v_mov_b32_e32 v4, s10
	s_xor_b64 exec, exec, s[6:7]
	s_cbranch_execnz .LBB14_3056
.LBB14_1006:
	s_or_b64 exec, exec, s[6:7]
	s_and_saveexec_b64 s[6:7], s[4:5]
	s_cbranch_execz .LBB14_1008
.LBB14_1007:
	v_bfe_u32 v4, v5, 8, 3
	v_ffbh_u32_e32 v7, v4
	v_min_u32_e32 v7, 32, v7
	v_lshrrev_b16_e32 v6, 3, v3
	v_subrev_u32_e32 v8, 28, v7
	v_and_b32_e32 v6, 15, v6
	v_lshlrev_b32_e32 v3, v8, v3
	v_sub_u32_e32 v7, 29, v7
	v_and_b32_e32 v3, 7, v3
	v_cmp_eq_u16_e32 vcc, 0, v6
	v_cndmask_b32_e32 v3, v4, v3, vcc
	v_cndmask_b32_e32 v4, v6, v7, vcc
	v_lshlrev_b32_e32 v6, 16, v5
	v_mov_b32_e32 v7, 0x3b800000
	v_lshlrev_b32_e32 v3, 20, v3
	v_and_b32_e32 v6, 0x80000000, v6
	v_lshl_add_u32 v4, v4, 23, v7
	v_or3_b32 v4, v6, v4, v3
.LBB14_1008:
	s_or_b64 exec, exec, s[6:7]
	s_nop 0
	v_mfma_f32_16x16x4f32 a[0:3], v2, v4, a[0:3]
	s_movk_i32 s4, 0xff
	v_and_b32_sdwa v3, v9, s4 dst_sel:DWORD dst_unused:UNUSED_PAD src0_sel:WORD_1 src1_sel:DWORD
	s_movk_i32 s4, 0x7f
	v_cmp_lt_i16_e32 vcc, s4, v3
	s_mov_b64 s[4:5], 0
                                        ; implicit-def: $sgpr10
	s_and_saveexec_b64 s[6:7], vcc
	s_xor_b64 s[6:7], exec, s[6:7]
	s_cbranch_execnz .LBB14_3057
; %bb.1009:
	s_or_saveexec_b64 s[6:7], s[6:7]
	v_mov_b32_e32 v2, s10
	s_xor_b64 exec, exec, s[6:7]
	s_cbranch_execnz .LBB14_3060
.LBB14_1010:
	s_or_b64 exec, exec, s[6:7]
	s_and_saveexec_b64 s[6:7], s[4:5]
	s_cbranch_execz .LBB14_1012
.LBB14_1011:
	v_bfe_u32 v2, v9, 16, 3
	v_ffbh_u32_e32 v6, v2
	v_min_u32_e32 v6, 32, v6
	v_lshrrev_b32_e32 v3, 19, v9
	v_subrev_u32_e32 v7, 28, v6
	v_and_b32_e32 v3, 15, v3
	v_lshlrev_b32_sdwa v7, v7, v9 dst_sel:DWORD dst_unused:UNUSED_PAD src0_sel:DWORD src1_sel:WORD_1
	v_bfe_u32 v4, v9, 19, 4
	v_sub_u32_e32 v6, 29, v6
	v_and_b32_e32 v7, 7, v7
	v_cmp_eq_u16_e32 vcc, 0, v3
	v_cndmask_b32_e32 v2, v2, v7, vcc
	v_cndmask_b32_e32 v3, v4, v6, vcc
	v_lshlrev_b32_e32 v4, 8, v9
	v_mov_b32_e32 v6, 0x3b800000
	v_lshlrev_b32_e32 v2, 20, v2
	v_and_b32_e32 v4, 0x80000000, v4
	v_lshl_add_u32 v3, v3, 23, v6
	v_or3_b32 v2, v4, v3, v2
.LBB14_1012:
	s_or_b64 exec, exec, s[6:7]
	s_movk_i32 s4, 0xff
	v_and_b32_sdwa v3, v5, s4 dst_sel:DWORD dst_unused:UNUSED_PAD src0_sel:WORD_1 src1_sel:DWORD
	s_movk_i32 s4, 0x7f
	v_cmp_lt_i16_e32 vcc, s4, v3
	s_mov_b64 s[4:5], 0
                                        ; implicit-def: $sgpr10
	s_and_saveexec_b64 s[6:7], vcc
	s_xor_b64 s[6:7], exec, s[6:7]
	s_cbranch_execnz .LBB14_3061
; %bb.1013:
	s_or_saveexec_b64 s[6:7], s[6:7]
	v_mov_b32_e32 v4, s10
	s_xor_b64 exec, exec, s[6:7]
	s_cbranch_execnz .LBB14_3064
.LBB14_1014:
	s_or_b64 exec, exec, s[6:7]
	s_and_saveexec_b64 s[6:7], s[4:5]
	s_cbranch_execz .LBB14_1016
.LBB14_1015:
	v_bfe_u32 v3, v5, 16, 3
	v_ffbh_u32_e32 v7, v3
	v_min_u32_e32 v7, 32, v7
	v_lshrrev_b32_e32 v4, 19, v5
	v_subrev_u32_e32 v8, 28, v7
	v_and_b32_e32 v4, 15, v4
	v_lshlrev_b32_sdwa v8, v8, v5 dst_sel:DWORD dst_unused:UNUSED_PAD src0_sel:DWORD src1_sel:WORD_1
	v_bfe_u32 v6, v5, 19, 4
	v_sub_u32_e32 v7, 29, v7
	v_and_b32_e32 v8, 7, v8
	v_cmp_eq_u16_e32 vcc, 0, v4
	v_cndmask_b32_e32 v3, v3, v8, vcc
	v_cndmask_b32_e32 v4, v6, v7, vcc
	v_lshlrev_b32_e32 v6, 8, v5
	v_mov_b32_e32 v7, 0x3b800000
	v_lshlrev_b32_e32 v3, 20, v3
	v_and_b32_e32 v6, 0x80000000, v6
	v_lshl_add_u32 v4, v4, 23, v7
	v_or3_b32 v4, v6, v4, v3
.LBB14_1016:
	s_or_b64 exec, exec, s[6:7]
	s_nop 0
	v_mfma_f32_16x16x4f32 a[0:3], v2, v4, a[0:3]
	s_movk_i32 s4, 0x7f
	v_cmp_gt_i16_sdwa s[6:7], v9, s4 src0_sel:BYTE_3 src1_sel:DWORD
	s_mov_b64 s[4:5], 0
                                        ; implicit-def: $sgpr10
	s_and_saveexec_b64 s[8:9], s[6:7]
	s_xor_b64 s[6:7], exec, s[8:9]
	s_cbranch_execnz .LBB14_3065
; %bb.1017:
	s_or_saveexec_b64 s[6:7], s[6:7]
	v_mov_b32_e32 v2, s10
	s_xor_b64 exec, exec, s[6:7]
	s_cbranch_execnz .LBB14_3068
.LBB14_1018:
	s_or_b64 exec, exec, s[6:7]
	s_and_saveexec_b64 s[6:7], s[4:5]
	s_cbranch_execz .LBB14_1020
.LBB14_1019:
	v_bfe_u32 v2, v9, 24, 3
	v_ffbh_u32_e32 v7, v2
	v_min_u32_e32 v7, 32, v7
	v_lshrrev_b32_e32 v4, 27, v9
	v_subrev_u32_e32 v8, 28, v7
	v_and_b32_e32 v4, 15, v4
	v_lshlrev_b32_sdwa v8, v8, v9 dst_sel:DWORD dst_unused:UNUSED_PAD src0_sel:DWORD src1_sel:BYTE_3
	v_bfe_u32 v6, v9, 27, 4
	v_sub_u32_e32 v7, 29, v7
	v_and_b32_e32 v8, 7, v8
	v_cmp_eq_u16_e32 vcc, 0, v4
	v_cndmask_b32_e32 v2, v2, v8, vcc
	v_cndmask_b32_e32 v4, v6, v7, vcc
	v_mov_b32_e32 v6, 0x3b800000
	v_and_b32_e32 v3, 0x80000000, v9
	v_lshlrev_b32_e32 v2, 20, v2
	v_lshl_add_u32 v4, v4, 23, v6
	v_or3_b32 v2, v3, v4, v2
.LBB14_1020:
	s_or_b64 exec, exec, s[6:7]
	s_movk_i32 s4, 0x7f
	v_cmp_gt_i16_sdwa s[6:7], v5, s4 src0_sel:BYTE_3 src1_sel:DWORD
	s_mov_b64 s[4:5], 0
                                        ; implicit-def: $sgpr10
	s_and_saveexec_b64 s[8:9], s[6:7]
	s_xor_b64 s[6:7], exec, s[8:9]
	s_cbranch_execnz .LBB14_3069
; %bb.1021:
	s_or_saveexec_b64 s[6:7], s[6:7]
	v_mov_b32_e32 v3, s10
	s_xor_b64 exec, exec, s[6:7]
	s_cbranch_execnz .LBB14_3072
.LBB14_1022:
	s_or_b64 exec, exec, s[6:7]
	s_and_saveexec_b64 s[6:7], s[4:5]
	s_cbranch_execz .LBB14_1024
.LBB14_1023:
	v_bfe_u32 v3, v5, 24, 3
	v_ffbh_u32_e32 v8, v3
	v_min_u32_e32 v8, 32, v8
	v_lshrrev_b32_e32 v6, 27, v5
	v_subrev_u32_e32 v9, 28, v8
	v_and_b32_e32 v4, 0x80000000, v5
	v_and_b32_e32 v6, 15, v6
	v_bfe_u32 v7, v5, 27, 4
	v_lshlrev_b32_sdwa v5, v9, v5 dst_sel:DWORD dst_unused:UNUSED_PAD src0_sel:DWORD src1_sel:BYTE_3
	v_sub_u32_e32 v8, 29, v8
	v_and_b32_e32 v5, 7, v5
	v_cmp_eq_u16_e32 vcc, 0, v6
	v_cndmask_b32_e32 v3, v3, v5, vcc
	v_cndmask_b32_e32 v5, v7, v8, vcc
	v_mov_b32_e32 v6, 0x3b800000
	v_lshlrev_b32_e32 v3, 20, v3
	v_lshl_add_u32 v5, v5, 23, v6
	v_or3_b32 v3, v4, v5, v3
.LBB14_1024:
	s_or_b64 exec, exec, s[6:7]
	s_nop 0
	v_mfma_f32_16x16x4f32 a[0:3], v2, v3, a[0:3]
	s_movk_i32 s4, 0x7f
                                        ; implicit-def: $sgpr10
	s_nop 7
	s_nop 1
	flat_store_dwordx4 v[18:19], a[0:3] offset:560
	flat_load_dwordx4 v[20:23], v[0:1] offset:16
	s_nop 0
	flat_load_dwordx2 v[18:19], v[0:1] offset:32
	s_waitcnt vmcnt(0) lgkmcnt(0)
	flat_load_dwordx4 v[14:17], v[20:21]
	flat_load_dwordx4 v[6:9], v[20:21] offset:16
	flat_load_dwordx4 v[10:13], v[22:23] offset:384
	;; [unrolled: 1-line block ×3, first 2 shown]
	s_waitcnt vmcnt(0) lgkmcnt(0)
	v_cmp_gt_i16_sdwa s[6:7], v14, s4 src0_sel:BYTE_0 src1_sel:DWORD
	s_mov_b64 s[4:5], 0
	s_and_saveexec_b64 s[8:9], s[6:7]
	s_xor_b64 s[6:7], exec, s[8:9]
	s_cbranch_execnz .LBB14_3073
; %bb.1025:
	s_or_saveexec_b64 s[6:7], s[6:7]
	v_mov_b32_e32 v20, s10
	s_xor_b64 exec, exec, s[6:7]
	s_cbranch_execnz .LBB14_3076
.LBB14_1026:
	s_or_b64 exec, exec, s[6:7]
	s_and_saveexec_b64 s[6:7], s[4:5]
	s_cbranch_execz .LBB14_1028
.LBB14_1027:
	v_and_b32_e32 v20, 7, v14
	v_ffbh_u32_e32 v22, v20
	v_min_u32_e32 v22, 32, v22
	v_lshrrev_b16_e32 v21, 3, v14
	v_subrev_u32_e32 v23, 28, v22
	v_and_b32_e32 v21, 15, v21
	v_lshlrev_b32_e32 v23, v23, v14
	v_sub_u32_e32 v22, 29, v22
	v_and_b32_e32 v23, 7, v23
	v_cmp_eq_u16_e32 vcc, 0, v21
	v_cndmask_b32_e32 v20, v20, v23, vcc
	v_cndmask_b32_e32 v21, v21, v22, vcc
	v_lshlrev_b32_e32 v22, 24, v14
	v_mov_b32_e32 v23, 0x3b800000
	v_lshlrev_b32_e32 v20, 20, v20
	v_and_b32_e32 v22, 0x80000000, v22
	v_lshl_add_u32 v21, v21, 23, v23
	v_or3_b32 v20, v22, v21, v20
.LBB14_1028:
	s_or_b64 exec, exec, s[6:7]
	s_movk_i32 s4, 0x7f
	v_cmp_gt_i16_sdwa s[6:7], v10, s4 src0_sel:BYTE_0 src1_sel:DWORD
	s_mov_b64 s[4:5], 0
                                        ; implicit-def: $sgpr10
	s_and_saveexec_b64 s[8:9], s[6:7]
	s_xor_b64 s[6:7], exec, s[8:9]
	s_cbranch_execnz .LBB14_3077
; %bb.1029:
	s_or_saveexec_b64 s[6:7], s[6:7]
	v_mov_b32_e32 v21, s10
	s_xor_b64 exec, exec, s[6:7]
	s_cbranch_execnz .LBB14_3080
.LBB14_1030:
	s_or_b64 exec, exec, s[6:7]
	s_and_saveexec_b64 s[6:7], s[4:5]
	s_cbranch_execz .LBB14_1032
.LBB14_1031:
	v_and_b32_e32 v21, 7, v10
	v_ffbh_u32_e32 v23, v21
	v_min_u32_e32 v23, 32, v23
	v_lshrrev_b16_e32 v22, 3, v10
	v_subrev_u32_e32 v24, 28, v23
	v_and_b32_e32 v22, 15, v22
	v_lshlrev_b32_e32 v24, v24, v10
	v_sub_u32_e32 v23, 29, v23
	v_and_b32_e32 v24, 7, v24
	v_cmp_eq_u16_e32 vcc, 0, v22
	v_cndmask_b32_e32 v21, v21, v24, vcc
	v_cndmask_b32_e32 v22, v22, v23, vcc
	v_lshlrev_b32_e32 v23, 24, v10
	v_mov_b32_e32 v24, 0x3b800000
	v_lshlrev_b32_e32 v21, 20, v21
	v_and_b32_e32 v23, 0x80000000, v23
	v_lshl_add_u32 v22, v22, 23, v24
	v_or3_b32 v21, v23, v22, v21
.LBB14_1032:
	s_or_b64 exec, exec, s[6:7]
	flat_load_dwordx4 a[0:3], v[18:19] offset:576
	s_movk_i32 s4, 0x7f
                                        ; implicit-def: $sgpr10
	s_waitcnt vmcnt(0) lgkmcnt(0)
	v_mfma_f32_16x16x4f32 a[0:3], v20, v21, a[0:3]
	v_lshrrev_b32_e32 v21, 8, v14
	v_cmp_gt_i16_sdwa s[6:7], v21, s4 src0_sel:BYTE_0 src1_sel:DWORD
	s_mov_b64 s[4:5], 0
	s_and_saveexec_b64 s[8:9], s[6:7]
	s_xor_b64 s[6:7], exec, s[8:9]
	s_cbranch_execnz .LBB14_3081
; %bb.1033:
	s_or_saveexec_b64 s[6:7], s[6:7]
	v_mov_b32_e32 v20, s10
	s_xor_b64 exec, exec, s[6:7]
	s_cbranch_execnz .LBB14_3084
.LBB14_1034:
	s_or_b64 exec, exec, s[6:7]
	s_and_saveexec_b64 s[6:7], s[4:5]
	s_cbranch_execz .LBB14_1036
.LBB14_1035:
	v_bfe_u32 v20, v14, 8, 3
	v_ffbh_u32_e32 v23, v20
	v_min_u32_e32 v23, 32, v23
	v_lshrrev_b16_e32 v22, 3, v21
	v_subrev_u32_e32 v24, 28, v23
	v_and_b32_e32 v22, 15, v22
	v_lshlrev_b32_e32 v21, v24, v21
	v_sub_u32_e32 v23, 29, v23
	v_and_b32_e32 v21, 7, v21
	v_cmp_eq_u16_e32 vcc, 0, v22
	v_cndmask_b32_e32 v20, v20, v21, vcc
	v_cndmask_b32_e32 v21, v22, v23, vcc
	v_lshlrev_b32_e32 v22, 16, v14
	v_mov_b32_e32 v23, 0x3b800000
	v_lshlrev_b32_e32 v20, 20, v20
	v_and_b32_e32 v22, 0x80000000, v22
	v_lshl_add_u32 v21, v21, 23, v23
	v_or3_b32 v20, v22, v21, v20
.LBB14_1036:
	s_or_b64 exec, exec, s[6:7]
	v_lshrrev_b32_e32 v21, 8, v10
	s_movk_i32 s4, 0x7f
	v_cmp_gt_i16_sdwa s[6:7], v21, s4 src0_sel:BYTE_0 src1_sel:DWORD
	s_mov_b64 s[4:5], 0
                                        ; implicit-def: $sgpr10
	s_and_saveexec_b64 s[8:9], s[6:7]
	s_xor_b64 s[6:7], exec, s[8:9]
	s_cbranch_execnz .LBB14_3085
; %bb.1037:
	s_or_saveexec_b64 s[6:7], s[6:7]
	v_mov_b32_e32 v22, s10
	s_xor_b64 exec, exec, s[6:7]
	s_cbranch_execnz .LBB14_3088
.LBB14_1038:
	s_or_b64 exec, exec, s[6:7]
	s_and_saveexec_b64 s[6:7], s[4:5]
	s_cbranch_execz .LBB14_1040
.LBB14_1039:
	v_bfe_u32 v22, v10, 8, 3
	v_ffbh_u32_e32 v24, v22
	v_min_u32_e32 v24, 32, v24
	v_lshrrev_b16_e32 v23, 3, v21
	v_subrev_u32_e32 v25, 28, v24
	v_and_b32_e32 v23, 15, v23
	v_lshlrev_b32_e32 v21, v25, v21
	v_sub_u32_e32 v24, 29, v24
	v_and_b32_e32 v21, 7, v21
	v_cmp_eq_u16_e32 vcc, 0, v23
	v_cndmask_b32_e32 v21, v22, v21, vcc
	v_cndmask_b32_e32 v22, v23, v24, vcc
	v_lshlrev_b32_e32 v23, 16, v10
	v_mov_b32_e32 v24, 0x3b800000
	v_lshlrev_b32_e32 v21, 20, v21
	v_and_b32_e32 v23, 0x80000000, v23
	v_lshl_add_u32 v22, v22, 23, v24
	v_or3_b32 v22, v23, v22, v21
.LBB14_1040:
	s_or_b64 exec, exec, s[6:7]
	s_nop 0
	v_mfma_f32_16x16x4f32 a[0:3], v20, v22, a[0:3]
	s_movk_i32 s4, 0xff
	v_and_b32_sdwa v21, v14, s4 dst_sel:DWORD dst_unused:UNUSED_PAD src0_sel:WORD_1 src1_sel:DWORD
	s_movk_i32 s4, 0x7f
	v_cmp_lt_i16_e32 vcc, s4, v21
	s_mov_b64 s[4:5], 0
                                        ; implicit-def: $sgpr10
	s_and_saveexec_b64 s[6:7], vcc
	s_xor_b64 s[6:7], exec, s[6:7]
	s_cbranch_execnz .LBB14_3089
; %bb.1041:
	s_or_saveexec_b64 s[6:7], s[6:7]
	v_mov_b32_e32 v20, s10
	s_xor_b64 exec, exec, s[6:7]
	s_cbranch_execnz .LBB14_3092
.LBB14_1042:
	s_or_b64 exec, exec, s[6:7]
	s_and_saveexec_b64 s[6:7], s[4:5]
	s_cbranch_execz .LBB14_1044
.LBB14_1043:
	v_bfe_u32 v20, v14, 16, 3
	v_ffbh_u32_e32 v23, v20
	v_min_u32_e32 v23, 32, v23
	v_lshrrev_b32_e32 v21, 19, v14
	v_subrev_u32_e32 v24, 28, v23
	v_and_b32_e32 v21, 15, v21
	v_lshlrev_b32_sdwa v24, v24, v14 dst_sel:DWORD dst_unused:UNUSED_PAD src0_sel:DWORD src1_sel:WORD_1
	v_bfe_u32 v22, v14, 19, 4
	v_sub_u32_e32 v23, 29, v23
	v_and_b32_e32 v24, 7, v24
	v_cmp_eq_u16_e32 vcc, 0, v21
	v_cndmask_b32_e32 v20, v20, v24, vcc
	v_cndmask_b32_e32 v21, v22, v23, vcc
	v_lshlrev_b32_e32 v22, 8, v14
	v_mov_b32_e32 v23, 0x3b800000
	v_lshlrev_b32_e32 v20, 20, v20
	v_and_b32_e32 v22, 0x80000000, v22
	v_lshl_add_u32 v21, v21, 23, v23
	v_or3_b32 v20, v22, v21, v20
.LBB14_1044:
	s_or_b64 exec, exec, s[6:7]
	s_movk_i32 s4, 0xff
	v_and_b32_sdwa v21, v10, s4 dst_sel:DWORD dst_unused:UNUSED_PAD src0_sel:WORD_1 src1_sel:DWORD
	s_movk_i32 s4, 0x7f
	v_cmp_lt_i16_e32 vcc, s4, v21
	s_mov_b64 s[4:5], 0
                                        ; implicit-def: $sgpr10
	s_and_saveexec_b64 s[6:7], vcc
	s_xor_b64 s[6:7], exec, s[6:7]
	s_cbranch_execnz .LBB14_3093
; %bb.1045:
	s_or_saveexec_b64 s[6:7], s[6:7]
	v_mov_b32_e32 v22, s10
	s_xor_b64 exec, exec, s[6:7]
	s_cbranch_execnz .LBB14_3096
.LBB14_1046:
	s_or_b64 exec, exec, s[6:7]
	s_and_saveexec_b64 s[6:7], s[4:5]
	s_cbranch_execz .LBB14_1048
.LBB14_1047:
	v_bfe_u32 v21, v10, 16, 3
	v_ffbh_u32_e32 v24, v21
	v_min_u32_e32 v24, 32, v24
	v_lshrrev_b32_e32 v22, 19, v10
	v_subrev_u32_e32 v25, 28, v24
	v_and_b32_e32 v22, 15, v22
	v_lshlrev_b32_sdwa v25, v25, v10 dst_sel:DWORD dst_unused:UNUSED_PAD src0_sel:DWORD src1_sel:WORD_1
	v_bfe_u32 v23, v10, 19, 4
	v_sub_u32_e32 v24, 29, v24
	v_and_b32_e32 v25, 7, v25
	v_cmp_eq_u16_e32 vcc, 0, v22
	v_cndmask_b32_e32 v21, v21, v25, vcc
	v_cndmask_b32_e32 v22, v23, v24, vcc
	v_lshlrev_b32_e32 v23, 8, v10
	v_mov_b32_e32 v24, 0x3b800000
	v_lshlrev_b32_e32 v21, 20, v21
	v_and_b32_e32 v23, 0x80000000, v23
	v_lshl_add_u32 v22, v22, 23, v24
	v_or3_b32 v22, v23, v22, v21
.LBB14_1048:
	s_or_b64 exec, exec, s[6:7]
	s_nop 0
	v_mfma_f32_16x16x4f32 a[0:3], v20, v22, a[0:3]
	s_movk_i32 s4, 0x7f
	v_cmp_gt_i16_sdwa s[6:7], v14, s4 src0_sel:BYTE_3 src1_sel:DWORD
	s_mov_b64 s[4:5], 0
                                        ; implicit-def: $sgpr10
	s_and_saveexec_b64 s[8:9], s[6:7]
	s_xor_b64 s[6:7], exec, s[8:9]
	s_cbranch_execnz .LBB14_3097
; %bb.1049:
	s_or_saveexec_b64 s[6:7], s[6:7]
	v_mov_b32_e32 v20, s10
	s_xor_b64 exec, exec, s[6:7]
	s_cbranch_execnz .LBB14_3100
.LBB14_1050:
	s_or_b64 exec, exec, s[6:7]
	s_and_saveexec_b64 s[6:7], s[4:5]
	s_cbranch_execz .LBB14_1052
.LBB14_1051:
	v_bfe_u32 v20, v14, 24, 3
	v_ffbh_u32_e32 v24, v20
	v_min_u32_e32 v24, 32, v24
	v_lshrrev_b32_e32 v22, 27, v14
	v_subrev_u32_e32 v25, 28, v24
	v_and_b32_e32 v21, 0x80000000, v14
	v_and_b32_e32 v22, 15, v22
	v_bfe_u32 v23, v14, 27, 4
	v_lshlrev_b32_sdwa v14, v25, v14 dst_sel:DWORD dst_unused:UNUSED_PAD src0_sel:DWORD src1_sel:BYTE_3
	v_sub_u32_e32 v24, 29, v24
	v_and_b32_e32 v14, 7, v14
	v_cmp_eq_u16_e32 vcc, 0, v22
	v_cndmask_b32_e32 v14, v20, v14, vcc
	v_cndmask_b32_e32 v20, v23, v24, vcc
	v_mov_b32_e32 v22, 0x3b800000
	v_lshlrev_b32_e32 v14, 20, v14
	v_lshl_add_u32 v20, v20, 23, v22
	v_or3_b32 v20, v21, v20, v14
.LBB14_1052:
	s_or_b64 exec, exec, s[6:7]
	s_movk_i32 s4, 0x7f
	v_cmp_gt_i16_sdwa s[6:7], v10, s4 src0_sel:BYTE_3 src1_sel:DWORD
	s_mov_b64 s[4:5], 0
                                        ; implicit-def: $sgpr10
	s_and_saveexec_b64 s[8:9], s[6:7]
	s_xor_b64 s[6:7], exec, s[8:9]
	s_cbranch_execnz .LBB14_3101
; %bb.1053:
	s_or_saveexec_b64 s[6:7], s[6:7]
	v_mov_b32_e32 v14, s10
	s_xor_b64 exec, exec, s[6:7]
	s_cbranch_execnz .LBB14_3104
.LBB14_1054:
	s_or_b64 exec, exec, s[6:7]
	s_and_saveexec_b64 s[6:7], s[4:5]
	s_cbranch_execz .LBB14_1056
.LBB14_1055:
	v_bfe_u32 v14, v10, 24, 3
	v_ffbh_u32_e32 v24, v14
	v_min_u32_e32 v24, 32, v24
	v_lshrrev_b32_e32 v22, 27, v10
	v_subrev_u32_e32 v25, 28, v24
	v_and_b32_e32 v21, 0x80000000, v10
	v_and_b32_e32 v22, 15, v22
	v_bfe_u32 v23, v10, 27, 4
	v_lshlrev_b32_sdwa v10, v25, v10 dst_sel:DWORD dst_unused:UNUSED_PAD src0_sel:DWORD src1_sel:BYTE_3
	v_sub_u32_e32 v24, 29, v24
	v_and_b32_e32 v10, 7, v10
	v_cmp_eq_u16_e32 vcc, 0, v22
	v_cndmask_b32_e32 v10, v14, v10, vcc
	v_cndmask_b32_e32 v14, v23, v24, vcc
	v_mov_b32_e32 v22, 0x3b800000
	v_lshlrev_b32_e32 v10, 20, v10
	v_lshl_add_u32 v14, v14, 23, v22
	v_or3_b32 v14, v21, v14, v10
.LBB14_1056:
	s_or_b64 exec, exec, s[6:7]
	s_nop 0
	v_mfma_f32_16x16x4f32 a[0:3], v20, v14, a[0:3]
	s_movk_i32 s4, 0x7f
	v_cmp_gt_i16_sdwa s[6:7], v15, s4 src0_sel:BYTE_0 src1_sel:DWORD
	s_mov_b64 s[4:5], 0
                                        ; implicit-def: $sgpr10
	s_and_saveexec_b64 s[8:9], s[6:7]
	s_xor_b64 s[6:7], exec, s[8:9]
	s_cbranch_execnz .LBB14_3105
; %bb.1057:
	s_or_saveexec_b64 s[6:7], s[6:7]
	v_mov_b32_e32 v10, s10
	s_xor_b64 exec, exec, s[6:7]
	s_cbranch_execnz .LBB14_3108
.LBB14_1058:
	s_or_b64 exec, exec, s[6:7]
	s_and_saveexec_b64 s[6:7], s[4:5]
	s_cbranch_execz .LBB14_1060
.LBB14_1059:
	v_and_b32_e32 v10, 7, v15
	v_ffbh_u32_e32 v20, v10
	v_min_u32_e32 v20, 32, v20
	v_lshrrev_b16_e32 v14, 3, v15
	v_subrev_u32_e32 v21, 28, v20
	v_and_b32_e32 v14, 15, v14
	v_lshlrev_b32_e32 v21, v21, v15
	v_sub_u32_e32 v20, 29, v20
	v_and_b32_e32 v21, 7, v21
	v_cmp_eq_u16_e32 vcc, 0, v14
	v_cndmask_b32_e32 v10, v10, v21, vcc
	v_cndmask_b32_e32 v14, v14, v20, vcc
	v_lshlrev_b32_e32 v20, 24, v15
	v_mov_b32_e32 v21, 0x3b800000
	v_lshlrev_b32_e32 v10, 20, v10
	v_and_b32_e32 v20, 0x80000000, v20
	v_lshl_add_u32 v14, v14, 23, v21
	v_or3_b32 v10, v20, v14, v10
.LBB14_1060:
	s_or_b64 exec, exec, s[6:7]
	s_movk_i32 s4, 0x7f
	v_cmp_gt_i16_sdwa s[6:7], v11, s4 src0_sel:BYTE_0 src1_sel:DWORD
	s_mov_b64 s[4:5], 0
                                        ; implicit-def: $sgpr10
	s_and_saveexec_b64 s[8:9], s[6:7]
	s_xor_b64 s[6:7], exec, s[8:9]
	s_cbranch_execnz .LBB14_3109
; %bb.1061:
	s_or_saveexec_b64 s[6:7], s[6:7]
	v_mov_b32_e32 v14, s10
	s_xor_b64 exec, exec, s[6:7]
	s_cbranch_execnz .LBB14_3112
.LBB14_1062:
	s_or_b64 exec, exec, s[6:7]
	s_and_saveexec_b64 s[6:7], s[4:5]
	s_cbranch_execz .LBB14_1064
.LBB14_1063:
	v_and_b32_e32 v14, 7, v11
	v_ffbh_u32_e32 v21, v14
	v_min_u32_e32 v21, 32, v21
	v_lshrrev_b16_e32 v20, 3, v11
	v_subrev_u32_e32 v22, 28, v21
	v_and_b32_e32 v20, 15, v20
	v_lshlrev_b32_e32 v22, v22, v11
	v_sub_u32_e32 v21, 29, v21
	v_and_b32_e32 v22, 7, v22
	v_cmp_eq_u16_e32 vcc, 0, v20
	v_cndmask_b32_e32 v14, v14, v22, vcc
	v_cndmask_b32_e32 v20, v20, v21, vcc
	v_lshlrev_b32_e32 v21, 24, v11
	v_mov_b32_e32 v22, 0x3b800000
	v_lshlrev_b32_e32 v14, 20, v14
	v_and_b32_e32 v21, 0x80000000, v21
	v_lshl_add_u32 v20, v20, 23, v22
	v_or3_b32 v14, v21, v20, v14
.LBB14_1064:
	s_or_b64 exec, exec, s[6:7]
	s_nop 0
	v_mfma_f32_16x16x4f32 a[0:3], v10, v14, a[0:3]
	v_lshrrev_b32_e32 v14, 8, v15
	s_movk_i32 s4, 0x7f
	v_cmp_gt_i16_sdwa s[6:7], v14, s4 src0_sel:BYTE_0 src1_sel:DWORD
	s_mov_b64 s[4:5], 0
                                        ; implicit-def: $sgpr10
	s_and_saveexec_b64 s[8:9], s[6:7]
	s_xor_b64 s[6:7], exec, s[8:9]
	s_cbranch_execnz .LBB14_3113
; %bb.1065:
	s_or_saveexec_b64 s[6:7], s[6:7]
	v_mov_b32_e32 v10, s10
	s_xor_b64 exec, exec, s[6:7]
	s_cbranch_execnz .LBB14_3116
.LBB14_1066:
	s_or_b64 exec, exec, s[6:7]
	s_and_saveexec_b64 s[6:7], s[4:5]
	s_cbranch_execz .LBB14_1068
.LBB14_1067:
	v_bfe_u32 v10, v15, 8, 3
	v_ffbh_u32_e32 v21, v10
	v_min_u32_e32 v21, 32, v21
	v_lshrrev_b16_e32 v20, 3, v14
	v_subrev_u32_e32 v22, 28, v21
	v_and_b32_e32 v20, 15, v20
	v_lshlrev_b32_e32 v14, v22, v14
	v_sub_u32_e32 v21, 29, v21
	v_and_b32_e32 v14, 7, v14
	v_cmp_eq_u16_e32 vcc, 0, v20
	v_cndmask_b32_e32 v10, v10, v14, vcc
	v_cndmask_b32_e32 v14, v20, v21, vcc
	v_lshlrev_b32_e32 v20, 16, v15
	v_mov_b32_e32 v21, 0x3b800000
	v_lshlrev_b32_e32 v10, 20, v10
	v_and_b32_e32 v20, 0x80000000, v20
	v_lshl_add_u32 v14, v14, 23, v21
	v_or3_b32 v10, v20, v14, v10
.LBB14_1068:
	s_or_b64 exec, exec, s[6:7]
	v_lshrrev_b32_e32 v14, 8, v11
	s_movk_i32 s4, 0x7f
	v_cmp_gt_i16_sdwa s[6:7], v14, s4 src0_sel:BYTE_0 src1_sel:DWORD
	s_mov_b64 s[4:5], 0
                                        ; implicit-def: $sgpr10
	s_and_saveexec_b64 s[8:9], s[6:7]
	s_xor_b64 s[6:7], exec, s[8:9]
	s_cbranch_execnz .LBB14_3117
; %bb.1069:
	s_or_saveexec_b64 s[6:7], s[6:7]
	v_mov_b32_e32 v20, s10
	s_xor_b64 exec, exec, s[6:7]
	s_cbranch_execnz .LBB14_3120
.LBB14_1070:
	s_or_b64 exec, exec, s[6:7]
	s_and_saveexec_b64 s[6:7], s[4:5]
	s_cbranch_execz .LBB14_1072
.LBB14_1071:
	v_bfe_u32 v20, v11, 8, 3
	v_ffbh_u32_e32 v22, v20
	v_min_u32_e32 v22, 32, v22
	v_lshrrev_b16_e32 v21, 3, v14
	v_subrev_u32_e32 v23, 28, v22
	v_and_b32_e32 v21, 15, v21
	v_lshlrev_b32_e32 v14, v23, v14
	v_sub_u32_e32 v22, 29, v22
	v_and_b32_e32 v14, 7, v14
	v_cmp_eq_u16_e32 vcc, 0, v21
	v_cndmask_b32_e32 v14, v20, v14, vcc
	v_cndmask_b32_e32 v20, v21, v22, vcc
	v_lshlrev_b32_e32 v21, 16, v11
	v_mov_b32_e32 v22, 0x3b800000
	v_lshlrev_b32_e32 v14, 20, v14
	v_and_b32_e32 v21, 0x80000000, v21
	v_lshl_add_u32 v20, v20, 23, v22
	v_or3_b32 v20, v21, v20, v14
.LBB14_1072:
	s_or_b64 exec, exec, s[6:7]
	s_nop 0
	v_mfma_f32_16x16x4f32 a[0:3], v10, v20, a[0:3]
	s_movk_i32 s4, 0xff
	v_and_b32_sdwa v14, v15, s4 dst_sel:DWORD dst_unused:UNUSED_PAD src0_sel:WORD_1 src1_sel:DWORD
	s_movk_i32 s4, 0x7f
	v_cmp_lt_i16_e32 vcc, s4, v14
	s_mov_b64 s[4:5], 0
                                        ; implicit-def: $sgpr10
	s_and_saveexec_b64 s[6:7], vcc
	s_xor_b64 s[6:7], exec, s[6:7]
	s_cbranch_execnz .LBB14_3121
; %bb.1073:
	s_or_saveexec_b64 s[6:7], s[6:7]
	v_mov_b32_e32 v10, s10
	s_xor_b64 exec, exec, s[6:7]
	s_cbranch_execnz .LBB14_3124
.LBB14_1074:
	s_or_b64 exec, exec, s[6:7]
	s_and_saveexec_b64 s[6:7], s[4:5]
	s_cbranch_execz .LBB14_1076
.LBB14_1075:
	v_bfe_u32 v10, v15, 16, 3
	v_ffbh_u32_e32 v21, v10
	v_min_u32_e32 v21, 32, v21
	v_lshrrev_b32_e32 v14, 19, v15
	v_subrev_u32_e32 v22, 28, v21
	v_and_b32_e32 v14, 15, v14
	v_lshlrev_b32_sdwa v22, v22, v15 dst_sel:DWORD dst_unused:UNUSED_PAD src0_sel:DWORD src1_sel:WORD_1
	v_bfe_u32 v20, v15, 19, 4
	v_sub_u32_e32 v21, 29, v21
	v_and_b32_e32 v22, 7, v22
	v_cmp_eq_u16_e32 vcc, 0, v14
	v_cndmask_b32_e32 v10, v10, v22, vcc
	v_cndmask_b32_e32 v14, v20, v21, vcc
	v_lshlrev_b32_e32 v20, 8, v15
	v_mov_b32_e32 v21, 0x3b800000
	v_lshlrev_b32_e32 v10, 20, v10
	v_and_b32_e32 v20, 0x80000000, v20
	v_lshl_add_u32 v14, v14, 23, v21
	v_or3_b32 v10, v20, v14, v10
.LBB14_1076:
	s_or_b64 exec, exec, s[6:7]
	s_movk_i32 s4, 0xff
	v_and_b32_sdwa v14, v11, s4 dst_sel:DWORD dst_unused:UNUSED_PAD src0_sel:WORD_1 src1_sel:DWORD
	s_movk_i32 s4, 0x7f
	v_cmp_lt_i16_e32 vcc, s4, v14
	s_mov_b64 s[4:5], 0
                                        ; implicit-def: $sgpr10
	s_and_saveexec_b64 s[6:7], vcc
	s_xor_b64 s[6:7], exec, s[6:7]
	s_cbranch_execnz .LBB14_3125
; %bb.1077:
	s_or_saveexec_b64 s[6:7], s[6:7]
	v_mov_b32_e32 v20, s10
	s_xor_b64 exec, exec, s[6:7]
	s_cbranch_execnz .LBB14_3128
.LBB14_1078:
	s_or_b64 exec, exec, s[6:7]
	s_and_saveexec_b64 s[6:7], s[4:5]
	s_cbranch_execz .LBB14_1080
.LBB14_1079:
	v_bfe_u32 v14, v11, 16, 3
	v_ffbh_u32_e32 v22, v14
	v_min_u32_e32 v22, 32, v22
	v_lshrrev_b32_e32 v20, 19, v11
	v_subrev_u32_e32 v23, 28, v22
	v_and_b32_e32 v20, 15, v20
	v_lshlrev_b32_sdwa v23, v23, v11 dst_sel:DWORD dst_unused:UNUSED_PAD src0_sel:DWORD src1_sel:WORD_1
	v_bfe_u32 v21, v11, 19, 4
	v_sub_u32_e32 v22, 29, v22
	v_and_b32_e32 v23, 7, v23
	v_cmp_eq_u16_e32 vcc, 0, v20
	v_cndmask_b32_e32 v14, v14, v23, vcc
	v_cndmask_b32_e32 v20, v21, v22, vcc
	v_lshlrev_b32_e32 v21, 8, v11
	v_mov_b32_e32 v22, 0x3b800000
	v_lshlrev_b32_e32 v14, 20, v14
	v_and_b32_e32 v21, 0x80000000, v21
	v_lshl_add_u32 v20, v20, 23, v22
	v_or3_b32 v20, v21, v20, v14
.LBB14_1080:
	s_or_b64 exec, exec, s[6:7]
	s_nop 0
	v_mfma_f32_16x16x4f32 a[0:3], v10, v20, a[0:3]
	s_movk_i32 s4, 0x7f
	v_cmp_gt_i16_sdwa s[6:7], v15, s4 src0_sel:BYTE_3 src1_sel:DWORD
	s_mov_b64 s[4:5], 0
                                        ; implicit-def: $sgpr10
	s_and_saveexec_b64 s[8:9], s[6:7]
	s_xor_b64 s[6:7], exec, s[8:9]
	s_cbranch_execnz .LBB14_3129
; %bb.1081:
	s_or_saveexec_b64 s[6:7], s[6:7]
	v_mov_b32_e32 v10, s10
	s_xor_b64 exec, exec, s[6:7]
	s_cbranch_execnz .LBB14_3132
.LBB14_1082:
	s_or_b64 exec, exec, s[6:7]
	s_and_saveexec_b64 s[6:7], s[4:5]
	s_cbranch_execz .LBB14_1084
.LBB14_1083:
	v_bfe_u32 v10, v15, 24, 3
	v_ffbh_u32_e32 v22, v10
	v_min_u32_e32 v22, 32, v22
	v_lshrrev_b32_e32 v20, 27, v15
	v_subrev_u32_e32 v23, 28, v22
	v_and_b32_e32 v14, 0x80000000, v15
	v_and_b32_e32 v20, 15, v20
	v_bfe_u32 v21, v15, 27, 4
	v_lshlrev_b32_sdwa v15, v23, v15 dst_sel:DWORD dst_unused:UNUSED_PAD src0_sel:DWORD src1_sel:BYTE_3
	v_sub_u32_e32 v22, 29, v22
	v_and_b32_e32 v15, 7, v15
	v_cmp_eq_u16_e32 vcc, 0, v20
	v_cndmask_b32_e32 v10, v10, v15, vcc
	v_cndmask_b32_e32 v15, v21, v22, vcc
	v_mov_b32_e32 v20, 0x3b800000
	v_lshlrev_b32_e32 v10, 20, v10
	v_lshl_add_u32 v15, v15, 23, v20
	v_or3_b32 v10, v14, v15, v10
.LBB14_1084:
	s_or_b64 exec, exec, s[6:7]
	s_movk_i32 s4, 0x7f
	v_cmp_gt_i16_sdwa s[6:7], v11, s4 src0_sel:BYTE_3 src1_sel:DWORD
	s_mov_b64 s[4:5], 0
                                        ; implicit-def: $sgpr10
	s_and_saveexec_b64 s[8:9], s[6:7]
	s_xor_b64 s[6:7], exec, s[8:9]
	s_cbranch_execnz .LBB14_3133
; %bb.1085:
	s_or_saveexec_b64 s[6:7], s[6:7]
	v_mov_b32_e32 v14, s10
	s_xor_b64 exec, exec, s[6:7]
	s_cbranch_execnz .LBB14_3136
.LBB14_1086:
	s_or_b64 exec, exec, s[6:7]
	s_and_saveexec_b64 s[6:7], s[4:5]
	s_cbranch_execz .LBB14_1088
.LBB14_1087:
	v_bfe_u32 v14, v11, 24, 3
	v_ffbh_u32_e32 v22, v14
	v_min_u32_e32 v22, 32, v22
	v_lshrrev_b32_e32 v20, 27, v11
	v_subrev_u32_e32 v23, 28, v22
	v_and_b32_e32 v15, 0x80000000, v11
	v_and_b32_e32 v20, 15, v20
	v_bfe_u32 v21, v11, 27, 4
	v_lshlrev_b32_sdwa v11, v23, v11 dst_sel:DWORD dst_unused:UNUSED_PAD src0_sel:DWORD src1_sel:BYTE_3
	v_sub_u32_e32 v22, 29, v22
	v_and_b32_e32 v11, 7, v11
	v_cmp_eq_u16_e32 vcc, 0, v20
	v_cndmask_b32_e32 v11, v14, v11, vcc
	v_cndmask_b32_e32 v14, v21, v22, vcc
	v_mov_b32_e32 v20, 0x3b800000
	v_lshlrev_b32_e32 v11, 20, v11
	v_lshl_add_u32 v14, v14, 23, v20
	v_or3_b32 v14, v15, v14, v11
.LBB14_1088:
	s_or_b64 exec, exec, s[6:7]
	s_nop 0
	v_mfma_f32_16x16x4f32 a[0:3], v10, v14, a[0:3]
	s_movk_i32 s4, 0x7f
	v_cmp_gt_i16_sdwa s[6:7], v16, s4 src0_sel:BYTE_0 src1_sel:DWORD
	s_mov_b64 s[4:5], 0
                                        ; implicit-def: $sgpr10
	s_and_saveexec_b64 s[8:9], s[6:7]
	s_xor_b64 s[6:7], exec, s[8:9]
	s_cbranch_execnz .LBB14_3137
; %bb.1089:
	s_or_saveexec_b64 s[6:7], s[6:7]
	v_mov_b32_e32 v10, s10
	s_xor_b64 exec, exec, s[6:7]
	s_cbranch_execnz .LBB14_3140
.LBB14_1090:
	s_or_b64 exec, exec, s[6:7]
	s_and_saveexec_b64 s[6:7], s[4:5]
	s_cbranch_execz .LBB14_1092
.LBB14_1091:
	v_and_b32_e32 v10, 7, v16
	v_ffbh_u32_e32 v14, v10
	v_min_u32_e32 v14, 32, v14
	v_lshrrev_b16_e32 v11, 3, v16
	v_subrev_u32_e32 v15, 28, v14
	v_and_b32_e32 v11, 15, v11
	v_lshlrev_b32_e32 v15, v15, v16
	v_sub_u32_e32 v14, 29, v14
	v_and_b32_e32 v15, 7, v15
	v_cmp_eq_u16_e32 vcc, 0, v11
	v_cndmask_b32_e32 v10, v10, v15, vcc
	v_cndmask_b32_e32 v11, v11, v14, vcc
	v_lshlrev_b32_e32 v14, 24, v16
	v_mov_b32_e32 v15, 0x3b800000
	v_lshlrev_b32_e32 v10, 20, v10
	v_and_b32_e32 v14, 0x80000000, v14
	v_lshl_add_u32 v11, v11, 23, v15
	v_or3_b32 v10, v14, v11, v10
.LBB14_1092:
	s_or_b64 exec, exec, s[6:7]
	s_movk_i32 s4, 0x7f
	v_cmp_gt_i16_sdwa s[6:7], v12, s4 src0_sel:BYTE_0 src1_sel:DWORD
	s_mov_b64 s[4:5], 0
                                        ; implicit-def: $sgpr10
	s_and_saveexec_b64 s[8:9], s[6:7]
	s_xor_b64 s[6:7], exec, s[8:9]
	s_cbranch_execnz .LBB14_3141
; %bb.1093:
	s_or_saveexec_b64 s[6:7], s[6:7]
	v_mov_b32_e32 v11, s10
	s_xor_b64 exec, exec, s[6:7]
	s_cbranch_execnz .LBB14_3144
.LBB14_1094:
	s_or_b64 exec, exec, s[6:7]
	s_and_saveexec_b64 s[6:7], s[4:5]
	s_cbranch_execz .LBB14_1096
.LBB14_1095:
	v_and_b32_e32 v11, 7, v12
	v_ffbh_u32_e32 v15, v11
	v_min_u32_e32 v15, 32, v15
	v_lshrrev_b16_e32 v14, 3, v12
	v_subrev_u32_e32 v20, 28, v15
	v_and_b32_e32 v14, 15, v14
	v_lshlrev_b32_e32 v20, v20, v12
	v_sub_u32_e32 v15, 29, v15
	v_and_b32_e32 v20, 7, v20
	v_cmp_eq_u16_e32 vcc, 0, v14
	v_cndmask_b32_e32 v11, v11, v20, vcc
	v_cndmask_b32_e32 v14, v14, v15, vcc
	v_lshlrev_b32_e32 v15, 24, v12
	v_mov_b32_e32 v20, 0x3b800000
	v_lshlrev_b32_e32 v11, 20, v11
	v_and_b32_e32 v15, 0x80000000, v15
	v_lshl_add_u32 v14, v14, 23, v20
	v_or3_b32 v11, v15, v14, v11
.LBB14_1096:
	s_or_b64 exec, exec, s[6:7]
	s_nop 0
	v_mfma_f32_16x16x4f32 a[0:3], v10, v11, a[0:3]
	v_lshrrev_b32_e32 v11, 8, v16
	s_movk_i32 s4, 0x7f
	v_cmp_gt_i16_sdwa s[6:7], v11, s4 src0_sel:BYTE_0 src1_sel:DWORD
	s_mov_b64 s[4:5], 0
                                        ; implicit-def: $sgpr10
	s_and_saveexec_b64 s[8:9], s[6:7]
	s_xor_b64 s[6:7], exec, s[8:9]
	s_cbranch_execnz .LBB14_3145
; %bb.1097:
	s_or_saveexec_b64 s[6:7], s[6:7]
	v_mov_b32_e32 v10, s10
	s_xor_b64 exec, exec, s[6:7]
	s_cbranch_execnz .LBB14_3148
.LBB14_1098:
	s_or_b64 exec, exec, s[6:7]
	s_and_saveexec_b64 s[6:7], s[4:5]
	s_cbranch_execz .LBB14_1100
.LBB14_1099:
	v_bfe_u32 v10, v16, 8, 3
	v_ffbh_u32_e32 v15, v10
	v_min_u32_e32 v15, 32, v15
	v_lshrrev_b16_e32 v14, 3, v11
	v_subrev_u32_e32 v20, 28, v15
	v_and_b32_e32 v14, 15, v14
	v_lshlrev_b32_e32 v11, v20, v11
	v_sub_u32_e32 v15, 29, v15
	v_and_b32_e32 v11, 7, v11
	v_cmp_eq_u16_e32 vcc, 0, v14
	v_cndmask_b32_e32 v10, v10, v11, vcc
	v_cndmask_b32_e32 v11, v14, v15, vcc
	v_lshlrev_b32_e32 v14, 16, v16
	v_mov_b32_e32 v15, 0x3b800000
	v_lshlrev_b32_e32 v10, 20, v10
	v_and_b32_e32 v14, 0x80000000, v14
	v_lshl_add_u32 v11, v11, 23, v15
	v_or3_b32 v10, v14, v11, v10
.LBB14_1100:
	s_or_b64 exec, exec, s[6:7]
	v_lshrrev_b32_e32 v11, 8, v12
	s_movk_i32 s4, 0x7f
	v_cmp_gt_i16_sdwa s[6:7], v11, s4 src0_sel:BYTE_0 src1_sel:DWORD
	s_mov_b64 s[4:5], 0
                                        ; implicit-def: $sgpr10
	s_and_saveexec_b64 s[8:9], s[6:7]
	s_xor_b64 s[6:7], exec, s[8:9]
	s_cbranch_execnz .LBB14_3149
; %bb.1101:
	s_or_saveexec_b64 s[6:7], s[6:7]
	v_mov_b32_e32 v14, s10
	s_xor_b64 exec, exec, s[6:7]
	s_cbranch_execnz .LBB14_3152
.LBB14_1102:
	s_or_b64 exec, exec, s[6:7]
	s_and_saveexec_b64 s[6:7], s[4:5]
	s_cbranch_execz .LBB14_1104
.LBB14_1103:
	v_bfe_u32 v14, v12, 8, 3
	v_ffbh_u32_e32 v20, v14
	v_min_u32_e32 v20, 32, v20
	v_lshrrev_b16_e32 v15, 3, v11
	v_subrev_u32_e32 v21, 28, v20
	v_and_b32_e32 v15, 15, v15
	v_lshlrev_b32_e32 v11, v21, v11
	v_sub_u32_e32 v20, 29, v20
	v_and_b32_e32 v11, 7, v11
	v_cmp_eq_u16_e32 vcc, 0, v15
	v_cndmask_b32_e32 v11, v14, v11, vcc
	v_cndmask_b32_e32 v14, v15, v20, vcc
	v_lshlrev_b32_e32 v15, 16, v12
	v_mov_b32_e32 v20, 0x3b800000
	v_lshlrev_b32_e32 v11, 20, v11
	v_and_b32_e32 v15, 0x80000000, v15
	v_lshl_add_u32 v14, v14, 23, v20
	v_or3_b32 v14, v15, v14, v11
.LBB14_1104:
	s_or_b64 exec, exec, s[6:7]
	s_nop 0
	v_mfma_f32_16x16x4f32 a[0:3], v10, v14, a[0:3]
	s_movk_i32 s4, 0xff
	v_and_b32_sdwa v11, v16, s4 dst_sel:DWORD dst_unused:UNUSED_PAD src0_sel:WORD_1 src1_sel:DWORD
	s_movk_i32 s4, 0x7f
	v_cmp_lt_i16_e32 vcc, s4, v11
	s_mov_b64 s[4:5], 0
                                        ; implicit-def: $sgpr10
	s_and_saveexec_b64 s[6:7], vcc
	s_xor_b64 s[6:7], exec, s[6:7]
	s_cbranch_execnz .LBB14_3153
; %bb.1105:
	s_or_saveexec_b64 s[6:7], s[6:7]
	v_mov_b32_e32 v10, s10
	s_xor_b64 exec, exec, s[6:7]
	s_cbranch_execnz .LBB14_3156
.LBB14_1106:
	s_or_b64 exec, exec, s[6:7]
	s_and_saveexec_b64 s[6:7], s[4:5]
	s_cbranch_execz .LBB14_1108
.LBB14_1107:
	v_bfe_u32 v10, v16, 16, 3
	v_ffbh_u32_e32 v15, v10
	v_min_u32_e32 v15, 32, v15
	v_lshrrev_b32_e32 v11, 19, v16
	v_subrev_u32_e32 v20, 28, v15
	v_and_b32_e32 v11, 15, v11
	v_lshlrev_b32_sdwa v20, v20, v16 dst_sel:DWORD dst_unused:UNUSED_PAD src0_sel:DWORD src1_sel:WORD_1
	v_bfe_u32 v14, v16, 19, 4
	v_sub_u32_e32 v15, 29, v15
	v_and_b32_e32 v20, 7, v20
	v_cmp_eq_u16_e32 vcc, 0, v11
	v_cndmask_b32_e32 v10, v10, v20, vcc
	v_cndmask_b32_e32 v11, v14, v15, vcc
	v_lshlrev_b32_e32 v14, 8, v16
	v_mov_b32_e32 v15, 0x3b800000
	v_lshlrev_b32_e32 v10, 20, v10
	v_and_b32_e32 v14, 0x80000000, v14
	v_lshl_add_u32 v11, v11, 23, v15
	v_or3_b32 v10, v14, v11, v10
.LBB14_1108:
	s_or_b64 exec, exec, s[6:7]
	s_movk_i32 s4, 0xff
	v_and_b32_sdwa v11, v12, s4 dst_sel:DWORD dst_unused:UNUSED_PAD src0_sel:WORD_1 src1_sel:DWORD
	s_movk_i32 s4, 0x7f
	v_cmp_lt_i16_e32 vcc, s4, v11
	s_mov_b64 s[4:5], 0
                                        ; implicit-def: $sgpr10
	s_and_saveexec_b64 s[6:7], vcc
	s_xor_b64 s[6:7], exec, s[6:7]
	s_cbranch_execnz .LBB14_3157
; %bb.1109:
	s_or_saveexec_b64 s[6:7], s[6:7]
	v_mov_b32_e32 v14, s10
	s_xor_b64 exec, exec, s[6:7]
	s_cbranch_execnz .LBB14_3160
.LBB14_1110:
	s_or_b64 exec, exec, s[6:7]
	s_and_saveexec_b64 s[6:7], s[4:5]
	s_cbranch_execz .LBB14_1112
.LBB14_1111:
	v_bfe_u32 v11, v12, 16, 3
	v_ffbh_u32_e32 v20, v11
	v_min_u32_e32 v20, 32, v20
	v_lshrrev_b32_e32 v14, 19, v12
	v_subrev_u32_e32 v21, 28, v20
	v_and_b32_e32 v14, 15, v14
	v_lshlrev_b32_sdwa v21, v21, v12 dst_sel:DWORD dst_unused:UNUSED_PAD src0_sel:DWORD src1_sel:WORD_1
	v_bfe_u32 v15, v12, 19, 4
	v_sub_u32_e32 v20, 29, v20
	v_and_b32_e32 v21, 7, v21
	v_cmp_eq_u16_e32 vcc, 0, v14
	v_cndmask_b32_e32 v11, v11, v21, vcc
	v_cndmask_b32_e32 v14, v15, v20, vcc
	v_lshlrev_b32_e32 v15, 8, v12
	v_mov_b32_e32 v20, 0x3b800000
	v_lshlrev_b32_e32 v11, 20, v11
	v_and_b32_e32 v15, 0x80000000, v15
	v_lshl_add_u32 v14, v14, 23, v20
	v_or3_b32 v14, v15, v14, v11
.LBB14_1112:
	s_or_b64 exec, exec, s[6:7]
	s_nop 0
	v_mfma_f32_16x16x4f32 a[0:3], v10, v14, a[0:3]
	s_movk_i32 s4, 0x7f
	v_cmp_gt_i16_sdwa s[6:7], v16, s4 src0_sel:BYTE_3 src1_sel:DWORD
	s_mov_b64 s[4:5], 0
                                        ; implicit-def: $sgpr10
	s_and_saveexec_b64 s[8:9], s[6:7]
	s_xor_b64 s[6:7], exec, s[8:9]
	s_cbranch_execnz .LBB14_3161
; %bb.1113:
	s_or_saveexec_b64 s[6:7], s[6:7]
	v_mov_b32_e32 v10, s10
	s_xor_b64 exec, exec, s[6:7]
	s_cbranch_execnz .LBB14_3164
.LBB14_1114:
	s_or_b64 exec, exec, s[6:7]
	s_and_saveexec_b64 s[6:7], s[4:5]
	s_cbranch_execz .LBB14_1116
.LBB14_1115:
	v_bfe_u32 v10, v16, 24, 3
	v_ffbh_u32_e32 v20, v10
	v_min_u32_e32 v20, 32, v20
	v_lshrrev_b32_e32 v14, 27, v16
	v_subrev_u32_e32 v21, 28, v20
	v_and_b32_e32 v11, 0x80000000, v16
	v_and_b32_e32 v14, 15, v14
	v_bfe_u32 v15, v16, 27, 4
	v_lshlrev_b32_sdwa v16, v21, v16 dst_sel:DWORD dst_unused:UNUSED_PAD src0_sel:DWORD src1_sel:BYTE_3
	v_sub_u32_e32 v20, 29, v20
	v_and_b32_e32 v16, 7, v16
	v_cmp_eq_u16_e32 vcc, 0, v14
	v_cndmask_b32_e32 v10, v10, v16, vcc
	v_cndmask_b32_e32 v14, v15, v20, vcc
	v_mov_b32_e32 v15, 0x3b800000
	v_lshlrev_b32_e32 v10, 20, v10
	v_lshl_add_u32 v14, v14, 23, v15
	v_or3_b32 v10, v11, v14, v10
.LBB14_1116:
	s_or_b64 exec, exec, s[6:7]
	s_movk_i32 s4, 0x7f
	v_cmp_gt_i16_sdwa s[6:7], v12, s4 src0_sel:BYTE_3 src1_sel:DWORD
	s_mov_b64 s[4:5], 0
                                        ; implicit-def: $sgpr10
	s_and_saveexec_b64 s[8:9], s[6:7]
	s_xor_b64 s[6:7], exec, s[8:9]
	s_cbranch_execnz .LBB14_3165
; %bb.1117:
	s_or_saveexec_b64 s[6:7], s[6:7]
	v_mov_b32_e32 v11, s10
	s_xor_b64 exec, exec, s[6:7]
	s_cbranch_execnz .LBB14_3168
.LBB14_1118:
	s_or_b64 exec, exec, s[6:7]
	s_and_saveexec_b64 s[6:7], s[4:5]
	s_cbranch_execz .LBB14_1120
.LBB14_1119:
	v_bfe_u32 v11, v12, 24, 3
	v_ffbh_u32_e32 v20, v11
	v_min_u32_e32 v20, 32, v20
	v_lshrrev_b32_e32 v15, 27, v12
	v_subrev_u32_e32 v21, 28, v20
	v_and_b32_e32 v14, 0x80000000, v12
	v_and_b32_e32 v15, 15, v15
	v_bfe_u32 v16, v12, 27, 4
	v_lshlrev_b32_sdwa v12, v21, v12 dst_sel:DWORD dst_unused:UNUSED_PAD src0_sel:DWORD src1_sel:BYTE_3
	v_sub_u32_e32 v20, 29, v20
	v_and_b32_e32 v12, 7, v12
	v_cmp_eq_u16_e32 vcc, 0, v15
	v_cndmask_b32_e32 v11, v11, v12, vcc
	v_cndmask_b32_e32 v12, v16, v20, vcc
	v_mov_b32_e32 v15, 0x3b800000
	v_lshlrev_b32_e32 v11, 20, v11
	v_lshl_add_u32 v12, v12, 23, v15
	v_or3_b32 v11, v14, v12, v11
.LBB14_1120:
	s_or_b64 exec, exec, s[6:7]
	s_nop 0
	v_mfma_f32_16x16x4f32 a[0:3], v10, v11, a[0:3]
	s_movk_i32 s4, 0x7f
	v_cmp_gt_i16_sdwa s[6:7], v17, s4 src0_sel:BYTE_0 src1_sel:DWORD
	s_mov_b64 s[4:5], 0
                                        ; implicit-def: $sgpr10
	s_and_saveexec_b64 s[8:9], s[6:7]
	s_xor_b64 s[6:7], exec, s[8:9]
	s_cbranch_execnz .LBB14_3169
; %bb.1121:
	s_or_saveexec_b64 s[6:7], s[6:7]
	v_mov_b32_e32 v10, s10
	s_xor_b64 exec, exec, s[6:7]
	s_cbranch_execnz .LBB14_3172
.LBB14_1122:
	s_or_b64 exec, exec, s[6:7]
	s_and_saveexec_b64 s[6:7], s[4:5]
	s_cbranch_execz .LBB14_1124
.LBB14_1123:
	v_and_b32_e32 v10, 7, v17
	v_ffbh_u32_e32 v12, v10
	v_min_u32_e32 v12, 32, v12
	v_lshrrev_b16_e32 v11, 3, v17
	v_subrev_u32_e32 v14, 28, v12
	v_and_b32_e32 v11, 15, v11
	v_lshlrev_b32_e32 v14, v14, v17
	v_sub_u32_e32 v12, 29, v12
	v_and_b32_e32 v14, 7, v14
	v_cmp_eq_u16_e32 vcc, 0, v11
	v_cndmask_b32_e32 v10, v10, v14, vcc
	v_cndmask_b32_e32 v11, v11, v12, vcc
	v_lshlrev_b32_e32 v12, 24, v17
	v_mov_b32_e32 v14, 0x3b800000
	v_lshlrev_b32_e32 v10, 20, v10
	v_and_b32_e32 v12, 0x80000000, v12
	v_lshl_add_u32 v11, v11, 23, v14
	v_or3_b32 v10, v12, v11, v10
.LBB14_1124:
	s_or_b64 exec, exec, s[6:7]
	s_movk_i32 s4, 0x7f
	v_cmp_gt_i16_sdwa s[6:7], v13, s4 src0_sel:BYTE_0 src1_sel:DWORD
	s_mov_b64 s[4:5], 0
                                        ; implicit-def: $sgpr10
	s_and_saveexec_b64 s[8:9], s[6:7]
	s_xor_b64 s[6:7], exec, s[8:9]
	s_cbranch_execnz .LBB14_3173
; %bb.1125:
	s_or_saveexec_b64 s[6:7], s[6:7]
	v_mov_b32_e32 v11, s10
	s_xor_b64 exec, exec, s[6:7]
	s_cbranch_execnz .LBB14_3176
.LBB14_1126:
	s_or_b64 exec, exec, s[6:7]
	s_and_saveexec_b64 s[6:7], s[4:5]
	s_cbranch_execz .LBB14_1128
.LBB14_1127:
	v_and_b32_e32 v11, 7, v13
	v_ffbh_u32_e32 v14, v11
	v_min_u32_e32 v14, 32, v14
	v_lshrrev_b16_e32 v12, 3, v13
	v_subrev_u32_e32 v15, 28, v14
	v_and_b32_e32 v12, 15, v12
	v_lshlrev_b32_e32 v15, v15, v13
	v_sub_u32_e32 v14, 29, v14
	v_and_b32_e32 v15, 7, v15
	v_cmp_eq_u16_e32 vcc, 0, v12
	v_cndmask_b32_e32 v11, v11, v15, vcc
	v_cndmask_b32_e32 v12, v12, v14, vcc
	v_lshlrev_b32_e32 v14, 24, v13
	v_mov_b32_e32 v15, 0x3b800000
	v_lshlrev_b32_e32 v11, 20, v11
	v_and_b32_e32 v14, 0x80000000, v14
	v_lshl_add_u32 v12, v12, 23, v15
	v_or3_b32 v11, v14, v12, v11
.LBB14_1128:
	s_or_b64 exec, exec, s[6:7]
	s_nop 0
	v_mfma_f32_16x16x4f32 a[0:3], v10, v11, a[0:3]
	v_lshrrev_b32_e32 v11, 8, v17
	s_movk_i32 s4, 0x7f
	v_cmp_gt_i16_sdwa s[6:7], v11, s4 src0_sel:BYTE_0 src1_sel:DWORD
	s_mov_b64 s[4:5], 0
                                        ; implicit-def: $sgpr10
	s_and_saveexec_b64 s[8:9], s[6:7]
	s_xor_b64 s[6:7], exec, s[8:9]
	s_cbranch_execnz .LBB14_3177
; %bb.1129:
	s_or_saveexec_b64 s[6:7], s[6:7]
	v_mov_b32_e32 v10, s10
	s_xor_b64 exec, exec, s[6:7]
	s_cbranch_execnz .LBB14_3180
.LBB14_1130:
	s_or_b64 exec, exec, s[6:7]
	s_and_saveexec_b64 s[6:7], s[4:5]
	s_cbranch_execz .LBB14_1132
.LBB14_1131:
	v_bfe_u32 v10, v17, 8, 3
	v_ffbh_u32_e32 v14, v10
	v_min_u32_e32 v14, 32, v14
	v_lshrrev_b16_e32 v12, 3, v11
	v_subrev_u32_e32 v15, 28, v14
	v_and_b32_e32 v12, 15, v12
	v_lshlrev_b32_e32 v11, v15, v11
	v_sub_u32_e32 v14, 29, v14
	v_and_b32_e32 v11, 7, v11
	v_cmp_eq_u16_e32 vcc, 0, v12
	v_cndmask_b32_e32 v10, v10, v11, vcc
	v_cndmask_b32_e32 v11, v12, v14, vcc
	v_lshlrev_b32_e32 v12, 16, v17
	v_mov_b32_e32 v14, 0x3b800000
	v_lshlrev_b32_e32 v10, 20, v10
	v_and_b32_e32 v12, 0x80000000, v12
	v_lshl_add_u32 v11, v11, 23, v14
	v_or3_b32 v10, v12, v11, v10
.LBB14_1132:
	s_or_b64 exec, exec, s[6:7]
	v_lshrrev_b32_e32 v11, 8, v13
	s_movk_i32 s4, 0x7f
	v_cmp_gt_i16_sdwa s[6:7], v11, s4 src0_sel:BYTE_0 src1_sel:DWORD
	s_mov_b64 s[4:5], 0
                                        ; implicit-def: $sgpr10
	s_and_saveexec_b64 s[8:9], s[6:7]
	s_xor_b64 s[6:7], exec, s[8:9]
	s_cbranch_execnz .LBB14_3181
; %bb.1133:
	s_or_saveexec_b64 s[6:7], s[6:7]
	v_mov_b32_e32 v12, s10
	s_xor_b64 exec, exec, s[6:7]
	s_cbranch_execnz .LBB14_3184
.LBB14_1134:
	s_or_b64 exec, exec, s[6:7]
	s_and_saveexec_b64 s[6:7], s[4:5]
	s_cbranch_execz .LBB14_1136
.LBB14_1135:
	v_bfe_u32 v12, v13, 8, 3
	v_ffbh_u32_e32 v15, v12
	v_min_u32_e32 v15, 32, v15
	v_lshrrev_b16_e32 v14, 3, v11
	v_subrev_u32_e32 v16, 28, v15
	v_and_b32_e32 v14, 15, v14
	v_lshlrev_b32_e32 v11, v16, v11
	v_sub_u32_e32 v15, 29, v15
	v_and_b32_e32 v11, 7, v11
	v_cmp_eq_u16_e32 vcc, 0, v14
	v_cndmask_b32_e32 v11, v12, v11, vcc
	v_cndmask_b32_e32 v12, v14, v15, vcc
	v_lshlrev_b32_e32 v14, 16, v13
	v_mov_b32_e32 v15, 0x3b800000
	v_lshlrev_b32_e32 v11, 20, v11
	v_and_b32_e32 v14, 0x80000000, v14
	v_lshl_add_u32 v12, v12, 23, v15
	v_or3_b32 v12, v14, v12, v11
.LBB14_1136:
	s_or_b64 exec, exec, s[6:7]
	s_nop 0
	v_mfma_f32_16x16x4f32 a[0:3], v10, v12, a[0:3]
	s_movk_i32 s4, 0xff
	v_and_b32_sdwa v11, v17, s4 dst_sel:DWORD dst_unused:UNUSED_PAD src0_sel:WORD_1 src1_sel:DWORD
	s_movk_i32 s4, 0x7f
	v_cmp_lt_i16_e32 vcc, s4, v11
	s_mov_b64 s[4:5], 0
                                        ; implicit-def: $sgpr10
	s_and_saveexec_b64 s[6:7], vcc
	s_xor_b64 s[6:7], exec, s[6:7]
	s_cbranch_execnz .LBB14_3185
; %bb.1137:
	s_or_saveexec_b64 s[6:7], s[6:7]
	v_mov_b32_e32 v10, s10
	s_xor_b64 exec, exec, s[6:7]
	s_cbranch_execnz .LBB14_3188
.LBB14_1138:
	s_or_b64 exec, exec, s[6:7]
	s_and_saveexec_b64 s[6:7], s[4:5]
	s_cbranch_execz .LBB14_1140
.LBB14_1139:
	v_bfe_u32 v10, v17, 16, 3
	v_ffbh_u32_e32 v14, v10
	v_min_u32_e32 v14, 32, v14
	v_lshrrev_b32_e32 v11, 19, v17
	v_subrev_u32_e32 v15, 28, v14
	v_and_b32_e32 v11, 15, v11
	v_lshlrev_b32_sdwa v15, v15, v17 dst_sel:DWORD dst_unused:UNUSED_PAD src0_sel:DWORD src1_sel:WORD_1
	v_bfe_u32 v12, v17, 19, 4
	v_sub_u32_e32 v14, 29, v14
	v_and_b32_e32 v15, 7, v15
	v_cmp_eq_u16_e32 vcc, 0, v11
	v_cndmask_b32_e32 v10, v10, v15, vcc
	v_cndmask_b32_e32 v11, v12, v14, vcc
	v_lshlrev_b32_e32 v12, 8, v17
	v_mov_b32_e32 v14, 0x3b800000
	v_lshlrev_b32_e32 v10, 20, v10
	v_and_b32_e32 v12, 0x80000000, v12
	v_lshl_add_u32 v11, v11, 23, v14
	v_or3_b32 v10, v12, v11, v10
.LBB14_1140:
	s_or_b64 exec, exec, s[6:7]
	s_movk_i32 s4, 0xff
	v_and_b32_sdwa v11, v13, s4 dst_sel:DWORD dst_unused:UNUSED_PAD src0_sel:WORD_1 src1_sel:DWORD
	s_movk_i32 s4, 0x7f
	v_cmp_lt_i16_e32 vcc, s4, v11
	s_mov_b64 s[4:5], 0
                                        ; implicit-def: $sgpr10
	s_and_saveexec_b64 s[6:7], vcc
	s_xor_b64 s[6:7], exec, s[6:7]
	s_cbranch_execnz .LBB14_3189
; %bb.1141:
	s_or_saveexec_b64 s[6:7], s[6:7]
	v_mov_b32_e32 v12, s10
	s_xor_b64 exec, exec, s[6:7]
	s_cbranch_execnz .LBB14_3192
.LBB14_1142:
	s_or_b64 exec, exec, s[6:7]
	s_and_saveexec_b64 s[6:7], s[4:5]
	s_cbranch_execz .LBB14_1144
.LBB14_1143:
	v_bfe_u32 v11, v13, 16, 3
	v_ffbh_u32_e32 v15, v11
	v_min_u32_e32 v15, 32, v15
	v_lshrrev_b32_e32 v12, 19, v13
	v_subrev_u32_e32 v16, 28, v15
	v_and_b32_e32 v12, 15, v12
	v_lshlrev_b32_sdwa v16, v16, v13 dst_sel:DWORD dst_unused:UNUSED_PAD src0_sel:DWORD src1_sel:WORD_1
	v_bfe_u32 v14, v13, 19, 4
	v_sub_u32_e32 v15, 29, v15
	v_and_b32_e32 v16, 7, v16
	v_cmp_eq_u16_e32 vcc, 0, v12
	v_cndmask_b32_e32 v11, v11, v16, vcc
	v_cndmask_b32_e32 v12, v14, v15, vcc
	v_lshlrev_b32_e32 v14, 8, v13
	v_mov_b32_e32 v15, 0x3b800000
	v_lshlrev_b32_e32 v11, 20, v11
	v_and_b32_e32 v14, 0x80000000, v14
	v_lshl_add_u32 v12, v12, 23, v15
	v_or3_b32 v12, v14, v12, v11
.LBB14_1144:
	s_or_b64 exec, exec, s[6:7]
	s_nop 0
	v_mfma_f32_16x16x4f32 a[0:3], v10, v12, a[0:3]
	s_movk_i32 s4, 0x7f
	v_cmp_gt_i16_sdwa s[6:7], v17, s4 src0_sel:BYTE_3 src1_sel:DWORD
	s_mov_b64 s[4:5], 0
                                        ; implicit-def: $sgpr10
	s_and_saveexec_b64 s[8:9], s[6:7]
	s_xor_b64 s[6:7], exec, s[8:9]
	s_cbranch_execnz .LBB14_3193
; %bb.1145:
	s_or_saveexec_b64 s[6:7], s[6:7]
	v_mov_b32_e32 v10, s10
	s_xor_b64 exec, exec, s[6:7]
	s_cbranch_execnz .LBB14_3196
.LBB14_1146:
	s_or_b64 exec, exec, s[6:7]
	s_and_saveexec_b64 s[6:7], s[4:5]
	s_cbranch_execz .LBB14_1148
.LBB14_1147:
	v_bfe_u32 v10, v17, 24, 3
	v_ffbh_u32_e32 v15, v10
	v_min_u32_e32 v15, 32, v15
	v_lshrrev_b32_e32 v12, 27, v17
	v_subrev_u32_e32 v16, 28, v15
	v_and_b32_e32 v12, 15, v12
	v_lshlrev_b32_sdwa v16, v16, v17 dst_sel:DWORD dst_unused:UNUSED_PAD src0_sel:DWORD src1_sel:BYTE_3
	v_bfe_u32 v14, v17, 27, 4
	v_sub_u32_e32 v15, 29, v15
	v_and_b32_e32 v16, 7, v16
	v_cmp_eq_u16_e32 vcc, 0, v12
	v_cndmask_b32_e32 v10, v10, v16, vcc
	v_cndmask_b32_e32 v12, v14, v15, vcc
	v_mov_b32_e32 v14, 0x3b800000
	v_and_b32_e32 v11, 0x80000000, v17
	v_lshlrev_b32_e32 v10, 20, v10
	v_lshl_add_u32 v12, v12, 23, v14
	v_or3_b32 v10, v11, v12, v10
.LBB14_1148:
	s_or_b64 exec, exec, s[6:7]
	s_movk_i32 s4, 0x7f
	v_cmp_gt_i16_sdwa s[6:7], v13, s4 src0_sel:BYTE_3 src1_sel:DWORD
	s_mov_b64 s[4:5], 0
                                        ; implicit-def: $sgpr10
	s_and_saveexec_b64 s[8:9], s[6:7]
	s_xor_b64 s[6:7], exec, s[8:9]
	s_cbranch_execnz .LBB14_3197
; %bb.1149:
	s_or_saveexec_b64 s[6:7], s[6:7]
	v_mov_b32_e32 v11, s10
	s_xor_b64 exec, exec, s[6:7]
	s_cbranch_execnz .LBB14_3200
.LBB14_1150:
	s_or_b64 exec, exec, s[6:7]
	s_and_saveexec_b64 s[6:7], s[4:5]
	s_cbranch_execz .LBB14_1152
.LBB14_1151:
	v_bfe_u32 v11, v13, 24, 3
	v_ffbh_u32_e32 v16, v11
	v_min_u32_e32 v16, 32, v16
	v_lshrrev_b32_e32 v14, 27, v13
	v_subrev_u32_e32 v17, 28, v16
	v_and_b32_e32 v12, 0x80000000, v13
	v_and_b32_e32 v14, 15, v14
	v_bfe_u32 v15, v13, 27, 4
	v_lshlrev_b32_sdwa v13, v17, v13 dst_sel:DWORD dst_unused:UNUSED_PAD src0_sel:DWORD src1_sel:BYTE_3
	v_sub_u32_e32 v16, 29, v16
	v_and_b32_e32 v13, 7, v13
	v_cmp_eq_u16_e32 vcc, 0, v14
	v_cndmask_b32_e32 v11, v11, v13, vcc
	v_cndmask_b32_e32 v13, v15, v16, vcc
	v_mov_b32_e32 v14, 0x3b800000
	v_lshlrev_b32_e32 v11, 20, v11
	v_lshl_add_u32 v13, v13, 23, v14
	v_or3_b32 v11, v12, v13, v11
.LBB14_1152:
	s_or_b64 exec, exec, s[6:7]
	s_nop 0
	v_mfma_f32_16x16x4f32 a[0:3], v10, v11, a[0:3]
	s_movk_i32 s4, 0x7f
	v_cmp_gt_i16_sdwa s[6:7], v6, s4 src0_sel:BYTE_0 src1_sel:DWORD
	s_mov_b64 s[4:5], 0
                                        ; implicit-def: $sgpr10
	s_and_saveexec_b64 s[8:9], s[6:7]
	s_xor_b64 s[6:7], exec, s[8:9]
	s_cbranch_execnz .LBB14_3201
; %bb.1153:
	s_or_saveexec_b64 s[6:7], s[6:7]
	v_mov_b32_e32 v10, s10
	s_xor_b64 exec, exec, s[6:7]
	s_cbranch_execnz .LBB14_3204
.LBB14_1154:
	s_or_b64 exec, exec, s[6:7]
	s_and_saveexec_b64 s[6:7], s[4:5]
	s_cbranch_execz .LBB14_1156
.LBB14_1155:
	v_and_b32_e32 v10, 7, v6
	v_ffbh_u32_e32 v12, v10
	v_min_u32_e32 v12, 32, v12
	v_lshrrev_b16_e32 v11, 3, v6
	v_subrev_u32_e32 v13, 28, v12
	v_and_b32_e32 v11, 15, v11
	v_lshlrev_b32_e32 v13, v13, v6
	v_sub_u32_e32 v12, 29, v12
	v_and_b32_e32 v13, 7, v13
	v_cmp_eq_u16_e32 vcc, 0, v11
	v_cndmask_b32_e32 v10, v10, v13, vcc
	v_cndmask_b32_e32 v11, v11, v12, vcc
	v_lshlrev_b32_e32 v12, 24, v6
	v_mov_b32_e32 v13, 0x3b800000
	v_lshlrev_b32_e32 v10, 20, v10
	v_and_b32_e32 v12, 0x80000000, v12
	v_lshl_add_u32 v11, v11, 23, v13
	v_or3_b32 v10, v12, v11, v10
.LBB14_1156:
	s_or_b64 exec, exec, s[6:7]
	s_movk_i32 s4, 0x7f
	v_cmp_gt_i16_sdwa s[6:7], v2, s4 src0_sel:BYTE_0 src1_sel:DWORD
	s_mov_b64 s[4:5], 0
                                        ; implicit-def: $sgpr10
	s_and_saveexec_b64 s[8:9], s[6:7]
	s_xor_b64 s[6:7], exec, s[8:9]
	s_cbranch_execnz .LBB14_3205
; %bb.1157:
	s_or_saveexec_b64 s[6:7], s[6:7]
	v_mov_b32_e32 v11, s10
	s_xor_b64 exec, exec, s[6:7]
	s_cbranch_execnz .LBB14_3208
.LBB14_1158:
	s_or_b64 exec, exec, s[6:7]
	s_and_saveexec_b64 s[6:7], s[4:5]
	s_cbranch_execz .LBB14_1160
.LBB14_1159:
	v_and_b32_e32 v11, 7, v2
	v_ffbh_u32_e32 v13, v11
	v_min_u32_e32 v13, 32, v13
	v_lshrrev_b16_e32 v12, 3, v2
	v_subrev_u32_e32 v14, 28, v13
	v_and_b32_e32 v12, 15, v12
	v_lshlrev_b32_e32 v14, v14, v2
	v_sub_u32_e32 v13, 29, v13
	v_and_b32_e32 v14, 7, v14
	v_cmp_eq_u16_e32 vcc, 0, v12
	v_cndmask_b32_e32 v11, v11, v14, vcc
	v_cndmask_b32_e32 v12, v12, v13, vcc
	v_lshlrev_b32_e32 v13, 24, v2
	v_mov_b32_e32 v14, 0x3b800000
	v_lshlrev_b32_e32 v11, 20, v11
	v_and_b32_e32 v13, 0x80000000, v13
	v_lshl_add_u32 v12, v12, 23, v14
	v_or3_b32 v11, v13, v12, v11
.LBB14_1160:
	s_or_b64 exec, exec, s[6:7]
	s_nop 0
	v_mfma_f32_16x16x4f32 a[0:3], v10, v11, a[0:3]
	v_lshrrev_b32_e32 v11, 8, v6
	s_movk_i32 s4, 0x7f
	v_cmp_gt_i16_sdwa s[6:7], v11, s4 src0_sel:BYTE_0 src1_sel:DWORD
	s_mov_b64 s[4:5], 0
                                        ; implicit-def: $sgpr10
	s_and_saveexec_b64 s[8:9], s[6:7]
	s_xor_b64 s[6:7], exec, s[8:9]
	s_cbranch_execnz .LBB14_3209
; %bb.1161:
	s_or_saveexec_b64 s[6:7], s[6:7]
	v_mov_b32_e32 v10, s10
	s_xor_b64 exec, exec, s[6:7]
	s_cbranch_execnz .LBB14_3212
.LBB14_1162:
	s_or_b64 exec, exec, s[6:7]
	s_and_saveexec_b64 s[6:7], s[4:5]
	s_cbranch_execz .LBB14_1164
.LBB14_1163:
	v_bfe_u32 v10, v6, 8, 3
	v_ffbh_u32_e32 v13, v10
	v_min_u32_e32 v13, 32, v13
	v_lshrrev_b16_e32 v12, 3, v11
	v_subrev_u32_e32 v14, 28, v13
	v_and_b32_e32 v12, 15, v12
	v_lshlrev_b32_e32 v11, v14, v11
	v_sub_u32_e32 v13, 29, v13
	v_and_b32_e32 v11, 7, v11
	v_cmp_eq_u16_e32 vcc, 0, v12
	v_cndmask_b32_e32 v10, v10, v11, vcc
	v_cndmask_b32_e32 v11, v12, v13, vcc
	v_lshlrev_b32_e32 v12, 16, v6
	v_mov_b32_e32 v13, 0x3b800000
	v_lshlrev_b32_e32 v10, 20, v10
	v_and_b32_e32 v12, 0x80000000, v12
	v_lshl_add_u32 v11, v11, 23, v13
	v_or3_b32 v10, v12, v11, v10
.LBB14_1164:
	s_or_b64 exec, exec, s[6:7]
	v_lshrrev_b32_e32 v11, 8, v2
	s_movk_i32 s4, 0x7f
	v_cmp_gt_i16_sdwa s[6:7], v11, s4 src0_sel:BYTE_0 src1_sel:DWORD
	s_mov_b64 s[4:5], 0
                                        ; implicit-def: $sgpr10
	s_and_saveexec_b64 s[8:9], s[6:7]
	s_xor_b64 s[6:7], exec, s[8:9]
	s_cbranch_execnz .LBB14_3213
; %bb.1165:
	s_or_saveexec_b64 s[6:7], s[6:7]
	v_mov_b32_e32 v12, s10
	s_xor_b64 exec, exec, s[6:7]
	s_cbranch_execnz .LBB14_3216
.LBB14_1166:
	s_or_b64 exec, exec, s[6:7]
	s_and_saveexec_b64 s[6:7], s[4:5]
	s_cbranch_execz .LBB14_1168
.LBB14_1167:
	v_bfe_u32 v12, v2, 8, 3
	v_ffbh_u32_e32 v14, v12
	v_min_u32_e32 v14, 32, v14
	v_lshrrev_b16_e32 v13, 3, v11
	v_subrev_u32_e32 v15, 28, v14
	v_and_b32_e32 v13, 15, v13
	v_lshlrev_b32_e32 v11, v15, v11
	v_sub_u32_e32 v14, 29, v14
	v_and_b32_e32 v11, 7, v11
	v_cmp_eq_u16_e32 vcc, 0, v13
	v_cndmask_b32_e32 v11, v12, v11, vcc
	v_cndmask_b32_e32 v12, v13, v14, vcc
	v_lshlrev_b32_e32 v13, 16, v2
	v_mov_b32_e32 v14, 0x3b800000
	v_lshlrev_b32_e32 v11, 20, v11
	v_and_b32_e32 v13, 0x80000000, v13
	v_lshl_add_u32 v12, v12, 23, v14
	v_or3_b32 v12, v13, v12, v11
.LBB14_1168:
	s_or_b64 exec, exec, s[6:7]
	s_nop 0
	v_mfma_f32_16x16x4f32 a[0:3], v10, v12, a[0:3]
	s_movk_i32 s4, 0xff
	v_and_b32_sdwa v11, v6, s4 dst_sel:DWORD dst_unused:UNUSED_PAD src0_sel:WORD_1 src1_sel:DWORD
	s_movk_i32 s4, 0x7f
	v_cmp_lt_i16_e32 vcc, s4, v11
	s_mov_b64 s[4:5], 0
                                        ; implicit-def: $sgpr10
	s_and_saveexec_b64 s[6:7], vcc
	s_xor_b64 s[6:7], exec, s[6:7]
	s_cbranch_execnz .LBB14_3217
; %bb.1169:
	s_or_saveexec_b64 s[6:7], s[6:7]
	v_mov_b32_e32 v10, s10
	s_xor_b64 exec, exec, s[6:7]
	s_cbranch_execnz .LBB14_3220
.LBB14_1170:
	s_or_b64 exec, exec, s[6:7]
	s_and_saveexec_b64 s[6:7], s[4:5]
	s_cbranch_execz .LBB14_1172
.LBB14_1171:
	v_bfe_u32 v10, v6, 16, 3
	v_ffbh_u32_e32 v13, v10
	v_min_u32_e32 v13, 32, v13
	v_lshrrev_b32_e32 v11, 19, v6
	v_subrev_u32_e32 v14, 28, v13
	v_and_b32_e32 v11, 15, v11
	v_lshlrev_b32_sdwa v14, v14, v6 dst_sel:DWORD dst_unused:UNUSED_PAD src0_sel:DWORD src1_sel:WORD_1
	v_bfe_u32 v12, v6, 19, 4
	v_sub_u32_e32 v13, 29, v13
	v_and_b32_e32 v14, 7, v14
	v_cmp_eq_u16_e32 vcc, 0, v11
	v_cndmask_b32_e32 v10, v10, v14, vcc
	v_cndmask_b32_e32 v11, v12, v13, vcc
	v_lshlrev_b32_e32 v12, 8, v6
	v_mov_b32_e32 v13, 0x3b800000
	v_lshlrev_b32_e32 v10, 20, v10
	v_and_b32_e32 v12, 0x80000000, v12
	v_lshl_add_u32 v11, v11, 23, v13
	v_or3_b32 v10, v12, v11, v10
.LBB14_1172:
	s_or_b64 exec, exec, s[6:7]
	s_movk_i32 s4, 0xff
	v_and_b32_sdwa v11, v2, s4 dst_sel:DWORD dst_unused:UNUSED_PAD src0_sel:WORD_1 src1_sel:DWORD
	s_movk_i32 s4, 0x7f
	v_cmp_lt_i16_e32 vcc, s4, v11
	s_mov_b64 s[4:5], 0
                                        ; implicit-def: $sgpr10
	s_and_saveexec_b64 s[6:7], vcc
	s_xor_b64 s[6:7], exec, s[6:7]
	s_cbranch_execnz .LBB14_3221
; %bb.1173:
	s_or_saveexec_b64 s[6:7], s[6:7]
	v_mov_b32_e32 v12, s10
	s_xor_b64 exec, exec, s[6:7]
	s_cbranch_execnz .LBB14_3224
.LBB14_1174:
	s_or_b64 exec, exec, s[6:7]
	s_and_saveexec_b64 s[6:7], s[4:5]
	s_cbranch_execz .LBB14_1176
.LBB14_1175:
	v_bfe_u32 v11, v2, 16, 3
	v_ffbh_u32_e32 v14, v11
	v_min_u32_e32 v14, 32, v14
	v_lshrrev_b32_e32 v12, 19, v2
	v_subrev_u32_e32 v15, 28, v14
	v_and_b32_e32 v12, 15, v12
	v_lshlrev_b32_sdwa v15, v15, v2 dst_sel:DWORD dst_unused:UNUSED_PAD src0_sel:DWORD src1_sel:WORD_1
	v_bfe_u32 v13, v2, 19, 4
	v_sub_u32_e32 v14, 29, v14
	v_and_b32_e32 v15, 7, v15
	v_cmp_eq_u16_e32 vcc, 0, v12
	v_cndmask_b32_e32 v11, v11, v15, vcc
	v_cndmask_b32_e32 v12, v13, v14, vcc
	v_lshlrev_b32_e32 v13, 8, v2
	v_mov_b32_e32 v14, 0x3b800000
	v_lshlrev_b32_e32 v11, 20, v11
	v_and_b32_e32 v13, 0x80000000, v13
	v_lshl_add_u32 v12, v12, 23, v14
	v_or3_b32 v12, v13, v12, v11
.LBB14_1176:
	s_or_b64 exec, exec, s[6:7]
	s_nop 0
	v_mfma_f32_16x16x4f32 a[0:3], v10, v12, a[0:3]
	s_movk_i32 s4, 0x7f
	v_cmp_gt_i16_sdwa s[6:7], v6, s4 src0_sel:BYTE_3 src1_sel:DWORD
	s_mov_b64 s[4:5], 0
                                        ; implicit-def: $sgpr10
	s_and_saveexec_b64 s[8:9], s[6:7]
	s_xor_b64 s[6:7], exec, s[8:9]
	s_cbranch_execnz .LBB14_3225
; %bb.1177:
	s_or_saveexec_b64 s[6:7], s[6:7]
	v_mov_b32_e32 v10, s10
	s_xor_b64 exec, exec, s[6:7]
	s_cbranch_execnz .LBB14_3228
.LBB14_1178:
	s_or_b64 exec, exec, s[6:7]
	s_and_saveexec_b64 s[6:7], s[4:5]
	s_cbranch_execz .LBB14_1180
.LBB14_1179:
	v_bfe_u32 v10, v6, 24, 3
	v_ffbh_u32_e32 v14, v10
	v_min_u32_e32 v14, 32, v14
	v_lshrrev_b32_e32 v12, 27, v6
	v_subrev_u32_e32 v15, 28, v14
	v_and_b32_e32 v11, 0x80000000, v6
	v_and_b32_e32 v12, 15, v12
	v_bfe_u32 v13, v6, 27, 4
	v_lshlrev_b32_sdwa v6, v15, v6 dst_sel:DWORD dst_unused:UNUSED_PAD src0_sel:DWORD src1_sel:BYTE_3
	v_sub_u32_e32 v14, 29, v14
	v_and_b32_e32 v6, 7, v6
	v_cmp_eq_u16_e32 vcc, 0, v12
	v_cndmask_b32_e32 v6, v10, v6, vcc
	v_cndmask_b32_e32 v10, v13, v14, vcc
	v_mov_b32_e32 v12, 0x3b800000
	v_lshlrev_b32_e32 v6, 20, v6
	v_lshl_add_u32 v10, v10, 23, v12
	v_or3_b32 v10, v11, v10, v6
.LBB14_1180:
	s_or_b64 exec, exec, s[6:7]
	s_movk_i32 s4, 0x7f
	v_cmp_gt_i16_sdwa s[6:7], v2, s4 src0_sel:BYTE_3 src1_sel:DWORD
	s_mov_b64 s[4:5], 0
                                        ; implicit-def: $sgpr10
	s_and_saveexec_b64 s[8:9], s[6:7]
	s_xor_b64 s[6:7], exec, s[8:9]
	s_cbranch_execnz .LBB14_3229
; %bb.1181:
	s_or_saveexec_b64 s[6:7], s[6:7]
	v_mov_b32_e32 v6, s10
	s_xor_b64 exec, exec, s[6:7]
	s_cbranch_execnz .LBB14_3232
.LBB14_1182:
	s_or_b64 exec, exec, s[6:7]
	s_and_saveexec_b64 s[6:7], s[4:5]
	s_cbranch_execz .LBB14_1184
.LBB14_1183:
	v_bfe_u32 v6, v2, 24, 3
	v_ffbh_u32_e32 v14, v6
	v_min_u32_e32 v14, 32, v14
	v_lshrrev_b32_e32 v12, 27, v2
	v_subrev_u32_e32 v15, 28, v14
	v_and_b32_e32 v11, 0x80000000, v2
	v_and_b32_e32 v12, 15, v12
	v_bfe_u32 v13, v2, 27, 4
	v_lshlrev_b32_sdwa v2, v15, v2 dst_sel:DWORD dst_unused:UNUSED_PAD src0_sel:DWORD src1_sel:BYTE_3
	v_sub_u32_e32 v14, 29, v14
	v_and_b32_e32 v2, 7, v2
	v_cmp_eq_u16_e32 vcc, 0, v12
	v_cndmask_b32_e32 v2, v6, v2, vcc
	v_cndmask_b32_e32 v6, v13, v14, vcc
	v_mov_b32_e32 v12, 0x3b800000
	v_lshlrev_b32_e32 v2, 20, v2
	v_lshl_add_u32 v6, v6, 23, v12
	v_or3_b32 v6, v11, v6, v2
.LBB14_1184:
	s_or_b64 exec, exec, s[6:7]
	s_nop 0
	v_mfma_f32_16x16x4f32 a[0:3], v10, v6, a[0:3]
	s_movk_i32 s4, 0x7f
	v_cmp_gt_i16_sdwa s[6:7], v7, s4 src0_sel:BYTE_0 src1_sel:DWORD
	s_mov_b64 s[4:5], 0
                                        ; implicit-def: $sgpr10
	s_and_saveexec_b64 s[8:9], s[6:7]
	s_xor_b64 s[6:7], exec, s[8:9]
	s_cbranch_execnz .LBB14_3233
; %bb.1185:
	s_or_saveexec_b64 s[6:7], s[6:7]
	v_mov_b32_e32 v2, s10
	s_xor_b64 exec, exec, s[6:7]
	s_cbranch_execnz .LBB14_3236
.LBB14_1186:
	s_or_b64 exec, exec, s[6:7]
	s_and_saveexec_b64 s[6:7], s[4:5]
	s_cbranch_execz .LBB14_1188
.LBB14_1187:
	v_and_b32_e32 v2, 7, v7
	v_ffbh_u32_e32 v10, v2
	v_min_u32_e32 v10, 32, v10
	v_lshrrev_b16_e32 v6, 3, v7
	v_subrev_u32_e32 v11, 28, v10
	v_and_b32_e32 v6, 15, v6
	v_lshlrev_b32_e32 v11, v11, v7
	v_sub_u32_e32 v10, 29, v10
	v_and_b32_e32 v11, 7, v11
	v_cmp_eq_u16_e32 vcc, 0, v6
	v_cndmask_b32_e32 v2, v2, v11, vcc
	v_cndmask_b32_e32 v6, v6, v10, vcc
	v_lshlrev_b32_e32 v10, 24, v7
	v_mov_b32_e32 v11, 0x3b800000
	v_lshlrev_b32_e32 v2, 20, v2
	v_and_b32_e32 v10, 0x80000000, v10
	v_lshl_add_u32 v6, v6, 23, v11
	v_or3_b32 v2, v10, v6, v2
.LBB14_1188:
	s_or_b64 exec, exec, s[6:7]
	s_movk_i32 s4, 0x7f
	v_cmp_gt_i16_sdwa s[6:7], v3, s4 src0_sel:BYTE_0 src1_sel:DWORD
	s_mov_b64 s[4:5], 0
                                        ; implicit-def: $sgpr10
	s_and_saveexec_b64 s[8:9], s[6:7]
	s_xor_b64 s[6:7], exec, s[8:9]
	s_cbranch_execnz .LBB14_3237
; %bb.1189:
	s_or_saveexec_b64 s[6:7], s[6:7]
	v_mov_b32_e32 v6, s10
	s_xor_b64 exec, exec, s[6:7]
	s_cbranch_execnz .LBB14_3240
.LBB14_1190:
	s_or_b64 exec, exec, s[6:7]
	s_and_saveexec_b64 s[6:7], s[4:5]
	s_cbranch_execz .LBB14_1192
.LBB14_1191:
	v_and_b32_e32 v6, 7, v3
	v_ffbh_u32_e32 v11, v6
	v_min_u32_e32 v11, 32, v11
	v_lshrrev_b16_e32 v10, 3, v3
	v_subrev_u32_e32 v12, 28, v11
	v_and_b32_e32 v10, 15, v10
	v_lshlrev_b32_e32 v12, v12, v3
	v_sub_u32_e32 v11, 29, v11
	v_and_b32_e32 v12, 7, v12
	v_cmp_eq_u16_e32 vcc, 0, v10
	v_cndmask_b32_e32 v6, v6, v12, vcc
	v_cndmask_b32_e32 v10, v10, v11, vcc
	v_lshlrev_b32_e32 v11, 24, v3
	v_mov_b32_e32 v12, 0x3b800000
	v_lshlrev_b32_e32 v6, 20, v6
	v_and_b32_e32 v11, 0x80000000, v11
	v_lshl_add_u32 v10, v10, 23, v12
	v_or3_b32 v6, v11, v10, v6
.LBB14_1192:
	s_or_b64 exec, exec, s[6:7]
	s_nop 0
	v_mfma_f32_16x16x4f32 a[0:3], v2, v6, a[0:3]
	v_lshrrev_b32_e32 v6, 8, v7
	s_movk_i32 s4, 0x7f
	v_cmp_gt_i16_sdwa s[6:7], v6, s4 src0_sel:BYTE_0 src1_sel:DWORD
	s_mov_b64 s[4:5], 0
                                        ; implicit-def: $sgpr10
	s_and_saveexec_b64 s[8:9], s[6:7]
	s_xor_b64 s[6:7], exec, s[8:9]
	s_cbranch_execnz .LBB14_3241
; %bb.1193:
	s_or_saveexec_b64 s[6:7], s[6:7]
	v_mov_b32_e32 v2, s10
	s_xor_b64 exec, exec, s[6:7]
	s_cbranch_execnz .LBB14_3244
.LBB14_1194:
	s_or_b64 exec, exec, s[6:7]
	s_and_saveexec_b64 s[6:7], s[4:5]
	s_cbranch_execz .LBB14_1196
.LBB14_1195:
	v_bfe_u32 v2, v7, 8, 3
	v_ffbh_u32_e32 v11, v2
	v_min_u32_e32 v11, 32, v11
	v_lshrrev_b16_e32 v10, 3, v6
	v_subrev_u32_e32 v12, 28, v11
	v_and_b32_e32 v10, 15, v10
	v_lshlrev_b32_e32 v6, v12, v6
	v_sub_u32_e32 v11, 29, v11
	v_and_b32_e32 v6, 7, v6
	v_cmp_eq_u16_e32 vcc, 0, v10
	v_cndmask_b32_e32 v2, v2, v6, vcc
	v_cndmask_b32_e32 v6, v10, v11, vcc
	v_lshlrev_b32_e32 v10, 16, v7
	v_mov_b32_e32 v11, 0x3b800000
	v_lshlrev_b32_e32 v2, 20, v2
	v_and_b32_e32 v10, 0x80000000, v10
	v_lshl_add_u32 v6, v6, 23, v11
	v_or3_b32 v2, v10, v6, v2
.LBB14_1196:
	s_or_b64 exec, exec, s[6:7]
	v_lshrrev_b32_e32 v6, 8, v3
	s_movk_i32 s4, 0x7f
	v_cmp_gt_i16_sdwa s[6:7], v6, s4 src0_sel:BYTE_0 src1_sel:DWORD
	s_mov_b64 s[4:5], 0
                                        ; implicit-def: $sgpr10
	s_and_saveexec_b64 s[8:9], s[6:7]
	s_xor_b64 s[6:7], exec, s[8:9]
	s_cbranch_execnz .LBB14_3245
; %bb.1197:
	s_or_saveexec_b64 s[6:7], s[6:7]
	v_mov_b32_e32 v10, s10
	s_xor_b64 exec, exec, s[6:7]
	s_cbranch_execnz .LBB14_3248
.LBB14_1198:
	s_or_b64 exec, exec, s[6:7]
	s_and_saveexec_b64 s[6:7], s[4:5]
	s_cbranch_execz .LBB14_1200
.LBB14_1199:
	v_bfe_u32 v10, v3, 8, 3
	v_ffbh_u32_e32 v12, v10
	v_min_u32_e32 v12, 32, v12
	v_lshrrev_b16_e32 v11, 3, v6
	v_subrev_u32_e32 v13, 28, v12
	v_and_b32_e32 v11, 15, v11
	v_lshlrev_b32_e32 v6, v13, v6
	v_sub_u32_e32 v12, 29, v12
	v_and_b32_e32 v6, 7, v6
	v_cmp_eq_u16_e32 vcc, 0, v11
	v_cndmask_b32_e32 v6, v10, v6, vcc
	v_cndmask_b32_e32 v10, v11, v12, vcc
	v_lshlrev_b32_e32 v11, 16, v3
	v_mov_b32_e32 v12, 0x3b800000
	v_lshlrev_b32_e32 v6, 20, v6
	v_and_b32_e32 v11, 0x80000000, v11
	v_lshl_add_u32 v10, v10, 23, v12
	v_or3_b32 v10, v11, v10, v6
.LBB14_1200:
	s_or_b64 exec, exec, s[6:7]
	s_nop 0
	v_mfma_f32_16x16x4f32 a[0:3], v2, v10, a[0:3]
	s_movk_i32 s4, 0xff
	v_and_b32_sdwa v6, v7, s4 dst_sel:DWORD dst_unused:UNUSED_PAD src0_sel:WORD_1 src1_sel:DWORD
	s_movk_i32 s4, 0x7f
	v_cmp_lt_i16_e32 vcc, s4, v6
	s_mov_b64 s[4:5], 0
                                        ; implicit-def: $sgpr10
	s_and_saveexec_b64 s[6:7], vcc
	s_xor_b64 s[6:7], exec, s[6:7]
	s_cbranch_execnz .LBB14_3249
; %bb.1201:
	s_or_saveexec_b64 s[6:7], s[6:7]
	v_mov_b32_e32 v2, s10
	s_xor_b64 exec, exec, s[6:7]
	s_cbranch_execnz .LBB14_3252
.LBB14_1202:
	s_or_b64 exec, exec, s[6:7]
	s_and_saveexec_b64 s[6:7], s[4:5]
	s_cbranch_execz .LBB14_1204
.LBB14_1203:
	v_bfe_u32 v2, v7, 16, 3
	v_ffbh_u32_e32 v11, v2
	v_min_u32_e32 v11, 32, v11
	v_lshrrev_b32_e32 v6, 19, v7
	v_subrev_u32_e32 v12, 28, v11
	v_and_b32_e32 v6, 15, v6
	v_lshlrev_b32_sdwa v12, v12, v7 dst_sel:DWORD dst_unused:UNUSED_PAD src0_sel:DWORD src1_sel:WORD_1
	v_bfe_u32 v10, v7, 19, 4
	v_sub_u32_e32 v11, 29, v11
	v_and_b32_e32 v12, 7, v12
	v_cmp_eq_u16_e32 vcc, 0, v6
	v_cndmask_b32_e32 v2, v2, v12, vcc
	v_cndmask_b32_e32 v6, v10, v11, vcc
	v_lshlrev_b32_e32 v10, 8, v7
	v_mov_b32_e32 v11, 0x3b800000
	v_lshlrev_b32_e32 v2, 20, v2
	v_and_b32_e32 v10, 0x80000000, v10
	v_lshl_add_u32 v6, v6, 23, v11
	v_or3_b32 v2, v10, v6, v2
.LBB14_1204:
	s_or_b64 exec, exec, s[6:7]
	s_movk_i32 s4, 0xff
	v_and_b32_sdwa v6, v3, s4 dst_sel:DWORD dst_unused:UNUSED_PAD src0_sel:WORD_1 src1_sel:DWORD
	s_movk_i32 s4, 0x7f
	v_cmp_lt_i16_e32 vcc, s4, v6
	s_mov_b64 s[4:5], 0
                                        ; implicit-def: $sgpr10
	s_and_saveexec_b64 s[6:7], vcc
	s_xor_b64 s[6:7], exec, s[6:7]
	s_cbranch_execnz .LBB14_3253
; %bb.1205:
	s_or_saveexec_b64 s[6:7], s[6:7]
	v_mov_b32_e32 v10, s10
	s_xor_b64 exec, exec, s[6:7]
	s_cbranch_execnz .LBB14_3256
.LBB14_1206:
	s_or_b64 exec, exec, s[6:7]
	s_and_saveexec_b64 s[6:7], s[4:5]
	s_cbranch_execz .LBB14_1208
.LBB14_1207:
	v_bfe_u32 v6, v3, 16, 3
	v_ffbh_u32_e32 v12, v6
	v_min_u32_e32 v12, 32, v12
	v_lshrrev_b32_e32 v10, 19, v3
	v_subrev_u32_e32 v13, 28, v12
	v_and_b32_e32 v10, 15, v10
	v_lshlrev_b32_sdwa v13, v13, v3 dst_sel:DWORD dst_unused:UNUSED_PAD src0_sel:DWORD src1_sel:WORD_1
	v_bfe_u32 v11, v3, 19, 4
	v_sub_u32_e32 v12, 29, v12
	v_and_b32_e32 v13, 7, v13
	v_cmp_eq_u16_e32 vcc, 0, v10
	v_cndmask_b32_e32 v6, v6, v13, vcc
	v_cndmask_b32_e32 v10, v11, v12, vcc
	v_lshlrev_b32_e32 v11, 8, v3
	v_mov_b32_e32 v12, 0x3b800000
	v_lshlrev_b32_e32 v6, 20, v6
	v_and_b32_e32 v11, 0x80000000, v11
	v_lshl_add_u32 v10, v10, 23, v12
	v_or3_b32 v10, v11, v10, v6
.LBB14_1208:
	s_or_b64 exec, exec, s[6:7]
	s_nop 0
	v_mfma_f32_16x16x4f32 a[0:3], v2, v10, a[0:3]
	s_movk_i32 s4, 0x7f
	v_cmp_gt_i16_sdwa s[6:7], v7, s4 src0_sel:BYTE_3 src1_sel:DWORD
	s_mov_b64 s[4:5], 0
                                        ; implicit-def: $sgpr10
	s_and_saveexec_b64 s[8:9], s[6:7]
	s_xor_b64 s[6:7], exec, s[8:9]
	s_cbranch_execnz .LBB14_3257
; %bb.1209:
	s_or_saveexec_b64 s[6:7], s[6:7]
	v_mov_b32_e32 v2, s10
	s_xor_b64 exec, exec, s[6:7]
	s_cbranch_execnz .LBB14_3260
.LBB14_1210:
	s_or_b64 exec, exec, s[6:7]
	s_and_saveexec_b64 s[6:7], s[4:5]
	s_cbranch_execz .LBB14_1212
.LBB14_1211:
	v_bfe_u32 v2, v7, 24, 3
	v_ffbh_u32_e32 v12, v2
	v_min_u32_e32 v12, 32, v12
	v_lshrrev_b32_e32 v10, 27, v7
	v_subrev_u32_e32 v13, 28, v12
	v_and_b32_e32 v6, 0x80000000, v7
	v_and_b32_e32 v10, 15, v10
	v_bfe_u32 v11, v7, 27, 4
	v_lshlrev_b32_sdwa v7, v13, v7 dst_sel:DWORD dst_unused:UNUSED_PAD src0_sel:DWORD src1_sel:BYTE_3
	v_sub_u32_e32 v12, 29, v12
	v_and_b32_e32 v7, 7, v7
	v_cmp_eq_u16_e32 vcc, 0, v10
	v_cndmask_b32_e32 v2, v2, v7, vcc
	v_cndmask_b32_e32 v7, v11, v12, vcc
	v_mov_b32_e32 v10, 0x3b800000
	v_lshlrev_b32_e32 v2, 20, v2
	v_lshl_add_u32 v7, v7, 23, v10
	v_or3_b32 v2, v6, v7, v2
.LBB14_1212:
	s_or_b64 exec, exec, s[6:7]
	s_movk_i32 s4, 0x7f
	v_cmp_gt_i16_sdwa s[6:7], v3, s4 src0_sel:BYTE_3 src1_sel:DWORD
	s_mov_b64 s[4:5], 0
                                        ; implicit-def: $sgpr10
	s_and_saveexec_b64 s[8:9], s[6:7]
	s_xor_b64 s[6:7], exec, s[8:9]
	s_cbranch_execnz .LBB14_3261
; %bb.1213:
	s_or_saveexec_b64 s[6:7], s[6:7]
	v_mov_b32_e32 v6, s10
	s_xor_b64 exec, exec, s[6:7]
	s_cbranch_execnz .LBB14_3264
.LBB14_1214:
	s_or_b64 exec, exec, s[6:7]
	s_and_saveexec_b64 s[6:7], s[4:5]
	s_cbranch_execz .LBB14_1216
.LBB14_1215:
	v_bfe_u32 v6, v3, 24, 3
	v_ffbh_u32_e32 v12, v6
	v_min_u32_e32 v12, 32, v12
	v_lshrrev_b32_e32 v10, 27, v3
	v_subrev_u32_e32 v13, 28, v12
	v_and_b32_e32 v7, 0x80000000, v3
	v_and_b32_e32 v10, 15, v10
	v_bfe_u32 v11, v3, 27, 4
	v_lshlrev_b32_sdwa v3, v13, v3 dst_sel:DWORD dst_unused:UNUSED_PAD src0_sel:DWORD src1_sel:BYTE_3
	v_sub_u32_e32 v12, 29, v12
	v_and_b32_e32 v3, 7, v3
	v_cmp_eq_u16_e32 vcc, 0, v10
	v_cndmask_b32_e32 v3, v6, v3, vcc
	v_cndmask_b32_e32 v6, v11, v12, vcc
	v_mov_b32_e32 v10, 0x3b800000
	v_lshlrev_b32_e32 v3, 20, v3
	v_lshl_add_u32 v6, v6, 23, v10
	v_or3_b32 v6, v7, v6, v3
.LBB14_1216:
	s_or_b64 exec, exec, s[6:7]
	s_nop 0
	v_mfma_f32_16x16x4f32 a[0:3], v2, v6, a[0:3]
	s_movk_i32 s4, 0x7f
	v_cmp_gt_i16_sdwa s[6:7], v8, s4 src0_sel:BYTE_0 src1_sel:DWORD
	s_mov_b64 s[4:5], 0
                                        ; implicit-def: $sgpr10
	s_and_saveexec_b64 s[8:9], s[6:7]
	s_xor_b64 s[6:7], exec, s[8:9]
	s_cbranch_execnz .LBB14_3265
; %bb.1217:
	s_or_saveexec_b64 s[6:7], s[6:7]
	v_mov_b32_e32 v2, s10
	s_xor_b64 exec, exec, s[6:7]
	s_cbranch_execnz .LBB14_3268
.LBB14_1218:
	s_or_b64 exec, exec, s[6:7]
	s_and_saveexec_b64 s[6:7], s[4:5]
	s_cbranch_execz .LBB14_1220
.LBB14_1219:
	v_and_b32_e32 v2, 7, v8
	v_ffbh_u32_e32 v6, v2
	v_min_u32_e32 v6, 32, v6
	v_lshrrev_b16_e32 v3, 3, v8
	v_subrev_u32_e32 v7, 28, v6
	v_and_b32_e32 v3, 15, v3
	v_lshlrev_b32_e32 v7, v7, v8
	v_sub_u32_e32 v6, 29, v6
	v_and_b32_e32 v7, 7, v7
	v_cmp_eq_u16_e32 vcc, 0, v3
	v_cndmask_b32_e32 v2, v2, v7, vcc
	v_cndmask_b32_e32 v3, v3, v6, vcc
	v_lshlrev_b32_e32 v6, 24, v8
	v_mov_b32_e32 v7, 0x3b800000
	v_lshlrev_b32_e32 v2, 20, v2
	v_and_b32_e32 v6, 0x80000000, v6
	v_lshl_add_u32 v3, v3, 23, v7
	v_or3_b32 v2, v6, v3, v2
.LBB14_1220:
	s_or_b64 exec, exec, s[6:7]
	s_movk_i32 s4, 0x7f
	v_cmp_gt_i16_sdwa s[6:7], v4, s4 src0_sel:BYTE_0 src1_sel:DWORD
	s_mov_b64 s[4:5], 0
                                        ; implicit-def: $sgpr10
	s_and_saveexec_b64 s[8:9], s[6:7]
	s_xor_b64 s[6:7], exec, s[8:9]
	s_cbranch_execnz .LBB14_3269
; %bb.1221:
	s_or_saveexec_b64 s[6:7], s[6:7]
	v_mov_b32_e32 v3, s10
	s_xor_b64 exec, exec, s[6:7]
	s_cbranch_execnz .LBB14_3272
.LBB14_1222:
	s_or_b64 exec, exec, s[6:7]
	s_and_saveexec_b64 s[6:7], s[4:5]
	s_cbranch_execz .LBB14_1224
.LBB14_1223:
	v_and_b32_e32 v3, 7, v4
	v_ffbh_u32_e32 v7, v3
	v_min_u32_e32 v7, 32, v7
	v_lshrrev_b16_e32 v6, 3, v4
	v_subrev_u32_e32 v10, 28, v7
	v_and_b32_e32 v6, 15, v6
	v_lshlrev_b32_e32 v10, v10, v4
	v_sub_u32_e32 v7, 29, v7
	v_and_b32_e32 v10, 7, v10
	v_cmp_eq_u16_e32 vcc, 0, v6
	v_cndmask_b32_e32 v3, v3, v10, vcc
	v_cndmask_b32_e32 v6, v6, v7, vcc
	v_lshlrev_b32_e32 v7, 24, v4
	v_mov_b32_e32 v10, 0x3b800000
	v_lshlrev_b32_e32 v3, 20, v3
	v_and_b32_e32 v7, 0x80000000, v7
	v_lshl_add_u32 v6, v6, 23, v10
	v_or3_b32 v3, v7, v6, v3
.LBB14_1224:
	s_or_b64 exec, exec, s[6:7]
	s_nop 0
	v_mfma_f32_16x16x4f32 a[0:3], v2, v3, a[0:3]
	v_lshrrev_b32_e32 v3, 8, v8
	s_movk_i32 s4, 0x7f
	v_cmp_gt_i16_sdwa s[6:7], v3, s4 src0_sel:BYTE_0 src1_sel:DWORD
	s_mov_b64 s[4:5], 0
                                        ; implicit-def: $sgpr10
	s_and_saveexec_b64 s[8:9], s[6:7]
	s_xor_b64 s[6:7], exec, s[8:9]
	s_cbranch_execnz .LBB14_3273
; %bb.1225:
	s_or_saveexec_b64 s[6:7], s[6:7]
	v_mov_b32_e32 v2, s10
	s_xor_b64 exec, exec, s[6:7]
	s_cbranch_execnz .LBB14_3276
.LBB14_1226:
	s_or_b64 exec, exec, s[6:7]
	s_and_saveexec_b64 s[6:7], s[4:5]
	s_cbranch_execz .LBB14_1228
.LBB14_1227:
	v_bfe_u32 v2, v8, 8, 3
	v_ffbh_u32_e32 v7, v2
	v_min_u32_e32 v7, 32, v7
	v_lshrrev_b16_e32 v6, 3, v3
	v_subrev_u32_e32 v10, 28, v7
	v_and_b32_e32 v6, 15, v6
	v_lshlrev_b32_e32 v3, v10, v3
	v_sub_u32_e32 v7, 29, v7
	v_and_b32_e32 v3, 7, v3
	v_cmp_eq_u16_e32 vcc, 0, v6
	v_cndmask_b32_e32 v2, v2, v3, vcc
	v_cndmask_b32_e32 v3, v6, v7, vcc
	v_lshlrev_b32_e32 v6, 16, v8
	v_mov_b32_e32 v7, 0x3b800000
	v_lshlrev_b32_e32 v2, 20, v2
	v_and_b32_e32 v6, 0x80000000, v6
	v_lshl_add_u32 v3, v3, 23, v7
	v_or3_b32 v2, v6, v3, v2
.LBB14_1228:
	s_or_b64 exec, exec, s[6:7]
	v_lshrrev_b32_e32 v3, 8, v4
	s_movk_i32 s4, 0x7f
	v_cmp_gt_i16_sdwa s[6:7], v3, s4 src0_sel:BYTE_0 src1_sel:DWORD
	s_mov_b64 s[4:5], 0
                                        ; implicit-def: $sgpr10
	s_and_saveexec_b64 s[8:9], s[6:7]
	s_xor_b64 s[6:7], exec, s[8:9]
	s_cbranch_execnz .LBB14_3277
; %bb.1229:
	s_or_saveexec_b64 s[6:7], s[6:7]
	v_mov_b32_e32 v6, s10
	s_xor_b64 exec, exec, s[6:7]
	s_cbranch_execnz .LBB14_3280
.LBB14_1230:
	s_or_b64 exec, exec, s[6:7]
	s_and_saveexec_b64 s[6:7], s[4:5]
	s_cbranch_execz .LBB14_1232
.LBB14_1231:
	v_bfe_u32 v6, v4, 8, 3
	v_ffbh_u32_e32 v10, v6
	v_min_u32_e32 v10, 32, v10
	v_lshrrev_b16_e32 v7, 3, v3
	v_subrev_u32_e32 v11, 28, v10
	v_and_b32_e32 v7, 15, v7
	v_lshlrev_b32_e32 v3, v11, v3
	v_sub_u32_e32 v10, 29, v10
	v_and_b32_e32 v3, 7, v3
	v_cmp_eq_u16_e32 vcc, 0, v7
	v_cndmask_b32_e32 v3, v6, v3, vcc
	v_cndmask_b32_e32 v6, v7, v10, vcc
	v_lshlrev_b32_e32 v7, 16, v4
	v_mov_b32_e32 v10, 0x3b800000
	v_lshlrev_b32_e32 v3, 20, v3
	v_and_b32_e32 v7, 0x80000000, v7
	v_lshl_add_u32 v6, v6, 23, v10
	v_or3_b32 v6, v7, v6, v3
.LBB14_1232:
	s_or_b64 exec, exec, s[6:7]
	s_nop 0
	v_mfma_f32_16x16x4f32 a[0:3], v2, v6, a[0:3]
	s_movk_i32 s4, 0xff
	v_and_b32_sdwa v3, v8, s4 dst_sel:DWORD dst_unused:UNUSED_PAD src0_sel:WORD_1 src1_sel:DWORD
	s_movk_i32 s4, 0x7f
	v_cmp_lt_i16_e32 vcc, s4, v3
	s_mov_b64 s[4:5], 0
                                        ; implicit-def: $sgpr10
	s_and_saveexec_b64 s[6:7], vcc
	s_xor_b64 s[6:7], exec, s[6:7]
	s_cbranch_execnz .LBB14_3281
; %bb.1233:
	s_or_saveexec_b64 s[6:7], s[6:7]
	v_mov_b32_e32 v2, s10
	s_xor_b64 exec, exec, s[6:7]
	s_cbranch_execnz .LBB14_3284
.LBB14_1234:
	s_or_b64 exec, exec, s[6:7]
	s_and_saveexec_b64 s[6:7], s[4:5]
	s_cbranch_execz .LBB14_1236
.LBB14_1235:
	v_bfe_u32 v2, v8, 16, 3
	v_ffbh_u32_e32 v7, v2
	v_min_u32_e32 v7, 32, v7
	v_lshrrev_b32_e32 v3, 19, v8
	v_subrev_u32_e32 v10, 28, v7
	v_and_b32_e32 v3, 15, v3
	v_lshlrev_b32_sdwa v10, v10, v8 dst_sel:DWORD dst_unused:UNUSED_PAD src0_sel:DWORD src1_sel:WORD_1
	v_bfe_u32 v6, v8, 19, 4
	v_sub_u32_e32 v7, 29, v7
	v_and_b32_e32 v10, 7, v10
	v_cmp_eq_u16_e32 vcc, 0, v3
	v_cndmask_b32_e32 v2, v2, v10, vcc
	v_cndmask_b32_e32 v3, v6, v7, vcc
	v_lshlrev_b32_e32 v6, 8, v8
	v_mov_b32_e32 v7, 0x3b800000
	v_lshlrev_b32_e32 v2, 20, v2
	v_and_b32_e32 v6, 0x80000000, v6
	v_lshl_add_u32 v3, v3, 23, v7
	v_or3_b32 v2, v6, v3, v2
.LBB14_1236:
	s_or_b64 exec, exec, s[6:7]
	s_movk_i32 s4, 0xff
	v_and_b32_sdwa v3, v4, s4 dst_sel:DWORD dst_unused:UNUSED_PAD src0_sel:WORD_1 src1_sel:DWORD
	s_movk_i32 s4, 0x7f
	v_cmp_lt_i16_e32 vcc, s4, v3
	s_mov_b64 s[4:5], 0
                                        ; implicit-def: $sgpr10
	s_and_saveexec_b64 s[6:7], vcc
	s_xor_b64 s[6:7], exec, s[6:7]
	s_cbranch_execnz .LBB14_3285
; %bb.1237:
	s_or_saveexec_b64 s[6:7], s[6:7]
	v_mov_b32_e32 v6, s10
	s_xor_b64 exec, exec, s[6:7]
	s_cbranch_execnz .LBB14_3288
.LBB14_1238:
	s_or_b64 exec, exec, s[6:7]
	s_and_saveexec_b64 s[6:7], s[4:5]
	s_cbranch_execz .LBB14_1240
.LBB14_1239:
	v_bfe_u32 v3, v4, 16, 3
	v_ffbh_u32_e32 v10, v3
	v_min_u32_e32 v10, 32, v10
	v_lshrrev_b32_e32 v6, 19, v4
	v_subrev_u32_e32 v11, 28, v10
	v_and_b32_e32 v6, 15, v6
	v_lshlrev_b32_sdwa v11, v11, v4 dst_sel:DWORD dst_unused:UNUSED_PAD src0_sel:DWORD src1_sel:WORD_1
	v_bfe_u32 v7, v4, 19, 4
	v_sub_u32_e32 v10, 29, v10
	v_and_b32_e32 v11, 7, v11
	v_cmp_eq_u16_e32 vcc, 0, v6
	v_cndmask_b32_e32 v3, v3, v11, vcc
	v_cndmask_b32_e32 v6, v7, v10, vcc
	v_lshlrev_b32_e32 v7, 8, v4
	v_mov_b32_e32 v10, 0x3b800000
	v_lshlrev_b32_e32 v3, 20, v3
	v_and_b32_e32 v7, 0x80000000, v7
	v_lshl_add_u32 v6, v6, 23, v10
	v_or3_b32 v6, v7, v6, v3
.LBB14_1240:
	s_or_b64 exec, exec, s[6:7]
	s_nop 0
	v_mfma_f32_16x16x4f32 a[0:3], v2, v6, a[0:3]
	s_movk_i32 s4, 0x7f
	v_cmp_gt_i16_sdwa s[6:7], v8, s4 src0_sel:BYTE_3 src1_sel:DWORD
	s_mov_b64 s[4:5], 0
                                        ; implicit-def: $sgpr10
	s_and_saveexec_b64 s[8:9], s[6:7]
	s_xor_b64 s[6:7], exec, s[8:9]
	s_cbranch_execnz .LBB14_3289
; %bb.1241:
	s_or_saveexec_b64 s[6:7], s[6:7]
	v_mov_b32_e32 v2, s10
	s_xor_b64 exec, exec, s[6:7]
	s_cbranch_execnz .LBB14_3292
.LBB14_1242:
	s_or_b64 exec, exec, s[6:7]
	s_and_saveexec_b64 s[6:7], s[4:5]
	s_cbranch_execz .LBB14_1244
.LBB14_1243:
	v_bfe_u32 v2, v8, 24, 3
	v_ffbh_u32_e32 v10, v2
	v_min_u32_e32 v10, 32, v10
	v_lshrrev_b32_e32 v6, 27, v8
	v_subrev_u32_e32 v11, 28, v10
	v_and_b32_e32 v3, 0x80000000, v8
	v_and_b32_e32 v6, 15, v6
	v_bfe_u32 v7, v8, 27, 4
	v_lshlrev_b32_sdwa v8, v11, v8 dst_sel:DWORD dst_unused:UNUSED_PAD src0_sel:DWORD src1_sel:BYTE_3
	v_sub_u32_e32 v10, 29, v10
	v_and_b32_e32 v8, 7, v8
	v_cmp_eq_u16_e32 vcc, 0, v6
	v_cndmask_b32_e32 v2, v2, v8, vcc
	v_cndmask_b32_e32 v6, v7, v10, vcc
	v_mov_b32_e32 v7, 0x3b800000
	v_lshlrev_b32_e32 v2, 20, v2
	v_lshl_add_u32 v6, v6, 23, v7
	v_or3_b32 v2, v3, v6, v2
.LBB14_1244:
	s_or_b64 exec, exec, s[6:7]
	s_movk_i32 s4, 0x7f
	v_cmp_gt_i16_sdwa s[6:7], v4, s4 src0_sel:BYTE_3 src1_sel:DWORD
	s_mov_b64 s[4:5], 0
                                        ; implicit-def: $sgpr10
	s_and_saveexec_b64 s[8:9], s[6:7]
	s_xor_b64 s[6:7], exec, s[8:9]
	s_cbranch_execnz .LBB14_3293
; %bb.1245:
	s_or_saveexec_b64 s[6:7], s[6:7]
	v_mov_b32_e32 v3, s10
	s_xor_b64 exec, exec, s[6:7]
	s_cbranch_execnz .LBB14_3296
.LBB14_1246:
	s_or_b64 exec, exec, s[6:7]
	s_and_saveexec_b64 s[6:7], s[4:5]
	s_cbranch_execz .LBB14_1248
.LBB14_1247:
	v_bfe_u32 v3, v4, 24, 3
	v_ffbh_u32_e32 v10, v3
	v_min_u32_e32 v10, 32, v10
	v_lshrrev_b32_e32 v7, 27, v4
	v_subrev_u32_e32 v11, 28, v10
	v_and_b32_e32 v6, 0x80000000, v4
	v_and_b32_e32 v7, 15, v7
	v_bfe_u32 v8, v4, 27, 4
	v_lshlrev_b32_sdwa v4, v11, v4 dst_sel:DWORD dst_unused:UNUSED_PAD src0_sel:DWORD src1_sel:BYTE_3
	v_sub_u32_e32 v10, 29, v10
	v_and_b32_e32 v4, 7, v4
	v_cmp_eq_u16_e32 vcc, 0, v7
	v_cndmask_b32_e32 v3, v3, v4, vcc
	v_cndmask_b32_e32 v4, v8, v10, vcc
	v_mov_b32_e32 v7, 0x3b800000
	v_lshlrev_b32_e32 v3, 20, v3
	v_lshl_add_u32 v4, v4, 23, v7
	v_or3_b32 v3, v6, v4, v3
.LBB14_1248:
	s_or_b64 exec, exec, s[6:7]
	s_nop 0
	v_mfma_f32_16x16x4f32 a[0:3], v2, v3, a[0:3]
	s_movk_i32 s4, 0x7f
	v_cmp_gt_i16_sdwa s[6:7], v9, s4 src0_sel:BYTE_0 src1_sel:DWORD
	s_mov_b64 s[4:5], 0
                                        ; implicit-def: $sgpr10
	s_and_saveexec_b64 s[8:9], s[6:7]
	s_xor_b64 s[6:7], exec, s[8:9]
	s_cbranch_execnz .LBB14_3297
; %bb.1249:
	s_or_saveexec_b64 s[6:7], s[6:7]
	v_mov_b32_e32 v2, s10
	s_xor_b64 exec, exec, s[6:7]
	s_cbranch_execnz .LBB14_3300
.LBB14_1250:
	s_or_b64 exec, exec, s[6:7]
	s_and_saveexec_b64 s[6:7], s[4:5]
	s_cbranch_execz .LBB14_1252
.LBB14_1251:
	v_mov_b32_e32 v2, 8
	v_and_b32_e32 v3, 7, v9
	v_lshrrev_b32_sdwa v2, v2, v9 dst_sel:BYTE_1 dst_unused:UNUSED_PAD src0_sel:DWORD src1_sel:DWORD
	v_ffbh_u32_e32 v4, v3
	v_or_b32_sdwa v2, v9, v2 dst_sel:DWORD dst_unused:UNUSED_PAD src0_sel:BYTE_0 src1_sel:DWORD
	v_min_u32_e32 v4, 32, v4
	v_lshrrev_b16_e32 v2, 3, v2
	v_subrev_u32_e32 v6, 28, v4
	v_and_b32_e32 v2, 15, v2
	v_lshlrev_b32_e32 v6, v6, v9
	v_sub_u32_e32 v4, 29, v4
	v_and_b32_e32 v6, 7, v6
	v_cmp_eq_u16_e32 vcc, 0, v2
	v_cndmask_b32_e32 v3, v3, v6, vcc
	v_cndmask_b32_e32 v2, v2, v4, vcc
	v_lshlrev_b32_e32 v4, 24, v9
	v_mov_b32_e32 v6, 0x3b800000
	v_lshlrev_b32_e32 v3, 20, v3
	v_and_b32_e32 v4, 0x80000000, v4
	v_lshl_add_u32 v2, v2, 23, v6
	v_or3_b32 v2, v4, v2, v3
.LBB14_1252:
	s_or_b64 exec, exec, s[6:7]
	s_movk_i32 s4, 0x7f
	v_cmp_gt_i16_sdwa s[6:7], v5, s4 src0_sel:BYTE_0 src1_sel:DWORD
	s_mov_b64 s[4:5], 0
                                        ; implicit-def: $sgpr10
	s_and_saveexec_b64 s[8:9], s[6:7]
	s_xor_b64 s[6:7], exec, s[8:9]
	s_cbranch_execnz .LBB14_3301
; %bb.1253:
	s_or_saveexec_b64 s[6:7], s[6:7]
	v_mov_b32_e32 v3, s10
	s_xor_b64 exec, exec, s[6:7]
	s_cbranch_execnz .LBB14_3304
.LBB14_1254:
	s_or_b64 exec, exec, s[6:7]
	s_and_saveexec_b64 s[6:7], s[4:5]
	s_cbranch_execz .LBB14_1256
.LBB14_1255:
	v_mov_b32_e32 v3, 8
	v_and_b32_e32 v4, 7, v5
	v_lshrrev_b32_sdwa v3, v3, v5 dst_sel:BYTE_1 dst_unused:UNUSED_PAD src0_sel:DWORD src1_sel:DWORD
	v_ffbh_u32_e32 v6, v4
	v_or_b32_sdwa v3, v5, v3 dst_sel:DWORD dst_unused:UNUSED_PAD src0_sel:BYTE_0 src1_sel:DWORD
	v_min_u32_e32 v6, 32, v6
	v_lshrrev_b16_e32 v3, 3, v3
	v_subrev_u32_e32 v7, 28, v6
	v_and_b32_e32 v3, 15, v3
	v_lshlrev_b32_e32 v7, v7, v5
	v_sub_u32_e32 v6, 29, v6
	v_and_b32_e32 v7, 7, v7
	v_cmp_eq_u16_e32 vcc, 0, v3
	v_cndmask_b32_e32 v4, v4, v7, vcc
	v_cndmask_b32_e32 v3, v3, v6, vcc
	v_lshlrev_b32_e32 v6, 24, v5
	v_mov_b32_e32 v7, 0x3b800000
	v_lshlrev_b32_e32 v4, 20, v4
	v_and_b32_e32 v6, 0x80000000, v6
	v_lshl_add_u32 v3, v3, 23, v7
	v_or3_b32 v3, v6, v3, v4
.LBB14_1256:
	s_or_b64 exec, exec, s[6:7]
	s_nop 0
	v_mfma_f32_16x16x4f32 a[0:3], v2, v3, a[0:3]
	v_lshrrev_b32_e32 v3, 8, v9
	s_movk_i32 s4, 0x7f
	v_cmp_gt_i16_sdwa s[6:7], v3, s4 src0_sel:BYTE_0 src1_sel:DWORD
	s_mov_b64 s[4:5], 0
                                        ; implicit-def: $sgpr10
	s_and_saveexec_b64 s[8:9], s[6:7]
	s_xor_b64 s[6:7], exec, s[8:9]
	s_cbranch_execnz .LBB14_3305
; %bb.1257:
	s_or_saveexec_b64 s[6:7], s[6:7]
	v_mov_b32_e32 v2, s10
	s_xor_b64 exec, exec, s[6:7]
	s_cbranch_execnz .LBB14_3308
.LBB14_1258:
	s_or_b64 exec, exec, s[6:7]
	s_and_saveexec_b64 s[6:7], s[4:5]
	s_cbranch_execz .LBB14_1260
.LBB14_1259:
	v_bfe_u32 v2, v9, 8, 3
	v_ffbh_u32_e32 v6, v2
	v_min_u32_e32 v6, 32, v6
	v_lshrrev_b16_e32 v4, 3, v3
	v_subrev_u32_e32 v7, 28, v6
	v_and_b32_e32 v4, 15, v4
	v_lshlrev_b32_e32 v3, v7, v3
	v_sub_u32_e32 v6, 29, v6
	v_and_b32_e32 v3, 7, v3
	v_cmp_eq_u16_e32 vcc, 0, v4
	v_cndmask_b32_e32 v2, v2, v3, vcc
	v_cndmask_b32_e32 v3, v4, v6, vcc
	v_lshlrev_b32_e32 v4, 16, v9
	v_mov_b32_e32 v6, 0x3b800000
	v_lshlrev_b32_e32 v2, 20, v2
	v_and_b32_e32 v4, 0x80000000, v4
	v_lshl_add_u32 v3, v3, 23, v6
	v_or3_b32 v2, v4, v3, v2
.LBB14_1260:
	s_or_b64 exec, exec, s[6:7]
	v_lshrrev_b32_e32 v3, 8, v5
	s_movk_i32 s4, 0x7f
	v_cmp_gt_i16_sdwa s[6:7], v3, s4 src0_sel:BYTE_0 src1_sel:DWORD
	s_mov_b64 s[4:5], 0
                                        ; implicit-def: $sgpr10
	s_and_saveexec_b64 s[8:9], s[6:7]
	s_xor_b64 s[6:7], exec, s[8:9]
	s_cbranch_execnz .LBB14_3309
; %bb.1261:
	s_or_saveexec_b64 s[6:7], s[6:7]
	v_mov_b32_e32 v4, s10
	s_xor_b64 exec, exec, s[6:7]
	s_cbranch_execnz .LBB14_3312
.LBB14_1262:
	s_or_b64 exec, exec, s[6:7]
	s_and_saveexec_b64 s[6:7], s[4:5]
	s_cbranch_execz .LBB14_1264
.LBB14_1263:
	v_bfe_u32 v4, v5, 8, 3
	v_ffbh_u32_e32 v7, v4
	v_min_u32_e32 v7, 32, v7
	v_lshrrev_b16_e32 v6, 3, v3
	v_subrev_u32_e32 v8, 28, v7
	v_and_b32_e32 v6, 15, v6
	v_lshlrev_b32_e32 v3, v8, v3
	v_sub_u32_e32 v7, 29, v7
	v_and_b32_e32 v3, 7, v3
	v_cmp_eq_u16_e32 vcc, 0, v6
	v_cndmask_b32_e32 v3, v4, v3, vcc
	v_cndmask_b32_e32 v4, v6, v7, vcc
	v_lshlrev_b32_e32 v6, 16, v5
	v_mov_b32_e32 v7, 0x3b800000
	v_lshlrev_b32_e32 v3, 20, v3
	v_and_b32_e32 v6, 0x80000000, v6
	v_lshl_add_u32 v4, v4, 23, v7
	v_or3_b32 v4, v6, v4, v3
.LBB14_1264:
	s_or_b64 exec, exec, s[6:7]
	s_nop 0
	v_mfma_f32_16x16x4f32 a[0:3], v2, v4, a[0:3]
	s_movk_i32 s4, 0xff
	v_and_b32_sdwa v3, v9, s4 dst_sel:DWORD dst_unused:UNUSED_PAD src0_sel:WORD_1 src1_sel:DWORD
	s_movk_i32 s4, 0x7f
	v_cmp_lt_i16_e32 vcc, s4, v3
	s_mov_b64 s[4:5], 0
                                        ; implicit-def: $sgpr10
	s_and_saveexec_b64 s[6:7], vcc
	s_xor_b64 s[6:7], exec, s[6:7]
	s_cbranch_execnz .LBB14_3313
; %bb.1265:
	s_or_saveexec_b64 s[6:7], s[6:7]
	v_mov_b32_e32 v2, s10
	s_xor_b64 exec, exec, s[6:7]
	s_cbranch_execnz .LBB14_3316
.LBB14_1266:
	s_or_b64 exec, exec, s[6:7]
	s_and_saveexec_b64 s[6:7], s[4:5]
	s_cbranch_execz .LBB14_1268
.LBB14_1267:
	v_bfe_u32 v2, v9, 16, 3
	v_ffbh_u32_e32 v6, v2
	v_min_u32_e32 v6, 32, v6
	v_lshrrev_b32_e32 v3, 19, v9
	v_subrev_u32_e32 v7, 28, v6
	v_and_b32_e32 v3, 15, v3
	v_lshlrev_b32_sdwa v7, v7, v9 dst_sel:DWORD dst_unused:UNUSED_PAD src0_sel:DWORD src1_sel:WORD_1
	v_bfe_u32 v4, v9, 19, 4
	v_sub_u32_e32 v6, 29, v6
	v_and_b32_e32 v7, 7, v7
	v_cmp_eq_u16_e32 vcc, 0, v3
	v_cndmask_b32_e32 v2, v2, v7, vcc
	v_cndmask_b32_e32 v3, v4, v6, vcc
	v_lshlrev_b32_e32 v4, 8, v9
	v_mov_b32_e32 v6, 0x3b800000
	v_lshlrev_b32_e32 v2, 20, v2
	v_and_b32_e32 v4, 0x80000000, v4
	v_lshl_add_u32 v3, v3, 23, v6
	v_or3_b32 v2, v4, v3, v2
.LBB14_1268:
	s_or_b64 exec, exec, s[6:7]
	s_movk_i32 s4, 0xff
	v_and_b32_sdwa v3, v5, s4 dst_sel:DWORD dst_unused:UNUSED_PAD src0_sel:WORD_1 src1_sel:DWORD
	s_movk_i32 s4, 0x7f
	v_cmp_lt_i16_e32 vcc, s4, v3
	s_mov_b64 s[4:5], 0
                                        ; implicit-def: $sgpr10
	s_and_saveexec_b64 s[6:7], vcc
	s_xor_b64 s[6:7], exec, s[6:7]
	s_cbranch_execnz .LBB14_3317
; %bb.1269:
	s_or_saveexec_b64 s[6:7], s[6:7]
	v_mov_b32_e32 v4, s10
	s_xor_b64 exec, exec, s[6:7]
	s_cbranch_execnz .LBB14_3320
.LBB14_1270:
	s_or_b64 exec, exec, s[6:7]
	s_and_saveexec_b64 s[6:7], s[4:5]
	s_cbranch_execz .LBB14_1272
.LBB14_1271:
	v_bfe_u32 v3, v5, 16, 3
	v_ffbh_u32_e32 v7, v3
	v_min_u32_e32 v7, 32, v7
	v_lshrrev_b32_e32 v4, 19, v5
	v_subrev_u32_e32 v8, 28, v7
	v_and_b32_e32 v4, 15, v4
	v_lshlrev_b32_sdwa v8, v8, v5 dst_sel:DWORD dst_unused:UNUSED_PAD src0_sel:DWORD src1_sel:WORD_1
	v_bfe_u32 v6, v5, 19, 4
	v_sub_u32_e32 v7, 29, v7
	v_and_b32_e32 v8, 7, v8
	v_cmp_eq_u16_e32 vcc, 0, v4
	v_cndmask_b32_e32 v3, v3, v8, vcc
	v_cndmask_b32_e32 v4, v6, v7, vcc
	v_lshlrev_b32_e32 v6, 8, v5
	v_mov_b32_e32 v7, 0x3b800000
	v_lshlrev_b32_e32 v3, 20, v3
	v_and_b32_e32 v6, 0x80000000, v6
	v_lshl_add_u32 v4, v4, 23, v7
	v_or3_b32 v4, v6, v4, v3
.LBB14_1272:
	s_or_b64 exec, exec, s[6:7]
	s_nop 0
	v_mfma_f32_16x16x4f32 a[0:3], v2, v4, a[0:3]
	s_movk_i32 s4, 0x7f
	v_cmp_gt_i16_sdwa s[6:7], v9, s4 src0_sel:BYTE_3 src1_sel:DWORD
	s_mov_b64 s[4:5], 0
                                        ; implicit-def: $sgpr10
	s_and_saveexec_b64 s[8:9], s[6:7]
	s_xor_b64 s[6:7], exec, s[8:9]
	s_cbranch_execnz .LBB14_3321
; %bb.1273:
	s_or_saveexec_b64 s[6:7], s[6:7]
	v_mov_b32_e32 v2, s10
	s_xor_b64 exec, exec, s[6:7]
	s_cbranch_execnz .LBB14_3324
.LBB14_1274:
	s_or_b64 exec, exec, s[6:7]
	s_and_saveexec_b64 s[6:7], s[4:5]
	s_cbranch_execz .LBB14_1276
.LBB14_1275:
	v_bfe_u32 v2, v9, 24, 3
	v_ffbh_u32_e32 v7, v2
	v_min_u32_e32 v7, 32, v7
	v_lshrrev_b32_e32 v4, 27, v9
	v_subrev_u32_e32 v8, 28, v7
	v_and_b32_e32 v4, 15, v4
	v_lshlrev_b32_sdwa v8, v8, v9 dst_sel:DWORD dst_unused:UNUSED_PAD src0_sel:DWORD src1_sel:BYTE_3
	v_bfe_u32 v6, v9, 27, 4
	v_sub_u32_e32 v7, 29, v7
	v_and_b32_e32 v8, 7, v8
	v_cmp_eq_u16_e32 vcc, 0, v4
	v_cndmask_b32_e32 v2, v2, v8, vcc
	v_cndmask_b32_e32 v4, v6, v7, vcc
	v_mov_b32_e32 v6, 0x3b800000
	v_and_b32_e32 v3, 0x80000000, v9
	v_lshlrev_b32_e32 v2, 20, v2
	v_lshl_add_u32 v4, v4, 23, v6
	v_or3_b32 v2, v3, v4, v2
.LBB14_1276:
	s_or_b64 exec, exec, s[6:7]
	s_movk_i32 s4, 0x7f
	v_cmp_gt_i16_sdwa s[6:7], v5, s4 src0_sel:BYTE_3 src1_sel:DWORD
	s_mov_b64 s[4:5], 0
                                        ; implicit-def: $sgpr10
	s_and_saveexec_b64 s[8:9], s[6:7]
	s_xor_b64 s[6:7], exec, s[8:9]
	s_cbranch_execnz .LBB14_3325
; %bb.1277:
	s_or_saveexec_b64 s[6:7], s[6:7]
	v_mov_b32_e32 v3, s10
	s_xor_b64 exec, exec, s[6:7]
	s_cbranch_execnz .LBB14_3328
.LBB14_1278:
	s_or_b64 exec, exec, s[6:7]
	s_and_saveexec_b64 s[6:7], s[4:5]
	s_cbranch_execz .LBB14_1280
.LBB14_1279:
	v_bfe_u32 v3, v5, 24, 3
	v_ffbh_u32_e32 v8, v3
	v_min_u32_e32 v8, 32, v8
	v_lshrrev_b32_e32 v6, 27, v5
	v_subrev_u32_e32 v9, 28, v8
	v_and_b32_e32 v4, 0x80000000, v5
	v_and_b32_e32 v6, 15, v6
	v_bfe_u32 v7, v5, 27, 4
	v_lshlrev_b32_sdwa v5, v9, v5 dst_sel:DWORD dst_unused:UNUSED_PAD src0_sel:DWORD src1_sel:BYTE_3
	v_sub_u32_e32 v8, 29, v8
	v_and_b32_e32 v5, 7, v5
	v_cmp_eq_u16_e32 vcc, 0, v6
	v_cndmask_b32_e32 v3, v3, v5, vcc
	v_cndmask_b32_e32 v5, v7, v8, vcc
	v_mov_b32_e32 v6, 0x3b800000
	v_lshlrev_b32_e32 v3, 20, v3
	v_lshl_add_u32 v5, v5, 23, v6
	v_or3_b32 v3, v4, v5, v3
.LBB14_1280:
	s_or_b64 exec, exec, s[6:7]
	s_nop 0
	v_mfma_f32_16x16x4f32 a[0:3], v2, v3, a[0:3]
	s_movk_i32 s4, 0x7f
                                        ; implicit-def: $sgpr10
	s_nop 7
	s_nop 1
	flat_store_dwordx4 v[18:19], a[0:3] offset:576
	flat_load_dwordx4 v[20:23], v[0:1] offset:16
	s_nop 0
	flat_load_dwordx2 v[18:19], v[0:1] offset:32
	s_waitcnt vmcnt(0) lgkmcnt(0)
	flat_load_dwordx4 v[14:17], v[20:21]
	flat_load_dwordx4 v[6:9], v[20:21] offset:16
	flat_load_dwordx4 v[10:13], v[22:23] offset:416
	;; [unrolled: 1-line block ×3, first 2 shown]
	s_waitcnt vmcnt(0) lgkmcnt(0)
	v_cmp_gt_i16_sdwa s[6:7], v14, s4 src0_sel:BYTE_0 src1_sel:DWORD
	s_mov_b64 s[4:5], 0
	s_and_saveexec_b64 s[8:9], s[6:7]
	s_xor_b64 s[6:7], exec, s[8:9]
	s_cbranch_execnz .LBB14_3329
; %bb.1281:
	s_or_saveexec_b64 s[6:7], s[6:7]
	v_mov_b32_e32 v20, s10
	s_xor_b64 exec, exec, s[6:7]
	s_cbranch_execnz .LBB14_3332
.LBB14_1282:
	s_or_b64 exec, exec, s[6:7]
	s_and_saveexec_b64 s[6:7], s[4:5]
	s_cbranch_execz .LBB14_1284
.LBB14_1283:
	v_and_b32_e32 v20, 7, v14
	v_ffbh_u32_e32 v22, v20
	v_min_u32_e32 v22, 32, v22
	v_lshrrev_b16_e32 v21, 3, v14
	v_subrev_u32_e32 v23, 28, v22
	v_and_b32_e32 v21, 15, v21
	v_lshlrev_b32_e32 v23, v23, v14
	v_sub_u32_e32 v22, 29, v22
	v_and_b32_e32 v23, 7, v23
	v_cmp_eq_u16_e32 vcc, 0, v21
	v_cndmask_b32_e32 v20, v20, v23, vcc
	v_cndmask_b32_e32 v21, v21, v22, vcc
	v_lshlrev_b32_e32 v22, 24, v14
	v_mov_b32_e32 v23, 0x3b800000
	v_lshlrev_b32_e32 v20, 20, v20
	v_and_b32_e32 v22, 0x80000000, v22
	v_lshl_add_u32 v21, v21, 23, v23
	v_or3_b32 v20, v22, v21, v20
.LBB14_1284:
	s_or_b64 exec, exec, s[6:7]
	s_movk_i32 s4, 0x7f
	v_cmp_gt_i16_sdwa s[6:7], v10, s4 src0_sel:BYTE_0 src1_sel:DWORD
	s_mov_b64 s[4:5], 0
                                        ; implicit-def: $sgpr10
	s_and_saveexec_b64 s[8:9], s[6:7]
	s_xor_b64 s[6:7], exec, s[8:9]
	s_cbranch_execnz .LBB14_3333
; %bb.1285:
	s_or_saveexec_b64 s[6:7], s[6:7]
	v_mov_b32_e32 v21, s10
	s_xor_b64 exec, exec, s[6:7]
	s_cbranch_execnz .LBB14_3336
.LBB14_1286:
	s_or_b64 exec, exec, s[6:7]
	s_and_saveexec_b64 s[6:7], s[4:5]
	s_cbranch_execz .LBB14_1288
.LBB14_1287:
	v_and_b32_e32 v21, 7, v10
	v_ffbh_u32_e32 v23, v21
	v_min_u32_e32 v23, 32, v23
	v_lshrrev_b16_e32 v22, 3, v10
	v_subrev_u32_e32 v24, 28, v23
	v_and_b32_e32 v22, 15, v22
	v_lshlrev_b32_e32 v24, v24, v10
	v_sub_u32_e32 v23, 29, v23
	v_and_b32_e32 v24, 7, v24
	v_cmp_eq_u16_e32 vcc, 0, v22
	v_cndmask_b32_e32 v21, v21, v24, vcc
	v_cndmask_b32_e32 v22, v22, v23, vcc
	v_lshlrev_b32_e32 v23, 24, v10
	v_mov_b32_e32 v24, 0x3b800000
	v_lshlrev_b32_e32 v21, 20, v21
	v_and_b32_e32 v23, 0x80000000, v23
	v_lshl_add_u32 v22, v22, 23, v24
	v_or3_b32 v21, v23, v22, v21
.LBB14_1288:
	s_or_b64 exec, exec, s[6:7]
	flat_load_dwordx4 a[0:3], v[18:19] offset:592
	s_movk_i32 s4, 0x7f
                                        ; implicit-def: $sgpr10
	s_waitcnt vmcnt(0) lgkmcnt(0)
	v_mfma_f32_16x16x4f32 a[0:3], v20, v21, a[0:3]
	v_lshrrev_b32_e32 v21, 8, v14
	v_cmp_gt_i16_sdwa s[6:7], v21, s4 src0_sel:BYTE_0 src1_sel:DWORD
	s_mov_b64 s[4:5], 0
	s_and_saveexec_b64 s[8:9], s[6:7]
	s_xor_b64 s[6:7], exec, s[8:9]
	s_cbranch_execnz .LBB14_3337
; %bb.1289:
	s_or_saveexec_b64 s[6:7], s[6:7]
	v_mov_b32_e32 v20, s10
	s_xor_b64 exec, exec, s[6:7]
	s_cbranch_execnz .LBB14_3340
.LBB14_1290:
	s_or_b64 exec, exec, s[6:7]
	s_and_saveexec_b64 s[6:7], s[4:5]
	s_cbranch_execz .LBB14_1292
.LBB14_1291:
	v_bfe_u32 v20, v14, 8, 3
	v_ffbh_u32_e32 v23, v20
	v_min_u32_e32 v23, 32, v23
	v_lshrrev_b16_e32 v22, 3, v21
	v_subrev_u32_e32 v24, 28, v23
	v_and_b32_e32 v22, 15, v22
	v_lshlrev_b32_e32 v21, v24, v21
	v_sub_u32_e32 v23, 29, v23
	v_and_b32_e32 v21, 7, v21
	v_cmp_eq_u16_e32 vcc, 0, v22
	v_cndmask_b32_e32 v20, v20, v21, vcc
	v_cndmask_b32_e32 v21, v22, v23, vcc
	v_lshlrev_b32_e32 v22, 16, v14
	v_mov_b32_e32 v23, 0x3b800000
	v_lshlrev_b32_e32 v20, 20, v20
	v_and_b32_e32 v22, 0x80000000, v22
	v_lshl_add_u32 v21, v21, 23, v23
	v_or3_b32 v20, v22, v21, v20
.LBB14_1292:
	s_or_b64 exec, exec, s[6:7]
	v_lshrrev_b32_e32 v21, 8, v10
	s_movk_i32 s4, 0x7f
	v_cmp_gt_i16_sdwa s[6:7], v21, s4 src0_sel:BYTE_0 src1_sel:DWORD
	s_mov_b64 s[4:5], 0
                                        ; implicit-def: $sgpr10
	s_and_saveexec_b64 s[8:9], s[6:7]
	s_xor_b64 s[6:7], exec, s[8:9]
	s_cbranch_execnz .LBB14_3341
; %bb.1293:
	s_or_saveexec_b64 s[6:7], s[6:7]
	v_mov_b32_e32 v22, s10
	s_xor_b64 exec, exec, s[6:7]
	s_cbranch_execnz .LBB14_3344
.LBB14_1294:
	s_or_b64 exec, exec, s[6:7]
	s_and_saveexec_b64 s[6:7], s[4:5]
	s_cbranch_execz .LBB14_1296
.LBB14_1295:
	v_bfe_u32 v22, v10, 8, 3
	v_ffbh_u32_e32 v24, v22
	v_min_u32_e32 v24, 32, v24
	v_lshrrev_b16_e32 v23, 3, v21
	v_subrev_u32_e32 v25, 28, v24
	v_and_b32_e32 v23, 15, v23
	v_lshlrev_b32_e32 v21, v25, v21
	v_sub_u32_e32 v24, 29, v24
	v_and_b32_e32 v21, 7, v21
	v_cmp_eq_u16_e32 vcc, 0, v23
	v_cndmask_b32_e32 v21, v22, v21, vcc
	v_cndmask_b32_e32 v22, v23, v24, vcc
	v_lshlrev_b32_e32 v23, 16, v10
	v_mov_b32_e32 v24, 0x3b800000
	v_lshlrev_b32_e32 v21, 20, v21
	v_and_b32_e32 v23, 0x80000000, v23
	v_lshl_add_u32 v22, v22, 23, v24
	v_or3_b32 v22, v23, v22, v21
.LBB14_1296:
	s_or_b64 exec, exec, s[6:7]
	s_nop 0
	v_mfma_f32_16x16x4f32 a[0:3], v20, v22, a[0:3]
	s_movk_i32 s4, 0xff
	v_and_b32_sdwa v21, v14, s4 dst_sel:DWORD dst_unused:UNUSED_PAD src0_sel:WORD_1 src1_sel:DWORD
	s_movk_i32 s4, 0x7f
	v_cmp_lt_i16_e32 vcc, s4, v21
	s_mov_b64 s[4:5], 0
                                        ; implicit-def: $sgpr10
	s_and_saveexec_b64 s[6:7], vcc
	s_xor_b64 s[6:7], exec, s[6:7]
	s_cbranch_execnz .LBB14_3345
; %bb.1297:
	s_or_saveexec_b64 s[6:7], s[6:7]
	v_mov_b32_e32 v20, s10
	s_xor_b64 exec, exec, s[6:7]
	s_cbranch_execnz .LBB14_3348
.LBB14_1298:
	s_or_b64 exec, exec, s[6:7]
	s_and_saveexec_b64 s[6:7], s[4:5]
	s_cbranch_execz .LBB14_1300
.LBB14_1299:
	v_bfe_u32 v20, v14, 16, 3
	v_ffbh_u32_e32 v23, v20
	v_min_u32_e32 v23, 32, v23
	v_lshrrev_b32_e32 v21, 19, v14
	v_subrev_u32_e32 v24, 28, v23
	v_and_b32_e32 v21, 15, v21
	v_lshlrev_b32_sdwa v24, v24, v14 dst_sel:DWORD dst_unused:UNUSED_PAD src0_sel:DWORD src1_sel:WORD_1
	v_bfe_u32 v22, v14, 19, 4
	v_sub_u32_e32 v23, 29, v23
	v_and_b32_e32 v24, 7, v24
	v_cmp_eq_u16_e32 vcc, 0, v21
	v_cndmask_b32_e32 v20, v20, v24, vcc
	v_cndmask_b32_e32 v21, v22, v23, vcc
	v_lshlrev_b32_e32 v22, 8, v14
	v_mov_b32_e32 v23, 0x3b800000
	v_lshlrev_b32_e32 v20, 20, v20
	v_and_b32_e32 v22, 0x80000000, v22
	v_lshl_add_u32 v21, v21, 23, v23
	v_or3_b32 v20, v22, v21, v20
.LBB14_1300:
	s_or_b64 exec, exec, s[6:7]
	s_movk_i32 s4, 0xff
	v_and_b32_sdwa v21, v10, s4 dst_sel:DWORD dst_unused:UNUSED_PAD src0_sel:WORD_1 src1_sel:DWORD
	s_movk_i32 s4, 0x7f
	v_cmp_lt_i16_e32 vcc, s4, v21
	s_mov_b64 s[4:5], 0
                                        ; implicit-def: $sgpr10
	s_and_saveexec_b64 s[6:7], vcc
	s_xor_b64 s[6:7], exec, s[6:7]
	s_cbranch_execnz .LBB14_3349
; %bb.1301:
	s_or_saveexec_b64 s[6:7], s[6:7]
	v_mov_b32_e32 v22, s10
	s_xor_b64 exec, exec, s[6:7]
	s_cbranch_execnz .LBB14_3352
.LBB14_1302:
	s_or_b64 exec, exec, s[6:7]
	s_and_saveexec_b64 s[6:7], s[4:5]
	s_cbranch_execz .LBB14_1304
.LBB14_1303:
	v_bfe_u32 v21, v10, 16, 3
	v_ffbh_u32_e32 v24, v21
	v_min_u32_e32 v24, 32, v24
	v_lshrrev_b32_e32 v22, 19, v10
	v_subrev_u32_e32 v25, 28, v24
	v_and_b32_e32 v22, 15, v22
	v_lshlrev_b32_sdwa v25, v25, v10 dst_sel:DWORD dst_unused:UNUSED_PAD src0_sel:DWORD src1_sel:WORD_1
	v_bfe_u32 v23, v10, 19, 4
	v_sub_u32_e32 v24, 29, v24
	v_and_b32_e32 v25, 7, v25
	v_cmp_eq_u16_e32 vcc, 0, v22
	v_cndmask_b32_e32 v21, v21, v25, vcc
	v_cndmask_b32_e32 v22, v23, v24, vcc
	v_lshlrev_b32_e32 v23, 8, v10
	v_mov_b32_e32 v24, 0x3b800000
	v_lshlrev_b32_e32 v21, 20, v21
	v_and_b32_e32 v23, 0x80000000, v23
	v_lshl_add_u32 v22, v22, 23, v24
	v_or3_b32 v22, v23, v22, v21
.LBB14_1304:
	s_or_b64 exec, exec, s[6:7]
	s_nop 0
	v_mfma_f32_16x16x4f32 a[0:3], v20, v22, a[0:3]
	s_movk_i32 s4, 0x7f
	v_cmp_gt_i16_sdwa s[6:7], v14, s4 src0_sel:BYTE_3 src1_sel:DWORD
	s_mov_b64 s[4:5], 0
                                        ; implicit-def: $sgpr10
	s_and_saveexec_b64 s[8:9], s[6:7]
	s_xor_b64 s[6:7], exec, s[8:9]
	s_cbranch_execnz .LBB14_3353
; %bb.1305:
	s_or_saveexec_b64 s[6:7], s[6:7]
	v_mov_b32_e32 v20, s10
	s_xor_b64 exec, exec, s[6:7]
	s_cbranch_execnz .LBB14_3356
.LBB14_1306:
	s_or_b64 exec, exec, s[6:7]
	s_and_saveexec_b64 s[6:7], s[4:5]
	s_cbranch_execz .LBB14_1308
.LBB14_1307:
	v_bfe_u32 v20, v14, 24, 3
	v_ffbh_u32_e32 v24, v20
	v_min_u32_e32 v24, 32, v24
	v_lshrrev_b32_e32 v22, 27, v14
	v_subrev_u32_e32 v25, 28, v24
	v_and_b32_e32 v21, 0x80000000, v14
	v_and_b32_e32 v22, 15, v22
	v_bfe_u32 v23, v14, 27, 4
	v_lshlrev_b32_sdwa v14, v25, v14 dst_sel:DWORD dst_unused:UNUSED_PAD src0_sel:DWORD src1_sel:BYTE_3
	v_sub_u32_e32 v24, 29, v24
	v_and_b32_e32 v14, 7, v14
	v_cmp_eq_u16_e32 vcc, 0, v22
	v_cndmask_b32_e32 v14, v20, v14, vcc
	v_cndmask_b32_e32 v20, v23, v24, vcc
	v_mov_b32_e32 v22, 0x3b800000
	v_lshlrev_b32_e32 v14, 20, v14
	v_lshl_add_u32 v20, v20, 23, v22
	v_or3_b32 v20, v21, v20, v14
.LBB14_1308:
	s_or_b64 exec, exec, s[6:7]
	s_movk_i32 s4, 0x7f
	v_cmp_gt_i16_sdwa s[6:7], v10, s4 src0_sel:BYTE_3 src1_sel:DWORD
	s_mov_b64 s[4:5], 0
                                        ; implicit-def: $sgpr10
	s_and_saveexec_b64 s[8:9], s[6:7]
	s_xor_b64 s[6:7], exec, s[8:9]
	s_cbranch_execnz .LBB14_3357
; %bb.1309:
	s_or_saveexec_b64 s[6:7], s[6:7]
	v_mov_b32_e32 v14, s10
	s_xor_b64 exec, exec, s[6:7]
	s_cbranch_execnz .LBB14_3360
.LBB14_1310:
	s_or_b64 exec, exec, s[6:7]
	s_and_saveexec_b64 s[6:7], s[4:5]
	s_cbranch_execz .LBB14_1312
.LBB14_1311:
	v_bfe_u32 v14, v10, 24, 3
	v_ffbh_u32_e32 v24, v14
	v_min_u32_e32 v24, 32, v24
	v_lshrrev_b32_e32 v22, 27, v10
	v_subrev_u32_e32 v25, 28, v24
	v_and_b32_e32 v21, 0x80000000, v10
	v_and_b32_e32 v22, 15, v22
	v_bfe_u32 v23, v10, 27, 4
	v_lshlrev_b32_sdwa v10, v25, v10 dst_sel:DWORD dst_unused:UNUSED_PAD src0_sel:DWORD src1_sel:BYTE_3
	v_sub_u32_e32 v24, 29, v24
	v_and_b32_e32 v10, 7, v10
	v_cmp_eq_u16_e32 vcc, 0, v22
	v_cndmask_b32_e32 v10, v14, v10, vcc
	v_cndmask_b32_e32 v14, v23, v24, vcc
	v_mov_b32_e32 v22, 0x3b800000
	v_lshlrev_b32_e32 v10, 20, v10
	v_lshl_add_u32 v14, v14, 23, v22
	v_or3_b32 v14, v21, v14, v10
.LBB14_1312:
	s_or_b64 exec, exec, s[6:7]
	s_nop 0
	v_mfma_f32_16x16x4f32 a[0:3], v20, v14, a[0:3]
	s_movk_i32 s4, 0x7f
	v_cmp_gt_i16_sdwa s[6:7], v15, s4 src0_sel:BYTE_0 src1_sel:DWORD
	s_mov_b64 s[4:5], 0
                                        ; implicit-def: $sgpr10
	s_and_saveexec_b64 s[8:9], s[6:7]
	s_xor_b64 s[6:7], exec, s[8:9]
	s_cbranch_execnz .LBB14_3361
; %bb.1313:
	s_or_saveexec_b64 s[6:7], s[6:7]
	v_mov_b32_e32 v10, s10
	s_xor_b64 exec, exec, s[6:7]
	s_cbranch_execnz .LBB14_3364
.LBB14_1314:
	s_or_b64 exec, exec, s[6:7]
	s_and_saveexec_b64 s[6:7], s[4:5]
	s_cbranch_execz .LBB14_1316
.LBB14_1315:
	v_and_b32_e32 v10, 7, v15
	v_ffbh_u32_e32 v20, v10
	v_min_u32_e32 v20, 32, v20
	v_lshrrev_b16_e32 v14, 3, v15
	v_subrev_u32_e32 v21, 28, v20
	v_and_b32_e32 v14, 15, v14
	v_lshlrev_b32_e32 v21, v21, v15
	v_sub_u32_e32 v20, 29, v20
	v_and_b32_e32 v21, 7, v21
	v_cmp_eq_u16_e32 vcc, 0, v14
	v_cndmask_b32_e32 v10, v10, v21, vcc
	v_cndmask_b32_e32 v14, v14, v20, vcc
	v_lshlrev_b32_e32 v20, 24, v15
	v_mov_b32_e32 v21, 0x3b800000
	v_lshlrev_b32_e32 v10, 20, v10
	v_and_b32_e32 v20, 0x80000000, v20
	v_lshl_add_u32 v14, v14, 23, v21
	v_or3_b32 v10, v20, v14, v10
.LBB14_1316:
	s_or_b64 exec, exec, s[6:7]
	s_movk_i32 s4, 0x7f
	v_cmp_gt_i16_sdwa s[6:7], v11, s4 src0_sel:BYTE_0 src1_sel:DWORD
	s_mov_b64 s[4:5], 0
                                        ; implicit-def: $sgpr10
	s_and_saveexec_b64 s[8:9], s[6:7]
	s_xor_b64 s[6:7], exec, s[8:9]
	s_cbranch_execnz .LBB14_3365
; %bb.1317:
	s_or_saveexec_b64 s[6:7], s[6:7]
	v_mov_b32_e32 v14, s10
	s_xor_b64 exec, exec, s[6:7]
	s_cbranch_execnz .LBB14_3368
.LBB14_1318:
	s_or_b64 exec, exec, s[6:7]
	s_and_saveexec_b64 s[6:7], s[4:5]
	s_cbranch_execz .LBB14_1320
.LBB14_1319:
	v_and_b32_e32 v14, 7, v11
	v_ffbh_u32_e32 v21, v14
	v_min_u32_e32 v21, 32, v21
	v_lshrrev_b16_e32 v20, 3, v11
	v_subrev_u32_e32 v22, 28, v21
	v_and_b32_e32 v20, 15, v20
	v_lshlrev_b32_e32 v22, v22, v11
	v_sub_u32_e32 v21, 29, v21
	v_and_b32_e32 v22, 7, v22
	v_cmp_eq_u16_e32 vcc, 0, v20
	v_cndmask_b32_e32 v14, v14, v22, vcc
	v_cndmask_b32_e32 v20, v20, v21, vcc
	v_lshlrev_b32_e32 v21, 24, v11
	v_mov_b32_e32 v22, 0x3b800000
	v_lshlrev_b32_e32 v14, 20, v14
	v_and_b32_e32 v21, 0x80000000, v21
	v_lshl_add_u32 v20, v20, 23, v22
	v_or3_b32 v14, v21, v20, v14
.LBB14_1320:
	s_or_b64 exec, exec, s[6:7]
	s_nop 0
	v_mfma_f32_16x16x4f32 a[0:3], v10, v14, a[0:3]
	v_lshrrev_b32_e32 v14, 8, v15
	s_movk_i32 s4, 0x7f
	v_cmp_gt_i16_sdwa s[6:7], v14, s4 src0_sel:BYTE_0 src1_sel:DWORD
	s_mov_b64 s[4:5], 0
                                        ; implicit-def: $sgpr10
	s_and_saveexec_b64 s[8:9], s[6:7]
	s_xor_b64 s[6:7], exec, s[8:9]
	s_cbranch_execnz .LBB14_3369
; %bb.1321:
	s_or_saveexec_b64 s[6:7], s[6:7]
	v_mov_b32_e32 v10, s10
	s_xor_b64 exec, exec, s[6:7]
	s_cbranch_execnz .LBB14_3372
.LBB14_1322:
	s_or_b64 exec, exec, s[6:7]
	s_and_saveexec_b64 s[6:7], s[4:5]
	s_cbranch_execz .LBB14_1324
.LBB14_1323:
	v_bfe_u32 v10, v15, 8, 3
	v_ffbh_u32_e32 v21, v10
	v_min_u32_e32 v21, 32, v21
	v_lshrrev_b16_e32 v20, 3, v14
	v_subrev_u32_e32 v22, 28, v21
	v_and_b32_e32 v20, 15, v20
	v_lshlrev_b32_e32 v14, v22, v14
	v_sub_u32_e32 v21, 29, v21
	v_and_b32_e32 v14, 7, v14
	v_cmp_eq_u16_e32 vcc, 0, v20
	v_cndmask_b32_e32 v10, v10, v14, vcc
	v_cndmask_b32_e32 v14, v20, v21, vcc
	v_lshlrev_b32_e32 v20, 16, v15
	v_mov_b32_e32 v21, 0x3b800000
	v_lshlrev_b32_e32 v10, 20, v10
	v_and_b32_e32 v20, 0x80000000, v20
	v_lshl_add_u32 v14, v14, 23, v21
	v_or3_b32 v10, v20, v14, v10
.LBB14_1324:
	s_or_b64 exec, exec, s[6:7]
	v_lshrrev_b32_e32 v14, 8, v11
	s_movk_i32 s4, 0x7f
	v_cmp_gt_i16_sdwa s[6:7], v14, s4 src0_sel:BYTE_0 src1_sel:DWORD
	s_mov_b64 s[4:5], 0
                                        ; implicit-def: $sgpr10
	s_and_saveexec_b64 s[8:9], s[6:7]
	s_xor_b64 s[6:7], exec, s[8:9]
	s_cbranch_execnz .LBB14_3373
; %bb.1325:
	s_or_saveexec_b64 s[6:7], s[6:7]
	v_mov_b32_e32 v20, s10
	s_xor_b64 exec, exec, s[6:7]
	s_cbranch_execnz .LBB14_3376
.LBB14_1326:
	s_or_b64 exec, exec, s[6:7]
	s_and_saveexec_b64 s[6:7], s[4:5]
	s_cbranch_execz .LBB14_1328
.LBB14_1327:
	v_bfe_u32 v20, v11, 8, 3
	v_ffbh_u32_e32 v22, v20
	v_min_u32_e32 v22, 32, v22
	v_lshrrev_b16_e32 v21, 3, v14
	v_subrev_u32_e32 v23, 28, v22
	v_and_b32_e32 v21, 15, v21
	v_lshlrev_b32_e32 v14, v23, v14
	v_sub_u32_e32 v22, 29, v22
	v_and_b32_e32 v14, 7, v14
	v_cmp_eq_u16_e32 vcc, 0, v21
	v_cndmask_b32_e32 v14, v20, v14, vcc
	v_cndmask_b32_e32 v20, v21, v22, vcc
	v_lshlrev_b32_e32 v21, 16, v11
	v_mov_b32_e32 v22, 0x3b800000
	v_lshlrev_b32_e32 v14, 20, v14
	v_and_b32_e32 v21, 0x80000000, v21
	v_lshl_add_u32 v20, v20, 23, v22
	v_or3_b32 v20, v21, v20, v14
.LBB14_1328:
	s_or_b64 exec, exec, s[6:7]
	s_nop 0
	v_mfma_f32_16x16x4f32 a[0:3], v10, v20, a[0:3]
	s_movk_i32 s4, 0xff
	v_and_b32_sdwa v14, v15, s4 dst_sel:DWORD dst_unused:UNUSED_PAD src0_sel:WORD_1 src1_sel:DWORD
	s_movk_i32 s4, 0x7f
	v_cmp_lt_i16_e32 vcc, s4, v14
	s_mov_b64 s[4:5], 0
                                        ; implicit-def: $sgpr10
	s_and_saveexec_b64 s[6:7], vcc
	s_xor_b64 s[6:7], exec, s[6:7]
	s_cbranch_execnz .LBB14_3377
; %bb.1329:
	s_or_saveexec_b64 s[6:7], s[6:7]
	v_mov_b32_e32 v10, s10
	s_xor_b64 exec, exec, s[6:7]
	s_cbranch_execnz .LBB14_3380
.LBB14_1330:
	s_or_b64 exec, exec, s[6:7]
	s_and_saveexec_b64 s[6:7], s[4:5]
	s_cbranch_execz .LBB14_1332
.LBB14_1331:
	v_bfe_u32 v10, v15, 16, 3
	v_ffbh_u32_e32 v21, v10
	v_min_u32_e32 v21, 32, v21
	v_lshrrev_b32_e32 v14, 19, v15
	v_subrev_u32_e32 v22, 28, v21
	v_and_b32_e32 v14, 15, v14
	v_lshlrev_b32_sdwa v22, v22, v15 dst_sel:DWORD dst_unused:UNUSED_PAD src0_sel:DWORD src1_sel:WORD_1
	v_bfe_u32 v20, v15, 19, 4
	v_sub_u32_e32 v21, 29, v21
	v_and_b32_e32 v22, 7, v22
	v_cmp_eq_u16_e32 vcc, 0, v14
	v_cndmask_b32_e32 v10, v10, v22, vcc
	v_cndmask_b32_e32 v14, v20, v21, vcc
	v_lshlrev_b32_e32 v20, 8, v15
	v_mov_b32_e32 v21, 0x3b800000
	v_lshlrev_b32_e32 v10, 20, v10
	v_and_b32_e32 v20, 0x80000000, v20
	v_lshl_add_u32 v14, v14, 23, v21
	v_or3_b32 v10, v20, v14, v10
.LBB14_1332:
	s_or_b64 exec, exec, s[6:7]
	s_movk_i32 s4, 0xff
	v_and_b32_sdwa v14, v11, s4 dst_sel:DWORD dst_unused:UNUSED_PAD src0_sel:WORD_1 src1_sel:DWORD
	s_movk_i32 s4, 0x7f
	v_cmp_lt_i16_e32 vcc, s4, v14
	s_mov_b64 s[4:5], 0
                                        ; implicit-def: $sgpr10
	s_and_saveexec_b64 s[6:7], vcc
	s_xor_b64 s[6:7], exec, s[6:7]
	s_cbranch_execnz .LBB14_3381
; %bb.1333:
	s_or_saveexec_b64 s[6:7], s[6:7]
	v_mov_b32_e32 v20, s10
	s_xor_b64 exec, exec, s[6:7]
	s_cbranch_execnz .LBB14_3384
.LBB14_1334:
	s_or_b64 exec, exec, s[6:7]
	s_and_saveexec_b64 s[6:7], s[4:5]
	s_cbranch_execz .LBB14_1336
.LBB14_1335:
	v_bfe_u32 v14, v11, 16, 3
	v_ffbh_u32_e32 v22, v14
	v_min_u32_e32 v22, 32, v22
	v_lshrrev_b32_e32 v20, 19, v11
	v_subrev_u32_e32 v23, 28, v22
	v_and_b32_e32 v20, 15, v20
	v_lshlrev_b32_sdwa v23, v23, v11 dst_sel:DWORD dst_unused:UNUSED_PAD src0_sel:DWORD src1_sel:WORD_1
	v_bfe_u32 v21, v11, 19, 4
	v_sub_u32_e32 v22, 29, v22
	v_and_b32_e32 v23, 7, v23
	v_cmp_eq_u16_e32 vcc, 0, v20
	v_cndmask_b32_e32 v14, v14, v23, vcc
	v_cndmask_b32_e32 v20, v21, v22, vcc
	v_lshlrev_b32_e32 v21, 8, v11
	v_mov_b32_e32 v22, 0x3b800000
	v_lshlrev_b32_e32 v14, 20, v14
	v_and_b32_e32 v21, 0x80000000, v21
	v_lshl_add_u32 v20, v20, 23, v22
	v_or3_b32 v20, v21, v20, v14
.LBB14_1336:
	s_or_b64 exec, exec, s[6:7]
	s_nop 0
	v_mfma_f32_16x16x4f32 a[0:3], v10, v20, a[0:3]
	s_movk_i32 s4, 0x7f
	v_cmp_gt_i16_sdwa s[6:7], v15, s4 src0_sel:BYTE_3 src1_sel:DWORD
	s_mov_b64 s[4:5], 0
                                        ; implicit-def: $sgpr10
	s_and_saveexec_b64 s[8:9], s[6:7]
	s_xor_b64 s[6:7], exec, s[8:9]
	s_cbranch_execnz .LBB14_3385
; %bb.1337:
	s_or_saveexec_b64 s[6:7], s[6:7]
	v_mov_b32_e32 v10, s10
	s_xor_b64 exec, exec, s[6:7]
	s_cbranch_execnz .LBB14_3388
.LBB14_1338:
	s_or_b64 exec, exec, s[6:7]
	s_and_saveexec_b64 s[6:7], s[4:5]
	s_cbranch_execz .LBB14_1340
.LBB14_1339:
	v_bfe_u32 v10, v15, 24, 3
	v_ffbh_u32_e32 v22, v10
	v_min_u32_e32 v22, 32, v22
	v_lshrrev_b32_e32 v20, 27, v15
	v_subrev_u32_e32 v23, 28, v22
	v_and_b32_e32 v14, 0x80000000, v15
	v_and_b32_e32 v20, 15, v20
	v_bfe_u32 v21, v15, 27, 4
	v_lshlrev_b32_sdwa v15, v23, v15 dst_sel:DWORD dst_unused:UNUSED_PAD src0_sel:DWORD src1_sel:BYTE_3
	v_sub_u32_e32 v22, 29, v22
	v_and_b32_e32 v15, 7, v15
	v_cmp_eq_u16_e32 vcc, 0, v20
	v_cndmask_b32_e32 v10, v10, v15, vcc
	v_cndmask_b32_e32 v15, v21, v22, vcc
	v_mov_b32_e32 v20, 0x3b800000
	v_lshlrev_b32_e32 v10, 20, v10
	v_lshl_add_u32 v15, v15, 23, v20
	v_or3_b32 v10, v14, v15, v10
.LBB14_1340:
	s_or_b64 exec, exec, s[6:7]
	s_movk_i32 s4, 0x7f
	v_cmp_gt_i16_sdwa s[6:7], v11, s4 src0_sel:BYTE_3 src1_sel:DWORD
	s_mov_b64 s[4:5], 0
                                        ; implicit-def: $sgpr10
	s_and_saveexec_b64 s[8:9], s[6:7]
	s_xor_b64 s[6:7], exec, s[8:9]
	s_cbranch_execnz .LBB14_3389
; %bb.1341:
	s_or_saveexec_b64 s[6:7], s[6:7]
	v_mov_b32_e32 v14, s10
	s_xor_b64 exec, exec, s[6:7]
	s_cbranch_execnz .LBB14_3392
.LBB14_1342:
	s_or_b64 exec, exec, s[6:7]
	s_and_saveexec_b64 s[6:7], s[4:5]
	s_cbranch_execz .LBB14_1344
.LBB14_1343:
	v_bfe_u32 v14, v11, 24, 3
	v_ffbh_u32_e32 v22, v14
	v_min_u32_e32 v22, 32, v22
	v_lshrrev_b32_e32 v20, 27, v11
	v_subrev_u32_e32 v23, 28, v22
	v_and_b32_e32 v15, 0x80000000, v11
	v_and_b32_e32 v20, 15, v20
	v_bfe_u32 v21, v11, 27, 4
	v_lshlrev_b32_sdwa v11, v23, v11 dst_sel:DWORD dst_unused:UNUSED_PAD src0_sel:DWORD src1_sel:BYTE_3
	v_sub_u32_e32 v22, 29, v22
	v_and_b32_e32 v11, 7, v11
	v_cmp_eq_u16_e32 vcc, 0, v20
	v_cndmask_b32_e32 v11, v14, v11, vcc
	v_cndmask_b32_e32 v14, v21, v22, vcc
	v_mov_b32_e32 v20, 0x3b800000
	v_lshlrev_b32_e32 v11, 20, v11
	v_lshl_add_u32 v14, v14, 23, v20
	v_or3_b32 v14, v15, v14, v11
.LBB14_1344:
	s_or_b64 exec, exec, s[6:7]
	s_nop 0
	v_mfma_f32_16x16x4f32 a[0:3], v10, v14, a[0:3]
	s_movk_i32 s4, 0x7f
	v_cmp_gt_i16_sdwa s[6:7], v16, s4 src0_sel:BYTE_0 src1_sel:DWORD
	s_mov_b64 s[4:5], 0
                                        ; implicit-def: $sgpr10
	s_and_saveexec_b64 s[8:9], s[6:7]
	s_xor_b64 s[6:7], exec, s[8:9]
	s_cbranch_execnz .LBB14_3393
; %bb.1345:
	s_or_saveexec_b64 s[6:7], s[6:7]
	v_mov_b32_e32 v10, s10
	s_xor_b64 exec, exec, s[6:7]
	s_cbranch_execnz .LBB14_3396
.LBB14_1346:
	s_or_b64 exec, exec, s[6:7]
	s_and_saveexec_b64 s[6:7], s[4:5]
	s_cbranch_execz .LBB14_1348
.LBB14_1347:
	v_and_b32_e32 v10, 7, v16
	v_ffbh_u32_e32 v14, v10
	v_min_u32_e32 v14, 32, v14
	v_lshrrev_b16_e32 v11, 3, v16
	v_subrev_u32_e32 v15, 28, v14
	v_and_b32_e32 v11, 15, v11
	v_lshlrev_b32_e32 v15, v15, v16
	v_sub_u32_e32 v14, 29, v14
	v_and_b32_e32 v15, 7, v15
	v_cmp_eq_u16_e32 vcc, 0, v11
	v_cndmask_b32_e32 v10, v10, v15, vcc
	v_cndmask_b32_e32 v11, v11, v14, vcc
	v_lshlrev_b32_e32 v14, 24, v16
	v_mov_b32_e32 v15, 0x3b800000
	v_lshlrev_b32_e32 v10, 20, v10
	v_and_b32_e32 v14, 0x80000000, v14
	v_lshl_add_u32 v11, v11, 23, v15
	v_or3_b32 v10, v14, v11, v10
.LBB14_1348:
	s_or_b64 exec, exec, s[6:7]
	s_movk_i32 s4, 0x7f
	v_cmp_gt_i16_sdwa s[6:7], v12, s4 src0_sel:BYTE_0 src1_sel:DWORD
	s_mov_b64 s[4:5], 0
                                        ; implicit-def: $sgpr10
	s_and_saveexec_b64 s[8:9], s[6:7]
	s_xor_b64 s[6:7], exec, s[8:9]
	s_cbranch_execnz .LBB14_3397
; %bb.1349:
	s_or_saveexec_b64 s[6:7], s[6:7]
	v_mov_b32_e32 v11, s10
	s_xor_b64 exec, exec, s[6:7]
	s_cbranch_execnz .LBB14_3400
.LBB14_1350:
	s_or_b64 exec, exec, s[6:7]
	s_and_saveexec_b64 s[6:7], s[4:5]
	s_cbranch_execz .LBB14_1352
.LBB14_1351:
	v_and_b32_e32 v11, 7, v12
	v_ffbh_u32_e32 v15, v11
	v_min_u32_e32 v15, 32, v15
	v_lshrrev_b16_e32 v14, 3, v12
	v_subrev_u32_e32 v20, 28, v15
	v_and_b32_e32 v14, 15, v14
	v_lshlrev_b32_e32 v20, v20, v12
	v_sub_u32_e32 v15, 29, v15
	v_and_b32_e32 v20, 7, v20
	v_cmp_eq_u16_e32 vcc, 0, v14
	v_cndmask_b32_e32 v11, v11, v20, vcc
	v_cndmask_b32_e32 v14, v14, v15, vcc
	v_lshlrev_b32_e32 v15, 24, v12
	v_mov_b32_e32 v20, 0x3b800000
	v_lshlrev_b32_e32 v11, 20, v11
	v_and_b32_e32 v15, 0x80000000, v15
	v_lshl_add_u32 v14, v14, 23, v20
	v_or3_b32 v11, v15, v14, v11
.LBB14_1352:
	s_or_b64 exec, exec, s[6:7]
	s_nop 0
	v_mfma_f32_16x16x4f32 a[0:3], v10, v11, a[0:3]
	v_lshrrev_b32_e32 v11, 8, v16
	s_movk_i32 s4, 0x7f
	v_cmp_gt_i16_sdwa s[6:7], v11, s4 src0_sel:BYTE_0 src1_sel:DWORD
	s_mov_b64 s[4:5], 0
                                        ; implicit-def: $sgpr10
	s_and_saveexec_b64 s[8:9], s[6:7]
	s_xor_b64 s[6:7], exec, s[8:9]
	s_cbranch_execnz .LBB14_3401
; %bb.1353:
	s_or_saveexec_b64 s[6:7], s[6:7]
	v_mov_b32_e32 v10, s10
	s_xor_b64 exec, exec, s[6:7]
	s_cbranch_execnz .LBB14_3404
.LBB14_1354:
	s_or_b64 exec, exec, s[6:7]
	s_and_saveexec_b64 s[6:7], s[4:5]
	s_cbranch_execz .LBB14_1356
.LBB14_1355:
	v_bfe_u32 v10, v16, 8, 3
	v_ffbh_u32_e32 v15, v10
	v_min_u32_e32 v15, 32, v15
	v_lshrrev_b16_e32 v14, 3, v11
	v_subrev_u32_e32 v20, 28, v15
	v_and_b32_e32 v14, 15, v14
	v_lshlrev_b32_e32 v11, v20, v11
	v_sub_u32_e32 v15, 29, v15
	v_and_b32_e32 v11, 7, v11
	v_cmp_eq_u16_e32 vcc, 0, v14
	v_cndmask_b32_e32 v10, v10, v11, vcc
	v_cndmask_b32_e32 v11, v14, v15, vcc
	v_lshlrev_b32_e32 v14, 16, v16
	v_mov_b32_e32 v15, 0x3b800000
	v_lshlrev_b32_e32 v10, 20, v10
	v_and_b32_e32 v14, 0x80000000, v14
	v_lshl_add_u32 v11, v11, 23, v15
	v_or3_b32 v10, v14, v11, v10
.LBB14_1356:
	s_or_b64 exec, exec, s[6:7]
	v_lshrrev_b32_e32 v11, 8, v12
	s_movk_i32 s4, 0x7f
	v_cmp_gt_i16_sdwa s[6:7], v11, s4 src0_sel:BYTE_0 src1_sel:DWORD
	s_mov_b64 s[4:5], 0
                                        ; implicit-def: $sgpr10
	s_and_saveexec_b64 s[8:9], s[6:7]
	s_xor_b64 s[6:7], exec, s[8:9]
	s_cbranch_execnz .LBB14_3405
; %bb.1357:
	s_or_saveexec_b64 s[6:7], s[6:7]
	v_mov_b32_e32 v14, s10
	s_xor_b64 exec, exec, s[6:7]
	s_cbranch_execnz .LBB14_3408
.LBB14_1358:
	s_or_b64 exec, exec, s[6:7]
	s_and_saveexec_b64 s[6:7], s[4:5]
	s_cbranch_execz .LBB14_1360
.LBB14_1359:
	v_bfe_u32 v14, v12, 8, 3
	v_ffbh_u32_e32 v20, v14
	v_min_u32_e32 v20, 32, v20
	v_lshrrev_b16_e32 v15, 3, v11
	v_subrev_u32_e32 v21, 28, v20
	v_and_b32_e32 v15, 15, v15
	v_lshlrev_b32_e32 v11, v21, v11
	v_sub_u32_e32 v20, 29, v20
	v_and_b32_e32 v11, 7, v11
	v_cmp_eq_u16_e32 vcc, 0, v15
	v_cndmask_b32_e32 v11, v14, v11, vcc
	v_cndmask_b32_e32 v14, v15, v20, vcc
	v_lshlrev_b32_e32 v15, 16, v12
	v_mov_b32_e32 v20, 0x3b800000
	v_lshlrev_b32_e32 v11, 20, v11
	v_and_b32_e32 v15, 0x80000000, v15
	v_lshl_add_u32 v14, v14, 23, v20
	v_or3_b32 v14, v15, v14, v11
.LBB14_1360:
	s_or_b64 exec, exec, s[6:7]
	s_nop 0
	v_mfma_f32_16x16x4f32 a[0:3], v10, v14, a[0:3]
	s_movk_i32 s4, 0xff
	v_and_b32_sdwa v11, v16, s4 dst_sel:DWORD dst_unused:UNUSED_PAD src0_sel:WORD_1 src1_sel:DWORD
	s_movk_i32 s4, 0x7f
	v_cmp_lt_i16_e32 vcc, s4, v11
	s_mov_b64 s[4:5], 0
                                        ; implicit-def: $sgpr10
	s_and_saveexec_b64 s[6:7], vcc
	s_xor_b64 s[6:7], exec, s[6:7]
	s_cbranch_execnz .LBB14_3409
; %bb.1361:
	s_or_saveexec_b64 s[6:7], s[6:7]
	v_mov_b32_e32 v10, s10
	s_xor_b64 exec, exec, s[6:7]
	s_cbranch_execnz .LBB14_3412
.LBB14_1362:
	s_or_b64 exec, exec, s[6:7]
	s_and_saveexec_b64 s[6:7], s[4:5]
	s_cbranch_execz .LBB14_1364
.LBB14_1363:
	v_bfe_u32 v10, v16, 16, 3
	v_ffbh_u32_e32 v15, v10
	v_min_u32_e32 v15, 32, v15
	v_lshrrev_b32_e32 v11, 19, v16
	v_subrev_u32_e32 v20, 28, v15
	v_and_b32_e32 v11, 15, v11
	v_lshlrev_b32_sdwa v20, v20, v16 dst_sel:DWORD dst_unused:UNUSED_PAD src0_sel:DWORD src1_sel:WORD_1
	v_bfe_u32 v14, v16, 19, 4
	v_sub_u32_e32 v15, 29, v15
	v_and_b32_e32 v20, 7, v20
	v_cmp_eq_u16_e32 vcc, 0, v11
	v_cndmask_b32_e32 v10, v10, v20, vcc
	v_cndmask_b32_e32 v11, v14, v15, vcc
	v_lshlrev_b32_e32 v14, 8, v16
	v_mov_b32_e32 v15, 0x3b800000
	v_lshlrev_b32_e32 v10, 20, v10
	v_and_b32_e32 v14, 0x80000000, v14
	v_lshl_add_u32 v11, v11, 23, v15
	v_or3_b32 v10, v14, v11, v10
.LBB14_1364:
	s_or_b64 exec, exec, s[6:7]
	s_movk_i32 s4, 0xff
	v_and_b32_sdwa v11, v12, s4 dst_sel:DWORD dst_unused:UNUSED_PAD src0_sel:WORD_1 src1_sel:DWORD
	s_movk_i32 s4, 0x7f
	v_cmp_lt_i16_e32 vcc, s4, v11
	s_mov_b64 s[4:5], 0
                                        ; implicit-def: $sgpr10
	s_and_saveexec_b64 s[6:7], vcc
	s_xor_b64 s[6:7], exec, s[6:7]
	s_cbranch_execnz .LBB14_3413
; %bb.1365:
	s_or_saveexec_b64 s[6:7], s[6:7]
	v_mov_b32_e32 v14, s10
	s_xor_b64 exec, exec, s[6:7]
	s_cbranch_execnz .LBB14_3416
.LBB14_1366:
	s_or_b64 exec, exec, s[6:7]
	s_and_saveexec_b64 s[6:7], s[4:5]
	s_cbranch_execz .LBB14_1368
.LBB14_1367:
	v_bfe_u32 v11, v12, 16, 3
	v_ffbh_u32_e32 v20, v11
	v_min_u32_e32 v20, 32, v20
	v_lshrrev_b32_e32 v14, 19, v12
	v_subrev_u32_e32 v21, 28, v20
	v_and_b32_e32 v14, 15, v14
	v_lshlrev_b32_sdwa v21, v21, v12 dst_sel:DWORD dst_unused:UNUSED_PAD src0_sel:DWORD src1_sel:WORD_1
	v_bfe_u32 v15, v12, 19, 4
	v_sub_u32_e32 v20, 29, v20
	v_and_b32_e32 v21, 7, v21
	v_cmp_eq_u16_e32 vcc, 0, v14
	v_cndmask_b32_e32 v11, v11, v21, vcc
	v_cndmask_b32_e32 v14, v15, v20, vcc
	v_lshlrev_b32_e32 v15, 8, v12
	v_mov_b32_e32 v20, 0x3b800000
	v_lshlrev_b32_e32 v11, 20, v11
	v_and_b32_e32 v15, 0x80000000, v15
	v_lshl_add_u32 v14, v14, 23, v20
	v_or3_b32 v14, v15, v14, v11
.LBB14_1368:
	s_or_b64 exec, exec, s[6:7]
	s_nop 0
	v_mfma_f32_16x16x4f32 a[0:3], v10, v14, a[0:3]
	s_movk_i32 s4, 0x7f
	v_cmp_gt_i16_sdwa s[6:7], v16, s4 src0_sel:BYTE_3 src1_sel:DWORD
	s_mov_b64 s[4:5], 0
                                        ; implicit-def: $sgpr10
	s_and_saveexec_b64 s[8:9], s[6:7]
	s_xor_b64 s[6:7], exec, s[8:9]
	s_cbranch_execnz .LBB14_3417
; %bb.1369:
	s_or_saveexec_b64 s[6:7], s[6:7]
	v_mov_b32_e32 v10, s10
	s_xor_b64 exec, exec, s[6:7]
	s_cbranch_execnz .LBB14_3420
.LBB14_1370:
	s_or_b64 exec, exec, s[6:7]
	s_and_saveexec_b64 s[6:7], s[4:5]
	s_cbranch_execz .LBB14_1372
.LBB14_1371:
	v_bfe_u32 v10, v16, 24, 3
	v_ffbh_u32_e32 v20, v10
	v_min_u32_e32 v20, 32, v20
	v_lshrrev_b32_e32 v14, 27, v16
	v_subrev_u32_e32 v21, 28, v20
	v_and_b32_e32 v11, 0x80000000, v16
	v_and_b32_e32 v14, 15, v14
	v_bfe_u32 v15, v16, 27, 4
	v_lshlrev_b32_sdwa v16, v21, v16 dst_sel:DWORD dst_unused:UNUSED_PAD src0_sel:DWORD src1_sel:BYTE_3
	v_sub_u32_e32 v20, 29, v20
	v_and_b32_e32 v16, 7, v16
	v_cmp_eq_u16_e32 vcc, 0, v14
	v_cndmask_b32_e32 v10, v10, v16, vcc
	v_cndmask_b32_e32 v14, v15, v20, vcc
	v_mov_b32_e32 v15, 0x3b800000
	v_lshlrev_b32_e32 v10, 20, v10
	v_lshl_add_u32 v14, v14, 23, v15
	v_or3_b32 v10, v11, v14, v10
.LBB14_1372:
	s_or_b64 exec, exec, s[6:7]
	s_movk_i32 s4, 0x7f
	v_cmp_gt_i16_sdwa s[6:7], v12, s4 src0_sel:BYTE_3 src1_sel:DWORD
	s_mov_b64 s[4:5], 0
                                        ; implicit-def: $sgpr10
	s_and_saveexec_b64 s[8:9], s[6:7]
	s_xor_b64 s[6:7], exec, s[8:9]
	s_cbranch_execnz .LBB14_3421
; %bb.1373:
	s_or_saveexec_b64 s[6:7], s[6:7]
	v_mov_b32_e32 v11, s10
	s_xor_b64 exec, exec, s[6:7]
	s_cbranch_execnz .LBB14_3424
.LBB14_1374:
	s_or_b64 exec, exec, s[6:7]
	s_and_saveexec_b64 s[6:7], s[4:5]
	s_cbranch_execz .LBB14_1376
.LBB14_1375:
	v_bfe_u32 v11, v12, 24, 3
	v_ffbh_u32_e32 v20, v11
	v_min_u32_e32 v20, 32, v20
	v_lshrrev_b32_e32 v15, 27, v12
	v_subrev_u32_e32 v21, 28, v20
	v_and_b32_e32 v14, 0x80000000, v12
	v_and_b32_e32 v15, 15, v15
	v_bfe_u32 v16, v12, 27, 4
	v_lshlrev_b32_sdwa v12, v21, v12 dst_sel:DWORD dst_unused:UNUSED_PAD src0_sel:DWORD src1_sel:BYTE_3
	v_sub_u32_e32 v20, 29, v20
	v_and_b32_e32 v12, 7, v12
	v_cmp_eq_u16_e32 vcc, 0, v15
	v_cndmask_b32_e32 v11, v11, v12, vcc
	v_cndmask_b32_e32 v12, v16, v20, vcc
	v_mov_b32_e32 v15, 0x3b800000
	v_lshlrev_b32_e32 v11, 20, v11
	v_lshl_add_u32 v12, v12, 23, v15
	v_or3_b32 v11, v14, v12, v11
.LBB14_1376:
	s_or_b64 exec, exec, s[6:7]
	s_nop 0
	v_mfma_f32_16x16x4f32 a[0:3], v10, v11, a[0:3]
	s_movk_i32 s4, 0x7f
	v_cmp_gt_i16_sdwa s[6:7], v17, s4 src0_sel:BYTE_0 src1_sel:DWORD
	s_mov_b64 s[4:5], 0
                                        ; implicit-def: $sgpr10
	s_and_saveexec_b64 s[8:9], s[6:7]
	s_xor_b64 s[6:7], exec, s[8:9]
	s_cbranch_execnz .LBB14_3425
; %bb.1377:
	s_or_saveexec_b64 s[6:7], s[6:7]
	v_mov_b32_e32 v10, s10
	s_xor_b64 exec, exec, s[6:7]
	s_cbranch_execnz .LBB14_3428
.LBB14_1378:
	s_or_b64 exec, exec, s[6:7]
	s_and_saveexec_b64 s[6:7], s[4:5]
	s_cbranch_execz .LBB14_1380
.LBB14_1379:
	v_and_b32_e32 v10, 7, v17
	v_ffbh_u32_e32 v12, v10
	v_min_u32_e32 v12, 32, v12
	v_lshrrev_b16_e32 v11, 3, v17
	v_subrev_u32_e32 v14, 28, v12
	v_and_b32_e32 v11, 15, v11
	v_lshlrev_b32_e32 v14, v14, v17
	v_sub_u32_e32 v12, 29, v12
	v_and_b32_e32 v14, 7, v14
	v_cmp_eq_u16_e32 vcc, 0, v11
	v_cndmask_b32_e32 v10, v10, v14, vcc
	v_cndmask_b32_e32 v11, v11, v12, vcc
	v_lshlrev_b32_e32 v12, 24, v17
	v_mov_b32_e32 v14, 0x3b800000
	v_lshlrev_b32_e32 v10, 20, v10
	v_and_b32_e32 v12, 0x80000000, v12
	v_lshl_add_u32 v11, v11, 23, v14
	v_or3_b32 v10, v12, v11, v10
.LBB14_1380:
	s_or_b64 exec, exec, s[6:7]
	s_movk_i32 s4, 0x7f
	v_cmp_gt_i16_sdwa s[6:7], v13, s4 src0_sel:BYTE_0 src1_sel:DWORD
	s_mov_b64 s[4:5], 0
                                        ; implicit-def: $sgpr10
	s_and_saveexec_b64 s[8:9], s[6:7]
	s_xor_b64 s[6:7], exec, s[8:9]
	s_cbranch_execnz .LBB14_3429
; %bb.1381:
	s_or_saveexec_b64 s[6:7], s[6:7]
	v_mov_b32_e32 v11, s10
	s_xor_b64 exec, exec, s[6:7]
	s_cbranch_execnz .LBB14_3432
.LBB14_1382:
	s_or_b64 exec, exec, s[6:7]
	s_and_saveexec_b64 s[6:7], s[4:5]
	s_cbranch_execz .LBB14_1384
.LBB14_1383:
	v_and_b32_e32 v11, 7, v13
	v_ffbh_u32_e32 v14, v11
	v_min_u32_e32 v14, 32, v14
	v_lshrrev_b16_e32 v12, 3, v13
	v_subrev_u32_e32 v15, 28, v14
	v_and_b32_e32 v12, 15, v12
	v_lshlrev_b32_e32 v15, v15, v13
	v_sub_u32_e32 v14, 29, v14
	v_and_b32_e32 v15, 7, v15
	v_cmp_eq_u16_e32 vcc, 0, v12
	v_cndmask_b32_e32 v11, v11, v15, vcc
	v_cndmask_b32_e32 v12, v12, v14, vcc
	v_lshlrev_b32_e32 v14, 24, v13
	v_mov_b32_e32 v15, 0x3b800000
	v_lshlrev_b32_e32 v11, 20, v11
	v_and_b32_e32 v14, 0x80000000, v14
	v_lshl_add_u32 v12, v12, 23, v15
	v_or3_b32 v11, v14, v12, v11
.LBB14_1384:
	s_or_b64 exec, exec, s[6:7]
	s_nop 0
	v_mfma_f32_16x16x4f32 a[0:3], v10, v11, a[0:3]
	v_lshrrev_b32_e32 v11, 8, v17
	s_movk_i32 s4, 0x7f
	v_cmp_gt_i16_sdwa s[6:7], v11, s4 src0_sel:BYTE_0 src1_sel:DWORD
	s_mov_b64 s[4:5], 0
                                        ; implicit-def: $sgpr10
	s_and_saveexec_b64 s[8:9], s[6:7]
	s_xor_b64 s[6:7], exec, s[8:9]
	s_cbranch_execnz .LBB14_3433
; %bb.1385:
	s_or_saveexec_b64 s[6:7], s[6:7]
	v_mov_b32_e32 v10, s10
	s_xor_b64 exec, exec, s[6:7]
	s_cbranch_execnz .LBB14_3436
.LBB14_1386:
	s_or_b64 exec, exec, s[6:7]
	s_and_saveexec_b64 s[6:7], s[4:5]
	s_cbranch_execz .LBB14_1388
.LBB14_1387:
	v_bfe_u32 v10, v17, 8, 3
	v_ffbh_u32_e32 v14, v10
	v_min_u32_e32 v14, 32, v14
	v_lshrrev_b16_e32 v12, 3, v11
	v_subrev_u32_e32 v15, 28, v14
	v_and_b32_e32 v12, 15, v12
	v_lshlrev_b32_e32 v11, v15, v11
	v_sub_u32_e32 v14, 29, v14
	v_and_b32_e32 v11, 7, v11
	v_cmp_eq_u16_e32 vcc, 0, v12
	v_cndmask_b32_e32 v10, v10, v11, vcc
	v_cndmask_b32_e32 v11, v12, v14, vcc
	v_lshlrev_b32_e32 v12, 16, v17
	v_mov_b32_e32 v14, 0x3b800000
	v_lshlrev_b32_e32 v10, 20, v10
	v_and_b32_e32 v12, 0x80000000, v12
	v_lshl_add_u32 v11, v11, 23, v14
	v_or3_b32 v10, v12, v11, v10
.LBB14_1388:
	s_or_b64 exec, exec, s[6:7]
	v_lshrrev_b32_e32 v11, 8, v13
	s_movk_i32 s4, 0x7f
	v_cmp_gt_i16_sdwa s[6:7], v11, s4 src0_sel:BYTE_0 src1_sel:DWORD
	s_mov_b64 s[4:5], 0
                                        ; implicit-def: $sgpr10
	s_and_saveexec_b64 s[8:9], s[6:7]
	s_xor_b64 s[6:7], exec, s[8:9]
	s_cbranch_execnz .LBB14_3437
; %bb.1389:
	s_or_saveexec_b64 s[6:7], s[6:7]
	v_mov_b32_e32 v12, s10
	s_xor_b64 exec, exec, s[6:7]
	s_cbranch_execnz .LBB14_3440
.LBB14_1390:
	s_or_b64 exec, exec, s[6:7]
	s_and_saveexec_b64 s[6:7], s[4:5]
	s_cbranch_execz .LBB14_1392
.LBB14_1391:
	v_bfe_u32 v12, v13, 8, 3
	v_ffbh_u32_e32 v15, v12
	v_min_u32_e32 v15, 32, v15
	v_lshrrev_b16_e32 v14, 3, v11
	v_subrev_u32_e32 v16, 28, v15
	v_and_b32_e32 v14, 15, v14
	v_lshlrev_b32_e32 v11, v16, v11
	v_sub_u32_e32 v15, 29, v15
	v_and_b32_e32 v11, 7, v11
	v_cmp_eq_u16_e32 vcc, 0, v14
	v_cndmask_b32_e32 v11, v12, v11, vcc
	v_cndmask_b32_e32 v12, v14, v15, vcc
	v_lshlrev_b32_e32 v14, 16, v13
	v_mov_b32_e32 v15, 0x3b800000
	v_lshlrev_b32_e32 v11, 20, v11
	v_and_b32_e32 v14, 0x80000000, v14
	v_lshl_add_u32 v12, v12, 23, v15
	v_or3_b32 v12, v14, v12, v11
.LBB14_1392:
	s_or_b64 exec, exec, s[6:7]
	s_nop 0
	v_mfma_f32_16x16x4f32 a[0:3], v10, v12, a[0:3]
	s_movk_i32 s4, 0xff
	v_and_b32_sdwa v11, v17, s4 dst_sel:DWORD dst_unused:UNUSED_PAD src0_sel:WORD_1 src1_sel:DWORD
	s_movk_i32 s4, 0x7f
	v_cmp_lt_i16_e32 vcc, s4, v11
	s_mov_b64 s[4:5], 0
                                        ; implicit-def: $sgpr10
	s_and_saveexec_b64 s[6:7], vcc
	s_xor_b64 s[6:7], exec, s[6:7]
	s_cbranch_execnz .LBB14_3441
; %bb.1393:
	s_or_saveexec_b64 s[6:7], s[6:7]
	v_mov_b32_e32 v10, s10
	s_xor_b64 exec, exec, s[6:7]
	s_cbranch_execnz .LBB14_3444
.LBB14_1394:
	s_or_b64 exec, exec, s[6:7]
	s_and_saveexec_b64 s[6:7], s[4:5]
	s_cbranch_execz .LBB14_1396
.LBB14_1395:
	v_bfe_u32 v10, v17, 16, 3
	v_ffbh_u32_e32 v14, v10
	v_min_u32_e32 v14, 32, v14
	v_lshrrev_b32_e32 v11, 19, v17
	v_subrev_u32_e32 v15, 28, v14
	v_and_b32_e32 v11, 15, v11
	v_lshlrev_b32_sdwa v15, v15, v17 dst_sel:DWORD dst_unused:UNUSED_PAD src0_sel:DWORD src1_sel:WORD_1
	v_bfe_u32 v12, v17, 19, 4
	v_sub_u32_e32 v14, 29, v14
	v_and_b32_e32 v15, 7, v15
	v_cmp_eq_u16_e32 vcc, 0, v11
	v_cndmask_b32_e32 v10, v10, v15, vcc
	v_cndmask_b32_e32 v11, v12, v14, vcc
	v_lshlrev_b32_e32 v12, 8, v17
	v_mov_b32_e32 v14, 0x3b800000
	v_lshlrev_b32_e32 v10, 20, v10
	v_and_b32_e32 v12, 0x80000000, v12
	v_lshl_add_u32 v11, v11, 23, v14
	v_or3_b32 v10, v12, v11, v10
.LBB14_1396:
	s_or_b64 exec, exec, s[6:7]
	s_movk_i32 s4, 0xff
	v_and_b32_sdwa v11, v13, s4 dst_sel:DWORD dst_unused:UNUSED_PAD src0_sel:WORD_1 src1_sel:DWORD
	s_movk_i32 s4, 0x7f
	v_cmp_lt_i16_e32 vcc, s4, v11
	s_mov_b64 s[4:5], 0
                                        ; implicit-def: $sgpr10
	s_and_saveexec_b64 s[6:7], vcc
	s_xor_b64 s[6:7], exec, s[6:7]
	s_cbranch_execnz .LBB14_3445
; %bb.1397:
	s_or_saveexec_b64 s[6:7], s[6:7]
	v_mov_b32_e32 v12, s10
	s_xor_b64 exec, exec, s[6:7]
	s_cbranch_execnz .LBB14_3448
.LBB14_1398:
	s_or_b64 exec, exec, s[6:7]
	s_and_saveexec_b64 s[6:7], s[4:5]
	s_cbranch_execz .LBB14_1400
.LBB14_1399:
	v_bfe_u32 v11, v13, 16, 3
	v_ffbh_u32_e32 v15, v11
	v_min_u32_e32 v15, 32, v15
	v_lshrrev_b32_e32 v12, 19, v13
	v_subrev_u32_e32 v16, 28, v15
	v_and_b32_e32 v12, 15, v12
	v_lshlrev_b32_sdwa v16, v16, v13 dst_sel:DWORD dst_unused:UNUSED_PAD src0_sel:DWORD src1_sel:WORD_1
	v_bfe_u32 v14, v13, 19, 4
	v_sub_u32_e32 v15, 29, v15
	v_and_b32_e32 v16, 7, v16
	v_cmp_eq_u16_e32 vcc, 0, v12
	v_cndmask_b32_e32 v11, v11, v16, vcc
	v_cndmask_b32_e32 v12, v14, v15, vcc
	v_lshlrev_b32_e32 v14, 8, v13
	v_mov_b32_e32 v15, 0x3b800000
	v_lshlrev_b32_e32 v11, 20, v11
	v_and_b32_e32 v14, 0x80000000, v14
	v_lshl_add_u32 v12, v12, 23, v15
	v_or3_b32 v12, v14, v12, v11
.LBB14_1400:
	s_or_b64 exec, exec, s[6:7]
	s_nop 0
	v_mfma_f32_16x16x4f32 a[0:3], v10, v12, a[0:3]
	s_movk_i32 s4, 0x7f
	v_cmp_gt_i16_sdwa s[6:7], v17, s4 src0_sel:BYTE_3 src1_sel:DWORD
	s_mov_b64 s[4:5], 0
                                        ; implicit-def: $sgpr10
	s_and_saveexec_b64 s[8:9], s[6:7]
	s_xor_b64 s[6:7], exec, s[8:9]
	s_cbranch_execnz .LBB14_3449
; %bb.1401:
	s_or_saveexec_b64 s[6:7], s[6:7]
	v_mov_b32_e32 v10, s10
	s_xor_b64 exec, exec, s[6:7]
	s_cbranch_execnz .LBB14_3452
.LBB14_1402:
	s_or_b64 exec, exec, s[6:7]
	s_and_saveexec_b64 s[6:7], s[4:5]
	s_cbranch_execz .LBB14_1404
.LBB14_1403:
	v_bfe_u32 v10, v17, 24, 3
	v_ffbh_u32_e32 v15, v10
	v_min_u32_e32 v15, 32, v15
	v_lshrrev_b32_e32 v12, 27, v17
	v_subrev_u32_e32 v16, 28, v15
	v_and_b32_e32 v12, 15, v12
	v_lshlrev_b32_sdwa v16, v16, v17 dst_sel:DWORD dst_unused:UNUSED_PAD src0_sel:DWORD src1_sel:BYTE_3
	v_bfe_u32 v14, v17, 27, 4
	v_sub_u32_e32 v15, 29, v15
	v_and_b32_e32 v16, 7, v16
	v_cmp_eq_u16_e32 vcc, 0, v12
	v_cndmask_b32_e32 v10, v10, v16, vcc
	v_cndmask_b32_e32 v12, v14, v15, vcc
	v_mov_b32_e32 v14, 0x3b800000
	v_and_b32_e32 v11, 0x80000000, v17
	v_lshlrev_b32_e32 v10, 20, v10
	v_lshl_add_u32 v12, v12, 23, v14
	v_or3_b32 v10, v11, v12, v10
.LBB14_1404:
	s_or_b64 exec, exec, s[6:7]
	s_movk_i32 s4, 0x7f
	v_cmp_gt_i16_sdwa s[6:7], v13, s4 src0_sel:BYTE_3 src1_sel:DWORD
	s_mov_b64 s[4:5], 0
                                        ; implicit-def: $sgpr10
	s_and_saveexec_b64 s[8:9], s[6:7]
	s_xor_b64 s[6:7], exec, s[8:9]
	s_cbranch_execnz .LBB14_3453
; %bb.1405:
	s_or_saveexec_b64 s[6:7], s[6:7]
	v_mov_b32_e32 v11, s10
	s_xor_b64 exec, exec, s[6:7]
	s_cbranch_execnz .LBB14_3456
.LBB14_1406:
	s_or_b64 exec, exec, s[6:7]
	s_and_saveexec_b64 s[6:7], s[4:5]
	s_cbranch_execz .LBB14_1408
.LBB14_1407:
	v_bfe_u32 v11, v13, 24, 3
	v_ffbh_u32_e32 v16, v11
	v_min_u32_e32 v16, 32, v16
	v_lshrrev_b32_e32 v14, 27, v13
	v_subrev_u32_e32 v17, 28, v16
	v_and_b32_e32 v12, 0x80000000, v13
	v_and_b32_e32 v14, 15, v14
	v_bfe_u32 v15, v13, 27, 4
	v_lshlrev_b32_sdwa v13, v17, v13 dst_sel:DWORD dst_unused:UNUSED_PAD src0_sel:DWORD src1_sel:BYTE_3
	v_sub_u32_e32 v16, 29, v16
	v_and_b32_e32 v13, 7, v13
	v_cmp_eq_u16_e32 vcc, 0, v14
	v_cndmask_b32_e32 v11, v11, v13, vcc
	v_cndmask_b32_e32 v13, v15, v16, vcc
	v_mov_b32_e32 v14, 0x3b800000
	v_lshlrev_b32_e32 v11, 20, v11
	v_lshl_add_u32 v13, v13, 23, v14
	v_or3_b32 v11, v12, v13, v11
.LBB14_1408:
	s_or_b64 exec, exec, s[6:7]
	s_nop 0
	v_mfma_f32_16x16x4f32 a[0:3], v10, v11, a[0:3]
	s_movk_i32 s4, 0x7f
	v_cmp_gt_i16_sdwa s[6:7], v6, s4 src0_sel:BYTE_0 src1_sel:DWORD
	s_mov_b64 s[4:5], 0
                                        ; implicit-def: $sgpr10
	s_and_saveexec_b64 s[8:9], s[6:7]
	s_xor_b64 s[6:7], exec, s[8:9]
	s_cbranch_execnz .LBB14_3457
; %bb.1409:
	s_or_saveexec_b64 s[6:7], s[6:7]
	v_mov_b32_e32 v10, s10
	s_xor_b64 exec, exec, s[6:7]
	s_cbranch_execnz .LBB14_3460
.LBB14_1410:
	s_or_b64 exec, exec, s[6:7]
	s_and_saveexec_b64 s[6:7], s[4:5]
	s_cbranch_execz .LBB14_1412
.LBB14_1411:
	v_and_b32_e32 v10, 7, v6
	v_ffbh_u32_e32 v12, v10
	v_min_u32_e32 v12, 32, v12
	v_lshrrev_b16_e32 v11, 3, v6
	v_subrev_u32_e32 v13, 28, v12
	v_and_b32_e32 v11, 15, v11
	v_lshlrev_b32_e32 v13, v13, v6
	v_sub_u32_e32 v12, 29, v12
	v_and_b32_e32 v13, 7, v13
	v_cmp_eq_u16_e32 vcc, 0, v11
	v_cndmask_b32_e32 v10, v10, v13, vcc
	v_cndmask_b32_e32 v11, v11, v12, vcc
	v_lshlrev_b32_e32 v12, 24, v6
	v_mov_b32_e32 v13, 0x3b800000
	v_lshlrev_b32_e32 v10, 20, v10
	v_and_b32_e32 v12, 0x80000000, v12
	v_lshl_add_u32 v11, v11, 23, v13
	v_or3_b32 v10, v12, v11, v10
.LBB14_1412:
	s_or_b64 exec, exec, s[6:7]
	s_movk_i32 s4, 0x7f
	v_cmp_gt_i16_sdwa s[6:7], v2, s4 src0_sel:BYTE_0 src1_sel:DWORD
	s_mov_b64 s[4:5], 0
                                        ; implicit-def: $sgpr10
	s_and_saveexec_b64 s[8:9], s[6:7]
	s_xor_b64 s[6:7], exec, s[8:9]
	s_cbranch_execnz .LBB14_3461
; %bb.1413:
	s_or_saveexec_b64 s[6:7], s[6:7]
	v_mov_b32_e32 v11, s10
	s_xor_b64 exec, exec, s[6:7]
	s_cbranch_execnz .LBB14_3464
.LBB14_1414:
	s_or_b64 exec, exec, s[6:7]
	s_and_saveexec_b64 s[6:7], s[4:5]
	s_cbranch_execz .LBB14_1416
.LBB14_1415:
	v_and_b32_e32 v11, 7, v2
	v_ffbh_u32_e32 v13, v11
	v_min_u32_e32 v13, 32, v13
	v_lshrrev_b16_e32 v12, 3, v2
	v_subrev_u32_e32 v14, 28, v13
	v_and_b32_e32 v12, 15, v12
	v_lshlrev_b32_e32 v14, v14, v2
	v_sub_u32_e32 v13, 29, v13
	v_and_b32_e32 v14, 7, v14
	v_cmp_eq_u16_e32 vcc, 0, v12
	v_cndmask_b32_e32 v11, v11, v14, vcc
	v_cndmask_b32_e32 v12, v12, v13, vcc
	v_lshlrev_b32_e32 v13, 24, v2
	v_mov_b32_e32 v14, 0x3b800000
	v_lshlrev_b32_e32 v11, 20, v11
	v_and_b32_e32 v13, 0x80000000, v13
	v_lshl_add_u32 v12, v12, 23, v14
	v_or3_b32 v11, v13, v12, v11
.LBB14_1416:
	s_or_b64 exec, exec, s[6:7]
	s_nop 0
	v_mfma_f32_16x16x4f32 a[0:3], v10, v11, a[0:3]
	v_lshrrev_b32_e32 v11, 8, v6
	s_movk_i32 s4, 0x7f
	v_cmp_gt_i16_sdwa s[6:7], v11, s4 src0_sel:BYTE_0 src1_sel:DWORD
	s_mov_b64 s[4:5], 0
                                        ; implicit-def: $sgpr10
	s_and_saveexec_b64 s[8:9], s[6:7]
	s_xor_b64 s[6:7], exec, s[8:9]
	s_cbranch_execnz .LBB14_3465
; %bb.1417:
	s_or_saveexec_b64 s[6:7], s[6:7]
	v_mov_b32_e32 v10, s10
	s_xor_b64 exec, exec, s[6:7]
	s_cbranch_execnz .LBB14_3468
.LBB14_1418:
	s_or_b64 exec, exec, s[6:7]
	s_and_saveexec_b64 s[6:7], s[4:5]
	s_cbranch_execz .LBB14_1420
.LBB14_1419:
	v_bfe_u32 v10, v6, 8, 3
	v_ffbh_u32_e32 v13, v10
	v_min_u32_e32 v13, 32, v13
	v_lshrrev_b16_e32 v12, 3, v11
	v_subrev_u32_e32 v14, 28, v13
	v_and_b32_e32 v12, 15, v12
	v_lshlrev_b32_e32 v11, v14, v11
	v_sub_u32_e32 v13, 29, v13
	v_and_b32_e32 v11, 7, v11
	v_cmp_eq_u16_e32 vcc, 0, v12
	v_cndmask_b32_e32 v10, v10, v11, vcc
	v_cndmask_b32_e32 v11, v12, v13, vcc
	v_lshlrev_b32_e32 v12, 16, v6
	v_mov_b32_e32 v13, 0x3b800000
	v_lshlrev_b32_e32 v10, 20, v10
	v_and_b32_e32 v12, 0x80000000, v12
	v_lshl_add_u32 v11, v11, 23, v13
	v_or3_b32 v10, v12, v11, v10
.LBB14_1420:
	s_or_b64 exec, exec, s[6:7]
	v_lshrrev_b32_e32 v11, 8, v2
	s_movk_i32 s4, 0x7f
	v_cmp_gt_i16_sdwa s[6:7], v11, s4 src0_sel:BYTE_0 src1_sel:DWORD
	s_mov_b64 s[4:5], 0
                                        ; implicit-def: $sgpr10
	s_and_saveexec_b64 s[8:9], s[6:7]
	s_xor_b64 s[6:7], exec, s[8:9]
	s_cbranch_execnz .LBB14_3469
; %bb.1421:
	s_or_saveexec_b64 s[6:7], s[6:7]
	v_mov_b32_e32 v12, s10
	s_xor_b64 exec, exec, s[6:7]
	s_cbranch_execnz .LBB14_3472
.LBB14_1422:
	s_or_b64 exec, exec, s[6:7]
	s_and_saveexec_b64 s[6:7], s[4:5]
	s_cbranch_execz .LBB14_1424
.LBB14_1423:
	v_bfe_u32 v12, v2, 8, 3
	v_ffbh_u32_e32 v14, v12
	v_min_u32_e32 v14, 32, v14
	v_lshrrev_b16_e32 v13, 3, v11
	v_subrev_u32_e32 v15, 28, v14
	v_and_b32_e32 v13, 15, v13
	v_lshlrev_b32_e32 v11, v15, v11
	v_sub_u32_e32 v14, 29, v14
	v_and_b32_e32 v11, 7, v11
	v_cmp_eq_u16_e32 vcc, 0, v13
	v_cndmask_b32_e32 v11, v12, v11, vcc
	v_cndmask_b32_e32 v12, v13, v14, vcc
	v_lshlrev_b32_e32 v13, 16, v2
	v_mov_b32_e32 v14, 0x3b800000
	v_lshlrev_b32_e32 v11, 20, v11
	v_and_b32_e32 v13, 0x80000000, v13
	v_lshl_add_u32 v12, v12, 23, v14
	v_or3_b32 v12, v13, v12, v11
.LBB14_1424:
	s_or_b64 exec, exec, s[6:7]
	s_nop 0
	v_mfma_f32_16x16x4f32 a[0:3], v10, v12, a[0:3]
	s_movk_i32 s4, 0xff
	v_and_b32_sdwa v11, v6, s4 dst_sel:DWORD dst_unused:UNUSED_PAD src0_sel:WORD_1 src1_sel:DWORD
	s_movk_i32 s4, 0x7f
	v_cmp_lt_i16_e32 vcc, s4, v11
	s_mov_b64 s[4:5], 0
                                        ; implicit-def: $sgpr10
	s_and_saveexec_b64 s[6:7], vcc
	s_xor_b64 s[6:7], exec, s[6:7]
	s_cbranch_execnz .LBB14_3473
; %bb.1425:
	s_or_saveexec_b64 s[6:7], s[6:7]
	v_mov_b32_e32 v10, s10
	s_xor_b64 exec, exec, s[6:7]
	s_cbranch_execnz .LBB14_3476
.LBB14_1426:
	s_or_b64 exec, exec, s[6:7]
	s_and_saveexec_b64 s[6:7], s[4:5]
	s_cbranch_execz .LBB14_1428
.LBB14_1427:
	v_bfe_u32 v10, v6, 16, 3
	v_ffbh_u32_e32 v13, v10
	v_min_u32_e32 v13, 32, v13
	v_lshrrev_b32_e32 v11, 19, v6
	v_subrev_u32_e32 v14, 28, v13
	v_and_b32_e32 v11, 15, v11
	v_lshlrev_b32_sdwa v14, v14, v6 dst_sel:DWORD dst_unused:UNUSED_PAD src0_sel:DWORD src1_sel:WORD_1
	v_bfe_u32 v12, v6, 19, 4
	v_sub_u32_e32 v13, 29, v13
	v_and_b32_e32 v14, 7, v14
	v_cmp_eq_u16_e32 vcc, 0, v11
	v_cndmask_b32_e32 v10, v10, v14, vcc
	v_cndmask_b32_e32 v11, v12, v13, vcc
	v_lshlrev_b32_e32 v12, 8, v6
	v_mov_b32_e32 v13, 0x3b800000
	v_lshlrev_b32_e32 v10, 20, v10
	v_and_b32_e32 v12, 0x80000000, v12
	v_lshl_add_u32 v11, v11, 23, v13
	v_or3_b32 v10, v12, v11, v10
.LBB14_1428:
	s_or_b64 exec, exec, s[6:7]
	s_movk_i32 s4, 0xff
	v_and_b32_sdwa v11, v2, s4 dst_sel:DWORD dst_unused:UNUSED_PAD src0_sel:WORD_1 src1_sel:DWORD
	s_movk_i32 s4, 0x7f
	v_cmp_lt_i16_e32 vcc, s4, v11
	s_mov_b64 s[4:5], 0
                                        ; implicit-def: $sgpr10
	s_and_saveexec_b64 s[6:7], vcc
	s_xor_b64 s[6:7], exec, s[6:7]
	s_cbranch_execnz .LBB14_3477
; %bb.1429:
	s_or_saveexec_b64 s[6:7], s[6:7]
	v_mov_b32_e32 v12, s10
	s_xor_b64 exec, exec, s[6:7]
	s_cbranch_execnz .LBB14_3480
.LBB14_1430:
	s_or_b64 exec, exec, s[6:7]
	s_and_saveexec_b64 s[6:7], s[4:5]
	s_cbranch_execz .LBB14_1432
.LBB14_1431:
	v_bfe_u32 v11, v2, 16, 3
	v_ffbh_u32_e32 v14, v11
	v_min_u32_e32 v14, 32, v14
	v_lshrrev_b32_e32 v12, 19, v2
	v_subrev_u32_e32 v15, 28, v14
	v_and_b32_e32 v12, 15, v12
	v_lshlrev_b32_sdwa v15, v15, v2 dst_sel:DWORD dst_unused:UNUSED_PAD src0_sel:DWORD src1_sel:WORD_1
	v_bfe_u32 v13, v2, 19, 4
	v_sub_u32_e32 v14, 29, v14
	v_and_b32_e32 v15, 7, v15
	v_cmp_eq_u16_e32 vcc, 0, v12
	v_cndmask_b32_e32 v11, v11, v15, vcc
	v_cndmask_b32_e32 v12, v13, v14, vcc
	v_lshlrev_b32_e32 v13, 8, v2
	v_mov_b32_e32 v14, 0x3b800000
	v_lshlrev_b32_e32 v11, 20, v11
	v_and_b32_e32 v13, 0x80000000, v13
	v_lshl_add_u32 v12, v12, 23, v14
	v_or3_b32 v12, v13, v12, v11
.LBB14_1432:
	s_or_b64 exec, exec, s[6:7]
	s_nop 0
	v_mfma_f32_16x16x4f32 a[0:3], v10, v12, a[0:3]
	s_movk_i32 s4, 0x7f
	v_cmp_gt_i16_sdwa s[6:7], v6, s4 src0_sel:BYTE_3 src1_sel:DWORD
	s_mov_b64 s[4:5], 0
                                        ; implicit-def: $sgpr10
	s_and_saveexec_b64 s[8:9], s[6:7]
	s_xor_b64 s[6:7], exec, s[8:9]
	s_cbranch_execnz .LBB14_3481
; %bb.1433:
	s_or_saveexec_b64 s[6:7], s[6:7]
	v_mov_b32_e32 v10, s10
	s_xor_b64 exec, exec, s[6:7]
	s_cbranch_execnz .LBB14_3484
.LBB14_1434:
	s_or_b64 exec, exec, s[6:7]
	s_and_saveexec_b64 s[6:7], s[4:5]
	s_cbranch_execz .LBB14_1436
.LBB14_1435:
	v_bfe_u32 v10, v6, 24, 3
	v_ffbh_u32_e32 v14, v10
	v_min_u32_e32 v14, 32, v14
	v_lshrrev_b32_e32 v12, 27, v6
	v_subrev_u32_e32 v15, 28, v14
	v_and_b32_e32 v11, 0x80000000, v6
	v_and_b32_e32 v12, 15, v12
	v_bfe_u32 v13, v6, 27, 4
	v_lshlrev_b32_sdwa v6, v15, v6 dst_sel:DWORD dst_unused:UNUSED_PAD src0_sel:DWORD src1_sel:BYTE_3
	v_sub_u32_e32 v14, 29, v14
	v_and_b32_e32 v6, 7, v6
	v_cmp_eq_u16_e32 vcc, 0, v12
	v_cndmask_b32_e32 v6, v10, v6, vcc
	v_cndmask_b32_e32 v10, v13, v14, vcc
	v_mov_b32_e32 v12, 0x3b800000
	v_lshlrev_b32_e32 v6, 20, v6
	v_lshl_add_u32 v10, v10, 23, v12
	v_or3_b32 v10, v11, v10, v6
.LBB14_1436:
	s_or_b64 exec, exec, s[6:7]
	s_movk_i32 s4, 0x7f
	v_cmp_gt_i16_sdwa s[6:7], v2, s4 src0_sel:BYTE_3 src1_sel:DWORD
	s_mov_b64 s[4:5], 0
                                        ; implicit-def: $sgpr10
	s_and_saveexec_b64 s[8:9], s[6:7]
	s_xor_b64 s[6:7], exec, s[8:9]
	s_cbranch_execnz .LBB14_3485
; %bb.1437:
	s_or_saveexec_b64 s[6:7], s[6:7]
	v_mov_b32_e32 v6, s10
	s_xor_b64 exec, exec, s[6:7]
	s_cbranch_execnz .LBB14_3488
.LBB14_1438:
	s_or_b64 exec, exec, s[6:7]
	s_and_saveexec_b64 s[6:7], s[4:5]
	s_cbranch_execz .LBB14_1440
.LBB14_1439:
	v_bfe_u32 v6, v2, 24, 3
	v_ffbh_u32_e32 v14, v6
	v_min_u32_e32 v14, 32, v14
	v_lshrrev_b32_e32 v12, 27, v2
	v_subrev_u32_e32 v15, 28, v14
	v_and_b32_e32 v11, 0x80000000, v2
	v_and_b32_e32 v12, 15, v12
	v_bfe_u32 v13, v2, 27, 4
	v_lshlrev_b32_sdwa v2, v15, v2 dst_sel:DWORD dst_unused:UNUSED_PAD src0_sel:DWORD src1_sel:BYTE_3
	v_sub_u32_e32 v14, 29, v14
	v_and_b32_e32 v2, 7, v2
	v_cmp_eq_u16_e32 vcc, 0, v12
	v_cndmask_b32_e32 v2, v6, v2, vcc
	v_cndmask_b32_e32 v6, v13, v14, vcc
	v_mov_b32_e32 v12, 0x3b800000
	v_lshlrev_b32_e32 v2, 20, v2
	v_lshl_add_u32 v6, v6, 23, v12
	v_or3_b32 v6, v11, v6, v2
.LBB14_1440:
	s_or_b64 exec, exec, s[6:7]
	s_nop 0
	v_mfma_f32_16x16x4f32 a[0:3], v10, v6, a[0:3]
	s_movk_i32 s4, 0x7f
	v_cmp_gt_i16_sdwa s[6:7], v7, s4 src0_sel:BYTE_0 src1_sel:DWORD
	s_mov_b64 s[4:5], 0
                                        ; implicit-def: $sgpr10
	s_and_saveexec_b64 s[8:9], s[6:7]
	s_xor_b64 s[6:7], exec, s[8:9]
	s_cbranch_execnz .LBB14_3489
; %bb.1441:
	s_or_saveexec_b64 s[6:7], s[6:7]
	v_mov_b32_e32 v2, s10
	s_xor_b64 exec, exec, s[6:7]
	s_cbranch_execnz .LBB14_3492
.LBB14_1442:
	s_or_b64 exec, exec, s[6:7]
	s_and_saveexec_b64 s[6:7], s[4:5]
	s_cbranch_execz .LBB14_1444
.LBB14_1443:
	v_and_b32_e32 v2, 7, v7
	v_ffbh_u32_e32 v10, v2
	v_min_u32_e32 v10, 32, v10
	v_lshrrev_b16_e32 v6, 3, v7
	v_subrev_u32_e32 v11, 28, v10
	v_and_b32_e32 v6, 15, v6
	v_lshlrev_b32_e32 v11, v11, v7
	v_sub_u32_e32 v10, 29, v10
	v_and_b32_e32 v11, 7, v11
	v_cmp_eq_u16_e32 vcc, 0, v6
	v_cndmask_b32_e32 v2, v2, v11, vcc
	v_cndmask_b32_e32 v6, v6, v10, vcc
	v_lshlrev_b32_e32 v10, 24, v7
	v_mov_b32_e32 v11, 0x3b800000
	v_lshlrev_b32_e32 v2, 20, v2
	v_and_b32_e32 v10, 0x80000000, v10
	v_lshl_add_u32 v6, v6, 23, v11
	v_or3_b32 v2, v10, v6, v2
.LBB14_1444:
	s_or_b64 exec, exec, s[6:7]
	s_movk_i32 s4, 0x7f
	v_cmp_gt_i16_sdwa s[6:7], v3, s4 src0_sel:BYTE_0 src1_sel:DWORD
	s_mov_b64 s[4:5], 0
                                        ; implicit-def: $sgpr10
	s_and_saveexec_b64 s[8:9], s[6:7]
	s_xor_b64 s[6:7], exec, s[8:9]
	s_cbranch_execnz .LBB14_3493
; %bb.1445:
	s_or_saveexec_b64 s[6:7], s[6:7]
	v_mov_b32_e32 v6, s10
	s_xor_b64 exec, exec, s[6:7]
	s_cbranch_execnz .LBB14_3496
.LBB14_1446:
	s_or_b64 exec, exec, s[6:7]
	s_and_saveexec_b64 s[6:7], s[4:5]
	s_cbranch_execz .LBB14_1448
.LBB14_1447:
	v_and_b32_e32 v6, 7, v3
	v_ffbh_u32_e32 v11, v6
	v_min_u32_e32 v11, 32, v11
	v_lshrrev_b16_e32 v10, 3, v3
	v_subrev_u32_e32 v12, 28, v11
	v_and_b32_e32 v10, 15, v10
	v_lshlrev_b32_e32 v12, v12, v3
	v_sub_u32_e32 v11, 29, v11
	v_and_b32_e32 v12, 7, v12
	v_cmp_eq_u16_e32 vcc, 0, v10
	v_cndmask_b32_e32 v6, v6, v12, vcc
	v_cndmask_b32_e32 v10, v10, v11, vcc
	v_lshlrev_b32_e32 v11, 24, v3
	v_mov_b32_e32 v12, 0x3b800000
	v_lshlrev_b32_e32 v6, 20, v6
	v_and_b32_e32 v11, 0x80000000, v11
	v_lshl_add_u32 v10, v10, 23, v12
	v_or3_b32 v6, v11, v10, v6
.LBB14_1448:
	s_or_b64 exec, exec, s[6:7]
	s_nop 0
	v_mfma_f32_16x16x4f32 a[0:3], v2, v6, a[0:3]
	v_lshrrev_b32_e32 v6, 8, v7
	s_movk_i32 s4, 0x7f
	v_cmp_gt_i16_sdwa s[6:7], v6, s4 src0_sel:BYTE_0 src1_sel:DWORD
	s_mov_b64 s[4:5], 0
                                        ; implicit-def: $sgpr10
	s_and_saveexec_b64 s[8:9], s[6:7]
	s_xor_b64 s[6:7], exec, s[8:9]
	s_cbranch_execnz .LBB14_3497
; %bb.1449:
	s_or_saveexec_b64 s[6:7], s[6:7]
	v_mov_b32_e32 v2, s10
	s_xor_b64 exec, exec, s[6:7]
	s_cbranch_execnz .LBB14_3500
.LBB14_1450:
	s_or_b64 exec, exec, s[6:7]
	s_and_saveexec_b64 s[6:7], s[4:5]
	s_cbranch_execz .LBB14_1452
.LBB14_1451:
	v_bfe_u32 v2, v7, 8, 3
	v_ffbh_u32_e32 v11, v2
	v_min_u32_e32 v11, 32, v11
	v_lshrrev_b16_e32 v10, 3, v6
	v_subrev_u32_e32 v12, 28, v11
	v_and_b32_e32 v10, 15, v10
	v_lshlrev_b32_e32 v6, v12, v6
	v_sub_u32_e32 v11, 29, v11
	v_and_b32_e32 v6, 7, v6
	v_cmp_eq_u16_e32 vcc, 0, v10
	v_cndmask_b32_e32 v2, v2, v6, vcc
	v_cndmask_b32_e32 v6, v10, v11, vcc
	v_lshlrev_b32_e32 v10, 16, v7
	v_mov_b32_e32 v11, 0x3b800000
	v_lshlrev_b32_e32 v2, 20, v2
	v_and_b32_e32 v10, 0x80000000, v10
	v_lshl_add_u32 v6, v6, 23, v11
	v_or3_b32 v2, v10, v6, v2
.LBB14_1452:
	s_or_b64 exec, exec, s[6:7]
	v_lshrrev_b32_e32 v6, 8, v3
	s_movk_i32 s4, 0x7f
	v_cmp_gt_i16_sdwa s[6:7], v6, s4 src0_sel:BYTE_0 src1_sel:DWORD
	s_mov_b64 s[4:5], 0
                                        ; implicit-def: $sgpr10
	s_and_saveexec_b64 s[8:9], s[6:7]
	s_xor_b64 s[6:7], exec, s[8:9]
	s_cbranch_execnz .LBB14_3501
; %bb.1453:
	s_or_saveexec_b64 s[6:7], s[6:7]
	v_mov_b32_e32 v10, s10
	s_xor_b64 exec, exec, s[6:7]
	s_cbranch_execnz .LBB14_3504
.LBB14_1454:
	s_or_b64 exec, exec, s[6:7]
	s_and_saveexec_b64 s[6:7], s[4:5]
	s_cbranch_execz .LBB14_1456
.LBB14_1455:
	v_bfe_u32 v10, v3, 8, 3
	v_ffbh_u32_e32 v12, v10
	v_min_u32_e32 v12, 32, v12
	v_lshrrev_b16_e32 v11, 3, v6
	v_subrev_u32_e32 v13, 28, v12
	v_and_b32_e32 v11, 15, v11
	v_lshlrev_b32_e32 v6, v13, v6
	v_sub_u32_e32 v12, 29, v12
	v_and_b32_e32 v6, 7, v6
	v_cmp_eq_u16_e32 vcc, 0, v11
	v_cndmask_b32_e32 v6, v10, v6, vcc
	v_cndmask_b32_e32 v10, v11, v12, vcc
	v_lshlrev_b32_e32 v11, 16, v3
	v_mov_b32_e32 v12, 0x3b800000
	v_lshlrev_b32_e32 v6, 20, v6
	v_and_b32_e32 v11, 0x80000000, v11
	v_lshl_add_u32 v10, v10, 23, v12
	v_or3_b32 v10, v11, v10, v6
.LBB14_1456:
	s_or_b64 exec, exec, s[6:7]
	s_nop 0
	v_mfma_f32_16x16x4f32 a[0:3], v2, v10, a[0:3]
	s_movk_i32 s4, 0xff
	v_and_b32_sdwa v6, v7, s4 dst_sel:DWORD dst_unused:UNUSED_PAD src0_sel:WORD_1 src1_sel:DWORD
	s_movk_i32 s4, 0x7f
	v_cmp_lt_i16_e32 vcc, s4, v6
	s_mov_b64 s[4:5], 0
                                        ; implicit-def: $sgpr10
	s_and_saveexec_b64 s[6:7], vcc
	s_xor_b64 s[6:7], exec, s[6:7]
	s_cbranch_execnz .LBB14_3505
; %bb.1457:
	s_or_saveexec_b64 s[6:7], s[6:7]
	v_mov_b32_e32 v2, s10
	s_xor_b64 exec, exec, s[6:7]
	s_cbranch_execnz .LBB14_3508
.LBB14_1458:
	s_or_b64 exec, exec, s[6:7]
	s_and_saveexec_b64 s[6:7], s[4:5]
	s_cbranch_execz .LBB14_1460
.LBB14_1459:
	v_bfe_u32 v2, v7, 16, 3
	v_ffbh_u32_e32 v11, v2
	v_min_u32_e32 v11, 32, v11
	v_lshrrev_b32_e32 v6, 19, v7
	v_subrev_u32_e32 v12, 28, v11
	v_and_b32_e32 v6, 15, v6
	v_lshlrev_b32_sdwa v12, v12, v7 dst_sel:DWORD dst_unused:UNUSED_PAD src0_sel:DWORD src1_sel:WORD_1
	v_bfe_u32 v10, v7, 19, 4
	v_sub_u32_e32 v11, 29, v11
	v_and_b32_e32 v12, 7, v12
	v_cmp_eq_u16_e32 vcc, 0, v6
	v_cndmask_b32_e32 v2, v2, v12, vcc
	v_cndmask_b32_e32 v6, v10, v11, vcc
	v_lshlrev_b32_e32 v10, 8, v7
	v_mov_b32_e32 v11, 0x3b800000
	v_lshlrev_b32_e32 v2, 20, v2
	v_and_b32_e32 v10, 0x80000000, v10
	v_lshl_add_u32 v6, v6, 23, v11
	v_or3_b32 v2, v10, v6, v2
.LBB14_1460:
	s_or_b64 exec, exec, s[6:7]
	s_movk_i32 s4, 0xff
	v_and_b32_sdwa v6, v3, s4 dst_sel:DWORD dst_unused:UNUSED_PAD src0_sel:WORD_1 src1_sel:DWORD
	s_movk_i32 s4, 0x7f
	v_cmp_lt_i16_e32 vcc, s4, v6
	s_mov_b64 s[4:5], 0
                                        ; implicit-def: $sgpr10
	s_and_saveexec_b64 s[6:7], vcc
	s_xor_b64 s[6:7], exec, s[6:7]
	s_cbranch_execnz .LBB14_3509
; %bb.1461:
	s_or_saveexec_b64 s[6:7], s[6:7]
	v_mov_b32_e32 v10, s10
	s_xor_b64 exec, exec, s[6:7]
	s_cbranch_execnz .LBB14_3512
.LBB14_1462:
	s_or_b64 exec, exec, s[6:7]
	s_and_saveexec_b64 s[6:7], s[4:5]
	s_cbranch_execz .LBB14_1464
.LBB14_1463:
	v_bfe_u32 v6, v3, 16, 3
	v_ffbh_u32_e32 v12, v6
	v_min_u32_e32 v12, 32, v12
	v_lshrrev_b32_e32 v10, 19, v3
	v_subrev_u32_e32 v13, 28, v12
	v_and_b32_e32 v10, 15, v10
	v_lshlrev_b32_sdwa v13, v13, v3 dst_sel:DWORD dst_unused:UNUSED_PAD src0_sel:DWORD src1_sel:WORD_1
	v_bfe_u32 v11, v3, 19, 4
	v_sub_u32_e32 v12, 29, v12
	v_and_b32_e32 v13, 7, v13
	v_cmp_eq_u16_e32 vcc, 0, v10
	v_cndmask_b32_e32 v6, v6, v13, vcc
	v_cndmask_b32_e32 v10, v11, v12, vcc
	v_lshlrev_b32_e32 v11, 8, v3
	v_mov_b32_e32 v12, 0x3b800000
	v_lshlrev_b32_e32 v6, 20, v6
	v_and_b32_e32 v11, 0x80000000, v11
	v_lshl_add_u32 v10, v10, 23, v12
	v_or3_b32 v10, v11, v10, v6
.LBB14_1464:
	s_or_b64 exec, exec, s[6:7]
	s_nop 0
	v_mfma_f32_16x16x4f32 a[0:3], v2, v10, a[0:3]
	s_movk_i32 s4, 0x7f
	v_cmp_gt_i16_sdwa s[6:7], v7, s4 src0_sel:BYTE_3 src1_sel:DWORD
	s_mov_b64 s[4:5], 0
                                        ; implicit-def: $sgpr10
	s_and_saveexec_b64 s[8:9], s[6:7]
	s_xor_b64 s[6:7], exec, s[8:9]
	s_cbranch_execnz .LBB14_3513
; %bb.1465:
	s_or_saveexec_b64 s[6:7], s[6:7]
	v_mov_b32_e32 v2, s10
	s_xor_b64 exec, exec, s[6:7]
	s_cbranch_execnz .LBB14_3516
.LBB14_1466:
	s_or_b64 exec, exec, s[6:7]
	s_and_saveexec_b64 s[6:7], s[4:5]
	s_cbranch_execz .LBB14_1468
.LBB14_1467:
	v_bfe_u32 v2, v7, 24, 3
	v_ffbh_u32_e32 v12, v2
	v_min_u32_e32 v12, 32, v12
	v_lshrrev_b32_e32 v10, 27, v7
	v_subrev_u32_e32 v13, 28, v12
	v_and_b32_e32 v6, 0x80000000, v7
	v_and_b32_e32 v10, 15, v10
	v_bfe_u32 v11, v7, 27, 4
	v_lshlrev_b32_sdwa v7, v13, v7 dst_sel:DWORD dst_unused:UNUSED_PAD src0_sel:DWORD src1_sel:BYTE_3
	v_sub_u32_e32 v12, 29, v12
	v_and_b32_e32 v7, 7, v7
	v_cmp_eq_u16_e32 vcc, 0, v10
	v_cndmask_b32_e32 v2, v2, v7, vcc
	v_cndmask_b32_e32 v7, v11, v12, vcc
	v_mov_b32_e32 v10, 0x3b800000
	v_lshlrev_b32_e32 v2, 20, v2
	v_lshl_add_u32 v7, v7, 23, v10
	v_or3_b32 v2, v6, v7, v2
.LBB14_1468:
	s_or_b64 exec, exec, s[6:7]
	s_movk_i32 s4, 0x7f
	v_cmp_gt_i16_sdwa s[6:7], v3, s4 src0_sel:BYTE_3 src1_sel:DWORD
	s_mov_b64 s[4:5], 0
                                        ; implicit-def: $sgpr10
	s_and_saveexec_b64 s[8:9], s[6:7]
	s_xor_b64 s[6:7], exec, s[8:9]
	s_cbranch_execnz .LBB14_3517
; %bb.1469:
	s_or_saveexec_b64 s[6:7], s[6:7]
	v_mov_b32_e32 v6, s10
	s_xor_b64 exec, exec, s[6:7]
	s_cbranch_execnz .LBB14_3520
.LBB14_1470:
	s_or_b64 exec, exec, s[6:7]
	s_and_saveexec_b64 s[6:7], s[4:5]
	s_cbranch_execz .LBB14_1472
.LBB14_1471:
	v_bfe_u32 v6, v3, 24, 3
	v_ffbh_u32_e32 v12, v6
	v_min_u32_e32 v12, 32, v12
	v_lshrrev_b32_e32 v10, 27, v3
	v_subrev_u32_e32 v13, 28, v12
	v_and_b32_e32 v7, 0x80000000, v3
	v_and_b32_e32 v10, 15, v10
	v_bfe_u32 v11, v3, 27, 4
	v_lshlrev_b32_sdwa v3, v13, v3 dst_sel:DWORD dst_unused:UNUSED_PAD src0_sel:DWORD src1_sel:BYTE_3
	v_sub_u32_e32 v12, 29, v12
	v_and_b32_e32 v3, 7, v3
	v_cmp_eq_u16_e32 vcc, 0, v10
	v_cndmask_b32_e32 v3, v6, v3, vcc
	v_cndmask_b32_e32 v6, v11, v12, vcc
	v_mov_b32_e32 v10, 0x3b800000
	v_lshlrev_b32_e32 v3, 20, v3
	v_lshl_add_u32 v6, v6, 23, v10
	v_or3_b32 v6, v7, v6, v3
.LBB14_1472:
	s_or_b64 exec, exec, s[6:7]
	s_nop 0
	v_mfma_f32_16x16x4f32 a[0:3], v2, v6, a[0:3]
	s_movk_i32 s4, 0x7f
	v_cmp_gt_i16_sdwa s[6:7], v8, s4 src0_sel:BYTE_0 src1_sel:DWORD
	s_mov_b64 s[4:5], 0
                                        ; implicit-def: $sgpr10
	s_and_saveexec_b64 s[8:9], s[6:7]
	s_xor_b64 s[6:7], exec, s[8:9]
	s_cbranch_execnz .LBB14_3521
; %bb.1473:
	s_or_saveexec_b64 s[6:7], s[6:7]
	v_mov_b32_e32 v2, s10
	s_xor_b64 exec, exec, s[6:7]
	s_cbranch_execnz .LBB14_3524
.LBB14_1474:
	s_or_b64 exec, exec, s[6:7]
	s_and_saveexec_b64 s[6:7], s[4:5]
	s_cbranch_execz .LBB14_1476
.LBB14_1475:
	v_and_b32_e32 v2, 7, v8
	v_ffbh_u32_e32 v6, v2
	v_min_u32_e32 v6, 32, v6
	v_lshrrev_b16_e32 v3, 3, v8
	v_subrev_u32_e32 v7, 28, v6
	v_and_b32_e32 v3, 15, v3
	v_lshlrev_b32_e32 v7, v7, v8
	v_sub_u32_e32 v6, 29, v6
	v_and_b32_e32 v7, 7, v7
	v_cmp_eq_u16_e32 vcc, 0, v3
	v_cndmask_b32_e32 v2, v2, v7, vcc
	v_cndmask_b32_e32 v3, v3, v6, vcc
	v_lshlrev_b32_e32 v6, 24, v8
	v_mov_b32_e32 v7, 0x3b800000
	v_lshlrev_b32_e32 v2, 20, v2
	v_and_b32_e32 v6, 0x80000000, v6
	v_lshl_add_u32 v3, v3, 23, v7
	v_or3_b32 v2, v6, v3, v2
.LBB14_1476:
	s_or_b64 exec, exec, s[6:7]
	s_movk_i32 s4, 0x7f
	v_cmp_gt_i16_sdwa s[6:7], v4, s4 src0_sel:BYTE_0 src1_sel:DWORD
	s_mov_b64 s[4:5], 0
                                        ; implicit-def: $sgpr10
	s_and_saveexec_b64 s[8:9], s[6:7]
	s_xor_b64 s[6:7], exec, s[8:9]
	s_cbranch_execnz .LBB14_3525
; %bb.1477:
	s_or_saveexec_b64 s[6:7], s[6:7]
	v_mov_b32_e32 v3, s10
	s_xor_b64 exec, exec, s[6:7]
	s_cbranch_execnz .LBB14_3528
.LBB14_1478:
	s_or_b64 exec, exec, s[6:7]
	s_and_saveexec_b64 s[6:7], s[4:5]
	s_cbranch_execz .LBB14_1480
.LBB14_1479:
	v_and_b32_e32 v3, 7, v4
	v_ffbh_u32_e32 v7, v3
	v_min_u32_e32 v7, 32, v7
	v_lshrrev_b16_e32 v6, 3, v4
	v_subrev_u32_e32 v10, 28, v7
	v_and_b32_e32 v6, 15, v6
	v_lshlrev_b32_e32 v10, v10, v4
	v_sub_u32_e32 v7, 29, v7
	v_and_b32_e32 v10, 7, v10
	v_cmp_eq_u16_e32 vcc, 0, v6
	v_cndmask_b32_e32 v3, v3, v10, vcc
	v_cndmask_b32_e32 v6, v6, v7, vcc
	v_lshlrev_b32_e32 v7, 24, v4
	v_mov_b32_e32 v10, 0x3b800000
	v_lshlrev_b32_e32 v3, 20, v3
	v_and_b32_e32 v7, 0x80000000, v7
	v_lshl_add_u32 v6, v6, 23, v10
	v_or3_b32 v3, v7, v6, v3
.LBB14_1480:
	s_or_b64 exec, exec, s[6:7]
	s_nop 0
	v_mfma_f32_16x16x4f32 a[0:3], v2, v3, a[0:3]
	v_lshrrev_b32_e32 v3, 8, v8
	s_movk_i32 s4, 0x7f
	v_cmp_gt_i16_sdwa s[6:7], v3, s4 src0_sel:BYTE_0 src1_sel:DWORD
	s_mov_b64 s[4:5], 0
                                        ; implicit-def: $sgpr10
	s_and_saveexec_b64 s[8:9], s[6:7]
	s_xor_b64 s[6:7], exec, s[8:9]
	s_cbranch_execnz .LBB14_3529
; %bb.1481:
	s_or_saveexec_b64 s[6:7], s[6:7]
	v_mov_b32_e32 v2, s10
	s_xor_b64 exec, exec, s[6:7]
	s_cbranch_execnz .LBB14_3532
.LBB14_1482:
	s_or_b64 exec, exec, s[6:7]
	s_and_saveexec_b64 s[6:7], s[4:5]
	s_cbranch_execz .LBB14_1484
.LBB14_1483:
	v_bfe_u32 v2, v8, 8, 3
	v_ffbh_u32_e32 v7, v2
	v_min_u32_e32 v7, 32, v7
	v_lshrrev_b16_e32 v6, 3, v3
	v_subrev_u32_e32 v10, 28, v7
	v_and_b32_e32 v6, 15, v6
	v_lshlrev_b32_e32 v3, v10, v3
	v_sub_u32_e32 v7, 29, v7
	v_and_b32_e32 v3, 7, v3
	v_cmp_eq_u16_e32 vcc, 0, v6
	v_cndmask_b32_e32 v2, v2, v3, vcc
	v_cndmask_b32_e32 v3, v6, v7, vcc
	v_lshlrev_b32_e32 v6, 16, v8
	v_mov_b32_e32 v7, 0x3b800000
	v_lshlrev_b32_e32 v2, 20, v2
	v_and_b32_e32 v6, 0x80000000, v6
	v_lshl_add_u32 v3, v3, 23, v7
	v_or3_b32 v2, v6, v3, v2
.LBB14_1484:
	s_or_b64 exec, exec, s[6:7]
	v_lshrrev_b32_e32 v3, 8, v4
	s_movk_i32 s4, 0x7f
	v_cmp_gt_i16_sdwa s[6:7], v3, s4 src0_sel:BYTE_0 src1_sel:DWORD
	s_mov_b64 s[4:5], 0
                                        ; implicit-def: $sgpr10
	s_and_saveexec_b64 s[8:9], s[6:7]
	s_xor_b64 s[6:7], exec, s[8:9]
	s_cbranch_execnz .LBB14_3533
; %bb.1485:
	s_or_saveexec_b64 s[6:7], s[6:7]
	v_mov_b32_e32 v6, s10
	s_xor_b64 exec, exec, s[6:7]
	s_cbranch_execnz .LBB14_3536
.LBB14_1486:
	s_or_b64 exec, exec, s[6:7]
	s_and_saveexec_b64 s[6:7], s[4:5]
	s_cbranch_execz .LBB14_1488
.LBB14_1487:
	v_bfe_u32 v6, v4, 8, 3
	v_ffbh_u32_e32 v10, v6
	v_min_u32_e32 v10, 32, v10
	v_lshrrev_b16_e32 v7, 3, v3
	v_subrev_u32_e32 v11, 28, v10
	v_and_b32_e32 v7, 15, v7
	v_lshlrev_b32_e32 v3, v11, v3
	v_sub_u32_e32 v10, 29, v10
	v_and_b32_e32 v3, 7, v3
	v_cmp_eq_u16_e32 vcc, 0, v7
	v_cndmask_b32_e32 v3, v6, v3, vcc
	v_cndmask_b32_e32 v6, v7, v10, vcc
	v_lshlrev_b32_e32 v7, 16, v4
	v_mov_b32_e32 v10, 0x3b800000
	v_lshlrev_b32_e32 v3, 20, v3
	v_and_b32_e32 v7, 0x80000000, v7
	v_lshl_add_u32 v6, v6, 23, v10
	v_or3_b32 v6, v7, v6, v3
.LBB14_1488:
	s_or_b64 exec, exec, s[6:7]
	s_nop 0
	v_mfma_f32_16x16x4f32 a[0:3], v2, v6, a[0:3]
	s_movk_i32 s4, 0xff
	v_and_b32_sdwa v3, v8, s4 dst_sel:DWORD dst_unused:UNUSED_PAD src0_sel:WORD_1 src1_sel:DWORD
	s_movk_i32 s4, 0x7f
	v_cmp_lt_i16_e32 vcc, s4, v3
	s_mov_b64 s[4:5], 0
                                        ; implicit-def: $sgpr10
	s_and_saveexec_b64 s[6:7], vcc
	s_xor_b64 s[6:7], exec, s[6:7]
	s_cbranch_execnz .LBB14_3537
; %bb.1489:
	s_or_saveexec_b64 s[6:7], s[6:7]
	v_mov_b32_e32 v2, s10
	s_xor_b64 exec, exec, s[6:7]
	s_cbranch_execnz .LBB14_3540
.LBB14_1490:
	s_or_b64 exec, exec, s[6:7]
	s_and_saveexec_b64 s[6:7], s[4:5]
	s_cbranch_execz .LBB14_1492
.LBB14_1491:
	v_bfe_u32 v2, v8, 16, 3
	v_ffbh_u32_e32 v7, v2
	v_min_u32_e32 v7, 32, v7
	v_lshrrev_b32_e32 v3, 19, v8
	v_subrev_u32_e32 v10, 28, v7
	v_and_b32_e32 v3, 15, v3
	v_lshlrev_b32_sdwa v10, v10, v8 dst_sel:DWORD dst_unused:UNUSED_PAD src0_sel:DWORD src1_sel:WORD_1
	v_bfe_u32 v6, v8, 19, 4
	v_sub_u32_e32 v7, 29, v7
	v_and_b32_e32 v10, 7, v10
	v_cmp_eq_u16_e32 vcc, 0, v3
	v_cndmask_b32_e32 v2, v2, v10, vcc
	v_cndmask_b32_e32 v3, v6, v7, vcc
	v_lshlrev_b32_e32 v6, 8, v8
	v_mov_b32_e32 v7, 0x3b800000
	v_lshlrev_b32_e32 v2, 20, v2
	v_and_b32_e32 v6, 0x80000000, v6
	v_lshl_add_u32 v3, v3, 23, v7
	v_or3_b32 v2, v6, v3, v2
.LBB14_1492:
	s_or_b64 exec, exec, s[6:7]
	s_movk_i32 s4, 0xff
	v_and_b32_sdwa v3, v4, s4 dst_sel:DWORD dst_unused:UNUSED_PAD src0_sel:WORD_1 src1_sel:DWORD
	s_movk_i32 s4, 0x7f
	v_cmp_lt_i16_e32 vcc, s4, v3
	s_mov_b64 s[4:5], 0
                                        ; implicit-def: $sgpr10
	s_and_saveexec_b64 s[6:7], vcc
	s_xor_b64 s[6:7], exec, s[6:7]
	s_cbranch_execnz .LBB14_3541
; %bb.1493:
	s_or_saveexec_b64 s[6:7], s[6:7]
	v_mov_b32_e32 v6, s10
	s_xor_b64 exec, exec, s[6:7]
	s_cbranch_execnz .LBB14_3544
.LBB14_1494:
	s_or_b64 exec, exec, s[6:7]
	s_and_saveexec_b64 s[6:7], s[4:5]
	s_cbranch_execz .LBB14_1496
.LBB14_1495:
	v_bfe_u32 v3, v4, 16, 3
	v_ffbh_u32_e32 v10, v3
	v_min_u32_e32 v10, 32, v10
	v_lshrrev_b32_e32 v6, 19, v4
	v_subrev_u32_e32 v11, 28, v10
	v_and_b32_e32 v6, 15, v6
	v_lshlrev_b32_sdwa v11, v11, v4 dst_sel:DWORD dst_unused:UNUSED_PAD src0_sel:DWORD src1_sel:WORD_1
	v_bfe_u32 v7, v4, 19, 4
	v_sub_u32_e32 v10, 29, v10
	v_and_b32_e32 v11, 7, v11
	v_cmp_eq_u16_e32 vcc, 0, v6
	v_cndmask_b32_e32 v3, v3, v11, vcc
	v_cndmask_b32_e32 v6, v7, v10, vcc
	v_lshlrev_b32_e32 v7, 8, v4
	v_mov_b32_e32 v10, 0x3b800000
	v_lshlrev_b32_e32 v3, 20, v3
	v_and_b32_e32 v7, 0x80000000, v7
	v_lshl_add_u32 v6, v6, 23, v10
	v_or3_b32 v6, v7, v6, v3
.LBB14_1496:
	s_or_b64 exec, exec, s[6:7]
	s_nop 0
	v_mfma_f32_16x16x4f32 a[0:3], v2, v6, a[0:3]
	s_movk_i32 s4, 0x7f
	v_cmp_gt_i16_sdwa s[6:7], v8, s4 src0_sel:BYTE_3 src1_sel:DWORD
	s_mov_b64 s[4:5], 0
                                        ; implicit-def: $sgpr10
	s_and_saveexec_b64 s[8:9], s[6:7]
	s_xor_b64 s[6:7], exec, s[8:9]
	s_cbranch_execnz .LBB14_3545
; %bb.1497:
	s_or_saveexec_b64 s[6:7], s[6:7]
	v_mov_b32_e32 v2, s10
	s_xor_b64 exec, exec, s[6:7]
	s_cbranch_execnz .LBB14_3548
.LBB14_1498:
	s_or_b64 exec, exec, s[6:7]
	s_and_saveexec_b64 s[6:7], s[4:5]
	s_cbranch_execz .LBB14_1500
.LBB14_1499:
	v_bfe_u32 v2, v8, 24, 3
	v_ffbh_u32_e32 v10, v2
	v_min_u32_e32 v10, 32, v10
	v_lshrrev_b32_e32 v6, 27, v8
	v_subrev_u32_e32 v11, 28, v10
	v_and_b32_e32 v3, 0x80000000, v8
	v_and_b32_e32 v6, 15, v6
	v_bfe_u32 v7, v8, 27, 4
	v_lshlrev_b32_sdwa v8, v11, v8 dst_sel:DWORD dst_unused:UNUSED_PAD src0_sel:DWORD src1_sel:BYTE_3
	v_sub_u32_e32 v10, 29, v10
	v_and_b32_e32 v8, 7, v8
	v_cmp_eq_u16_e32 vcc, 0, v6
	v_cndmask_b32_e32 v2, v2, v8, vcc
	v_cndmask_b32_e32 v6, v7, v10, vcc
	v_mov_b32_e32 v7, 0x3b800000
	v_lshlrev_b32_e32 v2, 20, v2
	v_lshl_add_u32 v6, v6, 23, v7
	v_or3_b32 v2, v3, v6, v2
.LBB14_1500:
	s_or_b64 exec, exec, s[6:7]
	s_movk_i32 s4, 0x7f
	v_cmp_gt_i16_sdwa s[6:7], v4, s4 src0_sel:BYTE_3 src1_sel:DWORD
	s_mov_b64 s[4:5], 0
                                        ; implicit-def: $sgpr10
	s_and_saveexec_b64 s[8:9], s[6:7]
	s_xor_b64 s[6:7], exec, s[8:9]
	s_cbranch_execnz .LBB14_3549
; %bb.1501:
	s_or_saveexec_b64 s[6:7], s[6:7]
	v_mov_b32_e32 v3, s10
	s_xor_b64 exec, exec, s[6:7]
	s_cbranch_execnz .LBB14_3552
.LBB14_1502:
	s_or_b64 exec, exec, s[6:7]
	s_and_saveexec_b64 s[6:7], s[4:5]
	s_cbranch_execz .LBB14_1504
.LBB14_1503:
	v_bfe_u32 v3, v4, 24, 3
	v_ffbh_u32_e32 v10, v3
	v_min_u32_e32 v10, 32, v10
	v_lshrrev_b32_e32 v7, 27, v4
	v_subrev_u32_e32 v11, 28, v10
	v_and_b32_e32 v6, 0x80000000, v4
	v_and_b32_e32 v7, 15, v7
	v_bfe_u32 v8, v4, 27, 4
	v_lshlrev_b32_sdwa v4, v11, v4 dst_sel:DWORD dst_unused:UNUSED_PAD src0_sel:DWORD src1_sel:BYTE_3
	v_sub_u32_e32 v10, 29, v10
	v_and_b32_e32 v4, 7, v4
	v_cmp_eq_u16_e32 vcc, 0, v7
	v_cndmask_b32_e32 v3, v3, v4, vcc
	v_cndmask_b32_e32 v4, v8, v10, vcc
	v_mov_b32_e32 v7, 0x3b800000
	v_lshlrev_b32_e32 v3, 20, v3
	v_lshl_add_u32 v4, v4, 23, v7
	v_or3_b32 v3, v6, v4, v3
.LBB14_1504:
	s_or_b64 exec, exec, s[6:7]
	s_nop 0
	v_mfma_f32_16x16x4f32 a[0:3], v2, v3, a[0:3]
	s_movk_i32 s4, 0x7f
	v_cmp_gt_i16_sdwa s[6:7], v9, s4 src0_sel:BYTE_0 src1_sel:DWORD
	s_mov_b64 s[4:5], 0
                                        ; implicit-def: $sgpr10
	s_and_saveexec_b64 s[8:9], s[6:7]
	s_xor_b64 s[6:7], exec, s[8:9]
	s_cbranch_execnz .LBB14_3553
; %bb.1505:
	s_or_saveexec_b64 s[6:7], s[6:7]
	v_mov_b32_e32 v2, s10
	s_xor_b64 exec, exec, s[6:7]
	s_cbranch_execnz .LBB14_3556
.LBB14_1506:
	s_or_b64 exec, exec, s[6:7]
	s_and_saveexec_b64 s[6:7], s[4:5]
	s_cbranch_execz .LBB14_1508
.LBB14_1507:
	v_mov_b32_e32 v2, 8
	v_and_b32_e32 v3, 7, v9
	v_lshrrev_b32_sdwa v2, v2, v9 dst_sel:BYTE_1 dst_unused:UNUSED_PAD src0_sel:DWORD src1_sel:DWORD
	v_ffbh_u32_e32 v4, v3
	v_or_b32_sdwa v2, v9, v2 dst_sel:DWORD dst_unused:UNUSED_PAD src0_sel:BYTE_0 src1_sel:DWORD
	v_min_u32_e32 v4, 32, v4
	v_lshrrev_b16_e32 v2, 3, v2
	v_subrev_u32_e32 v6, 28, v4
	v_and_b32_e32 v2, 15, v2
	v_lshlrev_b32_e32 v6, v6, v9
	v_sub_u32_e32 v4, 29, v4
	v_and_b32_e32 v6, 7, v6
	v_cmp_eq_u16_e32 vcc, 0, v2
	v_cndmask_b32_e32 v3, v3, v6, vcc
	v_cndmask_b32_e32 v2, v2, v4, vcc
	v_lshlrev_b32_e32 v4, 24, v9
	v_mov_b32_e32 v6, 0x3b800000
	v_lshlrev_b32_e32 v3, 20, v3
	v_and_b32_e32 v4, 0x80000000, v4
	v_lshl_add_u32 v2, v2, 23, v6
	v_or3_b32 v2, v4, v2, v3
.LBB14_1508:
	s_or_b64 exec, exec, s[6:7]
	s_movk_i32 s4, 0x7f
	v_cmp_gt_i16_sdwa s[6:7], v5, s4 src0_sel:BYTE_0 src1_sel:DWORD
	s_mov_b64 s[4:5], 0
                                        ; implicit-def: $sgpr10
	s_and_saveexec_b64 s[8:9], s[6:7]
	s_xor_b64 s[6:7], exec, s[8:9]
	s_cbranch_execnz .LBB14_3557
; %bb.1509:
	s_or_saveexec_b64 s[6:7], s[6:7]
	v_mov_b32_e32 v3, s10
	s_xor_b64 exec, exec, s[6:7]
	s_cbranch_execnz .LBB14_3560
.LBB14_1510:
	s_or_b64 exec, exec, s[6:7]
	s_and_saveexec_b64 s[6:7], s[4:5]
	s_cbranch_execz .LBB14_1512
.LBB14_1511:
	v_mov_b32_e32 v3, 8
	v_and_b32_e32 v4, 7, v5
	v_lshrrev_b32_sdwa v3, v3, v5 dst_sel:BYTE_1 dst_unused:UNUSED_PAD src0_sel:DWORD src1_sel:DWORD
	v_ffbh_u32_e32 v6, v4
	v_or_b32_sdwa v3, v5, v3 dst_sel:DWORD dst_unused:UNUSED_PAD src0_sel:BYTE_0 src1_sel:DWORD
	v_min_u32_e32 v6, 32, v6
	v_lshrrev_b16_e32 v3, 3, v3
	v_subrev_u32_e32 v7, 28, v6
	v_and_b32_e32 v3, 15, v3
	v_lshlrev_b32_e32 v7, v7, v5
	v_sub_u32_e32 v6, 29, v6
	v_and_b32_e32 v7, 7, v7
	v_cmp_eq_u16_e32 vcc, 0, v3
	v_cndmask_b32_e32 v4, v4, v7, vcc
	v_cndmask_b32_e32 v3, v3, v6, vcc
	v_lshlrev_b32_e32 v6, 24, v5
	v_mov_b32_e32 v7, 0x3b800000
	v_lshlrev_b32_e32 v4, 20, v4
	v_and_b32_e32 v6, 0x80000000, v6
	v_lshl_add_u32 v3, v3, 23, v7
	v_or3_b32 v3, v6, v3, v4
.LBB14_1512:
	s_or_b64 exec, exec, s[6:7]
	s_nop 0
	v_mfma_f32_16x16x4f32 a[0:3], v2, v3, a[0:3]
	v_lshrrev_b32_e32 v3, 8, v9
	s_movk_i32 s4, 0x7f
	v_cmp_gt_i16_sdwa s[6:7], v3, s4 src0_sel:BYTE_0 src1_sel:DWORD
	s_mov_b64 s[4:5], 0
                                        ; implicit-def: $sgpr10
	s_and_saveexec_b64 s[8:9], s[6:7]
	s_xor_b64 s[6:7], exec, s[8:9]
	s_cbranch_execnz .LBB14_3561
; %bb.1513:
	s_or_saveexec_b64 s[6:7], s[6:7]
	v_mov_b32_e32 v2, s10
	s_xor_b64 exec, exec, s[6:7]
	s_cbranch_execnz .LBB14_3564
.LBB14_1514:
	s_or_b64 exec, exec, s[6:7]
	s_and_saveexec_b64 s[6:7], s[4:5]
	s_cbranch_execz .LBB14_1516
.LBB14_1515:
	v_bfe_u32 v2, v9, 8, 3
	v_ffbh_u32_e32 v6, v2
	v_min_u32_e32 v6, 32, v6
	v_lshrrev_b16_e32 v4, 3, v3
	v_subrev_u32_e32 v7, 28, v6
	v_and_b32_e32 v4, 15, v4
	v_lshlrev_b32_e32 v3, v7, v3
	v_sub_u32_e32 v6, 29, v6
	v_and_b32_e32 v3, 7, v3
	v_cmp_eq_u16_e32 vcc, 0, v4
	v_cndmask_b32_e32 v2, v2, v3, vcc
	v_cndmask_b32_e32 v3, v4, v6, vcc
	v_lshlrev_b32_e32 v4, 16, v9
	v_mov_b32_e32 v6, 0x3b800000
	v_lshlrev_b32_e32 v2, 20, v2
	v_and_b32_e32 v4, 0x80000000, v4
	v_lshl_add_u32 v3, v3, 23, v6
	v_or3_b32 v2, v4, v3, v2
.LBB14_1516:
	s_or_b64 exec, exec, s[6:7]
	v_lshrrev_b32_e32 v3, 8, v5
	s_movk_i32 s4, 0x7f
	v_cmp_gt_i16_sdwa s[6:7], v3, s4 src0_sel:BYTE_0 src1_sel:DWORD
	s_mov_b64 s[4:5], 0
                                        ; implicit-def: $sgpr10
	s_and_saveexec_b64 s[8:9], s[6:7]
	s_xor_b64 s[6:7], exec, s[8:9]
	s_cbranch_execnz .LBB14_3565
; %bb.1517:
	s_or_saveexec_b64 s[6:7], s[6:7]
	v_mov_b32_e32 v4, s10
	s_xor_b64 exec, exec, s[6:7]
	s_cbranch_execnz .LBB14_3568
.LBB14_1518:
	s_or_b64 exec, exec, s[6:7]
	s_and_saveexec_b64 s[6:7], s[4:5]
	s_cbranch_execz .LBB14_1520
.LBB14_1519:
	v_bfe_u32 v4, v5, 8, 3
	v_ffbh_u32_e32 v7, v4
	v_min_u32_e32 v7, 32, v7
	v_lshrrev_b16_e32 v6, 3, v3
	v_subrev_u32_e32 v8, 28, v7
	v_and_b32_e32 v6, 15, v6
	v_lshlrev_b32_e32 v3, v8, v3
	v_sub_u32_e32 v7, 29, v7
	v_and_b32_e32 v3, 7, v3
	v_cmp_eq_u16_e32 vcc, 0, v6
	v_cndmask_b32_e32 v3, v4, v3, vcc
	v_cndmask_b32_e32 v4, v6, v7, vcc
	v_lshlrev_b32_e32 v6, 16, v5
	v_mov_b32_e32 v7, 0x3b800000
	v_lshlrev_b32_e32 v3, 20, v3
	v_and_b32_e32 v6, 0x80000000, v6
	v_lshl_add_u32 v4, v4, 23, v7
	v_or3_b32 v4, v6, v4, v3
.LBB14_1520:
	s_or_b64 exec, exec, s[6:7]
	s_nop 0
	v_mfma_f32_16x16x4f32 a[0:3], v2, v4, a[0:3]
	s_movk_i32 s4, 0xff
	v_and_b32_sdwa v3, v9, s4 dst_sel:DWORD dst_unused:UNUSED_PAD src0_sel:WORD_1 src1_sel:DWORD
	s_movk_i32 s4, 0x7f
	v_cmp_lt_i16_e32 vcc, s4, v3
	s_mov_b64 s[4:5], 0
                                        ; implicit-def: $sgpr10
	s_and_saveexec_b64 s[6:7], vcc
	s_xor_b64 s[6:7], exec, s[6:7]
	s_cbranch_execnz .LBB14_3569
; %bb.1521:
	s_or_saveexec_b64 s[6:7], s[6:7]
	v_mov_b32_e32 v2, s10
	s_xor_b64 exec, exec, s[6:7]
	s_cbranch_execnz .LBB14_3572
.LBB14_1522:
	s_or_b64 exec, exec, s[6:7]
	s_and_saveexec_b64 s[6:7], s[4:5]
	s_cbranch_execz .LBB14_1524
.LBB14_1523:
	v_bfe_u32 v2, v9, 16, 3
	v_ffbh_u32_e32 v6, v2
	v_min_u32_e32 v6, 32, v6
	v_lshrrev_b32_e32 v3, 19, v9
	v_subrev_u32_e32 v7, 28, v6
	v_and_b32_e32 v3, 15, v3
	v_lshlrev_b32_sdwa v7, v7, v9 dst_sel:DWORD dst_unused:UNUSED_PAD src0_sel:DWORD src1_sel:WORD_1
	v_bfe_u32 v4, v9, 19, 4
	v_sub_u32_e32 v6, 29, v6
	v_and_b32_e32 v7, 7, v7
	v_cmp_eq_u16_e32 vcc, 0, v3
	v_cndmask_b32_e32 v2, v2, v7, vcc
	v_cndmask_b32_e32 v3, v4, v6, vcc
	v_lshlrev_b32_e32 v4, 8, v9
	v_mov_b32_e32 v6, 0x3b800000
	v_lshlrev_b32_e32 v2, 20, v2
	v_and_b32_e32 v4, 0x80000000, v4
	v_lshl_add_u32 v3, v3, 23, v6
	v_or3_b32 v2, v4, v3, v2
.LBB14_1524:
	s_or_b64 exec, exec, s[6:7]
	s_movk_i32 s4, 0xff
	v_and_b32_sdwa v3, v5, s4 dst_sel:DWORD dst_unused:UNUSED_PAD src0_sel:WORD_1 src1_sel:DWORD
	s_movk_i32 s4, 0x7f
	v_cmp_lt_i16_e32 vcc, s4, v3
	s_mov_b64 s[4:5], 0
                                        ; implicit-def: $sgpr10
	s_and_saveexec_b64 s[6:7], vcc
	s_xor_b64 s[6:7], exec, s[6:7]
	s_cbranch_execnz .LBB14_3573
; %bb.1525:
	s_or_saveexec_b64 s[6:7], s[6:7]
	v_mov_b32_e32 v4, s10
	s_xor_b64 exec, exec, s[6:7]
	s_cbranch_execnz .LBB14_3576
.LBB14_1526:
	s_or_b64 exec, exec, s[6:7]
	s_and_saveexec_b64 s[6:7], s[4:5]
	s_cbranch_execz .LBB14_1528
.LBB14_1527:
	v_bfe_u32 v3, v5, 16, 3
	v_ffbh_u32_e32 v7, v3
	v_min_u32_e32 v7, 32, v7
	v_lshrrev_b32_e32 v4, 19, v5
	v_subrev_u32_e32 v8, 28, v7
	v_and_b32_e32 v4, 15, v4
	v_lshlrev_b32_sdwa v8, v8, v5 dst_sel:DWORD dst_unused:UNUSED_PAD src0_sel:DWORD src1_sel:WORD_1
	v_bfe_u32 v6, v5, 19, 4
	v_sub_u32_e32 v7, 29, v7
	v_and_b32_e32 v8, 7, v8
	v_cmp_eq_u16_e32 vcc, 0, v4
	v_cndmask_b32_e32 v3, v3, v8, vcc
	v_cndmask_b32_e32 v4, v6, v7, vcc
	v_lshlrev_b32_e32 v6, 8, v5
	v_mov_b32_e32 v7, 0x3b800000
	v_lshlrev_b32_e32 v3, 20, v3
	v_and_b32_e32 v6, 0x80000000, v6
	v_lshl_add_u32 v4, v4, 23, v7
	v_or3_b32 v4, v6, v4, v3
.LBB14_1528:
	s_or_b64 exec, exec, s[6:7]
	s_nop 0
	v_mfma_f32_16x16x4f32 a[0:3], v2, v4, a[0:3]
	s_movk_i32 s4, 0x7f
	v_cmp_gt_i16_sdwa s[6:7], v9, s4 src0_sel:BYTE_3 src1_sel:DWORD
	s_mov_b64 s[4:5], 0
                                        ; implicit-def: $sgpr10
	s_and_saveexec_b64 s[8:9], s[6:7]
	s_xor_b64 s[6:7], exec, s[8:9]
	s_cbranch_execnz .LBB14_3577
; %bb.1529:
	s_or_saveexec_b64 s[6:7], s[6:7]
	v_mov_b32_e32 v2, s10
	s_xor_b64 exec, exec, s[6:7]
	s_cbranch_execnz .LBB14_3580
.LBB14_1530:
	s_or_b64 exec, exec, s[6:7]
	s_and_saveexec_b64 s[6:7], s[4:5]
	s_cbranch_execz .LBB14_1532
.LBB14_1531:
	v_bfe_u32 v2, v9, 24, 3
	v_ffbh_u32_e32 v7, v2
	v_min_u32_e32 v7, 32, v7
	v_lshrrev_b32_e32 v4, 27, v9
	v_subrev_u32_e32 v8, 28, v7
	v_and_b32_e32 v4, 15, v4
	v_lshlrev_b32_sdwa v8, v8, v9 dst_sel:DWORD dst_unused:UNUSED_PAD src0_sel:DWORD src1_sel:BYTE_3
	v_bfe_u32 v6, v9, 27, 4
	v_sub_u32_e32 v7, 29, v7
	v_and_b32_e32 v8, 7, v8
	v_cmp_eq_u16_e32 vcc, 0, v4
	v_cndmask_b32_e32 v2, v2, v8, vcc
	v_cndmask_b32_e32 v4, v6, v7, vcc
	v_mov_b32_e32 v6, 0x3b800000
	v_and_b32_e32 v3, 0x80000000, v9
	v_lshlrev_b32_e32 v2, 20, v2
	v_lshl_add_u32 v4, v4, 23, v6
	v_or3_b32 v2, v3, v4, v2
.LBB14_1532:
	s_or_b64 exec, exec, s[6:7]
	s_movk_i32 s4, 0x7f
	v_cmp_gt_i16_sdwa s[6:7], v5, s4 src0_sel:BYTE_3 src1_sel:DWORD
	s_mov_b64 s[4:5], 0
                                        ; implicit-def: $sgpr10
	s_and_saveexec_b64 s[8:9], s[6:7]
	s_xor_b64 s[6:7], exec, s[8:9]
	s_cbranch_execnz .LBB14_3581
; %bb.1533:
	s_or_saveexec_b64 s[6:7], s[6:7]
	v_mov_b32_e32 v3, s10
	s_xor_b64 exec, exec, s[6:7]
	s_cbranch_execnz .LBB14_3584
.LBB14_1534:
	s_or_b64 exec, exec, s[6:7]
	s_and_saveexec_b64 s[6:7], s[4:5]
	s_cbranch_execz .LBB14_1536
.LBB14_1535:
	v_bfe_u32 v3, v5, 24, 3
	v_ffbh_u32_e32 v8, v3
	v_min_u32_e32 v8, 32, v8
	v_lshrrev_b32_e32 v6, 27, v5
	v_subrev_u32_e32 v9, 28, v8
	v_and_b32_e32 v4, 0x80000000, v5
	v_and_b32_e32 v6, 15, v6
	v_bfe_u32 v7, v5, 27, 4
	v_lshlrev_b32_sdwa v5, v9, v5 dst_sel:DWORD dst_unused:UNUSED_PAD src0_sel:DWORD src1_sel:BYTE_3
	v_sub_u32_e32 v8, 29, v8
	v_and_b32_e32 v5, 7, v5
	v_cmp_eq_u16_e32 vcc, 0, v6
	v_cndmask_b32_e32 v3, v3, v5, vcc
	v_cndmask_b32_e32 v5, v7, v8, vcc
	v_mov_b32_e32 v6, 0x3b800000
	v_lshlrev_b32_e32 v3, 20, v3
	v_lshl_add_u32 v5, v5, 23, v6
	v_or3_b32 v3, v4, v5, v3
.LBB14_1536:
	s_or_b64 exec, exec, s[6:7]
	s_nop 0
	v_mfma_f32_16x16x4f32 a[0:3], v2, v3, a[0:3]
	s_movk_i32 s4, 0x7f
                                        ; implicit-def: $sgpr10
	s_nop 7
	s_nop 1
	flat_store_dwordx4 v[18:19], a[0:3] offset:592
	flat_load_dwordx4 v[20:23], v[0:1] offset:16
	s_nop 0
	flat_load_dwordx2 v[18:19], v[0:1] offset:32
	s_waitcnt vmcnt(0) lgkmcnt(0)
	flat_load_dwordx4 v[14:17], v[20:21]
	flat_load_dwordx4 v[6:9], v[20:21] offset:16
	flat_load_dwordx4 v[10:13], v[22:23] offset:448
	;; [unrolled: 1-line block ×3, first 2 shown]
	s_waitcnt vmcnt(0) lgkmcnt(0)
	v_cmp_gt_i16_sdwa s[6:7], v14, s4 src0_sel:BYTE_0 src1_sel:DWORD
	s_mov_b64 s[4:5], 0
	s_and_saveexec_b64 s[8:9], s[6:7]
	s_xor_b64 s[6:7], exec, s[8:9]
	s_cbranch_execnz .LBB14_3585
; %bb.1537:
	s_or_saveexec_b64 s[6:7], s[6:7]
	v_mov_b32_e32 v20, s10
	s_xor_b64 exec, exec, s[6:7]
	s_cbranch_execnz .LBB14_3588
.LBB14_1538:
	s_or_b64 exec, exec, s[6:7]
	s_and_saveexec_b64 s[6:7], s[4:5]
	s_cbranch_execz .LBB14_1540
.LBB14_1539:
	v_and_b32_e32 v20, 7, v14
	v_ffbh_u32_e32 v22, v20
	v_min_u32_e32 v22, 32, v22
	v_lshrrev_b16_e32 v21, 3, v14
	v_subrev_u32_e32 v23, 28, v22
	v_and_b32_e32 v21, 15, v21
	v_lshlrev_b32_e32 v23, v23, v14
	v_sub_u32_e32 v22, 29, v22
	v_and_b32_e32 v23, 7, v23
	v_cmp_eq_u16_e32 vcc, 0, v21
	v_cndmask_b32_e32 v20, v20, v23, vcc
	v_cndmask_b32_e32 v21, v21, v22, vcc
	v_lshlrev_b32_e32 v22, 24, v14
	v_mov_b32_e32 v23, 0x3b800000
	v_lshlrev_b32_e32 v20, 20, v20
	v_and_b32_e32 v22, 0x80000000, v22
	v_lshl_add_u32 v21, v21, 23, v23
	v_or3_b32 v20, v22, v21, v20
.LBB14_1540:
	s_or_b64 exec, exec, s[6:7]
	s_movk_i32 s4, 0x7f
	v_cmp_gt_i16_sdwa s[6:7], v10, s4 src0_sel:BYTE_0 src1_sel:DWORD
	s_mov_b64 s[4:5], 0
                                        ; implicit-def: $sgpr10
	s_and_saveexec_b64 s[8:9], s[6:7]
	s_xor_b64 s[6:7], exec, s[8:9]
	s_cbranch_execnz .LBB14_3589
; %bb.1541:
	s_or_saveexec_b64 s[6:7], s[6:7]
	v_mov_b32_e32 v21, s10
	s_xor_b64 exec, exec, s[6:7]
	s_cbranch_execnz .LBB14_3592
.LBB14_1542:
	s_or_b64 exec, exec, s[6:7]
	s_and_saveexec_b64 s[6:7], s[4:5]
	s_cbranch_execz .LBB14_1544
.LBB14_1543:
	v_and_b32_e32 v21, 7, v10
	v_ffbh_u32_e32 v23, v21
	v_min_u32_e32 v23, 32, v23
	v_lshrrev_b16_e32 v22, 3, v10
	v_subrev_u32_e32 v24, 28, v23
	v_and_b32_e32 v22, 15, v22
	v_lshlrev_b32_e32 v24, v24, v10
	v_sub_u32_e32 v23, 29, v23
	v_and_b32_e32 v24, 7, v24
	v_cmp_eq_u16_e32 vcc, 0, v22
	v_cndmask_b32_e32 v21, v21, v24, vcc
	v_cndmask_b32_e32 v22, v22, v23, vcc
	v_lshlrev_b32_e32 v23, 24, v10
	v_mov_b32_e32 v24, 0x3b800000
	v_lshlrev_b32_e32 v21, 20, v21
	v_and_b32_e32 v23, 0x80000000, v23
	v_lshl_add_u32 v22, v22, 23, v24
	v_or3_b32 v21, v23, v22, v21
.LBB14_1544:
	s_or_b64 exec, exec, s[6:7]
	flat_load_dwordx4 a[0:3], v[18:19] offset:608
	s_movk_i32 s4, 0x7f
                                        ; implicit-def: $sgpr10
	s_waitcnt vmcnt(0) lgkmcnt(0)
	v_mfma_f32_16x16x4f32 a[0:3], v20, v21, a[0:3]
	v_lshrrev_b32_e32 v21, 8, v14
	v_cmp_gt_i16_sdwa s[6:7], v21, s4 src0_sel:BYTE_0 src1_sel:DWORD
	s_mov_b64 s[4:5], 0
	s_and_saveexec_b64 s[8:9], s[6:7]
	s_xor_b64 s[6:7], exec, s[8:9]
	s_cbranch_execnz .LBB14_3593
; %bb.1545:
	s_or_saveexec_b64 s[6:7], s[6:7]
	v_mov_b32_e32 v20, s10
	s_xor_b64 exec, exec, s[6:7]
	s_cbranch_execnz .LBB14_3596
.LBB14_1546:
	s_or_b64 exec, exec, s[6:7]
	s_and_saveexec_b64 s[6:7], s[4:5]
	s_cbranch_execz .LBB14_1548
.LBB14_1547:
	v_bfe_u32 v20, v14, 8, 3
	v_ffbh_u32_e32 v23, v20
	v_min_u32_e32 v23, 32, v23
	v_lshrrev_b16_e32 v22, 3, v21
	v_subrev_u32_e32 v24, 28, v23
	v_and_b32_e32 v22, 15, v22
	v_lshlrev_b32_e32 v21, v24, v21
	v_sub_u32_e32 v23, 29, v23
	v_and_b32_e32 v21, 7, v21
	v_cmp_eq_u16_e32 vcc, 0, v22
	v_cndmask_b32_e32 v20, v20, v21, vcc
	v_cndmask_b32_e32 v21, v22, v23, vcc
	v_lshlrev_b32_e32 v22, 16, v14
	v_mov_b32_e32 v23, 0x3b800000
	v_lshlrev_b32_e32 v20, 20, v20
	v_and_b32_e32 v22, 0x80000000, v22
	v_lshl_add_u32 v21, v21, 23, v23
	v_or3_b32 v20, v22, v21, v20
.LBB14_1548:
	s_or_b64 exec, exec, s[6:7]
	v_lshrrev_b32_e32 v21, 8, v10
	s_movk_i32 s4, 0x7f
	v_cmp_gt_i16_sdwa s[6:7], v21, s4 src0_sel:BYTE_0 src1_sel:DWORD
	s_mov_b64 s[4:5], 0
                                        ; implicit-def: $sgpr10
	s_and_saveexec_b64 s[8:9], s[6:7]
	s_xor_b64 s[6:7], exec, s[8:9]
	s_cbranch_execnz .LBB14_3597
; %bb.1549:
	s_or_saveexec_b64 s[6:7], s[6:7]
	v_mov_b32_e32 v22, s10
	s_xor_b64 exec, exec, s[6:7]
	s_cbranch_execnz .LBB14_3600
.LBB14_1550:
	s_or_b64 exec, exec, s[6:7]
	s_and_saveexec_b64 s[6:7], s[4:5]
	s_cbranch_execz .LBB14_1552
.LBB14_1551:
	v_bfe_u32 v22, v10, 8, 3
	v_ffbh_u32_e32 v24, v22
	v_min_u32_e32 v24, 32, v24
	v_lshrrev_b16_e32 v23, 3, v21
	v_subrev_u32_e32 v25, 28, v24
	v_and_b32_e32 v23, 15, v23
	v_lshlrev_b32_e32 v21, v25, v21
	v_sub_u32_e32 v24, 29, v24
	v_and_b32_e32 v21, 7, v21
	v_cmp_eq_u16_e32 vcc, 0, v23
	v_cndmask_b32_e32 v21, v22, v21, vcc
	v_cndmask_b32_e32 v22, v23, v24, vcc
	v_lshlrev_b32_e32 v23, 16, v10
	v_mov_b32_e32 v24, 0x3b800000
	v_lshlrev_b32_e32 v21, 20, v21
	v_and_b32_e32 v23, 0x80000000, v23
	v_lshl_add_u32 v22, v22, 23, v24
	v_or3_b32 v22, v23, v22, v21
.LBB14_1552:
	s_or_b64 exec, exec, s[6:7]
	s_nop 0
	v_mfma_f32_16x16x4f32 a[0:3], v20, v22, a[0:3]
	s_movk_i32 s4, 0xff
	v_and_b32_sdwa v21, v14, s4 dst_sel:DWORD dst_unused:UNUSED_PAD src0_sel:WORD_1 src1_sel:DWORD
	s_movk_i32 s4, 0x7f
	v_cmp_lt_i16_e32 vcc, s4, v21
	s_mov_b64 s[4:5], 0
                                        ; implicit-def: $sgpr10
	s_and_saveexec_b64 s[6:7], vcc
	s_xor_b64 s[6:7], exec, s[6:7]
	s_cbranch_execnz .LBB14_3601
; %bb.1553:
	s_or_saveexec_b64 s[6:7], s[6:7]
	v_mov_b32_e32 v20, s10
	s_xor_b64 exec, exec, s[6:7]
	s_cbranch_execnz .LBB14_3604
.LBB14_1554:
	s_or_b64 exec, exec, s[6:7]
	s_and_saveexec_b64 s[6:7], s[4:5]
	s_cbranch_execz .LBB14_1556
.LBB14_1555:
	v_bfe_u32 v20, v14, 16, 3
	v_ffbh_u32_e32 v23, v20
	v_min_u32_e32 v23, 32, v23
	v_lshrrev_b32_e32 v21, 19, v14
	v_subrev_u32_e32 v24, 28, v23
	v_and_b32_e32 v21, 15, v21
	v_lshlrev_b32_sdwa v24, v24, v14 dst_sel:DWORD dst_unused:UNUSED_PAD src0_sel:DWORD src1_sel:WORD_1
	v_bfe_u32 v22, v14, 19, 4
	v_sub_u32_e32 v23, 29, v23
	v_and_b32_e32 v24, 7, v24
	v_cmp_eq_u16_e32 vcc, 0, v21
	v_cndmask_b32_e32 v20, v20, v24, vcc
	v_cndmask_b32_e32 v21, v22, v23, vcc
	v_lshlrev_b32_e32 v22, 8, v14
	v_mov_b32_e32 v23, 0x3b800000
	v_lshlrev_b32_e32 v20, 20, v20
	v_and_b32_e32 v22, 0x80000000, v22
	v_lshl_add_u32 v21, v21, 23, v23
	v_or3_b32 v20, v22, v21, v20
.LBB14_1556:
	s_or_b64 exec, exec, s[6:7]
	s_movk_i32 s4, 0xff
	v_and_b32_sdwa v21, v10, s4 dst_sel:DWORD dst_unused:UNUSED_PAD src0_sel:WORD_1 src1_sel:DWORD
	s_movk_i32 s4, 0x7f
	v_cmp_lt_i16_e32 vcc, s4, v21
	s_mov_b64 s[4:5], 0
                                        ; implicit-def: $sgpr10
	s_and_saveexec_b64 s[6:7], vcc
	s_xor_b64 s[6:7], exec, s[6:7]
	s_cbranch_execnz .LBB14_3605
; %bb.1557:
	s_or_saveexec_b64 s[6:7], s[6:7]
	v_mov_b32_e32 v22, s10
	s_xor_b64 exec, exec, s[6:7]
	s_cbranch_execnz .LBB14_3608
.LBB14_1558:
	s_or_b64 exec, exec, s[6:7]
	s_and_saveexec_b64 s[6:7], s[4:5]
	s_cbranch_execz .LBB14_1560
.LBB14_1559:
	v_bfe_u32 v21, v10, 16, 3
	v_ffbh_u32_e32 v24, v21
	v_min_u32_e32 v24, 32, v24
	v_lshrrev_b32_e32 v22, 19, v10
	v_subrev_u32_e32 v25, 28, v24
	v_and_b32_e32 v22, 15, v22
	v_lshlrev_b32_sdwa v25, v25, v10 dst_sel:DWORD dst_unused:UNUSED_PAD src0_sel:DWORD src1_sel:WORD_1
	v_bfe_u32 v23, v10, 19, 4
	v_sub_u32_e32 v24, 29, v24
	v_and_b32_e32 v25, 7, v25
	v_cmp_eq_u16_e32 vcc, 0, v22
	v_cndmask_b32_e32 v21, v21, v25, vcc
	v_cndmask_b32_e32 v22, v23, v24, vcc
	v_lshlrev_b32_e32 v23, 8, v10
	v_mov_b32_e32 v24, 0x3b800000
	v_lshlrev_b32_e32 v21, 20, v21
	v_and_b32_e32 v23, 0x80000000, v23
	v_lshl_add_u32 v22, v22, 23, v24
	v_or3_b32 v22, v23, v22, v21
.LBB14_1560:
	s_or_b64 exec, exec, s[6:7]
	s_nop 0
	v_mfma_f32_16x16x4f32 a[0:3], v20, v22, a[0:3]
	s_movk_i32 s4, 0x7f
	v_cmp_gt_i16_sdwa s[6:7], v14, s4 src0_sel:BYTE_3 src1_sel:DWORD
	s_mov_b64 s[4:5], 0
                                        ; implicit-def: $sgpr10
	s_and_saveexec_b64 s[8:9], s[6:7]
	s_xor_b64 s[6:7], exec, s[8:9]
	s_cbranch_execnz .LBB14_3609
; %bb.1561:
	s_or_saveexec_b64 s[6:7], s[6:7]
	v_mov_b32_e32 v20, s10
	s_xor_b64 exec, exec, s[6:7]
	s_cbranch_execnz .LBB14_3612
.LBB14_1562:
	s_or_b64 exec, exec, s[6:7]
	s_and_saveexec_b64 s[6:7], s[4:5]
	s_cbranch_execz .LBB14_1564
.LBB14_1563:
	v_bfe_u32 v20, v14, 24, 3
	v_ffbh_u32_e32 v24, v20
	v_min_u32_e32 v24, 32, v24
	v_lshrrev_b32_e32 v22, 27, v14
	v_subrev_u32_e32 v25, 28, v24
	v_and_b32_e32 v21, 0x80000000, v14
	v_and_b32_e32 v22, 15, v22
	v_bfe_u32 v23, v14, 27, 4
	v_lshlrev_b32_sdwa v14, v25, v14 dst_sel:DWORD dst_unused:UNUSED_PAD src0_sel:DWORD src1_sel:BYTE_3
	v_sub_u32_e32 v24, 29, v24
	v_and_b32_e32 v14, 7, v14
	v_cmp_eq_u16_e32 vcc, 0, v22
	v_cndmask_b32_e32 v14, v20, v14, vcc
	v_cndmask_b32_e32 v20, v23, v24, vcc
	v_mov_b32_e32 v22, 0x3b800000
	v_lshlrev_b32_e32 v14, 20, v14
	v_lshl_add_u32 v20, v20, 23, v22
	v_or3_b32 v20, v21, v20, v14
.LBB14_1564:
	s_or_b64 exec, exec, s[6:7]
	s_movk_i32 s4, 0x7f
	v_cmp_gt_i16_sdwa s[6:7], v10, s4 src0_sel:BYTE_3 src1_sel:DWORD
	s_mov_b64 s[4:5], 0
                                        ; implicit-def: $sgpr10
	s_and_saveexec_b64 s[8:9], s[6:7]
	s_xor_b64 s[6:7], exec, s[8:9]
	s_cbranch_execnz .LBB14_3613
; %bb.1565:
	s_or_saveexec_b64 s[6:7], s[6:7]
	v_mov_b32_e32 v14, s10
	s_xor_b64 exec, exec, s[6:7]
	s_cbranch_execnz .LBB14_3616
.LBB14_1566:
	s_or_b64 exec, exec, s[6:7]
	s_and_saveexec_b64 s[6:7], s[4:5]
	s_cbranch_execz .LBB14_1568
.LBB14_1567:
	v_bfe_u32 v14, v10, 24, 3
	v_ffbh_u32_e32 v24, v14
	v_min_u32_e32 v24, 32, v24
	v_lshrrev_b32_e32 v22, 27, v10
	v_subrev_u32_e32 v25, 28, v24
	v_and_b32_e32 v21, 0x80000000, v10
	v_and_b32_e32 v22, 15, v22
	v_bfe_u32 v23, v10, 27, 4
	v_lshlrev_b32_sdwa v10, v25, v10 dst_sel:DWORD dst_unused:UNUSED_PAD src0_sel:DWORD src1_sel:BYTE_3
	v_sub_u32_e32 v24, 29, v24
	v_and_b32_e32 v10, 7, v10
	v_cmp_eq_u16_e32 vcc, 0, v22
	v_cndmask_b32_e32 v10, v14, v10, vcc
	v_cndmask_b32_e32 v14, v23, v24, vcc
	v_mov_b32_e32 v22, 0x3b800000
	v_lshlrev_b32_e32 v10, 20, v10
	v_lshl_add_u32 v14, v14, 23, v22
	v_or3_b32 v14, v21, v14, v10
.LBB14_1568:
	s_or_b64 exec, exec, s[6:7]
	s_nop 0
	v_mfma_f32_16x16x4f32 a[0:3], v20, v14, a[0:3]
	s_movk_i32 s4, 0x7f
	v_cmp_gt_i16_sdwa s[6:7], v15, s4 src0_sel:BYTE_0 src1_sel:DWORD
	s_mov_b64 s[4:5], 0
                                        ; implicit-def: $sgpr10
	s_and_saveexec_b64 s[8:9], s[6:7]
	s_xor_b64 s[6:7], exec, s[8:9]
	s_cbranch_execnz .LBB14_3617
; %bb.1569:
	s_or_saveexec_b64 s[6:7], s[6:7]
	v_mov_b32_e32 v10, s10
	s_xor_b64 exec, exec, s[6:7]
	s_cbranch_execnz .LBB14_3620
.LBB14_1570:
	s_or_b64 exec, exec, s[6:7]
	s_and_saveexec_b64 s[6:7], s[4:5]
	s_cbranch_execz .LBB14_1572
.LBB14_1571:
	v_and_b32_e32 v10, 7, v15
	v_ffbh_u32_e32 v20, v10
	v_min_u32_e32 v20, 32, v20
	v_lshrrev_b16_e32 v14, 3, v15
	v_subrev_u32_e32 v21, 28, v20
	v_and_b32_e32 v14, 15, v14
	v_lshlrev_b32_e32 v21, v21, v15
	v_sub_u32_e32 v20, 29, v20
	v_and_b32_e32 v21, 7, v21
	v_cmp_eq_u16_e32 vcc, 0, v14
	v_cndmask_b32_e32 v10, v10, v21, vcc
	v_cndmask_b32_e32 v14, v14, v20, vcc
	v_lshlrev_b32_e32 v20, 24, v15
	v_mov_b32_e32 v21, 0x3b800000
	v_lshlrev_b32_e32 v10, 20, v10
	v_and_b32_e32 v20, 0x80000000, v20
	v_lshl_add_u32 v14, v14, 23, v21
	v_or3_b32 v10, v20, v14, v10
.LBB14_1572:
	s_or_b64 exec, exec, s[6:7]
	s_movk_i32 s4, 0x7f
	v_cmp_gt_i16_sdwa s[6:7], v11, s4 src0_sel:BYTE_0 src1_sel:DWORD
	s_mov_b64 s[4:5], 0
                                        ; implicit-def: $sgpr10
	s_and_saveexec_b64 s[8:9], s[6:7]
	s_xor_b64 s[6:7], exec, s[8:9]
	s_cbranch_execnz .LBB14_3621
; %bb.1573:
	s_or_saveexec_b64 s[6:7], s[6:7]
	v_mov_b32_e32 v14, s10
	s_xor_b64 exec, exec, s[6:7]
	s_cbranch_execnz .LBB14_3624
.LBB14_1574:
	s_or_b64 exec, exec, s[6:7]
	s_and_saveexec_b64 s[6:7], s[4:5]
	s_cbranch_execz .LBB14_1576
.LBB14_1575:
	v_and_b32_e32 v14, 7, v11
	v_ffbh_u32_e32 v21, v14
	v_min_u32_e32 v21, 32, v21
	v_lshrrev_b16_e32 v20, 3, v11
	v_subrev_u32_e32 v22, 28, v21
	v_and_b32_e32 v20, 15, v20
	v_lshlrev_b32_e32 v22, v22, v11
	v_sub_u32_e32 v21, 29, v21
	v_and_b32_e32 v22, 7, v22
	v_cmp_eq_u16_e32 vcc, 0, v20
	v_cndmask_b32_e32 v14, v14, v22, vcc
	v_cndmask_b32_e32 v20, v20, v21, vcc
	v_lshlrev_b32_e32 v21, 24, v11
	v_mov_b32_e32 v22, 0x3b800000
	v_lshlrev_b32_e32 v14, 20, v14
	v_and_b32_e32 v21, 0x80000000, v21
	v_lshl_add_u32 v20, v20, 23, v22
	v_or3_b32 v14, v21, v20, v14
.LBB14_1576:
	s_or_b64 exec, exec, s[6:7]
	s_nop 0
	v_mfma_f32_16x16x4f32 a[0:3], v10, v14, a[0:3]
	v_lshrrev_b32_e32 v14, 8, v15
	s_movk_i32 s4, 0x7f
	v_cmp_gt_i16_sdwa s[6:7], v14, s4 src0_sel:BYTE_0 src1_sel:DWORD
	s_mov_b64 s[4:5], 0
                                        ; implicit-def: $sgpr10
	s_and_saveexec_b64 s[8:9], s[6:7]
	s_xor_b64 s[6:7], exec, s[8:9]
	s_cbranch_execnz .LBB14_3625
; %bb.1577:
	s_or_saveexec_b64 s[6:7], s[6:7]
	v_mov_b32_e32 v10, s10
	s_xor_b64 exec, exec, s[6:7]
	s_cbranch_execnz .LBB14_3628
.LBB14_1578:
	s_or_b64 exec, exec, s[6:7]
	s_and_saveexec_b64 s[6:7], s[4:5]
	s_cbranch_execz .LBB14_1580
.LBB14_1579:
	v_bfe_u32 v10, v15, 8, 3
	v_ffbh_u32_e32 v21, v10
	v_min_u32_e32 v21, 32, v21
	v_lshrrev_b16_e32 v20, 3, v14
	v_subrev_u32_e32 v22, 28, v21
	v_and_b32_e32 v20, 15, v20
	v_lshlrev_b32_e32 v14, v22, v14
	v_sub_u32_e32 v21, 29, v21
	v_and_b32_e32 v14, 7, v14
	v_cmp_eq_u16_e32 vcc, 0, v20
	v_cndmask_b32_e32 v10, v10, v14, vcc
	v_cndmask_b32_e32 v14, v20, v21, vcc
	v_lshlrev_b32_e32 v20, 16, v15
	v_mov_b32_e32 v21, 0x3b800000
	v_lshlrev_b32_e32 v10, 20, v10
	v_and_b32_e32 v20, 0x80000000, v20
	v_lshl_add_u32 v14, v14, 23, v21
	v_or3_b32 v10, v20, v14, v10
.LBB14_1580:
	s_or_b64 exec, exec, s[6:7]
	v_lshrrev_b32_e32 v14, 8, v11
	s_movk_i32 s4, 0x7f
	v_cmp_gt_i16_sdwa s[6:7], v14, s4 src0_sel:BYTE_0 src1_sel:DWORD
	s_mov_b64 s[4:5], 0
                                        ; implicit-def: $sgpr10
	s_and_saveexec_b64 s[8:9], s[6:7]
	s_xor_b64 s[6:7], exec, s[8:9]
	s_cbranch_execnz .LBB14_3629
; %bb.1581:
	s_or_saveexec_b64 s[6:7], s[6:7]
	v_mov_b32_e32 v20, s10
	s_xor_b64 exec, exec, s[6:7]
	s_cbranch_execnz .LBB14_3632
.LBB14_1582:
	s_or_b64 exec, exec, s[6:7]
	s_and_saveexec_b64 s[6:7], s[4:5]
	s_cbranch_execz .LBB14_1584
.LBB14_1583:
	v_bfe_u32 v20, v11, 8, 3
	v_ffbh_u32_e32 v22, v20
	v_min_u32_e32 v22, 32, v22
	v_lshrrev_b16_e32 v21, 3, v14
	v_subrev_u32_e32 v23, 28, v22
	v_and_b32_e32 v21, 15, v21
	v_lshlrev_b32_e32 v14, v23, v14
	v_sub_u32_e32 v22, 29, v22
	v_and_b32_e32 v14, 7, v14
	v_cmp_eq_u16_e32 vcc, 0, v21
	v_cndmask_b32_e32 v14, v20, v14, vcc
	v_cndmask_b32_e32 v20, v21, v22, vcc
	v_lshlrev_b32_e32 v21, 16, v11
	v_mov_b32_e32 v22, 0x3b800000
	v_lshlrev_b32_e32 v14, 20, v14
	v_and_b32_e32 v21, 0x80000000, v21
	v_lshl_add_u32 v20, v20, 23, v22
	v_or3_b32 v20, v21, v20, v14
.LBB14_1584:
	s_or_b64 exec, exec, s[6:7]
	s_nop 0
	v_mfma_f32_16x16x4f32 a[0:3], v10, v20, a[0:3]
	s_movk_i32 s4, 0xff
	v_and_b32_sdwa v14, v15, s4 dst_sel:DWORD dst_unused:UNUSED_PAD src0_sel:WORD_1 src1_sel:DWORD
	s_movk_i32 s4, 0x7f
	v_cmp_lt_i16_e32 vcc, s4, v14
	s_mov_b64 s[4:5], 0
                                        ; implicit-def: $sgpr10
	s_and_saveexec_b64 s[6:7], vcc
	s_xor_b64 s[6:7], exec, s[6:7]
	s_cbranch_execnz .LBB14_3633
; %bb.1585:
	s_or_saveexec_b64 s[6:7], s[6:7]
	v_mov_b32_e32 v10, s10
	s_xor_b64 exec, exec, s[6:7]
	s_cbranch_execnz .LBB14_3636
.LBB14_1586:
	s_or_b64 exec, exec, s[6:7]
	s_and_saveexec_b64 s[6:7], s[4:5]
	s_cbranch_execz .LBB14_1588
.LBB14_1587:
	v_bfe_u32 v10, v15, 16, 3
	v_ffbh_u32_e32 v21, v10
	v_min_u32_e32 v21, 32, v21
	v_lshrrev_b32_e32 v14, 19, v15
	v_subrev_u32_e32 v22, 28, v21
	v_and_b32_e32 v14, 15, v14
	v_lshlrev_b32_sdwa v22, v22, v15 dst_sel:DWORD dst_unused:UNUSED_PAD src0_sel:DWORD src1_sel:WORD_1
	v_bfe_u32 v20, v15, 19, 4
	v_sub_u32_e32 v21, 29, v21
	v_and_b32_e32 v22, 7, v22
	v_cmp_eq_u16_e32 vcc, 0, v14
	v_cndmask_b32_e32 v10, v10, v22, vcc
	v_cndmask_b32_e32 v14, v20, v21, vcc
	v_lshlrev_b32_e32 v20, 8, v15
	v_mov_b32_e32 v21, 0x3b800000
	v_lshlrev_b32_e32 v10, 20, v10
	v_and_b32_e32 v20, 0x80000000, v20
	v_lshl_add_u32 v14, v14, 23, v21
	v_or3_b32 v10, v20, v14, v10
.LBB14_1588:
	s_or_b64 exec, exec, s[6:7]
	s_movk_i32 s4, 0xff
	v_and_b32_sdwa v14, v11, s4 dst_sel:DWORD dst_unused:UNUSED_PAD src0_sel:WORD_1 src1_sel:DWORD
	s_movk_i32 s4, 0x7f
	v_cmp_lt_i16_e32 vcc, s4, v14
	s_mov_b64 s[4:5], 0
                                        ; implicit-def: $sgpr10
	s_and_saveexec_b64 s[6:7], vcc
	s_xor_b64 s[6:7], exec, s[6:7]
	s_cbranch_execnz .LBB14_3637
; %bb.1589:
	s_or_saveexec_b64 s[6:7], s[6:7]
	v_mov_b32_e32 v20, s10
	s_xor_b64 exec, exec, s[6:7]
	s_cbranch_execnz .LBB14_3640
.LBB14_1590:
	s_or_b64 exec, exec, s[6:7]
	s_and_saveexec_b64 s[6:7], s[4:5]
	s_cbranch_execz .LBB14_1592
.LBB14_1591:
	v_bfe_u32 v14, v11, 16, 3
	v_ffbh_u32_e32 v22, v14
	v_min_u32_e32 v22, 32, v22
	v_lshrrev_b32_e32 v20, 19, v11
	v_subrev_u32_e32 v23, 28, v22
	v_and_b32_e32 v20, 15, v20
	v_lshlrev_b32_sdwa v23, v23, v11 dst_sel:DWORD dst_unused:UNUSED_PAD src0_sel:DWORD src1_sel:WORD_1
	v_bfe_u32 v21, v11, 19, 4
	v_sub_u32_e32 v22, 29, v22
	v_and_b32_e32 v23, 7, v23
	v_cmp_eq_u16_e32 vcc, 0, v20
	v_cndmask_b32_e32 v14, v14, v23, vcc
	v_cndmask_b32_e32 v20, v21, v22, vcc
	v_lshlrev_b32_e32 v21, 8, v11
	v_mov_b32_e32 v22, 0x3b800000
	v_lshlrev_b32_e32 v14, 20, v14
	v_and_b32_e32 v21, 0x80000000, v21
	v_lshl_add_u32 v20, v20, 23, v22
	v_or3_b32 v20, v21, v20, v14
.LBB14_1592:
	s_or_b64 exec, exec, s[6:7]
	s_nop 0
	v_mfma_f32_16x16x4f32 a[0:3], v10, v20, a[0:3]
	s_movk_i32 s4, 0x7f
	v_cmp_gt_i16_sdwa s[6:7], v15, s4 src0_sel:BYTE_3 src1_sel:DWORD
	s_mov_b64 s[4:5], 0
                                        ; implicit-def: $sgpr10
	s_and_saveexec_b64 s[8:9], s[6:7]
	s_xor_b64 s[6:7], exec, s[8:9]
	s_cbranch_execnz .LBB14_3641
; %bb.1593:
	s_or_saveexec_b64 s[6:7], s[6:7]
	v_mov_b32_e32 v10, s10
	s_xor_b64 exec, exec, s[6:7]
	s_cbranch_execnz .LBB14_3644
.LBB14_1594:
	s_or_b64 exec, exec, s[6:7]
	s_and_saveexec_b64 s[6:7], s[4:5]
	s_cbranch_execz .LBB14_1596
.LBB14_1595:
	v_bfe_u32 v10, v15, 24, 3
	v_ffbh_u32_e32 v22, v10
	v_min_u32_e32 v22, 32, v22
	v_lshrrev_b32_e32 v20, 27, v15
	v_subrev_u32_e32 v23, 28, v22
	v_and_b32_e32 v14, 0x80000000, v15
	v_and_b32_e32 v20, 15, v20
	v_bfe_u32 v21, v15, 27, 4
	v_lshlrev_b32_sdwa v15, v23, v15 dst_sel:DWORD dst_unused:UNUSED_PAD src0_sel:DWORD src1_sel:BYTE_3
	v_sub_u32_e32 v22, 29, v22
	v_and_b32_e32 v15, 7, v15
	v_cmp_eq_u16_e32 vcc, 0, v20
	v_cndmask_b32_e32 v10, v10, v15, vcc
	v_cndmask_b32_e32 v15, v21, v22, vcc
	v_mov_b32_e32 v20, 0x3b800000
	v_lshlrev_b32_e32 v10, 20, v10
	v_lshl_add_u32 v15, v15, 23, v20
	v_or3_b32 v10, v14, v15, v10
.LBB14_1596:
	s_or_b64 exec, exec, s[6:7]
	s_movk_i32 s4, 0x7f
	v_cmp_gt_i16_sdwa s[6:7], v11, s4 src0_sel:BYTE_3 src1_sel:DWORD
	s_mov_b64 s[4:5], 0
                                        ; implicit-def: $sgpr10
	s_and_saveexec_b64 s[8:9], s[6:7]
	s_xor_b64 s[6:7], exec, s[8:9]
	s_cbranch_execnz .LBB14_3645
; %bb.1597:
	s_or_saveexec_b64 s[6:7], s[6:7]
	v_mov_b32_e32 v14, s10
	s_xor_b64 exec, exec, s[6:7]
	s_cbranch_execnz .LBB14_3648
.LBB14_1598:
	s_or_b64 exec, exec, s[6:7]
	s_and_saveexec_b64 s[6:7], s[4:5]
	s_cbranch_execz .LBB14_1600
.LBB14_1599:
	v_bfe_u32 v14, v11, 24, 3
	v_ffbh_u32_e32 v22, v14
	v_min_u32_e32 v22, 32, v22
	v_lshrrev_b32_e32 v20, 27, v11
	v_subrev_u32_e32 v23, 28, v22
	v_and_b32_e32 v15, 0x80000000, v11
	v_and_b32_e32 v20, 15, v20
	v_bfe_u32 v21, v11, 27, 4
	v_lshlrev_b32_sdwa v11, v23, v11 dst_sel:DWORD dst_unused:UNUSED_PAD src0_sel:DWORD src1_sel:BYTE_3
	v_sub_u32_e32 v22, 29, v22
	v_and_b32_e32 v11, 7, v11
	v_cmp_eq_u16_e32 vcc, 0, v20
	v_cndmask_b32_e32 v11, v14, v11, vcc
	v_cndmask_b32_e32 v14, v21, v22, vcc
	v_mov_b32_e32 v20, 0x3b800000
	v_lshlrev_b32_e32 v11, 20, v11
	v_lshl_add_u32 v14, v14, 23, v20
	v_or3_b32 v14, v15, v14, v11
.LBB14_1600:
	s_or_b64 exec, exec, s[6:7]
	s_nop 0
	v_mfma_f32_16x16x4f32 a[0:3], v10, v14, a[0:3]
	s_movk_i32 s4, 0x7f
	v_cmp_gt_i16_sdwa s[6:7], v16, s4 src0_sel:BYTE_0 src1_sel:DWORD
	s_mov_b64 s[4:5], 0
                                        ; implicit-def: $sgpr10
	s_and_saveexec_b64 s[8:9], s[6:7]
	s_xor_b64 s[6:7], exec, s[8:9]
	s_cbranch_execnz .LBB14_3649
; %bb.1601:
	s_or_saveexec_b64 s[6:7], s[6:7]
	v_mov_b32_e32 v10, s10
	s_xor_b64 exec, exec, s[6:7]
	s_cbranch_execnz .LBB14_3652
.LBB14_1602:
	s_or_b64 exec, exec, s[6:7]
	s_and_saveexec_b64 s[6:7], s[4:5]
	s_cbranch_execz .LBB14_1604
.LBB14_1603:
	v_and_b32_e32 v10, 7, v16
	v_ffbh_u32_e32 v14, v10
	v_min_u32_e32 v14, 32, v14
	v_lshrrev_b16_e32 v11, 3, v16
	v_subrev_u32_e32 v15, 28, v14
	v_and_b32_e32 v11, 15, v11
	v_lshlrev_b32_e32 v15, v15, v16
	v_sub_u32_e32 v14, 29, v14
	v_and_b32_e32 v15, 7, v15
	v_cmp_eq_u16_e32 vcc, 0, v11
	v_cndmask_b32_e32 v10, v10, v15, vcc
	v_cndmask_b32_e32 v11, v11, v14, vcc
	v_lshlrev_b32_e32 v14, 24, v16
	v_mov_b32_e32 v15, 0x3b800000
	v_lshlrev_b32_e32 v10, 20, v10
	v_and_b32_e32 v14, 0x80000000, v14
	v_lshl_add_u32 v11, v11, 23, v15
	v_or3_b32 v10, v14, v11, v10
.LBB14_1604:
	s_or_b64 exec, exec, s[6:7]
	s_movk_i32 s4, 0x7f
	v_cmp_gt_i16_sdwa s[6:7], v12, s4 src0_sel:BYTE_0 src1_sel:DWORD
	s_mov_b64 s[4:5], 0
                                        ; implicit-def: $sgpr10
	s_and_saveexec_b64 s[8:9], s[6:7]
	s_xor_b64 s[6:7], exec, s[8:9]
	s_cbranch_execnz .LBB14_3653
; %bb.1605:
	s_or_saveexec_b64 s[6:7], s[6:7]
	v_mov_b32_e32 v11, s10
	s_xor_b64 exec, exec, s[6:7]
	s_cbranch_execnz .LBB14_3656
.LBB14_1606:
	s_or_b64 exec, exec, s[6:7]
	s_and_saveexec_b64 s[6:7], s[4:5]
	s_cbranch_execz .LBB14_1608
.LBB14_1607:
	v_and_b32_e32 v11, 7, v12
	v_ffbh_u32_e32 v15, v11
	v_min_u32_e32 v15, 32, v15
	v_lshrrev_b16_e32 v14, 3, v12
	v_subrev_u32_e32 v20, 28, v15
	v_and_b32_e32 v14, 15, v14
	v_lshlrev_b32_e32 v20, v20, v12
	v_sub_u32_e32 v15, 29, v15
	v_and_b32_e32 v20, 7, v20
	v_cmp_eq_u16_e32 vcc, 0, v14
	v_cndmask_b32_e32 v11, v11, v20, vcc
	v_cndmask_b32_e32 v14, v14, v15, vcc
	v_lshlrev_b32_e32 v15, 24, v12
	v_mov_b32_e32 v20, 0x3b800000
	v_lshlrev_b32_e32 v11, 20, v11
	v_and_b32_e32 v15, 0x80000000, v15
	v_lshl_add_u32 v14, v14, 23, v20
	v_or3_b32 v11, v15, v14, v11
.LBB14_1608:
	s_or_b64 exec, exec, s[6:7]
	s_nop 0
	v_mfma_f32_16x16x4f32 a[0:3], v10, v11, a[0:3]
	v_lshrrev_b32_e32 v11, 8, v16
	s_movk_i32 s4, 0x7f
	v_cmp_gt_i16_sdwa s[6:7], v11, s4 src0_sel:BYTE_0 src1_sel:DWORD
	s_mov_b64 s[4:5], 0
                                        ; implicit-def: $sgpr10
	s_and_saveexec_b64 s[8:9], s[6:7]
	s_xor_b64 s[6:7], exec, s[8:9]
	s_cbranch_execnz .LBB14_3657
; %bb.1609:
	s_or_saveexec_b64 s[6:7], s[6:7]
	v_mov_b32_e32 v10, s10
	s_xor_b64 exec, exec, s[6:7]
	s_cbranch_execnz .LBB14_3660
.LBB14_1610:
	s_or_b64 exec, exec, s[6:7]
	s_and_saveexec_b64 s[6:7], s[4:5]
	s_cbranch_execz .LBB14_1612
.LBB14_1611:
	v_bfe_u32 v10, v16, 8, 3
	v_ffbh_u32_e32 v15, v10
	v_min_u32_e32 v15, 32, v15
	v_lshrrev_b16_e32 v14, 3, v11
	v_subrev_u32_e32 v20, 28, v15
	v_and_b32_e32 v14, 15, v14
	v_lshlrev_b32_e32 v11, v20, v11
	v_sub_u32_e32 v15, 29, v15
	v_and_b32_e32 v11, 7, v11
	v_cmp_eq_u16_e32 vcc, 0, v14
	v_cndmask_b32_e32 v10, v10, v11, vcc
	v_cndmask_b32_e32 v11, v14, v15, vcc
	v_lshlrev_b32_e32 v14, 16, v16
	v_mov_b32_e32 v15, 0x3b800000
	v_lshlrev_b32_e32 v10, 20, v10
	v_and_b32_e32 v14, 0x80000000, v14
	v_lshl_add_u32 v11, v11, 23, v15
	v_or3_b32 v10, v14, v11, v10
.LBB14_1612:
	s_or_b64 exec, exec, s[6:7]
	v_lshrrev_b32_e32 v11, 8, v12
	s_movk_i32 s4, 0x7f
	v_cmp_gt_i16_sdwa s[6:7], v11, s4 src0_sel:BYTE_0 src1_sel:DWORD
	s_mov_b64 s[4:5], 0
                                        ; implicit-def: $sgpr10
	s_and_saveexec_b64 s[8:9], s[6:7]
	s_xor_b64 s[6:7], exec, s[8:9]
	s_cbranch_execnz .LBB14_3661
; %bb.1613:
	s_or_saveexec_b64 s[6:7], s[6:7]
	v_mov_b32_e32 v14, s10
	s_xor_b64 exec, exec, s[6:7]
	s_cbranch_execnz .LBB14_3664
.LBB14_1614:
	s_or_b64 exec, exec, s[6:7]
	s_and_saveexec_b64 s[6:7], s[4:5]
	s_cbranch_execz .LBB14_1616
.LBB14_1615:
	v_bfe_u32 v14, v12, 8, 3
	v_ffbh_u32_e32 v20, v14
	v_min_u32_e32 v20, 32, v20
	v_lshrrev_b16_e32 v15, 3, v11
	v_subrev_u32_e32 v21, 28, v20
	v_and_b32_e32 v15, 15, v15
	v_lshlrev_b32_e32 v11, v21, v11
	v_sub_u32_e32 v20, 29, v20
	v_and_b32_e32 v11, 7, v11
	v_cmp_eq_u16_e32 vcc, 0, v15
	v_cndmask_b32_e32 v11, v14, v11, vcc
	v_cndmask_b32_e32 v14, v15, v20, vcc
	v_lshlrev_b32_e32 v15, 16, v12
	v_mov_b32_e32 v20, 0x3b800000
	v_lshlrev_b32_e32 v11, 20, v11
	v_and_b32_e32 v15, 0x80000000, v15
	v_lshl_add_u32 v14, v14, 23, v20
	v_or3_b32 v14, v15, v14, v11
.LBB14_1616:
	s_or_b64 exec, exec, s[6:7]
	s_nop 0
	v_mfma_f32_16x16x4f32 a[0:3], v10, v14, a[0:3]
	s_movk_i32 s4, 0xff
	v_and_b32_sdwa v11, v16, s4 dst_sel:DWORD dst_unused:UNUSED_PAD src0_sel:WORD_1 src1_sel:DWORD
	s_movk_i32 s4, 0x7f
	v_cmp_lt_i16_e32 vcc, s4, v11
	s_mov_b64 s[4:5], 0
                                        ; implicit-def: $sgpr10
	s_and_saveexec_b64 s[6:7], vcc
	s_xor_b64 s[6:7], exec, s[6:7]
	s_cbranch_execnz .LBB14_3665
; %bb.1617:
	s_or_saveexec_b64 s[6:7], s[6:7]
	v_mov_b32_e32 v10, s10
	s_xor_b64 exec, exec, s[6:7]
	s_cbranch_execnz .LBB14_3668
.LBB14_1618:
	s_or_b64 exec, exec, s[6:7]
	s_and_saveexec_b64 s[6:7], s[4:5]
	s_cbranch_execz .LBB14_1620
.LBB14_1619:
	v_bfe_u32 v10, v16, 16, 3
	v_ffbh_u32_e32 v15, v10
	v_min_u32_e32 v15, 32, v15
	v_lshrrev_b32_e32 v11, 19, v16
	v_subrev_u32_e32 v20, 28, v15
	v_and_b32_e32 v11, 15, v11
	v_lshlrev_b32_sdwa v20, v20, v16 dst_sel:DWORD dst_unused:UNUSED_PAD src0_sel:DWORD src1_sel:WORD_1
	v_bfe_u32 v14, v16, 19, 4
	v_sub_u32_e32 v15, 29, v15
	v_and_b32_e32 v20, 7, v20
	v_cmp_eq_u16_e32 vcc, 0, v11
	v_cndmask_b32_e32 v10, v10, v20, vcc
	v_cndmask_b32_e32 v11, v14, v15, vcc
	v_lshlrev_b32_e32 v14, 8, v16
	v_mov_b32_e32 v15, 0x3b800000
	v_lshlrev_b32_e32 v10, 20, v10
	v_and_b32_e32 v14, 0x80000000, v14
	v_lshl_add_u32 v11, v11, 23, v15
	v_or3_b32 v10, v14, v11, v10
.LBB14_1620:
	s_or_b64 exec, exec, s[6:7]
	s_movk_i32 s4, 0xff
	v_and_b32_sdwa v11, v12, s4 dst_sel:DWORD dst_unused:UNUSED_PAD src0_sel:WORD_1 src1_sel:DWORD
	s_movk_i32 s4, 0x7f
	v_cmp_lt_i16_e32 vcc, s4, v11
	s_mov_b64 s[4:5], 0
                                        ; implicit-def: $sgpr10
	s_and_saveexec_b64 s[6:7], vcc
	s_xor_b64 s[6:7], exec, s[6:7]
	s_cbranch_execnz .LBB14_3669
; %bb.1621:
	s_or_saveexec_b64 s[6:7], s[6:7]
	v_mov_b32_e32 v14, s10
	s_xor_b64 exec, exec, s[6:7]
	s_cbranch_execnz .LBB14_3672
.LBB14_1622:
	s_or_b64 exec, exec, s[6:7]
	s_and_saveexec_b64 s[6:7], s[4:5]
	s_cbranch_execz .LBB14_1624
.LBB14_1623:
	v_bfe_u32 v11, v12, 16, 3
	v_ffbh_u32_e32 v20, v11
	v_min_u32_e32 v20, 32, v20
	v_lshrrev_b32_e32 v14, 19, v12
	v_subrev_u32_e32 v21, 28, v20
	v_and_b32_e32 v14, 15, v14
	v_lshlrev_b32_sdwa v21, v21, v12 dst_sel:DWORD dst_unused:UNUSED_PAD src0_sel:DWORD src1_sel:WORD_1
	v_bfe_u32 v15, v12, 19, 4
	v_sub_u32_e32 v20, 29, v20
	v_and_b32_e32 v21, 7, v21
	v_cmp_eq_u16_e32 vcc, 0, v14
	v_cndmask_b32_e32 v11, v11, v21, vcc
	v_cndmask_b32_e32 v14, v15, v20, vcc
	v_lshlrev_b32_e32 v15, 8, v12
	v_mov_b32_e32 v20, 0x3b800000
	v_lshlrev_b32_e32 v11, 20, v11
	v_and_b32_e32 v15, 0x80000000, v15
	v_lshl_add_u32 v14, v14, 23, v20
	v_or3_b32 v14, v15, v14, v11
.LBB14_1624:
	s_or_b64 exec, exec, s[6:7]
	s_nop 0
	v_mfma_f32_16x16x4f32 a[0:3], v10, v14, a[0:3]
	s_movk_i32 s4, 0x7f
	v_cmp_gt_i16_sdwa s[6:7], v16, s4 src0_sel:BYTE_3 src1_sel:DWORD
	s_mov_b64 s[4:5], 0
                                        ; implicit-def: $sgpr10
	s_and_saveexec_b64 s[8:9], s[6:7]
	s_xor_b64 s[6:7], exec, s[8:9]
	s_cbranch_execnz .LBB14_3673
; %bb.1625:
	s_or_saveexec_b64 s[6:7], s[6:7]
	v_mov_b32_e32 v10, s10
	s_xor_b64 exec, exec, s[6:7]
	s_cbranch_execnz .LBB14_3676
.LBB14_1626:
	s_or_b64 exec, exec, s[6:7]
	s_and_saveexec_b64 s[6:7], s[4:5]
	s_cbranch_execz .LBB14_1628
.LBB14_1627:
	v_bfe_u32 v10, v16, 24, 3
	v_ffbh_u32_e32 v20, v10
	v_min_u32_e32 v20, 32, v20
	v_lshrrev_b32_e32 v14, 27, v16
	v_subrev_u32_e32 v21, 28, v20
	v_and_b32_e32 v11, 0x80000000, v16
	v_and_b32_e32 v14, 15, v14
	v_bfe_u32 v15, v16, 27, 4
	v_lshlrev_b32_sdwa v16, v21, v16 dst_sel:DWORD dst_unused:UNUSED_PAD src0_sel:DWORD src1_sel:BYTE_3
	v_sub_u32_e32 v20, 29, v20
	v_and_b32_e32 v16, 7, v16
	v_cmp_eq_u16_e32 vcc, 0, v14
	v_cndmask_b32_e32 v10, v10, v16, vcc
	v_cndmask_b32_e32 v14, v15, v20, vcc
	v_mov_b32_e32 v15, 0x3b800000
	v_lshlrev_b32_e32 v10, 20, v10
	v_lshl_add_u32 v14, v14, 23, v15
	v_or3_b32 v10, v11, v14, v10
.LBB14_1628:
	s_or_b64 exec, exec, s[6:7]
	s_movk_i32 s4, 0x7f
	v_cmp_gt_i16_sdwa s[6:7], v12, s4 src0_sel:BYTE_3 src1_sel:DWORD
	s_mov_b64 s[4:5], 0
                                        ; implicit-def: $sgpr10
	s_and_saveexec_b64 s[8:9], s[6:7]
	s_xor_b64 s[6:7], exec, s[8:9]
	s_cbranch_execnz .LBB14_3677
; %bb.1629:
	s_or_saveexec_b64 s[6:7], s[6:7]
	v_mov_b32_e32 v11, s10
	s_xor_b64 exec, exec, s[6:7]
	s_cbranch_execnz .LBB14_3680
.LBB14_1630:
	s_or_b64 exec, exec, s[6:7]
	s_and_saveexec_b64 s[6:7], s[4:5]
	s_cbranch_execz .LBB14_1632
.LBB14_1631:
	v_bfe_u32 v11, v12, 24, 3
	v_ffbh_u32_e32 v20, v11
	v_min_u32_e32 v20, 32, v20
	v_lshrrev_b32_e32 v15, 27, v12
	v_subrev_u32_e32 v21, 28, v20
	v_and_b32_e32 v14, 0x80000000, v12
	v_and_b32_e32 v15, 15, v15
	v_bfe_u32 v16, v12, 27, 4
	v_lshlrev_b32_sdwa v12, v21, v12 dst_sel:DWORD dst_unused:UNUSED_PAD src0_sel:DWORD src1_sel:BYTE_3
	v_sub_u32_e32 v20, 29, v20
	v_and_b32_e32 v12, 7, v12
	v_cmp_eq_u16_e32 vcc, 0, v15
	v_cndmask_b32_e32 v11, v11, v12, vcc
	v_cndmask_b32_e32 v12, v16, v20, vcc
	v_mov_b32_e32 v15, 0x3b800000
	v_lshlrev_b32_e32 v11, 20, v11
	v_lshl_add_u32 v12, v12, 23, v15
	v_or3_b32 v11, v14, v12, v11
.LBB14_1632:
	s_or_b64 exec, exec, s[6:7]
	s_nop 0
	v_mfma_f32_16x16x4f32 a[0:3], v10, v11, a[0:3]
	s_movk_i32 s4, 0x7f
	v_cmp_gt_i16_sdwa s[6:7], v17, s4 src0_sel:BYTE_0 src1_sel:DWORD
	s_mov_b64 s[4:5], 0
                                        ; implicit-def: $sgpr10
	s_and_saveexec_b64 s[8:9], s[6:7]
	s_xor_b64 s[6:7], exec, s[8:9]
	s_cbranch_execnz .LBB14_3681
; %bb.1633:
	s_or_saveexec_b64 s[6:7], s[6:7]
	v_mov_b32_e32 v10, s10
	s_xor_b64 exec, exec, s[6:7]
	s_cbranch_execnz .LBB14_3684
.LBB14_1634:
	s_or_b64 exec, exec, s[6:7]
	s_and_saveexec_b64 s[6:7], s[4:5]
	s_cbranch_execz .LBB14_1636
.LBB14_1635:
	v_and_b32_e32 v10, 7, v17
	v_ffbh_u32_e32 v12, v10
	v_min_u32_e32 v12, 32, v12
	v_lshrrev_b16_e32 v11, 3, v17
	v_subrev_u32_e32 v14, 28, v12
	v_and_b32_e32 v11, 15, v11
	v_lshlrev_b32_e32 v14, v14, v17
	v_sub_u32_e32 v12, 29, v12
	v_and_b32_e32 v14, 7, v14
	v_cmp_eq_u16_e32 vcc, 0, v11
	v_cndmask_b32_e32 v10, v10, v14, vcc
	v_cndmask_b32_e32 v11, v11, v12, vcc
	v_lshlrev_b32_e32 v12, 24, v17
	v_mov_b32_e32 v14, 0x3b800000
	v_lshlrev_b32_e32 v10, 20, v10
	v_and_b32_e32 v12, 0x80000000, v12
	v_lshl_add_u32 v11, v11, 23, v14
	v_or3_b32 v10, v12, v11, v10
.LBB14_1636:
	s_or_b64 exec, exec, s[6:7]
	s_movk_i32 s4, 0x7f
	v_cmp_gt_i16_sdwa s[6:7], v13, s4 src0_sel:BYTE_0 src1_sel:DWORD
	s_mov_b64 s[4:5], 0
                                        ; implicit-def: $sgpr10
	s_and_saveexec_b64 s[8:9], s[6:7]
	s_xor_b64 s[6:7], exec, s[8:9]
	s_cbranch_execnz .LBB14_3685
; %bb.1637:
	s_or_saveexec_b64 s[6:7], s[6:7]
	v_mov_b32_e32 v11, s10
	s_xor_b64 exec, exec, s[6:7]
	s_cbranch_execnz .LBB14_3688
.LBB14_1638:
	s_or_b64 exec, exec, s[6:7]
	s_and_saveexec_b64 s[6:7], s[4:5]
	s_cbranch_execz .LBB14_1640
.LBB14_1639:
	v_and_b32_e32 v11, 7, v13
	v_ffbh_u32_e32 v14, v11
	v_min_u32_e32 v14, 32, v14
	v_lshrrev_b16_e32 v12, 3, v13
	v_subrev_u32_e32 v15, 28, v14
	v_and_b32_e32 v12, 15, v12
	v_lshlrev_b32_e32 v15, v15, v13
	v_sub_u32_e32 v14, 29, v14
	v_and_b32_e32 v15, 7, v15
	v_cmp_eq_u16_e32 vcc, 0, v12
	v_cndmask_b32_e32 v11, v11, v15, vcc
	v_cndmask_b32_e32 v12, v12, v14, vcc
	v_lshlrev_b32_e32 v14, 24, v13
	v_mov_b32_e32 v15, 0x3b800000
	v_lshlrev_b32_e32 v11, 20, v11
	v_and_b32_e32 v14, 0x80000000, v14
	v_lshl_add_u32 v12, v12, 23, v15
	v_or3_b32 v11, v14, v12, v11
.LBB14_1640:
	s_or_b64 exec, exec, s[6:7]
	s_nop 0
	v_mfma_f32_16x16x4f32 a[0:3], v10, v11, a[0:3]
	v_lshrrev_b32_e32 v11, 8, v17
	s_movk_i32 s4, 0x7f
	v_cmp_gt_i16_sdwa s[6:7], v11, s4 src0_sel:BYTE_0 src1_sel:DWORD
	s_mov_b64 s[4:5], 0
                                        ; implicit-def: $sgpr10
	s_and_saveexec_b64 s[8:9], s[6:7]
	s_xor_b64 s[6:7], exec, s[8:9]
	s_cbranch_execnz .LBB14_3689
; %bb.1641:
	s_or_saveexec_b64 s[6:7], s[6:7]
	v_mov_b32_e32 v10, s10
	s_xor_b64 exec, exec, s[6:7]
	s_cbranch_execnz .LBB14_3692
.LBB14_1642:
	s_or_b64 exec, exec, s[6:7]
	s_and_saveexec_b64 s[6:7], s[4:5]
	s_cbranch_execz .LBB14_1644
.LBB14_1643:
	v_bfe_u32 v10, v17, 8, 3
	v_ffbh_u32_e32 v14, v10
	v_min_u32_e32 v14, 32, v14
	v_lshrrev_b16_e32 v12, 3, v11
	v_subrev_u32_e32 v15, 28, v14
	v_and_b32_e32 v12, 15, v12
	v_lshlrev_b32_e32 v11, v15, v11
	v_sub_u32_e32 v14, 29, v14
	v_and_b32_e32 v11, 7, v11
	v_cmp_eq_u16_e32 vcc, 0, v12
	v_cndmask_b32_e32 v10, v10, v11, vcc
	v_cndmask_b32_e32 v11, v12, v14, vcc
	v_lshlrev_b32_e32 v12, 16, v17
	v_mov_b32_e32 v14, 0x3b800000
	v_lshlrev_b32_e32 v10, 20, v10
	v_and_b32_e32 v12, 0x80000000, v12
	v_lshl_add_u32 v11, v11, 23, v14
	v_or3_b32 v10, v12, v11, v10
.LBB14_1644:
	s_or_b64 exec, exec, s[6:7]
	v_lshrrev_b32_e32 v11, 8, v13
	s_movk_i32 s4, 0x7f
	v_cmp_gt_i16_sdwa s[6:7], v11, s4 src0_sel:BYTE_0 src1_sel:DWORD
	s_mov_b64 s[4:5], 0
                                        ; implicit-def: $sgpr10
	s_and_saveexec_b64 s[8:9], s[6:7]
	s_xor_b64 s[6:7], exec, s[8:9]
	s_cbranch_execnz .LBB14_3693
; %bb.1645:
	s_or_saveexec_b64 s[6:7], s[6:7]
	v_mov_b32_e32 v12, s10
	s_xor_b64 exec, exec, s[6:7]
	s_cbranch_execnz .LBB14_3696
.LBB14_1646:
	s_or_b64 exec, exec, s[6:7]
	s_and_saveexec_b64 s[6:7], s[4:5]
	s_cbranch_execz .LBB14_1648
.LBB14_1647:
	v_bfe_u32 v12, v13, 8, 3
	v_ffbh_u32_e32 v15, v12
	v_min_u32_e32 v15, 32, v15
	v_lshrrev_b16_e32 v14, 3, v11
	v_subrev_u32_e32 v16, 28, v15
	v_and_b32_e32 v14, 15, v14
	v_lshlrev_b32_e32 v11, v16, v11
	v_sub_u32_e32 v15, 29, v15
	v_and_b32_e32 v11, 7, v11
	v_cmp_eq_u16_e32 vcc, 0, v14
	v_cndmask_b32_e32 v11, v12, v11, vcc
	v_cndmask_b32_e32 v12, v14, v15, vcc
	v_lshlrev_b32_e32 v14, 16, v13
	v_mov_b32_e32 v15, 0x3b800000
	v_lshlrev_b32_e32 v11, 20, v11
	v_and_b32_e32 v14, 0x80000000, v14
	v_lshl_add_u32 v12, v12, 23, v15
	v_or3_b32 v12, v14, v12, v11
.LBB14_1648:
	s_or_b64 exec, exec, s[6:7]
	s_nop 0
	v_mfma_f32_16x16x4f32 a[0:3], v10, v12, a[0:3]
	s_movk_i32 s4, 0xff
	v_and_b32_sdwa v11, v17, s4 dst_sel:DWORD dst_unused:UNUSED_PAD src0_sel:WORD_1 src1_sel:DWORD
	s_movk_i32 s4, 0x7f
	v_cmp_lt_i16_e32 vcc, s4, v11
	s_mov_b64 s[4:5], 0
                                        ; implicit-def: $sgpr10
	s_and_saveexec_b64 s[6:7], vcc
	s_xor_b64 s[6:7], exec, s[6:7]
	s_cbranch_execnz .LBB14_3697
; %bb.1649:
	s_or_saveexec_b64 s[6:7], s[6:7]
	v_mov_b32_e32 v10, s10
	s_xor_b64 exec, exec, s[6:7]
	s_cbranch_execnz .LBB14_3700
.LBB14_1650:
	s_or_b64 exec, exec, s[6:7]
	s_and_saveexec_b64 s[6:7], s[4:5]
	s_cbranch_execz .LBB14_1652
.LBB14_1651:
	v_bfe_u32 v10, v17, 16, 3
	v_ffbh_u32_e32 v14, v10
	v_min_u32_e32 v14, 32, v14
	v_lshrrev_b32_e32 v11, 19, v17
	v_subrev_u32_e32 v15, 28, v14
	v_and_b32_e32 v11, 15, v11
	v_lshlrev_b32_sdwa v15, v15, v17 dst_sel:DWORD dst_unused:UNUSED_PAD src0_sel:DWORD src1_sel:WORD_1
	v_bfe_u32 v12, v17, 19, 4
	v_sub_u32_e32 v14, 29, v14
	v_and_b32_e32 v15, 7, v15
	v_cmp_eq_u16_e32 vcc, 0, v11
	v_cndmask_b32_e32 v10, v10, v15, vcc
	v_cndmask_b32_e32 v11, v12, v14, vcc
	v_lshlrev_b32_e32 v12, 8, v17
	v_mov_b32_e32 v14, 0x3b800000
	v_lshlrev_b32_e32 v10, 20, v10
	v_and_b32_e32 v12, 0x80000000, v12
	v_lshl_add_u32 v11, v11, 23, v14
	v_or3_b32 v10, v12, v11, v10
.LBB14_1652:
	s_or_b64 exec, exec, s[6:7]
	s_movk_i32 s4, 0xff
	v_and_b32_sdwa v11, v13, s4 dst_sel:DWORD dst_unused:UNUSED_PAD src0_sel:WORD_1 src1_sel:DWORD
	s_movk_i32 s4, 0x7f
	v_cmp_lt_i16_e32 vcc, s4, v11
	s_mov_b64 s[4:5], 0
                                        ; implicit-def: $sgpr10
	s_and_saveexec_b64 s[6:7], vcc
	s_xor_b64 s[6:7], exec, s[6:7]
	s_cbranch_execnz .LBB14_3701
; %bb.1653:
	s_or_saveexec_b64 s[6:7], s[6:7]
	v_mov_b32_e32 v12, s10
	s_xor_b64 exec, exec, s[6:7]
	s_cbranch_execnz .LBB14_3704
.LBB14_1654:
	s_or_b64 exec, exec, s[6:7]
	s_and_saveexec_b64 s[6:7], s[4:5]
	s_cbranch_execz .LBB14_1656
.LBB14_1655:
	v_bfe_u32 v11, v13, 16, 3
	v_ffbh_u32_e32 v15, v11
	v_min_u32_e32 v15, 32, v15
	v_lshrrev_b32_e32 v12, 19, v13
	v_subrev_u32_e32 v16, 28, v15
	v_and_b32_e32 v12, 15, v12
	v_lshlrev_b32_sdwa v16, v16, v13 dst_sel:DWORD dst_unused:UNUSED_PAD src0_sel:DWORD src1_sel:WORD_1
	v_bfe_u32 v14, v13, 19, 4
	v_sub_u32_e32 v15, 29, v15
	v_and_b32_e32 v16, 7, v16
	v_cmp_eq_u16_e32 vcc, 0, v12
	v_cndmask_b32_e32 v11, v11, v16, vcc
	v_cndmask_b32_e32 v12, v14, v15, vcc
	v_lshlrev_b32_e32 v14, 8, v13
	v_mov_b32_e32 v15, 0x3b800000
	v_lshlrev_b32_e32 v11, 20, v11
	v_and_b32_e32 v14, 0x80000000, v14
	v_lshl_add_u32 v12, v12, 23, v15
	v_or3_b32 v12, v14, v12, v11
.LBB14_1656:
	s_or_b64 exec, exec, s[6:7]
	s_nop 0
	v_mfma_f32_16x16x4f32 a[0:3], v10, v12, a[0:3]
	s_movk_i32 s4, 0x7f
	v_cmp_gt_i16_sdwa s[6:7], v17, s4 src0_sel:BYTE_3 src1_sel:DWORD
	s_mov_b64 s[4:5], 0
                                        ; implicit-def: $sgpr10
	s_and_saveexec_b64 s[8:9], s[6:7]
	s_xor_b64 s[6:7], exec, s[8:9]
	s_cbranch_execnz .LBB14_3705
; %bb.1657:
	s_or_saveexec_b64 s[6:7], s[6:7]
	v_mov_b32_e32 v10, s10
	s_xor_b64 exec, exec, s[6:7]
	s_cbranch_execnz .LBB14_3708
.LBB14_1658:
	s_or_b64 exec, exec, s[6:7]
	s_and_saveexec_b64 s[6:7], s[4:5]
	s_cbranch_execz .LBB14_1660
.LBB14_1659:
	v_bfe_u32 v10, v17, 24, 3
	v_ffbh_u32_e32 v15, v10
	v_min_u32_e32 v15, 32, v15
	v_lshrrev_b32_e32 v12, 27, v17
	v_subrev_u32_e32 v16, 28, v15
	v_and_b32_e32 v12, 15, v12
	v_lshlrev_b32_sdwa v16, v16, v17 dst_sel:DWORD dst_unused:UNUSED_PAD src0_sel:DWORD src1_sel:BYTE_3
	v_bfe_u32 v14, v17, 27, 4
	v_sub_u32_e32 v15, 29, v15
	v_and_b32_e32 v16, 7, v16
	v_cmp_eq_u16_e32 vcc, 0, v12
	v_cndmask_b32_e32 v10, v10, v16, vcc
	v_cndmask_b32_e32 v12, v14, v15, vcc
	v_mov_b32_e32 v14, 0x3b800000
	v_and_b32_e32 v11, 0x80000000, v17
	v_lshlrev_b32_e32 v10, 20, v10
	v_lshl_add_u32 v12, v12, 23, v14
	v_or3_b32 v10, v11, v12, v10
.LBB14_1660:
	s_or_b64 exec, exec, s[6:7]
	s_movk_i32 s4, 0x7f
	v_cmp_gt_i16_sdwa s[6:7], v13, s4 src0_sel:BYTE_3 src1_sel:DWORD
	s_mov_b64 s[4:5], 0
                                        ; implicit-def: $sgpr10
	s_and_saveexec_b64 s[8:9], s[6:7]
	s_xor_b64 s[6:7], exec, s[8:9]
	s_cbranch_execnz .LBB14_3709
; %bb.1661:
	s_or_saveexec_b64 s[6:7], s[6:7]
	v_mov_b32_e32 v11, s10
	s_xor_b64 exec, exec, s[6:7]
	s_cbranch_execnz .LBB14_3712
.LBB14_1662:
	s_or_b64 exec, exec, s[6:7]
	s_and_saveexec_b64 s[6:7], s[4:5]
	s_cbranch_execz .LBB14_1664
.LBB14_1663:
	v_bfe_u32 v11, v13, 24, 3
	v_ffbh_u32_e32 v16, v11
	v_min_u32_e32 v16, 32, v16
	v_lshrrev_b32_e32 v14, 27, v13
	v_subrev_u32_e32 v17, 28, v16
	v_and_b32_e32 v12, 0x80000000, v13
	v_and_b32_e32 v14, 15, v14
	v_bfe_u32 v15, v13, 27, 4
	v_lshlrev_b32_sdwa v13, v17, v13 dst_sel:DWORD dst_unused:UNUSED_PAD src0_sel:DWORD src1_sel:BYTE_3
	v_sub_u32_e32 v16, 29, v16
	v_and_b32_e32 v13, 7, v13
	v_cmp_eq_u16_e32 vcc, 0, v14
	v_cndmask_b32_e32 v11, v11, v13, vcc
	v_cndmask_b32_e32 v13, v15, v16, vcc
	v_mov_b32_e32 v14, 0x3b800000
	v_lshlrev_b32_e32 v11, 20, v11
	v_lshl_add_u32 v13, v13, 23, v14
	v_or3_b32 v11, v12, v13, v11
.LBB14_1664:
	s_or_b64 exec, exec, s[6:7]
	s_nop 0
	v_mfma_f32_16x16x4f32 a[0:3], v10, v11, a[0:3]
	s_movk_i32 s4, 0x7f
	v_cmp_gt_i16_sdwa s[6:7], v6, s4 src0_sel:BYTE_0 src1_sel:DWORD
	s_mov_b64 s[4:5], 0
                                        ; implicit-def: $sgpr10
	s_and_saveexec_b64 s[8:9], s[6:7]
	s_xor_b64 s[6:7], exec, s[8:9]
	s_cbranch_execnz .LBB14_3713
; %bb.1665:
	s_or_saveexec_b64 s[6:7], s[6:7]
	v_mov_b32_e32 v10, s10
	s_xor_b64 exec, exec, s[6:7]
	s_cbranch_execnz .LBB14_3716
.LBB14_1666:
	s_or_b64 exec, exec, s[6:7]
	s_and_saveexec_b64 s[6:7], s[4:5]
	s_cbranch_execz .LBB14_1668
.LBB14_1667:
	v_and_b32_e32 v10, 7, v6
	v_ffbh_u32_e32 v12, v10
	v_min_u32_e32 v12, 32, v12
	v_lshrrev_b16_e32 v11, 3, v6
	v_subrev_u32_e32 v13, 28, v12
	v_and_b32_e32 v11, 15, v11
	v_lshlrev_b32_e32 v13, v13, v6
	v_sub_u32_e32 v12, 29, v12
	v_and_b32_e32 v13, 7, v13
	v_cmp_eq_u16_e32 vcc, 0, v11
	v_cndmask_b32_e32 v10, v10, v13, vcc
	v_cndmask_b32_e32 v11, v11, v12, vcc
	v_lshlrev_b32_e32 v12, 24, v6
	v_mov_b32_e32 v13, 0x3b800000
	v_lshlrev_b32_e32 v10, 20, v10
	v_and_b32_e32 v12, 0x80000000, v12
	v_lshl_add_u32 v11, v11, 23, v13
	v_or3_b32 v10, v12, v11, v10
.LBB14_1668:
	s_or_b64 exec, exec, s[6:7]
	s_movk_i32 s4, 0x7f
	v_cmp_gt_i16_sdwa s[6:7], v2, s4 src0_sel:BYTE_0 src1_sel:DWORD
	s_mov_b64 s[4:5], 0
                                        ; implicit-def: $sgpr10
	s_and_saveexec_b64 s[8:9], s[6:7]
	s_xor_b64 s[6:7], exec, s[8:9]
	s_cbranch_execnz .LBB14_3717
; %bb.1669:
	s_or_saveexec_b64 s[6:7], s[6:7]
	v_mov_b32_e32 v11, s10
	s_xor_b64 exec, exec, s[6:7]
	s_cbranch_execnz .LBB14_3720
.LBB14_1670:
	s_or_b64 exec, exec, s[6:7]
	s_and_saveexec_b64 s[6:7], s[4:5]
	s_cbranch_execz .LBB14_1672
.LBB14_1671:
	v_and_b32_e32 v11, 7, v2
	v_ffbh_u32_e32 v13, v11
	v_min_u32_e32 v13, 32, v13
	v_lshrrev_b16_e32 v12, 3, v2
	v_subrev_u32_e32 v14, 28, v13
	v_and_b32_e32 v12, 15, v12
	v_lshlrev_b32_e32 v14, v14, v2
	v_sub_u32_e32 v13, 29, v13
	v_and_b32_e32 v14, 7, v14
	v_cmp_eq_u16_e32 vcc, 0, v12
	v_cndmask_b32_e32 v11, v11, v14, vcc
	v_cndmask_b32_e32 v12, v12, v13, vcc
	v_lshlrev_b32_e32 v13, 24, v2
	v_mov_b32_e32 v14, 0x3b800000
	v_lshlrev_b32_e32 v11, 20, v11
	v_and_b32_e32 v13, 0x80000000, v13
	v_lshl_add_u32 v12, v12, 23, v14
	v_or3_b32 v11, v13, v12, v11
.LBB14_1672:
	s_or_b64 exec, exec, s[6:7]
	s_nop 0
	v_mfma_f32_16x16x4f32 a[0:3], v10, v11, a[0:3]
	v_lshrrev_b32_e32 v11, 8, v6
	s_movk_i32 s4, 0x7f
	v_cmp_gt_i16_sdwa s[6:7], v11, s4 src0_sel:BYTE_0 src1_sel:DWORD
	s_mov_b64 s[4:5], 0
                                        ; implicit-def: $sgpr10
	s_and_saveexec_b64 s[8:9], s[6:7]
	s_xor_b64 s[6:7], exec, s[8:9]
	s_cbranch_execnz .LBB14_3721
; %bb.1673:
	s_or_saveexec_b64 s[6:7], s[6:7]
	v_mov_b32_e32 v10, s10
	s_xor_b64 exec, exec, s[6:7]
	s_cbranch_execnz .LBB14_3724
.LBB14_1674:
	s_or_b64 exec, exec, s[6:7]
	s_and_saveexec_b64 s[6:7], s[4:5]
	s_cbranch_execz .LBB14_1676
.LBB14_1675:
	v_bfe_u32 v10, v6, 8, 3
	v_ffbh_u32_e32 v13, v10
	v_min_u32_e32 v13, 32, v13
	v_lshrrev_b16_e32 v12, 3, v11
	v_subrev_u32_e32 v14, 28, v13
	v_and_b32_e32 v12, 15, v12
	v_lshlrev_b32_e32 v11, v14, v11
	v_sub_u32_e32 v13, 29, v13
	v_and_b32_e32 v11, 7, v11
	v_cmp_eq_u16_e32 vcc, 0, v12
	v_cndmask_b32_e32 v10, v10, v11, vcc
	v_cndmask_b32_e32 v11, v12, v13, vcc
	v_lshlrev_b32_e32 v12, 16, v6
	v_mov_b32_e32 v13, 0x3b800000
	v_lshlrev_b32_e32 v10, 20, v10
	v_and_b32_e32 v12, 0x80000000, v12
	v_lshl_add_u32 v11, v11, 23, v13
	v_or3_b32 v10, v12, v11, v10
.LBB14_1676:
	s_or_b64 exec, exec, s[6:7]
	v_lshrrev_b32_e32 v11, 8, v2
	s_movk_i32 s4, 0x7f
	v_cmp_gt_i16_sdwa s[6:7], v11, s4 src0_sel:BYTE_0 src1_sel:DWORD
	s_mov_b64 s[4:5], 0
                                        ; implicit-def: $sgpr10
	s_and_saveexec_b64 s[8:9], s[6:7]
	s_xor_b64 s[6:7], exec, s[8:9]
	s_cbranch_execnz .LBB14_3725
; %bb.1677:
	s_or_saveexec_b64 s[6:7], s[6:7]
	v_mov_b32_e32 v12, s10
	s_xor_b64 exec, exec, s[6:7]
	s_cbranch_execnz .LBB14_3728
.LBB14_1678:
	s_or_b64 exec, exec, s[6:7]
	s_and_saveexec_b64 s[6:7], s[4:5]
	s_cbranch_execz .LBB14_1680
.LBB14_1679:
	v_bfe_u32 v12, v2, 8, 3
	v_ffbh_u32_e32 v14, v12
	v_min_u32_e32 v14, 32, v14
	v_lshrrev_b16_e32 v13, 3, v11
	v_subrev_u32_e32 v15, 28, v14
	v_and_b32_e32 v13, 15, v13
	v_lshlrev_b32_e32 v11, v15, v11
	v_sub_u32_e32 v14, 29, v14
	v_and_b32_e32 v11, 7, v11
	v_cmp_eq_u16_e32 vcc, 0, v13
	v_cndmask_b32_e32 v11, v12, v11, vcc
	v_cndmask_b32_e32 v12, v13, v14, vcc
	v_lshlrev_b32_e32 v13, 16, v2
	v_mov_b32_e32 v14, 0x3b800000
	v_lshlrev_b32_e32 v11, 20, v11
	v_and_b32_e32 v13, 0x80000000, v13
	v_lshl_add_u32 v12, v12, 23, v14
	v_or3_b32 v12, v13, v12, v11
.LBB14_1680:
	s_or_b64 exec, exec, s[6:7]
	s_nop 0
	v_mfma_f32_16x16x4f32 a[0:3], v10, v12, a[0:3]
	s_movk_i32 s4, 0xff
	v_and_b32_sdwa v11, v6, s4 dst_sel:DWORD dst_unused:UNUSED_PAD src0_sel:WORD_1 src1_sel:DWORD
	s_movk_i32 s4, 0x7f
	v_cmp_lt_i16_e32 vcc, s4, v11
	s_mov_b64 s[4:5], 0
                                        ; implicit-def: $sgpr10
	s_and_saveexec_b64 s[6:7], vcc
	s_xor_b64 s[6:7], exec, s[6:7]
	s_cbranch_execnz .LBB14_3729
; %bb.1681:
	s_or_saveexec_b64 s[6:7], s[6:7]
	v_mov_b32_e32 v10, s10
	s_xor_b64 exec, exec, s[6:7]
	s_cbranch_execnz .LBB14_3732
.LBB14_1682:
	s_or_b64 exec, exec, s[6:7]
	s_and_saveexec_b64 s[6:7], s[4:5]
	s_cbranch_execz .LBB14_1684
.LBB14_1683:
	v_bfe_u32 v10, v6, 16, 3
	v_ffbh_u32_e32 v13, v10
	v_min_u32_e32 v13, 32, v13
	v_lshrrev_b32_e32 v11, 19, v6
	v_subrev_u32_e32 v14, 28, v13
	v_and_b32_e32 v11, 15, v11
	v_lshlrev_b32_sdwa v14, v14, v6 dst_sel:DWORD dst_unused:UNUSED_PAD src0_sel:DWORD src1_sel:WORD_1
	v_bfe_u32 v12, v6, 19, 4
	v_sub_u32_e32 v13, 29, v13
	v_and_b32_e32 v14, 7, v14
	v_cmp_eq_u16_e32 vcc, 0, v11
	v_cndmask_b32_e32 v10, v10, v14, vcc
	v_cndmask_b32_e32 v11, v12, v13, vcc
	v_lshlrev_b32_e32 v12, 8, v6
	v_mov_b32_e32 v13, 0x3b800000
	v_lshlrev_b32_e32 v10, 20, v10
	v_and_b32_e32 v12, 0x80000000, v12
	v_lshl_add_u32 v11, v11, 23, v13
	v_or3_b32 v10, v12, v11, v10
.LBB14_1684:
	s_or_b64 exec, exec, s[6:7]
	s_movk_i32 s4, 0xff
	v_and_b32_sdwa v11, v2, s4 dst_sel:DWORD dst_unused:UNUSED_PAD src0_sel:WORD_1 src1_sel:DWORD
	s_movk_i32 s4, 0x7f
	v_cmp_lt_i16_e32 vcc, s4, v11
	s_mov_b64 s[4:5], 0
                                        ; implicit-def: $sgpr10
	s_and_saveexec_b64 s[6:7], vcc
	s_xor_b64 s[6:7], exec, s[6:7]
	s_cbranch_execnz .LBB14_3733
; %bb.1685:
	s_or_saveexec_b64 s[6:7], s[6:7]
	v_mov_b32_e32 v12, s10
	s_xor_b64 exec, exec, s[6:7]
	s_cbranch_execnz .LBB14_3736
.LBB14_1686:
	s_or_b64 exec, exec, s[6:7]
	s_and_saveexec_b64 s[6:7], s[4:5]
	s_cbranch_execz .LBB14_1688
.LBB14_1687:
	v_bfe_u32 v11, v2, 16, 3
	v_ffbh_u32_e32 v14, v11
	v_min_u32_e32 v14, 32, v14
	v_lshrrev_b32_e32 v12, 19, v2
	v_subrev_u32_e32 v15, 28, v14
	v_and_b32_e32 v12, 15, v12
	v_lshlrev_b32_sdwa v15, v15, v2 dst_sel:DWORD dst_unused:UNUSED_PAD src0_sel:DWORD src1_sel:WORD_1
	v_bfe_u32 v13, v2, 19, 4
	v_sub_u32_e32 v14, 29, v14
	v_and_b32_e32 v15, 7, v15
	v_cmp_eq_u16_e32 vcc, 0, v12
	v_cndmask_b32_e32 v11, v11, v15, vcc
	v_cndmask_b32_e32 v12, v13, v14, vcc
	v_lshlrev_b32_e32 v13, 8, v2
	v_mov_b32_e32 v14, 0x3b800000
	v_lshlrev_b32_e32 v11, 20, v11
	v_and_b32_e32 v13, 0x80000000, v13
	v_lshl_add_u32 v12, v12, 23, v14
	v_or3_b32 v12, v13, v12, v11
.LBB14_1688:
	s_or_b64 exec, exec, s[6:7]
	s_nop 0
	v_mfma_f32_16x16x4f32 a[0:3], v10, v12, a[0:3]
	s_movk_i32 s4, 0x7f
	v_cmp_gt_i16_sdwa s[6:7], v6, s4 src0_sel:BYTE_3 src1_sel:DWORD
	s_mov_b64 s[4:5], 0
                                        ; implicit-def: $sgpr10
	s_and_saveexec_b64 s[8:9], s[6:7]
	s_xor_b64 s[6:7], exec, s[8:9]
	s_cbranch_execnz .LBB14_3737
; %bb.1689:
	s_or_saveexec_b64 s[6:7], s[6:7]
	v_mov_b32_e32 v10, s10
	s_xor_b64 exec, exec, s[6:7]
	s_cbranch_execnz .LBB14_3740
.LBB14_1690:
	s_or_b64 exec, exec, s[6:7]
	s_and_saveexec_b64 s[6:7], s[4:5]
	s_cbranch_execz .LBB14_1692
.LBB14_1691:
	v_bfe_u32 v10, v6, 24, 3
	v_ffbh_u32_e32 v14, v10
	v_min_u32_e32 v14, 32, v14
	v_lshrrev_b32_e32 v12, 27, v6
	v_subrev_u32_e32 v15, 28, v14
	v_and_b32_e32 v11, 0x80000000, v6
	v_and_b32_e32 v12, 15, v12
	v_bfe_u32 v13, v6, 27, 4
	v_lshlrev_b32_sdwa v6, v15, v6 dst_sel:DWORD dst_unused:UNUSED_PAD src0_sel:DWORD src1_sel:BYTE_3
	v_sub_u32_e32 v14, 29, v14
	v_and_b32_e32 v6, 7, v6
	v_cmp_eq_u16_e32 vcc, 0, v12
	v_cndmask_b32_e32 v6, v10, v6, vcc
	v_cndmask_b32_e32 v10, v13, v14, vcc
	v_mov_b32_e32 v12, 0x3b800000
	v_lshlrev_b32_e32 v6, 20, v6
	v_lshl_add_u32 v10, v10, 23, v12
	v_or3_b32 v10, v11, v10, v6
.LBB14_1692:
	s_or_b64 exec, exec, s[6:7]
	s_movk_i32 s4, 0x7f
	v_cmp_gt_i16_sdwa s[6:7], v2, s4 src0_sel:BYTE_3 src1_sel:DWORD
	s_mov_b64 s[4:5], 0
                                        ; implicit-def: $sgpr10
	s_and_saveexec_b64 s[8:9], s[6:7]
	s_xor_b64 s[6:7], exec, s[8:9]
	s_cbranch_execnz .LBB14_3741
; %bb.1693:
	s_or_saveexec_b64 s[6:7], s[6:7]
	v_mov_b32_e32 v6, s10
	s_xor_b64 exec, exec, s[6:7]
	s_cbranch_execnz .LBB14_3744
.LBB14_1694:
	s_or_b64 exec, exec, s[6:7]
	s_and_saveexec_b64 s[6:7], s[4:5]
	s_cbranch_execz .LBB14_1696
.LBB14_1695:
	v_bfe_u32 v6, v2, 24, 3
	v_ffbh_u32_e32 v14, v6
	v_min_u32_e32 v14, 32, v14
	v_lshrrev_b32_e32 v12, 27, v2
	v_subrev_u32_e32 v15, 28, v14
	v_and_b32_e32 v11, 0x80000000, v2
	v_and_b32_e32 v12, 15, v12
	v_bfe_u32 v13, v2, 27, 4
	v_lshlrev_b32_sdwa v2, v15, v2 dst_sel:DWORD dst_unused:UNUSED_PAD src0_sel:DWORD src1_sel:BYTE_3
	v_sub_u32_e32 v14, 29, v14
	v_and_b32_e32 v2, 7, v2
	v_cmp_eq_u16_e32 vcc, 0, v12
	v_cndmask_b32_e32 v2, v6, v2, vcc
	v_cndmask_b32_e32 v6, v13, v14, vcc
	v_mov_b32_e32 v12, 0x3b800000
	v_lshlrev_b32_e32 v2, 20, v2
	v_lshl_add_u32 v6, v6, 23, v12
	v_or3_b32 v6, v11, v6, v2
.LBB14_1696:
	s_or_b64 exec, exec, s[6:7]
	s_nop 0
	v_mfma_f32_16x16x4f32 a[0:3], v10, v6, a[0:3]
	s_movk_i32 s4, 0x7f
	v_cmp_gt_i16_sdwa s[6:7], v7, s4 src0_sel:BYTE_0 src1_sel:DWORD
	s_mov_b64 s[4:5], 0
                                        ; implicit-def: $sgpr10
	s_and_saveexec_b64 s[8:9], s[6:7]
	s_xor_b64 s[6:7], exec, s[8:9]
	s_cbranch_execnz .LBB14_3745
; %bb.1697:
	s_or_saveexec_b64 s[6:7], s[6:7]
	v_mov_b32_e32 v2, s10
	s_xor_b64 exec, exec, s[6:7]
	s_cbranch_execnz .LBB14_3748
.LBB14_1698:
	s_or_b64 exec, exec, s[6:7]
	s_and_saveexec_b64 s[6:7], s[4:5]
	s_cbranch_execz .LBB14_1700
.LBB14_1699:
	v_and_b32_e32 v2, 7, v7
	v_ffbh_u32_e32 v10, v2
	v_min_u32_e32 v10, 32, v10
	v_lshrrev_b16_e32 v6, 3, v7
	v_subrev_u32_e32 v11, 28, v10
	v_and_b32_e32 v6, 15, v6
	v_lshlrev_b32_e32 v11, v11, v7
	v_sub_u32_e32 v10, 29, v10
	v_and_b32_e32 v11, 7, v11
	v_cmp_eq_u16_e32 vcc, 0, v6
	v_cndmask_b32_e32 v2, v2, v11, vcc
	v_cndmask_b32_e32 v6, v6, v10, vcc
	v_lshlrev_b32_e32 v10, 24, v7
	v_mov_b32_e32 v11, 0x3b800000
	v_lshlrev_b32_e32 v2, 20, v2
	v_and_b32_e32 v10, 0x80000000, v10
	v_lshl_add_u32 v6, v6, 23, v11
	v_or3_b32 v2, v10, v6, v2
.LBB14_1700:
	s_or_b64 exec, exec, s[6:7]
	s_movk_i32 s4, 0x7f
	v_cmp_gt_i16_sdwa s[6:7], v3, s4 src0_sel:BYTE_0 src1_sel:DWORD
	s_mov_b64 s[4:5], 0
                                        ; implicit-def: $sgpr10
	s_and_saveexec_b64 s[8:9], s[6:7]
	s_xor_b64 s[6:7], exec, s[8:9]
	s_cbranch_execnz .LBB14_3749
; %bb.1701:
	s_or_saveexec_b64 s[6:7], s[6:7]
	v_mov_b32_e32 v6, s10
	s_xor_b64 exec, exec, s[6:7]
	s_cbranch_execnz .LBB14_3752
.LBB14_1702:
	s_or_b64 exec, exec, s[6:7]
	s_and_saveexec_b64 s[6:7], s[4:5]
	s_cbranch_execz .LBB14_1704
.LBB14_1703:
	v_and_b32_e32 v6, 7, v3
	v_ffbh_u32_e32 v11, v6
	v_min_u32_e32 v11, 32, v11
	v_lshrrev_b16_e32 v10, 3, v3
	v_subrev_u32_e32 v12, 28, v11
	v_and_b32_e32 v10, 15, v10
	v_lshlrev_b32_e32 v12, v12, v3
	v_sub_u32_e32 v11, 29, v11
	v_and_b32_e32 v12, 7, v12
	v_cmp_eq_u16_e32 vcc, 0, v10
	v_cndmask_b32_e32 v6, v6, v12, vcc
	v_cndmask_b32_e32 v10, v10, v11, vcc
	v_lshlrev_b32_e32 v11, 24, v3
	v_mov_b32_e32 v12, 0x3b800000
	v_lshlrev_b32_e32 v6, 20, v6
	v_and_b32_e32 v11, 0x80000000, v11
	v_lshl_add_u32 v10, v10, 23, v12
	v_or3_b32 v6, v11, v10, v6
.LBB14_1704:
	s_or_b64 exec, exec, s[6:7]
	s_nop 0
	v_mfma_f32_16x16x4f32 a[0:3], v2, v6, a[0:3]
	v_lshrrev_b32_e32 v6, 8, v7
	s_movk_i32 s4, 0x7f
	v_cmp_gt_i16_sdwa s[6:7], v6, s4 src0_sel:BYTE_0 src1_sel:DWORD
	s_mov_b64 s[4:5], 0
                                        ; implicit-def: $sgpr10
	s_and_saveexec_b64 s[8:9], s[6:7]
	s_xor_b64 s[6:7], exec, s[8:9]
	s_cbranch_execnz .LBB14_3753
; %bb.1705:
	s_or_saveexec_b64 s[6:7], s[6:7]
	v_mov_b32_e32 v2, s10
	s_xor_b64 exec, exec, s[6:7]
	s_cbranch_execnz .LBB14_3756
.LBB14_1706:
	s_or_b64 exec, exec, s[6:7]
	s_and_saveexec_b64 s[6:7], s[4:5]
	s_cbranch_execz .LBB14_1708
.LBB14_1707:
	v_bfe_u32 v2, v7, 8, 3
	v_ffbh_u32_e32 v11, v2
	v_min_u32_e32 v11, 32, v11
	v_lshrrev_b16_e32 v10, 3, v6
	v_subrev_u32_e32 v12, 28, v11
	v_and_b32_e32 v10, 15, v10
	v_lshlrev_b32_e32 v6, v12, v6
	v_sub_u32_e32 v11, 29, v11
	v_and_b32_e32 v6, 7, v6
	v_cmp_eq_u16_e32 vcc, 0, v10
	v_cndmask_b32_e32 v2, v2, v6, vcc
	v_cndmask_b32_e32 v6, v10, v11, vcc
	v_lshlrev_b32_e32 v10, 16, v7
	v_mov_b32_e32 v11, 0x3b800000
	v_lshlrev_b32_e32 v2, 20, v2
	v_and_b32_e32 v10, 0x80000000, v10
	v_lshl_add_u32 v6, v6, 23, v11
	v_or3_b32 v2, v10, v6, v2
.LBB14_1708:
	s_or_b64 exec, exec, s[6:7]
	v_lshrrev_b32_e32 v6, 8, v3
	s_movk_i32 s4, 0x7f
	v_cmp_gt_i16_sdwa s[6:7], v6, s4 src0_sel:BYTE_0 src1_sel:DWORD
	s_mov_b64 s[4:5], 0
                                        ; implicit-def: $sgpr10
	s_and_saveexec_b64 s[8:9], s[6:7]
	s_xor_b64 s[6:7], exec, s[8:9]
	s_cbranch_execnz .LBB14_3757
; %bb.1709:
	s_or_saveexec_b64 s[6:7], s[6:7]
	v_mov_b32_e32 v10, s10
	s_xor_b64 exec, exec, s[6:7]
	s_cbranch_execnz .LBB14_3760
.LBB14_1710:
	s_or_b64 exec, exec, s[6:7]
	s_and_saveexec_b64 s[6:7], s[4:5]
	s_cbranch_execz .LBB14_1712
.LBB14_1711:
	v_bfe_u32 v10, v3, 8, 3
	v_ffbh_u32_e32 v12, v10
	v_min_u32_e32 v12, 32, v12
	v_lshrrev_b16_e32 v11, 3, v6
	v_subrev_u32_e32 v13, 28, v12
	v_and_b32_e32 v11, 15, v11
	v_lshlrev_b32_e32 v6, v13, v6
	v_sub_u32_e32 v12, 29, v12
	v_and_b32_e32 v6, 7, v6
	v_cmp_eq_u16_e32 vcc, 0, v11
	v_cndmask_b32_e32 v6, v10, v6, vcc
	v_cndmask_b32_e32 v10, v11, v12, vcc
	v_lshlrev_b32_e32 v11, 16, v3
	v_mov_b32_e32 v12, 0x3b800000
	v_lshlrev_b32_e32 v6, 20, v6
	v_and_b32_e32 v11, 0x80000000, v11
	v_lshl_add_u32 v10, v10, 23, v12
	v_or3_b32 v10, v11, v10, v6
.LBB14_1712:
	s_or_b64 exec, exec, s[6:7]
	s_nop 0
	v_mfma_f32_16x16x4f32 a[0:3], v2, v10, a[0:3]
	s_movk_i32 s4, 0xff
	v_and_b32_sdwa v6, v7, s4 dst_sel:DWORD dst_unused:UNUSED_PAD src0_sel:WORD_1 src1_sel:DWORD
	s_movk_i32 s4, 0x7f
	v_cmp_lt_i16_e32 vcc, s4, v6
	s_mov_b64 s[4:5], 0
                                        ; implicit-def: $sgpr10
	s_and_saveexec_b64 s[6:7], vcc
	s_xor_b64 s[6:7], exec, s[6:7]
	s_cbranch_execnz .LBB14_3761
; %bb.1713:
	s_or_saveexec_b64 s[6:7], s[6:7]
	v_mov_b32_e32 v2, s10
	s_xor_b64 exec, exec, s[6:7]
	s_cbranch_execnz .LBB14_3764
.LBB14_1714:
	s_or_b64 exec, exec, s[6:7]
	s_and_saveexec_b64 s[6:7], s[4:5]
	s_cbranch_execz .LBB14_1716
.LBB14_1715:
	v_bfe_u32 v2, v7, 16, 3
	v_ffbh_u32_e32 v11, v2
	v_min_u32_e32 v11, 32, v11
	v_lshrrev_b32_e32 v6, 19, v7
	v_subrev_u32_e32 v12, 28, v11
	v_and_b32_e32 v6, 15, v6
	v_lshlrev_b32_sdwa v12, v12, v7 dst_sel:DWORD dst_unused:UNUSED_PAD src0_sel:DWORD src1_sel:WORD_1
	v_bfe_u32 v10, v7, 19, 4
	v_sub_u32_e32 v11, 29, v11
	v_and_b32_e32 v12, 7, v12
	v_cmp_eq_u16_e32 vcc, 0, v6
	v_cndmask_b32_e32 v2, v2, v12, vcc
	v_cndmask_b32_e32 v6, v10, v11, vcc
	v_lshlrev_b32_e32 v10, 8, v7
	v_mov_b32_e32 v11, 0x3b800000
	v_lshlrev_b32_e32 v2, 20, v2
	v_and_b32_e32 v10, 0x80000000, v10
	v_lshl_add_u32 v6, v6, 23, v11
	v_or3_b32 v2, v10, v6, v2
.LBB14_1716:
	s_or_b64 exec, exec, s[6:7]
	s_movk_i32 s4, 0xff
	v_and_b32_sdwa v6, v3, s4 dst_sel:DWORD dst_unused:UNUSED_PAD src0_sel:WORD_1 src1_sel:DWORD
	s_movk_i32 s4, 0x7f
	v_cmp_lt_i16_e32 vcc, s4, v6
	s_mov_b64 s[4:5], 0
                                        ; implicit-def: $sgpr10
	s_and_saveexec_b64 s[6:7], vcc
	s_xor_b64 s[6:7], exec, s[6:7]
	s_cbranch_execnz .LBB14_3765
; %bb.1717:
	s_or_saveexec_b64 s[6:7], s[6:7]
	v_mov_b32_e32 v10, s10
	s_xor_b64 exec, exec, s[6:7]
	s_cbranch_execnz .LBB14_3768
.LBB14_1718:
	s_or_b64 exec, exec, s[6:7]
	s_and_saveexec_b64 s[6:7], s[4:5]
	s_cbranch_execz .LBB14_1720
.LBB14_1719:
	v_bfe_u32 v6, v3, 16, 3
	v_ffbh_u32_e32 v12, v6
	v_min_u32_e32 v12, 32, v12
	v_lshrrev_b32_e32 v10, 19, v3
	v_subrev_u32_e32 v13, 28, v12
	v_and_b32_e32 v10, 15, v10
	v_lshlrev_b32_sdwa v13, v13, v3 dst_sel:DWORD dst_unused:UNUSED_PAD src0_sel:DWORD src1_sel:WORD_1
	v_bfe_u32 v11, v3, 19, 4
	v_sub_u32_e32 v12, 29, v12
	v_and_b32_e32 v13, 7, v13
	v_cmp_eq_u16_e32 vcc, 0, v10
	v_cndmask_b32_e32 v6, v6, v13, vcc
	v_cndmask_b32_e32 v10, v11, v12, vcc
	v_lshlrev_b32_e32 v11, 8, v3
	v_mov_b32_e32 v12, 0x3b800000
	v_lshlrev_b32_e32 v6, 20, v6
	v_and_b32_e32 v11, 0x80000000, v11
	v_lshl_add_u32 v10, v10, 23, v12
	v_or3_b32 v10, v11, v10, v6
.LBB14_1720:
	s_or_b64 exec, exec, s[6:7]
	s_nop 0
	v_mfma_f32_16x16x4f32 a[0:3], v2, v10, a[0:3]
	s_movk_i32 s4, 0x7f
	v_cmp_gt_i16_sdwa s[6:7], v7, s4 src0_sel:BYTE_3 src1_sel:DWORD
	s_mov_b64 s[4:5], 0
                                        ; implicit-def: $sgpr10
	s_and_saveexec_b64 s[8:9], s[6:7]
	s_xor_b64 s[6:7], exec, s[8:9]
	s_cbranch_execnz .LBB14_3769
; %bb.1721:
	s_or_saveexec_b64 s[6:7], s[6:7]
	v_mov_b32_e32 v2, s10
	s_xor_b64 exec, exec, s[6:7]
	s_cbranch_execnz .LBB14_3772
.LBB14_1722:
	s_or_b64 exec, exec, s[6:7]
	s_and_saveexec_b64 s[6:7], s[4:5]
	s_cbranch_execz .LBB14_1724
.LBB14_1723:
	v_bfe_u32 v2, v7, 24, 3
	v_ffbh_u32_e32 v12, v2
	v_min_u32_e32 v12, 32, v12
	v_lshrrev_b32_e32 v10, 27, v7
	v_subrev_u32_e32 v13, 28, v12
	v_and_b32_e32 v6, 0x80000000, v7
	v_and_b32_e32 v10, 15, v10
	v_bfe_u32 v11, v7, 27, 4
	v_lshlrev_b32_sdwa v7, v13, v7 dst_sel:DWORD dst_unused:UNUSED_PAD src0_sel:DWORD src1_sel:BYTE_3
	v_sub_u32_e32 v12, 29, v12
	v_and_b32_e32 v7, 7, v7
	v_cmp_eq_u16_e32 vcc, 0, v10
	v_cndmask_b32_e32 v2, v2, v7, vcc
	v_cndmask_b32_e32 v7, v11, v12, vcc
	v_mov_b32_e32 v10, 0x3b800000
	v_lshlrev_b32_e32 v2, 20, v2
	v_lshl_add_u32 v7, v7, 23, v10
	v_or3_b32 v2, v6, v7, v2
.LBB14_1724:
	s_or_b64 exec, exec, s[6:7]
	s_movk_i32 s4, 0x7f
	v_cmp_gt_i16_sdwa s[6:7], v3, s4 src0_sel:BYTE_3 src1_sel:DWORD
	s_mov_b64 s[4:5], 0
                                        ; implicit-def: $sgpr10
	s_and_saveexec_b64 s[8:9], s[6:7]
	s_xor_b64 s[6:7], exec, s[8:9]
	s_cbranch_execnz .LBB14_3773
; %bb.1725:
	s_or_saveexec_b64 s[6:7], s[6:7]
	v_mov_b32_e32 v6, s10
	s_xor_b64 exec, exec, s[6:7]
	s_cbranch_execnz .LBB14_3776
.LBB14_1726:
	s_or_b64 exec, exec, s[6:7]
	s_and_saveexec_b64 s[6:7], s[4:5]
	s_cbranch_execz .LBB14_1728
.LBB14_1727:
	v_bfe_u32 v6, v3, 24, 3
	v_ffbh_u32_e32 v12, v6
	v_min_u32_e32 v12, 32, v12
	v_lshrrev_b32_e32 v10, 27, v3
	v_subrev_u32_e32 v13, 28, v12
	v_and_b32_e32 v7, 0x80000000, v3
	v_and_b32_e32 v10, 15, v10
	v_bfe_u32 v11, v3, 27, 4
	v_lshlrev_b32_sdwa v3, v13, v3 dst_sel:DWORD dst_unused:UNUSED_PAD src0_sel:DWORD src1_sel:BYTE_3
	v_sub_u32_e32 v12, 29, v12
	v_and_b32_e32 v3, 7, v3
	v_cmp_eq_u16_e32 vcc, 0, v10
	v_cndmask_b32_e32 v3, v6, v3, vcc
	v_cndmask_b32_e32 v6, v11, v12, vcc
	v_mov_b32_e32 v10, 0x3b800000
	v_lshlrev_b32_e32 v3, 20, v3
	v_lshl_add_u32 v6, v6, 23, v10
	v_or3_b32 v6, v7, v6, v3
.LBB14_1728:
	s_or_b64 exec, exec, s[6:7]
	s_nop 0
	v_mfma_f32_16x16x4f32 a[0:3], v2, v6, a[0:3]
	s_movk_i32 s4, 0x7f
	v_cmp_gt_i16_sdwa s[6:7], v8, s4 src0_sel:BYTE_0 src1_sel:DWORD
	s_mov_b64 s[4:5], 0
                                        ; implicit-def: $sgpr10
	s_and_saveexec_b64 s[8:9], s[6:7]
	s_xor_b64 s[6:7], exec, s[8:9]
	s_cbranch_execnz .LBB14_3777
; %bb.1729:
	s_or_saveexec_b64 s[6:7], s[6:7]
	v_mov_b32_e32 v2, s10
	s_xor_b64 exec, exec, s[6:7]
	s_cbranch_execnz .LBB14_3780
.LBB14_1730:
	s_or_b64 exec, exec, s[6:7]
	s_and_saveexec_b64 s[6:7], s[4:5]
	s_cbranch_execz .LBB14_1732
.LBB14_1731:
	v_and_b32_e32 v2, 7, v8
	v_ffbh_u32_e32 v6, v2
	v_min_u32_e32 v6, 32, v6
	v_lshrrev_b16_e32 v3, 3, v8
	v_subrev_u32_e32 v7, 28, v6
	v_and_b32_e32 v3, 15, v3
	v_lshlrev_b32_e32 v7, v7, v8
	v_sub_u32_e32 v6, 29, v6
	v_and_b32_e32 v7, 7, v7
	v_cmp_eq_u16_e32 vcc, 0, v3
	v_cndmask_b32_e32 v2, v2, v7, vcc
	v_cndmask_b32_e32 v3, v3, v6, vcc
	v_lshlrev_b32_e32 v6, 24, v8
	v_mov_b32_e32 v7, 0x3b800000
	v_lshlrev_b32_e32 v2, 20, v2
	v_and_b32_e32 v6, 0x80000000, v6
	v_lshl_add_u32 v3, v3, 23, v7
	v_or3_b32 v2, v6, v3, v2
.LBB14_1732:
	s_or_b64 exec, exec, s[6:7]
	s_movk_i32 s4, 0x7f
	v_cmp_gt_i16_sdwa s[6:7], v4, s4 src0_sel:BYTE_0 src1_sel:DWORD
	s_mov_b64 s[4:5], 0
                                        ; implicit-def: $sgpr10
	s_and_saveexec_b64 s[8:9], s[6:7]
	s_xor_b64 s[6:7], exec, s[8:9]
	s_cbranch_execnz .LBB14_3781
; %bb.1733:
	s_or_saveexec_b64 s[6:7], s[6:7]
	v_mov_b32_e32 v3, s10
	s_xor_b64 exec, exec, s[6:7]
	s_cbranch_execnz .LBB14_3784
.LBB14_1734:
	s_or_b64 exec, exec, s[6:7]
	s_and_saveexec_b64 s[6:7], s[4:5]
	s_cbranch_execz .LBB14_1736
.LBB14_1735:
	v_and_b32_e32 v3, 7, v4
	v_ffbh_u32_e32 v7, v3
	v_min_u32_e32 v7, 32, v7
	v_lshrrev_b16_e32 v6, 3, v4
	v_subrev_u32_e32 v10, 28, v7
	v_and_b32_e32 v6, 15, v6
	v_lshlrev_b32_e32 v10, v10, v4
	v_sub_u32_e32 v7, 29, v7
	v_and_b32_e32 v10, 7, v10
	v_cmp_eq_u16_e32 vcc, 0, v6
	v_cndmask_b32_e32 v3, v3, v10, vcc
	v_cndmask_b32_e32 v6, v6, v7, vcc
	v_lshlrev_b32_e32 v7, 24, v4
	v_mov_b32_e32 v10, 0x3b800000
	v_lshlrev_b32_e32 v3, 20, v3
	v_and_b32_e32 v7, 0x80000000, v7
	v_lshl_add_u32 v6, v6, 23, v10
	v_or3_b32 v3, v7, v6, v3
.LBB14_1736:
	s_or_b64 exec, exec, s[6:7]
	s_nop 0
	v_mfma_f32_16x16x4f32 a[0:3], v2, v3, a[0:3]
	v_lshrrev_b32_e32 v3, 8, v8
	s_movk_i32 s4, 0x7f
	v_cmp_gt_i16_sdwa s[6:7], v3, s4 src0_sel:BYTE_0 src1_sel:DWORD
	s_mov_b64 s[4:5], 0
                                        ; implicit-def: $sgpr10
	s_and_saveexec_b64 s[8:9], s[6:7]
	s_xor_b64 s[6:7], exec, s[8:9]
	s_cbranch_execnz .LBB14_3785
; %bb.1737:
	s_or_saveexec_b64 s[6:7], s[6:7]
	v_mov_b32_e32 v2, s10
	s_xor_b64 exec, exec, s[6:7]
	s_cbranch_execnz .LBB14_3788
.LBB14_1738:
	s_or_b64 exec, exec, s[6:7]
	s_and_saveexec_b64 s[6:7], s[4:5]
	s_cbranch_execz .LBB14_1740
.LBB14_1739:
	v_bfe_u32 v2, v8, 8, 3
	v_ffbh_u32_e32 v7, v2
	v_min_u32_e32 v7, 32, v7
	v_lshrrev_b16_e32 v6, 3, v3
	v_subrev_u32_e32 v10, 28, v7
	v_and_b32_e32 v6, 15, v6
	v_lshlrev_b32_e32 v3, v10, v3
	v_sub_u32_e32 v7, 29, v7
	v_and_b32_e32 v3, 7, v3
	v_cmp_eq_u16_e32 vcc, 0, v6
	v_cndmask_b32_e32 v2, v2, v3, vcc
	v_cndmask_b32_e32 v3, v6, v7, vcc
	v_lshlrev_b32_e32 v6, 16, v8
	v_mov_b32_e32 v7, 0x3b800000
	v_lshlrev_b32_e32 v2, 20, v2
	v_and_b32_e32 v6, 0x80000000, v6
	v_lshl_add_u32 v3, v3, 23, v7
	v_or3_b32 v2, v6, v3, v2
.LBB14_1740:
	s_or_b64 exec, exec, s[6:7]
	v_lshrrev_b32_e32 v3, 8, v4
	s_movk_i32 s4, 0x7f
	v_cmp_gt_i16_sdwa s[6:7], v3, s4 src0_sel:BYTE_0 src1_sel:DWORD
	s_mov_b64 s[4:5], 0
                                        ; implicit-def: $sgpr10
	s_and_saveexec_b64 s[8:9], s[6:7]
	s_xor_b64 s[6:7], exec, s[8:9]
	s_cbranch_execnz .LBB14_3789
; %bb.1741:
	s_or_saveexec_b64 s[6:7], s[6:7]
	v_mov_b32_e32 v6, s10
	s_xor_b64 exec, exec, s[6:7]
	s_cbranch_execnz .LBB14_3792
.LBB14_1742:
	s_or_b64 exec, exec, s[6:7]
	s_and_saveexec_b64 s[6:7], s[4:5]
	s_cbranch_execz .LBB14_1744
.LBB14_1743:
	v_bfe_u32 v6, v4, 8, 3
	v_ffbh_u32_e32 v10, v6
	v_min_u32_e32 v10, 32, v10
	v_lshrrev_b16_e32 v7, 3, v3
	v_subrev_u32_e32 v11, 28, v10
	v_and_b32_e32 v7, 15, v7
	v_lshlrev_b32_e32 v3, v11, v3
	v_sub_u32_e32 v10, 29, v10
	v_and_b32_e32 v3, 7, v3
	v_cmp_eq_u16_e32 vcc, 0, v7
	v_cndmask_b32_e32 v3, v6, v3, vcc
	v_cndmask_b32_e32 v6, v7, v10, vcc
	v_lshlrev_b32_e32 v7, 16, v4
	v_mov_b32_e32 v10, 0x3b800000
	v_lshlrev_b32_e32 v3, 20, v3
	v_and_b32_e32 v7, 0x80000000, v7
	v_lshl_add_u32 v6, v6, 23, v10
	v_or3_b32 v6, v7, v6, v3
.LBB14_1744:
	s_or_b64 exec, exec, s[6:7]
	s_nop 0
	v_mfma_f32_16x16x4f32 a[0:3], v2, v6, a[0:3]
	s_movk_i32 s4, 0xff
	v_and_b32_sdwa v3, v8, s4 dst_sel:DWORD dst_unused:UNUSED_PAD src0_sel:WORD_1 src1_sel:DWORD
	s_movk_i32 s4, 0x7f
	v_cmp_lt_i16_e32 vcc, s4, v3
	s_mov_b64 s[4:5], 0
                                        ; implicit-def: $sgpr10
	s_and_saveexec_b64 s[6:7], vcc
	s_xor_b64 s[6:7], exec, s[6:7]
	s_cbranch_execnz .LBB14_3793
; %bb.1745:
	s_or_saveexec_b64 s[6:7], s[6:7]
	v_mov_b32_e32 v2, s10
	s_xor_b64 exec, exec, s[6:7]
	s_cbranch_execnz .LBB14_3796
.LBB14_1746:
	s_or_b64 exec, exec, s[6:7]
	s_and_saveexec_b64 s[6:7], s[4:5]
	s_cbranch_execz .LBB14_1748
.LBB14_1747:
	v_bfe_u32 v2, v8, 16, 3
	v_ffbh_u32_e32 v7, v2
	v_min_u32_e32 v7, 32, v7
	v_lshrrev_b32_e32 v3, 19, v8
	v_subrev_u32_e32 v10, 28, v7
	v_and_b32_e32 v3, 15, v3
	v_lshlrev_b32_sdwa v10, v10, v8 dst_sel:DWORD dst_unused:UNUSED_PAD src0_sel:DWORD src1_sel:WORD_1
	v_bfe_u32 v6, v8, 19, 4
	v_sub_u32_e32 v7, 29, v7
	v_and_b32_e32 v10, 7, v10
	v_cmp_eq_u16_e32 vcc, 0, v3
	v_cndmask_b32_e32 v2, v2, v10, vcc
	v_cndmask_b32_e32 v3, v6, v7, vcc
	v_lshlrev_b32_e32 v6, 8, v8
	v_mov_b32_e32 v7, 0x3b800000
	v_lshlrev_b32_e32 v2, 20, v2
	v_and_b32_e32 v6, 0x80000000, v6
	v_lshl_add_u32 v3, v3, 23, v7
	v_or3_b32 v2, v6, v3, v2
.LBB14_1748:
	s_or_b64 exec, exec, s[6:7]
	s_movk_i32 s4, 0xff
	v_and_b32_sdwa v3, v4, s4 dst_sel:DWORD dst_unused:UNUSED_PAD src0_sel:WORD_1 src1_sel:DWORD
	s_movk_i32 s4, 0x7f
	v_cmp_lt_i16_e32 vcc, s4, v3
	s_mov_b64 s[4:5], 0
                                        ; implicit-def: $sgpr10
	s_and_saveexec_b64 s[6:7], vcc
	s_xor_b64 s[6:7], exec, s[6:7]
	s_cbranch_execnz .LBB14_3797
; %bb.1749:
	s_or_saveexec_b64 s[6:7], s[6:7]
	v_mov_b32_e32 v6, s10
	s_xor_b64 exec, exec, s[6:7]
	s_cbranch_execnz .LBB14_3800
.LBB14_1750:
	s_or_b64 exec, exec, s[6:7]
	s_and_saveexec_b64 s[6:7], s[4:5]
	s_cbranch_execz .LBB14_1752
.LBB14_1751:
	v_bfe_u32 v3, v4, 16, 3
	v_ffbh_u32_e32 v10, v3
	v_min_u32_e32 v10, 32, v10
	v_lshrrev_b32_e32 v6, 19, v4
	v_subrev_u32_e32 v11, 28, v10
	v_and_b32_e32 v6, 15, v6
	v_lshlrev_b32_sdwa v11, v11, v4 dst_sel:DWORD dst_unused:UNUSED_PAD src0_sel:DWORD src1_sel:WORD_1
	v_bfe_u32 v7, v4, 19, 4
	v_sub_u32_e32 v10, 29, v10
	v_and_b32_e32 v11, 7, v11
	v_cmp_eq_u16_e32 vcc, 0, v6
	v_cndmask_b32_e32 v3, v3, v11, vcc
	v_cndmask_b32_e32 v6, v7, v10, vcc
	v_lshlrev_b32_e32 v7, 8, v4
	v_mov_b32_e32 v10, 0x3b800000
	v_lshlrev_b32_e32 v3, 20, v3
	v_and_b32_e32 v7, 0x80000000, v7
	v_lshl_add_u32 v6, v6, 23, v10
	v_or3_b32 v6, v7, v6, v3
.LBB14_1752:
	s_or_b64 exec, exec, s[6:7]
	s_nop 0
	v_mfma_f32_16x16x4f32 a[0:3], v2, v6, a[0:3]
	s_movk_i32 s4, 0x7f
	v_cmp_gt_i16_sdwa s[6:7], v8, s4 src0_sel:BYTE_3 src1_sel:DWORD
	s_mov_b64 s[4:5], 0
                                        ; implicit-def: $sgpr10
	s_and_saveexec_b64 s[8:9], s[6:7]
	s_xor_b64 s[6:7], exec, s[8:9]
	s_cbranch_execnz .LBB14_3801
; %bb.1753:
	s_or_saveexec_b64 s[6:7], s[6:7]
	v_mov_b32_e32 v2, s10
	s_xor_b64 exec, exec, s[6:7]
	s_cbranch_execnz .LBB14_3804
.LBB14_1754:
	s_or_b64 exec, exec, s[6:7]
	s_and_saveexec_b64 s[6:7], s[4:5]
	s_cbranch_execz .LBB14_1756
.LBB14_1755:
	v_bfe_u32 v2, v8, 24, 3
	v_ffbh_u32_e32 v10, v2
	v_min_u32_e32 v10, 32, v10
	v_lshrrev_b32_e32 v6, 27, v8
	v_subrev_u32_e32 v11, 28, v10
	v_and_b32_e32 v3, 0x80000000, v8
	v_and_b32_e32 v6, 15, v6
	v_bfe_u32 v7, v8, 27, 4
	v_lshlrev_b32_sdwa v8, v11, v8 dst_sel:DWORD dst_unused:UNUSED_PAD src0_sel:DWORD src1_sel:BYTE_3
	v_sub_u32_e32 v10, 29, v10
	v_and_b32_e32 v8, 7, v8
	v_cmp_eq_u16_e32 vcc, 0, v6
	v_cndmask_b32_e32 v2, v2, v8, vcc
	v_cndmask_b32_e32 v6, v7, v10, vcc
	v_mov_b32_e32 v7, 0x3b800000
	v_lshlrev_b32_e32 v2, 20, v2
	v_lshl_add_u32 v6, v6, 23, v7
	v_or3_b32 v2, v3, v6, v2
.LBB14_1756:
	s_or_b64 exec, exec, s[6:7]
	s_movk_i32 s4, 0x7f
	v_cmp_gt_i16_sdwa s[6:7], v4, s4 src0_sel:BYTE_3 src1_sel:DWORD
	s_mov_b64 s[4:5], 0
                                        ; implicit-def: $sgpr10
	s_and_saveexec_b64 s[8:9], s[6:7]
	s_xor_b64 s[6:7], exec, s[8:9]
	s_cbranch_execnz .LBB14_3805
; %bb.1757:
	s_or_saveexec_b64 s[6:7], s[6:7]
	v_mov_b32_e32 v3, s10
	s_xor_b64 exec, exec, s[6:7]
	s_cbranch_execnz .LBB14_3808
.LBB14_1758:
	s_or_b64 exec, exec, s[6:7]
	s_and_saveexec_b64 s[6:7], s[4:5]
	s_cbranch_execz .LBB14_1760
.LBB14_1759:
	v_bfe_u32 v3, v4, 24, 3
	v_ffbh_u32_e32 v10, v3
	v_min_u32_e32 v10, 32, v10
	v_lshrrev_b32_e32 v7, 27, v4
	v_subrev_u32_e32 v11, 28, v10
	v_and_b32_e32 v6, 0x80000000, v4
	v_and_b32_e32 v7, 15, v7
	v_bfe_u32 v8, v4, 27, 4
	v_lshlrev_b32_sdwa v4, v11, v4 dst_sel:DWORD dst_unused:UNUSED_PAD src0_sel:DWORD src1_sel:BYTE_3
	v_sub_u32_e32 v10, 29, v10
	v_and_b32_e32 v4, 7, v4
	v_cmp_eq_u16_e32 vcc, 0, v7
	v_cndmask_b32_e32 v3, v3, v4, vcc
	v_cndmask_b32_e32 v4, v8, v10, vcc
	v_mov_b32_e32 v7, 0x3b800000
	v_lshlrev_b32_e32 v3, 20, v3
	v_lshl_add_u32 v4, v4, 23, v7
	v_or3_b32 v3, v6, v4, v3
.LBB14_1760:
	s_or_b64 exec, exec, s[6:7]
	s_nop 0
	v_mfma_f32_16x16x4f32 a[0:3], v2, v3, a[0:3]
	s_movk_i32 s4, 0x7f
	v_cmp_gt_i16_sdwa s[6:7], v9, s4 src0_sel:BYTE_0 src1_sel:DWORD
	s_mov_b64 s[4:5], 0
                                        ; implicit-def: $sgpr10
	s_and_saveexec_b64 s[8:9], s[6:7]
	s_xor_b64 s[6:7], exec, s[8:9]
	s_cbranch_execnz .LBB14_3809
; %bb.1761:
	s_or_saveexec_b64 s[6:7], s[6:7]
	v_mov_b32_e32 v2, s10
	s_xor_b64 exec, exec, s[6:7]
	s_cbranch_execnz .LBB14_3812
.LBB14_1762:
	s_or_b64 exec, exec, s[6:7]
	s_and_saveexec_b64 s[6:7], s[4:5]
	s_cbranch_execz .LBB14_1764
.LBB14_1763:
	v_mov_b32_e32 v2, 8
	v_and_b32_e32 v3, 7, v9
	v_lshrrev_b32_sdwa v2, v2, v9 dst_sel:BYTE_1 dst_unused:UNUSED_PAD src0_sel:DWORD src1_sel:DWORD
	v_ffbh_u32_e32 v4, v3
	v_or_b32_sdwa v2, v9, v2 dst_sel:DWORD dst_unused:UNUSED_PAD src0_sel:BYTE_0 src1_sel:DWORD
	v_min_u32_e32 v4, 32, v4
	v_lshrrev_b16_e32 v2, 3, v2
	v_subrev_u32_e32 v6, 28, v4
	v_and_b32_e32 v2, 15, v2
	v_lshlrev_b32_e32 v6, v6, v9
	v_sub_u32_e32 v4, 29, v4
	v_and_b32_e32 v6, 7, v6
	v_cmp_eq_u16_e32 vcc, 0, v2
	v_cndmask_b32_e32 v3, v3, v6, vcc
	v_cndmask_b32_e32 v2, v2, v4, vcc
	v_lshlrev_b32_e32 v4, 24, v9
	v_mov_b32_e32 v6, 0x3b800000
	v_lshlrev_b32_e32 v3, 20, v3
	v_and_b32_e32 v4, 0x80000000, v4
	v_lshl_add_u32 v2, v2, 23, v6
	v_or3_b32 v2, v4, v2, v3
.LBB14_1764:
	s_or_b64 exec, exec, s[6:7]
	s_movk_i32 s4, 0x7f
	v_cmp_gt_i16_sdwa s[6:7], v5, s4 src0_sel:BYTE_0 src1_sel:DWORD
	s_mov_b64 s[4:5], 0
                                        ; implicit-def: $sgpr10
	s_and_saveexec_b64 s[8:9], s[6:7]
	s_xor_b64 s[6:7], exec, s[8:9]
	s_cbranch_execnz .LBB14_3813
; %bb.1765:
	s_or_saveexec_b64 s[6:7], s[6:7]
	v_mov_b32_e32 v3, s10
	s_xor_b64 exec, exec, s[6:7]
	s_cbranch_execnz .LBB14_3816
.LBB14_1766:
	s_or_b64 exec, exec, s[6:7]
	s_and_saveexec_b64 s[6:7], s[4:5]
	s_cbranch_execz .LBB14_1768
.LBB14_1767:
	v_mov_b32_e32 v3, 8
	v_and_b32_e32 v4, 7, v5
	v_lshrrev_b32_sdwa v3, v3, v5 dst_sel:BYTE_1 dst_unused:UNUSED_PAD src0_sel:DWORD src1_sel:DWORD
	v_ffbh_u32_e32 v6, v4
	v_or_b32_sdwa v3, v5, v3 dst_sel:DWORD dst_unused:UNUSED_PAD src0_sel:BYTE_0 src1_sel:DWORD
	v_min_u32_e32 v6, 32, v6
	v_lshrrev_b16_e32 v3, 3, v3
	v_subrev_u32_e32 v7, 28, v6
	v_and_b32_e32 v3, 15, v3
	v_lshlrev_b32_e32 v7, v7, v5
	v_sub_u32_e32 v6, 29, v6
	v_and_b32_e32 v7, 7, v7
	v_cmp_eq_u16_e32 vcc, 0, v3
	v_cndmask_b32_e32 v4, v4, v7, vcc
	v_cndmask_b32_e32 v3, v3, v6, vcc
	v_lshlrev_b32_e32 v6, 24, v5
	v_mov_b32_e32 v7, 0x3b800000
	v_lshlrev_b32_e32 v4, 20, v4
	v_and_b32_e32 v6, 0x80000000, v6
	v_lshl_add_u32 v3, v3, 23, v7
	v_or3_b32 v3, v6, v3, v4
.LBB14_1768:
	s_or_b64 exec, exec, s[6:7]
	s_nop 0
	v_mfma_f32_16x16x4f32 a[0:3], v2, v3, a[0:3]
	v_lshrrev_b32_e32 v3, 8, v9
	s_movk_i32 s4, 0x7f
	v_cmp_gt_i16_sdwa s[6:7], v3, s4 src0_sel:BYTE_0 src1_sel:DWORD
	s_mov_b64 s[4:5], 0
                                        ; implicit-def: $sgpr10
	s_and_saveexec_b64 s[8:9], s[6:7]
	s_xor_b64 s[6:7], exec, s[8:9]
	s_cbranch_execnz .LBB14_3817
; %bb.1769:
	s_or_saveexec_b64 s[6:7], s[6:7]
	v_mov_b32_e32 v2, s10
	s_xor_b64 exec, exec, s[6:7]
	s_cbranch_execnz .LBB14_3820
.LBB14_1770:
	s_or_b64 exec, exec, s[6:7]
	s_and_saveexec_b64 s[6:7], s[4:5]
	s_cbranch_execz .LBB14_1772
.LBB14_1771:
	v_bfe_u32 v2, v9, 8, 3
	v_ffbh_u32_e32 v6, v2
	v_min_u32_e32 v6, 32, v6
	v_lshrrev_b16_e32 v4, 3, v3
	v_subrev_u32_e32 v7, 28, v6
	v_and_b32_e32 v4, 15, v4
	v_lshlrev_b32_e32 v3, v7, v3
	v_sub_u32_e32 v6, 29, v6
	v_and_b32_e32 v3, 7, v3
	v_cmp_eq_u16_e32 vcc, 0, v4
	v_cndmask_b32_e32 v2, v2, v3, vcc
	v_cndmask_b32_e32 v3, v4, v6, vcc
	v_lshlrev_b32_e32 v4, 16, v9
	v_mov_b32_e32 v6, 0x3b800000
	v_lshlrev_b32_e32 v2, 20, v2
	v_and_b32_e32 v4, 0x80000000, v4
	v_lshl_add_u32 v3, v3, 23, v6
	v_or3_b32 v2, v4, v3, v2
.LBB14_1772:
	s_or_b64 exec, exec, s[6:7]
	v_lshrrev_b32_e32 v3, 8, v5
	s_movk_i32 s4, 0x7f
	v_cmp_gt_i16_sdwa s[6:7], v3, s4 src0_sel:BYTE_0 src1_sel:DWORD
	s_mov_b64 s[4:5], 0
                                        ; implicit-def: $sgpr10
	s_and_saveexec_b64 s[8:9], s[6:7]
	s_xor_b64 s[6:7], exec, s[8:9]
	s_cbranch_execnz .LBB14_3821
; %bb.1773:
	s_or_saveexec_b64 s[6:7], s[6:7]
	v_mov_b32_e32 v4, s10
	s_xor_b64 exec, exec, s[6:7]
	s_cbranch_execnz .LBB14_3824
.LBB14_1774:
	s_or_b64 exec, exec, s[6:7]
	s_and_saveexec_b64 s[6:7], s[4:5]
	s_cbranch_execz .LBB14_1776
.LBB14_1775:
	v_bfe_u32 v4, v5, 8, 3
	v_ffbh_u32_e32 v7, v4
	v_min_u32_e32 v7, 32, v7
	v_lshrrev_b16_e32 v6, 3, v3
	v_subrev_u32_e32 v8, 28, v7
	v_and_b32_e32 v6, 15, v6
	v_lshlrev_b32_e32 v3, v8, v3
	v_sub_u32_e32 v7, 29, v7
	v_and_b32_e32 v3, 7, v3
	v_cmp_eq_u16_e32 vcc, 0, v6
	v_cndmask_b32_e32 v3, v4, v3, vcc
	v_cndmask_b32_e32 v4, v6, v7, vcc
	v_lshlrev_b32_e32 v6, 16, v5
	v_mov_b32_e32 v7, 0x3b800000
	v_lshlrev_b32_e32 v3, 20, v3
	v_and_b32_e32 v6, 0x80000000, v6
	v_lshl_add_u32 v4, v4, 23, v7
	v_or3_b32 v4, v6, v4, v3
.LBB14_1776:
	s_or_b64 exec, exec, s[6:7]
	s_nop 0
	v_mfma_f32_16x16x4f32 a[0:3], v2, v4, a[0:3]
	s_movk_i32 s4, 0xff
	v_and_b32_sdwa v3, v9, s4 dst_sel:DWORD dst_unused:UNUSED_PAD src0_sel:WORD_1 src1_sel:DWORD
	s_movk_i32 s4, 0x7f
	v_cmp_lt_i16_e32 vcc, s4, v3
	s_mov_b64 s[4:5], 0
                                        ; implicit-def: $sgpr10
	s_and_saveexec_b64 s[6:7], vcc
	s_xor_b64 s[6:7], exec, s[6:7]
	s_cbranch_execnz .LBB14_3825
; %bb.1777:
	s_or_saveexec_b64 s[6:7], s[6:7]
	v_mov_b32_e32 v2, s10
	s_xor_b64 exec, exec, s[6:7]
	s_cbranch_execnz .LBB14_3828
.LBB14_1778:
	s_or_b64 exec, exec, s[6:7]
	s_and_saveexec_b64 s[6:7], s[4:5]
	s_cbranch_execz .LBB14_1780
.LBB14_1779:
	v_bfe_u32 v2, v9, 16, 3
	v_ffbh_u32_e32 v6, v2
	v_min_u32_e32 v6, 32, v6
	v_lshrrev_b32_e32 v3, 19, v9
	v_subrev_u32_e32 v7, 28, v6
	v_and_b32_e32 v3, 15, v3
	v_lshlrev_b32_sdwa v7, v7, v9 dst_sel:DWORD dst_unused:UNUSED_PAD src0_sel:DWORD src1_sel:WORD_1
	v_bfe_u32 v4, v9, 19, 4
	v_sub_u32_e32 v6, 29, v6
	v_and_b32_e32 v7, 7, v7
	v_cmp_eq_u16_e32 vcc, 0, v3
	v_cndmask_b32_e32 v2, v2, v7, vcc
	v_cndmask_b32_e32 v3, v4, v6, vcc
	v_lshlrev_b32_e32 v4, 8, v9
	v_mov_b32_e32 v6, 0x3b800000
	v_lshlrev_b32_e32 v2, 20, v2
	v_and_b32_e32 v4, 0x80000000, v4
	v_lshl_add_u32 v3, v3, 23, v6
	v_or3_b32 v2, v4, v3, v2
.LBB14_1780:
	s_or_b64 exec, exec, s[6:7]
	s_movk_i32 s4, 0xff
	v_and_b32_sdwa v3, v5, s4 dst_sel:DWORD dst_unused:UNUSED_PAD src0_sel:WORD_1 src1_sel:DWORD
	s_movk_i32 s4, 0x7f
	v_cmp_lt_i16_e32 vcc, s4, v3
	s_mov_b64 s[4:5], 0
                                        ; implicit-def: $sgpr10
	s_and_saveexec_b64 s[6:7], vcc
	s_xor_b64 s[6:7], exec, s[6:7]
	s_cbranch_execnz .LBB14_3829
; %bb.1781:
	s_or_saveexec_b64 s[6:7], s[6:7]
	v_mov_b32_e32 v4, s10
	s_xor_b64 exec, exec, s[6:7]
	s_cbranch_execnz .LBB14_3832
.LBB14_1782:
	s_or_b64 exec, exec, s[6:7]
	s_and_saveexec_b64 s[6:7], s[4:5]
	s_cbranch_execz .LBB14_1784
.LBB14_1783:
	v_bfe_u32 v3, v5, 16, 3
	v_ffbh_u32_e32 v7, v3
	v_min_u32_e32 v7, 32, v7
	v_lshrrev_b32_e32 v4, 19, v5
	v_subrev_u32_e32 v8, 28, v7
	v_and_b32_e32 v4, 15, v4
	v_lshlrev_b32_sdwa v8, v8, v5 dst_sel:DWORD dst_unused:UNUSED_PAD src0_sel:DWORD src1_sel:WORD_1
	v_bfe_u32 v6, v5, 19, 4
	v_sub_u32_e32 v7, 29, v7
	v_and_b32_e32 v8, 7, v8
	v_cmp_eq_u16_e32 vcc, 0, v4
	v_cndmask_b32_e32 v3, v3, v8, vcc
	v_cndmask_b32_e32 v4, v6, v7, vcc
	v_lshlrev_b32_e32 v6, 8, v5
	v_mov_b32_e32 v7, 0x3b800000
	v_lshlrev_b32_e32 v3, 20, v3
	v_and_b32_e32 v6, 0x80000000, v6
	v_lshl_add_u32 v4, v4, 23, v7
	v_or3_b32 v4, v6, v4, v3
.LBB14_1784:
	s_or_b64 exec, exec, s[6:7]
	s_nop 0
	v_mfma_f32_16x16x4f32 a[0:3], v2, v4, a[0:3]
	s_movk_i32 s4, 0x7f
	v_cmp_gt_i16_sdwa s[6:7], v9, s4 src0_sel:BYTE_3 src1_sel:DWORD
	s_mov_b64 s[4:5], 0
                                        ; implicit-def: $sgpr10
	s_and_saveexec_b64 s[8:9], s[6:7]
	s_xor_b64 s[6:7], exec, s[8:9]
	s_cbranch_execnz .LBB14_3833
; %bb.1785:
	s_or_saveexec_b64 s[6:7], s[6:7]
	v_mov_b32_e32 v2, s10
	s_xor_b64 exec, exec, s[6:7]
	s_cbranch_execnz .LBB14_3836
.LBB14_1786:
	s_or_b64 exec, exec, s[6:7]
	s_and_saveexec_b64 s[6:7], s[4:5]
	s_cbranch_execz .LBB14_1788
.LBB14_1787:
	v_bfe_u32 v2, v9, 24, 3
	v_ffbh_u32_e32 v7, v2
	v_min_u32_e32 v7, 32, v7
	v_lshrrev_b32_e32 v4, 27, v9
	v_subrev_u32_e32 v8, 28, v7
	v_and_b32_e32 v4, 15, v4
	v_lshlrev_b32_sdwa v8, v8, v9 dst_sel:DWORD dst_unused:UNUSED_PAD src0_sel:DWORD src1_sel:BYTE_3
	v_bfe_u32 v6, v9, 27, 4
	v_sub_u32_e32 v7, 29, v7
	v_and_b32_e32 v8, 7, v8
	v_cmp_eq_u16_e32 vcc, 0, v4
	v_cndmask_b32_e32 v2, v2, v8, vcc
	v_cndmask_b32_e32 v4, v6, v7, vcc
	v_mov_b32_e32 v6, 0x3b800000
	v_and_b32_e32 v3, 0x80000000, v9
	v_lshlrev_b32_e32 v2, 20, v2
	v_lshl_add_u32 v4, v4, 23, v6
	v_or3_b32 v2, v3, v4, v2
.LBB14_1788:
	s_or_b64 exec, exec, s[6:7]
	s_movk_i32 s4, 0x7f
	v_cmp_gt_i16_sdwa s[6:7], v5, s4 src0_sel:BYTE_3 src1_sel:DWORD
	s_mov_b64 s[4:5], 0
                                        ; implicit-def: $sgpr10
	s_and_saveexec_b64 s[8:9], s[6:7]
	s_xor_b64 s[6:7], exec, s[8:9]
	s_cbranch_execnz .LBB14_3837
; %bb.1789:
	s_or_saveexec_b64 s[6:7], s[6:7]
	v_mov_b32_e32 v3, s10
	s_xor_b64 exec, exec, s[6:7]
	s_cbranch_execnz .LBB14_3840
.LBB14_1790:
	s_or_b64 exec, exec, s[6:7]
	s_and_saveexec_b64 s[6:7], s[4:5]
	s_cbranch_execz .LBB14_1792
.LBB14_1791:
	v_bfe_u32 v3, v5, 24, 3
	v_ffbh_u32_e32 v8, v3
	v_min_u32_e32 v8, 32, v8
	v_lshrrev_b32_e32 v6, 27, v5
	v_subrev_u32_e32 v9, 28, v8
	v_and_b32_e32 v4, 0x80000000, v5
	v_and_b32_e32 v6, 15, v6
	v_bfe_u32 v7, v5, 27, 4
	v_lshlrev_b32_sdwa v5, v9, v5 dst_sel:DWORD dst_unused:UNUSED_PAD src0_sel:DWORD src1_sel:BYTE_3
	v_sub_u32_e32 v8, 29, v8
	v_and_b32_e32 v5, 7, v5
	v_cmp_eq_u16_e32 vcc, 0, v6
	v_cndmask_b32_e32 v3, v3, v5, vcc
	v_cndmask_b32_e32 v5, v7, v8, vcc
	v_mov_b32_e32 v6, 0x3b800000
	v_lshlrev_b32_e32 v3, 20, v3
	v_lshl_add_u32 v5, v5, 23, v6
	v_or3_b32 v3, v4, v5, v3
.LBB14_1792:
	s_or_b64 exec, exec, s[6:7]
	s_nop 0
	v_mfma_f32_16x16x4f32 a[0:3], v2, v3, a[0:3]
	s_movk_i32 s4, 0x7f
                                        ; implicit-def: $sgpr10
	s_nop 7
	s_nop 1
	flat_store_dwordx4 v[18:19], a[0:3] offset:608
	flat_load_dwordx4 v[18:21], v[0:1] offset:16
	s_nop 0
	flat_load_dwordx2 v[16:17], v[0:1] offset:32
	s_waitcnt vmcnt(0) lgkmcnt(0)
	flat_load_dwordx4 v[12:15], v[18:19]
	flat_load_dwordx4 v[4:7], v[18:19] offset:16
	flat_load_dwordx4 v[8:11], v[20:21] offset:480
	;; [unrolled: 1-line block ×3, first 2 shown]
	s_waitcnt vmcnt(0) lgkmcnt(0)
	v_cmp_gt_i16_sdwa s[6:7], v12, s4 src0_sel:BYTE_0 src1_sel:DWORD
	s_mov_b64 s[4:5], 0
	s_and_saveexec_b64 s[8:9], s[6:7]
	s_xor_b64 s[6:7], exec, s[8:9]
	s_cbranch_execnz .LBB14_3841
; %bb.1793:
	s_or_saveexec_b64 s[6:7], s[6:7]
	v_mov_b32_e32 v18, s10
	s_xor_b64 exec, exec, s[6:7]
	s_cbranch_execnz .LBB14_3844
.LBB14_1794:
	s_or_b64 exec, exec, s[6:7]
	s_and_saveexec_b64 s[6:7], s[4:5]
	s_cbranch_execz .LBB14_1796
.LBB14_1795:
	v_and_b32_e32 v18, 7, v12
	v_ffbh_u32_e32 v20, v18
	v_min_u32_e32 v20, 32, v20
	v_lshrrev_b16_e32 v19, 3, v12
	v_subrev_u32_e32 v21, 28, v20
	v_and_b32_e32 v19, 15, v19
	v_lshlrev_b32_e32 v21, v21, v12
	v_sub_u32_e32 v20, 29, v20
	v_and_b32_e32 v21, 7, v21
	v_cmp_eq_u16_e32 vcc, 0, v19
	v_cndmask_b32_e32 v18, v18, v21, vcc
	v_cndmask_b32_e32 v19, v19, v20, vcc
	v_lshlrev_b32_e32 v20, 24, v12
	v_mov_b32_e32 v21, 0x3b800000
	v_lshlrev_b32_e32 v18, 20, v18
	v_and_b32_e32 v20, 0x80000000, v20
	v_lshl_add_u32 v19, v19, 23, v21
	v_or3_b32 v18, v20, v19, v18
.LBB14_1796:
	s_or_b64 exec, exec, s[6:7]
	s_movk_i32 s4, 0x7f
	v_cmp_gt_i16_sdwa s[6:7], v8, s4 src0_sel:BYTE_0 src1_sel:DWORD
	s_mov_b64 s[4:5], 0
                                        ; implicit-def: $sgpr10
	s_and_saveexec_b64 s[8:9], s[6:7]
	s_xor_b64 s[6:7], exec, s[8:9]
	s_cbranch_execnz .LBB14_3845
; %bb.1797:
	s_or_saveexec_b64 s[6:7], s[6:7]
	v_mov_b32_e32 v19, s10
	s_xor_b64 exec, exec, s[6:7]
	s_cbranch_execnz .LBB14_3848
.LBB14_1798:
	s_or_b64 exec, exec, s[6:7]
	s_and_saveexec_b64 s[6:7], s[4:5]
	s_cbranch_execz .LBB14_1800
.LBB14_1799:
	v_and_b32_e32 v19, 7, v8
	v_ffbh_u32_e32 v21, v19
	v_min_u32_e32 v21, 32, v21
	v_lshrrev_b16_e32 v20, 3, v8
	v_subrev_u32_e32 v22, 28, v21
	v_and_b32_e32 v20, 15, v20
	v_lshlrev_b32_e32 v22, v22, v8
	v_sub_u32_e32 v21, 29, v21
	v_and_b32_e32 v22, 7, v22
	v_cmp_eq_u16_e32 vcc, 0, v20
	v_cndmask_b32_e32 v19, v19, v22, vcc
	v_cndmask_b32_e32 v20, v20, v21, vcc
	v_lshlrev_b32_e32 v21, 24, v8
	v_mov_b32_e32 v22, 0x3b800000
	v_lshlrev_b32_e32 v19, 20, v19
	v_and_b32_e32 v21, 0x80000000, v21
	v_lshl_add_u32 v20, v20, 23, v22
	v_or3_b32 v19, v21, v20, v19
.LBB14_1800:
	s_or_b64 exec, exec, s[6:7]
	flat_load_dwordx4 a[0:3], v[16:17] offset:624
	s_movk_i32 s4, 0x7f
                                        ; implicit-def: $sgpr10
	s_waitcnt vmcnt(0) lgkmcnt(0)
	v_mfma_f32_16x16x4f32 a[0:3], v18, v19, a[0:3]
	v_lshrrev_b32_e32 v19, 8, v12
	v_cmp_gt_i16_sdwa s[6:7], v19, s4 src0_sel:BYTE_0 src1_sel:DWORD
	s_mov_b64 s[4:5], 0
	s_and_saveexec_b64 s[8:9], s[6:7]
	s_xor_b64 s[6:7], exec, s[8:9]
	s_cbranch_execnz .LBB14_3849
; %bb.1801:
	s_or_saveexec_b64 s[6:7], s[6:7]
	v_mov_b32_e32 v18, s10
	s_xor_b64 exec, exec, s[6:7]
	s_cbranch_execnz .LBB14_3852
.LBB14_1802:
	s_or_b64 exec, exec, s[6:7]
	s_and_saveexec_b64 s[6:7], s[4:5]
	s_cbranch_execz .LBB14_1804
.LBB14_1803:
	v_bfe_u32 v18, v12, 8, 3
	v_ffbh_u32_e32 v21, v18
	v_min_u32_e32 v21, 32, v21
	v_lshrrev_b16_e32 v20, 3, v19
	v_subrev_u32_e32 v22, 28, v21
	v_and_b32_e32 v20, 15, v20
	v_lshlrev_b32_e32 v19, v22, v19
	v_sub_u32_e32 v21, 29, v21
	v_and_b32_e32 v19, 7, v19
	v_cmp_eq_u16_e32 vcc, 0, v20
	v_cndmask_b32_e32 v18, v18, v19, vcc
	v_cndmask_b32_e32 v19, v20, v21, vcc
	v_lshlrev_b32_e32 v20, 16, v12
	v_mov_b32_e32 v21, 0x3b800000
	v_lshlrev_b32_e32 v18, 20, v18
	v_and_b32_e32 v20, 0x80000000, v20
	v_lshl_add_u32 v19, v19, 23, v21
	v_or3_b32 v18, v20, v19, v18
.LBB14_1804:
	s_or_b64 exec, exec, s[6:7]
	v_lshrrev_b32_e32 v19, 8, v8
	s_movk_i32 s4, 0x7f
	v_cmp_gt_i16_sdwa s[6:7], v19, s4 src0_sel:BYTE_0 src1_sel:DWORD
	s_mov_b64 s[4:5], 0
                                        ; implicit-def: $sgpr10
	s_and_saveexec_b64 s[8:9], s[6:7]
	s_xor_b64 s[6:7], exec, s[8:9]
	s_cbranch_execnz .LBB14_3853
; %bb.1805:
	s_or_saveexec_b64 s[6:7], s[6:7]
	v_mov_b32_e32 v20, s10
	s_xor_b64 exec, exec, s[6:7]
	s_cbranch_execnz .LBB14_3856
.LBB14_1806:
	s_or_b64 exec, exec, s[6:7]
	s_and_saveexec_b64 s[6:7], s[4:5]
	s_cbranch_execz .LBB14_1808
.LBB14_1807:
	v_bfe_u32 v20, v8, 8, 3
	v_ffbh_u32_e32 v22, v20
	v_min_u32_e32 v22, 32, v22
	v_lshrrev_b16_e32 v21, 3, v19
	v_subrev_u32_e32 v23, 28, v22
	v_and_b32_e32 v21, 15, v21
	v_lshlrev_b32_e32 v19, v23, v19
	v_sub_u32_e32 v22, 29, v22
	v_and_b32_e32 v19, 7, v19
	v_cmp_eq_u16_e32 vcc, 0, v21
	v_cndmask_b32_e32 v19, v20, v19, vcc
	v_cndmask_b32_e32 v20, v21, v22, vcc
	v_lshlrev_b32_e32 v21, 16, v8
	v_mov_b32_e32 v22, 0x3b800000
	v_lshlrev_b32_e32 v19, 20, v19
	v_and_b32_e32 v21, 0x80000000, v21
	v_lshl_add_u32 v20, v20, 23, v22
	v_or3_b32 v20, v21, v20, v19
.LBB14_1808:
	s_or_b64 exec, exec, s[6:7]
	s_nop 0
	v_mfma_f32_16x16x4f32 a[0:3], v18, v20, a[0:3]
	s_movk_i32 s4, 0xff
	v_and_b32_sdwa v19, v12, s4 dst_sel:DWORD dst_unused:UNUSED_PAD src0_sel:WORD_1 src1_sel:DWORD
	s_movk_i32 s4, 0x7f
	v_cmp_lt_i16_e32 vcc, s4, v19
	s_mov_b64 s[4:5], 0
                                        ; implicit-def: $sgpr10
	s_and_saveexec_b64 s[6:7], vcc
	s_xor_b64 s[6:7], exec, s[6:7]
	s_cbranch_execnz .LBB14_3857
; %bb.1809:
	s_or_saveexec_b64 s[6:7], s[6:7]
	v_mov_b32_e32 v18, s10
	s_xor_b64 exec, exec, s[6:7]
	s_cbranch_execnz .LBB14_3860
.LBB14_1810:
	s_or_b64 exec, exec, s[6:7]
	s_and_saveexec_b64 s[6:7], s[4:5]
	s_cbranch_execz .LBB14_1812
.LBB14_1811:
	v_bfe_u32 v18, v12, 16, 3
	v_ffbh_u32_e32 v21, v18
	v_min_u32_e32 v21, 32, v21
	v_lshrrev_b32_e32 v19, 19, v12
	v_subrev_u32_e32 v22, 28, v21
	v_and_b32_e32 v19, 15, v19
	v_lshlrev_b32_sdwa v22, v22, v12 dst_sel:DWORD dst_unused:UNUSED_PAD src0_sel:DWORD src1_sel:WORD_1
	v_bfe_u32 v20, v12, 19, 4
	v_sub_u32_e32 v21, 29, v21
	v_and_b32_e32 v22, 7, v22
	v_cmp_eq_u16_e32 vcc, 0, v19
	v_cndmask_b32_e32 v18, v18, v22, vcc
	v_cndmask_b32_e32 v19, v20, v21, vcc
	v_lshlrev_b32_e32 v20, 8, v12
	v_mov_b32_e32 v21, 0x3b800000
	v_lshlrev_b32_e32 v18, 20, v18
	v_and_b32_e32 v20, 0x80000000, v20
	v_lshl_add_u32 v19, v19, 23, v21
	v_or3_b32 v18, v20, v19, v18
.LBB14_1812:
	s_or_b64 exec, exec, s[6:7]
	s_movk_i32 s4, 0xff
	v_and_b32_sdwa v19, v8, s4 dst_sel:DWORD dst_unused:UNUSED_PAD src0_sel:WORD_1 src1_sel:DWORD
	s_movk_i32 s4, 0x7f
	v_cmp_lt_i16_e32 vcc, s4, v19
	s_mov_b64 s[4:5], 0
                                        ; implicit-def: $sgpr10
	s_and_saveexec_b64 s[6:7], vcc
	s_xor_b64 s[6:7], exec, s[6:7]
	s_cbranch_execnz .LBB14_3861
; %bb.1813:
	s_or_saveexec_b64 s[6:7], s[6:7]
	v_mov_b32_e32 v20, s10
	s_xor_b64 exec, exec, s[6:7]
	s_cbranch_execnz .LBB14_3864
.LBB14_1814:
	s_or_b64 exec, exec, s[6:7]
	s_and_saveexec_b64 s[6:7], s[4:5]
	s_cbranch_execz .LBB14_1816
.LBB14_1815:
	v_bfe_u32 v19, v8, 16, 3
	v_ffbh_u32_e32 v22, v19
	v_min_u32_e32 v22, 32, v22
	v_lshrrev_b32_e32 v20, 19, v8
	v_subrev_u32_e32 v23, 28, v22
	v_and_b32_e32 v20, 15, v20
	v_lshlrev_b32_sdwa v23, v23, v8 dst_sel:DWORD dst_unused:UNUSED_PAD src0_sel:DWORD src1_sel:WORD_1
	v_bfe_u32 v21, v8, 19, 4
	v_sub_u32_e32 v22, 29, v22
	v_and_b32_e32 v23, 7, v23
	v_cmp_eq_u16_e32 vcc, 0, v20
	v_cndmask_b32_e32 v19, v19, v23, vcc
	v_cndmask_b32_e32 v20, v21, v22, vcc
	v_lshlrev_b32_e32 v21, 8, v8
	v_mov_b32_e32 v22, 0x3b800000
	v_lshlrev_b32_e32 v19, 20, v19
	v_and_b32_e32 v21, 0x80000000, v21
	v_lshl_add_u32 v20, v20, 23, v22
	v_or3_b32 v20, v21, v20, v19
.LBB14_1816:
	s_or_b64 exec, exec, s[6:7]
	s_nop 0
	v_mfma_f32_16x16x4f32 a[0:3], v18, v20, a[0:3]
	s_movk_i32 s4, 0x7f
	v_cmp_gt_i16_sdwa s[6:7], v12, s4 src0_sel:BYTE_3 src1_sel:DWORD
	s_mov_b64 s[4:5], 0
                                        ; implicit-def: $sgpr10
	s_and_saveexec_b64 s[8:9], s[6:7]
	s_xor_b64 s[6:7], exec, s[8:9]
	s_cbranch_execnz .LBB14_3865
; %bb.1817:
	s_or_saveexec_b64 s[6:7], s[6:7]
	v_mov_b32_e32 v18, s10
	s_xor_b64 exec, exec, s[6:7]
	s_cbranch_execnz .LBB14_3868
.LBB14_1818:
	s_or_b64 exec, exec, s[6:7]
	s_and_saveexec_b64 s[6:7], s[4:5]
	s_cbranch_execz .LBB14_1820
.LBB14_1819:
	v_bfe_u32 v18, v12, 24, 3
	v_ffbh_u32_e32 v22, v18
	v_min_u32_e32 v22, 32, v22
	v_lshrrev_b32_e32 v20, 27, v12
	v_subrev_u32_e32 v23, 28, v22
	v_and_b32_e32 v19, 0x80000000, v12
	v_and_b32_e32 v20, 15, v20
	v_bfe_u32 v21, v12, 27, 4
	v_lshlrev_b32_sdwa v12, v23, v12 dst_sel:DWORD dst_unused:UNUSED_PAD src0_sel:DWORD src1_sel:BYTE_3
	v_sub_u32_e32 v22, 29, v22
	v_and_b32_e32 v12, 7, v12
	v_cmp_eq_u16_e32 vcc, 0, v20
	v_cndmask_b32_e32 v12, v18, v12, vcc
	v_cndmask_b32_e32 v18, v21, v22, vcc
	v_mov_b32_e32 v20, 0x3b800000
	v_lshlrev_b32_e32 v12, 20, v12
	v_lshl_add_u32 v18, v18, 23, v20
	v_or3_b32 v18, v19, v18, v12
.LBB14_1820:
	s_or_b64 exec, exec, s[6:7]
	s_movk_i32 s4, 0x7f
	v_cmp_gt_i16_sdwa s[6:7], v8, s4 src0_sel:BYTE_3 src1_sel:DWORD
	s_mov_b64 s[4:5], 0
                                        ; implicit-def: $sgpr10
	s_and_saveexec_b64 s[8:9], s[6:7]
	s_xor_b64 s[6:7], exec, s[8:9]
	s_cbranch_execnz .LBB14_3869
; %bb.1821:
	s_or_saveexec_b64 s[6:7], s[6:7]
	v_mov_b32_e32 v12, s10
	s_xor_b64 exec, exec, s[6:7]
	s_cbranch_execnz .LBB14_3872
.LBB14_1822:
	s_or_b64 exec, exec, s[6:7]
	s_and_saveexec_b64 s[6:7], s[4:5]
	s_cbranch_execz .LBB14_1824
.LBB14_1823:
	v_bfe_u32 v12, v8, 24, 3
	v_ffbh_u32_e32 v22, v12
	v_min_u32_e32 v22, 32, v22
	v_lshrrev_b32_e32 v20, 27, v8
	v_subrev_u32_e32 v23, 28, v22
	v_and_b32_e32 v19, 0x80000000, v8
	v_and_b32_e32 v20, 15, v20
	v_bfe_u32 v21, v8, 27, 4
	v_lshlrev_b32_sdwa v8, v23, v8 dst_sel:DWORD dst_unused:UNUSED_PAD src0_sel:DWORD src1_sel:BYTE_3
	v_sub_u32_e32 v22, 29, v22
	v_and_b32_e32 v8, 7, v8
	v_cmp_eq_u16_e32 vcc, 0, v20
	v_cndmask_b32_e32 v8, v12, v8, vcc
	v_cndmask_b32_e32 v12, v21, v22, vcc
	v_mov_b32_e32 v20, 0x3b800000
	v_lshlrev_b32_e32 v8, 20, v8
	v_lshl_add_u32 v12, v12, 23, v20
	v_or3_b32 v12, v19, v12, v8
.LBB14_1824:
	s_or_b64 exec, exec, s[6:7]
	s_nop 0
	v_mfma_f32_16x16x4f32 a[0:3], v18, v12, a[0:3]
	s_movk_i32 s4, 0x7f
	v_cmp_gt_i16_sdwa s[6:7], v13, s4 src0_sel:BYTE_0 src1_sel:DWORD
	s_mov_b64 s[4:5], 0
                                        ; implicit-def: $sgpr10
	s_and_saveexec_b64 s[8:9], s[6:7]
	s_xor_b64 s[6:7], exec, s[8:9]
	s_cbranch_execnz .LBB14_3873
; %bb.1825:
	s_or_saveexec_b64 s[6:7], s[6:7]
	v_mov_b32_e32 v8, s10
	s_xor_b64 exec, exec, s[6:7]
	s_cbranch_execnz .LBB14_3876
.LBB14_1826:
	s_or_b64 exec, exec, s[6:7]
	s_and_saveexec_b64 s[6:7], s[4:5]
	s_cbranch_execz .LBB14_1828
.LBB14_1827:
	v_and_b32_e32 v8, 7, v13
	v_ffbh_u32_e32 v18, v8
	v_min_u32_e32 v18, 32, v18
	v_lshrrev_b16_e32 v12, 3, v13
	v_subrev_u32_e32 v19, 28, v18
	v_and_b32_e32 v12, 15, v12
	v_lshlrev_b32_e32 v19, v19, v13
	v_sub_u32_e32 v18, 29, v18
	v_and_b32_e32 v19, 7, v19
	v_cmp_eq_u16_e32 vcc, 0, v12
	v_cndmask_b32_e32 v8, v8, v19, vcc
	v_cndmask_b32_e32 v12, v12, v18, vcc
	v_lshlrev_b32_e32 v18, 24, v13
	v_mov_b32_e32 v19, 0x3b800000
	v_lshlrev_b32_e32 v8, 20, v8
	v_and_b32_e32 v18, 0x80000000, v18
	v_lshl_add_u32 v12, v12, 23, v19
	v_or3_b32 v8, v18, v12, v8
.LBB14_1828:
	s_or_b64 exec, exec, s[6:7]
	s_movk_i32 s4, 0x7f
	v_cmp_gt_i16_sdwa s[6:7], v9, s4 src0_sel:BYTE_0 src1_sel:DWORD
	s_mov_b64 s[4:5], 0
                                        ; implicit-def: $sgpr10
	s_and_saveexec_b64 s[8:9], s[6:7]
	s_xor_b64 s[6:7], exec, s[8:9]
	s_cbranch_execnz .LBB14_3877
; %bb.1829:
	s_or_saveexec_b64 s[6:7], s[6:7]
	v_mov_b32_e32 v12, s10
	s_xor_b64 exec, exec, s[6:7]
	s_cbranch_execnz .LBB14_3880
.LBB14_1830:
	s_or_b64 exec, exec, s[6:7]
	s_and_saveexec_b64 s[6:7], s[4:5]
	s_cbranch_execz .LBB14_1832
.LBB14_1831:
	v_and_b32_e32 v12, 7, v9
	v_ffbh_u32_e32 v19, v12
	v_min_u32_e32 v19, 32, v19
	v_lshrrev_b16_e32 v18, 3, v9
	v_subrev_u32_e32 v20, 28, v19
	v_and_b32_e32 v18, 15, v18
	v_lshlrev_b32_e32 v20, v20, v9
	v_sub_u32_e32 v19, 29, v19
	v_and_b32_e32 v20, 7, v20
	v_cmp_eq_u16_e32 vcc, 0, v18
	v_cndmask_b32_e32 v12, v12, v20, vcc
	v_cndmask_b32_e32 v18, v18, v19, vcc
	v_lshlrev_b32_e32 v19, 24, v9
	v_mov_b32_e32 v20, 0x3b800000
	v_lshlrev_b32_e32 v12, 20, v12
	v_and_b32_e32 v19, 0x80000000, v19
	v_lshl_add_u32 v18, v18, 23, v20
	v_or3_b32 v12, v19, v18, v12
.LBB14_1832:
	s_or_b64 exec, exec, s[6:7]
	s_nop 0
	v_mfma_f32_16x16x4f32 a[0:3], v8, v12, a[0:3]
	v_lshrrev_b32_e32 v12, 8, v13
	s_movk_i32 s4, 0x7f
	v_cmp_gt_i16_sdwa s[6:7], v12, s4 src0_sel:BYTE_0 src1_sel:DWORD
	s_mov_b64 s[4:5], 0
                                        ; implicit-def: $sgpr10
	s_and_saveexec_b64 s[8:9], s[6:7]
	s_xor_b64 s[6:7], exec, s[8:9]
	s_cbranch_execnz .LBB14_3881
; %bb.1833:
	s_or_saveexec_b64 s[6:7], s[6:7]
	v_mov_b32_e32 v8, s10
	s_xor_b64 exec, exec, s[6:7]
	s_cbranch_execnz .LBB14_3884
.LBB14_1834:
	s_or_b64 exec, exec, s[6:7]
	s_and_saveexec_b64 s[6:7], s[4:5]
	s_cbranch_execz .LBB14_1836
.LBB14_1835:
	v_bfe_u32 v8, v13, 8, 3
	v_ffbh_u32_e32 v19, v8
	v_min_u32_e32 v19, 32, v19
	v_lshrrev_b16_e32 v18, 3, v12
	v_subrev_u32_e32 v20, 28, v19
	v_and_b32_e32 v18, 15, v18
	v_lshlrev_b32_e32 v12, v20, v12
	v_sub_u32_e32 v19, 29, v19
	v_and_b32_e32 v12, 7, v12
	v_cmp_eq_u16_e32 vcc, 0, v18
	v_cndmask_b32_e32 v8, v8, v12, vcc
	v_cndmask_b32_e32 v12, v18, v19, vcc
	v_lshlrev_b32_e32 v18, 16, v13
	v_mov_b32_e32 v19, 0x3b800000
	v_lshlrev_b32_e32 v8, 20, v8
	v_and_b32_e32 v18, 0x80000000, v18
	v_lshl_add_u32 v12, v12, 23, v19
	v_or3_b32 v8, v18, v12, v8
.LBB14_1836:
	s_or_b64 exec, exec, s[6:7]
	v_lshrrev_b32_e32 v12, 8, v9
	s_movk_i32 s4, 0x7f
	v_cmp_gt_i16_sdwa s[6:7], v12, s4 src0_sel:BYTE_0 src1_sel:DWORD
	s_mov_b64 s[4:5], 0
                                        ; implicit-def: $sgpr10
	s_and_saveexec_b64 s[8:9], s[6:7]
	s_xor_b64 s[6:7], exec, s[8:9]
	s_cbranch_execnz .LBB14_3885
; %bb.1837:
	s_or_saveexec_b64 s[6:7], s[6:7]
	v_mov_b32_e32 v18, s10
	s_xor_b64 exec, exec, s[6:7]
	s_cbranch_execnz .LBB14_3888
.LBB14_1838:
	s_or_b64 exec, exec, s[6:7]
	s_and_saveexec_b64 s[6:7], s[4:5]
	s_cbranch_execz .LBB14_1840
.LBB14_1839:
	v_bfe_u32 v18, v9, 8, 3
	v_ffbh_u32_e32 v20, v18
	v_min_u32_e32 v20, 32, v20
	v_lshrrev_b16_e32 v19, 3, v12
	v_subrev_u32_e32 v21, 28, v20
	v_and_b32_e32 v19, 15, v19
	v_lshlrev_b32_e32 v12, v21, v12
	v_sub_u32_e32 v20, 29, v20
	v_and_b32_e32 v12, 7, v12
	v_cmp_eq_u16_e32 vcc, 0, v19
	v_cndmask_b32_e32 v12, v18, v12, vcc
	v_cndmask_b32_e32 v18, v19, v20, vcc
	v_lshlrev_b32_e32 v19, 16, v9
	v_mov_b32_e32 v20, 0x3b800000
	v_lshlrev_b32_e32 v12, 20, v12
	v_and_b32_e32 v19, 0x80000000, v19
	v_lshl_add_u32 v18, v18, 23, v20
	v_or3_b32 v18, v19, v18, v12
.LBB14_1840:
	s_or_b64 exec, exec, s[6:7]
	s_nop 0
	v_mfma_f32_16x16x4f32 a[0:3], v8, v18, a[0:3]
	s_movk_i32 s4, 0xff
	v_and_b32_sdwa v12, v13, s4 dst_sel:DWORD dst_unused:UNUSED_PAD src0_sel:WORD_1 src1_sel:DWORD
	s_movk_i32 s4, 0x7f
	v_cmp_lt_i16_e32 vcc, s4, v12
	s_mov_b64 s[4:5], 0
                                        ; implicit-def: $sgpr10
	s_and_saveexec_b64 s[6:7], vcc
	s_xor_b64 s[6:7], exec, s[6:7]
	s_cbranch_execnz .LBB14_3889
; %bb.1841:
	s_or_saveexec_b64 s[6:7], s[6:7]
	v_mov_b32_e32 v8, s10
	s_xor_b64 exec, exec, s[6:7]
	s_cbranch_execnz .LBB14_3892
.LBB14_1842:
	s_or_b64 exec, exec, s[6:7]
	s_and_saveexec_b64 s[6:7], s[4:5]
	s_cbranch_execz .LBB14_1844
.LBB14_1843:
	v_bfe_u32 v8, v13, 16, 3
	v_ffbh_u32_e32 v19, v8
	v_min_u32_e32 v19, 32, v19
	v_lshrrev_b32_e32 v12, 19, v13
	v_subrev_u32_e32 v20, 28, v19
	v_and_b32_e32 v12, 15, v12
	v_lshlrev_b32_sdwa v20, v20, v13 dst_sel:DWORD dst_unused:UNUSED_PAD src0_sel:DWORD src1_sel:WORD_1
	v_bfe_u32 v18, v13, 19, 4
	v_sub_u32_e32 v19, 29, v19
	v_and_b32_e32 v20, 7, v20
	v_cmp_eq_u16_e32 vcc, 0, v12
	v_cndmask_b32_e32 v8, v8, v20, vcc
	v_cndmask_b32_e32 v12, v18, v19, vcc
	v_lshlrev_b32_e32 v18, 8, v13
	v_mov_b32_e32 v19, 0x3b800000
	v_lshlrev_b32_e32 v8, 20, v8
	v_and_b32_e32 v18, 0x80000000, v18
	v_lshl_add_u32 v12, v12, 23, v19
	v_or3_b32 v8, v18, v12, v8
.LBB14_1844:
	s_or_b64 exec, exec, s[6:7]
	s_movk_i32 s4, 0xff
	v_and_b32_sdwa v12, v9, s4 dst_sel:DWORD dst_unused:UNUSED_PAD src0_sel:WORD_1 src1_sel:DWORD
	s_movk_i32 s4, 0x7f
	v_cmp_lt_i16_e32 vcc, s4, v12
	s_mov_b64 s[4:5], 0
                                        ; implicit-def: $sgpr10
	s_and_saveexec_b64 s[6:7], vcc
	s_xor_b64 s[6:7], exec, s[6:7]
	s_cbranch_execnz .LBB14_3893
; %bb.1845:
	s_or_saveexec_b64 s[6:7], s[6:7]
	v_mov_b32_e32 v18, s10
	s_xor_b64 exec, exec, s[6:7]
	s_cbranch_execnz .LBB14_3896
.LBB14_1846:
	s_or_b64 exec, exec, s[6:7]
	s_and_saveexec_b64 s[6:7], s[4:5]
	s_cbranch_execz .LBB14_1848
.LBB14_1847:
	v_bfe_u32 v12, v9, 16, 3
	v_ffbh_u32_e32 v20, v12
	v_min_u32_e32 v20, 32, v20
	v_lshrrev_b32_e32 v18, 19, v9
	v_subrev_u32_e32 v21, 28, v20
	v_and_b32_e32 v18, 15, v18
	v_lshlrev_b32_sdwa v21, v21, v9 dst_sel:DWORD dst_unused:UNUSED_PAD src0_sel:DWORD src1_sel:WORD_1
	v_bfe_u32 v19, v9, 19, 4
	v_sub_u32_e32 v20, 29, v20
	v_and_b32_e32 v21, 7, v21
	v_cmp_eq_u16_e32 vcc, 0, v18
	v_cndmask_b32_e32 v12, v12, v21, vcc
	v_cndmask_b32_e32 v18, v19, v20, vcc
	v_lshlrev_b32_e32 v19, 8, v9
	v_mov_b32_e32 v20, 0x3b800000
	v_lshlrev_b32_e32 v12, 20, v12
	v_and_b32_e32 v19, 0x80000000, v19
	v_lshl_add_u32 v18, v18, 23, v20
	v_or3_b32 v18, v19, v18, v12
.LBB14_1848:
	s_or_b64 exec, exec, s[6:7]
	s_nop 0
	v_mfma_f32_16x16x4f32 a[0:3], v8, v18, a[0:3]
	s_movk_i32 s4, 0x7f
	v_cmp_gt_i16_sdwa s[6:7], v13, s4 src0_sel:BYTE_3 src1_sel:DWORD
	s_mov_b64 s[4:5], 0
                                        ; implicit-def: $sgpr10
	s_and_saveexec_b64 s[8:9], s[6:7]
	s_xor_b64 s[6:7], exec, s[8:9]
	s_cbranch_execnz .LBB14_3897
; %bb.1849:
	s_or_saveexec_b64 s[6:7], s[6:7]
	v_mov_b32_e32 v8, s10
	s_xor_b64 exec, exec, s[6:7]
	s_cbranch_execnz .LBB14_3900
.LBB14_1850:
	s_or_b64 exec, exec, s[6:7]
	s_and_saveexec_b64 s[6:7], s[4:5]
	s_cbranch_execz .LBB14_1852
.LBB14_1851:
	v_bfe_u32 v8, v13, 24, 3
	v_ffbh_u32_e32 v20, v8
	v_min_u32_e32 v20, 32, v20
	v_lshrrev_b32_e32 v18, 27, v13
	v_subrev_u32_e32 v21, 28, v20
	v_and_b32_e32 v12, 0x80000000, v13
	v_and_b32_e32 v18, 15, v18
	v_bfe_u32 v19, v13, 27, 4
	v_lshlrev_b32_sdwa v13, v21, v13 dst_sel:DWORD dst_unused:UNUSED_PAD src0_sel:DWORD src1_sel:BYTE_3
	v_sub_u32_e32 v20, 29, v20
	v_and_b32_e32 v13, 7, v13
	v_cmp_eq_u16_e32 vcc, 0, v18
	v_cndmask_b32_e32 v8, v8, v13, vcc
	v_cndmask_b32_e32 v13, v19, v20, vcc
	v_mov_b32_e32 v18, 0x3b800000
	v_lshlrev_b32_e32 v8, 20, v8
	v_lshl_add_u32 v13, v13, 23, v18
	v_or3_b32 v8, v12, v13, v8
.LBB14_1852:
	s_or_b64 exec, exec, s[6:7]
	s_movk_i32 s4, 0x7f
	v_cmp_gt_i16_sdwa s[6:7], v9, s4 src0_sel:BYTE_3 src1_sel:DWORD
	s_mov_b64 s[4:5], 0
                                        ; implicit-def: $sgpr10
	s_and_saveexec_b64 s[8:9], s[6:7]
	s_xor_b64 s[6:7], exec, s[8:9]
	s_cbranch_execnz .LBB14_3901
; %bb.1853:
	s_or_saveexec_b64 s[6:7], s[6:7]
	v_mov_b32_e32 v12, s10
	s_xor_b64 exec, exec, s[6:7]
	s_cbranch_execnz .LBB14_3904
.LBB14_1854:
	s_or_b64 exec, exec, s[6:7]
	s_and_saveexec_b64 s[6:7], s[4:5]
	s_cbranch_execz .LBB14_1856
.LBB14_1855:
	v_bfe_u32 v12, v9, 24, 3
	v_ffbh_u32_e32 v20, v12
	v_min_u32_e32 v20, 32, v20
	v_lshrrev_b32_e32 v18, 27, v9
	v_subrev_u32_e32 v21, 28, v20
	v_and_b32_e32 v13, 0x80000000, v9
	v_and_b32_e32 v18, 15, v18
	v_bfe_u32 v19, v9, 27, 4
	v_lshlrev_b32_sdwa v9, v21, v9 dst_sel:DWORD dst_unused:UNUSED_PAD src0_sel:DWORD src1_sel:BYTE_3
	v_sub_u32_e32 v20, 29, v20
	v_and_b32_e32 v9, 7, v9
	v_cmp_eq_u16_e32 vcc, 0, v18
	v_cndmask_b32_e32 v9, v12, v9, vcc
	v_cndmask_b32_e32 v12, v19, v20, vcc
	v_mov_b32_e32 v18, 0x3b800000
	v_lshlrev_b32_e32 v9, 20, v9
	v_lshl_add_u32 v12, v12, 23, v18
	v_or3_b32 v12, v13, v12, v9
.LBB14_1856:
	s_or_b64 exec, exec, s[6:7]
	s_nop 0
	v_mfma_f32_16x16x4f32 a[0:3], v8, v12, a[0:3]
	s_movk_i32 s4, 0x7f
	v_cmp_gt_i16_sdwa s[6:7], v14, s4 src0_sel:BYTE_0 src1_sel:DWORD
	s_mov_b64 s[4:5], 0
                                        ; implicit-def: $sgpr10
	s_and_saveexec_b64 s[8:9], s[6:7]
	s_xor_b64 s[6:7], exec, s[8:9]
	s_cbranch_execnz .LBB14_3905
; %bb.1857:
	s_or_saveexec_b64 s[6:7], s[6:7]
	v_mov_b32_e32 v8, s10
	s_xor_b64 exec, exec, s[6:7]
	s_cbranch_execnz .LBB14_3908
.LBB14_1858:
	s_or_b64 exec, exec, s[6:7]
	s_and_saveexec_b64 s[6:7], s[4:5]
	s_cbranch_execz .LBB14_1860
.LBB14_1859:
	v_and_b32_e32 v8, 7, v14
	v_ffbh_u32_e32 v12, v8
	v_min_u32_e32 v12, 32, v12
	v_lshrrev_b16_e32 v9, 3, v14
	v_subrev_u32_e32 v13, 28, v12
	v_and_b32_e32 v9, 15, v9
	v_lshlrev_b32_e32 v13, v13, v14
	v_sub_u32_e32 v12, 29, v12
	v_and_b32_e32 v13, 7, v13
	v_cmp_eq_u16_e32 vcc, 0, v9
	v_cndmask_b32_e32 v8, v8, v13, vcc
	v_cndmask_b32_e32 v9, v9, v12, vcc
	v_lshlrev_b32_e32 v12, 24, v14
	v_mov_b32_e32 v13, 0x3b800000
	v_lshlrev_b32_e32 v8, 20, v8
	v_and_b32_e32 v12, 0x80000000, v12
	v_lshl_add_u32 v9, v9, 23, v13
	v_or3_b32 v8, v12, v9, v8
.LBB14_1860:
	s_or_b64 exec, exec, s[6:7]
	s_movk_i32 s4, 0x7f
	v_cmp_gt_i16_sdwa s[6:7], v10, s4 src0_sel:BYTE_0 src1_sel:DWORD
	s_mov_b64 s[4:5], 0
                                        ; implicit-def: $sgpr10
	s_and_saveexec_b64 s[8:9], s[6:7]
	s_xor_b64 s[6:7], exec, s[8:9]
	s_cbranch_execnz .LBB14_3909
; %bb.1861:
	s_or_saveexec_b64 s[6:7], s[6:7]
	v_mov_b32_e32 v9, s10
	s_xor_b64 exec, exec, s[6:7]
	s_cbranch_execnz .LBB14_3912
.LBB14_1862:
	s_or_b64 exec, exec, s[6:7]
	s_and_saveexec_b64 s[6:7], s[4:5]
	s_cbranch_execz .LBB14_1864
.LBB14_1863:
	v_and_b32_e32 v9, 7, v10
	v_ffbh_u32_e32 v13, v9
	v_min_u32_e32 v13, 32, v13
	v_lshrrev_b16_e32 v12, 3, v10
	v_subrev_u32_e32 v18, 28, v13
	v_and_b32_e32 v12, 15, v12
	v_lshlrev_b32_e32 v18, v18, v10
	v_sub_u32_e32 v13, 29, v13
	v_and_b32_e32 v18, 7, v18
	v_cmp_eq_u16_e32 vcc, 0, v12
	v_cndmask_b32_e32 v9, v9, v18, vcc
	v_cndmask_b32_e32 v12, v12, v13, vcc
	v_lshlrev_b32_e32 v13, 24, v10
	v_mov_b32_e32 v18, 0x3b800000
	v_lshlrev_b32_e32 v9, 20, v9
	v_and_b32_e32 v13, 0x80000000, v13
	v_lshl_add_u32 v12, v12, 23, v18
	v_or3_b32 v9, v13, v12, v9
.LBB14_1864:
	s_or_b64 exec, exec, s[6:7]
	s_nop 0
	v_mfma_f32_16x16x4f32 a[0:3], v8, v9, a[0:3]
	v_lshrrev_b32_e32 v9, 8, v14
	s_movk_i32 s4, 0x7f
	v_cmp_gt_i16_sdwa s[6:7], v9, s4 src0_sel:BYTE_0 src1_sel:DWORD
	s_mov_b64 s[4:5], 0
                                        ; implicit-def: $sgpr10
	s_and_saveexec_b64 s[8:9], s[6:7]
	s_xor_b64 s[6:7], exec, s[8:9]
	s_cbranch_execnz .LBB14_3913
; %bb.1865:
	s_or_saveexec_b64 s[6:7], s[6:7]
	v_mov_b32_e32 v8, s10
	s_xor_b64 exec, exec, s[6:7]
	s_cbranch_execnz .LBB14_3916
.LBB14_1866:
	s_or_b64 exec, exec, s[6:7]
	s_and_saveexec_b64 s[6:7], s[4:5]
	s_cbranch_execz .LBB14_1868
.LBB14_1867:
	v_bfe_u32 v8, v14, 8, 3
	v_ffbh_u32_e32 v13, v8
	v_min_u32_e32 v13, 32, v13
	v_lshrrev_b16_e32 v12, 3, v9
	v_subrev_u32_e32 v18, 28, v13
	v_and_b32_e32 v12, 15, v12
	v_lshlrev_b32_e32 v9, v18, v9
	v_sub_u32_e32 v13, 29, v13
	v_and_b32_e32 v9, 7, v9
	v_cmp_eq_u16_e32 vcc, 0, v12
	v_cndmask_b32_e32 v8, v8, v9, vcc
	v_cndmask_b32_e32 v9, v12, v13, vcc
	v_lshlrev_b32_e32 v12, 16, v14
	v_mov_b32_e32 v13, 0x3b800000
	v_lshlrev_b32_e32 v8, 20, v8
	v_and_b32_e32 v12, 0x80000000, v12
	v_lshl_add_u32 v9, v9, 23, v13
	v_or3_b32 v8, v12, v9, v8
.LBB14_1868:
	s_or_b64 exec, exec, s[6:7]
	v_lshrrev_b32_e32 v9, 8, v10
	s_movk_i32 s4, 0x7f
	v_cmp_gt_i16_sdwa s[6:7], v9, s4 src0_sel:BYTE_0 src1_sel:DWORD
	s_mov_b64 s[4:5], 0
                                        ; implicit-def: $sgpr10
	s_and_saveexec_b64 s[8:9], s[6:7]
	s_xor_b64 s[6:7], exec, s[8:9]
	s_cbranch_execnz .LBB14_3917
; %bb.1869:
	s_or_saveexec_b64 s[6:7], s[6:7]
	v_mov_b32_e32 v12, s10
	s_xor_b64 exec, exec, s[6:7]
	s_cbranch_execnz .LBB14_3920
.LBB14_1870:
	s_or_b64 exec, exec, s[6:7]
	s_and_saveexec_b64 s[6:7], s[4:5]
	s_cbranch_execz .LBB14_1872
.LBB14_1871:
	v_bfe_u32 v12, v10, 8, 3
	v_ffbh_u32_e32 v18, v12
	v_min_u32_e32 v18, 32, v18
	v_lshrrev_b16_e32 v13, 3, v9
	v_subrev_u32_e32 v19, 28, v18
	v_and_b32_e32 v13, 15, v13
	v_lshlrev_b32_e32 v9, v19, v9
	v_sub_u32_e32 v18, 29, v18
	v_and_b32_e32 v9, 7, v9
	v_cmp_eq_u16_e32 vcc, 0, v13
	v_cndmask_b32_e32 v9, v12, v9, vcc
	v_cndmask_b32_e32 v12, v13, v18, vcc
	v_lshlrev_b32_e32 v13, 16, v10
	v_mov_b32_e32 v18, 0x3b800000
	v_lshlrev_b32_e32 v9, 20, v9
	v_and_b32_e32 v13, 0x80000000, v13
	v_lshl_add_u32 v12, v12, 23, v18
	v_or3_b32 v12, v13, v12, v9
.LBB14_1872:
	s_or_b64 exec, exec, s[6:7]
	s_nop 0
	v_mfma_f32_16x16x4f32 a[0:3], v8, v12, a[0:3]
	s_movk_i32 s4, 0xff
	v_and_b32_sdwa v9, v14, s4 dst_sel:DWORD dst_unused:UNUSED_PAD src0_sel:WORD_1 src1_sel:DWORD
	s_movk_i32 s4, 0x7f
	v_cmp_lt_i16_e32 vcc, s4, v9
	s_mov_b64 s[4:5], 0
                                        ; implicit-def: $sgpr10
	s_and_saveexec_b64 s[6:7], vcc
	s_xor_b64 s[6:7], exec, s[6:7]
	s_cbranch_execnz .LBB14_3921
; %bb.1873:
	s_or_saveexec_b64 s[6:7], s[6:7]
	v_mov_b32_e32 v8, s10
	s_xor_b64 exec, exec, s[6:7]
	s_cbranch_execnz .LBB14_3924
.LBB14_1874:
	s_or_b64 exec, exec, s[6:7]
	s_and_saveexec_b64 s[6:7], s[4:5]
	s_cbranch_execz .LBB14_1876
.LBB14_1875:
	v_bfe_u32 v8, v14, 16, 3
	v_ffbh_u32_e32 v13, v8
	v_min_u32_e32 v13, 32, v13
	v_lshrrev_b32_e32 v9, 19, v14
	v_subrev_u32_e32 v18, 28, v13
	v_and_b32_e32 v9, 15, v9
	v_lshlrev_b32_sdwa v18, v18, v14 dst_sel:DWORD dst_unused:UNUSED_PAD src0_sel:DWORD src1_sel:WORD_1
	v_bfe_u32 v12, v14, 19, 4
	v_sub_u32_e32 v13, 29, v13
	v_and_b32_e32 v18, 7, v18
	v_cmp_eq_u16_e32 vcc, 0, v9
	v_cndmask_b32_e32 v8, v8, v18, vcc
	v_cndmask_b32_e32 v9, v12, v13, vcc
	v_lshlrev_b32_e32 v12, 8, v14
	v_mov_b32_e32 v13, 0x3b800000
	v_lshlrev_b32_e32 v8, 20, v8
	v_and_b32_e32 v12, 0x80000000, v12
	v_lshl_add_u32 v9, v9, 23, v13
	v_or3_b32 v8, v12, v9, v8
.LBB14_1876:
	s_or_b64 exec, exec, s[6:7]
	s_movk_i32 s4, 0xff
	v_and_b32_sdwa v9, v10, s4 dst_sel:DWORD dst_unused:UNUSED_PAD src0_sel:WORD_1 src1_sel:DWORD
	s_movk_i32 s4, 0x7f
	v_cmp_lt_i16_e32 vcc, s4, v9
	s_mov_b64 s[4:5], 0
                                        ; implicit-def: $sgpr10
	s_and_saveexec_b64 s[6:7], vcc
	s_xor_b64 s[6:7], exec, s[6:7]
	s_cbranch_execnz .LBB14_3925
; %bb.1877:
	s_or_saveexec_b64 s[6:7], s[6:7]
	v_mov_b32_e32 v12, s10
	s_xor_b64 exec, exec, s[6:7]
	s_cbranch_execnz .LBB14_3928
.LBB14_1878:
	s_or_b64 exec, exec, s[6:7]
	s_and_saveexec_b64 s[6:7], s[4:5]
	s_cbranch_execz .LBB14_1880
.LBB14_1879:
	v_bfe_u32 v9, v10, 16, 3
	v_ffbh_u32_e32 v18, v9
	v_min_u32_e32 v18, 32, v18
	v_lshrrev_b32_e32 v12, 19, v10
	v_subrev_u32_e32 v19, 28, v18
	v_and_b32_e32 v12, 15, v12
	v_lshlrev_b32_sdwa v19, v19, v10 dst_sel:DWORD dst_unused:UNUSED_PAD src0_sel:DWORD src1_sel:WORD_1
	v_bfe_u32 v13, v10, 19, 4
	v_sub_u32_e32 v18, 29, v18
	v_and_b32_e32 v19, 7, v19
	v_cmp_eq_u16_e32 vcc, 0, v12
	v_cndmask_b32_e32 v9, v9, v19, vcc
	v_cndmask_b32_e32 v12, v13, v18, vcc
	v_lshlrev_b32_e32 v13, 8, v10
	v_mov_b32_e32 v18, 0x3b800000
	v_lshlrev_b32_e32 v9, 20, v9
	v_and_b32_e32 v13, 0x80000000, v13
	v_lshl_add_u32 v12, v12, 23, v18
	v_or3_b32 v12, v13, v12, v9
.LBB14_1880:
	s_or_b64 exec, exec, s[6:7]
	s_nop 0
	v_mfma_f32_16x16x4f32 a[0:3], v8, v12, a[0:3]
	s_movk_i32 s4, 0x7f
	v_cmp_gt_i16_sdwa s[6:7], v14, s4 src0_sel:BYTE_3 src1_sel:DWORD
	s_mov_b64 s[4:5], 0
                                        ; implicit-def: $sgpr10
	s_and_saveexec_b64 s[8:9], s[6:7]
	s_xor_b64 s[6:7], exec, s[8:9]
	s_cbranch_execnz .LBB14_3929
; %bb.1881:
	s_or_saveexec_b64 s[6:7], s[6:7]
	v_mov_b32_e32 v8, s10
	s_xor_b64 exec, exec, s[6:7]
	s_cbranch_execnz .LBB14_3932
.LBB14_1882:
	s_or_b64 exec, exec, s[6:7]
	s_and_saveexec_b64 s[6:7], s[4:5]
	s_cbranch_execz .LBB14_1884
.LBB14_1883:
	v_bfe_u32 v8, v14, 24, 3
	v_ffbh_u32_e32 v18, v8
	v_min_u32_e32 v18, 32, v18
	v_lshrrev_b32_e32 v12, 27, v14
	v_subrev_u32_e32 v19, 28, v18
	v_and_b32_e32 v9, 0x80000000, v14
	v_and_b32_e32 v12, 15, v12
	v_bfe_u32 v13, v14, 27, 4
	v_lshlrev_b32_sdwa v14, v19, v14 dst_sel:DWORD dst_unused:UNUSED_PAD src0_sel:DWORD src1_sel:BYTE_3
	v_sub_u32_e32 v18, 29, v18
	v_and_b32_e32 v14, 7, v14
	v_cmp_eq_u16_e32 vcc, 0, v12
	v_cndmask_b32_e32 v8, v8, v14, vcc
	v_cndmask_b32_e32 v12, v13, v18, vcc
	v_mov_b32_e32 v13, 0x3b800000
	v_lshlrev_b32_e32 v8, 20, v8
	v_lshl_add_u32 v12, v12, 23, v13
	v_or3_b32 v8, v9, v12, v8
.LBB14_1884:
	s_or_b64 exec, exec, s[6:7]
	s_movk_i32 s4, 0x7f
	v_cmp_gt_i16_sdwa s[6:7], v10, s4 src0_sel:BYTE_3 src1_sel:DWORD
	s_mov_b64 s[4:5], 0
                                        ; implicit-def: $sgpr10
	s_and_saveexec_b64 s[8:9], s[6:7]
	s_xor_b64 s[6:7], exec, s[8:9]
	s_cbranch_execnz .LBB14_3933
; %bb.1885:
	s_or_saveexec_b64 s[6:7], s[6:7]
	v_mov_b32_e32 v9, s10
	s_xor_b64 exec, exec, s[6:7]
	s_cbranch_execnz .LBB14_3936
.LBB14_1886:
	s_or_b64 exec, exec, s[6:7]
	s_and_saveexec_b64 s[6:7], s[4:5]
	s_cbranch_execz .LBB14_1888
.LBB14_1887:
	v_bfe_u32 v9, v10, 24, 3
	v_ffbh_u32_e32 v18, v9
	v_min_u32_e32 v18, 32, v18
	v_lshrrev_b32_e32 v13, 27, v10
	v_subrev_u32_e32 v19, 28, v18
	v_and_b32_e32 v12, 0x80000000, v10
	v_and_b32_e32 v13, 15, v13
	v_bfe_u32 v14, v10, 27, 4
	v_lshlrev_b32_sdwa v10, v19, v10 dst_sel:DWORD dst_unused:UNUSED_PAD src0_sel:DWORD src1_sel:BYTE_3
	v_sub_u32_e32 v18, 29, v18
	v_and_b32_e32 v10, 7, v10
	v_cmp_eq_u16_e32 vcc, 0, v13
	v_cndmask_b32_e32 v9, v9, v10, vcc
	v_cndmask_b32_e32 v10, v14, v18, vcc
	v_mov_b32_e32 v13, 0x3b800000
	v_lshlrev_b32_e32 v9, 20, v9
	v_lshl_add_u32 v10, v10, 23, v13
	v_or3_b32 v9, v12, v10, v9
.LBB14_1888:
	s_or_b64 exec, exec, s[6:7]
	s_nop 0
	v_mfma_f32_16x16x4f32 a[0:3], v8, v9, a[0:3]
	s_movk_i32 s4, 0x7f
	v_cmp_gt_i16_sdwa s[6:7], v15, s4 src0_sel:BYTE_0 src1_sel:DWORD
	s_mov_b64 s[4:5], 0
                                        ; implicit-def: $sgpr10
	s_and_saveexec_b64 s[8:9], s[6:7]
	s_xor_b64 s[6:7], exec, s[8:9]
	s_cbranch_execnz .LBB14_3937
; %bb.1889:
	s_or_saveexec_b64 s[6:7], s[6:7]
	v_mov_b32_e32 v8, s10
	s_xor_b64 exec, exec, s[6:7]
	s_cbranch_execnz .LBB14_3940
.LBB14_1890:
	s_or_b64 exec, exec, s[6:7]
	s_and_saveexec_b64 s[6:7], s[4:5]
	s_cbranch_execz .LBB14_1892
.LBB14_1891:
	v_and_b32_e32 v8, 7, v15
	v_ffbh_u32_e32 v10, v8
	v_min_u32_e32 v10, 32, v10
	v_lshrrev_b16_e32 v9, 3, v15
	v_subrev_u32_e32 v12, 28, v10
	v_and_b32_e32 v9, 15, v9
	v_lshlrev_b32_e32 v12, v12, v15
	v_sub_u32_e32 v10, 29, v10
	v_and_b32_e32 v12, 7, v12
	v_cmp_eq_u16_e32 vcc, 0, v9
	v_cndmask_b32_e32 v8, v8, v12, vcc
	v_cndmask_b32_e32 v9, v9, v10, vcc
	v_lshlrev_b32_e32 v10, 24, v15
	v_mov_b32_e32 v12, 0x3b800000
	v_lshlrev_b32_e32 v8, 20, v8
	v_and_b32_e32 v10, 0x80000000, v10
	v_lshl_add_u32 v9, v9, 23, v12
	v_or3_b32 v8, v10, v9, v8
.LBB14_1892:
	s_or_b64 exec, exec, s[6:7]
	s_movk_i32 s4, 0x7f
	v_cmp_gt_i16_sdwa s[6:7], v11, s4 src0_sel:BYTE_0 src1_sel:DWORD
	s_mov_b64 s[4:5], 0
                                        ; implicit-def: $sgpr10
	s_and_saveexec_b64 s[8:9], s[6:7]
	s_xor_b64 s[6:7], exec, s[8:9]
	s_cbranch_execnz .LBB14_3941
; %bb.1893:
	s_or_saveexec_b64 s[6:7], s[6:7]
	v_mov_b32_e32 v9, s10
	s_xor_b64 exec, exec, s[6:7]
	s_cbranch_execnz .LBB14_3944
.LBB14_1894:
	s_or_b64 exec, exec, s[6:7]
	s_and_saveexec_b64 s[6:7], s[4:5]
	s_cbranch_execz .LBB14_1896
.LBB14_1895:
	v_and_b32_e32 v9, 7, v11
	v_ffbh_u32_e32 v12, v9
	v_min_u32_e32 v12, 32, v12
	v_lshrrev_b16_e32 v10, 3, v11
	v_subrev_u32_e32 v13, 28, v12
	v_and_b32_e32 v10, 15, v10
	v_lshlrev_b32_e32 v13, v13, v11
	v_sub_u32_e32 v12, 29, v12
	v_and_b32_e32 v13, 7, v13
	v_cmp_eq_u16_e32 vcc, 0, v10
	v_cndmask_b32_e32 v9, v9, v13, vcc
	v_cndmask_b32_e32 v10, v10, v12, vcc
	v_lshlrev_b32_e32 v12, 24, v11
	v_mov_b32_e32 v13, 0x3b800000
	v_lshlrev_b32_e32 v9, 20, v9
	v_and_b32_e32 v12, 0x80000000, v12
	v_lshl_add_u32 v10, v10, 23, v13
	v_or3_b32 v9, v12, v10, v9
.LBB14_1896:
	s_or_b64 exec, exec, s[6:7]
	s_nop 0
	v_mfma_f32_16x16x4f32 a[0:3], v8, v9, a[0:3]
	v_lshrrev_b32_e32 v9, 8, v15
	s_movk_i32 s4, 0x7f
	v_cmp_gt_i16_sdwa s[6:7], v9, s4 src0_sel:BYTE_0 src1_sel:DWORD
	s_mov_b64 s[4:5], 0
                                        ; implicit-def: $sgpr10
	s_and_saveexec_b64 s[8:9], s[6:7]
	s_xor_b64 s[6:7], exec, s[8:9]
	s_cbranch_execnz .LBB14_3945
; %bb.1897:
	s_or_saveexec_b64 s[6:7], s[6:7]
	v_mov_b32_e32 v8, s10
	s_xor_b64 exec, exec, s[6:7]
	s_cbranch_execnz .LBB14_3948
.LBB14_1898:
	s_or_b64 exec, exec, s[6:7]
	s_and_saveexec_b64 s[6:7], s[4:5]
	s_cbranch_execz .LBB14_1900
.LBB14_1899:
	v_bfe_u32 v8, v15, 8, 3
	v_ffbh_u32_e32 v12, v8
	v_min_u32_e32 v12, 32, v12
	v_lshrrev_b16_e32 v10, 3, v9
	v_subrev_u32_e32 v13, 28, v12
	v_and_b32_e32 v10, 15, v10
	v_lshlrev_b32_e32 v9, v13, v9
	v_sub_u32_e32 v12, 29, v12
	v_and_b32_e32 v9, 7, v9
	v_cmp_eq_u16_e32 vcc, 0, v10
	v_cndmask_b32_e32 v8, v8, v9, vcc
	v_cndmask_b32_e32 v9, v10, v12, vcc
	v_lshlrev_b32_e32 v10, 16, v15
	v_mov_b32_e32 v12, 0x3b800000
	v_lshlrev_b32_e32 v8, 20, v8
	v_and_b32_e32 v10, 0x80000000, v10
	v_lshl_add_u32 v9, v9, 23, v12
	v_or3_b32 v8, v10, v9, v8
.LBB14_1900:
	s_or_b64 exec, exec, s[6:7]
	v_lshrrev_b32_e32 v9, 8, v11
	s_movk_i32 s4, 0x7f
	v_cmp_gt_i16_sdwa s[6:7], v9, s4 src0_sel:BYTE_0 src1_sel:DWORD
	s_mov_b64 s[4:5], 0
                                        ; implicit-def: $sgpr10
	s_and_saveexec_b64 s[8:9], s[6:7]
	s_xor_b64 s[6:7], exec, s[8:9]
	s_cbranch_execnz .LBB14_3949
; %bb.1901:
	s_or_saveexec_b64 s[6:7], s[6:7]
	v_mov_b32_e32 v10, s10
	s_xor_b64 exec, exec, s[6:7]
	s_cbranch_execnz .LBB14_3952
.LBB14_1902:
	s_or_b64 exec, exec, s[6:7]
	s_and_saveexec_b64 s[6:7], s[4:5]
	s_cbranch_execz .LBB14_1904
.LBB14_1903:
	v_bfe_u32 v10, v11, 8, 3
	v_ffbh_u32_e32 v13, v10
	v_min_u32_e32 v13, 32, v13
	v_lshrrev_b16_e32 v12, 3, v9
	v_subrev_u32_e32 v14, 28, v13
	v_and_b32_e32 v12, 15, v12
	v_lshlrev_b32_e32 v9, v14, v9
	v_sub_u32_e32 v13, 29, v13
	v_and_b32_e32 v9, 7, v9
	v_cmp_eq_u16_e32 vcc, 0, v12
	v_cndmask_b32_e32 v9, v10, v9, vcc
	v_cndmask_b32_e32 v10, v12, v13, vcc
	v_lshlrev_b32_e32 v12, 16, v11
	v_mov_b32_e32 v13, 0x3b800000
	v_lshlrev_b32_e32 v9, 20, v9
	v_and_b32_e32 v12, 0x80000000, v12
	v_lshl_add_u32 v10, v10, 23, v13
	v_or3_b32 v10, v12, v10, v9
.LBB14_1904:
	s_or_b64 exec, exec, s[6:7]
	s_nop 0
	v_mfma_f32_16x16x4f32 a[0:3], v8, v10, a[0:3]
	s_movk_i32 s4, 0xff
	v_and_b32_sdwa v9, v15, s4 dst_sel:DWORD dst_unused:UNUSED_PAD src0_sel:WORD_1 src1_sel:DWORD
	s_movk_i32 s4, 0x7f
	v_cmp_lt_i16_e32 vcc, s4, v9
	s_mov_b64 s[4:5], 0
                                        ; implicit-def: $sgpr10
	s_and_saveexec_b64 s[6:7], vcc
	s_xor_b64 s[6:7], exec, s[6:7]
	s_cbranch_execnz .LBB14_3953
; %bb.1905:
	s_or_saveexec_b64 s[6:7], s[6:7]
	v_mov_b32_e32 v8, s10
	s_xor_b64 exec, exec, s[6:7]
	s_cbranch_execnz .LBB14_3956
.LBB14_1906:
	s_or_b64 exec, exec, s[6:7]
	s_and_saveexec_b64 s[6:7], s[4:5]
	s_cbranch_execz .LBB14_1908
.LBB14_1907:
	v_bfe_u32 v8, v15, 16, 3
	v_ffbh_u32_e32 v12, v8
	v_min_u32_e32 v12, 32, v12
	v_lshrrev_b32_e32 v9, 19, v15
	v_subrev_u32_e32 v13, 28, v12
	v_and_b32_e32 v9, 15, v9
	v_lshlrev_b32_sdwa v13, v13, v15 dst_sel:DWORD dst_unused:UNUSED_PAD src0_sel:DWORD src1_sel:WORD_1
	v_bfe_u32 v10, v15, 19, 4
	v_sub_u32_e32 v12, 29, v12
	v_and_b32_e32 v13, 7, v13
	v_cmp_eq_u16_e32 vcc, 0, v9
	v_cndmask_b32_e32 v8, v8, v13, vcc
	v_cndmask_b32_e32 v9, v10, v12, vcc
	v_lshlrev_b32_e32 v10, 8, v15
	v_mov_b32_e32 v12, 0x3b800000
	v_lshlrev_b32_e32 v8, 20, v8
	v_and_b32_e32 v10, 0x80000000, v10
	v_lshl_add_u32 v9, v9, 23, v12
	v_or3_b32 v8, v10, v9, v8
.LBB14_1908:
	s_or_b64 exec, exec, s[6:7]
	s_movk_i32 s4, 0xff
	v_and_b32_sdwa v9, v11, s4 dst_sel:DWORD dst_unused:UNUSED_PAD src0_sel:WORD_1 src1_sel:DWORD
	s_movk_i32 s4, 0x7f
	v_cmp_lt_i16_e32 vcc, s4, v9
	s_mov_b64 s[4:5], 0
                                        ; implicit-def: $sgpr10
	s_and_saveexec_b64 s[6:7], vcc
	s_xor_b64 s[6:7], exec, s[6:7]
	s_cbranch_execnz .LBB14_3957
; %bb.1909:
	s_or_saveexec_b64 s[6:7], s[6:7]
	v_mov_b32_e32 v10, s10
	s_xor_b64 exec, exec, s[6:7]
	s_cbranch_execnz .LBB14_3960
.LBB14_1910:
	s_or_b64 exec, exec, s[6:7]
	s_and_saveexec_b64 s[6:7], s[4:5]
	s_cbranch_execz .LBB14_1912
.LBB14_1911:
	v_bfe_u32 v9, v11, 16, 3
	v_ffbh_u32_e32 v13, v9
	v_min_u32_e32 v13, 32, v13
	v_lshrrev_b32_e32 v10, 19, v11
	v_subrev_u32_e32 v14, 28, v13
	v_and_b32_e32 v10, 15, v10
	v_lshlrev_b32_sdwa v14, v14, v11 dst_sel:DWORD dst_unused:UNUSED_PAD src0_sel:DWORD src1_sel:WORD_1
	v_bfe_u32 v12, v11, 19, 4
	v_sub_u32_e32 v13, 29, v13
	v_and_b32_e32 v14, 7, v14
	v_cmp_eq_u16_e32 vcc, 0, v10
	v_cndmask_b32_e32 v9, v9, v14, vcc
	v_cndmask_b32_e32 v10, v12, v13, vcc
	v_lshlrev_b32_e32 v12, 8, v11
	v_mov_b32_e32 v13, 0x3b800000
	v_lshlrev_b32_e32 v9, 20, v9
	v_and_b32_e32 v12, 0x80000000, v12
	v_lshl_add_u32 v10, v10, 23, v13
	v_or3_b32 v10, v12, v10, v9
.LBB14_1912:
	s_or_b64 exec, exec, s[6:7]
	s_nop 0
	v_mfma_f32_16x16x4f32 a[0:3], v8, v10, a[0:3]
	s_movk_i32 s4, 0x7f
	v_cmp_gt_i16_sdwa s[6:7], v15, s4 src0_sel:BYTE_3 src1_sel:DWORD
	s_mov_b64 s[4:5], 0
                                        ; implicit-def: $sgpr10
	s_and_saveexec_b64 s[8:9], s[6:7]
	s_xor_b64 s[6:7], exec, s[8:9]
	s_cbranch_execnz .LBB14_3961
; %bb.1913:
	s_or_saveexec_b64 s[6:7], s[6:7]
	v_mov_b32_e32 v8, s10
	s_xor_b64 exec, exec, s[6:7]
	s_cbranch_execnz .LBB14_3964
.LBB14_1914:
	s_or_b64 exec, exec, s[6:7]
	s_and_saveexec_b64 s[6:7], s[4:5]
	s_cbranch_execz .LBB14_1916
.LBB14_1915:
	v_bfe_u32 v8, v15, 24, 3
	v_ffbh_u32_e32 v13, v8
	v_min_u32_e32 v13, 32, v13
	v_lshrrev_b32_e32 v10, 27, v15
	v_subrev_u32_e32 v14, 28, v13
	v_and_b32_e32 v10, 15, v10
	v_lshlrev_b32_sdwa v14, v14, v15 dst_sel:DWORD dst_unused:UNUSED_PAD src0_sel:DWORD src1_sel:BYTE_3
	v_bfe_u32 v12, v15, 27, 4
	v_sub_u32_e32 v13, 29, v13
	v_and_b32_e32 v14, 7, v14
	v_cmp_eq_u16_e32 vcc, 0, v10
	v_cndmask_b32_e32 v8, v8, v14, vcc
	v_cndmask_b32_e32 v10, v12, v13, vcc
	v_mov_b32_e32 v12, 0x3b800000
	v_and_b32_e32 v9, 0x80000000, v15
	v_lshlrev_b32_e32 v8, 20, v8
	v_lshl_add_u32 v10, v10, 23, v12
	v_or3_b32 v8, v9, v10, v8
.LBB14_1916:
	s_or_b64 exec, exec, s[6:7]
	s_movk_i32 s4, 0x7f
	v_cmp_gt_i16_sdwa s[6:7], v11, s4 src0_sel:BYTE_3 src1_sel:DWORD
	s_mov_b64 s[4:5], 0
                                        ; implicit-def: $sgpr10
	s_and_saveexec_b64 s[8:9], s[6:7]
	s_xor_b64 s[6:7], exec, s[8:9]
	s_cbranch_execnz .LBB14_3965
; %bb.1917:
	s_or_saveexec_b64 s[6:7], s[6:7]
	v_mov_b32_e32 v9, s10
	s_xor_b64 exec, exec, s[6:7]
	s_cbranch_execnz .LBB14_3968
.LBB14_1918:
	s_or_b64 exec, exec, s[6:7]
	s_and_saveexec_b64 s[6:7], s[4:5]
	s_cbranch_execz .LBB14_1920
.LBB14_1919:
	v_bfe_u32 v9, v11, 24, 3
	v_ffbh_u32_e32 v14, v9
	v_min_u32_e32 v14, 32, v14
	v_lshrrev_b32_e32 v12, 27, v11
	v_subrev_u32_e32 v15, 28, v14
	v_and_b32_e32 v10, 0x80000000, v11
	v_and_b32_e32 v12, 15, v12
	v_bfe_u32 v13, v11, 27, 4
	v_lshlrev_b32_sdwa v11, v15, v11 dst_sel:DWORD dst_unused:UNUSED_PAD src0_sel:DWORD src1_sel:BYTE_3
	v_sub_u32_e32 v14, 29, v14
	v_and_b32_e32 v11, 7, v11
	v_cmp_eq_u16_e32 vcc, 0, v12
	v_cndmask_b32_e32 v9, v9, v11, vcc
	v_cndmask_b32_e32 v11, v13, v14, vcc
	v_mov_b32_e32 v12, 0x3b800000
	v_lshlrev_b32_e32 v9, 20, v9
	v_lshl_add_u32 v11, v11, 23, v12
	v_or3_b32 v9, v10, v11, v9
.LBB14_1920:
	s_or_b64 exec, exec, s[6:7]
	s_nop 0
	v_mfma_f32_16x16x4f32 a[0:3], v8, v9, a[0:3]
	s_movk_i32 s4, 0x7f
	v_cmp_gt_i16_sdwa s[6:7], v4, s4 src0_sel:BYTE_0 src1_sel:DWORD
	s_mov_b64 s[4:5], 0
                                        ; implicit-def: $sgpr10
	s_and_saveexec_b64 s[8:9], s[6:7]
	s_xor_b64 s[6:7], exec, s[8:9]
	s_cbranch_execnz .LBB14_3969
; %bb.1921:
	s_or_saveexec_b64 s[6:7], s[6:7]
	v_mov_b32_e32 v8, s10
	s_xor_b64 exec, exec, s[6:7]
	s_cbranch_execnz .LBB14_3972
.LBB14_1922:
	s_or_b64 exec, exec, s[6:7]
	s_and_saveexec_b64 s[6:7], s[4:5]
	s_cbranch_execz .LBB14_1924
.LBB14_1923:
	v_and_b32_e32 v8, 7, v4
	v_ffbh_u32_e32 v10, v8
	v_min_u32_e32 v10, 32, v10
	v_lshrrev_b16_e32 v9, 3, v4
	v_subrev_u32_e32 v11, 28, v10
	v_and_b32_e32 v9, 15, v9
	v_lshlrev_b32_e32 v11, v11, v4
	v_sub_u32_e32 v10, 29, v10
	v_and_b32_e32 v11, 7, v11
	v_cmp_eq_u16_e32 vcc, 0, v9
	v_cndmask_b32_e32 v8, v8, v11, vcc
	v_cndmask_b32_e32 v9, v9, v10, vcc
	v_lshlrev_b32_e32 v10, 24, v4
	v_mov_b32_e32 v11, 0x3b800000
	v_lshlrev_b32_e32 v8, 20, v8
	v_and_b32_e32 v10, 0x80000000, v10
	v_lshl_add_u32 v9, v9, 23, v11
	v_or3_b32 v8, v10, v9, v8
.LBB14_1924:
	s_or_b64 exec, exec, s[6:7]
	s_movk_i32 s4, 0x7f
	v_cmp_gt_i16_sdwa s[6:7], v0, s4 src0_sel:BYTE_0 src1_sel:DWORD
	s_mov_b64 s[4:5], 0
                                        ; implicit-def: $sgpr10
	s_and_saveexec_b64 s[8:9], s[6:7]
	s_xor_b64 s[6:7], exec, s[8:9]
	s_cbranch_execnz .LBB14_3973
; %bb.1925:
	s_or_saveexec_b64 s[6:7], s[6:7]
	v_mov_b32_e32 v9, s10
	s_xor_b64 exec, exec, s[6:7]
	s_cbranch_execnz .LBB14_3976
.LBB14_1926:
	s_or_b64 exec, exec, s[6:7]
	s_and_saveexec_b64 s[6:7], s[4:5]
	s_cbranch_execz .LBB14_1928
.LBB14_1927:
	v_and_b32_e32 v9, 7, v0
	v_ffbh_u32_e32 v11, v9
	v_min_u32_e32 v11, 32, v11
	v_lshrrev_b16_e32 v10, 3, v0
	v_subrev_u32_e32 v12, 28, v11
	v_and_b32_e32 v10, 15, v10
	v_lshlrev_b32_e32 v12, v12, v0
	v_sub_u32_e32 v11, 29, v11
	v_and_b32_e32 v12, 7, v12
	v_cmp_eq_u16_e32 vcc, 0, v10
	v_cndmask_b32_e32 v9, v9, v12, vcc
	v_cndmask_b32_e32 v10, v10, v11, vcc
	v_lshlrev_b32_e32 v11, 24, v0
	v_mov_b32_e32 v12, 0x3b800000
	v_lshlrev_b32_e32 v9, 20, v9
	v_and_b32_e32 v11, 0x80000000, v11
	v_lshl_add_u32 v10, v10, 23, v12
	v_or3_b32 v9, v11, v10, v9
.LBB14_1928:
	s_or_b64 exec, exec, s[6:7]
	s_nop 0
	v_mfma_f32_16x16x4f32 a[0:3], v8, v9, a[0:3]
	v_lshrrev_b32_e32 v9, 8, v4
	s_movk_i32 s4, 0x7f
	v_cmp_gt_i16_sdwa s[6:7], v9, s4 src0_sel:BYTE_0 src1_sel:DWORD
	s_mov_b64 s[4:5], 0
                                        ; implicit-def: $sgpr10
	s_and_saveexec_b64 s[8:9], s[6:7]
	s_xor_b64 s[6:7], exec, s[8:9]
	s_cbranch_execnz .LBB14_3977
; %bb.1929:
	s_or_saveexec_b64 s[6:7], s[6:7]
	v_mov_b32_e32 v8, s10
	s_xor_b64 exec, exec, s[6:7]
	s_cbranch_execnz .LBB14_3980
.LBB14_1930:
	s_or_b64 exec, exec, s[6:7]
	s_and_saveexec_b64 s[6:7], s[4:5]
	s_cbranch_execz .LBB14_1932
.LBB14_1931:
	v_bfe_u32 v8, v4, 8, 3
	v_ffbh_u32_e32 v11, v8
	v_min_u32_e32 v11, 32, v11
	v_lshrrev_b16_e32 v10, 3, v9
	v_subrev_u32_e32 v12, 28, v11
	v_and_b32_e32 v10, 15, v10
	v_lshlrev_b32_e32 v9, v12, v9
	v_sub_u32_e32 v11, 29, v11
	v_and_b32_e32 v9, 7, v9
	v_cmp_eq_u16_e32 vcc, 0, v10
	v_cndmask_b32_e32 v8, v8, v9, vcc
	v_cndmask_b32_e32 v9, v10, v11, vcc
	v_lshlrev_b32_e32 v10, 16, v4
	v_mov_b32_e32 v11, 0x3b800000
	v_lshlrev_b32_e32 v8, 20, v8
	v_and_b32_e32 v10, 0x80000000, v10
	v_lshl_add_u32 v9, v9, 23, v11
	v_or3_b32 v8, v10, v9, v8
.LBB14_1932:
	s_or_b64 exec, exec, s[6:7]
	v_lshrrev_b32_e32 v9, 8, v0
	s_movk_i32 s4, 0x7f
	v_cmp_gt_i16_sdwa s[6:7], v9, s4 src0_sel:BYTE_0 src1_sel:DWORD
	s_mov_b64 s[4:5], 0
                                        ; implicit-def: $sgpr10
	s_and_saveexec_b64 s[8:9], s[6:7]
	s_xor_b64 s[6:7], exec, s[8:9]
	s_cbranch_execnz .LBB14_3981
; %bb.1933:
	s_or_saveexec_b64 s[6:7], s[6:7]
	v_mov_b32_e32 v10, s10
	s_xor_b64 exec, exec, s[6:7]
	s_cbranch_execnz .LBB14_3984
.LBB14_1934:
	s_or_b64 exec, exec, s[6:7]
	s_and_saveexec_b64 s[6:7], s[4:5]
	s_cbranch_execz .LBB14_1936
.LBB14_1935:
	v_bfe_u32 v10, v0, 8, 3
	v_ffbh_u32_e32 v12, v10
	v_min_u32_e32 v12, 32, v12
	v_lshrrev_b16_e32 v11, 3, v9
	v_subrev_u32_e32 v13, 28, v12
	v_and_b32_e32 v11, 15, v11
	v_lshlrev_b32_e32 v9, v13, v9
	v_sub_u32_e32 v12, 29, v12
	v_and_b32_e32 v9, 7, v9
	v_cmp_eq_u16_e32 vcc, 0, v11
	v_cndmask_b32_e32 v9, v10, v9, vcc
	v_cndmask_b32_e32 v10, v11, v12, vcc
	v_lshlrev_b32_e32 v11, 16, v0
	v_mov_b32_e32 v12, 0x3b800000
	v_lshlrev_b32_e32 v9, 20, v9
	v_and_b32_e32 v11, 0x80000000, v11
	v_lshl_add_u32 v10, v10, 23, v12
	v_or3_b32 v10, v11, v10, v9
.LBB14_1936:
	s_or_b64 exec, exec, s[6:7]
	s_nop 0
	v_mfma_f32_16x16x4f32 a[0:3], v8, v10, a[0:3]
	s_movk_i32 s4, 0xff
	v_and_b32_sdwa v9, v4, s4 dst_sel:DWORD dst_unused:UNUSED_PAD src0_sel:WORD_1 src1_sel:DWORD
	s_movk_i32 s4, 0x7f
	v_cmp_lt_i16_e32 vcc, s4, v9
	s_mov_b64 s[4:5], 0
                                        ; implicit-def: $sgpr10
	s_and_saveexec_b64 s[6:7], vcc
	s_xor_b64 s[6:7], exec, s[6:7]
	s_cbranch_execnz .LBB14_3985
; %bb.1937:
	s_or_saveexec_b64 s[6:7], s[6:7]
	v_mov_b32_e32 v8, s10
	s_xor_b64 exec, exec, s[6:7]
	s_cbranch_execnz .LBB14_3988
.LBB14_1938:
	s_or_b64 exec, exec, s[6:7]
	s_and_saveexec_b64 s[6:7], s[4:5]
	s_cbranch_execz .LBB14_1940
.LBB14_1939:
	v_bfe_u32 v8, v4, 16, 3
	v_ffbh_u32_e32 v11, v8
	v_min_u32_e32 v11, 32, v11
	v_lshrrev_b32_e32 v9, 19, v4
	v_subrev_u32_e32 v12, 28, v11
	v_and_b32_e32 v9, 15, v9
	v_lshlrev_b32_sdwa v12, v12, v4 dst_sel:DWORD dst_unused:UNUSED_PAD src0_sel:DWORD src1_sel:WORD_1
	v_bfe_u32 v10, v4, 19, 4
	v_sub_u32_e32 v11, 29, v11
	v_and_b32_e32 v12, 7, v12
	v_cmp_eq_u16_e32 vcc, 0, v9
	v_cndmask_b32_e32 v8, v8, v12, vcc
	v_cndmask_b32_e32 v9, v10, v11, vcc
	v_lshlrev_b32_e32 v10, 8, v4
	v_mov_b32_e32 v11, 0x3b800000
	v_lshlrev_b32_e32 v8, 20, v8
	v_and_b32_e32 v10, 0x80000000, v10
	v_lshl_add_u32 v9, v9, 23, v11
	v_or3_b32 v8, v10, v9, v8
.LBB14_1940:
	s_or_b64 exec, exec, s[6:7]
	s_movk_i32 s4, 0xff
	v_and_b32_sdwa v9, v0, s4 dst_sel:DWORD dst_unused:UNUSED_PAD src0_sel:WORD_1 src1_sel:DWORD
	s_movk_i32 s4, 0x7f
	v_cmp_lt_i16_e32 vcc, s4, v9
	s_mov_b64 s[4:5], 0
                                        ; implicit-def: $sgpr10
	s_and_saveexec_b64 s[6:7], vcc
	s_xor_b64 s[6:7], exec, s[6:7]
	s_cbranch_execnz .LBB14_3989
; %bb.1941:
	s_or_saveexec_b64 s[6:7], s[6:7]
	v_mov_b32_e32 v10, s10
	s_xor_b64 exec, exec, s[6:7]
	s_cbranch_execnz .LBB14_3992
.LBB14_1942:
	s_or_b64 exec, exec, s[6:7]
	s_and_saveexec_b64 s[6:7], s[4:5]
	s_cbranch_execz .LBB14_1944
.LBB14_1943:
	v_bfe_u32 v9, v0, 16, 3
	v_ffbh_u32_e32 v12, v9
	v_min_u32_e32 v12, 32, v12
	v_lshrrev_b32_e32 v10, 19, v0
	v_subrev_u32_e32 v13, 28, v12
	v_and_b32_e32 v10, 15, v10
	v_lshlrev_b32_sdwa v13, v13, v0 dst_sel:DWORD dst_unused:UNUSED_PAD src0_sel:DWORD src1_sel:WORD_1
	v_bfe_u32 v11, v0, 19, 4
	v_sub_u32_e32 v12, 29, v12
	v_and_b32_e32 v13, 7, v13
	v_cmp_eq_u16_e32 vcc, 0, v10
	v_cndmask_b32_e32 v9, v9, v13, vcc
	v_cndmask_b32_e32 v10, v11, v12, vcc
	v_lshlrev_b32_e32 v11, 8, v0
	v_mov_b32_e32 v12, 0x3b800000
	v_lshlrev_b32_e32 v9, 20, v9
	v_and_b32_e32 v11, 0x80000000, v11
	v_lshl_add_u32 v10, v10, 23, v12
	v_or3_b32 v10, v11, v10, v9
.LBB14_1944:
	s_or_b64 exec, exec, s[6:7]
	s_nop 0
	v_mfma_f32_16x16x4f32 a[0:3], v8, v10, a[0:3]
	s_movk_i32 s4, 0x7f
	v_cmp_gt_i16_sdwa s[6:7], v4, s4 src0_sel:BYTE_3 src1_sel:DWORD
	s_mov_b64 s[4:5], 0
                                        ; implicit-def: $sgpr10
	s_and_saveexec_b64 s[8:9], s[6:7]
	s_xor_b64 s[6:7], exec, s[8:9]
	s_cbranch_execnz .LBB14_3993
; %bb.1945:
	s_or_saveexec_b64 s[6:7], s[6:7]
	v_mov_b32_e32 v8, s10
	s_xor_b64 exec, exec, s[6:7]
	s_cbranch_execnz .LBB14_3996
.LBB14_1946:
	s_or_b64 exec, exec, s[6:7]
	s_and_saveexec_b64 s[6:7], s[4:5]
	s_cbranch_execz .LBB14_1948
.LBB14_1947:
	v_bfe_u32 v8, v4, 24, 3
	v_ffbh_u32_e32 v12, v8
	v_min_u32_e32 v12, 32, v12
	v_lshrrev_b32_e32 v10, 27, v4
	v_subrev_u32_e32 v13, 28, v12
	v_and_b32_e32 v9, 0x80000000, v4
	v_and_b32_e32 v10, 15, v10
	v_bfe_u32 v11, v4, 27, 4
	v_lshlrev_b32_sdwa v4, v13, v4 dst_sel:DWORD dst_unused:UNUSED_PAD src0_sel:DWORD src1_sel:BYTE_3
	v_sub_u32_e32 v12, 29, v12
	v_and_b32_e32 v4, 7, v4
	v_cmp_eq_u16_e32 vcc, 0, v10
	v_cndmask_b32_e32 v4, v8, v4, vcc
	v_cndmask_b32_e32 v8, v11, v12, vcc
	v_mov_b32_e32 v10, 0x3b800000
	v_lshlrev_b32_e32 v4, 20, v4
	v_lshl_add_u32 v8, v8, 23, v10
	v_or3_b32 v8, v9, v8, v4
.LBB14_1948:
	s_or_b64 exec, exec, s[6:7]
	s_movk_i32 s4, 0x7f
	v_cmp_gt_i16_sdwa s[6:7], v0, s4 src0_sel:BYTE_3 src1_sel:DWORD
	s_mov_b64 s[4:5], 0
                                        ; implicit-def: $sgpr10
	s_and_saveexec_b64 s[8:9], s[6:7]
	s_xor_b64 s[6:7], exec, s[8:9]
	s_cbranch_execnz .LBB14_3997
; %bb.1949:
	s_or_saveexec_b64 s[6:7], s[6:7]
	v_mov_b32_e32 v4, s10
	s_xor_b64 exec, exec, s[6:7]
	s_cbranch_execnz .LBB14_4000
.LBB14_1950:
	s_or_b64 exec, exec, s[6:7]
	s_and_saveexec_b64 s[6:7], s[4:5]
	s_cbranch_execz .LBB14_1952
.LBB14_1951:
	v_bfe_u32 v4, v0, 24, 3
	v_ffbh_u32_e32 v12, v4
	v_min_u32_e32 v12, 32, v12
	v_lshrrev_b32_e32 v10, 27, v0
	v_subrev_u32_e32 v13, 28, v12
	v_and_b32_e32 v9, 0x80000000, v0
	v_and_b32_e32 v10, 15, v10
	v_bfe_u32 v11, v0, 27, 4
	v_lshlrev_b32_sdwa v0, v13, v0 dst_sel:DWORD dst_unused:UNUSED_PAD src0_sel:DWORD src1_sel:BYTE_3
	v_sub_u32_e32 v12, 29, v12
	v_and_b32_e32 v0, 7, v0
	v_cmp_eq_u16_e32 vcc, 0, v10
	v_cndmask_b32_e32 v0, v4, v0, vcc
	v_cndmask_b32_e32 v4, v11, v12, vcc
	v_mov_b32_e32 v10, 0x3b800000
	v_lshlrev_b32_e32 v0, 20, v0
	v_lshl_add_u32 v4, v4, 23, v10
	v_or3_b32 v4, v9, v4, v0
.LBB14_1952:
	s_or_b64 exec, exec, s[6:7]
	s_nop 0
	v_mfma_f32_16x16x4f32 a[0:3], v8, v4, a[0:3]
	s_movk_i32 s4, 0x7f
	v_cmp_gt_i16_sdwa s[6:7], v5, s4 src0_sel:BYTE_0 src1_sel:DWORD
	s_mov_b64 s[4:5], 0
                                        ; implicit-def: $sgpr10
	s_and_saveexec_b64 s[8:9], s[6:7]
	s_xor_b64 s[6:7], exec, s[8:9]
	s_cbranch_execnz .LBB14_4001
; %bb.1953:
	s_or_saveexec_b64 s[6:7], s[6:7]
	v_mov_b32_e32 v0, s10
	s_xor_b64 exec, exec, s[6:7]
	s_cbranch_execnz .LBB14_4004
.LBB14_1954:
	s_or_b64 exec, exec, s[6:7]
	s_and_saveexec_b64 s[6:7], s[4:5]
	s_cbranch_execz .LBB14_1956
.LBB14_1955:
	v_and_b32_e32 v0, 7, v5
	v_ffbh_u32_e32 v8, v0
	v_min_u32_e32 v8, 32, v8
	v_lshrrev_b16_e32 v4, 3, v5
	v_subrev_u32_e32 v9, 28, v8
	v_and_b32_e32 v4, 15, v4
	v_lshlrev_b32_e32 v9, v9, v5
	v_sub_u32_e32 v8, 29, v8
	v_and_b32_e32 v9, 7, v9
	v_cmp_eq_u16_e32 vcc, 0, v4
	v_cndmask_b32_e32 v0, v0, v9, vcc
	v_cndmask_b32_e32 v4, v4, v8, vcc
	v_lshlrev_b32_e32 v8, 24, v5
	v_mov_b32_e32 v9, 0x3b800000
	v_lshlrev_b32_e32 v0, 20, v0
	v_and_b32_e32 v8, 0x80000000, v8
	v_lshl_add_u32 v4, v4, 23, v9
	v_or3_b32 v0, v8, v4, v0
.LBB14_1956:
	s_or_b64 exec, exec, s[6:7]
	s_movk_i32 s4, 0x7f
	v_cmp_gt_i16_sdwa s[6:7], v1, s4 src0_sel:BYTE_0 src1_sel:DWORD
	s_mov_b64 s[4:5], 0
                                        ; implicit-def: $sgpr10
	s_and_saveexec_b64 s[8:9], s[6:7]
	s_xor_b64 s[6:7], exec, s[8:9]
	s_cbranch_execnz .LBB14_4005
; %bb.1957:
	s_or_saveexec_b64 s[6:7], s[6:7]
	v_mov_b32_e32 v4, s10
	s_xor_b64 exec, exec, s[6:7]
	s_cbranch_execnz .LBB14_4008
.LBB14_1958:
	s_or_b64 exec, exec, s[6:7]
	s_and_saveexec_b64 s[6:7], s[4:5]
	s_cbranch_execz .LBB14_1960
.LBB14_1959:
	v_and_b32_e32 v4, 7, v1
	v_ffbh_u32_e32 v9, v4
	v_min_u32_e32 v9, 32, v9
	v_lshrrev_b16_e32 v8, 3, v1
	v_subrev_u32_e32 v10, 28, v9
	v_and_b32_e32 v8, 15, v8
	v_lshlrev_b32_e32 v10, v10, v1
	v_sub_u32_e32 v9, 29, v9
	v_and_b32_e32 v10, 7, v10
	v_cmp_eq_u16_e32 vcc, 0, v8
	v_cndmask_b32_e32 v4, v4, v10, vcc
	v_cndmask_b32_e32 v8, v8, v9, vcc
	v_lshlrev_b32_e32 v9, 24, v1
	v_mov_b32_e32 v10, 0x3b800000
	v_lshlrev_b32_e32 v4, 20, v4
	v_and_b32_e32 v9, 0x80000000, v9
	v_lshl_add_u32 v8, v8, 23, v10
	v_or3_b32 v4, v9, v8, v4
.LBB14_1960:
	s_or_b64 exec, exec, s[6:7]
	s_nop 0
	v_mfma_f32_16x16x4f32 a[0:3], v0, v4, a[0:3]
	v_lshrrev_b32_e32 v4, 8, v5
	s_movk_i32 s4, 0x7f
	v_cmp_gt_i16_sdwa s[6:7], v4, s4 src0_sel:BYTE_0 src1_sel:DWORD
	s_mov_b64 s[4:5], 0
                                        ; implicit-def: $sgpr10
	s_and_saveexec_b64 s[8:9], s[6:7]
	s_xor_b64 s[6:7], exec, s[8:9]
	s_cbranch_execnz .LBB14_4009
; %bb.1961:
	s_or_saveexec_b64 s[6:7], s[6:7]
	v_mov_b32_e32 v0, s10
	s_xor_b64 exec, exec, s[6:7]
	s_cbranch_execnz .LBB14_4012
.LBB14_1962:
	s_or_b64 exec, exec, s[6:7]
	s_and_saveexec_b64 s[6:7], s[4:5]
	s_cbranch_execz .LBB14_1964
.LBB14_1963:
	v_bfe_u32 v0, v5, 8, 3
	v_ffbh_u32_e32 v9, v0
	v_min_u32_e32 v9, 32, v9
	v_lshrrev_b16_e32 v8, 3, v4
	v_subrev_u32_e32 v10, 28, v9
	v_and_b32_e32 v8, 15, v8
	v_lshlrev_b32_e32 v4, v10, v4
	v_sub_u32_e32 v9, 29, v9
	v_and_b32_e32 v4, 7, v4
	v_cmp_eq_u16_e32 vcc, 0, v8
	v_cndmask_b32_e32 v0, v0, v4, vcc
	v_cndmask_b32_e32 v4, v8, v9, vcc
	v_lshlrev_b32_e32 v8, 16, v5
	v_mov_b32_e32 v9, 0x3b800000
	v_lshlrev_b32_e32 v0, 20, v0
	v_and_b32_e32 v8, 0x80000000, v8
	v_lshl_add_u32 v4, v4, 23, v9
	v_or3_b32 v0, v8, v4, v0
.LBB14_1964:
	s_or_b64 exec, exec, s[6:7]
	v_lshrrev_b32_e32 v4, 8, v1
	s_movk_i32 s4, 0x7f
	v_cmp_gt_i16_sdwa s[6:7], v4, s4 src0_sel:BYTE_0 src1_sel:DWORD
	s_mov_b64 s[4:5], 0
                                        ; implicit-def: $sgpr10
	s_and_saveexec_b64 s[8:9], s[6:7]
	s_xor_b64 s[6:7], exec, s[8:9]
	s_cbranch_execnz .LBB14_4013
; %bb.1965:
	s_or_saveexec_b64 s[6:7], s[6:7]
	v_mov_b32_e32 v8, s10
	s_xor_b64 exec, exec, s[6:7]
	s_cbranch_execnz .LBB14_4016
.LBB14_1966:
	s_or_b64 exec, exec, s[6:7]
	s_and_saveexec_b64 s[6:7], s[4:5]
	s_cbranch_execz .LBB14_1968
.LBB14_1967:
	v_bfe_u32 v8, v1, 8, 3
	v_ffbh_u32_e32 v10, v8
	v_min_u32_e32 v10, 32, v10
	v_lshrrev_b16_e32 v9, 3, v4
	v_subrev_u32_e32 v11, 28, v10
	v_and_b32_e32 v9, 15, v9
	v_lshlrev_b32_e32 v4, v11, v4
	v_sub_u32_e32 v10, 29, v10
	v_and_b32_e32 v4, 7, v4
	v_cmp_eq_u16_e32 vcc, 0, v9
	v_cndmask_b32_e32 v4, v8, v4, vcc
	v_cndmask_b32_e32 v8, v9, v10, vcc
	v_lshlrev_b32_e32 v9, 16, v1
	v_mov_b32_e32 v10, 0x3b800000
	v_lshlrev_b32_e32 v4, 20, v4
	v_and_b32_e32 v9, 0x80000000, v9
	v_lshl_add_u32 v8, v8, 23, v10
	v_or3_b32 v8, v9, v8, v4
.LBB14_1968:
	s_or_b64 exec, exec, s[6:7]
	s_nop 0
	v_mfma_f32_16x16x4f32 a[0:3], v0, v8, a[0:3]
	s_movk_i32 s4, 0xff
	v_and_b32_sdwa v4, v5, s4 dst_sel:DWORD dst_unused:UNUSED_PAD src0_sel:WORD_1 src1_sel:DWORD
	s_movk_i32 s4, 0x7f
	v_cmp_lt_i16_e32 vcc, s4, v4
	s_mov_b64 s[4:5], 0
                                        ; implicit-def: $sgpr10
	s_and_saveexec_b64 s[6:7], vcc
	s_xor_b64 s[6:7], exec, s[6:7]
	s_cbranch_execnz .LBB14_4017
; %bb.1969:
	s_or_saveexec_b64 s[6:7], s[6:7]
	v_mov_b32_e32 v0, s10
	s_xor_b64 exec, exec, s[6:7]
	s_cbranch_execnz .LBB14_4020
.LBB14_1970:
	s_or_b64 exec, exec, s[6:7]
	s_and_saveexec_b64 s[6:7], s[4:5]
	s_cbranch_execz .LBB14_1972
.LBB14_1971:
	v_bfe_u32 v0, v5, 16, 3
	v_ffbh_u32_e32 v9, v0
	v_min_u32_e32 v9, 32, v9
	v_lshrrev_b32_e32 v4, 19, v5
	v_subrev_u32_e32 v10, 28, v9
	v_and_b32_e32 v4, 15, v4
	v_lshlrev_b32_sdwa v10, v10, v5 dst_sel:DWORD dst_unused:UNUSED_PAD src0_sel:DWORD src1_sel:WORD_1
	v_bfe_u32 v8, v5, 19, 4
	v_sub_u32_e32 v9, 29, v9
	v_and_b32_e32 v10, 7, v10
	v_cmp_eq_u16_e32 vcc, 0, v4
	v_cndmask_b32_e32 v0, v0, v10, vcc
	v_cndmask_b32_e32 v4, v8, v9, vcc
	v_lshlrev_b32_e32 v8, 8, v5
	v_mov_b32_e32 v9, 0x3b800000
	v_lshlrev_b32_e32 v0, 20, v0
	v_and_b32_e32 v8, 0x80000000, v8
	v_lshl_add_u32 v4, v4, 23, v9
	v_or3_b32 v0, v8, v4, v0
.LBB14_1972:
	s_or_b64 exec, exec, s[6:7]
	s_movk_i32 s4, 0xff
	v_and_b32_sdwa v4, v1, s4 dst_sel:DWORD dst_unused:UNUSED_PAD src0_sel:WORD_1 src1_sel:DWORD
	s_movk_i32 s4, 0x7f
	v_cmp_lt_i16_e32 vcc, s4, v4
	s_mov_b64 s[4:5], 0
                                        ; implicit-def: $sgpr10
	s_and_saveexec_b64 s[6:7], vcc
	s_xor_b64 s[6:7], exec, s[6:7]
	s_cbranch_execnz .LBB14_4021
; %bb.1973:
	s_or_saveexec_b64 s[6:7], s[6:7]
	v_mov_b32_e32 v8, s10
	s_xor_b64 exec, exec, s[6:7]
	s_cbranch_execnz .LBB14_4024
.LBB14_1974:
	s_or_b64 exec, exec, s[6:7]
	s_and_saveexec_b64 s[6:7], s[4:5]
	s_cbranch_execz .LBB14_1976
.LBB14_1975:
	v_bfe_u32 v4, v1, 16, 3
	v_ffbh_u32_e32 v10, v4
	v_min_u32_e32 v10, 32, v10
	v_lshrrev_b32_e32 v8, 19, v1
	v_subrev_u32_e32 v11, 28, v10
	v_and_b32_e32 v8, 15, v8
	v_lshlrev_b32_sdwa v11, v11, v1 dst_sel:DWORD dst_unused:UNUSED_PAD src0_sel:DWORD src1_sel:WORD_1
	v_bfe_u32 v9, v1, 19, 4
	v_sub_u32_e32 v10, 29, v10
	v_and_b32_e32 v11, 7, v11
	v_cmp_eq_u16_e32 vcc, 0, v8
	v_cndmask_b32_e32 v4, v4, v11, vcc
	v_cndmask_b32_e32 v8, v9, v10, vcc
	v_lshlrev_b32_e32 v9, 8, v1
	v_mov_b32_e32 v10, 0x3b800000
	v_lshlrev_b32_e32 v4, 20, v4
	v_and_b32_e32 v9, 0x80000000, v9
	v_lshl_add_u32 v8, v8, 23, v10
	v_or3_b32 v8, v9, v8, v4
.LBB14_1976:
	s_or_b64 exec, exec, s[6:7]
	s_nop 0
	v_mfma_f32_16x16x4f32 a[0:3], v0, v8, a[0:3]
	s_movk_i32 s4, 0x7f
	v_cmp_gt_i16_sdwa s[6:7], v5, s4 src0_sel:BYTE_3 src1_sel:DWORD
	s_mov_b64 s[4:5], 0
                                        ; implicit-def: $sgpr10
	s_and_saveexec_b64 s[8:9], s[6:7]
	s_xor_b64 s[6:7], exec, s[8:9]
	s_cbranch_execnz .LBB14_4025
; %bb.1977:
	s_or_saveexec_b64 s[6:7], s[6:7]
	v_mov_b32_e32 v0, s10
	s_xor_b64 exec, exec, s[6:7]
	s_cbranch_execnz .LBB14_4028
.LBB14_1978:
	s_or_b64 exec, exec, s[6:7]
	s_and_saveexec_b64 s[6:7], s[4:5]
	s_cbranch_execz .LBB14_1980
.LBB14_1979:
	v_bfe_u32 v0, v5, 24, 3
	v_ffbh_u32_e32 v10, v0
	v_min_u32_e32 v10, 32, v10
	v_lshrrev_b32_e32 v8, 27, v5
	v_subrev_u32_e32 v11, 28, v10
	v_and_b32_e32 v4, 0x80000000, v5
	v_and_b32_e32 v8, 15, v8
	v_bfe_u32 v9, v5, 27, 4
	v_lshlrev_b32_sdwa v5, v11, v5 dst_sel:DWORD dst_unused:UNUSED_PAD src0_sel:DWORD src1_sel:BYTE_3
	v_sub_u32_e32 v10, 29, v10
	v_and_b32_e32 v5, 7, v5
	v_cmp_eq_u16_e32 vcc, 0, v8
	v_cndmask_b32_e32 v0, v0, v5, vcc
	v_cndmask_b32_e32 v5, v9, v10, vcc
	v_mov_b32_e32 v8, 0x3b800000
	v_lshlrev_b32_e32 v0, 20, v0
	v_lshl_add_u32 v5, v5, 23, v8
	v_or3_b32 v0, v4, v5, v0
.LBB14_1980:
	s_or_b64 exec, exec, s[6:7]
	s_movk_i32 s4, 0x7f
	v_cmp_gt_i16_sdwa s[6:7], v1, s4 src0_sel:BYTE_3 src1_sel:DWORD
	s_mov_b64 s[4:5], 0
                                        ; implicit-def: $sgpr10
	s_and_saveexec_b64 s[8:9], s[6:7]
	s_xor_b64 s[6:7], exec, s[8:9]
	s_cbranch_execnz .LBB14_4029
; %bb.1981:
	s_or_saveexec_b64 s[6:7], s[6:7]
	v_mov_b32_e32 v4, s10
	s_xor_b64 exec, exec, s[6:7]
	s_cbranch_execnz .LBB14_4032
.LBB14_1982:
	s_or_b64 exec, exec, s[6:7]
	s_and_saveexec_b64 s[6:7], s[4:5]
	s_cbranch_execz .LBB14_1984
.LBB14_1983:
	v_bfe_u32 v4, v1, 24, 3
	v_ffbh_u32_e32 v10, v4
	v_min_u32_e32 v10, 32, v10
	v_lshrrev_b32_e32 v8, 27, v1
	v_subrev_u32_e32 v11, 28, v10
	v_and_b32_e32 v5, 0x80000000, v1
	v_and_b32_e32 v8, 15, v8
	v_bfe_u32 v9, v1, 27, 4
	v_lshlrev_b32_sdwa v1, v11, v1 dst_sel:DWORD dst_unused:UNUSED_PAD src0_sel:DWORD src1_sel:BYTE_3
	v_sub_u32_e32 v10, 29, v10
	v_and_b32_e32 v1, 7, v1
	v_cmp_eq_u16_e32 vcc, 0, v8
	v_cndmask_b32_e32 v1, v4, v1, vcc
	v_cndmask_b32_e32 v4, v9, v10, vcc
	v_mov_b32_e32 v8, 0x3b800000
	v_lshlrev_b32_e32 v1, 20, v1
	v_lshl_add_u32 v4, v4, 23, v8
	v_or3_b32 v4, v5, v4, v1
.LBB14_1984:
	s_or_b64 exec, exec, s[6:7]
	s_nop 0
	v_mfma_f32_16x16x4f32 a[0:3], v0, v4, a[0:3]
	s_movk_i32 s4, 0x7f
	v_cmp_gt_i16_sdwa s[6:7], v6, s4 src0_sel:BYTE_0 src1_sel:DWORD
	s_mov_b64 s[4:5], 0
                                        ; implicit-def: $sgpr10
	s_and_saveexec_b64 s[8:9], s[6:7]
	s_xor_b64 s[6:7], exec, s[8:9]
	s_cbranch_execnz .LBB14_4033
; %bb.1985:
	s_or_saveexec_b64 s[6:7], s[6:7]
	v_mov_b32_e32 v0, s10
	s_xor_b64 exec, exec, s[6:7]
	s_cbranch_execnz .LBB14_4036
.LBB14_1986:
	s_or_b64 exec, exec, s[6:7]
	s_and_saveexec_b64 s[6:7], s[4:5]
	s_cbranch_execz .LBB14_1988
.LBB14_1987:
	v_and_b32_e32 v0, 7, v6
	v_ffbh_u32_e32 v4, v0
	v_min_u32_e32 v4, 32, v4
	v_lshrrev_b16_e32 v1, 3, v6
	v_subrev_u32_e32 v5, 28, v4
	v_and_b32_e32 v1, 15, v1
	v_lshlrev_b32_e32 v5, v5, v6
	v_sub_u32_e32 v4, 29, v4
	v_and_b32_e32 v5, 7, v5
	v_cmp_eq_u16_e32 vcc, 0, v1
	v_cndmask_b32_e32 v0, v0, v5, vcc
	v_cndmask_b32_e32 v1, v1, v4, vcc
	v_lshlrev_b32_e32 v4, 24, v6
	v_mov_b32_e32 v5, 0x3b800000
	v_lshlrev_b32_e32 v0, 20, v0
	v_and_b32_e32 v4, 0x80000000, v4
	v_lshl_add_u32 v1, v1, 23, v5
	v_or3_b32 v0, v4, v1, v0
.LBB14_1988:
	s_or_b64 exec, exec, s[6:7]
	s_movk_i32 s4, 0x7f
	v_cmp_gt_i16_sdwa s[6:7], v2, s4 src0_sel:BYTE_0 src1_sel:DWORD
	s_mov_b64 s[4:5], 0
                                        ; implicit-def: $sgpr10
	s_and_saveexec_b64 s[8:9], s[6:7]
	s_xor_b64 s[6:7], exec, s[8:9]
	s_cbranch_execnz .LBB14_4037
; %bb.1989:
	s_or_saveexec_b64 s[6:7], s[6:7]
	v_mov_b32_e32 v1, s10
	s_xor_b64 exec, exec, s[6:7]
	s_cbranch_execnz .LBB14_4040
.LBB14_1990:
	s_or_b64 exec, exec, s[6:7]
	s_and_saveexec_b64 s[6:7], s[4:5]
	s_cbranch_execz .LBB14_1992
.LBB14_1991:
	v_and_b32_e32 v1, 7, v2
	v_ffbh_u32_e32 v5, v1
	v_min_u32_e32 v5, 32, v5
	v_lshrrev_b16_e32 v4, 3, v2
	v_subrev_u32_e32 v8, 28, v5
	v_and_b32_e32 v4, 15, v4
	v_lshlrev_b32_e32 v8, v8, v2
	v_sub_u32_e32 v5, 29, v5
	v_and_b32_e32 v8, 7, v8
	v_cmp_eq_u16_e32 vcc, 0, v4
	v_cndmask_b32_e32 v1, v1, v8, vcc
	v_cndmask_b32_e32 v4, v4, v5, vcc
	v_lshlrev_b32_e32 v5, 24, v2
	v_mov_b32_e32 v8, 0x3b800000
	v_lshlrev_b32_e32 v1, 20, v1
	v_and_b32_e32 v5, 0x80000000, v5
	v_lshl_add_u32 v4, v4, 23, v8
	v_or3_b32 v1, v5, v4, v1
.LBB14_1992:
	s_or_b64 exec, exec, s[6:7]
	s_nop 0
	v_mfma_f32_16x16x4f32 a[0:3], v0, v1, a[0:3]
	v_lshrrev_b32_e32 v1, 8, v6
	s_movk_i32 s4, 0x7f
	v_cmp_gt_i16_sdwa s[6:7], v1, s4 src0_sel:BYTE_0 src1_sel:DWORD
	s_mov_b64 s[4:5], 0
                                        ; implicit-def: $sgpr10
	s_and_saveexec_b64 s[8:9], s[6:7]
	s_xor_b64 s[6:7], exec, s[8:9]
	s_cbranch_execnz .LBB14_4041
; %bb.1993:
	s_or_saveexec_b64 s[6:7], s[6:7]
	v_mov_b32_e32 v0, s10
	s_xor_b64 exec, exec, s[6:7]
	s_cbranch_execnz .LBB14_4044
.LBB14_1994:
	s_or_b64 exec, exec, s[6:7]
	s_and_saveexec_b64 s[6:7], s[4:5]
	s_cbranch_execz .LBB14_1996
.LBB14_1995:
	v_bfe_u32 v0, v6, 8, 3
	v_ffbh_u32_e32 v5, v0
	v_min_u32_e32 v5, 32, v5
	v_lshrrev_b16_e32 v4, 3, v1
	v_subrev_u32_e32 v8, 28, v5
	v_and_b32_e32 v4, 15, v4
	v_lshlrev_b32_e32 v1, v8, v1
	v_sub_u32_e32 v5, 29, v5
	v_and_b32_e32 v1, 7, v1
	v_cmp_eq_u16_e32 vcc, 0, v4
	v_cndmask_b32_e32 v0, v0, v1, vcc
	v_cndmask_b32_e32 v1, v4, v5, vcc
	v_lshlrev_b32_e32 v4, 16, v6
	v_mov_b32_e32 v5, 0x3b800000
	v_lshlrev_b32_e32 v0, 20, v0
	v_and_b32_e32 v4, 0x80000000, v4
	v_lshl_add_u32 v1, v1, 23, v5
	v_or3_b32 v0, v4, v1, v0
.LBB14_1996:
	s_or_b64 exec, exec, s[6:7]
	v_lshrrev_b32_e32 v1, 8, v2
	s_movk_i32 s4, 0x7f
	v_cmp_gt_i16_sdwa s[6:7], v1, s4 src0_sel:BYTE_0 src1_sel:DWORD
	s_mov_b64 s[4:5], 0
                                        ; implicit-def: $sgpr10
	s_and_saveexec_b64 s[8:9], s[6:7]
	s_xor_b64 s[6:7], exec, s[8:9]
	s_cbranch_execnz .LBB14_4045
; %bb.1997:
	s_or_saveexec_b64 s[6:7], s[6:7]
	v_mov_b32_e32 v4, s10
	s_xor_b64 exec, exec, s[6:7]
	s_cbranch_execnz .LBB14_4048
.LBB14_1998:
	s_or_b64 exec, exec, s[6:7]
	s_and_saveexec_b64 s[6:7], s[4:5]
	s_cbranch_execz .LBB14_2000
.LBB14_1999:
	v_bfe_u32 v4, v2, 8, 3
	v_ffbh_u32_e32 v8, v4
	v_min_u32_e32 v8, 32, v8
	v_lshrrev_b16_e32 v5, 3, v1
	v_subrev_u32_e32 v9, 28, v8
	v_and_b32_e32 v5, 15, v5
	v_lshlrev_b32_e32 v1, v9, v1
	v_sub_u32_e32 v8, 29, v8
	v_and_b32_e32 v1, 7, v1
	v_cmp_eq_u16_e32 vcc, 0, v5
	v_cndmask_b32_e32 v1, v4, v1, vcc
	v_cndmask_b32_e32 v4, v5, v8, vcc
	v_lshlrev_b32_e32 v5, 16, v2
	v_mov_b32_e32 v8, 0x3b800000
	v_lshlrev_b32_e32 v1, 20, v1
	v_and_b32_e32 v5, 0x80000000, v5
	v_lshl_add_u32 v4, v4, 23, v8
	v_or3_b32 v4, v5, v4, v1
.LBB14_2000:
	s_or_b64 exec, exec, s[6:7]
	s_nop 0
	v_mfma_f32_16x16x4f32 a[0:3], v0, v4, a[0:3]
	s_movk_i32 s4, 0xff
	v_and_b32_sdwa v1, v6, s4 dst_sel:DWORD dst_unused:UNUSED_PAD src0_sel:WORD_1 src1_sel:DWORD
	s_movk_i32 s4, 0x7f
	v_cmp_lt_i16_e32 vcc, s4, v1
	s_mov_b64 s[4:5], 0
                                        ; implicit-def: $sgpr10
	s_and_saveexec_b64 s[6:7], vcc
	s_xor_b64 s[6:7], exec, s[6:7]
	s_cbranch_execnz .LBB14_4049
; %bb.2001:
	s_or_saveexec_b64 s[6:7], s[6:7]
	v_mov_b32_e32 v0, s10
	s_xor_b64 exec, exec, s[6:7]
	s_cbranch_execnz .LBB14_4052
.LBB14_2002:
	s_or_b64 exec, exec, s[6:7]
	s_and_saveexec_b64 s[6:7], s[4:5]
	s_cbranch_execz .LBB14_2004
.LBB14_2003:
	v_bfe_u32 v0, v6, 16, 3
	v_ffbh_u32_e32 v5, v0
	v_min_u32_e32 v5, 32, v5
	v_lshrrev_b32_e32 v1, 19, v6
	v_subrev_u32_e32 v8, 28, v5
	v_and_b32_e32 v1, 15, v1
	v_lshlrev_b32_sdwa v8, v8, v6 dst_sel:DWORD dst_unused:UNUSED_PAD src0_sel:DWORD src1_sel:WORD_1
	v_bfe_u32 v4, v6, 19, 4
	v_sub_u32_e32 v5, 29, v5
	v_and_b32_e32 v8, 7, v8
	v_cmp_eq_u16_e32 vcc, 0, v1
	v_cndmask_b32_e32 v0, v0, v8, vcc
	v_cndmask_b32_e32 v1, v4, v5, vcc
	v_lshlrev_b32_e32 v4, 8, v6
	v_mov_b32_e32 v5, 0x3b800000
	v_lshlrev_b32_e32 v0, 20, v0
	v_and_b32_e32 v4, 0x80000000, v4
	v_lshl_add_u32 v1, v1, 23, v5
	v_or3_b32 v0, v4, v1, v0
.LBB14_2004:
	s_or_b64 exec, exec, s[6:7]
	s_movk_i32 s4, 0xff
	v_and_b32_sdwa v1, v2, s4 dst_sel:DWORD dst_unused:UNUSED_PAD src0_sel:WORD_1 src1_sel:DWORD
	s_movk_i32 s4, 0x7f
	v_cmp_lt_i16_e32 vcc, s4, v1
	s_mov_b64 s[4:5], 0
                                        ; implicit-def: $sgpr10
	s_and_saveexec_b64 s[6:7], vcc
	s_xor_b64 s[6:7], exec, s[6:7]
	s_cbranch_execnz .LBB14_4053
; %bb.2005:
	s_or_saveexec_b64 s[6:7], s[6:7]
	v_mov_b32_e32 v4, s10
	s_xor_b64 exec, exec, s[6:7]
	s_cbranch_execnz .LBB14_4056
.LBB14_2006:
	s_or_b64 exec, exec, s[6:7]
	s_and_saveexec_b64 s[6:7], s[4:5]
	s_cbranch_execz .LBB14_2008
.LBB14_2007:
	v_bfe_u32 v1, v2, 16, 3
	v_ffbh_u32_e32 v8, v1
	v_min_u32_e32 v8, 32, v8
	v_lshrrev_b32_e32 v4, 19, v2
	v_subrev_u32_e32 v9, 28, v8
	v_and_b32_e32 v4, 15, v4
	v_lshlrev_b32_sdwa v9, v9, v2 dst_sel:DWORD dst_unused:UNUSED_PAD src0_sel:DWORD src1_sel:WORD_1
	v_bfe_u32 v5, v2, 19, 4
	v_sub_u32_e32 v8, 29, v8
	v_and_b32_e32 v9, 7, v9
	v_cmp_eq_u16_e32 vcc, 0, v4
	v_cndmask_b32_e32 v1, v1, v9, vcc
	v_cndmask_b32_e32 v4, v5, v8, vcc
	v_lshlrev_b32_e32 v5, 8, v2
	v_mov_b32_e32 v8, 0x3b800000
	v_lshlrev_b32_e32 v1, 20, v1
	v_and_b32_e32 v5, 0x80000000, v5
	v_lshl_add_u32 v4, v4, 23, v8
	v_or3_b32 v4, v5, v4, v1
.LBB14_2008:
	s_or_b64 exec, exec, s[6:7]
	s_nop 0
	v_mfma_f32_16x16x4f32 a[0:3], v0, v4, a[0:3]
	s_movk_i32 s4, 0x7f
	v_cmp_gt_i16_sdwa s[6:7], v6, s4 src0_sel:BYTE_3 src1_sel:DWORD
	s_mov_b64 s[4:5], 0
                                        ; implicit-def: $sgpr10
	s_and_saveexec_b64 s[8:9], s[6:7]
	s_xor_b64 s[6:7], exec, s[8:9]
	s_cbranch_execnz .LBB14_4057
; %bb.2009:
	s_or_saveexec_b64 s[6:7], s[6:7]
	v_mov_b32_e32 v0, s10
	s_xor_b64 exec, exec, s[6:7]
	s_cbranch_execnz .LBB14_4060
.LBB14_2010:
	s_or_b64 exec, exec, s[6:7]
	s_and_saveexec_b64 s[6:7], s[4:5]
	s_cbranch_execz .LBB14_2012
.LBB14_2011:
	v_bfe_u32 v0, v6, 24, 3
	v_ffbh_u32_e32 v8, v0
	v_min_u32_e32 v8, 32, v8
	v_lshrrev_b32_e32 v4, 27, v6
	v_subrev_u32_e32 v9, 28, v8
	v_and_b32_e32 v1, 0x80000000, v6
	v_and_b32_e32 v4, 15, v4
	v_bfe_u32 v5, v6, 27, 4
	v_lshlrev_b32_sdwa v6, v9, v6 dst_sel:DWORD dst_unused:UNUSED_PAD src0_sel:DWORD src1_sel:BYTE_3
	v_sub_u32_e32 v8, 29, v8
	v_and_b32_e32 v6, 7, v6
	v_cmp_eq_u16_e32 vcc, 0, v4
	v_cndmask_b32_e32 v0, v0, v6, vcc
	v_cndmask_b32_e32 v4, v5, v8, vcc
	v_mov_b32_e32 v5, 0x3b800000
	v_lshlrev_b32_e32 v0, 20, v0
	v_lshl_add_u32 v4, v4, 23, v5
	v_or3_b32 v0, v1, v4, v0
.LBB14_2012:
	s_or_b64 exec, exec, s[6:7]
	s_movk_i32 s4, 0x7f
	v_cmp_gt_i16_sdwa s[6:7], v2, s4 src0_sel:BYTE_3 src1_sel:DWORD
	s_mov_b64 s[4:5], 0
                                        ; implicit-def: $sgpr10
	s_and_saveexec_b64 s[8:9], s[6:7]
	s_xor_b64 s[6:7], exec, s[8:9]
	s_cbranch_execnz .LBB14_4061
; %bb.2013:
	s_or_saveexec_b64 s[6:7], s[6:7]
	v_mov_b32_e32 v1, s10
	s_xor_b64 exec, exec, s[6:7]
	s_cbranch_execnz .LBB14_4064
.LBB14_2014:
	s_or_b64 exec, exec, s[6:7]
	s_and_saveexec_b64 s[6:7], s[4:5]
	s_cbranch_execz .LBB14_2016
.LBB14_2015:
	v_bfe_u32 v1, v2, 24, 3
	v_ffbh_u32_e32 v8, v1
	v_min_u32_e32 v8, 32, v8
	v_lshrrev_b32_e32 v5, 27, v2
	v_subrev_u32_e32 v9, 28, v8
	v_and_b32_e32 v4, 0x80000000, v2
	v_and_b32_e32 v5, 15, v5
	v_bfe_u32 v6, v2, 27, 4
	v_lshlrev_b32_sdwa v2, v9, v2 dst_sel:DWORD dst_unused:UNUSED_PAD src0_sel:DWORD src1_sel:BYTE_3
	v_sub_u32_e32 v8, 29, v8
	v_and_b32_e32 v2, 7, v2
	v_cmp_eq_u16_e32 vcc, 0, v5
	v_cndmask_b32_e32 v1, v1, v2, vcc
	v_cndmask_b32_e32 v2, v6, v8, vcc
	v_mov_b32_e32 v5, 0x3b800000
	v_lshlrev_b32_e32 v1, 20, v1
	v_lshl_add_u32 v2, v2, 23, v5
	v_or3_b32 v1, v4, v2, v1
.LBB14_2016:
	s_or_b64 exec, exec, s[6:7]
	s_nop 0
	v_mfma_f32_16x16x4f32 a[0:3], v0, v1, a[0:3]
	s_movk_i32 s4, 0x7f
	v_cmp_gt_i16_sdwa s[6:7], v7, s4 src0_sel:BYTE_0 src1_sel:DWORD
	s_mov_b64 s[4:5], 0
                                        ; implicit-def: $sgpr10
	s_and_saveexec_b64 s[8:9], s[6:7]
	s_xor_b64 s[6:7], exec, s[8:9]
	s_cbranch_execnz .LBB14_4065
; %bb.2017:
	s_or_saveexec_b64 s[6:7], s[6:7]
	v_mov_b32_e32 v0, s10
	s_xor_b64 exec, exec, s[6:7]
	s_cbranch_execnz .LBB14_4068
.LBB14_2018:
	s_or_b64 exec, exec, s[6:7]
	s_and_saveexec_b64 s[6:7], s[4:5]
	s_cbranch_execz .LBB14_2020
.LBB14_2019:
	v_mov_b32_e32 v0, 8
	v_and_b32_e32 v1, 7, v7
	v_lshrrev_b32_sdwa v0, v0, v7 dst_sel:BYTE_1 dst_unused:UNUSED_PAD src0_sel:DWORD src1_sel:DWORD
	v_ffbh_u32_e32 v2, v1
	v_or_b32_sdwa v0, v7, v0 dst_sel:DWORD dst_unused:UNUSED_PAD src0_sel:BYTE_0 src1_sel:DWORD
	v_min_u32_e32 v2, 32, v2
	v_lshrrev_b16_e32 v0, 3, v0
	v_subrev_u32_e32 v4, 28, v2
	v_and_b32_e32 v0, 15, v0
	v_lshlrev_b32_e32 v4, v4, v7
	v_sub_u32_e32 v2, 29, v2
	v_and_b32_e32 v4, 7, v4
	v_cmp_eq_u16_e32 vcc, 0, v0
	v_cndmask_b32_e32 v1, v1, v4, vcc
	v_cndmask_b32_e32 v0, v0, v2, vcc
	v_lshlrev_b32_e32 v2, 24, v7
	v_mov_b32_e32 v4, 0x3b800000
	v_lshlrev_b32_e32 v1, 20, v1
	v_and_b32_e32 v2, 0x80000000, v2
	v_lshl_add_u32 v0, v0, 23, v4
	v_or3_b32 v0, v2, v0, v1
.LBB14_2020:
	s_or_b64 exec, exec, s[6:7]
	s_movk_i32 s4, 0x7f
	v_cmp_gt_i16_sdwa s[6:7], v3, s4 src0_sel:BYTE_0 src1_sel:DWORD
	s_mov_b64 s[4:5], 0
                                        ; implicit-def: $sgpr10
	s_and_saveexec_b64 s[8:9], s[6:7]
	s_xor_b64 s[6:7], exec, s[8:9]
	s_cbranch_execnz .LBB14_4069
; %bb.2021:
	s_or_saveexec_b64 s[6:7], s[6:7]
	v_mov_b32_e32 v1, s10
	s_xor_b64 exec, exec, s[6:7]
	s_cbranch_execnz .LBB14_4072
.LBB14_2022:
	s_or_b64 exec, exec, s[6:7]
	s_and_saveexec_b64 s[6:7], s[4:5]
	s_cbranch_execz .LBB14_2024
.LBB14_2023:
	v_mov_b32_e32 v1, 8
	v_and_b32_e32 v2, 7, v3
	v_lshrrev_b32_sdwa v1, v1, v3 dst_sel:BYTE_1 dst_unused:UNUSED_PAD src0_sel:DWORD src1_sel:DWORD
	v_ffbh_u32_e32 v4, v2
	v_or_b32_sdwa v1, v3, v1 dst_sel:DWORD dst_unused:UNUSED_PAD src0_sel:BYTE_0 src1_sel:DWORD
	v_min_u32_e32 v4, 32, v4
	v_lshrrev_b16_e32 v1, 3, v1
	v_subrev_u32_e32 v5, 28, v4
	v_and_b32_e32 v1, 15, v1
	v_lshlrev_b32_e32 v5, v5, v3
	v_sub_u32_e32 v4, 29, v4
	v_and_b32_e32 v5, 7, v5
	v_cmp_eq_u16_e32 vcc, 0, v1
	v_cndmask_b32_e32 v2, v2, v5, vcc
	v_cndmask_b32_e32 v1, v1, v4, vcc
	v_lshlrev_b32_e32 v4, 24, v3
	v_mov_b32_e32 v5, 0x3b800000
	v_lshlrev_b32_e32 v2, 20, v2
	v_and_b32_e32 v4, 0x80000000, v4
	v_lshl_add_u32 v1, v1, 23, v5
	v_or3_b32 v1, v4, v1, v2
.LBB14_2024:
	s_or_b64 exec, exec, s[6:7]
	s_nop 0
	v_mfma_f32_16x16x4f32 a[0:3], v0, v1, a[0:3]
	v_lshrrev_b32_e32 v1, 8, v7
	s_movk_i32 s4, 0x7f
	v_cmp_gt_i16_sdwa s[6:7], v1, s4 src0_sel:BYTE_0 src1_sel:DWORD
	s_mov_b64 s[4:5], 0
                                        ; implicit-def: $sgpr10
	s_and_saveexec_b64 s[8:9], s[6:7]
	s_xor_b64 s[6:7], exec, s[8:9]
	s_cbranch_execnz .LBB14_4073
; %bb.2025:
	s_or_saveexec_b64 s[6:7], s[6:7]
	v_mov_b32_e32 v0, s10
	s_xor_b64 exec, exec, s[6:7]
	s_cbranch_execnz .LBB14_4076
.LBB14_2026:
	s_or_b64 exec, exec, s[6:7]
	s_and_saveexec_b64 s[6:7], s[4:5]
	s_cbranch_execz .LBB14_2028
.LBB14_2027:
	v_bfe_u32 v0, v7, 8, 3
	v_ffbh_u32_e32 v4, v0
	v_min_u32_e32 v4, 32, v4
	v_lshrrev_b16_e32 v2, 3, v1
	v_subrev_u32_e32 v5, 28, v4
	v_and_b32_e32 v2, 15, v2
	v_lshlrev_b32_e32 v1, v5, v1
	v_sub_u32_e32 v4, 29, v4
	v_and_b32_e32 v1, 7, v1
	v_cmp_eq_u16_e32 vcc, 0, v2
	v_cndmask_b32_e32 v0, v0, v1, vcc
	v_cndmask_b32_e32 v1, v2, v4, vcc
	v_lshlrev_b32_e32 v2, 16, v7
	v_mov_b32_e32 v4, 0x3b800000
	v_lshlrev_b32_e32 v0, 20, v0
	v_and_b32_e32 v2, 0x80000000, v2
	v_lshl_add_u32 v1, v1, 23, v4
	v_or3_b32 v0, v2, v1, v0
.LBB14_2028:
	s_or_b64 exec, exec, s[6:7]
	v_lshrrev_b32_e32 v1, 8, v3
	s_movk_i32 s4, 0x7f
	v_cmp_gt_i16_sdwa s[6:7], v1, s4 src0_sel:BYTE_0 src1_sel:DWORD
	s_mov_b64 s[4:5], 0
                                        ; implicit-def: $sgpr10
	s_and_saveexec_b64 s[8:9], s[6:7]
	s_xor_b64 s[6:7], exec, s[8:9]
	s_cbranch_execnz .LBB14_4077
; %bb.2029:
	s_or_saveexec_b64 s[6:7], s[6:7]
	v_mov_b32_e32 v2, s10
	s_xor_b64 exec, exec, s[6:7]
	s_cbranch_execnz .LBB14_4080
.LBB14_2030:
	s_or_b64 exec, exec, s[6:7]
	s_and_saveexec_b64 s[6:7], s[4:5]
	s_cbranch_execz .LBB14_2032
.LBB14_2031:
	v_bfe_u32 v2, v3, 8, 3
	v_ffbh_u32_e32 v5, v2
	v_min_u32_e32 v5, 32, v5
	v_lshrrev_b16_e32 v4, 3, v1
	v_subrev_u32_e32 v6, 28, v5
	v_and_b32_e32 v4, 15, v4
	v_lshlrev_b32_e32 v1, v6, v1
	v_sub_u32_e32 v5, 29, v5
	v_and_b32_e32 v1, 7, v1
	v_cmp_eq_u16_e32 vcc, 0, v4
	v_cndmask_b32_e32 v1, v2, v1, vcc
	v_cndmask_b32_e32 v2, v4, v5, vcc
	v_lshlrev_b32_e32 v4, 16, v3
	v_mov_b32_e32 v5, 0x3b800000
	v_lshlrev_b32_e32 v1, 20, v1
	v_and_b32_e32 v4, 0x80000000, v4
	v_lshl_add_u32 v2, v2, 23, v5
	v_or3_b32 v2, v4, v2, v1
.LBB14_2032:
	s_or_b64 exec, exec, s[6:7]
	s_nop 0
	v_mfma_f32_16x16x4f32 a[0:3], v0, v2, a[0:3]
	s_movk_i32 s4, 0xff
	v_and_b32_sdwa v1, v7, s4 dst_sel:DWORD dst_unused:UNUSED_PAD src0_sel:WORD_1 src1_sel:DWORD
	s_movk_i32 s4, 0x7f
	v_cmp_lt_i16_e32 vcc, s4, v1
	s_mov_b64 s[4:5], 0
                                        ; implicit-def: $sgpr10
	s_and_saveexec_b64 s[6:7], vcc
	s_xor_b64 s[6:7], exec, s[6:7]
	s_cbranch_execnz .LBB14_4081
; %bb.2033:
	s_or_saveexec_b64 s[6:7], s[6:7]
	v_mov_b32_e32 v0, s10
	s_xor_b64 exec, exec, s[6:7]
	s_cbranch_execnz .LBB14_4084
.LBB14_2034:
	s_or_b64 exec, exec, s[6:7]
	s_and_saveexec_b64 s[6:7], s[4:5]
	s_cbranch_execz .LBB14_2036
.LBB14_2035:
	v_bfe_u32 v0, v7, 16, 3
	v_ffbh_u32_e32 v4, v0
	v_min_u32_e32 v4, 32, v4
	v_lshrrev_b32_e32 v1, 19, v7
	v_subrev_u32_e32 v5, 28, v4
	v_and_b32_e32 v1, 15, v1
	v_lshlrev_b32_sdwa v5, v5, v7 dst_sel:DWORD dst_unused:UNUSED_PAD src0_sel:DWORD src1_sel:WORD_1
	v_bfe_u32 v2, v7, 19, 4
	v_sub_u32_e32 v4, 29, v4
	v_and_b32_e32 v5, 7, v5
	v_cmp_eq_u16_e32 vcc, 0, v1
	v_cndmask_b32_e32 v0, v0, v5, vcc
	v_cndmask_b32_e32 v1, v2, v4, vcc
	v_lshlrev_b32_e32 v2, 8, v7
	v_mov_b32_e32 v4, 0x3b800000
	v_lshlrev_b32_e32 v0, 20, v0
	v_and_b32_e32 v2, 0x80000000, v2
	v_lshl_add_u32 v1, v1, 23, v4
	v_or3_b32 v0, v2, v1, v0
.LBB14_2036:
	s_or_b64 exec, exec, s[6:7]
	s_movk_i32 s4, 0xff
	v_and_b32_sdwa v1, v3, s4 dst_sel:DWORD dst_unused:UNUSED_PAD src0_sel:WORD_1 src1_sel:DWORD
	s_movk_i32 s4, 0x7f
	v_cmp_lt_i16_e32 vcc, s4, v1
	s_mov_b64 s[4:5], 0
                                        ; implicit-def: $sgpr10
	s_and_saveexec_b64 s[6:7], vcc
	s_xor_b64 s[6:7], exec, s[6:7]
	s_cbranch_execnz .LBB14_4085
; %bb.2037:
	s_or_saveexec_b64 s[6:7], s[6:7]
	v_mov_b32_e32 v2, s10
	s_xor_b64 exec, exec, s[6:7]
	s_cbranch_execnz .LBB14_4088
.LBB14_2038:
	s_or_b64 exec, exec, s[6:7]
	s_and_saveexec_b64 s[6:7], s[4:5]
	s_cbranch_execz .LBB14_2040
.LBB14_2039:
	v_bfe_u32 v1, v3, 16, 3
	v_ffbh_u32_e32 v5, v1
	v_min_u32_e32 v5, 32, v5
	v_lshrrev_b32_e32 v2, 19, v3
	v_subrev_u32_e32 v6, 28, v5
	v_and_b32_e32 v2, 15, v2
	v_lshlrev_b32_sdwa v6, v6, v3 dst_sel:DWORD dst_unused:UNUSED_PAD src0_sel:DWORD src1_sel:WORD_1
	v_bfe_u32 v4, v3, 19, 4
	v_sub_u32_e32 v5, 29, v5
	v_and_b32_e32 v6, 7, v6
	v_cmp_eq_u16_e32 vcc, 0, v2
	v_cndmask_b32_e32 v1, v1, v6, vcc
	v_cndmask_b32_e32 v2, v4, v5, vcc
	v_lshlrev_b32_e32 v4, 8, v3
	v_mov_b32_e32 v5, 0x3b800000
	v_lshlrev_b32_e32 v1, 20, v1
	v_and_b32_e32 v4, 0x80000000, v4
	v_lshl_add_u32 v2, v2, 23, v5
	v_or3_b32 v2, v4, v2, v1
.LBB14_2040:
	s_or_b64 exec, exec, s[6:7]
	s_nop 0
	v_mfma_f32_16x16x4f32 a[0:3], v0, v2, a[0:3]
	s_movk_i32 s4, 0x7f
	v_cmp_gt_i16_sdwa s[6:7], v7, s4 src0_sel:BYTE_3 src1_sel:DWORD
	s_mov_b64 s[4:5], 0
                                        ; implicit-def: $sgpr10
	s_and_saveexec_b64 s[8:9], s[6:7]
	s_xor_b64 s[6:7], exec, s[8:9]
	s_cbranch_execnz .LBB14_4089
; %bb.2041:
	s_or_saveexec_b64 s[6:7], s[6:7]
	v_mov_b32_e32 v0, s10
	s_xor_b64 exec, exec, s[6:7]
	s_cbranch_execnz .LBB14_4092
.LBB14_2042:
	s_or_b64 exec, exec, s[6:7]
	s_and_saveexec_b64 s[6:7], s[4:5]
	s_cbranch_execz .LBB14_2044
.LBB14_2043:
	v_bfe_u32 v0, v7, 24, 3
	v_ffbh_u32_e32 v5, v0
	v_min_u32_e32 v5, 32, v5
	v_lshrrev_b32_e32 v2, 27, v7
	v_subrev_u32_e32 v6, 28, v5
	v_and_b32_e32 v2, 15, v2
	v_lshlrev_b32_sdwa v6, v6, v7 dst_sel:DWORD dst_unused:UNUSED_PAD src0_sel:DWORD src1_sel:BYTE_3
	v_bfe_u32 v4, v7, 27, 4
	v_sub_u32_e32 v5, 29, v5
	v_and_b32_e32 v6, 7, v6
	v_cmp_eq_u16_e32 vcc, 0, v2
	v_cndmask_b32_e32 v0, v0, v6, vcc
	v_cndmask_b32_e32 v2, v4, v5, vcc
	v_mov_b32_e32 v4, 0x3b800000
	v_and_b32_e32 v1, 0x80000000, v7
	v_lshlrev_b32_e32 v0, 20, v0
	v_lshl_add_u32 v2, v2, 23, v4
	v_or3_b32 v0, v1, v2, v0
.LBB14_2044:
	s_or_b64 exec, exec, s[6:7]
	s_movk_i32 s4, 0x7f
	v_cmp_gt_i16_sdwa s[6:7], v3, s4 src0_sel:BYTE_3 src1_sel:DWORD
	s_mov_b64 s[4:5], 0
                                        ; implicit-def: $sgpr10
	s_and_saveexec_b64 s[8:9], s[6:7]
	s_xor_b64 s[6:7], exec, s[8:9]
	s_cbranch_execnz .LBB14_4093
; %bb.2045:
	s_or_saveexec_b64 s[6:7], s[6:7]
	v_mov_b32_e32 v1, s10
	s_xor_b64 exec, exec, s[6:7]
	s_cbranch_execnz .LBB14_4096
.LBB14_2046:
	s_or_b64 exec, exec, s[6:7]
	s_and_saveexec_b64 s[6:7], s[4:5]
	s_cbranch_execz .LBB14_2048
.LBB14_2047:
	v_bfe_u32 v1, v3, 24, 3
	v_ffbh_u32_e32 v6, v1
	v_min_u32_e32 v6, 32, v6
	v_lshrrev_b32_e32 v4, 27, v3
	v_subrev_u32_e32 v7, 28, v6
	v_and_b32_e32 v2, 0x80000000, v3
	v_and_b32_e32 v4, 15, v4
	v_bfe_u32 v5, v3, 27, 4
	v_lshlrev_b32_sdwa v3, v7, v3 dst_sel:DWORD dst_unused:UNUSED_PAD src0_sel:DWORD src1_sel:BYTE_3
	v_sub_u32_e32 v6, 29, v6
	v_and_b32_e32 v3, 7, v3
	v_cmp_eq_u16_e32 vcc, 0, v4
	v_cndmask_b32_e32 v1, v1, v3, vcc
	v_cndmask_b32_e32 v3, v5, v6, vcc
	v_mov_b32_e32 v4, 0x3b800000
	v_lshlrev_b32_e32 v1, 20, v1
	v_lshl_add_u32 v3, v3, 23, v4
	v_or3_b32 v1, v2, v3, v1
.LBB14_2048:
	s_or_b64 exec, exec, s[6:7]
	s_nop 0
	v_mfma_f32_16x16x4f32 a[0:3], v0, v1, a[0:3]
	s_nop 7
	s_nop 2
	flat_store_dwordx4 v[16:17], a[0:3] offset:624
	s_waitcnt vmcnt(0) lgkmcnt(0)
	s_setpc_b64 s[30:31]
.LBB14_2049:
	s_movk_i32 s4, 0x80
	v_cmp_eq_u16_sdwa s[12:13], v14, s4 src0_sel:BYTE_0 src1_sel:DWORD
	s_mov_b64 s[4:5], -1
                                        ; implicit-def: $sgpr10
	s_and_saveexec_b64 s[8:9], s[12:13]
; %bb.2050:
	s_mov_b32 s10, 0x7f800001
	s_xor_b64 s[4:5], exec, -1
; %bb.2051:
	s_or_b64 exec, exec, s[8:9]
	s_and_b64 s[4:5], s[4:5], exec
	s_or_saveexec_b64 s[6:7], s[6:7]
	v_mov_b32_e32 v20, s10
	s_xor_b64 exec, exec, s[6:7]
	s_cbranch_execz .LBB14_2
.LBB14_2052:
	v_mov_b32_e32 v20, 0
	v_cmp_ne_u16_sdwa s[8:9], v14, v20 src0_sel:BYTE_0 src1_sel:DWORD
	s_andn2_b64 s[4:5], s[4:5], exec
	s_and_b64 s[8:9], s[8:9], exec
	s_or_b64 s[4:5], s[4:5], s[8:9]
	s_or_b64 exec, exec, s[6:7]
	s_and_saveexec_b64 s[6:7], s[4:5]
	s_cbranch_execnz .LBB14_3
	s_branch .LBB14_4
.LBB14_2053:
	s_movk_i32 s4, 0x80
	v_cmp_eq_u16_sdwa s[12:13], v10, s4 src0_sel:BYTE_0 src1_sel:DWORD
	s_mov_b64 s[4:5], -1
                                        ; implicit-def: $sgpr10
	s_and_saveexec_b64 s[8:9], s[12:13]
; %bb.2054:
	s_mov_b32 s10, 0x7f800001
	s_xor_b64 s[4:5], exec, -1
; %bb.2055:
	s_or_b64 exec, exec, s[8:9]
	s_and_b64 s[4:5], s[4:5], exec
	s_or_saveexec_b64 s[6:7], s[6:7]
	v_mov_b32_e32 v21, s10
	s_xor_b64 exec, exec, s[6:7]
	s_cbranch_execz .LBB14_6
.LBB14_2056:
	v_mov_b32_e32 v21, 0
	v_cmp_ne_u16_sdwa s[8:9], v10, v21 src0_sel:BYTE_0 src1_sel:DWORD
	s_andn2_b64 s[4:5], s[4:5], exec
	s_and_b64 s[8:9], s[8:9], exec
	s_or_b64 s[4:5], s[4:5], s[8:9]
	s_or_b64 exec, exec, s[6:7]
	s_and_saveexec_b64 s[6:7], s[4:5]
	s_cbranch_execnz .LBB14_7
	s_branch .LBB14_8
.LBB14_2057:
	s_movk_i32 s4, 0x80
	v_cmp_eq_u16_sdwa s[12:13], v21, s4 src0_sel:BYTE_0 src1_sel:DWORD
	s_mov_b64 s[4:5], -1
                                        ; implicit-def: $sgpr10
	s_and_saveexec_b64 s[8:9], s[12:13]
; %bb.2058:
	s_mov_b32 s10, 0x7f800001
	s_xor_b64 s[4:5], exec, -1
; %bb.2059:
	s_or_b64 exec, exec, s[8:9]
	s_and_b64 s[4:5], s[4:5], exec
	s_or_saveexec_b64 s[6:7], s[6:7]
	v_mov_b32_e32 v20, s10
	s_xor_b64 exec, exec, s[6:7]
	s_cbranch_execz .LBB14_10
.LBB14_2060:
	v_mov_b32_e32 v20, 0
	v_cmp_ne_u16_sdwa s[8:9], v21, v20 src0_sel:BYTE_0 src1_sel:DWORD
	s_andn2_b64 s[4:5], s[4:5], exec
	s_and_b64 s[8:9], s[8:9], exec
	s_or_b64 s[4:5], s[4:5], s[8:9]
	s_or_b64 exec, exec, s[6:7]
	s_and_saveexec_b64 s[6:7], s[4:5]
	s_cbranch_execnz .LBB14_11
	s_branch .LBB14_12
.LBB14_2061:
	s_movk_i32 s4, 0x80
	v_cmp_eq_u16_sdwa s[12:13], v21, s4 src0_sel:BYTE_0 src1_sel:DWORD
	s_mov_b64 s[4:5], -1
                                        ; implicit-def: $sgpr10
	s_and_saveexec_b64 s[8:9], s[12:13]
; %bb.2062:
	s_mov_b32 s10, 0x7f800001
	s_xor_b64 s[4:5], exec, -1
; %bb.2063:
	s_or_b64 exec, exec, s[8:9]
	s_and_b64 s[4:5], s[4:5], exec
	s_or_saveexec_b64 s[6:7], s[6:7]
	v_mov_b32_e32 v22, s10
	s_xor_b64 exec, exec, s[6:7]
	s_cbranch_execz .LBB14_14
.LBB14_2064:
	v_mov_b32_e32 v22, 0
	v_cmp_ne_u16_sdwa s[8:9], v21, v22 src0_sel:BYTE_0 src1_sel:DWORD
	s_andn2_b64 s[4:5], s[4:5], exec
	s_and_b64 s[8:9], s[8:9], exec
	s_or_b64 s[4:5], s[4:5], s[8:9]
	s_or_b64 exec, exec, s[6:7]
	s_and_saveexec_b64 s[6:7], s[4:5]
	s_cbranch_execnz .LBB14_15
	s_branch .LBB14_16
.LBB14_2065:
	s_movk_i32 s4, 0x80
	v_cmp_eq_u16_e32 vcc, s4, v21
	s_mov_b64 s[4:5], -1
                                        ; implicit-def: $sgpr10
	s_and_saveexec_b64 s[8:9], vcc
; %bb.2066:
	s_mov_b32 s10, 0x7f800001
	s_xor_b64 s[4:5], exec, -1
; %bb.2067:
	s_or_b64 exec, exec, s[8:9]
	s_and_b64 s[4:5], s[4:5], exec
                                        ; implicit-def: $vgpr21
	s_or_saveexec_b64 s[6:7], s[6:7]
	v_mov_b32_e32 v20, s10
	s_xor_b64 exec, exec, s[6:7]
	s_cbranch_execz .LBB14_18
.LBB14_2068:
	v_cmp_ne_u16_e32 vcc, 0, v21
	s_andn2_b64 s[4:5], s[4:5], exec
	s_and_b64 s[8:9], vcc, exec
	v_mov_b32_e32 v20, 0
	s_or_b64 s[4:5], s[4:5], s[8:9]
	s_or_b64 exec, exec, s[6:7]
	s_and_saveexec_b64 s[6:7], s[4:5]
	s_cbranch_execnz .LBB14_19
	s_branch .LBB14_20
.LBB14_2069:
	s_movk_i32 s4, 0x80
	v_cmp_eq_u16_e32 vcc, s4, v21
	s_mov_b64 s[4:5], -1
                                        ; implicit-def: $sgpr10
	s_and_saveexec_b64 s[8:9], vcc
; %bb.2070:
	s_mov_b32 s10, 0x7f800001
	s_xor_b64 s[4:5], exec, -1
; %bb.2071:
	s_or_b64 exec, exec, s[8:9]
	s_and_b64 s[4:5], s[4:5], exec
                                        ; implicit-def: $vgpr21
	s_or_saveexec_b64 s[6:7], s[6:7]
	v_mov_b32_e32 v22, s10
	s_xor_b64 exec, exec, s[6:7]
	s_cbranch_execz .LBB14_22
.LBB14_2072:
	v_cmp_ne_u16_e32 vcc, 0, v21
	s_andn2_b64 s[4:5], s[4:5], exec
	s_and_b64 s[8:9], vcc, exec
	v_mov_b32_e32 v22, 0
	s_or_b64 s[4:5], s[4:5], s[8:9]
	s_or_b64 exec, exec, s[6:7]
	s_and_saveexec_b64 s[6:7], s[4:5]
	s_cbranch_execnz .LBB14_23
	s_branch .LBB14_24
.LBB14_2073:
	s_movk_i32 s4, 0x80
	v_cmp_eq_u16_sdwa s[12:13], v14, s4 src0_sel:BYTE_3 src1_sel:DWORD
	s_mov_b64 s[4:5], -1
                                        ; implicit-def: $sgpr10
	s_and_saveexec_b64 s[8:9], s[12:13]
; %bb.2074:
	s_mov_b32 s10, 0x7f800001
	s_xor_b64 s[4:5], exec, -1
; %bb.2075:
	s_or_b64 exec, exec, s[8:9]
	s_and_b64 s[4:5], s[4:5], exec
	s_or_saveexec_b64 s[6:7], s[6:7]
	v_mov_b32_e32 v20, s10
	s_xor_b64 exec, exec, s[6:7]
	s_cbranch_execz .LBB14_26
.LBB14_2076:
	v_mov_b32_e32 v20, 0
	v_cmp_ne_u16_sdwa s[8:9], v14, v20 src0_sel:BYTE_3 src1_sel:DWORD
	s_andn2_b64 s[4:5], s[4:5], exec
	s_and_b64 s[8:9], s[8:9], exec
	s_or_b64 s[4:5], s[4:5], s[8:9]
	s_or_b64 exec, exec, s[6:7]
	s_and_saveexec_b64 s[6:7], s[4:5]
	s_cbranch_execnz .LBB14_27
	s_branch .LBB14_28
.LBB14_2077:
	s_movk_i32 s4, 0x80
	v_cmp_eq_u16_sdwa s[12:13], v10, s4 src0_sel:BYTE_3 src1_sel:DWORD
	s_mov_b64 s[4:5], -1
                                        ; implicit-def: $sgpr10
	s_and_saveexec_b64 s[8:9], s[12:13]
; %bb.2078:
	s_mov_b32 s10, 0x7f800001
	s_xor_b64 s[4:5], exec, -1
; %bb.2079:
	s_or_b64 exec, exec, s[8:9]
	s_and_b64 s[4:5], s[4:5], exec
	s_or_saveexec_b64 s[6:7], s[6:7]
	v_mov_b32_e32 v14, s10
	s_xor_b64 exec, exec, s[6:7]
	s_cbranch_execz .LBB14_30
.LBB14_2080:
	v_mov_b32_e32 v14, 0
	v_cmp_ne_u16_sdwa s[8:9], v10, v14 src0_sel:BYTE_3 src1_sel:DWORD
	s_andn2_b64 s[4:5], s[4:5], exec
	s_and_b64 s[8:9], s[8:9], exec
	s_or_b64 s[4:5], s[4:5], s[8:9]
	s_or_b64 exec, exec, s[6:7]
	s_and_saveexec_b64 s[6:7], s[4:5]
	s_cbranch_execnz .LBB14_31
	s_branch .LBB14_32
.LBB14_2081:
	s_movk_i32 s4, 0x80
	v_cmp_eq_u16_sdwa s[12:13], v15, s4 src0_sel:BYTE_0 src1_sel:DWORD
	s_mov_b64 s[4:5], -1
                                        ; implicit-def: $sgpr10
	s_and_saveexec_b64 s[8:9], s[12:13]
; %bb.2082:
	s_mov_b32 s10, 0x7f800001
	s_xor_b64 s[4:5], exec, -1
; %bb.2083:
	s_or_b64 exec, exec, s[8:9]
	s_and_b64 s[4:5], s[4:5], exec
	s_or_saveexec_b64 s[6:7], s[6:7]
	v_mov_b32_e32 v10, s10
	s_xor_b64 exec, exec, s[6:7]
	s_cbranch_execz .LBB14_34
.LBB14_2084:
	v_mov_b32_e32 v10, 0
	v_cmp_ne_u16_sdwa s[8:9], v15, v10 src0_sel:BYTE_0 src1_sel:DWORD
	s_andn2_b64 s[4:5], s[4:5], exec
	s_and_b64 s[8:9], s[8:9], exec
	s_or_b64 s[4:5], s[4:5], s[8:9]
	s_or_b64 exec, exec, s[6:7]
	s_and_saveexec_b64 s[6:7], s[4:5]
	s_cbranch_execnz .LBB14_35
	s_branch .LBB14_36
.LBB14_2085:
	s_movk_i32 s4, 0x80
	v_cmp_eq_u16_sdwa s[12:13], v11, s4 src0_sel:BYTE_0 src1_sel:DWORD
	s_mov_b64 s[4:5], -1
                                        ; implicit-def: $sgpr10
	s_and_saveexec_b64 s[8:9], s[12:13]
; %bb.2086:
	s_mov_b32 s10, 0x7f800001
	s_xor_b64 s[4:5], exec, -1
; %bb.2087:
	s_or_b64 exec, exec, s[8:9]
	s_and_b64 s[4:5], s[4:5], exec
	s_or_saveexec_b64 s[6:7], s[6:7]
	v_mov_b32_e32 v14, s10
	s_xor_b64 exec, exec, s[6:7]
	s_cbranch_execz .LBB14_38
.LBB14_2088:
	v_mov_b32_e32 v14, 0
	v_cmp_ne_u16_sdwa s[8:9], v11, v14 src0_sel:BYTE_0 src1_sel:DWORD
	s_andn2_b64 s[4:5], s[4:5], exec
	s_and_b64 s[8:9], s[8:9], exec
	s_or_b64 s[4:5], s[4:5], s[8:9]
	s_or_b64 exec, exec, s[6:7]
	s_and_saveexec_b64 s[6:7], s[4:5]
	s_cbranch_execnz .LBB14_39
	s_branch .LBB14_40
.LBB14_2089:
	s_movk_i32 s4, 0x80
	v_cmp_eq_u16_sdwa s[12:13], v14, s4 src0_sel:BYTE_0 src1_sel:DWORD
	s_mov_b64 s[4:5], -1
                                        ; implicit-def: $sgpr10
	s_and_saveexec_b64 s[8:9], s[12:13]
; %bb.2090:
	s_mov_b32 s10, 0x7f800001
	s_xor_b64 s[4:5], exec, -1
; %bb.2091:
	s_or_b64 exec, exec, s[8:9]
	s_and_b64 s[4:5], s[4:5], exec
	s_or_saveexec_b64 s[6:7], s[6:7]
	v_mov_b32_e32 v10, s10
	s_xor_b64 exec, exec, s[6:7]
	s_cbranch_execz .LBB14_42
.LBB14_2092:
	v_mov_b32_e32 v10, 0
	v_cmp_ne_u16_sdwa s[8:9], v14, v10 src0_sel:BYTE_0 src1_sel:DWORD
	s_andn2_b64 s[4:5], s[4:5], exec
	s_and_b64 s[8:9], s[8:9], exec
	s_or_b64 s[4:5], s[4:5], s[8:9]
	s_or_b64 exec, exec, s[6:7]
	s_and_saveexec_b64 s[6:7], s[4:5]
	s_cbranch_execnz .LBB14_43
	s_branch .LBB14_44
.LBB14_2093:
	s_movk_i32 s4, 0x80
	v_cmp_eq_u16_sdwa s[12:13], v14, s4 src0_sel:BYTE_0 src1_sel:DWORD
	s_mov_b64 s[4:5], -1
                                        ; implicit-def: $sgpr10
	s_and_saveexec_b64 s[8:9], s[12:13]
; %bb.2094:
	s_mov_b32 s10, 0x7f800001
	s_xor_b64 s[4:5], exec, -1
; %bb.2095:
	s_or_b64 exec, exec, s[8:9]
	s_and_b64 s[4:5], s[4:5], exec
	s_or_saveexec_b64 s[6:7], s[6:7]
	v_mov_b32_e32 v20, s10
	s_xor_b64 exec, exec, s[6:7]
	s_cbranch_execz .LBB14_46
.LBB14_2096:
	v_mov_b32_e32 v20, 0
	v_cmp_ne_u16_sdwa s[8:9], v14, v20 src0_sel:BYTE_0 src1_sel:DWORD
	s_andn2_b64 s[4:5], s[4:5], exec
	s_and_b64 s[8:9], s[8:9], exec
	s_or_b64 s[4:5], s[4:5], s[8:9]
	s_or_b64 exec, exec, s[6:7]
	s_and_saveexec_b64 s[6:7], s[4:5]
	s_cbranch_execnz .LBB14_47
	s_branch .LBB14_48
.LBB14_2097:
	s_movk_i32 s4, 0x80
	v_cmp_eq_u16_e32 vcc, s4, v14
	s_mov_b64 s[4:5], -1
                                        ; implicit-def: $sgpr10
	s_and_saveexec_b64 s[8:9], vcc
; %bb.2098:
	s_mov_b32 s10, 0x7f800001
	s_xor_b64 s[4:5], exec, -1
; %bb.2099:
	s_or_b64 exec, exec, s[8:9]
	s_and_b64 s[4:5], s[4:5], exec
                                        ; implicit-def: $vgpr14
	s_or_saveexec_b64 s[6:7], s[6:7]
	v_mov_b32_e32 v10, s10
	s_xor_b64 exec, exec, s[6:7]
	s_cbranch_execz .LBB14_50
.LBB14_2100:
	v_cmp_ne_u16_e32 vcc, 0, v14
	s_andn2_b64 s[4:5], s[4:5], exec
	s_and_b64 s[8:9], vcc, exec
	v_mov_b32_e32 v10, 0
	s_or_b64 s[4:5], s[4:5], s[8:9]
	s_or_b64 exec, exec, s[6:7]
	s_and_saveexec_b64 s[6:7], s[4:5]
	s_cbranch_execnz .LBB14_51
	s_branch .LBB14_52
.LBB14_2101:
	s_movk_i32 s4, 0x80
	v_cmp_eq_u16_e32 vcc, s4, v14
	s_mov_b64 s[4:5], -1
                                        ; implicit-def: $sgpr10
	s_and_saveexec_b64 s[8:9], vcc
; %bb.2102:
	s_mov_b32 s10, 0x7f800001
	s_xor_b64 s[4:5], exec, -1
; %bb.2103:
	s_or_b64 exec, exec, s[8:9]
	s_and_b64 s[4:5], s[4:5], exec
                                        ; implicit-def: $vgpr14
	s_or_saveexec_b64 s[6:7], s[6:7]
	v_mov_b32_e32 v20, s10
	s_xor_b64 exec, exec, s[6:7]
	s_cbranch_execz .LBB14_54
.LBB14_2104:
	v_cmp_ne_u16_e32 vcc, 0, v14
	s_andn2_b64 s[4:5], s[4:5], exec
	s_and_b64 s[8:9], vcc, exec
	v_mov_b32_e32 v20, 0
	s_or_b64 s[4:5], s[4:5], s[8:9]
	s_or_b64 exec, exec, s[6:7]
	s_and_saveexec_b64 s[6:7], s[4:5]
	s_cbranch_execnz .LBB14_55
	s_branch .LBB14_56
.LBB14_2105:
	s_movk_i32 s4, 0x80
	v_cmp_eq_u16_sdwa s[12:13], v15, s4 src0_sel:BYTE_3 src1_sel:DWORD
	s_mov_b64 s[4:5], -1
                                        ; implicit-def: $sgpr10
	s_and_saveexec_b64 s[8:9], s[12:13]
; %bb.2106:
	s_mov_b32 s10, 0x7f800001
	s_xor_b64 s[4:5], exec, -1
; %bb.2107:
	s_or_b64 exec, exec, s[8:9]
	s_and_b64 s[4:5], s[4:5], exec
	s_or_saveexec_b64 s[6:7], s[6:7]
	v_mov_b32_e32 v10, s10
	s_xor_b64 exec, exec, s[6:7]
	s_cbranch_execz .LBB14_58
.LBB14_2108:
	v_mov_b32_e32 v10, 0
	v_cmp_ne_u16_sdwa s[8:9], v15, v10 src0_sel:BYTE_3 src1_sel:DWORD
	s_andn2_b64 s[4:5], s[4:5], exec
	s_and_b64 s[8:9], s[8:9], exec
	s_or_b64 s[4:5], s[4:5], s[8:9]
	s_or_b64 exec, exec, s[6:7]
	s_and_saveexec_b64 s[6:7], s[4:5]
	s_cbranch_execnz .LBB14_59
	s_branch .LBB14_60
.LBB14_2109:
	s_movk_i32 s4, 0x80
	v_cmp_eq_u16_sdwa s[12:13], v11, s4 src0_sel:BYTE_3 src1_sel:DWORD
	s_mov_b64 s[4:5], -1
                                        ; implicit-def: $sgpr10
	s_and_saveexec_b64 s[8:9], s[12:13]
; %bb.2110:
	s_mov_b32 s10, 0x7f800001
	s_xor_b64 s[4:5], exec, -1
; %bb.2111:
	s_or_b64 exec, exec, s[8:9]
	s_and_b64 s[4:5], s[4:5], exec
	s_or_saveexec_b64 s[6:7], s[6:7]
	v_mov_b32_e32 v14, s10
	s_xor_b64 exec, exec, s[6:7]
	s_cbranch_execz .LBB14_62
.LBB14_2112:
	v_mov_b32_e32 v14, 0
	v_cmp_ne_u16_sdwa s[8:9], v11, v14 src0_sel:BYTE_3 src1_sel:DWORD
	s_andn2_b64 s[4:5], s[4:5], exec
	s_and_b64 s[8:9], s[8:9], exec
	s_or_b64 s[4:5], s[4:5], s[8:9]
	s_or_b64 exec, exec, s[6:7]
	s_and_saveexec_b64 s[6:7], s[4:5]
	s_cbranch_execnz .LBB14_63
	s_branch .LBB14_64
.LBB14_2113:
	s_movk_i32 s4, 0x80
	v_cmp_eq_u16_sdwa s[12:13], v16, s4 src0_sel:BYTE_0 src1_sel:DWORD
	s_mov_b64 s[4:5], -1
                                        ; implicit-def: $sgpr10
	s_and_saveexec_b64 s[8:9], s[12:13]
; %bb.2114:
	s_mov_b32 s10, 0x7f800001
	s_xor_b64 s[4:5], exec, -1
; %bb.2115:
	s_or_b64 exec, exec, s[8:9]
	s_and_b64 s[4:5], s[4:5], exec
	s_or_saveexec_b64 s[6:7], s[6:7]
	v_mov_b32_e32 v10, s10
	s_xor_b64 exec, exec, s[6:7]
	s_cbranch_execz .LBB14_66
.LBB14_2116:
	v_mov_b32_e32 v10, 0
	v_cmp_ne_u16_sdwa s[8:9], v16, v10 src0_sel:BYTE_0 src1_sel:DWORD
	s_andn2_b64 s[4:5], s[4:5], exec
	s_and_b64 s[8:9], s[8:9], exec
	s_or_b64 s[4:5], s[4:5], s[8:9]
	s_or_b64 exec, exec, s[6:7]
	s_and_saveexec_b64 s[6:7], s[4:5]
	s_cbranch_execnz .LBB14_67
	s_branch .LBB14_68
.LBB14_2117:
	s_movk_i32 s4, 0x80
	v_cmp_eq_u16_sdwa s[12:13], v12, s4 src0_sel:BYTE_0 src1_sel:DWORD
	s_mov_b64 s[4:5], -1
                                        ; implicit-def: $sgpr10
	s_and_saveexec_b64 s[8:9], s[12:13]
; %bb.2118:
	s_mov_b32 s10, 0x7f800001
	s_xor_b64 s[4:5], exec, -1
; %bb.2119:
	s_or_b64 exec, exec, s[8:9]
	s_and_b64 s[4:5], s[4:5], exec
	s_or_saveexec_b64 s[6:7], s[6:7]
	v_mov_b32_e32 v11, s10
	s_xor_b64 exec, exec, s[6:7]
	s_cbranch_execz .LBB14_70
.LBB14_2120:
	v_mov_b32_e32 v11, 0
	v_cmp_ne_u16_sdwa s[8:9], v12, v11 src0_sel:BYTE_0 src1_sel:DWORD
	s_andn2_b64 s[4:5], s[4:5], exec
	s_and_b64 s[8:9], s[8:9], exec
	s_or_b64 s[4:5], s[4:5], s[8:9]
	s_or_b64 exec, exec, s[6:7]
	s_and_saveexec_b64 s[6:7], s[4:5]
	s_cbranch_execnz .LBB14_71
	s_branch .LBB14_72
.LBB14_2121:
	s_movk_i32 s4, 0x80
	v_cmp_eq_u16_sdwa s[12:13], v11, s4 src0_sel:BYTE_0 src1_sel:DWORD
	s_mov_b64 s[4:5], -1
                                        ; implicit-def: $sgpr10
	s_and_saveexec_b64 s[8:9], s[12:13]
; %bb.2122:
	s_mov_b32 s10, 0x7f800001
	s_xor_b64 s[4:5], exec, -1
; %bb.2123:
	s_or_b64 exec, exec, s[8:9]
	s_and_b64 s[4:5], s[4:5], exec
	s_or_saveexec_b64 s[6:7], s[6:7]
	v_mov_b32_e32 v10, s10
	s_xor_b64 exec, exec, s[6:7]
	s_cbranch_execz .LBB14_74
.LBB14_2124:
	v_mov_b32_e32 v10, 0
	v_cmp_ne_u16_sdwa s[8:9], v11, v10 src0_sel:BYTE_0 src1_sel:DWORD
	s_andn2_b64 s[4:5], s[4:5], exec
	s_and_b64 s[8:9], s[8:9], exec
	s_or_b64 s[4:5], s[4:5], s[8:9]
	s_or_b64 exec, exec, s[6:7]
	s_and_saveexec_b64 s[6:7], s[4:5]
	s_cbranch_execnz .LBB14_75
	s_branch .LBB14_76
.LBB14_2125:
	s_movk_i32 s4, 0x80
	v_cmp_eq_u16_sdwa s[12:13], v11, s4 src0_sel:BYTE_0 src1_sel:DWORD
	s_mov_b64 s[4:5], -1
                                        ; implicit-def: $sgpr10
	s_and_saveexec_b64 s[8:9], s[12:13]
; %bb.2126:
	s_mov_b32 s10, 0x7f800001
	s_xor_b64 s[4:5], exec, -1
; %bb.2127:
	s_or_b64 exec, exec, s[8:9]
	s_and_b64 s[4:5], s[4:5], exec
	s_or_saveexec_b64 s[6:7], s[6:7]
	v_mov_b32_e32 v14, s10
	s_xor_b64 exec, exec, s[6:7]
	s_cbranch_execz .LBB14_78
.LBB14_2128:
	v_mov_b32_e32 v14, 0
	v_cmp_ne_u16_sdwa s[8:9], v11, v14 src0_sel:BYTE_0 src1_sel:DWORD
	s_andn2_b64 s[4:5], s[4:5], exec
	s_and_b64 s[8:9], s[8:9], exec
	s_or_b64 s[4:5], s[4:5], s[8:9]
	s_or_b64 exec, exec, s[6:7]
	s_and_saveexec_b64 s[6:7], s[4:5]
	s_cbranch_execnz .LBB14_79
	s_branch .LBB14_80
.LBB14_2129:
	s_movk_i32 s4, 0x80
	v_cmp_eq_u16_e32 vcc, s4, v11
	s_mov_b64 s[4:5], -1
                                        ; implicit-def: $sgpr10
	s_and_saveexec_b64 s[8:9], vcc
; %bb.2130:
	s_mov_b32 s10, 0x7f800001
	s_xor_b64 s[4:5], exec, -1
; %bb.2131:
	s_or_b64 exec, exec, s[8:9]
	s_and_b64 s[4:5], s[4:5], exec
                                        ; implicit-def: $vgpr11
	s_or_saveexec_b64 s[6:7], s[6:7]
	v_mov_b32_e32 v10, s10
	s_xor_b64 exec, exec, s[6:7]
	s_cbranch_execz .LBB14_82
.LBB14_2132:
	v_cmp_ne_u16_e32 vcc, 0, v11
	s_andn2_b64 s[4:5], s[4:5], exec
	s_and_b64 s[8:9], vcc, exec
	v_mov_b32_e32 v10, 0
	s_or_b64 s[4:5], s[4:5], s[8:9]
	s_or_b64 exec, exec, s[6:7]
	s_and_saveexec_b64 s[6:7], s[4:5]
	s_cbranch_execnz .LBB14_83
	s_branch .LBB14_84
.LBB14_2133:
	s_movk_i32 s4, 0x80
	v_cmp_eq_u16_e32 vcc, s4, v11
	s_mov_b64 s[4:5], -1
                                        ; implicit-def: $sgpr10
	s_and_saveexec_b64 s[8:9], vcc
; %bb.2134:
	s_mov_b32 s10, 0x7f800001
	s_xor_b64 s[4:5], exec, -1
; %bb.2135:
	s_or_b64 exec, exec, s[8:9]
	s_and_b64 s[4:5], s[4:5], exec
                                        ; implicit-def: $vgpr11
	s_or_saveexec_b64 s[6:7], s[6:7]
	v_mov_b32_e32 v14, s10
	s_xor_b64 exec, exec, s[6:7]
	s_cbranch_execz .LBB14_86
.LBB14_2136:
	v_cmp_ne_u16_e32 vcc, 0, v11
	s_andn2_b64 s[4:5], s[4:5], exec
	s_and_b64 s[8:9], vcc, exec
	v_mov_b32_e32 v14, 0
	s_or_b64 s[4:5], s[4:5], s[8:9]
	s_or_b64 exec, exec, s[6:7]
	s_and_saveexec_b64 s[6:7], s[4:5]
	s_cbranch_execnz .LBB14_87
	s_branch .LBB14_88
.LBB14_2137:
	s_movk_i32 s4, 0x80
	v_cmp_eq_u16_sdwa s[12:13], v16, s4 src0_sel:BYTE_3 src1_sel:DWORD
	s_mov_b64 s[4:5], -1
                                        ; implicit-def: $sgpr10
	s_and_saveexec_b64 s[8:9], s[12:13]
; %bb.2138:
	s_mov_b32 s10, 0x7f800001
	s_xor_b64 s[4:5], exec, -1
; %bb.2139:
	s_or_b64 exec, exec, s[8:9]
	s_and_b64 s[4:5], s[4:5], exec
	s_or_saveexec_b64 s[6:7], s[6:7]
	v_mov_b32_e32 v10, s10
	s_xor_b64 exec, exec, s[6:7]
	s_cbranch_execz .LBB14_90
.LBB14_2140:
	v_mov_b32_e32 v10, 0
	v_cmp_ne_u16_sdwa s[8:9], v16, v10 src0_sel:BYTE_3 src1_sel:DWORD
	s_andn2_b64 s[4:5], s[4:5], exec
	s_and_b64 s[8:9], s[8:9], exec
	s_or_b64 s[4:5], s[4:5], s[8:9]
	s_or_b64 exec, exec, s[6:7]
	s_and_saveexec_b64 s[6:7], s[4:5]
	s_cbranch_execnz .LBB14_91
	s_branch .LBB14_92
.LBB14_2141:
	s_movk_i32 s4, 0x80
	v_cmp_eq_u16_sdwa s[12:13], v12, s4 src0_sel:BYTE_3 src1_sel:DWORD
	s_mov_b64 s[4:5], -1
                                        ; implicit-def: $sgpr10
	s_and_saveexec_b64 s[8:9], s[12:13]
; %bb.2142:
	s_mov_b32 s10, 0x7f800001
	s_xor_b64 s[4:5], exec, -1
; %bb.2143:
	s_or_b64 exec, exec, s[8:9]
	s_and_b64 s[4:5], s[4:5], exec
	s_or_saveexec_b64 s[6:7], s[6:7]
	v_mov_b32_e32 v11, s10
	s_xor_b64 exec, exec, s[6:7]
	s_cbranch_execz .LBB14_94
.LBB14_2144:
	v_mov_b32_e32 v11, 0
	v_cmp_ne_u16_sdwa s[8:9], v12, v11 src0_sel:BYTE_3 src1_sel:DWORD
	s_andn2_b64 s[4:5], s[4:5], exec
	s_and_b64 s[8:9], s[8:9], exec
	s_or_b64 s[4:5], s[4:5], s[8:9]
	s_or_b64 exec, exec, s[6:7]
	s_and_saveexec_b64 s[6:7], s[4:5]
	s_cbranch_execnz .LBB14_95
	s_branch .LBB14_96
.LBB14_2145:
	s_movk_i32 s4, 0x80
	v_cmp_eq_u16_sdwa s[12:13], v17, s4 src0_sel:BYTE_0 src1_sel:DWORD
	s_mov_b64 s[4:5], -1
                                        ; implicit-def: $sgpr10
	s_and_saveexec_b64 s[8:9], s[12:13]
; %bb.2146:
	s_mov_b32 s10, 0x7f800001
	s_xor_b64 s[4:5], exec, -1
; %bb.2147:
	s_or_b64 exec, exec, s[8:9]
	s_and_b64 s[4:5], s[4:5], exec
	s_or_saveexec_b64 s[6:7], s[6:7]
	v_mov_b32_e32 v10, s10
	s_xor_b64 exec, exec, s[6:7]
	s_cbranch_execz .LBB14_98
.LBB14_2148:
	v_mov_b32_e32 v10, 0
	v_cmp_ne_u16_sdwa s[8:9], v17, v10 src0_sel:BYTE_0 src1_sel:DWORD
	s_andn2_b64 s[4:5], s[4:5], exec
	s_and_b64 s[8:9], s[8:9], exec
	s_or_b64 s[4:5], s[4:5], s[8:9]
	s_or_b64 exec, exec, s[6:7]
	s_and_saveexec_b64 s[6:7], s[4:5]
	s_cbranch_execnz .LBB14_99
	s_branch .LBB14_100
.LBB14_2149:
	s_movk_i32 s4, 0x80
	v_cmp_eq_u16_sdwa s[12:13], v13, s4 src0_sel:BYTE_0 src1_sel:DWORD
	s_mov_b64 s[4:5], -1
                                        ; implicit-def: $sgpr10
	s_and_saveexec_b64 s[8:9], s[12:13]
; %bb.2150:
	s_mov_b32 s10, 0x7f800001
	s_xor_b64 s[4:5], exec, -1
; %bb.2151:
	s_or_b64 exec, exec, s[8:9]
	s_and_b64 s[4:5], s[4:5], exec
	s_or_saveexec_b64 s[6:7], s[6:7]
	v_mov_b32_e32 v11, s10
	s_xor_b64 exec, exec, s[6:7]
	s_cbranch_execz .LBB14_102
.LBB14_2152:
	v_mov_b32_e32 v11, 0
	v_cmp_ne_u16_sdwa s[8:9], v13, v11 src0_sel:BYTE_0 src1_sel:DWORD
	s_andn2_b64 s[4:5], s[4:5], exec
	s_and_b64 s[8:9], s[8:9], exec
	s_or_b64 s[4:5], s[4:5], s[8:9]
	s_or_b64 exec, exec, s[6:7]
	s_and_saveexec_b64 s[6:7], s[4:5]
	s_cbranch_execnz .LBB14_103
	s_branch .LBB14_104
.LBB14_2153:
	s_movk_i32 s4, 0x80
	v_cmp_eq_u16_sdwa s[12:13], v11, s4 src0_sel:BYTE_0 src1_sel:DWORD
	s_mov_b64 s[4:5], -1
                                        ; implicit-def: $sgpr10
	s_and_saveexec_b64 s[8:9], s[12:13]
; %bb.2154:
	s_mov_b32 s10, 0x7f800001
	s_xor_b64 s[4:5], exec, -1
; %bb.2155:
	s_or_b64 exec, exec, s[8:9]
	s_and_b64 s[4:5], s[4:5], exec
	s_or_saveexec_b64 s[6:7], s[6:7]
	v_mov_b32_e32 v10, s10
	s_xor_b64 exec, exec, s[6:7]
	s_cbranch_execz .LBB14_106
.LBB14_2156:
	v_mov_b32_e32 v10, 0
	v_cmp_ne_u16_sdwa s[8:9], v11, v10 src0_sel:BYTE_0 src1_sel:DWORD
	s_andn2_b64 s[4:5], s[4:5], exec
	s_and_b64 s[8:9], s[8:9], exec
	s_or_b64 s[4:5], s[4:5], s[8:9]
	s_or_b64 exec, exec, s[6:7]
	s_and_saveexec_b64 s[6:7], s[4:5]
	s_cbranch_execnz .LBB14_107
	s_branch .LBB14_108
.LBB14_2157:
	s_movk_i32 s4, 0x80
	v_cmp_eq_u16_sdwa s[12:13], v11, s4 src0_sel:BYTE_0 src1_sel:DWORD
	s_mov_b64 s[4:5], -1
                                        ; implicit-def: $sgpr10
	s_and_saveexec_b64 s[8:9], s[12:13]
; %bb.2158:
	s_mov_b32 s10, 0x7f800001
	s_xor_b64 s[4:5], exec, -1
; %bb.2159:
	s_or_b64 exec, exec, s[8:9]
	s_and_b64 s[4:5], s[4:5], exec
	s_or_saveexec_b64 s[6:7], s[6:7]
	v_mov_b32_e32 v12, s10
	s_xor_b64 exec, exec, s[6:7]
	s_cbranch_execz .LBB14_110
.LBB14_2160:
	v_mov_b32_e32 v12, 0
	v_cmp_ne_u16_sdwa s[8:9], v11, v12 src0_sel:BYTE_0 src1_sel:DWORD
	s_andn2_b64 s[4:5], s[4:5], exec
	s_and_b64 s[8:9], s[8:9], exec
	s_or_b64 s[4:5], s[4:5], s[8:9]
	s_or_b64 exec, exec, s[6:7]
	s_and_saveexec_b64 s[6:7], s[4:5]
	s_cbranch_execnz .LBB14_111
	s_branch .LBB14_112
.LBB14_2161:
	s_movk_i32 s4, 0x80
	v_cmp_eq_u16_e32 vcc, s4, v11
	s_mov_b64 s[4:5], -1
                                        ; implicit-def: $sgpr10
	s_and_saveexec_b64 s[8:9], vcc
; %bb.2162:
	s_mov_b32 s10, 0x7f800001
	s_xor_b64 s[4:5], exec, -1
; %bb.2163:
	s_or_b64 exec, exec, s[8:9]
	s_and_b64 s[4:5], s[4:5], exec
                                        ; implicit-def: $vgpr11
	s_or_saveexec_b64 s[6:7], s[6:7]
	v_mov_b32_e32 v10, s10
	s_xor_b64 exec, exec, s[6:7]
	s_cbranch_execz .LBB14_114
.LBB14_2164:
	v_cmp_ne_u16_e32 vcc, 0, v11
	s_andn2_b64 s[4:5], s[4:5], exec
	s_and_b64 s[8:9], vcc, exec
	v_mov_b32_e32 v10, 0
	s_or_b64 s[4:5], s[4:5], s[8:9]
	s_or_b64 exec, exec, s[6:7]
	s_and_saveexec_b64 s[6:7], s[4:5]
	s_cbranch_execnz .LBB14_115
	s_branch .LBB14_116
.LBB14_2165:
	s_movk_i32 s4, 0x80
	v_cmp_eq_u16_e32 vcc, s4, v11
	s_mov_b64 s[4:5], -1
                                        ; implicit-def: $sgpr10
	s_and_saveexec_b64 s[8:9], vcc
; %bb.2166:
	s_mov_b32 s10, 0x7f800001
	s_xor_b64 s[4:5], exec, -1
; %bb.2167:
	s_or_b64 exec, exec, s[8:9]
	s_and_b64 s[4:5], s[4:5], exec
                                        ; implicit-def: $vgpr11
	s_or_saveexec_b64 s[6:7], s[6:7]
	v_mov_b32_e32 v12, s10
	s_xor_b64 exec, exec, s[6:7]
	s_cbranch_execz .LBB14_118
.LBB14_2168:
	v_cmp_ne_u16_e32 vcc, 0, v11
	s_andn2_b64 s[4:5], s[4:5], exec
	s_and_b64 s[8:9], vcc, exec
	v_mov_b32_e32 v12, 0
	s_or_b64 s[4:5], s[4:5], s[8:9]
	s_or_b64 exec, exec, s[6:7]
	s_and_saveexec_b64 s[6:7], s[4:5]
	s_cbranch_execnz .LBB14_119
	s_branch .LBB14_120
.LBB14_2169:
	s_movk_i32 s4, 0x80
	v_cmp_eq_u16_sdwa s[12:13], v17, s4 src0_sel:BYTE_3 src1_sel:DWORD
	s_mov_b64 s[4:5], -1
                                        ; implicit-def: $sgpr10
	s_and_saveexec_b64 s[8:9], s[12:13]
; %bb.2170:
	s_mov_b32 s10, 0x7f800001
	s_xor_b64 s[4:5], exec, -1
; %bb.2171:
	s_or_b64 exec, exec, s[8:9]
	s_and_b64 s[4:5], s[4:5], exec
	s_or_saveexec_b64 s[6:7], s[6:7]
	v_mov_b32_e32 v10, s10
	s_xor_b64 exec, exec, s[6:7]
	s_cbranch_execz .LBB14_122
.LBB14_2172:
	v_mov_b32_e32 v10, 0
	v_cmp_ne_u16_sdwa s[8:9], v17, v10 src0_sel:BYTE_3 src1_sel:DWORD
	s_andn2_b64 s[4:5], s[4:5], exec
	s_and_b64 s[8:9], s[8:9], exec
	s_or_b64 s[4:5], s[4:5], s[8:9]
	s_or_b64 exec, exec, s[6:7]
	s_and_saveexec_b64 s[6:7], s[4:5]
	s_cbranch_execnz .LBB14_123
	s_branch .LBB14_124
.LBB14_2173:
	s_movk_i32 s4, 0x80
	v_cmp_eq_u16_sdwa s[12:13], v13, s4 src0_sel:BYTE_3 src1_sel:DWORD
	s_mov_b64 s[4:5], -1
                                        ; implicit-def: $sgpr10
	s_and_saveexec_b64 s[8:9], s[12:13]
; %bb.2174:
	s_mov_b32 s10, 0x7f800001
	s_xor_b64 s[4:5], exec, -1
; %bb.2175:
	s_or_b64 exec, exec, s[8:9]
	s_and_b64 s[4:5], s[4:5], exec
	s_or_saveexec_b64 s[6:7], s[6:7]
	v_mov_b32_e32 v11, s10
	s_xor_b64 exec, exec, s[6:7]
	s_cbranch_execz .LBB14_126
.LBB14_2176:
	v_mov_b32_e32 v11, 0
	v_cmp_ne_u16_sdwa s[8:9], v13, v11 src0_sel:BYTE_3 src1_sel:DWORD
	s_andn2_b64 s[4:5], s[4:5], exec
	s_and_b64 s[8:9], s[8:9], exec
	s_or_b64 s[4:5], s[4:5], s[8:9]
	s_or_b64 exec, exec, s[6:7]
	s_and_saveexec_b64 s[6:7], s[4:5]
	s_cbranch_execnz .LBB14_127
	s_branch .LBB14_128
.LBB14_2177:
	s_movk_i32 s4, 0x80
	v_cmp_eq_u16_sdwa s[12:13], v6, s4 src0_sel:BYTE_0 src1_sel:DWORD
	s_mov_b64 s[4:5], -1
                                        ; implicit-def: $sgpr10
	s_and_saveexec_b64 s[8:9], s[12:13]
; %bb.2178:
	s_mov_b32 s10, 0x7f800001
	s_xor_b64 s[4:5], exec, -1
; %bb.2179:
	s_or_b64 exec, exec, s[8:9]
	s_and_b64 s[4:5], s[4:5], exec
	s_or_saveexec_b64 s[6:7], s[6:7]
	v_mov_b32_e32 v10, s10
	s_xor_b64 exec, exec, s[6:7]
	s_cbranch_execz .LBB14_130
.LBB14_2180:
	v_mov_b32_e32 v10, 0
	v_cmp_ne_u16_sdwa s[8:9], v6, v10 src0_sel:BYTE_0 src1_sel:DWORD
	s_andn2_b64 s[4:5], s[4:5], exec
	s_and_b64 s[8:9], s[8:9], exec
	s_or_b64 s[4:5], s[4:5], s[8:9]
	s_or_b64 exec, exec, s[6:7]
	s_and_saveexec_b64 s[6:7], s[4:5]
	s_cbranch_execnz .LBB14_131
	s_branch .LBB14_132
.LBB14_2181:
	s_movk_i32 s4, 0x80
	v_cmp_eq_u16_sdwa s[12:13], v2, s4 src0_sel:BYTE_0 src1_sel:DWORD
	s_mov_b64 s[4:5], -1
                                        ; implicit-def: $sgpr10
	s_and_saveexec_b64 s[8:9], s[12:13]
; %bb.2182:
	s_mov_b32 s10, 0x7f800001
	s_xor_b64 s[4:5], exec, -1
; %bb.2183:
	s_or_b64 exec, exec, s[8:9]
	s_and_b64 s[4:5], s[4:5], exec
	s_or_saveexec_b64 s[6:7], s[6:7]
	v_mov_b32_e32 v11, s10
	s_xor_b64 exec, exec, s[6:7]
	s_cbranch_execz .LBB14_134
.LBB14_2184:
	v_mov_b32_e32 v11, 0
	v_cmp_ne_u16_sdwa s[8:9], v2, v11 src0_sel:BYTE_0 src1_sel:DWORD
	s_andn2_b64 s[4:5], s[4:5], exec
	s_and_b64 s[8:9], s[8:9], exec
	s_or_b64 s[4:5], s[4:5], s[8:9]
	s_or_b64 exec, exec, s[6:7]
	s_and_saveexec_b64 s[6:7], s[4:5]
	s_cbranch_execnz .LBB14_135
	s_branch .LBB14_136
.LBB14_2185:
	s_movk_i32 s4, 0x80
	v_cmp_eq_u16_sdwa s[12:13], v11, s4 src0_sel:BYTE_0 src1_sel:DWORD
	s_mov_b64 s[4:5], -1
                                        ; implicit-def: $sgpr10
	s_and_saveexec_b64 s[8:9], s[12:13]
; %bb.2186:
	s_mov_b32 s10, 0x7f800001
	s_xor_b64 s[4:5], exec, -1
; %bb.2187:
	s_or_b64 exec, exec, s[8:9]
	s_and_b64 s[4:5], s[4:5], exec
	s_or_saveexec_b64 s[6:7], s[6:7]
	v_mov_b32_e32 v10, s10
	s_xor_b64 exec, exec, s[6:7]
	s_cbranch_execz .LBB14_138
.LBB14_2188:
	v_mov_b32_e32 v10, 0
	v_cmp_ne_u16_sdwa s[8:9], v11, v10 src0_sel:BYTE_0 src1_sel:DWORD
	s_andn2_b64 s[4:5], s[4:5], exec
	s_and_b64 s[8:9], s[8:9], exec
	s_or_b64 s[4:5], s[4:5], s[8:9]
	s_or_b64 exec, exec, s[6:7]
	s_and_saveexec_b64 s[6:7], s[4:5]
	s_cbranch_execnz .LBB14_139
	s_branch .LBB14_140
.LBB14_2189:
	s_movk_i32 s4, 0x80
	v_cmp_eq_u16_sdwa s[12:13], v11, s4 src0_sel:BYTE_0 src1_sel:DWORD
	s_mov_b64 s[4:5], -1
                                        ; implicit-def: $sgpr10
	s_and_saveexec_b64 s[8:9], s[12:13]
; %bb.2190:
	s_mov_b32 s10, 0x7f800001
	s_xor_b64 s[4:5], exec, -1
; %bb.2191:
	s_or_b64 exec, exec, s[8:9]
	s_and_b64 s[4:5], s[4:5], exec
	s_or_saveexec_b64 s[6:7], s[6:7]
	v_mov_b32_e32 v12, s10
	s_xor_b64 exec, exec, s[6:7]
	s_cbranch_execz .LBB14_142
.LBB14_2192:
	v_mov_b32_e32 v12, 0
	v_cmp_ne_u16_sdwa s[8:9], v11, v12 src0_sel:BYTE_0 src1_sel:DWORD
	s_andn2_b64 s[4:5], s[4:5], exec
	s_and_b64 s[8:9], s[8:9], exec
	s_or_b64 s[4:5], s[4:5], s[8:9]
	s_or_b64 exec, exec, s[6:7]
	s_and_saveexec_b64 s[6:7], s[4:5]
	s_cbranch_execnz .LBB14_143
	s_branch .LBB14_144
.LBB14_2193:
	s_movk_i32 s4, 0x80
	v_cmp_eq_u16_e32 vcc, s4, v11
	s_mov_b64 s[4:5], -1
                                        ; implicit-def: $sgpr10
	s_and_saveexec_b64 s[8:9], vcc
; %bb.2194:
	s_mov_b32 s10, 0x7f800001
	s_xor_b64 s[4:5], exec, -1
; %bb.2195:
	s_or_b64 exec, exec, s[8:9]
	s_and_b64 s[4:5], s[4:5], exec
                                        ; implicit-def: $vgpr11
	s_or_saveexec_b64 s[6:7], s[6:7]
	v_mov_b32_e32 v10, s10
	s_xor_b64 exec, exec, s[6:7]
	s_cbranch_execz .LBB14_146
.LBB14_2196:
	v_cmp_ne_u16_e32 vcc, 0, v11
	s_andn2_b64 s[4:5], s[4:5], exec
	s_and_b64 s[8:9], vcc, exec
	v_mov_b32_e32 v10, 0
	s_or_b64 s[4:5], s[4:5], s[8:9]
	s_or_b64 exec, exec, s[6:7]
	s_and_saveexec_b64 s[6:7], s[4:5]
	s_cbranch_execnz .LBB14_147
	s_branch .LBB14_148
.LBB14_2197:
	s_movk_i32 s4, 0x80
	v_cmp_eq_u16_e32 vcc, s4, v11
	s_mov_b64 s[4:5], -1
                                        ; implicit-def: $sgpr10
	s_and_saveexec_b64 s[8:9], vcc
; %bb.2198:
	s_mov_b32 s10, 0x7f800001
	s_xor_b64 s[4:5], exec, -1
; %bb.2199:
	s_or_b64 exec, exec, s[8:9]
	s_and_b64 s[4:5], s[4:5], exec
                                        ; implicit-def: $vgpr11
	s_or_saveexec_b64 s[6:7], s[6:7]
	v_mov_b32_e32 v12, s10
	s_xor_b64 exec, exec, s[6:7]
	s_cbranch_execz .LBB14_150
.LBB14_2200:
	v_cmp_ne_u16_e32 vcc, 0, v11
	s_andn2_b64 s[4:5], s[4:5], exec
	s_and_b64 s[8:9], vcc, exec
	v_mov_b32_e32 v12, 0
	s_or_b64 s[4:5], s[4:5], s[8:9]
	s_or_b64 exec, exec, s[6:7]
	s_and_saveexec_b64 s[6:7], s[4:5]
	s_cbranch_execnz .LBB14_151
	s_branch .LBB14_152
.LBB14_2201:
	s_movk_i32 s4, 0x80
	v_cmp_eq_u16_sdwa s[12:13], v6, s4 src0_sel:BYTE_3 src1_sel:DWORD
	s_mov_b64 s[4:5], -1
                                        ; implicit-def: $sgpr10
	s_and_saveexec_b64 s[8:9], s[12:13]
; %bb.2202:
	s_mov_b32 s10, 0x7f800001
	s_xor_b64 s[4:5], exec, -1
; %bb.2203:
	s_or_b64 exec, exec, s[8:9]
	s_and_b64 s[4:5], s[4:5], exec
	s_or_saveexec_b64 s[6:7], s[6:7]
	v_mov_b32_e32 v10, s10
	s_xor_b64 exec, exec, s[6:7]
	s_cbranch_execz .LBB14_154
.LBB14_2204:
	v_mov_b32_e32 v10, 0
	v_cmp_ne_u16_sdwa s[8:9], v6, v10 src0_sel:BYTE_3 src1_sel:DWORD
	s_andn2_b64 s[4:5], s[4:5], exec
	s_and_b64 s[8:9], s[8:9], exec
	s_or_b64 s[4:5], s[4:5], s[8:9]
	s_or_b64 exec, exec, s[6:7]
	s_and_saveexec_b64 s[6:7], s[4:5]
	s_cbranch_execnz .LBB14_155
	s_branch .LBB14_156
.LBB14_2205:
	s_movk_i32 s4, 0x80
	v_cmp_eq_u16_sdwa s[12:13], v2, s4 src0_sel:BYTE_3 src1_sel:DWORD
	s_mov_b64 s[4:5], -1
                                        ; implicit-def: $sgpr10
	s_and_saveexec_b64 s[8:9], s[12:13]
; %bb.2206:
	s_mov_b32 s10, 0x7f800001
	s_xor_b64 s[4:5], exec, -1
; %bb.2207:
	s_or_b64 exec, exec, s[8:9]
	s_and_b64 s[4:5], s[4:5], exec
	s_or_saveexec_b64 s[6:7], s[6:7]
	v_mov_b32_e32 v6, s10
	s_xor_b64 exec, exec, s[6:7]
	s_cbranch_execz .LBB14_158
.LBB14_2208:
	v_mov_b32_e32 v6, 0
	v_cmp_ne_u16_sdwa s[8:9], v2, v6 src0_sel:BYTE_3 src1_sel:DWORD
	s_andn2_b64 s[4:5], s[4:5], exec
	s_and_b64 s[8:9], s[8:9], exec
	s_or_b64 s[4:5], s[4:5], s[8:9]
	s_or_b64 exec, exec, s[6:7]
	s_and_saveexec_b64 s[6:7], s[4:5]
	s_cbranch_execnz .LBB14_159
	s_branch .LBB14_160
.LBB14_2209:
	s_movk_i32 s4, 0x80
	v_cmp_eq_u16_sdwa s[12:13], v7, s4 src0_sel:BYTE_0 src1_sel:DWORD
	s_mov_b64 s[4:5], -1
                                        ; implicit-def: $sgpr10
	s_and_saveexec_b64 s[8:9], s[12:13]
; %bb.2210:
	s_mov_b32 s10, 0x7f800001
	s_xor_b64 s[4:5], exec, -1
; %bb.2211:
	s_or_b64 exec, exec, s[8:9]
	s_and_b64 s[4:5], s[4:5], exec
	s_or_saveexec_b64 s[6:7], s[6:7]
	v_mov_b32_e32 v2, s10
	s_xor_b64 exec, exec, s[6:7]
	s_cbranch_execz .LBB14_162
.LBB14_2212:
	v_mov_b32_e32 v2, 0
	v_cmp_ne_u16_sdwa s[8:9], v7, v2 src0_sel:BYTE_0 src1_sel:DWORD
	s_andn2_b64 s[4:5], s[4:5], exec
	s_and_b64 s[8:9], s[8:9], exec
	s_or_b64 s[4:5], s[4:5], s[8:9]
	s_or_b64 exec, exec, s[6:7]
	s_and_saveexec_b64 s[6:7], s[4:5]
	s_cbranch_execnz .LBB14_163
	s_branch .LBB14_164
.LBB14_2213:
	s_movk_i32 s4, 0x80
	v_cmp_eq_u16_sdwa s[12:13], v3, s4 src0_sel:BYTE_0 src1_sel:DWORD
	s_mov_b64 s[4:5], -1
                                        ; implicit-def: $sgpr10
	s_and_saveexec_b64 s[8:9], s[12:13]
; %bb.2214:
	s_mov_b32 s10, 0x7f800001
	s_xor_b64 s[4:5], exec, -1
; %bb.2215:
	s_or_b64 exec, exec, s[8:9]
	s_and_b64 s[4:5], s[4:5], exec
	s_or_saveexec_b64 s[6:7], s[6:7]
	v_mov_b32_e32 v6, s10
	s_xor_b64 exec, exec, s[6:7]
	s_cbranch_execz .LBB14_166
.LBB14_2216:
	v_mov_b32_e32 v6, 0
	v_cmp_ne_u16_sdwa s[8:9], v3, v6 src0_sel:BYTE_0 src1_sel:DWORD
	s_andn2_b64 s[4:5], s[4:5], exec
	s_and_b64 s[8:9], s[8:9], exec
	s_or_b64 s[4:5], s[4:5], s[8:9]
	s_or_b64 exec, exec, s[6:7]
	s_and_saveexec_b64 s[6:7], s[4:5]
	s_cbranch_execnz .LBB14_167
	s_branch .LBB14_168
.LBB14_2217:
	s_movk_i32 s4, 0x80
	v_cmp_eq_u16_sdwa s[12:13], v6, s4 src0_sel:BYTE_0 src1_sel:DWORD
	s_mov_b64 s[4:5], -1
                                        ; implicit-def: $sgpr10
	s_and_saveexec_b64 s[8:9], s[12:13]
; %bb.2218:
	s_mov_b32 s10, 0x7f800001
	s_xor_b64 s[4:5], exec, -1
; %bb.2219:
	s_or_b64 exec, exec, s[8:9]
	s_and_b64 s[4:5], s[4:5], exec
	s_or_saveexec_b64 s[6:7], s[6:7]
	v_mov_b32_e32 v2, s10
	s_xor_b64 exec, exec, s[6:7]
	s_cbranch_execz .LBB14_170
.LBB14_2220:
	v_mov_b32_e32 v2, 0
	v_cmp_ne_u16_sdwa s[8:9], v6, v2 src0_sel:BYTE_0 src1_sel:DWORD
	s_andn2_b64 s[4:5], s[4:5], exec
	s_and_b64 s[8:9], s[8:9], exec
	s_or_b64 s[4:5], s[4:5], s[8:9]
	s_or_b64 exec, exec, s[6:7]
	s_and_saveexec_b64 s[6:7], s[4:5]
	s_cbranch_execnz .LBB14_171
	s_branch .LBB14_172
.LBB14_2221:
	s_movk_i32 s4, 0x80
	v_cmp_eq_u16_sdwa s[12:13], v6, s4 src0_sel:BYTE_0 src1_sel:DWORD
	s_mov_b64 s[4:5], -1
                                        ; implicit-def: $sgpr10
	s_and_saveexec_b64 s[8:9], s[12:13]
; %bb.2222:
	s_mov_b32 s10, 0x7f800001
	s_xor_b64 s[4:5], exec, -1
; %bb.2223:
	s_or_b64 exec, exec, s[8:9]
	s_and_b64 s[4:5], s[4:5], exec
	s_or_saveexec_b64 s[6:7], s[6:7]
	v_mov_b32_e32 v10, s10
	s_xor_b64 exec, exec, s[6:7]
	s_cbranch_execz .LBB14_174
.LBB14_2224:
	v_mov_b32_e32 v10, 0
	v_cmp_ne_u16_sdwa s[8:9], v6, v10 src0_sel:BYTE_0 src1_sel:DWORD
	s_andn2_b64 s[4:5], s[4:5], exec
	s_and_b64 s[8:9], s[8:9], exec
	s_or_b64 s[4:5], s[4:5], s[8:9]
	s_or_b64 exec, exec, s[6:7]
	s_and_saveexec_b64 s[6:7], s[4:5]
	s_cbranch_execnz .LBB14_175
	s_branch .LBB14_176
.LBB14_2225:
	s_movk_i32 s4, 0x80
	v_cmp_eq_u16_e32 vcc, s4, v6
	s_mov_b64 s[4:5], -1
                                        ; implicit-def: $sgpr10
	s_and_saveexec_b64 s[8:9], vcc
; %bb.2226:
	s_mov_b32 s10, 0x7f800001
	s_xor_b64 s[4:5], exec, -1
; %bb.2227:
	s_or_b64 exec, exec, s[8:9]
	s_and_b64 s[4:5], s[4:5], exec
                                        ; implicit-def: $vgpr6
	s_or_saveexec_b64 s[6:7], s[6:7]
	v_mov_b32_e32 v2, s10
	s_xor_b64 exec, exec, s[6:7]
	s_cbranch_execz .LBB14_178
.LBB14_2228:
	v_cmp_ne_u16_e32 vcc, 0, v6
	s_andn2_b64 s[4:5], s[4:5], exec
	s_and_b64 s[8:9], vcc, exec
	v_mov_b32_e32 v2, 0
	s_or_b64 s[4:5], s[4:5], s[8:9]
	s_or_b64 exec, exec, s[6:7]
	s_and_saveexec_b64 s[6:7], s[4:5]
	s_cbranch_execnz .LBB14_179
	s_branch .LBB14_180
.LBB14_2229:
	s_movk_i32 s4, 0x80
	v_cmp_eq_u16_e32 vcc, s4, v6
	s_mov_b64 s[4:5], -1
                                        ; implicit-def: $sgpr10
	s_and_saveexec_b64 s[8:9], vcc
; %bb.2230:
	s_mov_b32 s10, 0x7f800001
	s_xor_b64 s[4:5], exec, -1
; %bb.2231:
	s_or_b64 exec, exec, s[8:9]
	s_and_b64 s[4:5], s[4:5], exec
                                        ; implicit-def: $vgpr6
	s_or_saveexec_b64 s[6:7], s[6:7]
	v_mov_b32_e32 v10, s10
	s_xor_b64 exec, exec, s[6:7]
	s_cbranch_execz .LBB14_182
.LBB14_2232:
	v_cmp_ne_u16_e32 vcc, 0, v6
	s_andn2_b64 s[4:5], s[4:5], exec
	s_and_b64 s[8:9], vcc, exec
	v_mov_b32_e32 v10, 0
	s_or_b64 s[4:5], s[4:5], s[8:9]
	s_or_b64 exec, exec, s[6:7]
	s_and_saveexec_b64 s[6:7], s[4:5]
	s_cbranch_execnz .LBB14_183
	s_branch .LBB14_184
.LBB14_2233:
	s_movk_i32 s4, 0x80
	v_cmp_eq_u16_sdwa s[12:13], v7, s4 src0_sel:BYTE_3 src1_sel:DWORD
	s_mov_b64 s[4:5], -1
                                        ; implicit-def: $sgpr10
	s_and_saveexec_b64 s[8:9], s[12:13]
; %bb.2234:
	s_mov_b32 s10, 0x7f800001
	s_xor_b64 s[4:5], exec, -1
; %bb.2235:
	s_or_b64 exec, exec, s[8:9]
	s_and_b64 s[4:5], s[4:5], exec
	s_or_saveexec_b64 s[6:7], s[6:7]
	v_mov_b32_e32 v2, s10
	s_xor_b64 exec, exec, s[6:7]
	s_cbranch_execz .LBB14_186
.LBB14_2236:
	v_mov_b32_e32 v2, 0
	v_cmp_ne_u16_sdwa s[8:9], v7, v2 src0_sel:BYTE_3 src1_sel:DWORD
	s_andn2_b64 s[4:5], s[4:5], exec
	s_and_b64 s[8:9], s[8:9], exec
	s_or_b64 s[4:5], s[4:5], s[8:9]
	s_or_b64 exec, exec, s[6:7]
	s_and_saveexec_b64 s[6:7], s[4:5]
	s_cbranch_execnz .LBB14_187
	s_branch .LBB14_188
.LBB14_2237:
	s_movk_i32 s4, 0x80
	v_cmp_eq_u16_sdwa s[12:13], v3, s4 src0_sel:BYTE_3 src1_sel:DWORD
	s_mov_b64 s[4:5], -1
                                        ; implicit-def: $sgpr10
	s_and_saveexec_b64 s[8:9], s[12:13]
; %bb.2238:
	s_mov_b32 s10, 0x7f800001
	s_xor_b64 s[4:5], exec, -1
; %bb.2239:
	s_or_b64 exec, exec, s[8:9]
	s_and_b64 s[4:5], s[4:5], exec
	s_or_saveexec_b64 s[6:7], s[6:7]
	v_mov_b32_e32 v6, s10
	s_xor_b64 exec, exec, s[6:7]
	s_cbranch_execz .LBB14_190
.LBB14_2240:
	v_mov_b32_e32 v6, 0
	v_cmp_ne_u16_sdwa s[8:9], v3, v6 src0_sel:BYTE_3 src1_sel:DWORD
	s_andn2_b64 s[4:5], s[4:5], exec
	s_and_b64 s[8:9], s[8:9], exec
	s_or_b64 s[4:5], s[4:5], s[8:9]
	s_or_b64 exec, exec, s[6:7]
	s_and_saveexec_b64 s[6:7], s[4:5]
	s_cbranch_execnz .LBB14_191
	s_branch .LBB14_192
.LBB14_2241:
	s_movk_i32 s4, 0x80
	v_cmp_eq_u16_sdwa s[12:13], v8, s4 src0_sel:BYTE_0 src1_sel:DWORD
	s_mov_b64 s[4:5], -1
                                        ; implicit-def: $sgpr10
	s_and_saveexec_b64 s[8:9], s[12:13]
; %bb.2242:
	s_mov_b32 s10, 0x7f800001
	s_xor_b64 s[4:5], exec, -1
; %bb.2243:
	s_or_b64 exec, exec, s[8:9]
	s_and_b64 s[4:5], s[4:5], exec
	s_or_saveexec_b64 s[6:7], s[6:7]
	v_mov_b32_e32 v2, s10
	s_xor_b64 exec, exec, s[6:7]
	s_cbranch_execz .LBB14_194
.LBB14_2244:
	v_mov_b32_e32 v2, 0
	v_cmp_ne_u16_sdwa s[8:9], v8, v2 src0_sel:BYTE_0 src1_sel:DWORD
	s_andn2_b64 s[4:5], s[4:5], exec
	s_and_b64 s[8:9], s[8:9], exec
	s_or_b64 s[4:5], s[4:5], s[8:9]
	s_or_b64 exec, exec, s[6:7]
	s_and_saveexec_b64 s[6:7], s[4:5]
	s_cbranch_execnz .LBB14_195
	s_branch .LBB14_196
.LBB14_2245:
	s_movk_i32 s4, 0x80
	v_cmp_eq_u16_sdwa s[12:13], v4, s4 src0_sel:BYTE_0 src1_sel:DWORD
	s_mov_b64 s[4:5], -1
                                        ; implicit-def: $sgpr10
	s_and_saveexec_b64 s[8:9], s[12:13]
; %bb.2246:
	s_mov_b32 s10, 0x7f800001
	s_xor_b64 s[4:5], exec, -1
; %bb.2247:
	s_or_b64 exec, exec, s[8:9]
	s_and_b64 s[4:5], s[4:5], exec
	s_or_saveexec_b64 s[6:7], s[6:7]
	v_mov_b32_e32 v3, s10
	s_xor_b64 exec, exec, s[6:7]
	s_cbranch_execz .LBB14_198
.LBB14_2248:
	v_mov_b32_e32 v3, 0
	v_cmp_ne_u16_sdwa s[8:9], v4, v3 src0_sel:BYTE_0 src1_sel:DWORD
	s_andn2_b64 s[4:5], s[4:5], exec
	s_and_b64 s[8:9], s[8:9], exec
	s_or_b64 s[4:5], s[4:5], s[8:9]
	s_or_b64 exec, exec, s[6:7]
	s_and_saveexec_b64 s[6:7], s[4:5]
	s_cbranch_execnz .LBB14_199
	s_branch .LBB14_200
.LBB14_2249:
	s_movk_i32 s4, 0x80
	v_cmp_eq_u16_sdwa s[12:13], v3, s4 src0_sel:BYTE_0 src1_sel:DWORD
	s_mov_b64 s[4:5], -1
                                        ; implicit-def: $sgpr10
	s_and_saveexec_b64 s[8:9], s[12:13]
; %bb.2250:
	s_mov_b32 s10, 0x7f800001
	s_xor_b64 s[4:5], exec, -1
; %bb.2251:
	s_or_b64 exec, exec, s[8:9]
	s_and_b64 s[4:5], s[4:5], exec
	s_or_saveexec_b64 s[6:7], s[6:7]
	v_mov_b32_e32 v2, s10
	s_xor_b64 exec, exec, s[6:7]
	s_cbranch_execz .LBB14_202
.LBB14_2252:
	v_mov_b32_e32 v2, 0
	v_cmp_ne_u16_sdwa s[8:9], v3, v2 src0_sel:BYTE_0 src1_sel:DWORD
	s_andn2_b64 s[4:5], s[4:5], exec
	s_and_b64 s[8:9], s[8:9], exec
	s_or_b64 s[4:5], s[4:5], s[8:9]
	s_or_b64 exec, exec, s[6:7]
	s_and_saveexec_b64 s[6:7], s[4:5]
	s_cbranch_execnz .LBB14_203
	s_branch .LBB14_204
.LBB14_2253:
	s_movk_i32 s4, 0x80
	v_cmp_eq_u16_sdwa s[12:13], v3, s4 src0_sel:BYTE_0 src1_sel:DWORD
	s_mov_b64 s[4:5], -1
                                        ; implicit-def: $sgpr10
	s_and_saveexec_b64 s[8:9], s[12:13]
; %bb.2254:
	s_mov_b32 s10, 0x7f800001
	s_xor_b64 s[4:5], exec, -1
; %bb.2255:
	s_or_b64 exec, exec, s[8:9]
	s_and_b64 s[4:5], s[4:5], exec
	s_or_saveexec_b64 s[6:7], s[6:7]
	v_mov_b32_e32 v6, s10
	s_xor_b64 exec, exec, s[6:7]
	s_cbranch_execz .LBB14_206
.LBB14_2256:
	v_mov_b32_e32 v6, 0
	v_cmp_ne_u16_sdwa s[8:9], v3, v6 src0_sel:BYTE_0 src1_sel:DWORD
	s_andn2_b64 s[4:5], s[4:5], exec
	s_and_b64 s[8:9], s[8:9], exec
	s_or_b64 s[4:5], s[4:5], s[8:9]
	s_or_b64 exec, exec, s[6:7]
	s_and_saveexec_b64 s[6:7], s[4:5]
	s_cbranch_execnz .LBB14_207
	s_branch .LBB14_208
.LBB14_2257:
	s_movk_i32 s4, 0x80
	v_cmp_eq_u16_e32 vcc, s4, v3
	s_mov_b64 s[4:5], -1
                                        ; implicit-def: $sgpr10
	s_and_saveexec_b64 s[8:9], vcc
; %bb.2258:
	s_mov_b32 s10, 0x7f800001
	s_xor_b64 s[4:5], exec, -1
; %bb.2259:
	s_or_b64 exec, exec, s[8:9]
	s_and_b64 s[4:5], s[4:5], exec
                                        ; implicit-def: $vgpr3
	s_or_saveexec_b64 s[6:7], s[6:7]
	v_mov_b32_e32 v2, s10
	s_xor_b64 exec, exec, s[6:7]
	s_cbranch_execz .LBB14_210
.LBB14_2260:
	v_cmp_ne_u16_e32 vcc, 0, v3
	s_andn2_b64 s[4:5], s[4:5], exec
	s_and_b64 s[8:9], vcc, exec
	v_mov_b32_e32 v2, 0
	s_or_b64 s[4:5], s[4:5], s[8:9]
	s_or_b64 exec, exec, s[6:7]
	s_and_saveexec_b64 s[6:7], s[4:5]
	s_cbranch_execnz .LBB14_211
	s_branch .LBB14_212
.LBB14_2261:
	s_movk_i32 s4, 0x80
	v_cmp_eq_u16_e32 vcc, s4, v3
	s_mov_b64 s[4:5], -1
                                        ; implicit-def: $sgpr10
	s_and_saveexec_b64 s[8:9], vcc
; %bb.2262:
	s_mov_b32 s10, 0x7f800001
	s_xor_b64 s[4:5], exec, -1
; %bb.2263:
	s_or_b64 exec, exec, s[8:9]
	s_and_b64 s[4:5], s[4:5], exec
                                        ; implicit-def: $vgpr3
	s_or_saveexec_b64 s[6:7], s[6:7]
	v_mov_b32_e32 v6, s10
	s_xor_b64 exec, exec, s[6:7]
	s_cbranch_execz .LBB14_214
.LBB14_2264:
	v_cmp_ne_u16_e32 vcc, 0, v3
	s_andn2_b64 s[4:5], s[4:5], exec
	s_and_b64 s[8:9], vcc, exec
	v_mov_b32_e32 v6, 0
	s_or_b64 s[4:5], s[4:5], s[8:9]
	s_or_b64 exec, exec, s[6:7]
	s_and_saveexec_b64 s[6:7], s[4:5]
	s_cbranch_execnz .LBB14_215
	s_branch .LBB14_216
.LBB14_2265:
	s_movk_i32 s4, 0x80
	v_cmp_eq_u16_sdwa s[12:13], v8, s4 src0_sel:BYTE_3 src1_sel:DWORD
	s_mov_b64 s[4:5], -1
                                        ; implicit-def: $sgpr10
	s_and_saveexec_b64 s[8:9], s[12:13]
; %bb.2266:
	s_mov_b32 s10, 0x7f800001
	s_xor_b64 s[4:5], exec, -1
; %bb.2267:
	s_or_b64 exec, exec, s[8:9]
	s_and_b64 s[4:5], s[4:5], exec
	s_or_saveexec_b64 s[6:7], s[6:7]
	v_mov_b32_e32 v2, s10
	s_xor_b64 exec, exec, s[6:7]
	s_cbranch_execz .LBB14_218
.LBB14_2268:
	v_mov_b32_e32 v2, 0
	v_cmp_ne_u16_sdwa s[8:9], v8, v2 src0_sel:BYTE_3 src1_sel:DWORD
	s_andn2_b64 s[4:5], s[4:5], exec
	s_and_b64 s[8:9], s[8:9], exec
	s_or_b64 s[4:5], s[4:5], s[8:9]
	s_or_b64 exec, exec, s[6:7]
	s_and_saveexec_b64 s[6:7], s[4:5]
	s_cbranch_execnz .LBB14_219
	s_branch .LBB14_220
.LBB14_2269:
	s_movk_i32 s4, 0x80
	v_cmp_eq_u16_sdwa s[12:13], v4, s4 src0_sel:BYTE_3 src1_sel:DWORD
	s_mov_b64 s[4:5], -1
                                        ; implicit-def: $sgpr10
	s_and_saveexec_b64 s[8:9], s[12:13]
; %bb.2270:
	s_mov_b32 s10, 0x7f800001
	s_xor_b64 s[4:5], exec, -1
; %bb.2271:
	s_or_b64 exec, exec, s[8:9]
	s_and_b64 s[4:5], s[4:5], exec
	s_or_saveexec_b64 s[6:7], s[6:7]
	v_mov_b32_e32 v3, s10
	s_xor_b64 exec, exec, s[6:7]
	s_cbranch_execz .LBB14_222
.LBB14_2272:
	v_mov_b32_e32 v3, 0
	v_cmp_ne_u16_sdwa s[8:9], v4, v3 src0_sel:BYTE_3 src1_sel:DWORD
	s_andn2_b64 s[4:5], s[4:5], exec
	s_and_b64 s[8:9], s[8:9], exec
	s_or_b64 s[4:5], s[4:5], s[8:9]
	s_or_b64 exec, exec, s[6:7]
	s_and_saveexec_b64 s[6:7], s[4:5]
	s_cbranch_execnz .LBB14_223
	s_branch .LBB14_224
.LBB14_2273:
	s_movk_i32 s4, 0x80
	v_cmp_eq_u16_sdwa s[12:13], v9, s4 src0_sel:BYTE_0 src1_sel:DWORD
	s_mov_b64 s[4:5], -1
                                        ; implicit-def: $sgpr10
	s_and_saveexec_b64 s[8:9], s[12:13]
; %bb.2274:
	s_mov_b32 s10, 0x7f800001
	s_xor_b64 s[4:5], exec, -1
; %bb.2275:
	s_or_b64 exec, exec, s[8:9]
	s_and_b64 s[4:5], s[4:5], exec
	s_or_saveexec_b64 s[6:7], s[6:7]
	v_mov_b32_e32 v2, s10
	s_xor_b64 exec, exec, s[6:7]
	s_cbranch_execz .LBB14_226
.LBB14_2276:
	v_mov_b32_e32 v2, 0
	v_cmp_ne_u16_sdwa s[8:9], v9, v2 src0_sel:BYTE_0 src1_sel:DWORD
	s_andn2_b64 s[4:5], s[4:5], exec
	s_and_b64 s[8:9], s[8:9], exec
	s_or_b64 s[4:5], s[4:5], s[8:9]
	s_or_b64 exec, exec, s[6:7]
	s_and_saveexec_b64 s[6:7], s[4:5]
	s_cbranch_execnz .LBB14_227
	s_branch .LBB14_228
.LBB14_2277:
	s_movk_i32 s4, 0x80
	v_cmp_eq_u16_sdwa s[12:13], v5, s4 src0_sel:BYTE_0 src1_sel:DWORD
	s_mov_b64 s[4:5], -1
                                        ; implicit-def: $sgpr10
	s_and_saveexec_b64 s[8:9], s[12:13]
; %bb.2278:
	s_mov_b32 s10, 0x7f800001
	s_xor_b64 s[4:5], exec, -1
; %bb.2279:
	s_or_b64 exec, exec, s[8:9]
	s_and_b64 s[4:5], s[4:5], exec
	s_or_saveexec_b64 s[6:7], s[6:7]
	v_mov_b32_e32 v3, s10
	s_xor_b64 exec, exec, s[6:7]
	s_cbranch_execz .LBB14_230
.LBB14_2280:
	v_mov_b32_e32 v3, 0
	v_cmp_ne_u16_sdwa s[8:9], v5, v3 src0_sel:BYTE_0 src1_sel:DWORD
	s_andn2_b64 s[4:5], s[4:5], exec
	s_and_b64 s[8:9], s[8:9], exec
	s_or_b64 s[4:5], s[4:5], s[8:9]
	s_or_b64 exec, exec, s[6:7]
	s_and_saveexec_b64 s[6:7], s[4:5]
	s_cbranch_execnz .LBB14_231
	s_branch .LBB14_232
.LBB14_2281:
	s_movk_i32 s4, 0x80
	v_cmp_eq_u16_sdwa s[12:13], v3, s4 src0_sel:BYTE_0 src1_sel:DWORD
	s_mov_b64 s[4:5], -1
                                        ; implicit-def: $sgpr10
	s_and_saveexec_b64 s[8:9], s[12:13]
; %bb.2282:
	s_mov_b32 s10, 0x7f800001
	s_xor_b64 s[4:5], exec, -1
; %bb.2283:
	s_or_b64 exec, exec, s[8:9]
	s_and_b64 s[4:5], s[4:5], exec
	s_or_saveexec_b64 s[6:7], s[6:7]
	v_mov_b32_e32 v2, s10
	s_xor_b64 exec, exec, s[6:7]
	s_cbranch_execz .LBB14_234
.LBB14_2284:
	v_mov_b32_e32 v2, 0
	v_cmp_ne_u16_sdwa s[8:9], v3, v2 src0_sel:BYTE_0 src1_sel:DWORD
	s_andn2_b64 s[4:5], s[4:5], exec
	s_and_b64 s[8:9], s[8:9], exec
	s_or_b64 s[4:5], s[4:5], s[8:9]
	s_or_b64 exec, exec, s[6:7]
	s_and_saveexec_b64 s[6:7], s[4:5]
	s_cbranch_execnz .LBB14_235
	s_branch .LBB14_236
.LBB14_2285:
	s_movk_i32 s4, 0x80
	v_cmp_eq_u16_sdwa s[12:13], v3, s4 src0_sel:BYTE_0 src1_sel:DWORD
	s_mov_b64 s[4:5], -1
                                        ; implicit-def: $sgpr10
	s_and_saveexec_b64 s[8:9], s[12:13]
; %bb.2286:
	s_mov_b32 s10, 0x7f800001
	s_xor_b64 s[4:5], exec, -1
; %bb.2287:
	s_or_b64 exec, exec, s[8:9]
	s_and_b64 s[4:5], s[4:5], exec
	s_or_saveexec_b64 s[6:7], s[6:7]
	v_mov_b32_e32 v4, s10
	s_xor_b64 exec, exec, s[6:7]
	s_cbranch_execz .LBB14_238
.LBB14_2288:
	v_mov_b32_e32 v4, 0
	v_cmp_ne_u16_sdwa s[8:9], v3, v4 src0_sel:BYTE_0 src1_sel:DWORD
	s_andn2_b64 s[4:5], s[4:5], exec
	s_and_b64 s[8:9], s[8:9], exec
	s_or_b64 s[4:5], s[4:5], s[8:9]
	s_or_b64 exec, exec, s[6:7]
	s_and_saveexec_b64 s[6:7], s[4:5]
	s_cbranch_execnz .LBB14_239
	s_branch .LBB14_240
.LBB14_2289:
	s_movk_i32 s4, 0x80
	v_cmp_eq_u16_e32 vcc, s4, v3
	s_mov_b64 s[4:5], -1
                                        ; implicit-def: $sgpr10
	s_and_saveexec_b64 s[8:9], vcc
; %bb.2290:
	s_mov_b32 s10, 0x7f800001
	s_xor_b64 s[4:5], exec, -1
; %bb.2291:
	s_or_b64 exec, exec, s[8:9]
	s_and_b64 s[4:5], s[4:5], exec
                                        ; implicit-def: $vgpr3
	s_or_saveexec_b64 s[6:7], s[6:7]
	v_mov_b32_e32 v2, s10
	s_xor_b64 exec, exec, s[6:7]
	s_cbranch_execz .LBB14_242
.LBB14_2292:
	v_cmp_ne_u16_e32 vcc, 0, v3
	s_andn2_b64 s[4:5], s[4:5], exec
	s_and_b64 s[8:9], vcc, exec
	v_mov_b32_e32 v2, 0
	s_or_b64 s[4:5], s[4:5], s[8:9]
	s_or_b64 exec, exec, s[6:7]
	s_and_saveexec_b64 s[6:7], s[4:5]
	s_cbranch_execnz .LBB14_243
	s_branch .LBB14_244
.LBB14_2293:
	s_movk_i32 s4, 0x80
	v_cmp_eq_u16_e32 vcc, s4, v3
	s_mov_b64 s[4:5], -1
                                        ; implicit-def: $sgpr10
	s_and_saveexec_b64 s[8:9], vcc
; %bb.2294:
	s_mov_b32 s10, 0x7f800001
	s_xor_b64 s[4:5], exec, -1
; %bb.2295:
	s_or_b64 exec, exec, s[8:9]
	s_and_b64 s[4:5], s[4:5], exec
                                        ; implicit-def: $vgpr3
	s_or_saveexec_b64 s[6:7], s[6:7]
	v_mov_b32_e32 v4, s10
	s_xor_b64 exec, exec, s[6:7]
	s_cbranch_execz .LBB14_246
.LBB14_2296:
	v_cmp_ne_u16_e32 vcc, 0, v3
	s_andn2_b64 s[4:5], s[4:5], exec
	s_and_b64 s[8:9], vcc, exec
	v_mov_b32_e32 v4, 0
	s_or_b64 s[4:5], s[4:5], s[8:9]
	s_or_b64 exec, exec, s[6:7]
	s_and_saveexec_b64 s[6:7], s[4:5]
	s_cbranch_execnz .LBB14_247
	s_branch .LBB14_248
.LBB14_2297:
	s_movk_i32 s4, 0x80
	v_cmp_eq_u16_sdwa s[12:13], v9, s4 src0_sel:BYTE_3 src1_sel:DWORD
	s_mov_b64 s[4:5], -1
                                        ; implicit-def: $sgpr10
	s_and_saveexec_b64 s[8:9], s[12:13]
; %bb.2298:
	s_mov_b32 s10, 0x7f800001
	s_xor_b64 s[4:5], exec, -1
; %bb.2299:
	s_or_b64 exec, exec, s[8:9]
	s_and_b64 s[4:5], s[4:5], exec
	s_or_saveexec_b64 s[6:7], s[6:7]
	v_mov_b32_e32 v2, s10
	s_xor_b64 exec, exec, s[6:7]
	s_cbranch_execz .LBB14_250
.LBB14_2300:
	v_mov_b32_e32 v2, 0
	v_cmp_ne_u16_sdwa s[8:9], v9, v2 src0_sel:BYTE_3 src1_sel:DWORD
	s_andn2_b64 s[4:5], s[4:5], exec
	s_and_b64 s[8:9], s[8:9], exec
	s_or_b64 s[4:5], s[4:5], s[8:9]
	s_or_b64 exec, exec, s[6:7]
	s_and_saveexec_b64 s[6:7], s[4:5]
	s_cbranch_execnz .LBB14_251
	s_branch .LBB14_252
.LBB14_2301:
	s_movk_i32 s4, 0x80
	v_cmp_eq_u16_sdwa s[12:13], v5, s4 src0_sel:BYTE_3 src1_sel:DWORD
	s_mov_b64 s[4:5], -1
                                        ; implicit-def: $sgpr10
	s_and_saveexec_b64 s[8:9], s[12:13]
; %bb.2302:
	s_mov_b32 s10, 0x7f800001
	s_xor_b64 s[4:5], exec, -1
; %bb.2303:
	s_or_b64 exec, exec, s[8:9]
	s_and_b64 s[4:5], s[4:5], exec
	s_or_saveexec_b64 s[6:7], s[6:7]
	v_mov_b32_e32 v3, s10
	s_xor_b64 exec, exec, s[6:7]
	s_cbranch_execz .LBB14_254
.LBB14_2304:
	v_mov_b32_e32 v3, 0
	v_cmp_ne_u16_sdwa s[8:9], v5, v3 src0_sel:BYTE_3 src1_sel:DWORD
	s_andn2_b64 s[4:5], s[4:5], exec
	s_and_b64 s[8:9], s[8:9], exec
	s_or_b64 s[4:5], s[4:5], s[8:9]
	s_or_b64 exec, exec, s[6:7]
	s_and_saveexec_b64 s[6:7], s[4:5]
	s_cbranch_execnz .LBB14_255
	s_branch .LBB14_256
.LBB14_2305:
	s_movk_i32 s4, 0x80
	v_cmp_eq_u16_sdwa s[12:13], v14, s4 src0_sel:BYTE_0 src1_sel:DWORD
	s_mov_b64 s[4:5], -1
                                        ; implicit-def: $sgpr10
	s_and_saveexec_b64 s[8:9], s[12:13]
; %bb.2306:
	s_mov_b32 s10, 0x7f800001
	s_xor_b64 s[4:5], exec, -1
; %bb.2307:
	s_or_b64 exec, exec, s[8:9]
	s_and_b64 s[4:5], s[4:5], exec
	s_or_saveexec_b64 s[6:7], s[6:7]
	v_mov_b32_e32 v20, s10
	s_xor_b64 exec, exec, s[6:7]
	s_cbranch_execz .LBB14_258
.LBB14_2308:
	v_mov_b32_e32 v20, 0
	v_cmp_ne_u16_sdwa s[8:9], v14, v20 src0_sel:BYTE_0 src1_sel:DWORD
	s_andn2_b64 s[4:5], s[4:5], exec
	s_and_b64 s[8:9], s[8:9], exec
	s_or_b64 s[4:5], s[4:5], s[8:9]
	s_or_b64 exec, exec, s[6:7]
	s_and_saveexec_b64 s[6:7], s[4:5]
	s_cbranch_execnz .LBB14_259
	s_branch .LBB14_260
.LBB14_2309:
	s_movk_i32 s4, 0x80
	v_cmp_eq_u16_sdwa s[12:13], v10, s4 src0_sel:BYTE_0 src1_sel:DWORD
	s_mov_b64 s[4:5], -1
                                        ; implicit-def: $sgpr10
	s_and_saveexec_b64 s[8:9], s[12:13]
; %bb.2310:
	s_mov_b32 s10, 0x7f800001
	s_xor_b64 s[4:5], exec, -1
; %bb.2311:
	s_or_b64 exec, exec, s[8:9]
	s_and_b64 s[4:5], s[4:5], exec
	s_or_saveexec_b64 s[6:7], s[6:7]
	v_mov_b32_e32 v21, s10
	s_xor_b64 exec, exec, s[6:7]
	s_cbranch_execz .LBB14_262
.LBB14_2312:
	v_mov_b32_e32 v21, 0
	v_cmp_ne_u16_sdwa s[8:9], v10, v21 src0_sel:BYTE_0 src1_sel:DWORD
	s_andn2_b64 s[4:5], s[4:5], exec
	s_and_b64 s[8:9], s[8:9], exec
	s_or_b64 s[4:5], s[4:5], s[8:9]
	s_or_b64 exec, exec, s[6:7]
	s_and_saveexec_b64 s[6:7], s[4:5]
	s_cbranch_execnz .LBB14_263
	s_branch .LBB14_264
.LBB14_2313:
	s_movk_i32 s4, 0x80
	v_cmp_eq_u16_sdwa s[12:13], v21, s4 src0_sel:BYTE_0 src1_sel:DWORD
	s_mov_b64 s[4:5], -1
                                        ; implicit-def: $sgpr10
	s_and_saveexec_b64 s[8:9], s[12:13]
; %bb.2314:
	s_mov_b32 s10, 0x7f800001
	s_xor_b64 s[4:5], exec, -1
; %bb.2315:
	s_or_b64 exec, exec, s[8:9]
	s_and_b64 s[4:5], s[4:5], exec
	s_or_saveexec_b64 s[6:7], s[6:7]
	v_mov_b32_e32 v20, s10
	s_xor_b64 exec, exec, s[6:7]
	s_cbranch_execz .LBB14_266
.LBB14_2316:
	v_mov_b32_e32 v20, 0
	v_cmp_ne_u16_sdwa s[8:9], v21, v20 src0_sel:BYTE_0 src1_sel:DWORD
	s_andn2_b64 s[4:5], s[4:5], exec
	s_and_b64 s[8:9], s[8:9], exec
	s_or_b64 s[4:5], s[4:5], s[8:9]
	s_or_b64 exec, exec, s[6:7]
	s_and_saveexec_b64 s[6:7], s[4:5]
	s_cbranch_execnz .LBB14_267
	s_branch .LBB14_268
.LBB14_2317:
	s_movk_i32 s4, 0x80
	v_cmp_eq_u16_sdwa s[12:13], v21, s4 src0_sel:BYTE_0 src1_sel:DWORD
	s_mov_b64 s[4:5], -1
                                        ; implicit-def: $sgpr10
	s_and_saveexec_b64 s[8:9], s[12:13]
; %bb.2318:
	s_mov_b32 s10, 0x7f800001
	s_xor_b64 s[4:5], exec, -1
; %bb.2319:
	s_or_b64 exec, exec, s[8:9]
	s_and_b64 s[4:5], s[4:5], exec
	s_or_saveexec_b64 s[6:7], s[6:7]
	v_mov_b32_e32 v22, s10
	s_xor_b64 exec, exec, s[6:7]
	s_cbranch_execz .LBB14_270
.LBB14_2320:
	v_mov_b32_e32 v22, 0
	v_cmp_ne_u16_sdwa s[8:9], v21, v22 src0_sel:BYTE_0 src1_sel:DWORD
	s_andn2_b64 s[4:5], s[4:5], exec
	s_and_b64 s[8:9], s[8:9], exec
	s_or_b64 s[4:5], s[4:5], s[8:9]
	s_or_b64 exec, exec, s[6:7]
	s_and_saveexec_b64 s[6:7], s[4:5]
	s_cbranch_execnz .LBB14_271
	s_branch .LBB14_272
.LBB14_2321:
	s_movk_i32 s4, 0x80
	v_cmp_eq_u16_e32 vcc, s4, v21
	s_mov_b64 s[4:5], -1
                                        ; implicit-def: $sgpr10
	s_and_saveexec_b64 s[8:9], vcc
; %bb.2322:
	s_mov_b32 s10, 0x7f800001
	s_xor_b64 s[4:5], exec, -1
; %bb.2323:
	s_or_b64 exec, exec, s[8:9]
	s_and_b64 s[4:5], s[4:5], exec
                                        ; implicit-def: $vgpr21
	s_or_saveexec_b64 s[6:7], s[6:7]
	v_mov_b32_e32 v20, s10
	s_xor_b64 exec, exec, s[6:7]
	s_cbranch_execz .LBB14_274
.LBB14_2324:
	v_cmp_ne_u16_e32 vcc, 0, v21
	s_andn2_b64 s[4:5], s[4:5], exec
	s_and_b64 s[8:9], vcc, exec
	v_mov_b32_e32 v20, 0
	s_or_b64 s[4:5], s[4:5], s[8:9]
	s_or_b64 exec, exec, s[6:7]
	s_and_saveexec_b64 s[6:7], s[4:5]
	s_cbranch_execnz .LBB14_275
	s_branch .LBB14_276
.LBB14_2325:
	s_movk_i32 s4, 0x80
	v_cmp_eq_u16_e32 vcc, s4, v21
	s_mov_b64 s[4:5], -1
                                        ; implicit-def: $sgpr10
	s_and_saveexec_b64 s[8:9], vcc
; %bb.2326:
	s_mov_b32 s10, 0x7f800001
	s_xor_b64 s[4:5], exec, -1
; %bb.2327:
	s_or_b64 exec, exec, s[8:9]
	s_and_b64 s[4:5], s[4:5], exec
                                        ; implicit-def: $vgpr21
	s_or_saveexec_b64 s[6:7], s[6:7]
	v_mov_b32_e32 v22, s10
	s_xor_b64 exec, exec, s[6:7]
	s_cbranch_execz .LBB14_278
.LBB14_2328:
	v_cmp_ne_u16_e32 vcc, 0, v21
	s_andn2_b64 s[4:5], s[4:5], exec
	s_and_b64 s[8:9], vcc, exec
	v_mov_b32_e32 v22, 0
	s_or_b64 s[4:5], s[4:5], s[8:9]
	s_or_b64 exec, exec, s[6:7]
	s_and_saveexec_b64 s[6:7], s[4:5]
	s_cbranch_execnz .LBB14_279
	s_branch .LBB14_280
.LBB14_2329:
	s_movk_i32 s4, 0x80
	v_cmp_eq_u16_sdwa s[12:13], v14, s4 src0_sel:BYTE_3 src1_sel:DWORD
	s_mov_b64 s[4:5], -1
                                        ; implicit-def: $sgpr10
	s_and_saveexec_b64 s[8:9], s[12:13]
; %bb.2330:
	s_mov_b32 s10, 0x7f800001
	s_xor_b64 s[4:5], exec, -1
; %bb.2331:
	s_or_b64 exec, exec, s[8:9]
	s_and_b64 s[4:5], s[4:5], exec
	s_or_saveexec_b64 s[6:7], s[6:7]
	v_mov_b32_e32 v20, s10
	s_xor_b64 exec, exec, s[6:7]
	s_cbranch_execz .LBB14_282
.LBB14_2332:
	v_mov_b32_e32 v20, 0
	v_cmp_ne_u16_sdwa s[8:9], v14, v20 src0_sel:BYTE_3 src1_sel:DWORD
	s_andn2_b64 s[4:5], s[4:5], exec
	s_and_b64 s[8:9], s[8:9], exec
	s_or_b64 s[4:5], s[4:5], s[8:9]
	s_or_b64 exec, exec, s[6:7]
	s_and_saveexec_b64 s[6:7], s[4:5]
	s_cbranch_execnz .LBB14_283
	s_branch .LBB14_284
.LBB14_2333:
	s_movk_i32 s4, 0x80
	v_cmp_eq_u16_sdwa s[12:13], v10, s4 src0_sel:BYTE_3 src1_sel:DWORD
	s_mov_b64 s[4:5], -1
                                        ; implicit-def: $sgpr10
	s_and_saveexec_b64 s[8:9], s[12:13]
; %bb.2334:
	s_mov_b32 s10, 0x7f800001
	s_xor_b64 s[4:5], exec, -1
; %bb.2335:
	s_or_b64 exec, exec, s[8:9]
	s_and_b64 s[4:5], s[4:5], exec
	s_or_saveexec_b64 s[6:7], s[6:7]
	v_mov_b32_e32 v14, s10
	s_xor_b64 exec, exec, s[6:7]
	s_cbranch_execz .LBB14_286
.LBB14_2336:
	v_mov_b32_e32 v14, 0
	v_cmp_ne_u16_sdwa s[8:9], v10, v14 src0_sel:BYTE_3 src1_sel:DWORD
	s_andn2_b64 s[4:5], s[4:5], exec
	s_and_b64 s[8:9], s[8:9], exec
	s_or_b64 s[4:5], s[4:5], s[8:9]
	s_or_b64 exec, exec, s[6:7]
	s_and_saveexec_b64 s[6:7], s[4:5]
	s_cbranch_execnz .LBB14_287
	s_branch .LBB14_288
.LBB14_2337:
	s_movk_i32 s4, 0x80
	v_cmp_eq_u16_sdwa s[12:13], v15, s4 src0_sel:BYTE_0 src1_sel:DWORD
	s_mov_b64 s[4:5], -1
                                        ; implicit-def: $sgpr10
	s_and_saveexec_b64 s[8:9], s[12:13]
; %bb.2338:
	s_mov_b32 s10, 0x7f800001
	s_xor_b64 s[4:5], exec, -1
; %bb.2339:
	s_or_b64 exec, exec, s[8:9]
	s_and_b64 s[4:5], s[4:5], exec
	s_or_saveexec_b64 s[6:7], s[6:7]
	v_mov_b32_e32 v10, s10
	s_xor_b64 exec, exec, s[6:7]
	s_cbranch_execz .LBB14_290
.LBB14_2340:
	v_mov_b32_e32 v10, 0
	v_cmp_ne_u16_sdwa s[8:9], v15, v10 src0_sel:BYTE_0 src1_sel:DWORD
	s_andn2_b64 s[4:5], s[4:5], exec
	s_and_b64 s[8:9], s[8:9], exec
	s_or_b64 s[4:5], s[4:5], s[8:9]
	s_or_b64 exec, exec, s[6:7]
	s_and_saveexec_b64 s[6:7], s[4:5]
	s_cbranch_execnz .LBB14_291
	s_branch .LBB14_292
.LBB14_2341:
	s_movk_i32 s4, 0x80
	v_cmp_eq_u16_sdwa s[12:13], v11, s4 src0_sel:BYTE_0 src1_sel:DWORD
	s_mov_b64 s[4:5], -1
                                        ; implicit-def: $sgpr10
	s_and_saveexec_b64 s[8:9], s[12:13]
; %bb.2342:
	s_mov_b32 s10, 0x7f800001
	s_xor_b64 s[4:5], exec, -1
; %bb.2343:
	s_or_b64 exec, exec, s[8:9]
	s_and_b64 s[4:5], s[4:5], exec
	s_or_saveexec_b64 s[6:7], s[6:7]
	v_mov_b32_e32 v14, s10
	s_xor_b64 exec, exec, s[6:7]
	s_cbranch_execz .LBB14_294
.LBB14_2344:
	v_mov_b32_e32 v14, 0
	v_cmp_ne_u16_sdwa s[8:9], v11, v14 src0_sel:BYTE_0 src1_sel:DWORD
	s_andn2_b64 s[4:5], s[4:5], exec
	s_and_b64 s[8:9], s[8:9], exec
	s_or_b64 s[4:5], s[4:5], s[8:9]
	s_or_b64 exec, exec, s[6:7]
	s_and_saveexec_b64 s[6:7], s[4:5]
	s_cbranch_execnz .LBB14_295
	s_branch .LBB14_296
.LBB14_2345:
	s_movk_i32 s4, 0x80
	v_cmp_eq_u16_sdwa s[12:13], v14, s4 src0_sel:BYTE_0 src1_sel:DWORD
	s_mov_b64 s[4:5], -1
                                        ; implicit-def: $sgpr10
	s_and_saveexec_b64 s[8:9], s[12:13]
; %bb.2346:
	s_mov_b32 s10, 0x7f800001
	s_xor_b64 s[4:5], exec, -1
; %bb.2347:
	s_or_b64 exec, exec, s[8:9]
	s_and_b64 s[4:5], s[4:5], exec
	s_or_saveexec_b64 s[6:7], s[6:7]
	v_mov_b32_e32 v10, s10
	s_xor_b64 exec, exec, s[6:7]
	s_cbranch_execz .LBB14_298
.LBB14_2348:
	v_mov_b32_e32 v10, 0
	v_cmp_ne_u16_sdwa s[8:9], v14, v10 src0_sel:BYTE_0 src1_sel:DWORD
	s_andn2_b64 s[4:5], s[4:5], exec
	s_and_b64 s[8:9], s[8:9], exec
	s_or_b64 s[4:5], s[4:5], s[8:9]
	s_or_b64 exec, exec, s[6:7]
	s_and_saveexec_b64 s[6:7], s[4:5]
	s_cbranch_execnz .LBB14_299
	s_branch .LBB14_300
.LBB14_2349:
	s_movk_i32 s4, 0x80
	v_cmp_eq_u16_sdwa s[12:13], v14, s4 src0_sel:BYTE_0 src1_sel:DWORD
	s_mov_b64 s[4:5], -1
                                        ; implicit-def: $sgpr10
	s_and_saveexec_b64 s[8:9], s[12:13]
; %bb.2350:
	s_mov_b32 s10, 0x7f800001
	s_xor_b64 s[4:5], exec, -1
; %bb.2351:
	s_or_b64 exec, exec, s[8:9]
	s_and_b64 s[4:5], s[4:5], exec
	s_or_saveexec_b64 s[6:7], s[6:7]
	v_mov_b32_e32 v20, s10
	s_xor_b64 exec, exec, s[6:7]
	s_cbranch_execz .LBB14_302
.LBB14_2352:
	v_mov_b32_e32 v20, 0
	v_cmp_ne_u16_sdwa s[8:9], v14, v20 src0_sel:BYTE_0 src1_sel:DWORD
	s_andn2_b64 s[4:5], s[4:5], exec
	s_and_b64 s[8:9], s[8:9], exec
	s_or_b64 s[4:5], s[4:5], s[8:9]
	s_or_b64 exec, exec, s[6:7]
	s_and_saveexec_b64 s[6:7], s[4:5]
	s_cbranch_execnz .LBB14_303
	s_branch .LBB14_304
.LBB14_2353:
	s_movk_i32 s4, 0x80
	v_cmp_eq_u16_e32 vcc, s4, v14
	s_mov_b64 s[4:5], -1
                                        ; implicit-def: $sgpr10
	s_and_saveexec_b64 s[8:9], vcc
; %bb.2354:
	s_mov_b32 s10, 0x7f800001
	s_xor_b64 s[4:5], exec, -1
; %bb.2355:
	s_or_b64 exec, exec, s[8:9]
	s_and_b64 s[4:5], s[4:5], exec
                                        ; implicit-def: $vgpr14
	s_or_saveexec_b64 s[6:7], s[6:7]
	v_mov_b32_e32 v10, s10
	s_xor_b64 exec, exec, s[6:7]
	s_cbranch_execz .LBB14_306
.LBB14_2356:
	v_cmp_ne_u16_e32 vcc, 0, v14
	s_andn2_b64 s[4:5], s[4:5], exec
	s_and_b64 s[8:9], vcc, exec
	v_mov_b32_e32 v10, 0
	s_or_b64 s[4:5], s[4:5], s[8:9]
	s_or_b64 exec, exec, s[6:7]
	s_and_saveexec_b64 s[6:7], s[4:5]
	s_cbranch_execnz .LBB14_307
	s_branch .LBB14_308
.LBB14_2357:
	s_movk_i32 s4, 0x80
	v_cmp_eq_u16_e32 vcc, s4, v14
	s_mov_b64 s[4:5], -1
                                        ; implicit-def: $sgpr10
	s_and_saveexec_b64 s[8:9], vcc
; %bb.2358:
	s_mov_b32 s10, 0x7f800001
	s_xor_b64 s[4:5], exec, -1
; %bb.2359:
	s_or_b64 exec, exec, s[8:9]
	s_and_b64 s[4:5], s[4:5], exec
                                        ; implicit-def: $vgpr14
	s_or_saveexec_b64 s[6:7], s[6:7]
	v_mov_b32_e32 v20, s10
	s_xor_b64 exec, exec, s[6:7]
	s_cbranch_execz .LBB14_310
.LBB14_2360:
	v_cmp_ne_u16_e32 vcc, 0, v14
	s_andn2_b64 s[4:5], s[4:5], exec
	s_and_b64 s[8:9], vcc, exec
	v_mov_b32_e32 v20, 0
	s_or_b64 s[4:5], s[4:5], s[8:9]
	s_or_b64 exec, exec, s[6:7]
	s_and_saveexec_b64 s[6:7], s[4:5]
	s_cbranch_execnz .LBB14_311
	s_branch .LBB14_312
.LBB14_2361:
	s_movk_i32 s4, 0x80
	v_cmp_eq_u16_sdwa s[12:13], v15, s4 src0_sel:BYTE_3 src1_sel:DWORD
	s_mov_b64 s[4:5], -1
                                        ; implicit-def: $sgpr10
	s_and_saveexec_b64 s[8:9], s[12:13]
; %bb.2362:
	s_mov_b32 s10, 0x7f800001
	s_xor_b64 s[4:5], exec, -1
; %bb.2363:
	s_or_b64 exec, exec, s[8:9]
	s_and_b64 s[4:5], s[4:5], exec
	s_or_saveexec_b64 s[6:7], s[6:7]
	v_mov_b32_e32 v10, s10
	s_xor_b64 exec, exec, s[6:7]
	s_cbranch_execz .LBB14_314
.LBB14_2364:
	v_mov_b32_e32 v10, 0
	v_cmp_ne_u16_sdwa s[8:9], v15, v10 src0_sel:BYTE_3 src1_sel:DWORD
	s_andn2_b64 s[4:5], s[4:5], exec
	s_and_b64 s[8:9], s[8:9], exec
	s_or_b64 s[4:5], s[4:5], s[8:9]
	s_or_b64 exec, exec, s[6:7]
	s_and_saveexec_b64 s[6:7], s[4:5]
	s_cbranch_execnz .LBB14_315
	s_branch .LBB14_316
.LBB14_2365:
	s_movk_i32 s4, 0x80
	v_cmp_eq_u16_sdwa s[12:13], v11, s4 src0_sel:BYTE_3 src1_sel:DWORD
	s_mov_b64 s[4:5], -1
                                        ; implicit-def: $sgpr10
	s_and_saveexec_b64 s[8:9], s[12:13]
; %bb.2366:
	s_mov_b32 s10, 0x7f800001
	s_xor_b64 s[4:5], exec, -1
; %bb.2367:
	s_or_b64 exec, exec, s[8:9]
	s_and_b64 s[4:5], s[4:5], exec
	s_or_saveexec_b64 s[6:7], s[6:7]
	v_mov_b32_e32 v14, s10
	s_xor_b64 exec, exec, s[6:7]
	s_cbranch_execz .LBB14_318
.LBB14_2368:
	v_mov_b32_e32 v14, 0
	v_cmp_ne_u16_sdwa s[8:9], v11, v14 src0_sel:BYTE_3 src1_sel:DWORD
	s_andn2_b64 s[4:5], s[4:5], exec
	s_and_b64 s[8:9], s[8:9], exec
	s_or_b64 s[4:5], s[4:5], s[8:9]
	s_or_b64 exec, exec, s[6:7]
	s_and_saveexec_b64 s[6:7], s[4:5]
	s_cbranch_execnz .LBB14_319
	s_branch .LBB14_320
.LBB14_2369:
	s_movk_i32 s4, 0x80
	v_cmp_eq_u16_sdwa s[12:13], v16, s4 src0_sel:BYTE_0 src1_sel:DWORD
	s_mov_b64 s[4:5], -1
                                        ; implicit-def: $sgpr10
	s_and_saveexec_b64 s[8:9], s[12:13]
; %bb.2370:
	s_mov_b32 s10, 0x7f800001
	s_xor_b64 s[4:5], exec, -1
; %bb.2371:
	s_or_b64 exec, exec, s[8:9]
	s_and_b64 s[4:5], s[4:5], exec
	s_or_saveexec_b64 s[6:7], s[6:7]
	v_mov_b32_e32 v10, s10
	s_xor_b64 exec, exec, s[6:7]
	s_cbranch_execz .LBB14_322
.LBB14_2372:
	v_mov_b32_e32 v10, 0
	v_cmp_ne_u16_sdwa s[8:9], v16, v10 src0_sel:BYTE_0 src1_sel:DWORD
	s_andn2_b64 s[4:5], s[4:5], exec
	s_and_b64 s[8:9], s[8:9], exec
	s_or_b64 s[4:5], s[4:5], s[8:9]
	s_or_b64 exec, exec, s[6:7]
	s_and_saveexec_b64 s[6:7], s[4:5]
	s_cbranch_execnz .LBB14_323
	s_branch .LBB14_324
.LBB14_2373:
	s_movk_i32 s4, 0x80
	v_cmp_eq_u16_sdwa s[12:13], v12, s4 src0_sel:BYTE_0 src1_sel:DWORD
	s_mov_b64 s[4:5], -1
                                        ; implicit-def: $sgpr10
	s_and_saveexec_b64 s[8:9], s[12:13]
; %bb.2374:
	s_mov_b32 s10, 0x7f800001
	s_xor_b64 s[4:5], exec, -1
; %bb.2375:
	s_or_b64 exec, exec, s[8:9]
	s_and_b64 s[4:5], s[4:5], exec
	s_or_saveexec_b64 s[6:7], s[6:7]
	v_mov_b32_e32 v11, s10
	s_xor_b64 exec, exec, s[6:7]
	s_cbranch_execz .LBB14_326
.LBB14_2376:
	v_mov_b32_e32 v11, 0
	v_cmp_ne_u16_sdwa s[8:9], v12, v11 src0_sel:BYTE_0 src1_sel:DWORD
	s_andn2_b64 s[4:5], s[4:5], exec
	s_and_b64 s[8:9], s[8:9], exec
	s_or_b64 s[4:5], s[4:5], s[8:9]
	s_or_b64 exec, exec, s[6:7]
	s_and_saveexec_b64 s[6:7], s[4:5]
	s_cbranch_execnz .LBB14_327
	s_branch .LBB14_328
.LBB14_2377:
	s_movk_i32 s4, 0x80
	v_cmp_eq_u16_sdwa s[12:13], v11, s4 src0_sel:BYTE_0 src1_sel:DWORD
	s_mov_b64 s[4:5], -1
                                        ; implicit-def: $sgpr10
	s_and_saveexec_b64 s[8:9], s[12:13]
; %bb.2378:
	s_mov_b32 s10, 0x7f800001
	s_xor_b64 s[4:5], exec, -1
; %bb.2379:
	s_or_b64 exec, exec, s[8:9]
	s_and_b64 s[4:5], s[4:5], exec
	s_or_saveexec_b64 s[6:7], s[6:7]
	v_mov_b32_e32 v10, s10
	s_xor_b64 exec, exec, s[6:7]
	s_cbranch_execz .LBB14_330
.LBB14_2380:
	v_mov_b32_e32 v10, 0
	v_cmp_ne_u16_sdwa s[8:9], v11, v10 src0_sel:BYTE_0 src1_sel:DWORD
	s_andn2_b64 s[4:5], s[4:5], exec
	s_and_b64 s[8:9], s[8:9], exec
	s_or_b64 s[4:5], s[4:5], s[8:9]
	s_or_b64 exec, exec, s[6:7]
	s_and_saveexec_b64 s[6:7], s[4:5]
	s_cbranch_execnz .LBB14_331
	s_branch .LBB14_332
.LBB14_2381:
	s_movk_i32 s4, 0x80
	v_cmp_eq_u16_sdwa s[12:13], v11, s4 src0_sel:BYTE_0 src1_sel:DWORD
	s_mov_b64 s[4:5], -1
                                        ; implicit-def: $sgpr10
	s_and_saveexec_b64 s[8:9], s[12:13]
; %bb.2382:
	s_mov_b32 s10, 0x7f800001
	s_xor_b64 s[4:5], exec, -1
; %bb.2383:
	s_or_b64 exec, exec, s[8:9]
	s_and_b64 s[4:5], s[4:5], exec
	s_or_saveexec_b64 s[6:7], s[6:7]
	v_mov_b32_e32 v14, s10
	s_xor_b64 exec, exec, s[6:7]
	s_cbranch_execz .LBB14_334
.LBB14_2384:
	v_mov_b32_e32 v14, 0
	v_cmp_ne_u16_sdwa s[8:9], v11, v14 src0_sel:BYTE_0 src1_sel:DWORD
	s_andn2_b64 s[4:5], s[4:5], exec
	s_and_b64 s[8:9], s[8:9], exec
	s_or_b64 s[4:5], s[4:5], s[8:9]
	s_or_b64 exec, exec, s[6:7]
	s_and_saveexec_b64 s[6:7], s[4:5]
	s_cbranch_execnz .LBB14_335
	s_branch .LBB14_336
.LBB14_2385:
	s_movk_i32 s4, 0x80
	v_cmp_eq_u16_e32 vcc, s4, v11
	s_mov_b64 s[4:5], -1
                                        ; implicit-def: $sgpr10
	s_and_saveexec_b64 s[8:9], vcc
; %bb.2386:
	s_mov_b32 s10, 0x7f800001
	s_xor_b64 s[4:5], exec, -1
; %bb.2387:
	s_or_b64 exec, exec, s[8:9]
	s_and_b64 s[4:5], s[4:5], exec
                                        ; implicit-def: $vgpr11
	s_or_saveexec_b64 s[6:7], s[6:7]
	v_mov_b32_e32 v10, s10
	s_xor_b64 exec, exec, s[6:7]
	s_cbranch_execz .LBB14_338
.LBB14_2388:
	v_cmp_ne_u16_e32 vcc, 0, v11
	s_andn2_b64 s[4:5], s[4:5], exec
	s_and_b64 s[8:9], vcc, exec
	v_mov_b32_e32 v10, 0
	s_or_b64 s[4:5], s[4:5], s[8:9]
	s_or_b64 exec, exec, s[6:7]
	s_and_saveexec_b64 s[6:7], s[4:5]
	s_cbranch_execnz .LBB14_339
	s_branch .LBB14_340
.LBB14_2389:
	s_movk_i32 s4, 0x80
	v_cmp_eq_u16_e32 vcc, s4, v11
	s_mov_b64 s[4:5], -1
                                        ; implicit-def: $sgpr10
	s_and_saveexec_b64 s[8:9], vcc
; %bb.2390:
	s_mov_b32 s10, 0x7f800001
	s_xor_b64 s[4:5], exec, -1
; %bb.2391:
	s_or_b64 exec, exec, s[8:9]
	s_and_b64 s[4:5], s[4:5], exec
                                        ; implicit-def: $vgpr11
	s_or_saveexec_b64 s[6:7], s[6:7]
	v_mov_b32_e32 v14, s10
	s_xor_b64 exec, exec, s[6:7]
	s_cbranch_execz .LBB14_342
.LBB14_2392:
	v_cmp_ne_u16_e32 vcc, 0, v11
	s_andn2_b64 s[4:5], s[4:5], exec
	s_and_b64 s[8:9], vcc, exec
	v_mov_b32_e32 v14, 0
	s_or_b64 s[4:5], s[4:5], s[8:9]
	s_or_b64 exec, exec, s[6:7]
	s_and_saveexec_b64 s[6:7], s[4:5]
	s_cbranch_execnz .LBB14_343
	s_branch .LBB14_344
.LBB14_2393:
	s_movk_i32 s4, 0x80
	v_cmp_eq_u16_sdwa s[12:13], v16, s4 src0_sel:BYTE_3 src1_sel:DWORD
	s_mov_b64 s[4:5], -1
                                        ; implicit-def: $sgpr10
	s_and_saveexec_b64 s[8:9], s[12:13]
; %bb.2394:
	s_mov_b32 s10, 0x7f800001
	s_xor_b64 s[4:5], exec, -1
; %bb.2395:
	s_or_b64 exec, exec, s[8:9]
	s_and_b64 s[4:5], s[4:5], exec
	s_or_saveexec_b64 s[6:7], s[6:7]
	v_mov_b32_e32 v10, s10
	s_xor_b64 exec, exec, s[6:7]
	s_cbranch_execz .LBB14_346
.LBB14_2396:
	v_mov_b32_e32 v10, 0
	v_cmp_ne_u16_sdwa s[8:9], v16, v10 src0_sel:BYTE_3 src1_sel:DWORD
	s_andn2_b64 s[4:5], s[4:5], exec
	s_and_b64 s[8:9], s[8:9], exec
	s_or_b64 s[4:5], s[4:5], s[8:9]
	s_or_b64 exec, exec, s[6:7]
	s_and_saveexec_b64 s[6:7], s[4:5]
	s_cbranch_execnz .LBB14_347
	s_branch .LBB14_348
.LBB14_2397:
	s_movk_i32 s4, 0x80
	v_cmp_eq_u16_sdwa s[12:13], v12, s4 src0_sel:BYTE_3 src1_sel:DWORD
	s_mov_b64 s[4:5], -1
                                        ; implicit-def: $sgpr10
	s_and_saveexec_b64 s[8:9], s[12:13]
; %bb.2398:
	s_mov_b32 s10, 0x7f800001
	s_xor_b64 s[4:5], exec, -1
; %bb.2399:
	s_or_b64 exec, exec, s[8:9]
	s_and_b64 s[4:5], s[4:5], exec
	s_or_saveexec_b64 s[6:7], s[6:7]
	v_mov_b32_e32 v11, s10
	s_xor_b64 exec, exec, s[6:7]
	s_cbranch_execz .LBB14_350
.LBB14_2400:
	v_mov_b32_e32 v11, 0
	v_cmp_ne_u16_sdwa s[8:9], v12, v11 src0_sel:BYTE_3 src1_sel:DWORD
	s_andn2_b64 s[4:5], s[4:5], exec
	s_and_b64 s[8:9], s[8:9], exec
	s_or_b64 s[4:5], s[4:5], s[8:9]
	s_or_b64 exec, exec, s[6:7]
	s_and_saveexec_b64 s[6:7], s[4:5]
	s_cbranch_execnz .LBB14_351
	s_branch .LBB14_352
.LBB14_2401:
	s_movk_i32 s4, 0x80
	v_cmp_eq_u16_sdwa s[12:13], v17, s4 src0_sel:BYTE_0 src1_sel:DWORD
	s_mov_b64 s[4:5], -1
                                        ; implicit-def: $sgpr10
	s_and_saveexec_b64 s[8:9], s[12:13]
; %bb.2402:
	s_mov_b32 s10, 0x7f800001
	s_xor_b64 s[4:5], exec, -1
; %bb.2403:
	s_or_b64 exec, exec, s[8:9]
	s_and_b64 s[4:5], s[4:5], exec
	s_or_saveexec_b64 s[6:7], s[6:7]
	v_mov_b32_e32 v10, s10
	s_xor_b64 exec, exec, s[6:7]
	s_cbranch_execz .LBB14_354
.LBB14_2404:
	v_mov_b32_e32 v10, 0
	v_cmp_ne_u16_sdwa s[8:9], v17, v10 src0_sel:BYTE_0 src1_sel:DWORD
	s_andn2_b64 s[4:5], s[4:5], exec
	s_and_b64 s[8:9], s[8:9], exec
	s_or_b64 s[4:5], s[4:5], s[8:9]
	s_or_b64 exec, exec, s[6:7]
	s_and_saveexec_b64 s[6:7], s[4:5]
	s_cbranch_execnz .LBB14_355
	s_branch .LBB14_356
.LBB14_2405:
	s_movk_i32 s4, 0x80
	v_cmp_eq_u16_sdwa s[12:13], v13, s4 src0_sel:BYTE_0 src1_sel:DWORD
	s_mov_b64 s[4:5], -1
                                        ; implicit-def: $sgpr10
	s_and_saveexec_b64 s[8:9], s[12:13]
; %bb.2406:
	s_mov_b32 s10, 0x7f800001
	s_xor_b64 s[4:5], exec, -1
; %bb.2407:
	s_or_b64 exec, exec, s[8:9]
	s_and_b64 s[4:5], s[4:5], exec
	s_or_saveexec_b64 s[6:7], s[6:7]
	v_mov_b32_e32 v11, s10
	s_xor_b64 exec, exec, s[6:7]
	s_cbranch_execz .LBB14_358
.LBB14_2408:
	v_mov_b32_e32 v11, 0
	v_cmp_ne_u16_sdwa s[8:9], v13, v11 src0_sel:BYTE_0 src1_sel:DWORD
	s_andn2_b64 s[4:5], s[4:5], exec
	s_and_b64 s[8:9], s[8:9], exec
	s_or_b64 s[4:5], s[4:5], s[8:9]
	s_or_b64 exec, exec, s[6:7]
	s_and_saveexec_b64 s[6:7], s[4:5]
	s_cbranch_execnz .LBB14_359
	s_branch .LBB14_360
.LBB14_2409:
	s_movk_i32 s4, 0x80
	v_cmp_eq_u16_sdwa s[12:13], v11, s4 src0_sel:BYTE_0 src1_sel:DWORD
	s_mov_b64 s[4:5], -1
                                        ; implicit-def: $sgpr10
	s_and_saveexec_b64 s[8:9], s[12:13]
; %bb.2410:
	s_mov_b32 s10, 0x7f800001
	s_xor_b64 s[4:5], exec, -1
; %bb.2411:
	s_or_b64 exec, exec, s[8:9]
	s_and_b64 s[4:5], s[4:5], exec
	s_or_saveexec_b64 s[6:7], s[6:7]
	v_mov_b32_e32 v10, s10
	s_xor_b64 exec, exec, s[6:7]
	s_cbranch_execz .LBB14_362
.LBB14_2412:
	v_mov_b32_e32 v10, 0
	v_cmp_ne_u16_sdwa s[8:9], v11, v10 src0_sel:BYTE_0 src1_sel:DWORD
	s_andn2_b64 s[4:5], s[4:5], exec
	s_and_b64 s[8:9], s[8:9], exec
	s_or_b64 s[4:5], s[4:5], s[8:9]
	s_or_b64 exec, exec, s[6:7]
	s_and_saveexec_b64 s[6:7], s[4:5]
	s_cbranch_execnz .LBB14_363
	s_branch .LBB14_364
.LBB14_2413:
	s_movk_i32 s4, 0x80
	v_cmp_eq_u16_sdwa s[12:13], v11, s4 src0_sel:BYTE_0 src1_sel:DWORD
	s_mov_b64 s[4:5], -1
                                        ; implicit-def: $sgpr10
	s_and_saveexec_b64 s[8:9], s[12:13]
; %bb.2414:
	s_mov_b32 s10, 0x7f800001
	s_xor_b64 s[4:5], exec, -1
; %bb.2415:
	s_or_b64 exec, exec, s[8:9]
	s_and_b64 s[4:5], s[4:5], exec
	s_or_saveexec_b64 s[6:7], s[6:7]
	v_mov_b32_e32 v12, s10
	s_xor_b64 exec, exec, s[6:7]
	s_cbranch_execz .LBB14_366
.LBB14_2416:
	v_mov_b32_e32 v12, 0
	v_cmp_ne_u16_sdwa s[8:9], v11, v12 src0_sel:BYTE_0 src1_sel:DWORD
	s_andn2_b64 s[4:5], s[4:5], exec
	s_and_b64 s[8:9], s[8:9], exec
	s_or_b64 s[4:5], s[4:5], s[8:9]
	s_or_b64 exec, exec, s[6:7]
	s_and_saveexec_b64 s[6:7], s[4:5]
	s_cbranch_execnz .LBB14_367
	s_branch .LBB14_368
.LBB14_2417:
	s_movk_i32 s4, 0x80
	v_cmp_eq_u16_e32 vcc, s4, v11
	s_mov_b64 s[4:5], -1
                                        ; implicit-def: $sgpr10
	s_and_saveexec_b64 s[8:9], vcc
; %bb.2418:
	s_mov_b32 s10, 0x7f800001
	s_xor_b64 s[4:5], exec, -1
; %bb.2419:
	s_or_b64 exec, exec, s[8:9]
	s_and_b64 s[4:5], s[4:5], exec
                                        ; implicit-def: $vgpr11
	s_or_saveexec_b64 s[6:7], s[6:7]
	v_mov_b32_e32 v10, s10
	s_xor_b64 exec, exec, s[6:7]
	s_cbranch_execz .LBB14_370
.LBB14_2420:
	v_cmp_ne_u16_e32 vcc, 0, v11
	s_andn2_b64 s[4:5], s[4:5], exec
	s_and_b64 s[8:9], vcc, exec
	v_mov_b32_e32 v10, 0
	s_or_b64 s[4:5], s[4:5], s[8:9]
	s_or_b64 exec, exec, s[6:7]
	s_and_saveexec_b64 s[6:7], s[4:5]
	s_cbranch_execnz .LBB14_371
	s_branch .LBB14_372
.LBB14_2421:
	s_movk_i32 s4, 0x80
	v_cmp_eq_u16_e32 vcc, s4, v11
	s_mov_b64 s[4:5], -1
                                        ; implicit-def: $sgpr10
	s_and_saveexec_b64 s[8:9], vcc
; %bb.2422:
	s_mov_b32 s10, 0x7f800001
	s_xor_b64 s[4:5], exec, -1
; %bb.2423:
	s_or_b64 exec, exec, s[8:9]
	s_and_b64 s[4:5], s[4:5], exec
                                        ; implicit-def: $vgpr11
	s_or_saveexec_b64 s[6:7], s[6:7]
	v_mov_b32_e32 v12, s10
	s_xor_b64 exec, exec, s[6:7]
	s_cbranch_execz .LBB14_374
.LBB14_2424:
	v_cmp_ne_u16_e32 vcc, 0, v11
	s_andn2_b64 s[4:5], s[4:5], exec
	s_and_b64 s[8:9], vcc, exec
	v_mov_b32_e32 v12, 0
	s_or_b64 s[4:5], s[4:5], s[8:9]
	s_or_b64 exec, exec, s[6:7]
	s_and_saveexec_b64 s[6:7], s[4:5]
	s_cbranch_execnz .LBB14_375
	s_branch .LBB14_376
.LBB14_2425:
	s_movk_i32 s4, 0x80
	v_cmp_eq_u16_sdwa s[12:13], v17, s4 src0_sel:BYTE_3 src1_sel:DWORD
	s_mov_b64 s[4:5], -1
                                        ; implicit-def: $sgpr10
	s_and_saveexec_b64 s[8:9], s[12:13]
; %bb.2426:
	s_mov_b32 s10, 0x7f800001
	s_xor_b64 s[4:5], exec, -1
; %bb.2427:
	s_or_b64 exec, exec, s[8:9]
	s_and_b64 s[4:5], s[4:5], exec
	s_or_saveexec_b64 s[6:7], s[6:7]
	v_mov_b32_e32 v10, s10
	s_xor_b64 exec, exec, s[6:7]
	s_cbranch_execz .LBB14_378
.LBB14_2428:
	v_mov_b32_e32 v10, 0
	v_cmp_ne_u16_sdwa s[8:9], v17, v10 src0_sel:BYTE_3 src1_sel:DWORD
	s_andn2_b64 s[4:5], s[4:5], exec
	s_and_b64 s[8:9], s[8:9], exec
	s_or_b64 s[4:5], s[4:5], s[8:9]
	s_or_b64 exec, exec, s[6:7]
	s_and_saveexec_b64 s[6:7], s[4:5]
	s_cbranch_execnz .LBB14_379
	s_branch .LBB14_380
.LBB14_2429:
	s_movk_i32 s4, 0x80
	v_cmp_eq_u16_sdwa s[12:13], v13, s4 src0_sel:BYTE_3 src1_sel:DWORD
	s_mov_b64 s[4:5], -1
                                        ; implicit-def: $sgpr10
	s_and_saveexec_b64 s[8:9], s[12:13]
; %bb.2430:
	s_mov_b32 s10, 0x7f800001
	s_xor_b64 s[4:5], exec, -1
; %bb.2431:
	s_or_b64 exec, exec, s[8:9]
	s_and_b64 s[4:5], s[4:5], exec
	s_or_saveexec_b64 s[6:7], s[6:7]
	v_mov_b32_e32 v11, s10
	s_xor_b64 exec, exec, s[6:7]
	s_cbranch_execz .LBB14_382
.LBB14_2432:
	v_mov_b32_e32 v11, 0
	v_cmp_ne_u16_sdwa s[8:9], v13, v11 src0_sel:BYTE_3 src1_sel:DWORD
	s_andn2_b64 s[4:5], s[4:5], exec
	s_and_b64 s[8:9], s[8:9], exec
	s_or_b64 s[4:5], s[4:5], s[8:9]
	s_or_b64 exec, exec, s[6:7]
	s_and_saveexec_b64 s[6:7], s[4:5]
	s_cbranch_execnz .LBB14_383
	s_branch .LBB14_384
.LBB14_2433:
	s_movk_i32 s4, 0x80
	v_cmp_eq_u16_sdwa s[12:13], v6, s4 src0_sel:BYTE_0 src1_sel:DWORD
	s_mov_b64 s[4:5], -1
                                        ; implicit-def: $sgpr10
	s_and_saveexec_b64 s[8:9], s[12:13]
; %bb.2434:
	s_mov_b32 s10, 0x7f800001
	s_xor_b64 s[4:5], exec, -1
; %bb.2435:
	s_or_b64 exec, exec, s[8:9]
	s_and_b64 s[4:5], s[4:5], exec
	s_or_saveexec_b64 s[6:7], s[6:7]
	v_mov_b32_e32 v10, s10
	s_xor_b64 exec, exec, s[6:7]
	s_cbranch_execz .LBB14_386
.LBB14_2436:
	v_mov_b32_e32 v10, 0
	v_cmp_ne_u16_sdwa s[8:9], v6, v10 src0_sel:BYTE_0 src1_sel:DWORD
	s_andn2_b64 s[4:5], s[4:5], exec
	s_and_b64 s[8:9], s[8:9], exec
	s_or_b64 s[4:5], s[4:5], s[8:9]
	s_or_b64 exec, exec, s[6:7]
	s_and_saveexec_b64 s[6:7], s[4:5]
	s_cbranch_execnz .LBB14_387
	s_branch .LBB14_388
.LBB14_2437:
	s_movk_i32 s4, 0x80
	v_cmp_eq_u16_sdwa s[12:13], v2, s4 src0_sel:BYTE_0 src1_sel:DWORD
	s_mov_b64 s[4:5], -1
                                        ; implicit-def: $sgpr10
	s_and_saveexec_b64 s[8:9], s[12:13]
; %bb.2438:
	s_mov_b32 s10, 0x7f800001
	s_xor_b64 s[4:5], exec, -1
; %bb.2439:
	s_or_b64 exec, exec, s[8:9]
	s_and_b64 s[4:5], s[4:5], exec
	s_or_saveexec_b64 s[6:7], s[6:7]
	v_mov_b32_e32 v11, s10
	s_xor_b64 exec, exec, s[6:7]
	s_cbranch_execz .LBB14_390
.LBB14_2440:
	v_mov_b32_e32 v11, 0
	v_cmp_ne_u16_sdwa s[8:9], v2, v11 src0_sel:BYTE_0 src1_sel:DWORD
	s_andn2_b64 s[4:5], s[4:5], exec
	s_and_b64 s[8:9], s[8:9], exec
	s_or_b64 s[4:5], s[4:5], s[8:9]
	s_or_b64 exec, exec, s[6:7]
	s_and_saveexec_b64 s[6:7], s[4:5]
	s_cbranch_execnz .LBB14_391
	s_branch .LBB14_392
.LBB14_2441:
	s_movk_i32 s4, 0x80
	v_cmp_eq_u16_sdwa s[12:13], v11, s4 src0_sel:BYTE_0 src1_sel:DWORD
	s_mov_b64 s[4:5], -1
                                        ; implicit-def: $sgpr10
	s_and_saveexec_b64 s[8:9], s[12:13]
; %bb.2442:
	s_mov_b32 s10, 0x7f800001
	s_xor_b64 s[4:5], exec, -1
; %bb.2443:
	s_or_b64 exec, exec, s[8:9]
	s_and_b64 s[4:5], s[4:5], exec
	s_or_saveexec_b64 s[6:7], s[6:7]
	v_mov_b32_e32 v10, s10
	s_xor_b64 exec, exec, s[6:7]
	s_cbranch_execz .LBB14_394
.LBB14_2444:
	v_mov_b32_e32 v10, 0
	v_cmp_ne_u16_sdwa s[8:9], v11, v10 src0_sel:BYTE_0 src1_sel:DWORD
	s_andn2_b64 s[4:5], s[4:5], exec
	s_and_b64 s[8:9], s[8:9], exec
	s_or_b64 s[4:5], s[4:5], s[8:9]
	s_or_b64 exec, exec, s[6:7]
	s_and_saveexec_b64 s[6:7], s[4:5]
	s_cbranch_execnz .LBB14_395
	s_branch .LBB14_396
.LBB14_2445:
	s_movk_i32 s4, 0x80
	v_cmp_eq_u16_sdwa s[12:13], v11, s4 src0_sel:BYTE_0 src1_sel:DWORD
	s_mov_b64 s[4:5], -1
                                        ; implicit-def: $sgpr10
	s_and_saveexec_b64 s[8:9], s[12:13]
; %bb.2446:
	s_mov_b32 s10, 0x7f800001
	s_xor_b64 s[4:5], exec, -1
; %bb.2447:
	s_or_b64 exec, exec, s[8:9]
	s_and_b64 s[4:5], s[4:5], exec
	s_or_saveexec_b64 s[6:7], s[6:7]
	v_mov_b32_e32 v12, s10
	s_xor_b64 exec, exec, s[6:7]
	s_cbranch_execz .LBB14_398
.LBB14_2448:
	v_mov_b32_e32 v12, 0
	v_cmp_ne_u16_sdwa s[8:9], v11, v12 src0_sel:BYTE_0 src1_sel:DWORD
	s_andn2_b64 s[4:5], s[4:5], exec
	s_and_b64 s[8:9], s[8:9], exec
	s_or_b64 s[4:5], s[4:5], s[8:9]
	s_or_b64 exec, exec, s[6:7]
	s_and_saveexec_b64 s[6:7], s[4:5]
	s_cbranch_execnz .LBB14_399
	s_branch .LBB14_400
.LBB14_2449:
	s_movk_i32 s4, 0x80
	v_cmp_eq_u16_e32 vcc, s4, v11
	s_mov_b64 s[4:5], -1
                                        ; implicit-def: $sgpr10
	s_and_saveexec_b64 s[8:9], vcc
; %bb.2450:
	s_mov_b32 s10, 0x7f800001
	s_xor_b64 s[4:5], exec, -1
; %bb.2451:
	s_or_b64 exec, exec, s[8:9]
	s_and_b64 s[4:5], s[4:5], exec
                                        ; implicit-def: $vgpr11
	s_or_saveexec_b64 s[6:7], s[6:7]
	v_mov_b32_e32 v10, s10
	s_xor_b64 exec, exec, s[6:7]
	s_cbranch_execz .LBB14_402
.LBB14_2452:
	v_cmp_ne_u16_e32 vcc, 0, v11
	s_andn2_b64 s[4:5], s[4:5], exec
	s_and_b64 s[8:9], vcc, exec
	v_mov_b32_e32 v10, 0
	s_or_b64 s[4:5], s[4:5], s[8:9]
	s_or_b64 exec, exec, s[6:7]
	s_and_saveexec_b64 s[6:7], s[4:5]
	s_cbranch_execnz .LBB14_403
	s_branch .LBB14_404
.LBB14_2453:
	s_movk_i32 s4, 0x80
	v_cmp_eq_u16_e32 vcc, s4, v11
	s_mov_b64 s[4:5], -1
                                        ; implicit-def: $sgpr10
	s_and_saveexec_b64 s[8:9], vcc
; %bb.2454:
	s_mov_b32 s10, 0x7f800001
	s_xor_b64 s[4:5], exec, -1
; %bb.2455:
	s_or_b64 exec, exec, s[8:9]
	s_and_b64 s[4:5], s[4:5], exec
                                        ; implicit-def: $vgpr11
	s_or_saveexec_b64 s[6:7], s[6:7]
	v_mov_b32_e32 v12, s10
	s_xor_b64 exec, exec, s[6:7]
	s_cbranch_execz .LBB14_406
.LBB14_2456:
	v_cmp_ne_u16_e32 vcc, 0, v11
	s_andn2_b64 s[4:5], s[4:5], exec
	s_and_b64 s[8:9], vcc, exec
	v_mov_b32_e32 v12, 0
	s_or_b64 s[4:5], s[4:5], s[8:9]
	s_or_b64 exec, exec, s[6:7]
	s_and_saveexec_b64 s[6:7], s[4:5]
	s_cbranch_execnz .LBB14_407
	s_branch .LBB14_408
.LBB14_2457:
	s_movk_i32 s4, 0x80
	v_cmp_eq_u16_sdwa s[12:13], v6, s4 src0_sel:BYTE_3 src1_sel:DWORD
	s_mov_b64 s[4:5], -1
                                        ; implicit-def: $sgpr10
	s_and_saveexec_b64 s[8:9], s[12:13]
; %bb.2458:
	s_mov_b32 s10, 0x7f800001
	s_xor_b64 s[4:5], exec, -1
; %bb.2459:
	s_or_b64 exec, exec, s[8:9]
	s_and_b64 s[4:5], s[4:5], exec
	s_or_saveexec_b64 s[6:7], s[6:7]
	v_mov_b32_e32 v10, s10
	s_xor_b64 exec, exec, s[6:7]
	s_cbranch_execz .LBB14_410
.LBB14_2460:
	v_mov_b32_e32 v10, 0
	v_cmp_ne_u16_sdwa s[8:9], v6, v10 src0_sel:BYTE_3 src1_sel:DWORD
	s_andn2_b64 s[4:5], s[4:5], exec
	s_and_b64 s[8:9], s[8:9], exec
	s_or_b64 s[4:5], s[4:5], s[8:9]
	s_or_b64 exec, exec, s[6:7]
	s_and_saveexec_b64 s[6:7], s[4:5]
	s_cbranch_execnz .LBB14_411
	s_branch .LBB14_412
.LBB14_2461:
	s_movk_i32 s4, 0x80
	v_cmp_eq_u16_sdwa s[12:13], v2, s4 src0_sel:BYTE_3 src1_sel:DWORD
	s_mov_b64 s[4:5], -1
                                        ; implicit-def: $sgpr10
	s_and_saveexec_b64 s[8:9], s[12:13]
; %bb.2462:
	s_mov_b32 s10, 0x7f800001
	s_xor_b64 s[4:5], exec, -1
; %bb.2463:
	s_or_b64 exec, exec, s[8:9]
	s_and_b64 s[4:5], s[4:5], exec
	s_or_saveexec_b64 s[6:7], s[6:7]
	v_mov_b32_e32 v6, s10
	s_xor_b64 exec, exec, s[6:7]
	s_cbranch_execz .LBB14_414
.LBB14_2464:
	v_mov_b32_e32 v6, 0
	v_cmp_ne_u16_sdwa s[8:9], v2, v6 src0_sel:BYTE_3 src1_sel:DWORD
	s_andn2_b64 s[4:5], s[4:5], exec
	s_and_b64 s[8:9], s[8:9], exec
	s_or_b64 s[4:5], s[4:5], s[8:9]
	s_or_b64 exec, exec, s[6:7]
	s_and_saveexec_b64 s[6:7], s[4:5]
	s_cbranch_execnz .LBB14_415
	s_branch .LBB14_416
.LBB14_2465:
	s_movk_i32 s4, 0x80
	v_cmp_eq_u16_sdwa s[12:13], v7, s4 src0_sel:BYTE_0 src1_sel:DWORD
	s_mov_b64 s[4:5], -1
                                        ; implicit-def: $sgpr10
	s_and_saveexec_b64 s[8:9], s[12:13]
; %bb.2466:
	s_mov_b32 s10, 0x7f800001
	s_xor_b64 s[4:5], exec, -1
; %bb.2467:
	s_or_b64 exec, exec, s[8:9]
	s_and_b64 s[4:5], s[4:5], exec
	s_or_saveexec_b64 s[6:7], s[6:7]
	v_mov_b32_e32 v2, s10
	s_xor_b64 exec, exec, s[6:7]
	s_cbranch_execz .LBB14_418
.LBB14_2468:
	v_mov_b32_e32 v2, 0
	v_cmp_ne_u16_sdwa s[8:9], v7, v2 src0_sel:BYTE_0 src1_sel:DWORD
	s_andn2_b64 s[4:5], s[4:5], exec
	s_and_b64 s[8:9], s[8:9], exec
	s_or_b64 s[4:5], s[4:5], s[8:9]
	s_or_b64 exec, exec, s[6:7]
	s_and_saveexec_b64 s[6:7], s[4:5]
	s_cbranch_execnz .LBB14_419
	s_branch .LBB14_420
.LBB14_2469:
	s_movk_i32 s4, 0x80
	v_cmp_eq_u16_sdwa s[12:13], v3, s4 src0_sel:BYTE_0 src1_sel:DWORD
	s_mov_b64 s[4:5], -1
                                        ; implicit-def: $sgpr10
	s_and_saveexec_b64 s[8:9], s[12:13]
; %bb.2470:
	s_mov_b32 s10, 0x7f800001
	s_xor_b64 s[4:5], exec, -1
; %bb.2471:
	s_or_b64 exec, exec, s[8:9]
	s_and_b64 s[4:5], s[4:5], exec
	s_or_saveexec_b64 s[6:7], s[6:7]
	v_mov_b32_e32 v6, s10
	s_xor_b64 exec, exec, s[6:7]
	s_cbranch_execz .LBB14_422
.LBB14_2472:
	v_mov_b32_e32 v6, 0
	v_cmp_ne_u16_sdwa s[8:9], v3, v6 src0_sel:BYTE_0 src1_sel:DWORD
	s_andn2_b64 s[4:5], s[4:5], exec
	s_and_b64 s[8:9], s[8:9], exec
	s_or_b64 s[4:5], s[4:5], s[8:9]
	s_or_b64 exec, exec, s[6:7]
	s_and_saveexec_b64 s[6:7], s[4:5]
	s_cbranch_execnz .LBB14_423
	s_branch .LBB14_424
.LBB14_2473:
	s_movk_i32 s4, 0x80
	v_cmp_eq_u16_sdwa s[12:13], v6, s4 src0_sel:BYTE_0 src1_sel:DWORD
	s_mov_b64 s[4:5], -1
                                        ; implicit-def: $sgpr10
	s_and_saveexec_b64 s[8:9], s[12:13]
; %bb.2474:
	s_mov_b32 s10, 0x7f800001
	s_xor_b64 s[4:5], exec, -1
; %bb.2475:
	s_or_b64 exec, exec, s[8:9]
	s_and_b64 s[4:5], s[4:5], exec
	s_or_saveexec_b64 s[6:7], s[6:7]
	v_mov_b32_e32 v2, s10
	s_xor_b64 exec, exec, s[6:7]
	s_cbranch_execz .LBB14_426
.LBB14_2476:
	v_mov_b32_e32 v2, 0
	v_cmp_ne_u16_sdwa s[8:9], v6, v2 src0_sel:BYTE_0 src1_sel:DWORD
	s_andn2_b64 s[4:5], s[4:5], exec
	s_and_b64 s[8:9], s[8:9], exec
	s_or_b64 s[4:5], s[4:5], s[8:9]
	s_or_b64 exec, exec, s[6:7]
	s_and_saveexec_b64 s[6:7], s[4:5]
	s_cbranch_execnz .LBB14_427
	s_branch .LBB14_428
.LBB14_2477:
	s_movk_i32 s4, 0x80
	v_cmp_eq_u16_sdwa s[12:13], v6, s4 src0_sel:BYTE_0 src1_sel:DWORD
	s_mov_b64 s[4:5], -1
                                        ; implicit-def: $sgpr10
	s_and_saveexec_b64 s[8:9], s[12:13]
; %bb.2478:
	s_mov_b32 s10, 0x7f800001
	s_xor_b64 s[4:5], exec, -1
; %bb.2479:
	s_or_b64 exec, exec, s[8:9]
	s_and_b64 s[4:5], s[4:5], exec
	s_or_saveexec_b64 s[6:7], s[6:7]
	v_mov_b32_e32 v10, s10
	s_xor_b64 exec, exec, s[6:7]
	s_cbranch_execz .LBB14_430
.LBB14_2480:
	v_mov_b32_e32 v10, 0
	v_cmp_ne_u16_sdwa s[8:9], v6, v10 src0_sel:BYTE_0 src1_sel:DWORD
	s_andn2_b64 s[4:5], s[4:5], exec
	s_and_b64 s[8:9], s[8:9], exec
	s_or_b64 s[4:5], s[4:5], s[8:9]
	s_or_b64 exec, exec, s[6:7]
	s_and_saveexec_b64 s[6:7], s[4:5]
	s_cbranch_execnz .LBB14_431
	s_branch .LBB14_432
.LBB14_2481:
	s_movk_i32 s4, 0x80
	v_cmp_eq_u16_e32 vcc, s4, v6
	s_mov_b64 s[4:5], -1
                                        ; implicit-def: $sgpr10
	s_and_saveexec_b64 s[8:9], vcc
; %bb.2482:
	s_mov_b32 s10, 0x7f800001
	s_xor_b64 s[4:5], exec, -1
; %bb.2483:
	s_or_b64 exec, exec, s[8:9]
	s_and_b64 s[4:5], s[4:5], exec
                                        ; implicit-def: $vgpr6
	s_or_saveexec_b64 s[6:7], s[6:7]
	v_mov_b32_e32 v2, s10
	s_xor_b64 exec, exec, s[6:7]
	s_cbranch_execz .LBB14_434
.LBB14_2484:
	v_cmp_ne_u16_e32 vcc, 0, v6
	s_andn2_b64 s[4:5], s[4:5], exec
	s_and_b64 s[8:9], vcc, exec
	v_mov_b32_e32 v2, 0
	s_or_b64 s[4:5], s[4:5], s[8:9]
	s_or_b64 exec, exec, s[6:7]
	s_and_saveexec_b64 s[6:7], s[4:5]
	s_cbranch_execnz .LBB14_435
	s_branch .LBB14_436
.LBB14_2485:
	s_movk_i32 s4, 0x80
	v_cmp_eq_u16_e32 vcc, s4, v6
	s_mov_b64 s[4:5], -1
                                        ; implicit-def: $sgpr10
	s_and_saveexec_b64 s[8:9], vcc
; %bb.2486:
	s_mov_b32 s10, 0x7f800001
	s_xor_b64 s[4:5], exec, -1
; %bb.2487:
	s_or_b64 exec, exec, s[8:9]
	s_and_b64 s[4:5], s[4:5], exec
                                        ; implicit-def: $vgpr6
	s_or_saveexec_b64 s[6:7], s[6:7]
	v_mov_b32_e32 v10, s10
	s_xor_b64 exec, exec, s[6:7]
	s_cbranch_execz .LBB14_438
.LBB14_2488:
	v_cmp_ne_u16_e32 vcc, 0, v6
	s_andn2_b64 s[4:5], s[4:5], exec
	s_and_b64 s[8:9], vcc, exec
	v_mov_b32_e32 v10, 0
	s_or_b64 s[4:5], s[4:5], s[8:9]
	s_or_b64 exec, exec, s[6:7]
	s_and_saveexec_b64 s[6:7], s[4:5]
	s_cbranch_execnz .LBB14_439
	s_branch .LBB14_440
.LBB14_2489:
	s_movk_i32 s4, 0x80
	v_cmp_eq_u16_sdwa s[12:13], v7, s4 src0_sel:BYTE_3 src1_sel:DWORD
	s_mov_b64 s[4:5], -1
                                        ; implicit-def: $sgpr10
	s_and_saveexec_b64 s[8:9], s[12:13]
; %bb.2490:
	s_mov_b32 s10, 0x7f800001
	s_xor_b64 s[4:5], exec, -1
; %bb.2491:
	s_or_b64 exec, exec, s[8:9]
	s_and_b64 s[4:5], s[4:5], exec
	s_or_saveexec_b64 s[6:7], s[6:7]
	v_mov_b32_e32 v2, s10
	s_xor_b64 exec, exec, s[6:7]
	s_cbranch_execz .LBB14_442
.LBB14_2492:
	v_mov_b32_e32 v2, 0
	v_cmp_ne_u16_sdwa s[8:9], v7, v2 src0_sel:BYTE_3 src1_sel:DWORD
	s_andn2_b64 s[4:5], s[4:5], exec
	s_and_b64 s[8:9], s[8:9], exec
	s_or_b64 s[4:5], s[4:5], s[8:9]
	s_or_b64 exec, exec, s[6:7]
	s_and_saveexec_b64 s[6:7], s[4:5]
	s_cbranch_execnz .LBB14_443
	s_branch .LBB14_444
.LBB14_2493:
	s_movk_i32 s4, 0x80
	v_cmp_eq_u16_sdwa s[12:13], v3, s4 src0_sel:BYTE_3 src1_sel:DWORD
	s_mov_b64 s[4:5], -1
                                        ; implicit-def: $sgpr10
	s_and_saveexec_b64 s[8:9], s[12:13]
; %bb.2494:
	s_mov_b32 s10, 0x7f800001
	s_xor_b64 s[4:5], exec, -1
; %bb.2495:
	s_or_b64 exec, exec, s[8:9]
	s_and_b64 s[4:5], s[4:5], exec
	s_or_saveexec_b64 s[6:7], s[6:7]
	v_mov_b32_e32 v6, s10
	s_xor_b64 exec, exec, s[6:7]
	s_cbranch_execz .LBB14_446
.LBB14_2496:
	v_mov_b32_e32 v6, 0
	v_cmp_ne_u16_sdwa s[8:9], v3, v6 src0_sel:BYTE_3 src1_sel:DWORD
	s_andn2_b64 s[4:5], s[4:5], exec
	s_and_b64 s[8:9], s[8:9], exec
	s_or_b64 s[4:5], s[4:5], s[8:9]
	s_or_b64 exec, exec, s[6:7]
	s_and_saveexec_b64 s[6:7], s[4:5]
	s_cbranch_execnz .LBB14_447
	s_branch .LBB14_448
.LBB14_2497:
	s_movk_i32 s4, 0x80
	v_cmp_eq_u16_sdwa s[12:13], v8, s4 src0_sel:BYTE_0 src1_sel:DWORD
	s_mov_b64 s[4:5], -1
                                        ; implicit-def: $sgpr10
	s_and_saveexec_b64 s[8:9], s[12:13]
; %bb.2498:
	s_mov_b32 s10, 0x7f800001
	s_xor_b64 s[4:5], exec, -1
; %bb.2499:
	s_or_b64 exec, exec, s[8:9]
	s_and_b64 s[4:5], s[4:5], exec
	s_or_saveexec_b64 s[6:7], s[6:7]
	v_mov_b32_e32 v2, s10
	s_xor_b64 exec, exec, s[6:7]
	s_cbranch_execz .LBB14_450
.LBB14_2500:
	v_mov_b32_e32 v2, 0
	v_cmp_ne_u16_sdwa s[8:9], v8, v2 src0_sel:BYTE_0 src1_sel:DWORD
	s_andn2_b64 s[4:5], s[4:5], exec
	s_and_b64 s[8:9], s[8:9], exec
	s_or_b64 s[4:5], s[4:5], s[8:9]
	s_or_b64 exec, exec, s[6:7]
	s_and_saveexec_b64 s[6:7], s[4:5]
	s_cbranch_execnz .LBB14_451
	s_branch .LBB14_452
.LBB14_2501:
	s_movk_i32 s4, 0x80
	v_cmp_eq_u16_sdwa s[12:13], v4, s4 src0_sel:BYTE_0 src1_sel:DWORD
	s_mov_b64 s[4:5], -1
                                        ; implicit-def: $sgpr10
	s_and_saveexec_b64 s[8:9], s[12:13]
; %bb.2502:
	s_mov_b32 s10, 0x7f800001
	s_xor_b64 s[4:5], exec, -1
; %bb.2503:
	s_or_b64 exec, exec, s[8:9]
	s_and_b64 s[4:5], s[4:5], exec
	s_or_saveexec_b64 s[6:7], s[6:7]
	v_mov_b32_e32 v3, s10
	s_xor_b64 exec, exec, s[6:7]
	s_cbranch_execz .LBB14_454
.LBB14_2504:
	v_mov_b32_e32 v3, 0
	v_cmp_ne_u16_sdwa s[8:9], v4, v3 src0_sel:BYTE_0 src1_sel:DWORD
	s_andn2_b64 s[4:5], s[4:5], exec
	s_and_b64 s[8:9], s[8:9], exec
	s_or_b64 s[4:5], s[4:5], s[8:9]
	s_or_b64 exec, exec, s[6:7]
	s_and_saveexec_b64 s[6:7], s[4:5]
	s_cbranch_execnz .LBB14_455
	s_branch .LBB14_456
.LBB14_2505:
	s_movk_i32 s4, 0x80
	v_cmp_eq_u16_sdwa s[12:13], v3, s4 src0_sel:BYTE_0 src1_sel:DWORD
	s_mov_b64 s[4:5], -1
                                        ; implicit-def: $sgpr10
	s_and_saveexec_b64 s[8:9], s[12:13]
; %bb.2506:
	s_mov_b32 s10, 0x7f800001
	s_xor_b64 s[4:5], exec, -1
; %bb.2507:
	s_or_b64 exec, exec, s[8:9]
	s_and_b64 s[4:5], s[4:5], exec
	s_or_saveexec_b64 s[6:7], s[6:7]
	v_mov_b32_e32 v2, s10
	s_xor_b64 exec, exec, s[6:7]
	s_cbranch_execz .LBB14_458
.LBB14_2508:
	v_mov_b32_e32 v2, 0
	v_cmp_ne_u16_sdwa s[8:9], v3, v2 src0_sel:BYTE_0 src1_sel:DWORD
	s_andn2_b64 s[4:5], s[4:5], exec
	s_and_b64 s[8:9], s[8:9], exec
	s_or_b64 s[4:5], s[4:5], s[8:9]
	s_or_b64 exec, exec, s[6:7]
	s_and_saveexec_b64 s[6:7], s[4:5]
	s_cbranch_execnz .LBB14_459
	s_branch .LBB14_460
.LBB14_2509:
	s_movk_i32 s4, 0x80
	v_cmp_eq_u16_sdwa s[12:13], v3, s4 src0_sel:BYTE_0 src1_sel:DWORD
	s_mov_b64 s[4:5], -1
                                        ; implicit-def: $sgpr10
	s_and_saveexec_b64 s[8:9], s[12:13]
; %bb.2510:
	s_mov_b32 s10, 0x7f800001
	s_xor_b64 s[4:5], exec, -1
; %bb.2511:
	s_or_b64 exec, exec, s[8:9]
	s_and_b64 s[4:5], s[4:5], exec
	s_or_saveexec_b64 s[6:7], s[6:7]
	v_mov_b32_e32 v6, s10
	s_xor_b64 exec, exec, s[6:7]
	s_cbranch_execz .LBB14_462
.LBB14_2512:
	v_mov_b32_e32 v6, 0
	v_cmp_ne_u16_sdwa s[8:9], v3, v6 src0_sel:BYTE_0 src1_sel:DWORD
	s_andn2_b64 s[4:5], s[4:5], exec
	s_and_b64 s[8:9], s[8:9], exec
	s_or_b64 s[4:5], s[4:5], s[8:9]
	s_or_b64 exec, exec, s[6:7]
	s_and_saveexec_b64 s[6:7], s[4:5]
	s_cbranch_execnz .LBB14_463
	s_branch .LBB14_464
.LBB14_2513:
	s_movk_i32 s4, 0x80
	v_cmp_eq_u16_e32 vcc, s4, v3
	s_mov_b64 s[4:5], -1
                                        ; implicit-def: $sgpr10
	s_and_saveexec_b64 s[8:9], vcc
; %bb.2514:
	s_mov_b32 s10, 0x7f800001
	s_xor_b64 s[4:5], exec, -1
; %bb.2515:
	s_or_b64 exec, exec, s[8:9]
	s_and_b64 s[4:5], s[4:5], exec
                                        ; implicit-def: $vgpr3
	s_or_saveexec_b64 s[6:7], s[6:7]
	v_mov_b32_e32 v2, s10
	s_xor_b64 exec, exec, s[6:7]
	s_cbranch_execz .LBB14_466
.LBB14_2516:
	v_cmp_ne_u16_e32 vcc, 0, v3
	s_andn2_b64 s[4:5], s[4:5], exec
	s_and_b64 s[8:9], vcc, exec
	v_mov_b32_e32 v2, 0
	s_or_b64 s[4:5], s[4:5], s[8:9]
	s_or_b64 exec, exec, s[6:7]
	s_and_saveexec_b64 s[6:7], s[4:5]
	s_cbranch_execnz .LBB14_467
	s_branch .LBB14_468
.LBB14_2517:
	s_movk_i32 s4, 0x80
	v_cmp_eq_u16_e32 vcc, s4, v3
	s_mov_b64 s[4:5], -1
                                        ; implicit-def: $sgpr10
	s_and_saveexec_b64 s[8:9], vcc
; %bb.2518:
	s_mov_b32 s10, 0x7f800001
	s_xor_b64 s[4:5], exec, -1
; %bb.2519:
	s_or_b64 exec, exec, s[8:9]
	s_and_b64 s[4:5], s[4:5], exec
                                        ; implicit-def: $vgpr3
	s_or_saveexec_b64 s[6:7], s[6:7]
	v_mov_b32_e32 v6, s10
	s_xor_b64 exec, exec, s[6:7]
	s_cbranch_execz .LBB14_470
.LBB14_2520:
	v_cmp_ne_u16_e32 vcc, 0, v3
	s_andn2_b64 s[4:5], s[4:5], exec
	s_and_b64 s[8:9], vcc, exec
	v_mov_b32_e32 v6, 0
	s_or_b64 s[4:5], s[4:5], s[8:9]
	s_or_b64 exec, exec, s[6:7]
	s_and_saveexec_b64 s[6:7], s[4:5]
	s_cbranch_execnz .LBB14_471
	s_branch .LBB14_472
.LBB14_2521:
	s_movk_i32 s4, 0x80
	v_cmp_eq_u16_sdwa s[12:13], v8, s4 src0_sel:BYTE_3 src1_sel:DWORD
	s_mov_b64 s[4:5], -1
                                        ; implicit-def: $sgpr10
	s_and_saveexec_b64 s[8:9], s[12:13]
; %bb.2522:
	s_mov_b32 s10, 0x7f800001
	s_xor_b64 s[4:5], exec, -1
; %bb.2523:
	s_or_b64 exec, exec, s[8:9]
	s_and_b64 s[4:5], s[4:5], exec
	s_or_saveexec_b64 s[6:7], s[6:7]
	v_mov_b32_e32 v2, s10
	s_xor_b64 exec, exec, s[6:7]
	s_cbranch_execz .LBB14_474
.LBB14_2524:
	v_mov_b32_e32 v2, 0
	v_cmp_ne_u16_sdwa s[8:9], v8, v2 src0_sel:BYTE_3 src1_sel:DWORD
	s_andn2_b64 s[4:5], s[4:5], exec
	s_and_b64 s[8:9], s[8:9], exec
	s_or_b64 s[4:5], s[4:5], s[8:9]
	s_or_b64 exec, exec, s[6:7]
	s_and_saveexec_b64 s[6:7], s[4:5]
	s_cbranch_execnz .LBB14_475
	s_branch .LBB14_476
.LBB14_2525:
	s_movk_i32 s4, 0x80
	v_cmp_eq_u16_sdwa s[12:13], v4, s4 src0_sel:BYTE_3 src1_sel:DWORD
	s_mov_b64 s[4:5], -1
                                        ; implicit-def: $sgpr10
	s_and_saveexec_b64 s[8:9], s[12:13]
; %bb.2526:
	s_mov_b32 s10, 0x7f800001
	s_xor_b64 s[4:5], exec, -1
; %bb.2527:
	s_or_b64 exec, exec, s[8:9]
	s_and_b64 s[4:5], s[4:5], exec
	s_or_saveexec_b64 s[6:7], s[6:7]
	v_mov_b32_e32 v3, s10
	s_xor_b64 exec, exec, s[6:7]
	s_cbranch_execz .LBB14_478
.LBB14_2528:
	v_mov_b32_e32 v3, 0
	v_cmp_ne_u16_sdwa s[8:9], v4, v3 src0_sel:BYTE_3 src1_sel:DWORD
	s_andn2_b64 s[4:5], s[4:5], exec
	s_and_b64 s[8:9], s[8:9], exec
	s_or_b64 s[4:5], s[4:5], s[8:9]
	s_or_b64 exec, exec, s[6:7]
	s_and_saveexec_b64 s[6:7], s[4:5]
	s_cbranch_execnz .LBB14_479
	s_branch .LBB14_480
.LBB14_2529:
	s_movk_i32 s4, 0x80
	v_cmp_eq_u16_sdwa s[12:13], v9, s4 src0_sel:BYTE_0 src1_sel:DWORD
	s_mov_b64 s[4:5], -1
                                        ; implicit-def: $sgpr10
	s_and_saveexec_b64 s[8:9], s[12:13]
; %bb.2530:
	s_mov_b32 s10, 0x7f800001
	s_xor_b64 s[4:5], exec, -1
; %bb.2531:
	s_or_b64 exec, exec, s[8:9]
	s_and_b64 s[4:5], s[4:5], exec
	s_or_saveexec_b64 s[6:7], s[6:7]
	v_mov_b32_e32 v2, s10
	s_xor_b64 exec, exec, s[6:7]
	s_cbranch_execz .LBB14_482
.LBB14_2532:
	v_mov_b32_e32 v2, 0
	v_cmp_ne_u16_sdwa s[8:9], v9, v2 src0_sel:BYTE_0 src1_sel:DWORD
	s_andn2_b64 s[4:5], s[4:5], exec
	s_and_b64 s[8:9], s[8:9], exec
	s_or_b64 s[4:5], s[4:5], s[8:9]
	s_or_b64 exec, exec, s[6:7]
	s_and_saveexec_b64 s[6:7], s[4:5]
	s_cbranch_execnz .LBB14_483
	s_branch .LBB14_484
.LBB14_2533:
	s_movk_i32 s4, 0x80
	v_cmp_eq_u16_sdwa s[12:13], v5, s4 src0_sel:BYTE_0 src1_sel:DWORD
	s_mov_b64 s[4:5], -1
                                        ; implicit-def: $sgpr10
	s_and_saveexec_b64 s[8:9], s[12:13]
; %bb.2534:
	s_mov_b32 s10, 0x7f800001
	s_xor_b64 s[4:5], exec, -1
; %bb.2535:
	s_or_b64 exec, exec, s[8:9]
	s_and_b64 s[4:5], s[4:5], exec
	s_or_saveexec_b64 s[6:7], s[6:7]
	v_mov_b32_e32 v3, s10
	s_xor_b64 exec, exec, s[6:7]
	s_cbranch_execz .LBB14_486
.LBB14_2536:
	v_mov_b32_e32 v3, 0
	v_cmp_ne_u16_sdwa s[8:9], v5, v3 src0_sel:BYTE_0 src1_sel:DWORD
	s_andn2_b64 s[4:5], s[4:5], exec
	s_and_b64 s[8:9], s[8:9], exec
	s_or_b64 s[4:5], s[4:5], s[8:9]
	s_or_b64 exec, exec, s[6:7]
	s_and_saveexec_b64 s[6:7], s[4:5]
	s_cbranch_execnz .LBB14_487
	s_branch .LBB14_488
.LBB14_2537:
	s_movk_i32 s4, 0x80
	v_cmp_eq_u16_sdwa s[12:13], v3, s4 src0_sel:BYTE_0 src1_sel:DWORD
	s_mov_b64 s[4:5], -1
                                        ; implicit-def: $sgpr10
	s_and_saveexec_b64 s[8:9], s[12:13]
; %bb.2538:
	s_mov_b32 s10, 0x7f800001
	s_xor_b64 s[4:5], exec, -1
; %bb.2539:
	s_or_b64 exec, exec, s[8:9]
	s_and_b64 s[4:5], s[4:5], exec
	s_or_saveexec_b64 s[6:7], s[6:7]
	v_mov_b32_e32 v2, s10
	s_xor_b64 exec, exec, s[6:7]
	s_cbranch_execz .LBB14_490
.LBB14_2540:
	v_mov_b32_e32 v2, 0
	v_cmp_ne_u16_sdwa s[8:9], v3, v2 src0_sel:BYTE_0 src1_sel:DWORD
	s_andn2_b64 s[4:5], s[4:5], exec
	s_and_b64 s[8:9], s[8:9], exec
	s_or_b64 s[4:5], s[4:5], s[8:9]
	s_or_b64 exec, exec, s[6:7]
	s_and_saveexec_b64 s[6:7], s[4:5]
	s_cbranch_execnz .LBB14_491
	s_branch .LBB14_492
.LBB14_2541:
	s_movk_i32 s4, 0x80
	v_cmp_eq_u16_sdwa s[12:13], v3, s4 src0_sel:BYTE_0 src1_sel:DWORD
	s_mov_b64 s[4:5], -1
                                        ; implicit-def: $sgpr10
	s_and_saveexec_b64 s[8:9], s[12:13]
; %bb.2542:
	s_mov_b32 s10, 0x7f800001
	s_xor_b64 s[4:5], exec, -1
; %bb.2543:
	s_or_b64 exec, exec, s[8:9]
	s_and_b64 s[4:5], s[4:5], exec
	s_or_saveexec_b64 s[6:7], s[6:7]
	v_mov_b32_e32 v4, s10
	s_xor_b64 exec, exec, s[6:7]
	s_cbranch_execz .LBB14_494
.LBB14_2544:
	v_mov_b32_e32 v4, 0
	v_cmp_ne_u16_sdwa s[8:9], v3, v4 src0_sel:BYTE_0 src1_sel:DWORD
	s_andn2_b64 s[4:5], s[4:5], exec
	s_and_b64 s[8:9], s[8:9], exec
	s_or_b64 s[4:5], s[4:5], s[8:9]
	s_or_b64 exec, exec, s[6:7]
	s_and_saveexec_b64 s[6:7], s[4:5]
	s_cbranch_execnz .LBB14_495
	s_branch .LBB14_496
.LBB14_2545:
	s_movk_i32 s4, 0x80
	v_cmp_eq_u16_e32 vcc, s4, v3
	s_mov_b64 s[4:5], -1
                                        ; implicit-def: $sgpr10
	s_and_saveexec_b64 s[8:9], vcc
; %bb.2546:
	s_mov_b32 s10, 0x7f800001
	s_xor_b64 s[4:5], exec, -1
; %bb.2547:
	s_or_b64 exec, exec, s[8:9]
	s_and_b64 s[4:5], s[4:5], exec
                                        ; implicit-def: $vgpr3
	s_or_saveexec_b64 s[6:7], s[6:7]
	v_mov_b32_e32 v2, s10
	s_xor_b64 exec, exec, s[6:7]
	s_cbranch_execz .LBB14_498
.LBB14_2548:
	v_cmp_ne_u16_e32 vcc, 0, v3
	s_andn2_b64 s[4:5], s[4:5], exec
	s_and_b64 s[8:9], vcc, exec
	v_mov_b32_e32 v2, 0
	s_or_b64 s[4:5], s[4:5], s[8:9]
	s_or_b64 exec, exec, s[6:7]
	s_and_saveexec_b64 s[6:7], s[4:5]
	s_cbranch_execnz .LBB14_499
	s_branch .LBB14_500
.LBB14_2549:
	s_movk_i32 s4, 0x80
	v_cmp_eq_u16_e32 vcc, s4, v3
	s_mov_b64 s[4:5], -1
                                        ; implicit-def: $sgpr10
	s_and_saveexec_b64 s[8:9], vcc
; %bb.2550:
	s_mov_b32 s10, 0x7f800001
	s_xor_b64 s[4:5], exec, -1
; %bb.2551:
	s_or_b64 exec, exec, s[8:9]
	s_and_b64 s[4:5], s[4:5], exec
                                        ; implicit-def: $vgpr3
	s_or_saveexec_b64 s[6:7], s[6:7]
	v_mov_b32_e32 v4, s10
	s_xor_b64 exec, exec, s[6:7]
	s_cbranch_execz .LBB14_502
.LBB14_2552:
	v_cmp_ne_u16_e32 vcc, 0, v3
	s_andn2_b64 s[4:5], s[4:5], exec
	s_and_b64 s[8:9], vcc, exec
	v_mov_b32_e32 v4, 0
	s_or_b64 s[4:5], s[4:5], s[8:9]
	s_or_b64 exec, exec, s[6:7]
	s_and_saveexec_b64 s[6:7], s[4:5]
	s_cbranch_execnz .LBB14_503
	s_branch .LBB14_504
.LBB14_2553:
	s_movk_i32 s4, 0x80
	v_cmp_eq_u16_sdwa s[12:13], v9, s4 src0_sel:BYTE_3 src1_sel:DWORD
	s_mov_b64 s[4:5], -1
                                        ; implicit-def: $sgpr10
	s_and_saveexec_b64 s[8:9], s[12:13]
; %bb.2554:
	s_mov_b32 s10, 0x7f800001
	s_xor_b64 s[4:5], exec, -1
; %bb.2555:
	s_or_b64 exec, exec, s[8:9]
	s_and_b64 s[4:5], s[4:5], exec
	s_or_saveexec_b64 s[6:7], s[6:7]
	v_mov_b32_e32 v2, s10
	s_xor_b64 exec, exec, s[6:7]
	s_cbranch_execz .LBB14_506
.LBB14_2556:
	v_mov_b32_e32 v2, 0
	v_cmp_ne_u16_sdwa s[8:9], v9, v2 src0_sel:BYTE_3 src1_sel:DWORD
	s_andn2_b64 s[4:5], s[4:5], exec
	s_and_b64 s[8:9], s[8:9], exec
	s_or_b64 s[4:5], s[4:5], s[8:9]
	s_or_b64 exec, exec, s[6:7]
	s_and_saveexec_b64 s[6:7], s[4:5]
	s_cbranch_execnz .LBB14_507
	s_branch .LBB14_508
.LBB14_2557:
	s_movk_i32 s4, 0x80
	v_cmp_eq_u16_sdwa s[12:13], v5, s4 src0_sel:BYTE_3 src1_sel:DWORD
	s_mov_b64 s[4:5], -1
                                        ; implicit-def: $sgpr10
	s_and_saveexec_b64 s[8:9], s[12:13]
; %bb.2558:
	s_mov_b32 s10, 0x7f800001
	s_xor_b64 s[4:5], exec, -1
; %bb.2559:
	s_or_b64 exec, exec, s[8:9]
	s_and_b64 s[4:5], s[4:5], exec
	s_or_saveexec_b64 s[6:7], s[6:7]
	v_mov_b32_e32 v3, s10
	s_xor_b64 exec, exec, s[6:7]
	s_cbranch_execz .LBB14_510
.LBB14_2560:
	v_mov_b32_e32 v3, 0
	v_cmp_ne_u16_sdwa s[8:9], v5, v3 src0_sel:BYTE_3 src1_sel:DWORD
	s_andn2_b64 s[4:5], s[4:5], exec
	s_and_b64 s[8:9], s[8:9], exec
	s_or_b64 s[4:5], s[4:5], s[8:9]
	s_or_b64 exec, exec, s[6:7]
	s_and_saveexec_b64 s[6:7], s[4:5]
	s_cbranch_execnz .LBB14_511
	s_branch .LBB14_512
.LBB14_2561:
	s_movk_i32 s4, 0x80
	v_cmp_eq_u16_sdwa s[12:13], v14, s4 src0_sel:BYTE_0 src1_sel:DWORD
	s_mov_b64 s[4:5], -1
                                        ; implicit-def: $sgpr10
	s_and_saveexec_b64 s[8:9], s[12:13]
; %bb.2562:
	s_mov_b32 s10, 0x7f800001
	s_xor_b64 s[4:5], exec, -1
; %bb.2563:
	s_or_b64 exec, exec, s[8:9]
	s_and_b64 s[4:5], s[4:5], exec
	s_or_saveexec_b64 s[6:7], s[6:7]
	v_mov_b32_e32 v20, s10
	s_xor_b64 exec, exec, s[6:7]
	s_cbranch_execz .LBB14_514
.LBB14_2564:
	v_mov_b32_e32 v20, 0
	v_cmp_ne_u16_sdwa s[8:9], v14, v20 src0_sel:BYTE_0 src1_sel:DWORD
	s_andn2_b64 s[4:5], s[4:5], exec
	s_and_b64 s[8:9], s[8:9], exec
	s_or_b64 s[4:5], s[4:5], s[8:9]
	s_or_b64 exec, exec, s[6:7]
	s_and_saveexec_b64 s[6:7], s[4:5]
	s_cbranch_execnz .LBB14_515
	s_branch .LBB14_516
.LBB14_2565:
	s_movk_i32 s4, 0x80
	v_cmp_eq_u16_sdwa s[12:13], v10, s4 src0_sel:BYTE_0 src1_sel:DWORD
	s_mov_b64 s[4:5], -1
                                        ; implicit-def: $sgpr10
	s_and_saveexec_b64 s[8:9], s[12:13]
; %bb.2566:
	s_mov_b32 s10, 0x7f800001
	s_xor_b64 s[4:5], exec, -1
; %bb.2567:
	s_or_b64 exec, exec, s[8:9]
	s_and_b64 s[4:5], s[4:5], exec
	s_or_saveexec_b64 s[6:7], s[6:7]
	v_mov_b32_e32 v21, s10
	s_xor_b64 exec, exec, s[6:7]
	s_cbranch_execz .LBB14_518
.LBB14_2568:
	v_mov_b32_e32 v21, 0
	v_cmp_ne_u16_sdwa s[8:9], v10, v21 src0_sel:BYTE_0 src1_sel:DWORD
	s_andn2_b64 s[4:5], s[4:5], exec
	s_and_b64 s[8:9], s[8:9], exec
	s_or_b64 s[4:5], s[4:5], s[8:9]
	s_or_b64 exec, exec, s[6:7]
	s_and_saveexec_b64 s[6:7], s[4:5]
	s_cbranch_execnz .LBB14_519
	s_branch .LBB14_520
.LBB14_2569:
	s_movk_i32 s4, 0x80
	v_cmp_eq_u16_sdwa s[12:13], v21, s4 src0_sel:BYTE_0 src1_sel:DWORD
	s_mov_b64 s[4:5], -1
                                        ; implicit-def: $sgpr10
	s_and_saveexec_b64 s[8:9], s[12:13]
; %bb.2570:
	s_mov_b32 s10, 0x7f800001
	s_xor_b64 s[4:5], exec, -1
; %bb.2571:
	s_or_b64 exec, exec, s[8:9]
	s_and_b64 s[4:5], s[4:5], exec
	s_or_saveexec_b64 s[6:7], s[6:7]
	v_mov_b32_e32 v20, s10
	s_xor_b64 exec, exec, s[6:7]
	s_cbranch_execz .LBB14_522
.LBB14_2572:
	v_mov_b32_e32 v20, 0
	v_cmp_ne_u16_sdwa s[8:9], v21, v20 src0_sel:BYTE_0 src1_sel:DWORD
	s_andn2_b64 s[4:5], s[4:5], exec
	s_and_b64 s[8:9], s[8:9], exec
	s_or_b64 s[4:5], s[4:5], s[8:9]
	s_or_b64 exec, exec, s[6:7]
	s_and_saveexec_b64 s[6:7], s[4:5]
	s_cbranch_execnz .LBB14_523
	s_branch .LBB14_524
.LBB14_2573:
	s_movk_i32 s4, 0x80
	v_cmp_eq_u16_sdwa s[12:13], v21, s4 src0_sel:BYTE_0 src1_sel:DWORD
	s_mov_b64 s[4:5], -1
                                        ; implicit-def: $sgpr10
	s_and_saveexec_b64 s[8:9], s[12:13]
; %bb.2574:
	s_mov_b32 s10, 0x7f800001
	s_xor_b64 s[4:5], exec, -1
; %bb.2575:
	s_or_b64 exec, exec, s[8:9]
	s_and_b64 s[4:5], s[4:5], exec
	s_or_saveexec_b64 s[6:7], s[6:7]
	v_mov_b32_e32 v22, s10
	s_xor_b64 exec, exec, s[6:7]
	s_cbranch_execz .LBB14_526
.LBB14_2576:
	v_mov_b32_e32 v22, 0
	v_cmp_ne_u16_sdwa s[8:9], v21, v22 src0_sel:BYTE_0 src1_sel:DWORD
	s_andn2_b64 s[4:5], s[4:5], exec
	s_and_b64 s[8:9], s[8:9], exec
	s_or_b64 s[4:5], s[4:5], s[8:9]
	s_or_b64 exec, exec, s[6:7]
	s_and_saveexec_b64 s[6:7], s[4:5]
	s_cbranch_execnz .LBB14_527
	s_branch .LBB14_528
.LBB14_2577:
	s_movk_i32 s4, 0x80
	v_cmp_eq_u16_e32 vcc, s4, v21
	s_mov_b64 s[4:5], -1
                                        ; implicit-def: $sgpr10
	s_and_saveexec_b64 s[8:9], vcc
; %bb.2578:
	s_mov_b32 s10, 0x7f800001
	s_xor_b64 s[4:5], exec, -1
; %bb.2579:
	s_or_b64 exec, exec, s[8:9]
	s_and_b64 s[4:5], s[4:5], exec
                                        ; implicit-def: $vgpr21
	s_or_saveexec_b64 s[6:7], s[6:7]
	v_mov_b32_e32 v20, s10
	s_xor_b64 exec, exec, s[6:7]
	s_cbranch_execz .LBB14_530
.LBB14_2580:
	v_cmp_ne_u16_e32 vcc, 0, v21
	s_andn2_b64 s[4:5], s[4:5], exec
	s_and_b64 s[8:9], vcc, exec
	v_mov_b32_e32 v20, 0
	s_or_b64 s[4:5], s[4:5], s[8:9]
	s_or_b64 exec, exec, s[6:7]
	s_and_saveexec_b64 s[6:7], s[4:5]
	s_cbranch_execnz .LBB14_531
	s_branch .LBB14_532
.LBB14_2581:
	s_movk_i32 s4, 0x80
	v_cmp_eq_u16_e32 vcc, s4, v21
	s_mov_b64 s[4:5], -1
                                        ; implicit-def: $sgpr10
	s_and_saveexec_b64 s[8:9], vcc
; %bb.2582:
	s_mov_b32 s10, 0x7f800001
	s_xor_b64 s[4:5], exec, -1
; %bb.2583:
	s_or_b64 exec, exec, s[8:9]
	s_and_b64 s[4:5], s[4:5], exec
                                        ; implicit-def: $vgpr21
	s_or_saveexec_b64 s[6:7], s[6:7]
	v_mov_b32_e32 v22, s10
	s_xor_b64 exec, exec, s[6:7]
	s_cbranch_execz .LBB14_534
.LBB14_2584:
	v_cmp_ne_u16_e32 vcc, 0, v21
	s_andn2_b64 s[4:5], s[4:5], exec
	s_and_b64 s[8:9], vcc, exec
	v_mov_b32_e32 v22, 0
	s_or_b64 s[4:5], s[4:5], s[8:9]
	s_or_b64 exec, exec, s[6:7]
	s_and_saveexec_b64 s[6:7], s[4:5]
	s_cbranch_execnz .LBB14_535
	s_branch .LBB14_536
.LBB14_2585:
	s_movk_i32 s4, 0x80
	v_cmp_eq_u16_sdwa s[12:13], v14, s4 src0_sel:BYTE_3 src1_sel:DWORD
	s_mov_b64 s[4:5], -1
                                        ; implicit-def: $sgpr10
	s_and_saveexec_b64 s[8:9], s[12:13]
; %bb.2586:
	s_mov_b32 s10, 0x7f800001
	s_xor_b64 s[4:5], exec, -1
; %bb.2587:
	s_or_b64 exec, exec, s[8:9]
	s_and_b64 s[4:5], s[4:5], exec
	s_or_saveexec_b64 s[6:7], s[6:7]
	v_mov_b32_e32 v20, s10
	s_xor_b64 exec, exec, s[6:7]
	s_cbranch_execz .LBB14_538
.LBB14_2588:
	v_mov_b32_e32 v20, 0
	v_cmp_ne_u16_sdwa s[8:9], v14, v20 src0_sel:BYTE_3 src1_sel:DWORD
	s_andn2_b64 s[4:5], s[4:5], exec
	s_and_b64 s[8:9], s[8:9], exec
	s_or_b64 s[4:5], s[4:5], s[8:9]
	s_or_b64 exec, exec, s[6:7]
	s_and_saveexec_b64 s[6:7], s[4:5]
	s_cbranch_execnz .LBB14_539
	s_branch .LBB14_540
.LBB14_2589:
	s_movk_i32 s4, 0x80
	v_cmp_eq_u16_sdwa s[12:13], v10, s4 src0_sel:BYTE_3 src1_sel:DWORD
	s_mov_b64 s[4:5], -1
                                        ; implicit-def: $sgpr10
	s_and_saveexec_b64 s[8:9], s[12:13]
; %bb.2590:
	s_mov_b32 s10, 0x7f800001
	s_xor_b64 s[4:5], exec, -1
; %bb.2591:
	s_or_b64 exec, exec, s[8:9]
	s_and_b64 s[4:5], s[4:5], exec
	s_or_saveexec_b64 s[6:7], s[6:7]
	v_mov_b32_e32 v14, s10
	s_xor_b64 exec, exec, s[6:7]
	s_cbranch_execz .LBB14_542
.LBB14_2592:
	v_mov_b32_e32 v14, 0
	v_cmp_ne_u16_sdwa s[8:9], v10, v14 src0_sel:BYTE_3 src1_sel:DWORD
	s_andn2_b64 s[4:5], s[4:5], exec
	s_and_b64 s[8:9], s[8:9], exec
	s_or_b64 s[4:5], s[4:5], s[8:9]
	s_or_b64 exec, exec, s[6:7]
	s_and_saveexec_b64 s[6:7], s[4:5]
	s_cbranch_execnz .LBB14_543
	s_branch .LBB14_544
.LBB14_2593:
	s_movk_i32 s4, 0x80
	v_cmp_eq_u16_sdwa s[12:13], v15, s4 src0_sel:BYTE_0 src1_sel:DWORD
	s_mov_b64 s[4:5], -1
                                        ; implicit-def: $sgpr10
	s_and_saveexec_b64 s[8:9], s[12:13]
; %bb.2594:
	s_mov_b32 s10, 0x7f800001
	s_xor_b64 s[4:5], exec, -1
; %bb.2595:
	s_or_b64 exec, exec, s[8:9]
	s_and_b64 s[4:5], s[4:5], exec
	s_or_saveexec_b64 s[6:7], s[6:7]
	v_mov_b32_e32 v10, s10
	s_xor_b64 exec, exec, s[6:7]
	s_cbranch_execz .LBB14_546
.LBB14_2596:
	v_mov_b32_e32 v10, 0
	v_cmp_ne_u16_sdwa s[8:9], v15, v10 src0_sel:BYTE_0 src1_sel:DWORD
	s_andn2_b64 s[4:5], s[4:5], exec
	s_and_b64 s[8:9], s[8:9], exec
	s_or_b64 s[4:5], s[4:5], s[8:9]
	s_or_b64 exec, exec, s[6:7]
	s_and_saveexec_b64 s[6:7], s[4:5]
	s_cbranch_execnz .LBB14_547
	s_branch .LBB14_548
.LBB14_2597:
	s_movk_i32 s4, 0x80
	v_cmp_eq_u16_sdwa s[12:13], v11, s4 src0_sel:BYTE_0 src1_sel:DWORD
	s_mov_b64 s[4:5], -1
                                        ; implicit-def: $sgpr10
	s_and_saveexec_b64 s[8:9], s[12:13]
; %bb.2598:
	s_mov_b32 s10, 0x7f800001
	s_xor_b64 s[4:5], exec, -1
; %bb.2599:
	s_or_b64 exec, exec, s[8:9]
	s_and_b64 s[4:5], s[4:5], exec
	s_or_saveexec_b64 s[6:7], s[6:7]
	v_mov_b32_e32 v14, s10
	s_xor_b64 exec, exec, s[6:7]
	s_cbranch_execz .LBB14_550
.LBB14_2600:
	v_mov_b32_e32 v14, 0
	v_cmp_ne_u16_sdwa s[8:9], v11, v14 src0_sel:BYTE_0 src1_sel:DWORD
	s_andn2_b64 s[4:5], s[4:5], exec
	s_and_b64 s[8:9], s[8:9], exec
	s_or_b64 s[4:5], s[4:5], s[8:9]
	s_or_b64 exec, exec, s[6:7]
	s_and_saveexec_b64 s[6:7], s[4:5]
	s_cbranch_execnz .LBB14_551
	s_branch .LBB14_552
.LBB14_2601:
	s_movk_i32 s4, 0x80
	v_cmp_eq_u16_sdwa s[12:13], v14, s4 src0_sel:BYTE_0 src1_sel:DWORD
	s_mov_b64 s[4:5], -1
                                        ; implicit-def: $sgpr10
	s_and_saveexec_b64 s[8:9], s[12:13]
; %bb.2602:
	s_mov_b32 s10, 0x7f800001
	s_xor_b64 s[4:5], exec, -1
; %bb.2603:
	s_or_b64 exec, exec, s[8:9]
	s_and_b64 s[4:5], s[4:5], exec
	s_or_saveexec_b64 s[6:7], s[6:7]
	v_mov_b32_e32 v10, s10
	s_xor_b64 exec, exec, s[6:7]
	s_cbranch_execz .LBB14_554
.LBB14_2604:
	v_mov_b32_e32 v10, 0
	v_cmp_ne_u16_sdwa s[8:9], v14, v10 src0_sel:BYTE_0 src1_sel:DWORD
	s_andn2_b64 s[4:5], s[4:5], exec
	s_and_b64 s[8:9], s[8:9], exec
	s_or_b64 s[4:5], s[4:5], s[8:9]
	s_or_b64 exec, exec, s[6:7]
	s_and_saveexec_b64 s[6:7], s[4:5]
	s_cbranch_execnz .LBB14_555
	s_branch .LBB14_556
.LBB14_2605:
	s_movk_i32 s4, 0x80
	v_cmp_eq_u16_sdwa s[12:13], v14, s4 src0_sel:BYTE_0 src1_sel:DWORD
	s_mov_b64 s[4:5], -1
                                        ; implicit-def: $sgpr10
	s_and_saveexec_b64 s[8:9], s[12:13]
; %bb.2606:
	s_mov_b32 s10, 0x7f800001
	s_xor_b64 s[4:5], exec, -1
; %bb.2607:
	s_or_b64 exec, exec, s[8:9]
	s_and_b64 s[4:5], s[4:5], exec
	s_or_saveexec_b64 s[6:7], s[6:7]
	v_mov_b32_e32 v20, s10
	s_xor_b64 exec, exec, s[6:7]
	s_cbranch_execz .LBB14_558
.LBB14_2608:
	v_mov_b32_e32 v20, 0
	v_cmp_ne_u16_sdwa s[8:9], v14, v20 src0_sel:BYTE_0 src1_sel:DWORD
	s_andn2_b64 s[4:5], s[4:5], exec
	s_and_b64 s[8:9], s[8:9], exec
	s_or_b64 s[4:5], s[4:5], s[8:9]
	s_or_b64 exec, exec, s[6:7]
	s_and_saveexec_b64 s[6:7], s[4:5]
	s_cbranch_execnz .LBB14_559
	s_branch .LBB14_560
.LBB14_2609:
	s_movk_i32 s4, 0x80
	v_cmp_eq_u16_e32 vcc, s4, v14
	s_mov_b64 s[4:5], -1
                                        ; implicit-def: $sgpr10
	s_and_saveexec_b64 s[8:9], vcc
; %bb.2610:
	s_mov_b32 s10, 0x7f800001
	s_xor_b64 s[4:5], exec, -1
; %bb.2611:
	s_or_b64 exec, exec, s[8:9]
	s_and_b64 s[4:5], s[4:5], exec
                                        ; implicit-def: $vgpr14
	s_or_saveexec_b64 s[6:7], s[6:7]
	v_mov_b32_e32 v10, s10
	s_xor_b64 exec, exec, s[6:7]
	s_cbranch_execz .LBB14_562
.LBB14_2612:
	v_cmp_ne_u16_e32 vcc, 0, v14
	s_andn2_b64 s[4:5], s[4:5], exec
	s_and_b64 s[8:9], vcc, exec
	v_mov_b32_e32 v10, 0
	s_or_b64 s[4:5], s[4:5], s[8:9]
	s_or_b64 exec, exec, s[6:7]
	s_and_saveexec_b64 s[6:7], s[4:5]
	s_cbranch_execnz .LBB14_563
	s_branch .LBB14_564
.LBB14_2613:
	s_movk_i32 s4, 0x80
	v_cmp_eq_u16_e32 vcc, s4, v14
	s_mov_b64 s[4:5], -1
                                        ; implicit-def: $sgpr10
	s_and_saveexec_b64 s[8:9], vcc
; %bb.2614:
	s_mov_b32 s10, 0x7f800001
	s_xor_b64 s[4:5], exec, -1
; %bb.2615:
	s_or_b64 exec, exec, s[8:9]
	s_and_b64 s[4:5], s[4:5], exec
                                        ; implicit-def: $vgpr14
	s_or_saveexec_b64 s[6:7], s[6:7]
	v_mov_b32_e32 v20, s10
	s_xor_b64 exec, exec, s[6:7]
	s_cbranch_execz .LBB14_566
.LBB14_2616:
	v_cmp_ne_u16_e32 vcc, 0, v14
	s_andn2_b64 s[4:5], s[4:5], exec
	s_and_b64 s[8:9], vcc, exec
	v_mov_b32_e32 v20, 0
	s_or_b64 s[4:5], s[4:5], s[8:9]
	s_or_b64 exec, exec, s[6:7]
	s_and_saveexec_b64 s[6:7], s[4:5]
	s_cbranch_execnz .LBB14_567
	s_branch .LBB14_568
.LBB14_2617:
	s_movk_i32 s4, 0x80
	v_cmp_eq_u16_sdwa s[12:13], v15, s4 src0_sel:BYTE_3 src1_sel:DWORD
	s_mov_b64 s[4:5], -1
                                        ; implicit-def: $sgpr10
	s_and_saveexec_b64 s[8:9], s[12:13]
; %bb.2618:
	s_mov_b32 s10, 0x7f800001
	s_xor_b64 s[4:5], exec, -1
; %bb.2619:
	s_or_b64 exec, exec, s[8:9]
	s_and_b64 s[4:5], s[4:5], exec
	s_or_saveexec_b64 s[6:7], s[6:7]
	v_mov_b32_e32 v10, s10
	s_xor_b64 exec, exec, s[6:7]
	s_cbranch_execz .LBB14_570
.LBB14_2620:
	v_mov_b32_e32 v10, 0
	v_cmp_ne_u16_sdwa s[8:9], v15, v10 src0_sel:BYTE_3 src1_sel:DWORD
	s_andn2_b64 s[4:5], s[4:5], exec
	s_and_b64 s[8:9], s[8:9], exec
	s_or_b64 s[4:5], s[4:5], s[8:9]
	s_or_b64 exec, exec, s[6:7]
	s_and_saveexec_b64 s[6:7], s[4:5]
	s_cbranch_execnz .LBB14_571
	s_branch .LBB14_572
.LBB14_2621:
	s_movk_i32 s4, 0x80
	v_cmp_eq_u16_sdwa s[12:13], v11, s4 src0_sel:BYTE_3 src1_sel:DWORD
	s_mov_b64 s[4:5], -1
                                        ; implicit-def: $sgpr10
	s_and_saveexec_b64 s[8:9], s[12:13]
; %bb.2622:
	s_mov_b32 s10, 0x7f800001
	s_xor_b64 s[4:5], exec, -1
; %bb.2623:
	s_or_b64 exec, exec, s[8:9]
	s_and_b64 s[4:5], s[4:5], exec
	s_or_saveexec_b64 s[6:7], s[6:7]
	v_mov_b32_e32 v14, s10
	s_xor_b64 exec, exec, s[6:7]
	s_cbranch_execz .LBB14_574
.LBB14_2624:
	v_mov_b32_e32 v14, 0
	v_cmp_ne_u16_sdwa s[8:9], v11, v14 src0_sel:BYTE_3 src1_sel:DWORD
	s_andn2_b64 s[4:5], s[4:5], exec
	s_and_b64 s[8:9], s[8:9], exec
	s_or_b64 s[4:5], s[4:5], s[8:9]
	s_or_b64 exec, exec, s[6:7]
	s_and_saveexec_b64 s[6:7], s[4:5]
	s_cbranch_execnz .LBB14_575
	s_branch .LBB14_576
.LBB14_2625:
	s_movk_i32 s4, 0x80
	v_cmp_eq_u16_sdwa s[12:13], v16, s4 src0_sel:BYTE_0 src1_sel:DWORD
	s_mov_b64 s[4:5], -1
                                        ; implicit-def: $sgpr10
	s_and_saveexec_b64 s[8:9], s[12:13]
; %bb.2626:
	s_mov_b32 s10, 0x7f800001
	s_xor_b64 s[4:5], exec, -1
; %bb.2627:
	s_or_b64 exec, exec, s[8:9]
	s_and_b64 s[4:5], s[4:5], exec
	s_or_saveexec_b64 s[6:7], s[6:7]
	v_mov_b32_e32 v10, s10
	s_xor_b64 exec, exec, s[6:7]
	s_cbranch_execz .LBB14_578
.LBB14_2628:
	v_mov_b32_e32 v10, 0
	v_cmp_ne_u16_sdwa s[8:9], v16, v10 src0_sel:BYTE_0 src1_sel:DWORD
	s_andn2_b64 s[4:5], s[4:5], exec
	s_and_b64 s[8:9], s[8:9], exec
	s_or_b64 s[4:5], s[4:5], s[8:9]
	s_or_b64 exec, exec, s[6:7]
	s_and_saveexec_b64 s[6:7], s[4:5]
	s_cbranch_execnz .LBB14_579
	s_branch .LBB14_580
.LBB14_2629:
	s_movk_i32 s4, 0x80
	v_cmp_eq_u16_sdwa s[12:13], v12, s4 src0_sel:BYTE_0 src1_sel:DWORD
	s_mov_b64 s[4:5], -1
                                        ; implicit-def: $sgpr10
	s_and_saveexec_b64 s[8:9], s[12:13]
; %bb.2630:
	s_mov_b32 s10, 0x7f800001
	s_xor_b64 s[4:5], exec, -1
; %bb.2631:
	s_or_b64 exec, exec, s[8:9]
	s_and_b64 s[4:5], s[4:5], exec
	s_or_saveexec_b64 s[6:7], s[6:7]
	v_mov_b32_e32 v11, s10
	s_xor_b64 exec, exec, s[6:7]
	s_cbranch_execz .LBB14_582
.LBB14_2632:
	v_mov_b32_e32 v11, 0
	v_cmp_ne_u16_sdwa s[8:9], v12, v11 src0_sel:BYTE_0 src1_sel:DWORD
	s_andn2_b64 s[4:5], s[4:5], exec
	s_and_b64 s[8:9], s[8:9], exec
	s_or_b64 s[4:5], s[4:5], s[8:9]
	s_or_b64 exec, exec, s[6:7]
	s_and_saveexec_b64 s[6:7], s[4:5]
	s_cbranch_execnz .LBB14_583
	s_branch .LBB14_584
.LBB14_2633:
	s_movk_i32 s4, 0x80
	v_cmp_eq_u16_sdwa s[12:13], v11, s4 src0_sel:BYTE_0 src1_sel:DWORD
	s_mov_b64 s[4:5], -1
                                        ; implicit-def: $sgpr10
	s_and_saveexec_b64 s[8:9], s[12:13]
; %bb.2634:
	s_mov_b32 s10, 0x7f800001
	s_xor_b64 s[4:5], exec, -1
; %bb.2635:
	s_or_b64 exec, exec, s[8:9]
	s_and_b64 s[4:5], s[4:5], exec
	s_or_saveexec_b64 s[6:7], s[6:7]
	v_mov_b32_e32 v10, s10
	s_xor_b64 exec, exec, s[6:7]
	s_cbranch_execz .LBB14_586
.LBB14_2636:
	v_mov_b32_e32 v10, 0
	v_cmp_ne_u16_sdwa s[8:9], v11, v10 src0_sel:BYTE_0 src1_sel:DWORD
	s_andn2_b64 s[4:5], s[4:5], exec
	s_and_b64 s[8:9], s[8:9], exec
	s_or_b64 s[4:5], s[4:5], s[8:9]
	s_or_b64 exec, exec, s[6:7]
	s_and_saveexec_b64 s[6:7], s[4:5]
	s_cbranch_execnz .LBB14_587
	s_branch .LBB14_588
.LBB14_2637:
	s_movk_i32 s4, 0x80
	v_cmp_eq_u16_sdwa s[12:13], v11, s4 src0_sel:BYTE_0 src1_sel:DWORD
	s_mov_b64 s[4:5], -1
                                        ; implicit-def: $sgpr10
	s_and_saveexec_b64 s[8:9], s[12:13]
; %bb.2638:
	s_mov_b32 s10, 0x7f800001
	s_xor_b64 s[4:5], exec, -1
; %bb.2639:
	s_or_b64 exec, exec, s[8:9]
	s_and_b64 s[4:5], s[4:5], exec
	s_or_saveexec_b64 s[6:7], s[6:7]
	v_mov_b32_e32 v14, s10
	s_xor_b64 exec, exec, s[6:7]
	s_cbranch_execz .LBB14_590
.LBB14_2640:
	v_mov_b32_e32 v14, 0
	v_cmp_ne_u16_sdwa s[8:9], v11, v14 src0_sel:BYTE_0 src1_sel:DWORD
	s_andn2_b64 s[4:5], s[4:5], exec
	s_and_b64 s[8:9], s[8:9], exec
	s_or_b64 s[4:5], s[4:5], s[8:9]
	s_or_b64 exec, exec, s[6:7]
	s_and_saveexec_b64 s[6:7], s[4:5]
	s_cbranch_execnz .LBB14_591
	s_branch .LBB14_592
.LBB14_2641:
	s_movk_i32 s4, 0x80
	v_cmp_eq_u16_e32 vcc, s4, v11
	s_mov_b64 s[4:5], -1
                                        ; implicit-def: $sgpr10
	s_and_saveexec_b64 s[8:9], vcc
; %bb.2642:
	s_mov_b32 s10, 0x7f800001
	s_xor_b64 s[4:5], exec, -1
; %bb.2643:
	s_or_b64 exec, exec, s[8:9]
	s_and_b64 s[4:5], s[4:5], exec
                                        ; implicit-def: $vgpr11
	s_or_saveexec_b64 s[6:7], s[6:7]
	v_mov_b32_e32 v10, s10
	s_xor_b64 exec, exec, s[6:7]
	s_cbranch_execz .LBB14_594
.LBB14_2644:
	v_cmp_ne_u16_e32 vcc, 0, v11
	s_andn2_b64 s[4:5], s[4:5], exec
	s_and_b64 s[8:9], vcc, exec
	v_mov_b32_e32 v10, 0
	s_or_b64 s[4:5], s[4:5], s[8:9]
	s_or_b64 exec, exec, s[6:7]
	s_and_saveexec_b64 s[6:7], s[4:5]
	s_cbranch_execnz .LBB14_595
	s_branch .LBB14_596
.LBB14_2645:
	s_movk_i32 s4, 0x80
	v_cmp_eq_u16_e32 vcc, s4, v11
	s_mov_b64 s[4:5], -1
                                        ; implicit-def: $sgpr10
	s_and_saveexec_b64 s[8:9], vcc
; %bb.2646:
	s_mov_b32 s10, 0x7f800001
	s_xor_b64 s[4:5], exec, -1
; %bb.2647:
	s_or_b64 exec, exec, s[8:9]
	s_and_b64 s[4:5], s[4:5], exec
                                        ; implicit-def: $vgpr11
	s_or_saveexec_b64 s[6:7], s[6:7]
	v_mov_b32_e32 v14, s10
	s_xor_b64 exec, exec, s[6:7]
	s_cbranch_execz .LBB14_598
.LBB14_2648:
	v_cmp_ne_u16_e32 vcc, 0, v11
	s_andn2_b64 s[4:5], s[4:5], exec
	s_and_b64 s[8:9], vcc, exec
	v_mov_b32_e32 v14, 0
	s_or_b64 s[4:5], s[4:5], s[8:9]
	s_or_b64 exec, exec, s[6:7]
	s_and_saveexec_b64 s[6:7], s[4:5]
	s_cbranch_execnz .LBB14_599
	s_branch .LBB14_600
.LBB14_2649:
	s_movk_i32 s4, 0x80
	v_cmp_eq_u16_sdwa s[12:13], v16, s4 src0_sel:BYTE_3 src1_sel:DWORD
	s_mov_b64 s[4:5], -1
                                        ; implicit-def: $sgpr10
	s_and_saveexec_b64 s[8:9], s[12:13]
; %bb.2650:
	s_mov_b32 s10, 0x7f800001
	s_xor_b64 s[4:5], exec, -1
; %bb.2651:
	s_or_b64 exec, exec, s[8:9]
	s_and_b64 s[4:5], s[4:5], exec
	s_or_saveexec_b64 s[6:7], s[6:7]
	v_mov_b32_e32 v10, s10
	s_xor_b64 exec, exec, s[6:7]
	s_cbranch_execz .LBB14_602
.LBB14_2652:
	v_mov_b32_e32 v10, 0
	v_cmp_ne_u16_sdwa s[8:9], v16, v10 src0_sel:BYTE_3 src1_sel:DWORD
	s_andn2_b64 s[4:5], s[4:5], exec
	s_and_b64 s[8:9], s[8:9], exec
	s_or_b64 s[4:5], s[4:5], s[8:9]
	s_or_b64 exec, exec, s[6:7]
	s_and_saveexec_b64 s[6:7], s[4:5]
	s_cbranch_execnz .LBB14_603
	s_branch .LBB14_604
.LBB14_2653:
	s_movk_i32 s4, 0x80
	v_cmp_eq_u16_sdwa s[12:13], v12, s4 src0_sel:BYTE_3 src1_sel:DWORD
	s_mov_b64 s[4:5], -1
                                        ; implicit-def: $sgpr10
	s_and_saveexec_b64 s[8:9], s[12:13]
; %bb.2654:
	s_mov_b32 s10, 0x7f800001
	s_xor_b64 s[4:5], exec, -1
; %bb.2655:
	s_or_b64 exec, exec, s[8:9]
	s_and_b64 s[4:5], s[4:5], exec
	s_or_saveexec_b64 s[6:7], s[6:7]
	v_mov_b32_e32 v11, s10
	s_xor_b64 exec, exec, s[6:7]
	s_cbranch_execz .LBB14_606
.LBB14_2656:
	v_mov_b32_e32 v11, 0
	v_cmp_ne_u16_sdwa s[8:9], v12, v11 src0_sel:BYTE_3 src1_sel:DWORD
	s_andn2_b64 s[4:5], s[4:5], exec
	s_and_b64 s[8:9], s[8:9], exec
	s_or_b64 s[4:5], s[4:5], s[8:9]
	s_or_b64 exec, exec, s[6:7]
	s_and_saveexec_b64 s[6:7], s[4:5]
	s_cbranch_execnz .LBB14_607
	s_branch .LBB14_608
.LBB14_2657:
	s_movk_i32 s4, 0x80
	v_cmp_eq_u16_sdwa s[12:13], v17, s4 src0_sel:BYTE_0 src1_sel:DWORD
	s_mov_b64 s[4:5], -1
                                        ; implicit-def: $sgpr10
	s_and_saveexec_b64 s[8:9], s[12:13]
; %bb.2658:
	s_mov_b32 s10, 0x7f800001
	s_xor_b64 s[4:5], exec, -1
; %bb.2659:
	s_or_b64 exec, exec, s[8:9]
	s_and_b64 s[4:5], s[4:5], exec
	s_or_saveexec_b64 s[6:7], s[6:7]
	v_mov_b32_e32 v10, s10
	s_xor_b64 exec, exec, s[6:7]
	s_cbranch_execz .LBB14_610
.LBB14_2660:
	v_mov_b32_e32 v10, 0
	v_cmp_ne_u16_sdwa s[8:9], v17, v10 src0_sel:BYTE_0 src1_sel:DWORD
	s_andn2_b64 s[4:5], s[4:5], exec
	s_and_b64 s[8:9], s[8:9], exec
	s_or_b64 s[4:5], s[4:5], s[8:9]
	s_or_b64 exec, exec, s[6:7]
	s_and_saveexec_b64 s[6:7], s[4:5]
	s_cbranch_execnz .LBB14_611
	s_branch .LBB14_612
.LBB14_2661:
	s_movk_i32 s4, 0x80
	v_cmp_eq_u16_sdwa s[12:13], v13, s4 src0_sel:BYTE_0 src1_sel:DWORD
	s_mov_b64 s[4:5], -1
                                        ; implicit-def: $sgpr10
	s_and_saveexec_b64 s[8:9], s[12:13]
; %bb.2662:
	s_mov_b32 s10, 0x7f800001
	s_xor_b64 s[4:5], exec, -1
; %bb.2663:
	s_or_b64 exec, exec, s[8:9]
	s_and_b64 s[4:5], s[4:5], exec
	s_or_saveexec_b64 s[6:7], s[6:7]
	v_mov_b32_e32 v11, s10
	s_xor_b64 exec, exec, s[6:7]
	s_cbranch_execz .LBB14_614
.LBB14_2664:
	v_mov_b32_e32 v11, 0
	v_cmp_ne_u16_sdwa s[8:9], v13, v11 src0_sel:BYTE_0 src1_sel:DWORD
	s_andn2_b64 s[4:5], s[4:5], exec
	s_and_b64 s[8:9], s[8:9], exec
	s_or_b64 s[4:5], s[4:5], s[8:9]
	s_or_b64 exec, exec, s[6:7]
	s_and_saveexec_b64 s[6:7], s[4:5]
	s_cbranch_execnz .LBB14_615
	s_branch .LBB14_616
.LBB14_2665:
	s_movk_i32 s4, 0x80
	v_cmp_eq_u16_sdwa s[12:13], v11, s4 src0_sel:BYTE_0 src1_sel:DWORD
	s_mov_b64 s[4:5], -1
                                        ; implicit-def: $sgpr10
	s_and_saveexec_b64 s[8:9], s[12:13]
; %bb.2666:
	s_mov_b32 s10, 0x7f800001
	s_xor_b64 s[4:5], exec, -1
; %bb.2667:
	s_or_b64 exec, exec, s[8:9]
	s_and_b64 s[4:5], s[4:5], exec
	s_or_saveexec_b64 s[6:7], s[6:7]
	v_mov_b32_e32 v10, s10
	s_xor_b64 exec, exec, s[6:7]
	s_cbranch_execz .LBB14_618
.LBB14_2668:
	v_mov_b32_e32 v10, 0
	v_cmp_ne_u16_sdwa s[8:9], v11, v10 src0_sel:BYTE_0 src1_sel:DWORD
	s_andn2_b64 s[4:5], s[4:5], exec
	s_and_b64 s[8:9], s[8:9], exec
	s_or_b64 s[4:5], s[4:5], s[8:9]
	s_or_b64 exec, exec, s[6:7]
	s_and_saveexec_b64 s[6:7], s[4:5]
	s_cbranch_execnz .LBB14_619
	s_branch .LBB14_620
.LBB14_2669:
	s_movk_i32 s4, 0x80
	v_cmp_eq_u16_sdwa s[12:13], v11, s4 src0_sel:BYTE_0 src1_sel:DWORD
	s_mov_b64 s[4:5], -1
                                        ; implicit-def: $sgpr10
	s_and_saveexec_b64 s[8:9], s[12:13]
; %bb.2670:
	s_mov_b32 s10, 0x7f800001
	s_xor_b64 s[4:5], exec, -1
; %bb.2671:
	s_or_b64 exec, exec, s[8:9]
	s_and_b64 s[4:5], s[4:5], exec
	s_or_saveexec_b64 s[6:7], s[6:7]
	v_mov_b32_e32 v12, s10
	s_xor_b64 exec, exec, s[6:7]
	s_cbranch_execz .LBB14_622
.LBB14_2672:
	v_mov_b32_e32 v12, 0
	v_cmp_ne_u16_sdwa s[8:9], v11, v12 src0_sel:BYTE_0 src1_sel:DWORD
	s_andn2_b64 s[4:5], s[4:5], exec
	s_and_b64 s[8:9], s[8:9], exec
	s_or_b64 s[4:5], s[4:5], s[8:9]
	s_or_b64 exec, exec, s[6:7]
	s_and_saveexec_b64 s[6:7], s[4:5]
	s_cbranch_execnz .LBB14_623
	s_branch .LBB14_624
.LBB14_2673:
	s_movk_i32 s4, 0x80
	v_cmp_eq_u16_e32 vcc, s4, v11
	s_mov_b64 s[4:5], -1
                                        ; implicit-def: $sgpr10
	s_and_saveexec_b64 s[8:9], vcc
; %bb.2674:
	s_mov_b32 s10, 0x7f800001
	s_xor_b64 s[4:5], exec, -1
; %bb.2675:
	s_or_b64 exec, exec, s[8:9]
	s_and_b64 s[4:5], s[4:5], exec
                                        ; implicit-def: $vgpr11
	s_or_saveexec_b64 s[6:7], s[6:7]
	v_mov_b32_e32 v10, s10
	s_xor_b64 exec, exec, s[6:7]
	s_cbranch_execz .LBB14_626
.LBB14_2676:
	v_cmp_ne_u16_e32 vcc, 0, v11
	s_andn2_b64 s[4:5], s[4:5], exec
	s_and_b64 s[8:9], vcc, exec
	v_mov_b32_e32 v10, 0
	s_or_b64 s[4:5], s[4:5], s[8:9]
	s_or_b64 exec, exec, s[6:7]
	s_and_saveexec_b64 s[6:7], s[4:5]
	s_cbranch_execnz .LBB14_627
	s_branch .LBB14_628
.LBB14_2677:
	s_movk_i32 s4, 0x80
	v_cmp_eq_u16_e32 vcc, s4, v11
	s_mov_b64 s[4:5], -1
                                        ; implicit-def: $sgpr10
	s_and_saveexec_b64 s[8:9], vcc
; %bb.2678:
	s_mov_b32 s10, 0x7f800001
	s_xor_b64 s[4:5], exec, -1
; %bb.2679:
	s_or_b64 exec, exec, s[8:9]
	s_and_b64 s[4:5], s[4:5], exec
                                        ; implicit-def: $vgpr11
	s_or_saveexec_b64 s[6:7], s[6:7]
	v_mov_b32_e32 v12, s10
	s_xor_b64 exec, exec, s[6:7]
	s_cbranch_execz .LBB14_630
.LBB14_2680:
	v_cmp_ne_u16_e32 vcc, 0, v11
	s_andn2_b64 s[4:5], s[4:5], exec
	s_and_b64 s[8:9], vcc, exec
	v_mov_b32_e32 v12, 0
	s_or_b64 s[4:5], s[4:5], s[8:9]
	s_or_b64 exec, exec, s[6:7]
	s_and_saveexec_b64 s[6:7], s[4:5]
	s_cbranch_execnz .LBB14_631
	s_branch .LBB14_632
.LBB14_2681:
	s_movk_i32 s4, 0x80
	v_cmp_eq_u16_sdwa s[12:13], v17, s4 src0_sel:BYTE_3 src1_sel:DWORD
	s_mov_b64 s[4:5], -1
                                        ; implicit-def: $sgpr10
	s_and_saveexec_b64 s[8:9], s[12:13]
; %bb.2682:
	s_mov_b32 s10, 0x7f800001
	s_xor_b64 s[4:5], exec, -1
; %bb.2683:
	s_or_b64 exec, exec, s[8:9]
	s_and_b64 s[4:5], s[4:5], exec
	s_or_saveexec_b64 s[6:7], s[6:7]
	v_mov_b32_e32 v10, s10
	s_xor_b64 exec, exec, s[6:7]
	s_cbranch_execz .LBB14_634
.LBB14_2684:
	v_mov_b32_e32 v10, 0
	v_cmp_ne_u16_sdwa s[8:9], v17, v10 src0_sel:BYTE_3 src1_sel:DWORD
	s_andn2_b64 s[4:5], s[4:5], exec
	s_and_b64 s[8:9], s[8:9], exec
	s_or_b64 s[4:5], s[4:5], s[8:9]
	s_or_b64 exec, exec, s[6:7]
	s_and_saveexec_b64 s[6:7], s[4:5]
	s_cbranch_execnz .LBB14_635
	s_branch .LBB14_636
.LBB14_2685:
	s_movk_i32 s4, 0x80
	v_cmp_eq_u16_sdwa s[12:13], v13, s4 src0_sel:BYTE_3 src1_sel:DWORD
	s_mov_b64 s[4:5], -1
                                        ; implicit-def: $sgpr10
	s_and_saveexec_b64 s[8:9], s[12:13]
; %bb.2686:
	s_mov_b32 s10, 0x7f800001
	s_xor_b64 s[4:5], exec, -1
; %bb.2687:
	s_or_b64 exec, exec, s[8:9]
	s_and_b64 s[4:5], s[4:5], exec
	s_or_saveexec_b64 s[6:7], s[6:7]
	v_mov_b32_e32 v11, s10
	s_xor_b64 exec, exec, s[6:7]
	s_cbranch_execz .LBB14_638
.LBB14_2688:
	v_mov_b32_e32 v11, 0
	v_cmp_ne_u16_sdwa s[8:9], v13, v11 src0_sel:BYTE_3 src1_sel:DWORD
	s_andn2_b64 s[4:5], s[4:5], exec
	s_and_b64 s[8:9], s[8:9], exec
	s_or_b64 s[4:5], s[4:5], s[8:9]
	s_or_b64 exec, exec, s[6:7]
	s_and_saveexec_b64 s[6:7], s[4:5]
	s_cbranch_execnz .LBB14_639
	s_branch .LBB14_640
.LBB14_2689:
	s_movk_i32 s4, 0x80
	v_cmp_eq_u16_sdwa s[12:13], v6, s4 src0_sel:BYTE_0 src1_sel:DWORD
	s_mov_b64 s[4:5], -1
                                        ; implicit-def: $sgpr10
	s_and_saveexec_b64 s[8:9], s[12:13]
; %bb.2690:
	s_mov_b32 s10, 0x7f800001
	s_xor_b64 s[4:5], exec, -1
; %bb.2691:
	s_or_b64 exec, exec, s[8:9]
	s_and_b64 s[4:5], s[4:5], exec
	s_or_saveexec_b64 s[6:7], s[6:7]
	v_mov_b32_e32 v10, s10
	s_xor_b64 exec, exec, s[6:7]
	s_cbranch_execz .LBB14_642
.LBB14_2692:
	v_mov_b32_e32 v10, 0
	v_cmp_ne_u16_sdwa s[8:9], v6, v10 src0_sel:BYTE_0 src1_sel:DWORD
	s_andn2_b64 s[4:5], s[4:5], exec
	s_and_b64 s[8:9], s[8:9], exec
	s_or_b64 s[4:5], s[4:5], s[8:9]
	s_or_b64 exec, exec, s[6:7]
	s_and_saveexec_b64 s[6:7], s[4:5]
	s_cbranch_execnz .LBB14_643
	s_branch .LBB14_644
.LBB14_2693:
	s_movk_i32 s4, 0x80
	v_cmp_eq_u16_sdwa s[12:13], v2, s4 src0_sel:BYTE_0 src1_sel:DWORD
	s_mov_b64 s[4:5], -1
                                        ; implicit-def: $sgpr10
	s_and_saveexec_b64 s[8:9], s[12:13]
; %bb.2694:
	s_mov_b32 s10, 0x7f800001
	s_xor_b64 s[4:5], exec, -1
; %bb.2695:
	s_or_b64 exec, exec, s[8:9]
	s_and_b64 s[4:5], s[4:5], exec
	s_or_saveexec_b64 s[6:7], s[6:7]
	v_mov_b32_e32 v11, s10
	s_xor_b64 exec, exec, s[6:7]
	s_cbranch_execz .LBB14_646
.LBB14_2696:
	v_mov_b32_e32 v11, 0
	v_cmp_ne_u16_sdwa s[8:9], v2, v11 src0_sel:BYTE_0 src1_sel:DWORD
	s_andn2_b64 s[4:5], s[4:5], exec
	s_and_b64 s[8:9], s[8:9], exec
	s_or_b64 s[4:5], s[4:5], s[8:9]
	s_or_b64 exec, exec, s[6:7]
	s_and_saveexec_b64 s[6:7], s[4:5]
	s_cbranch_execnz .LBB14_647
	s_branch .LBB14_648
.LBB14_2697:
	s_movk_i32 s4, 0x80
	v_cmp_eq_u16_sdwa s[12:13], v11, s4 src0_sel:BYTE_0 src1_sel:DWORD
	s_mov_b64 s[4:5], -1
                                        ; implicit-def: $sgpr10
	s_and_saveexec_b64 s[8:9], s[12:13]
; %bb.2698:
	s_mov_b32 s10, 0x7f800001
	s_xor_b64 s[4:5], exec, -1
; %bb.2699:
	s_or_b64 exec, exec, s[8:9]
	s_and_b64 s[4:5], s[4:5], exec
	s_or_saveexec_b64 s[6:7], s[6:7]
	v_mov_b32_e32 v10, s10
	s_xor_b64 exec, exec, s[6:7]
	s_cbranch_execz .LBB14_650
.LBB14_2700:
	v_mov_b32_e32 v10, 0
	v_cmp_ne_u16_sdwa s[8:9], v11, v10 src0_sel:BYTE_0 src1_sel:DWORD
	s_andn2_b64 s[4:5], s[4:5], exec
	s_and_b64 s[8:9], s[8:9], exec
	s_or_b64 s[4:5], s[4:5], s[8:9]
	s_or_b64 exec, exec, s[6:7]
	s_and_saveexec_b64 s[6:7], s[4:5]
	s_cbranch_execnz .LBB14_651
	s_branch .LBB14_652
.LBB14_2701:
	s_movk_i32 s4, 0x80
	v_cmp_eq_u16_sdwa s[12:13], v11, s4 src0_sel:BYTE_0 src1_sel:DWORD
	s_mov_b64 s[4:5], -1
                                        ; implicit-def: $sgpr10
	s_and_saveexec_b64 s[8:9], s[12:13]
; %bb.2702:
	s_mov_b32 s10, 0x7f800001
	s_xor_b64 s[4:5], exec, -1
; %bb.2703:
	s_or_b64 exec, exec, s[8:9]
	s_and_b64 s[4:5], s[4:5], exec
	s_or_saveexec_b64 s[6:7], s[6:7]
	v_mov_b32_e32 v12, s10
	s_xor_b64 exec, exec, s[6:7]
	s_cbranch_execz .LBB14_654
.LBB14_2704:
	v_mov_b32_e32 v12, 0
	v_cmp_ne_u16_sdwa s[8:9], v11, v12 src0_sel:BYTE_0 src1_sel:DWORD
	s_andn2_b64 s[4:5], s[4:5], exec
	s_and_b64 s[8:9], s[8:9], exec
	s_or_b64 s[4:5], s[4:5], s[8:9]
	s_or_b64 exec, exec, s[6:7]
	s_and_saveexec_b64 s[6:7], s[4:5]
	s_cbranch_execnz .LBB14_655
	s_branch .LBB14_656
.LBB14_2705:
	s_movk_i32 s4, 0x80
	v_cmp_eq_u16_e32 vcc, s4, v11
	s_mov_b64 s[4:5], -1
                                        ; implicit-def: $sgpr10
	s_and_saveexec_b64 s[8:9], vcc
; %bb.2706:
	s_mov_b32 s10, 0x7f800001
	s_xor_b64 s[4:5], exec, -1
; %bb.2707:
	s_or_b64 exec, exec, s[8:9]
	s_and_b64 s[4:5], s[4:5], exec
                                        ; implicit-def: $vgpr11
	s_or_saveexec_b64 s[6:7], s[6:7]
	v_mov_b32_e32 v10, s10
	s_xor_b64 exec, exec, s[6:7]
	s_cbranch_execz .LBB14_658
.LBB14_2708:
	v_cmp_ne_u16_e32 vcc, 0, v11
	s_andn2_b64 s[4:5], s[4:5], exec
	s_and_b64 s[8:9], vcc, exec
	v_mov_b32_e32 v10, 0
	s_or_b64 s[4:5], s[4:5], s[8:9]
	s_or_b64 exec, exec, s[6:7]
	s_and_saveexec_b64 s[6:7], s[4:5]
	s_cbranch_execnz .LBB14_659
	s_branch .LBB14_660
.LBB14_2709:
	s_movk_i32 s4, 0x80
	v_cmp_eq_u16_e32 vcc, s4, v11
	s_mov_b64 s[4:5], -1
                                        ; implicit-def: $sgpr10
	s_and_saveexec_b64 s[8:9], vcc
; %bb.2710:
	s_mov_b32 s10, 0x7f800001
	s_xor_b64 s[4:5], exec, -1
; %bb.2711:
	s_or_b64 exec, exec, s[8:9]
	s_and_b64 s[4:5], s[4:5], exec
                                        ; implicit-def: $vgpr11
	s_or_saveexec_b64 s[6:7], s[6:7]
	v_mov_b32_e32 v12, s10
	s_xor_b64 exec, exec, s[6:7]
	s_cbranch_execz .LBB14_662
.LBB14_2712:
	v_cmp_ne_u16_e32 vcc, 0, v11
	s_andn2_b64 s[4:5], s[4:5], exec
	s_and_b64 s[8:9], vcc, exec
	v_mov_b32_e32 v12, 0
	s_or_b64 s[4:5], s[4:5], s[8:9]
	s_or_b64 exec, exec, s[6:7]
	s_and_saveexec_b64 s[6:7], s[4:5]
	s_cbranch_execnz .LBB14_663
	s_branch .LBB14_664
.LBB14_2713:
	s_movk_i32 s4, 0x80
	v_cmp_eq_u16_sdwa s[12:13], v6, s4 src0_sel:BYTE_3 src1_sel:DWORD
	s_mov_b64 s[4:5], -1
                                        ; implicit-def: $sgpr10
	s_and_saveexec_b64 s[8:9], s[12:13]
; %bb.2714:
	s_mov_b32 s10, 0x7f800001
	s_xor_b64 s[4:5], exec, -1
; %bb.2715:
	s_or_b64 exec, exec, s[8:9]
	s_and_b64 s[4:5], s[4:5], exec
	s_or_saveexec_b64 s[6:7], s[6:7]
	v_mov_b32_e32 v10, s10
	s_xor_b64 exec, exec, s[6:7]
	s_cbranch_execz .LBB14_666
.LBB14_2716:
	v_mov_b32_e32 v10, 0
	v_cmp_ne_u16_sdwa s[8:9], v6, v10 src0_sel:BYTE_3 src1_sel:DWORD
	s_andn2_b64 s[4:5], s[4:5], exec
	s_and_b64 s[8:9], s[8:9], exec
	s_or_b64 s[4:5], s[4:5], s[8:9]
	s_or_b64 exec, exec, s[6:7]
	s_and_saveexec_b64 s[6:7], s[4:5]
	s_cbranch_execnz .LBB14_667
	s_branch .LBB14_668
.LBB14_2717:
	s_movk_i32 s4, 0x80
	v_cmp_eq_u16_sdwa s[12:13], v2, s4 src0_sel:BYTE_3 src1_sel:DWORD
	s_mov_b64 s[4:5], -1
                                        ; implicit-def: $sgpr10
	s_and_saveexec_b64 s[8:9], s[12:13]
; %bb.2718:
	s_mov_b32 s10, 0x7f800001
	s_xor_b64 s[4:5], exec, -1
; %bb.2719:
	s_or_b64 exec, exec, s[8:9]
	s_and_b64 s[4:5], s[4:5], exec
	s_or_saveexec_b64 s[6:7], s[6:7]
	v_mov_b32_e32 v6, s10
	s_xor_b64 exec, exec, s[6:7]
	s_cbranch_execz .LBB14_670
.LBB14_2720:
	v_mov_b32_e32 v6, 0
	v_cmp_ne_u16_sdwa s[8:9], v2, v6 src0_sel:BYTE_3 src1_sel:DWORD
	s_andn2_b64 s[4:5], s[4:5], exec
	s_and_b64 s[8:9], s[8:9], exec
	s_or_b64 s[4:5], s[4:5], s[8:9]
	s_or_b64 exec, exec, s[6:7]
	s_and_saveexec_b64 s[6:7], s[4:5]
	s_cbranch_execnz .LBB14_671
	s_branch .LBB14_672
.LBB14_2721:
	s_movk_i32 s4, 0x80
	v_cmp_eq_u16_sdwa s[12:13], v7, s4 src0_sel:BYTE_0 src1_sel:DWORD
	s_mov_b64 s[4:5], -1
                                        ; implicit-def: $sgpr10
	s_and_saveexec_b64 s[8:9], s[12:13]
; %bb.2722:
	s_mov_b32 s10, 0x7f800001
	s_xor_b64 s[4:5], exec, -1
; %bb.2723:
	s_or_b64 exec, exec, s[8:9]
	s_and_b64 s[4:5], s[4:5], exec
	s_or_saveexec_b64 s[6:7], s[6:7]
	v_mov_b32_e32 v2, s10
	s_xor_b64 exec, exec, s[6:7]
	s_cbranch_execz .LBB14_674
.LBB14_2724:
	v_mov_b32_e32 v2, 0
	v_cmp_ne_u16_sdwa s[8:9], v7, v2 src0_sel:BYTE_0 src1_sel:DWORD
	s_andn2_b64 s[4:5], s[4:5], exec
	s_and_b64 s[8:9], s[8:9], exec
	s_or_b64 s[4:5], s[4:5], s[8:9]
	s_or_b64 exec, exec, s[6:7]
	s_and_saveexec_b64 s[6:7], s[4:5]
	s_cbranch_execnz .LBB14_675
	s_branch .LBB14_676
.LBB14_2725:
	s_movk_i32 s4, 0x80
	v_cmp_eq_u16_sdwa s[12:13], v3, s4 src0_sel:BYTE_0 src1_sel:DWORD
	s_mov_b64 s[4:5], -1
                                        ; implicit-def: $sgpr10
	s_and_saveexec_b64 s[8:9], s[12:13]
; %bb.2726:
	s_mov_b32 s10, 0x7f800001
	s_xor_b64 s[4:5], exec, -1
; %bb.2727:
	s_or_b64 exec, exec, s[8:9]
	s_and_b64 s[4:5], s[4:5], exec
	s_or_saveexec_b64 s[6:7], s[6:7]
	v_mov_b32_e32 v6, s10
	s_xor_b64 exec, exec, s[6:7]
	s_cbranch_execz .LBB14_678
.LBB14_2728:
	v_mov_b32_e32 v6, 0
	v_cmp_ne_u16_sdwa s[8:9], v3, v6 src0_sel:BYTE_0 src1_sel:DWORD
	s_andn2_b64 s[4:5], s[4:5], exec
	s_and_b64 s[8:9], s[8:9], exec
	s_or_b64 s[4:5], s[4:5], s[8:9]
	s_or_b64 exec, exec, s[6:7]
	s_and_saveexec_b64 s[6:7], s[4:5]
	s_cbranch_execnz .LBB14_679
	s_branch .LBB14_680
.LBB14_2729:
	s_movk_i32 s4, 0x80
	v_cmp_eq_u16_sdwa s[12:13], v6, s4 src0_sel:BYTE_0 src1_sel:DWORD
	s_mov_b64 s[4:5], -1
                                        ; implicit-def: $sgpr10
	s_and_saveexec_b64 s[8:9], s[12:13]
; %bb.2730:
	s_mov_b32 s10, 0x7f800001
	s_xor_b64 s[4:5], exec, -1
; %bb.2731:
	s_or_b64 exec, exec, s[8:9]
	s_and_b64 s[4:5], s[4:5], exec
	s_or_saveexec_b64 s[6:7], s[6:7]
	v_mov_b32_e32 v2, s10
	s_xor_b64 exec, exec, s[6:7]
	s_cbranch_execz .LBB14_682
.LBB14_2732:
	v_mov_b32_e32 v2, 0
	v_cmp_ne_u16_sdwa s[8:9], v6, v2 src0_sel:BYTE_0 src1_sel:DWORD
	s_andn2_b64 s[4:5], s[4:5], exec
	s_and_b64 s[8:9], s[8:9], exec
	s_or_b64 s[4:5], s[4:5], s[8:9]
	s_or_b64 exec, exec, s[6:7]
	s_and_saveexec_b64 s[6:7], s[4:5]
	s_cbranch_execnz .LBB14_683
	s_branch .LBB14_684
.LBB14_2733:
	s_movk_i32 s4, 0x80
	v_cmp_eq_u16_sdwa s[12:13], v6, s4 src0_sel:BYTE_0 src1_sel:DWORD
	s_mov_b64 s[4:5], -1
                                        ; implicit-def: $sgpr10
	s_and_saveexec_b64 s[8:9], s[12:13]
; %bb.2734:
	s_mov_b32 s10, 0x7f800001
	s_xor_b64 s[4:5], exec, -1
; %bb.2735:
	s_or_b64 exec, exec, s[8:9]
	s_and_b64 s[4:5], s[4:5], exec
	s_or_saveexec_b64 s[6:7], s[6:7]
	v_mov_b32_e32 v10, s10
	s_xor_b64 exec, exec, s[6:7]
	s_cbranch_execz .LBB14_686
.LBB14_2736:
	v_mov_b32_e32 v10, 0
	v_cmp_ne_u16_sdwa s[8:9], v6, v10 src0_sel:BYTE_0 src1_sel:DWORD
	s_andn2_b64 s[4:5], s[4:5], exec
	s_and_b64 s[8:9], s[8:9], exec
	s_or_b64 s[4:5], s[4:5], s[8:9]
	s_or_b64 exec, exec, s[6:7]
	s_and_saveexec_b64 s[6:7], s[4:5]
	s_cbranch_execnz .LBB14_687
	s_branch .LBB14_688
.LBB14_2737:
	s_movk_i32 s4, 0x80
	v_cmp_eq_u16_e32 vcc, s4, v6
	s_mov_b64 s[4:5], -1
                                        ; implicit-def: $sgpr10
	s_and_saveexec_b64 s[8:9], vcc
; %bb.2738:
	s_mov_b32 s10, 0x7f800001
	s_xor_b64 s[4:5], exec, -1
; %bb.2739:
	s_or_b64 exec, exec, s[8:9]
	s_and_b64 s[4:5], s[4:5], exec
                                        ; implicit-def: $vgpr6
	s_or_saveexec_b64 s[6:7], s[6:7]
	v_mov_b32_e32 v2, s10
	s_xor_b64 exec, exec, s[6:7]
	s_cbranch_execz .LBB14_690
.LBB14_2740:
	v_cmp_ne_u16_e32 vcc, 0, v6
	s_andn2_b64 s[4:5], s[4:5], exec
	s_and_b64 s[8:9], vcc, exec
	v_mov_b32_e32 v2, 0
	s_or_b64 s[4:5], s[4:5], s[8:9]
	s_or_b64 exec, exec, s[6:7]
	s_and_saveexec_b64 s[6:7], s[4:5]
	s_cbranch_execnz .LBB14_691
	s_branch .LBB14_692
.LBB14_2741:
	s_movk_i32 s4, 0x80
	v_cmp_eq_u16_e32 vcc, s4, v6
	s_mov_b64 s[4:5], -1
                                        ; implicit-def: $sgpr10
	s_and_saveexec_b64 s[8:9], vcc
; %bb.2742:
	s_mov_b32 s10, 0x7f800001
	s_xor_b64 s[4:5], exec, -1
; %bb.2743:
	s_or_b64 exec, exec, s[8:9]
	s_and_b64 s[4:5], s[4:5], exec
                                        ; implicit-def: $vgpr6
	s_or_saveexec_b64 s[6:7], s[6:7]
	v_mov_b32_e32 v10, s10
	s_xor_b64 exec, exec, s[6:7]
	s_cbranch_execz .LBB14_694
.LBB14_2744:
	v_cmp_ne_u16_e32 vcc, 0, v6
	s_andn2_b64 s[4:5], s[4:5], exec
	s_and_b64 s[8:9], vcc, exec
	v_mov_b32_e32 v10, 0
	s_or_b64 s[4:5], s[4:5], s[8:9]
	s_or_b64 exec, exec, s[6:7]
	s_and_saveexec_b64 s[6:7], s[4:5]
	s_cbranch_execnz .LBB14_695
	s_branch .LBB14_696
.LBB14_2745:
	s_movk_i32 s4, 0x80
	v_cmp_eq_u16_sdwa s[12:13], v7, s4 src0_sel:BYTE_3 src1_sel:DWORD
	s_mov_b64 s[4:5], -1
                                        ; implicit-def: $sgpr10
	s_and_saveexec_b64 s[8:9], s[12:13]
; %bb.2746:
	s_mov_b32 s10, 0x7f800001
	s_xor_b64 s[4:5], exec, -1
; %bb.2747:
	s_or_b64 exec, exec, s[8:9]
	s_and_b64 s[4:5], s[4:5], exec
	s_or_saveexec_b64 s[6:7], s[6:7]
	v_mov_b32_e32 v2, s10
	s_xor_b64 exec, exec, s[6:7]
	s_cbranch_execz .LBB14_698
.LBB14_2748:
	v_mov_b32_e32 v2, 0
	v_cmp_ne_u16_sdwa s[8:9], v7, v2 src0_sel:BYTE_3 src1_sel:DWORD
	s_andn2_b64 s[4:5], s[4:5], exec
	s_and_b64 s[8:9], s[8:9], exec
	s_or_b64 s[4:5], s[4:5], s[8:9]
	s_or_b64 exec, exec, s[6:7]
	s_and_saveexec_b64 s[6:7], s[4:5]
	s_cbranch_execnz .LBB14_699
	s_branch .LBB14_700
.LBB14_2749:
	s_movk_i32 s4, 0x80
	v_cmp_eq_u16_sdwa s[12:13], v3, s4 src0_sel:BYTE_3 src1_sel:DWORD
	s_mov_b64 s[4:5], -1
                                        ; implicit-def: $sgpr10
	s_and_saveexec_b64 s[8:9], s[12:13]
; %bb.2750:
	s_mov_b32 s10, 0x7f800001
	s_xor_b64 s[4:5], exec, -1
; %bb.2751:
	s_or_b64 exec, exec, s[8:9]
	s_and_b64 s[4:5], s[4:5], exec
	s_or_saveexec_b64 s[6:7], s[6:7]
	v_mov_b32_e32 v6, s10
	s_xor_b64 exec, exec, s[6:7]
	s_cbranch_execz .LBB14_702
.LBB14_2752:
	v_mov_b32_e32 v6, 0
	v_cmp_ne_u16_sdwa s[8:9], v3, v6 src0_sel:BYTE_3 src1_sel:DWORD
	s_andn2_b64 s[4:5], s[4:5], exec
	s_and_b64 s[8:9], s[8:9], exec
	s_or_b64 s[4:5], s[4:5], s[8:9]
	s_or_b64 exec, exec, s[6:7]
	s_and_saveexec_b64 s[6:7], s[4:5]
	s_cbranch_execnz .LBB14_703
	s_branch .LBB14_704
.LBB14_2753:
	s_movk_i32 s4, 0x80
	v_cmp_eq_u16_sdwa s[12:13], v8, s4 src0_sel:BYTE_0 src1_sel:DWORD
	s_mov_b64 s[4:5], -1
                                        ; implicit-def: $sgpr10
	s_and_saveexec_b64 s[8:9], s[12:13]
; %bb.2754:
	s_mov_b32 s10, 0x7f800001
	s_xor_b64 s[4:5], exec, -1
; %bb.2755:
	s_or_b64 exec, exec, s[8:9]
	s_and_b64 s[4:5], s[4:5], exec
	s_or_saveexec_b64 s[6:7], s[6:7]
	v_mov_b32_e32 v2, s10
	s_xor_b64 exec, exec, s[6:7]
	s_cbranch_execz .LBB14_706
.LBB14_2756:
	v_mov_b32_e32 v2, 0
	v_cmp_ne_u16_sdwa s[8:9], v8, v2 src0_sel:BYTE_0 src1_sel:DWORD
	s_andn2_b64 s[4:5], s[4:5], exec
	s_and_b64 s[8:9], s[8:9], exec
	s_or_b64 s[4:5], s[4:5], s[8:9]
	s_or_b64 exec, exec, s[6:7]
	s_and_saveexec_b64 s[6:7], s[4:5]
	s_cbranch_execnz .LBB14_707
	s_branch .LBB14_708
.LBB14_2757:
	s_movk_i32 s4, 0x80
	v_cmp_eq_u16_sdwa s[12:13], v4, s4 src0_sel:BYTE_0 src1_sel:DWORD
	s_mov_b64 s[4:5], -1
                                        ; implicit-def: $sgpr10
	s_and_saveexec_b64 s[8:9], s[12:13]
; %bb.2758:
	s_mov_b32 s10, 0x7f800001
	s_xor_b64 s[4:5], exec, -1
; %bb.2759:
	s_or_b64 exec, exec, s[8:9]
	s_and_b64 s[4:5], s[4:5], exec
	s_or_saveexec_b64 s[6:7], s[6:7]
	v_mov_b32_e32 v3, s10
	s_xor_b64 exec, exec, s[6:7]
	s_cbranch_execz .LBB14_710
.LBB14_2760:
	v_mov_b32_e32 v3, 0
	v_cmp_ne_u16_sdwa s[8:9], v4, v3 src0_sel:BYTE_0 src1_sel:DWORD
	s_andn2_b64 s[4:5], s[4:5], exec
	s_and_b64 s[8:9], s[8:9], exec
	s_or_b64 s[4:5], s[4:5], s[8:9]
	s_or_b64 exec, exec, s[6:7]
	s_and_saveexec_b64 s[6:7], s[4:5]
	s_cbranch_execnz .LBB14_711
	s_branch .LBB14_712
.LBB14_2761:
	s_movk_i32 s4, 0x80
	v_cmp_eq_u16_sdwa s[12:13], v3, s4 src0_sel:BYTE_0 src1_sel:DWORD
	s_mov_b64 s[4:5], -1
                                        ; implicit-def: $sgpr10
	s_and_saveexec_b64 s[8:9], s[12:13]
; %bb.2762:
	s_mov_b32 s10, 0x7f800001
	s_xor_b64 s[4:5], exec, -1
; %bb.2763:
	s_or_b64 exec, exec, s[8:9]
	s_and_b64 s[4:5], s[4:5], exec
	s_or_saveexec_b64 s[6:7], s[6:7]
	v_mov_b32_e32 v2, s10
	s_xor_b64 exec, exec, s[6:7]
	s_cbranch_execz .LBB14_714
.LBB14_2764:
	v_mov_b32_e32 v2, 0
	v_cmp_ne_u16_sdwa s[8:9], v3, v2 src0_sel:BYTE_0 src1_sel:DWORD
	s_andn2_b64 s[4:5], s[4:5], exec
	s_and_b64 s[8:9], s[8:9], exec
	s_or_b64 s[4:5], s[4:5], s[8:9]
	s_or_b64 exec, exec, s[6:7]
	s_and_saveexec_b64 s[6:7], s[4:5]
	s_cbranch_execnz .LBB14_715
	s_branch .LBB14_716
.LBB14_2765:
	s_movk_i32 s4, 0x80
	v_cmp_eq_u16_sdwa s[12:13], v3, s4 src0_sel:BYTE_0 src1_sel:DWORD
	s_mov_b64 s[4:5], -1
                                        ; implicit-def: $sgpr10
	s_and_saveexec_b64 s[8:9], s[12:13]
; %bb.2766:
	s_mov_b32 s10, 0x7f800001
	s_xor_b64 s[4:5], exec, -1
; %bb.2767:
	s_or_b64 exec, exec, s[8:9]
	s_and_b64 s[4:5], s[4:5], exec
	s_or_saveexec_b64 s[6:7], s[6:7]
	v_mov_b32_e32 v6, s10
	s_xor_b64 exec, exec, s[6:7]
	s_cbranch_execz .LBB14_718
.LBB14_2768:
	v_mov_b32_e32 v6, 0
	v_cmp_ne_u16_sdwa s[8:9], v3, v6 src0_sel:BYTE_0 src1_sel:DWORD
	s_andn2_b64 s[4:5], s[4:5], exec
	s_and_b64 s[8:9], s[8:9], exec
	s_or_b64 s[4:5], s[4:5], s[8:9]
	s_or_b64 exec, exec, s[6:7]
	s_and_saveexec_b64 s[6:7], s[4:5]
	s_cbranch_execnz .LBB14_719
	s_branch .LBB14_720
.LBB14_2769:
	s_movk_i32 s4, 0x80
	v_cmp_eq_u16_e32 vcc, s4, v3
	s_mov_b64 s[4:5], -1
                                        ; implicit-def: $sgpr10
	s_and_saveexec_b64 s[8:9], vcc
; %bb.2770:
	s_mov_b32 s10, 0x7f800001
	s_xor_b64 s[4:5], exec, -1
; %bb.2771:
	s_or_b64 exec, exec, s[8:9]
	s_and_b64 s[4:5], s[4:5], exec
                                        ; implicit-def: $vgpr3
	s_or_saveexec_b64 s[6:7], s[6:7]
	v_mov_b32_e32 v2, s10
	s_xor_b64 exec, exec, s[6:7]
	s_cbranch_execz .LBB14_722
.LBB14_2772:
	v_cmp_ne_u16_e32 vcc, 0, v3
	s_andn2_b64 s[4:5], s[4:5], exec
	s_and_b64 s[8:9], vcc, exec
	v_mov_b32_e32 v2, 0
	s_or_b64 s[4:5], s[4:5], s[8:9]
	s_or_b64 exec, exec, s[6:7]
	s_and_saveexec_b64 s[6:7], s[4:5]
	s_cbranch_execnz .LBB14_723
	s_branch .LBB14_724
.LBB14_2773:
	s_movk_i32 s4, 0x80
	v_cmp_eq_u16_e32 vcc, s4, v3
	s_mov_b64 s[4:5], -1
                                        ; implicit-def: $sgpr10
	s_and_saveexec_b64 s[8:9], vcc
; %bb.2774:
	s_mov_b32 s10, 0x7f800001
	s_xor_b64 s[4:5], exec, -1
; %bb.2775:
	s_or_b64 exec, exec, s[8:9]
	s_and_b64 s[4:5], s[4:5], exec
                                        ; implicit-def: $vgpr3
	s_or_saveexec_b64 s[6:7], s[6:7]
	v_mov_b32_e32 v6, s10
	s_xor_b64 exec, exec, s[6:7]
	s_cbranch_execz .LBB14_726
.LBB14_2776:
	v_cmp_ne_u16_e32 vcc, 0, v3
	s_andn2_b64 s[4:5], s[4:5], exec
	s_and_b64 s[8:9], vcc, exec
	v_mov_b32_e32 v6, 0
	s_or_b64 s[4:5], s[4:5], s[8:9]
	s_or_b64 exec, exec, s[6:7]
	s_and_saveexec_b64 s[6:7], s[4:5]
	s_cbranch_execnz .LBB14_727
	s_branch .LBB14_728
.LBB14_2777:
	s_movk_i32 s4, 0x80
	v_cmp_eq_u16_sdwa s[12:13], v8, s4 src0_sel:BYTE_3 src1_sel:DWORD
	s_mov_b64 s[4:5], -1
                                        ; implicit-def: $sgpr10
	s_and_saveexec_b64 s[8:9], s[12:13]
; %bb.2778:
	s_mov_b32 s10, 0x7f800001
	s_xor_b64 s[4:5], exec, -1
; %bb.2779:
	s_or_b64 exec, exec, s[8:9]
	s_and_b64 s[4:5], s[4:5], exec
	s_or_saveexec_b64 s[6:7], s[6:7]
	v_mov_b32_e32 v2, s10
	s_xor_b64 exec, exec, s[6:7]
	s_cbranch_execz .LBB14_730
.LBB14_2780:
	v_mov_b32_e32 v2, 0
	v_cmp_ne_u16_sdwa s[8:9], v8, v2 src0_sel:BYTE_3 src1_sel:DWORD
	s_andn2_b64 s[4:5], s[4:5], exec
	s_and_b64 s[8:9], s[8:9], exec
	s_or_b64 s[4:5], s[4:5], s[8:9]
	s_or_b64 exec, exec, s[6:7]
	s_and_saveexec_b64 s[6:7], s[4:5]
	s_cbranch_execnz .LBB14_731
	s_branch .LBB14_732
.LBB14_2781:
	s_movk_i32 s4, 0x80
	v_cmp_eq_u16_sdwa s[12:13], v4, s4 src0_sel:BYTE_3 src1_sel:DWORD
	s_mov_b64 s[4:5], -1
                                        ; implicit-def: $sgpr10
	s_and_saveexec_b64 s[8:9], s[12:13]
; %bb.2782:
	s_mov_b32 s10, 0x7f800001
	s_xor_b64 s[4:5], exec, -1
; %bb.2783:
	s_or_b64 exec, exec, s[8:9]
	s_and_b64 s[4:5], s[4:5], exec
	s_or_saveexec_b64 s[6:7], s[6:7]
	v_mov_b32_e32 v3, s10
	s_xor_b64 exec, exec, s[6:7]
	s_cbranch_execz .LBB14_734
.LBB14_2784:
	v_mov_b32_e32 v3, 0
	v_cmp_ne_u16_sdwa s[8:9], v4, v3 src0_sel:BYTE_3 src1_sel:DWORD
	s_andn2_b64 s[4:5], s[4:5], exec
	s_and_b64 s[8:9], s[8:9], exec
	s_or_b64 s[4:5], s[4:5], s[8:9]
	s_or_b64 exec, exec, s[6:7]
	s_and_saveexec_b64 s[6:7], s[4:5]
	s_cbranch_execnz .LBB14_735
	s_branch .LBB14_736
.LBB14_2785:
	s_movk_i32 s4, 0x80
	v_cmp_eq_u16_sdwa s[12:13], v9, s4 src0_sel:BYTE_0 src1_sel:DWORD
	s_mov_b64 s[4:5], -1
                                        ; implicit-def: $sgpr10
	s_and_saveexec_b64 s[8:9], s[12:13]
; %bb.2786:
	s_mov_b32 s10, 0x7f800001
	s_xor_b64 s[4:5], exec, -1
; %bb.2787:
	s_or_b64 exec, exec, s[8:9]
	s_and_b64 s[4:5], s[4:5], exec
	s_or_saveexec_b64 s[6:7], s[6:7]
	v_mov_b32_e32 v2, s10
	s_xor_b64 exec, exec, s[6:7]
	s_cbranch_execz .LBB14_738
.LBB14_2788:
	v_mov_b32_e32 v2, 0
	v_cmp_ne_u16_sdwa s[8:9], v9, v2 src0_sel:BYTE_0 src1_sel:DWORD
	s_andn2_b64 s[4:5], s[4:5], exec
	s_and_b64 s[8:9], s[8:9], exec
	s_or_b64 s[4:5], s[4:5], s[8:9]
	s_or_b64 exec, exec, s[6:7]
	s_and_saveexec_b64 s[6:7], s[4:5]
	s_cbranch_execnz .LBB14_739
	s_branch .LBB14_740
.LBB14_2789:
	s_movk_i32 s4, 0x80
	v_cmp_eq_u16_sdwa s[12:13], v5, s4 src0_sel:BYTE_0 src1_sel:DWORD
	s_mov_b64 s[4:5], -1
                                        ; implicit-def: $sgpr10
	s_and_saveexec_b64 s[8:9], s[12:13]
; %bb.2790:
	s_mov_b32 s10, 0x7f800001
	s_xor_b64 s[4:5], exec, -1
; %bb.2791:
	s_or_b64 exec, exec, s[8:9]
	s_and_b64 s[4:5], s[4:5], exec
	s_or_saveexec_b64 s[6:7], s[6:7]
	v_mov_b32_e32 v3, s10
	s_xor_b64 exec, exec, s[6:7]
	s_cbranch_execz .LBB14_742
.LBB14_2792:
	v_mov_b32_e32 v3, 0
	v_cmp_ne_u16_sdwa s[8:9], v5, v3 src0_sel:BYTE_0 src1_sel:DWORD
	s_andn2_b64 s[4:5], s[4:5], exec
	s_and_b64 s[8:9], s[8:9], exec
	s_or_b64 s[4:5], s[4:5], s[8:9]
	s_or_b64 exec, exec, s[6:7]
	s_and_saveexec_b64 s[6:7], s[4:5]
	s_cbranch_execnz .LBB14_743
	s_branch .LBB14_744
.LBB14_2793:
	s_movk_i32 s4, 0x80
	v_cmp_eq_u16_sdwa s[12:13], v3, s4 src0_sel:BYTE_0 src1_sel:DWORD
	s_mov_b64 s[4:5], -1
                                        ; implicit-def: $sgpr10
	s_and_saveexec_b64 s[8:9], s[12:13]
; %bb.2794:
	s_mov_b32 s10, 0x7f800001
	s_xor_b64 s[4:5], exec, -1
; %bb.2795:
	s_or_b64 exec, exec, s[8:9]
	s_and_b64 s[4:5], s[4:5], exec
	s_or_saveexec_b64 s[6:7], s[6:7]
	v_mov_b32_e32 v2, s10
	s_xor_b64 exec, exec, s[6:7]
	s_cbranch_execz .LBB14_746
.LBB14_2796:
	v_mov_b32_e32 v2, 0
	v_cmp_ne_u16_sdwa s[8:9], v3, v2 src0_sel:BYTE_0 src1_sel:DWORD
	s_andn2_b64 s[4:5], s[4:5], exec
	s_and_b64 s[8:9], s[8:9], exec
	s_or_b64 s[4:5], s[4:5], s[8:9]
	s_or_b64 exec, exec, s[6:7]
	s_and_saveexec_b64 s[6:7], s[4:5]
	s_cbranch_execnz .LBB14_747
	s_branch .LBB14_748
.LBB14_2797:
	s_movk_i32 s4, 0x80
	v_cmp_eq_u16_sdwa s[12:13], v3, s4 src0_sel:BYTE_0 src1_sel:DWORD
	s_mov_b64 s[4:5], -1
                                        ; implicit-def: $sgpr10
	s_and_saveexec_b64 s[8:9], s[12:13]
; %bb.2798:
	s_mov_b32 s10, 0x7f800001
	s_xor_b64 s[4:5], exec, -1
; %bb.2799:
	s_or_b64 exec, exec, s[8:9]
	s_and_b64 s[4:5], s[4:5], exec
	s_or_saveexec_b64 s[6:7], s[6:7]
	v_mov_b32_e32 v4, s10
	s_xor_b64 exec, exec, s[6:7]
	s_cbranch_execz .LBB14_750
.LBB14_2800:
	v_mov_b32_e32 v4, 0
	v_cmp_ne_u16_sdwa s[8:9], v3, v4 src0_sel:BYTE_0 src1_sel:DWORD
	s_andn2_b64 s[4:5], s[4:5], exec
	s_and_b64 s[8:9], s[8:9], exec
	s_or_b64 s[4:5], s[4:5], s[8:9]
	s_or_b64 exec, exec, s[6:7]
	s_and_saveexec_b64 s[6:7], s[4:5]
	s_cbranch_execnz .LBB14_751
	s_branch .LBB14_752
.LBB14_2801:
	s_movk_i32 s4, 0x80
	v_cmp_eq_u16_e32 vcc, s4, v3
	s_mov_b64 s[4:5], -1
                                        ; implicit-def: $sgpr10
	s_and_saveexec_b64 s[8:9], vcc
; %bb.2802:
	s_mov_b32 s10, 0x7f800001
	s_xor_b64 s[4:5], exec, -1
; %bb.2803:
	s_or_b64 exec, exec, s[8:9]
	s_and_b64 s[4:5], s[4:5], exec
                                        ; implicit-def: $vgpr3
	s_or_saveexec_b64 s[6:7], s[6:7]
	v_mov_b32_e32 v2, s10
	s_xor_b64 exec, exec, s[6:7]
	s_cbranch_execz .LBB14_754
.LBB14_2804:
	v_cmp_ne_u16_e32 vcc, 0, v3
	s_andn2_b64 s[4:5], s[4:5], exec
	s_and_b64 s[8:9], vcc, exec
	v_mov_b32_e32 v2, 0
	s_or_b64 s[4:5], s[4:5], s[8:9]
	s_or_b64 exec, exec, s[6:7]
	s_and_saveexec_b64 s[6:7], s[4:5]
	s_cbranch_execnz .LBB14_755
	s_branch .LBB14_756
.LBB14_2805:
	s_movk_i32 s4, 0x80
	v_cmp_eq_u16_e32 vcc, s4, v3
	s_mov_b64 s[4:5], -1
                                        ; implicit-def: $sgpr10
	s_and_saveexec_b64 s[8:9], vcc
; %bb.2806:
	s_mov_b32 s10, 0x7f800001
	s_xor_b64 s[4:5], exec, -1
; %bb.2807:
	s_or_b64 exec, exec, s[8:9]
	s_and_b64 s[4:5], s[4:5], exec
                                        ; implicit-def: $vgpr3
	s_or_saveexec_b64 s[6:7], s[6:7]
	v_mov_b32_e32 v4, s10
	s_xor_b64 exec, exec, s[6:7]
	s_cbranch_execz .LBB14_758
.LBB14_2808:
	v_cmp_ne_u16_e32 vcc, 0, v3
	s_andn2_b64 s[4:5], s[4:5], exec
	s_and_b64 s[8:9], vcc, exec
	v_mov_b32_e32 v4, 0
	s_or_b64 s[4:5], s[4:5], s[8:9]
	s_or_b64 exec, exec, s[6:7]
	s_and_saveexec_b64 s[6:7], s[4:5]
	s_cbranch_execnz .LBB14_759
	s_branch .LBB14_760
.LBB14_2809:
	s_movk_i32 s4, 0x80
	v_cmp_eq_u16_sdwa s[12:13], v9, s4 src0_sel:BYTE_3 src1_sel:DWORD
	s_mov_b64 s[4:5], -1
                                        ; implicit-def: $sgpr10
	s_and_saveexec_b64 s[8:9], s[12:13]
; %bb.2810:
	s_mov_b32 s10, 0x7f800001
	s_xor_b64 s[4:5], exec, -1
; %bb.2811:
	s_or_b64 exec, exec, s[8:9]
	s_and_b64 s[4:5], s[4:5], exec
	s_or_saveexec_b64 s[6:7], s[6:7]
	v_mov_b32_e32 v2, s10
	s_xor_b64 exec, exec, s[6:7]
	s_cbranch_execz .LBB14_762
.LBB14_2812:
	v_mov_b32_e32 v2, 0
	v_cmp_ne_u16_sdwa s[8:9], v9, v2 src0_sel:BYTE_3 src1_sel:DWORD
	s_andn2_b64 s[4:5], s[4:5], exec
	s_and_b64 s[8:9], s[8:9], exec
	s_or_b64 s[4:5], s[4:5], s[8:9]
	s_or_b64 exec, exec, s[6:7]
	s_and_saveexec_b64 s[6:7], s[4:5]
	s_cbranch_execnz .LBB14_763
	s_branch .LBB14_764
.LBB14_2813:
	s_movk_i32 s4, 0x80
	v_cmp_eq_u16_sdwa s[12:13], v5, s4 src0_sel:BYTE_3 src1_sel:DWORD
	s_mov_b64 s[4:5], -1
                                        ; implicit-def: $sgpr10
	s_and_saveexec_b64 s[8:9], s[12:13]
; %bb.2814:
	s_mov_b32 s10, 0x7f800001
	s_xor_b64 s[4:5], exec, -1
; %bb.2815:
	s_or_b64 exec, exec, s[8:9]
	s_and_b64 s[4:5], s[4:5], exec
	s_or_saveexec_b64 s[6:7], s[6:7]
	v_mov_b32_e32 v3, s10
	s_xor_b64 exec, exec, s[6:7]
	s_cbranch_execz .LBB14_766
.LBB14_2816:
	v_mov_b32_e32 v3, 0
	v_cmp_ne_u16_sdwa s[8:9], v5, v3 src0_sel:BYTE_3 src1_sel:DWORD
	s_andn2_b64 s[4:5], s[4:5], exec
	s_and_b64 s[8:9], s[8:9], exec
	s_or_b64 s[4:5], s[4:5], s[8:9]
	s_or_b64 exec, exec, s[6:7]
	s_and_saveexec_b64 s[6:7], s[4:5]
	s_cbranch_execnz .LBB14_767
	s_branch .LBB14_768
.LBB14_2817:
	s_movk_i32 s4, 0x80
	v_cmp_eq_u16_sdwa s[12:13], v14, s4 src0_sel:BYTE_0 src1_sel:DWORD
	s_mov_b64 s[4:5], -1
                                        ; implicit-def: $sgpr10
	s_and_saveexec_b64 s[8:9], s[12:13]
; %bb.2818:
	s_mov_b32 s10, 0x7f800001
	s_xor_b64 s[4:5], exec, -1
; %bb.2819:
	s_or_b64 exec, exec, s[8:9]
	s_and_b64 s[4:5], s[4:5], exec
	s_or_saveexec_b64 s[6:7], s[6:7]
	v_mov_b32_e32 v20, s10
	s_xor_b64 exec, exec, s[6:7]
	s_cbranch_execz .LBB14_770
.LBB14_2820:
	v_mov_b32_e32 v20, 0
	v_cmp_ne_u16_sdwa s[8:9], v14, v20 src0_sel:BYTE_0 src1_sel:DWORD
	s_andn2_b64 s[4:5], s[4:5], exec
	s_and_b64 s[8:9], s[8:9], exec
	s_or_b64 s[4:5], s[4:5], s[8:9]
	s_or_b64 exec, exec, s[6:7]
	s_and_saveexec_b64 s[6:7], s[4:5]
	s_cbranch_execnz .LBB14_771
	s_branch .LBB14_772
.LBB14_2821:
	s_movk_i32 s4, 0x80
	v_cmp_eq_u16_sdwa s[12:13], v10, s4 src0_sel:BYTE_0 src1_sel:DWORD
	s_mov_b64 s[4:5], -1
                                        ; implicit-def: $sgpr10
	s_and_saveexec_b64 s[8:9], s[12:13]
; %bb.2822:
	s_mov_b32 s10, 0x7f800001
	s_xor_b64 s[4:5], exec, -1
; %bb.2823:
	s_or_b64 exec, exec, s[8:9]
	s_and_b64 s[4:5], s[4:5], exec
	s_or_saveexec_b64 s[6:7], s[6:7]
	v_mov_b32_e32 v21, s10
	s_xor_b64 exec, exec, s[6:7]
	s_cbranch_execz .LBB14_774
.LBB14_2824:
	v_mov_b32_e32 v21, 0
	v_cmp_ne_u16_sdwa s[8:9], v10, v21 src0_sel:BYTE_0 src1_sel:DWORD
	s_andn2_b64 s[4:5], s[4:5], exec
	s_and_b64 s[8:9], s[8:9], exec
	s_or_b64 s[4:5], s[4:5], s[8:9]
	s_or_b64 exec, exec, s[6:7]
	s_and_saveexec_b64 s[6:7], s[4:5]
	s_cbranch_execnz .LBB14_775
	s_branch .LBB14_776
.LBB14_2825:
	s_movk_i32 s4, 0x80
	v_cmp_eq_u16_sdwa s[12:13], v21, s4 src0_sel:BYTE_0 src1_sel:DWORD
	s_mov_b64 s[4:5], -1
                                        ; implicit-def: $sgpr10
	s_and_saveexec_b64 s[8:9], s[12:13]
; %bb.2826:
	s_mov_b32 s10, 0x7f800001
	s_xor_b64 s[4:5], exec, -1
; %bb.2827:
	s_or_b64 exec, exec, s[8:9]
	s_and_b64 s[4:5], s[4:5], exec
	s_or_saveexec_b64 s[6:7], s[6:7]
	v_mov_b32_e32 v20, s10
	s_xor_b64 exec, exec, s[6:7]
	s_cbranch_execz .LBB14_778
.LBB14_2828:
	v_mov_b32_e32 v20, 0
	v_cmp_ne_u16_sdwa s[8:9], v21, v20 src0_sel:BYTE_0 src1_sel:DWORD
	s_andn2_b64 s[4:5], s[4:5], exec
	s_and_b64 s[8:9], s[8:9], exec
	s_or_b64 s[4:5], s[4:5], s[8:9]
	s_or_b64 exec, exec, s[6:7]
	s_and_saveexec_b64 s[6:7], s[4:5]
	s_cbranch_execnz .LBB14_779
	s_branch .LBB14_780
.LBB14_2829:
	s_movk_i32 s4, 0x80
	v_cmp_eq_u16_sdwa s[12:13], v21, s4 src0_sel:BYTE_0 src1_sel:DWORD
	s_mov_b64 s[4:5], -1
                                        ; implicit-def: $sgpr10
	s_and_saveexec_b64 s[8:9], s[12:13]
; %bb.2830:
	s_mov_b32 s10, 0x7f800001
	s_xor_b64 s[4:5], exec, -1
; %bb.2831:
	s_or_b64 exec, exec, s[8:9]
	s_and_b64 s[4:5], s[4:5], exec
	s_or_saveexec_b64 s[6:7], s[6:7]
	v_mov_b32_e32 v22, s10
	s_xor_b64 exec, exec, s[6:7]
	s_cbranch_execz .LBB14_782
.LBB14_2832:
	v_mov_b32_e32 v22, 0
	v_cmp_ne_u16_sdwa s[8:9], v21, v22 src0_sel:BYTE_0 src1_sel:DWORD
	s_andn2_b64 s[4:5], s[4:5], exec
	s_and_b64 s[8:9], s[8:9], exec
	s_or_b64 s[4:5], s[4:5], s[8:9]
	s_or_b64 exec, exec, s[6:7]
	s_and_saveexec_b64 s[6:7], s[4:5]
	s_cbranch_execnz .LBB14_783
	s_branch .LBB14_784
.LBB14_2833:
	s_movk_i32 s4, 0x80
	v_cmp_eq_u16_e32 vcc, s4, v21
	s_mov_b64 s[4:5], -1
                                        ; implicit-def: $sgpr10
	s_and_saveexec_b64 s[8:9], vcc
; %bb.2834:
	s_mov_b32 s10, 0x7f800001
	s_xor_b64 s[4:5], exec, -1
; %bb.2835:
	s_or_b64 exec, exec, s[8:9]
	s_and_b64 s[4:5], s[4:5], exec
                                        ; implicit-def: $vgpr21
	s_or_saveexec_b64 s[6:7], s[6:7]
	v_mov_b32_e32 v20, s10
	s_xor_b64 exec, exec, s[6:7]
	s_cbranch_execz .LBB14_786
.LBB14_2836:
	v_cmp_ne_u16_e32 vcc, 0, v21
	s_andn2_b64 s[4:5], s[4:5], exec
	s_and_b64 s[8:9], vcc, exec
	v_mov_b32_e32 v20, 0
	s_or_b64 s[4:5], s[4:5], s[8:9]
	s_or_b64 exec, exec, s[6:7]
	s_and_saveexec_b64 s[6:7], s[4:5]
	s_cbranch_execnz .LBB14_787
	s_branch .LBB14_788
.LBB14_2837:
	s_movk_i32 s4, 0x80
	v_cmp_eq_u16_e32 vcc, s4, v21
	s_mov_b64 s[4:5], -1
                                        ; implicit-def: $sgpr10
	s_and_saveexec_b64 s[8:9], vcc
; %bb.2838:
	s_mov_b32 s10, 0x7f800001
	s_xor_b64 s[4:5], exec, -1
; %bb.2839:
	s_or_b64 exec, exec, s[8:9]
	s_and_b64 s[4:5], s[4:5], exec
                                        ; implicit-def: $vgpr21
	s_or_saveexec_b64 s[6:7], s[6:7]
	v_mov_b32_e32 v22, s10
	s_xor_b64 exec, exec, s[6:7]
	s_cbranch_execz .LBB14_790
.LBB14_2840:
	v_cmp_ne_u16_e32 vcc, 0, v21
	s_andn2_b64 s[4:5], s[4:5], exec
	s_and_b64 s[8:9], vcc, exec
	v_mov_b32_e32 v22, 0
	s_or_b64 s[4:5], s[4:5], s[8:9]
	s_or_b64 exec, exec, s[6:7]
	s_and_saveexec_b64 s[6:7], s[4:5]
	s_cbranch_execnz .LBB14_791
	s_branch .LBB14_792
.LBB14_2841:
	s_movk_i32 s4, 0x80
	v_cmp_eq_u16_sdwa s[12:13], v14, s4 src0_sel:BYTE_3 src1_sel:DWORD
	s_mov_b64 s[4:5], -1
                                        ; implicit-def: $sgpr10
	s_and_saveexec_b64 s[8:9], s[12:13]
; %bb.2842:
	s_mov_b32 s10, 0x7f800001
	s_xor_b64 s[4:5], exec, -1
; %bb.2843:
	s_or_b64 exec, exec, s[8:9]
	s_and_b64 s[4:5], s[4:5], exec
	s_or_saveexec_b64 s[6:7], s[6:7]
	v_mov_b32_e32 v20, s10
	s_xor_b64 exec, exec, s[6:7]
	s_cbranch_execz .LBB14_794
.LBB14_2844:
	v_mov_b32_e32 v20, 0
	v_cmp_ne_u16_sdwa s[8:9], v14, v20 src0_sel:BYTE_3 src1_sel:DWORD
	s_andn2_b64 s[4:5], s[4:5], exec
	s_and_b64 s[8:9], s[8:9], exec
	s_or_b64 s[4:5], s[4:5], s[8:9]
	s_or_b64 exec, exec, s[6:7]
	s_and_saveexec_b64 s[6:7], s[4:5]
	s_cbranch_execnz .LBB14_795
	s_branch .LBB14_796
.LBB14_2845:
	s_movk_i32 s4, 0x80
	v_cmp_eq_u16_sdwa s[12:13], v10, s4 src0_sel:BYTE_3 src1_sel:DWORD
	s_mov_b64 s[4:5], -1
                                        ; implicit-def: $sgpr10
	s_and_saveexec_b64 s[8:9], s[12:13]
; %bb.2846:
	s_mov_b32 s10, 0x7f800001
	s_xor_b64 s[4:5], exec, -1
; %bb.2847:
	s_or_b64 exec, exec, s[8:9]
	s_and_b64 s[4:5], s[4:5], exec
	s_or_saveexec_b64 s[6:7], s[6:7]
	v_mov_b32_e32 v14, s10
	s_xor_b64 exec, exec, s[6:7]
	s_cbranch_execz .LBB14_798
.LBB14_2848:
	v_mov_b32_e32 v14, 0
	v_cmp_ne_u16_sdwa s[8:9], v10, v14 src0_sel:BYTE_3 src1_sel:DWORD
	s_andn2_b64 s[4:5], s[4:5], exec
	s_and_b64 s[8:9], s[8:9], exec
	s_or_b64 s[4:5], s[4:5], s[8:9]
	s_or_b64 exec, exec, s[6:7]
	s_and_saveexec_b64 s[6:7], s[4:5]
	s_cbranch_execnz .LBB14_799
	s_branch .LBB14_800
.LBB14_2849:
	s_movk_i32 s4, 0x80
	v_cmp_eq_u16_sdwa s[12:13], v15, s4 src0_sel:BYTE_0 src1_sel:DWORD
	s_mov_b64 s[4:5], -1
                                        ; implicit-def: $sgpr10
	s_and_saveexec_b64 s[8:9], s[12:13]
; %bb.2850:
	s_mov_b32 s10, 0x7f800001
	s_xor_b64 s[4:5], exec, -1
; %bb.2851:
	s_or_b64 exec, exec, s[8:9]
	s_and_b64 s[4:5], s[4:5], exec
	s_or_saveexec_b64 s[6:7], s[6:7]
	v_mov_b32_e32 v10, s10
	s_xor_b64 exec, exec, s[6:7]
	s_cbranch_execz .LBB14_802
.LBB14_2852:
	v_mov_b32_e32 v10, 0
	v_cmp_ne_u16_sdwa s[8:9], v15, v10 src0_sel:BYTE_0 src1_sel:DWORD
	s_andn2_b64 s[4:5], s[4:5], exec
	s_and_b64 s[8:9], s[8:9], exec
	s_or_b64 s[4:5], s[4:5], s[8:9]
	s_or_b64 exec, exec, s[6:7]
	s_and_saveexec_b64 s[6:7], s[4:5]
	s_cbranch_execnz .LBB14_803
	s_branch .LBB14_804
.LBB14_2853:
	s_movk_i32 s4, 0x80
	v_cmp_eq_u16_sdwa s[12:13], v11, s4 src0_sel:BYTE_0 src1_sel:DWORD
	s_mov_b64 s[4:5], -1
                                        ; implicit-def: $sgpr10
	s_and_saveexec_b64 s[8:9], s[12:13]
; %bb.2854:
	s_mov_b32 s10, 0x7f800001
	s_xor_b64 s[4:5], exec, -1
; %bb.2855:
	s_or_b64 exec, exec, s[8:9]
	s_and_b64 s[4:5], s[4:5], exec
	s_or_saveexec_b64 s[6:7], s[6:7]
	v_mov_b32_e32 v14, s10
	s_xor_b64 exec, exec, s[6:7]
	s_cbranch_execz .LBB14_806
.LBB14_2856:
	v_mov_b32_e32 v14, 0
	v_cmp_ne_u16_sdwa s[8:9], v11, v14 src0_sel:BYTE_0 src1_sel:DWORD
	s_andn2_b64 s[4:5], s[4:5], exec
	s_and_b64 s[8:9], s[8:9], exec
	s_or_b64 s[4:5], s[4:5], s[8:9]
	s_or_b64 exec, exec, s[6:7]
	s_and_saveexec_b64 s[6:7], s[4:5]
	s_cbranch_execnz .LBB14_807
	s_branch .LBB14_808
.LBB14_2857:
	s_movk_i32 s4, 0x80
	v_cmp_eq_u16_sdwa s[12:13], v14, s4 src0_sel:BYTE_0 src1_sel:DWORD
	s_mov_b64 s[4:5], -1
                                        ; implicit-def: $sgpr10
	s_and_saveexec_b64 s[8:9], s[12:13]
; %bb.2858:
	s_mov_b32 s10, 0x7f800001
	s_xor_b64 s[4:5], exec, -1
; %bb.2859:
	s_or_b64 exec, exec, s[8:9]
	s_and_b64 s[4:5], s[4:5], exec
	s_or_saveexec_b64 s[6:7], s[6:7]
	v_mov_b32_e32 v10, s10
	s_xor_b64 exec, exec, s[6:7]
	s_cbranch_execz .LBB14_810
.LBB14_2860:
	v_mov_b32_e32 v10, 0
	v_cmp_ne_u16_sdwa s[8:9], v14, v10 src0_sel:BYTE_0 src1_sel:DWORD
	s_andn2_b64 s[4:5], s[4:5], exec
	s_and_b64 s[8:9], s[8:9], exec
	s_or_b64 s[4:5], s[4:5], s[8:9]
	s_or_b64 exec, exec, s[6:7]
	s_and_saveexec_b64 s[6:7], s[4:5]
	s_cbranch_execnz .LBB14_811
	s_branch .LBB14_812
.LBB14_2861:
	s_movk_i32 s4, 0x80
	v_cmp_eq_u16_sdwa s[12:13], v14, s4 src0_sel:BYTE_0 src1_sel:DWORD
	s_mov_b64 s[4:5], -1
                                        ; implicit-def: $sgpr10
	s_and_saveexec_b64 s[8:9], s[12:13]
; %bb.2862:
	s_mov_b32 s10, 0x7f800001
	s_xor_b64 s[4:5], exec, -1
; %bb.2863:
	s_or_b64 exec, exec, s[8:9]
	s_and_b64 s[4:5], s[4:5], exec
	s_or_saveexec_b64 s[6:7], s[6:7]
	v_mov_b32_e32 v20, s10
	s_xor_b64 exec, exec, s[6:7]
	s_cbranch_execz .LBB14_814
.LBB14_2864:
	v_mov_b32_e32 v20, 0
	v_cmp_ne_u16_sdwa s[8:9], v14, v20 src0_sel:BYTE_0 src1_sel:DWORD
	s_andn2_b64 s[4:5], s[4:5], exec
	s_and_b64 s[8:9], s[8:9], exec
	s_or_b64 s[4:5], s[4:5], s[8:9]
	s_or_b64 exec, exec, s[6:7]
	s_and_saveexec_b64 s[6:7], s[4:5]
	s_cbranch_execnz .LBB14_815
	s_branch .LBB14_816
.LBB14_2865:
	s_movk_i32 s4, 0x80
	v_cmp_eq_u16_e32 vcc, s4, v14
	s_mov_b64 s[4:5], -1
                                        ; implicit-def: $sgpr10
	s_and_saveexec_b64 s[8:9], vcc
; %bb.2866:
	s_mov_b32 s10, 0x7f800001
	s_xor_b64 s[4:5], exec, -1
; %bb.2867:
	s_or_b64 exec, exec, s[8:9]
	s_and_b64 s[4:5], s[4:5], exec
                                        ; implicit-def: $vgpr14
	s_or_saveexec_b64 s[6:7], s[6:7]
	v_mov_b32_e32 v10, s10
	s_xor_b64 exec, exec, s[6:7]
	s_cbranch_execz .LBB14_818
.LBB14_2868:
	v_cmp_ne_u16_e32 vcc, 0, v14
	s_andn2_b64 s[4:5], s[4:5], exec
	s_and_b64 s[8:9], vcc, exec
	v_mov_b32_e32 v10, 0
	s_or_b64 s[4:5], s[4:5], s[8:9]
	s_or_b64 exec, exec, s[6:7]
	s_and_saveexec_b64 s[6:7], s[4:5]
	s_cbranch_execnz .LBB14_819
	s_branch .LBB14_820
.LBB14_2869:
	s_movk_i32 s4, 0x80
	v_cmp_eq_u16_e32 vcc, s4, v14
	s_mov_b64 s[4:5], -1
                                        ; implicit-def: $sgpr10
	s_and_saveexec_b64 s[8:9], vcc
; %bb.2870:
	s_mov_b32 s10, 0x7f800001
	s_xor_b64 s[4:5], exec, -1
; %bb.2871:
	s_or_b64 exec, exec, s[8:9]
	s_and_b64 s[4:5], s[4:5], exec
                                        ; implicit-def: $vgpr14
	s_or_saveexec_b64 s[6:7], s[6:7]
	v_mov_b32_e32 v20, s10
	s_xor_b64 exec, exec, s[6:7]
	s_cbranch_execz .LBB14_822
.LBB14_2872:
	v_cmp_ne_u16_e32 vcc, 0, v14
	s_andn2_b64 s[4:5], s[4:5], exec
	s_and_b64 s[8:9], vcc, exec
	v_mov_b32_e32 v20, 0
	s_or_b64 s[4:5], s[4:5], s[8:9]
	s_or_b64 exec, exec, s[6:7]
	s_and_saveexec_b64 s[6:7], s[4:5]
	s_cbranch_execnz .LBB14_823
	s_branch .LBB14_824
.LBB14_2873:
	s_movk_i32 s4, 0x80
	v_cmp_eq_u16_sdwa s[12:13], v15, s4 src0_sel:BYTE_3 src1_sel:DWORD
	s_mov_b64 s[4:5], -1
                                        ; implicit-def: $sgpr10
	s_and_saveexec_b64 s[8:9], s[12:13]
; %bb.2874:
	s_mov_b32 s10, 0x7f800001
	s_xor_b64 s[4:5], exec, -1
; %bb.2875:
	s_or_b64 exec, exec, s[8:9]
	s_and_b64 s[4:5], s[4:5], exec
	s_or_saveexec_b64 s[6:7], s[6:7]
	v_mov_b32_e32 v10, s10
	s_xor_b64 exec, exec, s[6:7]
	s_cbranch_execz .LBB14_826
.LBB14_2876:
	v_mov_b32_e32 v10, 0
	v_cmp_ne_u16_sdwa s[8:9], v15, v10 src0_sel:BYTE_3 src1_sel:DWORD
	s_andn2_b64 s[4:5], s[4:5], exec
	s_and_b64 s[8:9], s[8:9], exec
	s_or_b64 s[4:5], s[4:5], s[8:9]
	s_or_b64 exec, exec, s[6:7]
	s_and_saveexec_b64 s[6:7], s[4:5]
	s_cbranch_execnz .LBB14_827
	s_branch .LBB14_828
.LBB14_2877:
	s_movk_i32 s4, 0x80
	v_cmp_eq_u16_sdwa s[12:13], v11, s4 src0_sel:BYTE_3 src1_sel:DWORD
	s_mov_b64 s[4:5], -1
                                        ; implicit-def: $sgpr10
	s_and_saveexec_b64 s[8:9], s[12:13]
; %bb.2878:
	s_mov_b32 s10, 0x7f800001
	s_xor_b64 s[4:5], exec, -1
; %bb.2879:
	s_or_b64 exec, exec, s[8:9]
	s_and_b64 s[4:5], s[4:5], exec
	s_or_saveexec_b64 s[6:7], s[6:7]
	v_mov_b32_e32 v14, s10
	s_xor_b64 exec, exec, s[6:7]
	s_cbranch_execz .LBB14_830
.LBB14_2880:
	v_mov_b32_e32 v14, 0
	v_cmp_ne_u16_sdwa s[8:9], v11, v14 src0_sel:BYTE_3 src1_sel:DWORD
	s_andn2_b64 s[4:5], s[4:5], exec
	s_and_b64 s[8:9], s[8:9], exec
	s_or_b64 s[4:5], s[4:5], s[8:9]
	s_or_b64 exec, exec, s[6:7]
	s_and_saveexec_b64 s[6:7], s[4:5]
	s_cbranch_execnz .LBB14_831
	s_branch .LBB14_832
.LBB14_2881:
	s_movk_i32 s4, 0x80
	v_cmp_eq_u16_sdwa s[12:13], v16, s4 src0_sel:BYTE_0 src1_sel:DWORD
	s_mov_b64 s[4:5], -1
                                        ; implicit-def: $sgpr10
	s_and_saveexec_b64 s[8:9], s[12:13]
; %bb.2882:
	s_mov_b32 s10, 0x7f800001
	s_xor_b64 s[4:5], exec, -1
; %bb.2883:
	s_or_b64 exec, exec, s[8:9]
	s_and_b64 s[4:5], s[4:5], exec
	s_or_saveexec_b64 s[6:7], s[6:7]
	v_mov_b32_e32 v10, s10
	s_xor_b64 exec, exec, s[6:7]
	s_cbranch_execz .LBB14_834
.LBB14_2884:
	v_mov_b32_e32 v10, 0
	v_cmp_ne_u16_sdwa s[8:9], v16, v10 src0_sel:BYTE_0 src1_sel:DWORD
	s_andn2_b64 s[4:5], s[4:5], exec
	s_and_b64 s[8:9], s[8:9], exec
	s_or_b64 s[4:5], s[4:5], s[8:9]
	s_or_b64 exec, exec, s[6:7]
	s_and_saveexec_b64 s[6:7], s[4:5]
	s_cbranch_execnz .LBB14_835
	s_branch .LBB14_836
.LBB14_2885:
	s_movk_i32 s4, 0x80
	v_cmp_eq_u16_sdwa s[12:13], v12, s4 src0_sel:BYTE_0 src1_sel:DWORD
	s_mov_b64 s[4:5], -1
                                        ; implicit-def: $sgpr10
	s_and_saveexec_b64 s[8:9], s[12:13]
; %bb.2886:
	s_mov_b32 s10, 0x7f800001
	s_xor_b64 s[4:5], exec, -1
; %bb.2887:
	s_or_b64 exec, exec, s[8:9]
	s_and_b64 s[4:5], s[4:5], exec
	s_or_saveexec_b64 s[6:7], s[6:7]
	v_mov_b32_e32 v11, s10
	s_xor_b64 exec, exec, s[6:7]
	s_cbranch_execz .LBB14_838
.LBB14_2888:
	v_mov_b32_e32 v11, 0
	v_cmp_ne_u16_sdwa s[8:9], v12, v11 src0_sel:BYTE_0 src1_sel:DWORD
	s_andn2_b64 s[4:5], s[4:5], exec
	s_and_b64 s[8:9], s[8:9], exec
	s_or_b64 s[4:5], s[4:5], s[8:9]
	s_or_b64 exec, exec, s[6:7]
	s_and_saveexec_b64 s[6:7], s[4:5]
	s_cbranch_execnz .LBB14_839
	s_branch .LBB14_840
.LBB14_2889:
	s_movk_i32 s4, 0x80
	v_cmp_eq_u16_sdwa s[12:13], v11, s4 src0_sel:BYTE_0 src1_sel:DWORD
	s_mov_b64 s[4:5], -1
                                        ; implicit-def: $sgpr10
	s_and_saveexec_b64 s[8:9], s[12:13]
; %bb.2890:
	s_mov_b32 s10, 0x7f800001
	s_xor_b64 s[4:5], exec, -1
; %bb.2891:
	s_or_b64 exec, exec, s[8:9]
	s_and_b64 s[4:5], s[4:5], exec
	s_or_saveexec_b64 s[6:7], s[6:7]
	v_mov_b32_e32 v10, s10
	s_xor_b64 exec, exec, s[6:7]
	s_cbranch_execz .LBB14_842
.LBB14_2892:
	v_mov_b32_e32 v10, 0
	v_cmp_ne_u16_sdwa s[8:9], v11, v10 src0_sel:BYTE_0 src1_sel:DWORD
	s_andn2_b64 s[4:5], s[4:5], exec
	s_and_b64 s[8:9], s[8:9], exec
	s_or_b64 s[4:5], s[4:5], s[8:9]
	s_or_b64 exec, exec, s[6:7]
	s_and_saveexec_b64 s[6:7], s[4:5]
	s_cbranch_execnz .LBB14_843
	s_branch .LBB14_844
.LBB14_2893:
	s_movk_i32 s4, 0x80
	v_cmp_eq_u16_sdwa s[12:13], v11, s4 src0_sel:BYTE_0 src1_sel:DWORD
	s_mov_b64 s[4:5], -1
                                        ; implicit-def: $sgpr10
	s_and_saveexec_b64 s[8:9], s[12:13]
; %bb.2894:
	s_mov_b32 s10, 0x7f800001
	s_xor_b64 s[4:5], exec, -1
; %bb.2895:
	s_or_b64 exec, exec, s[8:9]
	s_and_b64 s[4:5], s[4:5], exec
	s_or_saveexec_b64 s[6:7], s[6:7]
	v_mov_b32_e32 v14, s10
	s_xor_b64 exec, exec, s[6:7]
	s_cbranch_execz .LBB14_846
.LBB14_2896:
	v_mov_b32_e32 v14, 0
	v_cmp_ne_u16_sdwa s[8:9], v11, v14 src0_sel:BYTE_0 src1_sel:DWORD
	s_andn2_b64 s[4:5], s[4:5], exec
	s_and_b64 s[8:9], s[8:9], exec
	s_or_b64 s[4:5], s[4:5], s[8:9]
	s_or_b64 exec, exec, s[6:7]
	s_and_saveexec_b64 s[6:7], s[4:5]
	s_cbranch_execnz .LBB14_847
	s_branch .LBB14_848
.LBB14_2897:
	s_movk_i32 s4, 0x80
	v_cmp_eq_u16_e32 vcc, s4, v11
	s_mov_b64 s[4:5], -1
                                        ; implicit-def: $sgpr10
	s_and_saveexec_b64 s[8:9], vcc
; %bb.2898:
	s_mov_b32 s10, 0x7f800001
	s_xor_b64 s[4:5], exec, -1
; %bb.2899:
	s_or_b64 exec, exec, s[8:9]
	s_and_b64 s[4:5], s[4:5], exec
                                        ; implicit-def: $vgpr11
	s_or_saveexec_b64 s[6:7], s[6:7]
	v_mov_b32_e32 v10, s10
	s_xor_b64 exec, exec, s[6:7]
	s_cbranch_execz .LBB14_850
.LBB14_2900:
	v_cmp_ne_u16_e32 vcc, 0, v11
	s_andn2_b64 s[4:5], s[4:5], exec
	s_and_b64 s[8:9], vcc, exec
	v_mov_b32_e32 v10, 0
	s_or_b64 s[4:5], s[4:5], s[8:9]
	s_or_b64 exec, exec, s[6:7]
	s_and_saveexec_b64 s[6:7], s[4:5]
	s_cbranch_execnz .LBB14_851
	s_branch .LBB14_852
.LBB14_2901:
	s_movk_i32 s4, 0x80
	v_cmp_eq_u16_e32 vcc, s4, v11
	s_mov_b64 s[4:5], -1
                                        ; implicit-def: $sgpr10
	s_and_saveexec_b64 s[8:9], vcc
; %bb.2902:
	s_mov_b32 s10, 0x7f800001
	s_xor_b64 s[4:5], exec, -1
; %bb.2903:
	s_or_b64 exec, exec, s[8:9]
	s_and_b64 s[4:5], s[4:5], exec
                                        ; implicit-def: $vgpr11
	s_or_saveexec_b64 s[6:7], s[6:7]
	v_mov_b32_e32 v14, s10
	s_xor_b64 exec, exec, s[6:7]
	s_cbranch_execz .LBB14_854
.LBB14_2904:
	v_cmp_ne_u16_e32 vcc, 0, v11
	s_andn2_b64 s[4:5], s[4:5], exec
	s_and_b64 s[8:9], vcc, exec
	v_mov_b32_e32 v14, 0
	s_or_b64 s[4:5], s[4:5], s[8:9]
	s_or_b64 exec, exec, s[6:7]
	s_and_saveexec_b64 s[6:7], s[4:5]
	s_cbranch_execnz .LBB14_855
	s_branch .LBB14_856
.LBB14_2905:
	s_movk_i32 s4, 0x80
	v_cmp_eq_u16_sdwa s[12:13], v16, s4 src0_sel:BYTE_3 src1_sel:DWORD
	s_mov_b64 s[4:5], -1
                                        ; implicit-def: $sgpr10
	s_and_saveexec_b64 s[8:9], s[12:13]
; %bb.2906:
	s_mov_b32 s10, 0x7f800001
	s_xor_b64 s[4:5], exec, -1
; %bb.2907:
	s_or_b64 exec, exec, s[8:9]
	s_and_b64 s[4:5], s[4:5], exec
	s_or_saveexec_b64 s[6:7], s[6:7]
	v_mov_b32_e32 v10, s10
	s_xor_b64 exec, exec, s[6:7]
	s_cbranch_execz .LBB14_858
.LBB14_2908:
	v_mov_b32_e32 v10, 0
	v_cmp_ne_u16_sdwa s[8:9], v16, v10 src0_sel:BYTE_3 src1_sel:DWORD
	s_andn2_b64 s[4:5], s[4:5], exec
	s_and_b64 s[8:9], s[8:9], exec
	s_or_b64 s[4:5], s[4:5], s[8:9]
	s_or_b64 exec, exec, s[6:7]
	s_and_saveexec_b64 s[6:7], s[4:5]
	s_cbranch_execnz .LBB14_859
	s_branch .LBB14_860
.LBB14_2909:
	s_movk_i32 s4, 0x80
	v_cmp_eq_u16_sdwa s[12:13], v12, s4 src0_sel:BYTE_3 src1_sel:DWORD
	s_mov_b64 s[4:5], -1
                                        ; implicit-def: $sgpr10
	s_and_saveexec_b64 s[8:9], s[12:13]
; %bb.2910:
	s_mov_b32 s10, 0x7f800001
	s_xor_b64 s[4:5], exec, -1
; %bb.2911:
	s_or_b64 exec, exec, s[8:9]
	s_and_b64 s[4:5], s[4:5], exec
	s_or_saveexec_b64 s[6:7], s[6:7]
	v_mov_b32_e32 v11, s10
	s_xor_b64 exec, exec, s[6:7]
	s_cbranch_execz .LBB14_862
.LBB14_2912:
	v_mov_b32_e32 v11, 0
	v_cmp_ne_u16_sdwa s[8:9], v12, v11 src0_sel:BYTE_3 src1_sel:DWORD
	s_andn2_b64 s[4:5], s[4:5], exec
	s_and_b64 s[8:9], s[8:9], exec
	s_or_b64 s[4:5], s[4:5], s[8:9]
	s_or_b64 exec, exec, s[6:7]
	s_and_saveexec_b64 s[6:7], s[4:5]
	s_cbranch_execnz .LBB14_863
	s_branch .LBB14_864
.LBB14_2913:
	s_movk_i32 s4, 0x80
	v_cmp_eq_u16_sdwa s[12:13], v17, s4 src0_sel:BYTE_0 src1_sel:DWORD
	s_mov_b64 s[4:5], -1
                                        ; implicit-def: $sgpr10
	s_and_saveexec_b64 s[8:9], s[12:13]
; %bb.2914:
	s_mov_b32 s10, 0x7f800001
	s_xor_b64 s[4:5], exec, -1
; %bb.2915:
	s_or_b64 exec, exec, s[8:9]
	s_and_b64 s[4:5], s[4:5], exec
	s_or_saveexec_b64 s[6:7], s[6:7]
	v_mov_b32_e32 v10, s10
	s_xor_b64 exec, exec, s[6:7]
	s_cbranch_execz .LBB14_866
.LBB14_2916:
	v_mov_b32_e32 v10, 0
	v_cmp_ne_u16_sdwa s[8:9], v17, v10 src0_sel:BYTE_0 src1_sel:DWORD
	s_andn2_b64 s[4:5], s[4:5], exec
	s_and_b64 s[8:9], s[8:9], exec
	s_or_b64 s[4:5], s[4:5], s[8:9]
	s_or_b64 exec, exec, s[6:7]
	s_and_saveexec_b64 s[6:7], s[4:5]
	s_cbranch_execnz .LBB14_867
	s_branch .LBB14_868
.LBB14_2917:
	s_movk_i32 s4, 0x80
	v_cmp_eq_u16_sdwa s[12:13], v13, s4 src0_sel:BYTE_0 src1_sel:DWORD
	s_mov_b64 s[4:5], -1
                                        ; implicit-def: $sgpr10
	s_and_saveexec_b64 s[8:9], s[12:13]
; %bb.2918:
	s_mov_b32 s10, 0x7f800001
	s_xor_b64 s[4:5], exec, -1
; %bb.2919:
	s_or_b64 exec, exec, s[8:9]
	s_and_b64 s[4:5], s[4:5], exec
	s_or_saveexec_b64 s[6:7], s[6:7]
	v_mov_b32_e32 v11, s10
	s_xor_b64 exec, exec, s[6:7]
	s_cbranch_execz .LBB14_870
.LBB14_2920:
	v_mov_b32_e32 v11, 0
	v_cmp_ne_u16_sdwa s[8:9], v13, v11 src0_sel:BYTE_0 src1_sel:DWORD
	s_andn2_b64 s[4:5], s[4:5], exec
	s_and_b64 s[8:9], s[8:9], exec
	s_or_b64 s[4:5], s[4:5], s[8:9]
	s_or_b64 exec, exec, s[6:7]
	s_and_saveexec_b64 s[6:7], s[4:5]
	s_cbranch_execnz .LBB14_871
	s_branch .LBB14_872
.LBB14_2921:
	s_movk_i32 s4, 0x80
	v_cmp_eq_u16_sdwa s[12:13], v11, s4 src0_sel:BYTE_0 src1_sel:DWORD
	s_mov_b64 s[4:5], -1
                                        ; implicit-def: $sgpr10
	s_and_saveexec_b64 s[8:9], s[12:13]
; %bb.2922:
	s_mov_b32 s10, 0x7f800001
	s_xor_b64 s[4:5], exec, -1
; %bb.2923:
	s_or_b64 exec, exec, s[8:9]
	s_and_b64 s[4:5], s[4:5], exec
	s_or_saveexec_b64 s[6:7], s[6:7]
	v_mov_b32_e32 v10, s10
	s_xor_b64 exec, exec, s[6:7]
	s_cbranch_execz .LBB14_874
.LBB14_2924:
	v_mov_b32_e32 v10, 0
	v_cmp_ne_u16_sdwa s[8:9], v11, v10 src0_sel:BYTE_0 src1_sel:DWORD
	s_andn2_b64 s[4:5], s[4:5], exec
	s_and_b64 s[8:9], s[8:9], exec
	s_or_b64 s[4:5], s[4:5], s[8:9]
	s_or_b64 exec, exec, s[6:7]
	s_and_saveexec_b64 s[6:7], s[4:5]
	s_cbranch_execnz .LBB14_875
	s_branch .LBB14_876
.LBB14_2925:
	s_movk_i32 s4, 0x80
	v_cmp_eq_u16_sdwa s[12:13], v11, s4 src0_sel:BYTE_0 src1_sel:DWORD
	s_mov_b64 s[4:5], -1
                                        ; implicit-def: $sgpr10
	s_and_saveexec_b64 s[8:9], s[12:13]
; %bb.2926:
	s_mov_b32 s10, 0x7f800001
	s_xor_b64 s[4:5], exec, -1
; %bb.2927:
	s_or_b64 exec, exec, s[8:9]
	s_and_b64 s[4:5], s[4:5], exec
	s_or_saveexec_b64 s[6:7], s[6:7]
	v_mov_b32_e32 v12, s10
	s_xor_b64 exec, exec, s[6:7]
	s_cbranch_execz .LBB14_878
.LBB14_2928:
	v_mov_b32_e32 v12, 0
	v_cmp_ne_u16_sdwa s[8:9], v11, v12 src0_sel:BYTE_0 src1_sel:DWORD
	s_andn2_b64 s[4:5], s[4:5], exec
	s_and_b64 s[8:9], s[8:9], exec
	s_or_b64 s[4:5], s[4:5], s[8:9]
	s_or_b64 exec, exec, s[6:7]
	s_and_saveexec_b64 s[6:7], s[4:5]
	s_cbranch_execnz .LBB14_879
	s_branch .LBB14_880
.LBB14_2929:
	s_movk_i32 s4, 0x80
	v_cmp_eq_u16_e32 vcc, s4, v11
	s_mov_b64 s[4:5], -1
                                        ; implicit-def: $sgpr10
	s_and_saveexec_b64 s[8:9], vcc
; %bb.2930:
	s_mov_b32 s10, 0x7f800001
	s_xor_b64 s[4:5], exec, -1
; %bb.2931:
	s_or_b64 exec, exec, s[8:9]
	s_and_b64 s[4:5], s[4:5], exec
                                        ; implicit-def: $vgpr11
	s_or_saveexec_b64 s[6:7], s[6:7]
	v_mov_b32_e32 v10, s10
	s_xor_b64 exec, exec, s[6:7]
	s_cbranch_execz .LBB14_882
.LBB14_2932:
	v_cmp_ne_u16_e32 vcc, 0, v11
	s_andn2_b64 s[4:5], s[4:5], exec
	s_and_b64 s[8:9], vcc, exec
	v_mov_b32_e32 v10, 0
	s_or_b64 s[4:5], s[4:5], s[8:9]
	s_or_b64 exec, exec, s[6:7]
	s_and_saveexec_b64 s[6:7], s[4:5]
	s_cbranch_execnz .LBB14_883
	s_branch .LBB14_884
.LBB14_2933:
	s_movk_i32 s4, 0x80
	v_cmp_eq_u16_e32 vcc, s4, v11
	s_mov_b64 s[4:5], -1
                                        ; implicit-def: $sgpr10
	s_and_saveexec_b64 s[8:9], vcc
; %bb.2934:
	s_mov_b32 s10, 0x7f800001
	s_xor_b64 s[4:5], exec, -1
; %bb.2935:
	s_or_b64 exec, exec, s[8:9]
	s_and_b64 s[4:5], s[4:5], exec
                                        ; implicit-def: $vgpr11
	s_or_saveexec_b64 s[6:7], s[6:7]
	v_mov_b32_e32 v12, s10
	s_xor_b64 exec, exec, s[6:7]
	s_cbranch_execz .LBB14_886
.LBB14_2936:
	v_cmp_ne_u16_e32 vcc, 0, v11
	s_andn2_b64 s[4:5], s[4:5], exec
	s_and_b64 s[8:9], vcc, exec
	v_mov_b32_e32 v12, 0
	s_or_b64 s[4:5], s[4:5], s[8:9]
	s_or_b64 exec, exec, s[6:7]
	s_and_saveexec_b64 s[6:7], s[4:5]
	s_cbranch_execnz .LBB14_887
	s_branch .LBB14_888
.LBB14_2937:
	s_movk_i32 s4, 0x80
	v_cmp_eq_u16_sdwa s[12:13], v17, s4 src0_sel:BYTE_3 src1_sel:DWORD
	s_mov_b64 s[4:5], -1
                                        ; implicit-def: $sgpr10
	s_and_saveexec_b64 s[8:9], s[12:13]
; %bb.2938:
	s_mov_b32 s10, 0x7f800001
	s_xor_b64 s[4:5], exec, -1
; %bb.2939:
	s_or_b64 exec, exec, s[8:9]
	s_and_b64 s[4:5], s[4:5], exec
	s_or_saveexec_b64 s[6:7], s[6:7]
	v_mov_b32_e32 v10, s10
	s_xor_b64 exec, exec, s[6:7]
	s_cbranch_execz .LBB14_890
.LBB14_2940:
	v_mov_b32_e32 v10, 0
	v_cmp_ne_u16_sdwa s[8:9], v17, v10 src0_sel:BYTE_3 src1_sel:DWORD
	s_andn2_b64 s[4:5], s[4:5], exec
	s_and_b64 s[8:9], s[8:9], exec
	s_or_b64 s[4:5], s[4:5], s[8:9]
	s_or_b64 exec, exec, s[6:7]
	s_and_saveexec_b64 s[6:7], s[4:5]
	s_cbranch_execnz .LBB14_891
	s_branch .LBB14_892
.LBB14_2941:
	s_movk_i32 s4, 0x80
	v_cmp_eq_u16_sdwa s[12:13], v13, s4 src0_sel:BYTE_3 src1_sel:DWORD
	s_mov_b64 s[4:5], -1
                                        ; implicit-def: $sgpr10
	s_and_saveexec_b64 s[8:9], s[12:13]
; %bb.2942:
	s_mov_b32 s10, 0x7f800001
	s_xor_b64 s[4:5], exec, -1
; %bb.2943:
	s_or_b64 exec, exec, s[8:9]
	s_and_b64 s[4:5], s[4:5], exec
	s_or_saveexec_b64 s[6:7], s[6:7]
	v_mov_b32_e32 v11, s10
	s_xor_b64 exec, exec, s[6:7]
	s_cbranch_execz .LBB14_894
.LBB14_2944:
	v_mov_b32_e32 v11, 0
	v_cmp_ne_u16_sdwa s[8:9], v13, v11 src0_sel:BYTE_3 src1_sel:DWORD
	s_andn2_b64 s[4:5], s[4:5], exec
	s_and_b64 s[8:9], s[8:9], exec
	s_or_b64 s[4:5], s[4:5], s[8:9]
	s_or_b64 exec, exec, s[6:7]
	s_and_saveexec_b64 s[6:7], s[4:5]
	s_cbranch_execnz .LBB14_895
	s_branch .LBB14_896
.LBB14_2945:
	s_movk_i32 s4, 0x80
	v_cmp_eq_u16_sdwa s[12:13], v6, s4 src0_sel:BYTE_0 src1_sel:DWORD
	s_mov_b64 s[4:5], -1
                                        ; implicit-def: $sgpr10
	s_and_saveexec_b64 s[8:9], s[12:13]
; %bb.2946:
	s_mov_b32 s10, 0x7f800001
	s_xor_b64 s[4:5], exec, -1
; %bb.2947:
	s_or_b64 exec, exec, s[8:9]
	s_and_b64 s[4:5], s[4:5], exec
	s_or_saveexec_b64 s[6:7], s[6:7]
	v_mov_b32_e32 v10, s10
	s_xor_b64 exec, exec, s[6:7]
	s_cbranch_execz .LBB14_898
.LBB14_2948:
	v_mov_b32_e32 v10, 0
	v_cmp_ne_u16_sdwa s[8:9], v6, v10 src0_sel:BYTE_0 src1_sel:DWORD
	s_andn2_b64 s[4:5], s[4:5], exec
	s_and_b64 s[8:9], s[8:9], exec
	s_or_b64 s[4:5], s[4:5], s[8:9]
	s_or_b64 exec, exec, s[6:7]
	s_and_saveexec_b64 s[6:7], s[4:5]
	s_cbranch_execnz .LBB14_899
	s_branch .LBB14_900
.LBB14_2949:
	s_movk_i32 s4, 0x80
	v_cmp_eq_u16_sdwa s[12:13], v2, s4 src0_sel:BYTE_0 src1_sel:DWORD
	s_mov_b64 s[4:5], -1
                                        ; implicit-def: $sgpr10
	s_and_saveexec_b64 s[8:9], s[12:13]
; %bb.2950:
	s_mov_b32 s10, 0x7f800001
	s_xor_b64 s[4:5], exec, -1
; %bb.2951:
	s_or_b64 exec, exec, s[8:9]
	s_and_b64 s[4:5], s[4:5], exec
	s_or_saveexec_b64 s[6:7], s[6:7]
	v_mov_b32_e32 v11, s10
	s_xor_b64 exec, exec, s[6:7]
	s_cbranch_execz .LBB14_902
.LBB14_2952:
	v_mov_b32_e32 v11, 0
	v_cmp_ne_u16_sdwa s[8:9], v2, v11 src0_sel:BYTE_0 src1_sel:DWORD
	s_andn2_b64 s[4:5], s[4:5], exec
	s_and_b64 s[8:9], s[8:9], exec
	s_or_b64 s[4:5], s[4:5], s[8:9]
	s_or_b64 exec, exec, s[6:7]
	s_and_saveexec_b64 s[6:7], s[4:5]
	s_cbranch_execnz .LBB14_903
	s_branch .LBB14_904
.LBB14_2953:
	s_movk_i32 s4, 0x80
	v_cmp_eq_u16_sdwa s[12:13], v11, s4 src0_sel:BYTE_0 src1_sel:DWORD
	s_mov_b64 s[4:5], -1
                                        ; implicit-def: $sgpr10
	s_and_saveexec_b64 s[8:9], s[12:13]
; %bb.2954:
	s_mov_b32 s10, 0x7f800001
	s_xor_b64 s[4:5], exec, -1
; %bb.2955:
	s_or_b64 exec, exec, s[8:9]
	s_and_b64 s[4:5], s[4:5], exec
	s_or_saveexec_b64 s[6:7], s[6:7]
	v_mov_b32_e32 v10, s10
	s_xor_b64 exec, exec, s[6:7]
	s_cbranch_execz .LBB14_906
.LBB14_2956:
	v_mov_b32_e32 v10, 0
	v_cmp_ne_u16_sdwa s[8:9], v11, v10 src0_sel:BYTE_0 src1_sel:DWORD
	s_andn2_b64 s[4:5], s[4:5], exec
	s_and_b64 s[8:9], s[8:9], exec
	s_or_b64 s[4:5], s[4:5], s[8:9]
	s_or_b64 exec, exec, s[6:7]
	s_and_saveexec_b64 s[6:7], s[4:5]
	s_cbranch_execnz .LBB14_907
	s_branch .LBB14_908
.LBB14_2957:
	s_movk_i32 s4, 0x80
	v_cmp_eq_u16_sdwa s[12:13], v11, s4 src0_sel:BYTE_0 src1_sel:DWORD
	s_mov_b64 s[4:5], -1
                                        ; implicit-def: $sgpr10
	s_and_saveexec_b64 s[8:9], s[12:13]
; %bb.2958:
	s_mov_b32 s10, 0x7f800001
	s_xor_b64 s[4:5], exec, -1
; %bb.2959:
	s_or_b64 exec, exec, s[8:9]
	s_and_b64 s[4:5], s[4:5], exec
	s_or_saveexec_b64 s[6:7], s[6:7]
	v_mov_b32_e32 v12, s10
	s_xor_b64 exec, exec, s[6:7]
	s_cbranch_execz .LBB14_910
.LBB14_2960:
	v_mov_b32_e32 v12, 0
	v_cmp_ne_u16_sdwa s[8:9], v11, v12 src0_sel:BYTE_0 src1_sel:DWORD
	s_andn2_b64 s[4:5], s[4:5], exec
	s_and_b64 s[8:9], s[8:9], exec
	s_or_b64 s[4:5], s[4:5], s[8:9]
	s_or_b64 exec, exec, s[6:7]
	s_and_saveexec_b64 s[6:7], s[4:5]
	s_cbranch_execnz .LBB14_911
	s_branch .LBB14_912
.LBB14_2961:
	s_movk_i32 s4, 0x80
	v_cmp_eq_u16_e32 vcc, s4, v11
	s_mov_b64 s[4:5], -1
                                        ; implicit-def: $sgpr10
	s_and_saveexec_b64 s[8:9], vcc
; %bb.2962:
	s_mov_b32 s10, 0x7f800001
	s_xor_b64 s[4:5], exec, -1
; %bb.2963:
	s_or_b64 exec, exec, s[8:9]
	s_and_b64 s[4:5], s[4:5], exec
                                        ; implicit-def: $vgpr11
	s_or_saveexec_b64 s[6:7], s[6:7]
	v_mov_b32_e32 v10, s10
	s_xor_b64 exec, exec, s[6:7]
	s_cbranch_execz .LBB14_914
.LBB14_2964:
	v_cmp_ne_u16_e32 vcc, 0, v11
	s_andn2_b64 s[4:5], s[4:5], exec
	s_and_b64 s[8:9], vcc, exec
	v_mov_b32_e32 v10, 0
	s_or_b64 s[4:5], s[4:5], s[8:9]
	s_or_b64 exec, exec, s[6:7]
	s_and_saveexec_b64 s[6:7], s[4:5]
	s_cbranch_execnz .LBB14_915
	s_branch .LBB14_916
.LBB14_2965:
	s_movk_i32 s4, 0x80
	v_cmp_eq_u16_e32 vcc, s4, v11
	s_mov_b64 s[4:5], -1
                                        ; implicit-def: $sgpr10
	s_and_saveexec_b64 s[8:9], vcc
; %bb.2966:
	s_mov_b32 s10, 0x7f800001
	s_xor_b64 s[4:5], exec, -1
; %bb.2967:
	s_or_b64 exec, exec, s[8:9]
	s_and_b64 s[4:5], s[4:5], exec
                                        ; implicit-def: $vgpr11
	s_or_saveexec_b64 s[6:7], s[6:7]
	v_mov_b32_e32 v12, s10
	s_xor_b64 exec, exec, s[6:7]
	s_cbranch_execz .LBB14_918
.LBB14_2968:
	v_cmp_ne_u16_e32 vcc, 0, v11
	s_andn2_b64 s[4:5], s[4:5], exec
	s_and_b64 s[8:9], vcc, exec
	v_mov_b32_e32 v12, 0
	s_or_b64 s[4:5], s[4:5], s[8:9]
	s_or_b64 exec, exec, s[6:7]
	s_and_saveexec_b64 s[6:7], s[4:5]
	s_cbranch_execnz .LBB14_919
	s_branch .LBB14_920
.LBB14_2969:
	s_movk_i32 s4, 0x80
	v_cmp_eq_u16_sdwa s[12:13], v6, s4 src0_sel:BYTE_3 src1_sel:DWORD
	s_mov_b64 s[4:5], -1
                                        ; implicit-def: $sgpr10
	s_and_saveexec_b64 s[8:9], s[12:13]
; %bb.2970:
	s_mov_b32 s10, 0x7f800001
	s_xor_b64 s[4:5], exec, -1
; %bb.2971:
	s_or_b64 exec, exec, s[8:9]
	s_and_b64 s[4:5], s[4:5], exec
	s_or_saveexec_b64 s[6:7], s[6:7]
	v_mov_b32_e32 v10, s10
	s_xor_b64 exec, exec, s[6:7]
	s_cbranch_execz .LBB14_922
.LBB14_2972:
	v_mov_b32_e32 v10, 0
	v_cmp_ne_u16_sdwa s[8:9], v6, v10 src0_sel:BYTE_3 src1_sel:DWORD
	s_andn2_b64 s[4:5], s[4:5], exec
	s_and_b64 s[8:9], s[8:9], exec
	s_or_b64 s[4:5], s[4:5], s[8:9]
	s_or_b64 exec, exec, s[6:7]
	s_and_saveexec_b64 s[6:7], s[4:5]
	s_cbranch_execnz .LBB14_923
	s_branch .LBB14_924
.LBB14_2973:
	s_movk_i32 s4, 0x80
	v_cmp_eq_u16_sdwa s[12:13], v2, s4 src0_sel:BYTE_3 src1_sel:DWORD
	s_mov_b64 s[4:5], -1
                                        ; implicit-def: $sgpr10
	s_and_saveexec_b64 s[8:9], s[12:13]
; %bb.2974:
	s_mov_b32 s10, 0x7f800001
	s_xor_b64 s[4:5], exec, -1
; %bb.2975:
	s_or_b64 exec, exec, s[8:9]
	s_and_b64 s[4:5], s[4:5], exec
	s_or_saveexec_b64 s[6:7], s[6:7]
	v_mov_b32_e32 v6, s10
	s_xor_b64 exec, exec, s[6:7]
	s_cbranch_execz .LBB14_926
.LBB14_2976:
	v_mov_b32_e32 v6, 0
	v_cmp_ne_u16_sdwa s[8:9], v2, v6 src0_sel:BYTE_3 src1_sel:DWORD
	s_andn2_b64 s[4:5], s[4:5], exec
	s_and_b64 s[8:9], s[8:9], exec
	s_or_b64 s[4:5], s[4:5], s[8:9]
	s_or_b64 exec, exec, s[6:7]
	s_and_saveexec_b64 s[6:7], s[4:5]
	s_cbranch_execnz .LBB14_927
	s_branch .LBB14_928
.LBB14_2977:
	s_movk_i32 s4, 0x80
	v_cmp_eq_u16_sdwa s[12:13], v7, s4 src0_sel:BYTE_0 src1_sel:DWORD
	s_mov_b64 s[4:5], -1
                                        ; implicit-def: $sgpr10
	s_and_saveexec_b64 s[8:9], s[12:13]
; %bb.2978:
	s_mov_b32 s10, 0x7f800001
	s_xor_b64 s[4:5], exec, -1
; %bb.2979:
	s_or_b64 exec, exec, s[8:9]
	s_and_b64 s[4:5], s[4:5], exec
	s_or_saveexec_b64 s[6:7], s[6:7]
	v_mov_b32_e32 v2, s10
	s_xor_b64 exec, exec, s[6:7]
	s_cbranch_execz .LBB14_930
.LBB14_2980:
	v_mov_b32_e32 v2, 0
	v_cmp_ne_u16_sdwa s[8:9], v7, v2 src0_sel:BYTE_0 src1_sel:DWORD
	s_andn2_b64 s[4:5], s[4:5], exec
	s_and_b64 s[8:9], s[8:9], exec
	s_or_b64 s[4:5], s[4:5], s[8:9]
	s_or_b64 exec, exec, s[6:7]
	s_and_saveexec_b64 s[6:7], s[4:5]
	s_cbranch_execnz .LBB14_931
	s_branch .LBB14_932
.LBB14_2981:
	s_movk_i32 s4, 0x80
	v_cmp_eq_u16_sdwa s[12:13], v3, s4 src0_sel:BYTE_0 src1_sel:DWORD
	s_mov_b64 s[4:5], -1
                                        ; implicit-def: $sgpr10
	s_and_saveexec_b64 s[8:9], s[12:13]
; %bb.2982:
	s_mov_b32 s10, 0x7f800001
	s_xor_b64 s[4:5], exec, -1
; %bb.2983:
	s_or_b64 exec, exec, s[8:9]
	s_and_b64 s[4:5], s[4:5], exec
	s_or_saveexec_b64 s[6:7], s[6:7]
	v_mov_b32_e32 v6, s10
	s_xor_b64 exec, exec, s[6:7]
	s_cbranch_execz .LBB14_934
.LBB14_2984:
	v_mov_b32_e32 v6, 0
	v_cmp_ne_u16_sdwa s[8:9], v3, v6 src0_sel:BYTE_0 src1_sel:DWORD
	s_andn2_b64 s[4:5], s[4:5], exec
	s_and_b64 s[8:9], s[8:9], exec
	s_or_b64 s[4:5], s[4:5], s[8:9]
	s_or_b64 exec, exec, s[6:7]
	s_and_saveexec_b64 s[6:7], s[4:5]
	s_cbranch_execnz .LBB14_935
	s_branch .LBB14_936
.LBB14_2985:
	s_movk_i32 s4, 0x80
	v_cmp_eq_u16_sdwa s[12:13], v6, s4 src0_sel:BYTE_0 src1_sel:DWORD
	s_mov_b64 s[4:5], -1
                                        ; implicit-def: $sgpr10
	s_and_saveexec_b64 s[8:9], s[12:13]
; %bb.2986:
	s_mov_b32 s10, 0x7f800001
	s_xor_b64 s[4:5], exec, -1
; %bb.2987:
	s_or_b64 exec, exec, s[8:9]
	s_and_b64 s[4:5], s[4:5], exec
	s_or_saveexec_b64 s[6:7], s[6:7]
	v_mov_b32_e32 v2, s10
	s_xor_b64 exec, exec, s[6:7]
	s_cbranch_execz .LBB14_938
.LBB14_2988:
	v_mov_b32_e32 v2, 0
	v_cmp_ne_u16_sdwa s[8:9], v6, v2 src0_sel:BYTE_0 src1_sel:DWORD
	s_andn2_b64 s[4:5], s[4:5], exec
	s_and_b64 s[8:9], s[8:9], exec
	s_or_b64 s[4:5], s[4:5], s[8:9]
	s_or_b64 exec, exec, s[6:7]
	s_and_saveexec_b64 s[6:7], s[4:5]
	s_cbranch_execnz .LBB14_939
	s_branch .LBB14_940
.LBB14_2989:
	s_movk_i32 s4, 0x80
	v_cmp_eq_u16_sdwa s[12:13], v6, s4 src0_sel:BYTE_0 src1_sel:DWORD
	s_mov_b64 s[4:5], -1
                                        ; implicit-def: $sgpr10
	s_and_saveexec_b64 s[8:9], s[12:13]
; %bb.2990:
	s_mov_b32 s10, 0x7f800001
	s_xor_b64 s[4:5], exec, -1
; %bb.2991:
	s_or_b64 exec, exec, s[8:9]
	s_and_b64 s[4:5], s[4:5], exec
	s_or_saveexec_b64 s[6:7], s[6:7]
	v_mov_b32_e32 v10, s10
	s_xor_b64 exec, exec, s[6:7]
	s_cbranch_execz .LBB14_942
.LBB14_2992:
	v_mov_b32_e32 v10, 0
	v_cmp_ne_u16_sdwa s[8:9], v6, v10 src0_sel:BYTE_0 src1_sel:DWORD
	s_andn2_b64 s[4:5], s[4:5], exec
	s_and_b64 s[8:9], s[8:9], exec
	s_or_b64 s[4:5], s[4:5], s[8:9]
	s_or_b64 exec, exec, s[6:7]
	s_and_saveexec_b64 s[6:7], s[4:5]
	s_cbranch_execnz .LBB14_943
	s_branch .LBB14_944
.LBB14_2993:
	s_movk_i32 s4, 0x80
	v_cmp_eq_u16_e32 vcc, s4, v6
	s_mov_b64 s[4:5], -1
                                        ; implicit-def: $sgpr10
	s_and_saveexec_b64 s[8:9], vcc
; %bb.2994:
	s_mov_b32 s10, 0x7f800001
	s_xor_b64 s[4:5], exec, -1
; %bb.2995:
	s_or_b64 exec, exec, s[8:9]
	s_and_b64 s[4:5], s[4:5], exec
                                        ; implicit-def: $vgpr6
	s_or_saveexec_b64 s[6:7], s[6:7]
	v_mov_b32_e32 v2, s10
	s_xor_b64 exec, exec, s[6:7]
	s_cbranch_execz .LBB14_946
.LBB14_2996:
	v_cmp_ne_u16_e32 vcc, 0, v6
	s_andn2_b64 s[4:5], s[4:5], exec
	s_and_b64 s[8:9], vcc, exec
	v_mov_b32_e32 v2, 0
	s_or_b64 s[4:5], s[4:5], s[8:9]
	s_or_b64 exec, exec, s[6:7]
	s_and_saveexec_b64 s[6:7], s[4:5]
	s_cbranch_execnz .LBB14_947
	s_branch .LBB14_948
.LBB14_2997:
	s_movk_i32 s4, 0x80
	v_cmp_eq_u16_e32 vcc, s4, v6
	s_mov_b64 s[4:5], -1
                                        ; implicit-def: $sgpr10
	s_and_saveexec_b64 s[8:9], vcc
; %bb.2998:
	s_mov_b32 s10, 0x7f800001
	s_xor_b64 s[4:5], exec, -1
; %bb.2999:
	s_or_b64 exec, exec, s[8:9]
	s_and_b64 s[4:5], s[4:5], exec
                                        ; implicit-def: $vgpr6
	s_or_saveexec_b64 s[6:7], s[6:7]
	v_mov_b32_e32 v10, s10
	s_xor_b64 exec, exec, s[6:7]
	s_cbranch_execz .LBB14_950
.LBB14_3000:
	v_cmp_ne_u16_e32 vcc, 0, v6
	s_andn2_b64 s[4:5], s[4:5], exec
	s_and_b64 s[8:9], vcc, exec
	v_mov_b32_e32 v10, 0
	s_or_b64 s[4:5], s[4:5], s[8:9]
	s_or_b64 exec, exec, s[6:7]
	s_and_saveexec_b64 s[6:7], s[4:5]
	s_cbranch_execnz .LBB14_951
	s_branch .LBB14_952
.LBB14_3001:
	s_movk_i32 s4, 0x80
	v_cmp_eq_u16_sdwa s[12:13], v7, s4 src0_sel:BYTE_3 src1_sel:DWORD
	s_mov_b64 s[4:5], -1
                                        ; implicit-def: $sgpr10
	s_and_saveexec_b64 s[8:9], s[12:13]
; %bb.3002:
	s_mov_b32 s10, 0x7f800001
	s_xor_b64 s[4:5], exec, -1
; %bb.3003:
	s_or_b64 exec, exec, s[8:9]
	s_and_b64 s[4:5], s[4:5], exec
	s_or_saveexec_b64 s[6:7], s[6:7]
	v_mov_b32_e32 v2, s10
	s_xor_b64 exec, exec, s[6:7]
	s_cbranch_execz .LBB14_954
.LBB14_3004:
	v_mov_b32_e32 v2, 0
	v_cmp_ne_u16_sdwa s[8:9], v7, v2 src0_sel:BYTE_3 src1_sel:DWORD
	s_andn2_b64 s[4:5], s[4:5], exec
	s_and_b64 s[8:9], s[8:9], exec
	s_or_b64 s[4:5], s[4:5], s[8:9]
	s_or_b64 exec, exec, s[6:7]
	s_and_saveexec_b64 s[6:7], s[4:5]
	s_cbranch_execnz .LBB14_955
	s_branch .LBB14_956
.LBB14_3005:
	s_movk_i32 s4, 0x80
	v_cmp_eq_u16_sdwa s[12:13], v3, s4 src0_sel:BYTE_3 src1_sel:DWORD
	s_mov_b64 s[4:5], -1
                                        ; implicit-def: $sgpr10
	s_and_saveexec_b64 s[8:9], s[12:13]
; %bb.3006:
	s_mov_b32 s10, 0x7f800001
	s_xor_b64 s[4:5], exec, -1
; %bb.3007:
	s_or_b64 exec, exec, s[8:9]
	s_and_b64 s[4:5], s[4:5], exec
	s_or_saveexec_b64 s[6:7], s[6:7]
	v_mov_b32_e32 v6, s10
	s_xor_b64 exec, exec, s[6:7]
	s_cbranch_execz .LBB14_958
.LBB14_3008:
	v_mov_b32_e32 v6, 0
	v_cmp_ne_u16_sdwa s[8:9], v3, v6 src0_sel:BYTE_3 src1_sel:DWORD
	s_andn2_b64 s[4:5], s[4:5], exec
	s_and_b64 s[8:9], s[8:9], exec
	s_or_b64 s[4:5], s[4:5], s[8:9]
	s_or_b64 exec, exec, s[6:7]
	s_and_saveexec_b64 s[6:7], s[4:5]
	s_cbranch_execnz .LBB14_959
	s_branch .LBB14_960
.LBB14_3009:
	s_movk_i32 s4, 0x80
	v_cmp_eq_u16_sdwa s[12:13], v8, s4 src0_sel:BYTE_0 src1_sel:DWORD
	s_mov_b64 s[4:5], -1
                                        ; implicit-def: $sgpr10
	s_and_saveexec_b64 s[8:9], s[12:13]
; %bb.3010:
	s_mov_b32 s10, 0x7f800001
	s_xor_b64 s[4:5], exec, -1
; %bb.3011:
	s_or_b64 exec, exec, s[8:9]
	s_and_b64 s[4:5], s[4:5], exec
	s_or_saveexec_b64 s[6:7], s[6:7]
	v_mov_b32_e32 v2, s10
	s_xor_b64 exec, exec, s[6:7]
	s_cbranch_execz .LBB14_962
.LBB14_3012:
	v_mov_b32_e32 v2, 0
	v_cmp_ne_u16_sdwa s[8:9], v8, v2 src0_sel:BYTE_0 src1_sel:DWORD
	s_andn2_b64 s[4:5], s[4:5], exec
	s_and_b64 s[8:9], s[8:9], exec
	s_or_b64 s[4:5], s[4:5], s[8:9]
	s_or_b64 exec, exec, s[6:7]
	s_and_saveexec_b64 s[6:7], s[4:5]
	s_cbranch_execnz .LBB14_963
	s_branch .LBB14_964
.LBB14_3013:
	s_movk_i32 s4, 0x80
	v_cmp_eq_u16_sdwa s[12:13], v4, s4 src0_sel:BYTE_0 src1_sel:DWORD
	s_mov_b64 s[4:5], -1
                                        ; implicit-def: $sgpr10
	s_and_saveexec_b64 s[8:9], s[12:13]
; %bb.3014:
	s_mov_b32 s10, 0x7f800001
	s_xor_b64 s[4:5], exec, -1
; %bb.3015:
	s_or_b64 exec, exec, s[8:9]
	s_and_b64 s[4:5], s[4:5], exec
	s_or_saveexec_b64 s[6:7], s[6:7]
	v_mov_b32_e32 v3, s10
	s_xor_b64 exec, exec, s[6:7]
	s_cbranch_execz .LBB14_966
.LBB14_3016:
	v_mov_b32_e32 v3, 0
	v_cmp_ne_u16_sdwa s[8:9], v4, v3 src0_sel:BYTE_0 src1_sel:DWORD
	s_andn2_b64 s[4:5], s[4:5], exec
	s_and_b64 s[8:9], s[8:9], exec
	s_or_b64 s[4:5], s[4:5], s[8:9]
	s_or_b64 exec, exec, s[6:7]
	s_and_saveexec_b64 s[6:7], s[4:5]
	s_cbranch_execnz .LBB14_967
	s_branch .LBB14_968
.LBB14_3017:
	s_movk_i32 s4, 0x80
	v_cmp_eq_u16_sdwa s[12:13], v3, s4 src0_sel:BYTE_0 src1_sel:DWORD
	s_mov_b64 s[4:5], -1
                                        ; implicit-def: $sgpr10
	s_and_saveexec_b64 s[8:9], s[12:13]
; %bb.3018:
	s_mov_b32 s10, 0x7f800001
	s_xor_b64 s[4:5], exec, -1
; %bb.3019:
	s_or_b64 exec, exec, s[8:9]
	s_and_b64 s[4:5], s[4:5], exec
	s_or_saveexec_b64 s[6:7], s[6:7]
	v_mov_b32_e32 v2, s10
	s_xor_b64 exec, exec, s[6:7]
	s_cbranch_execz .LBB14_970
.LBB14_3020:
	v_mov_b32_e32 v2, 0
	v_cmp_ne_u16_sdwa s[8:9], v3, v2 src0_sel:BYTE_0 src1_sel:DWORD
	s_andn2_b64 s[4:5], s[4:5], exec
	s_and_b64 s[8:9], s[8:9], exec
	s_or_b64 s[4:5], s[4:5], s[8:9]
	s_or_b64 exec, exec, s[6:7]
	s_and_saveexec_b64 s[6:7], s[4:5]
	s_cbranch_execnz .LBB14_971
	s_branch .LBB14_972
.LBB14_3021:
	s_movk_i32 s4, 0x80
	v_cmp_eq_u16_sdwa s[12:13], v3, s4 src0_sel:BYTE_0 src1_sel:DWORD
	s_mov_b64 s[4:5], -1
                                        ; implicit-def: $sgpr10
	s_and_saveexec_b64 s[8:9], s[12:13]
; %bb.3022:
	s_mov_b32 s10, 0x7f800001
	s_xor_b64 s[4:5], exec, -1
; %bb.3023:
	s_or_b64 exec, exec, s[8:9]
	s_and_b64 s[4:5], s[4:5], exec
	s_or_saveexec_b64 s[6:7], s[6:7]
	v_mov_b32_e32 v6, s10
	s_xor_b64 exec, exec, s[6:7]
	s_cbranch_execz .LBB14_974
.LBB14_3024:
	v_mov_b32_e32 v6, 0
	v_cmp_ne_u16_sdwa s[8:9], v3, v6 src0_sel:BYTE_0 src1_sel:DWORD
	s_andn2_b64 s[4:5], s[4:5], exec
	s_and_b64 s[8:9], s[8:9], exec
	s_or_b64 s[4:5], s[4:5], s[8:9]
	s_or_b64 exec, exec, s[6:7]
	s_and_saveexec_b64 s[6:7], s[4:5]
	s_cbranch_execnz .LBB14_975
	s_branch .LBB14_976
.LBB14_3025:
	s_movk_i32 s4, 0x80
	v_cmp_eq_u16_e32 vcc, s4, v3
	s_mov_b64 s[4:5], -1
                                        ; implicit-def: $sgpr10
	s_and_saveexec_b64 s[8:9], vcc
; %bb.3026:
	s_mov_b32 s10, 0x7f800001
	s_xor_b64 s[4:5], exec, -1
; %bb.3027:
	s_or_b64 exec, exec, s[8:9]
	s_and_b64 s[4:5], s[4:5], exec
                                        ; implicit-def: $vgpr3
	s_or_saveexec_b64 s[6:7], s[6:7]
	v_mov_b32_e32 v2, s10
	s_xor_b64 exec, exec, s[6:7]
	s_cbranch_execz .LBB14_978
.LBB14_3028:
	v_cmp_ne_u16_e32 vcc, 0, v3
	s_andn2_b64 s[4:5], s[4:5], exec
	s_and_b64 s[8:9], vcc, exec
	v_mov_b32_e32 v2, 0
	s_or_b64 s[4:5], s[4:5], s[8:9]
	s_or_b64 exec, exec, s[6:7]
	s_and_saveexec_b64 s[6:7], s[4:5]
	s_cbranch_execnz .LBB14_979
	s_branch .LBB14_980
.LBB14_3029:
	s_movk_i32 s4, 0x80
	v_cmp_eq_u16_e32 vcc, s4, v3
	s_mov_b64 s[4:5], -1
                                        ; implicit-def: $sgpr10
	s_and_saveexec_b64 s[8:9], vcc
; %bb.3030:
	s_mov_b32 s10, 0x7f800001
	s_xor_b64 s[4:5], exec, -1
; %bb.3031:
	s_or_b64 exec, exec, s[8:9]
	s_and_b64 s[4:5], s[4:5], exec
                                        ; implicit-def: $vgpr3
	s_or_saveexec_b64 s[6:7], s[6:7]
	v_mov_b32_e32 v6, s10
	s_xor_b64 exec, exec, s[6:7]
	s_cbranch_execz .LBB14_982
.LBB14_3032:
	v_cmp_ne_u16_e32 vcc, 0, v3
	s_andn2_b64 s[4:5], s[4:5], exec
	s_and_b64 s[8:9], vcc, exec
	v_mov_b32_e32 v6, 0
	s_or_b64 s[4:5], s[4:5], s[8:9]
	s_or_b64 exec, exec, s[6:7]
	s_and_saveexec_b64 s[6:7], s[4:5]
	s_cbranch_execnz .LBB14_983
	s_branch .LBB14_984
.LBB14_3033:
	s_movk_i32 s4, 0x80
	v_cmp_eq_u16_sdwa s[12:13], v8, s4 src0_sel:BYTE_3 src1_sel:DWORD
	s_mov_b64 s[4:5], -1
                                        ; implicit-def: $sgpr10
	s_and_saveexec_b64 s[8:9], s[12:13]
; %bb.3034:
	s_mov_b32 s10, 0x7f800001
	s_xor_b64 s[4:5], exec, -1
; %bb.3035:
	s_or_b64 exec, exec, s[8:9]
	s_and_b64 s[4:5], s[4:5], exec
	s_or_saveexec_b64 s[6:7], s[6:7]
	v_mov_b32_e32 v2, s10
	s_xor_b64 exec, exec, s[6:7]
	s_cbranch_execz .LBB14_986
.LBB14_3036:
	v_mov_b32_e32 v2, 0
	v_cmp_ne_u16_sdwa s[8:9], v8, v2 src0_sel:BYTE_3 src1_sel:DWORD
	s_andn2_b64 s[4:5], s[4:5], exec
	s_and_b64 s[8:9], s[8:9], exec
	s_or_b64 s[4:5], s[4:5], s[8:9]
	s_or_b64 exec, exec, s[6:7]
	s_and_saveexec_b64 s[6:7], s[4:5]
	s_cbranch_execnz .LBB14_987
	s_branch .LBB14_988
.LBB14_3037:
	s_movk_i32 s4, 0x80
	v_cmp_eq_u16_sdwa s[12:13], v4, s4 src0_sel:BYTE_3 src1_sel:DWORD
	s_mov_b64 s[4:5], -1
                                        ; implicit-def: $sgpr10
	s_and_saveexec_b64 s[8:9], s[12:13]
; %bb.3038:
	s_mov_b32 s10, 0x7f800001
	s_xor_b64 s[4:5], exec, -1
; %bb.3039:
	s_or_b64 exec, exec, s[8:9]
	s_and_b64 s[4:5], s[4:5], exec
	s_or_saveexec_b64 s[6:7], s[6:7]
	v_mov_b32_e32 v3, s10
	s_xor_b64 exec, exec, s[6:7]
	s_cbranch_execz .LBB14_990
.LBB14_3040:
	v_mov_b32_e32 v3, 0
	v_cmp_ne_u16_sdwa s[8:9], v4, v3 src0_sel:BYTE_3 src1_sel:DWORD
	s_andn2_b64 s[4:5], s[4:5], exec
	s_and_b64 s[8:9], s[8:9], exec
	s_or_b64 s[4:5], s[4:5], s[8:9]
	s_or_b64 exec, exec, s[6:7]
	s_and_saveexec_b64 s[6:7], s[4:5]
	s_cbranch_execnz .LBB14_991
	s_branch .LBB14_992
.LBB14_3041:
	s_movk_i32 s4, 0x80
	v_cmp_eq_u16_sdwa s[12:13], v9, s4 src0_sel:BYTE_0 src1_sel:DWORD
	s_mov_b64 s[4:5], -1
                                        ; implicit-def: $sgpr10
	s_and_saveexec_b64 s[8:9], s[12:13]
; %bb.3042:
	s_mov_b32 s10, 0x7f800001
	s_xor_b64 s[4:5], exec, -1
; %bb.3043:
	s_or_b64 exec, exec, s[8:9]
	s_and_b64 s[4:5], s[4:5], exec
	s_or_saveexec_b64 s[6:7], s[6:7]
	v_mov_b32_e32 v2, s10
	s_xor_b64 exec, exec, s[6:7]
	s_cbranch_execz .LBB14_994
.LBB14_3044:
	v_mov_b32_e32 v2, 0
	v_cmp_ne_u16_sdwa s[8:9], v9, v2 src0_sel:BYTE_0 src1_sel:DWORD
	s_andn2_b64 s[4:5], s[4:5], exec
	s_and_b64 s[8:9], s[8:9], exec
	s_or_b64 s[4:5], s[4:5], s[8:9]
	s_or_b64 exec, exec, s[6:7]
	s_and_saveexec_b64 s[6:7], s[4:5]
	s_cbranch_execnz .LBB14_995
	s_branch .LBB14_996
.LBB14_3045:
	s_movk_i32 s4, 0x80
	v_cmp_eq_u16_sdwa s[12:13], v5, s4 src0_sel:BYTE_0 src1_sel:DWORD
	s_mov_b64 s[4:5], -1
                                        ; implicit-def: $sgpr10
	s_and_saveexec_b64 s[8:9], s[12:13]
; %bb.3046:
	s_mov_b32 s10, 0x7f800001
	s_xor_b64 s[4:5], exec, -1
; %bb.3047:
	s_or_b64 exec, exec, s[8:9]
	s_and_b64 s[4:5], s[4:5], exec
	s_or_saveexec_b64 s[6:7], s[6:7]
	v_mov_b32_e32 v3, s10
	s_xor_b64 exec, exec, s[6:7]
	s_cbranch_execz .LBB14_998
.LBB14_3048:
	v_mov_b32_e32 v3, 0
	v_cmp_ne_u16_sdwa s[8:9], v5, v3 src0_sel:BYTE_0 src1_sel:DWORD
	s_andn2_b64 s[4:5], s[4:5], exec
	s_and_b64 s[8:9], s[8:9], exec
	s_or_b64 s[4:5], s[4:5], s[8:9]
	s_or_b64 exec, exec, s[6:7]
	s_and_saveexec_b64 s[6:7], s[4:5]
	s_cbranch_execnz .LBB14_999
	s_branch .LBB14_1000
.LBB14_3049:
	s_movk_i32 s4, 0x80
	v_cmp_eq_u16_sdwa s[12:13], v3, s4 src0_sel:BYTE_0 src1_sel:DWORD
	s_mov_b64 s[4:5], -1
                                        ; implicit-def: $sgpr10
	s_and_saveexec_b64 s[8:9], s[12:13]
; %bb.3050:
	s_mov_b32 s10, 0x7f800001
	s_xor_b64 s[4:5], exec, -1
; %bb.3051:
	s_or_b64 exec, exec, s[8:9]
	s_and_b64 s[4:5], s[4:5], exec
	s_or_saveexec_b64 s[6:7], s[6:7]
	v_mov_b32_e32 v2, s10
	s_xor_b64 exec, exec, s[6:7]
	s_cbranch_execz .LBB14_1002
.LBB14_3052:
	v_mov_b32_e32 v2, 0
	v_cmp_ne_u16_sdwa s[8:9], v3, v2 src0_sel:BYTE_0 src1_sel:DWORD
	s_andn2_b64 s[4:5], s[4:5], exec
	s_and_b64 s[8:9], s[8:9], exec
	s_or_b64 s[4:5], s[4:5], s[8:9]
	s_or_b64 exec, exec, s[6:7]
	s_and_saveexec_b64 s[6:7], s[4:5]
	s_cbranch_execnz .LBB14_1003
	s_branch .LBB14_1004
.LBB14_3053:
	s_movk_i32 s4, 0x80
	v_cmp_eq_u16_sdwa s[12:13], v3, s4 src0_sel:BYTE_0 src1_sel:DWORD
	s_mov_b64 s[4:5], -1
                                        ; implicit-def: $sgpr10
	s_and_saveexec_b64 s[8:9], s[12:13]
; %bb.3054:
	s_mov_b32 s10, 0x7f800001
	s_xor_b64 s[4:5], exec, -1
; %bb.3055:
	s_or_b64 exec, exec, s[8:9]
	s_and_b64 s[4:5], s[4:5], exec
	s_or_saveexec_b64 s[6:7], s[6:7]
	v_mov_b32_e32 v4, s10
	s_xor_b64 exec, exec, s[6:7]
	s_cbranch_execz .LBB14_1006
.LBB14_3056:
	v_mov_b32_e32 v4, 0
	v_cmp_ne_u16_sdwa s[8:9], v3, v4 src0_sel:BYTE_0 src1_sel:DWORD
	s_andn2_b64 s[4:5], s[4:5], exec
	s_and_b64 s[8:9], s[8:9], exec
	s_or_b64 s[4:5], s[4:5], s[8:9]
	s_or_b64 exec, exec, s[6:7]
	s_and_saveexec_b64 s[6:7], s[4:5]
	s_cbranch_execnz .LBB14_1007
	s_branch .LBB14_1008
.LBB14_3057:
	s_movk_i32 s4, 0x80
	v_cmp_eq_u16_e32 vcc, s4, v3
	s_mov_b64 s[4:5], -1
                                        ; implicit-def: $sgpr10
	s_and_saveexec_b64 s[8:9], vcc
; %bb.3058:
	s_mov_b32 s10, 0x7f800001
	s_xor_b64 s[4:5], exec, -1
; %bb.3059:
	s_or_b64 exec, exec, s[8:9]
	s_and_b64 s[4:5], s[4:5], exec
                                        ; implicit-def: $vgpr3
	s_or_saveexec_b64 s[6:7], s[6:7]
	v_mov_b32_e32 v2, s10
	s_xor_b64 exec, exec, s[6:7]
	s_cbranch_execz .LBB14_1010
.LBB14_3060:
	v_cmp_ne_u16_e32 vcc, 0, v3
	s_andn2_b64 s[4:5], s[4:5], exec
	s_and_b64 s[8:9], vcc, exec
	v_mov_b32_e32 v2, 0
	s_or_b64 s[4:5], s[4:5], s[8:9]
	s_or_b64 exec, exec, s[6:7]
	s_and_saveexec_b64 s[6:7], s[4:5]
	s_cbranch_execnz .LBB14_1011
	s_branch .LBB14_1012
.LBB14_3061:
	s_movk_i32 s4, 0x80
	v_cmp_eq_u16_e32 vcc, s4, v3
	s_mov_b64 s[4:5], -1
                                        ; implicit-def: $sgpr10
	s_and_saveexec_b64 s[8:9], vcc
; %bb.3062:
	s_mov_b32 s10, 0x7f800001
	s_xor_b64 s[4:5], exec, -1
; %bb.3063:
	s_or_b64 exec, exec, s[8:9]
	s_and_b64 s[4:5], s[4:5], exec
                                        ; implicit-def: $vgpr3
	s_or_saveexec_b64 s[6:7], s[6:7]
	v_mov_b32_e32 v4, s10
	s_xor_b64 exec, exec, s[6:7]
	s_cbranch_execz .LBB14_1014
.LBB14_3064:
	v_cmp_ne_u16_e32 vcc, 0, v3
	s_andn2_b64 s[4:5], s[4:5], exec
	s_and_b64 s[8:9], vcc, exec
	v_mov_b32_e32 v4, 0
	s_or_b64 s[4:5], s[4:5], s[8:9]
	s_or_b64 exec, exec, s[6:7]
	s_and_saveexec_b64 s[6:7], s[4:5]
	s_cbranch_execnz .LBB14_1015
	s_branch .LBB14_1016
.LBB14_3065:
	s_movk_i32 s4, 0x80
	v_cmp_eq_u16_sdwa s[12:13], v9, s4 src0_sel:BYTE_3 src1_sel:DWORD
	s_mov_b64 s[4:5], -1
                                        ; implicit-def: $sgpr10
	s_and_saveexec_b64 s[8:9], s[12:13]
; %bb.3066:
	s_mov_b32 s10, 0x7f800001
	s_xor_b64 s[4:5], exec, -1
; %bb.3067:
	s_or_b64 exec, exec, s[8:9]
	s_and_b64 s[4:5], s[4:5], exec
	s_or_saveexec_b64 s[6:7], s[6:7]
	v_mov_b32_e32 v2, s10
	s_xor_b64 exec, exec, s[6:7]
	s_cbranch_execz .LBB14_1018
.LBB14_3068:
	v_mov_b32_e32 v2, 0
	v_cmp_ne_u16_sdwa s[8:9], v9, v2 src0_sel:BYTE_3 src1_sel:DWORD
	s_andn2_b64 s[4:5], s[4:5], exec
	s_and_b64 s[8:9], s[8:9], exec
	s_or_b64 s[4:5], s[4:5], s[8:9]
	s_or_b64 exec, exec, s[6:7]
	s_and_saveexec_b64 s[6:7], s[4:5]
	s_cbranch_execnz .LBB14_1019
	s_branch .LBB14_1020
.LBB14_3069:
	s_movk_i32 s4, 0x80
	v_cmp_eq_u16_sdwa s[12:13], v5, s4 src0_sel:BYTE_3 src1_sel:DWORD
	s_mov_b64 s[4:5], -1
                                        ; implicit-def: $sgpr10
	s_and_saveexec_b64 s[8:9], s[12:13]
; %bb.3070:
	s_mov_b32 s10, 0x7f800001
	s_xor_b64 s[4:5], exec, -1
; %bb.3071:
	s_or_b64 exec, exec, s[8:9]
	s_and_b64 s[4:5], s[4:5], exec
	s_or_saveexec_b64 s[6:7], s[6:7]
	v_mov_b32_e32 v3, s10
	s_xor_b64 exec, exec, s[6:7]
	s_cbranch_execz .LBB14_1022
.LBB14_3072:
	v_mov_b32_e32 v3, 0
	v_cmp_ne_u16_sdwa s[8:9], v5, v3 src0_sel:BYTE_3 src1_sel:DWORD
	s_andn2_b64 s[4:5], s[4:5], exec
	s_and_b64 s[8:9], s[8:9], exec
	s_or_b64 s[4:5], s[4:5], s[8:9]
	s_or_b64 exec, exec, s[6:7]
	s_and_saveexec_b64 s[6:7], s[4:5]
	s_cbranch_execnz .LBB14_1023
	s_branch .LBB14_1024
.LBB14_3073:
	s_movk_i32 s4, 0x80
	v_cmp_eq_u16_sdwa s[12:13], v14, s4 src0_sel:BYTE_0 src1_sel:DWORD
	s_mov_b64 s[4:5], -1
                                        ; implicit-def: $sgpr10
	s_and_saveexec_b64 s[8:9], s[12:13]
; %bb.3074:
	s_mov_b32 s10, 0x7f800001
	s_xor_b64 s[4:5], exec, -1
; %bb.3075:
	s_or_b64 exec, exec, s[8:9]
	s_and_b64 s[4:5], s[4:5], exec
	s_or_saveexec_b64 s[6:7], s[6:7]
	v_mov_b32_e32 v20, s10
	s_xor_b64 exec, exec, s[6:7]
	s_cbranch_execz .LBB14_1026
.LBB14_3076:
	v_mov_b32_e32 v20, 0
	v_cmp_ne_u16_sdwa s[8:9], v14, v20 src0_sel:BYTE_0 src1_sel:DWORD
	s_andn2_b64 s[4:5], s[4:5], exec
	s_and_b64 s[8:9], s[8:9], exec
	s_or_b64 s[4:5], s[4:5], s[8:9]
	s_or_b64 exec, exec, s[6:7]
	s_and_saveexec_b64 s[6:7], s[4:5]
	s_cbranch_execnz .LBB14_1027
	s_branch .LBB14_1028
.LBB14_3077:
	s_movk_i32 s4, 0x80
	v_cmp_eq_u16_sdwa s[12:13], v10, s4 src0_sel:BYTE_0 src1_sel:DWORD
	s_mov_b64 s[4:5], -1
                                        ; implicit-def: $sgpr10
	s_and_saveexec_b64 s[8:9], s[12:13]
; %bb.3078:
	s_mov_b32 s10, 0x7f800001
	s_xor_b64 s[4:5], exec, -1
; %bb.3079:
	s_or_b64 exec, exec, s[8:9]
	s_and_b64 s[4:5], s[4:5], exec
	s_or_saveexec_b64 s[6:7], s[6:7]
	v_mov_b32_e32 v21, s10
	s_xor_b64 exec, exec, s[6:7]
	s_cbranch_execz .LBB14_1030
.LBB14_3080:
	v_mov_b32_e32 v21, 0
	v_cmp_ne_u16_sdwa s[8:9], v10, v21 src0_sel:BYTE_0 src1_sel:DWORD
	s_andn2_b64 s[4:5], s[4:5], exec
	s_and_b64 s[8:9], s[8:9], exec
	s_or_b64 s[4:5], s[4:5], s[8:9]
	s_or_b64 exec, exec, s[6:7]
	s_and_saveexec_b64 s[6:7], s[4:5]
	s_cbranch_execnz .LBB14_1031
	s_branch .LBB14_1032
.LBB14_3081:
	s_movk_i32 s4, 0x80
	v_cmp_eq_u16_sdwa s[12:13], v21, s4 src0_sel:BYTE_0 src1_sel:DWORD
	s_mov_b64 s[4:5], -1
                                        ; implicit-def: $sgpr10
	s_and_saveexec_b64 s[8:9], s[12:13]
; %bb.3082:
	s_mov_b32 s10, 0x7f800001
	s_xor_b64 s[4:5], exec, -1
; %bb.3083:
	s_or_b64 exec, exec, s[8:9]
	s_and_b64 s[4:5], s[4:5], exec
	s_or_saveexec_b64 s[6:7], s[6:7]
	v_mov_b32_e32 v20, s10
	s_xor_b64 exec, exec, s[6:7]
	s_cbranch_execz .LBB14_1034
.LBB14_3084:
	v_mov_b32_e32 v20, 0
	v_cmp_ne_u16_sdwa s[8:9], v21, v20 src0_sel:BYTE_0 src1_sel:DWORD
	s_andn2_b64 s[4:5], s[4:5], exec
	s_and_b64 s[8:9], s[8:9], exec
	s_or_b64 s[4:5], s[4:5], s[8:9]
	s_or_b64 exec, exec, s[6:7]
	s_and_saveexec_b64 s[6:7], s[4:5]
	s_cbranch_execnz .LBB14_1035
	s_branch .LBB14_1036
.LBB14_3085:
	s_movk_i32 s4, 0x80
	v_cmp_eq_u16_sdwa s[12:13], v21, s4 src0_sel:BYTE_0 src1_sel:DWORD
	s_mov_b64 s[4:5], -1
                                        ; implicit-def: $sgpr10
	s_and_saveexec_b64 s[8:9], s[12:13]
; %bb.3086:
	s_mov_b32 s10, 0x7f800001
	s_xor_b64 s[4:5], exec, -1
; %bb.3087:
	s_or_b64 exec, exec, s[8:9]
	s_and_b64 s[4:5], s[4:5], exec
	s_or_saveexec_b64 s[6:7], s[6:7]
	v_mov_b32_e32 v22, s10
	s_xor_b64 exec, exec, s[6:7]
	s_cbranch_execz .LBB14_1038
.LBB14_3088:
	v_mov_b32_e32 v22, 0
	v_cmp_ne_u16_sdwa s[8:9], v21, v22 src0_sel:BYTE_0 src1_sel:DWORD
	s_andn2_b64 s[4:5], s[4:5], exec
	s_and_b64 s[8:9], s[8:9], exec
	s_or_b64 s[4:5], s[4:5], s[8:9]
	s_or_b64 exec, exec, s[6:7]
	s_and_saveexec_b64 s[6:7], s[4:5]
	s_cbranch_execnz .LBB14_1039
	s_branch .LBB14_1040
.LBB14_3089:
	s_movk_i32 s4, 0x80
	v_cmp_eq_u16_e32 vcc, s4, v21
	s_mov_b64 s[4:5], -1
                                        ; implicit-def: $sgpr10
	s_and_saveexec_b64 s[8:9], vcc
; %bb.3090:
	s_mov_b32 s10, 0x7f800001
	s_xor_b64 s[4:5], exec, -1
; %bb.3091:
	s_or_b64 exec, exec, s[8:9]
	s_and_b64 s[4:5], s[4:5], exec
                                        ; implicit-def: $vgpr21
	s_or_saveexec_b64 s[6:7], s[6:7]
	v_mov_b32_e32 v20, s10
	s_xor_b64 exec, exec, s[6:7]
	s_cbranch_execz .LBB14_1042
.LBB14_3092:
	v_cmp_ne_u16_e32 vcc, 0, v21
	s_andn2_b64 s[4:5], s[4:5], exec
	s_and_b64 s[8:9], vcc, exec
	v_mov_b32_e32 v20, 0
	s_or_b64 s[4:5], s[4:5], s[8:9]
	s_or_b64 exec, exec, s[6:7]
	s_and_saveexec_b64 s[6:7], s[4:5]
	s_cbranch_execnz .LBB14_1043
	s_branch .LBB14_1044
.LBB14_3093:
	s_movk_i32 s4, 0x80
	v_cmp_eq_u16_e32 vcc, s4, v21
	s_mov_b64 s[4:5], -1
                                        ; implicit-def: $sgpr10
	s_and_saveexec_b64 s[8:9], vcc
; %bb.3094:
	s_mov_b32 s10, 0x7f800001
	s_xor_b64 s[4:5], exec, -1
; %bb.3095:
	s_or_b64 exec, exec, s[8:9]
	s_and_b64 s[4:5], s[4:5], exec
                                        ; implicit-def: $vgpr21
	s_or_saveexec_b64 s[6:7], s[6:7]
	v_mov_b32_e32 v22, s10
	s_xor_b64 exec, exec, s[6:7]
	s_cbranch_execz .LBB14_1046
.LBB14_3096:
	v_cmp_ne_u16_e32 vcc, 0, v21
	s_andn2_b64 s[4:5], s[4:5], exec
	s_and_b64 s[8:9], vcc, exec
	v_mov_b32_e32 v22, 0
	s_or_b64 s[4:5], s[4:5], s[8:9]
	s_or_b64 exec, exec, s[6:7]
	s_and_saveexec_b64 s[6:7], s[4:5]
	s_cbranch_execnz .LBB14_1047
	s_branch .LBB14_1048
.LBB14_3097:
	s_movk_i32 s4, 0x80
	v_cmp_eq_u16_sdwa s[12:13], v14, s4 src0_sel:BYTE_3 src1_sel:DWORD
	s_mov_b64 s[4:5], -1
                                        ; implicit-def: $sgpr10
	s_and_saveexec_b64 s[8:9], s[12:13]
; %bb.3098:
	s_mov_b32 s10, 0x7f800001
	s_xor_b64 s[4:5], exec, -1
; %bb.3099:
	s_or_b64 exec, exec, s[8:9]
	s_and_b64 s[4:5], s[4:5], exec
	s_or_saveexec_b64 s[6:7], s[6:7]
	v_mov_b32_e32 v20, s10
	s_xor_b64 exec, exec, s[6:7]
	s_cbranch_execz .LBB14_1050
.LBB14_3100:
	v_mov_b32_e32 v20, 0
	v_cmp_ne_u16_sdwa s[8:9], v14, v20 src0_sel:BYTE_3 src1_sel:DWORD
	s_andn2_b64 s[4:5], s[4:5], exec
	s_and_b64 s[8:9], s[8:9], exec
	s_or_b64 s[4:5], s[4:5], s[8:9]
	s_or_b64 exec, exec, s[6:7]
	s_and_saveexec_b64 s[6:7], s[4:5]
	s_cbranch_execnz .LBB14_1051
	s_branch .LBB14_1052
.LBB14_3101:
	s_movk_i32 s4, 0x80
	v_cmp_eq_u16_sdwa s[12:13], v10, s4 src0_sel:BYTE_3 src1_sel:DWORD
	s_mov_b64 s[4:5], -1
                                        ; implicit-def: $sgpr10
	s_and_saveexec_b64 s[8:9], s[12:13]
; %bb.3102:
	s_mov_b32 s10, 0x7f800001
	s_xor_b64 s[4:5], exec, -1
; %bb.3103:
	s_or_b64 exec, exec, s[8:9]
	s_and_b64 s[4:5], s[4:5], exec
	s_or_saveexec_b64 s[6:7], s[6:7]
	v_mov_b32_e32 v14, s10
	s_xor_b64 exec, exec, s[6:7]
	s_cbranch_execz .LBB14_1054
.LBB14_3104:
	v_mov_b32_e32 v14, 0
	v_cmp_ne_u16_sdwa s[8:9], v10, v14 src0_sel:BYTE_3 src1_sel:DWORD
	s_andn2_b64 s[4:5], s[4:5], exec
	s_and_b64 s[8:9], s[8:9], exec
	s_or_b64 s[4:5], s[4:5], s[8:9]
	s_or_b64 exec, exec, s[6:7]
	s_and_saveexec_b64 s[6:7], s[4:5]
	s_cbranch_execnz .LBB14_1055
	s_branch .LBB14_1056
.LBB14_3105:
	s_movk_i32 s4, 0x80
	v_cmp_eq_u16_sdwa s[12:13], v15, s4 src0_sel:BYTE_0 src1_sel:DWORD
	s_mov_b64 s[4:5], -1
                                        ; implicit-def: $sgpr10
	s_and_saveexec_b64 s[8:9], s[12:13]
; %bb.3106:
	s_mov_b32 s10, 0x7f800001
	s_xor_b64 s[4:5], exec, -1
; %bb.3107:
	s_or_b64 exec, exec, s[8:9]
	s_and_b64 s[4:5], s[4:5], exec
	s_or_saveexec_b64 s[6:7], s[6:7]
	v_mov_b32_e32 v10, s10
	s_xor_b64 exec, exec, s[6:7]
	s_cbranch_execz .LBB14_1058
.LBB14_3108:
	v_mov_b32_e32 v10, 0
	v_cmp_ne_u16_sdwa s[8:9], v15, v10 src0_sel:BYTE_0 src1_sel:DWORD
	s_andn2_b64 s[4:5], s[4:5], exec
	s_and_b64 s[8:9], s[8:9], exec
	s_or_b64 s[4:5], s[4:5], s[8:9]
	s_or_b64 exec, exec, s[6:7]
	s_and_saveexec_b64 s[6:7], s[4:5]
	s_cbranch_execnz .LBB14_1059
	s_branch .LBB14_1060
.LBB14_3109:
	s_movk_i32 s4, 0x80
	v_cmp_eq_u16_sdwa s[12:13], v11, s4 src0_sel:BYTE_0 src1_sel:DWORD
	s_mov_b64 s[4:5], -1
                                        ; implicit-def: $sgpr10
	s_and_saveexec_b64 s[8:9], s[12:13]
; %bb.3110:
	s_mov_b32 s10, 0x7f800001
	s_xor_b64 s[4:5], exec, -1
; %bb.3111:
	s_or_b64 exec, exec, s[8:9]
	s_and_b64 s[4:5], s[4:5], exec
	s_or_saveexec_b64 s[6:7], s[6:7]
	v_mov_b32_e32 v14, s10
	s_xor_b64 exec, exec, s[6:7]
	s_cbranch_execz .LBB14_1062
.LBB14_3112:
	v_mov_b32_e32 v14, 0
	v_cmp_ne_u16_sdwa s[8:9], v11, v14 src0_sel:BYTE_0 src1_sel:DWORD
	s_andn2_b64 s[4:5], s[4:5], exec
	s_and_b64 s[8:9], s[8:9], exec
	s_or_b64 s[4:5], s[4:5], s[8:9]
	s_or_b64 exec, exec, s[6:7]
	s_and_saveexec_b64 s[6:7], s[4:5]
	s_cbranch_execnz .LBB14_1063
	s_branch .LBB14_1064
.LBB14_3113:
	s_movk_i32 s4, 0x80
	v_cmp_eq_u16_sdwa s[12:13], v14, s4 src0_sel:BYTE_0 src1_sel:DWORD
	s_mov_b64 s[4:5], -1
                                        ; implicit-def: $sgpr10
	s_and_saveexec_b64 s[8:9], s[12:13]
; %bb.3114:
	s_mov_b32 s10, 0x7f800001
	s_xor_b64 s[4:5], exec, -1
; %bb.3115:
	s_or_b64 exec, exec, s[8:9]
	s_and_b64 s[4:5], s[4:5], exec
	s_or_saveexec_b64 s[6:7], s[6:7]
	v_mov_b32_e32 v10, s10
	s_xor_b64 exec, exec, s[6:7]
	s_cbranch_execz .LBB14_1066
.LBB14_3116:
	v_mov_b32_e32 v10, 0
	v_cmp_ne_u16_sdwa s[8:9], v14, v10 src0_sel:BYTE_0 src1_sel:DWORD
	s_andn2_b64 s[4:5], s[4:5], exec
	s_and_b64 s[8:9], s[8:9], exec
	s_or_b64 s[4:5], s[4:5], s[8:9]
	s_or_b64 exec, exec, s[6:7]
	s_and_saveexec_b64 s[6:7], s[4:5]
	s_cbranch_execnz .LBB14_1067
	s_branch .LBB14_1068
.LBB14_3117:
	s_movk_i32 s4, 0x80
	v_cmp_eq_u16_sdwa s[12:13], v14, s4 src0_sel:BYTE_0 src1_sel:DWORD
	s_mov_b64 s[4:5], -1
                                        ; implicit-def: $sgpr10
	s_and_saveexec_b64 s[8:9], s[12:13]
; %bb.3118:
	s_mov_b32 s10, 0x7f800001
	s_xor_b64 s[4:5], exec, -1
; %bb.3119:
	s_or_b64 exec, exec, s[8:9]
	s_and_b64 s[4:5], s[4:5], exec
	s_or_saveexec_b64 s[6:7], s[6:7]
	v_mov_b32_e32 v20, s10
	s_xor_b64 exec, exec, s[6:7]
	s_cbranch_execz .LBB14_1070
.LBB14_3120:
	v_mov_b32_e32 v20, 0
	v_cmp_ne_u16_sdwa s[8:9], v14, v20 src0_sel:BYTE_0 src1_sel:DWORD
	s_andn2_b64 s[4:5], s[4:5], exec
	s_and_b64 s[8:9], s[8:9], exec
	s_or_b64 s[4:5], s[4:5], s[8:9]
	s_or_b64 exec, exec, s[6:7]
	s_and_saveexec_b64 s[6:7], s[4:5]
	s_cbranch_execnz .LBB14_1071
	s_branch .LBB14_1072
.LBB14_3121:
	s_movk_i32 s4, 0x80
	v_cmp_eq_u16_e32 vcc, s4, v14
	s_mov_b64 s[4:5], -1
                                        ; implicit-def: $sgpr10
	s_and_saveexec_b64 s[8:9], vcc
; %bb.3122:
	s_mov_b32 s10, 0x7f800001
	s_xor_b64 s[4:5], exec, -1
; %bb.3123:
	s_or_b64 exec, exec, s[8:9]
	s_and_b64 s[4:5], s[4:5], exec
                                        ; implicit-def: $vgpr14
	s_or_saveexec_b64 s[6:7], s[6:7]
	v_mov_b32_e32 v10, s10
	s_xor_b64 exec, exec, s[6:7]
	s_cbranch_execz .LBB14_1074
.LBB14_3124:
	v_cmp_ne_u16_e32 vcc, 0, v14
	s_andn2_b64 s[4:5], s[4:5], exec
	s_and_b64 s[8:9], vcc, exec
	v_mov_b32_e32 v10, 0
	s_or_b64 s[4:5], s[4:5], s[8:9]
	s_or_b64 exec, exec, s[6:7]
	s_and_saveexec_b64 s[6:7], s[4:5]
	s_cbranch_execnz .LBB14_1075
	s_branch .LBB14_1076
.LBB14_3125:
	s_movk_i32 s4, 0x80
	v_cmp_eq_u16_e32 vcc, s4, v14
	s_mov_b64 s[4:5], -1
                                        ; implicit-def: $sgpr10
	s_and_saveexec_b64 s[8:9], vcc
; %bb.3126:
	s_mov_b32 s10, 0x7f800001
	s_xor_b64 s[4:5], exec, -1
; %bb.3127:
	s_or_b64 exec, exec, s[8:9]
	s_and_b64 s[4:5], s[4:5], exec
                                        ; implicit-def: $vgpr14
	s_or_saveexec_b64 s[6:7], s[6:7]
	v_mov_b32_e32 v20, s10
	s_xor_b64 exec, exec, s[6:7]
	s_cbranch_execz .LBB14_1078
.LBB14_3128:
	v_cmp_ne_u16_e32 vcc, 0, v14
	s_andn2_b64 s[4:5], s[4:5], exec
	s_and_b64 s[8:9], vcc, exec
	v_mov_b32_e32 v20, 0
	s_or_b64 s[4:5], s[4:5], s[8:9]
	s_or_b64 exec, exec, s[6:7]
	s_and_saveexec_b64 s[6:7], s[4:5]
	s_cbranch_execnz .LBB14_1079
	s_branch .LBB14_1080
.LBB14_3129:
	s_movk_i32 s4, 0x80
	v_cmp_eq_u16_sdwa s[12:13], v15, s4 src0_sel:BYTE_3 src1_sel:DWORD
	s_mov_b64 s[4:5], -1
                                        ; implicit-def: $sgpr10
	s_and_saveexec_b64 s[8:9], s[12:13]
; %bb.3130:
	s_mov_b32 s10, 0x7f800001
	s_xor_b64 s[4:5], exec, -1
; %bb.3131:
	s_or_b64 exec, exec, s[8:9]
	s_and_b64 s[4:5], s[4:5], exec
	s_or_saveexec_b64 s[6:7], s[6:7]
	v_mov_b32_e32 v10, s10
	s_xor_b64 exec, exec, s[6:7]
	s_cbranch_execz .LBB14_1082
.LBB14_3132:
	v_mov_b32_e32 v10, 0
	v_cmp_ne_u16_sdwa s[8:9], v15, v10 src0_sel:BYTE_3 src1_sel:DWORD
	s_andn2_b64 s[4:5], s[4:5], exec
	s_and_b64 s[8:9], s[8:9], exec
	s_or_b64 s[4:5], s[4:5], s[8:9]
	s_or_b64 exec, exec, s[6:7]
	s_and_saveexec_b64 s[6:7], s[4:5]
	s_cbranch_execnz .LBB14_1083
	s_branch .LBB14_1084
.LBB14_3133:
	s_movk_i32 s4, 0x80
	v_cmp_eq_u16_sdwa s[12:13], v11, s4 src0_sel:BYTE_3 src1_sel:DWORD
	s_mov_b64 s[4:5], -1
                                        ; implicit-def: $sgpr10
	s_and_saveexec_b64 s[8:9], s[12:13]
; %bb.3134:
	s_mov_b32 s10, 0x7f800001
	s_xor_b64 s[4:5], exec, -1
; %bb.3135:
	s_or_b64 exec, exec, s[8:9]
	s_and_b64 s[4:5], s[4:5], exec
	s_or_saveexec_b64 s[6:7], s[6:7]
	v_mov_b32_e32 v14, s10
	s_xor_b64 exec, exec, s[6:7]
	s_cbranch_execz .LBB14_1086
.LBB14_3136:
	v_mov_b32_e32 v14, 0
	v_cmp_ne_u16_sdwa s[8:9], v11, v14 src0_sel:BYTE_3 src1_sel:DWORD
	s_andn2_b64 s[4:5], s[4:5], exec
	s_and_b64 s[8:9], s[8:9], exec
	s_or_b64 s[4:5], s[4:5], s[8:9]
	s_or_b64 exec, exec, s[6:7]
	s_and_saveexec_b64 s[6:7], s[4:5]
	s_cbranch_execnz .LBB14_1087
	s_branch .LBB14_1088
.LBB14_3137:
	s_movk_i32 s4, 0x80
	v_cmp_eq_u16_sdwa s[12:13], v16, s4 src0_sel:BYTE_0 src1_sel:DWORD
	s_mov_b64 s[4:5], -1
                                        ; implicit-def: $sgpr10
	s_and_saveexec_b64 s[8:9], s[12:13]
; %bb.3138:
	s_mov_b32 s10, 0x7f800001
	s_xor_b64 s[4:5], exec, -1
; %bb.3139:
	s_or_b64 exec, exec, s[8:9]
	s_and_b64 s[4:5], s[4:5], exec
	s_or_saveexec_b64 s[6:7], s[6:7]
	v_mov_b32_e32 v10, s10
	s_xor_b64 exec, exec, s[6:7]
	s_cbranch_execz .LBB14_1090
.LBB14_3140:
	v_mov_b32_e32 v10, 0
	v_cmp_ne_u16_sdwa s[8:9], v16, v10 src0_sel:BYTE_0 src1_sel:DWORD
	s_andn2_b64 s[4:5], s[4:5], exec
	s_and_b64 s[8:9], s[8:9], exec
	s_or_b64 s[4:5], s[4:5], s[8:9]
	s_or_b64 exec, exec, s[6:7]
	s_and_saveexec_b64 s[6:7], s[4:5]
	s_cbranch_execnz .LBB14_1091
	s_branch .LBB14_1092
.LBB14_3141:
	s_movk_i32 s4, 0x80
	v_cmp_eq_u16_sdwa s[12:13], v12, s4 src0_sel:BYTE_0 src1_sel:DWORD
	s_mov_b64 s[4:5], -1
                                        ; implicit-def: $sgpr10
	s_and_saveexec_b64 s[8:9], s[12:13]
; %bb.3142:
	s_mov_b32 s10, 0x7f800001
	s_xor_b64 s[4:5], exec, -1
; %bb.3143:
	s_or_b64 exec, exec, s[8:9]
	s_and_b64 s[4:5], s[4:5], exec
	s_or_saveexec_b64 s[6:7], s[6:7]
	v_mov_b32_e32 v11, s10
	s_xor_b64 exec, exec, s[6:7]
	s_cbranch_execz .LBB14_1094
.LBB14_3144:
	v_mov_b32_e32 v11, 0
	v_cmp_ne_u16_sdwa s[8:9], v12, v11 src0_sel:BYTE_0 src1_sel:DWORD
	s_andn2_b64 s[4:5], s[4:5], exec
	s_and_b64 s[8:9], s[8:9], exec
	s_or_b64 s[4:5], s[4:5], s[8:9]
	s_or_b64 exec, exec, s[6:7]
	s_and_saveexec_b64 s[6:7], s[4:5]
	s_cbranch_execnz .LBB14_1095
	s_branch .LBB14_1096
.LBB14_3145:
	s_movk_i32 s4, 0x80
	v_cmp_eq_u16_sdwa s[12:13], v11, s4 src0_sel:BYTE_0 src1_sel:DWORD
	s_mov_b64 s[4:5], -1
                                        ; implicit-def: $sgpr10
	s_and_saveexec_b64 s[8:9], s[12:13]
; %bb.3146:
	s_mov_b32 s10, 0x7f800001
	s_xor_b64 s[4:5], exec, -1
; %bb.3147:
	s_or_b64 exec, exec, s[8:9]
	s_and_b64 s[4:5], s[4:5], exec
	s_or_saveexec_b64 s[6:7], s[6:7]
	v_mov_b32_e32 v10, s10
	s_xor_b64 exec, exec, s[6:7]
	s_cbranch_execz .LBB14_1098
.LBB14_3148:
	v_mov_b32_e32 v10, 0
	v_cmp_ne_u16_sdwa s[8:9], v11, v10 src0_sel:BYTE_0 src1_sel:DWORD
	s_andn2_b64 s[4:5], s[4:5], exec
	s_and_b64 s[8:9], s[8:9], exec
	s_or_b64 s[4:5], s[4:5], s[8:9]
	s_or_b64 exec, exec, s[6:7]
	s_and_saveexec_b64 s[6:7], s[4:5]
	s_cbranch_execnz .LBB14_1099
	s_branch .LBB14_1100
.LBB14_3149:
	s_movk_i32 s4, 0x80
	v_cmp_eq_u16_sdwa s[12:13], v11, s4 src0_sel:BYTE_0 src1_sel:DWORD
	s_mov_b64 s[4:5], -1
                                        ; implicit-def: $sgpr10
	s_and_saveexec_b64 s[8:9], s[12:13]
; %bb.3150:
	s_mov_b32 s10, 0x7f800001
	s_xor_b64 s[4:5], exec, -1
; %bb.3151:
	s_or_b64 exec, exec, s[8:9]
	s_and_b64 s[4:5], s[4:5], exec
	s_or_saveexec_b64 s[6:7], s[6:7]
	v_mov_b32_e32 v14, s10
	s_xor_b64 exec, exec, s[6:7]
	s_cbranch_execz .LBB14_1102
.LBB14_3152:
	v_mov_b32_e32 v14, 0
	v_cmp_ne_u16_sdwa s[8:9], v11, v14 src0_sel:BYTE_0 src1_sel:DWORD
	s_andn2_b64 s[4:5], s[4:5], exec
	s_and_b64 s[8:9], s[8:9], exec
	s_or_b64 s[4:5], s[4:5], s[8:9]
	s_or_b64 exec, exec, s[6:7]
	s_and_saveexec_b64 s[6:7], s[4:5]
	s_cbranch_execnz .LBB14_1103
	s_branch .LBB14_1104
.LBB14_3153:
	s_movk_i32 s4, 0x80
	v_cmp_eq_u16_e32 vcc, s4, v11
	s_mov_b64 s[4:5], -1
                                        ; implicit-def: $sgpr10
	s_and_saveexec_b64 s[8:9], vcc
; %bb.3154:
	s_mov_b32 s10, 0x7f800001
	s_xor_b64 s[4:5], exec, -1
; %bb.3155:
	s_or_b64 exec, exec, s[8:9]
	s_and_b64 s[4:5], s[4:5], exec
                                        ; implicit-def: $vgpr11
	s_or_saveexec_b64 s[6:7], s[6:7]
	v_mov_b32_e32 v10, s10
	s_xor_b64 exec, exec, s[6:7]
	s_cbranch_execz .LBB14_1106
.LBB14_3156:
	v_cmp_ne_u16_e32 vcc, 0, v11
	s_andn2_b64 s[4:5], s[4:5], exec
	s_and_b64 s[8:9], vcc, exec
	v_mov_b32_e32 v10, 0
	s_or_b64 s[4:5], s[4:5], s[8:9]
	s_or_b64 exec, exec, s[6:7]
	s_and_saveexec_b64 s[6:7], s[4:5]
	s_cbranch_execnz .LBB14_1107
	s_branch .LBB14_1108
.LBB14_3157:
	s_movk_i32 s4, 0x80
	v_cmp_eq_u16_e32 vcc, s4, v11
	s_mov_b64 s[4:5], -1
                                        ; implicit-def: $sgpr10
	s_and_saveexec_b64 s[8:9], vcc
; %bb.3158:
	s_mov_b32 s10, 0x7f800001
	s_xor_b64 s[4:5], exec, -1
; %bb.3159:
	s_or_b64 exec, exec, s[8:9]
	s_and_b64 s[4:5], s[4:5], exec
                                        ; implicit-def: $vgpr11
	s_or_saveexec_b64 s[6:7], s[6:7]
	v_mov_b32_e32 v14, s10
	s_xor_b64 exec, exec, s[6:7]
	s_cbranch_execz .LBB14_1110
.LBB14_3160:
	v_cmp_ne_u16_e32 vcc, 0, v11
	s_andn2_b64 s[4:5], s[4:5], exec
	s_and_b64 s[8:9], vcc, exec
	v_mov_b32_e32 v14, 0
	s_or_b64 s[4:5], s[4:5], s[8:9]
	s_or_b64 exec, exec, s[6:7]
	s_and_saveexec_b64 s[6:7], s[4:5]
	s_cbranch_execnz .LBB14_1111
	s_branch .LBB14_1112
.LBB14_3161:
	s_movk_i32 s4, 0x80
	v_cmp_eq_u16_sdwa s[12:13], v16, s4 src0_sel:BYTE_3 src1_sel:DWORD
	s_mov_b64 s[4:5], -1
                                        ; implicit-def: $sgpr10
	s_and_saveexec_b64 s[8:9], s[12:13]
; %bb.3162:
	s_mov_b32 s10, 0x7f800001
	s_xor_b64 s[4:5], exec, -1
; %bb.3163:
	s_or_b64 exec, exec, s[8:9]
	s_and_b64 s[4:5], s[4:5], exec
	s_or_saveexec_b64 s[6:7], s[6:7]
	v_mov_b32_e32 v10, s10
	s_xor_b64 exec, exec, s[6:7]
	s_cbranch_execz .LBB14_1114
.LBB14_3164:
	v_mov_b32_e32 v10, 0
	v_cmp_ne_u16_sdwa s[8:9], v16, v10 src0_sel:BYTE_3 src1_sel:DWORD
	s_andn2_b64 s[4:5], s[4:5], exec
	s_and_b64 s[8:9], s[8:9], exec
	s_or_b64 s[4:5], s[4:5], s[8:9]
	s_or_b64 exec, exec, s[6:7]
	s_and_saveexec_b64 s[6:7], s[4:5]
	s_cbranch_execnz .LBB14_1115
	s_branch .LBB14_1116
.LBB14_3165:
	s_movk_i32 s4, 0x80
	v_cmp_eq_u16_sdwa s[12:13], v12, s4 src0_sel:BYTE_3 src1_sel:DWORD
	s_mov_b64 s[4:5], -1
                                        ; implicit-def: $sgpr10
	s_and_saveexec_b64 s[8:9], s[12:13]
; %bb.3166:
	s_mov_b32 s10, 0x7f800001
	s_xor_b64 s[4:5], exec, -1
; %bb.3167:
	s_or_b64 exec, exec, s[8:9]
	s_and_b64 s[4:5], s[4:5], exec
	s_or_saveexec_b64 s[6:7], s[6:7]
	v_mov_b32_e32 v11, s10
	s_xor_b64 exec, exec, s[6:7]
	s_cbranch_execz .LBB14_1118
.LBB14_3168:
	v_mov_b32_e32 v11, 0
	v_cmp_ne_u16_sdwa s[8:9], v12, v11 src0_sel:BYTE_3 src1_sel:DWORD
	s_andn2_b64 s[4:5], s[4:5], exec
	s_and_b64 s[8:9], s[8:9], exec
	s_or_b64 s[4:5], s[4:5], s[8:9]
	s_or_b64 exec, exec, s[6:7]
	s_and_saveexec_b64 s[6:7], s[4:5]
	s_cbranch_execnz .LBB14_1119
	s_branch .LBB14_1120
.LBB14_3169:
	s_movk_i32 s4, 0x80
	v_cmp_eq_u16_sdwa s[12:13], v17, s4 src0_sel:BYTE_0 src1_sel:DWORD
	s_mov_b64 s[4:5], -1
                                        ; implicit-def: $sgpr10
	s_and_saveexec_b64 s[8:9], s[12:13]
; %bb.3170:
	s_mov_b32 s10, 0x7f800001
	s_xor_b64 s[4:5], exec, -1
; %bb.3171:
	s_or_b64 exec, exec, s[8:9]
	s_and_b64 s[4:5], s[4:5], exec
	s_or_saveexec_b64 s[6:7], s[6:7]
	v_mov_b32_e32 v10, s10
	s_xor_b64 exec, exec, s[6:7]
	s_cbranch_execz .LBB14_1122
.LBB14_3172:
	v_mov_b32_e32 v10, 0
	v_cmp_ne_u16_sdwa s[8:9], v17, v10 src0_sel:BYTE_0 src1_sel:DWORD
	s_andn2_b64 s[4:5], s[4:5], exec
	s_and_b64 s[8:9], s[8:9], exec
	s_or_b64 s[4:5], s[4:5], s[8:9]
	s_or_b64 exec, exec, s[6:7]
	s_and_saveexec_b64 s[6:7], s[4:5]
	s_cbranch_execnz .LBB14_1123
	s_branch .LBB14_1124
.LBB14_3173:
	s_movk_i32 s4, 0x80
	v_cmp_eq_u16_sdwa s[12:13], v13, s4 src0_sel:BYTE_0 src1_sel:DWORD
	s_mov_b64 s[4:5], -1
                                        ; implicit-def: $sgpr10
	s_and_saveexec_b64 s[8:9], s[12:13]
; %bb.3174:
	s_mov_b32 s10, 0x7f800001
	s_xor_b64 s[4:5], exec, -1
; %bb.3175:
	s_or_b64 exec, exec, s[8:9]
	s_and_b64 s[4:5], s[4:5], exec
	s_or_saveexec_b64 s[6:7], s[6:7]
	v_mov_b32_e32 v11, s10
	s_xor_b64 exec, exec, s[6:7]
	s_cbranch_execz .LBB14_1126
.LBB14_3176:
	v_mov_b32_e32 v11, 0
	v_cmp_ne_u16_sdwa s[8:9], v13, v11 src0_sel:BYTE_0 src1_sel:DWORD
	s_andn2_b64 s[4:5], s[4:5], exec
	s_and_b64 s[8:9], s[8:9], exec
	s_or_b64 s[4:5], s[4:5], s[8:9]
	s_or_b64 exec, exec, s[6:7]
	s_and_saveexec_b64 s[6:7], s[4:5]
	s_cbranch_execnz .LBB14_1127
	s_branch .LBB14_1128
.LBB14_3177:
	s_movk_i32 s4, 0x80
	v_cmp_eq_u16_sdwa s[12:13], v11, s4 src0_sel:BYTE_0 src1_sel:DWORD
	s_mov_b64 s[4:5], -1
                                        ; implicit-def: $sgpr10
	s_and_saveexec_b64 s[8:9], s[12:13]
; %bb.3178:
	s_mov_b32 s10, 0x7f800001
	s_xor_b64 s[4:5], exec, -1
; %bb.3179:
	s_or_b64 exec, exec, s[8:9]
	s_and_b64 s[4:5], s[4:5], exec
	s_or_saveexec_b64 s[6:7], s[6:7]
	v_mov_b32_e32 v10, s10
	s_xor_b64 exec, exec, s[6:7]
	s_cbranch_execz .LBB14_1130
.LBB14_3180:
	v_mov_b32_e32 v10, 0
	v_cmp_ne_u16_sdwa s[8:9], v11, v10 src0_sel:BYTE_0 src1_sel:DWORD
	s_andn2_b64 s[4:5], s[4:5], exec
	s_and_b64 s[8:9], s[8:9], exec
	s_or_b64 s[4:5], s[4:5], s[8:9]
	s_or_b64 exec, exec, s[6:7]
	s_and_saveexec_b64 s[6:7], s[4:5]
	s_cbranch_execnz .LBB14_1131
	s_branch .LBB14_1132
.LBB14_3181:
	s_movk_i32 s4, 0x80
	v_cmp_eq_u16_sdwa s[12:13], v11, s4 src0_sel:BYTE_0 src1_sel:DWORD
	s_mov_b64 s[4:5], -1
                                        ; implicit-def: $sgpr10
	s_and_saveexec_b64 s[8:9], s[12:13]
; %bb.3182:
	s_mov_b32 s10, 0x7f800001
	s_xor_b64 s[4:5], exec, -1
; %bb.3183:
	s_or_b64 exec, exec, s[8:9]
	s_and_b64 s[4:5], s[4:5], exec
	s_or_saveexec_b64 s[6:7], s[6:7]
	v_mov_b32_e32 v12, s10
	s_xor_b64 exec, exec, s[6:7]
	s_cbranch_execz .LBB14_1134
.LBB14_3184:
	v_mov_b32_e32 v12, 0
	v_cmp_ne_u16_sdwa s[8:9], v11, v12 src0_sel:BYTE_0 src1_sel:DWORD
	s_andn2_b64 s[4:5], s[4:5], exec
	s_and_b64 s[8:9], s[8:9], exec
	s_or_b64 s[4:5], s[4:5], s[8:9]
	s_or_b64 exec, exec, s[6:7]
	s_and_saveexec_b64 s[6:7], s[4:5]
	s_cbranch_execnz .LBB14_1135
	s_branch .LBB14_1136
.LBB14_3185:
	s_movk_i32 s4, 0x80
	v_cmp_eq_u16_e32 vcc, s4, v11
	s_mov_b64 s[4:5], -1
                                        ; implicit-def: $sgpr10
	s_and_saveexec_b64 s[8:9], vcc
; %bb.3186:
	s_mov_b32 s10, 0x7f800001
	s_xor_b64 s[4:5], exec, -1
; %bb.3187:
	s_or_b64 exec, exec, s[8:9]
	s_and_b64 s[4:5], s[4:5], exec
                                        ; implicit-def: $vgpr11
	s_or_saveexec_b64 s[6:7], s[6:7]
	v_mov_b32_e32 v10, s10
	s_xor_b64 exec, exec, s[6:7]
	s_cbranch_execz .LBB14_1138
.LBB14_3188:
	v_cmp_ne_u16_e32 vcc, 0, v11
	s_andn2_b64 s[4:5], s[4:5], exec
	s_and_b64 s[8:9], vcc, exec
	v_mov_b32_e32 v10, 0
	s_or_b64 s[4:5], s[4:5], s[8:9]
	s_or_b64 exec, exec, s[6:7]
	s_and_saveexec_b64 s[6:7], s[4:5]
	s_cbranch_execnz .LBB14_1139
	s_branch .LBB14_1140
.LBB14_3189:
	s_movk_i32 s4, 0x80
	v_cmp_eq_u16_e32 vcc, s4, v11
	s_mov_b64 s[4:5], -1
                                        ; implicit-def: $sgpr10
	s_and_saveexec_b64 s[8:9], vcc
; %bb.3190:
	s_mov_b32 s10, 0x7f800001
	s_xor_b64 s[4:5], exec, -1
; %bb.3191:
	s_or_b64 exec, exec, s[8:9]
	s_and_b64 s[4:5], s[4:5], exec
                                        ; implicit-def: $vgpr11
	s_or_saveexec_b64 s[6:7], s[6:7]
	v_mov_b32_e32 v12, s10
	s_xor_b64 exec, exec, s[6:7]
	s_cbranch_execz .LBB14_1142
.LBB14_3192:
	v_cmp_ne_u16_e32 vcc, 0, v11
	s_andn2_b64 s[4:5], s[4:5], exec
	s_and_b64 s[8:9], vcc, exec
	v_mov_b32_e32 v12, 0
	s_or_b64 s[4:5], s[4:5], s[8:9]
	s_or_b64 exec, exec, s[6:7]
	s_and_saveexec_b64 s[6:7], s[4:5]
	s_cbranch_execnz .LBB14_1143
	s_branch .LBB14_1144
.LBB14_3193:
	s_movk_i32 s4, 0x80
	v_cmp_eq_u16_sdwa s[12:13], v17, s4 src0_sel:BYTE_3 src1_sel:DWORD
	s_mov_b64 s[4:5], -1
                                        ; implicit-def: $sgpr10
	s_and_saveexec_b64 s[8:9], s[12:13]
; %bb.3194:
	s_mov_b32 s10, 0x7f800001
	s_xor_b64 s[4:5], exec, -1
; %bb.3195:
	s_or_b64 exec, exec, s[8:9]
	s_and_b64 s[4:5], s[4:5], exec
	s_or_saveexec_b64 s[6:7], s[6:7]
	v_mov_b32_e32 v10, s10
	s_xor_b64 exec, exec, s[6:7]
	s_cbranch_execz .LBB14_1146
.LBB14_3196:
	v_mov_b32_e32 v10, 0
	v_cmp_ne_u16_sdwa s[8:9], v17, v10 src0_sel:BYTE_3 src1_sel:DWORD
	s_andn2_b64 s[4:5], s[4:5], exec
	s_and_b64 s[8:9], s[8:9], exec
	s_or_b64 s[4:5], s[4:5], s[8:9]
	s_or_b64 exec, exec, s[6:7]
	s_and_saveexec_b64 s[6:7], s[4:5]
	s_cbranch_execnz .LBB14_1147
	s_branch .LBB14_1148
.LBB14_3197:
	s_movk_i32 s4, 0x80
	v_cmp_eq_u16_sdwa s[12:13], v13, s4 src0_sel:BYTE_3 src1_sel:DWORD
	s_mov_b64 s[4:5], -1
                                        ; implicit-def: $sgpr10
	s_and_saveexec_b64 s[8:9], s[12:13]
; %bb.3198:
	s_mov_b32 s10, 0x7f800001
	s_xor_b64 s[4:5], exec, -1
; %bb.3199:
	s_or_b64 exec, exec, s[8:9]
	s_and_b64 s[4:5], s[4:5], exec
	s_or_saveexec_b64 s[6:7], s[6:7]
	v_mov_b32_e32 v11, s10
	s_xor_b64 exec, exec, s[6:7]
	s_cbranch_execz .LBB14_1150
.LBB14_3200:
	v_mov_b32_e32 v11, 0
	v_cmp_ne_u16_sdwa s[8:9], v13, v11 src0_sel:BYTE_3 src1_sel:DWORD
	s_andn2_b64 s[4:5], s[4:5], exec
	s_and_b64 s[8:9], s[8:9], exec
	s_or_b64 s[4:5], s[4:5], s[8:9]
	s_or_b64 exec, exec, s[6:7]
	s_and_saveexec_b64 s[6:7], s[4:5]
	s_cbranch_execnz .LBB14_1151
	s_branch .LBB14_1152
.LBB14_3201:
	s_movk_i32 s4, 0x80
	v_cmp_eq_u16_sdwa s[12:13], v6, s4 src0_sel:BYTE_0 src1_sel:DWORD
	s_mov_b64 s[4:5], -1
                                        ; implicit-def: $sgpr10
	s_and_saveexec_b64 s[8:9], s[12:13]
; %bb.3202:
	s_mov_b32 s10, 0x7f800001
	s_xor_b64 s[4:5], exec, -1
; %bb.3203:
	s_or_b64 exec, exec, s[8:9]
	s_and_b64 s[4:5], s[4:5], exec
	s_or_saveexec_b64 s[6:7], s[6:7]
	v_mov_b32_e32 v10, s10
	s_xor_b64 exec, exec, s[6:7]
	s_cbranch_execz .LBB14_1154
.LBB14_3204:
	v_mov_b32_e32 v10, 0
	v_cmp_ne_u16_sdwa s[8:9], v6, v10 src0_sel:BYTE_0 src1_sel:DWORD
	s_andn2_b64 s[4:5], s[4:5], exec
	s_and_b64 s[8:9], s[8:9], exec
	s_or_b64 s[4:5], s[4:5], s[8:9]
	s_or_b64 exec, exec, s[6:7]
	s_and_saveexec_b64 s[6:7], s[4:5]
	s_cbranch_execnz .LBB14_1155
	s_branch .LBB14_1156
.LBB14_3205:
	s_movk_i32 s4, 0x80
	v_cmp_eq_u16_sdwa s[12:13], v2, s4 src0_sel:BYTE_0 src1_sel:DWORD
	s_mov_b64 s[4:5], -1
                                        ; implicit-def: $sgpr10
	s_and_saveexec_b64 s[8:9], s[12:13]
; %bb.3206:
	s_mov_b32 s10, 0x7f800001
	s_xor_b64 s[4:5], exec, -1
; %bb.3207:
	s_or_b64 exec, exec, s[8:9]
	s_and_b64 s[4:5], s[4:5], exec
	s_or_saveexec_b64 s[6:7], s[6:7]
	v_mov_b32_e32 v11, s10
	s_xor_b64 exec, exec, s[6:7]
	s_cbranch_execz .LBB14_1158
.LBB14_3208:
	v_mov_b32_e32 v11, 0
	v_cmp_ne_u16_sdwa s[8:9], v2, v11 src0_sel:BYTE_0 src1_sel:DWORD
	s_andn2_b64 s[4:5], s[4:5], exec
	s_and_b64 s[8:9], s[8:9], exec
	s_or_b64 s[4:5], s[4:5], s[8:9]
	s_or_b64 exec, exec, s[6:7]
	s_and_saveexec_b64 s[6:7], s[4:5]
	s_cbranch_execnz .LBB14_1159
	s_branch .LBB14_1160
.LBB14_3209:
	s_movk_i32 s4, 0x80
	v_cmp_eq_u16_sdwa s[12:13], v11, s4 src0_sel:BYTE_0 src1_sel:DWORD
	s_mov_b64 s[4:5], -1
                                        ; implicit-def: $sgpr10
	s_and_saveexec_b64 s[8:9], s[12:13]
; %bb.3210:
	s_mov_b32 s10, 0x7f800001
	s_xor_b64 s[4:5], exec, -1
; %bb.3211:
	s_or_b64 exec, exec, s[8:9]
	s_and_b64 s[4:5], s[4:5], exec
	s_or_saveexec_b64 s[6:7], s[6:7]
	v_mov_b32_e32 v10, s10
	s_xor_b64 exec, exec, s[6:7]
	s_cbranch_execz .LBB14_1162
.LBB14_3212:
	v_mov_b32_e32 v10, 0
	v_cmp_ne_u16_sdwa s[8:9], v11, v10 src0_sel:BYTE_0 src1_sel:DWORD
	s_andn2_b64 s[4:5], s[4:5], exec
	s_and_b64 s[8:9], s[8:9], exec
	s_or_b64 s[4:5], s[4:5], s[8:9]
	s_or_b64 exec, exec, s[6:7]
	s_and_saveexec_b64 s[6:7], s[4:5]
	s_cbranch_execnz .LBB14_1163
	s_branch .LBB14_1164
.LBB14_3213:
	s_movk_i32 s4, 0x80
	v_cmp_eq_u16_sdwa s[12:13], v11, s4 src0_sel:BYTE_0 src1_sel:DWORD
	s_mov_b64 s[4:5], -1
                                        ; implicit-def: $sgpr10
	s_and_saveexec_b64 s[8:9], s[12:13]
; %bb.3214:
	s_mov_b32 s10, 0x7f800001
	s_xor_b64 s[4:5], exec, -1
; %bb.3215:
	s_or_b64 exec, exec, s[8:9]
	s_and_b64 s[4:5], s[4:5], exec
	s_or_saveexec_b64 s[6:7], s[6:7]
	v_mov_b32_e32 v12, s10
	s_xor_b64 exec, exec, s[6:7]
	s_cbranch_execz .LBB14_1166
.LBB14_3216:
	v_mov_b32_e32 v12, 0
	v_cmp_ne_u16_sdwa s[8:9], v11, v12 src0_sel:BYTE_0 src1_sel:DWORD
	s_andn2_b64 s[4:5], s[4:5], exec
	s_and_b64 s[8:9], s[8:9], exec
	s_or_b64 s[4:5], s[4:5], s[8:9]
	s_or_b64 exec, exec, s[6:7]
	s_and_saveexec_b64 s[6:7], s[4:5]
	s_cbranch_execnz .LBB14_1167
	s_branch .LBB14_1168
.LBB14_3217:
	s_movk_i32 s4, 0x80
	v_cmp_eq_u16_e32 vcc, s4, v11
	s_mov_b64 s[4:5], -1
                                        ; implicit-def: $sgpr10
	s_and_saveexec_b64 s[8:9], vcc
; %bb.3218:
	s_mov_b32 s10, 0x7f800001
	s_xor_b64 s[4:5], exec, -1
; %bb.3219:
	s_or_b64 exec, exec, s[8:9]
	s_and_b64 s[4:5], s[4:5], exec
                                        ; implicit-def: $vgpr11
	s_or_saveexec_b64 s[6:7], s[6:7]
	v_mov_b32_e32 v10, s10
	s_xor_b64 exec, exec, s[6:7]
	s_cbranch_execz .LBB14_1170
.LBB14_3220:
	v_cmp_ne_u16_e32 vcc, 0, v11
	s_andn2_b64 s[4:5], s[4:5], exec
	s_and_b64 s[8:9], vcc, exec
	v_mov_b32_e32 v10, 0
	s_or_b64 s[4:5], s[4:5], s[8:9]
	s_or_b64 exec, exec, s[6:7]
	s_and_saveexec_b64 s[6:7], s[4:5]
	s_cbranch_execnz .LBB14_1171
	s_branch .LBB14_1172
.LBB14_3221:
	s_movk_i32 s4, 0x80
	v_cmp_eq_u16_e32 vcc, s4, v11
	s_mov_b64 s[4:5], -1
                                        ; implicit-def: $sgpr10
	s_and_saveexec_b64 s[8:9], vcc
; %bb.3222:
	s_mov_b32 s10, 0x7f800001
	s_xor_b64 s[4:5], exec, -1
; %bb.3223:
	s_or_b64 exec, exec, s[8:9]
	s_and_b64 s[4:5], s[4:5], exec
                                        ; implicit-def: $vgpr11
	s_or_saveexec_b64 s[6:7], s[6:7]
	v_mov_b32_e32 v12, s10
	s_xor_b64 exec, exec, s[6:7]
	s_cbranch_execz .LBB14_1174
.LBB14_3224:
	v_cmp_ne_u16_e32 vcc, 0, v11
	s_andn2_b64 s[4:5], s[4:5], exec
	s_and_b64 s[8:9], vcc, exec
	v_mov_b32_e32 v12, 0
	s_or_b64 s[4:5], s[4:5], s[8:9]
	s_or_b64 exec, exec, s[6:7]
	s_and_saveexec_b64 s[6:7], s[4:5]
	s_cbranch_execnz .LBB14_1175
	s_branch .LBB14_1176
.LBB14_3225:
	s_movk_i32 s4, 0x80
	v_cmp_eq_u16_sdwa s[12:13], v6, s4 src0_sel:BYTE_3 src1_sel:DWORD
	s_mov_b64 s[4:5], -1
                                        ; implicit-def: $sgpr10
	s_and_saveexec_b64 s[8:9], s[12:13]
; %bb.3226:
	s_mov_b32 s10, 0x7f800001
	s_xor_b64 s[4:5], exec, -1
; %bb.3227:
	s_or_b64 exec, exec, s[8:9]
	s_and_b64 s[4:5], s[4:5], exec
	s_or_saveexec_b64 s[6:7], s[6:7]
	v_mov_b32_e32 v10, s10
	s_xor_b64 exec, exec, s[6:7]
	s_cbranch_execz .LBB14_1178
.LBB14_3228:
	v_mov_b32_e32 v10, 0
	v_cmp_ne_u16_sdwa s[8:9], v6, v10 src0_sel:BYTE_3 src1_sel:DWORD
	s_andn2_b64 s[4:5], s[4:5], exec
	s_and_b64 s[8:9], s[8:9], exec
	s_or_b64 s[4:5], s[4:5], s[8:9]
	s_or_b64 exec, exec, s[6:7]
	s_and_saveexec_b64 s[6:7], s[4:5]
	s_cbranch_execnz .LBB14_1179
	s_branch .LBB14_1180
.LBB14_3229:
	s_movk_i32 s4, 0x80
	v_cmp_eq_u16_sdwa s[12:13], v2, s4 src0_sel:BYTE_3 src1_sel:DWORD
	s_mov_b64 s[4:5], -1
                                        ; implicit-def: $sgpr10
	s_and_saveexec_b64 s[8:9], s[12:13]
; %bb.3230:
	s_mov_b32 s10, 0x7f800001
	s_xor_b64 s[4:5], exec, -1
; %bb.3231:
	s_or_b64 exec, exec, s[8:9]
	s_and_b64 s[4:5], s[4:5], exec
	s_or_saveexec_b64 s[6:7], s[6:7]
	v_mov_b32_e32 v6, s10
	s_xor_b64 exec, exec, s[6:7]
	s_cbranch_execz .LBB14_1182
.LBB14_3232:
	v_mov_b32_e32 v6, 0
	v_cmp_ne_u16_sdwa s[8:9], v2, v6 src0_sel:BYTE_3 src1_sel:DWORD
	s_andn2_b64 s[4:5], s[4:5], exec
	s_and_b64 s[8:9], s[8:9], exec
	s_or_b64 s[4:5], s[4:5], s[8:9]
	s_or_b64 exec, exec, s[6:7]
	s_and_saveexec_b64 s[6:7], s[4:5]
	s_cbranch_execnz .LBB14_1183
	s_branch .LBB14_1184
.LBB14_3233:
	s_movk_i32 s4, 0x80
	v_cmp_eq_u16_sdwa s[12:13], v7, s4 src0_sel:BYTE_0 src1_sel:DWORD
	s_mov_b64 s[4:5], -1
                                        ; implicit-def: $sgpr10
	s_and_saveexec_b64 s[8:9], s[12:13]
; %bb.3234:
	s_mov_b32 s10, 0x7f800001
	s_xor_b64 s[4:5], exec, -1
; %bb.3235:
	s_or_b64 exec, exec, s[8:9]
	s_and_b64 s[4:5], s[4:5], exec
	s_or_saveexec_b64 s[6:7], s[6:7]
	v_mov_b32_e32 v2, s10
	s_xor_b64 exec, exec, s[6:7]
	s_cbranch_execz .LBB14_1186
.LBB14_3236:
	v_mov_b32_e32 v2, 0
	v_cmp_ne_u16_sdwa s[8:9], v7, v2 src0_sel:BYTE_0 src1_sel:DWORD
	s_andn2_b64 s[4:5], s[4:5], exec
	s_and_b64 s[8:9], s[8:9], exec
	s_or_b64 s[4:5], s[4:5], s[8:9]
	s_or_b64 exec, exec, s[6:7]
	s_and_saveexec_b64 s[6:7], s[4:5]
	s_cbranch_execnz .LBB14_1187
	s_branch .LBB14_1188
.LBB14_3237:
	s_movk_i32 s4, 0x80
	v_cmp_eq_u16_sdwa s[12:13], v3, s4 src0_sel:BYTE_0 src1_sel:DWORD
	s_mov_b64 s[4:5], -1
                                        ; implicit-def: $sgpr10
	s_and_saveexec_b64 s[8:9], s[12:13]
; %bb.3238:
	s_mov_b32 s10, 0x7f800001
	s_xor_b64 s[4:5], exec, -1
; %bb.3239:
	s_or_b64 exec, exec, s[8:9]
	s_and_b64 s[4:5], s[4:5], exec
	s_or_saveexec_b64 s[6:7], s[6:7]
	v_mov_b32_e32 v6, s10
	s_xor_b64 exec, exec, s[6:7]
	s_cbranch_execz .LBB14_1190
.LBB14_3240:
	v_mov_b32_e32 v6, 0
	v_cmp_ne_u16_sdwa s[8:9], v3, v6 src0_sel:BYTE_0 src1_sel:DWORD
	s_andn2_b64 s[4:5], s[4:5], exec
	s_and_b64 s[8:9], s[8:9], exec
	s_or_b64 s[4:5], s[4:5], s[8:9]
	s_or_b64 exec, exec, s[6:7]
	s_and_saveexec_b64 s[6:7], s[4:5]
	s_cbranch_execnz .LBB14_1191
	s_branch .LBB14_1192
.LBB14_3241:
	s_movk_i32 s4, 0x80
	v_cmp_eq_u16_sdwa s[12:13], v6, s4 src0_sel:BYTE_0 src1_sel:DWORD
	s_mov_b64 s[4:5], -1
                                        ; implicit-def: $sgpr10
	s_and_saveexec_b64 s[8:9], s[12:13]
; %bb.3242:
	s_mov_b32 s10, 0x7f800001
	s_xor_b64 s[4:5], exec, -1
; %bb.3243:
	s_or_b64 exec, exec, s[8:9]
	s_and_b64 s[4:5], s[4:5], exec
	s_or_saveexec_b64 s[6:7], s[6:7]
	v_mov_b32_e32 v2, s10
	s_xor_b64 exec, exec, s[6:7]
	s_cbranch_execz .LBB14_1194
.LBB14_3244:
	v_mov_b32_e32 v2, 0
	v_cmp_ne_u16_sdwa s[8:9], v6, v2 src0_sel:BYTE_0 src1_sel:DWORD
	s_andn2_b64 s[4:5], s[4:5], exec
	s_and_b64 s[8:9], s[8:9], exec
	s_or_b64 s[4:5], s[4:5], s[8:9]
	s_or_b64 exec, exec, s[6:7]
	s_and_saveexec_b64 s[6:7], s[4:5]
	s_cbranch_execnz .LBB14_1195
	s_branch .LBB14_1196
.LBB14_3245:
	s_movk_i32 s4, 0x80
	v_cmp_eq_u16_sdwa s[12:13], v6, s4 src0_sel:BYTE_0 src1_sel:DWORD
	s_mov_b64 s[4:5], -1
                                        ; implicit-def: $sgpr10
	s_and_saveexec_b64 s[8:9], s[12:13]
; %bb.3246:
	s_mov_b32 s10, 0x7f800001
	s_xor_b64 s[4:5], exec, -1
; %bb.3247:
	s_or_b64 exec, exec, s[8:9]
	s_and_b64 s[4:5], s[4:5], exec
	s_or_saveexec_b64 s[6:7], s[6:7]
	v_mov_b32_e32 v10, s10
	s_xor_b64 exec, exec, s[6:7]
	s_cbranch_execz .LBB14_1198
.LBB14_3248:
	v_mov_b32_e32 v10, 0
	v_cmp_ne_u16_sdwa s[8:9], v6, v10 src0_sel:BYTE_0 src1_sel:DWORD
	s_andn2_b64 s[4:5], s[4:5], exec
	s_and_b64 s[8:9], s[8:9], exec
	s_or_b64 s[4:5], s[4:5], s[8:9]
	s_or_b64 exec, exec, s[6:7]
	s_and_saveexec_b64 s[6:7], s[4:5]
	s_cbranch_execnz .LBB14_1199
	s_branch .LBB14_1200
.LBB14_3249:
	s_movk_i32 s4, 0x80
	v_cmp_eq_u16_e32 vcc, s4, v6
	s_mov_b64 s[4:5], -1
                                        ; implicit-def: $sgpr10
	s_and_saveexec_b64 s[8:9], vcc
; %bb.3250:
	s_mov_b32 s10, 0x7f800001
	s_xor_b64 s[4:5], exec, -1
; %bb.3251:
	s_or_b64 exec, exec, s[8:9]
	s_and_b64 s[4:5], s[4:5], exec
                                        ; implicit-def: $vgpr6
	s_or_saveexec_b64 s[6:7], s[6:7]
	v_mov_b32_e32 v2, s10
	s_xor_b64 exec, exec, s[6:7]
	s_cbranch_execz .LBB14_1202
.LBB14_3252:
	v_cmp_ne_u16_e32 vcc, 0, v6
	s_andn2_b64 s[4:5], s[4:5], exec
	s_and_b64 s[8:9], vcc, exec
	v_mov_b32_e32 v2, 0
	s_or_b64 s[4:5], s[4:5], s[8:9]
	s_or_b64 exec, exec, s[6:7]
	s_and_saveexec_b64 s[6:7], s[4:5]
	s_cbranch_execnz .LBB14_1203
	s_branch .LBB14_1204
.LBB14_3253:
	s_movk_i32 s4, 0x80
	v_cmp_eq_u16_e32 vcc, s4, v6
	s_mov_b64 s[4:5], -1
                                        ; implicit-def: $sgpr10
	s_and_saveexec_b64 s[8:9], vcc
; %bb.3254:
	s_mov_b32 s10, 0x7f800001
	s_xor_b64 s[4:5], exec, -1
; %bb.3255:
	s_or_b64 exec, exec, s[8:9]
	s_and_b64 s[4:5], s[4:5], exec
                                        ; implicit-def: $vgpr6
	s_or_saveexec_b64 s[6:7], s[6:7]
	v_mov_b32_e32 v10, s10
	s_xor_b64 exec, exec, s[6:7]
	s_cbranch_execz .LBB14_1206
.LBB14_3256:
	v_cmp_ne_u16_e32 vcc, 0, v6
	s_andn2_b64 s[4:5], s[4:5], exec
	s_and_b64 s[8:9], vcc, exec
	v_mov_b32_e32 v10, 0
	s_or_b64 s[4:5], s[4:5], s[8:9]
	s_or_b64 exec, exec, s[6:7]
	s_and_saveexec_b64 s[6:7], s[4:5]
	s_cbranch_execnz .LBB14_1207
	s_branch .LBB14_1208
.LBB14_3257:
	s_movk_i32 s4, 0x80
	v_cmp_eq_u16_sdwa s[12:13], v7, s4 src0_sel:BYTE_3 src1_sel:DWORD
	s_mov_b64 s[4:5], -1
                                        ; implicit-def: $sgpr10
	s_and_saveexec_b64 s[8:9], s[12:13]
; %bb.3258:
	s_mov_b32 s10, 0x7f800001
	s_xor_b64 s[4:5], exec, -1
; %bb.3259:
	s_or_b64 exec, exec, s[8:9]
	s_and_b64 s[4:5], s[4:5], exec
	s_or_saveexec_b64 s[6:7], s[6:7]
	v_mov_b32_e32 v2, s10
	s_xor_b64 exec, exec, s[6:7]
	s_cbranch_execz .LBB14_1210
.LBB14_3260:
	v_mov_b32_e32 v2, 0
	v_cmp_ne_u16_sdwa s[8:9], v7, v2 src0_sel:BYTE_3 src1_sel:DWORD
	s_andn2_b64 s[4:5], s[4:5], exec
	s_and_b64 s[8:9], s[8:9], exec
	s_or_b64 s[4:5], s[4:5], s[8:9]
	s_or_b64 exec, exec, s[6:7]
	s_and_saveexec_b64 s[6:7], s[4:5]
	s_cbranch_execnz .LBB14_1211
	s_branch .LBB14_1212
.LBB14_3261:
	s_movk_i32 s4, 0x80
	v_cmp_eq_u16_sdwa s[12:13], v3, s4 src0_sel:BYTE_3 src1_sel:DWORD
	s_mov_b64 s[4:5], -1
                                        ; implicit-def: $sgpr10
	s_and_saveexec_b64 s[8:9], s[12:13]
; %bb.3262:
	s_mov_b32 s10, 0x7f800001
	s_xor_b64 s[4:5], exec, -1
; %bb.3263:
	s_or_b64 exec, exec, s[8:9]
	s_and_b64 s[4:5], s[4:5], exec
	s_or_saveexec_b64 s[6:7], s[6:7]
	v_mov_b32_e32 v6, s10
	s_xor_b64 exec, exec, s[6:7]
	s_cbranch_execz .LBB14_1214
.LBB14_3264:
	v_mov_b32_e32 v6, 0
	v_cmp_ne_u16_sdwa s[8:9], v3, v6 src0_sel:BYTE_3 src1_sel:DWORD
	s_andn2_b64 s[4:5], s[4:5], exec
	s_and_b64 s[8:9], s[8:9], exec
	s_or_b64 s[4:5], s[4:5], s[8:9]
	s_or_b64 exec, exec, s[6:7]
	s_and_saveexec_b64 s[6:7], s[4:5]
	s_cbranch_execnz .LBB14_1215
	s_branch .LBB14_1216
.LBB14_3265:
	s_movk_i32 s4, 0x80
	v_cmp_eq_u16_sdwa s[12:13], v8, s4 src0_sel:BYTE_0 src1_sel:DWORD
	s_mov_b64 s[4:5], -1
                                        ; implicit-def: $sgpr10
	s_and_saveexec_b64 s[8:9], s[12:13]
; %bb.3266:
	s_mov_b32 s10, 0x7f800001
	s_xor_b64 s[4:5], exec, -1
; %bb.3267:
	s_or_b64 exec, exec, s[8:9]
	s_and_b64 s[4:5], s[4:5], exec
	s_or_saveexec_b64 s[6:7], s[6:7]
	v_mov_b32_e32 v2, s10
	s_xor_b64 exec, exec, s[6:7]
	s_cbranch_execz .LBB14_1218
.LBB14_3268:
	v_mov_b32_e32 v2, 0
	v_cmp_ne_u16_sdwa s[8:9], v8, v2 src0_sel:BYTE_0 src1_sel:DWORD
	s_andn2_b64 s[4:5], s[4:5], exec
	s_and_b64 s[8:9], s[8:9], exec
	s_or_b64 s[4:5], s[4:5], s[8:9]
	s_or_b64 exec, exec, s[6:7]
	s_and_saveexec_b64 s[6:7], s[4:5]
	s_cbranch_execnz .LBB14_1219
	s_branch .LBB14_1220
.LBB14_3269:
	s_movk_i32 s4, 0x80
	v_cmp_eq_u16_sdwa s[12:13], v4, s4 src0_sel:BYTE_0 src1_sel:DWORD
	s_mov_b64 s[4:5], -1
                                        ; implicit-def: $sgpr10
	s_and_saveexec_b64 s[8:9], s[12:13]
; %bb.3270:
	s_mov_b32 s10, 0x7f800001
	s_xor_b64 s[4:5], exec, -1
; %bb.3271:
	s_or_b64 exec, exec, s[8:9]
	s_and_b64 s[4:5], s[4:5], exec
	s_or_saveexec_b64 s[6:7], s[6:7]
	v_mov_b32_e32 v3, s10
	s_xor_b64 exec, exec, s[6:7]
	s_cbranch_execz .LBB14_1222
.LBB14_3272:
	v_mov_b32_e32 v3, 0
	v_cmp_ne_u16_sdwa s[8:9], v4, v3 src0_sel:BYTE_0 src1_sel:DWORD
	s_andn2_b64 s[4:5], s[4:5], exec
	s_and_b64 s[8:9], s[8:9], exec
	s_or_b64 s[4:5], s[4:5], s[8:9]
	s_or_b64 exec, exec, s[6:7]
	s_and_saveexec_b64 s[6:7], s[4:5]
	s_cbranch_execnz .LBB14_1223
	s_branch .LBB14_1224
.LBB14_3273:
	s_movk_i32 s4, 0x80
	v_cmp_eq_u16_sdwa s[12:13], v3, s4 src0_sel:BYTE_0 src1_sel:DWORD
	s_mov_b64 s[4:5], -1
                                        ; implicit-def: $sgpr10
	s_and_saveexec_b64 s[8:9], s[12:13]
; %bb.3274:
	s_mov_b32 s10, 0x7f800001
	s_xor_b64 s[4:5], exec, -1
; %bb.3275:
	s_or_b64 exec, exec, s[8:9]
	s_and_b64 s[4:5], s[4:5], exec
	s_or_saveexec_b64 s[6:7], s[6:7]
	v_mov_b32_e32 v2, s10
	s_xor_b64 exec, exec, s[6:7]
	s_cbranch_execz .LBB14_1226
.LBB14_3276:
	v_mov_b32_e32 v2, 0
	v_cmp_ne_u16_sdwa s[8:9], v3, v2 src0_sel:BYTE_0 src1_sel:DWORD
	s_andn2_b64 s[4:5], s[4:5], exec
	s_and_b64 s[8:9], s[8:9], exec
	s_or_b64 s[4:5], s[4:5], s[8:9]
	s_or_b64 exec, exec, s[6:7]
	s_and_saveexec_b64 s[6:7], s[4:5]
	s_cbranch_execnz .LBB14_1227
	s_branch .LBB14_1228
.LBB14_3277:
	s_movk_i32 s4, 0x80
	v_cmp_eq_u16_sdwa s[12:13], v3, s4 src0_sel:BYTE_0 src1_sel:DWORD
	s_mov_b64 s[4:5], -1
                                        ; implicit-def: $sgpr10
	s_and_saveexec_b64 s[8:9], s[12:13]
; %bb.3278:
	s_mov_b32 s10, 0x7f800001
	s_xor_b64 s[4:5], exec, -1
; %bb.3279:
	s_or_b64 exec, exec, s[8:9]
	s_and_b64 s[4:5], s[4:5], exec
	s_or_saveexec_b64 s[6:7], s[6:7]
	v_mov_b32_e32 v6, s10
	s_xor_b64 exec, exec, s[6:7]
	s_cbranch_execz .LBB14_1230
.LBB14_3280:
	v_mov_b32_e32 v6, 0
	v_cmp_ne_u16_sdwa s[8:9], v3, v6 src0_sel:BYTE_0 src1_sel:DWORD
	s_andn2_b64 s[4:5], s[4:5], exec
	s_and_b64 s[8:9], s[8:9], exec
	s_or_b64 s[4:5], s[4:5], s[8:9]
	s_or_b64 exec, exec, s[6:7]
	s_and_saveexec_b64 s[6:7], s[4:5]
	s_cbranch_execnz .LBB14_1231
	s_branch .LBB14_1232
.LBB14_3281:
	s_movk_i32 s4, 0x80
	v_cmp_eq_u16_e32 vcc, s4, v3
	s_mov_b64 s[4:5], -1
                                        ; implicit-def: $sgpr10
	s_and_saveexec_b64 s[8:9], vcc
; %bb.3282:
	s_mov_b32 s10, 0x7f800001
	s_xor_b64 s[4:5], exec, -1
; %bb.3283:
	s_or_b64 exec, exec, s[8:9]
	s_and_b64 s[4:5], s[4:5], exec
                                        ; implicit-def: $vgpr3
	s_or_saveexec_b64 s[6:7], s[6:7]
	v_mov_b32_e32 v2, s10
	s_xor_b64 exec, exec, s[6:7]
	s_cbranch_execz .LBB14_1234
.LBB14_3284:
	v_cmp_ne_u16_e32 vcc, 0, v3
	s_andn2_b64 s[4:5], s[4:5], exec
	s_and_b64 s[8:9], vcc, exec
	v_mov_b32_e32 v2, 0
	s_or_b64 s[4:5], s[4:5], s[8:9]
	s_or_b64 exec, exec, s[6:7]
	s_and_saveexec_b64 s[6:7], s[4:5]
	s_cbranch_execnz .LBB14_1235
	s_branch .LBB14_1236
.LBB14_3285:
	s_movk_i32 s4, 0x80
	v_cmp_eq_u16_e32 vcc, s4, v3
	s_mov_b64 s[4:5], -1
                                        ; implicit-def: $sgpr10
	s_and_saveexec_b64 s[8:9], vcc
; %bb.3286:
	s_mov_b32 s10, 0x7f800001
	s_xor_b64 s[4:5], exec, -1
; %bb.3287:
	s_or_b64 exec, exec, s[8:9]
	s_and_b64 s[4:5], s[4:5], exec
                                        ; implicit-def: $vgpr3
	s_or_saveexec_b64 s[6:7], s[6:7]
	v_mov_b32_e32 v6, s10
	s_xor_b64 exec, exec, s[6:7]
	s_cbranch_execz .LBB14_1238
.LBB14_3288:
	v_cmp_ne_u16_e32 vcc, 0, v3
	s_andn2_b64 s[4:5], s[4:5], exec
	s_and_b64 s[8:9], vcc, exec
	v_mov_b32_e32 v6, 0
	s_or_b64 s[4:5], s[4:5], s[8:9]
	s_or_b64 exec, exec, s[6:7]
	s_and_saveexec_b64 s[6:7], s[4:5]
	s_cbranch_execnz .LBB14_1239
	s_branch .LBB14_1240
.LBB14_3289:
	s_movk_i32 s4, 0x80
	v_cmp_eq_u16_sdwa s[12:13], v8, s4 src0_sel:BYTE_3 src1_sel:DWORD
	s_mov_b64 s[4:5], -1
                                        ; implicit-def: $sgpr10
	s_and_saveexec_b64 s[8:9], s[12:13]
; %bb.3290:
	s_mov_b32 s10, 0x7f800001
	s_xor_b64 s[4:5], exec, -1
; %bb.3291:
	s_or_b64 exec, exec, s[8:9]
	s_and_b64 s[4:5], s[4:5], exec
	s_or_saveexec_b64 s[6:7], s[6:7]
	v_mov_b32_e32 v2, s10
	s_xor_b64 exec, exec, s[6:7]
	s_cbranch_execz .LBB14_1242
.LBB14_3292:
	v_mov_b32_e32 v2, 0
	v_cmp_ne_u16_sdwa s[8:9], v8, v2 src0_sel:BYTE_3 src1_sel:DWORD
	s_andn2_b64 s[4:5], s[4:5], exec
	s_and_b64 s[8:9], s[8:9], exec
	s_or_b64 s[4:5], s[4:5], s[8:9]
	s_or_b64 exec, exec, s[6:7]
	s_and_saveexec_b64 s[6:7], s[4:5]
	s_cbranch_execnz .LBB14_1243
	s_branch .LBB14_1244
.LBB14_3293:
	s_movk_i32 s4, 0x80
	v_cmp_eq_u16_sdwa s[12:13], v4, s4 src0_sel:BYTE_3 src1_sel:DWORD
	s_mov_b64 s[4:5], -1
                                        ; implicit-def: $sgpr10
	s_and_saveexec_b64 s[8:9], s[12:13]
; %bb.3294:
	s_mov_b32 s10, 0x7f800001
	s_xor_b64 s[4:5], exec, -1
; %bb.3295:
	s_or_b64 exec, exec, s[8:9]
	s_and_b64 s[4:5], s[4:5], exec
	s_or_saveexec_b64 s[6:7], s[6:7]
	v_mov_b32_e32 v3, s10
	s_xor_b64 exec, exec, s[6:7]
	s_cbranch_execz .LBB14_1246
.LBB14_3296:
	v_mov_b32_e32 v3, 0
	v_cmp_ne_u16_sdwa s[8:9], v4, v3 src0_sel:BYTE_3 src1_sel:DWORD
	s_andn2_b64 s[4:5], s[4:5], exec
	s_and_b64 s[8:9], s[8:9], exec
	s_or_b64 s[4:5], s[4:5], s[8:9]
	s_or_b64 exec, exec, s[6:7]
	s_and_saveexec_b64 s[6:7], s[4:5]
	s_cbranch_execnz .LBB14_1247
	s_branch .LBB14_1248
.LBB14_3297:
	s_movk_i32 s4, 0x80
	v_cmp_eq_u16_sdwa s[12:13], v9, s4 src0_sel:BYTE_0 src1_sel:DWORD
	s_mov_b64 s[4:5], -1
                                        ; implicit-def: $sgpr10
	s_and_saveexec_b64 s[8:9], s[12:13]
; %bb.3298:
	s_mov_b32 s10, 0x7f800001
	s_xor_b64 s[4:5], exec, -1
; %bb.3299:
	s_or_b64 exec, exec, s[8:9]
	s_and_b64 s[4:5], s[4:5], exec
	s_or_saveexec_b64 s[6:7], s[6:7]
	v_mov_b32_e32 v2, s10
	s_xor_b64 exec, exec, s[6:7]
	s_cbranch_execz .LBB14_1250
.LBB14_3300:
	v_mov_b32_e32 v2, 0
	v_cmp_ne_u16_sdwa s[8:9], v9, v2 src0_sel:BYTE_0 src1_sel:DWORD
	s_andn2_b64 s[4:5], s[4:5], exec
	s_and_b64 s[8:9], s[8:9], exec
	s_or_b64 s[4:5], s[4:5], s[8:9]
	s_or_b64 exec, exec, s[6:7]
	s_and_saveexec_b64 s[6:7], s[4:5]
	s_cbranch_execnz .LBB14_1251
	s_branch .LBB14_1252
.LBB14_3301:
	s_movk_i32 s4, 0x80
	v_cmp_eq_u16_sdwa s[12:13], v5, s4 src0_sel:BYTE_0 src1_sel:DWORD
	s_mov_b64 s[4:5], -1
                                        ; implicit-def: $sgpr10
	s_and_saveexec_b64 s[8:9], s[12:13]
; %bb.3302:
	s_mov_b32 s10, 0x7f800001
	s_xor_b64 s[4:5], exec, -1
; %bb.3303:
	s_or_b64 exec, exec, s[8:9]
	s_and_b64 s[4:5], s[4:5], exec
	s_or_saveexec_b64 s[6:7], s[6:7]
	v_mov_b32_e32 v3, s10
	s_xor_b64 exec, exec, s[6:7]
	s_cbranch_execz .LBB14_1254
.LBB14_3304:
	v_mov_b32_e32 v3, 0
	v_cmp_ne_u16_sdwa s[8:9], v5, v3 src0_sel:BYTE_0 src1_sel:DWORD
	s_andn2_b64 s[4:5], s[4:5], exec
	s_and_b64 s[8:9], s[8:9], exec
	s_or_b64 s[4:5], s[4:5], s[8:9]
	s_or_b64 exec, exec, s[6:7]
	s_and_saveexec_b64 s[6:7], s[4:5]
	s_cbranch_execnz .LBB14_1255
	s_branch .LBB14_1256
.LBB14_3305:
	s_movk_i32 s4, 0x80
	v_cmp_eq_u16_sdwa s[12:13], v3, s4 src0_sel:BYTE_0 src1_sel:DWORD
	s_mov_b64 s[4:5], -1
                                        ; implicit-def: $sgpr10
	s_and_saveexec_b64 s[8:9], s[12:13]
; %bb.3306:
	s_mov_b32 s10, 0x7f800001
	s_xor_b64 s[4:5], exec, -1
; %bb.3307:
	s_or_b64 exec, exec, s[8:9]
	s_and_b64 s[4:5], s[4:5], exec
	s_or_saveexec_b64 s[6:7], s[6:7]
	v_mov_b32_e32 v2, s10
	s_xor_b64 exec, exec, s[6:7]
	s_cbranch_execz .LBB14_1258
.LBB14_3308:
	v_mov_b32_e32 v2, 0
	v_cmp_ne_u16_sdwa s[8:9], v3, v2 src0_sel:BYTE_0 src1_sel:DWORD
	s_andn2_b64 s[4:5], s[4:5], exec
	s_and_b64 s[8:9], s[8:9], exec
	s_or_b64 s[4:5], s[4:5], s[8:9]
	s_or_b64 exec, exec, s[6:7]
	s_and_saveexec_b64 s[6:7], s[4:5]
	s_cbranch_execnz .LBB14_1259
	s_branch .LBB14_1260
.LBB14_3309:
	s_movk_i32 s4, 0x80
	v_cmp_eq_u16_sdwa s[12:13], v3, s4 src0_sel:BYTE_0 src1_sel:DWORD
	s_mov_b64 s[4:5], -1
                                        ; implicit-def: $sgpr10
	s_and_saveexec_b64 s[8:9], s[12:13]
; %bb.3310:
	s_mov_b32 s10, 0x7f800001
	s_xor_b64 s[4:5], exec, -1
; %bb.3311:
	s_or_b64 exec, exec, s[8:9]
	s_and_b64 s[4:5], s[4:5], exec
	s_or_saveexec_b64 s[6:7], s[6:7]
	v_mov_b32_e32 v4, s10
	s_xor_b64 exec, exec, s[6:7]
	s_cbranch_execz .LBB14_1262
.LBB14_3312:
	v_mov_b32_e32 v4, 0
	v_cmp_ne_u16_sdwa s[8:9], v3, v4 src0_sel:BYTE_0 src1_sel:DWORD
	s_andn2_b64 s[4:5], s[4:5], exec
	s_and_b64 s[8:9], s[8:9], exec
	s_or_b64 s[4:5], s[4:5], s[8:9]
	s_or_b64 exec, exec, s[6:7]
	s_and_saveexec_b64 s[6:7], s[4:5]
	s_cbranch_execnz .LBB14_1263
	s_branch .LBB14_1264
.LBB14_3313:
	s_movk_i32 s4, 0x80
	v_cmp_eq_u16_e32 vcc, s4, v3
	s_mov_b64 s[4:5], -1
                                        ; implicit-def: $sgpr10
	s_and_saveexec_b64 s[8:9], vcc
; %bb.3314:
	s_mov_b32 s10, 0x7f800001
	s_xor_b64 s[4:5], exec, -1
; %bb.3315:
	s_or_b64 exec, exec, s[8:9]
	s_and_b64 s[4:5], s[4:5], exec
                                        ; implicit-def: $vgpr3
	s_or_saveexec_b64 s[6:7], s[6:7]
	v_mov_b32_e32 v2, s10
	s_xor_b64 exec, exec, s[6:7]
	s_cbranch_execz .LBB14_1266
.LBB14_3316:
	v_cmp_ne_u16_e32 vcc, 0, v3
	s_andn2_b64 s[4:5], s[4:5], exec
	s_and_b64 s[8:9], vcc, exec
	v_mov_b32_e32 v2, 0
	s_or_b64 s[4:5], s[4:5], s[8:9]
	s_or_b64 exec, exec, s[6:7]
	s_and_saveexec_b64 s[6:7], s[4:5]
	s_cbranch_execnz .LBB14_1267
	s_branch .LBB14_1268
.LBB14_3317:
	s_movk_i32 s4, 0x80
	v_cmp_eq_u16_e32 vcc, s4, v3
	s_mov_b64 s[4:5], -1
                                        ; implicit-def: $sgpr10
	s_and_saveexec_b64 s[8:9], vcc
; %bb.3318:
	s_mov_b32 s10, 0x7f800001
	s_xor_b64 s[4:5], exec, -1
; %bb.3319:
	s_or_b64 exec, exec, s[8:9]
	s_and_b64 s[4:5], s[4:5], exec
                                        ; implicit-def: $vgpr3
	s_or_saveexec_b64 s[6:7], s[6:7]
	v_mov_b32_e32 v4, s10
	s_xor_b64 exec, exec, s[6:7]
	s_cbranch_execz .LBB14_1270
.LBB14_3320:
	v_cmp_ne_u16_e32 vcc, 0, v3
	s_andn2_b64 s[4:5], s[4:5], exec
	s_and_b64 s[8:9], vcc, exec
	v_mov_b32_e32 v4, 0
	s_or_b64 s[4:5], s[4:5], s[8:9]
	s_or_b64 exec, exec, s[6:7]
	s_and_saveexec_b64 s[6:7], s[4:5]
	s_cbranch_execnz .LBB14_1271
	s_branch .LBB14_1272
.LBB14_3321:
	s_movk_i32 s4, 0x80
	v_cmp_eq_u16_sdwa s[12:13], v9, s4 src0_sel:BYTE_3 src1_sel:DWORD
	s_mov_b64 s[4:5], -1
                                        ; implicit-def: $sgpr10
	s_and_saveexec_b64 s[8:9], s[12:13]
; %bb.3322:
	s_mov_b32 s10, 0x7f800001
	s_xor_b64 s[4:5], exec, -1
; %bb.3323:
	s_or_b64 exec, exec, s[8:9]
	s_and_b64 s[4:5], s[4:5], exec
	s_or_saveexec_b64 s[6:7], s[6:7]
	v_mov_b32_e32 v2, s10
	s_xor_b64 exec, exec, s[6:7]
	s_cbranch_execz .LBB14_1274
.LBB14_3324:
	v_mov_b32_e32 v2, 0
	v_cmp_ne_u16_sdwa s[8:9], v9, v2 src0_sel:BYTE_3 src1_sel:DWORD
	s_andn2_b64 s[4:5], s[4:5], exec
	s_and_b64 s[8:9], s[8:9], exec
	s_or_b64 s[4:5], s[4:5], s[8:9]
	s_or_b64 exec, exec, s[6:7]
	s_and_saveexec_b64 s[6:7], s[4:5]
	s_cbranch_execnz .LBB14_1275
	s_branch .LBB14_1276
.LBB14_3325:
	s_movk_i32 s4, 0x80
	v_cmp_eq_u16_sdwa s[12:13], v5, s4 src0_sel:BYTE_3 src1_sel:DWORD
	s_mov_b64 s[4:5], -1
                                        ; implicit-def: $sgpr10
	s_and_saveexec_b64 s[8:9], s[12:13]
; %bb.3326:
	s_mov_b32 s10, 0x7f800001
	s_xor_b64 s[4:5], exec, -1
; %bb.3327:
	s_or_b64 exec, exec, s[8:9]
	s_and_b64 s[4:5], s[4:5], exec
	s_or_saveexec_b64 s[6:7], s[6:7]
	v_mov_b32_e32 v3, s10
	s_xor_b64 exec, exec, s[6:7]
	s_cbranch_execz .LBB14_1278
.LBB14_3328:
	v_mov_b32_e32 v3, 0
	v_cmp_ne_u16_sdwa s[8:9], v5, v3 src0_sel:BYTE_3 src1_sel:DWORD
	s_andn2_b64 s[4:5], s[4:5], exec
	s_and_b64 s[8:9], s[8:9], exec
	s_or_b64 s[4:5], s[4:5], s[8:9]
	s_or_b64 exec, exec, s[6:7]
	s_and_saveexec_b64 s[6:7], s[4:5]
	s_cbranch_execnz .LBB14_1279
	s_branch .LBB14_1280
.LBB14_3329:
	s_movk_i32 s4, 0x80
	v_cmp_eq_u16_sdwa s[12:13], v14, s4 src0_sel:BYTE_0 src1_sel:DWORD
	s_mov_b64 s[4:5], -1
                                        ; implicit-def: $sgpr10
	s_and_saveexec_b64 s[8:9], s[12:13]
; %bb.3330:
	s_mov_b32 s10, 0x7f800001
	s_xor_b64 s[4:5], exec, -1
; %bb.3331:
	s_or_b64 exec, exec, s[8:9]
	s_and_b64 s[4:5], s[4:5], exec
	s_or_saveexec_b64 s[6:7], s[6:7]
	v_mov_b32_e32 v20, s10
	s_xor_b64 exec, exec, s[6:7]
	s_cbranch_execz .LBB14_1282
.LBB14_3332:
	v_mov_b32_e32 v20, 0
	v_cmp_ne_u16_sdwa s[8:9], v14, v20 src0_sel:BYTE_0 src1_sel:DWORD
	s_andn2_b64 s[4:5], s[4:5], exec
	s_and_b64 s[8:9], s[8:9], exec
	s_or_b64 s[4:5], s[4:5], s[8:9]
	s_or_b64 exec, exec, s[6:7]
	s_and_saveexec_b64 s[6:7], s[4:5]
	s_cbranch_execnz .LBB14_1283
	s_branch .LBB14_1284
.LBB14_3333:
	s_movk_i32 s4, 0x80
	v_cmp_eq_u16_sdwa s[12:13], v10, s4 src0_sel:BYTE_0 src1_sel:DWORD
	s_mov_b64 s[4:5], -1
                                        ; implicit-def: $sgpr10
	s_and_saveexec_b64 s[8:9], s[12:13]
; %bb.3334:
	s_mov_b32 s10, 0x7f800001
	s_xor_b64 s[4:5], exec, -1
; %bb.3335:
	s_or_b64 exec, exec, s[8:9]
	s_and_b64 s[4:5], s[4:5], exec
	s_or_saveexec_b64 s[6:7], s[6:7]
	v_mov_b32_e32 v21, s10
	s_xor_b64 exec, exec, s[6:7]
	s_cbranch_execz .LBB14_1286
.LBB14_3336:
	v_mov_b32_e32 v21, 0
	v_cmp_ne_u16_sdwa s[8:9], v10, v21 src0_sel:BYTE_0 src1_sel:DWORD
	s_andn2_b64 s[4:5], s[4:5], exec
	s_and_b64 s[8:9], s[8:9], exec
	s_or_b64 s[4:5], s[4:5], s[8:9]
	s_or_b64 exec, exec, s[6:7]
	s_and_saveexec_b64 s[6:7], s[4:5]
	s_cbranch_execnz .LBB14_1287
	s_branch .LBB14_1288
.LBB14_3337:
	s_movk_i32 s4, 0x80
	v_cmp_eq_u16_sdwa s[12:13], v21, s4 src0_sel:BYTE_0 src1_sel:DWORD
	s_mov_b64 s[4:5], -1
                                        ; implicit-def: $sgpr10
	s_and_saveexec_b64 s[8:9], s[12:13]
; %bb.3338:
	s_mov_b32 s10, 0x7f800001
	s_xor_b64 s[4:5], exec, -1
; %bb.3339:
	s_or_b64 exec, exec, s[8:9]
	s_and_b64 s[4:5], s[4:5], exec
	s_or_saveexec_b64 s[6:7], s[6:7]
	v_mov_b32_e32 v20, s10
	s_xor_b64 exec, exec, s[6:7]
	s_cbranch_execz .LBB14_1290
.LBB14_3340:
	v_mov_b32_e32 v20, 0
	v_cmp_ne_u16_sdwa s[8:9], v21, v20 src0_sel:BYTE_0 src1_sel:DWORD
	s_andn2_b64 s[4:5], s[4:5], exec
	s_and_b64 s[8:9], s[8:9], exec
	s_or_b64 s[4:5], s[4:5], s[8:9]
	s_or_b64 exec, exec, s[6:7]
	s_and_saveexec_b64 s[6:7], s[4:5]
	s_cbranch_execnz .LBB14_1291
	s_branch .LBB14_1292
.LBB14_3341:
	s_movk_i32 s4, 0x80
	v_cmp_eq_u16_sdwa s[12:13], v21, s4 src0_sel:BYTE_0 src1_sel:DWORD
	s_mov_b64 s[4:5], -1
                                        ; implicit-def: $sgpr10
	s_and_saveexec_b64 s[8:9], s[12:13]
; %bb.3342:
	s_mov_b32 s10, 0x7f800001
	s_xor_b64 s[4:5], exec, -1
; %bb.3343:
	s_or_b64 exec, exec, s[8:9]
	s_and_b64 s[4:5], s[4:5], exec
	s_or_saveexec_b64 s[6:7], s[6:7]
	v_mov_b32_e32 v22, s10
	s_xor_b64 exec, exec, s[6:7]
	s_cbranch_execz .LBB14_1294
.LBB14_3344:
	v_mov_b32_e32 v22, 0
	v_cmp_ne_u16_sdwa s[8:9], v21, v22 src0_sel:BYTE_0 src1_sel:DWORD
	s_andn2_b64 s[4:5], s[4:5], exec
	s_and_b64 s[8:9], s[8:9], exec
	s_or_b64 s[4:5], s[4:5], s[8:9]
	s_or_b64 exec, exec, s[6:7]
	s_and_saveexec_b64 s[6:7], s[4:5]
	s_cbranch_execnz .LBB14_1295
	s_branch .LBB14_1296
.LBB14_3345:
	s_movk_i32 s4, 0x80
	v_cmp_eq_u16_e32 vcc, s4, v21
	s_mov_b64 s[4:5], -1
                                        ; implicit-def: $sgpr10
	s_and_saveexec_b64 s[8:9], vcc
; %bb.3346:
	s_mov_b32 s10, 0x7f800001
	s_xor_b64 s[4:5], exec, -1
; %bb.3347:
	s_or_b64 exec, exec, s[8:9]
	s_and_b64 s[4:5], s[4:5], exec
                                        ; implicit-def: $vgpr21
	s_or_saveexec_b64 s[6:7], s[6:7]
	v_mov_b32_e32 v20, s10
	s_xor_b64 exec, exec, s[6:7]
	s_cbranch_execz .LBB14_1298
.LBB14_3348:
	v_cmp_ne_u16_e32 vcc, 0, v21
	s_andn2_b64 s[4:5], s[4:5], exec
	s_and_b64 s[8:9], vcc, exec
	v_mov_b32_e32 v20, 0
	s_or_b64 s[4:5], s[4:5], s[8:9]
	s_or_b64 exec, exec, s[6:7]
	s_and_saveexec_b64 s[6:7], s[4:5]
	s_cbranch_execnz .LBB14_1299
	s_branch .LBB14_1300
.LBB14_3349:
	s_movk_i32 s4, 0x80
	v_cmp_eq_u16_e32 vcc, s4, v21
	s_mov_b64 s[4:5], -1
                                        ; implicit-def: $sgpr10
	s_and_saveexec_b64 s[8:9], vcc
; %bb.3350:
	s_mov_b32 s10, 0x7f800001
	s_xor_b64 s[4:5], exec, -1
; %bb.3351:
	s_or_b64 exec, exec, s[8:9]
	s_and_b64 s[4:5], s[4:5], exec
                                        ; implicit-def: $vgpr21
	s_or_saveexec_b64 s[6:7], s[6:7]
	v_mov_b32_e32 v22, s10
	s_xor_b64 exec, exec, s[6:7]
	s_cbranch_execz .LBB14_1302
.LBB14_3352:
	v_cmp_ne_u16_e32 vcc, 0, v21
	s_andn2_b64 s[4:5], s[4:5], exec
	s_and_b64 s[8:9], vcc, exec
	v_mov_b32_e32 v22, 0
	s_or_b64 s[4:5], s[4:5], s[8:9]
	s_or_b64 exec, exec, s[6:7]
	s_and_saveexec_b64 s[6:7], s[4:5]
	s_cbranch_execnz .LBB14_1303
	s_branch .LBB14_1304
.LBB14_3353:
	s_movk_i32 s4, 0x80
	v_cmp_eq_u16_sdwa s[12:13], v14, s4 src0_sel:BYTE_3 src1_sel:DWORD
	s_mov_b64 s[4:5], -1
                                        ; implicit-def: $sgpr10
	s_and_saveexec_b64 s[8:9], s[12:13]
; %bb.3354:
	s_mov_b32 s10, 0x7f800001
	s_xor_b64 s[4:5], exec, -1
; %bb.3355:
	s_or_b64 exec, exec, s[8:9]
	s_and_b64 s[4:5], s[4:5], exec
	s_or_saveexec_b64 s[6:7], s[6:7]
	v_mov_b32_e32 v20, s10
	s_xor_b64 exec, exec, s[6:7]
	s_cbranch_execz .LBB14_1306
.LBB14_3356:
	v_mov_b32_e32 v20, 0
	v_cmp_ne_u16_sdwa s[8:9], v14, v20 src0_sel:BYTE_3 src1_sel:DWORD
	s_andn2_b64 s[4:5], s[4:5], exec
	s_and_b64 s[8:9], s[8:9], exec
	s_or_b64 s[4:5], s[4:5], s[8:9]
	s_or_b64 exec, exec, s[6:7]
	s_and_saveexec_b64 s[6:7], s[4:5]
	s_cbranch_execnz .LBB14_1307
	s_branch .LBB14_1308
.LBB14_3357:
	s_movk_i32 s4, 0x80
	v_cmp_eq_u16_sdwa s[12:13], v10, s4 src0_sel:BYTE_3 src1_sel:DWORD
	s_mov_b64 s[4:5], -1
                                        ; implicit-def: $sgpr10
	s_and_saveexec_b64 s[8:9], s[12:13]
; %bb.3358:
	s_mov_b32 s10, 0x7f800001
	s_xor_b64 s[4:5], exec, -1
; %bb.3359:
	s_or_b64 exec, exec, s[8:9]
	s_and_b64 s[4:5], s[4:5], exec
	s_or_saveexec_b64 s[6:7], s[6:7]
	v_mov_b32_e32 v14, s10
	s_xor_b64 exec, exec, s[6:7]
	s_cbranch_execz .LBB14_1310
.LBB14_3360:
	v_mov_b32_e32 v14, 0
	v_cmp_ne_u16_sdwa s[8:9], v10, v14 src0_sel:BYTE_3 src1_sel:DWORD
	s_andn2_b64 s[4:5], s[4:5], exec
	s_and_b64 s[8:9], s[8:9], exec
	s_or_b64 s[4:5], s[4:5], s[8:9]
	s_or_b64 exec, exec, s[6:7]
	s_and_saveexec_b64 s[6:7], s[4:5]
	s_cbranch_execnz .LBB14_1311
	s_branch .LBB14_1312
.LBB14_3361:
	s_movk_i32 s4, 0x80
	v_cmp_eq_u16_sdwa s[12:13], v15, s4 src0_sel:BYTE_0 src1_sel:DWORD
	s_mov_b64 s[4:5], -1
                                        ; implicit-def: $sgpr10
	s_and_saveexec_b64 s[8:9], s[12:13]
; %bb.3362:
	s_mov_b32 s10, 0x7f800001
	s_xor_b64 s[4:5], exec, -1
; %bb.3363:
	s_or_b64 exec, exec, s[8:9]
	s_and_b64 s[4:5], s[4:5], exec
	s_or_saveexec_b64 s[6:7], s[6:7]
	v_mov_b32_e32 v10, s10
	s_xor_b64 exec, exec, s[6:7]
	s_cbranch_execz .LBB14_1314
.LBB14_3364:
	v_mov_b32_e32 v10, 0
	v_cmp_ne_u16_sdwa s[8:9], v15, v10 src0_sel:BYTE_0 src1_sel:DWORD
	s_andn2_b64 s[4:5], s[4:5], exec
	s_and_b64 s[8:9], s[8:9], exec
	s_or_b64 s[4:5], s[4:5], s[8:9]
	s_or_b64 exec, exec, s[6:7]
	s_and_saveexec_b64 s[6:7], s[4:5]
	s_cbranch_execnz .LBB14_1315
	s_branch .LBB14_1316
.LBB14_3365:
	s_movk_i32 s4, 0x80
	v_cmp_eq_u16_sdwa s[12:13], v11, s4 src0_sel:BYTE_0 src1_sel:DWORD
	s_mov_b64 s[4:5], -1
                                        ; implicit-def: $sgpr10
	s_and_saveexec_b64 s[8:9], s[12:13]
; %bb.3366:
	s_mov_b32 s10, 0x7f800001
	s_xor_b64 s[4:5], exec, -1
; %bb.3367:
	s_or_b64 exec, exec, s[8:9]
	s_and_b64 s[4:5], s[4:5], exec
	s_or_saveexec_b64 s[6:7], s[6:7]
	v_mov_b32_e32 v14, s10
	s_xor_b64 exec, exec, s[6:7]
	s_cbranch_execz .LBB14_1318
.LBB14_3368:
	v_mov_b32_e32 v14, 0
	v_cmp_ne_u16_sdwa s[8:9], v11, v14 src0_sel:BYTE_0 src1_sel:DWORD
	s_andn2_b64 s[4:5], s[4:5], exec
	s_and_b64 s[8:9], s[8:9], exec
	s_or_b64 s[4:5], s[4:5], s[8:9]
	s_or_b64 exec, exec, s[6:7]
	s_and_saveexec_b64 s[6:7], s[4:5]
	s_cbranch_execnz .LBB14_1319
	s_branch .LBB14_1320
.LBB14_3369:
	s_movk_i32 s4, 0x80
	v_cmp_eq_u16_sdwa s[12:13], v14, s4 src0_sel:BYTE_0 src1_sel:DWORD
	s_mov_b64 s[4:5], -1
                                        ; implicit-def: $sgpr10
	s_and_saveexec_b64 s[8:9], s[12:13]
; %bb.3370:
	s_mov_b32 s10, 0x7f800001
	s_xor_b64 s[4:5], exec, -1
; %bb.3371:
	s_or_b64 exec, exec, s[8:9]
	s_and_b64 s[4:5], s[4:5], exec
	s_or_saveexec_b64 s[6:7], s[6:7]
	v_mov_b32_e32 v10, s10
	s_xor_b64 exec, exec, s[6:7]
	s_cbranch_execz .LBB14_1322
.LBB14_3372:
	v_mov_b32_e32 v10, 0
	v_cmp_ne_u16_sdwa s[8:9], v14, v10 src0_sel:BYTE_0 src1_sel:DWORD
	s_andn2_b64 s[4:5], s[4:5], exec
	s_and_b64 s[8:9], s[8:9], exec
	s_or_b64 s[4:5], s[4:5], s[8:9]
	s_or_b64 exec, exec, s[6:7]
	s_and_saveexec_b64 s[6:7], s[4:5]
	s_cbranch_execnz .LBB14_1323
	s_branch .LBB14_1324
.LBB14_3373:
	s_movk_i32 s4, 0x80
	v_cmp_eq_u16_sdwa s[12:13], v14, s4 src0_sel:BYTE_0 src1_sel:DWORD
	s_mov_b64 s[4:5], -1
                                        ; implicit-def: $sgpr10
	s_and_saveexec_b64 s[8:9], s[12:13]
; %bb.3374:
	s_mov_b32 s10, 0x7f800001
	s_xor_b64 s[4:5], exec, -1
; %bb.3375:
	s_or_b64 exec, exec, s[8:9]
	s_and_b64 s[4:5], s[4:5], exec
	s_or_saveexec_b64 s[6:7], s[6:7]
	v_mov_b32_e32 v20, s10
	s_xor_b64 exec, exec, s[6:7]
	s_cbranch_execz .LBB14_1326
.LBB14_3376:
	v_mov_b32_e32 v20, 0
	v_cmp_ne_u16_sdwa s[8:9], v14, v20 src0_sel:BYTE_0 src1_sel:DWORD
	s_andn2_b64 s[4:5], s[4:5], exec
	s_and_b64 s[8:9], s[8:9], exec
	s_or_b64 s[4:5], s[4:5], s[8:9]
	s_or_b64 exec, exec, s[6:7]
	s_and_saveexec_b64 s[6:7], s[4:5]
	s_cbranch_execnz .LBB14_1327
	s_branch .LBB14_1328
.LBB14_3377:
	s_movk_i32 s4, 0x80
	v_cmp_eq_u16_e32 vcc, s4, v14
	s_mov_b64 s[4:5], -1
                                        ; implicit-def: $sgpr10
	s_and_saveexec_b64 s[8:9], vcc
; %bb.3378:
	s_mov_b32 s10, 0x7f800001
	s_xor_b64 s[4:5], exec, -1
; %bb.3379:
	s_or_b64 exec, exec, s[8:9]
	s_and_b64 s[4:5], s[4:5], exec
                                        ; implicit-def: $vgpr14
	s_or_saveexec_b64 s[6:7], s[6:7]
	v_mov_b32_e32 v10, s10
	s_xor_b64 exec, exec, s[6:7]
	s_cbranch_execz .LBB14_1330
.LBB14_3380:
	v_cmp_ne_u16_e32 vcc, 0, v14
	s_andn2_b64 s[4:5], s[4:5], exec
	s_and_b64 s[8:9], vcc, exec
	v_mov_b32_e32 v10, 0
	s_or_b64 s[4:5], s[4:5], s[8:9]
	s_or_b64 exec, exec, s[6:7]
	s_and_saveexec_b64 s[6:7], s[4:5]
	s_cbranch_execnz .LBB14_1331
	s_branch .LBB14_1332
.LBB14_3381:
	s_movk_i32 s4, 0x80
	v_cmp_eq_u16_e32 vcc, s4, v14
	s_mov_b64 s[4:5], -1
                                        ; implicit-def: $sgpr10
	s_and_saveexec_b64 s[8:9], vcc
; %bb.3382:
	s_mov_b32 s10, 0x7f800001
	s_xor_b64 s[4:5], exec, -1
; %bb.3383:
	s_or_b64 exec, exec, s[8:9]
	s_and_b64 s[4:5], s[4:5], exec
                                        ; implicit-def: $vgpr14
	s_or_saveexec_b64 s[6:7], s[6:7]
	v_mov_b32_e32 v20, s10
	s_xor_b64 exec, exec, s[6:7]
	s_cbranch_execz .LBB14_1334
.LBB14_3384:
	v_cmp_ne_u16_e32 vcc, 0, v14
	s_andn2_b64 s[4:5], s[4:5], exec
	s_and_b64 s[8:9], vcc, exec
	v_mov_b32_e32 v20, 0
	s_or_b64 s[4:5], s[4:5], s[8:9]
	s_or_b64 exec, exec, s[6:7]
	s_and_saveexec_b64 s[6:7], s[4:5]
	s_cbranch_execnz .LBB14_1335
	s_branch .LBB14_1336
.LBB14_3385:
	s_movk_i32 s4, 0x80
	v_cmp_eq_u16_sdwa s[12:13], v15, s4 src0_sel:BYTE_3 src1_sel:DWORD
	s_mov_b64 s[4:5], -1
                                        ; implicit-def: $sgpr10
	s_and_saveexec_b64 s[8:9], s[12:13]
; %bb.3386:
	s_mov_b32 s10, 0x7f800001
	s_xor_b64 s[4:5], exec, -1
; %bb.3387:
	s_or_b64 exec, exec, s[8:9]
	s_and_b64 s[4:5], s[4:5], exec
	s_or_saveexec_b64 s[6:7], s[6:7]
	v_mov_b32_e32 v10, s10
	s_xor_b64 exec, exec, s[6:7]
	s_cbranch_execz .LBB14_1338
.LBB14_3388:
	v_mov_b32_e32 v10, 0
	v_cmp_ne_u16_sdwa s[8:9], v15, v10 src0_sel:BYTE_3 src1_sel:DWORD
	s_andn2_b64 s[4:5], s[4:5], exec
	s_and_b64 s[8:9], s[8:9], exec
	s_or_b64 s[4:5], s[4:5], s[8:9]
	s_or_b64 exec, exec, s[6:7]
	s_and_saveexec_b64 s[6:7], s[4:5]
	s_cbranch_execnz .LBB14_1339
	s_branch .LBB14_1340
.LBB14_3389:
	s_movk_i32 s4, 0x80
	v_cmp_eq_u16_sdwa s[12:13], v11, s4 src0_sel:BYTE_3 src1_sel:DWORD
	s_mov_b64 s[4:5], -1
                                        ; implicit-def: $sgpr10
	s_and_saveexec_b64 s[8:9], s[12:13]
; %bb.3390:
	s_mov_b32 s10, 0x7f800001
	s_xor_b64 s[4:5], exec, -1
; %bb.3391:
	s_or_b64 exec, exec, s[8:9]
	s_and_b64 s[4:5], s[4:5], exec
	s_or_saveexec_b64 s[6:7], s[6:7]
	v_mov_b32_e32 v14, s10
	s_xor_b64 exec, exec, s[6:7]
	s_cbranch_execz .LBB14_1342
.LBB14_3392:
	v_mov_b32_e32 v14, 0
	v_cmp_ne_u16_sdwa s[8:9], v11, v14 src0_sel:BYTE_3 src1_sel:DWORD
	s_andn2_b64 s[4:5], s[4:5], exec
	s_and_b64 s[8:9], s[8:9], exec
	s_or_b64 s[4:5], s[4:5], s[8:9]
	s_or_b64 exec, exec, s[6:7]
	s_and_saveexec_b64 s[6:7], s[4:5]
	s_cbranch_execnz .LBB14_1343
	s_branch .LBB14_1344
.LBB14_3393:
	s_movk_i32 s4, 0x80
	v_cmp_eq_u16_sdwa s[12:13], v16, s4 src0_sel:BYTE_0 src1_sel:DWORD
	s_mov_b64 s[4:5], -1
                                        ; implicit-def: $sgpr10
	s_and_saveexec_b64 s[8:9], s[12:13]
; %bb.3394:
	s_mov_b32 s10, 0x7f800001
	s_xor_b64 s[4:5], exec, -1
; %bb.3395:
	s_or_b64 exec, exec, s[8:9]
	s_and_b64 s[4:5], s[4:5], exec
	s_or_saveexec_b64 s[6:7], s[6:7]
	v_mov_b32_e32 v10, s10
	s_xor_b64 exec, exec, s[6:7]
	s_cbranch_execz .LBB14_1346
.LBB14_3396:
	v_mov_b32_e32 v10, 0
	v_cmp_ne_u16_sdwa s[8:9], v16, v10 src0_sel:BYTE_0 src1_sel:DWORD
	s_andn2_b64 s[4:5], s[4:5], exec
	s_and_b64 s[8:9], s[8:9], exec
	s_or_b64 s[4:5], s[4:5], s[8:9]
	s_or_b64 exec, exec, s[6:7]
	s_and_saveexec_b64 s[6:7], s[4:5]
	s_cbranch_execnz .LBB14_1347
	s_branch .LBB14_1348
.LBB14_3397:
	s_movk_i32 s4, 0x80
	v_cmp_eq_u16_sdwa s[12:13], v12, s4 src0_sel:BYTE_0 src1_sel:DWORD
	s_mov_b64 s[4:5], -1
                                        ; implicit-def: $sgpr10
	s_and_saveexec_b64 s[8:9], s[12:13]
; %bb.3398:
	s_mov_b32 s10, 0x7f800001
	s_xor_b64 s[4:5], exec, -1
; %bb.3399:
	s_or_b64 exec, exec, s[8:9]
	s_and_b64 s[4:5], s[4:5], exec
	s_or_saveexec_b64 s[6:7], s[6:7]
	v_mov_b32_e32 v11, s10
	s_xor_b64 exec, exec, s[6:7]
	s_cbranch_execz .LBB14_1350
.LBB14_3400:
	v_mov_b32_e32 v11, 0
	v_cmp_ne_u16_sdwa s[8:9], v12, v11 src0_sel:BYTE_0 src1_sel:DWORD
	s_andn2_b64 s[4:5], s[4:5], exec
	s_and_b64 s[8:9], s[8:9], exec
	s_or_b64 s[4:5], s[4:5], s[8:9]
	s_or_b64 exec, exec, s[6:7]
	s_and_saveexec_b64 s[6:7], s[4:5]
	s_cbranch_execnz .LBB14_1351
	s_branch .LBB14_1352
.LBB14_3401:
	s_movk_i32 s4, 0x80
	v_cmp_eq_u16_sdwa s[12:13], v11, s4 src0_sel:BYTE_0 src1_sel:DWORD
	s_mov_b64 s[4:5], -1
                                        ; implicit-def: $sgpr10
	s_and_saveexec_b64 s[8:9], s[12:13]
; %bb.3402:
	s_mov_b32 s10, 0x7f800001
	s_xor_b64 s[4:5], exec, -1
; %bb.3403:
	s_or_b64 exec, exec, s[8:9]
	s_and_b64 s[4:5], s[4:5], exec
	s_or_saveexec_b64 s[6:7], s[6:7]
	v_mov_b32_e32 v10, s10
	s_xor_b64 exec, exec, s[6:7]
	s_cbranch_execz .LBB14_1354
.LBB14_3404:
	v_mov_b32_e32 v10, 0
	v_cmp_ne_u16_sdwa s[8:9], v11, v10 src0_sel:BYTE_0 src1_sel:DWORD
	s_andn2_b64 s[4:5], s[4:5], exec
	s_and_b64 s[8:9], s[8:9], exec
	s_or_b64 s[4:5], s[4:5], s[8:9]
	s_or_b64 exec, exec, s[6:7]
	s_and_saveexec_b64 s[6:7], s[4:5]
	s_cbranch_execnz .LBB14_1355
	s_branch .LBB14_1356
.LBB14_3405:
	s_movk_i32 s4, 0x80
	v_cmp_eq_u16_sdwa s[12:13], v11, s4 src0_sel:BYTE_0 src1_sel:DWORD
	s_mov_b64 s[4:5], -1
                                        ; implicit-def: $sgpr10
	s_and_saveexec_b64 s[8:9], s[12:13]
; %bb.3406:
	s_mov_b32 s10, 0x7f800001
	s_xor_b64 s[4:5], exec, -1
; %bb.3407:
	s_or_b64 exec, exec, s[8:9]
	s_and_b64 s[4:5], s[4:5], exec
	s_or_saveexec_b64 s[6:7], s[6:7]
	v_mov_b32_e32 v14, s10
	s_xor_b64 exec, exec, s[6:7]
	s_cbranch_execz .LBB14_1358
.LBB14_3408:
	v_mov_b32_e32 v14, 0
	v_cmp_ne_u16_sdwa s[8:9], v11, v14 src0_sel:BYTE_0 src1_sel:DWORD
	s_andn2_b64 s[4:5], s[4:5], exec
	s_and_b64 s[8:9], s[8:9], exec
	s_or_b64 s[4:5], s[4:5], s[8:9]
	s_or_b64 exec, exec, s[6:7]
	s_and_saveexec_b64 s[6:7], s[4:5]
	s_cbranch_execnz .LBB14_1359
	s_branch .LBB14_1360
.LBB14_3409:
	s_movk_i32 s4, 0x80
	v_cmp_eq_u16_e32 vcc, s4, v11
	s_mov_b64 s[4:5], -1
                                        ; implicit-def: $sgpr10
	s_and_saveexec_b64 s[8:9], vcc
; %bb.3410:
	s_mov_b32 s10, 0x7f800001
	s_xor_b64 s[4:5], exec, -1
; %bb.3411:
	s_or_b64 exec, exec, s[8:9]
	s_and_b64 s[4:5], s[4:5], exec
                                        ; implicit-def: $vgpr11
	s_or_saveexec_b64 s[6:7], s[6:7]
	v_mov_b32_e32 v10, s10
	s_xor_b64 exec, exec, s[6:7]
	s_cbranch_execz .LBB14_1362
.LBB14_3412:
	v_cmp_ne_u16_e32 vcc, 0, v11
	s_andn2_b64 s[4:5], s[4:5], exec
	s_and_b64 s[8:9], vcc, exec
	v_mov_b32_e32 v10, 0
	s_or_b64 s[4:5], s[4:5], s[8:9]
	s_or_b64 exec, exec, s[6:7]
	s_and_saveexec_b64 s[6:7], s[4:5]
	s_cbranch_execnz .LBB14_1363
	s_branch .LBB14_1364
.LBB14_3413:
	s_movk_i32 s4, 0x80
	v_cmp_eq_u16_e32 vcc, s4, v11
	s_mov_b64 s[4:5], -1
                                        ; implicit-def: $sgpr10
	s_and_saveexec_b64 s[8:9], vcc
; %bb.3414:
	s_mov_b32 s10, 0x7f800001
	s_xor_b64 s[4:5], exec, -1
; %bb.3415:
	s_or_b64 exec, exec, s[8:9]
	s_and_b64 s[4:5], s[4:5], exec
                                        ; implicit-def: $vgpr11
	s_or_saveexec_b64 s[6:7], s[6:7]
	v_mov_b32_e32 v14, s10
	s_xor_b64 exec, exec, s[6:7]
	s_cbranch_execz .LBB14_1366
.LBB14_3416:
	v_cmp_ne_u16_e32 vcc, 0, v11
	s_andn2_b64 s[4:5], s[4:5], exec
	s_and_b64 s[8:9], vcc, exec
	v_mov_b32_e32 v14, 0
	s_or_b64 s[4:5], s[4:5], s[8:9]
	s_or_b64 exec, exec, s[6:7]
	s_and_saveexec_b64 s[6:7], s[4:5]
	s_cbranch_execnz .LBB14_1367
	s_branch .LBB14_1368
.LBB14_3417:
	s_movk_i32 s4, 0x80
	v_cmp_eq_u16_sdwa s[12:13], v16, s4 src0_sel:BYTE_3 src1_sel:DWORD
	s_mov_b64 s[4:5], -1
                                        ; implicit-def: $sgpr10
	s_and_saveexec_b64 s[8:9], s[12:13]
; %bb.3418:
	s_mov_b32 s10, 0x7f800001
	s_xor_b64 s[4:5], exec, -1
; %bb.3419:
	s_or_b64 exec, exec, s[8:9]
	s_and_b64 s[4:5], s[4:5], exec
	s_or_saveexec_b64 s[6:7], s[6:7]
	v_mov_b32_e32 v10, s10
	s_xor_b64 exec, exec, s[6:7]
	s_cbranch_execz .LBB14_1370
.LBB14_3420:
	v_mov_b32_e32 v10, 0
	v_cmp_ne_u16_sdwa s[8:9], v16, v10 src0_sel:BYTE_3 src1_sel:DWORD
	s_andn2_b64 s[4:5], s[4:5], exec
	s_and_b64 s[8:9], s[8:9], exec
	s_or_b64 s[4:5], s[4:5], s[8:9]
	s_or_b64 exec, exec, s[6:7]
	s_and_saveexec_b64 s[6:7], s[4:5]
	s_cbranch_execnz .LBB14_1371
	s_branch .LBB14_1372
.LBB14_3421:
	s_movk_i32 s4, 0x80
	v_cmp_eq_u16_sdwa s[12:13], v12, s4 src0_sel:BYTE_3 src1_sel:DWORD
	s_mov_b64 s[4:5], -1
                                        ; implicit-def: $sgpr10
	s_and_saveexec_b64 s[8:9], s[12:13]
; %bb.3422:
	s_mov_b32 s10, 0x7f800001
	s_xor_b64 s[4:5], exec, -1
; %bb.3423:
	s_or_b64 exec, exec, s[8:9]
	s_and_b64 s[4:5], s[4:5], exec
	s_or_saveexec_b64 s[6:7], s[6:7]
	v_mov_b32_e32 v11, s10
	s_xor_b64 exec, exec, s[6:7]
	s_cbranch_execz .LBB14_1374
.LBB14_3424:
	v_mov_b32_e32 v11, 0
	v_cmp_ne_u16_sdwa s[8:9], v12, v11 src0_sel:BYTE_3 src1_sel:DWORD
	s_andn2_b64 s[4:5], s[4:5], exec
	s_and_b64 s[8:9], s[8:9], exec
	s_or_b64 s[4:5], s[4:5], s[8:9]
	s_or_b64 exec, exec, s[6:7]
	s_and_saveexec_b64 s[6:7], s[4:5]
	s_cbranch_execnz .LBB14_1375
	s_branch .LBB14_1376
.LBB14_3425:
	s_movk_i32 s4, 0x80
	v_cmp_eq_u16_sdwa s[12:13], v17, s4 src0_sel:BYTE_0 src1_sel:DWORD
	s_mov_b64 s[4:5], -1
                                        ; implicit-def: $sgpr10
	s_and_saveexec_b64 s[8:9], s[12:13]
; %bb.3426:
	s_mov_b32 s10, 0x7f800001
	s_xor_b64 s[4:5], exec, -1
; %bb.3427:
	s_or_b64 exec, exec, s[8:9]
	s_and_b64 s[4:5], s[4:5], exec
	s_or_saveexec_b64 s[6:7], s[6:7]
	v_mov_b32_e32 v10, s10
	s_xor_b64 exec, exec, s[6:7]
	s_cbranch_execz .LBB14_1378
.LBB14_3428:
	v_mov_b32_e32 v10, 0
	v_cmp_ne_u16_sdwa s[8:9], v17, v10 src0_sel:BYTE_0 src1_sel:DWORD
	s_andn2_b64 s[4:5], s[4:5], exec
	s_and_b64 s[8:9], s[8:9], exec
	s_or_b64 s[4:5], s[4:5], s[8:9]
	s_or_b64 exec, exec, s[6:7]
	s_and_saveexec_b64 s[6:7], s[4:5]
	s_cbranch_execnz .LBB14_1379
	s_branch .LBB14_1380
.LBB14_3429:
	s_movk_i32 s4, 0x80
	v_cmp_eq_u16_sdwa s[12:13], v13, s4 src0_sel:BYTE_0 src1_sel:DWORD
	s_mov_b64 s[4:5], -1
                                        ; implicit-def: $sgpr10
	s_and_saveexec_b64 s[8:9], s[12:13]
; %bb.3430:
	s_mov_b32 s10, 0x7f800001
	s_xor_b64 s[4:5], exec, -1
; %bb.3431:
	s_or_b64 exec, exec, s[8:9]
	s_and_b64 s[4:5], s[4:5], exec
	s_or_saveexec_b64 s[6:7], s[6:7]
	v_mov_b32_e32 v11, s10
	s_xor_b64 exec, exec, s[6:7]
	s_cbranch_execz .LBB14_1382
.LBB14_3432:
	v_mov_b32_e32 v11, 0
	v_cmp_ne_u16_sdwa s[8:9], v13, v11 src0_sel:BYTE_0 src1_sel:DWORD
	s_andn2_b64 s[4:5], s[4:5], exec
	s_and_b64 s[8:9], s[8:9], exec
	s_or_b64 s[4:5], s[4:5], s[8:9]
	s_or_b64 exec, exec, s[6:7]
	s_and_saveexec_b64 s[6:7], s[4:5]
	s_cbranch_execnz .LBB14_1383
	s_branch .LBB14_1384
.LBB14_3433:
	s_movk_i32 s4, 0x80
	v_cmp_eq_u16_sdwa s[12:13], v11, s4 src0_sel:BYTE_0 src1_sel:DWORD
	s_mov_b64 s[4:5], -1
                                        ; implicit-def: $sgpr10
	s_and_saveexec_b64 s[8:9], s[12:13]
; %bb.3434:
	s_mov_b32 s10, 0x7f800001
	s_xor_b64 s[4:5], exec, -1
; %bb.3435:
	s_or_b64 exec, exec, s[8:9]
	s_and_b64 s[4:5], s[4:5], exec
	s_or_saveexec_b64 s[6:7], s[6:7]
	v_mov_b32_e32 v10, s10
	s_xor_b64 exec, exec, s[6:7]
	s_cbranch_execz .LBB14_1386
.LBB14_3436:
	v_mov_b32_e32 v10, 0
	v_cmp_ne_u16_sdwa s[8:9], v11, v10 src0_sel:BYTE_0 src1_sel:DWORD
	s_andn2_b64 s[4:5], s[4:5], exec
	s_and_b64 s[8:9], s[8:9], exec
	s_or_b64 s[4:5], s[4:5], s[8:9]
	s_or_b64 exec, exec, s[6:7]
	s_and_saveexec_b64 s[6:7], s[4:5]
	s_cbranch_execnz .LBB14_1387
	s_branch .LBB14_1388
.LBB14_3437:
	s_movk_i32 s4, 0x80
	v_cmp_eq_u16_sdwa s[12:13], v11, s4 src0_sel:BYTE_0 src1_sel:DWORD
	s_mov_b64 s[4:5], -1
                                        ; implicit-def: $sgpr10
	s_and_saveexec_b64 s[8:9], s[12:13]
; %bb.3438:
	s_mov_b32 s10, 0x7f800001
	s_xor_b64 s[4:5], exec, -1
; %bb.3439:
	s_or_b64 exec, exec, s[8:9]
	s_and_b64 s[4:5], s[4:5], exec
	s_or_saveexec_b64 s[6:7], s[6:7]
	v_mov_b32_e32 v12, s10
	s_xor_b64 exec, exec, s[6:7]
	s_cbranch_execz .LBB14_1390
.LBB14_3440:
	v_mov_b32_e32 v12, 0
	v_cmp_ne_u16_sdwa s[8:9], v11, v12 src0_sel:BYTE_0 src1_sel:DWORD
	s_andn2_b64 s[4:5], s[4:5], exec
	s_and_b64 s[8:9], s[8:9], exec
	s_or_b64 s[4:5], s[4:5], s[8:9]
	s_or_b64 exec, exec, s[6:7]
	s_and_saveexec_b64 s[6:7], s[4:5]
	s_cbranch_execnz .LBB14_1391
	s_branch .LBB14_1392
.LBB14_3441:
	s_movk_i32 s4, 0x80
	v_cmp_eq_u16_e32 vcc, s4, v11
	s_mov_b64 s[4:5], -1
                                        ; implicit-def: $sgpr10
	s_and_saveexec_b64 s[8:9], vcc
; %bb.3442:
	s_mov_b32 s10, 0x7f800001
	s_xor_b64 s[4:5], exec, -1
; %bb.3443:
	s_or_b64 exec, exec, s[8:9]
	s_and_b64 s[4:5], s[4:5], exec
                                        ; implicit-def: $vgpr11
	s_or_saveexec_b64 s[6:7], s[6:7]
	v_mov_b32_e32 v10, s10
	s_xor_b64 exec, exec, s[6:7]
	s_cbranch_execz .LBB14_1394
.LBB14_3444:
	v_cmp_ne_u16_e32 vcc, 0, v11
	s_andn2_b64 s[4:5], s[4:5], exec
	s_and_b64 s[8:9], vcc, exec
	v_mov_b32_e32 v10, 0
	s_or_b64 s[4:5], s[4:5], s[8:9]
	s_or_b64 exec, exec, s[6:7]
	s_and_saveexec_b64 s[6:7], s[4:5]
	s_cbranch_execnz .LBB14_1395
	s_branch .LBB14_1396
.LBB14_3445:
	s_movk_i32 s4, 0x80
	v_cmp_eq_u16_e32 vcc, s4, v11
	s_mov_b64 s[4:5], -1
                                        ; implicit-def: $sgpr10
	s_and_saveexec_b64 s[8:9], vcc
; %bb.3446:
	s_mov_b32 s10, 0x7f800001
	s_xor_b64 s[4:5], exec, -1
; %bb.3447:
	s_or_b64 exec, exec, s[8:9]
	s_and_b64 s[4:5], s[4:5], exec
                                        ; implicit-def: $vgpr11
	s_or_saveexec_b64 s[6:7], s[6:7]
	v_mov_b32_e32 v12, s10
	s_xor_b64 exec, exec, s[6:7]
	s_cbranch_execz .LBB14_1398
.LBB14_3448:
	v_cmp_ne_u16_e32 vcc, 0, v11
	s_andn2_b64 s[4:5], s[4:5], exec
	s_and_b64 s[8:9], vcc, exec
	v_mov_b32_e32 v12, 0
	s_or_b64 s[4:5], s[4:5], s[8:9]
	s_or_b64 exec, exec, s[6:7]
	s_and_saveexec_b64 s[6:7], s[4:5]
	s_cbranch_execnz .LBB14_1399
	s_branch .LBB14_1400
.LBB14_3449:
	s_movk_i32 s4, 0x80
	v_cmp_eq_u16_sdwa s[12:13], v17, s4 src0_sel:BYTE_3 src1_sel:DWORD
	s_mov_b64 s[4:5], -1
                                        ; implicit-def: $sgpr10
	s_and_saveexec_b64 s[8:9], s[12:13]
; %bb.3450:
	s_mov_b32 s10, 0x7f800001
	s_xor_b64 s[4:5], exec, -1
; %bb.3451:
	s_or_b64 exec, exec, s[8:9]
	s_and_b64 s[4:5], s[4:5], exec
	s_or_saveexec_b64 s[6:7], s[6:7]
	v_mov_b32_e32 v10, s10
	s_xor_b64 exec, exec, s[6:7]
	s_cbranch_execz .LBB14_1402
.LBB14_3452:
	v_mov_b32_e32 v10, 0
	v_cmp_ne_u16_sdwa s[8:9], v17, v10 src0_sel:BYTE_3 src1_sel:DWORD
	s_andn2_b64 s[4:5], s[4:5], exec
	s_and_b64 s[8:9], s[8:9], exec
	s_or_b64 s[4:5], s[4:5], s[8:9]
	s_or_b64 exec, exec, s[6:7]
	s_and_saveexec_b64 s[6:7], s[4:5]
	s_cbranch_execnz .LBB14_1403
	s_branch .LBB14_1404
.LBB14_3453:
	s_movk_i32 s4, 0x80
	v_cmp_eq_u16_sdwa s[12:13], v13, s4 src0_sel:BYTE_3 src1_sel:DWORD
	s_mov_b64 s[4:5], -1
                                        ; implicit-def: $sgpr10
	s_and_saveexec_b64 s[8:9], s[12:13]
; %bb.3454:
	s_mov_b32 s10, 0x7f800001
	s_xor_b64 s[4:5], exec, -1
; %bb.3455:
	s_or_b64 exec, exec, s[8:9]
	s_and_b64 s[4:5], s[4:5], exec
	s_or_saveexec_b64 s[6:7], s[6:7]
	v_mov_b32_e32 v11, s10
	s_xor_b64 exec, exec, s[6:7]
	s_cbranch_execz .LBB14_1406
.LBB14_3456:
	v_mov_b32_e32 v11, 0
	v_cmp_ne_u16_sdwa s[8:9], v13, v11 src0_sel:BYTE_3 src1_sel:DWORD
	s_andn2_b64 s[4:5], s[4:5], exec
	s_and_b64 s[8:9], s[8:9], exec
	s_or_b64 s[4:5], s[4:5], s[8:9]
	s_or_b64 exec, exec, s[6:7]
	s_and_saveexec_b64 s[6:7], s[4:5]
	s_cbranch_execnz .LBB14_1407
	s_branch .LBB14_1408
.LBB14_3457:
	s_movk_i32 s4, 0x80
	v_cmp_eq_u16_sdwa s[12:13], v6, s4 src0_sel:BYTE_0 src1_sel:DWORD
	s_mov_b64 s[4:5], -1
                                        ; implicit-def: $sgpr10
	s_and_saveexec_b64 s[8:9], s[12:13]
; %bb.3458:
	s_mov_b32 s10, 0x7f800001
	s_xor_b64 s[4:5], exec, -1
; %bb.3459:
	s_or_b64 exec, exec, s[8:9]
	s_and_b64 s[4:5], s[4:5], exec
	s_or_saveexec_b64 s[6:7], s[6:7]
	v_mov_b32_e32 v10, s10
	s_xor_b64 exec, exec, s[6:7]
	s_cbranch_execz .LBB14_1410
.LBB14_3460:
	v_mov_b32_e32 v10, 0
	v_cmp_ne_u16_sdwa s[8:9], v6, v10 src0_sel:BYTE_0 src1_sel:DWORD
	s_andn2_b64 s[4:5], s[4:5], exec
	s_and_b64 s[8:9], s[8:9], exec
	s_or_b64 s[4:5], s[4:5], s[8:9]
	s_or_b64 exec, exec, s[6:7]
	s_and_saveexec_b64 s[6:7], s[4:5]
	s_cbranch_execnz .LBB14_1411
	s_branch .LBB14_1412
.LBB14_3461:
	s_movk_i32 s4, 0x80
	v_cmp_eq_u16_sdwa s[12:13], v2, s4 src0_sel:BYTE_0 src1_sel:DWORD
	s_mov_b64 s[4:5], -1
                                        ; implicit-def: $sgpr10
	s_and_saveexec_b64 s[8:9], s[12:13]
; %bb.3462:
	s_mov_b32 s10, 0x7f800001
	s_xor_b64 s[4:5], exec, -1
; %bb.3463:
	s_or_b64 exec, exec, s[8:9]
	s_and_b64 s[4:5], s[4:5], exec
	s_or_saveexec_b64 s[6:7], s[6:7]
	v_mov_b32_e32 v11, s10
	s_xor_b64 exec, exec, s[6:7]
	s_cbranch_execz .LBB14_1414
.LBB14_3464:
	v_mov_b32_e32 v11, 0
	v_cmp_ne_u16_sdwa s[8:9], v2, v11 src0_sel:BYTE_0 src1_sel:DWORD
	s_andn2_b64 s[4:5], s[4:5], exec
	s_and_b64 s[8:9], s[8:9], exec
	s_or_b64 s[4:5], s[4:5], s[8:9]
	s_or_b64 exec, exec, s[6:7]
	s_and_saveexec_b64 s[6:7], s[4:5]
	s_cbranch_execnz .LBB14_1415
	s_branch .LBB14_1416
.LBB14_3465:
	s_movk_i32 s4, 0x80
	v_cmp_eq_u16_sdwa s[12:13], v11, s4 src0_sel:BYTE_0 src1_sel:DWORD
	s_mov_b64 s[4:5], -1
                                        ; implicit-def: $sgpr10
	s_and_saveexec_b64 s[8:9], s[12:13]
; %bb.3466:
	s_mov_b32 s10, 0x7f800001
	s_xor_b64 s[4:5], exec, -1
; %bb.3467:
	s_or_b64 exec, exec, s[8:9]
	s_and_b64 s[4:5], s[4:5], exec
	s_or_saveexec_b64 s[6:7], s[6:7]
	v_mov_b32_e32 v10, s10
	s_xor_b64 exec, exec, s[6:7]
	s_cbranch_execz .LBB14_1418
.LBB14_3468:
	v_mov_b32_e32 v10, 0
	v_cmp_ne_u16_sdwa s[8:9], v11, v10 src0_sel:BYTE_0 src1_sel:DWORD
	s_andn2_b64 s[4:5], s[4:5], exec
	s_and_b64 s[8:9], s[8:9], exec
	s_or_b64 s[4:5], s[4:5], s[8:9]
	s_or_b64 exec, exec, s[6:7]
	s_and_saveexec_b64 s[6:7], s[4:5]
	s_cbranch_execnz .LBB14_1419
	s_branch .LBB14_1420
.LBB14_3469:
	s_movk_i32 s4, 0x80
	v_cmp_eq_u16_sdwa s[12:13], v11, s4 src0_sel:BYTE_0 src1_sel:DWORD
	s_mov_b64 s[4:5], -1
                                        ; implicit-def: $sgpr10
	s_and_saveexec_b64 s[8:9], s[12:13]
; %bb.3470:
	s_mov_b32 s10, 0x7f800001
	s_xor_b64 s[4:5], exec, -1
; %bb.3471:
	s_or_b64 exec, exec, s[8:9]
	s_and_b64 s[4:5], s[4:5], exec
	s_or_saveexec_b64 s[6:7], s[6:7]
	v_mov_b32_e32 v12, s10
	s_xor_b64 exec, exec, s[6:7]
	s_cbranch_execz .LBB14_1422
.LBB14_3472:
	v_mov_b32_e32 v12, 0
	v_cmp_ne_u16_sdwa s[8:9], v11, v12 src0_sel:BYTE_0 src1_sel:DWORD
	s_andn2_b64 s[4:5], s[4:5], exec
	s_and_b64 s[8:9], s[8:9], exec
	s_or_b64 s[4:5], s[4:5], s[8:9]
	s_or_b64 exec, exec, s[6:7]
	s_and_saveexec_b64 s[6:7], s[4:5]
	s_cbranch_execnz .LBB14_1423
	s_branch .LBB14_1424
.LBB14_3473:
	s_movk_i32 s4, 0x80
	v_cmp_eq_u16_e32 vcc, s4, v11
	s_mov_b64 s[4:5], -1
                                        ; implicit-def: $sgpr10
	s_and_saveexec_b64 s[8:9], vcc
; %bb.3474:
	s_mov_b32 s10, 0x7f800001
	s_xor_b64 s[4:5], exec, -1
; %bb.3475:
	s_or_b64 exec, exec, s[8:9]
	s_and_b64 s[4:5], s[4:5], exec
                                        ; implicit-def: $vgpr11
	s_or_saveexec_b64 s[6:7], s[6:7]
	v_mov_b32_e32 v10, s10
	s_xor_b64 exec, exec, s[6:7]
	s_cbranch_execz .LBB14_1426
.LBB14_3476:
	v_cmp_ne_u16_e32 vcc, 0, v11
	s_andn2_b64 s[4:5], s[4:5], exec
	s_and_b64 s[8:9], vcc, exec
	v_mov_b32_e32 v10, 0
	s_or_b64 s[4:5], s[4:5], s[8:9]
	s_or_b64 exec, exec, s[6:7]
	s_and_saveexec_b64 s[6:7], s[4:5]
	s_cbranch_execnz .LBB14_1427
	s_branch .LBB14_1428
.LBB14_3477:
	s_movk_i32 s4, 0x80
	v_cmp_eq_u16_e32 vcc, s4, v11
	s_mov_b64 s[4:5], -1
                                        ; implicit-def: $sgpr10
	s_and_saveexec_b64 s[8:9], vcc
; %bb.3478:
	s_mov_b32 s10, 0x7f800001
	s_xor_b64 s[4:5], exec, -1
; %bb.3479:
	s_or_b64 exec, exec, s[8:9]
	s_and_b64 s[4:5], s[4:5], exec
                                        ; implicit-def: $vgpr11
	s_or_saveexec_b64 s[6:7], s[6:7]
	v_mov_b32_e32 v12, s10
	s_xor_b64 exec, exec, s[6:7]
	s_cbranch_execz .LBB14_1430
.LBB14_3480:
	v_cmp_ne_u16_e32 vcc, 0, v11
	s_andn2_b64 s[4:5], s[4:5], exec
	s_and_b64 s[8:9], vcc, exec
	v_mov_b32_e32 v12, 0
	s_or_b64 s[4:5], s[4:5], s[8:9]
	s_or_b64 exec, exec, s[6:7]
	s_and_saveexec_b64 s[6:7], s[4:5]
	s_cbranch_execnz .LBB14_1431
	s_branch .LBB14_1432
.LBB14_3481:
	s_movk_i32 s4, 0x80
	v_cmp_eq_u16_sdwa s[12:13], v6, s4 src0_sel:BYTE_3 src1_sel:DWORD
	s_mov_b64 s[4:5], -1
                                        ; implicit-def: $sgpr10
	s_and_saveexec_b64 s[8:9], s[12:13]
; %bb.3482:
	s_mov_b32 s10, 0x7f800001
	s_xor_b64 s[4:5], exec, -1
; %bb.3483:
	s_or_b64 exec, exec, s[8:9]
	s_and_b64 s[4:5], s[4:5], exec
	s_or_saveexec_b64 s[6:7], s[6:7]
	v_mov_b32_e32 v10, s10
	s_xor_b64 exec, exec, s[6:7]
	s_cbranch_execz .LBB14_1434
.LBB14_3484:
	v_mov_b32_e32 v10, 0
	v_cmp_ne_u16_sdwa s[8:9], v6, v10 src0_sel:BYTE_3 src1_sel:DWORD
	s_andn2_b64 s[4:5], s[4:5], exec
	s_and_b64 s[8:9], s[8:9], exec
	s_or_b64 s[4:5], s[4:5], s[8:9]
	s_or_b64 exec, exec, s[6:7]
	s_and_saveexec_b64 s[6:7], s[4:5]
	s_cbranch_execnz .LBB14_1435
	s_branch .LBB14_1436
.LBB14_3485:
	s_movk_i32 s4, 0x80
	v_cmp_eq_u16_sdwa s[12:13], v2, s4 src0_sel:BYTE_3 src1_sel:DWORD
	s_mov_b64 s[4:5], -1
                                        ; implicit-def: $sgpr10
	s_and_saveexec_b64 s[8:9], s[12:13]
; %bb.3486:
	s_mov_b32 s10, 0x7f800001
	s_xor_b64 s[4:5], exec, -1
; %bb.3487:
	s_or_b64 exec, exec, s[8:9]
	s_and_b64 s[4:5], s[4:5], exec
	s_or_saveexec_b64 s[6:7], s[6:7]
	v_mov_b32_e32 v6, s10
	s_xor_b64 exec, exec, s[6:7]
	s_cbranch_execz .LBB14_1438
.LBB14_3488:
	v_mov_b32_e32 v6, 0
	v_cmp_ne_u16_sdwa s[8:9], v2, v6 src0_sel:BYTE_3 src1_sel:DWORD
	s_andn2_b64 s[4:5], s[4:5], exec
	s_and_b64 s[8:9], s[8:9], exec
	s_or_b64 s[4:5], s[4:5], s[8:9]
	s_or_b64 exec, exec, s[6:7]
	s_and_saveexec_b64 s[6:7], s[4:5]
	s_cbranch_execnz .LBB14_1439
	s_branch .LBB14_1440
.LBB14_3489:
	s_movk_i32 s4, 0x80
	v_cmp_eq_u16_sdwa s[12:13], v7, s4 src0_sel:BYTE_0 src1_sel:DWORD
	s_mov_b64 s[4:5], -1
                                        ; implicit-def: $sgpr10
	s_and_saveexec_b64 s[8:9], s[12:13]
; %bb.3490:
	s_mov_b32 s10, 0x7f800001
	s_xor_b64 s[4:5], exec, -1
; %bb.3491:
	s_or_b64 exec, exec, s[8:9]
	s_and_b64 s[4:5], s[4:5], exec
	s_or_saveexec_b64 s[6:7], s[6:7]
	v_mov_b32_e32 v2, s10
	s_xor_b64 exec, exec, s[6:7]
	s_cbranch_execz .LBB14_1442
.LBB14_3492:
	v_mov_b32_e32 v2, 0
	v_cmp_ne_u16_sdwa s[8:9], v7, v2 src0_sel:BYTE_0 src1_sel:DWORD
	s_andn2_b64 s[4:5], s[4:5], exec
	s_and_b64 s[8:9], s[8:9], exec
	s_or_b64 s[4:5], s[4:5], s[8:9]
	s_or_b64 exec, exec, s[6:7]
	s_and_saveexec_b64 s[6:7], s[4:5]
	s_cbranch_execnz .LBB14_1443
	s_branch .LBB14_1444
.LBB14_3493:
	s_movk_i32 s4, 0x80
	v_cmp_eq_u16_sdwa s[12:13], v3, s4 src0_sel:BYTE_0 src1_sel:DWORD
	s_mov_b64 s[4:5], -1
                                        ; implicit-def: $sgpr10
	s_and_saveexec_b64 s[8:9], s[12:13]
; %bb.3494:
	s_mov_b32 s10, 0x7f800001
	s_xor_b64 s[4:5], exec, -1
; %bb.3495:
	s_or_b64 exec, exec, s[8:9]
	s_and_b64 s[4:5], s[4:5], exec
	s_or_saveexec_b64 s[6:7], s[6:7]
	v_mov_b32_e32 v6, s10
	s_xor_b64 exec, exec, s[6:7]
	s_cbranch_execz .LBB14_1446
.LBB14_3496:
	v_mov_b32_e32 v6, 0
	v_cmp_ne_u16_sdwa s[8:9], v3, v6 src0_sel:BYTE_0 src1_sel:DWORD
	s_andn2_b64 s[4:5], s[4:5], exec
	s_and_b64 s[8:9], s[8:9], exec
	s_or_b64 s[4:5], s[4:5], s[8:9]
	s_or_b64 exec, exec, s[6:7]
	s_and_saveexec_b64 s[6:7], s[4:5]
	s_cbranch_execnz .LBB14_1447
	s_branch .LBB14_1448
.LBB14_3497:
	s_movk_i32 s4, 0x80
	v_cmp_eq_u16_sdwa s[12:13], v6, s4 src0_sel:BYTE_0 src1_sel:DWORD
	s_mov_b64 s[4:5], -1
                                        ; implicit-def: $sgpr10
	s_and_saveexec_b64 s[8:9], s[12:13]
; %bb.3498:
	s_mov_b32 s10, 0x7f800001
	s_xor_b64 s[4:5], exec, -1
; %bb.3499:
	s_or_b64 exec, exec, s[8:9]
	s_and_b64 s[4:5], s[4:5], exec
	s_or_saveexec_b64 s[6:7], s[6:7]
	v_mov_b32_e32 v2, s10
	s_xor_b64 exec, exec, s[6:7]
	s_cbranch_execz .LBB14_1450
.LBB14_3500:
	v_mov_b32_e32 v2, 0
	v_cmp_ne_u16_sdwa s[8:9], v6, v2 src0_sel:BYTE_0 src1_sel:DWORD
	s_andn2_b64 s[4:5], s[4:5], exec
	s_and_b64 s[8:9], s[8:9], exec
	s_or_b64 s[4:5], s[4:5], s[8:9]
	s_or_b64 exec, exec, s[6:7]
	s_and_saveexec_b64 s[6:7], s[4:5]
	s_cbranch_execnz .LBB14_1451
	s_branch .LBB14_1452
.LBB14_3501:
	s_movk_i32 s4, 0x80
	v_cmp_eq_u16_sdwa s[12:13], v6, s4 src0_sel:BYTE_0 src1_sel:DWORD
	s_mov_b64 s[4:5], -1
                                        ; implicit-def: $sgpr10
	s_and_saveexec_b64 s[8:9], s[12:13]
; %bb.3502:
	s_mov_b32 s10, 0x7f800001
	s_xor_b64 s[4:5], exec, -1
; %bb.3503:
	s_or_b64 exec, exec, s[8:9]
	s_and_b64 s[4:5], s[4:5], exec
	s_or_saveexec_b64 s[6:7], s[6:7]
	v_mov_b32_e32 v10, s10
	s_xor_b64 exec, exec, s[6:7]
	s_cbranch_execz .LBB14_1454
.LBB14_3504:
	v_mov_b32_e32 v10, 0
	v_cmp_ne_u16_sdwa s[8:9], v6, v10 src0_sel:BYTE_0 src1_sel:DWORD
	s_andn2_b64 s[4:5], s[4:5], exec
	s_and_b64 s[8:9], s[8:9], exec
	s_or_b64 s[4:5], s[4:5], s[8:9]
	s_or_b64 exec, exec, s[6:7]
	s_and_saveexec_b64 s[6:7], s[4:5]
	s_cbranch_execnz .LBB14_1455
	s_branch .LBB14_1456
.LBB14_3505:
	s_movk_i32 s4, 0x80
	v_cmp_eq_u16_e32 vcc, s4, v6
	s_mov_b64 s[4:5], -1
                                        ; implicit-def: $sgpr10
	s_and_saveexec_b64 s[8:9], vcc
; %bb.3506:
	s_mov_b32 s10, 0x7f800001
	s_xor_b64 s[4:5], exec, -1
; %bb.3507:
	s_or_b64 exec, exec, s[8:9]
	s_and_b64 s[4:5], s[4:5], exec
                                        ; implicit-def: $vgpr6
	s_or_saveexec_b64 s[6:7], s[6:7]
	v_mov_b32_e32 v2, s10
	s_xor_b64 exec, exec, s[6:7]
	s_cbranch_execz .LBB14_1458
.LBB14_3508:
	v_cmp_ne_u16_e32 vcc, 0, v6
	s_andn2_b64 s[4:5], s[4:5], exec
	s_and_b64 s[8:9], vcc, exec
	v_mov_b32_e32 v2, 0
	s_or_b64 s[4:5], s[4:5], s[8:9]
	s_or_b64 exec, exec, s[6:7]
	s_and_saveexec_b64 s[6:7], s[4:5]
	s_cbranch_execnz .LBB14_1459
	s_branch .LBB14_1460
.LBB14_3509:
	s_movk_i32 s4, 0x80
	v_cmp_eq_u16_e32 vcc, s4, v6
	s_mov_b64 s[4:5], -1
                                        ; implicit-def: $sgpr10
	s_and_saveexec_b64 s[8:9], vcc
; %bb.3510:
	s_mov_b32 s10, 0x7f800001
	s_xor_b64 s[4:5], exec, -1
; %bb.3511:
	s_or_b64 exec, exec, s[8:9]
	s_and_b64 s[4:5], s[4:5], exec
                                        ; implicit-def: $vgpr6
	s_or_saveexec_b64 s[6:7], s[6:7]
	v_mov_b32_e32 v10, s10
	s_xor_b64 exec, exec, s[6:7]
	s_cbranch_execz .LBB14_1462
.LBB14_3512:
	v_cmp_ne_u16_e32 vcc, 0, v6
	s_andn2_b64 s[4:5], s[4:5], exec
	s_and_b64 s[8:9], vcc, exec
	v_mov_b32_e32 v10, 0
	s_or_b64 s[4:5], s[4:5], s[8:9]
	s_or_b64 exec, exec, s[6:7]
	s_and_saveexec_b64 s[6:7], s[4:5]
	s_cbranch_execnz .LBB14_1463
	s_branch .LBB14_1464
.LBB14_3513:
	s_movk_i32 s4, 0x80
	v_cmp_eq_u16_sdwa s[12:13], v7, s4 src0_sel:BYTE_3 src1_sel:DWORD
	s_mov_b64 s[4:5], -1
                                        ; implicit-def: $sgpr10
	s_and_saveexec_b64 s[8:9], s[12:13]
; %bb.3514:
	s_mov_b32 s10, 0x7f800001
	s_xor_b64 s[4:5], exec, -1
; %bb.3515:
	s_or_b64 exec, exec, s[8:9]
	s_and_b64 s[4:5], s[4:5], exec
	s_or_saveexec_b64 s[6:7], s[6:7]
	v_mov_b32_e32 v2, s10
	s_xor_b64 exec, exec, s[6:7]
	s_cbranch_execz .LBB14_1466
.LBB14_3516:
	v_mov_b32_e32 v2, 0
	v_cmp_ne_u16_sdwa s[8:9], v7, v2 src0_sel:BYTE_3 src1_sel:DWORD
	s_andn2_b64 s[4:5], s[4:5], exec
	s_and_b64 s[8:9], s[8:9], exec
	s_or_b64 s[4:5], s[4:5], s[8:9]
	s_or_b64 exec, exec, s[6:7]
	s_and_saveexec_b64 s[6:7], s[4:5]
	s_cbranch_execnz .LBB14_1467
	s_branch .LBB14_1468
.LBB14_3517:
	s_movk_i32 s4, 0x80
	v_cmp_eq_u16_sdwa s[12:13], v3, s4 src0_sel:BYTE_3 src1_sel:DWORD
	s_mov_b64 s[4:5], -1
                                        ; implicit-def: $sgpr10
	s_and_saveexec_b64 s[8:9], s[12:13]
; %bb.3518:
	s_mov_b32 s10, 0x7f800001
	s_xor_b64 s[4:5], exec, -1
; %bb.3519:
	s_or_b64 exec, exec, s[8:9]
	s_and_b64 s[4:5], s[4:5], exec
	s_or_saveexec_b64 s[6:7], s[6:7]
	v_mov_b32_e32 v6, s10
	s_xor_b64 exec, exec, s[6:7]
	s_cbranch_execz .LBB14_1470
.LBB14_3520:
	v_mov_b32_e32 v6, 0
	v_cmp_ne_u16_sdwa s[8:9], v3, v6 src0_sel:BYTE_3 src1_sel:DWORD
	s_andn2_b64 s[4:5], s[4:5], exec
	s_and_b64 s[8:9], s[8:9], exec
	s_or_b64 s[4:5], s[4:5], s[8:9]
	s_or_b64 exec, exec, s[6:7]
	s_and_saveexec_b64 s[6:7], s[4:5]
	s_cbranch_execnz .LBB14_1471
	s_branch .LBB14_1472
.LBB14_3521:
	s_movk_i32 s4, 0x80
	v_cmp_eq_u16_sdwa s[12:13], v8, s4 src0_sel:BYTE_0 src1_sel:DWORD
	s_mov_b64 s[4:5], -1
                                        ; implicit-def: $sgpr10
	s_and_saveexec_b64 s[8:9], s[12:13]
; %bb.3522:
	s_mov_b32 s10, 0x7f800001
	s_xor_b64 s[4:5], exec, -1
; %bb.3523:
	s_or_b64 exec, exec, s[8:9]
	s_and_b64 s[4:5], s[4:5], exec
	s_or_saveexec_b64 s[6:7], s[6:7]
	v_mov_b32_e32 v2, s10
	s_xor_b64 exec, exec, s[6:7]
	s_cbranch_execz .LBB14_1474
.LBB14_3524:
	v_mov_b32_e32 v2, 0
	v_cmp_ne_u16_sdwa s[8:9], v8, v2 src0_sel:BYTE_0 src1_sel:DWORD
	s_andn2_b64 s[4:5], s[4:5], exec
	s_and_b64 s[8:9], s[8:9], exec
	s_or_b64 s[4:5], s[4:5], s[8:9]
	s_or_b64 exec, exec, s[6:7]
	s_and_saveexec_b64 s[6:7], s[4:5]
	s_cbranch_execnz .LBB14_1475
	s_branch .LBB14_1476
.LBB14_3525:
	s_movk_i32 s4, 0x80
	v_cmp_eq_u16_sdwa s[12:13], v4, s4 src0_sel:BYTE_0 src1_sel:DWORD
	s_mov_b64 s[4:5], -1
                                        ; implicit-def: $sgpr10
	s_and_saveexec_b64 s[8:9], s[12:13]
; %bb.3526:
	s_mov_b32 s10, 0x7f800001
	s_xor_b64 s[4:5], exec, -1
; %bb.3527:
	s_or_b64 exec, exec, s[8:9]
	s_and_b64 s[4:5], s[4:5], exec
	s_or_saveexec_b64 s[6:7], s[6:7]
	v_mov_b32_e32 v3, s10
	s_xor_b64 exec, exec, s[6:7]
	s_cbranch_execz .LBB14_1478
.LBB14_3528:
	v_mov_b32_e32 v3, 0
	v_cmp_ne_u16_sdwa s[8:9], v4, v3 src0_sel:BYTE_0 src1_sel:DWORD
	s_andn2_b64 s[4:5], s[4:5], exec
	s_and_b64 s[8:9], s[8:9], exec
	s_or_b64 s[4:5], s[4:5], s[8:9]
	s_or_b64 exec, exec, s[6:7]
	s_and_saveexec_b64 s[6:7], s[4:5]
	s_cbranch_execnz .LBB14_1479
	s_branch .LBB14_1480
.LBB14_3529:
	s_movk_i32 s4, 0x80
	v_cmp_eq_u16_sdwa s[12:13], v3, s4 src0_sel:BYTE_0 src1_sel:DWORD
	s_mov_b64 s[4:5], -1
                                        ; implicit-def: $sgpr10
	s_and_saveexec_b64 s[8:9], s[12:13]
; %bb.3530:
	s_mov_b32 s10, 0x7f800001
	s_xor_b64 s[4:5], exec, -1
; %bb.3531:
	s_or_b64 exec, exec, s[8:9]
	s_and_b64 s[4:5], s[4:5], exec
	s_or_saveexec_b64 s[6:7], s[6:7]
	v_mov_b32_e32 v2, s10
	s_xor_b64 exec, exec, s[6:7]
	s_cbranch_execz .LBB14_1482
.LBB14_3532:
	v_mov_b32_e32 v2, 0
	v_cmp_ne_u16_sdwa s[8:9], v3, v2 src0_sel:BYTE_0 src1_sel:DWORD
	s_andn2_b64 s[4:5], s[4:5], exec
	s_and_b64 s[8:9], s[8:9], exec
	s_or_b64 s[4:5], s[4:5], s[8:9]
	s_or_b64 exec, exec, s[6:7]
	s_and_saveexec_b64 s[6:7], s[4:5]
	s_cbranch_execnz .LBB14_1483
	s_branch .LBB14_1484
.LBB14_3533:
	s_movk_i32 s4, 0x80
	v_cmp_eq_u16_sdwa s[12:13], v3, s4 src0_sel:BYTE_0 src1_sel:DWORD
	s_mov_b64 s[4:5], -1
                                        ; implicit-def: $sgpr10
	s_and_saveexec_b64 s[8:9], s[12:13]
; %bb.3534:
	s_mov_b32 s10, 0x7f800001
	s_xor_b64 s[4:5], exec, -1
; %bb.3535:
	s_or_b64 exec, exec, s[8:9]
	s_and_b64 s[4:5], s[4:5], exec
	s_or_saveexec_b64 s[6:7], s[6:7]
	v_mov_b32_e32 v6, s10
	s_xor_b64 exec, exec, s[6:7]
	s_cbranch_execz .LBB14_1486
.LBB14_3536:
	v_mov_b32_e32 v6, 0
	v_cmp_ne_u16_sdwa s[8:9], v3, v6 src0_sel:BYTE_0 src1_sel:DWORD
	s_andn2_b64 s[4:5], s[4:5], exec
	s_and_b64 s[8:9], s[8:9], exec
	s_or_b64 s[4:5], s[4:5], s[8:9]
	s_or_b64 exec, exec, s[6:7]
	s_and_saveexec_b64 s[6:7], s[4:5]
	s_cbranch_execnz .LBB14_1487
	s_branch .LBB14_1488
.LBB14_3537:
	s_movk_i32 s4, 0x80
	v_cmp_eq_u16_e32 vcc, s4, v3
	s_mov_b64 s[4:5], -1
                                        ; implicit-def: $sgpr10
	s_and_saveexec_b64 s[8:9], vcc
; %bb.3538:
	s_mov_b32 s10, 0x7f800001
	s_xor_b64 s[4:5], exec, -1
; %bb.3539:
	s_or_b64 exec, exec, s[8:9]
	s_and_b64 s[4:5], s[4:5], exec
                                        ; implicit-def: $vgpr3
	s_or_saveexec_b64 s[6:7], s[6:7]
	v_mov_b32_e32 v2, s10
	s_xor_b64 exec, exec, s[6:7]
	s_cbranch_execz .LBB14_1490
.LBB14_3540:
	v_cmp_ne_u16_e32 vcc, 0, v3
	s_andn2_b64 s[4:5], s[4:5], exec
	s_and_b64 s[8:9], vcc, exec
	v_mov_b32_e32 v2, 0
	s_or_b64 s[4:5], s[4:5], s[8:9]
	s_or_b64 exec, exec, s[6:7]
	s_and_saveexec_b64 s[6:7], s[4:5]
	s_cbranch_execnz .LBB14_1491
	s_branch .LBB14_1492
.LBB14_3541:
	s_movk_i32 s4, 0x80
	v_cmp_eq_u16_e32 vcc, s4, v3
	s_mov_b64 s[4:5], -1
                                        ; implicit-def: $sgpr10
	s_and_saveexec_b64 s[8:9], vcc
; %bb.3542:
	s_mov_b32 s10, 0x7f800001
	s_xor_b64 s[4:5], exec, -1
; %bb.3543:
	s_or_b64 exec, exec, s[8:9]
	s_and_b64 s[4:5], s[4:5], exec
                                        ; implicit-def: $vgpr3
	s_or_saveexec_b64 s[6:7], s[6:7]
	v_mov_b32_e32 v6, s10
	s_xor_b64 exec, exec, s[6:7]
	s_cbranch_execz .LBB14_1494
.LBB14_3544:
	v_cmp_ne_u16_e32 vcc, 0, v3
	s_andn2_b64 s[4:5], s[4:5], exec
	s_and_b64 s[8:9], vcc, exec
	v_mov_b32_e32 v6, 0
	s_or_b64 s[4:5], s[4:5], s[8:9]
	s_or_b64 exec, exec, s[6:7]
	s_and_saveexec_b64 s[6:7], s[4:5]
	s_cbranch_execnz .LBB14_1495
	s_branch .LBB14_1496
.LBB14_3545:
	s_movk_i32 s4, 0x80
	v_cmp_eq_u16_sdwa s[12:13], v8, s4 src0_sel:BYTE_3 src1_sel:DWORD
	s_mov_b64 s[4:5], -1
                                        ; implicit-def: $sgpr10
	s_and_saveexec_b64 s[8:9], s[12:13]
; %bb.3546:
	s_mov_b32 s10, 0x7f800001
	s_xor_b64 s[4:5], exec, -1
; %bb.3547:
	s_or_b64 exec, exec, s[8:9]
	s_and_b64 s[4:5], s[4:5], exec
	s_or_saveexec_b64 s[6:7], s[6:7]
	v_mov_b32_e32 v2, s10
	s_xor_b64 exec, exec, s[6:7]
	s_cbranch_execz .LBB14_1498
.LBB14_3548:
	v_mov_b32_e32 v2, 0
	v_cmp_ne_u16_sdwa s[8:9], v8, v2 src0_sel:BYTE_3 src1_sel:DWORD
	s_andn2_b64 s[4:5], s[4:5], exec
	s_and_b64 s[8:9], s[8:9], exec
	s_or_b64 s[4:5], s[4:5], s[8:9]
	s_or_b64 exec, exec, s[6:7]
	s_and_saveexec_b64 s[6:7], s[4:5]
	s_cbranch_execnz .LBB14_1499
	s_branch .LBB14_1500
.LBB14_3549:
	s_movk_i32 s4, 0x80
	v_cmp_eq_u16_sdwa s[12:13], v4, s4 src0_sel:BYTE_3 src1_sel:DWORD
	s_mov_b64 s[4:5], -1
                                        ; implicit-def: $sgpr10
	s_and_saveexec_b64 s[8:9], s[12:13]
; %bb.3550:
	s_mov_b32 s10, 0x7f800001
	s_xor_b64 s[4:5], exec, -1
; %bb.3551:
	s_or_b64 exec, exec, s[8:9]
	s_and_b64 s[4:5], s[4:5], exec
	s_or_saveexec_b64 s[6:7], s[6:7]
	v_mov_b32_e32 v3, s10
	s_xor_b64 exec, exec, s[6:7]
	s_cbranch_execz .LBB14_1502
.LBB14_3552:
	v_mov_b32_e32 v3, 0
	v_cmp_ne_u16_sdwa s[8:9], v4, v3 src0_sel:BYTE_3 src1_sel:DWORD
	s_andn2_b64 s[4:5], s[4:5], exec
	s_and_b64 s[8:9], s[8:9], exec
	s_or_b64 s[4:5], s[4:5], s[8:9]
	s_or_b64 exec, exec, s[6:7]
	s_and_saveexec_b64 s[6:7], s[4:5]
	s_cbranch_execnz .LBB14_1503
	s_branch .LBB14_1504
.LBB14_3553:
	s_movk_i32 s4, 0x80
	v_cmp_eq_u16_sdwa s[12:13], v9, s4 src0_sel:BYTE_0 src1_sel:DWORD
	s_mov_b64 s[4:5], -1
                                        ; implicit-def: $sgpr10
	s_and_saveexec_b64 s[8:9], s[12:13]
; %bb.3554:
	s_mov_b32 s10, 0x7f800001
	s_xor_b64 s[4:5], exec, -1
; %bb.3555:
	s_or_b64 exec, exec, s[8:9]
	s_and_b64 s[4:5], s[4:5], exec
	s_or_saveexec_b64 s[6:7], s[6:7]
	v_mov_b32_e32 v2, s10
	s_xor_b64 exec, exec, s[6:7]
	s_cbranch_execz .LBB14_1506
.LBB14_3556:
	v_mov_b32_e32 v2, 0
	v_cmp_ne_u16_sdwa s[8:9], v9, v2 src0_sel:BYTE_0 src1_sel:DWORD
	s_andn2_b64 s[4:5], s[4:5], exec
	s_and_b64 s[8:9], s[8:9], exec
	s_or_b64 s[4:5], s[4:5], s[8:9]
	s_or_b64 exec, exec, s[6:7]
	s_and_saveexec_b64 s[6:7], s[4:5]
	s_cbranch_execnz .LBB14_1507
	s_branch .LBB14_1508
.LBB14_3557:
	s_movk_i32 s4, 0x80
	v_cmp_eq_u16_sdwa s[12:13], v5, s4 src0_sel:BYTE_0 src1_sel:DWORD
	s_mov_b64 s[4:5], -1
                                        ; implicit-def: $sgpr10
	s_and_saveexec_b64 s[8:9], s[12:13]
; %bb.3558:
	s_mov_b32 s10, 0x7f800001
	s_xor_b64 s[4:5], exec, -1
; %bb.3559:
	s_or_b64 exec, exec, s[8:9]
	s_and_b64 s[4:5], s[4:5], exec
	s_or_saveexec_b64 s[6:7], s[6:7]
	v_mov_b32_e32 v3, s10
	s_xor_b64 exec, exec, s[6:7]
	s_cbranch_execz .LBB14_1510
.LBB14_3560:
	v_mov_b32_e32 v3, 0
	v_cmp_ne_u16_sdwa s[8:9], v5, v3 src0_sel:BYTE_0 src1_sel:DWORD
	s_andn2_b64 s[4:5], s[4:5], exec
	s_and_b64 s[8:9], s[8:9], exec
	s_or_b64 s[4:5], s[4:5], s[8:9]
	s_or_b64 exec, exec, s[6:7]
	s_and_saveexec_b64 s[6:7], s[4:5]
	s_cbranch_execnz .LBB14_1511
	s_branch .LBB14_1512
.LBB14_3561:
	s_movk_i32 s4, 0x80
	v_cmp_eq_u16_sdwa s[12:13], v3, s4 src0_sel:BYTE_0 src1_sel:DWORD
	s_mov_b64 s[4:5], -1
                                        ; implicit-def: $sgpr10
	s_and_saveexec_b64 s[8:9], s[12:13]
; %bb.3562:
	s_mov_b32 s10, 0x7f800001
	s_xor_b64 s[4:5], exec, -1
; %bb.3563:
	s_or_b64 exec, exec, s[8:9]
	s_and_b64 s[4:5], s[4:5], exec
	s_or_saveexec_b64 s[6:7], s[6:7]
	v_mov_b32_e32 v2, s10
	s_xor_b64 exec, exec, s[6:7]
	s_cbranch_execz .LBB14_1514
.LBB14_3564:
	v_mov_b32_e32 v2, 0
	v_cmp_ne_u16_sdwa s[8:9], v3, v2 src0_sel:BYTE_0 src1_sel:DWORD
	s_andn2_b64 s[4:5], s[4:5], exec
	s_and_b64 s[8:9], s[8:9], exec
	s_or_b64 s[4:5], s[4:5], s[8:9]
	s_or_b64 exec, exec, s[6:7]
	s_and_saveexec_b64 s[6:7], s[4:5]
	s_cbranch_execnz .LBB14_1515
	s_branch .LBB14_1516
.LBB14_3565:
	s_movk_i32 s4, 0x80
	v_cmp_eq_u16_sdwa s[12:13], v3, s4 src0_sel:BYTE_0 src1_sel:DWORD
	s_mov_b64 s[4:5], -1
                                        ; implicit-def: $sgpr10
	s_and_saveexec_b64 s[8:9], s[12:13]
; %bb.3566:
	s_mov_b32 s10, 0x7f800001
	s_xor_b64 s[4:5], exec, -1
; %bb.3567:
	s_or_b64 exec, exec, s[8:9]
	s_and_b64 s[4:5], s[4:5], exec
	s_or_saveexec_b64 s[6:7], s[6:7]
	v_mov_b32_e32 v4, s10
	s_xor_b64 exec, exec, s[6:7]
	s_cbranch_execz .LBB14_1518
.LBB14_3568:
	v_mov_b32_e32 v4, 0
	v_cmp_ne_u16_sdwa s[8:9], v3, v4 src0_sel:BYTE_0 src1_sel:DWORD
	s_andn2_b64 s[4:5], s[4:5], exec
	s_and_b64 s[8:9], s[8:9], exec
	s_or_b64 s[4:5], s[4:5], s[8:9]
	s_or_b64 exec, exec, s[6:7]
	s_and_saveexec_b64 s[6:7], s[4:5]
	s_cbranch_execnz .LBB14_1519
	s_branch .LBB14_1520
.LBB14_3569:
	s_movk_i32 s4, 0x80
	v_cmp_eq_u16_e32 vcc, s4, v3
	s_mov_b64 s[4:5], -1
                                        ; implicit-def: $sgpr10
	s_and_saveexec_b64 s[8:9], vcc
; %bb.3570:
	s_mov_b32 s10, 0x7f800001
	s_xor_b64 s[4:5], exec, -1
; %bb.3571:
	s_or_b64 exec, exec, s[8:9]
	s_and_b64 s[4:5], s[4:5], exec
                                        ; implicit-def: $vgpr3
	s_or_saveexec_b64 s[6:7], s[6:7]
	v_mov_b32_e32 v2, s10
	s_xor_b64 exec, exec, s[6:7]
	s_cbranch_execz .LBB14_1522
.LBB14_3572:
	v_cmp_ne_u16_e32 vcc, 0, v3
	s_andn2_b64 s[4:5], s[4:5], exec
	s_and_b64 s[8:9], vcc, exec
	v_mov_b32_e32 v2, 0
	s_or_b64 s[4:5], s[4:5], s[8:9]
	s_or_b64 exec, exec, s[6:7]
	s_and_saveexec_b64 s[6:7], s[4:5]
	s_cbranch_execnz .LBB14_1523
	s_branch .LBB14_1524
.LBB14_3573:
	s_movk_i32 s4, 0x80
	v_cmp_eq_u16_e32 vcc, s4, v3
	s_mov_b64 s[4:5], -1
                                        ; implicit-def: $sgpr10
	s_and_saveexec_b64 s[8:9], vcc
; %bb.3574:
	s_mov_b32 s10, 0x7f800001
	s_xor_b64 s[4:5], exec, -1
; %bb.3575:
	s_or_b64 exec, exec, s[8:9]
	s_and_b64 s[4:5], s[4:5], exec
                                        ; implicit-def: $vgpr3
	s_or_saveexec_b64 s[6:7], s[6:7]
	v_mov_b32_e32 v4, s10
	s_xor_b64 exec, exec, s[6:7]
	s_cbranch_execz .LBB14_1526
.LBB14_3576:
	v_cmp_ne_u16_e32 vcc, 0, v3
	s_andn2_b64 s[4:5], s[4:5], exec
	s_and_b64 s[8:9], vcc, exec
	v_mov_b32_e32 v4, 0
	s_or_b64 s[4:5], s[4:5], s[8:9]
	s_or_b64 exec, exec, s[6:7]
	s_and_saveexec_b64 s[6:7], s[4:5]
	s_cbranch_execnz .LBB14_1527
	s_branch .LBB14_1528
.LBB14_3577:
	s_movk_i32 s4, 0x80
	v_cmp_eq_u16_sdwa s[12:13], v9, s4 src0_sel:BYTE_3 src1_sel:DWORD
	s_mov_b64 s[4:5], -1
                                        ; implicit-def: $sgpr10
	s_and_saveexec_b64 s[8:9], s[12:13]
; %bb.3578:
	s_mov_b32 s10, 0x7f800001
	s_xor_b64 s[4:5], exec, -1
; %bb.3579:
	s_or_b64 exec, exec, s[8:9]
	s_and_b64 s[4:5], s[4:5], exec
	s_or_saveexec_b64 s[6:7], s[6:7]
	v_mov_b32_e32 v2, s10
	s_xor_b64 exec, exec, s[6:7]
	s_cbranch_execz .LBB14_1530
.LBB14_3580:
	v_mov_b32_e32 v2, 0
	v_cmp_ne_u16_sdwa s[8:9], v9, v2 src0_sel:BYTE_3 src1_sel:DWORD
	s_andn2_b64 s[4:5], s[4:5], exec
	s_and_b64 s[8:9], s[8:9], exec
	s_or_b64 s[4:5], s[4:5], s[8:9]
	s_or_b64 exec, exec, s[6:7]
	s_and_saveexec_b64 s[6:7], s[4:5]
	s_cbranch_execnz .LBB14_1531
	s_branch .LBB14_1532
.LBB14_3581:
	s_movk_i32 s4, 0x80
	v_cmp_eq_u16_sdwa s[12:13], v5, s4 src0_sel:BYTE_3 src1_sel:DWORD
	s_mov_b64 s[4:5], -1
                                        ; implicit-def: $sgpr10
	s_and_saveexec_b64 s[8:9], s[12:13]
; %bb.3582:
	s_mov_b32 s10, 0x7f800001
	s_xor_b64 s[4:5], exec, -1
; %bb.3583:
	s_or_b64 exec, exec, s[8:9]
	s_and_b64 s[4:5], s[4:5], exec
	s_or_saveexec_b64 s[6:7], s[6:7]
	v_mov_b32_e32 v3, s10
	s_xor_b64 exec, exec, s[6:7]
	s_cbranch_execz .LBB14_1534
.LBB14_3584:
	v_mov_b32_e32 v3, 0
	v_cmp_ne_u16_sdwa s[8:9], v5, v3 src0_sel:BYTE_3 src1_sel:DWORD
	s_andn2_b64 s[4:5], s[4:5], exec
	s_and_b64 s[8:9], s[8:9], exec
	s_or_b64 s[4:5], s[4:5], s[8:9]
	s_or_b64 exec, exec, s[6:7]
	s_and_saveexec_b64 s[6:7], s[4:5]
	s_cbranch_execnz .LBB14_1535
	s_branch .LBB14_1536
.LBB14_3585:
	s_movk_i32 s4, 0x80
	v_cmp_eq_u16_sdwa s[12:13], v14, s4 src0_sel:BYTE_0 src1_sel:DWORD
	s_mov_b64 s[4:5], -1
                                        ; implicit-def: $sgpr10
	s_and_saveexec_b64 s[8:9], s[12:13]
; %bb.3586:
	s_mov_b32 s10, 0x7f800001
	s_xor_b64 s[4:5], exec, -1
; %bb.3587:
	s_or_b64 exec, exec, s[8:9]
	s_and_b64 s[4:5], s[4:5], exec
	s_or_saveexec_b64 s[6:7], s[6:7]
	v_mov_b32_e32 v20, s10
	s_xor_b64 exec, exec, s[6:7]
	s_cbranch_execz .LBB14_1538
.LBB14_3588:
	v_mov_b32_e32 v20, 0
	v_cmp_ne_u16_sdwa s[8:9], v14, v20 src0_sel:BYTE_0 src1_sel:DWORD
	s_andn2_b64 s[4:5], s[4:5], exec
	s_and_b64 s[8:9], s[8:9], exec
	s_or_b64 s[4:5], s[4:5], s[8:9]
	s_or_b64 exec, exec, s[6:7]
	s_and_saveexec_b64 s[6:7], s[4:5]
	s_cbranch_execnz .LBB14_1539
	s_branch .LBB14_1540
.LBB14_3589:
	s_movk_i32 s4, 0x80
	v_cmp_eq_u16_sdwa s[12:13], v10, s4 src0_sel:BYTE_0 src1_sel:DWORD
	s_mov_b64 s[4:5], -1
                                        ; implicit-def: $sgpr10
	s_and_saveexec_b64 s[8:9], s[12:13]
; %bb.3590:
	s_mov_b32 s10, 0x7f800001
	s_xor_b64 s[4:5], exec, -1
; %bb.3591:
	s_or_b64 exec, exec, s[8:9]
	s_and_b64 s[4:5], s[4:5], exec
	s_or_saveexec_b64 s[6:7], s[6:7]
	v_mov_b32_e32 v21, s10
	s_xor_b64 exec, exec, s[6:7]
	s_cbranch_execz .LBB14_1542
.LBB14_3592:
	v_mov_b32_e32 v21, 0
	v_cmp_ne_u16_sdwa s[8:9], v10, v21 src0_sel:BYTE_0 src1_sel:DWORD
	s_andn2_b64 s[4:5], s[4:5], exec
	s_and_b64 s[8:9], s[8:9], exec
	s_or_b64 s[4:5], s[4:5], s[8:9]
	s_or_b64 exec, exec, s[6:7]
	s_and_saveexec_b64 s[6:7], s[4:5]
	s_cbranch_execnz .LBB14_1543
	s_branch .LBB14_1544
.LBB14_3593:
	s_movk_i32 s4, 0x80
	v_cmp_eq_u16_sdwa s[12:13], v21, s4 src0_sel:BYTE_0 src1_sel:DWORD
	s_mov_b64 s[4:5], -1
                                        ; implicit-def: $sgpr10
	s_and_saveexec_b64 s[8:9], s[12:13]
; %bb.3594:
	s_mov_b32 s10, 0x7f800001
	s_xor_b64 s[4:5], exec, -1
; %bb.3595:
	s_or_b64 exec, exec, s[8:9]
	s_and_b64 s[4:5], s[4:5], exec
	s_or_saveexec_b64 s[6:7], s[6:7]
	v_mov_b32_e32 v20, s10
	s_xor_b64 exec, exec, s[6:7]
	s_cbranch_execz .LBB14_1546
.LBB14_3596:
	v_mov_b32_e32 v20, 0
	v_cmp_ne_u16_sdwa s[8:9], v21, v20 src0_sel:BYTE_0 src1_sel:DWORD
	s_andn2_b64 s[4:5], s[4:5], exec
	s_and_b64 s[8:9], s[8:9], exec
	s_or_b64 s[4:5], s[4:5], s[8:9]
	s_or_b64 exec, exec, s[6:7]
	s_and_saveexec_b64 s[6:7], s[4:5]
	s_cbranch_execnz .LBB14_1547
	s_branch .LBB14_1548
.LBB14_3597:
	s_movk_i32 s4, 0x80
	v_cmp_eq_u16_sdwa s[12:13], v21, s4 src0_sel:BYTE_0 src1_sel:DWORD
	s_mov_b64 s[4:5], -1
                                        ; implicit-def: $sgpr10
	s_and_saveexec_b64 s[8:9], s[12:13]
; %bb.3598:
	s_mov_b32 s10, 0x7f800001
	s_xor_b64 s[4:5], exec, -1
; %bb.3599:
	s_or_b64 exec, exec, s[8:9]
	s_and_b64 s[4:5], s[4:5], exec
	s_or_saveexec_b64 s[6:7], s[6:7]
	v_mov_b32_e32 v22, s10
	s_xor_b64 exec, exec, s[6:7]
	s_cbranch_execz .LBB14_1550
.LBB14_3600:
	v_mov_b32_e32 v22, 0
	v_cmp_ne_u16_sdwa s[8:9], v21, v22 src0_sel:BYTE_0 src1_sel:DWORD
	s_andn2_b64 s[4:5], s[4:5], exec
	s_and_b64 s[8:9], s[8:9], exec
	s_or_b64 s[4:5], s[4:5], s[8:9]
	s_or_b64 exec, exec, s[6:7]
	s_and_saveexec_b64 s[6:7], s[4:5]
	s_cbranch_execnz .LBB14_1551
	s_branch .LBB14_1552
.LBB14_3601:
	s_movk_i32 s4, 0x80
	v_cmp_eq_u16_e32 vcc, s4, v21
	s_mov_b64 s[4:5], -1
                                        ; implicit-def: $sgpr10
	s_and_saveexec_b64 s[8:9], vcc
; %bb.3602:
	s_mov_b32 s10, 0x7f800001
	s_xor_b64 s[4:5], exec, -1
; %bb.3603:
	s_or_b64 exec, exec, s[8:9]
	s_and_b64 s[4:5], s[4:5], exec
                                        ; implicit-def: $vgpr21
	s_or_saveexec_b64 s[6:7], s[6:7]
	v_mov_b32_e32 v20, s10
	s_xor_b64 exec, exec, s[6:7]
	s_cbranch_execz .LBB14_1554
.LBB14_3604:
	v_cmp_ne_u16_e32 vcc, 0, v21
	s_andn2_b64 s[4:5], s[4:5], exec
	s_and_b64 s[8:9], vcc, exec
	v_mov_b32_e32 v20, 0
	s_or_b64 s[4:5], s[4:5], s[8:9]
	s_or_b64 exec, exec, s[6:7]
	s_and_saveexec_b64 s[6:7], s[4:5]
	s_cbranch_execnz .LBB14_1555
	s_branch .LBB14_1556
.LBB14_3605:
	s_movk_i32 s4, 0x80
	v_cmp_eq_u16_e32 vcc, s4, v21
	s_mov_b64 s[4:5], -1
                                        ; implicit-def: $sgpr10
	s_and_saveexec_b64 s[8:9], vcc
; %bb.3606:
	s_mov_b32 s10, 0x7f800001
	s_xor_b64 s[4:5], exec, -1
; %bb.3607:
	s_or_b64 exec, exec, s[8:9]
	s_and_b64 s[4:5], s[4:5], exec
                                        ; implicit-def: $vgpr21
	s_or_saveexec_b64 s[6:7], s[6:7]
	v_mov_b32_e32 v22, s10
	s_xor_b64 exec, exec, s[6:7]
	s_cbranch_execz .LBB14_1558
.LBB14_3608:
	v_cmp_ne_u16_e32 vcc, 0, v21
	s_andn2_b64 s[4:5], s[4:5], exec
	s_and_b64 s[8:9], vcc, exec
	v_mov_b32_e32 v22, 0
	s_or_b64 s[4:5], s[4:5], s[8:9]
	s_or_b64 exec, exec, s[6:7]
	s_and_saveexec_b64 s[6:7], s[4:5]
	s_cbranch_execnz .LBB14_1559
	s_branch .LBB14_1560
.LBB14_3609:
	s_movk_i32 s4, 0x80
	v_cmp_eq_u16_sdwa s[12:13], v14, s4 src0_sel:BYTE_3 src1_sel:DWORD
	s_mov_b64 s[4:5], -1
                                        ; implicit-def: $sgpr10
	s_and_saveexec_b64 s[8:9], s[12:13]
; %bb.3610:
	s_mov_b32 s10, 0x7f800001
	s_xor_b64 s[4:5], exec, -1
; %bb.3611:
	s_or_b64 exec, exec, s[8:9]
	s_and_b64 s[4:5], s[4:5], exec
	s_or_saveexec_b64 s[6:7], s[6:7]
	v_mov_b32_e32 v20, s10
	s_xor_b64 exec, exec, s[6:7]
	s_cbranch_execz .LBB14_1562
.LBB14_3612:
	v_mov_b32_e32 v20, 0
	v_cmp_ne_u16_sdwa s[8:9], v14, v20 src0_sel:BYTE_3 src1_sel:DWORD
	s_andn2_b64 s[4:5], s[4:5], exec
	s_and_b64 s[8:9], s[8:9], exec
	s_or_b64 s[4:5], s[4:5], s[8:9]
	s_or_b64 exec, exec, s[6:7]
	s_and_saveexec_b64 s[6:7], s[4:5]
	s_cbranch_execnz .LBB14_1563
	s_branch .LBB14_1564
.LBB14_3613:
	s_movk_i32 s4, 0x80
	v_cmp_eq_u16_sdwa s[12:13], v10, s4 src0_sel:BYTE_3 src1_sel:DWORD
	s_mov_b64 s[4:5], -1
                                        ; implicit-def: $sgpr10
	s_and_saveexec_b64 s[8:9], s[12:13]
; %bb.3614:
	s_mov_b32 s10, 0x7f800001
	s_xor_b64 s[4:5], exec, -1
; %bb.3615:
	s_or_b64 exec, exec, s[8:9]
	s_and_b64 s[4:5], s[4:5], exec
	s_or_saveexec_b64 s[6:7], s[6:7]
	v_mov_b32_e32 v14, s10
	s_xor_b64 exec, exec, s[6:7]
	s_cbranch_execz .LBB14_1566
.LBB14_3616:
	v_mov_b32_e32 v14, 0
	v_cmp_ne_u16_sdwa s[8:9], v10, v14 src0_sel:BYTE_3 src1_sel:DWORD
	s_andn2_b64 s[4:5], s[4:5], exec
	s_and_b64 s[8:9], s[8:9], exec
	s_or_b64 s[4:5], s[4:5], s[8:9]
	s_or_b64 exec, exec, s[6:7]
	s_and_saveexec_b64 s[6:7], s[4:5]
	s_cbranch_execnz .LBB14_1567
	s_branch .LBB14_1568
.LBB14_3617:
	s_movk_i32 s4, 0x80
	v_cmp_eq_u16_sdwa s[12:13], v15, s4 src0_sel:BYTE_0 src1_sel:DWORD
	s_mov_b64 s[4:5], -1
                                        ; implicit-def: $sgpr10
	s_and_saveexec_b64 s[8:9], s[12:13]
; %bb.3618:
	s_mov_b32 s10, 0x7f800001
	s_xor_b64 s[4:5], exec, -1
; %bb.3619:
	s_or_b64 exec, exec, s[8:9]
	s_and_b64 s[4:5], s[4:5], exec
	s_or_saveexec_b64 s[6:7], s[6:7]
	v_mov_b32_e32 v10, s10
	s_xor_b64 exec, exec, s[6:7]
	s_cbranch_execz .LBB14_1570
.LBB14_3620:
	v_mov_b32_e32 v10, 0
	v_cmp_ne_u16_sdwa s[8:9], v15, v10 src0_sel:BYTE_0 src1_sel:DWORD
	s_andn2_b64 s[4:5], s[4:5], exec
	s_and_b64 s[8:9], s[8:9], exec
	s_or_b64 s[4:5], s[4:5], s[8:9]
	s_or_b64 exec, exec, s[6:7]
	s_and_saveexec_b64 s[6:7], s[4:5]
	s_cbranch_execnz .LBB14_1571
	s_branch .LBB14_1572
.LBB14_3621:
	s_movk_i32 s4, 0x80
	v_cmp_eq_u16_sdwa s[12:13], v11, s4 src0_sel:BYTE_0 src1_sel:DWORD
	s_mov_b64 s[4:5], -1
                                        ; implicit-def: $sgpr10
	s_and_saveexec_b64 s[8:9], s[12:13]
; %bb.3622:
	s_mov_b32 s10, 0x7f800001
	s_xor_b64 s[4:5], exec, -1
; %bb.3623:
	s_or_b64 exec, exec, s[8:9]
	s_and_b64 s[4:5], s[4:5], exec
	s_or_saveexec_b64 s[6:7], s[6:7]
	v_mov_b32_e32 v14, s10
	s_xor_b64 exec, exec, s[6:7]
	s_cbranch_execz .LBB14_1574
.LBB14_3624:
	v_mov_b32_e32 v14, 0
	v_cmp_ne_u16_sdwa s[8:9], v11, v14 src0_sel:BYTE_0 src1_sel:DWORD
	s_andn2_b64 s[4:5], s[4:5], exec
	s_and_b64 s[8:9], s[8:9], exec
	s_or_b64 s[4:5], s[4:5], s[8:9]
	s_or_b64 exec, exec, s[6:7]
	s_and_saveexec_b64 s[6:7], s[4:5]
	s_cbranch_execnz .LBB14_1575
	s_branch .LBB14_1576
.LBB14_3625:
	s_movk_i32 s4, 0x80
	v_cmp_eq_u16_sdwa s[12:13], v14, s4 src0_sel:BYTE_0 src1_sel:DWORD
	s_mov_b64 s[4:5], -1
                                        ; implicit-def: $sgpr10
	s_and_saveexec_b64 s[8:9], s[12:13]
; %bb.3626:
	s_mov_b32 s10, 0x7f800001
	s_xor_b64 s[4:5], exec, -1
; %bb.3627:
	s_or_b64 exec, exec, s[8:9]
	s_and_b64 s[4:5], s[4:5], exec
	s_or_saveexec_b64 s[6:7], s[6:7]
	v_mov_b32_e32 v10, s10
	s_xor_b64 exec, exec, s[6:7]
	s_cbranch_execz .LBB14_1578
.LBB14_3628:
	v_mov_b32_e32 v10, 0
	v_cmp_ne_u16_sdwa s[8:9], v14, v10 src0_sel:BYTE_0 src1_sel:DWORD
	s_andn2_b64 s[4:5], s[4:5], exec
	s_and_b64 s[8:9], s[8:9], exec
	s_or_b64 s[4:5], s[4:5], s[8:9]
	s_or_b64 exec, exec, s[6:7]
	s_and_saveexec_b64 s[6:7], s[4:5]
	s_cbranch_execnz .LBB14_1579
	s_branch .LBB14_1580
.LBB14_3629:
	s_movk_i32 s4, 0x80
	v_cmp_eq_u16_sdwa s[12:13], v14, s4 src0_sel:BYTE_0 src1_sel:DWORD
	s_mov_b64 s[4:5], -1
                                        ; implicit-def: $sgpr10
	s_and_saveexec_b64 s[8:9], s[12:13]
; %bb.3630:
	s_mov_b32 s10, 0x7f800001
	s_xor_b64 s[4:5], exec, -1
; %bb.3631:
	s_or_b64 exec, exec, s[8:9]
	s_and_b64 s[4:5], s[4:5], exec
	s_or_saveexec_b64 s[6:7], s[6:7]
	v_mov_b32_e32 v20, s10
	s_xor_b64 exec, exec, s[6:7]
	s_cbranch_execz .LBB14_1582
.LBB14_3632:
	v_mov_b32_e32 v20, 0
	v_cmp_ne_u16_sdwa s[8:9], v14, v20 src0_sel:BYTE_0 src1_sel:DWORD
	s_andn2_b64 s[4:5], s[4:5], exec
	s_and_b64 s[8:9], s[8:9], exec
	s_or_b64 s[4:5], s[4:5], s[8:9]
	s_or_b64 exec, exec, s[6:7]
	s_and_saveexec_b64 s[6:7], s[4:5]
	s_cbranch_execnz .LBB14_1583
	s_branch .LBB14_1584
.LBB14_3633:
	s_movk_i32 s4, 0x80
	v_cmp_eq_u16_e32 vcc, s4, v14
	s_mov_b64 s[4:5], -1
                                        ; implicit-def: $sgpr10
	s_and_saveexec_b64 s[8:9], vcc
; %bb.3634:
	s_mov_b32 s10, 0x7f800001
	s_xor_b64 s[4:5], exec, -1
; %bb.3635:
	s_or_b64 exec, exec, s[8:9]
	s_and_b64 s[4:5], s[4:5], exec
                                        ; implicit-def: $vgpr14
	s_or_saveexec_b64 s[6:7], s[6:7]
	v_mov_b32_e32 v10, s10
	s_xor_b64 exec, exec, s[6:7]
	s_cbranch_execz .LBB14_1586
.LBB14_3636:
	v_cmp_ne_u16_e32 vcc, 0, v14
	s_andn2_b64 s[4:5], s[4:5], exec
	s_and_b64 s[8:9], vcc, exec
	v_mov_b32_e32 v10, 0
	s_or_b64 s[4:5], s[4:5], s[8:9]
	s_or_b64 exec, exec, s[6:7]
	s_and_saveexec_b64 s[6:7], s[4:5]
	s_cbranch_execnz .LBB14_1587
	s_branch .LBB14_1588
.LBB14_3637:
	s_movk_i32 s4, 0x80
	v_cmp_eq_u16_e32 vcc, s4, v14
	s_mov_b64 s[4:5], -1
                                        ; implicit-def: $sgpr10
	s_and_saveexec_b64 s[8:9], vcc
; %bb.3638:
	s_mov_b32 s10, 0x7f800001
	s_xor_b64 s[4:5], exec, -1
; %bb.3639:
	s_or_b64 exec, exec, s[8:9]
	s_and_b64 s[4:5], s[4:5], exec
                                        ; implicit-def: $vgpr14
	s_or_saveexec_b64 s[6:7], s[6:7]
	v_mov_b32_e32 v20, s10
	s_xor_b64 exec, exec, s[6:7]
	s_cbranch_execz .LBB14_1590
.LBB14_3640:
	v_cmp_ne_u16_e32 vcc, 0, v14
	s_andn2_b64 s[4:5], s[4:5], exec
	s_and_b64 s[8:9], vcc, exec
	v_mov_b32_e32 v20, 0
	s_or_b64 s[4:5], s[4:5], s[8:9]
	s_or_b64 exec, exec, s[6:7]
	s_and_saveexec_b64 s[6:7], s[4:5]
	s_cbranch_execnz .LBB14_1591
	s_branch .LBB14_1592
.LBB14_3641:
	s_movk_i32 s4, 0x80
	v_cmp_eq_u16_sdwa s[12:13], v15, s4 src0_sel:BYTE_3 src1_sel:DWORD
	s_mov_b64 s[4:5], -1
                                        ; implicit-def: $sgpr10
	s_and_saveexec_b64 s[8:9], s[12:13]
; %bb.3642:
	s_mov_b32 s10, 0x7f800001
	s_xor_b64 s[4:5], exec, -1
; %bb.3643:
	s_or_b64 exec, exec, s[8:9]
	s_and_b64 s[4:5], s[4:5], exec
	s_or_saveexec_b64 s[6:7], s[6:7]
	v_mov_b32_e32 v10, s10
	s_xor_b64 exec, exec, s[6:7]
	s_cbranch_execz .LBB14_1594
.LBB14_3644:
	v_mov_b32_e32 v10, 0
	v_cmp_ne_u16_sdwa s[8:9], v15, v10 src0_sel:BYTE_3 src1_sel:DWORD
	s_andn2_b64 s[4:5], s[4:5], exec
	s_and_b64 s[8:9], s[8:9], exec
	s_or_b64 s[4:5], s[4:5], s[8:9]
	s_or_b64 exec, exec, s[6:7]
	s_and_saveexec_b64 s[6:7], s[4:5]
	s_cbranch_execnz .LBB14_1595
	s_branch .LBB14_1596
.LBB14_3645:
	s_movk_i32 s4, 0x80
	v_cmp_eq_u16_sdwa s[12:13], v11, s4 src0_sel:BYTE_3 src1_sel:DWORD
	s_mov_b64 s[4:5], -1
                                        ; implicit-def: $sgpr10
	s_and_saveexec_b64 s[8:9], s[12:13]
; %bb.3646:
	s_mov_b32 s10, 0x7f800001
	s_xor_b64 s[4:5], exec, -1
; %bb.3647:
	s_or_b64 exec, exec, s[8:9]
	s_and_b64 s[4:5], s[4:5], exec
	s_or_saveexec_b64 s[6:7], s[6:7]
	v_mov_b32_e32 v14, s10
	s_xor_b64 exec, exec, s[6:7]
	s_cbranch_execz .LBB14_1598
.LBB14_3648:
	v_mov_b32_e32 v14, 0
	v_cmp_ne_u16_sdwa s[8:9], v11, v14 src0_sel:BYTE_3 src1_sel:DWORD
	s_andn2_b64 s[4:5], s[4:5], exec
	s_and_b64 s[8:9], s[8:9], exec
	s_or_b64 s[4:5], s[4:5], s[8:9]
	s_or_b64 exec, exec, s[6:7]
	s_and_saveexec_b64 s[6:7], s[4:5]
	s_cbranch_execnz .LBB14_1599
	s_branch .LBB14_1600
.LBB14_3649:
	s_movk_i32 s4, 0x80
	v_cmp_eq_u16_sdwa s[12:13], v16, s4 src0_sel:BYTE_0 src1_sel:DWORD
	s_mov_b64 s[4:5], -1
                                        ; implicit-def: $sgpr10
	s_and_saveexec_b64 s[8:9], s[12:13]
; %bb.3650:
	s_mov_b32 s10, 0x7f800001
	s_xor_b64 s[4:5], exec, -1
; %bb.3651:
	s_or_b64 exec, exec, s[8:9]
	s_and_b64 s[4:5], s[4:5], exec
	s_or_saveexec_b64 s[6:7], s[6:7]
	v_mov_b32_e32 v10, s10
	s_xor_b64 exec, exec, s[6:7]
	s_cbranch_execz .LBB14_1602
.LBB14_3652:
	v_mov_b32_e32 v10, 0
	v_cmp_ne_u16_sdwa s[8:9], v16, v10 src0_sel:BYTE_0 src1_sel:DWORD
	s_andn2_b64 s[4:5], s[4:5], exec
	s_and_b64 s[8:9], s[8:9], exec
	s_or_b64 s[4:5], s[4:5], s[8:9]
	s_or_b64 exec, exec, s[6:7]
	s_and_saveexec_b64 s[6:7], s[4:5]
	s_cbranch_execnz .LBB14_1603
	s_branch .LBB14_1604
.LBB14_3653:
	s_movk_i32 s4, 0x80
	v_cmp_eq_u16_sdwa s[12:13], v12, s4 src0_sel:BYTE_0 src1_sel:DWORD
	s_mov_b64 s[4:5], -1
                                        ; implicit-def: $sgpr10
	s_and_saveexec_b64 s[8:9], s[12:13]
; %bb.3654:
	s_mov_b32 s10, 0x7f800001
	s_xor_b64 s[4:5], exec, -1
; %bb.3655:
	s_or_b64 exec, exec, s[8:9]
	s_and_b64 s[4:5], s[4:5], exec
	s_or_saveexec_b64 s[6:7], s[6:7]
	v_mov_b32_e32 v11, s10
	s_xor_b64 exec, exec, s[6:7]
	s_cbranch_execz .LBB14_1606
.LBB14_3656:
	v_mov_b32_e32 v11, 0
	v_cmp_ne_u16_sdwa s[8:9], v12, v11 src0_sel:BYTE_0 src1_sel:DWORD
	s_andn2_b64 s[4:5], s[4:5], exec
	s_and_b64 s[8:9], s[8:9], exec
	s_or_b64 s[4:5], s[4:5], s[8:9]
	s_or_b64 exec, exec, s[6:7]
	s_and_saveexec_b64 s[6:7], s[4:5]
	s_cbranch_execnz .LBB14_1607
	s_branch .LBB14_1608
.LBB14_3657:
	s_movk_i32 s4, 0x80
	v_cmp_eq_u16_sdwa s[12:13], v11, s4 src0_sel:BYTE_0 src1_sel:DWORD
	s_mov_b64 s[4:5], -1
                                        ; implicit-def: $sgpr10
	s_and_saveexec_b64 s[8:9], s[12:13]
; %bb.3658:
	s_mov_b32 s10, 0x7f800001
	s_xor_b64 s[4:5], exec, -1
; %bb.3659:
	s_or_b64 exec, exec, s[8:9]
	s_and_b64 s[4:5], s[4:5], exec
	s_or_saveexec_b64 s[6:7], s[6:7]
	v_mov_b32_e32 v10, s10
	s_xor_b64 exec, exec, s[6:7]
	s_cbranch_execz .LBB14_1610
.LBB14_3660:
	v_mov_b32_e32 v10, 0
	v_cmp_ne_u16_sdwa s[8:9], v11, v10 src0_sel:BYTE_0 src1_sel:DWORD
	s_andn2_b64 s[4:5], s[4:5], exec
	s_and_b64 s[8:9], s[8:9], exec
	s_or_b64 s[4:5], s[4:5], s[8:9]
	s_or_b64 exec, exec, s[6:7]
	s_and_saveexec_b64 s[6:7], s[4:5]
	s_cbranch_execnz .LBB14_1611
	s_branch .LBB14_1612
.LBB14_3661:
	s_movk_i32 s4, 0x80
	v_cmp_eq_u16_sdwa s[12:13], v11, s4 src0_sel:BYTE_0 src1_sel:DWORD
	s_mov_b64 s[4:5], -1
                                        ; implicit-def: $sgpr10
	s_and_saveexec_b64 s[8:9], s[12:13]
; %bb.3662:
	s_mov_b32 s10, 0x7f800001
	s_xor_b64 s[4:5], exec, -1
; %bb.3663:
	s_or_b64 exec, exec, s[8:9]
	s_and_b64 s[4:5], s[4:5], exec
	s_or_saveexec_b64 s[6:7], s[6:7]
	v_mov_b32_e32 v14, s10
	s_xor_b64 exec, exec, s[6:7]
	s_cbranch_execz .LBB14_1614
.LBB14_3664:
	v_mov_b32_e32 v14, 0
	v_cmp_ne_u16_sdwa s[8:9], v11, v14 src0_sel:BYTE_0 src1_sel:DWORD
	s_andn2_b64 s[4:5], s[4:5], exec
	s_and_b64 s[8:9], s[8:9], exec
	s_or_b64 s[4:5], s[4:5], s[8:9]
	s_or_b64 exec, exec, s[6:7]
	s_and_saveexec_b64 s[6:7], s[4:5]
	s_cbranch_execnz .LBB14_1615
	s_branch .LBB14_1616
.LBB14_3665:
	s_movk_i32 s4, 0x80
	v_cmp_eq_u16_e32 vcc, s4, v11
	s_mov_b64 s[4:5], -1
                                        ; implicit-def: $sgpr10
	s_and_saveexec_b64 s[8:9], vcc
; %bb.3666:
	s_mov_b32 s10, 0x7f800001
	s_xor_b64 s[4:5], exec, -1
; %bb.3667:
	s_or_b64 exec, exec, s[8:9]
	s_and_b64 s[4:5], s[4:5], exec
                                        ; implicit-def: $vgpr11
	s_or_saveexec_b64 s[6:7], s[6:7]
	v_mov_b32_e32 v10, s10
	s_xor_b64 exec, exec, s[6:7]
	s_cbranch_execz .LBB14_1618
.LBB14_3668:
	v_cmp_ne_u16_e32 vcc, 0, v11
	s_andn2_b64 s[4:5], s[4:5], exec
	s_and_b64 s[8:9], vcc, exec
	v_mov_b32_e32 v10, 0
	s_or_b64 s[4:5], s[4:5], s[8:9]
	s_or_b64 exec, exec, s[6:7]
	s_and_saveexec_b64 s[6:7], s[4:5]
	s_cbranch_execnz .LBB14_1619
	s_branch .LBB14_1620
.LBB14_3669:
	s_movk_i32 s4, 0x80
	v_cmp_eq_u16_e32 vcc, s4, v11
	s_mov_b64 s[4:5], -1
                                        ; implicit-def: $sgpr10
	s_and_saveexec_b64 s[8:9], vcc
; %bb.3670:
	s_mov_b32 s10, 0x7f800001
	s_xor_b64 s[4:5], exec, -1
; %bb.3671:
	s_or_b64 exec, exec, s[8:9]
	s_and_b64 s[4:5], s[4:5], exec
                                        ; implicit-def: $vgpr11
	s_or_saveexec_b64 s[6:7], s[6:7]
	v_mov_b32_e32 v14, s10
	s_xor_b64 exec, exec, s[6:7]
	s_cbranch_execz .LBB14_1622
.LBB14_3672:
	v_cmp_ne_u16_e32 vcc, 0, v11
	s_andn2_b64 s[4:5], s[4:5], exec
	s_and_b64 s[8:9], vcc, exec
	v_mov_b32_e32 v14, 0
	s_or_b64 s[4:5], s[4:5], s[8:9]
	s_or_b64 exec, exec, s[6:7]
	s_and_saveexec_b64 s[6:7], s[4:5]
	s_cbranch_execnz .LBB14_1623
	s_branch .LBB14_1624
.LBB14_3673:
	s_movk_i32 s4, 0x80
	v_cmp_eq_u16_sdwa s[12:13], v16, s4 src0_sel:BYTE_3 src1_sel:DWORD
	s_mov_b64 s[4:5], -1
                                        ; implicit-def: $sgpr10
	s_and_saveexec_b64 s[8:9], s[12:13]
; %bb.3674:
	s_mov_b32 s10, 0x7f800001
	s_xor_b64 s[4:5], exec, -1
; %bb.3675:
	s_or_b64 exec, exec, s[8:9]
	s_and_b64 s[4:5], s[4:5], exec
	s_or_saveexec_b64 s[6:7], s[6:7]
	v_mov_b32_e32 v10, s10
	s_xor_b64 exec, exec, s[6:7]
	s_cbranch_execz .LBB14_1626
.LBB14_3676:
	v_mov_b32_e32 v10, 0
	v_cmp_ne_u16_sdwa s[8:9], v16, v10 src0_sel:BYTE_3 src1_sel:DWORD
	s_andn2_b64 s[4:5], s[4:5], exec
	s_and_b64 s[8:9], s[8:9], exec
	s_or_b64 s[4:5], s[4:5], s[8:9]
	s_or_b64 exec, exec, s[6:7]
	s_and_saveexec_b64 s[6:7], s[4:5]
	s_cbranch_execnz .LBB14_1627
	s_branch .LBB14_1628
.LBB14_3677:
	s_movk_i32 s4, 0x80
	v_cmp_eq_u16_sdwa s[12:13], v12, s4 src0_sel:BYTE_3 src1_sel:DWORD
	s_mov_b64 s[4:5], -1
                                        ; implicit-def: $sgpr10
	s_and_saveexec_b64 s[8:9], s[12:13]
; %bb.3678:
	s_mov_b32 s10, 0x7f800001
	s_xor_b64 s[4:5], exec, -1
; %bb.3679:
	s_or_b64 exec, exec, s[8:9]
	s_and_b64 s[4:5], s[4:5], exec
	s_or_saveexec_b64 s[6:7], s[6:7]
	v_mov_b32_e32 v11, s10
	s_xor_b64 exec, exec, s[6:7]
	s_cbranch_execz .LBB14_1630
.LBB14_3680:
	v_mov_b32_e32 v11, 0
	v_cmp_ne_u16_sdwa s[8:9], v12, v11 src0_sel:BYTE_3 src1_sel:DWORD
	s_andn2_b64 s[4:5], s[4:5], exec
	s_and_b64 s[8:9], s[8:9], exec
	s_or_b64 s[4:5], s[4:5], s[8:9]
	s_or_b64 exec, exec, s[6:7]
	s_and_saveexec_b64 s[6:7], s[4:5]
	s_cbranch_execnz .LBB14_1631
	s_branch .LBB14_1632
.LBB14_3681:
	s_movk_i32 s4, 0x80
	v_cmp_eq_u16_sdwa s[12:13], v17, s4 src0_sel:BYTE_0 src1_sel:DWORD
	s_mov_b64 s[4:5], -1
                                        ; implicit-def: $sgpr10
	s_and_saveexec_b64 s[8:9], s[12:13]
; %bb.3682:
	s_mov_b32 s10, 0x7f800001
	s_xor_b64 s[4:5], exec, -1
; %bb.3683:
	s_or_b64 exec, exec, s[8:9]
	s_and_b64 s[4:5], s[4:5], exec
	s_or_saveexec_b64 s[6:7], s[6:7]
	v_mov_b32_e32 v10, s10
	s_xor_b64 exec, exec, s[6:7]
	s_cbranch_execz .LBB14_1634
.LBB14_3684:
	v_mov_b32_e32 v10, 0
	v_cmp_ne_u16_sdwa s[8:9], v17, v10 src0_sel:BYTE_0 src1_sel:DWORD
	s_andn2_b64 s[4:5], s[4:5], exec
	s_and_b64 s[8:9], s[8:9], exec
	s_or_b64 s[4:5], s[4:5], s[8:9]
	s_or_b64 exec, exec, s[6:7]
	s_and_saveexec_b64 s[6:7], s[4:5]
	s_cbranch_execnz .LBB14_1635
	s_branch .LBB14_1636
.LBB14_3685:
	s_movk_i32 s4, 0x80
	v_cmp_eq_u16_sdwa s[12:13], v13, s4 src0_sel:BYTE_0 src1_sel:DWORD
	s_mov_b64 s[4:5], -1
                                        ; implicit-def: $sgpr10
	s_and_saveexec_b64 s[8:9], s[12:13]
; %bb.3686:
	s_mov_b32 s10, 0x7f800001
	s_xor_b64 s[4:5], exec, -1
; %bb.3687:
	s_or_b64 exec, exec, s[8:9]
	s_and_b64 s[4:5], s[4:5], exec
	s_or_saveexec_b64 s[6:7], s[6:7]
	v_mov_b32_e32 v11, s10
	s_xor_b64 exec, exec, s[6:7]
	s_cbranch_execz .LBB14_1638
.LBB14_3688:
	v_mov_b32_e32 v11, 0
	v_cmp_ne_u16_sdwa s[8:9], v13, v11 src0_sel:BYTE_0 src1_sel:DWORD
	s_andn2_b64 s[4:5], s[4:5], exec
	s_and_b64 s[8:9], s[8:9], exec
	s_or_b64 s[4:5], s[4:5], s[8:9]
	s_or_b64 exec, exec, s[6:7]
	s_and_saveexec_b64 s[6:7], s[4:5]
	s_cbranch_execnz .LBB14_1639
	s_branch .LBB14_1640
.LBB14_3689:
	s_movk_i32 s4, 0x80
	v_cmp_eq_u16_sdwa s[12:13], v11, s4 src0_sel:BYTE_0 src1_sel:DWORD
	s_mov_b64 s[4:5], -1
                                        ; implicit-def: $sgpr10
	s_and_saveexec_b64 s[8:9], s[12:13]
; %bb.3690:
	s_mov_b32 s10, 0x7f800001
	s_xor_b64 s[4:5], exec, -1
; %bb.3691:
	s_or_b64 exec, exec, s[8:9]
	s_and_b64 s[4:5], s[4:5], exec
	s_or_saveexec_b64 s[6:7], s[6:7]
	v_mov_b32_e32 v10, s10
	s_xor_b64 exec, exec, s[6:7]
	s_cbranch_execz .LBB14_1642
.LBB14_3692:
	v_mov_b32_e32 v10, 0
	v_cmp_ne_u16_sdwa s[8:9], v11, v10 src0_sel:BYTE_0 src1_sel:DWORD
	s_andn2_b64 s[4:5], s[4:5], exec
	s_and_b64 s[8:9], s[8:9], exec
	s_or_b64 s[4:5], s[4:5], s[8:9]
	s_or_b64 exec, exec, s[6:7]
	s_and_saveexec_b64 s[6:7], s[4:5]
	s_cbranch_execnz .LBB14_1643
	s_branch .LBB14_1644
.LBB14_3693:
	s_movk_i32 s4, 0x80
	v_cmp_eq_u16_sdwa s[12:13], v11, s4 src0_sel:BYTE_0 src1_sel:DWORD
	s_mov_b64 s[4:5], -1
                                        ; implicit-def: $sgpr10
	s_and_saveexec_b64 s[8:9], s[12:13]
; %bb.3694:
	s_mov_b32 s10, 0x7f800001
	s_xor_b64 s[4:5], exec, -1
; %bb.3695:
	s_or_b64 exec, exec, s[8:9]
	s_and_b64 s[4:5], s[4:5], exec
	s_or_saveexec_b64 s[6:7], s[6:7]
	v_mov_b32_e32 v12, s10
	s_xor_b64 exec, exec, s[6:7]
	s_cbranch_execz .LBB14_1646
.LBB14_3696:
	v_mov_b32_e32 v12, 0
	v_cmp_ne_u16_sdwa s[8:9], v11, v12 src0_sel:BYTE_0 src1_sel:DWORD
	s_andn2_b64 s[4:5], s[4:5], exec
	s_and_b64 s[8:9], s[8:9], exec
	s_or_b64 s[4:5], s[4:5], s[8:9]
	s_or_b64 exec, exec, s[6:7]
	s_and_saveexec_b64 s[6:7], s[4:5]
	s_cbranch_execnz .LBB14_1647
	s_branch .LBB14_1648
.LBB14_3697:
	s_movk_i32 s4, 0x80
	v_cmp_eq_u16_e32 vcc, s4, v11
	s_mov_b64 s[4:5], -1
                                        ; implicit-def: $sgpr10
	s_and_saveexec_b64 s[8:9], vcc
; %bb.3698:
	s_mov_b32 s10, 0x7f800001
	s_xor_b64 s[4:5], exec, -1
; %bb.3699:
	s_or_b64 exec, exec, s[8:9]
	s_and_b64 s[4:5], s[4:5], exec
                                        ; implicit-def: $vgpr11
	s_or_saveexec_b64 s[6:7], s[6:7]
	v_mov_b32_e32 v10, s10
	s_xor_b64 exec, exec, s[6:7]
	s_cbranch_execz .LBB14_1650
.LBB14_3700:
	v_cmp_ne_u16_e32 vcc, 0, v11
	s_andn2_b64 s[4:5], s[4:5], exec
	s_and_b64 s[8:9], vcc, exec
	v_mov_b32_e32 v10, 0
	s_or_b64 s[4:5], s[4:5], s[8:9]
	s_or_b64 exec, exec, s[6:7]
	s_and_saveexec_b64 s[6:7], s[4:5]
	s_cbranch_execnz .LBB14_1651
	s_branch .LBB14_1652
.LBB14_3701:
	s_movk_i32 s4, 0x80
	v_cmp_eq_u16_e32 vcc, s4, v11
	s_mov_b64 s[4:5], -1
                                        ; implicit-def: $sgpr10
	s_and_saveexec_b64 s[8:9], vcc
; %bb.3702:
	s_mov_b32 s10, 0x7f800001
	s_xor_b64 s[4:5], exec, -1
; %bb.3703:
	s_or_b64 exec, exec, s[8:9]
	s_and_b64 s[4:5], s[4:5], exec
                                        ; implicit-def: $vgpr11
	s_or_saveexec_b64 s[6:7], s[6:7]
	v_mov_b32_e32 v12, s10
	s_xor_b64 exec, exec, s[6:7]
	s_cbranch_execz .LBB14_1654
.LBB14_3704:
	v_cmp_ne_u16_e32 vcc, 0, v11
	s_andn2_b64 s[4:5], s[4:5], exec
	s_and_b64 s[8:9], vcc, exec
	v_mov_b32_e32 v12, 0
	s_or_b64 s[4:5], s[4:5], s[8:9]
	s_or_b64 exec, exec, s[6:7]
	s_and_saveexec_b64 s[6:7], s[4:5]
	s_cbranch_execnz .LBB14_1655
	s_branch .LBB14_1656
.LBB14_3705:
	s_movk_i32 s4, 0x80
	v_cmp_eq_u16_sdwa s[12:13], v17, s4 src0_sel:BYTE_3 src1_sel:DWORD
	s_mov_b64 s[4:5], -1
                                        ; implicit-def: $sgpr10
	s_and_saveexec_b64 s[8:9], s[12:13]
; %bb.3706:
	s_mov_b32 s10, 0x7f800001
	s_xor_b64 s[4:5], exec, -1
; %bb.3707:
	s_or_b64 exec, exec, s[8:9]
	s_and_b64 s[4:5], s[4:5], exec
	s_or_saveexec_b64 s[6:7], s[6:7]
	v_mov_b32_e32 v10, s10
	s_xor_b64 exec, exec, s[6:7]
	s_cbranch_execz .LBB14_1658
.LBB14_3708:
	v_mov_b32_e32 v10, 0
	v_cmp_ne_u16_sdwa s[8:9], v17, v10 src0_sel:BYTE_3 src1_sel:DWORD
	s_andn2_b64 s[4:5], s[4:5], exec
	s_and_b64 s[8:9], s[8:9], exec
	s_or_b64 s[4:5], s[4:5], s[8:9]
	s_or_b64 exec, exec, s[6:7]
	s_and_saveexec_b64 s[6:7], s[4:5]
	s_cbranch_execnz .LBB14_1659
	s_branch .LBB14_1660
.LBB14_3709:
	s_movk_i32 s4, 0x80
	v_cmp_eq_u16_sdwa s[12:13], v13, s4 src0_sel:BYTE_3 src1_sel:DWORD
	s_mov_b64 s[4:5], -1
                                        ; implicit-def: $sgpr10
	s_and_saveexec_b64 s[8:9], s[12:13]
; %bb.3710:
	s_mov_b32 s10, 0x7f800001
	s_xor_b64 s[4:5], exec, -1
; %bb.3711:
	s_or_b64 exec, exec, s[8:9]
	s_and_b64 s[4:5], s[4:5], exec
	s_or_saveexec_b64 s[6:7], s[6:7]
	v_mov_b32_e32 v11, s10
	s_xor_b64 exec, exec, s[6:7]
	s_cbranch_execz .LBB14_1662
.LBB14_3712:
	v_mov_b32_e32 v11, 0
	v_cmp_ne_u16_sdwa s[8:9], v13, v11 src0_sel:BYTE_3 src1_sel:DWORD
	s_andn2_b64 s[4:5], s[4:5], exec
	s_and_b64 s[8:9], s[8:9], exec
	s_or_b64 s[4:5], s[4:5], s[8:9]
	s_or_b64 exec, exec, s[6:7]
	s_and_saveexec_b64 s[6:7], s[4:5]
	s_cbranch_execnz .LBB14_1663
	s_branch .LBB14_1664
.LBB14_3713:
	s_movk_i32 s4, 0x80
	v_cmp_eq_u16_sdwa s[12:13], v6, s4 src0_sel:BYTE_0 src1_sel:DWORD
	s_mov_b64 s[4:5], -1
                                        ; implicit-def: $sgpr10
	s_and_saveexec_b64 s[8:9], s[12:13]
; %bb.3714:
	s_mov_b32 s10, 0x7f800001
	s_xor_b64 s[4:5], exec, -1
; %bb.3715:
	s_or_b64 exec, exec, s[8:9]
	s_and_b64 s[4:5], s[4:5], exec
	s_or_saveexec_b64 s[6:7], s[6:7]
	v_mov_b32_e32 v10, s10
	s_xor_b64 exec, exec, s[6:7]
	s_cbranch_execz .LBB14_1666
.LBB14_3716:
	v_mov_b32_e32 v10, 0
	v_cmp_ne_u16_sdwa s[8:9], v6, v10 src0_sel:BYTE_0 src1_sel:DWORD
	s_andn2_b64 s[4:5], s[4:5], exec
	s_and_b64 s[8:9], s[8:9], exec
	s_or_b64 s[4:5], s[4:5], s[8:9]
	s_or_b64 exec, exec, s[6:7]
	s_and_saveexec_b64 s[6:7], s[4:5]
	s_cbranch_execnz .LBB14_1667
	s_branch .LBB14_1668
.LBB14_3717:
	s_movk_i32 s4, 0x80
	v_cmp_eq_u16_sdwa s[12:13], v2, s4 src0_sel:BYTE_0 src1_sel:DWORD
	s_mov_b64 s[4:5], -1
                                        ; implicit-def: $sgpr10
	s_and_saveexec_b64 s[8:9], s[12:13]
; %bb.3718:
	s_mov_b32 s10, 0x7f800001
	s_xor_b64 s[4:5], exec, -1
; %bb.3719:
	s_or_b64 exec, exec, s[8:9]
	s_and_b64 s[4:5], s[4:5], exec
	s_or_saveexec_b64 s[6:7], s[6:7]
	v_mov_b32_e32 v11, s10
	s_xor_b64 exec, exec, s[6:7]
	s_cbranch_execz .LBB14_1670
.LBB14_3720:
	v_mov_b32_e32 v11, 0
	v_cmp_ne_u16_sdwa s[8:9], v2, v11 src0_sel:BYTE_0 src1_sel:DWORD
	s_andn2_b64 s[4:5], s[4:5], exec
	s_and_b64 s[8:9], s[8:9], exec
	s_or_b64 s[4:5], s[4:5], s[8:9]
	s_or_b64 exec, exec, s[6:7]
	s_and_saveexec_b64 s[6:7], s[4:5]
	s_cbranch_execnz .LBB14_1671
	s_branch .LBB14_1672
.LBB14_3721:
	s_movk_i32 s4, 0x80
	v_cmp_eq_u16_sdwa s[12:13], v11, s4 src0_sel:BYTE_0 src1_sel:DWORD
	s_mov_b64 s[4:5], -1
                                        ; implicit-def: $sgpr10
	s_and_saveexec_b64 s[8:9], s[12:13]
; %bb.3722:
	s_mov_b32 s10, 0x7f800001
	s_xor_b64 s[4:5], exec, -1
; %bb.3723:
	s_or_b64 exec, exec, s[8:9]
	s_and_b64 s[4:5], s[4:5], exec
	s_or_saveexec_b64 s[6:7], s[6:7]
	v_mov_b32_e32 v10, s10
	s_xor_b64 exec, exec, s[6:7]
	s_cbranch_execz .LBB14_1674
.LBB14_3724:
	v_mov_b32_e32 v10, 0
	v_cmp_ne_u16_sdwa s[8:9], v11, v10 src0_sel:BYTE_0 src1_sel:DWORD
	s_andn2_b64 s[4:5], s[4:5], exec
	s_and_b64 s[8:9], s[8:9], exec
	s_or_b64 s[4:5], s[4:5], s[8:9]
	s_or_b64 exec, exec, s[6:7]
	s_and_saveexec_b64 s[6:7], s[4:5]
	s_cbranch_execnz .LBB14_1675
	s_branch .LBB14_1676
.LBB14_3725:
	s_movk_i32 s4, 0x80
	v_cmp_eq_u16_sdwa s[12:13], v11, s4 src0_sel:BYTE_0 src1_sel:DWORD
	s_mov_b64 s[4:5], -1
                                        ; implicit-def: $sgpr10
	s_and_saveexec_b64 s[8:9], s[12:13]
; %bb.3726:
	s_mov_b32 s10, 0x7f800001
	s_xor_b64 s[4:5], exec, -1
; %bb.3727:
	s_or_b64 exec, exec, s[8:9]
	s_and_b64 s[4:5], s[4:5], exec
	s_or_saveexec_b64 s[6:7], s[6:7]
	v_mov_b32_e32 v12, s10
	s_xor_b64 exec, exec, s[6:7]
	s_cbranch_execz .LBB14_1678
.LBB14_3728:
	v_mov_b32_e32 v12, 0
	v_cmp_ne_u16_sdwa s[8:9], v11, v12 src0_sel:BYTE_0 src1_sel:DWORD
	s_andn2_b64 s[4:5], s[4:5], exec
	s_and_b64 s[8:9], s[8:9], exec
	s_or_b64 s[4:5], s[4:5], s[8:9]
	s_or_b64 exec, exec, s[6:7]
	s_and_saveexec_b64 s[6:7], s[4:5]
	s_cbranch_execnz .LBB14_1679
	s_branch .LBB14_1680
.LBB14_3729:
	s_movk_i32 s4, 0x80
	v_cmp_eq_u16_e32 vcc, s4, v11
	s_mov_b64 s[4:5], -1
                                        ; implicit-def: $sgpr10
	s_and_saveexec_b64 s[8:9], vcc
; %bb.3730:
	s_mov_b32 s10, 0x7f800001
	s_xor_b64 s[4:5], exec, -1
; %bb.3731:
	s_or_b64 exec, exec, s[8:9]
	s_and_b64 s[4:5], s[4:5], exec
                                        ; implicit-def: $vgpr11
	s_or_saveexec_b64 s[6:7], s[6:7]
	v_mov_b32_e32 v10, s10
	s_xor_b64 exec, exec, s[6:7]
	s_cbranch_execz .LBB14_1682
.LBB14_3732:
	v_cmp_ne_u16_e32 vcc, 0, v11
	s_andn2_b64 s[4:5], s[4:5], exec
	s_and_b64 s[8:9], vcc, exec
	v_mov_b32_e32 v10, 0
	s_or_b64 s[4:5], s[4:5], s[8:9]
	s_or_b64 exec, exec, s[6:7]
	s_and_saveexec_b64 s[6:7], s[4:5]
	s_cbranch_execnz .LBB14_1683
	s_branch .LBB14_1684
.LBB14_3733:
	s_movk_i32 s4, 0x80
	v_cmp_eq_u16_e32 vcc, s4, v11
	s_mov_b64 s[4:5], -1
                                        ; implicit-def: $sgpr10
	s_and_saveexec_b64 s[8:9], vcc
; %bb.3734:
	s_mov_b32 s10, 0x7f800001
	s_xor_b64 s[4:5], exec, -1
; %bb.3735:
	s_or_b64 exec, exec, s[8:9]
	s_and_b64 s[4:5], s[4:5], exec
                                        ; implicit-def: $vgpr11
	s_or_saveexec_b64 s[6:7], s[6:7]
	v_mov_b32_e32 v12, s10
	s_xor_b64 exec, exec, s[6:7]
	s_cbranch_execz .LBB14_1686
.LBB14_3736:
	v_cmp_ne_u16_e32 vcc, 0, v11
	s_andn2_b64 s[4:5], s[4:5], exec
	s_and_b64 s[8:9], vcc, exec
	v_mov_b32_e32 v12, 0
	s_or_b64 s[4:5], s[4:5], s[8:9]
	s_or_b64 exec, exec, s[6:7]
	s_and_saveexec_b64 s[6:7], s[4:5]
	s_cbranch_execnz .LBB14_1687
	s_branch .LBB14_1688
.LBB14_3737:
	s_movk_i32 s4, 0x80
	v_cmp_eq_u16_sdwa s[12:13], v6, s4 src0_sel:BYTE_3 src1_sel:DWORD
	s_mov_b64 s[4:5], -1
                                        ; implicit-def: $sgpr10
	s_and_saveexec_b64 s[8:9], s[12:13]
; %bb.3738:
	s_mov_b32 s10, 0x7f800001
	s_xor_b64 s[4:5], exec, -1
; %bb.3739:
	s_or_b64 exec, exec, s[8:9]
	s_and_b64 s[4:5], s[4:5], exec
	s_or_saveexec_b64 s[6:7], s[6:7]
	v_mov_b32_e32 v10, s10
	s_xor_b64 exec, exec, s[6:7]
	s_cbranch_execz .LBB14_1690
.LBB14_3740:
	v_mov_b32_e32 v10, 0
	v_cmp_ne_u16_sdwa s[8:9], v6, v10 src0_sel:BYTE_3 src1_sel:DWORD
	s_andn2_b64 s[4:5], s[4:5], exec
	s_and_b64 s[8:9], s[8:9], exec
	s_or_b64 s[4:5], s[4:5], s[8:9]
	s_or_b64 exec, exec, s[6:7]
	s_and_saveexec_b64 s[6:7], s[4:5]
	s_cbranch_execnz .LBB14_1691
	s_branch .LBB14_1692
.LBB14_3741:
	s_movk_i32 s4, 0x80
	v_cmp_eq_u16_sdwa s[12:13], v2, s4 src0_sel:BYTE_3 src1_sel:DWORD
	s_mov_b64 s[4:5], -1
                                        ; implicit-def: $sgpr10
	s_and_saveexec_b64 s[8:9], s[12:13]
; %bb.3742:
	s_mov_b32 s10, 0x7f800001
	s_xor_b64 s[4:5], exec, -1
; %bb.3743:
	s_or_b64 exec, exec, s[8:9]
	s_and_b64 s[4:5], s[4:5], exec
	s_or_saveexec_b64 s[6:7], s[6:7]
	v_mov_b32_e32 v6, s10
	s_xor_b64 exec, exec, s[6:7]
	s_cbranch_execz .LBB14_1694
.LBB14_3744:
	v_mov_b32_e32 v6, 0
	v_cmp_ne_u16_sdwa s[8:9], v2, v6 src0_sel:BYTE_3 src1_sel:DWORD
	s_andn2_b64 s[4:5], s[4:5], exec
	s_and_b64 s[8:9], s[8:9], exec
	s_or_b64 s[4:5], s[4:5], s[8:9]
	s_or_b64 exec, exec, s[6:7]
	s_and_saveexec_b64 s[6:7], s[4:5]
	s_cbranch_execnz .LBB14_1695
	s_branch .LBB14_1696
.LBB14_3745:
	s_movk_i32 s4, 0x80
	v_cmp_eq_u16_sdwa s[12:13], v7, s4 src0_sel:BYTE_0 src1_sel:DWORD
	s_mov_b64 s[4:5], -1
                                        ; implicit-def: $sgpr10
	s_and_saveexec_b64 s[8:9], s[12:13]
; %bb.3746:
	s_mov_b32 s10, 0x7f800001
	s_xor_b64 s[4:5], exec, -1
; %bb.3747:
	s_or_b64 exec, exec, s[8:9]
	s_and_b64 s[4:5], s[4:5], exec
	s_or_saveexec_b64 s[6:7], s[6:7]
	v_mov_b32_e32 v2, s10
	s_xor_b64 exec, exec, s[6:7]
	s_cbranch_execz .LBB14_1698
.LBB14_3748:
	v_mov_b32_e32 v2, 0
	v_cmp_ne_u16_sdwa s[8:9], v7, v2 src0_sel:BYTE_0 src1_sel:DWORD
	s_andn2_b64 s[4:5], s[4:5], exec
	s_and_b64 s[8:9], s[8:9], exec
	s_or_b64 s[4:5], s[4:5], s[8:9]
	s_or_b64 exec, exec, s[6:7]
	s_and_saveexec_b64 s[6:7], s[4:5]
	s_cbranch_execnz .LBB14_1699
	s_branch .LBB14_1700
.LBB14_3749:
	s_movk_i32 s4, 0x80
	v_cmp_eq_u16_sdwa s[12:13], v3, s4 src0_sel:BYTE_0 src1_sel:DWORD
	s_mov_b64 s[4:5], -1
                                        ; implicit-def: $sgpr10
	s_and_saveexec_b64 s[8:9], s[12:13]
; %bb.3750:
	s_mov_b32 s10, 0x7f800001
	s_xor_b64 s[4:5], exec, -1
; %bb.3751:
	s_or_b64 exec, exec, s[8:9]
	s_and_b64 s[4:5], s[4:5], exec
	s_or_saveexec_b64 s[6:7], s[6:7]
	v_mov_b32_e32 v6, s10
	s_xor_b64 exec, exec, s[6:7]
	s_cbranch_execz .LBB14_1702
.LBB14_3752:
	v_mov_b32_e32 v6, 0
	v_cmp_ne_u16_sdwa s[8:9], v3, v6 src0_sel:BYTE_0 src1_sel:DWORD
	s_andn2_b64 s[4:5], s[4:5], exec
	s_and_b64 s[8:9], s[8:9], exec
	s_or_b64 s[4:5], s[4:5], s[8:9]
	s_or_b64 exec, exec, s[6:7]
	s_and_saveexec_b64 s[6:7], s[4:5]
	s_cbranch_execnz .LBB14_1703
	s_branch .LBB14_1704
.LBB14_3753:
	s_movk_i32 s4, 0x80
	v_cmp_eq_u16_sdwa s[12:13], v6, s4 src0_sel:BYTE_0 src1_sel:DWORD
	s_mov_b64 s[4:5], -1
                                        ; implicit-def: $sgpr10
	s_and_saveexec_b64 s[8:9], s[12:13]
; %bb.3754:
	s_mov_b32 s10, 0x7f800001
	s_xor_b64 s[4:5], exec, -1
; %bb.3755:
	s_or_b64 exec, exec, s[8:9]
	s_and_b64 s[4:5], s[4:5], exec
	s_or_saveexec_b64 s[6:7], s[6:7]
	v_mov_b32_e32 v2, s10
	s_xor_b64 exec, exec, s[6:7]
	s_cbranch_execz .LBB14_1706
.LBB14_3756:
	v_mov_b32_e32 v2, 0
	v_cmp_ne_u16_sdwa s[8:9], v6, v2 src0_sel:BYTE_0 src1_sel:DWORD
	s_andn2_b64 s[4:5], s[4:5], exec
	s_and_b64 s[8:9], s[8:9], exec
	s_or_b64 s[4:5], s[4:5], s[8:9]
	s_or_b64 exec, exec, s[6:7]
	s_and_saveexec_b64 s[6:7], s[4:5]
	s_cbranch_execnz .LBB14_1707
	s_branch .LBB14_1708
.LBB14_3757:
	s_movk_i32 s4, 0x80
	v_cmp_eq_u16_sdwa s[12:13], v6, s4 src0_sel:BYTE_0 src1_sel:DWORD
	s_mov_b64 s[4:5], -1
                                        ; implicit-def: $sgpr10
	s_and_saveexec_b64 s[8:9], s[12:13]
; %bb.3758:
	s_mov_b32 s10, 0x7f800001
	s_xor_b64 s[4:5], exec, -1
; %bb.3759:
	s_or_b64 exec, exec, s[8:9]
	s_and_b64 s[4:5], s[4:5], exec
	s_or_saveexec_b64 s[6:7], s[6:7]
	v_mov_b32_e32 v10, s10
	s_xor_b64 exec, exec, s[6:7]
	s_cbranch_execz .LBB14_1710
.LBB14_3760:
	v_mov_b32_e32 v10, 0
	v_cmp_ne_u16_sdwa s[8:9], v6, v10 src0_sel:BYTE_0 src1_sel:DWORD
	s_andn2_b64 s[4:5], s[4:5], exec
	s_and_b64 s[8:9], s[8:9], exec
	s_or_b64 s[4:5], s[4:5], s[8:9]
	s_or_b64 exec, exec, s[6:7]
	s_and_saveexec_b64 s[6:7], s[4:5]
	s_cbranch_execnz .LBB14_1711
	s_branch .LBB14_1712
.LBB14_3761:
	s_movk_i32 s4, 0x80
	v_cmp_eq_u16_e32 vcc, s4, v6
	s_mov_b64 s[4:5], -1
                                        ; implicit-def: $sgpr10
	s_and_saveexec_b64 s[8:9], vcc
; %bb.3762:
	s_mov_b32 s10, 0x7f800001
	s_xor_b64 s[4:5], exec, -1
; %bb.3763:
	s_or_b64 exec, exec, s[8:9]
	s_and_b64 s[4:5], s[4:5], exec
                                        ; implicit-def: $vgpr6
	s_or_saveexec_b64 s[6:7], s[6:7]
	v_mov_b32_e32 v2, s10
	s_xor_b64 exec, exec, s[6:7]
	s_cbranch_execz .LBB14_1714
.LBB14_3764:
	v_cmp_ne_u16_e32 vcc, 0, v6
	s_andn2_b64 s[4:5], s[4:5], exec
	s_and_b64 s[8:9], vcc, exec
	v_mov_b32_e32 v2, 0
	s_or_b64 s[4:5], s[4:5], s[8:9]
	s_or_b64 exec, exec, s[6:7]
	s_and_saveexec_b64 s[6:7], s[4:5]
	s_cbranch_execnz .LBB14_1715
	s_branch .LBB14_1716
.LBB14_3765:
	s_movk_i32 s4, 0x80
	v_cmp_eq_u16_e32 vcc, s4, v6
	s_mov_b64 s[4:5], -1
                                        ; implicit-def: $sgpr10
	s_and_saveexec_b64 s[8:9], vcc
; %bb.3766:
	s_mov_b32 s10, 0x7f800001
	s_xor_b64 s[4:5], exec, -1
; %bb.3767:
	s_or_b64 exec, exec, s[8:9]
	s_and_b64 s[4:5], s[4:5], exec
                                        ; implicit-def: $vgpr6
	s_or_saveexec_b64 s[6:7], s[6:7]
	v_mov_b32_e32 v10, s10
	s_xor_b64 exec, exec, s[6:7]
	s_cbranch_execz .LBB14_1718
.LBB14_3768:
	v_cmp_ne_u16_e32 vcc, 0, v6
	s_andn2_b64 s[4:5], s[4:5], exec
	s_and_b64 s[8:9], vcc, exec
	v_mov_b32_e32 v10, 0
	s_or_b64 s[4:5], s[4:5], s[8:9]
	s_or_b64 exec, exec, s[6:7]
	s_and_saveexec_b64 s[6:7], s[4:5]
	s_cbranch_execnz .LBB14_1719
	s_branch .LBB14_1720
.LBB14_3769:
	s_movk_i32 s4, 0x80
	v_cmp_eq_u16_sdwa s[12:13], v7, s4 src0_sel:BYTE_3 src1_sel:DWORD
	s_mov_b64 s[4:5], -1
                                        ; implicit-def: $sgpr10
	s_and_saveexec_b64 s[8:9], s[12:13]
; %bb.3770:
	s_mov_b32 s10, 0x7f800001
	s_xor_b64 s[4:5], exec, -1
; %bb.3771:
	s_or_b64 exec, exec, s[8:9]
	s_and_b64 s[4:5], s[4:5], exec
	s_or_saveexec_b64 s[6:7], s[6:7]
	v_mov_b32_e32 v2, s10
	s_xor_b64 exec, exec, s[6:7]
	s_cbranch_execz .LBB14_1722
.LBB14_3772:
	v_mov_b32_e32 v2, 0
	v_cmp_ne_u16_sdwa s[8:9], v7, v2 src0_sel:BYTE_3 src1_sel:DWORD
	s_andn2_b64 s[4:5], s[4:5], exec
	s_and_b64 s[8:9], s[8:9], exec
	s_or_b64 s[4:5], s[4:5], s[8:9]
	s_or_b64 exec, exec, s[6:7]
	s_and_saveexec_b64 s[6:7], s[4:5]
	s_cbranch_execnz .LBB14_1723
	s_branch .LBB14_1724
.LBB14_3773:
	s_movk_i32 s4, 0x80
	v_cmp_eq_u16_sdwa s[12:13], v3, s4 src0_sel:BYTE_3 src1_sel:DWORD
	s_mov_b64 s[4:5], -1
                                        ; implicit-def: $sgpr10
	s_and_saveexec_b64 s[8:9], s[12:13]
; %bb.3774:
	s_mov_b32 s10, 0x7f800001
	s_xor_b64 s[4:5], exec, -1
; %bb.3775:
	s_or_b64 exec, exec, s[8:9]
	s_and_b64 s[4:5], s[4:5], exec
	s_or_saveexec_b64 s[6:7], s[6:7]
	v_mov_b32_e32 v6, s10
	s_xor_b64 exec, exec, s[6:7]
	s_cbranch_execz .LBB14_1726
.LBB14_3776:
	v_mov_b32_e32 v6, 0
	v_cmp_ne_u16_sdwa s[8:9], v3, v6 src0_sel:BYTE_3 src1_sel:DWORD
	s_andn2_b64 s[4:5], s[4:5], exec
	s_and_b64 s[8:9], s[8:9], exec
	s_or_b64 s[4:5], s[4:5], s[8:9]
	s_or_b64 exec, exec, s[6:7]
	s_and_saveexec_b64 s[6:7], s[4:5]
	s_cbranch_execnz .LBB14_1727
	s_branch .LBB14_1728
.LBB14_3777:
	s_movk_i32 s4, 0x80
	v_cmp_eq_u16_sdwa s[12:13], v8, s4 src0_sel:BYTE_0 src1_sel:DWORD
	s_mov_b64 s[4:5], -1
                                        ; implicit-def: $sgpr10
	s_and_saveexec_b64 s[8:9], s[12:13]
; %bb.3778:
	s_mov_b32 s10, 0x7f800001
	s_xor_b64 s[4:5], exec, -1
; %bb.3779:
	s_or_b64 exec, exec, s[8:9]
	s_and_b64 s[4:5], s[4:5], exec
	s_or_saveexec_b64 s[6:7], s[6:7]
	v_mov_b32_e32 v2, s10
	s_xor_b64 exec, exec, s[6:7]
	s_cbranch_execz .LBB14_1730
.LBB14_3780:
	v_mov_b32_e32 v2, 0
	v_cmp_ne_u16_sdwa s[8:9], v8, v2 src0_sel:BYTE_0 src1_sel:DWORD
	s_andn2_b64 s[4:5], s[4:5], exec
	s_and_b64 s[8:9], s[8:9], exec
	s_or_b64 s[4:5], s[4:5], s[8:9]
	s_or_b64 exec, exec, s[6:7]
	s_and_saveexec_b64 s[6:7], s[4:5]
	s_cbranch_execnz .LBB14_1731
	s_branch .LBB14_1732
.LBB14_3781:
	s_movk_i32 s4, 0x80
	v_cmp_eq_u16_sdwa s[12:13], v4, s4 src0_sel:BYTE_0 src1_sel:DWORD
	s_mov_b64 s[4:5], -1
                                        ; implicit-def: $sgpr10
	s_and_saveexec_b64 s[8:9], s[12:13]
; %bb.3782:
	s_mov_b32 s10, 0x7f800001
	s_xor_b64 s[4:5], exec, -1
; %bb.3783:
	s_or_b64 exec, exec, s[8:9]
	s_and_b64 s[4:5], s[4:5], exec
	s_or_saveexec_b64 s[6:7], s[6:7]
	v_mov_b32_e32 v3, s10
	s_xor_b64 exec, exec, s[6:7]
	s_cbranch_execz .LBB14_1734
.LBB14_3784:
	v_mov_b32_e32 v3, 0
	v_cmp_ne_u16_sdwa s[8:9], v4, v3 src0_sel:BYTE_0 src1_sel:DWORD
	s_andn2_b64 s[4:5], s[4:5], exec
	s_and_b64 s[8:9], s[8:9], exec
	s_or_b64 s[4:5], s[4:5], s[8:9]
	s_or_b64 exec, exec, s[6:7]
	s_and_saveexec_b64 s[6:7], s[4:5]
	s_cbranch_execnz .LBB14_1735
	s_branch .LBB14_1736
.LBB14_3785:
	s_movk_i32 s4, 0x80
	v_cmp_eq_u16_sdwa s[12:13], v3, s4 src0_sel:BYTE_0 src1_sel:DWORD
	s_mov_b64 s[4:5], -1
                                        ; implicit-def: $sgpr10
	s_and_saveexec_b64 s[8:9], s[12:13]
; %bb.3786:
	s_mov_b32 s10, 0x7f800001
	s_xor_b64 s[4:5], exec, -1
; %bb.3787:
	s_or_b64 exec, exec, s[8:9]
	s_and_b64 s[4:5], s[4:5], exec
	s_or_saveexec_b64 s[6:7], s[6:7]
	v_mov_b32_e32 v2, s10
	s_xor_b64 exec, exec, s[6:7]
	s_cbranch_execz .LBB14_1738
.LBB14_3788:
	v_mov_b32_e32 v2, 0
	v_cmp_ne_u16_sdwa s[8:9], v3, v2 src0_sel:BYTE_0 src1_sel:DWORD
	s_andn2_b64 s[4:5], s[4:5], exec
	s_and_b64 s[8:9], s[8:9], exec
	s_or_b64 s[4:5], s[4:5], s[8:9]
	s_or_b64 exec, exec, s[6:7]
	s_and_saveexec_b64 s[6:7], s[4:5]
	s_cbranch_execnz .LBB14_1739
	s_branch .LBB14_1740
.LBB14_3789:
	s_movk_i32 s4, 0x80
	v_cmp_eq_u16_sdwa s[12:13], v3, s4 src0_sel:BYTE_0 src1_sel:DWORD
	s_mov_b64 s[4:5], -1
                                        ; implicit-def: $sgpr10
	s_and_saveexec_b64 s[8:9], s[12:13]
; %bb.3790:
	s_mov_b32 s10, 0x7f800001
	s_xor_b64 s[4:5], exec, -1
; %bb.3791:
	s_or_b64 exec, exec, s[8:9]
	s_and_b64 s[4:5], s[4:5], exec
	s_or_saveexec_b64 s[6:7], s[6:7]
	v_mov_b32_e32 v6, s10
	s_xor_b64 exec, exec, s[6:7]
	s_cbranch_execz .LBB14_1742
.LBB14_3792:
	v_mov_b32_e32 v6, 0
	v_cmp_ne_u16_sdwa s[8:9], v3, v6 src0_sel:BYTE_0 src1_sel:DWORD
	s_andn2_b64 s[4:5], s[4:5], exec
	s_and_b64 s[8:9], s[8:9], exec
	s_or_b64 s[4:5], s[4:5], s[8:9]
	s_or_b64 exec, exec, s[6:7]
	s_and_saveexec_b64 s[6:7], s[4:5]
	s_cbranch_execnz .LBB14_1743
	s_branch .LBB14_1744
.LBB14_3793:
	s_movk_i32 s4, 0x80
	v_cmp_eq_u16_e32 vcc, s4, v3
	s_mov_b64 s[4:5], -1
                                        ; implicit-def: $sgpr10
	s_and_saveexec_b64 s[8:9], vcc
; %bb.3794:
	s_mov_b32 s10, 0x7f800001
	s_xor_b64 s[4:5], exec, -1
; %bb.3795:
	s_or_b64 exec, exec, s[8:9]
	s_and_b64 s[4:5], s[4:5], exec
                                        ; implicit-def: $vgpr3
	s_or_saveexec_b64 s[6:7], s[6:7]
	v_mov_b32_e32 v2, s10
	s_xor_b64 exec, exec, s[6:7]
	s_cbranch_execz .LBB14_1746
.LBB14_3796:
	v_cmp_ne_u16_e32 vcc, 0, v3
	s_andn2_b64 s[4:5], s[4:5], exec
	s_and_b64 s[8:9], vcc, exec
	v_mov_b32_e32 v2, 0
	s_or_b64 s[4:5], s[4:5], s[8:9]
	s_or_b64 exec, exec, s[6:7]
	s_and_saveexec_b64 s[6:7], s[4:5]
	s_cbranch_execnz .LBB14_1747
	s_branch .LBB14_1748
.LBB14_3797:
	s_movk_i32 s4, 0x80
	v_cmp_eq_u16_e32 vcc, s4, v3
	s_mov_b64 s[4:5], -1
                                        ; implicit-def: $sgpr10
	s_and_saveexec_b64 s[8:9], vcc
; %bb.3798:
	s_mov_b32 s10, 0x7f800001
	s_xor_b64 s[4:5], exec, -1
; %bb.3799:
	s_or_b64 exec, exec, s[8:9]
	s_and_b64 s[4:5], s[4:5], exec
                                        ; implicit-def: $vgpr3
	s_or_saveexec_b64 s[6:7], s[6:7]
	v_mov_b32_e32 v6, s10
	s_xor_b64 exec, exec, s[6:7]
	s_cbranch_execz .LBB14_1750
.LBB14_3800:
	v_cmp_ne_u16_e32 vcc, 0, v3
	s_andn2_b64 s[4:5], s[4:5], exec
	s_and_b64 s[8:9], vcc, exec
	v_mov_b32_e32 v6, 0
	s_or_b64 s[4:5], s[4:5], s[8:9]
	s_or_b64 exec, exec, s[6:7]
	s_and_saveexec_b64 s[6:7], s[4:5]
	s_cbranch_execnz .LBB14_1751
	s_branch .LBB14_1752
.LBB14_3801:
	s_movk_i32 s4, 0x80
	v_cmp_eq_u16_sdwa s[12:13], v8, s4 src0_sel:BYTE_3 src1_sel:DWORD
	s_mov_b64 s[4:5], -1
                                        ; implicit-def: $sgpr10
	s_and_saveexec_b64 s[8:9], s[12:13]
; %bb.3802:
	s_mov_b32 s10, 0x7f800001
	s_xor_b64 s[4:5], exec, -1
; %bb.3803:
	s_or_b64 exec, exec, s[8:9]
	s_and_b64 s[4:5], s[4:5], exec
	s_or_saveexec_b64 s[6:7], s[6:7]
	v_mov_b32_e32 v2, s10
	s_xor_b64 exec, exec, s[6:7]
	s_cbranch_execz .LBB14_1754
.LBB14_3804:
	v_mov_b32_e32 v2, 0
	v_cmp_ne_u16_sdwa s[8:9], v8, v2 src0_sel:BYTE_3 src1_sel:DWORD
	s_andn2_b64 s[4:5], s[4:5], exec
	s_and_b64 s[8:9], s[8:9], exec
	s_or_b64 s[4:5], s[4:5], s[8:9]
	s_or_b64 exec, exec, s[6:7]
	s_and_saveexec_b64 s[6:7], s[4:5]
	s_cbranch_execnz .LBB14_1755
	s_branch .LBB14_1756
.LBB14_3805:
	s_movk_i32 s4, 0x80
	v_cmp_eq_u16_sdwa s[12:13], v4, s4 src0_sel:BYTE_3 src1_sel:DWORD
	s_mov_b64 s[4:5], -1
                                        ; implicit-def: $sgpr10
	s_and_saveexec_b64 s[8:9], s[12:13]
; %bb.3806:
	s_mov_b32 s10, 0x7f800001
	s_xor_b64 s[4:5], exec, -1
; %bb.3807:
	s_or_b64 exec, exec, s[8:9]
	s_and_b64 s[4:5], s[4:5], exec
	s_or_saveexec_b64 s[6:7], s[6:7]
	v_mov_b32_e32 v3, s10
	s_xor_b64 exec, exec, s[6:7]
	s_cbranch_execz .LBB14_1758
.LBB14_3808:
	v_mov_b32_e32 v3, 0
	v_cmp_ne_u16_sdwa s[8:9], v4, v3 src0_sel:BYTE_3 src1_sel:DWORD
	s_andn2_b64 s[4:5], s[4:5], exec
	s_and_b64 s[8:9], s[8:9], exec
	s_or_b64 s[4:5], s[4:5], s[8:9]
	s_or_b64 exec, exec, s[6:7]
	s_and_saveexec_b64 s[6:7], s[4:5]
	s_cbranch_execnz .LBB14_1759
	s_branch .LBB14_1760
.LBB14_3809:
	s_movk_i32 s4, 0x80
	v_cmp_eq_u16_sdwa s[12:13], v9, s4 src0_sel:BYTE_0 src1_sel:DWORD
	s_mov_b64 s[4:5], -1
                                        ; implicit-def: $sgpr10
	s_and_saveexec_b64 s[8:9], s[12:13]
; %bb.3810:
	s_mov_b32 s10, 0x7f800001
	s_xor_b64 s[4:5], exec, -1
; %bb.3811:
	s_or_b64 exec, exec, s[8:9]
	s_and_b64 s[4:5], s[4:5], exec
	s_or_saveexec_b64 s[6:7], s[6:7]
	v_mov_b32_e32 v2, s10
	s_xor_b64 exec, exec, s[6:7]
	s_cbranch_execz .LBB14_1762
.LBB14_3812:
	v_mov_b32_e32 v2, 0
	v_cmp_ne_u16_sdwa s[8:9], v9, v2 src0_sel:BYTE_0 src1_sel:DWORD
	s_andn2_b64 s[4:5], s[4:5], exec
	s_and_b64 s[8:9], s[8:9], exec
	s_or_b64 s[4:5], s[4:5], s[8:9]
	s_or_b64 exec, exec, s[6:7]
	s_and_saveexec_b64 s[6:7], s[4:5]
	s_cbranch_execnz .LBB14_1763
	s_branch .LBB14_1764
.LBB14_3813:
	s_movk_i32 s4, 0x80
	v_cmp_eq_u16_sdwa s[12:13], v5, s4 src0_sel:BYTE_0 src1_sel:DWORD
	s_mov_b64 s[4:5], -1
                                        ; implicit-def: $sgpr10
	s_and_saveexec_b64 s[8:9], s[12:13]
; %bb.3814:
	s_mov_b32 s10, 0x7f800001
	s_xor_b64 s[4:5], exec, -1
; %bb.3815:
	s_or_b64 exec, exec, s[8:9]
	s_and_b64 s[4:5], s[4:5], exec
	s_or_saveexec_b64 s[6:7], s[6:7]
	v_mov_b32_e32 v3, s10
	s_xor_b64 exec, exec, s[6:7]
	s_cbranch_execz .LBB14_1766
.LBB14_3816:
	v_mov_b32_e32 v3, 0
	v_cmp_ne_u16_sdwa s[8:9], v5, v3 src0_sel:BYTE_0 src1_sel:DWORD
	s_andn2_b64 s[4:5], s[4:5], exec
	s_and_b64 s[8:9], s[8:9], exec
	s_or_b64 s[4:5], s[4:5], s[8:9]
	s_or_b64 exec, exec, s[6:7]
	s_and_saveexec_b64 s[6:7], s[4:5]
	s_cbranch_execnz .LBB14_1767
	s_branch .LBB14_1768
.LBB14_3817:
	s_movk_i32 s4, 0x80
	v_cmp_eq_u16_sdwa s[12:13], v3, s4 src0_sel:BYTE_0 src1_sel:DWORD
	s_mov_b64 s[4:5], -1
                                        ; implicit-def: $sgpr10
	s_and_saveexec_b64 s[8:9], s[12:13]
; %bb.3818:
	s_mov_b32 s10, 0x7f800001
	s_xor_b64 s[4:5], exec, -1
; %bb.3819:
	s_or_b64 exec, exec, s[8:9]
	s_and_b64 s[4:5], s[4:5], exec
	s_or_saveexec_b64 s[6:7], s[6:7]
	v_mov_b32_e32 v2, s10
	s_xor_b64 exec, exec, s[6:7]
	s_cbranch_execz .LBB14_1770
.LBB14_3820:
	v_mov_b32_e32 v2, 0
	v_cmp_ne_u16_sdwa s[8:9], v3, v2 src0_sel:BYTE_0 src1_sel:DWORD
	s_andn2_b64 s[4:5], s[4:5], exec
	s_and_b64 s[8:9], s[8:9], exec
	s_or_b64 s[4:5], s[4:5], s[8:9]
	s_or_b64 exec, exec, s[6:7]
	s_and_saveexec_b64 s[6:7], s[4:5]
	s_cbranch_execnz .LBB14_1771
	s_branch .LBB14_1772
.LBB14_3821:
	s_movk_i32 s4, 0x80
	v_cmp_eq_u16_sdwa s[12:13], v3, s4 src0_sel:BYTE_0 src1_sel:DWORD
	s_mov_b64 s[4:5], -1
                                        ; implicit-def: $sgpr10
	s_and_saveexec_b64 s[8:9], s[12:13]
; %bb.3822:
	s_mov_b32 s10, 0x7f800001
	s_xor_b64 s[4:5], exec, -1
; %bb.3823:
	s_or_b64 exec, exec, s[8:9]
	s_and_b64 s[4:5], s[4:5], exec
	s_or_saveexec_b64 s[6:7], s[6:7]
	v_mov_b32_e32 v4, s10
	s_xor_b64 exec, exec, s[6:7]
	s_cbranch_execz .LBB14_1774
.LBB14_3824:
	v_mov_b32_e32 v4, 0
	v_cmp_ne_u16_sdwa s[8:9], v3, v4 src0_sel:BYTE_0 src1_sel:DWORD
	s_andn2_b64 s[4:5], s[4:5], exec
	s_and_b64 s[8:9], s[8:9], exec
	s_or_b64 s[4:5], s[4:5], s[8:9]
	s_or_b64 exec, exec, s[6:7]
	s_and_saveexec_b64 s[6:7], s[4:5]
	s_cbranch_execnz .LBB14_1775
	s_branch .LBB14_1776
.LBB14_3825:
	s_movk_i32 s4, 0x80
	v_cmp_eq_u16_e32 vcc, s4, v3
	s_mov_b64 s[4:5], -1
                                        ; implicit-def: $sgpr10
	s_and_saveexec_b64 s[8:9], vcc
; %bb.3826:
	s_mov_b32 s10, 0x7f800001
	s_xor_b64 s[4:5], exec, -1
; %bb.3827:
	s_or_b64 exec, exec, s[8:9]
	s_and_b64 s[4:5], s[4:5], exec
                                        ; implicit-def: $vgpr3
	s_or_saveexec_b64 s[6:7], s[6:7]
	v_mov_b32_e32 v2, s10
	s_xor_b64 exec, exec, s[6:7]
	s_cbranch_execz .LBB14_1778
.LBB14_3828:
	v_cmp_ne_u16_e32 vcc, 0, v3
	s_andn2_b64 s[4:5], s[4:5], exec
	s_and_b64 s[8:9], vcc, exec
	v_mov_b32_e32 v2, 0
	s_or_b64 s[4:5], s[4:5], s[8:9]
	s_or_b64 exec, exec, s[6:7]
	s_and_saveexec_b64 s[6:7], s[4:5]
	s_cbranch_execnz .LBB14_1779
	s_branch .LBB14_1780
.LBB14_3829:
	s_movk_i32 s4, 0x80
	v_cmp_eq_u16_e32 vcc, s4, v3
	s_mov_b64 s[4:5], -1
                                        ; implicit-def: $sgpr10
	s_and_saveexec_b64 s[8:9], vcc
; %bb.3830:
	s_mov_b32 s10, 0x7f800001
	s_xor_b64 s[4:5], exec, -1
; %bb.3831:
	s_or_b64 exec, exec, s[8:9]
	s_and_b64 s[4:5], s[4:5], exec
                                        ; implicit-def: $vgpr3
	s_or_saveexec_b64 s[6:7], s[6:7]
	v_mov_b32_e32 v4, s10
	s_xor_b64 exec, exec, s[6:7]
	s_cbranch_execz .LBB14_1782
.LBB14_3832:
	v_cmp_ne_u16_e32 vcc, 0, v3
	s_andn2_b64 s[4:5], s[4:5], exec
	s_and_b64 s[8:9], vcc, exec
	v_mov_b32_e32 v4, 0
	s_or_b64 s[4:5], s[4:5], s[8:9]
	s_or_b64 exec, exec, s[6:7]
	s_and_saveexec_b64 s[6:7], s[4:5]
	s_cbranch_execnz .LBB14_1783
	s_branch .LBB14_1784
.LBB14_3833:
	s_movk_i32 s4, 0x80
	v_cmp_eq_u16_sdwa s[12:13], v9, s4 src0_sel:BYTE_3 src1_sel:DWORD
	s_mov_b64 s[4:5], -1
                                        ; implicit-def: $sgpr10
	s_and_saveexec_b64 s[8:9], s[12:13]
; %bb.3834:
	s_mov_b32 s10, 0x7f800001
	s_xor_b64 s[4:5], exec, -1
; %bb.3835:
	s_or_b64 exec, exec, s[8:9]
	s_and_b64 s[4:5], s[4:5], exec
	s_or_saveexec_b64 s[6:7], s[6:7]
	v_mov_b32_e32 v2, s10
	s_xor_b64 exec, exec, s[6:7]
	s_cbranch_execz .LBB14_1786
.LBB14_3836:
	v_mov_b32_e32 v2, 0
	v_cmp_ne_u16_sdwa s[8:9], v9, v2 src0_sel:BYTE_3 src1_sel:DWORD
	s_andn2_b64 s[4:5], s[4:5], exec
	s_and_b64 s[8:9], s[8:9], exec
	s_or_b64 s[4:5], s[4:5], s[8:9]
	s_or_b64 exec, exec, s[6:7]
	s_and_saveexec_b64 s[6:7], s[4:5]
	s_cbranch_execnz .LBB14_1787
	s_branch .LBB14_1788
.LBB14_3837:
	s_movk_i32 s4, 0x80
	v_cmp_eq_u16_sdwa s[12:13], v5, s4 src0_sel:BYTE_3 src1_sel:DWORD
	s_mov_b64 s[4:5], -1
                                        ; implicit-def: $sgpr10
	s_and_saveexec_b64 s[8:9], s[12:13]
; %bb.3838:
	s_mov_b32 s10, 0x7f800001
	s_xor_b64 s[4:5], exec, -1
; %bb.3839:
	s_or_b64 exec, exec, s[8:9]
	s_and_b64 s[4:5], s[4:5], exec
	s_or_saveexec_b64 s[6:7], s[6:7]
	v_mov_b32_e32 v3, s10
	s_xor_b64 exec, exec, s[6:7]
	s_cbranch_execz .LBB14_1790
.LBB14_3840:
	v_mov_b32_e32 v3, 0
	v_cmp_ne_u16_sdwa s[8:9], v5, v3 src0_sel:BYTE_3 src1_sel:DWORD
	s_andn2_b64 s[4:5], s[4:5], exec
	s_and_b64 s[8:9], s[8:9], exec
	s_or_b64 s[4:5], s[4:5], s[8:9]
	s_or_b64 exec, exec, s[6:7]
	s_and_saveexec_b64 s[6:7], s[4:5]
	s_cbranch_execnz .LBB14_1791
	s_branch .LBB14_1792
.LBB14_3841:
	s_movk_i32 s4, 0x80
	v_cmp_eq_u16_sdwa s[12:13], v12, s4 src0_sel:BYTE_0 src1_sel:DWORD
	s_mov_b64 s[4:5], -1
                                        ; implicit-def: $sgpr10
	s_and_saveexec_b64 s[8:9], s[12:13]
; %bb.3842:
	s_mov_b32 s10, 0x7f800001
	s_xor_b64 s[4:5], exec, -1
; %bb.3843:
	s_or_b64 exec, exec, s[8:9]
	s_and_b64 s[4:5], s[4:5], exec
	s_or_saveexec_b64 s[6:7], s[6:7]
	v_mov_b32_e32 v18, s10
	s_xor_b64 exec, exec, s[6:7]
	s_cbranch_execz .LBB14_1794
.LBB14_3844:
	v_mov_b32_e32 v18, 0
	v_cmp_ne_u16_sdwa s[8:9], v12, v18 src0_sel:BYTE_0 src1_sel:DWORD
	s_andn2_b64 s[4:5], s[4:5], exec
	s_and_b64 s[8:9], s[8:9], exec
	s_or_b64 s[4:5], s[4:5], s[8:9]
	s_or_b64 exec, exec, s[6:7]
	s_and_saveexec_b64 s[6:7], s[4:5]
	s_cbranch_execnz .LBB14_1795
	s_branch .LBB14_1796
.LBB14_3845:
	s_movk_i32 s4, 0x80
	v_cmp_eq_u16_sdwa s[12:13], v8, s4 src0_sel:BYTE_0 src1_sel:DWORD
	s_mov_b64 s[4:5], -1
                                        ; implicit-def: $sgpr10
	s_and_saveexec_b64 s[8:9], s[12:13]
; %bb.3846:
	s_mov_b32 s10, 0x7f800001
	s_xor_b64 s[4:5], exec, -1
; %bb.3847:
	s_or_b64 exec, exec, s[8:9]
	s_and_b64 s[4:5], s[4:5], exec
	s_or_saveexec_b64 s[6:7], s[6:7]
	v_mov_b32_e32 v19, s10
	s_xor_b64 exec, exec, s[6:7]
	s_cbranch_execz .LBB14_1798
.LBB14_3848:
	v_mov_b32_e32 v19, 0
	v_cmp_ne_u16_sdwa s[8:9], v8, v19 src0_sel:BYTE_0 src1_sel:DWORD
	s_andn2_b64 s[4:5], s[4:5], exec
	s_and_b64 s[8:9], s[8:9], exec
	s_or_b64 s[4:5], s[4:5], s[8:9]
	s_or_b64 exec, exec, s[6:7]
	s_and_saveexec_b64 s[6:7], s[4:5]
	s_cbranch_execnz .LBB14_1799
	s_branch .LBB14_1800
.LBB14_3849:
	s_movk_i32 s4, 0x80
	v_cmp_eq_u16_sdwa s[12:13], v19, s4 src0_sel:BYTE_0 src1_sel:DWORD
	s_mov_b64 s[4:5], -1
                                        ; implicit-def: $sgpr10
	s_and_saveexec_b64 s[8:9], s[12:13]
; %bb.3850:
	s_mov_b32 s10, 0x7f800001
	s_xor_b64 s[4:5], exec, -1
; %bb.3851:
	s_or_b64 exec, exec, s[8:9]
	s_and_b64 s[4:5], s[4:5], exec
	s_or_saveexec_b64 s[6:7], s[6:7]
	v_mov_b32_e32 v18, s10
	s_xor_b64 exec, exec, s[6:7]
	s_cbranch_execz .LBB14_1802
.LBB14_3852:
	v_mov_b32_e32 v18, 0
	v_cmp_ne_u16_sdwa s[8:9], v19, v18 src0_sel:BYTE_0 src1_sel:DWORD
	s_andn2_b64 s[4:5], s[4:5], exec
	s_and_b64 s[8:9], s[8:9], exec
	s_or_b64 s[4:5], s[4:5], s[8:9]
	s_or_b64 exec, exec, s[6:7]
	s_and_saveexec_b64 s[6:7], s[4:5]
	s_cbranch_execnz .LBB14_1803
	s_branch .LBB14_1804
.LBB14_3853:
	s_movk_i32 s4, 0x80
	v_cmp_eq_u16_sdwa s[12:13], v19, s4 src0_sel:BYTE_0 src1_sel:DWORD
	s_mov_b64 s[4:5], -1
                                        ; implicit-def: $sgpr10
	s_and_saveexec_b64 s[8:9], s[12:13]
; %bb.3854:
	s_mov_b32 s10, 0x7f800001
	s_xor_b64 s[4:5], exec, -1
; %bb.3855:
	s_or_b64 exec, exec, s[8:9]
	s_and_b64 s[4:5], s[4:5], exec
	s_or_saveexec_b64 s[6:7], s[6:7]
	v_mov_b32_e32 v20, s10
	s_xor_b64 exec, exec, s[6:7]
	s_cbranch_execz .LBB14_1806
.LBB14_3856:
	v_mov_b32_e32 v20, 0
	v_cmp_ne_u16_sdwa s[8:9], v19, v20 src0_sel:BYTE_0 src1_sel:DWORD
	s_andn2_b64 s[4:5], s[4:5], exec
	s_and_b64 s[8:9], s[8:9], exec
	s_or_b64 s[4:5], s[4:5], s[8:9]
	s_or_b64 exec, exec, s[6:7]
	s_and_saveexec_b64 s[6:7], s[4:5]
	s_cbranch_execnz .LBB14_1807
	s_branch .LBB14_1808
.LBB14_3857:
	s_movk_i32 s4, 0x80
	v_cmp_eq_u16_e32 vcc, s4, v19
	s_mov_b64 s[4:5], -1
                                        ; implicit-def: $sgpr10
	s_and_saveexec_b64 s[8:9], vcc
; %bb.3858:
	s_mov_b32 s10, 0x7f800001
	s_xor_b64 s[4:5], exec, -1
; %bb.3859:
	s_or_b64 exec, exec, s[8:9]
	s_and_b64 s[4:5], s[4:5], exec
                                        ; implicit-def: $vgpr19
	s_or_saveexec_b64 s[6:7], s[6:7]
	v_mov_b32_e32 v18, s10
	s_xor_b64 exec, exec, s[6:7]
	s_cbranch_execz .LBB14_1810
.LBB14_3860:
	v_cmp_ne_u16_e32 vcc, 0, v19
	s_andn2_b64 s[4:5], s[4:5], exec
	s_and_b64 s[8:9], vcc, exec
	v_mov_b32_e32 v18, 0
	s_or_b64 s[4:5], s[4:5], s[8:9]
	s_or_b64 exec, exec, s[6:7]
	s_and_saveexec_b64 s[6:7], s[4:5]
	s_cbranch_execnz .LBB14_1811
	s_branch .LBB14_1812
.LBB14_3861:
	s_movk_i32 s4, 0x80
	v_cmp_eq_u16_e32 vcc, s4, v19
	s_mov_b64 s[4:5], -1
                                        ; implicit-def: $sgpr10
	s_and_saveexec_b64 s[8:9], vcc
; %bb.3862:
	s_mov_b32 s10, 0x7f800001
	s_xor_b64 s[4:5], exec, -1
; %bb.3863:
	s_or_b64 exec, exec, s[8:9]
	s_and_b64 s[4:5], s[4:5], exec
                                        ; implicit-def: $vgpr19
	s_or_saveexec_b64 s[6:7], s[6:7]
	v_mov_b32_e32 v20, s10
	s_xor_b64 exec, exec, s[6:7]
	s_cbranch_execz .LBB14_1814
.LBB14_3864:
	v_cmp_ne_u16_e32 vcc, 0, v19
	s_andn2_b64 s[4:5], s[4:5], exec
	s_and_b64 s[8:9], vcc, exec
	v_mov_b32_e32 v20, 0
	s_or_b64 s[4:5], s[4:5], s[8:9]
	s_or_b64 exec, exec, s[6:7]
	s_and_saveexec_b64 s[6:7], s[4:5]
	s_cbranch_execnz .LBB14_1815
	s_branch .LBB14_1816
.LBB14_3865:
	s_movk_i32 s4, 0x80
	v_cmp_eq_u16_sdwa s[12:13], v12, s4 src0_sel:BYTE_3 src1_sel:DWORD
	s_mov_b64 s[4:5], -1
                                        ; implicit-def: $sgpr10
	s_and_saveexec_b64 s[8:9], s[12:13]
; %bb.3866:
	s_mov_b32 s10, 0x7f800001
	s_xor_b64 s[4:5], exec, -1
; %bb.3867:
	s_or_b64 exec, exec, s[8:9]
	s_and_b64 s[4:5], s[4:5], exec
	s_or_saveexec_b64 s[6:7], s[6:7]
	v_mov_b32_e32 v18, s10
	s_xor_b64 exec, exec, s[6:7]
	s_cbranch_execz .LBB14_1818
.LBB14_3868:
	v_mov_b32_e32 v18, 0
	v_cmp_ne_u16_sdwa s[8:9], v12, v18 src0_sel:BYTE_3 src1_sel:DWORD
	s_andn2_b64 s[4:5], s[4:5], exec
	s_and_b64 s[8:9], s[8:9], exec
	s_or_b64 s[4:5], s[4:5], s[8:9]
	s_or_b64 exec, exec, s[6:7]
	s_and_saveexec_b64 s[6:7], s[4:5]
	s_cbranch_execnz .LBB14_1819
	s_branch .LBB14_1820
.LBB14_3869:
	s_movk_i32 s4, 0x80
	v_cmp_eq_u16_sdwa s[12:13], v8, s4 src0_sel:BYTE_3 src1_sel:DWORD
	s_mov_b64 s[4:5], -1
                                        ; implicit-def: $sgpr10
	s_and_saveexec_b64 s[8:9], s[12:13]
; %bb.3870:
	s_mov_b32 s10, 0x7f800001
	s_xor_b64 s[4:5], exec, -1
; %bb.3871:
	s_or_b64 exec, exec, s[8:9]
	s_and_b64 s[4:5], s[4:5], exec
	s_or_saveexec_b64 s[6:7], s[6:7]
	v_mov_b32_e32 v12, s10
	s_xor_b64 exec, exec, s[6:7]
	s_cbranch_execz .LBB14_1822
.LBB14_3872:
	v_mov_b32_e32 v12, 0
	v_cmp_ne_u16_sdwa s[8:9], v8, v12 src0_sel:BYTE_3 src1_sel:DWORD
	s_andn2_b64 s[4:5], s[4:5], exec
	s_and_b64 s[8:9], s[8:9], exec
	s_or_b64 s[4:5], s[4:5], s[8:9]
	s_or_b64 exec, exec, s[6:7]
	s_and_saveexec_b64 s[6:7], s[4:5]
	s_cbranch_execnz .LBB14_1823
	s_branch .LBB14_1824
.LBB14_3873:
	s_movk_i32 s4, 0x80
	v_cmp_eq_u16_sdwa s[12:13], v13, s4 src0_sel:BYTE_0 src1_sel:DWORD
	s_mov_b64 s[4:5], -1
                                        ; implicit-def: $sgpr10
	s_and_saveexec_b64 s[8:9], s[12:13]
; %bb.3874:
	s_mov_b32 s10, 0x7f800001
	s_xor_b64 s[4:5], exec, -1
; %bb.3875:
	s_or_b64 exec, exec, s[8:9]
	s_and_b64 s[4:5], s[4:5], exec
	s_or_saveexec_b64 s[6:7], s[6:7]
	v_mov_b32_e32 v8, s10
	s_xor_b64 exec, exec, s[6:7]
	s_cbranch_execz .LBB14_1826
.LBB14_3876:
	v_mov_b32_e32 v8, 0
	v_cmp_ne_u16_sdwa s[8:9], v13, v8 src0_sel:BYTE_0 src1_sel:DWORD
	s_andn2_b64 s[4:5], s[4:5], exec
	s_and_b64 s[8:9], s[8:9], exec
	s_or_b64 s[4:5], s[4:5], s[8:9]
	s_or_b64 exec, exec, s[6:7]
	s_and_saveexec_b64 s[6:7], s[4:5]
	s_cbranch_execnz .LBB14_1827
	s_branch .LBB14_1828
.LBB14_3877:
	s_movk_i32 s4, 0x80
	v_cmp_eq_u16_sdwa s[12:13], v9, s4 src0_sel:BYTE_0 src1_sel:DWORD
	s_mov_b64 s[4:5], -1
                                        ; implicit-def: $sgpr10
	s_and_saveexec_b64 s[8:9], s[12:13]
; %bb.3878:
	s_mov_b32 s10, 0x7f800001
	s_xor_b64 s[4:5], exec, -1
; %bb.3879:
	s_or_b64 exec, exec, s[8:9]
	s_and_b64 s[4:5], s[4:5], exec
	s_or_saveexec_b64 s[6:7], s[6:7]
	v_mov_b32_e32 v12, s10
	s_xor_b64 exec, exec, s[6:7]
	s_cbranch_execz .LBB14_1830
.LBB14_3880:
	v_mov_b32_e32 v12, 0
	v_cmp_ne_u16_sdwa s[8:9], v9, v12 src0_sel:BYTE_0 src1_sel:DWORD
	s_andn2_b64 s[4:5], s[4:5], exec
	s_and_b64 s[8:9], s[8:9], exec
	s_or_b64 s[4:5], s[4:5], s[8:9]
	s_or_b64 exec, exec, s[6:7]
	s_and_saveexec_b64 s[6:7], s[4:5]
	s_cbranch_execnz .LBB14_1831
	s_branch .LBB14_1832
.LBB14_3881:
	s_movk_i32 s4, 0x80
	v_cmp_eq_u16_sdwa s[12:13], v12, s4 src0_sel:BYTE_0 src1_sel:DWORD
	s_mov_b64 s[4:5], -1
                                        ; implicit-def: $sgpr10
	s_and_saveexec_b64 s[8:9], s[12:13]
; %bb.3882:
	s_mov_b32 s10, 0x7f800001
	s_xor_b64 s[4:5], exec, -1
; %bb.3883:
	s_or_b64 exec, exec, s[8:9]
	s_and_b64 s[4:5], s[4:5], exec
	s_or_saveexec_b64 s[6:7], s[6:7]
	v_mov_b32_e32 v8, s10
	s_xor_b64 exec, exec, s[6:7]
	s_cbranch_execz .LBB14_1834
.LBB14_3884:
	v_mov_b32_e32 v8, 0
	v_cmp_ne_u16_sdwa s[8:9], v12, v8 src0_sel:BYTE_0 src1_sel:DWORD
	s_andn2_b64 s[4:5], s[4:5], exec
	s_and_b64 s[8:9], s[8:9], exec
	s_or_b64 s[4:5], s[4:5], s[8:9]
	s_or_b64 exec, exec, s[6:7]
	s_and_saveexec_b64 s[6:7], s[4:5]
	s_cbranch_execnz .LBB14_1835
	s_branch .LBB14_1836
.LBB14_3885:
	s_movk_i32 s4, 0x80
	v_cmp_eq_u16_sdwa s[12:13], v12, s4 src0_sel:BYTE_0 src1_sel:DWORD
	s_mov_b64 s[4:5], -1
                                        ; implicit-def: $sgpr10
	s_and_saveexec_b64 s[8:9], s[12:13]
; %bb.3886:
	s_mov_b32 s10, 0x7f800001
	s_xor_b64 s[4:5], exec, -1
; %bb.3887:
	s_or_b64 exec, exec, s[8:9]
	s_and_b64 s[4:5], s[4:5], exec
	s_or_saveexec_b64 s[6:7], s[6:7]
	v_mov_b32_e32 v18, s10
	s_xor_b64 exec, exec, s[6:7]
	s_cbranch_execz .LBB14_1838
.LBB14_3888:
	v_mov_b32_e32 v18, 0
	v_cmp_ne_u16_sdwa s[8:9], v12, v18 src0_sel:BYTE_0 src1_sel:DWORD
	s_andn2_b64 s[4:5], s[4:5], exec
	s_and_b64 s[8:9], s[8:9], exec
	s_or_b64 s[4:5], s[4:5], s[8:9]
	s_or_b64 exec, exec, s[6:7]
	s_and_saveexec_b64 s[6:7], s[4:5]
	s_cbranch_execnz .LBB14_1839
	s_branch .LBB14_1840
.LBB14_3889:
	s_movk_i32 s4, 0x80
	v_cmp_eq_u16_e32 vcc, s4, v12
	s_mov_b64 s[4:5], -1
                                        ; implicit-def: $sgpr10
	s_and_saveexec_b64 s[8:9], vcc
; %bb.3890:
	s_mov_b32 s10, 0x7f800001
	s_xor_b64 s[4:5], exec, -1
; %bb.3891:
	s_or_b64 exec, exec, s[8:9]
	s_and_b64 s[4:5], s[4:5], exec
                                        ; implicit-def: $vgpr12
	s_or_saveexec_b64 s[6:7], s[6:7]
	v_mov_b32_e32 v8, s10
	s_xor_b64 exec, exec, s[6:7]
	s_cbranch_execz .LBB14_1842
.LBB14_3892:
	v_cmp_ne_u16_e32 vcc, 0, v12
	s_andn2_b64 s[4:5], s[4:5], exec
	s_and_b64 s[8:9], vcc, exec
	v_mov_b32_e32 v8, 0
	s_or_b64 s[4:5], s[4:5], s[8:9]
	s_or_b64 exec, exec, s[6:7]
	s_and_saveexec_b64 s[6:7], s[4:5]
	s_cbranch_execnz .LBB14_1843
	s_branch .LBB14_1844
.LBB14_3893:
	s_movk_i32 s4, 0x80
	v_cmp_eq_u16_e32 vcc, s4, v12
	s_mov_b64 s[4:5], -1
                                        ; implicit-def: $sgpr10
	s_and_saveexec_b64 s[8:9], vcc
; %bb.3894:
	s_mov_b32 s10, 0x7f800001
	s_xor_b64 s[4:5], exec, -1
; %bb.3895:
	s_or_b64 exec, exec, s[8:9]
	s_and_b64 s[4:5], s[4:5], exec
                                        ; implicit-def: $vgpr12
	s_or_saveexec_b64 s[6:7], s[6:7]
	v_mov_b32_e32 v18, s10
	s_xor_b64 exec, exec, s[6:7]
	s_cbranch_execz .LBB14_1846
.LBB14_3896:
	v_cmp_ne_u16_e32 vcc, 0, v12
	s_andn2_b64 s[4:5], s[4:5], exec
	s_and_b64 s[8:9], vcc, exec
	v_mov_b32_e32 v18, 0
	s_or_b64 s[4:5], s[4:5], s[8:9]
	s_or_b64 exec, exec, s[6:7]
	s_and_saveexec_b64 s[6:7], s[4:5]
	s_cbranch_execnz .LBB14_1847
	s_branch .LBB14_1848
.LBB14_3897:
	s_movk_i32 s4, 0x80
	v_cmp_eq_u16_sdwa s[12:13], v13, s4 src0_sel:BYTE_3 src1_sel:DWORD
	s_mov_b64 s[4:5], -1
                                        ; implicit-def: $sgpr10
	s_and_saveexec_b64 s[8:9], s[12:13]
; %bb.3898:
	s_mov_b32 s10, 0x7f800001
	s_xor_b64 s[4:5], exec, -1
; %bb.3899:
	s_or_b64 exec, exec, s[8:9]
	s_and_b64 s[4:5], s[4:5], exec
	s_or_saveexec_b64 s[6:7], s[6:7]
	v_mov_b32_e32 v8, s10
	s_xor_b64 exec, exec, s[6:7]
	s_cbranch_execz .LBB14_1850
.LBB14_3900:
	v_mov_b32_e32 v8, 0
	v_cmp_ne_u16_sdwa s[8:9], v13, v8 src0_sel:BYTE_3 src1_sel:DWORD
	s_andn2_b64 s[4:5], s[4:5], exec
	s_and_b64 s[8:9], s[8:9], exec
	s_or_b64 s[4:5], s[4:5], s[8:9]
	s_or_b64 exec, exec, s[6:7]
	s_and_saveexec_b64 s[6:7], s[4:5]
	s_cbranch_execnz .LBB14_1851
	s_branch .LBB14_1852
.LBB14_3901:
	s_movk_i32 s4, 0x80
	v_cmp_eq_u16_sdwa s[12:13], v9, s4 src0_sel:BYTE_3 src1_sel:DWORD
	s_mov_b64 s[4:5], -1
                                        ; implicit-def: $sgpr10
	s_and_saveexec_b64 s[8:9], s[12:13]
; %bb.3902:
	s_mov_b32 s10, 0x7f800001
	s_xor_b64 s[4:5], exec, -1
; %bb.3903:
	s_or_b64 exec, exec, s[8:9]
	s_and_b64 s[4:5], s[4:5], exec
	s_or_saveexec_b64 s[6:7], s[6:7]
	v_mov_b32_e32 v12, s10
	s_xor_b64 exec, exec, s[6:7]
	s_cbranch_execz .LBB14_1854
.LBB14_3904:
	v_mov_b32_e32 v12, 0
	v_cmp_ne_u16_sdwa s[8:9], v9, v12 src0_sel:BYTE_3 src1_sel:DWORD
	s_andn2_b64 s[4:5], s[4:5], exec
	s_and_b64 s[8:9], s[8:9], exec
	s_or_b64 s[4:5], s[4:5], s[8:9]
	s_or_b64 exec, exec, s[6:7]
	s_and_saveexec_b64 s[6:7], s[4:5]
	s_cbranch_execnz .LBB14_1855
	s_branch .LBB14_1856
.LBB14_3905:
	s_movk_i32 s4, 0x80
	v_cmp_eq_u16_sdwa s[12:13], v14, s4 src0_sel:BYTE_0 src1_sel:DWORD
	s_mov_b64 s[4:5], -1
                                        ; implicit-def: $sgpr10
	s_and_saveexec_b64 s[8:9], s[12:13]
; %bb.3906:
	s_mov_b32 s10, 0x7f800001
	s_xor_b64 s[4:5], exec, -1
; %bb.3907:
	s_or_b64 exec, exec, s[8:9]
	s_and_b64 s[4:5], s[4:5], exec
	s_or_saveexec_b64 s[6:7], s[6:7]
	v_mov_b32_e32 v8, s10
	s_xor_b64 exec, exec, s[6:7]
	s_cbranch_execz .LBB14_1858
.LBB14_3908:
	v_mov_b32_e32 v8, 0
	v_cmp_ne_u16_sdwa s[8:9], v14, v8 src0_sel:BYTE_0 src1_sel:DWORD
	s_andn2_b64 s[4:5], s[4:5], exec
	s_and_b64 s[8:9], s[8:9], exec
	s_or_b64 s[4:5], s[4:5], s[8:9]
	s_or_b64 exec, exec, s[6:7]
	s_and_saveexec_b64 s[6:7], s[4:5]
	s_cbranch_execnz .LBB14_1859
	s_branch .LBB14_1860
.LBB14_3909:
	s_movk_i32 s4, 0x80
	v_cmp_eq_u16_sdwa s[12:13], v10, s4 src0_sel:BYTE_0 src1_sel:DWORD
	s_mov_b64 s[4:5], -1
                                        ; implicit-def: $sgpr10
	s_and_saveexec_b64 s[8:9], s[12:13]
; %bb.3910:
	s_mov_b32 s10, 0x7f800001
	s_xor_b64 s[4:5], exec, -1
; %bb.3911:
	s_or_b64 exec, exec, s[8:9]
	s_and_b64 s[4:5], s[4:5], exec
	s_or_saveexec_b64 s[6:7], s[6:7]
	v_mov_b32_e32 v9, s10
	s_xor_b64 exec, exec, s[6:7]
	s_cbranch_execz .LBB14_1862
.LBB14_3912:
	v_mov_b32_e32 v9, 0
	v_cmp_ne_u16_sdwa s[8:9], v10, v9 src0_sel:BYTE_0 src1_sel:DWORD
	s_andn2_b64 s[4:5], s[4:5], exec
	s_and_b64 s[8:9], s[8:9], exec
	s_or_b64 s[4:5], s[4:5], s[8:9]
	s_or_b64 exec, exec, s[6:7]
	s_and_saveexec_b64 s[6:7], s[4:5]
	s_cbranch_execnz .LBB14_1863
	s_branch .LBB14_1864
.LBB14_3913:
	s_movk_i32 s4, 0x80
	v_cmp_eq_u16_sdwa s[12:13], v9, s4 src0_sel:BYTE_0 src1_sel:DWORD
	s_mov_b64 s[4:5], -1
                                        ; implicit-def: $sgpr10
	s_and_saveexec_b64 s[8:9], s[12:13]
; %bb.3914:
	s_mov_b32 s10, 0x7f800001
	s_xor_b64 s[4:5], exec, -1
; %bb.3915:
	s_or_b64 exec, exec, s[8:9]
	s_and_b64 s[4:5], s[4:5], exec
	s_or_saveexec_b64 s[6:7], s[6:7]
	v_mov_b32_e32 v8, s10
	s_xor_b64 exec, exec, s[6:7]
	s_cbranch_execz .LBB14_1866
.LBB14_3916:
	v_mov_b32_e32 v8, 0
	v_cmp_ne_u16_sdwa s[8:9], v9, v8 src0_sel:BYTE_0 src1_sel:DWORD
	s_andn2_b64 s[4:5], s[4:5], exec
	s_and_b64 s[8:9], s[8:9], exec
	s_or_b64 s[4:5], s[4:5], s[8:9]
	s_or_b64 exec, exec, s[6:7]
	s_and_saveexec_b64 s[6:7], s[4:5]
	s_cbranch_execnz .LBB14_1867
	s_branch .LBB14_1868
.LBB14_3917:
	s_movk_i32 s4, 0x80
	v_cmp_eq_u16_sdwa s[12:13], v9, s4 src0_sel:BYTE_0 src1_sel:DWORD
	s_mov_b64 s[4:5], -1
                                        ; implicit-def: $sgpr10
	s_and_saveexec_b64 s[8:9], s[12:13]
; %bb.3918:
	s_mov_b32 s10, 0x7f800001
	s_xor_b64 s[4:5], exec, -1
; %bb.3919:
	s_or_b64 exec, exec, s[8:9]
	s_and_b64 s[4:5], s[4:5], exec
	s_or_saveexec_b64 s[6:7], s[6:7]
	v_mov_b32_e32 v12, s10
	s_xor_b64 exec, exec, s[6:7]
	s_cbranch_execz .LBB14_1870
.LBB14_3920:
	v_mov_b32_e32 v12, 0
	v_cmp_ne_u16_sdwa s[8:9], v9, v12 src0_sel:BYTE_0 src1_sel:DWORD
	s_andn2_b64 s[4:5], s[4:5], exec
	s_and_b64 s[8:9], s[8:9], exec
	s_or_b64 s[4:5], s[4:5], s[8:9]
	s_or_b64 exec, exec, s[6:7]
	s_and_saveexec_b64 s[6:7], s[4:5]
	s_cbranch_execnz .LBB14_1871
	s_branch .LBB14_1872
.LBB14_3921:
	s_movk_i32 s4, 0x80
	v_cmp_eq_u16_e32 vcc, s4, v9
	s_mov_b64 s[4:5], -1
                                        ; implicit-def: $sgpr10
	s_and_saveexec_b64 s[8:9], vcc
; %bb.3922:
	s_mov_b32 s10, 0x7f800001
	s_xor_b64 s[4:5], exec, -1
; %bb.3923:
	s_or_b64 exec, exec, s[8:9]
	s_and_b64 s[4:5], s[4:5], exec
                                        ; implicit-def: $vgpr9
	s_or_saveexec_b64 s[6:7], s[6:7]
	v_mov_b32_e32 v8, s10
	s_xor_b64 exec, exec, s[6:7]
	s_cbranch_execz .LBB14_1874
.LBB14_3924:
	v_cmp_ne_u16_e32 vcc, 0, v9
	s_andn2_b64 s[4:5], s[4:5], exec
	s_and_b64 s[8:9], vcc, exec
	v_mov_b32_e32 v8, 0
	s_or_b64 s[4:5], s[4:5], s[8:9]
	s_or_b64 exec, exec, s[6:7]
	s_and_saveexec_b64 s[6:7], s[4:5]
	s_cbranch_execnz .LBB14_1875
	s_branch .LBB14_1876
.LBB14_3925:
	s_movk_i32 s4, 0x80
	v_cmp_eq_u16_e32 vcc, s4, v9
	s_mov_b64 s[4:5], -1
                                        ; implicit-def: $sgpr10
	s_and_saveexec_b64 s[8:9], vcc
; %bb.3926:
	s_mov_b32 s10, 0x7f800001
	s_xor_b64 s[4:5], exec, -1
; %bb.3927:
	s_or_b64 exec, exec, s[8:9]
	s_and_b64 s[4:5], s[4:5], exec
                                        ; implicit-def: $vgpr9
	s_or_saveexec_b64 s[6:7], s[6:7]
	v_mov_b32_e32 v12, s10
	s_xor_b64 exec, exec, s[6:7]
	s_cbranch_execz .LBB14_1878
.LBB14_3928:
	v_cmp_ne_u16_e32 vcc, 0, v9
	s_andn2_b64 s[4:5], s[4:5], exec
	s_and_b64 s[8:9], vcc, exec
	v_mov_b32_e32 v12, 0
	s_or_b64 s[4:5], s[4:5], s[8:9]
	s_or_b64 exec, exec, s[6:7]
	s_and_saveexec_b64 s[6:7], s[4:5]
	s_cbranch_execnz .LBB14_1879
	s_branch .LBB14_1880
.LBB14_3929:
	s_movk_i32 s4, 0x80
	v_cmp_eq_u16_sdwa s[12:13], v14, s4 src0_sel:BYTE_3 src1_sel:DWORD
	s_mov_b64 s[4:5], -1
                                        ; implicit-def: $sgpr10
	s_and_saveexec_b64 s[8:9], s[12:13]
; %bb.3930:
	s_mov_b32 s10, 0x7f800001
	s_xor_b64 s[4:5], exec, -1
; %bb.3931:
	s_or_b64 exec, exec, s[8:9]
	s_and_b64 s[4:5], s[4:5], exec
	s_or_saveexec_b64 s[6:7], s[6:7]
	v_mov_b32_e32 v8, s10
	s_xor_b64 exec, exec, s[6:7]
	s_cbranch_execz .LBB14_1882
.LBB14_3932:
	v_mov_b32_e32 v8, 0
	v_cmp_ne_u16_sdwa s[8:9], v14, v8 src0_sel:BYTE_3 src1_sel:DWORD
	s_andn2_b64 s[4:5], s[4:5], exec
	s_and_b64 s[8:9], s[8:9], exec
	s_or_b64 s[4:5], s[4:5], s[8:9]
	s_or_b64 exec, exec, s[6:7]
	s_and_saveexec_b64 s[6:7], s[4:5]
	s_cbranch_execnz .LBB14_1883
	s_branch .LBB14_1884
.LBB14_3933:
	s_movk_i32 s4, 0x80
	v_cmp_eq_u16_sdwa s[12:13], v10, s4 src0_sel:BYTE_3 src1_sel:DWORD
	s_mov_b64 s[4:5], -1
                                        ; implicit-def: $sgpr10
	s_and_saveexec_b64 s[8:9], s[12:13]
; %bb.3934:
	s_mov_b32 s10, 0x7f800001
	s_xor_b64 s[4:5], exec, -1
; %bb.3935:
	s_or_b64 exec, exec, s[8:9]
	s_and_b64 s[4:5], s[4:5], exec
	s_or_saveexec_b64 s[6:7], s[6:7]
	v_mov_b32_e32 v9, s10
	s_xor_b64 exec, exec, s[6:7]
	s_cbranch_execz .LBB14_1886
.LBB14_3936:
	v_mov_b32_e32 v9, 0
	v_cmp_ne_u16_sdwa s[8:9], v10, v9 src0_sel:BYTE_3 src1_sel:DWORD
	s_andn2_b64 s[4:5], s[4:5], exec
	s_and_b64 s[8:9], s[8:9], exec
	s_or_b64 s[4:5], s[4:5], s[8:9]
	s_or_b64 exec, exec, s[6:7]
	s_and_saveexec_b64 s[6:7], s[4:5]
	s_cbranch_execnz .LBB14_1887
	s_branch .LBB14_1888
.LBB14_3937:
	s_movk_i32 s4, 0x80
	v_cmp_eq_u16_sdwa s[12:13], v15, s4 src0_sel:BYTE_0 src1_sel:DWORD
	s_mov_b64 s[4:5], -1
                                        ; implicit-def: $sgpr10
	s_and_saveexec_b64 s[8:9], s[12:13]
; %bb.3938:
	s_mov_b32 s10, 0x7f800001
	s_xor_b64 s[4:5], exec, -1
; %bb.3939:
	s_or_b64 exec, exec, s[8:9]
	s_and_b64 s[4:5], s[4:5], exec
	s_or_saveexec_b64 s[6:7], s[6:7]
	v_mov_b32_e32 v8, s10
	s_xor_b64 exec, exec, s[6:7]
	s_cbranch_execz .LBB14_1890
.LBB14_3940:
	v_mov_b32_e32 v8, 0
	v_cmp_ne_u16_sdwa s[8:9], v15, v8 src0_sel:BYTE_0 src1_sel:DWORD
	s_andn2_b64 s[4:5], s[4:5], exec
	s_and_b64 s[8:9], s[8:9], exec
	s_or_b64 s[4:5], s[4:5], s[8:9]
	s_or_b64 exec, exec, s[6:7]
	s_and_saveexec_b64 s[6:7], s[4:5]
	s_cbranch_execnz .LBB14_1891
	s_branch .LBB14_1892
.LBB14_3941:
	s_movk_i32 s4, 0x80
	v_cmp_eq_u16_sdwa s[12:13], v11, s4 src0_sel:BYTE_0 src1_sel:DWORD
	s_mov_b64 s[4:5], -1
                                        ; implicit-def: $sgpr10
	s_and_saveexec_b64 s[8:9], s[12:13]
; %bb.3942:
	s_mov_b32 s10, 0x7f800001
	s_xor_b64 s[4:5], exec, -1
; %bb.3943:
	s_or_b64 exec, exec, s[8:9]
	s_and_b64 s[4:5], s[4:5], exec
	s_or_saveexec_b64 s[6:7], s[6:7]
	v_mov_b32_e32 v9, s10
	s_xor_b64 exec, exec, s[6:7]
	s_cbranch_execz .LBB14_1894
.LBB14_3944:
	v_mov_b32_e32 v9, 0
	v_cmp_ne_u16_sdwa s[8:9], v11, v9 src0_sel:BYTE_0 src1_sel:DWORD
	s_andn2_b64 s[4:5], s[4:5], exec
	s_and_b64 s[8:9], s[8:9], exec
	s_or_b64 s[4:5], s[4:5], s[8:9]
	s_or_b64 exec, exec, s[6:7]
	s_and_saveexec_b64 s[6:7], s[4:5]
	s_cbranch_execnz .LBB14_1895
	s_branch .LBB14_1896
.LBB14_3945:
	s_movk_i32 s4, 0x80
	v_cmp_eq_u16_sdwa s[12:13], v9, s4 src0_sel:BYTE_0 src1_sel:DWORD
	s_mov_b64 s[4:5], -1
                                        ; implicit-def: $sgpr10
	s_and_saveexec_b64 s[8:9], s[12:13]
; %bb.3946:
	s_mov_b32 s10, 0x7f800001
	s_xor_b64 s[4:5], exec, -1
; %bb.3947:
	s_or_b64 exec, exec, s[8:9]
	s_and_b64 s[4:5], s[4:5], exec
	s_or_saveexec_b64 s[6:7], s[6:7]
	v_mov_b32_e32 v8, s10
	s_xor_b64 exec, exec, s[6:7]
	s_cbranch_execz .LBB14_1898
.LBB14_3948:
	v_mov_b32_e32 v8, 0
	v_cmp_ne_u16_sdwa s[8:9], v9, v8 src0_sel:BYTE_0 src1_sel:DWORD
	s_andn2_b64 s[4:5], s[4:5], exec
	s_and_b64 s[8:9], s[8:9], exec
	s_or_b64 s[4:5], s[4:5], s[8:9]
	s_or_b64 exec, exec, s[6:7]
	s_and_saveexec_b64 s[6:7], s[4:5]
	s_cbranch_execnz .LBB14_1899
	s_branch .LBB14_1900
.LBB14_3949:
	s_movk_i32 s4, 0x80
	v_cmp_eq_u16_sdwa s[12:13], v9, s4 src0_sel:BYTE_0 src1_sel:DWORD
	s_mov_b64 s[4:5], -1
                                        ; implicit-def: $sgpr10
	s_and_saveexec_b64 s[8:9], s[12:13]
; %bb.3950:
	s_mov_b32 s10, 0x7f800001
	s_xor_b64 s[4:5], exec, -1
; %bb.3951:
	s_or_b64 exec, exec, s[8:9]
	s_and_b64 s[4:5], s[4:5], exec
	s_or_saveexec_b64 s[6:7], s[6:7]
	v_mov_b32_e32 v10, s10
	s_xor_b64 exec, exec, s[6:7]
	s_cbranch_execz .LBB14_1902
.LBB14_3952:
	v_mov_b32_e32 v10, 0
	v_cmp_ne_u16_sdwa s[8:9], v9, v10 src0_sel:BYTE_0 src1_sel:DWORD
	s_andn2_b64 s[4:5], s[4:5], exec
	s_and_b64 s[8:9], s[8:9], exec
	s_or_b64 s[4:5], s[4:5], s[8:9]
	s_or_b64 exec, exec, s[6:7]
	s_and_saveexec_b64 s[6:7], s[4:5]
	s_cbranch_execnz .LBB14_1903
	s_branch .LBB14_1904
.LBB14_3953:
	s_movk_i32 s4, 0x80
	v_cmp_eq_u16_e32 vcc, s4, v9
	s_mov_b64 s[4:5], -1
                                        ; implicit-def: $sgpr10
	s_and_saveexec_b64 s[8:9], vcc
; %bb.3954:
	s_mov_b32 s10, 0x7f800001
	s_xor_b64 s[4:5], exec, -1
; %bb.3955:
	s_or_b64 exec, exec, s[8:9]
	s_and_b64 s[4:5], s[4:5], exec
                                        ; implicit-def: $vgpr9
	s_or_saveexec_b64 s[6:7], s[6:7]
	v_mov_b32_e32 v8, s10
	s_xor_b64 exec, exec, s[6:7]
	s_cbranch_execz .LBB14_1906
.LBB14_3956:
	v_cmp_ne_u16_e32 vcc, 0, v9
	s_andn2_b64 s[4:5], s[4:5], exec
	s_and_b64 s[8:9], vcc, exec
	v_mov_b32_e32 v8, 0
	s_or_b64 s[4:5], s[4:5], s[8:9]
	s_or_b64 exec, exec, s[6:7]
	s_and_saveexec_b64 s[6:7], s[4:5]
	s_cbranch_execnz .LBB14_1907
	s_branch .LBB14_1908
.LBB14_3957:
	s_movk_i32 s4, 0x80
	v_cmp_eq_u16_e32 vcc, s4, v9
	s_mov_b64 s[4:5], -1
                                        ; implicit-def: $sgpr10
	s_and_saveexec_b64 s[8:9], vcc
; %bb.3958:
	s_mov_b32 s10, 0x7f800001
	s_xor_b64 s[4:5], exec, -1
; %bb.3959:
	s_or_b64 exec, exec, s[8:9]
	s_and_b64 s[4:5], s[4:5], exec
                                        ; implicit-def: $vgpr9
	s_or_saveexec_b64 s[6:7], s[6:7]
	v_mov_b32_e32 v10, s10
	s_xor_b64 exec, exec, s[6:7]
	s_cbranch_execz .LBB14_1910
.LBB14_3960:
	v_cmp_ne_u16_e32 vcc, 0, v9
	s_andn2_b64 s[4:5], s[4:5], exec
	s_and_b64 s[8:9], vcc, exec
	v_mov_b32_e32 v10, 0
	s_or_b64 s[4:5], s[4:5], s[8:9]
	s_or_b64 exec, exec, s[6:7]
	s_and_saveexec_b64 s[6:7], s[4:5]
	s_cbranch_execnz .LBB14_1911
	s_branch .LBB14_1912
.LBB14_3961:
	s_movk_i32 s4, 0x80
	v_cmp_eq_u16_sdwa s[12:13], v15, s4 src0_sel:BYTE_3 src1_sel:DWORD
	s_mov_b64 s[4:5], -1
                                        ; implicit-def: $sgpr10
	s_and_saveexec_b64 s[8:9], s[12:13]
; %bb.3962:
	s_mov_b32 s10, 0x7f800001
	s_xor_b64 s[4:5], exec, -1
; %bb.3963:
	s_or_b64 exec, exec, s[8:9]
	s_and_b64 s[4:5], s[4:5], exec
	s_or_saveexec_b64 s[6:7], s[6:7]
	v_mov_b32_e32 v8, s10
	s_xor_b64 exec, exec, s[6:7]
	s_cbranch_execz .LBB14_1914
.LBB14_3964:
	v_mov_b32_e32 v8, 0
	v_cmp_ne_u16_sdwa s[8:9], v15, v8 src0_sel:BYTE_3 src1_sel:DWORD
	s_andn2_b64 s[4:5], s[4:5], exec
	s_and_b64 s[8:9], s[8:9], exec
	s_or_b64 s[4:5], s[4:5], s[8:9]
	s_or_b64 exec, exec, s[6:7]
	s_and_saveexec_b64 s[6:7], s[4:5]
	s_cbranch_execnz .LBB14_1915
	s_branch .LBB14_1916
.LBB14_3965:
	s_movk_i32 s4, 0x80
	v_cmp_eq_u16_sdwa s[12:13], v11, s4 src0_sel:BYTE_3 src1_sel:DWORD
	s_mov_b64 s[4:5], -1
                                        ; implicit-def: $sgpr10
	s_and_saveexec_b64 s[8:9], s[12:13]
; %bb.3966:
	s_mov_b32 s10, 0x7f800001
	s_xor_b64 s[4:5], exec, -1
; %bb.3967:
	s_or_b64 exec, exec, s[8:9]
	s_and_b64 s[4:5], s[4:5], exec
	s_or_saveexec_b64 s[6:7], s[6:7]
	v_mov_b32_e32 v9, s10
	s_xor_b64 exec, exec, s[6:7]
	s_cbranch_execz .LBB14_1918
.LBB14_3968:
	v_mov_b32_e32 v9, 0
	v_cmp_ne_u16_sdwa s[8:9], v11, v9 src0_sel:BYTE_3 src1_sel:DWORD
	s_andn2_b64 s[4:5], s[4:5], exec
	s_and_b64 s[8:9], s[8:9], exec
	s_or_b64 s[4:5], s[4:5], s[8:9]
	s_or_b64 exec, exec, s[6:7]
	s_and_saveexec_b64 s[6:7], s[4:5]
	s_cbranch_execnz .LBB14_1919
	s_branch .LBB14_1920
.LBB14_3969:
	s_movk_i32 s4, 0x80
	v_cmp_eq_u16_sdwa s[12:13], v4, s4 src0_sel:BYTE_0 src1_sel:DWORD
	s_mov_b64 s[4:5], -1
                                        ; implicit-def: $sgpr10
	s_and_saveexec_b64 s[8:9], s[12:13]
; %bb.3970:
	s_mov_b32 s10, 0x7f800001
	s_xor_b64 s[4:5], exec, -1
; %bb.3971:
	s_or_b64 exec, exec, s[8:9]
	s_and_b64 s[4:5], s[4:5], exec
	s_or_saveexec_b64 s[6:7], s[6:7]
	v_mov_b32_e32 v8, s10
	s_xor_b64 exec, exec, s[6:7]
	s_cbranch_execz .LBB14_1922
.LBB14_3972:
	v_mov_b32_e32 v8, 0
	v_cmp_ne_u16_sdwa s[8:9], v4, v8 src0_sel:BYTE_0 src1_sel:DWORD
	s_andn2_b64 s[4:5], s[4:5], exec
	s_and_b64 s[8:9], s[8:9], exec
	s_or_b64 s[4:5], s[4:5], s[8:9]
	s_or_b64 exec, exec, s[6:7]
	s_and_saveexec_b64 s[6:7], s[4:5]
	s_cbranch_execnz .LBB14_1923
	s_branch .LBB14_1924
.LBB14_3973:
	s_movk_i32 s4, 0x80
	v_cmp_eq_u16_sdwa s[12:13], v0, s4 src0_sel:BYTE_0 src1_sel:DWORD
	s_mov_b64 s[4:5], -1
                                        ; implicit-def: $sgpr10
	s_and_saveexec_b64 s[8:9], s[12:13]
; %bb.3974:
	s_mov_b32 s10, 0x7f800001
	s_xor_b64 s[4:5], exec, -1
; %bb.3975:
	s_or_b64 exec, exec, s[8:9]
	s_and_b64 s[4:5], s[4:5], exec
	s_or_saveexec_b64 s[6:7], s[6:7]
	v_mov_b32_e32 v9, s10
	s_xor_b64 exec, exec, s[6:7]
	s_cbranch_execz .LBB14_1926
.LBB14_3976:
	v_mov_b32_e32 v9, 0
	v_cmp_ne_u16_sdwa s[8:9], v0, v9 src0_sel:BYTE_0 src1_sel:DWORD
	s_andn2_b64 s[4:5], s[4:5], exec
	s_and_b64 s[8:9], s[8:9], exec
	s_or_b64 s[4:5], s[4:5], s[8:9]
	s_or_b64 exec, exec, s[6:7]
	s_and_saveexec_b64 s[6:7], s[4:5]
	s_cbranch_execnz .LBB14_1927
	s_branch .LBB14_1928
.LBB14_3977:
	s_movk_i32 s4, 0x80
	v_cmp_eq_u16_sdwa s[12:13], v9, s4 src0_sel:BYTE_0 src1_sel:DWORD
	s_mov_b64 s[4:5], -1
                                        ; implicit-def: $sgpr10
	s_and_saveexec_b64 s[8:9], s[12:13]
; %bb.3978:
	s_mov_b32 s10, 0x7f800001
	s_xor_b64 s[4:5], exec, -1
; %bb.3979:
	s_or_b64 exec, exec, s[8:9]
	s_and_b64 s[4:5], s[4:5], exec
	s_or_saveexec_b64 s[6:7], s[6:7]
	v_mov_b32_e32 v8, s10
	s_xor_b64 exec, exec, s[6:7]
	s_cbranch_execz .LBB14_1930
.LBB14_3980:
	v_mov_b32_e32 v8, 0
	v_cmp_ne_u16_sdwa s[8:9], v9, v8 src0_sel:BYTE_0 src1_sel:DWORD
	s_andn2_b64 s[4:5], s[4:5], exec
	s_and_b64 s[8:9], s[8:9], exec
	s_or_b64 s[4:5], s[4:5], s[8:9]
	s_or_b64 exec, exec, s[6:7]
	s_and_saveexec_b64 s[6:7], s[4:5]
	s_cbranch_execnz .LBB14_1931
	s_branch .LBB14_1932
.LBB14_3981:
	s_movk_i32 s4, 0x80
	v_cmp_eq_u16_sdwa s[12:13], v9, s4 src0_sel:BYTE_0 src1_sel:DWORD
	s_mov_b64 s[4:5], -1
                                        ; implicit-def: $sgpr10
	s_and_saveexec_b64 s[8:9], s[12:13]
; %bb.3982:
	s_mov_b32 s10, 0x7f800001
	s_xor_b64 s[4:5], exec, -1
; %bb.3983:
	s_or_b64 exec, exec, s[8:9]
	s_and_b64 s[4:5], s[4:5], exec
	s_or_saveexec_b64 s[6:7], s[6:7]
	v_mov_b32_e32 v10, s10
	s_xor_b64 exec, exec, s[6:7]
	s_cbranch_execz .LBB14_1934
.LBB14_3984:
	v_mov_b32_e32 v10, 0
	v_cmp_ne_u16_sdwa s[8:9], v9, v10 src0_sel:BYTE_0 src1_sel:DWORD
	s_andn2_b64 s[4:5], s[4:5], exec
	s_and_b64 s[8:9], s[8:9], exec
	s_or_b64 s[4:5], s[4:5], s[8:9]
	s_or_b64 exec, exec, s[6:7]
	s_and_saveexec_b64 s[6:7], s[4:5]
	s_cbranch_execnz .LBB14_1935
	s_branch .LBB14_1936
.LBB14_3985:
	s_movk_i32 s4, 0x80
	v_cmp_eq_u16_e32 vcc, s4, v9
	s_mov_b64 s[4:5], -1
                                        ; implicit-def: $sgpr10
	s_and_saveexec_b64 s[8:9], vcc
; %bb.3986:
	s_mov_b32 s10, 0x7f800001
	s_xor_b64 s[4:5], exec, -1
; %bb.3987:
	s_or_b64 exec, exec, s[8:9]
	s_and_b64 s[4:5], s[4:5], exec
                                        ; implicit-def: $vgpr9
	s_or_saveexec_b64 s[6:7], s[6:7]
	v_mov_b32_e32 v8, s10
	s_xor_b64 exec, exec, s[6:7]
	s_cbranch_execz .LBB14_1938
.LBB14_3988:
	v_cmp_ne_u16_e32 vcc, 0, v9
	s_andn2_b64 s[4:5], s[4:5], exec
	s_and_b64 s[8:9], vcc, exec
	v_mov_b32_e32 v8, 0
	s_or_b64 s[4:5], s[4:5], s[8:9]
	s_or_b64 exec, exec, s[6:7]
	s_and_saveexec_b64 s[6:7], s[4:5]
	s_cbranch_execnz .LBB14_1939
	s_branch .LBB14_1940
.LBB14_3989:
	s_movk_i32 s4, 0x80
	v_cmp_eq_u16_e32 vcc, s4, v9
	s_mov_b64 s[4:5], -1
                                        ; implicit-def: $sgpr10
	s_and_saveexec_b64 s[8:9], vcc
; %bb.3990:
	s_mov_b32 s10, 0x7f800001
	s_xor_b64 s[4:5], exec, -1
; %bb.3991:
	s_or_b64 exec, exec, s[8:9]
	s_and_b64 s[4:5], s[4:5], exec
                                        ; implicit-def: $vgpr9
	s_or_saveexec_b64 s[6:7], s[6:7]
	v_mov_b32_e32 v10, s10
	s_xor_b64 exec, exec, s[6:7]
	s_cbranch_execz .LBB14_1942
.LBB14_3992:
	v_cmp_ne_u16_e32 vcc, 0, v9
	s_andn2_b64 s[4:5], s[4:5], exec
	s_and_b64 s[8:9], vcc, exec
	v_mov_b32_e32 v10, 0
	s_or_b64 s[4:5], s[4:5], s[8:9]
	s_or_b64 exec, exec, s[6:7]
	s_and_saveexec_b64 s[6:7], s[4:5]
	s_cbranch_execnz .LBB14_1943
	s_branch .LBB14_1944
.LBB14_3993:
	s_movk_i32 s4, 0x80
	v_cmp_eq_u16_sdwa s[12:13], v4, s4 src0_sel:BYTE_3 src1_sel:DWORD
	s_mov_b64 s[4:5], -1
                                        ; implicit-def: $sgpr10
	s_and_saveexec_b64 s[8:9], s[12:13]
; %bb.3994:
	s_mov_b32 s10, 0x7f800001
	s_xor_b64 s[4:5], exec, -1
; %bb.3995:
	s_or_b64 exec, exec, s[8:9]
	s_and_b64 s[4:5], s[4:5], exec
	s_or_saveexec_b64 s[6:7], s[6:7]
	v_mov_b32_e32 v8, s10
	s_xor_b64 exec, exec, s[6:7]
	s_cbranch_execz .LBB14_1946
.LBB14_3996:
	v_mov_b32_e32 v8, 0
	v_cmp_ne_u16_sdwa s[8:9], v4, v8 src0_sel:BYTE_3 src1_sel:DWORD
	s_andn2_b64 s[4:5], s[4:5], exec
	s_and_b64 s[8:9], s[8:9], exec
	s_or_b64 s[4:5], s[4:5], s[8:9]
	s_or_b64 exec, exec, s[6:7]
	s_and_saveexec_b64 s[6:7], s[4:5]
	s_cbranch_execnz .LBB14_1947
	s_branch .LBB14_1948
.LBB14_3997:
	s_movk_i32 s4, 0x80
	v_cmp_eq_u16_sdwa s[12:13], v0, s4 src0_sel:BYTE_3 src1_sel:DWORD
	s_mov_b64 s[4:5], -1
                                        ; implicit-def: $sgpr10
	s_and_saveexec_b64 s[8:9], s[12:13]
; %bb.3998:
	s_mov_b32 s10, 0x7f800001
	s_xor_b64 s[4:5], exec, -1
; %bb.3999:
	s_or_b64 exec, exec, s[8:9]
	s_and_b64 s[4:5], s[4:5], exec
	s_or_saveexec_b64 s[6:7], s[6:7]
	v_mov_b32_e32 v4, s10
	s_xor_b64 exec, exec, s[6:7]
	s_cbranch_execz .LBB14_1950
.LBB14_4000:
	v_mov_b32_e32 v4, 0
	v_cmp_ne_u16_sdwa s[8:9], v0, v4 src0_sel:BYTE_3 src1_sel:DWORD
	s_andn2_b64 s[4:5], s[4:5], exec
	s_and_b64 s[8:9], s[8:9], exec
	s_or_b64 s[4:5], s[4:5], s[8:9]
	s_or_b64 exec, exec, s[6:7]
	s_and_saveexec_b64 s[6:7], s[4:5]
	s_cbranch_execnz .LBB14_1951
	s_branch .LBB14_1952
.LBB14_4001:
	s_movk_i32 s4, 0x80
	v_cmp_eq_u16_sdwa s[12:13], v5, s4 src0_sel:BYTE_0 src1_sel:DWORD
	s_mov_b64 s[4:5], -1
                                        ; implicit-def: $sgpr10
	s_and_saveexec_b64 s[8:9], s[12:13]
; %bb.4002:
	s_mov_b32 s10, 0x7f800001
	s_xor_b64 s[4:5], exec, -1
; %bb.4003:
	s_or_b64 exec, exec, s[8:9]
	s_and_b64 s[4:5], s[4:5], exec
	s_or_saveexec_b64 s[6:7], s[6:7]
	v_mov_b32_e32 v0, s10
	s_xor_b64 exec, exec, s[6:7]
	s_cbranch_execz .LBB14_1954
.LBB14_4004:
	v_mov_b32_e32 v0, 0
	v_cmp_ne_u16_sdwa s[8:9], v5, v0 src0_sel:BYTE_0 src1_sel:DWORD
	s_andn2_b64 s[4:5], s[4:5], exec
	s_and_b64 s[8:9], s[8:9], exec
	s_or_b64 s[4:5], s[4:5], s[8:9]
	s_or_b64 exec, exec, s[6:7]
	s_and_saveexec_b64 s[6:7], s[4:5]
	s_cbranch_execnz .LBB14_1955
	s_branch .LBB14_1956
.LBB14_4005:
	s_movk_i32 s4, 0x80
	v_cmp_eq_u16_sdwa s[12:13], v1, s4 src0_sel:BYTE_0 src1_sel:DWORD
	s_mov_b64 s[4:5], -1
                                        ; implicit-def: $sgpr10
	s_and_saveexec_b64 s[8:9], s[12:13]
; %bb.4006:
	s_mov_b32 s10, 0x7f800001
	s_xor_b64 s[4:5], exec, -1
; %bb.4007:
	s_or_b64 exec, exec, s[8:9]
	s_and_b64 s[4:5], s[4:5], exec
	s_or_saveexec_b64 s[6:7], s[6:7]
	v_mov_b32_e32 v4, s10
	s_xor_b64 exec, exec, s[6:7]
	s_cbranch_execz .LBB14_1958
.LBB14_4008:
	v_mov_b32_e32 v4, 0
	v_cmp_ne_u16_sdwa s[8:9], v1, v4 src0_sel:BYTE_0 src1_sel:DWORD
	s_andn2_b64 s[4:5], s[4:5], exec
	s_and_b64 s[8:9], s[8:9], exec
	s_or_b64 s[4:5], s[4:5], s[8:9]
	s_or_b64 exec, exec, s[6:7]
	s_and_saveexec_b64 s[6:7], s[4:5]
	s_cbranch_execnz .LBB14_1959
	s_branch .LBB14_1960
.LBB14_4009:
	s_movk_i32 s4, 0x80
	v_cmp_eq_u16_sdwa s[12:13], v4, s4 src0_sel:BYTE_0 src1_sel:DWORD
	s_mov_b64 s[4:5], -1
                                        ; implicit-def: $sgpr10
	s_and_saveexec_b64 s[8:9], s[12:13]
; %bb.4010:
	s_mov_b32 s10, 0x7f800001
	s_xor_b64 s[4:5], exec, -1
; %bb.4011:
	s_or_b64 exec, exec, s[8:9]
	s_and_b64 s[4:5], s[4:5], exec
	s_or_saveexec_b64 s[6:7], s[6:7]
	v_mov_b32_e32 v0, s10
	s_xor_b64 exec, exec, s[6:7]
	s_cbranch_execz .LBB14_1962
.LBB14_4012:
	v_mov_b32_e32 v0, 0
	v_cmp_ne_u16_sdwa s[8:9], v4, v0 src0_sel:BYTE_0 src1_sel:DWORD
	s_andn2_b64 s[4:5], s[4:5], exec
	s_and_b64 s[8:9], s[8:9], exec
	s_or_b64 s[4:5], s[4:5], s[8:9]
	s_or_b64 exec, exec, s[6:7]
	s_and_saveexec_b64 s[6:7], s[4:5]
	s_cbranch_execnz .LBB14_1963
	s_branch .LBB14_1964
.LBB14_4013:
	s_movk_i32 s4, 0x80
	v_cmp_eq_u16_sdwa s[12:13], v4, s4 src0_sel:BYTE_0 src1_sel:DWORD
	s_mov_b64 s[4:5], -1
                                        ; implicit-def: $sgpr10
	s_and_saveexec_b64 s[8:9], s[12:13]
; %bb.4014:
	s_mov_b32 s10, 0x7f800001
	s_xor_b64 s[4:5], exec, -1
; %bb.4015:
	s_or_b64 exec, exec, s[8:9]
	s_and_b64 s[4:5], s[4:5], exec
	s_or_saveexec_b64 s[6:7], s[6:7]
	v_mov_b32_e32 v8, s10
	s_xor_b64 exec, exec, s[6:7]
	s_cbranch_execz .LBB14_1966
.LBB14_4016:
	v_mov_b32_e32 v8, 0
	v_cmp_ne_u16_sdwa s[8:9], v4, v8 src0_sel:BYTE_0 src1_sel:DWORD
	s_andn2_b64 s[4:5], s[4:5], exec
	s_and_b64 s[8:9], s[8:9], exec
	s_or_b64 s[4:5], s[4:5], s[8:9]
	s_or_b64 exec, exec, s[6:7]
	s_and_saveexec_b64 s[6:7], s[4:5]
	s_cbranch_execnz .LBB14_1967
	s_branch .LBB14_1968
.LBB14_4017:
	s_movk_i32 s4, 0x80
	v_cmp_eq_u16_e32 vcc, s4, v4
	s_mov_b64 s[4:5], -1
                                        ; implicit-def: $sgpr10
	s_and_saveexec_b64 s[8:9], vcc
; %bb.4018:
	s_mov_b32 s10, 0x7f800001
	s_xor_b64 s[4:5], exec, -1
; %bb.4019:
	s_or_b64 exec, exec, s[8:9]
	s_and_b64 s[4:5], s[4:5], exec
                                        ; implicit-def: $vgpr4
	s_or_saveexec_b64 s[6:7], s[6:7]
	v_mov_b32_e32 v0, s10
	s_xor_b64 exec, exec, s[6:7]
	s_cbranch_execz .LBB14_1970
.LBB14_4020:
	v_cmp_ne_u16_e32 vcc, 0, v4
	s_andn2_b64 s[4:5], s[4:5], exec
	s_and_b64 s[8:9], vcc, exec
	v_mov_b32_e32 v0, 0
	s_or_b64 s[4:5], s[4:5], s[8:9]
	s_or_b64 exec, exec, s[6:7]
	s_and_saveexec_b64 s[6:7], s[4:5]
	s_cbranch_execnz .LBB14_1971
	s_branch .LBB14_1972
.LBB14_4021:
	s_movk_i32 s4, 0x80
	v_cmp_eq_u16_e32 vcc, s4, v4
	s_mov_b64 s[4:5], -1
                                        ; implicit-def: $sgpr10
	s_and_saveexec_b64 s[8:9], vcc
; %bb.4022:
	s_mov_b32 s10, 0x7f800001
	s_xor_b64 s[4:5], exec, -1
; %bb.4023:
	s_or_b64 exec, exec, s[8:9]
	s_and_b64 s[4:5], s[4:5], exec
                                        ; implicit-def: $vgpr4
	s_or_saveexec_b64 s[6:7], s[6:7]
	v_mov_b32_e32 v8, s10
	s_xor_b64 exec, exec, s[6:7]
	s_cbranch_execz .LBB14_1974
.LBB14_4024:
	v_cmp_ne_u16_e32 vcc, 0, v4
	s_andn2_b64 s[4:5], s[4:5], exec
	s_and_b64 s[8:9], vcc, exec
	v_mov_b32_e32 v8, 0
	s_or_b64 s[4:5], s[4:5], s[8:9]
	s_or_b64 exec, exec, s[6:7]
	s_and_saveexec_b64 s[6:7], s[4:5]
	s_cbranch_execnz .LBB14_1975
	s_branch .LBB14_1976
.LBB14_4025:
	s_movk_i32 s4, 0x80
	v_cmp_eq_u16_sdwa s[12:13], v5, s4 src0_sel:BYTE_3 src1_sel:DWORD
	s_mov_b64 s[4:5], -1
                                        ; implicit-def: $sgpr10
	s_and_saveexec_b64 s[8:9], s[12:13]
; %bb.4026:
	s_mov_b32 s10, 0x7f800001
	s_xor_b64 s[4:5], exec, -1
; %bb.4027:
	s_or_b64 exec, exec, s[8:9]
	s_and_b64 s[4:5], s[4:5], exec
	s_or_saveexec_b64 s[6:7], s[6:7]
	v_mov_b32_e32 v0, s10
	s_xor_b64 exec, exec, s[6:7]
	s_cbranch_execz .LBB14_1978
.LBB14_4028:
	v_mov_b32_e32 v0, 0
	v_cmp_ne_u16_sdwa s[8:9], v5, v0 src0_sel:BYTE_3 src1_sel:DWORD
	s_andn2_b64 s[4:5], s[4:5], exec
	s_and_b64 s[8:9], s[8:9], exec
	s_or_b64 s[4:5], s[4:5], s[8:9]
	s_or_b64 exec, exec, s[6:7]
	s_and_saveexec_b64 s[6:7], s[4:5]
	s_cbranch_execnz .LBB14_1979
	s_branch .LBB14_1980
.LBB14_4029:
	s_movk_i32 s4, 0x80
	v_cmp_eq_u16_sdwa s[12:13], v1, s4 src0_sel:BYTE_3 src1_sel:DWORD
	s_mov_b64 s[4:5], -1
                                        ; implicit-def: $sgpr10
	s_and_saveexec_b64 s[8:9], s[12:13]
; %bb.4030:
	s_mov_b32 s10, 0x7f800001
	s_xor_b64 s[4:5], exec, -1
; %bb.4031:
	s_or_b64 exec, exec, s[8:9]
	s_and_b64 s[4:5], s[4:5], exec
	s_or_saveexec_b64 s[6:7], s[6:7]
	v_mov_b32_e32 v4, s10
	s_xor_b64 exec, exec, s[6:7]
	s_cbranch_execz .LBB14_1982
.LBB14_4032:
	v_mov_b32_e32 v4, 0
	v_cmp_ne_u16_sdwa s[8:9], v1, v4 src0_sel:BYTE_3 src1_sel:DWORD
	s_andn2_b64 s[4:5], s[4:5], exec
	s_and_b64 s[8:9], s[8:9], exec
	s_or_b64 s[4:5], s[4:5], s[8:9]
	s_or_b64 exec, exec, s[6:7]
	s_and_saveexec_b64 s[6:7], s[4:5]
	s_cbranch_execnz .LBB14_1983
	s_branch .LBB14_1984
.LBB14_4033:
	s_movk_i32 s4, 0x80
	v_cmp_eq_u16_sdwa s[12:13], v6, s4 src0_sel:BYTE_0 src1_sel:DWORD
	s_mov_b64 s[4:5], -1
                                        ; implicit-def: $sgpr10
	s_and_saveexec_b64 s[8:9], s[12:13]
; %bb.4034:
	s_mov_b32 s10, 0x7f800001
	s_xor_b64 s[4:5], exec, -1
; %bb.4035:
	s_or_b64 exec, exec, s[8:9]
	s_and_b64 s[4:5], s[4:5], exec
	s_or_saveexec_b64 s[6:7], s[6:7]
	v_mov_b32_e32 v0, s10
	s_xor_b64 exec, exec, s[6:7]
	s_cbranch_execz .LBB14_1986
.LBB14_4036:
	v_mov_b32_e32 v0, 0
	v_cmp_ne_u16_sdwa s[8:9], v6, v0 src0_sel:BYTE_0 src1_sel:DWORD
	s_andn2_b64 s[4:5], s[4:5], exec
	s_and_b64 s[8:9], s[8:9], exec
	s_or_b64 s[4:5], s[4:5], s[8:9]
	s_or_b64 exec, exec, s[6:7]
	s_and_saveexec_b64 s[6:7], s[4:5]
	s_cbranch_execnz .LBB14_1987
	s_branch .LBB14_1988
.LBB14_4037:
	s_movk_i32 s4, 0x80
	v_cmp_eq_u16_sdwa s[12:13], v2, s4 src0_sel:BYTE_0 src1_sel:DWORD
	s_mov_b64 s[4:5], -1
                                        ; implicit-def: $sgpr10
	s_and_saveexec_b64 s[8:9], s[12:13]
; %bb.4038:
	s_mov_b32 s10, 0x7f800001
	s_xor_b64 s[4:5], exec, -1
; %bb.4039:
	s_or_b64 exec, exec, s[8:9]
	s_and_b64 s[4:5], s[4:5], exec
	s_or_saveexec_b64 s[6:7], s[6:7]
	v_mov_b32_e32 v1, s10
	s_xor_b64 exec, exec, s[6:7]
	s_cbranch_execz .LBB14_1990
.LBB14_4040:
	v_mov_b32_e32 v1, 0
	v_cmp_ne_u16_sdwa s[8:9], v2, v1 src0_sel:BYTE_0 src1_sel:DWORD
	s_andn2_b64 s[4:5], s[4:5], exec
	s_and_b64 s[8:9], s[8:9], exec
	s_or_b64 s[4:5], s[4:5], s[8:9]
	s_or_b64 exec, exec, s[6:7]
	s_and_saveexec_b64 s[6:7], s[4:5]
	s_cbranch_execnz .LBB14_1991
	s_branch .LBB14_1992
.LBB14_4041:
	s_movk_i32 s4, 0x80
	v_cmp_eq_u16_sdwa s[12:13], v1, s4 src0_sel:BYTE_0 src1_sel:DWORD
	s_mov_b64 s[4:5], -1
                                        ; implicit-def: $sgpr10
	s_and_saveexec_b64 s[8:9], s[12:13]
; %bb.4042:
	s_mov_b32 s10, 0x7f800001
	s_xor_b64 s[4:5], exec, -1
; %bb.4043:
	s_or_b64 exec, exec, s[8:9]
	s_and_b64 s[4:5], s[4:5], exec
	s_or_saveexec_b64 s[6:7], s[6:7]
	v_mov_b32_e32 v0, s10
	s_xor_b64 exec, exec, s[6:7]
	s_cbranch_execz .LBB14_1994
.LBB14_4044:
	v_mov_b32_e32 v0, 0
	v_cmp_ne_u16_sdwa s[8:9], v1, v0 src0_sel:BYTE_0 src1_sel:DWORD
	s_andn2_b64 s[4:5], s[4:5], exec
	s_and_b64 s[8:9], s[8:9], exec
	s_or_b64 s[4:5], s[4:5], s[8:9]
	s_or_b64 exec, exec, s[6:7]
	s_and_saveexec_b64 s[6:7], s[4:5]
	s_cbranch_execnz .LBB14_1995
	s_branch .LBB14_1996
.LBB14_4045:
	s_movk_i32 s4, 0x80
	v_cmp_eq_u16_sdwa s[12:13], v1, s4 src0_sel:BYTE_0 src1_sel:DWORD
	s_mov_b64 s[4:5], -1
                                        ; implicit-def: $sgpr10
	s_and_saveexec_b64 s[8:9], s[12:13]
; %bb.4046:
	s_mov_b32 s10, 0x7f800001
	s_xor_b64 s[4:5], exec, -1
; %bb.4047:
	s_or_b64 exec, exec, s[8:9]
	s_and_b64 s[4:5], s[4:5], exec
	s_or_saveexec_b64 s[6:7], s[6:7]
	v_mov_b32_e32 v4, s10
	s_xor_b64 exec, exec, s[6:7]
	s_cbranch_execz .LBB14_1998
.LBB14_4048:
	v_mov_b32_e32 v4, 0
	v_cmp_ne_u16_sdwa s[8:9], v1, v4 src0_sel:BYTE_0 src1_sel:DWORD
	s_andn2_b64 s[4:5], s[4:5], exec
	s_and_b64 s[8:9], s[8:9], exec
	s_or_b64 s[4:5], s[4:5], s[8:9]
	s_or_b64 exec, exec, s[6:7]
	s_and_saveexec_b64 s[6:7], s[4:5]
	s_cbranch_execnz .LBB14_1999
	s_branch .LBB14_2000
.LBB14_4049:
	s_movk_i32 s4, 0x80
	v_cmp_eq_u16_e32 vcc, s4, v1
	s_mov_b64 s[4:5], -1
                                        ; implicit-def: $sgpr10
	s_and_saveexec_b64 s[8:9], vcc
; %bb.4050:
	s_mov_b32 s10, 0x7f800001
	s_xor_b64 s[4:5], exec, -1
; %bb.4051:
	s_or_b64 exec, exec, s[8:9]
	s_and_b64 s[4:5], s[4:5], exec
                                        ; implicit-def: $vgpr1
	s_or_saveexec_b64 s[6:7], s[6:7]
	v_mov_b32_e32 v0, s10
	s_xor_b64 exec, exec, s[6:7]
	s_cbranch_execz .LBB14_2002
.LBB14_4052:
	v_cmp_ne_u16_e32 vcc, 0, v1
	s_andn2_b64 s[4:5], s[4:5], exec
	s_and_b64 s[8:9], vcc, exec
	v_mov_b32_e32 v0, 0
	s_or_b64 s[4:5], s[4:5], s[8:9]
	s_or_b64 exec, exec, s[6:7]
	s_and_saveexec_b64 s[6:7], s[4:5]
	s_cbranch_execnz .LBB14_2003
	s_branch .LBB14_2004
.LBB14_4053:
	s_movk_i32 s4, 0x80
	v_cmp_eq_u16_e32 vcc, s4, v1
	s_mov_b64 s[4:5], -1
                                        ; implicit-def: $sgpr10
	s_and_saveexec_b64 s[8:9], vcc
; %bb.4054:
	s_mov_b32 s10, 0x7f800001
	s_xor_b64 s[4:5], exec, -1
; %bb.4055:
	s_or_b64 exec, exec, s[8:9]
	s_and_b64 s[4:5], s[4:5], exec
                                        ; implicit-def: $vgpr1
	s_or_saveexec_b64 s[6:7], s[6:7]
	v_mov_b32_e32 v4, s10
	s_xor_b64 exec, exec, s[6:7]
	s_cbranch_execz .LBB14_2006
.LBB14_4056:
	v_cmp_ne_u16_e32 vcc, 0, v1
	s_andn2_b64 s[4:5], s[4:5], exec
	s_and_b64 s[8:9], vcc, exec
	v_mov_b32_e32 v4, 0
	s_or_b64 s[4:5], s[4:5], s[8:9]
	s_or_b64 exec, exec, s[6:7]
	s_and_saveexec_b64 s[6:7], s[4:5]
	s_cbranch_execnz .LBB14_2007
	s_branch .LBB14_2008
.LBB14_4057:
	s_movk_i32 s4, 0x80
	v_cmp_eq_u16_sdwa s[12:13], v6, s4 src0_sel:BYTE_3 src1_sel:DWORD
	s_mov_b64 s[4:5], -1
                                        ; implicit-def: $sgpr10
	s_and_saveexec_b64 s[8:9], s[12:13]
; %bb.4058:
	s_mov_b32 s10, 0x7f800001
	s_xor_b64 s[4:5], exec, -1
; %bb.4059:
	s_or_b64 exec, exec, s[8:9]
	s_and_b64 s[4:5], s[4:5], exec
	s_or_saveexec_b64 s[6:7], s[6:7]
	v_mov_b32_e32 v0, s10
	s_xor_b64 exec, exec, s[6:7]
	s_cbranch_execz .LBB14_2010
.LBB14_4060:
	v_mov_b32_e32 v0, 0
	v_cmp_ne_u16_sdwa s[8:9], v6, v0 src0_sel:BYTE_3 src1_sel:DWORD
	s_andn2_b64 s[4:5], s[4:5], exec
	s_and_b64 s[8:9], s[8:9], exec
	s_or_b64 s[4:5], s[4:5], s[8:9]
	s_or_b64 exec, exec, s[6:7]
	s_and_saveexec_b64 s[6:7], s[4:5]
	s_cbranch_execnz .LBB14_2011
	s_branch .LBB14_2012
.LBB14_4061:
	s_movk_i32 s4, 0x80
	v_cmp_eq_u16_sdwa s[12:13], v2, s4 src0_sel:BYTE_3 src1_sel:DWORD
	s_mov_b64 s[4:5], -1
                                        ; implicit-def: $sgpr10
	s_and_saveexec_b64 s[8:9], s[12:13]
; %bb.4062:
	s_mov_b32 s10, 0x7f800001
	s_xor_b64 s[4:5], exec, -1
; %bb.4063:
	s_or_b64 exec, exec, s[8:9]
	s_and_b64 s[4:5], s[4:5], exec
	s_or_saveexec_b64 s[6:7], s[6:7]
	v_mov_b32_e32 v1, s10
	s_xor_b64 exec, exec, s[6:7]
	s_cbranch_execz .LBB14_2014
.LBB14_4064:
	v_mov_b32_e32 v1, 0
	v_cmp_ne_u16_sdwa s[8:9], v2, v1 src0_sel:BYTE_3 src1_sel:DWORD
	s_andn2_b64 s[4:5], s[4:5], exec
	s_and_b64 s[8:9], s[8:9], exec
	s_or_b64 s[4:5], s[4:5], s[8:9]
	s_or_b64 exec, exec, s[6:7]
	s_and_saveexec_b64 s[6:7], s[4:5]
	s_cbranch_execnz .LBB14_2015
	s_branch .LBB14_2016
.LBB14_4065:
	s_movk_i32 s4, 0x80
	v_cmp_eq_u16_sdwa s[12:13], v7, s4 src0_sel:BYTE_0 src1_sel:DWORD
	s_mov_b64 s[4:5], -1
                                        ; implicit-def: $sgpr10
	s_and_saveexec_b64 s[8:9], s[12:13]
; %bb.4066:
	s_mov_b32 s10, 0x7f800001
	s_xor_b64 s[4:5], exec, -1
; %bb.4067:
	s_or_b64 exec, exec, s[8:9]
	s_and_b64 s[4:5], s[4:5], exec
	s_or_saveexec_b64 s[6:7], s[6:7]
	v_mov_b32_e32 v0, s10
	s_xor_b64 exec, exec, s[6:7]
	s_cbranch_execz .LBB14_2018
.LBB14_4068:
	v_mov_b32_e32 v0, 0
	v_cmp_ne_u16_sdwa s[8:9], v7, v0 src0_sel:BYTE_0 src1_sel:DWORD
	s_andn2_b64 s[4:5], s[4:5], exec
	s_and_b64 s[8:9], s[8:9], exec
	s_or_b64 s[4:5], s[4:5], s[8:9]
	s_or_b64 exec, exec, s[6:7]
	s_and_saveexec_b64 s[6:7], s[4:5]
	s_cbranch_execnz .LBB14_2019
	s_branch .LBB14_2020
.LBB14_4069:
	s_movk_i32 s4, 0x80
	v_cmp_eq_u16_sdwa s[12:13], v3, s4 src0_sel:BYTE_0 src1_sel:DWORD
	s_mov_b64 s[4:5], -1
                                        ; implicit-def: $sgpr10
	s_and_saveexec_b64 s[8:9], s[12:13]
; %bb.4070:
	s_mov_b32 s10, 0x7f800001
	s_xor_b64 s[4:5], exec, -1
; %bb.4071:
	s_or_b64 exec, exec, s[8:9]
	s_and_b64 s[4:5], s[4:5], exec
	s_or_saveexec_b64 s[6:7], s[6:7]
	v_mov_b32_e32 v1, s10
	s_xor_b64 exec, exec, s[6:7]
	s_cbranch_execz .LBB14_2022
.LBB14_4072:
	v_mov_b32_e32 v1, 0
	v_cmp_ne_u16_sdwa s[8:9], v3, v1 src0_sel:BYTE_0 src1_sel:DWORD
	s_andn2_b64 s[4:5], s[4:5], exec
	s_and_b64 s[8:9], s[8:9], exec
	s_or_b64 s[4:5], s[4:5], s[8:9]
	s_or_b64 exec, exec, s[6:7]
	s_and_saveexec_b64 s[6:7], s[4:5]
	s_cbranch_execnz .LBB14_2023
	s_branch .LBB14_2024
.LBB14_4073:
	s_movk_i32 s4, 0x80
	v_cmp_eq_u16_sdwa s[12:13], v1, s4 src0_sel:BYTE_0 src1_sel:DWORD
	s_mov_b64 s[4:5], -1
                                        ; implicit-def: $sgpr10
	s_and_saveexec_b64 s[8:9], s[12:13]
; %bb.4074:
	s_mov_b32 s10, 0x7f800001
	s_xor_b64 s[4:5], exec, -1
; %bb.4075:
	s_or_b64 exec, exec, s[8:9]
	s_and_b64 s[4:5], s[4:5], exec
	s_or_saveexec_b64 s[6:7], s[6:7]
	v_mov_b32_e32 v0, s10
	s_xor_b64 exec, exec, s[6:7]
	s_cbranch_execz .LBB14_2026
.LBB14_4076:
	v_mov_b32_e32 v0, 0
	v_cmp_ne_u16_sdwa s[8:9], v1, v0 src0_sel:BYTE_0 src1_sel:DWORD
	s_andn2_b64 s[4:5], s[4:5], exec
	s_and_b64 s[8:9], s[8:9], exec
	s_or_b64 s[4:5], s[4:5], s[8:9]
	s_or_b64 exec, exec, s[6:7]
	s_and_saveexec_b64 s[6:7], s[4:5]
	s_cbranch_execnz .LBB14_2027
	s_branch .LBB14_2028
.LBB14_4077:
	s_movk_i32 s4, 0x80
	v_cmp_eq_u16_sdwa s[12:13], v1, s4 src0_sel:BYTE_0 src1_sel:DWORD
	s_mov_b64 s[4:5], -1
                                        ; implicit-def: $sgpr10
	s_and_saveexec_b64 s[8:9], s[12:13]
; %bb.4078:
	s_mov_b32 s10, 0x7f800001
	s_xor_b64 s[4:5], exec, -1
; %bb.4079:
	s_or_b64 exec, exec, s[8:9]
	s_and_b64 s[4:5], s[4:5], exec
	s_or_saveexec_b64 s[6:7], s[6:7]
	v_mov_b32_e32 v2, s10
	s_xor_b64 exec, exec, s[6:7]
	s_cbranch_execz .LBB14_2030
.LBB14_4080:
	v_mov_b32_e32 v2, 0
	v_cmp_ne_u16_sdwa s[8:9], v1, v2 src0_sel:BYTE_0 src1_sel:DWORD
	s_andn2_b64 s[4:5], s[4:5], exec
	s_and_b64 s[8:9], s[8:9], exec
	s_or_b64 s[4:5], s[4:5], s[8:9]
	s_or_b64 exec, exec, s[6:7]
	s_and_saveexec_b64 s[6:7], s[4:5]
	s_cbranch_execnz .LBB14_2031
	s_branch .LBB14_2032
.LBB14_4081:
	s_movk_i32 s4, 0x80
	v_cmp_eq_u16_e32 vcc, s4, v1
	s_mov_b64 s[4:5], -1
                                        ; implicit-def: $sgpr10
	s_and_saveexec_b64 s[8:9], vcc
; %bb.4082:
	s_mov_b32 s10, 0x7f800001
	s_xor_b64 s[4:5], exec, -1
; %bb.4083:
	s_or_b64 exec, exec, s[8:9]
	s_and_b64 s[4:5], s[4:5], exec
                                        ; implicit-def: $vgpr1
	s_or_saveexec_b64 s[6:7], s[6:7]
	v_mov_b32_e32 v0, s10
	s_xor_b64 exec, exec, s[6:7]
	s_cbranch_execz .LBB14_2034
.LBB14_4084:
	v_cmp_ne_u16_e32 vcc, 0, v1
	s_andn2_b64 s[4:5], s[4:5], exec
	s_and_b64 s[8:9], vcc, exec
	v_mov_b32_e32 v0, 0
	s_or_b64 s[4:5], s[4:5], s[8:9]
	s_or_b64 exec, exec, s[6:7]
	s_and_saveexec_b64 s[6:7], s[4:5]
	s_cbranch_execnz .LBB14_2035
	s_branch .LBB14_2036
.LBB14_4085:
	s_movk_i32 s4, 0x80
	v_cmp_eq_u16_e32 vcc, s4, v1
	s_mov_b64 s[4:5], -1
                                        ; implicit-def: $sgpr10
	s_and_saveexec_b64 s[8:9], vcc
; %bb.4086:
	s_mov_b32 s10, 0x7f800001
	s_xor_b64 s[4:5], exec, -1
; %bb.4087:
	s_or_b64 exec, exec, s[8:9]
	s_and_b64 s[4:5], s[4:5], exec
                                        ; implicit-def: $vgpr1
	s_or_saveexec_b64 s[6:7], s[6:7]
	v_mov_b32_e32 v2, s10
	s_xor_b64 exec, exec, s[6:7]
	s_cbranch_execz .LBB14_2038
.LBB14_4088:
	v_cmp_ne_u16_e32 vcc, 0, v1
	s_andn2_b64 s[4:5], s[4:5], exec
	s_and_b64 s[8:9], vcc, exec
	v_mov_b32_e32 v2, 0
	s_or_b64 s[4:5], s[4:5], s[8:9]
	s_or_b64 exec, exec, s[6:7]
	s_and_saveexec_b64 s[6:7], s[4:5]
	s_cbranch_execnz .LBB14_2039
	s_branch .LBB14_2040
.LBB14_4089:
	s_movk_i32 s4, 0x80
	v_cmp_eq_u16_sdwa s[12:13], v7, s4 src0_sel:BYTE_3 src1_sel:DWORD
	s_mov_b64 s[4:5], -1
                                        ; implicit-def: $sgpr10
	s_and_saveexec_b64 s[8:9], s[12:13]
; %bb.4090:
	s_mov_b32 s10, 0x7f800001
	s_xor_b64 s[4:5], exec, -1
; %bb.4091:
	s_or_b64 exec, exec, s[8:9]
	s_and_b64 s[4:5], s[4:5], exec
	s_or_saveexec_b64 s[6:7], s[6:7]
	v_mov_b32_e32 v0, s10
	s_xor_b64 exec, exec, s[6:7]
	s_cbranch_execz .LBB14_2042
.LBB14_4092:
	v_mov_b32_e32 v0, 0
	v_cmp_ne_u16_sdwa s[8:9], v7, v0 src0_sel:BYTE_3 src1_sel:DWORD
	s_andn2_b64 s[4:5], s[4:5], exec
	s_and_b64 s[8:9], s[8:9], exec
	s_or_b64 s[4:5], s[4:5], s[8:9]
	s_or_b64 exec, exec, s[6:7]
	s_and_saveexec_b64 s[6:7], s[4:5]
	s_cbranch_execnz .LBB14_2043
	s_branch .LBB14_2044
.LBB14_4093:
	s_movk_i32 s4, 0x80
	v_cmp_eq_u16_sdwa s[12:13], v3, s4 src0_sel:BYTE_3 src1_sel:DWORD
	s_mov_b64 s[4:5], -1
                                        ; implicit-def: $sgpr10
	s_and_saveexec_b64 s[8:9], s[12:13]
; %bb.4094:
	s_mov_b32 s10, 0x7f800001
	s_xor_b64 s[4:5], exec, -1
; %bb.4095:
	s_or_b64 exec, exec, s[8:9]
	s_and_b64 s[4:5], s[4:5], exec
	s_or_saveexec_b64 s[6:7], s[6:7]
	v_mov_b32_e32 v1, s10
	s_xor_b64 exec, exec, s[6:7]
	s_cbranch_execz .LBB14_2046
.LBB14_4096:
	v_mov_b32_e32 v1, 0
	v_cmp_ne_u16_sdwa s[8:9], v3, v1 src0_sel:BYTE_3 src1_sel:DWORD
	s_andn2_b64 s[4:5], s[4:5], exec
	s_and_b64 s[8:9], s[8:9], exec
	s_or_b64 s[4:5], s[4:5], s[8:9]
	s_or_b64 exec, exec, s[6:7]
	s_and_saveexec_b64 s[6:7], s[4:5]
	s_cbranch_execnz .LBB14_2047
	s_branch .LBB14_2048
.Lfunc_end14:
	.size	_ZNK2ck6detail7applierIiJLi0ELi1ELi2ELi3ELi4ELi5ELi6ELi7EEEclIZNKS_11static_fordINS_8SequenceIJLi1ELi8EEEENS5_IJLi0ELi1EEEEEclIZZZNKS_52BlockwiseGemmXdlops_pipeline_bpreshuffle_bdequant_v3ILNS_26BlockGemmPipelineSchedulerE0ELi256ENS_9f8_fnuz_tENS_7pk_i4_tESC_fNS_16TensorDescriptorINS_5TupleIJNS_5EmbedINSF_IJNS_17integral_constantIiLi8EEENSH_IiLi256EEENSH_IiLi16EEEEEENSF_IJSK_NSH_IiLi128EEENSH_IiLi1EEEEEELb0EEENS_3XorINSF_IJSJ_SI_EEELb1EEENS_11PassThroughISK_EENS_7UnMergeINSF_IJSI_SN_EEELb0EEENST_ISJ_EESU_NST_ISI_EENS_21Merge_v3_division_modINSF_IJSJ_SN_EEEEESU_EEENSF_IJNS5_IJLi0EEEENS5_IJLi2ELi1EEEENS5_IJLi3EEEENS5_IJLi5EEEENS5_IJLi4EEEENS5_IJLi6EEEENS5_IJLi7EEEENS5_IJLi9ELi8EEEENS5_IJLi10EEEEEEENSF_IJNS5_IJLi1ELi2ELi3EEEENS5_IJLi4ELi5EEEES19_NS5_IJLi7ELi8EEEENS5_IJLi9EEEES1C_NS5_IJLi11EEEENS5_IJLi12EEEENS5_IJLi13EEEEEEENS5_IJLi11ELi12ELi13EEEENSH_IlLl32768EEEEENSE_INSF_IJNSV_INSF_IJSI_SN_SN_NSH_IiLi32EEEEEELb0EEEEEENSF_IJS14_EEENSF_IJNS5_IJLi1ELi2ELi3ELi4EEEEEEES1U_NSH_IlLl256EEEEENSE_INSF_IJSP_SS_SU_SX_SY_SU_SZ_S12_SU_NS10_INSF_IJSI_SK_EEEEENSV_INSF_IJSI_NSH_IiLi2EEESK_EEELb0EEEEEENSF_IJS14_S15_S16_S17_S18_S19_S1A_S1B_S1C_NS5_IJLi11ELi13EEEES1J_EEENSF_IJS1E_S1F_S19_S1G_S1H_S1C_S1I_S1J_S1K_NS5_IJLi14EEEENS5_IJLi15ELi16ELi17EEEEEEENS5_IJLi15ELi16ELi17ELi14EEEES1N_EENSE_INSF_IJS1R_NS10_ISW_EES22_EEENSF_IJS14_NS5_IJLi1ELi3EEEENS5_IJLi2EEEEEEENSF_IJS1U_S17_NS5_IJLi6ELi7ELi8EEEEEEENS5_IJLi6ELi7ELi8ELi5EEEES1W_EELi16ELi32ELi256ELi256ELi128ELi16ELi16ELi8ELi8ELi32ELb0EE3RunILb1ELNS_10TailNumberE0ENSE_INSF_IJNSG_INSF_IJiiEEENSF_IJiSN_EEELb0EEENSV_IS2N_Lb0EEENST_IiEEEEENSF_IJS14_S2E_NS5_IJLi1EEEEEEENSF_IJNS5_IJLi1ELi2EEEENS5_IJLi3ELi4EEEES17_EEENS5_IJLi3ELi5ELi4EEEElEES1O_NS_35ThreadGroupTensorSliceTransfer_v4r1INS_15ThisThreadBlockILi256EEENS_16tensor_operation12element_wise11PassThroughES35_LNS_25InMemoryDataOperationEnumE0ENS5_IJLi8ELi256ELi16EEEENS5_IJLi8ELi32ELi1EEEENS5_IJLi1ELi0ELi2EEEESC_SC_RKS2Z_KS1O_S39_NS5_IJLi0ELi1ELi2EEEELi2ELi2ELi16ELi16ELi1ELi1ELb0ELb1ELi2EiEENS_13DynamicBufferILNS_16AddressSpaceEnumE1EKSC_lLb1ELNS_22AmdBufferCoherenceEnumE0EiEENSF_IJNS3F_ILS3G_2ESC_S1N_Lb1ELS3I_0EiEES3K_EEENSF_IJiiiEEENSE_INSF_IJNSG_INSF_IJiiiiEEENSF_IJiiiSN_EEELb0EEEEEES1T_S1V_S1U_lEENS_32ThreadwiseTensorSliceTransfer_v2ISD_SD_RKS3R_KS1X_NS5_IJLi8ELi1ELi1ELi32EEEENS5_IJLi1ELi2ELi0ELi3EEEELi3ELi32ELi0ELb1ELb0ELb0EEENS3F_ILS3G_1EKSD_lLb1ELS3I_0EiEENSF_IJNS_12StaticBufferILS3G_4ESD_Li256ELb1EEES42_EEES3N_NS_25StaticBufferTupleOfVectorILS3G_4EfLi64ELi4ELb1ELb0EEEEEvRKT1_RKT2_RT3_RKT4_RT5_RKT6_RKT7_RT8_RKT9_RT10_RKT11_RT12_iENKUlT_T0_E_clISN_NSH_IiLi0EEEEEDaS51_S52_ENKUlS51_E_clINSH_IiLi4EEEEEDaS51_EUlS51_E_EEvS51_EUlS51_E_EEvS51_, .Lfunc_end14-_ZNK2ck6detail7applierIiJLi0ELi1ELi2ELi3ELi4ELi5ELi6ELi7EEEclIZNKS_11static_fordINS_8SequenceIJLi1ELi8EEEENS5_IJLi0ELi1EEEEEclIZZZNKS_52BlockwiseGemmXdlops_pipeline_bpreshuffle_bdequant_v3ILNS_26BlockGemmPipelineSchedulerE0ELi256ENS_9f8_fnuz_tENS_7pk_i4_tESC_fNS_16TensorDescriptorINS_5TupleIJNS_5EmbedINSF_IJNS_17integral_constantIiLi8EEENSH_IiLi256EEENSH_IiLi16EEEEEENSF_IJSK_NSH_IiLi128EEENSH_IiLi1EEEEEELb0EEENS_3XorINSF_IJSJ_SI_EEELb1EEENS_11PassThroughISK_EENS_7UnMergeINSF_IJSI_SN_EEELb0EEENST_ISJ_EESU_NST_ISI_EENS_21Merge_v3_division_modINSF_IJSJ_SN_EEEEESU_EEENSF_IJNS5_IJLi0EEEENS5_IJLi2ELi1EEEENS5_IJLi3EEEENS5_IJLi5EEEENS5_IJLi4EEEENS5_IJLi6EEEENS5_IJLi7EEEENS5_IJLi9ELi8EEEENS5_IJLi10EEEEEEENSF_IJNS5_IJLi1ELi2ELi3EEEENS5_IJLi4ELi5EEEES19_NS5_IJLi7ELi8EEEENS5_IJLi9EEEES1C_NS5_IJLi11EEEENS5_IJLi12EEEENS5_IJLi13EEEEEEENS5_IJLi11ELi12ELi13EEEENSH_IlLl32768EEEEENSE_INSF_IJNSV_INSF_IJSI_SN_SN_NSH_IiLi32EEEEEELb0EEEEEENSF_IJS14_EEENSF_IJNS5_IJLi1ELi2ELi3ELi4EEEEEEES1U_NSH_IlLl256EEEEENSE_INSF_IJSP_SS_SU_SX_SY_SU_SZ_S12_SU_NS10_INSF_IJSI_SK_EEEEENSV_INSF_IJSI_NSH_IiLi2EEESK_EEELb0EEEEEENSF_IJS14_S15_S16_S17_S18_S19_S1A_S1B_S1C_NS5_IJLi11ELi13EEEES1J_EEENSF_IJS1E_S1F_S19_S1G_S1H_S1C_S1I_S1J_S1K_NS5_IJLi14EEEENS5_IJLi15ELi16ELi17EEEEEEENS5_IJLi15ELi16ELi17ELi14EEEES1N_EENSE_INSF_IJS1R_NS10_ISW_EES22_EEENSF_IJS14_NS5_IJLi1ELi3EEEENS5_IJLi2EEEEEEENSF_IJS1U_S17_NS5_IJLi6ELi7ELi8EEEEEEENS5_IJLi6ELi7ELi8ELi5EEEES1W_EELi16ELi32ELi256ELi256ELi128ELi16ELi16ELi8ELi8ELi32ELb0EE3RunILb1ELNS_10TailNumberE0ENSE_INSF_IJNSG_INSF_IJiiEEENSF_IJiSN_EEELb0EEENSV_IS2N_Lb0EEENST_IiEEEEENSF_IJS14_S2E_NS5_IJLi1EEEEEEENSF_IJNS5_IJLi1ELi2EEEENS5_IJLi3ELi4EEEES17_EEENS5_IJLi3ELi5ELi4EEEElEES1O_NS_35ThreadGroupTensorSliceTransfer_v4r1INS_15ThisThreadBlockILi256EEENS_16tensor_operation12element_wise11PassThroughES35_LNS_25InMemoryDataOperationEnumE0ENS5_IJLi8ELi256ELi16EEEENS5_IJLi8ELi32ELi1EEEENS5_IJLi1ELi0ELi2EEEESC_SC_RKS2Z_KS1O_S39_NS5_IJLi0ELi1ELi2EEEELi2ELi2ELi16ELi16ELi1ELi1ELb0ELb1ELi2EiEENS_13DynamicBufferILNS_16AddressSpaceEnumE1EKSC_lLb1ELNS_22AmdBufferCoherenceEnumE0EiEENSF_IJNS3F_ILS3G_2ESC_S1N_Lb1ELS3I_0EiEES3K_EEENSF_IJiiiEEENSE_INSF_IJNSG_INSF_IJiiiiEEENSF_IJiiiSN_EEELb0EEEEEES1T_S1V_S1U_lEENS_32ThreadwiseTensorSliceTransfer_v2ISD_SD_RKS3R_KS1X_NS5_IJLi8ELi1ELi1ELi32EEEENS5_IJLi1ELi2ELi0ELi3EEEELi3ELi32ELi0ELb1ELb0ELb0EEENS3F_ILS3G_1EKSD_lLb1ELS3I_0EiEENSF_IJNS_12StaticBufferILS3G_4ESD_Li256ELb1EEES42_EEES3N_NS_25StaticBufferTupleOfVectorILS3G_4EfLi64ELi4ELb1ELb0EEEEEvRKT1_RKT2_RT3_RKT4_RT5_RKT6_RKT7_RT8_RKT9_RT10_RKT11_RT12_iENKUlT_T0_E_clISN_NSH_IiLi0EEEEEDaS51_S52_ENKUlS51_E_clINSH_IiLi4EEEEEDaS51_EUlS51_E_EEvS51_EUlS51_E_EEvS51_
                                        ; -- End function
	.section	.AMDGPU.csdata,"",@progbits
; Function info:
; codeLenInByte = 133608
; NumSgprs: 36
; NumVgprs: 26
; NumAgprs: 4
; TotalNumVgprs: 32
; ScratchSize: 0
; MemoryBound: 1
	.text
	.p2align	2                               ; -- Begin function _ZNK2ck6detail7applierIiJLi0ELi1ELi2ELi3ELi4ELi5ELi6ELi7EEEclIZNKS_11static_fordINS_8SequenceIJLi1ELi8EEEENS5_IJLi0ELi1EEEEEclIZZZNKS_52BlockwiseGemmXdlops_pipeline_bpreshuffle_bdequant_v3ILNS_26BlockGemmPipelineSchedulerE0ELi256ENS_9f8_fnuz_tENS_7pk_i4_tESC_fNS_16TensorDescriptorINS_5TupleIJNS_5EmbedINSF_IJNS_17integral_constantIiLi8EEENSH_IiLi256EEENSH_IiLi16EEEEEENSF_IJSK_NSH_IiLi128EEENSH_IiLi1EEEEEELb0EEENS_3XorINSF_IJSJ_SI_EEELb1EEENS_11PassThroughISK_EENS_7UnMergeINSF_IJSI_SN_EEELb0EEENST_ISJ_EESU_NST_ISI_EENS_21Merge_v3_division_modINSF_IJSJ_SN_EEEEESU_EEENSF_IJNS5_IJLi0EEEENS5_IJLi2ELi1EEEENS5_IJLi3EEEENS5_IJLi5EEEENS5_IJLi4EEEENS5_IJLi6EEEENS5_IJLi7EEEENS5_IJLi9ELi8EEEENS5_IJLi10EEEEEEENSF_IJNS5_IJLi1ELi2ELi3EEEENS5_IJLi4ELi5EEEES19_NS5_IJLi7ELi8EEEENS5_IJLi9EEEES1C_NS5_IJLi11EEEENS5_IJLi12EEEENS5_IJLi13EEEEEEENS5_IJLi11ELi12ELi13EEEENSH_IlLl32768EEEEENSE_INSF_IJNSV_INSF_IJSI_SN_SN_NSH_IiLi32EEEEEELb0EEEEEENSF_IJS14_EEENSF_IJNS5_IJLi1ELi2ELi3ELi4EEEEEEES1U_NSH_IlLl256EEEEENSE_INSF_IJSP_SS_SU_SX_SY_SU_SZ_S12_SU_NS10_INSF_IJSI_SK_EEEEENSV_INSF_IJSI_NSH_IiLi2EEESK_EEELb0EEEEEENSF_IJS14_S15_S16_S17_S18_S19_S1A_S1B_S1C_NS5_IJLi11ELi13EEEES1J_EEENSF_IJS1E_S1F_S19_S1G_S1H_S1C_S1I_S1J_S1K_NS5_IJLi14EEEENS5_IJLi15ELi16ELi17EEEEEEENS5_IJLi15ELi16ELi17ELi14EEEES1N_EENSE_INSF_IJS1R_NS10_ISW_EES22_EEENSF_IJS14_NS5_IJLi1ELi3EEEENS5_IJLi2EEEEEEENSF_IJS1U_S17_NS5_IJLi6ELi7ELi8EEEEEEENS5_IJLi6ELi7ELi8ELi5EEEES1W_EELi16ELi32ELi256ELi256ELi128ELi16ELi16ELi8ELi8ELi32ELb0EE3RunILb1ELNS_10TailNumberE0ENSE_INSF_IJNSG_INSF_IJiiEEENSF_IJiSN_EEELb0EEENSV_IS2N_Lb0EEENST_IiEEEEENSF_IJS14_S2E_NS5_IJLi1EEEEEEENSF_IJNS5_IJLi1ELi2EEEENS5_IJLi3ELi4EEEES17_EEENS5_IJLi3ELi5ELi4EEEElEES1O_NS_35ThreadGroupTensorSliceTransfer_v4r1INS_15ThisThreadBlockILi256EEENS_16tensor_operation12element_wise11PassThroughES35_LNS_25InMemoryDataOperationEnumE0ENS5_IJLi8ELi256ELi16EEEENS5_IJLi8ELi32ELi1EEEENS5_IJLi1ELi0ELi2EEEESC_SC_RKS2Z_KS1O_S39_NS5_IJLi0ELi1ELi2EEEELi2ELi2ELi16ELi16ELi1ELi1ELb0ELb1ELi2EiEENS_13DynamicBufferILNS_16AddressSpaceEnumE1EKSC_lLb1ELNS_22AmdBufferCoherenceEnumE0EiEENSF_IJNS3F_ILS3G_2ESC_S1N_Lb1ELS3I_0EiEES3K_EEENSF_IJiiiEEENSE_INSF_IJNSG_INSF_IJiiiiEEENSF_IJiiiSN_EEELb0EEEEEES1T_S1V_S1U_lEENS_32ThreadwiseTensorSliceTransfer_v2ISD_SD_RKS3R_KS1X_NS5_IJLi8ELi1ELi1ELi32EEEENS5_IJLi1ELi2ELi0ELi3EEEELi3ELi32ELi0ELb1ELb0ELb0EEENS3F_ILS3G_1EKSD_lLb1ELS3I_0EiEENSF_IJNS_12StaticBufferILS3G_4ESD_Li256ELb1EEES42_EEES3N_NS_25StaticBufferTupleOfVectorILS3G_4EfLi64ELi4ELb1ELb0EEEEEvRKT1_RKT2_RT3_RKT4_RT5_RKT6_RKT7_RT8_RKT9_RT10_RKT11_RT12_iENKUlT_T0_E_clISN_NSH_IiLi0EEEEEDaS51_S52_ENKUlS51_E_clINSH_IiLi5EEEEEDaS51_EUlS51_E_EEvS51_EUlS51_E_EEvS51_
	.type	_ZNK2ck6detail7applierIiJLi0ELi1ELi2ELi3ELi4ELi5ELi6ELi7EEEclIZNKS_11static_fordINS_8SequenceIJLi1ELi8EEEENS5_IJLi0ELi1EEEEEclIZZZNKS_52BlockwiseGemmXdlops_pipeline_bpreshuffle_bdequant_v3ILNS_26BlockGemmPipelineSchedulerE0ELi256ENS_9f8_fnuz_tENS_7pk_i4_tESC_fNS_16TensorDescriptorINS_5TupleIJNS_5EmbedINSF_IJNS_17integral_constantIiLi8EEENSH_IiLi256EEENSH_IiLi16EEEEEENSF_IJSK_NSH_IiLi128EEENSH_IiLi1EEEEEELb0EEENS_3XorINSF_IJSJ_SI_EEELb1EEENS_11PassThroughISK_EENS_7UnMergeINSF_IJSI_SN_EEELb0EEENST_ISJ_EESU_NST_ISI_EENS_21Merge_v3_division_modINSF_IJSJ_SN_EEEEESU_EEENSF_IJNS5_IJLi0EEEENS5_IJLi2ELi1EEEENS5_IJLi3EEEENS5_IJLi5EEEENS5_IJLi4EEEENS5_IJLi6EEEENS5_IJLi7EEEENS5_IJLi9ELi8EEEENS5_IJLi10EEEEEEENSF_IJNS5_IJLi1ELi2ELi3EEEENS5_IJLi4ELi5EEEES19_NS5_IJLi7ELi8EEEENS5_IJLi9EEEES1C_NS5_IJLi11EEEENS5_IJLi12EEEENS5_IJLi13EEEEEEENS5_IJLi11ELi12ELi13EEEENSH_IlLl32768EEEEENSE_INSF_IJNSV_INSF_IJSI_SN_SN_NSH_IiLi32EEEEEELb0EEEEEENSF_IJS14_EEENSF_IJNS5_IJLi1ELi2ELi3ELi4EEEEEEES1U_NSH_IlLl256EEEEENSE_INSF_IJSP_SS_SU_SX_SY_SU_SZ_S12_SU_NS10_INSF_IJSI_SK_EEEEENSV_INSF_IJSI_NSH_IiLi2EEESK_EEELb0EEEEEENSF_IJS14_S15_S16_S17_S18_S19_S1A_S1B_S1C_NS5_IJLi11ELi13EEEES1J_EEENSF_IJS1E_S1F_S19_S1G_S1H_S1C_S1I_S1J_S1K_NS5_IJLi14EEEENS5_IJLi15ELi16ELi17EEEEEEENS5_IJLi15ELi16ELi17ELi14EEEES1N_EENSE_INSF_IJS1R_NS10_ISW_EES22_EEENSF_IJS14_NS5_IJLi1ELi3EEEENS5_IJLi2EEEEEEENSF_IJS1U_S17_NS5_IJLi6ELi7ELi8EEEEEEENS5_IJLi6ELi7ELi8ELi5EEEES1W_EELi16ELi32ELi256ELi256ELi128ELi16ELi16ELi8ELi8ELi32ELb0EE3RunILb1ELNS_10TailNumberE0ENSE_INSF_IJNSG_INSF_IJiiEEENSF_IJiSN_EEELb0EEENSV_IS2N_Lb0EEENST_IiEEEEENSF_IJS14_S2E_NS5_IJLi1EEEEEEENSF_IJNS5_IJLi1ELi2EEEENS5_IJLi3ELi4EEEES17_EEENS5_IJLi3ELi5ELi4EEEElEES1O_NS_35ThreadGroupTensorSliceTransfer_v4r1INS_15ThisThreadBlockILi256EEENS_16tensor_operation12element_wise11PassThroughES35_LNS_25InMemoryDataOperationEnumE0ENS5_IJLi8ELi256ELi16EEEENS5_IJLi8ELi32ELi1EEEENS5_IJLi1ELi0ELi2EEEESC_SC_RKS2Z_KS1O_S39_NS5_IJLi0ELi1ELi2EEEELi2ELi2ELi16ELi16ELi1ELi1ELb0ELb1ELi2EiEENS_13DynamicBufferILNS_16AddressSpaceEnumE1EKSC_lLb1ELNS_22AmdBufferCoherenceEnumE0EiEENSF_IJNS3F_ILS3G_2ESC_S1N_Lb1ELS3I_0EiEES3K_EEENSF_IJiiiEEENSE_INSF_IJNSG_INSF_IJiiiiEEENSF_IJiiiSN_EEELb0EEEEEES1T_S1V_S1U_lEENS_32ThreadwiseTensorSliceTransfer_v2ISD_SD_RKS3R_KS1X_NS5_IJLi8ELi1ELi1ELi32EEEENS5_IJLi1ELi2ELi0ELi3EEEELi3ELi32ELi0ELb1ELb0ELb0EEENS3F_ILS3G_1EKSD_lLb1ELS3I_0EiEENSF_IJNS_12StaticBufferILS3G_4ESD_Li256ELb1EEES42_EEES3N_NS_25StaticBufferTupleOfVectorILS3G_4EfLi64ELi4ELb1ELb0EEEEEvRKT1_RKT2_RT3_RKT4_RT5_RKT6_RKT7_RT8_RKT9_RT10_RKT11_RT12_iENKUlT_T0_E_clISN_NSH_IiLi0EEEEEDaS51_S52_ENKUlS51_E_clINSH_IiLi5EEEEEDaS51_EUlS51_E_EEvS51_EUlS51_E_EEvS51_,@function
_ZNK2ck6detail7applierIiJLi0ELi1ELi2ELi3ELi4ELi5ELi6ELi7EEEclIZNKS_11static_fordINS_8SequenceIJLi1ELi8EEEENS5_IJLi0ELi1EEEEEclIZZZNKS_52BlockwiseGemmXdlops_pipeline_bpreshuffle_bdequant_v3ILNS_26BlockGemmPipelineSchedulerE0ELi256ENS_9f8_fnuz_tENS_7pk_i4_tESC_fNS_16TensorDescriptorINS_5TupleIJNS_5EmbedINSF_IJNS_17integral_constantIiLi8EEENSH_IiLi256EEENSH_IiLi16EEEEEENSF_IJSK_NSH_IiLi128EEENSH_IiLi1EEEEEELb0EEENS_3XorINSF_IJSJ_SI_EEELb1EEENS_11PassThroughISK_EENS_7UnMergeINSF_IJSI_SN_EEELb0EEENST_ISJ_EESU_NST_ISI_EENS_21Merge_v3_division_modINSF_IJSJ_SN_EEEEESU_EEENSF_IJNS5_IJLi0EEEENS5_IJLi2ELi1EEEENS5_IJLi3EEEENS5_IJLi5EEEENS5_IJLi4EEEENS5_IJLi6EEEENS5_IJLi7EEEENS5_IJLi9ELi8EEEENS5_IJLi10EEEEEEENSF_IJNS5_IJLi1ELi2ELi3EEEENS5_IJLi4ELi5EEEES19_NS5_IJLi7ELi8EEEENS5_IJLi9EEEES1C_NS5_IJLi11EEEENS5_IJLi12EEEENS5_IJLi13EEEEEEENS5_IJLi11ELi12ELi13EEEENSH_IlLl32768EEEEENSE_INSF_IJNSV_INSF_IJSI_SN_SN_NSH_IiLi32EEEEEELb0EEEEEENSF_IJS14_EEENSF_IJNS5_IJLi1ELi2ELi3ELi4EEEEEEES1U_NSH_IlLl256EEEEENSE_INSF_IJSP_SS_SU_SX_SY_SU_SZ_S12_SU_NS10_INSF_IJSI_SK_EEEEENSV_INSF_IJSI_NSH_IiLi2EEESK_EEELb0EEEEEENSF_IJS14_S15_S16_S17_S18_S19_S1A_S1B_S1C_NS5_IJLi11ELi13EEEES1J_EEENSF_IJS1E_S1F_S19_S1G_S1H_S1C_S1I_S1J_S1K_NS5_IJLi14EEEENS5_IJLi15ELi16ELi17EEEEEEENS5_IJLi15ELi16ELi17ELi14EEEES1N_EENSE_INSF_IJS1R_NS10_ISW_EES22_EEENSF_IJS14_NS5_IJLi1ELi3EEEENS5_IJLi2EEEEEEENSF_IJS1U_S17_NS5_IJLi6ELi7ELi8EEEEEEENS5_IJLi6ELi7ELi8ELi5EEEES1W_EELi16ELi32ELi256ELi256ELi128ELi16ELi16ELi8ELi8ELi32ELb0EE3RunILb1ELNS_10TailNumberE0ENSE_INSF_IJNSG_INSF_IJiiEEENSF_IJiSN_EEELb0EEENSV_IS2N_Lb0EEENST_IiEEEEENSF_IJS14_S2E_NS5_IJLi1EEEEEEENSF_IJNS5_IJLi1ELi2EEEENS5_IJLi3ELi4EEEES17_EEENS5_IJLi3ELi5ELi4EEEElEES1O_NS_35ThreadGroupTensorSliceTransfer_v4r1INS_15ThisThreadBlockILi256EEENS_16tensor_operation12element_wise11PassThroughES35_LNS_25InMemoryDataOperationEnumE0ENS5_IJLi8ELi256ELi16EEEENS5_IJLi8ELi32ELi1EEEENS5_IJLi1ELi0ELi2EEEESC_SC_RKS2Z_KS1O_S39_NS5_IJLi0ELi1ELi2EEEELi2ELi2ELi16ELi16ELi1ELi1ELb0ELb1ELi2EiEENS_13DynamicBufferILNS_16AddressSpaceEnumE1EKSC_lLb1ELNS_22AmdBufferCoherenceEnumE0EiEENSF_IJNS3F_ILS3G_2ESC_S1N_Lb1ELS3I_0EiEES3K_EEENSF_IJiiiEEENSE_INSF_IJNSG_INSF_IJiiiiEEENSF_IJiiiSN_EEELb0EEEEEES1T_S1V_S1U_lEENS_32ThreadwiseTensorSliceTransfer_v2ISD_SD_RKS3R_KS1X_NS5_IJLi8ELi1ELi1ELi32EEEENS5_IJLi1ELi2ELi0ELi3EEEELi3ELi32ELi0ELb1ELb0ELb0EEENS3F_ILS3G_1EKSD_lLb1ELS3I_0EiEENSF_IJNS_12StaticBufferILS3G_4ESD_Li256ELb1EEES42_EEES3N_NS_25StaticBufferTupleOfVectorILS3G_4EfLi64ELi4ELb1ELb0EEEEEvRKT1_RKT2_RT3_RKT4_RT5_RKT6_RKT7_RT8_RKT9_RT10_RKT11_RT12_iENKUlT_T0_E_clISN_NSH_IiLi0EEEEEDaS51_S52_ENKUlS51_E_clINSH_IiLi5EEEEEDaS51_EUlS51_E_EEvS51_EUlS51_E_EEvS51_: ; @_ZNK2ck6detail7applierIiJLi0ELi1ELi2ELi3ELi4ELi5ELi6ELi7EEEclIZNKS_11static_fordINS_8SequenceIJLi1ELi8EEEENS5_IJLi0ELi1EEEEEclIZZZNKS_52BlockwiseGemmXdlops_pipeline_bpreshuffle_bdequant_v3ILNS_26BlockGemmPipelineSchedulerE0ELi256ENS_9f8_fnuz_tENS_7pk_i4_tESC_fNS_16TensorDescriptorINS_5TupleIJNS_5EmbedINSF_IJNS_17integral_constantIiLi8EEENSH_IiLi256EEENSH_IiLi16EEEEEENSF_IJSK_NSH_IiLi128EEENSH_IiLi1EEEEEELb0EEENS_3XorINSF_IJSJ_SI_EEELb1EEENS_11PassThroughISK_EENS_7UnMergeINSF_IJSI_SN_EEELb0EEENST_ISJ_EESU_NST_ISI_EENS_21Merge_v3_division_modINSF_IJSJ_SN_EEEEESU_EEENSF_IJNS5_IJLi0EEEENS5_IJLi2ELi1EEEENS5_IJLi3EEEENS5_IJLi5EEEENS5_IJLi4EEEENS5_IJLi6EEEENS5_IJLi7EEEENS5_IJLi9ELi8EEEENS5_IJLi10EEEEEEENSF_IJNS5_IJLi1ELi2ELi3EEEENS5_IJLi4ELi5EEEES19_NS5_IJLi7ELi8EEEENS5_IJLi9EEEES1C_NS5_IJLi11EEEENS5_IJLi12EEEENS5_IJLi13EEEEEEENS5_IJLi11ELi12ELi13EEEENSH_IlLl32768EEEEENSE_INSF_IJNSV_INSF_IJSI_SN_SN_NSH_IiLi32EEEEEELb0EEEEEENSF_IJS14_EEENSF_IJNS5_IJLi1ELi2ELi3ELi4EEEEEEES1U_NSH_IlLl256EEEEENSE_INSF_IJSP_SS_SU_SX_SY_SU_SZ_S12_SU_NS10_INSF_IJSI_SK_EEEEENSV_INSF_IJSI_NSH_IiLi2EEESK_EEELb0EEEEEENSF_IJS14_S15_S16_S17_S18_S19_S1A_S1B_S1C_NS5_IJLi11ELi13EEEES1J_EEENSF_IJS1E_S1F_S19_S1G_S1H_S1C_S1I_S1J_S1K_NS5_IJLi14EEEENS5_IJLi15ELi16ELi17EEEEEEENS5_IJLi15ELi16ELi17ELi14EEEES1N_EENSE_INSF_IJS1R_NS10_ISW_EES22_EEENSF_IJS14_NS5_IJLi1ELi3EEEENS5_IJLi2EEEEEEENSF_IJS1U_S17_NS5_IJLi6ELi7ELi8EEEEEEENS5_IJLi6ELi7ELi8ELi5EEEES1W_EELi16ELi32ELi256ELi256ELi128ELi16ELi16ELi8ELi8ELi32ELb0EE3RunILb1ELNS_10TailNumberE0ENSE_INSF_IJNSG_INSF_IJiiEEENSF_IJiSN_EEELb0EEENSV_IS2N_Lb0EEENST_IiEEEEENSF_IJS14_S2E_NS5_IJLi1EEEEEEENSF_IJNS5_IJLi1ELi2EEEENS5_IJLi3ELi4EEEES17_EEENS5_IJLi3ELi5ELi4EEEElEES1O_NS_35ThreadGroupTensorSliceTransfer_v4r1INS_15ThisThreadBlockILi256EEENS_16tensor_operation12element_wise11PassThroughES35_LNS_25InMemoryDataOperationEnumE0ENS5_IJLi8ELi256ELi16EEEENS5_IJLi8ELi32ELi1EEEENS5_IJLi1ELi0ELi2EEEESC_SC_RKS2Z_KS1O_S39_NS5_IJLi0ELi1ELi2EEEELi2ELi2ELi16ELi16ELi1ELi1ELb0ELb1ELi2EiEENS_13DynamicBufferILNS_16AddressSpaceEnumE1EKSC_lLb1ELNS_22AmdBufferCoherenceEnumE0EiEENSF_IJNS3F_ILS3G_2ESC_S1N_Lb1ELS3I_0EiEES3K_EEENSF_IJiiiEEENSE_INSF_IJNSG_INSF_IJiiiiEEENSF_IJiiiSN_EEELb0EEEEEES1T_S1V_S1U_lEENS_32ThreadwiseTensorSliceTransfer_v2ISD_SD_RKS3R_KS1X_NS5_IJLi8ELi1ELi1ELi32EEEENS5_IJLi1ELi2ELi0ELi3EEEELi3ELi32ELi0ELb1ELb0ELb0EEENS3F_ILS3G_1EKSD_lLb1ELS3I_0EiEENSF_IJNS_12StaticBufferILS3G_4ESD_Li256ELb1EEES42_EEES3N_NS_25StaticBufferTupleOfVectorILS3G_4EfLi64ELi4ELb1ELb0EEEEEvRKT1_RKT2_RT3_RKT4_RT5_RKT6_RKT7_RT8_RKT9_RT10_RKT11_RT12_iENKUlT_T0_E_clISN_NSH_IiLi0EEEEEDaS51_S52_ENKUlS51_E_clINSH_IiLi5EEEEEDaS51_EUlS51_E_EEvS51_EUlS51_E_EEvS51_
; %bb.0:
	s_waitcnt vmcnt(0) expcnt(0) lgkmcnt(0)
	flat_load_dwordx4 v[20:23], v[0:1] offset:16
	flat_load_dwordx2 v[18:19], v[0:1] offset:32
	s_movk_i32 s4, 0x7f
                                        ; implicit-def: $sgpr10
	s_waitcnt vmcnt(0) lgkmcnt(0)
	flat_load_dwordx4 v[14:17], v[20:21] offset:32
	flat_load_dwordx4 v[6:9], v[20:21] offset:48
	;; [unrolled: 1-line block ×4, first 2 shown]
	s_waitcnt vmcnt(0) lgkmcnt(0)
	v_cmp_gt_i16_sdwa s[6:7], v14, s4 src0_sel:BYTE_0 src1_sel:DWORD
	s_mov_b64 s[4:5], 0
	s_and_saveexec_b64 s[8:9], s[6:7]
	s_xor_b64 s[6:7], exec, s[8:9]
	s_cbranch_execnz .LBB15_2049
; %bb.1:
	s_or_saveexec_b64 s[6:7], s[6:7]
	v_mov_b32_e32 v20, s10
	s_xor_b64 exec, exec, s[6:7]
	s_cbranch_execnz .LBB15_2052
.LBB15_2:
	s_or_b64 exec, exec, s[6:7]
	s_and_saveexec_b64 s[6:7], s[4:5]
	s_cbranch_execz .LBB15_4
.LBB15_3:
	v_and_b32_e32 v20, 7, v14
	v_ffbh_u32_e32 v22, v20
	v_min_u32_e32 v22, 32, v22
	v_lshrrev_b16_e32 v21, 3, v14
	v_subrev_u32_e32 v23, 28, v22
	v_and_b32_e32 v21, 15, v21
	v_lshlrev_b32_e32 v23, v23, v14
	v_sub_u32_e32 v22, 29, v22
	v_and_b32_e32 v23, 7, v23
	v_cmp_eq_u16_e32 vcc, 0, v21
	v_cndmask_b32_e32 v20, v20, v23, vcc
	v_cndmask_b32_e32 v21, v21, v22, vcc
	v_lshlrev_b32_e32 v22, 24, v14
	v_mov_b32_e32 v23, 0x3b800000
	v_lshlrev_b32_e32 v20, 20, v20
	v_and_b32_e32 v22, 0x80000000, v22
	v_lshl_add_u32 v21, v21, 23, v23
	v_or3_b32 v20, v22, v21, v20
.LBB15_4:
	s_or_b64 exec, exec, s[6:7]
	s_movk_i32 s4, 0x7f
	v_cmp_gt_i16_sdwa s[6:7], v10, s4 src0_sel:BYTE_0 src1_sel:DWORD
	s_mov_b64 s[4:5], 0
                                        ; implicit-def: $sgpr10
	s_and_saveexec_b64 s[8:9], s[6:7]
	s_xor_b64 s[6:7], exec, s[8:9]
	s_cbranch_execnz .LBB15_2053
; %bb.5:
	s_or_saveexec_b64 s[6:7], s[6:7]
	v_mov_b32_e32 v21, s10
	s_xor_b64 exec, exec, s[6:7]
	s_cbranch_execnz .LBB15_2056
.LBB15_6:
	s_or_b64 exec, exec, s[6:7]
	s_and_saveexec_b64 s[6:7], s[4:5]
	s_cbranch_execz .LBB15_8
.LBB15_7:
	v_and_b32_e32 v21, 7, v10
	v_ffbh_u32_e32 v23, v21
	v_min_u32_e32 v23, 32, v23
	v_lshrrev_b16_e32 v22, 3, v10
	v_subrev_u32_e32 v24, 28, v23
	v_and_b32_e32 v22, 15, v22
	v_lshlrev_b32_e32 v24, v24, v10
	v_sub_u32_e32 v23, 29, v23
	v_and_b32_e32 v24, 7, v24
	v_cmp_eq_u16_e32 vcc, 0, v22
	v_cndmask_b32_e32 v21, v21, v24, vcc
	v_cndmask_b32_e32 v22, v22, v23, vcc
	v_lshlrev_b32_e32 v23, 24, v10
	v_mov_b32_e32 v24, 0x3b800000
	v_lshlrev_b32_e32 v21, 20, v21
	v_and_b32_e32 v23, 0x80000000, v23
	v_lshl_add_u32 v22, v22, 23, v24
	v_or3_b32 v21, v23, v22, v21
.LBB15_8:
	s_or_b64 exec, exec, s[6:7]
	flat_load_dwordx4 a[0:3], v[18:19] offset:640
	s_movk_i32 s4, 0x7f
                                        ; implicit-def: $sgpr10
	s_waitcnt vmcnt(0) lgkmcnt(0)
	v_mfma_f32_16x16x4f32 a[0:3], v20, v21, a[0:3]
	v_lshrrev_b32_e32 v21, 8, v14
	v_cmp_gt_i16_sdwa s[6:7], v21, s4 src0_sel:BYTE_0 src1_sel:DWORD
	s_mov_b64 s[4:5], 0
	s_and_saveexec_b64 s[8:9], s[6:7]
	s_xor_b64 s[6:7], exec, s[8:9]
	s_cbranch_execnz .LBB15_2057
; %bb.9:
	s_or_saveexec_b64 s[6:7], s[6:7]
	v_mov_b32_e32 v20, s10
	s_xor_b64 exec, exec, s[6:7]
	s_cbranch_execnz .LBB15_2060
.LBB15_10:
	s_or_b64 exec, exec, s[6:7]
	s_and_saveexec_b64 s[6:7], s[4:5]
	s_cbranch_execz .LBB15_12
.LBB15_11:
	v_bfe_u32 v20, v14, 8, 3
	v_ffbh_u32_e32 v23, v20
	v_min_u32_e32 v23, 32, v23
	v_lshrrev_b16_e32 v22, 3, v21
	v_subrev_u32_e32 v24, 28, v23
	v_and_b32_e32 v22, 15, v22
	v_lshlrev_b32_e32 v21, v24, v21
	v_sub_u32_e32 v23, 29, v23
	v_and_b32_e32 v21, 7, v21
	v_cmp_eq_u16_e32 vcc, 0, v22
	v_cndmask_b32_e32 v20, v20, v21, vcc
	v_cndmask_b32_e32 v21, v22, v23, vcc
	v_lshlrev_b32_e32 v22, 16, v14
	v_mov_b32_e32 v23, 0x3b800000
	v_lshlrev_b32_e32 v20, 20, v20
	v_and_b32_e32 v22, 0x80000000, v22
	v_lshl_add_u32 v21, v21, 23, v23
	v_or3_b32 v20, v22, v21, v20
.LBB15_12:
	s_or_b64 exec, exec, s[6:7]
	v_lshrrev_b32_e32 v21, 8, v10
	s_movk_i32 s4, 0x7f
	v_cmp_gt_i16_sdwa s[6:7], v21, s4 src0_sel:BYTE_0 src1_sel:DWORD
	s_mov_b64 s[4:5], 0
                                        ; implicit-def: $sgpr10
	s_and_saveexec_b64 s[8:9], s[6:7]
	s_xor_b64 s[6:7], exec, s[8:9]
	s_cbranch_execnz .LBB15_2061
; %bb.13:
	s_or_saveexec_b64 s[6:7], s[6:7]
	v_mov_b32_e32 v22, s10
	s_xor_b64 exec, exec, s[6:7]
	s_cbranch_execnz .LBB15_2064
.LBB15_14:
	s_or_b64 exec, exec, s[6:7]
	s_and_saveexec_b64 s[6:7], s[4:5]
	s_cbranch_execz .LBB15_16
.LBB15_15:
	v_bfe_u32 v22, v10, 8, 3
	v_ffbh_u32_e32 v24, v22
	v_min_u32_e32 v24, 32, v24
	v_lshrrev_b16_e32 v23, 3, v21
	v_subrev_u32_e32 v25, 28, v24
	v_and_b32_e32 v23, 15, v23
	v_lshlrev_b32_e32 v21, v25, v21
	v_sub_u32_e32 v24, 29, v24
	v_and_b32_e32 v21, 7, v21
	v_cmp_eq_u16_e32 vcc, 0, v23
	v_cndmask_b32_e32 v21, v22, v21, vcc
	v_cndmask_b32_e32 v22, v23, v24, vcc
	v_lshlrev_b32_e32 v23, 16, v10
	v_mov_b32_e32 v24, 0x3b800000
	v_lshlrev_b32_e32 v21, 20, v21
	v_and_b32_e32 v23, 0x80000000, v23
	v_lshl_add_u32 v22, v22, 23, v24
	v_or3_b32 v22, v23, v22, v21
.LBB15_16:
	s_or_b64 exec, exec, s[6:7]
	s_nop 0
	v_mfma_f32_16x16x4f32 a[0:3], v20, v22, a[0:3]
	s_movk_i32 s4, 0xff
	v_and_b32_sdwa v21, v14, s4 dst_sel:DWORD dst_unused:UNUSED_PAD src0_sel:WORD_1 src1_sel:DWORD
	s_movk_i32 s4, 0x7f
	v_cmp_lt_i16_e32 vcc, s4, v21
	s_mov_b64 s[4:5], 0
                                        ; implicit-def: $sgpr10
	s_and_saveexec_b64 s[6:7], vcc
	s_xor_b64 s[6:7], exec, s[6:7]
	s_cbranch_execnz .LBB15_2065
; %bb.17:
	s_or_saveexec_b64 s[6:7], s[6:7]
	v_mov_b32_e32 v20, s10
	s_xor_b64 exec, exec, s[6:7]
	s_cbranch_execnz .LBB15_2068
.LBB15_18:
	s_or_b64 exec, exec, s[6:7]
	s_and_saveexec_b64 s[6:7], s[4:5]
	s_cbranch_execz .LBB15_20
.LBB15_19:
	v_bfe_u32 v20, v14, 16, 3
	v_ffbh_u32_e32 v23, v20
	v_min_u32_e32 v23, 32, v23
	v_lshrrev_b32_e32 v21, 19, v14
	v_subrev_u32_e32 v24, 28, v23
	v_and_b32_e32 v21, 15, v21
	v_lshlrev_b32_sdwa v24, v24, v14 dst_sel:DWORD dst_unused:UNUSED_PAD src0_sel:DWORD src1_sel:WORD_1
	v_bfe_u32 v22, v14, 19, 4
	v_sub_u32_e32 v23, 29, v23
	v_and_b32_e32 v24, 7, v24
	v_cmp_eq_u16_e32 vcc, 0, v21
	v_cndmask_b32_e32 v20, v20, v24, vcc
	v_cndmask_b32_e32 v21, v22, v23, vcc
	v_lshlrev_b32_e32 v22, 8, v14
	v_mov_b32_e32 v23, 0x3b800000
	v_lshlrev_b32_e32 v20, 20, v20
	v_and_b32_e32 v22, 0x80000000, v22
	v_lshl_add_u32 v21, v21, 23, v23
	v_or3_b32 v20, v22, v21, v20
.LBB15_20:
	s_or_b64 exec, exec, s[6:7]
	s_movk_i32 s4, 0xff
	v_and_b32_sdwa v21, v10, s4 dst_sel:DWORD dst_unused:UNUSED_PAD src0_sel:WORD_1 src1_sel:DWORD
	s_movk_i32 s4, 0x7f
	v_cmp_lt_i16_e32 vcc, s4, v21
	s_mov_b64 s[4:5], 0
                                        ; implicit-def: $sgpr10
	s_and_saveexec_b64 s[6:7], vcc
	s_xor_b64 s[6:7], exec, s[6:7]
	s_cbranch_execnz .LBB15_2069
; %bb.21:
	s_or_saveexec_b64 s[6:7], s[6:7]
	v_mov_b32_e32 v22, s10
	s_xor_b64 exec, exec, s[6:7]
	s_cbranch_execnz .LBB15_2072
.LBB15_22:
	s_or_b64 exec, exec, s[6:7]
	s_and_saveexec_b64 s[6:7], s[4:5]
	s_cbranch_execz .LBB15_24
.LBB15_23:
	v_bfe_u32 v21, v10, 16, 3
	v_ffbh_u32_e32 v24, v21
	v_min_u32_e32 v24, 32, v24
	v_lshrrev_b32_e32 v22, 19, v10
	v_subrev_u32_e32 v25, 28, v24
	v_and_b32_e32 v22, 15, v22
	v_lshlrev_b32_sdwa v25, v25, v10 dst_sel:DWORD dst_unused:UNUSED_PAD src0_sel:DWORD src1_sel:WORD_1
	v_bfe_u32 v23, v10, 19, 4
	v_sub_u32_e32 v24, 29, v24
	v_and_b32_e32 v25, 7, v25
	v_cmp_eq_u16_e32 vcc, 0, v22
	v_cndmask_b32_e32 v21, v21, v25, vcc
	v_cndmask_b32_e32 v22, v23, v24, vcc
	v_lshlrev_b32_e32 v23, 8, v10
	v_mov_b32_e32 v24, 0x3b800000
	v_lshlrev_b32_e32 v21, 20, v21
	v_and_b32_e32 v23, 0x80000000, v23
	v_lshl_add_u32 v22, v22, 23, v24
	v_or3_b32 v22, v23, v22, v21
.LBB15_24:
	s_or_b64 exec, exec, s[6:7]
	s_nop 0
	v_mfma_f32_16x16x4f32 a[0:3], v20, v22, a[0:3]
	s_movk_i32 s4, 0x7f
	v_cmp_gt_i16_sdwa s[6:7], v14, s4 src0_sel:BYTE_3 src1_sel:DWORD
	s_mov_b64 s[4:5], 0
                                        ; implicit-def: $sgpr10
	s_and_saveexec_b64 s[8:9], s[6:7]
	s_xor_b64 s[6:7], exec, s[8:9]
	s_cbranch_execnz .LBB15_2073
; %bb.25:
	s_or_saveexec_b64 s[6:7], s[6:7]
	v_mov_b32_e32 v20, s10
	s_xor_b64 exec, exec, s[6:7]
	s_cbranch_execnz .LBB15_2076
.LBB15_26:
	s_or_b64 exec, exec, s[6:7]
	s_and_saveexec_b64 s[6:7], s[4:5]
	s_cbranch_execz .LBB15_28
.LBB15_27:
	v_bfe_u32 v20, v14, 24, 3
	v_ffbh_u32_e32 v24, v20
	v_min_u32_e32 v24, 32, v24
	v_lshrrev_b32_e32 v22, 27, v14
	v_subrev_u32_e32 v25, 28, v24
	v_and_b32_e32 v21, 0x80000000, v14
	v_and_b32_e32 v22, 15, v22
	v_bfe_u32 v23, v14, 27, 4
	v_lshlrev_b32_sdwa v14, v25, v14 dst_sel:DWORD dst_unused:UNUSED_PAD src0_sel:DWORD src1_sel:BYTE_3
	v_sub_u32_e32 v24, 29, v24
	v_and_b32_e32 v14, 7, v14
	v_cmp_eq_u16_e32 vcc, 0, v22
	v_cndmask_b32_e32 v14, v20, v14, vcc
	v_cndmask_b32_e32 v20, v23, v24, vcc
	v_mov_b32_e32 v22, 0x3b800000
	v_lshlrev_b32_e32 v14, 20, v14
	v_lshl_add_u32 v20, v20, 23, v22
	v_or3_b32 v20, v21, v20, v14
.LBB15_28:
	s_or_b64 exec, exec, s[6:7]
	s_movk_i32 s4, 0x7f
	v_cmp_gt_i16_sdwa s[6:7], v10, s4 src0_sel:BYTE_3 src1_sel:DWORD
	s_mov_b64 s[4:5], 0
                                        ; implicit-def: $sgpr10
	s_and_saveexec_b64 s[8:9], s[6:7]
	s_xor_b64 s[6:7], exec, s[8:9]
	s_cbranch_execnz .LBB15_2077
; %bb.29:
	s_or_saveexec_b64 s[6:7], s[6:7]
	v_mov_b32_e32 v14, s10
	s_xor_b64 exec, exec, s[6:7]
	s_cbranch_execnz .LBB15_2080
.LBB15_30:
	s_or_b64 exec, exec, s[6:7]
	s_and_saveexec_b64 s[6:7], s[4:5]
	s_cbranch_execz .LBB15_32
.LBB15_31:
	v_bfe_u32 v14, v10, 24, 3
	v_ffbh_u32_e32 v24, v14
	v_min_u32_e32 v24, 32, v24
	v_lshrrev_b32_e32 v22, 27, v10
	v_subrev_u32_e32 v25, 28, v24
	v_and_b32_e32 v21, 0x80000000, v10
	v_and_b32_e32 v22, 15, v22
	v_bfe_u32 v23, v10, 27, 4
	v_lshlrev_b32_sdwa v10, v25, v10 dst_sel:DWORD dst_unused:UNUSED_PAD src0_sel:DWORD src1_sel:BYTE_3
	v_sub_u32_e32 v24, 29, v24
	v_and_b32_e32 v10, 7, v10
	v_cmp_eq_u16_e32 vcc, 0, v22
	v_cndmask_b32_e32 v10, v14, v10, vcc
	v_cndmask_b32_e32 v14, v23, v24, vcc
	v_mov_b32_e32 v22, 0x3b800000
	v_lshlrev_b32_e32 v10, 20, v10
	v_lshl_add_u32 v14, v14, 23, v22
	v_or3_b32 v14, v21, v14, v10
.LBB15_32:
	s_or_b64 exec, exec, s[6:7]
	s_nop 0
	v_mfma_f32_16x16x4f32 a[0:3], v20, v14, a[0:3]
	s_movk_i32 s4, 0x7f
	v_cmp_gt_i16_sdwa s[6:7], v15, s4 src0_sel:BYTE_0 src1_sel:DWORD
	s_mov_b64 s[4:5], 0
                                        ; implicit-def: $sgpr10
	s_and_saveexec_b64 s[8:9], s[6:7]
	s_xor_b64 s[6:7], exec, s[8:9]
	s_cbranch_execnz .LBB15_2081
; %bb.33:
	s_or_saveexec_b64 s[6:7], s[6:7]
	v_mov_b32_e32 v10, s10
	s_xor_b64 exec, exec, s[6:7]
	s_cbranch_execnz .LBB15_2084
.LBB15_34:
	s_or_b64 exec, exec, s[6:7]
	s_and_saveexec_b64 s[6:7], s[4:5]
	s_cbranch_execz .LBB15_36
.LBB15_35:
	v_and_b32_e32 v10, 7, v15
	v_ffbh_u32_e32 v20, v10
	v_min_u32_e32 v20, 32, v20
	v_lshrrev_b16_e32 v14, 3, v15
	v_subrev_u32_e32 v21, 28, v20
	v_and_b32_e32 v14, 15, v14
	v_lshlrev_b32_e32 v21, v21, v15
	v_sub_u32_e32 v20, 29, v20
	v_and_b32_e32 v21, 7, v21
	v_cmp_eq_u16_e32 vcc, 0, v14
	v_cndmask_b32_e32 v10, v10, v21, vcc
	v_cndmask_b32_e32 v14, v14, v20, vcc
	v_lshlrev_b32_e32 v20, 24, v15
	v_mov_b32_e32 v21, 0x3b800000
	v_lshlrev_b32_e32 v10, 20, v10
	v_and_b32_e32 v20, 0x80000000, v20
	v_lshl_add_u32 v14, v14, 23, v21
	v_or3_b32 v10, v20, v14, v10
.LBB15_36:
	s_or_b64 exec, exec, s[6:7]
	s_movk_i32 s4, 0x7f
	v_cmp_gt_i16_sdwa s[6:7], v11, s4 src0_sel:BYTE_0 src1_sel:DWORD
	s_mov_b64 s[4:5], 0
                                        ; implicit-def: $sgpr10
	s_and_saveexec_b64 s[8:9], s[6:7]
	s_xor_b64 s[6:7], exec, s[8:9]
	s_cbranch_execnz .LBB15_2085
; %bb.37:
	s_or_saveexec_b64 s[6:7], s[6:7]
	v_mov_b32_e32 v14, s10
	s_xor_b64 exec, exec, s[6:7]
	s_cbranch_execnz .LBB15_2088
.LBB15_38:
	s_or_b64 exec, exec, s[6:7]
	s_and_saveexec_b64 s[6:7], s[4:5]
	s_cbranch_execz .LBB15_40
.LBB15_39:
	v_and_b32_e32 v14, 7, v11
	v_ffbh_u32_e32 v21, v14
	v_min_u32_e32 v21, 32, v21
	v_lshrrev_b16_e32 v20, 3, v11
	v_subrev_u32_e32 v22, 28, v21
	v_and_b32_e32 v20, 15, v20
	v_lshlrev_b32_e32 v22, v22, v11
	v_sub_u32_e32 v21, 29, v21
	v_and_b32_e32 v22, 7, v22
	v_cmp_eq_u16_e32 vcc, 0, v20
	v_cndmask_b32_e32 v14, v14, v22, vcc
	v_cndmask_b32_e32 v20, v20, v21, vcc
	v_lshlrev_b32_e32 v21, 24, v11
	v_mov_b32_e32 v22, 0x3b800000
	v_lshlrev_b32_e32 v14, 20, v14
	v_and_b32_e32 v21, 0x80000000, v21
	v_lshl_add_u32 v20, v20, 23, v22
	v_or3_b32 v14, v21, v20, v14
.LBB15_40:
	s_or_b64 exec, exec, s[6:7]
	s_nop 0
	v_mfma_f32_16x16x4f32 a[0:3], v10, v14, a[0:3]
	v_lshrrev_b32_e32 v14, 8, v15
	s_movk_i32 s4, 0x7f
	v_cmp_gt_i16_sdwa s[6:7], v14, s4 src0_sel:BYTE_0 src1_sel:DWORD
	s_mov_b64 s[4:5], 0
                                        ; implicit-def: $sgpr10
	s_and_saveexec_b64 s[8:9], s[6:7]
	s_xor_b64 s[6:7], exec, s[8:9]
	s_cbranch_execnz .LBB15_2089
; %bb.41:
	s_or_saveexec_b64 s[6:7], s[6:7]
	v_mov_b32_e32 v10, s10
	s_xor_b64 exec, exec, s[6:7]
	s_cbranch_execnz .LBB15_2092
.LBB15_42:
	s_or_b64 exec, exec, s[6:7]
	s_and_saveexec_b64 s[6:7], s[4:5]
	s_cbranch_execz .LBB15_44
.LBB15_43:
	v_bfe_u32 v10, v15, 8, 3
	v_ffbh_u32_e32 v21, v10
	v_min_u32_e32 v21, 32, v21
	v_lshrrev_b16_e32 v20, 3, v14
	v_subrev_u32_e32 v22, 28, v21
	v_and_b32_e32 v20, 15, v20
	v_lshlrev_b32_e32 v14, v22, v14
	v_sub_u32_e32 v21, 29, v21
	v_and_b32_e32 v14, 7, v14
	v_cmp_eq_u16_e32 vcc, 0, v20
	v_cndmask_b32_e32 v10, v10, v14, vcc
	v_cndmask_b32_e32 v14, v20, v21, vcc
	v_lshlrev_b32_e32 v20, 16, v15
	v_mov_b32_e32 v21, 0x3b800000
	v_lshlrev_b32_e32 v10, 20, v10
	v_and_b32_e32 v20, 0x80000000, v20
	v_lshl_add_u32 v14, v14, 23, v21
	v_or3_b32 v10, v20, v14, v10
.LBB15_44:
	s_or_b64 exec, exec, s[6:7]
	v_lshrrev_b32_e32 v14, 8, v11
	s_movk_i32 s4, 0x7f
	v_cmp_gt_i16_sdwa s[6:7], v14, s4 src0_sel:BYTE_0 src1_sel:DWORD
	s_mov_b64 s[4:5], 0
                                        ; implicit-def: $sgpr10
	s_and_saveexec_b64 s[8:9], s[6:7]
	s_xor_b64 s[6:7], exec, s[8:9]
	s_cbranch_execnz .LBB15_2093
; %bb.45:
	s_or_saveexec_b64 s[6:7], s[6:7]
	v_mov_b32_e32 v20, s10
	s_xor_b64 exec, exec, s[6:7]
	s_cbranch_execnz .LBB15_2096
.LBB15_46:
	s_or_b64 exec, exec, s[6:7]
	s_and_saveexec_b64 s[6:7], s[4:5]
	s_cbranch_execz .LBB15_48
.LBB15_47:
	v_bfe_u32 v20, v11, 8, 3
	v_ffbh_u32_e32 v22, v20
	v_min_u32_e32 v22, 32, v22
	v_lshrrev_b16_e32 v21, 3, v14
	v_subrev_u32_e32 v23, 28, v22
	v_and_b32_e32 v21, 15, v21
	v_lshlrev_b32_e32 v14, v23, v14
	v_sub_u32_e32 v22, 29, v22
	v_and_b32_e32 v14, 7, v14
	v_cmp_eq_u16_e32 vcc, 0, v21
	v_cndmask_b32_e32 v14, v20, v14, vcc
	v_cndmask_b32_e32 v20, v21, v22, vcc
	v_lshlrev_b32_e32 v21, 16, v11
	v_mov_b32_e32 v22, 0x3b800000
	v_lshlrev_b32_e32 v14, 20, v14
	v_and_b32_e32 v21, 0x80000000, v21
	v_lshl_add_u32 v20, v20, 23, v22
	v_or3_b32 v20, v21, v20, v14
.LBB15_48:
	s_or_b64 exec, exec, s[6:7]
	s_nop 0
	v_mfma_f32_16x16x4f32 a[0:3], v10, v20, a[0:3]
	s_movk_i32 s4, 0xff
	v_and_b32_sdwa v14, v15, s4 dst_sel:DWORD dst_unused:UNUSED_PAD src0_sel:WORD_1 src1_sel:DWORD
	s_movk_i32 s4, 0x7f
	v_cmp_lt_i16_e32 vcc, s4, v14
	s_mov_b64 s[4:5], 0
                                        ; implicit-def: $sgpr10
	s_and_saveexec_b64 s[6:7], vcc
	s_xor_b64 s[6:7], exec, s[6:7]
	s_cbranch_execnz .LBB15_2097
; %bb.49:
	s_or_saveexec_b64 s[6:7], s[6:7]
	v_mov_b32_e32 v10, s10
	s_xor_b64 exec, exec, s[6:7]
	s_cbranch_execnz .LBB15_2100
.LBB15_50:
	s_or_b64 exec, exec, s[6:7]
	s_and_saveexec_b64 s[6:7], s[4:5]
	s_cbranch_execz .LBB15_52
.LBB15_51:
	v_bfe_u32 v10, v15, 16, 3
	v_ffbh_u32_e32 v21, v10
	v_min_u32_e32 v21, 32, v21
	v_lshrrev_b32_e32 v14, 19, v15
	v_subrev_u32_e32 v22, 28, v21
	v_and_b32_e32 v14, 15, v14
	v_lshlrev_b32_sdwa v22, v22, v15 dst_sel:DWORD dst_unused:UNUSED_PAD src0_sel:DWORD src1_sel:WORD_1
	v_bfe_u32 v20, v15, 19, 4
	v_sub_u32_e32 v21, 29, v21
	v_and_b32_e32 v22, 7, v22
	v_cmp_eq_u16_e32 vcc, 0, v14
	v_cndmask_b32_e32 v10, v10, v22, vcc
	v_cndmask_b32_e32 v14, v20, v21, vcc
	v_lshlrev_b32_e32 v20, 8, v15
	v_mov_b32_e32 v21, 0x3b800000
	v_lshlrev_b32_e32 v10, 20, v10
	v_and_b32_e32 v20, 0x80000000, v20
	v_lshl_add_u32 v14, v14, 23, v21
	v_or3_b32 v10, v20, v14, v10
.LBB15_52:
	s_or_b64 exec, exec, s[6:7]
	s_movk_i32 s4, 0xff
	v_and_b32_sdwa v14, v11, s4 dst_sel:DWORD dst_unused:UNUSED_PAD src0_sel:WORD_1 src1_sel:DWORD
	s_movk_i32 s4, 0x7f
	v_cmp_lt_i16_e32 vcc, s4, v14
	s_mov_b64 s[4:5], 0
                                        ; implicit-def: $sgpr10
	s_and_saveexec_b64 s[6:7], vcc
	s_xor_b64 s[6:7], exec, s[6:7]
	s_cbranch_execnz .LBB15_2101
; %bb.53:
	s_or_saveexec_b64 s[6:7], s[6:7]
	v_mov_b32_e32 v20, s10
	s_xor_b64 exec, exec, s[6:7]
	s_cbranch_execnz .LBB15_2104
.LBB15_54:
	s_or_b64 exec, exec, s[6:7]
	s_and_saveexec_b64 s[6:7], s[4:5]
	s_cbranch_execz .LBB15_56
.LBB15_55:
	v_bfe_u32 v14, v11, 16, 3
	v_ffbh_u32_e32 v22, v14
	v_min_u32_e32 v22, 32, v22
	v_lshrrev_b32_e32 v20, 19, v11
	v_subrev_u32_e32 v23, 28, v22
	v_and_b32_e32 v20, 15, v20
	v_lshlrev_b32_sdwa v23, v23, v11 dst_sel:DWORD dst_unused:UNUSED_PAD src0_sel:DWORD src1_sel:WORD_1
	v_bfe_u32 v21, v11, 19, 4
	v_sub_u32_e32 v22, 29, v22
	v_and_b32_e32 v23, 7, v23
	v_cmp_eq_u16_e32 vcc, 0, v20
	v_cndmask_b32_e32 v14, v14, v23, vcc
	v_cndmask_b32_e32 v20, v21, v22, vcc
	v_lshlrev_b32_e32 v21, 8, v11
	v_mov_b32_e32 v22, 0x3b800000
	v_lshlrev_b32_e32 v14, 20, v14
	v_and_b32_e32 v21, 0x80000000, v21
	v_lshl_add_u32 v20, v20, 23, v22
	v_or3_b32 v20, v21, v20, v14
.LBB15_56:
	s_or_b64 exec, exec, s[6:7]
	s_nop 0
	v_mfma_f32_16x16x4f32 a[0:3], v10, v20, a[0:3]
	s_movk_i32 s4, 0x7f
	v_cmp_gt_i16_sdwa s[6:7], v15, s4 src0_sel:BYTE_3 src1_sel:DWORD
	s_mov_b64 s[4:5], 0
                                        ; implicit-def: $sgpr10
	s_and_saveexec_b64 s[8:9], s[6:7]
	s_xor_b64 s[6:7], exec, s[8:9]
	s_cbranch_execnz .LBB15_2105
; %bb.57:
	s_or_saveexec_b64 s[6:7], s[6:7]
	v_mov_b32_e32 v10, s10
	s_xor_b64 exec, exec, s[6:7]
	s_cbranch_execnz .LBB15_2108
.LBB15_58:
	s_or_b64 exec, exec, s[6:7]
	s_and_saveexec_b64 s[6:7], s[4:5]
	s_cbranch_execz .LBB15_60
.LBB15_59:
	v_bfe_u32 v10, v15, 24, 3
	v_ffbh_u32_e32 v22, v10
	v_min_u32_e32 v22, 32, v22
	v_lshrrev_b32_e32 v20, 27, v15
	v_subrev_u32_e32 v23, 28, v22
	v_and_b32_e32 v14, 0x80000000, v15
	v_and_b32_e32 v20, 15, v20
	v_bfe_u32 v21, v15, 27, 4
	v_lshlrev_b32_sdwa v15, v23, v15 dst_sel:DWORD dst_unused:UNUSED_PAD src0_sel:DWORD src1_sel:BYTE_3
	v_sub_u32_e32 v22, 29, v22
	v_and_b32_e32 v15, 7, v15
	v_cmp_eq_u16_e32 vcc, 0, v20
	v_cndmask_b32_e32 v10, v10, v15, vcc
	v_cndmask_b32_e32 v15, v21, v22, vcc
	v_mov_b32_e32 v20, 0x3b800000
	v_lshlrev_b32_e32 v10, 20, v10
	v_lshl_add_u32 v15, v15, 23, v20
	v_or3_b32 v10, v14, v15, v10
.LBB15_60:
	s_or_b64 exec, exec, s[6:7]
	s_movk_i32 s4, 0x7f
	v_cmp_gt_i16_sdwa s[6:7], v11, s4 src0_sel:BYTE_3 src1_sel:DWORD
	s_mov_b64 s[4:5], 0
                                        ; implicit-def: $sgpr10
	s_and_saveexec_b64 s[8:9], s[6:7]
	s_xor_b64 s[6:7], exec, s[8:9]
	s_cbranch_execnz .LBB15_2109
; %bb.61:
	s_or_saveexec_b64 s[6:7], s[6:7]
	v_mov_b32_e32 v14, s10
	s_xor_b64 exec, exec, s[6:7]
	s_cbranch_execnz .LBB15_2112
.LBB15_62:
	s_or_b64 exec, exec, s[6:7]
	s_and_saveexec_b64 s[6:7], s[4:5]
	s_cbranch_execz .LBB15_64
.LBB15_63:
	v_bfe_u32 v14, v11, 24, 3
	v_ffbh_u32_e32 v22, v14
	v_min_u32_e32 v22, 32, v22
	v_lshrrev_b32_e32 v20, 27, v11
	v_subrev_u32_e32 v23, 28, v22
	v_and_b32_e32 v15, 0x80000000, v11
	v_and_b32_e32 v20, 15, v20
	v_bfe_u32 v21, v11, 27, 4
	v_lshlrev_b32_sdwa v11, v23, v11 dst_sel:DWORD dst_unused:UNUSED_PAD src0_sel:DWORD src1_sel:BYTE_3
	v_sub_u32_e32 v22, 29, v22
	v_and_b32_e32 v11, 7, v11
	v_cmp_eq_u16_e32 vcc, 0, v20
	v_cndmask_b32_e32 v11, v14, v11, vcc
	v_cndmask_b32_e32 v14, v21, v22, vcc
	v_mov_b32_e32 v20, 0x3b800000
	v_lshlrev_b32_e32 v11, 20, v11
	v_lshl_add_u32 v14, v14, 23, v20
	v_or3_b32 v14, v15, v14, v11
.LBB15_64:
	s_or_b64 exec, exec, s[6:7]
	s_nop 0
	v_mfma_f32_16x16x4f32 a[0:3], v10, v14, a[0:3]
	s_movk_i32 s4, 0x7f
	v_cmp_gt_i16_sdwa s[6:7], v16, s4 src0_sel:BYTE_0 src1_sel:DWORD
	s_mov_b64 s[4:5], 0
                                        ; implicit-def: $sgpr10
	s_and_saveexec_b64 s[8:9], s[6:7]
	s_xor_b64 s[6:7], exec, s[8:9]
	s_cbranch_execnz .LBB15_2113
; %bb.65:
	s_or_saveexec_b64 s[6:7], s[6:7]
	v_mov_b32_e32 v10, s10
	s_xor_b64 exec, exec, s[6:7]
	s_cbranch_execnz .LBB15_2116
.LBB15_66:
	s_or_b64 exec, exec, s[6:7]
	s_and_saveexec_b64 s[6:7], s[4:5]
	s_cbranch_execz .LBB15_68
.LBB15_67:
	v_and_b32_e32 v10, 7, v16
	v_ffbh_u32_e32 v14, v10
	v_min_u32_e32 v14, 32, v14
	v_lshrrev_b16_e32 v11, 3, v16
	v_subrev_u32_e32 v15, 28, v14
	v_and_b32_e32 v11, 15, v11
	v_lshlrev_b32_e32 v15, v15, v16
	v_sub_u32_e32 v14, 29, v14
	v_and_b32_e32 v15, 7, v15
	v_cmp_eq_u16_e32 vcc, 0, v11
	v_cndmask_b32_e32 v10, v10, v15, vcc
	v_cndmask_b32_e32 v11, v11, v14, vcc
	v_lshlrev_b32_e32 v14, 24, v16
	v_mov_b32_e32 v15, 0x3b800000
	v_lshlrev_b32_e32 v10, 20, v10
	v_and_b32_e32 v14, 0x80000000, v14
	v_lshl_add_u32 v11, v11, 23, v15
	v_or3_b32 v10, v14, v11, v10
.LBB15_68:
	s_or_b64 exec, exec, s[6:7]
	s_movk_i32 s4, 0x7f
	v_cmp_gt_i16_sdwa s[6:7], v12, s4 src0_sel:BYTE_0 src1_sel:DWORD
	s_mov_b64 s[4:5], 0
                                        ; implicit-def: $sgpr10
	s_and_saveexec_b64 s[8:9], s[6:7]
	s_xor_b64 s[6:7], exec, s[8:9]
	s_cbranch_execnz .LBB15_2117
; %bb.69:
	s_or_saveexec_b64 s[6:7], s[6:7]
	v_mov_b32_e32 v11, s10
	s_xor_b64 exec, exec, s[6:7]
	s_cbranch_execnz .LBB15_2120
.LBB15_70:
	s_or_b64 exec, exec, s[6:7]
	s_and_saveexec_b64 s[6:7], s[4:5]
	s_cbranch_execz .LBB15_72
.LBB15_71:
	v_and_b32_e32 v11, 7, v12
	v_ffbh_u32_e32 v15, v11
	v_min_u32_e32 v15, 32, v15
	v_lshrrev_b16_e32 v14, 3, v12
	v_subrev_u32_e32 v20, 28, v15
	v_and_b32_e32 v14, 15, v14
	v_lshlrev_b32_e32 v20, v20, v12
	v_sub_u32_e32 v15, 29, v15
	v_and_b32_e32 v20, 7, v20
	v_cmp_eq_u16_e32 vcc, 0, v14
	v_cndmask_b32_e32 v11, v11, v20, vcc
	v_cndmask_b32_e32 v14, v14, v15, vcc
	v_lshlrev_b32_e32 v15, 24, v12
	v_mov_b32_e32 v20, 0x3b800000
	v_lshlrev_b32_e32 v11, 20, v11
	v_and_b32_e32 v15, 0x80000000, v15
	v_lshl_add_u32 v14, v14, 23, v20
	v_or3_b32 v11, v15, v14, v11
.LBB15_72:
	s_or_b64 exec, exec, s[6:7]
	s_nop 0
	v_mfma_f32_16x16x4f32 a[0:3], v10, v11, a[0:3]
	v_lshrrev_b32_e32 v11, 8, v16
	s_movk_i32 s4, 0x7f
	v_cmp_gt_i16_sdwa s[6:7], v11, s4 src0_sel:BYTE_0 src1_sel:DWORD
	s_mov_b64 s[4:5], 0
                                        ; implicit-def: $sgpr10
	s_and_saveexec_b64 s[8:9], s[6:7]
	s_xor_b64 s[6:7], exec, s[8:9]
	s_cbranch_execnz .LBB15_2121
; %bb.73:
	s_or_saveexec_b64 s[6:7], s[6:7]
	v_mov_b32_e32 v10, s10
	s_xor_b64 exec, exec, s[6:7]
	s_cbranch_execnz .LBB15_2124
.LBB15_74:
	s_or_b64 exec, exec, s[6:7]
	s_and_saveexec_b64 s[6:7], s[4:5]
	s_cbranch_execz .LBB15_76
.LBB15_75:
	v_bfe_u32 v10, v16, 8, 3
	v_ffbh_u32_e32 v15, v10
	v_min_u32_e32 v15, 32, v15
	v_lshrrev_b16_e32 v14, 3, v11
	v_subrev_u32_e32 v20, 28, v15
	v_and_b32_e32 v14, 15, v14
	v_lshlrev_b32_e32 v11, v20, v11
	v_sub_u32_e32 v15, 29, v15
	v_and_b32_e32 v11, 7, v11
	v_cmp_eq_u16_e32 vcc, 0, v14
	v_cndmask_b32_e32 v10, v10, v11, vcc
	v_cndmask_b32_e32 v11, v14, v15, vcc
	v_lshlrev_b32_e32 v14, 16, v16
	v_mov_b32_e32 v15, 0x3b800000
	v_lshlrev_b32_e32 v10, 20, v10
	v_and_b32_e32 v14, 0x80000000, v14
	v_lshl_add_u32 v11, v11, 23, v15
	v_or3_b32 v10, v14, v11, v10
.LBB15_76:
	s_or_b64 exec, exec, s[6:7]
	v_lshrrev_b32_e32 v11, 8, v12
	s_movk_i32 s4, 0x7f
	v_cmp_gt_i16_sdwa s[6:7], v11, s4 src0_sel:BYTE_0 src1_sel:DWORD
	s_mov_b64 s[4:5], 0
                                        ; implicit-def: $sgpr10
	s_and_saveexec_b64 s[8:9], s[6:7]
	s_xor_b64 s[6:7], exec, s[8:9]
	s_cbranch_execnz .LBB15_2125
; %bb.77:
	s_or_saveexec_b64 s[6:7], s[6:7]
	v_mov_b32_e32 v14, s10
	s_xor_b64 exec, exec, s[6:7]
	s_cbranch_execnz .LBB15_2128
.LBB15_78:
	s_or_b64 exec, exec, s[6:7]
	s_and_saveexec_b64 s[6:7], s[4:5]
	s_cbranch_execz .LBB15_80
.LBB15_79:
	v_bfe_u32 v14, v12, 8, 3
	v_ffbh_u32_e32 v20, v14
	v_min_u32_e32 v20, 32, v20
	v_lshrrev_b16_e32 v15, 3, v11
	v_subrev_u32_e32 v21, 28, v20
	v_and_b32_e32 v15, 15, v15
	v_lshlrev_b32_e32 v11, v21, v11
	v_sub_u32_e32 v20, 29, v20
	v_and_b32_e32 v11, 7, v11
	v_cmp_eq_u16_e32 vcc, 0, v15
	v_cndmask_b32_e32 v11, v14, v11, vcc
	v_cndmask_b32_e32 v14, v15, v20, vcc
	v_lshlrev_b32_e32 v15, 16, v12
	v_mov_b32_e32 v20, 0x3b800000
	v_lshlrev_b32_e32 v11, 20, v11
	v_and_b32_e32 v15, 0x80000000, v15
	v_lshl_add_u32 v14, v14, 23, v20
	v_or3_b32 v14, v15, v14, v11
.LBB15_80:
	s_or_b64 exec, exec, s[6:7]
	s_nop 0
	v_mfma_f32_16x16x4f32 a[0:3], v10, v14, a[0:3]
	s_movk_i32 s4, 0xff
	v_and_b32_sdwa v11, v16, s4 dst_sel:DWORD dst_unused:UNUSED_PAD src0_sel:WORD_1 src1_sel:DWORD
	s_movk_i32 s4, 0x7f
	v_cmp_lt_i16_e32 vcc, s4, v11
	s_mov_b64 s[4:5], 0
                                        ; implicit-def: $sgpr10
	s_and_saveexec_b64 s[6:7], vcc
	s_xor_b64 s[6:7], exec, s[6:7]
	s_cbranch_execnz .LBB15_2129
; %bb.81:
	s_or_saveexec_b64 s[6:7], s[6:7]
	v_mov_b32_e32 v10, s10
	s_xor_b64 exec, exec, s[6:7]
	s_cbranch_execnz .LBB15_2132
.LBB15_82:
	s_or_b64 exec, exec, s[6:7]
	s_and_saveexec_b64 s[6:7], s[4:5]
	s_cbranch_execz .LBB15_84
.LBB15_83:
	v_bfe_u32 v10, v16, 16, 3
	v_ffbh_u32_e32 v15, v10
	v_min_u32_e32 v15, 32, v15
	v_lshrrev_b32_e32 v11, 19, v16
	v_subrev_u32_e32 v20, 28, v15
	v_and_b32_e32 v11, 15, v11
	v_lshlrev_b32_sdwa v20, v20, v16 dst_sel:DWORD dst_unused:UNUSED_PAD src0_sel:DWORD src1_sel:WORD_1
	v_bfe_u32 v14, v16, 19, 4
	v_sub_u32_e32 v15, 29, v15
	v_and_b32_e32 v20, 7, v20
	v_cmp_eq_u16_e32 vcc, 0, v11
	v_cndmask_b32_e32 v10, v10, v20, vcc
	v_cndmask_b32_e32 v11, v14, v15, vcc
	v_lshlrev_b32_e32 v14, 8, v16
	v_mov_b32_e32 v15, 0x3b800000
	v_lshlrev_b32_e32 v10, 20, v10
	v_and_b32_e32 v14, 0x80000000, v14
	v_lshl_add_u32 v11, v11, 23, v15
	v_or3_b32 v10, v14, v11, v10
.LBB15_84:
	s_or_b64 exec, exec, s[6:7]
	s_movk_i32 s4, 0xff
	v_and_b32_sdwa v11, v12, s4 dst_sel:DWORD dst_unused:UNUSED_PAD src0_sel:WORD_1 src1_sel:DWORD
	s_movk_i32 s4, 0x7f
	v_cmp_lt_i16_e32 vcc, s4, v11
	s_mov_b64 s[4:5], 0
                                        ; implicit-def: $sgpr10
	s_and_saveexec_b64 s[6:7], vcc
	s_xor_b64 s[6:7], exec, s[6:7]
	s_cbranch_execnz .LBB15_2133
; %bb.85:
	s_or_saveexec_b64 s[6:7], s[6:7]
	v_mov_b32_e32 v14, s10
	s_xor_b64 exec, exec, s[6:7]
	s_cbranch_execnz .LBB15_2136
.LBB15_86:
	s_or_b64 exec, exec, s[6:7]
	s_and_saveexec_b64 s[6:7], s[4:5]
	s_cbranch_execz .LBB15_88
.LBB15_87:
	v_bfe_u32 v11, v12, 16, 3
	v_ffbh_u32_e32 v20, v11
	v_min_u32_e32 v20, 32, v20
	v_lshrrev_b32_e32 v14, 19, v12
	v_subrev_u32_e32 v21, 28, v20
	v_and_b32_e32 v14, 15, v14
	v_lshlrev_b32_sdwa v21, v21, v12 dst_sel:DWORD dst_unused:UNUSED_PAD src0_sel:DWORD src1_sel:WORD_1
	v_bfe_u32 v15, v12, 19, 4
	v_sub_u32_e32 v20, 29, v20
	v_and_b32_e32 v21, 7, v21
	v_cmp_eq_u16_e32 vcc, 0, v14
	v_cndmask_b32_e32 v11, v11, v21, vcc
	v_cndmask_b32_e32 v14, v15, v20, vcc
	v_lshlrev_b32_e32 v15, 8, v12
	v_mov_b32_e32 v20, 0x3b800000
	v_lshlrev_b32_e32 v11, 20, v11
	v_and_b32_e32 v15, 0x80000000, v15
	v_lshl_add_u32 v14, v14, 23, v20
	v_or3_b32 v14, v15, v14, v11
.LBB15_88:
	s_or_b64 exec, exec, s[6:7]
	s_nop 0
	v_mfma_f32_16x16x4f32 a[0:3], v10, v14, a[0:3]
	s_movk_i32 s4, 0x7f
	v_cmp_gt_i16_sdwa s[6:7], v16, s4 src0_sel:BYTE_3 src1_sel:DWORD
	s_mov_b64 s[4:5], 0
                                        ; implicit-def: $sgpr10
	s_and_saveexec_b64 s[8:9], s[6:7]
	s_xor_b64 s[6:7], exec, s[8:9]
	s_cbranch_execnz .LBB15_2137
; %bb.89:
	s_or_saveexec_b64 s[6:7], s[6:7]
	v_mov_b32_e32 v10, s10
	s_xor_b64 exec, exec, s[6:7]
	s_cbranch_execnz .LBB15_2140
.LBB15_90:
	s_or_b64 exec, exec, s[6:7]
	s_and_saveexec_b64 s[6:7], s[4:5]
	s_cbranch_execz .LBB15_92
.LBB15_91:
	v_bfe_u32 v10, v16, 24, 3
	v_ffbh_u32_e32 v20, v10
	v_min_u32_e32 v20, 32, v20
	v_lshrrev_b32_e32 v14, 27, v16
	v_subrev_u32_e32 v21, 28, v20
	v_and_b32_e32 v11, 0x80000000, v16
	v_and_b32_e32 v14, 15, v14
	v_bfe_u32 v15, v16, 27, 4
	v_lshlrev_b32_sdwa v16, v21, v16 dst_sel:DWORD dst_unused:UNUSED_PAD src0_sel:DWORD src1_sel:BYTE_3
	v_sub_u32_e32 v20, 29, v20
	v_and_b32_e32 v16, 7, v16
	v_cmp_eq_u16_e32 vcc, 0, v14
	v_cndmask_b32_e32 v10, v10, v16, vcc
	v_cndmask_b32_e32 v14, v15, v20, vcc
	v_mov_b32_e32 v15, 0x3b800000
	v_lshlrev_b32_e32 v10, 20, v10
	v_lshl_add_u32 v14, v14, 23, v15
	v_or3_b32 v10, v11, v14, v10
.LBB15_92:
	s_or_b64 exec, exec, s[6:7]
	s_movk_i32 s4, 0x7f
	v_cmp_gt_i16_sdwa s[6:7], v12, s4 src0_sel:BYTE_3 src1_sel:DWORD
	s_mov_b64 s[4:5], 0
                                        ; implicit-def: $sgpr10
	s_and_saveexec_b64 s[8:9], s[6:7]
	s_xor_b64 s[6:7], exec, s[8:9]
	s_cbranch_execnz .LBB15_2141
; %bb.93:
	s_or_saveexec_b64 s[6:7], s[6:7]
	v_mov_b32_e32 v11, s10
	s_xor_b64 exec, exec, s[6:7]
	s_cbranch_execnz .LBB15_2144
.LBB15_94:
	s_or_b64 exec, exec, s[6:7]
	s_and_saveexec_b64 s[6:7], s[4:5]
	s_cbranch_execz .LBB15_96
.LBB15_95:
	v_bfe_u32 v11, v12, 24, 3
	v_ffbh_u32_e32 v20, v11
	v_min_u32_e32 v20, 32, v20
	v_lshrrev_b32_e32 v15, 27, v12
	v_subrev_u32_e32 v21, 28, v20
	v_and_b32_e32 v14, 0x80000000, v12
	v_and_b32_e32 v15, 15, v15
	v_bfe_u32 v16, v12, 27, 4
	v_lshlrev_b32_sdwa v12, v21, v12 dst_sel:DWORD dst_unused:UNUSED_PAD src0_sel:DWORD src1_sel:BYTE_3
	v_sub_u32_e32 v20, 29, v20
	v_and_b32_e32 v12, 7, v12
	v_cmp_eq_u16_e32 vcc, 0, v15
	v_cndmask_b32_e32 v11, v11, v12, vcc
	v_cndmask_b32_e32 v12, v16, v20, vcc
	v_mov_b32_e32 v15, 0x3b800000
	v_lshlrev_b32_e32 v11, 20, v11
	v_lshl_add_u32 v12, v12, 23, v15
	v_or3_b32 v11, v14, v12, v11
.LBB15_96:
	s_or_b64 exec, exec, s[6:7]
	s_nop 0
	v_mfma_f32_16x16x4f32 a[0:3], v10, v11, a[0:3]
	s_movk_i32 s4, 0x7f
	v_cmp_gt_i16_sdwa s[6:7], v17, s4 src0_sel:BYTE_0 src1_sel:DWORD
	s_mov_b64 s[4:5], 0
                                        ; implicit-def: $sgpr10
	s_and_saveexec_b64 s[8:9], s[6:7]
	s_xor_b64 s[6:7], exec, s[8:9]
	s_cbranch_execnz .LBB15_2145
; %bb.97:
	s_or_saveexec_b64 s[6:7], s[6:7]
	v_mov_b32_e32 v10, s10
	s_xor_b64 exec, exec, s[6:7]
	s_cbranch_execnz .LBB15_2148
.LBB15_98:
	s_or_b64 exec, exec, s[6:7]
	s_and_saveexec_b64 s[6:7], s[4:5]
	s_cbranch_execz .LBB15_100
.LBB15_99:
	v_and_b32_e32 v10, 7, v17
	v_ffbh_u32_e32 v12, v10
	v_min_u32_e32 v12, 32, v12
	v_lshrrev_b16_e32 v11, 3, v17
	v_subrev_u32_e32 v14, 28, v12
	v_and_b32_e32 v11, 15, v11
	v_lshlrev_b32_e32 v14, v14, v17
	v_sub_u32_e32 v12, 29, v12
	v_and_b32_e32 v14, 7, v14
	v_cmp_eq_u16_e32 vcc, 0, v11
	v_cndmask_b32_e32 v10, v10, v14, vcc
	v_cndmask_b32_e32 v11, v11, v12, vcc
	v_lshlrev_b32_e32 v12, 24, v17
	v_mov_b32_e32 v14, 0x3b800000
	v_lshlrev_b32_e32 v10, 20, v10
	v_and_b32_e32 v12, 0x80000000, v12
	v_lshl_add_u32 v11, v11, 23, v14
	v_or3_b32 v10, v12, v11, v10
.LBB15_100:
	s_or_b64 exec, exec, s[6:7]
	s_movk_i32 s4, 0x7f
	v_cmp_gt_i16_sdwa s[6:7], v13, s4 src0_sel:BYTE_0 src1_sel:DWORD
	s_mov_b64 s[4:5], 0
                                        ; implicit-def: $sgpr10
	s_and_saveexec_b64 s[8:9], s[6:7]
	s_xor_b64 s[6:7], exec, s[8:9]
	s_cbranch_execnz .LBB15_2149
; %bb.101:
	s_or_saveexec_b64 s[6:7], s[6:7]
	v_mov_b32_e32 v11, s10
	s_xor_b64 exec, exec, s[6:7]
	s_cbranch_execnz .LBB15_2152
.LBB15_102:
	s_or_b64 exec, exec, s[6:7]
	s_and_saveexec_b64 s[6:7], s[4:5]
	s_cbranch_execz .LBB15_104
.LBB15_103:
	v_and_b32_e32 v11, 7, v13
	v_ffbh_u32_e32 v14, v11
	v_min_u32_e32 v14, 32, v14
	v_lshrrev_b16_e32 v12, 3, v13
	v_subrev_u32_e32 v15, 28, v14
	v_and_b32_e32 v12, 15, v12
	v_lshlrev_b32_e32 v15, v15, v13
	v_sub_u32_e32 v14, 29, v14
	v_and_b32_e32 v15, 7, v15
	v_cmp_eq_u16_e32 vcc, 0, v12
	v_cndmask_b32_e32 v11, v11, v15, vcc
	v_cndmask_b32_e32 v12, v12, v14, vcc
	v_lshlrev_b32_e32 v14, 24, v13
	v_mov_b32_e32 v15, 0x3b800000
	v_lshlrev_b32_e32 v11, 20, v11
	v_and_b32_e32 v14, 0x80000000, v14
	v_lshl_add_u32 v12, v12, 23, v15
	v_or3_b32 v11, v14, v12, v11
.LBB15_104:
	s_or_b64 exec, exec, s[6:7]
	s_nop 0
	v_mfma_f32_16x16x4f32 a[0:3], v10, v11, a[0:3]
	v_lshrrev_b32_e32 v11, 8, v17
	s_movk_i32 s4, 0x7f
	v_cmp_gt_i16_sdwa s[6:7], v11, s4 src0_sel:BYTE_0 src1_sel:DWORD
	s_mov_b64 s[4:5], 0
                                        ; implicit-def: $sgpr10
	s_and_saveexec_b64 s[8:9], s[6:7]
	s_xor_b64 s[6:7], exec, s[8:9]
	s_cbranch_execnz .LBB15_2153
; %bb.105:
	s_or_saveexec_b64 s[6:7], s[6:7]
	v_mov_b32_e32 v10, s10
	s_xor_b64 exec, exec, s[6:7]
	s_cbranch_execnz .LBB15_2156
.LBB15_106:
	s_or_b64 exec, exec, s[6:7]
	s_and_saveexec_b64 s[6:7], s[4:5]
	s_cbranch_execz .LBB15_108
.LBB15_107:
	v_bfe_u32 v10, v17, 8, 3
	v_ffbh_u32_e32 v14, v10
	v_min_u32_e32 v14, 32, v14
	v_lshrrev_b16_e32 v12, 3, v11
	v_subrev_u32_e32 v15, 28, v14
	v_and_b32_e32 v12, 15, v12
	v_lshlrev_b32_e32 v11, v15, v11
	v_sub_u32_e32 v14, 29, v14
	v_and_b32_e32 v11, 7, v11
	v_cmp_eq_u16_e32 vcc, 0, v12
	v_cndmask_b32_e32 v10, v10, v11, vcc
	v_cndmask_b32_e32 v11, v12, v14, vcc
	v_lshlrev_b32_e32 v12, 16, v17
	v_mov_b32_e32 v14, 0x3b800000
	v_lshlrev_b32_e32 v10, 20, v10
	v_and_b32_e32 v12, 0x80000000, v12
	v_lshl_add_u32 v11, v11, 23, v14
	v_or3_b32 v10, v12, v11, v10
.LBB15_108:
	s_or_b64 exec, exec, s[6:7]
	v_lshrrev_b32_e32 v11, 8, v13
	s_movk_i32 s4, 0x7f
	v_cmp_gt_i16_sdwa s[6:7], v11, s4 src0_sel:BYTE_0 src1_sel:DWORD
	s_mov_b64 s[4:5], 0
                                        ; implicit-def: $sgpr10
	s_and_saveexec_b64 s[8:9], s[6:7]
	s_xor_b64 s[6:7], exec, s[8:9]
	s_cbranch_execnz .LBB15_2157
; %bb.109:
	s_or_saveexec_b64 s[6:7], s[6:7]
	v_mov_b32_e32 v12, s10
	s_xor_b64 exec, exec, s[6:7]
	s_cbranch_execnz .LBB15_2160
.LBB15_110:
	s_or_b64 exec, exec, s[6:7]
	s_and_saveexec_b64 s[6:7], s[4:5]
	s_cbranch_execz .LBB15_112
.LBB15_111:
	v_bfe_u32 v12, v13, 8, 3
	v_ffbh_u32_e32 v15, v12
	v_min_u32_e32 v15, 32, v15
	v_lshrrev_b16_e32 v14, 3, v11
	v_subrev_u32_e32 v16, 28, v15
	v_and_b32_e32 v14, 15, v14
	v_lshlrev_b32_e32 v11, v16, v11
	v_sub_u32_e32 v15, 29, v15
	v_and_b32_e32 v11, 7, v11
	v_cmp_eq_u16_e32 vcc, 0, v14
	v_cndmask_b32_e32 v11, v12, v11, vcc
	v_cndmask_b32_e32 v12, v14, v15, vcc
	v_lshlrev_b32_e32 v14, 16, v13
	v_mov_b32_e32 v15, 0x3b800000
	v_lshlrev_b32_e32 v11, 20, v11
	v_and_b32_e32 v14, 0x80000000, v14
	v_lshl_add_u32 v12, v12, 23, v15
	v_or3_b32 v12, v14, v12, v11
.LBB15_112:
	s_or_b64 exec, exec, s[6:7]
	s_nop 0
	v_mfma_f32_16x16x4f32 a[0:3], v10, v12, a[0:3]
	s_movk_i32 s4, 0xff
	v_and_b32_sdwa v11, v17, s4 dst_sel:DWORD dst_unused:UNUSED_PAD src0_sel:WORD_1 src1_sel:DWORD
	s_movk_i32 s4, 0x7f
	v_cmp_lt_i16_e32 vcc, s4, v11
	s_mov_b64 s[4:5], 0
                                        ; implicit-def: $sgpr10
	s_and_saveexec_b64 s[6:7], vcc
	s_xor_b64 s[6:7], exec, s[6:7]
	s_cbranch_execnz .LBB15_2161
; %bb.113:
	s_or_saveexec_b64 s[6:7], s[6:7]
	v_mov_b32_e32 v10, s10
	s_xor_b64 exec, exec, s[6:7]
	s_cbranch_execnz .LBB15_2164
.LBB15_114:
	s_or_b64 exec, exec, s[6:7]
	s_and_saveexec_b64 s[6:7], s[4:5]
	s_cbranch_execz .LBB15_116
.LBB15_115:
	v_bfe_u32 v10, v17, 16, 3
	v_ffbh_u32_e32 v14, v10
	v_min_u32_e32 v14, 32, v14
	v_lshrrev_b32_e32 v11, 19, v17
	v_subrev_u32_e32 v15, 28, v14
	v_and_b32_e32 v11, 15, v11
	v_lshlrev_b32_sdwa v15, v15, v17 dst_sel:DWORD dst_unused:UNUSED_PAD src0_sel:DWORD src1_sel:WORD_1
	v_bfe_u32 v12, v17, 19, 4
	v_sub_u32_e32 v14, 29, v14
	v_and_b32_e32 v15, 7, v15
	v_cmp_eq_u16_e32 vcc, 0, v11
	v_cndmask_b32_e32 v10, v10, v15, vcc
	v_cndmask_b32_e32 v11, v12, v14, vcc
	v_lshlrev_b32_e32 v12, 8, v17
	v_mov_b32_e32 v14, 0x3b800000
	v_lshlrev_b32_e32 v10, 20, v10
	v_and_b32_e32 v12, 0x80000000, v12
	v_lshl_add_u32 v11, v11, 23, v14
	v_or3_b32 v10, v12, v11, v10
.LBB15_116:
	s_or_b64 exec, exec, s[6:7]
	s_movk_i32 s4, 0xff
	v_and_b32_sdwa v11, v13, s4 dst_sel:DWORD dst_unused:UNUSED_PAD src0_sel:WORD_1 src1_sel:DWORD
	s_movk_i32 s4, 0x7f
	v_cmp_lt_i16_e32 vcc, s4, v11
	s_mov_b64 s[4:5], 0
                                        ; implicit-def: $sgpr10
	s_and_saveexec_b64 s[6:7], vcc
	s_xor_b64 s[6:7], exec, s[6:7]
	s_cbranch_execnz .LBB15_2165
; %bb.117:
	s_or_saveexec_b64 s[6:7], s[6:7]
	v_mov_b32_e32 v12, s10
	s_xor_b64 exec, exec, s[6:7]
	s_cbranch_execnz .LBB15_2168
.LBB15_118:
	s_or_b64 exec, exec, s[6:7]
	s_and_saveexec_b64 s[6:7], s[4:5]
	s_cbranch_execz .LBB15_120
.LBB15_119:
	v_bfe_u32 v11, v13, 16, 3
	v_ffbh_u32_e32 v15, v11
	v_min_u32_e32 v15, 32, v15
	v_lshrrev_b32_e32 v12, 19, v13
	v_subrev_u32_e32 v16, 28, v15
	v_and_b32_e32 v12, 15, v12
	v_lshlrev_b32_sdwa v16, v16, v13 dst_sel:DWORD dst_unused:UNUSED_PAD src0_sel:DWORD src1_sel:WORD_1
	v_bfe_u32 v14, v13, 19, 4
	v_sub_u32_e32 v15, 29, v15
	v_and_b32_e32 v16, 7, v16
	v_cmp_eq_u16_e32 vcc, 0, v12
	v_cndmask_b32_e32 v11, v11, v16, vcc
	v_cndmask_b32_e32 v12, v14, v15, vcc
	v_lshlrev_b32_e32 v14, 8, v13
	v_mov_b32_e32 v15, 0x3b800000
	v_lshlrev_b32_e32 v11, 20, v11
	v_and_b32_e32 v14, 0x80000000, v14
	v_lshl_add_u32 v12, v12, 23, v15
	v_or3_b32 v12, v14, v12, v11
.LBB15_120:
	s_or_b64 exec, exec, s[6:7]
	s_nop 0
	v_mfma_f32_16x16x4f32 a[0:3], v10, v12, a[0:3]
	s_movk_i32 s4, 0x7f
	v_cmp_gt_i16_sdwa s[6:7], v17, s4 src0_sel:BYTE_3 src1_sel:DWORD
	s_mov_b64 s[4:5], 0
                                        ; implicit-def: $sgpr10
	s_and_saveexec_b64 s[8:9], s[6:7]
	s_xor_b64 s[6:7], exec, s[8:9]
	s_cbranch_execnz .LBB15_2169
; %bb.121:
	s_or_saveexec_b64 s[6:7], s[6:7]
	v_mov_b32_e32 v10, s10
	s_xor_b64 exec, exec, s[6:7]
	s_cbranch_execnz .LBB15_2172
.LBB15_122:
	s_or_b64 exec, exec, s[6:7]
	s_and_saveexec_b64 s[6:7], s[4:5]
	s_cbranch_execz .LBB15_124
.LBB15_123:
	v_bfe_u32 v10, v17, 24, 3
	v_ffbh_u32_e32 v15, v10
	v_min_u32_e32 v15, 32, v15
	v_lshrrev_b32_e32 v12, 27, v17
	v_subrev_u32_e32 v16, 28, v15
	v_and_b32_e32 v12, 15, v12
	v_lshlrev_b32_sdwa v16, v16, v17 dst_sel:DWORD dst_unused:UNUSED_PAD src0_sel:DWORD src1_sel:BYTE_3
	v_bfe_u32 v14, v17, 27, 4
	v_sub_u32_e32 v15, 29, v15
	v_and_b32_e32 v16, 7, v16
	v_cmp_eq_u16_e32 vcc, 0, v12
	v_cndmask_b32_e32 v10, v10, v16, vcc
	v_cndmask_b32_e32 v12, v14, v15, vcc
	v_mov_b32_e32 v14, 0x3b800000
	v_and_b32_e32 v11, 0x80000000, v17
	v_lshlrev_b32_e32 v10, 20, v10
	v_lshl_add_u32 v12, v12, 23, v14
	v_or3_b32 v10, v11, v12, v10
.LBB15_124:
	s_or_b64 exec, exec, s[6:7]
	s_movk_i32 s4, 0x7f
	v_cmp_gt_i16_sdwa s[6:7], v13, s4 src0_sel:BYTE_3 src1_sel:DWORD
	s_mov_b64 s[4:5], 0
                                        ; implicit-def: $sgpr10
	s_and_saveexec_b64 s[8:9], s[6:7]
	s_xor_b64 s[6:7], exec, s[8:9]
	s_cbranch_execnz .LBB15_2173
; %bb.125:
	s_or_saveexec_b64 s[6:7], s[6:7]
	v_mov_b32_e32 v11, s10
	s_xor_b64 exec, exec, s[6:7]
	s_cbranch_execnz .LBB15_2176
.LBB15_126:
	s_or_b64 exec, exec, s[6:7]
	s_and_saveexec_b64 s[6:7], s[4:5]
	s_cbranch_execz .LBB15_128
.LBB15_127:
	v_bfe_u32 v11, v13, 24, 3
	v_ffbh_u32_e32 v16, v11
	v_min_u32_e32 v16, 32, v16
	v_lshrrev_b32_e32 v14, 27, v13
	v_subrev_u32_e32 v17, 28, v16
	v_and_b32_e32 v12, 0x80000000, v13
	v_and_b32_e32 v14, 15, v14
	v_bfe_u32 v15, v13, 27, 4
	v_lshlrev_b32_sdwa v13, v17, v13 dst_sel:DWORD dst_unused:UNUSED_PAD src0_sel:DWORD src1_sel:BYTE_3
	v_sub_u32_e32 v16, 29, v16
	v_and_b32_e32 v13, 7, v13
	v_cmp_eq_u16_e32 vcc, 0, v14
	v_cndmask_b32_e32 v11, v11, v13, vcc
	v_cndmask_b32_e32 v13, v15, v16, vcc
	v_mov_b32_e32 v14, 0x3b800000
	v_lshlrev_b32_e32 v11, 20, v11
	v_lshl_add_u32 v13, v13, 23, v14
	v_or3_b32 v11, v12, v13, v11
.LBB15_128:
	s_or_b64 exec, exec, s[6:7]
	s_nop 0
	v_mfma_f32_16x16x4f32 a[0:3], v10, v11, a[0:3]
	s_movk_i32 s4, 0x7f
	v_cmp_gt_i16_sdwa s[6:7], v6, s4 src0_sel:BYTE_0 src1_sel:DWORD
	s_mov_b64 s[4:5], 0
                                        ; implicit-def: $sgpr10
	s_and_saveexec_b64 s[8:9], s[6:7]
	s_xor_b64 s[6:7], exec, s[8:9]
	s_cbranch_execnz .LBB15_2177
; %bb.129:
	s_or_saveexec_b64 s[6:7], s[6:7]
	v_mov_b32_e32 v10, s10
	s_xor_b64 exec, exec, s[6:7]
	s_cbranch_execnz .LBB15_2180
.LBB15_130:
	s_or_b64 exec, exec, s[6:7]
	s_and_saveexec_b64 s[6:7], s[4:5]
	s_cbranch_execz .LBB15_132
.LBB15_131:
	v_and_b32_e32 v10, 7, v6
	v_ffbh_u32_e32 v12, v10
	v_min_u32_e32 v12, 32, v12
	v_lshrrev_b16_e32 v11, 3, v6
	v_subrev_u32_e32 v13, 28, v12
	v_and_b32_e32 v11, 15, v11
	v_lshlrev_b32_e32 v13, v13, v6
	v_sub_u32_e32 v12, 29, v12
	v_and_b32_e32 v13, 7, v13
	v_cmp_eq_u16_e32 vcc, 0, v11
	v_cndmask_b32_e32 v10, v10, v13, vcc
	v_cndmask_b32_e32 v11, v11, v12, vcc
	v_lshlrev_b32_e32 v12, 24, v6
	v_mov_b32_e32 v13, 0x3b800000
	v_lshlrev_b32_e32 v10, 20, v10
	v_and_b32_e32 v12, 0x80000000, v12
	v_lshl_add_u32 v11, v11, 23, v13
	v_or3_b32 v10, v12, v11, v10
.LBB15_132:
	s_or_b64 exec, exec, s[6:7]
	s_movk_i32 s4, 0x7f
	v_cmp_gt_i16_sdwa s[6:7], v2, s4 src0_sel:BYTE_0 src1_sel:DWORD
	s_mov_b64 s[4:5], 0
                                        ; implicit-def: $sgpr10
	s_and_saveexec_b64 s[8:9], s[6:7]
	s_xor_b64 s[6:7], exec, s[8:9]
	s_cbranch_execnz .LBB15_2181
; %bb.133:
	s_or_saveexec_b64 s[6:7], s[6:7]
	v_mov_b32_e32 v11, s10
	s_xor_b64 exec, exec, s[6:7]
	s_cbranch_execnz .LBB15_2184
.LBB15_134:
	s_or_b64 exec, exec, s[6:7]
	s_and_saveexec_b64 s[6:7], s[4:5]
	s_cbranch_execz .LBB15_136
.LBB15_135:
	v_and_b32_e32 v11, 7, v2
	v_ffbh_u32_e32 v13, v11
	v_min_u32_e32 v13, 32, v13
	v_lshrrev_b16_e32 v12, 3, v2
	v_subrev_u32_e32 v14, 28, v13
	v_and_b32_e32 v12, 15, v12
	v_lshlrev_b32_e32 v14, v14, v2
	v_sub_u32_e32 v13, 29, v13
	v_and_b32_e32 v14, 7, v14
	v_cmp_eq_u16_e32 vcc, 0, v12
	v_cndmask_b32_e32 v11, v11, v14, vcc
	v_cndmask_b32_e32 v12, v12, v13, vcc
	v_lshlrev_b32_e32 v13, 24, v2
	v_mov_b32_e32 v14, 0x3b800000
	v_lshlrev_b32_e32 v11, 20, v11
	v_and_b32_e32 v13, 0x80000000, v13
	v_lshl_add_u32 v12, v12, 23, v14
	v_or3_b32 v11, v13, v12, v11
.LBB15_136:
	s_or_b64 exec, exec, s[6:7]
	s_nop 0
	v_mfma_f32_16x16x4f32 a[0:3], v10, v11, a[0:3]
	v_lshrrev_b32_e32 v11, 8, v6
	s_movk_i32 s4, 0x7f
	v_cmp_gt_i16_sdwa s[6:7], v11, s4 src0_sel:BYTE_0 src1_sel:DWORD
	s_mov_b64 s[4:5], 0
                                        ; implicit-def: $sgpr10
	s_and_saveexec_b64 s[8:9], s[6:7]
	s_xor_b64 s[6:7], exec, s[8:9]
	s_cbranch_execnz .LBB15_2185
; %bb.137:
	s_or_saveexec_b64 s[6:7], s[6:7]
	v_mov_b32_e32 v10, s10
	s_xor_b64 exec, exec, s[6:7]
	s_cbranch_execnz .LBB15_2188
.LBB15_138:
	s_or_b64 exec, exec, s[6:7]
	s_and_saveexec_b64 s[6:7], s[4:5]
	s_cbranch_execz .LBB15_140
.LBB15_139:
	v_bfe_u32 v10, v6, 8, 3
	v_ffbh_u32_e32 v13, v10
	v_min_u32_e32 v13, 32, v13
	v_lshrrev_b16_e32 v12, 3, v11
	v_subrev_u32_e32 v14, 28, v13
	v_and_b32_e32 v12, 15, v12
	v_lshlrev_b32_e32 v11, v14, v11
	v_sub_u32_e32 v13, 29, v13
	v_and_b32_e32 v11, 7, v11
	v_cmp_eq_u16_e32 vcc, 0, v12
	v_cndmask_b32_e32 v10, v10, v11, vcc
	v_cndmask_b32_e32 v11, v12, v13, vcc
	v_lshlrev_b32_e32 v12, 16, v6
	v_mov_b32_e32 v13, 0x3b800000
	v_lshlrev_b32_e32 v10, 20, v10
	v_and_b32_e32 v12, 0x80000000, v12
	v_lshl_add_u32 v11, v11, 23, v13
	v_or3_b32 v10, v12, v11, v10
.LBB15_140:
	s_or_b64 exec, exec, s[6:7]
	v_lshrrev_b32_e32 v11, 8, v2
	s_movk_i32 s4, 0x7f
	v_cmp_gt_i16_sdwa s[6:7], v11, s4 src0_sel:BYTE_0 src1_sel:DWORD
	s_mov_b64 s[4:5], 0
                                        ; implicit-def: $sgpr10
	s_and_saveexec_b64 s[8:9], s[6:7]
	s_xor_b64 s[6:7], exec, s[8:9]
	s_cbranch_execnz .LBB15_2189
; %bb.141:
	s_or_saveexec_b64 s[6:7], s[6:7]
	v_mov_b32_e32 v12, s10
	s_xor_b64 exec, exec, s[6:7]
	s_cbranch_execnz .LBB15_2192
.LBB15_142:
	s_or_b64 exec, exec, s[6:7]
	s_and_saveexec_b64 s[6:7], s[4:5]
	s_cbranch_execz .LBB15_144
.LBB15_143:
	v_bfe_u32 v12, v2, 8, 3
	v_ffbh_u32_e32 v14, v12
	v_min_u32_e32 v14, 32, v14
	v_lshrrev_b16_e32 v13, 3, v11
	v_subrev_u32_e32 v15, 28, v14
	v_and_b32_e32 v13, 15, v13
	v_lshlrev_b32_e32 v11, v15, v11
	v_sub_u32_e32 v14, 29, v14
	v_and_b32_e32 v11, 7, v11
	v_cmp_eq_u16_e32 vcc, 0, v13
	v_cndmask_b32_e32 v11, v12, v11, vcc
	v_cndmask_b32_e32 v12, v13, v14, vcc
	v_lshlrev_b32_e32 v13, 16, v2
	v_mov_b32_e32 v14, 0x3b800000
	v_lshlrev_b32_e32 v11, 20, v11
	v_and_b32_e32 v13, 0x80000000, v13
	v_lshl_add_u32 v12, v12, 23, v14
	v_or3_b32 v12, v13, v12, v11
.LBB15_144:
	s_or_b64 exec, exec, s[6:7]
	s_nop 0
	v_mfma_f32_16x16x4f32 a[0:3], v10, v12, a[0:3]
	s_movk_i32 s4, 0xff
	v_and_b32_sdwa v11, v6, s4 dst_sel:DWORD dst_unused:UNUSED_PAD src0_sel:WORD_1 src1_sel:DWORD
	s_movk_i32 s4, 0x7f
	v_cmp_lt_i16_e32 vcc, s4, v11
	s_mov_b64 s[4:5], 0
                                        ; implicit-def: $sgpr10
	s_and_saveexec_b64 s[6:7], vcc
	s_xor_b64 s[6:7], exec, s[6:7]
	s_cbranch_execnz .LBB15_2193
; %bb.145:
	s_or_saveexec_b64 s[6:7], s[6:7]
	v_mov_b32_e32 v10, s10
	s_xor_b64 exec, exec, s[6:7]
	s_cbranch_execnz .LBB15_2196
.LBB15_146:
	s_or_b64 exec, exec, s[6:7]
	s_and_saveexec_b64 s[6:7], s[4:5]
	s_cbranch_execz .LBB15_148
.LBB15_147:
	v_bfe_u32 v10, v6, 16, 3
	v_ffbh_u32_e32 v13, v10
	v_min_u32_e32 v13, 32, v13
	v_lshrrev_b32_e32 v11, 19, v6
	v_subrev_u32_e32 v14, 28, v13
	v_and_b32_e32 v11, 15, v11
	v_lshlrev_b32_sdwa v14, v14, v6 dst_sel:DWORD dst_unused:UNUSED_PAD src0_sel:DWORD src1_sel:WORD_1
	v_bfe_u32 v12, v6, 19, 4
	v_sub_u32_e32 v13, 29, v13
	v_and_b32_e32 v14, 7, v14
	v_cmp_eq_u16_e32 vcc, 0, v11
	v_cndmask_b32_e32 v10, v10, v14, vcc
	v_cndmask_b32_e32 v11, v12, v13, vcc
	v_lshlrev_b32_e32 v12, 8, v6
	v_mov_b32_e32 v13, 0x3b800000
	v_lshlrev_b32_e32 v10, 20, v10
	v_and_b32_e32 v12, 0x80000000, v12
	v_lshl_add_u32 v11, v11, 23, v13
	v_or3_b32 v10, v12, v11, v10
.LBB15_148:
	s_or_b64 exec, exec, s[6:7]
	s_movk_i32 s4, 0xff
	v_and_b32_sdwa v11, v2, s4 dst_sel:DWORD dst_unused:UNUSED_PAD src0_sel:WORD_1 src1_sel:DWORD
	s_movk_i32 s4, 0x7f
	v_cmp_lt_i16_e32 vcc, s4, v11
	s_mov_b64 s[4:5], 0
                                        ; implicit-def: $sgpr10
	s_and_saveexec_b64 s[6:7], vcc
	s_xor_b64 s[6:7], exec, s[6:7]
	s_cbranch_execnz .LBB15_2197
; %bb.149:
	s_or_saveexec_b64 s[6:7], s[6:7]
	v_mov_b32_e32 v12, s10
	s_xor_b64 exec, exec, s[6:7]
	s_cbranch_execnz .LBB15_2200
.LBB15_150:
	s_or_b64 exec, exec, s[6:7]
	s_and_saveexec_b64 s[6:7], s[4:5]
	s_cbranch_execz .LBB15_152
.LBB15_151:
	v_bfe_u32 v11, v2, 16, 3
	v_ffbh_u32_e32 v14, v11
	v_min_u32_e32 v14, 32, v14
	v_lshrrev_b32_e32 v12, 19, v2
	v_subrev_u32_e32 v15, 28, v14
	v_and_b32_e32 v12, 15, v12
	v_lshlrev_b32_sdwa v15, v15, v2 dst_sel:DWORD dst_unused:UNUSED_PAD src0_sel:DWORD src1_sel:WORD_1
	v_bfe_u32 v13, v2, 19, 4
	v_sub_u32_e32 v14, 29, v14
	v_and_b32_e32 v15, 7, v15
	v_cmp_eq_u16_e32 vcc, 0, v12
	v_cndmask_b32_e32 v11, v11, v15, vcc
	v_cndmask_b32_e32 v12, v13, v14, vcc
	v_lshlrev_b32_e32 v13, 8, v2
	v_mov_b32_e32 v14, 0x3b800000
	v_lshlrev_b32_e32 v11, 20, v11
	v_and_b32_e32 v13, 0x80000000, v13
	v_lshl_add_u32 v12, v12, 23, v14
	v_or3_b32 v12, v13, v12, v11
.LBB15_152:
	s_or_b64 exec, exec, s[6:7]
	s_nop 0
	v_mfma_f32_16x16x4f32 a[0:3], v10, v12, a[0:3]
	s_movk_i32 s4, 0x7f
	v_cmp_gt_i16_sdwa s[6:7], v6, s4 src0_sel:BYTE_3 src1_sel:DWORD
	s_mov_b64 s[4:5], 0
                                        ; implicit-def: $sgpr10
	s_and_saveexec_b64 s[8:9], s[6:7]
	s_xor_b64 s[6:7], exec, s[8:9]
	s_cbranch_execnz .LBB15_2201
; %bb.153:
	s_or_saveexec_b64 s[6:7], s[6:7]
	v_mov_b32_e32 v10, s10
	s_xor_b64 exec, exec, s[6:7]
	s_cbranch_execnz .LBB15_2204
.LBB15_154:
	s_or_b64 exec, exec, s[6:7]
	s_and_saveexec_b64 s[6:7], s[4:5]
	s_cbranch_execz .LBB15_156
.LBB15_155:
	v_bfe_u32 v10, v6, 24, 3
	v_ffbh_u32_e32 v14, v10
	v_min_u32_e32 v14, 32, v14
	v_lshrrev_b32_e32 v12, 27, v6
	v_subrev_u32_e32 v15, 28, v14
	v_and_b32_e32 v11, 0x80000000, v6
	v_and_b32_e32 v12, 15, v12
	v_bfe_u32 v13, v6, 27, 4
	v_lshlrev_b32_sdwa v6, v15, v6 dst_sel:DWORD dst_unused:UNUSED_PAD src0_sel:DWORD src1_sel:BYTE_3
	v_sub_u32_e32 v14, 29, v14
	v_and_b32_e32 v6, 7, v6
	v_cmp_eq_u16_e32 vcc, 0, v12
	v_cndmask_b32_e32 v6, v10, v6, vcc
	v_cndmask_b32_e32 v10, v13, v14, vcc
	v_mov_b32_e32 v12, 0x3b800000
	v_lshlrev_b32_e32 v6, 20, v6
	v_lshl_add_u32 v10, v10, 23, v12
	v_or3_b32 v10, v11, v10, v6
.LBB15_156:
	s_or_b64 exec, exec, s[6:7]
	s_movk_i32 s4, 0x7f
	v_cmp_gt_i16_sdwa s[6:7], v2, s4 src0_sel:BYTE_3 src1_sel:DWORD
	s_mov_b64 s[4:5], 0
                                        ; implicit-def: $sgpr10
	s_and_saveexec_b64 s[8:9], s[6:7]
	s_xor_b64 s[6:7], exec, s[8:9]
	s_cbranch_execnz .LBB15_2205
; %bb.157:
	s_or_saveexec_b64 s[6:7], s[6:7]
	v_mov_b32_e32 v6, s10
	s_xor_b64 exec, exec, s[6:7]
	s_cbranch_execnz .LBB15_2208
.LBB15_158:
	s_or_b64 exec, exec, s[6:7]
	s_and_saveexec_b64 s[6:7], s[4:5]
	s_cbranch_execz .LBB15_160
.LBB15_159:
	v_bfe_u32 v6, v2, 24, 3
	v_ffbh_u32_e32 v14, v6
	v_min_u32_e32 v14, 32, v14
	v_lshrrev_b32_e32 v12, 27, v2
	v_subrev_u32_e32 v15, 28, v14
	v_and_b32_e32 v11, 0x80000000, v2
	v_and_b32_e32 v12, 15, v12
	v_bfe_u32 v13, v2, 27, 4
	v_lshlrev_b32_sdwa v2, v15, v2 dst_sel:DWORD dst_unused:UNUSED_PAD src0_sel:DWORD src1_sel:BYTE_3
	v_sub_u32_e32 v14, 29, v14
	v_and_b32_e32 v2, 7, v2
	v_cmp_eq_u16_e32 vcc, 0, v12
	v_cndmask_b32_e32 v2, v6, v2, vcc
	v_cndmask_b32_e32 v6, v13, v14, vcc
	v_mov_b32_e32 v12, 0x3b800000
	v_lshlrev_b32_e32 v2, 20, v2
	v_lshl_add_u32 v6, v6, 23, v12
	v_or3_b32 v6, v11, v6, v2
.LBB15_160:
	s_or_b64 exec, exec, s[6:7]
	s_nop 0
	v_mfma_f32_16x16x4f32 a[0:3], v10, v6, a[0:3]
	s_movk_i32 s4, 0x7f
	v_cmp_gt_i16_sdwa s[6:7], v7, s4 src0_sel:BYTE_0 src1_sel:DWORD
	s_mov_b64 s[4:5], 0
                                        ; implicit-def: $sgpr10
	s_and_saveexec_b64 s[8:9], s[6:7]
	s_xor_b64 s[6:7], exec, s[8:9]
	s_cbranch_execnz .LBB15_2209
; %bb.161:
	s_or_saveexec_b64 s[6:7], s[6:7]
	v_mov_b32_e32 v2, s10
	s_xor_b64 exec, exec, s[6:7]
	s_cbranch_execnz .LBB15_2212
.LBB15_162:
	s_or_b64 exec, exec, s[6:7]
	s_and_saveexec_b64 s[6:7], s[4:5]
	s_cbranch_execz .LBB15_164
.LBB15_163:
	v_and_b32_e32 v2, 7, v7
	v_ffbh_u32_e32 v10, v2
	v_min_u32_e32 v10, 32, v10
	v_lshrrev_b16_e32 v6, 3, v7
	v_subrev_u32_e32 v11, 28, v10
	v_and_b32_e32 v6, 15, v6
	v_lshlrev_b32_e32 v11, v11, v7
	v_sub_u32_e32 v10, 29, v10
	v_and_b32_e32 v11, 7, v11
	v_cmp_eq_u16_e32 vcc, 0, v6
	v_cndmask_b32_e32 v2, v2, v11, vcc
	v_cndmask_b32_e32 v6, v6, v10, vcc
	v_lshlrev_b32_e32 v10, 24, v7
	v_mov_b32_e32 v11, 0x3b800000
	v_lshlrev_b32_e32 v2, 20, v2
	v_and_b32_e32 v10, 0x80000000, v10
	v_lshl_add_u32 v6, v6, 23, v11
	v_or3_b32 v2, v10, v6, v2
.LBB15_164:
	s_or_b64 exec, exec, s[6:7]
	s_movk_i32 s4, 0x7f
	v_cmp_gt_i16_sdwa s[6:7], v3, s4 src0_sel:BYTE_0 src1_sel:DWORD
	s_mov_b64 s[4:5], 0
                                        ; implicit-def: $sgpr10
	s_and_saveexec_b64 s[8:9], s[6:7]
	s_xor_b64 s[6:7], exec, s[8:9]
	s_cbranch_execnz .LBB15_2213
; %bb.165:
	s_or_saveexec_b64 s[6:7], s[6:7]
	v_mov_b32_e32 v6, s10
	s_xor_b64 exec, exec, s[6:7]
	s_cbranch_execnz .LBB15_2216
.LBB15_166:
	s_or_b64 exec, exec, s[6:7]
	s_and_saveexec_b64 s[6:7], s[4:5]
	s_cbranch_execz .LBB15_168
.LBB15_167:
	v_and_b32_e32 v6, 7, v3
	v_ffbh_u32_e32 v11, v6
	v_min_u32_e32 v11, 32, v11
	v_lshrrev_b16_e32 v10, 3, v3
	v_subrev_u32_e32 v12, 28, v11
	v_and_b32_e32 v10, 15, v10
	v_lshlrev_b32_e32 v12, v12, v3
	v_sub_u32_e32 v11, 29, v11
	v_and_b32_e32 v12, 7, v12
	v_cmp_eq_u16_e32 vcc, 0, v10
	v_cndmask_b32_e32 v6, v6, v12, vcc
	v_cndmask_b32_e32 v10, v10, v11, vcc
	v_lshlrev_b32_e32 v11, 24, v3
	v_mov_b32_e32 v12, 0x3b800000
	v_lshlrev_b32_e32 v6, 20, v6
	v_and_b32_e32 v11, 0x80000000, v11
	v_lshl_add_u32 v10, v10, 23, v12
	v_or3_b32 v6, v11, v10, v6
.LBB15_168:
	s_or_b64 exec, exec, s[6:7]
	s_nop 0
	v_mfma_f32_16x16x4f32 a[0:3], v2, v6, a[0:3]
	v_lshrrev_b32_e32 v6, 8, v7
	s_movk_i32 s4, 0x7f
	v_cmp_gt_i16_sdwa s[6:7], v6, s4 src0_sel:BYTE_0 src1_sel:DWORD
	s_mov_b64 s[4:5], 0
                                        ; implicit-def: $sgpr10
	s_and_saveexec_b64 s[8:9], s[6:7]
	s_xor_b64 s[6:7], exec, s[8:9]
	s_cbranch_execnz .LBB15_2217
; %bb.169:
	s_or_saveexec_b64 s[6:7], s[6:7]
	v_mov_b32_e32 v2, s10
	s_xor_b64 exec, exec, s[6:7]
	s_cbranch_execnz .LBB15_2220
.LBB15_170:
	s_or_b64 exec, exec, s[6:7]
	s_and_saveexec_b64 s[6:7], s[4:5]
	s_cbranch_execz .LBB15_172
.LBB15_171:
	v_bfe_u32 v2, v7, 8, 3
	v_ffbh_u32_e32 v11, v2
	v_min_u32_e32 v11, 32, v11
	v_lshrrev_b16_e32 v10, 3, v6
	v_subrev_u32_e32 v12, 28, v11
	v_and_b32_e32 v10, 15, v10
	v_lshlrev_b32_e32 v6, v12, v6
	v_sub_u32_e32 v11, 29, v11
	v_and_b32_e32 v6, 7, v6
	v_cmp_eq_u16_e32 vcc, 0, v10
	v_cndmask_b32_e32 v2, v2, v6, vcc
	v_cndmask_b32_e32 v6, v10, v11, vcc
	v_lshlrev_b32_e32 v10, 16, v7
	v_mov_b32_e32 v11, 0x3b800000
	v_lshlrev_b32_e32 v2, 20, v2
	v_and_b32_e32 v10, 0x80000000, v10
	v_lshl_add_u32 v6, v6, 23, v11
	v_or3_b32 v2, v10, v6, v2
.LBB15_172:
	s_or_b64 exec, exec, s[6:7]
	v_lshrrev_b32_e32 v6, 8, v3
	s_movk_i32 s4, 0x7f
	v_cmp_gt_i16_sdwa s[6:7], v6, s4 src0_sel:BYTE_0 src1_sel:DWORD
	s_mov_b64 s[4:5], 0
                                        ; implicit-def: $sgpr10
	s_and_saveexec_b64 s[8:9], s[6:7]
	s_xor_b64 s[6:7], exec, s[8:9]
	s_cbranch_execnz .LBB15_2221
; %bb.173:
	s_or_saveexec_b64 s[6:7], s[6:7]
	v_mov_b32_e32 v10, s10
	s_xor_b64 exec, exec, s[6:7]
	s_cbranch_execnz .LBB15_2224
.LBB15_174:
	s_or_b64 exec, exec, s[6:7]
	s_and_saveexec_b64 s[6:7], s[4:5]
	s_cbranch_execz .LBB15_176
.LBB15_175:
	v_bfe_u32 v10, v3, 8, 3
	v_ffbh_u32_e32 v12, v10
	v_min_u32_e32 v12, 32, v12
	v_lshrrev_b16_e32 v11, 3, v6
	v_subrev_u32_e32 v13, 28, v12
	v_and_b32_e32 v11, 15, v11
	v_lshlrev_b32_e32 v6, v13, v6
	v_sub_u32_e32 v12, 29, v12
	v_and_b32_e32 v6, 7, v6
	v_cmp_eq_u16_e32 vcc, 0, v11
	v_cndmask_b32_e32 v6, v10, v6, vcc
	v_cndmask_b32_e32 v10, v11, v12, vcc
	v_lshlrev_b32_e32 v11, 16, v3
	v_mov_b32_e32 v12, 0x3b800000
	v_lshlrev_b32_e32 v6, 20, v6
	v_and_b32_e32 v11, 0x80000000, v11
	v_lshl_add_u32 v10, v10, 23, v12
	v_or3_b32 v10, v11, v10, v6
.LBB15_176:
	s_or_b64 exec, exec, s[6:7]
	s_nop 0
	v_mfma_f32_16x16x4f32 a[0:3], v2, v10, a[0:3]
	s_movk_i32 s4, 0xff
	v_and_b32_sdwa v6, v7, s4 dst_sel:DWORD dst_unused:UNUSED_PAD src0_sel:WORD_1 src1_sel:DWORD
	s_movk_i32 s4, 0x7f
	v_cmp_lt_i16_e32 vcc, s4, v6
	s_mov_b64 s[4:5], 0
                                        ; implicit-def: $sgpr10
	s_and_saveexec_b64 s[6:7], vcc
	s_xor_b64 s[6:7], exec, s[6:7]
	s_cbranch_execnz .LBB15_2225
; %bb.177:
	s_or_saveexec_b64 s[6:7], s[6:7]
	v_mov_b32_e32 v2, s10
	s_xor_b64 exec, exec, s[6:7]
	s_cbranch_execnz .LBB15_2228
.LBB15_178:
	s_or_b64 exec, exec, s[6:7]
	s_and_saveexec_b64 s[6:7], s[4:5]
	s_cbranch_execz .LBB15_180
.LBB15_179:
	v_bfe_u32 v2, v7, 16, 3
	v_ffbh_u32_e32 v11, v2
	v_min_u32_e32 v11, 32, v11
	v_lshrrev_b32_e32 v6, 19, v7
	v_subrev_u32_e32 v12, 28, v11
	v_and_b32_e32 v6, 15, v6
	v_lshlrev_b32_sdwa v12, v12, v7 dst_sel:DWORD dst_unused:UNUSED_PAD src0_sel:DWORD src1_sel:WORD_1
	v_bfe_u32 v10, v7, 19, 4
	v_sub_u32_e32 v11, 29, v11
	v_and_b32_e32 v12, 7, v12
	v_cmp_eq_u16_e32 vcc, 0, v6
	v_cndmask_b32_e32 v2, v2, v12, vcc
	v_cndmask_b32_e32 v6, v10, v11, vcc
	v_lshlrev_b32_e32 v10, 8, v7
	v_mov_b32_e32 v11, 0x3b800000
	v_lshlrev_b32_e32 v2, 20, v2
	v_and_b32_e32 v10, 0x80000000, v10
	v_lshl_add_u32 v6, v6, 23, v11
	v_or3_b32 v2, v10, v6, v2
.LBB15_180:
	s_or_b64 exec, exec, s[6:7]
	s_movk_i32 s4, 0xff
	v_and_b32_sdwa v6, v3, s4 dst_sel:DWORD dst_unused:UNUSED_PAD src0_sel:WORD_1 src1_sel:DWORD
	s_movk_i32 s4, 0x7f
	v_cmp_lt_i16_e32 vcc, s4, v6
	s_mov_b64 s[4:5], 0
                                        ; implicit-def: $sgpr10
	s_and_saveexec_b64 s[6:7], vcc
	s_xor_b64 s[6:7], exec, s[6:7]
	s_cbranch_execnz .LBB15_2229
; %bb.181:
	s_or_saveexec_b64 s[6:7], s[6:7]
	v_mov_b32_e32 v10, s10
	s_xor_b64 exec, exec, s[6:7]
	s_cbranch_execnz .LBB15_2232
.LBB15_182:
	s_or_b64 exec, exec, s[6:7]
	s_and_saveexec_b64 s[6:7], s[4:5]
	s_cbranch_execz .LBB15_184
.LBB15_183:
	v_bfe_u32 v6, v3, 16, 3
	v_ffbh_u32_e32 v12, v6
	v_min_u32_e32 v12, 32, v12
	v_lshrrev_b32_e32 v10, 19, v3
	v_subrev_u32_e32 v13, 28, v12
	v_and_b32_e32 v10, 15, v10
	v_lshlrev_b32_sdwa v13, v13, v3 dst_sel:DWORD dst_unused:UNUSED_PAD src0_sel:DWORD src1_sel:WORD_1
	v_bfe_u32 v11, v3, 19, 4
	v_sub_u32_e32 v12, 29, v12
	v_and_b32_e32 v13, 7, v13
	v_cmp_eq_u16_e32 vcc, 0, v10
	v_cndmask_b32_e32 v6, v6, v13, vcc
	v_cndmask_b32_e32 v10, v11, v12, vcc
	v_lshlrev_b32_e32 v11, 8, v3
	v_mov_b32_e32 v12, 0x3b800000
	v_lshlrev_b32_e32 v6, 20, v6
	v_and_b32_e32 v11, 0x80000000, v11
	v_lshl_add_u32 v10, v10, 23, v12
	v_or3_b32 v10, v11, v10, v6
.LBB15_184:
	s_or_b64 exec, exec, s[6:7]
	s_nop 0
	v_mfma_f32_16x16x4f32 a[0:3], v2, v10, a[0:3]
	s_movk_i32 s4, 0x7f
	v_cmp_gt_i16_sdwa s[6:7], v7, s4 src0_sel:BYTE_3 src1_sel:DWORD
	s_mov_b64 s[4:5], 0
                                        ; implicit-def: $sgpr10
	s_and_saveexec_b64 s[8:9], s[6:7]
	s_xor_b64 s[6:7], exec, s[8:9]
	s_cbranch_execnz .LBB15_2233
; %bb.185:
	s_or_saveexec_b64 s[6:7], s[6:7]
	v_mov_b32_e32 v2, s10
	s_xor_b64 exec, exec, s[6:7]
	s_cbranch_execnz .LBB15_2236
.LBB15_186:
	s_or_b64 exec, exec, s[6:7]
	s_and_saveexec_b64 s[6:7], s[4:5]
	s_cbranch_execz .LBB15_188
.LBB15_187:
	v_bfe_u32 v2, v7, 24, 3
	v_ffbh_u32_e32 v12, v2
	v_min_u32_e32 v12, 32, v12
	v_lshrrev_b32_e32 v10, 27, v7
	v_subrev_u32_e32 v13, 28, v12
	v_and_b32_e32 v6, 0x80000000, v7
	v_and_b32_e32 v10, 15, v10
	v_bfe_u32 v11, v7, 27, 4
	v_lshlrev_b32_sdwa v7, v13, v7 dst_sel:DWORD dst_unused:UNUSED_PAD src0_sel:DWORD src1_sel:BYTE_3
	v_sub_u32_e32 v12, 29, v12
	v_and_b32_e32 v7, 7, v7
	v_cmp_eq_u16_e32 vcc, 0, v10
	v_cndmask_b32_e32 v2, v2, v7, vcc
	v_cndmask_b32_e32 v7, v11, v12, vcc
	v_mov_b32_e32 v10, 0x3b800000
	v_lshlrev_b32_e32 v2, 20, v2
	v_lshl_add_u32 v7, v7, 23, v10
	v_or3_b32 v2, v6, v7, v2
.LBB15_188:
	s_or_b64 exec, exec, s[6:7]
	s_movk_i32 s4, 0x7f
	v_cmp_gt_i16_sdwa s[6:7], v3, s4 src0_sel:BYTE_3 src1_sel:DWORD
	s_mov_b64 s[4:5], 0
                                        ; implicit-def: $sgpr10
	s_and_saveexec_b64 s[8:9], s[6:7]
	s_xor_b64 s[6:7], exec, s[8:9]
	s_cbranch_execnz .LBB15_2237
; %bb.189:
	s_or_saveexec_b64 s[6:7], s[6:7]
	v_mov_b32_e32 v6, s10
	s_xor_b64 exec, exec, s[6:7]
	s_cbranch_execnz .LBB15_2240
.LBB15_190:
	s_or_b64 exec, exec, s[6:7]
	s_and_saveexec_b64 s[6:7], s[4:5]
	s_cbranch_execz .LBB15_192
.LBB15_191:
	v_bfe_u32 v6, v3, 24, 3
	v_ffbh_u32_e32 v12, v6
	v_min_u32_e32 v12, 32, v12
	v_lshrrev_b32_e32 v10, 27, v3
	v_subrev_u32_e32 v13, 28, v12
	v_and_b32_e32 v7, 0x80000000, v3
	v_and_b32_e32 v10, 15, v10
	v_bfe_u32 v11, v3, 27, 4
	v_lshlrev_b32_sdwa v3, v13, v3 dst_sel:DWORD dst_unused:UNUSED_PAD src0_sel:DWORD src1_sel:BYTE_3
	v_sub_u32_e32 v12, 29, v12
	v_and_b32_e32 v3, 7, v3
	v_cmp_eq_u16_e32 vcc, 0, v10
	v_cndmask_b32_e32 v3, v6, v3, vcc
	v_cndmask_b32_e32 v6, v11, v12, vcc
	v_mov_b32_e32 v10, 0x3b800000
	v_lshlrev_b32_e32 v3, 20, v3
	v_lshl_add_u32 v6, v6, 23, v10
	v_or3_b32 v6, v7, v6, v3
.LBB15_192:
	s_or_b64 exec, exec, s[6:7]
	s_nop 0
	v_mfma_f32_16x16x4f32 a[0:3], v2, v6, a[0:3]
	s_movk_i32 s4, 0x7f
	v_cmp_gt_i16_sdwa s[6:7], v8, s4 src0_sel:BYTE_0 src1_sel:DWORD
	s_mov_b64 s[4:5], 0
                                        ; implicit-def: $sgpr10
	s_and_saveexec_b64 s[8:9], s[6:7]
	s_xor_b64 s[6:7], exec, s[8:9]
	s_cbranch_execnz .LBB15_2241
; %bb.193:
	s_or_saveexec_b64 s[6:7], s[6:7]
	v_mov_b32_e32 v2, s10
	s_xor_b64 exec, exec, s[6:7]
	s_cbranch_execnz .LBB15_2244
.LBB15_194:
	s_or_b64 exec, exec, s[6:7]
	s_and_saveexec_b64 s[6:7], s[4:5]
	s_cbranch_execz .LBB15_196
.LBB15_195:
	v_and_b32_e32 v2, 7, v8
	v_ffbh_u32_e32 v6, v2
	v_min_u32_e32 v6, 32, v6
	v_lshrrev_b16_e32 v3, 3, v8
	v_subrev_u32_e32 v7, 28, v6
	v_and_b32_e32 v3, 15, v3
	v_lshlrev_b32_e32 v7, v7, v8
	v_sub_u32_e32 v6, 29, v6
	v_and_b32_e32 v7, 7, v7
	v_cmp_eq_u16_e32 vcc, 0, v3
	v_cndmask_b32_e32 v2, v2, v7, vcc
	v_cndmask_b32_e32 v3, v3, v6, vcc
	v_lshlrev_b32_e32 v6, 24, v8
	v_mov_b32_e32 v7, 0x3b800000
	v_lshlrev_b32_e32 v2, 20, v2
	v_and_b32_e32 v6, 0x80000000, v6
	v_lshl_add_u32 v3, v3, 23, v7
	v_or3_b32 v2, v6, v3, v2
.LBB15_196:
	s_or_b64 exec, exec, s[6:7]
	s_movk_i32 s4, 0x7f
	v_cmp_gt_i16_sdwa s[6:7], v4, s4 src0_sel:BYTE_0 src1_sel:DWORD
	s_mov_b64 s[4:5], 0
                                        ; implicit-def: $sgpr10
	s_and_saveexec_b64 s[8:9], s[6:7]
	s_xor_b64 s[6:7], exec, s[8:9]
	s_cbranch_execnz .LBB15_2245
; %bb.197:
	s_or_saveexec_b64 s[6:7], s[6:7]
	v_mov_b32_e32 v3, s10
	s_xor_b64 exec, exec, s[6:7]
	s_cbranch_execnz .LBB15_2248
.LBB15_198:
	s_or_b64 exec, exec, s[6:7]
	s_and_saveexec_b64 s[6:7], s[4:5]
	s_cbranch_execz .LBB15_200
.LBB15_199:
	v_and_b32_e32 v3, 7, v4
	v_ffbh_u32_e32 v7, v3
	v_min_u32_e32 v7, 32, v7
	v_lshrrev_b16_e32 v6, 3, v4
	v_subrev_u32_e32 v10, 28, v7
	v_and_b32_e32 v6, 15, v6
	v_lshlrev_b32_e32 v10, v10, v4
	v_sub_u32_e32 v7, 29, v7
	v_and_b32_e32 v10, 7, v10
	v_cmp_eq_u16_e32 vcc, 0, v6
	v_cndmask_b32_e32 v3, v3, v10, vcc
	v_cndmask_b32_e32 v6, v6, v7, vcc
	v_lshlrev_b32_e32 v7, 24, v4
	v_mov_b32_e32 v10, 0x3b800000
	v_lshlrev_b32_e32 v3, 20, v3
	v_and_b32_e32 v7, 0x80000000, v7
	v_lshl_add_u32 v6, v6, 23, v10
	v_or3_b32 v3, v7, v6, v3
.LBB15_200:
	s_or_b64 exec, exec, s[6:7]
	s_nop 0
	v_mfma_f32_16x16x4f32 a[0:3], v2, v3, a[0:3]
	v_lshrrev_b32_e32 v3, 8, v8
	s_movk_i32 s4, 0x7f
	v_cmp_gt_i16_sdwa s[6:7], v3, s4 src0_sel:BYTE_0 src1_sel:DWORD
	s_mov_b64 s[4:5], 0
                                        ; implicit-def: $sgpr10
	s_and_saveexec_b64 s[8:9], s[6:7]
	s_xor_b64 s[6:7], exec, s[8:9]
	s_cbranch_execnz .LBB15_2249
; %bb.201:
	s_or_saveexec_b64 s[6:7], s[6:7]
	v_mov_b32_e32 v2, s10
	s_xor_b64 exec, exec, s[6:7]
	s_cbranch_execnz .LBB15_2252
.LBB15_202:
	s_or_b64 exec, exec, s[6:7]
	s_and_saveexec_b64 s[6:7], s[4:5]
	s_cbranch_execz .LBB15_204
.LBB15_203:
	v_bfe_u32 v2, v8, 8, 3
	v_ffbh_u32_e32 v7, v2
	v_min_u32_e32 v7, 32, v7
	v_lshrrev_b16_e32 v6, 3, v3
	v_subrev_u32_e32 v10, 28, v7
	v_and_b32_e32 v6, 15, v6
	v_lshlrev_b32_e32 v3, v10, v3
	v_sub_u32_e32 v7, 29, v7
	v_and_b32_e32 v3, 7, v3
	v_cmp_eq_u16_e32 vcc, 0, v6
	v_cndmask_b32_e32 v2, v2, v3, vcc
	v_cndmask_b32_e32 v3, v6, v7, vcc
	v_lshlrev_b32_e32 v6, 16, v8
	v_mov_b32_e32 v7, 0x3b800000
	v_lshlrev_b32_e32 v2, 20, v2
	v_and_b32_e32 v6, 0x80000000, v6
	v_lshl_add_u32 v3, v3, 23, v7
	v_or3_b32 v2, v6, v3, v2
.LBB15_204:
	s_or_b64 exec, exec, s[6:7]
	v_lshrrev_b32_e32 v3, 8, v4
	s_movk_i32 s4, 0x7f
	v_cmp_gt_i16_sdwa s[6:7], v3, s4 src0_sel:BYTE_0 src1_sel:DWORD
	s_mov_b64 s[4:5], 0
                                        ; implicit-def: $sgpr10
	s_and_saveexec_b64 s[8:9], s[6:7]
	s_xor_b64 s[6:7], exec, s[8:9]
	s_cbranch_execnz .LBB15_2253
; %bb.205:
	s_or_saveexec_b64 s[6:7], s[6:7]
	v_mov_b32_e32 v6, s10
	s_xor_b64 exec, exec, s[6:7]
	s_cbranch_execnz .LBB15_2256
.LBB15_206:
	s_or_b64 exec, exec, s[6:7]
	s_and_saveexec_b64 s[6:7], s[4:5]
	s_cbranch_execz .LBB15_208
.LBB15_207:
	v_bfe_u32 v6, v4, 8, 3
	v_ffbh_u32_e32 v10, v6
	v_min_u32_e32 v10, 32, v10
	v_lshrrev_b16_e32 v7, 3, v3
	v_subrev_u32_e32 v11, 28, v10
	v_and_b32_e32 v7, 15, v7
	v_lshlrev_b32_e32 v3, v11, v3
	v_sub_u32_e32 v10, 29, v10
	v_and_b32_e32 v3, 7, v3
	v_cmp_eq_u16_e32 vcc, 0, v7
	v_cndmask_b32_e32 v3, v6, v3, vcc
	v_cndmask_b32_e32 v6, v7, v10, vcc
	v_lshlrev_b32_e32 v7, 16, v4
	v_mov_b32_e32 v10, 0x3b800000
	v_lshlrev_b32_e32 v3, 20, v3
	v_and_b32_e32 v7, 0x80000000, v7
	v_lshl_add_u32 v6, v6, 23, v10
	v_or3_b32 v6, v7, v6, v3
.LBB15_208:
	s_or_b64 exec, exec, s[6:7]
	s_nop 0
	v_mfma_f32_16x16x4f32 a[0:3], v2, v6, a[0:3]
	s_movk_i32 s4, 0xff
	v_and_b32_sdwa v3, v8, s4 dst_sel:DWORD dst_unused:UNUSED_PAD src0_sel:WORD_1 src1_sel:DWORD
	s_movk_i32 s4, 0x7f
	v_cmp_lt_i16_e32 vcc, s4, v3
	s_mov_b64 s[4:5], 0
                                        ; implicit-def: $sgpr10
	s_and_saveexec_b64 s[6:7], vcc
	s_xor_b64 s[6:7], exec, s[6:7]
	s_cbranch_execnz .LBB15_2257
; %bb.209:
	s_or_saveexec_b64 s[6:7], s[6:7]
	v_mov_b32_e32 v2, s10
	s_xor_b64 exec, exec, s[6:7]
	s_cbranch_execnz .LBB15_2260
.LBB15_210:
	s_or_b64 exec, exec, s[6:7]
	s_and_saveexec_b64 s[6:7], s[4:5]
	s_cbranch_execz .LBB15_212
.LBB15_211:
	v_bfe_u32 v2, v8, 16, 3
	v_ffbh_u32_e32 v7, v2
	v_min_u32_e32 v7, 32, v7
	v_lshrrev_b32_e32 v3, 19, v8
	v_subrev_u32_e32 v10, 28, v7
	v_and_b32_e32 v3, 15, v3
	v_lshlrev_b32_sdwa v10, v10, v8 dst_sel:DWORD dst_unused:UNUSED_PAD src0_sel:DWORD src1_sel:WORD_1
	v_bfe_u32 v6, v8, 19, 4
	v_sub_u32_e32 v7, 29, v7
	v_and_b32_e32 v10, 7, v10
	v_cmp_eq_u16_e32 vcc, 0, v3
	v_cndmask_b32_e32 v2, v2, v10, vcc
	v_cndmask_b32_e32 v3, v6, v7, vcc
	v_lshlrev_b32_e32 v6, 8, v8
	v_mov_b32_e32 v7, 0x3b800000
	v_lshlrev_b32_e32 v2, 20, v2
	v_and_b32_e32 v6, 0x80000000, v6
	v_lshl_add_u32 v3, v3, 23, v7
	v_or3_b32 v2, v6, v3, v2
.LBB15_212:
	s_or_b64 exec, exec, s[6:7]
	s_movk_i32 s4, 0xff
	v_and_b32_sdwa v3, v4, s4 dst_sel:DWORD dst_unused:UNUSED_PAD src0_sel:WORD_1 src1_sel:DWORD
	s_movk_i32 s4, 0x7f
	v_cmp_lt_i16_e32 vcc, s4, v3
	s_mov_b64 s[4:5], 0
                                        ; implicit-def: $sgpr10
	s_and_saveexec_b64 s[6:7], vcc
	s_xor_b64 s[6:7], exec, s[6:7]
	s_cbranch_execnz .LBB15_2261
; %bb.213:
	s_or_saveexec_b64 s[6:7], s[6:7]
	v_mov_b32_e32 v6, s10
	s_xor_b64 exec, exec, s[6:7]
	s_cbranch_execnz .LBB15_2264
.LBB15_214:
	s_or_b64 exec, exec, s[6:7]
	s_and_saveexec_b64 s[6:7], s[4:5]
	s_cbranch_execz .LBB15_216
.LBB15_215:
	v_bfe_u32 v3, v4, 16, 3
	v_ffbh_u32_e32 v10, v3
	v_min_u32_e32 v10, 32, v10
	v_lshrrev_b32_e32 v6, 19, v4
	v_subrev_u32_e32 v11, 28, v10
	v_and_b32_e32 v6, 15, v6
	v_lshlrev_b32_sdwa v11, v11, v4 dst_sel:DWORD dst_unused:UNUSED_PAD src0_sel:DWORD src1_sel:WORD_1
	v_bfe_u32 v7, v4, 19, 4
	v_sub_u32_e32 v10, 29, v10
	v_and_b32_e32 v11, 7, v11
	v_cmp_eq_u16_e32 vcc, 0, v6
	v_cndmask_b32_e32 v3, v3, v11, vcc
	v_cndmask_b32_e32 v6, v7, v10, vcc
	v_lshlrev_b32_e32 v7, 8, v4
	v_mov_b32_e32 v10, 0x3b800000
	v_lshlrev_b32_e32 v3, 20, v3
	v_and_b32_e32 v7, 0x80000000, v7
	v_lshl_add_u32 v6, v6, 23, v10
	v_or3_b32 v6, v7, v6, v3
.LBB15_216:
	s_or_b64 exec, exec, s[6:7]
	s_nop 0
	v_mfma_f32_16x16x4f32 a[0:3], v2, v6, a[0:3]
	s_movk_i32 s4, 0x7f
	v_cmp_gt_i16_sdwa s[6:7], v8, s4 src0_sel:BYTE_3 src1_sel:DWORD
	s_mov_b64 s[4:5], 0
                                        ; implicit-def: $sgpr10
	s_and_saveexec_b64 s[8:9], s[6:7]
	s_xor_b64 s[6:7], exec, s[8:9]
	s_cbranch_execnz .LBB15_2265
; %bb.217:
	s_or_saveexec_b64 s[6:7], s[6:7]
	v_mov_b32_e32 v2, s10
	s_xor_b64 exec, exec, s[6:7]
	s_cbranch_execnz .LBB15_2268
.LBB15_218:
	s_or_b64 exec, exec, s[6:7]
	s_and_saveexec_b64 s[6:7], s[4:5]
	s_cbranch_execz .LBB15_220
.LBB15_219:
	v_bfe_u32 v2, v8, 24, 3
	v_ffbh_u32_e32 v10, v2
	v_min_u32_e32 v10, 32, v10
	v_lshrrev_b32_e32 v6, 27, v8
	v_subrev_u32_e32 v11, 28, v10
	v_and_b32_e32 v3, 0x80000000, v8
	v_and_b32_e32 v6, 15, v6
	v_bfe_u32 v7, v8, 27, 4
	v_lshlrev_b32_sdwa v8, v11, v8 dst_sel:DWORD dst_unused:UNUSED_PAD src0_sel:DWORD src1_sel:BYTE_3
	v_sub_u32_e32 v10, 29, v10
	v_and_b32_e32 v8, 7, v8
	v_cmp_eq_u16_e32 vcc, 0, v6
	v_cndmask_b32_e32 v2, v2, v8, vcc
	v_cndmask_b32_e32 v6, v7, v10, vcc
	v_mov_b32_e32 v7, 0x3b800000
	v_lshlrev_b32_e32 v2, 20, v2
	v_lshl_add_u32 v6, v6, 23, v7
	v_or3_b32 v2, v3, v6, v2
.LBB15_220:
	s_or_b64 exec, exec, s[6:7]
	s_movk_i32 s4, 0x7f
	v_cmp_gt_i16_sdwa s[6:7], v4, s4 src0_sel:BYTE_3 src1_sel:DWORD
	s_mov_b64 s[4:5], 0
                                        ; implicit-def: $sgpr10
	s_and_saveexec_b64 s[8:9], s[6:7]
	s_xor_b64 s[6:7], exec, s[8:9]
	s_cbranch_execnz .LBB15_2269
; %bb.221:
	s_or_saveexec_b64 s[6:7], s[6:7]
	v_mov_b32_e32 v3, s10
	s_xor_b64 exec, exec, s[6:7]
	s_cbranch_execnz .LBB15_2272
.LBB15_222:
	s_or_b64 exec, exec, s[6:7]
	s_and_saveexec_b64 s[6:7], s[4:5]
	s_cbranch_execz .LBB15_224
.LBB15_223:
	v_bfe_u32 v3, v4, 24, 3
	v_ffbh_u32_e32 v10, v3
	v_min_u32_e32 v10, 32, v10
	v_lshrrev_b32_e32 v7, 27, v4
	v_subrev_u32_e32 v11, 28, v10
	v_and_b32_e32 v6, 0x80000000, v4
	v_and_b32_e32 v7, 15, v7
	v_bfe_u32 v8, v4, 27, 4
	v_lshlrev_b32_sdwa v4, v11, v4 dst_sel:DWORD dst_unused:UNUSED_PAD src0_sel:DWORD src1_sel:BYTE_3
	v_sub_u32_e32 v10, 29, v10
	v_and_b32_e32 v4, 7, v4
	v_cmp_eq_u16_e32 vcc, 0, v7
	v_cndmask_b32_e32 v3, v3, v4, vcc
	v_cndmask_b32_e32 v4, v8, v10, vcc
	v_mov_b32_e32 v7, 0x3b800000
	v_lshlrev_b32_e32 v3, 20, v3
	v_lshl_add_u32 v4, v4, 23, v7
	v_or3_b32 v3, v6, v4, v3
.LBB15_224:
	s_or_b64 exec, exec, s[6:7]
	s_nop 0
	v_mfma_f32_16x16x4f32 a[0:3], v2, v3, a[0:3]
	s_movk_i32 s4, 0x7f
	v_cmp_gt_i16_sdwa s[6:7], v9, s4 src0_sel:BYTE_0 src1_sel:DWORD
	s_mov_b64 s[4:5], 0
                                        ; implicit-def: $sgpr10
	s_and_saveexec_b64 s[8:9], s[6:7]
	s_xor_b64 s[6:7], exec, s[8:9]
	s_cbranch_execnz .LBB15_2273
; %bb.225:
	s_or_saveexec_b64 s[6:7], s[6:7]
	v_mov_b32_e32 v2, s10
	s_xor_b64 exec, exec, s[6:7]
	s_cbranch_execnz .LBB15_2276
.LBB15_226:
	s_or_b64 exec, exec, s[6:7]
	s_and_saveexec_b64 s[6:7], s[4:5]
	s_cbranch_execz .LBB15_228
.LBB15_227:
	v_mov_b32_e32 v2, 8
	v_and_b32_e32 v3, 7, v9
	v_lshrrev_b32_sdwa v2, v2, v9 dst_sel:BYTE_1 dst_unused:UNUSED_PAD src0_sel:DWORD src1_sel:DWORD
	v_ffbh_u32_e32 v4, v3
	v_or_b32_sdwa v2, v9, v2 dst_sel:DWORD dst_unused:UNUSED_PAD src0_sel:BYTE_0 src1_sel:DWORD
	v_min_u32_e32 v4, 32, v4
	v_lshrrev_b16_e32 v2, 3, v2
	v_subrev_u32_e32 v6, 28, v4
	v_and_b32_e32 v2, 15, v2
	v_lshlrev_b32_e32 v6, v6, v9
	v_sub_u32_e32 v4, 29, v4
	v_and_b32_e32 v6, 7, v6
	v_cmp_eq_u16_e32 vcc, 0, v2
	v_cndmask_b32_e32 v3, v3, v6, vcc
	v_cndmask_b32_e32 v2, v2, v4, vcc
	v_lshlrev_b32_e32 v4, 24, v9
	v_mov_b32_e32 v6, 0x3b800000
	v_lshlrev_b32_e32 v3, 20, v3
	v_and_b32_e32 v4, 0x80000000, v4
	v_lshl_add_u32 v2, v2, 23, v6
	v_or3_b32 v2, v4, v2, v3
.LBB15_228:
	s_or_b64 exec, exec, s[6:7]
	s_movk_i32 s4, 0x7f
	v_cmp_gt_i16_sdwa s[6:7], v5, s4 src0_sel:BYTE_0 src1_sel:DWORD
	s_mov_b64 s[4:5], 0
                                        ; implicit-def: $sgpr10
	s_and_saveexec_b64 s[8:9], s[6:7]
	s_xor_b64 s[6:7], exec, s[8:9]
	s_cbranch_execnz .LBB15_2277
; %bb.229:
	s_or_saveexec_b64 s[6:7], s[6:7]
	v_mov_b32_e32 v3, s10
	s_xor_b64 exec, exec, s[6:7]
	s_cbranch_execnz .LBB15_2280
.LBB15_230:
	s_or_b64 exec, exec, s[6:7]
	s_and_saveexec_b64 s[6:7], s[4:5]
	s_cbranch_execz .LBB15_232
.LBB15_231:
	v_mov_b32_e32 v3, 8
	v_and_b32_e32 v4, 7, v5
	v_lshrrev_b32_sdwa v3, v3, v5 dst_sel:BYTE_1 dst_unused:UNUSED_PAD src0_sel:DWORD src1_sel:DWORD
	v_ffbh_u32_e32 v6, v4
	v_or_b32_sdwa v3, v5, v3 dst_sel:DWORD dst_unused:UNUSED_PAD src0_sel:BYTE_0 src1_sel:DWORD
	v_min_u32_e32 v6, 32, v6
	v_lshrrev_b16_e32 v3, 3, v3
	v_subrev_u32_e32 v7, 28, v6
	v_and_b32_e32 v3, 15, v3
	v_lshlrev_b32_e32 v7, v7, v5
	v_sub_u32_e32 v6, 29, v6
	v_and_b32_e32 v7, 7, v7
	v_cmp_eq_u16_e32 vcc, 0, v3
	v_cndmask_b32_e32 v4, v4, v7, vcc
	v_cndmask_b32_e32 v3, v3, v6, vcc
	v_lshlrev_b32_e32 v6, 24, v5
	v_mov_b32_e32 v7, 0x3b800000
	v_lshlrev_b32_e32 v4, 20, v4
	v_and_b32_e32 v6, 0x80000000, v6
	v_lshl_add_u32 v3, v3, 23, v7
	v_or3_b32 v3, v6, v3, v4
.LBB15_232:
	s_or_b64 exec, exec, s[6:7]
	s_nop 0
	v_mfma_f32_16x16x4f32 a[0:3], v2, v3, a[0:3]
	v_lshrrev_b32_e32 v3, 8, v9
	s_movk_i32 s4, 0x7f
	v_cmp_gt_i16_sdwa s[6:7], v3, s4 src0_sel:BYTE_0 src1_sel:DWORD
	s_mov_b64 s[4:5], 0
                                        ; implicit-def: $sgpr10
	s_and_saveexec_b64 s[8:9], s[6:7]
	s_xor_b64 s[6:7], exec, s[8:9]
	s_cbranch_execnz .LBB15_2281
; %bb.233:
	s_or_saveexec_b64 s[6:7], s[6:7]
	v_mov_b32_e32 v2, s10
	s_xor_b64 exec, exec, s[6:7]
	s_cbranch_execnz .LBB15_2284
.LBB15_234:
	s_or_b64 exec, exec, s[6:7]
	s_and_saveexec_b64 s[6:7], s[4:5]
	s_cbranch_execz .LBB15_236
.LBB15_235:
	v_bfe_u32 v2, v9, 8, 3
	v_ffbh_u32_e32 v6, v2
	v_min_u32_e32 v6, 32, v6
	v_lshrrev_b16_e32 v4, 3, v3
	v_subrev_u32_e32 v7, 28, v6
	v_and_b32_e32 v4, 15, v4
	v_lshlrev_b32_e32 v3, v7, v3
	v_sub_u32_e32 v6, 29, v6
	v_and_b32_e32 v3, 7, v3
	v_cmp_eq_u16_e32 vcc, 0, v4
	v_cndmask_b32_e32 v2, v2, v3, vcc
	v_cndmask_b32_e32 v3, v4, v6, vcc
	v_lshlrev_b32_e32 v4, 16, v9
	v_mov_b32_e32 v6, 0x3b800000
	v_lshlrev_b32_e32 v2, 20, v2
	v_and_b32_e32 v4, 0x80000000, v4
	v_lshl_add_u32 v3, v3, 23, v6
	v_or3_b32 v2, v4, v3, v2
.LBB15_236:
	s_or_b64 exec, exec, s[6:7]
	v_lshrrev_b32_e32 v3, 8, v5
	s_movk_i32 s4, 0x7f
	v_cmp_gt_i16_sdwa s[6:7], v3, s4 src0_sel:BYTE_0 src1_sel:DWORD
	s_mov_b64 s[4:5], 0
                                        ; implicit-def: $sgpr10
	s_and_saveexec_b64 s[8:9], s[6:7]
	s_xor_b64 s[6:7], exec, s[8:9]
	s_cbranch_execnz .LBB15_2285
; %bb.237:
	s_or_saveexec_b64 s[6:7], s[6:7]
	v_mov_b32_e32 v4, s10
	s_xor_b64 exec, exec, s[6:7]
	s_cbranch_execnz .LBB15_2288
.LBB15_238:
	s_or_b64 exec, exec, s[6:7]
	s_and_saveexec_b64 s[6:7], s[4:5]
	s_cbranch_execz .LBB15_240
.LBB15_239:
	v_bfe_u32 v4, v5, 8, 3
	v_ffbh_u32_e32 v7, v4
	v_min_u32_e32 v7, 32, v7
	v_lshrrev_b16_e32 v6, 3, v3
	v_subrev_u32_e32 v8, 28, v7
	v_and_b32_e32 v6, 15, v6
	v_lshlrev_b32_e32 v3, v8, v3
	v_sub_u32_e32 v7, 29, v7
	v_and_b32_e32 v3, 7, v3
	v_cmp_eq_u16_e32 vcc, 0, v6
	v_cndmask_b32_e32 v3, v4, v3, vcc
	v_cndmask_b32_e32 v4, v6, v7, vcc
	v_lshlrev_b32_e32 v6, 16, v5
	v_mov_b32_e32 v7, 0x3b800000
	v_lshlrev_b32_e32 v3, 20, v3
	v_and_b32_e32 v6, 0x80000000, v6
	v_lshl_add_u32 v4, v4, 23, v7
	v_or3_b32 v4, v6, v4, v3
.LBB15_240:
	s_or_b64 exec, exec, s[6:7]
	s_nop 0
	v_mfma_f32_16x16x4f32 a[0:3], v2, v4, a[0:3]
	s_movk_i32 s4, 0xff
	v_and_b32_sdwa v3, v9, s4 dst_sel:DWORD dst_unused:UNUSED_PAD src0_sel:WORD_1 src1_sel:DWORD
	s_movk_i32 s4, 0x7f
	v_cmp_lt_i16_e32 vcc, s4, v3
	s_mov_b64 s[4:5], 0
                                        ; implicit-def: $sgpr10
	s_and_saveexec_b64 s[6:7], vcc
	s_xor_b64 s[6:7], exec, s[6:7]
	s_cbranch_execnz .LBB15_2289
; %bb.241:
	s_or_saveexec_b64 s[6:7], s[6:7]
	v_mov_b32_e32 v2, s10
	s_xor_b64 exec, exec, s[6:7]
	s_cbranch_execnz .LBB15_2292
.LBB15_242:
	s_or_b64 exec, exec, s[6:7]
	s_and_saveexec_b64 s[6:7], s[4:5]
	s_cbranch_execz .LBB15_244
.LBB15_243:
	v_bfe_u32 v2, v9, 16, 3
	v_ffbh_u32_e32 v6, v2
	v_min_u32_e32 v6, 32, v6
	v_lshrrev_b32_e32 v3, 19, v9
	v_subrev_u32_e32 v7, 28, v6
	v_and_b32_e32 v3, 15, v3
	v_lshlrev_b32_sdwa v7, v7, v9 dst_sel:DWORD dst_unused:UNUSED_PAD src0_sel:DWORD src1_sel:WORD_1
	v_bfe_u32 v4, v9, 19, 4
	v_sub_u32_e32 v6, 29, v6
	v_and_b32_e32 v7, 7, v7
	v_cmp_eq_u16_e32 vcc, 0, v3
	v_cndmask_b32_e32 v2, v2, v7, vcc
	v_cndmask_b32_e32 v3, v4, v6, vcc
	v_lshlrev_b32_e32 v4, 8, v9
	v_mov_b32_e32 v6, 0x3b800000
	v_lshlrev_b32_e32 v2, 20, v2
	v_and_b32_e32 v4, 0x80000000, v4
	v_lshl_add_u32 v3, v3, 23, v6
	v_or3_b32 v2, v4, v3, v2
.LBB15_244:
	s_or_b64 exec, exec, s[6:7]
	s_movk_i32 s4, 0xff
	v_and_b32_sdwa v3, v5, s4 dst_sel:DWORD dst_unused:UNUSED_PAD src0_sel:WORD_1 src1_sel:DWORD
	s_movk_i32 s4, 0x7f
	v_cmp_lt_i16_e32 vcc, s4, v3
	s_mov_b64 s[4:5], 0
                                        ; implicit-def: $sgpr10
	s_and_saveexec_b64 s[6:7], vcc
	s_xor_b64 s[6:7], exec, s[6:7]
	s_cbranch_execnz .LBB15_2293
; %bb.245:
	s_or_saveexec_b64 s[6:7], s[6:7]
	v_mov_b32_e32 v4, s10
	s_xor_b64 exec, exec, s[6:7]
	s_cbranch_execnz .LBB15_2296
.LBB15_246:
	s_or_b64 exec, exec, s[6:7]
	s_and_saveexec_b64 s[6:7], s[4:5]
	s_cbranch_execz .LBB15_248
.LBB15_247:
	v_bfe_u32 v3, v5, 16, 3
	v_ffbh_u32_e32 v7, v3
	v_min_u32_e32 v7, 32, v7
	v_lshrrev_b32_e32 v4, 19, v5
	v_subrev_u32_e32 v8, 28, v7
	v_and_b32_e32 v4, 15, v4
	v_lshlrev_b32_sdwa v8, v8, v5 dst_sel:DWORD dst_unused:UNUSED_PAD src0_sel:DWORD src1_sel:WORD_1
	v_bfe_u32 v6, v5, 19, 4
	v_sub_u32_e32 v7, 29, v7
	v_and_b32_e32 v8, 7, v8
	v_cmp_eq_u16_e32 vcc, 0, v4
	v_cndmask_b32_e32 v3, v3, v8, vcc
	v_cndmask_b32_e32 v4, v6, v7, vcc
	v_lshlrev_b32_e32 v6, 8, v5
	v_mov_b32_e32 v7, 0x3b800000
	v_lshlrev_b32_e32 v3, 20, v3
	v_and_b32_e32 v6, 0x80000000, v6
	v_lshl_add_u32 v4, v4, 23, v7
	v_or3_b32 v4, v6, v4, v3
.LBB15_248:
	s_or_b64 exec, exec, s[6:7]
	s_nop 0
	v_mfma_f32_16x16x4f32 a[0:3], v2, v4, a[0:3]
	s_movk_i32 s4, 0x7f
	v_cmp_gt_i16_sdwa s[6:7], v9, s4 src0_sel:BYTE_3 src1_sel:DWORD
	s_mov_b64 s[4:5], 0
                                        ; implicit-def: $sgpr10
	s_and_saveexec_b64 s[8:9], s[6:7]
	s_xor_b64 s[6:7], exec, s[8:9]
	s_cbranch_execnz .LBB15_2297
; %bb.249:
	s_or_saveexec_b64 s[6:7], s[6:7]
	v_mov_b32_e32 v2, s10
	s_xor_b64 exec, exec, s[6:7]
	s_cbranch_execnz .LBB15_2300
.LBB15_250:
	s_or_b64 exec, exec, s[6:7]
	s_and_saveexec_b64 s[6:7], s[4:5]
	s_cbranch_execz .LBB15_252
.LBB15_251:
	v_bfe_u32 v2, v9, 24, 3
	v_ffbh_u32_e32 v7, v2
	v_min_u32_e32 v7, 32, v7
	v_lshrrev_b32_e32 v4, 27, v9
	v_subrev_u32_e32 v8, 28, v7
	v_and_b32_e32 v4, 15, v4
	v_lshlrev_b32_sdwa v8, v8, v9 dst_sel:DWORD dst_unused:UNUSED_PAD src0_sel:DWORD src1_sel:BYTE_3
	v_bfe_u32 v6, v9, 27, 4
	v_sub_u32_e32 v7, 29, v7
	v_and_b32_e32 v8, 7, v8
	v_cmp_eq_u16_e32 vcc, 0, v4
	v_cndmask_b32_e32 v2, v2, v8, vcc
	v_cndmask_b32_e32 v4, v6, v7, vcc
	v_mov_b32_e32 v6, 0x3b800000
	v_and_b32_e32 v3, 0x80000000, v9
	v_lshlrev_b32_e32 v2, 20, v2
	v_lshl_add_u32 v4, v4, 23, v6
	v_or3_b32 v2, v3, v4, v2
.LBB15_252:
	s_or_b64 exec, exec, s[6:7]
	s_movk_i32 s4, 0x7f
	v_cmp_gt_i16_sdwa s[6:7], v5, s4 src0_sel:BYTE_3 src1_sel:DWORD
	s_mov_b64 s[4:5], 0
                                        ; implicit-def: $sgpr10
	s_and_saveexec_b64 s[8:9], s[6:7]
	s_xor_b64 s[6:7], exec, s[8:9]
	s_cbranch_execnz .LBB15_2301
; %bb.253:
	s_or_saveexec_b64 s[6:7], s[6:7]
	v_mov_b32_e32 v3, s10
	s_xor_b64 exec, exec, s[6:7]
	s_cbranch_execnz .LBB15_2304
.LBB15_254:
	s_or_b64 exec, exec, s[6:7]
	s_and_saveexec_b64 s[6:7], s[4:5]
	s_cbranch_execz .LBB15_256
.LBB15_255:
	v_bfe_u32 v3, v5, 24, 3
	v_ffbh_u32_e32 v8, v3
	v_min_u32_e32 v8, 32, v8
	v_lshrrev_b32_e32 v6, 27, v5
	v_subrev_u32_e32 v9, 28, v8
	v_and_b32_e32 v4, 0x80000000, v5
	v_and_b32_e32 v6, 15, v6
	v_bfe_u32 v7, v5, 27, 4
	v_lshlrev_b32_sdwa v5, v9, v5 dst_sel:DWORD dst_unused:UNUSED_PAD src0_sel:DWORD src1_sel:BYTE_3
	v_sub_u32_e32 v8, 29, v8
	v_and_b32_e32 v5, 7, v5
	v_cmp_eq_u16_e32 vcc, 0, v6
	v_cndmask_b32_e32 v3, v3, v5, vcc
	v_cndmask_b32_e32 v5, v7, v8, vcc
	v_mov_b32_e32 v6, 0x3b800000
	v_lshlrev_b32_e32 v3, 20, v3
	v_lshl_add_u32 v5, v5, 23, v6
	v_or3_b32 v3, v4, v5, v3
.LBB15_256:
	s_or_b64 exec, exec, s[6:7]
	s_nop 0
	v_mfma_f32_16x16x4f32 a[0:3], v2, v3, a[0:3]
	s_movk_i32 s4, 0x7f
                                        ; implicit-def: $sgpr10
	s_nop 7
	s_nop 1
	flat_store_dwordx4 v[18:19], a[0:3] offset:640
	flat_load_dwordx4 v[20:23], v[0:1] offset:16
	s_nop 0
	flat_load_dwordx2 v[18:19], v[0:1] offset:32
	s_waitcnt vmcnt(0) lgkmcnt(0)
	flat_load_dwordx4 v[14:17], v[20:21] offset:32
	flat_load_dwordx4 v[6:9], v[20:21] offset:48
	;; [unrolled: 1-line block ×4, first 2 shown]
	s_waitcnt vmcnt(0) lgkmcnt(0)
	v_cmp_gt_i16_sdwa s[6:7], v14, s4 src0_sel:BYTE_0 src1_sel:DWORD
	s_mov_b64 s[4:5], 0
	s_and_saveexec_b64 s[8:9], s[6:7]
	s_xor_b64 s[6:7], exec, s[8:9]
	s_cbranch_execnz .LBB15_2305
; %bb.257:
	s_or_saveexec_b64 s[6:7], s[6:7]
	v_mov_b32_e32 v20, s10
	s_xor_b64 exec, exec, s[6:7]
	s_cbranch_execnz .LBB15_2308
.LBB15_258:
	s_or_b64 exec, exec, s[6:7]
	s_and_saveexec_b64 s[6:7], s[4:5]
	s_cbranch_execz .LBB15_260
.LBB15_259:
	v_and_b32_e32 v20, 7, v14
	v_ffbh_u32_e32 v22, v20
	v_min_u32_e32 v22, 32, v22
	v_lshrrev_b16_e32 v21, 3, v14
	v_subrev_u32_e32 v23, 28, v22
	v_and_b32_e32 v21, 15, v21
	v_lshlrev_b32_e32 v23, v23, v14
	v_sub_u32_e32 v22, 29, v22
	v_and_b32_e32 v23, 7, v23
	v_cmp_eq_u16_e32 vcc, 0, v21
	v_cndmask_b32_e32 v20, v20, v23, vcc
	v_cndmask_b32_e32 v21, v21, v22, vcc
	v_lshlrev_b32_e32 v22, 24, v14
	v_mov_b32_e32 v23, 0x3b800000
	v_lshlrev_b32_e32 v20, 20, v20
	v_and_b32_e32 v22, 0x80000000, v22
	v_lshl_add_u32 v21, v21, 23, v23
	v_or3_b32 v20, v22, v21, v20
.LBB15_260:
	s_or_b64 exec, exec, s[6:7]
	s_movk_i32 s4, 0x7f
	v_cmp_gt_i16_sdwa s[6:7], v10, s4 src0_sel:BYTE_0 src1_sel:DWORD
	s_mov_b64 s[4:5], 0
                                        ; implicit-def: $sgpr10
	s_and_saveexec_b64 s[8:9], s[6:7]
	s_xor_b64 s[6:7], exec, s[8:9]
	s_cbranch_execnz .LBB15_2309
; %bb.261:
	s_or_saveexec_b64 s[6:7], s[6:7]
	v_mov_b32_e32 v21, s10
	s_xor_b64 exec, exec, s[6:7]
	s_cbranch_execnz .LBB15_2312
.LBB15_262:
	s_or_b64 exec, exec, s[6:7]
	s_and_saveexec_b64 s[6:7], s[4:5]
	s_cbranch_execz .LBB15_264
.LBB15_263:
	v_and_b32_e32 v21, 7, v10
	v_ffbh_u32_e32 v23, v21
	v_min_u32_e32 v23, 32, v23
	v_lshrrev_b16_e32 v22, 3, v10
	v_subrev_u32_e32 v24, 28, v23
	v_and_b32_e32 v22, 15, v22
	v_lshlrev_b32_e32 v24, v24, v10
	v_sub_u32_e32 v23, 29, v23
	v_and_b32_e32 v24, 7, v24
	v_cmp_eq_u16_e32 vcc, 0, v22
	v_cndmask_b32_e32 v21, v21, v24, vcc
	v_cndmask_b32_e32 v22, v22, v23, vcc
	v_lshlrev_b32_e32 v23, 24, v10
	v_mov_b32_e32 v24, 0x3b800000
	v_lshlrev_b32_e32 v21, 20, v21
	v_and_b32_e32 v23, 0x80000000, v23
	v_lshl_add_u32 v22, v22, 23, v24
	v_or3_b32 v21, v23, v22, v21
.LBB15_264:
	s_or_b64 exec, exec, s[6:7]
	flat_load_dwordx4 a[0:3], v[18:19] offset:656
	s_movk_i32 s4, 0x7f
                                        ; implicit-def: $sgpr10
	s_waitcnt vmcnt(0) lgkmcnt(0)
	v_mfma_f32_16x16x4f32 a[0:3], v20, v21, a[0:3]
	v_lshrrev_b32_e32 v21, 8, v14
	v_cmp_gt_i16_sdwa s[6:7], v21, s4 src0_sel:BYTE_0 src1_sel:DWORD
	s_mov_b64 s[4:5], 0
	s_and_saveexec_b64 s[8:9], s[6:7]
	s_xor_b64 s[6:7], exec, s[8:9]
	s_cbranch_execnz .LBB15_2313
; %bb.265:
	s_or_saveexec_b64 s[6:7], s[6:7]
	v_mov_b32_e32 v20, s10
	s_xor_b64 exec, exec, s[6:7]
	s_cbranch_execnz .LBB15_2316
.LBB15_266:
	s_or_b64 exec, exec, s[6:7]
	s_and_saveexec_b64 s[6:7], s[4:5]
	s_cbranch_execz .LBB15_268
.LBB15_267:
	v_bfe_u32 v20, v14, 8, 3
	v_ffbh_u32_e32 v23, v20
	v_min_u32_e32 v23, 32, v23
	v_lshrrev_b16_e32 v22, 3, v21
	v_subrev_u32_e32 v24, 28, v23
	v_and_b32_e32 v22, 15, v22
	v_lshlrev_b32_e32 v21, v24, v21
	v_sub_u32_e32 v23, 29, v23
	v_and_b32_e32 v21, 7, v21
	v_cmp_eq_u16_e32 vcc, 0, v22
	v_cndmask_b32_e32 v20, v20, v21, vcc
	v_cndmask_b32_e32 v21, v22, v23, vcc
	v_lshlrev_b32_e32 v22, 16, v14
	v_mov_b32_e32 v23, 0x3b800000
	v_lshlrev_b32_e32 v20, 20, v20
	v_and_b32_e32 v22, 0x80000000, v22
	v_lshl_add_u32 v21, v21, 23, v23
	v_or3_b32 v20, v22, v21, v20
.LBB15_268:
	s_or_b64 exec, exec, s[6:7]
	v_lshrrev_b32_e32 v21, 8, v10
	s_movk_i32 s4, 0x7f
	v_cmp_gt_i16_sdwa s[6:7], v21, s4 src0_sel:BYTE_0 src1_sel:DWORD
	s_mov_b64 s[4:5], 0
                                        ; implicit-def: $sgpr10
	s_and_saveexec_b64 s[8:9], s[6:7]
	s_xor_b64 s[6:7], exec, s[8:9]
	s_cbranch_execnz .LBB15_2317
; %bb.269:
	s_or_saveexec_b64 s[6:7], s[6:7]
	v_mov_b32_e32 v22, s10
	s_xor_b64 exec, exec, s[6:7]
	s_cbranch_execnz .LBB15_2320
.LBB15_270:
	s_or_b64 exec, exec, s[6:7]
	s_and_saveexec_b64 s[6:7], s[4:5]
	s_cbranch_execz .LBB15_272
.LBB15_271:
	v_bfe_u32 v22, v10, 8, 3
	v_ffbh_u32_e32 v24, v22
	v_min_u32_e32 v24, 32, v24
	v_lshrrev_b16_e32 v23, 3, v21
	v_subrev_u32_e32 v25, 28, v24
	v_and_b32_e32 v23, 15, v23
	v_lshlrev_b32_e32 v21, v25, v21
	v_sub_u32_e32 v24, 29, v24
	v_and_b32_e32 v21, 7, v21
	v_cmp_eq_u16_e32 vcc, 0, v23
	v_cndmask_b32_e32 v21, v22, v21, vcc
	v_cndmask_b32_e32 v22, v23, v24, vcc
	v_lshlrev_b32_e32 v23, 16, v10
	v_mov_b32_e32 v24, 0x3b800000
	v_lshlrev_b32_e32 v21, 20, v21
	v_and_b32_e32 v23, 0x80000000, v23
	v_lshl_add_u32 v22, v22, 23, v24
	v_or3_b32 v22, v23, v22, v21
.LBB15_272:
	s_or_b64 exec, exec, s[6:7]
	s_nop 0
	v_mfma_f32_16x16x4f32 a[0:3], v20, v22, a[0:3]
	s_movk_i32 s4, 0xff
	v_and_b32_sdwa v21, v14, s4 dst_sel:DWORD dst_unused:UNUSED_PAD src0_sel:WORD_1 src1_sel:DWORD
	s_movk_i32 s4, 0x7f
	v_cmp_lt_i16_e32 vcc, s4, v21
	s_mov_b64 s[4:5], 0
                                        ; implicit-def: $sgpr10
	s_and_saveexec_b64 s[6:7], vcc
	s_xor_b64 s[6:7], exec, s[6:7]
	s_cbranch_execnz .LBB15_2321
; %bb.273:
	s_or_saveexec_b64 s[6:7], s[6:7]
	v_mov_b32_e32 v20, s10
	s_xor_b64 exec, exec, s[6:7]
	s_cbranch_execnz .LBB15_2324
.LBB15_274:
	s_or_b64 exec, exec, s[6:7]
	s_and_saveexec_b64 s[6:7], s[4:5]
	s_cbranch_execz .LBB15_276
.LBB15_275:
	v_bfe_u32 v20, v14, 16, 3
	v_ffbh_u32_e32 v23, v20
	v_min_u32_e32 v23, 32, v23
	v_lshrrev_b32_e32 v21, 19, v14
	v_subrev_u32_e32 v24, 28, v23
	v_and_b32_e32 v21, 15, v21
	v_lshlrev_b32_sdwa v24, v24, v14 dst_sel:DWORD dst_unused:UNUSED_PAD src0_sel:DWORD src1_sel:WORD_1
	v_bfe_u32 v22, v14, 19, 4
	v_sub_u32_e32 v23, 29, v23
	v_and_b32_e32 v24, 7, v24
	v_cmp_eq_u16_e32 vcc, 0, v21
	v_cndmask_b32_e32 v20, v20, v24, vcc
	v_cndmask_b32_e32 v21, v22, v23, vcc
	v_lshlrev_b32_e32 v22, 8, v14
	v_mov_b32_e32 v23, 0x3b800000
	v_lshlrev_b32_e32 v20, 20, v20
	v_and_b32_e32 v22, 0x80000000, v22
	v_lshl_add_u32 v21, v21, 23, v23
	v_or3_b32 v20, v22, v21, v20
.LBB15_276:
	s_or_b64 exec, exec, s[6:7]
	s_movk_i32 s4, 0xff
	v_and_b32_sdwa v21, v10, s4 dst_sel:DWORD dst_unused:UNUSED_PAD src0_sel:WORD_1 src1_sel:DWORD
	s_movk_i32 s4, 0x7f
	v_cmp_lt_i16_e32 vcc, s4, v21
	s_mov_b64 s[4:5], 0
                                        ; implicit-def: $sgpr10
	s_and_saveexec_b64 s[6:7], vcc
	s_xor_b64 s[6:7], exec, s[6:7]
	s_cbranch_execnz .LBB15_2325
; %bb.277:
	s_or_saveexec_b64 s[6:7], s[6:7]
	v_mov_b32_e32 v22, s10
	s_xor_b64 exec, exec, s[6:7]
	s_cbranch_execnz .LBB15_2328
.LBB15_278:
	s_or_b64 exec, exec, s[6:7]
	s_and_saveexec_b64 s[6:7], s[4:5]
	s_cbranch_execz .LBB15_280
.LBB15_279:
	v_bfe_u32 v21, v10, 16, 3
	v_ffbh_u32_e32 v24, v21
	v_min_u32_e32 v24, 32, v24
	v_lshrrev_b32_e32 v22, 19, v10
	v_subrev_u32_e32 v25, 28, v24
	v_and_b32_e32 v22, 15, v22
	v_lshlrev_b32_sdwa v25, v25, v10 dst_sel:DWORD dst_unused:UNUSED_PAD src0_sel:DWORD src1_sel:WORD_1
	v_bfe_u32 v23, v10, 19, 4
	v_sub_u32_e32 v24, 29, v24
	v_and_b32_e32 v25, 7, v25
	v_cmp_eq_u16_e32 vcc, 0, v22
	v_cndmask_b32_e32 v21, v21, v25, vcc
	v_cndmask_b32_e32 v22, v23, v24, vcc
	v_lshlrev_b32_e32 v23, 8, v10
	v_mov_b32_e32 v24, 0x3b800000
	v_lshlrev_b32_e32 v21, 20, v21
	v_and_b32_e32 v23, 0x80000000, v23
	v_lshl_add_u32 v22, v22, 23, v24
	v_or3_b32 v22, v23, v22, v21
.LBB15_280:
	s_or_b64 exec, exec, s[6:7]
	s_nop 0
	v_mfma_f32_16x16x4f32 a[0:3], v20, v22, a[0:3]
	s_movk_i32 s4, 0x7f
	v_cmp_gt_i16_sdwa s[6:7], v14, s4 src0_sel:BYTE_3 src1_sel:DWORD
	s_mov_b64 s[4:5], 0
                                        ; implicit-def: $sgpr10
	s_and_saveexec_b64 s[8:9], s[6:7]
	s_xor_b64 s[6:7], exec, s[8:9]
	s_cbranch_execnz .LBB15_2329
; %bb.281:
	s_or_saveexec_b64 s[6:7], s[6:7]
	v_mov_b32_e32 v20, s10
	s_xor_b64 exec, exec, s[6:7]
	s_cbranch_execnz .LBB15_2332
.LBB15_282:
	s_or_b64 exec, exec, s[6:7]
	s_and_saveexec_b64 s[6:7], s[4:5]
	s_cbranch_execz .LBB15_284
.LBB15_283:
	v_bfe_u32 v20, v14, 24, 3
	v_ffbh_u32_e32 v24, v20
	v_min_u32_e32 v24, 32, v24
	v_lshrrev_b32_e32 v22, 27, v14
	v_subrev_u32_e32 v25, 28, v24
	v_and_b32_e32 v21, 0x80000000, v14
	v_and_b32_e32 v22, 15, v22
	v_bfe_u32 v23, v14, 27, 4
	v_lshlrev_b32_sdwa v14, v25, v14 dst_sel:DWORD dst_unused:UNUSED_PAD src0_sel:DWORD src1_sel:BYTE_3
	v_sub_u32_e32 v24, 29, v24
	v_and_b32_e32 v14, 7, v14
	v_cmp_eq_u16_e32 vcc, 0, v22
	v_cndmask_b32_e32 v14, v20, v14, vcc
	v_cndmask_b32_e32 v20, v23, v24, vcc
	v_mov_b32_e32 v22, 0x3b800000
	v_lshlrev_b32_e32 v14, 20, v14
	v_lshl_add_u32 v20, v20, 23, v22
	v_or3_b32 v20, v21, v20, v14
.LBB15_284:
	s_or_b64 exec, exec, s[6:7]
	s_movk_i32 s4, 0x7f
	v_cmp_gt_i16_sdwa s[6:7], v10, s4 src0_sel:BYTE_3 src1_sel:DWORD
	s_mov_b64 s[4:5], 0
                                        ; implicit-def: $sgpr10
	s_and_saveexec_b64 s[8:9], s[6:7]
	s_xor_b64 s[6:7], exec, s[8:9]
	s_cbranch_execnz .LBB15_2333
; %bb.285:
	s_or_saveexec_b64 s[6:7], s[6:7]
	v_mov_b32_e32 v14, s10
	s_xor_b64 exec, exec, s[6:7]
	s_cbranch_execnz .LBB15_2336
.LBB15_286:
	s_or_b64 exec, exec, s[6:7]
	s_and_saveexec_b64 s[6:7], s[4:5]
	s_cbranch_execz .LBB15_288
.LBB15_287:
	v_bfe_u32 v14, v10, 24, 3
	v_ffbh_u32_e32 v24, v14
	v_min_u32_e32 v24, 32, v24
	v_lshrrev_b32_e32 v22, 27, v10
	v_subrev_u32_e32 v25, 28, v24
	v_and_b32_e32 v21, 0x80000000, v10
	v_and_b32_e32 v22, 15, v22
	v_bfe_u32 v23, v10, 27, 4
	v_lshlrev_b32_sdwa v10, v25, v10 dst_sel:DWORD dst_unused:UNUSED_PAD src0_sel:DWORD src1_sel:BYTE_3
	v_sub_u32_e32 v24, 29, v24
	v_and_b32_e32 v10, 7, v10
	v_cmp_eq_u16_e32 vcc, 0, v22
	v_cndmask_b32_e32 v10, v14, v10, vcc
	v_cndmask_b32_e32 v14, v23, v24, vcc
	v_mov_b32_e32 v22, 0x3b800000
	v_lshlrev_b32_e32 v10, 20, v10
	v_lshl_add_u32 v14, v14, 23, v22
	v_or3_b32 v14, v21, v14, v10
.LBB15_288:
	s_or_b64 exec, exec, s[6:7]
	s_nop 0
	v_mfma_f32_16x16x4f32 a[0:3], v20, v14, a[0:3]
	s_movk_i32 s4, 0x7f
	v_cmp_gt_i16_sdwa s[6:7], v15, s4 src0_sel:BYTE_0 src1_sel:DWORD
	s_mov_b64 s[4:5], 0
                                        ; implicit-def: $sgpr10
	s_and_saveexec_b64 s[8:9], s[6:7]
	s_xor_b64 s[6:7], exec, s[8:9]
	s_cbranch_execnz .LBB15_2337
; %bb.289:
	s_or_saveexec_b64 s[6:7], s[6:7]
	v_mov_b32_e32 v10, s10
	s_xor_b64 exec, exec, s[6:7]
	s_cbranch_execnz .LBB15_2340
.LBB15_290:
	s_or_b64 exec, exec, s[6:7]
	s_and_saveexec_b64 s[6:7], s[4:5]
	s_cbranch_execz .LBB15_292
.LBB15_291:
	v_and_b32_e32 v10, 7, v15
	v_ffbh_u32_e32 v20, v10
	v_min_u32_e32 v20, 32, v20
	v_lshrrev_b16_e32 v14, 3, v15
	v_subrev_u32_e32 v21, 28, v20
	v_and_b32_e32 v14, 15, v14
	v_lshlrev_b32_e32 v21, v21, v15
	v_sub_u32_e32 v20, 29, v20
	v_and_b32_e32 v21, 7, v21
	v_cmp_eq_u16_e32 vcc, 0, v14
	v_cndmask_b32_e32 v10, v10, v21, vcc
	v_cndmask_b32_e32 v14, v14, v20, vcc
	v_lshlrev_b32_e32 v20, 24, v15
	v_mov_b32_e32 v21, 0x3b800000
	v_lshlrev_b32_e32 v10, 20, v10
	v_and_b32_e32 v20, 0x80000000, v20
	v_lshl_add_u32 v14, v14, 23, v21
	v_or3_b32 v10, v20, v14, v10
.LBB15_292:
	s_or_b64 exec, exec, s[6:7]
	s_movk_i32 s4, 0x7f
	v_cmp_gt_i16_sdwa s[6:7], v11, s4 src0_sel:BYTE_0 src1_sel:DWORD
	s_mov_b64 s[4:5], 0
                                        ; implicit-def: $sgpr10
	s_and_saveexec_b64 s[8:9], s[6:7]
	s_xor_b64 s[6:7], exec, s[8:9]
	s_cbranch_execnz .LBB15_2341
; %bb.293:
	s_or_saveexec_b64 s[6:7], s[6:7]
	v_mov_b32_e32 v14, s10
	s_xor_b64 exec, exec, s[6:7]
	s_cbranch_execnz .LBB15_2344
.LBB15_294:
	s_or_b64 exec, exec, s[6:7]
	s_and_saveexec_b64 s[6:7], s[4:5]
	s_cbranch_execz .LBB15_296
.LBB15_295:
	v_and_b32_e32 v14, 7, v11
	v_ffbh_u32_e32 v21, v14
	v_min_u32_e32 v21, 32, v21
	v_lshrrev_b16_e32 v20, 3, v11
	v_subrev_u32_e32 v22, 28, v21
	v_and_b32_e32 v20, 15, v20
	v_lshlrev_b32_e32 v22, v22, v11
	v_sub_u32_e32 v21, 29, v21
	v_and_b32_e32 v22, 7, v22
	v_cmp_eq_u16_e32 vcc, 0, v20
	v_cndmask_b32_e32 v14, v14, v22, vcc
	v_cndmask_b32_e32 v20, v20, v21, vcc
	v_lshlrev_b32_e32 v21, 24, v11
	v_mov_b32_e32 v22, 0x3b800000
	v_lshlrev_b32_e32 v14, 20, v14
	v_and_b32_e32 v21, 0x80000000, v21
	v_lshl_add_u32 v20, v20, 23, v22
	v_or3_b32 v14, v21, v20, v14
.LBB15_296:
	s_or_b64 exec, exec, s[6:7]
	s_nop 0
	v_mfma_f32_16x16x4f32 a[0:3], v10, v14, a[0:3]
	v_lshrrev_b32_e32 v14, 8, v15
	s_movk_i32 s4, 0x7f
	v_cmp_gt_i16_sdwa s[6:7], v14, s4 src0_sel:BYTE_0 src1_sel:DWORD
	s_mov_b64 s[4:5], 0
                                        ; implicit-def: $sgpr10
	s_and_saveexec_b64 s[8:9], s[6:7]
	s_xor_b64 s[6:7], exec, s[8:9]
	s_cbranch_execnz .LBB15_2345
; %bb.297:
	s_or_saveexec_b64 s[6:7], s[6:7]
	v_mov_b32_e32 v10, s10
	s_xor_b64 exec, exec, s[6:7]
	s_cbranch_execnz .LBB15_2348
.LBB15_298:
	s_or_b64 exec, exec, s[6:7]
	s_and_saveexec_b64 s[6:7], s[4:5]
	s_cbranch_execz .LBB15_300
.LBB15_299:
	v_bfe_u32 v10, v15, 8, 3
	v_ffbh_u32_e32 v21, v10
	v_min_u32_e32 v21, 32, v21
	v_lshrrev_b16_e32 v20, 3, v14
	v_subrev_u32_e32 v22, 28, v21
	v_and_b32_e32 v20, 15, v20
	v_lshlrev_b32_e32 v14, v22, v14
	v_sub_u32_e32 v21, 29, v21
	v_and_b32_e32 v14, 7, v14
	v_cmp_eq_u16_e32 vcc, 0, v20
	v_cndmask_b32_e32 v10, v10, v14, vcc
	v_cndmask_b32_e32 v14, v20, v21, vcc
	v_lshlrev_b32_e32 v20, 16, v15
	v_mov_b32_e32 v21, 0x3b800000
	v_lshlrev_b32_e32 v10, 20, v10
	v_and_b32_e32 v20, 0x80000000, v20
	v_lshl_add_u32 v14, v14, 23, v21
	v_or3_b32 v10, v20, v14, v10
.LBB15_300:
	s_or_b64 exec, exec, s[6:7]
	v_lshrrev_b32_e32 v14, 8, v11
	s_movk_i32 s4, 0x7f
	v_cmp_gt_i16_sdwa s[6:7], v14, s4 src0_sel:BYTE_0 src1_sel:DWORD
	s_mov_b64 s[4:5], 0
                                        ; implicit-def: $sgpr10
	s_and_saveexec_b64 s[8:9], s[6:7]
	s_xor_b64 s[6:7], exec, s[8:9]
	s_cbranch_execnz .LBB15_2349
; %bb.301:
	s_or_saveexec_b64 s[6:7], s[6:7]
	v_mov_b32_e32 v20, s10
	s_xor_b64 exec, exec, s[6:7]
	s_cbranch_execnz .LBB15_2352
.LBB15_302:
	s_or_b64 exec, exec, s[6:7]
	s_and_saveexec_b64 s[6:7], s[4:5]
	s_cbranch_execz .LBB15_304
.LBB15_303:
	v_bfe_u32 v20, v11, 8, 3
	v_ffbh_u32_e32 v22, v20
	v_min_u32_e32 v22, 32, v22
	v_lshrrev_b16_e32 v21, 3, v14
	v_subrev_u32_e32 v23, 28, v22
	v_and_b32_e32 v21, 15, v21
	v_lshlrev_b32_e32 v14, v23, v14
	v_sub_u32_e32 v22, 29, v22
	v_and_b32_e32 v14, 7, v14
	v_cmp_eq_u16_e32 vcc, 0, v21
	v_cndmask_b32_e32 v14, v20, v14, vcc
	v_cndmask_b32_e32 v20, v21, v22, vcc
	v_lshlrev_b32_e32 v21, 16, v11
	v_mov_b32_e32 v22, 0x3b800000
	v_lshlrev_b32_e32 v14, 20, v14
	v_and_b32_e32 v21, 0x80000000, v21
	v_lshl_add_u32 v20, v20, 23, v22
	v_or3_b32 v20, v21, v20, v14
.LBB15_304:
	s_or_b64 exec, exec, s[6:7]
	s_nop 0
	v_mfma_f32_16x16x4f32 a[0:3], v10, v20, a[0:3]
	s_movk_i32 s4, 0xff
	v_and_b32_sdwa v14, v15, s4 dst_sel:DWORD dst_unused:UNUSED_PAD src0_sel:WORD_1 src1_sel:DWORD
	s_movk_i32 s4, 0x7f
	v_cmp_lt_i16_e32 vcc, s4, v14
	s_mov_b64 s[4:5], 0
                                        ; implicit-def: $sgpr10
	s_and_saveexec_b64 s[6:7], vcc
	s_xor_b64 s[6:7], exec, s[6:7]
	s_cbranch_execnz .LBB15_2353
; %bb.305:
	s_or_saveexec_b64 s[6:7], s[6:7]
	v_mov_b32_e32 v10, s10
	s_xor_b64 exec, exec, s[6:7]
	s_cbranch_execnz .LBB15_2356
.LBB15_306:
	s_or_b64 exec, exec, s[6:7]
	s_and_saveexec_b64 s[6:7], s[4:5]
	s_cbranch_execz .LBB15_308
.LBB15_307:
	v_bfe_u32 v10, v15, 16, 3
	v_ffbh_u32_e32 v21, v10
	v_min_u32_e32 v21, 32, v21
	v_lshrrev_b32_e32 v14, 19, v15
	v_subrev_u32_e32 v22, 28, v21
	v_and_b32_e32 v14, 15, v14
	v_lshlrev_b32_sdwa v22, v22, v15 dst_sel:DWORD dst_unused:UNUSED_PAD src0_sel:DWORD src1_sel:WORD_1
	v_bfe_u32 v20, v15, 19, 4
	v_sub_u32_e32 v21, 29, v21
	v_and_b32_e32 v22, 7, v22
	v_cmp_eq_u16_e32 vcc, 0, v14
	v_cndmask_b32_e32 v10, v10, v22, vcc
	v_cndmask_b32_e32 v14, v20, v21, vcc
	v_lshlrev_b32_e32 v20, 8, v15
	v_mov_b32_e32 v21, 0x3b800000
	v_lshlrev_b32_e32 v10, 20, v10
	v_and_b32_e32 v20, 0x80000000, v20
	v_lshl_add_u32 v14, v14, 23, v21
	v_or3_b32 v10, v20, v14, v10
.LBB15_308:
	s_or_b64 exec, exec, s[6:7]
	s_movk_i32 s4, 0xff
	v_and_b32_sdwa v14, v11, s4 dst_sel:DWORD dst_unused:UNUSED_PAD src0_sel:WORD_1 src1_sel:DWORD
	s_movk_i32 s4, 0x7f
	v_cmp_lt_i16_e32 vcc, s4, v14
	s_mov_b64 s[4:5], 0
                                        ; implicit-def: $sgpr10
	s_and_saveexec_b64 s[6:7], vcc
	s_xor_b64 s[6:7], exec, s[6:7]
	s_cbranch_execnz .LBB15_2357
; %bb.309:
	s_or_saveexec_b64 s[6:7], s[6:7]
	v_mov_b32_e32 v20, s10
	s_xor_b64 exec, exec, s[6:7]
	s_cbranch_execnz .LBB15_2360
.LBB15_310:
	s_or_b64 exec, exec, s[6:7]
	s_and_saveexec_b64 s[6:7], s[4:5]
	s_cbranch_execz .LBB15_312
.LBB15_311:
	v_bfe_u32 v14, v11, 16, 3
	v_ffbh_u32_e32 v22, v14
	v_min_u32_e32 v22, 32, v22
	v_lshrrev_b32_e32 v20, 19, v11
	v_subrev_u32_e32 v23, 28, v22
	v_and_b32_e32 v20, 15, v20
	v_lshlrev_b32_sdwa v23, v23, v11 dst_sel:DWORD dst_unused:UNUSED_PAD src0_sel:DWORD src1_sel:WORD_1
	v_bfe_u32 v21, v11, 19, 4
	v_sub_u32_e32 v22, 29, v22
	v_and_b32_e32 v23, 7, v23
	v_cmp_eq_u16_e32 vcc, 0, v20
	v_cndmask_b32_e32 v14, v14, v23, vcc
	v_cndmask_b32_e32 v20, v21, v22, vcc
	v_lshlrev_b32_e32 v21, 8, v11
	v_mov_b32_e32 v22, 0x3b800000
	v_lshlrev_b32_e32 v14, 20, v14
	v_and_b32_e32 v21, 0x80000000, v21
	v_lshl_add_u32 v20, v20, 23, v22
	v_or3_b32 v20, v21, v20, v14
.LBB15_312:
	s_or_b64 exec, exec, s[6:7]
	s_nop 0
	v_mfma_f32_16x16x4f32 a[0:3], v10, v20, a[0:3]
	s_movk_i32 s4, 0x7f
	v_cmp_gt_i16_sdwa s[6:7], v15, s4 src0_sel:BYTE_3 src1_sel:DWORD
	s_mov_b64 s[4:5], 0
                                        ; implicit-def: $sgpr10
	s_and_saveexec_b64 s[8:9], s[6:7]
	s_xor_b64 s[6:7], exec, s[8:9]
	s_cbranch_execnz .LBB15_2361
; %bb.313:
	s_or_saveexec_b64 s[6:7], s[6:7]
	v_mov_b32_e32 v10, s10
	s_xor_b64 exec, exec, s[6:7]
	s_cbranch_execnz .LBB15_2364
.LBB15_314:
	s_or_b64 exec, exec, s[6:7]
	s_and_saveexec_b64 s[6:7], s[4:5]
	s_cbranch_execz .LBB15_316
.LBB15_315:
	v_bfe_u32 v10, v15, 24, 3
	v_ffbh_u32_e32 v22, v10
	v_min_u32_e32 v22, 32, v22
	v_lshrrev_b32_e32 v20, 27, v15
	v_subrev_u32_e32 v23, 28, v22
	v_and_b32_e32 v14, 0x80000000, v15
	v_and_b32_e32 v20, 15, v20
	v_bfe_u32 v21, v15, 27, 4
	v_lshlrev_b32_sdwa v15, v23, v15 dst_sel:DWORD dst_unused:UNUSED_PAD src0_sel:DWORD src1_sel:BYTE_3
	v_sub_u32_e32 v22, 29, v22
	v_and_b32_e32 v15, 7, v15
	v_cmp_eq_u16_e32 vcc, 0, v20
	v_cndmask_b32_e32 v10, v10, v15, vcc
	v_cndmask_b32_e32 v15, v21, v22, vcc
	v_mov_b32_e32 v20, 0x3b800000
	v_lshlrev_b32_e32 v10, 20, v10
	v_lshl_add_u32 v15, v15, 23, v20
	v_or3_b32 v10, v14, v15, v10
.LBB15_316:
	s_or_b64 exec, exec, s[6:7]
	s_movk_i32 s4, 0x7f
	v_cmp_gt_i16_sdwa s[6:7], v11, s4 src0_sel:BYTE_3 src1_sel:DWORD
	s_mov_b64 s[4:5], 0
                                        ; implicit-def: $sgpr10
	s_and_saveexec_b64 s[8:9], s[6:7]
	s_xor_b64 s[6:7], exec, s[8:9]
	s_cbranch_execnz .LBB15_2365
; %bb.317:
	s_or_saveexec_b64 s[6:7], s[6:7]
	v_mov_b32_e32 v14, s10
	s_xor_b64 exec, exec, s[6:7]
	s_cbranch_execnz .LBB15_2368
.LBB15_318:
	s_or_b64 exec, exec, s[6:7]
	s_and_saveexec_b64 s[6:7], s[4:5]
	s_cbranch_execz .LBB15_320
.LBB15_319:
	v_bfe_u32 v14, v11, 24, 3
	v_ffbh_u32_e32 v22, v14
	v_min_u32_e32 v22, 32, v22
	v_lshrrev_b32_e32 v20, 27, v11
	v_subrev_u32_e32 v23, 28, v22
	v_and_b32_e32 v15, 0x80000000, v11
	v_and_b32_e32 v20, 15, v20
	v_bfe_u32 v21, v11, 27, 4
	v_lshlrev_b32_sdwa v11, v23, v11 dst_sel:DWORD dst_unused:UNUSED_PAD src0_sel:DWORD src1_sel:BYTE_3
	v_sub_u32_e32 v22, 29, v22
	v_and_b32_e32 v11, 7, v11
	v_cmp_eq_u16_e32 vcc, 0, v20
	v_cndmask_b32_e32 v11, v14, v11, vcc
	v_cndmask_b32_e32 v14, v21, v22, vcc
	v_mov_b32_e32 v20, 0x3b800000
	v_lshlrev_b32_e32 v11, 20, v11
	v_lshl_add_u32 v14, v14, 23, v20
	v_or3_b32 v14, v15, v14, v11
.LBB15_320:
	s_or_b64 exec, exec, s[6:7]
	s_nop 0
	v_mfma_f32_16x16x4f32 a[0:3], v10, v14, a[0:3]
	s_movk_i32 s4, 0x7f
	v_cmp_gt_i16_sdwa s[6:7], v16, s4 src0_sel:BYTE_0 src1_sel:DWORD
	s_mov_b64 s[4:5], 0
                                        ; implicit-def: $sgpr10
	s_and_saveexec_b64 s[8:9], s[6:7]
	s_xor_b64 s[6:7], exec, s[8:9]
	s_cbranch_execnz .LBB15_2369
; %bb.321:
	s_or_saveexec_b64 s[6:7], s[6:7]
	v_mov_b32_e32 v10, s10
	s_xor_b64 exec, exec, s[6:7]
	s_cbranch_execnz .LBB15_2372
.LBB15_322:
	s_or_b64 exec, exec, s[6:7]
	s_and_saveexec_b64 s[6:7], s[4:5]
	s_cbranch_execz .LBB15_324
.LBB15_323:
	v_and_b32_e32 v10, 7, v16
	v_ffbh_u32_e32 v14, v10
	v_min_u32_e32 v14, 32, v14
	v_lshrrev_b16_e32 v11, 3, v16
	v_subrev_u32_e32 v15, 28, v14
	v_and_b32_e32 v11, 15, v11
	v_lshlrev_b32_e32 v15, v15, v16
	v_sub_u32_e32 v14, 29, v14
	v_and_b32_e32 v15, 7, v15
	v_cmp_eq_u16_e32 vcc, 0, v11
	v_cndmask_b32_e32 v10, v10, v15, vcc
	v_cndmask_b32_e32 v11, v11, v14, vcc
	v_lshlrev_b32_e32 v14, 24, v16
	v_mov_b32_e32 v15, 0x3b800000
	v_lshlrev_b32_e32 v10, 20, v10
	v_and_b32_e32 v14, 0x80000000, v14
	v_lshl_add_u32 v11, v11, 23, v15
	v_or3_b32 v10, v14, v11, v10
.LBB15_324:
	s_or_b64 exec, exec, s[6:7]
	s_movk_i32 s4, 0x7f
	v_cmp_gt_i16_sdwa s[6:7], v12, s4 src0_sel:BYTE_0 src1_sel:DWORD
	s_mov_b64 s[4:5], 0
                                        ; implicit-def: $sgpr10
	s_and_saveexec_b64 s[8:9], s[6:7]
	s_xor_b64 s[6:7], exec, s[8:9]
	s_cbranch_execnz .LBB15_2373
; %bb.325:
	s_or_saveexec_b64 s[6:7], s[6:7]
	v_mov_b32_e32 v11, s10
	s_xor_b64 exec, exec, s[6:7]
	s_cbranch_execnz .LBB15_2376
.LBB15_326:
	s_or_b64 exec, exec, s[6:7]
	s_and_saveexec_b64 s[6:7], s[4:5]
	s_cbranch_execz .LBB15_328
.LBB15_327:
	v_and_b32_e32 v11, 7, v12
	v_ffbh_u32_e32 v15, v11
	v_min_u32_e32 v15, 32, v15
	v_lshrrev_b16_e32 v14, 3, v12
	v_subrev_u32_e32 v20, 28, v15
	v_and_b32_e32 v14, 15, v14
	v_lshlrev_b32_e32 v20, v20, v12
	v_sub_u32_e32 v15, 29, v15
	v_and_b32_e32 v20, 7, v20
	v_cmp_eq_u16_e32 vcc, 0, v14
	v_cndmask_b32_e32 v11, v11, v20, vcc
	v_cndmask_b32_e32 v14, v14, v15, vcc
	v_lshlrev_b32_e32 v15, 24, v12
	v_mov_b32_e32 v20, 0x3b800000
	v_lshlrev_b32_e32 v11, 20, v11
	v_and_b32_e32 v15, 0x80000000, v15
	v_lshl_add_u32 v14, v14, 23, v20
	v_or3_b32 v11, v15, v14, v11
.LBB15_328:
	s_or_b64 exec, exec, s[6:7]
	s_nop 0
	v_mfma_f32_16x16x4f32 a[0:3], v10, v11, a[0:3]
	v_lshrrev_b32_e32 v11, 8, v16
	s_movk_i32 s4, 0x7f
	v_cmp_gt_i16_sdwa s[6:7], v11, s4 src0_sel:BYTE_0 src1_sel:DWORD
	s_mov_b64 s[4:5], 0
                                        ; implicit-def: $sgpr10
	s_and_saveexec_b64 s[8:9], s[6:7]
	s_xor_b64 s[6:7], exec, s[8:9]
	s_cbranch_execnz .LBB15_2377
; %bb.329:
	s_or_saveexec_b64 s[6:7], s[6:7]
	v_mov_b32_e32 v10, s10
	s_xor_b64 exec, exec, s[6:7]
	s_cbranch_execnz .LBB15_2380
.LBB15_330:
	s_or_b64 exec, exec, s[6:7]
	s_and_saveexec_b64 s[6:7], s[4:5]
	s_cbranch_execz .LBB15_332
.LBB15_331:
	v_bfe_u32 v10, v16, 8, 3
	v_ffbh_u32_e32 v15, v10
	v_min_u32_e32 v15, 32, v15
	v_lshrrev_b16_e32 v14, 3, v11
	v_subrev_u32_e32 v20, 28, v15
	v_and_b32_e32 v14, 15, v14
	v_lshlrev_b32_e32 v11, v20, v11
	v_sub_u32_e32 v15, 29, v15
	v_and_b32_e32 v11, 7, v11
	v_cmp_eq_u16_e32 vcc, 0, v14
	v_cndmask_b32_e32 v10, v10, v11, vcc
	v_cndmask_b32_e32 v11, v14, v15, vcc
	v_lshlrev_b32_e32 v14, 16, v16
	v_mov_b32_e32 v15, 0x3b800000
	v_lshlrev_b32_e32 v10, 20, v10
	v_and_b32_e32 v14, 0x80000000, v14
	v_lshl_add_u32 v11, v11, 23, v15
	v_or3_b32 v10, v14, v11, v10
.LBB15_332:
	s_or_b64 exec, exec, s[6:7]
	v_lshrrev_b32_e32 v11, 8, v12
	s_movk_i32 s4, 0x7f
	v_cmp_gt_i16_sdwa s[6:7], v11, s4 src0_sel:BYTE_0 src1_sel:DWORD
	s_mov_b64 s[4:5], 0
                                        ; implicit-def: $sgpr10
	s_and_saveexec_b64 s[8:9], s[6:7]
	s_xor_b64 s[6:7], exec, s[8:9]
	s_cbranch_execnz .LBB15_2381
; %bb.333:
	s_or_saveexec_b64 s[6:7], s[6:7]
	v_mov_b32_e32 v14, s10
	s_xor_b64 exec, exec, s[6:7]
	s_cbranch_execnz .LBB15_2384
.LBB15_334:
	s_or_b64 exec, exec, s[6:7]
	s_and_saveexec_b64 s[6:7], s[4:5]
	s_cbranch_execz .LBB15_336
.LBB15_335:
	v_bfe_u32 v14, v12, 8, 3
	v_ffbh_u32_e32 v20, v14
	v_min_u32_e32 v20, 32, v20
	v_lshrrev_b16_e32 v15, 3, v11
	v_subrev_u32_e32 v21, 28, v20
	v_and_b32_e32 v15, 15, v15
	v_lshlrev_b32_e32 v11, v21, v11
	v_sub_u32_e32 v20, 29, v20
	v_and_b32_e32 v11, 7, v11
	v_cmp_eq_u16_e32 vcc, 0, v15
	v_cndmask_b32_e32 v11, v14, v11, vcc
	v_cndmask_b32_e32 v14, v15, v20, vcc
	v_lshlrev_b32_e32 v15, 16, v12
	v_mov_b32_e32 v20, 0x3b800000
	v_lshlrev_b32_e32 v11, 20, v11
	v_and_b32_e32 v15, 0x80000000, v15
	v_lshl_add_u32 v14, v14, 23, v20
	v_or3_b32 v14, v15, v14, v11
.LBB15_336:
	s_or_b64 exec, exec, s[6:7]
	s_nop 0
	v_mfma_f32_16x16x4f32 a[0:3], v10, v14, a[0:3]
	s_movk_i32 s4, 0xff
	v_and_b32_sdwa v11, v16, s4 dst_sel:DWORD dst_unused:UNUSED_PAD src0_sel:WORD_1 src1_sel:DWORD
	s_movk_i32 s4, 0x7f
	v_cmp_lt_i16_e32 vcc, s4, v11
	s_mov_b64 s[4:5], 0
                                        ; implicit-def: $sgpr10
	s_and_saveexec_b64 s[6:7], vcc
	s_xor_b64 s[6:7], exec, s[6:7]
	s_cbranch_execnz .LBB15_2385
; %bb.337:
	s_or_saveexec_b64 s[6:7], s[6:7]
	v_mov_b32_e32 v10, s10
	s_xor_b64 exec, exec, s[6:7]
	s_cbranch_execnz .LBB15_2388
.LBB15_338:
	s_or_b64 exec, exec, s[6:7]
	s_and_saveexec_b64 s[6:7], s[4:5]
	s_cbranch_execz .LBB15_340
.LBB15_339:
	v_bfe_u32 v10, v16, 16, 3
	v_ffbh_u32_e32 v15, v10
	v_min_u32_e32 v15, 32, v15
	v_lshrrev_b32_e32 v11, 19, v16
	v_subrev_u32_e32 v20, 28, v15
	v_and_b32_e32 v11, 15, v11
	v_lshlrev_b32_sdwa v20, v20, v16 dst_sel:DWORD dst_unused:UNUSED_PAD src0_sel:DWORD src1_sel:WORD_1
	v_bfe_u32 v14, v16, 19, 4
	v_sub_u32_e32 v15, 29, v15
	v_and_b32_e32 v20, 7, v20
	v_cmp_eq_u16_e32 vcc, 0, v11
	v_cndmask_b32_e32 v10, v10, v20, vcc
	v_cndmask_b32_e32 v11, v14, v15, vcc
	v_lshlrev_b32_e32 v14, 8, v16
	v_mov_b32_e32 v15, 0x3b800000
	v_lshlrev_b32_e32 v10, 20, v10
	v_and_b32_e32 v14, 0x80000000, v14
	v_lshl_add_u32 v11, v11, 23, v15
	v_or3_b32 v10, v14, v11, v10
.LBB15_340:
	s_or_b64 exec, exec, s[6:7]
	s_movk_i32 s4, 0xff
	v_and_b32_sdwa v11, v12, s4 dst_sel:DWORD dst_unused:UNUSED_PAD src0_sel:WORD_1 src1_sel:DWORD
	s_movk_i32 s4, 0x7f
	v_cmp_lt_i16_e32 vcc, s4, v11
	s_mov_b64 s[4:5], 0
                                        ; implicit-def: $sgpr10
	s_and_saveexec_b64 s[6:7], vcc
	s_xor_b64 s[6:7], exec, s[6:7]
	s_cbranch_execnz .LBB15_2389
; %bb.341:
	s_or_saveexec_b64 s[6:7], s[6:7]
	v_mov_b32_e32 v14, s10
	s_xor_b64 exec, exec, s[6:7]
	s_cbranch_execnz .LBB15_2392
.LBB15_342:
	s_or_b64 exec, exec, s[6:7]
	s_and_saveexec_b64 s[6:7], s[4:5]
	s_cbranch_execz .LBB15_344
.LBB15_343:
	v_bfe_u32 v11, v12, 16, 3
	v_ffbh_u32_e32 v20, v11
	v_min_u32_e32 v20, 32, v20
	v_lshrrev_b32_e32 v14, 19, v12
	v_subrev_u32_e32 v21, 28, v20
	v_and_b32_e32 v14, 15, v14
	v_lshlrev_b32_sdwa v21, v21, v12 dst_sel:DWORD dst_unused:UNUSED_PAD src0_sel:DWORD src1_sel:WORD_1
	v_bfe_u32 v15, v12, 19, 4
	v_sub_u32_e32 v20, 29, v20
	v_and_b32_e32 v21, 7, v21
	v_cmp_eq_u16_e32 vcc, 0, v14
	v_cndmask_b32_e32 v11, v11, v21, vcc
	v_cndmask_b32_e32 v14, v15, v20, vcc
	v_lshlrev_b32_e32 v15, 8, v12
	v_mov_b32_e32 v20, 0x3b800000
	v_lshlrev_b32_e32 v11, 20, v11
	v_and_b32_e32 v15, 0x80000000, v15
	v_lshl_add_u32 v14, v14, 23, v20
	v_or3_b32 v14, v15, v14, v11
.LBB15_344:
	s_or_b64 exec, exec, s[6:7]
	s_nop 0
	v_mfma_f32_16x16x4f32 a[0:3], v10, v14, a[0:3]
	s_movk_i32 s4, 0x7f
	v_cmp_gt_i16_sdwa s[6:7], v16, s4 src0_sel:BYTE_3 src1_sel:DWORD
	s_mov_b64 s[4:5], 0
                                        ; implicit-def: $sgpr10
	s_and_saveexec_b64 s[8:9], s[6:7]
	s_xor_b64 s[6:7], exec, s[8:9]
	s_cbranch_execnz .LBB15_2393
; %bb.345:
	s_or_saveexec_b64 s[6:7], s[6:7]
	v_mov_b32_e32 v10, s10
	s_xor_b64 exec, exec, s[6:7]
	s_cbranch_execnz .LBB15_2396
.LBB15_346:
	s_or_b64 exec, exec, s[6:7]
	s_and_saveexec_b64 s[6:7], s[4:5]
	s_cbranch_execz .LBB15_348
.LBB15_347:
	v_bfe_u32 v10, v16, 24, 3
	v_ffbh_u32_e32 v20, v10
	v_min_u32_e32 v20, 32, v20
	v_lshrrev_b32_e32 v14, 27, v16
	v_subrev_u32_e32 v21, 28, v20
	v_and_b32_e32 v11, 0x80000000, v16
	v_and_b32_e32 v14, 15, v14
	v_bfe_u32 v15, v16, 27, 4
	v_lshlrev_b32_sdwa v16, v21, v16 dst_sel:DWORD dst_unused:UNUSED_PAD src0_sel:DWORD src1_sel:BYTE_3
	v_sub_u32_e32 v20, 29, v20
	v_and_b32_e32 v16, 7, v16
	v_cmp_eq_u16_e32 vcc, 0, v14
	v_cndmask_b32_e32 v10, v10, v16, vcc
	v_cndmask_b32_e32 v14, v15, v20, vcc
	v_mov_b32_e32 v15, 0x3b800000
	v_lshlrev_b32_e32 v10, 20, v10
	v_lshl_add_u32 v14, v14, 23, v15
	v_or3_b32 v10, v11, v14, v10
.LBB15_348:
	s_or_b64 exec, exec, s[6:7]
	s_movk_i32 s4, 0x7f
	v_cmp_gt_i16_sdwa s[6:7], v12, s4 src0_sel:BYTE_3 src1_sel:DWORD
	s_mov_b64 s[4:5], 0
                                        ; implicit-def: $sgpr10
	s_and_saveexec_b64 s[8:9], s[6:7]
	s_xor_b64 s[6:7], exec, s[8:9]
	s_cbranch_execnz .LBB15_2397
; %bb.349:
	s_or_saveexec_b64 s[6:7], s[6:7]
	v_mov_b32_e32 v11, s10
	s_xor_b64 exec, exec, s[6:7]
	s_cbranch_execnz .LBB15_2400
.LBB15_350:
	s_or_b64 exec, exec, s[6:7]
	s_and_saveexec_b64 s[6:7], s[4:5]
	s_cbranch_execz .LBB15_352
.LBB15_351:
	v_bfe_u32 v11, v12, 24, 3
	v_ffbh_u32_e32 v20, v11
	v_min_u32_e32 v20, 32, v20
	v_lshrrev_b32_e32 v15, 27, v12
	v_subrev_u32_e32 v21, 28, v20
	v_and_b32_e32 v14, 0x80000000, v12
	v_and_b32_e32 v15, 15, v15
	v_bfe_u32 v16, v12, 27, 4
	v_lshlrev_b32_sdwa v12, v21, v12 dst_sel:DWORD dst_unused:UNUSED_PAD src0_sel:DWORD src1_sel:BYTE_3
	v_sub_u32_e32 v20, 29, v20
	v_and_b32_e32 v12, 7, v12
	v_cmp_eq_u16_e32 vcc, 0, v15
	v_cndmask_b32_e32 v11, v11, v12, vcc
	v_cndmask_b32_e32 v12, v16, v20, vcc
	v_mov_b32_e32 v15, 0x3b800000
	v_lshlrev_b32_e32 v11, 20, v11
	v_lshl_add_u32 v12, v12, 23, v15
	v_or3_b32 v11, v14, v12, v11
.LBB15_352:
	s_or_b64 exec, exec, s[6:7]
	s_nop 0
	v_mfma_f32_16x16x4f32 a[0:3], v10, v11, a[0:3]
	s_movk_i32 s4, 0x7f
	v_cmp_gt_i16_sdwa s[6:7], v17, s4 src0_sel:BYTE_0 src1_sel:DWORD
	s_mov_b64 s[4:5], 0
                                        ; implicit-def: $sgpr10
	s_and_saveexec_b64 s[8:9], s[6:7]
	s_xor_b64 s[6:7], exec, s[8:9]
	s_cbranch_execnz .LBB15_2401
; %bb.353:
	s_or_saveexec_b64 s[6:7], s[6:7]
	v_mov_b32_e32 v10, s10
	s_xor_b64 exec, exec, s[6:7]
	s_cbranch_execnz .LBB15_2404
.LBB15_354:
	s_or_b64 exec, exec, s[6:7]
	s_and_saveexec_b64 s[6:7], s[4:5]
	s_cbranch_execz .LBB15_356
.LBB15_355:
	v_and_b32_e32 v10, 7, v17
	v_ffbh_u32_e32 v12, v10
	v_min_u32_e32 v12, 32, v12
	v_lshrrev_b16_e32 v11, 3, v17
	v_subrev_u32_e32 v14, 28, v12
	v_and_b32_e32 v11, 15, v11
	v_lshlrev_b32_e32 v14, v14, v17
	v_sub_u32_e32 v12, 29, v12
	v_and_b32_e32 v14, 7, v14
	v_cmp_eq_u16_e32 vcc, 0, v11
	v_cndmask_b32_e32 v10, v10, v14, vcc
	v_cndmask_b32_e32 v11, v11, v12, vcc
	v_lshlrev_b32_e32 v12, 24, v17
	v_mov_b32_e32 v14, 0x3b800000
	v_lshlrev_b32_e32 v10, 20, v10
	v_and_b32_e32 v12, 0x80000000, v12
	v_lshl_add_u32 v11, v11, 23, v14
	v_or3_b32 v10, v12, v11, v10
.LBB15_356:
	s_or_b64 exec, exec, s[6:7]
	s_movk_i32 s4, 0x7f
	v_cmp_gt_i16_sdwa s[6:7], v13, s4 src0_sel:BYTE_0 src1_sel:DWORD
	s_mov_b64 s[4:5], 0
                                        ; implicit-def: $sgpr10
	s_and_saveexec_b64 s[8:9], s[6:7]
	s_xor_b64 s[6:7], exec, s[8:9]
	s_cbranch_execnz .LBB15_2405
; %bb.357:
	s_or_saveexec_b64 s[6:7], s[6:7]
	v_mov_b32_e32 v11, s10
	s_xor_b64 exec, exec, s[6:7]
	s_cbranch_execnz .LBB15_2408
.LBB15_358:
	s_or_b64 exec, exec, s[6:7]
	s_and_saveexec_b64 s[6:7], s[4:5]
	s_cbranch_execz .LBB15_360
.LBB15_359:
	v_and_b32_e32 v11, 7, v13
	v_ffbh_u32_e32 v14, v11
	v_min_u32_e32 v14, 32, v14
	v_lshrrev_b16_e32 v12, 3, v13
	v_subrev_u32_e32 v15, 28, v14
	v_and_b32_e32 v12, 15, v12
	v_lshlrev_b32_e32 v15, v15, v13
	v_sub_u32_e32 v14, 29, v14
	v_and_b32_e32 v15, 7, v15
	v_cmp_eq_u16_e32 vcc, 0, v12
	v_cndmask_b32_e32 v11, v11, v15, vcc
	v_cndmask_b32_e32 v12, v12, v14, vcc
	v_lshlrev_b32_e32 v14, 24, v13
	v_mov_b32_e32 v15, 0x3b800000
	v_lshlrev_b32_e32 v11, 20, v11
	v_and_b32_e32 v14, 0x80000000, v14
	v_lshl_add_u32 v12, v12, 23, v15
	v_or3_b32 v11, v14, v12, v11
.LBB15_360:
	s_or_b64 exec, exec, s[6:7]
	s_nop 0
	v_mfma_f32_16x16x4f32 a[0:3], v10, v11, a[0:3]
	v_lshrrev_b32_e32 v11, 8, v17
	s_movk_i32 s4, 0x7f
	v_cmp_gt_i16_sdwa s[6:7], v11, s4 src0_sel:BYTE_0 src1_sel:DWORD
	s_mov_b64 s[4:5], 0
                                        ; implicit-def: $sgpr10
	s_and_saveexec_b64 s[8:9], s[6:7]
	s_xor_b64 s[6:7], exec, s[8:9]
	s_cbranch_execnz .LBB15_2409
; %bb.361:
	s_or_saveexec_b64 s[6:7], s[6:7]
	v_mov_b32_e32 v10, s10
	s_xor_b64 exec, exec, s[6:7]
	s_cbranch_execnz .LBB15_2412
.LBB15_362:
	s_or_b64 exec, exec, s[6:7]
	s_and_saveexec_b64 s[6:7], s[4:5]
	s_cbranch_execz .LBB15_364
.LBB15_363:
	v_bfe_u32 v10, v17, 8, 3
	v_ffbh_u32_e32 v14, v10
	v_min_u32_e32 v14, 32, v14
	v_lshrrev_b16_e32 v12, 3, v11
	v_subrev_u32_e32 v15, 28, v14
	v_and_b32_e32 v12, 15, v12
	v_lshlrev_b32_e32 v11, v15, v11
	v_sub_u32_e32 v14, 29, v14
	v_and_b32_e32 v11, 7, v11
	v_cmp_eq_u16_e32 vcc, 0, v12
	v_cndmask_b32_e32 v10, v10, v11, vcc
	v_cndmask_b32_e32 v11, v12, v14, vcc
	v_lshlrev_b32_e32 v12, 16, v17
	v_mov_b32_e32 v14, 0x3b800000
	v_lshlrev_b32_e32 v10, 20, v10
	v_and_b32_e32 v12, 0x80000000, v12
	v_lshl_add_u32 v11, v11, 23, v14
	v_or3_b32 v10, v12, v11, v10
.LBB15_364:
	s_or_b64 exec, exec, s[6:7]
	v_lshrrev_b32_e32 v11, 8, v13
	s_movk_i32 s4, 0x7f
	v_cmp_gt_i16_sdwa s[6:7], v11, s4 src0_sel:BYTE_0 src1_sel:DWORD
	s_mov_b64 s[4:5], 0
                                        ; implicit-def: $sgpr10
	s_and_saveexec_b64 s[8:9], s[6:7]
	s_xor_b64 s[6:7], exec, s[8:9]
	s_cbranch_execnz .LBB15_2413
; %bb.365:
	s_or_saveexec_b64 s[6:7], s[6:7]
	v_mov_b32_e32 v12, s10
	s_xor_b64 exec, exec, s[6:7]
	s_cbranch_execnz .LBB15_2416
.LBB15_366:
	s_or_b64 exec, exec, s[6:7]
	s_and_saveexec_b64 s[6:7], s[4:5]
	s_cbranch_execz .LBB15_368
.LBB15_367:
	v_bfe_u32 v12, v13, 8, 3
	v_ffbh_u32_e32 v15, v12
	v_min_u32_e32 v15, 32, v15
	v_lshrrev_b16_e32 v14, 3, v11
	v_subrev_u32_e32 v16, 28, v15
	v_and_b32_e32 v14, 15, v14
	v_lshlrev_b32_e32 v11, v16, v11
	v_sub_u32_e32 v15, 29, v15
	v_and_b32_e32 v11, 7, v11
	v_cmp_eq_u16_e32 vcc, 0, v14
	v_cndmask_b32_e32 v11, v12, v11, vcc
	v_cndmask_b32_e32 v12, v14, v15, vcc
	v_lshlrev_b32_e32 v14, 16, v13
	v_mov_b32_e32 v15, 0x3b800000
	v_lshlrev_b32_e32 v11, 20, v11
	v_and_b32_e32 v14, 0x80000000, v14
	v_lshl_add_u32 v12, v12, 23, v15
	v_or3_b32 v12, v14, v12, v11
.LBB15_368:
	s_or_b64 exec, exec, s[6:7]
	s_nop 0
	v_mfma_f32_16x16x4f32 a[0:3], v10, v12, a[0:3]
	s_movk_i32 s4, 0xff
	v_and_b32_sdwa v11, v17, s4 dst_sel:DWORD dst_unused:UNUSED_PAD src0_sel:WORD_1 src1_sel:DWORD
	s_movk_i32 s4, 0x7f
	v_cmp_lt_i16_e32 vcc, s4, v11
	s_mov_b64 s[4:5], 0
                                        ; implicit-def: $sgpr10
	s_and_saveexec_b64 s[6:7], vcc
	s_xor_b64 s[6:7], exec, s[6:7]
	s_cbranch_execnz .LBB15_2417
; %bb.369:
	s_or_saveexec_b64 s[6:7], s[6:7]
	v_mov_b32_e32 v10, s10
	s_xor_b64 exec, exec, s[6:7]
	s_cbranch_execnz .LBB15_2420
.LBB15_370:
	s_or_b64 exec, exec, s[6:7]
	s_and_saveexec_b64 s[6:7], s[4:5]
	s_cbranch_execz .LBB15_372
.LBB15_371:
	v_bfe_u32 v10, v17, 16, 3
	v_ffbh_u32_e32 v14, v10
	v_min_u32_e32 v14, 32, v14
	v_lshrrev_b32_e32 v11, 19, v17
	v_subrev_u32_e32 v15, 28, v14
	v_and_b32_e32 v11, 15, v11
	v_lshlrev_b32_sdwa v15, v15, v17 dst_sel:DWORD dst_unused:UNUSED_PAD src0_sel:DWORD src1_sel:WORD_1
	v_bfe_u32 v12, v17, 19, 4
	v_sub_u32_e32 v14, 29, v14
	v_and_b32_e32 v15, 7, v15
	v_cmp_eq_u16_e32 vcc, 0, v11
	v_cndmask_b32_e32 v10, v10, v15, vcc
	v_cndmask_b32_e32 v11, v12, v14, vcc
	v_lshlrev_b32_e32 v12, 8, v17
	v_mov_b32_e32 v14, 0x3b800000
	v_lshlrev_b32_e32 v10, 20, v10
	v_and_b32_e32 v12, 0x80000000, v12
	v_lshl_add_u32 v11, v11, 23, v14
	v_or3_b32 v10, v12, v11, v10
.LBB15_372:
	s_or_b64 exec, exec, s[6:7]
	s_movk_i32 s4, 0xff
	v_and_b32_sdwa v11, v13, s4 dst_sel:DWORD dst_unused:UNUSED_PAD src0_sel:WORD_1 src1_sel:DWORD
	s_movk_i32 s4, 0x7f
	v_cmp_lt_i16_e32 vcc, s4, v11
	s_mov_b64 s[4:5], 0
                                        ; implicit-def: $sgpr10
	s_and_saveexec_b64 s[6:7], vcc
	s_xor_b64 s[6:7], exec, s[6:7]
	s_cbranch_execnz .LBB15_2421
; %bb.373:
	s_or_saveexec_b64 s[6:7], s[6:7]
	v_mov_b32_e32 v12, s10
	s_xor_b64 exec, exec, s[6:7]
	s_cbranch_execnz .LBB15_2424
.LBB15_374:
	s_or_b64 exec, exec, s[6:7]
	s_and_saveexec_b64 s[6:7], s[4:5]
	s_cbranch_execz .LBB15_376
.LBB15_375:
	v_bfe_u32 v11, v13, 16, 3
	v_ffbh_u32_e32 v15, v11
	v_min_u32_e32 v15, 32, v15
	v_lshrrev_b32_e32 v12, 19, v13
	v_subrev_u32_e32 v16, 28, v15
	v_and_b32_e32 v12, 15, v12
	v_lshlrev_b32_sdwa v16, v16, v13 dst_sel:DWORD dst_unused:UNUSED_PAD src0_sel:DWORD src1_sel:WORD_1
	v_bfe_u32 v14, v13, 19, 4
	v_sub_u32_e32 v15, 29, v15
	v_and_b32_e32 v16, 7, v16
	v_cmp_eq_u16_e32 vcc, 0, v12
	v_cndmask_b32_e32 v11, v11, v16, vcc
	v_cndmask_b32_e32 v12, v14, v15, vcc
	v_lshlrev_b32_e32 v14, 8, v13
	v_mov_b32_e32 v15, 0x3b800000
	v_lshlrev_b32_e32 v11, 20, v11
	v_and_b32_e32 v14, 0x80000000, v14
	v_lshl_add_u32 v12, v12, 23, v15
	v_or3_b32 v12, v14, v12, v11
.LBB15_376:
	s_or_b64 exec, exec, s[6:7]
	s_nop 0
	v_mfma_f32_16x16x4f32 a[0:3], v10, v12, a[0:3]
	s_movk_i32 s4, 0x7f
	v_cmp_gt_i16_sdwa s[6:7], v17, s4 src0_sel:BYTE_3 src1_sel:DWORD
	s_mov_b64 s[4:5], 0
                                        ; implicit-def: $sgpr10
	s_and_saveexec_b64 s[8:9], s[6:7]
	s_xor_b64 s[6:7], exec, s[8:9]
	s_cbranch_execnz .LBB15_2425
; %bb.377:
	s_or_saveexec_b64 s[6:7], s[6:7]
	v_mov_b32_e32 v10, s10
	s_xor_b64 exec, exec, s[6:7]
	s_cbranch_execnz .LBB15_2428
.LBB15_378:
	s_or_b64 exec, exec, s[6:7]
	s_and_saveexec_b64 s[6:7], s[4:5]
	s_cbranch_execz .LBB15_380
.LBB15_379:
	v_bfe_u32 v10, v17, 24, 3
	v_ffbh_u32_e32 v15, v10
	v_min_u32_e32 v15, 32, v15
	v_lshrrev_b32_e32 v12, 27, v17
	v_subrev_u32_e32 v16, 28, v15
	v_and_b32_e32 v12, 15, v12
	v_lshlrev_b32_sdwa v16, v16, v17 dst_sel:DWORD dst_unused:UNUSED_PAD src0_sel:DWORD src1_sel:BYTE_3
	v_bfe_u32 v14, v17, 27, 4
	v_sub_u32_e32 v15, 29, v15
	v_and_b32_e32 v16, 7, v16
	v_cmp_eq_u16_e32 vcc, 0, v12
	v_cndmask_b32_e32 v10, v10, v16, vcc
	v_cndmask_b32_e32 v12, v14, v15, vcc
	v_mov_b32_e32 v14, 0x3b800000
	v_and_b32_e32 v11, 0x80000000, v17
	v_lshlrev_b32_e32 v10, 20, v10
	v_lshl_add_u32 v12, v12, 23, v14
	v_or3_b32 v10, v11, v12, v10
.LBB15_380:
	s_or_b64 exec, exec, s[6:7]
	s_movk_i32 s4, 0x7f
	v_cmp_gt_i16_sdwa s[6:7], v13, s4 src0_sel:BYTE_3 src1_sel:DWORD
	s_mov_b64 s[4:5], 0
                                        ; implicit-def: $sgpr10
	s_and_saveexec_b64 s[8:9], s[6:7]
	s_xor_b64 s[6:7], exec, s[8:9]
	s_cbranch_execnz .LBB15_2429
; %bb.381:
	s_or_saveexec_b64 s[6:7], s[6:7]
	v_mov_b32_e32 v11, s10
	s_xor_b64 exec, exec, s[6:7]
	s_cbranch_execnz .LBB15_2432
.LBB15_382:
	s_or_b64 exec, exec, s[6:7]
	s_and_saveexec_b64 s[6:7], s[4:5]
	s_cbranch_execz .LBB15_384
.LBB15_383:
	v_bfe_u32 v11, v13, 24, 3
	v_ffbh_u32_e32 v16, v11
	v_min_u32_e32 v16, 32, v16
	v_lshrrev_b32_e32 v14, 27, v13
	v_subrev_u32_e32 v17, 28, v16
	v_and_b32_e32 v12, 0x80000000, v13
	v_and_b32_e32 v14, 15, v14
	v_bfe_u32 v15, v13, 27, 4
	v_lshlrev_b32_sdwa v13, v17, v13 dst_sel:DWORD dst_unused:UNUSED_PAD src0_sel:DWORD src1_sel:BYTE_3
	v_sub_u32_e32 v16, 29, v16
	v_and_b32_e32 v13, 7, v13
	v_cmp_eq_u16_e32 vcc, 0, v14
	v_cndmask_b32_e32 v11, v11, v13, vcc
	v_cndmask_b32_e32 v13, v15, v16, vcc
	v_mov_b32_e32 v14, 0x3b800000
	v_lshlrev_b32_e32 v11, 20, v11
	v_lshl_add_u32 v13, v13, 23, v14
	v_or3_b32 v11, v12, v13, v11
.LBB15_384:
	s_or_b64 exec, exec, s[6:7]
	s_nop 0
	v_mfma_f32_16x16x4f32 a[0:3], v10, v11, a[0:3]
	s_movk_i32 s4, 0x7f
	v_cmp_gt_i16_sdwa s[6:7], v6, s4 src0_sel:BYTE_0 src1_sel:DWORD
	s_mov_b64 s[4:5], 0
                                        ; implicit-def: $sgpr10
	s_and_saveexec_b64 s[8:9], s[6:7]
	s_xor_b64 s[6:7], exec, s[8:9]
	s_cbranch_execnz .LBB15_2433
; %bb.385:
	s_or_saveexec_b64 s[6:7], s[6:7]
	v_mov_b32_e32 v10, s10
	s_xor_b64 exec, exec, s[6:7]
	s_cbranch_execnz .LBB15_2436
.LBB15_386:
	s_or_b64 exec, exec, s[6:7]
	s_and_saveexec_b64 s[6:7], s[4:5]
	s_cbranch_execz .LBB15_388
.LBB15_387:
	v_and_b32_e32 v10, 7, v6
	v_ffbh_u32_e32 v12, v10
	v_min_u32_e32 v12, 32, v12
	v_lshrrev_b16_e32 v11, 3, v6
	v_subrev_u32_e32 v13, 28, v12
	v_and_b32_e32 v11, 15, v11
	v_lshlrev_b32_e32 v13, v13, v6
	v_sub_u32_e32 v12, 29, v12
	v_and_b32_e32 v13, 7, v13
	v_cmp_eq_u16_e32 vcc, 0, v11
	v_cndmask_b32_e32 v10, v10, v13, vcc
	v_cndmask_b32_e32 v11, v11, v12, vcc
	v_lshlrev_b32_e32 v12, 24, v6
	v_mov_b32_e32 v13, 0x3b800000
	v_lshlrev_b32_e32 v10, 20, v10
	v_and_b32_e32 v12, 0x80000000, v12
	v_lshl_add_u32 v11, v11, 23, v13
	v_or3_b32 v10, v12, v11, v10
.LBB15_388:
	s_or_b64 exec, exec, s[6:7]
	s_movk_i32 s4, 0x7f
	v_cmp_gt_i16_sdwa s[6:7], v2, s4 src0_sel:BYTE_0 src1_sel:DWORD
	s_mov_b64 s[4:5], 0
                                        ; implicit-def: $sgpr10
	s_and_saveexec_b64 s[8:9], s[6:7]
	s_xor_b64 s[6:7], exec, s[8:9]
	s_cbranch_execnz .LBB15_2437
; %bb.389:
	s_or_saveexec_b64 s[6:7], s[6:7]
	v_mov_b32_e32 v11, s10
	s_xor_b64 exec, exec, s[6:7]
	s_cbranch_execnz .LBB15_2440
.LBB15_390:
	s_or_b64 exec, exec, s[6:7]
	s_and_saveexec_b64 s[6:7], s[4:5]
	s_cbranch_execz .LBB15_392
.LBB15_391:
	v_and_b32_e32 v11, 7, v2
	v_ffbh_u32_e32 v13, v11
	v_min_u32_e32 v13, 32, v13
	v_lshrrev_b16_e32 v12, 3, v2
	v_subrev_u32_e32 v14, 28, v13
	v_and_b32_e32 v12, 15, v12
	v_lshlrev_b32_e32 v14, v14, v2
	v_sub_u32_e32 v13, 29, v13
	v_and_b32_e32 v14, 7, v14
	v_cmp_eq_u16_e32 vcc, 0, v12
	v_cndmask_b32_e32 v11, v11, v14, vcc
	v_cndmask_b32_e32 v12, v12, v13, vcc
	v_lshlrev_b32_e32 v13, 24, v2
	v_mov_b32_e32 v14, 0x3b800000
	v_lshlrev_b32_e32 v11, 20, v11
	v_and_b32_e32 v13, 0x80000000, v13
	v_lshl_add_u32 v12, v12, 23, v14
	v_or3_b32 v11, v13, v12, v11
.LBB15_392:
	s_or_b64 exec, exec, s[6:7]
	s_nop 0
	v_mfma_f32_16x16x4f32 a[0:3], v10, v11, a[0:3]
	v_lshrrev_b32_e32 v11, 8, v6
	s_movk_i32 s4, 0x7f
	v_cmp_gt_i16_sdwa s[6:7], v11, s4 src0_sel:BYTE_0 src1_sel:DWORD
	s_mov_b64 s[4:5], 0
                                        ; implicit-def: $sgpr10
	s_and_saveexec_b64 s[8:9], s[6:7]
	s_xor_b64 s[6:7], exec, s[8:9]
	s_cbranch_execnz .LBB15_2441
; %bb.393:
	s_or_saveexec_b64 s[6:7], s[6:7]
	v_mov_b32_e32 v10, s10
	s_xor_b64 exec, exec, s[6:7]
	s_cbranch_execnz .LBB15_2444
.LBB15_394:
	s_or_b64 exec, exec, s[6:7]
	s_and_saveexec_b64 s[6:7], s[4:5]
	s_cbranch_execz .LBB15_396
.LBB15_395:
	v_bfe_u32 v10, v6, 8, 3
	v_ffbh_u32_e32 v13, v10
	v_min_u32_e32 v13, 32, v13
	v_lshrrev_b16_e32 v12, 3, v11
	v_subrev_u32_e32 v14, 28, v13
	v_and_b32_e32 v12, 15, v12
	v_lshlrev_b32_e32 v11, v14, v11
	v_sub_u32_e32 v13, 29, v13
	v_and_b32_e32 v11, 7, v11
	v_cmp_eq_u16_e32 vcc, 0, v12
	v_cndmask_b32_e32 v10, v10, v11, vcc
	v_cndmask_b32_e32 v11, v12, v13, vcc
	v_lshlrev_b32_e32 v12, 16, v6
	v_mov_b32_e32 v13, 0x3b800000
	v_lshlrev_b32_e32 v10, 20, v10
	v_and_b32_e32 v12, 0x80000000, v12
	v_lshl_add_u32 v11, v11, 23, v13
	v_or3_b32 v10, v12, v11, v10
.LBB15_396:
	s_or_b64 exec, exec, s[6:7]
	v_lshrrev_b32_e32 v11, 8, v2
	s_movk_i32 s4, 0x7f
	v_cmp_gt_i16_sdwa s[6:7], v11, s4 src0_sel:BYTE_0 src1_sel:DWORD
	s_mov_b64 s[4:5], 0
                                        ; implicit-def: $sgpr10
	s_and_saveexec_b64 s[8:9], s[6:7]
	s_xor_b64 s[6:7], exec, s[8:9]
	s_cbranch_execnz .LBB15_2445
; %bb.397:
	s_or_saveexec_b64 s[6:7], s[6:7]
	v_mov_b32_e32 v12, s10
	s_xor_b64 exec, exec, s[6:7]
	s_cbranch_execnz .LBB15_2448
.LBB15_398:
	s_or_b64 exec, exec, s[6:7]
	s_and_saveexec_b64 s[6:7], s[4:5]
	s_cbranch_execz .LBB15_400
.LBB15_399:
	v_bfe_u32 v12, v2, 8, 3
	v_ffbh_u32_e32 v14, v12
	v_min_u32_e32 v14, 32, v14
	v_lshrrev_b16_e32 v13, 3, v11
	v_subrev_u32_e32 v15, 28, v14
	v_and_b32_e32 v13, 15, v13
	v_lshlrev_b32_e32 v11, v15, v11
	v_sub_u32_e32 v14, 29, v14
	v_and_b32_e32 v11, 7, v11
	v_cmp_eq_u16_e32 vcc, 0, v13
	v_cndmask_b32_e32 v11, v12, v11, vcc
	v_cndmask_b32_e32 v12, v13, v14, vcc
	v_lshlrev_b32_e32 v13, 16, v2
	v_mov_b32_e32 v14, 0x3b800000
	v_lshlrev_b32_e32 v11, 20, v11
	v_and_b32_e32 v13, 0x80000000, v13
	v_lshl_add_u32 v12, v12, 23, v14
	v_or3_b32 v12, v13, v12, v11
.LBB15_400:
	s_or_b64 exec, exec, s[6:7]
	s_nop 0
	v_mfma_f32_16x16x4f32 a[0:3], v10, v12, a[0:3]
	s_movk_i32 s4, 0xff
	v_and_b32_sdwa v11, v6, s4 dst_sel:DWORD dst_unused:UNUSED_PAD src0_sel:WORD_1 src1_sel:DWORD
	s_movk_i32 s4, 0x7f
	v_cmp_lt_i16_e32 vcc, s4, v11
	s_mov_b64 s[4:5], 0
                                        ; implicit-def: $sgpr10
	s_and_saveexec_b64 s[6:7], vcc
	s_xor_b64 s[6:7], exec, s[6:7]
	s_cbranch_execnz .LBB15_2449
; %bb.401:
	s_or_saveexec_b64 s[6:7], s[6:7]
	v_mov_b32_e32 v10, s10
	s_xor_b64 exec, exec, s[6:7]
	s_cbranch_execnz .LBB15_2452
.LBB15_402:
	s_or_b64 exec, exec, s[6:7]
	s_and_saveexec_b64 s[6:7], s[4:5]
	s_cbranch_execz .LBB15_404
.LBB15_403:
	v_bfe_u32 v10, v6, 16, 3
	v_ffbh_u32_e32 v13, v10
	v_min_u32_e32 v13, 32, v13
	v_lshrrev_b32_e32 v11, 19, v6
	v_subrev_u32_e32 v14, 28, v13
	v_and_b32_e32 v11, 15, v11
	v_lshlrev_b32_sdwa v14, v14, v6 dst_sel:DWORD dst_unused:UNUSED_PAD src0_sel:DWORD src1_sel:WORD_1
	v_bfe_u32 v12, v6, 19, 4
	v_sub_u32_e32 v13, 29, v13
	v_and_b32_e32 v14, 7, v14
	v_cmp_eq_u16_e32 vcc, 0, v11
	v_cndmask_b32_e32 v10, v10, v14, vcc
	v_cndmask_b32_e32 v11, v12, v13, vcc
	v_lshlrev_b32_e32 v12, 8, v6
	v_mov_b32_e32 v13, 0x3b800000
	v_lshlrev_b32_e32 v10, 20, v10
	v_and_b32_e32 v12, 0x80000000, v12
	v_lshl_add_u32 v11, v11, 23, v13
	v_or3_b32 v10, v12, v11, v10
.LBB15_404:
	s_or_b64 exec, exec, s[6:7]
	s_movk_i32 s4, 0xff
	v_and_b32_sdwa v11, v2, s4 dst_sel:DWORD dst_unused:UNUSED_PAD src0_sel:WORD_1 src1_sel:DWORD
	s_movk_i32 s4, 0x7f
	v_cmp_lt_i16_e32 vcc, s4, v11
	s_mov_b64 s[4:5], 0
                                        ; implicit-def: $sgpr10
	s_and_saveexec_b64 s[6:7], vcc
	s_xor_b64 s[6:7], exec, s[6:7]
	s_cbranch_execnz .LBB15_2453
; %bb.405:
	s_or_saveexec_b64 s[6:7], s[6:7]
	v_mov_b32_e32 v12, s10
	s_xor_b64 exec, exec, s[6:7]
	s_cbranch_execnz .LBB15_2456
.LBB15_406:
	s_or_b64 exec, exec, s[6:7]
	s_and_saveexec_b64 s[6:7], s[4:5]
	s_cbranch_execz .LBB15_408
.LBB15_407:
	v_bfe_u32 v11, v2, 16, 3
	v_ffbh_u32_e32 v14, v11
	v_min_u32_e32 v14, 32, v14
	v_lshrrev_b32_e32 v12, 19, v2
	v_subrev_u32_e32 v15, 28, v14
	v_and_b32_e32 v12, 15, v12
	v_lshlrev_b32_sdwa v15, v15, v2 dst_sel:DWORD dst_unused:UNUSED_PAD src0_sel:DWORD src1_sel:WORD_1
	v_bfe_u32 v13, v2, 19, 4
	v_sub_u32_e32 v14, 29, v14
	v_and_b32_e32 v15, 7, v15
	v_cmp_eq_u16_e32 vcc, 0, v12
	v_cndmask_b32_e32 v11, v11, v15, vcc
	v_cndmask_b32_e32 v12, v13, v14, vcc
	v_lshlrev_b32_e32 v13, 8, v2
	v_mov_b32_e32 v14, 0x3b800000
	v_lshlrev_b32_e32 v11, 20, v11
	v_and_b32_e32 v13, 0x80000000, v13
	v_lshl_add_u32 v12, v12, 23, v14
	v_or3_b32 v12, v13, v12, v11
.LBB15_408:
	s_or_b64 exec, exec, s[6:7]
	s_nop 0
	v_mfma_f32_16x16x4f32 a[0:3], v10, v12, a[0:3]
	s_movk_i32 s4, 0x7f
	v_cmp_gt_i16_sdwa s[6:7], v6, s4 src0_sel:BYTE_3 src1_sel:DWORD
	s_mov_b64 s[4:5], 0
                                        ; implicit-def: $sgpr10
	s_and_saveexec_b64 s[8:9], s[6:7]
	s_xor_b64 s[6:7], exec, s[8:9]
	s_cbranch_execnz .LBB15_2457
; %bb.409:
	s_or_saveexec_b64 s[6:7], s[6:7]
	v_mov_b32_e32 v10, s10
	s_xor_b64 exec, exec, s[6:7]
	s_cbranch_execnz .LBB15_2460
.LBB15_410:
	s_or_b64 exec, exec, s[6:7]
	s_and_saveexec_b64 s[6:7], s[4:5]
	s_cbranch_execz .LBB15_412
.LBB15_411:
	v_bfe_u32 v10, v6, 24, 3
	v_ffbh_u32_e32 v14, v10
	v_min_u32_e32 v14, 32, v14
	v_lshrrev_b32_e32 v12, 27, v6
	v_subrev_u32_e32 v15, 28, v14
	v_and_b32_e32 v11, 0x80000000, v6
	v_and_b32_e32 v12, 15, v12
	v_bfe_u32 v13, v6, 27, 4
	v_lshlrev_b32_sdwa v6, v15, v6 dst_sel:DWORD dst_unused:UNUSED_PAD src0_sel:DWORD src1_sel:BYTE_3
	v_sub_u32_e32 v14, 29, v14
	v_and_b32_e32 v6, 7, v6
	v_cmp_eq_u16_e32 vcc, 0, v12
	v_cndmask_b32_e32 v6, v10, v6, vcc
	v_cndmask_b32_e32 v10, v13, v14, vcc
	v_mov_b32_e32 v12, 0x3b800000
	v_lshlrev_b32_e32 v6, 20, v6
	v_lshl_add_u32 v10, v10, 23, v12
	v_or3_b32 v10, v11, v10, v6
.LBB15_412:
	s_or_b64 exec, exec, s[6:7]
	s_movk_i32 s4, 0x7f
	v_cmp_gt_i16_sdwa s[6:7], v2, s4 src0_sel:BYTE_3 src1_sel:DWORD
	s_mov_b64 s[4:5], 0
                                        ; implicit-def: $sgpr10
	s_and_saveexec_b64 s[8:9], s[6:7]
	s_xor_b64 s[6:7], exec, s[8:9]
	s_cbranch_execnz .LBB15_2461
; %bb.413:
	s_or_saveexec_b64 s[6:7], s[6:7]
	v_mov_b32_e32 v6, s10
	s_xor_b64 exec, exec, s[6:7]
	s_cbranch_execnz .LBB15_2464
.LBB15_414:
	s_or_b64 exec, exec, s[6:7]
	s_and_saveexec_b64 s[6:7], s[4:5]
	s_cbranch_execz .LBB15_416
.LBB15_415:
	v_bfe_u32 v6, v2, 24, 3
	v_ffbh_u32_e32 v14, v6
	v_min_u32_e32 v14, 32, v14
	v_lshrrev_b32_e32 v12, 27, v2
	v_subrev_u32_e32 v15, 28, v14
	v_and_b32_e32 v11, 0x80000000, v2
	v_and_b32_e32 v12, 15, v12
	v_bfe_u32 v13, v2, 27, 4
	v_lshlrev_b32_sdwa v2, v15, v2 dst_sel:DWORD dst_unused:UNUSED_PAD src0_sel:DWORD src1_sel:BYTE_3
	v_sub_u32_e32 v14, 29, v14
	v_and_b32_e32 v2, 7, v2
	v_cmp_eq_u16_e32 vcc, 0, v12
	v_cndmask_b32_e32 v2, v6, v2, vcc
	v_cndmask_b32_e32 v6, v13, v14, vcc
	v_mov_b32_e32 v12, 0x3b800000
	v_lshlrev_b32_e32 v2, 20, v2
	v_lshl_add_u32 v6, v6, 23, v12
	v_or3_b32 v6, v11, v6, v2
.LBB15_416:
	s_or_b64 exec, exec, s[6:7]
	s_nop 0
	v_mfma_f32_16x16x4f32 a[0:3], v10, v6, a[0:3]
	s_movk_i32 s4, 0x7f
	v_cmp_gt_i16_sdwa s[6:7], v7, s4 src0_sel:BYTE_0 src1_sel:DWORD
	s_mov_b64 s[4:5], 0
                                        ; implicit-def: $sgpr10
	s_and_saveexec_b64 s[8:9], s[6:7]
	s_xor_b64 s[6:7], exec, s[8:9]
	s_cbranch_execnz .LBB15_2465
; %bb.417:
	s_or_saveexec_b64 s[6:7], s[6:7]
	v_mov_b32_e32 v2, s10
	s_xor_b64 exec, exec, s[6:7]
	s_cbranch_execnz .LBB15_2468
.LBB15_418:
	s_or_b64 exec, exec, s[6:7]
	s_and_saveexec_b64 s[6:7], s[4:5]
	s_cbranch_execz .LBB15_420
.LBB15_419:
	v_and_b32_e32 v2, 7, v7
	v_ffbh_u32_e32 v10, v2
	v_min_u32_e32 v10, 32, v10
	v_lshrrev_b16_e32 v6, 3, v7
	v_subrev_u32_e32 v11, 28, v10
	v_and_b32_e32 v6, 15, v6
	v_lshlrev_b32_e32 v11, v11, v7
	v_sub_u32_e32 v10, 29, v10
	v_and_b32_e32 v11, 7, v11
	v_cmp_eq_u16_e32 vcc, 0, v6
	v_cndmask_b32_e32 v2, v2, v11, vcc
	v_cndmask_b32_e32 v6, v6, v10, vcc
	v_lshlrev_b32_e32 v10, 24, v7
	v_mov_b32_e32 v11, 0x3b800000
	v_lshlrev_b32_e32 v2, 20, v2
	v_and_b32_e32 v10, 0x80000000, v10
	v_lshl_add_u32 v6, v6, 23, v11
	v_or3_b32 v2, v10, v6, v2
.LBB15_420:
	s_or_b64 exec, exec, s[6:7]
	s_movk_i32 s4, 0x7f
	v_cmp_gt_i16_sdwa s[6:7], v3, s4 src0_sel:BYTE_0 src1_sel:DWORD
	s_mov_b64 s[4:5], 0
                                        ; implicit-def: $sgpr10
	s_and_saveexec_b64 s[8:9], s[6:7]
	s_xor_b64 s[6:7], exec, s[8:9]
	s_cbranch_execnz .LBB15_2469
; %bb.421:
	s_or_saveexec_b64 s[6:7], s[6:7]
	v_mov_b32_e32 v6, s10
	s_xor_b64 exec, exec, s[6:7]
	s_cbranch_execnz .LBB15_2472
.LBB15_422:
	s_or_b64 exec, exec, s[6:7]
	s_and_saveexec_b64 s[6:7], s[4:5]
	s_cbranch_execz .LBB15_424
.LBB15_423:
	v_and_b32_e32 v6, 7, v3
	v_ffbh_u32_e32 v11, v6
	v_min_u32_e32 v11, 32, v11
	v_lshrrev_b16_e32 v10, 3, v3
	v_subrev_u32_e32 v12, 28, v11
	v_and_b32_e32 v10, 15, v10
	v_lshlrev_b32_e32 v12, v12, v3
	v_sub_u32_e32 v11, 29, v11
	v_and_b32_e32 v12, 7, v12
	v_cmp_eq_u16_e32 vcc, 0, v10
	v_cndmask_b32_e32 v6, v6, v12, vcc
	v_cndmask_b32_e32 v10, v10, v11, vcc
	v_lshlrev_b32_e32 v11, 24, v3
	v_mov_b32_e32 v12, 0x3b800000
	v_lshlrev_b32_e32 v6, 20, v6
	v_and_b32_e32 v11, 0x80000000, v11
	v_lshl_add_u32 v10, v10, 23, v12
	v_or3_b32 v6, v11, v10, v6
.LBB15_424:
	s_or_b64 exec, exec, s[6:7]
	s_nop 0
	v_mfma_f32_16x16x4f32 a[0:3], v2, v6, a[0:3]
	v_lshrrev_b32_e32 v6, 8, v7
	s_movk_i32 s4, 0x7f
	v_cmp_gt_i16_sdwa s[6:7], v6, s4 src0_sel:BYTE_0 src1_sel:DWORD
	s_mov_b64 s[4:5], 0
                                        ; implicit-def: $sgpr10
	s_and_saveexec_b64 s[8:9], s[6:7]
	s_xor_b64 s[6:7], exec, s[8:9]
	s_cbranch_execnz .LBB15_2473
; %bb.425:
	s_or_saveexec_b64 s[6:7], s[6:7]
	v_mov_b32_e32 v2, s10
	s_xor_b64 exec, exec, s[6:7]
	s_cbranch_execnz .LBB15_2476
.LBB15_426:
	s_or_b64 exec, exec, s[6:7]
	s_and_saveexec_b64 s[6:7], s[4:5]
	s_cbranch_execz .LBB15_428
.LBB15_427:
	v_bfe_u32 v2, v7, 8, 3
	v_ffbh_u32_e32 v11, v2
	v_min_u32_e32 v11, 32, v11
	v_lshrrev_b16_e32 v10, 3, v6
	v_subrev_u32_e32 v12, 28, v11
	v_and_b32_e32 v10, 15, v10
	v_lshlrev_b32_e32 v6, v12, v6
	v_sub_u32_e32 v11, 29, v11
	v_and_b32_e32 v6, 7, v6
	v_cmp_eq_u16_e32 vcc, 0, v10
	v_cndmask_b32_e32 v2, v2, v6, vcc
	v_cndmask_b32_e32 v6, v10, v11, vcc
	v_lshlrev_b32_e32 v10, 16, v7
	v_mov_b32_e32 v11, 0x3b800000
	v_lshlrev_b32_e32 v2, 20, v2
	v_and_b32_e32 v10, 0x80000000, v10
	v_lshl_add_u32 v6, v6, 23, v11
	v_or3_b32 v2, v10, v6, v2
.LBB15_428:
	s_or_b64 exec, exec, s[6:7]
	v_lshrrev_b32_e32 v6, 8, v3
	s_movk_i32 s4, 0x7f
	v_cmp_gt_i16_sdwa s[6:7], v6, s4 src0_sel:BYTE_0 src1_sel:DWORD
	s_mov_b64 s[4:5], 0
                                        ; implicit-def: $sgpr10
	s_and_saveexec_b64 s[8:9], s[6:7]
	s_xor_b64 s[6:7], exec, s[8:9]
	s_cbranch_execnz .LBB15_2477
; %bb.429:
	s_or_saveexec_b64 s[6:7], s[6:7]
	v_mov_b32_e32 v10, s10
	s_xor_b64 exec, exec, s[6:7]
	s_cbranch_execnz .LBB15_2480
.LBB15_430:
	s_or_b64 exec, exec, s[6:7]
	s_and_saveexec_b64 s[6:7], s[4:5]
	s_cbranch_execz .LBB15_432
.LBB15_431:
	v_bfe_u32 v10, v3, 8, 3
	v_ffbh_u32_e32 v12, v10
	v_min_u32_e32 v12, 32, v12
	v_lshrrev_b16_e32 v11, 3, v6
	v_subrev_u32_e32 v13, 28, v12
	v_and_b32_e32 v11, 15, v11
	v_lshlrev_b32_e32 v6, v13, v6
	v_sub_u32_e32 v12, 29, v12
	v_and_b32_e32 v6, 7, v6
	v_cmp_eq_u16_e32 vcc, 0, v11
	v_cndmask_b32_e32 v6, v10, v6, vcc
	v_cndmask_b32_e32 v10, v11, v12, vcc
	v_lshlrev_b32_e32 v11, 16, v3
	v_mov_b32_e32 v12, 0x3b800000
	v_lshlrev_b32_e32 v6, 20, v6
	v_and_b32_e32 v11, 0x80000000, v11
	v_lshl_add_u32 v10, v10, 23, v12
	v_or3_b32 v10, v11, v10, v6
.LBB15_432:
	s_or_b64 exec, exec, s[6:7]
	s_nop 0
	v_mfma_f32_16x16x4f32 a[0:3], v2, v10, a[0:3]
	s_movk_i32 s4, 0xff
	v_and_b32_sdwa v6, v7, s4 dst_sel:DWORD dst_unused:UNUSED_PAD src0_sel:WORD_1 src1_sel:DWORD
	s_movk_i32 s4, 0x7f
	v_cmp_lt_i16_e32 vcc, s4, v6
	s_mov_b64 s[4:5], 0
                                        ; implicit-def: $sgpr10
	s_and_saveexec_b64 s[6:7], vcc
	s_xor_b64 s[6:7], exec, s[6:7]
	s_cbranch_execnz .LBB15_2481
; %bb.433:
	s_or_saveexec_b64 s[6:7], s[6:7]
	v_mov_b32_e32 v2, s10
	s_xor_b64 exec, exec, s[6:7]
	s_cbranch_execnz .LBB15_2484
.LBB15_434:
	s_or_b64 exec, exec, s[6:7]
	s_and_saveexec_b64 s[6:7], s[4:5]
	s_cbranch_execz .LBB15_436
.LBB15_435:
	v_bfe_u32 v2, v7, 16, 3
	v_ffbh_u32_e32 v11, v2
	v_min_u32_e32 v11, 32, v11
	v_lshrrev_b32_e32 v6, 19, v7
	v_subrev_u32_e32 v12, 28, v11
	v_and_b32_e32 v6, 15, v6
	v_lshlrev_b32_sdwa v12, v12, v7 dst_sel:DWORD dst_unused:UNUSED_PAD src0_sel:DWORD src1_sel:WORD_1
	v_bfe_u32 v10, v7, 19, 4
	v_sub_u32_e32 v11, 29, v11
	v_and_b32_e32 v12, 7, v12
	v_cmp_eq_u16_e32 vcc, 0, v6
	v_cndmask_b32_e32 v2, v2, v12, vcc
	v_cndmask_b32_e32 v6, v10, v11, vcc
	v_lshlrev_b32_e32 v10, 8, v7
	v_mov_b32_e32 v11, 0x3b800000
	v_lshlrev_b32_e32 v2, 20, v2
	v_and_b32_e32 v10, 0x80000000, v10
	v_lshl_add_u32 v6, v6, 23, v11
	v_or3_b32 v2, v10, v6, v2
.LBB15_436:
	s_or_b64 exec, exec, s[6:7]
	s_movk_i32 s4, 0xff
	v_and_b32_sdwa v6, v3, s4 dst_sel:DWORD dst_unused:UNUSED_PAD src0_sel:WORD_1 src1_sel:DWORD
	s_movk_i32 s4, 0x7f
	v_cmp_lt_i16_e32 vcc, s4, v6
	s_mov_b64 s[4:5], 0
                                        ; implicit-def: $sgpr10
	s_and_saveexec_b64 s[6:7], vcc
	s_xor_b64 s[6:7], exec, s[6:7]
	s_cbranch_execnz .LBB15_2485
; %bb.437:
	s_or_saveexec_b64 s[6:7], s[6:7]
	v_mov_b32_e32 v10, s10
	s_xor_b64 exec, exec, s[6:7]
	s_cbranch_execnz .LBB15_2488
.LBB15_438:
	s_or_b64 exec, exec, s[6:7]
	s_and_saveexec_b64 s[6:7], s[4:5]
	s_cbranch_execz .LBB15_440
.LBB15_439:
	v_bfe_u32 v6, v3, 16, 3
	v_ffbh_u32_e32 v12, v6
	v_min_u32_e32 v12, 32, v12
	v_lshrrev_b32_e32 v10, 19, v3
	v_subrev_u32_e32 v13, 28, v12
	v_and_b32_e32 v10, 15, v10
	v_lshlrev_b32_sdwa v13, v13, v3 dst_sel:DWORD dst_unused:UNUSED_PAD src0_sel:DWORD src1_sel:WORD_1
	v_bfe_u32 v11, v3, 19, 4
	v_sub_u32_e32 v12, 29, v12
	v_and_b32_e32 v13, 7, v13
	v_cmp_eq_u16_e32 vcc, 0, v10
	v_cndmask_b32_e32 v6, v6, v13, vcc
	v_cndmask_b32_e32 v10, v11, v12, vcc
	v_lshlrev_b32_e32 v11, 8, v3
	v_mov_b32_e32 v12, 0x3b800000
	v_lshlrev_b32_e32 v6, 20, v6
	v_and_b32_e32 v11, 0x80000000, v11
	v_lshl_add_u32 v10, v10, 23, v12
	v_or3_b32 v10, v11, v10, v6
.LBB15_440:
	s_or_b64 exec, exec, s[6:7]
	s_nop 0
	v_mfma_f32_16x16x4f32 a[0:3], v2, v10, a[0:3]
	s_movk_i32 s4, 0x7f
	v_cmp_gt_i16_sdwa s[6:7], v7, s4 src0_sel:BYTE_3 src1_sel:DWORD
	s_mov_b64 s[4:5], 0
                                        ; implicit-def: $sgpr10
	s_and_saveexec_b64 s[8:9], s[6:7]
	s_xor_b64 s[6:7], exec, s[8:9]
	s_cbranch_execnz .LBB15_2489
; %bb.441:
	s_or_saveexec_b64 s[6:7], s[6:7]
	v_mov_b32_e32 v2, s10
	s_xor_b64 exec, exec, s[6:7]
	s_cbranch_execnz .LBB15_2492
.LBB15_442:
	s_or_b64 exec, exec, s[6:7]
	s_and_saveexec_b64 s[6:7], s[4:5]
	s_cbranch_execz .LBB15_444
.LBB15_443:
	v_bfe_u32 v2, v7, 24, 3
	v_ffbh_u32_e32 v12, v2
	v_min_u32_e32 v12, 32, v12
	v_lshrrev_b32_e32 v10, 27, v7
	v_subrev_u32_e32 v13, 28, v12
	v_and_b32_e32 v6, 0x80000000, v7
	v_and_b32_e32 v10, 15, v10
	v_bfe_u32 v11, v7, 27, 4
	v_lshlrev_b32_sdwa v7, v13, v7 dst_sel:DWORD dst_unused:UNUSED_PAD src0_sel:DWORD src1_sel:BYTE_3
	v_sub_u32_e32 v12, 29, v12
	v_and_b32_e32 v7, 7, v7
	v_cmp_eq_u16_e32 vcc, 0, v10
	v_cndmask_b32_e32 v2, v2, v7, vcc
	v_cndmask_b32_e32 v7, v11, v12, vcc
	v_mov_b32_e32 v10, 0x3b800000
	v_lshlrev_b32_e32 v2, 20, v2
	v_lshl_add_u32 v7, v7, 23, v10
	v_or3_b32 v2, v6, v7, v2
.LBB15_444:
	s_or_b64 exec, exec, s[6:7]
	s_movk_i32 s4, 0x7f
	v_cmp_gt_i16_sdwa s[6:7], v3, s4 src0_sel:BYTE_3 src1_sel:DWORD
	s_mov_b64 s[4:5], 0
                                        ; implicit-def: $sgpr10
	s_and_saveexec_b64 s[8:9], s[6:7]
	s_xor_b64 s[6:7], exec, s[8:9]
	s_cbranch_execnz .LBB15_2493
; %bb.445:
	s_or_saveexec_b64 s[6:7], s[6:7]
	v_mov_b32_e32 v6, s10
	s_xor_b64 exec, exec, s[6:7]
	s_cbranch_execnz .LBB15_2496
.LBB15_446:
	s_or_b64 exec, exec, s[6:7]
	s_and_saveexec_b64 s[6:7], s[4:5]
	s_cbranch_execz .LBB15_448
.LBB15_447:
	v_bfe_u32 v6, v3, 24, 3
	v_ffbh_u32_e32 v12, v6
	v_min_u32_e32 v12, 32, v12
	v_lshrrev_b32_e32 v10, 27, v3
	v_subrev_u32_e32 v13, 28, v12
	v_and_b32_e32 v7, 0x80000000, v3
	v_and_b32_e32 v10, 15, v10
	v_bfe_u32 v11, v3, 27, 4
	v_lshlrev_b32_sdwa v3, v13, v3 dst_sel:DWORD dst_unused:UNUSED_PAD src0_sel:DWORD src1_sel:BYTE_3
	v_sub_u32_e32 v12, 29, v12
	v_and_b32_e32 v3, 7, v3
	v_cmp_eq_u16_e32 vcc, 0, v10
	v_cndmask_b32_e32 v3, v6, v3, vcc
	v_cndmask_b32_e32 v6, v11, v12, vcc
	v_mov_b32_e32 v10, 0x3b800000
	v_lshlrev_b32_e32 v3, 20, v3
	v_lshl_add_u32 v6, v6, 23, v10
	v_or3_b32 v6, v7, v6, v3
.LBB15_448:
	s_or_b64 exec, exec, s[6:7]
	s_nop 0
	v_mfma_f32_16x16x4f32 a[0:3], v2, v6, a[0:3]
	s_movk_i32 s4, 0x7f
	v_cmp_gt_i16_sdwa s[6:7], v8, s4 src0_sel:BYTE_0 src1_sel:DWORD
	s_mov_b64 s[4:5], 0
                                        ; implicit-def: $sgpr10
	s_and_saveexec_b64 s[8:9], s[6:7]
	s_xor_b64 s[6:7], exec, s[8:9]
	s_cbranch_execnz .LBB15_2497
; %bb.449:
	s_or_saveexec_b64 s[6:7], s[6:7]
	v_mov_b32_e32 v2, s10
	s_xor_b64 exec, exec, s[6:7]
	s_cbranch_execnz .LBB15_2500
.LBB15_450:
	s_or_b64 exec, exec, s[6:7]
	s_and_saveexec_b64 s[6:7], s[4:5]
	s_cbranch_execz .LBB15_452
.LBB15_451:
	v_and_b32_e32 v2, 7, v8
	v_ffbh_u32_e32 v6, v2
	v_min_u32_e32 v6, 32, v6
	v_lshrrev_b16_e32 v3, 3, v8
	v_subrev_u32_e32 v7, 28, v6
	v_and_b32_e32 v3, 15, v3
	v_lshlrev_b32_e32 v7, v7, v8
	v_sub_u32_e32 v6, 29, v6
	v_and_b32_e32 v7, 7, v7
	v_cmp_eq_u16_e32 vcc, 0, v3
	v_cndmask_b32_e32 v2, v2, v7, vcc
	v_cndmask_b32_e32 v3, v3, v6, vcc
	v_lshlrev_b32_e32 v6, 24, v8
	v_mov_b32_e32 v7, 0x3b800000
	v_lshlrev_b32_e32 v2, 20, v2
	v_and_b32_e32 v6, 0x80000000, v6
	v_lshl_add_u32 v3, v3, 23, v7
	v_or3_b32 v2, v6, v3, v2
.LBB15_452:
	s_or_b64 exec, exec, s[6:7]
	s_movk_i32 s4, 0x7f
	v_cmp_gt_i16_sdwa s[6:7], v4, s4 src0_sel:BYTE_0 src1_sel:DWORD
	s_mov_b64 s[4:5], 0
                                        ; implicit-def: $sgpr10
	s_and_saveexec_b64 s[8:9], s[6:7]
	s_xor_b64 s[6:7], exec, s[8:9]
	s_cbranch_execnz .LBB15_2501
; %bb.453:
	s_or_saveexec_b64 s[6:7], s[6:7]
	v_mov_b32_e32 v3, s10
	s_xor_b64 exec, exec, s[6:7]
	s_cbranch_execnz .LBB15_2504
.LBB15_454:
	s_or_b64 exec, exec, s[6:7]
	s_and_saveexec_b64 s[6:7], s[4:5]
	s_cbranch_execz .LBB15_456
.LBB15_455:
	v_and_b32_e32 v3, 7, v4
	v_ffbh_u32_e32 v7, v3
	v_min_u32_e32 v7, 32, v7
	v_lshrrev_b16_e32 v6, 3, v4
	v_subrev_u32_e32 v10, 28, v7
	v_and_b32_e32 v6, 15, v6
	v_lshlrev_b32_e32 v10, v10, v4
	v_sub_u32_e32 v7, 29, v7
	v_and_b32_e32 v10, 7, v10
	v_cmp_eq_u16_e32 vcc, 0, v6
	v_cndmask_b32_e32 v3, v3, v10, vcc
	v_cndmask_b32_e32 v6, v6, v7, vcc
	v_lshlrev_b32_e32 v7, 24, v4
	v_mov_b32_e32 v10, 0x3b800000
	v_lshlrev_b32_e32 v3, 20, v3
	v_and_b32_e32 v7, 0x80000000, v7
	v_lshl_add_u32 v6, v6, 23, v10
	v_or3_b32 v3, v7, v6, v3
.LBB15_456:
	s_or_b64 exec, exec, s[6:7]
	s_nop 0
	v_mfma_f32_16x16x4f32 a[0:3], v2, v3, a[0:3]
	v_lshrrev_b32_e32 v3, 8, v8
	s_movk_i32 s4, 0x7f
	v_cmp_gt_i16_sdwa s[6:7], v3, s4 src0_sel:BYTE_0 src1_sel:DWORD
	s_mov_b64 s[4:5], 0
                                        ; implicit-def: $sgpr10
	s_and_saveexec_b64 s[8:9], s[6:7]
	s_xor_b64 s[6:7], exec, s[8:9]
	s_cbranch_execnz .LBB15_2505
; %bb.457:
	s_or_saveexec_b64 s[6:7], s[6:7]
	v_mov_b32_e32 v2, s10
	s_xor_b64 exec, exec, s[6:7]
	s_cbranch_execnz .LBB15_2508
.LBB15_458:
	s_or_b64 exec, exec, s[6:7]
	s_and_saveexec_b64 s[6:7], s[4:5]
	s_cbranch_execz .LBB15_460
.LBB15_459:
	v_bfe_u32 v2, v8, 8, 3
	v_ffbh_u32_e32 v7, v2
	v_min_u32_e32 v7, 32, v7
	v_lshrrev_b16_e32 v6, 3, v3
	v_subrev_u32_e32 v10, 28, v7
	v_and_b32_e32 v6, 15, v6
	v_lshlrev_b32_e32 v3, v10, v3
	v_sub_u32_e32 v7, 29, v7
	v_and_b32_e32 v3, 7, v3
	v_cmp_eq_u16_e32 vcc, 0, v6
	v_cndmask_b32_e32 v2, v2, v3, vcc
	v_cndmask_b32_e32 v3, v6, v7, vcc
	v_lshlrev_b32_e32 v6, 16, v8
	v_mov_b32_e32 v7, 0x3b800000
	v_lshlrev_b32_e32 v2, 20, v2
	v_and_b32_e32 v6, 0x80000000, v6
	v_lshl_add_u32 v3, v3, 23, v7
	v_or3_b32 v2, v6, v3, v2
.LBB15_460:
	s_or_b64 exec, exec, s[6:7]
	v_lshrrev_b32_e32 v3, 8, v4
	s_movk_i32 s4, 0x7f
	v_cmp_gt_i16_sdwa s[6:7], v3, s4 src0_sel:BYTE_0 src1_sel:DWORD
	s_mov_b64 s[4:5], 0
                                        ; implicit-def: $sgpr10
	s_and_saveexec_b64 s[8:9], s[6:7]
	s_xor_b64 s[6:7], exec, s[8:9]
	s_cbranch_execnz .LBB15_2509
; %bb.461:
	s_or_saveexec_b64 s[6:7], s[6:7]
	v_mov_b32_e32 v6, s10
	s_xor_b64 exec, exec, s[6:7]
	s_cbranch_execnz .LBB15_2512
.LBB15_462:
	s_or_b64 exec, exec, s[6:7]
	s_and_saveexec_b64 s[6:7], s[4:5]
	s_cbranch_execz .LBB15_464
.LBB15_463:
	v_bfe_u32 v6, v4, 8, 3
	v_ffbh_u32_e32 v10, v6
	v_min_u32_e32 v10, 32, v10
	v_lshrrev_b16_e32 v7, 3, v3
	v_subrev_u32_e32 v11, 28, v10
	v_and_b32_e32 v7, 15, v7
	v_lshlrev_b32_e32 v3, v11, v3
	v_sub_u32_e32 v10, 29, v10
	v_and_b32_e32 v3, 7, v3
	v_cmp_eq_u16_e32 vcc, 0, v7
	v_cndmask_b32_e32 v3, v6, v3, vcc
	v_cndmask_b32_e32 v6, v7, v10, vcc
	v_lshlrev_b32_e32 v7, 16, v4
	v_mov_b32_e32 v10, 0x3b800000
	v_lshlrev_b32_e32 v3, 20, v3
	v_and_b32_e32 v7, 0x80000000, v7
	v_lshl_add_u32 v6, v6, 23, v10
	v_or3_b32 v6, v7, v6, v3
.LBB15_464:
	s_or_b64 exec, exec, s[6:7]
	s_nop 0
	v_mfma_f32_16x16x4f32 a[0:3], v2, v6, a[0:3]
	s_movk_i32 s4, 0xff
	v_and_b32_sdwa v3, v8, s4 dst_sel:DWORD dst_unused:UNUSED_PAD src0_sel:WORD_1 src1_sel:DWORD
	s_movk_i32 s4, 0x7f
	v_cmp_lt_i16_e32 vcc, s4, v3
	s_mov_b64 s[4:5], 0
                                        ; implicit-def: $sgpr10
	s_and_saveexec_b64 s[6:7], vcc
	s_xor_b64 s[6:7], exec, s[6:7]
	s_cbranch_execnz .LBB15_2513
; %bb.465:
	s_or_saveexec_b64 s[6:7], s[6:7]
	v_mov_b32_e32 v2, s10
	s_xor_b64 exec, exec, s[6:7]
	s_cbranch_execnz .LBB15_2516
.LBB15_466:
	s_or_b64 exec, exec, s[6:7]
	s_and_saveexec_b64 s[6:7], s[4:5]
	s_cbranch_execz .LBB15_468
.LBB15_467:
	v_bfe_u32 v2, v8, 16, 3
	v_ffbh_u32_e32 v7, v2
	v_min_u32_e32 v7, 32, v7
	v_lshrrev_b32_e32 v3, 19, v8
	v_subrev_u32_e32 v10, 28, v7
	v_and_b32_e32 v3, 15, v3
	v_lshlrev_b32_sdwa v10, v10, v8 dst_sel:DWORD dst_unused:UNUSED_PAD src0_sel:DWORD src1_sel:WORD_1
	v_bfe_u32 v6, v8, 19, 4
	v_sub_u32_e32 v7, 29, v7
	v_and_b32_e32 v10, 7, v10
	v_cmp_eq_u16_e32 vcc, 0, v3
	v_cndmask_b32_e32 v2, v2, v10, vcc
	v_cndmask_b32_e32 v3, v6, v7, vcc
	v_lshlrev_b32_e32 v6, 8, v8
	v_mov_b32_e32 v7, 0x3b800000
	v_lshlrev_b32_e32 v2, 20, v2
	v_and_b32_e32 v6, 0x80000000, v6
	v_lshl_add_u32 v3, v3, 23, v7
	v_or3_b32 v2, v6, v3, v2
.LBB15_468:
	s_or_b64 exec, exec, s[6:7]
	s_movk_i32 s4, 0xff
	v_and_b32_sdwa v3, v4, s4 dst_sel:DWORD dst_unused:UNUSED_PAD src0_sel:WORD_1 src1_sel:DWORD
	s_movk_i32 s4, 0x7f
	v_cmp_lt_i16_e32 vcc, s4, v3
	s_mov_b64 s[4:5], 0
                                        ; implicit-def: $sgpr10
	s_and_saveexec_b64 s[6:7], vcc
	s_xor_b64 s[6:7], exec, s[6:7]
	s_cbranch_execnz .LBB15_2517
; %bb.469:
	s_or_saveexec_b64 s[6:7], s[6:7]
	v_mov_b32_e32 v6, s10
	s_xor_b64 exec, exec, s[6:7]
	s_cbranch_execnz .LBB15_2520
.LBB15_470:
	s_or_b64 exec, exec, s[6:7]
	s_and_saveexec_b64 s[6:7], s[4:5]
	s_cbranch_execz .LBB15_472
.LBB15_471:
	v_bfe_u32 v3, v4, 16, 3
	v_ffbh_u32_e32 v10, v3
	v_min_u32_e32 v10, 32, v10
	v_lshrrev_b32_e32 v6, 19, v4
	v_subrev_u32_e32 v11, 28, v10
	v_and_b32_e32 v6, 15, v6
	v_lshlrev_b32_sdwa v11, v11, v4 dst_sel:DWORD dst_unused:UNUSED_PAD src0_sel:DWORD src1_sel:WORD_1
	v_bfe_u32 v7, v4, 19, 4
	v_sub_u32_e32 v10, 29, v10
	v_and_b32_e32 v11, 7, v11
	v_cmp_eq_u16_e32 vcc, 0, v6
	v_cndmask_b32_e32 v3, v3, v11, vcc
	v_cndmask_b32_e32 v6, v7, v10, vcc
	v_lshlrev_b32_e32 v7, 8, v4
	v_mov_b32_e32 v10, 0x3b800000
	v_lshlrev_b32_e32 v3, 20, v3
	v_and_b32_e32 v7, 0x80000000, v7
	v_lshl_add_u32 v6, v6, 23, v10
	v_or3_b32 v6, v7, v6, v3
.LBB15_472:
	s_or_b64 exec, exec, s[6:7]
	s_nop 0
	v_mfma_f32_16x16x4f32 a[0:3], v2, v6, a[0:3]
	s_movk_i32 s4, 0x7f
	v_cmp_gt_i16_sdwa s[6:7], v8, s4 src0_sel:BYTE_3 src1_sel:DWORD
	s_mov_b64 s[4:5], 0
                                        ; implicit-def: $sgpr10
	s_and_saveexec_b64 s[8:9], s[6:7]
	s_xor_b64 s[6:7], exec, s[8:9]
	s_cbranch_execnz .LBB15_2521
; %bb.473:
	s_or_saveexec_b64 s[6:7], s[6:7]
	v_mov_b32_e32 v2, s10
	s_xor_b64 exec, exec, s[6:7]
	s_cbranch_execnz .LBB15_2524
.LBB15_474:
	s_or_b64 exec, exec, s[6:7]
	s_and_saveexec_b64 s[6:7], s[4:5]
	s_cbranch_execz .LBB15_476
.LBB15_475:
	v_bfe_u32 v2, v8, 24, 3
	v_ffbh_u32_e32 v10, v2
	v_min_u32_e32 v10, 32, v10
	v_lshrrev_b32_e32 v6, 27, v8
	v_subrev_u32_e32 v11, 28, v10
	v_and_b32_e32 v3, 0x80000000, v8
	v_and_b32_e32 v6, 15, v6
	v_bfe_u32 v7, v8, 27, 4
	v_lshlrev_b32_sdwa v8, v11, v8 dst_sel:DWORD dst_unused:UNUSED_PAD src0_sel:DWORD src1_sel:BYTE_3
	v_sub_u32_e32 v10, 29, v10
	v_and_b32_e32 v8, 7, v8
	v_cmp_eq_u16_e32 vcc, 0, v6
	v_cndmask_b32_e32 v2, v2, v8, vcc
	v_cndmask_b32_e32 v6, v7, v10, vcc
	v_mov_b32_e32 v7, 0x3b800000
	v_lshlrev_b32_e32 v2, 20, v2
	v_lshl_add_u32 v6, v6, 23, v7
	v_or3_b32 v2, v3, v6, v2
.LBB15_476:
	s_or_b64 exec, exec, s[6:7]
	s_movk_i32 s4, 0x7f
	v_cmp_gt_i16_sdwa s[6:7], v4, s4 src0_sel:BYTE_3 src1_sel:DWORD
	s_mov_b64 s[4:5], 0
                                        ; implicit-def: $sgpr10
	s_and_saveexec_b64 s[8:9], s[6:7]
	s_xor_b64 s[6:7], exec, s[8:9]
	s_cbranch_execnz .LBB15_2525
; %bb.477:
	s_or_saveexec_b64 s[6:7], s[6:7]
	v_mov_b32_e32 v3, s10
	s_xor_b64 exec, exec, s[6:7]
	s_cbranch_execnz .LBB15_2528
.LBB15_478:
	s_or_b64 exec, exec, s[6:7]
	s_and_saveexec_b64 s[6:7], s[4:5]
	s_cbranch_execz .LBB15_480
.LBB15_479:
	v_bfe_u32 v3, v4, 24, 3
	v_ffbh_u32_e32 v10, v3
	v_min_u32_e32 v10, 32, v10
	v_lshrrev_b32_e32 v7, 27, v4
	v_subrev_u32_e32 v11, 28, v10
	v_and_b32_e32 v6, 0x80000000, v4
	v_and_b32_e32 v7, 15, v7
	v_bfe_u32 v8, v4, 27, 4
	v_lshlrev_b32_sdwa v4, v11, v4 dst_sel:DWORD dst_unused:UNUSED_PAD src0_sel:DWORD src1_sel:BYTE_3
	v_sub_u32_e32 v10, 29, v10
	v_and_b32_e32 v4, 7, v4
	v_cmp_eq_u16_e32 vcc, 0, v7
	v_cndmask_b32_e32 v3, v3, v4, vcc
	v_cndmask_b32_e32 v4, v8, v10, vcc
	v_mov_b32_e32 v7, 0x3b800000
	v_lshlrev_b32_e32 v3, 20, v3
	v_lshl_add_u32 v4, v4, 23, v7
	v_or3_b32 v3, v6, v4, v3
.LBB15_480:
	s_or_b64 exec, exec, s[6:7]
	s_nop 0
	v_mfma_f32_16x16x4f32 a[0:3], v2, v3, a[0:3]
	s_movk_i32 s4, 0x7f
	v_cmp_gt_i16_sdwa s[6:7], v9, s4 src0_sel:BYTE_0 src1_sel:DWORD
	s_mov_b64 s[4:5], 0
                                        ; implicit-def: $sgpr10
	s_and_saveexec_b64 s[8:9], s[6:7]
	s_xor_b64 s[6:7], exec, s[8:9]
	s_cbranch_execnz .LBB15_2529
; %bb.481:
	s_or_saveexec_b64 s[6:7], s[6:7]
	v_mov_b32_e32 v2, s10
	s_xor_b64 exec, exec, s[6:7]
	s_cbranch_execnz .LBB15_2532
.LBB15_482:
	s_or_b64 exec, exec, s[6:7]
	s_and_saveexec_b64 s[6:7], s[4:5]
	s_cbranch_execz .LBB15_484
.LBB15_483:
	v_mov_b32_e32 v2, 8
	v_and_b32_e32 v3, 7, v9
	v_lshrrev_b32_sdwa v2, v2, v9 dst_sel:BYTE_1 dst_unused:UNUSED_PAD src0_sel:DWORD src1_sel:DWORD
	v_ffbh_u32_e32 v4, v3
	v_or_b32_sdwa v2, v9, v2 dst_sel:DWORD dst_unused:UNUSED_PAD src0_sel:BYTE_0 src1_sel:DWORD
	v_min_u32_e32 v4, 32, v4
	v_lshrrev_b16_e32 v2, 3, v2
	v_subrev_u32_e32 v6, 28, v4
	v_and_b32_e32 v2, 15, v2
	v_lshlrev_b32_e32 v6, v6, v9
	v_sub_u32_e32 v4, 29, v4
	v_and_b32_e32 v6, 7, v6
	v_cmp_eq_u16_e32 vcc, 0, v2
	v_cndmask_b32_e32 v3, v3, v6, vcc
	v_cndmask_b32_e32 v2, v2, v4, vcc
	v_lshlrev_b32_e32 v4, 24, v9
	v_mov_b32_e32 v6, 0x3b800000
	v_lshlrev_b32_e32 v3, 20, v3
	v_and_b32_e32 v4, 0x80000000, v4
	v_lshl_add_u32 v2, v2, 23, v6
	v_or3_b32 v2, v4, v2, v3
.LBB15_484:
	s_or_b64 exec, exec, s[6:7]
	s_movk_i32 s4, 0x7f
	v_cmp_gt_i16_sdwa s[6:7], v5, s4 src0_sel:BYTE_0 src1_sel:DWORD
	s_mov_b64 s[4:5], 0
                                        ; implicit-def: $sgpr10
	s_and_saveexec_b64 s[8:9], s[6:7]
	s_xor_b64 s[6:7], exec, s[8:9]
	s_cbranch_execnz .LBB15_2533
; %bb.485:
	s_or_saveexec_b64 s[6:7], s[6:7]
	v_mov_b32_e32 v3, s10
	s_xor_b64 exec, exec, s[6:7]
	s_cbranch_execnz .LBB15_2536
.LBB15_486:
	s_or_b64 exec, exec, s[6:7]
	s_and_saveexec_b64 s[6:7], s[4:5]
	s_cbranch_execz .LBB15_488
.LBB15_487:
	v_mov_b32_e32 v3, 8
	v_and_b32_e32 v4, 7, v5
	v_lshrrev_b32_sdwa v3, v3, v5 dst_sel:BYTE_1 dst_unused:UNUSED_PAD src0_sel:DWORD src1_sel:DWORD
	v_ffbh_u32_e32 v6, v4
	v_or_b32_sdwa v3, v5, v3 dst_sel:DWORD dst_unused:UNUSED_PAD src0_sel:BYTE_0 src1_sel:DWORD
	v_min_u32_e32 v6, 32, v6
	v_lshrrev_b16_e32 v3, 3, v3
	v_subrev_u32_e32 v7, 28, v6
	v_and_b32_e32 v3, 15, v3
	v_lshlrev_b32_e32 v7, v7, v5
	v_sub_u32_e32 v6, 29, v6
	v_and_b32_e32 v7, 7, v7
	v_cmp_eq_u16_e32 vcc, 0, v3
	v_cndmask_b32_e32 v4, v4, v7, vcc
	v_cndmask_b32_e32 v3, v3, v6, vcc
	v_lshlrev_b32_e32 v6, 24, v5
	v_mov_b32_e32 v7, 0x3b800000
	v_lshlrev_b32_e32 v4, 20, v4
	v_and_b32_e32 v6, 0x80000000, v6
	v_lshl_add_u32 v3, v3, 23, v7
	v_or3_b32 v3, v6, v3, v4
.LBB15_488:
	s_or_b64 exec, exec, s[6:7]
	s_nop 0
	v_mfma_f32_16x16x4f32 a[0:3], v2, v3, a[0:3]
	v_lshrrev_b32_e32 v3, 8, v9
	s_movk_i32 s4, 0x7f
	v_cmp_gt_i16_sdwa s[6:7], v3, s4 src0_sel:BYTE_0 src1_sel:DWORD
	s_mov_b64 s[4:5], 0
                                        ; implicit-def: $sgpr10
	s_and_saveexec_b64 s[8:9], s[6:7]
	s_xor_b64 s[6:7], exec, s[8:9]
	s_cbranch_execnz .LBB15_2537
; %bb.489:
	s_or_saveexec_b64 s[6:7], s[6:7]
	v_mov_b32_e32 v2, s10
	s_xor_b64 exec, exec, s[6:7]
	s_cbranch_execnz .LBB15_2540
.LBB15_490:
	s_or_b64 exec, exec, s[6:7]
	s_and_saveexec_b64 s[6:7], s[4:5]
	s_cbranch_execz .LBB15_492
.LBB15_491:
	v_bfe_u32 v2, v9, 8, 3
	v_ffbh_u32_e32 v6, v2
	v_min_u32_e32 v6, 32, v6
	v_lshrrev_b16_e32 v4, 3, v3
	v_subrev_u32_e32 v7, 28, v6
	v_and_b32_e32 v4, 15, v4
	v_lshlrev_b32_e32 v3, v7, v3
	v_sub_u32_e32 v6, 29, v6
	v_and_b32_e32 v3, 7, v3
	v_cmp_eq_u16_e32 vcc, 0, v4
	v_cndmask_b32_e32 v2, v2, v3, vcc
	v_cndmask_b32_e32 v3, v4, v6, vcc
	v_lshlrev_b32_e32 v4, 16, v9
	v_mov_b32_e32 v6, 0x3b800000
	v_lshlrev_b32_e32 v2, 20, v2
	v_and_b32_e32 v4, 0x80000000, v4
	v_lshl_add_u32 v3, v3, 23, v6
	v_or3_b32 v2, v4, v3, v2
.LBB15_492:
	s_or_b64 exec, exec, s[6:7]
	v_lshrrev_b32_e32 v3, 8, v5
	s_movk_i32 s4, 0x7f
	v_cmp_gt_i16_sdwa s[6:7], v3, s4 src0_sel:BYTE_0 src1_sel:DWORD
	s_mov_b64 s[4:5], 0
                                        ; implicit-def: $sgpr10
	s_and_saveexec_b64 s[8:9], s[6:7]
	s_xor_b64 s[6:7], exec, s[8:9]
	s_cbranch_execnz .LBB15_2541
; %bb.493:
	s_or_saveexec_b64 s[6:7], s[6:7]
	v_mov_b32_e32 v4, s10
	s_xor_b64 exec, exec, s[6:7]
	s_cbranch_execnz .LBB15_2544
.LBB15_494:
	s_or_b64 exec, exec, s[6:7]
	s_and_saveexec_b64 s[6:7], s[4:5]
	s_cbranch_execz .LBB15_496
.LBB15_495:
	v_bfe_u32 v4, v5, 8, 3
	v_ffbh_u32_e32 v7, v4
	v_min_u32_e32 v7, 32, v7
	v_lshrrev_b16_e32 v6, 3, v3
	v_subrev_u32_e32 v8, 28, v7
	v_and_b32_e32 v6, 15, v6
	v_lshlrev_b32_e32 v3, v8, v3
	v_sub_u32_e32 v7, 29, v7
	v_and_b32_e32 v3, 7, v3
	v_cmp_eq_u16_e32 vcc, 0, v6
	v_cndmask_b32_e32 v3, v4, v3, vcc
	v_cndmask_b32_e32 v4, v6, v7, vcc
	v_lshlrev_b32_e32 v6, 16, v5
	v_mov_b32_e32 v7, 0x3b800000
	v_lshlrev_b32_e32 v3, 20, v3
	v_and_b32_e32 v6, 0x80000000, v6
	v_lshl_add_u32 v4, v4, 23, v7
	v_or3_b32 v4, v6, v4, v3
.LBB15_496:
	s_or_b64 exec, exec, s[6:7]
	s_nop 0
	v_mfma_f32_16x16x4f32 a[0:3], v2, v4, a[0:3]
	s_movk_i32 s4, 0xff
	v_and_b32_sdwa v3, v9, s4 dst_sel:DWORD dst_unused:UNUSED_PAD src0_sel:WORD_1 src1_sel:DWORD
	s_movk_i32 s4, 0x7f
	v_cmp_lt_i16_e32 vcc, s4, v3
	s_mov_b64 s[4:5], 0
                                        ; implicit-def: $sgpr10
	s_and_saveexec_b64 s[6:7], vcc
	s_xor_b64 s[6:7], exec, s[6:7]
	s_cbranch_execnz .LBB15_2545
; %bb.497:
	s_or_saveexec_b64 s[6:7], s[6:7]
	v_mov_b32_e32 v2, s10
	s_xor_b64 exec, exec, s[6:7]
	s_cbranch_execnz .LBB15_2548
.LBB15_498:
	s_or_b64 exec, exec, s[6:7]
	s_and_saveexec_b64 s[6:7], s[4:5]
	s_cbranch_execz .LBB15_500
.LBB15_499:
	v_bfe_u32 v2, v9, 16, 3
	v_ffbh_u32_e32 v6, v2
	v_min_u32_e32 v6, 32, v6
	v_lshrrev_b32_e32 v3, 19, v9
	v_subrev_u32_e32 v7, 28, v6
	v_and_b32_e32 v3, 15, v3
	v_lshlrev_b32_sdwa v7, v7, v9 dst_sel:DWORD dst_unused:UNUSED_PAD src0_sel:DWORD src1_sel:WORD_1
	v_bfe_u32 v4, v9, 19, 4
	v_sub_u32_e32 v6, 29, v6
	v_and_b32_e32 v7, 7, v7
	v_cmp_eq_u16_e32 vcc, 0, v3
	v_cndmask_b32_e32 v2, v2, v7, vcc
	v_cndmask_b32_e32 v3, v4, v6, vcc
	v_lshlrev_b32_e32 v4, 8, v9
	v_mov_b32_e32 v6, 0x3b800000
	v_lshlrev_b32_e32 v2, 20, v2
	v_and_b32_e32 v4, 0x80000000, v4
	v_lshl_add_u32 v3, v3, 23, v6
	v_or3_b32 v2, v4, v3, v2
.LBB15_500:
	s_or_b64 exec, exec, s[6:7]
	s_movk_i32 s4, 0xff
	v_and_b32_sdwa v3, v5, s4 dst_sel:DWORD dst_unused:UNUSED_PAD src0_sel:WORD_1 src1_sel:DWORD
	s_movk_i32 s4, 0x7f
	v_cmp_lt_i16_e32 vcc, s4, v3
	s_mov_b64 s[4:5], 0
                                        ; implicit-def: $sgpr10
	s_and_saveexec_b64 s[6:7], vcc
	s_xor_b64 s[6:7], exec, s[6:7]
	s_cbranch_execnz .LBB15_2549
; %bb.501:
	s_or_saveexec_b64 s[6:7], s[6:7]
	v_mov_b32_e32 v4, s10
	s_xor_b64 exec, exec, s[6:7]
	s_cbranch_execnz .LBB15_2552
.LBB15_502:
	s_or_b64 exec, exec, s[6:7]
	s_and_saveexec_b64 s[6:7], s[4:5]
	s_cbranch_execz .LBB15_504
.LBB15_503:
	v_bfe_u32 v3, v5, 16, 3
	v_ffbh_u32_e32 v7, v3
	v_min_u32_e32 v7, 32, v7
	v_lshrrev_b32_e32 v4, 19, v5
	v_subrev_u32_e32 v8, 28, v7
	v_and_b32_e32 v4, 15, v4
	v_lshlrev_b32_sdwa v8, v8, v5 dst_sel:DWORD dst_unused:UNUSED_PAD src0_sel:DWORD src1_sel:WORD_1
	v_bfe_u32 v6, v5, 19, 4
	v_sub_u32_e32 v7, 29, v7
	v_and_b32_e32 v8, 7, v8
	v_cmp_eq_u16_e32 vcc, 0, v4
	v_cndmask_b32_e32 v3, v3, v8, vcc
	v_cndmask_b32_e32 v4, v6, v7, vcc
	v_lshlrev_b32_e32 v6, 8, v5
	v_mov_b32_e32 v7, 0x3b800000
	v_lshlrev_b32_e32 v3, 20, v3
	v_and_b32_e32 v6, 0x80000000, v6
	v_lshl_add_u32 v4, v4, 23, v7
	v_or3_b32 v4, v6, v4, v3
.LBB15_504:
	s_or_b64 exec, exec, s[6:7]
	s_nop 0
	v_mfma_f32_16x16x4f32 a[0:3], v2, v4, a[0:3]
	s_movk_i32 s4, 0x7f
	v_cmp_gt_i16_sdwa s[6:7], v9, s4 src0_sel:BYTE_3 src1_sel:DWORD
	s_mov_b64 s[4:5], 0
                                        ; implicit-def: $sgpr10
	s_and_saveexec_b64 s[8:9], s[6:7]
	s_xor_b64 s[6:7], exec, s[8:9]
	s_cbranch_execnz .LBB15_2553
; %bb.505:
	s_or_saveexec_b64 s[6:7], s[6:7]
	v_mov_b32_e32 v2, s10
	s_xor_b64 exec, exec, s[6:7]
	s_cbranch_execnz .LBB15_2556
.LBB15_506:
	s_or_b64 exec, exec, s[6:7]
	s_and_saveexec_b64 s[6:7], s[4:5]
	s_cbranch_execz .LBB15_508
.LBB15_507:
	v_bfe_u32 v2, v9, 24, 3
	v_ffbh_u32_e32 v7, v2
	v_min_u32_e32 v7, 32, v7
	v_lshrrev_b32_e32 v4, 27, v9
	v_subrev_u32_e32 v8, 28, v7
	v_and_b32_e32 v4, 15, v4
	v_lshlrev_b32_sdwa v8, v8, v9 dst_sel:DWORD dst_unused:UNUSED_PAD src0_sel:DWORD src1_sel:BYTE_3
	v_bfe_u32 v6, v9, 27, 4
	v_sub_u32_e32 v7, 29, v7
	v_and_b32_e32 v8, 7, v8
	v_cmp_eq_u16_e32 vcc, 0, v4
	v_cndmask_b32_e32 v2, v2, v8, vcc
	v_cndmask_b32_e32 v4, v6, v7, vcc
	v_mov_b32_e32 v6, 0x3b800000
	v_and_b32_e32 v3, 0x80000000, v9
	v_lshlrev_b32_e32 v2, 20, v2
	v_lshl_add_u32 v4, v4, 23, v6
	v_or3_b32 v2, v3, v4, v2
.LBB15_508:
	s_or_b64 exec, exec, s[6:7]
	s_movk_i32 s4, 0x7f
	v_cmp_gt_i16_sdwa s[6:7], v5, s4 src0_sel:BYTE_3 src1_sel:DWORD
	s_mov_b64 s[4:5], 0
                                        ; implicit-def: $sgpr10
	s_and_saveexec_b64 s[8:9], s[6:7]
	s_xor_b64 s[6:7], exec, s[8:9]
	s_cbranch_execnz .LBB15_2557
; %bb.509:
	s_or_saveexec_b64 s[6:7], s[6:7]
	v_mov_b32_e32 v3, s10
	s_xor_b64 exec, exec, s[6:7]
	s_cbranch_execnz .LBB15_2560
.LBB15_510:
	s_or_b64 exec, exec, s[6:7]
	s_and_saveexec_b64 s[6:7], s[4:5]
	s_cbranch_execz .LBB15_512
.LBB15_511:
	v_bfe_u32 v3, v5, 24, 3
	v_ffbh_u32_e32 v8, v3
	v_min_u32_e32 v8, 32, v8
	v_lshrrev_b32_e32 v6, 27, v5
	v_subrev_u32_e32 v9, 28, v8
	v_and_b32_e32 v4, 0x80000000, v5
	v_and_b32_e32 v6, 15, v6
	v_bfe_u32 v7, v5, 27, 4
	v_lshlrev_b32_sdwa v5, v9, v5 dst_sel:DWORD dst_unused:UNUSED_PAD src0_sel:DWORD src1_sel:BYTE_3
	v_sub_u32_e32 v8, 29, v8
	v_and_b32_e32 v5, 7, v5
	v_cmp_eq_u16_e32 vcc, 0, v6
	v_cndmask_b32_e32 v3, v3, v5, vcc
	v_cndmask_b32_e32 v5, v7, v8, vcc
	v_mov_b32_e32 v6, 0x3b800000
	v_lshlrev_b32_e32 v3, 20, v3
	v_lshl_add_u32 v5, v5, 23, v6
	v_or3_b32 v3, v4, v5, v3
.LBB15_512:
	s_or_b64 exec, exec, s[6:7]
	s_nop 0
	v_mfma_f32_16x16x4f32 a[0:3], v2, v3, a[0:3]
	s_movk_i32 s4, 0x7f
                                        ; implicit-def: $sgpr10
	s_nop 7
	s_nop 1
	flat_store_dwordx4 v[18:19], a[0:3] offset:656
	flat_load_dwordx4 v[20:23], v[0:1] offset:16
	s_nop 0
	flat_load_dwordx2 v[18:19], v[0:1] offset:32
	s_waitcnt vmcnt(0) lgkmcnt(0)
	flat_load_dwordx4 v[14:17], v[20:21] offset:32
	flat_load_dwordx4 v[6:9], v[20:21] offset:48
	;; [unrolled: 1-line block ×4, first 2 shown]
	s_waitcnt vmcnt(0) lgkmcnt(0)
	v_cmp_gt_i16_sdwa s[6:7], v14, s4 src0_sel:BYTE_0 src1_sel:DWORD
	s_mov_b64 s[4:5], 0
	s_and_saveexec_b64 s[8:9], s[6:7]
	s_xor_b64 s[6:7], exec, s[8:9]
	s_cbranch_execnz .LBB15_2561
; %bb.513:
	s_or_saveexec_b64 s[6:7], s[6:7]
	v_mov_b32_e32 v20, s10
	s_xor_b64 exec, exec, s[6:7]
	s_cbranch_execnz .LBB15_2564
.LBB15_514:
	s_or_b64 exec, exec, s[6:7]
	s_and_saveexec_b64 s[6:7], s[4:5]
	s_cbranch_execz .LBB15_516
.LBB15_515:
	v_and_b32_e32 v20, 7, v14
	v_ffbh_u32_e32 v22, v20
	v_min_u32_e32 v22, 32, v22
	v_lshrrev_b16_e32 v21, 3, v14
	v_subrev_u32_e32 v23, 28, v22
	v_and_b32_e32 v21, 15, v21
	v_lshlrev_b32_e32 v23, v23, v14
	v_sub_u32_e32 v22, 29, v22
	v_and_b32_e32 v23, 7, v23
	v_cmp_eq_u16_e32 vcc, 0, v21
	v_cndmask_b32_e32 v20, v20, v23, vcc
	v_cndmask_b32_e32 v21, v21, v22, vcc
	v_lshlrev_b32_e32 v22, 24, v14
	v_mov_b32_e32 v23, 0x3b800000
	v_lshlrev_b32_e32 v20, 20, v20
	v_and_b32_e32 v22, 0x80000000, v22
	v_lshl_add_u32 v21, v21, 23, v23
	v_or3_b32 v20, v22, v21, v20
.LBB15_516:
	s_or_b64 exec, exec, s[6:7]
	s_movk_i32 s4, 0x7f
	v_cmp_gt_i16_sdwa s[6:7], v10, s4 src0_sel:BYTE_0 src1_sel:DWORD
	s_mov_b64 s[4:5], 0
                                        ; implicit-def: $sgpr10
	s_and_saveexec_b64 s[8:9], s[6:7]
	s_xor_b64 s[6:7], exec, s[8:9]
	s_cbranch_execnz .LBB15_2565
; %bb.517:
	s_or_saveexec_b64 s[6:7], s[6:7]
	v_mov_b32_e32 v21, s10
	s_xor_b64 exec, exec, s[6:7]
	s_cbranch_execnz .LBB15_2568
.LBB15_518:
	s_or_b64 exec, exec, s[6:7]
	s_and_saveexec_b64 s[6:7], s[4:5]
	s_cbranch_execz .LBB15_520
.LBB15_519:
	v_and_b32_e32 v21, 7, v10
	v_ffbh_u32_e32 v23, v21
	v_min_u32_e32 v23, 32, v23
	v_lshrrev_b16_e32 v22, 3, v10
	v_subrev_u32_e32 v24, 28, v23
	v_and_b32_e32 v22, 15, v22
	v_lshlrev_b32_e32 v24, v24, v10
	v_sub_u32_e32 v23, 29, v23
	v_and_b32_e32 v24, 7, v24
	v_cmp_eq_u16_e32 vcc, 0, v22
	v_cndmask_b32_e32 v21, v21, v24, vcc
	v_cndmask_b32_e32 v22, v22, v23, vcc
	v_lshlrev_b32_e32 v23, 24, v10
	v_mov_b32_e32 v24, 0x3b800000
	v_lshlrev_b32_e32 v21, 20, v21
	v_and_b32_e32 v23, 0x80000000, v23
	v_lshl_add_u32 v22, v22, 23, v24
	v_or3_b32 v21, v23, v22, v21
.LBB15_520:
	s_or_b64 exec, exec, s[6:7]
	flat_load_dwordx4 a[0:3], v[18:19] offset:672
	s_movk_i32 s4, 0x7f
                                        ; implicit-def: $sgpr10
	s_waitcnt vmcnt(0) lgkmcnt(0)
	v_mfma_f32_16x16x4f32 a[0:3], v20, v21, a[0:3]
	v_lshrrev_b32_e32 v21, 8, v14
	v_cmp_gt_i16_sdwa s[6:7], v21, s4 src0_sel:BYTE_0 src1_sel:DWORD
	s_mov_b64 s[4:5], 0
	s_and_saveexec_b64 s[8:9], s[6:7]
	s_xor_b64 s[6:7], exec, s[8:9]
	s_cbranch_execnz .LBB15_2569
; %bb.521:
	s_or_saveexec_b64 s[6:7], s[6:7]
	v_mov_b32_e32 v20, s10
	s_xor_b64 exec, exec, s[6:7]
	s_cbranch_execnz .LBB15_2572
.LBB15_522:
	s_or_b64 exec, exec, s[6:7]
	s_and_saveexec_b64 s[6:7], s[4:5]
	s_cbranch_execz .LBB15_524
.LBB15_523:
	v_bfe_u32 v20, v14, 8, 3
	v_ffbh_u32_e32 v23, v20
	v_min_u32_e32 v23, 32, v23
	v_lshrrev_b16_e32 v22, 3, v21
	v_subrev_u32_e32 v24, 28, v23
	v_and_b32_e32 v22, 15, v22
	v_lshlrev_b32_e32 v21, v24, v21
	v_sub_u32_e32 v23, 29, v23
	v_and_b32_e32 v21, 7, v21
	v_cmp_eq_u16_e32 vcc, 0, v22
	v_cndmask_b32_e32 v20, v20, v21, vcc
	v_cndmask_b32_e32 v21, v22, v23, vcc
	v_lshlrev_b32_e32 v22, 16, v14
	v_mov_b32_e32 v23, 0x3b800000
	v_lshlrev_b32_e32 v20, 20, v20
	v_and_b32_e32 v22, 0x80000000, v22
	v_lshl_add_u32 v21, v21, 23, v23
	v_or3_b32 v20, v22, v21, v20
.LBB15_524:
	s_or_b64 exec, exec, s[6:7]
	v_lshrrev_b32_e32 v21, 8, v10
	s_movk_i32 s4, 0x7f
	v_cmp_gt_i16_sdwa s[6:7], v21, s4 src0_sel:BYTE_0 src1_sel:DWORD
	s_mov_b64 s[4:5], 0
                                        ; implicit-def: $sgpr10
	s_and_saveexec_b64 s[8:9], s[6:7]
	s_xor_b64 s[6:7], exec, s[8:9]
	s_cbranch_execnz .LBB15_2573
; %bb.525:
	s_or_saveexec_b64 s[6:7], s[6:7]
	v_mov_b32_e32 v22, s10
	s_xor_b64 exec, exec, s[6:7]
	s_cbranch_execnz .LBB15_2576
.LBB15_526:
	s_or_b64 exec, exec, s[6:7]
	s_and_saveexec_b64 s[6:7], s[4:5]
	s_cbranch_execz .LBB15_528
.LBB15_527:
	v_bfe_u32 v22, v10, 8, 3
	v_ffbh_u32_e32 v24, v22
	v_min_u32_e32 v24, 32, v24
	v_lshrrev_b16_e32 v23, 3, v21
	v_subrev_u32_e32 v25, 28, v24
	v_and_b32_e32 v23, 15, v23
	v_lshlrev_b32_e32 v21, v25, v21
	v_sub_u32_e32 v24, 29, v24
	v_and_b32_e32 v21, 7, v21
	v_cmp_eq_u16_e32 vcc, 0, v23
	v_cndmask_b32_e32 v21, v22, v21, vcc
	v_cndmask_b32_e32 v22, v23, v24, vcc
	v_lshlrev_b32_e32 v23, 16, v10
	v_mov_b32_e32 v24, 0x3b800000
	v_lshlrev_b32_e32 v21, 20, v21
	v_and_b32_e32 v23, 0x80000000, v23
	v_lshl_add_u32 v22, v22, 23, v24
	v_or3_b32 v22, v23, v22, v21
.LBB15_528:
	s_or_b64 exec, exec, s[6:7]
	s_nop 0
	v_mfma_f32_16x16x4f32 a[0:3], v20, v22, a[0:3]
	s_movk_i32 s4, 0xff
	v_and_b32_sdwa v21, v14, s4 dst_sel:DWORD dst_unused:UNUSED_PAD src0_sel:WORD_1 src1_sel:DWORD
	s_movk_i32 s4, 0x7f
	v_cmp_lt_i16_e32 vcc, s4, v21
	s_mov_b64 s[4:5], 0
                                        ; implicit-def: $sgpr10
	s_and_saveexec_b64 s[6:7], vcc
	s_xor_b64 s[6:7], exec, s[6:7]
	s_cbranch_execnz .LBB15_2577
; %bb.529:
	s_or_saveexec_b64 s[6:7], s[6:7]
	v_mov_b32_e32 v20, s10
	s_xor_b64 exec, exec, s[6:7]
	s_cbranch_execnz .LBB15_2580
.LBB15_530:
	s_or_b64 exec, exec, s[6:7]
	s_and_saveexec_b64 s[6:7], s[4:5]
	s_cbranch_execz .LBB15_532
.LBB15_531:
	v_bfe_u32 v20, v14, 16, 3
	v_ffbh_u32_e32 v23, v20
	v_min_u32_e32 v23, 32, v23
	v_lshrrev_b32_e32 v21, 19, v14
	v_subrev_u32_e32 v24, 28, v23
	v_and_b32_e32 v21, 15, v21
	v_lshlrev_b32_sdwa v24, v24, v14 dst_sel:DWORD dst_unused:UNUSED_PAD src0_sel:DWORD src1_sel:WORD_1
	v_bfe_u32 v22, v14, 19, 4
	v_sub_u32_e32 v23, 29, v23
	v_and_b32_e32 v24, 7, v24
	v_cmp_eq_u16_e32 vcc, 0, v21
	v_cndmask_b32_e32 v20, v20, v24, vcc
	v_cndmask_b32_e32 v21, v22, v23, vcc
	v_lshlrev_b32_e32 v22, 8, v14
	v_mov_b32_e32 v23, 0x3b800000
	v_lshlrev_b32_e32 v20, 20, v20
	v_and_b32_e32 v22, 0x80000000, v22
	v_lshl_add_u32 v21, v21, 23, v23
	v_or3_b32 v20, v22, v21, v20
.LBB15_532:
	s_or_b64 exec, exec, s[6:7]
	s_movk_i32 s4, 0xff
	v_and_b32_sdwa v21, v10, s4 dst_sel:DWORD dst_unused:UNUSED_PAD src0_sel:WORD_1 src1_sel:DWORD
	s_movk_i32 s4, 0x7f
	v_cmp_lt_i16_e32 vcc, s4, v21
	s_mov_b64 s[4:5], 0
                                        ; implicit-def: $sgpr10
	s_and_saveexec_b64 s[6:7], vcc
	s_xor_b64 s[6:7], exec, s[6:7]
	s_cbranch_execnz .LBB15_2581
; %bb.533:
	s_or_saveexec_b64 s[6:7], s[6:7]
	v_mov_b32_e32 v22, s10
	s_xor_b64 exec, exec, s[6:7]
	s_cbranch_execnz .LBB15_2584
.LBB15_534:
	s_or_b64 exec, exec, s[6:7]
	s_and_saveexec_b64 s[6:7], s[4:5]
	s_cbranch_execz .LBB15_536
.LBB15_535:
	v_bfe_u32 v21, v10, 16, 3
	v_ffbh_u32_e32 v24, v21
	v_min_u32_e32 v24, 32, v24
	v_lshrrev_b32_e32 v22, 19, v10
	v_subrev_u32_e32 v25, 28, v24
	v_and_b32_e32 v22, 15, v22
	v_lshlrev_b32_sdwa v25, v25, v10 dst_sel:DWORD dst_unused:UNUSED_PAD src0_sel:DWORD src1_sel:WORD_1
	v_bfe_u32 v23, v10, 19, 4
	v_sub_u32_e32 v24, 29, v24
	v_and_b32_e32 v25, 7, v25
	v_cmp_eq_u16_e32 vcc, 0, v22
	v_cndmask_b32_e32 v21, v21, v25, vcc
	v_cndmask_b32_e32 v22, v23, v24, vcc
	v_lshlrev_b32_e32 v23, 8, v10
	v_mov_b32_e32 v24, 0x3b800000
	v_lshlrev_b32_e32 v21, 20, v21
	v_and_b32_e32 v23, 0x80000000, v23
	v_lshl_add_u32 v22, v22, 23, v24
	v_or3_b32 v22, v23, v22, v21
.LBB15_536:
	s_or_b64 exec, exec, s[6:7]
	s_nop 0
	v_mfma_f32_16x16x4f32 a[0:3], v20, v22, a[0:3]
	s_movk_i32 s4, 0x7f
	v_cmp_gt_i16_sdwa s[6:7], v14, s4 src0_sel:BYTE_3 src1_sel:DWORD
	s_mov_b64 s[4:5], 0
                                        ; implicit-def: $sgpr10
	s_and_saveexec_b64 s[8:9], s[6:7]
	s_xor_b64 s[6:7], exec, s[8:9]
	s_cbranch_execnz .LBB15_2585
; %bb.537:
	s_or_saveexec_b64 s[6:7], s[6:7]
	v_mov_b32_e32 v20, s10
	s_xor_b64 exec, exec, s[6:7]
	s_cbranch_execnz .LBB15_2588
.LBB15_538:
	s_or_b64 exec, exec, s[6:7]
	s_and_saveexec_b64 s[6:7], s[4:5]
	s_cbranch_execz .LBB15_540
.LBB15_539:
	v_bfe_u32 v20, v14, 24, 3
	v_ffbh_u32_e32 v24, v20
	v_min_u32_e32 v24, 32, v24
	v_lshrrev_b32_e32 v22, 27, v14
	v_subrev_u32_e32 v25, 28, v24
	v_and_b32_e32 v21, 0x80000000, v14
	v_and_b32_e32 v22, 15, v22
	v_bfe_u32 v23, v14, 27, 4
	v_lshlrev_b32_sdwa v14, v25, v14 dst_sel:DWORD dst_unused:UNUSED_PAD src0_sel:DWORD src1_sel:BYTE_3
	v_sub_u32_e32 v24, 29, v24
	v_and_b32_e32 v14, 7, v14
	v_cmp_eq_u16_e32 vcc, 0, v22
	v_cndmask_b32_e32 v14, v20, v14, vcc
	v_cndmask_b32_e32 v20, v23, v24, vcc
	v_mov_b32_e32 v22, 0x3b800000
	v_lshlrev_b32_e32 v14, 20, v14
	v_lshl_add_u32 v20, v20, 23, v22
	v_or3_b32 v20, v21, v20, v14
.LBB15_540:
	s_or_b64 exec, exec, s[6:7]
	s_movk_i32 s4, 0x7f
	v_cmp_gt_i16_sdwa s[6:7], v10, s4 src0_sel:BYTE_3 src1_sel:DWORD
	s_mov_b64 s[4:5], 0
                                        ; implicit-def: $sgpr10
	s_and_saveexec_b64 s[8:9], s[6:7]
	s_xor_b64 s[6:7], exec, s[8:9]
	s_cbranch_execnz .LBB15_2589
; %bb.541:
	s_or_saveexec_b64 s[6:7], s[6:7]
	v_mov_b32_e32 v14, s10
	s_xor_b64 exec, exec, s[6:7]
	s_cbranch_execnz .LBB15_2592
.LBB15_542:
	s_or_b64 exec, exec, s[6:7]
	s_and_saveexec_b64 s[6:7], s[4:5]
	s_cbranch_execz .LBB15_544
.LBB15_543:
	v_bfe_u32 v14, v10, 24, 3
	v_ffbh_u32_e32 v24, v14
	v_min_u32_e32 v24, 32, v24
	v_lshrrev_b32_e32 v22, 27, v10
	v_subrev_u32_e32 v25, 28, v24
	v_and_b32_e32 v21, 0x80000000, v10
	v_and_b32_e32 v22, 15, v22
	v_bfe_u32 v23, v10, 27, 4
	v_lshlrev_b32_sdwa v10, v25, v10 dst_sel:DWORD dst_unused:UNUSED_PAD src0_sel:DWORD src1_sel:BYTE_3
	v_sub_u32_e32 v24, 29, v24
	v_and_b32_e32 v10, 7, v10
	v_cmp_eq_u16_e32 vcc, 0, v22
	v_cndmask_b32_e32 v10, v14, v10, vcc
	v_cndmask_b32_e32 v14, v23, v24, vcc
	v_mov_b32_e32 v22, 0x3b800000
	v_lshlrev_b32_e32 v10, 20, v10
	v_lshl_add_u32 v14, v14, 23, v22
	v_or3_b32 v14, v21, v14, v10
.LBB15_544:
	s_or_b64 exec, exec, s[6:7]
	s_nop 0
	v_mfma_f32_16x16x4f32 a[0:3], v20, v14, a[0:3]
	s_movk_i32 s4, 0x7f
	v_cmp_gt_i16_sdwa s[6:7], v15, s4 src0_sel:BYTE_0 src1_sel:DWORD
	s_mov_b64 s[4:5], 0
                                        ; implicit-def: $sgpr10
	s_and_saveexec_b64 s[8:9], s[6:7]
	s_xor_b64 s[6:7], exec, s[8:9]
	s_cbranch_execnz .LBB15_2593
; %bb.545:
	s_or_saveexec_b64 s[6:7], s[6:7]
	v_mov_b32_e32 v10, s10
	s_xor_b64 exec, exec, s[6:7]
	s_cbranch_execnz .LBB15_2596
.LBB15_546:
	s_or_b64 exec, exec, s[6:7]
	s_and_saveexec_b64 s[6:7], s[4:5]
	s_cbranch_execz .LBB15_548
.LBB15_547:
	v_and_b32_e32 v10, 7, v15
	v_ffbh_u32_e32 v20, v10
	v_min_u32_e32 v20, 32, v20
	v_lshrrev_b16_e32 v14, 3, v15
	v_subrev_u32_e32 v21, 28, v20
	v_and_b32_e32 v14, 15, v14
	v_lshlrev_b32_e32 v21, v21, v15
	v_sub_u32_e32 v20, 29, v20
	v_and_b32_e32 v21, 7, v21
	v_cmp_eq_u16_e32 vcc, 0, v14
	v_cndmask_b32_e32 v10, v10, v21, vcc
	v_cndmask_b32_e32 v14, v14, v20, vcc
	v_lshlrev_b32_e32 v20, 24, v15
	v_mov_b32_e32 v21, 0x3b800000
	v_lshlrev_b32_e32 v10, 20, v10
	v_and_b32_e32 v20, 0x80000000, v20
	v_lshl_add_u32 v14, v14, 23, v21
	v_or3_b32 v10, v20, v14, v10
.LBB15_548:
	s_or_b64 exec, exec, s[6:7]
	s_movk_i32 s4, 0x7f
	v_cmp_gt_i16_sdwa s[6:7], v11, s4 src0_sel:BYTE_0 src1_sel:DWORD
	s_mov_b64 s[4:5], 0
                                        ; implicit-def: $sgpr10
	s_and_saveexec_b64 s[8:9], s[6:7]
	s_xor_b64 s[6:7], exec, s[8:9]
	s_cbranch_execnz .LBB15_2597
; %bb.549:
	s_or_saveexec_b64 s[6:7], s[6:7]
	v_mov_b32_e32 v14, s10
	s_xor_b64 exec, exec, s[6:7]
	s_cbranch_execnz .LBB15_2600
.LBB15_550:
	s_or_b64 exec, exec, s[6:7]
	s_and_saveexec_b64 s[6:7], s[4:5]
	s_cbranch_execz .LBB15_552
.LBB15_551:
	v_and_b32_e32 v14, 7, v11
	v_ffbh_u32_e32 v21, v14
	v_min_u32_e32 v21, 32, v21
	v_lshrrev_b16_e32 v20, 3, v11
	v_subrev_u32_e32 v22, 28, v21
	v_and_b32_e32 v20, 15, v20
	v_lshlrev_b32_e32 v22, v22, v11
	v_sub_u32_e32 v21, 29, v21
	v_and_b32_e32 v22, 7, v22
	v_cmp_eq_u16_e32 vcc, 0, v20
	v_cndmask_b32_e32 v14, v14, v22, vcc
	v_cndmask_b32_e32 v20, v20, v21, vcc
	v_lshlrev_b32_e32 v21, 24, v11
	v_mov_b32_e32 v22, 0x3b800000
	v_lshlrev_b32_e32 v14, 20, v14
	v_and_b32_e32 v21, 0x80000000, v21
	v_lshl_add_u32 v20, v20, 23, v22
	v_or3_b32 v14, v21, v20, v14
.LBB15_552:
	s_or_b64 exec, exec, s[6:7]
	s_nop 0
	v_mfma_f32_16x16x4f32 a[0:3], v10, v14, a[0:3]
	v_lshrrev_b32_e32 v14, 8, v15
	s_movk_i32 s4, 0x7f
	v_cmp_gt_i16_sdwa s[6:7], v14, s4 src0_sel:BYTE_0 src1_sel:DWORD
	s_mov_b64 s[4:5], 0
                                        ; implicit-def: $sgpr10
	s_and_saveexec_b64 s[8:9], s[6:7]
	s_xor_b64 s[6:7], exec, s[8:9]
	s_cbranch_execnz .LBB15_2601
; %bb.553:
	s_or_saveexec_b64 s[6:7], s[6:7]
	v_mov_b32_e32 v10, s10
	s_xor_b64 exec, exec, s[6:7]
	s_cbranch_execnz .LBB15_2604
.LBB15_554:
	s_or_b64 exec, exec, s[6:7]
	s_and_saveexec_b64 s[6:7], s[4:5]
	s_cbranch_execz .LBB15_556
.LBB15_555:
	v_bfe_u32 v10, v15, 8, 3
	v_ffbh_u32_e32 v21, v10
	v_min_u32_e32 v21, 32, v21
	v_lshrrev_b16_e32 v20, 3, v14
	v_subrev_u32_e32 v22, 28, v21
	v_and_b32_e32 v20, 15, v20
	v_lshlrev_b32_e32 v14, v22, v14
	v_sub_u32_e32 v21, 29, v21
	v_and_b32_e32 v14, 7, v14
	v_cmp_eq_u16_e32 vcc, 0, v20
	v_cndmask_b32_e32 v10, v10, v14, vcc
	v_cndmask_b32_e32 v14, v20, v21, vcc
	v_lshlrev_b32_e32 v20, 16, v15
	v_mov_b32_e32 v21, 0x3b800000
	v_lshlrev_b32_e32 v10, 20, v10
	v_and_b32_e32 v20, 0x80000000, v20
	v_lshl_add_u32 v14, v14, 23, v21
	v_or3_b32 v10, v20, v14, v10
.LBB15_556:
	s_or_b64 exec, exec, s[6:7]
	v_lshrrev_b32_e32 v14, 8, v11
	s_movk_i32 s4, 0x7f
	v_cmp_gt_i16_sdwa s[6:7], v14, s4 src0_sel:BYTE_0 src1_sel:DWORD
	s_mov_b64 s[4:5], 0
                                        ; implicit-def: $sgpr10
	s_and_saveexec_b64 s[8:9], s[6:7]
	s_xor_b64 s[6:7], exec, s[8:9]
	s_cbranch_execnz .LBB15_2605
; %bb.557:
	s_or_saveexec_b64 s[6:7], s[6:7]
	v_mov_b32_e32 v20, s10
	s_xor_b64 exec, exec, s[6:7]
	s_cbranch_execnz .LBB15_2608
.LBB15_558:
	s_or_b64 exec, exec, s[6:7]
	s_and_saveexec_b64 s[6:7], s[4:5]
	s_cbranch_execz .LBB15_560
.LBB15_559:
	v_bfe_u32 v20, v11, 8, 3
	v_ffbh_u32_e32 v22, v20
	v_min_u32_e32 v22, 32, v22
	v_lshrrev_b16_e32 v21, 3, v14
	v_subrev_u32_e32 v23, 28, v22
	v_and_b32_e32 v21, 15, v21
	v_lshlrev_b32_e32 v14, v23, v14
	v_sub_u32_e32 v22, 29, v22
	v_and_b32_e32 v14, 7, v14
	v_cmp_eq_u16_e32 vcc, 0, v21
	v_cndmask_b32_e32 v14, v20, v14, vcc
	v_cndmask_b32_e32 v20, v21, v22, vcc
	v_lshlrev_b32_e32 v21, 16, v11
	v_mov_b32_e32 v22, 0x3b800000
	v_lshlrev_b32_e32 v14, 20, v14
	v_and_b32_e32 v21, 0x80000000, v21
	v_lshl_add_u32 v20, v20, 23, v22
	v_or3_b32 v20, v21, v20, v14
.LBB15_560:
	s_or_b64 exec, exec, s[6:7]
	s_nop 0
	v_mfma_f32_16x16x4f32 a[0:3], v10, v20, a[0:3]
	s_movk_i32 s4, 0xff
	v_and_b32_sdwa v14, v15, s4 dst_sel:DWORD dst_unused:UNUSED_PAD src0_sel:WORD_1 src1_sel:DWORD
	s_movk_i32 s4, 0x7f
	v_cmp_lt_i16_e32 vcc, s4, v14
	s_mov_b64 s[4:5], 0
                                        ; implicit-def: $sgpr10
	s_and_saveexec_b64 s[6:7], vcc
	s_xor_b64 s[6:7], exec, s[6:7]
	s_cbranch_execnz .LBB15_2609
; %bb.561:
	s_or_saveexec_b64 s[6:7], s[6:7]
	v_mov_b32_e32 v10, s10
	s_xor_b64 exec, exec, s[6:7]
	s_cbranch_execnz .LBB15_2612
.LBB15_562:
	s_or_b64 exec, exec, s[6:7]
	s_and_saveexec_b64 s[6:7], s[4:5]
	s_cbranch_execz .LBB15_564
.LBB15_563:
	v_bfe_u32 v10, v15, 16, 3
	v_ffbh_u32_e32 v21, v10
	v_min_u32_e32 v21, 32, v21
	v_lshrrev_b32_e32 v14, 19, v15
	v_subrev_u32_e32 v22, 28, v21
	v_and_b32_e32 v14, 15, v14
	v_lshlrev_b32_sdwa v22, v22, v15 dst_sel:DWORD dst_unused:UNUSED_PAD src0_sel:DWORD src1_sel:WORD_1
	v_bfe_u32 v20, v15, 19, 4
	v_sub_u32_e32 v21, 29, v21
	v_and_b32_e32 v22, 7, v22
	v_cmp_eq_u16_e32 vcc, 0, v14
	v_cndmask_b32_e32 v10, v10, v22, vcc
	v_cndmask_b32_e32 v14, v20, v21, vcc
	v_lshlrev_b32_e32 v20, 8, v15
	v_mov_b32_e32 v21, 0x3b800000
	v_lshlrev_b32_e32 v10, 20, v10
	v_and_b32_e32 v20, 0x80000000, v20
	v_lshl_add_u32 v14, v14, 23, v21
	v_or3_b32 v10, v20, v14, v10
.LBB15_564:
	s_or_b64 exec, exec, s[6:7]
	s_movk_i32 s4, 0xff
	v_and_b32_sdwa v14, v11, s4 dst_sel:DWORD dst_unused:UNUSED_PAD src0_sel:WORD_1 src1_sel:DWORD
	s_movk_i32 s4, 0x7f
	v_cmp_lt_i16_e32 vcc, s4, v14
	s_mov_b64 s[4:5], 0
                                        ; implicit-def: $sgpr10
	s_and_saveexec_b64 s[6:7], vcc
	s_xor_b64 s[6:7], exec, s[6:7]
	s_cbranch_execnz .LBB15_2613
; %bb.565:
	s_or_saveexec_b64 s[6:7], s[6:7]
	v_mov_b32_e32 v20, s10
	s_xor_b64 exec, exec, s[6:7]
	s_cbranch_execnz .LBB15_2616
.LBB15_566:
	s_or_b64 exec, exec, s[6:7]
	s_and_saveexec_b64 s[6:7], s[4:5]
	s_cbranch_execz .LBB15_568
.LBB15_567:
	v_bfe_u32 v14, v11, 16, 3
	v_ffbh_u32_e32 v22, v14
	v_min_u32_e32 v22, 32, v22
	v_lshrrev_b32_e32 v20, 19, v11
	v_subrev_u32_e32 v23, 28, v22
	v_and_b32_e32 v20, 15, v20
	v_lshlrev_b32_sdwa v23, v23, v11 dst_sel:DWORD dst_unused:UNUSED_PAD src0_sel:DWORD src1_sel:WORD_1
	v_bfe_u32 v21, v11, 19, 4
	v_sub_u32_e32 v22, 29, v22
	v_and_b32_e32 v23, 7, v23
	v_cmp_eq_u16_e32 vcc, 0, v20
	v_cndmask_b32_e32 v14, v14, v23, vcc
	v_cndmask_b32_e32 v20, v21, v22, vcc
	v_lshlrev_b32_e32 v21, 8, v11
	v_mov_b32_e32 v22, 0x3b800000
	v_lshlrev_b32_e32 v14, 20, v14
	v_and_b32_e32 v21, 0x80000000, v21
	v_lshl_add_u32 v20, v20, 23, v22
	v_or3_b32 v20, v21, v20, v14
.LBB15_568:
	s_or_b64 exec, exec, s[6:7]
	s_nop 0
	v_mfma_f32_16x16x4f32 a[0:3], v10, v20, a[0:3]
	s_movk_i32 s4, 0x7f
	v_cmp_gt_i16_sdwa s[6:7], v15, s4 src0_sel:BYTE_3 src1_sel:DWORD
	s_mov_b64 s[4:5], 0
                                        ; implicit-def: $sgpr10
	s_and_saveexec_b64 s[8:9], s[6:7]
	s_xor_b64 s[6:7], exec, s[8:9]
	s_cbranch_execnz .LBB15_2617
; %bb.569:
	s_or_saveexec_b64 s[6:7], s[6:7]
	v_mov_b32_e32 v10, s10
	s_xor_b64 exec, exec, s[6:7]
	s_cbranch_execnz .LBB15_2620
.LBB15_570:
	s_or_b64 exec, exec, s[6:7]
	s_and_saveexec_b64 s[6:7], s[4:5]
	s_cbranch_execz .LBB15_572
.LBB15_571:
	v_bfe_u32 v10, v15, 24, 3
	v_ffbh_u32_e32 v22, v10
	v_min_u32_e32 v22, 32, v22
	v_lshrrev_b32_e32 v20, 27, v15
	v_subrev_u32_e32 v23, 28, v22
	v_and_b32_e32 v14, 0x80000000, v15
	v_and_b32_e32 v20, 15, v20
	v_bfe_u32 v21, v15, 27, 4
	v_lshlrev_b32_sdwa v15, v23, v15 dst_sel:DWORD dst_unused:UNUSED_PAD src0_sel:DWORD src1_sel:BYTE_3
	v_sub_u32_e32 v22, 29, v22
	v_and_b32_e32 v15, 7, v15
	v_cmp_eq_u16_e32 vcc, 0, v20
	v_cndmask_b32_e32 v10, v10, v15, vcc
	v_cndmask_b32_e32 v15, v21, v22, vcc
	v_mov_b32_e32 v20, 0x3b800000
	v_lshlrev_b32_e32 v10, 20, v10
	v_lshl_add_u32 v15, v15, 23, v20
	v_or3_b32 v10, v14, v15, v10
.LBB15_572:
	s_or_b64 exec, exec, s[6:7]
	s_movk_i32 s4, 0x7f
	v_cmp_gt_i16_sdwa s[6:7], v11, s4 src0_sel:BYTE_3 src1_sel:DWORD
	s_mov_b64 s[4:5], 0
                                        ; implicit-def: $sgpr10
	s_and_saveexec_b64 s[8:9], s[6:7]
	s_xor_b64 s[6:7], exec, s[8:9]
	s_cbranch_execnz .LBB15_2621
; %bb.573:
	s_or_saveexec_b64 s[6:7], s[6:7]
	v_mov_b32_e32 v14, s10
	s_xor_b64 exec, exec, s[6:7]
	s_cbranch_execnz .LBB15_2624
.LBB15_574:
	s_or_b64 exec, exec, s[6:7]
	s_and_saveexec_b64 s[6:7], s[4:5]
	s_cbranch_execz .LBB15_576
.LBB15_575:
	v_bfe_u32 v14, v11, 24, 3
	v_ffbh_u32_e32 v22, v14
	v_min_u32_e32 v22, 32, v22
	v_lshrrev_b32_e32 v20, 27, v11
	v_subrev_u32_e32 v23, 28, v22
	v_and_b32_e32 v15, 0x80000000, v11
	v_and_b32_e32 v20, 15, v20
	v_bfe_u32 v21, v11, 27, 4
	v_lshlrev_b32_sdwa v11, v23, v11 dst_sel:DWORD dst_unused:UNUSED_PAD src0_sel:DWORD src1_sel:BYTE_3
	v_sub_u32_e32 v22, 29, v22
	v_and_b32_e32 v11, 7, v11
	v_cmp_eq_u16_e32 vcc, 0, v20
	v_cndmask_b32_e32 v11, v14, v11, vcc
	v_cndmask_b32_e32 v14, v21, v22, vcc
	v_mov_b32_e32 v20, 0x3b800000
	v_lshlrev_b32_e32 v11, 20, v11
	v_lshl_add_u32 v14, v14, 23, v20
	v_or3_b32 v14, v15, v14, v11
.LBB15_576:
	s_or_b64 exec, exec, s[6:7]
	s_nop 0
	v_mfma_f32_16x16x4f32 a[0:3], v10, v14, a[0:3]
	s_movk_i32 s4, 0x7f
	v_cmp_gt_i16_sdwa s[6:7], v16, s4 src0_sel:BYTE_0 src1_sel:DWORD
	s_mov_b64 s[4:5], 0
                                        ; implicit-def: $sgpr10
	s_and_saveexec_b64 s[8:9], s[6:7]
	s_xor_b64 s[6:7], exec, s[8:9]
	s_cbranch_execnz .LBB15_2625
; %bb.577:
	s_or_saveexec_b64 s[6:7], s[6:7]
	v_mov_b32_e32 v10, s10
	s_xor_b64 exec, exec, s[6:7]
	s_cbranch_execnz .LBB15_2628
.LBB15_578:
	s_or_b64 exec, exec, s[6:7]
	s_and_saveexec_b64 s[6:7], s[4:5]
	s_cbranch_execz .LBB15_580
.LBB15_579:
	v_and_b32_e32 v10, 7, v16
	v_ffbh_u32_e32 v14, v10
	v_min_u32_e32 v14, 32, v14
	v_lshrrev_b16_e32 v11, 3, v16
	v_subrev_u32_e32 v15, 28, v14
	v_and_b32_e32 v11, 15, v11
	v_lshlrev_b32_e32 v15, v15, v16
	v_sub_u32_e32 v14, 29, v14
	v_and_b32_e32 v15, 7, v15
	v_cmp_eq_u16_e32 vcc, 0, v11
	v_cndmask_b32_e32 v10, v10, v15, vcc
	v_cndmask_b32_e32 v11, v11, v14, vcc
	v_lshlrev_b32_e32 v14, 24, v16
	v_mov_b32_e32 v15, 0x3b800000
	v_lshlrev_b32_e32 v10, 20, v10
	v_and_b32_e32 v14, 0x80000000, v14
	v_lshl_add_u32 v11, v11, 23, v15
	v_or3_b32 v10, v14, v11, v10
.LBB15_580:
	s_or_b64 exec, exec, s[6:7]
	s_movk_i32 s4, 0x7f
	v_cmp_gt_i16_sdwa s[6:7], v12, s4 src0_sel:BYTE_0 src1_sel:DWORD
	s_mov_b64 s[4:5], 0
                                        ; implicit-def: $sgpr10
	s_and_saveexec_b64 s[8:9], s[6:7]
	s_xor_b64 s[6:7], exec, s[8:9]
	s_cbranch_execnz .LBB15_2629
; %bb.581:
	s_or_saveexec_b64 s[6:7], s[6:7]
	v_mov_b32_e32 v11, s10
	s_xor_b64 exec, exec, s[6:7]
	s_cbranch_execnz .LBB15_2632
.LBB15_582:
	s_or_b64 exec, exec, s[6:7]
	s_and_saveexec_b64 s[6:7], s[4:5]
	s_cbranch_execz .LBB15_584
.LBB15_583:
	v_and_b32_e32 v11, 7, v12
	v_ffbh_u32_e32 v15, v11
	v_min_u32_e32 v15, 32, v15
	v_lshrrev_b16_e32 v14, 3, v12
	v_subrev_u32_e32 v20, 28, v15
	v_and_b32_e32 v14, 15, v14
	v_lshlrev_b32_e32 v20, v20, v12
	v_sub_u32_e32 v15, 29, v15
	v_and_b32_e32 v20, 7, v20
	v_cmp_eq_u16_e32 vcc, 0, v14
	v_cndmask_b32_e32 v11, v11, v20, vcc
	v_cndmask_b32_e32 v14, v14, v15, vcc
	v_lshlrev_b32_e32 v15, 24, v12
	v_mov_b32_e32 v20, 0x3b800000
	v_lshlrev_b32_e32 v11, 20, v11
	v_and_b32_e32 v15, 0x80000000, v15
	v_lshl_add_u32 v14, v14, 23, v20
	v_or3_b32 v11, v15, v14, v11
.LBB15_584:
	s_or_b64 exec, exec, s[6:7]
	s_nop 0
	v_mfma_f32_16x16x4f32 a[0:3], v10, v11, a[0:3]
	v_lshrrev_b32_e32 v11, 8, v16
	s_movk_i32 s4, 0x7f
	v_cmp_gt_i16_sdwa s[6:7], v11, s4 src0_sel:BYTE_0 src1_sel:DWORD
	s_mov_b64 s[4:5], 0
                                        ; implicit-def: $sgpr10
	s_and_saveexec_b64 s[8:9], s[6:7]
	s_xor_b64 s[6:7], exec, s[8:9]
	s_cbranch_execnz .LBB15_2633
; %bb.585:
	s_or_saveexec_b64 s[6:7], s[6:7]
	v_mov_b32_e32 v10, s10
	s_xor_b64 exec, exec, s[6:7]
	s_cbranch_execnz .LBB15_2636
.LBB15_586:
	s_or_b64 exec, exec, s[6:7]
	s_and_saveexec_b64 s[6:7], s[4:5]
	s_cbranch_execz .LBB15_588
.LBB15_587:
	v_bfe_u32 v10, v16, 8, 3
	v_ffbh_u32_e32 v15, v10
	v_min_u32_e32 v15, 32, v15
	v_lshrrev_b16_e32 v14, 3, v11
	v_subrev_u32_e32 v20, 28, v15
	v_and_b32_e32 v14, 15, v14
	v_lshlrev_b32_e32 v11, v20, v11
	v_sub_u32_e32 v15, 29, v15
	v_and_b32_e32 v11, 7, v11
	v_cmp_eq_u16_e32 vcc, 0, v14
	v_cndmask_b32_e32 v10, v10, v11, vcc
	v_cndmask_b32_e32 v11, v14, v15, vcc
	v_lshlrev_b32_e32 v14, 16, v16
	v_mov_b32_e32 v15, 0x3b800000
	v_lshlrev_b32_e32 v10, 20, v10
	v_and_b32_e32 v14, 0x80000000, v14
	v_lshl_add_u32 v11, v11, 23, v15
	v_or3_b32 v10, v14, v11, v10
.LBB15_588:
	s_or_b64 exec, exec, s[6:7]
	v_lshrrev_b32_e32 v11, 8, v12
	s_movk_i32 s4, 0x7f
	v_cmp_gt_i16_sdwa s[6:7], v11, s4 src0_sel:BYTE_0 src1_sel:DWORD
	s_mov_b64 s[4:5], 0
                                        ; implicit-def: $sgpr10
	s_and_saveexec_b64 s[8:9], s[6:7]
	s_xor_b64 s[6:7], exec, s[8:9]
	s_cbranch_execnz .LBB15_2637
; %bb.589:
	s_or_saveexec_b64 s[6:7], s[6:7]
	v_mov_b32_e32 v14, s10
	s_xor_b64 exec, exec, s[6:7]
	s_cbranch_execnz .LBB15_2640
.LBB15_590:
	s_or_b64 exec, exec, s[6:7]
	s_and_saveexec_b64 s[6:7], s[4:5]
	s_cbranch_execz .LBB15_592
.LBB15_591:
	v_bfe_u32 v14, v12, 8, 3
	v_ffbh_u32_e32 v20, v14
	v_min_u32_e32 v20, 32, v20
	v_lshrrev_b16_e32 v15, 3, v11
	v_subrev_u32_e32 v21, 28, v20
	v_and_b32_e32 v15, 15, v15
	v_lshlrev_b32_e32 v11, v21, v11
	v_sub_u32_e32 v20, 29, v20
	v_and_b32_e32 v11, 7, v11
	v_cmp_eq_u16_e32 vcc, 0, v15
	v_cndmask_b32_e32 v11, v14, v11, vcc
	v_cndmask_b32_e32 v14, v15, v20, vcc
	v_lshlrev_b32_e32 v15, 16, v12
	v_mov_b32_e32 v20, 0x3b800000
	v_lshlrev_b32_e32 v11, 20, v11
	v_and_b32_e32 v15, 0x80000000, v15
	v_lshl_add_u32 v14, v14, 23, v20
	v_or3_b32 v14, v15, v14, v11
.LBB15_592:
	s_or_b64 exec, exec, s[6:7]
	s_nop 0
	v_mfma_f32_16x16x4f32 a[0:3], v10, v14, a[0:3]
	s_movk_i32 s4, 0xff
	v_and_b32_sdwa v11, v16, s4 dst_sel:DWORD dst_unused:UNUSED_PAD src0_sel:WORD_1 src1_sel:DWORD
	s_movk_i32 s4, 0x7f
	v_cmp_lt_i16_e32 vcc, s4, v11
	s_mov_b64 s[4:5], 0
                                        ; implicit-def: $sgpr10
	s_and_saveexec_b64 s[6:7], vcc
	s_xor_b64 s[6:7], exec, s[6:7]
	s_cbranch_execnz .LBB15_2641
; %bb.593:
	s_or_saveexec_b64 s[6:7], s[6:7]
	v_mov_b32_e32 v10, s10
	s_xor_b64 exec, exec, s[6:7]
	s_cbranch_execnz .LBB15_2644
.LBB15_594:
	s_or_b64 exec, exec, s[6:7]
	s_and_saveexec_b64 s[6:7], s[4:5]
	s_cbranch_execz .LBB15_596
.LBB15_595:
	v_bfe_u32 v10, v16, 16, 3
	v_ffbh_u32_e32 v15, v10
	v_min_u32_e32 v15, 32, v15
	v_lshrrev_b32_e32 v11, 19, v16
	v_subrev_u32_e32 v20, 28, v15
	v_and_b32_e32 v11, 15, v11
	v_lshlrev_b32_sdwa v20, v20, v16 dst_sel:DWORD dst_unused:UNUSED_PAD src0_sel:DWORD src1_sel:WORD_1
	v_bfe_u32 v14, v16, 19, 4
	v_sub_u32_e32 v15, 29, v15
	v_and_b32_e32 v20, 7, v20
	v_cmp_eq_u16_e32 vcc, 0, v11
	v_cndmask_b32_e32 v10, v10, v20, vcc
	v_cndmask_b32_e32 v11, v14, v15, vcc
	v_lshlrev_b32_e32 v14, 8, v16
	v_mov_b32_e32 v15, 0x3b800000
	v_lshlrev_b32_e32 v10, 20, v10
	v_and_b32_e32 v14, 0x80000000, v14
	v_lshl_add_u32 v11, v11, 23, v15
	v_or3_b32 v10, v14, v11, v10
.LBB15_596:
	s_or_b64 exec, exec, s[6:7]
	s_movk_i32 s4, 0xff
	v_and_b32_sdwa v11, v12, s4 dst_sel:DWORD dst_unused:UNUSED_PAD src0_sel:WORD_1 src1_sel:DWORD
	s_movk_i32 s4, 0x7f
	v_cmp_lt_i16_e32 vcc, s4, v11
	s_mov_b64 s[4:5], 0
                                        ; implicit-def: $sgpr10
	s_and_saveexec_b64 s[6:7], vcc
	s_xor_b64 s[6:7], exec, s[6:7]
	s_cbranch_execnz .LBB15_2645
; %bb.597:
	s_or_saveexec_b64 s[6:7], s[6:7]
	v_mov_b32_e32 v14, s10
	s_xor_b64 exec, exec, s[6:7]
	s_cbranch_execnz .LBB15_2648
.LBB15_598:
	s_or_b64 exec, exec, s[6:7]
	s_and_saveexec_b64 s[6:7], s[4:5]
	s_cbranch_execz .LBB15_600
.LBB15_599:
	v_bfe_u32 v11, v12, 16, 3
	v_ffbh_u32_e32 v20, v11
	v_min_u32_e32 v20, 32, v20
	v_lshrrev_b32_e32 v14, 19, v12
	v_subrev_u32_e32 v21, 28, v20
	v_and_b32_e32 v14, 15, v14
	v_lshlrev_b32_sdwa v21, v21, v12 dst_sel:DWORD dst_unused:UNUSED_PAD src0_sel:DWORD src1_sel:WORD_1
	v_bfe_u32 v15, v12, 19, 4
	v_sub_u32_e32 v20, 29, v20
	v_and_b32_e32 v21, 7, v21
	v_cmp_eq_u16_e32 vcc, 0, v14
	v_cndmask_b32_e32 v11, v11, v21, vcc
	v_cndmask_b32_e32 v14, v15, v20, vcc
	v_lshlrev_b32_e32 v15, 8, v12
	v_mov_b32_e32 v20, 0x3b800000
	v_lshlrev_b32_e32 v11, 20, v11
	v_and_b32_e32 v15, 0x80000000, v15
	v_lshl_add_u32 v14, v14, 23, v20
	v_or3_b32 v14, v15, v14, v11
.LBB15_600:
	s_or_b64 exec, exec, s[6:7]
	s_nop 0
	v_mfma_f32_16x16x4f32 a[0:3], v10, v14, a[0:3]
	s_movk_i32 s4, 0x7f
	v_cmp_gt_i16_sdwa s[6:7], v16, s4 src0_sel:BYTE_3 src1_sel:DWORD
	s_mov_b64 s[4:5], 0
                                        ; implicit-def: $sgpr10
	s_and_saveexec_b64 s[8:9], s[6:7]
	s_xor_b64 s[6:7], exec, s[8:9]
	s_cbranch_execnz .LBB15_2649
; %bb.601:
	s_or_saveexec_b64 s[6:7], s[6:7]
	v_mov_b32_e32 v10, s10
	s_xor_b64 exec, exec, s[6:7]
	s_cbranch_execnz .LBB15_2652
.LBB15_602:
	s_or_b64 exec, exec, s[6:7]
	s_and_saveexec_b64 s[6:7], s[4:5]
	s_cbranch_execz .LBB15_604
.LBB15_603:
	v_bfe_u32 v10, v16, 24, 3
	v_ffbh_u32_e32 v20, v10
	v_min_u32_e32 v20, 32, v20
	v_lshrrev_b32_e32 v14, 27, v16
	v_subrev_u32_e32 v21, 28, v20
	v_and_b32_e32 v11, 0x80000000, v16
	v_and_b32_e32 v14, 15, v14
	v_bfe_u32 v15, v16, 27, 4
	v_lshlrev_b32_sdwa v16, v21, v16 dst_sel:DWORD dst_unused:UNUSED_PAD src0_sel:DWORD src1_sel:BYTE_3
	v_sub_u32_e32 v20, 29, v20
	v_and_b32_e32 v16, 7, v16
	v_cmp_eq_u16_e32 vcc, 0, v14
	v_cndmask_b32_e32 v10, v10, v16, vcc
	v_cndmask_b32_e32 v14, v15, v20, vcc
	v_mov_b32_e32 v15, 0x3b800000
	v_lshlrev_b32_e32 v10, 20, v10
	v_lshl_add_u32 v14, v14, 23, v15
	v_or3_b32 v10, v11, v14, v10
.LBB15_604:
	s_or_b64 exec, exec, s[6:7]
	s_movk_i32 s4, 0x7f
	v_cmp_gt_i16_sdwa s[6:7], v12, s4 src0_sel:BYTE_3 src1_sel:DWORD
	s_mov_b64 s[4:5], 0
                                        ; implicit-def: $sgpr10
	s_and_saveexec_b64 s[8:9], s[6:7]
	s_xor_b64 s[6:7], exec, s[8:9]
	s_cbranch_execnz .LBB15_2653
; %bb.605:
	s_or_saveexec_b64 s[6:7], s[6:7]
	v_mov_b32_e32 v11, s10
	s_xor_b64 exec, exec, s[6:7]
	s_cbranch_execnz .LBB15_2656
.LBB15_606:
	s_or_b64 exec, exec, s[6:7]
	s_and_saveexec_b64 s[6:7], s[4:5]
	s_cbranch_execz .LBB15_608
.LBB15_607:
	v_bfe_u32 v11, v12, 24, 3
	v_ffbh_u32_e32 v20, v11
	v_min_u32_e32 v20, 32, v20
	v_lshrrev_b32_e32 v15, 27, v12
	v_subrev_u32_e32 v21, 28, v20
	v_and_b32_e32 v14, 0x80000000, v12
	v_and_b32_e32 v15, 15, v15
	v_bfe_u32 v16, v12, 27, 4
	v_lshlrev_b32_sdwa v12, v21, v12 dst_sel:DWORD dst_unused:UNUSED_PAD src0_sel:DWORD src1_sel:BYTE_3
	v_sub_u32_e32 v20, 29, v20
	v_and_b32_e32 v12, 7, v12
	v_cmp_eq_u16_e32 vcc, 0, v15
	v_cndmask_b32_e32 v11, v11, v12, vcc
	v_cndmask_b32_e32 v12, v16, v20, vcc
	v_mov_b32_e32 v15, 0x3b800000
	v_lshlrev_b32_e32 v11, 20, v11
	v_lshl_add_u32 v12, v12, 23, v15
	v_or3_b32 v11, v14, v12, v11
.LBB15_608:
	s_or_b64 exec, exec, s[6:7]
	s_nop 0
	v_mfma_f32_16x16x4f32 a[0:3], v10, v11, a[0:3]
	s_movk_i32 s4, 0x7f
	v_cmp_gt_i16_sdwa s[6:7], v17, s4 src0_sel:BYTE_0 src1_sel:DWORD
	s_mov_b64 s[4:5], 0
                                        ; implicit-def: $sgpr10
	s_and_saveexec_b64 s[8:9], s[6:7]
	s_xor_b64 s[6:7], exec, s[8:9]
	s_cbranch_execnz .LBB15_2657
; %bb.609:
	s_or_saveexec_b64 s[6:7], s[6:7]
	v_mov_b32_e32 v10, s10
	s_xor_b64 exec, exec, s[6:7]
	s_cbranch_execnz .LBB15_2660
.LBB15_610:
	s_or_b64 exec, exec, s[6:7]
	s_and_saveexec_b64 s[6:7], s[4:5]
	s_cbranch_execz .LBB15_612
.LBB15_611:
	v_and_b32_e32 v10, 7, v17
	v_ffbh_u32_e32 v12, v10
	v_min_u32_e32 v12, 32, v12
	v_lshrrev_b16_e32 v11, 3, v17
	v_subrev_u32_e32 v14, 28, v12
	v_and_b32_e32 v11, 15, v11
	v_lshlrev_b32_e32 v14, v14, v17
	v_sub_u32_e32 v12, 29, v12
	v_and_b32_e32 v14, 7, v14
	v_cmp_eq_u16_e32 vcc, 0, v11
	v_cndmask_b32_e32 v10, v10, v14, vcc
	v_cndmask_b32_e32 v11, v11, v12, vcc
	v_lshlrev_b32_e32 v12, 24, v17
	v_mov_b32_e32 v14, 0x3b800000
	v_lshlrev_b32_e32 v10, 20, v10
	v_and_b32_e32 v12, 0x80000000, v12
	v_lshl_add_u32 v11, v11, 23, v14
	v_or3_b32 v10, v12, v11, v10
.LBB15_612:
	s_or_b64 exec, exec, s[6:7]
	s_movk_i32 s4, 0x7f
	v_cmp_gt_i16_sdwa s[6:7], v13, s4 src0_sel:BYTE_0 src1_sel:DWORD
	s_mov_b64 s[4:5], 0
                                        ; implicit-def: $sgpr10
	s_and_saveexec_b64 s[8:9], s[6:7]
	s_xor_b64 s[6:7], exec, s[8:9]
	s_cbranch_execnz .LBB15_2661
; %bb.613:
	s_or_saveexec_b64 s[6:7], s[6:7]
	v_mov_b32_e32 v11, s10
	s_xor_b64 exec, exec, s[6:7]
	s_cbranch_execnz .LBB15_2664
.LBB15_614:
	s_or_b64 exec, exec, s[6:7]
	s_and_saveexec_b64 s[6:7], s[4:5]
	s_cbranch_execz .LBB15_616
.LBB15_615:
	v_and_b32_e32 v11, 7, v13
	v_ffbh_u32_e32 v14, v11
	v_min_u32_e32 v14, 32, v14
	v_lshrrev_b16_e32 v12, 3, v13
	v_subrev_u32_e32 v15, 28, v14
	v_and_b32_e32 v12, 15, v12
	v_lshlrev_b32_e32 v15, v15, v13
	v_sub_u32_e32 v14, 29, v14
	v_and_b32_e32 v15, 7, v15
	v_cmp_eq_u16_e32 vcc, 0, v12
	v_cndmask_b32_e32 v11, v11, v15, vcc
	v_cndmask_b32_e32 v12, v12, v14, vcc
	v_lshlrev_b32_e32 v14, 24, v13
	v_mov_b32_e32 v15, 0x3b800000
	v_lshlrev_b32_e32 v11, 20, v11
	v_and_b32_e32 v14, 0x80000000, v14
	v_lshl_add_u32 v12, v12, 23, v15
	v_or3_b32 v11, v14, v12, v11
.LBB15_616:
	s_or_b64 exec, exec, s[6:7]
	s_nop 0
	v_mfma_f32_16x16x4f32 a[0:3], v10, v11, a[0:3]
	v_lshrrev_b32_e32 v11, 8, v17
	s_movk_i32 s4, 0x7f
	v_cmp_gt_i16_sdwa s[6:7], v11, s4 src0_sel:BYTE_0 src1_sel:DWORD
	s_mov_b64 s[4:5], 0
                                        ; implicit-def: $sgpr10
	s_and_saveexec_b64 s[8:9], s[6:7]
	s_xor_b64 s[6:7], exec, s[8:9]
	s_cbranch_execnz .LBB15_2665
; %bb.617:
	s_or_saveexec_b64 s[6:7], s[6:7]
	v_mov_b32_e32 v10, s10
	s_xor_b64 exec, exec, s[6:7]
	s_cbranch_execnz .LBB15_2668
.LBB15_618:
	s_or_b64 exec, exec, s[6:7]
	s_and_saveexec_b64 s[6:7], s[4:5]
	s_cbranch_execz .LBB15_620
.LBB15_619:
	v_bfe_u32 v10, v17, 8, 3
	v_ffbh_u32_e32 v14, v10
	v_min_u32_e32 v14, 32, v14
	v_lshrrev_b16_e32 v12, 3, v11
	v_subrev_u32_e32 v15, 28, v14
	v_and_b32_e32 v12, 15, v12
	v_lshlrev_b32_e32 v11, v15, v11
	v_sub_u32_e32 v14, 29, v14
	v_and_b32_e32 v11, 7, v11
	v_cmp_eq_u16_e32 vcc, 0, v12
	v_cndmask_b32_e32 v10, v10, v11, vcc
	v_cndmask_b32_e32 v11, v12, v14, vcc
	v_lshlrev_b32_e32 v12, 16, v17
	v_mov_b32_e32 v14, 0x3b800000
	v_lshlrev_b32_e32 v10, 20, v10
	v_and_b32_e32 v12, 0x80000000, v12
	v_lshl_add_u32 v11, v11, 23, v14
	v_or3_b32 v10, v12, v11, v10
.LBB15_620:
	s_or_b64 exec, exec, s[6:7]
	v_lshrrev_b32_e32 v11, 8, v13
	s_movk_i32 s4, 0x7f
	v_cmp_gt_i16_sdwa s[6:7], v11, s4 src0_sel:BYTE_0 src1_sel:DWORD
	s_mov_b64 s[4:5], 0
                                        ; implicit-def: $sgpr10
	s_and_saveexec_b64 s[8:9], s[6:7]
	s_xor_b64 s[6:7], exec, s[8:9]
	s_cbranch_execnz .LBB15_2669
; %bb.621:
	s_or_saveexec_b64 s[6:7], s[6:7]
	v_mov_b32_e32 v12, s10
	s_xor_b64 exec, exec, s[6:7]
	s_cbranch_execnz .LBB15_2672
.LBB15_622:
	s_or_b64 exec, exec, s[6:7]
	s_and_saveexec_b64 s[6:7], s[4:5]
	s_cbranch_execz .LBB15_624
.LBB15_623:
	v_bfe_u32 v12, v13, 8, 3
	v_ffbh_u32_e32 v15, v12
	v_min_u32_e32 v15, 32, v15
	v_lshrrev_b16_e32 v14, 3, v11
	v_subrev_u32_e32 v16, 28, v15
	v_and_b32_e32 v14, 15, v14
	v_lshlrev_b32_e32 v11, v16, v11
	v_sub_u32_e32 v15, 29, v15
	v_and_b32_e32 v11, 7, v11
	v_cmp_eq_u16_e32 vcc, 0, v14
	v_cndmask_b32_e32 v11, v12, v11, vcc
	v_cndmask_b32_e32 v12, v14, v15, vcc
	v_lshlrev_b32_e32 v14, 16, v13
	v_mov_b32_e32 v15, 0x3b800000
	v_lshlrev_b32_e32 v11, 20, v11
	v_and_b32_e32 v14, 0x80000000, v14
	v_lshl_add_u32 v12, v12, 23, v15
	v_or3_b32 v12, v14, v12, v11
.LBB15_624:
	s_or_b64 exec, exec, s[6:7]
	s_nop 0
	v_mfma_f32_16x16x4f32 a[0:3], v10, v12, a[0:3]
	s_movk_i32 s4, 0xff
	v_and_b32_sdwa v11, v17, s4 dst_sel:DWORD dst_unused:UNUSED_PAD src0_sel:WORD_1 src1_sel:DWORD
	s_movk_i32 s4, 0x7f
	v_cmp_lt_i16_e32 vcc, s4, v11
	s_mov_b64 s[4:5], 0
                                        ; implicit-def: $sgpr10
	s_and_saveexec_b64 s[6:7], vcc
	s_xor_b64 s[6:7], exec, s[6:7]
	s_cbranch_execnz .LBB15_2673
; %bb.625:
	s_or_saveexec_b64 s[6:7], s[6:7]
	v_mov_b32_e32 v10, s10
	s_xor_b64 exec, exec, s[6:7]
	s_cbranch_execnz .LBB15_2676
.LBB15_626:
	s_or_b64 exec, exec, s[6:7]
	s_and_saveexec_b64 s[6:7], s[4:5]
	s_cbranch_execz .LBB15_628
.LBB15_627:
	v_bfe_u32 v10, v17, 16, 3
	v_ffbh_u32_e32 v14, v10
	v_min_u32_e32 v14, 32, v14
	v_lshrrev_b32_e32 v11, 19, v17
	v_subrev_u32_e32 v15, 28, v14
	v_and_b32_e32 v11, 15, v11
	v_lshlrev_b32_sdwa v15, v15, v17 dst_sel:DWORD dst_unused:UNUSED_PAD src0_sel:DWORD src1_sel:WORD_1
	v_bfe_u32 v12, v17, 19, 4
	v_sub_u32_e32 v14, 29, v14
	v_and_b32_e32 v15, 7, v15
	v_cmp_eq_u16_e32 vcc, 0, v11
	v_cndmask_b32_e32 v10, v10, v15, vcc
	v_cndmask_b32_e32 v11, v12, v14, vcc
	v_lshlrev_b32_e32 v12, 8, v17
	v_mov_b32_e32 v14, 0x3b800000
	v_lshlrev_b32_e32 v10, 20, v10
	v_and_b32_e32 v12, 0x80000000, v12
	v_lshl_add_u32 v11, v11, 23, v14
	v_or3_b32 v10, v12, v11, v10
.LBB15_628:
	s_or_b64 exec, exec, s[6:7]
	s_movk_i32 s4, 0xff
	v_and_b32_sdwa v11, v13, s4 dst_sel:DWORD dst_unused:UNUSED_PAD src0_sel:WORD_1 src1_sel:DWORD
	s_movk_i32 s4, 0x7f
	v_cmp_lt_i16_e32 vcc, s4, v11
	s_mov_b64 s[4:5], 0
                                        ; implicit-def: $sgpr10
	s_and_saveexec_b64 s[6:7], vcc
	s_xor_b64 s[6:7], exec, s[6:7]
	s_cbranch_execnz .LBB15_2677
; %bb.629:
	s_or_saveexec_b64 s[6:7], s[6:7]
	v_mov_b32_e32 v12, s10
	s_xor_b64 exec, exec, s[6:7]
	s_cbranch_execnz .LBB15_2680
.LBB15_630:
	s_or_b64 exec, exec, s[6:7]
	s_and_saveexec_b64 s[6:7], s[4:5]
	s_cbranch_execz .LBB15_632
.LBB15_631:
	v_bfe_u32 v11, v13, 16, 3
	v_ffbh_u32_e32 v15, v11
	v_min_u32_e32 v15, 32, v15
	v_lshrrev_b32_e32 v12, 19, v13
	v_subrev_u32_e32 v16, 28, v15
	v_and_b32_e32 v12, 15, v12
	v_lshlrev_b32_sdwa v16, v16, v13 dst_sel:DWORD dst_unused:UNUSED_PAD src0_sel:DWORD src1_sel:WORD_1
	v_bfe_u32 v14, v13, 19, 4
	v_sub_u32_e32 v15, 29, v15
	v_and_b32_e32 v16, 7, v16
	v_cmp_eq_u16_e32 vcc, 0, v12
	v_cndmask_b32_e32 v11, v11, v16, vcc
	v_cndmask_b32_e32 v12, v14, v15, vcc
	v_lshlrev_b32_e32 v14, 8, v13
	v_mov_b32_e32 v15, 0x3b800000
	v_lshlrev_b32_e32 v11, 20, v11
	v_and_b32_e32 v14, 0x80000000, v14
	v_lshl_add_u32 v12, v12, 23, v15
	v_or3_b32 v12, v14, v12, v11
.LBB15_632:
	s_or_b64 exec, exec, s[6:7]
	s_nop 0
	v_mfma_f32_16x16x4f32 a[0:3], v10, v12, a[0:3]
	s_movk_i32 s4, 0x7f
	v_cmp_gt_i16_sdwa s[6:7], v17, s4 src0_sel:BYTE_3 src1_sel:DWORD
	s_mov_b64 s[4:5], 0
                                        ; implicit-def: $sgpr10
	s_and_saveexec_b64 s[8:9], s[6:7]
	s_xor_b64 s[6:7], exec, s[8:9]
	s_cbranch_execnz .LBB15_2681
; %bb.633:
	s_or_saveexec_b64 s[6:7], s[6:7]
	v_mov_b32_e32 v10, s10
	s_xor_b64 exec, exec, s[6:7]
	s_cbranch_execnz .LBB15_2684
.LBB15_634:
	s_or_b64 exec, exec, s[6:7]
	s_and_saveexec_b64 s[6:7], s[4:5]
	s_cbranch_execz .LBB15_636
.LBB15_635:
	v_bfe_u32 v10, v17, 24, 3
	v_ffbh_u32_e32 v15, v10
	v_min_u32_e32 v15, 32, v15
	v_lshrrev_b32_e32 v12, 27, v17
	v_subrev_u32_e32 v16, 28, v15
	v_and_b32_e32 v12, 15, v12
	v_lshlrev_b32_sdwa v16, v16, v17 dst_sel:DWORD dst_unused:UNUSED_PAD src0_sel:DWORD src1_sel:BYTE_3
	v_bfe_u32 v14, v17, 27, 4
	v_sub_u32_e32 v15, 29, v15
	v_and_b32_e32 v16, 7, v16
	v_cmp_eq_u16_e32 vcc, 0, v12
	v_cndmask_b32_e32 v10, v10, v16, vcc
	v_cndmask_b32_e32 v12, v14, v15, vcc
	v_mov_b32_e32 v14, 0x3b800000
	v_and_b32_e32 v11, 0x80000000, v17
	v_lshlrev_b32_e32 v10, 20, v10
	v_lshl_add_u32 v12, v12, 23, v14
	v_or3_b32 v10, v11, v12, v10
.LBB15_636:
	s_or_b64 exec, exec, s[6:7]
	s_movk_i32 s4, 0x7f
	v_cmp_gt_i16_sdwa s[6:7], v13, s4 src0_sel:BYTE_3 src1_sel:DWORD
	s_mov_b64 s[4:5], 0
                                        ; implicit-def: $sgpr10
	s_and_saveexec_b64 s[8:9], s[6:7]
	s_xor_b64 s[6:7], exec, s[8:9]
	s_cbranch_execnz .LBB15_2685
; %bb.637:
	s_or_saveexec_b64 s[6:7], s[6:7]
	v_mov_b32_e32 v11, s10
	s_xor_b64 exec, exec, s[6:7]
	s_cbranch_execnz .LBB15_2688
.LBB15_638:
	s_or_b64 exec, exec, s[6:7]
	s_and_saveexec_b64 s[6:7], s[4:5]
	s_cbranch_execz .LBB15_640
.LBB15_639:
	v_bfe_u32 v11, v13, 24, 3
	v_ffbh_u32_e32 v16, v11
	v_min_u32_e32 v16, 32, v16
	v_lshrrev_b32_e32 v14, 27, v13
	v_subrev_u32_e32 v17, 28, v16
	v_and_b32_e32 v12, 0x80000000, v13
	v_and_b32_e32 v14, 15, v14
	v_bfe_u32 v15, v13, 27, 4
	v_lshlrev_b32_sdwa v13, v17, v13 dst_sel:DWORD dst_unused:UNUSED_PAD src0_sel:DWORD src1_sel:BYTE_3
	v_sub_u32_e32 v16, 29, v16
	v_and_b32_e32 v13, 7, v13
	v_cmp_eq_u16_e32 vcc, 0, v14
	v_cndmask_b32_e32 v11, v11, v13, vcc
	v_cndmask_b32_e32 v13, v15, v16, vcc
	v_mov_b32_e32 v14, 0x3b800000
	v_lshlrev_b32_e32 v11, 20, v11
	v_lshl_add_u32 v13, v13, 23, v14
	v_or3_b32 v11, v12, v13, v11
.LBB15_640:
	s_or_b64 exec, exec, s[6:7]
	s_nop 0
	v_mfma_f32_16x16x4f32 a[0:3], v10, v11, a[0:3]
	s_movk_i32 s4, 0x7f
	v_cmp_gt_i16_sdwa s[6:7], v6, s4 src0_sel:BYTE_0 src1_sel:DWORD
	s_mov_b64 s[4:5], 0
                                        ; implicit-def: $sgpr10
	s_and_saveexec_b64 s[8:9], s[6:7]
	s_xor_b64 s[6:7], exec, s[8:9]
	s_cbranch_execnz .LBB15_2689
; %bb.641:
	s_or_saveexec_b64 s[6:7], s[6:7]
	v_mov_b32_e32 v10, s10
	s_xor_b64 exec, exec, s[6:7]
	s_cbranch_execnz .LBB15_2692
.LBB15_642:
	s_or_b64 exec, exec, s[6:7]
	s_and_saveexec_b64 s[6:7], s[4:5]
	s_cbranch_execz .LBB15_644
.LBB15_643:
	v_and_b32_e32 v10, 7, v6
	v_ffbh_u32_e32 v12, v10
	v_min_u32_e32 v12, 32, v12
	v_lshrrev_b16_e32 v11, 3, v6
	v_subrev_u32_e32 v13, 28, v12
	v_and_b32_e32 v11, 15, v11
	v_lshlrev_b32_e32 v13, v13, v6
	v_sub_u32_e32 v12, 29, v12
	v_and_b32_e32 v13, 7, v13
	v_cmp_eq_u16_e32 vcc, 0, v11
	v_cndmask_b32_e32 v10, v10, v13, vcc
	v_cndmask_b32_e32 v11, v11, v12, vcc
	v_lshlrev_b32_e32 v12, 24, v6
	v_mov_b32_e32 v13, 0x3b800000
	v_lshlrev_b32_e32 v10, 20, v10
	v_and_b32_e32 v12, 0x80000000, v12
	v_lshl_add_u32 v11, v11, 23, v13
	v_or3_b32 v10, v12, v11, v10
.LBB15_644:
	s_or_b64 exec, exec, s[6:7]
	s_movk_i32 s4, 0x7f
	v_cmp_gt_i16_sdwa s[6:7], v2, s4 src0_sel:BYTE_0 src1_sel:DWORD
	s_mov_b64 s[4:5], 0
                                        ; implicit-def: $sgpr10
	s_and_saveexec_b64 s[8:9], s[6:7]
	s_xor_b64 s[6:7], exec, s[8:9]
	s_cbranch_execnz .LBB15_2693
; %bb.645:
	s_or_saveexec_b64 s[6:7], s[6:7]
	v_mov_b32_e32 v11, s10
	s_xor_b64 exec, exec, s[6:7]
	s_cbranch_execnz .LBB15_2696
.LBB15_646:
	s_or_b64 exec, exec, s[6:7]
	s_and_saveexec_b64 s[6:7], s[4:5]
	s_cbranch_execz .LBB15_648
.LBB15_647:
	v_and_b32_e32 v11, 7, v2
	v_ffbh_u32_e32 v13, v11
	v_min_u32_e32 v13, 32, v13
	v_lshrrev_b16_e32 v12, 3, v2
	v_subrev_u32_e32 v14, 28, v13
	v_and_b32_e32 v12, 15, v12
	v_lshlrev_b32_e32 v14, v14, v2
	v_sub_u32_e32 v13, 29, v13
	v_and_b32_e32 v14, 7, v14
	v_cmp_eq_u16_e32 vcc, 0, v12
	v_cndmask_b32_e32 v11, v11, v14, vcc
	v_cndmask_b32_e32 v12, v12, v13, vcc
	v_lshlrev_b32_e32 v13, 24, v2
	v_mov_b32_e32 v14, 0x3b800000
	v_lshlrev_b32_e32 v11, 20, v11
	v_and_b32_e32 v13, 0x80000000, v13
	v_lshl_add_u32 v12, v12, 23, v14
	v_or3_b32 v11, v13, v12, v11
.LBB15_648:
	s_or_b64 exec, exec, s[6:7]
	s_nop 0
	v_mfma_f32_16x16x4f32 a[0:3], v10, v11, a[0:3]
	v_lshrrev_b32_e32 v11, 8, v6
	s_movk_i32 s4, 0x7f
	v_cmp_gt_i16_sdwa s[6:7], v11, s4 src0_sel:BYTE_0 src1_sel:DWORD
	s_mov_b64 s[4:5], 0
                                        ; implicit-def: $sgpr10
	s_and_saveexec_b64 s[8:9], s[6:7]
	s_xor_b64 s[6:7], exec, s[8:9]
	s_cbranch_execnz .LBB15_2697
; %bb.649:
	s_or_saveexec_b64 s[6:7], s[6:7]
	v_mov_b32_e32 v10, s10
	s_xor_b64 exec, exec, s[6:7]
	s_cbranch_execnz .LBB15_2700
.LBB15_650:
	s_or_b64 exec, exec, s[6:7]
	s_and_saveexec_b64 s[6:7], s[4:5]
	s_cbranch_execz .LBB15_652
.LBB15_651:
	v_bfe_u32 v10, v6, 8, 3
	v_ffbh_u32_e32 v13, v10
	v_min_u32_e32 v13, 32, v13
	v_lshrrev_b16_e32 v12, 3, v11
	v_subrev_u32_e32 v14, 28, v13
	v_and_b32_e32 v12, 15, v12
	v_lshlrev_b32_e32 v11, v14, v11
	v_sub_u32_e32 v13, 29, v13
	v_and_b32_e32 v11, 7, v11
	v_cmp_eq_u16_e32 vcc, 0, v12
	v_cndmask_b32_e32 v10, v10, v11, vcc
	v_cndmask_b32_e32 v11, v12, v13, vcc
	v_lshlrev_b32_e32 v12, 16, v6
	v_mov_b32_e32 v13, 0x3b800000
	v_lshlrev_b32_e32 v10, 20, v10
	v_and_b32_e32 v12, 0x80000000, v12
	v_lshl_add_u32 v11, v11, 23, v13
	v_or3_b32 v10, v12, v11, v10
.LBB15_652:
	s_or_b64 exec, exec, s[6:7]
	v_lshrrev_b32_e32 v11, 8, v2
	s_movk_i32 s4, 0x7f
	v_cmp_gt_i16_sdwa s[6:7], v11, s4 src0_sel:BYTE_0 src1_sel:DWORD
	s_mov_b64 s[4:5], 0
                                        ; implicit-def: $sgpr10
	s_and_saveexec_b64 s[8:9], s[6:7]
	s_xor_b64 s[6:7], exec, s[8:9]
	s_cbranch_execnz .LBB15_2701
; %bb.653:
	s_or_saveexec_b64 s[6:7], s[6:7]
	v_mov_b32_e32 v12, s10
	s_xor_b64 exec, exec, s[6:7]
	s_cbranch_execnz .LBB15_2704
.LBB15_654:
	s_or_b64 exec, exec, s[6:7]
	s_and_saveexec_b64 s[6:7], s[4:5]
	s_cbranch_execz .LBB15_656
.LBB15_655:
	v_bfe_u32 v12, v2, 8, 3
	v_ffbh_u32_e32 v14, v12
	v_min_u32_e32 v14, 32, v14
	v_lshrrev_b16_e32 v13, 3, v11
	v_subrev_u32_e32 v15, 28, v14
	v_and_b32_e32 v13, 15, v13
	v_lshlrev_b32_e32 v11, v15, v11
	v_sub_u32_e32 v14, 29, v14
	v_and_b32_e32 v11, 7, v11
	v_cmp_eq_u16_e32 vcc, 0, v13
	v_cndmask_b32_e32 v11, v12, v11, vcc
	v_cndmask_b32_e32 v12, v13, v14, vcc
	v_lshlrev_b32_e32 v13, 16, v2
	v_mov_b32_e32 v14, 0x3b800000
	v_lshlrev_b32_e32 v11, 20, v11
	v_and_b32_e32 v13, 0x80000000, v13
	v_lshl_add_u32 v12, v12, 23, v14
	v_or3_b32 v12, v13, v12, v11
.LBB15_656:
	s_or_b64 exec, exec, s[6:7]
	s_nop 0
	v_mfma_f32_16x16x4f32 a[0:3], v10, v12, a[0:3]
	s_movk_i32 s4, 0xff
	v_and_b32_sdwa v11, v6, s4 dst_sel:DWORD dst_unused:UNUSED_PAD src0_sel:WORD_1 src1_sel:DWORD
	s_movk_i32 s4, 0x7f
	v_cmp_lt_i16_e32 vcc, s4, v11
	s_mov_b64 s[4:5], 0
                                        ; implicit-def: $sgpr10
	s_and_saveexec_b64 s[6:7], vcc
	s_xor_b64 s[6:7], exec, s[6:7]
	s_cbranch_execnz .LBB15_2705
; %bb.657:
	s_or_saveexec_b64 s[6:7], s[6:7]
	v_mov_b32_e32 v10, s10
	s_xor_b64 exec, exec, s[6:7]
	s_cbranch_execnz .LBB15_2708
.LBB15_658:
	s_or_b64 exec, exec, s[6:7]
	s_and_saveexec_b64 s[6:7], s[4:5]
	s_cbranch_execz .LBB15_660
.LBB15_659:
	v_bfe_u32 v10, v6, 16, 3
	v_ffbh_u32_e32 v13, v10
	v_min_u32_e32 v13, 32, v13
	v_lshrrev_b32_e32 v11, 19, v6
	v_subrev_u32_e32 v14, 28, v13
	v_and_b32_e32 v11, 15, v11
	v_lshlrev_b32_sdwa v14, v14, v6 dst_sel:DWORD dst_unused:UNUSED_PAD src0_sel:DWORD src1_sel:WORD_1
	v_bfe_u32 v12, v6, 19, 4
	v_sub_u32_e32 v13, 29, v13
	v_and_b32_e32 v14, 7, v14
	v_cmp_eq_u16_e32 vcc, 0, v11
	v_cndmask_b32_e32 v10, v10, v14, vcc
	v_cndmask_b32_e32 v11, v12, v13, vcc
	v_lshlrev_b32_e32 v12, 8, v6
	v_mov_b32_e32 v13, 0x3b800000
	v_lshlrev_b32_e32 v10, 20, v10
	v_and_b32_e32 v12, 0x80000000, v12
	v_lshl_add_u32 v11, v11, 23, v13
	v_or3_b32 v10, v12, v11, v10
.LBB15_660:
	s_or_b64 exec, exec, s[6:7]
	s_movk_i32 s4, 0xff
	v_and_b32_sdwa v11, v2, s4 dst_sel:DWORD dst_unused:UNUSED_PAD src0_sel:WORD_1 src1_sel:DWORD
	s_movk_i32 s4, 0x7f
	v_cmp_lt_i16_e32 vcc, s4, v11
	s_mov_b64 s[4:5], 0
                                        ; implicit-def: $sgpr10
	s_and_saveexec_b64 s[6:7], vcc
	s_xor_b64 s[6:7], exec, s[6:7]
	s_cbranch_execnz .LBB15_2709
; %bb.661:
	s_or_saveexec_b64 s[6:7], s[6:7]
	v_mov_b32_e32 v12, s10
	s_xor_b64 exec, exec, s[6:7]
	s_cbranch_execnz .LBB15_2712
.LBB15_662:
	s_or_b64 exec, exec, s[6:7]
	s_and_saveexec_b64 s[6:7], s[4:5]
	s_cbranch_execz .LBB15_664
.LBB15_663:
	v_bfe_u32 v11, v2, 16, 3
	v_ffbh_u32_e32 v14, v11
	v_min_u32_e32 v14, 32, v14
	v_lshrrev_b32_e32 v12, 19, v2
	v_subrev_u32_e32 v15, 28, v14
	v_and_b32_e32 v12, 15, v12
	v_lshlrev_b32_sdwa v15, v15, v2 dst_sel:DWORD dst_unused:UNUSED_PAD src0_sel:DWORD src1_sel:WORD_1
	v_bfe_u32 v13, v2, 19, 4
	v_sub_u32_e32 v14, 29, v14
	v_and_b32_e32 v15, 7, v15
	v_cmp_eq_u16_e32 vcc, 0, v12
	v_cndmask_b32_e32 v11, v11, v15, vcc
	v_cndmask_b32_e32 v12, v13, v14, vcc
	v_lshlrev_b32_e32 v13, 8, v2
	v_mov_b32_e32 v14, 0x3b800000
	v_lshlrev_b32_e32 v11, 20, v11
	v_and_b32_e32 v13, 0x80000000, v13
	v_lshl_add_u32 v12, v12, 23, v14
	v_or3_b32 v12, v13, v12, v11
.LBB15_664:
	s_or_b64 exec, exec, s[6:7]
	s_nop 0
	v_mfma_f32_16x16x4f32 a[0:3], v10, v12, a[0:3]
	s_movk_i32 s4, 0x7f
	v_cmp_gt_i16_sdwa s[6:7], v6, s4 src0_sel:BYTE_3 src1_sel:DWORD
	s_mov_b64 s[4:5], 0
                                        ; implicit-def: $sgpr10
	s_and_saveexec_b64 s[8:9], s[6:7]
	s_xor_b64 s[6:7], exec, s[8:9]
	s_cbranch_execnz .LBB15_2713
; %bb.665:
	s_or_saveexec_b64 s[6:7], s[6:7]
	v_mov_b32_e32 v10, s10
	s_xor_b64 exec, exec, s[6:7]
	s_cbranch_execnz .LBB15_2716
.LBB15_666:
	s_or_b64 exec, exec, s[6:7]
	s_and_saveexec_b64 s[6:7], s[4:5]
	s_cbranch_execz .LBB15_668
.LBB15_667:
	v_bfe_u32 v10, v6, 24, 3
	v_ffbh_u32_e32 v14, v10
	v_min_u32_e32 v14, 32, v14
	v_lshrrev_b32_e32 v12, 27, v6
	v_subrev_u32_e32 v15, 28, v14
	v_and_b32_e32 v11, 0x80000000, v6
	v_and_b32_e32 v12, 15, v12
	v_bfe_u32 v13, v6, 27, 4
	v_lshlrev_b32_sdwa v6, v15, v6 dst_sel:DWORD dst_unused:UNUSED_PAD src0_sel:DWORD src1_sel:BYTE_3
	v_sub_u32_e32 v14, 29, v14
	v_and_b32_e32 v6, 7, v6
	v_cmp_eq_u16_e32 vcc, 0, v12
	v_cndmask_b32_e32 v6, v10, v6, vcc
	v_cndmask_b32_e32 v10, v13, v14, vcc
	v_mov_b32_e32 v12, 0x3b800000
	v_lshlrev_b32_e32 v6, 20, v6
	v_lshl_add_u32 v10, v10, 23, v12
	v_or3_b32 v10, v11, v10, v6
.LBB15_668:
	s_or_b64 exec, exec, s[6:7]
	s_movk_i32 s4, 0x7f
	v_cmp_gt_i16_sdwa s[6:7], v2, s4 src0_sel:BYTE_3 src1_sel:DWORD
	s_mov_b64 s[4:5], 0
                                        ; implicit-def: $sgpr10
	s_and_saveexec_b64 s[8:9], s[6:7]
	s_xor_b64 s[6:7], exec, s[8:9]
	s_cbranch_execnz .LBB15_2717
; %bb.669:
	s_or_saveexec_b64 s[6:7], s[6:7]
	v_mov_b32_e32 v6, s10
	s_xor_b64 exec, exec, s[6:7]
	s_cbranch_execnz .LBB15_2720
.LBB15_670:
	s_or_b64 exec, exec, s[6:7]
	s_and_saveexec_b64 s[6:7], s[4:5]
	s_cbranch_execz .LBB15_672
.LBB15_671:
	v_bfe_u32 v6, v2, 24, 3
	v_ffbh_u32_e32 v14, v6
	v_min_u32_e32 v14, 32, v14
	v_lshrrev_b32_e32 v12, 27, v2
	v_subrev_u32_e32 v15, 28, v14
	v_and_b32_e32 v11, 0x80000000, v2
	v_and_b32_e32 v12, 15, v12
	v_bfe_u32 v13, v2, 27, 4
	v_lshlrev_b32_sdwa v2, v15, v2 dst_sel:DWORD dst_unused:UNUSED_PAD src0_sel:DWORD src1_sel:BYTE_3
	v_sub_u32_e32 v14, 29, v14
	v_and_b32_e32 v2, 7, v2
	v_cmp_eq_u16_e32 vcc, 0, v12
	v_cndmask_b32_e32 v2, v6, v2, vcc
	v_cndmask_b32_e32 v6, v13, v14, vcc
	v_mov_b32_e32 v12, 0x3b800000
	v_lshlrev_b32_e32 v2, 20, v2
	v_lshl_add_u32 v6, v6, 23, v12
	v_or3_b32 v6, v11, v6, v2
.LBB15_672:
	s_or_b64 exec, exec, s[6:7]
	s_nop 0
	v_mfma_f32_16x16x4f32 a[0:3], v10, v6, a[0:3]
	s_movk_i32 s4, 0x7f
	v_cmp_gt_i16_sdwa s[6:7], v7, s4 src0_sel:BYTE_0 src1_sel:DWORD
	s_mov_b64 s[4:5], 0
                                        ; implicit-def: $sgpr10
	s_and_saveexec_b64 s[8:9], s[6:7]
	s_xor_b64 s[6:7], exec, s[8:9]
	s_cbranch_execnz .LBB15_2721
; %bb.673:
	s_or_saveexec_b64 s[6:7], s[6:7]
	v_mov_b32_e32 v2, s10
	s_xor_b64 exec, exec, s[6:7]
	s_cbranch_execnz .LBB15_2724
.LBB15_674:
	s_or_b64 exec, exec, s[6:7]
	s_and_saveexec_b64 s[6:7], s[4:5]
	s_cbranch_execz .LBB15_676
.LBB15_675:
	v_and_b32_e32 v2, 7, v7
	v_ffbh_u32_e32 v10, v2
	v_min_u32_e32 v10, 32, v10
	v_lshrrev_b16_e32 v6, 3, v7
	v_subrev_u32_e32 v11, 28, v10
	v_and_b32_e32 v6, 15, v6
	v_lshlrev_b32_e32 v11, v11, v7
	v_sub_u32_e32 v10, 29, v10
	v_and_b32_e32 v11, 7, v11
	v_cmp_eq_u16_e32 vcc, 0, v6
	v_cndmask_b32_e32 v2, v2, v11, vcc
	v_cndmask_b32_e32 v6, v6, v10, vcc
	v_lshlrev_b32_e32 v10, 24, v7
	v_mov_b32_e32 v11, 0x3b800000
	v_lshlrev_b32_e32 v2, 20, v2
	v_and_b32_e32 v10, 0x80000000, v10
	v_lshl_add_u32 v6, v6, 23, v11
	v_or3_b32 v2, v10, v6, v2
.LBB15_676:
	s_or_b64 exec, exec, s[6:7]
	s_movk_i32 s4, 0x7f
	v_cmp_gt_i16_sdwa s[6:7], v3, s4 src0_sel:BYTE_0 src1_sel:DWORD
	s_mov_b64 s[4:5], 0
                                        ; implicit-def: $sgpr10
	s_and_saveexec_b64 s[8:9], s[6:7]
	s_xor_b64 s[6:7], exec, s[8:9]
	s_cbranch_execnz .LBB15_2725
; %bb.677:
	s_or_saveexec_b64 s[6:7], s[6:7]
	v_mov_b32_e32 v6, s10
	s_xor_b64 exec, exec, s[6:7]
	s_cbranch_execnz .LBB15_2728
.LBB15_678:
	s_or_b64 exec, exec, s[6:7]
	s_and_saveexec_b64 s[6:7], s[4:5]
	s_cbranch_execz .LBB15_680
.LBB15_679:
	v_and_b32_e32 v6, 7, v3
	v_ffbh_u32_e32 v11, v6
	v_min_u32_e32 v11, 32, v11
	v_lshrrev_b16_e32 v10, 3, v3
	v_subrev_u32_e32 v12, 28, v11
	v_and_b32_e32 v10, 15, v10
	v_lshlrev_b32_e32 v12, v12, v3
	v_sub_u32_e32 v11, 29, v11
	v_and_b32_e32 v12, 7, v12
	v_cmp_eq_u16_e32 vcc, 0, v10
	v_cndmask_b32_e32 v6, v6, v12, vcc
	v_cndmask_b32_e32 v10, v10, v11, vcc
	v_lshlrev_b32_e32 v11, 24, v3
	v_mov_b32_e32 v12, 0x3b800000
	v_lshlrev_b32_e32 v6, 20, v6
	v_and_b32_e32 v11, 0x80000000, v11
	v_lshl_add_u32 v10, v10, 23, v12
	v_or3_b32 v6, v11, v10, v6
.LBB15_680:
	s_or_b64 exec, exec, s[6:7]
	s_nop 0
	v_mfma_f32_16x16x4f32 a[0:3], v2, v6, a[0:3]
	v_lshrrev_b32_e32 v6, 8, v7
	s_movk_i32 s4, 0x7f
	v_cmp_gt_i16_sdwa s[6:7], v6, s4 src0_sel:BYTE_0 src1_sel:DWORD
	s_mov_b64 s[4:5], 0
                                        ; implicit-def: $sgpr10
	s_and_saveexec_b64 s[8:9], s[6:7]
	s_xor_b64 s[6:7], exec, s[8:9]
	s_cbranch_execnz .LBB15_2729
; %bb.681:
	s_or_saveexec_b64 s[6:7], s[6:7]
	v_mov_b32_e32 v2, s10
	s_xor_b64 exec, exec, s[6:7]
	s_cbranch_execnz .LBB15_2732
.LBB15_682:
	s_or_b64 exec, exec, s[6:7]
	s_and_saveexec_b64 s[6:7], s[4:5]
	s_cbranch_execz .LBB15_684
.LBB15_683:
	v_bfe_u32 v2, v7, 8, 3
	v_ffbh_u32_e32 v11, v2
	v_min_u32_e32 v11, 32, v11
	v_lshrrev_b16_e32 v10, 3, v6
	v_subrev_u32_e32 v12, 28, v11
	v_and_b32_e32 v10, 15, v10
	v_lshlrev_b32_e32 v6, v12, v6
	v_sub_u32_e32 v11, 29, v11
	v_and_b32_e32 v6, 7, v6
	v_cmp_eq_u16_e32 vcc, 0, v10
	v_cndmask_b32_e32 v2, v2, v6, vcc
	v_cndmask_b32_e32 v6, v10, v11, vcc
	v_lshlrev_b32_e32 v10, 16, v7
	v_mov_b32_e32 v11, 0x3b800000
	v_lshlrev_b32_e32 v2, 20, v2
	v_and_b32_e32 v10, 0x80000000, v10
	v_lshl_add_u32 v6, v6, 23, v11
	v_or3_b32 v2, v10, v6, v2
.LBB15_684:
	s_or_b64 exec, exec, s[6:7]
	v_lshrrev_b32_e32 v6, 8, v3
	s_movk_i32 s4, 0x7f
	v_cmp_gt_i16_sdwa s[6:7], v6, s4 src0_sel:BYTE_0 src1_sel:DWORD
	s_mov_b64 s[4:5], 0
                                        ; implicit-def: $sgpr10
	s_and_saveexec_b64 s[8:9], s[6:7]
	s_xor_b64 s[6:7], exec, s[8:9]
	s_cbranch_execnz .LBB15_2733
; %bb.685:
	s_or_saveexec_b64 s[6:7], s[6:7]
	v_mov_b32_e32 v10, s10
	s_xor_b64 exec, exec, s[6:7]
	s_cbranch_execnz .LBB15_2736
.LBB15_686:
	s_or_b64 exec, exec, s[6:7]
	s_and_saveexec_b64 s[6:7], s[4:5]
	s_cbranch_execz .LBB15_688
.LBB15_687:
	v_bfe_u32 v10, v3, 8, 3
	v_ffbh_u32_e32 v12, v10
	v_min_u32_e32 v12, 32, v12
	v_lshrrev_b16_e32 v11, 3, v6
	v_subrev_u32_e32 v13, 28, v12
	v_and_b32_e32 v11, 15, v11
	v_lshlrev_b32_e32 v6, v13, v6
	v_sub_u32_e32 v12, 29, v12
	v_and_b32_e32 v6, 7, v6
	v_cmp_eq_u16_e32 vcc, 0, v11
	v_cndmask_b32_e32 v6, v10, v6, vcc
	v_cndmask_b32_e32 v10, v11, v12, vcc
	v_lshlrev_b32_e32 v11, 16, v3
	v_mov_b32_e32 v12, 0x3b800000
	v_lshlrev_b32_e32 v6, 20, v6
	v_and_b32_e32 v11, 0x80000000, v11
	v_lshl_add_u32 v10, v10, 23, v12
	v_or3_b32 v10, v11, v10, v6
.LBB15_688:
	s_or_b64 exec, exec, s[6:7]
	s_nop 0
	v_mfma_f32_16x16x4f32 a[0:3], v2, v10, a[0:3]
	s_movk_i32 s4, 0xff
	v_and_b32_sdwa v6, v7, s4 dst_sel:DWORD dst_unused:UNUSED_PAD src0_sel:WORD_1 src1_sel:DWORD
	s_movk_i32 s4, 0x7f
	v_cmp_lt_i16_e32 vcc, s4, v6
	s_mov_b64 s[4:5], 0
                                        ; implicit-def: $sgpr10
	s_and_saveexec_b64 s[6:7], vcc
	s_xor_b64 s[6:7], exec, s[6:7]
	s_cbranch_execnz .LBB15_2737
; %bb.689:
	s_or_saveexec_b64 s[6:7], s[6:7]
	v_mov_b32_e32 v2, s10
	s_xor_b64 exec, exec, s[6:7]
	s_cbranch_execnz .LBB15_2740
.LBB15_690:
	s_or_b64 exec, exec, s[6:7]
	s_and_saveexec_b64 s[6:7], s[4:5]
	s_cbranch_execz .LBB15_692
.LBB15_691:
	v_bfe_u32 v2, v7, 16, 3
	v_ffbh_u32_e32 v11, v2
	v_min_u32_e32 v11, 32, v11
	v_lshrrev_b32_e32 v6, 19, v7
	v_subrev_u32_e32 v12, 28, v11
	v_and_b32_e32 v6, 15, v6
	v_lshlrev_b32_sdwa v12, v12, v7 dst_sel:DWORD dst_unused:UNUSED_PAD src0_sel:DWORD src1_sel:WORD_1
	v_bfe_u32 v10, v7, 19, 4
	v_sub_u32_e32 v11, 29, v11
	v_and_b32_e32 v12, 7, v12
	v_cmp_eq_u16_e32 vcc, 0, v6
	v_cndmask_b32_e32 v2, v2, v12, vcc
	v_cndmask_b32_e32 v6, v10, v11, vcc
	v_lshlrev_b32_e32 v10, 8, v7
	v_mov_b32_e32 v11, 0x3b800000
	v_lshlrev_b32_e32 v2, 20, v2
	v_and_b32_e32 v10, 0x80000000, v10
	v_lshl_add_u32 v6, v6, 23, v11
	v_or3_b32 v2, v10, v6, v2
.LBB15_692:
	s_or_b64 exec, exec, s[6:7]
	s_movk_i32 s4, 0xff
	v_and_b32_sdwa v6, v3, s4 dst_sel:DWORD dst_unused:UNUSED_PAD src0_sel:WORD_1 src1_sel:DWORD
	s_movk_i32 s4, 0x7f
	v_cmp_lt_i16_e32 vcc, s4, v6
	s_mov_b64 s[4:5], 0
                                        ; implicit-def: $sgpr10
	s_and_saveexec_b64 s[6:7], vcc
	s_xor_b64 s[6:7], exec, s[6:7]
	s_cbranch_execnz .LBB15_2741
; %bb.693:
	s_or_saveexec_b64 s[6:7], s[6:7]
	v_mov_b32_e32 v10, s10
	s_xor_b64 exec, exec, s[6:7]
	s_cbranch_execnz .LBB15_2744
.LBB15_694:
	s_or_b64 exec, exec, s[6:7]
	s_and_saveexec_b64 s[6:7], s[4:5]
	s_cbranch_execz .LBB15_696
.LBB15_695:
	v_bfe_u32 v6, v3, 16, 3
	v_ffbh_u32_e32 v12, v6
	v_min_u32_e32 v12, 32, v12
	v_lshrrev_b32_e32 v10, 19, v3
	v_subrev_u32_e32 v13, 28, v12
	v_and_b32_e32 v10, 15, v10
	v_lshlrev_b32_sdwa v13, v13, v3 dst_sel:DWORD dst_unused:UNUSED_PAD src0_sel:DWORD src1_sel:WORD_1
	v_bfe_u32 v11, v3, 19, 4
	v_sub_u32_e32 v12, 29, v12
	v_and_b32_e32 v13, 7, v13
	v_cmp_eq_u16_e32 vcc, 0, v10
	v_cndmask_b32_e32 v6, v6, v13, vcc
	v_cndmask_b32_e32 v10, v11, v12, vcc
	v_lshlrev_b32_e32 v11, 8, v3
	v_mov_b32_e32 v12, 0x3b800000
	v_lshlrev_b32_e32 v6, 20, v6
	v_and_b32_e32 v11, 0x80000000, v11
	v_lshl_add_u32 v10, v10, 23, v12
	v_or3_b32 v10, v11, v10, v6
.LBB15_696:
	s_or_b64 exec, exec, s[6:7]
	s_nop 0
	v_mfma_f32_16x16x4f32 a[0:3], v2, v10, a[0:3]
	s_movk_i32 s4, 0x7f
	v_cmp_gt_i16_sdwa s[6:7], v7, s4 src0_sel:BYTE_3 src1_sel:DWORD
	s_mov_b64 s[4:5], 0
                                        ; implicit-def: $sgpr10
	s_and_saveexec_b64 s[8:9], s[6:7]
	s_xor_b64 s[6:7], exec, s[8:9]
	s_cbranch_execnz .LBB15_2745
; %bb.697:
	s_or_saveexec_b64 s[6:7], s[6:7]
	v_mov_b32_e32 v2, s10
	s_xor_b64 exec, exec, s[6:7]
	s_cbranch_execnz .LBB15_2748
.LBB15_698:
	s_or_b64 exec, exec, s[6:7]
	s_and_saveexec_b64 s[6:7], s[4:5]
	s_cbranch_execz .LBB15_700
.LBB15_699:
	v_bfe_u32 v2, v7, 24, 3
	v_ffbh_u32_e32 v12, v2
	v_min_u32_e32 v12, 32, v12
	v_lshrrev_b32_e32 v10, 27, v7
	v_subrev_u32_e32 v13, 28, v12
	v_and_b32_e32 v6, 0x80000000, v7
	v_and_b32_e32 v10, 15, v10
	v_bfe_u32 v11, v7, 27, 4
	v_lshlrev_b32_sdwa v7, v13, v7 dst_sel:DWORD dst_unused:UNUSED_PAD src0_sel:DWORD src1_sel:BYTE_3
	v_sub_u32_e32 v12, 29, v12
	v_and_b32_e32 v7, 7, v7
	v_cmp_eq_u16_e32 vcc, 0, v10
	v_cndmask_b32_e32 v2, v2, v7, vcc
	v_cndmask_b32_e32 v7, v11, v12, vcc
	v_mov_b32_e32 v10, 0x3b800000
	v_lshlrev_b32_e32 v2, 20, v2
	v_lshl_add_u32 v7, v7, 23, v10
	v_or3_b32 v2, v6, v7, v2
.LBB15_700:
	s_or_b64 exec, exec, s[6:7]
	s_movk_i32 s4, 0x7f
	v_cmp_gt_i16_sdwa s[6:7], v3, s4 src0_sel:BYTE_3 src1_sel:DWORD
	s_mov_b64 s[4:5], 0
                                        ; implicit-def: $sgpr10
	s_and_saveexec_b64 s[8:9], s[6:7]
	s_xor_b64 s[6:7], exec, s[8:9]
	s_cbranch_execnz .LBB15_2749
; %bb.701:
	s_or_saveexec_b64 s[6:7], s[6:7]
	v_mov_b32_e32 v6, s10
	s_xor_b64 exec, exec, s[6:7]
	s_cbranch_execnz .LBB15_2752
.LBB15_702:
	s_or_b64 exec, exec, s[6:7]
	s_and_saveexec_b64 s[6:7], s[4:5]
	s_cbranch_execz .LBB15_704
.LBB15_703:
	v_bfe_u32 v6, v3, 24, 3
	v_ffbh_u32_e32 v12, v6
	v_min_u32_e32 v12, 32, v12
	v_lshrrev_b32_e32 v10, 27, v3
	v_subrev_u32_e32 v13, 28, v12
	v_and_b32_e32 v7, 0x80000000, v3
	v_and_b32_e32 v10, 15, v10
	v_bfe_u32 v11, v3, 27, 4
	v_lshlrev_b32_sdwa v3, v13, v3 dst_sel:DWORD dst_unused:UNUSED_PAD src0_sel:DWORD src1_sel:BYTE_3
	v_sub_u32_e32 v12, 29, v12
	v_and_b32_e32 v3, 7, v3
	v_cmp_eq_u16_e32 vcc, 0, v10
	v_cndmask_b32_e32 v3, v6, v3, vcc
	v_cndmask_b32_e32 v6, v11, v12, vcc
	v_mov_b32_e32 v10, 0x3b800000
	v_lshlrev_b32_e32 v3, 20, v3
	v_lshl_add_u32 v6, v6, 23, v10
	v_or3_b32 v6, v7, v6, v3
.LBB15_704:
	s_or_b64 exec, exec, s[6:7]
	s_nop 0
	v_mfma_f32_16x16x4f32 a[0:3], v2, v6, a[0:3]
	s_movk_i32 s4, 0x7f
	v_cmp_gt_i16_sdwa s[6:7], v8, s4 src0_sel:BYTE_0 src1_sel:DWORD
	s_mov_b64 s[4:5], 0
                                        ; implicit-def: $sgpr10
	s_and_saveexec_b64 s[8:9], s[6:7]
	s_xor_b64 s[6:7], exec, s[8:9]
	s_cbranch_execnz .LBB15_2753
; %bb.705:
	s_or_saveexec_b64 s[6:7], s[6:7]
	v_mov_b32_e32 v2, s10
	s_xor_b64 exec, exec, s[6:7]
	s_cbranch_execnz .LBB15_2756
.LBB15_706:
	s_or_b64 exec, exec, s[6:7]
	s_and_saveexec_b64 s[6:7], s[4:5]
	s_cbranch_execz .LBB15_708
.LBB15_707:
	v_and_b32_e32 v2, 7, v8
	v_ffbh_u32_e32 v6, v2
	v_min_u32_e32 v6, 32, v6
	v_lshrrev_b16_e32 v3, 3, v8
	v_subrev_u32_e32 v7, 28, v6
	v_and_b32_e32 v3, 15, v3
	v_lshlrev_b32_e32 v7, v7, v8
	v_sub_u32_e32 v6, 29, v6
	v_and_b32_e32 v7, 7, v7
	v_cmp_eq_u16_e32 vcc, 0, v3
	v_cndmask_b32_e32 v2, v2, v7, vcc
	v_cndmask_b32_e32 v3, v3, v6, vcc
	v_lshlrev_b32_e32 v6, 24, v8
	v_mov_b32_e32 v7, 0x3b800000
	v_lshlrev_b32_e32 v2, 20, v2
	v_and_b32_e32 v6, 0x80000000, v6
	v_lshl_add_u32 v3, v3, 23, v7
	v_or3_b32 v2, v6, v3, v2
.LBB15_708:
	s_or_b64 exec, exec, s[6:7]
	s_movk_i32 s4, 0x7f
	v_cmp_gt_i16_sdwa s[6:7], v4, s4 src0_sel:BYTE_0 src1_sel:DWORD
	s_mov_b64 s[4:5], 0
                                        ; implicit-def: $sgpr10
	s_and_saveexec_b64 s[8:9], s[6:7]
	s_xor_b64 s[6:7], exec, s[8:9]
	s_cbranch_execnz .LBB15_2757
; %bb.709:
	s_or_saveexec_b64 s[6:7], s[6:7]
	v_mov_b32_e32 v3, s10
	s_xor_b64 exec, exec, s[6:7]
	s_cbranch_execnz .LBB15_2760
.LBB15_710:
	s_or_b64 exec, exec, s[6:7]
	s_and_saveexec_b64 s[6:7], s[4:5]
	s_cbranch_execz .LBB15_712
.LBB15_711:
	v_and_b32_e32 v3, 7, v4
	v_ffbh_u32_e32 v7, v3
	v_min_u32_e32 v7, 32, v7
	v_lshrrev_b16_e32 v6, 3, v4
	v_subrev_u32_e32 v10, 28, v7
	v_and_b32_e32 v6, 15, v6
	v_lshlrev_b32_e32 v10, v10, v4
	v_sub_u32_e32 v7, 29, v7
	v_and_b32_e32 v10, 7, v10
	v_cmp_eq_u16_e32 vcc, 0, v6
	v_cndmask_b32_e32 v3, v3, v10, vcc
	v_cndmask_b32_e32 v6, v6, v7, vcc
	v_lshlrev_b32_e32 v7, 24, v4
	v_mov_b32_e32 v10, 0x3b800000
	v_lshlrev_b32_e32 v3, 20, v3
	v_and_b32_e32 v7, 0x80000000, v7
	v_lshl_add_u32 v6, v6, 23, v10
	v_or3_b32 v3, v7, v6, v3
.LBB15_712:
	s_or_b64 exec, exec, s[6:7]
	s_nop 0
	v_mfma_f32_16x16x4f32 a[0:3], v2, v3, a[0:3]
	v_lshrrev_b32_e32 v3, 8, v8
	s_movk_i32 s4, 0x7f
	v_cmp_gt_i16_sdwa s[6:7], v3, s4 src0_sel:BYTE_0 src1_sel:DWORD
	s_mov_b64 s[4:5], 0
                                        ; implicit-def: $sgpr10
	s_and_saveexec_b64 s[8:9], s[6:7]
	s_xor_b64 s[6:7], exec, s[8:9]
	s_cbranch_execnz .LBB15_2761
; %bb.713:
	s_or_saveexec_b64 s[6:7], s[6:7]
	v_mov_b32_e32 v2, s10
	s_xor_b64 exec, exec, s[6:7]
	s_cbranch_execnz .LBB15_2764
.LBB15_714:
	s_or_b64 exec, exec, s[6:7]
	s_and_saveexec_b64 s[6:7], s[4:5]
	s_cbranch_execz .LBB15_716
.LBB15_715:
	v_bfe_u32 v2, v8, 8, 3
	v_ffbh_u32_e32 v7, v2
	v_min_u32_e32 v7, 32, v7
	v_lshrrev_b16_e32 v6, 3, v3
	v_subrev_u32_e32 v10, 28, v7
	v_and_b32_e32 v6, 15, v6
	v_lshlrev_b32_e32 v3, v10, v3
	v_sub_u32_e32 v7, 29, v7
	v_and_b32_e32 v3, 7, v3
	v_cmp_eq_u16_e32 vcc, 0, v6
	v_cndmask_b32_e32 v2, v2, v3, vcc
	v_cndmask_b32_e32 v3, v6, v7, vcc
	v_lshlrev_b32_e32 v6, 16, v8
	v_mov_b32_e32 v7, 0x3b800000
	v_lshlrev_b32_e32 v2, 20, v2
	v_and_b32_e32 v6, 0x80000000, v6
	v_lshl_add_u32 v3, v3, 23, v7
	v_or3_b32 v2, v6, v3, v2
.LBB15_716:
	s_or_b64 exec, exec, s[6:7]
	v_lshrrev_b32_e32 v3, 8, v4
	s_movk_i32 s4, 0x7f
	v_cmp_gt_i16_sdwa s[6:7], v3, s4 src0_sel:BYTE_0 src1_sel:DWORD
	s_mov_b64 s[4:5], 0
                                        ; implicit-def: $sgpr10
	s_and_saveexec_b64 s[8:9], s[6:7]
	s_xor_b64 s[6:7], exec, s[8:9]
	s_cbranch_execnz .LBB15_2765
; %bb.717:
	s_or_saveexec_b64 s[6:7], s[6:7]
	v_mov_b32_e32 v6, s10
	s_xor_b64 exec, exec, s[6:7]
	s_cbranch_execnz .LBB15_2768
.LBB15_718:
	s_or_b64 exec, exec, s[6:7]
	s_and_saveexec_b64 s[6:7], s[4:5]
	s_cbranch_execz .LBB15_720
.LBB15_719:
	v_bfe_u32 v6, v4, 8, 3
	v_ffbh_u32_e32 v10, v6
	v_min_u32_e32 v10, 32, v10
	v_lshrrev_b16_e32 v7, 3, v3
	v_subrev_u32_e32 v11, 28, v10
	v_and_b32_e32 v7, 15, v7
	v_lshlrev_b32_e32 v3, v11, v3
	v_sub_u32_e32 v10, 29, v10
	v_and_b32_e32 v3, 7, v3
	v_cmp_eq_u16_e32 vcc, 0, v7
	v_cndmask_b32_e32 v3, v6, v3, vcc
	v_cndmask_b32_e32 v6, v7, v10, vcc
	v_lshlrev_b32_e32 v7, 16, v4
	v_mov_b32_e32 v10, 0x3b800000
	v_lshlrev_b32_e32 v3, 20, v3
	v_and_b32_e32 v7, 0x80000000, v7
	v_lshl_add_u32 v6, v6, 23, v10
	v_or3_b32 v6, v7, v6, v3
.LBB15_720:
	s_or_b64 exec, exec, s[6:7]
	s_nop 0
	v_mfma_f32_16x16x4f32 a[0:3], v2, v6, a[0:3]
	s_movk_i32 s4, 0xff
	v_and_b32_sdwa v3, v8, s4 dst_sel:DWORD dst_unused:UNUSED_PAD src0_sel:WORD_1 src1_sel:DWORD
	s_movk_i32 s4, 0x7f
	v_cmp_lt_i16_e32 vcc, s4, v3
	s_mov_b64 s[4:5], 0
                                        ; implicit-def: $sgpr10
	s_and_saveexec_b64 s[6:7], vcc
	s_xor_b64 s[6:7], exec, s[6:7]
	s_cbranch_execnz .LBB15_2769
; %bb.721:
	s_or_saveexec_b64 s[6:7], s[6:7]
	v_mov_b32_e32 v2, s10
	s_xor_b64 exec, exec, s[6:7]
	s_cbranch_execnz .LBB15_2772
.LBB15_722:
	s_or_b64 exec, exec, s[6:7]
	s_and_saveexec_b64 s[6:7], s[4:5]
	s_cbranch_execz .LBB15_724
.LBB15_723:
	v_bfe_u32 v2, v8, 16, 3
	v_ffbh_u32_e32 v7, v2
	v_min_u32_e32 v7, 32, v7
	v_lshrrev_b32_e32 v3, 19, v8
	v_subrev_u32_e32 v10, 28, v7
	v_and_b32_e32 v3, 15, v3
	v_lshlrev_b32_sdwa v10, v10, v8 dst_sel:DWORD dst_unused:UNUSED_PAD src0_sel:DWORD src1_sel:WORD_1
	v_bfe_u32 v6, v8, 19, 4
	v_sub_u32_e32 v7, 29, v7
	v_and_b32_e32 v10, 7, v10
	v_cmp_eq_u16_e32 vcc, 0, v3
	v_cndmask_b32_e32 v2, v2, v10, vcc
	v_cndmask_b32_e32 v3, v6, v7, vcc
	v_lshlrev_b32_e32 v6, 8, v8
	v_mov_b32_e32 v7, 0x3b800000
	v_lshlrev_b32_e32 v2, 20, v2
	v_and_b32_e32 v6, 0x80000000, v6
	v_lshl_add_u32 v3, v3, 23, v7
	v_or3_b32 v2, v6, v3, v2
.LBB15_724:
	s_or_b64 exec, exec, s[6:7]
	s_movk_i32 s4, 0xff
	v_and_b32_sdwa v3, v4, s4 dst_sel:DWORD dst_unused:UNUSED_PAD src0_sel:WORD_1 src1_sel:DWORD
	s_movk_i32 s4, 0x7f
	v_cmp_lt_i16_e32 vcc, s4, v3
	s_mov_b64 s[4:5], 0
                                        ; implicit-def: $sgpr10
	s_and_saveexec_b64 s[6:7], vcc
	s_xor_b64 s[6:7], exec, s[6:7]
	s_cbranch_execnz .LBB15_2773
; %bb.725:
	s_or_saveexec_b64 s[6:7], s[6:7]
	v_mov_b32_e32 v6, s10
	s_xor_b64 exec, exec, s[6:7]
	s_cbranch_execnz .LBB15_2776
.LBB15_726:
	s_or_b64 exec, exec, s[6:7]
	s_and_saveexec_b64 s[6:7], s[4:5]
	s_cbranch_execz .LBB15_728
.LBB15_727:
	v_bfe_u32 v3, v4, 16, 3
	v_ffbh_u32_e32 v10, v3
	v_min_u32_e32 v10, 32, v10
	v_lshrrev_b32_e32 v6, 19, v4
	v_subrev_u32_e32 v11, 28, v10
	v_and_b32_e32 v6, 15, v6
	v_lshlrev_b32_sdwa v11, v11, v4 dst_sel:DWORD dst_unused:UNUSED_PAD src0_sel:DWORD src1_sel:WORD_1
	v_bfe_u32 v7, v4, 19, 4
	v_sub_u32_e32 v10, 29, v10
	v_and_b32_e32 v11, 7, v11
	v_cmp_eq_u16_e32 vcc, 0, v6
	v_cndmask_b32_e32 v3, v3, v11, vcc
	v_cndmask_b32_e32 v6, v7, v10, vcc
	v_lshlrev_b32_e32 v7, 8, v4
	v_mov_b32_e32 v10, 0x3b800000
	v_lshlrev_b32_e32 v3, 20, v3
	v_and_b32_e32 v7, 0x80000000, v7
	v_lshl_add_u32 v6, v6, 23, v10
	v_or3_b32 v6, v7, v6, v3
.LBB15_728:
	s_or_b64 exec, exec, s[6:7]
	s_nop 0
	v_mfma_f32_16x16x4f32 a[0:3], v2, v6, a[0:3]
	s_movk_i32 s4, 0x7f
	v_cmp_gt_i16_sdwa s[6:7], v8, s4 src0_sel:BYTE_3 src1_sel:DWORD
	s_mov_b64 s[4:5], 0
                                        ; implicit-def: $sgpr10
	s_and_saveexec_b64 s[8:9], s[6:7]
	s_xor_b64 s[6:7], exec, s[8:9]
	s_cbranch_execnz .LBB15_2777
; %bb.729:
	s_or_saveexec_b64 s[6:7], s[6:7]
	v_mov_b32_e32 v2, s10
	s_xor_b64 exec, exec, s[6:7]
	s_cbranch_execnz .LBB15_2780
.LBB15_730:
	s_or_b64 exec, exec, s[6:7]
	s_and_saveexec_b64 s[6:7], s[4:5]
	s_cbranch_execz .LBB15_732
.LBB15_731:
	v_bfe_u32 v2, v8, 24, 3
	v_ffbh_u32_e32 v10, v2
	v_min_u32_e32 v10, 32, v10
	v_lshrrev_b32_e32 v6, 27, v8
	v_subrev_u32_e32 v11, 28, v10
	v_and_b32_e32 v3, 0x80000000, v8
	v_and_b32_e32 v6, 15, v6
	v_bfe_u32 v7, v8, 27, 4
	v_lshlrev_b32_sdwa v8, v11, v8 dst_sel:DWORD dst_unused:UNUSED_PAD src0_sel:DWORD src1_sel:BYTE_3
	v_sub_u32_e32 v10, 29, v10
	v_and_b32_e32 v8, 7, v8
	v_cmp_eq_u16_e32 vcc, 0, v6
	v_cndmask_b32_e32 v2, v2, v8, vcc
	v_cndmask_b32_e32 v6, v7, v10, vcc
	v_mov_b32_e32 v7, 0x3b800000
	v_lshlrev_b32_e32 v2, 20, v2
	v_lshl_add_u32 v6, v6, 23, v7
	v_or3_b32 v2, v3, v6, v2
.LBB15_732:
	s_or_b64 exec, exec, s[6:7]
	s_movk_i32 s4, 0x7f
	v_cmp_gt_i16_sdwa s[6:7], v4, s4 src0_sel:BYTE_3 src1_sel:DWORD
	s_mov_b64 s[4:5], 0
                                        ; implicit-def: $sgpr10
	s_and_saveexec_b64 s[8:9], s[6:7]
	s_xor_b64 s[6:7], exec, s[8:9]
	s_cbranch_execnz .LBB15_2781
; %bb.733:
	s_or_saveexec_b64 s[6:7], s[6:7]
	v_mov_b32_e32 v3, s10
	s_xor_b64 exec, exec, s[6:7]
	s_cbranch_execnz .LBB15_2784
.LBB15_734:
	s_or_b64 exec, exec, s[6:7]
	s_and_saveexec_b64 s[6:7], s[4:5]
	s_cbranch_execz .LBB15_736
.LBB15_735:
	v_bfe_u32 v3, v4, 24, 3
	v_ffbh_u32_e32 v10, v3
	v_min_u32_e32 v10, 32, v10
	v_lshrrev_b32_e32 v7, 27, v4
	v_subrev_u32_e32 v11, 28, v10
	v_and_b32_e32 v6, 0x80000000, v4
	v_and_b32_e32 v7, 15, v7
	v_bfe_u32 v8, v4, 27, 4
	v_lshlrev_b32_sdwa v4, v11, v4 dst_sel:DWORD dst_unused:UNUSED_PAD src0_sel:DWORD src1_sel:BYTE_3
	v_sub_u32_e32 v10, 29, v10
	v_and_b32_e32 v4, 7, v4
	v_cmp_eq_u16_e32 vcc, 0, v7
	v_cndmask_b32_e32 v3, v3, v4, vcc
	v_cndmask_b32_e32 v4, v8, v10, vcc
	v_mov_b32_e32 v7, 0x3b800000
	v_lshlrev_b32_e32 v3, 20, v3
	v_lshl_add_u32 v4, v4, 23, v7
	v_or3_b32 v3, v6, v4, v3
.LBB15_736:
	s_or_b64 exec, exec, s[6:7]
	s_nop 0
	v_mfma_f32_16x16x4f32 a[0:3], v2, v3, a[0:3]
	s_movk_i32 s4, 0x7f
	v_cmp_gt_i16_sdwa s[6:7], v9, s4 src0_sel:BYTE_0 src1_sel:DWORD
	s_mov_b64 s[4:5], 0
                                        ; implicit-def: $sgpr10
	s_and_saveexec_b64 s[8:9], s[6:7]
	s_xor_b64 s[6:7], exec, s[8:9]
	s_cbranch_execnz .LBB15_2785
; %bb.737:
	s_or_saveexec_b64 s[6:7], s[6:7]
	v_mov_b32_e32 v2, s10
	s_xor_b64 exec, exec, s[6:7]
	s_cbranch_execnz .LBB15_2788
.LBB15_738:
	s_or_b64 exec, exec, s[6:7]
	s_and_saveexec_b64 s[6:7], s[4:5]
	s_cbranch_execz .LBB15_740
.LBB15_739:
	v_mov_b32_e32 v2, 8
	v_and_b32_e32 v3, 7, v9
	v_lshrrev_b32_sdwa v2, v2, v9 dst_sel:BYTE_1 dst_unused:UNUSED_PAD src0_sel:DWORD src1_sel:DWORD
	v_ffbh_u32_e32 v4, v3
	v_or_b32_sdwa v2, v9, v2 dst_sel:DWORD dst_unused:UNUSED_PAD src0_sel:BYTE_0 src1_sel:DWORD
	v_min_u32_e32 v4, 32, v4
	v_lshrrev_b16_e32 v2, 3, v2
	v_subrev_u32_e32 v6, 28, v4
	v_and_b32_e32 v2, 15, v2
	v_lshlrev_b32_e32 v6, v6, v9
	v_sub_u32_e32 v4, 29, v4
	v_and_b32_e32 v6, 7, v6
	v_cmp_eq_u16_e32 vcc, 0, v2
	v_cndmask_b32_e32 v3, v3, v6, vcc
	v_cndmask_b32_e32 v2, v2, v4, vcc
	v_lshlrev_b32_e32 v4, 24, v9
	v_mov_b32_e32 v6, 0x3b800000
	v_lshlrev_b32_e32 v3, 20, v3
	v_and_b32_e32 v4, 0x80000000, v4
	v_lshl_add_u32 v2, v2, 23, v6
	v_or3_b32 v2, v4, v2, v3
.LBB15_740:
	s_or_b64 exec, exec, s[6:7]
	s_movk_i32 s4, 0x7f
	v_cmp_gt_i16_sdwa s[6:7], v5, s4 src0_sel:BYTE_0 src1_sel:DWORD
	s_mov_b64 s[4:5], 0
                                        ; implicit-def: $sgpr10
	s_and_saveexec_b64 s[8:9], s[6:7]
	s_xor_b64 s[6:7], exec, s[8:9]
	s_cbranch_execnz .LBB15_2789
; %bb.741:
	s_or_saveexec_b64 s[6:7], s[6:7]
	v_mov_b32_e32 v3, s10
	s_xor_b64 exec, exec, s[6:7]
	s_cbranch_execnz .LBB15_2792
.LBB15_742:
	s_or_b64 exec, exec, s[6:7]
	s_and_saveexec_b64 s[6:7], s[4:5]
	s_cbranch_execz .LBB15_744
.LBB15_743:
	v_mov_b32_e32 v3, 8
	v_and_b32_e32 v4, 7, v5
	v_lshrrev_b32_sdwa v3, v3, v5 dst_sel:BYTE_1 dst_unused:UNUSED_PAD src0_sel:DWORD src1_sel:DWORD
	v_ffbh_u32_e32 v6, v4
	v_or_b32_sdwa v3, v5, v3 dst_sel:DWORD dst_unused:UNUSED_PAD src0_sel:BYTE_0 src1_sel:DWORD
	v_min_u32_e32 v6, 32, v6
	v_lshrrev_b16_e32 v3, 3, v3
	v_subrev_u32_e32 v7, 28, v6
	v_and_b32_e32 v3, 15, v3
	v_lshlrev_b32_e32 v7, v7, v5
	v_sub_u32_e32 v6, 29, v6
	v_and_b32_e32 v7, 7, v7
	v_cmp_eq_u16_e32 vcc, 0, v3
	v_cndmask_b32_e32 v4, v4, v7, vcc
	v_cndmask_b32_e32 v3, v3, v6, vcc
	v_lshlrev_b32_e32 v6, 24, v5
	v_mov_b32_e32 v7, 0x3b800000
	v_lshlrev_b32_e32 v4, 20, v4
	v_and_b32_e32 v6, 0x80000000, v6
	v_lshl_add_u32 v3, v3, 23, v7
	v_or3_b32 v3, v6, v3, v4
.LBB15_744:
	s_or_b64 exec, exec, s[6:7]
	s_nop 0
	v_mfma_f32_16x16x4f32 a[0:3], v2, v3, a[0:3]
	v_lshrrev_b32_e32 v3, 8, v9
	s_movk_i32 s4, 0x7f
	v_cmp_gt_i16_sdwa s[6:7], v3, s4 src0_sel:BYTE_0 src1_sel:DWORD
	s_mov_b64 s[4:5], 0
                                        ; implicit-def: $sgpr10
	s_and_saveexec_b64 s[8:9], s[6:7]
	s_xor_b64 s[6:7], exec, s[8:9]
	s_cbranch_execnz .LBB15_2793
; %bb.745:
	s_or_saveexec_b64 s[6:7], s[6:7]
	v_mov_b32_e32 v2, s10
	s_xor_b64 exec, exec, s[6:7]
	s_cbranch_execnz .LBB15_2796
.LBB15_746:
	s_or_b64 exec, exec, s[6:7]
	s_and_saveexec_b64 s[6:7], s[4:5]
	s_cbranch_execz .LBB15_748
.LBB15_747:
	v_bfe_u32 v2, v9, 8, 3
	v_ffbh_u32_e32 v6, v2
	v_min_u32_e32 v6, 32, v6
	v_lshrrev_b16_e32 v4, 3, v3
	v_subrev_u32_e32 v7, 28, v6
	v_and_b32_e32 v4, 15, v4
	v_lshlrev_b32_e32 v3, v7, v3
	v_sub_u32_e32 v6, 29, v6
	v_and_b32_e32 v3, 7, v3
	v_cmp_eq_u16_e32 vcc, 0, v4
	v_cndmask_b32_e32 v2, v2, v3, vcc
	v_cndmask_b32_e32 v3, v4, v6, vcc
	v_lshlrev_b32_e32 v4, 16, v9
	v_mov_b32_e32 v6, 0x3b800000
	v_lshlrev_b32_e32 v2, 20, v2
	v_and_b32_e32 v4, 0x80000000, v4
	v_lshl_add_u32 v3, v3, 23, v6
	v_or3_b32 v2, v4, v3, v2
.LBB15_748:
	s_or_b64 exec, exec, s[6:7]
	v_lshrrev_b32_e32 v3, 8, v5
	s_movk_i32 s4, 0x7f
	v_cmp_gt_i16_sdwa s[6:7], v3, s4 src0_sel:BYTE_0 src1_sel:DWORD
	s_mov_b64 s[4:5], 0
                                        ; implicit-def: $sgpr10
	s_and_saveexec_b64 s[8:9], s[6:7]
	s_xor_b64 s[6:7], exec, s[8:9]
	s_cbranch_execnz .LBB15_2797
; %bb.749:
	s_or_saveexec_b64 s[6:7], s[6:7]
	v_mov_b32_e32 v4, s10
	s_xor_b64 exec, exec, s[6:7]
	s_cbranch_execnz .LBB15_2800
.LBB15_750:
	s_or_b64 exec, exec, s[6:7]
	s_and_saveexec_b64 s[6:7], s[4:5]
	s_cbranch_execz .LBB15_752
.LBB15_751:
	v_bfe_u32 v4, v5, 8, 3
	v_ffbh_u32_e32 v7, v4
	v_min_u32_e32 v7, 32, v7
	v_lshrrev_b16_e32 v6, 3, v3
	v_subrev_u32_e32 v8, 28, v7
	v_and_b32_e32 v6, 15, v6
	v_lshlrev_b32_e32 v3, v8, v3
	v_sub_u32_e32 v7, 29, v7
	v_and_b32_e32 v3, 7, v3
	v_cmp_eq_u16_e32 vcc, 0, v6
	v_cndmask_b32_e32 v3, v4, v3, vcc
	v_cndmask_b32_e32 v4, v6, v7, vcc
	v_lshlrev_b32_e32 v6, 16, v5
	v_mov_b32_e32 v7, 0x3b800000
	v_lshlrev_b32_e32 v3, 20, v3
	v_and_b32_e32 v6, 0x80000000, v6
	v_lshl_add_u32 v4, v4, 23, v7
	v_or3_b32 v4, v6, v4, v3
.LBB15_752:
	s_or_b64 exec, exec, s[6:7]
	s_nop 0
	v_mfma_f32_16x16x4f32 a[0:3], v2, v4, a[0:3]
	s_movk_i32 s4, 0xff
	v_and_b32_sdwa v3, v9, s4 dst_sel:DWORD dst_unused:UNUSED_PAD src0_sel:WORD_1 src1_sel:DWORD
	s_movk_i32 s4, 0x7f
	v_cmp_lt_i16_e32 vcc, s4, v3
	s_mov_b64 s[4:5], 0
                                        ; implicit-def: $sgpr10
	s_and_saveexec_b64 s[6:7], vcc
	s_xor_b64 s[6:7], exec, s[6:7]
	s_cbranch_execnz .LBB15_2801
; %bb.753:
	s_or_saveexec_b64 s[6:7], s[6:7]
	v_mov_b32_e32 v2, s10
	s_xor_b64 exec, exec, s[6:7]
	s_cbranch_execnz .LBB15_2804
.LBB15_754:
	s_or_b64 exec, exec, s[6:7]
	s_and_saveexec_b64 s[6:7], s[4:5]
	s_cbranch_execz .LBB15_756
.LBB15_755:
	v_bfe_u32 v2, v9, 16, 3
	v_ffbh_u32_e32 v6, v2
	v_min_u32_e32 v6, 32, v6
	v_lshrrev_b32_e32 v3, 19, v9
	v_subrev_u32_e32 v7, 28, v6
	v_and_b32_e32 v3, 15, v3
	v_lshlrev_b32_sdwa v7, v7, v9 dst_sel:DWORD dst_unused:UNUSED_PAD src0_sel:DWORD src1_sel:WORD_1
	v_bfe_u32 v4, v9, 19, 4
	v_sub_u32_e32 v6, 29, v6
	v_and_b32_e32 v7, 7, v7
	v_cmp_eq_u16_e32 vcc, 0, v3
	v_cndmask_b32_e32 v2, v2, v7, vcc
	v_cndmask_b32_e32 v3, v4, v6, vcc
	v_lshlrev_b32_e32 v4, 8, v9
	v_mov_b32_e32 v6, 0x3b800000
	v_lshlrev_b32_e32 v2, 20, v2
	v_and_b32_e32 v4, 0x80000000, v4
	v_lshl_add_u32 v3, v3, 23, v6
	v_or3_b32 v2, v4, v3, v2
.LBB15_756:
	s_or_b64 exec, exec, s[6:7]
	s_movk_i32 s4, 0xff
	v_and_b32_sdwa v3, v5, s4 dst_sel:DWORD dst_unused:UNUSED_PAD src0_sel:WORD_1 src1_sel:DWORD
	s_movk_i32 s4, 0x7f
	v_cmp_lt_i16_e32 vcc, s4, v3
	s_mov_b64 s[4:5], 0
                                        ; implicit-def: $sgpr10
	s_and_saveexec_b64 s[6:7], vcc
	s_xor_b64 s[6:7], exec, s[6:7]
	s_cbranch_execnz .LBB15_2805
; %bb.757:
	s_or_saveexec_b64 s[6:7], s[6:7]
	v_mov_b32_e32 v4, s10
	s_xor_b64 exec, exec, s[6:7]
	s_cbranch_execnz .LBB15_2808
.LBB15_758:
	s_or_b64 exec, exec, s[6:7]
	s_and_saveexec_b64 s[6:7], s[4:5]
	s_cbranch_execz .LBB15_760
.LBB15_759:
	v_bfe_u32 v3, v5, 16, 3
	v_ffbh_u32_e32 v7, v3
	v_min_u32_e32 v7, 32, v7
	v_lshrrev_b32_e32 v4, 19, v5
	v_subrev_u32_e32 v8, 28, v7
	v_and_b32_e32 v4, 15, v4
	v_lshlrev_b32_sdwa v8, v8, v5 dst_sel:DWORD dst_unused:UNUSED_PAD src0_sel:DWORD src1_sel:WORD_1
	v_bfe_u32 v6, v5, 19, 4
	v_sub_u32_e32 v7, 29, v7
	v_and_b32_e32 v8, 7, v8
	v_cmp_eq_u16_e32 vcc, 0, v4
	v_cndmask_b32_e32 v3, v3, v8, vcc
	v_cndmask_b32_e32 v4, v6, v7, vcc
	v_lshlrev_b32_e32 v6, 8, v5
	v_mov_b32_e32 v7, 0x3b800000
	v_lshlrev_b32_e32 v3, 20, v3
	v_and_b32_e32 v6, 0x80000000, v6
	v_lshl_add_u32 v4, v4, 23, v7
	v_or3_b32 v4, v6, v4, v3
.LBB15_760:
	s_or_b64 exec, exec, s[6:7]
	s_nop 0
	v_mfma_f32_16x16x4f32 a[0:3], v2, v4, a[0:3]
	s_movk_i32 s4, 0x7f
	v_cmp_gt_i16_sdwa s[6:7], v9, s4 src0_sel:BYTE_3 src1_sel:DWORD
	s_mov_b64 s[4:5], 0
                                        ; implicit-def: $sgpr10
	s_and_saveexec_b64 s[8:9], s[6:7]
	s_xor_b64 s[6:7], exec, s[8:9]
	s_cbranch_execnz .LBB15_2809
; %bb.761:
	s_or_saveexec_b64 s[6:7], s[6:7]
	v_mov_b32_e32 v2, s10
	s_xor_b64 exec, exec, s[6:7]
	s_cbranch_execnz .LBB15_2812
.LBB15_762:
	s_or_b64 exec, exec, s[6:7]
	s_and_saveexec_b64 s[6:7], s[4:5]
	s_cbranch_execz .LBB15_764
.LBB15_763:
	v_bfe_u32 v2, v9, 24, 3
	v_ffbh_u32_e32 v7, v2
	v_min_u32_e32 v7, 32, v7
	v_lshrrev_b32_e32 v4, 27, v9
	v_subrev_u32_e32 v8, 28, v7
	v_and_b32_e32 v4, 15, v4
	v_lshlrev_b32_sdwa v8, v8, v9 dst_sel:DWORD dst_unused:UNUSED_PAD src0_sel:DWORD src1_sel:BYTE_3
	v_bfe_u32 v6, v9, 27, 4
	v_sub_u32_e32 v7, 29, v7
	v_and_b32_e32 v8, 7, v8
	v_cmp_eq_u16_e32 vcc, 0, v4
	v_cndmask_b32_e32 v2, v2, v8, vcc
	v_cndmask_b32_e32 v4, v6, v7, vcc
	v_mov_b32_e32 v6, 0x3b800000
	v_and_b32_e32 v3, 0x80000000, v9
	v_lshlrev_b32_e32 v2, 20, v2
	v_lshl_add_u32 v4, v4, 23, v6
	v_or3_b32 v2, v3, v4, v2
.LBB15_764:
	s_or_b64 exec, exec, s[6:7]
	s_movk_i32 s4, 0x7f
	v_cmp_gt_i16_sdwa s[6:7], v5, s4 src0_sel:BYTE_3 src1_sel:DWORD
	s_mov_b64 s[4:5], 0
                                        ; implicit-def: $sgpr10
	s_and_saveexec_b64 s[8:9], s[6:7]
	s_xor_b64 s[6:7], exec, s[8:9]
	s_cbranch_execnz .LBB15_2813
; %bb.765:
	s_or_saveexec_b64 s[6:7], s[6:7]
	v_mov_b32_e32 v3, s10
	s_xor_b64 exec, exec, s[6:7]
	s_cbranch_execnz .LBB15_2816
.LBB15_766:
	s_or_b64 exec, exec, s[6:7]
	s_and_saveexec_b64 s[6:7], s[4:5]
	s_cbranch_execz .LBB15_768
.LBB15_767:
	v_bfe_u32 v3, v5, 24, 3
	v_ffbh_u32_e32 v8, v3
	v_min_u32_e32 v8, 32, v8
	v_lshrrev_b32_e32 v6, 27, v5
	v_subrev_u32_e32 v9, 28, v8
	v_and_b32_e32 v4, 0x80000000, v5
	v_and_b32_e32 v6, 15, v6
	v_bfe_u32 v7, v5, 27, 4
	v_lshlrev_b32_sdwa v5, v9, v5 dst_sel:DWORD dst_unused:UNUSED_PAD src0_sel:DWORD src1_sel:BYTE_3
	v_sub_u32_e32 v8, 29, v8
	v_and_b32_e32 v5, 7, v5
	v_cmp_eq_u16_e32 vcc, 0, v6
	v_cndmask_b32_e32 v3, v3, v5, vcc
	v_cndmask_b32_e32 v5, v7, v8, vcc
	v_mov_b32_e32 v6, 0x3b800000
	v_lshlrev_b32_e32 v3, 20, v3
	v_lshl_add_u32 v5, v5, 23, v6
	v_or3_b32 v3, v4, v5, v3
.LBB15_768:
	s_or_b64 exec, exec, s[6:7]
	s_nop 0
	v_mfma_f32_16x16x4f32 a[0:3], v2, v3, a[0:3]
	s_movk_i32 s4, 0x7f
                                        ; implicit-def: $sgpr10
	s_nop 7
	s_nop 1
	flat_store_dwordx4 v[18:19], a[0:3] offset:672
	flat_load_dwordx4 v[20:23], v[0:1] offset:16
	s_nop 0
	flat_load_dwordx2 v[18:19], v[0:1] offset:32
	s_waitcnt vmcnt(0) lgkmcnt(0)
	flat_load_dwordx4 v[14:17], v[20:21] offset:32
	flat_load_dwordx4 v[6:9], v[20:21] offset:48
	;; [unrolled: 1-line block ×4, first 2 shown]
	s_waitcnt vmcnt(0) lgkmcnt(0)
	v_cmp_gt_i16_sdwa s[6:7], v14, s4 src0_sel:BYTE_0 src1_sel:DWORD
	s_mov_b64 s[4:5], 0
	s_and_saveexec_b64 s[8:9], s[6:7]
	s_xor_b64 s[6:7], exec, s[8:9]
	s_cbranch_execnz .LBB15_2817
; %bb.769:
	s_or_saveexec_b64 s[6:7], s[6:7]
	v_mov_b32_e32 v20, s10
	s_xor_b64 exec, exec, s[6:7]
	s_cbranch_execnz .LBB15_2820
.LBB15_770:
	s_or_b64 exec, exec, s[6:7]
	s_and_saveexec_b64 s[6:7], s[4:5]
	s_cbranch_execz .LBB15_772
.LBB15_771:
	v_and_b32_e32 v20, 7, v14
	v_ffbh_u32_e32 v22, v20
	v_min_u32_e32 v22, 32, v22
	v_lshrrev_b16_e32 v21, 3, v14
	v_subrev_u32_e32 v23, 28, v22
	v_and_b32_e32 v21, 15, v21
	v_lshlrev_b32_e32 v23, v23, v14
	v_sub_u32_e32 v22, 29, v22
	v_and_b32_e32 v23, 7, v23
	v_cmp_eq_u16_e32 vcc, 0, v21
	v_cndmask_b32_e32 v20, v20, v23, vcc
	v_cndmask_b32_e32 v21, v21, v22, vcc
	v_lshlrev_b32_e32 v22, 24, v14
	v_mov_b32_e32 v23, 0x3b800000
	v_lshlrev_b32_e32 v20, 20, v20
	v_and_b32_e32 v22, 0x80000000, v22
	v_lshl_add_u32 v21, v21, 23, v23
	v_or3_b32 v20, v22, v21, v20
.LBB15_772:
	s_or_b64 exec, exec, s[6:7]
	s_movk_i32 s4, 0x7f
	v_cmp_gt_i16_sdwa s[6:7], v10, s4 src0_sel:BYTE_0 src1_sel:DWORD
	s_mov_b64 s[4:5], 0
                                        ; implicit-def: $sgpr10
	s_and_saveexec_b64 s[8:9], s[6:7]
	s_xor_b64 s[6:7], exec, s[8:9]
	s_cbranch_execnz .LBB15_2821
; %bb.773:
	s_or_saveexec_b64 s[6:7], s[6:7]
	v_mov_b32_e32 v21, s10
	s_xor_b64 exec, exec, s[6:7]
	s_cbranch_execnz .LBB15_2824
.LBB15_774:
	s_or_b64 exec, exec, s[6:7]
	s_and_saveexec_b64 s[6:7], s[4:5]
	s_cbranch_execz .LBB15_776
.LBB15_775:
	v_and_b32_e32 v21, 7, v10
	v_ffbh_u32_e32 v23, v21
	v_min_u32_e32 v23, 32, v23
	v_lshrrev_b16_e32 v22, 3, v10
	v_subrev_u32_e32 v24, 28, v23
	v_and_b32_e32 v22, 15, v22
	v_lshlrev_b32_e32 v24, v24, v10
	v_sub_u32_e32 v23, 29, v23
	v_and_b32_e32 v24, 7, v24
	v_cmp_eq_u16_e32 vcc, 0, v22
	v_cndmask_b32_e32 v21, v21, v24, vcc
	v_cndmask_b32_e32 v22, v22, v23, vcc
	v_lshlrev_b32_e32 v23, 24, v10
	v_mov_b32_e32 v24, 0x3b800000
	v_lshlrev_b32_e32 v21, 20, v21
	v_and_b32_e32 v23, 0x80000000, v23
	v_lshl_add_u32 v22, v22, 23, v24
	v_or3_b32 v21, v23, v22, v21
.LBB15_776:
	s_or_b64 exec, exec, s[6:7]
	flat_load_dwordx4 a[0:3], v[18:19] offset:688
	s_movk_i32 s4, 0x7f
                                        ; implicit-def: $sgpr10
	s_waitcnt vmcnt(0) lgkmcnt(0)
	v_mfma_f32_16x16x4f32 a[0:3], v20, v21, a[0:3]
	v_lshrrev_b32_e32 v21, 8, v14
	v_cmp_gt_i16_sdwa s[6:7], v21, s4 src0_sel:BYTE_0 src1_sel:DWORD
	s_mov_b64 s[4:5], 0
	s_and_saveexec_b64 s[8:9], s[6:7]
	s_xor_b64 s[6:7], exec, s[8:9]
	s_cbranch_execnz .LBB15_2825
; %bb.777:
	s_or_saveexec_b64 s[6:7], s[6:7]
	v_mov_b32_e32 v20, s10
	s_xor_b64 exec, exec, s[6:7]
	s_cbranch_execnz .LBB15_2828
.LBB15_778:
	s_or_b64 exec, exec, s[6:7]
	s_and_saveexec_b64 s[6:7], s[4:5]
	s_cbranch_execz .LBB15_780
.LBB15_779:
	v_bfe_u32 v20, v14, 8, 3
	v_ffbh_u32_e32 v23, v20
	v_min_u32_e32 v23, 32, v23
	v_lshrrev_b16_e32 v22, 3, v21
	v_subrev_u32_e32 v24, 28, v23
	v_and_b32_e32 v22, 15, v22
	v_lshlrev_b32_e32 v21, v24, v21
	v_sub_u32_e32 v23, 29, v23
	v_and_b32_e32 v21, 7, v21
	v_cmp_eq_u16_e32 vcc, 0, v22
	v_cndmask_b32_e32 v20, v20, v21, vcc
	v_cndmask_b32_e32 v21, v22, v23, vcc
	v_lshlrev_b32_e32 v22, 16, v14
	v_mov_b32_e32 v23, 0x3b800000
	v_lshlrev_b32_e32 v20, 20, v20
	v_and_b32_e32 v22, 0x80000000, v22
	v_lshl_add_u32 v21, v21, 23, v23
	v_or3_b32 v20, v22, v21, v20
.LBB15_780:
	s_or_b64 exec, exec, s[6:7]
	v_lshrrev_b32_e32 v21, 8, v10
	s_movk_i32 s4, 0x7f
	v_cmp_gt_i16_sdwa s[6:7], v21, s4 src0_sel:BYTE_0 src1_sel:DWORD
	s_mov_b64 s[4:5], 0
                                        ; implicit-def: $sgpr10
	s_and_saveexec_b64 s[8:9], s[6:7]
	s_xor_b64 s[6:7], exec, s[8:9]
	s_cbranch_execnz .LBB15_2829
; %bb.781:
	s_or_saveexec_b64 s[6:7], s[6:7]
	v_mov_b32_e32 v22, s10
	s_xor_b64 exec, exec, s[6:7]
	s_cbranch_execnz .LBB15_2832
.LBB15_782:
	s_or_b64 exec, exec, s[6:7]
	s_and_saveexec_b64 s[6:7], s[4:5]
	s_cbranch_execz .LBB15_784
.LBB15_783:
	v_bfe_u32 v22, v10, 8, 3
	v_ffbh_u32_e32 v24, v22
	v_min_u32_e32 v24, 32, v24
	v_lshrrev_b16_e32 v23, 3, v21
	v_subrev_u32_e32 v25, 28, v24
	v_and_b32_e32 v23, 15, v23
	v_lshlrev_b32_e32 v21, v25, v21
	v_sub_u32_e32 v24, 29, v24
	v_and_b32_e32 v21, 7, v21
	v_cmp_eq_u16_e32 vcc, 0, v23
	v_cndmask_b32_e32 v21, v22, v21, vcc
	v_cndmask_b32_e32 v22, v23, v24, vcc
	v_lshlrev_b32_e32 v23, 16, v10
	v_mov_b32_e32 v24, 0x3b800000
	v_lshlrev_b32_e32 v21, 20, v21
	v_and_b32_e32 v23, 0x80000000, v23
	v_lshl_add_u32 v22, v22, 23, v24
	v_or3_b32 v22, v23, v22, v21
.LBB15_784:
	s_or_b64 exec, exec, s[6:7]
	s_nop 0
	v_mfma_f32_16x16x4f32 a[0:3], v20, v22, a[0:3]
	s_movk_i32 s4, 0xff
	v_and_b32_sdwa v21, v14, s4 dst_sel:DWORD dst_unused:UNUSED_PAD src0_sel:WORD_1 src1_sel:DWORD
	s_movk_i32 s4, 0x7f
	v_cmp_lt_i16_e32 vcc, s4, v21
	s_mov_b64 s[4:5], 0
                                        ; implicit-def: $sgpr10
	s_and_saveexec_b64 s[6:7], vcc
	s_xor_b64 s[6:7], exec, s[6:7]
	s_cbranch_execnz .LBB15_2833
; %bb.785:
	s_or_saveexec_b64 s[6:7], s[6:7]
	v_mov_b32_e32 v20, s10
	s_xor_b64 exec, exec, s[6:7]
	s_cbranch_execnz .LBB15_2836
.LBB15_786:
	s_or_b64 exec, exec, s[6:7]
	s_and_saveexec_b64 s[6:7], s[4:5]
	s_cbranch_execz .LBB15_788
.LBB15_787:
	v_bfe_u32 v20, v14, 16, 3
	v_ffbh_u32_e32 v23, v20
	v_min_u32_e32 v23, 32, v23
	v_lshrrev_b32_e32 v21, 19, v14
	v_subrev_u32_e32 v24, 28, v23
	v_and_b32_e32 v21, 15, v21
	v_lshlrev_b32_sdwa v24, v24, v14 dst_sel:DWORD dst_unused:UNUSED_PAD src0_sel:DWORD src1_sel:WORD_1
	v_bfe_u32 v22, v14, 19, 4
	v_sub_u32_e32 v23, 29, v23
	v_and_b32_e32 v24, 7, v24
	v_cmp_eq_u16_e32 vcc, 0, v21
	v_cndmask_b32_e32 v20, v20, v24, vcc
	v_cndmask_b32_e32 v21, v22, v23, vcc
	v_lshlrev_b32_e32 v22, 8, v14
	v_mov_b32_e32 v23, 0x3b800000
	v_lshlrev_b32_e32 v20, 20, v20
	v_and_b32_e32 v22, 0x80000000, v22
	v_lshl_add_u32 v21, v21, 23, v23
	v_or3_b32 v20, v22, v21, v20
.LBB15_788:
	s_or_b64 exec, exec, s[6:7]
	s_movk_i32 s4, 0xff
	v_and_b32_sdwa v21, v10, s4 dst_sel:DWORD dst_unused:UNUSED_PAD src0_sel:WORD_1 src1_sel:DWORD
	s_movk_i32 s4, 0x7f
	v_cmp_lt_i16_e32 vcc, s4, v21
	s_mov_b64 s[4:5], 0
                                        ; implicit-def: $sgpr10
	s_and_saveexec_b64 s[6:7], vcc
	s_xor_b64 s[6:7], exec, s[6:7]
	s_cbranch_execnz .LBB15_2837
; %bb.789:
	s_or_saveexec_b64 s[6:7], s[6:7]
	v_mov_b32_e32 v22, s10
	s_xor_b64 exec, exec, s[6:7]
	s_cbranch_execnz .LBB15_2840
.LBB15_790:
	s_or_b64 exec, exec, s[6:7]
	s_and_saveexec_b64 s[6:7], s[4:5]
	s_cbranch_execz .LBB15_792
.LBB15_791:
	v_bfe_u32 v21, v10, 16, 3
	v_ffbh_u32_e32 v24, v21
	v_min_u32_e32 v24, 32, v24
	v_lshrrev_b32_e32 v22, 19, v10
	v_subrev_u32_e32 v25, 28, v24
	v_and_b32_e32 v22, 15, v22
	v_lshlrev_b32_sdwa v25, v25, v10 dst_sel:DWORD dst_unused:UNUSED_PAD src0_sel:DWORD src1_sel:WORD_1
	v_bfe_u32 v23, v10, 19, 4
	v_sub_u32_e32 v24, 29, v24
	v_and_b32_e32 v25, 7, v25
	v_cmp_eq_u16_e32 vcc, 0, v22
	v_cndmask_b32_e32 v21, v21, v25, vcc
	v_cndmask_b32_e32 v22, v23, v24, vcc
	v_lshlrev_b32_e32 v23, 8, v10
	v_mov_b32_e32 v24, 0x3b800000
	v_lshlrev_b32_e32 v21, 20, v21
	v_and_b32_e32 v23, 0x80000000, v23
	v_lshl_add_u32 v22, v22, 23, v24
	v_or3_b32 v22, v23, v22, v21
.LBB15_792:
	s_or_b64 exec, exec, s[6:7]
	s_nop 0
	v_mfma_f32_16x16x4f32 a[0:3], v20, v22, a[0:3]
	s_movk_i32 s4, 0x7f
	v_cmp_gt_i16_sdwa s[6:7], v14, s4 src0_sel:BYTE_3 src1_sel:DWORD
	s_mov_b64 s[4:5], 0
                                        ; implicit-def: $sgpr10
	s_and_saveexec_b64 s[8:9], s[6:7]
	s_xor_b64 s[6:7], exec, s[8:9]
	s_cbranch_execnz .LBB15_2841
; %bb.793:
	s_or_saveexec_b64 s[6:7], s[6:7]
	v_mov_b32_e32 v20, s10
	s_xor_b64 exec, exec, s[6:7]
	s_cbranch_execnz .LBB15_2844
.LBB15_794:
	s_or_b64 exec, exec, s[6:7]
	s_and_saveexec_b64 s[6:7], s[4:5]
	s_cbranch_execz .LBB15_796
.LBB15_795:
	v_bfe_u32 v20, v14, 24, 3
	v_ffbh_u32_e32 v24, v20
	v_min_u32_e32 v24, 32, v24
	v_lshrrev_b32_e32 v22, 27, v14
	v_subrev_u32_e32 v25, 28, v24
	v_and_b32_e32 v21, 0x80000000, v14
	v_and_b32_e32 v22, 15, v22
	v_bfe_u32 v23, v14, 27, 4
	v_lshlrev_b32_sdwa v14, v25, v14 dst_sel:DWORD dst_unused:UNUSED_PAD src0_sel:DWORD src1_sel:BYTE_3
	v_sub_u32_e32 v24, 29, v24
	v_and_b32_e32 v14, 7, v14
	v_cmp_eq_u16_e32 vcc, 0, v22
	v_cndmask_b32_e32 v14, v20, v14, vcc
	v_cndmask_b32_e32 v20, v23, v24, vcc
	v_mov_b32_e32 v22, 0x3b800000
	v_lshlrev_b32_e32 v14, 20, v14
	v_lshl_add_u32 v20, v20, 23, v22
	v_or3_b32 v20, v21, v20, v14
.LBB15_796:
	s_or_b64 exec, exec, s[6:7]
	s_movk_i32 s4, 0x7f
	v_cmp_gt_i16_sdwa s[6:7], v10, s4 src0_sel:BYTE_3 src1_sel:DWORD
	s_mov_b64 s[4:5], 0
                                        ; implicit-def: $sgpr10
	s_and_saveexec_b64 s[8:9], s[6:7]
	s_xor_b64 s[6:7], exec, s[8:9]
	s_cbranch_execnz .LBB15_2845
; %bb.797:
	s_or_saveexec_b64 s[6:7], s[6:7]
	v_mov_b32_e32 v14, s10
	s_xor_b64 exec, exec, s[6:7]
	s_cbranch_execnz .LBB15_2848
.LBB15_798:
	s_or_b64 exec, exec, s[6:7]
	s_and_saveexec_b64 s[6:7], s[4:5]
	s_cbranch_execz .LBB15_800
.LBB15_799:
	v_bfe_u32 v14, v10, 24, 3
	v_ffbh_u32_e32 v24, v14
	v_min_u32_e32 v24, 32, v24
	v_lshrrev_b32_e32 v22, 27, v10
	v_subrev_u32_e32 v25, 28, v24
	v_and_b32_e32 v21, 0x80000000, v10
	v_and_b32_e32 v22, 15, v22
	v_bfe_u32 v23, v10, 27, 4
	v_lshlrev_b32_sdwa v10, v25, v10 dst_sel:DWORD dst_unused:UNUSED_PAD src0_sel:DWORD src1_sel:BYTE_3
	v_sub_u32_e32 v24, 29, v24
	v_and_b32_e32 v10, 7, v10
	v_cmp_eq_u16_e32 vcc, 0, v22
	v_cndmask_b32_e32 v10, v14, v10, vcc
	v_cndmask_b32_e32 v14, v23, v24, vcc
	v_mov_b32_e32 v22, 0x3b800000
	v_lshlrev_b32_e32 v10, 20, v10
	v_lshl_add_u32 v14, v14, 23, v22
	v_or3_b32 v14, v21, v14, v10
.LBB15_800:
	s_or_b64 exec, exec, s[6:7]
	s_nop 0
	v_mfma_f32_16x16x4f32 a[0:3], v20, v14, a[0:3]
	s_movk_i32 s4, 0x7f
	v_cmp_gt_i16_sdwa s[6:7], v15, s4 src0_sel:BYTE_0 src1_sel:DWORD
	s_mov_b64 s[4:5], 0
                                        ; implicit-def: $sgpr10
	s_and_saveexec_b64 s[8:9], s[6:7]
	s_xor_b64 s[6:7], exec, s[8:9]
	s_cbranch_execnz .LBB15_2849
; %bb.801:
	s_or_saveexec_b64 s[6:7], s[6:7]
	v_mov_b32_e32 v10, s10
	s_xor_b64 exec, exec, s[6:7]
	s_cbranch_execnz .LBB15_2852
.LBB15_802:
	s_or_b64 exec, exec, s[6:7]
	s_and_saveexec_b64 s[6:7], s[4:5]
	s_cbranch_execz .LBB15_804
.LBB15_803:
	v_and_b32_e32 v10, 7, v15
	v_ffbh_u32_e32 v20, v10
	v_min_u32_e32 v20, 32, v20
	v_lshrrev_b16_e32 v14, 3, v15
	v_subrev_u32_e32 v21, 28, v20
	v_and_b32_e32 v14, 15, v14
	v_lshlrev_b32_e32 v21, v21, v15
	v_sub_u32_e32 v20, 29, v20
	v_and_b32_e32 v21, 7, v21
	v_cmp_eq_u16_e32 vcc, 0, v14
	v_cndmask_b32_e32 v10, v10, v21, vcc
	v_cndmask_b32_e32 v14, v14, v20, vcc
	v_lshlrev_b32_e32 v20, 24, v15
	v_mov_b32_e32 v21, 0x3b800000
	v_lshlrev_b32_e32 v10, 20, v10
	v_and_b32_e32 v20, 0x80000000, v20
	v_lshl_add_u32 v14, v14, 23, v21
	v_or3_b32 v10, v20, v14, v10
.LBB15_804:
	s_or_b64 exec, exec, s[6:7]
	s_movk_i32 s4, 0x7f
	v_cmp_gt_i16_sdwa s[6:7], v11, s4 src0_sel:BYTE_0 src1_sel:DWORD
	s_mov_b64 s[4:5], 0
                                        ; implicit-def: $sgpr10
	s_and_saveexec_b64 s[8:9], s[6:7]
	s_xor_b64 s[6:7], exec, s[8:9]
	s_cbranch_execnz .LBB15_2853
; %bb.805:
	s_or_saveexec_b64 s[6:7], s[6:7]
	v_mov_b32_e32 v14, s10
	s_xor_b64 exec, exec, s[6:7]
	s_cbranch_execnz .LBB15_2856
.LBB15_806:
	s_or_b64 exec, exec, s[6:7]
	s_and_saveexec_b64 s[6:7], s[4:5]
	s_cbranch_execz .LBB15_808
.LBB15_807:
	v_and_b32_e32 v14, 7, v11
	v_ffbh_u32_e32 v21, v14
	v_min_u32_e32 v21, 32, v21
	v_lshrrev_b16_e32 v20, 3, v11
	v_subrev_u32_e32 v22, 28, v21
	v_and_b32_e32 v20, 15, v20
	v_lshlrev_b32_e32 v22, v22, v11
	v_sub_u32_e32 v21, 29, v21
	v_and_b32_e32 v22, 7, v22
	v_cmp_eq_u16_e32 vcc, 0, v20
	v_cndmask_b32_e32 v14, v14, v22, vcc
	v_cndmask_b32_e32 v20, v20, v21, vcc
	v_lshlrev_b32_e32 v21, 24, v11
	v_mov_b32_e32 v22, 0x3b800000
	v_lshlrev_b32_e32 v14, 20, v14
	v_and_b32_e32 v21, 0x80000000, v21
	v_lshl_add_u32 v20, v20, 23, v22
	v_or3_b32 v14, v21, v20, v14
.LBB15_808:
	s_or_b64 exec, exec, s[6:7]
	s_nop 0
	v_mfma_f32_16x16x4f32 a[0:3], v10, v14, a[0:3]
	v_lshrrev_b32_e32 v14, 8, v15
	s_movk_i32 s4, 0x7f
	v_cmp_gt_i16_sdwa s[6:7], v14, s4 src0_sel:BYTE_0 src1_sel:DWORD
	s_mov_b64 s[4:5], 0
                                        ; implicit-def: $sgpr10
	s_and_saveexec_b64 s[8:9], s[6:7]
	s_xor_b64 s[6:7], exec, s[8:9]
	s_cbranch_execnz .LBB15_2857
; %bb.809:
	s_or_saveexec_b64 s[6:7], s[6:7]
	v_mov_b32_e32 v10, s10
	s_xor_b64 exec, exec, s[6:7]
	s_cbranch_execnz .LBB15_2860
.LBB15_810:
	s_or_b64 exec, exec, s[6:7]
	s_and_saveexec_b64 s[6:7], s[4:5]
	s_cbranch_execz .LBB15_812
.LBB15_811:
	v_bfe_u32 v10, v15, 8, 3
	v_ffbh_u32_e32 v21, v10
	v_min_u32_e32 v21, 32, v21
	v_lshrrev_b16_e32 v20, 3, v14
	v_subrev_u32_e32 v22, 28, v21
	v_and_b32_e32 v20, 15, v20
	v_lshlrev_b32_e32 v14, v22, v14
	v_sub_u32_e32 v21, 29, v21
	v_and_b32_e32 v14, 7, v14
	v_cmp_eq_u16_e32 vcc, 0, v20
	v_cndmask_b32_e32 v10, v10, v14, vcc
	v_cndmask_b32_e32 v14, v20, v21, vcc
	v_lshlrev_b32_e32 v20, 16, v15
	v_mov_b32_e32 v21, 0x3b800000
	v_lshlrev_b32_e32 v10, 20, v10
	v_and_b32_e32 v20, 0x80000000, v20
	v_lshl_add_u32 v14, v14, 23, v21
	v_or3_b32 v10, v20, v14, v10
.LBB15_812:
	s_or_b64 exec, exec, s[6:7]
	v_lshrrev_b32_e32 v14, 8, v11
	s_movk_i32 s4, 0x7f
	v_cmp_gt_i16_sdwa s[6:7], v14, s4 src0_sel:BYTE_0 src1_sel:DWORD
	s_mov_b64 s[4:5], 0
                                        ; implicit-def: $sgpr10
	s_and_saveexec_b64 s[8:9], s[6:7]
	s_xor_b64 s[6:7], exec, s[8:9]
	s_cbranch_execnz .LBB15_2861
; %bb.813:
	s_or_saveexec_b64 s[6:7], s[6:7]
	v_mov_b32_e32 v20, s10
	s_xor_b64 exec, exec, s[6:7]
	s_cbranch_execnz .LBB15_2864
.LBB15_814:
	s_or_b64 exec, exec, s[6:7]
	s_and_saveexec_b64 s[6:7], s[4:5]
	s_cbranch_execz .LBB15_816
.LBB15_815:
	v_bfe_u32 v20, v11, 8, 3
	v_ffbh_u32_e32 v22, v20
	v_min_u32_e32 v22, 32, v22
	v_lshrrev_b16_e32 v21, 3, v14
	v_subrev_u32_e32 v23, 28, v22
	v_and_b32_e32 v21, 15, v21
	v_lshlrev_b32_e32 v14, v23, v14
	v_sub_u32_e32 v22, 29, v22
	v_and_b32_e32 v14, 7, v14
	v_cmp_eq_u16_e32 vcc, 0, v21
	v_cndmask_b32_e32 v14, v20, v14, vcc
	v_cndmask_b32_e32 v20, v21, v22, vcc
	v_lshlrev_b32_e32 v21, 16, v11
	v_mov_b32_e32 v22, 0x3b800000
	v_lshlrev_b32_e32 v14, 20, v14
	v_and_b32_e32 v21, 0x80000000, v21
	v_lshl_add_u32 v20, v20, 23, v22
	v_or3_b32 v20, v21, v20, v14
.LBB15_816:
	s_or_b64 exec, exec, s[6:7]
	s_nop 0
	v_mfma_f32_16x16x4f32 a[0:3], v10, v20, a[0:3]
	s_movk_i32 s4, 0xff
	v_and_b32_sdwa v14, v15, s4 dst_sel:DWORD dst_unused:UNUSED_PAD src0_sel:WORD_1 src1_sel:DWORD
	s_movk_i32 s4, 0x7f
	v_cmp_lt_i16_e32 vcc, s4, v14
	s_mov_b64 s[4:5], 0
                                        ; implicit-def: $sgpr10
	s_and_saveexec_b64 s[6:7], vcc
	s_xor_b64 s[6:7], exec, s[6:7]
	s_cbranch_execnz .LBB15_2865
; %bb.817:
	s_or_saveexec_b64 s[6:7], s[6:7]
	v_mov_b32_e32 v10, s10
	s_xor_b64 exec, exec, s[6:7]
	s_cbranch_execnz .LBB15_2868
.LBB15_818:
	s_or_b64 exec, exec, s[6:7]
	s_and_saveexec_b64 s[6:7], s[4:5]
	s_cbranch_execz .LBB15_820
.LBB15_819:
	v_bfe_u32 v10, v15, 16, 3
	v_ffbh_u32_e32 v21, v10
	v_min_u32_e32 v21, 32, v21
	v_lshrrev_b32_e32 v14, 19, v15
	v_subrev_u32_e32 v22, 28, v21
	v_and_b32_e32 v14, 15, v14
	v_lshlrev_b32_sdwa v22, v22, v15 dst_sel:DWORD dst_unused:UNUSED_PAD src0_sel:DWORD src1_sel:WORD_1
	v_bfe_u32 v20, v15, 19, 4
	v_sub_u32_e32 v21, 29, v21
	v_and_b32_e32 v22, 7, v22
	v_cmp_eq_u16_e32 vcc, 0, v14
	v_cndmask_b32_e32 v10, v10, v22, vcc
	v_cndmask_b32_e32 v14, v20, v21, vcc
	v_lshlrev_b32_e32 v20, 8, v15
	v_mov_b32_e32 v21, 0x3b800000
	v_lshlrev_b32_e32 v10, 20, v10
	v_and_b32_e32 v20, 0x80000000, v20
	v_lshl_add_u32 v14, v14, 23, v21
	v_or3_b32 v10, v20, v14, v10
.LBB15_820:
	s_or_b64 exec, exec, s[6:7]
	s_movk_i32 s4, 0xff
	v_and_b32_sdwa v14, v11, s4 dst_sel:DWORD dst_unused:UNUSED_PAD src0_sel:WORD_1 src1_sel:DWORD
	s_movk_i32 s4, 0x7f
	v_cmp_lt_i16_e32 vcc, s4, v14
	s_mov_b64 s[4:5], 0
                                        ; implicit-def: $sgpr10
	s_and_saveexec_b64 s[6:7], vcc
	s_xor_b64 s[6:7], exec, s[6:7]
	s_cbranch_execnz .LBB15_2869
; %bb.821:
	s_or_saveexec_b64 s[6:7], s[6:7]
	v_mov_b32_e32 v20, s10
	s_xor_b64 exec, exec, s[6:7]
	s_cbranch_execnz .LBB15_2872
.LBB15_822:
	s_or_b64 exec, exec, s[6:7]
	s_and_saveexec_b64 s[6:7], s[4:5]
	s_cbranch_execz .LBB15_824
.LBB15_823:
	v_bfe_u32 v14, v11, 16, 3
	v_ffbh_u32_e32 v22, v14
	v_min_u32_e32 v22, 32, v22
	v_lshrrev_b32_e32 v20, 19, v11
	v_subrev_u32_e32 v23, 28, v22
	v_and_b32_e32 v20, 15, v20
	v_lshlrev_b32_sdwa v23, v23, v11 dst_sel:DWORD dst_unused:UNUSED_PAD src0_sel:DWORD src1_sel:WORD_1
	v_bfe_u32 v21, v11, 19, 4
	v_sub_u32_e32 v22, 29, v22
	v_and_b32_e32 v23, 7, v23
	v_cmp_eq_u16_e32 vcc, 0, v20
	v_cndmask_b32_e32 v14, v14, v23, vcc
	v_cndmask_b32_e32 v20, v21, v22, vcc
	v_lshlrev_b32_e32 v21, 8, v11
	v_mov_b32_e32 v22, 0x3b800000
	v_lshlrev_b32_e32 v14, 20, v14
	v_and_b32_e32 v21, 0x80000000, v21
	v_lshl_add_u32 v20, v20, 23, v22
	v_or3_b32 v20, v21, v20, v14
.LBB15_824:
	s_or_b64 exec, exec, s[6:7]
	s_nop 0
	v_mfma_f32_16x16x4f32 a[0:3], v10, v20, a[0:3]
	s_movk_i32 s4, 0x7f
	v_cmp_gt_i16_sdwa s[6:7], v15, s4 src0_sel:BYTE_3 src1_sel:DWORD
	s_mov_b64 s[4:5], 0
                                        ; implicit-def: $sgpr10
	s_and_saveexec_b64 s[8:9], s[6:7]
	s_xor_b64 s[6:7], exec, s[8:9]
	s_cbranch_execnz .LBB15_2873
; %bb.825:
	s_or_saveexec_b64 s[6:7], s[6:7]
	v_mov_b32_e32 v10, s10
	s_xor_b64 exec, exec, s[6:7]
	s_cbranch_execnz .LBB15_2876
.LBB15_826:
	s_or_b64 exec, exec, s[6:7]
	s_and_saveexec_b64 s[6:7], s[4:5]
	s_cbranch_execz .LBB15_828
.LBB15_827:
	v_bfe_u32 v10, v15, 24, 3
	v_ffbh_u32_e32 v22, v10
	v_min_u32_e32 v22, 32, v22
	v_lshrrev_b32_e32 v20, 27, v15
	v_subrev_u32_e32 v23, 28, v22
	v_and_b32_e32 v14, 0x80000000, v15
	v_and_b32_e32 v20, 15, v20
	v_bfe_u32 v21, v15, 27, 4
	v_lshlrev_b32_sdwa v15, v23, v15 dst_sel:DWORD dst_unused:UNUSED_PAD src0_sel:DWORD src1_sel:BYTE_3
	v_sub_u32_e32 v22, 29, v22
	v_and_b32_e32 v15, 7, v15
	v_cmp_eq_u16_e32 vcc, 0, v20
	v_cndmask_b32_e32 v10, v10, v15, vcc
	v_cndmask_b32_e32 v15, v21, v22, vcc
	v_mov_b32_e32 v20, 0x3b800000
	v_lshlrev_b32_e32 v10, 20, v10
	v_lshl_add_u32 v15, v15, 23, v20
	v_or3_b32 v10, v14, v15, v10
.LBB15_828:
	s_or_b64 exec, exec, s[6:7]
	s_movk_i32 s4, 0x7f
	v_cmp_gt_i16_sdwa s[6:7], v11, s4 src0_sel:BYTE_3 src1_sel:DWORD
	s_mov_b64 s[4:5], 0
                                        ; implicit-def: $sgpr10
	s_and_saveexec_b64 s[8:9], s[6:7]
	s_xor_b64 s[6:7], exec, s[8:9]
	s_cbranch_execnz .LBB15_2877
; %bb.829:
	s_or_saveexec_b64 s[6:7], s[6:7]
	v_mov_b32_e32 v14, s10
	s_xor_b64 exec, exec, s[6:7]
	s_cbranch_execnz .LBB15_2880
.LBB15_830:
	s_or_b64 exec, exec, s[6:7]
	s_and_saveexec_b64 s[6:7], s[4:5]
	s_cbranch_execz .LBB15_832
.LBB15_831:
	v_bfe_u32 v14, v11, 24, 3
	v_ffbh_u32_e32 v22, v14
	v_min_u32_e32 v22, 32, v22
	v_lshrrev_b32_e32 v20, 27, v11
	v_subrev_u32_e32 v23, 28, v22
	v_and_b32_e32 v15, 0x80000000, v11
	v_and_b32_e32 v20, 15, v20
	v_bfe_u32 v21, v11, 27, 4
	v_lshlrev_b32_sdwa v11, v23, v11 dst_sel:DWORD dst_unused:UNUSED_PAD src0_sel:DWORD src1_sel:BYTE_3
	v_sub_u32_e32 v22, 29, v22
	v_and_b32_e32 v11, 7, v11
	v_cmp_eq_u16_e32 vcc, 0, v20
	v_cndmask_b32_e32 v11, v14, v11, vcc
	v_cndmask_b32_e32 v14, v21, v22, vcc
	v_mov_b32_e32 v20, 0x3b800000
	v_lshlrev_b32_e32 v11, 20, v11
	v_lshl_add_u32 v14, v14, 23, v20
	v_or3_b32 v14, v15, v14, v11
.LBB15_832:
	s_or_b64 exec, exec, s[6:7]
	s_nop 0
	v_mfma_f32_16x16x4f32 a[0:3], v10, v14, a[0:3]
	s_movk_i32 s4, 0x7f
	v_cmp_gt_i16_sdwa s[6:7], v16, s4 src0_sel:BYTE_0 src1_sel:DWORD
	s_mov_b64 s[4:5], 0
                                        ; implicit-def: $sgpr10
	s_and_saveexec_b64 s[8:9], s[6:7]
	s_xor_b64 s[6:7], exec, s[8:9]
	s_cbranch_execnz .LBB15_2881
; %bb.833:
	s_or_saveexec_b64 s[6:7], s[6:7]
	v_mov_b32_e32 v10, s10
	s_xor_b64 exec, exec, s[6:7]
	s_cbranch_execnz .LBB15_2884
.LBB15_834:
	s_or_b64 exec, exec, s[6:7]
	s_and_saveexec_b64 s[6:7], s[4:5]
	s_cbranch_execz .LBB15_836
.LBB15_835:
	v_and_b32_e32 v10, 7, v16
	v_ffbh_u32_e32 v14, v10
	v_min_u32_e32 v14, 32, v14
	v_lshrrev_b16_e32 v11, 3, v16
	v_subrev_u32_e32 v15, 28, v14
	v_and_b32_e32 v11, 15, v11
	v_lshlrev_b32_e32 v15, v15, v16
	v_sub_u32_e32 v14, 29, v14
	v_and_b32_e32 v15, 7, v15
	v_cmp_eq_u16_e32 vcc, 0, v11
	v_cndmask_b32_e32 v10, v10, v15, vcc
	v_cndmask_b32_e32 v11, v11, v14, vcc
	v_lshlrev_b32_e32 v14, 24, v16
	v_mov_b32_e32 v15, 0x3b800000
	v_lshlrev_b32_e32 v10, 20, v10
	v_and_b32_e32 v14, 0x80000000, v14
	v_lshl_add_u32 v11, v11, 23, v15
	v_or3_b32 v10, v14, v11, v10
.LBB15_836:
	s_or_b64 exec, exec, s[6:7]
	s_movk_i32 s4, 0x7f
	v_cmp_gt_i16_sdwa s[6:7], v12, s4 src0_sel:BYTE_0 src1_sel:DWORD
	s_mov_b64 s[4:5], 0
                                        ; implicit-def: $sgpr10
	s_and_saveexec_b64 s[8:9], s[6:7]
	s_xor_b64 s[6:7], exec, s[8:9]
	s_cbranch_execnz .LBB15_2885
; %bb.837:
	s_or_saveexec_b64 s[6:7], s[6:7]
	v_mov_b32_e32 v11, s10
	s_xor_b64 exec, exec, s[6:7]
	s_cbranch_execnz .LBB15_2888
.LBB15_838:
	s_or_b64 exec, exec, s[6:7]
	s_and_saveexec_b64 s[6:7], s[4:5]
	s_cbranch_execz .LBB15_840
.LBB15_839:
	v_and_b32_e32 v11, 7, v12
	v_ffbh_u32_e32 v15, v11
	v_min_u32_e32 v15, 32, v15
	v_lshrrev_b16_e32 v14, 3, v12
	v_subrev_u32_e32 v20, 28, v15
	v_and_b32_e32 v14, 15, v14
	v_lshlrev_b32_e32 v20, v20, v12
	v_sub_u32_e32 v15, 29, v15
	v_and_b32_e32 v20, 7, v20
	v_cmp_eq_u16_e32 vcc, 0, v14
	v_cndmask_b32_e32 v11, v11, v20, vcc
	v_cndmask_b32_e32 v14, v14, v15, vcc
	v_lshlrev_b32_e32 v15, 24, v12
	v_mov_b32_e32 v20, 0x3b800000
	v_lshlrev_b32_e32 v11, 20, v11
	v_and_b32_e32 v15, 0x80000000, v15
	v_lshl_add_u32 v14, v14, 23, v20
	v_or3_b32 v11, v15, v14, v11
.LBB15_840:
	s_or_b64 exec, exec, s[6:7]
	s_nop 0
	v_mfma_f32_16x16x4f32 a[0:3], v10, v11, a[0:3]
	v_lshrrev_b32_e32 v11, 8, v16
	s_movk_i32 s4, 0x7f
	v_cmp_gt_i16_sdwa s[6:7], v11, s4 src0_sel:BYTE_0 src1_sel:DWORD
	s_mov_b64 s[4:5], 0
                                        ; implicit-def: $sgpr10
	s_and_saveexec_b64 s[8:9], s[6:7]
	s_xor_b64 s[6:7], exec, s[8:9]
	s_cbranch_execnz .LBB15_2889
; %bb.841:
	s_or_saveexec_b64 s[6:7], s[6:7]
	v_mov_b32_e32 v10, s10
	s_xor_b64 exec, exec, s[6:7]
	s_cbranch_execnz .LBB15_2892
.LBB15_842:
	s_or_b64 exec, exec, s[6:7]
	s_and_saveexec_b64 s[6:7], s[4:5]
	s_cbranch_execz .LBB15_844
.LBB15_843:
	v_bfe_u32 v10, v16, 8, 3
	v_ffbh_u32_e32 v15, v10
	v_min_u32_e32 v15, 32, v15
	v_lshrrev_b16_e32 v14, 3, v11
	v_subrev_u32_e32 v20, 28, v15
	v_and_b32_e32 v14, 15, v14
	v_lshlrev_b32_e32 v11, v20, v11
	v_sub_u32_e32 v15, 29, v15
	v_and_b32_e32 v11, 7, v11
	v_cmp_eq_u16_e32 vcc, 0, v14
	v_cndmask_b32_e32 v10, v10, v11, vcc
	v_cndmask_b32_e32 v11, v14, v15, vcc
	v_lshlrev_b32_e32 v14, 16, v16
	v_mov_b32_e32 v15, 0x3b800000
	v_lshlrev_b32_e32 v10, 20, v10
	v_and_b32_e32 v14, 0x80000000, v14
	v_lshl_add_u32 v11, v11, 23, v15
	v_or3_b32 v10, v14, v11, v10
.LBB15_844:
	s_or_b64 exec, exec, s[6:7]
	v_lshrrev_b32_e32 v11, 8, v12
	s_movk_i32 s4, 0x7f
	v_cmp_gt_i16_sdwa s[6:7], v11, s4 src0_sel:BYTE_0 src1_sel:DWORD
	s_mov_b64 s[4:5], 0
                                        ; implicit-def: $sgpr10
	s_and_saveexec_b64 s[8:9], s[6:7]
	s_xor_b64 s[6:7], exec, s[8:9]
	s_cbranch_execnz .LBB15_2893
; %bb.845:
	s_or_saveexec_b64 s[6:7], s[6:7]
	v_mov_b32_e32 v14, s10
	s_xor_b64 exec, exec, s[6:7]
	s_cbranch_execnz .LBB15_2896
.LBB15_846:
	s_or_b64 exec, exec, s[6:7]
	s_and_saveexec_b64 s[6:7], s[4:5]
	s_cbranch_execz .LBB15_848
.LBB15_847:
	v_bfe_u32 v14, v12, 8, 3
	v_ffbh_u32_e32 v20, v14
	v_min_u32_e32 v20, 32, v20
	v_lshrrev_b16_e32 v15, 3, v11
	v_subrev_u32_e32 v21, 28, v20
	v_and_b32_e32 v15, 15, v15
	v_lshlrev_b32_e32 v11, v21, v11
	v_sub_u32_e32 v20, 29, v20
	v_and_b32_e32 v11, 7, v11
	v_cmp_eq_u16_e32 vcc, 0, v15
	v_cndmask_b32_e32 v11, v14, v11, vcc
	v_cndmask_b32_e32 v14, v15, v20, vcc
	v_lshlrev_b32_e32 v15, 16, v12
	v_mov_b32_e32 v20, 0x3b800000
	v_lshlrev_b32_e32 v11, 20, v11
	v_and_b32_e32 v15, 0x80000000, v15
	v_lshl_add_u32 v14, v14, 23, v20
	v_or3_b32 v14, v15, v14, v11
.LBB15_848:
	s_or_b64 exec, exec, s[6:7]
	s_nop 0
	v_mfma_f32_16x16x4f32 a[0:3], v10, v14, a[0:3]
	s_movk_i32 s4, 0xff
	v_and_b32_sdwa v11, v16, s4 dst_sel:DWORD dst_unused:UNUSED_PAD src0_sel:WORD_1 src1_sel:DWORD
	s_movk_i32 s4, 0x7f
	v_cmp_lt_i16_e32 vcc, s4, v11
	s_mov_b64 s[4:5], 0
                                        ; implicit-def: $sgpr10
	s_and_saveexec_b64 s[6:7], vcc
	s_xor_b64 s[6:7], exec, s[6:7]
	s_cbranch_execnz .LBB15_2897
; %bb.849:
	s_or_saveexec_b64 s[6:7], s[6:7]
	v_mov_b32_e32 v10, s10
	s_xor_b64 exec, exec, s[6:7]
	s_cbranch_execnz .LBB15_2900
.LBB15_850:
	s_or_b64 exec, exec, s[6:7]
	s_and_saveexec_b64 s[6:7], s[4:5]
	s_cbranch_execz .LBB15_852
.LBB15_851:
	v_bfe_u32 v10, v16, 16, 3
	v_ffbh_u32_e32 v15, v10
	v_min_u32_e32 v15, 32, v15
	v_lshrrev_b32_e32 v11, 19, v16
	v_subrev_u32_e32 v20, 28, v15
	v_and_b32_e32 v11, 15, v11
	v_lshlrev_b32_sdwa v20, v20, v16 dst_sel:DWORD dst_unused:UNUSED_PAD src0_sel:DWORD src1_sel:WORD_1
	v_bfe_u32 v14, v16, 19, 4
	v_sub_u32_e32 v15, 29, v15
	v_and_b32_e32 v20, 7, v20
	v_cmp_eq_u16_e32 vcc, 0, v11
	v_cndmask_b32_e32 v10, v10, v20, vcc
	v_cndmask_b32_e32 v11, v14, v15, vcc
	v_lshlrev_b32_e32 v14, 8, v16
	v_mov_b32_e32 v15, 0x3b800000
	v_lshlrev_b32_e32 v10, 20, v10
	v_and_b32_e32 v14, 0x80000000, v14
	v_lshl_add_u32 v11, v11, 23, v15
	v_or3_b32 v10, v14, v11, v10
.LBB15_852:
	s_or_b64 exec, exec, s[6:7]
	s_movk_i32 s4, 0xff
	v_and_b32_sdwa v11, v12, s4 dst_sel:DWORD dst_unused:UNUSED_PAD src0_sel:WORD_1 src1_sel:DWORD
	s_movk_i32 s4, 0x7f
	v_cmp_lt_i16_e32 vcc, s4, v11
	s_mov_b64 s[4:5], 0
                                        ; implicit-def: $sgpr10
	s_and_saveexec_b64 s[6:7], vcc
	s_xor_b64 s[6:7], exec, s[6:7]
	s_cbranch_execnz .LBB15_2901
; %bb.853:
	s_or_saveexec_b64 s[6:7], s[6:7]
	v_mov_b32_e32 v14, s10
	s_xor_b64 exec, exec, s[6:7]
	s_cbranch_execnz .LBB15_2904
.LBB15_854:
	s_or_b64 exec, exec, s[6:7]
	s_and_saveexec_b64 s[6:7], s[4:5]
	s_cbranch_execz .LBB15_856
.LBB15_855:
	v_bfe_u32 v11, v12, 16, 3
	v_ffbh_u32_e32 v20, v11
	v_min_u32_e32 v20, 32, v20
	v_lshrrev_b32_e32 v14, 19, v12
	v_subrev_u32_e32 v21, 28, v20
	v_and_b32_e32 v14, 15, v14
	v_lshlrev_b32_sdwa v21, v21, v12 dst_sel:DWORD dst_unused:UNUSED_PAD src0_sel:DWORD src1_sel:WORD_1
	v_bfe_u32 v15, v12, 19, 4
	v_sub_u32_e32 v20, 29, v20
	v_and_b32_e32 v21, 7, v21
	v_cmp_eq_u16_e32 vcc, 0, v14
	v_cndmask_b32_e32 v11, v11, v21, vcc
	v_cndmask_b32_e32 v14, v15, v20, vcc
	v_lshlrev_b32_e32 v15, 8, v12
	v_mov_b32_e32 v20, 0x3b800000
	v_lshlrev_b32_e32 v11, 20, v11
	v_and_b32_e32 v15, 0x80000000, v15
	v_lshl_add_u32 v14, v14, 23, v20
	v_or3_b32 v14, v15, v14, v11
.LBB15_856:
	s_or_b64 exec, exec, s[6:7]
	s_nop 0
	v_mfma_f32_16x16x4f32 a[0:3], v10, v14, a[0:3]
	s_movk_i32 s4, 0x7f
	v_cmp_gt_i16_sdwa s[6:7], v16, s4 src0_sel:BYTE_3 src1_sel:DWORD
	s_mov_b64 s[4:5], 0
                                        ; implicit-def: $sgpr10
	s_and_saveexec_b64 s[8:9], s[6:7]
	s_xor_b64 s[6:7], exec, s[8:9]
	s_cbranch_execnz .LBB15_2905
; %bb.857:
	s_or_saveexec_b64 s[6:7], s[6:7]
	v_mov_b32_e32 v10, s10
	s_xor_b64 exec, exec, s[6:7]
	s_cbranch_execnz .LBB15_2908
.LBB15_858:
	s_or_b64 exec, exec, s[6:7]
	s_and_saveexec_b64 s[6:7], s[4:5]
	s_cbranch_execz .LBB15_860
.LBB15_859:
	v_bfe_u32 v10, v16, 24, 3
	v_ffbh_u32_e32 v20, v10
	v_min_u32_e32 v20, 32, v20
	v_lshrrev_b32_e32 v14, 27, v16
	v_subrev_u32_e32 v21, 28, v20
	v_and_b32_e32 v11, 0x80000000, v16
	v_and_b32_e32 v14, 15, v14
	v_bfe_u32 v15, v16, 27, 4
	v_lshlrev_b32_sdwa v16, v21, v16 dst_sel:DWORD dst_unused:UNUSED_PAD src0_sel:DWORD src1_sel:BYTE_3
	v_sub_u32_e32 v20, 29, v20
	v_and_b32_e32 v16, 7, v16
	v_cmp_eq_u16_e32 vcc, 0, v14
	v_cndmask_b32_e32 v10, v10, v16, vcc
	v_cndmask_b32_e32 v14, v15, v20, vcc
	v_mov_b32_e32 v15, 0x3b800000
	v_lshlrev_b32_e32 v10, 20, v10
	v_lshl_add_u32 v14, v14, 23, v15
	v_or3_b32 v10, v11, v14, v10
.LBB15_860:
	s_or_b64 exec, exec, s[6:7]
	s_movk_i32 s4, 0x7f
	v_cmp_gt_i16_sdwa s[6:7], v12, s4 src0_sel:BYTE_3 src1_sel:DWORD
	s_mov_b64 s[4:5], 0
                                        ; implicit-def: $sgpr10
	s_and_saveexec_b64 s[8:9], s[6:7]
	s_xor_b64 s[6:7], exec, s[8:9]
	s_cbranch_execnz .LBB15_2909
; %bb.861:
	s_or_saveexec_b64 s[6:7], s[6:7]
	v_mov_b32_e32 v11, s10
	s_xor_b64 exec, exec, s[6:7]
	s_cbranch_execnz .LBB15_2912
.LBB15_862:
	s_or_b64 exec, exec, s[6:7]
	s_and_saveexec_b64 s[6:7], s[4:5]
	s_cbranch_execz .LBB15_864
.LBB15_863:
	v_bfe_u32 v11, v12, 24, 3
	v_ffbh_u32_e32 v20, v11
	v_min_u32_e32 v20, 32, v20
	v_lshrrev_b32_e32 v15, 27, v12
	v_subrev_u32_e32 v21, 28, v20
	v_and_b32_e32 v14, 0x80000000, v12
	v_and_b32_e32 v15, 15, v15
	v_bfe_u32 v16, v12, 27, 4
	v_lshlrev_b32_sdwa v12, v21, v12 dst_sel:DWORD dst_unused:UNUSED_PAD src0_sel:DWORD src1_sel:BYTE_3
	v_sub_u32_e32 v20, 29, v20
	v_and_b32_e32 v12, 7, v12
	v_cmp_eq_u16_e32 vcc, 0, v15
	v_cndmask_b32_e32 v11, v11, v12, vcc
	v_cndmask_b32_e32 v12, v16, v20, vcc
	v_mov_b32_e32 v15, 0x3b800000
	v_lshlrev_b32_e32 v11, 20, v11
	v_lshl_add_u32 v12, v12, 23, v15
	v_or3_b32 v11, v14, v12, v11
.LBB15_864:
	s_or_b64 exec, exec, s[6:7]
	s_nop 0
	v_mfma_f32_16x16x4f32 a[0:3], v10, v11, a[0:3]
	s_movk_i32 s4, 0x7f
	v_cmp_gt_i16_sdwa s[6:7], v17, s4 src0_sel:BYTE_0 src1_sel:DWORD
	s_mov_b64 s[4:5], 0
                                        ; implicit-def: $sgpr10
	s_and_saveexec_b64 s[8:9], s[6:7]
	s_xor_b64 s[6:7], exec, s[8:9]
	s_cbranch_execnz .LBB15_2913
; %bb.865:
	s_or_saveexec_b64 s[6:7], s[6:7]
	v_mov_b32_e32 v10, s10
	s_xor_b64 exec, exec, s[6:7]
	s_cbranch_execnz .LBB15_2916
.LBB15_866:
	s_or_b64 exec, exec, s[6:7]
	s_and_saveexec_b64 s[6:7], s[4:5]
	s_cbranch_execz .LBB15_868
.LBB15_867:
	v_and_b32_e32 v10, 7, v17
	v_ffbh_u32_e32 v12, v10
	v_min_u32_e32 v12, 32, v12
	v_lshrrev_b16_e32 v11, 3, v17
	v_subrev_u32_e32 v14, 28, v12
	v_and_b32_e32 v11, 15, v11
	v_lshlrev_b32_e32 v14, v14, v17
	v_sub_u32_e32 v12, 29, v12
	v_and_b32_e32 v14, 7, v14
	v_cmp_eq_u16_e32 vcc, 0, v11
	v_cndmask_b32_e32 v10, v10, v14, vcc
	v_cndmask_b32_e32 v11, v11, v12, vcc
	v_lshlrev_b32_e32 v12, 24, v17
	v_mov_b32_e32 v14, 0x3b800000
	v_lshlrev_b32_e32 v10, 20, v10
	v_and_b32_e32 v12, 0x80000000, v12
	v_lshl_add_u32 v11, v11, 23, v14
	v_or3_b32 v10, v12, v11, v10
.LBB15_868:
	s_or_b64 exec, exec, s[6:7]
	s_movk_i32 s4, 0x7f
	v_cmp_gt_i16_sdwa s[6:7], v13, s4 src0_sel:BYTE_0 src1_sel:DWORD
	s_mov_b64 s[4:5], 0
                                        ; implicit-def: $sgpr10
	s_and_saveexec_b64 s[8:9], s[6:7]
	s_xor_b64 s[6:7], exec, s[8:9]
	s_cbranch_execnz .LBB15_2917
; %bb.869:
	s_or_saveexec_b64 s[6:7], s[6:7]
	v_mov_b32_e32 v11, s10
	s_xor_b64 exec, exec, s[6:7]
	s_cbranch_execnz .LBB15_2920
.LBB15_870:
	s_or_b64 exec, exec, s[6:7]
	s_and_saveexec_b64 s[6:7], s[4:5]
	s_cbranch_execz .LBB15_872
.LBB15_871:
	v_and_b32_e32 v11, 7, v13
	v_ffbh_u32_e32 v14, v11
	v_min_u32_e32 v14, 32, v14
	v_lshrrev_b16_e32 v12, 3, v13
	v_subrev_u32_e32 v15, 28, v14
	v_and_b32_e32 v12, 15, v12
	v_lshlrev_b32_e32 v15, v15, v13
	v_sub_u32_e32 v14, 29, v14
	v_and_b32_e32 v15, 7, v15
	v_cmp_eq_u16_e32 vcc, 0, v12
	v_cndmask_b32_e32 v11, v11, v15, vcc
	v_cndmask_b32_e32 v12, v12, v14, vcc
	v_lshlrev_b32_e32 v14, 24, v13
	v_mov_b32_e32 v15, 0x3b800000
	v_lshlrev_b32_e32 v11, 20, v11
	v_and_b32_e32 v14, 0x80000000, v14
	v_lshl_add_u32 v12, v12, 23, v15
	v_or3_b32 v11, v14, v12, v11
.LBB15_872:
	s_or_b64 exec, exec, s[6:7]
	s_nop 0
	v_mfma_f32_16x16x4f32 a[0:3], v10, v11, a[0:3]
	v_lshrrev_b32_e32 v11, 8, v17
	s_movk_i32 s4, 0x7f
	v_cmp_gt_i16_sdwa s[6:7], v11, s4 src0_sel:BYTE_0 src1_sel:DWORD
	s_mov_b64 s[4:5], 0
                                        ; implicit-def: $sgpr10
	s_and_saveexec_b64 s[8:9], s[6:7]
	s_xor_b64 s[6:7], exec, s[8:9]
	s_cbranch_execnz .LBB15_2921
; %bb.873:
	s_or_saveexec_b64 s[6:7], s[6:7]
	v_mov_b32_e32 v10, s10
	s_xor_b64 exec, exec, s[6:7]
	s_cbranch_execnz .LBB15_2924
.LBB15_874:
	s_or_b64 exec, exec, s[6:7]
	s_and_saveexec_b64 s[6:7], s[4:5]
	s_cbranch_execz .LBB15_876
.LBB15_875:
	v_bfe_u32 v10, v17, 8, 3
	v_ffbh_u32_e32 v14, v10
	v_min_u32_e32 v14, 32, v14
	v_lshrrev_b16_e32 v12, 3, v11
	v_subrev_u32_e32 v15, 28, v14
	v_and_b32_e32 v12, 15, v12
	v_lshlrev_b32_e32 v11, v15, v11
	v_sub_u32_e32 v14, 29, v14
	v_and_b32_e32 v11, 7, v11
	v_cmp_eq_u16_e32 vcc, 0, v12
	v_cndmask_b32_e32 v10, v10, v11, vcc
	v_cndmask_b32_e32 v11, v12, v14, vcc
	v_lshlrev_b32_e32 v12, 16, v17
	v_mov_b32_e32 v14, 0x3b800000
	v_lshlrev_b32_e32 v10, 20, v10
	v_and_b32_e32 v12, 0x80000000, v12
	v_lshl_add_u32 v11, v11, 23, v14
	v_or3_b32 v10, v12, v11, v10
.LBB15_876:
	s_or_b64 exec, exec, s[6:7]
	v_lshrrev_b32_e32 v11, 8, v13
	s_movk_i32 s4, 0x7f
	v_cmp_gt_i16_sdwa s[6:7], v11, s4 src0_sel:BYTE_0 src1_sel:DWORD
	s_mov_b64 s[4:5], 0
                                        ; implicit-def: $sgpr10
	s_and_saveexec_b64 s[8:9], s[6:7]
	s_xor_b64 s[6:7], exec, s[8:9]
	s_cbranch_execnz .LBB15_2925
; %bb.877:
	s_or_saveexec_b64 s[6:7], s[6:7]
	v_mov_b32_e32 v12, s10
	s_xor_b64 exec, exec, s[6:7]
	s_cbranch_execnz .LBB15_2928
.LBB15_878:
	s_or_b64 exec, exec, s[6:7]
	s_and_saveexec_b64 s[6:7], s[4:5]
	s_cbranch_execz .LBB15_880
.LBB15_879:
	v_bfe_u32 v12, v13, 8, 3
	v_ffbh_u32_e32 v15, v12
	v_min_u32_e32 v15, 32, v15
	v_lshrrev_b16_e32 v14, 3, v11
	v_subrev_u32_e32 v16, 28, v15
	v_and_b32_e32 v14, 15, v14
	v_lshlrev_b32_e32 v11, v16, v11
	v_sub_u32_e32 v15, 29, v15
	v_and_b32_e32 v11, 7, v11
	v_cmp_eq_u16_e32 vcc, 0, v14
	v_cndmask_b32_e32 v11, v12, v11, vcc
	v_cndmask_b32_e32 v12, v14, v15, vcc
	v_lshlrev_b32_e32 v14, 16, v13
	v_mov_b32_e32 v15, 0x3b800000
	v_lshlrev_b32_e32 v11, 20, v11
	v_and_b32_e32 v14, 0x80000000, v14
	v_lshl_add_u32 v12, v12, 23, v15
	v_or3_b32 v12, v14, v12, v11
.LBB15_880:
	s_or_b64 exec, exec, s[6:7]
	s_nop 0
	v_mfma_f32_16x16x4f32 a[0:3], v10, v12, a[0:3]
	s_movk_i32 s4, 0xff
	v_and_b32_sdwa v11, v17, s4 dst_sel:DWORD dst_unused:UNUSED_PAD src0_sel:WORD_1 src1_sel:DWORD
	s_movk_i32 s4, 0x7f
	v_cmp_lt_i16_e32 vcc, s4, v11
	s_mov_b64 s[4:5], 0
                                        ; implicit-def: $sgpr10
	s_and_saveexec_b64 s[6:7], vcc
	s_xor_b64 s[6:7], exec, s[6:7]
	s_cbranch_execnz .LBB15_2929
; %bb.881:
	s_or_saveexec_b64 s[6:7], s[6:7]
	v_mov_b32_e32 v10, s10
	s_xor_b64 exec, exec, s[6:7]
	s_cbranch_execnz .LBB15_2932
.LBB15_882:
	s_or_b64 exec, exec, s[6:7]
	s_and_saveexec_b64 s[6:7], s[4:5]
	s_cbranch_execz .LBB15_884
.LBB15_883:
	v_bfe_u32 v10, v17, 16, 3
	v_ffbh_u32_e32 v14, v10
	v_min_u32_e32 v14, 32, v14
	v_lshrrev_b32_e32 v11, 19, v17
	v_subrev_u32_e32 v15, 28, v14
	v_and_b32_e32 v11, 15, v11
	v_lshlrev_b32_sdwa v15, v15, v17 dst_sel:DWORD dst_unused:UNUSED_PAD src0_sel:DWORD src1_sel:WORD_1
	v_bfe_u32 v12, v17, 19, 4
	v_sub_u32_e32 v14, 29, v14
	v_and_b32_e32 v15, 7, v15
	v_cmp_eq_u16_e32 vcc, 0, v11
	v_cndmask_b32_e32 v10, v10, v15, vcc
	v_cndmask_b32_e32 v11, v12, v14, vcc
	v_lshlrev_b32_e32 v12, 8, v17
	v_mov_b32_e32 v14, 0x3b800000
	v_lshlrev_b32_e32 v10, 20, v10
	v_and_b32_e32 v12, 0x80000000, v12
	v_lshl_add_u32 v11, v11, 23, v14
	v_or3_b32 v10, v12, v11, v10
.LBB15_884:
	s_or_b64 exec, exec, s[6:7]
	s_movk_i32 s4, 0xff
	v_and_b32_sdwa v11, v13, s4 dst_sel:DWORD dst_unused:UNUSED_PAD src0_sel:WORD_1 src1_sel:DWORD
	s_movk_i32 s4, 0x7f
	v_cmp_lt_i16_e32 vcc, s4, v11
	s_mov_b64 s[4:5], 0
                                        ; implicit-def: $sgpr10
	s_and_saveexec_b64 s[6:7], vcc
	s_xor_b64 s[6:7], exec, s[6:7]
	s_cbranch_execnz .LBB15_2933
; %bb.885:
	s_or_saveexec_b64 s[6:7], s[6:7]
	v_mov_b32_e32 v12, s10
	s_xor_b64 exec, exec, s[6:7]
	s_cbranch_execnz .LBB15_2936
.LBB15_886:
	s_or_b64 exec, exec, s[6:7]
	s_and_saveexec_b64 s[6:7], s[4:5]
	s_cbranch_execz .LBB15_888
.LBB15_887:
	v_bfe_u32 v11, v13, 16, 3
	v_ffbh_u32_e32 v15, v11
	v_min_u32_e32 v15, 32, v15
	v_lshrrev_b32_e32 v12, 19, v13
	v_subrev_u32_e32 v16, 28, v15
	v_and_b32_e32 v12, 15, v12
	v_lshlrev_b32_sdwa v16, v16, v13 dst_sel:DWORD dst_unused:UNUSED_PAD src0_sel:DWORD src1_sel:WORD_1
	v_bfe_u32 v14, v13, 19, 4
	v_sub_u32_e32 v15, 29, v15
	v_and_b32_e32 v16, 7, v16
	v_cmp_eq_u16_e32 vcc, 0, v12
	v_cndmask_b32_e32 v11, v11, v16, vcc
	v_cndmask_b32_e32 v12, v14, v15, vcc
	v_lshlrev_b32_e32 v14, 8, v13
	v_mov_b32_e32 v15, 0x3b800000
	v_lshlrev_b32_e32 v11, 20, v11
	v_and_b32_e32 v14, 0x80000000, v14
	v_lshl_add_u32 v12, v12, 23, v15
	v_or3_b32 v12, v14, v12, v11
.LBB15_888:
	s_or_b64 exec, exec, s[6:7]
	s_nop 0
	v_mfma_f32_16x16x4f32 a[0:3], v10, v12, a[0:3]
	s_movk_i32 s4, 0x7f
	v_cmp_gt_i16_sdwa s[6:7], v17, s4 src0_sel:BYTE_3 src1_sel:DWORD
	s_mov_b64 s[4:5], 0
                                        ; implicit-def: $sgpr10
	s_and_saveexec_b64 s[8:9], s[6:7]
	s_xor_b64 s[6:7], exec, s[8:9]
	s_cbranch_execnz .LBB15_2937
; %bb.889:
	s_or_saveexec_b64 s[6:7], s[6:7]
	v_mov_b32_e32 v10, s10
	s_xor_b64 exec, exec, s[6:7]
	s_cbranch_execnz .LBB15_2940
.LBB15_890:
	s_or_b64 exec, exec, s[6:7]
	s_and_saveexec_b64 s[6:7], s[4:5]
	s_cbranch_execz .LBB15_892
.LBB15_891:
	v_bfe_u32 v10, v17, 24, 3
	v_ffbh_u32_e32 v15, v10
	v_min_u32_e32 v15, 32, v15
	v_lshrrev_b32_e32 v12, 27, v17
	v_subrev_u32_e32 v16, 28, v15
	v_and_b32_e32 v12, 15, v12
	v_lshlrev_b32_sdwa v16, v16, v17 dst_sel:DWORD dst_unused:UNUSED_PAD src0_sel:DWORD src1_sel:BYTE_3
	v_bfe_u32 v14, v17, 27, 4
	v_sub_u32_e32 v15, 29, v15
	v_and_b32_e32 v16, 7, v16
	v_cmp_eq_u16_e32 vcc, 0, v12
	v_cndmask_b32_e32 v10, v10, v16, vcc
	v_cndmask_b32_e32 v12, v14, v15, vcc
	v_mov_b32_e32 v14, 0x3b800000
	v_and_b32_e32 v11, 0x80000000, v17
	v_lshlrev_b32_e32 v10, 20, v10
	v_lshl_add_u32 v12, v12, 23, v14
	v_or3_b32 v10, v11, v12, v10
.LBB15_892:
	s_or_b64 exec, exec, s[6:7]
	s_movk_i32 s4, 0x7f
	v_cmp_gt_i16_sdwa s[6:7], v13, s4 src0_sel:BYTE_3 src1_sel:DWORD
	s_mov_b64 s[4:5], 0
                                        ; implicit-def: $sgpr10
	s_and_saveexec_b64 s[8:9], s[6:7]
	s_xor_b64 s[6:7], exec, s[8:9]
	s_cbranch_execnz .LBB15_2941
; %bb.893:
	s_or_saveexec_b64 s[6:7], s[6:7]
	v_mov_b32_e32 v11, s10
	s_xor_b64 exec, exec, s[6:7]
	s_cbranch_execnz .LBB15_2944
.LBB15_894:
	s_or_b64 exec, exec, s[6:7]
	s_and_saveexec_b64 s[6:7], s[4:5]
	s_cbranch_execz .LBB15_896
.LBB15_895:
	v_bfe_u32 v11, v13, 24, 3
	v_ffbh_u32_e32 v16, v11
	v_min_u32_e32 v16, 32, v16
	v_lshrrev_b32_e32 v14, 27, v13
	v_subrev_u32_e32 v17, 28, v16
	v_and_b32_e32 v12, 0x80000000, v13
	v_and_b32_e32 v14, 15, v14
	v_bfe_u32 v15, v13, 27, 4
	v_lshlrev_b32_sdwa v13, v17, v13 dst_sel:DWORD dst_unused:UNUSED_PAD src0_sel:DWORD src1_sel:BYTE_3
	v_sub_u32_e32 v16, 29, v16
	v_and_b32_e32 v13, 7, v13
	v_cmp_eq_u16_e32 vcc, 0, v14
	v_cndmask_b32_e32 v11, v11, v13, vcc
	v_cndmask_b32_e32 v13, v15, v16, vcc
	v_mov_b32_e32 v14, 0x3b800000
	v_lshlrev_b32_e32 v11, 20, v11
	v_lshl_add_u32 v13, v13, 23, v14
	v_or3_b32 v11, v12, v13, v11
.LBB15_896:
	s_or_b64 exec, exec, s[6:7]
	s_nop 0
	v_mfma_f32_16x16x4f32 a[0:3], v10, v11, a[0:3]
	s_movk_i32 s4, 0x7f
	v_cmp_gt_i16_sdwa s[6:7], v6, s4 src0_sel:BYTE_0 src1_sel:DWORD
	s_mov_b64 s[4:5], 0
                                        ; implicit-def: $sgpr10
	s_and_saveexec_b64 s[8:9], s[6:7]
	s_xor_b64 s[6:7], exec, s[8:9]
	s_cbranch_execnz .LBB15_2945
; %bb.897:
	s_or_saveexec_b64 s[6:7], s[6:7]
	v_mov_b32_e32 v10, s10
	s_xor_b64 exec, exec, s[6:7]
	s_cbranch_execnz .LBB15_2948
.LBB15_898:
	s_or_b64 exec, exec, s[6:7]
	s_and_saveexec_b64 s[6:7], s[4:5]
	s_cbranch_execz .LBB15_900
.LBB15_899:
	v_and_b32_e32 v10, 7, v6
	v_ffbh_u32_e32 v12, v10
	v_min_u32_e32 v12, 32, v12
	v_lshrrev_b16_e32 v11, 3, v6
	v_subrev_u32_e32 v13, 28, v12
	v_and_b32_e32 v11, 15, v11
	v_lshlrev_b32_e32 v13, v13, v6
	v_sub_u32_e32 v12, 29, v12
	v_and_b32_e32 v13, 7, v13
	v_cmp_eq_u16_e32 vcc, 0, v11
	v_cndmask_b32_e32 v10, v10, v13, vcc
	v_cndmask_b32_e32 v11, v11, v12, vcc
	v_lshlrev_b32_e32 v12, 24, v6
	v_mov_b32_e32 v13, 0x3b800000
	v_lshlrev_b32_e32 v10, 20, v10
	v_and_b32_e32 v12, 0x80000000, v12
	v_lshl_add_u32 v11, v11, 23, v13
	v_or3_b32 v10, v12, v11, v10
.LBB15_900:
	s_or_b64 exec, exec, s[6:7]
	s_movk_i32 s4, 0x7f
	v_cmp_gt_i16_sdwa s[6:7], v2, s4 src0_sel:BYTE_0 src1_sel:DWORD
	s_mov_b64 s[4:5], 0
                                        ; implicit-def: $sgpr10
	s_and_saveexec_b64 s[8:9], s[6:7]
	s_xor_b64 s[6:7], exec, s[8:9]
	s_cbranch_execnz .LBB15_2949
; %bb.901:
	s_or_saveexec_b64 s[6:7], s[6:7]
	v_mov_b32_e32 v11, s10
	s_xor_b64 exec, exec, s[6:7]
	s_cbranch_execnz .LBB15_2952
.LBB15_902:
	s_or_b64 exec, exec, s[6:7]
	s_and_saveexec_b64 s[6:7], s[4:5]
	s_cbranch_execz .LBB15_904
.LBB15_903:
	v_and_b32_e32 v11, 7, v2
	v_ffbh_u32_e32 v13, v11
	v_min_u32_e32 v13, 32, v13
	v_lshrrev_b16_e32 v12, 3, v2
	v_subrev_u32_e32 v14, 28, v13
	v_and_b32_e32 v12, 15, v12
	v_lshlrev_b32_e32 v14, v14, v2
	v_sub_u32_e32 v13, 29, v13
	v_and_b32_e32 v14, 7, v14
	v_cmp_eq_u16_e32 vcc, 0, v12
	v_cndmask_b32_e32 v11, v11, v14, vcc
	v_cndmask_b32_e32 v12, v12, v13, vcc
	v_lshlrev_b32_e32 v13, 24, v2
	v_mov_b32_e32 v14, 0x3b800000
	v_lshlrev_b32_e32 v11, 20, v11
	v_and_b32_e32 v13, 0x80000000, v13
	v_lshl_add_u32 v12, v12, 23, v14
	v_or3_b32 v11, v13, v12, v11
.LBB15_904:
	s_or_b64 exec, exec, s[6:7]
	s_nop 0
	v_mfma_f32_16x16x4f32 a[0:3], v10, v11, a[0:3]
	v_lshrrev_b32_e32 v11, 8, v6
	s_movk_i32 s4, 0x7f
	v_cmp_gt_i16_sdwa s[6:7], v11, s4 src0_sel:BYTE_0 src1_sel:DWORD
	s_mov_b64 s[4:5], 0
                                        ; implicit-def: $sgpr10
	s_and_saveexec_b64 s[8:9], s[6:7]
	s_xor_b64 s[6:7], exec, s[8:9]
	s_cbranch_execnz .LBB15_2953
; %bb.905:
	s_or_saveexec_b64 s[6:7], s[6:7]
	v_mov_b32_e32 v10, s10
	s_xor_b64 exec, exec, s[6:7]
	s_cbranch_execnz .LBB15_2956
.LBB15_906:
	s_or_b64 exec, exec, s[6:7]
	s_and_saveexec_b64 s[6:7], s[4:5]
	s_cbranch_execz .LBB15_908
.LBB15_907:
	v_bfe_u32 v10, v6, 8, 3
	v_ffbh_u32_e32 v13, v10
	v_min_u32_e32 v13, 32, v13
	v_lshrrev_b16_e32 v12, 3, v11
	v_subrev_u32_e32 v14, 28, v13
	v_and_b32_e32 v12, 15, v12
	v_lshlrev_b32_e32 v11, v14, v11
	v_sub_u32_e32 v13, 29, v13
	v_and_b32_e32 v11, 7, v11
	v_cmp_eq_u16_e32 vcc, 0, v12
	v_cndmask_b32_e32 v10, v10, v11, vcc
	v_cndmask_b32_e32 v11, v12, v13, vcc
	v_lshlrev_b32_e32 v12, 16, v6
	v_mov_b32_e32 v13, 0x3b800000
	v_lshlrev_b32_e32 v10, 20, v10
	v_and_b32_e32 v12, 0x80000000, v12
	v_lshl_add_u32 v11, v11, 23, v13
	v_or3_b32 v10, v12, v11, v10
.LBB15_908:
	s_or_b64 exec, exec, s[6:7]
	v_lshrrev_b32_e32 v11, 8, v2
	s_movk_i32 s4, 0x7f
	v_cmp_gt_i16_sdwa s[6:7], v11, s4 src0_sel:BYTE_0 src1_sel:DWORD
	s_mov_b64 s[4:5], 0
                                        ; implicit-def: $sgpr10
	s_and_saveexec_b64 s[8:9], s[6:7]
	s_xor_b64 s[6:7], exec, s[8:9]
	s_cbranch_execnz .LBB15_2957
; %bb.909:
	s_or_saveexec_b64 s[6:7], s[6:7]
	v_mov_b32_e32 v12, s10
	s_xor_b64 exec, exec, s[6:7]
	s_cbranch_execnz .LBB15_2960
.LBB15_910:
	s_or_b64 exec, exec, s[6:7]
	s_and_saveexec_b64 s[6:7], s[4:5]
	s_cbranch_execz .LBB15_912
.LBB15_911:
	v_bfe_u32 v12, v2, 8, 3
	v_ffbh_u32_e32 v14, v12
	v_min_u32_e32 v14, 32, v14
	v_lshrrev_b16_e32 v13, 3, v11
	v_subrev_u32_e32 v15, 28, v14
	v_and_b32_e32 v13, 15, v13
	v_lshlrev_b32_e32 v11, v15, v11
	v_sub_u32_e32 v14, 29, v14
	v_and_b32_e32 v11, 7, v11
	v_cmp_eq_u16_e32 vcc, 0, v13
	v_cndmask_b32_e32 v11, v12, v11, vcc
	v_cndmask_b32_e32 v12, v13, v14, vcc
	v_lshlrev_b32_e32 v13, 16, v2
	v_mov_b32_e32 v14, 0x3b800000
	v_lshlrev_b32_e32 v11, 20, v11
	v_and_b32_e32 v13, 0x80000000, v13
	v_lshl_add_u32 v12, v12, 23, v14
	v_or3_b32 v12, v13, v12, v11
.LBB15_912:
	s_or_b64 exec, exec, s[6:7]
	s_nop 0
	v_mfma_f32_16x16x4f32 a[0:3], v10, v12, a[0:3]
	s_movk_i32 s4, 0xff
	v_and_b32_sdwa v11, v6, s4 dst_sel:DWORD dst_unused:UNUSED_PAD src0_sel:WORD_1 src1_sel:DWORD
	s_movk_i32 s4, 0x7f
	v_cmp_lt_i16_e32 vcc, s4, v11
	s_mov_b64 s[4:5], 0
                                        ; implicit-def: $sgpr10
	s_and_saveexec_b64 s[6:7], vcc
	s_xor_b64 s[6:7], exec, s[6:7]
	s_cbranch_execnz .LBB15_2961
; %bb.913:
	s_or_saveexec_b64 s[6:7], s[6:7]
	v_mov_b32_e32 v10, s10
	s_xor_b64 exec, exec, s[6:7]
	s_cbranch_execnz .LBB15_2964
.LBB15_914:
	s_or_b64 exec, exec, s[6:7]
	s_and_saveexec_b64 s[6:7], s[4:5]
	s_cbranch_execz .LBB15_916
.LBB15_915:
	v_bfe_u32 v10, v6, 16, 3
	v_ffbh_u32_e32 v13, v10
	v_min_u32_e32 v13, 32, v13
	v_lshrrev_b32_e32 v11, 19, v6
	v_subrev_u32_e32 v14, 28, v13
	v_and_b32_e32 v11, 15, v11
	v_lshlrev_b32_sdwa v14, v14, v6 dst_sel:DWORD dst_unused:UNUSED_PAD src0_sel:DWORD src1_sel:WORD_1
	v_bfe_u32 v12, v6, 19, 4
	v_sub_u32_e32 v13, 29, v13
	v_and_b32_e32 v14, 7, v14
	v_cmp_eq_u16_e32 vcc, 0, v11
	v_cndmask_b32_e32 v10, v10, v14, vcc
	v_cndmask_b32_e32 v11, v12, v13, vcc
	v_lshlrev_b32_e32 v12, 8, v6
	v_mov_b32_e32 v13, 0x3b800000
	v_lshlrev_b32_e32 v10, 20, v10
	v_and_b32_e32 v12, 0x80000000, v12
	v_lshl_add_u32 v11, v11, 23, v13
	v_or3_b32 v10, v12, v11, v10
.LBB15_916:
	s_or_b64 exec, exec, s[6:7]
	s_movk_i32 s4, 0xff
	v_and_b32_sdwa v11, v2, s4 dst_sel:DWORD dst_unused:UNUSED_PAD src0_sel:WORD_1 src1_sel:DWORD
	s_movk_i32 s4, 0x7f
	v_cmp_lt_i16_e32 vcc, s4, v11
	s_mov_b64 s[4:5], 0
                                        ; implicit-def: $sgpr10
	s_and_saveexec_b64 s[6:7], vcc
	s_xor_b64 s[6:7], exec, s[6:7]
	s_cbranch_execnz .LBB15_2965
; %bb.917:
	s_or_saveexec_b64 s[6:7], s[6:7]
	v_mov_b32_e32 v12, s10
	s_xor_b64 exec, exec, s[6:7]
	s_cbranch_execnz .LBB15_2968
.LBB15_918:
	s_or_b64 exec, exec, s[6:7]
	s_and_saveexec_b64 s[6:7], s[4:5]
	s_cbranch_execz .LBB15_920
.LBB15_919:
	v_bfe_u32 v11, v2, 16, 3
	v_ffbh_u32_e32 v14, v11
	v_min_u32_e32 v14, 32, v14
	v_lshrrev_b32_e32 v12, 19, v2
	v_subrev_u32_e32 v15, 28, v14
	v_and_b32_e32 v12, 15, v12
	v_lshlrev_b32_sdwa v15, v15, v2 dst_sel:DWORD dst_unused:UNUSED_PAD src0_sel:DWORD src1_sel:WORD_1
	v_bfe_u32 v13, v2, 19, 4
	v_sub_u32_e32 v14, 29, v14
	v_and_b32_e32 v15, 7, v15
	v_cmp_eq_u16_e32 vcc, 0, v12
	v_cndmask_b32_e32 v11, v11, v15, vcc
	v_cndmask_b32_e32 v12, v13, v14, vcc
	v_lshlrev_b32_e32 v13, 8, v2
	v_mov_b32_e32 v14, 0x3b800000
	v_lshlrev_b32_e32 v11, 20, v11
	v_and_b32_e32 v13, 0x80000000, v13
	v_lshl_add_u32 v12, v12, 23, v14
	v_or3_b32 v12, v13, v12, v11
.LBB15_920:
	s_or_b64 exec, exec, s[6:7]
	s_nop 0
	v_mfma_f32_16x16x4f32 a[0:3], v10, v12, a[0:3]
	s_movk_i32 s4, 0x7f
	v_cmp_gt_i16_sdwa s[6:7], v6, s4 src0_sel:BYTE_3 src1_sel:DWORD
	s_mov_b64 s[4:5], 0
                                        ; implicit-def: $sgpr10
	s_and_saveexec_b64 s[8:9], s[6:7]
	s_xor_b64 s[6:7], exec, s[8:9]
	s_cbranch_execnz .LBB15_2969
; %bb.921:
	s_or_saveexec_b64 s[6:7], s[6:7]
	v_mov_b32_e32 v10, s10
	s_xor_b64 exec, exec, s[6:7]
	s_cbranch_execnz .LBB15_2972
.LBB15_922:
	s_or_b64 exec, exec, s[6:7]
	s_and_saveexec_b64 s[6:7], s[4:5]
	s_cbranch_execz .LBB15_924
.LBB15_923:
	v_bfe_u32 v10, v6, 24, 3
	v_ffbh_u32_e32 v14, v10
	v_min_u32_e32 v14, 32, v14
	v_lshrrev_b32_e32 v12, 27, v6
	v_subrev_u32_e32 v15, 28, v14
	v_and_b32_e32 v11, 0x80000000, v6
	v_and_b32_e32 v12, 15, v12
	v_bfe_u32 v13, v6, 27, 4
	v_lshlrev_b32_sdwa v6, v15, v6 dst_sel:DWORD dst_unused:UNUSED_PAD src0_sel:DWORD src1_sel:BYTE_3
	v_sub_u32_e32 v14, 29, v14
	v_and_b32_e32 v6, 7, v6
	v_cmp_eq_u16_e32 vcc, 0, v12
	v_cndmask_b32_e32 v6, v10, v6, vcc
	v_cndmask_b32_e32 v10, v13, v14, vcc
	v_mov_b32_e32 v12, 0x3b800000
	v_lshlrev_b32_e32 v6, 20, v6
	v_lshl_add_u32 v10, v10, 23, v12
	v_or3_b32 v10, v11, v10, v6
.LBB15_924:
	s_or_b64 exec, exec, s[6:7]
	s_movk_i32 s4, 0x7f
	v_cmp_gt_i16_sdwa s[6:7], v2, s4 src0_sel:BYTE_3 src1_sel:DWORD
	s_mov_b64 s[4:5], 0
                                        ; implicit-def: $sgpr10
	s_and_saveexec_b64 s[8:9], s[6:7]
	s_xor_b64 s[6:7], exec, s[8:9]
	s_cbranch_execnz .LBB15_2973
; %bb.925:
	s_or_saveexec_b64 s[6:7], s[6:7]
	v_mov_b32_e32 v6, s10
	s_xor_b64 exec, exec, s[6:7]
	s_cbranch_execnz .LBB15_2976
.LBB15_926:
	s_or_b64 exec, exec, s[6:7]
	s_and_saveexec_b64 s[6:7], s[4:5]
	s_cbranch_execz .LBB15_928
.LBB15_927:
	v_bfe_u32 v6, v2, 24, 3
	v_ffbh_u32_e32 v14, v6
	v_min_u32_e32 v14, 32, v14
	v_lshrrev_b32_e32 v12, 27, v2
	v_subrev_u32_e32 v15, 28, v14
	v_and_b32_e32 v11, 0x80000000, v2
	v_and_b32_e32 v12, 15, v12
	v_bfe_u32 v13, v2, 27, 4
	v_lshlrev_b32_sdwa v2, v15, v2 dst_sel:DWORD dst_unused:UNUSED_PAD src0_sel:DWORD src1_sel:BYTE_3
	v_sub_u32_e32 v14, 29, v14
	v_and_b32_e32 v2, 7, v2
	v_cmp_eq_u16_e32 vcc, 0, v12
	v_cndmask_b32_e32 v2, v6, v2, vcc
	v_cndmask_b32_e32 v6, v13, v14, vcc
	v_mov_b32_e32 v12, 0x3b800000
	v_lshlrev_b32_e32 v2, 20, v2
	v_lshl_add_u32 v6, v6, 23, v12
	v_or3_b32 v6, v11, v6, v2
.LBB15_928:
	s_or_b64 exec, exec, s[6:7]
	s_nop 0
	v_mfma_f32_16x16x4f32 a[0:3], v10, v6, a[0:3]
	s_movk_i32 s4, 0x7f
	v_cmp_gt_i16_sdwa s[6:7], v7, s4 src0_sel:BYTE_0 src1_sel:DWORD
	s_mov_b64 s[4:5], 0
                                        ; implicit-def: $sgpr10
	s_and_saveexec_b64 s[8:9], s[6:7]
	s_xor_b64 s[6:7], exec, s[8:9]
	s_cbranch_execnz .LBB15_2977
; %bb.929:
	s_or_saveexec_b64 s[6:7], s[6:7]
	v_mov_b32_e32 v2, s10
	s_xor_b64 exec, exec, s[6:7]
	s_cbranch_execnz .LBB15_2980
.LBB15_930:
	s_or_b64 exec, exec, s[6:7]
	s_and_saveexec_b64 s[6:7], s[4:5]
	s_cbranch_execz .LBB15_932
.LBB15_931:
	v_and_b32_e32 v2, 7, v7
	v_ffbh_u32_e32 v10, v2
	v_min_u32_e32 v10, 32, v10
	v_lshrrev_b16_e32 v6, 3, v7
	v_subrev_u32_e32 v11, 28, v10
	v_and_b32_e32 v6, 15, v6
	v_lshlrev_b32_e32 v11, v11, v7
	v_sub_u32_e32 v10, 29, v10
	v_and_b32_e32 v11, 7, v11
	v_cmp_eq_u16_e32 vcc, 0, v6
	v_cndmask_b32_e32 v2, v2, v11, vcc
	v_cndmask_b32_e32 v6, v6, v10, vcc
	v_lshlrev_b32_e32 v10, 24, v7
	v_mov_b32_e32 v11, 0x3b800000
	v_lshlrev_b32_e32 v2, 20, v2
	v_and_b32_e32 v10, 0x80000000, v10
	v_lshl_add_u32 v6, v6, 23, v11
	v_or3_b32 v2, v10, v6, v2
.LBB15_932:
	s_or_b64 exec, exec, s[6:7]
	s_movk_i32 s4, 0x7f
	v_cmp_gt_i16_sdwa s[6:7], v3, s4 src0_sel:BYTE_0 src1_sel:DWORD
	s_mov_b64 s[4:5], 0
                                        ; implicit-def: $sgpr10
	s_and_saveexec_b64 s[8:9], s[6:7]
	s_xor_b64 s[6:7], exec, s[8:9]
	s_cbranch_execnz .LBB15_2981
; %bb.933:
	s_or_saveexec_b64 s[6:7], s[6:7]
	v_mov_b32_e32 v6, s10
	s_xor_b64 exec, exec, s[6:7]
	s_cbranch_execnz .LBB15_2984
.LBB15_934:
	s_or_b64 exec, exec, s[6:7]
	s_and_saveexec_b64 s[6:7], s[4:5]
	s_cbranch_execz .LBB15_936
.LBB15_935:
	v_and_b32_e32 v6, 7, v3
	v_ffbh_u32_e32 v11, v6
	v_min_u32_e32 v11, 32, v11
	v_lshrrev_b16_e32 v10, 3, v3
	v_subrev_u32_e32 v12, 28, v11
	v_and_b32_e32 v10, 15, v10
	v_lshlrev_b32_e32 v12, v12, v3
	v_sub_u32_e32 v11, 29, v11
	v_and_b32_e32 v12, 7, v12
	v_cmp_eq_u16_e32 vcc, 0, v10
	v_cndmask_b32_e32 v6, v6, v12, vcc
	v_cndmask_b32_e32 v10, v10, v11, vcc
	v_lshlrev_b32_e32 v11, 24, v3
	v_mov_b32_e32 v12, 0x3b800000
	v_lshlrev_b32_e32 v6, 20, v6
	v_and_b32_e32 v11, 0x80000000, v11
	v_lshl_add_u32 v10, v10, 23, v12
	v_or3_b32 v6, v11, v10, v6
.LBB15_936:
	s_or_b64 exec, exec, s[6:7]
	s_nop 0
	v_mfma_f32_16x16x4f32 a[0:3], v2, v6, a[0:3]
	v_lshrrev_b32_e32 v6, 8, v7
	s_movk_i32 s4, 0x7f
	v_cmp_gt_i16_sdwa s[6:7], v6, s4 src0_sel:BYTE_0 src1_sel:DWORD
	s_mov_b64 s[4:5], 0
                                        ; implicit-def: $sgpr10
	s_and_saveexec_b64 s[8:9], s[6:7]
	s_xor_b64 s[6:7], exec, s[8:9]
	s_cbranch_execnz .LBB15_2985
; %bb.937:
	s_or_saveexec_b64 s[6:7], s[6:7]
	v_mov_b32_e32 v2, s10
	s_xor_b64 exec, exec, s[6:7]
	s_cbranch_execnz .LBB15_2988
.LBB15_938:
	s_or_b64 exec, exec, s[6:7]
	s_and_saveexec_b64 s[6:7], s[4:5]
	s_cbranch_execz .LBB15_940
.LBB15_939:
	v_bfe_u32 v2, v7, 8, 3
	v_ffbh_u32_e32 v11, v2
	v_min_u32_e32 v11, 32, v11
	v_lshrrev_b16_e32 v10, 3, v6
	v_subrev_u32_e32 v12, 28, v11
	v_and_b32_e32 v10, 15, v10
	v_lshlrev_b32_e32 v6, v12, v6
	v_sub_u32_e32 v11, 29, v11
	v_and_b32_e32 v6, 7, v6
	v_cmp_eq_u16_e32 vcc, 0, v10
	v_cndmask_b32_e32 v2, v2, v6, vcc
	v_cndmask_b32_e32 v6, v10, v11, vcc
	v_lshlrev_b32_e32 v10, 16, v7
	v_mov_b32_e32 v11, 0x3b800000
	v_lshlrev_b32_e32 v2, 20, v2
	v_and_b32_e32 v10, 0x80000000, v10
	v_lshl_add_u32 v6, v6, 23, v11
	v_or3_b32 v2, v10, v6, v2
.LBB15_940:
	s_or_b64 exec, exec, s[6:7]
	v_lshrrev_b32_e32 v6, 8, v3
	s_movk_i32 s4, 0x7f
	v_cmp_gt_i16_sdwa s[6:7], v6, s4 src0_sel:BYTE_0 src1_sel:DWORD
	s_mov_b64 s[4:5], 0
                                        ; implicit-def: $sgpr10
	s_and_saveexec_b64 s[8:9], s[6:7]
	s_xor_b64 s[6:7], exec, s[8:9]
	s_cbranch_execnz .LBB15_2989
; %bb.941:
	s_or_saveexec_b64 s[6:7], s[6:7]
	v_mov_b32_e32 v10, s10
	s_xor_b64 exec, exec, s[6:7]
	s_cbranch_execnz .LBB15_2992
.LBB15_942:
	s_or_b64 exec, exec, s[6:7]
	s_and_saveexec_b64 s[6:7], s[4:5]
	s_cbranch_execz .LBB15_944
.LBB15_943:
	v_bfe_u32 v10, v3, 8, 3
	v_ffbh_u32_e32 v12, v10
	v_min_u32_e32 v12, 32, v12
	v_lshrrev_b16_e32 v11, 3, v6
	v_subrev_u32_e32 v13, 28, v12
	v_and_b32_e32 v11, 15, v11
	v_lshlrev_b32_e32 v6, v13, v6
	v_sub_u32_e32 v12, 29, v12
	v_and_b32_e32 v6, 7, v6
	v_cmp_eq_u16_e32 vcc, 0, v11
	v_cndmask_b32_e32 v6, v10, v6, vcc
	v_cndmask_b32_e32 v10, v11, v12, vcc
	v_lshlrev_b32_e32 v11, 16, v3
	v_mov_b32_e32 v12, 0x3b800000
	v_lshlrev_b32_e32 v6, 20, v6
	v_and_b32_e32 v11, 0x80000000, v11
	v_lshl_add_u32 v10, v10, 23, v12
	v_or3_b32 v10, v11, v10, v6
.LBB15_944:
	s_or_b64 exec, exec, s[6:7]
	s_nop 0
	v_mfma_f32_16x16x4f32 a[0:3], v2, v10, a[0:3]
	s_movk_i32 s4, 0xff
	v_and_b32_sdwa v6, v7, s4 dst_sel:DWORD dst_unused:UNUSED_PAD src0_sel:WORD_1 src1_sel:DWORD
	s_movk_i32 s4, 0x7f
	v_cmp_lt_i16_e32 vcc, s4, v6
	s_mov_b64 s[4:5], 0
                                        ; implicit-def: $sgpr10
	s_and_saveexec_b64 s[6:7], vcc
	s_xor_b64 s[6:7], exec, s[6:7]
	s_cbranch_execnz .LBB15_2993
; %bb.945:
	s_or_saveexec_b64 s[6:7], s[6:7]
	v_mov_b32_e32 v2, s10
	s_xor_b64 exec, exec, s[6:7]
	s_cbranch_execnz .LBB15_2996
.LBB15_946:
	s_or_b64 exec, exec, s[6:7]
	s_and_saveexec_b64 s[6:7], s[4:5]
	s_cbranch_execz .LBB15_948
.LBB15_947:
	v_bfe_u32 v2, v7, 16, 3
	v_ffbh_u32_e32 v11, v2
	v_min_u32_e32 v11, 32, v11
	v_lshrrev_b32_e32 v6, 19, v7
	v_subrev_u32_e32 v12, 28, v11
	v_and_b32_e32 v6, 15, v6
	v_lshlrev_b32_sdwa v12, v12, v7 dst_sel:DWORD dst_unused:UNUSED_PAD src0_sel:DWORD src1_sel:WORD_1
	v_bfe_u32 v10, v7, 19, 4
	v_sub_u32_e32 v11, 29, v11
	v_and_b32_e32 v12, 7, v12
	v_cmp_eq_u16_e32 vcc, 0, v6
	v_cndmask_b32_e32 v2, v2, v12, vcc
	v_cndmask_b32_e32 v6, v10, v11, vcc
	v_lshlrev_b32_e32 v10, 8, v7
	v_mov_b32_e32 v11, 0x3b800000
	v_lshlrev_b32_e32 v2, 20, v2
	v_and_b32_e32 v10, 0x80000000, v10
	v_lshl_add_u32 v6, v6, 23, v11
	v_or3_b32 v2, v10, v6, v2
.LBB15_948:
	s_or_b64 exec, exec, s[6:7]
	s_movk_i32 s4, 0xff
	v_and_b32_sdwa v6, v3, s4 dst_sel:DWORD dst_unused:UNUSED_PAD src0_sel:WORD_1 src1_sel:DWORD
	s_movk_i32 s4, 0x7f
	v_cmp_lt_i16_e32 vcc, s4, v6
	s_mov_b64 s[4:5], 0
                                        ; implicit-def: $sgpr10
	s_and_saveexec_b64 s[6:7], vcc
	s_xor_b64 s[6:7], exec, s[6:7]
	s_cbranch_execnz .LBB15_2997
; %bb.949:
	s_or_saveexec_b64 s[6:7], s[6:7]
	v_mov_b32_e32 v10, s10
	s_xor_b64 exec, exec, s[6:7]
	s_cbranch_execnz .LBB15_3000
.LBB15_950:
	s_or_b64 exec, exec, s[6:7]
	s_and_saveexec_b64 s[6:7], s[4:5]
	s_cbranch_execz .LBB15_952
.LBB15_951:
	v_bfe_u32 v6, v3, 16, 3
	v_ffbh_u32_e32 v12, v6
	v_min_u32_e32 v12, 32, v12
	v_lshrrev_b32_e32 v10, 19, v3
	v_subrev_u32_e32 v13, 28, v12
	v_and_b32_e32 v10, 15, v10
	v_lshlrev_b32_sdwa v13, v13, v3 dst_sel:DWORD dst_unused:UNUSED_PAD src0_sel:DWORD src1_sel:WORD_1
	v_bfe_u32 v11, v3, 19, 4
	v_sub_u32_e32 v12, 29, v12
	v_and_b32_e32 v13, 7, v13
	v_cmp_eq_u16_e32 vcc, 0, v10
	v_cndmask_b32_e32 v6, v6, v13, vcc
	v_cndmask_b32_e32 v10, v11, v12, vcc
	v_lshlrev_b32_e32 v11, 8, v3
	v_mov_b32_e32 v12, 0x3b800000
	v_lshlrev_b32_e32 v6, 20, v6
	v_and_b32_e32 v11, 0x80000000, v11
	v_lshl_add_u32 v10, v10, 23, v12
	v_or3_b32 v10, v11, v10, v6
.LBB15_952:
	s_or_b64 exec, exec, s[6:7]
	s_nop 0
	v_mfma_f32_16x16x4f32 a[0:3], v2, v10, a[0:3]
	s_movk_i32 s4, 0x7f
	v_cmp_gt_i16_sdwa s[6:7], v7, s4 src0_sel:BYTE_3 src1_sel:DWORD
	s_mov_b64 s[4:5], 0
                                        ; implicit-def: $sgpr10
	s_and_saveexec_b64 s[8:9], s[6:7]
	s_xor_b64 s[6:7], exec, s[8:9]
	s_cbranch_execnz .LBB15_3001
; %bb.953:
	s_or_saveexec_b64 s[6:7], s[6:7]
	v_mov_b32_e32 v2, s10
	s_xor_b64 exec, exec, s[6:7]
	s_cbranch_execnz .LBB15_3004
.LBB15_954:
	s_or_b64 exec, exec, s[6:7]
	s_and_saveexec_b64 s[6:7], s[4:5]
	s_cbranch_execz .LBB15_956
.LBB15_955:
	v_bfe_u32 v2, v7, 24, 3
	v_ffbh_u32_e32 v12, v2
	v_min_u32_e32 v12, 32, v12
	v_lshrrev_b32_e32 v10, 27, v7
	v_subrev_u32_e32 v13, 28, v12
	v_and_b32_e32 v6, 0x80000000, v7
	v_and_b32_e32 v10, 15, v10
	v_bfe_u32 v11, v7, 27, 4
	v_lshlrev_b32_sdwa v7, v13, v7 dst_sel:DWORD dst_unused:UNUSED_PAD src0_sel:DWORD src1_sel:BYTE_3
	v_sub_u32_e32 v12, 29, v12
	v_and_b32_e32 v7, 7, v7
	v_cmp_eq_u16_e32 vcc, 0, v10
	v_cndmask_b32_e32 v2, v2, v7, vcc
	v_cndmask_b32_e32 v7, v11, v12, vcc
	v_mov_b32_e32 v10, 0x3b800000
	v_lshlrev_b32_e32 v2, 20, v2
	v_lshl_add_u32 v7, v7, 23, v10
	v_or3_b32 v2, v6, v7, v2
.LBB15_956:
	s_or_b64 exec, exec, s[6:7]
	s_movk_i32 s4, 0x7f
	v_cmp_gt_i16_sdwa s[6:7], v3, s4 src0_sel:BYTE_3 src1_sel:DWORD
	s_mov_b64 s[4:5], 0
                                        ; implicit-def: $sgpr10
	s_and_saveexec_b64 s[8:9], s[6:7]
	s_xor_b64 s[6:7], exec, s[8:9]
	s_cbranch_execnz .LBB15_3005
; %bb.957:
	s_or_saveexec_b64 s[6:7], s[6:7]
	v_mov_b32_e32 v6, s10
	s_xor_b64 exec, exec, s[6:7]
	s_cbranch_execnz .LBB15_3008
.LBB15_958:
	s_or_b64 exec, exec, s[6:7]
	s_and_saveexec_b64 s[6:7], s[4:5]
	s_cbranch_execz .LBB15_960
.LBB15_959:
	v_bfe_u32 v6, v3, 24, 3
	v_ffbh_u32_e32 v12, v6
	v_min_u32_e32 v12, 32, v12
	v_lshrrev_b32_e32 v10, 27, v3
	v_subrev_u32_e32 v13, 28, v12
	v_and_b32_e32 v7, 0x80000000, v3
	v_and_b32_e32 v10, 15, v10
	v_bfe_u32 v11, v3, 27, 4
	v_lshlrev_b32_sdwa v3, v13, v3 dst_sel:DWORD dst_unused:UNUSED_PAD src0_sel:DWORD src1_sel:BYTE_3
	v_sub_u32_e32 v12, 29, v12
	v_and_b32_e32 v3, 7, v3
	v_cmp_eq_u16_e32 vcc, 0, v10
	v_cndmask_b32_e32 v3, v6, v3, vcc
	v_cndmask_b32_e32 v6, v11, v12, vcc
	v_mov_b32_e32 v10, 0x3b800000
	v_lshlrev_b32_e32 v3, 20, v3
	v_lshl_add_u32 v6, v6, 23, v10
	v_or3_b32 v6, v7, v6, v3
.LBB15_960:
	s_or_b64 exec, exec, s[6:7]
	s_nop 0
	v_mfma_f32_16x16x4f32 a[0:3], v2, v6, a[0:3]
	s_movk_i32 s4, 0x7f
	v_cmp_gt_i16_sdwa s[6:7], v8, s4 src0_sel:BYTE_0 src1_sel:DWORD
	s_mov_b64 s[4:5], 0
                                        ; implicit-def: $sgpr10
	s_and_saveexec_b64 s[8:9], s[6:7]
	s_xor_b64 s[6:7], exec, s[8:9]
	s_cbranch_execnz .LBB15_3009
; %bb.961:
	s_or_saveexec_b64 s[6:7], s[6:7]
	v_mov_b32_e32 v2, s10
	s_xor_b64 exec, exec, s[6:7]
	s_cbranch_execnz .LBB15_3012
.LBB15_962:
	s_or_b64 exec, exec, s[6:7]
	s_and_saveexec_b64 s[6:7], s[4:5]
	s_cbranch_execz .LBB15_964
.LBB15_963:
	v_and_b32_e32 v2, 7, v8
	v_ffbh_u32_e32 v6, v2
	v_min_u32_e32 v6, 32, v6
	v_lshrrev_b16_e32 v3, 3, v8
	v_subrev_u32_e32 v7, 28, v6
	v_and_b32_e32 v3, 15, v3
	v_lshlrev_b32_e32 v7, v7, v8
	v_sub_u32_e32 v6, 29, v6
	v_and_b32_e32 v7, 7, v7
	v_cmp_eq_u16_e32 vcc, 0, v3
	v_cndmask_b32_e32 v2, v2, v7, vcc
	v_cndmask_b32_e32 v3, v3, v6, vcc
	v_lshlrev_b32_e32 v6, 24, v8
	v_mov_b32_e32 v7, 0x3b800000
	v_lshlrev_b32_e32 v2, 20, v2
	v_and_b32_e32 v6, 0x80000000, v6
	v_lshl_add_u32 v3, v3, 23, v7
	v_or3_b32 v2, v6, v3, v2
.LBB15_964:
	s_or_b64 exec, exec, s[6:7]
	s_movk_i32 s4, 0x7f
	v_cmp_gt_i16_sdwa s[6:7], v4, s4 src0_sel:BYTE_0 src1_sel:DWORD
	s_mov_b64 s[4:5], 0
                                        ; implicit-def: $sgpr10
	s_and_saveexec_b64 s[8:9], s[6:7]
	s_xor_b64 s[6:7], exec, s[8:9]
	s_cbranch_execnz .LBB15_3013
; %bb.965:
	s_or_saveexec_b64 s[6:7], s[6:7]
	v_mov_b32_e32 v3, s10
	s_xor_b64 exec, exec, s[6:7]
	s_cbranch_execnz .LBB15_3016
.LBB15_966:
	s_or_b64 exec, exec, s[6:7]
	s_and_saveexec_b64 s[6:7], s[4:5]
	s_cbranch_execz .LBB15_968
.LBB15_967:
	v_and_b32_e32 v3, 7, v4
	v_ffbh_u32_e32 v7, v3
	v_min_u32_e32 v7, 32, v7
	v_lshrrev_b16_e32 v6, 3, v4
	v_subrev_u32_e32 v10, 28, v7
	v_and_b32_e32 v6, 15, v6
	v_lshlrev_b32_e32 v10, v10, v4
	v_sub_u32_e32 v7, 29, v7
	v_and_b32_e32 v10, 7, v10
	v_cmp_eq_u16_e32 vcc, 0, v6
	v_cndmask_b32_e32 v3, v3, v10, vcc
	v_cndmask_b32_e32 v6, v6, v7, vcc
	v_lshlrev_b32_e32 v7, 24, v4
	v_mov_b32_e32 v10, 0x3b800000
	v_lshlrev_b32_e32 v3, 20, v3
	v_and_b32_e32 v7, 0x80000000, v7
	v_lshl_add_u32 v6, v6, 23, v10
	v_or3_b32 v3, v7, v6, v3
.LBB15_968:
	s_or_b64 exec, exec, s[6:7]
	s_nop 0
	v_mfma_f32_16x16x4f32 a[0:3], v2, v3, a[0:3]
	v_lshrrev_b32_e32 v3, 8, v8
	s_movk_i32 s4, 0x7f
	v_cmp_gt_i16_sdwa s[6:7], v3, s4 src0_sel:BYTE_0 src1_sel:DWORD
	s_mov_b64 s[4:5], 0
                                        ; implicit-def: $sgpr10
	s_and_saveexec_b64 s[8:9], s[6:7]
	s_xor_b64 s[6:7], exec, s[8:9]
	s_cbranch_execnz .LBB15_3017
; %bb.969:
	s_or_saveexec_b64 s[6:7], s[6:7]
	v_mov_b32_e32 v2, s10
	s_xor_b64 exec, exec, s[6:7]
	s_cbranch_execnz .LBB15_3020
.LBB15_970:
	s_or_b64 exec, exec, s[6:7]
	s_and_saveexec_b64 s[6:7], s[4:5]
	s_cbranch_execz .LBB15_972
.LBB15_971:
	v_bfe_u32 v2, v8, 8, 3
	v_ffbh_u32_e32 v7, v2
	v_min_u32_e32 v7, 32, v7
	v_lshrrev_b16_e32 v6, 3, v3
	v_subrev_u32_e32 v10, 28, v7
	v_and_b32_e32 v6, 15, v6
	v_lshlrev_b32_e32 v3, v10, v3
	v_sub_u32_e32 v7, 29, v7
	v_and_b32_e32 v3, 7, v3
	v_cmp_eq_u16_e32 vcc, 0, v6
	v_cndmask_b32_e32 v2, v2, v3, vcc
	v_cndmask_b32_e32 v3, v6, v7, vcc
	v_lshlrev_b32_e32 v6, 16, v8
	v_mov_b32_e32 v7, 0x3b800000
	v_lshlrev_b32_e32 v2, 20, v2
	v_and_b32_e32 v6, 0x80000000, v6
	v_lshl_add_u32 v3, v3, 23, v7
	v_or3_b32 v2, v6, v3, v2
.LBB15_972:
	s_or_b64 exec, exec, s[6:7]
	v_lshrrev_b32_e32 v3, 8, v4
	s_movk_i32 s4, 0x7f
	v_cmp_gt_i16_sdwa s[6:7], v3, s4 src0_sel:BYTE_0 src1_sel:DWORD
	s_mov_b64 s[4:5], 0
                                        ; implicit-def: $sgpr10
	s_and_saveexec_b64 s[8:9], s[6:7]
	s_xor_b64 s[6:7], exec, s[8:9]
	s_cbranch_execnz .LBB15_3021
; %bb.973:
	s_or_saveexec_b64 s[6:7], s[6:7]
	v_mov_b32_e32 v6, s10
	s_xor_b64 exec, exec, s[6:7]
	s_cbranch_execnz .LBB15_3024
.LBB15_974:
	s_or_b64 exec, exec, s[6:7]
	s_and_saveexec_b64 s[6:7], s[4:5]
	s_cbranch_execz .LBB15_976
.LBB15_975:
	v_bfe_u32 v6, v4, 8, 3
	v_ffbh_u32_e32 v10, v6
	v_min_u32_e32 v10, 32, v10
	v_lshrrev_b16_e32 v7, 3, v3
	v_subrev_u32_e32 v11, 28, v10
	v_and_b32_e32 v7, 15, v7
	v_lshlrev_b32_e32 v3, v11, v3
	v_sub_u32_e32 v10, 29, v10
	v_and_b32_e32 v3, 7, v3
	v_cmp_eq_u16_e32 vcc, 0, v7
	v_cndmask_b32_e32 v3, v6, v3, vcc
	v_cndmask_b32_e32 v6, v7, v10, vcc
	v_lshlrev_b32_e32 v7, 16, v4
	v_mov_b32_e32 v10, 0x3b800000
	v_lshlrev_b32_e32 v3, 20, v3
	v_and_b32_e32 v7, 0x80000000, v7
	v_lshl_add_u32 v6, v6, 23, v10
	v_or3_b32 v6, v7, v6, v3
.LBB15_976:
	s_or_b64 exec, exec, s[6:7]
	s_nop 0
	v_mfma_f32_16x16x4f32 a[0:3], v2, v6, a[0:3]
	s_movk_i32 s4, 0xff
	v_and_b32_sdwa v3, v8, s4 dst_sel:DWORD dst_unused:UNUSED_PAD src0_sel:WORD_1 src1_sel:DWORD
	s_movk_i32 s4, 0x7f
	v_cmp_lt_i16_e32 vcc, s4, v3
	s_mov_b64 s[4:5], 0
                                        ; implicit-def: $sgpr10
	s_and_saveexec_b64 s[6:7], vcc
	s_xor_b64 s[6:7], exec, s[6:7]
	s_cbranch_execnz .LBB15_3025
; %bb.977:
	s_or_saveexec_b64 s[6:7], s[6:7]
	v_mov_b32_e32 v2, s10
	s_xor_b64 exec, exec, s[6:7]
	s_cbranch_execnz .LBB15_3028
.LBB15_978:
	s_or_b64 exec, exec, s[6:7]
	s_and_saveexec_b64 s[6:7], s[4:5]
	s_cbranch_execz .LBB15_980
.LBB15_979:
	v_bfe_u32 v2, v8, 16, 3
	v_ffbh_u32_e32 v7, v2
	v_min_u32_e32 v7, 32, v7
	v_lshrrev_b32_e32 v3, 19, v8
	v_subrev_u32_e32 v10, 28, v7
	v_and_b32_e32 v3, 15, v3
	v_lshlrev_b32_sdwa v10, v10, v8 dst_sel:DWORD dst_unused:UNUSED_PAD src0_sel:DWORD src1_sel:WORD_1
	v_bfe_u32 v6, v8, 19, 4
	v_sub_u32_e32 v7, 29, v7
	v_and_b32_e32 v10, 7, v10
	v_cmp_eq_u16_e32 vcc, 0, v3
	v_cndmask_b32_e32 v2, v2, v10, vcc
	v_cndmask_b32_e32 v3, v6, v7, vcc
	v_lshlrev_b32_e32 v6, 8, v8
	v_mov_b32_e32 v7, 0x3b800000
	v_lshlrev_b32_e32 v2, 20, v2
	v_and_b32_e32 v6, 0x80000000, v6
	v_lshl_add_u32 v3, v3, 23, v7
	v_or3_b32 v2, v6, v3, v2
.LBB15_980:
	s_or_b64 exec, exec, s[6:7]
	s_movk_i32 s4, 0xff
	v_and_b32_sdwa v3, v4, s4 dst_sel:DWORD dst_unused:UNUSED_PAD src0_sel:WORD_1 src1_sel:DWORD
	s_movk_i32 s4, 0x7f
	v_cmp_lt_i16_e32 vcc, s4, v3
	s_mov_b64 s[4:5], 0
                                        ; implicit-def: $sgpr10
	s_and_saveexec_b64 s[6:7], vcc
	s_xor_b64 s[6:7], exec, s[6:7]
	s_cbranch_execnz .LBB15_3029
; %bb.981:
	s_or_saveexec_b64 s[6:7], s[6:7]
	v_mov_b32_e32 v6, s10
	s_xor_b64 exec, exec, s[6:7]
	s_cbranch_execnz .LBB15_3032
.LBB15_982:
	s_or_b64 exec, exec, s[6:7]
	s_and_saveexec_b64 s[6:7], s[4:5]
	s_cbranch_execz .LBB15_984
.LBB15_983:
	v_bfe_u32 v3, v4, 16, 3
	v_ffbh_u32_e32 v10, v3
	v_min_u32_e32 v10, 32, v10
	v_lshrrev_b32_e32 v6, 19, v4
	v_subrev_u32_e32 v11, 28, v10
	v_and_b32_e32 v6, 15, v6
	v_lshlrev_b32_sdwa v11, v11, v4 dst_sel:DWORD dst_unused:UNUSED_PAD src0_sel:DWORD src1_sel:WORD_1
	v_bfe_u32 v7, v4, 19, 4
	v_sub_u32_e32 v10, 29, v10
	v_and_b32_e32 v11, 7, v11
	v_cmp_eq_u16_e32 vcc, 0, v6
	v_cndmask_b32_e32 v3, v3, v11, vcc
	v_cndmask_b32_e32 v6, v7, v10, vcc
	v_lshlrev_b32_e32 v7, 8, v4
	v_mov_b32_e32 v10, 0x3b800000
	v_lshlrev_b32_e32 v3, 20, v3
	v_and_b32_e32 v7, 0x80000000, v7
	v_lshl_add_u32 v6, v6, 23, v10
	v_or3_b32 v6, v7, v6, v3
.LBB15_984:
	s_or_b64 exec, exec, s[6:7]
	s_nop 0
	v_mfma_f32_16x16x4f32 a[0:3], v2, v6, a[0:3]
	s_movk_i32 s4, 0x7f
	v_cmp_gt_i16_sdwa s[6:7], v8, s4 src0_sel:BYTE_3 src1_sel:DWORD
	s_mov_b64 s[4:5], 0
                                        ; implicit-def: $sgpr10
	s_and_saveexec_b64 s[8:9], s[6:7]
	s_xor_b64 s[6:7], exec, s[8:9]
	s_cbranch_execnz .LBB15_3033
; %bb.985:
	s_or_saveexec_b64 s[6:7], s[6:7]
	v_mov_b32_e32 v2, s10
	s_xor_b64 exec, exec, s[6:7]
	s_cbranch_execnz .LBB15_3036
.LBB15_986:
	s_or_b64 exec, exec, s[6:7]
	s_and_saveexec_b64 s[6:7], s[4:5]
	s_cbranch_execz .LBB15_988
.LBB15_987:
	v_bfe_u32 v2, v8, 24, 3
	v_ffbh_u32_e32 v10, v2
	v_min_u32_e32 v10, 32, v10
	v_lshrrev_b32_e32 v6, 27, v8
	v_subrev_u32_e32 v11, 28, v10
	v_and_b32_e32 v3, 0x80000000, v8
	v_and_b32_e32 v6, 15, v6
	v_bfe_u32 v7, v8, 27, 4
	v_lshlrev_b32_sdwa v8, v11, v8 dst_sel:DWORD dst_unused:UNUSED_PAD src0_sel:DWORD src1_sel:BYTE_3
	v_sub_u32_e32 v10, 29, v10
	v_and_b32_e32 v8, 7, v8
	v_cmp_eq_u16_e32 vcc, 0, v6
	v_cndmask_b32_e32 v2, v2, v8, vcc
	v_cndmask_b32_e32 v6, v7, v10, vcc
	v_mov_b32_e32 v7, 0x3b800000
	v_lshlrev_b32_e32 v2, 20, v2
	v_lshl_add_u32 v6, v6, 23, v7
	v_or3_b32 v2, v3, v6, v2
.LBB15_988:
	s_or_b64 exec, exec, s[6:7]
	s_movk_i32 s4, 0x7f
	v_cmp_gt_i16_sdwa s[6:7], v4, s4 src0_sel:BYTE_3 src1_sel:DWORD
	s_mov_b64 s[4:5], 0
                                        ; implicit-def: $sgpr10
	s_and_saveexec_b64 s[8:9], s[6:7]
	s_xor_b64 s[6:7], exec, s[8:9]
	s_cbranch_execnz .LBB15_3037
; %bb.989:
	s_or_saveexec_b64 s[6:7], s[6:7]
	v_mov_b32_e32 v3, s10
	s_xor_b64 exec, exec, s[6:7]
	s_cbranch_execnz .LBB15_3040
.LBB15_990:
	s_or_b64 exec, exec, s[6:7]
	s_and_saveexec_b64 s[6:7], s[4:5]
	s_cbranch_execz .LBB15_992
.LBB15_991:
	v_bfe_u32 v3, v4, 24, 3
	v_ffbh_u32_e32 v10, v3
	v_min_u32_e32 v10, 32, v10
	v_lshrrev_b32_e32 v7, 27, v4
	v_subrev_u32_e32 v11, 28, v10
	v_and_b32_e32 v6, 0x80000000, v4
	v_and_b32_e32 v7, 15, v7
	v_bfe_u32 v8, v4, 27, 4
	v_lshlrev_b32_sdwa v4, v11, v4 dst_sel:DWORD dst_unused:UNUSED_PAD src0_sel:DWORD src1_sel:BYTE_3
	v_sub_u32_e32 v10, 29, v10
	v_and_b32_e32 v4, 7, v4
	v_cmp_eq_u16_e32 vcc, 0, v7
	v_cndmask_b32_e32 v3, v3, v4, vcc
	v_cndmask_b32_e32 v4, v8, v10, vcc
	v_mov_b32_e32 v7, 0x3b800000
	v_lshlrev_b32_e32 v3, 20, v3
	v_lshl_add_u32 v4, v4, 23, v7
	v_or3_b32 v3, v6, v4, v3
.LBB15_992:
	s_or_b64 exec, exec, s[6:7]
	s_nop 0
	v_mfma_f32_16x16x4f32 a[0:3], v2, v3, a[0:3]
	s_movk_i32 s4, 0x7f
	v_cmp_gt_i16_sdwa s[6:7], v9, s4 src0_sel:BYTE_0 src1_sel:DWORD
	s_mov_b64 s[4:5], 0
                                        ; implicit-def: $sgpr10
	s_and_saveexec_b64 s[8:9], s[6:7]
	s_xor_b64 s[6:7], exec, s[8:9]
	s_cbranch_execnz .LBB15_3041
; %bb.993:
	s_or_saveexec_b64 s[6:7], s[6:7]
	v_mov_b32_e32 v2, s10
	s_xor_b64 exec, exec, s[6:7]
	s_cbranch_execnz .LBB15_3044
.LBB15_994:
	s_or_b64 exec, exec, s[6:7]
	s_and_saveexec_b64 s[6:7], s[4:5]
	s_cbranch_execz .LBB15_996
.LBB15_995:
	v_mov_b32_e32 v2, 8
	v_and_b32_e32 v3, 7, v9
	v_lshrrev_b32_sdwa v2, v2, v9 dst_sel:BYTE_1 dst_unused:UNUSED_PAD src0_sel:DWORD src1_sel:DWORD
	v_ffbh_u32_e32 v4, v3
	v_or_b32_sdwa v2, v9, v2 dst_sel:DWORD dst_unused:UNUSED_PAD src0_sel:BYTE_0 src1_sel:DWORD
	v_min_u32_e32 v4, 32, v4
	v_lshrrev_b16_e32 v2, 3, v2
	v_subrev_u32_e32 v6, 28, v4
	v_and_b32_e32 v2, 15, v2
	v_lshlrev_b32_e32 v6, v6, v9
	v_sub_u32_e32 v4, 29, v4
	v_and_b32_e32 v6, 7, v6
	v_cmp_eq_u16_e32 vcc, 0, v2
	v_cndmask_b32_e32 v3, v3, v6, vcc
	v_cndmask_b32_e32 v2, v2, v4, vcc
	v_lshlrev_b32_e32 v4, 24, v9
	v_mov_b32_e32 v6, 0x3b800000
	v_lshlrev_b32_e32 v3, 20, v3
	v_and_b32_e32 v4, 0x80000000, v4
	v_lshl_add_u32 v2, v2, 23, v6
	v_or3_b32 v2, v4, v2, v3
.LBB15_996:
	s_or_b64 exec, exec, s[6:7]
	s_movk_i32 s4, 0x7f
	v_cmp_gt_i16_sdwa s[6:7], v5, s4 src0_sel:BYTE_0 src1_sel:DWORD
	s_mov_b64 s[4:5], 0
                                        ; implicit-def: $sgpr10
	s_and_saveexec_b64 s[8:9], s[6:7]
	s_xor_b64 s[6:7], exec, s[8:9]
	s_cbranch_execnz .LBB15_3045
; %bb.997:
	s_or_saveexec_b64 s[6:7], s[6:7]
	v_mov_b32_e32 v3, s10
	s_xor_b64 exec, exec, s[6:7]
	s_cbranch_execnz .LBB15_3048
.LBB15_998:
	s_or_b64 exec, exec, s[6:7]
	s_and_saveexec_b64 s[6:7], s[4:5]
	s_cbranch_execz .LBB15_1000
.LBB15_999:
	v_mov_b32_e32 v3, 8
	v_and_b32_e32 v4, 7, v5
	v_lshrrev_b32_sdwa v3, v3, v5 dst_sel:BYTE_1 dst_unused:UNUSED_PAD src0_sel:DWORD src1_sel:DWORD
	v_ffbh_u32_e32 v6, v4
	v_or_b32_sdwa v3, v5, v3 dst_sel:DWORD dst_unused:UNUSED_PAD src0_sel:BYTE_0 src1_sel:DWORD
	v_min_u32_e32 v6, 32, v6
	v_lshrrev_b16_e32 v3, 3, v3
	v_subrev_u32_e32 v7, 28, v6
	v_and_b32_e32 v3, 15, v3
	v_lshlrev_b32_e32 v7, v7, v5
	v_sub_u32_e32 v6, 29, v6
	v_and_b32_e32 v7, 7, v7
	v_cmp_eq_u16_e32 vcc, 0, v3
	v_cndmask_b32_e32 v4, v4, v7, vcc
	v_cndmask_b32_e32 v3, v3, v6, vcc
	v_lshlrev_b32_e32 v6, 24, v5
	v_mov_b32_e32 v7, 0x3b800000
	v_lshlrev_b32_e32 v4, 20, v4
	v_and_b32_e32 v6, 0x80000000, v6
	v_lshl_add_u32 v3, v3, 23, v7
	v_or3_b32 v3, v6, v3, v4
.LBB15_1000:
	s_or_b64 exec, exec, s[6:7]
	s_nop 0
	v_mfma_f32_16x16x4f32 a[0:3], v2, v3, a[0:3]
	v_lshrrev_b32_e32 v3, 8, v9
	s_movk_i32 s4, 0x7f
	v_cmp_gt_i16_sdwa s[6:7], v3, s4 src0_sel:BYTE_0 src1_sel:DWORD
	s_mov_b64 s[4:5], 0
                                        ; implicit-def: $sgpr10
	s_and_saveexec_b64 s[8:9], s[6:7]
	s_xor_b64 s[6:7], exec, s[8:9]
	s_cbranch_execnz .LBB15_3049
; %bb.1001:
	s_or_saveexec_b64 s[6:7], s[6:7]
	v_mov_b32_e32 v2, s10
	s_xor_b64 exec, exec, s[6:7]
	s_cbranch_execnz .LBB15_3052
.LBB15_1002:
	s_or_b64 exec, exec, s[6:7]
	s_and_saveexec_b64 s[6:7], s[4:5]
	s_cbranch_execz .LBB15_1004
.LBB15_1003:
	v_bfe_u32 v2, v9, 8, 3
	v_ffbh_u32_e32 v6, v2
	v_min_u32_e32 v6, 32, v6
	v_lshrrev_b16_e32 v4, 3, v3
	v_subrev_u32_e32 v7, 28, v6
	v_and_b32_e32 v4, 15, v4
	v_lshlrev_b32_e32 v3, v7, v3
	v_sub_u32_e32 v6, 29, v6
	v_and_b32_e32 v3, 7, v3
	v_cmp_eq_u16_e32 vcc, 0, v4
	v_cndmask_b32_e32 v2, v2, v3, vcc
	v_cndmask_b32_e32 v3, v4, v6, vcc
	v_lshlrev_b32_e32 v4, 16, v9
	v_mov_b32_e32 v6, 0x3b800000
	v_lshlrev_b32_e32 v2, 20, v2
	v_and_b32_e32 v4, 0x80000000, v4
	v_lshl_add_u32 v3, v3, 23, v6
	v_or3_b32 v2, v4, v3, v2
.LBB15_1004:
	s_or_b64 exec, exec, s[6:7]
	v_lshrrev_b32_e32 v3, 8, v5
	s_movk_i32 s4, 0x7f
	v_cmp_gt_i16_sdwa s[6:7], v3, s4 src0_sel:BYTE_0 src1_sel:DWORD
	s_mov_b64 s[4:5], 0
                                        ; implicit-def: $sgpr10
	s_and_saveexec_b64 s[8:9], s[6:7]
	s_xor_b64 s[6:7], exec, s[8:9]
	s_cbranch_execnz .LBB15_3053
; %bb.1005:
	s_or_saveexec_b64 s[6:7], s[6:7]
	v_mov_b32_e32 v4, s10
	s_xor_b64 exec, exec, s[6:7]
	s_cbranch_execnz .LBB15_3056
.LBB15_1006:
	s_or_b64 exec, exec, s[6:7]
	s_and_saveexec_b64 s[6:7], s[4:5]
	s_cbranch_execz .LBB15_1008
.LBB15_1007:
	v_bfe_u32 v4, v5, 8, 3
	v_ffbh_u32_e32 v7, v4
	v_min_u32_e32 v7, 32, v7
	v_lshrrev_b16_e32 v6, 3, v3
	v_subrev_u32_e32 v8, 28, v7
	v_and_b32_e32 v6, 15, v6
	v_lshlrev_b32_e32 v3, v8, v3
	v_sub_u32_e32 v7, 29, v7
	v_and_b32_e32 v3, 7, v3
	v_cmp_eq_u16_e32 vcc, 0, v6
	v_cndmask_b32_e32 v3, v4, v3, vcc
	v_cndmask_b32_e32 v4, v6, v7, vcc
	v_lshlrev_b32_e32 v6, 16, v5
	v_mov_b32_e32 v7, 0x3b800000
	v_lshlrev_b32_e32 v3, 20, v3
	v_and_b32_e32 v6, 0x80000000, v6
	v_lshl_add_u32 v4, v4, 23, v7
	v_or3_b32 v4, v6, v4, v3
.LBB15_1008:
	s_or_b64 exec, exec, s[6:7]
	s_nop 0
	v_mfma_f32_16x16x4f32 a[0:3], v2, v4, a[0:3]
	s_movk_i32 s4, 0xff
	v_and_b32_sdwa v3, v9, s4 dst_sel:DWORD dst_unused:UNUSED_PAD src0_sel:WORD_1 src1_sel:DWORD
	s_movk_i32 s4, 0x7f
	v_cmp_lt_i16_e32 vcc, s4, v3
	s_mov_b64 s[4:5], 0
                                        ; implicit-def: $sgpr10
	s_and_saveexec_b64 s[6:7], vcc
	s_xor_b64 s[6:7], exec, s[6:7]
	s_cbranch_execnz .LBB15_3057
; %bb.1009:
	s_or_saveexec_b64 s[6:7], s[6:7]
	v_mov_b32_e32 v2, s10
	s_xor_b64 exec, exec, s[6:7]
	s_cbranch_execnz .LBB15_3060
.LBB15_1010:
	s_or_b64 exec, exec, s[6:7]
	s_and_saveexec_b64 s[6:7], s[4:5]
	s_cbranch_execz .LBB15_1012
.LBB15_1011:
	v_bfe_u32 v2, v9, 16, 3
	v_ffbh_u32_e32 v6, v2
	v_min_u32_e32 v6, 32, v6
	v_lshrrev_b32_e32 v3, 19, v9
	v_subrev_u32_e32 v7, 28, v6
	v_and_b32_e32 v3, 15, v3
	v_lshlrev_b32_sdwa v7, v7, v9 dst_sel:DWORD dst_unused:UNUSED_PAD src0_sel:DWORD src1_sel:WORD_1
	v_bfe_u32 v4, v9, 19, 4
	v_sub_u32_e32 v6, 29, v6
	v_and_b32_e32 v7, 7, v7
	v_cmp_eq_u16_e32 vcc, 0, v3
	v_cndmask_b32_e32 v2, v2, v7, vcc
	v_cndmask_b32_e32 v3, v4, v6, vcc
	v_lshlrev_b32_e32 v4, 8, v9
	v_mov_b32_e32 v6, 0x3b800000
	v_lshlrev_b32_e32 v2, 20, v2
	v_and_b32_e32 v4, 0x80000000, v4
	v_lshl_add_u32 v3, v3, 23, v6
	v_or3_b32 v2, v4, v3, v2
.LBB15_1012:
	s_or_b64 exec, exec, s[6:7]
	s_movk_i32 s4, 0xff
	v_and_b32_sdwa v3, v5, s4 dst_sel:DWORD dst_unused:UNUSED_PAD src0_sel:WORD_1 src1_sel:DWORD
	s_movk_i32 s4, 0x7f
	v_cmp_lt_i16_e32 vcc, s4, v3
	s_mov_b64 s[4:5], 0
                                        ; implicit-def: $sgpr10
	s_and_saveexec_b64 s[6:7], vcc
	s_xor_b64 s[6:7], exec, s[6:7]
	s_cbranch_execnz .LBB15_3061
; %bb.1013:
	s_or_saveexec_b64 s[6:7], s[6:7]
	v_mov_b32_e32 v4, s10
	s_xor_b64 exec, exec, s[6:7]
	s_cbranch_execnz .LBB15_3064
.LBB15_1014:
	s_or_b64 exec, exec, s[6:7]
	s_and_saveexec_b64 s[6:7], s[4:5]
	s_cbranch_execz .LBB15_1016
.LBB15_1015:
	v_bfe_u32 v3, v5, 16, 3
	v_ffbh_u32_e32 v7, v3
	v_min_u32_e32 v7, 32, v7
	v_lshrrev_b32_e32 v4, 19, v5
	v_subrev_u32_e32 v8, 28, v7
	v_and_b32_e32 v4, 15, v4
	v_lshlrev_b32_sdwa v8, v8, v5 dst_sel:DWORD dst_unused:UNUSED_PAD src0_sel:DWORD src1_sel:WORD_1
	v_bfe_u32 v6, v5, 19, 4
	v_sub_u32_e32 v7, 29, v7
	v_and_b32_e32 v8, 7, v8
	v_cmp_eq_u16_e32 vcc, 0, v4
	v_cndmask_b32_e32 v3, v3, v8, vcc
	v_cndmask_b32_e32 v4, v6, v7, vcc
	v_lshlrev_b32_e32 v6, 8, v5
	v_mov_b32_e32 v7, 0x3b800000
	v_lshlrev_b32_e32 v3, 20, v3
	v_and_b32_e32 v6, 0x80000000, v6
	v_lshl_add_u32 v4, v4, 23, v7
	v_or3_b32 v4, v6, v4, v3
.LBB15_1016:
	s_or_b64 exec, exec, s[6:7]
	s_nop 0
	v_mfma_f32_16x16x4f32 a[0:3], v2, v4, a[0:3]
	s_movk_i32 s4, 0x7f
	v_cmp_gt_i16_sdwa s[6:7], v9, s4 src0_sel:BYTE_3 src1_sel:DWORD
	s_mov_b64 s[4:5], 0
                                        ; implicit-def: $sgpr10
	s_and_saveexec_b64 s[8:9], s[6:7]
	s_xor_b64 s[6:7], exec, s[8:9]
	s_cbranch_execnz .LBB15_3065
; %bb.1017:
	s_or_saveexec_b64 s[6:7], s[6:7]
	v_mov_b32_e32 v2, s10
	s_xor_b64 exec, exec, s[6:7]
	s_cbranch_execnz .LBB15_3068
.LBB15_1018:
	s_or_b64 exec, exec, s[6:7]
	s_and_saveexec_b64 s[6:7], s[4:5]
	s_cbranch_execz .LBB15_1020
.LBB15_1019:
	v_bfe_u32 v2, v9, 24, 3
	v_ffbh_u32_e32 v7, v2
	v_min_u32_e32 v7, 32, v7
	v_lshrrev_b32_e32 v4, 27, v9
	v_subrev_u32_e32 v8, 28, v7
	v_and_b32_e32 v4, 15, v4
	v_lshlrev_b32_sdwa v8, v8, v9 dst_sel:DWORD dst_unused:UNUSED_PAD src0_sel:DWORD src1_sel:BYTE_3
	v_bfe_u32 v6, v9, 27, 4
	v_sub_u32_e32 v7, 29, v7
	v_and_b32_e32 v8, 7, v8
	v_cmp_eq_u16_e32 vcc, 0, v4
	v_cndmask_b32_e32 v2, v2, v8, vcc
	v_cndmask_b32_e32 v4, v6, v7, vcc
	v_mov_b32_e32 v6, 0x3b800000
	v_and_b32_e32 v3, 0x80000000, v9
	v_lshlrev_b32_e32 v2, 20, v2
	v_lshl_add_u32 v4, v4, 23, v6
	v_or3_b32 v2, v3, v4, v2
.LBB15_1020:
	s_or_b64 exec, exec, s[6:7]
	s_movk_i32 s4, 0x7f
	v_cmp_gt_i16_sdwa s[6:7], v5, s4 src0_sel:BYTE_3 src1_sel:DWORD
	s_mov_b64 s[4:5], 0
                                        ; implicit-def: $sgpr10
	s_and_saveexec_b64 s[8:9], s[6:7]
	s_xor_b64 s[6:7], exec, s[8:9]
	s_cbranch_execnz .LBB15_3069
; %bb.1021:
	s_or_saveexec_b64 s[6:7], s[6:7]
	v_mov_b32_e32 v3, s10
	s_xor_b64 exec, exec, s[6:7]
	s_cbranch_execnz .LBB15_3072
.LBB15_1022:
	s_or_b64 exec, exec, s[6:7]
	s_and_saveexec_b64 s[6:7], s[4:5]
	s_cbranch_execz .LBB15_1024
.LBB15_1023:
	v_bfe_u32 v3, v5, 24, 3
	v_ffbh_u32_e32 v8, v3
	v_min_u32_e32 v8, 32, v8
	v_lshrrev_b32_e32 v6, 27, v5
	v_subrev_u32_e32 v9, 28, v8
	v_and_b32_e32 v4, 0x80000000, v5
	v_and_b32_e32 v6, 15, v6
	v_bfe_u32 v7, v5, 27, 4
	v_lshlrev_b32_sdwa v5, v9, v5 dst_sel:DWORD dst_unused:UNUSED_PAD src0_sel:DWORD src1_sel:BYTE_3
	v_sub_u32_e32 v8, 29, v8
	v_and_b32_e32 v5, 7, v5
	v_cmp_eq_u16_e32 vcc, 0, v6
	v_cndmask_b32_e32 v3, v3, v5, vcc
	v_cndmask_b32_e32 v5, v7, v8, vcc
	v_mov_b32_e32 v6, 0x3b800000
	v_lshlrev_b32_e32 v3, 20, v3
	v_lshl_add_u32 v5, v5, 23, v6
	v_or3_b32 v3, v4, v5, v3
.LBB15_1024:
	s_or_b64 exec, exec, s[6:7]
	s_nop 0
	v_mfma_f32_16x16x4f32 a[0:3], v2, v3, a[0:3]
	s_movk_i32 s4, 0x7f
                                        ; implicit-def: $sgpr10
	s_nop 7
	s_nop 1
	flat_store_dwordx4 v[18:19], a[0:3] offset:688
	flat_load_dwordx4 v[20:23], v[0:1] offset:16
	s_nop 0
	flat_load_dwordx2 v[18:19], v[0:1] offset:32
	s_waitcnt vmcnt(0) lgkmcnt(0)
	flat_load_dwordx4 v[14:17], v[20:21] offset:32
	flat_load_dwordx4 v[6:9], v[20:21] offset:48
	;; [unrolled: 1-line block ×4, first 2 shown]
	s_waitcnt vmcnt(0) lgkmcnt(0)
	v_cmp_gt_i16_sdwa s[6:7], v14, s4 src0_sel:BYTE_0 src1_sel:DWORD
	s_mov_b64 s[4:5], 0
	s_and_saveexec_b64 s[8:9], s[6:7]
	s_xor_b64 s[6:7], exec, s[8:9]
	s_cbranch_execnz .LBB15_3073
; %bb.1025:
	s_or_saveexec_b64 s[6:7], s[6:7]
	v_mov_b32_e32 v20, s10
	s_xor_b64 exec, exec, s[6:7]
	s_cbranch_execnz .LBB15_3076
.LBB15_1026:
	s_or_b64 exec, exec, s[6:7]
	s_and_saveexec_b64 s[6:7], s[4:5]
	s_cbranch_execz .LBB15_1028
.LBB15_1027:
	v_and_b32_e32 v20, 7, v14
	v_ffbh_u32_e32 v22, v20
	v_min_u32_e32 v22, 32, v22
	v_lshrrev_b16_e32 v21, 3, v14
	v_subrev_u32_e32 v23, 28, v22
	v_and_b32_e32 v21, 15, v21
	v_lshlrev_b32_e32 v23, v23, v14
	v_sub_u32_e32 v22, 29, v22
	v_and_b32_e32 v23, 7, v23
	v_cmp_eq_u16_e32 vcc, 0, v21
	v_cndmask_b32_e32 v20, v20, v23, vcc
	v_cndmask_b32_e32 v21, v21, v22, vcc
	v_lshlrev_b32_e32 v22, 24, v14
	v_mov_b32_e32 v23, 0x3b800000
	v_lshlrev_b32_e32 v20, 20, v20
	v_and_b32_e32 v22, 0x80000000, v22
	v_lshl_add_u32 v21, v21, 23, v23
	v_or3_b32 v20, v22, v21, v20
.LBB15_1028:
	s_or_b64 exec, exec, s[6:7]
	s_movk_i32 s4, 0x7f
	v_cmp_gt_i16_sdwa s[6:7], v10, s4 src0_sel:BYTE_0 src1_sel:DWORD
	s_mov_b64 s[4:5], 0
                                        ; implicit-def: $sgpr10
	s_and_saveexec_b64 s[8:9], s[6:7]
	s_xor_b64 s[6:7], exec, s[8:9]
	s_cbranch_execnz .LBB15_3077
; %bb.1029:
	s_or_saveexec_b64 s[6:7], s[6:7]
	v_mov_b32_e32 v21, s10
	s_xor_b64 exec, exec, s[6:7]
	s_cbranch_execnz .LBB15_3080
.LBB15_1030:
	s_or_b64 exec, exec, s[6:7]
	s_and_saveexec_b64 s[6:7], s[4:5]
	s_cbranch_execz .LBB15_1032
.LBB15_1031:
	v_and_b32_e32 v21, 7, v10
	v_ffbh_u32_e32 v23, v21
	v_min_u32_e32 v23, 32, v23
	v_lshrrev_b16_e32 v22, 3, v10
	v_subrev_u32_e32 v24, 28, v23
	v_and_b32_e32 v22, 15, v22
	v_lshlrev_b32_e32 v24, v24, v10
	v_sub_u32_e32 v23, 29, v23
	v_and_b32_e32 v24, 7, v24
	v_cmp_eq_u16_e32 vcc, 0, v22
	v_cndmask_b32_e32 v21, v21, v24, vcc
	v_cndmask_b32_e32 v22, v22, v23, vcc
	v_lshlrev_b32_e32 v23, 24, v10
	v_mov_b32_e32 v24, 0x3b800000
	v_lshlrev_b32_e32 v21, 20, v21
	v_and_b32_e32 v23, 0x80000000, v23
	v_lshl_add_u32 v22, v22, 23, v24
	v_or3_b32 v21, v23, v22, v21
.LBB15_1032:
	s_or_b64 exec, exec, s[6:7]
	flat_load_dwordx4 a[0:3], v[18:19] offset:704
	s_movk_i32 s4, 0x7f
                                        ; implicit-def: $sgpr10
	s_waitcnt vmcnt(0) lgkmcnt(0)
	v_mfma_f32_16x16x4f32 a[0:3], v20, v21, a[0:3]
	v_lshrrev_b32_e32 v21, 8, v14
	v_cmp_gt_i16_sdwa s[6:7], v21, s4 src0_sel:BYTE_0 src1_sel:DWORD
	s_mov_b64 s[4:5], 0
	s_and_saveexec_b64 s[8:9], s[6:7]
	s_xor_b64 s[6:7], exec, s[8:9]
	s_cbranch_execnz .LBB15_3081
; %bb.1033:
	s_or_saveexec_b64 s[6:7], s[6:7]
	v_mov_b32_e32 v20, s10
	s_xor_b64 exec, exec, s[6:7]
	s_cbranch_execnz .LBB15_3084
.LBB15_1034:
	s_or_b64 exec, exec, s[6:7]
	s_and_saveexec_b64 s[6:7], s[4:5]
	s_cbranch_execz .LBB15_1036
.LBB15_1035:
	v_bfe_u32 v20, v14, 8, 3
	v_ffbh_u32_e32 v23, v20
	v_min_u32_e32 v23, 32, v23
	v_lshrrev_b16_e32 v22, 3, v21
	v_subrev_u32_e32 v24, 28, v23
	v_and_b32_e32 v22, 15, v22
	v_lshlrev_b32_e32 v21, v24, v21
	v_sub_u32_e32 v23, 29, v23
	v_and_b32_e32 v21, 7, v21
	v_cmp_eq_u16_e32 vcc, 0, v22
	v_cndmask_b32_e32 v20, v20, v21, vcc
	v_cndmask_b32_e32 v21, v22, v23, vcc
	v_lshlrev_b32_e32 v22, 16, v14
	v_mov_b32_e32 v23, 0x3b800000
	v_lshlrev_b32_e32 v20, 20, v20
	v_and_b32_e32 v22, 0x80000000, v22
	v_lshl_add_u32 v21, v21, 23, v23
	v_or3_b32 v20, v22, v21, v20
.LBB15_1036:
	s_or_b64 exec, exec, s[6:7]
	v_lshrrev_b32_e32 v21, 8, v10
	s_movk_i32 s4, 0x7f
	v_cmp_gt_i16_sdwa s[6:7], v21, s4 src0_sel:BYTE_0 src1_sel:DWORD
	s_mov_b64 s[4:5], 0
                                        ; implicit-def: $sgpr10
	s_and_saveexec_b64 s[8:9], s[6:7]
	s_xor_b64 s[6:7], exec, s[8:9]
	s_cbranch_execnz .LBB15_3085
; %bb.1037:
	s_or_saveexec_b64 s[6:7], s[6:7]
	v_mov_b32_e32 v22, s10
	s_xor_b64 exec, exec, s[6:7]
	s_cbranch_execnz .LBB15_3088
.LBB15_1038:
	s_or_b64 exec, exec, s[6:7]
	s_and_saveexec_b64 s[6:7], s[4:5]
	s_cbranch_execz .LBB15_1040
.LBB15_1039:
	v_bfe_u32 v22, v10, 8, 3
	v_ffbh_u32_e32 v24, v22
	v_min_u32_e32 v24, 32, v24
	v_lshrrev_b16_e32 v23, 3, v21
	v_subrev_u32_e32 v25, 28, v24
	v_and_b32_e32 v23, 15, v23
	v_lshlrev_b32_e32 v21, v25, v21
	v_sub_u32_e32 v24, 29, v24
	v_and_b32_e32 v21, 7, v21
	v_cmp_eq_u16_e32 vcc, 0, v23
	v_cndmask_b32_e32 v21, v22, v21, vcc
	v_cndmask_b32_e32 v22, v23, v24, vcc
	v_lshlrev_b32_e32 v23, 16, v10
	v_mov_b32_e32 v24, 0x3b800000
	v_lshlrev_b32_e32 v21, 20, v21
	v_and_b32_e32 v23, 0x80000000, v23
	v_lshl_add_u32 v22, v22, 23, v24
	v_or3_b32 v22, v23, v22, v21
.LBB15_1040:
	s_or_b64 exec, exec, s[6:7]
	s_nop 0
	v_mfma_f32_16x16x4f32 a[0:3], v20, v22, a[0:3]
	s_movk_i32 s4, 0xff
	v_and_b32_sdwa v21, v14, s4 dst_sel:DWORD dst_unused:UNUSED_PAD src0_sel:WORD_1 src1_sel:DWORD
	s_movk_i32 s4, 0x7f
	v_cmp_lt_i16_e32 vcc, s4, v21
	s_mov_b64 s[4:5], 0
                                        ; implicit-def: $sgpr10
	s_and_saveexec_b64 s[6:7], vcc
	s_xor_b64 s[6:7], exec, s[6:7]
	s_cbranch_execnz .LBB15_3089
; %bb.1041:
	s_or_saveexec_b64 s[6:7], s[6:7]
	v_mov_b32_e32 v20, s10
	s_xor_b64 exec, exec, s[6:7]
	s_cbranch_execnz .LBB15_3092
.LBB15_1042:
	s_or_b64 exec, exec, s[6:7]
	s_and_saveexec_b64 s[6:7], s[4:5]
	s_cbranch_execz .LBB15_1044
.LBB15_1043:
	v_bfe_u32 v20, v14, 16, 3
	v_ffbh_u32_e32 v23, v20
	v_min_u32_e32 v23, 32, v23
	v_lshrrev_b32_e32 v21, 19, v14
	v_subrev_u32_e32 v24, 28, v23
	v_and_b32_e32 v21, 15, v21
	v_lshlrev_b32_sdwa v24, v24, v14 dst_sel:DWORD dst_unused:UNUSED_PAD src0_sel:DWORD src1_sel:WORD_1
	v_bfe_u32 v22, v14, 19, 4
	v_sub_u32_e32 v23, 29, v23
	v_and_b32_e32 v24, 7, v24
	v_cmp_eq_u16_e32 vcc, 0, v21
	v_cndmask_b32_e32 v20, v20, v24, vcc
	v_cndmask_b32_e32 v21, v22, v23, vcc
	v_lshlrev_b32_e32 v22, 8, v14
	v_mov_b32_e32 v23, 0x3b800000
	v_lshlrev_b32_e32 v20, 20, v20
	v_and_b32_e32 v22, 0x80000000, v22
	v_lshl_add_u32 v21, v21, 23, v23
	v_or3_b32 v20, v22, v21, v20
.LBB15_1044:
	s_or_b64 exec, exec, s[6:7]
	s_movk_i32 s4, 0xff
	v_and_b32_sdwa v21, v10, s4 dst_sel:DWORD dst_unused:UNUSED_PAD src0_sel:WORD_1 src1_sel:DWORD
	s_movk_i32 s4, 0x7f
	v_cmp_lt_i16_e32 vcc, s4, v21
	s_mov_b64 s[4:5], 0
                                        ; implicit-def: $sgpr10
	s_and_saveexec_b64 s[6:7], vcc
	s_xor_b64 s[6:7], exec, s[6:7]
	s_cbranch_execnz .LBB15_3093
; %bb.1045:
	s_or_saveexec_b64 s[6:7], s[6:7]
	v_mov_b32_e32 v22, s10
	s_xor_b64 exec, exec, s[6:7]
	s_cbranch_execnz .LBB15_3096
.LBB15_1046:
	s_or_b64 exec, exec, s[6:7]
	s_and_saveexec_b64 s[6:7], s[4:5]
	s_cbranch_execz .LBB15_1048
.LBB15_1047:
	v_bfe_u32 v21, v10, 16, 3
	v_ffbh_u32_e32 v24, v21
	v_min_u32_e32 v24, 32, v24
	v_lshrrev_b32_e32 v22, 19, v10
	v_subrev_u32_e32 v25, 28, v24
	v_and_b32_e32 v22, 15, v22
	v_lshlrev_b32_sdwa v25, v25, v10 dst_sel:DWORD dst_unused:UNUSED_PAD src0_sel:DWORD src1_sel:WORD_1
	v_bfe_u32 v23, v10, 19, 4
	v_sub_u32_e32 v24, 29, v24
	v_and_b32_e32 v25, 7, v25
	v_cmp_eq_u16_e32 vcc, 0, v22
	v_cndmask_b32_e32 v21, v21, v25, vcc
	v_cndmask_b32_e32 v22, v23, v24, vcc
	v_lshlrev_b32_e32 v23, 8, v10
	v_mov_b32_e32 v24, 0x3b800000
	v_lshlrev_b32_e32 v21, 20, v21
	v_and_b32_e32 v23, 0x80000000, v23
	v_lshl_add_u32 v22, v22, 23, v24
	v_or3_b32 v22, v23, v22, v21
.LBB15_1048:
	s_or_b64 exec, exec, s[6:7]
	s_nop 0
	v_mfma_f32_16x16x4f32 a[0:3], v20, v22, a[0:3]
	s_movk_i32 s4, 0x7f
	v_cmp_gt_i16_sdwa s[6:7], v14, s4 src0_sel:BYTE_3 src1_sel:DWORD
	s_mov_b64 s[4:5], 0
                                        ; implicit-def: $sgpr10
	s_and_saveexec_b64 s[8:9], s[6:7]
	s_xor_b64 s[6:7], exec, s[8:9]
	s_cbranch_execnz .LBB15_3097
; %bb.1049:
	s_or_saveexec_b64 s[6:7], s[6:7]
	v_mov_b32_e32 v20, s10
	s_xor_b64 exec, exec, s[6:7]
	s_cbranch_execnz .LBB15_3100
.LBB15_1050:
	s_or_b64 exec, exec, s[6:7]
	s_and_saveexec_b64 s[6:7], s[4:5]
	s_cbranch_execz .LBB15_1052
.LBB15_1051:
	v_bfe_u32 v20, v14, 24, 3
	v_ffbh_u32_e32 v24, v20
	v_min_u32_e32 v24, 32, v24
	v_lshrrev_b32_e32 v22, 27, v14
	v_subrev_u32_e32 v25, 28, v24
	v_and_b32_e32 v21, 0x80000000, v14
	v_and_b32_e32 v22, 15, v22
	v_bfe_u32 v23, v14, 27, 4
	v_lshlrev_b32_sdwa v14, v25, v14 dst_sel:DWORD dst_unused:UNUSED_PAD src0_sel:DWORD src1_sel:BYTE_3
	v_sub_u32_e32 v24, 29, v24
	v_and_b32_e32 v14, 7, v14
	v_cmp_eq_u16_e32 vcc, 0, v22
	v_cndmask_b32_e32 v14, v20, v14, vcc
	v_cndmask_b32_e32 v20, v23, v24, vcc
	v_mov_b32_e32 v22, 0x3b800000
	v_lshlrev_b32_e32 v14, 20, v14
	v_lshl_add_u32 v20, v20, 23, v22
	v_or3_b32 v20, v21, v20, v14
.LBB15_1052:
	s_or_b64 exec, exec, s[6:7]
	s_movk_i32 s4, 0x7f
	v_cmp_gt_i16_sdwa s[6:7], v10, s4 src0_sel:BYTE_3 src1_sel:DWORD
	s_mov_b64 s[4:5], 0
                                        ; implicit-def: $sgpr10
	s_and_saveexec_b64 s[8:9], s[6:7]
	s_xor_b64 s[6:7], exec, s[8:9]
	s_cbranch_execnz .LBB15_3101
; %bb.1053:
	s_or_saveexec_b64 s[6:7], s[6:7]
	v_mov_b32_e32 v14, s10
	s_xor_b64 exec, exec, s[6:7]
	s_cbranch_execnz .LBB15_3104
.LBB15_1054:
	s_or_b64 exec, exec, s[6:7]
	s_and_saveexec_b64 s[6:7], s[4:5]
	s_cbranch_execz .LBB15_1056
.LBB15_1055:
	v_bfe_u32 v14, v10, 24, 3
	v_ffbh_u32_e32 v24, v14
	v_min_u32_e32 v24, 32, v24
	v_lshrrev_b32_e32 v22, 27, v10
	v_subrev_u32_e32 v25, 28, v24
	v_and_b32_e32 v21, 0x80000000, v10
	v_and_b32_e32 v22, 15, v22
	v_bfe_u32 v23, v10, 27, 4
	v_lshlrev_b32_sdwa v10, v25, v10 dst_sel:DWORD dst_unused:UNUSED_PAD src0_sel:DWORD src1_sel:BYTE_3
	v_sub_u32_e32 v24, 29, v24
	v_and_b32_e32 v10, 7, v10
	v_cmp_eq_u16_e32 vcc, 0, v22
	v_cndmask_b32_e32 v10, v14, v10, vcc
	v_cndmask_b32_e32 v14, v23, v24, vcc
	v_mov_b32_e32 v22, 0x3b800000
	v_lshlrev_b32_e32 v10, 20, v10
	v_lshl_add_u32 v14, v14, 23, v22
	v_or3_b32 v14, v21, v14, v10
.LBB15_1056:
	s_or_b64 exec, exec, s[6:7]
	s_nop 0
	v_mfma_f32_16x16x4f32 a[0:3], v20, v14, a[0:3]
	s_movk_i32 s4, 0x7f
	v_cmp_gt_i16_sdwa s[6:7], v15, s4 src0_sel:BYTE_0 src1_sel:DWORD
	s_mov_b64 s[4:5], 0
                                        ; implicit-def: $sgpr10
	s_and_saveexec_b64 s[8:9], s[6:7]
	s_xor_b64 s[6:7], exec, s[8:9]
	s_cbranch_execnz .LBB15_3105
; %bb.1057:
	s_or_saveexec_b64 s[6:7], s[6:7]
	v_mov_b32_e32 v10, s10
	s_xor_b64 exec, exec, s[6:7]
	s_cbranch_execnz .LBB15_3108
.LBB15_1058:
	s_or_b64 exec, exec, s[6:7]
	s_and_saveexec_b64 s[6:7], s[4:5]
	s_cbranch_execz .LBB15_1060
.LBB15_1059:
	v_and_b32_e32 v10, 7, v15
	v_ffbh_u32_e32 v20, v10
	v_min_u32_e32 v20, 32, v20
	v_lshrrev_b16_e32 v14, 3, v15
	v_subrev_u32_e32 v21, 28, v20
	v_and_b32_e32 v14, 15, v14
	v_lshlrev_b32_e32 v21, v21, v15
	v_sub_u32_e32 v20, 29, v20
	v_and_b32_e32 v21, 7, v21
	v_cmp_eq_u16_e32 vcc, 0, v14
	v_cndmask_b32_e32 v10, v10, v21, vcc
	v_cndmask_b32_e32 v14, v14, v20, vcc
	v_lshlrev_b32_e32 v20, 24, v15
	v_mov_b32_e32 v21, 0x3b800000
	v_lshlrev_b32_e32 v10, 20, v10
	v_and_b32_e32 v20, 0x80000000, v20
	v_lshl_add_u32 v14, v14, 23, v21
	v_or3_b32 v10, v20, v14, v10
.LBB15_1060:
	s_or_b64 exec, exec, s[6:7]
	s_movk_i32 s4, 0x7f
	v_cmp_gt_i16_sdwa s[6:7], v11, s4 src0_sel:BYTE_0 src1_sel:DWORD
	s_mov_b64 s[4:5], 0
                                        ; implicit-def: $sgpr10
	s_and_saveexec_b64 s[8:9], s[6:7]
	s_xor_b64 s[6:7], exec, s[8:9]
	s_cbranch_execnz .LBB15_3109
; %bb.1061:
	s_or_saveexec_b64 s[6:7], s[6:7]
	v_mov_b32_e32 v14, s10
	s_xor_b64 exec, exec, s[6:7]
	s_cbranch_execnz .LBB15_3112
.LBB15_1062:
	s_or_b64 exec, exec, s[6:7]
	s_and_saveexec_b64 s[6:7], s[4:5]
	s_cbranch_execz .LBB15_1064
.LBB15_1063:
	v_and_b32_e32 v14, 7, v11
	v_ffbh_u32_e32 v21, v14
	v_min_u32_e32 v21, 32, v21
	v_lshrrev_b16_e32 v20, 3, v11
	v_subrev_u32_e32 v22, 28, v21
	v_and_b32_e32 v20, 15, v20
	v_lshlrev_b32_e32 v22, v22, v11
	v_sub_u32_e32 v21, 29, v21
	v_and_b32_e32 v22, 7, v22
	v_cmp_eq_u16_e32 vcc, 0, v20
	v_cndmask_b32_e32 v14, v14, v22, vcc
	v_cndmask_b32_e32 v20, v20, v21, vcc
	v_lshlrev_b32_e32 v21, 24, v11
	v_mov_b32_e32 v22, 0x3b800000
	v_lshlrev_b32_e32 v14, 20, v14
	v_and_b32_e32 v21, 0x80000000, v21
	v_lshl_add_u32 v20, v20, 23, v22
	v_or3_b32 v14, v21, v20, v14
.LBB15_1064:
	s_or_b64 exec, exec, s[6:7]
	s_nop 0
	v_mfma_f32_16x16x4f32 a[0:3], v10, v14, a[0:3]
	v_lshrrev_b32_e32 v14, 8, v15
	s_movk_i32 s4, 0x7f
	v_cmp_gt_i16_sdwa s[6:7], v14, s4 src0_sel:BYTE_0 src1_sel:DWORD
	s_mov_b64 s[4:5], 0
                                        ; implicit-def: $sgpr10
	s_and_saveexec_b64 s[8:9], s[6:7]
	s_xor_b64 s[6:7], exec, s[8:9]
	s_cbranch_execnz .LBB15_3113
; %bb.1065:
	s_or_saveexec_b64 s[6:7], s[6:7]
	v_mov_b32_e32 v10, s10
	s_xor_b64 exec, exec, s[6:7]
	s_cbranch_execnz .LBB15_3116
.LBB15_1066:
	s_or_b64 exec, exec, s[6:7]
	s_and_saveexec_b64 s[6:7], s[4:5]
	s_cbranch_execz .LBB15_1068
.LBB15_1067:
	v_bfe_u32 v10, v15, 8, 3
	v_ffbh_u32_e32 v21, v10
	v_min_u32_e32 v21, 32, v21
	v_lshrrev_b16_e32 v20, 3, v14
	v_subrev_u32_e32 v22, 28, v21
	v_and_b32_e32 v20, 15, v20
	v_lshlrev_b32_e32 v14, v22, v14
	v_sub_u32_e32 v21, 29, v21
	v_and_b32_e32 v14, 7, v14
	v_cmp_eq_u16_e32 vcc, 0, v20
	v_cndmask_b32_e32 v10, v10, v14, vcc
	v_cndmask_b32_e32 v14, v20, v21, vcc
	v_lshlrev_b32_e32 v20, 16, v15
	v_mov_b32_e32 v21, 0x3b800000
	v_lshlrev_b32_e32 v10, 20, v10
	v_and_b32_e32 v20, 0x80000000, v20
	v_lshl_add_u32 v14, v14, 23, v21
	v_or3_b32 v10, v20, v14, v10
.LBB15_1068:
	s_or_b64 exec, exec, s[6:7]
	v_lshrrev_b32_e32 v14, 8, v11
	s_movk_i32 s4, 0x7f
	v_cmp_gt_i16_sdwa s[6:7], v14, s4 src0_sel:BYTE_0 src1_sel:DWORD
	s_mov_b64 s[4:5], 0
                                        ; implicit-def: $sgpr10
	s_and_saveexec_b64 s[8:9], s[6:7]
	s_xor_b64 s[6:7], exec, s[8:9]
	s_cbranch_execnz .LBB15_3117
; %bb.1069:
	s_or_saveexec_b64 s[6:7], s[6:7]
	v_mov_b32_e32 v20, s10
	s_xor_b64 exec, exec, s[6:7]
	s_cbranch_execnz .LBB15_3120
.LBB15_1070:
	s_or_b64 exec, exec, s[6:7]
	s_and_saveexec_b64 s[6:7], s[4:5]
	s_cbranch_execz .LBB15_1072
.LBB15_1071:
	v_bfe_u32 v20, v11, 8, 3
	v_ffbh_u32_e32 v22, v20
	v_min_u32_e32 v22, 32, v22
	v_lshrrev_b16_e32 v21, 3, v14
	v_subrev_u32_e32 v23, 28, v22
	v_and_b32_e32 v21, 15, v21
	v_lshlrev_b32_e32 v14, v23, v14
	v_sub_u32_e32 v22, 29, v22
	v_and_b32_e32 v14, 7, v14
	v_cmp_eq_u16_e32 vcc, 0, v21
	v_cndmask_b32_e32 v14, v20, v14, vcc
	v_cndmask_b32_e32 v20, v21, v22, vcc
	v_lshlrev_b32_e32 v21, 16, v11
	v_mov_b32_e32 v22, 0x3b800000
	v_lshlrev_b32_e32 v14, 20, v14
	v_and_b32_e32 v21, 0x80000000, v21
	v_lshl_add_u32 v20, v20, 23, v22
	v_or3_b32 v20, v21, v20, v14
.LBB15_1072:
	s_or_b64 exec, exec, s[6:7]
	s_nop 0
	v_mfma_f32_16x16x4f32 a[0:3], v10, v20, a[0:3]
	s_movk_i32 s4, 0xff
	v_and_b32_sdwa v14, v15, s4 dst_sel:DWORD dst_unused:UNUSED_PAD src0_sel:WORD_1 src1_sel:DWORD
	s_movk_i32 s4, 0x7f
	v_cmp_lt_i16_e32 vcc, s4, v14
	s_mov_b64 s[4:5], 0
                                        ; implicit-def: $sgpr10
	s_and_saveexec_b64 s[6:7], vcc
	s_xor_b64 s[6:7], exec, s[6:7]
	s_cbranch_execnz .LBB15_3121
; %bb.1073:
	s_or_saveexec_b64 s[6:7], s[6:7]
	v_mov_b32_e32 v10, s10
	s_xor_b64 exec, exec, s[6:7]
	s_cbranch_execnz .LBB15_3124
.LBB15_1074:
	s_or_b64 exec, exec, s[6:7]
	s_and_saveexec_b64 s[6:7], s[4:5]
	s_cbranch_execz .LBB15_1076
.LBB15_1075:
	v_bfe_u32 v10, v15, 16, 3
	v_ffbh_u32_e32 v21, v10
	v_min_u32_e32 v21, 32, v21
	v_lshrrev_b32_e32 v14, 19, v15
	v_subrev_u32_e32 v22, 28, v21
	v_and_b32_e32 v14, 15, v14
	v_lshlrev_b32_sdwa v22, v22, v15 dst_sel:DWORD dst_unused:UNUSED_PAD src0_sel:DWORD src1_sel:WORD_1
	v_bfe_u32 v20, v15, 19, 4
	v_sub_u32_e32 v21, 29, v21
	v_and_b32_e32 v22, 7, v22
	v_cmp_eq_u16_e32 vcc, 0, v14
	v_cndmask_b32_e32 v10, v10, v22, vcc
	v_cndmask_b32_e32 v14, v20, v21, vcc
	v_lshlrev_b32_e32 v20, 8, v15
	v_mov_b32_e32 v21, 0x3b800000
	v_lshlrev_b32_e32 v10, 20, v10
	v_and_b32_e32 v20, 0x80000000, v20
	v_lshl_add_u32 v14, v14, 23, v21
	v_or3_b32 v10, v20, v14, v10
.LBB15_1076:
	s_or_b64 exec, exec, s[6:7]
	s_movk_i32 s4, 0xff
	v_and_b32_sdwa v14, v11, s4 dst_sel:DWORD dst_unused:UNUSED_PAD src0_sel:WORD_1 src1_sel:DWORD
	s_movk_i32 s4, 0x7f
	v_cmp_lt_i16_e32 vcc, s4, v14
	s_mov_b64 s[4:5], 0
                                        ; implicit-def: $sgpr10
	s_and_saveexec_b64 s[6:7], vcc
	s_xor_b64 s[6:7], exec, s[6:7]
	s_cbranch_execnz .LBB15_3125
; %bb.1077:
	s_or_saveexec_b64 s[6:7], s[6:7]
	v_mov_b32_e32 v20, s10
	s_xor_b64 exec, exec, s[6:7]
	s_cbranch_execnz .LBB15_3128
.LBB15_1078:
	s_or_b64 exec, exec, s[6:7]
	s_and_saveexec_b64 s[6:7], s[4:5]
	s_cbranch_execz .LBB15_1080
.LBB15_1079:
	v_bfe_u32 v14, v11, 16, 3
	v_ffbh_u32_e32 v22, v14
	v_min_u32_e32 v22, 32, v22
	v_lshrrev_b32_e32 v20, 19, v11
	v_subrev_u32_e32 v23, 28, v22
	v_and_b32_e32 v20, 15, v20
	v_lshlrev_b32_sdwa v23, v23, v11 dst_sel:DWORD dst_unused:UNUSED_PAD src0_sel:DWORD src1_sel:WORD_1
	v_bfe_u32 v21, v11, 19, 4
	v_sub_u32_e32 v22, 29, v22
	v_and_b32_e32 v23, 7, v23
	v_cmp_eq_u16_e32 vcc, 0, v20
	v_cndmask_b32_e32 v14, v14, v23, vcc
	v_cndmask_b32_e32 v20, v21, v22, vcc
	v_lshlrev_b32_e32 v21, 8, v11
	v_mov_b32_e32 v22, 0x3b800000
	v_lshlrev_b32_e32 v14, 20, v14
	v_and_b32_e32 v21, 0x80000000, v21
	v_lshl_add_u32 v20, v20, 23, v22
	v_or3_b32 v20, v21, v20, v14
.LBB15_1080:
	s_or_b64 exec, exec, s[6:7]
	s_nop 0
	v_mfma_f32_16x16x4f32 a[0:3], v10, v20, a[0:3]
	s_movk_i32 s4, 0x7f
	v_cmp_gt_i16_sdwa s[6:7], v15, s4 src0_sel:BYTE_3 src1_sel:DWORD
	s_mov_b64 s[4:5], 0
                                        ; implicit-def: $sgpr10
	s_and_saveexec_b64 s[8:9], s[6:7]
	s_xor_b64 s[6:7], exec, s[8:9]
	s_cbranch_execnz .LBB15_3129
; %bb.1081:
	s_or_saveexec_b64 s[6:7], s[6:7]
	v_mov_b32_e32 v10, s10
	s_xor_b64 exec, exec, s[6:7]
	s_cbranch_execnz .LBB15_3132
.LBB15_1082:
	s_or_b64 exec, exec, s[6:7]
	s_and_saveexec_b64 s[6:7], s[4:5]
	s_cbranch_execz .LBB15_1084
.LBB15_1083:
	v_bfe_u32 v10, v15, 24, 3
	v_ffbh_u32_e32 v22, v10
	v_min_u32_e32 v22, 32, v22
	v_lshrrev_b32_e32 v20, 27, v15
	v_subrev_u32_e32 v23, 28, v22
	v_and_b32_e32 v14, 0x80000000, v15
	v_and_b32_e32 v20, 15, v20
	v_bfe_u32 v21, v15, 27, 4
	v_lshlrev_b32_sdwa v15, v23, v15 dst_sel:DWORD dst_unused:UNUSED_PAD src0_sel:DWORD src1_sel:BYTE_3
	v_sub_u32_e32 v22, 29, v22
	v_and_b32_e32 v15, 7, v15
	v_cmp_eq_u16_e32 vcc, 0, v20
	v_cndmask_b32_e32 v10, v10, v15, vcc
	v_cndmask_b32_e32 v15, v21, v22, vcc
	v_mov_b32_e32 v20, 0x3b800000
	v_lshlrev_b32_e32 v10, 20, v10
	v_lshl_add_u32 v15, v15, 23, v20
	v_or3_b32 v10, v14, v15, v10
.LBB15_1084:
	s_or_b64 exec, exec, s[6:7]
	s_movk_i32 s4, 0x7f
	v_cmp_gt_i16_sdwa s[6:7], v11, s4 src0_sel:BYTE_3 src1_sel:DWORD
	s_mov_b64 s[4:5], 0
                                        ; implicit-def: $sgpr10
	s_and_saveexec_b64 s[8:9], s[6:7]
	s_xor_b64 s[6:7], exec, s[8:9]
	s_cbranch_execnz .LBB15_3133
; %bb.1085:
	s_or_saveexec_b64 s[6:7], s[6:7]
	v_mov_b32_e32 v14, s10
	s_xor_b64 exec, exec, s[6:7]
	s_cbranch_execnz .LBB15_3136
.LBB15_1086:
	s_or_b64 exec, exec, s[6:7]
	s_and_saveexec_b64 s[6:7], s[4:5]
	s_cbranch_execz .LBB15_1088
.LBB15_1087:
	v_bfe_u32 v14, v11, 24, 3
	v_ffbh_u32_e32 v22, v14
	v_min_u32_e32 v22, 32, v22
	v_lshrrev_b32_e32 v20, 27, v11
	v_subrev_u32_e32 v23, 28, v22
	v_and_b32_e32 v15, 0x80000000, v11
	v_and_b32_e32 v20, 15, v20
	v_bfe_u32 v21, v11, 27, 4
	v_lshlrev_b32_sdwa v11, v23, v11 dst_sel:DWORD dst_unused:UNUSED_PAD src0_sel:DWORD src1_sel:BYTE_3
	v_sub_u32_e32 v22, 29, v22
	v_and_b32_e32 v11, 7, v11
	v_cmp_eq_u16_e32 vcc, 0, v20
	v_cndmask_b32_e32 v11, v14, v11, vcc
	v_cndmask_b32_e32 v14, v21, v22, vcc
	v_mov_b32_e32 v20, 0x3b800000
	v_lshlrev_b32_e32 v11, 20, v11
	v_lshl_add_u32 v14, v14, 23, v20
	v_or3_b32 v14, v15, v14, v11
.LBB15_1088:
	s_or_b64 exec, exec, s[6:7]
	s_nop 0
	v_mfma_f32_16x16x4f32 a[0:3], v10, v14, a[0:3]
	s_movk_i32 s4, 0x7f
	v_cmp_gt_i16_sdwa s[6:7], v16, s4 src0_sel:BYTE_0 src1_sel:DWORD
	s_mov_b64 s[4:5], 0
                                        ; implicit-def: $sgpr10
	s_and_saveexec_b64 s[8:9], s[6:7]
	s_xor_b64 s[6:7], exec, s[8:9]
	s_cbranch_execnz .LBB15_3137
; %bb.1089:
	s_or_saveexec_b64 s[6:7], s[6:7]
	v_mov_b32_e32 v10, s10
	s_xor_b64 exec, exec, s[6:7]
	s_cbranch_execnz .LBB15_3140
.LBB15_1090:
	s_or_b64 exec, exec, s[6:7]
	s_and_saveexec_b64 s[6:7], s[4:5]
	s_cbranch_execz .LBB15_1092
.LBB15_1091:
	v_and_b32_e32 v10, 7, v16
	v_ffbh_u32_e32 v14, v10
	v_min_u32_e32 v14, 32, v14
	v_lshrrev_b16_e32 v11, 3, v16
	v_subrev_u32_e32 v15, 28, v14
	v_and_b32_e32 v11, 15, v11
	v_lshlrev_b32_e32 v15, v15, v16
	v_sub_u32_e32 v14, 29, v14
	v_and_b32_e32 v15, 7, v15
	v_cmp_eq_u16_e32 vcc, 0, v11
	v_cndmask_b32_e32 v10, v10, v15, vcc
	v_cndmask_b32_e32 v11, v11, v14, vcc
	v_lshlrev_b32_e32 v14, 24, v16
	v_mov_b32_e32 v15, 0x3b800000
	v_lshlrev_b32_e32 v10, 20, v10
	v_and_b32_e32 v14, 0x80000000, v14
	v_lshl_add_u32 v11, v11, 23, v15
	v_or3_b32 v10, v14, v11, v10
.LBB15_1092:
	s_or_b64 exec, exec, s[6:7]
	s_movk_i32 s4, 0x7f
	v_cmp_gt_i16_sdwa s[6:7], v12, s4 src0_sel:BYTE_0 src1_sel:DWORD
	s_mov_b64 s[4:5], 0
                                        ; implicit-def: $sgpr10
	s_and_saveexec_b64 s[8:9], s[6:7]
	s_xor_b64 s[6:7], exec, s[8:9]
	s_cbranch_execnz .LBB15_3141
; %bb.1093:
	s_or_saveexec_b64 s[6:7], s[6:7]
	v_mov_b32_e32 v11, s10
	s_xor_b64 exec, exec, s[6:7]
	s_cbranch_execnz .LBB15_3144
.LBB15_1094:
	s_or_b64 exec, exec, s[6:7]
	s_and_saveexec_b64 s[6:7], s[4:5]
	s_cbranch_execz .LBB15_1096
.LBB15_1095:
	v_and_b32_e32 v11, 7, v12
	v_ffbh_u32_e32 v15, v11
	v_min_u32_e32 v15, 32, v15
	v_lshrrev_b16_e32 v14, 3, v12
	v_subrev_u32_e32 v20, 28, v15
	v_and_b32_e32 v14, 15, v14
	v_lshlrev_b32_e32 v20, v20, v12
	v_sub_u32_e32 v15, 29, v15
	v_and_b32_e32 v20, 7, v20
	v_cmp_eq_u16_e32 vcc, 0, v14
	v_cndmask_b32_e32 v11, v11, v20, vcc
	v_cndmask_b32_e32 v14, v14, v15, vcc
	v_lshlrev_b32_e32 v15, 24, v12
	v_mov_b32_e32 v20, 0x3b800000
	v_lshlrev_b32_e32 v11, 20, v11
	v_and_b32_e32 v15, 0x80000000, v15
	v_lshl_add_u32 v14, v14, 23, v20
	v_or3_b32 v11, v15, v14, v11
.LBB15_1096:
	s_or_b64 exec, exec, s[6:7]
	s_nop 0
	v_mfma_f32_16x16x4f32 a[0:3], v10, v11, a[0:3]
	v_lshrrev_b32_e32 v11, 8, v16
	s_movk_i32 s4, 0x7f
	v_cmp_gt_i16_sdwa s[6:7], v11, s4 src0_sel:BYTE_0 src1_sel:DWORD
	s_mov_b64 s[4:5], 0
                                        ; implicit-def: $sgpr10
	s_and_saveexec_b64 s[8:9], s[6:7]
	s_xor_b64 s[6:7], exec, s[8:9]
	s_cbranch_execnz .LBB15_3145
; %bb.1097:
	s_or_saveexec_b64 s[6:7], s[6:7]
	v_mov_b32_e32 v10, s10
	s_xor_b64 exec, exec, s[6:7]
	s_cbranch_execnz .LBB15_3148
.LBB15_1098:
	s_or_b64 exec, exec, s[6:7]
	s_and_saveexec_b64 s[6:7], s[4:5]
	s_cbranch_execz .LBB15_1100
.LBB15_1099:
	v_bfe_u32 v10, v16, 8, 3
	v_ffbh_u32_e32 v15, v10
	v_min_u32_e32 v15, 32, v15
	v_lshrrev_b16_e32 v14, 3, v11
	v_subrev_u32_e32 v20, 28, v15
	v_and_b32_e32 v14, 15, v14
	v_lshlrev_b32_e32 v11, v20, v11
	v_sub_u32_e32 v15, 29, v15
	v_and_b32_e32 v11, 7, v11
	v_cmp_eq_u16_e32 vcc, 0, v14
	v_cndmask_b32_e32 v10, v10, v11, vcc
	v_cndmask_b32_e32 v11, v14, v15, vcc
	v_lshlrev_b32_e32 v14, 16, v16
	v_mov_b32_e32 v15, 0x3b800000
	v_lshlrev_b32_e32 v10, 20, v10
	v_and_b32_e32 v14, 0x80000000, v14
	v_lshl_add_u32 v11, v11, 23, v15
	v_or3_b32 v10, v14, v11, v10
.LBB15_1100:
	s_or_b64 exec, exec, s[6:7]
	v_lshrrev_b32_e32 v11, 8, v12
	s_movk_i32 s4, 0x7f
	v_cmp_gt_i16_sdwa s[6:7], v11, s4 src0_sel:BYTE_0 src1_sel:DWORD
	s_mov_b64 s[4:5], 0
                                        ; implicit-def: $sgpr10
	s_and_saveexec_b64 s[8:9], s[6:7]
	s_xor_b64 s[6:7], exec, s[8:9]
	s_cbranch_execnz .LBB15_3149
; %bb.1101:
	s_or_saveexec_b64 s[6:7], s[6:7]
	v_mov_b32_e32 v14, s10
	s_xor_b64 exec, exec, s[6:7]
	s_cbranch_execnz .LBB15_3152
.LBB15_1102:
	s_or_b64 exec, exec, s[6:7]
	s_and_saveexec_b64 s[6:7], s[4:5]
	s_cbranch_execz .LBB15_1104
.LBB15_1103:
	v_bfe_u32 v14, v12, 8, 3
	v_ffbh_u32_e32 v20, v14
	v_min_u32_e32 v20, 32, v20
	v_lshrrev_b16_e32 v15, 3, v11
	v_subrev_u32_e32 v21, 28, v20
	v_and_b32_e32 v15, 15, v15
	v_lshlrev_b32_e32 v11, v21, v11
	v_sub_u32_e32 v20, 29, v20
	v_and_b32_e32 v11, 7, v11
	v_cmp_eq_u16_e32 vcc, 0, v15
	v_cndmask_b32_e32 v11, v14, v11, vcc
	v_cndmask_b32_e32 v14, v15, v20, vcc
	v_lshlrev_b32_e32 v15, 16, v12
	v_mov_b32_e32 v20, 0x3b800000
	v_lshlrev_b32_e32 v11, 20, v11
	v_and_b32_e32 v15, 0x80000000, v15
	v_lshl_add_u32 v14, v14, 23, v20
	v_or3_b32 v14, v15, v14, v11
.LBB15_1104:
	s_or_b64 exec, exec, s[6:7]
	s_nop 0
	v_mfma_f32_16x16x4f32 a[0:3], v10, v14, a[0:3]
	s_movk_i32 s4, 0xff
	v_and_b32_sdwa v11, v16, s4 dst_sel:DWORD dst_unused:UNUSED_PAD src0_sel:WORD_1 src1_sel:DWORD
	s_movk_i32 s4, 0x7f
	v_cmp_lt_i16_e32 vcc, s4, v11
	s_mov_b64 s[4:5], 0
                                        ; implicit-def: $sgpr10
	s_and_saveexec_b64 s[6:7], vcc
	s_xor_b64 s[6:7], exec, s[6:7]
	s_cbranch_execnz .LBB15_3153
; %bb.1105:
	s_or_saveexec_b64 s[6:7], s[6:7]
	v_mov_b32_e32 v10, s10
	s_xor_b64 exec, exec, s[6:7]
	s_cbranch_execnz .LBB15_3156
.LBB15_1106:
	s_or_b64 exec, exec, s[6:7]
	s_and_saveexec_b64 s[6:7], s[4:5]
	s_cbranch_execz .LBB15_1108
.LBB15_1107:
	v_bfe_u32 v10, v16, 16, 3
	v_ffbh_u32_e32 v15, v10
	v_min_u32_e32 v15, 32, v15
	v_lshrrev_b32_e32 v11, 19, v16
	v_subrev_u32_e32 v20, 28, v15
	v_and_b32_e32 v11, 15, v11
	v_lshlrev_b32_sdwa v20, v20, v16 dst_sel:DWORD dst_unused:UNUSED_PAD src0_sel:DWORD src1_sel:WORD_1
	v_bfe_u32 v14, v16, 19, 4
	v_sub_u32_e32 v15, 29, v15
	v_and_b32_e32 v20, 7, v20
	v_cmp_eq_u16_e32 vcc, 0, v11
	v_cndmask_b32_e32 v10, v10, v20, vcc
	v_cndmask_b32_e32 v11, v14, v15, vcc
	v_lshlrev_b32_e32 v14, 8, v16
	v_mov_b32_e32 v15, 0x3b800000
	v_lshlrev_b32_e32 v10, 20, v10
	v_and_b32_e32 v14, 0x80000000, v14
	v_lshl_add_u32 v11, v11, 23, v15
	v_or3_b32 v10, v14, v11, v10
.LBB15_1108:
	s_or_b64 exec, exec, s[6:7]
	s_movk_i32 s4, 0xff
	v_and_b32_sdwa v11, v12, s4 dst_sel:DWORD dst_unused:UNUSED_PAD src0_sel:WORD_1 src1_sel:DWORD
	s_movk_i32 s4, 0x7f
	v_cmp_lt_i16_e32 vcc, s4, v11
	s_mov_b64 s[4:5], 0
                                        ; implicit-def: $sgpr10
	s_and_saveexec_b64 s[6:7], vcc
	s_xor_b64 s[6:7], exec, s[6:7]
	s_cbranch_execnz .LBB15_3157
; %bb.1109:
	s_or_saveexec_b64 s[6:7], s[6:7]
	v_mov_b32_e32 v14, s10
	s_xor_b64 exec, exec, s[6:7]
	s_cbranch_execnz .LBB15_3160
.LBB15_1110:
	s_or_b64 exec, exec, s[6:7]
	s_and_saveexec_b64 s[6:7], s[4:5]
	s_cbranch_execz .LBB15_1112
.LBB15_1111:
	v_bfe_u32 v11, v12, 16, 3
	v_ffbh_u32_e32 v20, v11
	v_min_u32_e32 v20, 32, v20
	v_lshrrev_b32_e32 v14, 19, v12
	v_subrev_u32_e32 v21, 28, v20
	v_and_b32_e32 v14, 15, v14
	v_lshlrev_b32_sdwa v21, v21, v12 dst_sel:DWORD dst_unused:UNUSED_PAD src0_sel:DWORD src1_sel:WORD_1
	v_bfe_u32 v15, v12, 19, 4
	v_sub_u32_e32 v20, 29, v20
	v_and_b32_e32 v21, 7, v21
	v_cmp_eq_u16_e32 vcc, 0, v14
	v_cndmask_b32_e32 v11, v11, v21, vcc
	v_cndmask_b32_e32 v14, v15, v20, vcc
	v_lshlrev_b32_e32 v15, 8, v12
	v_mov_b32_e32 v20, 0x3b800000
	v_lshlrev_b32_e32 v11, 20, v11
	v_and_b32_e32 v15, 0x80000000, v15
	v_lshl_add_u32 v14, v14, 23, v20
	v_or3_b32 v14, v15, v14, v11
.LBB15_1112:
	s_or_b64 exec, exec, s[6:7]
	s_nop 0
	v_mfma_f32_16x16x4f32 a[0:3], v10, v14, a[0:3]
	s_movk_i32 s4, 0x7f
	v_cmp_gt_i16_sdwa s[6:7], v16, s4 src0_sel:BYTE_3 src1_sel:DWORD
	s_mov_b64 s[4:5], 0
                                        ; implicit-def: $sgpr10
	s_and_saveexec_b64 s[8:9], s[6:7]
	s_xor_b64 s[6:7], exec, s[8:9]
	s_cbranch_execnz .LBB15_3161
; %bb.1113:
	s_or_saveexec_b64 s[6:7], s[6:7]
	v_mov_b32_e32 v10, s10
	s_xor_b64 exec, exec, s[6:7]
	s_cbranch_execnz .LBB15_3164
.LBB15_1114:
	s_or_b64 exec, exec, s[6:7]
	s_and_saveexec_b64 s[6:7], s[4:5]
	s_cbranch_execz .LBB15_1116
.LBB15_1115:
	v_bfe_u32 v10, v16, 24, 3
	v_ffbh_u32_e32 v20, v10
	v_min_u32_e32 v20, 32, v20
	v_lshrrev_b32_e32 v14, 27, v16
	v_subrev_u32_e32 v21, 28, v20
	v_and_b32_e32 v11, 0x80000000, v16
	v_and_b32_e32 v14, 15, v14
	v_bfe_u32 v15, v16, 27, 4
	v_lshlrev_b32_sdwa v16, v21, v16 dst_sel:DWORD dst_unused:UNUSED_PAD src0_sel:DWORD src1_sel:BYTE_3
	v_sub_u32_e32 v20, 29, v20
	v_and_b32_e32 v16, 7, v16
	v_cmp_eq_u16_e32 vcc, 0, v14
	v_cndmask_b32_e32 v10, v10, v16, vcc
	v_cndmask_b32_e32 v14, v15, v20, vcc
	v_mov_b32_e32 v15, 0x3b800000
	v_lshlrev_b32_e32 v10, 20, v10
	v_lshl_add_u32 v14, v14, 23, v15
	v_or3_b32 v10, v11, v14, v10
.LBB15_1116:
	s_or_b64 exec, exec, s[6:7]
	s_movk_i32 s4, 0x7f
	v_cmp_gt_i16_sdwa s[6:7], v12, s4 src0_sel:BYTE_3 src1_sel:DWORD
	s_mov_b64 s[4:5], 0
                                        ; implicit-def: $sgpr10
	s_and_saveexec_b64 s[8:9], s[6:7]
	s_xor_b64 s[6:7], exec, s[8:9]
	s_cbranch_execnz .LBB15_3165
; %bb.1117:
	s_or_saveexec_b64 s[6:7], s[6:7]
	v_mov_b32_e32 v11, s10
	s_xor_b64 exec, exec, s[6:7]
	s_cbranch_execnz .LBB15_3168
.LBB15_1118:
	s_or_b64 exec, exec, s[6:7]
	s_and_saveexec_b64 s[6:7], s[4:5]
	s_cbranch_execz .LBB15_1120
.LBB15_1119:
	v_bfe_u32 v11, v12, 24, 3
	v_ffbh_u32_e32 v20, v11
	v_min_u32_e32 v20, 32, v20
	v_lshrrev_b32_e32 v15, 27, v12
	v_subrev_u32_e32 v21, 28, v20
	v_and_b32_e32 v14, 0x80000000, v12
	v_and_b32_e32 v15, 15, v15
	v_bfe_u32 v16, v12, 27, 4
	v_lshlrev_b32_sdwa v12, v21, v12 dst_sel:DWORD dst_unused:UNUSED_PAD src0_sel:DWORD src1_sel:BYTE_3
	v_sub_u32_e32 v20, 29, v20
	v_and_b32_e32 v12, 7, v12
	v_cmp_eq_u16_e32 vcc, 0, v15
	v_cndmask_b32_e32 v11, v11, v12, vcc
	v_cndmask_b32_e32 v12, v16, v20, vcc
	v_mov_b32_e32 v15, 0x3b800000
	v_lshlrev_b32_e32 v11, 20, v11
	v_lshl_add_u32 v12, v12, 23, v15
	v_or3_b32 v11, v14, v12, v11
.LBB15_1120:
	s_or_b64 exec, exec, s[6:7]
	s_nop 0
	v_mfma_f32_16x16x4f32 a[0:3], v10, v11, a[0:3]
	s_movk_i32 s4, 0x7f
	v_cmp_gt_i16_sdwa s[6:7], v17, s4 src0_sel:BYTE_0 src1_sel:DWORD
	s_mov_b64 s[4:5], 0
                                        ; implicit-def: $sgpr10
	s_and_saveexec_b64 s[8:9], s[6:7]
	s_xor_b64 s[6:7], exec, s[8:9]
	s_cbranch_execnz .LBB15_3169
; %bb.1121:
	s_or_saveexec_b64 s[6:7], s[6:7]
	v_mov_b32_e32 v10, s10
	s_xor_b64 exec, exec, s[6:7]
	s_cbranch_execnz .LBB15_3172
.LBB15_1122:
	s_or_b64 exec, exec, s[6:7]
	s_and_saveexec_b64 s[6:7], s[4:5]
	s_cbranch_execz .LBB15_1124
.LBB15_1123:
	v_and_b32_e32 v10, 7, v17
	v_ffbh_u32_e32 v12, v10
	v_min_u32_e32 v12, 32, v12
	v_lshrrev_b16_e32 v11, 3, v17
	v_subrev_u32_e32 v14, 28, v12
	v_and_b32_e32 v11, 15, v11
	v_lshlrev_b32_e32 v14, v14, v17
	v_sub_u32_e32 v12, 29, v12
	v_and_b32_e32 v14, 7, v14
	v_cmp_eq_u16_e32 vcc, 0, v11
	v_cndmask_b32_e32 v10, v10, v14, vcc
	v_cndmask_b32_e32 v11, v11, v12, vcc
	v_lshlrev_b32_e32 v12, 24, v17
	v_mov_b32_e32 v14, 0x3b800000
	v_lshlrev_b32_e32 v10, 20, v10
	v_and_b32_e32 v12, 0x80000000, v12
	v_lshl_add_u32 v11, v11, 23, v14
	v_or3_b32 v10, v12, v11, v10
.LBB15_1124:
	s_or_b64 exec, exec, s[6:7]
	s_movk_i32 s4, 0x7f
	v_cmp_gt_i16_sdwa s[6:7], v13, s4 src0_sel:BYTE_0 src1_sel:DWORD
	s_mov_b64 s[4:5], 0
                                        ; implicit-def: $sgpr10
	s_and_saveexec_b64 s[8:9], s[6:7]
	s_xor_b64 s[6:7], exec, s[8:9]
	s_cbranch_execnz .LBB15_3173
; %bb.1125:
	s_or_saveexec_b64 s[6:7], s[6:7]
	v_mov_b32_e32 v11, s10
	s_xor_b64 exec, exec, s[6:7]
	s_cbranch_execnz .LBB15_3176
.LBB15_1126:
	s_or_b64 exec, exec, s[6:7]
	s_and_saveexec_b64 s[6:7], s[4:5]
	s_cbranch_execz .LBB15_1128
.LBB15_1127:
	v_and_b32_e32 v11, 7, v13
	v_ffbh_u32_e32 v14, v11
	v_min_u32_e32 v14, 32, v14
	v_lshrrev_b16_e32 v12, 3, v13
	v_subrev_u32_e32 v15, 28, v14
	v_and_b32_e32 v12, 15, v12
	v_lshlrev_b32_e32 v15, v15, v13
	v_sub_u32_e32 v14, 29, v14
	v_and_b32_e32 v15, 7, v15
	v_cmp_eq_u16_e32 vcc, 0, v12
	v_cndmask_b32_e32 v11, v11, v15, vcc
	v_cndmask_b32_e32 v12, v12, v14, vcc
	v_lshlrev_b32_e32 v14, 24, v13
	v_mov_b32_e32 v15, 0x3b800000
	v_lshlrev_b32_e32 v11, 20, v11
	v_and_b32_e32 v14, 0x80000000, v14
	v_lshl_add_u32 v12, v12, 23, v15
	v_or3_b32 v11, v14, v12, v11
.LBB15_1128:
	s_or_b64 exec, exec, s[6:7]
	s_nop 0
	v_mfma_f32_16x16x4f32 a[0:3], v10, v11, a[0:3]
	v_lshrrev_b32_e32 v11, 8, v17
	s_movk_i32 s4, 0x7f
	v_cmp_gt_i16_sdwa s[6:7], v11, s4 src0_sel:BYTE_0 src1_sel:DWORD
	s_mov_b64 s[4:5], 0
                                        ; implicit-def: $sgpr10
	s_and_saveexec_b64 s[8:9], s[6:7]
	s_xor_b64 s[6:7], exec, s[8:9]
	s_cbranch_execnz .LBB15_3177
; %bb.1129:
	s_or_saveexec_b64 s[6:7], s[6:7]
	v_mov_b32_e32 v10, s10
	s_xor_b64 exec, exec, s[6:7]
	s_cbranch_execnz .LBB15_3180
.LBB15_1130:
	s_or_b64 exec, exec, s[6:7]
	s_and_saveexec_b64 s[6:7], s[4:5]
	s_cbranch_execz .LBB15_1132
.LBB15_1131:
	v_bfe_u32 v10, v17, 8, 3
	v_ffbh_u32_e32 v14, v10
	v_min_u32_e32 v14, 32, v14
	v_lshrrev_b16_e32 v12, 3, v11
	v_subrev_u32_e32 v15, 28, v14
	v_and_b32_e32 v12, 15, v12
	v_lshlrev_b32_e32 v11, v15, v11
	v_sub_u32_e32 v14, 29, v14
	v_and_b32_e32 v11, 7, v11
	v_cmp_eq_u16_e32 vcc, 0, v12
	v_cndmask_b32_e32 v10, v10, v11, vcc
	v_cndmask_b32_e32 v11, v12, v14, vcc
	v_lshlrev_b32_e32 v12, 16, v17
	v_mov_b32_e32 v14, 0x3b800000
	v_lshlrev_b32_e32 v10, 20, v10
	v_and_b32_e32 v12, 0x80000000, v12
	v_lshl_add_u32 v11, v11, 23, v14
	v_or3_b32 v10, v12, v11, v10
.LBB15_1132:
	s_or_b64 exec, exec, s[6:7]
	v_lshrrev_b32_e32 v11, 8, v13
	s_movk_i32 s4, 0x7f
	v_cmp_gt_i16_sdwa s[6:7], v11, s4 src0_sel:BYTE_0 src1_sel:DWORD
	s_mov_b64 s[4:5], 0
                                        ; implicit-def: $sgpr10
	s_and_saveexec_b64 s[8:9], s[6:7]
	s_xor_b64 s[6:7], exec, s[8:9]
	s_cbranch_execnz .LBB15_3181
; %bb.1133:
	s_or_saveexec_b64 s[6:7], s[6:7]
	v_mov_b32_e32 v12, s10
	s_xor_b64 exec, exec, s[6:7]
	s_cbranch_execnz .LBB15_3184
.LBB15_1134:
	s_or_b64 exec, exec, s[6:7]
	s_and_saveexec_b64 s[6:7], s[4:5]
	s_cbranch_execz .LBB15_1136
.LBB15_1135:
	v_bfe_u32 v12, v13, 8, 3
	v_ffbh_u32_e32 v15, v12
	v_min_u32_e32 v15, 32, v15
	v_lshrrev_b16_e32 v14, 3, v11
	v_subrev_u32_e32 v16, 28, v15
	v_and_b32_e32 v14, 15, v14
	v_lshlrev_b32_e32 v11, v16, v11
	v_sub_u32_e32 v15, 29, v15
	v_and_b32_e32 v11, 7, v11
	v_cmp_eq_u16_e32 vcc, 0, v14
	v_cndmask_b32_e32 v11, v12, v11, vcc
	v_cndmask_b32_e32 v12, v14, v15, vcc
	v_lshlrev_b32_e32 v14, 16, v13
	v_mov_b32_e32 v15, 0x3b800000
	v_lshlrev_b32_e32 v11, 20, v11
	v_and_b32_e32 v14, 0x80000000, v14
	v_lshl_add_u32 v12, v12, 23, v15
	v_or3_b32 v12, v14, v12, v11
.LBB15_1136:
	s_or_b64 exec, exec, s[6:7]
	s_nop 0
	v_mfma_f32_16x16x4f32 a[0:3], v10, v12, a[0:3]
	s_movk_i32 s4, 0xff
	v_and_b32_sdwa v11, v17, s4 dst_sel:DWORD dst_unused:UNUSED_PAD src0_sel:WORD_1 src1_sel:DWORD
	s_movk_i32 s4, 0x7f
	v_cmp_lt_i16_e32 vcc, s4, v11
	s_mov_b64 s[4:5], 0
                                        ; implicit-def: $sgpr10
	s_and_saveexec_b64 s[6:7], vcc
	s_xor_b64 s[6:7], exec, s[6:7]
	s_cbranch_execnz .LBB15_3185
; %bb.1137:
	s_or_saveexec_b64 s[6:7], s[6:7]
	v_mov_b32_e32 v10, s10
	s_xor_b64 exec, exec, s[6:7]
	s_cbranch_execnz .LBB15_3188
.LBB15_1138:
	s_or_b64 exec, exec, s[6:7]
	s_and_saveexec_b64 s[6:7], s[4:5]
	s_cbranch_execz .LBB15_1140
.LBB15_1139:
	v_bfe_u32 v10, v17, 16, 3
	v_ffbh_u32_e32 v14, v10
	v_min_u32_e32 v14, 32, v14
	v_lshrrev_b32_e32 v11, 19, v17
	v_subrev_u32_e32 v15, 28, v14
	v_and_b32_e32 v11, 15, v11
	v_lshlrev_b32_sdwa v15, v15, v17 dst_sel:DWORD dst_unused:UNUSED_PAD src0_sel:DWORD src1_sel:WORD_1
	v_bfe_u32 v12, v17, 19, 4
	v_sub_u32_e32 v14, 29, v14
	v_and_b32_e32 v15, 7, v15
	v_cmp_eq_u16_e32 vcc, 0, v11
	v_cndmask_b32_e32 v10, v10, v15, vcc
	v_cndmask_b32_e32 v11, v12, v14, vcc
	v_lshlrev_b32_e32 v12, 8, v17
	v_mov_b32_e32 v14, 0x3b800000
	v_lshlrev_b32_e32 v10, 20, v10
	v_and_b32_e32 v12, 0x80000000, v12
	v_lshl_add_u32 v11, v11, 23, v14
	v_or3_b32 v10, v12, v11, v10
.LBB15_1140:
	s_or_b64 exec, exec, s[6:7]
	s_movk_i32 s4, 0xff
	v_and_b32_sdwa v11, v13, s4 dst_sel:DWORD dst_unused:UNUSED_PAD src0_sel:WORD_1 src1_sel:DWORD
	s_movk_i32 s4, 0x7f
	v_cmp_lt_i16_e32 vcc, s4, v11
	s_mov_b64 s[4:5], 0
                                        ; implicit-def: $sgpr10
	s_and_saveexec_b64 s[6:7], vcc
	s_xor_b64 s[6:7], exec, s[6:7]
	s_cbranch_execnz .LBB15_3189
; %bb.1141:
	s_or_saveexec_b64 s[6:7], s[6:7]
	v_mov_b32_e32 v12, s10
	s_xor_b64 exec, exec, s[6:7]
	s_cbranch_execnz .LBB15_3192
.LBB15_1142:
	s_or_b64 exec, exec, s[6:7]
	s_and_saveexec_b64 s[6:7], s[4:5]
	s_cbranch_execz .LBB15_1144
.LBB15_1143:
	v_bfe_u32 v11, v13, 16, 3
	v_ffbh_u32_e32 v15, v11
	v_min_u32_e32 v15, 32, v15
	v_lshrrev_b32_e32 v12, 19, v13
	v_subrev_u32_e32 v16, 28, v15
	v_and_b32_e32 v12, 15, v12
	v_lshlrev_b32_sdwa v16, v16, v13 dst_sel:DWORD dst_unused:UNUSED_PAD src0_sel:DWORD src1_sel:WORD_1
	v_bfe_u32 v14, v13, 19, 4
	v_sub_u32_e32 v15, 29, v15
	v_and_b32_e32 v16, 7, v16
	v_cmp_eq_u16_e32 vcc, 0, v12
	v_cndmask_b32_e32 v11, v11, v16, vcc
	v_cndmask_b32_e32 v12, v14, v15, vcc
	v_lshlrev_b32_e32 v14, 8, v13
	v_mov_b32_e32 v15, 0x3b800000
	v_lshlrev_b32_e32 v11, 20, v11
	v_and_b32_e32 v14, 0x80000000, v14
	v_lshl_add_u32 v12, v12, 23, v15
	v_or3_b32 v12, v14, v12, v11
.LBB15_1144:
	s_or_b64 exec, exec, s[6:7]
	s_nop 0
	v_mfma_f32_16x16x4f32 a[0:3], v10, v12, a[0:3]
	s_movk_i32 s4, 0x7f
	v_cmp_gt_i16_sdwa s[6:7], v17, s4 src0_sel:BYTE_3 src1_sel:DWORD
	s_mov_b64 s[4:5], 0
                                        ; implicit-def: $sgpr10
	s_and_saveexec_b64 s[8:9], s[6:7]
	s_xor_b64 s[6:7], exec, s[8:9]
	s_cbranch_execnz .LBB15_3193
; %bb.1145:
	s_or_saveexec_b64 s[6:7], s[6:7]
	v_mov_b32_e32 v10, s10
	s_xor_b64 exec, exec, s[6:7]
	s_cbranch_execnz .LBB15_3196
.LBB15_1146:
	s_or_b64 exec, exec, s[6:7]
	s_and_saveexec_b64 s[6:7], s[4:5]
	s_cbranch_execz .LBB15_1148
.LBB15_1147:
	v_bfe_u32 v10, v17, 24, 3
	v_ffbh_u32_e32 v15, v10
	v_min_u32_e32 v15, 32, v15
	v_lshrrev_b32_e32 v12, 27, v17
	v_subrev_u32_e32 v16, 28, v15
	v_and_b32_e32 v12, 15, v12
	v_lshlrev_b32_sdwa v16, v16, v17 dst_sel:DWORD dst_unused:UNUSED_PAD src0_sel:DWORD src1_sel:BYTE_3
	v_bfe_u32 v14, v17, 27, 4
	v_sub_u32_e32 v15, 29, v15
	v_and_b32_e32 v16, 7, v16
	v_cmp_eq_u16_e32 vcc, 0, v12
	v_cndmask_b32_e32 v10, v10, v16, vcc
	v_cndmask_b32_e32 v12, v14, v15, vcc
	v_mov_b32_e32 v14, 0x3b800000
	v_and_b32_e32 v11, 0x80000000, v17
	v_lshlrev_b32_e32 v10, 20, v10
	v_lshl_add_u32 v12, v12, 23, v14
	v_or3_b32 v10, v11, v12, v10
.LBB15_1148:
	s_or_b64 exec, exec, s[6:7]
	s_movk_i32 s4, 0x7f
	v_cmp_gt_i16_sdwa s[6:7], v13, s4 src0_sel:BYTE_3 src1_sel:DWORD
	s_mov_b64 s[4:5], 0
                                        ; implicit-def: $sgpr10
	s_and_saveexec_b64 s[8:9], s[6:7]
	s_xor_b64 s[6:7], exec, s[8:9]
	s_cbranch_execnz .LBB15_3197
; %bb.1149:
	s_or_saveexec_b64 s[6:7], s[6:7]
	v_mov_b32_e32 v11, s10
	s_xor_b64 exec, exec, s[6:7]
	s_cbranch_execnz .LBB15_3200
.LBB15_1150:
	s_or_b64 exec, exec, s[6:7]
	s_and_saveexec_b64 s[6:7], s[4:5]
	s_cbranch_execz .LBB15_1152
.LBB15_1151:
	v_bfe_u32 v11, v13, 24, 3
	v_ffbh_u32_e32 v16, v11
	v_min_u32_e32 v16, 32, v16
	v_lshrrev_b32_e32 v14, 27, v13
	v_subrev_u32_e32 v17, 28, v16
	v_and_b32_e32 v12, 0x80000000, v13
	v_and_b32_e32 v14, 15, v14
	v_bfe_u32 v15, v13, 27, 4
	v_lshlrev_b32_sdwa v13, v17, v13 dst_sel:DWORD dst_unused:UNUSED_PAD src0_sel:DWORD src1_sel:BYTE_3
	v_sub_u32_e32 v16, 29, v16
	v_and_b32_e32 v13, 7, v13
	v_cmp_eq_u16_e32 vcc, 0, v14
	v_cndmask_b32_e32 v11, v11, v13, vcc
	v_cndmask_b32_e32 v13, v15, v16, vcc
	v_mov_b32_e32 v14, 0x3b800000
	v_lshlrev_b32_e32 v11, 20, v11
	v_lshl_add_u32 v13, v13, 23, v14
	v_or3_b32 v11, v12, v13, v11
.LBB15_1152:
	s_or_b64 exec, exec, s[6:7]
	s_nop 0
	v_mfma_f32_16x16x4f32 a[0:3], v10, v11, a[0:3]
	s_movk_i32 s4, 0x7f
	v_cmp_gt_i16_sdwa s[6:7], v6, s4 src0_sel:BYTE_0 src1_sel:DWORD
	s_mov_b64 s[4:5], 0
                                        ; implicit-def: $sgpr10
	s_and_saveexec_b64 s[8:9], s[6:7]
	s_xor_b64 s[6:7], exec, s[8:9]
	s_cbranch_execnz .LBB15_3201
; %bb.1153:
	s_or_saveexec_b64 s[6:7], s[6:7]
	v_mov_b32_e32 v10, s10
	s_xor_b64 exec, exec, s[6:7]
	s_cbranch_execnz .LBB15_3204
.LBB15_1154:
	s_or_b64 exec, exec, s[6:7]
	s_and_saveexec_b64 s[6:7], s[4:5]
	s_cbranch_execz .LBB15_1156
.LBB15_1155:
	v_and_b32_e32 v10, 7, v6
	v_ffbh_u32_e32 v12, v10
	v_min_u32_e32 v12, 32, v12
	v_lshrrev_b16_e32 v11, 3, v6
	v_subrev_u32_e32 v13, 28, v12
	v_and_b32_e32 v11, 15, v11
	v_lshlrev_b32_e32 v13, v13, v6
	v_sub_u32_e32 v12, 29, v12
	v_and_b32_e32 v13, 7, v13
	v_cmp_eq_u16_e32 vcc, 0, v11
	v_cndmask_b32_e32 v10, v10, v13, vcc
	v_cndmask_b32_e32 v11, v11, v12, vcc
	v_lshlrev_b32_e32 v12, 24, v6
	v_mov_b32_e32 v13, 0x3b800000
	v_lshlrev_b32_e32 v10, 20, v10
	v_and_b32_e32 v12, 0x80000000, v12
	v_lshl_add_u32 v11, v11, 23, v13
	v_or3_b32 v10, v12, v11, v10
.LBB15_1156:
	s_or_b64 exec, exec, s[6:7]
	s_movk_i32 s4, 0x7f
	v_cmp_gt_i16_sdwa s[6:7], v2, s4 src0_sel:BYTE_0 src1_sel:DWORD
	s_mov_b64 s[4:5], 0
                                        ; implicit-def: $sgpr10
	s_and_saveexec_b64 s[8:9], s[6:7]
	s_xor_b64 s[6:7], exec, s[8:9]
	s_cbranch_execnz .LBB15_3205
; %bb.1157:
	s_or_saveexec_b64 s[6:7], s[6:7]
	v_mov_b32_e32 v11, s10
	s_xor_b64 exec, exec, s[6:7]
	s_cbranch_execnz .LBB15_3208
.LBB15_1158:
	s_or_b64 exec, exec, s[6:7]
	s_and_saveexec_b64 s[6:7], s[4:5]
	s_cbranch_execz .LBB15_1160
.LBB15_1159:
	v_and_b32_e32 v11, 7, v2
	v_ffbh_u32_e32 v13, v11
	v_min_u32_e32 v13, 32, v13
	v_lshrrev_b16_e32 v12, 3, v2
	v_subrev_u32_e32 v14, 28, v13
	v_and_b32_e32 v12, 15, v12
	v_lshlrev_b32_e32 v14, v14, v2
	v_sub_u32_e32 v13, 29, v13
	v_and_b32_e32 v14, 7, v14
	v_cmp_eq_u16_e32 vcc, 0, v12
	v_cndmask_b32_e32 v11, v11, v14, vcc
	v_cndmask_b32_e32 v12, v12, v13, vcc
	v_lshlrev_b32_e32 v13, 24, v2
	v_mov_b32_e32 v14, 0x3b800000
	v_lshlrev_b32_e32 v11, 20, v11
	v_and_b32_e32 v13, 0x80000000, v13
	v_lshl_add_u32 v12, v12, 23, v14
	v_or3_b32 v11, v13, v12, v11
.LBB15_1160:
	s_or_b64 exec, exec, s[6:7]
	s_nop 0
	v_mfma_f32_16x16x4f32 a[0:3], v10, v11, a[0:3]
	v_lshrrev_b32_e32 v11, 8, v6
	s_movk_i32 s4, 0x7f
	v_cmp_gt_i16_sdwa s[6:7], v11, s4 src0_sel:BYTE_0 src1_sel:DWORD
	s_mov_b64 s[4:5], 0
                                        ; implicit-def: $sgpr10
	s_and_saveexec_b64 s[8:9], s[6:7]
	s_xor_b64 s[6:7], exec, s[8:9]
	s_cbranch_execnz .LBB15_3209
; %bb.1161:
	s_or_saveexec_b64 s[6:7], s[6:7]
	v_mov_b32_e32 v10, s10
	s_xor_b64 exec, exec, s[6:7]
	s_cbranch_execnz .LBB15_3212
.LBB15_1162:
	s_or_b64 exec, exec, s[6:7]
	s_and_saveexec_b64 s[6:7], s[4:5]
	s_cbranch_execz .LBB15_1164
.LBB15_1163:
	v_bfe_u32 v10, v6, 8, 3
	v_ffbh_u32_e32 v13, v10
	v_min_u32_e32 v13, 32, v13
	v_lshrrev_b16_e32 v12, 3, v11
	v_subrev_u32_e32 v14, 28, v13
	v_and_b32_e32 v12, 15, v12
	v_lshlrev_b32_e32 v11, v14, v11
	v_sub_u32_e32 v13, 29, v13
	v_and_b32_e32 v11, 7, v11
	v_cmp_eq_u16_e32 vcc, 0, v12
	v_cndmask_b32_e32 v10, v10, v11, vcc
	v_cndmask_b32_e32 v11, v12, v13, vcc
	v_lshlrev_b32_e32 v12, 16, v6
	v_mov_b32_e32 v13, 0x3b800000
	v_lshlrev_b32_e32 v10, 20, v10
	v_and_b32_e32 v12, 0x80000000, v12
	v_lshl_add_u32 v11, v11, 23, v13
	v_or3_b32 v10, v12, v11, v10
.LBB15_1164:
	s_or_b64 exec, exec, s[6:7]
	v_lshrrev_b32_e32 v11, 8, v2
	s_movk_i32 s4, 0x7f
	v_cmp_gt_i16_sdwa s[6:7], v11, s4 src0_sel:BYTE_0 src1_sel:DWORD
	s_mov_b64 s[4:5], 0
                                        ; implicit-def: $sgpr10
	s_and_saveexec_b64 s[8:9], s[6:7]
	s_xor_b64 s[6:7], exec, s[8:9]
	s_cbranch_execnz .LBB15_3213
; %bb.1165:
	s_or_saveexec_b64 s[6:7], s[6:7]
	v_mov_b32_e32 v12, s10
	s_xor_b64 exec, exec, s[6:7]
	s_cbranch_execnz .LBB15_3216
.LBB15_1166:
	s_or_b64 exec, exec, s[6:7]
	s_and_saveexec_b64 s[6:7], s[4:5]
	s_cbranch_execz .LBB15_1168
.LBB15_1167:
	v_bfe_u32 v12, v2, 8, 3
	v_ffbh_u32_e32 v14, v12
	v_min_u32_e32 v14, 32, v14
	v_lshrrev_b16_e32 v13, 3, v11
	v_subrev_u32_e32 v15, 28, v14
	v_and_b32_e32 v13, 15, v13
	v_lshlrev_b32_e32 v11, v15, v11
	v_sub_u32_e32 v14, 29, v14
	v_and_b32_e32 v11, 7, v11
	v_cmp_eq_u16_e32 vcc, 0, v13
	v_cndmask_b32_e32 v11, v12, v11, vcc
	v_cndmask_b32_e32 v12, v13, v14, vcc
	v_lshlrev_b32_e32 v13, 16, v2
	v_mov_b32_e32 v14, 0x3b800000
	v_lshlrev_b32_e32 v11, 20, v11
	v_and_b32_e32 v13, 0x80000000, v13
	v_lshl_add_u32 v12, v12, 23, v14
	v_or3_b32 v12, v13, v12, v11
.LBB15_1168:
	s_or_b64 exec, exec, s[6:7]
	s_nop 0
	v_mfma_f32_16x16x4f32 a[0:3], v10, v12, a[0:3]
	s_movk_i32 s4, 0xff
	v_and_b32_sdwa v11, v6, s4 dst_sel:DWORD dst_unused:UNUSED_PAD src0_sel:WORD_1 src1_sel:DWORD
	s_movk_i32 s4, 0x7f
	v_cmp_lt_i16_e32 vcc, s4, v11
	s_mov_b64 s[4:5], 0
                                        ; implicit-def: $sgpr10
	s_and_saveexec_b64 s[6:7], vcc
	s_xor_b64 s[6:7], exec, s[6:7]
	s_cbranch_execnz .LBB15_3217
; %bb.1169:
	s_or_saveexec_b64 s[6:7], s[6:7]
	v_mov_b32_e32 v10, s10
	s_xor_b64 exec, exec, s[6:7]
	s_cbranch_execnz .LBB15_3220
.LBB15_1170:
	s_or_b64 exec, exec, s[6:7]
	s_and_saveexec_b64 s[6:7], s[4:5]
	s_cbranch_execz .LBB15_1172
.LBB15_1171:
	v_bfe_u32 v10, v6, 16, 3
	v_ffbh_u32_e32 v13, v10
	v_min_u32_e32 v13, 32, v13
	v_lshrrev_b32_e32 v11, 19, v6
	v_subrev_u32_e32 v14, 28, v13
	v_and_b32_e32 v11, 15, v11
	v_lshlrev_b32_sdwa v14, v14, v6 dst_sel:DWORD dst_unused:UNUSED_PAD src0_sel:DWORD src1_sel:WORD_1
	v_bfe_u32 v12, v6, 19, 4
	v_sub_u32_e32 v13, 29, v13
	v_and_b32_e32 v14, 7, v14
	v_cmp_eq_u16_e32 vcc, 0, v11
	v_cndmask_b32_e32 v10, v10, v14, vcc
	v_cndmask_b32_e32 v11, v12, v13, vcc
	v_lshlrev_b32_e32 v12, 8, v6
	v_mov_b32_e32 v13, 0x3b800000
	v_lshlrev_b32_e32 v10, 20, v10
	v_and_b32_e32 v12, 0x80000000, v12
	v_lshl_add_u32 v11, v11, 23, v13
	v_or3_b32 v10, v12, v11, v10
.LBB15_1172:
	s_or_b64 exec, exec, s[6:7]
	s_movk_i32 s4, 0xff
	v_and_b32_sdwa v11, v2, s4 dst_sel:DWORD dst_unused:UNUSED_PAD src0_sel:WORD_1 src1_sel:DWORD
	s_movk_i32 s4, 0x7f
	v_cmp_lt_i16_e32 vcc, s4, v11
	s_mov_b64 s[4:5], 0
                                        ; implicit-def: $sgpr10
	s_and_saveexec_b64 s[6:7], vcc
	s_xor_b64 s[6:7], exec, s[6:7]
	s_cbranch_execnz .LBB15_3221
; %bb.1173:
	s_or_saveexec_b64 s[6:7], s[6:7]
	v_mov_b32_e32 v12, s10
	s_xor_b64 exec, exec, s[6:7]
	s_cbranch_execnz .LBB15_3224
.LBB15_1174:
	s_or_b64 exec, exec, s[6:7]
	s_and_saveexec_b64 s[6:7], s[4:5]
	s_cbranch_execz .LBB15_1176
.LBB15_1175:
	v_bfe_u32 v11, v2, 16, 3
	v_ffbh_u32_e32 v14, v11
	v_min_u32_e32 v14, 32, v14
	v_lshrrev_b32_e32 v12, 19, v2
	v_subrev_u32_e32 v15, 28, v14
	v_and_b32_e32 v12, 15, v12
	v_lshlrev_b32_sdwa v15, v15, v2 dst_sel:DWORD dst_unused:UNUSED_PAD src0_sel:DWORD src1_sel:WORD_1
	v_bfe_u32 v13, v2, 19, 4
	v_sub_u32_e32 v14, 29, v14
	v_and_b32_e32 v15, 7, v15
	v_cmp_eq_u16_e32 vcc, 0, v12
	v_cndmask_b32_e32 v11, v11, v15, vcc
	v_cndmask_b32_e32 v12, v13, v14, vcc
	v_lshlrev_b32_e32 v13, 8, v2
	v_mov_b32_e32 v14, 0x3b800000
	v_lshlrev_b32_e32 v11, 20, v11
	v_and_b32_e32 v13, 0x80000000, v13
	v_lshl_add_u32 v12, v12, 23, v14
	v_or3_b32 v12, v13, v12, v11
.LBB15_1176:
	s_or_b64 exec, exec, s[6:7]
	s_nop 0
	v_mfma_f32_16x16x4f32 a[0:3], v10, v12, a[0:3]
	s_movk_i32 s4, 0x7f
	v_cmp_gt_i16_sdwa s[6:7], v6, s4 src0_sel:BYTE_3 src1_sel:DWORD
	s_mov_b64 s[4:5], 0
                                        ; implicit-def: $sgpr10
	s_and_saveexec_b64 s[8:9], s[6:7]
	s_xor_b64 s[6:7], exec, s[8:9]
	s_cbranch_execnz .LBB15_3225
; %bb.1177:
	s_or_saveexec_b64 s[6:7], s[6:7]
	v_mov_b32_e32 v10, s10
	s_xor_b64 exec, exec, s[6:7]
	s_cbranch_execnz .LBB15_3228
.LBB15_1178:
	s_or_b64 exec, exec, s[6:7]
	s_and_saveexec_b64 s[6:7], s[4:5]
	s_cbranch_execz .LBB15_1180
.LBB15_1179:
	v_bfe_u32 v10, v6, 24, 3
	v_ffbh_u32_e32 v14, v10
	v_min_u32_e32 v14, 32, v14
	v_lshrrev_b32_e32 v12, 27, v6
	v_subrev_u32_e32 v15, 28, v14
	v_and_b32_e32 v11, 0x80000000, v6
	v_and_b32_e32 v12, 15, v12
	v_bfe_u32 v13, v6, 27, 4
	v_lshlrev_b32_sdwa v6, v15, v6 dst_sel:DWORD dst_unused:UNUSED_PAD src0_sel:DWORD src1_sel:BYTE_3
	v_sub_u32_e32 v14, 29, v14
	v_and_b32_e32 v6, 7, v6
	v_cmp_eq_u16_e32 vcc, 0, v12
	v_cndmask_b32_e32 v6, v10, v6, vcc
	v_cndmask_b32_e32 v10, v13, v14, vcc
	v_mov_b32_e32 v12, 0x3b800000
	v_lshlrev_b32_e32 v6, 20, v6
	v_lshl_add_u32 v10, v10, 23, v12
	v_or3_b32 v10, v11, v10, v6
.LBB15_1180:
	s_or_b64 exec, exec, s[6:7]
	s_movk_i32 s4, 0x7f
	v_cmp_gt_i16_sdwa s[6:7], v2, s4 src0_sel:BYTE_3 src1_sel:DWORD
	s_mov_b64 s[4:5], 0
                                        ; implicit-def: $sgpr10
	s_and_saveexec_b64 s[8:9], s[6:7]
	s_xor_b64 s[6:7], exec, s[8:9]
	s_cbranch_execnz .LBB15_3229
; %bb.1181:
	s_or_saveexec_b64 s[6:7], s[6:7]
	v_mov_b32_e32 v6, s10
	s_xor_b64 exec, exec, s[6:7]
	s_cbranch_execnz .LBB15_3232
.LBB15_1182:
	s_or_b64 exec, exec, s[6:7]
	s_and_saveexec_b64 s[6:7], s[4:5]
	s_cbranch_execz .LBB15_1184
.LBB15_1183:
	v_bfe_u32 v6, v2, 24, 3
	v_ffbh_u32_e32 v14, v6
	v_min_u32_e32 v14, 32, v14
	v_lshrrev_b32_e32 v12, 27, v2
	v_subrev_u32_e32 v15, 28, v14
	v_and_b32_e32 v11, 0x80000000, v2
	v_and_b32_e32 v12, 15, v12
	v_bfe_u32 v13, v2, 27, 4
	v_lshlrev_b32_sdwa v2, v15, v2 dst_sel:DWORD dst_unused:UNUSED_PAD src0_sel:DWORD src1_sel:BYTE_3
	v_sub_u32_e32 v14, 29, v14
	v_and_b32_e32 v2, 7, v2
	v_cmp_eq_u16_e32 vcc, 0, v12
	v_cndmask_b32_e32 v2, v6, v2, vcc
	v_cndmask_b32_e32 v6, v13, v14, vcc
	v_mov_b32_e32 v12, 0x3b800000
	v_lshlrev_b32_e32 v2, 20, v2
	v_lshl_add_u32 v6, v6, 23, v12
	v_or3_b32 v6, v11, v6, v2
.LBB15_1184:
	s_or_b64 exec, exec, s[6:7]
	s_nop 0
	v_mfma_f32_16x16x4f32 a[0:3], v10, v6, a[0:3]
	s_movk_i32 s4, 0x7f
	v_cmp_gt_i16_sdwa s[6:7], v7, s4 src0_sel:BYTE_0 src1_sel:DWORD
	s_mov_b64 s[4:5], 0
                                        ; implicit-def: $sgpr10
	s_and_saveexec_b64 s[8:9], s[6:7]
	s_xor_b64 s[6:7], exec, s[8:9]
	s_cbranch_execnz .LBB15_3233
; %bb.1185:
	s_or_saveexec_b64 s[6:7], s[6:7]
	v_mov_b32_e32 v2, s10
	s_xor_b64 exec, exec, s[6:7]
	s_cbranch_execnz .LBB15_3236
.LBB15_1186:
	s_or_b64 exec, exec, s[6:7]
	s_and_saveexec_b64 s[6:7], s[4:5]
	s_cbranch_execz .LBB15_1188
.LBB15_1187:
	v_and_b32_e32 v2, 7, v7
	v_ffbh_u32_e32 v10, v2
	v_min_u32_e32 v10, 32, v10
	v_lshrrev_b16_e32 v6, 3, v7
	v_subrev_u32_e32 v11, 28, v10
	v_and_b32_e32 v6, 15, v6
	v_lshlrev_b32_e32 v11, v11, v7
	v_sub_u32_e32 v10, 29, v10
	v_and_b32_e32 v11, 7, v11
	v_cmp_eq_u16_e32 vcc, 0, v6
	v_cndmask_b32_e32 v2, v2, v11, vcc
	v_cndmask_b32_e32 v6, v6, v10, vcc
	v_lshlrev_b32_e32 v10, 24, v7
	v_mov_b32_e32 v11, 0x3b800000
	v_lshlrev_b32_e32 v2, 20, v2
	v_and_b32_e32 v10, 0x80000000, v10
	v_lshl_add_u32 v6, v6, 23, v11
	v_or3_b32 v2, v10, v6, v2
.LBB15_1188:
	s_or_b64 exec, exec, s[6:7]
	s_movk_i32 s4, 0x7f
	v_cmp_gt_i16_sdwa s[6:7], v3, s4 src0_sel:BYTE_0 src1_sel:DWORD
	s_mov_b64 s[4:5], 0
                                        ; implicit-def: $sgpr10
	s_and_saveexec_b64 s[8:9], s[6:7]
	s_xor_b64 s[6:7], exec, s[8:9]
	s_cbranch_execnz .LBB15_3237
; %bb.1189:
	s_or_saveexec_b64 s[6:7], s[6:7]
	v_mov_b32_e32 v6, s10
	s_xor_b64 exec, exec, s[6:7]
	s_cbranch_execnz .LBB15_3240
.LBB15_1190:
	s_or_b64 exec, exec, s[6:7]
	s_and_saveexec_b64 s[6:7], s[4:5]
	s_cbranch_execz .LBB15_1192
.LBB15_1191:
	v_and_b32_e32 v6, 7, v3
	v_ffbh_u32_e32 v11, v6
	v_min_u32_e32 v11, 32, v11
	v_lshrrev_b16_e32 v10, 3, v3
	v_subrev_u32_e32 v12, 28, v11
	v_and_b32_e32 v10, 15, v10
	v_lshlrev_b32_e32 v12, v12, v3
	v_sub_u32_e32 v11, 29, v11
	v_and_b32_e32 v12, 7, v12
	v_cmp_eq_u16_e32 vcc, 0, v10
	v_cndmask_b32_e32 v6, v6, v12, vcc
	v_cndmask_b32_e32 v10, v10, v11, vcc
	v_lshlrev_b32_e32 v11, 24, v3
	v_mov_b32_e32 v12, 0x3b800000
	v_lshlrev_b32_e32 v6, 20, v6
	v_and_b32_e32 v11, 0x80000000, v11
	v_lshl_add_u32 v10, v10, 23, v12
	v_or3_b32 v6, v11, v10, v6
.LBB15_1192:
	s_or_b64 exec, exec, s[6:7]
	s_nop 0
	v_mfma_f32_16x16x4f32 a[0:3], v2, v6, a[0:3]
	v_lshrrev_b32_e32 v6, 8, v7
	s_movk_i32 s4, 0x7f
	v_cmp_gt_i16_sdwa s[6:7], v6, s4 src0_sel:BYTE_0 src1_sel:DWORD
	s_mov_b64 s[4:5], 0
                                        ; implicit-def: $sgpr10
	s_and_saveexec_b64 s[8:9], s[6:7]
	s_xor_b64 s[6:7], exec, s[8:9]
	s_cbranch_execnz .LBB15_3241
; %bb.1193:
	s_or_saveexec_b64 s[6:7], s[6:7]
	v_mov_b32_e32 v2, s10
	s_xor_b64 exec, exec, s[6:7]
	s_cbranch_execnz .LBB15_3244
.LBB15_1194:
	s_or_b64 exec, exec, s[6:7]
	s_and_saveexec_b64 s[6:7], s[4:5]
	s_cbranch_execz .LBB15_1196
.LBB15_1195:
	v_bfe_u32 v2, v7, 8, 3
	v_ffbh_u32_e32 v11, v2
	v_min_u32_e32 v11, 32, v11
	v_lshrrev_b16_e32 v10, 3, v6
	v_subrev_u32_e32 v12, 28, v11
	v_and_b32_e32 v10, 15, v10
	v_lshlrev_b32_e32 v6, v12, v6
	v_sub_u32_e32 v11, 29, v11
	v_and_b32_e32 v6, 7, v6
	v_cmp_eq_u16_e32 vcc, 0, v10
	v_cndmask_b32_e32 v2, v2, v6, vcc
	v_cndmask_b32_e32 v6, v10, v11, vcc
	v_lshlrev_b32_e32 v10, 16, v7
	v_mov_b32_e32 v11, 0x3b800000
	v_lshlrev_b32_e32 v2, 20, v2
	v_and_b32_e32 v10, 0x80000000, v10
	v_lshl_add_u32 v6, v6, 23, v11
	v_or3_b32 v2, v10, v6, v2
.LBB15_1196:
	s_or_b64 exec, exec, s[6:7]
	v_lshrrev_b32_e32 v6, 8, v3
	s_movk_i32 s4, 0x7f
	v_cmp_gt_i16_sdwa s[6:7], v6, s4 src0_sel:BYTE_0 src1_sel:DWORD
	s_mov_b64 s[4:5], 0
                                        ; implicit-def: $sgpr10
	s_and_saveexec_b64 s[8:9], s[6:7]
	s_xor_b64 s[6:7], exec, s[8:9]
	s_cbranch_execnz .LBB15_3245
; %bb.1197:
	s_or_saveexec_b64 s[6:7], s[6:7]
	v_mov_b32_e32 v10, s10
	s_xor_b64 exec, exec, s[6:7]
	s_cbranch_execnz .LBB15_3248
.LBB15_1198:
	s_or_b64 exec, exec, s[6:7]
	s_and_saveexec_b64 s[6:7], s[4:5]
	s_cbranch_execz .LBB15_1200
.LBB15_1199:
	v_bfe_u32 v10, v3, 8, 3
	v_ffbh_u32_e32 v12, v10
	v_min_u32_e32 v12, 32, v12
	v_lshrrev_b16_e32 v11, 3, v6
	v_subrev_u32_e32 v13, 28, v12
	v_and_b32_e32 v11, 15, v11
	v_lshlrev_b32_e32 v6, v13, v6
	v_sub_u32_e32 v12, 29, v12
	v_and_b32_e32 v6, 7, v6
	v_cmp_eq_u16_e32 vcc, 0, v11
	v_cndmask_b32_e32 v6, v10, v6, vcc
	v_cndmask_b32_e32 v10, v11, v12, vcc
	v_lshlrev_b32_e32 v11, 16, v3
	v_mov_b32_e32 v12, 0x3b800000
	v_lshlrev_b32_e32 v6, 20, v6
	v_and_b32_e32 v11, 0x80000000, v11
	v_lshl_add_u32 v10, v10, 23, v12
	v_or3_b32 v10, v11, v10, v6
.LBB15_1200:
	s_or_b64 exec, exec, s[6:7]
	s_nop 0
	v_mfma_f32_16x16x4f32 a[0:3], v2, v10, a[0:3]
	s_movk_i32 s4, 0xff
	v_and_b32_sdwa v6, v7, s4 dst_sel:DWORD dst_unused:UNUSED_PAD src0_sel:WORD_1 src1_sel:DWORD
	s_movk_i32 s4, 0x7f
	v_cmp_lt_i16_e32 vcc, s4, v6
	s_mov_b64 s[4:5], 0
                                        ; implicit-def: $sgpr10
	s_and_saveexec_b64 s[6:7], vcc
	s_xor_b64 s[6:7], exec, s[6:7]
	s_cbranch_execnz .LBB15_3249
; %bb.1201:
	s_or_saveexec_b64 s[6:7], s[6:7]
	v_mov_b32_e32 v2, s10
	s_xor_b64 exec, exec, s[6:7]
	s_cbranch_execnz .LBB15_3252
.LBB15_1202:
	s_or_b64 exec, exec, s[6:7]
	s_and_saveexec_b64 s[6:7], s[4:5]
	s_cbranch_execz .LBB15_1204
.LBB15_1203:
	v_bfe_u32 v2, v7, 16, 3
	v_ffbh_u32_e32 v11, v2
	v_min_u32_e32 v11, 32, v11
	v_lshrrev_b32_e32 v6, 19, v7
	v_subrev_u32_e32 v12, 28, v11
	v_and_b32_e32 v6, 15, v6
	v_lshlrev_b32_sdwa v12, v12, v7 dst_sel:DWORD dst_unused:UNUSED_PAD src0_sel:DWORD src1_sel:WORD_1
	v_bfe_u32 v10, v7, 19, 4
	v_sub_u32_e32 v11, 29, v11
	v_and_b32_e32 v12, 7, v12
	v_cmp_eq_u16_e32 vcc, 0, v6
	v_cndmask_b32_e32 v2, v2, v12, vcc
	v_cndmask_b32_e32 v6, v10, v11, vcc
	v_lshlrev_b32_e32 v10, 8, v7
	v_mov_b32_e32 v11, 0x3b800000
	v_lshlrev_b32_e32 v2, 20, v2
	v_and_b32_e32 v10, 0x80000000, v10
	v_lshl_add_u32 v6, v6, 23, v11
	v_or3_b32 v2, v10, v6, v2
.LBB15_1204:
	s_or_b64 exec, exec, s[6:7]
	s_movk_i32 s4, 0xff
	v_and_b32_sdwa v6, v3, s4 dst_sel:DWORD dst_unused:UNUSED_PAD src0_sel:WORD_1 src1_sel:DWORD
	s_movk_i32 s4, 0x7f
	v_cmp_lt_i16_e32 vcc, s4, v6
	s_mov_b64 s[4:5], 0
                                        ; implicit-def: $sgpr10
	s_and_saveexec_b64 s[6:7], vcc
	s_xor_b64 s[6:7], exec, s[6:7]
	s_cbranch_execnz .LBB15_3253
; %bb.1205:
	s_or_saveexec_b64 s[6:7], s[6:7]
	v_mov_b32_e32 v10, s10
	s_xor_b64 exec, exec, s[6:7]
	s_cbranch_execnz .LBB15_3256
.LBB15_1206:
	s_or_b64 exec, exec, s[6:7]
	s_and_saveexec_b64 s[6:7], s[4:5]
	s_cbranch_execz .LBB15_1208
.LBB15_1207:
	v_bfe_u32 v6, v3, 16, 3
	v_ffbh_u32_e32 v12, v6
	v_min_u32_e32 v12, 32, v12
	v_lshrrev_b32_e32 v10, 19, v3
	v_subrev_u32_e32 v13, 28, v12
	v_and_b32_e32 v10, 15, v10
	v_lshlrev_b32_sdwa v13, v13, v3 dst_sel:DWORD dst_unused:UNUSED_PAD src0_sel:DWORD src1_sel:WORD_1
	v_bfe_u32 v11, v3, 19, 4
	v_sub_u32_e32 v12, 29, v12
	v_and_b32_e32 v13, 7, v13
	v_cmp_eq_u16_e32 vcc, 0, v10
	v_cndmask_b32_e32 v6, v6, v13, vcc
	v_cndmask_b32_e32 v10, v11, v12, vcc
	v_lshlrev_b32_e32 v11, 8, v3
	v_mov_b32_e32 v12, 0x3b800000
	v_lshlrev_b32_e32 v6, 20, v6
	v_and_b32_e32 v11, 0x80000000, v11
	v_lshl_add_u32 v10, v10, 23, v12
	v_or3_b32 v10, v11, v10, v6
.LBB15_1208:
	s_or_b64 exec, exec, s[6:7]
	s_nop 0
	v_mfma_f32_16x16x4f32 a[0:3], v2, v10, a[0:3]
	s_movk_i32 s4, 0x7f
	v_cmp_gt_i16_sdwa s[6:7], v7, s4 src0_sel:BYTE_3 src1_sel:DWORD
	s_mov_b64 s[4:5], 0
                                        ; implicit-def: $sgpr10
	s_and_saveexec_b64 s[8:9], s[6:7]
	s_xor_b64 s[6:7], exec, s[8:9]
	s_cbranch_execnz .LBB15_3257
; %bb.1209:
	s_or_saveexec_b64 s[6:7], s[6:7]
	v_mov_b32_e32 v2, s10
	s_xor_b64 exec, exec, s[6:7]
	s_cbranch_execnz .LBB15_3260
.LBB15_1210:
	s_or_b64 exec, exec, s[6:7]
	s_and_saveexec_b64 s[6:7], s[4:5]
	s_cbranch_execz .LBB15_1212
.LBB15_1211:
	v_bfe_u32 v2, v7, 24, 3
	v_ffbh_u32_e32 v12, v2
	v_min_u32_e32 v12, 32, v12
	v_lshrrev_b32_e32 v10, 27, v7
	v_subrev_u32_e32 v13, 28, v12
	v_and_b32_e32 v6, 0x80000000, v7
	v_and_b32_e32 v10, 15, v10
	v_bfe_u32 v11, v7, 27, 4
	v_lshlrev_b32_sdwa v7, v13, v7 dst_sel:DWORD dst_unused:UNUSED_PAD src0_sel:DWORD src1_sel:BYTE_3
	v_sub_u32_e32 v12, 29, v12
	v_and_b32_e32 v7, 7, v7
	v_cmp_eq_u16_e32 vcc, 0, v10
	v_cndmask_b32_e32 v2, v2, v7, vcc
	v_cndmask_b32_e32 v7, v11, v12, vcc
	v_mov_b32_e32 v10, 0x3b800000
	v_lshlrev_b32_e32 v2, 20, v2
	v_lshl_add_u32 v7, v7, 23, v10
	v_or3_b32 v2, v6, v7, v2
.LBB15_1212:
	s_or_b64 exec, exec, s[6:7]
	s_movk_i32 s4, 0x7f
	v_cmp_gt_i16_sdwa s[6:7], v3, s4 src0_sel:BYTE_3 src1_sel:DWORD
	s_mov_b64 s[4:5], 0
                                        ; implicit-def: $sgpr10
	s_and_saveexec_b64 s[8:9], s[6:7]
	s_xor_b64 s[6:7], exec, s[8:9]
	s_cbranch_execnz .LBB15_3261
; %bb.1213:
	s_or_saveexec_b64 s[6:7], s[6:7]
	v_mov_b32_e32 v6, s10
	s_xor_b64 exec, exec, s[6:7]
	s_cbranch_execnz .LBB15_3264
.LBB15_1214:
	s_or_b64 exec, exec, s[6:7]
	s_and_saveexec_b64 s[6:7], s[4:5]
	s_cbranch_execz .LBB15_1216
.LBB15_1215:
	v_bfe_u32 v6, v3, 24, 3
	v_ffbh_u32_e32 v12, v6
	v_min_u32_e32 v12, 32, v12
	v_lshrrev_b32_e32 v10, 27, v3
	v_subrev_u32_e32 v13, 28, v12
	v_and_b32_e32 v7, 0x80000000, v3
	v_and_b32_e32 v10, 15, v10
	v_bfe_u32 v11, v3, 27, 4
	v_lshlrev_b32_sdwa v3, v13, v3 dst_sel:DWORD dst_unused:UNUSED_PAD src0_sel:DWORD src1_sel:BYTE_3
	v_sub_u32_e32 v12, 29, v12
	v_and_b32_e32 v3, 7, v3
	v_cmp_eq_u16_e32 vcc, 0, v10
	v_cndmask_b32_e32 v3, v6, v3, vcc
	v_cndmask_b32_e32 v6, v11, v12, vcc
	v_mov_b32_e32 v10, 0x3b800000
	v_lshlrev_b32_e32 v3, 20, v3
	v_lshl_add_u32 v6, v6, 23, v10
	v_or3_b32 v6, v7, v6, v3
.LBB15_1216:
	s_or_b64 exec, exec, s[6:7]
	s_nop 0
	v_mfma_f32_16x16x4f32 a[0:3], v2, v6, a[0:3]
	s_movk_i32 s4, 0x7f
	v_cmp_gt_i16_sdwa s[6:7], v8, s4 src0_sel:BYTE_0 src1_sel:DWORD
	s_mov_b64 s[4:5], 0
                                        ; implicit-def: $sgpr10
	s_and_saveexec_b64 s[8:9], s[6:7]
	s_xor_b64 s[6:7], exec, s[8:9]
	s_cbranch_execnz .LBB15_3265
; %bb.1217:
	s_or_saveexec_b64 s[6:7], s[6:7]
	v_mov_b32_e32 v2, s10
	s_xor_b64 exec, exec, s[6:7]
	s_cbranch_execnz .LBB15_3268
.LBB15_1218:
	s_or_b64 exec, exec, s[6:7]
	s_and_saveexec_b64 s[6:7], s[4:5]
	s_cbranch_execz .LBB15_1220
.LBB15_1219:
	v_and_b32_e32 v2, 7, v8
	v_ffbh_u32_e32 v6, v2
	v_min_u32_e32 v6, 32, v6
	v_lshrrev_b16_e32 v3, 3, v8
	v_subrev_u32_e32 v7, 28, v6
	v_and_b32_e32 v3, 15, v3
	v_lshlrev_b32_e32 v7, v7, v8
	v_sub_u32_e32 v6, 29, v6
	v_and_b32_e32 v7, 7, v7
	v_cmp_eq_u16_e32 vcc, 0, v3
	v_cndmask_b32_e32 v2, v2, v7, vcc
	v_cndmask_b32_e32 v3, v3, v6, vcc
	v_lshlrev_b32_e32 v6, 24, v8
	v_mov_b32_e32 v7, 0x3b800000
	v_lshlrev_b32_e32 v2, 20, v2
	v_and_b32_e32 v6, 0x80000000, v6
	v_lshl_add_u32 v3, v3, 23, v7
	v_or3_b32 v2, v6, v3, v2
.LBB15_1220:
	s_or_b64 exec, exec, s[6:7]
	s_movk_i32 s4, 0x7f
	v_cmp_gt_i16_sdwa s[6:7], v4, s4 src0_sel:BYTE_0 src1_sel:DWORD
	s_mov_b64 s[4:5], 0
                                        ; implicit-def: $sgpr10
	s_and_saveexec_b64 s[8:9], s[6:7]
	s_xor_b64 s[6:7], exec, s[8:9]
	s_cbranch_execnz .LBB15_3269
; %bb.1221:
	s_or_saveexec_b64 s[6:7], s[6:7]
	v_mov_b32_e32 v3, s10
	s_xor_b64 exec, exec, s[6:7]
	s_cbranch_execnz .LBB15_3272
.LBB15_1222:
	s_or_b64 exec, exec, s[6:7]
	s_and_saveexec_b64 s[6:7], s[4:5]
	s_cbranch_execz .LBB15_1224
.LBB15_1223:
	v_and_b32_e32 v3, 7, v4
	v_ffbh_u32_e32 v7, v3
	v_min_u32_e32 v7, 32, v7
	v_lshrrev_b16_e32 v6, 3, v4
	v_subrev_u32_e32 v10, 28, v7
	v_and_b32_e32 v6, 15, v6
	v_lshlrev_b32_e32 v10, v10, v4
	v_sub_u32_e32 v7, 29, v7
	v_and_b32_e32 v10, 7, v10
	v_cmp_eq_u16_e32 vcc, 0, v6
	v_cndmask_b32_e32 v3, v3, v10, vcc
	v_cndmask_b32_e32 v6, v6, v7, vcc
	v_lshlrev_b32_e32 v7, 24, v4
	v_mov_b32_e32 v10, 0x3b800000
	v_lshlrev_b32_e32 v3, 20, v3
	v_and_b32_e32 v7, 0x80000000, v7
	v_lshl_add_u32 v6, v6, 23, v10
	v_or3_b32 v3, v7, v6, v3
.LBB15_1224:
	s_or_b64 exec, exec, s[6:7]
	s_nop 0
	v_mfma_f32_16x16x4f32 a[0:3], v2, v3, a[0:3]
	v_lshrrev_b32_e32 v3, 8, v8
	s_movk_i32 s4, 0x7f
	v_cmp_gt_i16_sdwa s[6:7], v3, s4 src0_sel:BYTE_0 src1_sel:DWORD
	s_mov_b64 s[4:5], 0
                                        ; implicit-def: $sgpr10
	s_and_saveexec_b64 s[8:9], s[6:7]
	s_xor_b64 s[6:7], exec, s[8:9]
	s_cbranch_execnz .LBB15_3273
; %bb.1225:
	s_or_saveexec_b64 s[6:7], s[6:7]
	v_mov_b32_e32 v2, s10
	s_xor_b64 exec, exec, s[6:7]
	s_cbranch_execnz .LBB15_3276
.LBB15_1226:
	s_or_b64 exec, exec, s[6:7]
	s_and_saveexec_b64 s[6:7], s[4:5]
	s_cbranch_execz .LBB15_1228
.LBB15_1227:
	v_bfe_u32 v2, v8, 8, 3
	v_ffbh_u32_e32 v7, v2
	v_min_u32_e32 v7, 32, v7
	v_lshrrev_b16_e32 v6, 3, v3
	v_subrev_u32_e32 v10, 28, v7
	v_and_b32_e32 v6, 15, v6
	v_lshlrev_b32_e32 v3, v10, v3
	v_sub_u32_e32 v7, 29, v7
	v_and_b32_e32 v3, 7, v3
	v_cmp_eq_u16_e32 vcc, 0, v6
	v_cndmask_b32_e32 v2, v2, v3, vcc
	v_cndmask_b32_e32 v3, v6, v7, vcc
	v_lshlrev_b32_e32 v6, 16, v8
	v_mov_b32_e32 v7, 0x3b800000
	v_lshlrev_b32_e32 v2, 20, v2
	v_and_b32_e32 v6, 0x80000000, v6
	v_lshl_add_u32 v3, v3, 23, v7
	v_or3_b32 v2, v6, v3, v2
.LBB15_1228:
	s_or_b64 exec, exec, s[6:7]
	v_lshrrev_b32_e32 v3, 8, v4
	s_movk_i32 s4, 0x7f
	v_cmp_gt_i16_sdwa s[6:7], v3, s4 src0_sel:BYTE_0 src1_sel:DWORD
	s_mov_b64 s[4:5], 0
                                        ; implicit-def: $sgpr10
	s_and_saveexec_b64 s[8:9], s[6:7]
	s_xor_b64 s[6:7], exec, s[8:9]
	s_cbranch_execnz .LBB15_3277
; %bb.1229:
	s_or_saveexec_b64 s[6:7], s[6:7]
	v_mov_b32_e32 v6, s10
	s_xor_b64 exec, exec, s[6:7]
	s_cbranch_execnz .LBB15_3280
.LBB15_1230:
	s_or_b64 exec, exec, s[6:7]
	s_and_saveexec_b64 s[6:7], s[4:5]
	s_cbranch_execz .LBB15_1232
.LBB15_1231:
	v_bfe_u32 v6, v4, 8, 3
	v_ffbh_u32_e32 v10, v6
	v_min_u32_e32 v10, 32, v10
	v_lshrrev_b16_e32 v7, 3, v3
	v_subrev_u32_e32 v11, 28, v10
	v_and_b32_e32 v7, 15, v7
	v_lshlrev_b32_e32 v3, v11, v3
	v_sub_u32_e32 v10, 29, v10
	v_and_b32_e32 v3, 7, v3
	v_cmp_eq_u16_e32 vcc, 0, v7
	v_cndmask_b32_e32 v3, v6, v3, vcc
	v_cndmask_b32_e32 v6, v7, v10, vcc
	v_lshlrev_b32_e32 v7, 16, v4
	v_mov_b32_e32 v10, 0x3b800000
	v_lshlrev_b32_e32 v3, 20, v3
	v_and_b32_e32 v7, 0x80000000, v7
	v_lshl_add_u32 v6, v6, 23, v10
	v_or3_b32 v6, v7, v6, v3
.LBB15_1232:
	s_or_b64 exec, exec, s[6:7]
	s_nop 0
	v_mfma_f32_16x16x4f32 a[0:3], v2, v6, a[0:3]
	s_movk_i32 s4, 0xff
	v_and_b32_sdwa v3, v8, s4 dst_sel:DWORD dst_unused:UNUSED_PAD src0_sel:WORD_1 src1_sel:DWORD
	s_movk_i32 s4, 0x7f
	v_cmp_lt_i16_e32 vcc, s4, v3
	s_mov_b64 s[4:5], 0
                                        ; implicit-def: $sgpr10
	s_and_saveexec_b64 s[6:7], vcc
	s_xor_b64 s[6:7], exec, s[6:7]
	s_cbranch_execnz .LBB15_3281
; %bb.1233:
	s_or_saveexec_b64 s[6:7], s[6:7]
	v_mov_b32_e32 v2, s10
	s_xor_b64 exec, exec, s[6:7]
	s_cbranch_execnz .LBB15_3284
.LBB15_1234:
	s_or_b64 exec, exec, s[6:7]
	s_and_saveexec_b64 s[6:7], s[4:5]
	s_cbranch_execz .LBB15_1236
.LBB15_1235:
	v_bfe_u32 v2, v8, 16, 3
	v_ffbh_u32_e32 v7, v2
	v_min_u32_e32 v7, 32, v7
	v_lshrrev_b32_e32 v3, 19, v8
	v_subrev_u32_e32 v10, 28, v7
	v_and_b32_e32 v3, 15, v3
	v_lshlrev_b32_sdwa v10, v10, v8 dst_sel:DWORD dst_unused:UNUSED_PAD src0_sel:DWORD src1_sel:WORD_1
	v_bfe_u32 v6, v8, 19, 4
	v_sub_u32_e32 v7, 29, v7
	v_and_b32_e32 v10, 7, v10
	v_cmp_eq_u16_e32 vcc, 0, v3
	v_cndmask_b32_e32 v2, v2, v10, vcc
	v_cndmask_b32_e32 v3, v6, v7, vcc
	v_lshlrev_b32_e32 v6, 8, v8
	v_mov_b32_e32 v7, 0x3b800000
	v_lshlrev_b32_e32 v2, 20, v2
	v_and_b32_e32 v6, 0x80000000, v6
	v_lshl_add_u32 v3, v3, 23, v7
	v_or3_b32 v2, v6, v3, v2
.LBB15_1236:
	s_or_b64 exec, exec, s[6:7]
	s_movk_i32 s4, 0xff
	v_and_b32_sdwa v3, v4, s4 dst_sel:DWORD dst_unused:UNUSED_PAD src0_sel:WORD_1 src1_sel:DWORD
	s_movk_i32 s4, 0x7f
	v_cmp_lt_i16_e32 vcc, s4, v3
	s_mov_b64 s[4:5], 0
                                        ; implicit-def: $sgpr10
	s_and_saveexec_b64 s[6:7], vcc
	s_xor_b64 s[6:7], exec, s[6:7]
	s_cbranch_execnz .LBB15_3285
; %bb.1237:
	s_or_saveexec_b64 s[6:7], s[6:7]
	v_mov_b32_e32 v6, s10
	s_xor_b64 exec, exec, s[6:7]
	s_cbranch_execnz .LBB15_3288
.LBB15_1238:
	s_or_b64 exec, exec, s[6:7]
	s_and_saveexec_b64 s[6:7], s[4:5]
	s_cbranch_execz .LBB15_1240
.LBB15_1239:
	v_bfe_u32 v3, v4, 16, 3
	v_ffbh_u32_e32 v10, v3
	v_min_u32_e32 v10, 32, v10
	v_lshrrev_b32_e32 v6, 19, v4
	v_subrev_u32_e32 v11, 28, v10
	v_and_b32_e32 v6, 15, v6
	v_lshlrev_b32_sdwa v11, v11, v4 dst_sel:DWORD dst_unused:UNUSED_PAD src0_sel:DWORD src1_sel:WORD_1
	v_bfe_u32 v7, v4, 19, 4
	v_sub_u32_e32 v10, 29, v10
	v_and_b32_e32 v11, 7, v11
	v_cmp_eq_u16_e32 vcc, 0, v6
	v_cndmask_b32_e32 v3, v3, v11, vcc
	v_cndmask_b32_e32 v6, v7, v10, vcc
	v_lshlrev_b32_e32 v7, 8, v4
	v_mov_b32_e32 v10, 0x3b800000
	v_lshlrev_b32_e32 v3, 20, v3
	v_and_b32_e32 v7, 0x80000000, v7
	v_lshl_add_u32 v6, v6, 23, v10
	v_or3_b32 v6, v7, v6, v3
.LBB15_1240:
	s_or_b64 exec, exec, s[6:7]
	s_nop 0
	v_mfma_f32_16x16x4f32 a[0:3], v2, v6, a[0:3]
	s_movk_i32 s4, 0x7f
	v_cmp_gt_i16_sdwa s[6:7], v8, s4 src0_sel:BYTE_3 src1_sel:DWORD
	s_mov_b64 s[4:5], 0
                                        ; implicit-def: $sgpr10
	s_and_saveexec_b64 s[8:9], s[6:7]
	s_xor_b64 s[6:7], exec, s[8:9]
	s_cbranch_execnz .LBB15_3289
; %bb.1241:
	s_or_saveexec_b64 s[6:7], s[6:7]
	v_mov_b32_e32 v2, s10
	s_xor_b64 exec, exec, s[6:7]
	s_cbranch_execnz .LBB15_3292
.LBB15_1242:
	s_or_b64 exec, exec, s[6:7]
	s_and_saveexec_b64 s[6:7], s[4:5]
	s_cbranch_execz .LBB15_1244
.LBB15_1243:
	v_bfe_u32 v2, v8, 24, 3
	v_ffbh_u32_e32 v10, v2
	v_min_u32_e32 v10, 32, v10
	v_lshrrev_b32_e32 v6, 27, v8
	v_subrev_u32_e32 v11, 28, v10
	v_and_b32_e32 v3, 0x80000000, v8
	v_and_b32_e32 v6, 15, v6
	v_bfe_u32 v7, v8, 27, 4
	v_lshlrev_b32_sdwa v8, v11, v8 dst_sel:DWORD dst_unused:UNUSED_PAD src0_sel:DWORD src1_sel:BYTE_3
	v_sub_u32_e32 v10, 29, v10
	v_and_b32_e32 v8, 7, v8
	v_cmp_eq_u16_e32 vcc, 0, v6
	v_cndmask_b32_e32 v2, v2, v8, vcc
	v_cndmask_b32_e32 v6, v7, v10, vcc
	v_mov_b32_e32 v7, 0x3b800000
	v_lshlrev_b32_e32 v2, 20, v2
	v_lshl_add_u32 v6, v6, 23, v7
	v_or3_b32 v2, v3, v6, v2
.LBB15_1244:
	s_or_b64 exec, exec, s[6:7]
	s_movk_i32 s4, 0x7f
	v_cmp_gt_i16_sdwa s[6:7], v4, s4 src0_sel:BYTE_3 src1_sel:DWORD
	s_mov_b64 s[4:5], 0
                                        ; implicit-def: $sgpr10
	s_and_saveexec_b64 s[8:9], s[6:7]
	s_xor_b64 s[6:7], exec, s[8:9]
	s_cbranch_execnz .LBB15_3293
; %bb.1245:
	s_or_saveexec_b64 s[6:7], s[6:7]
	v_mov_b32_e32 v3, s10
	s_xor_b64 exec, exec, s[6:7]
	s_cbranch_execnz .LBB15_3296
.LBB15_1246:
	s_or_b64 exec, exec, s[6:7]
	s_and_saveexec_b64 s[6:7], s[4:5]
	s_cbranch_execz .LBB15_1248
.LBB15_1247:
	v_bfe_u32 v3, v4, 24, 3
	v_ffbh_u32_e32 v10, v3
	v_min_u32_e32 v10, 32, v10
	v_lshrrev_b32_e32 v7, 27, v4
	v_subrev_u32_e32 v11, 28, v10
	v_and_b32_e32 v6, 0x80000000, v4
	v_and_b32_e32 v7, 15, v7
	v_bfe_u32 v8, v4, 27, 4
	v_lshlrev_b32_sdwa v4, v11, v4 dst_sel:DWORD dst_unused:UNUSED_PAD src0_sel:DWORD src1_sel:BYTE_3
	v_sub_u32_e32 v10, 29, v10
	v_and_b32_e32 v4, 7, v4
	v_cmp_eq_u16_e32 vcc, 0, v7
	v_cndmask_b32_e32 v3, v3, v4, vcc
	v_cndmask_b32_e32 v4, v8, v10, vcc
	v_mov_b32_e32 v7, 0x3b800000
	v_lshlrev_b32_e32 v3, 20, v3
	v_lshl_add_u32 v4, v4, 23, v7
	v_or3_b32 v3, v6, v4, v3
.LBB15_1248:
	s_or_b64 exec, exec, s[6:7]
	s_nop 0
	v_mfma_f32_16x16x4f32 a[0:3], v2, v3, a[0:3]
	s_movk_i32 s4, 0x7f
	v_cmp_gt_i16_sdwa s[6:7], v9, s4 src0_sel:BYTE_0 src1_sel:DWORD
	s_mov_b64 s[4:5], 0
                                        ; implicit-def: $sgpr10
	s_and_saveexec_b64 s[8:9], s[6:7]
	s_xor_b64 s[6:7], exec, s[8:9]
	s_cbranch_execnz .LBB15_3297
; %bb.1249:
	s_or_saveexec_b64 s[6:7], s[6:7]
	v_mov_b32_e32 v2, s10
	s_xor_b64 exec, exec, s[6:7]
	s_cbranch_execnz .LBB15_3300
.LBB15_1250:
	s_or_b64 exec, exec, s[6:7]
	s_and_saveexec_b64 s[6:7], s[4:5]
	s_cbranch_execz .LBB15_1252
.LBB15_1251:
	v_mov_b32_e32 v2, 8
	v_and_b32_e32 v3, 7, v9
	v_lshrrev_b32_sdwa v2, v2, v9 dst_sel:BYTE_1 dst_unused:UNUSED_PAD src0_sel:DWORD src1_sel:DWORD
	v_ffbh_u32_e32 v4, v3
	v_or_b32_sdwa v2, v9, v2 dst_sel:DWORD dst_unused:UNUSED_PAD src0_sel:BYTE_0 src1_sel:DWORD
	v_min_u32_e32 v4, 32, v4
	v_lshrrev_b16_e32 v2, 3, v2
	v_subrev_u32_e32 v6, 28, v4
	v_and_b32_e32 v2, 15, v2
	v_lshlrev_b32_e32 v6, v6, v9
	v_sub_u32_e32 v4, 29, v4
	v_and_b32_e32 v6, 7, v6
	v_cmp_eq_u16_e32 vcc, 0, v2
	v_cndmask_b32_e32 v3, v3, v6, vcc
	v_cndmask_b32_e32 v2, v2, v4, vcc
	v_lshlrev_b32_e32 v4, 24, v9
	v_mov_b32_e32 v6, 0x3b800000
	v_lshlrev_b32_e32 v3, 20, v3
	v_and_b32_e32 v4, 0x80000000, v4
	v_lshl_add_u32 v2, v2, 23, v6
	v_or3_b32 v2, v4, v2, v3
.LBB15_1252:
	s_or_b64 exec, exec, s[6:7]
	s_movk_i32 s4, 0x7f
	v_cmp_gt_i16_sdwa s[6:7], v5, s4 src0_sel:BYTE_0 src1_sel:DWORD
	s_mov_b64 s[4:5], 0
                                        ; implicit-def: $sgpr10
	s_and_saveexec_b64 s[8:9], s[6:7]
	s_xor_b64 s[6:7], exec, s[8:9]
	s_cbranch_execnz .LBB15_3301
; %bb.1253:
	s_or_saveexec_b64 s[6:7], s[6:7]
	v_mov_b32_e32 v3, s10
	s_xor_b64 exec, exec, s[6:7]
	s_cbranch_execnz .LBB15_3304
.LBB15_1254:
	s_or_b64 exec, exec, s[6:7]
	s_and_saveexec_b64 s[6:7], s[4:5]
	s_cbranch_execz .LBB15_1256
.LBB15_1255:
	v_mov_b32_e32 v3, 8
	v_and_b32_e32 v4, 7, v5
	v_lshrrev_b32_sdwa v3, v3, v5 dst_sel:BYTE_1 dst_unused:UNUSED_PAD src0_sel:DWORD src1_sel:DWORD
	v_ffbh_u32_e32 v6, v4
	v_or_b32_sdwa v3, v5, v3 dst_sel:DWORD dst_unused:UNUSED_PAD src0_sel:BYTE_0 src1_sel:DWORD
	v_min_u32_e32 v6, 32, v6
	v_lshrrev_b16_e32 v3, 3, v3
	v_subrev_u32_e32 v7, 28, v6
	v_and_b32_e32 v3, 15, v3
	v_lshlrev_b32_e32 v7, v7, v5
	v_sub_u32_e32 v6, 29, v6
	v_and_b32_e32 v7, 7, v7
	v_cmp_eq_u16_e32 vcc, 0, v3
	v_cndmask_b32_e32 v4, v4, v7, vcc
	v_cndmask_b32_e32 v3, v3, v6, vcc
	v_lshlrev_b32_e32 v6, 24, v5
	v_mov_b32_e32 v7, 0x3b800000
	v_lshlrev_b32_e32 v4, 20, v4
	v_and_b32_e32 v6, 0x80000000, v6
	v_lshl_add_u32 v3, v3, 23, v7
	v_or3_b32 v3, v6, v3, v4
.LBB15_1256:
	s_or_b64 exec, exec, s[6:7]
	s_nop 0
	v_mfma_f32_16x16x4f32 a[0:3], v2, v3, a[0:3]
	v_lshrrev_b32_e32 v3, 8, v9
	s_movk_i32 s4, 0x7f
	v_cmp_gt_i16_sdwa s[6:7], v3, s4 src0_sel:BYTE_0 src1_sel:DWORD
	s_mov_b64 s[4:5], 0
                                        ; implicit-def: $sgpr10
	s_and_saveexec_b64 s[8:9], s[6:7]
	s_xor_b64 s[6:7], exec, s[8:9]
	s_cbranch_execnz .LBB15_3305
; %bb.1257:
	s_or_saveexec_b64 s[6:7], s[6:7]
	v_mov_b32_e32 v2, s10
	s_xor_b64 exec, exec, s[6:7]
	s_cbranch_execnz .LBB15_3308
.LBB15_1258:
	s_or_b64 exec, exec, s[6:7]
	s_and_saveexec_b64 s[6:7], s[4:5]
	s_cbranch_execz .LBB15_1260
.LBB15_1259:
	v_bfe_u32 v2, v9, 8, 3
	v_ffbh_u32_e32 v6, v2
	v_min_u32_e32 v6, 32, v6
	v_lshrrev_b16_e32 v4, 3, v3
	v_subrev_u32_e32 v7, 28, v6
	v_and_b32_e32 v4, 15, v4
	v_lshlrev_b32_e32 v3, v7, v3
	v_sub_u32_e32 v6, 29, v6
	v_and_b32_e32 v3, 7, v3
	v_cmp_eq_u16_e32 vcc, 0, v4
	v_cndmask_b32_e32 v2, v2, v3, vcc
	v_cndmask_b32_e32 v3, v4, v6, vcc
	v_lshlrev_b32_e32 v4, 16, v9
	v_mov_b32_e32 v6, 0x3b800000
	v_lshlrev_b32_e32 v2, 20, v2
	v_and_b32_e32 v4, 0x80000000, v4
	v_lshl_add_u32 v3, v3, 23, v6
	v_or3_b32 v2, v4, v3, v2
.LBB15_1260:
	s_or_b64 exec, exec, s[6:7]
	v_lshrrev_b32_e32 v3, 8, v5
	s_movk_i32 s4, 0x7f
	v_cmp_gt_i16_sdwa s[6:7], v3, s4 src0_sel:BYTE_0 src1_sel:DWORD
	s_mov_b64 s[4:5], 0
                                        ; implicit-def: $sgpr10
	s_and_saveexec_b64 s[8:9], s[6:7]
	s_xor_b64 s[6:7], exec, s[8:9]
	s_cbranch_execnz .LBB15_3309
; %bb.1261:
	s_or_saveexec_b64 s[6:7], s[6:7]
	v_mov_b32_e32 v4, s10
	s_xor_b64 exec, exec, s[6:7]
	s_cbranch_execnz .LBB15_3312
.LBB15_1262:
	s_or_b64 exec, exec, s[6:7]
	s_and_saveexec_b64 s[6:7], s[4:5]
	s_cbranch_execz .LBB15_1264
.LBB15_1263:
	v_bfe_u32 v4, v5, 8, 3
	v_ffbh_u32_e32 v7, v4
	v_min_u32_e32 v7, 32, v7
	v_lshrrev_b16_e32 v6, 3, v3
	v_subrev_u32_e32 v8, 28, v7
	v_and_b32_e32 v6, 15, v6
	v_lshlrev_b32_e32 v3, v8, v3
	v_sub_u32_e32 v7, 29, v7
	v_and_b32_e32 v3, 7, v3
	v_cmp_eq_u16_e32 vcc, 0, v6
	v_cndmask_b32_e32 v3, v4, v3, vcc
	v_cndmask_b32_e32 v4, v6, v7, vcc
	v_lshlrev_b32_e32 v6, 16, v5
	v_mov_b32_e32 v7, 0x3b800000
	v_lshlrev_b32_e32 v3, 20, v3
	v_and_b32_e32 v6, 0x80000000, v6
	v_lshl_add_u32 v4, v4, 23, v7
	v_or3_b32 v4, v6, v4, v3
.LBB15_1264:
	s_or_b64 exec, exec, s[6:7]
	s_nop 0
	v_mfma_f32_16x16x4f32 a[0:3], v2, v4, a[0:3]
	s_movk_i32 s4, 0xff
	v_and_b32_sdwa v3, v9, s4 dst_sel:DWORD dst_unused:UNUSED_PAD src0_sel:WORD_1 src1_sel:DWORD
	s_movk_i32 s4, 0x7f
	v_cmp_lt_i16_e32 vcc, s4, v3
	s_mov_b64 s[4:5], 0
                                        ; implicit-def: $sgpr10
	s_and_saveexec_b64 s[6:7], vcc
	s_xor_b64 s[6:7], exec, s[6:7]
	s_cbranch_execnz .LBB15_3313
; %bb.1265:
	s_or_saveexec_b64 s[6:7], s[6:7]
	v_mov_b32_e32 v2, s10
	s_xor_b64 exec, exec, s[6:7]
	s_cbranch_execnz .LBB15_3316
.LBB15_1266:
	s_or_b64 exec, exec, s[6:7]
	s_and_saveexec_b64 s[6:7], s[4:5]
	s_cbranch_execz .LBB15_1268
.LBB15_1267:
	v_bfe_u32 v2, v9, 16, 3
	v_ffbh_u32_e32 v6, v2
	v_min_u32_e32 v6, 32, v6
	v_lshrrev_b32_e32 v3, 19, v9
	v_subrev_u32_e32 v7, 28, v6
	v_and_b32_e32 v3, 15, v3
	v_lshlrev_b32_sdwa v7, v7, v9 dst_sel:DWORD dst_unused:UNUSED_PAD src0_sel:DWORD src1_sel:WORD_1
	v_bfe_u32 v4, v9, 19, 4
	v_sub_u32_e32 v6, 29, v6
	v_and_b32_e32 v7, 7, v7
	v_cmp_eq_u16_e32 vcc, 0, v3
	v_cndmask_b32_e32 v2, v2, v7, vcc
	v_cndmask_b32_e32 v3, v4, v6, vcc
	v_lshlrev_b32_e32 v4, 8, v9
	v_mov_b32_e32 v6, 0x3b800000
	v_lshlrev_b32_e32 v2, 20, v2
	v_and_b32_e32 v4, 0x80000000, v4
	v_lshl_add_u32 v3, v3, 23, v6
	v_or3_b32 v2, v4, v3, v2
.LBB15_1268:
	s_or_b64 exec, exec, s[6:7]
	s_movk_i32 s4, 0xff
	v_and_b32_sdwa v3, v5, s4 dst_sel:DWORD dst_unused:UNUSED_PAD src0_sel:WORD_1 src1_sel:DWORD
	s_movk_i32 s4, 0x7f
	v_cmp_lt_i16_e32 vcc, s4, v3
	s_mov_b64 s[4:5], 0
                                        ; implicit-def: $sgpr10
	s_and_saveexec_b64 s[6:7], vcc
	s_xor_b64 s[6:7], exec, s[6:7]
	s_cbranch_execnz .LBB15_3317
; %bb.1269:
	s_or_saveexec_b64 s[6:7], s[6:7]
	v_mov_b32_e32 v4, s10
	s_xor_b64 exec, exec, s[6:7]
	s_cbranch_execnz .LBB15_3320
.LBB15_1270:
	s_or_b64 exec, exec, s[6:7]
	s_and_saveexec_b64 s[6:7], s[4:5]
	s_cbranch_execz .LBB15_1272
.LBB15_1271:
	v_bfe_u32 v3, v5, 16, 3
	v_ffbh_u32_e32 v7, v3
	v_min_u32_e32 v7, 32, v7
	v_lshrrev_b32_e32 v4, 19, v5
	v_subrev_u32_e32 v8, 28, v7
	v_and_b32_e32 v4, 15, v4
	v_lshlrev_b32_sdwa v8, v8, v5 dst_sel:DWORD dst_unused:UNUSED_PAD src0_sel:DWORD src1_sel:WORD_1
	v_bfe_u32 v6, v5, 19, 4
	v_sub_u32_e32 v7, 29, v7
	v_and_b32_e32 v8, 7, v8
	v_cmp_eq_u16_e32 vcc, 0, v4
	v_cndmask_b32_e32 v3, v3, v8, vcc
	v_cndmask_b32_e32 v4, v6, v7, vcc
	v_lshlrev_b32_e32 v6, 8, v5
	v_mov_b32_e32 v7, 0x3b800000
	v_lshlrev_b32_e32 v3, 20, v3
	v_and_b32_e32 v6, 0x80000000, v6
	v_lshl_add_u32 v4, v4, 23, v7
	v_or3_b32 v4, v6, v4, v3
.LBB15_1272:
	s_or_b64 exec, exec, s[6:7]
	s_nop 0
	v_mfma_f32_16x16x4f32 a[0:3], v2, v4, a[0:3]
	s_movk_i32 s4, 0x7f
	v_cmp_gt_i16_sdwa s[6:7], v9, s4 src0_sel:BYTE_3 src1_sel:DWORD
	s_mov_b64 s[4:5], 0
                                        ; implicit-def: $sgpr10
	s_and_saveexec_b64 s[8:9], s[6:7]
	s_xor_b64 s[6:7], exec, s[8:9]
	s_cbranch_execnz .LBB15_3321
; %bb.1273:
	s_or_saveexec_b64 s[6:7], s[6:7]
	v_mov_b32_e32 v2, s10
	s_xor_b64 exec, exec, s[6:7]
	s_cbranch_execnz .LBB15_3324
.LBB15_1274:
	s_or_b64 exec, exec, s[6:7]
	s_and_saveexec_b64 s[6:7], s[4:5]
	s_cbranch_execz .LBB15_1276
.LBB15_1275:
	v_bfe_u32 v2, v9, 24, 3
	v_ffbh_u32_e32 v7, v2
	v_min_u32_e32 v7, 32, v7
	v_lshrrev_b32_e32 v4, 27, v9
	v_subrev_u32_e32 v8, 28, v7
	v_and_b32_e32 v4, 15, v4
	v_lshlrev_b32_sdwa v8, v8, v9 dst_sel:DWORD dst_unused:UNUSED_PAD src0_sel:DWORD src1_sel:BYTE_3
	v_bfe_u32 v6, v9, 27, 4
	v_sub_u32_e32 v7, 29, v7
	v_and_b32_e32 v8, 7, v8
	v_cmp_eq_u16_e32 vcc, 0, v4
	v_cndmask_b32_e32 v2, v2, v8, vcc
	v_cndmask_b32_e32 v4, v6, v7, vcc
	v_mov_b32_e32 v6, 0x3b800000
	v_and_b32_e32 v3, 0x80000000, v9
	v_lshlrev_b32_e32 v2, 20, v2
	v_lshl_add_u32 v4, v4, 23, v6
	v_or3_b32 v2, v3, v4, v2
.LBB15_1276:
	s_or_b64 exec, exec, s[6:7]
	s_movk_i32 s4, 0x7f
	v_cmp_gt_i16_sdwa s[6:7], v5, s4 src0_sel:BYTE_3 src1_sel:DWORD
	s_mov_b64 s[4:5], 0
                                        ; implicit-def: $sgpr10
	s_and_saveexec_b64 s[8:9], s[6:7]
	s_xor_b64 s[6:7], exec, s[8:9]
	s_cbranch_execnz .LBB15_3325
; %bb.1277:
	s_or_saveexec_b64 s[6:7], s[6:7]
	v_mov_b32_e32 v3, s10
	s_xor_b64 exec, exec, s[6:7]
	s_cbranch_execnz .LBB15_3328
.LBB15_1278:
	s_or_b64 exec, exec, s[6:7]
	s_and_saveexec_b64 s[6:7], s[4:5]
	s_cbranch_execz .LBB15_1280
.LBB15_1279:
	v_bfe_u32 v3, v5, 24, 3
	v_ffbh_u32_e32 v8, v3
	v_min_u32_e32 v8, 32, v8
	v_lshrrev_b32_e32 v6, 27, v5
	v_subrev_u32_e32 v9, 28, v8
	v_and_b32_e32 v4, 0x80000000, v5
	v_and_b32_e32 v6, 15, v6
	v_bfe_u32 v7, v5, 27, 4
	v_lshlrev_b32_sdwa v5, v9, v5 dst_sel:DWORD dst_unused:UNUSED_PAD src0_sel:DWORD src1_sel:BYTE_3
	v_sub_u32_e32 v8, 29, v8
	v_and_b32_e32 v5, 7, v5
	v_cmp_eq_u16_e32 vcc, 0, v6
	v_cndmask_b32_e32 v3, v3, v5, vcc
	v_cndmask_b32_e32 v5, v7, v8, vcc
	v_mov_b32_e32 v6, 0x3b800000
	v_lshlrev_b32_e32 v3, 20, v3
	v_lshl_add_u32 v5, v5, 23, v6
	v_or3_b32 v3, v4, v5, v3
.LBB15_1280:
	s_or_b64 exec, exec, s[6:7]
	s_nop 0
	v_mfma_f32_16x16x4f32 a[0:3], v2, v3, a[0:3]
	s_movk_i32 s4, 0x7f
                                        ; implicit-def: $sgpr10
	s_nop 7
	s_nop 1
	flat_store_dwordx4 v[18:19], a[0:3] offset:704
	flat_load_dwordx4 v[20:23], v[0:1] offset:16
	s_nop 0
	flat_load_dwordx2 v[18:19], v[0:1] offset:32
	s_waitcnt vmcnt(0) lgkmcnt(0)
	flat_load_dwordx4 v[14:17], v[20:21] offset:32
	flat_load_dwordx4 v[6:9], v[20:21] offset:48
	;; [unrolled: 1-line block ×4, first 2 shown]
	s_waitcnt vmcnt(0) lgkmcnt(0)
	v_cmp_gt_i16_sdwa s[6:7], v14, s4 src0_sel:BYTE_0 src1_sel:DWORD
	s_mov_b64 s[4:5], 0
	s_and_saveexec_b64 s[8:9], s[6:7]
	s_xor_b64 s[6:7], exec, s[8:9]
	s_cbranch_execnz .LBB15_3329
; %bb.1281:
	s_or_saveexec_b64 s[6:7], s[6:7]
	v_mov_b32_e32 v20, s10
	s_xor_b64 exec, exec, s[6:7]
	s_cbranch_execnz .LBB15_3332
.LBB15_1282:
	s_or_b64 exec, exec, s[6:7]
	s_and_saveexec_b64 s[6:7], s[4:5]
	s_cbranch_execz .LBB15_1284
.LBB15_1283:
	v_and_b32_e32 v20, 7, v14
	v_ffbh_u32_e32 v22, v20
	v_min_u32_e32 v22, 32, v22
	v_lshrrev_b16_e32 v21, 3, v14
	v_subrev_u32_e32 v23, 28, v22
	v_and_b32_e32 v21, 15, v21
	v_lshlrev_b32_e32 v23, v23, v14
	v_sub_u32_e32 v22, 29, v22
	v_and_b32_e32 v23, 7, v23
	v_cmp_eq_u16_e32 vcc, 0, v21
	v_cndmask_b32_e32 v20, v20, v23, vcc
	v_cndmask_b32_e32 v21, v21, v22, vcc
	v_lshlrev_b32_e32 v22, 24, v14
	v_mov_b32_e32 v23, 0x3b800000
	v_lshlrev_b32_e32 v20, 20, v20
	v_and_b32_e32 v22, 0x80000000, v22
	v_lshl_add_u32 v21, v21, 23, v23
	v_or3_b32 v20, v22, v21, v20
.LBB15_1284:
	s_or_b64 exec, exec, s[6:7]
	s_movk_i32 s4, 0x7f
	v_cmp_gt_i16_sdwa s[6:7], v10, s4 src0_sel:BYTE_0 src1_sel:DWORD
	s_mov_b64 s[4:5], 0
                                        ; implicit-def: $sgpr10
	s_and_saveexec_b64 s[8:9], s[6:7]
	s_xor_b64 s[6:7], exec, s[8:9]
	s_cbranch_execnz .LBB15_3333
; %bb.1285:
	s_or_saveexec_b64 s[6:7], s[6:7]
	v_mov_b32_e32 v21, s10
	s_xor_b64 exec, exec, s[6:7]
	s_cbranch_execnz .LBB15_3336
.LBB15_1286:
	s_or_b64 exec, exec, s[6:7]
	s_and_saveexec_b64 s[6:7], s[4:5]
	s_cbranch_execz .LBB15_1288
.LBB15_1287:
	v_and_b32_e32 v21, 7, v10
	v_ffbh_u32_e32 v23, v21
	v_min_u32_e32 v23, 32, v23
	v_lshrrev_b16_e32 v22, 3, v10
	v_subrev_u32_e32 v24, 28, v23
	v_and_b32_e32 v22, 15, v22
	v_lshlrev_b32_e32 v24, v24, v10
	v_sub_u32_e32 v23, 29, v23
	v_and_b32_e32 v24, 7, v24
	v_cmp_eq_u16_e32 vcc, 0, v22
	v_cndmask_b32_e32 v21, v21, v24, vcc
	v_cndmask_b32_e32 v22, v22, v23, vcc
	v_lshlrev_b32_e32 v23, 24, v10
	v_mov_b32_e32 v24, 0x3b800000
	v_lshlrev_b32_e32 v21, 20, v21
	v_and_b32_e32 v23, 0x80000000, v23
	v_lshl_add_u32 v22, v22, 23, v24
	v_or3_b32 v21, v23, v22, v21
.LBB15_1288:
	s_or_b64 exec, exec, s[6:7]
	flat_load_dwordx4 a[0:3], v[18:19] offset:720
	s_movk_i32 s4, 0x7f
                                        ; implicit-def: $sgpr10
	s_waitcnt vmcnt(0) lgkmcnt(0)
	v_mfma_f32_16x16x4f32 a[0:3], v20, v21, a[0:3]
	v_lshrrev_b32_e32 v21, 8, v14
	v_cmp_gt_i16_sdwa s[6:7], v21, s4 src0_sel:BYTE_0 src1_sel:DWORD
	s_mov_b64 s[4:5], 0
	s_and_saveexec_b64 s[8:9], s[6:7]
	s_xor_b64 s[6:7], exec, s[8:9]
	s_cbranch_execnz .LBB15_3337
; %bb.1289:
	s_or_saveexec_b64 s[6:7], s[6:7]
	v_mov_b32_e32 v20, s10
	s_xor_b64 exec, exec, s[6:7]
	s_cbranch_execnz .LBB15_3340
.LBB15_1290:
	s_or_b64 exec, exec, s[6:7]
	s_and_saveexec_b64 s[6:7], s[4:5]
	s_cbranch_execz .LBB15_1292
.LBB15_1291:
	v_bfe_u32 v20, v14, 8, 3
	v_ffbh_u32_e32 v23, v20
	v_min_u32_e32 v23, 32, v23
	v_lshrrev_b16_e32 v22, 3, v21
	v_subrev_u32_e32 v24, 28, v23
	v_and_b32_e32 v22, 15, v22
	v_lshlrev_b32_e32 v21, v24, v21
	v_sub_u32_e32 v23, 29, v23
	v_and_b32_e32 v21, 7, v21
	v_cmp_eq_u16_e32 vcc, 0, v22
	v_cndmask_b32_e32 v20, v20, v21, vcc
	v_cndmask_b32_e32 v21, v22, v23, vcc
	v_lshlrev_b32_e32 v22, 16, v14
	v_mov_b32_e32 v23, 0x3b800000
	v_lshlrev_b32_e32 v20, 20, v20
	v_and_b32_e32 v22, 0x80000000, v22
	v_lshl_add_u32 v21, v21, 23, v23
	v_or3_b32 v20, v22, v21, v20
.LBB15_1292:
	s_or_b64 exec, exec, s[6:7]
	v_lshrrev_b32_e32 v21, 8, v10
	s_movk_i32 s4, 0x7f
	v_cmp_gt_i16_sdwa s[6:7], v21, s4 src0_sel:BYTE_0 src1_sel:DWORD
	s_mov_b64 s[4:5], 0
                                        ; implicit-def: $sgpr10
	s_and_saveexec_b64 s[8:9], s[6:7]
	s_xor_b64 s[6:7], exec, s[8:9]
	s_cbranch_execnz .LBB15_3341
; %bb.1293:
	s_or_saveexec_b64 s[6:7], s[6:7]
	v_mov_b32_e32 v22, s10
	s_xor_b64 exec, exec, s[6:7]
	s_cbranch_execnz .LBB15_3344
.LBB15_1294:
	s_or_b64 exec, exec, s[6:7]
	s_and_saveexec_b64 s[6:7], s[4:5]
	s_cbranch_execz .LBB15_1296
.LBB15_1295:
	v_bfe_u32 v22, v10, 8, 3
	v_ffbh_u32_e32 v24, v22
	v_min_u32_e32 v24, 32, v24
	v_lshrrev_b16_e32 v23, 3, v21
	v_subrev_u32_e32 v25, 28, v24
	v_and_b32_e32 v23, 15, v23
	v_lshlrev_b32_e32 v21, v25, v21
	v_sub_u32_e32 v24, 29, v24
	v_and_b32_e32 v21, 7, v21
	v_cmp_eq_u16_e32 vcc, 0, v23
	v_cndmask_b32_e32 v21, v22, v21, vcc
	v_cndmask_b32_e32 v22, v23, v24, vcc
	v_lshlrev_b32_e32 v23, 16, v10
	v_mov_b32_e32 v24, 0x3b800000
	v_lshlrev_b32_e32 v21, 20, v21
	v_and_b32_e32 v23, 0x80000000, v23
	v_lshl_add_u32 v22, v22, 23, v24
	v_or3_b32 v22, v23, v22, v21
.LBB15_1296:
	s_or_b64 exec, exec, s[6:7]
	s_nop 0
	v_mfma_f32_16x16x4f32 a[0:3], v20, v22, a[0:3]
	s_movk_i32 s4, 0xff
	v_and_b32_sdwa v21, v14, s4 dst_sel:DWORD dst_unused:UNUSED_PAD src0_sel:WORD_1 src1_sel:DWORD
	s_movk_i32 s4, 0x7f
	v_cmp_lt_i16_e32 vcc, s4, v21
	s_mov_b64 s[4:5], 0
                                        ; implicit-def: $sgpr10
	s_and_saveexec_b64 s[6:7], vcc
	s_xor_b64 s[6:7], exec, s[6:7]
	s_cbranch_execnz .LBB15_3345
; %bb.1297:
	s_or_saveexec_b64 s[6:7], s[6:7]
	v_mov_b32_e32 v20, s10
	s_xor_b64 exec, exec, s[6:7]
	s_cbranch_execnz .LBB15_3348
.LBB15_1298:
	s_or_b64 exec, exec, s[6:7]
	s_and_saveexec_b64 s[6:7], s[4:5]
	s_cbranch_execz .LBB15_1300
.LBB15_1299:
	v_bfe_u32 v20, v14, 16, 3
	v_ffbh_u32_e32 v23, v20
	v_min_u32_e32 v23, 32, v23
	v_lshrrev_b32_e32 v21, 19, v14
	v_subrev_u32_e32 v24, 28, v23
	v_and_b32_e32 v21, 15, v21
	v_lshlrev_b32_sdwa v24, v24, v14 dst_sel:DWORD dst_unused:UNUSED_PAD src0_sel:DWORD src1_sel:WORD_1
	v_bfe_u32 v22, v14, 19, 4
	v_sub_u32_e32 v23, 29, v23
	v_and_b32_e32 v24, 7, v24
	v_cmp_eq_u16_e32 vcc, 0, v21
	v_cndmask_b32_e32 v20, v20, v24, vcc
	v_cndmask_b32_e32 v21, v22, v23, vcc
	v_lshlrev_b32_e32 v22, 8, v14
	v_mov_b32_e32 v23, 0x3b800000
	v_lshlrev_b32_e32 v20, 20, v20
	v_and_b32_e32 v22, 0x80000000, v22
	v_lshl_add_u32 v21, v21, 23, v23
	v_or3_b32 v20, v22, v21, v20
.LBB15_1300:
	s_or_b64 exec, exec, s[6:7]
	s_movk_i32 s4, 0xff
	v_and_b32_sdwa v21, v10, s4 dst_sel:DWORD dst_unused:UNUSED_PAD src0_sel:WORD_1 src1_sel:DWORD
	s_movk_i32 s4, 0x7f
	v_cmp_lt_i16_e32 vcc, s4, v21
	s_mov_b64 s[4:5], 0
                                        ; implicit-def: $sgpr10
	s_and_saveexec_b64 s[6:7], vcc
	s_xor_b64 s[6:7], exec, s[6:7]
	s_cbranch_execnz .LBB15_3349
; %bb.1301:
	s_or_saveexec_b64 s[6:7], s[6:7]
	v_mov_b32_e32 v22, s10
	s_xor_b64 exec, exec, s[6:7]
	s_cbranch_execnz .LBB15_3352
.LBB15_1302:
	s_or_b64 exec, exec, s[6:7]
	s_and_saveexec_b64 s[6:7], s[4:5]
	s_cbranch_execz .LBB15_1304
.LBB15_1303:
	v_bfe_u32 v21, v10, 16, 3
	v_ffbh_u32_e32 v24, v21
	v_min_u32_e32 v24, 32, v24
	v_lshrrev_b32_e32 v22, 19, v10
	v_subrev_u32_e32 v25, 28, v24
	v_and_b32_e32 v22, 15, v22
	v_lshlrev_b32_sdwa v25, v25, v10 dst_sel:DWORD dst_unused:UNUSED_PAD src0_sel:DWORD src1_sel:WORD_1
	v_bfe_u32 v23, v10, 19, 4
	v_sub_u32_e32 v24, 29, v24
	v_and_b32_e32 v25, 7, v25
	v_cmp_eq_u16_e32 vcc, 0, v22
	v_cndmask_b32_e32 v21, v21, v25, vcc
	v_cndmask_b32_e32 v22, v23, v24, vcc
	v_lshlrev_b32_e32 v23, 8, v10
	v_mov_b32_e32 v24, 0x3b800000
	v_lshlrev_b32_e32 v21, 20, v21
	v_and_b32_e32 v23, 0x80000000, v23
	v_lshl_add_u32 v22, v22, 23, v24
	v_or3_b32 v22, v23, v22, v21
.LBB15_1304:
	s_or_b64 exec, exec, s[6:7]
	s_nop 0
	v_mfma_f32_16x16x4f32 a[0:3], v20, v22, a[0:3]
	s_movk_i32 s4, 0x7f
	v_cmp_gt_i16_sdwa s[6:7], v14, s4 src0_sel:BYTE_3 src1_sel:DWORD
	s_mov_b64 s[4:5], 0
                                        ; implicit-def: $sgpr10
	s_and_saveexec_b64 s[8:9], s[6:7]
	s_xor_b64 s[6:7], exec, s[8:9]
	s_cbranch_execnz .LBB15_3353
; %bb.1305:
	s_or_saveexec_b64 s[6:7], s[6:7]
	v_mov_b32_e32 v20, s10
	s_xor_b64 exec, exec, s[6:7]
	s_cbranch_execnz .LBB15_3356
.LBB15_1306:
	s_or_b64 exec, exec, s[6:7]
	s_and_saveexec_b64 s[6:7], s[4:5]
	s_cbranch_execz .LBB15_1308
.LBB15_1307:
	v_bfe_u32 v20, v14, 24, 3
	v_ffbh_u32_e32 v24, v20
	v_min_u32_e32 v24, 32, v24
	v_lshrrev_b32_e32 v22, 27, v14
	v_subrev_u32_e32 v25, 28, v24
	v_and_b32_e32 v21, 0x80000000, v14
	v_and_b32_e32 v22, 15, v22
	v_bfe_u32 v23, v14, 27, 4
	v_lshlrev_b32_sdwa v14, v25, v14 dst_sel:DWORD dst_unused:UNUSED_PAD src0_sel:DWORD src1_sel:BYTE_3
	v_sub_u32_e32 v24, 29, v24
	v_and_b32_e32 v14, 7, v14
	v_cmp_eq_u16_e32 vcc, 0, v22
	v_cndmask_b32_e32 v14, v20, v14, vcc
	v_cndmask_b32_e32 v20, v23, v24, vcc
	v_mov_b32_e32 v22, 0x3b800000
	v_lshlrev_b32_e32 v14, 20, v14
	v_lshl_add_u32 v20, v20, 23, v22
	v_or3_b32 v20, v21, v20, v14
.LBB15_1308:
	s_or_b64 exec, exec, s[6:7]
	s_movk_i32 s4, 0x7f
	v_cmp_gt_i16_sdwa s[6:7], v10, s4 src0_sel:BYTE_3 src1_sel:DWORD
	s_mov_b64 s[4:5], 0
                                        ; implicit-def: $sgpr10
	s_and_saveexec_b64 s[8:9], s[6:7]
	s_xor_b64 s[6:7], exec, s[8:9]
	s_cbranch_execnz .LBB15_3357
; %bb.1309:
	s_or_saveexec_b64 s[6:7], s[6:7]
	v_mov_b32_e32 v14, s10
	s_xor_b64 exec, exec, s[6:7]
	s_cbranch_execnz .LBB15_3360
.LBB15_1310:
	s_or_b64 exec, exec, s[6:7]
	s_and_saveexec_b64 s[6:7], s[4:5]
	s_cbranch_execz .LBB15_1312
.LBB15_1311:
	v_bfe_u32 v14, v10, 24, 3
	v_ffbh_u32_e32 v24, v14
	v_min_u32_e32 v24, 32, v24
	v_lshrrev_b32_e32 v22, 27, v10
	v_subrev_u32_e32 v25, 28, v24
	v_and_b32_e32 v21, 0x80000000, v10
	v_and_b32_e32 v22, 15, v22
	v_bfe_u32 v23, v10, 27, 4
	v_lshlrev_b32_sdwa v10, v25, v10 dst_sel:DWORD dst_unused:UNUSED_PAD src0_sel:DWORD src1_sel:BYTE_3
	v_sub_u32_e32 v24, 29, v24
	v_and_b32_e32 v10, 7, v10
	v_cmp_eq_u16_e32 vcc, 0, v22
	v_cndmask_b32_e32 v10, v14, v10, vcc
	v_cndmask_b32_e32 v14, v23, v24, vcc
	v_mov_b32_e32 v22, 0x3b800000
	v_lshlrev_b32_e32 v10, 20, v10
	v_lshl_add_u32 v14, v14, 23, v22
	v_or3_b32 v14, v21, v14, v10
.LBB15_1312:
	s_or_b64 exec, exec, s[6:7]
	s_nop 0
	v_mfma_f32_16x16x4f32 a[0:3], v20, v14, a[0:3]
	s_movk_i32 s4, 0x7f
	v_cmp_gt_i16_sdwa s[6:7], v15, s4 src0_sel:BYTE_0 src1_sel:DWORD
	s_mov_b64 s[4:5], 0
                                        ; implicit-def: $sgpr10
	s_and_saveexec_b64 s[8:9], s[6:7]
	s_xor_b64 s[6:7], exec, s[8:9]
	s_cbranch_execnz .LBB15_3361
; %bb.1313:
	s_or_saveexec_b64 s[6:7], s[6:7]
	v_mov_b32_e32 v10, s10
	s_xor_b64 exec, exec, s[6:7]
	s_cbranch_execnz .LBB15_3364
.LBB15_1314:
	s_or_b64 exec, exec, s[6:7]
	s_and_saveexec_b64 s[6:7], s[4:5]
	s_cbranch_execz .LBB15_1316
.LBB15_1315:
	v_and_b32_e32 v10, 7, v15
	v_ffbh_u32_e32 v20, v10
	v_min_u32_e32 v20, 32, v20
	v_lshrrev_b16_e32 v14, 3, v15
	v_subrev_u32_e32 v21, 28, v20
	v_and_b32_e32 v14, 15, v14
	v_lshlrev_b32_e32 v21, v21, v15
	v_sub_u32_e32 v20, 29, v20
	v_and_b32_e32 v21, 7, v21
	v_cmp_eq_u16_e32 vcc, 0, v14
	v_cndmask_b32_e32 v10, v10, v21, vcc
	v_cndmask_b32_e32 v14, v14, v20, vcc
	v_lshlrev_b32_e32 v20, 24, v15
	v_mov_b32_e32 v21, 0x3b800000
	v_lshlrev_b32_e32 v10, 20, v10
	v_and_b32_e32 v20, 0x80000000, v20
	v_lshl_add_u32 v14, v14, 23, v21
	v_or3_b32 v10, v20, v14, v10
.LBB15_1316:
	s_or_b64 exec, exec, s[6:7]
	s_movk_i32 s4, 0x7f
	v_cmp_gt_i16_sdwa s[6:7], v11, s4 src0_sel:BYTE_0 src1_sel:DWORD
	s_mov_b64 s[4:5], 0
                                        ; implicit-def: $sgpr10
	s_and_saveexec_b64 s[8:9], s[6:7]
	s_xor_b64 s[6:7], exec, s[8:9]
	s_cbranch_execnz .LBB15_3365
; %bb.1317:
	s_or_saveexec_b64 s[6:7], s[6:7]
	v_mov_b32_e32 v14, s10
	s_xor_b64 exec, exec, s[6:7]
	s_cbranch_execnz .LBB15_3368
.LBB15_1318:
	s_or_b64 exec, exec, s[6:7]
	s_and_saveexec_b64 s[6:7], s[4:5]
	s_cbranch_execz .LBB15_1320
.LBB15_1319:
	v_and_b32_e32 v14, 7, v11
	v_ffbh_u32_e32 v21, v14
	v_min_u32_e32 v21, 32, v21
	v_lshrrev_b16_e32 v20, 3, v11
	v_subrev_u32_e32 v22, 28, v21
	v_and_b32_e32 v20, 15, v20
	v_lshlrev_b32_e32 v22, v22, v11
	v_sub_u32_e32 v21, 29, v21
	v_and_b32_e32 v22, 7, v22
	v_cmp_eq_u16_e32 vcc, 0, v20
	v_cndmask_b32_e32 v14, v14, v22, vcc
	v_cndmask_b32_e32 v20, v20, v21, vcc
	v_lshlrev_b32_e32 v21, 24, v11
	v_mov_b32_e32 v22, 0x3b800000
	v_lshlrev_b32_e32 v14, 20, v14
	v_and_b32_e32 v21, 0x80000000, v21
	v_lshl_add_u32 v20, v20, 23, v22
	v_or3_b32 v14, v21, v20, v14
.LBB15_1320:
	s_or_b64 exec, exec, s[6:7]
	s_nop 0
	v_mfma_f32_16x16x4f32 a[0:3], v10, v14, a[0:3]
	v_lshrrev_b32_e32 v14, 8, v15
	s_movk_i32 s4, 0x7f
	v_cmp_gt_i16_sdwa s[6:7], v14, s4 src0_sel:BYTE_0 src1_sel:DWORD
	s_mov_b64 s[4:5], 0
                                        ; implicit-def: $sgpr10
	s_and_saveexec_b64 s[8:9], s[6:7]
	s_xor_b64 s[6:7], exec, s[8:9]
	s_cbranch_execnz .LBB15_3369
; %bb.1321:
	s_or_saveexec_b64 s[6:7], s[6:7]
	v_mov_b32_e32 v10, s10
	s_xor_b64 exec, exec, s[6:7]
	s_cbranch_execnz .LBB15_3372
.LBB15_1322:
	s_or_b64 exec, exec, s[6:7]
	s_and_saveexec_b64 s[6:7], s[4:5]
	s_cbranch_execz .LBB15_1324
.LBB15_1323:
	v_bfe_u32 v10, v15, 8, 3
	v_ffbh_u32_e32 v21, v10
	v_min_u32_e32 v21, 32, v21
	v_lshrrev_b16_e32 v20, 3, v14
	v_subrev_u32_e32 v22, 28, v21
	v_and_b32_e32 v20, 15, v20
	v_lshlrev_b32_e32 v14, v22, v14
	v_sub_u32_e32 v21, 29, v21
	v_and_b32_e32 v14, 7, v14
	v_cmp_eq_u16_e32 vcc, 0, v20
	v_cndmask_b32_e32 v10, v10, v14, vcc
	v_cndmask_b32_e32 v14, v20, v21, vcc
	v_lshlrev_b32_e32 v20, 16, v15
	v_mov_b32_e32 v21, 0x3b800000
	v_lshlrev_b32_e32 v10, 20, v10
	v_and_b32_e32 v20, 0x80000000, v20
	v_lshl_add_u32 v14, v14, 23, v21
	v_or3_b32 v10, v20, v14, v10
.LBB15_1324:
	s_or_b64 exec, exec, s[6:7]
	v_lshrrev_b32_e32 v14, 8, v11
	s_movk_i32 s4, 0x7f
	v_cmp_gt_i16_sdwa s[6:7], v14, s4 src0_sel:BYTE_0 src1_sel:DWORD
	s_mov_b64 s[4:5], 0
                                        ; implicit-def: $sgpr10
	s_and_saveexec_b64 s[8:9], s[6:7]
	s_xor_b64 s[6:7], exec, s[8:9]
	s_cbranch_execnz .LBB15_3373
; %bb.1325:
	s_or_saveexec_b64 s[6:7], s[6:7]
	v_mov_b32_e32 v20, s10
	s_xor_b64 exec, exec, s[6:7]
	s_cbranch_execnz .LBB15_3376
.LBB15_1326:
	s_or_b64 exec, exec, s[6:7]
	s_and_saveexec_b64 s[6:7], s[4:5]
	s_cbranch_execz .LBB15_1328
.LBB15_1327:
	v_bfe_u32 v20, v11, 8, 3
	v_ffbh_u32_e32 v22, v20
	v_min_u32_e32 v22, 32, v22
	v_lshrrev_b16_e32 v21, 3, v14
	v_subrev_u32_e32 v23, 28, v22
	v_and_b32_e32 v21, 15, v21
	v_lshlrev_b32_e32 v14, v23, v14
	v_sub_u32_e32 v22, 29, v22
	v_and_b32_e32 v14, 7, v14
	v_cmp_eq_u16_e32 vcc, 0, v21
	v_cndmask_b32_e32 v14, v20, v14, vcc
	v_cndmask_b32_e32 v20, v21, v22, vcc
	v_lshlrev_b32_e32 v21, 16, v11
	v_mov_b32_e32 v22, 0x3b800000
	v_lshlrev_b32_e32 v14, 20, v14
	v_and_b32_e32 v21, 0x80000000, v21
	v_lshl_add_u32 v20, v20, 23, v22
	v_or3_b32 v20, v21, v20, v14
.LBB15_1328:
	s_or_b64 exec, exec, s[6:7]
	s_nop 0
	v_mfma_f32_16x16x4f32 a[0:3], v10, v20, a[0:3]
	s_movk_i32 s4, 0xff
	v_and_b32_sdwa v14, v15, s4 dst_sel:DWORD dst_unused:UNUSED_PAD src0_sel:WORD_1 src1_sel:DWORD
	s_movk_i32 s4, 0x7f
	v_cmp_lt_i16_e32 vcc, s4, v14
	s_mov_b64 s[4:5], 0
                                        ; implicit-def: $sgpr10
	s_and_saveexec_b64 s[6:7], vcc
	s_xor_b64 s[6:7], exec, s[6:7]
	s_cbranch_execnz .LBB15_3377
; %bb.1329:
	s_or_saveexec_b64 s[6:7], s[6:7]
	v_mov_b32_e32 v10, s10
	s_xor_b64 exec, exec, s[6:7]
	s_cbranch_execnz .LBB15_3380
.LBB15_1330:
	s_or_b64 exec, exec, s[6:7]
	s_and_saveexec_b64 s[6:7], s[4:5]
	s_cbranch_execz .LBB15_1332
.LBB15_1331:
	v_bfe_u32 v10, v15, 16, 3
	v_ffbh_u32_e32 v21, v10
	v_min_u32_e32 v21, 32, v21
	v_lshrrev_b32_e32 v14, 19, v15
	v_subrev_u32_e32 v22, 28, v21
	v_and_b32_e32 v14, 15, v14
	v_lshlrev_b32_sdwa v22, v22, v15 dst_sel:DWORD dst_unused:UNUSED_PAD src0_sel:DWORD src1_sel:WORD_1
	v_bfe_u32 v20, v15, 19, 4
	v_sub_u32_e32 v21, 29, v21
	v_and_b32_e32 v22, 7, v22
	v_cmp_eq_u16_e32 vcc, 0, v14
	v_cndmask_b32_e32 v10, v10, v22, vcc
	v_cndmask_b32_e32 v14, v20, v21, vcc
	v_lshlrev_b32_e32 v20, 8, v15
	v_mov_b32_e32 v21, 0x3b800000
	v_lshlrev_b32_e32 v10, 20, v10
	v_and_b32_e32 v20, 0x80000000, v20
	v_lshl_add_u32 v14, v14, 23, v21
	v_or3_b32 v10, v20, v14, v10
.LBB15_1332:
	s_or_b64 exec, exec, s[6:7]
	s_movk_i32 s4, 0xff
	v_and_b32_sdwa v14, v11, s4 dst_sel:DWORD dst_unused:UNUSED_PAD src0_sel:WORD_1 src1_sel:DWORD
	s_movk_i32 s4, 0x7f
	v_cmp_lt_i16_e32 vcc, s4, v14
	s_mov_b64 s[4:5], 0
                                        ; implicit-def: $sgpr10
	s_and_saveexec_b64 s[6:7], vcc
	s_xor_b64 s[6:7], exec, s[6:7]
	s_cbranch_execnz .LBB15_3381
; %bb.1333:
	s_or_saveexec_b64 s[6:7], s[6:7]
	v_mov_b32_e32 v20, s10
	s_xor_b64 exec, exec, s[6:7]
	s_cbranch_execnz .LBB15_3384
.LBB15_1334:
	s_or_b64 exec, exec, s[6:7]
	s_and_saveexec_b64 s[6:7], s[4:5]
	s_cbranch_execz .LBB15_1336
.LBB15_1335:
	v_bfe_u32 v14, v11, 16, 3
	v_ffbh_u32_e32 v22, v14
	v_min_u32_e32 v22, 32, v22
	v_lshrrev_b32_e32 v20, 19, v11
	v_subrev_u32_e32 v23, 28, v22
	v_and_b32_e32 v20, 15, v20
	v_lshlrev_b32_sdwa v23, v23, v11 dst_sel:DWORD dst_unused:UNUSED_PAD src0_sel:DWORD src1_sel:WORD_1
	v_bfe_u32 v21, v11, 19, 4
	v_sub_u32_e32 v22, 29, v22
	v_and_b32_e32 v23, 7, v23
	v_cmp_eq_u16_e32 vcc, 0, v20
	v_cndmask_b32_e32 v14, v14, v23, vcc
	v_cndmask_b32_e32 v20, v21, v22, vcc
	v_lshlrev_b32_e32 v21, 8, v11
	v_mov_b32_e32 v22, 0x3b800000
	v_lshlrev_b32_e32 v14, 20, v14
	v_and_b32_e32 v21, 0x80000000, v21
	v_lshl_add_u32 v20, v20, 23, v22
	v_or3_b32 v20, v21, v20, v14
.LBB15_1336:
	s_or_b64 exec, exec, s[6:7]
	s_nop 0
	v_mfma_f32_16x16x4f32 a[0:3], v10, v20, a[0:3]
	s_movk_i32 s4, 0x7f
	v_cmp_gt_i16_sdwa s[6:7], v15, s4 src0_sel:BYTE_3 src1_sel:DWORD
	s_mov_b64 s[4:5], 0
                                        ; implicit-def: $sgpr10
	s_and_saveexec_b64 s[8:9], s[6:7]
	s_xor_b64 s[6:7], exec, s[8:9]
	s_cbranch_execnz .LBB15_3385
; %bb.1337:
	s_or_saveexec_b64 s[6:7], s[6:7]
	v_mov_b32_e32 v10, s10
	s_xor_b64 exec, exec, s[6:7]
	s_cbranch_execnz .LBB15_3388
.LBB15_1338:
	s_or_b64 exec, exec, s[6:7]
	s_and_saveexec_b64 s[6:7], s[4:5]
	s_cbranch_execz .LBB15_1340
.LBB15_1339:
	v_bfe_u32 v10, v15, 24, 3
	v_ffbh_u32_e32 v22, v10
	v_min_u32_e32 v22, 32, v22
	v_lshrrev_b32_e32 v20, 27, v15
	v_subrev_u32_e32 v23, 28, v22
	v_and_b32_e32 v14, 0x80000000, v15
	v_and_b32_e32 v20, 15, v20
	v_bfe_u32 v21, v15, 27, 4
	v_lshlrev_b32_sdwa v15, v23, v15 dst_sel:DWORD dst_unused:UNUSED_PAD src0_sel:DWORD src1_sel:BYTE_3
	v_sub_u32_e32 v22, 29, v22
	v_and_b32_e32 v15, 7, v15
	v_cmp_eq_u16_e32 vcc, 0, v20
	v_cndmask_b32_e32 v10, v10, v15, vcc
	v_cndmask_b32_e32 v15, v21, v22, vcc
	v_mov_b32_e32 v20, 0x3b800000
	v_lshlrev_b32_e32 v10, 20, v10
	v_lshl_add_u32 v15, v15, 23, v20
	v_or3_b32 v10, v14, v15, v10
.LBB15_1340:
	s_or_b64 exec, exec, s[6:7]
	s_movk_i32 s4, 0x7f
	v_cmp_gt_i16_sdwa s[6:7], v11, s4 src0_sel:BYTE_3 src1_sel:DWORD
	s_mov_b64 s[4:5], 0
                                        ; implicit-def: $sgpr10
	s_and_saveexec_b64 s[8:9], s[6:7]
	s_xor_b64 s[6:7], exec, s[8:9]
	s_cbranch_execnz .LBB15_3389
; %bb.1341:
	s_or_saveexec_b64 s[6:7], s[6:7]
	v_mov_b32_e32 v14, s10
	s_xor_b64 exec, exec, s[6:7]
	s_cbranch_execnz .LBB15_3392
.LBB15_1342:
	s_or_b64 exec, exec, s[6:7]
	s_and_saveexec_b64 s[6:7], s[4:5]
	s_cbranch_execz .LBB15_1344
.LBB15_1343:
	v_bfe_u32 v14, v11, 24, 3
	v_ffbh_u32_e32 v22, v14
	v_min_u32_e32 v22, 32, v22
	v_lshrrev_b32_e32 v20, 27, v11
	v_subrev_u32_e32 v23, 28, v22
	v_and_b32_e32 v15, 0x80000000, v11
	v_and_b32_e32 v20, 15, v20
	v_bfe_u32 v21, v11, 27, 4
	v_lshlrev_b32_sdwa v11, v23, v11 dst_sel:DWORD dst_unused:UNUSED_PAD src0_sel:DWORD src1_sel:BYTE_3
	v_sub_u32_e32 v22, 29, v22
	v_and_b32_e32 v11, 7, v11
	v_cmp_eq_u16_e32 vcc, 0, v20
	v_cndmask_b32_e32 v11, v14, v11, vcc
	v_cndmask_b32_e32 v14, v21, v22, vcc
	v_mov_b32_e32 v20, 0x3b800000
	v_lshlrev_b32_e32 v11, 20, v11
	v_lshl_add_u32 v14, v14, 23, v20
	v_or3_b32 v14, v15, v14, v11
.LBB15_1344:
	s_or_b64 exec, exec, s[6:7]
	s_nop 0
	v_mfma_f32_16x16x4f32 a[0:3], v10, v14, a[0:3]
	s_movk_i32 s4, 0x7f
	v_cmp_gt_i16_sdwa s[6:7], v16, s4 src0_sel:BYTE_0 src1_sel:DWORD
	s_mov_b64 s[4:5], 0
                                        ; implicit-def: $sgpr10
	s_and_saveexec_b64 s[8:9], s[6:7]
	s_xor_b64 s[6:7], exec, s[8:9]
	s_cbranch_execnz .LBB15_3393
; %bb.1345:
	s_or_saveexec_b64 s[6:7], s[6:7]
	v_mov_b32_e32 v10, s10
	s_xor_b64 exec, exec, s[6:7]
	s_cbranch_execnz .LBB15_3396
.LBB15_1346:
	s_or_b64 exec, exec, s[6:7]
	s_and_saveexec_b64 s[6:7], s[4:5]
	s_cbranch_execz .LBB15_1348
.LBB15_1347:
	v_and_b32_e32 v10, 7, v16
	v_ffbh_u32_e32 v14, v10
	v_min_u32_e32 v14, 32, v14
	v_lshrrev_b16_e32 v11, 3, v16
	v_subrev_u32_e32 v15, 28, v14
	v_and_b32_e32 v11, 15, v11
	v_lshlrev_b32_e32 v15, v15, v16
	v_sub_u32_e32 v14, 29, v14
	v_and_b32_e32 v15, 7, v15
	v_cmp_eq_u16_e32 vcc, 0, v11
	v_cndmask_b32_e32 v10, v10, v15, vcc
	v_cndmask_b32_e32 v11, v11, v14, vcc
	v_lshlrev_b32_e32 v14, 24, v16
	v_mov_b32_e32 v15, 0x3b800000
	v_lshlrev_b32_e32 v10, 20, v10
	v_and_b32_e32 v14, 0x80000000, v14
	v_lshl_add_u32 v11, v11, 23, v15
	v_or3_b32 v10, v14, v11, v10
.LBB15_1348:
	s_or_b64 exec, exec, s[6:7]
	s_movk_i32 s4, 0x7f
	v_cmp_gt_i16_sdwa s[6:7], v12, s4 src0_sel:BYTE_0 src1_sel:DWORD
	s_mov_b64 s[4:5], 0
                                        ; implicit-def: $sgpr10
	s_and_saveexec_b64 s[8:9], s[6:7]
	s_xor_b64 s[6:7], exec, s[8:9]
	s_cbranch_execnz .LBB15_3397
; %bb.1349:
	s_or_saveexec_b64 s[6:7], s[6:7]
	v_mov_b32_e32 v11, s10
	s_xor_b64 exec, exec, s[6:7]
	s_cbranch_execnz .LBB15_3400
.LBB15_1350:
	s_or_b64 exec, exec, s[6:7]
	s_and_saveexec_b64 s[6:7], s[4:5]
	s_cbranch_execz .LBB15_1352
.LBB15_1351:
	v_and_b32_e32 v11, 7, v12
	v_ffbh_u32_e32 v15, v11
	v_min_u32_e32 v15, 32, v15
	v_lshrrev_b16_e32 v14, 3, v12
	v_subrev_u32_e32 v20, 28, v15
	v_and_b32_e32 v14, 15, v14
	v_lshlrev_b32_e32 v20, v20, v12
	v_sub_u32_e32 v15, 29, v15
	v_and_b32_e32 v20, 7, v20
	v_cmp_eq_u16_e32 vcc, 0, v14
	v_cndmask_b32_e32 v11, v11, v20, vcc
	v_cndmask_b32_e32 v14, v14, v15, vcc
	v_lshlrev_b32_e32 v15, 24, v12
	v_mov_b32_e32 v20, 0x3b800000
	v_lshlrev_b32_e32 v11, 20, v11
	v_and_b32_e32 v15, 0x80000000, v15
	v_lshl_add_u32 v14, v14, 23, v20
	v_or3_b32 v11, v15, v14, v11
.LBB15_1352:
	s_or_b64 exec, exec, s[6:7]
	s_nop 0
	v_mfma_f32_16x16x4f32 a[0:3], v10, v11, a[0:3]
	v_lshrrev_b32_e32 v11, 8, v16
	s_movk_i32 s4, 0x7f
	v_cmp_gt_i16_sdwa s[6:7], v11, s4 src0_sel:BYTE_0 src1_sel:DWORD
	s_mov_b64 s[4:5], 0
                                        ; implicit-def: $sgpr10
	s_and_saveexec_b64 s[8:9], s[6:7]
	s_xor_b64 s[6:7], exec, s[8:9]
	s_cbranch_execnz .LBB15_3401
; %bb.1353:
	s_or_saveexec_b64 s[6:7], s[6:7]
	v_mov_b32_e32 v10, s10
	s_xor_b64 exec, exec, s[6:7]
	s_cbranch_execnz .LBB15_3404
.LBB15_1354:
	s_or_b64 exec, exec, s[6:7]
	s_and_saveexec_b64 s[6:7], s[4:5]
	s_cbranch_execz .LBB15_1356
.LBB15_1355:
	v_bfe_u32 v10, v16, 8, 3
	v_ffbh_u32_e32 v15, v10
	v_min_u32_e32 v15, 32, v15
	v_lshrrev_b16_e32 v14, 3, v11
	v_subrev_u32_e32 v20, 28, v15
	v_and_b32_e32 v14, 15, v14
	v_lshlrev_b32_e32 v11, v20, v11
	v_sub_u32_e32 v15, 29, v15
	v_and_b32_e32 v11, 7, v11
	v_cmp_eq_u16_e32 vcc, 0, v14
	v_cndmask_b32_e32 v10, v10, v11, vcc
	v_cndmask_b32_e32 v11, v14, v15, vcc
	v_lshlrev_b32_e32 v14, 16, v16
	v_mov_b32_e32 v15, 0x3b800000
	v_lshlrev_b32_e32 v10, 20, v10
	v_and_b32_e32 v14, 0x80000000, v14
	v_lshl_add_u32 v11, v11, 23, v15
	v_or3_b32 v10, v14, v11, v10
.LBB15_1356:
	s_or_b64 exec, exec, s[6:7]
	v_lshrrev_b32_e32 v11, 8, v12
	s_movk_i32 s4, 0x7f
	v_cmp_gt_i16_sdwa s[6:7], v11, s4 src0_sel:BYTE_0 src1_sel:DWORD
	s_mov_b64 s[4:5], 0
                                        ; implicit-def: $sgpr10
	s_and_saveexec_b64 s[8:9], s[6:7]
	s_xor_b64 s[6:7], exec, s[8:9]
	s_cbranch_execnz .LBB15_3405
; %bb.1357:
	s_or_saveexec_b64 s[6:7], s[6:7]
	v_mov_b32_e32 v14, s10
	s_xor_b64 exec, exec, s[6:7]
	s_cbranch_execnz .LBB15_3408
.LBB15_1358:
	s_or_b64 exec, exec, s[6:7]
	s_and_saveexec_b64 s[6:7], s[4:5]
	s_cbranch_execz .LBB15_1360
.LBB15_1359:
	v_bfe_u32 v14, v12, 8, 3
	v_ffbh_u32_e32 v20, v14
	v_min_u32_e32 v20, 32, v20
	v_lshrrev_b16_e32 v15, 3, v11
	v_subrev_u32_e32 v21, 28, v20
	v_and_b32_e32 v15, 15, v15
	v_lshlrev_b32_e32 v11, v21, v11
	v_sub_u32_e32 v20, 29, v20
	v_and_b32_e32 v11, 7, v11
	v_cmp_eq_u16_e32 vcc, 0, v15
	v_cndmask_b32_e32 v11, v14, v11, vcc
	v_cndmask_b32_e32 v14, v15, v20, vcc
	v_lshlrev_b32_e32 v15, 16, v12
	v_mov_b32_e32 v20, 0x3b800000
	v_lshlrev_b32_e32 v11, 20, v11
	v_and_b32_e32 v15, 0x80000000, v15
	v_lshl_add_u32 v14, v14, 23, v20
	v_or3_b32 v14, v15, v14, v11
.LBB15_1360:
	s_or_b64 exec, exec, s[6:7]
	s_nop 0
	v_mfma_f32_16x16x4f32 a[0:3], v10, v14, a[0:3]
	s_movk_i32 s4, 0xff
	v_and_b32_sdwa v11, v16, s4 dst_sel:DWORD dst_unused:UNUSED_PAD src0_sel:WORD_1 src1_sel:DWORD
	s_movk_i32 s4, 0x7f
	v_cmp_lt_i16_e32 vcc, s4, v11
	s_mov_b64 s[4:5], 0
                                        ; implicit-def: $sgpr10
	s_and_saveexec_b64 s[6:7], vcc
	s_xor_b64 s[6:7], exec, s[6:7]
	s_cbranch_execnz .LBB15_3409
; %bb.1361:
	s_or_saveexec_b64 s[6:7], s[6:7]
	v_mov_b32_e32 v10, s10
	s_xor_b64 exec, exec, s[6:7]
	s_cbranch_execnz .LBB15_3412
.LBB15_1362:
	s_or_b64 exec, exec, s[6:7]
	s_and_saveexec_b64 s[6:7], s[4:5]
	s_cbranch_execz .LBB15_1364
.LBB15_1363:
	v_bfe_u32 v10, v16, 16, 3
	v_ffbh_u32_e32 v15, v10
	v_min_u32_e32 v15, 32, v15
	v_lshrrev_b32_e32 v11, 19, v16
	v_subrev_u32_e32 v20, 28, v15
	v_and_b32_e32 v11, 15, v11
	v_lshlrev_b32_sdwa v20, v20, v16 dst_sel:DWORD dst_unused:UNUSED_PAD src0_sel:DWORD src1_sel:WORD_1
	v_bfe_u32 v14, v16, 19, 4
	v_sub_u32_e32 v15, 29, v15
	v_and_b32_e32 v20, 7, v20
	v_cmp_eq_u16_e32 vcc, 0, v11
	v_cndmask_b32_e32 v10, v10, v20, vcc
	v_cndmask_b32_e32 v11, v14, v15, vcc
	v_lshlrev_b32_e32 v14, 8, v16
	v_mov_b32_e32 v15, 0x3b800000
	v_lshlrev_b32_e32 v10, 20, v10
	v_and_b32_e32 v14, 0x80000000, v14
	v_lshl_add_u32 v11, v11, 23, v15
	v_or3_b32 v10, v14, v11, v10
.LBB15_1364:
	s_or_b64 exec, exec, s[6:7]
	s_movk_i32 s4, 0xff
	v_and_b32_sdwa v11, v12, s4 dst_sel:DWORD dst_unused:UNUSED_PAD src0_sel:WORD_1 src1_sel:DWORD
	s_movk_i32 s4, 0x7f
	v_cmp_lt_i16_e32 vcc, s4, v11
	s_mov_b64 s[4:5], 0
                                        ; implicit-def: $sgpr10
	s_and_saveexec_b64 s[6:7], vcc
	s_xor_b64 s[6:7], exec, s[6:7]
	s_cbranch_execnz .LBB15_3413
; %bb.1365:
	s_or_saveexec_b64 s[6:7], s[6:7]
	v_mov_b32_e32 v14, s10
	s_xor_b64 exec, exec, s[6:7]
	s_cbranch_execnz .LBB15_3416
.LBB15_1366:
	s_or_b64 exec, exec, s[6:7]
	s_and_saveexec_b64 s[6:7], s[4:5]
	s_cbranch_execz .LBB15_1368
.LBB15_1367:
	v_bfe_u32 v11, v12, 16, 3
	v_ffbh_u32_e32 v20, v11
	v_min_u32_e32 v20, 32, v20
	v_lshrrev_b32_e32 v14, 19, v12
	v_subrev_u32_e32 v21, 28, v20
	v_and_b32_e32 v14, 15, v14
	v_lshlrev_b32_sdwa v21, v21, v12 dst_sel:DWORD dst_unused:UNUSED_PAD src0_sel:DWORD src1_sel:WORD_1
	v_bfe_u32 v15, v12, 19, 4
	v_sub_u32_e32 v20, 29, v20
	v_and_b32_e32 v21, 7, v21
	v_cmp_eq_u16_e32 vcc, 0, v14
	v_cndmask_b32_e32 v11, v11, v21, vcc
	v_cndmask_b32_e32 v14, v15, v20, vcc
	v_lshlrev_b32_e32 v15, 8, v12
	v_mov_b32_e32 v20, 0x3b800000
	v_lshlrev_b32_e32 v11, 20, v11
	v_and_b32_e32 v15, 0x80000000, v15
	v_lshl_add_u32 v14, v14, 23, v20
	v_or3_b32 v14, v15, v14, v11
.LBB15_1368:
	s_or_b64 exec, exec, s[6:7]
	s_nop 0
	v_mfma_f32_16x16x4f32 a[0:3], v10, v14, a[0:3]
	s_movk_i32 s4, 0x7f
	v_cmp_gt_i16_sdwa s[6:7], v16, s4 src0_sel:BYTE_3 src1_sel:DWORD
	s_mov_b64 s[4:5], 0
                                        ; implicit-def: $sgpr10
	s_and_saveexec_b64 s[8:9], s[6:7]
	s_xor_b64 s[6:7], exec, s[8:9]
	s_cbranch_execnz .LBB15_3417
; %bb.1369:
	s_or_saveexec_b64 s[6:7], s[6:7]
	v_mov_b32_e32 v10, s10
	s_xor_b64 exec, exec, s[6:7]
	s_cbranch_execnz .LBB15_3420
.LBB15_1370:
	s_or_b64 exec, exec, s[6:7]
	s_and_saveexec_b64 s[6:7], s[4:5]
	s_cbranch_execz .LBB15_1372
.LBB15_1371:
	v_bfe_u32 v10, v16, 24, 3
	v_ffbh_u32_e32 v20, v10
	v_min_u32_e32 v20, 32, v20
	v_lshrrev_b32_e32 v14, 27, v16
	v_subrev_u32_e32 v21, 28, v20
	v_and_b32_e32 v11, 0x80000000, v16
	v_and_b32_e32 v14, 15, v14
	v_bfe_u32 v15, v16, 27, 4
	v_lshlrev_b32_sdwa v16, v21, v16 dst_sel:DWORD dst_unused:UNUSED_PAD src0_sel:DWORD src1_sel:BYTE_3
	v_sub_u32_e32 v20, 29, v20
	v_and_b32_e32 v16, 7, v16
	v_cmp_eq_u16_e32 vcc, 0, v14
	v_cndmask_b32_e32 v10, v10, v16, vcc
	v_cndmask_b32_e32 v14, v15, v20, vcc
	v_mov_b32_e32 v15, 0x3b800000
	v_lshlrev_b32_e32 v10, 20, v10
	v_lshl_add_u32 v14, v14, 23, v15
	v_or3_b32 v10, v11, v14, v10
.LBB15_1372:
	s_or_b64 exec, exec, s[6:7]
	s_movk_i32 s4, 0x7f
	v_cmp_gt_i16_sdwa s[6:7], v12, s4 src0_sel:BYTE_3 src1_sel:DWORD
	s_mov_b64 s[4:5], 0
                                        ; implicit-def: $sgpr10
	s_and_saveexec_b64 s[8:9], s[6:7]
	s_xor_b64 s[6:7], exec, s[8:9]
	s_cbranch_execnz .LBB15_3421
; %bb.1373:
	s_or_saveexec_b64 s[6:7], s[6:7]
	v_mov_b32_e32 v11, s10
	s_xor_b64 exec, exec, s[6:7]
	s_cbranch_execnz .LBB15_3424
.LBB15_1374:
	s_or_b64 exec, exec, s[6:7]
	s_and_saveexec_b64 s[6:7], s[4:5]
	s_cbranch_execz .LBB15_1376
.LBB15_1375:
	v_bfe_u32 v11, v12, 24, 3
	v_ffbh_u32_e32 v20, v11
	v_min_u32_e32 v20, 32, v20
	v_lshrrev_b32_e32 v15, 27, v12
	v_subrev_u32_e32 v21, 28, v20
	v_and_b32_e32 v14, 0x80000000, v12
	v_and_b32_e32 v15, 15, v15
	v_bfe_u32 v16, v12, 27, 4
	v_lshlrev_b32_sdwa v12, v21, v12 dst_sel:DWORD dst_unused:UNUSED_PAD src0_sel:DWORD src1_sel:BYTE_3
	v_sub_u32_e32 v20, 29, v20
	v_and_b32_e32 v12, 7, v12
	v_cmp_eq_u16_e32 vcc, 0, v15
	v_cndmask_b32_e32 v11, v11, v12, vcc
	v_cndmask_b32_e32 v12, v16, v20, vcc
	v_mov_b32_e32 v15, 0x3b800000
	v_lshlrev_b32_e32 v11, 20, v11
	v_lshl_add_u32 v12, v12, 23, v15
	v_or3_b32 v11, v14, v12, v11
.LBB15_1376:
	s_or_b64 exec, exec, s[6:7]
	s_nop 0
	v_mfma_f32_16x16x4f32 a[0:3], v10, v11, a[0:3]
	s_movk_i32 s4, 0x7f
	v_cmp_gt_i16_sdwa s[6:7], v17, s4 src0_sel:BYTE_0 src1_sel:DWORD
	s_mov_b64 s[4:5], 0
                                        ; implicit-def: $sgpr10
	s_and_saveexec_b64 s[8:9], s[6:7]
	s_xor_b64 s[6:7], exec, s[8:9]
	s_cbranch_execnz .LBB15_3425
; %bb.1377:
	s_or_saveexec_b64 s[6:7], s[6:7]
	v_mov_b32_e32 v10, s10
	s_xor_b64 exec, exec, s[6:7]
	s_cbranch_execnz .LBB15_3428
.LBB15_1378:
	s_or_b64 exec, exec, s[6:7]
	s_and_saveexec_b64 s[6:7], s[4:5]
	s_cbranch_execz .LBB15_1380
.LBB15_1379:
	v_and_b32_e32 v10, 7, v17
	v_ffbh_u32_e32 v12, v10
	v_min_u32_e32 v12, 32, v12
	v_lshrrev_b16_e32 v11, 3, v17
	v_subrev_u32_e32 v14, 28, v12
	v_and_b32_e32 v11, 15, v11
	v_lshlrev_b32_e32 v14, v14, v17
	v_sub_u32_e32 v12, 29, v12
	v_and_b32_e32 v14, 7, v14
	v_cmp_eq_u16_e32 vcc, 0, v11
	v_cndmask_b32_e32 v10, v10, v14, vcc
	v_cndmask_b32_e32 v11, v11, v12, vcc
	v_lshlrev_b32_e32 v12, 24, v17
	v_mov_b32_e32 v14, 0x3b800000
	v_lshlrev_b32_e32 v10, 20, v10
	v_and_b32_e32 v12, 0x80000000, v12
	v_lshl_add_u32 v11, v11, 23, v14
	v_or3_b32 v10, v12, v11, v10
.LBB15_1380:
	s_or_b64 exec, exec, s[6:7]
	s_movk_i32 s4, 0x7f
	v_cmp_gt_i16_sdwa s[6:7], v13, s4 src0_sel:BYTE_0 src1_sel:DWORD
	s_mov_b64 s[4:5], 0
                                        ; implicit-def: $sgpr10
	s_and_saveexec_b64 s[8:9], s[6:7]
	s_xor_b64 s[6:7], exec, s[8:9]
	s_cbranch_execnz .LBB15_3429
; %bb.1381:
	s_or_saveexec_b64 s[6:7], s[6:7]
	v_mov_b32_e32 v11, s10
	s_xor_b64 exec, exec, s[6:7]
	s_cbranch_execnz .LBB15_3432
.LBB15_1382:
	s_or_b64 exec, exec, s[6:7]
	s_and_saveexec_b64 s[6:7], s[4:5]
	s_cbranch_execz .LBB15_1384
.LBB15_1383:
	v_and_b32_e32 v11, 7, v13
	v_ffbh_u32_e32 v14, v11
	v_min_u32_e32 v14, 32, v14
	v_lshrrev_b16_e32 v12, 3, v13
	v_subrev_u32_e32 v15, 28, v14
	v_and_b32_e32 v12, 15, v12
	v_lshlrev_b32_e32 v15, v15, v13
	v_sub_u32_e32 v14, 29, v14
	v_and_b32_e32 v15, 7, v15
	v_cmp_eq_u16_e32 vcc, 0, v12
	v_cndmask_b32_e32 v11, v11, v15, vcc
	v_cndmask_b32_e32 v12, v12, v14, vcc
	v_lshlrev_b32_e32 v14, 24, v13
	v_mov_b32_e32 v15, 0x3b800000
	v_lshlrev_b32_e32 v11, 20, v11
	v_and_b32_e32 v14, 0x80000000, v14
	v_lshl_add_u32 v12, v12, 23, v15
	v_or3_b32 v11, v14, v12, v11
.LBB15_1384:
	s_or_b64 exec, exec, s[6:7]
	s_nop 0
	v_mfma_f32_16x16x4f32 a[0:3], v10, v11, a[0:3]
	v_lshrrev_b32_e32 v11, 8, v17
	s_movk_i32 s4, 0x7f
	v_cmp_gt_i16_sdwa s[6:7], v11, s4 src0_sel:BYTE_0 src1_sel:DWORD
	s_mov_b64 s[4:5], 0
                                        ; implicit-def: $sgpr10
	s_and_saveexec_b64 s[8:9], s[6:7]
	s_xor_b64 s[6:7], exec, s[8:9]
	s_cbranch_execnz .LBB15_3433
; %bb.1385:
	s_or_saveexec_b64 s[6:7], s[6:7]
	v_mov_b32_e32 v10, s10
	s_xor_b64 exec, exec, s[6:7]
	s_cbranch_execnz .LBB15_3436
.LBB15_1386:
	s_or_b64 exec, exec, s[6:7]
	s_and_saveexec_b64 s[6:7], s[4:5]
	s_cbranch_execz .LBB15_1388
.LBB15_1387:
	v_bfe_u32 v10, v17, 8, 3
	v_ffbh_u32_e32 v14, v10
	v_min_u32_e32 v14, 32, v14
	v_lshrrev_b16_e32 v12, 3, v11
	v_subrev_u32_e32 v15, 28, v14
	v_and_b32_e32 v12, 15, v12
	v_lshlrev_b32_e32 v11, v15, v11
	v_sub_u32_e32 v14, 29, v14
	v_and_b32_e32 v11, 7, v11
	v_cmp_eq_u16_e32 vcc, 0, v12
	v_cndmask_b32_e32 v10, v10, v11, vcc
	v_cndmask_b32_e32 v11, v12, v14, vcc
	v_lshlrev_b32_e32 v12, 16, v17
	v_mov_b32_e32 v14, 0x3b800000
	v_lshlrev_b32_e32 v10, 20, v10
	v_and_b32_e32 v12, 0x80000000, v12
	v_lshl_add_u32 v11, v11, 23, v14
	v_or3_b32 v10, v12, v11, v10
.LBB15_1388:
	s_or_b64 exec, exec, s[6:7]
	v_lshrrev_b32_e32 v11, 8, v13
	s_movk_i32 s4, 0x7f
	v_cmp_gt_i16_sdwa s[6:7], v11, s4 src0_sel:BYTE_0 src1_sel:DWORD
	s_mov_b64 s[4:5], 0
                                        ; implicit-def: $sgpr10
	s_and_saveexec_b64 s[8:9], s[6:7]
	s_xor_b64 s[6:7], exec, s[8:9]
	s_cbranch_execnz .LBB15_3437
; %bb.1389:
	s_or_saveexec_b64 s[6:7], s[6:7]
	v_mov_b32_e32 v12, s10
	s_xor_b64 exec, exec, s[6:7]
	s_cbranch_execnz .LBB15_3440
.LBB15_1390:
	s_or_b64 exec, exec, s[6:7]
	s_and_saveexec_b64 s[6:7], s[4:5]
	s_cbranch_execz .LBB15_1392
.LBB15_1391:
	v_bfe_u32 v12, v13, 8, 3
	v_ffbh_u32_e32 v15, v12
	v_min_u32_e32 v15, 32, v15
	v_lshrrev_b16_e32 v14, 3, v11
	v_subrev_u32_e32 v16, 28, v15
	v_and_b32_e32 v14, 15, v14
	v_lshlrev_b32_e32 v11, v16, v11
	v_sub_u32_e32 v15, 29, v15
	v_and_b32_e32 v11, 7, v11
	v_cmp_eq_u16_e32 vcc, 0, v14
	v_cndmask_b32_e32 v11, v12, v11, vcc
	v_cndmask_b32_e32 v12, v14, v15, vcc
	v_lshlrev_b32_e32 v14, 16, v13
	v_mov_b32_e32 v15, 0x3b800000
	v_lshlrev_b32_e32 v11, 20, v11
	v_and_b32_e32 v14, 0x80000000, v14
	v_lshl_add_u32 v12, v12, 23, v15
	v_or3_b32 v12, v14, v12, v11
.LBB15_1392:
	s_or_b64 exec, exec, s[6:7]
	s_nop 0
	v_mfma_f32_16x16x4f32 a[0:3], v10, v12, a[0:3]
	s_movk_i32 s4, 0xff
	v_and_b32_sdwa v11, v17, s4 dst_sel:DWORD dst_unused:UNUSED_PAD src0_sel:WORD_1 src1_sel:DWORD
	s_movk_i32 s4, 0x7f
	v_cmp_lt_i16_e32 vcc, s4, v11
	s_mov_b64 s[4:5], 0
                                        ; implicit-def: $sgpr10
	s_and_saveexec_b64 s[6:7], vcc
	s_xor_b64 s[6:7], exec, s[6:7]
	s_cbranch_execnz .LBB15_3441
; %bb.1393:
	s_or_saveexec_b64 s[6:7], s[6:7]
	v_mov_b32_e32 v10, s10
	s_xor_b64 exec, exec, s[6:7]
	s_cbranch_execnz .LBB15_3444
.LBB15_1394:
	s_or_b64 exec, exec, s[6:7]
	s_and_saveexec_b64 s[6:7], s[4:5]
	s_cbranch_execz .LBB15_1396
.LBB15_1395:
	v_bfe_u32 v10, v17, 16, 3
	v_ffbh_u32_e32 v14, v10
	v_min_u32_e32 v14, 32, v14
	v_lshrrev_b32_e32 v11, 19, v17
	v_subrev_u32_e32 v15, 28, v14
	v_and_b32_e32 v11, 15, v11
	v_lshlrev_b32_sdwa v15, v15, v17 dst_sel:DWORD dst_unused:UNUSED_PAD src0_sel:DWORD src1_sel:WORD_1
	v_bfe_u32 v12, v17, 19, 4
	v_sub_u32_e32 v14, 29, v14
	v_and_b32_e32 v15, 7, v15
	v_cmp_eq_u16_e32 vcc, 0, v11
	v_cndmask_b32_e32 v10, v10, v15, vcc
	v_cndmask_b32_e32 v11, v12, v14, vcc
	v_lshlrev_b32_e32 v12, 8, v17
	v_mov_b32_e32 v14, 0x3b800000
	v_lshlrev_b32_e32 v10, 20, v10
	v_and_b32_e32 v12, 0x80000000, v12
	v_lshl_add_u32 v11, v11, 23, v14
	v_or3_b32 v10, v12, v11, v10
.LBB15_1396:
	s_or_b64 exec, exec, s[6:7]
	s_movk_i32 s4, 0xff
	v_and_b32_sdwa v11, v13, s4 dst_sel:DWORD dst_unused:UNUSED_PAD src0_sel:WORD_1 src1_sel:DWORD
	s_movk_i32 s4, 0x7f
	v_cmp_lt_i16_e32 vcc, s4, v11
	s_mov_b64 s[4:5], 0
                                        ; implicit-def: $sgpr10
	s_and_saveexec_b64 s[6:7], vcc
	s_xor_b64 s[6:7], exec, s[6:7]
	s_cbranch_execnz .LBB15_3445
; %bb.1397:
	s_or_saveexec_b64 s[6:7], s[6:7]
	v_mov_b32_e32 v12, s10
	s_xor_b64 exec, exec, s[6:7]
	s_cbranch_execnz .LBB15_3448
.LBB15_1398:
	s_or_b64 exec, exec, s[6:7]
	s_and_saveexec_b64 s[6:7], s[4:5]
	s_cbranch_execz .LBB15_1400
.LBB15_1399:
	v_bfe_u32 v11, v13, 16, 3
	v_ffbh_u32_e32 v15, v11
	v_min_u32_e32 v15, 32, v15
	v_lshrrev_b32_e32 v12, 19, v13
	v_subrev_u32_e32 v16, 28, v15
	v_and_b32_e32 v12, 15, v12
	v_lshlrev_b32_sdwa v16, v16, v13 dst_sel:DWORD dst_unused:UNUSED_PAD src0_sel:DWORD src1_sel:WORD_1
	v_bfe_u32 v14, v13, 19, 4
	v_sub_u32_e32 v15, 29, v15
	v_and_b32_e32 v16, 7, v16
	v_cmp_eq_u16_e32 vcc, 0, v12
	v_cndmask_b32_e32 v11, v11, v16, vcc
	v_cndmask_b32_e32 v12, v14, v15, vcc
	v_lshlrev_b32_e32 v14, 8, v13
	v_mov_b32_e32 v15, 0x3b800000
	v_lshlrev_b32_e32 v11, 20, v11
	v_and_b32_e32 v14, 0x80000000, v14
	v_lshl_add_u32 v12, v12, 23, v15
	v_or3_b32 v12, v14, v12, v11
.LBB15_1400:
	s_or_b64 exec, exec, s[6:7]
	s_nop 0
	v_mfma_f32_16x16x4f32 a[0:3], v10, v12, a[0:3]
	s_movk_i32 s4, 0x7f
	v_cmp_gt_i16_sdwa s[6:7], v17, s4 src0_sel:BYTE_3 src1_sel:DWORD
	s_mov_b64 s[4:5], 0
                                        ; implicit-def: $sgpr10
	s_and_saveexec_b64 s[8:9], s[6:7]
	s_xor_b64 s[6:7], exec, s[8:9]
	s_cbranch_execnz .LBB15_3449
; %bb.1401:
	s_or_saveexec_b64 s[6:7], s[6:7]
	v_mov_b32_e32 v10, s10
	s_xor_b64 exec, exec, s[6:7]
	s_cbranch_execnz .LBB15_3452
.LBB15_1402:
	s_or_b64 exec, exec, s[6:7]
	s_and_saveexec_b64 s[6:7], s[4:5]
	s_cbranch_execz .LBB15_1404
.LBB15_1403:
	v_bfe_u32 v10, v17, 24, 3
	v_ffbh_u32_e32 v15, v10
	v_min_u32_e32 v15, 32, v15
	v_lshrrev_b32_e32 v12, 27, v17
	v_subrev_u32_e32 v16, 28, v15
	v_and_b32_e32 v12, 15, v12
	v_lshlrev_b32_sdwa v16, v16, v17 dst_sel:DWORD dst_unused:UNUSED_PAD src0_sel:DWORD src1_sel:BYTE_3
	v_bfe_u32 v14, v17, 27, 4
	v_sub_u32_e32 v15, 29, v15
	v_and_b32_e32 v16, 7, v16
	v_cmp_eq_u16_e32 vcc, 0, v12
	v_cndmask_b32_e32 v10, v10, v16, vcc
	v_cndmask_b32_e32 v12, v14, v15, vcc
	v_mov_b32_e32 v14, 0x3b800000
	v_and_b32_e32 v11, 0x80000000, v17
	v_lshlrev_b32_e32 v10, 20, v10
	v_lshl_add_u32 v12, v12, 23, v14
	v_or3_b32 v10, v11, v12, v10
.LBB15_1404:
	s_or_b64 exec, exec, s[6:7]
	s_movk_i32 s4, 0x7f
	v_cmp_gt_i16_sdwa s[6:7], v13, s4 src0_sel:BYTE_3 src1_sel:DWORD
	s_mov_b64 s[4:5], 0
                                        ; implicit-def: $sgpr10
	s_and_saveexec_b64 s[8:9], s[6:7]
	s_xor_b64 s[6:7], exec, s[8:9]
	s_cbranch_execnz .LBB15_3453
; %bb.1405:
	s_or_saveexec_b64 s[6:7], s[6:7]
	v_mov_b32_e32 v11, s10
	s_xor_b64 exec, exec, s[6:7]
	s_cbranch_execnz .LBB15_3456
.LBB15_1406:
	s_or_b64 exec, exec, s[6:7]
	s_and_saveexec_b64 s[6:7], s[4:5]
	s_cbranch_execz .LBB15_1408
.LBB15_1407:
	v_bfe_u32 v11, v13, 24, 3
	v_ffbh_u32_e32 v16, v11
	v_min_u32_e32 v16, 32, v16
	v_lshrrev_b32_e32 v14, 27, v13
	v_subrev_u32_e32 v17, 28, v16
	v_and_b32_e32 v12, 0x80000000, v13
	v_and_b32_e32 v14, 15, v14
	v_bfe_u32 v15, v13, 27, 4
	v_lshlrev_b32_sdwa v13, v17, v13 dst_sel:DWORD dst_unused:UNUSED_PAD src0_sel:DWORD src1_sel:BYTE_3
	v_sub_u32_e32 v16, 29, v16
	v_and_b32_e32 v13, 7, v13
	v_cmp_eq_u16_e32 vcc, 0, v14
	v_cndmask_b32_e32 v11, v11, v13, vcc
	v_cndmask_b32_e32 v13, v15, v16, vcc
	v_mov_b32_e32 v14, 0x3b800000
	v_lshlrev_b32_e32 v11, 20, v11
	v_lshl_add_u32 v13, v13, 23, v14
	v_or3_b32 v11, v12, v13, v11
.LBB15_1408:
	s_or_b64 exec, exec, s[6:7]
	s_nop 0
	v_mfma_f32_16x16x4f32 a[0:3], v10, v11, a[0:3]
	s_movk_i32 s4, 0x7f
	v_cmp_gt_i16_sdwa s[6:7], v6, s4 src0_sel:BYTE_0 src1_sel:DWORD
	s_mov_b64 s[4:5], 0
                                        ; implicit-def: $sgpr10
	s_and_saveexec_b64 s[8:9], s[6:7]
	s_xor_b64 s[6:7], exec, s[8:9]
	s_cbranch_execnz .LBB15_3457
; %bb.1409:
	s_or_saveexec_b64 s[6:7], s[6:7]
	v_mov_b32_e32 v10, s10
	s_xor_b64 exec, exec, s[6:7]
	s_cbranch_execnz .LBB15_3460
.LBB15_1410:
	s_or_b64 exec, exec, s[6:7]
	s_and_saveexec_b64 s[6:7], s[4:5]
	s_cbranch_execz .LBB15_1412
.LBB15_1411:
	v_and_b32_e32 v10, 7, v6
	v_ffbh_u32_e32 v12, v10
	v_min_u32_e32 v12, 32, v12
	v_lshrrev_b16_e32 v11, 3, v6
	v_subrev_u32_e32 v13, 28, v12
	v_and_b32_e32 v11, 15, v11
	v_lshlrev_b32_e32 v13, v13, v6
	v_sub_u32_e32 v12, 29, v12
	v_and_b32_e32 v13, 7, v13
	v_cmp_eq_u16_e32 vcc, 0, v11
	v_cndmask_b32_e32 v10, v10, v13, vcc
	v_cndmask_b32_e32 v11, v11, v12, vcc
	v_lshlrev_b32_e32 v12, 24, v6
	v_mov_b32_e32 v13, 0x3b800000
	v_lshlrev_b32_e32 v10, 20, v10
	v_and_b32_e32 v12, 0x80000000, v12
	v_lshl_add_u32 v11, v11, 23, v13
	v_or3_b32 v10, v12, v11, v10
.LBB15_1412:
	s_or_b64 exec, exec, s[6:7]
	s_movk_i32 s4, 0x7f
	v_cmp_gt_i16_sdwa s[6:7], v2, s4 src0_sel:BYTE_0 src1_sel:DWORD
	s_mov_b64 s[4:5], 0
                                        ; implicit-def: $sgpr10
	s_and_saveexec_b64 s[8:9], s[6:7]
	s_xor_b64 s[6:7], exec, s[8:9]
	s_cbranch_execnz .LBB15_3461
; %bb.1413:
	s_or_saveexec_b64 s[6:7], s[6:7]
	v_mov_b32_e32 v11, s10
	s_xor_b64 exec, exec, s[6:7]
	s_cbranch_execnz .LBB15_3464
.LBB15_1414:
	s_or_b64 exec, exec, s[6:7]
	s_and_saveexec_b64 s[6:7], s[4:5]
	s_cbranch_execz .LBB15_1416
.LBB15_1415:
	v_and_b32_e32 v11, 7, v2
	v_ffbh_u32_e32 v13, v11
	v_min_u32_e32 v13, 32, v13
	v_lshrrev_b16_e32 v12, 3, v2
	v_subrev_u32_e32 v14, 28, v13
	v_and_b32_e32 v12, 15, v12
	v_lshlrev_b32_e32 v14, v14, v2
	v_sub_u32_e32 v13, 29, v13
	v_and_b32_e32 v14, 7, v14
	v_cmp_eq_u16_e32 vcc, 0, v12
	v_cndmask_b32_e32 v11, v11, v14, vcc
	v_cndmask_b32_e32 v12, v12, v13, vcc
	v_lshlrev_b32_e32 v13, 24, v2
	v_mov_b32_e32 v14, 0x3b800000
	v_lshlrev_b32_e32 v11, 20, v11
	v_and_b32_e32 v13, 0x80000000, v13
	v_lshl_add_u32 v12, v12, 23, v14
	v_or3_b32 v11, v13, v12, v11
.LBB15_1416:
	s_or_b64 exec, exec, s[6:7]
	s_nop 0
	v_mfma_f32_16x16x4f32 a[0:3], v10, v11, a[0:3]
	v_lshrrev_b32_e32 v11, 8, v6
	s_movk_i32 s4, 0x7f
	v_cmp_gt_i16_sdwa s[6:7], v11, s4 src0_sel:BYTE_0 src1_sel:DWORD
	s_mov_b64 s[4:5], 0
                                        ; implicit-def: $sgpr10
	s_and_saveexec_b64 s[8:9], s[6:7]
	s_xor_b64 s[6:7], exec, s[8:9]
	s_cbranch_execnz .LBB15_3465
; %bb.1417:
	s_or_saveexec_b64 s[6:7], s[6:7]
	v_mov_b32_e32 v10, s10
	s_xor_b64 exec, exec, s[6:7]
	s_cbranch_execnz .LBB15_3468
.LBB15_1418:
	s_or_b64 exec, exec, s[6:7]
	s_and_saveexec_b64 s[6:7], s[4:5]
	s_cbranch_execz .LBB15_1420
.LBB15_1419:
	v_bfe_u32 v10, v6, 8, 3
	v_ffbh_u32_e32 v13, v10
	v_min_u32_e32 v13, 32, v13
	v_lshrrev_b16_e32 v12, 3, v11
	v_subrev_u32_e32 v14, 28, v13
	v_and_b32_e32 v12, 15, v12
	v_lshlrev_b32_e32 v11, v14, v11
	v_sub_u32_e32 v13, 29, v13
	v_and_b32_e32 v11, 7, v11
	v_cmp_eq_u16_e32 vcc, 0, v12
	v_cndmask_b32_e32 v10, v10, v11, vcc
	v_cndmask_b32_e32 v11, v12, v13, vcc
	v_lshlrev_b32_e32 v12, 16, v6
	v_mov_b32_e32 v13, 0x3b800000
	v_lshlrev_b32_e32 v10, 20, v10
	v_and_b32_e32 v12, 0x80000000, v12
	v_lshl_add_u32 v11, v11, 23, v13
	v_or3_b32 v10, v12, v11, v10
.LBB15_1420:
	s_or_b64 exec, exec, s[6:7]
	v_lshrrev_b32_e32 v11, 8, v2
	s_movk_i32 s4, 0x7f
	v_cmp_gt_i16_sdwa s[6:7], v11, s4 src0_sel:BYTE_0 src1_sel:DWORD
	s_mov_b64 s[4:5], 0
                                        ; implicit-def: $sgpr10
	s_and_saveexec_b64 s[8:9], s[6:7]
	s_xor_b64 s[6:7], exec, s[8:9]
	s_cbranch_execnz .LBB15_3469
; %bb.1421:
	s_or_saveexec_b64 s[6:7], s[6:7]
	v_mov_b32_e32 v12, s10
	s_xor_b64 exec, exec, s[6:7]
	s_cbranch_execnz .LBB15_3472
.LBB15_1422:
	s_or_b64 exec, exec, s[6:7]
	s_and_saveexec_b64 s[6:7], s[4:5]
	s_cbranch_execz .LBB15_1424
.LBB15_1423:
	v_bfe_u32 v12, v2, 8, 3
	v_ffbh_u32_e32 v14, v12
	v_min_u32_e32 v14, 32, v14
	v_lshrrev_b16_e32 v13, 3, v11
	v_subrev_u32_e32 v15, 28, v14
	v_and_b32_e32 v13, 15, v13
	v_lshlrev_b32_e32 v11, v15, v11
	v_sub_u32_e32 v14, 29, v14
	v_and_b32_e32 v11, 7, v11
	v_cmp_eq_u16_e32 vcc, 0, v13
	v_cndmask_b32_e32 v11, v12, v11, vcc
	v_cndmask_b32_e32 v12, v13, v14, vcc
	v_lshlrev_b32_e32 v13, 16, v2
	v_mov_b32_e32 v14, 0x3b800000
	v_lshlrev_b32_e32 v11, 20, v11
	v_and_b32_e32 v13, 0x80000000, v13
	v_lshl_add_u32 v12, v12, 23, v14
	v_or3_b32 v12, v13, v12, v11
.LBB15_1424:
	s_or_b64 exec, exec, s[6:7]
	s_nop 0
	v_mfma_f32_16x16x4f32 a[0:3], v10, v12, a[0:3]
	s_movk_i32 s4, 0xff
	v_and_b32_sdwa v11, v6, s4 dst_sel:DWORD dst_unused:UNUSED_PAD src0_sel:WORD_1 src1_sel:DWORD
	s_movk_i32 s4, 0x7f
	v_cmp_lt_i16_e32 vcc, s4, v11
	s_mov_b64 s[4:5], 0
                                        ; implicit-def: $sgpr10
	s_and_saveexec_b64 s[6:7], vcc
	s_xor_b64 s[6:7], exec, s[6:7]
	s_cbranch_execnz .LBB15_3473
; %bb.1425:
	s_or_saveexec_b64 s[6:7], s[6:7]
	v_mov_b32_e32 v10, s10
	s_xor_b64 exec, exec, s[6:7]
	s_cbranch_execnz .LBB15_3476
.LBB15_1426:
	s_or_b64 exec, exec, s[6:7]
	s_and_saveexec_b64 s[6:7], s[4:5]
	s_cbranch_execz .LBB15_1428
.LBB15_1427:
	v_bfe_u32 v10, v6, 16, 3
	v_ffbh_u32_e32 v13, v10
	v_min_u32_e32 v13, 32, v13
	v_lshrrev_b32_e32 v11, 19, v6
	v_subrev_u32_e32 v14, 28, v13
	v_and_b32_e32 v11, 15, v11
	v_lshlrev_b32_sdwa v14, v14, v6 dst_sel:DWORD dst_unused:UNUSED_PAD src0_sel:DWORD src1_sel:WORD_1
	v_bfe_u32 v12, v6, 19, 4
	v_sub_u32_e32 v13, 29, v13
	v_and_b32_e32 v14, 7, v14
	v_cmp_eq_u16_e32 vcc, 0, v11
	v_cndmask_b32_e32 v10, v10, v14, vcc
	v_cndmask_b32_e32 v11, v12, v13, vcc
	v_lshlrev_b32_e32 v12, 8, v6
	v_mov_b32_e32 v13, 0x3b800000
	v_lshlrev_b32_e32 v10, 20, v10
	v_and_b32_e32 v12, 0x80000000, v12
	v_lshl_add_u32 v11, v11, 23, v13
	v_or3_b32 v10, v12, v11, v10
.LBB15_1428:
	s_or_b64 exec, exec, s[6:7]
	s_movk_i32 s4, 0xff
	v_and_b32_sdwa v11, v2, s4 dst_sel:DWORD dst_unused:UNUSED_PAD src0_sel:WORD_1 src1_sel:DWORD
	s_movk_i32 s4, 0x7f
	v_cmp_lt_i16_e32 vcc, s4, v11
	s_mov_b64 s[4:5], 0
                                        ; implicit-def: $sgpr10
	s_and_saveexec_b64 s[6:7], vcc
	s_xor_b64 s[6:7], exec, s[6:7]
	s_cbranch_execnz .LBB15_3477
; %bb.1429:
	s_or_saveexec_b64 s[6:7], s[6:7]
	v_mov_b32_e32 v12, s10
	s_xor_b64 exec, exec, s[6:7]
	s_cbranch_execnz .LBB15_3480
.LBB15_1430:
	s_or_b64 exec, exec, s[6:7]
	s_and_saveexec_b64 s[6:7], s[4:5]
	s_cbranch_execz .LBB15_1432
.LBB15_1431:
	v_bfe_u32 v11, v2, 16, 3
	v_ffbh_u32_e32 v14, v11
	v_min_u32_e32 v14, 32, v14
	v_lshrrev_b32_e32 v12, 19, v2
	v_subrev_u32_e32 v15, 28, v14
	v_and_b32_e32 v12, 15, v12
	v_lshlrev_b32_sdwa v15, v15, v2 dst_sel:DWORD dst_unused:UNUSED_PAD src0_sel:DWORD src1_sel:WORD_1
	v_bfe_u32 v13, v2, 19, 4
	v_sub_u32_e32 v14, 29, v14
	v_and_b32_e32 v15, 7, v15
	v_cmp_eq_u16_e32 vcc, 0, v12
	v_cndmask_b32_e32 v11, v11, v15, vcc
	v_cndmask_b32_e32 v12, v13, v14, vcc
	v_lshlrev_b32_e32 v13, 8, v2
	v_mov_b32_e32 v14, 0x3b800000
	v_lshlrev_b32_e32 v11, 20, v11
	v_and_b32_e32 v13, 0x80000000, v13
	v_lshl_add_u32 v12, v12, 23, v14
	v_or3_b32 v12, v13, v12, v11
.LBB15_1432:
	s_or_b64 exec, exec, s[6:7]
	s_nop 0
	v_mfma_f32_16x16x4f32 a[0:3], v10, v12, a[0:3]
	s_movk_i32 s4, 0x7f
	v_cmp_gt_i16_sdwa s[6:7], v6, s4 src0_sel:BYTE_3 src1_sel:DWORD
	s_mov_b64 s[4:5], 0
                                        ; implicit-def: $sgpr10
	s_and_saveexec_b64 s[8:9], s[6:7]
	s_xor_b64 s[6:7], exec, s[8:9]
	s_cbranch_execnz .LBB15_3481
; %bb.1433:
	s_or_saveexec_b64 s[6:7], s[6:7]
	v_mov_b32_e32 v10, s10
	s_xor_b64 exec, exec, s[6:7]
	s_cbranch_execnz .LBB15_3484
.LBB15_1434:
	s_or_b64 exec, exec, s[6:7]
	s_and_saveexec_b64 s[6:7], s[4:5]
	s_cbranch_execz .LBB15_1436
.LBB15_1435:
	v_bfe_u32 v10, v6, 24, 3
	v_ffbh_u32_e32 v14, v10
	v_min_u32_e32 v14, 32, v14
	v_lshrrev_b32_e32 v12, 27, v6
	v_subrev_u32_e32 v15, 28, v14
	v_and_b32_e32 v11, 0x80000000, v6
	v_and_b32_e32 v12, 15, v12
	v_bfe_u32 v13, v6, 27, 4
	v_lshlrev_b32_sdwa v6, v15, v6 dst_sel:DWORD dst_unused:UNUSED_PAD src0_sel:DWORD src1_sel:BYTE_3
	v_sub_u32_e32 v14, 29, v14
	v_and_b32_e32 v6, 7, v6
	v_cmp_eq_u16_e32 vcc, 0, v12
	v_cndmask_b32_e32 v6, v10, v6, vcc
	v_cndmask_b32_e32 v10, v13, v14, vcc
	v_mov_b32_e32 v12, 0x3b800000
	v_lshlrev_b32_e32 v6, 20, v6
	v_lshl_add_u32 v10, v10, 23, v12
	v_or3_b32 v10, v11, v10, v6
.LBB15_1436:
	s_or_b64 exec, exec, s[6:7]
	s_movk_i32 s4, 0x7f
	v_cmp_gt_i16_sdwa s[6:7], v2, s4 src0_sel:BYTE_3 src1_sel:DWORD
	s_mov_b64 s[4:5], 0
                                        ; implicit-def: $sgpr10
	s_and_saveexec_b64 s[8:9], s[6:7]
	s_xor_b64 s[6:7], exec, s[8:9]
	s_cbranch_execnz .LBB15_3485
; %bb.1437:
	s_or_saveexec_b64 s[6:7], s[6:7]
	v_mov_b32_e32 v6, s10
	s_xor_b64 exec, exec, s[6:7]
	s_cbranch_execnz .LBB15_3488
.LBB15_1438:
	s_or_b64 exec, exec, s[6:7]
	s_and_saveexec_b64 s[6:7], s[4:5]
	s_cbranch_execz .LBB15_1440
.LBB15_1439:
	v_bfe_u32 v6, v2, 24, 3
	v_ffbh_u32_e32 v14, v6
	v_min_u32_e32 v14, 32, v14
	v_lshrrev_b32_e32 v12, 27, v2
	v_subrev_u32_e32 v15, 28, v14
	v_and_b32_e32 v11, 0x80000000, v2
	v_and_b32_e32 v12, 15, v12
	v_bfe_u32 v13, v2, 27, 4
	v_lshlrev_b32_sdwa v2, v15, v2 dst_sel:DWORD dst_unused:UNUSED_PAD src0_sel:DWORD src1_sel:BYTE_3
	v_sub_u32_e32 v14, 29, v14
	v_and_b32_e32 v2, 7, v2
	v_cmp_eq_u16_e32 vcc, 0, v12
	v_cndmask_b32_e32 v2, v6, v2, vcc
	v_cndmask_b32_e32 v6, v13, v14, vcc
	v_mov_b32_e32 v12, 0x3b800000
	v_lshlrev_b32_e32 v2, 20, v2
	v_lshl_add_u32 v6, v6, 23, v12
	v_or3_b32 v6, v11, v6, v2
.LBB15_1440:
	s_or_b64 exec, exec, s[6:7]
	s_nop 0
	v_mfma_f32_16x16x4f32 a[0:3], v10, v6, a[0:3]
	s_movk_i32 s4, 0x7f
	v_cmp_gt_i16_sdwa s[6:7], v7, s4 src0_sel:BYTE_0 src1_sel:DWORD
	s_mov_b64 s[4:5], 0
                                        ; implicit-def: $sgpr10
	s_and_saveexec_b64 s[8:9], s[6:7]
	s_xor_b64 s[6:7], exec, s[8:9]
	s_cbranch_execnz .LBB15_3489
; %bb.1441:
	s_or_saveexec_b64 s[6:7], s[6:7]
	v_mov_b32_e32 v2, s10
	s_xor_b64 exec, exec, s[6:7]
	s_cbranch_execnz .LBB15_3492
.LBB15_1442:
	s_or_b64 exec, exec, s[6:7]
	s_and_saveexec_b64 s[6:7], s[4:5]
	s_cbranch_execz .LBB15_1444
.LBB15_1443:
	v_and_b32_e32 v2, 7, v7
	v_ffbh_u32_e32 v10, v2
	v_min_u32_e32 v10, 32, v10
	v_lshrrev_b16_e32 v6, 3, v7
	v_subrev_u32_e32 v11, 28, v10
	v_and_b32_e32 v6, 15, v6
	v_lshlrev_b32_e32 v11, v11, v7
	v_sub_u32_e32 v10, 29, v10
	v_and_b32_e32 v11, 7, v11
	v_cmp_eq_u16_e32 vcc, 0, v6
	v_cndmask_b32_e32 v2, v2, v11, vcc
	v_cndmask_b32_e32 v6, v6, v10, vcc
	v_lshlrev_b32_e32 v10, 24, v7
	v_mov_b32_e32 v11, 0x3b800000
	v_lshlrev_b32_e32 v2, 20, v2
	v_and_b32_e32 v10, 0x80000000, v10
	v_lshl_add_u32 v6, v6, 23, v11
	v_or3_b32 v2, v10, v6, v2
.LBB15_1444:
	s_or_b64 exec, exec, s[6:7]
	s_movk_i32 s4, 0x7f
	v_cmp_gt_i16_sdwa s[6:7], v3, s4 src0_sel:BYTE_0 src1_sel:DWORD
	s_mov_b64 s[4:5], 0
                                        ; implicit-def: $sgpr10
	s_and_saveexec_b64 s[8:9], s[6:7]
	s_xor_b64 s[6:7], exec, s[8:9]
	s_cbranch_execnz .LBB15_3493
; %bb.1445:
	s_or_saveexec_b64 s[6:7], s[6:7]
	v_mov_b32_e32 v6, s10
	s_xor_b64 exec, exec, s[6:7]
	s_cbranch_execnz .LBB15_3496
.LBB15_1446:
	s_or_b64 exec, exec, s[6:7]
	s_and_saveexec_b64 s[6:7], s[4:5]
	s_cbranch_execz .LBB15_1448
.LBB15_1447:
	v_and_b32_e32 v6, 7, v3
	v_ffbh_u32_e32 v11, v6
	v_min_u32_e32 v11, 32, v11
	v_lshrrev_b16_e32 v10, 3, v3
	v_subrev_u32_e32 v12, 28, v11
	v_and_b32_e32 v10, 15, v10
	v_lshlrev_b32_e32 v12, v12, v3
	v_sub_u32_e32 v11, 29, v11
	v_and_b32_e32 v12, 7, v12
	v_cmp_eq_u16_e32 vcc, 0, v10
	v_cndmask_b32_e32 v6, v6, v12, vcc
	v_cndmask_b32_e32 v10, v10, v11, vcc
	v_lshlrev_b32_e32 v11, 24, v3
	v_mov_b32_e32 v12, 0x3b800000
	v_lshlrev_b32_e32 v6, 20, v6
	v_and_b32_e32 v11, 0x80000000, v11
	v_lshl_add_u32 v10, v10, 23, v12
	v_or3_b32 v6, v11, v10, v6
.LBB15_1448:
	s_or_b64 exec, exec, s[6:7]
	s_nop 0
	v_mfma_f32_16x16x4f32 a[0:3], v2, v6, a[0:3]
	v_lshrrev_b32_e32 v6, 8, v7
	s_movk_i32 s4, 0x7f
	v_cmp_gt_i16_sdwa s[6:7], v6, s4 src0_sel:BYTE_0 src1_sel:DWORD
	s_mov_b64 s[4:5], 0
                                        ; implicit-def: $sgpr10
	s_and_saveexec_b64 s[8:9], s[6:7]
	s_xor_b64 s[6:7], exec, s[8:9]
	s_cbranch_execnz .LBB15_3497
; %bb.1449:
	s_or_saveexec_b64 s[6:7], s[6:7]
	v_mov_b32_e32 v2, s10
	s_xor_b64 exec, exec, s[6:7]
	s_cbranch_execnz .LBB15_3500
.LBB15_1450:
	s_or_b64 exec, exec, s[6:7]
	s_and_saveexec_b64 s[6:7], s[4:5]
	s_cbranch_execz .LBB15_1452
.LBB15_1451:
	v_bfe_u32 v2, v7, 8, 3
	v_ffbh_u32_e32 v11, v2
	v_min_u32_e32 v11, 32, v11
	v_lshrrev_b16_e32 v10, 3, v6
	v_subrev_u32_e32 v12, 28, v11
	v_and_b32_e32 v10, 15, v10
	v_lshlrev_b32_e32 v6, v12, v6
	v_sub_u32_e32 v11, 29, v11
	v_and_b32_e32 v6, 7, v6
	v_cmp_eq_u16_e32 vcc, 0, v10
	v_cndmask_b32_e32 v2, v2, v6, vcc
	v_cndmask_b32_e32 v6, v10, v11, vcc
	v_lshlrev_b32_e32 v10, 16, v7
	v_mov_b32_e32 v11, 0x3b800000
	v_lshlrev_b32_e32 v2, 20, v2
	v_and_b32_e32 v10, 0x80000000, v10
	v_lshl_add_u32 v6, v6, 23, v11
	v_or3_b32 v2, v10, v6, v2
.LBB15_1452:
	s_or_b64 exec, exec, s[6:7]
	v_lshrrev_b32_e32 v6, 8, v3
	s_movk_i32 s4, 0x7f
	v_cmp_gt_i16_sdwa s[6:7], v6, s4 src0_sel:BYTE_0 src1_sel:DWORD
	s_mov_b64 s[4:5], 0
                                        ; implicit-def: $sgpr10
	s_and_saveexec_b64 s[8:9], s[6:7]
	s_xor_b64 s[6:7], exec, s[8:9]
	s_cbranch_execnz .LBB15_3501
; %bb.1453:
	s_or_saveexec_b64 s[6:7], s[6:7]
	v_mov_b32_e32 v10, s10
	s_xor_b64 exec, exec, s[6:7]
	s_cbranch_execnz .LBB15_3504
.LBB15_1454:
	s_or_b64 exec, exec, s[6:7]
	s_and_saveexec_b64 s[6:7], s[4:5]
	s_cbranch_execz .LBB15_1456
.LBB15_1455:
	v_bfe_u32 v10, v3, 8, 3
	v_ffbh_u32_e32 v12, v10
	v_min_u32_e32 v12, 32, v12
	v_lshrrev_b16_e32 v11, 3, v6
	v_subrev_u32_e32 v13, 28, v12
	v_and_b32_e32 v11, 15, v11
	v_lshlrev_b32_e32 v6, v13, v6
	v_sub_u32_e32 v12, 29, v12
	v_and_b32_e32 v6, 7, v6
	v_cmp_eq_u16_e32 vcc, 0, v11
	v_cndmask_b32_e32 v6, v10, v6, vcc
	v_cndmask_b32_e32 v10, v11, v12, vcc
	v_lshlrev_b32_e32 v11, 16, v3
	v_mov_b32_e32 v12, 0x3b800000
	v_lshlrev_b32_e32 v6, 20, v6
	v_and_b32_e32 v11, 0x80000000, v11
	v_lshl_add_u32 v10, v10, 23, v12
	v_or3_b32 v10, v11, v10, v6
.LBB15_1456:
	s_or_b64 exec, exec, s[6:7]
	s_nop 0
	v_mfma_f32_16x16x4f32 a[0:3], v2, v10, a[0:3]
	s_movk_i32 s4, 0xff
	v_and_b32_sdwa v6, v7, s4 dst_sel:DWORD dst_unused:UNUSED_PAD src0_sel:WORD_1 src1_sel:DWORD
	s_movk_i32 s4, 0x7f
	v_cmp_lt_i16_e32 vcc, s4, v6
	s_mov_b64 s[4:5], 0
                                        ; implicit-def: $sgpr10
	s_and_saveexec_b64 s[6:7], vcc
	s_xor_b64 s[6:7], exec, s[6:7]
	s_cbranch_execnz .LBB15_3505
; %bb.1457:
	s_or_saveexec_b64 s[6:7], s[6:7]
	v_mov_b32_e32 v2, s10
	s_xor_b64 exec, exec, s[6:7]
	s_cbranch_execnz .LBB15_3508
.LBB15_1458:
	s_or_b64 exec, exec, s[6:7]
	s_and_saveexec_b64 s[6:7], s[4:5]
	s_cbranch_execz .LBB15_1460
.LBB15_1459:
	v_bfe_u32 v2, v7, 16, 3
	v_ffbh_u32_e32 v11, v2
	v_min_u32_e32 v11, 32, v11
	v_lshrrev_b32_e32 v6, 19, v7
	v_subrev_u32_e32 v12, 28, v11
	v_and_b32_e32 v6, 15, v6
	v_lshlrev_b32_sdwa v12, v12, v7 dst_sel:DWORD dst_unused:UNUSED_PAD src0_sel:DWORD src1_sel:WORD_1
	v_bfe_u32 v10, v7, 19, 4
	v_sub_u32_e32 v11, 29, v11
	v_and_b32_e32 v12, 7, v12
	v_cmp_eq_u16_e32 vcc, 0, v6
	v_cndmask_b32_e32 v2, v2, v12, vcc
	v_cndmask_b32_e32 v6, v10, v11, vcc
	v_lshlrev_b32_e32 v10, 8, v7
	v_mov_b32_e32 v11, 0x3b800000
	v_lshlrev_b32_e32 v2, 20, v2
	v_and_b32_e32 v10, 0x80000000, v10
	v_lshl_add_u32 v6, v6, 23, v11
	v_or3_b32 v2, v10, v6, v2
.LBB15_1460:
	s_or_b64 exec, exec, s[6:7]
	s_movk_i32 s4, 0xff
	v_and_b32_sdwa v6, v3, s4 dst_sel:DWORD dst_unused:UNUSED_PAD src0_sel:WORD_1 src1_sel:DWORD
	s_movk_i32 s4, 0x7f
	v_cmp_lt_i16_e32 vcc, s4, v6
	s_mov_b64 s[4:5], 0
                                        ; implicit-def: $sgpr10
	s_and_saveexec_b64 s[6:7], vcc
	s_xor_b64 s[6:7], exec, s[6:7]
	s_cbranch_execnz .LBB15_3509
; %bb.1461:
	s_or_saveexec_b64 s[6:7], s[6:7]
	v_mov_b32_e32 v10, s10
	s_xor_b64 exec, exec, s[6:7]
	s_cbranch_execnz .LBB15_3512
.LBB15_1462:
	s_or_b64 exec, exec, s[6:7]
	s_and_saveexec_b64 s[6:7], s[4:5]
	s_cbranch_execz .LBB15_1464
.LBB15_1463:
	v_bfe_u32 v6, v3, 16, 3
	v_ffbh_u32_e32 v12, v6
	v_min_u32_e32 v12, 32, v12
	v_lshrrev_b32_e32 v10, 19, v3
	v_subrev_u32_e32 v13, 28, v12
	v_and_b32_e32 v10, 15, v10
	v_lshlrev_b32_sdwa v13, v13, v3 dst_sel:DWORD dst_unused:UNUSED_PAD src0_sel:DWORD src1_sel:WORD_1
	v_bfe_u32 v11, v3, 19, 4
	v_sub_u32_e32 v12, 29, v12
	v_and_b32_e32 v13, 7, v13
	v_cmp_eq_u16_e32 vcc, 0, v10
	v_cndmask_b32_e32 v6, v6, v13, vcc
	v_cndmask_b32_e32 v10, v11, v12, vcc
	v_lshlrev_b32_e32 v11, 8, v3
	v_mov_b32_e32 v12, 0x3b800000
	v_lshlrev_b32_e32 v6, 20, v6
	v_and_b32_e32 v11, 0x80000000, v11
	v_lshl_add_u32 v10, v10, 23, v12
	v_or3_b32 v10, v11, v10, v6
.LBB15_1464:
	s_or_b64 exec, exec, s[6:7]
	s_nop 0
	v_mfma_f32_16x16x4f32 a[0:3], v2, v10, a[0:3]
	s_movk_i32 s4, 0x7f
	v_cmp_gt_i16_sdwa s[6:7], v7, s4 src0_sel:BYTE_3 src1_sel:DWORD
	s_mov_b64 s[4:5], 0
                                        ; implicit-def: $sgpr10
	s_and_saveexec_b64 s[8:9], s[6:7]
	s_xor_b64 s[6:7], exec, s[8:9]
	s_cbranch_execnz .LBB15_3513
; %bb.1465:
	s_or_saveexec_b64 s[6:7], s[6:7]
	v_mov_b32_e32 v2, s10
	s_xor_b64 exec, exec, s[6:7]
	s_cbranch_execnz .LBB15_3516
.LBB15_1466:
	s_or_b64 exec, exec, s[6:7]
	s_and_saveexec_b64 s[6:7], s[4:5]
	s_cbranch_execz .LBB15_1468
.LBB15_1467:
	v_bfe_u32 v2, v7, 24, 3
	v_ffbh_u32_e32 v12, v2
	v_min_u32_e32 v12, 32, v12
	v_lshrrev_b32_e32 v10, 27, v7
	v_subrev_u32_e32 v13, 28, v12
	v_and_b32_e32 v6, 0x80000000, v7
	v_and_b32_e32 v10, 15, v10
	v_bfe_u32 v11, v7, 27, 4
	v_lshlrev_b32_sdwa v7, v13, v7 dst_sel:DWORD dst_unused:UNUSED_PAD src0_sel:DWORD src1_sel:BYTE_3
	v_sub_u32_e32 v12, 29, v12
	v_and_b32_e32 v7, 7, v7
	v_cmp_eq_u16_e32 vcc, 0, v10
	v_cndmask_b32_e32 v2, v2, v7, vcc
	v_cndmask_b32_e32 v7, v11, v12, vcc
	v_mov_b32_e32 v10, 0x3b800000
	v_lshlrev_b32_e32 v2, 20, v2
	v_lshl_add_u32 v7, v7, 23, v10
	v_or3_b32 v2, v6, v7, v2
.LBB15_1468:
	s_or_b64 exec, exec, s[6:7]
	s_movk_i32 s4, 0x7f
	v_cmp_gt_i16_sdwa s[6:7], v3, s4 src0_sel:BYTE_3 src1_sel:DWORD
	s_mov_b64 s[4:5], 0
                                        ; implicit-def: $sgpr10
	s_and_saveexec_b64 s[8:9], s[6:7]
	s_xor_b64 s[6:7], exec, s[8:9]
	s_cbranch_execnz .LBB15_3517
; %bb.1469:
	s_or_saveexec_b64 s[6:7], s[6:7]
	v_mov_b32_e32 v6, s10
	s_xor_b64 exec, exec, s[6:7]
	s_cbranch_execnz .LBB15_3520
.LBB15_1470:
	s_or_b64 exec, exec, s[6:7]
	s_and_saveexec_b64 s[6:7], s[4:5]
	s_cbranch_execz .LBB15_1472
.LBB15_1471:
	v_bfe_u32 v6, v3, 24, 3
	v_ffbh_u32_e32 v12, v6
	v_min_u32_e32 v12, 32, v12
	v_lshrrev_b32_e32 v10, 27, v3
	v_subrev_u32_e32 v13, 28, v12
	v_and_b32_e32 v7, 0x80000000, v3
	v_and_b32_e32 v10, 15, v10
	v_bfe_u32 v11, v3, 27, 4
	v_lshlrev_b32_sdwa v3, v13, v3 dst_sel:DWORD dst_unused:UNUSED_PAD src0_sel:DWORD src1_sel:BYTE_3
	v_sub_u32_e32 v12, 29, v12
	v_and_b32_e32 v3, 7, v3
	v_cmp_eq_u16_e32 vcc, 0, v10
	v_cndmask_b32_e32 v3, v6, v3, vcc
	v_cndmask_b32_e32 v6, v11, v12, vcc
	v_mov_b32_e32 v10, 0x3b800000
	v_lshlrev_b32_e32 v3, 20, v3
	v_lshl_add_u32 v6, v6, 23, v10
	v_or3_b32 v6, v7, v6, v3
.LBB15_1472:
	s_or_b64 exec, exec, s[6:7]
	s_nop 0
	v_mfma_f32_16x16x4f32 a[0:3], v2, v6, a[0:3]
	s_movk_i32 s4, 0x7f
	v_cmp_gt_i16_sdwa s[6:7], v8, s4 src0_sel:BYTE_0 src1_sel:DWORD
	s_mov_b64 s[4:5], 0
                                        ; implicit-def: $sgpr10
	s_and_saveexec_b64 s[8:9], s[6:7]
	s_xor_b64 s[6:7], exec, s[8:9]
	s_cbranch_execnz .LBB15_3521
; %bb.1473:
	s_or_saveexec_b64 s[6:7], s[6:7]
	v_mov_b32_e32 v2, s10
	s_xor_b64 exec, exec, s[6:7]
	s_cbranch_execnz .LBB15_3524
.LBB15_1474:
	s_or_b64 exec, exec, s[6:7]
	s_and_saveexec_b64 s[6:7], s[4:5]
	s_cbranch_execz .LBB15_1476
.LBB15_1475:
	v_and_b32_e32 v2, 7, v8
	v_ffbh_u32_e32 v6, v2
	v_min_u32_e32 v6, 32, v6
	v_lshrrev_b16_e32 v3, 3, v8
	v_subrev_u32_e32 v7, 28, v6
	v_and_b32_e32 v3, 15, v3
	v_lshlrev_b32_e32 v7, v7, v8
	v_sub_u32_e32 v6, 29, v6
	v_and_b32_e32 v7, 7, v7
	v_cmp_eq_u16_e32 vcc, 0, v3
	v_cndmask_b32_e32 v2, v2, v7, vcc
	v_cndmask_b32_e32 v3, v3, v6, vcc
	v_lshlrev_b32_e32 v6, 24, v8
	v_mov_b32_e32 v7, 0x3b800000
	v_lshlrev_b32_e32 v2, 20, v2
	v_and_b32_e32 v6, 0x80000000, v6
	v_lshl_add_u32 v3, v3, 23, v7
	v_or3_b32 v2, v6, v3, v2
.LBB15_1476:
	s_or_b64 exec, exec, s[6:7]
	s_movk_i32 s4, 0x7f
	v_cmp_gt_i16_sdwa s[6:7], v4, s4 src0_sel:BYTE_0 src1_sel:DWORD
	s_mov_b64 s[4:5], 0
                                        ; implicit-def: $sgpr10
	s_and_saveexec_b64 s[8:9], s[6:7]
	s_xor_b64 s[6:7], exec, s[8:9]
	s_cbranch_execnz .LBB15_3525
; %bb.1477:
	s_or_saveexec_b64 s[6:7], s[6:7]
	v_mov_b32_e32 v3, s10
	s_xor_b64 exec, exec, s[6:7]
	s_cbranch_execnz .LBB15_3528
.LBB15_1478:
	s_or_b64 exec, exec, s[6:7]
	s_and_saveexec_b64 s[6:7], s[4:5]
	s_cbranch_execz .LBB15_1480
.LBB15_1479:
	v_and_b32_e32 v3, 7, v4
	v_ffbh_u32_e32 v7, v3
	v_min_u32_e32 v7, 32, v7
	v_lshrrev_b16_e32 v6, 3, v4
	v_subrev_u32_e32 v10, 28, v7
	v_and_b32_e32 v6, 15, v6
	v_lshlrev_b32_e32 v10, v10, v4
	v_sub_u32_e32 v7, 29, v7
	v_and_b32_e32 v10, 7, v10
	v_cmp_eq_u16_e32 vcc, 0, v6
	v_cndmask_b32_e32 v3, v3, v10, vcc
	v_cndmask_b32_e32 v6, v6, v7, vcc
	v_lshlrev_b32_e32 v7, 24, v4
	v_mov_b32_e32 v10, 0x3b800000
	v_lshlrev_b32_e32 v3, 20, v3
	v_and_b32_e32 v7, 0x80000000, v7
	v_lshl_add_u32 v6, v6, 23, v10
	v_or3_b32 v3, v7, v6, v3
.LBB15_1480:
	s_or_b64 exec, exec, s[6:7]
	s_nop 0
	v_mfma_f32_16x16x4f32 a[0:3], v2, v3, a[0:3]
	v_lshrrev_b32_e32 v3, 8, v8
	s_movk_i32 s4, 0x7f
	v_cmp_gt_i16_sdwa s[6:7], v3, s4 src0_sel:BYTE_0 src1_sel:DWORD
	s_mov_b64 s[4:5], 0
                                        ; implicit-def: $sgpr10
	s_and_saveexec_b64 s[8:9], s[6:7]
	s_xor_b64 s[6:7], exec, s[8:9]
	s_cbranch_execnz .LBB15_3529
; %bb.1481:
	s_or_saveexec_b64 s[6:7], s[6:7]
	v_mov_b32_e32 v2, s10
	s_xor_b64 exec, exec, s[6:7]
	s_cbranch_execnz .LBB15_3532
.LBB15_1482:
	s_or_b64 exec, exec, s[6:7]
	s_and_saveexec_b64 s[6:7], s[4:5]
	s_cbranch_execz .LBB15_1484
.LBB15_1483:
	v_bfe_u32 v2, v8, 8, 3
	v_ffbh_u32_e32 v7, v2
	v_min_u32_e32 v7, 32, v7
	v_lshrrev_b16_e32 v6, 3, v3
	v_subrev_u32_e32 v10, 28, v7
	v_and_b32_e32 v6, 15, v6
	v_lshlrev_b32_e32 v3, v10, v3
	v_sub_u32_e32 v7, 29, v7
	v_and_b32_e32 v3, 7, v3
	v_cmp_eq_u16_e32 vcc, 0, v6
	v_cndmask_b32_e32 v2, v2, v3, vcc
	v_cndmask_b32_e32 v3, v6, v7, vcc
	v_lshlrev_b32_e32 v6, 16, v8
	v_mov_b32_e32 v7, 0x3b800000
	v_lshlrev_b32_e32 v2, 20, v2
	v_and_b32_e32 v6, 0x80000000, v6
	v_lshl_add_u32 v3, v3, 23, v7
	v_or3_b32 v2, v6, v3, v2
.LBB15_1484:
	s_or_b64 exec, exec, s[6:7]
	v_lshrrev_b32_e32 v3, 8, v4
	s_movk_i32 s4, 0x7f
	v_cmp_gt_i16_sdwa s[6:7], v3, s4 src0_sel:BYTE_0 src1_sel:DWORD
	s_mov_b64 s[4:5], 0
                                        ; implicit-def: $sgpr10
	s_and_saveexec_b64 s[8:9], s[6:7]
	s_xor_b64 s[6:7], exec, s[8:9]
	s_cbranch_execnz .LBB15_3533
; %bb.1485:
	s_or_saveexec_b64 s[6:7], s[6:7]
	v_mov_b32_e32 v6, s10
	s_xor_b64 exec, exec, s[6:7]
	s_cbranch_execnz .LBB15_3536
.LBB15_1486:
	s_or_b64 exec, exec, s[6:7]
	s_and_saveexec_b64 s[6:7], s[4:5]
	s_cbranch_execz .LBB15_1488
.LBB15_1487:
	v_bfe_u32 v6, v4, 8, 3
	v_ffbh_u32_e32 v10, v6
	v_min_u32_e32 v10, 32, v10
	v_lshrrev_b16_e32 v7, 3, v3
	v_subrev_u32_e32 v11, 28, v10
	v_and_b32_e32 v7, 15, v7
	v_lshlrev_b32_e32 v3, v11, v3
	v_sub_u32_e32 v10, 29, v10
	v_and_b32_e32 v3, 7, v3
	v_cmp_eq_u16_e32 vcc, 0, v7
	v_cndmask_b32_e32 v3, v6, v3, vcc
	v_cndmask_b32_e32 v6, v7, v10, vcc
	v_lshlrev_b32_e32 v7, 16, v4
	v_mov_b32_e32 v10, 0x3b800000
	v_lshlrev_b32_e32 v3, 20, v3
	v_and_b32_e32 v7, 0x80000000, v7
	v_lshl_add_u32 v6, v6, 23, v10
	v_or3_b32 v6, v7, v6, v3
.LBB15_1488:
	s_or_b64 exec, exec, s[6:7]
	s_nop 0
	v_mfma_f32_16x16x4f32 a[0:3], v2, v6, a[0:3]
	s_movk_i32 s4, 0xff
	v_and_b32_sdwa v3, v8, s4 dst_sel:DWORD dst_unused:UNUSED_PAD src0_sel:WORD_1 src1_sel:DWORD
	s_movk_i32 s4, 0x7f
	v_cmp_lt_i16_e32 vcc, s4, v3
	s_mov_b64 s[4:5], 0
                                        ; implicit-def: $sgpr10
	s_and_saveexec_b64 s[6:7], vcc
	s_xor_b64 s[6:7], exec, s[6:7]
	s_cbranch_execnz .LBB15_3537
; %bb.1489:
	s_or_saveexec_b64 s[6:7], s[6:7]
	v_mov_b32_e32 v2, s10
	s_xor_b64 exec, exec, s[6:7]
	s_cbranch_execnz .LBB15_3540
.LBB15_1490:
	s_or_b64 exec, exec, s[6:7]
	s_and_saveexec_b64 s[6:7], s[4:5]
	s_cbranch_execz .LBB15_1492
.LBB15_1491:
	v_bfe_u32 v2, v8, 16, 3
	v_ffbh_u32_e32 v7, v2
	v_min_u32_e32 v7, 32, v7
	v_lshrrev_b32_e32 v3, 19, v8
	v_subrev_u32_e32 v10, 28, v7
	v_and_b32_e32 v3, 15, v3
	v_lshlrev_b32_sdwa v10, v10, v8 dst_sel:DWORD dst_unused:UNUSED_PAD src0_sel:DWORD src1_sel:WORD_1
	v_bfe_u32 v6, v8, 19, 4
	v_sub_u32_e32 v7, 29, v7
	v_and_b32_e32 v10, 7, v10
	v_cmp_eq_u16_e32 vcc, 0, v3
	v_cndmask_b32_e32 v2, v2, v10, vcc
	v_cndmask_b32_e32 v3, v6, v7, vcc
	v_lshlrev_b32_e32 v6, 8, v8
	v_mov_b32_e32 v7, 0x3b800000
	v_lshlrev_b32_e32 v2, 20, v2
	v_and_b32_e32 v6, 0x80000000, v6
	v_lshl_add_u32 v3, v3, 23, v7
	v_or3_b32 v2, v6, v3, v2
.LBB15_1492:
	s_or_b64 exec, exec, s[6:7]
	s_movk_i32 s4, 0xff
	v_and_b32_sdwa v3, v4, s4 dst_sel:DWORD dst_unused:UNUSED_PAD src0_sel:WORD_1 src1_sel:DWORD
	s_movk_i32 s4, 0x7f
	v_cmp_lt_i16_e32 vcc, s4, v3
	s_mov_b64 s[4:5], 0
                                        ; implicit-def: $sgpr10
	s_and_saveexec_b64 s[6:7], vcc
	s_xor_b64 s[6:7], exec, s[6:7]
	s_cbranch_execnz .LBB15_3541
; %bb.1493:
	s_or_saveexec_b64 s[6:7], s[6:7]
	v_mov_b32_e32 v6, s10
	s_xor_b64 exec, exec, s[6:7]
	s_cbranch_execnz .LBB15_3544
.LBB15_1494:
	s_or_b64 exec, exec, s[6:7]
	s_and_saveexec_b64 s[6:7], s[4:5]
	s_cbranch_execz .LBB15_1496
.LBB15_1495:
	v_bfe_u32 v3, v4, 16, 3
	v_ffbh_u32_e32 v10, v3
	v_min_u32_e32 v10, 32, v10
	v_lshrrev_b32_e32 v6, 19, v4
	v_subrev_u32_e32 v11, 28, v10
	v_and_b32_e32 v6, 15, v6
	v_lshlrev_b32_sdwa v11, v11, v4 dst_sel:DWORD dst_unused:UNUSED_PAD src0_sel:DWORD src1_sel:WORD_1
	v_bfe_u32 v7, v4, 19, 4
	v_sub_u32_e32 v10, 29, v10
	v_and_b32_e32 v11, 7, v11
	v_cmp_eq_u16_e32 vcc, 0, v6
	v_cndmask_b32_e32 v3, v3, v11, vcc
	v_cndmask_b32_e32 v6, v7, v10, vcc
	v_lshlrev_b32_e32 v7, 8, v4
	v_mov_b32_e32 v10, 0x3b800000
	v_lshlrev_b32_e32 v3, 20, v3
	v_and_b32_e32 v7, 0x80000000, v7
	v_lshl_add_u32 v6, v6, 23, v10
	v_or3_b32 v6, v7, v6, v3
.LBB15_1496:
	s_or_b64 exec, exec, s[6:7]
	s_nop 0
	v_mfma_f32_16x16x4f32 a[0:3], v2, v6, a[0:3]
	s_movk_i32 s4, 0x7f
	v_cmp_gt_i16_sdwa s[6:7], v8, s4 src0_sel:BYTE_3 src1_sel:DWORD
	s_mov_b64 s[4:5], 0
                                        ; implicit-def: $sgpr10
	s_and_saveexec_b64 s[8:9], s[6:7]
	s_xor_b64 s[6:7], exec, s[8:9]
	s_cbranch_execnz .LBB15_3545
; %bb.1497:
	s_or_saveexec_b64 s[6:7], s[6:7]
	v_mov_b32_e32 v2, s10
	s_xor_b64 exec, exec, s[6:7]
	s_cbranch_execnz .LBB15_3548
.LBB15_1498:
	s_or_b64 exec, exec, s[6:7]
	s_and_saveexec_b64 s[6:7], s[4:5]
	s_cbranch_execz .LBB15_1500
.LBB15_1499:
	v_bfe_u32 v2, v8, 24, 3
	v_ffbh_u32_e32 v10, v2
	v_min_u32_e32 v10, 32, v10
	v_lshrrev_b32_e32 v6, 27, v8
	v_subrev_u32_e32 v11, 28, v10
	v_and_b32_e32 v3, 0x80000000, v8
	v_and_b32_e32 v6, 15, v6
	v_bfe_u32 v7, v8, 27, 4
	v_lshlrev_b32_sdwa v8, v11, v8 dst_sel:DWORD dst_unused:UNUSED_PAD src0_sel:DWORD src1_sel:BYTE_3
	v_sub_u32_e32 v10, 29, v10
	v_and_b32_e32 v8, 7, v8
	v_cmp_eq_u16_e32 vcc, 0, v6
	v_cndmask_b32_e32 v2, v2, v8, vcc
	v_cndmask_b32_e32 v6, v7, v10, vcc
	v_mov_b32_e32 v7, 0x3b800000
	v_lshlrev_b32_e32 v2, 20, v2
	v_lshl_add_u32 v6, v6, 23, v7
	v_or3_b32 v2, v3, v6, v2
.LBB15_1500:
	s_or_b64 exec, exec, s[6:7]
	s_movk_i32 s4, 0x7f
	v_cmp_gt_i16_sdwa s[6:7], v4, s4 src0_sel:BYTE_3 src1_sel:DWORD
	s_mov_b64 s[4:5], 0
                                        ; implicit-def: $sgpr10
	s_and_saveexec_b64 s[8:9], s[6:7]
	s_xor_b64 s[6:7], exec, s[8:9]
	s_cbranch_execnz .LBB15_3549
; %bb.1501:
	s_or_saveexec_b64 s[6:7], s[6:7]
	v_mov_b32_e32 v3, s10
	s_xor_b64 exec, exec, s[6:7]
	s_cbranch_execnz .LBB15_3552
.LBB15_1502:
	s_or_b64 exec, exec, s[6:7]
	s_and_saveexec_b64 s[6:7], s[4:5]
	s_cbranch_execz .LBB15_1504
.LBB15_1503:
	v_bfe_u32 v3, v4, 24, 3
	v_ffbh_u32_e32 v10, v3
	v_min_u32_e32 v10, 32, v10
	v_lshrrev_b32_e32 v7, 27, v4
	v_subrev_u32_e32 v11, 28, v10
	v_and_b32_e32 v6, 0x80000000, v4
	v_and_b32_e32 v7, 15, v7
	v_bfe_u32 v8, v4, 27, 4
	v_lshlrev_b32_sdwa v4, v11, v4 dst_sel:DWORD dst_unused:UNUSED_PAD src0_sel:DWORD src1_sel:BYTE_3
	v_sub_u32_e32 v10, 29, v10
	v_and_b32_e32 v4, 7, v4
	v_cmp_eq_u16_e32 vcc, 0, v7
	v_cndmask_b32_e32 v3, v3, v4, vcc
	v_cndmask_b32_e32 v4, v8, v10, vcc
	v_mov_b32_e32 v7, 0x3b800000
	v_lshlrev_b32_e32 v3, 20, v3
	v_lshl_add_u32 v4, v4, 23, v7
	v_or3_b32 v3, v6, v4, v3
.LBB15_1504:
	s_or_b64 exec, exec, s[6:7]
	s_nop 0
	v_mfma_f32_16x16x4f32 a[0:3], v2, v3, a[0:3]
	s_movk_i32 s4, 0x7f
	v_cmp_gt_i16_sdwa s[6:7], v9, s4 src0_sel:BYTE_0 src1_sel:DWORD
	s_mov_b64 s[4:5], 0
                                        ; implicit-def: $sgpr10
	s_and_saveexec_b64 s[8:9], s[6:7]
	s_xor_b64 s[6:7], exec, s[8:9]
	s_cbranch_execnz .LBB15_3553
; %bb.1505:
	s_or_saveexec_b64 s[6:7], s[6:7]
	v_mov_b32_e32 v2, s10
	s_xor_b64 exec, exec, s[6:7]
	s_cbranch_execnz .LBB15_3556
.LBB15_1506:
	s_or_b64 exec, exec, s[6:7]
	s_and_saveexec_b64 s[6:7], s[4:5]
	s_cbranch_execz .LBB15_1508
.LBB15_1507:
	v_mov_b32_e32 v2, 8
	v_and_b32_e32 v3, 7, v9
	v_lshrrev_b32_sdwa v2, v2, v9 dst_sel:BYTE_1 dst_unused:UNUSED_PAD src0_sel:DWORD src1_sel:DWORD
	v_ffbh_u32_e32 v4, v3
	v_or_b32_sdwa v2, v9, v2 dst_sel:DWORD dst_unused:UNUSED_PAD src0_sel:BYTE_0 src1_sel:DWORD
	v_min_u32_e32 v4, 32, v4
	v_lshrrev_b16_e32 v2, 3, v2
	v_subrev_u32_e32 v6, 28, v4
	v_and_b32_e32 v2, 15, v2
	v_lshlrev_b32_e32 v6, v6, v9
	v_sub_u32_e32 v4, 29, v4
	v_and_b32_e32 v6, 7, v6
	v_cmp_eq_u16_e32 vcc, 0, v2
	v_cndmask_b32_e32 v3, v3, v6, vcc
	v_cndmask_b32_e32 v2, v2, v4, vcc
	v_lshlrev_b32_e32 v4, 24, v9
	v_mov_b32_e32 v6, 0x3b800000
	v_lshlrev_b32_e32 v3, 20, v3
	v_and_b32_e32 v4, 0x80000000, v4
	v_lshl_add_u32 v2, v2, 23, v6
	v_or3_b32 v2, v4, v2, v3
.LBB15_1508:
	s_or_b64 exec, exec, s[6:7]
	s_movk_i32 s4, 0x7f
	v_cmp_gt_i16_sdwa s[6:7], v5, s4 src0_sel:BYTE_0 src1_sel:DWORD
	s_mov_b64 s[4:5], 0
                                        ; implicit-def: $sgpr10
	s_and_saveexec_b64 s[8:9], s[6:7]
	s_xor_b64 s[6:7], exec, s[8:9]
	s_cbranch_execnz .LBB15_3557
; %bb.1509:
	s_or_saveexec_b64 s[6:7], s[6:7]
	v_mov_b32_e32 v3, s10
	s_xor_b64 exec, exec, s[6:7]
	s_cbranch_execnz .LBB15_3560
.LBB15_1510:
	s_or_b64 exec, exec, s[6:7]
	s_and_saveexec_b64 s[6:7], s[4:5]
	s_cbranch_execz .LBB15_1512
.LBB15_1511:
	v_mov_b32_e32 v3, 8
	v_and_b32_e32 v4, 7, v5
	v_lshrrev_b32_sdwa v3, v3, v5 dst_sel:BYTE_1 dst_unused:UNUSED_PAD src0_sel:DWORD src1_sel:DWORD
	v_ffbh_u32_e32 v6, v4
	v_or_b32_sdwa v3, v5, v3 dst_sel:DWORD dst_unused:UNUSED_PAD src0_sel:BYTE_0 src1_sel:DWORD
	v_min_u32_e32 v6, 32, v6
	v_lshrrev_b16_e32 v3, 3, v3
	v_subrev_u32_e32 v7, 28, v6
	v_and_b32_e32 v3, 15, v3
	v_lshlrev_b32_e32 v7, v7, v5
	v_sub_u32_e32 v6, 29, v6
	v_and_b32_e32 v7, 7, v7
	v_cmp_eq_u16_e32 vcc, 0, v3
	v_cndmask_b32_e32 v4, v4, v7, vcc
	v_cndmask_b32_e32 v3, v3, v6, vcc
	v_lshlrev_b32_e32 v6, 24, v5
	v_mov_b32_e32 v7, 0x3b800000
	v_lshlrev_b32_e32 v4, 20, v4
	v_and_b32_e32 v6, 0x80000000, v6
	v_lshl_add_u32 v3, v3, 23, v7
	v_or3_b32 v3, v6, v3, v4
.LBB15_1512:
	s_or_b64 exec, exec, s[6:7]
	s_nop 0
	v_mfma_f32_16x16x4f32 a[0:3], v2, v3, a[0:3]
	v_lshrrev_b32_e32 v3, 8, v9
	s_movk_i32 s4, 0x7f
	v_cmp_gt_i16_sdwa s[6:7], v3, s4 src0_sel:BYTE_0 src1_sel:DWORD
	s_mov_b64 s[4:5], 0
                                        ; implicit-def: $sgpr10
	s_and_saveexec_b64 s[8:9], s[6:7]
	s_xor_b64 s[6:7], exec, s[8:9]
	s_cbranch_execnz .LBB15_3561
; %bb.1513:
	s_or_saveexec_b64 s[6:7], s[6:7]
	v_mov_b32_e32 v2, s10
	s_xor_b64 exec, exec, s[6:7]
	s_cbranch_execnz .LBB15_3564
.LBB15_1514:
	s_or_b64 exec, exec, s[6:7]
	s_and_saveexec_b64 s[6:7], s[4:5]
	s_cbranch_execz .LBB15_1516
.LBB15_1515:
	v_bfe_u32 v2, v9, 8, 3
	v_ffbh_u32_e32 v6, v2
	v_min_u32_e32 v6, 32, v6
	v_lshrrev_b16_e32 v4, 3, v3
	v_subrev_u32_e32 v7, 28, v6
	v_and_b32_e32 v4, 15, v4
	v_lshlrev_b32_e32 v3, v7, v3
	v_sub_u32_e32 v6, 29, v6
	v_and_b32_e32 v3, 7, v3
	v_cmp_eq_u16_e32 vcc, 0, v4
	v_cndmask_b32_e32 v2, v2, v3, vcc
	v_cndmask_b32_e32 v3, v4, v6, vcc
	v_lshlrev_b32_e32 v4, 16, v9
	v_mov_b32_e32 v6, 0x3b800000
	v_lshlrev_b32_e32 v2, 20, v2
	v_and_b32_e32 v4, 0x80000000, v4
	v_lshl_add_u32 v3, v3, 23, v6
	v_or3_b32 v2, v4, v3, v2
.LBB15_1516:
	s_or_b64 exec, exec, s[6:7]
	v_lshrrev_b32_e32 v3, 8, v5
	s_movk_i32 s4, 0x7f
	v_cmp_gt_i16_sdwa s[6:7], v3, s4 src0_sel:BYTE_0 src1_sel:DWORD
	s_mov_b64 s[4:5], 0
                                        ; implicit-def: $sgpr10
	s_and_saveexec_b64 s[8:9], s[6:7]
	s_xor_b64 s[6:7], exec, s[8:9]
	s_cbranch_execnz .LBB15_3565
; %bb.1517:
	s_or_saveexec_b64 s[6:7], s[6:7]
	v_mov_b32_e32 v4, s10
	s_xor_b64 exec, exec, s[6:7]
	s_cbranch_execnz .LBB15_3568
.LBB15_1518:
	s_or_b64 exec, exec, s[6:7]
	s_and_saveexec_b64 s[6:7], s[4:5]
	s_cbranch_execz .LBB15_1520
.LBB15_1519:
	v_bfe_u32 v4, v5, 8, 3
	v_ffbh_u32_e32 v7, v4
	v_min_u32_e32 v7, 32, v7
	v_lshrrev_b16_e32 v6, 3, v3
	v_subrev_u32_e32 v8, 28, v7
	v_and_b32_e32 v6, 15, v6
	v_lshlrev_b32_e32 v3, v8, v3
	v_sub_u32_e32 v7, 29, v7
	v_and_b32_e32 v3, 7, v3
	v_cmp_eq_u16_e32 vcc, 0, v6
	v_cndmask_b32_e32 v3, v4, v3, vcc
	v_cndmask_b32_e32 v4, v6, v7, vcc
	v_lshlrev_b32_e32 v6, 16, v5
	v_mov_b32_e32 v7, 0x3b800000
	v_lshlrev_b32_e32 v3, 20, v3
	v_and_b32_e32 v6, 0x80000000, v6
	v_lshl_add_u32 v4, v4, 23, v7
	v_or3_b32 v4, v6, v4, v3
.LBB15_1520:
	s_or_b64 exec, exec, s[6:7]
	s_nop 0
	v_mfma_f32_16x16x4f32 a[0:3], v2, v4, a[0:3]
	s_movk_i32 s4, 0xff
	v_and_b32_sdwa v3, v9, s4 dst_sel:DWORD dst_unused:UNUSED_PAD src0_sel:WORD_1 src1_sel:DWORD
	s_movk_i32 s4, 0x7f
	v_cmp_lt_i16_e32 vcc, s4, v3
	s_mov_b64 s[4:5], 0
                                        ; implicit-def: $sgpr10
	s_and_saveexec_b64 s[6:7], vcc
	s_xor_b64 s[6:7], exec, s[6:7]
	s_cbranch_execnz .LBB15_3569
; %bb.1521:
	s_or_saveexec_b64 s[6:7], s[6:7]
	v_mov_b32_e32 v2, s10
	s_xor_b64 exec, exec, s[6:7]
	s_cbranch_execnz .LBB15_3572
.LBB15_1522:
	s_or_b64 exec, exec, s[6:7]
	s_and_saveexec_b64 s[6:7], s[4:5]
	s_cbranch_execz .LBB15_1524
.LBB15_1523:
	v_bfe_u32 v2, v9, 16, 3
	v_ffbh_u32_e32 v6, v2
	v_min_u32_e32 v6, 32, v6
	v_lshrrev_b32_e32 v3, 19, v9
	v_subrev_u32_e32 v7, 28, v6
	v_and_b32_e32 v3, 15, v3
	v_lshlrev_b32_sdwa v7, v7, v9 dst_sel:DWORD dst_unused:UNUSED_PAD src0_sel:DWORD src1_sel:WORD_1
	v_bfe_u32 v4, v9, 19, 4
	v_sub_u32_e32 v6, 29, v6
	v_and_b32_e32 v7, 7, v7
	v_cmp_eq_u16_e32 vcc, 0, v3
	v_cndmask_b32_e32 v2, v2, v7, vcc
	v_cndmask_b32_e32 v3, v4, v6, vcc
	v_lshlrev_b32_e32 v4, 8, v9
	v_mov_b32_e32 v6, 0x3b800000
	v_lshlrev_b32_e32 v2, 20, v2
	v_and_b32_e32 v4, 0x80000000, v4
	v_lshl_add_u32 v3, v3, 23, v6
	v_or3_b32 v2, v4, v3, v2
.LBB15_1524:
	s_or_b64 exec, exec, s[6:7]
	s_movk_i32 s4, 0xff
	v_and_b32_sdwa v3, v5, s4 dst_sel:DWORD dst_unused:UNUSED_PAD src0_sel:WORD_1 src1_sel:DWORD
	s_movk_i32 s4, 0x7f
	v_cmp_lt_i16_e32 vcc, s4, v3
	s_mov_b64 s[4:5], 0
                                        ; implicit-def: $sgpr10
	s_and_saveexec_b64 s[6:7], vcc
	s_xor_b64 s[6:7], exec, s[6:7]
	s_cbranch_execnz .LBB15_3573
; %bb.1525:
	s_or_saveexec_b64 s[6:7], s[6:7]
	v_mov_b32_e32 v4, s10
	s_xor_b64 exec, exec, s[6:7]
	s_cbranch_execnz .LBB15_3576
.LBB15_1526:
	s_or_b64 exec, exec, s[6:7]
	s_and_saveexec_b64 s[6:7], s[4:5]
	s_cbranch_execz .LBB15_1528
.LBB15_1527:
	v_bfe_u32 v3, v5, 16, 3
	v_ffbh_u32_e32 v7, v3
	v_min_u32_e32 v7, 32, v7
	v_lshrrev_b32_e32 v4, 19, v5
	v_subrev_u32_e32 v8, 28, v7
	v_and_b32_e32 v4, 15, v4
	v_lshlrev_b32_sdwa v8, v8, v5 dst_sel:DWORD dst_unused:UNUSED_PAD src0_sel:DWORD src1_sel:WORD_1
	v_bfe_u32 v6, v5, 19, 4
	v_sub_u32_e32 v7, 29, v7
	v_and_b32_e32 v8, 7, v8
	v_cmp_eq_u16_e32 vcc, 0, v4
	v_cndmask_b32_e32 v3, v3, v8, vcc
	v_cndmask_b32_e32 v4, v6, v7, vcc
	v_lshlrev_b32_e32 v6, 8, v5
	v_mov_b32_e32 v7, 0x3b800000
	v_lshlrev_b32_e32 v3, 20, v3
	v_and_b32_e32 v6, 0x80000000, v6
	v_lshl_add_u32 v4, v4, 23, v7
	v_or3_b32 v4, v6, v4, v3
.LBB15_1528:
	s_or_b64 exec, exec, s[6:7]
	s_nop 0
	v_mfma_f32_16x16x4f32 a[0:3], v2, v4, a[0:3]
	s_movk_i32 s4, 0x7f
	v_cmp_gt_i16_sdwa s[6:7], v9, s4 src0_sel:BYTE_3 src1_sel:DWORD
	s_mov_b64 s[4:5], 0
                                        ; implicit-def: $sgpr10
	s_and_saveexec_b64 s[8:9], s[6:7]
	s_xor_b64 s[6:7], exec, s[8:9]
	s_cbranch_execnz .LBB15_3577
; %bb.1529:
	s_or_saveexec_b64 s[6:7], s[6:7]
	v_mov_b32_e32 v2, s10
	s_xor_b64 exec, exec, s[6:7]
	s_cbranch_execnz .LBB15_3580
.LBB15_1530:
	s_or_b64 exec, exec, s[6:7]
	s_and_saveexec_b64 s[6:7], s[4:5]
	s_cbranch_execz .LBB15_1532
.LBB15_1531:
	v_bfe_u32 v2, v9, 24, 3
	v_ffbh_u32_e32 v7, v2
	v_min_u32_e32 v7, 32, v7
	v_lshrrev_b32_e32 v4, 27, v9
	v_subrev_u32_e32 v8, 28, v7
	v_and_b32_e32 v4, 15, v4
	v_lshlrev_b32_sdwa v8, v8, v9 dst_sel:DWORD dst_unused:UNUSED_PAD src0_sel:DWORD src1_sel:BYTE_3
	v_bfe_u32 v6, v9, 27, 4
	v_sub_u32_e32 v7, 29, v7
	v_and_b32_e32 v8, 7, v8
	v_cmp_eq_u16_e32 vcc, 0, v4
	v_cndmask_b32_e32 v2, v2, v8, vcc
	v_cndmask_b32_e32 v4, v6, v7, vcc
	v_mov_b32_e32 v6, 0x3b800000
	v_and_b32_e32 v3, 0x80000000, v9
	v_lshlrev_b32_e32 v2, 20, v2
	v_lshl_add_u32 v4, v4, 23, v6
	v_or3_b32 v2, v3, v4, v2
.LBB15_1532:
	s_or_b64 exec, exec, s[6:7]
	s_movk_i32 s4, 0x7f
	v_cmp_gt_i16_sdwa s[6:7], v5, s4 src0_sel:BYTE_3 src1_sel:DWORD
	s_mov_b64 s[4:5], 0
                                        ; implicit-def: $sgpr10
	s_and_saveexec_b64 s[8:9], s[6:7]
	s_xor_b64 s[6:7], exec, s[8:9]
	s_cbranch_execnz .LBB15_3581
; %bb.1533:
	s_or_saveexec_b64 s[6:7], s[6:7]
	v_mov_b32_e32 v3, s10
	s_xor_b64 exec, exec, s[6:7]
	s_cbranch_execnz .LBB15_3584
.LBB15_1534:
	s_or_b64 exec, exec, s[6:7]
	s_and_saveexec_b64 s[6:7], s[4:5]
	s_cbranch_execz .LBB15_1536
.LBB15_1535:
	v_bfe_u32 v3, v5, 24, 3
	v_ffbh_u32_e32 v8, v3
	v_min_u32_e32 v8, 32, v8
	v_lshrrev_b32_e32 v6, 27, v5
	v_subrev_u32_e32 v9, 28, v8
	v_and_b32_e32 v4, 0x80000000, v5
	v_and_b32_e32 v6, 15, v6
	v_bfe_u32 v7, v5, 27, 4
	v_lshlrev_b32_sdwa v5, v9, v5 dst_sel:DWORD dst_unused:UNUSED_PAD src0_sel:DWORD src1_sel:BYTE_3
	v_sub_u32_e32 v8, 29, v8
	v_and_b32_e32 v5, 7, v5
	v_cmp_eq_u16_e32 vcc, 0, v6
	v_cndmask_b32_e32 v3, v3, v5, vcc
	v_cndmask_b32_e32 v5, v7, v8, vcc
	v_mov_b32_e32 v6, 0x3b800000
	v_lshlrev_b32_e32 v3, 20, v3
	v_lshl_add_u32 v5, v5, 23, v6
	v_or3_b32 v3, v4, v5, v3
.LBB15_1536:
	s_or_b64 exec, exec, s[6:7]
	s_nop 0
	v_mfma_f32_16x16x4f32 a[0:3], v2, v3, a[0:3]
	s_movk_i32 s4, 0x7f
                                        ; implicit-def: $sgpr10
	s_nop 7
	s_nop 1
	flat_store_dwordx4 v[18:19], a[0:3] offset:720
	flat_load_dwordx4 v[20:23], v[0:1] offset:16
	s_nop 0
	flat_load_dwordx2 v[18:19], v[0:1] offset:32
	s_waitcnt vmcnt(0) lgkmcnt(0)
	flat_load_dwordx4 v[14:17], v[20:21] offset:32
	flat_load_dwordx4 v[6:9], v[20:21] offset:48
	;; [unrolled: 1-line block ×4, first 2 shown]
	s_waitcnt vmcnt(0) lgkmcnt(0)
	v_cmp_gt_i16_sdwa s[6:7], v14, s4 src0_sel:BYTE_0 src1_sel:DWORD
	s_mov_b64 s[4:5], 0
	s_and_saveexec_b64 s[8:9], s[6:7]
	s_xor_b64 s[6:7], exec, s[8:9]
	s_cbranch_execnz .LBB15_3585
; %bb.1537:
	s_or_saveexec_b64 s[6:7], s[6:7]
	v_mov_b32_e32 v20, s10
	s_xor_b64 exec, exec, s[6:7]
	s_cbranch_execnz .LBB15_3588
.LBB15_1538:
	s_or_b64 exec, exec, s[6:7]
	s_and_saveexec_b64 s[6:7], s[4:5]
	s_cbranch_execz .LBB15_1540
.LBB15_1539:
	v_and_b32_e32 v20, 7, v14
	v_ffbh_u32_e32 v22, v20
	v_min_u32_e32 v22, 32, v22
	v_lshrrev_b16_e32 v21, 3, v14
	v_subrev_u32_e32 v23, 28, v22
	v_and_b32_e32 v21, 15, v21
	v_lshlrev_b32_e32 v23, v23, v14
	v_sub_u32_e32 v22, 29, v22
	v_and_b32_e32 v23, 7, v23
	v_cmp_eq_u16_e32 vcc, 0, v21
	v_cndmask_b32_e32 v20, v20, v23, vcc
	v_cndmask_b32_e32 v21, v21, v22, vcc
	v_lshlrev_b32_e32 v22, 24, v14
	v_mov_b32_e32 v23, 0x3b800000
	v_lshlrev_b32_e32 v20, 20, v20
	v_and_b32_e32 v22, 0x80000000, v22
	v_lshl_add_u32 v21, v21, 23, v23
	v_or3_b32 v20, v22, v21, v20
.LBB15_1540:
	s_or_b64 exec, exec, s[6:7]
	s_movk_i32 s4, 0x7f
	v_cmp_gt_i16_sdwa s[6:7], v10, s4 src0_sel:BYTE_0 src1_sel:DWORD
	s_mov_b64 s[4:5], 0
                                        ; implicit-def: $sgpr10
	s_and_saveexec_b64 s[8:9], s[6:7]
	s_xor_b64 s[6:7], exec, s[8:9]
	s_cbranch_execnz .LBB15_3589
; %bb.1541:
	s_or_saveexec_b64 s[6:7], s[6:7]
	v_mov_b32_e32 v21, s10
	s_xor_b64 exec, exec, s[6:7]
	s_cbranch_execnz .LBB15_3592
.LBB15_1542:
	s_or_b64 exec, exec, s[6:7]
	s_and_saveexec_b64 s[6:7], s[4:5]
	s_cbranch_execz .LBB15_1544
.LBB15_1543:
	v_and_b32_e32 v21, 7, v10
	v_ffbh_u32_e32 v23, v21
	v_min_u32_e32 v23, 32, v23
	v_lshrrev_b16_e32 v22, 3, v10
	v_subrev_u32_e32 v24, 28, v23
	v_and_b32_e32 v22, 15, v22
	v_lshlrev_b32_e32 v24, v24, v10
	v_sub_u32_e32 v23, 29, v23
	v_and_b32_e32 v24, 7, v24
	v_cmp_eq_u16_e32 vcc, 0, v22
	v_cndmask_b32_e32 v21, v21, v24, vcc
	v_cndmask_b32_e32 v22, v22, v23, vcc
	v_lshlrev_b32_e32 v23, 24, v10
	v_mov_b32_e32 v24, 0x3b800000
	v_lshlrev_b32_e32 v21, 20, v21
	v_and_b32_e32 v23, 0x80000000, v23
	v_lshl_add_u32 v22, v22, 23, v24
	v_or3_b32 v21, v23, v22, v21
.LBB15_1544:
	s_or_b64 exec, exec, s[6:7]
	flat_load_dwordx4 a[0:3], v[18:19] offset:736
	s_movk_i32 s4, 0x7f
                                        ; implicit-def: $sgpr10
	s_waitcnt vmcnt(0) lgkmcnt(0)
	v_mfma_f32_16x16x4f32 a[0:3], v20, v21, a[0:3]
	v_lshrrev_b32_e32 v21, 8, v14
	v_cmp_gt_i16_sdwa s[6:7], v21, s4 src0_sel:BYTE_0 src1_sel:DWORD
	s_mov_b64 s[4:5], 0
	s_and_saveexec_b64 s[8:9], s[6:7]
	s_xor_b64 s[6:7], exec, s[8:9]
	s_cbranch_execnz .LBB15_3593
; %bb.1545:
	s_or_saveexec_b64 s[6:7], s[6:7]
	v_mov_b32_e32 v20, s10
	s_xor_b64 exec, exec, s[6:7]
	s_cbranch_execnz .LBB15_3596
.LBB15_1546:
	s_or_b64 exec, exec, s[6:7]
	s_and_saveexec_b64 s[6:7], s[4:5]
	s_cbranch_execz .LBB15_1548
.LBB15_1547:
	v_bfe_u32 v20, v14, 8, 3
	v_ffbh_u32_e32 v23, v20
	v_min_u32_e32 v23, 32, v23
	v_lshrrev_b16_e32 v22, 3, v21
	v_subrev_u32_e32 v24, 28, v23
	v_and_b32_e32 v22, 15, v22
	v_lshlrev_b32_e32 v21, v24, v21
	v_sub_u32_e32 v23, 29, v23
	v_and_b32_e32 v21, 7, v21
	v_cmp_eq_u16_e32 vcc, 0, v22
	v_cndmask_b32_e32 v20, v20, v21, vcc
	v_cndmask_b32_e32 v21, v22, v23, vcc
	v_lshlrev_b32_e32 v22, 16, v14
	v_mov_b32_e32 v23, 0x3b800000
	v_lshlrev_b32_e32 v20, 20, v20
	v_and_b32_e32 v22, 0x80000000, v22
	v_lshl_add_u32 v21, v21, 23, v23
	v_or3_b32 v20, v22, v21, v20
.LBB15_1548:
	s_or_b64 exec, exec, s[6:7]
	v_lshrrev_b32_e32 v21, 8, v10
	s_movk_i32 s4, 0x7f
	v_cmp_gt_i16_sdwa s[6:7], v21, s4 src0_sel:BYTE_0 src1_sel:DWORD
	s_mov_b64 s[4:5], 0
                                        ; implicit-def: $sgpr10
	s_and_saveexec_b64 s[8:9], s[6:7]
	s_xor_b64 s[6:7], exec, s[8:9]
	s_cbranch_execnz .LBB15_3597
; %bb.1549:
	s_or_saveexec_b64 s[6:7], s[6:7]
	v_mov_b32_e32 v22, s10
	s_xor_b64 exec, exec, s[6:7]
	s_cbranch_execnz .LBB15_3600
.LBB15_1550:
	s_or_b64 exec, exec, s[6:7]
	s_and_saveexec_b64 s[6:7], s[4:5]
	s_cbranch_execz .LBB15_1552
.LBB15_1551:
	v_bfe_u32 v22, v10, 8, 3
	v_ffbh_u32_e32 v24, v22
	v_min_u32_e32 v24, 32, v24
	v_lshrrev_b16_e32 v23, 3, v21
	v_subrev_u32_e32 v25, 28, v24
	v_and_b32_e32 v23, 15, v23
	v_lshlrev_b32_e32 v21, v25, v21
	v_sub_u32_e32 v24, 29, v24
	v_and_b32_e32 v21, 7, v21
	v_cmp_eq_u16_e32 vcc, 0, v23
	v_cndmask_b32_e32 v21, v22, v21, vcc
	v_cndmask_b32_e32 v22, v23, v24, vcc
	v_lshlrev_b32_e32 v23, 16, v10
	v_mov_b32_e32 v24, 0x3b800000
	v_lshlrev_b32_e32 v21, 20, v21
	v_and_b32_e32 v23, 0x80000000, v23
	v_lshl_add_u32 v22, v22, 23, v24
	v_or3_b32 v22, v23, v22, v21
.LBB15_1552:
	s_or_b64 exec, exec, s[6:7]
	s_nop 0
	v_mfma_f32_16x16x4f32 a[0:3], v20, v22, a[0:3]
	s_movk_i32 s4, 0xff
	v_and_b32_sdwa v21, v14, s4 dst_sel:DWORD dst_unused:UNUSED_PAD src0_sel:WORD_1 src1_sel:DWORD
	s_movk_i32 s4, 0x7f
	v_cmp_lt_i16_e32 vcc, s4, v21
	s_mov_b64 s[4:5], 0
                                        ; implicit-def: $sgpr10
	s_and_saveexec_b64 s[6:7], vcc
	s_xor_b64 s[6:7], exec, s[6:7]
	s_cbranch_execnz .LBB15_3601
; %bb.1553:
	s_or_saveexec_b64 s[6:7], s[6:7]
	v_mov_b32_e32 v20, s10
	s_xor_b64 exec, exec, s[6:7]
	s_cbranch_execnz .LBB15_3604
.LBB15_1554:
	s_or_b64 exec, exec, s[6:7]
	s_and_saveexec_b64 s[6:7], s[4:5]
	s_cbranch_execz .LBB15_1556
.LBB15_1555:
	v_bfe_u32 v20, v14, 16, 3
	v_ffbh_u32_e32 v23, v20
	v_min_u32_e32 v23, 32, v23
	v_lshrrev_b32_e32 v21, 19, v14
	v_subrev_u32_e32 v24, 28, v23
	v_and_b32_e32 v21, 15, v21
	v_lshlrev_b32_sdwa v24, v24, v14 dst_sel:DWORD dst_unused:UNUSED_PAD src0_sel:DWORD src1_sel:WORD_1
	v_bfe_u32 v22, v14, 19, 4
	v_sub_u32_e32 v23, 29, v23
	v_and_b32_e32 v24, 7, v24
	v_cmp_eq_u16_e32 vcc, 0, v21
	v_cndmask_b32_e32 v20, v20, v24, vcc
	v_cndmask_b32_e32 v21, v22, v23, vcc
	v_lshlrev_b32_e32 v22, 8, v14
	v_mov_b32_e32 v23, 0x3b800000
	v_lshlrev_b32_e32 v20, 20, v20
	v_and_b32_e32 v22, 0x80000000, v22
	v_lshl_add_u32 v21, v21, 23, v23
	v_or3_b32 v20, v22, v21, v20
.LBB15_1556:
	s_or_b64 exec, exec, s[6:7]
	s_movk_i32 s4, 0xff
	v_and_b32_sdwa v21, v10, s4 dst_sel:DWORD dst_unused:UNUSED_PAD src0_sel:WORD_1 src1_sel:DWORD
	s_movk_i32 s4, 0x7f
	v_cmp_lt_i16_e32 vcc, s4, v21
	s_mov_b64 s[4:5], 0
                                        ; implicit-def: $sgpr10
	s_and_saveexec_b64 s[6:7], vcc
	s_xor_b64 s[6:7], exec, s[6:7]
	s_cbranch_execnz .LBB15_3605
; %bb.1557:
	s_or_saveexec_b64 s[6:7], s[6:7]
	v_mov_b32_e32 v22, s10
	s_xor_b64 exec, exec, s[6:7]
	s_cbranch_execnz .LBB15_3608
.LBB15_1558:
	s_or_b64 exec, exec, s[6:7]
	s_and_saveexec_b64 s[6:7], s[4:5]
	s_cbranch_execz .LBB15_1560
.LBB15_1559:
	v_bfe_u32 v21, v10, 16, 3
	v_ffbh_u32_e32 v24, v21
	v_min_u32_e32 v24, 32, v24
	v_lshrrev_b32_e32 v22, 19, v10
	v_subrev_u32_e32 v25, 28, v24
	v_and_b32_e32 v22, 15, v22
	v_lshlrev_b32_sdwa v25, v25, v10 dst_sel:DWORD dst_unused:UNUSED_PAD src0_sel:DWORD src1_sel:WORD_1
	v_bfe_u32 v23, v10, 19, 4
	v_sub_u32_e32 v24, 29, v24
	v_and_b32_e32 v25, 7, v25
	v_cmp_eq_u16_e32 vcc, 0, v22
	v_cndmask_b32_e32 v21, v21, v25, vcc
	v_cndmask_b32_e32 v22, v23, v24, vcc
	v_lshlrev_b32_e32 v23, 8, v10
	v_mov_b32_e32 v24, 0x3b800000
	v_lshlrev_b32_e32 v21, 20, v21
	v_and_b32_e32 v23, 0x80000000, v23
	v_lshl_add_u32 v22, v22, 23, v24
	v_or3_b32 v22, v23, v22, v21
.LBB15_1560:
	s_or_b64 exec, exec, s[6:7]
	s_nop 0
	v_mfma_f32_16x16x4f32 a[0:3], v20, v22, a[0:3]
	s_movk_i32 s4, 0x7f
	v_cmp_gt_i16_sdwa s[6:7], v14, s4 src0_sel:BYTE_3 src1_sel:DWORD
	s_mov_b64 s[4:5], 0
                                        ; implicit-def: $sgpr10
	s_and_saveexec_b64 s[8:9], s[6:7]
	s_xor_b64 s[6:7], exec, s[8:9]
	s_cbranch_execnz .LBB15_3609
; %bb.1561:
	s_or_saveexec_b64 s[6:7], s[6:7]
	v_mov_b32_e32 v20, s10
	s_xor_b64 exec, exec, s[6:7]
	s_cbranch_execnz .LBB15_3612
.LBB15_1562:
	s_or_b64 exec, exec, s[6:7]
	s_and_saveexec_b64 s[6:7], s[4:5]
	s_cbranch_execz .LBB15_1564
.LBB15_1563:
	v_bfe_u32 v20, v14, 24, 3
	v_ffbh_u32_e32 v24, v20
	v_min_u32_e32 v24, 32, v24
	v_lshrrev_b32_e32 v22, 27, v14
	v_subrev_u32_e32 v25, 28, v24
	v_and_b32_e32 v21, 0x80000000, v14
	v_and_b32_e32 v22, 15, v22
	v_bfe_u32 v23, v14, 27, 4
	v_lshlrev_b32_sdwa v14, v25, v14 dst_sel:DWORD dst_unused:UNUSED_PAD src0_sel:DWORD src1_sel:BYTE_3
	v_sub_u32_e32 v24, 29, v24
	v_and_b32_e32 v14, 7, v14
	v_cmp_eq_u16_e32 vcc, 0, v22
	v_cndmask_b32_e32 v14, v20, v14, vcc
	v_cndmask_b32_e32 v20, v23, v24, vcc
	v_mov_b32_e32 v22, 0x3b800000
	v_lshlrev_b32_e32 v14, 20, v14
	v_lshl_add_u32 v20, v20, 23, v22
	v_or3_b32 v20, v21, v20, v14
.LBB15_1564:
	s_or_b64 exec, exec, s[6:7]
	s_movk_i32 s4, 0x7f
	v_cmp_gt_i16_sdwa s[6:7], v10, s4 src0_sel:BYTE_3 src1_sel:DWORD
	s_mov_b64 s[4:5], 0
                                        ; implicit-def: $sgpr10
	s_and_saveexec_b64 s[8:9], s[6:7]
	s_xor_b64 s[6:7], exec, s[8:9]
	s_cbranch_execnz .LBB15_3613
; %bb.1565:
	s_or_saveexec_b64 s[6:7], s[6:7]
	v_mov_b32_e32 v14, s10
	s_xor_b64 exec, exec, s[6:7]
	s_cbranch_execnz .LBB15_3616
.LBB15_1566:
	s_or_b64 exec, exec, s[6:7]
	s_and_saveexec_b64 s[6:7], s[4:5]
	s_cbranch_execz .LBB15_1568
.LBB15_1567:
	v_bfe_u32 v14, v10, 24, 3
	v_ffbh_u32_e32 v24, v14
	v_min_u32_e32 v24, 32, v24
	v_lshrrev_b32_e32 v22, 27, v10
	v_subrev_u32_e32 v25, 28, v24
	v_and_b32_e32 v21, 0x80000000, v10
	v_and_b32_e32 v22, 15, v22
	v_bfe_u32 v23, v10, 27, 4
	v_lshlrev_b32_sdwa v10, v25, v10 dst_sel:DWORD dst_unused:UNUSED_PAD src0_sel:DWORD src1_sel:BYTE_3
	v_sub_u32_e32 v24, 29, v24
	v_and_b32_e32 v10, 7, v10
	v_cmp_eq_u16_e32 vcc, 0, v22
	v_cndmask_b32_e32 v10, v14, v10, vcc
	v_cndmask_b32_e32 v14, v23, v24, vcc
	v_mov_b32_e32 v22, 0x3b800000
	v_lshlrev_b32_e32 v10, 20, v10
	v_lshl_add_u32 v14, v14, 23, v22
	v_or3_b32 v14, v21, v14, v10
.LBB15_1568:
	s_or_b64 exec, exec, s[6:7]
	s_nop 0
	v_mfma_f32_16x16x4f32 a[0:3], v20, v14, a[0:3]
	s_movk_i32 s4, 0x7f
	v_cmp_gt_i16_sdwa s[6:7], v15, s4 src0_sel:BYTE_0 src1_sel:DWORD
	s_mov_b64 s[4:5], 0
                                        ; implicit-def: $sgpr10
	s_and_saveexec_b64 s[8:9], s[6:7]
	s_xor_b64 s[6:7], exec, s[8:9]
	s_cbranch_execnz .LBB15_3617
; %bb.1569:
	s_or_saveexec_b64 s[6:7], s[6:7]
	v_mov_b32_e32 v10, s10
	s_xor_b64 exec, exec, s[6:7]
	s_cbranch_execnz .LBB15_3620
.LBB15_1570:
	s_or_b64 exec, exec, s[6:7]
	s_and_saveexec_b64 s[6:7], s[4:5]
	s_cbranch_execz .LBB15_1572
.LBB15_1571:
	v_and_b32_e32 v10, 7, v15
	v_ffbh_u32_e32 v20, v10
	v_min_u32_e32 v20, 32, v20
	v_lshrrev_b16_e32 v14, 3, v15
	v_subrev_u32_e32 v21, 28, v20
	v_and_b32_e32 v14, 15, v14
	v_lshlrev_b32_e32 v21, v21, v15
	v_sub_u32_e32 v20, 29, v20
	v_and_b32_e32 v21, 7, v21
	v_cmp_eq_u16_e32 vcc, 0, v14
	v_cndmask_b32_e32 v10, v10, v21, vcc
	v_cndmask_b32_e32 v14, v14, v20, vcc
	v_lshlrev_b32_e32 v20, 24, v15
	v_mov_b32_e32 v21, 0x3b800000
	v_lshlrev_b32_e32 v10, 20, v10
	v_and_b32_e32 v20, 0x80000000, v20
	v_lshl_add_u32 v14, v14, 23, v21
	v_or3_b32 v10, v20, v14, v10
.LBB15_1572:
	s_or_b64 exec, exec, s[6:7]
	s_movk_i32 s4, 0x7f
	v_cmp_gt_i16_sdwa s[6:7], v11, s4 src0_sel:BYTE_0 src1_sel:DWORD
	s_mov_b64 s[4:5], 0
                                        ; implicit-def: $sgpr10
	s_and_saveexec_b64 s[8:9], s[6:7]
	s_xor_b64 s[6:7], exec, s[8:9]
	s_cbranch_execnz .LBB15_3621
; %bb.1573:
	s_or_saveexec_b64 s[6:7], s[6:7]
	v_mov_b32_e32 v14, s10
	s_xor_b64 exec, exec, s[6:7]
	s_cbranch_execnz .LBB15_3624
.LBB15_1574:
	s_or_b64 exec, exec, s[6:7]
	s_and_saveexec_b64 s[6:7], s[4:5]
	s_cbranch_execz .LBB15_1576
.LBB15_1575:
	v_and_b32_e32 v14, 7, v11
	v_ffbh_u32_e32 v21, v14
	v_min_u32_e32 v21, 32, v21
	v_lshrrev_b16_e32 v20, 3, v11
	v_subrev_u32_e32 v22, 28, v21
	v_and_b32_e32 v20, 15, v20
	v_lshlrev_b32_e32 v22, v22, v11
	v_sub_u32_e32 v21, 29, v21
	v_and_b32_e32 v22, 7, v22
	v_cmp_eq_u16_e32 vcc, 0, v20
	v_cndmask_b32_e32 v14, v14, v22, vcc
	v_cndmask_b32_e32 v20, v20, v21, vcc
	v_lshlrev_b32_e32 v21, 24, v11
	v_mov_b32_e32 v22, 0x3b800000
	v_lshlrev_b32_e32 v14, 20, v14
	v_and_b32_e32 v21, 0x80000000, v21
	v_lshl_add_u32 v20, v20, 23, v22
	v_or3_b32 v14, v21, v20, v14
.LBB15_1576:
	s_or_b64 exec, exec, s[6:7]
	s_nop 0
	v_mfma_f32_16x16x4f32 a[0:3], v10, v14, a[0:3]
	v_lshrrev_b32_e32 v14, 8, v15
	s_movk_i32 s4, 0x7f
	v_cmp_gt_i16_sdwa s[6:7], v14, s4 src0_sel:BYTE_0 src1_sel:DWORD
	s_mov_b64 s[4:5], 0
                                        ; implicit-def: $sgpr10
	s_and_saveexec_b64 s[8:9], s[6:7]
	s_xor_b64 s[6:7], exec, s[8:9]
	s_cbranch_execnz .LBB15_3625
; %bb.1577:
	s_or_saveexec_b64 s[6:7], s[6:7]
	v_mov_b32_e32 v10, s10
	s_xor_b64 exec, exec, s[6:7]
	s_cbranch_execnz .LBB15_3628
.LBB15_1578:
	s_or_b64 exec, exec, s[6:7]
	s_and_saveexec_b64 s[6:7], s[4:5]
	s_cbranch_execz .LBB15_1580
.LBB15_1579:
	v_bfe_u32 v10, v15, 8, 3
	v_ffbh_u32_e32 v21, v10
	v_min_u32_e32 v21, 32, v21
	v_lshrrev_b16_e32 v20, 3, v14
	v_subrev_u32_e32 v22, 28, v21
	v_and_b32_e32 v20, 15, v20
	v_lshlrev_b32_e32 v14, v22, v14
	v_sub_u32_e32 v21, 29, v21
	v_and_b32_e32 v14, 7, v14
	v_cmp_eq_u16_e32 vcc, 0, v20
	v_cndmask_b32_e32 v10, v10, v14, vcc
	v_cndmask_b32_e32 v14, v20, v21, vcc
	v_lshlrev_b32_e32 v20, 16, v15
	v_mov_b32_e32 v21, 0x3b800000
	v_lshlrev_b32_e32 v10, 20, v10
	v_and_b32_e32 v20, 0x80000000, v20
	v_lshl_add_u32 v14, v14, 23, v21
	v_or3_b32 v10, v20, v14, v10
.LBB15_1580:
	s_or_b64 exec, exec, s[6:7]
	v_lshrrev_b32_e32 v14, 8, v11
	s_movk_i32 s4, 0x7f
	v_cmp_gt_i16_sdwa s[6:7], v14, s4 src0_sel:BYTE_0 src1_sel:DWORD
	s_mov_b64 s[4:5], 0
                                        ; implicit-def: $sgpr10
	s_and_saveexec_b64 s[8:9], s[6:7]
	s_xor_b64 s[6:7], exec, s[8:9]
	s_cbranch_execnz .LBB15_3629
; %bb.1581:
	s_or_saveexec_b64 s[6:7], s[6:7]
	v_mov_b32_e32 v20, s10
	s_xor_b64 exec, exec, s[6:7]
	s_cbranch_execnz .LBB15_3632
.LBB15_1582:
	s_or_b64 exec, exec, s[6:7]
	s_and_saveexec_b64 s[6:7], s[4:5]
	s_cbranch_execz .LBB15_1584
.LBB15_1583:
	v_bfe_u32 v20, v11, 8, 3
	v_ffbh_u32_e32 v22, v20
	v_min_u32_e32 v22, 32, v22
	v_lshrrev_b16_e32 v21, 3, v14
	v_subrev_u32_e32 v23, 28, v22
	v_and_b32_e32 v21, 15, v21
	v_lshlrev_b32_e32 v14, v23, v14
	v_sub_u32_e32 v22, 29, v22
	v_and_b32_e32 v14, 7, v14
	v_cmp_eq_u16_e32 vcc, 0, v21
	v_cndmask_b32_e32 v14, v20, v14, vcc
	v_cndmask_b32_e32 v20, v21, v22, vcc
	v_lshlrev_b32_e32 v21, 16, v11
	v_mov_b32_e32 v22, 0x3b800000
	v_lshlrev_b32_e32 v14, 20, v14
	v_and_b32_e32 v21, 0x80000000, v21
	v_lshl_add_u32 v20, v20, 23, v22
	v_or3_b32 v20, v21, v20, v14
.LBB15_1584:
	s_or_b64 exec, exec, s[6:7]
	s_nop 0
	v_mfma_f32_16x16x4f32 a[0:3], v10, v20, a[0:3]
	s_movk_i32 s4, 0xff
	v_and_b32_sdwa v14, v15, s4 dst_sel:DWORD dst_unused:UNUSED_PAD src0_sel:WORD_1 src1_sel:DWORD
	s_movk_i32 s4, 0x7f
	v_cmp_lt_i16_e32 vcc, s4, v14
	s_mov_b64 s[4:5], 0
                                        ; implicit-def: $sgpr10
	s_and_saveexec_b64 s[6:7], vcc
	s_xor_b64 s[6:7], exec, s[6:7]
	s_cbranch_execnz .LBB15_3633
; %bb.1585:
	s_or_saveexec_b64 s[6:7], s[6:7]
	v_mov_b32_e32 v10, s10
	s_xor_b64 exec, exec, s[6:7]
	s_cbranch_execnz .LBB15_3636
.LBB15_1586:
	s_or_b64 exec, exec, s[6:7]
	s_and_saveexec_b64 s[6:7], s[4:5]
	s_cbranch_execz .LBB15_1588
.LBB15_1587:
	v_bfe_u32 v10, v15, 16, 3
	v_ffbh_u32_e32 v21, v10
	v_min_u32_e32 v21, 32, v21
	v_lshrrev_b32_e32 v14, 19, v15
	v_subrev_u32_e32 v22, 28, v21
	v_and_b32_e32 v14, 15, v14
	v_lshlrev_b32_sdwa v22, v22, v15 dst_sel:DWORD dst_unused:UNUSED_PAD src0_sel:DWORD src1_sel:WORD_1
	v_bfe_u32 v20, v15, 19, 4
	v_sub_u32_e32 v21, 29, v21
	v_and_b32_e32 v22, 7, v22
	v_cmp_eq_u16_e32 vcc, 0, v14
	v_cndmask_b32_e32 v10, v10, v22, vcc
	v_cndmask_b32_e32 v14, v20, v21, vcc
	v_lshlrev_b32_e32 v20, 8, v15
	v_mov_b32_e32 v21, 0x3b800000
	v_lshlrev_b32_e32 v10, 20, v10
	v_and_b32_e32 v20, 0x80000000, v20
	v_lshl_add_u32 v14, v14, 23, v21
	v_or3_b32 v10, v20, v14, v10
.LBB15_1588:
	s_or_b64 exec, exec, s[6:7]
	s_movk_i32 s4, 0xff
	v_and_b32_sdwa v14, v11, s4 dst_sel:DWORD dst_unused:UNUSED_PAD src0_sel:WORD_1 src1_sel:DWORD
	s_movk_i32 s4, 0x7f
	v_cmp_lt_i16_e32 vcc, s4, v14
	s_mov_b64 s[4:5], 0
                                        ; implicit-def: $sgpr10
	s_and_saveexec_b64 s[6:7], vcc
	s_xor_b64 s[6:7], exec, s[6:7]
	s_cbranch_execnz .LBB15_3637
; %bb.1589:
	s_or_saveexec_b64 s[6:7], s[6:7]
	v_mov_b32_e32 v20, s10
	s_xor_b64 exec, exec, s[6:7]
	s_cbranch_execnz .LBB15_3640
.LBB15_1590:
	s_or_b64 exec, exec, s[6:7]
	s_and_saveexec_b64 s[6:7], s[4:5]
	s_cbranch_execz .LBB15_1592
.LBB15_1591:
	v_bfe_u32 v14, v11, 16, 3
	v_ffbh_u32_e32 v22, v14
	v_min_u32_e32 v22, 32, v22
	v_lshrrev_b32_e32 v20, 19, v11
	v_subrev_u32_e32 v23, 28, v22
	v_and_b32_e32 v20, 15, v20
	v_lshlrev_b32_sdwa v23, v23, v11 dst_sel:DWORD dst_unused:UNUSED_PAD src0_sel:DWORD src1_sel:WORD_1
	v_bfe_u32 v21, v11, 19, 4
	v_sub_u32_e32 v22, 29, v22
	v_and_b32_e32 v23, 7, v23
	v_cmp_eq_u16_e32 vcc, 0, v20
	v_cndmask_b32_e32 v14, v14, v23, vcc
	v_cndmask_b32_e32 v20, v21, v22, vcc
	v_lshlrev_b32_e32 v21, 8, v11
	v_mov_b32_e32 v22, 0x3b800000
	v_lshlrev_b32_e32 v14, 20, v14
	v_and_b32_e32 v21, 0x80000000, v21
	v_lshl_add_u32 v20, v20, 23, v22
	v_or3_b32 v20, v21, v20, v14
.LBB15_1592:
	s_or_b64 exec, exec, s[6:7]
	s_nop 0
	v_mfma_f32_16x16x4f32 a[0:3], v10, v20, a[0:3]
	s_movk_i32 s4, 0x7f
	v_cmp_gt_i16_sdwa s[6:7], v15, s4 src0_sel:BYTE_3 src1_sel:DWORD
	s_mov_b64 s[4:5], 0
                                        ; implicit-def: $sgpr10
	s_and_saveexec_b64 s[8:9], s[6:7]
	s_xor_b64 s[6:7], exec, s[8:9]
	s_cbranch_execnz .LBB15_3641
; %bb.1593:
	s_or_saveexec_b64 s[6:7], s[6:7]
	v_mov_b32_e32 v10, s10
	s_xor_b64 exec, exec, s[6:7]
	s_cbranch_execnz .LBB15_3644
.LBB15_1594:
	s_or_b64 exec, exec, s[6:7]
	s_and_saveexec_b64 s[6:7], s[4:5]
	s_cbranch_execz .LBB15_1596
.LBB15_1595:
	v_bfe_u32 v10, v15, 24, 3
	v_ffbh_u32_e32 v22, v10
	v_min_u32_e32 v22, 32, v22
	v_lshrrev_b32_e32 v20, 27, v15
	v_subrev_u32_e32 v23, 28, v22
	v_and_b32_e32 v14, 0x80000000, v15
	v_and_b32_e32 v20, 15, v20
	v_bfe_u32 v21, v15, 27, 4
	v_lshlrev_b32_sdwa v15, v23, v15 dst_sel:DWORD dst_unused:UNUSED_PAD src0_sel:DWORD src1_sel:BYTE_3
	v_sub_u32_e32 v22, 29, v22
	v_and_b32_e32 v15, 7, v15
	v_cmp_eq_u16_e32 vcc, 0, v20
	v_cndmask_b32_e32 v10, v10, v15, vcc
	v_cndmask_b32_e32 v15, v21, v22, vcc
	v_mov_b32_e32 v20, 0x3b800000
	v_lshlrev_b32_e32 v10, 20, v10
	v_lshl_add_u32 v15, v15, 23, v20
	v_or3_b32 v10, v14, v15, v10
.LBB15_1596:
	s_or_b64 exec, exec, s[6:7]
	s_movk_i32 s4, 0x7f
	v_cmp_gt_i16_sdwa s[6:7], v11, s4 src0_sel:BYTE_3 src1_sel:DWORD
	s_mov_b64 s[4:5], 0
                                        ; implicit-def: $sgpr10
	s_and_saveexec_b64 s[8:9], s[6:7]
	s_xor_b64 s[6:7], exec, s[8:9]
	s_cbranch_execnz .LBB15_3645
; %bb.1597:
	s_or_saveexec_b64 s[6:7], s[6:7]
	v_mov_b32_e32 v14, s10
	s_xor_b64 exec, exec, s[6:7]
	s_cbranch_execnz .LBB15_3648
.LBB15_1598:
	s_or_b64 exec, exec, s[6:7]
	s_and_saveexec_b64 s[6:7], s[4:5]
	s_cbranch_execz .LBB15_1600
.LBB15_1599:
	v_bfe_u32 v14, v11, 24, 3
	v_ffbh_u32_e32 v22, v14
	v_min_u32_e32 v22, 32, v22
	v_lshrrev_b32_e32 v20, 27, v11
	v_subrev_u32_e32 v23, 28, v22
	v_and_b32_e32 v15, 0x80000000, v11
	v_and_b32_e32 v20, 15, v20
	v_bfe_u32 v21, v11, 27, 4
	v_lshlrev_b32_sdwa v11, v23, v11 dst_sel:DWORD dst_unused:UNUSED_PAD src0_sel:DWORD src1_sel:BYTE_3
	v_sub_u32_e32 v22, 29, v22
	v_and_b32_e32 v11, 7, v11
	v_cmp_eq_u16_e32 vcc, 0, v20
	v_cndmask_b32_e32 v11, v14, v11, vcc
	v_cndmask_b32_e32 v14, v21, v22, vcc
	v_mov_b32_e32 v20, 0x3b800000
	v_lshlrev_b32_e32 v11, 20, v11
	v_lshl_add_u32 v14, v14, 23, v20
	v_or3_b32 v14, v15, v14, v11
.LBB15_1600:
	s_or_b64 exec, exec, s[6:7]
	s_nop 0
	v_mfma_f32_16x16x4f32 a[0:3], v10, v14, a[0:3]
	s_movk_i32 s4, 0x7f
	v_cmp_gt_i16_sdwa s[6:7], v16, s4 src0_sel:BYTE_0 src1_sel:DWORD
	s_mov_b64 s[4:5], 0
                                        ; implicit-def: $sgpr10
	s_and_saveexec_b64 s[8:9], s[6:7]
	s_xor_b64 s[6:7], exec, s[8:9]
	s_cbranch_execnz .LBB15_3649
; %bb.1601:
	s_or_saveexec_b64 s[6:7], s[6:7]
	v_mov_b32_e32 v10, s10
	s_xor_b64 exec, exec, s[6:7]
	s_cbranch_execnz .LBB15_3652
.LBB15_1602:
	s_or_b64 exec, exec, s[6:7]
	s_and_saveexec_b64 s[6:7], s[4:5]
	s_cbranch_execz .LBB15_1604
.LBB15_1603:
	v_and_b32_e32 v10, 7, v16
	v_ffbh_u32_e32 v14, v10
	v_min_u32_e32 v14, 32, v14
	v_lshrrev_b16_e32 v11, 3, v16
	v_subrev_u32_e32 v15, 28, v14
	v_and_b32_e32 v11, 15, v11
	v_lshlrev_b32_e32 v15, v15, v16
	v_sub_u32_e32 v14, 29, v14
	v_and_b32_e32 v15, 7, v15
	v_cmp_eq_u16_e32 vcc, 0, v11
	v_cndmask_b32_e32 v10, v10, v15, vcc
	v_cndmask_b32_e32 v11, v11, v14, vcc
	v_lshlrev_b32_e32 v14, 24, v16
	v_mov_b32_e32 v15, 0x3b800000
	v_lshlrev_b32_e32 v10, 20, v10
	v_and_b32_e32 v14, 0x80000000, v14
	v_lshl_add_u32 v11, v11, 23, v15
	v_or3_b32 v10, v14, v11, v10
.LBB15_1604:
	s_or_b64 exec, exec, s[6:7]
	s_movk_i32 s4, 0x7f
	v_cmp_gt_i16_sdwa s[6:7], v12, s4 src0_sel:BYTE_0 src1_sel:DWORD
	s_mov_b64 s[4:5], 0
                                        ; implicit-def: $sgpr10
	s_and_saveexec_b64 s[8:9], s[6:7]
	s_xor_b64 s[6:7], exec, s[8:9]
	s_cbranch_execnz .LBB15_3653
; %bb.1605:
	s_or_saveexec_b64 s[6:7], s[6:7]
	v_mov_b32_e32 v11, s10
	s_xor_b64 exec, exec, s[6:7]
	s_cbranch_execnz .LBB15_3656
.LBB15_1606:
	s_or_b64 exec, exec, s[6:7]
	s_and_saveexec_b64 s[6:7], s[4:5]
	s_cbranch_execz .LBB15_1608
.LBB15_1607:
	v_and_b32_e32 v11, 7, v12
	v_ffbh_u32_e32 v15, v11
	v_min_u32_e32 v15, 32, v15
	v_lshrrev_b16_e32 v14, 3, v12
	v_subrev_u32_e32 v20, 28, v15
	v_and_b32_e32 v14, 15, v14
	v_lshlrev_b32_e32 v20, v20, v12
	v_sub_u32_e32 v15, 29, v15
	v_and_b32_e32 v20, 7, v20
	v_cmp_eq_u16_e32 vcc, 0, v14
	v_cndmask_b32_e32 v11, v11, v20, vcc
	v_cndmask_b32_e32 v14, v14, v15, vcc
	v_lshlrev_b32_e32 v15, 24, v12
	v_mov_b32_e32 v20, 0x3b800000
	v_lshlrev_b32_e32 v11, 20, v11
	v_and_b32_e32 v15, 0x80000000, v15
	v_lshl_add_u32 v14, v14, 23, v20
	v_or3_b32 v11, v15, v14, v11
.LBB15_1608:
	s_or_b64 exec, exec, s[6:7]
	s_nop 0
	v_mfma_f32_16x16x4f32 a[0:3], v10, v11, a[0:3]
	v_lshrrev_b32_e32 v11, 8, v16
	s_movk_i32 s4, 0x7f
	v_cmp_gt_i16_sdwa s[6:7], v11, s4 src0_sel:BYTE_0 src1_sel:DWORD
	s_mov_b64 s[4:5], 0
                                        ; implicit-def: $sgpr10
	s_and_saveexec_b64 s[8:9], s[6:7]
	s_xor_b64 s[6:7], exec, s[8:9]
	s_cbranch_execnz .LBB15_3657
; %bb.1609:
	s_or_saveexec_b64 s[6:7], s[6:7]
	v_mov_b32_e32 v10, s10
	s_xor_b64 exec, exec, s[6:7]
	s_cbranch_execnz .LBB15_3660
.LBB15_1610:
	s_or_b64 exec, exec, s[6:7]
	s_and_saveexec_b64 s[6:7], s[4:5]
	s_cbranch_execz .LBB15_1612
.LBB15_1611:
	v_bfe_u32 v10, v16, 8, 3
	v_ffbh_u32_e32 v15, v10
	v_min_u32_e32 v15, 32, v15
	v_lshrrev_b16_e32 v14, 3, v11
	v_subrev_u32_e32 v20, 28, v15
	v_and_b32_e32 v14, 15, v14
	v_lshlrev_b32_e32 v11, v20, v11
	v_sub_u32_e32 v15, 29, v15
	v_and_b32_e32 v11, 7, v11
	v_cmp_eq_u16_e32 vcc, 0, v14
	v_cndmask_b32_e32 v10, v10, v11, vcc
	v_cndmask_b32_e32 v11, v14, v15, vcc
	v_lshlrev_b32_e32 v14, 16, v16
	v_mov_b32_e32 v15, 0x3b800000
	v_lshlrev_b32_e32 v10, 20, v10
	v_and_b32_e32 v14, 0x80000000, v14
	v_lshl_add_u32 v11, v11, 23, v15
	v_or3_b32 v10, v14, v11, v10
.LBB15_1612:
	s_or_b64 exec, exec, s[6:7]
	v_lshrrev_b32_e32 v11, 8, v12
	s_movk_i32 s4, 0x7f
	v_cmp_gt_i16_sdwa s[6:7], v11, s4 src0_sel:BYTE_0 src1_sel:DWORD
	s_mov_b64 s[4:5], 0
                                        ; implicit-def: $sgpr10
	s_and_saveexec_b64 s[8:9], s[6:7]
	s_xor_b64 s[6:7], exec, s[8:9]
	s_cbranch_execnz .LBB15_3661
; %bb.1613:
	s_or_saveexec_b64 s[6:7], s[6:7]
	v_mov_b32_e32 v14, s10
	s_xor_b64 exec, exec, s[6:7]
	s_cbranch_execnz .LBB15_3664
.LBB15_1614:
	s_or_b64 exec, exec, s[6:7]
	s_and_saveexec_b64 s[6:7], s[4:5]
	s_cbranch_execz .LBB15_1616
.LBB15_1615:
	v_bfe_u32 v14, v12, 8, 3
	v_ffbh_u32_e32 v20, v14
	v_min_u32_e32 v20, 32, v20
	v_lshrrev_b16_e32 v15, 3, v11
	v_subrev_u32_e32 v21, 28, v20
	v_and_b32_e32 v15, 15, v15
	v_lshlrev_b32_e32 v11, v21, v11
	v_sub_u32_e32 v20, 29, v20
	v_and_b32_e32 v11, 7, v11
	v_cmp_eq_u16_e32 vcc, 0, v15
	v_cndmask_b32_e32 v11, v14, v11, vcc
	v_cndmask_b32_e32 v14, v15, v20, vcc
	v_lshlrev_b32_e32 v15, 16, v12
	v_mov_b32_e32 v20, 0x3b800000
	v_lshlrev_b32_e32 v11, 20, v11
	v_and_b32_e32 v15, 0x80000000, v15
	v_lshl_add_u32 v14, v14, 23, v20
	v_or3_b32 v14, v15, v14, v11
.LBB15_1616:
	s_or_b64 exec, exec, s[6:7]
	s_nop 0
	v_mfma_f32_16x16x4f32 a[0:3], v10, v14, a[0:3]
	s_movk_i32 s4, 0xff
	v_and_b32_sdwa v11, v16, s4 dst_sel:DWORD dst_unused:UNUSED_PAD src0_sel:WORD_1 src1_sel:DWORD
	s_movk_i32 s4, 0x7f
	v_cmp_lt_i16_e32 vcc, s4, v11
	s_mov_b64 s[4:5], 0
                                        ; implicit-def: $sgpr10
	s_and_saveexec_b64 s[6:7], vcc
	s_xor_b64 s[6:7], exec, s[6:7]
	s_cbranch_execnz .LBB15_3665
; %bb.1617:
	s_or_saveexec_b64 s[6:7], s[6:7]
	v_mov_b32_e32 v10, s10
	s_xor_b64 exec, exec, s[6:7]
	s_cbranch_execnz .LBB15_3668
.LBB15_1618:
	s_or_b64 exec, exec, s[6:7]
	s_and_saveexec_b64 s[6:7], s[4:5]
	s_cbranch_execz .LBB15_1620
.LBB15_1619:
	v_bfe_u32 v10, v16, 16, 3
	v_ffbh_u32_e32 v15, v10
	v_min_u32_e32 v15, 32, v15
	v_lshrrev_b32_e32 v11, 19, v16
	v_subrev_u32_e32 v20, 28, v15
	v_and_b32_e32 v11, 15, v11
	v_lshlrev_b32_sdwa v20, v20, v16 dst_sel:DWORD dst_unused:UNUSED_PAD src0_sel:DWORD src1_sel:WORD_1
	v_bfe_u32 v14, v16, 19, 4
	v_sub_u32_e32 v15, 29, v15
	v_and_b32_e32 v20, 7, v20
	v_cmp_eq_u16_e32 vcc, 0, v11
	v_cndmask_b32_e32 v10, v10, v20, vcc
	v_cndmask_b32_e32 v11, v14, v15, vcc
	v_lshlrev_b32_e32 v14, 8, v16
	v_mov_b32_e32 v15, 0x3b800000
	v_lshlrev_b32_e32 v10, 20, v10
	v_and_b32_e32 v14, 0x80000000, v14
	v_lshl_add_u32 v11, v11, 23, v15
	v_or3_b32 v10, v14, v11, v10
.LBB15_1620:
	s_or_b64 exec, exec, s[6:7]
	s_movk_i32 s4, 0xff
	v_and_b32_sdwa v11, v12, s4 dst_sel:DWORD dst_unused:UNUSED_PAD src0_sel:WORD_1 src1_sel:DWORD
	s_movk_i32 s4, 0x7f
	v_cmp_lt_i16_e32 vcc, s4, v11
	s_mov_b64 s[4:5], 0
                                        ; implicit-def: $sgpr10
	s_and_saveexec_b64 s[6:7], vcc
	s_xor_b64 s[6:7], exec, s[6:7]
	s_cbranch_execnz .LBB15_3669
; %bb.1621:
	s_or_saveexec_b64 s[6:7], s[6:7]
	v_mov_b32_e32 v14, s10
	s_xor_b64 exec, exec, s[6:7]
	s_cbranch_execnz .LBB15_3672
.LBB15_1622:
	s_or_b64 exec, exec, s[6:7]
	s_and_saveexec_b64 s[6:7], s[4:5]
	s_cbranch_execz .LBB15_1624
.LBB15_1623:
	v_bfe_u32 v11, v12, 16, 3
	v_ffbh_u32_e32 v20, v11
	v_min_u32_e32 v20, 32, v20
	v_lshrrev_b32_e32 v14, 19, v12
	v_subrev_u32_e32 v21, 28, v20
	v_and_b32_e32 v14, 15, v14
	v_lshlrev_b32_sdwa v21, v21, v12 dst_sel:DWORD dst_unused:UNUSED_PAD src0_sel:DWORD src1_sel:WORD_1
	v_bfe_u32 v15, v12, 19, 4
	v_sub_u32_e32 v20, 29, v20
	v_and_b32_e32 v21, 7, v21
	v_cmp_eq_u16_e32 vcc, 0, v14
	v_cndmask_b32_e32 v11, v11, v21, vcc
	v_cndmask_b32_e32 v14, v15, v20, vcc
	v_lshlrev_b32_e32 v15, 8, v12
	v_mov_b32_e32 v20, 0x3b800000
	v_lshlrev_b32_e32 v11, 20, v11
	v_and_b32_e32 v15, 0x80000000, v15
	v_lshl_add_u32 v14, v14, 23, v20
	v_or3_b32 v14, v15, v14, v11
.LBB15_1624:
	s_or_b64 exec, exec, s[6:7]
	s_nop 0
	v_mfma_f32_16x16x4f32 a[0:3], v10, v14, a[0:3]
	s_movk_i32 s4, 0x7f
	v_cmp_gt_i16_sdwa s[6:7], v16, s4 src0_sel:BYTE_3 src1_sel:DWORD
	s_mov_b64 s[4:5], 0
                                        ; implicit-def: $sgpr10
	s_and_saveexec_b64 s[8:9], s[6:7]
	s_xor_b64 s[6:7], exec, s[8:9]
	s_cbranch_execnz .LBB15_3673
; %bb.1625:
	s_or_saveexec_b64 s[6:7], s[6:7]
	v_mov_b32_e32 v10, s10
	s_xor_b64 exec, exec, s[6:7]
	s_cbranch_execnz .LBB15_3676
.LBB15_1626:
	s_or_b64 exec, exec, s[6:7]
	s_and_saveexec_b64 s[6:7], s[4:5]
	s_cbranch_execz .LBB15_1628
.LBB15_1627:
	v_bfe_u32 v10, v16, 24, 3
	v_ffbh_u32_e32 v20, v10
	v_min_u32_e32 v20, 32, v20
	v_lshrrev_b32_e32 v14, 27, v16
	v_subrev_u32_e32 v21, 28, v20
	v_and_b32_e32 v11, 0x80000000, v16
	v_and_b32_e32 v14, 15, v14
	v_bfe_u32 v15, v16, 27, 4
	v_lshlrev_b32_sdwa v16, v21, v16 dst_sel:DWORD dst_unused:UNUSED_PAD src0_sel:DWORD src1_sel:BYTE_3
	v_sub_u32_e32 v20, 29, v20
	v_and_b32_e32 v16, 7, v16
	v_cmp_eq_u16_e32 vcc, 0, v14
	v_cndmask_b32_e32 v10, v10, v16, vcc
	v_cndmask_b32_e32 v14, v15, v20, vcc
	v_mov_b32_e32 v15, 0x3b800000
	v_lshlrev_b32_e32 v10, 20, v10
	v_lshl_add_u32 v14, v14, 23, v15
	v_or3_b32 v10, v11, v14, v10
.LBB15_1628:
	s_or_b64 exec, exec, s[6:7]
	s_movk_i32 s4, 0x7f
	v_cmp_gt_i16_sdwa s[6:7], v12, s4 src0_sel:BYTE_3 src1_sel:DWORD
	s_mov_b64 s[4:5], 0
                                        ; implicit-def: $sgpr10
	s_and_saveexec_b64 s[8:9], s[6:7]
	s_xor_b64 s[6:7], exec, s[8:9]
	s_cbranch_execnz .LBB15_3677
; %bb.1629:
	s_or_saveexec_b64 s[6:7], s[6:7]
	v_mov_b32_e32 v11, s10
	s_xor_b64 exec, exec, s[6:7]
	s_cbranch_execnz .LBB15_3680
.LBB15_1630:
	s_or_b64 exec, exec, s[6:7]
	s_and_saveexec_b64 s[6:7], s[4:5]
	s_cbranch_execz .LBB15_1632
.LBB15_1631:
	v_bfe_u32 v11, v12, 24, 3
	v_ffbh_u32_e32 v20, v11
	v_min_u32_e32 v20, 32, v20
	v_lshrrev_b32_e32 v15, 27, v12
	v_subrev_u32_e32 v21, 28, v20
	v_and_b32_e32 v14, 0x80000000, v12
	v_and_b32_e32 v15, 15, v15
	v_bfe_u32 v16, v12, 27, 4
	v_lshlrev_b32_sdwa v12, v21, v12 dst_sel:DWORD dst_unused:UNUSED_PAD src0_sel:DWORD src1_sel:BYTE_3
	v_sub_u32_e32 v20, 29, v20
	v_and_b32_e32 v12, 7, v12
	v_cmp_eq_u16_e32 vcc, 0, v15
	v_cndmask_b32_e32 v11, v11, v12, vcc
	v_cndmask_b32_e32 v12, v16, v20, vcc
	v_mov_b32_e32 v15, 0x3b800000
	v_lshlrev_b32_e32 v11, 20, v11
	v_lshl_add_u32 v12, v12, 23, v15
	v_or3_b32 v11, v14, v12, v11
.LBB15_1632:
	s_or_b64 exec, exec, s[6:7]
	s_nop 0
	v_mfma_f32_16x16x4f32 a[0:3], v10, v11, a[0:3]
	s_movk_i32 s4, 0x7f
	v_cmp_gt_i16_sdwa s[6:7], v17, s4 src0_sel:BYTE_0 src1_sel:DWORD
	s_mov_b64 s[4:5], 0
                                        ; implicit-def: $sgpr10
	s_and_saveexec_b64 s[8:9], s[6:7]
	s_xor_b64 s[6:7], exec, s[8:9]
	s_cbranch_execnz .LBB15_3681
; %bb.1633:
	s_or_saveexec_b64 s[6:7], s[6:7]
	v_mov_b32_e32 v10, s10
	s_xor_b64 exec, exec, s[6:7]
	s_cbranch_execnz .LBB15_3684
.LBB15_1634:
	s_or_b64 exec, exec, s[6:7]
	s_and_saveexec_b64 s[6:7], s[4:5]
	s_cbranch_execz .LBB15_1636
.LBB15_1635:
	v_and_b32_e32 v10, 7, v17
	v_ffbh_u32_e32 v12, v10
	v_min_u32_e32 v12, 32, v12
	v_lshrrev_b16_e32 v11, 3, v17
	v_subrev_u32_e32 v14, 28, v12
	v_and_b32_e32 v11, 15, v11
	v_lshlrev_b32_e32 v14, v14, v17
	v_sub_u32_e32 v12, 29, v12
	v_and_b32_e32 v14, 7, v14
	v_cmp_eq_u16_e32 vcc, 0, v11
	v_cndmask_b32_e32 v10, v10, v14, vcc
	v_cndmask_b32_e32 v11, v11, v12, vcc
	v_lshlrev_b32_e32 v12, 24, v17
	v_mov_b32_e32 v14, 0x3b800000
	v_lshlrev_b32_e32 v10, 20, v10
	v_and_b32_e32 v12, 0x80000000, v12
	v_lshl_add_u32 v11, v11, 23, v14
	v_or3_b32 v10, v12, v11, v10
.LBB15_1636:
	s_or_b64 exec, exec, s[6:7]
	s_movk_i32 s4, 0x7f
	v_cmp_gt_i16_sdwa s[6:7], v13, s4 src0_sel:BYTE_0 src1_sel:DWORD
	s_mov_b64 s[4:5], 0
                                        ; implicit-def: $sgpr10
	s_and_saveexec_b64 s[8:9], s[6:7]
	s_xor_b64 s[6:7], exec, s[8:9]
	s_cbranch_execnz .LBB15_3685
; %bb.1637:
	s_or_saveexec_b64 s[6:7], s[6:7]
	v_mov_b32_e32 v11, s10
	s_xor_b64 exec, exec, s[6:7]
	s_cbranch_execnz .LBB15_3688
.LBB15_1638:
	s_or_b64 exec, exec, s[6:7]
	s_and_saveexec_b64 s[6:7], s[4:5]
	s_cbranch_execz .LBB15_1640
.LBB15_1639:
	v_and_b32_e32 v11, 7, v13
	v_ffbh_u32_e32 v14, v11
	v_min_u32_e32 v14, 32, v14
	v_lshrrev_b16_e32 v12, 3, v13
	v_subrev_u32_e32 v15, 28, v14
	v_and_b32_e32 v12, 15, v12
	v_lshlrev_b32_e32 v15, v15, v13
	v_sub_u32_e32 v14, 29, v14
	v_and_b32_e32 v15, 7, v15
	v_cmp_eq_u16_e32 vcc, 0, v12
	v_cndmask_b32_e32 v11, v11, v15, vcc
	v_cndmask_b32_e32 v12, v12, v14, vcc
	v_lshlrev_b32_e32 v14, 24, v13
	v_mov_b32_e32 v15, 0x3b800000
	v_lshlrev_b32_e32 v11, 20, v11
	v_and_b32_e32 v14, 0x80000000, v14
	v_lshl_add_u32 v12, v12, 23, v15
	v_or3_b32 v11, v14, v12, v11
.LBB15_1640:
	s_or_b64 exec, exec, s[6:7]
	s_nop 0
	v_mfma_f32_16x16x4f32 a[0:3], v10, v11, a[0:3]
	v_lshrrev_b32_e32 v11, 8, v17
	s_movk_i32 s4, 0x7f
	v_cmp_gt_i16_sdwa s[6:7], v11, s4 src0_sel:BYTE_0 src1_sel:DWORD
	s_mov_b64 s[4:5], 0
                                        ; implicit-def: $sgpr10
	s_and_saveexec_b64 s[8:9], s[6:7]
	s_xor_b64 s[6:7], exec, s[8:9]
	s_cbranch_execnz .LBB15_3689
; %bb.1641:
	s_or_saveexec_b64 s[6:7], s[6:7]
	v_mov_b32_e32 v10, s10
	s_xor_b64 exec, exec, s[6:7]
	s_cbranch_execnz .LBB15_3692
.LBB15_1642:
	s_or_b64 exec, exec, s[6:7]
	s_and_saveexec_b64 s[6:7], s[4:5]
	s_cbranch_execz .LBB15_1644
.LBB15_1643:
	v_bfe_u32 v10, v17, 8, 3
	v_ffbh_u32_e32 v14, v10
	v_min_u32_e32 v14, 32, v14
	v_lshrrev_b16_e32 v12, 3, v11
	v_subrev_u32_e32 v15, 28, v14
	v_and_b32_e32 v12, 15, v12
	v_lshlrev_b32_e32 v11, v15, v11
	v_sub_u32_e32 v14, 29, v14
	v_and_b32_e32 v11, 7, v11
	v_cmp_eq_u16_e32 vcc, 0, v12
	v_cndmask_b32_e32 v10, v10, v11, vcc
	v_cndmask_b32_e32 v11, v12, v14, vcc
	v_lshlrev_b32_e32 v12, 16, v17
	v_mov_b32_e32 v14, 0x3b800000
	v_lshlrev_b32_e32 v10, 20, v10
	v_and_b32_e32 v12, 0x80000000, v12
	v_lshl_add_u32 v11, v11, 23, v14
	v_or3_b32 v10, v12, v11, v10
.LBB15_1644:
	s_or_b64 exec, exec, s[6:7]
	v_lshrrev_b32_e32 v11, 8, v13
	s_movk_i32 s4, 0x7f
	v_cmp_gt_i16_sdwa s[6:7], v11, s4 src0_sel:BYTE_0 src1_sel:DWORD
	s_mov_b64 s[4:5], 0
                                        ; implicit-def: $sgpr10
	s_and_saveexec_b64 s[8:9], s[6:7]
	s_xor_b64 s[6:7], exec, s[8:9]
	s_cbranch_execnz .LBB15_3693
; %bb.1645:
	s_or_saveexec_b64 s[6:7], s[6:7]
	v_mov_b32_e32 v12, s10
	s_xor_b64 exec, exec, s[6:7]
	s_cbranch_execnz .LBB15_3696
.LBB15_1646:
	s_or_b64 exec, exec, s[6:7]
	s_and_saveexec_b64 s[6:7], s[4:5]
	s_cbranch_execz .LBB15_1648
.LBB15_1647:
	v_bfe_u32 v12, v13, 8, 3
	v_ffbh_u32_e32 v15, v12
	v_min_u32_e32 v15, 32, v15
	v_lshrrev_b16_e32 v14, 3, v11
	v_subrev_u32_e32 v16, 28, v15
	v_and_b32_e32 v14, 15, v14
	v_lshlrev_b32_e32 v11, v16, v11
	v_sub_u32_e32 v15, 29, v15
	v_and_b32_e32 v11, 7, v11
	v_cmp_eq_u16_e32 vcc, 0, v14
	v_cndmask_b32_e32 v11, v12, v11, vcc
	v_cndmask_b32_e32 v12, v14, v15, vcc
	v_lshlrev_b32_e32 v14, 16, v13
	v_mov_b32_e32 v15, 0x3b800000
	v_lshlrev_b32_e32 v11, 20, v11
	v_and_b32_e32 v14, 0x80000000, v14
	v_lshl_add_u32 v12, v12, 23, v15
	v_or3_b32 v12, v14, v12, v11
.LBB15_1648:
	s_or_b64 exec, exec, s[6:7]
	s_nop 0
	v_mfma_f32_16x16x4f32 a[0:3], v10, v12, a[0:3]
	s_movk_i32 s4, 0xff
	v_and_b32_sdwa v11, v17, s4 dst_sel:DWORD dst_unused:UNUSED_PAD src0_sel:WORD_1 src1_sel:DWORD
	s_movk_i32 s4, 0x7f
	v_cmp_lt_i16_e32 vcc, s4, v11
	s_mov_b64 s[4:5], 0
                                        ; implicit-def: $sgpr10
	s_and_saveexec_b64 s[6:7], vcc
	s_xor_b64 s[6:7], exec, s[6:7]
	s_cbranch_execnz .LBB15_3697
; %bb.1649:
	s_or_saveexec_b64 s[6:7], s[6:7]
	v_mov_b32_e32 v10, s10
	s_xor_b64 exec, exec, s[6:7]
	s_cbranch_execnz .LBB15_3700
.LBB15_1650:
	s_or_b64 exec, exec, s[6:7]
	s_and_saveexec_b64 s[6:7], s[4:5]
	s_cbranch_execz .LBB15_1652
.LBB15_1651:
	v_bfe_u32 v10, v17, 16, 3
	v_ffbh_u32_e32 v14, v10
	v_min_u32_e32 v14, 32, v14
	v_lshrrev_b32_e32 v11, 19, v17
	v_subrev_u32_e32 v15, 28, v14
	v_and_b32_e32 v11, 15, v11
	v_lshlrev_b32_sdwa v15, v15, v17 dst_sel:DWORD dst_unused:UNUSED_PAD src0_sel:DWORD src1_sel:WORD_1
	v_bfe_u32 v12, v17, 19, 4
	v_sub_u32_e32 v14, 29, v14
	v_and_b32_e32 v15, 7, v15
	v_cmp_eq_u16_e32 vcc, 0, v11
	v_cndmask_b32_e32 v10, v10, v15, vcc
	v_cndmask_b32_e32 v11, v12, v14, vcc
	v_lshlrev_b32_e32 v12, 8, v17
	v_mov_b32_e32 v14, 0x3b800000
	v_lshlrev_b32_e32 v10, 20, v10
	v_and_b32_e32 v12, 0x80000000, v12
	v_lshl_add_u32 v11, v11, 23, v14
	v_or3_b32 v10, v12, v11, v10
.LBB15_1652:
	s_or_b64 exec, exec, s[6:7]
	s_movk_i32 s4, 0xff
	v_and_b32_sdwa v11, v13, s4 dst_sel:DWORD dst_unused:UNUSED_PAD src0_sel:WORD_1 src1_sel:DWORD
	s_movk_i32 s4, 0x7f
	v_cmp_lt_i16_e32 vcc, s4, v11
	s_mov_b64 s[4:5], 0
                                        ; implicit-def: $sgpr10
	s_and_saveexec_b64 s[6:7], vcc
	s_xor_b64 s[6:7], exec, s[6:7]
	s_cbranch_execnz .LBB15_3701
; %bb.1653:
	s_or_saveexec_b64 s[6:7], s[6:7]
	v_mov_b32_e32 v12, s10
	s_xor_b64 exec, exec, s[6:7]
	s_cbranch_execnz .LBB15_3704
.LBB15_1654:
	s_or_b64 exec, exec, s[6:7]
	s_and_saveexec_b64 s[6:7], s[4:5]
	s_cbranch_execz .LBB15_1656
.LBB15_1655:
	v_bfe_u32 v11, v13, 16, 3
	v_ffbh_u32_e32 v15, v11
	v_min_u32_e32 v15, 32, v15
	v_lshrrev_b32_e32 v12, 19, v13
	v_subrev_u32_e32 v16, 28, v15
	v_and_b32_e32 v12, 15, v12
	v_lshlrev_b32_sdwa v16, v16, v13 dst_sel:DWORD dst_unused:UNUSED_PAD src0_sel:DWORD src1_sel:WORD_1
	v_bfe_u32 v14, v13, 19, 4
	v_sub_u32_e32 v15, 29, v15
	v_and_b32_e32 v16, 7, v16
	v_cmp_eq_u16_e32 vcc, 0, v12
	v_cndmask_b32_e32 v11, v11, v16, vcc
	v_cndmask_b32_e32 v12, v14, v15, vcc
	v_lshlrev_b32_e32 v14, 8, v13
	v_mov_b32_e32 v15, 0x3b800000
	v_lshlrev_b32_e32 v11, 20, v11
	v_and_b32_e32 v14, 0x80000000, v14
	v_lshl_add_u32 v12, v12, 23, v15
	v_or3_b32 v12, v14, v12, v11
.LBB15_1656:
	s_or_b64 exec, exec, s[6:7]
	s_nop 0
	v_mfma_f32_16x16x4f32 a[0:3], v10, v12, a[0:3]
	s_movk_i32 s4, 0x7f
	v_cmp_gt_i16_sdwa s[6:7], v17, s4 src0_sel:BYTE_3 src1_sel:DWORD
	s_mov_b64 s[4:5], 0
                                        ; implicit-def: $sgpr10
	s_and_saveexec_b64 s[8:9], s[6:7]
	s_xor_b64 s[6:7], exec, s[8:9]
	s_cbranch_execnz .LBB15_3705
; %bb.1657:
	s_or_saveexec_b64 s[6:7], s[6:7]
	v_mov_b32_e32 v10, s10
	s_xor_b64 exec, exec, s[6:7]
	s_cbranch_execnz .LBB15_3708
.LBB15_1658:
	s_or_b64 exec, exec, s[6:7]
	s_and_saveexec_b64 s[6:7], s[4:5]
	s_cbranch_execz .LBB15_1660
.LBB15_1659:
	v_bfe_u32 v10, v17, 24, 3
	v_ffbh_u32_e32 v15, v10
	v_min_u32_e32 v15, 32, v15
	v_lshrrev_b32_e32 v12, 27, v17
	v_subrev_u32_e32 v16, 28, v15
	v_and_b32_e32 v12, 15, v12
	v_lshlrev_b32_sdwa v16, v16, v17 dst_sel:DWORD dst_unused:UNUSED_PAD src0_sel:DWORD src1_sel:BYTE_3
	v_bfe_u32 v14, v17, 27, 4
	v_sub_u32_e32 v15, 29, v15
	v_and_b32_e32 v16, 7, v16
	v_cmp_eq_u16_e32 vcc, 0, v12
	v_cndmask_b32_e32 v10, v10, v16, vcc
	v_cndmask_b32_e32 v12, v14, v15, vcc
	v_mov_b32_e32 v14, 0x3b800000
	v_and_b32_e32 v11, 0x80000000, v17
	v_lshlrev_b32_e32 v10, 20, v10
	v_lshl_add_u32 v12, v12, 23, v14
	v_or3_b32 v10, v11, v12, v10
.LBB15_1660:
	s_or_b64 exec, exec, s[6:7]
	s_movk_i32 s4, 0x7f
	v_cmp_gt_i16_sdwa s[6:7], v13, s4 src0_sel:BYTE_3 src1_sel:DWORD
	s_mov_b64 s[4:5], 0
                                        ; implicit-def: $sgpr10
	s_and_saveexec_b64 s[8:9], s[6:7]
	s_xor_b64 s[6:7], exec, s[8:9]
	s_cbranch_execnz .LBB15_3709
; %bb.1661:
	s_or_saveexec_b64 s[6:7], s[6:7]
	v_mov_b32_e32 v11, s10
	s_xor_b64 exec, exec, s[6:7]
	s_cbranch_execnz .LBB15_3712
.LBB15_1662:
	s_or_b64 exec, exec, s[6:7]
	s_and_saveexec_b64 s[6:7], s[4:5]
	s_cbranch_execz .LBB15_1664
.LBB15_1663:
	v_bfe_u32 v11, v13, 24, 3
	v_ffbh_u32_e32 v16, v11
	v_min_u32_e32 v16, 32, v16
	v_lshrrev_b32_e32 v14, 27, v13
	v_subrev_u32_e32 v17, 28, v16
	v_and_b32_e32 v12, 0x80000000, v13
	v_and_b32_e32 v14, 15, v14
	v_bfe_u32 v15, v13, 27, 4
	v_lshlrev_b32_sdwa v13, v17, v13 dst_sel:DWORD dst_unused:UNUSED_PAD src0_sel:DWORD src1_sel:BYTE_3
	v_sub_u32_e32 v16, 29, v16
	v_and_b32_e32 v13, 7, v13
	v_cmp_eq_u16_e32 vcc, 0, v14
	v_cndmask_b32_e32 v11, v11, v13, vcc
	v_cndmask_b32_e32 v13, v15, v16, vcc
	v_mov_b32_e32 v14, 0x3b800000
	v_lshlrev_b32_e32 v11, 20, v11
	v_lshl_add_u32 v13, v13, 23, v14
	v_or3_b32 v11, v12, v13, v11
.LBB15_1664:
	s_or_b64 exec, exec, s[6:7]
	s_nop 0
	v_mfma_f32_16x16x4f32 a[0:3], v10, v11, a[0:3]
	s_movk_i32 s4, 0x7f
	v_cmp_gt_i16_sdwa s[6:7], v6, s4 src0_sel:BYTE_0 src1_sel:DWORD
	s_mov_b64 s[4:5], 0
                                        ; implicit-def: $sgpr10
	s_and_saveexec_b64 s[8:9], s[6:7]
	s_xor_b64 s[6:7], exec, s[8:9]
	s_cbranch_execnz .LBB15_3713
; %bb.1665:
	s_or_saveexec_b64 s[6:7], s[6:7]
	v_mov_b32_e32 v10, s10
	s_xor_b64 exec, exec, s[6:7]
	s_cbranch_execnz .LBB15_3716
.LBB15_1666:
	s_or_b64 exec, exec, s[6:7]
	s_and_saveexec_b64 s[6:7], s[4:5]
	s_cbranch_execz .LBB15_1668
.LBB15_1667:
	v_and_b32_e32 v10, 7, v6
	v_ffbh_u32_e32 v12, v10
	v_min_u32_e32 v12, 32, v12
	v_lshrrev_b16_e32 v11, 3, v6
	v_subrev_u32_e32 v13, 28, v12
	v_and_b32_e32 v11, 15, v11
	v_lshlrev_b32_e32 v13, v13, v6
	v_sub_u32_e32 v12, 29, v12
	v_and_b32_e32 v13, 7, v13
	v_cmp_eq_u16_e32 vcc, 0, v11
	v_cndmask_b32_e32 v10, v10, v13, vcc
	v_cndmask_b32_e32 v11, v11, v12, vcc
	v_lshlrev_b32_e32 v12, 24, v6
	v_mov_b32_e32 v13, 0x3b800000
	v_lshlrev_b32_e32 v10, 20, v10
	v_and_b32_e32 v12, 0x80000000, v12
	v_lshl_add_u32 v11, v11, 23, v13
	v_or3_b32 v10, v12, v11, v10
.LBB15_1668:
	s_or_b64 exec, exec, s[6:7]
	s_movk_i32 s4, 0x7f
	v_cmp_gt_i16_sdwa s[6:7], v2, s4 src0_sel:BYTE_0 src1_sel:DWORD
	s_mov_b64 s[4:5], 0
                                        ; implicit-def: $sgpr10
	s_and_saveexec_b64 s[8:9], s[6:7]
	s_xor_b64 s[6:7], exec, s[8:9]
	s_cbranch_execnz .LBB15_3717
; %bb.1669:
	s_or_saveexec_b64 s[6:7], s[6:7]
	v_mov_b32_e32 v11, s10
	s_xor_b64 exec, exec, s[6:7]
	s_cbranch_execnz .LBB15_3720
.LBB15_1670:
	s_or_b64 exec, exec, s[6:7]
	s_and_saveexec_b64 s[6:7], s[4:5]
	s_cbranch_execz .LBB15_1672
.LBB15_1671:
	v_and_b32_e32 v11, 7, v2
	v_ffbh_u32_e32 v13, v11
	v_min_u32_e32 v13, 32, v13
	v_lshrrev_b16_e32 v12, 3, v2
	v_subrev_u32_e32 v14, 28, v13
	v_and_b32_e32 v12, 15, v12
	v_lshlrev_b32_e32 v14, v14, v2
	v_sub_u32_e32 v13, 29, v13
	v_and_b32_e32 v14, 7, v14
	v_cmp_eq_u16_e32 vcc, 0, v12
	v_cndmask_b32_e32 v11, v11, v14, vcc
	v_cndmask_b32_e32 v12, v12, v13, vcc
	v_lshlrev_b32_e32 v13, 24, v2
	v_mov_b32_e32 v14, 0x3b800000
	v_lshlrev_b32_e32 v11, 20, v11
	v_and_b32_e32 v13, 0x80000000, v13
	v_lshl_add_u32 v12, v12, 23, v14
	v_or3_b32 v11, v13, v12, v11
.LBB15_1672:
	s_or_b64 exec, exec, s[6:7]
	s_nop 0
	v_mfma_f32_16x16x4f32 a[0:3], v10, v11, a[0:3]
	v_lshrrev_b32_e32 v11, 8, v6
	s_movk_i32 s4, 0x7f
	v_cmp_gt_i16_sdwa s[6:7], v11, s4 src0_sel:BYTE_0 src1_sel:DWORD
	s_mov_b64 s[4:5], 0
                                        ; implicit-def: $sgpr10
	s_and_saveexec_b64 s[8:9], s[6:7]
	s_xor_b64 s[6:7], exec, s[8:9]
	s_cbranch_execnz .LBB15_3721
; %bb.1673:
	s_or_saveexec_b64 s[6:7], s[6:7]
	v_mov_b32_e32 v10, s10
	s_xor_b64 exec, exec, s[6:7]
	s_cbranch_execnz .LBB15_3724
.LBB15_1674:
	s_or_b64 exec, exec, s[6:7]
	s_and_saveexec_b64 s[6:7], s[4:5]
	s_cbranch_execz .LBB15_1676
.LBB15_1675:
	v_bfe_u32 v10, v6, 8, 3
	v_ffbh_u32_e32 v13, v10
	v_min_u32_e32 v13, 32, v13
	v_lshrrev_b16_e32 v12, 3, v11
	v_subrev_u32_e32 v14, 28, v13
	v_and_b32_e32 v12, 15, v12
	v_lshlrev_b32_e32 v11, v14, v11
	v_sub_u32_e32 v13, 29, v13
	v_and_b32_e32 v11, 7, v11
	v_cmp_eq_u16_e32 vcc, 0, v12
	v_cndmask_b32_e32 v10, v10, v11, vcc
	v_cndmask_b32_e32 v11, v12, v13, vcc
	v_lshlrev_b32_e32 v12, 16, v6
	v_mov_b32_e32 v13, 0x3b800000
	v_lshlrev_b32_e32 v10, 20, v10
	v_and_b32_e32 v12, 0x80000000, v12
	v_lshl_add_u32 v11, v11, 23, v13
	v_or3_b32 v10, v12, v11, v10
.LBB15_1676:
	s_or_b64 exec, exec, s[6:7]
	v_lshrrev_b32_e32 v11, 8, v2
	s_movk_i32 s4, 0x7f
	v_cmp_gt_i16_sdwa s[6:7], v11, s4 src0_sel:BYTE_0 src1_sel:DWORD
	s_mov_b64 s[4:5], 0
                                        ; implicit-def: $sgpr10
	s_and_saveexec_b64 s[8:9], s[6:7]
	s_xor_b64 s[6:7], exec, s[8:9]
	s_cbranch_execnz .LBB15_3725
; %bb.1677:
	s_or_saveexec_b64 s[6:7], s[6:7]
	v_mov_b32_e32 v12, s10
	s_xor_b64 exec, exec, s[6:7]
	s_cbranch_execnz .LBB15_3728
.LBB15_1678:
	s_or_b64 exec, exec, s[6:7]
	s_and_saveexec_b64 s[6:7], s[4:5]
	s_cbranch_execz .LBB15_1680
.LBB15_1679:
	v_bfe_u32 v12, v2, 8, 3
	v_ffbh_u32_e32 v14, v12
	v_min_u32_e32 v14, 32, v14
	v_lshrrev_b16_e32 v13, 3, v11
	v_subrev_u32_e32 v15, 28, v14
	v_and_b32_e32 v13, 15, v13
	v_lshlrev_b32_e32 v11, v15, v11
	v_sub_u32_e32 v14, 29, v14
	v_and_b32_e32 v11, 7, v11
	v_cmp_eq_u16_e32 vcc, 0, v13
	v_cndmask_b32_e32 v11, v12, v11, vcc
	v_cndmask_b32_e32 v12, v13, v14, vcc
	v_lshlrev_b32_e32 v13, 16, v2
	v_mov_b32_e32 v14, 0x3b800000
	v_lshlrev_b32_e32 v11, 20, v11
	v_and_b32_e32 v13, 0x80000000, v13
	v_lshl_add_u32 v12, v12, 23, v14
	v_or3_b32 v12, v13, v12, v11
.LBB15_1680:
	s_or_b64 exec, exec, s[6:7]
	s_nop 0
	v_mfma_f32_16x16x4f32 a[0:3], v10, v12, a[0:3]
	s_movk_i32 s4, 0xff
	v_and_b32_sdwa v11, v6, s4 dst_sel:DWORD dst_unused:UNUSED_PAD src0_sel:WORD_1 src1_sel:DWORD
	s_movk_i32 s4, 0x7f
	v_cmp_lt_i16_e32 vcc, s4, v11
	s_mov_b64 s[4:5], 0
                                        ; implicit-def: $sgpr10
	s_and_saveexec_b64 s[6:7], vcc
	s_xor_b64 s[6:7], exec, s[6:7]
	s_cbranch_execnz .LBB15_3729
; %bb.1681:
	s_or_saveexec_b64 s[6:7], s[6:7]
	v_mov_b32_e32 v10, s10
	s_xor_b64 exec, exec, s[6:7]
	s_cbranch_execnz .LBB15_3732
.LBB15_1682:
	s_or_b64 exec, exec, s[6:7]
	s_and_saveexec_b64 s[6:7], s[4:5]
	s_cbranch_execz .LBB15_1684
.LBB15_1683:
	v_bfe_u32 v10, v6, 16, 3
	v_ffbh_u32_e32 v13, v10
	v_min_u32_e32 v13, 32, v13
	v_lshrrev_b32_e32 v11, 19, v6
	v_subrev_u32_e32 v14, 28, v13
	v_and_b32_e32 v11, 15, v11
	v_lshlrev_b32_sdwa v14, v14, v6 dst_sel:DWORD dst_unused:UNUSED_PAD src0_sel:DWORD src1_sel:WORD_1
	v_bfe_u32 v12, v6, 19, 4
	v_sub_u32_e32 v13, 29, v13
	v_and_b32_e32 v14, 7, v14
	v_cmp_eq_u16_e32 vcc, 0, v11
	v_cndmask_b32_e32 v10, v10, v14, vcc
	v_cndmask_b32_e32 v11, v12, v13, vcc
	v_lshlrev_b32_e32 v12, 8, v6
	v_mov_b32_e32 v13, 0x3b800000
	v_lshlrev_b32_e32 v10, 20, v10
	v_and_b32_e32 v12, 0x80000000, v12
	v_lshl_add_u32 v11, v11, 23, v13
	v_or3_b32 v10, v12, v11, v10
.LBB15_1684:
	s_or_b64 exec, exec, s[6:7]
	s_movk_i32 s4, 0xff
	v_and_b32_sdwa v11, v2, s4 dst_sel:DWORD dst_unused:UNUSED_PAD src0_sel:WORD_1 src1_sel:DWORD
	s_movk_i32 s4, 0x7f
	v_cmp_lt_i16_e32 vcc, s4, v11
	s_mov_b64 s[4:5], 0
                                        ; implicit-def: $sgpr10
	s_and_saveexec_b64 s[6:7], vcc
	s_xor_b64 s[6:7], exec, s[6:7]
	s_cbranch_execnz .LBB15_3733
; %bb.1685:
	s_or_saveexec_b64 s[6:7], s[6:7]
	v_mov_b32_e32 v12, s10
	s_xor_b64 exec, exec, s[6:7]
	s_cbranch_execnz .LBB15_3736
.LBB15_1686:
	s_or_b64 exec, exec, s[6:7]
	s_and_saveexec_b64 s[6:7], s[4:5]
	s_cbranch_execz .LBB15_1688
.LBB15_1687:
	v_bfe_u32 v11, v2, 16, 3
	v_ffbh_u32_e32 v14, v11
	v_min_u32_e32 v14, 32, v14
	v_lshrrev_b32_e32 v12, 19, v2
	v_subrev_u32_e32 v15, 28, v14
	v_and_b32_e32 v12, 15, v12
	v_lshlrev_b32_sdwa v15, v15, v2 dst_sel:DWORD dst_unused:UNUSED_PAD src0_sel:DWORD src1_sel:WORD_1
	v_bfe_u32 v13, v2, 19, 4
	v_sub_u32_e32 v14, 29, v14
	v_and_b32_e32 v15, 7, v15
	v_cmp_eq_u16_e32 vcc, 0, v12
	v_cndmask_b32_e32 v11, v11, v15, vcc
	v_cndmask_b32_e32 v12, v13, v14, vcc
	v_lshlrev_b32_e32 v13, 8, v2
	v_mov_b32_e32 v14, 0x3b800000
	v_lshlrev_b32_e32 v11, 20, v11
	v_and_b32_e32 v13, 0x80000000, v13
	v_lshl_add_u32 v12, v12, 23, v14
	v_or3_b32 v12, v13, v12, v11
.LBB15_1688:
	s_or_b64 exec, exec, s[6:7]
	s_nop 0
	v_mfma_f32_16x16x4f32 a[0:3], v10, v12, a[0:3]
	s_movk_i32 s4, 0x7f
	v_cmp_gt_i16_sdwa s[6:7], v6, s4 src0_sel:BYTE_3 src1_sel:DWORD
	s_mov_b64 s[4:5], 0
                                        ; implicit-def: $sgpr10
	s_and_saveexec_b64 s[8:9], s[6:7]
	s_xor_b64 s[6:7], exec, s[8:9]
	s_cbranch_execnz .LBB15_3737
; %bb.1689:
	s_or_saveexec_b64 s[6:7], s[6:7]
	v_mov_b32_e32 v10, s10
	s_xor_b64 exec, exec, s[6:7]
	s_cbranch_execnz .LBB15_3740
.LBB15_1690:
	s_or_b64 exec, exec, s[6:7]
	s_and_saveexec_b64 s[6:7], s[4:5]
	s_cbranch_execz .LBB15_1692
.LBB15_1691:
	v_bfe_u32 v10, v6, 24, 3
	v_ffbh_u32_e32 v14, v10
	v_min_u32_e32 v14, 32, v14
	v_lshrrev_b32_e32 v12, 27, v6
	v_subrev_u32_e32 v15, 28, v14
	v_and_b32_e32 v11, 0x80000000, v6
	v_and_b32_e32 v12, 15, v12
	v_bfe_u32 v13, v6, 27, 4
	v_lshlrev_b32_sdwa v6, v15, v6 dst_sel:DWORD dst_unused:UNUSED_PAD src0_sel:DWORD src1_sel:BYTE_3
	v_sub_u32_e32 v14, 29, v14
	v_and_b32_e32 v6, 7, v6
	v_cmp_eq_u16_e32 vcc, 0, v12
	v_cndmask_b32_e32 v6, v10, v6, vcc
	v_cndmask_b32_e32 v10, v13, v14, vcc
	v_mov_b32_e32 v12, 0x3b800000
	v_lshlrev_b32_e32 v6, 20, v6
	v_lshl_add_u32 v10, v10, 23, v12
	v_or3_b32 v10, v11, v10, v6
.LBB15_1692:
	s_or_b64 exec, exec, s[6:7]
	s_movk_i32 s4, 0x7f
	v_cmp_gt_i16_sdwa s[6:7], v2, s4 src0_sel:BYTE_3 src1_sel:DWORD
	s_mov_b64 s[4:5], 0
                                        ; implicit-def: $sgpr10
	s_and_saveexec_b64 s[8:9], s[6:7]
	s_xor_b64 s[6:7], exec, s[8:9]
	s_cbranch_execnz .LBB15_3741
; %bb.1693:
	s_or_saveexec_b64 s[6:7], s[6:7]
	v_mov_b32_e32 v6, s10
	s_xor_b64 exec, exec, s[6:7]
	s_cbranch_execnz .LBB15_3744
.LBB15_1694:
	s_or_b64 exec, exec, s[6:7]
	s_and_saveexec_b64 s[6:7], s[4:5]
	s_cbranch_execz .LBB15_1696
.LBB15_1695:
	v_bfe_u32 v6, v2, 24, 3
	v_ffbh_u32_e32 v14, v6
	v_min_u32_e32 v14, 32, v14
	v_lshrrev_b32_e32 v12, 27, v2
	v_subrev_u32_e32 v15, 28, v14
	v_and_b32_e32 v11, 0x80000000, v2
	v_and_b32_e32 v12, 15, v12
	v_bfe_u32 v13, v2, 27, 4
	v_lshlrev_b32_sdwa v2, v15, v2 dst_sel:DWORD dst_unused:UNUSED_PAD src0_sel:DWORD src1_sel:BYTE_3
	v_sub_u32_e32 v14, 29, v14
	v_and_b32_e32 v2, 7, v2
	v_cmp_eq_u16_e32 vcc, 0, v12
	v_cndmask_b32_e32 v2, v6, v2, vcc
	v_cndmask_b32_e32 v6, v13, v14, vcc
	v_mov_b32_e32 v12, 0x3b800000
	v_lshlrev_b32_e32 v2, 20, v2
	v_lshl_add_u32 v6, v6, 23, v12
	v_or3_b32 v6, v11, v6, v2
.LBB15_1696:
	s_or_b64 exec, exec, s[6:7]
	s_nop 0
	v_mfma_f32_16x16x4f32 a[0:3], v10, v6, a[0:3]
	s_movk_i32 s4, 0x7f
	v_cmp_gt_i16_sdwa s[6:7], v7, s4 src0_sel:BYTE_0 src1_sel:DWORD
	s_mov_b64 s[4:5], 0
                                        ; implicit-def: $sgpr10
	s_and_saveexec_b64 s[8:9], s[6:7]
	s_xor_b64 s[6:7], exec, s[8:9]
	s_cbranch_execnz .LBB15_3745
; %bb.1697:
	s_or_saveexec_b64 s[6:7], s[6:7]
	v_mov_b32_e32 v2, s10
	s_xor_b64 exec, exec, s[6:7]
	s_cbranch_execnz .LBB15_3748
.LBB15_1698:
	s_or_b64 exec, exec, s[6:7]
	s_and_saveexec_b64 s[6:7], s[4:5]
	s_cbranch_execz .LBB15_1700
.LBB15_1699:
	v_and_b32_e32 v2, 7, v7
	v_ffbh_u32_e32 v10, v2
	v_min_u32_e32 v10, 32, v10
	v_lshrrev_b16_e32 v6, 3, v7
	v_subrev_u32_e32 v11, 28, v10
	v_and_b32_e32 v6, 15, v6
	v_lshlrev_b32_e32 v11, v11, v7
	v_sub_u32_e32 v10, 29, v10
	v_and_b32_e32 v11, 7, v11
	v_cmp_eq_u16_e32 vcc, 0, v6
	v_cndmask_b32_e32 v2, v2, v11, vcc
	v_cndmask_b32_e32 v6, v6, v10, vcc
	v_lshlrev_b32_e32 v10, 24, v7
	v_mov_b32_e32 v11, 0x3b800000
	v_lshlrev_b32_e32 v2, 20, v2
	v_and_b32_e32 v10, 0x80000000, v10
	v_lshl_add_u32 v6, v6, 23, v11
	v_or3_b32 v2, v10, v6, v2
.LBB15_1700:
	s_or_b64 exec, exec, s[6:7]
	s_movk_i32 s4, 0x7f
	v_cmp_gt_i16_sdwa s[6:7], v3, s4 src0_sel:BYTE_0 src1_sel:DWORD
	s_mov_b64 s[4:5], 0
                                        ; implicit-def: $sgpr10
	s_and_saveexec_b64 s[8:9], s[6:7]
	s_xor_b64 s[6:7], exec, s[8:9]
	s_cbranch_execnz .LBB15_3749
; %bb.1701:
	s_or_saveexec_b64 s[6:7], s[6:7]
	v_mov_b32_e32 v6, s10
	s_xor_b64 exec, exec, s[6:7]
	s_cbranch_execnz .LBB15_3752
.LBB15_1702:
	s_or_b64 exec, exec, s[6:7]
	s_and_saveexec_b64 s[6:7], s[4:5]
	s_cbranch_execz .LBB15_1704
.LBB15_1703:
	v_and_b32_e32 v6, 7, v3
	v_ffbh_u32_e32 v11, v6
	v_min_u32_e32 v11, 32, v11
	v_lshrrev_b16_e32 v10, 3, v3
	v_subrev_u32_e32 v12, 28, v11
	v_and_b32_e32 v10, 15, v10
	v_lshlrev_b32_e32 v12, v12, v3
	v_sub_u32_e32 v11, 29, v11
	v_and_b32_e32 v12, 7, v12
	v_cmp_eq_u16_e32 vcc, 0, v10
	v_cndmask_b32_e32 v6, v6, v12, vcc
	v_cndmask_b32_e32 v10, v10, v11, vcc
	v_lshlrev_b32_e32 v11, 24, v3
	v_mov_b32_e32 v12, 0x3b800000
	v_lshlrev_b32_e32 v6, 20, v6
	v_and_b32_e32 v11, 0x80000000, v11
	v_lshl_add_u32 v10, v10, 23, v12
	v_or3_b32 v6, v11, v10, v6
.LBB15_1704:
	s_or_b64 exec, exec, s[6:7]
	s_nop 0
	v_mfma_f32_16x16x4f32 a[0:3], v2, v6, a[0:3]
	v_lshrrev_b32_e32 v6, 8, v7
	s_movk_i32 s4, 0x7f
	v_cmp_gt_i16_sdwa s[6:7], v6, s4 src0_sel:BYTE_0 src1_sel:DWORD
	s_mov_b64 s[4:5], 0
                                        ; implicit-def: $sgpr10
	s_and_saveexec_b64 s[8:9], s[6:7]
	s_xor_b64 s[6:7], exec, s[8:9]
	s_cbranch_execnz .LBB15_3753
; %bb.1705:
	s_or_saveexec_b64 s[6:7], s[6:7]
	v_mov_b32_e32 v2, s10
	s_xor_b64 exec, exec, s[6:7]
	s_cbranch_execnz .LBB15_3756
.LBB15_1706:
	s_or_b64 exec, exec, s[6:7]
	s_and_saveexec_b64 s[6:7], s[4:5]
	s_cbranch_execz .LBB15_1708
.LBB15_1707:
	v_bfe_u32 v2, v7, 8, 3
	v_ffbh_u32_e32 v11, v2
	v_min_u32_e32 v11, 32, v11
	v_lshrrev_b16_e32 v10, 3, v6
	v_subrev_u32_e32 v12, 28, v11
	v_and_b32_e32 v10, 15, v10
	v_lshlrev_b32_e32 v6, v12, v6
	v_sub_u32_e32 v11, 29, v11
	v_and_b32_e32 v6, 7, v6
	v_cmp_eq_u16_e32 vcc, 0, v10
	v_cndmask_b32_e32 v2, v2, v6, vcc
	v_cndmask_b32_e32 v6, v10, v11, vcc
	v_lshlrev_b32_e32 v10, 16, v7
	v_mov_b32_e32 v11, 0x3b800000
	v_lshlrev_b32_e32 v2, 20, v2
	v_and_b32_e32 v10, 0x80000000, v10
	v_lshl_add_u32 v6, v6, 23, v11
	v_or3_b32 v2, v10, v6, v2
.LBB15_1708:
	s_or_b64 exec, exec, s[6:7]
	v_lshrrev_b32_e32 v6, 8, v3
	s_movk_i32 s4, 0x7f
	v_cmp_gt_i16_sdwa s[6:7], v6, s4 src0_sel:BYTE_0 src1_sel:DWORD
	s_mov_b64 s[4:5], 0
                                        ; implicit-def: $sgpr10
	s_and_saveexec_b64 s[8:9], s[6:7]
	s_xor_b64 s[6:7], exec, s[8:9]
	s_cbranch_execnz .LBB15_3757
; %bb.1709:
	s_or_saveexec_b64 s[6:7], s[6:7]
	v_mov_b32_e32 v10, s10
	s_xor_b64 exec, exec, s[6:7]
	s_cbranch_execnz .LBB15_3760
.LBB15_1710:
	s_or_b64 exec, exec, s[6:7]
	s_and_saveexec_b64 s[6:7], s[4:5]
	s_cbranch_execz .LBB15_1712
.LBB15_1711:
	v_bfe_u32 v10, v3, 8, 3
	v_ffbh_u32_e32 v12, v10
	v_min_u32_e32 v12, 32, v12
	v_lshrrev_b16_e32 v11, 3, v6
	v_subrev_u32_e32 v13, 28, v12
	v_and_b32_e32 v11, 15, v11
	v_lshlrev_b32_e32 v6, v13, v6
	v_sub_u32_e32 v12, 29, v12
	v_and_b32_e32 v6, 7, v6
	v_cmp_eq_u16_e32 vcc, 0, v11
	v_cndmask_b32_e32 v6, v10, v6, vcc
	v_cndmask_b32_e32 v10, v11, v12, vcc
	v_lshlrev_b32_e32 v11, 16, v3
	v_mov_b32_e32 v12, 0x3b800000
	v_lshlrev_b32_e32 v6, 20, v6
	v_and_b32_e32 v11, 0x80000000, v11
	v_lshl_add_u32 v10, v10, 23, v12
	v_or3_b32 v10, v11, v10, v6
.LBB15_1712:
	s_or_b64 exec, exec, s[6:7]
	s_nop 0
	v_mfma_f32_16x16x4f32 a[0:3], v2, v10, a[0:3]
	s_movk_i32 s4, 0xff
	v_and_b32_sdwa v6, v7, s4 dst_sel:DWORD dst_unused:UNUSED_PAD src0_sel:WORD_1 src1_sel:DWORD
	s_movk_i32 s4, 0x7f
	v_cmp_lt_i16_e32 vcc, s4, v6
	s_mov_b64 s[4:5], 0
                                        ; implicit-def: $sgpr10
	s_and_saveexec_b64 s[6:7], vcc
	s_xor_b64 s[6:7], exec, s[6:7]
	s_cbranch_execnz .LBB15_3761
; %bb.1713:
	s_or_saveexec_b64 s[6:7], s[6:7]
	v_mov_b32_e32 v2, s10
	s_xor_b64 exec, exec, s[6:7]
	s_cbranch_execnz .LBB15_3764
.LBB15_1714:
	s_or_b64 exec, exec, s[6:7]
	s_and_saveexec_b64 s[6:7], s[4:5]
	s_cbranch_execz .LBB15_1716
.LBB15_1715:
	v_bfe_u32 v2, v7, 16, 3
	v_ffbh_u32_e32 v11, v2
	v_min_u32_e32 v11, 32, v11
	v_lshrrev_b32_e32 v6, 19, v7
	v_subrev_u32_e32 v12, 28, v11
	v_and_b32_e32 v6, 15, v6
	v_lshlrev_b32_sdwa v12, v12, v7 dst_sel:DWORD dst_unused:UNUSED_PAD src0_sel:DWORD src1_sel:WORD_1
	v_bfe_u32 v10, v7, 19, 4
	v_sub_u32_e32 v11, 29, v11
	v_and_b32_e32 v12, 7, v12
	v_cmp_eq_u16_e32 vcc, 0, v6
	v_cndmask_b32_e32 v2, v2, v12, vcc
	v_cndmask_b32_e32 v6, v10, v11, vcc
	v_lshlrev_b32_e32 v10, 8, v7
	v_mov_b32_e32 v11, 0x3b800000
	v_lshlrev_b32_e32 v2, 20, v2
	v_and_b32_e32 v10, 0x80000000, v10
	v_lshl_add_u32 v6, v6, 23, v11
	v_or3_b32 v2, v10, v6, v2
.LBB15_1716:
	s_or_b64 exec, exec, s[6:7]
	s_movk_i32 s4, 0xff
	v_and_b32_sdwa v6, v3, s4 dst_sel:DWORD dst_unused:UNUSED_PAD src0_sel:WORD_1 src1_sel:DWORD
	s_movk_i32 s4, 0x7f
	v_cmp_lt_i16_e32 vcc, s4, v6
	s_mov_b64 s[4:5], 0
                                        ; implicit-def: $sgpr10
	s_and_saveexec_b64 s[6:7], vcc
	s_xor_b64 s[6:7], exec, s[6:7]
	s_cbranch_execnz .LBB15_3765
; %bb.1717:
	s_or_saveexec_b64 s[6:7], s[6:7]
	v_mov_b32_e32 v10, s10
	s_xor_b64 exec, exec, s[6:7]
	s_cbranch_execnz .LBB15_3768
.LBB15_1718:
	s_or_b64 exec, exec, s[6:7]
	s_and_saveexec_b64 s[6:7], s[4:5]
	s_cbranch_execz .LBB15_1720
.LBB15_1719:
	v_bfe_u32 v6, v3, 16, 3
	v_ffbh_u32_e32 v12, v6
	v_min_u32_e32 v12, 32, v12
	v_lshrrev_b32_e32 v10, 19, v3
	v_subrev_u32_e32 v13, 28, v12
	v_and_b32_e32 v10, 15, v10
	v_lshlrev_b32_sdwa v13, v13, v3 dst_sel:DWORD dst_unused:UNUSED_PAD src0_sel:DWORD src1_sel:WORD_1
	v_bfe_u32 v11, v3, 19, 4
	v_sub_u32_e32 v12, 29, v12
	v_and_b32_e32 v13, 7, v13
	v_cmp_eq_u16_e32 vcc, 0, v10
	v_cndmask_b32_e32 v6, v6, v13, vcc
	v_cndmask_b32_e32 v10, v11, v12, vcc
	v_lshlrev_b32_e32 v11, 8, v3
	v_mov_b32_e32 v12, 0x3b800000
	v_lshlrev_b32_e32 v6, 20, v6
	v_and_b32_e32 v11, 0x80000000, v11
	v_lshl_add_u32 v10, v10, 23, v12
	v_or3_b32 v10, v11, v10, v6
.LBB15_1720:
	s_or_b64 exec, exec, s[6:7]
	s_nop 0
	v_mfma_f32_16x16x4f32 a[0:3], v2, v10, a[0:3]
	s_movk_i32 s4, 0x7f
	v_cmp_gt_i16_sdwa s[6:7], v7, s4 src0_sel:BYTE_3 src1_sel:DWORD
	s_mov_b64 s[4:5], 0
                                        ; implicit-def: $sgpr10
	s_and_saveexec_b64 s[8:9], s[6:7]
	s_xor_b64 s[6:7], exec, s[8:9]
	s_cbranch_execnz .LBB15_3769
; %bb.1721:
	s_or_saveexec_b64 s[6:7], s[6:7]
	v_mov_b32_e32 v2, s10
	s_xor_b64 exec, exec, s[6:7]
	s_cbranch_execnz .LBB15_3772
.LBB15_1722:
	s_or_b64 exec, exec, s[6:7]
	s_and_saveexec_b64 s[6:7], s[4:5]
	s_cbranch_execz .LBB15_1724
.LBB15_1723:
	v_bfe_u32 v2, v7, 24, 3
	v_ffbh_u32_e32 v12, v2
	v_min_u32_e32 v12, 32, v12
	v_lshrrev_b32_e32 v10, 27, v7
	v_subrev_u32_e32 v13, 28, v12
	v_and_b32_e32 v6, 0x80000000, v7
	v_and_b32_e32 v10, 15, v10
	v_bfe_u32 v11, v7, 27, 4
	v_lshlrev_b32_sdwa v7, v13, v7 dst_sel:DWORD dst_unused:UNUSED_PAD src0_sel:DWORD src1_sel:BYTE_3
	v_sub_u32_e32 v12, 29, v12
	v_and_b32_e32 v7, 7, v7
	v_cmp_eq_u16_e32 vcc, 0, v10
	v_cndmask_b32_e32 v2, v2, v7, vcc
	v_cndmask_b32_e32 v7, v11, v12, vcc
	v_mov_b32_e32 v10, 0x3b800000
	v_lshlrev_b32_e32 v2, 20, v2
	v_lshl_add_u32 v7, v7, 23, v10
	v_or3_b32 v2, v6, v7, v2
.LBB15_1724:
	s_or_b64 exec, exec, s[6:7]
	s_movk_i32 s4, 0x7f
	v_cmp_gt_i16_sdwa s[6:7], v3, s4 src0_sel:BYTE_3 src1_sel:DWORD
	s_mov_b64 s[4:5], 0
                                        ; implicit-def: $sgpr10
	s_and_saveexec_b64 s[8:9], s[6:7]
	s_xor_b64 s[6:7], exec, s[8:9]
	s_cbranch_execnz .LBB15_3773
; %bb.1725:
	s_or_saveexec_b64 s[6:7], s[6:7]
	v_mov_b32_e32 v6, s10
	s_xor_b64 exec, exec, s[6:7]
	s_cbranch_execnz .LBB15_3776
.LBB15_1726:
	s_or_b64 exec, exec, s[6:7]
	s_and_saveexec_b64 s[6:7], s[4:5]
	s_cbranch_execz .LBB15_1728
.LBB15_1727:
	v_bfe_u32 v6, v3, 24, 3
	v_ffbh_u32_e32 v12, v6
	v_min_u32_e32 v12, 32, v12
	v_lshrrev_b32_e32 v10, 27, v3
	v_subrev_u32_e32 v13, 28, v12
	v_and_b32_e32 v7, 0x80000000, v3
	v_and_b32_e32 v10, 15, v10
	v_bfe_u32 v11, v3, 27, 4
	v_lshlrev_b32_sdwa v3, v13, v3 dst_sel:DWORD dst_unused:UNUSED_PAD src0_sel:DWORD src1_sel:BYTE_3
	v_sub_u32_e32 v12, 29, v12
	v_and_b32_e32 v3, 7, v3
	v_cmp_eq_u16_e32 vcc, 0, v10
	v_cndmask_b32_e32 v3, v6, v3, vcc
	v_cndmask_b32_e32 v6, v11, v12, vcc
	v_mov_b32_e32 v10, 0x3b800000
	v_lshlrev_b32_e32 v3, 20, v3
	v_lshl_add_u32 v6, v6, 23, v10
	v_or3_b32 v6, v7, v6, v3
.LBB15_1728:
	s_or_b64 exec, exec, s[6:7]
	s_nop 0
	v_mfma_f32_16x16x4f32 a[0:3], v2, v6, a[0:3]
	s_movk_i32 s4, 0x7f
	v_cmp_gt_i16_sdwa s[6:7], v8, s4 src0_sel:BYTE_0 src1_sel:DWORD
	s_mov_b64 s[4:5], 0
                                        ; implicit-def: $sgpr10
	s_and_saveexec_b64 s[8:9], s[6:7]
	s_xor_b64 s[6:7], exec, s[8:9]
	s_cbranch_execnz .LBB15_3777
; %bb.1729:
	s_or_saveexec_b64 s[6:7], s[6:7]
	v_mov_b32_e32 v2, s10
	s_xor_b64 exec, exec, s[6:7]
	s_cbranch_execnz .LBB15_3780
.LBB15_1730:
	s_or_b64 exec, exec, s[6:7]
	s_and_saveexec_b64 s[6:7], s[4:5]
	s_cbranch_execz .LBB15_1732
.LBB15_1731:
	v_and_b32_e32 v2, 7, v8
	v_ffbh_u32_e32 v6, v2
	v_min_u32_e32 v6, 32, v6
	v_lshrrev_b16_e32 v3, 3, v8
	v_subrev_u32_e32 v7, 28, v6
	v_and_b32_e32 v3, 15, v3
	v_lshlrev_b32_e32 v7, v7, v8
	v_sub_u32_e32 v6, 29, v6
	v_and_b32_e32 v7, 7, v7
	v_cmp_eq_u16_e32 vcc, 0, v3
	v_cndmask_b32_e32 v2, v2, v7, vcc
	v_cndmask_b32_e32 v3, v3, v6, vcc
	v_lshlrev_b32_e32 v6, 24, v8
	v_mov_b32_e32 v7, 0x3b800000
	v_lshlrev_b32_e32 v2, 20, v2
	v_and_b32_e32 v6, 0x80000000, v6
	v_lshl_add_u32 v3, v3, 23, v7
	v_or3_b32 v2, v6, v3, v2
.LBB15_1732:
	s_or_b64 exec, exec, s[6:7]
	s_movk_i32 s4, 0x7f
	v_cmp_gt_i16_sdwa s[6:7], v4, s4 src0_sel:BYTE_0 src1_sel:DWORD
	s_mov_b64 s[4:5], 0
                                        ; implicit-def: $sgpr10
	s_and_saveexec_b64 s[8:9], s[6:7]
	s_xor_b64 s[6:7], exec, s[8:9]
	s_cbranch_execnz .LBB15_3781
; %bb.1733:
	s_or_saveexec_b64 s[6:7], s[6:7]
	v_mov_b32_e32 v3, s10
	s_xor_b64 exec, exec, s[6:7]
	s_cbranch_execnz .LBB15_3784
.LBB15_1734:
	s_or_b64 exec, exec, s[6:7]
	s_and_saveexec_b64 s[6:7], s[4:5]
	s_cbranch_execz .LBB15_1736
.LBB15_1735:
	v_and_b32_e32 v3, 7, v4
	v_ffbh_u32_e32 v7, v3
	v_min_u32_e32 v7, 32, v7
	v_lshrrev_b16_e32 v6, 3, v4
	v_subrev_u32_e32 v10, 28, v7
	v_and_b32_e32 v6, 15, v6
	v_lshlrev_b32_e32 v10, v10, v4
	v_sub_u32_e32 v7, 29, v7
	v_and_b32_e32 v10, 7, v10
	v_cmp_eq_u16_e32 vcc, 0, v6
	v_cndmask_b32_e32 v3, v3, v10, vcc
	v_cndmask_b32_e32 v6, v6, v7, vcc
	v_lshlrev_b32_e32 v7, 24, v4
	v_mov_b32_e32 v10, 0x3b800000
	v_lshlrev_b32_e32 v3, 20, v3
	v_and_b32_e32 v7, 0x80000000, v7
	v_lshl_add_u32 v6, v6, 23, v10
	v_or3_b32 v3, v7, v6, v3
.LBB15_1736:
	s_or_b64 exec, exec, s[6:7]
	s_nop 0
	v_mfma_f32_16x16x4f32 a[0:3], v2, v3, a[0:3]
	v_lshrrev_b32_e32 v3, 8, v8
	s_movk_i32 s4, 0x7f
	v_cmp_gt_i16_sdwa s[6:7], v3, s4 src0_sel:BYTE_0 src1_sel:DWORD
	s_mov_b64 s[4:5], 0
                                        ; implicit-def: $sgpr10
	s_and_saveexec_b64 s[8:9], s[6:7]
	s_xor_b64 s[6:7], exec, s[8:9]
	s_cbranch_execnz .LBB15_3785
; %bb.1737:
	s_or_saveexec_b64 s[6:7], s[6:7]
	v_mov_b32_e32 v2, s10
	s_xor_b64 exec, exec, s[6:7]
	s_cbranch_execnz .LBB15_3788
.LBB15_1738:
	s_or_b64 exec, exec, s[6:7]
	s_and_saveexec_b64 s[6:7], s[4:5]
	s_cbranch_execz .LBB15_1740
.LBB15_1739:
	v_bfe_u32 v2, v8, 8, 3
	v_ffbh_u32_e32 v7, v2
	v_min_u32_e32 v7, 32, v7
	v_lshrrev_b16_e32 v6, 3, v3
	v_subrev_u32_e32 v10, 28, v7
	v_and_b32_e32 v6, 15, v6
	v_lshlrev_b32_e32 v3, v10, v3
	v_sub_u32_e32 v7, 29, v7
	v_and_b32_e32 v3, 7, v3
	v_cmp_eq_u16_e32 vcc, 0, v6
	v_cndmask_b32_e32 v2, v2, v3, vcc
	v_cndmask_b32_e32 v3, v6, v7, vcc
	v_lshlrev_b32_e32 v6, 16, v8
	v_mov_b32_e32 v7, 0x3b800000
	v_lshlrev_b32_e32 v2, 20, v2
	v_and_b32_e32 v6, 0x80000000, v6
	v_lshl_add_u32 v3, v3, 23, v7
	v_or3_b32 v2, v6, v3, v2
.LBB15_1740:
	s_or_b64 exec, exec, s[6:7]
	v_lshrrev_b32_e32 v3, 8, v4
	s_movk_i32 s4, 0x7f
	v_cmp_gt_i16_sdwa s[6:7], v3, s4 src0_sel:BYTE_0 src1_sel:DWORD
	s_mov_b64 s[4:5], 0
                                        ; implicit-def: $sgpr10
	s_and_saveexec_b64 s[8:9], s[6:7]
	s_xor_b64 s[6:7], exec, s[8:9]
	s_cbranch_execnz .LBB15_3789
; %bb.1741:
	s_or_saveexec_b64 s[6:7], s[6:7]
	v_mov_b32_e32 v6, s10
	s_xor_b64 exec, exec, s[6:7]
	s_cbranch_execnz .LBB15_3792
.LBB15_1742:
	s_or_b64 exec, exec, s[6:7]
	s_and_saveexec_b64 s[6:7], s[4:5]
	s_cbranch_execz .LBB15_1744
.LBB15_1743:
	v_bfe_u32 v6, v4, 8, 3
	v_ffbh_u32_e32 v10, v6
	v_min_u32_e32 v10, 32, v10
	v_lshrrev_b16_e32 v7, 3, v3
	v_subrev_u32_e32 v11, 28, v10
	v_and_b32_e32 v7, 15, v7
	v_lshlrev_b32_e32 v3, v11, v3
	v_sub_u32_e32 v10, 29, v10
	v_and_b32_e32 v3, 7, v3
	v_cmp_eq_u16_e32 vcc, 0, v7
	v_cndmask_b32_e32 v3, v6, v3, vcc
	v_cndmask_b32_e32 v6, v7, v10, vcc
	v_lshlrev_b32_e32 v7, 16, v4
	v_mov_b32_e32 v10, 0x3b800000
	v_lshlrev_b32_e32 v3, 20, v3
	v_and_b32_e32 v7, 0x80000000, v7
	v_lshl_add_u32 v6, v6, 23, v10
	v_or3_b32 v6, v7, v6, v3
.LBB15_1744:
	s_or_b64 exec, exec, s[6:7]
	s_nop 0
	v_mfma_f32_16x16x4f32 a[0:3], v2, v6, a[0:3]
	s_movk_i32 s4, 0xff
	v_and_b32_sdwa v3, v8, s4 dst_sel:DWORD dst_unused:UNUSED_PAD src0_sel:WORD_1 src1_sel:DWORD
	s_movk_i32 s4, 0x7f
	v_cmp_lt_i16_e32 vcc, s4, v3
	s_mov_b64 s[4:5], 0
                                        ; implicit-def: $sgpr10
	s_and_saveexec_b64 s[6:7], vcc
	s_xor_b64 s[6:7], exec, s[6:7]
	s_cbranch_execnz .LBB15_3793
; %bb.1745:
	s_or_saveexec_b64 s[6:7], s[6:7]
	v_mov_b32_e32 v2, s10
	s_xor_b64 exec, exec, s[6:7]
	s_cbranch_execnz .LBB15_3796
.LBB15_1746:
	s_or_b64 exec, exec, s[6:7]
	s_and_saveexec_b64 s[6:7], s[4:5]
	s_cbranch_execz .LBB15_1748
.LBB15_1747:
	v_bfe_u32 v2, v8, 16, 3
	v_ffbh_u32_e32 v7, v2
	v_min_u32_e32 v7, 32, v7
	v_lshrrev_b32_e32 v3, 19, v8
	v_subrev_u32_e32 v10, 28, v7
	v_and_b32_e32 v3, 15, v3
	v_lshlrev_b32_sdwa v10, v10, v8 dst_sel:DWORD dst_unused:UNUSED_PAD src0_sel:DWORD src1_sel:WORD_1
	v_bfe_u32 v6, v8, 19, 4
	v_sub_u32_e32 v7, 29, v7
	v_and_b32_e32 v10, 7, v10
	v_cmp_eq_u16_e32 vcc, 0, v3
	v_cndmask_b32_e32 v2, v2, v10, vcc
	v_cndmask_b32_e32 v3, v6, v7, vcc
	v_lshlrev_b32_e32 v6, 8, v8
	v_mov_b32_e32 v7, 0x3b800000
	v_lshlrev_b32_e32 v2, 20, v2
	v_and_b32_e32 v6, 0x80000000, v6
	v_lshl_add_u32 v3, v3, 23, v7
	v_or3_b32 v2, v6, v3, v2
.LBB15_1748:
	s_or_b64 exec, exec, s[6:7]
	s_movk_i32 s4, 0xff
	v_and_b32_sdwa v3, v4, s4 dst_sel:DWORD dst_unused:UNUSED_PAD src0_sel:WORD_1 src1_sel:DWORD
	s_movk_i32 s4, 0x7f
	v_cmp_lt_i16_e32 vcc, s4, v3
	s_mov_b64 s[4:5], 0
                                        ; implicit-def: $sgpr10
	s_and_saveexec_b64 s[6:7], vcc
	s_xor_b64 s[6:7], exec, s[6:7]
	s_cbranch_execnz .LBB15_3797
; %bb.1749:
	s_or_saveexec_b64 s[6:7], s[6:7]
	v_mov_b32_e32 v6, s10
	s_xor_b64 exec, exec, s[6:7]
	s_cbranch_execnz .LBB15_3800
.LBB15_1750:
	s_or_b64 exec, exec, s[6:7]
	s_and_saveexec_b64 s[6:7], s[4:5]
	s_cbranch_execz .LBB15_1752
.LBB15_1751:
	v_bfe_u32 v3, v4, 16, 3
	v_ffbh_u32_e32 v10, v3
	v_min_u32_e32 v10, 32, v10
	v_lshrrev_b32_e32 v6, 19, v4
	v_subrev_u32_e32 v11, 28, v10
	v_and_b32_e32 v6, 15, v6
	v_lshlrev_b32_sdwa v11, v11, v4 dst_sel:DWORD dst_unused:UNUSED_PAD src0_sel:DWORD src1_sel:WORD_1
	v_bfe_u32 v7, v4, 19, 4
	v_sub_u32_e32 v10, 29, v10
	v_and_b32_e32 v11, 7, v11
	v_cmp_eq_u16_e32 vcc, 0, v6
	v_cndmask_b32_e32 v3, v3, v11, vcc
	v_cndmask_b32_e32 v6, v7, v10, vcc
	v_lshlrev_b32_e32 v7, 8, v4
	v_mov_b32_e32 v10, 0x3b800000
	v_lshlrev_b32_e32 v3, 20, v3
	v_and_b32_e32 v7, 0x80000000, v7
	v_lshl_add_u32 v6, v6, 23, v10
	v_or3_b32 v6, v7, v6, v3
.LBB15_1752:
	s_or_b64 exec, exec, s[6:7]
	s_nop 0
	v_mfma_f32_16x16x4f32 a[0:3], v2, v6, a[0:3]
	s_movk_i32 s4, 0x7f
	v_cmp_gt_i16_sdwa s[6:7], v8, s4 src0_sel:BYTE_3 src1_sel:DWORD
	s_mov_b64 s[4:5], 0
                                        ; implicit-def: $sgpr10
	s_and_saveexec_b64 s[8:9], s[6:7]
	s_xor_b64 s[6:7], exec, s[8:9]
	s_cbranch_execnz .LBB15_3801
; %bb.1753:
	s_or_saveexec_b64 s[6:7], s[6:7]
	v_mov_b32_e32 v2, s10
	s_xor_b64 exec, exec, s[6:7]
	s_cbranch_execnz .LBB15_3804
.LBB15_1754:
	s_or_b64 exec, exec, s[6:7]
	s_and_saveexec_b64 s[6:7], s[4:5]
	s_cbranch_execz .LBB15_1756
.LBB15_1755:
	v_bfe_u32 v2, v8, 24, 3
	v_ffbh_u32_e32 v10, v2
	v_min_u32_e32 v10, 32, v10
	v_lshrrev_b32_e32 v6, 27, v8
	v_subrev_u32_e32 v11, 28, v10
	v_and_b32_e32 v3, 0x80000000, v8
	v_and_b32_e32 v6, 15, v6
	v_bfe_u32 v7, v8, 27, 4
	v_lshlrev_b32_sdwa v8, v11, v8 dst_sel:DWORD dst_unused:UNUSED_PAD src0_sel:DWORD src1_sel:BYTE_3
	v_sub_u32_e32 v10, 29, v10
	v_and_b32_e32 v8, 7, v8
	v_cmp_eq_u16_e32 vcc, 0, v6
	v_cndmask_b32_e32 v2, v2, v8, vcc
	v_cndmask_b32_e32 v6, v7, v10, vcc
	v_mov_b32_e32 v7, 0x3b800000
	v_lshlrev_b32_e32 v2, 20, v2
	v_lshl_add_u32 v6, v6, 23, v7
	v_or3_b32 v2, v3, v6, v2
.LBB15_1756:
	s_or_b64 exec, exec, s[6:7]
	s_movk_i32 s4, 0x7f
	v_cmp_gt_i16_sdwa s[6:7], v4, s4 src0_sel:BYTE_3 src1_sel:DWORD
	s_mov_b64 s[4:5], 0
                                        ; implicit-def: $sgpr10
	s_and_saveexec_b64 s[8:9], s[6:7]
	s_xor_b64 s[6:7], exec, s[8:9]
	s_cbranch_execnz .LBB15_3805
; %bb.1757:
	s_or_saveexec_b64 s[6:7], s[6:7]
	v_mov_b32_e32 v3, s10
	s_xor_b64 exec, exec, s[6:7]
	s_cbranch_execnz .LBB15_3808
.LBB15_1758:
	s_or_b64 exec, exec, s[6:7]
	s_and_saveexec_b64 s[6:7], s[4:5]
	s_cbranch_execz .LBB15_1760
.LBB15_1759:
	v_bfe_u32 v3, v4, 24, 3
	v_ffbh_u32_e32 v10, v3
	v_min_u32_e32 v10, 32, v10
	v_lshrrev_b32_e32 v7, 27, v4
	v_subrev_u32_e32 v11, 28, v10
	v_and_b32_e32 v6, 0x80000000, v4
	v_and_b32_e32 v7, 15, v7
	v_bfe_u32 v8, v4, 27, 4
	v_lshlrev_b32_sdwa v4, v11, v4 dst_sel:DWORD dst_unused:UNUSED_PAD src0_sel:DWORD src1_sel:BYTE_3
	v_sub_u32_e32 v10, 29, v10
	v_and_b32_e32 v4, 7, v4
	v_cmp_eq_u16_e32 vcc, 0, v7
	v_cndmask_b32_e32 v3, v3, v4, vcc
	v_cndmask_b32_e32 v4, v8, v10, vcc
	v_mov_b32_e32 v7, 0x3b800000
	v_lshlrev_b32_e32 v3, 20, v3
	v_lshl_add_u32 v4, v4, 23, v7
	v_or3_b32 v3, v6, v4, v3
.LBB15_1760:
	s_or_b64 exec, exec, s[6:7]
	s_nop 0
	v_mfma_f32_16x16x4f32 a[0:3], v2, v3, a[0:3]
	s_movk_i32 s4, 0x7f
	v_cmp_gt_i16_sdwa s[6:7], v9, s4 src0_sel:BYTE_0 src1_sel:DWORD
	s_mov_b64 s[4:5], 0
                                        ; implicit-def: $sgpr10
	s_and_saveexec_b64 s[8:9], s[6:7]
	s_xor_b64 s[6:7], exec, s[8:9]
	s_cbranch_execnz .LBB15_3809
; %bb.1761:
	s_or_saveexec_b64 s[6:7], s[6:7]
	v_mov_b32_e32 v2, s10
	s_xor_b64 exec, exec, s[6:7]
	s_cbranch_execnz .LBB15_3812
.LBB15_1762:
	s_or_b64 exec, exec, s[6:7]
	s_and_saveexec_b64 s[6:7], s[4:5]
	s_cbranch_execz .LBB15_1764
.LBB15_1763:
	v_mov_b32_e32 v2, 8
	v_and_b32_e32 v3, 7, v9
	v_lshrrev_b32_sdwa v2, v2, v9 dst_sel:BYTE_1 dst_unused:UNUSED_PAD src0_sel:DWORD src1_sel:DWORD
	v_ffbh_u32_e32 v4, v3
	v_or_b32_sdwa v2, v9, v2 dst_sel:DWORD dst_unused:UNUSED_PAD src0_sel:BYTE_0 src1_sel:DWORD
	v_min_u32_e32 v4, 32, v4
	v_lshrrev_b16_e32 v2, 3, v2
	v_subrev_u32_e32 v6, 28, v4
	v_and_b32_e32 v2, 15, v2
	v_lshlrev_b32_e32 v6, v6, v9
	v_sub_u32_e32 v4, 29, v4
	v_and_b32_e32 v6, 7, v6
	v_cmp_eq_u16_e32 vcc, 0, v2
	v_cndmask_b32_e32 v3, v3, v6, vcc
	v_cndmask_b32_e32 v2, v2, v4, vcc
	v_lshlrev_b32_e32 v4, 24, v9
	v_mov_b32_e32 v6, 0x3b800000
	v_lshlrev_b32_e32 v3, 20, v3
	v_and_b32_e32 v4, 0x80000000, v4
	v_lshl_add_u32 v2, v2, 23, v6
	v_or3_b32 v2, v4, v2, v3
.LBB15_1764:
	s_or_b64 exec, exec, s[6:7]
	s_movk_i32 s4, 0x7f
	v_cmp_gt_i16_sdwa s[6:7], v5, s4 src0_sel:BYTE_0 src1_sel:DWORD
	s_mov_b64 s[4:5], 0
                                        ; implicit-def: $sgpr10
	s_and_saveexec_b64 s[8:9], s[6:7]
	s_xor_b64 s[6:7], exec, s[8:9]
	s_cbranch_execnz .LBB15_3813
; %bb.1765:
	s_or_saveexec_b64 s[6:7], s[6:7]
	v_mov_b32_e32 v3, s10
	s_xor_b64 exec, exec, s[6:7]
	s_cbranch_execnz .LBB15_3816
.LBB15_1766:
	s_or_b64 exec, exec, s[6:7]
	s_and_saveexec_b64 s[6:7], s[4:5]
	s_cbranch_execz .LBB15_1768
.LBB15_1767:
	v_mov_b32_e32 v3, 8
	v_and_b32_e32 v4, 7, v5
	v_lshrrev_b32_sdwa v3, v3, v5 dst_sel:BYTE_1 dst_unused:UNUSED_PAD src0_sel:DWORD src1_sel:DWORD
	v_ffbh_u32_e32 v6, v4
	v_or_b32_sdwa v3, v5, v3 dst_sel:DWORD dst_unused:UNUSED_PAD src0_sel:BYTE_0 src1_sel:DWORD
	v_min_u32_e32 v6, 32, v6
	v_lshrrev_b16_e32 v3, 3, v3
	v_subrev_u32_e32 v7, 28, v6
	v_and_b32_e32 v3, 15, v3
	v_lshlrev_b32_e32 v7, v7, v5
	v_sub_u32_e32 v6, 29, v6
	v_and_b32_e32 v7, 7, v7
	v_cmp_eq_u16_e32 vcc, 0, v3
	v_cndmask_b32_e32 v4, v4, v7, vcc
	v_cndmask_b32_e32 v3, v3, v6, vcc
	v_lshlrev_b32_e32 v6, 24, v5
	v_mov_b32_e32 v7, 0x3b800000
	v_lshlrev_b32_e32 v4, 20, v4
	v_and_b32_e32 v6, 0x80000000, v6
	v_lshl_add_u32 v3, v3, 23, v7
	v_or3_b32 v3, v6, v3, v4
.LBB15_1768:
	s_or_b64 exec, exec, s[6:7]
	s_nop 0
	v_mfma_f32_16x16x4f32 a[0:3], v2, v3, a[0:3]
	v_lshrrev_b32_e32 v3, 8, v9
	s_movk_i32 s4, 0x7f
	v_cmp_gt_i16_sdwa s[6:7], v3, s4 src0_sel:BYTE_0 src1_sel:DWORD
	s_mov_b64 s[4:5], 0
                                        ; implicit-def: $sgpr10
	s_and_saveexec_b64 s[8:9], s[6:7]
	s_xor_b64 s[6:7], exec, s[8:9]
	s_cbranch_execnz .LBB15_3817
; %bb.1769:
	s_or_saveexec_b64 s[6:7], s[6:7]
	v_mov_b32_e32 v2, s10
	s_xor_b64 exec, exec, s[6:7]
	s_cbranch_execnz .LBB15_3820
.LBB15_1770:
	s_or_b64 exec, exec, s[6:7]
	s_and_saveexec_b64 s[6:7], s[4:5]
	s_cbranch_execz .LBB15_1772
.LBB15_1771:
	v_bfe_u32 v2, v9, 8, 3
	v_ffbh_u32_e32 v6, v2
	v_min_u32_e32 v6, 32, v6
	v_lshrrev_b16_e32 v4, 3, v3
	v_subrev_u32_e32 v7, 28, v6
	v_and_b32_e32 v4, 15, v4
	v_lshlrev_b32_e32 v3, v7, v3
	v_sub_u32_e32 v6, 29, v6
	v_and_b32_e32 v3, 7, v3
	v_cmp_eq_u16_e32 vcc, 0, v4
	v_cndmask_b32_e32 v2, v2, v3, vcc
	v_cndmask_b32_e32 v3, v4, v6, vcc
	v_lshlrev_b32_e32 v4, 16, v9
	v_mov_b32_e32 v6, 0x3b800000
	v_lshlrev_b32_e32 v2, 20, v2
	v_and_b32_e32 v4, 0x80000000, v4
	v_lshl_add_u32 v3, v3, 23, v6
	v_or3_b32 v2, v4, v3, v2
.LBB15_1772:
	s_or_b64 exec, exec, s[6:7]
	v_lshrrev_b32_e32 v3, 8, v5
	s_movk_i32 s4, 0x7f
	v_cmp_gt_i16_sdwa s[6:7], v3, s4 src0_sel:BYTE_0 src1_sel:DWORD
	s_mov_b64 s[4:5], 0
                                        ; implicit-def: $sgpr10
	s_and_saveexec_b64 s[8:9], s[6:7]
	s_xor_b64 s[6:7], exec, s[8:9]
	s_cbranch_execnz .LBB15_3821
; %bb.1773:
	s_or_saveexec_b64 s[6:7], s[6:7]
	v_mov_b32_e32 v4, s10
	s_xor_b64 exec, exec, s[6:7]
	s_cbranch_execnz .LBB15_3824
.LBB15_1774:
	s_or_b64 exec, exec, s[6:7]
	s_and_saveexec_b64 s[6:7], s[4:5]
	s_cbranch_execz .LBB15_1776
.LBB15_1775:
	v_bfe_u32 v4, v5, 8, 3
	v_ffbh_u32_e32 v7, v4
	v_min_u32_e32 v7, 32, v7
	v_lshrrev_b16_e32 v6, 3, v3
	v_subrev_u32_e32 v8, 28, v7
	v_and_b32_e32 v6, 15, v6
	v_lshlrev_b32_e32 v3, v8, v3
	v_sub_u32_e32 v7, 29, v7
	v_and_b32_e32 v3, 7, v3
	v_cmp_eq_u16_e32 vcc, 0, v6
	v_cndmask_b32_e32 v3, v4, v3, vcc
	v_cndmask_b32_e32 v4, v6, v7, vcc
	v_lshlrev_b32_e32 v6, 16, v5
	v_mov_b32_e32 v7, 0x3b800000
	v_lshlrev_b32_e32 v3, 20, v3
	v_and_b32_e32 v6, 0x80000000, v6
	v_lshl_add_u32 v4, v4, 23, v7
	v_or3_b32 v4, v6, v4, v3
.LBB15_1776:
	s_or_b64 exec, exec, s[6:7]
	s_nop 0
	v_mfma_f32_16x16x4f32 a[0:3], v2, v4, a[0:3]
	s_movk_i32 s4, 0xff
	v_and_b32_sdwa v3, v9, s4 dst_sel:DWORD dst_unused:UNUSED_PAD src0_sel:WORD_1 src1_sel:DWORD
	s_movk_i32 s4, 0x7f
	v_cmp_lt_i16_e32 vcc, s4, v3
	s_mov_b64 s[4:5], 0
                                        ; implicit-def: $sgpr10
	s_and_saveexec_b64 s[6:7], vcc
	s_xor_b64 s[6:7], exec, s[6:7]
	s_cbranch_execnz .LBB15_3825
; %bb.1777:
	s_or_saveexec_b64 s[6:7], s[6:7]
	v_mov_b32_e32 v2, s10
	s_xor_b64 exec, exec, s[6:7]
	s_cbranch_execnz .LBB15_3828
.LBB15_1778:
	s_or_b64 exec, exec, s[6:7]
	s_and_saveexec_b64 s[6:7], s[4:5]
	s_cbranch_execz .LBB15_1780
.LBB15_1779:
	v_bfe_u32 v2, v9, 16, 3
	v_ffbh_u32_e32 v6, v2
	v_min_u32_e32 v6, 32, v6
	v_lshrrev_b32_e32 v3, 19, v9
	v_subrev_u32_e32 v7, 28, v6
	v_and_b32_e32 v3, 15, v3
	v_lshlrev_b32_sdwa v7, v7, v9 dst_sel:DWORD dst_unused:UNUSED_PAD src0_sel:DWORD src1_sel:WORD_1
	v_bfe_u32 v4, v9, 19, 4
	v_sub_u32_e32 v6, 29, v6
	v_and_b32_e32 v7, 7, v7
	v_cmp_eq_u16_e32 vcc, 0, v3
	v_cndmask_b32_e32 v2, v2, v7, vcc
	v_cndmask_b32_e32 v3, v4, v6, vcc
	v_lshlrev_b32_e32 v4, 8, v9
	v_mov_b32_e32 v6, 0x3b800000
	v_lshlrev_b32_e32 v2, 20, v2
	v_and_b32_e32 v4, 0x80000000, v4
	v_lshl_add_u32 v3, v3, 23, v6
	v_or3_b32 v2, v4, v3, v2
.LBB15_1780:
	s_or_b64 exec, exec, s[6:7]
	s_movk_i32 s4, 0xff
	v_and_b32_sdwa v3, v5, s4 dst_sel:DWORD dst_unused:UNUSED_PAD src0_sel:WORD_1 src1_sel:DWORD
	s_movk_i32 s4, 0x7f
	v_cmp_lt_i16_e32 vcc, s4, v3
	s_mov_b64 s[4:5], 0
                                        ; implicit-def: $sgpr10
	s_and_saveexec_b64 s[6:7], vcc
	s_xor_b64 s[6:7], exec, s[6:7]
	s_cbranch_execnz .LBB15_3829
; %bb.1781:
	s_or_saveexec_b64 s[6:7], s[6:7]
	v_mov_b32_e32 v4, s10
	s_xor_b64 exec, exec, s[6:7]
	s_cbranch_execnz .LBB15_3832
.LBB15_1782:
	s_or_b64 exec, exec, s[6:7]
	s_and_saveexec_b64 s[6:7], s[4:5]
	s_cbranch_execz .LBB15_1784
.LBB15_1783:
	v_bfe_u32 v3, v5, 16, 3
	v_ffbh_u32_e32 v7, v3
	v_min_u32_e32 v7, 32, v7
	v_lshrrev_b32_e32 v4, 19, v5
	v_subrev_u32_e32 v8, 28, v7
	v_and_b32_e32 v4, 15, v4
	v_lshlrev_b32_sdwa v8, v8, v5 dst_sel:DWORD dst_unused:UNUSED_PAD src0_sel:DWORD src1_sel:WORD_1
	v_bfe_u32 v6, v5, 19, 4
	v_sub_u32_e32 v7, 29, v7
	v_and_b32_e32 v8, 7, v8
	v_cmp_eq_u16_e32 vcc, 0, v4
	v_cndmask_b32_e32 v3, v3, v8, vcc
	v_cndmask_b32_e32 v4, v6, v7, vcc
	v_lshlrev_b32_e32 v6, 8, v5
	v_mov_b32_e32 v7, 0x3b800000
	v_lshlrev_b32_e32 v3, 20, v3
	v_and_b32_e32 v6, 0x80000000, v6
	v_lshl_add_u32 v4, v4, 23, v7
	v_or3_b32 v4, v6, v4, v3
.LBB15_1784:
	s_or_b64 exec, exec, s[6:7]
	s_nop 0
	v_mfma_f32_16x16x4f32 a[0:3], v2, v4, a[0:3]
	s_movk_i32 s4, 0x7f
	v_cmp_gt_i16_sdwa s[6:7], v9, s4 src0_sel:BYTE_3 src1_sel:DWORD
	s_mov_b64 s[4:5], 0
                                        ; implicit-def: $sgpr10
	s_and_saveexec_b64 s[8:9], s[6:7]
	s_xor_b64 s[6:7], exec, s[8:9]
	s_cbranch_execnz .LBB15_3833
; %bb.1785:
	s_or_saveexec_b64 s[6:7], s[6:7]
	v_mov_b32_e32 v2, s10
	s_xor_b64 exec, exec, s[6:7]
	s_cbranch_execnz .LBB15_3836
.LBB15_1786:
	s_or_b64 exec, exec, s[6:7]
	s_and_saveexec_b64 s[6:7], s[4:5]
	s_cbranch_execz .LBB15_1788
.LBB15_1787:
	v_bfe_u32 v2, v9, 24, 3
	v_ffbh_u32_e32 v7, v2
	v_min_u32_e32 v7, 32, v7
	v_lshrrev_b32_e32 v4, 27, v9
	v_subrev_u32_e32 v8, 28, v7
	v_and_b32_e32 v4, 15, v4
	v_lshlrev_b32_sdwa v8, v8, v9 dst_sel:DWORD dst_unused:UNUSED_PAD src0_sel:DWORD src1_sel:BYTE_3
	v_bfe_u32 v6, v9, 27, 4
	v_sub_u32_e32 v7, 29, v7
	v_and_b32_e32 v8, 7, v8
	v_cmp_eq_u16_e32 vcc, 0, v4
	v_cndmask_b32_e32 v2, v2, v8, vcc
	v_cndmask_b32_e32 v4, v6, v7, vcc
	v_mov_b32_e32 v6, 0x3b800000
	v_and_b32_e32 v3, 0x80000000, v9
	v_lshlrev_b32_e32 v2, 20, v2
	v_lshl_add_u32 v4, v4, 23, v6
	v_or3_b32 v2, v3, v4, v2
.LBB15_1788:
	s_or_b64 exec, exec, s[6:7]
	s_movk_i32 s4, 0x7f
	v_cmp_gt_i16_sdwa s[6:7], v5, s4 src0_sel:BYTE_3 src1_sel:DWORD
	s_mov_b64 s[4:5], 0
                                        ; implicit-def: $sgpr10
	s_and_saveexec_b64 s[8:9], s[6:7]
	s_xor_b64 s[6:7], exec, s[8:9]
	s_cbranch_execnz .LBB15_3837
; %bb.1789:
	s_or_saveexec_b64 s[6:7], s[6:7]
	v_mov_b32_e32 v3, s10
	s_xor_b64 exec, exec, s[6:7]
	s_cbranch_execnz .LBB15_3840
.LBB15_1790:
	s_or_b64 exec, exec, s[6:7]
	s_and_saveexec_b64 s[6:7], s[4:5]
	s_cbranch_execz .LBB15_1792
.LBB15_1791:
	v_bfe_u32 v3, v5, 24, 3
	v_ffbh_u32_e32 v8, v3
	v_min_u32_e32 v8, 32, v8
	v_lshrrev_b32_e32 v6, 27, v5
	v_subrev_u32_e32 v9, 28, v8
	v_and_b32_e32 v4, 0x80000000, v5
	v_and_b32_e32 v6, 15, v6
	v_bfe_u32 v7, v5, 27, 4
	v_lshlrev_b32_sdwa v5, v9, v5 dst_sel:DWORD dst_unused:UNUSED_PAD src0_sel:DWORD src1_sel:BYTE_3
	v_sub_u32_e32 v8, 29, v8
	v_and_b32_e32 v5, 7, v5
	v_cmp_eq_u16_e32 vcc, 0, v6
	v_cndmask_b32_e32 v3, v3, v5, vcc
	v_cndmask_b32_e32 v5, v7, v8, vcc
	v_mov_b32_e32 v6, 0x3b800000
	v_lshlrev_b32_e32 v3, 20, v3
	v_lshl_add_u32 v5, v5, 23, v6
	v_or3_b32 v3, v4, v5, v3
.LBB15_1792:
	s_or_b64 exec, exec, s[6:7]
	s_nop 0
	v_mfma_f32_16x16x4f32 a[0:3], v2, v3, a[0:3]
	s_movk_i32 s4, 0x7f
                                        ; implicit-def: $sgpr10
	s_nop 7
	s_nop 1
	flat_store_dwordx4 v[18:19], a[0:3] offset:736
	flat_load_dwordx4 v[18:21], v[0:1] offset:16
	s_nop 0
	flat_load_dwordx2 v[16:17], v[0:1] offset:32
	s_waitcnt vmcnt(0) lgkmcnt(0)
	flat_load_dwordx4 v[12:15], v[18:19] offset:32
	flat_load_dwordx4 v[4:7], v[18:19] offset:48
	;; [unrolled: 1-line block ×4, first 2 shown]
	s_waitcnt vmcnt(0) lgkmcnt(0)
	v_cmp_gt_i16_sdwa s[6:7], v12, s4 src0_sel:BYTE_0 src1_sel:DWORD
	s_mov_b64 s[4:5], 0
	s_and_saveexec_b64 s[8:9], s[6:7]
	s_xor_b64 s[6:7], exec, s[8:9]
	s_cbranch_execnz .LBB15_3841
; %bb.1793:
	s_or_saveexec_b64 s[6:7], s[6:7]
	v_mov_b32_e32 v18, s10
	s_xor_b64 exec, exec, s[6:7]
	s_cbranch_execnz .LBB15_3844
.LBB15_1794:
	s_or_b64 exec, exec, s[6:7]
	s_and_saveexec_b64 s[6:7], s[4:5]
	s_cbranch_execz .LBB15_1796
.LBB15_1795:
	v_and_b32_e32 v18, 7, v12
	v_ffbh_u32_e32 v20, v18
	v_min_u32_e32 v20, 32, v20
	v_lshrrev_b16_e32 v19, 3, v12
	v_subrev_u32_e32 v21, 28, v20
	v_and_b32_e32 v19, 15, v19
	v_lshlrev_b32_e32 v21, v21, v12
	v_sub_u32_e32 v20, 29, v20
	v_and_b32_e32 v21, 7, v21
	v_cmp_eq_u16_e32 vcc, 0, v19
	v_cndmask_b32_e32 v18, v18, v21, vcc
	v_cndmask_b32_e32 v19, v19, v20, vcc
	v_lshlrev_b32_e32 v20, 24, v12
	v_mov_b32_e32 v21, 0x3b800000
	v_lshlrev_b32_e32 v18, 20, v18
	v_and_b32_e32 v20, 0x80000000, v20
	v_lshl_add_u32 v19, v19, 23, v21
	v_or3_b32 v18, v20, v19, v18
.LBB15_1796:
	s_or_b64 exec, exec, s[6:7]
	s_movk_i32 s4, 0x7f
	v_cmp_gt_i16_sdwa s[6:7], v8, s4 src0_sel:BYTE_0 src1_sel:DWORD
	s_mov_b64 s[4:5], 0
                                        ; implicit-def: $sgpr10
	s_and_saveexec_b64 s[8:9], s[6:7]
	s_xor_b64 s[6:7], exec, s[8:9]
	s_cbranch_execnz .LBB15_3845
; %bb.1797:
	s_or_saveexec_b64 s[6:7], s[6:7]
	v_mov_b32_e32 v19, s10
	s_xor_b64 exec, exec, s[6:7]
	s_cbranch_execnz .LBB15_3848
.LBB15_1798:
	s_or_b64 exec, exec, s[6:7]
	s_and_saveexec_b64 s[6:7], s[4:5]
	s_cbranch_execz .LBB15_1800
.LBB15_1799:
	v_and_b32_e32 v19, 7, v8
	v_ffbh_u32_e32 v21, v19
	v_min_u32_e32 v21, 32, v21
	v_lshrrev_b16_e32 v20, 3, v8
	v_subrev_u32_e32 v22, 28, v21
	v_and_b32_e32 v20, 15, v20
	v_lshlrev_b32_e32 v22, v22, v8
	v_sub_u32_e32 v21, 29, v21
	v_and_b32_e32 v22, 7, v22
	v_cmp_eq_u16_e32 vcc, 0, v20
	v_cndmask_b32_e32 v19, v19, v22, vcc
	v_cndmask_b32_e32 v20, v20, v21, vcc
	v_lshlrev_b32_e32 v21, 24, v8
	v_mov_b32_e32 v22, 0x3b800000
	v_lshlrev_b32_e32 v19, 20, v19
	v_and_b32_e32 v21, 0x80000000, v21
	v_lshl_add_u32 v20, v20, 23, v22
	v_or3_b32 v19, v21, v20, v19
.LBB15_1800:
	s_or_b64 exec, exec, s[6:7]
	flat_load_dwordx4 a[0:3], v[16:17] offset:752
	s_movk_i32 s4, 0x7f
                                        ; implicit-def: $sgpr10
	s_waitcnt vmcnt(0) lgkmcnt(0)
	v_mfma_f32_16x16x4f32 a[0:3], v18, v19, a[0:3]
	v_lshrrev_b32_e32 v19, 8, v12
	v_cmp_gt_i16_sdwa s[6:7], v19, s4 src0_sel:BYTE_0 src1_sel:DWORD
	s_mov_b64 s[4:5], 0
	s_and_saveexec_b64 s[8:9], s[6:7]
	s_xor_b64 s[6:7], exec, s[8:9]
	s_cbranch_execnz .LBB15_3849
; %bb.1801:
	s_or_saveexec_b64 s[6:7], s[6:7]
	v_mov_b32_e32 v18, s10
	s_xor_b64 exec, exec, s[6:7]
	s_cbranch_execnz .LBB15_3852
.LBB15_1802:
	s_or_b64 exec, exec, s[6:7]
	s_and_saveexec_b64 s[6:7], s[4:5]
	s_cbranch_execz .LBB15_1804
.LBB15_1803:
	v_bfe_u32 v18, v12, 8, 3
	v_ffbh_u32_e32 v21, v18
	v_min_u32_e32 v21, 32, v21
	v_lshrrev_b16_e32 v20, 3, v19
	v_subrev_u32_e32 v22, 28, v21
	v_and_b32_e32 v20, 15, v20
	v_lshlrev_b32_e32 v19, v22, v19
	v_sub_u32_e32 v21, 29, v21
	v_and_b32_e32 v19, 7, v19
	v_cmp_eq_u16_e32 vcc, 0, v20
	v_cndmask_b32_e32 v18, v18, v19, vcc
	v_cndmask_b32_e32 v19, v20, v21, vcc
	v_lshlrev_b32_e32 v20, 16, v12
	v_mov_b32_e32 v21, 0x3b800000
	v_lshlrev_b32_e32 v18, 20, v18
	v_and_b32_e32 v20, 0x80000000, v20
	v_lshl_add_u32 v19, v19, 23, v21
	v_or3_b32 v18, v20, v19, v18
.LBB15_1804:
	s_or_b64 exec, exec, s[6:7]
	v_lshrrev_b32_e32 v19, 8, v8
	s_movk_i32 s4, 0x7f
	v_cmp_gt_i16_sdwa s[6:7], v19, s4 src0_sel:BYTE_0 src1_sel:DWORD
	s_mov_b64 s[4:5], 0
                                        ; implicit-def: $sgpr10
	s_and_saveexec_b64 s[8:9], s[6:7]
	s_xor_b64 s[6:7], exec, s[8:9]
	s_cbranch_execnz .LBB15_3853
; %bb.1805:
	s_or_saveexec_b64 s[6:7], s[6:7]
	v_mov_b32_e32 v20, s10
	s_xor_b64 exec, exec, s[6:7]
	s_cbranch_execnz .LBB15_3856
.LBB15_1806:
	s_or_b64 exec, exec, s[6:7]
	s_and_saveexec_b64 s[6:7], s[4:5]
	s_cbranch_execz .LBB15_1808
.LBB15_1807:
	v_bfe_u32 v20, v8, 8, 3
	v_ffbh_u32_e32 v22, v20
	v_min_u32_e32 v22, 32, v22
	v_lshrrev_b16_e32 v21, 3, v19
	v_subrev_u32_e32 v23, 28, v22
	v_and_b32_e32 v21, 15, v21
	v_lshlrev_b32_e32 v19, v23, v19
	v_sub_u32_e32 v22, 29, v22
	v_and_b32_e32 v19, 7, v19
	v_cmp_eq_u16_e32 vcc, 0, v21
	v_cndmask_b32_e32 v19, v20, v19, vcc
	v_cndmask_b32_e32 v20, v21, v22, vcc
	v_lshlrev_b32_e32 v21, 16, v8
	v_mov_b32_e32 v22, 0x3b800000
	v_lshlrev_b32_e32 v19, 20, v19
	v_and_b32_e32 v21, 0x80000000, v21
	v_lshl_add_u32 v20, v20, 23, v22
	v_or3_b32 v20, v21, v20, v19
.LBB15_1808:
	s_or_b64 exec, exec, s[6:7]
	s_nop 0
	v_mfma_f32_16x16x4f32 a[0:3], v18, v20, a[0:3]
	s_movk_i32 s4, 0xff
	v_and_b32_sdwa v19, v12, s4 dst_sel:DWORD dst_unused:UNUSED_PAD src0_sel:WORD_1 src1_sel:DWORD
	s_movk_i32 s4, 0x7f
	v_cmp_lt_i16_e32 vcc, s4, v19
	s_mov_b64 s[4:5], 0
                                        ; implicit-def: $sgpr10
	s_and_saveexec_b64 s[6:7], vcc
	s_xor_b64 s[6:7], exec, s[6:7]
	s_cbranch_execnz .LBB15_3857
; %bb.1809:
	s_or_saveexec_b64 s[6:7], s[6:7]
	v_mov_b32_e32 v18, s10
	s_xor_b64 exec, exec, s[6:7]
	s_cbranch_execnz .LBB15_3860
.LBB15_1810:
	s_or_b64 exec, exec, s[6:7]
	s_and_saveexec_b64 s[6:7], s[4:5]
	s_cbranch_execz .LBB15_1812
.LBB15_1811:
	v_bfe_u32 v18, v12, 16, 3
	v_ffbh_u32_e32 v21, v18
	v_min_u32_e32 v21, 32, v21
	v_lshrrev_b32_e32 v19, 19, v12
	v_subrev_u32_e32 v22, 28, v21
	v_and_b32_e32 v19, 15, v19
	v_lshlrev_b32_sdwa v22, v22, v12 dst_sel:DWORD dst_unused:UNUSED_PAD src0_sel:DWORD src1_sel:WORD_1
	v_bfe_u32 v20, v12, 19, 4
	v_sub_u32_e32 v21, 29, v21
	v_and_b32_e32 v22, 7, v22
	v_cmp_eq_u16_e32 vcc, 0, v19
	v_cndmask_b32_e32 v18, v18, v22, vcc
	v_cndmask_b32_e32 v19, v20, v21, vcc
	v_lshlrev_b32_e32 v20, 8, v12
	v_mov_b32_e32 v21, 0x3b800000
	v_lshlrev_b32_e32 v18, 20, v18
	v_and_b32_e32 v20, 0x80000000, v20
	v_lshl_add_u32 v19, v19, 23, v21
	v_or3_b32 v18, v20, v19, v18
.LBB15_1812:
	s_or_b64 exec, exec, s[6:7]
	s_movk_i32 s4, 0xff
	v_and_b32_sdwa v19, v8, s4 dst_sel:DWORD dst_unused:UNUSED_PAD src0_sel:WORD_1 src1_sel:DWORD
	s_movk_i32 s4, 0x7f
	v_cmp_lt_i16_e32 vcc, s4, v19
	s_mov_b64 s[4:5], 0
                                        ; implicit-def: $sgpr10
	s_and_saveexec_b64 s[6:7], vcc
	s_xor_b64 s[6:7], exec, s[6:7]
	s_cbranch_execnz .LBB15_3861
; %bb.1813:
	s_or_saveexec_b64 s[6:7], s[6:7]
	v_mov_b32_e32 v20, s10
	s_xor_b64 exec, exec, s[6:7]
	s_cbranch_execnz .LBB15_3864
.LBB15_1814:
	s_or_b64 exec, exec, s[6:7]
	s_and_saveexec_b64 s[6:7], s[4:5]
	s_cbranch_execz .LBB15_1816
.LBB15_1815:
	v_bfe_u32 v19, v8, 16, 3
	v_ffbh_u32_e32 v22, v19
	v_min_u32_e32 v22, 32, v22
	v_lshrrev_b32_e32 v20, 19, v8
	v_subrev_u32_e32 v23, 28, v22
	v_and_b32_e32 v20, 15, v20
	v_lshlrev_b32_sdwa v23, v23, v8 dst_sel:DWORD dst_unused:UNUSED_PAD src0_sel:DWORD src1_sel:WORD_1
	v_bfe_u32 v21, v8, 19, 4
	v_sub_u32_e32 v22, 29, v22
	v_and_b32_e32 v23, 7, v23
	v_cmp_eq_u16_e32 vcc, 0, v20
	v_cndmask_b32_e32 v19, v19, v23, vcc
	v_cndmask_b32_e32 v20, v21, v22, vcc
	v_lshlrev_b32_e32 v21, 8, v8
	v_mov_b32_e32 v22, 0x3b800000
	v_lshlrev_b32_e32 v19, 20, v19
	v_and_b32_e32 v21, 0x80000000, v21
	v_lshl_add_u32 v20, v20, 23, v22
	v_or3_b32 v20, v21, v20, v19
.LBB15_1816:
	s_or_b64 exec, exec, s[6:7]
	s_nop 0
	v_mfma_f32_16x16x4f32 a[0:3], v18, v20, a[0:3]
	s_movk_i32 s4, 0x7f
	v_cmp_gt_i16_sdwa s[6:7], v12, s4 src0_sel:BYTE_3 src1_sel:DWORD
	s_mov_b64 s[4:5], 0
                                        ; implicit-def: $sgpr10
	s_and_saveexec_b64 s[8:9], s[6:7]
	s_xor_b64 s[6:7], exec, s[8:9]
	s_cbranch_execnz .LBB15_3865
; %bb.1817:
	s_or_saveexec_b64 s[6:7], s[6:7]
	v_mov_b32_e32 v18, s10
	s_xor_b64 exec, exec, s[6:7]
	s_cbranch_execnz .LBB15_3868
.LBB15_1818:
	s_or_b64 exec, exec, s[6:7]
	s_and_saveexec_b64 s[6:7], s[4:5]
	s_cbranch_execz .LBB15_1820
.LBB15_1819:
	v_bfe_u32 v18, v12, 24, 3
	v_ffbh_u32_e32 v22, v18
	v_min_u32_e32 v22, 32, v22
	v_lshrrev_b32_e32 v20, 27, v12
	v_subrev_u32_e32 v23, 28, v22
	v_and_b32_e32 v19, 0x80000000, v12
	v_and_b32_e32 v20, 15, v20
	v_bfe_u32 v21, v12, 27, 4
	v_lshlrev_b32_sdwa v12, v23, v12 dst_sel:DWORD dst_unused:UNUSED_PAD src0_sel:DWORD src1_sel:BYTE_3
	v_sub_u32_e32 v22, 29, v22
	v_and_b32_e32 v12, 7, v12
	v_cmp_eq_u16_e32 vcc, 0, v20
	v_cndmask_b32_e32 v12, v18, v12, vcc
	v_cndmask_b32_e32 v18, v21, v22, vcc
	v_mov_b32_e32 v20, 0x3b800000
	v_lshlrev_b32_e32 v12, 20, v12
	v_lshl_add_u32 v18, v18, 23, v20
	v_or3_b32 v18, v19, v18, v12
.LBB15_1820:
	s_or_b64 exec, exec, s[6:7]
	s_movk_i32 s4, 0x7f
	v_cmp_gt_i16_sdwa s[6:7], v8, s4 src0_sel:BYTE_3 src1_sel:DWORD
	s_mov_b64 s[4:5], 0
                                        ; implicit-def: $sgpr10
	s_and_saveexec_b64 s[8:9], s[6:7]
	s_xor_b64 s[6:7], exec, s[8:9]
	s_cbranch_execnz .LBB15_3869
; %bb.1821:
	s_or_saveexec_b64 s[6:7], s[6:7]
	v_mov_b32_e32 v12, s10
	s_xor_b64 exec, exec, s[6:7]
	s_cbranch_execnz .LBB15_3872
.LBB15_1822:
	s_or_b64 exec, exec, s[6:7]
	s_and_saveexec_b64 s[6:7], s[4:5]
	s_cbranch_execz .LBB15_1824
.LBB15_1823:
	v_bfe_u32 v12, v8, 24, 3
	v_ffbh_u32_e32 v22, v12
	v_min_u32_e32 v22, 32, v22
	v_lshrrev_b32_e32 v20, 27, v8
	v_subrev_u32_e32 v23, 28, v22
	v_and_b32_e32 v19, 0x80000000, v8
	v_and_b32_e32 v20, 15, v20
	v_bfe_u32 v21, v8, 27, 4
	v_lshlrev_b32_sdwa v8, v23, v8 dst_sel:DWORD dst_unused:UNUSED_PAD src0_sel:DWORD src1_sel:BYTE_3
	v_sub_u32_e32 v22, 29, v22
	v_and_b32_e32 v8, 7, v8
	v_cmp_eq_u16_e32 vcc, 0, v20
	v_cndmask_b32_e32 v8, v12, v8, vcc
	v_cndmask_b32_e32 v12, v21, v22, vcc
	v_mov_b32_e32 v20, 0x3b800000
	v_lshlrev_b32_e32 v8, 20, v8
	v_lshl_add_u32 v12, v12, 23, v20
	v_or3_b32 v12, v19, v12, v8
.LBB15_1824:
	s_or_b64 exec, exec, s[6:7]
	s_nop 0
	v_mfma_f32_16x16x4f32 a[0:3], v18, v12, a[0:3]
	s_movk_i32 s4, 0x7f
	v_cmp_gt_i16_sdwa s[6:7], v13, s4 src0_sel:BYTE_0 src1_sel:DWORD
	s_mov_b64 s[4:5], 0
                                        ; implicit-def: $sgpr10
	s_and_saveexec_b64 s[8:9], s[6:7]
	s_xor_b64 s[6:7], exec, s[8:9]
	s_cbranch_execnz .LBB15_3873
; %bb.1825:
	s_or_saveexec_b64 s[6:7], s[6:7]
	v_mov_b32_e32 v8, s10
	s_xor_b64 exec, exec, s[6:7]
	s_cbranch_execnz .LBB15_3876
.LBB15_1826:
	s_or_b64 exec, exec, s[6:7]
	s_and_saveexec_b64 s[6:7], s[4:5]
	s_cbranch_execz .LBB15_1828
.LBB15_1827:
	v_and_b32_e32 v8, 7, v13
	v_ffbh_u32_e32 v18, v8
	v_min_u32_e32 v18, 32, v18
	v_lshrrev_b16_e32 v12, 3, v13
	v_subrev_u32_e32 v19, 28, v18
	v_and_b32_e32 v12, 15, v12
	v_lshlrev_b32_e32 v19, v19, v13
	v_sub_u32_e32 v18, 29, v18
	v_and_b32_e32 v19, 7, v19
	v_cmp_eq_u16_e32 vcc, 0, v12
	v_cndmask_b32_e32 v8, v8, v19, vcc
	v_cndmask_b32_e32 v12, v12, v18, vcc
	v_lshlrev_b32_e32 v18, 24, v13
	v_mov_b32_e32 v19, 0x3b800000
	v_lshlrev_b32_e32 v8, 20, v8
	v_and_b32_e32 v18, 0x80000000, v18
	v_lshl_add_u32 v12, v12, 23, v19
	v_or3_b32 v8, v18, v12, v8
.LBB15_1828:
	s_or_b64 exec, exec, s[6:7]
	s_movk_i32 s4, 0x7f
	v_cmp_gt_i16_sdwa s[6:7], v9, s4 src0_sel:BYTE_0 src1_sel:DWORD
	s_mov_b64 s[4:5], 0
                                        ; implicit-def: $sgpr10
	s_and_saveexec_b64 s[8:9], s[6:7]
	s_xor_b64 s[6:7], exec, s[8:9]
	s_cbranch_execnz .LBB15_3877
; %bb.1829:
	s_or_saveexec_b64 s[6:7], s[6:7]
	v_mov_b32_e32 v12, s10
	s_xor_b64 exec, exec, s[6:7]
	s_cbranch_execnz .LBB15_3880
.LBB15_1830:
	s_or_b64 exec, exec, s[6:7]
	s_and_saveexec_b64 s[6:7], s[4:5]
	s_cbranch_execz .LBB15_1832
.LBB15_1831:
	v_and_b32_e32 v12, 7, v9
	v_ffbh_u32_e32 v19, v12
	v_min_u32_e32 v19, 32, v19
	v_lshrrev_b16_e32 v18, 3, v9
	v_subrev_u32_e32 v20, 28, v19
	v_and_b32_e32 v18, 15, v18
	v_lshlrev_b32_e32 v20, v20, v9
	v_sub_u32_e32 v19, 29, v19
	v_and_b32_e32 v20, 7, v20
	v_cmp_eq_u16_e32 vcc, 0, v18
	v_cndmask_b32_e32 v12, v12, v20, vcc
	v_cndmask_b32_e32 v18, v18, v19, vcc
	v_lshlrev_b32_e32 v19, 24, v9
	v_mov_b32_e32 v20, 0x3b800000
	v_lshlrev_b32_e32 v12, 20, v12
	v_and_b32_e32 v19, 0x80000000, v19
	v_lshl_add_u32 v18, v18, 23, v20
	v_or3_b32 v12, v19, v18, v12
.LBB15_1832:
	s_or_b64 exec, exec, s[6:7]
	s_nop 0
	v_mfma_f32_16x16x4f32 a[0:3], v8, v12, a[0:3]
	v_lshrrev_b32_e32 v12, 8, v13
	s_movk_i32 s4, 0x7f
	v_cmp_gt_i16_sdwa s[6:7], v12, s4 src0_sel:BYTE_0 src1_sel:DWORD
	s_mov_b64 s[4:5], 0
                                        ; implicit-def: $sgpr10
	s_and_saveexec_b64 s[8:9], s[6:7]
	s_xor_b64 s[6:7], exec, s[8:9]
	s_cbranch_execnz .LBB15_3881
; %bb.1833:
	s_or_saveexec_b64 s[6:7], s[6:7]
	v_mov_b32_e32 v8, s10
	s_xor_b64 exec, exec, s[6:7]
	s_cbranch_execnz .LBB15_3884
.LBB15_1834:
	s_or_b64 exec, exec, s[6:7]
	s_and_saveexec_b64 s[6:7], s[4:5]
	s_cbranch_execz .LBB15_1836
.LBB15_1835:
	v_bfe_u32 v8, v13, 8, 3
	v_ffbh_u32_e32 v19, v8
	v_min_u32_e32 v19, 32, v19
	v_lshrrev_b16_e32 v18, 3, v12
	v_subrev_u32_e32 v20, 28, v19
	v_and_b32_e32 v18, 15, v18
	v_lshlrev_b32_e32 v12, v20, v12
	v_sub_u32_e32 v19, 29, v19
	v_and_b32_e32 v12, 7, v12
	v_cmp_eq_u16_e32 vcc, 0, v18
	v_cndmask_b32_e32 v8, v8, v12, vcc
	v_cndmask_b32_e32 v12, v18, v19, vcc
	v_lshlrev_b32_e32 v18, 16, v13
	v_mov_b32_e32 v19, 0x3b800000
	v_lshlrev_b32_e32 v8, 20, v8
	v_and_b32_e32 v18, 0x80000000, v18
	v_lshl_add_u32 v12, v12, 23, v19
	v_or3_b32 v8, v18, v12, v8
.LBB15_1836:
	s_or_b64 exec, exec, s[6:7]
	v_lshrrev_b32_e32 v12, 8, v9
	s_movk_i32 s4, 0x7f
	v_cmp_gt_i16_sdwa s[6:7], v12, s4 src0_sel:BYTE_0 src1_sel:DWORD
	s_mov_b64 s[4:5], 0
                                        ; implicit-def: $sgpr10
	s_and_saveexec_b64 s[8:9], s[6:7]
	s_xor_b64 s[6:7], exec, s[8:9]
	s_cbranch_execnz .LBB15_3885
; %bb.1837:
	s_or_saveexec_b64 s[6:7], s[6:7]
	v_mov_b32_e32 v18, s10
	s_xor_b64 exec, exec, s[6:7]
	s_cbranch_execnz .LBB15_3888
.LBB15_1838:
	s_or_b64 exec, exec, s[6:7]
	s_and_saveexec_b64 s[6:7], s[4:5]
	s_cbranch_execz .LBB15_1840
.LBB15_1839:
	v_bfe_u32 v18, v9, 8, 3
	v_ffbh_u32_e32 v20, v18
	v_min_u32_e32 v20, 32, v20
	v_lshrrev_b16_e32 v19, 3, v12
	v_subrev_u32_e32 v21, 28, v20
	v_and_b32_e32 v19, 15, v19
	v_lshlrev_b32_e32 v12, v21, v12
	v_sub_u32_e32 v20, 29, v20
	v_and_b32_e32 v12, 7, v12
	v_cmp_eq_u16_e32 vcc, 0, v19
	v_cndmask_b32_e32 v12, v18, v12, vcc
	v_cndmask_b32_e32 v18, v19, v20, vcc
	v_lshlrev_b32_e32 v19, 16, v9
	v_mov_b32_e32 v20, 0x3b800000
	v_lshlrev_b32_e32 v12, 20, v12
	v_and_b32_e32 v19, 0x80000000, v19
	v_lshl_add_u32 v18, v18, 23, v20
	v_or3_b32 v18, v19, v18, v12
.LBB15_1840:
	s_or_b64 exec, exec, s[6:7]
	s_nop 0
	v_mfma_f32_16x16x4f32 a[0:3], v8, v18, a[0:3]
	s_movk_i32 s4, 0xff
	v_and_b32_sdwa v12, v13, s4 dst_sel:DWORD dst_unused:UNUSED_PAD src0_sel:WORD_1 src1_sel:DWORD
	s_movk_i32 s4, 0x7f
	v_cmp_lt_i16_e32 vcc, s4, v12
	s_mov_b64 s[4:5], 0
                                        ; implicit-def: $sgpr10
	s_and_saveexec_b64 s[6:7], vcc
	s_xor_b64 s[6:7], exec, s[6:7]
	s_cbranch_execnz .LBB15_3889
; %bb.1841:
	s_or_saveexec_b64 s[6:7], s[6:7]
	v_mov_b32_e32 v8, s10
	s_xor_b64 exec, exec, s[6:7]
	s_cbranch_execnz .LBB15_3892
.LBB15_1842:
	s_or_b64 exec, exec, s[6:7]
	s_and_saveexec_b64 s[6:7], s[4:5]
	s_cbranch_execz .LBB15_1844
.LBB15_1843:
	v_bfe_u32 v8, v13, 16, 3
	v_ffbh_u32_e32 v19, v8
	v_min_u32_e32 v19, 32, v19
	v_lshrrev_b32_e32 v12, 19, v13
	v_subrev_u32_e32 v20, 28, v19
	v_and_b32_e32 v12, 15, v12
	v_lshlrev_b32_sdwa v20, v20, v13 dst_sel:DWORD dst_unused:UNUSED_PAD src0_sel:DWORD src1_sel:WORD_1
	v_bfe_u32 v18, v13, 19, 4
	v_sub_u32_e32 v19, 29, v19
	v_and_b32_e32 v20, 7, v20
	v_cmp_eq_u16_e32 vcc, 0, v12
	v_cndmask_b32_e32 v8, v8, v20, vcc
	v_cndmask_b32_e32 v12, v18, v19, vcc
	v_lshlrev_b32_e32 v18, 8, v13
	v_mov_b32_e32 v19, 0x3b800000
	v_lshlrev_b32_e32 v8, 20, v8
	v_and_b32_e32 v18, 0x80000000, v18
	v_lshl_add_u32 v12, v12, 23, v19
	v_or3_b32 v8, v18, v12, v8
.LBB15_1844:
	s_or_b64 exec, exec, s[6:7]
	s_movk_i32 s4, 0xff
	v_and_b32_sdwa v12, v9, s4 dst_sel:DWORD dst_unused:UNUSED_PAD src0_sel:WORD_1 src1_sel:DWORD
	s_movk_i32 s4, 0x7f
	v_cmp_lt_i16_e32 vcc, s4, v12
	s_mov_b64 s[4:5], 0
                                        ; implicit-def: $sgpr10
	s_and_saveexec_b64 s[6:7], vcc
	s_xor_b64 s[6:7], exec, s[6:7]
	s_cbranch_execnz .LBB15_3893
; %bb.1845:
	s_or_saveexec_b64 s[6:7], s[6:7]
	v_mov_b32_e32 v18, s10
	s_xor_b64 exec, exec, s[6:7]
	s_cbranch_execnz .LBB15_3896
.LBB15_1846:
	s_or_b64 exec, exec, s[6:7]
	s_and_saveexec_b64 s[6:7], s[4:5]
	s_cbranch_execz .LBB15_1848
.LBB15_1847:
	v_bfe_u32 v12, v9, 16, 3
	v_ffbh_u32_e32 v20, v12
	v_min_u32_e32 v20, 32, v20
	v_lshrrev_b32_e32 v18, 19, v9
	v_subrev_u32_e32 v21, 28, v20
	v_and_b32_e32 v18, 15, v18
	v_lshlrev_b32_sdwa v21, v21, v9 dst_sel:DWORD dst_unused:UNUSED_PAD src0_sel:DWORD src1_sel:WORD_1
	v_bfe_u32 v19, v9, 19, 4
	v_sub_u32_e32 v20, 29, v20
	v_and_b32_e32 v21, 7, v21
	v_cmp_eq_u16_e32 vcc, 0, v18
	v_cndmask_b32_e32 v12, v12, v21, vcc
	v_cndmask_b32_e32 v18, v19, v20, vcc
	v_lshlrev_b32_e32 v19, 8, v9
	v_mov_b32_e32 v20, 0x3b800000
	v_lshlrev_b32_e32 v12, 20, v12
	v_and_b32_e32 v19, 0x80000000, v19
	v_lshl_add_u32 v18, v18, 23, v20
	v_or3_b32 v18, v19, v18, v12
.LBB15_1848:
	s_or_b64 exec, exec, s[6:7]
	s_nop 0
	v_mfma_f32_16x16x4f32 a[0:3], v8, v18, a[0:3]
	s_movk_i32 s4, 0x7f
	v_cmp_gt_i16_sdwa s[6:7], v13, s4 src0_sel:BYTE_3 src1_sel:DWORD
	s_mov_b64 s[4:5], 0
                                        ; implicit-def: $sgpr10
	s_and_saveexec_b64 s[8:9], s[6:7]
	s_xor_b64 s[6:7], exec, s[8:9]
	s_cbranch_execnz .LBB15_3897
; %bb.1849:
	s_or_saveexec_b64 s[6:7], s[6:7]
	v_mov_b32_e32 v8, s10
	s_xor_b64 exec, exec, s[6:7]
	s_cbranch_execnz .LBB15_3900
.LBB15_1850:
	s_or_b64 exec, exec, s[6:7]
	s_and_saveexec_b64 s[6:7], s[4:5]
	s_cbranch_execz .LBB15_1852
.LBB15_1851:
	v_bfe_u32 v8, v13, 24, 3
	v_ffbh_u32_e32 v20, v8
	v_min_u32_e32 v20, 32, v20
	v_lshrrev_b32_e32 v18, 27, v13
	v_subrev_u32_e32 v21, 28, v20
	v_and_b32_e32 v12, 0x80000000, v13
	v_and_b32_e32 v18, 15, v18
	v_bfe_u32 v19, v13, 27, 4
	v_lshlrev_b32_sdwa v13, v21, v13 dst_sel:DWORD dst_unused:UNUSED_PAD src0_sel:DWORD src1_sel:BYTE_3
	v_sub_u32_e32 v20, 29, v20
	v_and_b32_e32 v13, 7, v13
	v_cmp_eq_u16_e32 vcc, 0, v18
	v_cndmask_b32_e32 v8, v8, v13, vcc
	v_cndmask_b32_e32 v13, v19, v20, vcc
	v_mov_b32_e32 v18, 0x3b800000
	v_lshlrev_b32_e32 v8, 20, v8
	v_lshl_add_u32 v13, v13, 23, v18
	v_or3_b32 v8, v12, v13, v8
.LBB15_1852:
	s_or_b64 exec, exec, s[6:7]
	s_movk_i32 s4, 0x7f
	v_cmp_gt_i16_sdwa s[6:7], v9, s4 src0_sel:BYTE_3 src1_sel:DWORD
	s_mov_b64 s[4:5], 0
                                        ; implicit-def: $sgpr10
	s_and_saveexec_b64 s[8:9], s[6:7]
	s_xor_b64 s[6:7], exec, s[8:9]
	s_cbranch_execnz .LBB15_3901
; %bb.1853:
	s_or_saveexec_b64 s[6:7], s[6:7]
	v_mov_b32_e32 v12, s10
	s_xor_b64 exec, exec, s[6:7]
	s_cbranch_execnz .LBB15_3904
.LBB15_1854:
	s_or_b64 exec, exec, s[6:7]
	s_and_saveexec_b64 s[6:7], s[4:5]
	s_cbranch_execz .LBB15_1856
.LBB15_1855:
	v_bfe_u32 v12, v9, 24, 3
	v_ffbh_u32_e32 v20, v12
	v_min_u32_e32 v20, 32, v20
	v_lshrrev_b32_e32 v18, 27, v9
	v_subrev_u32_e32 v21, 28, v20
	v_and_b32_e32 v13, 0x80000000, v9
	v_and_b32_e32 v18, 15, v18
	v_bfe_u32 v19, v9, 27, 4
	v_lshlrev_b32_sdwa v9, v21, v9 dst_sel:DWORD dst_unused:UNUSED_PAD src0_sel:DWORD src1_sel:BYTE_3
	v_sub_u32_e32 v20, 29, v20
	v_and_b32_e32 v9, 7, v9
	v_cmp_eq_u16_e32 vcc, 0, v18
	v_cndmask_b32_e32 v9, v12, v9, vcc
	v_cndmask_b32_e32 v12, v19, v20, vcc
	v_mov_b32_e32 v18, 0x3b800000
	v_lshlrev_b32_e32 v9, 20, v9
	v_lshl_add_u32 v12, v12, 23, v18
	v_or3_b32 v12, v13, v12, v9
.LBB15_1856:
	s_or_b64 exec, exec, s[6:7]
	s_nop 0
	v_mfma_f32_16x16x4f32 a[0:3], v8, v12, a[0:3]
	s_movk_i32 s4, 0x7f
	v_cmp_gt_i16_sdwa s[6:7], v14, s4 src0_sel:BYTE_0 src1_sel:DWORD
	s_mov_b64 s[4:5], 0
                                        ; implicit-def: $sgpr10
	s_and_saveexec_b64 s[8:9], s[6:7]
	s_xor_b64 s[6:7], exec, s[8:9]
	s_cbranch_execnz .LBB15_3905
; %bb.1857:
	s_or_saveexec_b64 s[6:7], s[6:7]
	v_mov_b32_e32 v8, s10
	s_xor_b64 exec, exec, s[6:7]
	s_cbranch_execnz .LBB15_3908
.LBB15_1858:
	s_or_b64 exec, exec, s[6:7]
	s_and_saveexec_b64 s[6:7], s[4:5]
	s_cbranch_execz .LBB15_1860
.LBB15_1859:
	v_and_b32_e32 v8, 7, v14
	v_ffbh_u32_e32 v12, v8
	v_min_u32_e32 v12, 32, v12
	v_lshrrev_b16_e32 v9, 3, v14
	v_subrev_u32_e32 v13, 28, v12
	v_and_b32_e32 v9, 15, v9
	v_lshlrev_b32_e32 v13, v13, v14
	v_sub_u32_e32 v12, 29, v12
	v_and_b32_e32 v13, 7, v13
	v_cmp_eq_u16_e32 vcc, 0, v9
	v_cndmask_b32_e32 v8, v8, v13, vcc
	v_cndmask_b32_e32 v9, v9, v12, vcc
	v_lshlrev_b32_e32 v12, 24, v14
	v_mov_b32_e32 v13, 0x3b800000
	v_lshlrev_b32_e32 v8, 20, v8
	v_and_b32_e32 v12, 0x80000000, v12
	v_lshl_add_u32 v9, v9, 23, v13
	v_or3_b32 v8, v12, v9, v8
.LBB15_1860:
	s_or_b64 exec, exec, s[6:7]
	s_movk_i32 s4, 0x7f
	v_cmp_gt_i16_sdwa s[6:7], v10, s4 src0_sel:BYTE_0 src1_sel:DWORD
	s_mov_b64 s[4:5], 0
                                        ; implicit-def: $sgpr10
	s_and_saveexec_b64 s[8:9], s[6:7]
	s_xor_b64 s[6:7], exec, s[8:9]
	s_cbranch_execnz .LBB15_3909
; %bb.1861:
	s_or_saveexec_b64 s[6:7], s[6:7]
	v_mov_b32_e32 v9, s10
	s_xor_b64 exec, exec, s[6:7]
	s_cbranch_execnz .LBB15_3912
.LBB15_1862:
	s_or_b64 exec, exec, s[6:7]
	s_and_saveexec_b64 s[6:7], s[4:5]
	s_cbranch_execz .LBB15_1864
.LBB15_1863:
	v_and_b32_e32 v9, 7, v10
	v_ffbh_u32_e32 v13, v9
	v_min_u32_e32 v13, 32, v13
	v_lshrrev_b16_e32 v12, 3, v10
	v_subrev_u32_e32 v18, 28, v13
	v_and_b32_e32 v12, 15, v12
	v_lshlrev_b32_e32 v18, v18, v10
	v_sub_u32_e32 v13, 29, v13
	v_and_b32_e32 v18, 7, v18
	v_cmp_eq_u16_e32 vcc, 0, v12
	v_cndmask_b32_e32 v9, v9, v18, vcc
	v_cndmask_b32_e32 v12, v12, v13, vcc
	v_lshlrev_b32_e32 v13, 24, v10
	v_mov_b32_e32 v18, 0x3b800000
	v_lshlrev_b32_e32 v9, 20, v9
	v_and_b32_e32 v13, 0x80000000, v13
	v_lshl_add_u32 v12, v12, 23, v18
	v_or3_b32 v9, v13, v12, v9
.LBB15_1864:
	s_or_b64 exec, exec, s[6:7]
	s_nop 0
	v_mfma_f32_16x16x4f32 a[0:3], v8, v9, a[0:3]
	v_lshrrev_b32_e32 v9, 8, v14
	s_movk_i32 s4, 0x7f
	v_cmp_gt_i16_sdwa s[6:7], v9, s4 src0_sel:BYTE_0 src1_sel:DWORD
	s_mov_b64 s[4:5], 0
                                        ; implicit-def: $sgpr10
	s_and_saveexec_b64 s[8:9], s[6:7]
	s_xor_b64 s[6:7], exec, s[8:9]
	s_cbranch_execnz .LBB15_3913
; %bb.1865:
	s_or_saveexec_b64 s[6:7], s[6:7]
	v_mov_b32_e32 v8, s10
	s_xor_b64 exec, exec, s[6:7]
	s_cbranch_execnz .LBB15_3916
.LBB15_1866:
	s_or_b64 exec, exec, s[6:7]
	s_and_saveexec_b64 s[6:7], s[4:5]
	s_cbranch_execz .LBB15_1868
.LBB15_1867:
	v_bfe_u32 v8, v14, 8, 3
	v_ffbh_u32_e32 v13, v8
	v_min_u32_e32 v13, 32, v13
	v_lshrrev_b16_e32 v12, 3, v9
	v_subrev_u32_e32 v18, 28, v13
	v_and_b32_e32 v12, 15, v12
	v_lshlrev_b32_e32 v9, v18, v9
	v_sub_u32_e32 v13, 29, v13
	v_and_b32_e32 v9, 7, v9
	v_cmp_eq_u16_e32 vcc, 0, v12
	v_cndmask_b32_e32 v8, v8, v9, vcc
	v_cndmask_b32_e32 v9, v12, v13, vcc
	v_lshlrev_b32_e32 v12, 16, v14
	v_mov_b32_e32 v13, 0x3b800000
	v_lshlrev_b32_e32 v8, 20, v8
	v_and_b32_e32 v12, 0x80000000, v12
	v_lshl_add_u32 v9, v9, 23, v13
	v_or3_b32 v8, v12, v9, v8
.LBB15_1868:
	s_or_b64 exec, exec, s[6:7]
	v_lshrrev_b32_e32 v9, 8, v10
	s_movk_i32 s4, 0x7f
	v_cmp_gt_i16_sdwa s[6:7], v9, s4 src0_sel:BYTE_0 src1_sel:DWORD
	s_mov_b64 s[4:5], 0
                                        ; implicit-def: $sgpr10
	s_and_saveexec_b64 s[8:9], s[6:7]
	s_xor_b64 s[6:7], exec, s[8:9]
	s_cbranch_execnz .LBB15_3917
; %bb.1869:
	s_or_saveexec_b64 s[6:7], s[6:7]
	v_mov_b32_e32 v12, s10
	s_xor_b64 exec, exec, s[6:7]
	s_cbranch_execnz .LBB15_3920
.LBB15_1870:
	s_or_b64 exec, exec, s[6:7]
	s_and_saveexec_b64 s[6:7], s[4:5]
	s_cbranch_execz .LBB15_1872
.LBB15_1871:
	v_bfe_u32 v12, v10, 8, 3
	v_ffbh_u32_e32 v18, v12
	v_min_u32_e32 v18, 32, v18
	v_lshrrev_b16_e32 v13, 3, v9
	v_subrev_u32_e32 v19, 28, v18
	v_and_b32_e32 v13, 15, v13
	v_lshlrev_b32_e32 v9, v19, v9
	v_sub_u32_e32 v18, 29, v18
	v_and_b32_e32 v9, 7, v9
	v_cmp_eq_u16_e32 vcc, 0, v13
	v_cndmask_b32_e32 v9, v12, v9, vcc
	v_cndmask_b32_e32 v12, v13, v18, vcc
	v_lshlrev_b32_e32 v13, 16, v10
	v_mov_b32_e32 v18, 0x3b800000
	v_lshlrev_b32_e32 v9, 20, v9
	v_and_b32_e32 v13, 0x80000000, v13
	v_lshl_add_u32 v12, v12, 23, v18
	v_or3_b32 v12, v13, v12, v9
.LBB15_1872:
	s_or_b64 exec, exec, s[6:7]
	s_nop 0
	v_mfma_f32_16x16x4f32 a[0:3], v8, v12, a[0:3]
	s_movk_i32 s4, 0xff
	v_and_b32_sdwa v9, v14, s4 dst_sel:DWORD dst_unused:UNUSED_PAD src0_sel:WORD_1 src1_sel:DWORD
	s_movk_i32 s4, 0x7f
	v_cmp_lt_i16_e32 vcc, s4, v9
	s_mov_b64 s[4:5], 0
                                        ; implicit-def: $sgpr10
	s_and_saveexec_b64 s[6:7], vcc
	s_xor_b64 s[6:7], exec, s[6:7]
	s_cbranch_execnz .LBB15_3921
; %bb.1873:
	s_or_saveexec_b64 s[6:7], s[6:7]
	v_mov_b32_e32 v8, s10
	s_xor_b64 exec, exec, s[6:7]
	s_cbranch_execnz .LBB15_3924
.LBB15_1874:
	s_or_b64 exec, exec, s[6:7]
	s_and_saveexec_b64 s[6:7], s[4:5]
	s_cbranch_execz .LBB15_1876
.LBB15_1875:
	v_bfe_u32 v8, v14, 16, 3
	v_ffbh_u32_e32 v13, v8
	v_min_u32_e32 v13, 32, v13
	v_lshrrev_b32_e32 v9, 19, v14
	v_subrev_u32_e32 v18, 28, v13
	v_and_b32_e32 v9, 15, v9
	v_lshlrev_b32_sdwa v18, v18, v14 dst_sel:DWORD dst_unused:UNUSED_PAD src0_sel:DWORD src1_sel:WORD_1
	v_bfe_u32 v12, v14, 19, 4
	v_sub_u32_e32 v13, 29, v13
	v_and_b32_e32 v18, 7, v18
	v_cmp_eq_u16_e32 vcc, 0, v9
	v_cndmask_b32_e32 v8, v8, v18, vcc
	v_cndmask_b32_e32 v9, v12, v13, vcc
	v_lshlrev_b32_e32 v12, 8, v14
	v_mov_b32_e32 v13, 0x3b800000
	v_lshlrev_b32_e32 v8, 20, v8
	v_and_b32_e32 v12, 0x80000000, v12
	v_lshl_add_u32 v9, v9, 23, v13
	v_or3_b32 v8, v12, v9, v8
.LBB15_1876:
	s_or_b64 exec, exec, s[6:7]
	s_movk_i32 s4, 0xff
	v_and_b32_sdwa v9, v10, s4 dst_sel:DWORD dst_unused:UNUSED_PAD src0_sel:WORD_1 src1_sel:DWORD
	s_movk_i32 s4, 0x7f
	v_cmp_lt_i16_e32 vcc, s4, v9
	s_mov_b64 s[4:5], 0
                                        ; implicit-def: $sgpr10
	s_and_saveexec_b64 s[6:7], vcc
	s_xor_b64 s[6:7], exec, s[6:7]
	s_cbranch_execnz .LBB15_3925
; %bb.1877:
	s_or_saveexec_b64 s[6:7], s[6:7]
	v_mov_b32_e32 v12, s10
	s_xor_b64 exec, exec, s[6:7]
	s_cbranch_execnz .LBB15_3928
.LBB15_1878:
	s_or_b64 exec, exec, s[6:7]
	s_and_saveexec_b64 s[6:7], s[4:5]
	s_cbranch_execz .LBB15_1880
.LBB15_1879:
	v_bfe_u32 v9, v10, 16, 3
	v_ffbh_u32_e32 v18, v9
	v_min_u32_e32 v18, 32, v18
	v_lshrrev_b32_e32 v12, 19, v10
	v_subrev_u32_e32 v19, 28, v18
	v_and_b32_e32 v12, 15, v12
	v_lshlrev_b32_sdwa v19, v19, v10 dst_sel:DWORD dst_unused:UNUSED_PAD src0_sel:DWORD src1_sel:WORD_1
	v_bfe_u32 v13, v10, 19, 4
	v_sub_u32_e32 v18, 29, v18
	v_and_b32_e32 v19, 7, v19
	v_cmp_eq_u16_e32 vcc, 0, v12
	v_cndmask_b32_e32 v9, v9, v19, vcc
	v_cndmask_b32_e32 v12, v13, v18, vcc
	v_lshlrev_b32_e32 v13, 8, v10
	v_mov_b32_e32 v18, 0x3b800000
	v_lshlrev_b32_e32 v9, 20, v9
	v_and_b32_e32 v13, 0x80000000, v13
	v_lshl_add_u32 v12, v12, 23, v18
	v_or3_b32 v12, v13, v12, v9
.LBB15_1880:
	s_or_b64 exec, exec, s[6:7]
	s_nop 0
	v_mfma_f32_16x16x4f32 a[0:3], v8, v12, a[0:3]
	s_movk_i32 s4, 0x7f
	v_cmp_gt_i16_sdwa s[6:7], v14, s4 src0_sel:BYTE_3 src1_sel:DWORD
	s_mov_b64 s[4:5], 0
                                        ; implicit-def: $sgpr10
	s_and_saveexec_b64 s[8:9], s[6:7]
	s_xor_b64 s[6:7], exec, s[8:9]
	s_cbranch_execnz .LBB15_3929
; %bb.1881:
	s_or_saveexec_b64 s[6:7], s[6:7]
	v_mov_b32_e32 v8, s10
	s_xor_b64 exec, exec, s[6:7]
	s_cbranch_execnz .LBB15_3932
.LBB15_1882:
	s_or_b64 exec, exec, s[6:7]
	s_and_saveexec_b64 s[6:7], s[4:5]
	s_cbranch_execz .LBB15_1884
.LBB15_1883:
	v_bfe_u32 v8, v14, 24, 3
	v_ffbh_u32_e32 v18, v8
	v_min_u32_e32 v18, 32, v18
	v_lshrrev_b32_e32 v12, 27, v14
	v_subrev_u32_e32 v19, 28, v18
	v_and_b32_e32 v9, 0x80000000, v14
	v_and_b32_e32 v12, 15, v12
	v_bfe_u32 v13, v14, 27, 4
	v_lshlrev_b32_sdwa v14, v19, v14 dst_sel:DWORD dst_unused:UNUSED_PAD src0_sel:DWORD src1_sel:BYTE_3
	v_sub_u32_e32 v18, 29, v18
	v_and_b32_e32 v14, 7, v14
	v_cmp_eq_u16_e32 vcc, 0, v12
	v_cndmask_b32_e32 v8, v8, v14, vcc
	v_cndmask_b32_e32 v12, v13, v18, vcc
	v_mov_b32_e32 v13, 0x3b800000
	v_lshlrev_b32_e32 v8, 20, v8
	v_lshl_add_u32 v12, v12, 23, v13
	v_or3_b32 v8, v9, v12, v8
.LBB15_1884:
	s_or_b64 exec, exec, s[6:7]
	s_movk_i32 s4, 0x7f
	v_cmp_gt_i16_sdwa s[6:7], v10, s4 src0_sel:BYTE_3 src1_sel:DWORD
	s_mov_b64 s[4:5], 0
                                        ; implicit-def: $sgpr10
	s_and_saveexec_b64 s[8:9], s[6:7]
	s_xor_b64 s[6:7], exec, s[8:9]
	s_cbranch_execnz .LBB15_3933
; %bb.1885:
	s_or_saveexec_b64 s[6:7], s[6:7]
	v_mov_b32_e32 v9, s10
	s_xor_b64 exec, exec, s[6:7]
	s_cbranch_execnz .LBB15_3936
.LBB15_1886:
	s_or_b64 exec, exec, s[6:7]
	s_and_saveexec_b64 s[6:7], s[4:5]
	s_cbranch_execz .LBB15_1888
.LBB15_1887:
	v_bfe_u32 v9, v10, 24, 3
	v_ffbh_u32_e32 v18, v9
	v_min_u32_e32 v18, 32, v18
	v_lshrrev_b32_e32 v13, 27, v10
	v_subrev_u32_e32 v19, 28, v18
	v_and_b32_e32 v12, 0x80000000, v10
	v_and_b32_e32 v13, 15, v13
	v_bfe_u32 v14, v10, 27, 4
	v_lshlrev_b32_sdwa v10, v19, v10 dst_sel:DWORD dst_unused:UNUSED_PAD src0_sel:DWORD src1_sel:BYTE_3
	v_sub_u32_e32 v18, 29, v18
	v_and_b32_e32 v10, 7, v10
	v_cmp_eq_u16_e32 vcc, 0, v13
	v_cndmask_b32_e32 v9, v9, v10, vcc
	v_cndmask_b32_e32 v10, v14, v18, vcc
	v_mov_b32_e32 v13, 0x3b800000
	v_lshlrev_b32_e32 v9, 20, v9
	v_lshl_add_u32 v10, v10, 23, v13
	v_or3_b32 v9, v12, v10, v9
.LBB15_1888:
	s_or_b64 exec, exec, s[6:7]
	s_nop 0
	v_mfma_f32_16x16x4f32 a[0:3], v8, v9, a[0:3]
	s_movk_i32 s4, 0x7f
	v_cmp_gt_i16_sdwa s[6:7], v15, s4 src0_sel:BYTE_0 src1_sel:DWORD
	s_mov_b64 s[4:5], 0
                                        ; implicit-def: $sgpr10
	s_and_saveexec_b64 s[8:9], s[6:7]
	s_xor_b64 s[6:7], exec, s[8:9]
	s_cbranch_execnz .LBB15_3937
; %bb.1889:
	s_or_saveexec_b64 s[6:7], s[6:7]
	v_mov_b32_e32 v8, s10
	s_xor_b64 exec, exec, s[6:7]
	s_cbranch_execnz .LBB15_3940
.LBB15_1890:
	s_or_b64 exec, exec, s[6:7]
	s_and_saveexec_b64 s[6:7], s[4:5]
	s_cbranch_execz .LBB15_1892
.LBB15_1891:
	v_and_b32_e32 v8, 7, v15
	v_ffbh_u32_e32 v10, v8
	v_min_u32_e32 v10, 32, v10
	v_lshrrev_b16_e32 v9, 3, v15
	v_subrev_u32_e32 v12, 28, v10
	v_and_b32_e32 v9, 15, v9
	v_lshlrev_b32_e32 v12, v12, v15
	v_sub_u32_e32 v10, 29, v10
	v_and_b32_e32 v12, 7, v12
	v_cmp_eq_u16_e32 vcc, 0, v9
	v_cndmask_b32_e32 v8, v8, v12, vcc
	v_cndmask_b32_e32 v9, v9, v10, vcc
	v_lshlrev_b32_e32 v10, 24, v15
	v_mov_b32_e32 v12, 0x3b800000
	v_lshlrev_b32_e32 v8, 20, v8
	v_and_b32_e32 v10, 0x80000000, v10
	v_lshl_add_u32 v9, v9, 23, v12
	v_or3_b32 v8, v10, v9, v8
.LBB15_1892:
	s_or_b64 exec, exec, s[6:7]
	s_movk_i32 s4, 0x7f
	v_cmp_gt_i16_sdwa s[6:7], v11, s4 src0_sel:BYTE_0 src1_sel:DWORD
	s_mov_b64 s[4:5], 0
                                        ; implicit-def: $sgpr10
	s_and_saveexec_b64 s[8:9], s[6:7]
	s_xor_b64 s[6:7], exec, s[8:9]
	s_cbranch_execnz .LBB15_3941
; %bb.1893:
	s_or_saveexec_b64 s[6:7], s[6:7]
	v_mov_b32_e32 v9, s10
	s_xor_b64 exec, exec, s[6:7]
	s_cbranch_execnz .LBB15_3944
.LBB15_1894:
	s_or_b64 exec, exec, s[6:7]
	s_and_saveexec_b64 s[6:7], s[4:5]
	s_cbranch_execz .LBB15_1896
.LBB15_1895:
	v_and_b32_e32 v9, 7, v11
	v_ffbh_u32_e32 v12, v9
	v_min_u32_e32 v12, 32, v12
	v_lshrrev_b16_e32 v10, 3, v11
	v_subrev_u32_e32 v13, 28, v12
	v_and_b32_e32 v10, 15, v10
	v_lshlrev_b32_e32 v13, v13, v11
	v_sub_u32_e32 v12, 29, v12
	v_and_b32_e32 v13, 7, v13
	v_cmp_eq_u16_e32 vcc, 0, v10
	v_cndmask_b32_e32 v9, v9, v13, vcc
	v_cndmask_b32_e32 v10, v10, v12, vcc
	v_lshlrev_b32_e32 v12, 24, v11
	v_mov_b32_e32 v13, 0x3b800000
	v_lshlrev_b32_e32 v9, 20, v9
	v_and_b32_e32 v12, 0x80000000, v12
	v_lshl_add_u32 v10, v10, 23, v13
	v_or3_b32 v9, v12, v10, v9
.LBB15_1896:
	s_or_b64 exec, exec, s[6:7]
	s_nop 0
	v_mfma_f32_16x16x4f32 a[0:3], v8, v9, a[0:3]
	v_lshrrev_b32_e32 v9, 8, v15
	s_movk_i32 s4, 0x7f
	v_cmp_gt_i16_sdwa s[6:7], v9, s4 src0_sel:BYTE_0 src1_sel:DWORD
	s_mov_b64 s[4:5], 0
                                        ; implicit-def: $sgpr10
	s_and_saveexec_b64 s[8:9], s[6:7]
	s_xor_b64 s[6:7], exec, s[8:9]
	s_cbranch_execnz .LBB15_3945
; %bb.1897:
	s_or_saveexec_b64 s[6:7], s[6:7]
	v_mov_b32_e32 v8, s10
	s_xor_b64 exec, exec, s[6:7]
	s_cbranch_execnz .LBB15_3948
.LBB15_1898:
	s_or_b64 exec, exec, s[6:7]
	s_and_saveexec_b64 s[6:7], s[4:5]
	s_cbranch_execz .LBB15_1900
.LBB15_1899:
	v_bfe_u32 v8, v15, 8, 3
	v_ffbh_u32_e32 v12, v8
	v_min_u32_e32 v12, 32, v12
	v_lshrrev_b16_e32 v10, 3, v9
	v_subrev_u32_e32 v13, 28, v12
	v_and_b32_e32 v10, 15, v10
	v_lshlrev_b32_e32 v9, v13, v9
	v_sub_u32_e32 v12, 29, v12
	v_and_b32_e32 v9, 7, v9
	v_cmp_eq_u16_e32 vcc, 0, v10
	v_cndmask_b32_e32 v8, v8, v9, vcc
	v_cndmask_b32_e32 v9, v10, v12, vcc
	v_lshlrev_b32_e32 v10, 16, v15
	v_mov_b32_e32 v12, 0x3b800000
	v_lshlrev_b32_e32 v8, 20, v8
	v_and_b32_e32 v10, 0x80000000, v10
	v_lshl_add_u32 v9, v9, 23, v12
	v_or3_b32 v8, v10, v9, v8
.LBB15_1900:
	s_or_b64 exec, exec, s[6:7]
	v_lshrrev_b32_e32 v9, 8, v11
	s_movk_i32 s4, 0x7f
	v_cmp_gt_i16_sdwa s[6:7], v9, s4 src0_sel:BYTE_0 src1_sel:DWORD
	s_mov_b64 s[4:5], 0
                                        ; implicit-def: $sgpr10
	s_and_saveexec_b64 s[8:9], s[6:7]
	s_xor_b64 s[6:7], exec, s[8:9]
	s_cbranch_execnz .LBB15_3949
; %bb.1901:
	s_or_saveexec_b64 s[6:7], s[6:7]
	v_mov_b32_e32 v10, s10
	s_xor_b64 exec, exec, s[6:7]
	s_cbranch_execnz .LBB15_3952
.LBB15_1902:
	s_or_b64 exec, exec, s[6:7]
	s_and_saveexec_b64 s[6:7], s[4:5]
	s_cbranch_execz .LBB15_1904
.LBB15_1903:
	v_bfe_u32 v10, v11, 8, 3
	v_ffbh_u32_e32 v13, v10
	v_min_u32_e32 v13, 32, v13
	v_lshrrev_b16_e32 v12, 3, v9
	v_subrev_u32_e32 v14, 28, v13
	v_and_b32_e32 v12, 15, v12
	v_lshlrev_b32_e32 v9, v14, v9
	v_sub_u32_e32 v13, 29, v13
	v_and_b32_e32 v9, 7, v9
	v_cmp_eq_u16_e32 vcc, 0, v12
	v_cndmask_b32_e32 v9, v10, v9, vcc
	v_cndmask_b32_e32 v10, v12, v13, vcc
	v_lshlrev_b32_e32 v12, 16, v11
	v_mov_b32_e32 v13, 0x3b800000
	v_lshlrev_b32_e32 v9, 20, v9
	v_and_b32_e32 v12, 0x80000000, v12
	v_lshl_add_u32 v10, v10, 23, v13
	v_or3_b32 v10, v12, v10, v9
.LBB15_1904:
	s_or_b64 exec, exec, s[6:7]
	s_nop 0
	v_mfma_f32_16x16x4f32 a[0:3], v8, v10, a[0:3]
	s_movk_i32 s4, 0xff
	v_and_b32_sdwa v9, v15, s4 dst_sel:DWORD dst_unused:UNUSED_PAD src0_sel:WORD_1 src1_sel:DWORD
	s_movk_i32 s4, 0x7f
	v_cmp_lt_i16_e32 vcc, s4, v9
	s_mov_b64 s[4:5], 0
                                        ; implicit-def: $sgpr10
	s_and_saveexec_b64 s[6:7], vcc
	s_xor_b64 s[6:7], exec, s[6:7]
	s_cbranch_execnz .LBB15_3953
; %bb.1905:
	s_or_saveexec_b64 s[6:7], s[6:7]
	v_mov_b32_e32 v8, s10
	s_xor_b64 exec, exec, s[6:7]
	s_cbranch_execnz .LBB15_3956
.LBB15_1906:
	s_or_b64 exec, exec, s[6:7]
	s_and_saveexec_b64 s[6:7], s[4:5]
	s_cbranch_execz .LBB15_1908
.LBB15_1907:
	v_bfe_u32 v8, v15, 16, 3
	v_ffbh_u32_e32 v12, v8
	v_min_u32_e32 v12, 32, v12
	v_lshrrev_b32_e32 v9, 19, v15
	v_subrev_u32_e32 v13, 28, v12
	v_and_b32_e32 v9, 15, v9
	v_lshlrev_b32_sdwa v13, v13, v15 dst_sel:DWORD dst_unused:UNUSED_PAD src0_sel:DWORD src1_sel:WORD_1
	v_bfe_u32 v10, v15, 19, 4
	v_sub_u32_e32 v12, 29, v12
	v_and_b32_e32 v13, 7, v13
	v_cmp_eq_u16_e32 vcc, 0, v9
	v_cndmask_b32_e32 v8, v8, v13, vcc
	v_cndmask_b32_e32 v9, v10, v12, vcc
	v_lshlrev_b32_e32 v10, 8, v15
	v_mov_b32_e32 v12, 0x3b800000
	v_lshlrev_b32_e32 v8, 20, v8
	v_and_b32_e32 v10, 0x80000000, v10
	v_lshl_add_u32 v9, v9, 23, v12
	v_or3_b32 v8, v10, v9, v8
.LBB15_1908:
	s_or_b64 exec, exec, s[6:7]
	s_movk_i32 s4, 0xff
	v_and_b32_sdwa v9, v11, s4 dst_sel:DWORD dst_unused:UNUSED_PAD src0_sel:WORD_1 src1_sel:DWORD
	s_movk_i32 s4, 0x7f
	v_cmp_lt_i16_e32 vcc, s4, v9
	s_mov_b64 s[4:5], 0
                                        ; implicit-def: $sgpr10
	s_and_saveexec_b64 s[6:7], vcc
	s_xor_b64 s[6:7], exec, s[6:7]
	s_cbranch_execnz .LBB15_3957
; %bb.1909:
	s_or_saveexec_b64 s[6:7], s[6:7]
	v_mov_b32_e32 v10, s10
	s_xor_b64 exec, exec, s[6:7]
	s_cbranch_execnz .LBB15_3960
.LBB15_1910:
	s_or_b64 exec, exec, s[6:7]
	s_and_saveexec_b64 s[6:7], s[4:5]
	s_cbranch_execz .LBB15_1912
.LBB15_1911:
	v_bfe_u32 v9, v11, 16, 3
	v_ffbh_u32_e32 v13, v9
	v_min_u32_e32 v13, 32, v13
	v_lshrrev_b32_e32 v10, 19, v11
	v_subrev_u32_e32 v14, 28, v13
	v_and_b32_e32 v10, 15, v10
	v_lshlrev_b32_sdwa v14, v14, v11 dst_sel:DWORD dst_unused:UNUSED_PAD src0_sel:DWORD src1_sel:WORD_1
	v_bfe_u32 v12, v11, 19, 4
	v_sub_u32_e32 v13, 29, v13
	v_and_b32_e32 v14, 7, v14
	v_cmp_eq_u16_e32 vcc, 0, v10
	v_cndmask_b32_e32 v9, v9, v14, vcc
	v_cndmask_b32_e32 v10, v12, v13, vcc
	v_lshlrev_b32_e32 v12, 8, v11
	v_mov_b32_e32 v13, 0x3b800000
	v_lshlrev_b32_e32 v9, 20, v9
	v_and_b32_e32 v12, 0x80000000, v12
	v_lshl_add_u32 v10, v10, 23, v13
	v_or3_b32 v10, v12, v10, v9
.LBB15_1912:
	s_or_b64 exec, exec, s[6:7]
	s_nop 0
	v_mfma_f32_16x16x4f32 a[0:3], v8, v10, a[0:3]
	s_movk_i32 s4, 0x7f
	v_cmp_gt_i16_sdwa s[6:7], v15, s4 src0_sel:BYTE_3 src1_sel:DWORD
	s_mov_b64 s[4:5], 0
                                        ; implicit-def: $sgpr10
	s_and_saveexec_b64 s[8:9], s[6:7]
	s_xor_b64 s[6:7], exec, s[8:9]
	s_cbranch_execnz .LBB15_3961
; %bb.1913:
	s_or_saveexec_b64 s[6:7], s[6:7]
	v_mov_b32_e32 v8, s10
	s_xor_b64 exec, exec, s[6:7]
	s_cbranch_execnz .LBB15_3964
.LBB15_1914:
	s_or_b64 exec, exec, s[6:7]
	s_and_saveexec_b64 s[6:7], s[4:5]
	s_cbranch_execz .LBB15_1916
.LBB15_1915:
	v_bfe_u32 v8, v15, 24, 3
	v_ffbh_u32_e32 v13, v8
	v_min_u32_e32 v13, 32, v13
	v_lshrrev_b32_e32 v10, 27, v15
	v_subrev_u32_e32 v14, 28, v13
	v_and_b32_e32 v10, 15, v10
	v_lshlrev_b32_sdwa v14, v14, v15 dst_sel:DWORD dst_unused:UNUSED_PAD src0_sel:DWORD src1_sel:BYTE_3
	v_bfe_u32 v12, v15, 27, 4
	v_sub_u32_e32 v13, 29, v13
	v_and_b32_e32 v14, 7, v14
	v_cmp_eq_u16_e32 vcc, 0, v10
	v_cndmask_b32_e32 v8, v8, v14, vcc
	v_cndmask_b32_e32 v10, v12, v13, vcc
	v_mov_b32_e32 v12, 0x3b800000
	v_and_b32_e32 v9, 0x80000000, v15
	v_lshlrev_b32_e32 v8, 20, v8
	v_lshl_add_u32 v10, v10, 23, v12
	v_or3_b32 v8, v9, v10, v8
.LBB15_1916:
	s_or_b64 exec, exec, s[6:7]
	s_movk_i32 s4, 0x7f
	v_cmp_gt_i16_sdwa s[6:7], v11, s4 src0_sel:BYTE_3 src1_sel:DWORD
	s_mov_b64 s[4:5], 0
                                        ; implicit-def: $sgpr10
	s_and_saveexec_b64 s[8:9], s[6:7]
	s_xor_b64 s[6:7], exec, s[8:9]
	s_cbranch_execnz .LBB15_3965
; %bb.1917:
	s_or_saveexec_b64 s[6:7], s[6:7]
	v_mov_b32_e32 v9, s10
	s_xor_b64 exec, exec, s[6:7]
	s_cbranch_execnz .LBB15_3968
.LBB15_1918:
	s_or_b64 exec, exec, s[6:7]
	s_and_saveexec_b64 s[6:7], s[4:5]
	s_cbranch_execz .LBB15_1920
.LBB15_1919:
	v_bfe_u32 v9, v11, 24, 3
	v_ffbh_u32_e32 v14, v9
	v_min_u32_e32 v14, 32, v14
	v_lshrrev_b32_e32 v12, 27, v11
	v_subrev_u32_e32 v15, 28, v14
	v_and_b32_e32 v10, 0x80000000, v11
	v_and_b32_e32 v12, 15, v12
	v_bfe_u32 v13, v11, 27, 4
	v_lshlrev_b32_sdwa v11, v15, v11 dst_sel:DWORD dst_unused:UNUSED_PAD src0_sel:DWORD src1_sel:BYTE_3
	v_sub_u32_e32 v14, 29, v14
	v_and_b32_e32 v11, 7, v11
	v_cmp_eq_u16_e32 vcc, 0, v12
	v_cndmask_b32_e32 v9, v9, v11, vcc
	v_cndmask_b32_e32 v11, v13, v14, vcc
	v_mov_b32_e32 v12, 0x3b800000
	v_lshlrev_b32_e32 v9, 20, v9
	v_lshl_add_u32 v11, v11, 23, v12
	v_or3_b32 v9, v10, v11, v9
.LBB15_1920:
	s_or_b64 exec, exec, s[6:7]
	s_nop 0
	v_mfma_f32_16x16x4f32 a[0:3], v8, v9, a[0:3]
	s_movk_i32 s4, 0x7f
	v_cmp_gt_i16_sdwa s[6:7], v4, s4 src0_sel:BYTE_0 src1_sel:DWORD
	s_mov_b64 s[4:5], 0
                                        ; implicit-def: $sgpr10
	s_and_saveexec_b64 s[8:9], s[6:7]
	s_xor_b64 s[6:7], exec, s[8:9]
	s_cbranch_execnz .LBB15_3969
; %bb.1921:
	s_or_saveexec_b64 s[6:7], s[6:7]
	v_mov_b32_e32 v8, s10
	s_xor_b64 exec, exec, s[6:7]
	s_cbranch_execnz .LBB15_3972
.LBB15_1922:
	s_or_b64 exec, exec, s[6:7]
	s_and_saveexec_b64 s[6:7], s[4:5]
	s_cbranch_execz .LBB15_1924
.LBB15_1923:
	v_and_b32_e32 v8, 7, v4
	v_ffbh_u32_e32 v10, v8
	v_min_u32_e32 v10, 32, v10
	v_lshrrev_b16_e32 v9, 3, v4
	v_subrev_u32_e32 v11, 28, v10
	v_and_b32_e32 v9, 15, v9
	v_lshlrev_b32_e32 v11, v11, v4
	v_sub_u32_e32 v10, 29, v10
	v_and_b32_e32 v11, 7, v11
	v_cmp_eq_u16_e32 vcc, 0, v9
	v_cndmask_b32_e32 v8, v8, v11, vcc
	v_cndmask_b32_e32 v9, v9, v10, vcc
	v_lshlrev_b32_e32 v10, 24, v4
	v_mov_b32_e32 v11, 0x3b800000
	v_lshlrev_b32_e32 v8, 20, v8
	v_and_b32_e32 v10, 0x80000000, v10
	v_lshl_add_u32 v9, v9, 23, v11
	v_or3_b32 v8, v10, v9, v8
.LBB15_1924:
	s_or_b64 exec, exec, s[6:7]
	s_movk_i32 s4, 0x7f
	v_cmp_gt_i16_sdwa s[6:7], v0, s4 src0_sel:BYTE_0 src1_sel:DWORD
	s_mov_b64 s[4:5], 0
                                        ; implicit-def: $sgpr10
	s_and_saveexec_b64 s[8:9], s[6:7]
	s_xor_b64 s[6:7], exec, s[8:9]
	s_cbranch_execnz .LBB15_3973
; %bb.1925:
	s_or_saveexec_b64 s[6:7], s[6:7]
	v_mov_b32_e32 v9, s10
	s_xor_b64 exec, exec, s[6:7]
	s_cbranch_execnz .LBB15_3976
.LBB15_1926:
	s_or_b64 exec, exec, s[6:7]
	s_and_saveexec_b64 s[6:7], s[4:5]
	s_cbranch_execz .LBB15_1928
.LBB15_1927:
	v_and_b32_e32 v9, 7, v0
	v_ffbh_u32_e32 v11, v9
	v_min_u32_e32 v11, 32, v11
	v_lshrrev_b16_e32 v10, 3, v0
	v_subrev_u32_e32 v12, 28, v11
	v_and_b32_e32 v10, 15, v10
	v_lshlrev_b32_e32 v12, v12, v0
	v_sub_u32_e32 v11, 29, v11
	v_and_b32_e32 v12, 7, v12
	v_cmp_eq_u16_e32 vcc, 0, v10
	v_cndmask_b32_e32 v9, v9, v12, vcc
	v_cndmask_b32_e32 v10, v10, v11, vcc
	v_lshlrev_b32_e32 v11, 24, v0
	v_mov_b32_e32 v12, 0x3b800000
	v_lshlrev_b32_e32 v9, 20, v9
	v_and_b32_e32 v11, 0x80000000, v11
	v_lshl_add_u32 v10, v10, 23, v12
	v_or3_b32 v9, v11, v10, v9
.LBB15_1928:
	s_or_b64 exec, exec, s[6:7]
	s_nop 0
	v_mfma_f32_16x16x4f32 a[0:3], v8, v9, a[0:3]
	v_lshrrev_b32_e32 v9, 8, v4
	s_movk_i32 s4, 0x7f
	v_cmp_gt_i16_sdwa s[6:7], v9, s4 src0_sel:BYTE_0 src1_sel:DWORD
	s_mov_b64 s[4:5], 0
                                        ; implicit-def: $sgpr10
	s_and_saveexec_b64 s[8:9], s[6:7]
	s_xor_b64 s[6:7], exec, s[8:9]
	s_cbranch_execnz .LBB15_3977
; %bb.1929:
	s_or_saveexec_b64 s[6:7], s[6:7]
	v_mov_b32_e32 v8, s10
	s_xor_b64 exec, exec, s[6:7]
	s_cbranch_execnz .LBB15_3980
.LBB15_1930:
	s_or_b64 exec, exec, s[6:7]
	s_and_saveexec_b64 s[6:7], s[4:5]
	s_cbranch_execz .LBB15_1932
.LBB15_1931:
	v_bfe_u32 v8, v4, 8, 3
	v_ffbh_u32_e32 v11, v8
	v_min_u32_e32 v11, 32, v11
	v_lshrrev_b16_e32 v10, 3, v9
	v_subrev_u32_e32 v12, 28, v11
	v_and_b32_e32 v10, 15, v10
	v_lshlrev_b32_e32 v9, v12, v9
	v_sub_u32_e32 v11, 29, v11
	v_and_b32_e32 v9, 7, v9
	v_cmp_eq_u16_e32 vcc, 0, v10
	v_cndmask_b32_e32 v8, v8, v9, vcc
	v_cndmask_b32_e32 v9, v10, v11, vcc
	v_lshlrev_b32_e32 v10, 16, v4
	v_mov_b32_e32 v11, 0x3b800000
	v_lshlrev_b32_e32 v8, 20, v8
	v_and_b32_e32 v10, 0x80000000, v10
	v_lshl_add_u32 v9, v9, 23, v11
	v_or3_b32 v8, v10, v9, v8
.LBB15_1932:
	s_or_b64 exec, exec, s[6:7]
	v_lshrrev_b32_e32 v9, 8, v0
	s_movk_i32 s4, 0x7f
	v_cmp_gt_i16_sdwa s[6:7], v9, s4 src0_sel:BYTE_0 src1_sel:DWORD
	s_mov_b64 s[4:5], 0
                                        ; implicit-def: $sgpr10
	s_and_saveexec_b64 s[8:9], s[6:7]
	s_xor_b64 s[6:7], exec, s[8:9]
	s_cbranch_execnz .LBB15_3981
; %bb.1933:
	s_or_saveexec_b64 s[6:7], s[6:7]
	v_mov_b32_e32 v10, s10
	s_xor_b64 exec, exec, s[6:7]
	s_cbranch_execnz .LBB15_3984
.LBB15_1934:
	s_or_b64 exec, exec, s[6:7]
	s_and_saveexec_b64 s[6:7], s[4:5]
	s_cbranch_execz .LBB15_1936
.LBB15_1935:
	v_bfe_u32 v10, v0, 8, 3
	v_ffbh_u32_e32 v12, v10
	v_min_u32_e32 v12, 32, v12
	v_lshrrev_b16_e32 v11, 3, v9
	v_subrev_u32_e32 v13, 28, v12
	v_and_b32_e32 v11, 15, v11
	v_lshlrev_b32_e32 v9, v13, v9
	v_sub_u32_e32 v12, 29, v12
	v_and_b32_e32 v9, 7, v9
	v_cmp_eq_u16_e32 vcc, 0, v11
	v_cndmask_b32_e32 v9, v10, v9, vcc
	v_cndmask_b32_e32 v10, v11, v12, vcc
	v_lshlrev_b32_e32 v11, 16, v0
	v_mov_b32_e32 v12, 0x3b800000
	v_lshlrev_b32_e32 v9, 20, v9
	v_and_b32_e32 v11, 0x80000000, v11
	v_lshl_add_u32 v10, v10, 23, v12
	v_or3_b32 v10, v11, v10, v9
.LBB15_1936:
	s_or_b64 exec, exec, s[6:7]
	s_nop 0
	v_mfma_f32_16x16x4f32 a[0:3], v8, v10, a[0:3]
	s_movk_i32 s4, 0xff
	v_and_b32_sdwa v9, v4, s4 dst_sel:DWORD dst_unused:UNUSED_PAD src0_sel:WORD_1 src1_sel:DWORD
	s_movk_i32 s4, 0x7f
	v_cmp_lt_i16_e32 vcc, s4, v9
	s_mov_b64 s[4:5], 0
                                        ; implicit-def: $sgpr10
	s_and_saveexec_b64 s[6:7], vcc
	s_xor_b64 s[6:7], exec, s[6:7]
	s_cbranch_execnz .LBB15_3985
; %bb.1937:
	s_or_saveexec_b64 s[6:7], s[6:7]
	v_mov_b32_e32 v8, s10
	s_xor_b64 exec, exec, s[6:7]
	s_cbranch_execnz .LBB15_3988
.LBB15_1938:
	s_or_b64 exec, exec, s[6:7]
	s_and_saveexec_b64 s[6:7], s[4:5]
	s_cbranch_execz .LBB15_1940
.LBB15_1939:
	v_bfe_u32 v8, v4, 16, 3
	v_ffbh_u32_e32 v11, v8
	v_min_u32_e32 v11, 32, v11
	v_lshrrev_b32_e32 v9, 19, v4
	v_subrev_u32_e32 v12, 28, v11
	v_and_b32_e32 v9, 15, v9
	v_lshlrev_b32_sdwa v12, v12, v4 dst_sel:DWORD dst_unused:UNUSED_PAD src0_sel:DWORD src1_sel:WORD_1
	v_bfe_u32 v10, v4, 19, 4
	v_sub_u32_e32 v11, 29, v11
	v_and_b32_e32 v12, 7, v12
	v_cmp_eq_u16_e32 vcc, 0, v9
	v_cndmask_b32_e32 v8, v8, v12, vcc
	v_cndmask_b32_e32 v9, v10, v11, vcc
	v_lshlrev_b32_e32 v10, 8, v4
	v_mov_b32_e32 v11, 0x3b800000
	v_lshlrev_b32_e32 v8, 20, v8
	v_and_b32_e32 v10, 0x80000000, v10
	v_lshl_add_u32 v9, v9, 23, v11
	v_or3_b32 v8, v10, v9, v8
.LBB15_1940:
	s_or_b64 exec, exec, s[6:7]
	s_movk_i32 s4, 0xff
	v_and_b32_sdwa v9, v0, s4 dst_sel:DWORD dst_unused:UNUSED_PAD src0_sel:WORD_1 src1_sel:DWORD
	s_movk_i32 s4, 0x7f
	v_cmp_lt_i16_e32 vcc, s4, v9
	s_mov_b64 s[4:5], 0
                                        ; implicit-def: $sgpr10
	s_and_saveexec_b64 s[6:7], vcc
	s_xor_b64 s[6:7], exec, s[6:7]
	s_cbranch_execnz .LBB15_3989
; %bb.1941:
	s_or_saveexec_b64 s[6:7], s[6:7]
	v_mov_b32_e32 v10, s10
	s_xor_b64 exec, exec, s[6:7]
	s_cbranch_execnz .LBB15_3992
.LBB15_1942:
	s_or_b64 exec, exec, s[6:7]
	s_and_saveexec_b64 s[6:7], s[4:5]
	s_cbranch_execz .LBB15_1944
.LBB15_1943:
	v_bfe_u32 v9, v0, 16, 3
	v_ffbh_u32_e32 v12, v9
	v_min_u32_e32 v12, 32, v12
	v_lshrrev_b32_e32 v10, 19, v0
	v_subrev_u32_e32 v13, 28, v12
	v_and_b32_e32 v10, 15, v10
	v_lshlrev_b32_sdwa v13, v13, v0 dst_sel:DWORD dst_unused:UNUSED_PAD src0_sel:DWORD src1_sel:WORD_1
	v_bfe_u32 v11, v0, 19, 4
	v_sub_u32_e32 v12, 29, v12
	v_and_b32_e32 v13, 7, v13
	v_cmp_eq_u16_e32 vcc, 0, v10
	v_cndmask_b32_e32 v9, v9, v13, vcc
	v_cndmask_b32_e32 v10, v11, v12, vcc
	v_lshlrev_b32_e32 v11, 8, v0
	v_mov_b32_e32 v12, 0x3b800000
	v_lshlrev_b32_e32 v9, 20, v9
	v_and_b32_e32 v11, 0x80000000, v11
	v_lshl_add_u32 v10, v10, 23, v12
	v_or3_b32 v10, v11, v10, v9
.LBB15_1944:
	s_or_b64 exec, exec, s[6:7]
	s_nop 0
	v_mfma_f32_16x16x4f32 a[0:3], v8, v10, a[0:3]
	s_movk_i32 s4, 0x7f
	v_cmp_gt_i16_sdwa s[6:7], v4, s4 src0_sel:BYTE_3 src1_sel:DWORD
	s_mov_b64 s[4:5], 0
                                        ; implicit-def: $sgpr10
	s_and_saveexec_b64 s[8:9], s[6:7]
	s_xor_b64 s[6:7], exec, s[8:9]
	s_cbranch_execnz .LBB15_3993
; %bb.1945:
	s_or_saveexec_b64 s[6:7], s[6:7]
	v_mov_b32_e32 v8, s10
	s_xor_b64 exec, exec, s[6:7]
	s_cbranch_execnz .LBB15_3996
.LBB15_1946:
	s_or_b64 exec, exec, s[6:7]
	s_and_saveexec_b64 s[6:7], s[4:5]
	s_cbranch_execz .LBB15_1948
.LBB15_1947:
	v_bfe_u32 v8, v4, 24, 3
	v_ffbh_u32_e32 v12, v8
	v_min_u32_e32 v12, 32, v12
	v_lshrrev_b32_e32 v10, 27, v4
	v_subrev_u32_e32 v13, 28, v12
	v_and_b32_e32 v9, 0x80000000, v4
	v_and_b32_e32 v10, 15, v10
	v_bfe_u32 v11, v4, 27, 4
	v_lshlrev_b32_sdwa v4, v13, v4 dst_sel:DWORD dst_unused:UNUSED_PAD src0_sel:DWORD src1_sel:BYTE_3
	v_sub_u32_e32 v12, 29, v12
	v_and_b32_e32 v4, 7, v4
	v_cmp_eq_u16_e32 vcc, 0, v10
	v_cndmask_b32_e32 v4, v8, v4, vcc
	v_cndmask_b32_e32 v8, v11, v12, vcc
	v_mov_b32_e32 v10, 0x3b800000
	v_lshlrev_b32_e32 v4, 20, v4
	v_lshl_add_u32 v8, v8, 23, v10
	v_or3_b32 v8, v9, v8, v4
.LBB15_1948:
	s_or_b64 exec, exec, s[6:7]
	s_movk_i32 s4, 0x7f
	v_cmp_gt_i16_sdwa s[6:7], v0, s4 src0_sel:BYTE_3 src1_sel:DWORD
	s_mov_b64 s[4:5], 0
                                        ; implicit-def: $sgpr10
	s_and_saveexec_b64 s[8:9], s[6:7]
	s_xor_b64 s[6:7], exec, s[8:9]
	s_cbranch_execnz .LBB15_3997
; %bb.1949:
	s_or_saveexec_b64 s[6:7], s[6:7]
	v_mov_b32_e32 v4, s10
	s_xor_b64 exec, exec, s[6:7]
	s_cbranch_execnz .LBB15_4000
.LBB15_1950:
	s_or_b64 exec, exec, s[6:7]
	s_and_saveexec_b64 s[6:7], s[4:5]
	s_cbranch_execz .LBB15_1952
.LBB15_1951:
	v_bfe_u32 v4, v0, 24, 3
	v_ffbh_u32_e32 v12, v4
	v_min_u32_e32 v12, 32, v12
	v_lshrrev_b32_e32 v10, 27, v0
	v_subrev_u32_e32 v13, 28, v12
	v_and_b32_e32 v9, 0x80000000, v0
	v_and_b32_e32 v10, 15, v10
	v_bfe_u32 v11, v0, 27, 4
	v_lshlrev_b32_sdwa v0, v13, v0 dst_sel:DWORD dst_unused:UNUSED_PAD src0_sel:DWORD src1_sel:BYTE_3
	v_sub_u32_e32 v12, 29, v12
	v_and_b32_e32 v0, 7, v0
	v_cmp_eq_u16_e32 vcc, 0, v10
	v_cndmask_b32_e32 v0, v4, v0, vcc
	v_cndmask_b32_e32 v4, v11, v12, vcc
	v_mov_b32_e32 v10, 0x3b800000
	v_lshlrev_b32_e32 v0, 20, v0
	v_lshl_add_u32 v4, v4, 23, v10
	v_or3_b32 v4, v9, v4, v0
.LBB15_1952:
	s_or_b64 exec, exec, s[6:7]
	s_nop 0
	v_mfma_f32_16x16x4f32 a[0:3], v8, v4, a[0:3]
	s_movk_i32 s4, 0x7f
	v_cmp_gt_i16_sdwa s[6:7], v5, s4 src0_sel:BYTE_0 src1_sel:DWORD
	s_mov_b64 s[4:5], 0
                                        ; implicit-def: $sgpr10
	s_and_saveexec_b64 s[8:9], s[6:7]
	s_xor_b64 s[6:7], exec, s[8:9]
	s_cbranch_execnz .LBB15_4001
; %bb.1953:
	s_or_saveexec_b64 s[6:7], s[6:7]
	v_mov_b32_e32 v0, s10
	s_xor_b64 exec, exec, s[6:7]
	s_cbranch_execnz .LBB15_4004
.LBB15_1954:
	s_or_b64 exec, exec, s[6:7]
	s_and_saveexec_b64 s[6:7], s[4:5]
	s_cbranch_execz .LBB15_1956
.LBB15_1955:
	v_and_b32_e32 v0, 7, v5
	v_ffbh_u32_e32 v8, v0
	v_min_u32_e32 v8, 32, v8
	v_lshrrev_b16_e32 v4, 3, v5
	v_subrev_u32_e32 v9, 28, v8
	v_and_b32_e32 v4, 15, v4
	v_lshlrev_b32_e32 v9, v9, v5
	v_sub_u32_e32 v8, 29, v8
	v_and_b32_e32 v9, 7, v9
	v_cmp_eq_u16_e32 vcc, 0, v4
	v_cndmask_b32_e32 v0, v0, v9, vcc
	v_cndmask_b32_e32 v4, v4, v8, vcc
	v_lshlrev_b32_e32 v8, 24, v5
	v_mov_b32_e32 v9, 0x3b800000
	v_lshlrev_b32_e32 v0, 20, v0
	v_and_b32_e32 v8, 0x80000000, v8
	v_lshl_add_u32 v4, v4, 23, v9
	v_or3_b32 v0, v8, v4, v0
.LBB15_1956:
	s_or_b64 exec, exec, s[6:7]
	s_movk_i32 s4, 0x7f
	v_cmp_gt_i16_sdwa s[6:7], v1, s4 src0_sel:BYTE_0 src1_sel:DWORD
	s_mov_b64 s[4:5], 0
                                        ; implicit-def: $sgpr10
	s_and_saveexec_b64 s[8:9], s[6:7]
	s_xor_b64 s[6:7], exec, s[8:9]
	s_cbranch_execnz .LBB15_4005
; %bb.1957:
	s_or_saveexec_b64 s[6:7], s[6:7]
	v_mov_b32_e32 v4, s10
	s_xor_b64 exec, exec, s[6:7]
	s_cbranch_execnz .LBB15_4008
.LBB15_1958:
	s_or_b64 exec, exec, s[6:7]
	s_and_saveexec_b64 s[6:7], s[4:5]
	s_cbranch_execz .LBB15_1960
.LBB15_1959:
	v_and_b32_e32 v4, 7, v1
	v_ffbh_u32_e32 v9, v4
	v_min_u32_e32 v9, 32, v9
	v_lshrrev_b16_e32 v8, 3, v1
	v_subrev_u32_e32 v10, 28, v9
	v_and_b32_e32 v8, 15, v8
	v_lshlrev_b32_e32 v10, v10, v1
	v_sub_u32_e32 v9, 29, v9
	v_and_b32_e32 v10, 7, v10
	v_cmp_eq_u16_e32 vcc, 0, v8
	v_cndmask_b32_e32 v4, v4, v10, vcc
	v_cndmask_b32_e32 v8, v8, v9, vcc
	v_lshlrev_b32_e32 v9, 24, v1
	v_mov_b32_e32 v10, 0x3b800000
	v_lshlrev_b32_e32 v4, 20, v4
	v_and_b32_e32 v9, 0x80000000, v9
	v_lshl_add_u32 v8, v8, 23, v10
	v_or3_b32 v4, v9, v8, v4
.LBB15_1960:
	s_or_b64 exec, exec, s[6:7]
	s_nop 0
	v_mfma_f32_16x16x4f32 a[0:3], v0, v4, a[0:3]
	v_lshrrev_b32_e32 v4, 8, v5
	s_movk_i32 s4, 0x7f
	v_cmp_gt_i16_sdwa s[6:7], v4, s4 src0_sel:BYTE_0 src1_sel:DWORD
	s_mov_b64 s[4:5], 0
                                        ; implicit-def: $sgpr10
	s_and_saveexec_b64 s[8:9], s[6:7]
	s_xor_b64 s[6:7], exec, s[8:9]
	s_cbranch_execnz .LBB15_4009
; %bb.1961:
	s_or_saveexec_b64 s[6:7], s[6:7]
	v_mov_b32_e32 v0, s10
	s_xor_b64 exec, exec, s[6:7]
	s_cbranch_execnz .LBB15_4012
.LBB15_1962:
	s_or_b64 exec, exec, s[6:7]
	s_and_saveexec_b64 s[6:7], s[4:5]
	s_cbranch_execz .LBB15_1964
.LBB15_1963:
	v_bfe_u32 v0, v5, 8, 3
	v_ffbh_u32_e32 v9, v0
	v_min_u32_e32 v9, 32, v9
	v_lshrrev_b16_e32 v8, 3, v4
	v_subrev_u32_e32 v10, 28, v9
	v_and_b32_e32 v8, 15, v8
	v_lshlrev_b32_e32 v4, v10, v4
	v_sub_u32_e32 v9, 29, v9
	v_and_b32_e32 v4, 7, v4
	v_cmp_eq_u16_e32 vcc, 0, v8
	v_cndmask_b32_e32 v0, v0, v4, vcc
	v_cndmask_b32_e32 v4, v8, v9, vcc
	v_lshlrev_b32_e32 v8, 16, v5
	v_mov_b32_e32 v9, 0x3b800000
	v_lshlrev_b32_e32 v0, 20, v0
	v_and_b32_e32 v8, 0x80000000, v8
	v_lshl_add_u32 v4, v4, 23, v9
	v_or3_b32 v0, v8, v4, v0
.LBB15_1964:
	s_or_b64 exec, exec, s[6:7]
	v_lshrrev_b32_e32 v4, 8, v1
	s_movk_i32 s4, 0x7f
	v_cmp_gt_i16_sdwa s[6:7], v4, s4 src0_sel:BYTE_0 src1_sel:DWORD
	s_mov_b64 s[4:5], 0
                                        ; implicit-def: $sgpr10
	s_and_saveexec_b64 s[8:9], s[6:7]
	s_xor_b64 s[6:7], exec, s[8:9]
	s_cbranch_execnz .LBB15_4013
; %bb.1965:
	s_or_saveexec_b64 s[6:7], s[6:7]
	v_mov_b32_e32 v8, s10
	s_xor_b64 exec, exec, s[6:7]
	s_cbranch_execnz .LBB15_4016
.LBB15_1966:
	s_or_b64 exec, exec, s[6:7]
	s_and_saveexec_b64 s[6:7], s[4:5]
	s_cbranch_execz .LBB15_1968
.LBB15_1967:
	v_bfe_u32 v8, v1, 8, 3
	v_ffbh_u32_e32 v10, v8
	v_min_u32_e32 v10, 32, v10
	v_lshrrev_b16_e32 v9, 3, v4
	v_subrev_u32_e32 v11, 28, v10
	v_and_b32_e32 v9, 15, v9
	v_lshlrev_b32_e32 v4, v11, v4
	v_sub_u32_e32 v10, 29, v10
	v_and_b32_e32 v4, 7, v4
	v_cmp_eq_u16_e32 vcc, 0, v9
	v_cndmask_b32_e32 v4, v8, v4, vcc
	v_cndmask_b32_e32 v8, v9, v10, vcc
	v_lshlrev_b32_e32 v9, 16, v1
	v_mov_b32_e32 v10, 0x3b800000
	v_lshlrev_b32_e32 v4, 20, v4
	v_and_b32_e32 v9, 0x80000000, v9
	v_lshl_add_u32 v8, v8, 23, v10
	v_or3_b32 v8, v9, v8, v4
.LBB15_1968:
	s_or_b64 exec, exec, s[6:7]
	s_nop 0
	v_mfma_f32_16x16x4f32 a[0:3], v0, v8, a[0:3]
	s_movk_i32 s4, 0xff
	v_and_b32_sdwa v4, v5, s4 dst_sel:DWORD dst_unused:UNUSED_PAD src0_sel:WORD_1 src1_sel:DWORD
	s_movk_i32 s4, 0x7f
	v_cmp_lt_i16_e32 vcc, s4, v4
	s_mov_b64 s[4:5], 0
                                        ; implicit-def: $sgpr10
	s_and_saveexec_b64 s[6:7], vcc
	s_xor_b64 s[6:7], exec, s[6:7]
	s_cbranch_execnz .LBB15_4017
; %bb.1969:
	s_or_saveexec_b64 s[6:7], s[6:7]
	v_mov_b32_e32 v0, s10
	s_xor_b64 exec, exec, s[6:7]
	s_cbranch_execnz .LBB15_4020
.LBB15_1970:
	s_or_b64 exec, exec, s[6:7]
	s_and_saveexec_b64 s[6:7], s[4:5]
	s_cbranch_execz .LBB15_1972
.LBB15_1971:
	v_bfe_u32 v0, v5, 16, 3
	v_ffbh_u32_e32 v9, v0
	v_min_u32_e32 v9, 32, v9
	v_lshrrev_b32_e32 v4, 19, v5
	v_subrev_u32_e32 v10, 28, v9
	v_and_b32_e32 v4, 15, v4
	v_lshlrev_b32_sdwa v10, v10, v5 dst_sel:DWORD dst_unused:UNUSED_PAD src0_sel:DWORD src1_sel:WORD_1
	v_bfe_u32 v8, v5, 19, 4
	v_sub_u32_e32 v9, 29, v9
	v_and_b32_e32 v10, 7, v10
	v_cmp_eq_u16_e32 vcc, 0, v4
	v_cndmask_b32_e32 v0, v0, v10, vcc
	v_cndmask_b32_e32 v4, v8, v9, vcc
	v_lshlrev_b32_e32 v8, 8, v5
	v_mov_b32_e32 v9, 0x3b800000
	v_lshlrev_b32_e32 v0, 20, v0
	v_and_b32_e32 v8, 0x80000000, v8
	v_lshl_add_u32 v4, v4, 23, v9
	v_or3_b32 v0, v8, v4, v0
.LBB15_1972:
	s_or_b64 exec, exec, s[6:7]
	s_movk_i32 s4, 0xff
	v_and_b32_sdwa v4, v1, s4 dst_sel:DWORD dst_unused:UNUSED_PAD src0_sel:WORD_1 src1_sel:DWORD
	s_movk_i32 s4, 0x7f
	v_cmp_lt_i16_e32 vcc, s4, v4
	s_mov_b64 s[4:5], 0
                                        ; implicit-def: $sgpr10
	s_and_saveexec_b64 s[6:7], vcc
	s_xor_b64 s[6:7], exec, s[6:7]
	s_cbranch_execnz .LBB15_4021
; %bb.1973:
	s_or_saveexec_b64 s[6:7], s[6:7]
	v_mov_b32_e32 v8, s10
	s_xor_b64 exec, exec, s[6:7]
	s_cbranch_execnz .LBB15_4024
.LBB15_1974:
	s_or_b64 exec, exec, s[6:7]
	s_and_saveexec_b64 s[6:7], s[4:5]
	s_cbranch_execz .LBB15_1976
.LBB15_1975:
	v_bfe_u32 v4, v1, 16, 3
	v_ffbh_u32_e32 v10, v4
	v_min_u32_e32 v10, 32, v10
	v_lshrrev_b32_e32 v8, 19, v1
	v_subrev_u32_e32 v11, 28, v10
	v_and_b32_e32 v8, 15, v8
	v_lshlrev_b32_sdwa v11, v11, v1 dst_sel:DWORD dst_unused:UNUSED_PAD src0_sel:DWORD src1_sel:WORD_1
	v_bfe_u32 v9, v1, 19, 4
	v_sub_u32_e32 v10, 29, v10
	v_and_b32_e32 v11, 7, v11
	v_cmp_eq_u16_e32 vcc, 0, v8
	v_cndmask_b32_e32 v4, v4, v11, vcc
	v_cndmask_b32_e32 v8, v9, v10, vcc
	v_lshlrev_b32_e32 v9, 8, v1
	v_mov_b32_e32 v10, 0x3b800000
	v_lshlrev_b32_e32 v4, 20, v4
	v_and_b32_e32 v9, 0x80000000, v9
	v_lshl_add_u32 v8, v8, 23, v10
	v_or3_b32 v8, v9, v8, v4
.LBB15_1976:
	s_or_b64 exec, exec, s[6:7]
	s_nop 0
	v_mfma_f32_16x16x4f32 a[0:3], v0, v8, a[0:3]
	s_movk_i32 s4, 0x7f
	v_cmp_gt_i16_sdwa s[6:7], v5, s4 src0_sel:BYTE_3 src1_sel:DWORD
	s_mov_b64 s[4:5], 0
                                        ; implicit-def: $sgpr10
	s_and_saveexec_b64 s[8:9], s[6:7]
	s_xor_b64 s[6:7], exec, s[8:9]
	s_cbranch_execnz .LBB15_4025
; %bb.1977:
	s_or_saveexec_b64 s[6:7], s[6:7]
	v_mov_b32_e32 v0, s10
	s_xor_b64 exec, exec, s[6:7]
	s_cbranch_execnz .LBB15_4028
.LBB15_1978:
	s_or_b64 exec, exec, s[6:7]
	s_and_saveexec_b64 s[6:7], s[4:5]
	s_cbranch_execz .LBB15_1980
.LBB15_1979:
	v_bfe_u32 v0, v5, 24, 3
	v_ffbh_u32_e32 v10, v0
	v_min_u32_e32 v10, 32, v10
	v_lshrrev_b32_e32 v8, 27, v5
	v_subrev_u32_e32 v11, 28, v10
	v_and_b32_e32 v4, 0x80000000, v5
	v_and_b32_e32 v8, 15, v8
	v_bfe_u32 v9, v5, 27, 4
	v_lshlrev_b32_sdwa v5, v11, v5 dst_sel:DWORD dst_unused:UNUSED_PAD src0_sel:DWORD src1_sel:BYTE_3
	v_sub_u32_e32 v10, 29, v10
	v_and_b32_e32 v5, 7, v5
	v_cmp_eq_u16_e32 vcc, 0, v8
	v_cndmask_b32_e32 v0, v0, v5, vcc
	v_cndmask_b32_e32 v5, v9, v10, vcc
	v_mov_b32_e32 v8, 0x3b800000
	v_lshlrev_b32_e32 v0, 20, v0
	v_lshl_add_u32 v5, v5, 23, v8
	v_or3_b32 v0, v4, v5, v0
.LBB15_1980:
	s_or_b64 exec, exec, s[6:7]
	s_movk_i32 s4, 0x7f
	v_cmp_gt_i16_sdwa s[6:7], v1, s4 src0_sel:BYTE_3 src1_sel:DWORD
	s_mov_b64 s[4:5], 0
                                        ; implicit-def: $sgpr10
	s_and_saveexec_b64 s[8:9], s[6:7]
	s_xor_b64 s[6:7], exec, s[8:9]
	s_cbranch_execnz .LBB15_4029
; %bb.1981:
	s_or_saveexec_b64 s[6:7], s[6:7]
	v_mov_b32_e32 v4, s10
	s_xor_b64 exec, exec, s[6:7]
	s_cbranch_execnz .LBB15_4032
.LBB15_1982:
	s_or_b64 exec, exec, s[6:7]
	s_and_saveexec_b64 s[6:7], s[4:5]
	s_cbranch_execz .LBB15_1984
.LBB15_1983:
	v_bfe_u32 v4, v1, 24, 3
	v_ffbh_u32_e32 v10, v4
	v_min_u32_e32 v10, 32, v10
	v_lshrrev_b32_e32 v8, 27, v1
	v_subrev_u32_e32 v11, 28, v10
	v_and_b32_e32 v5, 0x80000000, v1
	v_and_b32_e32 v8, 15, v8
	v_bfe_u32 v9, v1, 27, 4
	v_lshlrev_b32_sdwa v1, v11, v1 dst_sel:DWORD dst_unused:UNUSED_PAD src0_sel:DWORD src1_sel:BYTE_3
	v_sub_u32_e32 v10, 29, v10
	v_and_b32_e32 v1, 7, v1
	v_cmp_eq_u16_e32 vcc, 0, v8
	v_cndmask_b32_e32 v1, v4, v1, vcc
	v_cndmask_b32_e32 v4, v9, v10, vcc
	v_mov_b32_e32 v8, 0x3b800000
	v_lshlrev_b32_e32 v1, 20, v1
	v_lshl_add_u32 v4, v4, 23, v8
	v_or3_b32 v4, v5, v4, v1
.LBB15_1984:
	s_or_b64 exec, exec, s[6:7]
	s_nop 0
	v_mfma_f32_16x16x4f32 a[0:3], v0, v4, a[0:3]
	s_movk_i32 s4, 0x7f
	v_cmp_gt_i16_sdwa s[6:7], v6, s4 src0_sel:BYTE_0 src1_sel:DWORD
	s_mov_b64 s[4:5], 0
                                        ; implicit-def: $sgpr10
	s_and_saveexec_b64 s[8:9], s[6:7]
	s_xor_b64 s[6:7], exec, s[8:9]
	s_cbranch_execnz .LBB15_4033
; %bb.1985:
	s_or_saveexec_b64 s[6:7], s[6:7]
	v_mov_b32_e32 v0, s10
	s_xor_b64 exec, exec, s[6:7]
	s_cbranch_execnz .LBB15_4036
.LBB15_1986:
	s_or_b64 exec, exec, s[6:7]
	s_and_saveexec_b64 s[6:7], s[4:5]
	s_cbranch_execz .LBB15_1988
.LBB15_1987:
	v_and_b32_e32 v0, 7, v6
	v_ffbh_u32_e32 v4, v0
	v_min_u32_e32 v4, 32, v4
	v_lshrrev_b16_e32 v1, 3, v6
	v_subrev_u32_e32 v5, 28, v4
	v_and_b32_e32 v1, 15, v1
	v_lshlrev_b32_e32 v5, v5, v6
	v_sub_u32_e32 v4, 29, v4
	v_and_b32_e32 v5, 7, v5
	v_cmp_eq_u16_e32 vcc, 0, v1
	v_cndmask_b32_e32 v0, v0, v5, vcc
	v_cndmask_b32_e32 v1, v1, v4, vcc
	v_lshlrev_b32_e32 v4, 24, v6
	v_mov_b32_e32 v5, 0x3b800000
	v_lshlrev_b32_e32 v0, 20, v0
	v_and_b32_e32 v4, 0x80000000, v4
	v_lshl_add_u32 v1, v1, 23, v5
	v_or3_b32 v0, v4, v1, v0
.LBB15_1988:
	s_or_b64 exec, exec, s[6:7]
	s_movk_i32 s4, 0x7f
	v_cmp_gt_i16_sdwa s[6:7], v2, s4 src0_sel:BYTE_0 src1_sel:DWORD
	s_mov_b64 s[4:5], 0
                                        ; implicit-def: $sgpr10
	s_and_saveexec_b64 s[8:9], s[6:7]
	s_xor_b64 s[6:7], exec, s[8:9]
	s_cbranch_execnz .LBB15_4037
; %bb.1989:
	s_or_saveexec_b64 s[6:7], s[6:7]
	v_mov_b32_e32 v1, s10
	s_xor_b64 exec, exec, s[6:7]
	s_cbranch_execnz .LBB15_4040
.LBB15_1990:
	s_or_b64 exec, exec, s[6:7]
	s_and_saveexec_b64 s[6:7], s[4:5]
	s_cbranch_execz .LBB15_1992
.LBB15_1991:
	v_and_b32_e32 v1, 7, v2
	v_ffbh_u32_e32 v5, v1
	v_min_u32_e32 v5, 32, v5
	v_lshrrev_b16_e32 v4, 3, v2
	v_subrev_u32_e32 v8, 28, v5
	v_and_b32_e32 v4, 15, v4
	v_lshlrev_b32_e32 v8, v8, v2
	v_sub_u32_e32 v5, 29, v5
	v_and_b32_e32 v8, 7, v8
	v_cmp_eq_u16_e32 vcc, 0, v4
	v_cndmask_b32_e32 v1, v1, v8, vcc
	v_cndmask_b32_e32 v4, v4, v5, vcc
	v_lshlrev_b32_e32 v5, 24, v2
	v_mov_b32_e32 v8, 0x3b800000
	v_lshlrev_b32_e32 v1, 20, v1
	v_and_b32_e32 v5, 0x80000000, v5
	v_lshl_add_u32 v4, v4, 23, v8
	v_or3_b32 v1, v5, v4, v1
.LBB15_1992:
	s_or_b64 exec, exec, s[6:7]
	s_nop 0
	v_mfma_f32_16x16x4f32 a[0:3], v0, v1, a[0:3]
	v_lshrrev_b32_e32 v1, 8, v6
	s_movk_i32 s4, 0x7f
	v_cmp_gt_i16_sdwa s[6:7], v1, s4 src0_sel:BYTE_0 src1_sel:DWORD
	s_mov_b64 s[4:5], 0
                                        ; implicit-def: $sgpr10
	s_and_saveexec_b64 s[8:9], s[6:7]
	s_xor_b64 s[6:7], exec, s[8:9]
	s_cbranch_execnz .LBB15_4041
; %bb.1993:
	s_or_saveexec_b64 s[6:7], s[6:7]
	v_mov_b32_e32 v0, s10
	s_xor_b64 exec, exec, s[6:7]
	s_cbranch_execnz .LBB15_4044
.LBB15_1994:
	s_or_b64 exec, exec, s[6:7]
	s_and_saveexec_b64 s[6:7], s[4:5]
	s_cbranch_execz .LBB15_1996
.LBB15_1995:
	v_bfe_u32 v0, v6, 8, 3
	v_ffbh_u32_e32 v5, v0
	v_min_u32_e32 v5, 32, v5
	v_lshrrev_b16_e32 v4, 3, v1
	v_subrev_u32_e32 v8, 28, v5
	v_and_b32_e32 v4, 15, v4
	v_lshlrev_b32_e32 v1, v8, v1
	v_sub_u32_e32 v5, 29, v5
	v_and_b32_e32 v1, 7, v1
	v_cmp_eq_u16_e32 vcc, 0, v4
	v_cndmask_b32_e32 v0, v0, v1, vcc
	v_cndmask_b32_e32 v1, v4, v5, vcc
	v_lshlrev_b32_e32 v4, 16, v6
	v_mov_b32_e32 v5, 0x3b800000
	v_lshlrev_b32_e32 v0, 20, v0
	v_and_b32_e32 v4, 0x80000000, v4
	v_lshl_add_u32 v1, v1, 23, v5
	v_or3_b32 v0, v4, v1, v0
.LBB15_1996:
	s_or_b64 exec, exec, s[6:7]
	v_lshrrev_b32_e32 v1, 8, v2
	s_movk_i32 s4, 0x7f
	v_cmp_gt_i16_sdwa s[6:7], v1, s4 src0_sel:BYTE_0 src1_sel:DWORD
	s_mov_b64 s[4:5], 0
                                        ; implicit-def: $sgpr10
	s_and_saveexec_b64 s[8:9], s[6:7]
	s_xor_b64 s[6:7], exec, s[8:9]
	s_cbranch_execnz .LBB15_4045
; %bb.1997:
	s_or_saveexec_b64 s[6:7], s[6:7]
	v_mov_b32_e32 v4, s10
	s_xor_b64 exec, exec, s[6:7]
	s_cbranch_execnz .LBB15_4048
.LBB15_1998:
	s_or_b64 exec, exec, s[6:7]
	s_and_saveexec_b64 s[6:7], s[4:5]
	s_cbranch_execz .LBB15_2000
.LBB15_1999:
	v_bfe_u32 v4, v2, 8, 3
	v_ffbh_u32_e32 v8, v4
	v_min_u32_e32 v8, 32, v8
	v_lshrrev_b16_e32 v5, 3, v1
	v_subrev_u32_e32 v9, 28, v8
	v_and_b32_e32 v5, 15, v5
	v_lshlrev_b32_e32 v1, v9, v1
	v_sub_u32_e32 v8, 29, v8
	v_and_b32_e32 v1, 7, v1
	v_cmp_eq_u16_e32 vcc, 0, v5
	v_cndmask_b32_e32 v1, v4, v1, vcc
	v_cndmask_b32_e32 v4, v5, v8, vcc
	v_lshlrev_b32_e32 v5, 16, v2
	v_mov_b32_e32 v8, 0x3b800000
	v_lshlrev_b32_e32 v1, 20, v1
	v_and_b32_e32 v5, 0x80000000, v5
	v_lshl_add_u32 v4, v4, 23, v8
	v_or3_b32 v4, v5, v4, v1
.LBB15_2000:
	s_or_b64 exec, exec, s[6:7]
	s_nop 0
	v_mfma_f32_16x16x4f32 a[0:3], v0, v4, a[0:3]
	s_movk_i32 s4, 0xff
	v_and_b32_sdwa v1, v6, s4 dst_sel:DWORD dst_unused:UNUSED_PAD src0_sel:WORD_1 src1_sel:DWORD
	s_movk_i32 s4, 0x7f
	v_cmp_lt_i16_e32 vcc, s4, v1
	s_mov_b64 s[4:5], 0
                                        ; implicit-def: $sgpr10
	s_and_saveexec_b64 s[6:7], vcc
	s_xor_b64 s[6:7], exec, s[6:7]
	s_cbranch_execnz .LBB15_4049
; %bb.2001:
	s_or_saveexec_b64 s[6:7], s[6:7]
	v_mov_b32_e32 v0, s10
	s_xor_b64 exec, exec, s[6:7]
	s_cbranch_execnz .LBB15_4052
.LBB15_2002:
	s_or_b64 exec, exec, s[6:7]
	s_and_saveexec_b64 s[6:7], s[4:5]
	s_cbranch_execz .LBB15_2004
.LBB15_2003:
	v_bfe_u32 v0, v6, 16, 3
	v_ffbh_u32_e32 v5, v0
	v_min_u32_e32 v5, 32, v5
	v_lshrrev_b32_e32 v1, 19, v6
	v_subrev_u32_e32 v8, 28, v5
	v_and_b32_e32 v1, 15, v1
	v_lshlrev_b32_sdwa v8, v8, v6 dst_sel:DWORD dst_unused:UNUSED_PAD src0_sel:DWORD src1_sel:WORD_1
	v_bfe_u32 v4, v6, 19, 4
	v_sub_u32_e32 v5, 29, v5
	v_and_b32_e32 v8, 7, v8
	v_cmp_eq_u16_e32 vcc, 0, v1
	v_cndmask_b32_e32 v0, v0, v8, vcc
	v_cndmask_b32_e32 v1, v4, v5, vcc
	v_lshlrev_b32_e32 v4, 8, v6
	v_mov_b32_e32 v5, 0x3b800000
	v_lshlrev_b32_e32 v0, 20, v0
	v_and_b32_e32 v4, 0x80000000, v4
	v_lshl_add_u32 v1, v1, 23, v5
	v_or3_b32 v0, v4, v1, v0
.LBB15_2004:
	s_or_b64 exec, exec, s[6:7]
	s_movk_i32 s4, 0xff
	v_and_b32_sdwa v1, v2, s4 dst_sel:DWORD dst_unused:UNUSED_PAD src0_sel:WORD_1 src1_sel:DWORD
	s_movk_i32 s4, 0x7f
	v_cmp_lt_i16_e32 vcc, s4, v1
	s_mov_b64 s[4:5], 0
                                        ; implicit-def: $sgpr10
	s_and_saveexec_b64 s[6:7], vcc
	s_xor_b64 s[6:7], exec, s[6:7]
	s_cbranch_execnz .LBB15_4053
; %bb.2005:
	s_or_saveexec_b64 s[6:7], s[6:7]
	v_mov_b32_e32 v4, s10
	s_xor_b64 exec, exec, s[6:7]
	s_cbranch_execnz .LBB15_4056
.LBB15_2006:
	s_or_b64 exec, exec, s[6:7]
	s_and_saveexec_b64 s[6:7], s[4:5]
	s_cbranch_execz .LBB15_2008
.LBB15_2007:
	v_bfe_u32 v1, v2, 16, 3
	v_ffbh_u32_e32 v8, v1
	v_min_u32_e32 v8, 32, v8
	v_lshrrev_b32_e32 v4, 19, v2
	v_subrev_u32_e32 v9, 28, v8
	v_and_b32_e32 v4, 15, v4
	v_lshlrev_b32_sdwa v9, v9, v2 dst_sel:DWORD dst_unused:UNUSED_PAD src0_sel:DWORD src1_sel:WORD_1
	v_bfe_u32 v5, v2, 19, 4
	v_sub_u32_e32 v8, 29, v8
	v_and_b32_e32 v9, 7, v9
	v_cmp_eq_u16_e32 vcc, 0, v4
	v_cndmask_b32_e32 v1, v1, v9, vcc
	v_cndmask_b32_e32 v4, v5, v8, vcc
	v_lshlrev_b32_e32 v5, 8, v2
	v_mov_b32_e32 v8, 0x3b800000
	v_lshlrev_b32_e32 v1, 20, v1
	v_and_b32_e32 v5, 0x80000000, v5
	v_lshl_add_u32 v4, v4, 23, v8
	v_or3_b32 v4, v5, v4, v1
.LBB15_2008:
	s_or_b64 exec, exec, s[6:7]
	s_nop 0
	v_mfma_f32_16x16x4f32 a[0:3], v0, v4, a[0:3]
	s_movk_i32 s4, 0x7f
	v_cmp_gt_i16_sdwa s[6:7], v6, s4 src0_sel:BYTE_3 src1_sel:DWORD
	s_mov_b64 s[4:5], 0
                                        ; implicit-def: $sgpr10
	s_and_saveexec_b64 s[8:9], s[6:7]
	s_xor_b64 s[6:7], exec, s[8:9]
	s_cbranch_execnz .LBB15_4057
; %bb.2009:
	s_or_saveexec_b64 s[6:7], s[6:7]
	v_mov_b32_e32 v0, s10
	s_xor_b64 exec, exec, s[6:7]
	s_cbranch_execnz .LBB15_4060
.LBB15_2010:
	s_or_b64 exec, exec, s[6:7]
	s_and_saveexec_b64 s[6:7], s[4:5]
	s_cbranch_execz .LBB15_2012
.LBB15_2011:
	v_bfe_u32 v0, v6, 24, 3
	v_ffbh_u32_e32 v8, v0
	v_min_u32_e32 v8, 32, v8
	v_lshrrev_b32_e32 v4, 27, v6
	v_subrev_u32_e32 v9, 28, v8
	v_and_b32_e32 v1, 0x80000000, v6
	v_and_b32_e32 v4, 15, v4
	v_bfe_u32 v5, v6, 27, 4
	v_lshlrev_b32_sdwa v6, v9, v6 dst_sel:DWORD dst_unused:UNUSED_PAD src0_sel:DWORD src1_sel:BYTE_3
	v_sub_u32_e32 v8, 29, v8
	v_and_b32_e32 v6, 7, v6
	v_cmp_eq_u16_e32 vcc, 0, v4
	v_cndmask_b32_e32 v0, v0, v6, vcc
	v_cndmask_b32_e32 v4, v5, v8, vcc
	v_mov_b32_e32 v5, 0x3b800000
	v_lshlrev_b32_e32 v0, 20, v0
	v_lshl_add_u32 v4, v4, 23, v5
	v_or3_b32 v0, v1, v4, v0
.LBB15_2012:
	s_or_b64 exec, exec, s[6:7]
	s_movk_i32 s4, 0x7f
	v_cmp_gt_i16_sdwa s[6:7], v2, s4 src0_sel:BYTE_3 src1_sel:DWORD
	s_mov_b64 s[4:5], 0
                                        ; implicit-def: $sgpr10
	s_and_saveexec_b64 s[8:9], s[6:7]
	s_xor_b64 s[6:7], exec, s[8:9]
	s_cbranch_execnz .LBB15_4061
; %bb.2013:
	s_or_saveexec_b64 s[6:7], s[6:7]
	v_mov_b32_e32 v1, s10
	s_xor_b64 exec, exec, s[6:7]
	s_cbranch_execnz .LBB15_4064
.LBB15_2014:
	s_or_b64 exec, exec, s[6:7]
	s_and_saveexec_b64 s[6:7], s[4:5]
	s_cbranch_execz .LBB15_2016
.LBB15_2015:
	v_bfe_u32 v1, v2, 24, 3
	v_ffbh_u32_e32 v8, v1
	v_min_u32_e32 v8, 32, v8
	v_lshrrev_b32_e32 v5, 27, v2
	v_subrev_u32_e32 v9, 28, v8
	v_and_b32_e32 v4, 0x80000000, v2
	v_and_b32_e32 v5, 15, v5
	v_bfe_u32 v6, v2, 27, 4
	v_lshlrev_b32_sdwa v2, v9, v2 dst_sel:DWORD dst_unused:UNUSED_PAD src0_sel:DWORD src1_sel:BYTE_3
	v_sub_u32_e32 v8, 29, v8
	v_and_b32_e32 v2, 7, v2
	v_cmp_eq_u16_e32 vcc, 0, v5
	v_cndmask_b32_e32 v1, v1, v2, vcc
	v_cndmask_b32_e32 v2, v6, v8, vcc
	v_mov_b32_e32 v5, 0x3b800000
	v_lshlrev_b32_e32 v1, 20, v1
	v_lshl_add_u32 v2, v2, 23, v5
	v_or3_b32 v1, v4, v2, v1
.LBB15_2016:
	s_or_b64 exec, exec, s[6:7]
	s_nop 0
	v_mfma_f32_16x16x4f32 a[0:3], v0, v1, a[0:3]
	s_movk_i32 s4, 0x7f
	v_cmp_gt_i16_sdwa s[6:7], v7, s4 src0_sel:BYTE_0 src1_sel:DWORD
	s_mov_b64 s[4:5], 0
                                        ; implicit-def: $sgpr10
	s_and_saveexec_b64 s[8:9], s[6:7]
	s_xor_b64 s[6:7], exec, s[8:9]
	s_cbranch_execnz .LBB15_4065
; %bb.2017:
	s_or_saveexec_b64 s[6:7], s[6:7]
	v_mov_b32_e32 v0, s10
	s_xor_b64 exec, exec, s[6:7]
	s_cbranch_execnz .LBB15_4068
.LBB15_2018:
	s_or_b64 exec, exec, s[6:7]
	s_and_saveexec_b64 s[6:7], s[4:5]
	s_cbranch_execz .LBB15_2020
.LBB15_2019:
	v_mov_b32_e32 v0, 8
	v_and_b32_e32 v1, 7, v7
	v_lshrrev_b32_sdwa v0, v0, v7 dst_sel:BYTE_1 dst_unused:UNUSED_PAD src0_sel:DWORD src1_sel:DWORD
	v_ffbh_u32_e32 v2, v1
	v_or_b32_sdwa v0, v7, v0 dst_sel:DWORD dst_unused:UNUSED_PAD src0_sel:BYTE_0 src1_sel:DWORD
	v_min_u32_e32 v2, 32, v2
	v_lshrrev_b16_e32 v0, 3, v0
	v_subrev_u32_e32 v4, 28, v2
	v_and_b32_e32 v0, 15, v0
	v_lshlrev_b32_e32 v4, v4, v7
	v_sub_u32_e32 v2, 29, v2
	v_and_b32_e32 v4, 7, v4
	v_cmp_eq_u16_e32 vcc, 0, v0
	v_cndmask_b32_e32 v1, v1, v4, vcc
	v_cndmask_b32_e32 v0, v0, v2, vcc
	v_lshlrev_b32_e32 v2, 24, v7
	v_mov_b32_e32 v4, 0x3b800000
	v_lshlrev_b32_e32 v1, 20, v1
	v_and_b32_e32 v2, 0x80000000, v2
	v_lshl_add_u32 v0, v0, 23, v4
	v_or3_b32 v0, v2, v0, v1
.LBB15_2020:
	s_or_b64 exec, exec, s[6:7]
	s_movk_i32 s4, 0x7f
	v_cmp_gt_i16_sdwa s[6:7], v3, s4 src0_sel:BYTE_0 src1_sel:DWORD
	s_mov_b64 s[4:5], 0
                                        ; implicit-def: $sgpr10
	s_and_saveexec_b64 s[8:9], s[6:7]
	s_xor_b64 s[6:7], exec, s[8:9]
	s_cbranch_execnz .LBB15_4069
; %bb.2021:
	s_or_saveexec_b64 s[6:7], s[6:7]
	v_mov_b32_e32 v1, s10
	s_xor_b64 exec, exec, s[6:7]
	s_cbranch_execnz .LBB15_4072
.LBB15_2022:
	s_or_b64 exec, exec, s[6:7]
	s_and_saveexec_b64 s[6:7], s[4:5]
	s_cbranch_execz .LBB15_2024
.LBB15_2023:
	v_mov_b32_e32 v1, 8
	v_and_b32_e32 v2, 7, v3
	v_lshrrev_b32_sdwa v1, v1, v3 dst_sel:BYTE_1 dst_unused:UNUSED_PAD src0_sel:DWORD src1_sel:DWORD
	v_ffbh_u32_e32 v4, v2
	v_or_b32_sdwa v1, v3, v1 dst_sel:DWORD dst_unused:UNUSED_PAD src0_sel:BYTE_0 src1_sel:DWORD
	v_min_u32_e32 v4, 32, v4
	v_lshrrev_b16_e32 v1, 3, v1
	v_subrev_u32_e32 v5, 28, v4
	v_and_b32_e32 v1, 15, v1
	v_lshlrev_b32_e32 v5, v5, v3
	v_sub_u32_e32 v4, 29, v4
	v_and_b32_e32 v5, 7, v5
	v_cmp_eq_u16_e32 vcc, 0, v1
	v_cndmask_b32_e32 v2, v2, v5, vcc
	v_cndmask_b32_e32 v1, v1, v4, vcc
	v_lshlrev_b32_e32 v4, 24, v3
	v_mov_b32_e32 v5, 0x3b800000
	v_lshlrev_b32_e32 v2, 20, v2
	v_and_b32_e32 v4, 0x80000000, v4
	v_lshl_add_u32 v1, v1, 23, v5
	v_or3_b32 v1, v4, v1, v2
.LBB15_2024:
	s_or_b64 exec, exec, s[6:7]
	s_nop 0
	v_mfma_f32_16x16x4f32 a[0:3], v0, v1, a[0:3]
	v_lshrrev_b32_e32 v1, 8, v7
	s_movk_i32 s4, 0x7f
	v_cmp_gt_i16_sdwa s[6:7], v1, s4 src0_sel:BYTE_0 src1_sel:DWORD
	s_mov_b64 s[4:5], 0
                                        ; implicit-def: $sgpr10
	s_and_saveexec_b64 s[8:9], s[6:7]
	s_xor_b64 s[6:7], exec, s[8:9]
	s_cbranch_execnz .LBB15_4073
; %bb.2025:
	s_or_saveexec_b64 s[6:7], s[6:7]
	v_mov_b32_e32 v0, s10
	s_xor_b64 exec, exec, s[6:7]
	s_cbranch_execnz .LBB15_4076
.LBB15_2026:
	s_or_b64 exec, exec, s[6:7]
	s_and_saveexec_b64 s[6:7], s[4:5]
	s_cbranch_execz .LBB15_2028
.LBB15_2027:
	v_bfe_u32 v0, v7, 8, 3
	v_ffbh_u32_e32 v4, v0
	v_min_u32_e32 v4, 32, v4
	v_lshrrev_b16_e32 v2, 3, v1
	v_subrev_u32_e32 v5, 28, v4
	v_and_b32_e32 v2, 15, v2
	v_lshlrev_b32_e32 v1, v5, v1
	v_sub_u32_e32 v4, 29, v4
	v_and_b32_e32 v1, 7, v1
	v_cmp_eq_u16_e32 vcc, 0, v2
	v_cndmask_b32_e32 v0, v0, v1, vcc
	v_cndmask_b32_e32 v1, v2, v4, vcc
	v_lshlrev_b32_e32 v2, 16, v7
	v_mov_b32_e32 v4, 0x3b800000
	v_lshlrev_b32_e32 v0, 20, v0
	v_and_b32_e32 v2, 0x80000000, v2
	v_lshl_add_u32 v1, v1, 23, v4
	v_or3_b32 v0, v2, v1, v0
.LBB15_2028:
	s_or_b64 exec, exec, s[6:7]
	v_lshrrev_b32_e32 v1, 8, v3
	s_movk_i32 s4, 0x7f
	v_cmp_gt_i16_sdwa s[6:7], v1, s4 src0_sel:BYTE_0 src1_sel:DWORD
	s_mov_b64 s[4:5], 0
                                        ; implicit-def: $sgpr10
	s_and_saveexec_b64 s[8:9], s[6:7]
	s_xor_b64 s[6:7], exec, s[8:9]
	s_cbranch_execnz .LBB15_4077
; %bb.2029:
	s_or_saveexec_b64 s[6:7], s[6:7]
	v_mov_b32_e32 v2, s10
	s_xor_b64 exec, exec, s[6:7]
	s_cbranch_execnz .LBB15_4080
.LBB15_2030:
	s_or_b64 exec, exec, s[6:7]
	s_and_saveexec_b64 s[6:7], s[4:5]
	s_cbranch_execz .LBB15_2032
.LBB15_2031:
	v_bfe_u32 v2, v3, 8, 3
	v_ffbh_u32_e32 v5, v2
	v_min_u32_e32 v5, 32, v5
	v_lshrrev_b16_e32 v4, 3, v1
	v_subrev_u32_e32 v6, 28, v5
	v_and_b32_e32 v4, 15, v4
	v_lshlrev_b32_e32 v1, v6, v1
	v_sub_u32_e32 v5, 29, v5
	v_and_b32_e32 v1, 7, v1
	v_cmp_eq_u16_e32 vcc, 0, v4
	v_cndmask_b32_e32 v1, v2, v1, vcc
	v_cndmask_b32_e32 v2, v4, v5, vcc
	v_lshlrev_b32_e32 v4, 16, v3
	v_mov_b32_e32 v5, 0x3b800000
	v_lshlrev_b32_e32 v1, 20, v1
	v_and_b32_e32 v4, 0x80000000, v4
	v_lshl_add_u32 v2, v2, 23, v5
	v_or3_b32 v2, v4, v2, v1
.LBB15_2032:
	s_or_b64 exec, exec, s[6:7]
	s_nop 0
	v_mfma_f32_16x16x4f32 a[0:3], v0, v2, a[0:3]
	s_movk_i32 s4, 0xff
	v_and_b32_sdwa v1, v7, s4 dst_sel:DWORD dst_unused:UNUSED_PAD src0_sel:WORD_1 src1_sel:DWORD
	s_movk_i32 s4, 0x7f
	v_cmp_lt_i16_e32 vcc, s4, v1
	s_mov_b64 s[4:5], 0
                                        ; implicit-def: $sgpr10
	s_and_saveexec_b64 s[6:7], vcc
	s_xor_b64 s[6:7], exec, s[6:7]
	s_cbranch_execnz .LBB15_4081
; %bb.2033:
	s_or_saveexec_b64 s[6:7], s[6:7]
	v_mov_b32_e32 v0, s10
	s_xor_b64 exec, exec, s[6:7]
	s_cbranch_execnz .LBB15_4084
.LBB15_2034:
	s_or_b64 exec, exec, s[6:7]
	s_and_saveexec_b64 s[6:7], s[4:5]
	s_cbranch_execz .LBB15_2036
.LBB15_2035:
	v_bfe_u32 v0, v7, 16, 3
	v_ffbh_u32_e32 v4, v0
	v_min_u32_e32 v4, 32, v4
	v_lshrrev_b32_e32 v1, 19, v7
	v_subrev_u32_e32 v5, 28, v4
	v_and_b32_e32 v1, 15, v1
	v_lshlrev_b32_sdwa v5, v5, v7 dst_sel:DWORD dst_unused:UNUSED_PAD src0_sel:DWORD src1_sel:WORD_1
	v_bfe_u32 v2, v7, 19, 4
	v_sub_u32_e32 v4, 29, v4
	v_and_b32_e32 v5, 7, v5
	v_cmp_eq_u16_e32 vcc, 0, v1
	v_cndmask_b32_e32 v0, v0, v5, vcc
	v_cndmask_b32_e32 v1, v2, v4, vcc
	v_lshlrev_b32_e32 v2, 8, v7
	v_mov_b32_e32 v4, 0x3b800000
	v_lshlrev_b32_e32 v0, 20, v0
	v_and_b32_e32 v2, 0x80000000, v2
	v_lshl_add_u32 v1, v1, 23, v4
	v_or3_b32 v0, v2, v1, v0
.LBB15_2036:
	s_or_b64 exec, exec, s[6:7]
	s_movk_i32 s4, 0xff
	v_and_b32_sdwa v1, v3, s4 dst_sel:DWORD dst_unused:UNUSED_PAD src0_sel:WORD_1 src1_sel:DWORD
	s_movk_i32 s4, 0x7f
	v_cmp_lt_i16_e32 vcc, s4, v1
	s_mov_b64 s[4:5], 0
                                        ; implicit-def: $sgpr10
	s_and_saveexec_b64 s[6:7], vcc
	s_xor_b64 s[6:7], exec, s[6:7]
	s_cbranch_execnz .LBB15_4085
; %bb.2037:
	s_or_saveexec_b64 s[6:7], s[6:7]
	v_mov_b32_e32 v2, s10
	s_xor_b64 exec, exec, s[6:7]
	s_cbranch_execnz .LBB15_4088
.LBB15_2038:
	s_or_b64 exec, exec, s[6:7]
	s_and_saveexec_b64 s[6:7], s[4:5]
	s_cbranch_execz .LBB15_2040
.LBB15_2039:
	v_bfe_u32 v1, v3, 16, 3
	v_ffbh_u32_e32 v5, v1
	v_min_u32_e32 v5, 32, v5
	v_lshrrev_b32_e32 v2, 19, v3
	v_subrev_u32_e32 v6, 28, v5
	v_and_b32_e32 v2, 15, v2
	v_lshlrev_b32_sdwa v6, v6, v3 dst_sel:DWORD dst_unused:UNUSED_PAD src0_sel:DWORD src1_sel:WORD_1
	v_bfe_u32 v4, v3, 19, 4
	v_sub_u32_e32 v5, 29, v5
	v_and_b32_e32 v6, 7, v6
	v_cmp_eq_u16_e32 vcc, 0, v2
	v_cndmask_b32_e32 v1, v1, v6, vcc
	v_cndmask_b32_e32 v2, v4, v5, vcc
	v_lshlrev_b32_e32 v4, 8, v3
	v_mov_b32_e32 v5, 0x3b800000
	v_lshlrev_b32_e32 v1, 20, v1
	v_and_b32_e32 v4, 0x80000000, v4
	v_lshl_add_u32 v2, v2, 23, v5
	v_or3_b32 v2, v4, v2, v1
.LBB15_2040:
	s_or_b64 exec, exec, s[6:7]
	s_nop 0
	v_mfma_f32_16x16x4f32 a[0:3], v0, v2, a[0:3]
	s_movk_i32 s4, 0x7f
	v_cmp_gt_i16_sdwa s[6:7], v7, s4 src0_sel:BYTE_3 src1_sel:DWORD
	s_mov_b64 s[4:5], 0
                                        ; implicit-def: $sgpr10
	s_and_saveexec_b64 s[8:9], s[6:7]
	s_xor_b64 s[6:7], exec, s[8:9]
	s_cbranch_execnz .LBB15_4089
; %bb.2041:
	s_or_saveexec_b64 s[6:7], s[6:7]
	v_mov_b32_e32 v0, s10
	s_xor_b64 exec, exec, s[6:7]
	s_cbranch_execnz .LBB15_4092
.LBB15_2042:
	s_or_b64 exec, exec, s[6:7]
	s_and_saveexec_b64 s[6:7], s[4:5]
	s_cbranch_execz .LBB15_2044
.LBB15_2043:
	v_bfe_u32 v0, v7, 24, 3
	v_ffbh_u32_e32 v5, v0
	v_min_u32_e32 v5, 32, v5
	v_lshrrev_b32_e32 v2, 27, v7
	v_subrev_u32_e32 v6, 28, v5
	v_and_b32_e32 v2, 15, v2
	v_lshlrev_b32_sdwa v6, v6, v7 dst_sel:DWORD dst_unused:UNUSED_PAD src0_sel:DWORD src1_sel:BYTE_3
	v_bfe_u32 v4, v7, 27, 4
	v_sub_u32_e32 v5, 29, v5
	v_and_b32_e32 v6, 7, v6
	v_cmp_eq_u16_e32 vcc, 0, v2
	v_cndmask_b32_e32 v0, v0, v6, vcc
	v_cndmask_b32_e32 v2, v4, v5, vcc
	v_mov_b32_e32 v4, 0x3b800000
	v_and_b32_e32 v1, 0x80000000, v7
	v_lshlrev_b32_e32 v0, 20, v0
	v_lshl_add_u32 v2, v2, 23, v4
	v_or3_b32 v0, v1, v2, v0
.LBB15_2044:
	s_or_b64 exec, exec, s[6:7]
	s_movk_i32 s4, 0x7f
	v_cmp_gt_i16_sdwa s[6:7], v3, s4 src0_sel:BYTE_3 src1_sel:DWORD
	s_mov_b64 s[4:5], 0
                                        ; implicit-def: $sgpr10
	s_and_saveexec_b64 s[8:9], s[6:7]
	s_xor_b64 s[6:7], exec, s[8:9]
	s_cbranch_execnz .LBB15_4093
; %bb.2045:
	s_or_saveexec_b64 s[6:7], s[6:7]
	v_mov_b32_e32 v1, s10
	s_xor_b64 exec, exec, s[6:7]
	s_cbranch_execnz .LBB15_4096
.LBB15_2046:
	s_or_b64 exec, exec, s[6:7]
	s_and_saveexec_b64 s[6:7], s[4:5]
	s_cbranch_execz .LBB15_2048
.LBB15_2047:
	v_bfe_u32 v1, v3, 24, 3
	v_ffbh_u32_e32 v6, v1
	v_min_u32_e32 v6, 32, v6
	v_lshrrev_b32_e32 v4, 27, v3
	v_subrev_u32_e32 v7, 28, v6
	v_and_b32_e32 v2, 0x80000000, v3
	v_and_b32_e32 v4, 15, v4
	v_bfe_u32 v5, v3, 27, 4
	v_lshlrev_b32_sdwa v3, v7, v3 dst_sel:DWORD dst_unused:UNUSED_PAD src0_sel:DWORD src1_sel:BYTE_3
	v_sub_u32_e32 v6, 29, v6
	v_and_b32_e32 v3, 7, v3
	v_cmp_eq_u16_e32 vcc, 0, v4
	v_cndmask_b32_e32 v1, v1, v3, vcc
	v_cndmask_b32_e32 v3, v5, v6, vcc
	v_mov_b32_e32 v4, 0x3b800000
	v_lshlrev_b32_e32 v1, 20, v1
	v_lshl_add_u32 v3, v3, 23, v4
	v_or3_b32 v1, v2, v3, v1
.LBB15_2048:
	s_or_b64 exec, exec, s[6:7]
	s_nop 0
	v_mfma_f32_16x16x4f32 a[0:3], v0, v1, a[0:3]
	s_nop 7
	s_nop 2
	flat_store_dwordx4 v[16:17], a[0:3] offset:752
	s_waitcnt vmcnt(0) lgkmcnt(0)
	s_setpc_b64 s[30:31]
.LBB15_2049:
	s_movk_i32 s4, 0x80
	v_cmp_eq_u16_sdwa s[12:13], v14, s4 src0_sel:BYTE_0 src1_sel:DWORD
	s_mov_b64 s[4:5], -1
                                        ; implicit-def: $sgpr10
	s_and_saveexec_b64 s[8:9], s[12:13]
; %bb.2050:
	s_mov_b32 s10, 0x7f800001
	s_xor_b64 s[4:5], exec, -1
; %bb.2051:
	s_or_b64 exec, exec, s[8:9]
	s_and_b64 s[4:5], s[4:5], exec
	s_or_saveexec_b64 s[6:7], s[6:7]
	v_mov_b32_e32 v20, s10
	s_xor_b64 exec, exec, s[6:7]
	s_cbranch_execz .LBB15_2
.LBB15_2052:
	v_mov_b32_e32 v20, 0
	v_cmp_ne_u16_sdwa s[8:9], v14, v20 src0_sel:BYTE_0 src1_sel:DWORD
	s_andn2_b64 s[4:5], s[4:5], exec
	s_and_b64 s[8:9], s[8:9], exec
	s_or_b64 s[4:5], s[4:5], s[8:9]
	s_or_b64 exec, exec, s[6:7]
	s_and_saveexec_b64 s[6:7], s[4:5]
	s_cbranch_execnz .LBB15_3
	s_branch .LBB15_4
.LBB15_2053:
	s_movk_i32 s4, 0x80
	v_cmp_eq_u16_sdwa s[12:13], v10, s4 src0_sel:BYTE_0 src1_sel:DWORD
	s_mov_b64 s[4:5], -1
                                        ; implicit-def: $sgpr10
	s_and_saveexec_b64 s[8:9], s[12:13]
; %bb.2054:
	s_mov_b32 s10, 0x7f800001
	s_xor_b64 s[4:5], exec, -1
; %bb.2055:
	s_or_b64 exec, exec, s[8:9]
	s_and_b64 s[4:5], s[4:5], exec
	s_or_saveexec_b64 s[6:7], s[6:7]
	v_mov_b32_e32 v21, s10
	s_xor_b64 exec, exec, s[6:7]
	s_cbranch_execz .LBB15_6
.LBB15_2056:
	v_mov_b32_e32 v21, 0
	v_cmp_ne_u16_sdwa s[8:9], v10, v21 src0_sel:BYTE_0 src1_sel:DWORD
	s_andn2_b64 s[4:5], s[4:5], exec
	s_and_b64 s[8:9], s[8:9], exec
	s_or_b64 s[4:5], s[4:5], s[8:9]
	s_or_b64 exec, exec, s[6:7]
	s_and_saveexec_b64 s[6:7], s[4:5]
	s_cbranch_execnz .LBB15_7
	s_branch .LBB15_8
.LBB15_2057:
	s_movk_i32 s4, 0x80
	v_cmp_eq_u16_sdwa s[12:13], v21, s4 src0_sel:BYTE_0 src1_sel:DWORD
	s_mov_b64 s[4:5], -1
                                        ; implicit-def: $sgpr10
	s_and_saveexec_b64 s[8:9], s[12:13]
; %bb.2058:
	s_mov_b32 s10, 0x7f800001
	s_xor_b64 s[4:5], exec, -1
; %bb.2059:
	s_or_b64 exec, exec, s[8:9]
	s_and_b64 s[4:5], s[4:5], exec
	s_or_saveexec_b64 s[6:7], s[6:7]
	v_mov_b32_e32 v20, s10
	s_xor_b64 exec, exec, s[6:7]
	s_cbranch_execz .LBB15_10
.LBB15_2060:
	v_mov_b32_e32 v20, 0
	v_cmp_ne_u16_sdwa s[8:9], v21, v20 src0_sel:BYTE_0 src1_sel:DWORD
	s_andn2_b64 s[4:5], s[4:5], exec
	s_and_b64 s[8:9], s[8:9], exec
	s_or_b64 s[4:5], s[4:5], s[8:9]
	s_or_b64 exec, exec, s[6:7]
	s_and_saveexec_b64 s[6:7], s[4:5]
	s_cbranch_execnz .LBB15_11
	s_branch .LBB15_12
.LBB15_2061:
	s_movk_i32 s4, 0x80
	v_cmp_eq_u16_sdwa s[12:13], v21, s4 src0_sel:BYTE_0 src1_sel:DWORD
	s_mov_b64 s[4:5], -1
                                        ; implicit-def: $sgpr10
	s_and_saveexec_b64 s[8:9], s[12:13]
; %bb.2062:
	s_mov_b32 s10, 0x7f800001
	s_xor_b64 s[4:5], exec, -1
; %bb.2063:
	s_or_b64 exec, exec, s[8:9]
	s_and_b64 s[4:5], s[4:5], exec
	s_or_saveexec_b64 s[6:7], s[6:7]
	v_mov_b32_e32 v22, s10
	s_xor_b64 exec, exec, s[6:7]
	s_cbranch_execz .LBB15_14
.LBB15_2064:
	v_mov_b32_e32 v22, 0
	v_cmp_ne_u16_sdwa s[8:9], v21, v22 src0_sel:BYTE_0 src1_sel:DWORD
	s_andn2_b64 s[4:5], s[4:5], exec
	s_and_b64 s[8:9], s[8:9], exec
	s_or_b64 s[4:5], s[4:5], s[8:9]
	s_or_b64 exec, exec, s[6:7]
	s_and_saveexec_b64 s[6:7], s[4:5]
	s_cbranch_execnz .LBB15_15
	s_branch .LBB15_16
.LBB15_2065:
	s_movk_i32 s4, 0x80
	v_cmp_eq_u16_e32 vcc, s4, v21
	s_mov_b64 s[4:5], -1
                                        ; implicit-def: $sgpr10
	s_and_saveexec_b64 s[8:9], vcc
; %bb.2066:
	s_mov_b32 s10, 0x7f800001
	s_xor_b64 s[4:5], exec, -1
; %bb.2067:
	s_or_b64 exec, exec, s[8:9]
	s_and_b64 s[4:5], s[4:5], exec
                                        ; implicit-def: $vgpr21
	s_or_saveexec_b64 s[6:7], s[6:7]
	v_mov_b32_e32 v20, s10
	s_xor_b64 exec, exec, s[6:7]
	s_cbranch_execz .LBB15_18
.LBB15_2068:
	v_cmp_ne_u16_e32 vcc, 0, v21
	s_andn2_b64 s[4:5], s[4:5], exec
	s_and_b64 s[8:9], vcc, exec
	v_mov_b32_e32 v20, 0
	s_or_b64 s[4:5], s[4:5], s[8:9]
	s_or_b64 exec, exec, s[6:7]
	s_and_saveexec_b64 s[6:7], s[4:5]
	s_cbranch_execnz .LBB15_19
	s_branch .LBB15_20
.LBB15_2069:
	s_movk_i32 s4, 0x80
	v_cmp_eq_u16_e32 vcc, s4, v21
	s_mov_b64 s[4:5], -1
                                        ; implicit-def: $sgpr10
	s_and_saveexec_b64 s[8:9], vcc
; %bb.2070:
	s_mov_b32 s10, 0x7f800001
	s_xor_b64 s[4:5], exec, -1
; %bb.2071:
	s_or_b64 exec, exec, s[8:9]
	s_and_b64 s[4:5], s[4:5], exec
                                        ; implicit-def: $vgpr21
	s_or_saveexec_b64 s[6:7], s[6:7]
	v_mov_b32_e32 v22, s10
	s_xor_b64 exec, exec, s[6:7]
	s_cbranch_execz .LBB15_22
.LBB15_2072:
	v_cmp_ne_u16_e32 vcc, 0, v21
	s_andn2_b64 s[4:5], s[4:5], exec
	s_and_b64 s[8:9], vcc, exec
	v_mov_b32_e32 v22, 0
	s_or_b64 s[4:5], s[4:5], s[8:9]
	s_or_b64 exec, exec, s[6:7]
	s_and_saveexec_b64 s[6:7], s[4:5]
	s_cbranch_execnz .LBB15_23
	s_branch .LBB15_24
.LBB15_2073:
	s_movk_i32 s4, 0x80
	v_cmp_eq_u16_sdwa s[12:13], v14, s4 src0_sel:BYTE_3 src1_sel:DWORD
	s_mov_b64 s[4:5], -1
                                        ; implicit-def: $sgpr10
	s_and_saveexec_b64 s[8:9], s[12:13]
; %bb.2074:
	s_mov_b32 s10, 0x7f800001
	s_xor_b64 s[4:5], exec, -1
; %bb.2075:
	s_or_b64 exec, exec, s[8:9]
	s_and_b64 s[4:5], s[4:5], exec
	s_or_saveexec_b64 s[6:7], s[6:7]
	v_mov_b32_e32 v20, s10
	s_xor_b64 exec, exec, s[6:7]
	s_cbranch_execz .LBB15_26
.LBB15_2076:
	v_mov_b32_e32 v20, 0
	v_cmp_ne_u16_sdwa s[8:9], v14, v20 src0_sel:BYTE_3 src1_sel:DWORD
	s_andn2_b64 s[4:5], s[4:5], exec
	s_and_b64 s[8:9], s[8:9], exec
	s_or_b64 s[4:5], s[4:5], s[8:9]
	s_or_b64 exec, exec, s[6:7]
	s_and_saveexec_b64 s[6:7], s[4:5]
	s_cbranch_execnz .LBB15_27
	s_branch .LBB15_28
.LBB15_2077:
	s_movk_i32 s4, 0x80
	v_cmp_eq_u16_sdwa s[12:13], v10, s4 src0_sel:BYTE_3 src1_sel:DWORD
	s_mov_b64 s[4:5], -1
                                        ; implicit-def: $sgpr10
	s_and_saveexec_b64 s[8:9], s[12:13]
; %bb.2078:
	s_mov_b32 s10, 0x7f800001
	s_xor_b64 s[4:5], exec, -1
; %bb.2079:
	s_or_b64 exec, exec, s[8:9]
	s_and_b64 s[4:5], s[4:5], exec
	s_or_saveexec_b64 s[6:7], s[6:7]
	v_mov_b32_e32 v14, s10
	s_xor_b64 exec, exec, s[6:7]
	s_cbranch_execz .LBB15_30
.LBB15_2080:
	v_mov_b32_e32 v14, 0
	v_cmp_ne_u16_sdwa s[8:9], v10, v14 src0_sel:BYTE_3 src1_sel:DWORD
	s_andn2_b64 s[4:5], s[4:5], exec
	s_and_b64 s[8:9], s[8:9], exec
	s_or_b64 s[4:5], s[4:5], s[8:9]
	s_or_b64 exec, exec, s[6:7]
	s_and_saveexec_b64 s[6:7], s[4:5]
	s_cbranch_execnz .LBB15_31
	s_branch .LBB15_32
.LBB15_2081:
	s_movk_i32 s4, 0x80
	v_cmp_eq_u16_sdwa s[12:13], v15, s4 src0_sel:BYTE_0 src1_sel:DWORD
	s_mov_b64 s[4:5], -1
                                        ; implicit-def: $sgpr10
	s_and_saveexec_b64 s[8:9], s[12:13]
; %bb.2082:
	s_mov_b32 s10, 0x7f800001
	s_xor_b64 s[4:5], exec, -1
; %bb.2083:
	s_or_b64 exec, exec, s[8:9]
	s_and_b64 s[4:5], s[4:5], exec
	s_or_saveexec_b64 s[6:7], s[6:7]
	v_mov_b32_e32 v10, s10
	s_xor_b64 exec, exec, s[6:7]
	s_cbranch_execz .LBB15_34
.LBB15_2084:
	v_mov_b32_e32 v10, 0
	v_cmp_ne_u16_sdwa s[8:9], v15, v10 src0_sel:BYTE_0 src1_sel:DWORD
	s_andn2_b64 s[4:5], s[4:5], exec
	s_and_b64 s[8:9], s[8:9], exec
	s_or_b64 s[4:5], s[4:5], s[8:9]
	s_or_b64 exec, exec, s[6:7]
	s_and_saveexec_b64 s[6:7], s[4:5]
	s_cbranch_execnz .LBB15_35
	s_branch .LBB15_36
.LBB15_2085:
	s_movk_i32 s4, 0x80
	v_cmp_eq_u16_sdwa s[12:13], v11, s4 src0_sel:BYTE_0 src1_sel:DWORD
	s_mov_b64 s[4:5], -1
                                        ; implicit-def: $sgpr10
	s_and_saveexec_b64 s[8:9], s[12:13]
; %bb.2086:
	s_mov_b32 s10, 0x7f800001
	s_xor_b64 s[4:5], exec, -1
; %bb.2087:
	s_or_b64 exec, exec, s[8:9]
	s_and_b64 s[4:5], s[4:5], exec
	s_or_saveexec_b64 s[6:7], s[6:7]
	v_mov_b32_e32 v14, s10
	s_xor_b64 exec, exec, s[6:7]
	s_cbranch_execz .LBB15_38
.LBB15_2088:
	v_mov_b32_e32 v14, 0
	v_cmp_ne_u16_sdwa s[8:9], v11, v14 src0_sel:BYTE_0 src1_sel:DWORD
	s_andn2_b64 s[4:5], s[4:5], exec
	s_and_b64 s[8:9], s[8:9], exec
	s_or_b64 s[4:5], s[4:5], s[8:9]
	s_or_b64 exec, exec, s[6:7]
	s_and_saveexec_b64 s[6:7], s[4:5]
	s_cbranch_execnz .LBB15_39
	s_branch .LBB15_40
.LBB15_2089:
	s_movk_i32 s4, 0x80
	v_cmp_eq_u16_sdwa s[12:13], v14, s4 src0_sel:BYTE_0 src1_sel:DWORD
	s_mov_b64 s[4:5], -1
                                        ; implicit-def: $sgpr10
	s_and_saveexec_b64 s[8:9], s[12:13]
; %bb.2090:
	s_mov_b32 s10, 0x7f800001
	s_xor_b64 s[4:5], exec, -1
; %bb.2091:
	s_or_b64 exec, exec, s[8:9]
	s_and_b64 s[4:5], s[4:5], exec
	s_or_saveexec_b64 s[6:7], s[6:7]
	v_mov_b32_e32 v10, s10
	s_xor_b64 exec, exec, s[6:7]
	s_cbranch_execz .LBB15_42
.LBB15_2092:
	v_mov_b32_e32 v10, 0
	v_cmp_ne_u16_sdwa s[8:9], v14, v10 src0_sel:BYTE_0 src1_sel:DWORD
	s_andn2_b64 s[4:5], s[4:5], exec
	s_and_b64 s[8:9], s[8:9], exec
	s_or_b64 s[4:5], s[4:5], s[8:9]
	s_or_b64 exec, exec, s[6:7]
	s_and_saveexec_b64 s[6:7], s[4:5]
	s_cbranch_execnz .LBB15_43
	s_branch .LBB15_44
.LBB15_2093:
	s_movk_i32 s4, 0x80
	v_cmp_eq_u16_sdwa s[12:13], v14, s4 src0_sel:BYTE_0 src1_sel:DWORD
	s_mov_b64 s[4:5], -1
                                        ; implicit-def: $sgpr10
	s_and_saveexec_b64 s[8:9], s[12:13]
; %bb.2094:
	s_mov_b32 s10, 0x7f800001
	s_xor_b64 s[4:5], exec, -1
; %bb.2095:
	s_or_b64 exec, exec, s[8:9]
	s_and_b64 s[4:5], s[4:5], exec
	s_or_saveexec_b64 s[6:7], s[6:7]
	v_mov_b32_e32 v20, s10
	s_xor_b64 exec, exec, s[6:7]
	s_cbranch_execz .LBB15_46
.LBB15_2096:
	v_mov_b32_e32 v20, 0
	v_cmp_ne_u16_sdwa s[8:9], v14, v20 src0_sel:BYTE_0 src1_sel:DWORD
	s_andn2_b64 s[4:5], s[4:5], exec
	s_and_b64 s[8:9], s[8:9], exec
	s_or_b64 s[4:5], s[4:5], s[8:9]
	s_or_b64 exec, exec, s[6:7]
	s_and_saveexec_b64 s[6:7], s[4:5]
	s_cbranch_execnz .LBB15_47
	s_branch .LBB15_48
.LBB15_2097:
	s_movk_i32 s4, 0x80
	v_cmp_eq_u16_e32 vcc, s4, v14
	s_mov_b64 s[4:5], -1
                                        ; implicit-def: $sgpr10
	s_and_saveexec_b64 s[8:9], vcc
; %bb.2098:
	s_mov_b32 s10, 0x7f800001
	s_xor_b64 s[4:5], exec, -1
; %bb.2099:
	s_or_b64 exec, exec, s[8:9]
	s_and_b64 s[4:5], s[4:5], exec
                                        ; implicit-def: $vgpr14
	s_or_saveexec_b64 s[6:7], s[6:7]
	v_mov_b32_e32 v10, s10
	s_xor_b64 exec, exec, s[6:7]
	s_cbranch_execz .LBB15_50
.LBB15_2100:
	v_cmp_ne_u16_e32 vcc, 0, v14
	s_andn2_b64 s[4:5], s[4:5], exec
	s_and_b64 s[8:9], vcc, exec
	v_mov_b32_e32 v10, 0
	s_or_b64 s[4:5], s[4:5], s[8:9]
	s_or_b64 exec, exec, s[6:7]
	s_and_saveexec_b64 s[6:7], s[4:5]
	s_cbranch_execnz .LBB15_51
	s_branch .LBB15_52
.LBB15_2101:
	s_movk_i32 s4, 0x80
	v_cmp_eq_u16_e32 vcc, s4, v14
	s_mov_b64 s[4:5], -1
                                        ; implicit-def: $sgpr10
	s_and_saveexec_b64 s[8:9], vcc
; %bb.2102:
	s_mov_b32 s10, 0x7f800001
	s_xor_b64 s[4:5], exec, -1
; %bb.2103:
	s_or_b64 exec, exec, s[8:9]
	s_and_b64 s[4:5], s[4:5], exec
                                        ; implicit-def: $vgpr14
	s_or_saveexec_b64 s[6:7], s[6:7]
	v_mov_b32_e32 v20, s10
	s_xor_b64 exec, exec, s[6:7]
	s_cbranch_execz .LBB15_54
.LBB15_2104:
	v_cmp_ne_u16_e32 vcc, 0, v14
	s_andn2_b64 s[4:5], s[4:5], exec
	s_and_b64 s[8:9], vcc, exec
	v_mov_b32_e32 v20, 0
	s_or_b64 s[4:5], s[4:5], s[8:9]
	s_or_b64 exec, exec, s[6:7]
	s_and_saveexec_b64 s[6:7], s[4:5]
	s_cbranch_execnz .LBB15_55
	s_branch .LBB15_56
.LBB15_2105:
	s_movk_i32 s4, 0x80
	v_cmp_eq_u16_sdwa s[12:13], v15, s4 src0_sel:BYTE_3 src1_sel:DWORD
	s_mov_b64 s[4:5], -1
                                        ; implicit-def: $sgpr10
	s_and_saveexec_b64 s[8:9], s[12:13]
; %bb.2106:
	s_mov_b32 s10, 0x7f800001
	s_xor_b64 s[4:5], exec, -1
; %bb.2107:
	s_or_b64 exec, exec, s[8:9]
	s_and_b64 s[4:5], s[4:5], exec
	s_or_saveexec_b64 s[6:7], s[6:7]
	v_mov_b32_e32 v10, s10
	s_xor_b64 exec, exec, s[6:7]
	s_cbranch_execz .LBB15_58
.LBB15_2108:
	v_mov_b32_e32 v10, 0
	v_cmp_ne_u16_sdwa s[8:9], v15, v10 src0_sel:BYTE_3 src1_sel:DWORD
	s_andn2_b64 s[4:5], s[4:5], exec
	s_and_b64 s[8:9], s[8:9], exec
	s_or_b64 s[4:5], s[4:5], s[8:9]
	s_or_b64 exec, exec, s[6:7]
	s_and_saveexec_b64 s[6:7], s[4:5]
	s_cbranch_execnz .LBB15_59
	s_branch .LBB15_60
.LBB15_2109:
	s_movk_i32 s4, 0x80
	v_cmp_eq_u16_sdwa s[12:13], v11, s4 src0_sel:BYTE_3 src1_sel:DWORD
	s_mov_b64 s[4:5], -1
                                        ; implicit-def: $sgpr10
	s_and_saveexec_b64 s[8:9], s[12:13]
; %bb.2110:
	s_mov_b32 s10, 0x7f800001
	s_xor_b64 s[4:5], exec, -1
; %bb.2111:
	s_or_b64 exec, exec, s[8:9]
	s_and_b64 s[4:5], s[4:5], exec
	s_or_saveexec_b64 s[6:7], s[6:7]
	v_mov_b32_e32 v14, s10
	s_xor_b64 exec, exec, s[6:7]
	s_cbranch_execz .LBB15_62
.LBB15_2112:
	v_mov_b32_e32 v14, 0
	v_cmp_ne_u16_sdwa s[8:9], v11, v14 src0_sel:BYTE_3 src1_sel:DWORD
	s_andn2_b64 s[4:5], s[4:5], exec
	s_and_b64 s[8:9], s[8:9], exec
	s_or_b64 s[4:5], s[4:5], s[8:9]
	s_or_b64 exec, exec, s[6:7]
	s_and_saveexec_b64 s[6:7], s[4:5]
	s_cbranch_execnz .LBB15_63
	s_branch .LBB15_64
.LBB15_2113:
	s_movk_i32 s4, 0x80
	v_cmp_eq_u16_sdwa s[12:13], v16, s4 src0_sel:BYTE_0 src1_sel:DWORD
	s_mov_b64 s[4:5], -1
                                        ; implicit-def: $sgpr10
	s_and_saveexec_b64 s[8:9], s[12:13]
; %bb.2114:
	s_mov_b32 s10, 0x7f800001
	s_xor_b64 s[4:5], exec, -1
; %bb.2115:
	s_or_b64 exec, exec, s[8:9]
	s_and_b64 s[4:5], s[4:5], exec
	s_or_saveexec_b64 s[6:7], s[6:7]
	v_mov_b32_e32 v10, s10
	s_xor_b64 exec, exec, s[6:7]
	s_cbranch_execz .LBB15_66
.LBB15_2116:
	v_mov_b32_e32 v10, 0
	v_cmp_ne_u16_sdwa s[8:9], v16, v10 src0_sel:BYTE_0 src1_sel:DWORD
	s_andn2_b64 s[4:5], s[4:5], exec
	s_and_b64 s[8:9], s[8:9], exec
	s_or_b64 s[4:5], s[4:5], s[8:9]
	s_or_b64 exec, exec, s[6:7]
	s_and_saveexec_b64 s[6:7], s[4:5]
	s_cbranch_execnz .LBB15_67
	s_branch .LBB15_68
.LBB15_2117:
	s_movk_i32 s4, 0x80
	v_cmp_eq_u16_sdwa s[12:13], v12, s4 src0_sel:BYTE_0 src1_sel:DWORD
	s_mov_b64 s[4:5], -1
                                        ; implicit-def: $sgpr10
	s_and_saveexec_b64 s[8:9], s[12:13]
; %bb.2118:
	s_mov_b32 s10, 0x7f800001
	s_xor_b64 s[4:5], exec, -1
; %bb.2119:
	s_or_b64 exec, exec, s[8:9]
	s_and_b64 s[4:5], s[4:5], exec
	s_or_saveexec_b64 s[6:7], s[6:7]
	v_mov_b32_e32 v11, s10
	s_xor_b64 exec, exec, s[6:7]
	s_cbranch_execz .LBB15_70
.LBB15_2120:
	v_mov_b32_e32 v11, 0
	v_cmp_ne_u16_sdwa s[8:9], v12, v11 src0_sel:BYTE_0 src1_sel:DWORD
	s_andn2_b64 s[4:5], s[4:5], exec
	s_and_b64 s[8:9], s[8:9], exec
	s_or_b64 s[4:5], s[4:5], s[8:9]
	s_or_b64 exec, exec, s[6:7]
	s_and_saveexec_b64 s[6:7], s[4:5]
	s_cbranch_execnz .LBB15_71
	s_branch .LBB15_72
.LBB15_2121:
	s_movk_i32 s4, 0x80
	v_cmp_eq_u16_sdwa s[12:13], v11, s4 src0_sel:BYTE_0 src1_sel:DWORD
	s_mov_b64 s[4:5], -1
                                        ; implicit-def: $sgpr10
	s_and_saveexec_b64 s[8:9], s[12:13]
; %bb.2122:
	s_mov_b32 s10, 0x7f800001
	s_xor_b64 s[4:5], exec, -1
; %bb.2123:
	s_or_b64 exec, exec, s[8:9]
	s_and_b64 s[4:5], s[4:5], exec
	s_or_saveexec_b64 s[6:7], s[6:7]
	v_mov_b32_e32 v10, s10
	s_xor_b64 exec, exec, s[6:7]
	s_cbranch_execz .LBB15_74
.LBB15_2124:
	v_mov_b32_e32 v10, 0
	v_cmp_ne_u16_sdwa s[8:9], v11, v10 src0_sel:BYTE_0 src1_sel:DWORD
	s_andn2_b64 s[4:5], s[4:5], exec
	s_and_b64 s[8:9], s[8:9], exec
	s_or_b64 s[4:5], s[4:5], s[8:9]
	s_or_b64 exec, exec, s[6:7]
	s_and_saveexec_b64 s[6:7], s[4:5]
	s_cbranch_execnz .LBB15_75
	s_branch .LBB15_76
.LBB15_2125:
	s_movk_i32 s4, 0x80
	v_cmp_eq_u16_sdwa s[12:13], v11, s4 src0_sel:BYTE_0 src1_sel:DWORD
	s_mov_b64 s[4:5], -1
                                        ; implicit-def: $sgpr10
	s_and_saveexec_b64 s[8:9], s[12:13]
; %bb.2126:
	s_mov_b32 s10, 0x7f800001
	s_xor_b64 s[4:5], exec, -1
; %bb.2127:
	s_or_b64 exec, exec, s[8:9]
	s_and_b64 s[4:5], s[4:5], exec
	s_or_saveexec_b64 s[6:7], s[6:7]
	v_mov_b32_e32 v14, s10
	s_xor_b64 exec, exec, s[6:7]
	s_cbranch_execz .LBB15_78
.LBB15_2128:
	v_mov_b32_e32 v14, 0
	v_cmp_ne_u16_sdwa s[8:9], v11, v14 src0_sel:BYTE_0 src1_sel:DWORD
	s_andn2_b64 s[4:5], s[4:5], exec
	s_and_b64 s[8:9], s[8:9], exec
	s_or_b64 s[4:5], s[4:5], s[8:9]
	s_or_b64 exec, exec, s[6:7]
	s_and_saveexec_b64 s[6:7], s[4:5]
	s_cbranch_execnz .LBB15_79
	s_branch .LBB15_80
.LBB15_2129:
	s_movk_i32 s4, 0x80
	v_cmp_eq_u16_e32 vcc, s4, v11
	s_mov_b64 s[4:5], -1
                                        ; implicit-def: $sgpr10
	s_and_saveexec_b64 s[8:9], vcc
; %bb.2130:
	s_mov_b32 s10, 0x7f800001
	s_xor_b64 s[4:5], exec, -1
; %bb.2131:
	s_or_b64 exec, exec, s[8:9]
	s_and_b64 s[4:5], s[4:5], exec
                                        ; implicit-def: $vgpr11
	s_or_saveexec_b64 s[6:7], s[6:7]
	v_mov_b32_e32 v10, s10
	s_xor_b64 exec, exec, s[6:7]
	s_cbranch_execz .LBB15_82
.LBB15_2132:
	v_cmp_ne_u16_e32 vcc, 0, v11
	s_andn2_b64 s[4:5], s[4:5], exec
	s_and_b64 s[8:9], vcc, exec
	v_mov_b32_e32 v10, 0
	s_or_b64 s[4:5], s[4:5], s[8:9]
	s_or_b64 exec, exec, s[6:7]
	s_and_saveexec_b64 s[6:7], s[4:5]
	s_cbranch_execnz .LBB15_83
	s_branch .LBB15_84
.LBB15_2133:
	s_movk_i32 s4, 0x80
	v_cmp_eq_u16_e32 vcc, s4, v11
	s_mov_b64 s[4:5], -1
                                        ; implicit-def: $sgpr10
	s_and_saveexec_b64 s[8:9], vcc
; %bb.2134:
	s_mov_b32 s10, 0x7f800001
	s_xor_b64 s[4:5], exec, -1
; %bb.2135:
	s_or_b64 exec, exec, s[8:9]
	s_and_b64 s[4:5], s[4:5], exec
                                        ; implicit-def: $vgpr11
	s_or_saveexec_b64 s[6:7], s[6:7]
	v_mov_b32_e32 v14, s10
	s_xor_b64 exec, exec, s[6:7]
	s_cbranch_execz .LBB15_86
.LBB15_2136:
	v_cmp_ne_u16_e32 vcc, 0, v11
	s_andn2_b64 s[4:5], s[4:5], exec
	s_and_b64 s[8:9], vcc, exec
	v_mov_b32_e32 v14, 0
	s_or_b64 s[4:5], s[4:5], s[8:9]
	s_or_b64 exec, exec, s[6:7]
	s_and_saveexec_b64 s[6:7], s[4:5]
	s_cbranch_execnz .LBB15_87
	s_branch .LBB15_88
.LBB15_2137:
	s_movk_i32 s4, 0x80
	v_cmp_eq_u16_sdwa s[12:13], v16, s4 src0_sel:BYTE_3 src1_sel:DWORD
	s_mov_b64 s[4:5], -1
                                        ; implicit-def: $sgpr10
	s_and_saveexec_b64 s[8:9], s[12:13]
; %bb.2138:
	s_mov_b32 s10, 0x7f800001
	s_xor_b64 s[4:5], exec, -1
; %bb.2139:
	s_or_b64 exec, exec, s[8:9]
	s_and_b64 s[4:5], s[4:5], exec
	s_or_saveexec_b64 s[6:7], s[6:7]
	v_mov_b32_e32 v10, s10
	s_xor_b64 exec, exec, s[6:7]
	s_cbranch_execz .LBB15_90
.LBB15_2140:
	v_mov_b32_e32 v10, 0
	v_cmp_ne_u16_sdwa s[8:9], v16, v10 src0_sel:BYTE_3 src1_sel:DWORD
	s_andn2_b64 s[4:5], s[4:5], exec
	s_and_b64 s[8:9], s[8:9], exec
	s_or_b64 s[4:5], s[4:5], s[8:9]
	s_or_b64 exec, exec, s[6:7]
	s_and_saveexec_b64 s[6:7], s[4:5]
	s_cbranch_execnz .LBB15_91
	s_branch .LBB15_92
.LBB15_2141:
	s_movk_i32 s4, 0x80
	v_cmp_eq_u16_sdwa s[12:13], v12, s4 src0_sel:BYTE_3 src1_sel:DWORD
	s_mov_b64 s[4:5], -1
                                        ; implicit-def: $sgpr10
	s_and_saveexec_b64 s[8:9], s[12:13]
; %bb.2142:
	s_mov_b32 s10, 0x7f800001
	s_xor_b64 s[4:5], exec, -1
; %bb.2143:
	s_or_b64 exec, exec, s[8:9]
	s_and_b64 s[4:5], s[4:5], exec
	s_or_saveexec_b64 s[6:7], s[6:7]
	v_mov_b32_e32 v11, s10
	s_xor_b64 exec, exec, s[6:7]
	s_cbranch_execz .LBB15_94
.LBB15_2144:
	v_mov_b32_e32 v11, 0
	v_cmp_ne_u16_sdwa s[8:9], v12, v11 src0_sel:BYTE_3 src1_sel:DWORD
	s_andn2_b64 s[4:5], s[4:5], exec
	s_and_b64 s[8:9], s[8:9], exec
	s_or_b64 s[4:5], s[4:5], s[8:9]
	s_or_b64 exec, exec, s[6:7]
	s_and_saveexec_b64 s[6:7], s[4:5]
	s_cbranch_execnz .LBB15_95
	s_branch .LBB15_96
.LBB15_2145:
	s_movk_i32 s4, 0x80
	v_cmp_eq_u16_sdwa s[12:13], v17, s4 src0_sel:BYTE_0 src1_sel:DWORD
	s_mov_b64 s[4:5], -1
                                        ; implicit-def: $sgpr10
	s_and_saveexec_b64 s[8:9], s[12:13]
; %bb.2146:
	s_mov_b32 s10, 0x7f800001
	s_xor_b64 s[4:5], exec, -1
; %bb.2147:
	s_or_b64 exec, exec, s[8:9]
	s_and_b64 s[4:5], s[4:5], exec
	s_or_saveexec_b64 s[6:7], s[6:7]
	v_mov_b32_e32 v10, s10
	s_xor_b64 exec, exec, s[6:7]
	s_cbranch_execz .LBB15_98
.LBB15_2148:
	v_mov_b32_e32 v10, 0
	v_cmp_ne_u16_sdwa s[8:9], v17, v10 src0_sel:BYTE_0 src1_sel:DWORD
	s_andn2_b64 s[4:5], s[4:5], exec
	s_and_b64 s[8:9], s[8:9], exec
	s_or_b64 s[4:5], s[4:5], s[8:9]
	s_or_b64 exec, exec, s[6:7]
	s_and_saveexec_b64 s[6:7], s[4:5]
	s_cbranch_execnz .LBB15_99
	s_branch .LBB15_100
.LBB15_2149:
	s_movk_i32 s4, 0x80
	v_cmp_eq_u16_sdwa s[12:13], v13, s4 src0_sel:BYTE_0 src1_sel:DWORD
	s_mov_b64 s[4:5], -1
                                        ; implicit-def: $sgpr10
	s_and_saveexec_b64 s[8:9], s[12:13]
; %bb.2150:
	s_mov_b32 s10, 0x7f800001
	s_xor_b64 s[4:5], exec, -1
; %bb.2151:
	s_or_b64 exec, exec, s[8:9]
	s_and_b64 s[4:5], s[4:5], exec
	s_or_saveexec_b64 s[6:7], s[6:7]
	v_mov_b32_e32 v11, s10
	s_xor_b64 exec, exec, s[6:7]
	s_cbranch_execz .LBB15_102
.LBB15_2152:
	v_mov_b32_e32 v11, 0
	v_cmp_ne_u16_sdwa s[8:9], v13, v11 src0_sel:BYTE_0 src1_sel:DWORD
	s_andn2_b64 s[4:5], s[4:5], exec
	s_and_b64 s[8:9], s[8:9], exec
	s_or_b64 s[4:5], s[4:5], s[8:9]
	s_or_b64 exec, exec, s[6:7]
	s_and_saveexec_b64 s[6:7], s[4:5]
	s_cbranch_execnz .LBB15_103
	s_branch .LBB15_104
.LBB15_2153:
	s_movk_i32 s4, 0x80
	v_cmp_eq_u16_sdwa s[12:13], v11, s4 src0_sel:BYTE_0 src1_sel:DWORD
	s_mov_b64 s[4:5], -1
                                        ; implicit-def: $sgpr10
	s_and_saveexec_b64 s[8:9], s[12:13]
; %bb.2154:
	s_mov_b32 s10, 0x7f800001
	s_xor_b64 s[4:5], exec, -1
; %bb.2155:
	s_or_b64 exec, exec, s[8:9]
	s_and_b64 s[4:5], s[4:5], exec
	s_or_saveexec_b64 s[6:7], s[6:7]
	v_mov_b32_e32 v10, s10
	s_xor_b64 exec, exec, s[6:7]
	s_cbranch_execz .LBB15_106
.LBB15_2156:
	v_mov_b32_e32 v10, 0
	v_cmp_ne_u16_sdwa s[8:9], v11, v10 src0_sel:BYTE_0 src1_sel:DWORD
	s_andn2_b64 s[4:5], s[4:5], exec
	s_and_b64 s[8:9], s[8:9], exec
	s_or_b64 s[4:5], s[4:5], s[8:9]
	s_or_b64 exec, exec, s[6:7]
	s_and_saveexec_b64 s[6:7], s[4:5]
	s_cbranch_execnz .LBB15_107
	s_branch .LBB15_108
.LBB15_2157:
	s_movk_i32 s4, 0x80
	v_cmp_eq_u16_sdwa s[12:13], v11, s4 src0_sel:BYTE_0 src1_sel:DWORD
	s_mov_b64 s[4:5], -1
                                        ; implicit-def: $sgpr10
	s_and_saveexec_b64 s[8:9], s[12:13]
; %bb.2158:
	s_mov_b32 s10, 0x7f800001
	s_xor_b64 s[4:5], exec, -1
; %bb.2159:
	s_or_b64 exec, exec, s[8:9]
	s_and_b64 s[4:5], s[4:5], exec
	s_or_saveexec_b64 s[6:7], s[6:7]
	v_mov_b32_e32 v12, s10
	s_xor_b64 exec, exec, s[6:7]
	s_cbranch_execz .LBB15_110
.LBB15_2160:
	v_mov_b32_e32 v12, 0
	v_cmp_ne_u16_sdwa s[8:9], v11, v12 src0_sel:BYTE_0 src1_sel:DWORD
	s_andn2_b64 s[4:5], s[4:5], exec
	s_and_b64 s[8:9], s[8:9], exec
	s_or_b64 s[4:5], s[4:5], s[8:9]
	s_or_b64 exec, exec, s[6:7]
	s_and_saveexec_b64 s[6:7], s[4:5]
	s_cbranch_execnz .LBB15_111
	s_branch .LBB15_112
.LBB15_2161:
	s_movk_i32 s4, 0x80
	v_cmp_eq_u16_e32 vcc, s4, v11
	s_mov_b64 s[4:5], -1
                                        ; implicit-def: $sgpr10
	s_and_saveexec_b64 s[8:9], vcc
; %bb.2162:
	s_mov_b32 s10, 0x7f800001
	s_xor_b64 s[4:5], exec, -1
; %bb.2163:
	s_or_b64 exec, exec, s[8:9]
	s_and_b64 s[4:5], s[4:5], exec
                                        ; implicit-def: $vgpr11
	s_or_saveexec_b64 s[6:7], s[6:7]
	v_mov_b32_e32 v10, s10
	s_xor_b64 exec, exec, s[6:7]
	s_cbranch_execz .LBB15_114
.LBB15_2164:
	v_cmp_ne_u16_e32 vcc, 0, v11
	s_andn2_b64 s[4:5], s[4:5], exec
	s_and_b64 s[8:9], vcc, exec
	v_mov_b32_e32 v10, 0
	s_or_b64 s[4:5], s[4:5], s[8:9]
	s_or_b64 exec, exec, s[6:7]
	s_and_saveexec_b64 s[6:7], s[4:5]
	s_cbranch_execnz .LBB15_115
	s_branch .LBB15_116
.LBB15_2165:
	s_movk_i32 s4, 0x80
	v_cmp_eq_u16_e32 vcc, s4, v11
	s_mov_b64 s[4:5], -1
                                        ; implicit-def: $sgpr10
	s_and_saveexec_b64 s[8:9], vcc
; %bb.2166:
	s_mov_b32 s10, 0x7f800001
	s_xor_b64 s[4:5], exec, -1
; %bb.2167:
	s_or_b64 exec, exec, s[8:9]
	s_and_b64 s[4:5], s[4:5], exec
                                        ; implicit-def: $vgpr11
	s_or_saveexec_b64 s[6:7], s[6:7]
	v_mov_b32_e32 v12, s10
	s_xor_b64 exec, exec, s[6:7]
	s_cbranch_execz .LBB15_118
.LBB15_2168:
	v_cmp_ne_u16_e32 vcc, 0, v11
	s_andn2_b64 s[4:5], s[4:5], exec
	s_and_b64 s[8:9], vcc, exec
	v_mov_b32_e32 v12, 0
	s_or_b64 s[4:5], s[4:5], s[8:9]
	s_or_b64 exec, exec, s[6:7]
	s_and_saveexec_b64 s[6:7], s[4:5]
	s_cbranch_execnz .LBB15_119
	s_branch .LBB15_120
.LBB15_2169:
	s_movk_i32 s4, 0x80
	v_cmp_eq_u16_sdwa s[12:13], v17, s4 src0_sel:BYTE_3 src1_sel:DWORD
	s_mov_b64 s[4:5], -1
                                        ; implicit-def: $sgpr10
	s_and_saveexec_b64 s[8:9], s[12:13]
; %bb.2170:
	s_mov_b32 s10, 0x7f800001
	s_xor_b64 s[4:5], exec, -1
; %bb.2171:
	s_or_b64 exec, exec, s[8:9]
	s_and_b64 s[4:5], s[4:5], exec
	s_or_saveexec_b64 s[6:7], s[6:7]
	v_mov_b32_e32 v10, s10
	s_xor_b64 exec, exec, s[6:7]
	s_cbranch_execz .LBB15_122
.LBB15_2172:
	v_mov_b32_e32 v10, 0
	v_cmp_ne_u16_sdwa s[8:9], v17, v10 src0_sel:BYTE_3 src1_sel:DWORD
	s_andn2_b64 s[4:5], s[4:5], exec
	s_and_b64 s[8:9], s[8:9], exec
	s_or_b64 s[4:5], s[4:5], s[8:9]
	s_or_b64 exec, exec, s[6:7]
	s_and_saveexec_b64 s[6:7], s[4:5]
	s_cbranch_execnz .LBB15_123
	s_branch .LBB15_124
.LBB15_2173:
	s_movk_i32 s4, 0x80
	v_cmp_eq_u16_sdwa s[12:13], v13, s4 src0_sel:BYTE_3 src1_sel:DWORD
	s_mov_b64 s[4:5], -1
                                        ; implicit-def: $sgpr10
	s_and_saveexec_b64 s[8:9], s[12:13]
; %bb.2174:
	s_mov_b32 s10, 0x7f800001
	s_xor_b64 s[4:5], exec, -1
; %bb.2175:
	s_or_b64 exec, exec, s[8:9]
	s_and_b64 s[4:5], s[4:5], exec
	s_or_saveexec_b64 s[6:7], s[6:7]
	v_mov_b32_e32 v11, s10
	s_xor_b64 exec, exec, s[6:7]
	s_cbranch_execz .LBB15_126
.LBB15_2176:
	v_mov_b32_e32 v11, 0
	v_cmp_ne_u16_sdwa s[8:9], v13, v11 src0_sel:BYTE_3 src1_sel:DWORD
	s_andn2_b64 s[4:5], s[4:5], exec
	s_and_b64 s[8:9], s[8:9], exec
	s_or_b64 s[4:5], s[4:5], s[8:9]
	s_or_b64 exec, exec, s[6:7]
	s_and_saveexec_b64 s[6:7], s[4:5]
	s_cbranch_execnz .LBB15_127
	s_branch .LBB15_128
.LBB15_2177:
	s_movk_i32 s4, 0x80
	v_cmp_eq_u16_sdwa s[12:13], v6, s4 src0_sel:BYTE_0 src1_sel:DWORD
	s_mov_b64 s[4:5], -1
                                        ; implicit-def: $sgpr10
	s_and_saveexec_b64 s[8:9], s[12:13]
; %bb.2178:
	s_mov_b32 s10, 0x7f800001
	s_xor_b64 s[4:5], exec, -1
; %bb.2179:
	s_or_b64 exec, exec, s[8:9]
	s_and_b64 s[4:5], s[4:5], exec
	s_or_saveexec_b64 s[6:7], s[6:7]
	v_mov_b32_e32 v10, s10
	s_xor_b64 exec, exec, s[6:7]
	s_cbranch_execz .LBB15_130
.LBB15_2180:
	v_mov_b32_e32 v10, 0
	v_cmp_ne_u16_sdwa s[8:9], v6, v10 src0_sel:BYTE_0 src1_sel:DWORD
	s_andn2_b64 s[4:5], s[4:5], exec
	s_and_b64 s[8:9], s[8:9], exec
	s_or_b64 s[4:5], s[4:5], s[8:9]
	s_or_b64 exec, exec, s[6:7]
	s_and_saveexec_b64 s[6:7], s[4:5]
	s_cbranch_execnz .LBB15_131
	s_branch .LBB15_132
.LBB15_2181:
	s_movk_i32 s4, 0x80
	v_cmp_eq_u16_sdwa s[12:13], v2, s4 src0_sel:BYTE_0 src1_sel:DWORD
	s_mov_b64 s[4:5], -1
                                        ; implicit-def: $sgpr10
	s_and_saveexec_b64 s[8:9], s[12:13]
; %bb.2182:
	s_mov_b32 s10, 0x7f800001
	s_xor_b64 s[4:5], exec, -1
; %bb.2183:
	s_or_b64 exec, exec, s[8:9]
	s_and_b64 s[4:5], s[4:5], exec
	s_or_saveexec_b64 s[6:7], s[6:7]
	v_mov_b32_e32 v11, s10
	s_xor_b64 exec, exec, s[6:7]
	s_cbranch_execz .LBB15_134
.LBB15_2184:
	v_mov_b32_e32 v11, 0
	v_cmp_ne_u16_sdwa s[8:9], v2, v11 src0_sel:BYTE_0 src1_sel:DWORD
	s_andn2_b64 s[4:5], s[4:5], exec
	s_and_b64 s[8:9], s[8:9], exec
	s_or_b64 s[4:5], s[4:5], s[8:9]
	s_or_b64 exec, exec, s[6:7]
	s_and_saveexec_b64 s[6:7], s[4:5]
	s_cbranch_execnz .LBB15_135
	s_branch .LBB15_136
.LBB15_2185:
	s_movk_i32 s4, 0x80
	v_cmp_eq_u16_sdwa s[12:13], v11, s4 src0_sel:BYTE_0 src1_sel:DWORD
	s_mov_b64 s[4:5], -1
                                        ; implicit-def: $sgpr10
	s_and_saveexec_b64 s[8:9], s[12:13]
; %bb.2186:
	s_mov_b32 s10, 0x7f800001
	s_xor_b64 s[4:5], exec, -1
; %bb.2187:
	s_or_b64 exec, exec, s[8:9]
	s_and_b64 s[4:5], s[4:5], exec
	s_or_saveexec_b64 s[6:7], s[6:7]
	v_mov_b32_e32 v10, s10
	s_xor_b64 exec, exec, s[6:7]
	s_cbranch_execz .LBB15_138
.LBB15_2188:
	v_mov_b32_e32 v10, 0
	v_cmp_ne_u16_sdwa s[8:9], v11, v10 src0_sel:BYTE_0 src1_sel:DWORD
	s_andn2_b64 s[4:5], s[4:5], exec
	s_and_b64 s[8:9], s[8:9], exec
	s_or_b64 s[4:5], s[4:5], s[8:9]
	s_or_b64 exec, exec, s[6:7]
	s_and_saveexec_b64 s[6:7], s[4:5]
	s_cbranch_execnz .LBB15_139
	s_branch .LBB15_140
.LBB15_2189:
	s_movk_i32 s4, 0x80
	v_cmp_eq_u16_sdwa s[12:13], v11, s4 src0_sel:BYTE_0 src1_sel:DWORD
	s_mov_b64 s[4:5], -1
                                        ; implicit-def: $sgpr10
	s_and_saveexec_b64 s[8:9], s[12:13]
; %bb.2190:
	s_mov_b32 s10, 0x7f800001
	s_xor_b64 s[4:5], exec, -1
; %bb.2191:
	s_or_b64 exec, exec, s[8:9]
	s_and_b64 s[4:5], s[4:5], exec
	s_or_saveexec_b64 s[6:7], s[6:7]
	v_mov_b32_e32 v12, s10
	s_xor_b64 exec, exec, s[6:7]
	s_cbranch_execz .LBB15_142
.LBB15_2192:
	v_mov_b32_e32 v12, 0
	v_cmp_ne_u16_sdwa s[8:9], v11, v12 src0_sel:BYTE_0 src1_sel:DWORD
	s_andn2_b64 s[4:5], s[4:5], exec
	s_and_b64 s[8:9], s[8:9], exec
	s_or_b64 s[4:5], s[4:5], s[8:9]
	s_or_b64 exec, exec, s[6:7]
	s_and_saveexec_b64 s[6:7], s[4:5]
	s_cbranch_execnz .LBB15_143
	s_branch .LBB15_144
.LBB15_2193:
	s_movk_i32 s4, 0x80
	v_cmp_eq_u16_e32 vcc, s4, v11
	s_mov_b64 s[4:5], -1
                                        ; implicit-def: $sgpr10
	s_and_saveexec_b64 s[8:9], vcc
; %bb.2194:
	s_mov_b32 s10, 0x7f800001
	s_xor_b64 s[4:5], exec, -1
; %bb.2195:
	s_or_b64 exec, exec, s[8:9]
	s_and_b64 s[4:5], s[4:5], exec
                                        ; implicit-def: $vgpr11
	s_or_saveexec_b64 s[6:7], s[6:7]
	v_mov_b32_e32 v10, s10
	s_xor_b64 exec, exec, s[6:7]
	s_cbranch_execz .LBB15_146
.LBB15_2196:
	v_cmp_ne_u16_e32 vcc, 0, v11
	s_andn2_b64 s[4:5], s[4:5], exec
	s_and_b64 s[8:9], vcc, exec
	v_mov_b32_e32 v10, 0
	s_or_b64 s[4:5], s[4:5], s[8:9]
	s_or_b64 exec, exec, s[6:7]
	s_and_saveexec_b64 s[6:7], s[4:5]
	s_cbranch_execnz .LBB15_147
	s_branch .LBB15_148
.LBB15_2197:
	s_movk_i32 s4, 0x80
	v_cmp_eq_u16_e32 vcc, s4, v11
	s_mov_b64 s[4:5], -1
                                        ; implicit-def: $sgpr10
	s_and_saveexec_b64 s[8:9], vcc
; %bb.2198:
	s_mov_b32 s10, 0x7f800001
	s_xor_b64 s[4:5], exec, -1
; %bb.2199:
	s_or_b64 exec, exec, s[8:9]
	s_and_b64 s[4:5], s[4:5], exec
                                        ; implicit-def: $vgpr11
	s_or_saveexec_b64 s[6:7], s[6:7]
	v_mov_b32_e32 v12, s10
	s_xor_b64 exec, exec, s[6:7]
	s_cbranch_execz .LBB15_150
.LBB15_2200:
	v_cmp_ne_u16_e32 vcc, 0, v11
	s_andn2_b64 s[4:5], s[4:5], exec
	s_and_b64 s[8:9], vcc, exec
	v_mov_b32_e32 v12, 0
	s_or_b64 s[4:5], s[4:5], s[8:9]
	s_or_b64 exec, exec, s[6:7]
	s_and_saveexec_b64 s[6:7], s[4:5]
	s_cbranch_execnz .LBB15_151
	s_branch .LBB15_152
.LBB15_2201:
	s_movk_i32 s4, 0x80
	v_cmp_eq_u16_sdwa s[12:13], v6, s4 src0_sel:BYTE_3 src1_sel:DWORD
	s_mov_b64 s[4:5], -1
                                        ; implicit-def: $sgpr10
	s_and_saveexec_b64 s[8:9], s[12:13]
; %bb.2202:
	s_mov_b32 s10, 0x7f800001
	s_xor_b64 s[4:5], exec, -1
; %bb.2203:
	s_or_b64 exec, exec, s[8:9]
	s_and_b64 s[4:5], s[4:5], exec
	s_or_saveexec_b64 s[6:7], s[6:7]
	v_mov_b32_e32 v10, s10
	s_xor_b64 exec, exec, s[6:7]
	s_cbranch_execz .LBB15_154
.LBB15_2204:
	v_mov_b32_e32 v10, 0
	v_cmp_ne_u16_sdwa s[8:9], v6, v10 src0_sel:BYTE_3 src1_sel:DWORD
	s_andn2_b64 s[4:5], s[4:5], exec
	s_and_b64 s[8:9], s[8:9], exec
	s_or_b64 s[4:5], s[4:5], s[8:9]
	s_or_b64 exec, exec, s[6:7]
	s_and_saveexec_b64 s[6:7], s[4:5]
	s_cbranch_execnz .LBB15_155
	s_branch .LBB15_156
.LBB15_2205:
	s_movk_i32 s4, 0x80
	v_cmp_eq_u16_sdwa s[12:13], v2, s4 src0_sel:BYTE_3 src1_sel:DWORD
	s_mov_b64 s[4:5], -1
                                        ; implicit-def: $sgpr10
	s_and_saveexec_b64 s[8:9], s[12:13]
; %bb.2206:
	s_mov_b32 s10, 0x7f800001
	s_xor_b64 s[4:5], exec, -1
; %bb.2207:
	s_or_b64 exec, exec, s[8:9]
	s_and_b64 s[4:5], s[4:5], exec
	s_or_saveexec_b64 s[6:7], s[6:7]
	v_mov_b32_e32 v6, s10
	s_xor_b64 exec, exec, s[6:7]
	s_cbranch_execz .LBB15_158
.LBB15_2208:
	v_mov_b32_e32 v6, 0
	v_cmp_ne_u16_sdwa s[8:9], v2, v6 src0_sel:BYTE_3 src1_sel:DWORD
	s_andn2_b64 s[4:5], s[4:5], exec
	s_and_b64 s[8:9], s[8:9], exec
	s_or_b64 s[4:5], s[4:5], s[8:9]
	s_or_b64 exec, exec, s[6:7]
	s_and_saveexec_b64 s[6:7], s[4:5]
	s_cbranch_execnz .LBB15_159
	s_branch .LBB15_160
.LBB15_2209:
	s_movk_i32 s4, 0x80
	v_cmp_eq_u16_sdwa s[12:13], v7, s4 src0_sel:BYTE_0 src1_sel:DWORD
	s_mov_b64 s[4:5], -1
                                        ; implicit-def: $sgpr10
	s_and_saveexec_b64 s[8:9], s[12:13]
; %bb.2210:
	s_mov_b32 s10, 0x7f800001
	s_xor_b64 s[4:5], exec, -1
; %bb.2211:
	s_or_b64 exec, exec, s[8:9]
	s_and_b64 s[4:5], s[4:5], exec
	s_or_saveexec_b64 s[6:7], s[6:7]
	v_mov_b32_e32 v2, s10
	s_xor_b64 exec, exec, s[6:7]
	s_cbranch_execz .LBB15_162
.LBB15_2212:
	v_mov_b32_e32 v2, 0
	v_cmp_ne_u16_sdwa s[8:9], v7, v2 src0_sel:BYTE_0 src1_sel:DWORD
	s_andn2_b64 s[4:5], s[4:5], exec
	s_and_b64 s[8:9], s[8:9], exec
	s_or_b64 s[4:5], s[4:5], s[8:9]
	s_or_b64 exec, exec, s[6:7]
	s_and_saveexec_b64 s[6:7], s[4:5]
	s_cbranch_execnz .LBB15_163
	s_branch .LBB15_164
.LBB15_2213:
	s_movk_i32 s4, 0x80
	v_cmp_eq_u16_sdwa s[12:13], v3, s4 src0_sel:BYTE_0 src1_sel:DWORD
	s_mov_b64 s[4:5], -1
                                        ; implicit-def: $sgpr10
	s_and_saveexec_b64 s[8:9], s[12:13]
; %bb.2214:
	s_mov_b32 s10, 0x7f800001
	s_xor_b64 s[4:5], exec, -1
; %bb.2215:
	s_or_b64 exec, exec, s[8:9]
	s_and_b64 s[4:5], s[4:5], exec
	s_or_saveexec_b64 s[6:7], s[6:7]
	v_mov_b32_e32 v6, s10
	s_xor_b64 exec, exec, s[6:7]
	s_cbranch_execz .LBB15_166
.LBB15_2216:
	v_mov_b32_e32 v6, 0
	v_cmp_ne_u16_sdwa s[8:9], v3, v6 src0_sel:BYTE_0 src1_sel:DWORD
	s_andn2_b64 s[4:5], s[4:5], exec
	s_and_b64 s[8:9], s[8:9], exec
	s_or_b64 s[4:5], s[4:5], s[8:9]
	s_or_b64 exec, exec, s[6:7]
	s_and_saveexec_b64 s[6:7], s[4:5]
	s_cbranch_execnz .LBB15_167
	s_branch .LBB15_168
.LBB15_2217:
	s_movk_i32 s4, 0x80
	v_cmp_eq_u16_sdwa s[12:13], v6, s4 src0_sel:BYTE_0 src1_sel:DWORD
	s_mov_b64 s[4:5], -1
                                        ; implicit-def: $sgpr10
	s_and_saveexec_b64 s[8:9], s[12:13]
; %bb.2218:
	s_mov_b32 s10, 0x7f800001
	s_xor_b64 s[4:5], exec, -1
; %bb.2219:
	s_or_b64 exec, exec, s[8:9]
	s_and_b64 s[4:5], s[4:5], exec
	s_or_saveexec_b64 s[6:7], s[6:7]
	v_mov_b32_e32 v2, s10
	s_xor_b64 exec, exec, s[6:7]
	s_cbranch_execz .LBB15_170
.LBB15_2220:
	v_mov_b32_e32 v2, 0
	v_cmp_ne_u16_sdwa s[8:9], v6, v2 src0_sel:BYTE_0 src1_sel:DWORD
	s_andn2_b64 s[4:5], s[4:5], exec
	s_and_b64 s[8:9], s[8:9], exec
	s_or_b64 s[4:5], s[4:5], s[8:9]
	s_or_b64 exec, exec, s[6:7]
	s_and_saveexec_b64 s[6:7], s[4:5]
	s_cbranch_execnz .LBB15_171
	s_branch .LBB15_172
.LBB15_2221:
	s_movk_i32 s4, 0x80
	v_cmp_eq_u16_sdwa s[12:13], v6, s4 src0_sel:BYTE_0 src1_sel:DWORD
	s_mov_b64 s[4:5], -1
                                        ; implicit-def: $sgpr10
	s_and_saveexec_b64 s[8:9], s[12:13]
; %bb.2222:
	s_mov_b32 s10, 0x7f800001
	s_xor_b64 s[4:5], exec, -1
; %bb.2223:
	s_or_b64 exec, exec, s[8:9]
	s_and_b64 s[4:5], s[4:5], exec
	s_or_saveexec_b64 s[6:7], s[6:7]
	v_mov_b32_e32 v10, s10
	s_xor_b64 exec, exec, s[6:7]
	s_cbranch_execz .LBB15_174
.LBB15_2224:
	v_mov_b32_e32 v10, 0
	v_cmp_ne_u16_sdwa s[8:9], v6, v10 src0_sel:BYTE_0 src1_sel:DWORD
	s_andn2_b64 s[4:5], s[4:5], exec
	s_and_b64 s[8:9], s[8:9], exec
	s_or_b64 s[4:5], s[4:5], s[8:9]
	s_or_b64 exec, exec, s[6:7]
	s_and_saveexec_b64 s[6:7], s[4:5]
	s_cbranch_execnz .LBB15_175
	s_branch .LBB15_176
.LBB15_2225:
	s_movk_i32 s4, 0x80
	v_cmp_eq_u16_e32 vcc, s4, v6
	s_mov_b64 s[4:5], -1
                                        ; implicit-def: $sgpr10
	s_and_saveexec_b64 s[8:9], vcc
; %bb.2226:
	s_mov_b32 s10, 0x7f800001
	s_xor_b64 s[4:5], exec, -1
; %bb.2227:
	s_or_b64 exec, exec, s[8:9]
	s_and_b64 s[4:5], s[4:5], exec
                                        ; implicit-def: $vgpr6
	s_or_saveexec_b64 s[6:7], s[6:7]
	v_mov_b32_e32 v2, s10
	s_xor_b64 exec, exec, s[6:7]
	s_cbranch_execz .LBB15_178
.LBB15_2228:
	v_cmp_ne_u16_e32 vcc, 0, v6
	s_andn2_b64 s[4:5], s[4:5], exec
	s_and_b64 s[8:9], vcc, exec
	v_mov_b32_e32 v2, 0
	s_or_b64 s[4:5], s[4:5], s[8:9]
	s_or_b64 exec, exec, s[6:7]
	s_and_saveexec_b64 s[6:7], s[4:5]
	s_cbranch_execnz .LBB15_179
	s_branch .LBB15_180
.LBB15_2229:
	s_movk_i32 s4, 0x80
	v_cmp_eq_u16_e32 vcc, s4, v6
	s_mov_b64 s[4:5], -1
                                        ; implicit-def: $sgpr10
	s_and_saveexec_b64 s[8:9], vcc
; %bb.2230:
	s_mov_b32 s10, 0x7f800001
	s_xor_b64 s[4:5], exec, -1
; %bb.2231:
	s_or_b64 exec, exec, s[8:9]
	s_and_b64 s[4:5], s[4:5], exec
                                        ; implicit-def: $vgpr6
	s_or_saveexec_b64 s[6:7], s[6:7]
	v_mov_b32_e32 v10, s10
	s_xor_b64 exec, exec, s[6:7]
	s_cbranch_execz .LBB15_182
.LBB15_2232:
	v_cmp_ne_u16_e32 vcc, 0, v6
	s_andn2_b64 s[4:5], s[4:5], exec
	s_and_b64 s[8:9], vcc, exec
	v_mov_b32_e32 v10, 0
	s_or_b64 s[4:5], s[4:5], s[8:9]
	s_or_b64 exec, exec, s[6:7]
	s_and_saveexec_b64 s[6:7], s[4:5]
	s_cbranch_execnz .LBB15_183
	s_branch .LBB15_184
.LBB15_2233:
	s_movk_i32 s4, 0x80
	v_cmp_eq_u16_sdwa s[12:13], v7, s4 src0_sel:BYTE_3 src1_sel:DWORD
	s_mov_b64 s[4:5], -1
                                        ; implicit-def: $sgpr10
	s_and_saveexec_b64 s[8:9], s[12:13]
; %bb.2234:
	s_mov_b32 s10, 0x7f800001
	s_xor_b64 s[4:5], exec, -1
; %bb.2235:
	s_or_b64 exec, exec, s[8:9]
	s_and_b64 s[4:5], s[4:5], exec
	s_or_saveexec_b64 s[6:7], s[6:7]
	v_mov_b32_e32 v2, s10
	s_xor_b64 exec, exec, s[6:7]
	s_cbranch_execz .LBB15_186
.LBB15_2236:
	v_mov_b32_e32 v2, 0
	v_cmp_ne_u16_sdwa s[8:9], v7, v2 src0_sel:BYTE_3 src1_sel:DWORD
	s_andn2_b64 s[4:5], s[4:5], exec
	s_and_b64 s[8:9], s[8:9], exec
	s_or_b64 s[4:5], s[4:5], s[8:9]
	s_or_b64 exec, exec, s[6:7]
	s_and_saveexec_b64 s[6:7], s[4:5]
	s_cbranch_execnz .LBB15_187
	s_branch .LBB15_188
.LBB15_2237:
	s_movk_i32 s4, 0x80
	v_cmp_eq_u16_sdwa s[12:13], v3, s4 src0_sel:BYTE_3 src1_sel:DWORD
	s_mov_b64 s[4:5], -1
                                        ; implicit-def: $sgpr10
	s_and_saveexec_b64 s[8:9], s[12:13]
; %bb.2238:
	s_mov_b32 s10, 0x7f800001
	s_xor_b64 s[4:5], exec, -1
; %bb.2239:
	s_or_b64 exec, exec, s[8:9]
	s_and_b64 s[4:5], s[4:5], exec
	s_or_saveexec_b64 s[6:7], s[6:7]
	v_mov_b32_e32 v6, s10
	s_xor_b64 exec, exec, s[6:7]
	s_cbranch_execz .LBB15_190
.LBB15_2240:
	v_mov_b32_e32 v6, 0
	v_cmp_ne_u16_sdwa s[8:9], v3, v6 src0_sel:BYTE_3 src1_sel:DWORD
	s_andn2_b64 s[4:5], s[4:5], exec
	s_and_b64 s[8:9], s[8:9], exec
	s_or_b64 s[4:5], s[4:5], s[8:9]
	s_or_b64 exec, exec, s[6:7]
	s_and_saveexec_b64 s[6:7], s[4:5]
	s_cbranch_execnz .LBB15_191
	s_branch .LBB15_192
.LBB15_2241:
	s_movk_i32 s4, 0x80
	v_cmp_eq_u16_sdwa s[12:13], v8, s4 src0_sel:BYTE_0 src1_sel:DWORD
	s_mov_b64 s[4:5], -1
                                        ; implicit-def: $sgpr10
	s_and_saveexec_b64 s[8:9], s[12:13]
; %bb.2242:
	s_mov_b32 s10, 0x7f800001
	s_xor_b64 s[4:5], exec, -1
; %bb.2243:
	s_or_b64 exec, exec, s[8:9]
	s_and_b64 s[4:5], s[4:5], exec
	s_or_saveexec_b64 s[6:7], s[6:7]
	v_mov_b32_e32 v2, s10
	s_xor_b64 exec, exec, s[6:7]
	s_cbranch_execz .LBB15_194
.LBB15_2244:
	v_mov_b32_e32 v2, 0
	v_cmp_ne_u16_sdwa s[8:9], v8, v2 src0_sel:BYTE_0 src1_sel:DWORD
	s_andn2_b64 s[4:5], s[4:5], exec
	s_and_b64 s[8:9], s[8:9], exec
	s_or_b64 s[4:5], s[4:5], s[8:9]
	s_or_b64 exec, exec, s[6:7]
	s_and_saveexec_b64 s[6:7], s[4:5]
	s_cbranch_execnz .LBB15_195
	s_branch .LBB15_196
.LBB15_2245:
	s_movk_i32 s4, 0x80
	v_cmp_eq_u16_sdwa s[12:13], v4, s4 src0_sel:BYTE_0 src1_sel:DWORD
	s_mov_b64 s[4:5], -1
                                        ; implicit-def: $sgpr10
	s_and_saveexec_b64 s[8:9], s[12:13]
; %bb.2246:
	s_mov_b32 s10, 0x7f800001
	s_xor_b64 s[4:5], exec, -1
; %bb.2247:
	s_or_b64 exec, exec, s[8:9]
	s_and_b64 s[4:5], s[4:5], exec
	s_or_saveexec_b64 s[6:7], s[6:7]
	v_mov_b32_e32 v3, s10
	s_xor_b64 exec, exec, s[6:7]
	s_cbranch_execz .LBB15_198
.LBB15_2248:
	v_mov_b32_e32 v3, 0
	v_cmp_ne_u16_sdwa s[8:9], v4, v3 src0_sel:BYTE_0 src1_sel:DWORD
	s_andn2_b64 s[4:5], s[4:5], exec
	s_and_b64 s[8:9], s[8:9], exec
	s_or_b64 s[4:5], s[4:5], s[8:9]
	s_or_b64 exec, exec, s[6:7]
	s_and_saveexec_b64 s[6:7], s[4:5]
	s_cbranch_execnz .LBB15_199
	s_branch .LBB15_200
.LBB15_2249:
	s_movk_i32 s4, 0x80
	v_cmp_eq_u16_sdwa s[12:13], v3, s4 src0_sel:BYTE_0 src1_sel:DWORD
	s_mov_b64 s[4:5], -1
                                        ; implicit-def: $sgpr10
	s_and_saveexec_b64 s[8:9], s[12:13]
; %bb.2250:
	s_mov_b32 s10, 0x7f800001
	s_xor_b64 s[4:5], exec, -1
; %bb.2251:
	s_or_b64 exec, exec, s[8:9]
	s_and_b64 s[4:5], s[4:5], exec
	s_or_saveexec_b64 s[6:7], s[6:7]
	v_mov_b32_e32 v2, s10
	s_xor_b64 exec, exec, s[6:7]
	s_cbranch_execz .LBB15_202
.LBB15_2252:
	v_mov_b32_e32 v2, 0
	v_cmp_ne_u16_sdwa s[8:9], v3, v2 src0_sel:BYTE_0 src1_sel:DWORD
	s_andn2_b64 s[4:5], s[4:5], exec
	s_and_b64 s[8:9], s[8:9], exec
	s_or_b64 s[4:5], s[4:5], s[8:9]
	s_or_b64 exec, exec, s[6:7]
	s_and_saveexec_b64 s[6:7], s[4:5]
	s_cbranch_execnz .LBB15_203
	s_branch .LBB15_204
.LBB15_2253:
	s_movk_i32 s4, 0x80
	v_cmp_eq_u16_sdwa s[12:13], v3, s4 src0_sel:BYTE_0 src1_sel:DWORD
	s_mov_b64 s[4:5], -1
                                        ; implicit-def: $sgpr10
	s_and_saveexec_b64 s[8:9], s[12:13]
; %bb.2254:
	s_mov_b32 s10, 0x7f800001
	s_xor_b64 s[4:5], exec, -1
; %bb.2255:
	s_or_b64 exec, exec, s[8:9]
	s_and_b64 s[4:5], s[4:5], exec
	s_or_saveexec_b64 s[6:7], s[6:7]
	v_mov_b32_e32 v6, s10
	s_xor_b64 exec, exec, s[6:7]
	s_cbranch_execz .LBB15_206
.LBB15_2256:
	v_mov_b32_e32 v6, 0
	v_cmp_ne_u16_sdwa s[8:9], v3, v6 src0_sel:BYTE_0 src1_sel:DWORD
	s_andn2_b64 s[4:5], s[4:5], exec
	s_and_b64 s[8:9], s[8:9], exec
	s_or_b64 s[4:5], s[4:5], s[8:9]
	s_or_b64 exec, exec, s[6:7]
	s_and_saveexec_b64 s[6:7], s[4:5]
	s_cbranch_execnz .LBB15_207
	s_branch .LBB15_208
.LBB15_2257:
	s_movk_i32 s4, 0x80
	v_cmp_eq_u16_e32 vcc, s4, v3
	s_mov_b64 s[4:5], -1
                                        ; implicit-def: $sgpr10
	s_and_saveexec_b64 s[8:9], vcc
; %bb.2258:
	s_mov_b32 s10, 0x7f800001
	s_xor_b64 s[4:5], exec, -1
; %bb.2259:
	s_or_b64 exec, exec, s[8:9]
	s_and_b64 s[4:5], s[4:5], exec
                                        ; implicit-def: $vgpr3
	s_or_saveexec_b64 s[6:7], s[6:7]
	v_mov_b32_e32 v2, s10
	s_xor_b64 exec, exec, s[6:7]
	s_cbranch_execz .LBB15_210
.LBB15_2260:
	v_cmp_ne_u16_e32 vcc, 0, v3
	s_andn2_b64 s[4:5], s[4:5], exec
	s_and_b64 s[8:9], vcc, exec
	v_mov_b32_e32 v2, 0
	s_or_b64 s[4:5], s[4:5], s[8:9]
	s_or_b64 exec, exec, s[6:7]
	s_and_saveexec_b64 s[6:7], s[4:5]
	s_cbranch_execnz .LBB15_211
	s_branch .LBB15_212
.LBB15_2261:
	s_movk_i32 s4, 0x80
	v_cmp_eq_u16_e32 vcc, s4, v3
	s_mov_b64 s[4:5], -1
                                        ; implicit-def: $sgpr10
	s_and_saveexec_b64 s[8:9], vcc
; %bb.2262:
	s_mov_b32 s10, 0x7f800001
	s_xor_b64 s[4:5], exec, -1
; %bb.2263:
	s_or_b64 exec, exec, s[8:9]
	s_and_b64 s[4:5], s[4:5], exec
                                        ; implicit-def: $vgpr3
	s_or_saveexec_b64 s[6:7], s[6:7]
	v_mov_b32_e32 v6, s10
	s_xor_b64 exec, exec, s[6:7]
	s_cbranch_execz .LBB15_214
.LBB15_2264:
	v_cmp_ne_u16_e32 vcc, 0, v3
	s_andn2_b64 s[4:5], s[4:5], exec
	s_and_b64 s[8:9], vcc, exec
	v_mov_b32_e32 v6, 0
	s_or_b64 s[4:5], s[4:5], s[8:9]
	s_or_b64 exec, exec, s[6:7]
	s_and_saveexec_b64 s[6:7], s[4:5]
	s_cbranch_execnz .LBB15_215
	s_branch .LBB15_216
.LBB15_2265:
	s_movk_i32 s4, 0x80
	v_cmp_eq_u16_sdwa s[12:13], v8, s4 src0_sel:BYTE_3 src1_sel:DWORD
	s_mov_b64 s[4:5], -1
                                        ; implicit-def: $sgpr10
	s_and_saveexec_b64 s[8:9], s[12:13]
; %bb.2266:
	s_mov_b32 s10, 0x7f800001
	s_xor_b64 s[4:5], exec, -1
; %bb.2267:
	s_or_b64 exec, exec, s[8:9]
	s_and_b64 s[4:5], s[4:5], exec
	s_or_saveexec_b64 s[6:7], s[6:7]
	v_mov_b32_e32 v2, s10
	s_xor_b64 exec, exec, s[6:7]
	s_cbranch_execz .LBB15_218
.LBB15_2268:
	v_mov_b32_e32 v2, 0
	v_cmp_ne_u16_sdwa s[8:9], v8, v2 src0_sel:BYTE_3 src1_sel:DWORD
	s_andn2_b64 s[4:5], s[4:5], exec
	s_and_b64 s[8:9], s[8:9], exec
	s_or_b64 s[4:5], s[4:5], s[8:9]
	s_or_b64 exec, exec, s[6:7]
	s_and_saveexec_b64 s[6:7], s[4:5]
	s_cbranch_execnz .LBB15_219
	s_branch .LBB15_220
.LBB15_2269:
	s_movk_i32 s4, 0x80
	v_cmp_eq_u16_sdwa s[12:13], v4, s4 src0_sel:BYTE_3 src1_sel:DWORD
	s_mov_b64 s[4:5], -1
                                        ; implicit-def: $sgpr10
	s_and_saveexec_b64 s[8:9], s[12:13]
; %bb.2270:
	s_mov_b32 s10, 0x7f800001
	s_xor_b64 s[4:5], exec, -1
; %bb.2271:
	s_or_b64 exec, exec, s[8:9]
	s_and_b64 s[4:5], s[4:5], exec
	s_or_saveexec_b64 s[6:7], s[6:7]
	v_mov_b32_e32 v3, s10
	s_xor_b64 exec, exec, s[6:7]
	s_cbranch_execz .LBB15_222
.LBB15_2272:
	v_mov_b32_e32 v3, 0
	v_cmp_ne_u16_sdwa s[8:9], v4, v3 src0_sel:BYTE_3 src1_sel:DWORD
	s_andn2_b64 s[4:5], s[4:5], exec
	s_and_b64 s[8:9], s[8:9], exec
	s_or_b64 s[4:5], s[4:5], s[8:9]
	s_or_b64 exec, exec, s[6:7]
	s_and_saveexec_b64 s[6:7], s[4:5]
	s_cbranch_execnz .LBB15_223
	s_branch .LBB15_224
.LBB15_2273:
	s_movk_i32 s4, 0x80
	v_cmp_eq_u16_sdwa s[12:13], v9, s4 src0_sel:BYTE_0 src1_sel:DWORD
	s_mov_b64 s[4:5], -1
                                        ; implicit-def: $sgpr10
	s_and_saveexec_b64 s[8:9], s[12:13]
; %bb.2274:
	s_mov_b32 s10, 0x7f800001
	s_xor_b64 s[4:5], exec, -1
; %bb.2275:
	s_or_b64 exec, exec, s[8:9]
	s_and_b64 s[4:5], s[4:5], exec
	s_or_saveexec_b64 s[6:7], s[6:7]
	v_mov_b32_e32 v2, s10
	s_xor_b64 exec, exec, s[6:7]
	s_cbranch_execz .LBB15_226
.LBB15_2276:
	v_mov_b32_e32 v2, 0
	v_cmp_ne_u16_sdwa s[8:9], v9, v2 src0_sel:BYTE_0 src1_sel:DWORD
	s_andn2_b64 s[4:5], s[4:5], exec
	s_and_b64 s[8:9], s[8:9], exec
	s_or_b64 s[4:5], s[4:5], s[8:9]
	s_or_b64 exec, exec, s[6:7]
	s_and_saveexec_b64 s[6:7], s[4:5]
	s_cbranch_execnz .LBB15_227
	s_branch .LBB15_228
.LBB15_2277:
	s_movk_i32 s4, 0x80
	v_cmp_eq_u16_sdwa s[12:13], v5, s4 src0_sel:BYTE_0 src1_sel:DWORD
	s_mov_b64 s[4:5], -1
                                        ; implicit-def: $sgpr10
	s_and_saveexec_b64 s[8:9], s[12:13]
; %bb.2278:
	s_mov_b32 s10, 0x7f800001
	s_xor_b64 s[4:5], exec, -1
; %bb.2279:
	s_or_b64 exec, exec, s[8:9]
	s_and_b64 s[4:5], s[4:5], exec
	s_or_saveexec_b64 s[6:7], s[6:7]
	v_mov_b32_e32 v3, s10
	s_xor_b64 exec, exec, s[6:7]
	s_cbranch_execz .LBB15_230
.LBB15_2280:
	v_mov_b32_e32 v3, 0
	v_cmp_ne_u16_sdwa s[8:9], v5, v3 src0_sel:BYTE_0 src1_sel:DWORD
	s_andn2_b64 s[4:5], s[4:5], exec
	s_and_b64 s[8:9], s[8:9], exec
	s_or_b64 s[4:5], s[4:5], s[8:9]
	s_or_b64 exec, exec, s[6:7]
	s_and_saveexec_b64 s[6:7], s[4:5]
	s_cbranch_execnz .LBB15_231
	s_branch .LBB15_232
.LBB15_2281:
	s_movk_i32 s4, 0x80
	v_cmp_eq_u16_sdwa s[12:13], v3, s4 src0_sel:BYTE_0 src1_sel:DWORD
	s_mov_b64 s[4:5], -1
                                        ; implicit-def: $sgpr10
	s_and_saveexec_b64 s[8:9], s[12:13]
; %bb.2282:
	s_mov_b32 s10, 0x7f800001
	s_xor_b64 s[4:5], exec, -1
; %bb.2283:
	s_or_b64 exec, exec, s[8:9]
	s_and_b64 s[4:5], s[4:5], exec
	s_or_saveexec_b64 s[6:7], s[6:7]
	v_mov_b32_e32 v2, s10
	s_xor_b64 exec, exec, s[6:7]
	s_cbranch_execz .LBB15_234
.LBB15_2284:
	v_mov_b32_e32 v2, 0
	v_cmp_ne_u16_sdwa s[8:9], v3, v2 src0_sel:BYTE_0 src1_sel:DWORD
	s_andn2_b64 s[4:5], s[4:5], exec
	s_and_b64 s[8:9], s[8:9], exec
	s_or_b64 s[4:5], s[4:5], s[8:9]
	s_or_b64 exec, exec, s[6:7]
	s_and_saveexec_b64 s[6:7], s[4:5]
	s_cbranch_execnz .LBB15_235
	s_branch .LBB15_236
.LBB15_2285:
	s_movk_i32 s4, 0x80
	v_cmp_eq_u16_sdwa s[12:13], v3, s4 src0_sel:BYTE_0 src1_sel:DWORD
	s_mov_b64 s[4:5], -1
                                        ; implicit-def: $sgpr10
	s_and_saveexec_b64 s[8:9], s[12:13]
; %bb.2286:
	s_mov_b32 s10, 0x7f800001
	s_xor_b64 s[4:5], exec, -1
; %bb.2287:
	s_or_b64 exec, exec, s[8:9]
	s_and_b64 s[4:5], s[4:5], exec
	s_or_saveexec_b64 s[6:7], s[6:7]
	v_mov_b32_e32 v4, s10
	s_xor_b64 exec, exec, s[6:7]
	s_cbranch_execz .LBB15_238
.LBB15_2288:
	v_mov_b32_e32 v4, 0
	v_cmp_ne_u16_sdwa s[8:9], v3, v4 src0_sel:BYTE_0 src1_sel:DWORD
	s_andn2_b64 s[4:5], s[4:5], exec
	s_and_b64 s[8:9], s[8:9], exec
	s_or_b64 s[4:5], s[4:5], s[8:9]
	s_or_b64 exec, exec, s[6:7]
	s_and_saveexec_b64 s[6:7], s[4:5]
	s_cbranch_execnz .LBB15_239
	s_branch .LBB15_240
.LBB15_2289:
	s_movk_i32 s4, 0x80
	v_cmp_eq_u16_e32 vcc, s4, v3
	s_mov_b64 s[4:5], -1
                                        ; implicit-def: $sgpr10
	s_and_saveexec_b64 s[8:9], vcc
; %bb.2290:
	s_mov_b32 s10, 0x7f800001
	s_xor_b64 s[4:5], exec, -1
; %bb.2291:
	s_or_b64 exec, exec, s[8:9]
	s_and_b64 s[4:5], s[4:5], exec
                                        ; implicit-def: $vgpr3
	s_or_saveexec_b64 s[6:7], s[6:7]
	v_mov_b32_e32 v2, s10
	s_xor_b64 exec, exec, s[6:7]
	s_cbranch_execz .LBB15_242
.LBB15_2292:
	v_cmp_ne_u16_e32 vcc, 0, v3
	s_andn2_b64 s[4:5], s[4:5], exec
	s_and_b64 s[8:9], vcc, exec
	v_mov_b32_e32 v2, 0
	s_or_b64 s[4:5], s[4:5], s[8:9]
	s_or_b64 exec, exec, s[6:7]
	s_and_saveexec_b64 s[6:7], s[4:5]
	s_cbranch_execnz .LBB15_243
	s_branch .LBB15_244
.LBB15_2293:
	s_movk_i32 s4, 0x80
	v_cmp_eq_u16_e32 vcc, s4, v3
	s_mov_b64 s[4:5], -1
                                        ; implicit-def: $sgpr10
	s_and_saveexec_b64 s[8:9], vcc
; %bb.2294:
	s_mov_b32 s10, 0x7f800001
	s_xor_b64 s[4:5], exec, -1
; %bb.2295:
	s_or_b64 exec, exec, s[8:9]
	s_and_b64 s[4:5], s[4:5], exec
                                        ; implicit-def: $vgpr3
	s_or_saveexec_b64 s[6:7], s[6:7]
	v_mov_b32_e32 v4, s10
	s_xor_b64 exec, exec, s[6:7]
	s_cbranch_execz .LBB15_246
.LBB15_2296:
	v_cmp_ne_u16_e32 vcc, 0, v3
	s_andn2_b64 s[4:5], s[4:5], exec
	s_and_b64 s[8:9], vcc, exec
	v_mov_b32_e32 v4, 0
	s_or_b64 s[4:5], s[4:5], s[8:9]
	s_or_b64 exec, exec, s[6:7]
	s_and_saveexec_b64 s[6:7], s[4:5]
	s_cbranch_execnz .LBB15_247
	s_branch .LBB15_248
.LBB15_2297:
	s_movk_i32 s4, 0x80
	v_cmp_eq_u16_sdwa s[12:13], v9, s4 src0_sel:BYTE_3 src1_sel:DWORD
	s_mov_b64 s[4:5], -1
                                        ; implicit-def: $sgpr10
	s_and_saveexec_b64 s[8:9], s[12:13]
; %bb.2298:
	s_mov_b32 s10, 0x7f800001
	s_xor_b64 s[4:5], exec, -1
; %bb.2299:
	s_or_b64 exec, exec, s[8:9]
	s_and_b64 s[4:5], s[4:5], exec
	s_or_saveexec_b64 s[6:7], s[6:7]
	v_mov_b32_e32 v2, s10
	s_xor_b64 exec, exec, s[6:7]
	s_cbranch_execz .LBB15_250
.LBB15_2300:
	v_mov_b32_e32 v2, 0
	v_cmp_ne_u16_sdwa s[8:9], v9, v2 src0_sel:BYTE_3 src1_sel:DWORD
	s_andn2_b64 s[4:5], s[4:5], exec
	s_and_b64 s[8:9], s[8:9], exec
	s_or_b64 s[4:5], s[4:5], s[8:9]
	s_or_b64 exec, exec, s[6:7]
	s_and_saveexec_b64 s[6:7], s[4:5]
	s_cbranch_execnz .LBB15_251
	s_branch .LBB15_252
.LBB15_2301:
	s_movk_i32 s4, 0x80
	v_cmp_eq_u16_sdwa s[12:13], v5, s4 src0_sel:BYTE_3 src1_sel:DWORD
	s_mov_b64 s[4:5], -1
                                        ; implicit-def: $sgpr10
	s_and_saveexec_b64 s[8:9], s[12:13]
; %bb.2302:
	s_mov_b32 s10, 0x7f800001
	s_xor_b64 s[4:5], exec, -1
; %bb.2303:
	s_or_b64 exec, exec, s[8:9]
	s_and_b64 s[4:5], s[4:5], exec
	s_or_saveexec_b64 s[6:7], s[6:7]
	v_mov_b32_e32 v3, s10
	s_xor_b64 exec, exec, s[6:7]
	s_cbranch_execz .LBB15_254
.LBB15_2304:
	v_mov_b32_e32 v3, 0
	v_cmp_ne_u16_sdwa s[8:9], v5, v3 src0_sel:BYTE_3 src1_sel:DWORD
	s_andn2_b64 s[4:5], s[4:5], exec
	s_and_b64 s[8:9], s[8:9], exec
	s_or_b64 s[4:5], s[4:5], s[8:9]
	s_or_b64 exec, exec, s[6:7]
	s_and_saveexec_b64 s[6:7], s[4:5]
	s_cbranch_execnz .LBB15_255
	s_branch .LBB15_256
.LBB15_2305:
	s_movk_i32 s4, 0x80
	v_cmp_eq_u16_sdwa s[12:13], v14, s4 src0_sel:BYTE_0 src1_sel:DWORD
	s_mov_b64 s[4:5], -1
                                        ; implicit-def: $sgpr10
	s_and_saveexec_b64 s[8:9], s[12:13]
; %bb.2306:
	s_mov_b32 s10, 0x7f800001
	s_xor_b64 s[4:5], exec, -1
; %bb.2307:
	s_or_b64 exec, exec, s[8:9]
	s_and_b64 s[4:5], s[4:5], exec
	s_or_saveexec_b64 s[6:7], s[6:7]
	v_mov_b32_e32 v20, s10
	s_xor_b64 exec, exec, s[6:7]
	s_cbranch_execz .LBB15_258
.LBB15_2308:
	v_mov_b32_e32 v20, 0
	v_cmp_ne_u16_sdwa s[8:9], v14, v20 src0_sel:BYTE_0 src1_sel:DWORD
	s_andn2_b64 s[4:5], s[4:5], exec
	s_and_b64 s[8:9], s[8:9], exec
	s_or_b64 s[4:5], s[4:5], s[8:9]
	s_or_b64 exec, exec, s[6:7]
	s_and_saveexec_b64 s[6:7], s[4:5]
	s_cbranch_execnz .LBB15_259
	s_branch .LBB15_260
.LBB15_2309:
	s_movk_i32 s4, 0x80
	v_cmp_eq_u16_sdwa s[12:13], v10, s4 src0_sel:BYTE_0 src1_sel:DWORD
	s_mov_b64 s[4:5], -1
                                        ; implicit-def: $sgpr10
	s_and_saveexec_b64 s[8:9], s[12:13]
; %bb.2310:
	s_mov_b32 s10, 0x7f800001
	s_xor_b64 s[4:5], exec, -1
; %bb.2311:
	s_or_b64 exec, exec, s[8:9]
	s_and_b64 s[4:5], s[4:5], exec
	s_or_saveexec_b64 s[6:7], s[6:7]
	v_mov_b32_e32 v21, s10
	s_xor_b64 exec, exec, s[6:7]
	s_cbranch_execz .LBB15_262
.LBB15_2312:
	v_mov_b32_e32 v21, 0
	v_cmp_ne_u16_sdwa s[8:9], v10, v21 src0_sel:BYTE_0 src1_sel:DWORD
	s_andn2_b64 s[4:5], s[4:5], exec
	s_and_b64 s[8:9], s[8:9], exec
	s_or_b64 s[4:5], s[4:5], s[8:9]
	s_or_b64 exec, exec, s[6:7]
	s_and_saveexec_b64 s[6:7], s[4:5]
	s_cbranch_execnz .LBB15_263
	s_branch .LBB15_264
.LBB15_2313:
	s_movk_i32 s4, 0x80
	v_cmp_eq_u16_sdwa s[12:13], v21, s4 src0_sel:BYTE_0 src1_sel:DWORD
	s_mov_b64 s[4:5], -1
                                        ; implicit-def: $sgpr10
	s_and_saveexec_b64 s[8:9], s[12:13]
; %bb.2314:
	s_mov_b32 s10, 0x7f800001
	s_xor_b64 s[4:5], exec, -1
; %bb.2315:
	s_or_b64 exec, exec, s[8:9]
	s_and_b64 s[4:5], s[4:5], exec
	s_or_saveexec_b64 s[6:7], s[6:7]
	v_mov_b32_e32 v20, s10
	s_xor_b64 exec, exec, s[6:7]
	s_cbranch_execz .LBB15_266
.LBB15_2316:
	v_mov_b32_e32 v20, 0
	v_cmp_ne_u16_sdwa s[8:9], v21, v20 src0_sel:BYTE_0 src1_sel:DWORD
	s_andn2_b64 s[4:5], s[4:5], exec
	s_and_b64 s[8:9], s[8:9], exec
	s_or_b64 s[4:5], s[4:5], s[8:9]
	s_or_b64 exec, exec, s[6:7]
	s_and_saveexec_b64 s[6:7], s[4:5]
	s_cbranch_execnz .LBB15_267
	s_branch .LBB15_268
.LBB15_2317:
	s_movk_i32 s4, 0x80
	v_cmp_eq_u16_sdwa s[12:13], v21, s4 src0_sel:BYTE_0 src1_sel:DWORD
	s_mov_b64 s[4:5], -1
                                        ; implicit-def: $sgpr10
	s_and_saveexec_b64 s[8:9], s[12:13]
; %bb.2318:
	s_mov_b32 s10, 0x7f800001
	s_xor_b64 s[4:5], exec, -1
; %bb.2319:
	s_or_b64 exec, exec, s[8:9]
	s_and_b64 s[4:5], s[4:5], exec
	s_or_saveexec_b64 s[6:7], s[6:7]
	v_mov_b32_e32 v22, s10
	s_xor_b64 exec, exec, s[6:7]
	s_cbranch_execz .LBB15_270
.LBB15_2320:
	v_mov_b32_e32 v22, 0
	v_cmp_ne_u16_sdwa s[8:9], v21, v22 src0_sel:BYTE_0 src1_sel:DWORD
	s_andn2_b64 s[4:5], s[4:5], exec
	s_and_b64 s[8:9], s[8:9], exec
	s_or_b64 s[4:5], s[4:5], s[8:9]
	s_or_b64 exec, exec, s[6:7]
	s_and_saveexec_b64 s[6:7], s[4:5]
	s_cbranch_execnz .LBB15_271
	s_branch .LBB15_272
.LBB15_2321:
	s_movk_i32 s4, 0x80
	v_cmp_eq_u16_e32 vcc, s4, v21
	s_mov_b64 s[4:5], -1
                                        ; implicit-def: $sgpr10
	s_and_saveexec_b64 s[8:9], vcc
; %bb.2322:
	s_mov_b32 s10, 0x7f800001
	s_xor_b64 s[4:5], exec, -1
; %bb.2323:
	s_or_b64 exec, exec, s[8:9]
	s_and_b64 s[4:5], s[4:5], exec
                                        ; implicit-def: $vgpr21
	s_or_saveexec_b64 s[6:7], s[6:7]
	v_mov_b32_e32 v20, s10
	s_xor_b64 exec, exec, s[6:7]
	s_cbranch_execz .LBB15_274
.LBB15_2324:
	v_cmp_ne_u16_e32 vcc, 0, v21
	s_andn2_b64 s[4:5], s[4:5], exec
	s_and_b64 s[8:9], vcc, exec
	v_mov_b32_e32 v20, 0
	s_or_b64 s[4:5], s[4:5], s[8:9]
	s_or_b64 exec, exec, s[6:7]
	s_and_saveexec_b64 s[6:7], s[4:5]
	s_cbranch_execnz .LBB15_275
	s_branch .LBB15_276
.LBB15_2325:
	s_movk_i32 s4, 0x80
	v_cmp_eq_u16_e32 vcc, s4, v21
	s_mov_b64 s[4:5], -1
                                        ; implicit-def: $sgpr10
	s_and_saveexec_b64 s[8:9], vcc
; %bb.2326:
	s_mov_b32 s10, 0x7f800001
	s_xor_b64 s[4:5], exec, -1
; %bb.2327:
	s_or_b64 exec, exec, s[8:9]
	s_and_b64 s[4:5], s[4:5], exec
                                        ; implicit-def: $vgpr21
	s_or_saveexec_b64 s[6:7], s[6:7]
	v_mov_b32_e32 v22, s10
	s_xor_b64 exec, exec, s[6:7]
	s_cbranch_execz .LBB15_278
.LBB15_2328:
	v_cmp_ne_u16_e32 vcc, 0, v21
	s_andn2_b64 s[4:5], s[4:5], exec
	s_and_b64 s[8:9], vcc, exec
	v_mov_b32_e32 v22, 0
	s_or_b64 s[4:5], s[4:5], s[8:9]
	s_or_b64 exec, exec, s[6:7]
	s_and_saveexec_b64 s[6:7], s[4:5]
	s_cbranch_execnz .LBB15_279
	s_branch .LBB15_280
.LBB15_2329:
	s_movk_i32 s4, 0x80
	v_cmp_eq_u16_sdwa s[12:13], v14, s4 src0_sel:BYTE_3 src1_sel:DWORD
	s_mov_b64 s[4:5], -1
                                        ; implicit-def: $sgpr10
	s_and_saveexec_b64 s[8:9], s[12:13]
; %bb.2330:
	s_mov_b32 s10, 0x7f800001
	s_xor_b64 s[4:5], exec, -1
; %bb.2331:
	s_or_b64 exec, exec, s[8:9]
	s_and_b64 s[4:5], s[4:5], exec
	s_or_saveexec_b64 s[6:7], s[6:7]
	v_mov_b32_e32 v20, s10
	s_xor_b64 exec, exec, s[6:7]
	s_cbranch_execz .LBB15_282
.LBB15_2332:
	v_mov_b32_e32 v20, 0
	v_cmp_ne_u16_sdwa s[8:9], v14, v20 src0_sel:BYTE_3 src1_sel:DWORD
	s_andn2_b64 s[4:5], s[4:5], exec
	s_and_b64 s[8:9], s[8:9], exec
	s_or_b64 s[4:5], s[4:5], s[8:9]
	s_or_b64 exec, exec, s[6:7]
	s_and_saveexec_b64 s[6:7], s[4:5]
	s_cbranch_execnz .LBB15_283
	s_branch .LBB15_284
.LBB15_2333:
	s_movk_i32 s4, 0x80
	v_cmp_eq_u16_sdwa s[12:13], v10, s4 src0_sel:BYTE_3 src1_sel:DWORD
	s_mov_b64 s[4:5], -1
                                        ; implicit-def: $sgpr10
	s_and_saveexec_b64 s[8:9], s[12:13]
; %bb.2334:
	s_mov_b32 s10, 0x7f800001
	s_xor_b64 s[4:5], exec, -1
; %bb.2335:
	s_or_b64 exec, exec, s[8:9]
	s_and_b64 s[4:5], s[4:5], exec
	s_or_saveexec_b64 s[6:7], s[6:7]
	v_mov_b32_e32 v14, s10
	s_xor_b64 exec, exec, s[6:7]
	s_cbranch_execz .LBB15_286
.LBB15_2336:
	v_mov_b32_e32 v14, 0
	v_cmp_ne_u16_sdwa s[8:9], v10, v14 src0_sel:BYTE_3 src1_sel:DWORD
	s_andn2_b64 s[4:5], s[4:5], exec
	s_and_b64 s[8:9], s[8:9], exec
	s_or_b64 s[4:5], s[4:5], s[8:9]
	s_or_b64 exec, exec, s[6:7]
	s_and_saveexec_b64 s[6:7], s[4:5]
	s_cbranch_execnz .LBB15_287
	s_branch .LBB15_288
.LBB15_2337:
	s_movk_i32 s4, 0x80
	v_cmp_eq_u16_sdwa s[12:13], v15, s4 src0_sel:BYTE_0 src1_sel:DWORD
	s_mov_b64 s[4:5], -1
                                        ; implicit-def: $sgpr10
	s_and_saveexec_b64 s[8:9], s[12:13]
; %bb.2338:
	s_mov_b32 s10, 0x7f800001
	s_xor_b64 s[4:5], exec, -1
; %bb.2339:
	s_or_b64 exec, exec, s[8:9]
	s_and_b64 s[4:5], s[4:5], exec
	s_or_saveexec_b64 s[6:7], s[6:7]
	v_mov_b32_e32 v10, s10
	s_xor_b64 exec, exec, s[6:7]
	s_cbranch_execz .LBB15_290
.LBB15_2340:
	v_mov_b32_e32 v10, 0
	v_cmp_ne_u16_sdwa s[8:9], v15, v10 src0_sel:BYTE_0 src1_sel:DWORD
	s_andn2_b64 s[4:5], s[4:5], exec
	s_and_b64 s[8:9], s[8:9], exec
	s_or_b64 s[4:5], s[4:5], s[8:9]
	s_or_b64 exec, exec, s[6:7]
	s_and_saveexec_b64 s[6:7], s[4:5]
	s_cbranch_execnz .LBB15_291
	s_branch .LBB15_292
.LBB15_2341:
	s_movk_i32 s4, 0x80
	v_cmp_eq_u16_sdwa s[12:13], v11, s4 src0_sel:BYTE_0 src1_sel:DWORD
	s_mov_b64 s[4:5], -1
                                        ; implicit-def: $sgpr10
	s_and_saveexec_b64 s[8:9], s[12:13]
; %bb.2342:
	s_mov_b32 s10, 0x7f800001
	s_xor_b64 s[4:5], exec, -1
; %bb.2343:
	s_or_b64 exec, exec, s[8:9]
	s_and_b64 s[4:5], s[4:5], exec
	s_or_saveexec_b64 s[6:7], s[6:7]
	v_mov_b32_e32 v14, s10
	s_xor_b64 exec, exec, s[6:7]
	s_cbranch_execz .LBB15_294
.LBB15_2344:
	v_mov_b32_e32 v14, 0
	v_cmp_ne_u16_sdwa s[8:9], v11, v14 src0_sel:BYTE_0 src1_sel:DWORD
	s_andn2_b64 s[4:5], s[4:5], exec
	s_and_b64 s[8:9], s[8:9], exec
	s_or_b64 s[4:5], s[4:5], s[8:9]
	s_or_b64 exec, exec, s[6:7]
	s_and_saveexec_b64 s[6:7], s[4:5]
	s_cbranch_execnz .LBB15_295
	s_branch .LBB15_296
.LBB15_2345:
	s_movk_i32 s4, 0x80
	v_cmp_eq_u16_sdwa s[12:13], v14, s4 src0_sel:BYTE_0 src1_sel:DWORD
	s_mov_b64 s[4:5], -1
                                        ; implicit-def: $sgpr10
	s_and_saveexec_b64 s[8:9], s[12:13]
; %bb.2346:
	s_mov_b32 s10, 0x7f800001
	s_xor_b64 s[4:5], exec, -1
; %bb.2347:
	s_or_b64 exec, exec, s[8:9]
	s_and_b64 s[4:5], s[4:5], exec
	s_or_saveexec_b64 s[6:7], s[6:7]
	v_mov_b32_e32 v10, s10
	s_xor_b64 exec, exec, s[6:7]
	s_cbranch_execz .LBB15_298
.LBB15_2348:
	v_mov_b32_e32 v10, 0
	v_cmp_ne_u16_sdwa s[8:9], v14, v10 src0_sel:BYTE_0 src1_sel:DWORD
	s_andn2_b64 s[4:5], s[4:5], exec
	s_and_b64 s[8:9], s[8:9], exec
	s_or_b64 s[4:5], s[4:5], s[8:9]
	s_or_b64 exec, exec, s[6:7]
	s_and_saveexec_b64 s[6:7], s[4:5]
	s_cbranch_execnz .LBB15_299
	s_branch .LBB15_300
.LBB15_2349:
	s_movk_i32 s4, 0x80
	v_cmp_eq_u16_sdwa s[12:13], v14, s4 src0_sel:BYTE_0 src1_sel:DWORD
	s_mov_b64 s[4:5], -1
                                        ; implicit-def: $sgpr10
	s_and_saveexec_b64 s[8:9], s[12:13]
; %bb.2350:
	s_mov_b32 s10, 0x7f800001
	s_xor_b64 s[4:5], exec, -1
; %bb.2351:
	s_or_b64 exec, exec, s[8:9]
	s_and_b64 s[4:5], s[4:5], exec
	s_or_saveexec_b64 s[6:7], s[6:7]
	v_mov_b32_e32 v20, s10
	s_xor_b64 exec, exec, s[6:7]
	s_cbranch_execz .LBB15_302
.LBB15_2352:
	v_mov_b32_e32 v20, 0
	v_cmp_ne_u16_sdwa s[8:9], v14, v20 src0_sel:BYTE_0 src1_sel:DWORD
	s_andn2_b64 s[4:5], s[4:5], exec
	s_and_b64 s[8:9], s[8:9], exec
	s_or_b64 s[4:5], s[4:5], s[8:9]
	s_or_b64 exec, exec, s[6:7]
	s_and_saveexec_b64 s[6:7], s[4:5]
	s_cbranch_execnz .LBB15_303
	s_branch .LBB15_304
.LBB15_2353:
	s_movk_i32 s4, 0x80
	v_cmp_eq_u16_e32 vcc, s4, v14
	s_mov_b64 s[4:5], -1
                                        ; implicit-def: $sgpr10
	s_and_saveexec_b64 s[8:9], vcc
; %bb.2354:
	s_mov_b32 s10, 0x7f800001
	s_xor_b64 s[4:5], exec, -1
; %bb.2355:
	s_or_b64 exec, exec, s[8:9]
	s_and_b64 s[4:5], s[4:5], exec
                                        ; implicit-def: $vgpr14
	s_or_saveexec_b64 s[6:7], s[6:7]
	v_mov_b32_e32 v10, s10
	s_xor_b64 exec, exec, s[6:7]
	s_cbranch_execz .LBB15_306
.LBB15_2356:
	v_cmp_ne_u16_e32 vcc, 0, v14
	s_andn2_b64 s[4:5], s[4:5], exec
	s_and_b64 s[8:9], vcc, exec
	v_mov_b32_e32 v10, 0
	s_or_b64 s[4:5], s[4:5], s[8:9]
	s_or_b64 exec, exec, s[6:7]
	s_and_saveexec_b64 s[6:7], s[4:5]
	s_cbranch_execnz .LBB15_307
	s_branch .LBB15_308
.LBB15_2357:
	s_movk_i32 s4, 0x80
	v_cmp_eq_u16_e32 vcc, s4, v14
	s_mov_b64 s[4:5], -1
                                        ; implicit-def: $sgpr10
	s_and_saveexec_b64 s[8:9], vcc
; %bb.2358:
	s_mov_b32 s10, 0x7f800001
	s_xor_b64 s[4:5], exec, -1
; %bb.2359:
	s_or_b64 exec, exec, s[8:9]
	s_and_b64 s[4:5], s[4:5], exec
                                        ; implicit-def: $vgpr14
	s_or_saveexec_b64 s[6:7], s[6:7]
	v_mov_b32_e32 v20, s10
	s_xor_b64 exec, exec, s[6:7]
	s_cbranch_execz .LBB15_310
.LBB15_2360:
	v_cmp_ne_u16_e32 vcc, 0, v14
	s_andn2_b64 s[4:5], s[4:5], exec
	s_and_b64 s[8:9], vcc, exec
	v_mov_b32_e32 v20, 0
	s_or_b64 s[4:5], s[4:5], s[8:9]
	s_or_b64 exec, exec, s[6:7]
	s_and_saveexec_b64 s[6:7], s[4:5]
	s_cbranch_execnz .LBB15_311
	s_branch .LBB15_312
.LBB15_2361:
	s_movk_i32 s4, 0x80
	v_cmp_eq_u16_sdwa s[12:13], v15, s4 src0_sel:BYTE_3 src1_sel:DWORD
	s_mov_b64 s[4:5], -1
                                        ; implicit-def: $sgpr10
	s_and_saveexec_b64 s[8:9], s[12:13]
; %bb.2362:
	s_mov_b32 s10, 0x7f800001
	s_xor_b64 s[4:5], exec, -1
; %bb.2363:
	s_or_b64 exec, exec, s[8:9]
	s_and_b64 s[4:5], s[4:5], exec
	s_or_saveexec_b64 s[6:7], s[6:7]
	v_mov_b32_e32 v10, s10
	s_xor_b64 exec, exec, s[6:7]
	s_cbranch_execz .LBB15_314
.LBB15_2364:
	v_mov_b32_e32 v10, 0
	v_cmp_ne_u16_sdwa s[8:9], v15, v10 src0_sel:BYTE_3 src1_sel:DWORD
	s_andn2_b64 s[4:5], s[4:5], exec
	s_and_b64 s[8:9], s[8:9], exec
	s_or_b64 s[4:5], s[4:5], s[8:9]
	s_or_b64 exec, exec, s[6:7]
	s_and_saveexec_b64 s[6:7], s[4:5]
	s_cbranch_execnz .LBB15_315
	s_branch .LBB15_316
.LBB15_2365:
	s_movk_i32 s4, 0x80
	v_cmp_eq_u16_sdwa s[12:13], v11, s4 src0_sel:BYTE_3 src1_sel:DWORD
	s_mov_b64 s[4:5], -1
                                        ; implicit-def: $sgpr10
	s_and_saveexec_b64 s[8:9], s[12:13]
; %bb.2366:
	s_mov_b32 s10, 0x7f800001
	s_xor_b64 s[4:5], exec, -1
; %bb.2367:
	s_or_b64 exec, exec, s[8:9]
	s_and_b64 s[4:5], s[4:5], exec
	s_or_saveexec_b64 s[6:7], s[6:7]
	v_mov_b32_e32 v14, s10
	s_xor_b64 exec, exec, s[6:7]
	s_cbranch_execz .LBB15_318
.LBB15_2368:
	v_mov_b32_e32 v14, 0
	v_cmp_ne_u16_sdwa s[8:9], v11, v14 src0_sel:BYTE_3 src1_sel:DWORD
	s_andn2_b64 s[4:5], s[4:5], exec
	s_and_b64 s[8:9], s[8:9], exec
	s_or_b64 s[4:5], s[4:5], s[8:9]
	s_or_b64 exec, exec, s[6:7]
	s_and_saveexec_b64 s[6:7], s[4:5]
	s_cbranch_execnz .LBB15_319
	s_branch .LBB15_320
.LBB15_2369:
	s_movk_i32 s4, 0x80
	v_cmp_eq_u16_sdwa s[12:13], v16, s4 src0_sel:BYTE_0 src1_sel:DWORD
	s_mov_b64 s[4:5], -1
                                        ; implicit-def: $sgpr10
	s_and_saveexec_b64 s[8:9], s[12:13]
; %bb.2370:
	s_mov_b32 s10, 0x7f800001
	s_xor_b64 s[4:5], exec, -1
; %bb.2371:
	s_or_b64 exec, exec, s[8:9]
	s_and_b64 s[4:5], s[4:5], exec
	s_or_saveexec_b64 s[6:7], s[6:7]
	v_mov_b32_e32 v10, s10
	s_xor_b64 exec, exec, s[6:7]
	s_cbranch_execz .LBB15_322
.LBB15_2372:
	v_mov_b32_e32 v10, 0
	v_cmp_ne_u16_sdwa s[8:9], v16, v10 src0_sel:BYTE_0 src1_sel:DWORD
	s_andn2_b64 s[4:5], s[4:5], exec
	s_and_b64 s[8:9], s[8:9], exec
	s_or_b64 s[4:5], s[4:5], s[8:9]
	s_or_b64 exec, exec, s[6:7]
	s_and_saveexec_b64 s[6:7], s[4:5]
	s_cbranch_execnz .LBB15_323
	s_branch .LBB15_324
.LBB15_2373:
	s_movk_i32 s4, 0x80
	v_cmp_eq_u16_sdwa s[12:13], v12, s4 src0_sel:BYTE_0 src1_sel:DWORD
	s_mov_b64 s[4:5], -1
                                        ; implicit-def: $sgpr10
	s_and_saveexec_b64 s[8:9], s[12:13]
; %bb.2374:
	s_mov_b32 s10, 0x7f800001
	s_xor_b64 s[4:5], exec, -1
; %bb.2375:
	s_or_b64 exec, exec, s[8:9]
	s_and_b64 s[4:5], s[4:5], exec
	s_or_saveexec_b64 s[6:7], s[6:7]
	v_mov_b32_e32 v11, s10
	s_xor_b64 exec, exec, s[6:7]
	s_cbranch_execz .LBB15_326
.LBB15_2376:
	v_mov_b32_e32 v11, 0
	v_cmp_ne_u16_sdwa s[8:9], v12, v11 src0_sel:BYTE_0 src1_sel:DWORD
	s_andn2_b64 s[4:5], s[4:5], exec
	s_and_b64 s[8:9], s[8:9], exec
	s_or_b64 s[4:5], s[4:5], s[8:9]
	s_or_b64 exec, exec, s[6:7]
	s_and_saveexec_b64 s[6:7], s[4:5]
	s_cbranch_execnz .LBB15_327
	s_branch .LBB15_328
.LBB15_2377:
	s_movk_i32 s4, 0x80
	v_cmp_eq_u16_sdwa s[12:13], v11, s4 src0_sel:BYTE_0 src1_sel:DWORD
	s_mov_b64 s[4:5], -1
                                        ; implicit-def: $sgpr10
	s_and_saveexec_b64 s[8:9], s[12:13]
; %bb.2378:
	s_mov_b32 s10, 0x7f800001
	s_xor_b64 s[4:5], exec, -1
; %bb.2379:
	s_or_b64 exec, exec, s[8:9]
	s_and_b64 s[4:5], s[4:5], exec
	s_or_saveexec_b64 s[6:7], s[6:7]
	v_mov_b32_e32 v10, s10
	s_xor_b64 exec, exec, s[6:7]
	s_cbranch_execz .LBB15_330
.LBB15_2380:
	v_mov_b32_e32 v10, 0
	v_cmp_ne_u16_sdwa s[8:9], v11, v10 src0_sel:BYTE_0 src1_sel:DWORD
	s_andn2_b64 s[4:5], s[4:5], exec
	s_and_b64 s[8:9], s[8:9], exec
	s_or_b64 s[4:5], s[4:5], s[8:9]
	s_or_b64 exec, exec, s[6:7]
	s_and_saveexec_b64 s[6:7], s[4:5]
	s_cbranch_execnz .LBB15_331
	s_branch .LBB15_332
.LBB15_2381:
	s_movk_i32 s4, 0x80
	v_cmp_eq_u16_sdwa s[12:13], v11, s4 src0_sel:BYTE_0 src1_sel:DWORD
	s_mov_b64 s[4:5], -1
                                        ; implicit-def: $sgpr10
	s_and_saveexec_b64 s[8:9], s[12:13]
; %bb.2382:
	s_mov_b32 s10, 0x7f800001
	s_xor_b64 s[4:5], exec, -1
; %bb.2383:
	s_or_b64 exec, exec, s[8:9]
	s_and_b64 s[4:5], s[4:5], exec
	s_or_saveexec_b64 s[6:7], s[6:7]
	v_mov_b32_e32 v14, s10
	s_xor_b64 exec, exec, s[6:7]
	s_cbranch_execz .LBB15_334
.LBB15_2384:
	v_mov_b32_e32 v14, 0
	v_cmp_ne_u16_sdwa s[8:9], v11, v14 src0_sel:BYTE_0 src1_sel:DWORD
	s_andn2_b64 s[4:5], s[4:5], exec
	s_and_b64 s[8:9], s[8:9], exec
	s_or_b64 s[4:5], s[4:5], s[8:9]
	s_or_b64 exec, exec, s[6:7]
	s_and_saveexec_b64 s[6:7], s[4:5]
	s_cbranch_execnz .LBB15_335
	s_branch .LBB15_336
.LBB15_2385:
	s_movk_i32 s4, 0x80
	v_cmp_eq_u16_e32 vcc, s4, v11
	s_mov_b64 s[4:5], -1
                                        ; implicit-def: $sgpr10
	s_and_saveexec_b64 s[8:9], vcc
; %bb.2386:
	s_mov_b32 s10, 0x7f800001
	s_xor_b64 s[4:5], exec, -1
; %bb.2387:
	s_or_b64 exec, exec, s[8:9]
	s_and_b64 s[4:5], s[4:5], exec
                                        ; implicit-def: $vgpr11
	s_or_saveexec_b64 s[6:7], s[6:7]
	v_mov_b32_e32 v10, s10
	s_xor_b64 exec, exec, s[6:7]
	s_cbranch_execz .LBB15_338
.LBB15_2388:
	v_cmp_ne_u16_e32 vcc, 0, v11
	s_andn2_b64 s[4:5], s[4:5], exec
	s_and_b64 s[8:9], vcc, exec
	v_mov_b32_e32 v10, 0
	s_or_b64 s[4:5], s[4:5], s[8:9]
	s_or_b64 exec, exec, s[6:7]
	s_and_saveexec_b64 s[6:7], s[4:5]
	s_cbranch_execnz .LBB15_339
	s_branch .LBB15_340
.LBB15_2389:
	s_movk_i32 s4, 0x80
	v_cmp_eq_u16_e32 vcc, s4, v11
	s_mov_b64 s[4:5], -1
                                        ; implicit-def: $sgpr10
	s_and_saveexec_b64 s[8:9], vcc
; %bb.2390:
	s_mov_b32 s10, 0x7f800001
	s_xor_b64 s[4:5], exec, -1
; %bb.2391:
	s_or_b64 exec, exec, s[8:9]
	s_and_b64 s[4:5], s[4:5], exec
                                        ; implicit-def: $vgpr11
	s_or_saveexec_b64 s[6:7], s[6:7]
	v_mov_b32_e32 v14, s10
	s_xor_b64 exec, exec, s[6:7]
	s_cbranch_execz .LBB15_342
.LBB15_2392:
	v_cmp_ne_u16_e32 vcc, 0, v11
	s_andn2_b64 s[4:5], s[4:5], exec
	s_and_b64 s[8:9], vcc, exec
	v_mov_b32_e32 v14, 0
	s_or_b64 s[4:5], s[4:5], s[8:9]
	s_or_b64 exec, exec, s[6:7]
	s_and_saveexec_b64 s[6:7], s[4:5]
	s_cbranch_execnz .LBB15_343
	s_branch .LBB15_344
.LBB15_2393:
	s_movk_i32 s4, 0x80
	v_cmp_eq_u16_sdwa s[12:13], v16, s4 src0_sel:BYTE_3 src1_sel:DWORD
	s_mov_b64 s[4:5], -1
                                        ; implicit-def: $sgpr10
	s_and_saveexec_b64 s[8:9], s[12:13]
; %bb.2394:
	s_mov_b32 s10, 0x7f800001
	s_xor_b64 s[4:5], exec, -1
; %bb.2395:
	s_or_b64 exec, exec, s[8:9]
	s_and_b64 s[4:5], s[4:5], exec
	s_or_saveexec_b64 s[6:7], s[6:7]
	v_mov_b32_e32 v10, s10
	s_xor_b64 exec, exec, s[6:7]
	s_cbranch_execz .LBB15_346
.LBB15_2396:
	v_mov_b32_e32 v10, 0
	v_cmp_ne_u16_sdwa s[8:9], v16, v10 src0_sel:BYTE_3 src1_sel:DWORD
	s_andn2_b64 s[4:5], s[4:5], exec
	s_and_b64 s[8:9], s[8:9], exec
	s_or_b64 s[4:5], s[4:5], s[8:9]
	s_or_b64 exec, exec, s[6:7]
	s_and_saveexec_b64 s[6:7], s[4:5]
	s_cbranch_execnz .LBB15_347
	s_branch .LBB15_348
.LBB15_2397:
	s_movk_i32 s4, 0x80
	v_cmp_eq_u16_sdwa s[12:13], v12, s4 src0_sel:BYTE_3 src1_sel:DWORD
	s_mov_b64 s[4:5], -1
                                        ; implicit-def: $sgpr10
	s_and_saveexec_b64 s[8:9], s[12:13]
; %bb.2398:
	s_mov_b32 s10, 0x7f800001
	s_xor_b64 s[4:5], exec, -1
; %bb.2399:
	s_or_b64 exec, exec, s[8:9]
	s_and_b64 s[4:5], s[4:5], exec
	s_or_saveexec_b64 s[6:7], s[6:7]
	v_mov_b32_e32 v11, s10
	s_xor_b64 exec, exec, s[6:7]
	s_cbranch_execz .LBB15_350
.LBB15_2400:
	v_mov_b32_e32 v11, 0
	v_cmp_ne_u16_sdwa s[8:9], v12, v11 src0_sel:BYTE_3 src1_sel:DWORD
	s_andn2_b64 s[4:5], s[4:5], exec
	s_and_b64 s[8:9], s[8:9], exec
	s_or_b64 s[4:5], s[4:5], s[8:9]
	s_or_b64 exec, exec, s[6:7]
	s_and_saveexec_b64 s[6:7], s[4:5]
	s_cbranch_execnz .LBB15_351
	s_branch .LBB15_352
.LBB15_2401:
	s_movk_i32 s4, 0x80
	v_cmp_eq_u16_sdwa s[12:13], v17, s4 src0_sel:BYTE_0 src1_sel:DWORD
	s_mov_b64 s[4:5], -1
                                        ; implicit-def: $sgpr10
	s_and_saveexec_b64 s[8:9], s[12:13]
; %bb.2402:
	s_mov_b32 s10, 0x7f800001
	s_xor_b64 s[4:5], exec, -1
; %bb.2403:
	s_or_b64 exec, exec, s[8:9]
	s_and_b64 s[4:5], s[4:5], exec
	s_or_saveexec_b64 s[6:7], s[6:7]
	v_mov_b32_e32 v10, s10
	s_xor_b64 exec, exec, s[6:7]
	s_cbranch_execz .LBB15_354
.LBB15_2404:
	v_mov_b32_e32 v10, 0
	v_cmp_ne_u16_sdwa s[8:9], v17, v10 src0_sel:BYTE_0 src1_sel:DWORD
	s_andn2_b64 s[4:5], s[4:5], exec
	s_and_b64 s[8:9], s[8:9], exec
	s_or_b64 s[4:5], s[4:5], s[8:9]
	s_or_b64 exec, exec, s[6:7]
	s_and_saveexec_b64 s[6:7], s[4:5]
	s_cbranch_execnz .LBB15_355
	s_branch .LBB15_356
.LBB15_2405:
	s_movk_i32 s4, 0x80
	v_cmp_eq_u16_sdwa s[12:13], v13, s4 src0_sel:BYTE_0 src1_sel:DWORD
	s_mov_b64 s[4:5], -1
                                        ; implicit-def: $sgpr10
	s_and_saveexec_b64 s[8:9], s[12:13]
; %bb.2406:
	s_mov_b32 s10, 0x7f800001
	s_xor_b64 s[4:5], exec, -1
; %bb.2407:
	s_or_b64 exec, exec, s[8:9]
	s_and_b64 s[4:5], s[4:5], exec
	s_or_saveexec_b64 s[6:7], s[6:7]
	v_mov_b32_e32 v11, s10
	s_xor_b64 exec, exec, s[6:7]
	s_cbranch_execz .LBB15_358
.LBB15_2408:
	v_mov_b32_e32 v11, 0
	v_cmp_ne_u16_sdwa s[8:9], v13, v11 src0_sel:BYTE_0 src1_sel:DWORD
	s_andn2_b64 s[4:5], s[4:5], exec
	s_and_b64 s[8:9], s[8:9], exec
	s_or_b64 s[4:5], s[4:5], s[8:9]
	s_or_b64 exec, exec, s[6:7]
	s_and_saveexec_b64 s[6:7], s[4:5]
	s_cbranch_execnz .LBB15_359
	s_branch .LBB15_360
.LBB15_2409:
	s_movk_i32 s4, 0x80
	v_cmp_eq_u16_sdwa s[12:13], v11, s4 src0_sel:BYTE_0 src1_sel:DWORD
	s_mov_b64 s[4:5], -1
                                        ; implicit-def: $sgpr10
	s_and_saveexec_b64 s[8:9], s[12:13]
; %bb.2410:
	s_mov_b32 s10, 0x7f800001
	s_xor_b64 s[4:5], exec, -1
; %bb.2411:
	s_or_b64 exec, exec, s[8:9]
	s_and_b64 s[4:5], s[4:5], exec
	s_or_saveexec_b64 s[6:7], s[6:7]
	v_mov_b32_e32 v10, s10
	s_xor_b64 exec, exec, s[6:7]
	s_cbranch_execz .LBB15_362
.LBB15_2412:
	v_mov_b32_e32 v10, 0
	v_cmp_ne_u16_sdwa s[8:9], v11, v10 src0_sel:BYTE_0 src1_sel:DWORD
	s_andn2_b64 s[4:5], s[4:5], exec
	s_and_b64 s[8:9], s[8:9], exec
	s_or_b64 s[4:5], s[4:5], s[8:9]
	s_or_b64 exec, exec, s[6:7]
	s_and_saveexec_b64 s[6:7], s[4:5]
	s_cbranch_execnz .LBB15_363
	s_branch .LBB15_364
.LBB15_2413:
	s_movk_i32 s4, 0x80
	v_cmp_eq_u16_sdwa s[12:13], v11, s4 src0_sel:BYTE_0 src1_sel:DWORD
	s_mov_b64 s[4:5], -1
                                        ; implicit-def: $sgpr10
	s_and_saveexec_b64 s[8:9], s[12:13]
; %bb.2414:
	s_mov_b32 s10, 0x7f800001
	s_xor_b64 s[4:5], exec, -1
; %bb.2415:
	s_or_b64 exec, exec, s[8:9]
	s_and_b64 s[4:5], s[4:5], exec
	s_or_saveexec_b64 s[6:7], s[6:7]
	v_mov_b32_e32 v12, s10
	s_xor_b64 exec, exec, s[6:7]
	s_cbranch_execz .LBB15_366
.LBB15_2416:
	v_mov_b32_e32 v12, 0
	v_cmp_ne_u16_sdwa s[8:9], v11, v12 src0_sel:BYTE_0 src1_sel:DWORD
	s_andn2_b64 s[4:5], s[4:5], exec
	s_and_b64 s[8:9], s[8:9], exec
	s_or_b64 s[4:5], s[4:5], s[8:9]
	s_or_b64 exec, exec, s[6:7]
	s_and_saveexec_b64 s[6:7], s[4:5]
	s_cbranch_execnz .LBB15_367
	s_branch .LBB15_368
.LBB15_2417:
	s_movk_i32 s4, 0x80
	v_cmp_eq_u16_e32 vcc, s4, v11
	s_mov_b64 s[4:5], -1
                                        ; implicit-def: $sgpr10
	s_and_saveexec_b64 s[8:9], vcc
; %bb.2418:
	s_mov_b32 s10, 0x7f800001
	s_xor_b64 s[4:5], exec, -1
; %bb.2419:
	s_or_b64 exec, exec, s[8:9]
	s_and_b64 s[4:5], s[4:5], exec
                                        ; implicit-def: $vgpr11
	s_or_saveexec_b64 s[6:7], s[6:7]
	v_mov_b32_e32 v10, s10
	s_xor_b64 exec, exec, s[6:7]
	s_cbranch_execz .LBB15_370
.LBB15_2420:
	v_cmp_ne_u16_e32 vcc, 0, v11
	s_andn2_b64 s[4:5], s[4:5], exec
	s_and_b64 s[8:9], vcc, exec
	v_mov_b32_e32 v10, 0
	s_or_b64 s[4:5], s[4:5], s[8:9]
	s_or_b64 exec, exec, s[6:7]
	s_and_saveexec_b64 s[6:7], s[4:5]
	s_cbranch_execnz .LBB15_371
	s_branch .LBB15_372
.LBB15_2421:
	s_movk_i32 s4, 0x80
	v_cmp_eq_u16_e32 vcc, s4, v11
	s_mov_b64 s[4:5], -1
                                        ; implicit-def: $sgpr10
	s_and_saveexec_b64 s[8:9], vcc
; %bb.2422:
	s_mov_b32 s10, 0x7f800001
	s_xor_b64 s[4:5], exec, -1
; %bb.2423:
	s_or_b64 exec, exec, s[8:9]
	s_and_b64 s[4:5], s[4:5], exec
                                        ; implicit-def: $vgpr11
	s_or_saveexec_b64 s[6:7], s[6:7]
	v_mov_b32_e32 v12, s10
	s_xor_b64 exec, exec, s[6:7]
	s_cbranch_execz .LBB15_374
.LBB15_2424:
	v_cmp_ne_u16_e32 vcc, 0, v11
	s_andn2_b64 s[4:5], s[4:5], exec
	s_and_b64 s[8:9], vcc, exec
	v_mov_b32_e32 v12, 0
	s_or_b64 s[4:5], s[4:5], s[8:9]
	s_or_b64 exec, exec, s[6:7]
	s_and_saveexec_b64 s[6:7], s[4:5]
	s_cbranch_execnz .LBB15_375
	s_branch .LBB15_376
.LBB15_2425:
	s_movk_i32 s4, 0x80
	v_cmp_eq_u16_sdwa s[12:13], v17, s4 src0_sel:BYTE_3 src1_sel:DWORD
	s_mov_b64 s[4:5], -1
                                        ; implicit-def: $sgpr10
	s_and_saveexec_b64 s[8:9], s[12:13]
; %bb.2426:
	s_mov_b32 s10, 0x7f800001
	s_xor_b64 s[4:5], exec, -1
; %bb.2427:
	s_or_b64 exec, exec, s[8:9]
	s_and_b64 s[4:5], s[4:5], exec
	s_or_saveexec_b64 s[6:7], s[6:7]
	v_mov_b32_e32 v10, s10
	s_xor_b64 exec, exec, s[6:7]
	s_cbranch_execz .LBB15_378
.LBB15_2428:
	v_mov_b32_e32 v10, 0
	v_cmp_ne_u16_sdwa s[8:9], v17, v10 src0_sel:BYTE_3 src1_sel:DWORD
	s_andn2_b64 s[4:5], s[4:5], exec
	s_and_b64 s[8:9], s[8:9], exec
	s_or_b64 s[4:5], s[4:5], s[8:9]
	s_or_b64 exec, exec, s[6:7]
	s_and_saveexec_b64 s[6:7], s[4:5]
	s_cbranch_execnz .LBB15_379
	s_branch .LBB15_380
.LBB15_2429:
	s_movk_i32 s4, 0x80
	v_cmp_eq_u16_sdwa s[12:13], v13, s4 src0_sel:BYTE_3 src1_sel:DWORD
	s_mov_b64 s[4:5], -1
                                        ; implicit-def: $sgpr10
	s_and_saveexec_b64 s[8:9], s[12:13]
; %bb.2430:
	s_mov_b32 s10, 0x7f800001
	s_xor_b64 s[4:5], exec, -1
; %bb.2431:
	s_or_b64 exec, exec, s[8:9]
	s_and_b64 s[4:5], s[4:5], exec
	s_or_saveexec_b64 s[6:7], s[6:7]
	v_mov_b32_e32 v11, s10
	s_xor_b64 exec, exec, s[6:7]
	s_cbranch_execz .LBB15_382
.LBB15_2432:
	v_mov_b32_e32 v11, 0
	v_cmp_ne_u16_sdwa s[8:9], v13, v11 src0_sel:BYTE_3 src1_sel:DWORD
	s_andn2_b64 s[4:5], s[4:5], exec
	s_and_b64 s[8:9], s[8:9], exec
	s_or_b64 s[4:5], s[4:5], s[8:9]
	s_or_b64 exec, exec, s[6:7]
	s_and_saveexec_b64 s[6:7], s[4:5]
	s_cbranch_execnz .LBB15_383
	s_branch .LBB15_384
.LBB15_2433:
	s_movk_i32 s4, 0x80
	v_cmp_eq_u16_sdwa s[12:13], v6, s4 src0_sel:BYTE_0 src1_sel:DWORD
	s_mov_b64 s[4:5], -1
                                        ; implicit-def: $sgpr10
	s_and_saveexec_b64 s[8:9], s[12:13]
; %bb.2434:
	s_mov_b32 s10, 0x7f800001
	s_xor_b64 s[4:5], exec, -1
; %bb.2435:
	s_or_b64 exec, exec, s[8:9]
	s_and_b64 s[4:5], s[4:5], exec
	s_or_saveexec_b64 s[6:7], s[6:7]
	v_mov_b32_e32 v10, s10
	s_xor_b64 exec, exec, s[6:7]
	s_cbranch_execz .LBB15_386
.LBB15_2436:
	v_mov_b32_e32 v10, 0
	v_cmp_ne_u16_sdwa s[8:9], v6, v10 src0_sel:BYTE_0 src1_sel:DWORD
	s_andn2_b64 s[4:5], s[4:5], exec
	s_and_b64 s[8:9], s[8:9], exec
	s_or_b64 s[4:5], s[4:5], s[8:9]
	s_or_b64 exec, exec, s[6:7]
	s_and_saveexec_b64 s[6:7], s[4:5]
	s_cbranch_execnz .LBB15_387
	s_branch .LBB15_388
.LBB15_2437:
	s_movk_i32 s4, 0x80
	v_cmp_eq_u16_sdwa s[12:13], v2, s4 src0_sel:BYTE_0 src1_sel:DWORD
	s_mov_b64 s[4:5], -1
                                        ; implicit-def: $sgpr10
	s_and_saveexec_b64 s[8:9], s[12:13]
; %bb.2438:
	s_mov_b32 s10, 0x7f800001
	s_xor_b64 s[4:5], exec, -1
; %bb.2439:
	s_or_b64 exec, exec, s[8:9]
	s_and_b64 s[4:5], s[4:5], exec
	s_or_saveexec_b64 s[6:7], s[6:7]
	v_mov_b32_e32 v11, s10
	s_xor_b64 exec, exec, s[6:7]
	s_cbranch_execz .LBB15_390
.LBB15_2440:
	v_mov_b32_e32 v11, 0
	v_cmp_ne_u16_sdwa s[8:9], v2, v11 src0_sel:BYTE_0 src1_sel:DWORD
	s_andn2_b64 s[4:5], s[4:5], exec
	s_and_b64 s[8:9], s[8:9], exec
	s_or_b64 s[4:5], s[4:5], s[8:9]
	s_or_b64 exec, exec, s[6:7]
	s_and_saveexec_b64 s[6:7], s[4:5]
	s_cbranch_execnz .LBB15_391
	s_branch .LBB15_392
.LBB15_2441:
	s_movk_i32 s4, 0x80
	v_cmp_eq_u16_sdwa s[12:13], v11, s4 src0_sel:BYTE_0 src1_sel:DWORD
	s_mov_b64 s[4:5], -1
                                        ; implicit-def: $sgpr10
	s_and_saveexec_b64 s[8:9], s[12:13]
; %bb.2442:
	s_mov_b32 s10, 0x7f800001
	s_xor_b64 s[4:5], exec, -1
; %bb.2443:
	s_or_b64 exec, exec, s[8:9]
	s_and_b64 s[4:5], s[4:5], exec
	s_or_saveexec_b64 s[6:7], s[6:7]
	v_mov_b32_e32 v10, s10
	s_xor_b64 exec, exec, s[6:7]
	s_cbranch_execz .LBB15_394
.LBB15_2444:
	v_mov_b32_e32 v10, 0
	v_cmp_ne_u16_sdwa s[8:9], v11, v10 src0_sel:BYTE_0 src1_sel:DWORD
	s_andn2_b64 s[4:5], s[4:5], exec
	s_and_b64 s[8:9], s[8:9], exec
	s_or_b64 s[4:5], s[4:5], s[8:9]
	s_or_b64 exec, exec, s[6:7]
	s_and_saveexec_b64 s[6:7], s[4:5]
	s_cbranch_execnz .LBB15_395
	s_branch .LBB15_396
.LBB15_2445:
	s_movk_i32 s4, 0x80
	v_cmp_eq_u16_sdwa s[12:13], v11, s4 src0_sel:BYTE_0 src1_sel:DWORD
	s_mov_b64 s[4:5], -1
                                        ; implicit-def: $sgpr10
	s_and_saveexec_b64 s[8:9], s[12:13]
; %bb.2446:
	s_mov_b32 s10, 0x7f800001
	s_xor_b64 s[4:5], exec, -1
; %bb.2447:
	s_or_b64 exec, exec, s[8:9]
	s_and_b64 s[4:5], s[4:5], exec
	s_or_saveexec_b64 s[6:7], s[6:7]
	v_mov_b32_e32 v12, s10
	s_xor_b64 exec, exec, s[6:7]
	s_cbranch_execz .LBB15_398
.LBB15_2448:
	v_mov_b32_e32 v12, 0
	v_cmp_ne_u16_sdwa s[8:9], v11, v12 src0_sel:BYTE_0 src1_sel:DWORD
	s_andn2_b64 s[4:5], s[4:5], exec
	s_and_b64 s[8:9], s[8:9], exec
	s_or_b64 s[4:5], s[4:5], s[8:9]
	s_or_b64 exec, exec, s[6:7]
	s_and_saveexec_b64 s[6:7], s[4:5]
	s_cbranch_execnz .LBB15_399
	s_branch .LBB15_400
.LBB15_2449:
	s_movk_i32 s4, 0x80
	v_cmp_eq_u16_e32 vcc, s4, v11
	s_mov_b64 s[4:5], -1
                                        ; implicit-def: $sgpr10
	s_and_saveexec_b64 s[8:9], vcc
; %bb.2450:
	s_mov_b32 s10, 0x7f800001
	s_xor_b64 s[4:5], exec, -1
; %bb.2451:
	s_or_b64 exec, exec, s[8:9]
	s_and_b64 s[4:5], s[4:5], exec
                                        ; implicit-def: $vgpr11
	s_or_saveexec_b64 s[6:7], s[6:7]
	v_mov_b32_e32 v10, s10
	s_xor_b64 exec, exec, s[6:7]
	s_cbranch_execz .LBB15_402
.LBB15_2452:
	v_cmp_ne_u16_e32 vcc, 0, v11
	s_andn2_b64 s[4:5], s[4:5], exec
	s_and_b64 s[8:9], vcc, exec
	v_mov_b32_e32 v10, 0
	s_or_b64 s[4:5], s[4:5], s[8:9]
	s_or_b64 exec, exec, s[6:7]
	s_and_saveexec_b64 s[6:7], s[4:5]
	s_cbranch_execnz .LBB15_403
	s_branch .LBB15_404
.LBB15_2453:
	s_movk_i32 s4, 0x80
	v_cmp_eq_u16_e32 vcc, s4, v11
	s_mov_b64 s[4:5], -1
                                        ; implicit-def: $sgpr10
	s_and_saveexec_b64 s[8:9], vcc
; %bb.2454:
	s_mov_b32 s10, 0x7f800001
	s_xor_b64 s[4:5], exec, -1
; %bb.2455:
	s_or_b64 exec, exec, s[8:9]
	s_and_b64 s[4:5], s[4:5], exec
                                        ; implicit-def: $vgpr11
	s_or_saveexec_b64 s[6:7], s[6:7]
	v_mov_b32_e32 v12, s10
	s_xor_b64 exec, exec, s[6:7]
	s_cbranch_execz .LBB15_406
.LBB15_2456:
	v_cmp_ne_u16_e32 vcc, 0, v11
	s_andn2_b64 s[4:5], s[4:5], exec
	s_and_b64 s[8:9], vcc, exec
	v_mov_b32_e32 v12, 0
	s_or_b64 s[4:5], s[4:5], s[8:9]
	s_or_b64 exec, exec, s[6:7]
	s_and_saveexec_b64 s[6:7], s[4:5]
	s_cbranch_execnz .LBB15_407
	s_branch .LBB15_408
.LBB15_2457:
	s_movk_i32 s4, 0x80
	v_cmp_eq_u16_sdwa s[12:13], v6, s4 src0_sel:BYTE_3 src1_sel:DWORD
	s_mov_b64 s[4:5], -1
                                        ; implicit-def: $sgpr10
	s_and_saveexec_b64 s[8:9], s[12:13]
; %bb.2458:
	s_mov_b32 s10, 0x7f800001
	s_xor_b64 s[4:5], exec, -1
; %bb.2459:
	s_or_b64 exec, exec, s[8:9]
	s_and_b64 s[4:5], s[4:5], exec
	s_or_saveexec_b64 s[6:7], s[6:7]
	v_mov_b32_e32 v10, s10
	s_xor_b64 exec, exec, s[6:7]
	s_cbranch_execz .LBB15_410
.LBB15_2460:
	v_mov_b32_e32 v10, 0
	v_cmp_ne_u16_sdwa s[8:9], v6, v10 src0_sel:BYTE_3 src1_sel:DWORD
	s_andn2_b64 s[4:5], s[4:5], exec
	s_and_b64 s[8:9], s[8:9], exec
	s_or_b64 s[4:5], s[4:5], s[8:9]
	s_or_b64 exec, exec, s[6:7]
	s_and_saveexec_b64 s[6:7], s[4:5]
	s_cbranch_execnz .LBB15_411
	s_branch .LBB15_412
.LBB15_2461:
	s_movk_i32 s4, 0x80
	v_cmp_eq_u16_sdwa s[12:13], v2, s4 src0_sel:BYTE_3 src1_sel:DWORD
	s_mov_b64 s[4:5], -1
                                        ; implicit-def: $sgpr10
	s_and_saveexec_b64 s[8:9], s[12:13]
; %bb.2462:
	s_mov_b32 s10, 0x7f800001
	s_xor_b64 s[4:5], exec, -1
; %bb.2463:
	s_or_b64 exec, exec, s[8:9]
	s_and_b64 s[4:5], s[4:5], exec
	s_or_saveexec_b64 s[6:7], s[6:7]
	v_mov_b32_e32 v6, s10
	s_xor_b64 exec, exec, s[6:7]
	s_cbranch_execz .LBB15_414
.LBB15_2464:
	v_mov_b32_e32 v6, 0
	v_cmp_ne_u16_sdwa s[8:9], v2, v6 src0_sel:BYTE_3 src1_sel:DWORD
	s_andn2_b64 s[4:5], s[4:5], exec
	s_and_b64 s[8:9], s[8:9], exec
	s_or_b64 s[4:5], s[4:5], s[8:9]
	s_or_b64 exec, exec, s[6:7]
	s_and_saveexec_b64 s[6:7], s[4:5]
	s_cbranch_execnz .LBB15_415
	s_branch .LBB15_416
.LBB15_2465:
	s_movk_i32 s4, 0x80
	v_cmp_eq_u16_sdwa s[12:13], v7, s4 src0_sel:BYTE_0 src1_sel:DWORD
	s_mov_b64 s[4:5], -1
                                        ; implicit-def: $sgpr10
	s_and_saveexec_b64 s[8:9], s[12:13]
; %bb.2466:
	s_mov_b32 s10, 0x7f800001
	s_xor_b64 s[4:5], exec, -1
; %bb.2467:
	s_or_b64 exec, exec, s[8:9]
	s_and_b64 s[4:5], s[4:5], exec
	s_or_saveexec_b64 s[6:7], s[6:7]
	v_mov_b32_e32 v2, s10
	s_xor_b64 exec, exec, s[6:7]
	s_cbranch_execz .LBB15_418
.LBB15_2468:
	v_mov_b32_e32 v2, 0
	v_cmp_ne_u16_sdwa s[8:9], v7, v2 src0_sel:BYTE_0 src1_sel:DWORD
	s_andn2_b64 s[4:5], s[4:5], exec
	s_and_b64 s[8:9], s[8:9], exec
	s_or_b64 s[4:5], s[4:5], s[8:9]
	s_or_b64 exec, exec, s[6:7]
	s_and_saveexec_b64 s[6:7], s[4:5]
	s_cbranch_execnz .LBB15_419
	s_branch .LBB15_420
.LBB15_2469:
	s_movk_i32 s4, 0x80
	v_cmp_eq_u16_sdwa s[12:13], v3, s4 src0_sel:BYTE_0 src1_sel:DWORD
	s_mov_b64 s[4:5], -1
                                        ; implicit-def: $sgpr10
	s_and_saveexec_b64 s[8:9], s[12:13]
; %bb.2470:
	s_mov_b32 s10, 0x7f800001
	s_xor_b64 s[4:5], exec, -1
; %bb.2471:
	s_or_b64 exec, exec, s[8:9]
	s_and_b64 s[4:5], s[4:5], exec
	s_or_saveexec_b64 s[6:7], s[6:7]
	v_mov_b32_e32 v6, s10
	s_xor_b64 exec, exec, s[6:7]
	s_cbranch_execz .LBB15_422
.LBB15_2472:
	v_mov_b32_e32 v6, 0
	v_cmp_ne_u16_sdwa s[8:9], v3, v6 src0_sel:BYTE_0 src1_sel:DWORD
	s_andn2_b64 s[4:5], s[4:5], exec
	s_and_b64 s[8:9], s[8:9], exec
	s_or_b64 s[4:5], s[4:5], s[8:9]
	s_or_b64 exec, exec, s[6:7]
	s_and_saveexec_b64 s[6:7], s[4:5]
	s_cbranch_execnz .LBB15_423
	s_branch .LBB15_424
.LBB15_2473:
	s_movk_i32 s4, 0x80
	v_cmp_eq_u16_sdwa s[12:13], v6, s4 src0_sel:BYTE_0 src1_sel:DWORD
	s_mov_b64 s[4:5], -1
                                        ; implicit-def: $sgpr10
	s_and_saveexec_b64 s[8:9], s[12:13]
; %bb.2474:
	s_mov_b32 s10, 0x7f800001
	s_xor_b64 s[4:5], exec, -1
; %bb.2475:
	s_or_b64 exec, exec, s[8:9]
	s_and_b64 s[4:5], s[4:5], exec
	s_or_saveexec_b64 s[6:7], s[6:7]
	v_mov_b32_e32 v2, s10
	s_xor_b64 exec, exec, s[6:7]
	s_cbranch_execz .LBB15_426
.LBB15_2476:
	v_mov_b32_e32 v2, 0
	v_cmp_ne_u16_sdwa s[8:9], v6, v2 src0_sel:BYTE_0 src1_sel:DWORD
	s_andn2_b64 s[4:5], s[4:5], exec
	s_and_b64 s[8:9], s[8:9], exec
	s_or_b64 s[4:5], s[4:5], s[8:9]
	s_or_b64 exec, exec, s[6:7]
	s_and_saveexec_b64 s[6:7], s[4:5]
	s_cbranch_execnz .LBB15_427
	s_branch .LBB15_428
.LBB15_2477:
	s_movk_i32 s4, 0x80
	v_cmp_eq_u16_sdwa s[12:13], v6, s4 src0_sel:BYTE_0 src1_sel:DWORD
	s_mov_b64 s[4:5], -1
                                        ; implicit-def: $sgpr10
	s_and_saveexec_b64 s[8:9], s[12:13]
; %bb.2478:
	s_mov_b32 s10, 0x7f800001
	s_xor_b64 s[4:5], exec, -1
; %bb.2479:
	s_or_b64 exec, exec, s[8:9]
	s_and_b64 s[4:5], s[4:5], exec
	s_or_saveexec_b64 s[6:7], s[6:7]
	v_mov_b32_e32 v10, s10
	s_xor_b64 exec, exec, s[6:7]
	s_cbranch_execz .LBB15_430
.LBB15_2480:
	v_mov_b32_e32 v10, 0
	v_cmp_ne_u16_sdwa s[8:9], v6, v10 src0_sel:BYTE_0 src1_sel:DWORD
	s_andn2_b64 s[4:5], s[4:5], exec
	s_and_b64 s[8:9], s[8:9], exec
	s_or_b64 s[4:5], s[4:5], s[8:9]
	s_or_b64 exec, exec, s[6:7]
	s_and_saveexec_b64 s[6:7], s[4:5]
	s_cbranch_execnz .LBB15_431
	s_branch .LBB15_432
.LBB15_2481:
	s_movk_i32 s4, 0x80
	v_cmp_eq_u16_e32 vcc, s4, v6
	s_mov_b64 s[4:5], -1
                                        ; implicit-def: $sgpr10
	s_and_saveexec_b64 s[8:9], vcc
; %bb.2482:
	s_mov_b32 s10, 0x7f800001
	s_xor_b64 s[4:5], exec, -1
; %bb.2483:
	s_or_b64 exec, exec, s[8:9]
	s_and_b64 s[4:5], s[4:5], exec
                                        ; implicit-def: $vgpr6
	s_or_saveexec_b64 s[6:7], s[6:7]
	v_mov_b32_e32 v2, s10
	s_xor_b64 exec, exec, s[6:7]
	s_cbranch_execz .LBB15_434
.LBB15_2484:
	v_cmp_ne_u16_e32 vcc, 0, v6
	s_andn2_b64 s[4:5], s[4:5], exec
	s_and_b64 s[8:9], vcc, exec
	v_mov_b32_e32 v2, 0
	s_or_b64 s[4:5], s[4:5], s[8:9]
	s_or_b64 exec, exec, s[6:7]
	s_and_saveexec_b64 s[6:7], s[4:5]
	s_cbranch_execnz .LBB15_435
	s_branch .LBB15_436
.LBB15_2485:
	s_movk_i32 s4, 0x80
	v_cmp_eq_u16_e32 vcc, s4, v6
	s_mov_b64 s[4:5], -1
                                        ; implicit-def: $sgpr10
	s_and_saveexec_b64 s[8:9], vcc
; %bb.2486:
	s_mov_b32 s10, 0x7f800001
	s_xor_b64 s[4:5], exec, -1
; %bb.2487:
	s_or_b64 exec, exec, s[8:9]
	s_and_b64 s[4:5], s[4:5], exec
                                        ; implicit-def: $vgpr6
	s_or_saveexec_b64 s[6:7], s[6:7]
	v_mov_b32_e32 v10, s10
	s_xor_b64 exec, exec, s[6:7]
	s_cbranch_execz .LBB15_438
.LBB15_2488:
	v_cmp_ne_u16_e32 vcc, 0, v6
	s_andn2_b64 s[4:5], s[4:5], exec
	s_and_b64 s[8:9], vcc, exec
	v_mov_b32_e32 v10, 0
	s_or_b64 s[4:5], s[4:5], s[8:9]
	s_or_b64 exec, exec, s[6:7]
	s_and_saveexec_b64 s[6:7], s[4:5]
	s_cbranch_execnz .LBB15_439
	s_branch .LBB15_440
.LBB15_2489:
	s_movk_i32 s4, 0x80
	v_cmp_eq_u16_sdwa s[12:13], v7, s4 src0_sel:BYTE_3 src1_sel:DWORD
	s_mov_b64 s[4:5], -1
                                        ; implicit-def: $sgpr10
	s_and_saveexec_b64 s[8:9], s[12:13]
; %bb.2490:
	s_mov_b32 s10, 0x7f800001
	s_xor_b64 s[4:5], exec, -1
; %bb.2491:
	s_or_b64 exec, exec, s[8:9]
	s_and_b64 s[4:5], s[4:5], exec
	s_or_saveexec_b64 s[6:7], s[6:7]
	v_mov_b32_e32 v2, s10
	s_xor_b64 exec, exec, s[6:7]
	s_cbranch_execz .LBB15_442
.LBB15_2492:
	v_mov_b32_e32 v2, 0
	v_cmp_ne_u16_sdwa s[8:9], v7, v2 src0_sel:BYTE_3 src1_sel:DWORD
	s_andn2_b64 s[4:5], s[4:5], exec
	s_and_b64 s[8:9], s[8:9], exec
	s_or_b64 s[4:5], s[4:5], s[8:9]
	s_or_b64 exec, exec, s[6:7]
	s_and_saveexec_b64 s[6:7], s[4:5]
	s_cbranch_execnz .LBB15_443
	s_branch .LBB15_444
.LBB15_2493:
	s_movk_i32 s4, 0x80
	v_cmp_eq_u16_sdwa s[12:13], v3, s4 src0_sel:BYTE_3 src1_sel:DWORD
	s_mov_b64 s[4:5], -1
                                        ; implicit-def: $sgpr10
	s_and_saveexec_b64 s[8:9], s[12:13]
; %bb.2494:
	s_mov_b32 s10, 0x7f800001
	s_xor_b64 s[4:5], exec, -1
; %bb.2495:
	s_or_b64 exec, exec, s[8:9]
	s_and_b64 s[4:5], s[4:5], exec
	s_or_saveexec_b64 s[6:7], s[6:7]
	v_mov_b32_e32 v6, s10
	s_xor_b64 exec, exec, s[6:7]
	s_cbranch_execz .LBB15_446
.LBB15_2496:
	v_mov_b32_e32 v6, 0
	v_cmp_ne_u16_sdwa s[8:9], v3, v6 src0_sel:BYTE_3 src1_sel:DWORD
	s_andn2_b64 s[4:5], s[4:5], exec
	s_and_b64 s[8:9], s[8:9], exec
	s_or_b64 s[4:5], s[4:5], s[8:9]
	s_or_b64 exec, exec, s[6:7]
	s_and_saveexec_b64 s[6:7], s[4:5]
	s_cbranch_execnz .LBB15_447
	s_branch .LBB15_448
.LBB15_2497:
	s_movk_i32 s4, 0x80
	v_cmp_eq_u16_sdwa s[12:13], v8, s4 src0_sel:BYTE_0 src1_sel:DWORD
	s_mov_b64 s[4:5], -1
                                        ; implicit-def: $sgpr10
	s_and_saveexec_b64 s[8:9], s[12:13]
; %bb.2498:
	s_mov_b32 s10, 0x7f800001
	s_xor_b64 s[4:5], exec, -1
; %bb.2499:
	s_or_b64 exec, exec, s[8:9]
	s_and_b64 s[4:5], s[4:5], exec
	s_or_saveexec_b64 s[6:7], s[6:7]
	v_mov_b32_e32 v2, s10
	s_xor_b64 exec, exec, s[6:7]
	s_cbranch_execz .LBB15_450
.LBB15_2500:
	v_mov_b32_e32 v2, 0
	v_cmp_ne_u16_sdwa s[8:9], v8, v2 src0_sel:BYTE_0 src1_sel:DWORD
	s_andn2_b64 s[4:5], s[4:5], exec
	s_and_b64 s[8:9], s[8:9], exec
	s_or_b64 s[4:5], s[4:5], s[8:9]
	s_or_b64 exec, exec, s[6:7]
	s_and_saveexec_b64 s[6:7], s[4:5]
	s_cbranch_execnz .LBB15_451
	s_branch .LBB15_452
.LBB15_2501:
	s_movk_i32 s4, 0x80
	v_cmp_eq_u16_sdwa s[12:13], v4, s4 src0_sel:BYTE_0 src1_sel:DWORD
	s_mov_b64 s[4:5], -1
                                        ; implicit-def: $sgpr10
	s_and_saveexec_b64 s[8:9], s[12:13]
; %bb.2502:
	s_mov_b32 s10, 0x7f800001
	s_xor_b64 s[4:5], exec, -1
; %bb.2503:
	s_or_b64 exec, exec, s[8:9]
	s_and_b64 s[4:5], s[4:5], exec
	s_or_saveexec_b64 s[6:7], s[6:7]
	v_mov_b32_e32 v3, s10
	s_xor_b64 exec, exec, s[6:7]
	s_cbranch_execz .LBB15_454
.LBB15_2504:
	v_mov_b32_e32 v3, 0
	v_cmp_ne_u16_sdwa s[8:9], v4, v3 src0_sel:BYTE_0 src1_sel:DWORD
	s_andn2_b64 s[4:5], s[4:5], exec
	s_and_b64 s[8:9], s[8:9], exec
	s_or_b64 s[4:5], s[4:5], s[8:9]
	s_or_b64 exec, exec, s[6:7]
	s_and_saveexec_b64 s[6:7], s[4:5]
	s_cbranch_execnz .LBB15_455
	s_branch .LBB15_456
.LBB15_2505:
	s_movk_i32 s4, 0x80
	v_cmp_eq_u16_sdwa s[12:13], v3, s4 src0_sel:BYTE_0 src1_sel:DWORD
	s_mov_b64 s[4:5], -1
                                        ; implicit-def: $sgpr10
	s_and_saveexec_b64 s[8:9], s[12:13]
; %bb.2506:
	s_mov_b32 s10, 0x7f800001
	s_xor_b64 s[4:5], exec, -1
; %bb.2507:
	s_or_b64 exec, exec, s[8:9]
	s_and_b64 s[4:5], s[4:5], exec
	s_or_saveexec_b64 s[6:7], s[6:7]
	v_mov_b32_e32 v2, s10
	s_xor_b64 exec, exec, s[6:7]
	s_cbranch_execz .LBB15_458
.LBB15_2508:
	v_mov_b32_e32 v2, 0
	v_cmp_ne_u16_sdwa s[8:9], v3, v2 src0_sel:BYTE_0 src1_sel:DWORD
	s_andn2_b64 s[4:5], s[4:5], exec
	s_and_b64 s[8:9], s[8:9], exec
	s_or_b64 s[4:5], s[4:5], s[8:9]
	s_or_b64 exec, exec, s[6:7]
	s_and_saveexec_b64 s[6:7], s[4:5]
	s_cbranch_execnz .LBB15_459
	s_branch .LBB15_460
.LBB15_2509:
	s_movk_i32 s4, 0x80
	v_cmp_eq_u16_sdwa s[12:13], v3, s4 src0_sel:BYTE_0 src1_sel:DWORD
	s_mov_b64 s[4:5], -1
                                        ; implicit-def: $sgpr10
	s_and_saveexec_b64 s[8:9], s[12:13]
; %bb.2510:
	s_mov_b32 s10, 0x7f800001
	s_xor_b64 s[4:5], exec, -1
; %bb.2511:
	s_or_b64 exec, exec, s[8:9]
	s_and_b64 s[4:5], s[4:5], exec
	s_or_saveexec_b64 s[6:7], s[6:7]
	v_mov_b32_e32 v6, s10
	s_xor_b64 exec, exec, s[6:7]
	s_cbranch_execz .LBB15_462
.LBB15_2512:
	v_mov_b32_e32 v6, 0
	v_cmp_ne_u16_sdwa s[8:9], v3, v6 src0_sel:BYTE_0 src1_sel:DWORD
	s_andn2_b64 s[4:5], s[4:5], exec
	s_and_b64 s[8:9], s[8:9], exec
	s_or_b64 s[4:5], s[4:5], s[8:9]
	s_or_b64 exec, exec, s[6:7]
	s_and_saveexec_b64 s[6:7], s[4:5]
	s_cbranch_execnz .LBB15_463
	s_branch .LBB15_464
.LBB15_2513:
	s_movk_i32 s4, 0x80
	v_cmp_eq_u16_e32 vcc, s4, v3
	s_mov_b64 s[4:5], -1
                                        ; implicit-def: $sgpr10
	s_and_saveexec_b64 s[8:9], vcc
; %bb.2514:
	s_mov_b32 s10, 0x7f800001
	s_xor_b64 s[4:5], exec, -1
; %bb.2515:
	s_or_b64 exec, exec, s[8:9]
	s_and_b64 s[4:5], s[4:5], exec
                                        ; implicit-def: $vgpr3
	s_or_saveexec_b64 s[6:7], s[6:7]
	v_mov_b32_e32 v2, s10
	s_xor_b64 exec, exec, s[6:7]
	s_cbranch_execz .LBB15_466
.LBB15_2516:
	v_cmp_ne_u16_e32 vcc, 0, v3
	s_andn2_b64 s[4:5], s[4:5], exec
	s_and_b64 s[8:9], vcc, exec
	v_mov_b32_e32 v2, 0
	s_or_b64 s[4:5], s[4:5], s[8:9]
	s_or_b64 exec, exec, s[6:7]
	s_and_saveexec_b64 s[6:7], s[4:5]
	s_cbranch_execnz .LBB15_467
	s_branch .LBB15_468
.LBB15_2517:
	s_movk_i32 s4, 0x80
	v_cmp_eq_u16_e32 vcc, s4, v3
	s_mov_b64 s[4:5], -1
                                        ; implicit-def: $sgpr10
	s_and_saveexec_b64 s[8:9], vcc
; %bb.2518:
	s_mov_b32 s10, 0x7f800001
	s_xor_b64 s[4:5], exec, -1
; %bb.2519:
	s_or_b64 exec, exec, s[8:9]
	s_and_b64 s[4:5], s[4:5], exec
                                        ; implicit-def: $vgpr3
	s_or_saveexec_b64 s[6:7], s[6:7]
	v_mov_b32_e32 v6, s10
	s_xor_b64 exec, exec, s[6:7]
	s_cbranch_execz .LBB15_470
.LBB15_2520:
	v_cmp_ne_u16_e32 vcc, 0, v3
	s_andn2_b64 s[4:5], s[4:5], exec
	s_and_b64 s[8:9], vcc, exec
	v_mov_b32_e32 v6, 0
	s_or_b64 s[4:5], s[4:5], s[8:9]
	s_or_b64 exec, exec, s[6:7]
	s_and_saveexec_b64 s[6:7], s[4:5]
	s_cbranch_execnz .LBB15_471
	s_branch .LBB15_472
.LBB15_2521:
	s_movk_i32 s4, 0x80
	v_cmp_eq_u16_sdwa s[12:13], v8, s4 src0_sel:BYTE_3 src1_sel:DWORD
	s_mov_b64 s[4:5], -1
                                        ; implicit-def: $sgpr10
	s_and_saveexec_b64 s[8:9], s[12:13]
; %bb.2522:
	s_mov_b32 s10, 0x7f800001
	s_xor_b64 s[4:5], exec, -1
; %bb.2523:
	s_or_b64 exec, exec, s[8:9]
	s_and_b64 s[4:5], s[4:5], exec
	s_or_saveexec_b64 s[6:7], s[6:7]
	v_mov_b32_e32 v2, s10
	s_xor_b64 exec, exec, s[6:7]
	s_cbranch_execz .LBB15_474
.LBB15_2524:
	v_mov_b32_e32 v2, 0
	v_cmp_ne_u16_sdwa s[8:9], v8, v2 src0_sel:BYTE_3 src1_sel:DWORD
	s_andn2_b64 s[4:5], s[4:5], exec
	s_and_b64 s[8:9], s[8:9], exec
	s_or_b64 s[4:5], s[4:5], s[8:9]
	s_or_b64 exec, exec, s[6:7]
	s_and_saveexec_b64 s[6:7], s[4:5]
	s_cbranch_execnz .LBB15_475
	s_branch .LBB15_476
.LBB15_2525:
	s_movk_i32 s4, 0x80
	v_cmp_eq_u16_sdwa s[12:13], v4, s4 src0_sel:BYTE_3 src1_sel:DWORD
	s_mov_b64 s[4:5], -1
                                        ; implicit-def: $sgpr10
	s_and_saveexec_b64 s[8:9], s[12:13]
; %bb.2526:
	s_mov_b32 s10, 0x7f800001
	s_xor_b64 s[4:5], exec, -1
; %bb.2527:
	s_or_b64 exec, exec, s[8:9]
	s_and_b64 s[4:5], s[4:5], exec
	s_or_saveexec_b64 s[6:7], s[6:7]
	v_mov_b32_e32 v3, s10
	s_xor_b64 exec, exec, s[6:7]
	s_cbranch_execz .LBB15_478
.LBB15_2528:
	v_mov_b32_e32 v3, 0
	v_cmp_ne_u16_sdwa s[8:9], v4, v3 src0_sel:BYTE_3 src1_sel:DWORD
	s_andn2_b64 s[4:5], s[4:5], exec
	s_and_b64 s[8:9], s[8:9], exec
	s_or_b64 s[4:5], s[4:5], s[8:9]
	s_or_b64 exec, exec, s[6:7]
	s_and_saveexec_b64 s[6:7], s[4:5]
	s_cbranch_execnz .LBB15_479
	s_branch .LBB15_480
.LBB15_2529:
	s_movk_i32 s4, 0x80
	v_cmp_eq_u16_sdwa s[12:13], v9, s4 src0_sel:BYTE_0 src1_sel:DWORD
	s_mov_b64 s[4:5], -1
                                        ; implicit-def: $sgpr10
	s_and_saveexec_b64 s[8:9], s[12:13]
; %bb.2530:
	s_mov_b32 s10, 0x7f800001
	s_xor_b64 s[4:5], exec, -1
; %bb.2531:
	s_or_b64 exec, exec, s[8:9]
	s_and_b64 s[4:5], s[4:5], exec
	s_or_saveexec_b64 s[6:7], s[6:7]
	v_mov_b32_e32 v2, s10
	s_xor_b64 exec, exec, s[6:7]
	s_cbranch_execz .LBB15_482
.LBB15_2532:
	v_mov_b32_e32 v2, 0
	v_cmp_ne_u16_sdwa s[8:9], v9, v2 src0_sel:BYTE_0 src1_sel:DWORD
	s_andn2_b64 s[4:5], s[4:5], exec
	s_and_b64 s[8:9], s[8:9], exec
	s_or_b64 s[4:5], s[4:5], s[8:9]
	s_or_b64 exec, exec, s[6:7]
	s_and_saveexec_b64 s[6:7], s[4:5]
	s_cbranch_execnz .LBB15_483
	s_branch .LBB15_484
.LBB15_2533:
	s_movk_i32 s4, 0x80
	v_cmp_eq_u16_sdwa s[12:13], v5, s4 src0_sel:BYTE_0 src1_sel:DWORD
	s_mov_b64 s[4:5], -1
                                        ; implicit-def: $sgpr10
	s_and_saveexec_b64 s[8:9], s[12:13]
; %bb.2534:
	s_mov_b32 s10, 0x7f800001
	s_xor_b64 s[4:5], exec, -1
; %bb.2535:
	s_or_b64 exec, exec, s[8:9]
	s_and_b64 s[4:5], s[4:5], exec
	s_or_saveexec_b64 s[6:7], s[6:7]
	v_mov_b32_e32 v3, s10
	s_xor_b64 exec, exec, s[6:7]
	s_cbranch_execz .LBB15_486
.LBB15_2536:
	v_mov_b32_e32 v3, 0
	v_cmp_ne_u16_sdwa s[8:9], v5, v3 src0_sel:BYTE_0 src1_sel:DWORD
	s_andn2_b64 s[4:5], s[4:5], exec
	s_and_b64 s[8:9], s[8:9], exec
	s_or_b64 s[4:5], s[4:5], s[8:9]
	s_or_b64 exec, exec, s[6:7]
	s_and_saveexec_b64 s[6:7], s[4:5]
	s_cbranch_execnz .LBB15_487
	s_branch .LBB15_488
.LBB15_2537:
	s_movk_i32 s4, 0x80
	v_cmp_eq_u16_sdwa s[12:13], v3, s4 src0_sel:BYTE_0 src1_sel:DWORD
	s_mov_b64 s[4:5], -1
                                        ; implicit-def: $sgpr10
	s_and_saveexec_b64 s[8:9], s[12:13]
; %bb.2538:
	s_mov_b32 s10, 0x7f800001
	s_xor_b64 s[4:5], exec, -1
; %bb.2539:
	s_or_b64 exec, exec, s[8:9]
	s_and_b64 s[4:5], s[4:5], exec
	s_or_saveexec_b64 s[6:7], s[6:7]
	v_mov_b32_e32 v2, s10
	s_xor_b64 exec, exec, s[6:7]
	s_cbranch_execz .LBB15_490
.LBB15_2540:
	v_mov_b32_e32 v2, 0
	v_cmp_ne_u16_sdwa s[8:9], v3, v2 src0_sel:BYTE_0 src1_sel:DWORD
	s_andn2_b64 s[4:5], s[4:5], exec
	s_and_b64 s[8:9], s[8:9], exec
	s_or_b64 s[4:5], s[4:5], s[8:9]
	s_or_b64 exec, exec, s[6:7]
	s_and_saveexec_b64 s[6:7], s[4:5]
	s_cbranch_execnz .LBB15_491
	s_branch .LBB15_492
.LBB15_2541:
	s_movk_i32 s4, 0x80
	v_cmp_eq_u16_sdwa s[12:13], v3, s4 src0_sel:BYTE_0 src1_sel:DWORD
	s_mov_b64 s[4:5], -1
                                        ; implicit-def: $sgpr10
	s_and_saveexec_b64 s[8:9], s[12:13]
; %bb.2542:
	s_mov_b32 s10, 0x7f800001
	s_xor_b64 s[4:5], exec, -1
; %bb.2543:
	s_or_b64 exec, exec, s[8:9]
	s_and_b64 s[4:5], s[4:5], exec
	s_or_saveexec_b64 s[6:7], s[6:7]
	v_mov_b32_e32 v4, s10
	s_xor_b64 exec, exec, s[6:7]
	s_cbranch_execz .LBB15_494
.LBB15_2544:
	v_mov_b32_e32 v4, 0
	v_cmp_ne_u16_sdwa s[8:9], v3, v4 src0_sel:BYTE_0 src1_sel:DWORD
	s_andn2_b64 s[4:5], s[4:5], exec
	s_and_b64 s[8:9], s[8:9], exec
	s_or_b64 s[4:5], s[4:5], s[8:9]
	s_or_b64 exec, exec, s[6:7]
	s_and_saveexec_b64 s[6:7], s[4:5]
	s_cbranch_execnz .LBB15_495
	s_branch .LBB15_496
.LBB15_2545:
	s_movk_i32 s4, 0x80
	v_cmp_eq_u16_e32 vcc, s4, v3
	s_mov_b64 s[4:5], -1
                                        ; implicit-def: $sgpr10
	s_and_saveexec_b64 s[8:9], vcc
; %bb.2546:
	s_mov_b32 s10, 0x7f800001
	s_xor_b64 s[4:5], exec, -1
; %bb.2547:
	s_or_b64 exec, exec, s[8:9]
	s_and_b64 s[4:5], s[4:5], exec
                                        ; implicit-def: $vgpr3
	s_or_saveexec_b64 s[6:7], s[6:7]
	v_mov_b32_e32 v2, s10
	s_xor_b64 exec, exec, s[6:7]
	s_cbranch_execz .LBB15_498
.LBB15_2548:
	v_cmp_ne_u16_e32 vcc, 0, v3
	s_andn2_b64 s[4:5], s[4:5], exec
	s_and_b64 s[8:9], vcc, exec
	v_mov_b32_e32 v2, 0
	s_or_b64 s[4:5], s[4:5], s[8:9]
	s_or_b64 exec, exec, s[6:7]
	s_and_saveexec_b64 s[6:7], s[4:5]
	s_cbranch_execnz .LBB15_499
	s_branch .LBB15_500
.LBB15_2549:
	s_movk_i32 s4, 0x80
	v_cmp_eq_u16_e32 vcc, s4, v3
	s_mov_b64 s[4:5], -1
                                        ; implicit-def: $sgpr10
	s_and_saveexec_b64 s[8:9], vcc
; %bb.2550:
	s_mov_b32 s10, 0x7f800001
	s_xor_b64 s[4:5], exec, -1
; %bb.2551:
	s_or_b64 exec, exec, s[8:9]
	s_and_b64 s[4:5], s[4:5], exec
                                        ; implicit-def: $vgpr3
	s_or_saveexec_b64 s[6:7], s[6:7]
	v_mov_b32_e32 v4, s10
	s_xor_b64 exec, exec, s[6:7]
	s_cbranch_execz .LBB15_502
.LBB15_2552:
	v_cmp_ne_u16_e32 vcc, 0, v3
	s_andn2_b64 s[4:5], s[4:5], exec
	s_and_b64 s[8:9], vcc, exec
	v_mov_b32_e32 v4, 0
	s_or_b64 s[4:5], s[4:5], s[8:9]
	s_or_b64 exec, exec, s[6:7]
	s_and_saveexec_b64 s[6:7], s[4:5]
	s_cbranch_execnz .LBB15_503
	s_branch .LBB15_504
.LBB15_2553:
	s_movk_i32 s4, 0x80
	v_cmp_eq_u16_sdwa s[12:13], v9, s4 src0_sel:BYTE_3 src1_sel:DWORD
	s_mov_b64 s[4:5], -1
                                        ; implicit-def: $sgpr10
	s_and_saveexec_b64 s[8:9], s[12:13]
; %bb.2554:
	s_mov_b32 s10, 0x7f800001
	s_xor_b64 s[4:5], exec, -1
; %bb.2555:
	s_or_b64 exec, exec, s[8:9]
	s_and_b64 s[4:5], s[4:5], exec
	s_or_saveexec_b64 s[6:7], s[6:7]
	v_mov_b32_e32 v2, s10
	s_xor_b64 exec, exec, s[6:7]
	s_cbranch_execz .LBB15_506
.LBB15_2556:
	v_mov_b32_e32 v2, 0
	v_cmp_ne_u16_sdwa s[8:9], v9, v2 src0_sel:BYTE_3 src1_sel:DWORD
	s_andn2_b64 s[4:5], s[4:5], exec
	s_and_b64 s[8:9], s[8:9], exec
	s_or_b64 s[4:5], s[4:5], s[8:9]
	s_or_b64 exec, exec, s[6:7]
	s_and_saveexec_b64 s[6:7], s[4:5]
	s_cbranch_execnz .LBB15_507
	s_branch .LBB15_508
.LBB15_2557:
	s_movk_i32 s4, 0x80
	v_cmp_eq_u16_sdwa s[12:13], v5, s4 src0_sel:BYTE_3 src1_sel:DWORD
	s_mov_b64 s[4:5], -1
                                        ; implicit-def: $sgpr10
	s_and_saveexec_b64 s[8:9], s[12:13]
; %bb.2558:
	s_mov_b32 s10, 0x7f800001
	s_xor_b64 s[4:5], exec, -1
; %bb.2559:
	s_or_b64 exec, exec, s[8:9]
	s_and_b64 s[4:5], s[4:5], exec
	s_or_saveexec_b64 s[6:7], s[6:7]
	v_mov_b32_e32 v3, s10
	s_xor_b64 exec, exec, s[6:7]
	s_cbranch_execz .LBB15_510
.LBB15_2560:
	v_mov_b32_e32 v3, 0
	v_cmp_ne_u16_sdwa s[8:9], v5, v3 src0_sel:BYTE_3 src1_sel:DWORD
	s_andn2_b64 s[4:5], s[4:5], exec
	s_and_b64 s[8:9], s[8:9], exec
	s_or_b64 s[4:5], s[4:5], s[8:9]
	s_or_b64 exec, exec, s[6:7]
	s_and_saveexec_b64 s[6:7], s[4:5]
	s_cbranch_execnz .LBB15_511
	s_branch .LBB15_512
.LBB15_2561:
	s_movk_i32 s4, 0x80
	v_cmp_eq_u16_sdwa s[12:13], v14, s4 src0_sel:BYTE_0 src1_sel:DWORD
	s_mov_b64 s[4:5], -1
                                        ; implicit-def: $sgpr10
	s_and_saveexec_b64 s[8:9], s[12:13]
; %bb.2562:
	s_mov_b32 s10, 0x7f800001
	s_xor_b64 s[4:5], exec, -1
; %bb.2563:
	s_or_b64 exec, exec, s[8:9]
	s_and_b64 s[4:5], s[4:5], exec
	s_or_saveexec_b64 s[6:7], s[6:7]
	v_mov_b32_e32 v20, s10
	s_xor_b64 exec, exec, s[6:7]
	s_cbranch_execz .LBB15_514
.LBB15_2564:
	v_mov_b32_e32 v20, 0
	v_cmp_ne_u16_sdwa s[8:9], v14, v20 src0_sel:BYTE_0 src1_sel:DWORD
	s_andn2_b64 s[4:5], s[4:5], exec
	s_and_b64 s[8:9], s[8:9], exec
	s_or_b64 s[4:5], s[4:5], s[8:9]
	s_or_b64 exec, exec, s[6:7]
	s_and_saveexec_b64 s[6:7], s[4:5]
	s_cbranch_execnz .LBB15_515
	s_branch .LBB15_516
.LBB15_2565:
	s_movk_i32 s4, 0x80
	v_cmp_eq_u16_sdwa s[12:13], v10, s4 src0_sel:BYTE_0 src1_sel:DWORD
	s_mov_b64 s[4:5], -1
                                        ; implicit-def: $sgpr10
	s_and_saveexec_b64 s[8:9], s[12:13]
; %bb.2566:
	s_mov_b32 s10, 0x7f800001
	s_xor_b64 s[4:5], exec, -1
; %bb.2567:
	s_or_b64 exec, exec, s[8:9]
	s_and_b64 s[4:5], s[4:5], exec
	s_or_saveexec_b64 s[6:7], s[6:7]
	v_mov_b32_e32 v21, s10
	s_xor_b64 exec, exec, s[6:7]
	s_cbranch_execz .LBB15_518
.LBB15_2568:
	v_mov_b32_e32 v21, 0
	v_cmp_ne_u16_sdwa s[8:9], v10, v21 src0_sel:BYTE_0 src1_sel:DWORD
	s_andn2_b64 s[4:5], s[4:5], exec
	s_and_b64 s[8:9], s[8:9], exec
	s_or_b64 s[4:5], s[4:5], s[8:9]
	s_or_b64 exec, exec, s[6:7]
	s_and_saveexec_b64 s[6:7], s[4:5]
	s_cbranch_execnz .LBB15_519
	s_branch .LBB15_520
.LBB15_2569:
	s_movk_i32 s4, 0x80
	v_cmp_eq_u16_sdwa s[12:13], v21, s4 src0_sel:BYTE_0 src1_sel:DWORD
	s_mov_b64 s[4:5], -1
                                        ; implicit-def: $sgpr10
	s_and_saveexec_b64 s[8:9], s[12:13]
; %bb.2570:
	s_mov_b32 s10, 0x7f800001
	s_xor_b64 s[4:5], exec, -1
; %bb.2571:
	s_or_b64 exec, exec, s[8:9]
	s_and_b64 s[4:5], s[4:5], exec
	s_or_saveexec_b64 s[6:7], s[6:7]
	v_mov_b32_e32 v20, s10
	s_xor_b64 exec, exec, s[6:7]
	s_cbranch_execz .LBB15_522
.LBB15_2572:
	v_mov_b32_e32 v20, 0
	v_cmp_ne_u16_sdwa s[8:9], v21, v20 src0_sel:BYTE_0 src1_sel:DWORD
	s_andn2_b64 s[4:5], s[4:5], exec
	s_and_b64 s[8:9], s[8:9], exec
	s_or_b64 s[4:5], s[4:5], s[8:9]
	s_or_b64 exec, exec, s[6:7]
	s_and_saveexec_b64 s[6:7], s[4:5]
	s_cbranch_execnz .LBB15_523
	s_branch .LBB15_524
.LBB15_2573:
	s_movk_i32 s4, 0x80
	v_cmp_eq_u16_sdwa s[12:13], v21, s4 src0_sel:BYTE_0 src1_sel:DWORD
	s_mov_b64 s[4:5], -1
                                        ; implicit-def: $sgpr10
	s_and_saveexec_b64 s[8:9], s[12:13]
; %bb.2574:
	s_mov_b32 s10, 0x7f800001
	s_xor_b64 s[4:5], exec, -1
; %bb.2575:
	s_or_b64 exec, exec, s[8:9]
	s_and_b64 s[4:5], s[4:5], exec
	s_or_saveexec_b64 s[6:7], s[6:7]
	v_mov_b32_e32 v22, s10
	s_xor_b64 exec, exec, s[6:7]
	s_cbranch_execz .LBB15_526
.LBB15_2576:
	v_mov_b32_e32 v22, 0
	v_cmp_ne_u16_sdwa s[8:9], v21, v22 src0_sel:BYTE_0 src1_sel:DWORD
	s_andn2_b64 s[4:5], s[4:5], exec
	s_and_b64 s[8:9], s[8:9], exec
	s_or_b64 s[4:5], s[4:5], s[8:9]
	s_or_b64 exec, exec, s[6:7]
	s_and_saveexec_b64 s[6:7], s[4:5]
	s_cbranch_execnz .LBB15_527
	s_branch .LBB15_528
.LBB15_2577:
	s_movk_i32 s4, 0x80
	v_cmp_eq_u16_e32 vcc, s4, v21
	s_mov_b64 s[4:5], -1
                                        ; implicit-def: $sgpr10
	s_and_saveexec_b64 s[8:9], vcc
; %bb.2578:
	s_mov_b32 s10, 0x7f800001
	s_xor_b64 s[4:5], exec, -1
; %bb.2579:
	s_or_b64 exec, exec, s[8:9]
	s_and_b64 s[4:5], s[4:5], exec
                                        ; implicit-def: $vgpr21
	s_or_saveexec_b64 s[6:7], s[6:7]
	v_mov_b32_e32 v20, s10
	s_xor_b64 exec, exec, s[6:7]
	s_cbranch_execz .LBB15_530
.LBB15_2580:
	v_cmp_ne_u16_e32 vcc, 0, v21
	s_andn2_b64 s[4:5], s[4:5], exec
	s_and_b64 s[8:9], vcc, exec
	v_mov_b32_e32 v20, 0
	s_or_b64 s[4:5], s[4:5], s[8:9]
	s_or_b64 exec, exec, s[6:7]
	s_and_saveexec_b64 s[6:7], s[4:5]
	s_cbranch_execnz .LBB15_531
	s_branch .LBB15_532
.LBB15_2581:
	s_movk_i32 s4, 0x80
	v_cmp_eq_u16_e32 vcc, s4, v21
	s_mov_b64 s[4:5], -1
                                        ; implicit-def: $sgpr10
	s_and_saveexec_b64 s[8:9], vcc
; %bb.2582:
	s_mov_b32 s10, 0x7f800001
	s_xor_b64 s[4:5], exec, -1
; %bb.2583:
	s_or_b64 exec, exec, s[8:9]
	s_and_b64 s[4:5], s[4:5], exec
                                        ; implicit-def: $vgpr21
	s_or_saveexec_b64 s[6:7], s[6:7]
	v_mov_b32_e32 v22, s10
	s_xor_b64 exec, exec, s[6:7]
	s_cbranch_execz .LBB15_534
.LBB15_2584:
	v_cmp_ne_u16_e32 vcc, 0, v21
	s_andn2_b64 s[4:5], s[4:5], exec
	s_and_b64 s[8:9], vcc, exec
	v_mov_b32_e32 v22, 0
	s_or_b64 s[4:5], s[4:5], s[8:9]
	s_or_b64 exec, exec, s[6:7]
	s_and_saveexec_b64 s[6:7], s[4:5]
	s_cbranch_execnz .LBB15_535
	s_branch .LBB15_536
.LBB15_2585:
	s_movk_i32 s4, 0x80
	v_cmp_eq_u16_sdwa s[12:13], v14, s4 src0_sel:BYTE_3 src1_sel:DWORD
	s_mov_b64 s[4:5], -1
                                        ; implicit-def: $sgpr10
	s_and_saveexec_b64 s[8:9], s[12:13]
; %bb.2586:
	s_mov_b32 s10, 0x7f800001
	s_xor_b64 s[4:5], exec, -1
; %bb.2587:
	s_or_b64 exec, exec, s[8:9]
	s_and_b64 s[4:5], s[4:5], exec
	s_or_saveexec_b64 s[6:7], s[6:7]
	v_mov_b32_e32 v20, s10
	s_xor_b64 exec, exec, s[6:7]
	s_cbranch_execz .LBB15_538
.LBB15_2588:
	v_mov_b32_e32 v20, 0
	v_cmp_ne_u16_sdwa s[8:9], v14, v20 src0_sel:BYTE_3 src1_sel:DWORD
	s_andn2_b64 s[4:5], s[4:5], exec
	s_and_b64 s[8:9], s[8:9], exec
	s_or_b64 s[4:5], s[4:5], s[8:9]
	s_or_b64 exec, exec, s[6:7]
	s_and_saveexec_b64 s[6:7], s[4:5]
	s_cbranch_execnz .LBB15_539
	s_branch .LBB15_540
.LBB15_2589:
	s_movk_i32 s4, 0x80
	v_cmp_eq_u16_sdwa s[12:13], v10, s4 src0_sel:BYTE_3 src1_sel:DWORD
	s_mov_b64 s[4:5], -1
                                        ; implicit-def: $sgpr10
	s_and_saveexec_b64 s[8:9], s[12:13]
; %bb.2590:
	s_mov_b32 s10, 0x7f800001
	s_xor_b64 s[4:5], exec, -1
; %bb.2591:
	s_or_b64 exec, exec, s[8:9]
	s_and_b64 s[4:5], s[4:5], exec
	s_or_saveexec_b64 s[6:7], s[6:7]
	v_mov_b32_e32 v14, s10
	s_xor_b64 exec, exec, s[6:7]
	s_cbranch_execz .LBB15_542
.LBB15_2592:
	v_mov_b32_e32 v14, 0
	v_cmp_ne_u16_sdwa s[8:9], v10, v14 src0_sel:BYTE_3 src1_sel:DWORD
	s_andn2_b64 s[4:5], s[4:5], exec
	s_and_b64 s[8:9], s[8:9], exec
	s_or_b64 s[4:5], s[4:5], s[8:9]
	s_or_b64 exec, exec, s[6:7]
	s_and_saveexec_b64 s[6:7], s[4:5]
	s_cbranch_execnz .LBB15_543
	s_branch .LBB15_544
.LBB15_2593:
	s_movk_i32 s4, 0x80
	v_cmp_eq_u16_sdwa s[12:13], v15, s4 src0_sel:BYTE_0 src1_sel:DWORD
	s_mov_b64 s[4:5], -1
                                        ; implicit-def: $sgpr10
	s_and_saveexec_b64 s[8:9], s[12:13]
; %bb.2594:
	s_mov_b32 s10, 0x7f800001
	s_xor_b64 s[4:5], exec, -1
; %bb.2595:
	s_or_b64 exec, exec, s[8:9]
	s_and_b64 s[4:5], s[4:5], exec
	s_or_saveexec_b64 s[6:7], s[6:7]
	v_mov_b32_e32 v10, s10
	s_xor_b64 exec, exec, s[6:7]
	s_cbranch_execz .LBB15_546
.LBB15_2596:
	v_mov_b32_e32 v10, 0
	v_cmp_ne_u16_sdwa s[8:9], v15, v10 src0_sel:BYTE_0 src1_sel:DWORD
	s_andn2_b64 s[4:5], s[4:5], exec
	s_and_b64 s[8:9], s[8:9], exec
	s_or_b64 s[4:5], s[4:5], s[8:9]
	s_or_b64 exec, exec, s[6:7]
	s_and_saveexec_b64 s[6:7], s[4:5]
	s_cbranch_execnz .LBB15_547
	s_branch .LBB15_548
.LBB15_2597:
	s_movk_i32 s4, 0x80
	v_cmp_eq_u16_sdwa s[12:13], v11, s4 src0_sel:BYTE_0 src1_sel:DWORD
	s_mov_b64 s[4:5], -1
                                        ; implicit-def: $sgpr10
	s_and_saveexec_b64 s[8:9], s[12:13]
; %bb.2598:
	s_mov_b32 s10, 0x7f800001
	s_xor_b64 s[4:5], exec, -1
; %bb.2599:
	s_or_b64 exec, exec, s[8:9]
	s_and_b64 s[4:5], s[4:5], exec
	s_or_saveexec_b64 s[6:7], s[6:7]
	v_mov_b32_e32 v14, s10
	s_xor_b64 exec, exec, s[6:7]
	s_cbranch_execz .LBB15_550
.LBB15_2600:
	v_mov_b32_e32 v14, 0
	v_cmp_ne_u16_sdwa s[8:9], v11, v14 src0_sel:BYTE_0 src1_sel:DWORD
	s_andn2_b64 s[4:5], s[4:5], exec
	s_and_b64 s[8:9], s[8:9], exec
	s_or_b64 s[4:5], s[4:5], s[8:9]
	s_or_b64 exec, exec, s[6:7]
	s_and_saveexec_b64 s[6:7], s[4:5]
	s_cbranch_execnz .LBB15_551
	s_branch .LBB15_552
.LBB15_2601:
	s_movk_i32 s4, 0x80
	v_cmp_eq_u16_sdwa s[12:13], v14, s4 src0_sel:BYTE_0 src1_sel:DWORD
	s_mov_b64 s[4:5], -1
                                        ; implicit-def: $sgpr10
	s_and_saveexec_b64 s[8:9], s[12:13]
; %bb.2602:
	s_mov_b32 s10, 0x7f800001
	s_xor_b64 s[4:5], exec, -1
; %bb.2603:
	s_or_b64 exec, exec, s[8:9]
	s_and_b64 s[4:5], s[4:5], exec
	s_or_saveexec_b64 s[6:7], s[6:7]
	v_mov_b32_e32 v10, s10
	s_xor_b64 exec, exec, s[6:7]
	s_cbranch_execz .LBB15_554
.LBB15_2604:
	v_mov_b32_e32 v10, 0
	v_cmp_ne_u16_sdwa s[8:9], v14, v10 src0_sel:BYTE_0 src1_sel:DWORD
	s_andn2_b64 s[4:5], s[4:5], exec
	s_and_b64 s[8:9], s[8:9], exec
	s_or_b64 s[4:5], s[4:5], s[8:9]
	s_or_b64 exec, exec, s[6:7]
	s_and_saveexec_b64 s[6:7], s[4:5]
	s_cbranch_execnz .LBB15_555
	s_branch .LBB15_556
.LBB15_2605:
	s_movk_i32 s4, 0x80
	v_cmp_eq_u16_sdwa s[12:13], v14, s4 src0_sel:BYTE_0 src1_sel:DWORD
	s_mov_b64 s[4:5], -1
                                        ; implicit-def: $sgpr10
	s_and_saveexec_b64 s[8:9], s[12:13]
; %bb.2606:
	s_mov_b32 s10, 0x7f800001
	s_xor_b64 s[4:5], exec, -1
; %bb.2607:
	s_or_b64 exec, exec, s[8:9]
	s_and_b64 s[4:5], s[4:5], exec
	s_or_saveexec_b64 s[6:7], s[6:7]
	v_mov_b32_e32 v20, s10
	s_xor_b64 exec, exec, s[6:7]
	s_cbranch_execz .LBB15_558
.LBB15_2608:
	v_mov_b32_e32 v20, 0
	v_cmp_ne_u16_sdwa s[8:9], v14, v20 src0_sel:BYTE_0 src1_sel:DWORD
	s_andn2_b64 s[4:5], s[4:5], exec
	s_and_b64 s[8:9], s[8:9], exec
	s_or_b64 s[4:5], s[4:5], s[8:9]
	s_or_b64 exec, exec, s[6:7]
	s_and_saveexec_b64 s[6:7], s[4:5]
	s_cbranch_execnz .LBB15_559
	s_branch .LBB15_560
.LBB15_2609:
	s_movk_i32 s4, 0x80
	v_cmp_eq_u16_e32 vcc, s4, v14
	s_mov_b64 s[4:5], -1
                                        ; implicit-def: $sgpr10
	s_and_saveexec_b64 s[8:9], vcc
; %bb.2610:
	s_mov_b32 s10, 0x7f800001
	s_xor_b64 s[4:5], exec, -1
; %bb.2611:
	s_or_b64 exec, exec, s[8:9]
	s_and_b64 s[4:5], s[4:5], exec
                                        ; implicit-def: $vgpr14
	s_or_saveexec_b64 s[6:7], s[6:7]
	v_mov_b32_e32 v10, s10
	s_xor_b64 exec, exec, s[6:7]
	s_cbranch_execz .LBB15_562
.LBB15_2612:
	v_cmp_ne_u16_e32 vcc, 0, v14
	s_andn2_b64 s[4:5], s[4:5], exec
	s_and_b64 s[8:9], vcc, exec
	v_mov_b32_e32 v10, 0
	s_or_b64 s[4:5], s[4:5], s[8:9]
	s_or_b64 exec, exec, s[6:7]
	s_and_saveexec_b64 s[6:7], s[4:5]
	s_cbranch_execnz .LBB15_563
	s_branch .LBB15_564
.LBB15_2613:
	s_movk_i32 s4, 0x80
	v_cmp_eq_u16_e32 vcc, s4, v14
	s_mov_b64 s[4:5], -1
                                        ; implicit-def: $sgpr10
	s_and_saveexec_b64 s[8:9], vcc
; %bb.2614:
	s_mov_b32 s10, 0x7f800001
	s_xor_b64 s[4:5], exec, -1
; %bb.2615:
	s_or_b64 exec, exec, s[8:9]
	s_and_b64 s[4:5], s[4:5], exec
                                        ; implicit-def: $vgpr14
	s_or_saveexec_b64 s[6:7], s[6:7]
	v_mov_b32_e32 v20, s10
	s_xor_b64 exec, exec, s[6:7]
	s_cbranch_execz .LBB15_566
.LBB15_2616:
	v_cmp_ne_u16_e32 vcc, 0, v14
	s_andn2_b64 s[4:5], s[4:5], exec
	s_and_b64 s[8:9], vcc, exec
	v_mov_b32_e32 v20, 0
	s_or_b64 s[4:5], s[4:5], s[8:9]
	s_or_b64 exec, exec, s[6:7]
	s_and_saveexec_b64 s[6:7], s[4:5]
	s_cbranch_execnz .LBB15_567
	s_branch .LBB15_568
.LBB15_2617:
	s_movk_i32 s4, 0x80
	v_cmp_eq_u16_sdwa s[12:13], v15, s4 src0_sel:BYTE_3 src1_sel:DWORD
	s_mov_b64 s[4:5], -1
                                        ; implicit-def: $sgpr10
	s_and_saveexec_b64 s[8:9], s[12:13]
; %bb.2618:
	s_mov_b32 s10, 0x7f800001
	s_xor_b64 s[4:5], exec, -1
; %bb.2619:
	s_or_b64 exec, exec, s[8:9]
	s_and_b64 s[4:5], s[4:5], exec
	s_or_saveexec_b64 s[6:7], s[6:7]
	v_mov_b32_e32 v10, s10
	s_xor_b64 exec, exec, s[6:7]
	s_cbranch_execz .LBB15_570
.LBB15_2620:
	v_mov_b32_e32 v10, 0
	v_cmp_ne_u16_sdwa s[8:9], v15, v10 src0_sel:BYTE_3 src1_sel:DWORD
	s_andn2_b64 s[4:5], s[4:5], exec
	s_and_b64 s[8:9], s[8:9], exec
	s_or_b64 s[4:5], s[4:5], s[8:9]
	s_or_b64 exec, exec, s[6:7]
	s_and_saveexec_b64 s[6:7], s[4:5]
	s_cbranch_execnz .LBB15_571
	s_branch .LBB15_572
.LBB15_2621:
	s_movk_i32 s4, 0x80
	v_cmp_eq_u16_sdwa s[12:13], v11, s4 src0_sel:BYTE_3 src1_sel:DWORD
	s_mov_b64 s[4:5], -1
                                        ; implicit-def: $sgpr10
	s_and_saveexec_b64 s[8:9], s[12:13]
; %bb.2622:
	s_mov_b32 s10, 0x7f800001
	s_xor_b64 s[4:5], exec, -1
; %bb.2623:
	s_or_b64 exec, exec, s[8:9]
	s_and_b64 s[4:5], s[4:5], exec
	s_or_saveexec_b64 s[6:7], s[6:7]
	v_mov_b32_e32 v14, s10
	s_xor_b64 exec, exec, s[6:7]
	s_cbranch_execz .LBB15_574
.LBB15_2624:
	v_mov_b32_e32 v14, 0
	v_cmp_ne_u16_sdwa s[8:9], v11, v14 src0_sel:BYTE_3 src1_sel:DWORD
	s_andn2_b64 s[4:5], s[4:5], exec
	s_and_b64 s[8:9], s[8:9], exec
	s_or_b64 s[4:5], s[4:5], s[8:9]
	s_or_b64 exec, exec, s[6:7]
	s_and_saveexec_b64 s[6:7], s[4:5]
	s_cbranch_execnz .LBB15_575
	s_branch .LBB15_576
.LBB15_2625:
	s_movk_i32 s4, 0x80
	v_cmp_eq_u16_sdwa s[12:13], v16, s4 src0_sel:BYTE_0 src1_sel:DWORD
	s_mov_b64 s[4:5], -1
                                        ; implicit-def: $sgpr10
	s_and_saveexec_b64 s[8:9], s[12:13]
; %bb.2626:
	s_mov_b32 s10, 0x7f800001
	s_xor_b64 s[4:5], exec, -1
; %bb.2627:
	s_or_b64 exec, exec, s[8:9]
	s_and_b64 s[4:5], s[4:5], exec
	s_or_saveexec_b64 s[6:7], s[6:7]
	v_mov_b32_e32 v10, s10
	s_xor_b64 exec, exec, s[6:7]
	s_cbranch_execz .LBB15_578
.LBB15_2628:
	v_mov_b32_e32 v10, 0
	v_cmp_ne_u16_sdwa s[8:9], v16, v10 src0_sel:BYTE_0 src1_sel:DWORD
	s_andn2_b64 s[4:5], s[4:5], exec
	s_and_b64 s[8:9], s[8:9], exec
	s_or_b64 s[4:5], s[4:5], s[8:9]
	s_or_b64 exec, exec, s[6:7]
	s_and_saveexec_b64 s[6:7], s[4:5]
	s_cbranch_execnz .LBB15_579
	s_branch .LBB15_580
.LBB15_2629:
	s_movk_i32 s4, 0x80
	v_cmp_eq_u16_sdwa s[12:13], v12, s4 src0_sel:BYTE_0 src1_sel:DWORD
	s_mov_b64 s[4:5], -1
                                        ; implicit-def: $sgpr10
	s_and_saveexec_b64 s[8:9], s[12:13]
; %bb.2630:
	s_mov_b32 s10, 0x7f800001
	s_xor_b64 s[4:5], exec, -1
; %bb.2631:
	s_or_b64 exec, exec, s[8:9]
	s_and_b64 s[4:5], s[4:5], exec
	s_or_saveexec_b64 s[6:7], s[6:7]
	v_mov_b32_e32 v11, s10
	s_xor_b64 exec, exec, s[6:7]
	s_cbranch_execz .LBB15_582
.LBB15_2632:
	v_mov_b32_e32 v11, 0
	v_cmp_ne_u16_sdwa s[8:9], v12, v11 src0_sel:BYTE_0 src1_sel:DWORD
	s_andn2_b64 s[4:5], s[4:5], exec
	s_and_b64 s[8:9], s[8:9], exec
	s_or_b64 s[4:5], s[4:5], s[8:9]
	s_or_b64 exec, exec, s[6:7]
	s_and_saveexec_b64 s[6:7], s[4:5]
	s_cbranch_execnz .LBB15_583
	s_branch .LBB15_584
.LBB15_2633:
	s_movk_i32 s4, 0x80
	v_cmp_eq_u16_sdwa s[12:13], v11, s4 src0_sel:BYTE_0 src1_sel:DWORD
	s_mov_b64 s[4:5], -1
                                        ; implicit-def: $sgpr10
	s_and_saveexec_b64 s[8:9], s[12:13]
; %bb.2634:
	s_mov_b32 s10, 0x7f800001
	s_xor_b64 s[4:5], exec, -1
; %bb.2635:
	s_or_b64 exec, exec, s[8:9]
	s_and_b64 s[4:5], s[4:5], exec
	s_or_saveexec_b64 s[6:7], s[6:7]
	v_mov_b32_e32 v10, s10
	s_xor_b64 exec, exec, s[6:7]
	s_cbranch_execz .LBB15_586
.LBB15_2636:
	v_mov_b32_e32 v10, 0
	v_cmp_ne_u16_sdwa s[8:9], v11, v10 src0_sel:BYTE_0 src1_sel:DWORD
	s_andn2_b64 s[4:5], s[4:5], exec
	s_and_b64 s[8:9], s[8:9], exec
	s_or_b64 s[4:5], s[4:5], s[8:9]
	s_or_b64 exec, exec, s[6:7]
	s_and_saveexec_b64 s[6:7], s[4:5]
	s_cbranch_execnz .LBB15_587
	s_branch .LBB15_588
.LBB15_2637:
	s_movk_i32 s4, 0x80
	v_cmp_eq_u16_sdwa s[12:13], v11, s4 src0_sel:BYTE_0 src1_sel:DWORD
	s_mov_b64 s[4:5], -1
                                        ; implicit-def: $sgpr10
	s_and_saveexec_b64 s[8:9], s[12:13]
; %bb.2638:
	s_mov_b32 s10, 0x7f800001
	s_xor_b64 s[4:5], exec, -1
; %bb.2639:
	s_or_b64 exec, exec, s[8:9]
	s_and_b64 s[4:5], s[4:5], exec
	s_or_saveexec_b64 s[6:7], s[6:7]
	v_mov_b32_e32 v14, s10
	s_xor_b64 exec, exec, s[6:7]
	s_cbranch_execz .LBB15_590
.LBB15_2640:
	v_mov_b32_e32 v14, 0
	v_cmp_ne_u16_sdwa s[8:9], v11, v14 src0_sel:BYTE_0 src1_sel:DWORD
	s_andn2_b64 s[4:5], s[4:5], exec
	s_and_b64 s[8:9], s[8:9], exec
	s_or_b64 s[4:5], s[4:5], s[8:9]
	s_or_b64 exec, exec, s[6:7]
	s_and_saveexec_b64 s[6:7], s[4:5]
	s_cbranch_execnz .LBB15_591
	s_branch .LBB15_592
.LBB15_2641:
	s_movk_i32 s4, 0x80
	v_cmp_eq_u16_e32 vcc, s4, v11
	s_mov_b64 s[4:5], -1
                                        ; implicit-def: $sgpr10
	s_and_saveexec_b64 s[8:9], vcc
; %bb.2642:
	s_mov_b32 s10, 0x7f800001
	s_xor_b64 s[4:5], exec, -1
; %bb.2643:
	s_or_b64 exec, exec, s[8:9]
	s_and_b64 s[4:5], s[4:5], exec
                                        ; implicit-def: $vgpr11
	s_or_saveexec_b64 s[6:7], s[6:7]
	v_mov_b32_e32 v10, s10
	s_xor_b64 exec, exec, s[6:7]
	s_cbranch_execz .LBB15_594
.LBB15_2644:
	v_cmp_ne_u16_e32 vcc, 0, v11
	s_andn2_b64 s[4:5], s[4:5], exec
	s_and_b64 s[8:9], vcc, exec
	v_mov_b32_e32 v10, 0
	s_or_b64 s[4:5], s[4:5], s[8:9]
	s_or_b64 exec, exec, s[6:7]
	s_and_saveexec_b64 s[6:7], s[4:5]
	s_cbranch_execnz .LBB15_595
	s_branch .LBB15_596
.LBB15_2645:
	s_movk_i32 s4, 0x80
	v_cmp_eq_u16_e32 vcc, s4, v11
	s_mov_b64 s[4:5], -1
                                        ; implicit-def: $sgpr10
	s_and_saveexec_b64 s[8:9], vcc
; %bb.2646:
	s_mov_b32 s10, 0x7f800001
	s_xor_b64 s[4:5], exec, -1
; %bb.2647:
	s_or_b64 exec, exec, s[8:9]
	s_and_b64 s[4:5], s[4:5], exec
                                        ; implicit-def: $vgpr11
	s_or_saveexec_b64 s[6:7], s[6:7]
	v_mov_b32_e32 v14, s10
	s_xor_b64 exec, exec, s[6:7]
	s_cbranch_execz .LBB15_598
.LBB15_2648:
	v_cmp_ne_u16_e32 vcc, 0, v11
	s_andn2_b64 s[4:5], s[4:5], exec
	s_and_b64 s[8:9], vcc, exec
	v_mov_b32_e32 v14, 0
	s_or_b64 s[4:5], s[4:5], s[8:9]
	s_or_b64 exec, exec, s[6:7]
	s_and_saveexec_b64 s[6:7], s[4:5]
	s_cbranch_execnz .LBB15_599
	s_branch .LBB15_600
.LBB15_2649:
	s_movk_i32 s4, 0x80
	v_cmp_eq_u16_sdwa s[12:13], v16, s4 src0_sel:BYTE_3 src1_sel:DWORD
	s_mov_b64 s[4:5], -1
                                        ; implicit-def: $sgpr10
	s_and_saveexec_b64 s[8:9], s[12:13]
; %bb.2650:
	s_mov_b32 s10, 0x7f800001
	s_xor_b64 s[4:5], exec, -1
; %bb.2651:
	s_or_b64 exec, exec, s[8:9]
	s_and_b64 s[4:5], s[4:5], exec
	s_or_saveexec_b64 s[6:7], s[6:7]
	v_mov_b32_e32 v10, s10
	s_xor_b64 exec, exec, s[6:7]
	s_cbranch_execz .LBB15_602
.LBB15_2652:
	v_mov_b32_e32 v10, 0
	v_cmp_ne_u16_sdwa s[8:9], v16, v10 src0_sel:BYTE_3 src1_sel:DWORD
	s_andn2_b64 s[4:5], s[4:5], exec
	s_and_b64 s[8:9], s[8:9], exec
	s_or_b64 s[4:5], s[4:5], s[8:9]
	s_or_b64 exec, exec, s[6:7]
	s_and_saveexec_b64 s[6:7], s[4:5]
	s_cbranch_execnz .LBB15_603
	s_branch .LBB15_604
.LBB15_2653:
	s_movk_i32 s4, 0x80
	v_cmp_eq_u16_sdwa s[12:13], v12, s4 src0_sel:BYTE_3 src1_sel:DWORD
	s_mov_b64 s[4:5], -1
                                        ; implicit-def: $sgpr10
	s_and_saveexec_b64 s[8:9], s[12:13]
; %bb.2654:
	s_mov_b32 s10, 0x7f800001
	s_xor_b64 s[4:5], exec, -1
; %bb.2655:
	s_or_b64 exec, exec, s[8:9]
	s_and_b64 s[4:5], s[4:5], exec
	s_or_saveexec_b64 s[6:7], s[6:7]
	v_mov_b32_e32 v11, s10
	s_xor_b64 exec, exec, s[6:7]
	s_cbranch_execz .LBB15_606
.LBB15_2656:
	v_mov_b32_e32 v11, 0
	v_cmp_ne_u16_sdwa s[8:9], v12, v11 src0_sel:BYTE_3 src1_sel:DWORD
	s_andn2_b64 s[4:5], s[4:5], exec
	s_and_b64 s[8:9], s[8:9], exec
	s_or_b64 s[4:5], s[4:5], s[8:9]
	s_or_b64 exec, exec, s[6:7]
	s_and_saveexec_b64 s[6:7], s[4:5]
	s_cbranch_execnz .LBB15_607
	s_branch .LBB15_608
.LBB15_2657:
	s_movk_i32 s4, 0x80
	v_cmp_eq_u16_sdwa s[12:13], v17, s4 src0_sel:BYTE_0 src1_sel:DWORD
	s_mov_b64 s[4:5], -1
                                        ; implicit-def: $sgpr10
	s_and_saveexec_b64 s[8:9], s[12:13]
; %bb.2658:
	s_mov_b32 s10, 0x7f800001
	s_xor_b64 s[4:5], exec, -1
; %bb.2659:
	s_or_b64 exec, exec, s[8:9]
	s_and_b64 s[4:5], s[4:5], exec
	s_or_saveexec_b64 s[6:7], s[6:7]
	v_mov_b32_e32 v10, s10
	s_xor_b64 exec, exec, s[6:7]
	s_cbranch_execz .LBB15_610
.LBB15_2660:
	v_mov_b32_e32 v10, 0
	v_cmp_ne_u16_sdwa s[8:9], v17, v10 src0_sel:BYTE_0 src1_sel:DWORD
	s_andn2_b64 s[4:5], s[4:5], exec
	s_and_b64 s[8:9], s[8:9], exec
	s_or_b64 s[4:5], s[4:5], s[8:9]
	s_or_b64 exec, exec, s[6:7]
	s_and_saveexec_b64 s[6:7], s[4:5]
	s_cbranch_execnz .LBB15_611
	s_branch .LBB15_612
.LBB15_2661:
	s_movk_i32 s4, 0x80
	v_cmp_eq_u16_sdwa s[12:13], v13, s4 src0_sel:BYTE_0 src1_sel:DWORD
	s_mov_b64 s[4:5], -1
                                        ; implicit-def: $sgpr10
	s_and_saveexec_b64 s[8:9], s[12:13]
; %bb.2662:
	s_mov_b32 s10, 0x7f800001
	s_xor_b64 s[4:5], exec, -1
; %bb.2663:
	s_or_b64 exec, exec, s[8:9]
	s_and_b64 s[4:5], s[4:5], exec
	s_or_saveexec_b64 s[6:7], s[6:7]
	v_mov_b32_e32 v11, s10
	s_xor_b64 exec, exec, s[6:7]
	s_cbranch_execz .LBB15_614
.LBB15_2664:
	v_mov_b32_e32 v11, 0
	v_cmp_ne_u16_sdwa s[8:9], v13, v11 src0_sel:BYTE_0 src1_sel:DWORD
	s_andn2_b64 s[4:5], s[4:5], exec
	s_and_b64 s[8:9], s[8:9], exec
	s_or_b64 s[4:5], s[4:5], s[8:9]
	s_or_b64 exec, exec, s[6:7]
	s_and_saveexec_b64 s[6:7], s[4:5]
	s_cbranch_execnz .LBB15_615
	s_branch .LBB15_616
.LBB15_2665:
	s_movk_i32 s4, 0x80
	v_cmp_eq_u16_sdwa s[12:13], v11, s4 src0_sel:BYTE_0 src1_sel:DWORD
	s_mov_b64 s[4:5], -1
                                        ; implicit-def: $sgpr10
	s_and_saveexec_b64 s[8:9], s[12:13]
; %bb.2666:
	s_mov_b32 s10, 0x7f800001
	s_xor_b64 s[4:5], exec, -1
; %bb.2667:
	s_or_b64 exec, exec, s[8:9]
	s_and_b64 s[4:5], s[4:5], exec
	s_or_saveexec_b64 s[6:7], s[6:7]
	v_mov_b32_e32 v10, s10
	s_xor_b64 exec, exec, s[6:7]
	s_cbranch_execz .LBB15_618
.LBB15_2668:
	v_mov_b32_e32 v10, 0
	v_cmp_ne_u16_sdwa s[8:9], v11, v10 src0_sel:BYTE_0 src1_sel:DWORD
	s_andn2_b64 s[4:5], s[4:5], exec
	s_and_b64 s[8:9], s[8:9], exec
	s_or_b64 s[4:5], s[4:5], s[8:9]
	s_or_b64 exec, exec, s[6:7]
	s_and_saveexec_b64 s[6:7], s[4:5]
	s_cbranch_execnz .LBB15_619
	s_branch .LBB15_620
.LBB15_2669:
	s_movk_i32 s4, 0x80
	v_cmp_eq_u16_sdwa s[12:13], v11, s4 src0_sel:BYTE_0 src1_sel:DWORD
	s_mov_b64 s[4:5], -1
                                        ; implicit-def: $sgpr10
	s_and_saveexec_b64 s[8:9], s[12:13]
; %bb.2670:
	s_mov_b32 s10, 0x7f800001
	s_xor_b64 s[4:5], exec, -1
; %bb.2671:
	s_or_b64 exec, exec, s[8:9]
	s_and_b64 s[4:5], s[4:5], exec
	s_or_saveexec_b64 s[6:7], s[6:7]
	v_mov_b32_e32 v12, s10
	s_xor_b64 exec, exec, s[6:7]
	s_cbranch_execz .LBB15_622
.LBB15_2672:
	v_mov_b32_e32 v12, 0
	v_cmp_ne_u16_sdwa s[8:9], v11, v12 src0_sel:BYTE_0 src1_sel:DWORD
	s_andn2_b64 s[4:5], s[4:5], exec
	s_and_b64 s[8:9], s[8:9], exec
	s_or_b64 s[4:5], s[4:5], s[8:9]
	s_or_b64 exec, exec, s[6:7]
	s_and_saveexec_b64 s[6:7], s[4:5]
	s_cbranch_execnz .LBB15_623
	s_branch .LBB15_624
.LBB15_2673:
	s_movk_i32 s4, 0x80
	v_cmp_eq_u16_e32 vcc, s4, v11
	s_mov_b64 s[4:5], -1
                                        ; implicit-def: $sgpr10
	s_and_saveexec_b64 s[8:9], vcc
; %bb.2674:
	s_mov_b32 s10, 0x7f800001
	s_xor_b64 s[4:5], exec, -1
; %bb.2675:
	s_or_b64 exec, exec, s[8:9]
	s_and_b64 s[4:5], s[4:5], exec
                                        ; implicit-def: $vgpr11
	s_or_saveexec_b64 s[6:7], s[6:7]
	v_mov_b32_e32 v10, s10
	s_xor_b64 exec, exec, s[6:7]
	s_cbranch_execz .LBB15_626
.LBB15_2676:
	v_cmp_ne_u16_e32 vcc, 0, v11
	s_andn2_b64 s[4:5], s[4:5], exec
	s_and_b64 s[8:9], vcc, exec
	v_mov_b32_e32 v10, 0
	s_or_b64 s[4:5], s[4:5], s[8:9]
	s_or_b64 exec, exec, s[6:7]
	s_and_saveexec_b64 s[6:7], s[4:5]
	s_cbranch_execnz .LBB15_627
	s_branch .LBB15_628
.LBB15_2677:
	s_movk_i32 s4, 0x80
	v_cmp_eq_u16_e32 vcc, s4, v11
	s_mov_b64 s[4:5], -1
                                        ; implicit-def: $sgpr10
	s_and_saveexec_b64 s[8:9], vcc
; %bb.2678:
	s_mov_b32 s10, 0x7f800001
	s_xor_b64 s[4:5], exec, -1
; %bb.2679:
	s_or_b64 exec, exec, s[8:9]
	s_and_b64 s[4:5], s[4:5], exec
                                        ; implicit-def: $vgpr11
	s_or_saveexec_b64 s[6:7], s[6:7]
	v_mov_b32_e32 v12, s10
	s_xor_b64 exec, exec, s[6:7]
	s_cbranch_execz .LBB15_630
.LBB15_2680:
	v_cmp_ne_u16_e32 vcc, 0, v11
	s_andn2_b64 s[4:5], s[4:5], exec
	s_and_b64 s[8:9], vcc, exec
	v_mov_b32_e32 v12, 0
	s_or_b64 s[4:5], s[4:5], s[8:9]
	s_or_b64 exec, exec, s[6:7]
	s_and_saveexec_b64 s[6:7], s[4:5]
	s_cbranch_execnz .LBB15_631
	s_branch .LBB15_632
.LBB15_2681:
	s_movk_i32 s4, 0x80
	v_cmp_eq_u16_sdwa s[12:13], v17, s4 src0_sel:BYTE_3 src1_sel:DWORD
	s_mov_b64 s[4:5], -1
                                        ; implicit-def: $sgpr10
	s_and_saveexec_b64 s[8:9], s[12:13]
; %bb.2682:
	s_mov_b32 s10, 0x7f800001
	s_xor_b64 s[4:5], exec, -1
; %bb.2683:
	s_or_b64 exec, exec, s[8:9]
	s_and_b64 s[4:5], s[4:5], exec
	s_or_saveexec_b64 s[6:7], s[6:7]
	v_mov_b32_e32 v10, s10
	s_xor_b64 exec, exec, s[6:7]
	s_cbranch_execz .LBB15_634
.LBB15_2684:
	v_mov_b32_e32 v10, 0
	v_cmp_ne_u16_sdwa s[8:9], v17, v10 src0_sel:BYTE_3 src1_sel:DWORD
	s_andn2_b64 s[4:5], s[4:5], exec
	s_and_b64 s[8:9], s[8:9], exec
	s_or_b64 s[4:5], s[4:5], s[8:9]
	s_or_b64 exec, exec, s[6:7]
	s_and_saveexec_b64 s[6:7], s[4:5]
	s_cbranch_execnz .LBB15_635
	s_branch .LBB15_636
.LBB15_2685:
	s_movk_i32 s4, 0x80
	v_cmp_eq_u16_sdwa s[12:13], v13, s4 src0_sel:BYTE_3 src1_sel:DWORD
	s_mov_b64 s[4:5], -1
                                        ; implicit-def: $sgpr10
	s_and_saveexec_b64 s[8:9], s[12:13]
; %bb.2686:
	s_mov_b32 s10, 0x7f800001
	s_xor_b64 s[4:5], exec, -1
; %bb.2687:
	s_or_b64 exec, exec, s[8:9]
	s_and_b64 s[4:5], s[4:5], exec
	s_or_saveexec_b64 s[6:7], s[6:7]
	v_mov_b32_e32 v11, s10
	s_xor_b64 exec, exec, s[6:7]
	s_cbranch_execz .LBB15_638
.LBB15_2688:
	v_mov_b32_e32 v11, 0
	v_cmp_ne_u16_sdwa s[8:9], v13, v11 src0_sel:BYTE_3 src1_sel:DWORD
	s_andn2_b64 s[4:5], s[4:5], exec
	s_and_b64 s[8:9], s[8:9], exec
	s_or_b64 s[4:5], s[4:5], s[8:9]
	s_or_b64 exec, exec, s[6:7]
	s_and_saveexec_b64 s[6:7], s[4:5]
	s_cbranch_execnz .LBB15_639
	s_branch .LBB15_640
.LBB15_2689:
	s_movk_i32 s4, 0x80
	v_cmp_eq_u16_sdwa s[12:13], v6, s4 src0_sel:BYTE_0 src1_sel:DWORD
	s_mov_b64 s[4:5], -1
                                        ; implicit-def: $sgpr10
	s_and_saveexec_b64 s[8:9], s[12:13]
; %bb.2690:
	s_mov_b32 s10, 0x7f800001
	s_xor_b64 s[4:5], exec, -1
; %bb.2691:
	s_or_b64 exec, exec, s[8:9]
	s_and_b64 s[4:5], s[4:5], exec
	s_or_saveexec_b64 s[6:7], s[6:7]
	v_mov_b32_e32 v10, s10
	s_xor_b64 exec, exec, s[6:7]
	s_cbranch_execz .LBB15_642
.LBB15_2692:
	v_mov_b32_e32 v10, 0
	v_cmp_ne_u16_sdwa s[8:9], v6, v10 src0_sel:BYTE_0 src1_sel:DWORD
	s_andn2_b64 s[4:5], s[4:5], exec
	s_and_b64 s[8:9], s[8:9], exec
	s_or_b64 s[4:5], s[4:5], s[8:9]
	s_or_b64 exec, exec, s[6:7]
	s_and_saveexec_b64 s[6:7], s[4:5]
	s_cbranch_execnz .LBB15_643
	s_branch .LBB15_644
.LBB15_2693:
	s_movk_i32 s4, 0x80
	v_cmp_eq_u16_sdwa s[12:13], v2, s4 src0_sel:BYTE_0 src1_sel:DWORD
	s_mov_b64 s[4:5], -1
                                        ; implicit-def: $sgpr10
	s_and_saveexec_b64 s[8:9], s[12:13]
; %bb.2694:
	s_mov_b32 s10, 0x7f800001
	s_xor_b64 s[4:5], exec, -1
; %bb.2695:
	s_or_b64 exec, exec, s[8:9]
	s_and_b64 s[4:5], s[4:5], exec
	s_or_saveexec_b64 s[6:7], s[6:7]
	v_mov_b32_e32 v11, s10
	s_xor_b64 exec, exec, s[6:7]
	s_cbranch_execz .LBB15_646
.LBB15_2696:
	v_mov_b32_e32 v11, 0
	v_cmp_ne_u16_sdwa s[8:9], v2, v11 src0_sel:BYTE_0 src1_sel:DWORD
	s_andn2_b64 s[4:5], s[4:5], exec
	s_and_b64 s[8:9], s[8:9], exec
	s_or_b64 s[4:5], s[4:5], s[8:9]
	s_or_b64 exec, exec, s[6:7]
	s_and_saveexec_b64 s[6:7], s[4:5]
	s_cbranch_execnz .LBB15_647
	s_branch .LBB15_648
.LBB15_2697:
	s_movk_i32 s4, 0x80
	v_cmp_eq_u16_sdwa s[12:13], v11, s4 src0_sel:BYTE_0 src1_sel:DWORD
	s_mov_b64 s[4:5], -1
                                        ; implicit-def: $sgpr10
	s_and_saveexec_b64 s[8:9], s[12:13]
; %bb.2698:
	s_mov_b32 s10, 0x7f800001
	s_xor_b64 s[4:5], exec, -1
; %bb.2699:
	s_or_b64 exec, exec, s[8:9]
	s_and_b64 s[4:5], s[4:5], exec
	s_or_saveexec_b64 s[6:7], s[6:7]
	v_mov_b32_e32 v10, s10
	s_xor_b64 exec, exec, s[6:7]
	s_cbranch_execz .LBB15_650
.LBB15_2700:
	v_mov_b32_e32 v10, 0
	v_cmp_ne_u16_sdwa s[8:9], v11, v10 src0_sel:BYTE_0 src1_sel:DWORD
	s_andn2_b64 s[4:5], s[4:5], exec
	s_and_b64 s[8:9], s[8:9], exec
	s_or_b64 s[4:5], s[4:5], s[8:9]
	s_or_b64 exec, exec, s[6:7]
	s_and_saveexec_b64 s[6:7], s[4:5]
	s_cbranch_execnz .LBB15_651
	s_branch .LBB15_652
.LBB15_2701:
	s_movk_i32 s4, 0x80
	v_cmp_eq_u16_sdwa s[12:13], v11, s4 src0_sel:BYTE_0 src1_sel:DWORD
	s_mov_b64 s[4:5], -1
                                        ; implicit-def: $sgpr10
	s_and_saveexec_b64 s[8:9], s[12:13]
; %bb.2702:
	s_mov_b32 s10, 0x7f800001
	s_xor_b64 s[4:5], exec, -1
; %bb.2703:
	s_or_b64 exec, exec, s[8:9]
	s_and_b64 s[4:5], s[4:5], exec
	s_or_saveexec_b64 s[6:7], s[6:7]
	v_mov_b32_e32 v12, s10
	s_xor_b64 exec, exec, s[6:7]
	s_cbranch_execz .LBB15_654
.LBB15_2704:
	v_mov_b32_e32 v12, 0
	v_cmp_ne_u16_sdwa s[8:9], v11, v12 src0_sel:BYTE_0 src1_sel:DWORD
	s_andn2_b64 s[4:5], s[4:5], exec
	s_and_b64 s[8:9], s[8:9], exec
	s_or_b64 s[4:5], s[4:5], s[8:9]
	s_or_b64 exec, exec, s[6:7]
	s_and_saveexec_b64 s[6:7], s[4:5]
	s_cbranch_execnz .LBB15_655
	s_branch .LBB15_656
.LBB15_2705:
	s_movk_i32 s4, 0x80
	v_cmp_eq_u16_e32 vcc, s4, v11
	s_mov_b64 s[4:5], -1
                                        ; implicit-def: $sgpr10
	s_and_saveexec_b64 s[8:9], vcc
; %bb.2706:
	s_mov_b32 s10, 0x7f800001
	s_xor_b64 s[4:5], exec, -1
; %bb.2707:
	s_or_b64 exec, exec, s[8:9]
	s_and_b64 s[4:5], s[4:5], exec
                                        ; implicit-def: $vgpr11
	s_or_saveexec_b64 s[6:7], s[6:7]
	v_mov_b32_e32 v10, s10
	s_xor_b64 exec, exec, s[6:7]
	s_cbranch_execz .LBB15_658
.LBB15_2708:
	v_cmp_ne_u16_e32 vcc, 0, v11
	s_andn2_b64 s[4:5], s[4:5], exec
	s_and_b64 s[8:9], vcc, exec
	v_mov_b32_e32 v10, 0
	s_or_b64 s[4:5], s[4:5], s[8:9]
	s_or_b64 exec, exec, s[6:7]
	s_and_saveexec_b64 s[6:7], s[4:5]
	s_cbranch_execnz .LBB15_659
	s_branch .LBB15_660
.LBB15_2709:
	s_movk_i32 s4, 0x80
	v_cmp_eq_u16_e32 vcc, s4, v11
	s_mov_b64 s[4:5], -1
                                        ; implicit-def: $sgpr10
	s_and_saveexec_b64 s[8:9], vcc
; %bb.2710:
	s_mov_b32 s10, 0x7f800001
	s_xor_b64 s[4:5], exec, -1
; %bb.2711:
	s_or_b64 exec, exec, s[8:9]
	s_and_b64 s[4:5], s[4:5], exec
                                        ; implicit-def: $vgpr11
	s_or_saveexec_b64 s[6:7], s[6:7]
	v_mov_b32_e32 v12, s10
	s_xor_b64 exec, exec, s[6:7]
	s_cbranch_execz .LBB15_662
.LBB15_2712:
	v_cmp_ne_u16_e32 vcc, 0, v11
	s_andn2_b64 s[4:5], s[4:5], exec
	s_and_b64 s[8:9], vcc, exec
	v_mov_b32_e32 v12, 0
	s_or_b64 s[4:5], s[4:5], s[8:9]
	s_or_b64 exec, exec, s[6:7]
	s_and_saveexec_b64 s[6:7], s[4:5]
	s_cbranch_execnz .LBB15_663
	s_branch .LBB15_664
.LBB15_2713:
	s_movk_i32 s4, 0x80
	v_cmp_eq_u16_sdwa s[12:13], v6, s4 src0_sel:BYTE_3 src1_sel:DWORD
	s_mov_b64 s[4:5], -1
                                        ; implicit-def: $sgpr10
	s_and_saveexec_b64 s[8:9], s[12:13]
; %bb.2714:
	s_mov_b32 s10, 0x7f800001
	s_xor_b64 s[4:5], exec, -1
; %bb.2715:
	s_or_b64 exec, exec, s[8:9]
	s_and_b64 s[4:5], s[4:5], exec
	s_or_saveexec_b64 s[6:7], s[6:7]
	v_mov_b32_e32 v10, s10
	s_xor_b64 exec, exec, s[6:7]
	s_cbranch_execz .LBB15_666
.LBB15_2716:
	v_mov_b32_e32 v10, 0
	v_cmp_ne_u16_sdwa s[8:9], v6, v10 src0_sel:BYTE_3 src1_sel:DWORD
	s_andn2_b64 s[4:5], s[4:5], exec
	s_and_b64 s[8:9], s[8:9], exec
	s_or_b64 s[4:5], s[4:5], s[8:9]
	s_or_b64 exec, exec, s[6:7]
	s_and_saveexec_b64 s[6:7], s[4:5]
	s_cbranch_execnz .LBB15_667
	s_branch .LBB15_668
.LBB15_2717:
	s_movk_i32 s4, 0x80
	v_cmp_eq_u16_sdwa s[12:13], v2, s4 src0_sel:BYTE_3 src1_sel:DWORD
	s_mov_b64 s[4:5], -1
                                        ; implicit-def: $sgpr10
	s_and_saveexec_b64 s[8:9], s[12:13]
; %bb.2718:
	s_mov_b32 s10, 0x7f800001
	s_xor_b64 s[4:5], exec, -1
; %bb.2719:
	s_or_b64 exec, exec, s[8:9]
	s_and_b64 s[4:5], s[4:5], exec
	s_or_saveexec_b64 s[6:7], s[6:7]
	v_mov_b32_e32 v6, s10
	s_xor_b64 exec, exec, s[6:7]
	s_cbranch_execz .LBB15_670
.LBB15_2720:
	v_mov_b32_e32 v6, 0
	v_cmp_ne_u16_sdwa s[8:9], v2, v6 src0_sel:BYTE_3 src1_sel:DWORD
	s_andn2_b64 s[4:5], s[4:5], exec
	s_and_b64 s[8:9], s[8:9], exec
	s_or_b64 s[4:5], s[4:5], s[8:9]
	s_or_b64 exec, exec, s[6:7]
	s_and_saveexec_b64 s[6:7], s[4:5]
	s_cbranch_execnz .LBB15_671
	s_branch .LBB15_672
.LBB15_2721:
	s_movk_i32 s4, 0x80
	v_cmp_eq_u16_sdwa s[12:13], v7, s4 src0_sel:BYTE_0 src1_sel:DWORD
	s_mov_b64 s[4:5], -1
                                        ; implicit-def: $sgpr10
	s_and_saveexec_b64 s[8:9], s[12:13]
; %bb.2722:
	s_mov_b32 s10, 0x7f800001
	s_xor_b64 s[4:5], exec, -1
; %bb.2723:
	s_or_b64 exec, exec, s[8:9]
	s_and_b64 s[4:5], s[4:5], exec
	s_or_saveexec_b64 s[6:7], s[6:7]
	v_mov_b32_e32 v2, s10
	s_xor_b64 exec, exec, s[6:7]
	s_cbranch_execz .LBB15_674
.LBB15_2724:
	v_mov_b32_e32 v2, 0
	v_cmp_ne_u16_sdwa s[8:9], v7, v2 src0_sel:BYTE_0 src1_sel:DWORD
	s_andn2_b64 s[4:5], s[4:5], exec
	s_and_b64 s[8:9], s[8:9], exec
	s_or_b64 s[4:5], s[4:5], s[8:9]
	s_or_b64 exec, exec, s[6:7]
	s_and_saveexec_b64 s[6:7], s[4:5]
	s_cbranch_execnz .LBB15_675
	s_branch .LBB15_676
.LBB15_2725:
	s_movk_i32 s4, 0x80
	v_cmp_eq_u16_sdwa s[12:13], v3, s4 src0_sel:BYTE_0 src1_sel:DWORD
	s_mov_b64 s[4:5], -1
                                        ; implicit-def: $sgpr10
	s_and_saveexec_b64 s[8:9], s[12:13]
; %bb.2726:
	s_mov_b32 s10, 0x7f800001
	s_xor_b64 s[4:5], exec, -1
; %bb.2727:
	s_or_b64 exec, exec, s[8:9]
	s_and_b64 s[4:5], s[4:5], exec
	s_or_saveexec_b64 s[6:7], s[6:7]
	v_mov_b32_e32 v6, s10
	s_xor_b64 exec, exec, s[6:7]
	s_cbranch_execz .LBB15_678
.LBB15_2728:
	v_mov_b32_e32 v6, 0
	v_cmp_ne_u16_sdwa s[8:9], v3, v6 src0_sel:BYTE_0 src1_sel:DWORD
	s_andn2_b64 s[4:5], s[4:5], exec
	s_and_b64 s[8:9], s[8:9], exec
	s_or_b64 s[4:5], s[4:5], s[8:9]
	s_or_b64 exec, exec, s[6:7]
	s_and_saveexec_b64 s[6:7], s[4:5]
	s_cbranch_execnz .LBB15_679
	s_branch .LBB15_680
.LBB15_2729:
	s_movk_i32 s4, 0x80
	v_cmp_eq_u16_sdwa s[12:13], v6, s4 src0_sel:BYTE_0 src1_sel:DWORD
	s_mov_b64 s[4:5], -1
                                        ; implicit-def: $sgpr10
	s_and_saveexec_b64 s[8:9], s[12:13]
; %bb.2730:
	s_mov_b32 s10, 0x7f800001
	s_xor_b64 s[4:5], exec, -1
; %bb.2731:
	s_or_b64 exec, exec, s[8:9]
	s_and_b64 s[4:5], s[4:5], exec
	s_or_saveexec_b64 s[6:7], s[6:7]
	v_mov_b32_e32 v2, s10
	s_xor_b64 exec, exec, s[6:7]
	s_cbranch_execz .LBB15_682
.LBB15_2732:
	v_mov_b32_e32 v2, 0
	v_cmp_ne_u16_sdwa s[8:9], v6, v2 src0_sel:BYTE_0 src1_sel:DWORD
	s_andn2_b64 s[4:5], s[4:5], exec
	s_and_b64 s[8:9], s[8:9], exec
	s_or_b64 s[4:5], s[4:5], s[8:9]
	s_or_b64 exec, exec, s[6:7]
	s_and_saveexec_b64 s[6:7], s[4:5]
	s_cbranch_execnz .LBB15_683
	s_branch .LBB15_684
.LBB15_2733:
	s_movk_i32 s4, 0x80
	v_cmp_eq_u16_sdwa s[12:13], v6, s4 src0_sel:BYTE_0 src1_sel:DWORD
	s_mov_b64 s[4:5], -1
                                        ; implicit-def: $sgpr10
	s_and_saveexec_b64 s[8:9], s[12:13]
; %bb.2734:
	s_mov_b32 s10, 0x7f800001
	s_xor_b64 s[4:5], exec, -1
; %bb.2735:
	s_or_b64 exec, exec, s[8:9]
	s_and_b64 s[4:5], s[4:5], exec
	s_or_saveexec_b64 s[6:7], s[6:7]
	v_mov_b32_e32 v10, s10
	s_xor_b64 exec, exec, s[6:7]
	s_cbranch_execz .LBB15_686
.LBB15_2736:
	v_mov_b32_e32 v10, 0
	v_cmp_ne_u16_sdwa s[8:9], v6, v10 src0_sel:BYTE_0 src1_sel:DWORD
	s_andn2_b64 s[4:5], s[4:5], exec
	s_and_b64 s[8:9], s[8:9], exec
	s_or_b64 s[4:5], s[4:5], s[8:9]
	s_or_b64 exec, exec, s[6:7]
	s_and_saveexec_b64 s[6:7], s[4:5]
	s_cbranch_execnz .LBB15_687
	s_branch .LBB15_688
.LBB15_2737:
	s_movk_i32 s4, 0x80
	v_cmp_eq_u16_e32 vcc, s4, v6
	s_mov_b64 s[4:5], -1
                                        ; implicit-def: $sgpr10
	s_and_saveexec_b64 s[8:9], vcc
; %bb.2738:
	s_mov_b32 s10, 0x7f800001
	s_xor_b64 s[4:5], exec, -1
; %bb.2739:
	s_or_b64 exec, exec, s[8:9]
	s_and_b64 s[4:5], s[4:5], exec
                                        ; implicit-def: $vgpr6
	s_or_saveexec_b64 s[6:7], s[6:7]
	v_mov_b32_e32 v2, s10
	s_xor_b64 exec, exec, s[6:7]
	s_cbranch_execz .LBB15_690
.LBB15_2740:
	v_cmp_ne_u16_e32 vcc, 0, v6
	s_andn2_b64 s[4:5], s[4:5], exec
	s_and_b64 s[8:9], vcc, exec
	v_mov_b32_e32 v2, 0
	s_or_b64 s[4:5], s[4:5], s[8:9]
	s_or_b64 exec, exec, s[6:7]
	s_and_saveexec_b64 s[6:7], s[4:5]
	s_cbranch_execnz .LBB15_691
	s_branch .LBB15_692
.LBB15_2741:
	s_movk_i32 s4, 0x80
	v_cmp_eq_u16_e32 vcc, s4, v6
	s_mov_b64 s[4:5], -1
                                        ; implicit-def: $sgpr10
	s_and_saveexec_b64 s[8:9], vcc
; %bb.2742:
	s_mov_b32 s10, 0x7f800001
	s_xor_b64 s[4:5], exec, -1
; %bb.2743:
	s_or_b64 exec, exec, s[8:9]
	s_and_b64 s[4:5], s[4:5], exec
                                        ; implicit-def: $vgpr6
	s_or_saveexec_b64 s[6:7], s[6:7]
	v_mov_b32_e32 v10, s10
	s_xor_b64 exec, exec, s[6:7]
	s_cbranch_execz .LBB15_694
.LBB15_2744:
	v_cmp_ne_u16_e32 vcc, 0, v6
	s_andn2_b64 s[4:5], s[4:5], exec
	s_and_b64 s[8:9], vcc, exec
	v_mov_b32_e32 v10, 0
	s_or_b64 s[4:5], s[4:5], s[8:9]
	s_or_b64 exec, exec, s[6:7]
	s_and_saveexec_b64 s[6:7], s[4:5]
	s_cbranch_execnz .LBB15_695
	s_branch .LBB15_696
.LBB15_2745:
	s_movk_i32 s4, 0x80
	v_cmp_eq_u16_sdwa s[12:13], v7, s4 src0_sel:BYTE_3 src1_sel:DWORD
	s_mov_b64 s[4:5], -1
                                        ; implicit-def: $sgpr10
	s_and_saveexec_b64 s[8:9], s[12:13]
; %bb.2746:
	s_mov_b32 s10, 0x7f800001
	s_xor_b64 s[4:5], exec, -1
; %bb.2747:
	s_or_b64 exec, exec, s[8:9]
	s_and_b64 s[4:5], s[4:5], exec
	s_or_saveexec_b64 s[6:7], s[6:7]
	v_mov_b32_e32 v2, s10
	s_xor_b64 exec, exec, s[6:7]
	s_cbranch_execz .LBB15_698
.LBB15_2748:
	v_mov_b32_e32 v2, 0
	v_cmp_ne_u16_sdwa s[8:9], v7, v2 src0_sel:BYTE_3 src1_sel:DWORD
	s_andn2_b64 s[4:5], s[4:5], exec
	s_and_b64 s[8:9], s[8:9], exec
	s_or_b64 s[4:5], s[4:5], s[8:9]
	s_or_b64 exec, exec, s[6:7]
	s_and_saveexec_b64 s[6:7], s[4:5]
	s_cbranch_execnz .LBB15_699
	s_branch .LBB15_700
.LBB15_2749:
	s_movk_i32 s4, 0x80
	v_cmp_eq_u16_sdwa s[12:13], v3, s4 src0_sel:BYTE_3 src1_sel:DWORD
	s_mov_b64 s[4:5], -1
                                        ; implicit-def: $sgpr10
	s_and_saveexec_b64 s[8:9], s[12:13]
; %bb.2750:
	s_mov_b32 s10, 0x7f800001
	s_xor_b64 s[4:5], exec, -1
; %bb.2751:
	s_or_b64 exec, exec, s[8:9]
	s_and_b64 s[4:5], s[4:5], exec
	s_or_saveexec_b64 s[6:7], s[6:7]
	v_mov_b32_e32 v6, s10
	s_xor_b64 exec, exec, s[6:7]
	s_cbranch_execz .LBB15_702
.LBB15_2752:
	v_mov_b32_e32 v6, 0
	v_cmp_ne_u16_sdwa s[8:9], v3, v6 src0_sel:BYTE_3 src1_sel:DWORD
	s_andn2_b64 s[4:5], s[4:5], exec
	s_and_b64 s[8:9], s[8:9], exec
	s_or_b64 s[4:5], s[4:5], s[8:9]
	s_or_b64 exec, exec, s[6:7]
	s_and_saveexec_b64 s[6:7], s[4:5]
	s_cbranch_execnz .LBB15_703
	s_branch .LBB15_704
.LBB15_2753:
	s_movk_i32 s4, 0x80
	v_cmp_eq_u16_sdwa s[12:13], v8, s4 src0_sel:BYTE_0 src1_sel:DWORD
	s_mov_b64 s[4:5], -1
                                        ; implicit-def: $sgpr10
	s_and_saveexec_b64 s[8:9], s[12:13]
; %bb.2754:
	s_mov_b32 s10, 0x7f800001
	s_xor_b64 s[4:5], exec, -1
; %bb.2755:
	s_or_b64 exec, exec, s[8:9]
	s_and_b64 s[4:5], s[4:5], exec
	s_or_saveexec_b64 s[6:7], s[6:7]
	v_mov_b32_e32 v2, s10
	s_xor_b64 exec, exec, s[6:7]
	s_cbranch_execz .LBB15_706
.LBB15_2756:
	v_mov_b32_e32 v2, 0
	v_cmp_ne_u16_sdwa s[8:9], v8, v2 src0_sel:BYTE_0 src1_sel:DWORD
	s_andn2_b64 s[4:5], s[4:5], exec
	s_and_b64 s[8:9], s[8:9], exec
	s_or_b64 s[4:5], s[4:5], s[8:9]
	s_or_b64 exec, exec, s[6:7]
	s_and_saveexec_b64 s[6:7], s[4:5]
	s_cbranch_execnz .LBB15_707
	s_branch .LBB15_708
.LBB15_2757:
	s_movk_i32 s4, 0x80
	v_cmp_eq_u16_sdwa s[12:13], v4, s4 src0_sel:BYTE_0 src1_sel:DWORD
	s_mov_b64 s[4:5], -1
                                        ; implicit-def: $sgpr10
	s_and_saveexec_b64 s[8:9], s[12:13]
; %bb.2758:
	s_mov_b32 s10, 0x7f800001
	s_xor_b64 s[4:5], exec, -1
; %bb.2759:
	s_or_b64 exec, exec, s[8:9]
	s_and_b64 s[4:5], s[4:5], exec
	s_or_saveexec_b64 s[6:7], s[6:7]
	v_mov_b32_e32 v3, s10
	s_xor_b64 exec, exec, s[6:7]
	s_cbranch_execz .LBB15_710
.LBB15_2760:
	v_mov_b32_e32 v3, 0
	v_cmp_ne_u16_sdwa s[8:9], v4, v3 src0_sel:BYTE_0 src1_sel:DWORD
	s_andn2_b64 s[4:5], s[4:5], exec
	s_and_b64 s[8:9], s[8:9], exec
	s_or_b64 s[4:5], s[4:5], s[8:9]
	s_or_b64 exec, exec, s[6:7]
	s_and_saveexec_b64 s[6:7], s[4:5]
	s_cbranch_execnz .LBB15_711
	s_branch .LBB15_712
.LBB15_2761:
	s_movk_i32 s4, 0x80
	v_cmp_eq_u16_sdwa s[12:13], v3, s4 src0_sel:BYTE_0 src1_sel:DWORD
	s_mov_b64 s[4:5], -1
                                        ; implicit-def: $sgpr10
	s_and_saveexec_b64 s[8:9], s[12:13]
; %bb.2762:
	s_mov_b32 s10, 0x7f800001
	s_xor_b64 s[4:5], exec, -1
; %bb.2763:
	s_or_b64 exec, exec, s[8:9]
	s_and_b64 s[4:5], s[4:5], exec
	s_or_saveexec_b64 s[6:7], s[6:7]
	v_mov_b32_e32 v2, s10
	s_xor_b64 exec, exec, s[6:7]
	s_cbranch_execz .LBB15_714
.LBB15_2764:
	v_mov_b32_e32 v2, 0
	v_cmp_ne_u16_sdwa s[8:9], v3, v2 src0_sel:BYTE_0 src1_sel:DWORD
	s_andn2_b64 s[4:5], s[4:5], exec
	s_and_b64 s[8:9], s[8:9], exec
	s_or_b64 s[4:5], s[4:5], s[8:9]
	s_or_b64 exec, exec, s[6:7]
	s_and_saveexec_b64 s[6:7], s[4:5]
	s_cbranch_execnz .LBB15_715
	s_branch .LBB15_716
.LBB15_2765:
	s_movk_i32 s4, 0x80
	v_cmp_eq_u16_sdwa s[12:13], v3, s4 src0_sel:BYTE_0 src1_sel:DWORD
	s_mov_b64 s[4:5], -1
                                        ; implicit-def: $sgpr10
	s_and_saveexec_b64 s[8:9], s[12:13]
; %bb.2766:
	s_mov_b32 s10, 0x7f800001
	s_xor_b64 s[4:5], exec, -1
; %bb.2767:
	s_or_b64 exec, exec, s[8:9]
	s_and_b64 s[4:5], s[4:5], exec
	s_or_saveexec_b64 s[6:7], s[6:7]
	v_mov_b32_e32 v6, s10
	s_xor_b64 exec, exec, s[6:7]
	s_cbranch_execz .LBB15_718
.LBB15_2768:
	v_mov_b32_e32 v6, 0
	v_cmp_ne_u16_sdwa s[8:9], v3, v6 src0_sel:BYTE_0 src1_sel:DWORD
	s_andn2_b64 s[4:5], s[4:5], exec
	s_and_b64 s[8:9], s[8:9], exec
	s_or_b64 s[4:5], s[4:5], s[8:9]
	s_or_b64 exec, exec, s[6:7]
	s_and_saveexec_b64 s[6:7], s[4:5]
	s_cbranch_execnz .LBB15_719
	s_branch .LBB15_720
.LBB15_2769:
	s_movk_i32 s4, 0x80
	v_cmp_eq_u16_e32 vcc, s4, v3
	s_mov_b64 s[4:5], -1
                                        ; implicit-def: $sgpr10
	s_and_saveexec_b64 s[8:9], vcc
; %bb.2770:
	s_mov_b32 s10, 0x7f800001
	s_xor_b64 s[4:5], exec, -1
; %bb.2771:
	s_or_b64 exec, exec, s[8:9]
	s_and_b64 s[4:5], s[4:5], exec
                                        ; implicit-def: $vgpr3
	s_or_saveexec_b64 s[6:7], s[6:7]
	v_mov_b32_e32 v2, s10
	s_xor_b64 exec, exec, s[6:7]
	s_cbranch_execz .LBB15_722
.LBB15_2772:
	v_cmp_ne_u16_e32 vcc, 0, v3
	s_andn2_b64 s[4:5], s[4:5], exec
	s_and_b64 s[8:9], vcc, exec
	v_mov_b32_e32 v2, 0
	s_or_b64 s[4:5], s[4:5], s[8:9]
	s_or_b64 exec, exec, s[6:7]
	s_and_saveexec_b64 s[6:7], s[4:5]
	s_cbranch_execnz .LBB15_723
	s_branch .LBB15_724
.LBB15_2773:
	s_movk_i32 s4, 0x80
	v_cmp_eq_u16_e32 vcc, s4, v3
	s_mov_b64 s[4:5], -1
                                        ; implicit-def: $sgpr10
	s_and_saveexec_b64 s[8:9], vcc
; %bb.2774:
	s_mov_b32 s10, 0x7f800001
	s_xor_b64 s[4:5], exec, -1
; %bb.2775:
	s_or_b64 exec, exec, s[8:9]
	s_and_b64 s[4:5], s[4:5], exec
                                        ; implicit-def: $vgpr3
	s_or_saveexec_b64 s[6:7], s[6:7]
	v_mov_b32_e32 v6, s10
	s_xor_b64 exec, exec, s[6:7]
	s_cbranch_execz .LBB15_726
.LBB15_2776:
	v_cmp_ne_u16_e32 vcc, 0, v3
	s_andn2_b64 s[4:5], s[4:5], exec
	s_and_b64 s[8:9], vcc, exec
	v_mov_b32_e32 v6, 0
	s_or_b64 s[4:5], s[4:5], s[8:9]
	s_or_b64 exec, exec, s[6:7]
	s_and_saveexec_b64 s[6:7], s[4:5]
	s_cbranch_execnz .LBB15_727
	s_branch .LBB15_728
.LBB15_2777:
	s_movk_i32 s4, 0x80
	v_cmp_eq_u16_sdwa s[12:13], v8, s4 src0_sel:BYTE_3 src1_sel:DWORD
	s_mov_b64 s[4:5], -1
                                        ; implicit-def: $sgpr10
	s_and_saveexec_b64 s[8:9], s[12:13]
; %bb.2778:
	s_mov_b32 s10, 0x7f800001
	s_xor_b64 s[4:5], exec, -1
; %bb.2779:
	s_or_b64 exec, exec, s[8:9]
	s_and_b64 s[4:5], s[4:5], exec
	s_or_saveexec_b64 s[6:7], s[6:7]
	v_mov_b32_e32 v2, s10
	s_xor_b64 exec, exec, s[6:7]
	s_cbranch_execz .LBB15_730
.LBB15_2780:
	v_mov_b32_e32 v2, 0
	v_cmp_ne_u16_sdwa s[8:9], v8, v2 src0_sel:BYTE_3 src1_sel:DWORD
	s_andn2_b64 s[4:5], s[4:5], exec
	s_and_b64 s[8:9], s[8:9], exec
	s_or_b64 s[4:5], s[4:5], s[8:9]
	s_or_b64 exec, exec, s[6:7]
	s_and_saveexec_b64 s[6:7], s[4:5]
	s_cbranch_execnz .LBB15_731
	s_branch .LBB15_732
.LBB15_2781:
	s_movk_i32 s4, 0x80
	v_cmp_eq_u16_sdwa s[12:13], v4, s4 src0_sel:BYTE_3 src1_sel:DWORD
	s_mov_b64 s[4:5], -1
                                        ; implicit-def: $sgpr10
	s_and_saveexec_b64 s[8:9], s[12:13]
; %bb.2782:
	s_mov_b32 s10, 0x7f800001
	s_xor_b64 s[4:5], exec, -1
; %bb.2783:
	s_or_b64 exec, exec, s[8:9]
	s_and_b64 s[4:5], s[4:5], exec
	s_or_saveexec_b64 s[6:7], s[6:7]
	v_mov_b32_e32 v3, s10
	s_xor_b64 exec, exec, s[6:7]
	s_cbranch_execz .LBB15_734
.LBB15_2784:
	v_mov_b32_e32 v3, 0
	v_cmp_ne_u16_sdwa s[8:9], v4, v3 src0_sel:BYTE_3 src1_sel:DWORD
	s_andn2_b64 s[4:5], s[4:5], exec
	s_and_b64 s[8:9], s[8:9], exec
	s_or_b64 s[4:5], s[4:5], s[8:9]
	s_or_b64 exec, exec, s[6:7]
	s_and_saveexec_b64 s[6:7], s[4:5]
	s_cbranch_execnz .LBB15_735
	s_branch .LBB15_736
.LBB15_2785:
	s_movk_i32 s4, 0x80
	v_cmp_eq_u16_sdwa s[12:13], v9, s4 src0_sel:BYTE_0 src1_sel:DWORD
	s_mov_b64 s[4:5], -1
                                        ; implicit-def: $sgpr10
	s_and_saveexec_b64 s[8:9], s[12:13]
; %bb.2786:
	s_mov_b32 s10, 0x7f800001
	s_xor_b64 s[4:5], exec, -1
; %bb.2787:
	s_or_b64 exec, exec, s[8:9]
	s_and_b64 s[4:5], s[4:5], exec
	s_or_saveexec_b64 s[6:7], s[6:7]
	v_mov_b32_e32 v2, s10
	s_xor_b64 exec, exec, s[6:7]
	s_cbranch_execz .LBB15_738
.LBB15_2788:
	v_mov_b32_e32 v2, 0
	v_cmp_ne_u16_sdwa s[8:9], v9, v2 src0_sel:BYTE_0 src1_sel:DWORD
	s_andn2_b64 s[4:5], s[4:5], exec
	s_and_b64 s[8:9], s[8:9], exec
	s_or_b64 s[4:5], s[4:5], s[8:9]
	s_or_b64 exec, exec, s[6:7]
	s_and_saveexec_b64 s[6:7], s[4:5]
	s_cbranch_execnz .LBB15_739
	s_branch .LBB15_740
.LBB15_2789:
	s_movk_i32 s4, 0x80
	v_cmp_eq_u16_sdwa s[12:13], v5, s4 src0_sel:BYTE_0 src1_sel:DWORD
	s_mov_b64 s[4:5], -1
                                        ; implicit-def: $sgpr10
	s_and_saveexec_b64 s[8:9], s[12:13]
; %bb.2790:
	s_mov_b32 s10, 0x7f800001
	s_xor_b64 s[4:5], exec, -1
; %bb.2791:
	s_or_b64 exec, exec, s[8:9]
	s_and_b64 s[4:5], s[4:5], exec
	s_or_saveexec_b64 s[6:7], s[6:7]
	v_mov_b32_e32 v3, s10
	s_xor_b64 exec, exec, s[6:7]
	s_cbranch_execz .LBB15_742
.LBB15_2792:
	v_mov_b32_e32 v3, 0
	v_cmp_ne_u16_sdwa s[8:9], v5, v3 src0_sel:BYTE_0 src1_sel:DWORD
	s_andn2_b64 s[4:5], s[4:5], exec
	s_and_b64 s[8:9], s[8:9], exec
	s_or_b64 s[4:5], s[4:5], s[8:9]
	s_or_b64 exec, exec, s[6:7]
	s_and_saveexec_b64 s[6:7], s[4:5]
	s_cbranch_execnz .LBB15_743
	s_branch .LBB15_744
.LBB15_2793:
	s_movk_i32 s4, 0x80
	v_cmp_eq_u16_sdwa s[12:13], v3, s4 src0_sel:BYTE_0 src1_sel:DWORD
	s_mov_b64 s[4:5], -1
                                        ; implicit-def: $sgpr10
	s_and_saveexec_b64 s[8:9], s[12:13]
; %bb.2794:
	s_mov_b32 s10, 0x7f800001
	s_xor_b64 s[4:5], exec, -1
; %bb.2795:
	s_or_b64 exec, exec, s[8:9]
	s_and_b64 s[4:5], s[4:5], exec
	s_or_saveexec_b64 s[6:7], s[6:7]
	v_mov_b32_e32 v2, s10
	s_xor_b64 exec, exec, s[6:7]
	s_cbranch_execz .LBB15_746
.LBB15_2796:
	v_mov_b32_e32 v2, 0
	v_cmp_ne_u16_sdwa s[8:9], v3, v2 src0_sel:BYTE_0 src1_sel:DWORD
	s_andn2_b64 s[4:5], s[4:5], exec
	s_and_b64 s[8:9], s[8:9], exec
	s_or_b64 s[4:5], s[4:5], s[8:9]
	s_or_b64 exec, exec, s[6:7]
	s_and_saveexec_b64 s[6:7], s[4:5]
	s_cbranch_execnz .LBB15_747
	s_branch .LBB15_748
.LBB15_2797:
	s_movk_i32 s4, 0x80
	v_cmp_eq_u16_sdwa s[12:13], v3, s4 src0_sel:BYTE_0 src1_sel:DWORD
	s_mov_b64 s[4:5], -1
                                        ; implicit-def: $sgpr10
	s_and_saveexec_b64 s[8:9], s[12:13]
; %bb.2798:
	s_mov_b32 s10, 0x7f800001
	s_xor_b64 s[4:5], exec, -1
; %bb.2799:
	s_or_b64 exec, exec, s[8:9]
	s_and_b64 s[4:5], s[4:5], exec
	s_or_saveexec_b64 s[6:7], s[6:7]
	v_mov_b32_e32 v4, s10
	s_xor_b64 exec, exec, s[6:7]
	s_cbranch_execz .LBB15_750
.LBB15_2800:
	v_mov_b32_e32 v4, 0
	v_cmp_ne_u16_sdwa s[8:9], v3, v4 src0_sel:BYTE_0 src1_sel:DWORD
	s_andn2_b64 s[4:5], s[4:5], exec
	s_and_b64 s[8:9], s[8:9], exec
	s_or_b64 s[4:5], s[4:5], s[8:9]
	s_or_b64 exec, exec, s[6:7]
	s_and_saveexec_b64 s[6:7], s[4:5]
	s_cbranch_execnz .LBB15_751
	s_branch .LBB15_752
.LBB15_2801:
	s_movk_i32 s4, 0x80
	v_cmp_eq_u16_e32 vcc, s4, v3
	s_mov_b64 s[4:5], -1
                                        ; implicit-def: $sgpr10
	s_and_saveexec_b64 s[8:9], vcc
; %bb.2802:
	s_mov_b32 s10, 0x7f800001
	s_xor_b64 s[4:5], exec, -1
; %bb.2803:
	s_or_b64 exec, exec, s[8:9]
	s_and_b64 s[4:5], s[4:5], exec
                                        ; implicit-def: $vgpr3
	s_or_saveexec_b64 s[6:7], s[6:7]
	v_mov_b32_e32 v2, s10
	s_xor_b64 exec, exec, s[6:7]
	s_cbranch_execz .LBB15_754
.LBB15_2804:
	v_cmp_ne_u16_e32 vcc, 0, v3
	s_andn2_b64 s[4:5], s[4:5], exec
	s_and_b64 s[8:9], vcc, exec
	v_mov_b32_e32 v2, 0
	s_or_b64 s[4:5], s[4:5], s[8:9]
	s_or_b64 exec, exec, s[6:7]
	s_and_saveexec_b64 s[6:7], s[4:5]
	s_cbranch_execnz .LBB15_755
	s_branch .LBB15_756
.LBB15_2805:
	s_movk_i32 s4, 0x80
	v_cmp_eq_u16_e32 vcc, s4, v3
	s_mov_b64 s[4:5], -1
                                        ; implicit-def: $sgpr10
	s_and_saveexec_b64 s[8:9], vcc
; %bb.2806:
	s_mov_b32 s10, 0x7f800001
	s_xor_b64 s[4:5], exec, -1
; %bb.2807:
	s_or_b64 exec, exec, s[8:9]
	s_and_b64 s[4:5], s[4:5], exec
                                        ; implicit-def: $vgpr3
	s_or_saveexec_b64 s[6:7], s[6:7]
	v_mov_b32_e32 v4, s10
	s_xor_b64 exec, exec, s[6:7]
	s_cbranch_execz .LBB15_758
.LBB15_2808:
	v_cmp_ne_u16_e32 vcc, 0, v3
	s_andn2_b64 s[4:5], s[4:5], exec
	s_and_b64 s[8:9], vcc, exec
	v_mov_b32_e32 v4, 0
	s_or_b64 s[4:5], s[4:5], s[8:9]
	s_or_b64 exec, exec, s[6:7]
	s_and_saveexec_b64 s[6:7], s[4:5]
	s_cbranch_execnz .LBB15_759
	s_branch .LBB15_760
.LBB15_2809:
	s_movk_i32 s4, 0x80
	v_cmp_eq_u16_sdwa s[12:13], v9, s4 src0_sel:BYTE_3 src1_sel:DWORD
	s_mov_b64 s[4:5], -1
                                        ; implicit-def: $sgpr10
	s_and_saveexec_b64 s[8:9], s[12:13]
; %bb.2810:
	s_mov_b32 s10, 0x7f800001
	s_xor_b64 s[4:5], exec, -1
; %bb.2811:
	s_or_b64 exec, exec, s[8:9]
	s_and_b64 s[4:5], s[4:5], exec
	s_or_saveexec_b64 s[6:7], s[6:7]
	v_mov_b32_e32 v2, s10
	s_xor_b64 exec, exec, s[6:7]
	s_cbranch_execz .LBB15_762
.LBB15_2812:
	v_mov_b32_e32 v2, 0
	v_cmp_ne_u16_sdwa s[8:9], v9, v2 src0_sel:BYTE_3 src1_sel:DWORD
	s_andn2_b64 s[4:5], s[4:5], exec
	s_and_b64 s[8:9], s[8:9], exec
	s_or_b64 s[4:5], s[4:5], s[8:9]
	s_or_b64 exec, exec, s[6:7]
	s_and_saveexec_b64 s[6:7], s[4:5]
	s_cbranch_execnz .LBB15_763
	s_branch .LBB15_764
.LBB15_2813:
	s_movk_i32 s4, 0x80
	v_cmp_eq_u16_sdwa s[12:13], v5, s4 src0_sel:BYTE_3 src1_sel:DWORD
	s_mov_b64 s[4:5], -1
                                        ; implicit-def: $sgpr10
	s_and_saveexec_b64 s[8:9], s[12:13]
; %bb.2814:
	s_mov_b32 s10, 0x7f800001
	s_xor_b64 s[4:5], exec, -1
; %bb.2815:
	s_or_b64 exec, exec, s[8:9]
	s_and_b64 s[4:5], s[4:5], exec
	s_or_saveexec_b64 s[6:7], s[6:7]
	v_mov_b32_e32 v3, s10
	s_xor_b64 exec, exec, s[6:7]
	s_cbranch_execz .LBB15_766
.LBB15_2816:
	v_mov_b32_e32 v3, 0
	v_cmp_ne_u16_sdwa s[8:9], v5, v3 src0_sel:BYTE_3 src1_sel:DWORD
	s_andn2_b64 s[4:5], s[4:5], exec
	s_and_b64 s[8:9], s[8:9], exec
	s_or_b64 s[4:5], s[4:5], s[8:9]
	s_or_b64 exec, exec, s[6:7]
	s_and_saveexec_b64 s[6:7], s[4:5]
	s_cbranch_execnz .LBB15_767
	s_branch .LBB15_768
.LBB15_2817:
	s_movk_i32 s4, 0x80
	v_cmp_eq_u16_sdwa s[12:13], v14, s4 src0_sel:BYTE_0 src1_sel:DWORD
	s_mov_b64 s[4:5], -1
                                        ; implicit-def: $sgpr10
	s_and_saveexec_b64 s[8:9], s[12:13]
; %bb.2818:
	s_mov_b32 s10, 0x7f800001
	s_xor_b64 s[4:5], exec, -1
; %bb.2819:
	s_or_b64 exec, exec, s[8:9]
	s_and_b64 s[4:5], s[4:5], exec
	s_or_saveexec_b64 s[6:7], s[6:7]
	v_mov_b32_e32 v20, s10
	s_xor_b64 exec, exec, s[6:7]
	s_cbranch_execz .LBB15_770
.LBB15_2820:
	v_mov_b32_e32 v20, 0
	v_cmp_ne_u16_sdwa s[8:9], v14, v20 src0_sel:BYTE_0 src1_sel:DWORD
	s_andn2_b64 s[4:5], s[4:5], exec
	s_and_b64 s[8:9], s[8:9], exec
	s_or_b64 s[4:5], s[4:5], s[8:9]
	s_or_b64 exec, exec, s[6:7]
	s_and_saveexec_b64 s[6:7], s[4:5]
	s_cbranch_execnz .LBB15_771
	s_branch .LBB15_772
.LBB15_2821:
	s_movk_i32 s4, 0x80
	v_cmp_eq_u16_sdwa s[12:13], v10, s4 src0_sel:BYTE_0 src1_sel:DWORD
	s_mov_b64 s[4:5], -1
                                        ; implicit-def: $sgpr10
	s_and_saveexec_b64 s[8:9], s[12:13]
; %bb.2822:
	s_mov_b32 s10, 0x7f800001
	s_xor_b64 s[4:5], exec, -1
; %bb.2823:
	s_or_b64 exec, exec, s[8:9]
	s_and_b64 s[4:5], s[4:5], exec
	s_or_saveexec_b64 s[6:7], s[6:7]
	v_mov_b32_e32 v21, s10
	s_xor_b64 exec, exec, s[6:7]
	s_cbranch_execz .LBB15_774
.LBB15_2824:
	v_mov_b32_e32 v21, 0
	v_cmp_ne_u16_sdwa s[8:9], v10, v21 src0_sel:BYTE_0 src1_sel:DWORD
	s_andn2_b64 s[4:5], s[4:5], exec
	s_and_b64 s[8:9], s[8:9], exec
	s_or_b64 s[4:5], s[4:5], s[8:9]
	s_or_b64 exec, exec, s[6:7]
	s_and_saveexec_b64 s[6:7], s[4:5]
	s_cbranch_execnz .LBB15_775
	s_branch .LBB15_776
.LBB15_2825:
	s_movk_i32 s4, 0x80
	v_cmp_eq_u16_sdwa s[12:13], v21, s4 src0_sel:BYTE_0 src1_sel:DWORD
	s_mov_b64 s[4:5], -1
                                        ; implicit-def: $sgpr10
	s_and_saveexec_b64 s[8:9], s[12:13]
; %bb.2826:
	s_mov_b32 s10, 0x7f800001
	s_xor_b64 s[4:5], exec, -1
; %bb.2827:
	s_or_b64 exec, exec, s[8:9]
	s_and_b64 s[4:5], s[4:5], exec
	s_or_saveexec_b64 s[6:7], s[6:7]
	v_mov_b32_e32 v20, s10
	s_xor_b64 exec, exec, s[6:7]
	s_cbranch_execz .LBB15_778
.LBB15_2828:
	v_mov_b32_e32 v20, 0
	v_cmp_ne_u16_sdwa s[8:9], v21, v20 src0_sel:BYTE_0 src1_sel:DWORD
	s_andn2_b64 s[4:5], s[4:5], exec
	s_and_b64 s[8:9], s[8:9], exec
	s_or_b64 s[4:5], s[4:5], s[8:9]
	s_or_b64 exec, exec, s[6:7]
	s_and_saveexec_b64 s[6:7], s[4:5]
	s_cbranch_execnz .LBB15_779
	s_branch .LBB15_780
.LBB15_2829:
	s_movk_i32 s4, 0x80
	v_cmp_eq_u16_sdwa s[12:13], v21, s4 src0_sel:BYTE_0 src1_sel:DWORD
	s_mov_b64 s[4:5], -1
                                        ; implicit-def: $sgpr10
	s_and_saveexec_b64 s[8:9], s[12:13]
; %bb.2830:
	s_mov_b32 s10, 0x7f800001
	s_xor_b64 s[4:5], exec, -1
; %bb.2831:
	s_or_b64 exec, exec, s[8:9]
	s_and_b64 s[4:5], s[4:5], exec
	s_or_saveexec_b64 s[6:7], s[6:7]
	v_mov_b32_e32 v22, s10
	s_xor_b64 exec, exec, s[6:7]
	s_cbranch_execz .LBB15_782
.LBB15_2832:
	v_mov_b32_e32 v22, 0
	v_cmp_ne_u16_sdwa s[8:9], v21, v22 src0_sel:BYTE_0 src1_sel:DWORD
	s_andn2_b64 s[4:5], s[4:5], exec
	s_and_b64 s[8:9], s[8:9], exec
	s_or_b64 s[4:5], s[4:5], s[8:9]
	s_or_b64 exec, exec, s[6:7]
	s_and_saveexec_b64 s[6:7], s[4:5]
	s_cbranch_execnz .LBB15_783
	s_branch .LBB15_784
.LBB15_2833:
	s_movk_i32 s4, 0x80
	v_cmp_eq_u16_e32 vcc, s4, v21
	s_mov_b64 s[4:5], -1
                                        ; implicit-def: $sgpr10
	s_and_saveexec_b64 s[8:9], vcc
; %bb.2834:
	s_mov_b32 s10, 0x7f800001
	s_xor_b64 s[4:5], exec, -1
; %bb.2835:
	s_or_b64 exec, exec, s[8:9]
	s_and_b64 s[4:5], s[4:5], exec
                                        ; implicit-def: $vgpr21
	s_or_saveexec_b64 s[6:7], s[6:7]
	v_mov_b32_e32 v20, s10
	s_xor_b64 exec, exec, s[6:7]
	s_cbranch_execz .LBB15_786
.LBB15_2836:
	v_cmp_ne_u16_e32 vcc, 0, v21
	s_andn2_b64 s[4:5], s[4:5], exec
	s_and_b64 s[8:9], vcc, exec
	v_mov_b32_e32 v20, 0
	s_or_b64 s[4:5], s[4:5], s[8:9]
	s_or_b64 exec, exec, s[6:7]
	s_and_saveexec_b64 s[6:7], s[4:5]
	s_cbranch_execnz .LBB15_787
	s_branch .LBB15_788
.LBB15_2837:
	s_movk_i32 s4, 0x80
	v_cmp_eq_u16_e32 vcc, s4, v21
	s_mov_b64 s[4:5], -1
                                        ; implicit-def: $sgpr10
	s_and_saveexec_b64 s[8:9], vcc
; %bb.2838:
	s_mov_b32 s10, 0x7f800001
	s_xor_b64 s[4:5], exec, -1
; %bb.2839:
	s_or_b64 exec, exec, s[8:9]
	s_and_b64 s[4:5], s[4:5], exec
                                        ; implicit-def: $vgpr21
	s_or_saveexec_b64 s[6:7], s[6:7]
	v_mov_b32_e32 v22, s10
	s_xor_b64 exec, exec, s[6:7]
	s_cbranch_execz .LBB15_790
.LBB15_2840:
	v_cmp_ne_u16_e32 vcc, 0, v21
	s_andn2_b64 s[4:5], s[4:5], exec
	s_and_b64 s[8:9], vcc, exec
	v_mov_b32_e32 v22, 0
	s_or_b64 s[4:5], s[4:5], s[8:9]
	s_or_b64 exec, exec, s[6:7]
	s_and_saveexec_b64 s[6:7], s[4:5]
	s_cbranch_execnz .LBB15_791
	s_branch .LBB15_792
.LBB15_2841:
	s_movk_i32 s4, 0x80
	v_cmp_eq_u16_sdwa s[12:13], v14, s4 src0_sel:BYTE_3 src1_sel:DWORD
	s_mov_b64 s[4:5], -1
                                        ; implicit-def: $sgpr10
	s_and_saveexec_b64 s[8:9], s[12:13]
; %bb.2842:
	s_mov_b32 s10, 0x7f800001
	s_xor_b64 s[4:5], exec, -1
; %bb.2843:
	s_or_b64 exec, exec, s[8:9]
	s_and_b64 s[4:5], s[4:5], exec
	s_or_saveexec_b64 s[6:7], s[6:7]
	v_mov_b32_e32 v20, s10
	s_xor_b64 exec, exec, s[6:7]
	s_cbranch_execz .LBB15_794
.LBB15_2844:
	v_mov_b32_e32 v20, 0
	v_cmp_ne_u16_sdwa s[8:9], v14, v20 src0_sel:BYTE_3 src1_sel:DWORD
	s_andn2_b64 s[4:5], s[4:5], exec
	s_and_b64 s[8:9], s[8:9], exec
	s_or_b64 s[4:5], s[4:5], s[8:9]
	s_or_b64 exec, exec, s[6:7]
	s_and_saveexec_b64 s[6:7], s[4:5]
	s_cbranch_execnz .LBB15_795
	s_branch .LBB15_796
.LBB15_2845:
	s_movk_i32 s4, 0x80
	v_cmp_eq_u16_sdwa s[12:13], v10, s4 src0_sel:BYTE_3 src1_sel:DWORD
	s_mov_b64 s[4:5], -1
                                        ; implicit-def: $sgpr10
	s_and_saveexec_b64 s[8:9], s[12:13]
; %bb.2846:
	s_mov_b32 s10, 0x7f800001
	s_xor_b64 s[4:5], exec, -1
; %bb.2847:
	s_or_b64 exec, exec, s[8:9]
	s_and_b64 s[4:5], s[4:5], exec
	s_or_saveexec_b64 s[6:7], s[6:7]
	v_mov_b32_e32 v14, s10
	s_xor_b64 exec, exec, s[6:7]
	s_cbranch_execz .LBB15_798
.LBB15_2848:
	v_mov_b32_e32 v14, 0
	v_cmp_ne_u16_sdwa s[8:9], v10, v14 src0_sel:BYTE_3 src1_sel:DWORD
	s_andn2_b64 s[4:5], s[4:5], exec
	s_and_b64 s[8:9], s[8:9], exec
	s_or_b64 s[4:5], s[4:5], s[8:9]
	s_or_b64 exec, exec, s[6:7]
	s_and_saveexec_b64 s[6:7], s[4:5]
	s_cbranch_execnz .LBB15_799
	s_branch .LBB15_800
.LBB15_2849:
	s_movk_i32 s4, 0x80
	v_cmp_eq_u16_sdwa s[12:13], v15, s4 src0_sel:BYTE_0 src1_sel:DWORD
	s_mov_b64 s[4:5], -1
                                        ; implicit-def: $sgpr10
	s_and_saveexec_b64 s[8:9], s[12:13]
; %bb.2850:
	s_mov_b32 s10, 0x7f800001
	s_xor_b64 s[4:5], exec, -1
; %bb.2851:
	s_or_b64 exec, exec, s[8:9]
	s_and_b64 s[4:5], s[4:5], exec
	s_or_saveexec_b64 s[6:7], s[6:7]
	v_mov_b32_e32 v10, s10
	s_xor_b64 exec, exec, s[6:7]
	s_cbranch_execz .LBB15_802
.LBB15_2852:
	v_mov_b32_e32 v10, 0
	v_cmp_ne_u16_sdwa s[8:9], v15, v10 src0_sel:BYTE_0 src1_sel:DWORD
	s_andn2_b64 s[4:5], s[4:5], exec
	s_and_b64 s[8:9], s[8:9], exec
	s_or_b64 s[4:5], s[4:5], s[8:9]
	s_or_b64 exec, exec, s[6:7]
	s_and_saveexec_b64 s[6:7], s[4:5]
	s_cbranch_execnz .LBB15_803
	s_branch .LBB15_804
.LBB15_2853:
	s_movk_i32 s4, 0x80
	v_cmp_eq_u16_sdwa s[12:13], v11, s4 src0_sel:BYTE_0 src1_sel:DWORD
	s_mov_b64 s[4:5], -1
                                        ; implicit-def: $sgpr10
	s_and_saveexec_b64 s[8:9], s[12:13]
; %bb.2854:
	s_mov_b32 s10, 0x7f800001
	s_xor_b64 s[4:5], exec, -1
; %bb.2855:
	s_or_b64 exec, exec, s[8:9]
	s_and_b64 s[4:5], s[4:5], exec
	s_or_saveexec_b64 s[6:7], s[6:7]
	v_mov_b32_e32 v14, s10
	s_xor_b64 exec, exec, s[6:7]
	s_cbranch_execz .LBB15_806
.LBB15_2856:
	v_mov_b32_e32 v14, 0
	v_cmp_ne_u16_sdwa s[8:9], v11, v14 src0_sel:BYTE_0 src1_sel:DWORD
	s_andn2_b64 s[4:5], s[4:5], exec
	s_and_b64 s[8:9], s[8:9], exec
	s_or_b64 s[4:5], s[4:5], s[8:9]
	s_or_b64 exec, exec, s[6:7]
	s_and_saveexec_b64 s[6:7], s[4:5]
	s_cbranch_execnz .LBB15_807
	s_branch .LBB15_808
.LBB15_2857:
	s_movk_i32 s4, 0x80
	v_cmp_eq_u16_sdwa s[12:13], v14, s4 src0_sel:BYTE_0 src1_sel:DWORD
	s_mov_b64 s[4:5], -1
                                        ; implicit-def: $sgpr10
	s_and_saveexec_b64 s[8:9], s[12:13]
; %bb.2858:
	s_mov_b32 s10, 0x7f800001
	s_xor_b64 s[4:5], exec, -1
; %bb.2859:
	s_or_b64 exec, exec, s[8:9]
	s_and_b64 s[4:5], s[4:5], exec
	s_or_saveexec_b64 s[6:7], s[6:7]
	v_mov_b32_e32 v10, s10
	s_xor_b64 exec, exec, s[6:7]
	s_cbranch_execz .LBB15_810
.LBB15_2860:
	v_mov_b32_e32 v10, 0
	v_cmp_ne_u16_sdwa s[8:9], v14, v10 src0_sel:BYTE_0 src1_sel:DWORD
	s_andn2_b64 s[4:5], s[4:5], exec
	s_and_b64 s[8:9], s[8:9], exec
	s_or_b64 s[4:5], s[4:5], s[8:9]
	s_or_b64 exec, exec, s[6:7]
	s_and_saveexec_b64 s[6:7], s[4:5]
	s_cbranch_execnz .LBB15_811
	s_branch .LBB15_812
.LBB15_2861:
	s_movk_i32 s4, 0x80
	v_cmp_eq_u16_sdwa s[12:13], v14, s4 src0_sel:BYTE_0 src1_sel:DWORD
	s_mov_b64 s[4:5], -1
                                        ; implicit-def: $sgpr10
	s_and_saveexec_b64 s[8:9], s[12:13]
; %bb.2862:
	s_mov_b32 s10, 0x7f800001
	s_xor_b64 s[4:5], exec, -1
; %bb.2863:
	s_or_b64 exec, exec, s[8:9]
	s_and_b64 s[4:5], s[4:5], exec
	s_or_saveexec_b64 s[6:7], s[6:7]
	v_mov_b32_e32 v20, s10
	s_xor_b64 exec, exec, s[6:7]
	s_cbranch_execz .LBB15_814
.LBB15_2864:
	v_mov_b32_e32 v20, 0
	v_cmp_ne_u16_sdwa s[8:9], v14, v20 src0_sel:BYTE_0 src1_sel:DWORD
	s_andn2_b64 s[4:5], s[4:5], exec
	s_and_b64 s[8:9], s[8:9], exec
	s_or_b64 s[4:5], s[4:5], s[8:9]
	s_or_b64 exec, exec, s[6:7]
	s_and_saveexec_b64 s[6:7], s[4:5]
	s_cbranch_execnz .LBB15_815
	s_branch .LBB15_816
.LBB15_2865:
	s_movk_i32 s4, 0x80
	v_cmp_eq_u16_e32 vcc, s4, v14
	s_mov_b64 s[4:5], -1
                                        ; implicit-def: $sgpr10
	s_and_saveexec_b64 s[8:9], vcc
; %bb.2866:
	s_mov_b32 s10, 0x7f800001
	s_xor_b64 s[4:5], exec, -1
; %bb.2867:
	s_or_b64 exec, exec, s[8:9]
	s_and_b64 s[4:5], s[4:5], exec
                                        ; implicit-def: $vgpr14
	s_or_saveexec_b64 s[6:7], s[6:7]
	v_mov_b32_e32 v10, s10
	s_xor_b64 exec, exec, s[6:7]
	s_cbranch_execz .LBB15_818
.LBB15_2868:
	v_cmp_ne_u16_e32 vcc, 0, v14
	s_andn2_b64 s[4:5], s[4:5], exec
	s_and_b64 s[8:9], vcc, exec
	v_mov_b32_e32 v10, 0
	s_or_b64 s[4:5], s[4:5], s[8:9]
	s_or_b64 exec, exec, s[6:7]
	s_and_saveexec_b64 s[6:7], s[4:5]
	s_cbranch_execnz .LBB15_819
	s_branch .LBB15_820
.LBB15_2869:
	s_movk_i32 s4, 0x80
	v_cmp_eq_u16_e32 vcc, s4, v14
	s_mov_b64 s[4:5], -1
                                        ; implicit-def: $sgpr10
	s_and_saveexec_b64 s[8:9], vcc
; %bb.2870:
	s_mov_b32 s10, 0x7f800001
	s_xor_b64 s[4:5], exec, -1
; %bb.2871:
	s_or_b64 exec, exec, s[8:9]
	s_and_b64 s[4:5], s[4:5], exec
                                        ; implicit-def: $vgpr14
	s_or_saveexec_b64 s[6:7], s[6:7]
	v_mov_b32_e32 v20, s10
	s_xor_b64 exec, exec, s[6:7]
	s_cbranch_execz .LBB15_822
.LBB15_2872:
	v_cmp_ne_u16_e32 vcc, 0, v14
	s_andn2_b64 s[4:5], s[4:5], exec
	s_and_b64 s[8:9], vcc, exec
	v_mov_b32_e32 v20, 0
	s_or_b64 s[4:5], s[4:5], s[8:9]
	s_or_b64 exec, exec, s[6:7]
	s_and_saveexec_b64 s[6:7], s[4:5]
	s_cbranch_execnz .LBB15_823
	s_branch .LBB15_824
.LBB15_2873:
	s_movk_i32 s4, 0x80
	v_cmp_eq_u16_sdwa s[12:13], v15, s4 src0_sel:BYTE_3 src1_sel:DWORD
	s_mov_b64 s[4:5], -1
                                        ; implicit-def: $sgpr10
	s_and_saveexec_b64 s[8:9], s[12:13]
; %bb.2874:
	s_mov_b32 s10, 0x7f800001
	s_xor_b64 s[4:5], exec, -1
; %bb.2875:
	s_or_b64 exec, exec, s[8:9]
	s_and_b64 s[4:5], s[4:5], exec
	s_or_saveexec_b64 s[6:7], s[6:7]
	v_mov_b32_e32 v10, s10
	s_xor_b64 exec, exec, s[6:7]
	s_cbranch_execz .LBB15_826
.LBB15_2876:
	v_mov_b32_e32 v10, 0
	v_cmp_ne_u16_sdwa s[8:9], v15, v10 src0_sel:BYTE_3 src1_sel:DWORD
	s_andn2_b64 s[4:5], s[4:5], exec
	s_and_b64 s[8:9], s[8:9], exec
	s_or_b64 s[4:5], s[4:5], s[8:9]
	s_or_b64 exec, exec, s[6:7]
	s_and_saveexec_b64 s[6:7], s[4:5]
	s_cbranch_execnz .LBB15_827
	s_branch .LBB15_828
.LBB15_2877:
	s_movk_i32 s4, 0x80
	v_cmp_eq_u16_sdwa s[12:13], v11, s4 src0_sel:BYTE_3 src1_sel:DWORD
	s_mov_b64 s[4:5], -1
                                        ; implicit-def: $sgpr10
	s_and_saveexec_b64 s[8:9], s[12:13]
; %bb.2878:
	s_mov_b32 s10, 0x7f800001
	s_xor_b64 s[4:5], exec, -1
; %bb.2879:
	s_or_b64 exec, exec, s[8:9]
	s_and_b64 s[4:5], s[4:5], exec
	s_or_saveexec_b64 s[6:7], s[6:7]
	v_mov_b32_e32 v14, s10
	s_xor_b64 exec, exec, s[6:7]
	s_cbranch_execz .LBB15_830
.LBB15_2880:
	v_mov_b32_e32 v14, 0
	v_cmp_ne_u16_sdwa s[8:9], v11, v14 src0_sel:BYTE_3 src1_sel:DWORD
	s_andn2_b64 s[4:5], s[4:5], exec
	s_and_b64 s[8:9], s[8:9], exec
	s_or_b64 s[4:5], s[4:5], s[8:9]
	s_or_b64 exec, exec, s[6:7]
	s_and_saveexec_b64 s[6:7], s[4:5]
	s_cbranch_execnz .LBB15_831
	s_branch .LBB15_832
.LBB15_2881:
	s_movk_i32 s4, 0x80
	v_cmp_eq_u16_sdwa s[12:13], v16, s4 src0_sel:BYTE_0 src1_sel:DWORD
	s_mov_b64 s[4:5], -1
                                        ; implicit-def: $sgpr10
	s_and_saveexec_b64 s[8:9], s[12:13]
; %bb.2882:
	s_mov_b32 s10, 0x7f800001
	s_xor_b64 s[4:5], exec, -1
; %bb.2883:
	s_or_b64 exec, exec, s[8:9]
	s_and_b64 s[4:5], s[4:5], exec
	s_or_saveexec_b64 s[6:7], s[6:7]
	v_mov_b32_e32 v10, s10
	s_xor_b64 exec, exec, s[6:7]
	s_cbranch_execz .LBB15_834
.LBB15_2884:
	v_mov_b32_e32 v10, 0
	v_cmp_ne_u16_sdwa s[8:9], v16, v10 src0_sel:BYTE_0 src1_sel:DWORD
	s_andn2_b64 s[4:5], s[4:5], exec
	s_and_b64 s[8:9], s[8:9], exec
	s_or_b64 s[4:5], s[4:5], s[8:9]
	s_or_b64 exec, exec, s[6:7]
	s_and_saveexec_b64 s[6:7], s[4:5]
	s_cbranch_execnz .LBB15_835
	s_branch .LBB15_836
.LBB15_2885:
	s_movk_i32 s4, 0x80
	v_cmp_eq_u16_sdwa s[12:13], v12, s4 src0_sel:BYTE_0 src1_sel:DWORD
	s_mov_b64 s[4:5], -1
                                        ; implicit-def: $sgpr10
	s_and_saveexec_b64 s[8:9], s[12:13]
; %bb.2886:
	s_mov_b32 s10, 0x7f800001
	s_xor_b64 s[4:5], exec, -1
; %bb.2887:
	s_or_b64 exec, exec, s[8:9]
	s_and_b64 s[4:5], s[4:5], exec
	s_or_saveexec_b64 s[6:7], s[6:7]
	v_mov_b32_e32 v11, s10
	s_xor_b64 exec, exec, s[6:7]
	s_cbranch_execz .LBB15_838
.LBB15_2888:
	v_mov_b32_e32 v11, 0
	v_cmp_ne_u16_sdwa s[8:9], v12, v11 src0_sel:BYTE_0 src1_sel:DWORD
	s_andn2_b64 s[4:5], s[4:5], exec
	s_and_b64 s[8:9], s[8:9], exec
	s_or_b64 s[4:5], s[4:5], s[8:9]
	s_or_b64 exec, exec, s[6:7]
	s_and_saveexec_b64 s[6:7], s[4:5]
	s_cbranch_execnz .LBB15_839
	s_branch .LBB15_840
.LBB15_2889:
	s_movk_i32 s4, 0x80
	v_cmp_eq_u16_sdwa s[12:13], v11, s4 src0_sel:BYTE_0 src1_sel:DWORD
	s_mov_b64 s[4:5], -1
                                        ; implicit-def: $sgpr10
	s_and_saveexec_b64 s[8:9], s[12:13]
; %bb.2890:
	s_mov_b32 s10, 0x7f800001
	s_xor_b64 s[4:5], exec, -1
; %bb.2891:
	s_or_b64 exec, exec, s[8:9]
	s_and_b64 s[4:5], s[4:5], exec
	s_or_saveexec_b64 s[6:7], s[6:7]
	v_mov_b32_e32 v10, s10
	s_xor_b64 exec, exec, s[6:7]
	s_cbranch_execz .LBB15_842
.LBB15_2892:
	v_mov_b32_e32 v10, 0
	v_cmp_ne_u16_sdwa s[8:9], v11, v10 src0_sel:BYTE_0 src1_sel:DWORD
	s_andn2_b64 s[4:5], s[4:5], exec
	s_and_b64 s[8:9], s[8:9], exec
	s_or_b64 s[4:5], s[4:5], s[8:9]
	s_or_b64 exec, exec, s[6:7]
	s_and_saveexec_b64 s[6:7], s[4:5]
	s_cbranch_execnz .LBB15_843
	s_branch .LBB15_844
.LBB15_2893:
	s_movk_i32 s4, 0x80
	v_cmp_eq_u16_sdwa s[12:13], v11, s4 src0_sel:BYTE_0 src1_sel:DWORD
	s_mov_b64 s[4:5], -1
                                        ; implicit-def: $sgpr10
	s_and_saveexec_b64 s[8:9], s[12:13]
; %bb.2894:
	s_mov_b32 s10, 0x7f800001
	s_xor_b64 s[4:5], exec, -1
; %bb.2895:
	s_or_b64 exec, exec, s[8:9]
	s_and_b64 s[4:5], s[4:5], exec
	s_or_saveexec_b64 s[6:7], s[6:7]
	v_mov_b32_e32 v14, s10
	s_xor_b64 exec, exec, s[6:7]
	s_cbranch_execz .LBB15_846
.LBB15_2896:
	v_mov_b32_e32 v14, 0
	v_cmp_ne_u16_sdwa s[8:9], v11, v14 src0_sel:BYTE_0 src1_sel:DWORD
	s_andn2_b64 s[4:5], s[4:5], exec
	s_and_b64 s[8:9], s[8:9], exec
	s_or_b64 s[4:5], s[4:5], s[8:9]
	s_or_b64 exec, exec, s[6:7]
	s_and_saveexec_b64 s[6:7], s[4:5]
	s_cbranch_execnz .LBB15_847
	s_branch .LBB15_848
.LBB15_2897:
	s_movk_i32 s4, 0x80
	v_cmp_eq_u16_e32 vcc, s4, v11
	s_mov_b64 s[4:5], -1
                                        ; implicit-def: $sgpr10
	s_and_saveexec_b64 s[8:9], vcc
; %bb.2898:
	s_mov_b32 s10, 0x7f800001
	s_xor_b64 s[4:5], exec, -1
; %bb.2899:
	s_or_b64 exec, exec, s[8:9]
	s_and_b64 s[4:5], s[4:5], exec
                                        ; implicit-def: $vgpr11
	s_or_saveexec_b64 s[6:7], s[6:7]
	v_mov_b32_e32 v10, s10
	s_xor_b64 exec, exec, s[6:7]
	s_cbranch_execz .LBB15_850
.LBB15_2900:
	v_cmp_ne_u16_e32 vcc, 0, v11
	s_andn2_b64 s[4:5], s[4:5], exec
	s_and_b64 s[8:9], vcc, exec
	v_mov_b32_e32 v10, 0
	s_or_b64 s[4:5], s[4:5], s[8:9]
	s_or_b64 exec, exec, s[6:7]
	s_and_saveexec_b64 s[6:7], s[4:5]
	s_cbranch_execnz .LBB15_851
	s_branch .LBB15_852
.LBB15_2901:
	s_movk_i32 s4, 0x80
	v_cmp_eq_u16_e32 vcc, s4, v11
	s_mov_b64 s[4:5], -1
                                        ; implicit-def: $sgpr10
	s_and_saveexec_b64 s[8:9], vcc
; %bb.2902:
	s_mov_b32 s10, 0x7f800001
	s_xor_b64 s[4:5], exec, -1
; %bb.2903:
	s_or_b64 exec, exec, s[8:9]
	s_and_b64 s[4:5], s[4:5], exec
                                        ; implicit-def: $vgpr11
	s_or_saveexec_b64 s[6:7], s[6:7]
	v_mov_b32_e32 v14, s10
	s_xor_b64 exec, exec, s[6:7]
	s_cbranch_execz .LBB15_854
.LBB15_2904:
	v_cmp_ne_u16_e32 vcc, 0, v11
	s_andn2_b64 s[4:5], s[4:5], exec
	s_and_b64 s[8:9], vcc, exec
	v_mov_b32_e32 v14, 0
	s_or_b64 s[4:5], s[4:5], s[8:9]
	s_or_b64 exec, exec, s[6:7]
	s_and_saveexec_b64 s[6:7], s[4:5]
	s_cbranch_execnz .LBB15_855
	s_branch .LBB15_856
.LBB15_2905:
	s_movk_i32 s4, 0x80
	v_cmp_eq_u16_sdwa s[12:13], v16, s4 src0_sel:BYTE_3 src1_sel:DWORD
	s_mov_b64 s[4:5], -1
                                        ; implicit-def: $sgpr10
	s_and_saveexec_b64 s[8:9], s[12:13]
; %bb.2906:
	s_mov_b32 s10, 0x7f800001
	s_xor_b64 s[4:5], exec, -1
; %bb.2907:
	s_or_b64 exec, exec, s[8:9]
	s_and_b64 s[4:5], s[4:5], exec
	s_or_saveexec_b64 s[6:7], s[6:7]
	v_mov_b32_e32 v10, s10
	s_xor_b64 exec, exec, s[6:7]
	s_cbranch_execz .LBB15_858
.LBB15_2908:
	v_mov_b32_e32 v10, 0
	v_cmp_ne_u16_sdwa s[8:9], v16, v10 src0_sel:BYTE_3 src1_sel:DWORD
	s_andn2_b64 s[4:5], s[4:5], exec
	s_and_b64 s[8:9], s[8:9], exec
	s_or_b64 s[4:5], s[4:5], s[8:9]
	s_or_b64 exec, exec, s[6:7]
	s_and_saveexec_b64 s[6:7], s[4:5]
	s_cbranch_execnz .LBB15_859
	s_branch .LBB15_860
.LBB15_2909:
	s_movk_i32 s4, 0x80
	v_cmp_eq_u16_sdwa s[12:13], v12, s4 src0_sel:BYTE_3 src1_sel:DWORD
	s_mov_b64 s[4:5], -1
                                        ; implicit-def: $sgpr10
	s_and_saveexec_b64 s[8:9], s[12:13]
; %bb.2910:
	s_mov_b32 s10, 0x7f800001
	s_xor_b64 s[4:5], exec, -1
; %bb.2911:
	s_or_b64 exec, exec, s[8:9]
	s_and_b64 s[4:5], s[4:5], exec
	s_or_saveexec_b64 s[6:7], s[6:7]
	v_mov_b32_e32 v11, s10
	s_xor_b64 exec, exec, s[6:7]
	s_cbranch_execz .LBB15_862
.LBB15_2912:
	v_mov_b32_e32 v11, 0
	v_cmp_ne_u16_sdwa s[8:9], v12, v11 src0_sel:BYTE_3 src1_sel:DWORD
	s_andn2_b64 s[4:5], s[4:5], exec
	s_and_b64 s[8:9], s[8:9], exec
	s_or_b64 s[4:5], s[4:5], s[8:9]
	s_or_b64 exec, exec, s[6:7]
	s_and_saveexec_b64 s[6:7], s[4:5]
	s_cbranch_execnz .LBB15_863
	s_branch .LBB15_864
.LBB15_2913:
	s_movk_i32 s4, 0x80
	v_cmp_eq_u16_sdwa s[12:13], v17, s4 src0_sel:BYTE_0 src1_sel:DWORD
	s_mov_b64 s[4:5], -1
                                        ; implicit-def: $sgpr10
	s_and_saveexec_b64 s[8:9], s[12:13]
; %bb.2914:
	s_mov_b32 s10, 0x7f800001
	s_xor_b64 s[4:5], exec, -1
; %bb.2915:
	s_or_b64 exec, exec, s[8:9]
	s_and_b64 s[4:5], s[4:5], exec
	s_or_saveexec_b64 s[6:7], s[6:7]
	v_mov_b32_e32 v10, s10
	s_xor_b64 exec, exec, s[6:7]
	s_cbranch_execz .LBB15_866
.LBB15_2916:
	v_mov_b32_e32 v10, 0
	v_cmp_ne_u16_sdwa s[8:9], v17, v10 src0_sel:BYTE_0 src1_sel:DWORD
	s_andn2_b64 s[4:5], s[4:5], exec
	s_and_b64 s[8:9], s[8:9], exec
	s_or_b64 s[4:5], s[4:5], s[8:9]
	s_or_b64 exec, exec, s[6:7]
	s_and_saveexec_b64 s[6:7], s[4:5]
	s_cbranch_execnz .LBB15_867
	s_branch .LBB15_868
.LBB15_2917:
	s_movk_i32 s4, 0x80
	v_cmp_eq_u16_sdwa s[12:13], v13, s4 src0_sel:BYTE_0 src1_sel:DWORD
	s_mov_b64 s[4:5], -1
                                        ; implicit-def: $sgpr10
	s_and_saveexec_b64 s[8:9], s[12:13]
; %bb.2918:
	s_mov_b32 s10, 0x7f800001
	s_xor_b64 s[4:5], exec, -1
; %bb.2919:
	s_or_b64 exec, exec, s[8:9]
	s_and_b64 s[4:5], s[4:5], exec
	s_or_saveexec_b64 s[6:7], s[6:7]
	v_mov_b32_e32 v11, s10
	s_xor_b64 exec, exec, s[6:7]
	s_cbranch_execz .LBB15_870
.LBB15_2920:
	v_mov_b32_e32 v11, 0
	v_cmp_ne_u16_sdwa s[8:9], v13, v11 src0_sel:BYTE_0 src1_sel:DWORD
	s_andn2_b64 s[4:5], s[4:5], exec
	s_and_b64 s[8:9], s[8:9], exec
	s_or_b64 s[4:5], s[4:5], s[8:9]
	s_or_b64 exec, exec, s[6:7]
	s_and_saveexec_b64 s[6:7], s[4:5]
	s_cbranch_execnz .LBB15_871
	s_branch .LBB15_872
.LBB15_2921:
	s_movk_i32 s4, 0x80
	v_cmp_eq_u16_sdwa s[12:13], v11, s4 src0_sel:BYTE_0 src1_sel:DWORD
	s_mov_b64 s[4:5], -1
                                        ; implicit-def: $sgpr10
	s_and_saveexec_b64 s[8:9], s[12:13]
; %bb.2922:
	s_mov_b32 s10, 0x7f800001
	s_xor_b64 s[4:5], exec, -1
; %bb.2923:
	s_or_b64 exec, exec, s[8:9]
	s_and_b64 s[4:5], s[4:5], exec
	s_or_saveexec_b64 s[6:7], s[6:7]
	v_mov_b32_e32 v10, s10
	s_xor_b64 exec, exec, s[6:7]
	s_cbranch_execz .LBB15_874
.LBB15_2924:
	v_mov_b32_e32 v10, 0
	v_cmp_ne_u16_sdwa s[8:9], v11, v10 src0_sel:BYTE_0 src1_sel:DWORD
	s_andn2_b64 s[4:5], s[4:5], exec
	s_and_b64 s[8:9], s[8:9], exec
	s_or_b64 s[4:5], s[4:5], s[8:9]
	s_or_b64 exec, exec, s[6:7]
	s_and_saveexec_b64 s[6:7], s[4:5]
	s_cbranch_execnz .LBB15_875
	s_branch .LBB15_876
.LBB15_2925:
	s_movk_i32 s4, 0x80
	v_cmp_eq_u16_sdwa s[12:13], v11, s4 src0_sel:BYTE_0 src1_sel:DWORD
	s_mov_b64 s[4:5], -1
                                        ; implicit-def: $sgpr10
	s_and_saveexec_b64 s[8:9], s[12:13]
; %bb.2926:
	s_mov_b32 s10, 0x7f800001
	s_xor_b64 s[4:5], exec, -1
; %bb.2927:
	s_or_b64 exec, exec, s[8:9]
	s_and_b64 s[4:5], s[4:5], exec
	s_or_saveexec_b64 s[6:7], s[6:7]
	v_mov_b32_e32 v12, s10
	s_xor_b64 exec, exec, s[6:7]
	s_cbranch_execz .LBB15_878
.LBB15_2928:
	v_mov_b32_e32 v12, 0
	v_cmp_ne_u16_sdwa s[8:9], v11, v12 src0_sel:BYTE_0 src1_sel:DWORD
	s_andn2_b64 s[4:5], s[4:5], exec
	s_and_b64 s[8:9], s[8:9], exec
	s_or_b64 s[4:5], s[4:5], s[8:9]
	s_or_b64 exec, exec, s[6:7]
	s_and_saveexec_b64 s[6:7], s[4:5]
	s_cbranch_execnz .LBB15_879
	s_branch .LBB15_880
.LBB15_2929:
	s_movk_i32 s4, 0x80
	v_cmp_eq_u16_e32 vcc, s4, v11
	s_mov_b64 s[4:5], -1
                                        ; implicit-def: $sgpr10
	s_and_saveexec_b64 s[8:9], vcc
; %bb.2930:
	s_mov_b32 s10, 0x7f800001
	s_xor_b64 s[4:5], exec, -1
; %bb.2931:
	s_or_b64 exec, exec, s[8:9]
	s_and_b64 s[4:5], s[4:5], exec
                                        ; implicit-def: $vgpr11
	s_or_saveexec_b64 s[6:7], s[6:7]
	v_mov_b32_e32 v10, s10
	s_xor_b64 exec, exec, s[6:7]
	s_cbranch_execz .LBB15_882
.LBB15_2932:
	v_cmp_ne_u16_e32 vcc, 0, v11
	s_andn2_b64 s[4:5], s[4:5], exec
	s_and_b64 s[8:9], vcc, exec
	v_mov_b32_e32 v10, 0
	s_or_b64 s[4:5], s[4:5], s[8:9]
	s_or_b64 exec, exec, s[6:7]
	s_and_saveexec_b64 s[6:7], s[4:5]
	s_cbranch_execnz .LBB15_883
	s_branch .LBB15_884
.LBB15_2933:
	s_movk_i32 s4, 0x80
	v_cmp_eq_u16_e32 vcc, s4, v11
	s_mov_b64 s[4:5], -1
                                        ; implicit-def: $sgpr10
	s_and_saveexec_b64 s[8:9], vcc
; %bb.2934:
	s_mov_b32 s10, 0x7f800001
	s_xor_b64 s[4:5], exec, -1
; %bb.2935:
	s_or_b64 exec, exec, s[8:9]
	s_and_b64 s[4:5], s[4:5], exec
                                        ; implicit-def: $vgpr11
	s_or_saveexec_b64 s[6:7], s[6:7]
	v_mov_b32_e32 v12, s10
	s_xor_b64 exec, exec, s[6:7]
	s_cbranch_execz .LBB15_886
.LBB15_2936:
	v_cmp_ne_u16_e32 vcc, 0, v11
	s_andn2_b64 s[4:5], s[4:5], exec
	s_and_b64 s[8:9], vcc, exec
	v_mov_b32_e32 v12, 0
	s_or_b64 s[4:5], s[4:5], s[8:9]
	s_or_b64 exec, exec, s[6:7]
	s_and_saveexec_b64 s[6:7], s[4:5]
	s_cbranch_execnz .LBB15_887
	s_branch .LBB15_888
.LBB15_2937:
	s_movk_i32 s4, 0x80
	v_cmp_eq_u16_sdwa s[12:13], v17, s4 src0_sel:BYTE_3 src1_sel:DWORD
	s_mov_b64 s[4:5], -1
                                        ; implicit-def: $sgpr10
	s_and_saveexec_b64 s[8:9], s[12:13]
; %bb.2938:
	s_mov_b32 s10, 0x7f800001
	s_xor_b64 s[4:5], exec, -1
; %bb.2939:
	s_or_b64 exec, exec, s[8:9]
	s_and_b64 s[4:5], s[4:5], exec
	s_or_saveexec_b64 s[6:7], s[6:7]
	v_mov_b32_e32 v10, s10
	s_xor_b64 exec, exec, s[6:7]
	s_cbranch_execz .LBB15_890
.LBB15_2940:
	v_mov_b32_e32 v10, 0
	v_cmp_ne_u16_sdwa s[8:9], v17, v10 src0_sel:BYTE_3 src1_sel:DWORD
	s_andn2_b64 s[4:5], s[4:5], exec
	s_and_b64 s[8:9], s[8:9], exec
	s_or_b64 s[4:5], s[4:5], s[8:9]
	s_or_b64 exec, exec, s[6:7]
	s_and_saveexec_b64 s[6:7], s[4:5]
	s_cbranch_execnz .LBB15_891
	s_branch .LBB15_892
.LBB15_2941:
	s_movk_i32 s4, 0x80
	v_cmp_eq_u16_sdwa s[12:13], v13, s4 src0_sel:BYTE_3 src1_sel:DWORD
	s_mov_b64 s[4:5], -1
                                        ; implicit-def: $sgpr10
	s_and_saveexec_b64 s[8:9], s[12:13]
; %bb.2942:
	s_mov_b32 s10, 0x7f800001
	s_xor_b64 s[4:5], exec, -1
; %bb.2943:
	s_or_b64 exec, exec, s[8:9]
	s_and_b64 s[4:5], s[4:5], exec
	s_or_saveexec_b64 s[6:7], s[6:7]
	v_mov_b32_e32 v11, s10
	s_xor_b64 exec, exec, s[6:7]
	s_cbranch_execz .LBB15_894
.LBB15_2944:
	v_mov_b32_e32 v11, 0
	v_cmp_ne_u16_sdwa s[8:9], v13, v11 src0_sel:BYTE_3 src1_sel:DWORD
	s_andn2_b64 s[4:5], s[4:5], exec
	s_and_b64 s[8:9], s[8:9], exec
	s_or_b64 s[4:5], s[4:5], s[8:9]
	s_or_b64 exec, exec, s[6:7]
	s_and_saveexec_b64 s[6:7], s[4:5]
	s_cbranch_execnz .LBB15_895
	s_branch .LBB15_896
.LBB15_2945:
	s_movk_i32 s4, 0x80
	v_cmp_eq_u16_sdwa s[12:13], v6, s4 src0_sel:BYTE_0 src1_sel:DWORD
	s_mov_b64 s[4:5], -1
                                        ; implicit-def: $sgpr10
	s_and_saveexec_b64 s[8:9], s[12:13]
; %bb.2946:
	s_mov_b32 s10, 0x7f800001
	s_xor_b64 s[4:5], exec, -1
; %bb.2947:
	s_or_b64 exec, exec, s[8:9]
	s_and_b64 s[4:5], s[4:5], exec
	s_or_saveexec_b64 s[6:7], s[6:7]
	v_mov_b32_e32 v10, s10
	s_xor_b64 exec, exec, s[6:7]
	s_cbranch_execz .LBB15_898
.LBB15_2948:
	v_mov_b32_e32 v10, 0
	v_cmp_ne_u16_sdwa s[8:9], v6, v10 src0_sel:BYTE_0 src1_sel:DWORD
	s_andn2_b64 s[4:5], s[4:5], exec
	s_and_b64 s[8:9], s[8:9], exec
	s_or_b64 s[4:5], s[4:5], s[8:9]
	s_or_b64 exec, exec, s[6:7]
	s_and_saveexec_b64 s[6:7], s[4:5]
	s_cbranch_execnz .LBB15_899
	s_branch .LBB15_900
.LBB15_2949:
	s_movk_i32 s4, 0x80
	v_cmp_eq_u16_sdwa s[12:13], v2, s4 src0_sel:BYTE_0 src1_sel:DWORD
	s_mov_b64 s[4:5], -1
                                        ; implicit-def: $sgpr10
	s_and_saveexec_b64 s[8:9], s[12:13]
; %bb.2950:
	s_mov_b32 s10, 0x7f800001
	s_xor_b64 s[4:5], exec, -1
; %bb.2951:
	s_or_b64 exec, exec, s[8:9]
	s_and_b64 s[4:5], s[4:5], exec
	s_or_saveexec_b64 s[6:7], s[6:7]
	v_mov_b32_e32 v11, s10
	s_xor_b64 exec, exec, s[6:7]
	s_cbranch_execz .LBB15_902
.LBB15_2952:
	v_mov_b32_e32 v11, 0
	v_cmp_ne_u16_sdwa s[8:9], v2, v11 src0_sel:BYTE_0 src1_sel:DWORD
	s_andn2_b64 s[4:5], s[4:5], exec
	s_and_b64 s[8:9], s[8:9], exec
	s_or_b64 s[4:5], s[4:5], s[8:9]
	s_or_b64 exec, exec, s[6:7]
	s_and_saveexec_b64 s[6:7], s[4:5]
	s_cbranch_execnz .LBB15_903
	s_branch .LBB15_904
.LBB15_2953:
	s_movk_i32 s4, 0x80
	v_cmp_eq_u16_sdwa s[12:13], v11, s4 src0_sel:BYTE_0 src1_sel:DWORD
	s_mov_b64 s[4:5], -1
                                        ; implicit-def: $sgpr10
	s_and_saveexec_b64 s[8:9], s[12:13]
; %bb.2954:
	s_mov_b32 s10, 0x7f800001
	s_xor_b64 s[4:5], exec, -1
; %bb.2955:
	s_or_b64 exec, exec, s[8:9]
	s_and_b64 s[4:5], s[4:5], exec
	s_or_saveexec_b64 s[6:7], s[6:7]
	v_mov_b32_e32 v10, s10
	s_xor_b64 exec, exec, s[6:7]
	s_cbranch_execz .LBB15_906
.LBB15_2956:
	v_mov_b32_e32 v10, 0
	v_cmp_ne_u16_sdwa s[8:9], v11, v10 src0_sel:BYTE_0 src1_sel:DWORD
	s_andn2_b64 s[4:5], s[4:5], exec
	s_and_b64 s[8:9], s[8:9], exec
	s_or_b64 s[4:5], s[4:5], s[8:9]
	s_or_b64 exec, exec, s[6:7]
	s_and_saveexec_b64 s[6:7], s[4:5]
	s_cbranch_execnz .LBB15_907
	s_branch .LBB15_908
.LBB15_2957:
	s_movk_i32 s4, 0x80
	v_cmp_eq_u16_sdwa s[12:13], v11, s4 src0_sel:BYTE_0 src1_sel:DWORD
	s_mov_b64 s[4:5], -1
                                        ; implicit-def: $sgpr10
	s_and_saveexec_b64 s[8:9], s[12:13]
; %bb.2958:
	s_mov_b32 s10, 0x7f800001
	s_xor_b64 s[4:5], exec, -1
; %bb.2959:
	s_or_b64 exec, exec, s[8:9]
	s_and_b64 s[4:5], s[4:5], exec
	s_or_saveexec_b64 s[6:7], s[6:7]
	v_mov_b32_e32 v12, s10
	s_xor_b64 exec, exec, s[6:7]
	s_cbranch_execz .LBB15_910
.LBB15_2960:
	v_mov_b32_e32 v12, 0
	v_cmp_ne_u16_sdwa s[8:9], v11, v12 src0_sel:BYTE_0 src1_sel:DWORD
	s_andn2_b64 s[4:5], s[4:5], exec
	s_and_b64 s[8:9], s[8:9], exec
	s_or_b64 s[4:5], s[4:5], s[8:9]
	s_or_b64 exec, exec, s[6:7]
	s_and_saveexec_b64 s[6:7], s[4:5]
	s_cbranch_execnz .LBB15_911
	s_branch .LBB15_912
.LBB15_2961:
	s_movk_i32 s4, 0x80
	v_cmp_eq_u16_e32 vcc, s4, v11
	s_mov_b64 s[4:5], -1
                                        ; implicit-def: $sgpr10
	s_and_saveexec_b64 s[8:9], vcc
; %bb.2962:
	s_mov_b32 s10, 0x7f800001
	s_xor_b64 s[4:5], exec, -1
; %bb.2963:
	s_or_b64 exec, exec, s[8:9]
	s_and_b64 s[4:5], s[4:5], exec
                                        ; implicit-def: $vgpr11
	s_or_saveexec_b64 s[6:7], s[6:7]
	v_mov_b32_e32 v10, s10
	s_xor_b64 exec, exec, s[6:7]
	s_cbranch_execz .LBB15_914
.LBB15_2964:
	v_cmp_ne_u16_e32 vcc, 0, v11
	s_andn2_b64 s[4:5], s[4:5], exec
	s_and_b64 s[8:9], vcc, exec
	v_mov_b32_e32 v10, 0
	s_or_b64 s[4:5], s[4:5], s[8:9]
	s_or_b64 exec, exec, s[6:7]
	s_and_saveexec_b64 s[6:7], s[4:5]
	s_cbranch_execnz .LBB15_915
	s_branch .LBB15_916
.LBB15_2965:
	s_movk_i32 s4, 0x80
	v_cmp_eq_u16_e32 vcc, s4, v11
	s_mov_b64 s[4:5], -1
                                        ; implicit-def: $sgpr10
	s_and_saveexec_b64 s[8:9], vcc
; %bb.2966:
	s_mov_b32 s10, 0x7f800001
	s_xor_b64 s[4:5], exec, -1
; %bb.2967:
	s_or_b64 exec, exec, s[8:9]
	s_and_b64 s[4:5], s[4:5], exec
                                        ; implicit-def: $vgpr11
	s_or_saveexec_b64 s[6:7], s[6:7]
	v_mov_b32_e32 v12, s10
	s_xor_b64 exec, exec, s[6:7]
	s_cbranch_execz .LBB15_918
.LBB15_2968:
	v_cmp_ne_u16_e32 vcc, 0, v11
	s_andn2_b64 s[4:5], s[4:5], exec
	s_and_b64 s[8:9], vcc, exec
	v_mov_b32_e32 v12, 0
	s_or_b64 s[4:5], s[4:5], s[8:9]
	s_or_b64 exec, exec, s[6:7]
	s_and_saveexec_b64 s[6:7], s[4:5]
	s_cbranch_execnz .LBB15_919
	s_branch .LBB15_920
.LBB15_2969:
	s_movk_i32 s4, 0x80
	v_cmp_eq_u16_sdwa s[12:13], v6, s4 src0_sel:BYTE_3 src1_sel:DWORD
	s_mov_b64 s[4:5], -1
                                        ; implicit-def: $sgpr10
	s_and_saveexec_b64 s[8:9], s[12:13]
; %bb.2970:
	s_mov_b32 s10, 0x7f800001
	s_xor_b64 s[4:5], exec, -1
; %bb.2971:
	s_or_b64 exec, exec, s[8:9]
	s_and_b64 s[4:5], s[4:5], exec
	s_or_saveexec_b64 s[6:7], s[6:7]
	v_mov_b32_e32 v10, s10
	s_xor_b64 exec, exec, s[6:7]
	s_cbranch_execz .LBB15_922
.LBB15_2972:
	v_mov_b32_e32 v10, 0
	v_cmp_ne_u16_sdwa s[8:9], v6, v10 src0_sel:BYTE_3 src1_sel:DWORD
	s_andn2_b64 s[4:5], s[4:5], exec
	s_and_b64 s[8:9], s[8:9], exec
	s_or_b64 s[4:5], s[4:5], s[8:9]
	s_or_b64 exec, exec, s[6:7]
	s_and_saveexec_b64 s[6:7], s[4:5]
	s_cbranch_execnz .LBB15_923
	s_branch .LBB15_924
.LBB15_2973:
	s_movk_i32 s4, 0x80
	v_cmp_eq_u16_sdwa s[12:13], v2, s4 src0_sel:BYTE_3 src1_sel:DWORD
	s_mov_b64 s[4:5], -1
                                        ; implicit-def: $sgpr10
	s_and_saveexec_b64 s[8:9], s[12:13]
; %bb.2974:
	s_mov_b32 s10, 0x7f800001
	s_xor_b64 s[4:5], exec, -1
; %bb.2975:
	s_or_b64 exec, exec, s[8:9]
	s_and_b64 s[4:5], s[4:5], exec
	s_or_saveexec_b64 s[6:7], s[6:7]
	v_mov_b32_e32 v6, s10
	s_xor_b64 exec, exec, s[6:7]
	s_cbranch_execz .LBB15_926
.LBB15_2976:
	v_mov_b32_e32 v6, 0
	v_cmp_ne_u16_sdwa s[8:9], v2, v6 src0_sel:BYTE_3 src1_sel:DWORD
	s_andn2_b64 s[4:5], s[4:5], exec
	s_and_b64 s[8:9], s[8:9], exec
	s_or_b64 s[4:5], s[4:5], s[8:9]
	s_or_b64 exec, exec, s[6:7]
	s_and_saveexec_b64 s[6:7], s[4:5]
	s_cbranch_execnz .LBB15_927
	s_branch .LBB15_928
.LBB15_2977:
	s_movk_i32 s4, 0x80
	v_cmp_eq_u16_sdwa s[12:13], v7, s4 src0_sel:BYTE_0 src1_sel:DWORD
	s_mov_b64 s[4:5], -1
                                        ; implicit-def: $sgpr10
	s_and_saveexec_b64 s[8:9], s[12:13]
; %bb.2978:
	s_mov_b32 s10, 0x7f800001
	s_xor_b64 s[4:5], exec, -1
; %bb.2979:
	s_or_b64 exec, exec, s[8:9]
	s_and_b64 s[4:5], s[4:5], exec
	s_or_saveexec_b64 s[6:7], s[6:7]
	v_mov_b32_e32 v2, s10
	s_xor_b64 exec, exec, s[6:7]
	s_cbranch_execz .LBB15_930
.LBB15_2980:
	v_mov_b32_e32 v2, 0
	v_cmp_ne_u16_sdwa s[8:9], v7, v2 src0_sel:BYTE_0 src1_sel:DWORD
	s_andn2_b64 s[4:5], s[4:5], exec
	s_and_b64 s[8:9], s[8:9], exec
	s_or_b64 s[4:5], s[4:5], s[8:9]
	s_or_b64 exec, exec, s[6:7]
	s_and_saveexec_b64 s[6:7], s[4:5]
	s_cbranch_execnz .LBB15_931
	s_branch .LBB15_932
.LBB15_2981:
	s_movk_i32 s4, 0x80
	v_cmp_eq_u16_sdwa s[12:13], v3, s4 src0_sel:BYTE_0 src1_sel:DWORD
	s_mov_b64 s[4:5], -1
                                        ; implicit-def: $sgpr10
	s_and_saveexec_b64 s[8:9], s[12:13]
; %bb.2982:
	s_mov_b32 s10, 0x7f800001
	s_xor_b64 s[4:5], exec, -1
; %bb.2983:
	s_or_b64 exec, exec, s[8:9]
	s_and_b64 s[4:5], s[4:5], exec
	s_or_saveexec_b64 s[6:7], s[6:7]
	v_mov_b32_e32 v6, s10
	s_xor_b64 exec, exec, s[6:7]
	s_cbranch_execz .LBB15_934
.LBB15_2984:
	v_mov_b32_e32 v6, 0
	v_cmp_ne_u16_sdwa s[8:9], v3, v6 src0_sel:BYTE_0 src1_sel:DWORD
	s_andn2_b64 s[4:5], s[4:5], exec
	s_and_b64 s[8:9], s[8:9], exec
	s_or_b64 s[4:5], s[4:5], s[8:9]
	s_or_b64 exec, exec, s[6:7]
	s_and_saveexec_b64 s[6:7], s[4:5]
	s_cbranch_execnz .LBB15_935
	s_branch .LBB15_936
.LBB15_2985:
	s_movk_i32 s4, 0x80
	v_cmp_eq_u16_sdwa s[12:13], v6, s4 src0_sel:BYTE_0 src1_sel:DWORD
	s_mov_b64 s[4:5], -1
                                        ; implicit-def: $sgpr10
	s_and_saveexec_b64 s[8:9], s[12:13]
; %bb.2986:
	s_mov_b32 s10, 0x7f800001
	s_xor_b64 s[4:5], exec, -1
; %bb.2987:
	s_or_b64 exec, exec, s[8:9]
	s_and_b64 s[4:5], s[4:5], exec
	s_or_saveexec_b64 s[6:7], s[6:7]
	v_mov_b32_e32 v2, s10
	s_xor_b64 exec, exec, s[6:7]
	s_cbranch_execz .LBB15_938
.LBB15_2988:
	v_mov_b32_e32 v2, 0
	v_cmp_ne_u16_sdwa s[8:9], v6, v2 src0_sel:BYTE_0 src1_sel:DWORD
	s_andn2_b64 s[4:5], s[4:5], exec
	s_and_b64 s[8:9], s[8:9], exec
	s_or_b64 s[4:5], s[4:5], s[8:9]
	s_or_b64 exec, exec, s[6:7]
	s_and_saveexec_b64 s[6:7], s[4:5]
	s_cbranch_execnz .LBB15_939
	s_branch .LBB15_940
.LBB15_2989:
	s_movk_i32 s4, 0x80
	v_cmp_eq_u16_sdwa s[12:13], v6, s4 src0_sel:BYTE_0 src1_sel:DWORD
	s_mov_b64 s[4:5], -1
                                        ; implicit-def: $sgpr10
	s_and_saveexec_b64 s[8:9], s[12:13]
; %bb.2990:
	s_mov_b32 s10, 0x7f800001
	s_xor_b64 s[4:5], exec, -1
; %bb.2991:
	s_or_b64 exec, exec, s[8:9]
	s_and_b64 s[4:5], s[4:5], exec
	s_or_saveexec_b64 s[6:7], s[6:7]
	v_mov_b32_e32 v10, s10
	s_xor_b64 exec, exec, s[6:7]
	s_cbranch_execz .LBB15_942
.LBB15_2992:
	v_mov_b32_e32 v10, 0
	v_cmp_ne_u16_sdwa s[8:9], v6, v10 src0_sel:BYTE_0 src1_sel:DWORD
	s_andn2_b64 s[4:5], s[4:5], exec
	s_and_b64 s[8:9], s[8:9], exec
	s_or_b64 s[4:5], s[4:5], s[8:9]
	s_or_b64 exec, exec, s[6:7]
	s_and_saveexec_b64 s[6:7], s[4:5]
	s_cbranch_execnz .LBB15_943
	s_branch .LBB15_944
.LBB15_2993:
	s_movk_i32 s4, 0x80
	v_cmp_eq_u16_e32 vcc, s4, v6
	s_mov_b64 s[4:5], -1
                                        ; implicit-def: $sgpr10
	s_and_saveexec_b64 s[8:9], vcc
; %bb.2994:
	s_mov_b32 s10, 0x7f800001
	s_xor_b64 s[4:5], exec, -1
; %bb.2995:
	s_or_b64 exec, exec, s[8:9]
	s_and_b64 s[4:5], s[4:5], exec
                                        ; implicit-def: $vgpr6
	s_or_saveexec_b64 s[6:7], s[6:7]
	v_mov_b32_e32 v2, s10
	s_xor_b64 exec, exec, s[6:7]
	s_cbranch_execz .LBB15_946
.LBB15_2996:
	v_cmp_ne_u16_e32 vcc, 0, v6
	s_andn2_b64 s[4:5], s[4:5], exec
	s_and_b64 s[8:9], vcc, exec
	v_mov_b32_e32 v2, 0
	s_or_b64 s[4:5], s[4:5], s[8:9]
	s_or_b64 exec, exec, s[6:7]
	s_and_saveexec_b64 s[6:7], s[4:5]
	s_cbranch_execnz .LBB15_947
	s_branch .LBB15_948
.LBB15_2997:
	s_movk_i32 s4, 0x80
	v_cmp_eq_u16_e32 vcc, s4, v6
	s_mov_b64 s[4:5], -1
                                        ; implicit-def: $sgpr10
	s_and_saveexec_b64 s[8:9], vcc
; %bb.2998:
	s_mov_b32 s10, 0x7f800001
	s_xor_b64 s[4:5], exec, -1
; %bb.2999:
	s_or_b64 exec, exec, s[8:9]
	s_and_b64 s[4:5], s[4:5], exec
                                        ; implicit-def: $vgpr6
	s_or_saveexec_b64 s[6:7], s[6:7]
	v_mov_b32_e32 v10, s10
	s_xor_b64 exec, exec, s[6:7]
	s_cbranch_execz .LBB15_950
.LBB15_3000:
	v_cmp_ne_u16_e32 vcc, 0, v6
	s_andn2_b64 s[4:5], s[4:5], exec
	s_and_b64 s[8:9], vcc, exec
	v_mov_b32_e32 v10, 0
	s_or_b64 s[4:5], s[4:5], s[8:9]
	s_or_b64 exec, exec, s[6:7]
	s_and_saveexec_b64 s[6:7], s[4:5]
	s_cbranch_execnz .LBB15_951
	s_branch .LBB15_952
.LBB15_3001:
	s_movk_i32 s4, 0x80
	v_cmp_eq_u16_sdwa s[12:13], v7, s4 src0_sel:BYTE_3 src1_sel:DWORD
	s_mov_b64 s[4:5], -1
                                        ; implicit-def: $sgpr10
	s_and_saveexec_b64 s[8:9], s[12:13]
; %bb.3002:
	s_mov_b32 s10, 0x7f800001
	s_xor_b64 s[4:5], exec, -1
; %bb.3003:
	s_or_b64 exec, exec, s[8:9]
	s_and_b64 s[4:5], s[4:5], exec
	s_or_saveexec_b64 s[6:7], s[6:7]
	v_mov_b32_e32 v2, s10
	s_xor_b64 exec, exec, s[6:7]
	s_cbranch_execz .LBB15_954
.LBB15_3004:
	v_mov_b32_e32 v2, 0
	v_cmp_ne_u16_sdwa s[8:9], v7, v2 src0_sel:BYTE_3 src1_sel:DWORD
	s_andn2_b64 s[4:5], s[4:5], exec
	s_and_b64 s[8:9], s[8:9], exec
	s_or_b64 s[4:5], s[4:5], s[8:9]
	s_or_b64 exec, exec, s[6:7]
	s_and_saveexec_b64 s[6:7], s[4:5]
	s_cbranch_execnz .LBB15_955
	s_branch .LBB15_956
.LBB15_3005:
	s_movk_i32 s4, 0x80
	v_cmp_eq_u16_sdwa s[12:13], v3, s4 src0_sel:BYTE_3 src1_sel:DWORD
	s_mov_b64 s[4:5], -1
                                        ; implicit-def: $sgpr10
	s_and_saveexec_b64 s[8:9], s[12:13]
; %bb.3006:
	s_mov_b32 s10, 0x7f800001
	s_xor_b64 s[4:5], exec, -1
; %bb.3007:
	s_or_b64 exec, exec, s[8:9]
	s_and_b64 s[4:5], s[4:5], exec
	s_or_saveexec_b64 s[6:7], s[6:7]
	v_mov_b32_e32 v6, s10
	s_xor_b64 exec, exec, s[6:7]
	s_cbranch_execz .LBB15_958
.LBB15_3008:
	v_mov_b32_e32 v6, 0
	v_cmp_ne_u16_sdwa s[8:9], v3, v6 src0_sel:BYTE_3 src1_sel:DWORD
	s_andn2_b64 s[4:5], s[4:5], exec
	s_and_b64 s[8:9], s[8:9], exec
	s_or_b64 s[4:5], s[4:5], s[8:9]
	s_or_b64 exec, exec, s[6:7]
	s_and_saveexec_b64 s[6:7], s[4:5]
	s_cbranch_execnz .LBB15_959
	s_branch .LBB15_960
.LBB15_3009:
	s_movk_i32 s4, 0x80
	v_cmp_eq_u16_sdwa s[12:13], v8, s4 src0_sel:BYTE_0 src1_sel:DWORD
	s_mov_b64 s[4:5], -1
                                        ; implicit-def: $sgpr10
	s_and_saveexec_b64 s[8:9], s[12:13]
; %bb.3010:
	s_mov_b32 s10, 0x7f800001
	s_xor_b64 s[4:5], exec, -1
; %bb.3011:
	s_or_b64 exec, exec, s[8:9]
	s_and_b64 s[4:5], s[4:5], exec
	s_or_saveexec_b64 s[6:7], s[6:7]
	v_mov_b32_e32 v2, s10
	s_xor_b64 exec, exec, s[6:7]
	s_cbranch_execz .LBB15_962
.LBB15_3012:
	v_mov_b32_e32 v2, 0
	v_cmp_ne_u16_sdwa s[8:9], v8, v2 src0_sel:BYTE_0 src1_sel:DWORD
	s_andn2_b64 s[4:5], s[4:5], exec
	s_and_b64 s[8:9], s[8:9], exec
	s_or_b64 s[4:5], s[4:5], s[8:9]
	s_or_b64 exec, exec, s[6:7]
	s_and_saveexec_b64 s[6:7], s[4:5]
	s_cbranch_execnz .LBB15_963
	s_branch .LBB15_964
.LBB15_3013:
	s_movk_i32 s4, 0x80
	v_cmp_eq_u16_sdwa s[12:13], v4, s4 src0_sel:BYTE_0 src1_sel:DWORD
	s_mov_b64 s[4:5], -1
                                        ; implicit-def: $sgpr10
	s_and_saveexec_b64 s[8:9], s[12:13]
; %bb.3014:
	s_mov_b32 s10, 0x7f800001
	s_xor_b64 s[4:5], exec, -1
; %bb.3015:
	s_or_b64 exec, exec, s[8:9]
	s_and_b64 s[4:5], s[4:5], exec
	s_or_saveexec_b64 s[6:7], s[6:7]
	v_mov_b32_e32 v3, s10
	s_xor_b64 exec, exec, s[6:7]
	s_cbranch_execz .LBB15_966
.LBB15_3016:
	v_mov_b32_e32 v3, 0
	v_cmp_ne_u16_sdwa s[8:9], v4, v3 src0_sel:BYTE_0 src1_sel:DWORD
	s_andn2_b64 s[4:5], s[4:5], exec
	s_and_b64 s[8:9], s[8:9], exec
	s_or_b64 s[4:5], s[4:5], s[8:9]
	s_or_b64 exec, exec, s[6:7]
	s_and_saveexec_b64 s[6:7], s[4:5]
	s_cbranch_execnz .LBB15_967
	s_branch .LBB15_968
.LBB15_3017:
	s_movk_i32 s4, 0x80
	v_cmp_eq_u16_sdwa s[12:13], v3, s4 src0_sel:BYTE_0 src1_sel:DWORD
	s_mov_b64 s[4:5], -1
                                        ; implicit-def: $sgpr10
	s_and_saveexec_b64 s[8:9], s[12:13]
; %bb.3018:
	s_mov_b32 s10, 0x7f800001
	s_xor_b64 s[4:5], exec, -1
; %bb.3019:
	s_or_b64 exec, exec, s[8:9]
	s_and_b64 s[4:5], s[4:5], exec
	s_or_saveexec_b64 s[6:7], s[6:7]
	v_mov_b32_e32 v2, s10
	s_xor_b64 exec, exec, s[6:7]
	s_cbranch_execz .LBB15_970
.LBB15_3020:
	v_mov_b32_e32 v2, 0
	v_cmp_ne_u16_sdwa s[8:9], v3, v2 src0_sel:BYTE_0 src1_sel:DWORD
	s_andn2_b64 s[4:5], s[4:5], exec
	s_and_b64 s[8:9], s[8:9], exec
	s_or_b64 s[4:5], s[4:5], s[8:9]
	s_or_b64 exec, exec, s[6:7]
	s_and_saveexec_b64 s[6:7], s[4:5]
	s_cbranch_execnz .LBB15_971
	s_branch .LBB15_972
.LBB15_3021:
	s_movk_i32 s4, 0x80
	v_cmp_eq_u16_sdwa s[12:13], v3, s4 src0_sel:BYTE_0 src1_sel:DWORD
	s_mov_b64 s[4:5], -1
                                        ; implicit-def: $sgpr10
	s_and_saveexec_b64 s[8:9], s[12:13]
; %bb.3022:
	s_mov_b32 s10, 0x7f800001
	s_xor_b64 s[4:5], exec, -1
; %bb.3023:
	s_or_b64 exec, exec, s[8:9]
	s_and_b64 s[4:5], s[4:5], exec
	s_or_saveexec_b64 s[6:7], s[6:7]
	v_mov_b32_e32 v6, s10
	s_xor_b64 exec, exec, s[6:7]
	s_cbranch_execz .LBB15_974
.LBB15_3024:
	v_mov_b32_e32 v6, 0
	v_cmp_ne_u16_sdwa s[8:9], v3, v6 src0_sel:BYTE_0 src1_sel:DWORD
	s_andn2_b64 s[4:5], s[4:5], exec
	s_and_b64 s[8:9], s[8:9], exec
	s_or_b64 s[4:5], s[4:5], s[8:9]
	s_or_b64 exec, exec, s[6:7]
	s_and_saveexec_b64 s[6:7], s[4:5]
	s_cbranch_execnz .LBB15_975
	s_branch .LBB15_976
.LBB15_3025:
	s_movk_i32 s4, 0x80
	v_cmp_eq_u16_e32 vcc, s4, v3
	s_mov_b64 s[4:5], -1
                                        ; implicit-def: $sgpr10
	s_and_saveexec_b64 s[8:9], vcc
; %bb.3026:
	s_mov_b32 s10, 0x7f800001
	s_xor_b64 s[4:5], exec, -1
; %bb.3027:
	s_or_b64 exec, exec, s[8:9]
	s_and_b64 s[4:5], s[4:5], exec
                                        ; implicit-def: $vgpr3
	s_or_saveexec_b64 s[6:7], s[6:7]
	v_mov_b32_e32 v2, s10
	s_xor_b64 exec, exec, s[6:7]
	s_cbranch_execz .LBB15_978
.LBB15_3028:
	v_cmp_ne_u16_e32 vcc, 0, v3
	s_andn2_b64 s[4:5], s[4:5], exec
	s_and_b64 s[8:9], vcc, exec
	v_mov_b32_e32 v2, 0
	s_or_b64 s[4:5], s[4:5], s[8:9]
	s_or_b64 exec, exec, s[6:7]
	s_and_saveexec_b64 s[6:7], s[4:5]
	s_cbranch_execnz .LBB15_979
	s_branch .LBB15_980
.LBB15_3029:
	s_movk_i32 s4, 0x80
	v_cmp_eq_u16_e32 vcc, s4, v3
	s_mov_b64 s[4:5], -1
                                        ; implicit-def: $sgpr10
	s_and_saveexec_b64 s[8:9], vcc
; %bb.3030:
	s_mov_b32 s10, 0x7f800001
	s_xor_b64 s[4:5], exec, -1
; %bb.3031:
	s_or_b64 exec, exec, s[8:9]
	s_and_b64 s[4:5], s[4:5], exec
                                        ; implicit-def: $vgpr3
	s_or_saveexec_b64 s[6:7], s[6:7]
	v_mov_b32_e32 v6, s10
	s_xor_b64 exec, exec, s[6:7]
	s_cbranch_execz .LBB15_982
.LBB15_3032:
	v_cmp_ne_u16_e32 vcc, 0, v3
	s_andn2_b64 s[4:5], s[4:5], exec
	s_and_b64 s[8:9], vcc, exec
	v_mov_b32_e32 v6, 0
	s_or_b64 s[4:5], s[4:5], s[8:9]
	s_or_b64 exec, exec, s[6:7]
	s_and_saveexec_b64 s[6:7], s[4:5]
	s_cbranch_execnz .LBB15_983
	s_branch .LBB15_984
.LBB15_3033:
	s_movk_i32 s4, 0x80
	v_cmp_eq_u16_sdwa s[12:13], v8, s4 src0_sel:BYTE_3 src1_sel:DWORD
	s_mov_b64 s[4:5], -1
                                        ; implicit-def: $sgpr10
	s_and_saveexec_b64 s[8:9], s[12:13]
; %bb.3034:
	s_mov_b32 s10, 0x7f800001
	s_xor_b64 s[4:5], exec, -1
; %bb.3035:
	s_or_b64 exec, exec, s[8:9]
	s_and_b64 s[4:5], s[4:5], exec
	s_or_saveexec_b64 s[6:7], s[6:7]
	v_mov_b32_e32 v2, s10
	s_xor_b64 exec, exec, s[6:7]
	s_cbranch_execz .LBB15_986
.LBB15_3036:
	v_mov_b32_e32 v2, 0
	v_cmp_ne_u16_sdwa s[8:9], v8, v2 src0_sel:BYTE_3 src1_sel:DWORD
	s_andn2_b64 s[4:5], s[4:5], exec
	s_and_b64 s[8:9], s[8:9], exec
	s_or_b64 s[4:5], s[4:5], s[8:9]
	s_or_b64 exec, exec, s[6:7]
	s_and_saveexec_b64 s[6:7], s[4:5]
	s_cbranch_execnz .LBB15_987
	s_branch .LBB15_988
.LBB15_3037:
	s_movk_i32 s4, 0x80
	v_cmp_eq_u16_sdwa s[12:13], v4, s4 src0_sel:BYTE_3 src1_sel:DWORD
	s_mov_b64 s[4:5], -1
                                        ; implicit-def: $sgpr10
	s_and_saveexec_b64 s[8:9], s[12:13]
; %bb.3038:
	s_mov_b32 s10, 0x7f800001
	s_xor_b64 s[4:5], exec, -1
; %bb.3039:
	s_or_b64 exec, exec, s[8:9]
	s_and_b64 s[4:5], s[4:5], exec
	s_or_saveexec_b64 s[6:7], s[6:7]
	v_mov_b32_e32 v3, s10
	s_xor_b64 exec, exec, s[6:7]
	s_cbranch_execz .LBB15_990
.LBB15_3040:
	v_mov_b32_e32 v3, 0
	v_cmp_ne_u16_sdwa s[8:9], v4, v3 src0_sel:BYTE_3 src1_sel:DWORD
	s_andn2_b64 s[4:5], s[4:5], exec
	s_and_b64 s[8:9], s[8:9], exec
	s_or_b64 s[4:5], s[4:5], s[8:9]
	s_or_b64 exec, exec, s[6:7]
	s_and_saveexec_b64 s[6:7], s[4:5]
	s_cbranch_execnz .LBB15_991
	s_branch .LBB15_992
.LBB15_3041:
	s_movk_i32 s4, 0x80
	v_cmp_eq_u16_sdwa s[12:13], v9, s4 src0_sel:BYTE_0 src1_sel:DWORD
	s_mov_b64 s[4:5], -1
                                        ; implicit-def: $sgpr10
	s_and_saveexec_b64 s[8:9], s[12:13]
; %bb.3042:
	s_mov_b32 s10, 0x7f800001
	s_xor_b64 s[4:5], exec, -1
; %bb.3043:
	s_or_b64 exec, exec, s[8:9]
	s_and_b64 s[4:5], s[4:5], exec
	s_or_saveexec_b64 s[6:7], s[6:7]
	v_mov_b32_e32 v2, s10
	s_xor_b64 exec, exec, s[6:7]
	s_cbranch_execz .LBB15_994
.LBB15_3044:
	v_mov_b32_e32 v2, 0
	v_cmp_ne_u16_sdwa s[8:9], v9, v2 src0_sel:BYTE_0 src1_sel:DWORD
	s_andn2_b64 s[4:5], s[4:5], exec
	s_and_b64 s[8:9], s[8:9], exec
	s_or_b64 s[4:5], s[4:5], s[8:9]
	s_or_b64 exec, exec, s[6:7]
	s_and_saveexec_b64 s[6:7], s[4:5]
	s_cbranch_execnz .LBB15_995
	s_branch .LBB15_996
.LBB15_3045:
	s_movk_i32 s4, 0x80
	v_cmp_eq_u16_sdwa s[12:13], v5, s4 src0_sel:BYTE_0 src1_sel:DWORD
	s_mov_b64 s[4:5], -1
                                        ; implicit-def: $sgpr10
	s_and_saveexec_b64 s[8:9], s[12:13]
; %bb.3046:
	s_mov_b32 s10, 0x7f800001
	s_xor_b64 s[4:5], exec, -1
; %bb.3047:
	s_or_b64 exec, exec, s[8:9]
	s_and_b64 s[4:5], s[4:5], exec
	s_or_saveexec_b64 s[6:7], s[6:7]
	v_mov_b32_e32 v3, s10
	s_xor_b64 exec, exec, s[6:7]
	s_cbranch_execz .LBB15_998
.LBB15_3048:
	v_mov_b32_e32 v3, 0
	v_cmp_ne_u16_sdwa s[8:9], v5, v3 src0_sel:BYTE_0 src1_sel:DWORD
	s_andn2_b64 s[4:5], s[4:5], exec
	s_and_b64 s[8:9], s[8:9], exec
	s_or_b64 s[4:5], s[4:5], s[8:9]
	s_or_b64 exec, exec, s[6:7]
	s_and_saveexec_b64 s[6:7], s[4:5]
	s_cbranch_execnz .LBB15_999
	s_branch .LBB15_1000
.LBB15_3049:
	s_movk_i32 s4, 0x80
	v_cmp_eq_u16_sdwa s[12:13], v3, s4 src0_sel:BYTE_0 src1_sel:DWORD
	s_mov_b64 s[4:5], -1
                                        ; implicit-def: $sgpr10
	s_and_saveexec_b64 s[8:9], s[12:13]
; %bb.3050:
	s_mov_b32 s10, 0x7f800001
	s_xor_b64 s[4:5], exec, -1
; %bb.3051:
	s_or_b64 exec, exec, s[8:9]
	s_and_b64 s[4:5], s[4:5], exec
	s_or_saveexec_b64 s[6:7], s[6:7]
	v_mov_b32_e32 v2, s10
	s_xor_b64 exec, exec, s[6:7]
	s_cbranch_execz .LBB15_1002
.LBB15_3052:
	v_mov_b32_e32 v2, 0
	v_cmp_ne_u16_sdwa s[8:9], v3, v2 src0_sel:BYTE_0 src1_sel:DWORD
	s_andn2_b64 s[4:5], s[4:5], exec
	s_and_b64 s[8:9], s[8:9], exec
	s_or_b64 s[4:5], s[4:5], s[8:9]
	s_or_b64 exec, exec, s[6:7]
	s_and_saveexec_b64 s[6:7], s[4:5]
	s_cbranch_execnz .LBB15_1003
	s_branch .LBB15_1004
.LBB15_3053:
	s_movk_i32 s4, 0x80
	v_cmp_eq_u16_sdwa s[12:13], v3, s4 src0_sel:BYTE_0 src1_sel:DWORD
	s_mov_b64 s[4:5], -1
                                        ; implicit-def: $sgpr10
	s_and_saveexec_b64 s[8:9], s[12:13]
; %bb.3054:
	s_mov_b32 s10, 0x7f800001
	s_xor_b64 s[4:5], exec, -1
; %bb.3055:
	s_or_b64 exec, exec, s[8:9]
	s_and_b64 s[4:5], s[4:5], exec
	s_or_saveexec_b64 s[6:7], s[6:7]
	v_mov_b32_e32 v4, s10
	s_xor_b64 exec, exec, s[6:7]
	s_cbranch_execz .LBB15_1006
.LBB15_3056:
	v_mov_b32_e32 v4, 0
	v_cmp_ne_u16_sdwa s[8:9], v3, v4 src0_sel:BYTE_0 src1_sel:DWORD
	s_andn2_b64 s[4:5], s[4:5], exec
	s_and_b64 s[8:9], s[8:9], exec
	s_or_b64 s[4:5], s[4:5], s[8:9]
	s_or_b64 exec, exec, s[6:7]
	s_and_saveexec_b64 s[6:7], s[4:5]
	s_cbranch_execnz .LBB15_1007
	s_branch .LBB15_1008
.LBB15_3057:
	s_movk_i32 s4, 0x80
	v_cmp_eq_u16_e32 vcc, s4, v3
	s_mov_b64 s[4:5], -1
                                        ; implicit-def: $sgpr10
	s_and_saveexec_b64 s[8:9], vcc
; %bb.3058:
	s_mov_b32 s10, 0x7f800001
	s_xor_b64 s[4:5], exec, -1
; %bb.3059:
	s_or_b64 exec, exec, s[8:9]
	s_and_b64 s[4:5], s[4:5], exec
                                        ; implicit-def: $vgpr3
	s_or_saveexec_b64 s[6:7], s[6:7]
	v_mov_b32_e32 v2, s10
	s_xor_b64 exec, exec, s[6:7]
	s_cbranch_execz .LBB15_1010
.LBB15_3060:
	v_cmp_ne_u16_e32 vcc, 0, v3
	s_andn2_b64 s[4:5], s[4:5], exec
	s_and_b64 s[8:9], vcc, exec
	v_mov_b32_e32 v2, 0
	s_or_b64 s[4:5], s[4:5], s[8:9]
	s_or_b64 exec, exec, s[6:7]
	s_and_saveexec_b64 s[6:7], s[4:5]
	s_cbranch_execnz .LBB15_1011
	s_branch .LBB15_1012
.LBB15_3061:
	s_movk_i32 s4, 0x80
	v_cmp_eq_u16_e32 vcc, s4, v3
	s_mov_b64 s[4:5], -1
                                        ; implicit-def: $sgpr10
	s_and_saveexec_b64 s[8:9], vcc
; %bb.3062:
	s_mov_b32 s10, 0x7f800001
	s_xor_b64 s[4:5], exec, -1
; %bb.3063:
	s_or_b64 exec, exec, s[8:9]
	s_and_b64 s[4:5], s[4:5], exec
                                        ; implicit-def: $vgpr3
	s_or_saveexec_b64 s[6:7], s[6:7]
	v_mov_b32_e32 v4, s10
	s_xor_b64 exec, exec, s[6:7]
	s_cbranch_execz .LBB15_1014
.LBB15_3064:
	v_cmp_ne_u16_e32 vcc, 0, v3
	s_andn2_b64 s[4:5], s[4:5], exec
	s_and_b64 s[8:9], vcc, exec
	v_mov_b32_e32 v4, 0
	s_or_b64 s[4:5], s[4:5], s[8:9]
	s_or_b64 exec, exec, s[6:7]
	s_and_saveexec_b64 s[6:7], s[4:5]
	s_cbranch_execnz .LBB15_1015
	s_branch .LBB15_1016
.LBB15_3065:
	s_movk_i32 s4, 0x80
	v_cmp_eq_u16_sdwa s[12:13], v9, s4 src0_sel:BYTE_3 src1_sel:DWORD
	s_mov_b64 s[4:5], -1
                                        ; implicit-def: $sgpr10
	s_and_saveexec_b64 s[8:9], s[12:13]
; %bb.3066:
	s_mov_b32 s10, 0x7f800001
	s_xor_b64 s[4:5], exec, -1
; %bb.3067:
	s_or_b64 exec, exec, s[8:9]
	s_and_b64 s[4:5], s[4:5], exec
	s_or_saveexec_b64 s[6:7], s[6:7]
	v_mov_b32_e32 v2, s10
	s_xor_b64 exec, exec, s[6:7]
	s_cbranch_execz .LBB15_1018
.LBB15_3068:
	v_mov_b32_e32 v2, 0
	v_cmp_ne_u16_sdwa s[8:9], v9, v2 src0_sel:BYTE_3 src1_sel:DWORD
	s_andn2_b64 s[4:5], s[4:5], exec
	s_and_b64 s[8:9], s[8:9], exec
	s_or_b64 s[4:5], s[4:5], s[8:9]
	s_or_b64 exec, exec, s[6:7]
	s_and_saveexec_b64 s[6:7], s[4:5]
	s_cbranch_execnz .LBB15_1019
	s_branch .LBB15_1020
.LBB15_3069:
	s_movk_i32 s4, 0x80
	v_cmp_eq_u16_sdwa s[12:13], v5, s4 src0_sel:BYTE_3 src1_sel:DWORD
	s_mov_b64 s[4:5], -1
                                        ; implicit-def: $sgpr10
	s_and_saveexec_b64 s[8:9], s[12:13]
; %bb.3070:
	s_mov_b32 s10, 0x7f800001
	s_xor_b64 s[4:5], exec, -1
; %bb.3071:
	s_or_b64 exec, exec, s[8:9]
	s_and_b64 s[4:5], s[4:5], exec
	s_or_saveexec_b64 s[6:7], s[6:7]
	v_mov_b32_e32 v3, s10
	s_xor_b64 exec, exec, s[6:7]
	s_cbranch_execz .LBB15_1022
.LBB15_3072:
	v_mov_b32_e32 v3, 0
	v_cmp_ne_u16_sdwa s[8:9], v5, v3 src0_sel:BYTE_3 src1_sel:DWORD
	s_andn2_b64 s[4:5], s[4:5], exec
	s_and_b64 s[8:9], s[8:9], exec
	s_or_b64 s[4:5], s[4:5], s[8:9]
	s_or_b64 exec, exec, s[6:7]
	s_and_saveexec_b64 s[6:7], s[4:5]
	s_cbranch_execnz .LBB15_1023
	s_branch .LBB15_1024
.LBB15_3073:
	s_movk_i32 s4, 0x80
	v_cmp_eq_u16_sdwa s[12:13], v14, s4 src0_sel:BYTE_0 src1_sel:DWORD
	s_mov_b64 s[4:5], -1
                                        ; implicit-def: $sgpr10
	s_and_saveexec_b64 s[8:9], s[12:13]
; %bb.3074:
	s_mov_b32 s10, 0x7f800001
	s_xor_b64 s[4:5], exec, -1
; %bb.3075:
	s_or_b64 exec, exec, s[8:9]
	s_and_b64 s[4:5], s[4:5], exec
	s_or_saveexec_b64 s[6:7], s[6:7]
	v_mov_b32_e32 v20, s10
	s_xor_b64 exec, exec, s[6:7]
	s_cbranch_execz .LBB15_1026
.LBB15_3076:
	v_mov_b32_e32 v20, 0
	v_cmp_ne_u16_sdwa s[8:9], v14, v20 src0_sel:BYTE_0 src1_sel:DWORD
	s_andn2_b64 s[4:5], s[4:5], exec
	s_and_b64 s[8:9], s[8:9], exec
	s_or_b64 s[4:5], s[4:5], s[8:9]
	s_or_b64 exec, exec, s[6:7]
	s_and_saveexec_b64 s[6:7], s[4:5]
	s_cbranch_execnz .LBB15_1027
	s_branch .LBB15_1028
.LBB15_3077:
	s_movk_i32 s4, 0x80
	v_cmp_eq_u16_sdwa s[12:13], v10, s4 src0_sel:BYTE_0 src1_sel:DWORD
	s_mov_b64 s[4:5], -1
                                        ; implicit-def: $sgpr10
	s_and_saveexec_b64 s[8:9], s[12:13]
; %bb.3078:
	s_mov_b32 s10, 0x7f800001
	s_xor_b64 s[4:5], exec, -1
; %bb.3079:
	s_or_b64 exec, exec, s[8:9]
	s_and_b64 s[4:5], s[4:5], exec
	s_or_saveexec_b64 s[6:7], s[6:7]
	v_mov_b32_e32 v21, s10
	s_xor_b64 exec, exec, s[6:7]
	s_cbranch_execz .LBB15_1030
.LBB15_3080:
	v_mov_b32_e32 v21, 0
	v_cmp_ne_u16_sdwa s[8:9], v10, v21 src0_sel:BYTE_0 src1_sel:DWORD
	s_andn2_b64 s[4:5], s[4:5], exec
	s_and_b64 s[8:9], s[8:9], exec
	s_or_b64 s[4:5], s[4:5], s[8:9]
	s_or_b64 exec, exec, s[6:7]
	s_and_saveexec_b64 s[6:7], s[4:5]
	s_cbranch_execnz .LBB15_1031
	s_branch .LBB15_1032
.LBB15_3081:
	s_movk_i32 s4, 0x80
	v_cmp_eq_u16_sdwa s[12:13], v21, s4 src0_sel:BYTE_0 src1_sel:DWORD
	s_mov_b64 s[4:5], -1
                                        ; implicit-def: $sgpr10
	s_and_saveexec_b64 s[8:9], s[12:13]
; %bb.3082:
	s_mov_b32 s10, 0x7f800001
	s_xor_b64 s[4:5], exec, -1
; %bb.3083:
	s_or_b64 exec, exec, s[8:9]
	s_and_b64 s[4:5], s[4:5], exec
	s_or_saveexec_b64 s[6:7], s[6:7]
	v_mov_b32_e32 v20, s10
	s_xor_b64 exec, exec, s[6:7]
	s_cbranch_execz .LBB15_1034
.LBB15_3084:
	v_mov_b32_e32 v20, 0
	v_cmp_ne_u16_sdwa s[8:9], v21, v20 src0_sel:BYTE_0 src1_sel:DWORD
	s_andn2_b64 s[4:5], s[4:5], exec
	s_and_b64 s[8:9], s[8:9], exec
	s_or_b64 s[4:5], s[4:5], s[8:9]
	s_or_b64 exec, exec, s[6:7]
	s_and_saveexec_b64 s[6:7], s[4:5]
	s_cbranch_execnz .LBB15_1035
	s_branch .LBB15_1036
.LBB15_3085:
	s_movk_i32 s4, 0x80
	v_cmp_eq_u16_sdwa s[12:13], v21, s4 src0_sel:BYTE_0 src1_sel:DWORD
	s_mov_b64 s[4:5], -1
                                        ; implicit-def: $sgpr10
	s_and_saveexec_b64 s[8:9], s[12:13]
; %bb.3086:
	s_mov_b32 s10, 0x7f800001
	s_xor_b64 s[4:5], exec, -1
; %bb.3087:
	s_or_b64 exec, exec, s[8:9]
	s_and_b64 s[4:5], s[4:5], exec
	s_or_saveexec_b64 s[6:7], s[6:7]
	v_mov_b32_e32 v22, s10
	s_xor_b64 exec, exec, s[6:7]
	s_cbranch_execz .LBB15_1038
.LBB15_3088:
	v_mov_b32_e32 v22, 0
	v_cmp_ne_u16_sdwa s[8:9], v21, v22 src0_sel:BYTE_0 src1_sel:DWORD
	s_andn2_b64 s[4:5], s[4:5], exec
	s_and_b64 s[8:9], s[8:9], exec
	s_or_b64 s[4:5], s[4:5], s[8:9]
	s_or_b64 exec, exec, s[6:7]
	s_and_saveexec_b64 s[6:7], s[4:5]
	s_cbranch_execnz .LBB15_1039
	s_branch .LBB15_1040
.LBB15_3089:
	s_movk_i32 s4, 0x80
	v_cmp_eq_u16_e32 vcc, s4, v21
	s_mov_b64 s[4:5], -1
                                        ; implicit-def: $sgpr10
	s_and_saveexec_b64 s[8:9], vcc
; %bb.3090:
	s_mov_b32 s10, 0x7f800001
	s_xor_b64 s[4:5], exec, -1
; %bb.3091:
	s_or_b64 exec, exec, s[8:9]
	s_and_b64 s[4:5], s[4:5], exec
                                        ; implicit-def: $vgpr21
	s_or_saveexec_b64 s[6:7], s[6:7]
	v_mov_b32_e32 v20, s10
	s_xor_b64 exec, exec, s[6:7]
	s_cbranch_execz .LBB15_1042
.LBB15_3092:
	v_cmp_ne_u16_e32 vcc, 0, v21
	s_andn2_b64 s[4:5], s[4:5], exec
	s_and_b64 s[8:9], vcc, exec
	v_mov_b32_e32 v20, 0
	s_or_b64 s[4:5], s[4:5], s[8:9]
	s_or_b64 exec, exec, s[6:7]
	s_and_saveexec_b64 s[6:7], s[4:5]
	s_cbranch_execnz .LBB15_1043
	s_branch .LBB15_1044
.LBB15_3093:
	s_movk_i32 s4, 0x80
	v_cmp_eq_u16_e32 vcc, s4, v21
	s_mov_b64 s[4:5], -1
                                        ; implicit-def: $sgpr10
	s_and_saveexec_b64 s[8:9], vcc
; %bb.3094:
	s_mov_b32 s10, 0x7f800001
	s_xor_b64 s[4:5], exec, -1
; %bb.3095:
	s_or_b64 exec, exec, s[8:9]
	s_and_b64 s[4:5], s[4:5], exec
                                        ; implicit-def: $vgpr21
	s_or_saveexec_b64 s[6:7], s[6:7]
	v_mov_b32_e32 v22, s10
	s_xor_b64 exec, exec, s[6:7]
	s_cbranch_execz .LBB15_1046
.LBB15_3096:
	v_cmp_ne_u16_e32 vcc, 0, v21
	s_andn2_b64 s[4:5], s[4:5], exec
	s_and_b64 s[8:9], vcc, exec
	v_mov_b32_e32 v22, 0
	s_or_b64 s[4:5], s[4:5], s[8:9]
	s_or_b64 exec, exec, s[6:7]
	s_and_saveexec_b64 s[6:7], s[4:5]
	s_cbranch_execnz .LBB15_1047
	s_branch .LBB15_1048
.LBB15_3097:
	s_movk_i32 s4, 0x80
	v_cmp_eq_u16_sdwa s[12:13], v14, s4 src0_sel:BYTE_3 src1_sel:DWORD
	s_mov_b64 s[4:5], -1
                                        ; implicit-def: $sgpr10
	s_and_saveexec_b64 s[8:9], s[12:13]
; %bb.3098:
	s_mov_b32 s10, 0x7f800001
	s_xor_b64 s[4:5], exec, -1
; %bb.3099:
	s_or_b64 exec, exec, s[8:9]
	s_and_b64 s[4:5], s[4:5], exec
	s_or_saveexec_b64 s[6:7], s[6:7]
	v_mov_b32_e32 v20, s10
	s_xor_b64 exec, exec, s[6:7]
	s_cbranch_execz .LBB15_1050
.LBB15_3100:
	v_mov_b32_e32 v20, 0
	v_cmp_ne_u16_sdwa s[8:9], v14, v20 src0_sel:BYTE_3 src1_sel:DWORD
	s_andn2_b64 s[4:5], s[4:5], exec
	s_and_b64 s[8:9], s[8:9], exec
	s_or_b64 s[4:5], s[4:5], s[8:9]
	s_or_b64 exec, exec, s[6:7]
	s_and_saveexec_b64 s[6:7], s[4:5]
	s_cbranch_execnz .LBB15_1051
	s_branch .LBB15_1052
.LBB15_3101:
	s_movk_i32 s4, 0x80
	v_cmp_eq_u16_sdwa s[12:13], v10, s4 src0_sel:BYTE_3 src1_sel:DWORD
	s_mov_b64 s[4:5], -1
                                        ; implicit-def: $sgpr10
	s_and_saveexec_b64 s[8:9], s[12:13]
; %bb.3102:
	s_mov_b32 s10, 0x7f800001
	s_xor_b64 s[4:5], exec, -1
; %bb.3103:
	s_or_b64 exec, exec, s[8:9]
	s_and_b64 s[4:5], s[4:5], exec
	s_or_saveexec_b64 s[6:7], s[6:7]
	v_mov_b32_e32 v14, s10
	s_xor_b64 exec, exec, s[6:7]
	s_cbranch_execz .LBB15_1054
.LBB15_3104:
	v_mov_b32_e32 v14, 0
	v_cmp_ne_u16_sdwa s[8:9], v10, v14 src0_sel:BYTE_3 src1_sel:DWORD
	s_andn2_b64 s[4:5], s[4:5], exec
	s_and_b64 s[8:9], s[8:9], exec
	s_or_b64 s[4:5], s[4:5], s[8:9]
	s_or_b64 exec, exec, s[6:7]
	s_and_saveexec_b64 s[6:7], s[4:5]
	s_cbranch_execnz .LBB15_1055
	s_branch .LBB15_1056
.LBB15_3105:
	s_movk_i32 s4, 0x80
	v_cmp_eq_u16_sdwa s[12:13], v15, s4 src0_sel:BYTE_0 src1_sel:DWORD
	s_mov_b64 s[4:5], -1
                                        ; implicit-def: $sgpr10
	s_and_saveexec_b64 s[8:9], s[12:13]
; %bb.3106:
	s_mov_b32 s10, 0x7f800001
	s_xor_b64 s[4:5], exec, -1
; %bb.3107:
	s_or_b64 exec, exec, s[8:9]
	s_and_b64 s[4:5], s[4:5], exec
	s_or_saveexec_b64 s[6:7], s[6:7]
	v_mov_b32_e32 v10, s10
	s_xor_b64 exec, exec, s[6:7]
	s_cbranch_execz .LBB15_1058
.LBB15_3108:
	v_mov_b32_e32 v10, 0
	v_cmp_ne_u16_sdwa s[8:9], v15, v10 src0_sel:BYTE_0 src1_sel:DWORD
	s_andn2_b64 s[4:5], s[4:5], exec
	s_and_b64 s[8:9], s[8:9], exec
	s_or_b64 s[4:5], s[4:5], s[8:9]
	s_or_b64 exec, exec, s[6:7]
	s_and_saveexec_b64 s[6:7], s[4:5]
	s_cbranch_execnz .LBB15_1059
	s_branch .LBB15_1060
.LBB15_3109:
	s_movk_i32 s4, 0x80
	v_cmp_eq_u16_sdwa s[12:13], v11, s4 src0_sel:BYTE_0 src1_sel:DWORD
	s_mov_b64 s[4:5], -1
                                        ; implicit-def: $sgpr10
	s_and_saveexec_b64 s[8:9], s[12:13]
; %bb.3110:
	s_mov_b32 s10, 0x7f800001
	s_xor_b64 s[4:5], exec, -1
; %bb.3111:
	s_or_b64 exec, exec, s[8:9]
	s_and_b64 s[4:5], s[4:5], exec
	s_or_saveexec_b64 s[6:7], s[6:7]
	v_mov_b32_e32 v14, s10
	s_xor_b64 exec, exec, s[6:7]
	s_cbranch_execz .LBB15_1062
.LBB15_3112:
	v_mov_b32_e32 v14, 0
	v_cmp_ne_u16_sdwa s[8:9], v11, v14 src0_sel:BYTE_0 src1_sel:DWORD
	s_andn2_b64 s[4:5], s[4:5], exec
	s_and_b64 s[8:9], s[8:9], exec
	s_or_b64 s[4:5], s[4:5], s[8:9]
	s_or_b64 exec, exec, s[6:7]
	s_and_saveexec_b64 s[6:7], s[4:5]
	s_cbranch_execnz .LBB15_1063
	s_branch .LBB15_1064
.LBB15_3113:
	s_movk_i32 s4, 0x80
	v_cmp_eq_u16_sdwa s[12:13], v14, s4 src0_sel:BYTE_0 src1_sel:DWORD
	s_mov_b64 s[4:5], -1
                                        ; implicit-def: $sgpr10
	s_and_saveexec_b64 s[8:9], s[12:13]
; %bb.3114:
	s_mov_b32 s10, 0x7f800001
	s_xor_b64 s[4:5], exec, -1
; %bb.3115:
	s_or_b64 exec, exec, s[8:9]
	s_and_b64 s[4:5], s[4:5], exec
	s_or_saveexec_b64 s[6:7], s[6:7]
	v_mov_b32_e32 v10, s10
	s_xor_b64 exec, exec, s[6:7]
	s_cbranch_execz .LBB15_1066
.LBB15_3116:
	v_mov_b32_e32 v10, 0
	v_cmp_ne_u16_sdwa s[8:9], v14, v10 src0_sel:BYTE_0 src1_sel:DWORD
	s_andn2_b64 s[4:5], s[4:5], exec
	s_and_b64 s[8:9], s[8:9], exec
	s_or_b64 s[4:5], s[4:5], s[8:9]
	s_or_b64 exec, exec, s[6:7]
	s_and_saveexec_b64 s[6:7], s[4:5]
	s_cbranch_execnz .LBB15_1067
	s_branch .LBB15_1068
.LBB15_3117:
	s_movk_i32 s4, 0x80
	v_cmp_eq_u16_sdwa s[12:13], v14, s4 src0_sel:BYTE_0 src1_sel:DWORD
	s_mov_b64 s[4:5], -1
                                        ; implicit-def: $sgpr10
	s_and_saveexec_b64 s[8:9], s[12:13]
; %bb.3118:
	s_mov_b32 s10, 0x7f800001
	s_xor_b64 s[4:5], exec, -1
; %bb.3119:
	s_or_b64 exec, exec, s[8:9]
	s_and_b64 s[4:5], s[4:5], exec
	s_or_saveexec_b64 s[6:7], s[6:7]
	v_mov_b32_e32 v20, s10
	s_xor_b64 exec, exec, s[6:7]
	s_cbranch_execz .LBB15_1070
.LBB15_3120:
	v_mov_b32_e32 v20, 0
	v_cmp_ne_u16_sdwa s[8:9], v14, v20 src0_sel:BYTE_0 src1_sel:DWORD
	s_andn2_b64 s[4:5], s[4:5], exec
	s_and_b64 s[8:9], s[8:9], exec
	s_or_b64 s[4:5], s[4:5], s[8:9]
	s_or_b64 exec, exec, s[6:7]
	s_and_saveexec_b64 s[6:7], s[4:5]
	s_cbranch_execnz .LBB15_1071
	s_branch .LBB15_1072
.LBB15_3121:
	s_movk_i32 s4, 0x80
	v_cmp_eq_u16_e32 vcc, s4, v14
	s_mov_b64 s[4:5], -1
                                        ; implicit-def: $sgpr10
	s_and_saveexec_b64 s[8:9], vcc
; %bb.3122:
	s_mov_b32 s10, 0x7f800001
	s_xor_b64 s[4:5], exec, -1
; %bb.3123:
	s_or_b64 exec, exec, s[8:9]
	s_and_b64 s[4:5], s[4:5], exec
                                        ; implicit-def: $vgpr14
	s_or_saveexec_b64 s[6:7], s[6:7]
	v_mov_b32_e32 v10, s10
	s_xor_b64 exec, exec, s[6:7]
	s_cbranch_execz .LBB15_1074
.LBB15_3124:
	v_cmp_ne_u16_e32 vcc, 0, v14
	s_andn2_b64 s[4:5], s[4:5], exec
	s_and_b64 s[8:9], vcc, exec
	v_mov_b32_e32 v10, 0
	s_or_b64 s[4:5], s[4:5], s[8:9]
	s_or_b64 exec, exec, s[6:7]
	s_and_saveexec_b64 s[6:7], s[4:5]
	s_cbranch_execnz .LBB15_1075
	s_branch .LBB15_1076
.LBB15_3125:
	s_movk_i32 s4, 0x80
	v_cmp_eq_u16_e32 vcc, s4, v14
	s_mov_b64 s[4:5], -1
                                        ; implicit-def: $sgpr10
	s_and_saveexec_b64 s[8:9], vcc
; %bb.3126:
	s_mov_b32 s10, 0x7f800001
	s_xor_b64 s[4:5], exec, -1
; %bb.3127:
	s_or_b64 exec, exec, s[8:9]
	s_and_b64 s[4:5], s[4:5], exec
                                        ; implicit-def: $vgpr14
	s_or_saveexec_b64 s[6:7], s[6:7]
	v_mov_b32_e32 v20, s10
	s_xor_b64 exec, exec, s[6:7]
	s_cbranch_execz .LBB15_1078
.LBB15_3128:
	v_cmp_ne_u16_e32 vcc, 0, v14
	s_andn2_b64 s[4:5], s[4:5], exec
	s_and_b64 s[8:9], vcc, exec
	v_mov_b32_e32 v20, 0
	s_or_b64 s[4:5], s[4:5], s[8:9]
	s_or_b64 exec, exec, s[6:7]
	s_and_saveexec_b64 s[6:7], s[4:5]
	s_cbranch_execnz .LBB15_1079
	s_branch .LBB15_1080
.LBB15_3129:
	s_movk_i32 s4, 0x80
	v_cmp_eq_u16_sdwa s[12:13], v15, s4 src0_sel:BYTE_3 src1_sel:DWORD
	s_mov_b64 s[4:5], -1
                                        ; implicit-def: $sgpr10
	s_and_saveexec_b64 s[8:9], s[12:13]
; %bb.3130:
	s_mov_b32 s10, 0x7f800001
	s_xor_b64 s[4:5], exec, -1
; %bb.3131:
	s_or_b64 exec, exec, s[8:9]
	s_and_b64 s[4:5], s[4:5], exec
	s_or_saveexec_b64 s[6:7], s[6:7]
	v_mov_b32_e32 v10, s10
	s_xor_b64 exec, exec, s[6:7]
	s_cbranch_execz .LBB15_1082
.LBB15_3132:
	v_mov_b32_e32 v10, 0
	v_cmp_ne_u16_sdwa s[8:9], v15, v10 src0_sel:BYTE_3 src1_sel:DWORD
	s_andn2_b64 s[4:5], s[4:5], exec
	s_and_b64 s[8:9], s[8:9], exec
	s_or_b64 s[4:5], s[4:5], s[8:9]
	s_or_b64 exec, exec, s[6:7]
	s_and_saveexec_b64 s[6:7], s[4:5]
	s_cbranch_execnz .LBB15_1083
	s_branch .LBB15_1084
.LBB15_3133:
	s_movk_i32 s4, 0x80
	v_cmp_eq_u16_sdwa s[12:13], v11, s4 src0_sel:BYTE_3 src1_sel:DWORD
	s_mov_b64 s[4:5], -1
                                        ; implicit-def: $sgpr10
	s_and_saveexec_b64 s[8:9], s[12:13]
; %bb.3134:
	s_mov_b32 s10, 0x7f800001
	s_xor_b64 s[4:5], exec, -1
; %bb.3135:
	s_or_b64 exec, exec, s[8:9]
	s_and_b64 s[4:5], s[4:5], exec
	s_or_saveexec_b64 s[6:7], s[6:7]
	v_mov_b32_e32 v14, s10
	s_xor_b64 exec, exec, s[6:7]
	s_cbranch_execz .LBB15_1086
.LBB15_3136:
	v_mov_b32_e32 v14, 0
	v_cmp_ne_u16_sdwa s[8:9], v11, v14 src0_sel:BYTE_3 src1_sel:DWORD
	s_andn2_b64 s[4:5], s[4:5], exec
	s_and_b64 s[8:9], s[8:9], exec
	s_or_b64 s[4:5], s[4:5], s[8:9]
	s_or_b64 exec, exec, s[6:7]
	s_and_saveexec_b64 s[6:7], s[4:5]
	s_cbranch_execnz .LBB15_1087
	s_branch .LBB15_1088
.LBB15_3137:
	s_movk_i32 s4, 0x80
	v_cmp_eq_u16_sdwa s[12:13], v16, s4 src0_sel:BYTE_0 src1_sel:DWORD
	s_mov_b64 s[4:5], -1
                                        ; implicit-def: $sgpr10
	s_and_saveexec_b64 s[8:9], s[12:13]
; %bb.3138:
	s_mov_b32 s10, 0x7f800001
	s_xor_b64 s[4:5], exec, -1
; %bb.3139:
	s_or_b64 exec, exec, s[8:9]
	s_and_b64 s[4:5], s[4:5], exec
	s_or_saveexec_b64 s[6:7], s[6:7]
	v_mov_b32_e32 v10, s10
	s_xor_b64 exec, exec, s[6:7]
	s_cbranch_execz .LBB15_1090
.LBB15_3140:
	v_mov_b32_e32 v10, 0
	v_cmp_ne_u16_sdwa s[8:9], v16, v10 src0_sel:BYTE_0 src1_sel:DWORD
	s_andn2_b64 s[4:5], s[4:5], exec
	s_and_b64 s[8:9], s[8:9], exec
	s_or_b64 s[4:5], s[4:5], s[8:9]
	s_or_b64 exec, exec, s[6:7]
	s_and_saveexec_b64 s[6:7], s[4:5]
	s_cbranch_execnz .LBB15_1091
	s_branch .LBB15_1092
.LBB15_3141:
	s_movk_i32 s4, 0x80
	v_cmp_eq_u16_sdwa s[12:13], v12, s4 src0_sel:BYTE_0 src1_sel:DWORD
	s_mov_b64 s[4:5], -1
                                        ; implicit-def: $sgpr10
	s_and_saveexec_b64 s[8:9], s[12:13]
; %bb.3142:
	s_mov_b32 s10, 0x7f800001
	s_xor_b64 s[4:5], exec, -1
; %bb.3143:
	s_or_b64 exec, exec, s[8:9]
	s_and_b64 s[4:5], s[4:5], exec
	s_or_saveexec_b64 s[6:7], s[6:7]
	v_mov_b32_e32 v11, s10
	s_xor_b64 exec, exec, s[6:7]
	s_cbranch_execz .LBB15_1094
.LBB15_3144:
	v_mov_b32_e32 v11, 0
	v_cmp_ne_u16_sdwa s[8:9], v12, v11 src0_sel:BYTE_0 src1_sel:DWORD
	s_andn2_b64 s[4:5], s[4:5], exec
	s_and_b64 s[8:9], s[8:9], exec
	s_or_b64 s[4:5], s[4:5], s[8:9]
	s_or_b64 exec, exec, s[6:7]
	s_and_saveexec_b64 s[6:7], s[4:5]
	s_cbranch_execnz .LBB15_1095
	s_branch .LBB15_1096
.LBB15_3145:
	s_movk_i32 s4, 0x80
	v_cmp_eq_u16_sdwa s[12:13], v11, s4 src0_sel:BYTE_0 src1_sel:DWORD
	s_mov_b64 s[4:5], -1
                                        ; implicit-def: $sgpr10
	s_and_saveexec_b64 s[8:9], s[12:13]
; %bb.3146:
	s_mov_b32 s10, 0x7f800001
	s_xor_b64 s[4:5], exec, -1
; %bb.3147:
	s_or_b64 exec, exec, s[8:9]
	s_and_b64 s[4:5], s[4:5], exec
	s_or_saveexec_b64 s[6:7], s[6:7]
	v_mov_b32_e32 v10, s10
	s_xor_b64 exec, exec, s[6:7]
	s_cbranch_execz .LBB15_1098
.LBB15_3148:
	v_mov_b32_e32 v10, 0
	v_cmp_ne_u16_sdwa s[8:9], v11, v10 src0_sel:BYTE_0 src1_sel:DWORD
	s_andn2_b64 s[4:5], s[4:5], exec
	s_and_b64 s[8:9], s[8:9], exec
	s_or_b64 s[4:5], s[4:5], s[8:9]
	s_or_b64 exec, exec, s[6:7]
	s_and_saveexec_b64 s[6:7], s[4:5]
	s_cbranch_execnz .LBB15_1099
	s_branch .LBB15_1100
.LBB15_3149:
	s_movk_i32 s4, 0x80
	v_cmp_eq_u16_sdwa s[12:13], v11, s4 src0_sel:BYTE_0 src1_sel:DWORD
	s_mov_b64 s[4:5], -1
                                        ; implicit-def: $sgpr10
	s_and_saveexec_b64 s[8:9], s[12:13]
; %bb.3150:
	s_mov_b32 s10, 0x7f800001
	s_xor_b64 s[4:5], exec, -1
; %bb.3151:
	s_or_b64 exec, exec, s[8:9]
	s_and_b64 s[4:5], s[4:5], exec
	s_or_saveexec_b64 s[6:7], s[6:7]
	v_mov_b32_e32 v14, s10
	s_xor_b64 exec, exec, s[6:7]
	s_cbranch_execz .LBB15_1102
.LBB15_3152:
	v_mov_b32_e32 v14, 0
	v_cmp_ne_u16_sdwa s[8:9], v11, v14 src0_sel:BYTE_0 src1_sel:DWORD
	s_andn2_b64 s[4:5], s[4:5], exec
	s_and_b64 s[8:9], s[8:9], exec
	s_or_b64 s[4:5], s[4:5], s[8:9]
	s_or_b64 exec, exec, s[6:7]
	s_and_saveexec_b64 s[6:7], s[4:5]
	s_cbranch_execnz .LBB15_1103
	s_branch .LBB15_1104
.LBB15_3153:
	s_movk_i32 s4, 0x80
	v_cmp_eq_u16_e32 vcc, s4, v11
	s_mov_b64 s[4:5], -1
                                        ; implicit-def: $sgpr10
	s_and_saveexec_b64 s[8:9], vcc
; %bb.3154:
	s_mov_b32 s10, 0x7f800001
	s_xor_b64 s[4:5], exec, -1
; %bb.3155:
	s_or_b64 exec, exec, s[8:9]
	s_and_b64 s[4:5], s[4:5], exec
                                        ; implicit-def: $vgpr11
	s_or_saveexec_b64 s[6:7], s[6:7]
	v_mov_b32_e32 v10, s10
	s_xor_b64 exec, exec, s[6:7]
	s_cbranch_execz .LBB15_1106
.LBB15_3156:
	v_cmp_ne_u16_e32 vcc, 0, v11
	s_andn2_b64 s[4:5], s[4:5], exec
	s_and_b64 s[8:9], vcc, exec
	v_mov_b32_e32 v10, 0
	s_or_b64 s[4:5], s[4:5], s[8:9]
	s_or_b64 exec, exec, s[6:7]
	s_and_saveexec_b64 s[6:7], s[4:5]
	s_cbranch_execnz .LBB15_1107
	s_branch .LBB15_1108
.LBB15_3157:
	s_movk_i32 s4, 0x80
	v_cmp_eq_u16_e32 vcc, s4, v11
	s_mov_b64 s[4:5], -1
                                        ; implicit-def: $sgpr10
	s_and_saveexec_b64 s[8:9], vcc
; %bb.3158:
	s_mov_b32 s10, 0x7f800001
	s_xor_b64 s[4:5], exec, -1
; %bb.3159:
	s_or_b64 exec, exec, s[8:9]
	s_and_b64 s[4:5], s[4:5], exec
                                        ; implicit-def: $vgpr11
	s_or_saveexec_b64 s[6:7], s[6:7]
	v_mov_b32_e32 v14, s10
	s_xor_b64 exec, exec, s[6:7]
	s_cbranch_execz .LBB15_1110
.LBB15_3160:
	v_cmp_ne_u16_e32 vcc, 0, v11
	s_andn2_b64 s[4:5], s[4:5], exec
	s_and_b64 s[8:9], vcc, exec
	v_mov_b32_e32 v14, 0
	s_or_b64 s[4:5], s[4:5], s[8:9]
	s_or_b64 exec, exec, s[6:7]
	s_and_saveexec_b64 s[6:7], s[4:5]
	s_cbranch_execnz .LBB15_1111
	s_branch .LBB15_1112
.LBB15_3161:
	s_movk_i32 s4, 0x80
	v_cmp_eq_u16_sdwa s[12:13], v16, s4 src0_sel:BYTE_3 src1_sel:DWORD
	s_mov_b64 s[4:5], -1
                                        ; implicit-def: $sgpr10
	s_and_saveexec_b64 s[8:9], s[12:13]
; %bb.3162:
	s_mov_b32 s10, 0x7f800001
	s_xor_b64 s[4:5], exec, -1
; %bb.3163:
	s_or_b64 exec, exec, s[8:9]
	s_and_b64 s[4:5], s[4:5], exec
	s_or_saveexec_b64 s[6:7], s[6:7]
	v_mov_b32_e32 v10, s10
	s_xor_b64 exec, exec, s[6:7]
	s_cbranch_execz .LBB15_1114
.LBB15_3164:
	v_mov_b32_e32 v10, 0
	v_cmp_ne_u16_sdwa s[8:9], v16, v10 src0_sel:BYTE_3 src1_sel:DWORD
	s_andn2_b64 s[4:5], s[4:5], exec
	s_and_b64 s[8:9], s[8:9], exec
	s_or_b64 s[4:5], s[4:5], s[8:9]
	s_or_b64 exec, exec, s[6:7]
	s_and_saveexec_b64 s[6:7], s[4:5]
	s_cbranch_execnz .LBB15_1115
	s_branch .LBB15_1116
.LBB15_3165:
	s_movk_i32 s4, 0x80
	v_cmp_eq_u16_sdwa s[12:13], v12, s4 src0_sel:BYTE_3 src1_sel:DWORD
	s_mov_b64 s[4:5], -1
                                        ; implicit-def: $sgpr10
	s_and_saveexec_b64 s[8:9], s[12:13]
; %bb.3166:
	s_mov_b32 s10, 0x7f800001
	s_xor_b64 s[4:5], exec, -1
; %bb.3167:
	s_or_b64 exec, exec, s[8:9]
	s_and_b64 s[4:5], s[4:5], exec
	s_or_saveexec_b64 s[6:7], s[6:7]
	v_mov_b32_e32 v11, s10
	s_xor_b64 exec, exec, s[6:7]
	s_cbranch_execz .LBB15_1118
.LBB15_3168:
	v_mov_b32_e32 v11, 0
	v_cmp_ne_u16_sdwa s[8:9], v12, v11 src0_sel:BYTE_3 src1_sel:DWORD
	s_andn2_b64 s[4:5], s[4:5], exec
	s_and_b64 s[8:9], s[8:9], exec
	s_or_b64 s[4:5], s[4:5], s[8:9]
	s_or_b64 exec, exec, s[6:7]
	s_and_saveexec_b64 s[6:7], s[4:5]
	s_cbranch_execnz .LBB15_1119
	s_branch .LBB15_1120
.LBB15_3169:
	s_movk_i32 s4, 0x80
	v_cmp_eq_u16_sdwa s[12:13], v17, s4 src0_sel:BYTE_0 src1_sel:DWORD
	s_mov_b64 s[4:5], -1
                                        ; implicit-def: $sgpr10
	s_and_saveexec_b64 s[8:9], s[12:13]
; %bb.3170:
	s_mov_b32 s10, 0x7f800001
	s_xor_b64 s[4:5], exec, -1
; %bb.3171:
	s_or_b64 exec, exec, s[8:9]
	s_and_b64 s[4:5], s[4:5], exec
	s_or_saveexec_b64 s[6:7], s[6:7]
	v_mov_b32_e32 v10, s10
	s_xor_b64 exec, exec, s[6:7]
	s_cbranch_execz .LBB15_1122
.LBB15_3172:
	v_mov_b32_e32 v10, 0
	v_cmp_ne_u16_sdwa s[8:9], v17, v10 src0_sel:BYTE_0 src1_sel:DWORD
	s_andn2_b64 s[4:5], s[4:5], exec
	s_and_b64 s[8:9], s[8:9], exec
	s_or_b64 s[4:5], s[4:5], s[8:9]
	s_or_b64 exec, exec, s[6:7]
	s_and_saveexec_b64 s[6:7], s[4:5]
	s_cbranch_execnz .LBB15_1123
	s_branch .LBB15_1124
.LBB15_3173:
	s_movk_i32 s4, 0x80
	v_cmp_eq_u16_sdwa s[12:13], v13, s4 src0_sel:BYTE_0 src1_sel:DWORD
	s_mov_b64 s[4:5], -1
                                        ; implicit-def: $sgpr10
	s_and_saveexec_b64 s[8:9], s[12:13]
; %bb.3174:
	s_mov_b32 s10, 0x7f800001
	s_xor_b64 s[4:5], exec, -1
; %bb.3175:
	s_or_b64 exec, exec, s[8:9]
	s_and_b64 s[4:5], s[4:5], exec
	s_or_saveexec_b64 s[6:7], s[6:7]
	v_mov_b32_e32 v11, s10
	s_xor_b64 exec, exec, s[6:7]
	s_cbranch_execz .LBB15_1126
.LBB15_3176:
	v_mov_b32_e32 v11, 0
	v_cmp_ne_u16_sdwa s[8:9], v13, v11 src0_sel:BYTE_0 src1_sel:DWORD
	s_andn2_b64 s[4:5], s[4:5], exec
	s_and_b64 s[8:9], s[8:9], exec
	s_or_b64 s[4:5], s[4:5], s[8:9]
	s_or_b64 exec, exec, s[6:7]
	s_and_saveexec_b64 s[6:7], s[4:5]
	s_cbranch_execnz .LBB15_1127
	s_branch .LBB15_1128
.LBB15_3177:
	s_movk_i32 s4, 0x80
	v_cmp_eq_u16_sdwa s[12:13], v11, s4 src0_sel:BYTE_0 src1_sel:DWORD
	s_mov_b64 s[4:5], -1
                                        ; implicit-def: $sgpr10
	s_and_saveexec_b64 s[8:9], s[12:13]
; %bb.3178:
	s_mov_b32 s10, 0x7f800001
	s_xor_b64 s[4:5], exec, -1
; %bb.3179:
	s_or_b64 exec, exec, s[8:9]
	s_and_b64 s[4:5], s[4:5], exec
	s_or_saveexec_b64 s[6:7], s[6:7]
	v_mov_b32_e32 v10, s10
	s_xor_b64 exec, exec, s[6:7]
	s_cbranch_execz .LBB15_1130
.LBB15_3180:
	v_mov_b32_e32 v10, 0
	v_cmp_ne_u16_sdwa s[8:9], v11, v10 src0_sel:BYTE_0 src1_sel:DWORD
	s_andn2_b64 s[4:5], s[4:5], exec
	s_and_b64 s[8:9], s[8:9], exec
	s_or_b64 s[4:5], s[4:5], s[8:9]
	s_or_b64 exec, exec, s[6:7]
	s_and_saveexec_b64 s[6:7], s[4:5]
	s_cbranch_execnz .LBB15_1131
	s_branch .LBB15_1132
.LBB15_3181:
	s_movk_i32 s4, 0x80
	v_cmp_eq_u16_sdwa s[12:13], v11, s4 src0_sel:BYTE_0 src1_sel:DWORD
	s_mov_b64 s[4:5], -1
                                        ; implicit-def: $sgpr10
	s_and_saveexec_b64 s[8:9], s[12:13]
; %bb.3182:
	s_mov_b32 s10, 0x7f800001
	s_xor_b64 s[4:5], exec, -1
; %bb.3183:
	s_or_b64 exec, exec, s[8:9]
	s_and_b64 s[4:5], s[4:5], exec
	s_or_saveexec_b64 s[6:7], s[6:7]
	v_mov_b32_e32 v12, s10
	s_xor_b64 exec, exec, s[6:7]
	s_cbranch_execz .LBB15_1134
.LBB15_3184:
	v_mov_b32_e32 v12, 0
	v_cmp_ne_u16_sdwa s[8:9], v11, v12 src0_sel:BYTE_0 src1_sel:DWORD
	s_andn2_b64 s[4:5], s[4:5], exec
	s_and_b64 s[8:9], s[8:9], exec
	s_or_b64 s[4:5], s[4:5], s[8:9]
	s_or_b64 exec, exec, s[6:7]
	s_and_saveexec_b64 s[6:7], s[4:5]
	s_cbranch_execnz .LBB15_1135
	s_branch .LBB15_1136
.LBB15_3185:
	s_movk_i32 s4, 0x80
	v_cmp_eq_u16_e32 vcc, s4, v11
	s_mov_b64 s[4:5], -1
                                        ; implicit-def: $sgpr10
	s_and_saveexec_b64 s[8:9], vcc
; %bb.3186:
	s_mov_b32 s10, 0x7f800001
	s_xor_b64 s[4:5], exec, -1
; %bb.3187:
	s_or_b64 exec, exec, s[8:9]
	s_and_b64 s[4:5], s[4:5], exec
                                        ; implicit-def: $vgpr11
	s_or_saveexec_b64 s[6:7], s[6:7]
	v_mov_b32_e32 v10, s10
	s_xor_b64 exec, exec, s[6:7]
	s_cbranch_execz .LBB15_1138
.LBB15_3188:
	v_cmp_ne_u16_e32 vcc, 0, v11
	s_andn2_b64 s[4:5], s[4:5], exec
	s_and_b64 s[8:9], vcc, exec
	v_mov_b32_e32 v10, 0
	s_or_b64 s[4:5], s[4:5], s[8:9]
	s_or_b64 exec, exec, s[6:7]
	s_and_saveexec_b64 s[6:7], s[4:5]
	s_cbranch_execnz .LBB15_1139
	s_branch .LBB15_1140
.LBB15_3189:
	s_movk_i32 s4, 0x80
	v_cmp_eq_u16_e32 vcc, s4, v11
	s_mov_b64 s[4:5], -1
                                        ; implicit-def: $sgpr10
	s_and_saveexec_b64 s[8:9], vcc
; %bb.3190:
	s_mov_b32 s10, 0x7f800001
	s_xor_b64 s[4:5], exec, -1
; %bb.3191:
	s_or_b64 exec, exec, s[8:9]
	s_and_b64 s[4:5], s[4:5], exec
                                        ; implicit-def: $vgpr11
	s_or_saveexec_b64 s[6:7], s[6:7]
	v_mov_b32_e32 v12, s10
	s_xor_b64 exec, exec, s[6:7]
	s_cbranch_execz .LBB15_1142
.LBB15_3192:
	v_cmp_ne_u16_e32 vcc, 0, v11
	s_andn2_b64 s[4:5], s[4:5], exec
	s_and_b64 s[8:9], vcc, exec
	v_mov_b32_e32 v12, 0
	s_or_b64 s[4:5], s[4:5], s[8:9]
	s_or_b64 exec, exec, s[6:7]
	s_and_saveexec_b64 s[6:7], s[4:5]
	s_cbranch_execnz .LBB15_1143
	s_branch .LBB15_1144
.LBB15_3193:
	s_movk_i32 s4, 0x80
	v_cmp_eq_u16_sdwa s[12:13], v17, s4 src0_sel:BYTE_3 src1_sel:DWORD
	s_mov_b64 s[4:5], -1
                                        ; implicit-def: $sgpr10
	s_and_saveexec_b64 s[8:9], s[12:13]
; %bb.3194:
	s_mov_b32 s10, 0x7f800001
	s_xor_b64 s[4:5], exec, -1
; %bb.3195:
	s_or_b64 exec, exec, s[8:9]
	s_and_b64 s[4:5], s[4:5], exec
	s_or_saveexec_b64 s[6:7], s[6:7]
	v_mov_b32_e32 v10, s10
	s_xor_b64 exec, exec, s[6:7]
	s_cbranch_execz .LBB15_1146
.LBB15_3196:
	v_mov_b32_e32 v10, 0
	v_cmp_ne_u16_sdwa s[8:9], v17, v10 src0_sel:BYTE_3 src1_sel:DWORD
	s_andn2_b64 s[4:5], s[4:5], exec
	s_and_b64 s[8:9], s[8:9], exec
	s_or_b64 s[4:5], s[4:5], s[8:9]
	s_or_b64 exec, exec, s[6:7]
	s_and_saveexec_b64 s[6:7], s[4:5]
	s_cbranch_execnz .LBB15_1147
	s_branch .LBB15_1148
.LBB15_3197:
	s_movk_i32 s4, 0x80
	v_cmp_eq_u16_sdwa s[12:13], v13, s4 src0_sel:BYTE_3 src1_sel:DWORD
	s_mov_b64 s[4:5], -1
                                        ; implicit-def: $sgpr10
	s_and_saveexec_b64 s[8:9], s[12:13]
; %bb.3198:
	s_mov_b32 s10, 0x7f800001
	s_xor_b64 s[4:5], exec, -1
; %bb.3199:
	s_or_b64 exec, exec, s[8:9]
	s_and_b64 s[4:5], s[4:5], exec
	s_or_saveexec_b64 s[6:7], s[6:7]
	v_mov_b32_e32 v11, s10
	s_xor_b64 exec, exec, s[6:7]
	s_cbranch_execz .LBB15_1150
.LBB15_3200:
	v_mov_b32_e32 v11, 0
	v_cmp_ne_u16_sdwa s[8:9], v13, v11 src0_sel:BYTE_3 src1_sel:DWORD
	s_andn2_b64 s[4:5], s[4:5], exec
	s_and_b64 s[8:9], s[8:9], exec
	s_or_b64 s[4:5], s[4:5], s[8:9]
	s_or_b64 exec, exec, s[6:7]
	s_and_saveexec_b64 s[6:7], s[4:5]
	s_cbranch_execnz .LBB15_1151
	s_branch .LBB15_1152
.LBB15_3201:
	s_movk_i32 s4, 0x80
	v_cmp_eq_u16_sdwa s[12:13], v6, s4 src0_sel:BYTE_0 src1_sel:DWORD
	s_mov_b64 s[4:5], -1
                                        ; implicit-def: $sgpr10
	s_and_saveexec_b64 s[8:9], s[12:13]
; %bb.3202:
	s_mov_b32 s10, 0x7f800001
	s_xor_b64 s[4:5], exec, -1
; %bb.3203:
	s_or_b64 exec, exec, s[8:9]
	s_and_b64 s[4:5], s[4:5], exec
	s_or_saveexec_b64 s[6:7], s[6:7]
	v_mov_b32_e32 v10, s10
	s_xor_b64 exec, exec, s[6:7]
	s_cbranch_execz .LBB15_1154
.LBB15_3204:
	v_mov_b32_e32 v10, 0
	v_cmp_ne_u16_sdwa s[8:9], v6, v10 src0_sel:BYTE_0 src1_sel:DWORD
	s_andn2_b64 s[4:5], s[4:5], exec
	s_and_b64 s[8:9], s[8:9], exec
	s_or_b64 s[4:5], s[4:5], s[8:9]
	s_or_b64 exec, exec, s[6:7]
	s_and_saveexec_b64 s[6:7], s[4:5]
	s_cbranch_execnz .LBB15_1155
	s_branch .LBB15_1156
.LBB15_3205:
	s_movk_i32 s4, 0x80
	v_cmp_eq_u16_sdwa s[12:13], v2, s4 src0_sel:BYTE_0 src1_sel:DWORD
	s_mov_b64 s[4:5], -1
                                        ; implicit-def: $sgpr10
	s_and_saveexec_b64 s[8:9], s[12:13]
; %bb.3206:
	s_mov_b32 s10, 0x7f800001
	s_xor_b64 s[4:5], exec, -1
; %bb.3207:
	s_or_b64 exec, exec, s[8:9]
	s_and_b64 s[4:5], s[4:5], exec
	s_or_saveexec_b64 s[6:7], s[6:7]
	v_mov_b32_e32 v11, s10
	s_xor_b64 exec, exec, s[6:7]
	s_cbranch_execz .LBB15_1158
.LBB15_3208:
	v_mov_b32_e32 v11, 0
	v_cmp_ne_u16_sdwa s[8:9], v2, v11 src0_sel:BYTE_0 src1_sel:DWORD
	s_andn2_b64 s[4:5], s[4:5], exec
	s_and_b64 s[8:9], s[8:9], exec
	s_or_b64 s[4:5], s[4:5], s[8:9]
	s_or_b64 exec, exec, s[6:7]
	s_and_saveexec_b64 s[6:7], s[4:5]
	s_cbranch_execnz .LBB15_1159
	s_branch .LBB15_1160
.LBB15_3209:
	s_movk_i32 s4, 0x80
	v_cmp_eq_u16_sdwa s[12:13], v11, s4 src0_sel:BYTE_0 src1_sel:DWORD
	s_mov_b64 s[4:5], -1
                                        ; implicit-def: $sgpr10
	s_and_saveexec_b64 s[8:9], s[12:13]
; %bb.3210:
	s_mov_b32 s10, 0x7f800001
	s_xor_b64 s[4:5], exec, -1
; %bb.3211:
	s_or_b64 exec, exec, s[8:9]
	s_and_b64 s[4:5], s[4:5], exec
	s_or_saveexec_b64 s[6:7], s[6:7]
	v_mov_b32_e32 v10, s10
	s_xor_b64 exec, exec, s[6:7]
	s_cbranch_execz .LBB15_1162
.LBB15_3212:
	v_mov_b32_e32 v10, 0
	v_cmp_ne_u16_sdwa s[8:9], v11, v10 src0_sel:BYTE_0 src1_sel:DWORD
	s_andn2_b64 s[4:5], s[4:5], exec
	s_and_b64 s[8:9], s[8:9], exec
	s_or_b64 s[4:5], s[4:5], s[8:9]
	s_or_b64 exec, exec, s[6:7]
	s_and_saveexec_b64 s[6:7], s[4:5]
	s_cbranch_execnz .LBB15_1163
	s_branch .LBB15_1164
.LBB15_3213:
	s_movk_i32 s4, 0x80
	v_cmp_eq_u16_sdwa s[12:13], v11, s4 src0_sel:BYTE_0 src1_sel:DWORD
	s_mov_b64 s[4:5], -1
                                        ; implicit-def: $sgpr10
	s_and_saveexec_b64 s[8:9], s[12:13]
; %bb.3214:
	s_mov_b32 s10, 0x7f800001
	s_xor_b64 s[4:5], exec, -1
; %bb.3215:
	s_or_b64 exec, exec, s[8:9]
	s_and_b64 s[4:5], s[4:5], exec
	s_or_saveexec_b64 s[6:7], s[6:7]
	v_mov_b32_e32 v12, s10
	s_xor_b64 exec, exec, s[6:7]
	s_cbranch_execz .LBB15_1166
.LBB15_3216:
	v_mov_b32_e32 v12, 0
	v_cmp_ne_u16_sdwa s[8:9], v11, v12 src0_sel:BYTE_0 src1_sel:DWORD
	s_andn2_b64 s[4:5], s[4:5], exec
	s_and_b64 s[8:9], s[8:9], exec
	s_or_b64 s[4:5], s[4:5], s[8:9]
	s_or_b64 exec, exec, s[6:7]
	s_and_saveexec_b64 s[6:7], s[4:5]
	s_cbranch_execnz .LBB15_1167
	s_branch .LBB15_1168
.LBB15_3217:
	s_movk_i32 s4, 0x80
	v_cmp_eq_u16_e32 vcc, s4, v11
	s_mov_b64 s[4:5], -1
                                        ; implicit-def: $sgpr10
	s_and_saveexec_b64 s[8:9], vcc
; %bb.3218:
	s_mov_b32 s10, 0x7f800001
	s_xor_b64 s[4:5], exec, -1
; %bb.3219:
	s_or_b64 exec, exec, s[8:9]
	s_and_b64 s[4:5], s[4:5], exec
                                        ; implicit-def: $vgpr11
	s_or_saveexec_b64 s[6:7], s[6:7]
	v_mov_b32_e32 v10, s10
	s_xor_b64 exec, exec, s[6:7]
	s_cbranch_execz .LBB15_1170
.LBB15_3220:
	v_cmp_ne_u16_e32 vcc, 0, v11
	s_andn2_b64 s[4:5], s[4:5], exec
	s_and_b64 s[8:9], vcc, exec
	v_mov_b32_e32 v10, 0
	s_or_b64 s[4:5], s[4:5], s[8:9]
	s_or_b64 exec, exec, s[6:7]
	s_and_saveexec_b64 s[6:7], s[4:5]
	s_cbranch_execnz .LBB15_1171
	s_branch .LBB15_1172
.LBB15_3221:
	s_movk_i32 s4, 0x80
	v_cmp_eq_u16_e32 vcc, s4, v11
	s_mov_b64 s[4:5], -1
                                        ; implicit-def: $sgpr10
	s_and_saveexec_b64 s[8:9], vcc
; %bb.3222:
	s_mov_b32 s10, 0x7f800001
	s_xor_b64 s[4:5], exec, -1
; %bb.3223:
	s_or_b64 exec, exec, s[8:9]
	s_and_b64 s[4:5], s[4:5], exec
                                        ; implicit-def: $vgpr11
	s_or_saveexec_b64 s[6:7], s[6:7]
	v_mov_b32_e32 v12, s10
	s_xor_b64 exec, exec, s[6:7]
	s_cbranch_execz .LBB15_1174
.LBB15_3224:
	v_cmp_ne_u16_e32 vcc, 0, v11
	s_andn2_b64 s[4:5], s[4:5], exec
	s_and_b64 s[8:9], vcc, exec
	v_mov_b32_e32 v12, 0
	s_or_b64 s[4:5], s[4:5], s[8:9]
	s_or_b64 exec, exec, s[6:7]
	s_and_saveexec_b64 s[6:7], s[4:5]
	s_cbranch_execnz .LBB15_1175
	s_branch .LBB15_1176
.LBB15_3225:
	s_movk_i32 s4, 0x80
	v_cmp_eq_u16_sdwa s[12:13], v6, s4 src0_sel:BYTE_3 src1_sel:DWORD
	s_mov_b64 s[4:5], -1
                                        ; implicit-def: $sgpr10
	s_and_saveexec_b64 s[8:9], s[12:13]
; %bb.3226:
	s_mov_b32 s10, 0x7f800001
	s_xor_b64 s[4:5], exec, -1
; %bb.3227:
	s_or_b64 exec, exec, s[8:9]
	s_and_b64 s[4:5], s[4:5], exec
	s_or_saveexec_b64 s[6:7], s[6:7]
	v_mov_b32_e32 v10, s10
	s_xor_b64 exec, exec, s[6:7]
	s_cbranch_execz .LBB15_1178
.LBB15_3228:
	v_mov_b32_e32 v10, 0
	v_cmp_ne_u16_sdwa s[8:9], v6, v10 src0_sel:BYTE_3 src1_sel:DWORD
	s_andn2_b64 s[4:5], s[4:5], exec
	s_and_b64 s[8:9], s[8:9], exec
	s_or_b64 s[4:5], s[4:5], s[8:9]
	s_or_b64 exec, exec, s[6:7]
	s_and_saveexec_b64 s[6:7], s[4:5]
	s_cbranch_execnz .LBB15_1179
	s_branch .LBB15_1180
.LBB15_3229:
	s_movk_i32 s4, 0x80
	v_cmp_eq_u16_sdwa s[12:13], v2, s4 src0_sel:BYTE_3 src1_sel:DWORD
	s_mov_b64 s[4:5], -1
                                        ; implicit-def: $sgpr10
	s_and_saveexec_b64 s[8:9], s[12:13]
; %bb.3230:
	s_mov_b32 s10, 0x7f800001
	s_xor_b64 s[4:5], exec, -1
; %bb.3231:
	s_or_b64 exec, exec, s[8:9]
	s_and_b64 s[4:5], s[4:5], exec
	s_or_saveexec_b64 s[6:7], s[6:7]
	v_mov_b32_e32 v6, s10
	s_xor_b64 exec, exec, s[6:7]
	s_cbranch_execz .LBB15_1182
.LBB15_3232:
	v_mov_b32_e32 v6, 0
	v_cmp_ne_u16_sdwa s[8:9], v2, v6 src0_sel:BYTE_3 src1_sel:DWORD
	s_andn2_b64 s[4:5], s[4:5], exec
	s_and_b64 s[8:9], s[8:9], exec
	s_or_b64 s[4:5], s[4:5], s[8:9]
	s_or_b64 exec, exec, s[6:7]
	s_and_saveexec_b64 s[6:7], s[4:5]
	s_cbranch_execnz .LBB15_1183
	s_branch .LBB15_1184
.LBB15_3233:
	s_movk_i32 s4, 0x80
	v_cmp_eq_u16_sdwa s[12:13], v7, s4 src0_sel:BYTE_0 src1_sel:DWORD
	s_mov_b64 s[4:5], -1
                                        ; implicit-def: $sgpr10
	s_and_saveexec_b64 s[8:9], s[12:13]
; %bb.3234:
	s_mov_b32 s10, 0x7f800001
	s_xor_b64 s[4:5], exec, -1
; %bb.3235:
	s_or_b64 exec, exec, s[8:9]
	s_and_b64 s[4:5], s[4:5], exec
	s_or_saveexec_b64 s[6:7], s[6:7]
	v_mov_b32_e32 v2, s10
	s_xor_b64 exec, exec, s[6:7]
	s_cbranch_execz .LBB15_1186
.LBB15_3236:
	v_mov_b32_e32 v2, 0
	v_cmp_ne_u16_sdwa s[8:9], v7, v2 src0_sel:BYTE_0 src1_sel:DWORD
	s_andn2_b64 s[4:5], s[4:5], exec
	s_and_b64 s[8:9], s[8:9], exec
	s_or_b64 s[4:5], s[4:5], s[8:9]
	s_or_b64 exec, exec, s[6:7]
	s_and_saveexec_b64 s[6:7], s[4:5]
	s_cbranch_execnz .LBB15_1187
	s_branch .LBB15_1188
.LBB15_3237:
	s_movk_i32 s4, 0x80
	v_cmp_eq_u16_sdwa s[12:13], v3, s4 src0_sel:BYTE_0 src1_sel:DWORD
	s_mov_b64 s[4:5], -1
                                        ; implicit-def: $sgpr10
	s_and_saveexec_b64 s[8:9], s[12:13]
; %bb.3238:
	s_mov_b32 s10, 0x7f800001
	s_xor_b64 s[4:5], exec, -1
; %bb.3239:
	s_or_b64 exec, exec, s[8:9]
	s_and_b64 s[4:5], s[4:5], exec
	s_or_saveexec_b64 s[6:7], s[6:7]
	v_mov_b32_e32 v6, s10
	s_xor_b64 exec, exec, s[6:7]
	s_cbranch_execz .LBB15_1190
.LBB15_3240:
	v_mov_b32_e32 v6, 0
	v_cmp_ne_u16_sdwa s[8:9], v3, v6 src0_sel:BYTE_0 src1_sel:DWORD
	s_andn2_b64 s[4:5], s[4:5], exec
	s_and_b64 s[8:9], s[8:9], exec
	s_or_b64 s[4:5], s[4:5], s[8:9]
	s_or_b64 exec, exec, s[6:7]
	s_and_saveexec_b64 s[6:7], s[4:5]
	s_cbranch_execnz .LBB15_1191
	s_branch .LBB15_1192
.LBB15_3241:
	s_movk_i32 s4, 0x80
	v_cmp_eq_u16_sdwa s[12:13], v6, s4 src0_sel:BYTE_0 src1_sel:DWORD
	s_mov_b64 s[4:5], -1
                                        ; implicit-def: $sgpr10
	s_and_saveexec_b64 s[8:9], s[12:13]
; %bb.3242:
	s_mov_b32 s10, 0x7f800001
	s_xor_b64 s[4:5], exec, -1
; %bb.3243:
	s_or_b64 exec, exec, s[8:9]
	s_and_b64 s[4:5], s[4:5], exec
	s_or_saveexec_b64 s[6:7], s[6:7]
	v_mov_b32_e32 v2, s10
	s_xor_b64 exec, exec, s[6:7]
	s_cbranch_execz .LBB15_1194
.LBB15_3244:
	v_mov_b32_e32 v2, 0
	v_cmp_ne_u16_sdwa s[8:9], v6, v2 src0_sel:BYTE_0 src1_sel:DWORD
	s_andn2_b64 s[4:5], s[4:5], exec
	s_and_b64 s[8:9], s[8:9], exec
	s_or_b64 s[4:5], s[4:5], s[8:9]
	s_or_b64 exec, exec, s[6:7]
	s_and_saveexec_b64 s[6:7], s[4:5]
	s_cbranch_execnz .LBB15_1195
	s_branch .LBB15_1196
.LBB15_3245:
	s_movk_i32 s4, 0x80
	v_cmp_eq_u16_sdwa s[12:13], v6, s4 src0_sel:BYTE_0 src1_sel:DWORD
	s_mov_b64 s[4:5], -1
                                        ; implicit-def: $sgpr10
	s_and_saveexec_b64 s[8:9], s[12:13]
; %bb.3246:
	s_mov_b32 s10, 0x7f800001
	s_xor_b64 s[4:5], exec, -1
; %bb.3247:
	s_or_b64 exec, exec, s[8:9]
	s_and_b64 s[4:5], s[4:5], exec
	s_or_saveexec_b64 s[6:7], s[6:7]
	v_mov_b32_e32 v10, s10
	s_xor_b64 exec, exec, s[6:7]
	s_cbranch_execz .LBB15_1198
.LBB15_3248:
	v_mov_b32_e32 v10, 0
	v_cmp_ne_u16_sdwa s[8:9], v6, v10 src0_sel:BYTE_0 src1_sel:DWORD
	s_andn2_b64 s[4:5], s[4:5], exec
	s_and_b64 s[8:9], s[8:9], exec
	s_or_b64 s[4:5], s[4:5], s[8:9]
	s_or_b64 exec, exec, s[6:7]
	s_and_saveexec_b64 s[6:7], s[4:5]
	s_cbranch_execnz .LBB15_1199
	s_branch .LBB15_1200
.LBB15_3249:
	s_movk_i32 s4, 0x80
	v_cmp_eq_u16_e32 vcc, s4, v6
	s_mov_b64 s[4:5], -1
                                        ; implicit-def: $sgpr10
	s_and_saveexec_b64 s[8:9], vcc
; %bb.3250:
	s_mov_b32 s10, 0x7f800001
	s_xor_b64 s[4:5], exec, -1
; %bb.3251:
	s_or_b64 exec, exec, s[8:9]
	s_and_b64 s[4:5], s[4:5], exec
                                        ; implicit-def: $vgpr6
	s_or_saveexec_b64 s[6:7], s[6:7]
	v_mov_b32_e32 v2, s10
	s_xor_b64 exec, exec, s[6:7]
	s_cbranch_execz .LBB15_1202
.LBB15_3252:
	v_cmp_ne_u16_e32 vcc, 0, v6
	s_andn2_b64 s[4:5], s[4:5], exec
	s_and_b64 s[8:9], vcc, exec
	v_mov_b32_e32 v2, 0
	s_or_b64 s[4:5], s[4:5], s[8:9]
	s_or_b64 exec, exec, s[6:7]
	s_and_saveexec_b64 s[6:7], s[4:5]
	s_cbranch_execnz .LBB15_1203
	s_branch .LBB15_1204
.LBB15_3253:
	s_movk_i32 s4, 0x80
	v_cmp_eq_u16_e32 vcc, s4, v6
	s_mov_b64 s[4:5], -1
                                        ; implicit-def: $sgpr10
	s_and_saveexec_b64 s[8:9], vcc
; %bb.3254:
	s_mov_b32 s10, 0x7f800001
	s_xor_b64 s[4:5], exec, -1
; %bb.3255:
	s_or_b64 exec, exec, s[8:9]
	s_and_b64 s[4:5], s[4:5], exec
                                        ; implicit-def: $vgpr6
	s_or_saveexec_b64 s[6:7], s[6:7]
	v_mov_b32_e32 v10, s10
	s_xor_b64 exec, exec, s[6:7]
	s_cbranch_execz .LBB15_1206
.LBB15_3256:
	v_cmp_ne_u16_e32 vcc, 0, v6
	s_andn2_b64 s[4:5], s[4:5], exec
	s_and_b64 s[8:9], vcc, exec
	v_mov_b32_e32 v10, 0
	s_or_b64 s[4:5], s[4:5], s[8:9]
	s_or_b64 exec, exec, s[6:7]
	s_and_saveexec_b64 s[6:7], s[4:5]
	s_cbranch_execnz .LBB15_1207
	s_branch .LBB15_1208
.LBB15_3257:
	s_movk_i32 s4, 0x80
	v_cmp_eq_u16_sdwa s[12:13], v7, s4 src0_sel:BYTE_3 src1_sel:DWORD
	s_mov_b64 s[4:5], -1
                                        ; implicit-def: $sgpr10
	s_and_saveexec_b64 s[8:9], s[12:13]
; %bb.3258:
	s_mov_b32 s10, 0x7f800001
	s_xor_b64 s[4:5], exec, -1
; %bb.3259:
	s_or_b64 exec, exec, s[8:9]
	s_and_b64 s[4:5], s[4:5], exec
	s_or_saveexec_b64 s[6:7], s[6:7]
	v_mov_b32_e32 v2, s10
	s_xor_b64 exec, exec, s[6:7]
	s_cbranch_execz .LBB15_1210
.LBB15_3260:
	v_mov_b32_e32 v2, 0
	v_cmp_ne_u16_sdwa s[8:9], v7, v2 src0_sel:BYTE_3 src1_sel:DWORD
	s_andn2_b64 s[4:5], s[4:5], exec
	s_and_b64 s[8:9], s[8:9], exec
	s_or_b64 s[4:5], s[4:5], s[8:9]
	s_or_b64 exec, exec, s[6:7]
	s_and_saveexec_b64 s[6:7], s[4:5]
	s_cbranch_execnz .LBB15_1211
	s_branch .LBB15_1212
.LBB15_3261:
	s_movk_i32 s4, 0x80
	v_cmp_eq_u16_sdwa s[12:13], v3, s4 src0_sel:BYTE_3 src1_sel:DWORD
	s_mov_b64 s[4:5], -1
                                        ; implicit-def: $sgpr10
	s_and_saveexec_b64 s[8:9], s[12:13]
; %bb.3262:
	s_mov_b32 s10, 0x7f800001
	s_xor_b64 s[4:5], exec, -1
; %bb.3263:
	s_or_b64 exec, exec, s[8:9]
	s_and_b64 s[4:5], s[4:5], exec
	s_or_saveexec_b64 s[6:7], s[6:7]
	v_mov_b32_e32 v6, s10
	s_xor_b64 exec, exec, s[6:7]
	s_cbranch_execz .LBB15_1214
.LBB15_3264:
	v_mov_b32_e32 v6, 0
	v_cmp_ne_u16_sdwa s[8:9], v3, v6 src0_sel:BYTE_3 src1_sel:DWORD
	s_andn2_b64 s[4:5], s[4:5], exec
	s_and_b64 s[8:9], s[8:9], exec
	s_or_b64 s[4:5], s[4:5], s[8:9]
	s_or_b64 exec, exec, s[6:7]
	s_and_saveexec_b64 s[6:7], s[4:5]
	s_cbranch_execnz .LBB15_1215
	s_branch .LBB15_1216
.LBB15_3265:
	s_movk_i32 s4, 0x80
	v_cmp_eq_u16_sdwa s[12:13], v8, s4 src0_sel:BYTE_0 src1_sel:DWORD
	s_mov_b64 s[4:5], -1
                                        ; implicit-def: $sgpr10
	s_and_saveexec_b64 s[8:9], s[12:13]
; %bb.3266:
	s_mov_b32 s10, 0x7f800001
	s_xor_b64 s[4:5], exec, -1
; %bb.3267:
	s_or_b64 exec, exec, s[8:9]
	s_and_b64 s[4:5], s[4:5], exec
	s_or_saveexec_b64 s[6:7], s[6:7]
	v_mov_b32_e32 v2, s10
	s_xor_b64 exec, exec, s[6:7]
	s_cbranch_execz .LBB15_1218
.LBB15_3268:
	v_mov_b32_e32 v2, 0
	v_cmp_ne_u16_sdwa s[8:9], v8, v2 src0_sel:BYTE_0 src1_sel:DWORD
	s_andn2_b64 s[4:5], s[4:5], exec
	s_and_b64 s[8:9], s[8:9], exec
	s_or_b64 s[4:5], s[4:5], s[8:9]
	s_or_b64 exec, exec, s[6:7]
	s_and_saveexec_b64 s[6:7], s[4:5]
	s_cbranch_execnz .LBB15_1219
	s_branch .LBB15_1220
.LBB15_3269:
	s_movk_i32 s4, 0x80
	v_cmp_eq_u16_sdwa s[12:13], v4, s4 src0_sel:BYTE_0 src1_sel:DWORD
	s_mov_b64 s[4:5], -1
                                        ; implicit-def: $sgpr10
	s_and_saveexec_b64 s[8:9], s[12:13]
; %bb.3270:
	s_mov_b32 s10, 0x7f800001
	s_xor_b64 s[4:5], exec, -1
; %bb.3271:
	s_or_b64 exec, exec, s[8:9]
	s_and_b64 s[4:5], s[4:5], exec
	s_or_saveexec_b64 s[6:7], s[6:7]
	v_mov_b32_e32 v3, s10
	s_xor_b64 exec, exec, s[6:7]
	s_cbranch_execz .LBB15_1222
.LBB15_3272:
	v_mov_b32_e32 v3, 0
	v_cmp_ne_u16_sdwa s[8:9], v4, v3 src0_sel:BYTE_0 src1_sel:DWORD
	s_andn2_b64 s[4:5], s[4:5], exec
	s_and_b64 s[8:9], s[8:9], exec
	s_or_b64 s[4:5], s[4:5], s[8:9]
	s_or_b64 exec, exec, s[6:7]
	s_and_saveexec_b64 s[6:7], s[4:5]
	s_cbranch_execnz .LBB15_1223
	s_branch .LBB15_1224
.LBB15_3273:
	s_movk_i32 s4, 0x80
	v_cmp_eq_u16_sdwa s[12:13], v3, s4 src0_sel:BYTE_0 src1_sel:DWORD
	s_mov_b64 s[4:5], -1
                                        ; implicit-def: $sgpr10
	s_and_saveexec_b64 s[8:9], s[12:13]
; %bb.3274:
	s_mov_b32 s10, 0x7f800001
	s_xor_b64 s[4:5], exec, -1
; %bb.3275:
	s_or_b64 exec, exec, s[8:9]
	s_and_b64 s[4:5], s[4:5], exec
	s_or_saveexec_b64 s[6:7], s[6:7]
	v_mov_b32_e32 v2, s10
	s_xor_b64 exec, exec, s[6:7]
	s_cbranch_execz .LBB15_1226
.LBB15_3276:
	v_mov_b32_e32 v2, 0
	v_cmp_ne_u16_sdwa s[8:9], v3, v2 src0_sel:BYTE_0 src1_sel:DWORD
	s_andn2_b64 s[4:5], s[4:5], exec
	s_and_b64 s[8:9], s[8:9], exec
	s_or_b64 s[4:5], s[4:5], s[8:9]
	s_or_b64 exec, exec, s[6:7]
	s_and_saveexec_b64 s[6:7], s[4:5]
	s_cbranch_execnz .LBB15_1227
	s_branch .LBB15_1228
.LBB15_3277:
	s_movk_i32 s4, 0x80
	v_cmp_eq_u16_sdwa s[12:13], v3, s4 src0_sel:BYTE_0 src1_sel:DWORD
	s_mov_b64 s[4:5], -1
                                        ; implicit-def: $sgpr10
	s_and_saveexec_b64 s[8:9], s[12:13]
; %bb.3278:
	s_mov_b32 s10, 0x7f800001
	s_xor_b64 s[4:5], exec, -1
; %bb.3279:
	s_or_b64 exec, exec, s[8:9]
	s_and_b64 s[4:5], s[4:5], exec
	s_or_saveexec_b64 s[6:7], s[6:7]
	v_mov_b32_e32 v6, s10
	s_xor_b64 exec, exec, s[6:7]
	s_cbranch_execz .LBB15_1230
.LBB15_3280:
	v_mov_b32_e32 v6, 0
	v_cmp_ne_u16_sdwa s[8:9], v3, v6 src0_sel:BYTE_0 src1_sel:DWORD
	s_andn2_b64 s[4:5], s[4:5], exec
	s_and_b64 s[8:9], s[8:9], exec
	s_or_b64 s[4:5], s[4:5], s[8:9]
	s_or_b64 exec, exec, s[6:7]
	s_and_saveexec_b64 s[6:7], s[4:5]
	s_cbranch_execnz .LBB15_1231
	s_branch .LBB15_1232
.LBB15_3281:
	s_movk_i32 s4, 0x80
	v_cmp_eq_u16_e32 vcc, s4, v3
	s_mov_b64 s[4:5], -1
                                        ; implicit-def: $sgpr10
	s_and_saveexec_b64 s[8:9], vcc
; %bb.3282:
	s_mov_b32 s10, 0x7f800001
	s_xor_b64 s[4:5], exec, -1
; %bb.3283:
	s_or_b64 exec, exec, s[8:9]
	s_and_b64 s[4:5], s[4:5], exec
                                        ; implicit-def: $vgpr3
	s_or_saveexec_b64 s[6:7], s[6:7]
	v_mov_b32_e32 v2, s10
	s_xor_b64 exec, exec, s[6:7]
	s_cbranch_execz .LBB15_1234
.LBB15_3284:
	v_cmp_ne_u16_e32 vcc, 0, v3
	s_andn2_b64 s[4:5], s[4:5], exec
	s_and_b64 s[8:9], vcc, exec
	v_mov_b32_e32 v2, 0
	s_or_b64 s[4:5], s[4:5], s[8:9]
	s_or_b64 exec, exec, s[6:7]
	s_and_saveexec_b64 s[6:7], s[4:5]
	s_cbranch_execnz .LBB15_1235
	s_branch .LBB15_1236
.LBB15_3285:
	s_movk_i32 s4, 0x80
	v_cmp_eq_u16_e32 vcc, s4, v3
	s_mov_b64 s[4:5], -1
                                        ; implicit-def: $sgpr10
	s_and_saveexec_b64 s[8:9], vcc
; %bb.3286:
	s_mov_b32 s10, 0x7f800001
	s_xor_b64 s[4:5], exec, -1
; %bb.3287:
	s_or_b64 exec, exec, s[8:9]
	s_and_b64 s[4:5], s[4:5], exec
                                        ; implicit-def: $vgpr3
	s_or_saveexec_b64 s[6:7], s[6:7]
	v_mov_b32_e32 v6, s10
	s_xor_b64 exec, exec, s[6:7]
	s_cbranch_execz .LBB15_1238
.LBB15_3288:
	v_cmp_ne_u16_e32 vcc, 0, v3
	s_andn2_b64 s[4:5], s[4:5], exec
	s_and_b64 s[8:9], vcc, exec
	v_mov_b32_e32 v6, 0
	s_or_b64 s[4:5], s[4:5], s[8:9]
	s_or_b64 exec, exec, s[6:7]
	s_and_saveexec_b64 s[6:7], s[4:5]
	s_cbranch_execnz .LBB15_1239
	s_branch .LBB15_1240
.LBB15_3289:
	s_movk_i32 s4, 0x80
	v_cmp_eq_u16_sdwa s[12:13], v8, s4 src0_sel:BYTE_3 src1_sel:DWORD
	s_mov_b64 s[4:5], -1
                                        ; implicit-def: $sgpr10
	s_and_saveexec_b64 s[8:9], s[12:13]
; %bb.3290:
	s_mov_b32 s10, 0x7f800001
	s_xor_b64 s[4:5], exec, -1
; %bb.3291:
	s_or_b64 exec, exec, s[8:9]
	s_and_b64 s[4:5], s[4:5], exec
	s_or_saveexec_b64 s[6:7], s[6:7]
	v_mov_b32_e32 v2, s10
	s_xor_b64 exec, exec, s[6:7]
	s_cbranch_execz .LBB15_1242
.LBB15_3292:
	v_mov_b32_e32 v2, 0
	v_cmp_ne_u16_sdwa s[8:9], v8, v2 src0_sel:BYTE_3 src1_sel:DWORD
	s_andn2_b64 s[4:5], s[4:5], exec
	s_and_b64 s[8:9], s[8:9], exec
	s_or_b64 s[4:5], s[4:5], s[8:9]
	s_or_b64 exec, exec, s[6:7]
	s_and_saveexec_b64 s[6:7], s[4:5]
	s_cbranch_execnz .LBB15_1243
	s_branch .LBB15_1244
.LBB15_3293:
	s_movk_i32 s4, 0x80
	v_cmp_eq_u16_sdwa s[12:13], v4, s4 src0_sel:BYTE_3 src1_sel:DWORD
	s_mov_b64 s[4:5], -1
                                        ; implicit-def: $sgpr10
	s_and_saveexec_b64 s[8:9], s[12:13]
; %bb.3294:
	s_mov_b32 s10, 0x7f800001
	s_xor_b64 s[4:5], exec, -1
; %bb.3295:
	s_or_b64 exec, exec, s[8:9]
	s_and_b64 s[4:5], s[4:5], exec
	s_or_saveexec_b64 s[6:7], s[6:7]
	v_mov_b32_e32 v3, s10
	s_xor_b64 exec, exec, s[6:7]
	s_cbranch_execz .LBB15_1246
.LBB15_3296:
	v_mov_b32_e32 v3, 0
	v_cmp_ne_u16_sdwa s[8:9], v4, v3 src0_sel:BYTE_3 src1_sel:DWORD
	s_andn2_b64 s[4:5], s[4:5], exec
	s_and_b64 s[8:9], s[8:9], exec
	s_or_b64 s[4:5], s[4:5], s[8:9]
	s_or_b64 exec, exec, s[6:7]
	s_and_saveexec_b64 s[6:7], s[4:5]
	s_cbranch_execnz .LBB15_1247
	s_branch .LBB15_1248
.LBB15_3297:
	s_movk_i32 s4, 0x80
	v_cmp_eq_u16_sdwa s[12:13], v9, s4 src0_sel:BYTE_0 src1_sel:DWORD
	s_mov_b64 s[4:5], -1
                                        ; implicit-def: $sgpr10
	s_and_saveexec_b64 s[8:9], s[12:13]
; %bb.3298:
	s_mov_b32 s10, 0x7f800001
	s_xor_b64 s[4:5], exec, -1
; %bb.3299:
	s_or_b64 exec, exec, s[8:9]
	s_and_b64 s[4:5], s[4:5], exec
	s_or_saveexec_b64 s[6:7], s[6:7]
	v_mov_b32_e32 v2, s10
	s_xor_b64 exec, exec, s[6:7]
	s_cbranch_execz .LBB15_1250
.LBB15_3300:
	v_mov_b32_e32 v2, 0
	v_cmp_ne_u16_sdwa s[8:9], v9, v2 src0_sel:BYTE_0 src1_sel:DWORD
	s_andn2_b64 s[4:5], s[4:5], exec
	s_and_b64 s[8:9], s[8:9], exec
	s_or_b64 s[4:5], s[4:5], s[8:9]
	s_or_b64 exec, exec, s[6:7]
	s_and_saveexec_b64 s[6:7], s[4:5]
	s_cbranch_execnz .LBB15_1251
	s_branch .LBB15_1252
.LBB15_3301:
	s_movk_i32 s4, 0x80
	v_cmp_eq_u16_sdwa s[12:13], v5, s4 src0_sel:BYTE_0 src1_sel:DWORD
	s_mov_b64 s[4:5], -1
                                        ; implicit-def: $sgpr10
	s_and_saveexec_b64 s[8:9], s[12:13]
; %bb.3302:
	s_mov_b32 s10, 0x7f800001
	s_xor_b64 s[4:5], exec, -1
; %bb.3303:
	s_or_b64 exec, exec, s[8:9]
	s_and_b64 s[4:5], s[4:5], exec
	s_or_saveexec_b64 s[6:7], s[6:7]
	v_mov_b32_e32 v3, s10
	s_xor_b64 exec, exec, s[6:7]
	s_cbranch_execz .LBB15_1254
.LBB15_3304:
	v_mov_b32_e32 v3, 0
	v_cmp_ne_u16_sdwa s[8:9], v5, v3 src0_sel:BYTE_0 src1_sel:DWORD
	s_andn2_b64 s[4:5], s[4:5], exec
	s_and_b64 s[8:9], s[8:9], exec
	s_or_b64 s[4:5], s[4:5], s[8:9]
	s_or_b64 exec, exec, s[6:7]
	s_and_saveexec_b64 s[6:7], s[4:5]
	s_cbranch_execnz .LBB15_1255
	s_branch .LBB15_1256
.LBB15_3305:
	s_movk_i32 s4, 0x80
	v_cmp_eq_u16_sdwa s[12:13], v3, s4 src0_sel:BYTE_0 src1_sel:DWORD
	s_mov_b64 s[4:5], -1
                                        ; implicit-def: $sgpr10
	s_and_saveexec_b64 s[8:9], s[12:13]
; %bb.3306:
	s_mov_b32 s10, 0x7f800001
	s_xor_b64 s[4:5], exec, -1
; %bb.3307:
	s_or_b64 exec, exec, s[8:9]
	s_and_b64 s[4:5], s[4:5], exec
	s_or_saveexec_b64 s[6:7], s[6:7]
	v_mov_b32_e32 v2, s10
	s_xor_b64 exec, exec, s[6:7]
	s_cbranch_execz .LBB15_1258
.LBB15_3308:
	v_mov_b32_e32 v2, 0
	v_cmp_ne_u16_sdwa s[8:9], v3, v2 src0_sel:BYTE_0 src1_sel:DWORD
	s_andn2_b64 s[4:5], s[4:5], exec
	s_and_b64 s[8:9], s[8:9], exec
	s_or_b64 s[4:5], s[4:5], s[8:9]
	s_or_b64 exec, exec, s[6:7]
	s_and_saveexec_b64 s[6:7], s[4:5]
	s_cbranch_execnz .LBB15_1259
	s_branch .LBB15_1260
.LBB15_3309:
	s_movk_i32 s4, 0x80
	v_cmp_eq_u16_sdwa s[12:13], v3, s4 src0_sel:BYTE_0 src1_sel:DWORD
	s_mov_b64 s[4:5], -1
                                        ; implicit-def: $sgpr10
	s_and_saveexec_b64 s[8:9], s[12:13]
; %bb.3310:
	s_mov_b32 s10, 0x7f800001
	s_xor_b64 s[4:5], exec, -1
; %bb.3311:
	s_or_b64 exec, exec, s[8:9]
	s_and_b64 s[4:5], s[4:5], exec
	s_or_saveexec_b64 s[6:7], s[6:7]
	v_mov_b32_e32 v4, s10
	s_xor_b64 exec, exec, s[6:7]
	s_cbranch_execz .LBB15_1262
.LBB15_3312:
	v_mov_b32_e32 v4, 0
	v_cmp_ne_u16_sdwa s[8:9], v3, v4 src0_sel:BYTE_0 src1_sel:DWORD
	s_andn2_b64 s[4:5], s[4:5], exec
	s_and_b64 s[8:9], s[8:9], exec
	s_or_b64 s[4:5], s[4:5], s[8:9]
	s_or_b64 exec, exec, s[6:7]
	s_and_saveexec_b64 s[6:7], s[4:5]
	s_cbranch_execnz .LBB15_1263
	s_branch .LBB15_1264
.LBB15_3313:
	s_movk_i32 s4, 0x80
	v_cmp_eq_u16_e32 vcc, s4, v3
	s_mov_b64 s[4:5], -1
                                        ; implicit-def: $sgpr10
	s_and_saveexec_b64 s[8:9], vcc
; %bb.3314:
	s_mov_b32 s10, 0x7f800001
	s_xor_b64 s[4:5], exec, -1
; %bb.3315:
	s_or_b64 exec, exec, s[8:9]
	s_and_b64 s[4:5], s[4:5], exec
                                        ; implicit-def: $vgpr3
	s_or_saveexec_b64 s[6:7], s[6:7]
	v_mov_b32_e32 v2, s10
	s_xor_b64 exec, exec, s[6:7]
	s_cbranch_execz .LBB15_1266
.LBB15_3316:
	v_cmp_ne_u16_e32 vcc, 0, v3
	s_andn2_b64 s[4:5], s[4:5], exec
	s_and_b64 s[8:9], vcc, exec
	v_mov_b32_e32 v2, 0
	s_or_b64 s[4:5], s[4:5], s[8:9]
	s_or_b64 exec, exec, s[6:7]
	s_and_saveexec_b64 s[6:7], s[4:5]
	s_cbranch_execnz .LBB15_1267
	s_branch .LBB15_1268
.LBB15_3317:
	s_movk_i32 s4, 0x80
	v_cmp_eq_u16_e32 vcc, s4, v3
	s_mov_b64 s[4:5], -1
                                        ; implicit-def: $sgpr10
	s_and_saveexec_b64 s[8:9], vcc
; %bb.3318:
	s_mov_b32 s10, 0x7f800001
	s_xor_b64 s[4:5], exec, -1
; %bb.3319:
	s_or_b64 exec, exec, s[8:9]
	s_and_b64 s[4:5], s[4:5], exec
                                        ; implicit-def: $vgpr3
	s_or_saveexec_b64 s[6:7], s[6:7]
	v_mov_b32_e32 v4, s10
	s_xor_b64 exec, exec, s[6:7]
	s_cbranch_execz .LBB15_1270
.LBB15_3320:
	v_cmp_ne_u16_e32 vcc, 0, v3
	s_andn2_b64 s[4:5], s[4:5], exec
	s_and_b64 s[8:9], vcc, exec
	v_mov_b32_e32 v4, 0
	s_or_b64 s[4:5], s[4:5], s[8:9]
	s_or_b64 exec, exec, s[6:7]
	s_and_saveexec_b64 s[6:7], s[4:5]
	s_cbranch_execnz .LBB15_1271
	s_branch .LBB15_1272
.LBB15_3321:
	s_movk_i32 s4, 0x80
	v_cmp_eq_u16_sdwa s[12:13], v9, s4 src0_sel:BYTE_3 src1_sel:DWORD
	s_mov_b64 s[4:5], -1
                                        ; implicit-def: $sgpr10
	s_and_saveexec_b64 s[8:9], s[12:13]
; %bb.3322:
	s_mov_b32 s10, 0x7f800001
	s_xor_b64 s[4:5], exec, -1
; %bb.3323:
	s_or_b64 exec, exec, s[8:9]
	s_and_b64 s[4:5], s[4:5], exec
	s_or_saveexec_b64 s[6:7], s[6:7]
	v_mov_b32_e32 v2, s10
	s_xor_b64 exec, exec, s[6:7]
	s_cbranch_execz .LBB15_1274
.LBB15_3324:
	v_mov_b32_e32 v2, 0
	v_cmp_ne_u16_sdwa s[8:9], v9, v2 src0_sel:BYTE_3 src1_sel:DWORD
	s_andn2_b64 s[4:5], s[4:5], exec
	s_and_b64 s[8:9], s[8:9], exec
	s_or_b64 s[4:5], s[4:5], s[8:9]
	s_or_b64 exec, exec, s[6:7]
	s_and_saveexec_b64 s[6:7], s[4:5]
	s_cbranch_execnz .LBB15_1275
	s_branch .LBB15_1276
.LBB15_3325:
	s_movk_i32 s4, 0x80
	v_cmp_eq_u16_sdwa s[12:13], v5, s4 src0_sel:BYTE_3 src1_sel:DWORD
	s_mov_b64 s[4:5], -1
                                        ; implicit-def: $sgpr10
	s_and_saveexec_b64 s[8:9], s[12:13]
; %bb.3326:
	s_mov_b32 s10, 0x7f800001
	s_xor_b64 s[4:5], exec, -1
; %bb.3327:
	s_or_b64 exec, exec, s[8:9]
	s_and_b64 s[4:5], s[4:5], exec
	s_or_saveexec_b64 s[6:7], s[6:7]
	v_mov_b32_e32 v3, s10
	s_xor_b64 exec, exec, s[6:7]
	s_cbranch_execz .LBB15_1278
.LBB15_3328:
	v_mov_b32_e32 v3, 0
	v_cmp_ne_u16_sdwa s[8:9], v5, v3 src0_sel:BYTE_3 src1_sel:DWORD
	s_andn2_b64 s[4:5], s[4:5], exec
	s_and_b64 s[8:9], s[8:9], exec
	s_or_b64 s[4:5], s[4:5], s[8:9]
	s_or_b64 exec, exec, s[6:7]
	s_and_saveexec_b64 s[6:7], s[4:5]
	s_cbranch_execnz .LBB15_1279
	s_branch .LBB15_1280
.LBB15_3329:
	s_movk_i32 s4, 0x80
	v_cmp_eq_u16_sdwa s[12:13], v14, s4 src0_sel:BYTE_0 src1_sel:DWORD
	s_mov_b64 s[4:5], -1
                                        ; implicit-def: $sgpr10
	s_and_saveexec_b64 s[8:9], s[12:13]
; %bb.3330:
	s_mov_b32 s10, 0x7f800001
	s_xor_b64 s[4:5], exec, -1
; %bb.3331:
	s_or_b64 exec, exec, s[8:9]
	s_and_b64 s[4:5], s[4:5], exec
	s_or_saveexec_b64 s[6:7], s[6:7]
	v_mov_b32_e32 v20, s10
	s_xor_b64 exec, exec, s[6:7]
	s_cbranch_execz .LBB15_1282
.LBB15_3332:
	v_mov_b32_e32 v20, 0
	v_cmp_ne_u16_sdwa s[8:9], v14, v20 src0_sel:BYTE_0 src1_sel:DWORD
	s_andn2_b64 s[4:5], s[4:5], exec
	s_and_b64 s[8:9], s[8:9], exec
	s_or_b64 s[4:5], s[4:5], s[8:9]
	s_or_b64 exec, exec, s[6:7]
	s_and_saveexec_b64 s[6:7], s[4:5]
	s_cbranch_execnz .LBB15_1283
	s_branch .LBB15_1284
.LBB15_3333:
	s_movk_i32 s4, 0x80
	v_cmp_eq_u16_sdwa s[12:13], v10, s4 src0_sel:BYTE_0 src1_sel:DWORD
	s_mov_b64 s[4:5], -1
                                        ; implicit-def: $sgpr10
	s_and_saveexec_b64 s[8:9], s[12:13]
; %bb.3334:
	s_mov_b32 s10, 0x7f800001
	s_xor_b64 s[4:5], exec, -1
; %bb.3335:
	s_or_b64 exec, exec, s[8:9]
	s_and_b64 s[4:5], s[4:5], exec
	s_or_saveexec_b64 s[6:7], s[6:7]
	v_mov_b32_e32 v21, s10
	s_xor_b64 exec, exec, s[6:7]
	s_cbranch_execz .LBB15_1286
.LBB15_3336:
	v_mov_b32_e32 v21, 0
	v_cmp_ne_u16_sdwa s[8:9], v10, v21 src0_sel:BYTE_0 src1_sel:DWORD
	s_andn2_b64 s[4:5], s[4:5], exec
	s_and_b64 s[8:9], s[8:9], exec
	s_or_b64 s[4:5], s[4:5], s[8:9]
	s_or_b64 exec, exec, s[6:7]
	s_and_saveexec_b64 s[6:7], s[4:5]
	s_cbranch_execnz .LBB15_1287
	s_branch .LBB15_1288
.LBB15_3337:
	s_movk_i32 s4, 0x80
	v_cmp_eq_u16_sdwa s[12:13], v21, s4 src0_sel:BYTE_0 src1_sel:DWORD
	s_mov_b64 s[4:5], -1
                                        ; implicit-def: $sgpr10
	s_and_saveexec_b64 s[8:9], s[12:13]
; %bb.3338:
	s_mov_b32 s10, 0x7f800001
	s_xor_b64 s[4:5], exec, -1
; %bb.3339:
	s_or_b64 exec, exec, s[8:9]
	s_and_b64 s[4:5], s[4:5], exec
	s_or_saveexec_b64 s[6:7], s[6:7]
	v_mov_b32_e32 v20, s10
	s_xor_b64 exec, exec, s[6:7]
	s_cbranch_execz .LBB15_1290
.LBB15_3340:
	v_mov_b32_e32 v20, 0
	v_cmp_ne_u16_sdwa s[8:9], v21, v20 src0_sel:BYTE_0 src1_sel:DWORD
	s_andn2_b64 s[4:5], s[4:5], exec
	s_and_b64 s[8:9], s[8:9], exec
	s_or_b64 s[4:5], s[4:5], s[8:9]
	s_or_b64 exec, exec, s[6:7]
	s_and_saveexec_b64 s[6:7], s[4:5]
	s_cbranch_execnz .LBB15_1291
	s_branch .LBB15_1292
.LBB15_3341:
	s_movk_i32 s4, 0x80
	v_cmp_eq_u16_sdwa s[12:13], v21, s4 src0_sel:BYTE_0 src1_sel:DWORD
	s_mov_b64 s[4:5], -1
                                        ; implicit-def: $sgpr10
	s_and_saveexec_b64 s[8:9], s[12:13]
; %bb.3342:
	s_mov_b32 s10, 0x7f800001
	s_xor_b64 s[4:5], exec, -1
; %bb.3343:
	s_or_b64 exec, exec, s[8:9]
	s_and_b64 s[4:5], s[4:5], exec
	s_or_saveexec_b64 s[6:7], s[6:7]
	v_mov_b32_e32 v22, s10
	s_xor_b64 exec, exec, s[6:7]
	s_cbranch_execz .LBB15_1294
.LBB15_3344:
	v_mov_b32_e32 v22, 0
	v_cmp_ne_u16_sdwa s[8:9], v21, v22 src0_sel:BYTE_0 src1_sel:DWORD
	s_andn2_b64 s[4:5], s[4:5], exec
	s_and_b64 s[8:9], s[8:9], exec
	s_or_b64 s[4:5], s[4:5], s[8:9]
	s_or_b64 exec, exec, s[6:7]
	s_and_saveexec_b64 s[6:7], s[4:5]
	s_cbranch_execnz .LBB15_1295
	s_branch .LBB15_1296
.LBB15_3345:
	s_movk_i32 s4, 0x80
	v_cmp_eq_u16_e32 vcc, s4, v21
	s_mov_b64 s[4:5], -1
                                        ; implicit-def: $sgpr10
	s_and_saveexec_b64 s[8:9], vcc
; %bb.3346:
	s_mov_b32 s10, 0x7f800001
	s_xor_b64 s[4:5], exec, -1
; %bb.3347:
	s_or_b64 exec, exec, s[8:9]
	s_and_b64 s[4:5], s[4:5], exec
                                        ; implicit-def: $vgpr21
	s_or_saveexec_b64 s[6:7], s[6:7]
	v_mov_b32_e32 v20, s10
	s_xor_b64 exec, exec, s[6:7]
	s_cbranch_execz .LBB15_1298
.LBB15_3348:
	v_cmp_ne_u16_e32 vcc, 0, v21
	s_andn2_b64 s[4:5], s[4:5], exec
	s_and_b64 s[8:9], vcc, exec
	v_mov_b32_e32 v20, 0
	s_or_b64 s[4:5], s[4:5], s[8:9]
	s_or_b64 exec, exec, s[6:7]
	s_and_saveexec_b64 s[6:7], s[4:5]
	s_cbranch_execnz .LBB15_1299
	s_branch .LBB15_1300
.LBB15_3349:
	s_movk_i32 s4, 0x80
	v_cmp_eq_u16_e32 vcc, s4, v21
	s_mov_b64 s[4:5], -1
                                        ; implicit-def: $sgpr10
	s_and_saveexec_b64 s[8:9], vcc
; %bb.3350:
	s_mov_b32 s10, 0x7f800001
	s_xor_b64 s[4:5], exec, -1
; %bb.3351:
	s_or_b64 exec, exec, s[8:9]
	s_and_b64 s[4:5], s[4:5], exec
                                        ; implicit-def: $vgpr21
	s_or_saveexec_b64 s[6:7], s[6:7]
	v_mov_b32_e32 v22, s10
	s_xor_b64 exec, exec, s[6:7]
	s_cbranch_execz .LBB15_1302
.LBB15_3352:
	v_cmp_ne_u16_e32 vcc, 0, v21
	s_andn2_b64 s[4:5], s[4:5], exec
	s_and_b64 s[8:9], vcc, exec
	v_mov_b32_e32 v22, 0
	s_or_b64 s[4:5], s[4:5], s[8:9]
	s_or_b64 exec, exec, s[6:7]
	s_and_saveexec_b64 s[6:7], s[4:5]
	s_cbranch_execnz .LBB15_1303
	s_branch .LBB15_1304
.LBB15_3353:
	s_movk_i32 s4, 0x80
	v_cmp_eq_u16_sdwa s[12:13], v14, s4 src0_sel:BYTE_3 src1_sel:DWORD
	s_mov_b64 s[4:5], -1
                                        ; implicit-def: $sgpr10
	s_and_saveexec_b64 s[8:9], s[12:13]
; %bb.3354:
	s_mov_b32 s10, 0x7f800001
	s_xor_b64 s[4:5], exec, -1
; %bb.3355:
	s_or_b64 exec, exec, s[8:9]
	s_and_b64 s[4:5], s[4:5], exec
	s_or_saveexec_b64 s[6:7], s[6:7]
	v_mov_b32_e32 v20, s10
	s_xor_b64 exec, exec, s[6:7]
	s_cbranch_execz .LBB15_1306
.LBB15_3356:
	v_mov_b32_e32 v20, 0
	v_cmp_ne_u16_sdwa s[8:9], v14, v20 src0_sel:BYTE_3 src1_sel:DWORD
	s_andn2_b64 s[4:5], s[4:5], exec
	s_and_b64 s[8:9], s[8:9], exec
	s_or_b64 s[4:5], s[4:5], s[8:9]
	s_or_b64 exec, exec, s[6:7]
	s_and_saveexec_b64 s[6:7], s[4:5]
	s_cbranch_execnz .LBB15_1307
	s_branch .LBB15_1308
.LBB15_3357:
	s_movk_i32 s4, 0x80
	v_cmp_eq_u16_sdwa s[12:13], v10, s4 src0_sel:BYTE_3 src1_sel:DWORD
	s_mov_b64 s[4:5], -1
                                        ; implicit-def: $sgpr10
	s_and_saveexec_b64 s[8:9], s[12:13]
; %bb.3358:
	s_mov_b32 s10, 0x7f800001
	s_xor_b64 s[4:5], exec, -1
; %bb.3359:
	s_or_b64 exec, exec, s[8:9]
	s_and_b64 s[4:5], s[4:5], exec
	s_or_saveexec_b64 s[6:7], s[6:7]
	v_mov_b32_e32 v14, s10
	s_xor_b64 exec, exec, s[6:7]
	s_cbranch_execz .LBB15_1310
.LBB15_3360:
	v_mov_b32_e32 v14, 0
	v_cmp_ne_u16_sdwa s[8:9], v10, v14 src0_sel:BYTE_3 src1_sel:DWORD
	s_andn2_b64 s[4:5], s[4:5], exec
	s_and_b64 s[8:9], s[8:9], exec
	s_or_b64 s[4:5], s[4:5], s[8:9]
	s_or_b64 exec, exec, s[6:7]
	s_and_saveexec_b64 s[6:7], s[4:5]
	s_cbranch_execnz .LBB15_1311
	s_branch .LBB15_1312
.LBB15_3361:
	s_movk_i32 s4, 0x80
	v_cmp_eq_u16_sdwa s[12:13], v15, s4 src0_sel:BYTE_0 src1_sel:DWORD
	s_mov_b64 s[4:5], -1
                                        ; implicit-def: $sgpr10
	s_and_saveexec_b64 s[8:9], s[12:13]
; %bb.3362:
	s_mov_b32 s10, 0x7f800001
	s_xor_b64 s[4:5], exec, -1
; %bb.3363:
	s_or_b64 exec, exec, s[8:9]
	s_and_b64 s[4:5], s[4:5], exec
	s_or_saveexec_b64 s[6:7], s[6:7]
	v_mov_b32_e32 v10, s10
	s_xor_b64 exec, exec, s[6:7]
	s_cbranch_execz .LBB15_1314
.LBB15_3364:
	v_mov_b32_e32 v10, 0
	v_cmp_ne_u16_sdwa s[8:9], v15, v10 src0_sel:BYTE_0 src1_sel:DWORD
	s_andn2_b64 s[4:5], s[4:5], exec
	s_and_b64 s[8:9], s[8:9], exec
	s_or_b64 s[4:5], s[4:5], s[8:9]
	s_or_b64 exec, exec, s[6:7]
	s_and_saveexec_b64 s[6:7], s[4:5]
	s_cbranch_execnz .LBB15_1315
	s_branch .LBB15_1316
.LBB15_3365:
	s_movk_i32 s4, 0x80
	v_cmp_eq_u16_sdwa s[12:13], v11, s4 src0_sel:BYTE_0 src1_sel:DWORD
	s_mov_b64 s[4:5], -1
                                        ; implicit-def: $sgpr10
	s_and_saveexec_b64 s[8:9], s[12:13]
; %bb.3366:
	s_mov_b32 s10, 0x7f800001
	s_xor_b64 s[4:5], exec, -1
; %bb.3367:
	s_or_b64 exec, exec, s[8:9]
	s_and_b64 s[4:5], s[4:5], exec
	s_or_saveexec_b64 s[6:7], s[6:7]
	v_mov_b32_e32 v14, s10
	s_xor_b64 exec, exec, s[6:7]
	s_cbranch_execz .LBB15_1318
.LBB15_3368:
	v_mov_b32_e32 v14, 0
	v_cmp_ne_u16_sdwa s[8:9], v11, v14 src0_sel:BYTE_0 src1_sel:DWORD
	s_andn2_b64 s[4:5], s[4:5], exec
	s_and_b64 s[8:9], s[8:9], exec
	s_or_b64 s[4:5], s[4:5], s[8:9]
	s_or_b64 exec, exec, s[6:7]
	s_and_saveexec_b64 s[6:7], s[4:5]
	s_cbranch_execnz .LBB15_1319
	s_branch .LBB15_1320
.LBB15_3369:
	s_movk_i32 s4, 0x80
	v_cmp_eq_u16_sdwa s[12:13], v14, s4 src0_sel:BYTE_0 src1_sel:DWORD
	s_mov_b64 s[4:5], -1
                                        ; implicit-def: $sgpr10
	s_and_saveexec_b64 s[8:9], s[12:13]
; %bb.3370:
	s_mov_b32 s10, 0x7f800001
	s_xor_b64 s[4:5], exec, -1
; %bb.3371:
	s_or_b64 exec, exec, s[8:9]
	s_and_b64 s[4:5], s[4:5], exec
	s_or_saveexec_b64 s[6:7], s[6:7]
	v_mov_b32_e32 v10, s10
	s_xor_b64 exec, exec, s[6:7]
	s_cbranch_execz .LBB15_1322
.LBB15_3372:
	v_mov_b32_e32 v10, 0
	v_cmp_ne_u16_sdwa s[8:9], v14, v10 src0_sel:BYTE_0 src1_sel:DWORD
	s_andn2_b64 s[4:5], s[4:5], exec
	s_and_b64 s[8:9], s[8:9], exec
	s_or_b64 s[4:5], s[4:5], s[8:9]
	s_or_b64 exec, exec, s[6:7]
	s_and_saveexec_b64 s[6:7], s[4:5]
	s_cbranch_execnz .LBB15_1323
	s_branch .LBB15_1324
.LBB15_3373:
	s_movk_i32 s4, 0x80
	v_cmp_eq_u16_sdwa s[12:13], v14, s4 src0_sel:BYTE_0 src1_sel:DWORD
	s_mov_b64 s[4:5], -1
                                        ; implicit-def: $sgpr10
	s_and_saveexec_b64 s[8:9], s[12:13]
; %bb.3374:
	s_mov_b32 s10, 0x7f800001
	s_xor_b64 s[4:5], exec, -1
; %bb.3375:
	s_or_b64 exec, exec, s[8:9]
	s_and_b64 s[4:5], s[4:5], exec
	s_or_saveexec_b64 s[6:7], s[6:7]
	v_mov_b32_e32 v20, s10
	s_xor_b64 exec, exec, s[6:7]
	s_cbranch_execz .LBB15_1326
.LBB15_3376:
	v_mov_b32_e32 v20, 0
	v_cmp_ne_u16_sdwa s[8:9], v14, v20 src0_sel:BYTE_0 src1_sel:DWORD
	s_andn2_b64 s[4:5], s[4:5], exec
	s_and_b64 s[8:9], s[8:9], exec
	s_or_b64 s[4:5], s[4:5], s[8:9]
	s_or_b64 exec, exec, s[6:7]
	s_and_saveexec_b64 s[6:7], s[4:5]
	s_cbranch_execnz .LBB15_1327
	s_branch .LBB15_1328
.LBB15_3377:
	s_movk_i32 s4, 0x80
	v_cmp_eq_u16_e32 vcc, s4, v14
	s_mov_b64 s[4:5], -1
                                        ; implicit-def: $sgpr10
	s_and_saveexec_b64 s[8:9], vcc
; %bb.3378:
	s_mov_b32 s10, 0x7f800001
	s_xor_b64 s[4:5], exec, -1
; %bb.3379:
	s_or_b64 exec, exec, s[8:9]
	s_and_b64 s[4:5], s[4:5], exec
                                        ; implicit-def: $vgpr14
	s_or_saveexec_b64 s[6:7], s[6:7]
	v_mov_b32_e32 v10, s10
	s_xor_b64 exec, exec, s[6:7]
	s_cbranch_execz .LBB15_1330
.LBB15_3380:
	v_cmp_ne_u16_e32 vcc, 0, v14
	s_andn2_b64 s[4:5], s[4:5], exec
	s_and_b64 s[8:9], vcc, exec
	v_mov_b32_e32 v10, 0
	s_or_b64 s[4:5], s[4:5], s[8:9]
	s_or_b64 exec, exec, s[6:7]
	s_and_saveexec_b64 s[6:7], s[4:5]
	s_cbranch_execnz .LBB15_1331
	s_branch .LBB15_1332
.LBB15_3381:
	s_movk_i32 s4, 0x80
	v_cmp_eq_u16_e32 vcc, s4, v14
	s_mov_b64 s[4:5], -1
                                        ; implicit-def: $sgpr10
	s_and_saveexec_b64 s[8:9], vcc
; %bb.3382:
	s_mov_b32 s10, 0x7f800001
	s_xor_b64 s[4:5], exec, -1
; %bb.3383:
	s_or_b64 exec, exec, s[8:9]
	s_and_b64 s[4:5], s[4:5], exec
                                        ; implicit-def: $vgpr14
	s_or_saveexec_b64 s[6:7], s[6:7]
	v_mov_b32_e32 v20, s10
	s_xor_b64 exec, exec, s[6:7]
	s_cbranch_execz .LBB15_1334
.LBB15_3384:
	v_cmp_ne_u16_e32 vcc, 0, v14
	s_andn2_b64 s[4:5], s[4:5], exec
	s_and_b64 s[8:9], vcc, exec
	v_mov_b32_e32 v20, 0
	s_or_b64 s[4:5], s[4:5], s[8:9]
	s_or_b64 exec, exec, s[6:7]
	s_and_saveexec_b64 s[6:7], s[4:5]
	s_cbranch_execnz .LBB15_1335
	s_branch .LBB15_1336
.LBB15_3385:
	s_movk_i32 s4, 0x80
	v_cmp_eq_u16_sdwa s[12:13], v15, s4 src0_sel:BYTE_3 src1_sel:DWORD
	s_mov_b64 s[4:5], -1
                                        ; implicit-def: $sgpr10
	s_and_saveexec_b64 s[8:9], s[12:13]
; %bb.3386:
	s_mov_b32 s10, 0x7f800001
	s_xor_b64 s[4:5], exec, -1
; %bb.3387:
	s_or_b64 exec, exec, s[8:9]
	s_and_b64 s[4:5], s[4:5], exec
	s_or_saveexec_b64 s[6:7], s[6:7]
	v_mov_b32_e32 v10, s10
	s_xor_b64 exec, exec, s[6:7]
	s_cbranch_execz .LBB15_1338
.LBB15_3388:
	v_mov_b32_e32 v10, 0
	v_cmp_ne_u16_sdwa s[8:9], v15, v10 src0_sel:BYTE_3 src1_sel:DWORD
	s_andn2_b64 s[4:5], s[4:5], exec
	s_and_b64 s[8:9], s[8:9], exec
	s_or_b64 s[4:5], s[4:5], s[8:9]
	s_or_b64 exec, exec, s[6:7]
	s_and_saveexec_b64 s[6:7], s[4:5]
	s_cbranch_execnz .LBB15_1339
	s_branch .LBB15_1340
.LBB15_3389:
	s_movk_i32 s4, 0x80
	v_cmp_eq_u16_sdwa s[12:13], v11, s4 src0_sel:BYTE_3 src1_sel:DWORD
	s_mov_b64 s[4:5], -1
                                        ; implicit-def: $sgpr10
	s_and_saveexec_b64 s[8:9], s[12:13]
; %bb.3390:
	s_mov_b32 s10, 0x7f800001
	s_xor_b64 s[4:5], exec, -1
; %bb.3391:
	s_or_b64 exec, exec, s[8:9]
	s_and_b64 s[4:5], s[4:5], exec
	s_or_saveexec_b64 s[6:7], s[6:7]
	v_mov_b32_e32 v14, s10
	s_xor_b64 exec, exec, s[6:7]
	s_cbranch_execz .LBB15_1342
.LBB15_3392:
	v_mov_b32_e32 v14, 0
	v_cmp_ne_u16_sdwa s[8:9], v11, v14 src0_sel:BYTE_3 src1_sel:DWORD
	s_andn2_b64 s[4:5], s[4:5], exec
	s_and_b64 s[8:9], s[8:9], exec
	s_or_b64 s[4:5], s[4:5], s[8:9]
	s_or_b64 exec, exec, s[6:7]
	s_and_saveexec_b64 s[6:7], s[4:5]
	s_cbranch_execnz .LBB15_1343
	s_branch .LBB15_1344
.LBB15_3393:
	s_movk_i32 s4, 0x80
	v_cmp_eq_u16_sdwa s[12:13], v16, s4 src0_sel:BYTE_0 src1_sel:DWORD
	s_mov_b64 s[4:5], -1
                                        ; implicit-def: $sgpr10
	s_and_saveexec_b64 s[8:9], s[12:13]
; %bb.3394:
	s_mov_b32 s10, 0x7f800001
	s_xor_b64 s[4:5], exec, -1
; %bb.3395:
	s_or_b64 exec, exec, s[8:9]
	s_and_b64 s[4:5], s[4:5], exec
	s_or_saveexec_b64 s[6:7], s[6:7]
	v_mov_b32_e32 v10, s10
	s_xor_b64 exec, exec, s[6:7]
	s_cbranch_execz .LBB15_1346
.LBB15_3396:
	v_mov_b32_e32 v10, 0
	v_cmp_ne_u16_sdwa s[8:9], v16, v10 src0_sel:BYTE_0 src1_sel:DWORD
	s_andn2_b64 s[4:5], s[4:5], exec
	s_and_b64 s[8:9], s[8:9], exec
	s_or_b64 s[4:5], s[4:5], s[8:9]
	s_or_b64 exec, exec, s[6:7]
	s_and_saveexec_b64 s[6:7], s[4:5]
	s_cbranch_execnz .LBB15_1347
	s_branch .LBB15_1348
.LBB15_3397:
	s_movk_i32 s4, 0x80
	v_cmp_eq_u16_sdwa s[12:13], v12, s4 src0_sel:BYTE_0 src1_sel:DWORD
	s_mov_b64 s[4:5], -1
                                        ; implicit-def: $sgpr10
	s_and_saveexec_b64 s[8:9], s[12:13]
; %bb.3398:
	s_mov_b32 s10, 0x7f800001
	s_xor_b64 s[4:5], exec, -1
; %bb.3399:
	s_or_b64 exec, exec, s[8:9]
	s_and_b64 s[4:5], s[4:5], exec
	s_or_saveexec_b64 s[6:7], s[6:7]
	v_mov_b32_e32 v11, s10
	s_xor_b64 exec, exec, s[6:7]
	s_cbranch_execz .LBB15_1350
.LBB15_3400:
	v_mov_b32_e32 v11, 0
	v_cmp_ne_u16_sdwa s[8:9], v12, v11 src0_sel:BYTE_0 src1_sel:DWORD
	s_andn2_b64 s[4:5], s[4:5], exec
	s_and_b64 s[8:9], s[8:9], exec
	s_or_b64 s[4:5], s[4:5], s[8:9]
	s_or_b64 exec, exec, s[6:7]
	s_and_saveexec_b64 s[6:7], s[4:5]
	s_cbranch_execnz .LBB15_1351
	s_branch .LBB15_1352
.LBB15_3401:
	s_movk_i32 s4, 0x80
	v_cmp_eq_u16_sdwa s[12:13], v11, s4 src0_sel:BYTE_0 src1_sel:DWORD
	s_mov_b64 s[4:5], -1
                                        ; implicit-def: $sgpr10
	s_and_saveexec_b64 s[8:9], s[12:13]
; %bb.3402:
	s_mov_b32 s10, 0x7f800001
	s_xor_b64 s[4:5], exec, -1
; %bb.3403:
	s_or_b64 exec, exec, s[8:9]
	s_and_b64 s[4:5], s[4:5], exec
	s_or_saveexec_b64 s[6:7], s[6:7]
	v_mov_b32_e32 v10, s10
	s_xor_b64 exec, exec, s[6:7]
	s_cbranch_execz .LBB15_1354
.LBB15_3404:
	v_mov_b32_e32 v10, 0
	v_cmp_ne_u16_sdwa s[8:9], v11, v10 src0_sel:BYTE_0 src1_sel:DWORD
	s_andn2_b64 s[4:5], s[4:5], exec
	s_and_b64 s[8:9], s[8:9], exec
	s_or_b64 s[4:5], s[4:5], s[8:9]
	s_or_b64 exec, exec, s[6:7]
	s_and_saveexec_b64 s[6:7], s[4:5]
	s_cbranch_execnz .LBB15_1355
	s_branch .LBB15_1356
.LBB15_3405:
	s_movk_i32 s4, 0x80
	v_cmp_eq_u16_sdwa s[12:13], v11, s4 src0_sel:BYTE_0 src1_sel:DWORD
	s_mov_b64 s[4:5], -1
                                        ; implicit-def: $sgpr10
	s_and_saveexec_b64 s[8:9], s[12:13]
; %bb.3406:
	s_mov_b32 s10, 0x7f800001
	s_xor_b64 s[4:5], exec, -1
; %bb.3407:
	s_or_b64 exec, exec, s[8:9]
	s_and_b64 s[4:5], s[4:5], exec
	s_or_saveexec_b64 s[6:7], s[6:7]
	v_mov_b32_e32 v14, s10
	s_xor_b64 exec, exec, s[6:7]
	s_cbranch_execz .LBB15_1358
.LBB15_3408:
	v_mov_b32_e32 v14, 0
	v_cmp_ne_u16_sdwa s[8:9], v11, v14 src0_sel:BYTE_0 src1_sel:DWORD
	s_andn2_b64 s[4:5], s[4:5], exec
	s_and_b64 s[8:9], s[8:9], exec
	s_or_b64 s[4:5], s[4:5], s[8:9]
	s_or_b64 exec, exec, s[6:7]
	s_and_saveexec_b64 s[6:7], s[4:5]
	s_cbranch_execnz .LBB15_1359
	s_branch .LBB15_1360
.LBB15_3409:
	s_movk_i32 s4, 0x80
	v_cmp_eq_u16_e32 vcc, s4, v11
	s_mov_b64 s[4:5], -1
                                        ; implicit-def: $sgpr10
	s_and_saveexec_b64 s[8:9], vcc
; %bb.3410:
	s_mov_b32 s10, 0x7f800001
	s_xor_b64 s[4:5], exec, -1
; %bb.3411:
	s_or_b64 exec, exec, s[8:9]
	s_and_b64 s[4:5], s[4:5], exec
                                        ; implicit-def: $vgpr11
	s_or_saveexec_b64 s[6:7], s[6:7]
	v_mov_b32_e32 v10, s10
	s_xor_b64 exec, exec, s[6:7]
	s_cbranch_execz .LBB15_1362
.LBB15_3412:
	v_cmp_ne_u16_e32 vcc, 0, v11
	s_andn2_b64 s[4:5], s[4:5], exec
	s_and_b64 s[8:9], vcc, exec
	v_mov_b32_e32 v10, 0
	s_or_b64 s[4:5], s[4:5], s[8:9]
	s_or_b64 exec, exec, s[6:7]
	s_and_saveexec_b64 s[6:7], s[4:5]
	s_cbranch_execnz .LBB15_1363
	s_branch .LBB15_1364
.LBB15_3413:
	s_movk_i32 s4, 0x80
	v_cmp_eq_u16_e32 vcc, s4, v11
	s_mov_b64 s[4:5], -1
                                        ; implicit-def: $sgpr10
	s_and_saveexec_b64 s[8:9], vcc
; %bb.3414:
	s_mov_b32 s10, 0x7f800001
	s_xor_b64 s[4:5], exec, -1
; %bb.3415:
	s_or_b64 exec, exec, s[8:9]
	s_and_b64 s[4:5], s[4:5], exec
                                        ; implicit-def: $vgpr11
	s_or_saveexec_b64 s[6:7], s[6:7]
	v_mov_b32_e32 v14, s10
	s_xor_b64 exec, exec, s[6:7]
	s_cbranch_execz .LBB15_1366
.LBB15_3416:
	v_cmp_ne_u16_e32 vcc, 0, v11
	s_andn2_b64 s[4:5], s[4:5], exec
	s_and_b64 s[8:9], vcc, exec
	v_mov_b32_e32 v14, 0
	s_or_b64 s[4:5], s[4:5], s[8:9]
	s_or_b64 exec, exec, s[6:7]
	s_and_saveexec_b64 s[6:7], s[4:5]
	s_cbranch_execnz .LBB15_1367
	s_branch .LBB15_1368
.LBB15_3417:
	s_movk_i32 s4, 0x80
	v_cmp_eq_u16_sdwa s[12:13], v16, s4 src0_sel:BYTE_3 src1_sel:DWORD
	s_mov_b64 s[4:5], -1
                                        ; implicit-def: $sgpr10
	s_and_saveexec_b64 s[8:9], s[12:13]
; %bb.3418:
	s_mov_b32 s10, 0x7f800001
	s_xor_b64 s[4:5], exec, -1
; %bb.3419:
	s_or_b64 exec, exec, s[8:9]
	s_and_b64 s[4:5], s[4:5], exec
	s_or_saveexec_b64 s[6:7], s[6:7]
	v_mov_b32_e32 v10, s10
	s_xor_b64 exec, exec, s[6:7]
	s_cbranch_execz .LBB15_1370
.LBB15_3420:
	v_mov_b32_e32 v10, 0
	v_cmp_ne_u16_sdwa s[8:9], v16, v10 src0_sel:BYTE_3 src1_sel:DWORD
	s_andn2_b64 s[4:5], s[4:5], exec
	s_and_b64 s[8:9], s[8:9], exec
	s_or_b64 s[4:5], s[4:5], s[8:9]
	s_or_b64 exec, exec, s[6:7]
	s_and_saveexec_b64 s[6:7], s[4:5]
	s_cbranch_execnz .LBB15_1371
	s_branch .LBB15_1372
.LBB15_3421:
	s_movk_i32 s4, 0x80
	v_cmp_eq_u16_sdwa s[12:13], v12, s4 src0_sel:BYTE_3 src1_sel:DWORD
	s_mov_b64 s[4:5], -1
                                        ; implicit-def: $sgpr10
	s_and_saveexec_b64 s[8:9], s[12:13]
; %bb.3422:
	s_mov_b32 s10, 0x7f800001
	s_xor_b64 s[4:5], exec, -1
; %bb.3423:
	s_or_b64 exec, exec, s[8:9]
	s_and_b64 s[4:5], s[4:5], exec
	s_or_saveexec_b64 s[6:7], s[6:7]
	v_mov_b32_e32 v11, s10
	s_xor_b64 exec, exec, s[6:7]
	s_cbranch_execz .LBB15_1374
.LBB15_3424:
	v_mov_b32_e32 v11, 0
	v_cmp_ne_u16_sdwa s[8:9], v12, v11 src0_sel:BYTE_3 src1_sel:DWORD
	s_andn2_b64 s[4:5], s[4:5], exec
	s_and_b64 s[8:9], s[8:9], exec
	s_or_b64 s[4:5], s[4:5], s[8:9]
	s_or_b64 exec, exec, s[6:7]
	s_and_saveexec_b64 s[6:7], s[4:5]
	s_cbranch_execnz .LBB15_1375
	s_branch .LBB15_1376
.LBB15_3425:
	s_movk_i32 s4, 0x80
	v_cmp_eq_u16_sdwa s[12:13], v17, s4 src0_sel:BYTE_0 src1_sel:DWORD
	s_mov_b64 s[4:5], -1
                                        ; implicit-def: $sgpr10
	s_and_saveexec_b64 s[8:9], s[12:13]
; %bb.3426:
	s_mov_b32 s10, 0x7f800001
	s_xor_b64 s[4:5], exec, -1
; %bb.3427:
	s_or_b64 exec, exec, s[8:9]
	s_and_b64 s[4:5], s[4:5], exec
	s_or_saveexec_b64 s[6:7], s[6:7]
	v_mov_b32_e32 v10, s10
	s_xor_b64 exec, exec, s[6:7]
	s_cbranch_execz .LBB15_1378
.LBB15_3428:
	v_mov_b32_e32 v10, 0
	v_cmp_ne_u16_sdwa s[8:9], v17, v10 src0_sel:BYTE_0 src1_sel:DWORD
	s_andn2_b64 s[4:5], s[4:5], exec
	s_and_b64 s[8:9], s[8:9], exec
	s_or_b64 s[4:5], s[4:5], s[8:9]
	s_or_b64 exec, exec, s[6:7]
	s_and_saveexec_b64 s[6:7], s[4:5]
	s_cbranch_execnz .LBB15_1379
	s_branch .LBB15_1380
.LBB15_3429:
	s_movk_i32 s4, 0x80
	v_cmp_eq_u16_sdwa s[12:13], v13, s4 src0_sel:BYTE_0 src1_sel:DWORD
	s_mov_b64 s[4:5], -1
                                        ; implicit-def: $sgpr10
	s_and_saveexec_b64 s[8:9], s[12:13]
; %bb.3430:
	s_mov_b32 s10, 0x7f800001
	s_xor_b64 s[4:5], exec, -1
; %bb.3431:
	s_or_b64 exec, exec, s[8:9]
	s_and_b64 s[4:5], s[4:5], exec
	s_or_saveexec_b64 s[6:7], s[6:7]
	v_mov_b32_e32 v11, s10
	s_xor_b64 exec, exec, s[6:7]
	s_cbranch_execz .LBB15_1382
.LBB15_3432:
	v_mov_b32_e32 v11, 0
	v_cmp_ne_u16_sdwa s[8:9], v13, v11 src0_sel:BYTE_0 src1_sel:DWORD
	s_andn2_b64 s[4:5], s[4:5], exec
	s_and_b64 s[8:9], s[8:9], exec
	s_or_b64 s[4:5], s[4:5], s[8:9]
	s_or_b64 exec, exec, s[6:7]
	s_and_saveexec_b64 s[6:7], s[4:5]
	s_cbranch_execnz .LBB15_1383
	s_branch .LBB15_1384
.LBB15_3433:
	s_movk_i32 s4, 0x80
	v_cmp_eq_u16_sdwa s[12:13], v11, s4 src0_sel:BYTE_0 src1_sel:DWORD
	s_mov_b64 s[4:5], -1
                                        ; implicit-def: $sgpr10
	s_and_saveexec_b64 s[8:9], s[12:13]
; %bb.3434:
	s_mov_b32 s10, 0x7f800001
	s_xor_b64 s[4:5], exec, -1
; %bb.3435:
	s_or_b64 exec, exec, s[8:9]
	s_and_b64 s[4:5], s[4:5], exec
	s_or_saveexec_b64 s[6:7], s[6:7]
	v_mov_b32_e32 v10, s10
	s_xor_b64 exec, exec, s[6:7]
	s_cbranch_execz .LBB15_1386
.LBB15_3436:
	v_mov_b32_e32 v10, 0
	v_cmp_ne_u16_sdwa s[8:9], v11, v10 src0_sel:BYTE_0 src1_sel:DWORD
	s_andn2_b64 s[4:5], s[4:5], exec
	s_and_b64 s[8:9], s[8:9], exec
	s_or_b64 s[4:5], s[4:5], s[8:9]
	s_or_b64 exec, exec, s[6:7]
	s_and_saveexec_b64 s[6:7], s[4:5]
	s_cbranch_execnz .LBB15_1387
	s_branch .LBB15_1388
.LBB15_3437:
	s_movk_i32 s4, 0x80
	v_cmp_eq_u16_sdwa s[12:13], v11, s4 src0_sel:BYTE_0 src1_sel:DWORD
	s_mov_b64 s[4:5], -1
                                        ; implicit-def: $sgpr10
	s_and_saveexec_b64 s[8:9], s[12:13]
; %bb.3438:
	s_mov_b32 s10, 0x7f800001
	s_xor_b64 s[4:5], exec, -1
; %bb.3439:
	s_or_b64 exec, exec, s[8:9]
	s_and_b64 s[4:5], s[4:5], exec
	s_or_saveexec_b64 s[6:7], s[6:7]
	v_mov_b32_e32 v12, s10
	s_xor_b64 exec, exec, s[6:7]
	s_cbranch_execz .LBB15_1390
.LBB15_3440:
	v_mov_b32_e32 v12, 0
	v_cmp_ne_u16_sdwa s[8:9], v11, v12 src0_sel:BYTE_0 src1_sel:DWORD
	s_andn2_b64 s[4:5], s[4:5], exec
	s_and_b64 s[8:9], s[8:9], exec
	s_or_b64 s[4:5], s[4:5], s[8:9]
	s_or_b64 exec, exec, s[6:7]
	s_and_saveexec_b64 s[6:7], s[4:5]
	s_cbranch_execnz .LBB15_1391
	s_branch .LBB15_1392
.LBB15_3441:
	s_movk_i32 s4, 0x80
	v_cmp_eq_u16_e32 vcc, s4, v11
	s_mov_b64 s[4:5], -1
                                        ; implicit-def: $sgpr10
	s_and_saveexec_b64 s[8:9], vcc
; %bb.3442:
	s_mov_b32 s10, 0x7f800001
	s_xor_b64 s[4:5], exec, -1
; %bb.3443:
	s_or_b64 exec, exec, s[8:9]
	s_and_b64 s[4:5], s[4:5], exec
                                        ; implicit-def: $vgpr11
	s_or_saveexec_b64 s[6:7], s[6:7]
	v_mov_b32_e32 v10, s10
	s_xor_b64 exec, exec, s[6:7]
	s_cbranch_execz .LBB15_1394
.LBB15_3444:
	v_cmp_ne_u16_e32 vcc, 0, v11
	s_andn2_b64 s[4:5], s[4:5], exec
	s_and_b64 s[8:9], vcc, exec
	v_mov_b32_e32 v10, 0
	s_or_b64 s[4:5], s[4:5], s[8:9]
	s_or_b64 exec, exec, s[6:7]
	s_and_saveexec_b64 s[6:7], s[4:5]
	s_cbranch_execnz .LBB15_1395
	s_branch .LBB15_1396
.LBB15_3445:
	s_movk_i32 s4, 0x80
	v_cmp_eq_u16_e32 vcc, s4, v11
	s_mov_b64 s[4:5], -1
                                        ; implicit-def: $sgpr10
	s_and_saveexec_b64 s[8:9], vcc
; %bb.3446:
	s_mov_b32 s10, 0x7f800001
	s_xor_b64 s[4:5], exec, -1
; %bb.3447:
	s_or_b64 exec, exec, s[8:9]
	s_and_b64 s[4:5], s[4:5], exec
                                        ; implicit-def: $vgpr11
	s_or_saveexec_b64 s[6:7], s[6:7]
	v_mov_b32_e32 v12, s10
	s_xor_b64 exec, exec, s[6:7]
	s_cbranch_execz .LBB15_1398
.LBB15_3448:
	v_cmp_ne_u16_e32 vcc, 0, v11
	s_andn2_b64 s[4:5], s[4:5], exec
	s_and_b64 s[8:9], vcc, exec
	v_mov_b32_e32 v12, 0
	s_or_b64 s[4:5], s[4:5], s[8:9]
	s_or_b64 exec, exec, s[6:7]
	s_and_saveexec_b64 s[6:7], s[4:5]
	s_cbranch_execnz .LBB15_1399
	s_branch .LBB15_1400
.LBB15_3449:
	s_movk_i32 s4, 0x80
	v_cmp_eq_u16_sdwa s[12:13], v17, s4 src0_sel:BYTE_3 src1_sel:DWORD
	s_mov_b64 s[4:5], -1
                                        ; implicit-def: $sgpr10
	s_and_saveexec_b64 s[8:9], s[12:13]
; %bb.3450:
	s_mov_b32 s10, 0x7f800001
	s_xor_b64 s[4:5], exec, -1
; %bb.3451:
	s_or_b64 exec, exec, s[8:9]
	s_and_b64 s[4:5], s[4:5], exec
	s_or_saveexec_b64 s[6:7], s[6:7]
	v_mov_b32_e32 v10, s10
	s_xor_b64 exec, exec, s[6:7]
	s_cbranch_execz .LBB15_1402
.LBB15_3452:
	v_mov_b32_e32 v10, 0
	v_cmp_ne_u16_sdwa s[8:9], v17, v10 src0_sel:BYTE_3 src1_sel:DWORD
	s_andn2_b64 s[4:5], s[4:5], exec
	s_and_b64 s[8:9], s[8:9], exec
	s_or_b64 s[4:5], s[4:5], s[8:9]
	s_or_b64 exec, exec, s[6:7]
	s_and_saveexec_b64 s[6:7], s[4:5]
	s_cbranch_execnz .LBB15_1403
	s_branch .LBB15_1404
.LBB15_3453:
	s_movk_i32 s4, 0x80
	v_cmp_eq_u16_sdwa s[12:13], v13, s4 src0_sel:BYTE_3 src1_sel:DWORD
	s_mov_b64 s[4:5], -1
                                        ; implicit-def: $sgpr10
	s_and_saveexec_b64 s[8:9], s[12:13]
; %bb.3454:
	s_mov_b32 s10, 0x7f800001
	s_xor_b64 s[4:5], exec, -1
; %bb.3455:
	s_or_b64 exec, exec, s[8:9]
	s_and_b64 s[4:5], s[4:5], exec
	s_or_saveexec_b64 s[6:7], s[6:7]
	v_mov_b32_e32 v11, s10
	s_xor_b64 exec, exec, s[6:7]
	s_cbranch_execz .LBB15_1406
.LBB15_3456:
	v_mov_b32_e32 v11, 0
	v_cmp_ne_u16_sdwa s[8:9], v13, v11 src0_sel:BYTE_3 src1_sel:DWORD
	s_andn2_b64 s[4:5], s[4:5], exec
	s_and_b64 s[8:9], s[8:9], exec
	s_or_b64 s[4:5], s[4:5], s[8:9]
	s_or_b64 exec, exec, s[6:7]
	s_and_saveexec_b64 s[6:7], s[4:5]
	s_cbranch_execnz .LBB15_1407
	s_branch .LBB15_1408
.LBB15_3457:
	s_movk_i32 s4, 0x80
	v_cmp_eq_u16_sdwa s[12:13], v6, s4 src0_sel:BYTE_0 src1_sel:DWORD
	s_mov_b64 s[4:5], -1
                                        ; implicit-def: $sgpr10
	s_and_saveexec_b64 s[8:9], s[12:13]
; %bb.3458:
	s_mov_b32 s10, 0x7f800001
	s_xor_b64 s[4:5], exec, -1
; %bb.3459:
	s_or_b64 exec, exec, s[8:9]
	s_and_b64 s[4:5], s[4:5], exec
	s_or_saveexec_b64 s[6:7], s[6:7]
	v_mov_b32_e32 v10, s10
	s_xor_b64 exec, exec, s[6:7]
	s_cbranch_execz .LBB15_1410
.LBB15_3460:
	v_mov_b32_e32 v10, 0
	v_cmp_ne_u16_sdwa s[8:9], v6, v10 src0_sel:BYTE_0 src1_sel:DWORD
	s_andn2_b64 s[4:5], s[4:5], exec
	s_and_b64 s[8:9], s[8:9], exec
	s_or_b64 s[4:5], s[4:5], s[8:9]
	s_or_b64 exec, exec, s[6:7]
	s_and_saveexec_b64 s[6:7], s[4:5]
	s_cbranch_execnz .LBB15_1411
	s_branch .LBB15_1412
.LBB15_3461:
	s_movk_i32 s4, 0x80
	v_cmp_eq_u16_sdwa s[12:13], v2, s4 src0_sel:BYTE_0 src1_sel:DWORD
	s_mov_b64 s[4:5], -1
                                        ; implicit-def: $sgpr10
	s_and_saveexec_b64 s[8:9], s[12:13]
; %bb.3462:
	s_mov_b32 s10, 0x7f800001
	s_xor_b64 s[4:5], exec, -1
; %bb.3463:
	s_or_b64 exec, exec, s[8:9]
	s_and_b64 s[4:5], s[4:5], exec
	s_or_saveexec_b64 s[6:7], s[6:7]
	v_mov_b32_e32 v11, s10
	s_xor_b64 exec, exec, s[6:7]
	s_cbranch_execz .LBB15_1414
.LBB15_3464:
	v_mov_b32_e32 v11, 0
	v_cmp_ne_u16_sdwa s[8:9], v2, v11 src0_sel:BYTE_0 src1_sel:DWORD
	s_andn2_b64 s[4:5], s[4:5], exec
	s_and_b64 s[8:9], s[8:9], exec
	s_or_b64 s[4:5], s[4:5], s[8:9]
	s_or_b64 exec, exec, s[6:7]
	s_and_saveexec_b64 s[6:7], s[4:5]
	s_cbranch_execnz .LBB15_1415
	s_branch .LBB15_1416
.LBB15_3465:
	s_movk_i32 s4, 0x80
	v_cmp_eq_u16_sdwa s[12:13], v11, s4 src0_sel:BYTE_0 src1_sel:DWORD
	s_mov_b64 s[4:5], -1
                                        ; implicit-def: $sgpr10
	s_and_saveexec_b64 s[8:9], s[12:13]
; %bb.3466:
	s_mov_b32 s10, 0x7f800001
	s_xor_b64 s[4:5], exec, -1
; %bb.3467:
	s_or_b64 exec, exec, s[8:9]
	s_and_b64 s[4:5], s[4:5], exec
	s_or_saveexec_b64 s[6:7], s[6:7]
	v_mov_b32_e32 v10, s10
	s_xor_b64 exec, exec, s[6:7]
	s_cbranch_execz .LBB15_1418
.LBB15_3468:
	v_mov_b32_e32 v10, 0
	v_cmp_ne_u16_sdwa s[8:9], v11, v10 src0_sel:BYTE_0 src1_sel:DWORD
	s_andn2_b64 s[4:5], s[4:5], exec
	s_and_b64 s[8:9], s[8:9], exec
	s_or_b64 s[4:5], s[4:5], s[8:9]
	s_or_b64 exec, exec, s[6:7]
	s_and_saveexec_b64 s[6:7], s[4:5]
	s_cbranch_execnz .LBB15_1419
	s_branch .LBB15_1420
.LBB15_3469:
	s_movk_i32 s4, 0x80
	v_cmp_eq_u16_sdwa s[12:13], v11, s4 src0_sel:BYTE_0 src1_sel:DWORD
	s_mov_b64 s[4:5], -1
                                        ; implicit-def: $sgpr10
	s_and_saveexec_b64 s[8:9], s[12:13]
; %bb.3470:
	s_mov_b32 s10, 0x7f800001
	s_xor_b64 s[4:5], exec, -1
; %bb.3471:
	s_or_b64 exec, exec, s[8:9]
	s_and_b64 s[4:5], s[4:5], exec
	s_or_saveexec_b64 s[6:7], s[6:7]
	v_mov_b32_e32 v12, s10
	s_xor_b64 exec, exec, s[6:7]
	s_cbranch_execz .LBB15_1422
.LBB15_3472:
	v_mov_b32_e32 v12, 0
	v_cmp_ne_u16_sdwa s[8:9], v11, v12 src0_sel:BYTE_0 src1_sel:DWORD
	s_andn2_b64 s[4:5], s[4:5], exec
	s_and_b64 s[8:9], s[8:9], exec
	s_or_b64 s[4:5], s[4:5], s[8:9]
	s_or_b64 exec, exec, s[6:7]
	s_and_saveexec_b64 s[6:7], s[4:5]
	s_cbranch_execnz .LBB15_1423
	s_branch .LBB15_1424
.LBB15_3473:
	s_movk_i32 s4, 0x80
	v_cmp_eq_u16_e32 vcc, s4, v11
	s_mov_b64 s[4:5], -1
                                        ; implicit-def: $sgpr10
	s_and_saveexec_b64 s[8:9], vcc
; %bb.3474:
	s_mov_b32 s10, 0x7f800001
	s_xor_b64 s[4:5], exec, -1
; %bb.3475:
	s_or_b64 exec, exec, s[8:9]
	s_and_b64 s[4:5], s[4:5], exec
                                        ; implicit-def: $vgpr11
	s_or_saveexec_b64 s[6:7], s[6:7]
	v_mov_b32_e32 v10, s10
	s_xor_b64 exec, exec, s[6:7]
	s_cbranch_execz .LBB15_1426
.LBB15_3476:
	v_cmp_ne_u16_e32 vcc, 0, v11
	s_andn2_b64 s[4:5], s[4:5], exec
	s_and_b64 s[8:9], vcc, exec
	v_mov_b32_e32 v10, 0
	s_or_b64 s[4:5], s[4:5], s[8:9]
	s_or_b64 exec, exec, s[6:7]
	s_and_saveexec_b64 s[6:7], s[4:5]
	s_cbranch_execnz .LBB15_1427
	s_branch .LBB15_1428
.LBB15_3477:
	s_movk_i32 s4, 0x80
	v_cmp_eq_u16_e32 vcc, s4, v11
	s_mov_b64 s[4:5], -1
                                        ; implicit-def: $sgpr10
	s_and_saveexec_b64 s[8:9], vcc
; %bb.3478:
	s_mov_b32 s10, 0x7f800001
	s_xor_b64 s[4:5], exec, -1
; %bb.3479:
	s_or_b64 exec, exec, s[8:9]
	s_and_b64 s[4:5], s[4:5], exec
                                        ; implicit-def: $vgpr11
	s_or_saveexec_b64 s[6:7], s[6:7]
	v_mov_b32_e32 v12, s10
	s_xor_b64 exec, exec, s[6:7]
	s_cbranch_execz .LBB15_1430
.LBB15_3480:
	v_cmp_ne_u16_e32 vcc, 0, v11
	s_andn2_b64 s[4:5], s[4:5], exec
	s_and_b64 s[8:9], vcc, exec
	v_mov_b32_e32 v12, 0
	s_or_b64 s[4:5], s[4:5], s[8:9]
	s_or_b64 exec, exec, s[6:7]
	s_and_saveexec_b64 s[6:7], s[4:5]
	s_cbranch_execnz .LBB15_1431
	s_branch .LBB15_1432
.LBB15_3481:
	s_movk_i32 s4, 0x80
	v_cmp_eq_u16_sdwa s[12:13], v6, s4 src0_sel:BYTE_3 src1_sel:DWORD
	s_mov_b64 s[4:5], -1
                                        ; implicit-def: $sgpr10
	s_and_saveexec_b64 s[8:9], s[12:13]
; %bb.3482:
	s_mov_b32 s10, 0x7f800001
	s_xor_b64 s[4:5], exec, -1
; %bb.3483:
	s_or_b64 exec, exec, s[8:9]
	s_and_b64 s[4:5], s[4:5], exec
	s_or_saveexec_b64 s[6:7], s[6:7]
	v_mov_b32_e32 v10, s10
	s_xor_b64 exec, exec, s[6:7]
	s_cbranch_execz .LBB15_1434
.LBB15_3484:
	v_mov_b32_e32 v10, 0
	v_cmp_ne_u16_sdwa s[8:9], v6, v10 src0_sel:BYTE_3 src1_sel:DWORD
	s_andn2_b64 s[4:5], s[4:5], exec
	s_and_b64 s[8:9], s[8:9], exec
	s_or_b64 s[4:5], s[4:5], s[8:9]
	s_or_b64 exec, exec, s[6:7]
	s_and_saveexec_b64 s[6:7], s[4:5]
	s_cbranch_execnz .LBB15_1435
	s_branch .LBB15_1436
.LBB15_3485:
	s_movk_i32 s4, 0x80
	v_cmp_eq_u16_sdwa s[12:13], v2, s4 src0_sel:BYTE_3 src1_sel:DWORD
	s_mov_b64 s[4:5], -1
                                        ; implicit-def: $sgpr10
	s_and_saveexec_b64 s[8:9], s[12:13]
; %bb.3486:
	s_mov_b32 s10, 0x7f800001
	s_xor_b64 s[4:5], exec, -1
; %bb.3487:
	s_or_b64 exec, exec, s[8:9]
	s_and_b64 s[4:5], s[4:5], exec
	s_or_saveexec_b64 s[6:7], s[6:7]
	v_mov_b32_e32 v6, s10
	s_xor_b64 exec, exec, s[6:7]
	s_cbranch_execz .LBB15_1438
.LBB15_3488:
	v_mov_b32_e32 v6, 0
	v_cmp_ne_u16_sdwa s[8:9], v2, v6 src0_sel:BYTE_3 src1_sel:DWORD
	s_andn2_b64 s[4:5], s[4:5], exec
	s_and_b64 s[8:9], s[8:9], exec
	s_or_b64 s[4:5], s[4:5], s[8:9]
	s_or_b64 exec, exec, s[6:7]
	s_and_saveexec_b64 s[6:7], s[4:5]
	s_cbranch_execnz .LBB15_1439
	s_branch .LBB15_1440
.LBB15_3489:
	s_movk_i32 s4, 0x80
	v_cmp_eq_u16_sdwa s[12:13], v7, s4 src0_sel:BYTE_0 src1_sel:DWORD
	s_mov_b64 s[4:5], -1
                                        ; implicit-def: $sgpr10
	s_and_saveexec_b64 s[8:9], s[12:13]
; %bb.3490:
	s_mov_b32 s10, 0x7f800001
	s_xor_b64 s[4:5], exec, -1
; %bb.3491:
	s_or_b64 exec, exec, s[8:9]
	s_and_b64 s[4:5], s[4:5], exec
	s_or_saveexec_b64 s[6:7], s[6:7]
	v_mov_b32_e32 v2, s10
	s_xor_b64 exec, exec, s[6:7]
	s_cbranch_execz .LBB15_1442
.LBB15_3492:
	v_mov_b32_e32 v2, 0
	v_cmp_ne_u16_sdwa s[8:9], v7, v2 src0_sel:BYTE_0 src1_sel:DWORD
	s_andn2_b64 s[4:5], s[4:5], exec
	s_and_b64 s[8:9], s[8:9], exec
	s_or_b64 s[4:5], s[4:5], s[8:9]
	s_or_b64 exec, exec, s[6:7]
	s_and_saveexec_b64 s[6:7], s[4:5]
	s_cbranch_execnz .LBB15_1443
	s_branch .LBB15_1444
.LBB15_3493:
	s_movk_i32 s4, 0x80
	v_cmp_eq_u16_sdwa s[12:13], v3, s4 src0_sel:BYTE_0 src1_sel:DWORD
	s_mov_b64 s[4:5], -1
                                        ; implicit-def: $sgpr10
	s_and_saveexec_b64 s[8:9], s[12:13]
; %bb.3494:
	s_mov_b32 s10, 0x7f800001
	s_xor_b64 s[4:5], exec, -1
; %bb.3495:
	s_or_b64 exec, exec, s[8:9]
	s_and_b64 s[4:5], s[4:5], exec
	s_or_saveexec_b64 s[6:7], s[6:7]
	v_mov_b32_e32 v6, s10
	s_xor_b64 exec, exec, s[6:7]
	s_cbranch_execz .LBB15_1446
.LBB15_3496:
	v_mov_b32_e32 v6, 0
	v_cmp_ne_u16_sdwa s[8:9], v3, v6 src0_sel:BYTE_0 src1_sel:DWORD
	s_andn2_b64 s[4:5], s[4:5], exec
	s_and_b64 s[8:9], s[8:9], exec
	s_or_b64 s[4:5], s[4:5], s[8:9]
	s_or_b64 exec, exec, s[6:7]
	s_and_saveexec_b64 s[6:7], s[4:5]
	s_cbranch_execnz .LBB15_1447
	s_branch .LBB15_1448
.LBB15_3497:
	s_movk_i32 s4, 0x80
	v_cmp_eq_u16_sdwa s[12:13], v6, s4 src0_sel:BYTE_0 src1_sel:DWORD
	s_mov_b64 s[4:5], -1
                                        ; implicit-def: $sgpr10
	s_and_saveexec_b64 s[8:9], s[12:13]
; %bb.3498:
	s_mov_b32 s10, 0x7f800001
	s_xor_b64 s[4:5], exec, -1
; %bb.3499:
	s_or_b64 exec, exec, s[8:9]
	s_and_b64 s[4:5], s[4:5], exec
	s_or_saveexec_b64 s[6:7], s[6:7]
	v_mov_b32_e32 v2, s10
	s_xor_b64 exec, exec, s[6:7]
	s_cbranch_execz .LBB15_1450
.LBB15_3500:
	v_mov_b32_e32 v2, 0
	v_cmp_ne_u16_sdwa s[8:9], v6, v2 src0_sel:BYTE_0 src1_sel:DWORD
	s_andn2_b64 s[4:5], s[4:5], exec
	s_and_b64 s[8:9], s[8:9], exec
	s_or_b64 s[4:5], s[4:5], s[8:9]
	s_or_b64 exec, exec, s[6:7]
	s_and_saveexec_b64 s[6:7], s[4:5]
	s_cbranch_execnz .LBB15_1451
	s_branch .LBB15_1452
.LBB15_3501:
	s_movk_i32 s4, 0x80
	v_cmp_eq_u16_sdwa s[12:13], v6, s4 src0_sel:BYTE_0 src1_sel:DWORD
	s_mov_b64 s[4:5], -1
                                        ; implicit-def: $sgpr10
	s_and_saveexec_b64 s[8:9], s[12:13]
; %bb.3502:
	s_mov_b32 s10, 0x7f800001
	s_xor_b64 s[4:5], exec, -1
; %bb.3503:
	s_or_b64 exec, exec, s[8:9]
	s_and_b64 s[4:5], s[4:5], exec
	s_or_saveexec_b64 s[6:7], s[6:7]
	v_mov_b32_e32 v10, s10
	s_xor_b64 exec, exec, s[6:7]
	s_cbranch_execz .LBB15_1454
.LBB15_3504:
	v_mov_b32_e32 v10, 0
	v_cmp_ne_u16_sdwa s[8:9], v6, v10 src0_sel:BYTE_0 src1_sel:DWORD
	s_andn2_b64 s[4:5], s[4:5], exec
	s_and_b64 s[8:9], s[8:9], exec
	s_or_b64 s[4:5], s[4:5], s[8:9]
	s_or_b64 exec, exec, s[6:7]
	s_and_saveexec_b64 s[6:7], s[4:5]
	s_cbranch_execnz .LBB15_1455
	s_branch .LBB15_1456
.LBB15_3505:
	s_movk_i32 s4, 0x80
	v_cmp_eq_u16_e32 vcc, s4, v6
	s_mov_b64 s[4:5], -1
                                        ; implicit-def: $sgpr10
	s_and_saveexec_b64 s[8:9], vcc
; %bb.3506:
	s_mov_b32 s10, 0x7f800001
	s_xor_b64 s[4:5], exec, -1
; %bb.3507:
	s_or_b64 exec, exec, s[8:9]
	s_and_b64 s[4:5], s[4:5], exec
                                        ; implicit-def: $vgpr6
	s_or_saveexec_b64 s[6:7], s[6:7]
	v_mov_b32_e32 v2, s10
	s_xor_b64 exec, exec, s[6:7]
	s_cbranch_execz .LBB15_1458
.LBB15_3508:
	v_cmp_ne_u16_e32 vcc, 0, v6
	s_andn2_b64 s[4:5], s[4:5], exec
	s_and_b64 s[8:9], vcc, exec
	v_mov_b32_e32 v2, 0
	s_or_b64 s[4:5], s[4:5], s[8:9]
	s_or_b64 exec, exec, s[6:7]
	s_and_saveexec_b64 s[6:7], s[4:5]
	s_cbranch_execnz .LBB15_1459
	s_branch .LBB15_1460
.LBB15_3509:
	s_movk_i32 s4, 0x80
	v_cmp_eq_u16_e32 vcc, s4, v6
	s_mov_b64 s[4:5], -1
                                        ; implicit-def: $sgpr10
	s_and_saveexec_b64 s[8:9], vcc
; %bb.3510:
	s_mov_b32 s10, 0x7f800001
	s_xor_b64 s[4:5], exec, -1
; %bb.3511:
	s_or_b64 exec, exec, s[8:9]
	s_and_b64 s[4:5], s[4:5], exec
                                        ; implicit-def: $vgpr6
	s_or_saveexec_b64 s[6:7], s[6:7]
	v_mov_b32_e32 v10, s10
	s_xor_b64 exec, exec, s[6:7]
	s_cbranch_execz .LBB15_1462
.LBB15_3512:
	v_cmp_ne_u16_e32 vcc, 0, v6
	s_andn2_b64 s[4:5], s[4:5], exec
	s_and_b64 s[8:9], vcc, exec
	v_mov_b32_e32 v10, 0
	s_or_b64 s[4:5], s[4:5], s[8:9]
	s_or_b64 exec, exec, s[6:7]
	s_and_saveexec_b64 s[6:7], s[4:5]
	s_cbranch_execnz .LBB15_1463
	s_branch .LBB15_1464
.LBB15_3513:
	s_movk_i32 s4, 0x80
	v_cmp_eq_u16_sdwa s[12:13], v7, s4 src0_sel:BYTE_3 src1_sel:DWORD
	s_mov_b64 s[4:5], -1
                                        ; implicit-def: $sgpr10
	s_and_saveexec_b64 s[8:9], s[12:13]
; %bb.3514:
	s_mov_b32 s10, 0x7f800001
	s_xor_b64 s[4:5], exec, -1
; %bb.3515:
	s_or_b64 exec, exec, s[8:9]
	s_and_b64 s[4:5], s[4:5], exec
	s_or_saveexec_b64 s[6:7], s[6:7]
	v_mov_b32_e32 v2, s10
	s_xor_b64 exec, exec, s[6:7]
	s_cbranch_execz .LBB15_1466
.LBB15_3516:
	v_mov_b32_e32 v2, 0
	v_cmp_ne_u16_sdwa s[8:9], v7, v2 src0_sel:BYTE_3 src1_sel:DWORD
	s_andn2_b64 s[4:5], s[4:5], exec
	s_and_b64 s[8:9], s[8:9], exec
	s_or_b64 s[4:5], s[4:5], s[8:9]
	s_or_b64 exec, exec, s[6:7]
	s_and_saveexec_b64 s[6:7], s[4:5]
	s_cbranch_execnz .LBB15_1467
	s_branch .LBB15_1468
.LBB15_3517:
	s_movk_i32 s4, 0x80
	v_cmp_eq_u16_sdwa s[12:13], v3, s4 src0_sel:BYTE_3 src1_sel:DWORD
	s_mov_b64 s[4:5], -1
                                        ; implicit-def: $sgpr10
	s_and_saveexec_b64 s[8:9], s[12:13]
; %bb.3518:
	s_mov_b32 s10, 0x7f800001
	s_xor_b64 s[4:5], exec, -1
; %bb.3519:
	s_or_b64 exec, exec, s[8:9]
	s_and_b64 s[4:5], s[4:5], exec
	s_or_saveexec_b64 s[6:7], s[6:7]
	v_mov_b32_e32 v6, s10
	s_xor_b64 exec, exec, s[6:7]
	s_cbranch_execz .LBB15_1470
.LBB15_3520:
	v_mov_b32_e32 v6, 0
	v_cmp_ne_u16_sdwa s[8:9], v3, v6 src0_sel:BYTE_3 src1_sel:DWORD
	s_andn2_b64 s[4:5], s[4:5], exec
	s_and_b64 s[8:9], s[8:9], exec
	s_or_b64 s[4:5], s[4:5], s[8:9]
	s_or_b64 exec, exec, s[6:7]
	s_and_saveexec_b64 s[6:7], s[4:5]
	s_cbranch_execnz .LBB15_1471
	s_branch .LBB15_1472
.LBB15_3521:
	s_movk_i32 s4, 0x80
	v_cmp_eq_u16_sdwa s[12:13], v8, s4 src0_sel:BYTE_0 src1_sel:DWORD
	s_mov_b64 s[4:5], -1
                                        ; implicit-def: $sgpr10
	s_and_saveexec_b64 s[8:9], s[12:13]
; %bb.3522:
	s_mov_b32 s10, 0x7f800001
	s_xor_b64 s[4:5], exec, -1
; %bb.3523:
	s_or_b64 exec, exec, s[8:9]
	s_and_b64 s[4:5], s[4:5], exec
	s_or_saveexec_b64 s[6:7], s[6:7]
	v_mov_b32_e32 v2, s10
	s_xor_b64 exec, exec, s[6:7]
	s_cbranch_execz .LBB15_1474
.LBB15_3524:
	v_mov_b32_e32 v2, 0
	v_cmp_ne_u16_sdwa s[8:9], v8, v2 src0_sel:BYTE_0 src1_sel:DWORD
	s_andn2_b64 s[4:5], s[4:5], exec
	s_and_b64 s[8:9], s[8:9], exec
	s_or_b64 s[4:5], s[4:5], s[8:9]
	s_or_b64 exec, exec, s[6:7]
	s_and_saveexec_b64 s[6:7], s[4:5]
	s_cbranch_execnz .LBB15_1475
	s_branch .LBB15_1476
.LBB15_3525:
	s_movk_i32 s4, 0x80
	v_cmp_eq_u16_sdwa s[12:13], v4, s4 src0_sel:BYTE_0 src1_sel:DWORD
	s_mov_b64 s[4:5], -1
                                        ; implicit-def: $sgpr10
	s_and_saveexec_b64 s[8:9], s[12:13]
; %bb.3526:
	s_mov_b32 s10, 0x7f800001
	s_xor_b64 s[4:5], exec, -1
; %bb.3527:
	s_or_b64 exec, exec, s[8:9]
	s_and_b64 s[4:5], s[4:5], exec
	s_or_saveexec_b64 s[6:7], s[6:7]
	v_mov_b32_e32 v3, s10
	s_xor_b64 exec, exec, s[6:7]
	s_cbranch_execz .LBB15_1478
.LBB15_3528:
	v_mov_b32_e32 v3, 0
	v_cmp_ne_u16_sdwa s[8:9], v4, v3 src0_sel:BYTE_0 src1_sel:DWORD
	s_andn2_b64 s[4:5], s[4:5], exec
	s_and_b64 s[8:9], s[8:9], exec
	s_or_b64 s[4:5], s[4:5], s[8:9]
	s_or_b64 exec, exec, s[6:7]
	s_and_saveexec_b64 s[6:7], s[4:5]
	s_cbranch_execnz .LBB15_1479
	s_branch .LBB15_1480
.LBB15_3529:
	s_movk_i32 s4, 0x80
	v_cmp_eq_u16_sdwa s[12:13], v3, s4 src0_sel:BYTE_0 src1_sel:DWORD
	s_mov_b64 s[4:5], -1
                                        ; implicit-def: $sgpr10
	s_and_saveexec_b64 s[8:9], s[12:13]
; %bb.3530:
	s_mov_b32 s10, 0x7f800001
	s_xor_b64 s[4:5], exec, -1
; %bb.3531:
	s_or_b64 exec, exec, s[8:9]
	s_and_b64 s[4:5], s[4:5], exec
	s_or_saveexec_b64 s[6:7], s[6:7]
	v_mov_b32_e32 v2, s10
	s_xor_b64 exec, exec, s[6:7]
	s_cbranch_execz .LBB15_1482
.LBB15_3532:
	v_mov_b32_e32 v2, 0
	v_cmp_ne_u16_sdwa s[8:9], v3, v2 src0_sel:BYTE_0 src1_sel:DWORD
	s_andn2_b64 s[4:5], s[4:5], exec
	s_and_b64 s[8:9], s[8:9], exec
	s_or_b64 s[4:5], s[4:5], s[8:9]
	s_or_b64 exec, exec, s[6:7]
	s_and_saveexec_b64 s[6:7], s[4:5]
	s_cbranch_execnz .LBB15_1483
	s_branch .LBB15_1484
.LBB15_3533:
	s_movk_i32 s4, 0x80
	v_cmp_eq_u16_sdwa s[12:13], v3, s4 src0_sel:BYTE_0 src1_sel:DWORD
	s_mov_b64 s[4:5], -1
                                        ; implicit-def: $sgpr10
	s_and_saveexec_b64 s[8:9], s[12:13]
; %bb.3534:
	s_mov_b32 s10, 0x7f800001
	s_xor_b64 s[4:5], exec, -1
; %bb.3535:
	s_or_b64 exec, exec, s[8:9]
	s_and_b64 s[4:5], s[4:5], exec
	s_or_saveexec_b64 s[6:7], s[6:7]
	v_mov_b32_e32 v6, s10
	s_xor_b64 exec, exec, s[6:7]
	s_cbranch_execz .LBB15_1486
.LBB15_3536:
	v_mov_b32_e32 v6, 0
	v_cmp_ne_u16_sdwa s[8:9], v3, v6 src0_sel:BYTE_0 src1_sel:DWORD
	s_andn2_b64 s[4:5], s[4:5], exec
	s_and_b64 s[8:9], s[8:9], exec
	s_or_b64 s[4:5], s[4:5], s[8:9]
	s_or_b64 exec, exec, s[6:7]
	s_and_saveexec_b64 s[6:7], s[4:5]
	s_cbranch_execnz .LBB15_1487
	s_branch .LBB15_1488
.LBB15_3537:
	s_movk_i32 s4, 0x80
	v_cmp_eq_u16_e32 vcc, s4, v3
	s_mov_b64 s[4:5], -1
                                        ; implicit-def: $sgpr10
	s_and_saveexec_b64 s[8:9], vcc
; %bb.3538:
	s_mov_b32 s10, 0x7f800001
	s_xor_b64 s[4:5], exec, -1
; %bb.3539:
	s_or_b64 exec, exec, s[8:9]
	s_and_b64 s[4:5], s[4:5], exec
                                        ; implicit-def: $vgpr3
	s_or_saveexec_b64 s[6:7], s[6:7]
	v_mov_b32_e32 v2, s10
	s_xor_b64 exec, exec, s[6:7]
	s_cbranch_execz .LBB15_1490
.LBB15_3540:
	v_cmp_ne_u16_e32 vcc, 0, v3
	s_andn2_b64 s[4:5], s[4:5], exec
	s_and_b64 s[8:9], vcc, exec
	v_mov_b32_e32 v2, 0
	s_or_b64 s[4:5], s[4:5], s[8:9]
	s_or_b64 exec, exec, s[6:7]
	s_and_saveexec_b64 s[6:7], s[4:5]
	s_cbranch_execnz .LBB15_1491
	s_branch .LBB15_1492
.LBB15_3541:
	s_movk_i32 s4, 0x80
	v_cmp_eq_u16_e32 vcc, s4, v3
	s_mov_b64 s[4:5], -1
                                        ; implicit-def: $sgpr10
	s_and_saveexec_b64 s[8:9], vcc
; %bb.3542:
	s_mov_b32 s10, 0x7f800001
	s_xor_b64 s[4:5], exec, -1
; %bb.3543:
	s_or_b64 exec, exec, s[8:9]
	s_and_b64 s[4:5], s[4:5], exec
                                        ; implicit-def: $vgpr3
	s_or_saveexec_b64 s[6:7], s[6:7]
	v_mov_b32_e32 v6, s10
	s_xor_b64 exec, exec, s[6:7]
	s_cbranch_execz .LBB15_1494
.LBB15_3544:
	v_cmp_ne_u16_e32 vcc, 0, v3
	s_andn2_b64 s[4:5], s[4:5], exec
	s_and_b64 s[8:9], vcc, exec
	v_mov_b32_e32 v6, 0
	s_or_b64 s[4:5], s[4:5], s[8:9]
	s_or_b64 exec, exec, s[6:7]
	s_and_saveexec_b64 s[6:7], s[4:5]
	s_cbranch_execnz .LBB15_1495
	s_branch .LBB15_1496
.LBB15_3545:
	s_movk_i32 s4, 0x80
	v_cmp_eq_u16_sdwa s[12:13], v8, s4 src0_sel:BYTE_3 src1_sel:DWORD
	s_mov_b64 s[4:5], -1
                                        ; implicit-def: $sgpr10
	s_and_saveexec_b64 s[8:9], s[12:13]
; %bb.3546:
	s_mov_b32 s10, 0x7f800001
	s_xor_b64 s[4:5], exec, -1
; %bb.3547:
	s_or_b64 exec, exec, s[8:9]
	s_and_b64 s[4:5], s[4:5], exec
	s_or_saveexec_b64 s[6:7], s[6:7]
	v_mov_b32_e32 v2, s10
	s_xor_b64 exec, exec, s[6:7]
	s_cbranch_execz .LBB15_1498
.LBB15_3548:
	v_mov_b32_e32 v2, 0
	v_cmp_ne_u16_sdwa s[8:9], v8, v2 src0_sel:BYTE_3 src1_sel:DWORD
	s_andn2_b64 s[4:5], s[4:5], exec
	s_and_b64 s[8:9], s[8:9], exec
	s_or_b64 s[4:5], s[4:5], s[8:9]
	s_or_b64 exec, exec, s[6:7]
	s_and_saveexec_b64 s[6:7], s[4:5]
	s_cbranch_execnz .LBB15_1499
	s_branch .LBB15_1500
.LBB15_3549:
	s_movk_i32 s4, 0x80
	v_cmp_eq_u16_sdwa s[12:13], v4, s4 src0_sel:BYTE_3 src1_sel:DWORD
	s_mov_b64 s[4:5], -1
                                        ; implicit-def: $sgpr10
	s_and_saveexec_b64 s[8:9], s[12:13]
; %bb.3550:
	s_mov_b32 s10, 0x7f800001
	s_xor_b64 s[4:5], exec, -1
; %bb.3551:
	s_or_b64 exec, exec, s[8:9]
	s_and_b64 s[4:5], s[4:5], exec
	s_or_saveexec_b64 s[6:7], s[6:7]
	v_mov_b32_e32 v3, s10
	s_xor_b64 exec, exec, s[6:7]
	s_cbranch_execz .LBB15_1502
.LBB15_3552:
	v_mov_b32_e32 v3, 0
	v_cmp_ne_u16_sdwa s[8:9], v4, v3 src0_sel:BYTE_3 src1_sel:DWORD
	s_andn2_b64 s[4:5], s[4:5], exec
	s_and_b64 s[8:9], s[8:9], exec
	s_or_b64 s[4:5], s[4:5], s[8:9]
	s_or_b64 exec, exec, s[6:7]
	s_and_saveexec_b64 s[6:7], s[4:5]
	s_cbranch_execnz .LBB15_1503
	s_branch .LBB15_1504
.LBB15_3553:
	s_movk_i32 s4, 0x80
	v_cmp_eq_u16_sdwa s[12:13], v9, s4 src0_sel:BYTE_0 src1_sel:DWORD
	s_mov_b64 s[4:5], -1
                                        ; implicit-def: $sgpr10
	s_and_saveexec_b64 s[8:9], s[12:13]
; %bb.3554:
	s_mov_b32 s10, 0x7f800001
	s_xor_b64 s[4:5], exec, -1
; %bb.3555:
	s_or_b64 exec, exec, s[8:9]
	s_and_b64 s[4:5], s[4:5], exec
	s_or_saveexec_b64 s[6:7], s[6:7]
	v_mov_b32_e32 v2, s10
	s_xor_b64 exec, exec, s[6:7]
	s_cbranch_execz .LBB15_1506
.LBB15_3556:
	v_mov_b32_e32 v2, 0
	v_cmp_ne_u16_sdwa s[8:9], v9, v2 src0_sel:BYTE_0 src1_sel:DWORD
	s_andn2_b64 s[4:5], s[4:5], exec
	s_and_b64 s[8:9], s[8:9], exec
	s_or_b64 s[4:5], s[4:5], s[8:9]
	s_or_b64 exec, exec, s[6:7]
	s_and_saveexec_b64 s[6:7], s[4:5]
	s_cbranch_execnz .LBB15_1507
	s_branch .LBB15_1508
.LBB15_3557:
	s_movk_i32 s4, 0x80
	v_cmp_eq_u16_sdwa s[12:13], v5, s4 src0_sel:BYTE_0 src1_sel:DWORD
	s_mov_b64 s[4:5], -1
                                        ; implicit-def: $sgpr10
	s_and_saveexec_b64 s[8:9], s[12:13]
; %bb.3558:
	s_mov_b32 s10, 0x7f800001
	s_xor_b64 s[4:5], exec, -1
; %bb.3559:
	s_or_b64 exec, exec, s[8:9]
	s_and_b64 s[4:5], s[4:5], exec
	s_or_saveexec_b64 s[6:7], s[6:7]
	v_mov_b32_e32 v3, s10
	s_xor_b64 exec, exec, s[6:7]
	s_cbranch_execz .LBB15_1510
.LBB15_3560:
	v_mov_b32_e32 v3, 0
	v_cmp_ne_u16_sdwa s[8:9], v5, v3 src0_sel:BYTE_0 src1_sel:DWORD
	s_andn2_b64 s[4:5], s[4:5], exec
	s_and_b64 s[8:9], s[8:9], exec
	s_or_b64 s[4:5], s[4:5], s[8:9]
	s_or_b64 exec, exec, s[6:7]
	s_and_saveexec_b64 s[6:7], s[4:5]
	s_cbranch_execnz .LBB15_1511
	s_branch .LBB15_1512
.LBB15_3561:
	s_movk_i32 s4, 0x80
	v_cmp_eq_u16_sdwa s[12:13], v3, s4 src0_sel:BYTE_0 src1_sel:DWORD
	s_mov_b64 s[4:5], -1
                                        ; implicit-def: $sgpr10
	s_and_saveexec_b64 s[8:9], s[12:13]
; %bb.3562:
	s_mov_b32 s10, 0x7f800001
	s_xor_b64 s[4:5], exec, -1
; %bb.3563:
	s_or_b64 exec, exec, s[8:9]
	s_and_b64 s[4:5], s[4:5], exec
	s_or_saveexec_b64 s[6:7], s[6:7]
	v_mov_b32_e32 v2, s10
	s_xor_b64 exec, exec, s[6:7]
	s_cbranch_execz .LBB15_1514
.LBB15_3564:
	v_mov_b32_e32 v2, 0
	v_cmp_ne_u16_sdwa s[8:9], v3, v2 src0_sel:BYTE_0 src1_sel:DWORD
	s_andn2_b64 s[4:5], s[4:5], exec
	s_and_b64 s[8:9], s[8:9], exec
	s_or_b64 s[4:5], s[4:5], s[8:9]
	s_or_b64 exec, exec, s[6:7]
	s_and_saveexec_b64 s[6:7], s[4:5]
	s_cbranch_execnz .LBB15_1515
	s_branch .LBB15_1516
.LBB15_3565:
	s_movk_i32 s4, 0x80
	v_cmp_eq_u16_sdwa s[12:13], v3, s4 src0_sel:BYTE_0 src1_sel:DWORD
	s_mov_b64 s[4:5], -1
                                        ; implicit-def: $sgpr10
	s_and_saveexec_b64 s[8:9], s[12:13]
; %bb.3566:
	s_mov_b32 s10, 0x7f800001
	s_xor_b64 s[4:5], exec, -1
; %bb.3567:
	s_or_b64 exec, exec, s[8:9]
	s_and_b64 s[4:5], s[4:5], exec
	s_or_saveexec_b64 s[6:7], s[6:7]
	v_mov_b32_e32 v4, s10
	s_xor_b64 exec, exec, s[6:7]
	s_cbranch_execz .LBB15_1518
.LBB15_3568:
	v_mov_b32_e32 v4, 0
	v_cmp_ne_u16_sdwa s[8:9], v3, v4 src0_sel:BYTE_0 src1_sel:DWORD
	s_andn2_b64 s[4:5], s[4:5], exec
	s_and_b64 s[8:9], s[8:9], exec
	s_or_b64 s[4:5], s[4:5], s[8:9]
	s_or_b64 exec, exec, s[6:7]
	s_and_saveexec_b64 s[6:7], s[4:5]
	s_cbranch_execnz .LBB15_1519
	s_branch .LBB15_1520
.LBB15_3569:
	s_movk_i32 s4, 0x80
	v_cmp_eq_u16_e32 vcc, s4, v3
	s_mov_b64 s[4:5], -1
                                        ; implicit-def: $sgpr10
	s_and_saveexec_b64 s[8:9], vcc
; %bb.3570:
	s_mov_b32 s10, 0x7f800001
	s_xor_b64 s[4:5], exec, -1
; %bb.3571:
	s_or_b64 exec, exec, s[8:9]
	s_and_b64 s[4:5], s[4:5], exec
                                        ; implicit-def: $vgpr3
	s_or_saveexec_b64 s[6:7], s[6:7]
	v_mov_b32_e32 v2, s10
	s_xor_b64 exec, exec, s[6:7]
	s_cbranch_execz .LBB15_1522
.LBB15_3572:
	v_cmp_ne_u16_e32 vcc, 0, v3
	s_andn2_b64 s[4:5], s[4:5], exec
	s_and_b64 s[8:9], vcc, exec
	v_mov_b32_e32 v2, 0
	s_or_b64 s[4:5], s[4:5], s[8:9]
	s_or_b64 exec, exec, s[6:7]
	s_and_saveexec_b64 s[6:7], s[4:5]
	s_cbranch_execnz .LBB15_1523
	s_branch .LBB15_1524
.LBB15_3573:
	s_movk_i32 s4, 0x80
	v_cmp_eq_u16_e32 vcc, s4, v3
	s_mov_b64 s[4:5], -1
                                        ; implicit-def: $sgpr10
	s_and_saveexec_b64 s[8:9], vcc
; %bb.3574:
	s_mov_b32 s10, 0x7f800001
	s_xor_b64 s[4:5], exec, -1
; %bb.3575:
	s_or_b64 exec, exec, s[8:9]
	s_and_b64 s[4:5], s[4:5], exec
                                        ; implicit-def: $vgpr3
	s_or_saveexec_b64 s[6:7], s[6:7]
	v_mov_b32_e32 v4, s10
	s_xor_b64 exec, exec, s[6:7]
	s_cbranch_execz .LBB15_1526
.LBB15_3576:
	v_cmp_ne_u16_e32 vcc, 0, v3
	s_andn2_b64 s[4:5], s[4:5], exec
	s_and_b64 s[8:9], vcc, exec
	v_mov_b32_e32 v4, 0
	s_or_b64 s[4:5], s[4:5], s[8:9]
	s_or_b64 exec, exec, s[6:7]
	s_and_saveexec_b64 s[6:7], s[4:5]
	s_cbranch_execnz .LBB15_1527
	s_branch .LBB15_1528
.LBB15_3577:
	s_movk_i32 s4, 0x80
	v_cmp_eq_u16_sdwa s[12:13], v9, s4 src0_sel:BYTE_3 src1_sel:DWORD
	s_mov_b64 s[4:5], -1
                                        ; implicit-def: $sgpr10
	s_and_saveexec_b64 s[8:9], s[12:13]
; %bb.3578:
	s_mov_b32 s10, 0x7f800001
	s_xor_b64 s[4:5], exec, -1
; %bb.3579:
	s_or_b64 exec, exec, s[8:9]
	s_and_b64 s[4:5], s[4:5], exec
	s_or_saveexec_b64 s[6:7], s[6:7]
	v_mov_b32_e32 v2, s10
	s_xor_b64 exec, exec, s[6:7]
	s_cbranch_execz .LBB15_1530
.LBB15_3580:
	v_mov_b32_e32 v2, 0
	v_cmp_ne_u16_sdwa s[8:9], v9, v2 src0_sel:BYTE_3 src1_sel:DWORD
	s_andn2_b64 s[4:5], s[4:5], exec
	s_and_b64 s[8:9], s[8:9], exec
	s_or_b64 s[4:5], s[4:5], s[8:9]
	s_or_b64 exec, exec, s[6:7]
	s_and_saveexec_b64 s[6:7], s[4:5]
	s_cbranch_execnz .LBB15_1531
	s_branch .LBB15_1532
.LBB15_3581:
	s_movk_i32 s4, 0x80
	v_cmp_eq_u16_sdwa s[12:13], v5, s4 src0_sel:BYTE_3 src1_sel:DWORD
	s_mov_b64 s[4:5], -1
                                        ; implicit-def: $sgpr10
	s_and_saveexec_b64 s[8:9], s[12:13]
; %bb.3582:
	s_mov_b32 s10, 0x7f800001
	s_xor_b64 s[4:5], exec, -1
; %bb.3583:
	s_or_b64 exec, exec, s[8:9]
	s_and_b64 s[4:5], s[4:5], exec
	s_or_saveexec_b64 s[6:7], s[6:7]
	v_mov_b32_e32 v3, s10
	s_xor_b64 exec, exec, s[6:7]
	s_cbranch_execz .LBB15_1534
.LBB15_3584:
	v_mov_b32_e32 v3, 0
	v_cmp_ne_u16_sdwa s[8:9], v5, v3 src0_sel:BYTE_3 src1_sel:DWORD
	s_andn2_b64 s[4:5], s[4:5], exec
	s_and_b64 s[8:9], s[8:9], exec
	s_or_b64 s[4:5], s[4:5], s[8:9]
	s_or_b64 exec, exec, s[6:7]
	s_and_saveexec_b64 s[6:7], s[4:5]
	s_cbranch_execnz .LBB15_1535
	s_branch .LBB15_1536
.LBB15_3585:
	s_movk_i32 s4, 0x80
	v_cmp_eq_u16_sdwa s[12:13], v14, s4 src0_sel:BYTE_0 src1_sel:DWORD
	s_mov_b64 s[4:5], -1
                                        ; implicit-def: $sgpr10
	s_and_saveexec_b64 s[8:9], s[12:13]
; %bb.3586:
	s_mov_b32 s10, 0x7f800001
	s_xor_b64 s[4:5], exec, -1
; %bb.3587:
	s_or_b64 exec, exec, s[8:9]
	s_and_b64 s[4:5], s[4:5], exec
	s_or_saveexec_b64 s[6:7], s[6:7]
	v_mov_b32_e32 v20, s10
	s_xor_b64 exec, exec, s[6:7]
	s_cbranch_execz .LBB15_1538
.LBB15_3588:
	v_mov_b32_e32 v20, 0
	v_cmp_ne_u16_sdwa s[8:9], v14, v20 src0_sel:BYTE_0 src1_sel:DWORD
	s_andn2_b64 s[4:5], s[4:5], exec
	s_and_b64 s[8:9], s[8:9], exec
	s_or_b64 s[4:5], s[4:5], s[8:9]
	s_or_b64 exec, exec, s[6:7]
	s_and_saveexec_b64 s[6:7], s[4:5]
	s_cbranch_execnz .LBB15_1539
	s_branch .LBB15_1540
.LBB15_3589:
	s_movk_i32 s4, 0x80
	v_cmp_eq_u16_sdwa s[12:13], v10, s4 src0_sel:BYTE_0 src1_sel:DWORD
	s_mov_b64 s[4:5], -1
                                        ; implicit-def: $sgpr10
	s_and_saveexec_b64 s[8:9], s[12:13]
; %bb.3590:
	s_mov_b32 s10, 0x7f800001
	s_xor_b64 s[4:5], exec, -1
; %bb.3591:
	s_or_b64 exec, exec, s[8:9]
	s_and_b64 s[4:5], s[4:5], exec
	s_or_saveexec_b64 s[6:7], s[6:7]
	v_mov_b32_e32 v21, s10
	s_xor_b64 exec, exec, s[6:7]
	s_cbranch_execz .LBB15_1542
.LBB15_3592:
	v_mov_b32_e32 v21, 0
	v_cmp_ne_u16_sdwa s[8:9], v10, v21 src0_sel:BYTE_0 src1_sel:DWORD
	s_andn2_b64 s[4:5], s[4:5], exec
	s_and_b64 s[8:9], s[8:9], exec
	s_or_b64 s[4:5], s[4:5], s[8:9]
	s_or_b64 exec, exec, s[6:7]
	s_and_saveexec_b64 s[6:7], s[4:5]
	s_cbranch_execnz .LBB15_1543
	s_branch .LBB15_1544
.LBB15_3593:
	s_movk_i32 s4, 0x80
	v_cmp_eq_u16_sdwa s[12:13], v21, s4 src0_sel:BYTE_0 src1_sel:DWORD
	s_mov_b64 s[4:5], -1
                                        ; implicit-def: $sgpr10
	s_and_saveexec_b64 s[8:9], s[12:13]
; %bb.3594:
	s_mov_b32 s10, 0x7f800001
	s_xor_b64 s[4:5], exec, -1
; %bb.3595:
	s_or_b64 exec, exec, s[8:9]
	s_and_b64 s[4:5], s[4:5], exec
	s_or_saveexec_b64 s[6:7], s[6:7]
	v_mov_b32_e32 v20, s10
	s_xor_b64 exec, exec, s[6:7]
	s_cbranch_execz .LBB15_1546
.LBB15_3596:
	v_mov_b32_e32 v20, 0
	v_cmp_ne_u16_sdwa s[8:9], v21, v20 src0_sel:BYTE_0 src1_sel:DWORD
	s_andn2_b64 s[4:5], s[4:5], exec
	s_and_b64 s[8:9], s[8:9], exec
	s_or_b64 s[4:5], s[4:5], s[8:9]
	s_or_b64 exec, exec, s[6:7]
	s_and_saveexec_b64 s[6:7], s[4:5]
	s_cbranch_execnz .LBB15_1547
	s_branch .LBB15_1548
.LBB15_3597:
	s_movk_i32 s4, 0x80
	v_cmp_eq_u16_sdwa s[12:13], v21, s4 src0_sel:BYTE_0 src1_sel:DWORD
	s_mov_b64 s[4:5], -1
                                        ; implicit-def: $sgpr10
	s_and_saveexec_b64 s[8:9], s[12:13]
; %bb.3598:
	s_mov_b32 s10, 0x7f800001
	s_xor_b64 s[4:5], exec, -1
; %bb.3599:
	s_or_b64 exec, exec, s[8:9]
	s_and_b64 s[4:5], s[4:5], exec
	s_or_saveexec_b64 s[6:7], s[6:7]
	v_mov_b32_e32 v22, s10
	s_xor_b64 exec, exec, s[6:7]
	s_cbranch_execz .LBB15_1550
.LBB15_3600:
	v_mov_b32_e32 v22, 0
	v_cmp_ne_u16_sdwa s[8:9], v21, v22 src0_sel:BYTE_0 src1_sel:DWORD
	s_andn2_b64 s[4:5], s[4:5], exec
	s_and_b64 s[8:9], s[8:9], exec
	s_or_b64 s[4:5], s[4:5], s[8:9]
	s_or_b64 exec, exec, s[6:7]
	s_and_saveexec_b64 s[6:7], s[4:5]
	s_cbranch_execnz .LBB15_1551
	s_branch .LBB15_1552
.LBB15_3601:
	s_movk_i32 s4, 0x80
	v_cmp_eq_u16_e32 vcc, s4, v21
	s_mov_b64 s[4:5], -1
                                        ; implicit-def: $sgpr10
	s_and_saveexec_b64 s[8:9], vcc
; %bb.3602:
	s_mov_b32 s10, 0x7f800001
	s_xor_b64 s[4:5], exec, -1
; %bb.3603:
	s_or_b64 exec, exec, s[8:9]
	s_and_b64 s[4:5], s[4:5], exec
                                        ; implicit-def: $vgpr21
	s_or_saveexec_b64 s[6:7], s[6:7]
	v_mov_b32_e32 v20, s10
	s_xor_b64 exec, exec, s[6:7]
	s_cbranch_execz .LBB15_1554
.LBB15_3604:
	v_cmp_ne_u16_e32 vcc, 0, v21
	s_andn2_b64 s[4:5], s[4:5], exec
	s_and_b64 s[8:9], vcc, exec
	v_mov_b32_e32 v20, 0
	s_or_b64 s[4:5], s[4:5], s[8:9]
	s_or_b64 exec, exec, s[6:7]
	s_and_saveexec_b64 s[6:7], s[4:5]
	s_cbranch_execnz .LBB15_1555
	s_branch .LBB15_1556
.LBB15_3605:
	s_movk_i32 s4, 0x80
	v_cmp_eq_u16_e32 vcc, s4, v21
	s_mov_b64 s[4:5], -1
                                        ; implicit-def: $sgpr10
	s_and_saveexec_b64 s[8:9], vcc
; %bb.3606:
	s_mov_b32 s10, 0x7f800001
	s_xor_b64 s[4:5], exec, -1
; %bb.3607:
	s_or_b64 exec, exec, s[8:9]
	s_and_b64 s[4:5], s[4:5], exec
                                        ; implicit-def: $vgpr21
	s_or_saveexec_b64 s[6:7], s[6:7]
	v_mov_b32_e32 v22, s10
	s_xor_b64 exec, exec, s[6:7]
	s_cbranch_execz .LBB15_1558
.LBB15_3608:
	v_cmp_ne_u16_e32 vcc, 0, v21
	s_andn2_b64 s[4:5], s[4:5], exec
	s_and_b64 s[8:9], vcc, exec
	v_mov_b32_e32 v22, 0
	s_or_b64 s[4:5], s[4:5], s[8:9]
	s_or_b64 exec, exec, s[6:7]
	s_and_saveexec_b64 s[6:7], s[4:5]
	s_cbranch_execnz .LBB15_1559
	s_branch .LBB15_1560
.LBB15_3609:
	s_movk_i32 s4, 0x80
	v_cmp_eq_u16_sdwa s[12:13], v14, s4 src0_sel:BYTE_3 src1_sel:DWORD
	s_mov_b64 s[4:5], -1
                                        ; implicit-def: $sgpr10
	s_and_saveexec_b64 s[8:9], s[12:13]
; %bb.3610:
	s_mov_b32 s10, 0x7f800001
	s_xor_b64 s[4:5], exec, -1
; %bb.3611:
	s_or_b64 exec, exec, s[8:9]
	s_and_b64 s[4:5], s[4:5], exec
	s_or_saveexec_b64 s[6:7], s[6:7]
	v_mov_b32_e32 v20, s10
	s_xor_b64 exec, exec, s[6:7]
	s_cbranch_execz .LBB15_1562
.LBB15_3612:
	v_mov_b32_e32 v20, 0
	v_cmp_ne_u16_sdwa s[8:9], v14, v20 src0_sel:BYTE_3 src1_sel:DWORD
	s_andn2_b64 s[4:5], s[4:5], exec
	s_and_b64 s[8:9], s[8:9], exec
	s_or_b64 s[4:5], s[4:5], s[8:9]
	s_or_b64 exec, exec, s[6:7]
	s_and_saveexec_b64 s[6:7], s[4:5]
	s_cbranch_execnz .LBB15_1563
	s_branch .LBB15_1564
.LBB15_3613:
	s_movk_i32 s4, 0x80
	v_cmp_eq_u16_sdwa s[12:13], v10, s4 src0_sel:BYTE_3 src1_sel:DWORD
	s_mov_b64 s[4:5], -1
                                        ; implicit-def: $sgpr10
	s_and_saveexec_b64 s[8:9], s[12:13]
; %bb.3614:
	s_mov_b32 s10, 0x7f800001
	s_xor_b64 s[4:5], exec, -1
; %bb.3615:
	s_or_b64 exec, exec, s[8:9]
	s_and_b64 s[4:5], s[4:5], exec
	s_or_saveexec_b64 s[6:7], s[6:7]
	v_mov_b32_e32 v14, s10
	s_xor_b64 exec, exec, s[6:7]
	s_cbranch_execz .LBB15_1566
.LBB15_3616:
	v_mov_b32_e32 v14, 0
	v_cmp_ne_u16_sdwa s[8:9], v10, v14 src0_sel:BYTE_3 src1_sel:DWORD
	s_andn2_b64 s[4:5], s[4:5], exec
	s_and_b64 s[8:9], s[8:9], exec
	s_or_b64 s[4:5], s[4:5], s[8:9]
	s_or_b64 exec, exec, s[6:7]
	s_and_saveexec_b64 s[6:7], s[4:5]
	s_cbranch_execnz .LBB15_1567
	s_branch .LBB15_1568
.LBB15_3617:
	s_movk_i32 s4, 0x80
	v_cmp_eq_u16_sdwa s[12:13], v15, s4 src0_sel:BYTE_0 src1_sel:DWORD
	s_mov_b64 s[4:5], -1
                                        ; implicit-def: $sgpr10
	s_and_saveexec_b64 s[8:9], s[12:13]
; %bb.3618:
	s_mov_b32 s10, 0x7f800001
	s_xor_b64 s[4:5], exec, -1
; %bb.3619:
	s_or_b64 exec, exec, s[8:9]
	s_and_b64 s[4:5], s[4:5], exec
	s_or_saveexec_b64 s[6:7], s[6:7]
	v_mov_b32_e32 v10, s10
	s_xor_b64 exec, exec, s[6:7]
	s_cbranch_execz .LBB15_1570
.LBB15_3620:
	v_mov_b32_e32 v10, 0
	v_cmp_ne_u16_sdwa s[8:9], v15, v10 src0_sel:BYTE_0 src1_sel:DWORD
	s_andn2_b64 s[4:5], s[4:5], exec
	s_and_b64 s[8:9], s[8:9], exec
	s_or_b64 s[4:5], s[4:5], s[8:9]
	s_or_b64 exec, exec, s[6:7]
	s_and_saveexec_b64 s[6:7], s[4:5]
	s_cbranch_execnz .LBB15_1571
	s_branch .LBB15_1572
.LBB15_3621:
	s_movk_i32 s4, 0x80
	v_cmp_eq_u16_sdwa s[12:13], v11, s4 src0_sel:BYTE_0 src1_sel:DWORD
	s_mov_b64 s[4:5], -1
                                        ; implicit-def: $sgpr10
	s_and_saveexec_b64 s[8:9], s[12:13]
; %bb.3622:
	s_mov_b32 s10, 0x7f800001
	s_xor_b64 s[4:5], exec, -1
; %bb.3623:
	s_or_b64 exec, exec, s[8:9]
	s_and_b64 s[4:5], s[4:5], exec
	s_or_saveexec_b64 s[6:7], s[6:7]
	v_mov_b32_e32 v14, s10
	s_xor_b64 exec, exec, s[6:7]
	s_cbranch_execz .LBB15_1574
.LBB15_3624:
	v_mov_b32_e32 v14, 0
	v_cmp_ne_u16_sdwa s[8:9], v11, v14 src0_sel:BYTE_0 src1_sel:DWORD
	s_andn2_b64 s[4:5], s[4:5], exec
	s_and_b64 s[8:9], s[8:9], exec
	s_or_b64 s[4:5], s[4:5], s[8:9]
	s_or_b64 exec, exec, s[6:7]
	s_and_saveexec_b64 s[6:7], s[4:5]
	s_cbranch_execnz .LBB15_1575
	s_branch .LBB15_1576
.LBB15_3625:
	s_movk_i32 s4, 0x80
	v_cmp_eq_u16_sdwa s[12:13], v14, s4 src0_sel:BYTE_0 src1_sel:DWORD
	s_mov_b64 s[4:5], -1
                                        ; implicit-def: $sgpr10
	s_and_saveexec_b64 s[8:9], s[12:13]
; %bb.3626:
	s_mov_b32 s10, 0x7f800001
	s_xor_b64 s[4:5], exec, -1
; %bb.3627:
	s_or_b64 exec, exec, s[8:9]
	s_and_b64 s[4:5], s[4:5], exec
	s_or_saveexec_b64 s[6:7], s[6:7]
	v_mov_b32_e32 v10, s10
	s_xor_b64 exec, exec, s[6:7]
	s_cbranch_execz .LBB15_1578
.LBB15_3628:
	v_mov_b32_e32 v10, 0
	v_cmp_ne_u16_sdwa s[8:9], v14, v10 src0_sel:BYTE_0 src1_sel:DWORD
	s_andn2_b64 s[4:5], s[4:5], exec
	s_and_b64 s[8:9], s[8:9], exec
	s_or_b64 s[4:5], s[4:5], s[8:9]
	s_or_b64 exec, exec, s[6:7]
	s_and_saveexec_b64 s[6:7], s[4:5]
	s_cbranch_execnz .LBB15_1579
	s_branch .LBB15_1580
.LBB15_3629:
	s_movk_i32 s4, 0x80
	v_cmp_eq_u16_sdwa s[12:13], v14, s4 src0_sel:BYTE_0 src1_sel:DWORD
	s_mov_b64 s[4:5], -1
                                        ; implicit-def: $sgpr10
	s_and_saveexec_b64 s[8:9], s[12:13]
; %bb.3630:
	s_mov_b32 s10, 0x7f800001
	s_xor_b64 s[4:5], exec, -1
; %bb.3631:
	s_or_b64 exec, exec, s[8:9]
	s_and_b64 s[4:5], s[4:5], exec
	s_or_saveexec_b64 s[6:7], s[6:7]
	v_mov_b32_e32 v20, s10
	s_xor_b64 exec, exec, s[6:7]
	s_cbranch_execz .LBB15_1582
.LBB15_3632:
	v_mov_b32_e32 v20, 0
	v_cmp_ne_u16_sdwa s[8:9], v14, v20 src0_sel:BYTE_0 src1_sel:DWORD
	s_andn2_b64 s[4:5], s[4:5], exec
	s_and_b64 s[8:9], s[8:9], exec
	s_or_b64 s[4:5], s[4:5], s[8:9]
	s_or_b64 exec, exec, s[6:7]
	s_and_saveexec_b64 s[6:7], s[4:5]
	s_cbranch_execnz .LBB15_1583
	s_branch .LBB15_1584
.LBB15_3633:
	s_movk_i32 s4, 0x80
	v_cmp_eq_u16_e32 vcc, s4, v14
	s_mov_b64 s[4:5], -1
                                        ; implicit-def: $sgpr10
	s_and_saveexec_b64 s[8:9], vcc
; %bb.3634:
	s_mov_b32 s10, 0x7f800001
	s_xor_b64 s[4:5], exec, -1
; %bb.3635:
	s_or_b64 exec, exec, s[8:9]
	s_and_b64 s[4:5], s[4:5], exec
                                        ; implicit-def: $vgpr14
	s_or_saveexec_b64 s[6:7], s[6:7]
	v_mov_b32_e32 v10, s10
	s_xor_b64 exec, exec, s[6:7]
	s_cbranch_execz .LBB15_1586
.LBB15_3636:
	v_cmp_ne_u16_e32 vcc, 0, v14
	s_andn2_b64 s[4:5], s[4:5], exec
	s_and_b64 s[8:9], vcc, exec
	v_mov_b32_e32 v10, 0
	s_or_b64 s[4:5], s[4:5], s[8:9]
	s_or_b64 exec, exec, s[6:7]
	s_and_saveexec_b64 s[6:7], s[4:5]
	s_cbranch_execnz .LBB15_1587
	s_branch .LBB15_1588
.LBB15_3637:
	s_movk_i32 s4, 0x80
	v_cmp_eq_u16_e32 vcc, s4, v14
	s_mov_b64 s[4:5], -1
                                        ; implicit-def: $sgpr10
	s_and_saveexec_b64 s[8:9], vcc
; %bb.3638:
	s_mov_b32 s10, 0x7f800001
	s_xor_b64 s[4:5], exec, -1
; %bb.3639:
	s_or_b64 exec, exec, s[8:9]
	s_and_b64 s[4:5], s[4:5], exec
                                        ; implicit-def: $vgpr14
	s_or_saveexec_b64 s[6:7], s[6:7]
	v_mov_b32_e32 v20, s10
	s_xor_b64 exec, exec, s[6:7]
	s_cbranch_execz .LBB15_1590
.LBB15_3640:
	v_cmp_ne_u16_e32 vcc, 0, v14
	s_andn2_b64 s[4:5], s[4:5], exec
	s_and_b64 s[8:9], vcc, exec
	v_mov_b32_e32 v20, 0
	s_or_b64 s[4:5], s[4:5], s[8:9]
	s_or_b64 exec, exec, s[6:7]
	s_and_saveexec_b64 s[6:7], s[4:5]
	s_cbranch_execnz .LBB15_1591
	s_branch .LBB15_1592
.LBB15_3641:
	s_movk_i32 s4, 0x80
	v_cmp_eq_u16_sdwa s[12:13], v15, s4 src0_sel:BYTE_3 src1_sel:DWORD
	s_mov_b64 s[4:5], -1
                                        ; implicit-def: $sgpr10
	s_and_saveexec_b64 s[8:9], s[12:13]
; %bb.3642:
	s_mov_b32 s10, 0x7f800001
	s_xor_b64 s[4:5], exec, -1
; %bb.3643:
	s_or_b64 exec, exec, s[8:9]
	s_and_b64 s[4:5], s[4:5], exec
	s_or_saveexec_b64 s[6:7], s[6:7]
	v_mov_b32_e32 v10, s10
	s_xor_b64 exec, exec, s[6:7]
	s_cbranch_execz .LBB15_1594
.LBB15_3644:
	v_mov_b32_e32 v10, 0
	v_cmp_ne_u16_sdwa s[8:9], v15, v10 src0_sel:BYTE_3 src1_sel:DWORD
	s_andn2_b64 s[4:5], s[4:5], exec
	s_and_b64 s[8:9], s[8:9], exec
	s_or_b64 s[4:5], s[4:5], s[8:9]
	s_or_b64 exec, exec, s[6:7]
	s_and_saveexec_b64 s[6:7], s[4:5]
	s_cbranch_execnz .LBB15_1595
	s_branch .LBB15_1596
.LBB15_3645:
	s_movk_i32 s4, 0x80
	v_cmp_eq_u16_sdwa s[12:13], v11, s4 src0_sel:BYTE_3 src1_sel:DWORD
	s_mov_b64 s[4:5], -1
                                        ; implicit-def: $sgpr10
	s_and_saveexec_b64 s[8:9], s[12:13]
; %bb.3646:
	s_mov_b32 s10, 0x7f800001
	s_xor_b64 s[4:5], exec, -1
; %bb.3647:
	s_or_b64 exec, exec, s[8:9]
	s_and_b64 s[4:5], s[4:5], exec
	s_or_saveexec_b64 s[6:7], s[6:7]
	v_mov_b32_e32 v14, s10
	s_xor_b64 exec, exec, s[6:7]
	s_cbranch_execz .LBB15_1598
.LBB15_3648:
	v_mov_b32_e32 v14, 0
	v_cmp_ne_u16_sdwa s[8:9], v11, v14 src0_sel:BYTE_3 src1_sel:DWORD
	s_andn2_b64 s[4:5], s[4:5], exec
	s_and_b64 s[8:9], s[8:9], exec
	s_or_b64 s[4:5], s[4:5], s[8:9]
	s_or_b64 exec, exec, s[6:7]
	s_and_saveexec_b64 s[6:7], s[4:5]
	s_cbranch_execnz .LBB15_1599
	s_branch .LBB15_1600
.LBB15_3649:
	s_movk_i32 s4, 0x80
	v_cmp_eq_u16_sdwa s[12:13], v16, s4 src0_sel:BYTE_0 src1_sel:DWORD
	s_mov_b64 s[4:5], -1
                                        ; implicit-def: $sgpr10
	s_and_saveexec_b64 s[8:9], s[12:13]
; %bb.3650:
	s_mov_b32 s10, 0x7f800001
	s_xor_b64 s[4:5], exec, -1
; %bb.3651:
	s_or_b64 exec, exec, s[8:9]
	s_and_b64 s[4:5], s[4:5], exec
	s_or_saveexec_b64 s[6:7], s[6:7]
	v_mov_b32_e32 v10, s10
	s_xor_b64 exec, exec, s[6:7]
	s_cbranch_execz .LBB15_1602
.LBB15_3652:
	v_mov_b32_e32 v10, 0
	v_cmp_ne_u16_sdwa s[8:9], v16, v10 src0_sel:BYTE_0 src1_sel:DWORD
	s_andn2_b64 s[4:5], s[4:5], exec
	s_and_b64 s[8:9], s[8:9], exec
	s_or_b64 s[4:5], s[4:5], s[8:9]
	s_or_b64 exec, exec, s[6:7]
	s_and_saveexec_b64 s[6:7], s[4:5]
	s_cbranch_execnz .LBB15_1603
	s_branch .LBB15_1604
.LBB15_3653:
	s_movk_i32 s4, 0x80
	v_cmp_eq_u16_sdwa s[12:13], v12, s4 src0_sel:BYTE_0 src1_sel:DWORD
	s_mov_b64 s[4:5], -1
                                        ; implicit-def: $sgpr10
	s_and_saveexec_b64 s[8:9], s[12:13]
; %bb.3654:
	s_mov_b32 s10, 0x7f800001
	s_xor_b64 s[4:5], exec, -1
; %bb.3655:
	s_or_b64 exec, exec, s[8:9]
	s_and_b64 s[4:5], s[4:5], exec
	s_or_saveexec_b64 s[6:7], s[6:7]
	v_mov_b32_e32 v11, s10
	s_xor_b64 exec, exec, s[6:7]
	s_cbranch_execz .LBB15_1606
.LBB15_3656:
	v_mov_b32_e32 v11, 0
	v_cmp_ne_u16_sdwa s[8:9], v12, v11 src0_sel:BYTE_0 src1_sel:DWORD
	s_andn2_b64 s[4:5], s[4:5], exec
	s_and_b64 s[8:9], s[8:9], exec
	s_or_b64 s[4:5], s[4:5], s[8:9]
	s_or_b64 exec, exec, s[6:7]
	s_and_saveexec_b64 s[6:7], s[4:5]
	s_cbranch_execnz .LBB15_1607
	s_branch .LBB15_1608
.LBB15_3657:
	s_movk_i32 s4, 0x80
	v_cmp_eq_u16_sdwa s[12:13], v11, s4 src0_sel:BYTE_0 src1_sel:DWORD
	s_mov_b64 s[4:5], -1
                                        ; implicit-def: $sgpr10
	s_and_saveexec_b64 s[8:9], s[12:13]
; %bb.3658:
	s_mov_b32 s10, 0x7f800001
	s_xor_b64 s[4:5], exec, -1
; %bb.3659:
	s_or_b64 exec, exec, s[8:9]
	s_and_b64 s[4:5], s[4:5], exec
	s_or_saveexec_b64 s[6:7], s[6:7]
	v_mov_b32_e32 v10, s10
	s_xor_b64 exec, exec, s[6:7]
	s_cbranch_execz .LBB15_1610
.LBB15_3660:
	v_mov_b32_e32 v10, 0
	v_cmp_ne_u16_sdwa s[8:9], v11, v10 src0_sel:BYTE_0 src1_sel:DWORD
	s_andn2_b64 s[4:5], s[4:5], exec
	s_and_b64 s[8:9], s[8:9], exec
	s_or_b64 s[4:5], s[4:5], s[8:9]
	s_or_b64 exec, exec, s[6:7]
	s_and_saveexec_b64 s[6:7], s[4:5]
	s_cbranch_execnz .LBB15_1611
	s_branch .LBB15_1612
.LBB15_3661:
	s_movk_i32 s4, 0x80
	v_cmp_eq_u16_sdwa s[12:13], v11, s4 src0_sel:BYTE_0 src1_sel:DWORD
	s_mov_b64 s[4:5], -1
                                        ; implicit-def: $sgpr10
	s_and_saveexec_b64 s[8:9], s[12:13]
; %bb.3662:
	s_mov_b32 s10, 0x7f800001
	s_xor_b64 s[4:5], exec, -1
; %bb.3663:
	s_or_b64 exec, exec, s[8:9]
	s_and_b64 s[4:5], s[4:5], exec
	s_or_saveexec_b64 s[6:7], s[6:7]
	v_mov_b32_e32 v14, s10
	s_xor_b64 exec, exec, s[6:7]
	s_cbranch_execz .LBB15_1614
.LBB15_3664:
	v_mov_b32_e32 v14, 0
	v_cmp_ne_u16_sdwa s[8:9], v11, v14 src0_sel:BYTE_0 src1_sel:DWORD
	s_andn2_b64 s[4:5], s[4:5], exec
	s_and_b64 s[8:9], s[8:9], exec
	s_or_b64 s[4:5], s[4:5], s[8:9]
	s_or_b64 exec, exec, s[6:7]
	s_and_saveexec_b64 s[6:7], s[4:5]
	s_cbranch_execnz .LBB15_1615
	s_branch .LBB15_1616
.LBB15_3665:
	s_movk_i32 s4, 0x80
	v_cmp_eq_u16_e32 vcc, s4, v11
	s_mov_b64 s[4:5], -1
                                        ; implicit-def: $sgpr10
	s_and_saveexec_b64 s[8:9], vcc
; %bb.3666:
	s_mov_b32 s10, 0x7f800001
	s_xor_b64 s[4:5], exec, -1
; %bb.3667:
	s_or_b64 exec, exec, s[8:9]
	s_and_b64 s[4:5], s[4:5], exec
                                        ; implicit-def: $vgpr11
	s_or_saveexec_b64 s[6:7], s[6:7]
	v_mov_b32_e32 v10, s10
	s_xor_b64 exec, exec, s[6:7]
	s_cbranch_execz .LBB15_1618
.LBB15_3668:
	v_cmp_ne_u16_e32 vcc, 0, v11
	s_andn2_b64 s[4:5], s[4:5], exec
	s_and_b64 s[8:9], vcc, exec
	v_mov_b32_e32 v10, 0
	s_or_b64 s[4:5], s[4:5], s[8:9]
	s_or_b64 exec, exec, s[6:7]
	s_and_saveexec_b64 s[6:7], s[4:5]
	s_cbranch_execnz .LBB15_1619
	s_branch .LBB15_1620
.LBB15_3669:
	s_movk_i32 s4, 0x80
	v_cmp_eq_u16_e32 vcc, s4, v11
	s_mov_b64 s[4:5], -1
                                        ; implicit-def: $sgpr10
	s_and_saveexec_b64 s[8:9], vcc
; %bb.3670:
	s_mov_b32 s10, 0x7f800001
	s_xor_b64 s[4:5], exec, -1
; %bb.3671:
	s_or_b64 exec, exec, s[8:9]
	s_and_b64 s[4:5], s[4:5], exec
                                        ; implicit-def: $vgpr11
	s_or_saveexec_b64 s[6:7], s[6:7]
	v_mov_b32_e32 v14, s10
	s_xor_b64 exec, exec, s[6:7]
	s_cbranch_execz .LBB15_1622
.LBB15_3672:
	v_cmp_ne_u16_e32 vcc, 0, v11
	s_andn2_b64 s[4:5], s[4:5], exec
	s_and_b64 s[8:9], vcc, exec
	v_mov_b32_e32 v14, 0
	s_or_b64 s[4:5], s[4:5], s[8:9]
	s_or_b64 exec, exec, s[6:7]
	s_and_saveexec_b64 s[6:7], s[4:5]
	s_cbranch_execnz .LBB15_1623
	s_branch .LBB15_1624
.LBB15_3673:
	s_movk_i32 s4, 0x80
	v_cmp_eq_u16_sdwa s[12:13], v16, s4 src0_sel:BYTE_3 src1_sel:DWORD
	s_mov_b64 s[4:5], -1
                                        ; implicit-def: $sgpr10
	s_and_saveexec_b64 s[8:9], s[12:13]
; %bb.3674:
	s_mov_b32 s10, 0x7f800001
	s_xor_b64 s[4:5], exec, -1
; %bb.3675:
	s_or_b64 exec, exec, s[8:9]
	s_and_b64 s[4:5], s[4:5], exec
	s_or_saveexec_b64 s[6:7], s[6:7]
	v_mov_b32_e32 v10, s10
	s_xor_b64 exec, exec, s[6:7]
	s_cbranch_execz .LBB15_1626
.LBB15_3676:
	v_mov_b32_e32 v10, 0
	v_cmp_ne_u16_sdwa s[8:9], v16, v10 src0_sel:BYTE_3 src1_sel:DWORD
	s_andn2_b64 s[4:5], s[4:5], exec
	s_and_b64 s[8:9], s[8:9], exec
	s_or_b64 s[4:5], s[4:5], s[8:9]
	s_or_b64 exec, exec, s[6:7]
	s_and_saveexec_b64 s[6:7], s[4:5]
	s_cbranch_execnz .LBB15_1627
	s_branch .LBB15_1628
.LBB15_3677:
	s_movk_i32 s4, 0x80
	v_cmp_eq_u16_sdwa s[12:13], v12, s4 src0_sel:BYTE_3 src1_sel:DWORD
	s_mov_b64 s[4:5], -1
                                        ; implicit-def: $sgpr10
	s_and_saveexec_b64 s[8:9], s[12:13]
; %bb.3678:
	s_mov_b32 s10, 0x7f800001
	s_xor_b64 s[4:5], exec, -1
; %bb.3679:
	s_or_b64 exec, exec, s[8:9]
	s_and_b64 s[4:5], s[4:5], exec
	s_or_saveexec_b64 s[6:7], s[6:7]
	v_mov_b32_e32 v11, s10
	s_xor_b64 exec, exec, s[6:7]
	s_cbranch_execz .LBB15_1630
.LBB15_3680:
	v_mov_b32_e32 v11, 0
	v_cmp_ne_u16_sdwa s[8:9], v12, v11 src0_sel:BYTE_3 src1_sel:DWORD
	s_andn2_b64 s[4:5], s[4:5], exec
	s_and_b64 s[8:9], s[8:9], exec
	s_or_b64 s[4:5], s[4:5], s[8:9]
	s_or_b64 exec, exec, s[6:7]
	s_and_saveexec_b64 s[6:7], s[4:5]
	s_cbranch_execnz .LBB15_1631
	s_branch .LBB15_1632
.LBB15_3681:
	s_movk_i32 s4, 0x80
	v_cmp_eq_u16_sdwa s[12:13], v17, s4 src0_sel:BYTE_0 src1_sel:DWORD
	s_mov_b64 s[4:5], -1
                                        ; implicit-def: $sgpr10
	s_and_saveexec_b64 s[8:9], s[12:13]
; %bb.3682:
	s_mov_b32 s10, 0x7f800001
	s_xor_b64 s[4:5], exec, -1
; %bb.3683:
	s_or_b64 exec, exec, s[8:9]
	s_and_b64 s[4:5], s[4:5], exec
	s_or_saveexec_b64 s[6:7], s[6:7]
	v_mov_b32_e32 v10, s10
	s_xor_b64 exec, exec, s[6:7]
	s_cbranch_execz .LBB15_1634
.LBB15_3684:
	v_mov_b32_e32 v10, 0
	v_cmp_ne_u16_sdwa s[8:9], v17, v10 src0_sel:BYTE_0 src1_sel:DWORD
	s_andn2_b64 s[4:5], s[4:5], exec
	s_and_b64 s[8:9], s[8:9], exec
	s_or_b64 s[4:5], s[4:5], s[8:9]
	s_or_b64 exec, exec, s[6:7]
	s_and_saveexec_b64 s[6:7], s[4:5]
	s_cbranch_execnz .LBB15_1635
	s_branch .LBB15_1636
.LBB15_3685:
	s_movk_i32 s4, 0x80
	v_cmp_eq_u16_sdwa s[12:13], v13, s4 src0_sel:BYTE_0 src1_sel:DWORD
	s_mov_b64 s[4:5], -1
                                        ; implicit-def: $sgpr10
	s_and_saveexec_b64 s[8:9], s[12:13]
; %bb.3686:
	s_mov_b32 s10, 0x7f800001
	s_xor_b64 s[4:5], exec, -1
; %bb.3687:
	s_or_b64 exec, exec, s[8:9]
	s_and_b64 s[4:5], s[4:5], exec
	s_or_saveexec_b64 s[6:7], s[6:7]
	v_mov_b32_e32 v11, s10
	s_xor_b64 exec, exec, s[6:7]
	s_cbranch_execz .LBB15_1638
.LBB15_3688:
	v_mov_b32_e32 v11, 0
	v_cmp_ne_u16_sdwa s[8:9], v13, v11 src0_sel:BYTE_0 src1_sel:DWORD
	s_andn2_b64 s[4:5], s[4:5], exec
	s_and_b64 s[8:9], s[8:9], exec
	s_or_b64 s[4:5], s[4:5], s[8:9]
	s_or_b64 exec, exec, s[6:7]
	s_and_saveexec_b64 s[6:7], s[4:5]
	s_cbranch_execnz .LBB15_1639
	s_branch .LBB15_1640
.LBB15_3689:
	s_movk_i32 s4, 0x80
	v_cmp_eq_u16_sdwa s[12:13], v11, s4 src0_sel:BYTE_0 src1_sel:DWORD
	s_mov_b64 s[4:5], -1
                                        ; implicit-def: $sgpr10
	s_and_saveexec_b64 s[8:9], s[12:13]
; %bb.3690:
	s_mov_b32 s10, 0x7f800001
	s_xor_b64 s[4:5], exec, -1
; %bb.3691:
	s_or_b64 exec, exec, s[8:9]
	s_and_b64 s[4:5], s[4:5], exec
	s_or_saveexec_b64 s[6:7], s[6:7]
	v_mov_b32_e32 v10, s10
	s_xor_b64 exec, exec, s[6:7]
	s_cbranch_execz .LBB15_1642
.LBB15_3692:
	v_mov_b32_e32 v10, 0
	v_cmp_ne_u16_sdwa s[8:9], v11, v10 src0_sel:BYTE_0 src1_sel:DWORD
	s_andn2_b64 s[4:5], s[4:5], exec
	s_and_b64 s[8:9], s[8:9], exec
	s_or_b64 s[4:5], s[4:5], s[8:9]
	s_or_b64 exec, exec, s[6:7]
	s_and_saveexec_b64 s[6:7], s[4:5]
	s_cbranch_execnz .LBB15_1643
	s_branch .LBB15_1644
.LBB15_3693:
	s_movk_i32 s4, 0x80
	v_cmp_eq_u16_sdwa s[12:13], v11, s4 src0_sel:BYTE_0 src1_sel:DWORD
	s_mov_b64 s[4:5], -1
                                        ; implicit-def: $sgpr10
	s_and_saveexec_b64 s[8:9], s[12:13]
; %bb.3694:
	s_mov_b32 s10, 0x7f800001
	s_xor_b64 s[4:5], exec, -1
; %bb.3695:
	s_or_b64 exec, exec, s[8:9]
	s_and_b64 s[4:5], s[4:5], exec
	s_or_saveexec_b64 s[6:7], s[6:7]
	v_mov_b32_e32 v12, s10
	s_xor_b64 exec, exec, s[6:7]
	s_cbranch_execz .LBB15_1646
.LBB15_3696:
	v_mov_b32_e32 v12, 0
	v_cmp_ne_u16_sdwa s[8:9], v11, v12 src0_sel:BYTE_0 src1_sel:DWORD
	s_andn2_b64 s[4:5], s[4:5], exec
	s_and_b64 s[8:9], s[8:9], exec
	s_or_b64 s[4:5], s[4:5], s[8:9]
	s_or_b64 exec, exec, s[6:7]
	s_and_saveexec_b64 s[6:7], s[4:5]
	s_cbranch_execnz .LBB15_1647
	s_branch .LBB15_1648
.LBB15_3697:
	s_movk_i32 s4, 0x80
	v_cmp_eq_u16_e32 vcc, s4, v11
	s_mov_b64 s[4:5], -1
                                        ; implicit-def: $sgpr10
	s_and_saveexec_b64 s[8:9], vcc
; %bb.3698:
	s_mov_b32 s10, 0x7f800001
	s_xor_b64 s[4:5], exec, -1
; %bb.3699:
	s_or_b64 exec, exec, s[8:9]
	s_and_b64 s[4:5], s[4:5], exec
                                        ; implicit-def: $vgpr11
	s_or_saveexec_b64 s[6:7], s[6:7]
	v_mov_b32_e32 v10, s10
	s_xor_b64 exec, exec, s[6:7]
	s_cbranch_execz .LBB15_1650
.LBB15_3700:
	v_cmp_ne_u16_e32 vcc, 0, v11
	s_andn2_b64 s[4:5], s[4:5], exec
	s_and_b64 s[8:9], vcc, exec
	v_mov_b32_e32 v10, 0
	s_or_b64 s[4:5], s[4:5], s[8:9]
	s_or_b64 exec, exec, s[6:7]
	s_and_saveexec_b64 s[6:7], s[4:5]
	s_cbranch_execnz .LBB15_1651
	s_branch .LBB15_1652
.LBB15_3701:
	s_movk_i32 s4, 0x80
	v_cmp_eq_u16_e32 vcc, s4, v11
	s_mov_b64 s[4:5], -1
                                        ; implicit-def: $sgpr10
	s_and_saveexec_b64 s[8:9], vcc
; %bb.3702:
	s_mov_b32 s10, 0x7f800001
	s_xor_b64 s[4:5], exec, -1
; %bb.3703:
	s_or_b64 exec, exec, s[8:9]
	s_and_b64 s[4:5], s[4:5], exec
                                        ; implicit-def: $vgpr11
	s_or_saveexec_b64 s[6:7], s[6:7]
	v_mov_b32_e32 v12, s10
	s_xor_b64 exec, exec, s[6:7]
	s_cbranch_execz .LBB15_1654
.LBB15_3704:
	v_cmp_ne_u16_e32 vcc, 0, v11
	s_andn2_b64 s[4:5], s[4:5], exec
	s_and_b64 s[8:9], vcc, exec
	v_mov_b32_e32 v12, 0
	s_or_b64 s[4:5], s[4:5], s[8:9]
	s_or_b64 exec, exec, s[6:7]
	s_and_saveexec_b64 s[6:7], s[4:5]
	s_cbranch_execnz .LBB15_1655
	s_branch .LBB15_1656
.LBB15_3705:
	s_movk_i32 s4, 0x80
	v_cmp_eq_u16_sdwa s[12:13], v17, s4 src0_sel:BYTE_3 src1_sel:DWORD
	s_mov_b64 s[4:5], -1
                                        ; implicit-def: $sgpr10
	s_and_saveexec_b64 s[8:9], s[12:13]
; %bb.3706:
	s_mov_b32 s10, 0x7f800001
	s_xor_b64 s[4:5], exec, -1
; %bb.3707:
	s_or_b64 exec, exec, s[8:9]
	s_and_b64 s[4:5], s[4:5], exec
	s_or_saveexec_b64 s[6:7], s[6:7]
	v_mov_b32_e32 v10, s10
	s_xor_b64 exec, exec, s[6:7]
	s_cbranch_execz .LBB15_1658
.LBB15_3708:
	v_mov_b32_e32 v10, 0
	v_cmp_ne_u16_sdwa s[8:9], v17, v10 src0_sel:BYTE_3 src1_sel:DWORD
	s_andn2_b64 s[4:5], s[4:5], exec
	s_and_b64 s[8:9], s[8:9], exec
	s_or_b64 s[4:5], s[4:5], s[8:9]
	s_or_b64 exec, exec, s[6:7]
	s_and_saveexec_b64 s[6:7], s[4:5]
	s_cbranch_execnz .LBB15_1659
	s_branch .LBB15_1660
.LBB15_3709:
	s_movk_i32 s4, 0x80
	v_cmp_eq_u16_sdwa s[12:13], v13, s4 src0_sel:BYTE_3 src1_sel:DWORD
	s_mov_b64 s[4:5], -1
                                        ; implicit-def: $sgpr10
	s_and_saveexec_b64 s[8:9], s[12:13]
; %bb.3710:
	s_mov_b32 s10, 0x7f800001
	s_xor_b64 s[4:5], exec, -1
; %bb.3711:
	s_or_b64 exec, exec, s[8:9]
	s_and_b64 s[4:5], s[4:5], exec
	s_or_saveexec_b64 s[6:7], s[6:7]
	v_mov_b32_e32 v11, s10
	s_xor_b64 exec, exec, s[6:7]
	s_cbranch_execz .LBB15_1662
.LBB15_3712:
	v_mov_b32_e32 v11, 0
	v_cmp_ne_u16_sdwa s[8:9], v13, v11 src0_sel:BYTE_3 src1_sel:DWORD
	s_andn2_b64 s[4:5], s[4:5], exec
	s_and_b64 s[8:9], s[8:9], exec
	s_or_b64 s[4:5], s[4:5], s[8:9]
	s_or_b64 exec, exec, s[6:7]
	s_and_saveexec_b64 s[6:7], s[4:5]
	s_cbranch_execnz .LBB15_1663
	s_branch .LBB15_1664
.LBB15_3713:
	s_movk_i32 s4, 0x80
	v_cmp_eq_u16_sdwa s[12:13], v6, s4 src0_sel:BYTE_0 src1_sel:DWORD
	s_mov_b64 s[4:5], -1
                                        ; implicit-def: $sgpr10
	s_and_saveexec_b64 s[8:9], s[12:13]
; %bb.3714:
	s_mov_b32 s10, 0x7f800001
	s_xor_b64 s[4:5], exec, -1
; %bb.3715:
	s_or_b64 exec, exec, s[8:9]
	s_and_b64 s[4:5], s[4:5], exec
	s_or_saveexec_b64 s[6:7], s[6:7]
	v_mov_b32_e32 v10, s10
	s_xor_b64 exec, exec, s[6:7]
	s_cbranch_execz .LBB15_1666
.LBB15_3716:
	v_mov_b32_e32 v10, 0
	v_cmp_ne_u16_sdwa s[8:9], v6, v10 src0_sel:BYTE_0 src1_sel:DWORD
	s_andn2_b64 s[4:5], s[4:5], exec
	s_and_b64 s[8:9], s[8:9], exec
	s_or_b64 s[4:5], s[4:5], s[8:9]
	s_or_b64 exec, exec, s[6:7]
	s_and_saveexec_b64 s[6:7], s[4:5]
	s_cbranch_execnz .LBB15_1667
	s_branch .LBB15_1668
.LBB15_3717:
	s_movk_i32 s4, 0x80
	v_cmp_eq_u16_sdwa s[12:13], v2, s4 src0_sel:BYTE_0 src1_sel:DWORD
	s_mov_b64 s[4:5], -1
                                        ; implicit-def: $sgpr10
	s_and_saveexec_b64 s[8:9], s[12:13]
; %bb.3718:
	s_mov_b32 s10, 0x7f800001
	s_xor_b64 s[4:5], exec, -1
; %bb.3719:
	s_or_b64 exec, exec, s[8:9]
	s_and_b64 s[4:5], s[4:5], exec
	s_or_saveexec_b64 s[6:7], s[6:7]
	v_mov_b32_e32 v11, s10
	s_xor_b64 exec, exec, s[6:7]
	s_cbranch_execz .LBB15_1670
.LBB15_3720:
	v_mov_b32_e32 v11, 0
	v_cmp_ne_u16_sdwa s[8:9], v2, v11 src0_sel:BYTE_0 src1_sel:DWORD
	s_andn2_b64 s[4:5], s[4:5], exec
	s_and_b64 s[8:9], s[8:9], exec
	s_or_b64 s[4:5], s[4:5], s[8:9]
	s_or_b64 exec, exec, s[6:7]
	s_and_saveexec_b64 s[6:7], s[4:5]
	s_cbranch_execnz .LBB15_1671
	s_branch .LBB15_1672
.LBB15_3721:
	s_movk_i32 s4, 0x80
	v_cmp_eq_u16_sdwa s[12:13], v11, s4 src0_sel:BYTE_0 src1_sel:DWORD
	s_mov_b64 s[4:5], -1
                                        ; implicit-def: $sgpr10
	s_and_saveexec_b64 s[8:9], s[12:13]
; %bb.3722:
	s_mov_b32 s10, 0x7f800001
	s_xor_b64 s[4:5], exec, -1
; %bb.3723:
	s_or_b64 exec, exec, s[8:9]
	s_and_b64 s[4:5], s[4:5], exec
	s_or_saveexec_b64 s[6:7], s[6:7]
	v_mov_b32_e32 v10, s10
	s_xor_b64 exec, exec, s[6:7]
	s_cbranch_execz .LBB15_1674
.LBB15_3724:
	v_mov_b32_e32 v10, 0
	v_cmp_ne_u16_sdwa s[8:9], v11, v10 src0_sel:BYTE_0 src1_sel:DWORD
	s_andn2_b64 s[4:5], s[4:5], exec
	s_and_b64 s[8:9], s[8:9], exec
	s_or_b64 s[4:5], s[4:5], s[8:9]
	s_or_b64 exec, exec, s[6:7]
	s_and_saveexec_b64 s[6:7], s[4:5]
	s_cbranch_execnz .LBB15_1675
	s_branch .LBB15_1676
.LBB15_3725:
	s_movk_i32 s4, 0x80
	v_cmp_eq_u16_sdwa s[12:13], v11, s4 src0_sel:BYTE_0 src1_sel:DWORD
	s_mov_b64 s[4:5], -1
                                        ; implicit-def: $sgpr10
	s_and_saveexec_b64 s[8:9], s[12:13]
; %bb.3726:
	s_mov_b32 s10, 0x7f800001
	s_xor_b64 s[4:5], exec, -1
; %bb.3727:
	s_or_b64 exec, exec, s[8:9]
	s_and_b64 s[4:5], s[4:5], exec
	s_or_saveexec_b64 s[6:7], s[6:7]
	v_mov_b32_e32 v12, s10
	s_xor_b64 exec, exec, s[6:7]
	s_cbranch_execz .LBB15_1678
.LBB15_3728:
	v_mov_b32_e32 v12, 0
	v_cmp_ne_u16_sdwa s[8:9], v11, v12 src0_sel:BYTE_0 src1_sel:DWORD
	s_andn2_b64 s[4:5], s[4:5], exec
	s_and_b64 s[8:9], s[8:9], exec
	s_or_b64 s[4:5], s[4:5], s[8:9]
	s_or_b64 exec, exec, s[6:7]
	s_and_saveexec_b64 s[6:7], s[4:5]
	s_cbranch_execnz .LBB15_1679
	s_branch .LBB15_1680
.LBB15_3729:
	s_movk_i32 s4, 0x80
	v_cmp_eq_u16_e32 vcc, s4, v11
	s_mov_b64 s[4:5], -1
                                        ; implicit-def: $sgpr10
	s_and_saveexec_b64 s[8:9], vcc
; %bb.3730:
	s_mov_b32 s10, 0x7f800001
	s_xor_b64 s[4:5], exec, -1
; %bb.3731:
	s_or_b64 exec, exec, s[8:9]
	s_and_b64 s[4:5], s[4:5], exec
                                        ; implicit-def: $vgpr11
	s_or_saveexec_b64 s[6:7], s[6:7]
	v_mov_b32_e32 v10, s10
	s_xor_b64 exec, exec, s[6:7]
	s_cbranch_execz .LBB15_1682
.LBB15_3732:
	v_cmp_ne_u16_e32 vcc, 0, v11
	s_andn2_b64 s[4:5], s[4:5], exec
	s_and_b64 s[8:9], vcc, exec
	v_mov_b32_e32 v10, 0
	s_or_b64 s[4:5], s[4:5], s[8:9]
	s_or_b64 exec, exec, s[6:7]
	s_and_saveexec_b64 s[6:7], s[4:5]
	s_cbranch_execnz .LBB15_1683
	s_branch .LBB15_1684
.LBB15_3733:
	s_movk_i32 s4, 0x80
	v_cmp_eq_u16_e32 vcc, s4, v11
	s_mov_b64 s[4:5], -1
                                        ; implicit-def: $sgpr10
	s_and_saveexec_b64 s[8:9], vcc
; %bb.3734:
	s_mov_b32 s10, 0x7f800001
	s_xor_b64 s[4:5], exec, -1
; %bb.3735:
	s_or_b64 exec, exec, s[8:9]
	s_and_b64 s[4:5], s[4:5], exec
                                        ; implicit-def: $vgpr11
	s_or_saveexec_b64 s[6:7], s[6:7]
	v_mov_b32_e32 v12, s10
	s_xor_b64 exec, exec, s[6:7]
	s_cbranch_execz .LBB15_1686
.LBB15_3736:
	v_cmp_ne_u16_e32 vcc, 0, v11
	s_andn2_b64 s[4:5], s[4:5], exec
	s_and_b64 s[8:9], vcc, exec
	v_mov_b32_e32 v12, 0
	s_or_b64 s[4:5], s[4:5], s[8:9]
	s_or_b64 exec, exec, s[6:7]
	s_and_saveexec_b64 s[6:7], s[4:5]
	s_cbranch_execnz .LBB15_1687
	s_branch .LBB15_1688
.LBB15_3737:
	s_movk_i32 s4, 0x80
	v_cmp_eq_u16_sdwa s[12:13], v6, s4 src0_sel:BYTE_3 src1_sel:DWORD
	s_mov_b64 s[4:5], -1
                                        ; implicit-def: $sgpr10
	s_and_saveexec_b64 s[8:9], s[12:13]
; %bb.3738:
	s_mov_b32 s10, 0x7f800001
	s_xor_b64 s[4:5], exec, -1
; %bb.3739:
	s_or_b64 exec, exec, s[8:9]
	s_and_b64 s[4:5], s[4:5], exec
	s_or_saveexec_b64 s[6:7], s[6:7]
	v_mov_b32_e32 v10, s10
	s_xor_b64 exec, exec, s[6:7]
	s_cbranch_execz .LBB15_1690
.LBB15_3740:
	v_mov_b32_e32 v10, 0
	v_cmp_ne_u16_sdwa s[8:9], v6, v10 src0_sel:BYTE_3 src1_sel:DWORD
	s_andn2_b64 s[4:5], s[4:5], exec
	s_and_b64 s[8:9], s[8:9], exec
	s_or_b64 s[4:5], s[4:5], s[8:9]
	s_or_b64 exec, exec, s[6:7]
	s_and_saveexec_b64 s[6:7], s[4:5]
	s_cbranch_execnz .LBB15_1691
	s_branch .LBB15_1692
.LBB15_3741:
	s_movk_i32 s4, 0x80
	v_cmp_eq_u16_sdwa s[12:13], v2, s4 src0_sel:BYTE_3 src1_sel:DWORD
	s_mov_b64 s[4:5], -1
                                        ; implicit-def: $sgpr10
	s_and_saveexec_b64 s[8:9], s[12:13]
; %bb.3742:
	s_mov_b32 s10, 0x7f800001
	s_xor_b64 s[4:5], exec, -1
; %bb.3743:
	s_or_b64 exec, exec, s[8:9]
	s_and_b64 s[4:5], s[4:5], exec
	s_or_saveexec_b64 s[6:7], s[6:7]
	v_mov_b32_e32 v6, s10
	s_xor_b64 exec, exec, s[6:7]
	s_cbranch_execz .LBB15_1694
.LBB15_3744:
	v_mov_b32_e32 v6, 0
	v_cmp_ne_u16_sdwa s[8:9], v2, v6 src0_sel:BYTE_3 src1_sel:DWORD
	s_andn2_b64 s[4:5], s[4:5], exec
	s_and_b64 s[8:9], s[8:9], exec
	s_or_b64 s[4:5], s[4:5], s[8:9]
	s_or_b64 exec, exec, s[6:7]
	s_and_saveexec_b64 s[6:7], s[4:5]
	s_cbranch_execnz .LBB15_1695
	s_branch .LBB15_1696
.LBB15_3745:
	s_movk_i32 s4, 0x80
	v_cmp_eq_u16_sdwa s[12:13], v7, s4 src0_sel:BYTE_0 src1_sel:DWORD
	s_mov_b64 s[4:5], -1
                                        ; implicit-def: $sgpr10
	s_and_saveexec_b64 s[8:9], s[12:13]
; %bb.3746:
	s_mov_b32 s10, 0x7f800001
	s_xor_b64 s[4:5], exec, -1
; %bb.3747:
	s_or_b64 exec, exec, s[8:9]
	s_and_b64 s[4:5], s[4:5], exec
	s_or_saveexec_b64 s[6:7], s[6:7]
	v_mov_b32_e32 v2, s10
	s_xor_b64 exec, exec, s[6:7]
	s_cbranch_execz .LBB15_1698
.LBB15_3748:
	v_mov_b32_e32 v2, 0
	v_cmp_ne_u16_sdwa s[8:9], v7, v2 src0_sel:BYTE_0 src1_sel:DWORD
	s_andn2_b64 s[4:5], s[4:5], exec
	s_and_b64 s[8:9], s[8:9], exec
	s_or_b64 s[4:5], s[4:5], s[8:9]
	s_or_b64 exec, exec, s[6:7]
	s_and_saveexec_b64 s[6:7], s[4:5]
	s_cbranch_execnz .LBB15_1699
	s_branch .LBB15_1700
.LBB15_3749:
	s_movk_i32 s4, 0x80
	v_cmp_eq_u16_sdwa s[12:13], v3, s4 src0_sel:BYTE_0 src1_sel:DWORD
	s_mov_b64 s[4:5], -1
                                        ; implicit-def: $sgpr10
	s_and_saveexec_b64 s[8:9], s[12:13]
; %bb.3750:
	s_mov_b32 s10, 0x7f800001
	s_xor_b64 s[4:5], exec, -1
; %bb.3751:
	s_or_b64 exec, exec, s[8:9]
	s_and_b64 s[4:5], s[4:5], exec
	s_or_saveexec_b64 s[6:7], s[6:7]
	v_mov_b32_e32 v6, s10
	s_xor_b64 exec, exec, s[6:7]
	s_cbranch_execz .LBB15_1702
.LBB15_3752:
	v_mov_b32_e32 v6, 0
	v_cmp_ne_u16_sdwa s[8:9], v3, v6 src0_sel:BYTE_0 src1_sel:DWORD
	s_andn2_b64 s[4:5], s[4:5], exec
	s_and_b64 s[8:9], s[8:9], exec
	s_or_b64 s[4:5], s[4:5], s[8:9]
	s_or_b64 exec, exec, s[6:7]
	s_and_saveexec_b64 s[6:7], s[4:5]
	s_cbranch_execnz .LBB15_1703
	s_branch .LBB15_1704
.LBB15_3753:
	s_movk_i32 s4, 0x80
	v_cmp_eq_u16_sdwa s[12:13], v6, s4 src0_sel:BYTE_0 src1_sel:DWORD
	s_mov_b64 s[4:5], -1
                                        ; implicit-def: $sgpr10
	s_and_saveexec_b64 s[8:9], s[12:13]
; %bb.3754:
	s_mov_b32 s10, 0x7f800001
	s_xor_b64 s[4:5], exec, -1
; %bb.3755:
	s_or_b64 exec, exec, s[8:9]
	s_and_b64 s[4:5], s[4:5], exec
	s_or_saveexec_b64 s[6:7], s[6:7]
	v_mov_b32_e32 v2, s10
	s_xor_b64 exec, exec, s[6:7]
	s_cbranch_execz .LBB15_1706
.LBB15_3756:
	v_mov_b32_e32 v2, 0
	v_cmp_ne_u16_sdwa s[8:9], v6, v2 src0_sel:BYTE_0 src1_sel:DWORD
	s_andn2_b64 s[4:5], s[4:5], exec
	s_and_b64 s[8:9], s[8:9], exec
	s_or_b64 s[4:5], s[4:5], s[8:9]
	s_or_b64 exec, exec, s[6:7]
	s_and_saveexec_b64 s[6:7], s[4:5]
	s_cbranch_execnz .LBB15_1707
	s_branch .LBB15_1708
.LBB15_3757:
	s_movk_i32 s4, 0x80
	v_cmp_eq_u16_sdwa s[12:13], v6, s4 src0_sel:BYTE_0 src1_sel:DWORD
	s_mov_b64 s[4:5], -1
                                        ; implicit-def: $sgpr10
	s_and_saveexec_b64 s[8:9], s[12:13]
; %bb.3758:
	s_mov_b32 s10, 0x7f800001
	s_xor_b64 s[4:5], exec, -1
; %bb.3759:
	s_or_b64 exec, exec, s[8:9]
	s_and_b64 s[4:5], s[4:5], exec
	s_or_saveexec_b64 s[6:7], s[6:7]
	v_mov_b32_e32 v10, s10
	s_xor_b64 exec, exec, s[6:7]
	s_cbranch_execz .LBB15_1710
.LBB15_3760:
	v_mov_b32_e32 v10, 0
	v_cmp_ne_u16_sdwa s[8:9], v6, v10 src0_sel:BYTE_0 src1_sel:DWORD
	s_andn2_b64 s[4:5], s[4:5], exec
	s_and_b64 s[8:9], s[8:9], exec
	s_or_b64 s[4:5], s[4:5], s[8:9]
	s_or_b64 exec, exec, s[6:7]
	s_and_saveexec_b64 s[6:7], s[4:5]
	s_cbranch_execnz .LBB15_1711
	s_branch .LBB15_1712
.LBB15_3761:
	s_movk_i32 s4, 0x80
	v_cmp_eq_u16_e32 vcc, s4, v6
	s_mov_b64 s[4:5], -1
                                        ; implicit-def: $sgpr10
	s_and_saveexec_b64 s[8:9], vcc
; %bb.3762:
	s_mov_b32 s10, 0x7f800001
	s_xor_b64 s[4:5], exec, -1
; %bb.3763:
	s_or_b64 exec, exec, s[8:9]
	s_and_b64 s[4:5], s[4:5], exec
                                        ; implicit-def: $vgpr6
	s_or_saveexec_b64 s[6:7], s[6:7]
	v_mov_b32_e32 v2, s10
	s_xor_b64 exec, exec, s[6:7]
	s_cbranch_execz .LBB15_1714
.LBB15_3764:
	v_cmp_ne_u16_e32 vcc, 0, v6
	s_andn2_b64 s[4:5], s[4:5], exec
	s_and_b64 s[8:9], vcc, exec
	v_mov_b32_e32 v2, 0
	s_or_b64 s[4:5], s[4:5], s[8:9]
	s_or_b64 exec, exec, s[6:7]
	s_and_saveexec_b64 s[6:7], s[4:5]
	s_cbranch_execnz .LBB15_1715
	s_branch .LBB15_1716
.LBB15_3765:
	s_movk_i32 s4, 0x80
	v_cmp_eq_u16_e32 vcc, s4, v6
	s_mov_b64 s[4:5], -1
                                        ; implicit-def: $sgpr10
	s_and_saveexec_b64 s[8:9], vcc
; %bb.3766:
	s_mov_b32 s10, 0x7f800001
	s_xor_b64 s[4:5], exec, -1
; %bb.3767:
	s_or_b64 exec, exec, s[8:9]
	s_and_b64 s[4:5], s[4:5], exec
                                        ; implicit-def: $vgpr6
	s_or_saveexec_b64 s[6:7], s[6:7]
	v_mov_b32_e32 v10, s10
	s_xor_b64 exec, exec, s[6:7]
	s_cbranch_execz .LBB15_1718
.LBB15_3768:
	v_cmp_ne_u16_e32 vcc, 0, v6
	s_andn2_b64 s[4:5], s[4:5], exec
	s_and_b64 s[8:9], vcc, exec
	v_mov_b32_e32 v10, 0
	s_or_b64 s[4:5], s[4:5], s[8:9]
	s_or_b64 exec, exec, s[6:7]
	s_and_saveexec_b64 s[6:7], s[4:5]
	s_cbranch_execnz .LBB15_1719
	s_branch .LBB15_1720
.LBB15_3769:
	s_movk_i32 s4, 0x80
	v_cmp_eq_u16_sdwa s[12:13], v7, s4 src0_sel:BYTE_3 src1_sel:DWORD
	s_mov_b64 s[4:5], -1
                                        ; implicit-def: $sgpr10
	s_and_saveexec_b64 s[8:9], s[12:13]
; %bb.3770:
	s_mov_b32 s10, 0x7f800001
	s_xor_b64 s[4:5], exec, -1
; %bb.3771:
	s_or_b64 exec, exec, s[8:9]
	s_and_b64 s[4:5], s[4:5], exec
	s_or_saveexec_b64 s[6:7], s[6:7]
	v_mov_b32_e32 v2, s10
	s_xor_b64 exec, exec, s[6:7]
	s_cbranch_execz .LBB15_1722
.LBB15_3772:
	v_mov_b32_e32 v2, 0
	v_cmp_ne_u16_sdwa s[8:9], v7, v2 src0_sel:BYTE_3 src1_sel:DWORD
	s_andn2_b64 s[4:5], s[4:5], exec
	s_and_b64 s[8:9], s[8:9], exec
	s_or_b64 s[4:5], s[4:5], s[8:9]
	s_or_b64 exec, exec, s[6:7]
	s_and_saveexec_b64 s[6:7], s[4:5]
	s_cbranch_execnz .LBB15_1723
	s_branch .LBB15_1724
.LBB15_3773:
	s_movk_i32 s4, 0x80
	v_cmp_eq_u16_sdwa s[12:13], v3, s4 src0_sel:BYTE_3 src1_sel:DWORD
	s_mov_b64 s[4:5], -1
                                        ; implicit-def: $sgpr10
	s_and_saveexec_b64 s[8:9], s[12:13]
; %bb.3774:
	s_mov_b32 s10, 0x7f800001
	s_xor_b64 s[4:5], exec, -1
; %bb.3775:
	s_or_b64 exec, exec, s[8:9]
	s_and_b64 s[4:5], s[4:5], exec
	s_or_saveexec_b64 s[6:7], s[6:7]
	v_mov_b32_e32 v6, s10
	s_xor_b64 exec, exec, s[6:7]
	s_cbranch_execz .LBB15_1726
.LBB15_3776:
	v_mov_b32_e32 v6, 0
	v_cmp_ne_u16_sdwa s[8:9], v3, v6 src0_sel:BYTE_3 src1_sel:DWORD
	s_andn2_b64 s[4:5], s[4:5], exec
	s_and_b64 s[8:9], s[8:9], exec
	s_or_b64 s[4:5], s[4:5], s[8:9]
	s_or_b64 exec, exec, s[6:7]
	s_and_saveexec_b64 s[6:7], s[4:5]
	s_cbranch_execnz .LBB15_1727
	s_branch .LBB15_1728
.LBB15_3777:
	s_movk_i32 s4, 0x80
	v_cmp_eq_u16_sdwa s[12:13], v8, s4 src0_sel:BYTE_0 src1_sel:DWORD
	s_mov_b64 s[4:5], -1
                                        ; implicit-def: $sgpr10
	s_and_saveexec_b64 s[8:9], s[12:13]
; %bb.3778:
	s_mov_b32 s10, 0x7f800001
	s_xor_b64 s[4:5], exec, -1
; %bb.3779:
	s_or_b64 exec, exec, s[8:9]
	s_and_b64 s[4:5], s[4:5], exec
	s_or_saveexec_b64 s[6:7], s[6:7]
	v_mov_b32_e32 v2, s10
	s_xor_b64 exec, exec, s[6:7]
	s_cbranch_execz .LBB15_1730
.LBB15_3780:
	v_mov_b32_e32 v2, 0
	v_cmp_ne_u16_sdwa s[8:9], v8, v2 src0_sel:BYTE_0 src1_sel:DWORD
	s_andn2_b64 s[4:5], s[4:5], exec
	s_and_b64 s[8:9], s[8:9], exec
	s_or_b64 s[4:5], s[4:5], s[8:9]
	s_or_b64 exec, exec, s[6:7]
	s_and_saveexec_b64 s[6:7], s[4:5]
	s_cbranch_execnz .LBB15_1731
	s_branch .LBB15_1732
.LBB15_3781:
	s_movk_i32 s4, 0x80
	v_cmp_eq_u16_sdwa s[12:13], v4, s4 src0_sel:BYTE_0 src1_sel:DWORD
	s_mov_b64 s[4:5], -1
                                        ; implicit-def: $sgpr10
	s_and_saveexec_b64 s[8:9], s[12:13]
; %bb.3782:
	s_mov_b32 s10, 0x7f800001
	s_xor_b64 s[4:5], exec, -1
; %bb.3783:
	s_or_b64 exec, exec, s[8:9]
	s_and_b64 s[4:5], s[4:5], exec
	s_or_saveexec_b64 s[6:7], s[6:7]
	v_mov_b32_e32 v3, s10
	s_xor_b64 exec, exec, s[6:7]
	s_cbranch_execz .LBB15_1734
.LBB15_3784:
	v_mov_b32_e32 v3, 0
	v_cmp_ne_u16_sdwa s[8:9], v4, v3 src0_sel:BYTE_0 src1_sel:DWORD
	s_andn2_b64 s[4:5], s[4:5], exec
	s_and_b64 s[8:9], s[8:9], exec
	s_or_b64 s[4:5], s[4:5], s[8:9]
	s_or_b64 exec, exec, s[6:7]
	s_and_saveexec_b64 s[6:7], s[4:5]
	s_cbranch_execnz .LBB15_1735
	s_branch .LBB15_1736
.LBB15_3785:
	s_movk_i32 s4, 0x80
	v_cmp_eq_u16_sdwa s[12:13], v3, s4 src0_sel:BYTE_0 src1_sel:DWORD
	s_mov_b64 s[4:5], -1
                                        ; implicit-def: $sgpr10
	s_and_saveexec_b64 s[8:9], s[12:13]
; %bb.3786:
	s_mov_b32 s10, 0x7f800001
	s_xor_b64 s[4:5], exec, -1
; %bb.3787:
	s_or_b64 exec, exec, s[8:9]
	s_and_b64 s[4:5], s[4:5], exec
	s_or_saveexec_b64 s[6:7], s[6:7]
	v_mov_b32_e32 v2, s10
	s_xor_b64 exec, exec, s[6:7]
	s_cbranch_execz .LBB15_1738
.LBB15_3788:
	v_mov_b32_e32 v2, 0
	v_cmp_ne_u16_sdwa s[8:9], v3, v2 src0_sel:BYTE_0 src1_sel:DWORD
	s_andn2_b64 s[4:5], s[4:5], exec
	s_and_b64 s[8:9], s[8:9], exec
	s_or_b64 s[4:5], s[4:5], s[8:9]
	s_or_b64 exec, exec, s[6:7]
	s_and_saveexec_b64 s[6:7], s[4:5]
	s_cbranch_execnz .LBB15_1739
	s_branch .LBB15_1740
.LBB15_3789:
	s_movk_i32 s4, 0x80
	v_cmp_eq_u16_sdwa s[12:13], v3, s4 src0_sel:BYTE_0 src1_sel:DWORD
	s_mov_b64 s[4:5], -1
                                        ; implicit-def: $sgpr10
	s_and_saveexec_b64 s[8:9], s[12:13]
; %bb.3790:
	s_mov_b32 s10, 0x7f800001
	s_xor_b64 s[4:5], exec, -1
; %bb.3791:
	s_or_b64 exec, exec, s[8:9]
	s_and_b64 s[4:5], s[4:5], exec
	s_or_saveexec_b64 s[6:7], s[6:7]
	v_mov_b32_e32 v6, s10
	s_xor_b64 exec, exec, s[6:7]
	s_cbranch_execz .LBB15_1742
.LBB15_3792:
	v_mov_b32_e32 v6, 0
	v_cmp_ne_u16_sdwa s[8:9], v3, v6 src0_sel:BYTE_0 src1_sel:DWORD
	s_andn2_b64 s[4:5], s[4:5], exec
	s_and_b64 s[8:9], s[8:9], exec
	s_or_b64 s[4:5], s[4:5], s[8:9]
	s_or_b64 exec, exec, s[6:7]
	s_and_saveexec_b64 s[6:7], s[4:5]
	s_cbranch_execnz .LBB15_1743
	s_branch .LBB15_1744
.LBB15_3793:
	s_movk_i32 s4, 0x80
	v_cmp_eq_u16_e32 vcc, s4, v3
	s_mov_b64 s[4:5], -1
                                        ; implicit-def: $sgpr10
	s_and_saveexec_b64 s[8:9], vcc
; %bb.3794:
	s_mov_b32 s10, 0x7f800001
	s_xor_b64 s[4:5], exec, -1
; %bb.3795:
	s_or_b64 exec, exec, s[8:9]
	s_and_b64 s[4:5], s[4:5], exec
                                        ; implicit-def: $vgpr3
	s_or_saveexec_b64 s[6:7], s[6:7]
	v_mov_b32_e32 v2, s10
	s_xor_b64 exec, exec, s[6:7]
	s_cbranch_execz .LBB15_1746
.LBB15_3796:
	v_cmp_ne_u16_e32 vcc, 0, v3
	s_andn2_b64 s[4:5], s[4:5], exec
	s_and_b64 s[8:9], vcc, exec
	v_mov_b32_e32 v2, 0
	s_or_b64 s[4:5], s[4:5], s[8:9]
	s_or_b64 exec, exec, s[6:7]
	s_and_saveexec_b64 s[6:7], s[4:5]
	s_cbranch_execnz .LBB15_1747
	s_branch .LBB15_1748
.LBB15_3797:
	s_movk_i32 s4, 0x80
	v_cmp_eq_u16_e32 vcc, s4, v3
	s_mov_b64 s[4:5], -1
                                        ; implicit-def: $sgpr10
	s_and_saveexec_b64 s[8:9], vcc
; %bb.3798:
	s_mov_b32 s10, 0x7f800001
	s_xor_b64 s[4:5], exec, -1
; %bb.3799:
	s_or_b64 exec, exec, s[8:9]
	s_and_b64 s[4:5], s[4:5], exec
                                        ; implicit-def: $vgpr3
	s_or_saveexec_b64 s[6:7], s[6:7]
	v_mov_b32_e32 v6, s10
	s_xor_b64 exec, exec, s[6:7]
	s_cbranch_execz .LBB15_1750
.LBB15_3800:
	v_cmp_ne_u16_e32 vcc, 0, v3
	s_andn2_b64 s[4:5], s[4:5], exec
	s_and_b64 s[8:9], vcc, exec
	v_mov_b32_e32 v6, 0
	s_or_b64 s[4:5], s[4:5], s[8:9]
	s_or_b64 exec, exec, s[6:7]
	s_and_saveexec_b64 s[6:7], s[4:5]
	s_cbranch_execnz .LBB15_1751
	s_branch .LBB15_1752
.LBB15_3801:
	s_movk_i32 s4, 0x80
	v_cmp_eq_u16_sdwa s[12:13], v8, s4 src0_sel:BYTE_3 src1_sel:DWORD
	s_mov_b64 s[4:5], -1
                                        ; implicit-def: $sgpr10
	s_and_saveexec_b64 s[8:9], s[12:13]
; %bb.3802:
	s_mov_b32 s10, 0x7f800001
	s_xor_b64 s[4:5], exec, -1
; %bb.3803:
	s_or_b64 exec, exec, s[8:9]
	s_and_b64 s[4:5], s[4:5], exec
	s_or_saveexec_b64 s[6:7], s[6:7]
	v_mov_b32_e32 v2, s10
	s_xor_b64 exec, exec, s[6:7]
	s_cbranch_execz .LBB15_1754
.LBB15_3804:
	v_mov_b32_e32 v2, 0
	v_cmp_ne_u16_sdwa s[8:9], v8, v2 src0_sel:BYTE_3 src1_sel:DWORD
	s_andn2_b64 s[4:5], s[4:5], exec
	s_and_b64 s[8:9], s[8:9], exec
	s_or_b64 s[4:5], s[4:5], s[8:9]
	s_or_b64 exec, exec, s[6:7]
	s_and_saveexec_b64 s[6:7], s[4:5]
	s_cbranch_execnz .LBB15_1755
	s_branch .LBB15_1756
.LBB15_3805:
	s_movk_i32 s4, 0x80
	v_cmp_eq_u16_sdwa s[12:13], v4, s4 src0_sel:BYTE_3 src1_sel:DWORD
	s_mov_b64 s[4:5], -1
                                        ; implicit-def: $sgpr10
	s_and_saveexec_b64 s[8:9], s[12:13]
; %bb.3806:
	s_mov_b32 s10, 0x7f800001
	s_xor_b64 s[4:5], exec, -1
; %bb.3807:
	s_or_b64 exec, exec, s[8:9]
	s_and_b64 s[4:5], s[4:5], exec
	s_or_saveexec_b64 s[6:7], s[6:7]
	v_mov_b32_e32 v3, s10
	s_xor_b64 exec, exec, s[6:7]
	s_cbranch_execz .LBB15_1758
.LBB15_3808:
	v_mov_b32_e32 v3, 0
	v_cmp_ne_u16_sdwa s[8:9], v4, v3 src0_sel:BYTE_3 src1_sel:DWORD
	s_andn2_b64 s[4:5], s[4:5], exec
	s_and_b64 s[8:9], s[8:9], exec
	s_or_b64 s[4:5], s[4:5], s[8:9]
	s_or_b64 exec, exec, s[6:7]
	s_and_saveexec_b64 s[6:7], s[4:5]
	s_cbranch_execnz .LBB15_1759
	s_branch .LBB15_1760
.LBB15_3809:
	s_movk_i32 s4, 0x80
	v_cmp_eq_u16_sdwa s[12:13], v9, s4 src0_sel:BYTE_0 src1_sel:DWORD
	s_mov_b64 s[4:5], -1
                                        ; implicit-def: $sgpr10
	s_and_saveexec_b64 s[8:9], s[12:13]
; %bb.3810:
	s_mov_b32 s10, 0x7f800001
	s_xor_b64 s[4:5], exec, -1
; %bb.3811:
	s_or_b64 exec, exec, s[8:9]
	s_and_b64 s[4:5], s[4:5], exec
	s_or_saveexec_b64 s[6:7], s[6:7]
	v_mov_b32_e32 v2, s10
	s_xor_b64 exec, exec, s[6:7]
	s_cbranch_execz .LBB15_1762
.LBB15_3812:
	v_mov_b32_e32 v2, 0
	v_cmp_ne_u16_sdwa s[8:9], v9, v2 src0_sel:BYTE_0 src1_sel:DWORD
	s_andn2_b64 s[4:5], s[4:5], exec
	s_and_b64 s[8:9], s[8:9], exec
	s_or_b64 s[4:5], s[4:5], s[8:9]
	s_or_b64 exec, exec, s[6:7]
	s_and_saveexec_b64 s[6:7], s[4:5]
	s_cbranch_execnz .LBB15_1763
	s_branch .LBB15_1764
.LBB15_3813:
	s_movk_i32 s4, 0x80
	v_cmp_eq_u16_sdwa s[12:13], v5, s4 src0_sel:BYTE_0 src1_sel:DWORD
	s_mov_b64 s[4:5], -1
                                        ; implicit-def: $sgpr10
	s_and_saveexec_b64 s[8:9], s[12:13]
; %bb.3814:
	s_mov_b32 s10, 0x7f800001
	s_xor_b64 s[4:5], exec, -1
; %bb.3815:
	s_or_b64 exec, exec, s[8:9]
	s_and_b64 s[4:5], s[4:5], exec
	s_or_saveexec_b64 s[6:7], s[6:7]
	v_mov_b32_e32 v3, s10
	s_xor_b64 exec, exec, s[6:7]
	s_cbranch_execz .LBB15_1766
.LBB15_3816:
	v_mov_b32_e32 v3, 0
	v_cmp_ne_u16_sdwa s[8:9], v5, v3 src0_sel:BYTE_0 src1_sel:DWORD
	s_andn2_b64 s[4:5], s[4:5], exec
	s_and_b64 s[8:9], s[8:9], exec
	s_or_b64 s[4:5], s[4:5], s[8:9]
	s_or_b64 exec, exec, s[6:7]
	s_and_saveexec_b64 s[6:7], s[4:5]
	s_cbranch_execnz .LBB15_1767
	s_branch .LBB15_1768
.LBB15_3817:
	s_movk_i32 s4, 0x80
	v_cmp_eq_u16_sdwa s[12:13], v3, s4 src0_sel:BYTE_0 src1_sel:DWORD
	s_mov_b64 s[4:5], -1
                                        ; implicit-def: $sgpr10
	s_and_saveexec_b64 s[8:9], s[12:13]
; %bb.3818:
	s_mov_b32 s10, 0x7f800001
	s_xor_b64 s[4:5], exec, -1
; %bb.3819:
	s_or_b64 exec, exec, s[8:9]
	s_and_b64 s[4:5], s[4:5], exec
	s_or_saveexec_b64 s[6:7], s[6:7]
	v_mov_b32_e32 v2, s10
	s_xor_b64 exec, exec, s[6:7]
	s_cbranch_execz .LBB15_1770
.LBB15_3820:
	v_mov_b32_e32 v2, 0
	v_cmp_ne_u16_sdwa s[8:9], v3, v2 src0_sel:BYTE_0 src1_sel:DWORD
	s_andn2_b64 s[4:5], s[4:5], exec
	s_and_b64 s[8:9], s[8:9], exec
	s_or_b64 s[4:5], s[4:5], s[8:9]
	s_or_b64 exec, exec, s[6:7]
	s_and_saveexec_b64 s[6:7], s[4:5]
	s_cbranch_execnz .LBB15_1771
	s_branch .LBB15_1772
.LBB15_3821:
	s_movk_i32 s4, 0x80
	v_cmp_eq_u16_sdwa s[12:13], v3, s4 src0_sel:BYTE_0 src1_sel:DWORD
	s_mov_b64 s[4:5], -1
                                        ; implicit-def: $sgpr10
	s_and_saveexec_b64 s[8:9], s[12:13]
; %bb.3822:
	s_mov_b32 s10, 0x7f800001
	s_xor_b64 s[4:5], exec, -1
; %bb.3823:
	s_or_b64 exec, exec, s[8:9]
	s_and_b64 s[4:5], s[4:5], exec
	s_or_saveexec_b64 s[6:7], s[6:7]
	v_mov_b32_e32 v4, s10
	s_xor_b64 exec, exec, s[6:7]
	s_cbranch_execz .LBB15_1774
.LBB15_3824:
	v_mov_b32_e32 v4, 0
	v_cmp_ne_u16_sdwa s[8:9], v3, v4 src0_sel:BYTE_0 src1_sel:DWORD
	s_andn2_b64 s[4:5], s[4:5], exec
	s_and_b64 s[8:9], s[8:9], exec
	s_or_b64 s[4:5], s[4:5], s[8:9]
	s_or_b64 exec, exec, s[6:7]
	s_and_saveexec_b64 s[6:7], s[4:5]
	s_cbranch_execnz .LBB15_1775
	s_branch .LBB15_1776
.LBB15_3825:
	s_movk_i32 s4, 0x80
	v_cmp_eq_u16_e32 vcc, s4, v3
	s_mov_b64 s[4:5], -1
                                        ; implicit-def: $sgpr10
	s_and_saveexec_b64 s[8:9], vcc
; %bb.3826:
	s_mov_b32 s10, 0x7f800001
	s_xor_b64 s[4:5], exec, -1
; %bb.3827:
	s_or_b64 exec, exec, s[8:9]
	s_and_b64 s[4:5], s[4:5], exec
                                        ; implicit-def: $vgpr3
	s_or_saveexec_b64 s[6:7], s[6:7]
	v_mov_b32_e32 v2, s10
	s_xor_b64 exec, exec, s[6:7]
	s_cbranch_execz .LBB15_1778
.LBB15_3828:
	v_cmp_ne_u16_e32 vcc, 0, v3
	s_andn2_b64 s[4:5], s[4:5], exec
	s_and_b64 s[8:9], vcc, exec
	v_mov_b32_e32 v2, 0
	s_or_b64 s[4:5], s[4:5], s[8:9]
	s_or_b64 exec, exec, s[6:7]
	s_and_saveexec_b64 s[6:7], s[4:5]
	s_cbranch_execnz .LBB15_1779
	s_branch .LBB15_1780
.LBB15_3829:
	s_movk_i32 s4, 0x80
	v_cmp_eq_u16_e32 vcc, s4, v3
	s_mov_b64 s[4:5], -1
                                        ; implicit-def: $sgpr10
	s_and_saveexec_b64 s[8:9], vcc
; %bb.3830:
	s_mov_b32 s10, 0x7f800001
	s_xor_b64 s[4:5], exec, -1
; %bb.3831:
	s_or_b64 exec, exec, s[8:9]
	s_and_b64 s[4:5], s[4:5], exec
                                        ; implicit-def: $vgpr3
	s_or_saveexec_b64 s[6:7], s[6:7]
	v_mov_b32_e32 v4, s10
	s_xor_b64 exec, exec, s[6:7]
	s_cbranch_execz .LBB15_1782
.LBB15_3832:
	v_cmp_ne_u16_e32 vcc, 0, v3
	s_andn2_b64 s[4:5], s[4:5], exec
	s_and_b64 s[8:9], vcc, exec
	v_mov_b32_e32 v4, 0
	s_or_b64 s[4:5], s[4:5], s[8:9]
	s_or_b64 exec, exec, s[6:7]
	s_and_saveexec_b64 s[6:7], s[4:5]
	s_cbranch_execnz .LBB15_1783
	s_branch .LBB15_1784
.LBB15_3833:
	s_movk_i32 s4, 0x80
	v_cmp_eq_u16_sdwa s[12:13], v9, s4 src0_sel:BYTE_3 src1_sel:DWORD
	s_mov_b64 s[4:5], -1
                                        ; implicit-def: $sgpr10
	s_and_saveexec_b64 s[8:9], s[12:13]
; %bb.3834:
	s_mov_b32 s10, 0x7f800001
	s_xor_b64 s[4:5], exec, -1
; %bb.3835:
	s_or_b64 exec, exec, s[8:9]
	s_and_b64 s[4:5], s[4:5], exec
	s_or_saveexec_b64 s[6:7], s[6:7]
	v_mov_b32_e32 v2, s10
	s_xor_b64 exec, exec, s[6:7]
	s_cbranch_execz .LBB15_1786
.LBB15_3836:
	v_mov_b32_e32 v2, 0
	v_cmp_ne_u16_sdwa s[8:9], v9, v2 src0_sel:BYTE_3 src1_sel:DWORD
	s_andn2_b64 s[4:5], s[4:5], exec
	s_and_b64 s[8:9], s[8:9], exec
	s_or_b64 s[4:5], s[4:5], s[8:9]
	s_or_b64 exec, exec, s[6:7]
	s_and_saveexec_b64 s[6:7], s[4:5]
	s_cbranch_execnz .LBB15_1787
	s_branch .LBB15_1788
.LBB15_3837:
	s_movk_i32 s4, 0x80
	v_cmp_eq_u16_sdwa s[12:13], v5, s4 src0_sel:BYTE_3 src1_sel:DWORD
	s_mov_b64 s[4:5], -1
                                        ; implicit-def: $sgpr10
	s_and_saveexec_b64 s[8:9], s[12:13]
; %bb.3838:
	s_mov_b32 s10, 0x7f800001
	s_xor_b64 s[4:5], exec, -1
; %bb.3839:
	s_or_b64 exec, exec, s[8:9]
	s_and_b64 s[4:5], s[4:5], exec
	s_or_saveexec_b64 s[6:7], s[6:7]
	v_mov_b32_e32 v3, s10
	s_xor_b64 exec, exec, s[6:7]
	s_cbranch_execz .LBB15_1790
.LBB15_3840:
	v_mov_b32_e32 v3, 0
	v_cmp_ne_u16_sdwa s[8:9], v5, v3 src0_sel:BYTE_3 src1_sel:DWORD
	s_andn2_b64 s[4:5], s[4:5], exec
	s_and_b64 s[8:9], s[8:9], exec
	s_or_b64 s[4:5], s[4:5], s[8:9]
	s_or_b64 exec, exec, s[6:7]
	s_and_saveexec_b64 s[6:7], s[4:5]
	s_cbranch_execnz .LBB15_1791
	s_branch .LBB15_1792
.LBB15_3841:
	s_movk_i32 s4, 0x80
	v_cmp_eq_u16_sdwa s[12:13], v12, s4 src0_sel:BYTE_0 src1_sel:DWORD
	s_mov_b64 s[4:5], -1
                                        ; implicit-def: $sgpr10
	s_and_saveexec_b64 s[8:9], s[12:13]
; %bb.3842:
	s_mov_b32 s10, 0x7f800001
	s_xor_b64 s[4:5], exec, -1
; %bb.3843:
	s_or_b64 exec, exec, s[8:9]
	s_and_b64 s[4:5], s[4:5], exec
	s_or_saveexec_b64 s[6:7], s[6:7]
	v_mov_b32_e32 v18, s10
	s_xor_b64 exec, exec, s[6:7]
	s_cbranch_execz .LBB15_1794
.LBB15_3844:
	v_mov_b32_e32 v18, 0
	v_cmp_ne_u16_sdwa s[8:9], v12, v18 src0_sel:BYTE_0 src1_sel:DWORD
	s_andn2_b64 s[4:5], s[4:5], exec
	s_and_b64 s[8:9], s[8:9], exec
	s_or_b64 s[4:5], s[4:5], s[8:9]
	s_or_b64 exec, exec, s[6:7]
	s_and_saveexec_b64 s[6:7], s[4:5]
	s_cbranch_execnz .LBB15_1795
	s_branch .LBB15_1796
.LBB15_3845:
	s_movk_i32 s4, 0x80
	v_cmp_eq_u16_sdwa s[12:13], v8, s4 src0_sel:BYTE_0 src1_sel:DWORD
	s_mov_b64 s[4:5], -1
                                        ; implicit-def: $sgpr10
	s_and_saveexec_b64 s[8:9], s[12:13]
; %bb.3846:
	s_mov_b32 s10, 0x7f800001
	s_xor_b64 s[4:5], exec, -1
; %bb.3847:
	s_or_b64 exec, exec, s[8:9]
	s_and_b64 s[4:5], s[4:5], exec
	s_or_saveexec_b64 s[6:7], s[6:7]
	v_mov_b32_e32 v19, s10
	s_xor_b64 exec, exec, s[6:7]
	s_cbranch_execz .LBB15_1798
.LBB15_3848:
	v_mov_b32_e32 v19, 0
	v_cmp_ne_u16_sdwa s[8:9], v8, v19 src0_sel:BYTE_0 src1_sel:DWORD
	s_andn2_b64 s[4:5], s[4:5], exec
	s_and_b64 s[8:9], s[8:9], exec
	s_or_b64 s[4:5], s[4:5], s[8:9]
	s_or_b64 exec, exec, s[6:7]
	s_and_saveexec_b64 s[6:7], s[4:5]
	s_cbranch_execnz .LBB15_1799
	s_branch .LBB15_1800
.LBB15_3849:
	s_movk_i32 s4, 0x80
	v_cmp_eq_u16_sdwa s[12:13], v19, s4 src0_sel:BYTE_0 src1_sel:DWORD
	s_mov_b64 s[4:5], -1
                                        ; implicit-def: $sgpr10
	s_and_saveexec_b64 s[8:9], s[12:13]
; %bb.3850:
	s_mov_b32 s10, 0x7f800001
	s_xor_b64 s[4:5], exec, -1
; %bb.3851:
	s_or_b64 exec, exec, s[8:9]
	s_and_b64 s[4:5], s[4:5], exec
	s_or_saveexec_b64 s[6:7], s[6:7]
	v_mov_b32_e32 v18, s10
	s_xor_b64 exec, exec, s[6:7]
	s_cbranch_execz .LBB15_1802
.LBB15_3852:
	v_mov_b32_e32 v18, 0
	v_cmp_ne_u16_sdwa s[8:9], v19, v18 src0_sel:BYTE_0 src1_sel:DWORD
	s_andn2_b64 s[4:5], s[4:5], exec
	s_and_b64 s[8:9], s[8:9], exec
	s_or_b64 s[4:5], s[4:5], s[8:9]
	s_or_b64 exec, exec, s[6:7]
	s_and_saveexec_b64 s[6:7], s[4:5]
	s_cbranch_execnz .LBB15_1803
	s_branch .LBB15_1804
.LBB15_3853:
	s_movk_i32 s4, 0x80
	v_cmp_eq_u16_sdwa s[12:13], v19, s4 src0_sel:BYTE_0 src1_sel:DWORD
	s_mov_b64 s[4:5], -1
                                        ; implicit-def: $sgpr10
	s_and_saveexec_b64 s[8:9], s[12:13]
; %bb.3854:
	s_mov_b32 s10, 0x7f800001
	s_xor_b64 s[4:5], exec, -1
; %bb.3855:
	s_or_b64 exec, exec, s[8:9]
	s_and_b64 s[4:5], s[4:5], exec
	s_or_saveexec_b64 s[6:7], s[6:7]
	v_mov_b32_e32 v20, s10
	s_xor_b64 exec, exec, s[6:7]
	s_cbranch_execz .LBB15_1806
.LBB15_3856:
	v_mov_b32_e32 v20, 0
	v_cmp_ne_u16_sdwa s[8:9], v19, v20 src0_sel:BYTE_0 src1_sel:DWORD
	s_andn2_b64 s[4:5], s[4:5], exec
	s_and_b64 s[8:9], s[8:9], exec
	s_or_b64 s[4:5], s[4:5], s[8:9]
	s_or_b64 exec, exec, s[6:7]
	s_and_saveexec_b64 s[6:7], s[4:5]
	s_cbranch_execnz .LBB15_1807
	s_branch .LBB15_1808
.LBB15_3857:
	s_movk_i32 s4, 0x80
	v_cmp_eq_u16_e32 vcc, s4, v19
	s_mov_b64 s[4:5], -1
                                        ; implicit-def: $sgpr10
	s_and_saveexec_b64 s[8:9], vcc
; %bb.3858:
	s_mov_b32 s10, 0x7f800001
	s_xor_b64 s[4:5], exec, -1
; %bb.3859:
	s_or_b64 exec, exec, s[8:9]
	s_and_b64 s[4:5], s[4:5], exec
                                        ; implicit-def: $vgpr19
	s_or_saveexec_b64 s[6:7], s[6:7]
	v_mov_b32_e32 v18, s10
	s_xor_b64 exec, exec, s[6:7]
	s_cbranch_execz .LBB15_1810
.LBB15_3860:
	v_cmp_ne_u16_e32 vcc, 0, v19
	s_andn2_b64 s[4:5], s[4:5], exec
	s_and_b64 s[8:9], vcc, exec
	v_mov_b32_e32 v18, 0
	s_or_b64 s[4:5], s[4:5], s[8:9]
	s_or_b64 exec, exec, s[6:7]
	s_and_saveexec_b64 s[6:7], s[4:5]
	s_cbranch_execnz .LBB15_1811
	s_branch .LBB15_1812
.LBB15_3861:
	s_movk_i32 s4, 0x80
	v_cmp_eq_u16_e32 vcc, s4, v19
	s_mov_b64 s[4:5], -1
                                        ; implicit-def: $sgpr10
	s_and_saveexec_b64 s[8:9], vcc
; %bb.3862:
	s_mov_b32 s10, 0x7f800001
	s_xor_b64 s[4:5], exec, -1
; %bb.3863:
	s_or_b64 exec, exec, s[8:9]
	s_and_b64 s[4:5], s[4:5], exec
                                        ; implicit-def: $vgpr19
	s_or_saveexec_b64 s[6:7], s[6:7]
	v_mov_b32_e32 v20, s10
	s_xor_b64 exec, exec, s[6:7]
	s_cbranch_execz .LBB15_1814
.LBB15_3864:
	v_cmp_ne_u16_e32 vcc, 0, v19
	s_andn2_b64 s[4:5], s[4:5], exec
	s_and_b64 s[8:9], vcc, exec
	v_mov_b32_e32 v20, 0
	s_or_b64 s[4:5], s[4:5], s[8:9]
	s_or_b64 exec, exec, s[6:7]
	s_and_saveexec_b64 s[6:7], s[4:5]
	s_cbranch_execnz .LBB15_1815
	s_branch .LBB15_1816
.LBB15_3865:
	s_movk_i32 s4, 0x80
	v_cmp_eq_u16_sdwa s[12:13], v12, s4 src0_sel:BYTE_3 src1_sel:DWORD
	s_mov_b64 s[4:5], -1
                                        ; implicit-def: $sgpr10
	s_and_saveexec_b64 s[8:9], s[12:13]
; %bb.3866:
	s_mov_b32 s10, 0x7f800001
	s_xor_b64 s[4:5], exec, -1
; %bb.3867:
	s_or_b64 exec, exec, s[8:9]
	s_and_b64 s[4:5], s[4:5], exec
	s_or_saveexec_b64 s[6:7], s[6:7]
	v_mov_b32_e32 v18, s10
	s_xor_b64 exec, exec, s[6:7]
	s_cbranch_execz .LBB15_1818
.LBB15_3868:
	v_mov_b32_e32 v18, 0
	v_cmp_ne_u16_sdwa s[8:9], v12, v18 src0_sel:BYTE_3 src1_sel:DWORD
	s_andn2_b64 s[4:5], s[4:5], exec
	s_and_b64 s[8:9], s[8:9], exec
	s_or_b64 s[4:5], s[4:5], s[8:9]
	s_or_b64 exec, exec, s[6:7]
	s_and_saveexec_b64 s[6:7], s[4:5]
	s_cbranch_execnz .LBB15_1819
	s_branch .LBB15_1820
.LBB15_3869:
	s_movk_i32 s4, 0x80
	v_cmp_eq_u16_sdwa s[12:13], v8, s4 src0_sel:BYTE_3 src1_sel:DWORD
	s_mov_b64 s[4:5], -1
                                        ; implicit-def: $sgpr10
	s_and_saveexec_b64 s[8:9], s[12:13]
; %bb.3870:
	s_mov_b32 s10, 0x7f800001
	s_xor_b64 s[4:5], exec, -1
; %bb.3871:
	s_or_b64 exec, exec, s[8:9]
	s_and_b64 s[4:5], s[4:5], exec
	s_or_saveexec_b64 s[6:7], s[6:7]
	v_mov_b32_e32 v12, s10
	s_xor_b64 exec, exec, s[6:7]
	s_cbranch_execz .LBB15_1822
.LBB15_3872:
	v_mov_b32_e32 v12, 0
	v_cmp_ne_u16_sdwa s[8:9], v8, v12 src0_sel:BYTE_3 src1_sel:DWORD
	s_andn2_b64 s[4:5], s[4:5], exec
	s_and_b64 s[8:9], s[8:9], exec
	s_or_b64 s[4:5], s[4:5], s[8:9]
	s_or_b64 exec, exec, s[6:7]
	s_and_saveexec_b64 s[6:7], s[4:5]
	s_cbranch_execnz .LBB15_1823
	s_branch .LBB15_1824
.LBB15_3873:
	s_movk_i32 s4, 0x80
	v_cmp_eq_u16_sdwa s[12:13], v13, s4 src0_sel:BYTE_0 src1_sel:DWORD
	s_mov_b64 s[4:5], -1
                                        ; implicit-def: $sgpr10
	s_and_saveexec_b64 s[8:9], s[12:13]
; %bb.3874:
	s_mov_b32 s10, 0x7f800001
	s_xor_b64 s[4:5], exec, -1
; %bb.3875:
	s_or_b64 exec, exec, s[8:9]
	s_and_b64 s[4:5], s[4:5], exec
	s_or_saveexec_b64 s[6:7], s[6:7]
	v_mov_b32_e32 v8, s10
	s_xor_b64 exec, exec, s[6:7]
	s_cbranch_execz .LBB15_1826
.LBB15_3876:
	v_mov_b32_e32 v8, 0
	v_cmp_ne_u16_sdwa s[8:9], v13, v8 src0_sel:BYTE_0 src1_sel:DWORD
	s_andn2_b64 s[4:5], s[4:5], exec
	s_and_b64 s[8:9], s[8:9], exec
	s_or_b64 s[4:5], s[4:5], s[8:9]
	s_or_b64 exec, exec, s[6:7]
	s_and_saveexec_b64 s[6:7], s[4:5]
	s_cbranch_execnz .LBB15_1827
	s_branch .LBB15_1828
.LBB15_3877:
	s_movk_i32 s4, 0x80
	v_cmp_eq_u16_sdwa s[12:13], v9, s4 src0_sel:BYTE_0 src1_sel:DWORD
	s_mov_b64 s[4:5], -1
                                        ; implicit-def: $sgpr10
	s_and_saveexec_b64 s[8:9], s[12:13]
; %bb.3878:
	s_mov_b32 s10, 0x7f800001
	s_xor_b64 s[4:5], exec, -1
; %bb.3879:
	s_or_b64 exec, exec, s[8:9]
	s_and_b64 s[4:5], s[4:5], exec
	s_or_saveexec_b64 s[6:7], s[6:7]
	v_mov_b32_e32 v12, s10
	s_xor_b64 exec, exec, s[6:7]
	s_cbranch_execz .LBB15_1830
.LBB15_3880:
	v_mov_b32_e32 v12, 0
	v_cmp_ne_u16_sdwa s[8:9], v9, v12 src0_sel:BYTE_0 src1_sel:DWORD
	s_andn2_b64 s[4:5], s[4:5], exec
	s_and_b64 s[8:9], s[8:9], exec
	s_or_b64 s[4:5], s[4:5], s[8:9]
	s_or_b64 exec, exec, s[6:7]
	s_and_saveexec_b64 s[6:7], s[4:5]
	s_cbranch_execnz .LBB15_1831
	s_branch .LBB15_1832
.LBB15_3881:
	s_movk_i32 s4, 0x80
	v_cmp_eq_u16_sdwa s[12:13], v12, s4 src0_sel:BYTE_0 src1_sel:DWORD
	s_mov_b64 s[4:5], -1
                                        ; implicit-def: $sgpr10
	s_and_saveexec_b64 s[8:9], s[12:13]
; %bb.3882:
	s_mov_b32 s10, 0x7f800001
	s_xor_b64 s[4:5], exec, -1
; %bb.3883:
	s_or_b64 exec, exec, s[8:9]
	s_and_b64 s[4:5], s[4:5], exec
	s_or_saveexec_b64 s[6:7], s[6:7]
	v_mov_b32_e32 v8, s10
	s_xor_b64 exec, exec, s[6:7]
	s_cbranch_execz .LBB15_1834
.LBB15_3884:
	v_mov_b32_e32 v8, 0
	v_cmp_ne_u16_sdwa s[8:9], v12, v8 src0_sel:BYTE_0 src1_sel:DWORD
	s_andn2_b64 s[4:5], s[4:5], exec
	s_and_b64 s[8:9], s[8:9], exec
	s_or_b64 s[4:5], s[4:5], s[8:9]
	s_or_b64 exec, exec, s[6:7]
	s_and_saveexec_b64 s[6:7], s[4:5]
	s_cbranch_execnz .LBB15_1835
	s_branch .LBB15_1836
.LBB15_3885:
	s_movk_i32 s4, 0x80
	v_cmp_eq_u16_sdwa s[12:13], v12, s4 src0_sel:BYTE_0 src1_sel:DWORD
	s_mov_b64 s[4:5], -1
                                        ; implicit-def: $sgpr10
	s_and_saveexec_b64 s[8:9], s[12:13]
; %bb.3886:
	s_mov_b32 s10, 0x7f800001
	s_xor_b64 s[4:5], exec, -1
; %bb.3887:
	s_or_b64 exec, exec, s[8:9]
	s_and_b64 s[4:5], s[4:5], exec
	s_or_saveexec_b64 s[6:7], s[6:7]
	v_mov_b32_e32 v18, s10
	s_xor_b64 exec, exec, s[6:7]
	s_cbranch_execz .LBB15_1838
.LBB15_3888:
	v_mov_b32_e32 v18, 0
	v_cmp_ne_u16_sdwa s[8:9], v12, v18 src0_sel:BYTE_0 src1_sel:DWORD
	s_andn2_b64 s[4:5], s[4:5], exec
	s_and_b64 s[8:9], s[8:9], exec
	s_or_b64 s[4:5], s[4:5], s[8:9]
	s_or_b64 exec, exec, s[6:7]
	s_and_saveexec_b64 s[6:7], s[4:5]
	s_cbranch_execnz .LBB15_1839
	s_branch .LBB15_1840
.LBB15_3889:
	s_movk_i32 s4, 0x80
	v_cmp_eq_u16_e32 vcc, s4, v12
	s_mov_b64 s[4:5], -1
                                        ; implicit-def: $sgpr10
	s_and_saveexec_b64 s[8:9], vcc
; %bb.3890:
	s_mov_b32 s10, 0x7f800001
	s_xor_b64 s[4:5], exec, -1
; %bb.3891:
	s_or_b64 exec, exec, s[8:9]
	s_and_b64 s[4:5], s[4:5], exec
                                        ; implicit-def: $vgpr12
	s_or_saveexec_b64 s[6:7], s[6:7]
	v_mov_b32_e32 v8, s10
	s_xor_b64 exec, exec, s[6:7]
	s_cbranch_execz .LBB15_1842
.LBB15_3892:
	v_cmp_ne_u16_e32 vcc, 0, v12
	s_andn2_b64 s[4:5], s[4:5], exec
	s_and_b64 s[8:9], vcc, exec
	v_mov_b32_e32 v8, 0
	s_or_b64 s[4:5], s[4:5], s[8:9]
	s_or_b64 exec, exec, s[6:7]
	s_and_saveexec_b64 s[6:7], s[4:5]
	s_cbranch_execnz .LBB15_1843
	s_branch .LBB15_1844
.LBB15_3893:
	s_movk_i32 s4, 0x80
	v_cmp_eq_u16_e32 vcc, s4, v12
	s_mov_b64 s[4:5], -1
                                        ; implicit-def: $sgpr10
	s_and_saveexec_b64 s[8:9], vcc
; %bb.3894:
	s_mov_b32 s10, 0x7f800001
	s_xor_b64 s[4:5], exec, -1
; %bb.3895:
	s_or_b64 exec, exec, s[8:9]
	s_and_b64 s[4:5], s[4:5], exec
                                        ; implicit-def: $vgpr12
	s_or_saveexec_b64 s[6:7], s[6:7]
	v_mov_b32_e32 v18, s10
	s_xor_b64 exec, exec, s[6:7]
	s_cbranch_execz .LBB15_1846
.LBB15_3896:
	v_cmp_ne_u16_e32 vcc, 0, v12
	s_andn2_b64 s[4:5], s[4:5], exec
	s_and_b64 s[8:9], vcc, exec
	v_mov_b32_e32 v18, 0
	s_or_b64 s[4:5], s[4:5], s[8:9]
	s_or_b64 exec, exec, s[6:7]
	s_and_saveexec_b64 s[6:7], s[4:5]
	s_cbranch_execnz .LBB15_1847
	s_branch .LBB15_1848
.LBB15_3897:
	s_movk_i32 s4, 0x80
	v_cmp_eq_u16_sdwa s[12:13], v13, s4 src0_sel:BYTE_3 src1_sel:DWORD
	s_mov_b64 s[4:5], -1
                                        ; implicit-def: $sgpr10
	s_and_saveexec_b64 s[8:9], s[12:13]
; %bb.3898:
	s_mov_b32 s10, 0x7f800001
	s_xor_b64 s[4:5], exec, -1
; %bb.3899:
	s_or_b64 exec, exec, s[8:9]
	s_and_b64 s[4:5], s[4:5], exec
	s_or_saveexec_b64 s[6:7], s[6:7]
	v_mov_b32_e32 v8, s10
	s_xor_b64 exec, exec, s[6:7]
	s_cbranch_execz .LBB15_1850
.LBB15_3900:
	v_mov_b32_e32 v8, 0
	v_cmp_ne_u16_sdwa s[8:9], v13, v8 src0_sel:BYTE_3 src1_sel:DWORD
	s_andn2_b64 s[4:5], s[4:5], exec
	s_and_b64 s[8:9], s[8:9], exec
	s_or_b64 s[4:5], s[4:5], s[8:9]
	s_or_b64 exec, exec, s[6:7]
	s_and_saveexec_b64 s[6:7], s[4:5]
	s_cbranch_execnz .LBB15_1851
	s_branch .LBB15_1852
.LBB15_3901:
	s_movk_i32 s4, 0x80
	v_cmp_eq_u16_sdwa s[12:13], v9, s4 src0_sel:BYTE_3 src1_sel:DWORD
	s_mov_b64 s[4:5], -1
                                        ; implicit-def: $sgpr10
	s_and_saveexec_b64 s[8:9], s[12:13]
; %bb.3902:
	s_mov_b32 s10, 0x7f800001
	s_xor_b64 s[4:5], exec, -1
; %bb.3903:
	s_or_b64 exec, exec, s[8:9]
	s_and_b64 s[4:5], s[4:5], exec
	s_or_saveexec_b64 s[6:7], s[6:7]
	v_mov_b32_e32 v12, s10
	s_xor_b64 exec, exec, s[6:7]
	s_cbranch_execz .LBB15_1854
.LBB15_3904:
	v_mov_b32_e32 v12, 0
	v_cmp_ne_u16_sdwa s[8:9], v9, v12 src0_sel:BYTE_3 src1_sel:DWORD
	s_andn2_b64 s[4:5], s[4:5], exec
	s_and_b64 s[8:9], s[8:9], exec
	s_or_b64 s[4:5], s[4:5], s[8:9]
	s_or_b64 exec, exec, s[6:7]
	s_and_saveexec_b64 s[6:7], s[4:5]
	s_cbranch_execnz .LBB15_1855
	s_branch .LBB15_1856
.LBB15_3905:
	s_movk_i32 s4, 0x80
	v_cmp_eq_u16_sdwa s[12:13], v14, s4 src0_sel:BYTE_0 src1_sel:DWORD
	s_mov_b64 s[4:5], -1
                                        ; implicit-def: $sgpr10
	s_and_saveexec_b64 s[8:9], s[12:13]
; %bb.3906:
	s_mov_b32 s10, 0x7f800001
	s_xor_b64 s[4:5], exec, -1
; %bb.3907:
	s_or_b64 exec, exec, s[8:9]
	s_and_b64 s[4:5], s[4:5], exec
	s_or_saveexec_b64 s[6:7], s[6:7]
	v_mov_b32_e32 v8, s10
	s_xor_b64 exec, exec, s[6:7]
	s_cbranch_execz .LBB15_1858
.LBB15_3908:
	v_mov_b32_e32 v8, 0
	v_cmp_ne_u16_sdwa s[8:9], v14, v8 src0_sel:BYTE_0 src1_sel:DWORD
	s_andn2_b64 s[4:5], s[4:5], exec
	s_and_b64 s[8:9], s[8:9], exec
	s_or_b64 s[4:5], s[4:5], s[8:9]
	s_or_b64 exec, exec, s[6:7]
	s_and_saveexec_b64 s[6:7], s[4:5]
	s_cbranch_execnz .LBB15_1859
	s_branch .LBB15_1860
.LBB15_3909:
	s_movk_i32 s4, 0x80
	v_cmp_eq_u16_sdwa s[12:13], v10, s4 src0_sel:BYTE_0 src1_sel:DWORD
	s_mov_b64 s[4:5], -1
                                        ; implicit-def: $sgpr10
	s_and_saveexec_b64 s[8:9], s[12:13]
; %bb.3910:
	s_mov_b32 s10, 0x7f800001
	s_xor_b64 s[4:5], exec, -1
; %bb.3911:
	s_or_b64 exec, exec, s[8:9]
	s_and_b64 s[4:5], s[4:5], exec
	s_or_saveexec_b64 s[6:7], s[6:7]
	v_mov_b32_e32 v9, s10
	s_xor_b64 exec, exec, s[6:7]
	s_cbranch_execz .LBB15_1862
.LBB15_3912:
	v_mov_b32_e32 v9, 0
	v_cmp_ne_u16_sdwa s[8:9], v10, v9 src0_sel:BYTE_0 src1_sel:DWORD
	s_andn2_b64 s[4:5], s[4:5], exec
	s_and_b64 s[8:9], s[8:9], exec
	s_or_b64 s[4:5], s[4:5], s[8:9]
	s_or_b64 exec, exec, s[6:7]
	s_and_saveexec_b64 s[6:7], s[4:5]
	s_cbranch_execnz .LBB15_1863
	s_branch .LBB15_1864
.LBB15_3913:
	s_movk_i32 s4, 0x80
	v_cmp_eq_u16_sdwa s[12:13], v9, s4 src0_sel:BYTE_0 src1_sel:DWORD
	s_mov_b64 s[4:5], -1
                                        ; implicit-def: $sgpr10
	s_and_saveexec_b64 s[8:9], s[12:13]
; %bb.3914:
	s_mov_b32 s10, 0x7f800001
	s_xor_b64 s[4:5], exec, -1
; %bb.3915:
	s_or_b64 exec, exec, s[8:9]
	s_and_b64 s[4:5], s[4:5], exec
	s_or_saveexec_b64 s[6:7], s[6:7]
	v_mov_b32_e32 v8, s10
	s_xor_b64 exec, exec, s[6:7]
	s_cbranch_execz .LBB15_1866
.LBB15_3916:
	v_mov_b32_e32 v8, 0
	v_cmp_ne_u16_sdwa s[8:9], v9, v8 src0_sel:BYTE_0 src1_sel:DWORD
	s_andn2_b64 s[4:5], s[4:5], exec
	s_and_b64 s[8:9], s[8:9], exec
	s_or_b64 s[4:5], s[4:5], s[8:9]
	s_or_b64 exec, exec, s[6:7]
	s_and_saveexec_b64 s[6:7], s[4:5]
	s_cbranch_execnz .LBB15_1867
	s_branch .LBB15_1868
.LBB15_3917:
	s_movk_i32 s4, 0x80
	v_cmp_eq_u16_sdwa s[12:13], v9, s4 src0_sel:BYTE_0 src1_sel:DWORD
	s_mov_b64 s[4:5], -1
                                        ; implicit-def: $sgpr10
	s_and_saveexec_b64 s[8:9], s[12:13]
; %bb.3918:
	s_mov_b32 s10, 0x7f800001
	s_xor_b64 s[4:5], exec, -1
; %bb.3919:
	s_or_b64 exec, exec, s[8:9]
	s_and_b64 s[4:5], s[4:5], exec
	s_or_saveexec_b64 s[6:7], s[6:7]
	v_mov_b32_e32 v12, s10
	s_xor_b64 exec, exec, s[6:7]
	s_cbranch_execz .LBB15_1870
.LBB15_3920:
	v_mov_b32_e32 v12, 0
	v_cmp_ne_u16_sdwa s[8:9], v9, v12 src0_sel:BYTE_0 src1_sel:DWORD
	s_andn2_b64 s[4:5], s[4:5], exec
	s_and_b64 s[8:9], s[8:9], exec
	s_or_b64 s[4:5], s[4:5], s[8:9]
	s_or_b64 exec, exec, s[6:7]
	s_and_saveexec_b64 s[6:7], s[4:5]
	s_cbranch_execnz .LBB15_1871
	s_branch .LBB15_1872
.LBB15_3921:
	s_movk_i32 s4, 0x80
	v_cmp_eq_u16_e32 vcc, s4, v9
	s_mov_b64 s[4:5], -1
                                        ; implicit-def: $sgpr10
	s_and_saveexec_b64 s[8:9], vcc
; %bb.3922:
	s_mov_b32 s10, 0x7f800001
	s_xor_b64 s[4:5], exec, -1
; %bb.3923:
	s_or_b64 exec, exec, s[8:9]
	s_and_b64 s[4:5], s[4:5], exec
                                        ; implicit-def: $vgpr9
	s_or_saveexec_b64 s[6:7], s[6:7]
	v_mov_b32_e32 v8, s10
	s_xor_b64 exec, exec, s[6:7]
	s_cbranch_execz .LBB15_1874
.LBB15_3924:
	v_cmp_ne_u16_e32 vcc, 0, v9
	s_andn2_b64 s[4:5], s[4:5], exec
	s_and_b64 s[8:9], vcc, exec
	v_mov_b32_e32 v8, 0
	s_or_b64 s[4:5], s[4:5], s[8:9]
	s_or_b64 exec, exec, s[6:7]
	s_and_saveexec_b64 s[6:7], s[4:5]
	s_cbranch_execnz .LBB15_1875
	s_branch .LBB15_1876
.LBB15_3925:
	s_movk_i32 s4, 0x80
	v_cmp_eq_u16_e32 vcc, s4, v9
	s_mov_b64 s[4:5], -1
                                        ; implicit-def: $sgpr10
	s_and_saveexec_b64 s[8:9], vcc
; %bb.3926:
	s_mov_b32 s10, 0x7f800001
	s_xor_b64 s[4:5], exec, -1
; %bb.3927:
	s_or_b64 exec, exec, s[8:9]
	s_and_b64 s[4:5], s[4:5], exec
                                        ; implicit-def: $vgpr9
	s_or_saveexec_b64 s[6:7], s[6:7]
	v_mov_b32_e32 v12, s10
	s_xor_b64 exec, exec, s[6:7]
	s_cbranch_execz .LBB15_1878
.LBB15_3928:
	v_cmp_ne_u16_e32 vcc, 0, v9
	s_andn2_b64 s[4:5], s[4:5], exec
	s_and_b64 s[8:9], vcc, exec
	v_mov_b32_e32 v12, 0
	s_or_b64 s[4:5], s[4:5], s[8:9]
	s_or_b64 exec, exec, s[6:7]
	s_and_saveexec_b64 s[6:7], s[4:5]
	s_cbranch_execnz .LBB15_1879
	s_branch .LBB15_1880
.LBB15_3929:
	s_movk_i32 s4, 0x80
	v_cmp_eq_u16_sdwa s[12:13], v14, s4 src0_sel:BYTE_3 src1_sel:DWORD
	s_mov_b64 s[4:5], -1
                                        ; implicit-def: $sgpr10
	s_and_saveexec_b64 s[8:9], s[12:13]
; %bb.3930:
	s_mov_b32 s10, 0x7f800001
	s_xor_b64 s[4:5], exec, -1
; %bb.3931:
	s_or_b64 exec, exec, s[8:9]
	s_and_b64 s[4:5], s[4:5], exec
	s_or_saveexec_b64 s[6:7], s[6:7]
	v_mov_b32_e32 v8, s10
	s_xor_b64 exec, exec, s[6:7]
	s_cbranch_execz .LBB15_1882
.LBB15_3932:
	v_mov_b32_e32 v8, 0
	v_cmp_ne_u16_sdwa s[8:9], v14, v8 src0_sel:BYTE_3 src1_sel:DWORD
	s_andn2_b64 s[4:5], s[4:5], exec
	s_and_b64 s[8:9], s[8:9], exec
	s_or_b64 s[4:5], s[4:5], s[8:9]
	s_or_b64 exec, exec, s[6:7]
	s_and_saveexec_b64 s[6:7], s[4:5]
	s_cbranch_execnz .LBB15_1883
	s_branch .LBB15_1884
.LBB15_3933:
	s_movk_i32 s4, 0x80
	v_cmp_eq_u16_sdwa s[12:13], v10, s4 src0_sel:BYTE_3 src1_sel:DWORD
	s_mov_b64 s[4:5], -1
                                        ; implicit-def: $sgpr10
	s_and_saveexec_b64 s[8:9], s[12:13]
; %bb.3934:
	s_mov_b32 s10, 0x7f800001
	s_xor_b64 s[4:5], exec, -1
; %bb.3935:
	s_or_b64 exec, exec, s[8:9]
	s_and_b64 s[4:5], s[4:5], exec
	s_or_saveexec_b64 s[6:7], s[6:7]
	v_mov_b32_e32 v9, s10
	s_xor_b64 exec, exec, s[6:7]
	s_cbranch_execz .LBB15_1886
.LBB15_3936:
	v_mov_b32_e32 v9, 0
	v_cmp_ne_u16_sdwa s[8:9], v10, v9 src0_sel:BYTE_3 src1_sel:DWORD
	s_andn2_b64 s[4:5], s[4:5], exec
	s_and_b64 s[8:9], s[8:9], exec
	s_or_b64 s[4:5], s[4:5], s[8:9]
	s_or_b64 exec, exec, s[6:7]
	s_and_saveexec_b64 s[6:7], s[4:5]
	s_cbranch_execnz .LBB15_1887
	s_branch .LBB15_1888
.LBB15_3937:
	s_movk_i32 s4, 0x80
	v_cmp_eq_u16_sdwa s[12:13], v15, s4 src0_sel:BYTE_0 src1_sel:DWORD
	s_mov_b64 s[4:5], -1
                                        ; implicit-def: $sgpr10
	s_and_saveexec_b64 s[8:9], s[12:13]
; %bb.3938:
	s_mov_b32 s10, 0x7f800001
	s_xor_b64 s[4:5], exec, -1
; %bb.3939:
	s_or_b64 exec, exec, s[8:9]
	s_and_b64 s[4:5], s[4:5], exec
	s_or_saveexec_b64 s[6:7], s[6:7]
	v_mov_b32_e32 v8, s10
	s_xor_b64 exec, exec, s[6:7]
	s_cbranch_execz .LBB15_1890
.LBB15_3940:
	v_mov_b32_e32 v8, 0
	v_cmp_ne_u16_sdwa s[8:9], v15, v8 src0_sel:BYTE_0 src1_sel:DWORD
	s_andn2_b64 s[4:5], s[4:5], exec
	s_and_b64 s[8:9], s[8:9], exec
	s_or_b64 s[4:5], s[4:5], s[8:9]
	s_or_b64 exec, exec, s[6:7]
	s_and_saveexec_b64 s[6:7], s[4:5]
	s_cbranch_execnz .LBB15_1891
	s_branch .LBB15_1892
.LBB15_3941:
	s_movk_i32 s4, 0x80
	v_cmp_eq_u16_sdwa s[12:13], v11, s4 src0_sel:BYTE_0 src1_sel:DWORD
	s_mov_b64 s[4:5], -1
                                        ; implicit-def: $sgpr10
	s_and_saveexec_b64 s[8:9], s[12:13]
; %bb.3942:
	s_mov_b32 s10, 0x7f800001
	s_xor_b64 s[4:5], exec, -1
; %bb.3943:
	s_or_b64 exec, exec, s[8:9]
	s_and_b64 s[4:5], s[4:5], exec
	s_or_saveexec_b64 s[6:7], s[6:7]
	v_mov_b32_e32 v9, s10
	s_xor_b64 exec, exec, s[6:7]
	s_cbranch_execz .LBB15_1894
.LBB15_3944:
	v_mov_b32_e32 v9, 0
	v_cmp_ne_u16_sdwa s[8:9], v11, v9 src0_sel:BYTE_0 src1_sel:DWORD
	s_andn2_b64 s[4:5], s[4:5], exec
	s_and_b64 s[8:9], s[8:9], exec
	s_or_b64 s[4:5], s[4:5], s[8:9]
	s_or_b64 exec, exec, s[6:7]
	s_and_saveexec_b64 s[6:7], s[4:5]
	s_cbranch_execnz .LBB15_1895
	s_branch .LBB15_1896
.LBB15_3945:
	s_movk_i32 s4, 0x80
	v_cmp_eq_u16_sdwa s[12:13], v9, s4 src0_sel:BYTE_0 src1_sel:DWORD
	s_mov_b64 s[4:5], -1
                                        ; implicit-def: $sgpr10
	s_and_saveexec_b64 s[8:9], s[12:13]
; %bb.3946:
	s_mov_b32 s10, 0x7f800001
	s_xor_b64 s[4:5], exec, -1
; %bb.3947:
	s_or_b64 exec, exec, s[8:9]
	s_and_b64 s[4:5], s[4:5], exec
	s_or_saveexec_b64 s[6:7], s[6:7]
	v_mov_b32_e32 v8, s10
	s_xor_b64 exec, exec, s[6:7]
	s_cbranch_execz .LBB15_1898
.LBB15_3948:
	v_mov_b32_e32 v8, 0
	v_cmp_ne_u16_sdwa s[8:9], v9, v8 src0_sel:BYTE_0 src1_sel:DWORD
	s_andn2_b64 s[4:5], s[4:5], exec
	s_and_b64 s[8:9], s[8:9], exec
	s_or_b64 s[4:5], s[4:5], s[8:9]
	s_or_b64 exec, exec, s[6:7]
	s_and_saveexec_b64 s[6:7], s[4:5]
	s_cbranch_execnz .LBB15_1899
	s_branch .LBB15_1900
.LBB15_3949:
	s_movk_i32 s4, 0x80
	v_cmp_eq_u16_sdwa s[12:13], v9, s4 src0_sel:BYTE_0 src1_sel:DWORD
	s_mov_b64 s[4:5], -1
                                        ; implicit-def: $sgpr10
	s_and_saveexec_b64 s[8:9], s[12:13]
; %bb.3950:
	s_mov_b32 s10, 0x7f800001
	s_xor_b64 s[4:5], exec, -1
; %bb.3951:
	s_or_b64 exec, exec, s[8:9]
	s_and_b64 s[4:5], s[4:5], exec
	s_or_saveexec_b64 s[6:7], s[6:7]
	v_mov_b32_e32 v10, s10
	s_xor_b64 exec, exec, s[6:7]
	s_cbranch_execz .LBB15_1902
.LBB15_3952:
	v_mov_b32_e32 v10, 0
	v_cmp_ne_u16_sdwa s[8:9], v9, v10 src0_sel:BYTE_0 src1_sel:DWORD
	s_andn2_b64 s[4:5], s[4:5], exec
	s_and_b64 s[8:9], s[8:9], exec
	s_or_b64 s[4:5], s[4:5], s[8:9]
	s_or_b64 exec, exec, s[6:7]
	s_and_saveexec_b64 s[6:7], s[4:5]
	s_cbranch_execnz .LBB15_1903
	s_branch .LBB15_1904
.LBB15_3953:
	s_movk_i32 s4, 0x80
	v_cmp_eq_u16_e32 vcc, s4, v9
	s_mov_b64 s[4:5], -1
                                        ; implicit-def: $sgpr10
	s_and_saveexec_b64 s[8:9], vcc
; %bb.3954:
	s_mov_b32 s10, 0x7f800001
	s_xor_b64 s[4:5], exec, -1
; %bb.3955:
	s_or_b64 exec, exec, s[8:9]
	s_and_b64 s[4:5], s[4:5], exec
                                        ; implicit-def: $vgpr9
	s_or_saveexec_b64 s[6:7], s[6:7]
	v_mov_b32_e32 v8, s10
	s_xor_b64 exec, exec, s[6:7]
	s_cbranch_execz .LBB15_1906
.LBB15_3956:
	v_cmp_ne_u16_e32 vcc, 0, v9
	s_andn2_b64 s[4:5], s[4:5], exec
	s_and_b64 s[8:9], vcc, exec
	v_mov_b32_e32 v8, 0
	s_or_b64 s[4:5], s[4:5], s[8:9]
	s_or_b64 exec, exec, s[6:7]
	s_and_saveexec_b64 s[6:7], s[4:5]
	s_cbranch_execnz .LBB15_1907
	s_branch .LBB15_1908
.LBB15_3957:
	s_movk_i32 s4, 0x80
	v_cmp_eq_u16_e32 vcc, s4, v9
	s_mov_b64 s[4:5], -1
                                        ; implicit-def: $sgpr10
	s_and_saveexec_b64 s[8:9], vcc
; %bb.3958:
	s_mov_b32 s10, 0x7f800001
	s_xor_b64 s[4:5], exec, -1
; %bb.3959:
	s_or_b64 exec, exec, s[8:9]
	s_and_b64 s[4:5], s[4:5], exec
                                        ; implicit-def: $vgpr9
	s_or_saveexec_b64 s[6:7], s[6:7]
	v_mov_b32_e32 v10, s10
	s_xor_b64 exec, exec, s[6:7]
	s_cbranch_execz .LBB15_1910
.LBB15_3960:
	v_cmp_ne_u16_e32 vcc, 0, v9
	s_andn2_b64 s[4:5], s[4:5], exec
	s_and_b64 s[8:9], vcc, exec
	v_mov_b32_e32 v10, 0
	s_or_b64 s[4:5], s[4:5], s[8:9]
	s_or_b64 exec, exec, s[6:7]
	s_and_saveexec_b64 s[6:7], s[4:5]
	s_cbranch_execnz .LBB15_1911
	s_branch .LBB15_1912
.LBB15_3961:
	s_movk_i32 s4, 0x80
	v_cmp_eq_u16_sdwa s[12:13], v15, s4 src0_sel:BYTE_3 src1_sel:DWORD
	s_mov_b64 s[4:5], -1
                                        ; implicit-def: $sgpr10
	s_and_saveexec_b64 s[8:9], s[12:13]
; %bb.3962:
	s_mov_b32 s10, 0x7f800001
	s_xor_b64 s[4:5], exec, -1
; %bb.3963:
	s_or_b64 exec, exec, s[8:9]
	s_and_b64 s[4:5], s[4:5], exec
	s_or_saveexec_b64 s[6:7], s[6:7]
	v_mov_b32_e32 v8, s10
	s_xor_b64 exec, exec, s[6:7]
	s_cbranch_execz .LBB15_1914
.LBB15_3964:
	v_mov_b32_e32 v8, 0
	v_cmp_ne_u16_sdwa s[8:9], v15, v8 src0_sel:BYTE_3 src1_sel:DWORD
	s_andn2_b64 s[4:5], s[4:5], exec
	s_and_b64 s[8:9], s[8:9], exec
	s_or_b64 s[4:5], s[4:5], s[8:9]
	s_or_b64 exec, exec, s[6:7]
	s_and_saveexec_b64 s[6:7], s[4:5]
	s_cbranch_execnz .LBB15_1915
	s_branch .LBB15_1916
.LBB15_3965:
	s_movk_i32 s4, 0x80
	v_cmp_eq_u16_sdwa s[12:13], v11, s4 src0_sel:BYTE_3 src1_sel:DWORD
	s_mov_b64 s[4:5], -1
                                        ; implicit-def: $sgpr10
	s_and_saveexec_b64 s[8:9], s[12:13]
; %bb.3966:
	s_mov_b32 s10, 0x7f800001
	s_xor_b64 s[4:5], exec, -1
; %bb.3967:
	s_or_b64 exec, exec, s[8:9]
	s_and_b64 s[4:5], s[4:5], exec
	s_or_saveexec_b64 s[6:7], s[6:7]
	v_mov_b32_e32 v9, s10
	s_xor_b64 exec, exec, s[6:7]
	s_cbranch_execz .LBB15_1918
.LBB15_3968:
	v_mov_b32_e32 v9, 0
	v_cmp_ne_u16_sdwa s[8:9], v11, v9 src0_sel:BYTE_3 src1_sel:DWORD
	s_andn2_b64 s[4:5], s[4:5], exec
	s_and_b64 s[8:9], s[8:9], exec
	s_or_b64 s[4:5], s[4:5], s[8:9]
	s_or_b64 exec, exec, s[6:7]
	s_and_saveexec_b64 s[6:7], s[4:5]
	s_cbranch_execnz .LBB15_1919
	s_branch .LBB15_1920
.LBB15_3969:
	s_movk_i32 s4, 0x80
	v_cmp_eq_u16_sdwa s[12:13], v4, s4 src0_sel:BYTE_0 src1_sel:DWORD
	s_mov_b64 s[4:5], -1
                                        ; implicit-def: $sgpr10
	s_and_saveexec_b64 s[8:9], s[12:13]
; %bb.3970:
	s_mov_b32 s10, 0x7f800001
	s_xor_b64 s[4:5], exec, -1
; %bb.3971:
	s_or_b64 exec, exec, s[8:9]
	s_and_b64 s[4:5], s[4:5], exec
	s_or_saveexec_b64 s[6:7], s[6:7]
	v_mov_b32_e32 v8, s10
	s_xor_b64 exec, exec, s[6:7]
	s_cbranch_execz .LBB15_1922
.LBB15_3972:
	v_mov_b32_e32 v8, 0
	v_cmp_ne_u16_sdwa s[8:9], v4, v8 src0_sel:BYTE_0 src1_sel:DWORD
	s_andn2_b64 s[4:5], s[4:5], exec
	s_and_b64 s[8:9], s[8:9], exec
	s_or_b64 s[4:5], s[4:5], s[8:9]
	s_or_b64 exec, exec, s[6:7]
	s_and_saveexec_b64 s[6:7], s[4:5]
	s_cbranch_execnz .LBB15_1923
	s_branch .LBB15_1924
.LBB15_3973:
	s_movk_i32 s4, 0x80
	v_cmp_eq_u16_sdwa s[12:13], v0, s4 src0_sel:BYTE_0 src1_sel:DWORD
	s_mov_b64 s[4:5], -1
                                        ; implicit-def: $sgpr10
	s_and_saveexec_b64 s[8:9], s[12:13]
; %bb.3974:
	s_mov_b32 s10, 0x7f800001
	s_xor_b64 s[4:5], exec, -1
; %bb.3975:
	s_or_b64 exec, exec, s[8:9]
	s_and_b64 s[4:5], s[4:5], exec
	s_or_saveexec_b64 s[6:7], s[6:7]
	v_mov_b32_e32 v9, s10
	s_xor_b64 exec, exec, s[6:7]
	s_cbranch_execz .LBB15_1926
.LBB15_3976:
	v_mov_b32_e32 v9, 0
	v_cmp_ne_u16_sdwa s[8:9], v0, v9 src0_sel:BYTE_0 src1_sel:DWORD
	s_andn2_b64 s[4:5], s[4:5], exec
	s_and_b64 s[8:9], s[8:9], exec
	s_or_b64 s[4:5], s[4:5], s[8:9]
	s_or_b64 exec, exec, s[6:7]
	s_and_saveexec_b64 s[6:7], s[4:5]
	s_cbranch_execnz .LBB15_1927
	s_branch .LBB15_1928
.LBB15_3977:
	s_movk_i32 s4, 0x80
	v_cmp_eq_u16_sdwa s[12:13], v9, s4 src0_sel:BYTE_0 src1_sel:DWORD
	s_mov_b64 s[4:5], -1
                                        ; implicit-def: $sgpr10
	s_and_saveexec_b64 s[8:9], s[12:13]
; %bb.3978:
	s_mov_b32 s10, 0x7f800001
	s_xor_b64 s[4:5], exec, -1
; %bb.3979:
	s_or_b64 exec, exec, s[8:9]
	s_and_b64 s[4:5], s[4:5], exec
	s_or_saveexec_b64 s[6:7], s[6:7]
	v_mov_b32_e32 v8, s10
	s_xor_b64 exec, exec, s[6:7]
	s_cbranch_execz .LBB15_1930
.LBB15_3980:
	v_mov_b32_e32 v8, 0
	v_cmp_ne_u16_sdwa s[8:9], v9, v8 src0_sel:BYTE_0 src1_sel:DWORD
	s_andn2_b64 s[4:5], s[4:5], exec
	s_and_b64 s[8:9], s[8:9], exec
	s_or_b64 s[4:5], s[4:5], s[8:9]
	s_or_b64 exec, exec, s[6:7]
	s_and_saveexec_b64 s[6:7], s[4:5]
	s_cbranch_execnz .LBB15_1931
	s_branch .LBB15_1932
.LBB15_3981:
	s_movk_i32 s4, 0x80
	v_cmp_eq_u16_sdwa s[12:13], v9, s4 src0_sel:BYTE_0 src1_sel:DWORD
	s_mov_b64 s[4:5], -1
                                        ; implicit-def: $sgpr10
	s_and_saveexec_b64 s[8:9], s[12:13]
; %bb.3982:
	s_mov_b32 s10, 0x7f800001
	s_xor_b64 s[4:5], exec, -1
; %bb.3983:
	s_or_b64 exec, exec, s[8:9]
	s_and_b64 s[4:5], s[4:5], exec
	s_or_saveexec_b64 s[6:7], s[6:7]
	v_mov_b32_e32 v10, s10
	s_xor_b64 exec, exec, s[6:7]
	s_cbranch_execz .LBB15_1934
.LBB15_3984:
	v_mov_b32_e32 v10, 0
	v_cmp_ne_u16_sdwa s[8:9], v9, v10 src0_sel:BYTE_0 src1_sel:DWORD
	s_andn2_b64 s[4:5], s[4:5], exec
	s_and_b64 s[8:9], s[8:9], exec
	s_or_b64 s[4:5], s[4:5], s[8:9]
	s_or_b64 exec, exec, s[6:7]
	s_and_saveexec_b64 s[6:7], s[4:5]
	s_cbranch_execnz .LBB15_1935
	s_branch .LBB15_1936
.LBB15_3985:
	s_movk_i32 s4, 0x80
	v_cmp_eq_u16_e32 vcc, s4, v9
	s_mov_b64 s[4:5], -1
                                        ; implicit-def: $sgpr10
	s_and_saveexec_b64 s[8:9], vcc
; %bb.3986:
	s_mov_b32 s10, 0x7f800001
	s_xor_b64 s[4:5], exec, -1
; %bb.3987:
	s_or_b64 exec, exec, s[8:9]
	s_and_b64 s[4:5], s[4:5], exec
                                        ; implicit-def: $vgpr9
	s_or_saveexec_b64 s[6:7], s[6:7]
	v_mov_b32_e32 v8, s10
	s_xor_b64 exec, exec, s[6:7]
	s_cbranch_execz .LBB15_1938
.LBB15_3988:
	v_cmp_ne_u16_e32 vcc, 0, v9
	s_andn2_b64 s[4:5], s[4:5], exec
	s_and_b64 s[8:9], vcc, exec
	v_mov_b32_e32 v8, 0
	s_or_b64 s[4:5], s[4:5], s[8:9]
	s_or_b64 exec, exec, s[6:7]
	s_and_saveexec_b64 s[6:7], s[4:5]
	s_cbranch_execnz .LBB15_1939
	s_branch .LBB15_1940
.LBB15_3989:
	s_movk_i32 s4, 0x80
	v_cmp_eq_u16_e32 vcc, s4, v9
	s_mov_b64 s[4:5], -1
                                        ; implicit-def: $sgpr10
	s_and_saveexec_b64 s[8:9], vcc
; %bb.3990:
	s_mov_b32 s10, 0x7f800001
	s_xor_b64 s[4:5], exec, -1
; %bb.3991:
	s_or_b64 exec, exec, s[8:9]
	s_and_b64 s[4:5], s[4:5], exec
                                        ; implicit-def: $vgpr9
	s_or_saveexec_b64 s[6:7], s[6:7]
	v_mov_b32_e32 v10, s10
	s_xor_b64 exec, exec, s[6:7]
	s_cbranch_execz .LBB15_1942
.LBB15_3992:
	v_cmp_ne_u16_e32 vcc, 0, v9
	s_andn2_b64 s[4:5], s[4:5], exec
	s_and_b64 s[8:9], vcc, exec
	v_mov_b32_e32 v10, 0
	s_or_b64 s[4:5], s[4:5], s[8:9]
	s_or_b64 exec, exec, s[6:7]
	s_and_saveexec_b64 s[6:7], s[4:5]
	s_cbranch_execnz .LBB15_1943
	s_branch .LBB15_1944
.LBB15_3993:
	s_movk_i32 s4, 0x80
	v_cmp_eq_u16_sdwa s[12:13], v4, s4 src0_sel:BYTE_3 src1_sel:DWORD
	s_mov_b64 s[4:5], -1
                                        ; implicit-def: $sgpr10
	s_and_saveexec_b64 s[8:9], s[12:13]
; %bb.3994:
	s_mov_b32 s10, 0x7f800001
	s_xor_b64 s[4:5], exec, -1
; %bb.3995:
	s_or_b64 exec, exec, s[8:9]
	s_and_b64 s[4:5], s[4:5], exec
	s_or_saveexec_b64 s[6:7], s[6:7]
	v_mov_b32_e32 v8, s10
	s_xor_b64 exec, exec, s[6:7]
	s_cbranch_execz .LBB15_1946
.LBB15_3996:
	v_mov_b32_e32 v8, 0
	v_cmp_ne_u16_sdwa s[8:9], v4, v8 src0_sel:BYTE_3 src1_sel:DWORD
	s_andn2_b64 s[4:5], s[4:5], exec
	s_and_b64 s[8:9], s[8:9], exec
	s_or_b64 s[4:5], s[4:5], s[8:9]
	s_or_b64 exec, exec, s[6:7]
	s_and_saveexec_b64 s[6:7], s[4:5]
	s_cbranch_execnz .LBB15_1947
	s_branch .LBB15_1948
.LBB15_3997:
	s_movk_i32 s4, 0x80
	v_cmp_eq_u16_sdwa s[12:13], v0, s4 src0_sel:BYTE_3 src1_sel:DWORD
	s_mov_b64 s[4:5], -1
                                        ; implicit-def: $sgpr10
	s_and_saveexec_b64 s[8:9], s[12:13]
; %bb.3998:
	s_mov_b32 s10, 0x7f800001
	s_xor_b64 s[4:5], exec, -1
; %bb.3999:
	s_or_b64 exec, exec, s[8:9]
	s_and_b64 s[4:5], s[4:5], exec
	s_or_saveexec_b64 s[6:7], s[6:7]
	v_mov_b32_e32 v4, s10
	s_xor_b64 exec, exec, s[6:7]
	s_cbranch_execz .LBB15_1950
.LBB15_4000:
	v_mov_b32_e32 v4, 0
	v_cmp_ne_u16_sdwa s[8:9], v0, v4 src0_sel:BYTE_3 src1_sel:DWORD
	s_andn2_b64 s[4:5], s[4:5], exec
	s_and_b64 s[8:9], s[8:9], exec
	s_or_b64 s[4:5], s[4:5], s[8:9]
	s_or_b64 exec, exec, s[6:7]
	s_and_saveexec_b64 s[6:7], s[4:5]
	s_cbranch_execnz .LBB15_1951
	s_branch .LBB15_1952
.LBB15_4001:
	s_movk_i32 s4, 0x80
	v_cmp_eq_u16_sdwa s[12:13], v5, s4 src0_sel:BYTE_0 src1_sel:DWORD
	s_mov_b64 s[4:5], -1
                                        ; implicit-def: $sgpr10
	s_and_saveexec_b64 s[8:9], s[12:13]
; %bb.4002:
	s_mov_b32 s10, 0x7f800001
	s_xor_b64 s[4:5], exec, -1
; %bb.4003:
	s_or_b64 exec, exec, s[8:9]
	s_and_b64 s[4:5], s[4:5], exec
	s_or_saveexec_b64 s[6:7], s[6:7]
	v_mov_b32_e32 v0, s10
	s_xor_b64 exec, exec, s[6:7]
	s_cbranch_execz .LBB15_1954
.LBB15_4004:
	v_mov_b32_e32 v0, 0
	v_cmp_ne_u16_sdwa s[8:9], v5, v0 src0_sel:BYTE_0 src1_sel:DWORD
	s_andn2_b64 s[4:5], s[4:5], exec
	s_and_b64 s[8:9], s[8:9], exec
	s_or_b64 s[4:5], s[4:5], s[8:9]
	s_or_b64 exec, exec, s[6:7]
	s_and_saveexec_b64 s[6:7], s[4:5]
	s_cbranch_execnz .LBB15_1955
	s_branch .LBB15_1956
.LBB15_4005:
	s_movk_i32 s4, 0x80
	v_cmp_eq_u16_sdwa s[12:13], v1, s4 src0_sel:BYTE_0 src1_sel:DWORD
	s_mov_b64 s[4:5], -1
                                        ; implicit-def: $sgpr10
	s_and_saveexec_b64 s[8:9], s[12:13]
; %bb.4006:
	s_mov_b32 s10, 0x7f800001
	s_xor_b64 s[4:5], exec, -1
; %bb.4007:
	s_or_b64 exec, exec, s[8:9]
	s_and_b64 s[4:5], s[4:5], exec
	s_or_saveexec_b64 s[6:7], s[6:7]
	v_mov_b32_e32 v4, s10
	s_xor_b64 exec, exec, s[6:7]
	s_cbranch_execz .LBB15_1958
.LBB15_4008:
	v_mov_b32_e32 v4, 0
	v_cmp_ne_u16_sdwa s[8:9], v1, v4 src0_sel:BYTE_0 src1_sel:DWORD
	s_andn2_b64 s[4:5], s[4:5], exec
	s_and_b64 s[8:9], s[8:9], exec
	s_or_b64 s[4:5], s[4:5], s[8:9]
	s_or_b64 exec, exec, s[6:7]
	s_and_saveexec_b64 s[6:7], s[4:5]
	s_cbranch_execnz .LBB15_1959
	s_branch .LBB15_1960
.LBB15_4009:
	s_movk_i32 s4, 0x80
	v_cmp_eq_u16_sdwa s[12:13], v4, s4 src0_sel:BYTE_0 src1_sel:DWORD
	s_mov_b64 s[4:5], -1
                                        ; implicit-def: $sgpr10
	s_and_saveexec_b64 s[8:9], s[12:13]
; %bb.4010:
	s_mov_b32 s10, 0x7f800001
	s_xor_b64 s[4:5], exec, -1
; %bb.4011:
	s_or_b64 exec, exec, s[8:9]
	s_and_b64 s[4:5], s[4:5], exec
	s_or_saveexec_b64 s[6:7], s[6:7]
	v_mov_b32_e32 v0, s10
	s_xor_b64 exec, exec, s[6:7]
	s_cbranch_execz .LBB15_1962
.LBB15_4012:
	v_mov_b32_e32 v0, 0
	v_cmp_ne_u16_sdwa s[8:9], v4, v0 src0_sel:BYTE_0 src1_sel:DWORD
	s_andn2_b64 s[4:5], s[4:5], exec
	s_and_b64 s[8:9], s[8:9], exec
	s_or_b64 s[4:5], s[4:5], s[8:9]
	s_or_b64 exec, exec, s[6:7]
	s_and_saveexec_b64 s[6:7], s[4:5]
	s_cbranch_execnz .LBB15_1963
	s_branch .LBB15_1964
.LBB15_4013:
	s_movk_i32 s4, 0x80
	v_cmp_eq_u16_sdwa s[12:13], v4, s4 src0_sel:BYTE_0 src1_sel:DWORD
	s_mov_b64 s[4:5], -1
                                        ; implicit-def: $sgpr10
	s_and_saveexec_b64 s[8:9], s[12:13]
; %bb.4014:
	s_mov_b32 s10, 0x7f800001
	s_xor_b64 s[4:5], exec, -1
; %bb.4015:
	s_or_b64 exec, exec, s[8:9]
	s_and_b64 s[4:5], s[4:5], exec
	s_or_saveexec_b64 s[6:7], s[6:7]
	v_mov_b32_e32 v8, s10
	s_xor_b64 exec, exec, s[6:7]
	s_cbranch_execz .LBB15_1966
.LBB15_4016:
	v_mov_b32_e32 v8, 0
	v_cmp_ne_u16_sdwa s[8:9], v4, v8 src0_sel:BYTE_0 src1_sel:DWORD
	s_andn2_b64 s[4:5], s[4:5], exec
	s_and_b64 s[8:9], s[8:9], exec
	s_or_b64 s[4:5], s[4:5], s[8:9]
	s_or_b64 exec, exec, s[6:7]
	s_and_saveexec_b64 s[6:7], s[4:5]
	s_cbranch_execnz .LBB15_1967
	s_branch .LBB15_1968
.LBB15_4017:
	s_movk_i32 s4, 0x80
	v_cmp_eq_u16_e32 vcc, s4, v4
	s_mov_b64 s[4:5], -1
                                        ; implicit-def: $sgpr10
	s_and_saveexec_b64 s[8:9], vcc
; %bb.4018:
	s_mov_b32 s10, 0x7f800001
	s_xor_b64 s[4:5], exec, -1
; %bb.4019:
	s_or_b64 exec, exec, s[8:9]
	s_and_b64 s[4:5], s[4:5], exec
                                        ; implicit-def: $vgpr4
	s_or_saveexec_b64 s[6:7], s[6:7]
	v_mov_b32_e32 v0, s10
	s_xor_b64 exec, exec, s[6:7]
	s_cbranch_execz .LBB15_1970
.LBB15_4020:
	v_cmp_ne_u16_e32 vcc, 0, v4
	s_andn2_b64 s[4:5], s[4:5], exec
	s_and_b64 s[8:9], vcc, exec
	v_mov_b32_e32 v0, 0
	s_or_b64 s[4:5], s[4:5], s[8:9]
	s_or_b64 exec, exec, s[6:7]
	s_and_saveexec_b64 s[6:7], s[4:5]
	s_cbranch_execnz .LBB15_1971
	s_branch .LBB15_1972
.LBB15_4021:
	s_movk_i32 s4, 0x80
	v_cmp_eq_u16_e32 vcc, s4, v4
	s_mov_b64 s[4:5], -1
                                        ; implicit-def: $sgpr10
	s_and_saveexec_b64 s[8:9], vcc
; %bb.4022:
	s_mov_b32 s10, 0x7f800001
	s_xor_b64 s[4:5], exec, -1
; %bb.4023:
	s_or_b64 exec, exec, s[8:9]
	s_and_b64 s[4:5], s[4:5], exec
                                        ; implicit-def: $vgpr4
	s_or_saveexec_b64 s[6:7], s[6:7]
	v_mov_b32_e32 v8, s10
	s_xor_b64 exec, exec, s[6:7]
	s_cbranch_execz .LBB15_1974
.LBB15_4024:
	v_cmp_ne_u16_e32 vcc, 0, v4
	s_andn2_b64 s[4:5], s[4:5], exec
	s_and_b64 s[8:9], vcc, exec
	v_mov_b32_e32 v8, 0
	s_or_b64 s[4:5], s[4:5], s[8:9]
	s_or_b64 exec, exec, s[6:7]
	s_and_saveexec_b64 s[6:7], s[4:5]
	s_cbranch_execnz .LBB15_1975
	s_branch .LBB15_1976
.LBB15_4025:
	s_movk_i32 s4, 0x80
	v_cmp_eq_u16_sdwa s[12:13], v5, s4 src0_sel:BYTE_3 src1_sel:DWORD
	s_mov_b64 s[4:5], -1
                                        ; implicit-def: $sgpr10
	s_and_saveexec_b64 s[8:9], s[12:13]
; %bb.4026:
	s_mov_b32 s10, 0x7f800001
	s_xor_b64 s[4:5], exec, -1
; %bb.4027:
	s_or_b64 exec, exec, s[8:9]
	s_and_b64 s[4:5], s[4:5], exec
	s_or_saveexec_b64 s[6:7], s[6:7]
	v_mov_b32_e32 v0, s10
	s_xor_b64 exec, exec, s[6:7]
	s_cbranch_execz .LBB15_1978
.LBB15_4028:
	v_mov_b32_e32 v0, 0
	v_cmp_ne_u16_sdwa s[8:9], v5, v0 src0_sel:BYTE_3 src1_sel:DWORD
	s_andn2_b64 s[4:5], s[4:5], exec
	s_and_b64 s[8:9], s[8:9], exec
	s_or_b64 s[4:5], s[4:5], s[8:9]
	s_or_b64 exec, exec, s[6:7]
	s_and_saveexec_b64 s[6:7], s[4:5]
	s_cbranch_execnz .LBB15_1979
	s_branch .LBB15_1980
.LBB15_4029:
	s_movk_i32 s4, 0x80
	v_cmp_eq_u16_sdwa s[12:13], v1, s4 src0_sel:BYTE_3 src1_sel:DWORD
	s_mov_b64 s[4:5], -1
                                        ; implicit-def: $sgpr10
	s_and_saveexec_b64 s[8:9], s[12:13]
; %bb.4030:
	s_mov_b32 s10, 0x7f800001
	s_xor_b64 s[4:5], exec, -1
; %bb.4031:
	s_or_b64 exec, exec, s[8:9]
	s_and_b64 s[4:5], s[4:5], exec
	s_or_saveexec_b64 s[6:7], s[6:7]
	v_mov_b32_e32 v4, s10
	s_xor_b64 exec, exec, s[6:7]
	s_cbranch_execz .LBB15_1982
.LBB15_4032:
	v_mov_b32_e32 v4, 0
	v_cmp_ne_u16_sdwa s[8:9], v1, v4 src0_sel:BYTE_3 src1_sel:DWORD
	s_andn2_b64 s[4:5], s[4:5], exec
	s_and_b64 s[8:9], s[8:9], exec
	s_or_b64 s[4:5], s[4:5], s[8:9]
	s_or_b64 exec, exec, s[6:7]
	s_and_saveexec_b64 s[6:7], s[4:5]
	s_cbranch_execnz .LBB15_1983
	s_branch .LBB15_1984
.LBB15_4033:
	s_movk_i32 s4, 0x80
	v_cmp_eq_u16_sdwa s[12:13], v6, s4 src0_sel:BYTE_0 src1_sel:DWORD
	s_mov_b64 s[4:5], -1
                                        ; implicit-def: $sgpr10
	s_and_saveexec_b64 s[8:9], s[12:13]
; %bb.4034:
	s_mov_b32 s10, 0x7f800001
	s_xor_b64 s[4:5], exec, -1
; %bb.4035:
	s_or_b64 exec, exec, s[8:9]
	s_and_b64 s[4:5], s[4:5], exec
	s_or_saveexec_b64 s[6:7], s[6:7]
	v_mov_b32_e32 v0, s10
	s_xor_b64 exec, exec, s[6:7]
	s_cbranch_execz .LBB15_1986
.LBB15_4036:
	v_mov_b32_e32 v0, 0
	v_cmp_ne_u16_sdwa s[8:9], v6, v0 src0_sel:BYTE_0 src1_sel:DWORD
	s_andn2_b64 s[4:5], s[4:5], exec
	s_and_b64 s[8:9], s[8:9], exec
	s_or_b64 s[4:5], s[4:5], s[8:9]
	s_or_b64 exec, exec, s[6:7]
	s_and_saveexec_b64 s[6:7], s[4:5]
	s_cbranch_execnz .LBB15_1987
	s_branch .LBB15_1988
.LBB15_4037:
	s_movk_i32 s4, 0x80
	v_cmp_eq_u16_sdwa s[12:13], v2, s4 src0_sel:BYTE_0 src1_sel:DWORD
	s_mov_b64 s[4:5], -1
                                        ; implicit-def: $sgpr10
	s_and_saveexec_b64 s[8:9], s[12:13]
; %bb.4038:
	s_mov_b32 s10, 0x7f800001
	s_xor_b64 s[4:5], exec, -1
; %bb.4039:
	s_or_b64 exec, exec, s[8:9]
	s_and_b64 s[4:5], s[4:5], exec
	s_or_saveexec_b64 s[6:7], s[6:7]
	v_mov_b32_e32 v1, s10
	s_xor_b64 exec, exec, s[6:7]
	s_cbranch_execz .LBB15_1990
.LBB15_4040:
	v_mov_b32_e32 v1, 0
	v_cmp_ne_u16_sdwa s[8:9], v2, v1 src0_sel:BYTE_0 src1_sel:DWORD
	s_andn2_b64 s[4:5], s[4:5], exec
	s_and_b64 s[8:9], s[8:9], exec
	s_or_b64 s[4:5], s[4:5], s[8:9]
	s_or_b64 exec, exec, s[6:7]
	s_and_saveexec_b64 s[6:7], s[4:5]
	s_cbranch_execnz .LBB15_1991
	s_branch .LBB15_1992
.LBB15_4041:
	s_movk_i32 s4, 0x80
	v_cmp_eq_u16_sdwa s[12:13], v1, s4 src0_sel:BYTE_0 src1_sel:DWORD
	s_mov_b64 s[4:5], -1
                                        ; implicit-def: $sgpr10
	s_and_saveexec_b64 s[8:9], s[12:13]
; %bb.4042:
	s_mov_b32 s10, 0x7f800001
	s_xor_b64 s[4:5], exec, -1
; %bb.4043:
	s_or_b64 exec, exec, s[8:9]
	s_and_b64 s[4:5], s[4:5], exec
	s_or_saveexec_b64 s[6:7], s[6:7]
	v_mov_b32_e32 v0, s10
	s_xor_b64 exec, exec, s[6:7]
	s_cbranch_execz .LBB15_1994
.LBB15_4044:
	v_mov_b32_e32 v0, 0
	v_cmp_ne_u16_sdwa s[8:9], v1, v0 src0_sel:BYTE_0 src1_sel:DWORD
	s_andn2_b64 s[4:5], s[4:5], exec
	s_and_b64 s[8:9], s[8:9], exec
	s_or_b64 s[4:5], s[4:5], s[8:9]
	s_or_b64 exec, exec, s[6:7]
	s_and_saveexec_b64 s[6:7], s[4:5]
	s_cbranch_execnz .LBB15_1995
	s_branch .LBB15_1996
.LBB15_4045:
	s_movk_i32 s4, 0x80
	v_cmp_eq_u16_sdwa s[12:13], v1, s4 src0_sel:BYTE_0 src1_sel:DWORD
	s_mov_b64 s[4:5], -1
                                        ; implicit-def: $sgpr10
	s_and_saveexec_b64 s[8:9], s[12:13]
; %bb.4046:
	s_mov_b32 s10, 0x7f800001
	s_xor_b64 s[4:5], exec, -1
; %bb.4047:
	s_or_b64 exec, exec, s[8:9]
	s_and_b64 s[4:5], s[4:5], exec
	s_or_saveexec_b64 s[6:7], s[6:7]
	v_mov_b32_e32 v4, s10
	s_xor_b64 exec, exec, s[6:7]
	s_cbranch_execz .LBB15_1998
.LBB15_4048:
	v_mov_b32_e32 v4, 0
	v_cmp_ne_u16_sdwa s[8:9], v1, v4 src0_sel:BYTE_0 src1_sel:DWORD
	s_andn2_b64 s[4:5], s[4:5], exec
	s_and_b64 s[8:9], s[8:9], exec
	s_or_b64 s[4:5], s[4:5], s[8:9]
	s_or_b64 exec, exec, s[6:7]
	s_and_saveexec_b64 s[6:7], s[4:5]
	s_cbranch_execnz .LBB15_1999
	s_branch .LBB15_2000
.LBB15_4049:
	s_movk_i32 s4, 0x80
	v_cmp_eq_u16_e32 vcc, s4, v1
	s_mov_b64 s[4:5], -1
                                        ; implicit-def: $sgpr10
	s_and_saveexec_b64 s[8:9], vcc
; %bb.4050:
	s_mov_b32 s10, 0x7f800001
	s_xor_b64 s[4:5], exec, -1
; %bb.4051:
	s_or_b64 exec, exec, s[8:9]
	s_and_b64 s[4:5], s[4:5], exec
                                        ; implicit-def: $vgpr1
	s_or_saveexec_b64 s[6:7], s[6:7]
	v_mov_b32_e32 v0, s10
	s_xor_b64 exec, exec, s[6:7]
	s_cbranch_execz .LBB15_2002
.LBB15_4052:
	v_cmp_ne_u16_e32 vcc, 0, v1
	s_andn2_b64 s[4:5], s[4:5], exec
	s_and_b64 s[8:9], vcc, exec
	v_mov_b32_e32 v0, 0
	s_or_b64 s[4:5], s[4:5], s[8:9]
	s_or_b64 exec, exec, s[6:7]
	s_and_saveexec_b64 s[6:7], s[4:5]
	s_cbranch_execnz .LBB15_2003
	s_branch .LBB15_2004
.LBB15_4053:
	s_movk_i32 s4, 0x80
	v_cmp_eq_u16_e32 vcc, s4, v1
	s_mov_b64 s[4:5], -1
                                        ; implicit-def: $sgpr10
	s_and_saveexec_b64 s[8:9], vcc
; %bb.4054:
	s_mov_b32 s10, 0x7f800001
	s_xor_b64 s[4:5], exec, -1
; %bb.4055:
	s_or_b64 exec, exec, s[8:9]
	s_and_b64 s[4:5], s[4:5], exec
                                        ; implicit-def: $vgpr1
	s_or_saveexec_b64 s[6:7], s[6:7]
	v_mov_b32_e32 v4, s10
	s_xor_b64 exec, exec, s[6:7]
	s_cbranch_execz .LBB15_2006
.LBB15_4056:
	v_cmp_ne_u16_e32 vcc, 0, v1
	s_andn2_b64 s[4:5], s[4:5], exec
	s_and_b64 s[8:9], vcc, exec
	v_mov_b32_e32 v4, 0
	s_or_b64 s[4:5], s[4:5], s[8:9]
	s_or_b64 exec, exec, s[6:7]
	s_and_saveexec_b64 s[6:7], s[4:5]
	s_cbranch_execnz .LBB15_2007
	s_branch .LBB15_2008
.LBB15_4057:
	s_movk_i32 s4, 0x80
	v_cmp_eq_u16_sdwa s[12:13], v6, s4 src0_sel:BYTE_3 src1_sel:DWORD
	s_mov_b64 s[4:5], -1
                                        ; implicit-def: $sgpr10
	s_and_saveexec_b64 s[8:9], s[12:13]
; %bb.4058:
	s_mov_b32 s10, 0x7f800001
	s_xor_b64 s[4:5], exec, -1
; %bb.4059:
	s_or_b64 exec, exec, s[8:9]
	s_and_b64 s[4:5], s[4:5], exec
	s_or_saveexec_b64 s[6:7], s[6:7]
	v_mov_b32_e32 v0, s10
	s_xor_b64 exec, exec, s[6:7]
	s_cbranch_execz .LBB15_2010
.LBB15_4060:
	v_mov_b32_e32 v0, 0
	v_cmp_ne_u16_sdwa s[8:9], v6, v0 src0_sel:BYTE_3 src1_sel:DWORD
	s_andn2_b64 s[4:5], s[4:5], exec
	s_and_b64 s[8:9], s[8:9], exec
	s_or_b64 s[4:5], s[4:5], s[8:9]
	s_or_b64 exec, exec, s[6:7]
	s_and_saveexec_b64 s[6:7], s[4:5]
	s_cbranch_execnz .LBB15_2011
	s_branch .LBB15_2012
.LBB15_4061:
	s_movk_i32 s4, 0x80
	v_cmp_eq_u16_sdwa s[12:13], v2, s4 src0_sel:BYTE_3 src1_sel:DWORD
	s_mov_b64 s[4:5], -1
                                        ; implicit-def: $sgpr10
	s_and_saveexec_b64 s[8:9], s[12:13]
; %bb.4062:
	s_mov_b32 s10, 0x7f800001
	s_xor_b64 s[4:5], exec, -1
; %bb.4063:
	s_or_b64 exec, exec, s[8:9]
	s_and_b64 s[4:5], s[4:5], exec
	s_or_saveexec_b64 s[6:7], s[6:7]
	v_mov_b32_e32 v1, s10
	s_xor_b64 exec, exec, s[6:7]
	s_cbranch_execz .LBB15_2014
.LBB15_4064:
	v_mov_b32_e32 v1, 0
	v_cmp_ne_u16_sdwa s[8:9], v2, v1 src0_sel:BYTE_3 src1_sel:DWORD
	s_andn2_b64 s[4:5], s[4:5], exec
	s_and_b64 s[8:9], s[8:9], exec
	s_or_b64 s[4:5], s[4:5], s[8:9]
	s_or_b64 exec, exec, s[6:7]
	s_and_saveexec_b64 s[6:7], s[4:5]
	s_cbranch_execnz .LBB15_2015
	s_branch .LBB15_2016
.LBB15_4065:
	s_movk_i32 s4, 0x80
	v_cmp_eq_u16_sdwa s[12:13], v7, s4 src0_sel:BYTE_0 src1_sel:DWORD
	s_mov_b64 s[4:5], -1
                                        ; implicit-def: $sgpr10
	s_and_saveexec_b64 s[8:9], s[12:13]
; %bb.4066:
	s_mov_b32 s10, 0x7f800001
	s_xor_b64 s[4:5], exec, -1
; %bb.4067:
	s_or_b64 exec, exec, s[8:9]
	s_and_b64 s[4:5], s[4:5], exec
	s_or_saveexec_b64 s[6:7], s[6:7]
	v_mov_b32_e32 v0, s10
	s_xor_b64 exec, exec, s[6:7]
	s_cbranch_execz .LBB15_2018
.LBB15_4068:
	v_mov_b32_e32 v0, 0
	v_cmp_ne_u16_sdwa s[8:9], v7, v0 src0_sel:BYTE_0 src1_sel:DWORD
	s_andn2_b64 s[4:5], s[4:5], exec
	s_and_b64 s[8:9], s[8:9], exec
	s_or_b64 s[4:5], s[4:5], s[8:9]
	s_or_b64 exec, exec, s[6:7]
	s_and_saveexec_b64 s[6:7], s[4:5]
	s_cbranch_execnz .LBB15_2019
	s_branch .LBB15_2020
.LBB15_4069:
	s_movk_i32 s4, 0x80
	v_cmp_eq_u16_sdwa s[12:13], v3, s4 src0_sel:BYTE_0 src1_sel:DWORD
	s_mov_b64 s[4:5], -1
                                        ; implicit-def: $sgpr10
	s_and_saveexec_b64 s[8:9], s[12:13]
; %bb.4070:
	s_mov_b32 s10, 0x7f800001
	s_xor_b64 s[4:5], exec, -1
; %bb.4071:
	s_or_b64 exec, exec, s[8:9]
	s_and_b64 s[4:5], s[4:5], exec
	s_or_saveexec_b64 s[6:7], s[6:7]
	v_mov_b32_e32 v1, s10
	s_xor_b64 exec, exec, s[6:7]
	s_cbranch_execz .LBB15_2022
.LBB15_4072:
	v_mov_b32_e32 v1, 0
	v_cmp_ne_u16_sdwa s[8:9], v3, v1 src0_sel:BYTE_0 src1_sel:DWORD
	s_andn2_b64 s[4:5], s[4:5], exec
	s_and_b64 s[8:9], s[8:9], exec
	s_or_b64 s[4:5], s[4:5], s[8:9]
	s_or_b64 exec, exec, s[6:7]
	s_and_saveexec_b64 s[6:7], s[4:5]
	s_cbranch_execnz .LBB15_2023
	s_branch .LBB15_2024
.LBB15_4073:
	s_movk_i32 s4, 0x80
	v_cmp_eq_u16_sdwa s[12:13], v1, s4 src0_sel:BYTE_0 src1_sel:DWORD
	s_mov_b64 s[4:5], -1
                                        ; implicit-def: $sgpr10
	s_and_saveexec_b64 s[8:9], s[12:13]
; %bb.4074:
	s_mov_b32 s10, 0x7f800001
	s_xor_b64 s[4:5], exec, -1
; %bb.4075:
	s_or_b64 exec, exec, s[8:9]
	s_and_b64 s[4:5], s[4:5], exec
	s_or_saveexec_b64 s[6:7], s[6:7]
	v_mov_b32_e32 v0, s10
	s_xor_b64 exec, exec, s[6:7]
	s_cbranch_execz .LBB15_2026
.LBB15_4076:
	v_mov_b32_e32 v0, 0
	v_cmp_ne_u16_sdwa s[8:9], v1, v0 src0_sel:BYTE_0 src1_sel:DWORD
	s_andn2_b64 s[4:5], s[4:5], exec
	s_and_b64 s[8:9], s[8:9], exec
	s_or_b64 s[4:5], s[4:5], s[8:9]
	s_or_b64 exec, exec, s[6:7]
	s_and_saveexec_b64 s[6:7], s[4:5]
	s_cbranch_execnz .LBB15_2027
	s_branch .LBB15_2028
.LBB15_4077:
	s_movk_i32 s4, 0x80
	v_cmp_eq_u16_sdwa s[12:13], v1, s4 src0_sel:BYTE_0 src1_sel:DWORD
	s_mov_b64 s[4:5], -1
                                        ; implicit-def: $sgpr10
	s_and_saveexec_b64 s[8:9], s[12:13]
; %bb.4078:
	s_mov_b32 s10, 0x7f800001
	s_xor_b64 s[4:5], exec, -1
; %bb.4079:
	s_or_b64 exec, exec, s[8:9]
	s_and_b64 s[4:5], s[4:5], exec
	s_or_saveexec_b64 s[6:7], s[6:7]
	v_mov_b32_e32 v2, s10
	s_xor_b64 exec, exec, s[6:7]
	s_cbranch_execz .LBB15_2030
.LBB15_4080:
	v_mov_b32_e32 v2, 0
	v_cmp_ne_u16_sdwa s[8:9], v1, v2 src0_sel:BYTE_0 src1_sel:DWORD
	s_andn2_b64 s[4:5], s[4:5], exec
	s_and_b64 s[8:9], s[8:9], exec
	s_or_b64 s[4:5], s[4:5], s[8:9]
	s_or_b64 exec, exec, s[6:7]
	s_and_saveexec_b64 s[6:7], s[4:5]
	s_cbranch_execnz .LBB15_2031
	s_branch .LBB15_2032
.LBB15_4081:
	s_movk_i32 s4, 0x80
	v_cmp_eq_u16_e32 vcc, s4, v1
	s_mov_b64 s[4:5], -1
                                        ; implicit-def: $sgpr10
	s_and_saveexec_b64 s[8:9], vcc
; %bb.4082:
	s_mov_b32 s10, 0x7f800001
	s_xor_b64 s[4:5], exec, -1
; %bb.4083:
	s_or_b64 exec, exec, s[8:9]
	s_and_b64 s[4:5], s[4:5], exec
                                        ; implicit-def: $vgpr1
	s_or_saveexec_b64 s[6:7], s[6:7]
	v_mov_b32_e32 v0, s10
	s_xor_b64 exec, exec, s[6:7]
	s_cbranch_execz .LBB15_2034
.LBB15_4084:
	v_cmp_ne_u16_e32 vcc, 0, v1
	s_andn2_b64 s[4:5], s[4:5], exec
	s_and_b64 s[8:9], vcc, exec
	v_mov_b32_e32 v0, 0
	s_or_b64 s[4:5], s[4:5], s[8:9]
	s_or_b64 exec, exec, s[6:7]
	s_and_saveexec_b64 s[6:7], s[4:5]
	s_cbranch_execnz .LBB15_2035
	s_branch .LBB15_2036
.LBB15_4085:
	s_movk_i32 s4, 0x80
	v_cmp_eq_u16_e32 vcc, s4, v1
	s_mov_b64 s[4:5], -1
                                        ; implicit-def: $sgpr10
	s_and_saveexec_b64 s[8:9], vcc
; %bb.4086:
	s_mov_b32 s10, 0x7f800001
	s_xor_b64 s[4:5], exec, -1
; %bb.4087:
	s_or_b64 exec, exec, s[8:9]
	s_and_b64 s[4:5], s[4:5], exec
                                        ; implicit-def: $vgpr1
	s_or_saveexec_b64 s[6:7], s[6:7]
	v_mov_b32_e32 v2, s10
	s_xor_b64 exec, exec, s[6:7]
	s_cbranch_execz .LBB15_2038
.LBB15_4088:
	v_cmp_ne_u16_e32 vcc, 0, v1
	s_andn2_b64 s[4:5], s[4:5], exec
	s_and_b64 s[8:9], vcc, exec
	v_mov_b32_e32 v2, 0
	s_or_b64 s[4:5], s[4:5], s[8:9]
	s_or_b64 exec, exec, s[6:7]
	s_and_saveexec_b64 s[6:7], s[4:5]
	s_cbranch_execnz .LBB15_2039
	s_branch .LBB15_2040
.LBB15_4089:
	s_movk_i32 s4, 0x80
	v_cmp_eq_u16_sdwa s[12:13], v7, s4 src0_sel:BYTE_3 src1_sel:DWORD
	s_mov_b64 s[4:5], -1
                                        ; implicit-def: $sgpr10
	s_and_saveexec_b64 s[8:9], s[12:13]
; %bb.4090:
	s_mov_b32 s10, 0x7f800001
	s_xor_b64 s[4:5], exec, -1
; %bb.4091:
	s_or_b64 exec, exec, s[8:9]
	s_and_b64 s[4:5], s[4:5], exec
	s_or_saveexec_b64 s[6:7], s[6:7]
	v_mov_b32_e32 v0, s10
	s_xor_b64 exec, exec, s[6:7]
	s_cbranch_execz .LBB15_2042
.LBB15_4092:
	v_mov_b32_e32 v0, 0
	v_cmp_ne_u16_sdwa s[8:9], v7, v0 src0_sel:BYTE_3 src1_sel:DWORD
	s_andn2_b64 s[4:5], s[4:5], exec
	s_and_b64 s[8:9], s[8:9], exec
	s_or_b64 s[4:5], s[4:5], s[8:9]
	s_or_b64 exec, exec, s[6:7]
	s_and_saveexec_b64 s[6:7], s[4:5]
	s_cbranch_execnz .LBB15_2043
	s_branch .LBB15_2044
.LBB15_4093:
	s_movk_i32 s4, 0x80
	v_cmp_eq_u16_sdwa s[12:13], v3, s4 src0_sel:BYTE_3 src1_sel:DWORD
	s_mov_b64 s[4:5], -1
                                        ; implicit-def: $sgpr10
	s_and_saveexec_b64 s[8:9], s[12:13]
; %bb.4094:
	s_mov_b32 s10, 0x7f800001
	s_xor_b64 s[4:5], exec, -1
; %bb.4095:
	s_or_b64 exec, exec, s[8:9]
	s_and_b64 s[4:5], s[4:5], exec
	s_or_saveexec_b64 s[6:7], s[6:7]
	v_mov_b32_e32 v1, s10
	s_xor_b64 exec, exec, s[6:7]
	s_cbranch_execz .LBB15_2046
.LBB15_4096:
	v_mov_b32_e32 v1, 0
	v_cmp_ne_u16_sdwa s[8:9], v3, v1 src0_sel:BYTE_3 src1_sel:DWORD
	s_andn2_b64 s[4:5], s[4:5], exec
	s_and_b64 s[8:9], s[8:9], exec
	s_or_b64 s[4:5], s[4:5], s[8:9]
	s_or_b64 exec, exec, s[6:7]
	s_and_saveexec_b64 s[6:7], s[4:5]
	s_cbranch_execnz .LBB15_2047
	s_branch .LBB15_2048
.Lfunc_end15:
	.size	_ZNK2ck6detail7applierIiJLi0ELi1ELi2ELi3ELi4ELi5ELi6ELi7EEEclIZNKS_11static_fordINS_8SequenceIJLi1ELi8EEEENS5_IJLi0ELi1EEEEEclIZZZNKS_52BlockwiseGemmXdlops_pipeline_bpreshuffle_bdequant_v3ILNS_26BlockGemmPipelineSchedulerE0ELi256ENS_9f8_fnuz_tENS_7pk_i4_tESC_fNS_16TensorDescriptorINS_5TupleIJNS_5EmbedINSF_IJNS_17integral_constantIiLi8EEENSH_IiLi256EEENSH_IiLi16EEEEEENSF_IJSK_NSH_IiLi128EEENSH_IiLi1EEEEEELb0EEENS_3XorINSF_IJSJ_SI_EEELb1EEENS_11PassThroughISK_EENS_7UnMergeINSF_IJSI_SN_EEELb0EEENST_ISJ_EESU_NST_ISI_EENS_21Merge_v3_division_modINSF_IJSJ_SN_EEEEESU_EEENSF_IJNS5_IJLi0EEEENS5_IJLi2ELi1EEEENS5_IJLi3EEEENS5_IJLi5EEEENS5_IJLi4EEEENS5_IJLi6EEEENS5_IJLi7EEEENS5_IJLi9ELi8EEEENS5_IJLi10EEEEEEENSF_IJNS5_IJLi1ELi2ELi3EEEENS5_IJLi4ELi5EEEES19_NS5_IJLi7ELi8EEEENS5_IJLi9EEEES1C_NS5_IJLi11EEEENS5_IJLi12EEEENS5_IJLi13EEEEEEENS5_IJLi11ELi12ELi13EEEENSH_IlLl32768EEEEENSE_INSF_IJNSV_INSF_IJSI_SN_SN_NSH_IiLi32EEEEEELb0EEEEEENSF_IJS14_EEENSF_IJNS5_IJLi1ELi2ELi3ELi4EEEEEEES1U_NSH_IlLl256EEEEENSE_INSF_IJSP_SS_SU_SX_SY_SU_SZ_S12_SU_NS10_INSF_IJSI_SK_EEEEENSV_INSF_IJSI_NSH_IiLi2EEESK_EEELb0EEEEEENSF_IJS14_S15_S16_S17_S18_S19_S1A_S1B_S1C_NS5_IJLi11ELi13EEEES1J_EEENSF_IJS1E_S1F_S19_S1G_S1H_S1C_S1I_S1J_S1K_NS5_IJLi14EEEENS5_IJLi15ELi16ELi17EEEEEEENS5_IJLi15ELi16ELi17ELi14EEEES1N_EENSE_INSF_IJS1R_NS10_ISW_EES22_EEENSF_IJS14_NS5_IJLi1ELi3EEEENS5_IJLi2EEEEEEENSF_IJS1U_S17_NS5_IJLi6ELi7ELi8EEEEEEENS5_IJLi6ELi7ELi8ELi5EEEES1W_EELi16ELi32ELi256ELi256ELi128ELi16ELi16ELi8ELi8ELi32ELb0EE3RunILb1ELNS_10TailNumberE0ENSE_INSF_IJNSG_INSF_IJiiEEENSF_IJiSN_EEELb0EEENSV_IS2N_Lb0EEENST_IiEEEEENSF_IJS14_S2E_NS5_IJLi1EEEEEEENSF_IJNS5_IJLi1ELi2EEEENS5_IJLi3ELi4EEEES17_EEENS5_IJLi3ELi5ELi4EEEElEES1O_NS_35ThreadGroupTensorSliceTransfer_v4r1INS_15ThisThreadBlockILi256EEENS_16tensor_operation12element_wise11PassThroughES35_LNS_25InMemoryDataOperationEnumE0ENS5_IJLi8ELi256ELi16EEEENS5_IJLi8ELi32ELi1EEEENS5_IJLi1ELi0ELi2EEEESC_SC_RKS2Z_KS1O_S39_NS5_IJLi0ELi1ELi2EEEELi2ELi2ELi16ELi16ELi1ELi1ELb0ELb1ELi2EiEENS_13DynamicBufferILNS_16AddressSpaceEnumE1EKSC_lLb1ELNS_22AmdBufferCoherenceEnumE0EiEENSF_IJNS3F_ILS3G_2ESC_S1N_Lb1ELS3I_0EiEES3K_EEENSF_IJiiiEEENSE_INSF_IJNSG_INSF_IJiiiiEEENSF_IJiiiSN_EEELb0EEEEEES1T_S1V_S1U_lEENS_32ThreadwiseTensorSliceTransfer_v2ISD_SD_RKS3R_KS1X_NS5_IJLi8ELi1ELi1ELi32EEEENS5_IJLi1ELi2ELi0ELi3EEEELi3ELi32ELi0ELb1ELb0ELb0EEENS3F_ILS3G_1EKSD_lLb1ELS3I_0EiEENSF_IJNS_12StaticBufferILS3G_4ESD_Li256ELb1EEES42_EEES3N_NS_25StaticBufferTupleOfVectorILS3G_4EfLi64ELi4ELb1ELb0EEEEEvRKT1_RKT2_RT3_RKT4_RT5_RKT6_RKT7_RT8_RKT9_RT10_RKT11_RT12_iENKUlT_T0_E_clISN_NSH_IiLi0EEEEEDaS51_S52_ENKUlS51_E_clINSH_IiLi5EEEEEDaS51_EUlS51_E_EEvS51_EUlS51_E_EEvS51_, .Lfunc_end15-_ZNK2ck6detail7applierIiJLi0ELi1ELi2ELi3ELi4ELi5ELi6ELi7EEEclIZNKS_11static_fordINS_8SequenceIJLi1ELi8EEEENS5_IJLi0ELi1EEEEEclIZZZNKS_52BlockwiseGemmXdlops_pipeline_bpreshuffle_bdequant_v3ILNS_26BlockGemmPipelineSchedulerE0ELi256ENS_9f8_fnuz_tENS_7pk_i4_tESC_fNS_16TensorDescriptorINS_5TupleIJNS_5EmbedINSF_IJNS_17integral_constantIiLi8EEENSH_IiLi256EEENSH_IiLi16EEEEEENSF_IJSK_NSH_IiLi128EEENSH_IiLi1EEEEEELb0EEENS_3XorINSF_IJSJ_SI_EEELb1EEENS_11PassThroughISK_EENS_7UnMergeINSF_IJSI_SN_EEELb0EEENST_ISJ_EESU_NST_ISI_EENS_21Merge_v3_division_modINSF_IJSJ_SN_EEEEESU_EEENSF_IJNS5_IJLi0EEEENS5_IJLi2ELi1EEEENS5_IJLi3EEEENS5_IJLi5EEEENS5_IJLi4EEEENS5_IJLi6EEEENS5_IJLi7EEEENS5_IJLi9ELi8EEEENS5_IJLi10EEEEEEENSF_IJNS5_IJLi1ELi2ELi3EEEENS5_IJLi4ELi5EEEES19_NS5_IJLi7ELi8EEEENS5_IJLi9EEEES1C_NS5_IJLi11EEEENS5_IJLi12EEEENS5_IJLi13EEEEEEENS5_IJLi11ELi12ELi13EEEENSH_IlLl32768EEEEENSE_INSF_IJNSV_INSF_IJSI_SN_SN_NSH_IiLi32EEEEEELb0EEEEEENSF_IJS14_EEENSF_IJNS5_IJLi1ELi2ELi3ELi4EEEEEEES1U_NSH_IlLl256EEEEENSE_INSF_IJSP_SS_SU_SX_SY_SU_SZ_S12_SU_NS10_INSF_IJSI_SK_EEEEENSV_INSF_IJSI_NSH_IiLi2EEESK_EEELb0EEEEEENSF_IJS14_S15_S16_S17_S18_S19_S1A_S1B_S1C_NS5_IJLi11ELi13EEEES1J_EEENSF_IJS1E_S1F_S19_S1G_S1H_S1C_S1I_S1J_S1K_NS5_IJLi14EEEENS5_IJLi15ELi16ELi17EEEEEEENS5_IJLi15ELi16ELi17ELi14EEEES1N_EENSE_INSF_IJS1R_NS10_ISW_EES22_EEENSF_IJS14_NS5_IJLi1ELi3EEEENS5_IJLi2EEEEEEENSF_IJS1U_S17_NS5_IJLi6ELi7ELi8EEEEEEENS5_IJLi6ELi7ELi8ELi5EEEES1W_EELi16ELi32ELi256ELi256ELi128ELi16ELi16ELi8ELi8ELi32ELb0EE3RunILb1ELNS_10TailNumberE0ENSE_INSF_IJNSG_INSF_IJiiEEENSF_IJiSN_EEELb0EEENSV_IS2N_Lb0EEENST_IiEEEEENSF_IJS14_S2E_NS5_IJLi1EEEEEEENSF_IJNS5_IJLi1ELi2EEEENS5_IJLi3ELi4EEEES17_EEENS5_IJLi3ELi5ELi4EEEElEES1O_NS_35ThreadGroupTensorSliceTransfer_v4r1INS_15ThisThreadBlockILi256EEENS_16tensor_operation12element_wise11PassThroughES35_LNS_25InMemoryDataOperationEnumE0ENS5_IJLi8ELi256ELi16EEEENS5_IJLi8ELi32ELi1EEEENS5_IJLi1ELi0ELi2EEEESC_SC_RKS2Z_KS1O_S39_NS5_IJLi0ELi1ELi2EEEELi2ELi2ELi16ELi16ELi1ELi1ELb0ELb1ELi2EiEENS_13DynamicBufferILNS_16AddressSpaceEnumE1EKSC_lLb1ELNS_22AmdBufferCoherenceEnumE0EiEENSF_IJNS3F_ILS3G_2ESC_S1N_Lb1ELS3I_0EiEES3K_EEENSF_IJiiiEEENSE_INSF_IJNSG_INSF_IJiiiiEEENSF_IJiiiSN_EEELb0EEEEEES1T_S1V_S1U_lEENS_32ThreadwiseTensorSliceTransfer_v2ISD_SD_RKS3R_KS1X_NS5_IJLi8ELi1ELi1ELi32EEEENS5_IJLi1ELi2ELi0ELi3EEEELi3ELi32ELi0ELb1ELb0ELb0EEENS3F_ILS3G_1EKSD_lLb1ELS3I_0EiEENSF_IJNS_12StaticBufferILS3G_4ESD_Li256ELb1EEES42_EEES3N_NS_25StaticBufferTupleOfVectorILS3G_4EfLi64ELi4ELb1ELb0EEEEEvRKT1_RKT2_RT3_RKT4_RT5_RKT6_RKT7_RT8_RKT9_RT10_RKT11_RT12_iENKUlT_T0_E_clISN_NSH_IiLi0EEEEEDaS51_S52_ENKUlS51_E_clINSH_IiLi5EEEEEDaS51_EUlS51_E_EEvS51_EUlS51_E_EEvS51_
                                        ; -- End function
	.section	.AMDGPU.csdata,"",@progbits
; Function info:
; codeLenInByte = 133608
; NumSgprs: 36
; NumVgprs: 26
; NumAgprs: 4
; TotalNumVgprs: 32
; ScratchSize: 0
; MemoryBound: 1
	.text
	.p2align	2                               ; -- Begin function _ZNK2ck6detail7applierIiJLi0ELi1ELi2ELi3ELi4ELi5ELi6ELi7EEEclIZNKS_11static_fordINS_8SequenceIJLi1ELi8EEEENS5_IJLi0ELi1EEEEEclIZZZNKS_52BlockwiseGemmXdlops_pipeline_bpreshuffle_bdequant_v3ILNS_26BlockGemmPipelineSchedulerE0ELi256ENS_9f8_fnuz_tENS_7pk_i4_tESC_fNS_16TensorDescriptorINS_5TupleIJNS_5EmbedINSF_IJNS_17integral_constantIiLi8EEENSH_IiLi256EEENSH_IiLi16EEEEEENSF_IJSK_NSH_IiLi128EEENSH_IiLi1EEEEEELb0EEENS_3XorINSF_IJSJ_SI_EEELb1EEENS_11PassThroughISK_EENS_7UnMergeINSF_IJSI_SN_EEELb0EEENST_ISJ_EESU_NST_ISI_EENS_21Merge_v3_division_modINSF_IJSJ_SN_EEEEESU_EEENSF_IJNS5_IJLi0EEEENS5_IJLi2ELi1EEEENS5_IJLi3EEEENS5_IJLi5EEEENS5_IJLi4EEEENS5_IJLi6EEEENS5_IJLi7EEEENS5_IJLi9ELi8EEEENS5_IJLi10EEEEEEENSF_IJNS5_IJLi1ELi2ELi3EEEENS5_IJLi4ELi5EEEES19_NS5_IJLi7ELi8EEEENS5_IJLi9EEEES1C_NS5_IJLi11EEEENS5_IJLi12EEEENS5_IJLi13EEEEEEENS5_IJLi11ELi12ELi13EEEENSH_IlLl32768EEEEENSE_INSF_IJNSV_INSF_IJSI_SN_SN_NSH_IiLi32EEEEEELb0EEEEEENSF_IJS14_EEENSF_IJNS5_IJLi1ELi2ELi3ELi4EEEEEEES1U_NSH_IlLl256EEEEENSE_INSF_IJSP_SS_SU_SX_SY_SU_SZ_S12_SU_NS10_INSF_IJSI_SK_EEEEENSV_INSF_IJSI_NSH_IiLi2EEESK_EEELb0EEEEEENSF_IJS14_S15_S16_S17_S18_S19_S1A_S1B_S1C_NS5_IJLi11ELi13EEEES1J_EEENSF_IJS1E_S1F_S19_S1G_S1H_S1C_S1I_S1J_S1K_NS5_IJLi14EEEENS5_IJLi15ELi16ELi17EEEEEEENS5_IJLi15ELi16ELi17ELi14EEEES1N_EENSE_INSF_IJS1R_NS10_ISW_EES22_EEENSF_IJS14_NS5_IJLi1ELi3EEEENS5_IJLi2EEEEEEENSF_IJS1U_S17_NS5_IJLi6ELi7ELi8EEEEEEENS5_IJLi6ELi7ELi8ELi5EEEES1W_EELi16ELi32ELi256ELi256ELi128ELi16ELi16ELi8ELi8ELi32ELb0EE3RunILb1ELNS_10TailNumberE0ENSE_INSF_IJNSG_INSF_IJiiEEENSF_IJiSN_EEELb0EEENSV_IS2N_Lb0EEENST_IiEEEEENSF_IJS14_S2E_NS5_IJLi1EEEEEEENSF_IJNS5_IJLi1ELi2EEEENS5_IJLi3ELi4EEEES17_EEENS5_IJLi3ELi5ELi4EEEElEES1O_NS_35ThreadGroupTensorSliceTransfer_v4r1INS_15ThisThreadBlockILi256EEENS_16tensor_operation12element_wise11PassThroughES35_LNS_25InMemoryDataOperationEnumE0ENS5_IJLi8ELi256ELi16EEEENS5_IJLi8ELi32ELi1EEEENS5_IJLi1ELi0ELi2EEEESC_SC_RKS2Z_KS1O_S39_NS5_IJLi0ELi1ELi2EEEELi2ELi2ELi16ELi16ELi1ELi1ELb0ELb1ELi2EiEENS_13DynamicBufferILNS_16AddressSpaceEnumE1EKSC_lLb1ELNS_22AmdBufferCoherenceEnumE0EiEENSF_IJNS3F_ILS3G_2ESC_S1N_Lb1ELS3I_0EiEES3K_EEENSF_IJiiiEEENSE_INSF_IJNSG_INSF_IJiiiiEEENSF_IJiiiSN_EEELb0EEEEEES1T_S1V_S1U_lEENS_32ThreadwiseTensorSliceTransfer_v2ISD_SD_RKS3R_KS1X_NS5_IJLi8ELi1ELi1ELi32EEEENS5_IJLi1ELi2ELi0ELi3EEEELi3ELi32ELi0ELb1ELb0ELb0EEENS3F_ILS3G_1EKSD_lLb1ELS3I_0EiEENSF_IJNS_12StaticBufferILS3G_4ESD_Li256ELb1EEES42_EEES3N_NS_25StaticBufferTupleOfVectorILS3G_4EfLi64ELi4ELb1ELb0EEEEEvRKT1_RKT2_RT3_RKT4_RT5_RKT6_RKT7_RT8_RKT9_RT10_RKT11_RT12_iENKUlT_T0_E_clISN_NSH_IiLi0EEEEEDaS51_S52_ENKUlS51_E_clINSH_IiLi6EEEEEDaS51_EUlS51_E_EEvS51_EUlS51_E_EEvS51_
	.type	_ZNK2ck6detail7applierIiJLi0ELi1ELi2ELi3ELi4ELi5ELi6ELi7EEEclIZNKS_11static_fordINS_8SequenceIJLi1ELi8EEEENS5_IJLi0ELi1EEEEEclIZZZNKS_52BlockwiseGemmXdlops_pipeline_bpreshuffle_bdequant_v3ILNS_26BlockGemmPipelineSchedulerE0ELi256ENS_9f8_fnuz_tENS_7pk_i4_tESC_fNS_16TensorDescriptorINS_5TupleIJNS_5EmbedINSF_IJNS_17integral_constantIiLi8EEENSH_IiLi256EEENSH_IiLi16EEEEEENSF_IJSK_NSH_IiLi128EEENSH_IiLi1EEEEEELb0EEENS_3XorINSF_IJSJ_SI_EEELb1EEENS_11PassThroughISK_EENS_7UnMergeINSF_IJSI_SN_EEELb0EEENST_ISJ_EESU_NST_ISI_EENS_21Merge_v3_division_modINSF_IJSJ_SN_EEEEESU_EEENSF_IJNS5_IJLi0EEEENS5_IJLi2ELi1EEEENS5_IJLi3EEEENS5_IJLi5EEEENS5_IJLi4EEEENS5_IJLi6EEEENS5_IJLi7EEEENS5_IJLi9ELi8EEEENS5_IJLi10EEEEEEENSF_IJNS5_IJLi1ELi2ELi3EEEENS5_IJLi4ELi5EEEES19_NS5_IJLi7ELi8EEEENS5_IJLi9EEEES1C_NS5_IJLi11EEEENS5_IJLi12EEEENS5_IJLi13EEEEEEENS5_IJLi11ELi12ELi13EEEENSH_IlLl32768EEEEENSE_INSF_IJNSV_INSF_IJSI_SN_SN_NSH_IiLi32EEEEEELb0EEEEEENSF_IJS14_EEENSF_IJNS5_IJLi1ELi2ELi3ELi4EEEEEEES1U_NSH_IlLl256EEEEENSE_INSF_IJSP_SS_SU_SX_SY_SU_SZ_S12_SU_NS10_INSF_IJSI_SK_EEEEENSV_INSF_IJSI_NSH_IiLi2EEESK_EEELb0EEEEEENSF_IJS14_S15_S16_S17_S18_S19_S1A_S1B_S1C_NS5_IJLi11ELi13EEEES1J_EEENSF_IJS1E_S1F_S19_S1G_S1H_S1C_S1I_S1J_S1K_NS5_IJLi14EEEENS5_IJLi15ELi16ELi17EEEEEEENS5_IJLi15ELi16ELi17ELi14EEEES1N_EENSE_INSF_IJS1R_NS10_ISW_EES22_EEENSF_IJS14_NS5_IJLi1ELi3EEEENS5_IJLi2EEEEEEENSF_IJS1U_S17_NS5_IJLi6ELi7ELi8EEEEEEENS5_IJLi6ELi7ELi8ELi5EEEES1W_EELi16ELi32ELi256ELi256ELi128ELi16ELi16ELi8ELi8ELi32ELb0EE3RunILb1ELNS_10TailNumberE0ENSE_INSF_IJNSG_INSF_IJiiEEENSF_IJiSN_EEELb0EEENSV_IS2N_Lb0EEENST_IiEEEEENSF_IJS14_S2E_NS5_IJLi1EEEEEEENSF_IJNS5_IJLi1ELi2EEEENS5_IJLi3ELi4EEEES17_EEENS5_IJLi3ELi5ELi4EEEElEES1O_NS_35ThreadGroupTensorSliceTransfer_v4r1INS_15ThisThreadBlockILi256EEENS_16tensor_operation12element_wise11PassThroughES35_LNS_25InMemoryDataOperationEnumE0ENS5_IJLi8ELi256ELi16EEEENS5_IJLi8ELi32ELi1EEEENS5_IJLi1ELi0ELi2EEEESC_SC_RKS2Z_KS1O_S39_NS5_IJLi0ELi1ELi2EEEELi2ELi2ELi16ELi16ELi1ELi1ELb0ELb1ELi2EiEENS_13DynamicBufferILNS_16AddressSpaceEnumE1EKSC_lLb1ELNS_22AmdBufferCoherenceEnumE0EiEENSF_IJNS3F_ILS3G_2ESC_S1N_Lb1ELS3I_0EiEES3K_EEENSF_IJiiiEEENSE_INSF_IJNSG_INSF_IJiiiiEEENSF_IJiiiSN_EEELb0EEEEEES1T_S1V_S1U_lEENS_32ThreadwiseTensorSliceTransfer_v2ISD_SD_RKS3R_KS1X_NS5_IJLi8ELi1ELi1ELi32EEEENS5_IJLi1ELi2ELi0ELi3EEEELi3ELi32ELi0ELb1ELb0ELb0EEENS3F_ILS3G_1EKSD_lLb1ELS3I_0EiEENSF_IJNS_12StaticBufferILS3G_4ESD_Li256ELb1EEES42_EEES3N_NS_25StaticBufferTupleOfVectorILS3G_4EfLi64ELi4ELb1ELb0EEEEEvRKT1_RKT2_RT3_RKT4_RT5_RKT6_RKT7_RT8_RKT9_RT10_RKT11_RT12_iENKUlT_T0_E_clISN_NSH_IiLi0EEEEEDaS51_S52_ENKUlS51_E_clINSH_IiLi6EEEEEDaS51_EUlS51_E_EEvS51_EUlS51_E_EEvS51_,@function
_ZNK2ck6detail7applierIiJLi0ELi1ELi2ELi3ELi4ELi5ELi6ELi7EEEclIZNKS_11static_fordINS_8SequenceIJLi1ELi8EEEENS5_IJLi0ELi1EEEEEclIZZZNKS_52BlockwiseGemmXdlops_pipeline_bpreshuffle_bdequant_v3ILNS_26BlockGemmPipelineSchedulerE0ELi256ENS_9f8_fnuz_tENS_7pk_i4_tESC_fNS_16TensorDescriptorINS_5TupleIJNS_5EmbedINSF_IJNS_17integral_constantIiLi8EEENSH_IiLi256EEENSH_IiLi16EEEEEENSF_IJSK_NSH_IiLi128EEENSH_IiLi1EEEEEELb0EEENS_3XorINSF_IJSJ_SI_EEELb1EEENS_11PassThroughISK_EENS_7UnMergeINSF_IJSI_SN_EEELb0EEENST_ISJ_EESU_NST_ISI_EENS_21Merge_v3_division_modINSF_IJSJ_SN_EEEEESU_EEENSF_IJNS5_IJLi0EEEENS5_IJLi2ELi1EEEENS5_IJLi3EEEENS5_IJLi5EEEENS5_IJLi4EEEENS5_IJLi6EEEENS5_IJLi7EEEENS5_IJLi9ELi8EEEENS5_IJLi10EEEEEEENSF_IJNS5_IJLi1ELi2ELi3EEEENS5_IJLi4ELi5EEEES19_NS5_IJLi7ELi8EEEENS5_IJLi9EEEES1C_NS5_IJLi11EEEENS5_IJLi12EEEENS5_IJLi13EEEEEEENS5_IJLi11ELi12ELi13EEEENSH_IlLl32768EEEEENSE_INSF_IJNSV_INSF_IJSI_SN_SN_NSH_IiLi32EEEEEELb0EEEEEENSF_IJS14_EEENSF_IJNS5_IJLi1ELi2ELi3ELi4EEEEEEES1U_NSH_IlLl256EEEEENSE_INSF_IJSP_SS_SU_SX_SY_SU_SZ_S12_SU_NS10_INSF_IJSI_SK_EEEEENSV_INSF_IJSI_NSH_IiLi2EEESK_EEELb0EEEEEENSF_IJS14_S15_S16_S17_S18_S19_S1A_S1B_S1C_NS5_IJLi11ELi13EEEES1J_EEENSF_IJS1E_S1F_S19_S1G_S1H_S1C_S1I_S1J_S1K_NS5_IJLi14EEEENS5_IJLi15ELi16ELi17EEEEEEENS5_IJLi15ELi16ELi17ELi14EEEES1N_EENSE_INSF_IJS1R_NS10_ISW_EES22_EEENSF_IJS14_NS5_IJLi1ELi3EEEENS5_IJLi2EEEEEEENSF_IJS1U_S17_NS5_IJLi6ELi7ELi8EEEEEEENS5_IJLi6ELi7ELi8ELi5EEEES1W_EELi16ELi32ELi256ELi256ELi128ELi16ELi16ELi8ELi8ELi32ELb0EE3RunILb1ELNS_10TailNumberE0ENSE_INSF_IJNSG_INSF_IJiiEEENSF_IJiSN_EEELb0EEENSV_IS2N_Lb0EEENST_IiEEEEENSF_IJS14_S2E_NS5_IJLi1EEEEEEENSF_IJNS5_IJLi1ELi2EEEENS5_IJLi3ELi4EEEES17_EEENS5_IJLi3ELi5ELi4EEEElEES1O_NS_35ThreadGroupTensorSliceTransfer_v4r1INS_15ThisThreadBlockILi256EEENS_16tensor_operation12element_wise11PassThroughES35_LNS_25InMemoryDataOperationEnumE0ENS5_IJLi8ELi256ELi16EEEENS5_IJLi8ELi32ELi1EEEENS5_IJLi1ELi0ELi2EEEESC_SC_RKS2Z_KS1O_S39_NS5_IJLi0ELi1ELi2EEEELi2ELi2ELi16ELi16ELi1ELi1ELb0ELb1ELi2EiEENS_13DynamicBufferILNS_16AddressSpaceEnumE1EKSC_lLb1ELNS_22AmdBufferCoherenceEnumE0EiEENSF_IJNS3F_ILS3G_2ESC_S1N_Lb1ELS3I_0EiEES3K_EEENSF_IJiiiEEENSE_INSF_IJNSG_INSF_IJiiiiEEENSF_IJiiiSN_EEELb0EEEEEES1T_S1V_S1U_lEENS_32ThreadwiseTensorSliceTransfer_v2ISD_SD_RKS3R_KS1X_NS5_IJLi8ELi1ELi1ELi32EEEENS5_IJLi1ELi2ELi0ELi3EEEELi3ELi32ELi0ELb1ELb0ELb0EEENS3F_ILS3G_1EKSD_lLb1ELS3I_0EiEENSF_IJNS_12StaticBufferILS3G_4ESD_Li256ELb1EEES42_EEES3N_NS_25StaticBufferTupleOfVectorILS3G_4EfLi64ELi4ELb1ELb0EEEEEvRKT1_RKT2_RT3_RKT4_RT5_RKT6_RKT7_RT8_RKT9_RT10_RKT11_RT12_iENKUlT_T0_E_clISN_NSH_IiLi0EEEEEDaS51_S52_ENKUlS51_E_clINSH_IiLi6EEEEEDaS51_EUlS51_E_EEvS51_EUlS51_E_EEvS51_: ; @_ZNK2ck6detail7applierIiJLi0ELi1ELi2ELi3ELi4ELi5ELi6ELi7EEEclIZNKS_11static_fordINS_8SequenceIJLi1ELi8EEEENS5_IJLi0ELi1EEEEEclIZZZNKS_52BlockwiseGemmXdlops_pipeline_bpreshuffle_bdequant_v3ILNS_26BlockGemmPipelineSchedulerE0ELi256ENS_9f8_fnuz_tENS_7pk_i4_tESC_fNS_16TensorDescriptorINS_5TupleIJNS_5EmbedINSF_IJNS_17integral_constantIiLi8EEENSH_IiLi256EEENSH_IiLi16EEEEEENSF_IJSK_NSH_IiLi128EEENSH_IiLi1EEEEEELb0EEENS_3XorINSF_IJSJ_SI_EEELb1EEENS_11PassThroughISK_EENS_7UnMergeINSF_IJSI_SN_EEELb0EEENST_ISJ_EESU_NST_ISI_EENS_21Merge_v3_division_modINSF_IJSJ_SN_EEEEESU_EEENSF_IJNS5_IJLi0EEEENS5_IJLi2ELi1EEEENS5_IJLi3EEEENS5_IJLi5EEEENS5_IJLi4EEEENS5_IJLi6EEEENS5_IJLi7EEEENS5_IJLi9ELi8EEEENS5_IJLi10EEEEEEENSF_IJNS5_IJLi1ELi2ELi3EEEENS5_IJLi4ELi5EEEES19_NS5_IJLi7ELi8EEEENS5_IJLi9EEEES1C_NS5_IJLi11EEEENS5_IJLi12EEEENS5_IJLi13EEEEEEENS5_IJLi11ELi12ELi13EEEENSH_IlLl32768EEEEENSE_INSF_IJNSV_INSF_IJSI_SN_SN_NSH_IiLi32EEEEEELb0EEEEEENSF_IJS14_EEENSF_IJNS5_IJLi1ELi2ELi3ELi4EEEEEEES1U_NSH_IlLl256EEEEENSE_INSF_IJSP_SS_SU_SX_SY_SU_SZ_S12_SU_NS10_INSF_IJSI_SK_EEEEENSV_INSF_IJSI_NSH_IiLi2EEESK_EEELb0EEEEEENSF_IJS14_S15_S16_S17_S18_S19_S1A_S1B_S1C_NS5_IJLi11ELi13EEEES1J_EEENSF_IJS1E_S1F_S19_S1G_S1H_S1C_S1I_S1J_S1K_NS5_IJLi14EEEENS5_IJLi15ELi16ELi17EEEEEEENS5_IJLi15ELi16ELi17ELi14EEEES1N_EENSE_INSF_IJS1R_NS10_ISW_EES22_EEENSF_IJS14_NS5_IJLi1ELi3EEEENS5_IJLi2EEEEEEENSF_IJS1U_S17_NS5_IJLi6ELi7ELi8EEEEEEENS5_IJLi6ELi7ELi8ELi5EEEES1W_EELi16ELi32ELi256ELi256ELi128ELi16ELi16ELi8ELi8ELi32ELb0EE3RunILb1ELNS_10TailNumberE0ENSE_INSF_IJNSG_INSF_IJiiEEENSF_IJiSN_EEELb0EEENSV_IS2N_Lb0EEENST_IiEEEEENSF_IJS14_S2E_NS5_IJLi1EEEEEEENSF_IJNS5_IJLi1ELi2EEEENS5_IJLi3ELi4EEEES17_EEENS5_IJLi3ELi5ELi4EEEElEES1O_NS_35ThreadGroupTensorSliceTransfer_v4r1INS_15ThisThreadBlockILi256EEENS_16tensor_operation12element_wise11PassThroughES35_LNS_25InMemoryDataOperationEnumE0ENS5_IJLi8ELi256ELi16EEEENS5_IJLi8ELi32ELi1EEEENS5_IJLi1ELi0ELi2EEEESC_SC_RKS2Z_KS1O_S39_NS5_IJLi0ELi1ELi2EEEELi2ELi2ELi16ELi16ELi1ELi1ELb0ELb1ELi2EiEENS_13DynamicBufferILNS_16AddressSpaceEnumE1EKSC_lLb1ELNS_22AmdBufferCoherenceEnumE0EiEENSF_IJNS3F_ILS3G_2ESC_S1N_Lb1ELS3I_0EiEES3K_EEENSF_IJiiiEEENSE_INSF_IJNSG_INSF_IJiiiiEEENSF_IJiiiSN_EEELb0EEEEEES1T_S1V_S1U_lEENS_32ThreadwiseTensorSliceTransfer_v2ISD_SD_RKS3R_KS1X_NS5_IJLi8ELi1ELi1ELi32EEEENS5_IJLi1ELi2ELi0ELi3EEEELi3ELi32ELi0ELb1ELb0ELb0EEENS3F_ILS3G_1EKSD_lLb1ELS3I_0EiEENSF_IJNS_12StaticBufferILS3G_4ESD_Li256ELb1EEES42_EEES3N_NS_25StaticBufferTupleOfVectorILS3G_4EfLi64ELi4ELb1ELb0EEEEEvRKT1_RKT2_RT3_RKT4_RT5_RKT6_RKT7_RT8_RKT9_RT10_RKT11_RT12_iENKUlT_T0_E_clISN_NSH_IiLi0EEEEEDaS51_S52_ENKUlS51_E_clINSH_IiLi6EEEEEDaS51_EUlS51_E_EEvS51_EUlS51_E_EEvS51_
; %bb.0:
	s_waitcnt vmcnt(0) expcnt(0) lgkmcnt(0)
	flat_load_dwordx4 v[20:23], v[0:1] offset:16
	flat_load_dwordx2 v[18:19], v[0:1] offset:32
	s_movk_i32 s4, 0x7f
                                        ; implicit-def: $sgpr10
	s_waitcnt vmcnt(0) lgkmcnt(0)
	flat_load_dwordx4 v[14:17], v[20:21]
	flat_load_dwordx4 v[6:9], v[20:21] offset:16
	flat_load_dwordx4 v[10:13], v[22:23] offset:256
	;; [unrolled: 1-line block ×3, first 2 shown]
	s_waitcnt vmcnt(0) lgkmcnt(0)
	v_cmp_gt_i16_sdwa s[6:7], v14, s4 src0_sel:BYTE_0 src1_sel:DWORD
	s_mov_b64 s[4:5], 0
	s_and_saveexec_b64 s[8:9], s[6:7]
	s_xor_b64 s[6:7], exec, s[8:9]
	s_cbranch_execnz .LBB16_2049
; %bb.1:
	s_or_saveexec_b64 s[6:7], s[6:7]
	v_mov_b32_e32 v20, s10
	s_xor_b64 exec, exec, s[6:7]
	s_cbranch_execnz .LBB16_2052
.LBB16_2:
	s_or_b64 exec, exec, s[6:7]
	s_and_saveexec_b64 s[6:7], s[4:5]
	s_cbranch_execz .LBB16_4
.LBB16_3:
	v_and_b32_e32 v20, 7, v14
	v_ffbh_u32_e32 v22, v20
	v_min_u32_e32 v22, 32, v22
	v_lshrrev_b16_e32 v21, 3, v14
	v_subrev_u32_e32 v23, 28, v22
	v_and_b32_e32 v21, 15, v21
	v_lshlrev_b32_e32 v23, v23, v14
	v_sub_u32_e32 v22, 29, v22
	v_and_b32_e32 v23, 7, v23
	v_cmp_eq_u16_e32 vcc, 0, v21
	v_cndmask_b32_e32 v20, v20, v23, vcc
	v_cndmask_b32_e32 v21, v21, v22, vcc
	v_lshlrev_b32_e32 v22, 24, v14
	v_mov_b32_e32 v23, 0x3b800000
	v_lshlrev_b32_e32 v20, 20, v20
	v_and_b32_e32 v22, 0x80000000, v22
	v_lshl_add_u32 v21, v21, 23, v23
	v_or3_b32 v20, v22, v21, v20
.LBB16_4:
	s_or_b64 exec, exec, s[6:7]
	s_movk_i32 s4, 0x7f
	v_cmp_gt_i16_sdwa s[6:7], v10, s4 src0_sel:BYTE_0 src1_sel:DWORD
	s_mov_b64 s[4:5], 0
                                        ; implicit-def: $sgpr10
	s_and_saveexec_b64 s[8:9], s[6:7]
	s_xor_b64 s[6:7], exec, s[8:9]
	s_cbranch_execnz .LBB16_2053
; %bb.5:
	s_or_saveexec_b64 s[6:7], s[6:7]
	v_mov_b32_e32 v21, s10
	s_xor_b64 exec, exec, s[6:7]
	s_cbranch_execnz .LBB16_2056
.LBB16_6:
	s_or_b64 exec, exec, s[6:7]
	s_and_saveexec_b64 s[6:7], s[4:5]
	s_cbranch_execz .LBB16_8
.LBB16_7:
	v_and_b32_e32 v21, 7, v10
	v_ffbh_u32_e32 v23, v21
	v_min_u32_e32 v23, 32, v23
	v_lshrrev_b16_e32 v22, 3, v10
	v_subrev_u32_e32 v24, 28, v23
	v_and_b32_e32 v22, 15, v22
	v_lshlrev_b32_e32 v24, v24, v10
	v_sub_u32_e32 v23, 29, v23
	v_and_b32_e32 v24, 7, v24
	v_cmp_eq_u16_e32 vcc, 0, v22
	v_cndmask_b32_e32 v21, v21, v24, vcc
	v_cndmask_b32_e32 v22, v22, v23, vcc
	v_lshlrev_b32_e32 v23, 24, v10
	v_mov_b32_e32 v24, 0x3b800000
	v_lshlrev_b32_e32 v21, 20, v21
	v_and_b32_e32 v23, 0x80000000, v23
	v_lshl_add_u32 v22, v22, 23, v24
	v_or3_b32 v21, v23, v22, v21
.LBB16_8:
	s_or_b64 exec, exec, s[6:7]
	flat_load_dwordx4 a[0:3], v[18:19] offset:768
	s_movk_i32 s4, 0x7f
                                        ; implicit-def: $sgpr10
	s_waitcnt vmcnt(0) lgkmcnt(0)
	v_mfma_f32_16x16x4f32 a[0:3], v20, v21, a[0:3]
	v_lshrrev_b32_e32 v21, 8, v14
	v_cmp_gt_i16_sdwa s[6:7], v21, s4 src0_sel:BYTE_0 src1_sel:DWORD
	s_mov_b64 s[4:5], 0
	s_and_saveexec_b64 s[8:9], s[6:7]
	s_xor_b64 s[6:7], exec, s[8:9]
	s_cbranch_execnz .LBB16_2057
; %bb.9:
	s_or_saveexec_b64 s[6:7], s[6:7]
	v_mov_b32_e32 v20, s10
	s_xor_b64 exec, exec, s[6:7]
	s_cbranch_execnz .LBB16_2060
.LBB16_10:
	s_or_b64 exec, exec, s[6:7]
	s_and_saveexec_b64 s[6:7], s[4:5]
	s_cbranch_execz .LBB16_12
.LBB16_11:
	v_bfe_u32 v20, v14, 8, 3
	v_ffbh_u32_e32 v23, v20
	v_min_u32_e32 v23, 32, v23
	v_lshrrev_b16_e32 v22, 3, v21
	v_subrev_u32_e32 v24, 28, v23
	v_and_b32_e32 v22, 15, v22
	v_lshlrev_b32_e32 v21, v24, v21
	v_sub_u32_e32 v23, 29, v23
	v_and_b32_e32 v21, 7, v21
	v_cmp_eq_u16_e32 vcc, 0, v22
	v_cndmask_b32_e32 v20, v20, v21, vcc
	v_cndmask_b32_e32 v21, v22, v23, vcc
	v_lshlrev_b32_e32 v22, 16, v14
	v_mov_b32_e32 v23, 0x3b800000
	v_lshlrev_b32_e32 v20, 20, v20
	v_and_b32_e32 v22, 0x80000000, v22
	v_lshl_add_u32 v21, v21, 23, v23
	v_or3_b32 v20, v22, v21, v20
.LBB16_12:
	s_or_b64 exec, exec, s[6:7]
	v_lshrrev_b32_e32 v21, 8, v10
	s_movk_i32 s4, 0x7f
	v_cmp_gt_i16_sdwa s[6:7], v21, s4 src0_sel:BYTE_0 src1_sel:DWORD
	s_mov_b64 s[4:5], 0
                                        ; implicit-def: $sgpr10
	s_and_saveexec_b64 s[8:9], s[6:7]
	s_xor_b64 s[6:7], exec, s[8:9]
	s_cbranch_execnz .LBB16_2061
; %bb.13:
	s_or_saveexec_b64 s[6:7], s[6:7]
	v_mov_b32_e32 v22, s10
	s_xor_b64 exec, exec, s[6:7]
	s_cbranch_execnz .LBB16_2064
.LBB16_14:
	s_or_b64 exec, exec, s[6:7]
	s_and_saveexec_b64 s[6:7], s[4:5]
	s_cbranch_execz .LBB16_16
.LBB16_15:
	v_bfe_u32 v22, v10, 8, 3
	v_ffbh_u32_e32 v24, v22
	v_min_u32_e32 v24, 32, v24
	v_lshrrev_b16_e32 v23, 3, v21
	v_subrev_u32_e32 v25, 28, v24
	v_and_b32_e32 v23, 15, v23
	v_lshlrev_b32_e32 v21, v25, v21
	v_sub_u32_e32 v24, 29, v24
	v_and_b32_e32 v21, 7, v21
	v_cmp_eq_u16_e32 vcc, 0, v23
	v_cndmask_b32_e32 v21, v22, v21, vcc
	v_cndmask_b32_e32 v22, v23, v24, vcc
	v_lshlrev_b32_e32 v23, 16, v10
	v_mov_b32_e32 v24, 0x3b800000
	v_lshlrev_b32_e32 v21, 20, v21
	v_and_b32_e32 v23, 0x80000000, v23
	v_lshl_add_u32 v22, v22, 23, v24
	v_or3_b32 v22, v23, v22, v21
.LBB16_16:
	s_or_b64 exec, exec, s[6:7]
	s_nop 0
	v_mfma_f32_16x16x4f32 a[0:3], v20, v22, a[0:3]
	s_movk_i32 s4, 0xff
	v_and_b32_sdwa v21, v14, s4 dst_sel:DWORD dst_unused:UNUSED_PAD src0_sel:WORD_1 src1_sel:DWORD
	s_movk_i32 s4, 0x7f
	v_cmp_lt_i16_e32 vcc, s4, v21
	s_mov_b64 s[4:5], 0
                                        ; implicit-def: $sgpr10
	s_and_saveexec_b64 s[6:7], vcc
	s_xor_b64 s[6:7], exec, s[6:7]
	s_cbranch_execnz .LBB16_2065
; %bb.17:
	s_or_saveexec_b64 s[6:7], s[6:7]
	v_mov_b32_e32 v20, s10
	s_xor_b64 exec, exec, s[6:7]
	s_cbranch_execnz .LBB16_2068
.LBB16_18:
	s_or_b64 exec, exec, s[6:7]
	s_and_saveexec_b64 s[6:7], s[4:5]
	s_cbranch_execz .LBB16_20
.LBB16_19:
	v_bfe_u32 v20, v14, 16, 3
	v_ffbh_u32_e32 v23, v20
	v_min_u32_e32 v23, 32, v23
	v_lshrrev_b32_e32 v21, 19, v14
	v_subrev_u32_e32 v24, 28, v23
	v_and_b32_e32 v21, 15, v21
	v_lshlrev_b32_sdwa v24, v24, v14 dst_sel:DWORD dst_unused:UNUSED_PAD src0_sel:DWORD src1_sel:WORD_1
	v_bfe_u32 v22, v14, 19, 4
	v_sub_u32_e32 v23, 29, v23
	v_and_b32_e32 v24, 7, v24
	v_cmp_eq_u16_e32 vcc, 0, v21
	v_cndmask_b32_e32 v20, v20, v24, vcc
	v_cndmask_b32_e32 v21, v22, v23, vcc
	v_lshlrev_b32_e32 v22, 8, v14
	v_mov_b32_e32 v23, 0x3b800000
	v_lshlrev_b32_e32 v20, 20, v20
	v_and_b32_e32 v22, 0x80000000, v22
	v_lshl_add_u32 v21, v21, 23, v23
	v_or3_b32 v20, v22, v21, v20
.LBB16_20:
	s_or_b64 exec, exec, s[6:7]
	s_movk_i32 s4, 0xff
	v_and_b32_sdwa v21, v10, s4 dst_sel:DWORD dst_unused:UNUSED_PAD src0_sel:WORD_1 src1_sel:DWORD
	s_movk_i32 s4, 0x7f
	v_cmp_lt_i16_e32 vcc, s4, v21
	s_mov_b64 s[4:5], 0
                                        ; implicit-def: $sgpr10
	s_and_saveexec_b64 s[6:7], vcc
	s_xor_b64 s[6:7], exec, s[6:7]
	s_cbranch_execnz .LBB16_2069
; %bb.21:
	s_or_saveexec_b64 s[6:7], s[6:7]
	v_mov_b32_e32 v22, s10
	s_xor_b64 exec, exec, s[6:7]
	s_cbranch_execnz .LBB16_2072
.LBB16_22:
	s_or_b64 exec, exec, s[6:7]
	s_and_saveexec_b64 s[6:7], s[4:5]
	s_cbranch_execz .LBB16_24
.LBB16_23:
	v_bfe_u32 v21, v10, 16, 3
	v_ffbh_u32_e32 v24, v21
	v_min_u32_e32 v24, 32, v24
	v_lshrrev_b32_e32 v22, 19, v10
	v_subrev_u32_e32 v25, 28, v24
	v_and_b32_e32 v22, 15, v22
	v_lshlrev_b32_sdwa v25, v25, v10 dst_sel:DWORD dst_unused:UNUSED_PAD src0_sel:DWORD src1_sel:WORD_1
	v_bfe_u32 v23, v10, 19, 4
	v_sub_u32_e32 v24, 29, v24
	v_and_b32_e32 v25, 7, v25
	v_cmp_eq_u16_e32 vcc, 0, v22
	v_cndmask_b32_e32 v21, v21, v25, vcc
	v_cndmask_b32_e32 v22, v23, v24, vcc
	v_lshlrev_b32_e32 v23, 8, v10
	v_mov_b32_e32 v24, 0x3b800000
	v_lshlrev_b32_e32 v21, 20, v21
	v_and_b32_e32 v23, 0x80000000, v23
	v_lshl_add_u32 v22, v22, 23, v24
	v_or3_b32 v22, v23, v22, v21
.LBB16_24:
	s_or_b64 exec, exec, s[6:7]
	s_nop 0
	v_mfma_f32_16x16x4f32 a[0:3], v20, v22, a[0:3]
	s_movk_i32 s4, 0x7f
	v_cmp_gt_i16_sdwa s[6:7], v14, s4 src0_sel:BYTE_3 src1_sel:DWORD
	s_mov_b64 s[4:5], 0
                                        ; implicit-def: $sgpr10
	s_and_saveexec_b64 s[8:9], s[6:7]
	s_xor_b64 s[6:7], exec, s[8:9]
	s_cbranch_execnz .LBB16_2073
; %bb.25:
	s_or_saveexec_b64 s[6:7], s[6:7]
	v_mov_b32_e32 v20, s10
	s_xor_b64 exec, exec, s[6:7]
	s_cbranch_execnz .LBB16_2076
.LBB16_26:
	s_or_b64 exec, exec, s[6:7]
	s_and_saveexec_b64 s[6:7], s[4:5]
	s_cbranch_execz .LBB16_28
.LBB16_27:
	v_bfe_u32 v20, v14, 24, 3
	v_ffbh_u32_e32 v24, v20
	v_min_u32_e32 v24, 32, v24
	v_lshrrev_b32_e32 v22, 27, v14
	v_subrev_u32_e32 v25, 28, v24
	v_and_b32_e32 v21, 0x80000000, v14
	v_and_b32_e32 v22, 15, v22
	v_bfe_u32 v23, v14, 27, 4
	v_lshlrev_b32_sdwa v14, v25, v14 dst_sel:DWORD dst_unused:UNUSED_PAD src0_sel:DWORD src1_sel:BYTE_3
	v_sub_u32_e32 v24, 29, v24
	v_and_b32_e32 v14, 7, v14
	v_cmp_eq_u16_e32 vcc, 0, v22
	v_cndmask_b32_e32 v14, v20, v14, vcc
	v_cndmask_b32_e32 v20, v23, v24, vcc
	v_mov_b32_e32 v22, 0x3b800000
	v_lshlrev_b32_e32 v14, 20, v14
	v_lshl_add_u32 v20, v20, 23, v22
	v_or3_b32 v20, v21, v20, v14
.LBB16_28:
	s_or_b64 exec, exec, s[6:7]
	s_movk_i32 s4, 0x7f
	v_cmp_gt_i16_sdwa s[6:7], v10, s4 src0_sel:BYTE_3 src1_sel:DWORD
	s_mov_b64 s[4:5], 0
                                        ; implicit-def: $sgpr10
	s_and_saveexec_b64 s[8:9], s[6:7]
	s_xor_b64 s[6:7], exec, s[8:9]
	s_cbranch_execnz .LBB16_2077
; %bb.29:
	s_or_saveexec_b64 s[6:7], s[6:7]
	v_mov_b32_e32 v14, s10
	s_xor_b64 exec, exec, s[6:7]
	s_cbranch_execnz .LBB16_2080
.LBB16_30:
	s_or_b64 exec, exec, s[6:7]
	s_and_saveexec_b64 s[6:7], s[4:5]
	s_cbranch_execz .LBB16_32
.LBB16_31:
	v_bfe_u32 v14, v10, 24, 3
	v_ffbh_u32_e32 v24, v14
	v_min_u32_e32 v24, 32, v24
	v_lshrrev_b32_e32 v22, 27, v10
	v_subrev_u32_e32 v25, 28, v24
	v_and_b32_e32 v21, 0x80000000, v10
	v_and_b32_e32 v22, 15, v22
	v_bfe_u32 v23, v10, 27, 4
	v_lshlrev_b32_sdwa v10, v25, v10 dst_sel:DWORD dst_unused:UNUSED_PAD src0_sel:DWORD src1_sel:BYTE_3
	v_sub_u32_e32 v24, 29, v24
	v_and_b32_e32 v10, 7, v10
	v_cmp_eq_u16_e32 vcc, 0, v22
	v_cndmask_b32_e32 v10, v14, v10, vcc
	v_cndmask_b32_e32 v14, v23, v24, vcc
	v_mov_b32_e32 v22, 0x3b800000
	v_lshlrev_b32_e32 v10, 20, v10
	v_lshl_add_u32 v14, v14, 23, v22
	v_or3_b32 v14, v21, v14, v10
.LBB16_32:
	s_or_b64 exec, exec, s[6:7]
	s_nop 0
	v_mfma_f32_16x16x4f32 a[0:3], v20, v14, a[0:3]
	s_movk_i32 s4, 0x7f
	v_cmp_gt_i16_sdwa s[6:7], v15, s4 src0_sel:BYTE_0 src1_sel:DWORD
	s_mov_b64 s[4:5], 0
                                        ; implicit-def: $sgpr10
	s_and_saveexec_b64 s[8:9], s[6:7]
	s_xor_b64 s[6:7], exec, s[8:9]
	s_cbranch_execnz .LBB16_2081
; %bb.33:
	s_or_saveexec_b64 s[6:7], s[6:7]
	v_mov_b32_e32 v10, s10
	s_xor_b64 exec, exec, s[6:7]
	s_cbranch_execnz .LBB16_2084
.LBB16_34:
	s_or_b64 exec, exec, s[6:7]
	s_and_saveexec_b64 s[6:7], s[4:5]
	s_cbranch_execz .LBB16_36
.LBB16_35:
	v_and_b32_e32 v10, 7, v15
	v_ffbh_u32_e32 v20, v10
	v_min_u32_e32 v20, 32, v20
	v_lshrrev_b16_e32 v14, 3, v15
	v_subrev_u32_e32 v21, 28, v20
	v_and_b32_e32 v14, 15, v14
	v_lshlrev_b32_e32 v21, v21, v15
	v_sub_u32_e32 v20, 29, v20
	v_and_b32_e32 v21, 7, v21
	v_cmp_eq_u16_e32 vcc, 0, v14
	v_cndmask_b32_e32 v10, v10, v21, vcc
	v_cndmask_b32_e32 v14, v14, v20, vcc
	v_lshlrev_b32_e32 v20, 24, v15
	v_mov_b32_e32 v21, 0x3b800000
	v_lshlrev_b32_e32 v10, 20, v10
	v_and_b32_e32 v20, 0x80000000, v20
	v_lshl_add_u32 v14, v14, 23, v21
	v_or3_b32 v10, v20, v14, v10
.LBB16_36:
	s_or_b64 exec, exec, s[6:7]
	s_movk_i32 s4, 0x7f
	v_cmp_gt_i16_sdwa s[6:7], v11, s4 src0_sel:BYTE_0 src1_sel:DWORD
	s_mov_b64 s[4:5], 0
                                        ; implicit-def: $sgpr10
	s_and_saveexec_b64 s[8:9], s[6:7]
	s_xor_b64 s[6:7], exec, s[8:9]
	s_cbranch_execnz .LBB16_2085
; %bb.37:
	s_or_saveexec_b64 s[6:7], s[6:7]
	v_mov_b32_e32 v14, s10
	s_xor_b64 exec, exec, s[6:7]
	s_cbranch_execnz .LBB16_2088
.LBB16_38:
	s_or_b64 exec, exec, s[6:7]
	s_and_saveexec_b64 s[6:7], s[4:5]
	s_cbranch_execz .LBB16_40
.LBB16_39:
	v_and_b32_e32 v14, 7, v11
	v_ffbh_u32_e32 v21, v14
	v_min_u32_e32 v21, 32, v21
	v_lshrrev_b16_e32 v20, 3, v11
	v_subrev_u32_e32 v22, 28, v21
	v_and_b32_e32 v20, 15, v20
	v_lshlrev_b32_e32 v22, v22, v11
	v_sub_u32_e32 v21, 29, v21
	v_and_b32_e32 v22, 7, v22
	v_cmp_eq_u16_e32 vcc, 0, v20
	v_cndmask_b32_e32 v14, v14, v22, vcc
	v_cndmask_b32_e32 v20, v20, v21, vcc
	v_lshlrev_b32_e32 v21, 24, v11
	v_mov_b32_e32 v22, 0x3b800000
	v_lshlrev_b32_e32 v14, 20, v14
	v_and_b32_e32 v21, 0x80000000, v21
	v_lshl_add_u32 v20, v20, 23, v22
	v_or3_b32 v14, v21, v20, v14
.LBB16_40:
	s_or_b64 exec, exec, s[6:7]
	s_nop 0
	v_mfma_f32_16x16x4f32 a[0:3], v10, v14, a[0:3]
	v_lshrrev_b32_e32 v14, 8, v15
	s_movk_i32 s4, 0x7f
	v_cmp_gt_i16_sdwa s[6:7], v14, s4 src0_sel:BYTE_0 src1_sel:DWORD
	s_mov_b64 s[4:5], 0
                                        ; implicit-def: $sgpr10
	s_and_saveexec_b64 s[8:9], s[6:7]
	s_xor_b64 s[6:7], exec, s[8:9]
	s_cbranch_execnz .LBB16_2089
; %bb.41:
	s_or_saveexec_b64 s[6:7], s[6:7]
	v_mov_b32_e32 v10, s10
	s_xor_b64 exec, exec, s[6:7]
	s_cbranch_execnz .LBB16_2092
.LBB16_42:
	s_or_b64 exec, exec, s[6:7]
	s_and_saveexec_b64 s[6:7], s[4:5]
	s_cbranch_execz .LBB16_44
.LBB16_43:
	v_bfe_u32 v10, v15, 8, 3
	v_ffbh_u32_e32 v21, v10
	v_min_u32_e32 v21, 32, v21
	v_lshrrev_b16_e32 v20, 3, v14
	v_subrev_u32_e32 v22, 28, v21
	v_and_b32_e32 v20, 15, v20
	v_lshlrev_b32_e32 v14, v22, v14
	v_sub_u32_e32 v21, 29, v21
	v_and_b32_e32 v14, 7, v14
	v_cmp_eq_u16_e32 vcc, 0, v20
	v_cndmask_b32_e32 v10, v10, v14, vcc
	v_cndmask_b32_e32 v14, v20, v21, vcc
	v_lshlrev_b32_e32 v20, 16, v15
	v_mov_b32_e32 v21, 0x3b800000
	v_lshlrev_b32_e32 v10, 20, v10
	v_and_b32_e32 v20, 0x80000000, v20
	v_lshl_add_u32 v14, v14, 23, v21
	v_or3_b32 v10, v20, v14, v10
.LBB16_44:
	s_or_b64 exec, exec, s[6:7]
	v_lshrrev_b32_e32 v14, 8, v11
	s_movk_i32 s4, 0x7f
	v_cmp_gt_i16_sdwa s[6:7], v14, s4 src0_sel:BYTE_0 src1_sel:DWORD
	s_mov_b64 s[4:5], 0
                                        ; implicit-def: $sgpr10
	s_and_saveexec_b64 s[8:9], s[6:7]
	s_xor_b64 s[6:7], exec, s[8:9]
	s_cbranch_execnz .LBB16_2093
; %bb.45:
	s_or_saveexec_b64 s[6:7], s[6:7]
	v_mov_b32_e32 v20, s10
	s_xor_b64 exec, exec, s[6:7]
	s_cbranch_execnz .LBB16_2096
.LBB16_46:
	s_or_b64 exec, exec, s[6:7]
	s_and_saveexec_b64 s[6:7], s[4:5]
	s_cbranch_execz .LBB16_48
.LBB16_47:
	v_bfe_u32 v20, v11, 8, 3
	v_ffbh_u32_e32 v22, v20
	v_min_u32_e32 v22, 32, v22
	v_lshrrev_b16_e32 v21, 3, v14
	v_subrev_u32_e32 v23, 28, v22
	v_and_b32_e32 v21, 15, v21
	v_lshlrev_b32_e32 v14, v23, v14
	v_sub_u32_e32 v22, 29, v22
	v_and_b32_e32 v14, 7, v14
	v_cmp_eq_u16_e32 vcc, 0, v21
	v_cndmask_b32_e32 v14, v20, v14, vcc
	v_cndmask_b32_e32 v20, v21, v22, vcc
	v_lshlrev_b32_e32 v21, 16, v11
	v_mov_b32_e32 v22, 0x3b800000
	v_lshlrev_b32_e32 v14, 20, v14
	v_and_b32_e32 v21, 0x80000000, v21
	v_lshl_add_u32 v20, v20, 23, v22
	v_or3_b32 v20, v21, v20, v14
.LBB16_48:
	s_or_b64 exec, exec, s[6:7]
	s_nop 0
	v_mfma_f32_16x16x4f32 a[0:3], v10, v20, a[0:3]
	s_movk_i32 s4, 0xff
	v_and_b32_sdwa v14, v15, s4 dst_sel:DWORD dst_unused:UNUSED_PAD src0_sel:WORD_1 src1_sel:DWORD
	s_movk_i32 s4, 0x7f
	v_cmp_lt_i16_e32 vcc, s4, v14
	s_mov_b64 s[4:5], 0
                                        ; implicit-def: $sgpr10
	s_and_saveexec_b64 s[6:7], vcc
	s_xor_b64 s[6:7], exec, s[6:7]
	s_cbranch_execnz .LBB16_2097
; %bb.49:
	s_or_saveexec_b64 s[6:7], s[6:7]
	v_mov_b32_e32 v10, s10
	s_xor_b64 exec, exec, s[6:7]
	s_cbranch_execnz .LBB16_2100
.LBB16_50:
	s_or_b64 exec, exec, s[6:7]
	s_and_saveexec_b64 s[6:7], s[4:5]
	s_cbranch_execz .LBB16_52
.LBB16_51:
	v_bfe_u32 v10, v15, 16, 3
	v_ffbh_u32_e32 v21, v10
	v_min_u32_e32 v21, 32, v21
	v_lshrrev_b32_e32 v14, 19, v15
	v_subrev_u32_e32 v22, 28, v21
	v_and_b32_e32 v14, 15, v14
	v_lshlrev_b32_sdwa v22, v22, v15 dst_sel:DWORD dst_unused:UNUSED_PAD src0_sel:DWORD src1_sel:WORD_1
	v_bfe_u32 v20, v15, 19, 4
	v_sub_u32_e32 v21, 29, v21
	v_and_b32_e32 v22, 7, v22
	v_cmp_eq_u16_e32 vcc, 0, v14
	v_cndmask_b32_e32 v10, v10, v22, vcc
	v_cndmask_b32_e32 v14, v20, v21, vcc
	v_lshlrev_b32_e32 v20, 8, v15
	v_mov_b32_e32 v21, 0x3b800000
	v_lshlrev_b32_e32 v10, 20, v10
	v_and_b32_e32 v20, 0x80000000, v20
	v_lshl_add_u32 v14, v14, 23, v21
	v_or3_b32 v10, v20, v14, v10
.LBB16_52:
	s_or_b64 exec, exec, s[6:7]
	s_movk_i32 s4, 0xff
	v_and_b32_sdwa v14, v11, s4 dst_sel:DWORD dst_unused:UNUSED_PAD src0_sel:WORD_1 src1_sel:DWORD
	s_movk_i32 s4, 0x7f
	v_cmp_lt_i16_e32 vcc, s4, v14
	s_mov_b64 s[4:5], 0
                                        ; implicit-def: $sgpr10
	s_and_saveexec_b64 s[6:7], vcc
	s_xor_b64 s[6:7], exec, s[6:7]
	s_cbranch_execnz .LBB16_2101
; %bb.53:
	s_or_saveexec_b64 s[6:7], s[6:7]
	v_mov_b32_e32 v20, s10
	s_xor_b64 exec, exec, s[6:7]
	s_cbranch_execnz .LBB16_2104
.LBB16_54:
	s_or_b64 exec, exec, s[6:7]
	s_and_saveexec_b64 s[6:7], s[4:5]
	s_cbranch_execz .LBB16_56
.LBB16_55:
	v_bfe_u32 v14, v11, 16, 3
	v_ffbh_u32_e32 v22, v14
	v_min_u32_e32 v22, 32, v22
	v_lshrrev_b32_e32 v20, 19, v11
	v_subrev_u32_e32 v23, 28, v22
	v_and_b32_e32 v20, 15, v20
	v_lshlrev_b32_sdwa v23, v23, v11 dst_sel:DWORD dst_unused:UNUSED_PAD src0_sel:DWORD src1_sel:WORD_1
	v_bfe_u32 v21, v11, 19, 4
	v_sub_u32_e32 v22, 29, v22
	v_and_b32_e32 v23, 7, v23
	v_cmp_eq_u16_e32 vcc, 0, v20
	v_cndmask_b32_e32 v14, v14, v23, vcc
	v_cndmask_b32_e32 v20, v21, v22, vcc
	v_lshlrev_b32_e32 v21, 8, v11
	v_mov_b32_e32 v22, 0x3b800000
	v_lshlrev_b32_e32 v14, 20, v14
	v_and_b32_e32 v21, 0x80000000, v21
	v_lshl_add_u32 v20, v20, 23, v22
	v_or3_b32 v20, v21, v20, v14
.LBB16_56:
	s_or_b64 exec, exec, s[6:7]
	s_nop 0
	v_mfma_f32_16x16x4f32 a[0:3], v10, v20, a[0:3]
	s_movk_i32 s4, 0x7f
	v_cmp_gt_i16_sdwa s[6:7], v15, s4 src0_sel:BYTE_3 src1_sel:DWORD
	s_mov_b64 s[4:5], 0
                                        ; implicit-def: $sgpr10
	s_and_saveexec_b64 s[8:9], s[6:7]
	s_xor_b64 s[6:7], exec, s[8:9]
	s_cbranch_execnz .LBB16_2105
; %bb.57:
	s_or_saveexec_b64 s[6:7], s[6:7]
	v_mov_b32_e32 v10, s10
	s_xor_b64 exec, exec, s[6:7]
	s_cbranch_execnz .LBB16_2108
.LBB16_58:
	s_or_b64 exec, exec, s[6:7]
	s_and_saveexec_b64 s[6:7], s[4:5]
	s_cbranch_execz .LBB16_60
.LBB16_59:
	v_bfe_u32 v10, v15, 24, 3
	v_ffbh_u32_e32 v22, v10
	v_min_u32_e32 v22, 32, v22
	v_lshrrev_b32_e32 v20, 27, v15
	v_subrev_u32_e32 v23, 28, v22
	v_and_b32_e32 v14, 0x80000000, v15
	v_and_b32_e32 v20, 15, v20
	v_bfe_u32 v21, v15, 27, 4
	v_lshlrev_b32_sdwa v15, v23, v15 dst_sel:DWORD dst_unused:UNUSED_PAD src0_sel:DWORD src1_sel:BYTE_3
	v_sub_u32_e32 v22, 29, v22
	v_and_b32_e32 v15, 7, v15
	v_cmp_eq_u16_e32 vcc, 0, v20
	v_cndmask_b32_e32 v10, v10, v15, vcc
	v_cndmask_b32_e32 v15, v21, v22, vcc
	v_mov_b32_e32 v20, 0x3b800000
	v_lshlrev_b32_e32 v10, 20, v10
	v_lshl_add_u32 v15, v15, 23, v20
	v_or3_b32 v10, v14, v15, v10
.LBB16_60:
	s_or_b64 exec, exec, s[6:7]
	s_movk_i32 s4, 0x7f
	v_cmp_gt_i16_sdwa s[6:7], v11, s4 src0_sel:BYTE_3 src1_sel:DWORD
	s_mov_b64 s[4:5], 0
                                        ; implicit-def: $sgpr10
	s_and_saveexec_b64 s[8:9], s[6:7]
	s_xor_b64 s[6:7], exec, s[8:9]
	s_cbranch_execnz .LBB16_2109
; %bb.61:
	s_or_saveexec_b64 s[6:7], s[6:7]
	v_mov_b32_e32 v14, s10
	s_xor_b64 exec, exec, s[6:7]
	s_cbranch_execnz .LBB16_2112
.LBB16_62:
	s_or_b64 exec, exec, s[6:7]
	s_and_saveexec_b64 s[6:7], s[4:5]
	s_cbranch_execz .LBB16_64
.LBB16_63:
	v_bfe_u32 v14, v11, 24, 3
	v_ffbh_u32_e32 v22, v14
	v_min_u32_e32 v22, 32, v22
	v_lshrrev_b32_e32 v20, 27, v11
	v_subrev_u32_e32 v23, 28, v22
	v_and_b32_e32 v15, 0x80000000, v11
	v_and_b32_e32 v20, 15, v20
	v_bfe_u32 v21, v11, 27, 4
	v_lshlrev_b32_sdwa v11, v23, v11 dst_sel:DWORD dst_unused:UNUSED_PAD src0_sel:DWORD src1_sel:BYTE_3
	v_sub_u32_e32 v22, 29, v22
	v_and_b32_e32 v11, 7, v11
	v_cmp_eq_u16_e32 vcc, 0, v20
	v_cndmask_b32_e32 v11, v14, v11, vcc
	v_cndmask_b32_e32 v14, v21, v22, vcc
	v_mov_b32_e32 v20, 0x3b800000
	v_lshlrev_b32_e32 v11, 20, v11
	v_lshl_add_u32 v14, v14, 23, v20
	v_or3_b32 v14, v15, v14, v11
.LBB16_64:
	s_or_b64 exec, exec, s[6:7]
	s_nop 0
	v_mfma_f32_16x16x4f32 a[0:3], v10, v14, a[0:3]
	s_movk_i32 s4, 0x7f
	v_cmp_gt_i16_sdwa s[6:7], v16, s4 src0_sel:BYTE_0 src1_sel:DWORD
	s_mov_b64 s[4:5], 0
                                        ; implicit-def: $sgpr10
	s_and_saveexec_b64 s[8:9], s[6:7]
	s_xor_b64 s[6:7], exec, s[8:9]
	s_cbranch_execnz .LBB16_2113
; %bb.65:
	s_or_saveexec_b64 s[6:7], s[6:7]
	v_mov_b32_e32 v10, s10
	s_xor_b64 exec, exec, s[6:7]
	s_cbranch_execnz .LBB16_2116
.LBB16_66:
	s_or_b64 exec, exec, s[6:7]
	s_and_saveexec_b64 s[6:7], s[4:5]
	s_cbranch_execz .LBB16_68
.LBB16_67:
	v_and_b32_e32 v10, 7, v16
	v_ffbh_u32_e32 v14, v10
	v_min_u32_e32 v14, 32, v14
	v_lshrrev_b16_e32 v11, 3, v16
	v_subrev_u32_e32 v15, 28, v14
	v_and_b32_e32 v11, 15, v11
	v_lshlrev_b32_e32 v15, v15, v16
	v_sub_u32_e32 v14, 29, v14
	v_and_b32_e32 v15, 7, v15
	v_cmp_eq_u16_e32 vcc, 0, v11
	v_cndmask_b32_e32 v10, v10, v15, vcc
	v_cndmask_b32_e32 v11, v11, v14, vcc
	v_lshlrev_b32_e32 v14, 24, v16
	v_mov_b32_e32 v15, 0x3b800000
	v_lshlrev_b32_e32 v10, 20, v10
	v_and_b32_e32 v14, 0x80000000, v14
	v_lshl_add_u32 v11, v11, 23, v15
	v_or3_b32 v10, v14, v11, v10
.LBB16_68:
	s_or_b64 exec, exec, s[6:7]
	s_movk_i32 s4, 0x7f
	v_cmp_gt_i16_sdwa s[6:7], v12, s4 src0_sel:BYTE_0 src1_sel:DWORD
	s_mov_b64 s[4:5], 0
                                        ; implicit-def: $sgpr10
	s_and_saveexec_b64 s[8:9], s[6:7]
	s_xor_b64 s[6:7], exec, s[8:9]
	s_cbranch_execnz .LBB16_2117
; %bb.69:
	s_or_saveexec_b64 s[6:7], s[6:7]
	v_mov_b32_e32 v11, s10
	s_xor_b64 exec, exec, s[6:7]
	s_cbranch_execnz .LBB16_2120
.LBB16_70:
	s_or_b64 exec, exec, s[6:7]
	s_and_saveexec_b64 s[6:7], s[4:5]
	s_cbranch_execz .LBB16_72
.LBB16_71:
	v_and_b32_e32 v11, 7, v12
	v_ffbh_u32_e32 v15, v11
	v_min_u32_e32 v15, 32, v15
	v_lshrrev_b16_e32 v14, 3, v12
	v_subrev_u32_e32 v20, 28, v15
	v_and_b32_e32 v14, 15, v14
	v_lshlrev_b32_e32 v20, v20, v12
	v_sub_u32_e32 v15, 29, v15
	v_and_b32_e32 v20, 7, v20
	v_cmp_eq_u16_e32 vcc, 0, v14
	v_cndmask_b32_e32 v11, v11, v20, vcc
	v_cndmask_b32_e32 v14, v14, v15, vcc
	v_lshlrev_b32_e32 v15, 24, v12
	v_mov_b32_e32 v20, 0x3b800000
	v_lshlrev_b32_e32 v11, 20, v11
	v_and_b32_e32 v15, 0x80000000, v15
	v_lshl_add_u32 v14, v14, 23, v20
	v_or3_b32 v11, v15, v14, v11
.LBB16_72:
	s_or_b64 exec, exec, s[6:7]
	s_nop 0
	v_mfma_f32_16x16x4f32 a[0:3], v10, v11, a[0:3]
	v_lshrrev_b32_e32 v11, 8, v16
	s_movk_i32 s4, 0x7f
	v_cmp_gt_i16_sdwa s[6:7], v11, s4 src0_sel:BYTE_0 src1_sel:DWORD
	s_mov_b64 s[4:5], 0
                                        ; implicit-def: $sgpr10
	s_and_saveexec_b64 s[8:9], s[6:7]
	s_xor_b64 s[6:7], exec, s[8:9]
	s_cbranch_execnz .LBB16_2121
; %bb.73:
	s_or_saveexec_b64 s[6:7], s[6:7]
	v_mov_b32_e32 v10, s10
	s_xor_b64 exec, exec, s[6:7]
	s_cbranch_execnz .LBB16_2124
.LBB16_74:
	s_or_b64 exec, exec, s[6:7]
	s_and_saveexec_b64 s[6:7], s[4:5]
	s_cbranch_execz .LBB16_76
.LBB16_75:
	v_bfe_u32 v10, v16, 8, 3
	v_ffbh_u32_e32 v15, v10
	v_min_u32_e32 v15, 32, v15
	v_lshrrev_b16_e32 v14, 3, v11
	v_subrev_u32_e32 v20, 28, v15
	v_and_b32_e32 v14, 15, v14
	v_lshlrev_b32_e32 v11, v20, v11
	v_sub_u32_e32 v15, 29, v15
	v_and_b32_e32 v11, 7, v11
	v_cmp_eq_u16_e32 vcc, 0, v14
	v_cndmask_b32_e32 v10, v10, v11, vcc
	v_cndmask_b32_e32 v11, v14, v15, vcc
	v_lshlrev_b32_e32 v14, 16, v16
	v_mov_b32_e32 v15, 0x3b800000
	v_lshlrev_b32_e32 v10, 20, v10
	v_and_b32_e32 v14, 0x80000000, v14
	v_lshl_add_u32 v11, v11, 23, v15
	v_or3_b32 v10, v14, v11, v10
.LBB16_76:
	s_or_b64 exec, exec, s[6:7]
	v_lshrrev_b32_e32 v11, 8, v12
	s_movk_i32 s4, 0x7f
	v_cmp_gt_i16_sdwa s[6:7], v11, s4 src0_sel:BYTE_0 src1_sel:DWORD
	s_mov_b64 s[4:5], 0
                                        ; implicit-def: $sgpr10
	s_and_saveexec_b64 s[8:9], s[6:7]
	s_xor_b64 s[6:7], exec, s[8:9]
	s_cbranch_execnz .LBB16_2125
; %bb.77:
	s_or_saveexec_b64 s[6:7], s[6:7]
	v_mov_b32_e32 v14, s10
	s_xor_b64 exec, exec, s[6:7]
	s_cbranch_execnz .LBB16_2128
.LBB16_78:
	s_or_b64 exec, exec, s[6:7]
	s_and_saveexec_b64 s[6:7], s[4:5]
	s_cbranch_execz .LBB16_80
.LBB16_79:
	v_bfe_u32 v14, v12, 8, 3
	v_ffbh_u32_e32 v20, v14
	v_min_u32_e32 v20, 32, v20
	v_lshrrev_b16_e32 v15, 3, v11
	v_subrev_u32_e32 v21, 28, v20
	v_and_b32_e32 v15, 15, v15
	v_lshlrev_b32_e32 v11, v21, v11
	v_sub_u32_e32 v20, 29, v20
	v_and_b32_e32 v11, 7, v11
	v_cmp_eq_u16_e32 vcc, 0, v15
	v_cndmask_b32_e32 v11, v14, v11, vcc
	v_cndmask_b32_e32 v14, v15, v20, vcc
	v_lshlrev_b32_e32 v15, 16, v12
	v_mov_b32_e32 v20, 0x3b800000
	v_lshlrev_b32_e32 v11, 20, v11
	v_and_b32_e32 v15, 0x80000000, v15
	v_lshl_add_u32 v14, v14, 23, v20
	v_or3_b32 v14, v15, v14, v11
.LBB16_80:
	s_or_b64 exec, exec, s[6:7]
	s_nop 0
	v_mfma_f32_16x16x4f32 a[0:3], v10, v14, a[0:3]
	s_movk_i32 s4, 0xff
	v_and_b32_sdwa v11, v16, s4 dst_sel:DWORD dst_unused:UNUSED_PAD src0_sel:WORD_1 src1_sel:DWORD
	s_movk_i32 s4, 0x7f
	v_cmp_lt_i16_e32 vcc, s4, v11
	s_mov_b64 s[4:5], 0
                                        ; implicit-def: $sgpr10
	s_and_saveexec_b64 s[6:7], vcc
	s_xor_b64 s[6:7], exec, s[6:7]
	s_cbranch_execnz .LBB16_2129
; %bb.81:
	s_or_saveexec_b64 s[6:7], s[6:7]
	v_mov_b32_e32 v10, s10
	s_xor_b64 exec, exec, s[6:7]
	s_cbranch_execnz .LBB16_2132
.LBB16_82:
	s_or_b64 exec, exec, s[6:7]
	s_and_saveexec_b64 s[6:7], s[4:5]
	s_cbranch_execz .LBB16_84
.LBB16_83:
	v_bfe_u32 v10, v16, 16, 3
	v_ffbh_u32_e32 v15, v10
	v_min_u32_e32 v15, 32, v15
	v_lshrrev_b32_e32 v11, 19, v16
	v_subrev_u32_e32 v20, 28, v15
	v_and_b32_e32 v11, 15, v11
	v_lshlrev_b32_sdwa v20, v20, v16 dst_sel:DWORD dst_unused:UNUSED_PAD src0_sel:DWORD src1_sel:WORD_1
	v_bfe_u32 v14, v16, 19, 4
	v_sub_u32_e32 v15, 29, v15
	v_and_b32_e32 v20, 7, v20
	v_cmp_eq_u16_e32 vcc, 0, v11
	v_cndmask_b32_e32 v10, v10, v20, vcc
	v_cndmask_b32_e32 v11, v14, v15, vcc
	v_lshlrev_b32_e32 v14, 8, v16
	v_mov_b32_e32 v15, 0x3b800000
	v_lshlrev_b32_e32 v10, 20, v10
	v_and_b32_e32 v14, 0x80000000, v14
	v_lshl_add_u32 v11, v11, 23, v15
	v_or3_b32 v10, v14, v11, v10
.LBB16_84:
	s_or_b64 exec, exec, s[6:7]
	s_movk_i32 s4, 0xff
	v_and_b32_sdwa v11, v12, s4 dst_sel:DWORD dst_unused:UNUSED_PAD src0_sel:WORD_1 src1_sel:DWORD
	s_movk_i32 s4, 0x7f
	v_cmp_lt_i16_e32 vcc, s4, v11
	s_mov_b64 s[4:5], 0
                                        ; implicit-def: $sgpr10
	s_and_saveexec_b64 s[6:7], vcc
	s_xor_b64 s[6:7], exec, s[6:7]
	s_cbranch_execnz .LBB16_2133
; %bb.85:
	s_or_saveexec_b64 s[6:7], s[6:7]
	v_mov_b32_e32 v14, s10
	s_xor_b64 exec, exec, s[6:7]
	s_cbranch_execnz .LBB16_2136
.LBB16_86:
	s_or_b64 exec, exec, s[6:7]
	s_and_saveexec_b64 s[6:7], s[4:5]
	s_cbranch_execz .LBB16_88
.LBB16_87:
	v_bfe_u32 v11, v12, 16, 3
	v_ffbh_u32_e32 v20, v11
	v_min_u32_e32 v20, 32, v20
	v_lshrrev_b32_e32 v14, 19, v12
	v_subrev_u32_e32 v21, 28, v20
	v_and_b32_e32 v14, 15, v14
	v_lshlrev_b32_sdwa v21, v21, v12 dst_sel:DWORD dst_unused:UNUSED_PAD src0_sel:DWORD src1_sel:WORD_1
	v_bfe_u32 v15, v12, 19, 4
	v_sub_u32_e32 v20, 29, v20
	v_and_b32_e32 v21, 7, v21
	v_cmp_eq_u16_e32 vcc, 0, v14
	v_cndmask_b32_e32 v11, v11, v21, vcc
	v_cndmask_b32_e32 v14, v15, v20, vcc
	v_lshlrev_b32_e32 v15, 8, v12
	v_mov_b32_e32 v20, 0x3b800000
	v_lshlrev_b32_e32 v11, 20, v11
	v_and_b32_e32 v15, 0x80000000, v15
	v_lshl_add_u32 v14, v14, 23, v20
	v_or3_b32 v14, v15, v14, v11
.LBB16_88:
	s_or_b64 exec, exec, s[6:7]
	s_nop 0
	v_mfma_f32_16x16x4f32 a[0:3], v10, v14, a[0:3]
	s_movk_i32 s4, 0x7f
	v_cmp_gt_i16_sdwa s[6:7], v16, s4 src0_sel:BYTE_3 src1_sel:DWORD
	s_mov_b64 s[4:5], 0
                                        ; implicit-def: $sgpr10
	s_and_saveexec_b64 s[8:9], s[6:7]
	s_xor_b64 s[6:7], exec, s[8:9]
	s_cbranch_execnz .LBB16_2137
; %bb.89:
	s_or_saveexec_b64 s[6:7], s[6:7]
	v_mov_b32_e32 v10, s10
	s_xor_b64 exec, exec, s[6:7]
	s_cbranch_execnz .LBB16_2140
.LBB16_90:
	s_or_b64 exec, exec, s[6:7]
	s_and_saveexec_b64 s[6:7], s[4:5]
	s_cbranch_execz .LBB16_92
.LBB16_91:
	v_bfe_u32 v10, v16, 24, 3
	v_ffbh_u32_e32 v20, v10
	v_min_u32_e32 v20, 32, v20
	v_lshrrev_b32_e32 v14, 27, v16
	v_subrev_u32_e32 v21, 28, v20
	v_and_b32_e32 v11, 0x80000000, v16
	v_and_b32_e32 v14, 15, v14
	v_bfe_u32 v15, v16, 27, 4
	v_lshlrev_b32_sdwa v16, v21, v16 dst_sel:DWORD dst_unused:UNUSED_PAD src0_sel:DWORD src1_sel:BYTE_3
	v_sub_u32_e32 v20, 29, v20
	v_and_b32_e32 v16, 7, v16
	v_cmp_eq_u16_e32 vcc, 0, v14
	v_cndmask_b32_e32 v10, v10, v16, vcc
	v_cndmask_b32_e32 v14, v15, v20, vcc
	v_mov_b32_e32 v15, 0x3b800000
	v_lshlrev_b32_e32 v10, 20, v10
	v_lshl_add_u32 v14, v14, 23, v15
	v_or3_b32 v10, v11, v14, v10
.LBB16_92:
	s_or_b64 exec, exec, s[6:7]
	s_movk_i32 s4, 0x7f
	v_cmp_gt_i16_sdwa s[6:7], v12, s4 src0_sel:BYTE_3 src1_sel:DWORD
	s_mov_b64 s[4:5], 0
                                        ; implicit-def: $sgpr10
	s_and_saveexec_b64 s[8:9], s[6:7]
	s_xor_b64 s[6:7], exec, s[8:9]
	s_cbranch_execnz .LBB16_2141
; %bb.93:
	s_or_saveexec_b64 s[6:7], s[6:7]
	v_mov_b32_e32 v11, s10
	s_xor_b64 exec, exec, s[6:7]
	s_cbranch_execnz .LBB16_2144
.LBB16_94:
	s_or_b64 exec, exec, s[6:7]
	s_and_saveexec_b64 s[6:7], s[4:5]
	s_cbranch_execz .LBB16_96
.LBB16_95:
	v_bfe_u32 v11, v12, 24, 3
	v_ffbh_u32_e32 v20, v11
	v_min_u32_e32 v20, 32, v20
	v_lshrrev_b32_e32 v15, 27, v12
	v_subrev_u32_e32 v21, 28, v20
	v_and_b32_e32 v14, 0x80000000, v12
	v_and_b32_e32 v15, 15, v15
	v_bfe_u32 v16, v12, 27, 4
	v_lshlrev_b32_sdwa v12, v21, v12 dst_sel:DWORD dst_unused:UNUSED_PAD src0_sel:DWORD src1_sel:BYTE_3
	v_sub_u32_e32 v20, 29, v20
	v_and_b32_e32 v12, 7, v12
	v_cmp_eq_u16_e32 vcc, 0, v15
	v_cndmask_b32_e32 v11, v11, v12, vcc
	v_cndmask_b32_e32 v12, v16, v20, vcc
	v_mov_b32_e32 v15, 0x3b800000
	v_lshlrev_b32_e32 v11, 20, v11
	v_lshl_add_u32 v12, v12, 23, v15
	v_or3_b32 v11, v14, v12, v11
.LBB16_96:
	s_or_b64 exec, exec, s[6:7]
	s_nop 0
	v_mfma_f32_16x16x4f32 a[0:3], v10, v11, a[0:3]
	s_movk_i32 s4, 0x7f
	v_cmp_gt_i16_sdwa s[6:7], v17, s4 src0_sel:BYTE_0 src1_sel:DWORD
	s_mov_b64 s[4:5], 0
                                        ; implicit-def: $sgpr10
	s_and_saveexec_b64 s[8:9], s[6:7]
	s_xor_b64 s[6:7], exec, s[8:9]
	s_cbranch_execnz .LBB16_2145
; %bb.97:
	s_or_saveexec_b64 s[6:7], s[6:7]
	v_mov_b32_e32 v10, s10
	s_xor_b64 exec, exec, s[6:7]
	s_cbranch_execnz .LBB16_2148
.LBB16_98:
	s_or_b64 exec, exec, s[6:7]
	s_and_saveexec_b64 s[6:7], s[4:5]
	s_cbranch_execz .LBB16_100
.LBB16_99:
	v_and_b32_e32 v10, 7, v17
	v_ffbh_u32_e32 v12, v10
	v_min_u32_e32 v12, 32, v12
	v_lshrrev_b16_e32 v11, 3, v17
	v_subrev_u32_e32 v14, 28, v12
	v_and_b32_e32 v11, 15, v11
	v_lshlrev_b32_e32 v14, v14, v17
	v_sub_u32_e32 v12, 29, v12
	v_and_b32_e32 v14, 7, v14
	v_cmp_eq_u16_e32 vcc, 0, v11
	v_cndmask_b32_e32 v10, v10, v14, vcc
	v_cndmask_b32_e32 v11, v11, v12, vcc
	v_lshlrev_b32_e32 v12, 24, v17
	v_mov_b32_e32 v14, 0x3b800000
	v_lshlrev_b32_e32 v10, 20, v10
	v_and_b32_e32 v12, 0x80000000, v12
	v_lshl_add_u32 v11, v11, 23, v14
	v_or3_b32 v10, v12, v11, v10
.LBB16_100:
	s_or_b64 exec, exec, s[6:7]
	s_movk_i32 s4, 0x7f
	v_cmp_gt_i16_sdwa s[6:7], v13, s4 src0_sel:BYTE_0 src1_sel:DWORD
	s_mov_b64 s[4:5], 0
                                        ; implicit-def: $sgpr10
	s_and_saveexec_b64 s[8:9], s[6:7]
	s_xor_b64 s[6:7], exec, s[8:9]
	s_cbranch_execnz .LBB16_2149
; %bb.101:
	s_or_saveexec_b64 s[6:7], s[6:7]
	v_mov_b32_e32 v11, s10
	s_xor_b64 exec, exec, s[6:7]
	s_cbranch_execnz .LBB16_2152
.LBB16_102:
	s_or_b64 exec, exec, s[6:7]
	s_and_saveexec_b64 s[6:7], s[4:5]
	s_cbranch_execz .LBB16_104
.LBB16_103:
	v_and_b32_e32 v11, 7, v13
	v_ffbh_u32_e32 v14, v11
	v_min_u32_e32 v14, 32, v14
	v_lshrrev_b16_e32 v12, 3, v13
	v_subrev_u32_e32 v15, 28, v14
	v_and_b32_e32 v12, 15, v12
	v_lshlrev_b32_e32 v15, v15, v13
	v_sub_u32_e32 v14, 29, v14
	v_and_b32_e32 v15, 7, v15
	v_cmp_eq_u16_e32 vcc, 0, v12
	v_cndmask_b32_e32 v11, v11, v15, vcc
	v_cndmask_b32_e32 v12, v12, v14, vcc
	v_lshlrev_b32_e32 v14, 24, v13
	v_mov_b32_e32 v15, 0x3b800000
	v_lshlrev_b32_e32 v11, 20, v11
	v_and_b32_e32 v14, 0x80000000, v14
	v_lshl_add_u32 v12, v12, 23, v15
	v_or3_b32 v11, v14, v12, v11
.LBB16_104:
	s_or_b64 exec, exec, s[6:7]
	s_nop 0
	v_mfma_f32_16x16x4f32 a[0:3], v10, v11, a[0:3]
	v_lshrrev_b32_e32 v11, 8, v17
	s_movk_i32 s4, 0x7f
	v_cmp_gt_i16_sdwa s[6:7], v11, s4 src0_sel:BYTE_0 src1_sel:DWORD
	s_mov_b64 s[4:5], 0
                                        ; implicit-def: $sgpr10
	s_and_saveexec_b64 s[8:9], s[6:7]
	s_xor_b64 s[6:7], exec, s[8:9]
	s_cbranch_execnz .LBB16_2153
; %bb.105:
	s_or_saveexec_b64 s[6:7], s[6:7]
	v_mov_b32_e32 v10, s10
	s_xor_b64 exec, exec, s[6:7]
	s_cbranch_execnz .LBB16_2156
.LBB16_106:
	s_or_b64 exec, exec, s[6:7]
	s_and_saveexec_b64 s[6:7], s[4:5]
	s_cbranch_execz .LBB16_108
.LBB16_107:
	v_bfe_u32 v10, v17, 8, 3
	v_ffbh_u32_e32 v14, v10
	v_min_u32_e32 v14, 32, v14
	v_lshrrev_b16_e32 v12, 3, v11
	v_subrev_u32_e32 v15, 28, v14
	v_and_b32_e32 v12, 15, v12
	v_lshlrev_b32_e32 v11, v15, v11
	v_sub_u32_e32 v14, 29, v14
	v_and_b32_e32 v11, 7, v11
	v_cmp_eq_u16_e32 vcc, 0, v12
	v_cndmask_b32_e32 v10, v10, v11, vcc
	v_cndmask_b32_e32 v11, v12, v14, vcc
	v_lshlrev_b32_e32 v12, 16, v17
	v_mov_b32_e32 v14, 0x3b800000
	v_lshlrev_b32_e32 v10, 20, v10
	v_and_b32_e32 v12, 0x80000000, v12
	v_lshl_add_u32 v11, v11, 23, v14
	v_or3_b32 v10, v12, v11, v10
.LBB16_108:
	s_or_b64 exec, exec, s[6:7]
	v_lshrrev_b32_e32 v11, 8, v13
	s_movk_i32 s4, 0x7f
	v_cmp_gt_i16_sdwa s[6:7], v11, s4 src0_sel:BYTE_0 src1_sel:DWORD
	s_mov_b64 s[4:5], 0
                                        ; implicit-def: $sgpr10
	s_and_saveexec_b64 s[8:9], s[6:7]
	s_xor_b64 s[6:7], exec, s[8:9]
	s_cbranch_execnz .LBB16_2157
; %bb.109:
	s_or_saveexec_b64 s[6:7], s[6:7]
	v_mov_b32_e32 v12, s10
	s_xor_b64 exec, exec, s[6:7]
	s_cbranch_execnz .LBB16_2160
.LBB16_110:
	s_or_b64 exec, exec, s[6:7]
	s_and_saveexec_b64 s[6:7], s[4:5]
	s_cbranch_execz .LBB16_112
.LBB16_111:
	v_bfe_u32 v12, v13, 8, 3
	v_ffbh_u32_e32 v15, v12
	v_min_u32_e32 v15, 32, v15
	v_lshrrev_b16_e32 v14, 3, v11
	v_subrev_u32_e32 v16, 28, v15
	v_and_b32_e32 v14, 15, v14
	v_lshlrev_b32_e32 v11, v16, v11
	v_sub_u32_e32 v15, 29, v15
	v_and_b32_e32 v11, 7, v11
	v_cmp_eq_u16_e32 vcc, 0, v14
	v_cndmask_b32_e32 v11, v12, v11, vcc
	v_cndmask_b32_e32 v12, v14, v15, vcc
	v_lshlrev_b32_e32 v14, 16, v13
	v_mov_b32_e32 v15, 0x3b800000
	v_lshlrev_b32_e32 v11, 20, v11
	v_and_b32_e32 v14, 0x80000000, v14
	v_lshl_add_u32 v12, v12, 23, v15
	v_or3_b32 v12, v14, v12, v11
.LBB16_112:
	s_or_b64 exec, exec, s[6:7]
	s_nop 0
	v_mfma_f32_16x16x4f32 a[0:3], v10, v12, a[0:3]
	s_movk_i32 s4, 0xff
	v_and_b32_sdwa v11, v17, s4 dst_sel:DWORD dst_unused:UNUSED_PAD src0_sel:WORD_1 src1_sel:DWORD
	s_movk_i32 s4, 0x7f
	v_cmp_lt_i16_e32 vcc, s4, v11
	s_mov_b64 s[4:5], 0
                                        ; implicit-def: $sgpr10
	s_and_saveexec_b64 s[6:7], vcc
	s_xor_b64 s[6:7], exec, s[6:7]
	s_cbranch_execnz .LBB16_2161
; %bb.113:
	s_or_saveexec_b64 s[6:7], s[6:7]
	v_mov_b32_e32 v10, s10
	s_xor_b64 exec, exec, s[6:7]
	s_cbranch_execnz .LBB16_2164
.LBB16_114:
	s_or_b64 exec, exec, s[6:7]
	s_and_saveexec_b64 s[6:7], s[4:5]
	s_cbranch_execz .LBB16_116
.LBB16_115:
	v_bfe_u32 v10, v17, 16, 3
	v_ffbh_u32_e32 v14, v10
	v_min_u32_e32 v14, 32, v14
	v_lshrrev_b32_e32 v11, 19, v17
	v_subrev_u32_e32 v15, 28, v14
	v_and_b32_e32 v11, 15, v11
	v_lshlrev_b32_sdwa v15, v15, v17 dst_sel:DWORD dst_unused:UNUSED_PAD src0_sel:DWORD src1_sel:WORD_1
	v_bfe_u32 v12, v17, 19, 4
	v_sub_u32_e32 v14, 29, v14
	v_and_b32_e32 v15, 7, v15
	v_cmp_eq_u16_e32 vcc, 0, v11
	v_cndmask_b32_e32 v10, v10, v15, vcc
	v_cndmask_b32_e32 v11, v12, v14, vcc
	v_lshlrev_b32_e32 v12, 8, v17
	v_mov_b32_e32 v14, 0x3b800000
	v_lshlrev_b32_e32 v10, 20, v10
	v_and_b32_e32 v12, 0x80000000, v12
	v_lshl_add_u32 v11, v11, 23, v14
	v_or3_b32 v10, v12, v11, v10
.LBB16_116:
	s_or_b64 exec, exec, s[6:7]
	s_movk_i32 s4, 0xff
	v_and_b32_sdwa v11, v13, s4 dst_sel:DWORD dst_unused:UNUSED_PAD src0_sel:WORD_1 src1_sel:DWORD
	s_movk_i32 s4, 0x7f
	v_cmp_lt_i16_e32 vcc, s4, v11
	s_mov_b64 s[4:5], 0
                                        ; implicit-def: $sgpr10
	s_and_saveexec_b64 s[6:7], vcc
	s_xor_b64 s[6:7], exec, s[6:7]
	s_cbranch_execnz .LBB16_2165
; %bb.117:
	s_or_saveexec_b64 s[6:7], s[6:7]
	v_mov_b32_e32 v12, s10
	s_xor_b64 exec, exec, s[6:7]
	s_cbranch_execnz .LBB16_2168
.LBB16_118:
	s_or_b64 exec, exec, s[6:7]
	s_and_saveexec_b64 s[6:7], s[4:5]
	s_cbranch_execz .LBB16_120
.LBB16_119:
	v_bfe_u32 v11, v13, 16, 3
	v_ffbh_u32_e32 v15, v11
	v_min_u32_e32 v15, 32, v15
	v_lshrrev_b32_e32 v12, 19, v13
	v_subrev_u32_e32 v16, 28, v15
	v_and_b32_e32 v12, 15, v12
	v_lshlrev_b32_sdwa v16, v16, v13 dst_sel:DWORD dst_unused:UNUSED_PAD src0_sel:DWORD src1_sel:WORD_1
	v_bfe_u32 v14, v13, 19, 4
	v_sub_u32_e32 v15, 29, v15
	v_and_b32_e32 v16, 7, v16
	v_cmp_eq_u16_e32 vcc, 0, v12
	v_cndmask_b32_e32 v11, v11, v16, vcc
	v_cndmask_b32_e32 v12, v14, v15, vcc
	v_lshlrev_b32_e32 v14, 8, v13
	v_mov_b32_e32 v15, 0x3b800000
	v_lshlrev_b32_e32 v11, 20, v11
	v_and_b32_e32 v14, 0x80000000, v14
	v_lshl_add_u32 v12, v12, 23, v15
	v_or3_b32 v12, v14, v12, v11
.LBB16_120:
	s_or_b64 exec, exec, s[6:7]
	s_nop 0
	v_mfma_f32_16x16x4f32 a[0:3], v10, v12, a[0:3]
	s_movk_i32 s4, 0x7f
	v_cmp_gt_i16_sdwa s[6:7], v17, s4 src0_sel:BYTE_3 src1_sel:DWORD
	s_mov_b64 s[4:5], 0
                                        ; implicit-def: $sgpr10
	s_and_saveexec_b64 s[8:9], s[6:7]
	s_xor_b64 s[6:7], exec, s[8:9]
	s_cbranch_execnz .LBB16_2169
; %bb.121:
	s_or_saveexec_b64 s[6:7], s[6:7]
	v_mov_b32_e32 v10, s10
	s_xor_b64 exec, exec, s[6:7]
	s_cbranch_execnz .LBB16_2172
.LBB16_122:
	s_or_b64 exec, exec, s[6:7]
	s_and_saveexec_b64 s[6:7], s[4:5]
	s_cbranch_execz .LBB16_124
.LBB16_123:
	v_bfe_u32 v10, v17, 24, 3
	v_ffbh_u32_e32 v15, v10
	v_min_u32_e32 v15, 32, v15
	v_lshrrev_b32_e32 v12, 27, v17
	v_subrev_u32_e32 v16, 28, v15
	v_and_b32_e32 v12, 15, v12
	v_lshlrev_b32_sdwa v16, v16, v17 dst_sel:DWORD dst_unused:UNUSED_PAD src0_sel:DWORD src1_sel:BYTE_3
	v_bfe_u32 v14, v17, 27, 4
	v_sub_u32_e32 v15, 29, v15
	v_and_b32_e32 v16, 7, v16
	v_cmp_eq_u16_e32 vcc, 0, v12
	v_cndmask_b32_e32 v10, v10, v16, vcc
	v_cndmask_b32_e32 v12, v14, v15, vcc
	v_mov_b32_e32 v14, 0x3b800000
	v_and_b32_e32 v11, 0x80000000, v17
	v_lshlrev_b32_e32 v10, 20, v10
	v_lshl_add_u32 v12, v12, 23, v14
	v_or3_b32 v10, v11, v12, v10
.LBB16_124:
	s_or_b64 exec, exec, s[6:7]
	s_movk_i32 s4, 0x7f
	v_cmp_gt_i16_sdwa s[6:7], v13, s4 src0_sel:BYTE_3 src1_sel:DWORD
	s_mov_b64 s[4:5], 0
                                        ; implicit-def: $sgpr10
	s_and_saveexec_b64 s[8:9], s[6:7]
	s_xor_b64 s[6:7], exec, s[8:9]
	s_cbranch_execnz .LBB16_2173
; %bb.125:
	s_or_saveexec_b64 s[6:7], s[6:7]
	v_mov_b32_e32 v11, s10
	s_xor_b64 exec, exec, s[6:7]
	s_cbranch_execnz .LBB16_2176
.LBB16_126:
	s_or_b64 exec, exec, s[6:7]
	s_and_saveexec_b64 s[6:7], s[4:5]
	s_cbranch_execz .LBB16_128
.LBB16_127:
	v_bfe_u32 v11, v13, 24, 3
	v_ffbh_u32_e32 v16, v11
	v_min_u32_e32 v16, 32, v16
	v_lshrrev_b32_e32 v14, 27, v13
	v_subrev_u32_e32 v17, 28, v16
	v_and_b32_e32 v12, 0x80000000, v13
	v_and_b32_e32 v14, 15, v14
	v_bfe_u32 v15, v13, 27, 4
	v_lshlrev_b32_sdwa v13, v17, v13 dst_sel:DWORD dst_unused:UNUSED_PAD src0_sel:DWORD src1_sel:BYTE_3
	v_sub_u32_e32 v16, 29, v16
	v_and_b32_e32 v13, 7, v13
	v_cmp_eq_u16_e32 vcc, 0, v14
	v_cndmask_b32_e32 v11, v11, v13, vcc
	v_cndmask_b32_e32 v13, v15, v16, vcc
	v_mov_b32_e32 v14, 0x3b800000
	v_lshlrev_b32_e32 v11, 20, v11
	v_lshl_add_u32 v13, v13, 23, v14
	v_or3_b32 v11, v12, v13, v11
.LBB16_128:
	s_or_b64 exec, exec, s[6:7]
	s_nop 0
	v_mfma_f32_16x16x4f32 a[0:3], v10, v11, a[0:3]
	s_movk_i32 s4, 0x7f
	v_cmp_gt_i16_sdwa s[6:7], v6, s4 src0_sel:BYTE_0 src1_sel:DWORD
	s_mov_b64 s[4:5], 0
                                        ; implicit-def: $sgpr10
	s_and_saveexec_b64 s[8:9], s[6:7]
	s_xor_b64 s[6:7], exec, s[8:9]
	s_cbranch_execnz .LBB16_2177
; %bb.129:
	s_or_saveexec_b64 s[6:7], s[6:7]
	v_mov_b32_e32 v10, s10
	s_xor_b64 exec, exec, s[6:7]
	s_cbranch_execnz .LBB16_2180
.LBB16_130:
	s_or_b64 exec, exec, s[6:7]
	s_and_saveexec_b64 s[6:7], s[4:5]
	s_cbranch_execz .LBB16_132
.LBB16_131:
	v_and_b32_e32 v10, 7, v6
	v_ffbh_u32_e32 v12, v10
	v_min_u32_e32 v12, 32, v12
	v_lshrrev_b16_e32 v11, 3, v6
	v_subrev_u32_e32 v13, 28, v12
	v_and_b32_e32 v11, 15, v11
	v_lshlrev_b32_e32 v13, v13, v6
	v_sub_u32_e32 v12, 29, v12
	v_and_b32_e32 v13, 7, v13
	v_cmp_eq_u16_e32 vcc, 0, v11
	v_cndmask_b32_e32 v10, v10, v13, vcc
	v_cndmask_b32_e32 v11, v11, v12, vcc
	v_lshlrev_b32_e32 v12, 24, v6
	v_mov_b32_e32 v13, 0x3b800000
	v_lshlrev_b32_e32 v10, 20, v10
	v_and_b32_e32 v12, 0x80000000, v12
	v_lshl_add_u32 v11, v11, 23, v13
	v_or3_b32 v10, v12, v11, v10
.LBB16_132:
	s_or_b64 exec, exec, s[6:7]
	s_movk_i32 s4, 0x7f
	v_cmp_gt_i16_sdwa s[6:7], v2, s4 src0_sel:BYTE_0 src1_sel:DWORD
	s_mov_b64 s[4:5], 0
                                        ; implicit-def: $sgpr10
	s_and_saveexec_b64 s[8:9], s[6:7]
	s_xor_b64 s[6:7], exec, s[8:9]
	s_cbranch_execnz .LBB16_2181
; %bb.133:
	s_or_saveexec_b64 s[6:7], s[6:7]
	v_mov_b32_e32 v11, s10
	s_xor_b64 exec, exec, s[6:7]
	s_cbranch_execnz .LBB16_2184
.LBB16_134:
	s_or_b64 exec, exec, s[6:7]
	s_and_saveexec_b64 s[6:7], s[4:5]
	s_cbranch_execz .LBB16_136
.LBB16_135:
	v_and_b32_e32 v11, 7, v2
	v_ffbh_u32_e32 v13, v11
	v_min_u32_e32 v13, 32, v13
	v_lshrrev_b16_e32 v12, 3, v2
	v_subrev_u32_e32 v14, 28, v13
	v_and_b32_e32 v12, 15, v12
	v_lshlrev_b32_e32 v14, v14, v2
	v_sub_u32_e32 v13, 29, v13
	v_and_b32_e32 v14, 7, v14
	v_cmp_eq_u16_e32 vcc, 0, v12
	v_cndmask_b32_e32 v11, v11, v14, vcc
	v_cndmask_b32_e32 v12, v12, v13, vcc
	v_lshlrev_b32_e32 v13, 24, v2
	v_mov_b32_e32 v14, 0x3b800000
	v_lshlrev_b32_e32 v11, 20, v11
	v_and_b32_e32 v13, 0x80000000, v13
	v_lshl_add_u32 v12, v12, 23, v14
	v_or3_b32 v11, v13, v12, v11
.LBB16_136:
	s_or_b64 exec, exec, s[6:7]
	s_nop 0
	v_mfma_f32_16x16x4f32 a[0:3], v10, v11, a[0:3]
	v_lshrrev_b32_e32 v11, 8, v6
	s_movk_i32 s4, 0x7f
	v_cmp_gt_i16_sdwa s[6:7], v11, s4 src0_sel:BYTE_0 src1_sel:DWORD
	s_mov_b64 s[4:5], 0
                                        ; implicit-def: $sgpr10
	s_and_saveexec_b64 s[8:9], s[6:7]
	s_xor_b64 s[6:7], exec, s[8:9]
	s_cbranch_execnz .LBB16_2185
; %bb.137:
	s_or_saveexec_b64 s[6:7], s[6:7]
	v_mov_b32_e32 v10, s10
	s_xor_b64 exec, exec, s[6:7]
	s_cbranch_execnz .LBB16_2188
.LBB16_138:
	s_or_b64 exec, exec, s[6:7]
	s_and_saveexec_b64 s[6:7], s[4:5]
	s_cbranch_execz .LBB16_140
.LBB16_139:
	v_bfe_u32 v10, v6, 8, 3
	v_ffbh_u32_e32 v13, v10
	v_min_u32_e32 v13, 32, v13
	v_lshrrev_b16_e32 v12, 3, v11
	v_subrev_u32_e32 v14, 28, v13
	v_and_b32_e32 v12, 15, v12
	v_lshlrev_b32_e32 v11, v14, v11
	v_sub_u32_e32 v13, 29, v13
	v_and_b32_e32 v11, 7, v11
	v_cmp_eq_u16_e32 vcc, 0, v12
	v_cndmask_b32_e32 v10, v10, v11, vcc
	v_cndmask_b32_e32 v11, v12, v13, vcc
	v_lshlrev_b32_e32 v12, 16, v6
	v_mov_b32_e32 v13, 0x3b800000
	v_lshlrev_b32_e32 v10, 20, v10
	v_and_b32_e32 v12, 0x80000000, v12
	v_lshl_add_u32 v11, v11, 23, v13
	v_or3_b32 v10, v12, v11, v10
.LBB16_140:
	s_or_b64 exec, exec, s[6:7]
	v_lshrrev_b32_e32 v11, 8, v2
	s_movk_i32 s4, 0x7f
	v_cmp_gt_i16_sdwa s[6:7], v11, s4 src0_sel:BYTE_0 src1_sel:DWORD
	s_mov_b64 s[4:5], 0
                                        ; implicit-def: $sgpr10
	s_and_saveexec_b64 s[8:9], s[6:7]
	s_xor_b64 s[6:7], exec, s[8:9]
	s_cbranch_execnz .LBB16_2189
; %bb.141:
	s_or_saveexec_b64 s[6:7], s[6:7]
	v_mov_b32_e32 v12, s10
	s_xor_b64 exec, exec, s[6:7]
	s_cbranch_execnz .LBB16_2192
.LBB16_142:
	s_or_b64 exec, exec, s[6:7]
	s_and_saveexec_b64 s[6:7], s[4:5]
	s_cbranch_execz .LBB16_144
.LBB16_143:
	v_bfe_u32 v12, v2, 8, 3
	v_ffbh_u32_e32 v14, v12
	v_min_u32_e32 v14, 32, v14
	v_lshrrev_b16_e32 v13, 3, v11
	v_subrev_u32_e32 v15, 28, v14
	v_and_b32_e32 v13, 15, v13
	v_lshlrev_b32_e32 v11, v15, v11
	v_sub_u32_e32 v14, 29, v14
	v_and_b32_e32 v11, 7, v11
	v_cmp_eq_u16_e32 vcc, 0, v13
	v_cndmask_b32_e32 v11, v12, v11, vcc
	v_cndmask_b32_e32 v12, v13, v14, vcc
	v_lshlrev_b32_e32 v13, 16, v2
	v_mov_b32_e32 v14, 0x3b800000
	v_lshlrev_b32_e32 v11, 20, v11
	v_and_b32_e32 v13, 0x80000000, v13
	v_lshl_add_u32 v12, v12, 23, v14
	v_or3_b32 v12, v13, v12, v11
.LBB16_144:
	s_or_b64 exec, exec, s[6:7]
	s_nop 0
	v_mfma_f32_16x16x4f32 a[0:3], v10, v12, a[0:3]
	s_movk_i32 s4, 0xff
	v_and_b32_sdwa v11, v6, s4 dst_sel:DWORD dst_unused:UNUSED_PAD src0_sel:WORD_1 src1_sel:DWORD
	s_movk_i32 s4, 0x7f
	v_cmp_lt_i16_e32 vcc, s4, v11
	s_mov_b64 s[4:5], 0
                                        ; implicit-def: $sgpr10
	s_and_saveexec_b64 s[6:7], vcc
	s_xor_b64 s[6:7], exec, s[6:7]
	s_cbranch_execnz .LBB16_2193
; %bb.145:
	s_or_saveexec_b64 s[6:7], s[6:7]
	v_mov_b32_e32 v10, s10
	s_xor_b64 exec, exec, s[6:7]
	s_cbranch_execnz .LBB16_2196
.LBB16_146:
	s_or_b64 exec, exec, s[6:7]
	s_and_saveexec_b64 s[6:7], s[4:5]
	s_cbranch_execz .LBB16_148
.LBB16_147:
	v_bfe_u32 v10, v6, 16, 3
	v_ffbh_u32_e32 v13, v10
	v_min_u32_e32 v13, 32, v13
	v_lshrrev_b32_e32 v11, 19, v6
	v_subrev_u32_e32 v14, 28, v13
	v_and_b32_e32 v11, 15, v11
	v_lshlrev_b32_sdwa v14, v14, v6 dst_sel:DWORD dst_unused:UNUSED_PAD src0_sel:DWORD src1_sel:WORD_1
	v_bfe_u32 v12, v6, 19, 4
	v_sub_u32_e32 v13, 29, v13
	v_and_b32_e32 v14, 7, v14
	v_cmp_eq_u16_e32 vcc, 0, v11
	v_cndmask_b32_e32 v10, v10, v14, vcc
	v_cndmask_b32_e32 v11, v12, v13, vcc
	v_lshlrev_b32_e32 v12, 8, v6
	v_mov_b32_e32 v13, 0x3b800000
	v_lshlrev_b32_e32 v10, 20, v10
	v_and_b32_e32 v12, 0x80000000, v12
	v_lshl_add_u32 v11, v11, 23, v13
	v_or3_b32 v10, v12, v11, v10
.LBB16_148:
	s_or_b64 exec, exec, s[6:7]
	s_movk_i32 s4, 0xff
	v_and_b32_sdwa v11, v2, s4 dst_sel:DWORD dst_unused:UNUSED_PAD src0_sel:WORD_1 src1_sel:DWORD
	s_movk_i32 s4, 0x7f
	v_cmp_lt_i16_e32 vcc, s4, v11
	s_mov_b64 s[4:5], 0
                                        ; implicit-def: $sgpr10
	s_and_saveexec_b64 s[6:7], vcc
	s_xor_b64 s[6:7], exec, s[6:7]
	s_cbranch_execnz .LBB16_2197
; %bb.149:
	s_or_saveexec_b64 s[6:7], s[6:7]
	v_mov_b32_e32 v12, s10
	s_xor_b64 exec, exec, s[6:7]
	s_cbranch_execnz .LBB16_2200
.LBB16_150:
	s_or_b64 exec, exec, s[6:7]
	s_and_saveexec_b64 s[6:7], s[4:5]
	s_cbranch_execz .LBB16_152
.LBB16_151:
	v_bfe_u32 v11, v2, 16, 3
	v_ffbh_u32_e32 v14, v11
	v_min_u32_e32 v14, 32, v14
	v_lshrrev_b32_e32 v12, 19, v2
	v_subrev_u32_e32 v15, 28, v14
	v_and_b32_e32 v12, 15, v12
	v_lshlrev_b32_sdwa v15, v15, v2 dst_sel:DWORD dst_unused:UNUSED_PAD src0_sel:DWORD src1_sel:WORD_1
	v_bfe_u32 v13, v2, 19, 4
	v_sub_u32_e32 v14, 29, v14
	v_and_b32_e32 v15, 7, v15
	v_cmp_eq_u16_e32 vcc, 0, v12
	v_cndmask_b32_e32 v11, v11, v15, vcc
	v_cndmask_b32_e32 v12, v13, v14, vcc
	v_lshlrev_b32_e32 v13, 8, v2
	v_mov_b32_e32 v14, 0x3b800000
	v_lshlrev_b32_e32 v11, 20, v11
	v_and_b32_e32 v13, 0x80000000, v13
	v_lshl_add_u32 v12, v12, 23, v14
	v_or3_b32 v12, v13, v12, v11
.LBB16_152:
	s_or_b64 exec, exec, s[6:7]
	s_nop 0
	v_mfma_f32_16x16x4f32 a[0:3], v10, v12, a[0:3]
	s_movk_i32 s4, 0x7f
	v_cmp_gt_i16_sdwa s[6:7], v6, s4 src0_sel:BYTE_3 src1_sel:DWORD
	s_mov_b64 s[4:5], 0
                                        ; implicit-def: $sgpr10
	s_and_saveexec_b64 s[8:9], s[6:7]
	s_xor_b64 s[6:7], exec, s[8:9]
	s_cbranch_execnz .LBB16_2201
; %bb.153:
	s_or_saveexec_b64 s[6:7], s[6:7]
	v_mov_b32_e32 v10, s10
	s_xor_b64 exec, exec, s[6:7]
	s_cbranch_execnz .LBB16_2204
.LBB16_154:
	s_or_b64 exec, exec, s[6:7]
	s_and_saveexec_b64 s[6:7], s[4:5]
	s_cbranch_execz .LBB16_156
.LBB16_155:
	v_bfe_u32 v10, v6, 24, 3
	v_ffbh_u32_e32 v14, v10
	v_min_u32_e32 v14, 32, v14
	v_lshrrev_b32_e32 v12, 27, v6
	v_subrev_u32_e32 v15, 28, v14
	v_and_b32_e32 v11, 0x80000000, v6
	v_and_b32_e32 v12, 15, v12
	v_bfe_u32 v13, v6, 27, 4
	v_lshlrev_b32_sdwa v6, v15, v6 dst_sel:DWORD dst_unused:UNUSED_PAD src0_sel:DWORD src1_sel:BYTE_3
	v_sub_u32_e32 v14, 29, v14
	v_and_b32_e32 v6, 7, v6
	v_cmp_eq_u16_e32 vcc, 0, v12
	v_cndmask_b32_e32 v6, v10, v6, vcc
	v_cndmask_b32_e32 v10, v13, v14, vcc
	v_mov_b32_e32 v12, 0x3b800000
	v_lshlrev_b32_e32 v6, 20, v6
	v_lshl_add_u32 v10, v10, 23, v12
	v_or3_b32 v10, v11, v10, v6
.LBB16_156:
	s_or_b64 exec, exec, s[6:7]
	s_movk_i32 s4, 0x7f
	v_cmp_gt_i16_sdwa s[6:7], v2, s4 src0_sel:BYTE_3 src1_sel:DWORD
	s_mov_b64 s[4:5], 0
                                        ; implicit-def: $sgpr10
	s_and_saveexec_b64 s[8:9], s[6:7]
	s_xor_b64 s[6:7], exec, s[8:9]
	s_cbranch_execnz .LBB16_2205
; %bb.157:
	s_or_saveexec_b64 s[6:7], s[6:7]
	v_mov_b32_e32 v6, s10
	s_xor_b64 exec, exec, s[6:7]
	s_cbranch_execnz .LBB16_2208
.LBB16_158:
	s_or_b64 exec, exec, s[6:7]
	s_and_saveexec_b64 s[6:7], s[4:5]
	s_cbranch_execz .LBB16_160
.LBB16_159:
	v_bfe_u32 v6, v2, 24, 3
	v_ffbh_u32_e32 v14, v6
	v_min_u32_e32 v14, 32, v14
	v_lshrrev_b32_e32 v12, 27, v2
	v_subrev_u32_e32 v15, 28, v14
	v_and_b32_e32 v11, 0x80000000, v2
	v_and_b32_e32 v12, 15, v12
	v_bfe_u32 v13, v2, 27, 4
	v_lshlrev_b32_sdwa v2, v15, v2 dst_sel:DWORD dst_unused:UNUSED_PAD src0_sel:DWORD src1_sel:BYTE_3
	v_sub_u32_e32 v14, 29, v14
	v_and_b32_e32 v2, 7, v2
	v_cmp_eq_u16_e32 vcc, 0, v12
	v_cndmask_b32_e32 v2, v6, v2, vcc
	v_cndmask_b32_e32 v6, v13, v14, vcc
	v_mov_b32_e32 v12, 0x3b800000
	v_lshlrev_b32_e32 v2, 20, v2
	v_lshl_add_u32 v6, v6, 23, v12
	v_or3_b32 v6, v11, v6, v2
.LBB16_160:
	s_or_b64 exec, exec, s[6:7]
	s_nop 0
	v_mfma_f32_16x16x4f32 a[0:3], v10, v6, a[0:3]
	s_movk_i32 s4, 0x7f
	v_cmp_gt_i16_sdwa s[6:7], v7, s4 src0_sel:BYTE_0 src1_sel:DWORD
	s_mov_b64 s[4:5], 0
                                        ; implicit-def: $sgpr10
	s_and_saveexec_b64 s[8:9], s[6:7]
	s_xor_b64 s[6:7], exec, s[8:9]
	s_cbranch_execnz .LBB16_2209
; %bb.161:
	s_or_saveexec_b64 s[6:7], s[6:7]
	v_mov_b32_e32 v2, s10
	s_xor_b64 exec, exec, s[6:7]
	s_cbranch_execnz .LBB16_2212
.LBB16_162:
	s_or_b64 exec, exec, s[6:7]
	s_and_saveexec_b64 s[6:7], s[4:5]
	s_cbranch_execz .LBB16_164
.LBB16_163:
	v_and_b32_e32 v2, 7, v7
	v_ffbh_u32_e32 v10, v2
	v_min_u32_e32 v10, 32, v10
	v_lshrrev_b16_e32 v6, 3, v7
	v_subrev_u32_e32 v11, 28, v10
	v_and_b32_e32 v6, 15, v6
	v_lshlrev_b32_e32 v11, v11, v7
	v_sub_u32_e32 v10, 29, v10
	v_and_b32_e32 v11, 7, v11
	v_cmp_eq_u16_e32 vcc, 0, v6
	v_cndmask_b32_e32 v2, v2, v11, vcc
	v_cndmask_b32_e32 v6, v6, v10, vcc
	v_lshlrev_b32_e32 v10, 24, v7
	v_mov_b32_e32 v11, 0x3b800000
	v_lshlrev_b32_e32 v2, 20, v2
	v_and_b32_e32 v10, 0x80000000, v10
	v_lshl_add_u32 v6, v6, 23, v11
	v_or3_b32 v2, v10, v6, v2
.LBB16_164:
	s_or_b64 exec, exec, s[6:7]
	s_movk_i32 s4, 0x7f
	v_cmp_gt_i16_sdwa s[6:7], v3, s4 src0_sel:BYTE_0 src1_sel:DWORD
	s_mov_b64 s[4:5], 0
                                        ; implicit-def: $sgpr10
	s_and_saveexec_b64 s[8:9], s[6:7]
	s_xor_b64 s[6:7], exec, s[8:9]
	s_cbranch_execnz .LBB16_2213
; %bb.165:
	s_or_saveexec_b64 s[6:7], s[6:7]
	v_mov_b32_e32 v6, s10
	s_xor_b64 exec, exec, s[6:7]
	s_cbranch_execnz .LBB16_2216
.LBB16_166:
	s_or_b64 exec, exec, s[6:7]
	s_and_saveexec_b64 s[6:7], s[4:5]
	s_cbranch_execz .LBB16_168
.LBB16_167:
	v_and_b32_e32 v6, 7, v3
	v_ffbh_u32_e32 v11, v6
	v_min_u32_e32 v11, 32, v11
	v_lshrrev_b16_e32 v10, 3, v3
	v_subrev_u32_e32 v12, 28, v11
	v_and_b32_e32 v10, 15, v10
	v_lshlrev_b32_e32 v12, v12, v3
	v_sub_u32_e32 v11, 29, v11
	v_and_b32_e32 v12, 7, v12
	v_cmp_eq_u16_e32 vcc, 0, v10
	v_cndmask_b32_e32 v6, v6, v12, vcc
	v_cndmask_b32_e32 v10, v10, v11, vcc
	v_lshlrev_b32_e32 v11, 24, v3
	v_mov_b32_e32 v12, 0x3b800000
	v_lshlrev_b32_e32 v6, 20, v6
	v_and_b32_e32 v11, 0x80000000, v11
	v_lshl_add_u32 v10, v10, 23, v12
	v_or3_b32 v6, v11, v10, v6
.LBB16_168:
	s_or_b64 exec, exec, s[6:7]
	s_nop 0
	v_mfma_f32_16x16x4f32 a[0:3], v2, v6, a[0:3]
	v_lshrrev_b32_e32 v6, 8, v7
	s_movk_i32 s4, 0x7f
	v_cmp_gt_i16_sdwa s[6:7], v6, s4 src0_sel:BYTE_0 src1_sel:DWORD
	s_mov_b64 s[4:5], 0
                                        ; implicit-def: $sgpr10
	s_and_saveexec_b64 s[8:9], s[6:7]
	s_xor_b64 s[6:7], exec, s[8:9]
	s_cbranch_execnz .LBB16_2217
; %bb.169:
	s_or_saveexec_b64 s[6:7], s[6:7]
	v_mov_b32_e32 v2, s10
	s_xor_b64 exec, exec, s[6:7]
	s_cbranch_execnz .LBB16_2220
.LBB16_170:
	s_or_b64 exec, exec, s[6:7]
	s_and_saveexec_b64 s[6:7], s[4:5]
	s_cbranch_execz .LBB16_172
.LBB16_171:
	v_bfe_u32 v2, v7, 8, 3
	v_ffbh_u32_e32 v11, v2
	v_min_u32_e32 v11, 32, v11
	v_lshrrev_b16_e32 v10, 3, v6
	v_subrev_u32_e32 v12, 28, v11
	v_and_b32_e32 v10, 15, v10
	v_lshlrev_b32_e32 v6, v12, v6
	v_sub_u32_e32 v11, 29, v11
	v_and_b32_e32 v6, 7, v6
	v_cmp_eq_u16_e32 vcc, 0, v10
	v_cndmask_b32_e32 v2, v2, v6, vcc
	v_cndmask_b32_e32 v6, v10, v11, vcc
	v_lshlrev_b32_e32 v10, 16, v7
	v_mov_b32_e32 v11, 0x3b800000
	v_lshlrev_b32_e32 v2, 20, v2
	v_and_b32_e32 v10, 0x80000000, v10
	v_lshl_add_u32 v6, v6, 23, v11
	v_or3_b32 v2, v10, v6, v2
.LBB16_172:
	s_or_b64 exec, exec, s[6:7]
	v_lshrrev_b32_e32 v6, 8, v3
	s_movk_i32 s4, 0x7f
	v_cmp_gt_i16_sdwa s[6:7], v6, s4 src0_sel:BYTE_0 src1_sel:DWORD
	s_mov_b64 s[4:5], 0
                                        ; implicit-def: $sgpr10
	s_and_saveexec_b64 s[8:9], s[6:7]
	s_xor_b64 s[6:7], exec, s[8:9]
	s_cbranch_execnz .LBB16_2221
; %bb.173:
	s_or_saveexec_b64 s[6:7], s[6:7]
	v_mov_b32_e32 v10, s10
	s_xor_b64 exec, exec, s[6:7]
	s_cbranch_execnz .LBB16_2224
.LBB16_174:
	s_or_b64 exec, exec, s[6:7]
	s_and_saveexec_b64 s[6:7], s[4:5]
	s_cbranch_execz .LBB16_176
.LBB16_175:
	v_bfe_u32 v10, v3, 8, 3
	v_ffbh_u32_e32 v12, v10
	v_min_u32_e32 v12, 32, v12
	v_lshrrev_b16_e32 v11, 3, v6
	v_subrev_u32_e32 v13, 28, v12
	v_and_b32_e32 v11, 15, v11
	v_lshlrev_b32_e32 v6, v13, v6
	v_sub_u32_e32 v12, 29, v12
	v_and_b32_e32 v6, 7, v6
	v_cmp_eq_u16_e32 vcc, 0, v11
	v_cndmask_b32_e32 v6, v10, v6, vcc
	v_cndmask_b32_e32 v10, v11, v12, vcc
	v_lshlrev_b32_e32 v11, 16, v3
	v_mov_b32_e32 v12, 0x3b800000
	v_lshlrev_b32_e32 v6, 20, v6
	v_and_b32_e32 v11, 0x80000000, v11
	v_lshl_add_u32 v10, v10, 23, v12
	v_or3_b32 v10, v11, v10, v6
.LBB16_176:
	s_or_b64 exec, exec, s[6:7]
	s_nop 0
	v_mfma_f32_16x16x4f32 a[0:3], v2, v10, a[0:3]
	s_movk_i32 s4, 0xff
	v_and_b32_sdwa v6, v7, s4 dst_sel:DWORD dst_unused:UNUSED_PAD src0_sel:WORD_1 src1_sel:DWORD
	s_movk_i32 s4, 0x7f
	v_cmp_lt_i16_e32 vcc, s4, v6
	s_mov_b64 s[4:5], 0
                                        ; implicit-def: $sgpr10
	s_and_saveexec_b64 s[6:7], vcc
	s_xor_b64 s[6:7], exec, s[6:7]
	s_cbranch_execnz .LBB16_2225
; %bb.177:
	s_or_saveexec_b64 s[6:7], s[6:7]
	v_mov_b32_e32 v2, s10
	s_xor_b64 exec, exec, s[6:7]
	s_cbranch_execnz .LBB16_2228
.LBB16_178:
	s_or_b64 exec, exec, s[6:7]
	s_and_saveexec_b64 s[6:7], s[4:5]
	s_cbranch_execz .LBB16_180
.LBB16_179:
	v_bfe_u32 v2, v7, 16, 3
	v_ffbh_u32_e32 v11, v2
	v_min_u32_e32 v11, 32, v11
	v_lshrrev_b32_e32 v6, 19, v7
	v_subrev_u32_e32 v12, 28, v11
	v_and_b32_e32 v6, 15, v6
	v_lshlrev_b32_sdwa v12, v12, v7 dst_sel:DWORD dst_unused:UNUSED_PAD src0_sel:DWORD src1_sel:WORD_1
	v_bfe_u32 v10, v7, 19, 4
	v_sub_u32_e32 v11, 29, v11
	v_and_b32_e32 v12, 7, v12
	v_cmp_eq_u16_e32 vcc, 0, v6
	v_cndmask_b32_e32 v2, v2, v12, vcc
	v_cndmask_b32_e32 v6, v10, v11, vcc
	v_lshlrev_b32_e32 v10, 8, v7
	v_mov_b32_e32 v11, 0x3b800000
	v_lshlrev_b32_e32 v2, 20, v2
	v_and_b32_e32 v10, 0x80000000, v10
	v_lshl_add_u32 v6, v6, 23, v11
	v_or3_b32 v2, v10, v6, v2
.LBB16_180:
	s_or_b64 exec, exec, s[6:7]
	s_movk_i32 s4, 0xff
	v_and_b32_sdwa v6, v3, s4 dst_sel:DWORD dst_unused:UNUSED_PAD src0_sel:WORD_1 src1_sel:DWORD
	s_movk_i32 s4, 0x7f
	v_cmp_lt_i16_e32 vcc, s4, v6
	s_mov_b64 s[4:5], 0
                                        ; implicit-def: $sgpr10
	s_and_saveexec_b64 s[6:7], vcc
	s_xor_b64 s[6:7], exec, s[6:7]
	s_cbranch_execnz .LBB16_2229
; %bb.181:
	s_or_saveexec_b64 s[6:7], s[6:7]
	v_mov_b32_e32 v10, s10
	s_xor_b64 exec, exec, s[6:7]
	s_cbranch_execnz .LBB16_2232
.LBB16_182:
	s_or_b64 exec, exec, s[6:7]
	s_and_saveexec_b64 s[6:7], s[4:5]
	s_cbranch_execz .LBB16_184
.LBB16_183:
	v_bfe_u32 v6, v3, 16, 3
	v_ffbh_u32_e32 v12, v6
	v_min_u32_e32 v12, 32, v12
	v_lshrrev_b32_e32 v10, 19, v3
	v_subrev_u32_e32 v13, 28, v12
	v_and_b32_e32 v10, 15, v10
	v_lshlrev_b32_sdwa v13, v13, v3 dst_sel:DWORD dst_unused:UNUSED_PAD src0_sel:DWORD src1_sel:WORD_1
	v_bfe_u32 v11, v3, 19, 4
	v_sub_u32_e32 v12, 29, v12
	v_and_b32_e32 v13, 7, v13
	v_cmp_eq_u16_e32 vcc, 0, v10
	v_cndmask_b32_e32 v6, v6, v13, vcc
	v_cndmask_b32_e32 v10, v11, v12, vcc
	v_lshlrev_b32_e32 v11, 8, v3
	v_mov_b32_e32 v12, 0x3b800000
	v_lshlrev_b32_e32 v6, 20, v6
	v_and_b32_e32 v11, 0x80000000, v11
	v_lshl_add_u32 v10, v10, 23, v12
	v_or3_b32 v10, v11, v10, v6
.LBB16_184:
	s_or_b64 exec, exec, s[6:7]
	s_nop 0
	v_mfma_f32_16x16x4f32 a[0:3], v2, v10, a[0:3]
	s_movk_i32 s4, 0x7f
	v_cmp_gt_i16_sdwa s[6:7], v7, s4 src0_sel:BYTE_3 src1_sel:DWORD
	s_mov_b64 s[4:5], 0
                                        ; implicit-def: $sgpr10
	s_and_saveexec_b64 s[8:9], s[6:7]
	s_xor_b64 s[6:7], exec, s[8:9]
	s_cbranch_execnz .LBB16_2233
; %bb.185:
	s_or_saveexec_b64 s[6:7], s[6:7]
	v_mov_b32_e32 v2, s10
	s_xor_b64 exec, exec, s[6:7]
	s_cbranch_execnz .LBB16_2236
.LBB16_186:
	s_or_b64 exec, exec, s[6:7]
	s_and_saveexec_b64 s[6:7], s[4:5]
	s_cbranch_execz .LBB16_188
.LBB16_187:
	v_bfe_u32 v2, v7, 24, 3
	v_ffbh_u32_e32 v12, v2
	v_min_u32_e32 v12, 32, v12
	v_lshrrev_b32_e32 v10, 27, v7
	v_subrev_u32_e32 v13, 28, v12
	v_and_b32_e32 v6, 0x80000000, v7
	v_and_b32_e32 v10, 15, v10
	v_bfe_u32 v11, v7, 27, 4
	v_lshlrev_b32_sdwa v7, v13, v7 dst_sel:DWORD dst_unused:UNUSED_PAD src0_sel:DWORD src1_sel:BYTE_3
	v_sub_u32_e32 v12, 29, v12
	v_and_b32_e32 v7, 7, v7
	v_cmp_eq_u16_e32 vcc, 0, v10
	v_cndmask_b32_e32 v2, v2, v7, vcc
	v_cndmask_b32_e32 v7, v11, v12, vcc
	v_mov_b32_e32 v10, 0x3b800000
	v_lshlrev_b32_e32 v2, 20, v2
	v_lshl_add_u32 v7, v7, 23, v10
	v_or3_b32 v2, v6, v7, v2
.LBB16_188:
	s_or_b64 exec, exec, s[6:7]
	s_movk_i32 s4, 0x7f
	v_cmp_gt_i16_sdwa s[6:7], v3, s4 src0_sel:BYTE_3 src1_sel:DWORD
	s_mov_b64 s[4:5], 0
                                        ; implicit-def: $sgpr10
	s_and_saveexec_b64 s[8:9], s[6:7]
	s_xor_b64 s[6:7], exec, s[8:9]
	s_cbranch_execnz .LBB16_2237
; %bb.189:
	s_or_saveexec_b64 s[6:7], s[6:7]
	v_mov_b32_e32 v6, s10
	s_xor_b64 exec, exec, s[6:7]
	s_cbranch_execnz .LBB16_2240
.LBB16_190:
	s_or_b64 exec, exec, s[6:7]
	s_and_saveexec_b64 s[6:7], s[4:5]
	s_cbranch_execz .LBB16_192
.LBB16_191:
	v_bfe_u32 v6, v3, 24, 3
	v_ffbh_u32_e32 v12, v6
	v_min_u32_e32 v12, 32, v12
	v_lshrrev_b32_e32 v10, 27, v3
	v_subrev_u32_e32 v13, 28, v12
	v_and_b32_e32 v7, 0x80000000, v3
	v_and_b32_e32 v10, 15, v10
	v_bfe_u32 v11, v3, 27, 4
	v_lshlrev_b32_sdwa v3, v13, v3 dst_sel:DWORD dst_unused:UNUSED_PAD src0_sel:DWORD src1_sel:BYTE_3
	v_sub_u32_e32 v12, 29, v12
	v_and_b32_e32 v3, 7, v3
	v_cmp_eq_u16_e32 vcc, 0, v10
	v_cndmask_b32_e32 v3, v6, v3, vcc
	v_cndmask_b32_e32 v6, v11, v12, vcc
	v_mov_b32_e32 v10, 0x3b800000
	v_lshlrev_b32_e32 v3, 20, v3
	v_lshl_add_u32 v6, v6, 23, v10
	v_or3_b32 v6, v7, v6, v3
.LBB16_192:
	s_or_b64 exec, exec, s[6:7]
	s_nop 0
	v_mfma_f32_16x16x4f32 a[0:3], v2, v6, a[0:3]
	s_movk_i32 s4, 0x7f
	v_cmp_gt_i16_sdwa s[6:7], v8, s4 src0_sel:BYTE_0 src1_sel:DWORD
	s_mov_b64 s[4:5], 0
                                        ; implicit-def: $sgpr10
	s_and_saveexec_b64 s[8:9], s[6:7]
	s_xor_b64 s[6:7], exec, s[8:9]
	s_cbranch_execnz .LBB16_2241
; %bb.193:
	s_or_saveexec_b64 s[6:7], s[6:7]
	v_mov_b32_e32 v2, s10
	s_xor_b64 exec, exec, s[6:7]
	s_cbranch_execnz .LBB16_2244
.LBB16_194:
	s_or_b64 exec, exec, s[6:7]
	s_and_saveexec_b64 s[6:7], s[4:5]
	s_cbranch_execz .LBB16_196
.LBB16_195:
	v_and_b32_e32 v2, 7, v8
	v_ffbh_u32_e32 v6, v2
	v_min_u32_e32 v6, 32, v6
	v_lshrrev_b16_e32 v3, 3, v8
	v_subrev_u32_e32 v7, 28, v6
	v_and_b32_e32 v3, 15, v3
	v_lshlrev_b32_e32 v7, v7, v8
	v_sub_u32_e32 v6, 29, v6
	v_and_b32_e32 v7, 7, v7
	v_cmp_eq_u16_e32 vcc, 0, v3
	v_cndmask_b32_e32 v2, v2, v7, vcc
	v_cndmask_b32_e32 v3, v3, v6, vcc
	v_lshlrev_b32_e32 v6, 24, v8
	v_mov_b32_e32 v7, 0x3b800000
	v_lshlrev_b32_e32 v2, 20, v2
	v_and_b32_e32 v6, 0x80000000, v6
	v_lshl_add_u32 v3, v3, 23, v7
	v_or3_b32 v2, v6, v3, v2
.LBB16_196:
	s_or_b64 exec, exec, s[6:7]
	s_movk_i32 s4, 0x7f
	v_cmp_gt_i16_sdwa s[6:7], v4, s4 src0_sel:BYTE_0 src1_sel:DWORD
	s_mov_b64 s[4:5], 0
                                        ; implicit-def: $sgpr10
	s_and_saveexec_b64 s[8:9], s[6:7]
	s_xor_b64 s[6:7], exec, s[8:9]
	s_cbranch_execnz .LBB16_2245
; %bb.197:
	s_or_saveexec_b64 s[6:7], s[6:7]
	v_mov_b32_e32 v3, s10
	s_xor_b64 exec, exec, s[6:7]
	s_cbranch_execnz .LBB16_2248
.LBB16_198:
	s_or_b64 exec, exec, s[6:7]
	s_and_saveexec_b64 s[6:7], s[4:5]
	s_cbranch_execz .LBB16_200
.LBB16_199:
	v_and_b32_e32 v3, 7, v4
	v_ffbh_u32_e32 v7, v3
	v_min_u32_e32 v7, 32, v7
	v_lshrrev_b16_e32 v6, 3, v4
	v_subrev_u32_e32 v10, 28, v7
	v_and_b32_e32 v6, 15, v6
	v_lshlrev_b32_e32 v10, v10, v4
	v_sub_u32_e32 v7, 29, v7
	v_and_b32_e32 v10, 7, v10
	v_cmp_eq_u16_e32 vcc, 0, v6
	v_cndmask_b32_e32 v3, v3, v10, vcc
	v_cndmask_b32_e32 v6, v6, v7, vcc
	v_lshlrev_b32_e32 v7, 24, v4
	v_mov_b32_e32 v10, 0x3b800000
	v_lshlrev_b32_e32 v3, 20, v3
	v_and_b32_e32 v7, 0x80000000, v7
	v_lshl_add_u32 v6, v6, 23, v10
	v_or3_b32 v3, v7, v6, v3
.LBB16_200:
	s_or_b64 exec, exec, s[6:7]
	s_nop 0
	v_mfma_f32_16x16x4f32 a[0:3], v2, v3, a[0:3]
	v_lshrrev_b32_e32 v3, 8, v8
	s_movk_i32 s4, 0x7f
	v_cmp_gt_i16_sdwa s[6:7], v3, s4 src0_sel:BYTE_0 src1_sel:DWORD
	s_mov_b64 s[4:5], 0
                                        ; implicit-def: $sgpr10
	s_and_saveexec_b64 s[8:9], s[6:7]
	s_xor_b64 s[6:7], exec, s[8:9]
	s_cbranch_execnz .LBB16_2249
; %bb.201:
	s_or_saveexec_b64 s[6:7], s[6:7]
	v_mov_b32_e32 v2, s10
	s_xor_b64 exec, exec, s[6:7]
	s_cbranch_execnz .LBB16_2252
.LBB16_202:
	s_or_b64 exec, exec, s[6:7]
	s_and_saveexec_b64 s[6:7], s[4:5]
	s_cbranch_execz .LBB16_204
.LBB16_203:
	v_bfe_u32 v2, v8, 8, 3
	v_ffbh_u32_e32 v7, v2
	v_min_u32_e32 v7, 32, v7
	v_lshrrev_b16_e32 v6, 3, v3
	v_subrev_u32_e32 v10, 28, v7
	v_and_b32_e32 v6, 15, v6
	v_lshlrev_b32_e32 v3, v10, v3
	v_sub_u32_e32 v7, 29, v7
	v_and_b32_e32 v3, 7, v3
	v_cmp_eq_u16_e32 vcc, 0, v6
	v_cndmask_b32_e32 v2, v2, v3, vcc
	v_cndmask_b32_e32 v3, v6, v7, vcc
	v_lshlrev_b32_e32 v6, 16, v8
	v_mov_b32_e32 v7, 0x3b800000
	v_lshlrev_b32_e32 v2, 20, v2
	v_and_b32_e32 v6, 0x80000000, v6
	v_lshl_add_u32 v3, v3, 23, v7
	v_or3_b32 v2, v6, v3, v2
.LBB16_204:
	s_or_b64 exec, exec, s[6:7]
	v_lshrrev_b32_e32 v3, 8, v4
	s_movk_i32 s4, 0x7f
	v_cmp_gt_i16_sdwa s[6:7], v3, s4 src0_sel:BYTE_0 src1_sel:DWORD
	s_mov_b64 s[4:5], 0
                                        ; implicit-def: $sgpr10
	s_and_saveexec_b64 s[8:9], s[6:7]
	s_xor_b64 s[6:7], exec, s[8:9]
	s_cbranch_execnz .LBB16_2253
; %bb.205:
	s_or_saveexec_b64 s[6:7], s[6:7]
	v_mov_b32_e32 v6, s10
	s_xor_b64 exec, exec, s[6:7]
	s_cbranch_execnz .LBB16_2256
.LBB16_206:
	s_or_b64 exec, exec, s[6:7]
	s_and_saveexec_b64 s[6:7], s[4:5]
	s_cbranch_execz .LBB16_208
.LBB16_207:
	v_bfe_u32 v6, v4, 8, 3
	v_ffbh_u32_e32 v10, v6
	v_min_u32_e32 v10, 32, v10
	v_lshrrev_b16_e32 v7, 3, v3
	v_subrev_u32_e32 v11, 28, v10
	v_and_b32_e32 v7, 15, v7
	v_lshlrev_b32_e32 v3, v11, v3
	v_sub_u32_e32 v10, 29, v10
	v_and_b32_e32 v3, 7, v3
	v_cmp_eq_u16_e32 vcc, 0, v7
	v_cndmask_b32_e32 v3, v6, v3, vcc
	v_cndmask_b32_e32 v6, v7, v10, vcc
	v_lshlrev_b32_e32 v7, 16, v4
	v_mov_b32_e32 v10, 0x3b800000
	v_lshlrev_b32_e32 v3, 20, v3
	v_and_b32_e32 v7, 0x80000000, v7
	v_lshl_add_u32 v6, v6, 23, v10
	v_or3_b32 v6, v7, v6, v3
.LBB16_208:
	s_or_b64 exec, exec, s[6:7]
	s_nop 0
	v_mfma_f32_16x16x4f32 a[0:3], v2, v6, a[0:3]
	s_movk_i32 s4, 0xff
	v_and_b32_sdwa v3, v8, s4 dst_sel:DWORD dst_unused:UNUSED_PAD src0_sel:WORD_1 src1_sel:DWORD
	s_movk_i32 s4, 0x7f
	v_cmp_lt_i16_e32 vcc, s4, v3
	s_mov_b64 s[4:5], 0
                                        ; implicit-def: $sgpr10
	s_and_saveexec_b64 s[6:7], vcc
	s_xor_b64 s[6:7], exec, s[6:7]
	s_cbranch_execnz .LBB16_2257
; %bb.209:
	s_or_saveexec_b64 s[6:7], s[6:7]
	v_mov_b32_e32 v2, s10
	s_xor_b64 exec, exec, s[6:7]
	s_cbranch_execnz .LBB16_2260
.LBB16_210:
	s_or_b64 exec, exec, s[6:7]
	s_and_saveexec_b64 s[6:7], s[4:5]
	s_cbranch_execz .LBB16_212
.LBB16_211:
	v_bfe_u32 v2, v8, 16, 3
	v_ffbh_u32_e32 v7, v2
	v_min_u32_e32 v7, 32, v7
	v_lshrrev_b32_e32 v3, 19, v8
	v_subrev_u32_e32 v10, 28, v7
	v_and_b32_e32 v3, 15, v3
	v_lshlrev_b32_sdwa v10, v10, v8 dst_sel:DWORD dst_unused:UNUSED_PAD src0_sel:DWORD src1_sel:WORD_1
	v_bfe_u32 v6, v8, 19, 4
	v_sub_u32_e32 v7, 29, v7
	v_and_b32_e32 v10, 7, v10
	v_cmp_eq_u16_e32 vcc, 0, v3
	v_cndmask_b32_e32 v2, v2, v10, vcc
	v_cndmask_b32_e32 v3, v6, v7, vcc
	v_lshlrev_b32_e32 v6, 8, v8
	v_mov_b32_e32 v7, 0x3b800000
	v_lshlrev_b32_e32 v2, 20, v2
	v_and_b32_e32 v6, 0x80000000, v6
	v_lshl_add_u32 v3, v3, 23, v7
	v_or3_b32 v2, v6, v3, v2
.LBB16_212:
	s_or_b64 exec, exec, s[6:7]
	s_movk_i32 s4, 0xff
	v_and_b32_sdwa v3, v4, s4 dst_sel:DWORD dst_unused:UNUSED_PAD src0_sel:WORD_1 src1_sel:DWORD
	s_movk_i32 s4, 0x7f
	v_cmp_lt_i16_e32 vcc, s4, v3
	s_mov_b64 s[4:5], 0
                                        ; implicit-def: $sgpr10
	s_and_saveexec_b64 s[6:7], vcc
	s_xor_b64 s[6:7], exec, s[6:7]
	s_cbranch_execnz .LBB16_2261
; %bb.213:
	s_or_saveexec_b64 s[6:7], s[6:7]
	v_mov_b32_e32 v6, s10
	s_xor_b64 exec, exec, s[6:7]
	s_cbranch_execnz .LBB16_2264
.LBB16_214:
	s_or_b64 exec, exec, s[6:7]
	s_and_saveexec_b64 s[6:7], s[4:5]
	s_cbranch_execz .LBB16_216
.LBB16_215:
	v_bfe_u32 v3, v4, 16, 3
	v_ffbh_u32_e32 v10, v3
	v_min_u32_e32 v10, 32, v10
	v_lshrrev_b32_e32 v6, 19, v4
	v_subrev_u32_e32 v11, 28, v10
	v_and_b32_e32 v6, 15, v6
	v_lshlrev_b32_sdwa v11, v11, v4 dst_sel:DWORD dst_unused:UNUSED_PAD src0_sel:DWORD src1_sel:WORD_1
	v_bfe_u32 v7, v4, 19, 4
	v_sub_u32_e32 v10, 29, v10
	v_and_b32_e32 v11, 7, v11
	v_cmp_eq_u16_e32 vcc, 0, v6
	v_cndmask_b32_e32 v3, v3, v11, vcc
	v_cndmask_b32_e32 v6, v7, v10, vcc
	v_lshlrev_b32_e32 v7, 8, v4
	v_mov_b32_e32 v10, 0x3b800000
	v_lshlrev_b32_e32 v3, 20, v3
	v_and_b32_e32 v7, 0x80000000, v7
	v_lshl_add_u32 v6, v6, 23, v10
	v_or3_b32 v6, v7, v6, v3
.LBB16_216:
	s_or_b64 exec, exec, s[6:7]
	s_nop 0
	v_mfma_f32_16x16x4f32 a[0:3], v2, v6, a[0:3]
	s_movk_i32 s4, 0x7f
	v_cmp_gt_i16_sdwa s[6:7], v8, s4 src0_sel:BYTE_3 src1_sel:DWORD
	s_mov_b64 s[4:5], 0
                                        ; implicit-def: $sgpr10
	s_and_saveexec_b64 s[8:9], s[6:7]
	s_xor_b64 s[6:7], exec, s[8:9]
	s_cbranch_execnz .LBB16_2265
; %bb.217:
	s_or_saveexec_b64 s[6:7], s[6:7]
	v_mov_b32_e32 v2, s10
	s_xor_b64 exec, exec, s[6:7]
	s_cbranch_execnz .LBB16_2268
.LBB16_218:
	s_or_b64 exec, exec, s[6:7]
	s_and_saveexec_b64 s[6:7], s[4:5]
	s_cbranch_execz .LBB16_220
.LBB16_219:
	v_bfe_u32 v2, v8, 24, 3
	v_ffbh_u32_e32 v10, v2
	v_min_u32_e32 v10, 32, v10
	v_lshrrev_b32_e32 v6, 27, v8
	v_subrev_u32_e32 v11, 28, v10
	v_and_b32_e32 v3, 0x80000000, v8
	v_and_b32_e32 v6, 15, v6
	v_bfe_u32 v7, v8, 27, 4
	v_lshlrev_b32_sdwa v8, v11, v8 dst_sel:DWORD dst_unused:UNUSED_PAD src0_sel:DWORD src1_sel:BYTE_3
	v_sub_u32_e32 v10, 29, v10
	v_and_b32_e32 v8, 7, v8
	v_cmp_eq_u16_e32 vcc, 0, v6
	v_cndmask_b32_e32 v2, v2, v8, vcc
	v_cndmask_b32_e32 v6, v7, v10, vcc
	v_mov_b32_e32 v7, 0x3b800000
	v_lshlrev_b32_e32 v2, 20, v2
	v_lshl_add_u32 v6, v6, 23, v7
	v_or3_b32 v2, v3, v6, v2
.LBB16_220:
	s_or_b64 exec, exec, s[6:7]
	s_movk_i32 s4, 0x7f
	v_cmp_gt_i16_sdwa s[6:7], v4, s4 src0_sel:BYTE_3 src1_sel:DWORD
	s_mov_b64 s[4:5], 0
                                        ; implicit-def: $sgpr10
	s_and_saveexec_b64 s[8:9], s[6:7]
	s_xor_b64 s[6:7], exec, s[8:9]
	s_cbranch_execnz .LBB16_2269
; %bb.221:
	s_or_saveexec_b64 s[6:7], s[6:7]
	v_mov_b32_e32 v3, s10
	s_xor_b64 exec, exec, s[6:7]
	s_cbranch_execnz .LBB16_2272
.LBB16_222:
	s_or_b64 exec, exec, s[6:7]
	s_and_saveexec_b64 s[6:7], s[4:5]
	s_cbranch_execz .LBB16_224
.LBB16_223:
	v_bfe_u32 v3, v4, 24, 3
	v_ffbh_u32_e32 v10, v3
	v_min_u32_e32 v10, 32, v10
	v_lshrrev_b32_e32 v7, 27, v4
	v_subrev_u32_e32 v11, 28, v10
	v_and_b32_e32 v6, 0x80000000, v4
	v_and_b32_e32 v7, 15, v7
	v_bfe_u32 v8, v4, 27, 4
	v_lshlrev_b32_sdwa v4, v11, v4 dst_sel:DWORD dst_unused:UNUSED_PAD src0_sel:DWORD src1_sel:BYTE_3
	v_sub_u32_e32 v10, 29, v10
	v_and_b32_e32 v4, 7, v4
	v_cmp_eq_u16_e32 vcc, 0, v7
	v_cndmask_b32_e32 v3, v3, v4, vcc
	v_cndmask_b32_e32 v4, v8, v10, vcc
	v_mov_b32_e32 v7, 0x3b800000
	v_lshlrev_b32_e32 v3, 20, v3
	v_lshl_add_u32 v4, v4, 23, v7
	v_or3_b32 v3, v6, v4, v3
.LBB16_224:
	s_or_b64 exec, exec, s[6:7]
	s_nop 0
	v_mfma_f32_16x16x4f32 a[0:3], v2, v3, a[0:3]
	s_movk_i32 s4, 0x7f
	v_cmp_gt_i16_sdwa s[6:7], v9, s4 src0_sel:BYTE_0 src1_sel:DWORD
	s_mov_b64 s[4:5], 0
                                        ; implicit-def: $sgpr10
	s_and_saveexec_b64 s[8:9], s[6:7]
	s_xor_b64 s[6:7], exec, s[8:9]
	s_cbranch_execnz .LBB16_2273
; %bb.225:
	s_or_saveexec_b64 s[6:7], s[6:7]
	v_mov_b32_e32 v2, s10
	s_xor_b64 exec, exec, s[6:7]
	s_cbranch_execnz .LBB16_2276
.LBB16_226:
	s_or_b64 exec, exec, s[6:7]
	s_and_saveexec_b64 s[6:7], s[4:5]
	s_cbranch_execz .LBB16_228
.LBB16_227:
	v_mov_b32_e32 v2, 8
	v_and_b32_e32 v3, 7, v9
	v_lshrrev_b32_sdwa v2, v2, v9 dst_sel:BYTE_1 dst_unused:UNUSED_PAD src0_sel:DWORD src1_sel:DWORD
	v_ffbh_u32_e32 v4, v3
	v_or_b32_sdwa v2, v9, v2 dst_sel:DWORD dst_unused:UNUSED_PAD src0_sel:BYTE_0 src1_sel:DWORD
	v_min_u32_e32 v4, 32, v4
	v_lshrrev_b16_e32 v2, 3, v2
	v_subrev_u32_e32 v6, 28, v4
	v_and_b32_e32 v2, 15, v2
	v_lshlrev_b32_e32 v6, v6, v9
	v_sub_u32_e32 v4, 29, v4
	v_and_b32_e32 v6, 7, v6
	v_cmp_eq_u16_e32 vcc, 0, v2
	v_cndmask_b32_e32 v3, v3, v6, vcc
	v_cndmask_b32_e32 v2, v2, v4, vcc
	v_lshlrev_b32_e32 v4, 24, v9
	v_mov_b32_e32 v6, 0x3b800000
	v_lshlrev_b32_e32 v3, 20, v3
	v_and_b32_e32 v4, 0x80000000, v4
	v_lshl_add_u32 v2, v2, 23, v6
	v_or3_b32 v2, v4, v2, v3
.LBB16_228:
	s_or_b64 exec, exec, s[6:7]
	s_movk_i32 s4, 0x7f
	v_cmp_gt_i16_sdwa s[6:7], v5, s4 src0_sel:BYTE_0 src1_sel:DWORD
	s_mov_b64 s[4:5], 0
                                        ; implicit-def: $sgpr10
	s_and_saveexec_b64 s[8:9], s[6:7]
	s_xor_b64 s[6:7], exec, s[8:9]
	s_cbranch_execnz .LBB16_2277
; %bb.229:
	s_or_saveexec_b64 s[6:7], s[6:7]
	v_mov_b32_e32 v3, s10
	s_xor_b64 exec, exec, s[6:7]
	s_cbranch_execnz .LBB16_2280
.LBB16_230:
	s_or_b64 exec, exec, s[6:7]
	s_and_saveexec_b64 s[6:7], s[4:5]
	s_cbranch_execz .LBB16_232
.LBB16_231:
	v_mov_b32_e32 v3, 8
	v_and_b32_e32 v4, 7, v5
	v_lshrrev_b32_sdwa v3, v3, v5 dst_sel:BYTE_1 dst_unused:UNUSED_PAD src0_sel:DWORD src1_sel:DWORD
	v_ffbh_u32_e32 v6, v4
	v_or_b32_sdwa v3, v5, v3 dst_sel:DWORD dst_unused:UNUSED_PAD src0_sel:BYTE_0 src1_sel:DWORD
	v_min_u32_e32 v6, 32, v6
	v_lshrrev_b16_e32 v3, 3, v3
	v_subrev_u32_e32 v7, 28, v6
	v_and_b32_e32 v3, 15, v3
	v_lshlrev_b32_e32 v7, v7, v5
	v_sub_u32_e32 v6, 29, v6
	v_and_b32_e32 v7, 7, v7
	v_cmp_eq_u16_e32 vcc, 0, v3
	v_cndmask_b32_e32 v4, v4, v7, vcc
	v_cndmask_b32_e32 v3, v3, v6, vcc
	v_lshlrev_b32_e32 v6, 24, v5
	v_mov_b32_e32 v7, 0x3b800000
	v_lshlrev_b32_e32 v4, 20, v4
	v_and_b32_e32 v6, 0x80000000, v6
	v_lshl_add_u32 v3, v3, 23, v7
	v_or3_b32 v3, v6, v3, v4
.LBB16_232:
	s_or_b64 exec, exec, s[6:7]
	s_nop 0
	v_mfma_f32_16x16x4f32 a[0:3], v2, v3, a[0:3]
	v_lshrrev_b32_e32 v3, 8, v9
	s_movk_i32 s4, 0x7f
	v_cmp_gt_i16_sdwa s[6:7], v3, s4 src0_sel:BYTE_0 src1_sel:DWORD
	s_mov_b64 s[4:5], 0
                                        ; implicit-def: $sgpr10
	s_and_saveexec_b64 s[8:9], s[6:7]
	s_xor_b64 s[6:7], exec, s[8:9]
	s_cbranch_execnz .LBB16_2281
; %bb.233:
	s_or_saveexec_b64 s[6:7], s[6:7]
	v_mov_b32_e32 v2, s10
	s_xor_b64 exec, exec, s[6:7]
	s_cbranch_execnz .LBB16_2284
.LBB16_234:
	s_or_b64 exec, exec, s[6:7]
	s_and_saveexec_b64 s[6:7], s[4:5]
	s_cbranch_execz .LBB16_236
.LBB16_235:
	v_bfe_u32 v2, v9, 8, 3
	v_ffbh_u32_e32 v6, v2
	v_min_u32_e32 v6, 32, v6
	v_lshrrev_b16_e32 v4, 3, v3
	v_subrev_u32_e32 v7, 28, v6
	v_and_b32_e32 v4, 15, v4
	v_lshlrev_b32_e32 v3, v7, v3
	v_sub_u32_e32 v6, 29, v6
	v_and_b32_e32 v3, 7, v3
	v_cmp_eq_u16_e32 vcc, 0, v4
	v_cndmask_b32_e32 v2, v2, v3, vcc
	v_cndmask_b32_e32 v3, v4, v6, vcc
	v_lshlrev_b32_e32 v4, 16, v9
	v_mov_b32_e32 v6, 0x3b800000
	v_lshlrev_b32_e32 v2, 20, v2
	v_and_b32_e32 v4, 0x80000000, v4
	v_lshl_add_u32 v3, v3, 23, v6
	v_or3_b32 v2, v4, v3, v2
.LBB16_236:
	s_or_b64 exec, exec, s[6:7]
	v_lshrrev_b32_e32 v3, 8, v5
	s_movk_i32 s4, 0x7f
	v_cmp_gt_i16_sdwa s[6:7], v3, s4 src0_sel:BYTE_0 src1_sel:DWORD
	s_mov_b64 s[4:5], 0
                                        ; implicit-def: $sgpr10
	s_and_saveexec_b64 s[8:9], s[6:7]
	s_xor_b64 s[6:7], exec, s[8:9]
	s_cbranch_execnz .LBB16_2285
; %bb.237:
	s_or_saveexec_b64 s[6:7], s[6:7]
	v_mov_b32_e32 v4, s10
	s_xor_b64 exec, exec, s[6:7]
	s_cbranch_execnz .LBB16_2288
.LBB16_238:
	s_or_b64 exec, exec, s[6:7]
	s_and_saveexec_b64 s[6:7], s[4:5]
	s_cbranch_execz .LBB16_240
.LBB16_239:
	v_bfe_u32 v4, v5, 8, 3
	v_ffbh_u32_e32 v7, v4
	v_min_u32_e32 v7, 32, v7
	v_lshrrev_b16_e32 v6, 3, v3
	v_subrev_u32_e32 v8, 28, v7
	v_and_b32_e32 v6, 15, v6
	v_lshlrev_b32_e32 v3, v8, v3
	v_sub_u32_e32 v7, 29, v7
	v_and_b32_e32 v3, 7, v3
	v_cmp_eq_u16_e32 vcc, 0, v6
	v_cndmask_b32_e32 v3, v4, v3, vcc
	v_cndmask_b32_e32 v4, v6, v7, vcc
	v_lshlrev_b32_e32 v6, 16, v5
	v_mov_b32_e32 v7, 0x3b800000
	v_lshlrev_b32_e32 v3, 20, v3
	v_and_b32_e32 v6, 0x80000000, v6
	v_lshl_add_u32 v4, v4, 23, v7
	v_or3_b32 v4, v6, v4, v3
.LBB16_240:
	s_or_b64 exec, exec, s[6:7]
	s_nop 0
	v_mfma_f32_16x16x4f32 a[0:3], v2, v4, a[0:3]
	s_movk_i32 s4, 0xff
	v_and_b32_sdwa v3, v9, s4 dst_sel:DWORD dst_unused:UNUSED_PAD src0_sel:WORD_1 src1_sel:DWORD
	s_movk_i32 s4, 0x7f
	v_cmp_lt_i16_e32 vcc, s4, v3
	s_mov_b64 s[4:5], 0
                                        ; implicit-def: $sgpr10
	s_and_saveexec_b64 s[6:7], vcc
	s_xor_b64 s[6:7], exec, s[6:7]
	s_cbranch_execnz .LBB16_2289
; %bb.241:
	s_or_saveexec_b64 s[6:7], s[6:7]
	v_mov_b32_e32 v2, s10
	s_xor_b64 exec, exec, s[6:7]
	s_cbranch_execnz .LBB16_2292
.LBB16_242:
	s_or_b64 exec, exec, s[6:7]
	s_and_saveexec_b64 s[6:7], s[4:5]
	s_cbranch_execz .LBB16_244
.LBB16_243:
	v_bfe_u32 v2, v9, 16, 3
	v_ffbh_u32_e32 v6, v2
	v_min_u32_e32 v6, 32, v6
	v_lshrrev_b32_e32 v3, 19, v9
	v_subrev_u32_e32 v7, 28, v6
	v_and_b32_e32 v3, 15, v3
	v_lshlrev_b32_sdwa v7, v7, v9 dst_sel:DWORD dst_unused:UNUSED_PAD src0_sel:DWORD src1_sel:WORD_1
	v_bfe_u32 v4, v9, 19, 4
	v_sub_u32_e32 v6, 29, v6
	v_and_b32_e32 v7, 7, v7
	v_cmp_eq_u16_e32 vcc, 0, v3
	v_cndmask_b32_e32 v2, v2, v7, vcc
	v_cndmask_b32_e32 v3, v4, v6, vcc
	v_lshlrev_b32_e32 v4, 8, v9
	v_mov_b32_e32 v6, 0x3b800000
	v_lshlrev_b32_e32 v2, 20, v2
	v_and_b32_e32 v4, 0x80000000, v4
	v_lshl_add_u32 v3, v3, 23, v6
	v_or3_b32 v2, v4, v3, v2
.LBB16_244:
	s_or_b64 exec, exec, s[6:7]
	s_movk_i32 s4, 0xff
	v_and_b32_sdwa v3, v5, s4 dst_sel:DWORD dst_unused:UNUSED_PAD src0_sel:WORD_1 src1_sel:DWORD
	s_movk_i32 s4, 0x7f
	v_cmp_lt_i16_e32 vcc, s4, v3
	s_mov_b64 s[4:5], 0
                                        ; implicit-def: $sgpr10
	s_and_saveexec_b64 s[6:7], vcc
	s_xor_b64 s[6:7], exec, s[6:7]
	s_cbranch_execnz .LBB16_2293
; %bb.245:
	s_or_saveexec_b64 s[6:7], s[6:7]
	v_mov_b32_e32 v4, s10
	s_xor_b64 exec, exec, s[6:7]
	s_cbranch_execnz .LBB16_2296
.LBB16_246:
	s_or_b64 exec, exec, s[6:7]
	s_and_saveexec_b64 s[6:7], s[4:5]
	s_cbranch_execz .LBB16_248
.LBB16_247:
	v_bfe_u32 v3, v5, 16, 3
	v_ffbh_u32_e32 v7, v3
	v_min_u32_e32 v7, 32, v7
	v_lshrrev_b32_e32 v4, 19, v5
	v_subrev_u32_e32 v8, 28, v7
	v_and_b32_e32 v4, 15, v4
	v_lshlrev_b32_sdwa v8, v8, v5 dst_sel:DWORD dst_unused:UNUSED_PAD src0_sel:DWORD src1_sel:WORD_1
	v_bfe_u32 v6, v5, 19, 4
	v_sub_u32_e32 v7, 29, v7
	v_and_b32_e32 v8, 7, v8
	v_cmp_eq_u16_e32 vcc, 0, v4
	v_cndmask_b32_e32 v3, v3, v8, vcc
	v_cndmask_b32_e32 v4, v6, v7, vcc
	v_lshlrev_b32_e32 v6, 8, v5
	v_mov_b32_e32 v7, 0x3b800000
	v_lshlrev_b32_e32 v3, 20, v3
	v_and_b32_e32 v6, 0x80000000, v6
	v_lshl_add_u32 v4, v4, 23, v7
	v_or3_b32 v4, v6, v4, v3
.LBB16_248:
	s_or_b64 exec, exec, s[6:7]
	s_nop 0
	v_mfma_f32_16x16x4f32 a[0:3], v2, v4, a[0:3]
	s_movk_i32 s4, 0x7f
	v_cmp_gt_i16_sdwa s[6:7], v9, s4 src0_sel:BYTE_3 src1_sel:DWORD
	s_mov_b64 s[4:5], 0
                                        ; implicit-def: $sgpr10
	s_and_saveexec_b64 s[8:9], s[6:7]
	s_xor_b64 s[6:7], exec, s[8:9]
	s_cbranch_execnz .LBB16_2297
; %bb.249:
	s_or_saveexec_b64 s[6:7], s[6:7]
	v_mov_b32_e32 v2, s10
	s_xor_b64 exec, exec, s[6:7]
	s_cbranch_execnz .LBB16_2300
.LBB16_250:
	s_or_b64 exec, exec, s[6:7]
	s_and_saveexec_b64 s[6:7], s[4:5]
	s_cbranch_execz .LBB16_252
.LBB16_251:
	v_bfe_u32 v2, v9, 24, 3
	v_ffbh_u32_e32 v7, v2
	v_min_u32_e32 v7, 32, v7
	v_lshrrev_b32_e32 v4, 27, v9
	v_subrev_u32_e32 v8, 28, v7
	v_and_b32_e32 v4, 15, v4
	v_lshlrev_b32_sdwa v8, v8, v9 dst_sel:DWORD dst_unused:UNUSED_PAD src0_sel:DWORD src1_sel:BYTE_3
	v_bfe_u32 v6, v9, 27, 4
	v_sub_u32_e32 v7, 29, v7
	v_and_b32_e32 v8, 7, v8
	v_cmp_eq_u16_e32 vcc, 0, v4
	v_cndmask_b32_e32 v2, v2, v8, vcc
	v_cndmask_b32_e32 v4, v6, v7, vcc
	v_mov_b32_e32 v6, 0x3b800000
	v_and_b32_e32 v3, 0x80000000, v9
	v_lshlrev_b32_e32 v2, 20, v2
	v_lshl_add_u32 v4, v4, 23, v6
	v_or3_b32 v2, v3, v4, v2
.LBB16_252:
	s_or_b64 exec, exec, s[6:7]
	s_movk_i32 s4, 0x7f
	v_cmp_gt_i16_sdwa s[6:7], v5, s4 src0_sel:BYTE_3 src1_sel:DWORD
	s_mov_b64 s[4:5], 0
                                        ; implicit-def: $sgpr10
	s_and_saveexec_b64 s[8:9], s[6:7]
	s_xor_b64 s[6:7], exec, s[8:9]
	s_cbranch_execnz .LBB16_2301
; %bb.253:
	s_or_saveexec_b64 s[6:7], s[6:7]
	v_mov_b32_e32 v3, s10
	s_xor_b64 exec, exec, s[6:7]
	s_cbranch_execnz .LBB16_2304
.LBB16_254:
	s_or_b64 exec, exec, s[6:7]
	s_and_saveexec_b64 s[6:7], s[4:5]
	s_cbranch_execz .LBB16_256
.LBB16_255:
	v_bfe_u32 v3, v5, 24, 3
	v_ffbh_u32_e32 v8, v3
	v_min_u32_e32 v8, 32, v8
	v_lshrrev_b32_e32 v6, 27, v5
	v_subrev_u32_e32 v9, 28, v8
	v_and_b32_e32 v4, 0x80000000, v5
	v_and_b32_e32 v6, 15, v6
	v_bfe_u32 v7, v5, 27, 4
	v_lshlrev_b32_sdwa v5, v9, v5 dst_sel:DWORD dst_unused:UNUSED_PAD src0_sel:DWORD src1_sel:BYTE_3
	v_sub_u32_e32 v8, 29, v8
	v_and_b32_e32 v5, 7, v5
	v_cmp_eq_u16_e32 vcc, 0, v6
	v_cndmask_b32_e32 v3, v3, v5, vcc
	v_cndmask_b32_e32 v5, v7, v8, vcc
	v_mov_b32_e32 v6, 0x3b800000
	v_lshlrev_b32_e32 v3, 20, v3
	v_lshl_add_u32 v5, v5, 23, v6
	v_or3_b32 v3, v4, v5, v3
.LBB16_256:
	s_or_b64 exec, exec, s[6:7]
	s_nop 0
	v_mfma_f32_16x16x4f32 a[0:3], v2, v3, a[0:3]
	s_movk_i32 s4, 0x7f
                                        ; implicit-def: $sgpr10
	s_nop 7
	s_nop 1
	flat_store_dwordx4 v[18:19], a[0:3] offset:768
	flat_load_dwordx4 v[20:23], v[0:1] offset:16
	s_nop 0
	flat_load_dwordx2 v[18:19], v[0:1] offset:32
	s_waitcnt vmcnt(0) lgkmcnt(0)
	flat_load_dwordx4 v[14:17], v[20:21]
	flat_load_dwordx4 v[6:9], v[20:21] offset:16
	flat_load_dwordx4 v[10:13], v[22:23] offset:288
	flat_load_dwordx4 v[2:5], v[22:23] offset:304
	s_waitcnt vmcnt(0) lgkmcnt(0)
	v_cmp_gt_i16_sdwa s[6:7], v14, s4 src0_sel:BYTE_0 src1_sel:DWORD
	s_mov_b64 s[4:5], 0
	s_and_saveexec_b64 s[8:9], s[6:7]
	s_xor_b64 s[6:7], exec, s[8:9]
	s_cbranch_execnz .LBB16_2305
; %bb.257:
	s_or_saveexec_b64 s[6:7], s[6:7]
	v_mov_b32_e32 v20, s10
	s_xor_b64 exec, exec, s[6:7]
	s_cbranch_execnz .LBB16_2308
.LBB16_258:
	s_or_b64 exec, exec, s[6:7]
	s_and_saveexec_b64 s[6:7], s[4:5]
	s_cbranch_execz .LBB16_260
.LBB16_259:
	v_and_b32_e32 v20, 7, v14
	v_ffbh_u32_e32 v22, v20
	v_min_u32_e32 v22, 32, v22
	v_lshrrev_b16_e32 v21, 3, v14
	v_subrev_u32_e32 v23, 28, v22
	v_and_b32_e32 v21, 15, v21
	v_lshlrev_b32_e32 v23, v23, v14
	v_sub_u32_e32 v22, 29, v22
	v_and_b32_e32 v23, 7, v23
	v_cmp_eq_u16_e32 vcc, 0, v21
	v_cndmask_b32_e32 v20, v20, v23, vcc
	v_cndmask_b32_e32 v21, v21, v22, vcc
	v_lshlrev_b32_e32 v22, 24, v14
	v_mov_b32_e32 v23, 0x3b800000
	v_lshlrev_b32_e32 v20, 20, v20
	v_and_b32_e32 v22, 0x80000000, v22
	v_lshl_add_u32 v21, v21, 23, v23
	v_or3_b32 v20, v22, v21, v20
.LBB16_260:
	s_or_b64 exec, exec, s[6:7]
	s_movk_i32 s4, 0x7f
	v_cmp_gt_i16_sdwa s[6:7], v10, s4 src0_sel:BYTE_0 src1_sel:DWORD
	s_mov_b64 s[4:5], 0
                                        ; implicit-def: $sgpr10
	s_and_saveexec_b64 s[8:9], s[6:7]
	s_xor_b64 s[6:7], exec, s[8:9]
	s_cbranch_execnz .LBB16_2309
; %bb.261:
	s_or_saveexec_b64 s[6:7], s[6:7]
	v_mov_b32_e32 v21, s10
	s_xor_b64 exec, exec, s[6:7]
	s_cbranch_execnz .LBB16_2312
.LBB16_262:
	s_or_b64 exec, exec, s[6:7]
	s_and_saveexec_b64 s[6:7], s[4:5]
	s_cbranch_execz .LBB16_264
.LBB16_263:
	v_and_b32_e32 v21, 7, v10
	v_ffbh_u32_e32 v23, v21
	v_min_u32_e32 v23, 32, v23
	v_lshrrev_b16_e32 v22, 3, v10
	v_subrev_u32_e32 v24, 28, v23
	v_and_b32_e32 v22, 15, v22
	v_lshlrev_b32_e32 v24, v24, v10
	v_sub_u32_e32 v23, 29, v23
	v_and_b32_e32 v24, 7, v24
	v_cmp_eq_u16_e32 vcc, 0, v22
	v_cndmask_b32_e32 v21, v21, v24, vcc
	v_cndmask_b32_e32 v22, v22, v23, vcc
	v_lshlrev_b32_e32 v23, 24, v10
	v_mov_b32_e32 v24, 0x3b800000
	v_lshlrev_b32_e32 v21, 20, v21
	v_and_b32_e32 v23, 0x80000000, v23
	v_lshl_add_u32 v22, v22, 23, v24
	v_or3_b32 v21, v23, v22, v21
.LBB16_264:
	s_or_b64 exec, exec, s[6:7]
	flat_load_dwordx4 a[0:3], v[18:19] offset:784
	s_movk_i32 s4, 0x7f
                                        ; implicit-def: $sgpr10
	s_waitcnt vmcnt(0) lgkmcnt(0)
	v_mfma_f32_16x16x4f32 a[0:3], v20, v21, a[0:3]
	v_lshrrev_b32_e32 v21, 8, v14
	v_cmp_gt_i16_sdwa s[6:7], v21, s4 src0_sel:BYTE_0 src1_sel:DWORD
	s_mov_b64 s[4:5], 0
	s_and_saveexec_b64 s[8:9], s[6:7]
	s_xor_b64 s[6:7], exec, s[8:9]
	s_cbranch_execnz .LBB16_2313
; %bb.265:
	s_or_saveexec_b64 s[6:7], s[6:7]
	v_mov_b32_e32 v20, s10
	s_xor_b64 exec, exec, s[6:7]
	s_cbranch_execnz .LBB16_2316
.LBB16_266:
	s_or_b64 exec, exec, s[6:7]
	s_and_saveexec_b64 s[6:7], s[4:5]
	s_cbranch_execz .LBB16_268
.LBB16_267:
	v_bfe_u32 v20, v14, 8, 3
	v_ffbh_u32_e32 v23, v20
	v_min_u32_e32 v23, 32, v23
	v_lshrrev_b16_e32 v22, 3, v21
	v_subrev_u32_e32 v24, 28, v23
	v_and_b32_e32 v22, 15, v22
	v_lshlrev_b32_e32 v21, v24, v21
	v_sub_u32_e32 v23, 29, v23
	v_and_b32_e32 v21, 7, v21
	v_cmp_eq_u16_e32 vcc, 0, v22
	v_cndmask_b32_e32 v20, v20, v21, vcc
	v_cndmask_b32_e32 v21, v22, v23, vcc
	v_lshlrev_b32_e32 v22, 16, v14
	v_mov_b32_e32 v23, 0x3b800000
	v_lshlrev_b32_e32 v20, 20, v20
	v_and_b32_e32 v22, 0x80000000, v22
	v_lshl_add_u32 v21, v21, 23, v23
	v_or3_b32 v20, v22, v21, v20
.LBB16_268:
	s_or_b64 exec, exec, s[6:7]
	v_lshrrev_b32_e32 v21, 8, v10
	s_movk_i32 s4, 0x7f
	v_cmp_gt_i16_sdwa s[6:7], v21, s4 src0_sel:BYTE_0 src1_sel:DWORD
	s_mov_b64 s[4:5], 0
                                        ; implicit-def: $sgpr10
	s_and_saveexec_b64 s[8:9], s[6:7]
	s_xor_b64 s[6:7], exec, s[8:9]
	s_cbranch_execnz .LBB16_2317
; %bb.269:
	s_or_saveexec_b64 s[6:7], s[6:7]
	v_mov_b32_e32 v22, s10
	s_xor_b64 exec, exec, s[6:7]
	s_cbranch_execnz .LBB16_2320
.LBB16_270:
	s_or_b64 exec, exec, s[6:7]
	s_and_saveexec_b64 s[6:7], s[4:5]
	s_cbranch_execz .LBB16_272
.LBB16_271:
	v_bfe_u32 v22, v10, 8, 3
	v_ffbh_u32_e32 v24, v22
	v_min_u32_e32 v24, 32, v24
	v_lshrrev_b16_e32 v23, 3, v21
	v_subrev_u32_e32 v25, 28, v24
	v_and_b32_e32 v23, 15, v23
	v_lshlrev_b32_e32 v21, v25, v21
	v_sub_u32_e32 v24, 29, v24
	v_and_b32_e32 v21, 7, v21
	v_cmp_eq_u16_e32 vcc, 0, v23
	v_cndmask_b32_e32 v21, v22, v21, vcc
	v_cndmask_b32_e32 v22, v23, v24, vcc
	v_lshlrev_b32_e32 v23, 16, v10
	v_mov_b32_e32 v24, 0x3b800000
	v_lshlrev_b32_e32 v21, 20, v21
	v_and_b32_e32 v23, 0x80000000, v23
	v_lshl_add_u32 v22, v22, 23, v24
	v_or3_b32 v22, v23, v22, v21
.LBB16_272:
	s_or_b64 exec, exec, s[6:7]
	s_nop 0
	v_mfma_f32_16x16x4f32 a[0:3], v20, v22, a[0:3]
	s_movk_i32 s4, 0xff
	v_and_b32_sdwa v21, v14, s4 dst_sel:DWORD dst_unused:UNUSED_PAD src0_sel:WORD_1 src1_sel:DWORD
	s_movk_i32 s4, 0x7f
	v_cmp_lt_i16_e32 vcc, s4, v21
	s_mov_b64 s[4:5], 0
                                        ; implicit-def: $sgpr10
	s_and_saveexec_b64 s[6:7], vcc
	s_xor_b64 s[6:7], exec, s[6:7]
	s_cbranch_execnz .LBB16_2321
; %bb.273:
	s_or_saveexec_b64 s[6:7], s[6:7]
	v_mov_b32_e32 v20, s10
	s_xor_b64 exec, exec, s[6:7]
	s_cbranch_execnz .LBB16_2324
.LBB16_274:
	s_or_b64 exec, exec, s[6:7]
	s_and_saveexec_b64 s[6:7], s[4:5]
	s_cbranch_execz .LBB16_276
.LBB16_275:
	v_bfe_u32 v20, v14, 16, 3
	v_ffbh_u32_e32 v23, v20
	v_min_u32_e32 v23, 32, v23
	v_lshrrev_b32_e32 v21, 19, v14
	v_subrev_u32_e32 v24, 28, v23
	v_and_b32_e32 v21, 15, v21
	v_lshlrev_b32_sdwa v24, v24, v14 dst_sel:DWORD dst_unused:UNUSED_PAD src0_sel:DWORD src1_sel:WORD_1
	v_bfe_u32 v22, v14, 19, 4
	v_sub_u32_e32 v23, 29, v23
	v_and_b32_e32 v24, 7, v24
	v_cmp_eq_u16_e32 vcc, 0, v21
	v_cndmask_b32_e32 v20, v20, v24, vcc
	v_cndmask_b32_e32 v21, v22, v23, vcc
	v_lshlrev_b32_e32 v22, 8, v14
	v_mov_b32_e32 v23, 0x3b800000
	v_lshlrev_b32_e32 v20, 20, v20
	v_and_b32_e32 v22, 0x80000000, v22
	v_lshl_add_u32 v21, v21, 23, v23
	v_or3_b32 v20, v22, v21, v20
.LBB16_276:
	s_or_b64 exec, exec, s[6:7]
	s_movk_i32 s4, 0xff
	v_and_b32_sdwa v21, v10, s4 dst_sel:DWORD dst_unused:UNUSED_PAD src0_sel:WORD_1 src1_sel:DWORD
	s_movk_i32 s4, 0x7f
	v_cmp_lt_i16_e32 vcc, s4, v21
	s_mov_b64 s[4:5], 0
                                        ; implicit-def: $sgpr10
	s_and_saveexec_b64 s[6:7], vcc
	s_xor_b64 s[6:7], exec, s[6:7]
	s_cbranch_execnz .LBB16_2325
; %bb.277:
	s_or_saveexec_b64 s[6:7], s[6:7]
	v_mov_b32_e32 v22, s10
	s_xor_b64 exec, exec, s[6:7]
	s_cbranch_execnz .LBB16_2328
.LBB16_278:
	s_or_b64 exec, exec, s[6:7]
	s_and_saveexec_b64 s[6:7], s[4:5]
	s_cbranch_execz .LBB16_280
.LBB16_279:
	v_bfe_u32 v21, v10, 16, 3
	v_ffbh_u32_e32 v24, v21
	v_min_u32_e32 v24, 32, v24
	v_lshrrev_b32_e32 v22, 19, v10
	v_subrev_u32_e32 v25, 28, v24
	v_and_b32_e32 v22, 15, v22
	v_lshlrev_b32_sdwa v25, v25, v10 dst_sel:DWORD dst_unused:UNUSED_PAD src0_sel:DWORD src1_sel:WORD_1
	v_bfe_u32 v23, v10, 19, 4
	v_sub_u32_e32 v24, 29, v24
	v_and_b32_e32 v25, 7, v25
	v_cmp_eq_u16_e32 vcc, 0, v22
	v_cndmask_b32_e32 v21, v21, v25, vcc
	v_cndmask_b32_e32 v22, v23, v24, vcc
	v_lshlrev_b32_e32 v23, 8, v10
	v_mov_b32_e32 v24, 0x3b800000
	v_lshlrev_b32_e32 v21, 20, v21
	v_and_b32_e32 v23, 0x80000000, v23
	v_lshl_add_u32 v22, v22, 23, v24
	v_or3_b32 v22, v23, v22, v21
.LBB16_280:
	s_or_b64 exec, exec, s[6:7]
	s_nop 0
	v_mfma_f32_16x16x4f32 a[0:3], v20, v22, a[0:3]
	s_movk_i32 s4, 0x7f
	v_cmp_gt_i16_sdwa s[6:7], v14, s4 src0_sel:BYTE_3 src1_sel:DWORD
	s_mov_b64 s[4:5], 0
                                        ; implicit-def: $sgpr10
	s_and_saveexec_b64 s[8:9], s[6:7]
	s_xor_b64 s[6:7], exec, s[8:9]
	s_cbranch_execnz .LBB16_2329
; %bb.281:
	s_or_saveexec_b64 s[6:7], s[6:7]
	v_mov_b32_e32 v20, s10
	s_xor_b64 exec, exec, s[6:7]
	s_cbranch_execnz .LBB16_2332
.LBB16_282:
	s_or_b64 exec, exec, s[6:7]
	s_and_saveexec_b64 s[6:7], s[4:5]
	s_cbranch_execz .LBB16_284
.LBB16_283:
	v_bfe_u32 v20, v14, 24, 3
	v_ffbh_u32_e32 v24, v20
	v_min_u32_e32 v24, 32, v24
	v_lshrrev_b32_e32 v22, 27, v14
	v_subrev_u32_e32 v25, 28, v24
	v_and_b32_e32 v21, 0x80000000, v14
	v_and_b32_e32 v22, 15, v22
	v_bfe_u32 v23, v14, 27, 4
	v_lshlrev_b32_sdwa v14, v25, v14 dst_sel:DWORD dst_unused:UNUSED_PAD src0_sel:DWORD src1_sel:BYTE_3
	v_sub_u32_e32 v24, 29, v24
	v_and_b32_e32 v14, 7, v14
	v_cmp_eq_u16_e32 vcc, 0, v22
	v_cndmask_b32_e32 v14, v20, v14, vcc
	v_cndmask_b32_e32 v20, v23, v24, vcc
	v_mov_b32_e32 v22, 0x3b800000
	v_lshlrev_b32_e32 v14, 20, v14
	v_lshl_add_u32 v20, v20, 23, v22
	v_or3_b32 v20, v21, v20, v14
.LBB16_284:
	s_or_b64 exec, exec, s[6:7]
	s_movk_i32 s4, 0x7f
	v_cmp_gt_i16_sdwa s[6:7], v10, s4 src0_sel:BYTE_3 src1_sel:DWORD
	s_mov_b64 s[4:5], 0
                                        ; implicit-def: $sgpr10
	s_and_saveexec_b64 s[8:9], s[6:7]
	s_xor_b64 s[6:7], exec, s[8:9]
	s_cbranch_execnz .LBB16_2333
; %bb.285:
	s_or_saveexec_b64 s[6:7], s[6:7]
	v_mov_b32_e32 v14, s10
	s_xor_b64 exec, exec, s[6:7]
	s_cbranch_execnz .LBB16_2336
.LBB16_286:
	s_or_b64 exec, exec, s[6:7]
	s_and_saveexec_b64 s[6:7], s[4:5]
	s_cbranch_execz .LBB16_288
.LBB16_287:
	v_bfe_u32 v14, v10, 24, 3
	v_ffbh_u32_e32 v24, v14
	v_min_u32_e32 v24, 32, v24
	v_lshrrev_b32_e32 v22, 27, v10
	v_subrev_u32_e32 v25, 28, v24
	v_and_b32_e32 v21, 0x80000000, v10
	v_and_b32_e32 v22, 15, v22
	v_bfe_u32 v23, v10, 27, 4
	v_lshlrev_b32_sdwa v10, v25, v10 dst_sel:DWORD dst_unused:UNUSED_PAD src0_sel:DWORD src1_sel:BYTE_3
	v_sub_u32_e32 v24, 29, v24
	v_and_b32_e32 v10, 7, v10
	v_cmp_eq_u16_e32 vcc, 0, v22
	v_cndmask_b32_e32 v10, v14, v10, vcc
	v_cndmask_b32_e32 v14, v23, v24, vcc
	v_mov_b32_e32 v22, 0x3b800000
	v_lshlrev_b32_e32 v10, 20, v10
	v_lshl_add_u32 v14, v14, 23, v22
	v_or3_b32 v14, v21, v14, v10
.LBB16_288:
	s_or_b64 exec, exec, s[6:7]
	s_nop 0
	v_mfma_f32_16x16x4f32 a[0:3], v20, v14, a[0:3]
	s_movk_i32 s4, 0x7f
	v_cmp_gt_i16_sdwa s[6:7], v15, s4 src0_sel:BYTE_0 src1_sel:DWORD
	s_mov_b64 s[4:5], 0
                                        ; implicit-def: $sgpr10
	s_and_saveexec_b64 s[8:9], s[6:7]
	s_xor_b64 s[6:7], exec, s[8:9]
	s_cbranch_execnz .LBB16_2337
; %bb.289:
	s_or_saveexec_b64 s[6:7], s[6:7]
	v_mov_b32_e32 v10, s10
	s_xor_b64 exec, exec, s[6:7]
	s_cbranch_execnz .LBB16_2340
.LBB16_290:
	s_or_b64 exec, exec, s[6:7]
	s_and_saveexec_b64 s[6:7], s[4:5]
	s_cbranch_execz .LBB16_292
.LBB16_291:
	v_and_b32_e32 v10, 7, v15
	v_ffbh_u32_e32 v20, v10
	v_min_u32_e32 v20, 32, v20
	v_lshrrev_b16_e32 v14, 3, v15
	v_subrev_u32_e32 v21, 28, v20
	v_and_b32_e32 v14, 15, v14
	v_lshlrev_b32_e32 v21, v21, v15
	v_sub_u32_e32 v20, 29, v20
	v_and_b32_e32 v21, 7, v21
	v_cmp_eq_u16_e32 vcc, 0, v14
	v_cndmask_b32_e32 v10, v10, v21, vcc
	v_cndmask_b32_e32 v14, v14, v20, vcc
	v_lshlrev_b32_e32 v20, 24, v15
	v_mov_b32_e32 v21, 0x3b800000
	v_lshlrev_b32_e32 v10, 20, v10
	v_and_b32_e32 v20, 0x80000000, v20
	v_lshl_add_u32 v14, v14, 23, v21
	v_or3_b32 v10, v20, v14, v10
.LBB16_292:
	s_or_b64 exec, exec, s[6:7]
	s_movk_i32 s4, 0x7f
	v_cmp_gt_i16_sdwa s[6:7], v11, s4 src0_sel:BYTE_0 src1_sel:DWORD
	s_mov_b64 s[4:5], 0
                                        ; implicit-def: $sgpr10
	s_and_saveexec_b64 s[8:9], s[6:7]
	s_xor_b64 s[6:7], exec, s[8:9]
	s_cbranch_execnz .LBB16_2341
; %bb.293:
	s_or_saveexec_b64 s[6:7], s[6:7]
	v_mov_b32_e32 v14, s10
	s_xor_b64 exec, exec, s[6:7]
	s_cbranch_execnz .LBB16_2344
.LBB16_294:
	s_or_b64 exec, exec, s[6:7]
	s_and_saveexec_b64 s[6:7], s[4:5]
	s_cbranch_execz .LBB16_296
.LBB16_295:
	v_and_b32_e32 v14, 7, v11
	v_ffbh_u32_e32 v21, v14
	v_min_u32_e32 v21, 32, v21
	v_lshrrev_b16_e32 v20, 3, v11
	v_subrev_u32_e32 v22, 28, v21
	v_and_b32_e32 v20, 15, v20
	v_lshlrev_b32_e32 v22, v22, v11
	v_sub_u32_e32 v21, 29, v21
	v_and_b32_e32 v22, 7, v22
	v_cmp_eq_u16_e32 vcc, 0, v20
	v_cndmask_b32_e32 v14, v14, v22, vcc
	v_cndmask_b32_e32 v20, v20, v21, vcc
	v_lshlrev_b32_e32 v21, 24, v11
	v_mov_b32_e32 v22, 0x3b800000
	v_lshlrev_b32_e32 v14, 20, v14
	v_and_b32_e32 v21, 0x80000000, v21
	v_lshl_add_u32 v20, v20, 23, v22
	v_or3_b32 v14, v21, v20, v14
.LBB16_296:
	s_or_b64 exec, exec, s[6:7]
	s_nop 0
	v_mfma_f32_16x16x4f32 a[0:3], v10, v14, a[0:3]
	v_lshrrev_b32_e32 v14, 8, v15
	s_movk_i32 s4, 0x7f
	v_cmp_gt_i16_sdwa s[6:7], v14, s4 src0_sel:BYTE_0 src1_sel:DWORD
	s_mov_b64 s[4:5], 0
                                        ; implicit-def: $sgpr10
	s_and_saveexec_b64 s[8:9], s[6:7]
	s_xor_b64 s[6:7], exec, s[8:9]
	s_cbranch_execnz .LBB16_2345
; %bb.297:
	s_or_saveexec_b64 s[6:7], s[6:7]
	v_mov_b32_e32 v10, s10
	s_xor_b64 exec, exec, s[6:7]
	s_cbranch_execnz .LBB16_2348
.LBB16_298:
	s_or_b64 exec, exec, s[6:7]
	s_and_saveexec_b64 s[6:7], s[4:5]
	s_cbranch_execz .LBB16_300
.LBB16_299:
	v_bfe_u32 v10, v15, 8, 3
	v_ffbh_u32_e32 v21, v10
	v_min_u32_e32 v21, 32, v21
	v_lshrrev_b16_e32 v20, 3, v14
	v_subrev_u32_e32 v22, 28, v21
	v_and_b32_e32 v20, 15, v20
	v_lshlrev_b32_e32 v14, v22, v14
	v_sub_u32_e32 v21, 29, v21
	v_and_b32_e32 v14, 7, v14
	v_cmp_eq_u16_e32 vcc, 0, v20
	v_cndmask_b32_e32 v10, v10, v14, vcc
	v_cndmask_b32_e32 v14, v20, v21, vcc
	v_lshlrev_b32_e32 v20, 16, v15
	v_mov_b32_e32 v21, 0x3b800000
	v_lshlrev_b32_e32 v10, 20, v10
	v_and_b32_e32 v20, 0x80000000, v20
	v_lshl_add_u32 v14, v14, 23, v21
	v_or3_b32 v10, v20, v14, v10
.LBB16_300:
	s_or_b64 exec, exec, s[6:7]
	v_lshrrev_b32_e32 v14, 8, v11
	s_movk_i32 s4, 0x7f
	v_cmp_gt_i16_sdwa s[6:7], v14, s4 src0_sel:BYTE_0 src1_sel:DWORD
	s_mov_b64 s[4:5], 0
                                        ; implicit-def: $sgpr10
	s_and_saveexec_b64 s[8:9], s[6:7]
	s_xor_b64 s[6:7], exec, s[8:9]
	s_cbranch_execnz .LBB16_2349
; %bb.301:
	s_or_saveexec_b64 s[6:7], s[6:7]
	v_mov_b32_e32 v20, s10
	s_xor_b64 exec, exec, s[6:7]
	s_cbranch_execnz .LBB16_2352
.LBB16_302:
	s_or_b64 exec, exec, s[6:7]
	s_and_saveexec_b64 s[6:7], s[4:5]
	s_cbranch_execz .LBB16_304
.LBB16_303:
	v_bfe_u32 v20, v11, 8, 3
	v_ffbh_u32_e32 v22, v20
	v_min_u32_e32 v22, 32, v22
	v_lshrrev_b16_e32 v21, 3, v14
	v_subrev_u32_e32 v23, 28, v22
	v_and_b32_e32 v21, 15, v21
	v_lshlrev_b32_e32 v14, v23, v14
	v_sub_u32_e32 v22, 29, v22
	v_and_b32_e32 v14, 7, v14
	v_cmp_eq_u16_e32 vcc, 0, v21
	v_cndmask_b32_e32 v14, v20, v14, vcc
	v_cndmask_b32_e32 v20, v21, v22, vcc
	v_lshlrev_b32_e32 v21, 16, v11
	v_mov_b32_e32 v22, 0x3b800000
	v_lshlrev_b32_e32 v14, 20, v14
	v_and_b32_e32 v21, 0x80000000, v21
	v_lshl_add_u32 v20, v20, 23, v22
	v_or3_b32 v20, v21, v20, v14
.LBB16_304:
	s_or_b64 exec, exec, s[6:7]
	s_nop 0
	v_mfma_f32_16x16x4f32 a[0:3], v10, v20, a[0:3]
	s_movk_i32 s4, 0xff
	v_and_b32_sdwa v14, v15, s4 dst_sel:DWORD dst_unused:UNUSED_PAD src0_sel:WORD_1 src1_sel:DWORD
	s_movk_i32 s4, 0x7f
	v_cmp_lt_i16_e32 vcc, s4, v14
	s_mov_b64 s[4:5], 0
                                        ; implicit-def: $sgpr10
	s_and_saveexec_b64 s[6:7], vcc
	s_xor_b64 s[6:7], exec, s[6:7]
	s_cbranch_execnz .LBB16_2353
; %bb.305:
	s_or_saveexec_b64 s[6:7], s[6:7]
	v_mov_b32_e32 v10, s10
	s_xor_b64 exec, exec, s[6:7]
	s_cbranch_execnz .LBB16_2356
.LBB16_306:
	s_or_b64 exec, exec, s[6:7]
	s_and_saveexec_b64 s[6:7], s[4:5]
	s_cbranch_execz .LBB16_308
.LBB16_307:
	v_bfe_u32 v10, v15, 16, 3
	v_ffbh_u32_e32 v21, v10
	v_min_u32_e32 v21, 32, v21
	v_lshrrev_b32_e32 v14, 19, v15
	v_subrev_u32_e32 v22, 28, v21
	v_and_b32_e32 v14, 15, v14
	v_lshlrev_b32_sdwa v22, v22, v15 dst_sel:DWORD dst_unused:UNUSED_PAD src0_sel:DWORD src1_sel:WORD_1
	v_bfe_u32 v20, v15, 19, 4
	v_sub_u32_e32 v21, 29, v21
	v_and_b32_e32 v22, 7, v22
	v_cmp_eq_u16_e32 vcc, 0, v14
	v_cndmask_b32_e32 v10, v10, v22, vcc
	v_cndmask_b32_e32 v14, v20, v21, vcc
	v_lshlrev_b32_e32 v20, 8, v15
	v_mov_b32_e32 v21, 0x3b800000
	v_lshlrev_b32_e32 v10, 20, v10
	v_and_b32_e32 v20, 0x80000000, v20
	v_lshl_add_u32 v14, v14, 23, v21
	v_or3_b32 v10, v20, v14, v10
.LBB16_308:
	s_or_b64 exec, exec, s[6:7]
	s_movk_i32 s4, 0xff
	v_and_b32_sdwa v14, v11, s4 dst_sel:DWORD dst_unused:UNUSED_PAD src0_sel:WORD_1 src1_sel:DWORD
	s_movk_i32 s4, 0x7f
	v_cmp_lt_i16_e32 vcc, s4, v14
	s_mov_b64 s[4:5], 0
                                        ; implicit-def: $sgpr10
	s_and_saveexec_b64 s[6:7], vcc
	s_xor_b64 s[6:7], exec, s[6:7]
	s_cbranch_execnz .LBB16_2357
; %bb.309:
	s_or_saveexec_b64 s[6:7], s[6:7]
	v_mov_b32_e32 v20, s10
	s_xor_b64 exec, exec, s[6:7]
	s_cbranch_execnz .LBB16_2360
.LBB16_310:
	s_or_b64 exec, exec, s[6:7]
	s_and_saveexec_b64 s[6:7], s[4:5]
	s_cbranch_execz .LBB16_312
.LBB16_311:
	v_bfe_u32 v14, v11, 16, 3
	v_ffbh_u32_e32 v22, v14
	v_min_u32_e32 v22, 32, v22
	v_lshrrev_b32_e32 v20, 19, v11
	v_subrev_u32_e32 v23, 28, v22
	v_and_b32_e32 v20, 15, v20
	v_lshlrev_b32_sdwa v23, v23, v11 dst_sel:DWORD dst_unused:UNUSED_PAD src0_sel:DWORD src1_sel:WORD_1
	v_bfe_u32 v21, v11, 19, 4
	v_sub_u32_e32 v22, 29, v22
	v_and_b32_e32 v23, 7, v23
	v_cmp_eq_u16_e32 vcc, 0, v20
	v_cndmask_b32_e32 v14, v14, v23, vcc
	v_cndmask_b32_e32 v20, v21, v22, vcc
	v_lshlrev_b32_e32 v21, 8, v11
	v_mov_b32_e32 v22, 0x3b800000
	v_lshlrev_b32_e32 v14, 20, v14
	v_and_b32_e32 v21, 0x80000000, v21
	v_lshl_add_u32 v20, v20, 23, v22
	v_or3_b32 v20, v21, v20, v14
.LBB16_312:
	s_or_b64 exec, exec, s[6:7]
	s_nop 0
	v_mfma_f32_16x16x4f32 a[0:3], v10, v20, a[0:3]
	s_movk_i32 s4, 0x7f
	v_cmp_gt_i16_sdwa s[6:7], v15, s4 src0_sel:BYTE_3 src1_sel:DWORD
	s_mov_b64 s[4:5], 0
                                        ; implicit-def: $sgpr10
	s_and_saveexec_b64 s[8:9], s[6:7]
	s_xor_b64 s[6:7], exec, s[8:9]
	s_cbranch_execnz .LBB16_2361
; %bb.313:
	s_or_saveexec_b64 s[6:7], s[6:7]
	v_mov_b32_e32 v10, s10
	s_xor_b64 exec, exec, s[6:7]
	s_cbranch_execnz .LBB16_2364
.LBB16_314:
	s_or_b64 exec, exec, s[6:7]
	s_and_saveexec_b64 s[6:7], s[4:5]
	s_cbranch_execz .LBB16_316
.LBB16_315:
	v_bfe_u32 v10, v15, 24, 3
	v_ffbh_u32_e32 v22, v10
	v_min_u32_e32 v22, 32, v22
	v_lshrrev_b32_e32 v20, 27, v15
	v_subrev_u32_e32 v23, 28, v22
	v_and_b32_e32 v14, 0x80000000, v15
	v_and_b32_e32 v20, 15, v20
	v_bfe_u32 v21, v15, 27, 4
	v_lshlrev_b32_sdwa v15, v23, v15 dst_sel:DWORD dst_unused:UNUSED_PAD src0_sel:DWORD src1_sel:BYTE_3
	v_sub_u32_e32 v22, 29, v22
	v_and_b32_e32 v15, 7, v15
	v_cmp_eq_u16_e32 vcc, 0, v20
	v_cndmask_b32_e32 v10, v10, v15, vcc
	v_cndmask_b32_e32 v15, v21, v22, vcc
	v_mov_b32_e32 v20, 0x3b800000
	v_lshlrev_b32_e32 v10, 20, v10
	v_lshl_add_u32 v15, v15, 23, v20
	v_or3_b32 v10, v14, v15, v10
.LBB16_316:
	s_or_b64 exec, exec, s[6:7]
	s_movk_i32 s4, 0x7f
	v_cmp_gt_i16_sdwa s[6:7], v11, s4 src0_sel:BYTE_3 src1_sel:DWORD
	s_mov_b64 s[4:5], 0
                                        ; implicit-def: $sgpr10
	s_and_saveexec_b64 s[8:9], s[6:7]
	s_xor_b64 s[6:7], exec, s[8:9]
	s_cbranch_execnz .LBB16_2365
; %bb.317:
	s_or_saveexec_b64 s[6:7], s[6:7]
	v_mov_b32_e32 v14, s10
	s_xor_b64 exec, exec, s[6:7]
	s_cbranch_execnz .LBB16_2368
.LBB16_318:
	s_or_b64 exec, exec, s[6:7]
	s_and_saveexec_b64 s[6:7], s[4:5]
	s_cbranch_execz .LBB16_320
.LBB16_319:
	v_bfe_u32 v14, v11, 24, 3
	v_ffbh_u32_e32 v22, v14
	v_min_u32_e32 v22, 32, v22
	v_lshrrev_b32_e32 v20, 27, v11
	v_subrev_u32_e32 v23, 28, v22
	v_and_b32_e32 v15, 0x80000000, v11
	v_and_b32_e32 v20, 15, v20
	v_bfe_u32 v21, v11, 27, 4
	v_lshlrev_b32_sdwa v11, v23, v11 dst_sel:DWORD dst_unused:UNUSED_PAD src0_sel:DWORD src1_sel:BYTE_3
	v_sub_u32_e32 v22, 29, v22
	v_and_b32_e32 v11, 7, v11
	v_cmp_eq_u16_e32 vcc, 0, v20
	v_cndmask_b32_e32 v11, v14, v11, vcc
	v_cndmask_b32_e32 v14, v21, v22, vcc
	v_mov_b32_e32 v20, 0x3b800000
	v_lshlrev_b32_e32 v11, 20, v11
	v_lshl_add_u32 v14, v14, 23, v20
	v_or3_b32 v14, v15, v14, v11
.LBB16_320:
	s_or_b64 exec, exec, s[6:7]
	s_nop 0
	v_mfma_f32_16x16x4f32 a[0:3], v10, v14, a[0:3]
	s_movk_i32 s4, 0x7f
	v_cmp_gt_i16_sdwa s[6:7], v16, s4 src0_sel:BYTE_0 src1_sel:DWORD
	s_mov_b64 s[4:5], 0
                                        ; implicit-def: $sgpr10
	s_and_saveexec_b64 s[8:9], s[6:7]
	s_xor_b64 s[6:7], exec, s[8:9]
	s_cbranch_execnz .LBB16_2369
; %bb.321:
	s_or_saveexec_b64 s[6:7], s[6:7]
	v_mov_b32_e32 v10, s10
	s_xor_b64 exec, exec, s[6:7]
	s_cbranch_execnz .LBB16_2372
.LBB16_322:
	s_or_b64 exec, exec, s[6:7]
	s_and_saveexec_b64 s[6:7], s[4:5]
	s_cbranch_execz .LBB16_324
.LBB16_323:
	v_and_b32_e32 v10, 7, v16
	v_ffbh_u32_e32 v14, v10
	v_min_u32_e32 v14, 32, v14
	v_lshrrev_b16_e32 v11, 3, v16
	v_subrev_u32_e32 v15, 28, v14
	v_and_b32_e32 v11, 15, v11
	v_lshlrev_b32_e32 v15, v15, v16
	v_sub_u32_e32 v14, 29, v14
	v_and_b32_e32 v15, 7, v15
	v_cmp_eq_u16_e32 vcc, 0, v11
	v_cndmask_b32_e32 v10, v10, v15, vcc
	v_cndmask_b32_e32 v11, v11, v14, vcc
	v_lshlrev_b32_e32 v14, 24, v16
	v_mov_b32_e32 v15, 0x3b800000
	v_lshlrev_b32_e32 v10, 20, v10
	v_and_b32_e32 v14, 0x80000000, v14
	v_lshl_add_u32 v11, v11, 23, v15
	v_or3_b32 v10, v14, v11, v10
.LBB16_324:
	s_or_b64 exec, exec, s[6:7]
	s_movk_i32 s4, 0x7f
	v_cmp_gt_i16_sdwa s[6:7], v12, s4 src0_sel:BYTE_0 src1_sel:DWORD
	s_mov_b64 s[4:5], 0
                                        ; implicit-def: $sgpr10
	s_and_saveexec_b64 s[8:9], s[6:7]
	s_xor_b64 s[6:7], exec, s[8:9]
	s_cbranch_execnz .LBB16_2373
; %bb.325:
	s_or_saveexec_b64 s[6:7], s[6:7]
	v_mov_b32_e32 v11, s10
	s_xor_b64 exec, exec, s[6:7]
	s_cbranch_execnz .LBB16_2376
.LBB16_326:
	s_or_b64 exec, exec, s[6:7]
	s_and_saveexec_b64 s[6:7], s[4:5]
	s_cbranch_execz .LBB16_328
.LBB16_327:
	v_and_b32_e32 v11, 7, v12
	v_ffbh_u32_e32 v15, v11
	v_min_u32_e32 v15, 32, v15
	v_lshrrev_b16_e32 v14, 3, v12
	v_subrev_u32_e32 v20, 28, v15
	v_and_b32_e32 v14, 15, v14
	v_lshlrev_b32_e32 v20, v20, v12
	v_sub_u32_e32 v15, 29, v15
	v_and_b32_e32 v20, 7, v20
	v_cmp_eq_u16_e32 vcc, 0, v14
	v_cndmask_b32_e32 v11, v11, v20, vcc
	v_cndmask_b32_e32 v14, v14, v15, vcc
	v_lshlrev_b32_e32 v15, 24, v12
	v_mov_b32_e32 v20, 0x3b800000
	v_lshlrev_b32_e32 v11, 20, v11
	v_and_b32_e32 v15, 0x80000000, v15
	v_lshl_add_u32 v14, v14, 23, v20
	v_or3_b32 v11, v15, v14, v11
.LBB16_328:
	s_or_b64 exec, exec, s[6:7]
	s_nop 0
	v_mfma_f32_16x16x4f32 a[0:3], v10, v11, a[0:3]
	v_lshrrev_b32_e32 v11, 8, v16
	s_movk_i32 s4, 0x7f
	v_cmp_gt_i16_sdwa s[6:7], v11, s4 src0_sel:BYTE_0 src1_sel:DWORD
	s_mov_b64 s[4:5], 0
                                        ; implicit-def: $sgpr10
	s_and_saveexec_b64 s[8:9], s[6:7]
	s_xor_b64 s[6:7], exec, s[8:9]
	s_cbranch_execnz .LBB16_2377
; %bb.329:
	s_or_saveexec_b64 s[6:7], s[6:7]
	v_mov_b32_e32 v10, s10
	s_xor_b64 exec, exec, s[6:7]
	s_cbranch_execnz .LBB16_2380
.LBB16_330:
	s_or_b64 exec, exec, s[6:7]
	s_and_saveexec_b64 s[6:7], s[4:5]
	s_cbranch_execz .LBB16_332
.LBB16_331:
	v_bfe_u32 v10, v16, 8, 3
	v_ffbh_u32_e32 v15, v10
	v_min_u32_e32 v15, 32, v15
	v_lshrrev_b16_e32 v14, 3, v11
	v_subrev_u32_e32 v20, 28, v15
	v_and_b32_e32 v14, 15, v14
	v_lshlrev_b32_e32 v11, v20, v11
	v_sub_u32_e32 v15, 29, v15
	v_and_b32_e32 v11, 7, v11
	v_cmp_eq_u16_e32 vcc, 0, v14
	v_cndmask_b32_e32 v10, v10, v11, vcc
	v_cndmask_b32_e32 v11, v14, v15, vcc
	v_lshlrev_b32_e32 v14, 16, v16
	v_mov_b32_e32 v15, 0x3b800000
	v_lshlrev_b32_e32 v10, 20, v10
	v_and_b32_e32 v14, 0x80000000, v14
	v_lshl_add_u32 v11, v11, 23, v15
	v_or3_b32 v10, v14, v11, v10
.LBB16_332:
	s_or_b64 exec, exec, s[6:7]
	v_lshrrev_b32_e32 v11, 8, v12
	s_movk_i32 s4, 0x7f
	v_cmp_gt_i16_sdwa s[6:7], v11, s4 src0_sel:BYTE_0 src1_sel:DWORD
	s_mov_b64 s[4:5], 0
                                        ; implicit-def: $sgpr10
	s_and_saveexec_b64 s[8:9], s[6:7]
	s_xor_b64 s[6:7], exec, s[8:9]
	s_cbranch_execnz .LBB16_2381
; %bb.333:
	s_or_saveexec_b64 s[6:7], s[6:7]
	v_mov_b32_e32 v14, s10
	s_xor_b64 exec, exec, s[6:7]
	s_cbranch_execnz .LBB16_2384
.LBB16_334:
	s_or_b64 exec, exec, s[6:7]
	s_and_saveexec_b64 s[6:7], s[4:5]
	s_cbranch_execz .LBB16_336
.LBB16_335:
	v_bfe_u32 v14, v12, 8, 3
	v_ffbh_u32_e32 v20, v14
	v_min_u32_e32 v20, 32, v20
	v_lshrrev_b16_e32 v15, 3, v11
	v_subrev_u32_e32 v21, 28, v20
	v_and_b32_e32 v15, 15, v15
	v_lshlrev_b32_e32 v11, v21, v11
	v_sub_u32_e32 v20, 29, v20
	v_and_b32_e32 v11, 7, v11
	v_cmp_eq_u16_e32 vcc, 0, v15
	v_cndmask_b32_e32 v11, v14, v11, vcc
	v_cndmask_b32_e32 v14, v15, v20, vcc
	v_lshlrev_b32_e32 v15, 16, v12
	v_mov_b32_e32 v20, 0x3b800000
	v_lshlrev_b32_e32 v11, 20, v11
	v_and_b32_e32 v15, 0x80000000, v15
	v_lshl_add_u32 v14, v14, 23, v20
	v_or3_b32 v14, v15, v14, v11
.LBB16_336:
	s_or_b64 exec, exec, s[6:7]
	s_nop 0
	v_mfma_f32_16x16x4f32 a[0:3], v10, v14, a[0:3]
	s_movk_i32 s4, 0xff
	v_and_b32_sdwa v11, v16, s4 dst_sel:DWORD dst_unused:UNUSED_PAD src0_sel:WORD_1 src1_sel:DWORD
	s_movk_i32 s4, 0x7f
	v_cmp_lt_i16_e32 vcc, s4, v11
	s_mov_b64 s[4:5], 0
                                        ; implicit-def: $sgpr10
	s_and_saveexec_b64 s[6:7], vcc
	s_xor_b64 s[6:7], exec, s[6:7]
	s_cbranch_execnz .LBB16_2385
; %bb.337:
	s_or_saveexec_b64 s[6:7], s[6:7]
	v_mov_b32_e32 v10, s10
	s_xor_b64 exec, exec, s[6:7]
	s_cbranch_execnz .LBB16_2388
.LBB16_338:
	s_or_b64 exec, exec, s[6:7]
	s_and_saveexec_b64 s[6:7], s[4:5]
	s_cbranch_execz .LBB16_340
.LBB16_339:
	v_bfe_u32 v10, v16, 16, 3
	v_ffbh_u32_e32 v15, v10
	v_min_u32_e32 v15, 32, v15
	v_lshrrev_b32_e32 v11, 19, v16
	v_subrev_u32_e32 v20, 28, v15
	v_and_b32_e32 v11, 15, v11
	v_lshlrev_b32_sdwa v20, v20, v16 dst_sel:DWORD dst_unused:UNUSED_PAD src0_sel:DWORD src1_sel:WORD_1
	v_bfe_u32 v14, v16, 19, 4
	v_sub_u32_e32 v15, 29, v15
	v_and_b32_e32 v20, 7, v20
	v_cmp_eq_u16_e32 vcc, 0, v11
	v_cndmask_b32_e32 v10, v10, v20, vcc
	v_cndmask_b32_e32 v11, v14, v15, vcc
	v_lshlrev_b32_e32 v14, 8, v16
	v_mov_b32_e32 v15, 0x3b800000
	v_lshlrev_b32_e32 v10, 20, v10
	v_and_b32_e32 v14, 0x80000000, v14
	v_lshl_add_u32 v11, v11, 23, v15
	v_or3_b32 v10, v14, v11, v10
.LBB16_340:
	s_or_b64 exec, exec, s[6:7]
	s_movk_i32 s4, 0xff
	v_and_b32_sdwa v11, v12, s4 dst_sel:DWORD dst_unused:UNUSED_PAD src0_sel:WORD_1 src1_sel:DWORD
	s_movk_i32 s4, 0x7f
	v_cmp_lt_i16_e32 vcc, s4, v11
	s_mov_b64 s[4:5], 0
                                        ; implicit-def: $sgpr10
	s_and_saveexec_b64 s[6:7], vcc
	s_xor_b64 s[6:7], exec, s[6:7]
	s_cbranch_execnz .LBB16_2389
; %bb.341:
	s_or_saveexec_b64 s[6:7], s[6:7]
	v_mov_b32_e32 v14, s10
	s_xor_b64 exec, exec, s[6:7]
	s_cbranch_execnz .LBB16_2392
.LBB16_342:
	s_or_b64 exec, exec, s[6:7]
	s_and_saveexec_b64 s[6:7], s[4:5]
	s_cbranch_execz .LBB16_344
.LBB16_343:
	v_bfe_u32 v11, v12, 16, 3
	v_ffbh_u32_e32 v20, v11
	v_min_u32_e32 v20, 32, v20
	v_lshrrev_b32_e32 v14, 19, v12
	v_subrev_u32_e32 v21, 28, v20
	v_and_b32_e32 v14, 15, v14
	v_lshlrev_b32_sdwa v21, v21, v12 dst_sel:DWORD dst_unused:UNUSED_PAD src0_sel:DWORD src1_sel:WORD_1
	v_bfe_u32 v15, v12, 19, 4
	v_sub_u32_e32 v20, 29, v20
	v_and_b32_e32 v21, 7, v21
	v_cmp_eq_u16_e32 vcc, 0, v14
	v_cndmask_b32_e32 v11, v11, v21, vcc
	v_cndmask_b32_e32 v14, v15, v20, vcc
	v_lshlrev_b32_e32 v15, 8, v12
	v_mov_b32_e32 v20, 0x3b800000
	v_lshlrev_b32_e32 v11, 20, v11
	v_and_b32_e32 v15, 0x80000000, v15
	v_lshl_add_u32 v14, v14, 23, v20
	v_or3_b32 v14, v15, v14, v11
.LBB16_344:
	s_or_b64 exec, exec, s[6:7]
	s_nop 0
	v_mfma_f32_16x16x4f32 a[0:3], v10, v14, a[0:3]
	s_movk_i32 s4, 0x7f
	v_cmp_gt_i16_sdwa s[6:7], v16, s4 src0_sel:BYTE_3 src1_sel:DWORD
	s_mov_b64 s[4:5], 0
                                        ; implicit-def: $sgpr10
	s_and_saveexec_b64 s[8:9], s[6:7]
	s_xor_b64 s[6:7], exec, s[8:9]
	s_cbranch_execnz .LBB16_2393
; %bb.345:
	s_or_saveexec_b64 s[6:7], s[6:7]
	v_mov_b32_e32 v10, s10
	s_xor_b64 exec, exec, s[6:7]
	s_cbranch_execnz .LBB16_2396
.LBB16_346:
	s_or_b64 exec, exec, s[6:7]
	s_and_saveexec_b64 s[6:7], s[4:5]
	s_cbranch_execz .LBB16_348
.LBB16_347:
	v_bfe_u32 v10, v16, 24, 3
	v_ffbh_u32_e32 v20, v10
	v_min_u32_e32 v20, 32, v20
	v_lshrrev_b32_e32 v14, 27, v16
	v_subrev_u32_e32 v21, 28, v20
	v_and_b32_e32 v11, 0x80000000, v16
	v_and_b32_e32 v14, 15, v14
	v_bfe_u32 v15, v16, 27, 4
	v_lshlrev_b32_sdwa v16, v21, v16 dst_sel:DWORD dst_unused:UNUSED_PAD src0_sel:DWORD src1_sel:BYTE_3
	v_sub_u32_e32 v20, 29, v20
	v_and_b32_e32 v16, 7, v16
	v_cmp_eq_u16_e32 vcc, 0, v14
	v_cndmask_b32_e32 v10, v10, v16, vcc
	v_cndmask_b32_e32 v14, v15, v20, vcc
	v_mov_b32_e32 v15, 0x3b800000
	v_lshlrev_b32_e32 v10, 20, v10
	v_lshl_add_u32 v14, v14, 23, v15
	v_or3_b32 v10, v11, v14, v10
.LBB16_348:
	s_or_b64 exec, exec, s[6:7]
	s_movk_i32 s4, 0x7f
	v_cmp_gt_i16_sdwa s[6:7], v12, s4 src0_sel:BYTE_3 src1_sel:DWORD
	s_mov_b64 s[4:5], 0
                                        ; implicit-def: $sgpr10
	s_and_saveexec_b64 s[8:9], s[6:7]
	s_xor_b64 s[6:7], exec, s[8:9]
	s_cbranch_execnz .LBB16_2397
; %bb.349:
	s_or_saveexec_b64 s[6:7], s[6:7]
	v_mov_b32_e32 v11, s10
	s_xor_b64 exec, exec, s[6:7]
	s_cbranch_execnz .LBB16_2400
.LBB16_350:
	s_or_b64 exec, exec, s[6:7]
	s_and_saveexec_b64 s[6:7], s[4:5]
	s_cbranch_execz .LBB16_352
.LBB16_351:
	v_bfe_u32 v11, v12, 24, 3
	v_ffbh_u32_e32 v20, v11
	v_min_u32_e32 v20, 32, v20
	v_lshrrev_b32_e32 v15, 27, v12
	v_subrev_u32_e32 v21, 28, v20
	v_and_b32_e32 v14, 0x80000000, v12
	v_and_b32_e32 v15, 15, v15
	v_bfe_u32 v16, v12, 27, 4
	v_lshlrev_b32_sdwa v12, v21, v12 dst_sel:DWORD dst_unused:UNUSED_PAD src0_sel:DWORD src1_sel:BYTE_3
	v_sub_u32_e32 v20, 29, v20
	v_and_b32_e32 v12, 7, v12
	v_cmp_eq_u16_e32 vcc, 0, v15
	v_cndmask_b32_e32 v11, v11, v12, vcc
	v_cndmask_b32_e32 v12, v16, v20, vcc
	v_mov_b32_e32 v15, 0x3b800000
	v_lshlrev_b32_e32 v11, 20, v11
	v_lshl_add_u32 v12, v12, 23, v15
	v_or3_b32 v11, v14, v12, v11
.LBB16_352:
	s_or_b64 exec, exec, s[6:7]
	s_nop 0
	v_mfma_f32_16x16x4f32 a[0:3], v10, v11, a[0:3]
	s_movk_i32 s4, 0x7f
	v_cmp_gt_i16_sdwa s[6:7], v17, s4 src0_sel:BYTE_0 src1_sel:DWORD
	s_mov_b64 s[4:5], 0
                                        ; implicit-def: $sgpr10
	s_and_saveexec_b64 s[8:9], s[6:7]
	s_xor_b64 s[6:7], exec, s[8:9]
	s_cbranch_execnz .LBB16_2401
; %bb.353:
	s_or_saveexec_b64 s[6:7], s[6:7]
	v_mov_b32_e32 v10, s10
	s_xor_b64 exec, exec, s[6:7]
	s_cbranch_execnz .LBB16_2404
.LBB16_354:
	s_or_b64 exec, exec, s[6:7]
	s_and_saveexec_b64 s[6:7], s[4:5]
	s_cbranch_execz .LBB16_356
.LBB16_355:
	v_and_b32_e32 v10, 7, v17
	v_ffbh_u32_e32 v12, v10
	v_min_u32_e32 v12, 32, v12
	v_lshrrev_b16_e32 v11, 3, v17
	v_subrev_u32_e32 v14, 28, v12
	v_and_b32_e32 v11, 15, v11
	v_lshlrev_b32_e32 v14, v14, v17
	v_sub_u32_e32 v12, 29, v12
	v_and_b32_e32 v14, 7, v14
	v_cmp_eq_u16_e32 vcc, 0, v11
	v_cndmask_b32_e32 v10, v10, v14, vcc
	v_cndmask_b32_e32 v11, v11, v12, vcc
	v_lshlrev_b32_e32 v12, 24, v17
	v_mov_b32_e32 v14, 0x3b800000
	v_lshlrev_b32_e32 v10, 20, v10
	v_and_b32_e32 v12, 0x80000000, v12
	v_lshl_add_u32 v11, v11, 23, v14
	v_or3_b32 v10, v12, v11, v10
.LBB16_356:
	s_or_b64 exec, exec, s[6:7]
	s_movk_i32 s4, 0x7f
	v_cmp_gt_i16_sdwa s[6:7], v13, s4 src0_sel:BYTE_0 src1_sel:DWORD
	s_mov_b64 s[4:5], 0
                                        ; implicit-def: $sgpr10
	s_and_saveexec_b64 s[8:9], s[6:7]
	s_xor_b64 s[6:7], exec, s[8:9]
	s_cbranch_execnz .LBB16_2405
; %bb.357:
	s_or_saveexec_b64 s[6:7], s[6:7]
	v_mov_b32_e32 v11, s10
	s_xor_b64 exec, exec, s[6:7]
	s_cbranch_execnz .LBB16_2408
.LBB16_358:
	s_or_b64 exec, exec, s[6:7]
	s_and_saveexec_b64 s[6:7], s[4:5]
	s_cbranch_execz .LBB16_360
.LBB16_359:
	v_and_b32_e32 v11, 7, v13
	v_ffbh_u32_e32 v14, v11
	v_min_u32_e32 v14, 32, v14
	v_lshrrev_b16_e32 v12, 3, v13
	v_subrev_u32_e32 v15, 28, v14
	v_and_b32_e32 v12, 15, v12
	v_lshlrev_b32_e32 v15, v15, v13
	v_sub_u32_e32 v14, 29, v14
	v_and_b32_e32 v15, 7, v15
	v_cmp_eq_u16_e32 vcc, 0, v12
	v_cndmask_b32_e32 v11, v11, v15, vcc
	v_cndmask_b32_e32 v12, v12, v14, vcc
	v_lshlrev_b32_e32 v14, 24, v13
	v_mov_b32_e32 v15, 0x3b800000
	v_lshlrev_b32_e32 v11, 20, v11
	v_and_b32_e32 v14, 0x80000000, v14
	v_lshl_add_u32 v12, v12, 23, v15
	v_or3_b32 v11, v14, v12, v11
.LBB16_360:
	s_or_b64 exec, exec, s[6:7]
	s_nop 0
	v_mfma_f32_16x16x4f32 a[0:3], v10, v11, a[0:3]
	v_lshrrev_b32_e32 v11, 8, v17
	s_movk_i32 s4, 0x7f
	v_cmp_gt_i16_sdwa s[6:7], v11, s4 src0_sel:BYTE_0 src1_sel:DWORD
	s_mov_b64 s[4:5], 0
                                        ; implicit-def: $sgpr10
	s_and_saveexec_b64 s[8:9], s[6:7]
	s_xor_b64 s[6:7], exec, s[8:9]
	s_cbranch_execnz .LBB16_2409
; %bb.361:
	s_or_saveexec_b64 s[6:7], s[6:7]
	v_mov_b32_e32 v10, s10
	s_xor_b64 exec, exec, s[6:7]
	s_cbranch_execnz .LBB16_2412
.LBB16_362:
	s_or_b64 exec, exec, s[6:7]
	s_and_saveexec_b64 s[6:7], s[4:5]
	s_cbranch_execz .LBB16_364
.LBB16_363:
	v_bfe_u32 v10, v17, 8, 3
	v_ffbh_u32_e32 v14, v10
	v_min_u32_e32 v14, 32, v14
	v_lshrrev_b16_e32 v12, 3, v11
	v_subrev_u32_e32 v15, 28, v14
	v_and_b32_e32 v12, 15, v12
	v_lshlrev_b32_e32 v11, v15, v11
	v_sub_u32_e32 v14, 29, v14
	v_and_b32_e32 v11, 7, v11
	v_cmp_eq_u16_e32 vcc, 0, v12
	v_cndmask_b32_e32 v10, v10, v11, vcc
	v_cndmask_b32_e32 v11, v12, v14, vcc
	v_lshlrev_b32_e32 v12, 16, v17
	v_mov_b32_e32 v14, 0x3b800000
	v_lshlrev_b32_e32 v10, 20, v10
	v_and_b32_e32 v12, 0x80000000, v12
	v_lshl_add_u32 v11, v11, 23, v14
	v_or3_b32 v10, v12, v11, v10
.LBB16_364:
	s_or_b64 exec, exec, s[6:7]
	v_lshrrev_b32_e32 v11, 8, v13
	s_movk_i32 s4, 0x7f
	v_cmp_gt_i16_sdwa s[6:7], v11, s4 src0_sel:BYTE_0 src1_sel:DWORD
	s_mov_b64 s[4:5], 0
                                        ; implicit-def: $sgpr10
	s_and_saveexec_b64 s[8:9], s[6:7]
	s_xor_b64 s[6:7], exec, s[8:9]
	s_cbranch_execnz .LBB16_2413
; %bb.365:
	s_or_saveexec_b64 s[6:7], s[6:7]
	v_mov_b32_e32 v12, s10
	s_xor_b64 exec, exec, s[6:7]
	s_cbranch_execnz .LBB16_2416
.LBB16_366:
	s_or_b64 exec, exec, s[6:7]
	s_and_saveexec_b64 s[6:7], s[4:5]
	s_cbranch_execz .LBB16_368
.LBB16_367:
	v_bfe_u32 v12, v13, 8, 3
	v_ffbh_u32_e32 v15, v12
	v_min_u32_e32 v15, 32, v15
	v_lshrrev_b16_e32 v14, 3, v11
	v_subrev_u32_e32 v16, 28, v15
	v_and_b32_e32 v14, 15, v14
	v_lshlrev_b32_e32 v11, v16, v11
	v_sub_u32_e32 v15, 29, v15
	v_and_b32_e32 v11, 7, v11
	v_cmp_eq_u16_e32 vcc, 0, v14
	v_cndmask_b32_e32 v11, v12, v11, vcc
	v_cndmask_b32_e32 v12, v14, v15, vcc
	v_lshlrev_b32_e32 v14, 16, v13
	v_mov_b32_e32 v15, 0x3b800000
	v_lshlrev_b32_e32 v11, 20, v11
	v_and_b32_e32 v14, 0x80000000, v14
	v_lshl_add_u32 v12, v12, 23, v15
	v_or3_b32 v12, v14, v12, v11
.LBB16_368:
	s_or_b64 exec, exec, s[6:7]
	s_nop 0
	v_mfma_f32_16x16x4f32 a[0:3], v10, v12, a[0:3]
	s_movk_i32 s4, 0xff
	v_and_b32_sdwa v11, v17, s4 dst_sel:DWORD dst_unused:UNUSED_PAD src0_sel:WORD_1 src1_sel:DWORD
	s_movk_i32 s4, 0x7f
	v_cmp_lt_i16_e32 vcc, s4, v11
	s_mov_b64 s[4:5], 0
                                        ; implicit-def: $sgpr10
	s_and_saveexec_b64 s[6:7], vcc
	s_xor_b64 s[6:7], exec, s[6:7]
	s_cbranch_execnz .LBB16_2417
; %bb.369:
	s_or_saveexec_b64 s[6:7], s[6:7]
	v_mov_b32_e32 v10, s10
	s_xor_b64 exec, exec, s[6:7]
	s_cbranch_execnz .LBB16_2420
.LBB16_370:
	s_or_b64 exec, exec, s[6:7]
	s_and_saveexec_b64 s[6:7], s[4:5]
	s_cbranch_execz .LBB16_372
.LBB16_371:
	v_bfe_u32 v10, v17, 16, 3
	v_ffbh_u32_e32 v14, v10
	v_min_u32_e32 v14, 32, v14
	v_lshrrev_b32_e32 v11, 19, v17
	v_subrev_u32_e32 v15, 28, v14
	v_and_b32_e32 v11, 15, v11
	v_lshlrev_b32_sdwa v15, v15, v17 dst_sel:DWORD dst_unused:UNUSED_PAD src0_sel:DWORD src1_sel:WORD_1
	v_bfe_u32 v12, v17, 19, 4
	v_sub_u32_e32 v14, 29, v14
	v_and_b32_e32 v15, 7, v15
	v_cmp_eq_u16_e32 vcc, 0, v11
	v_cndmask_b32_e32 v10, v10, v15, vcc
	v_cndmask_b32_e32 v11, v12, v14, vcc
	v_lshlrev_b32_e32 v12, 8, v17
	v_mov_b32_e32 v14, 0x3b800000
	v_lshlrev_b32_e32 v10, 20, v10
	v_and_b32_e32 v12, 0x80000000, v12
	v_lshl_add_u32 v11, v11, 23, v14
	v_or3_b32 v10, v12, v11, v10
.LBB16_372:
	s_or_b64 exec, exec, s[6:7]
	s_movk_i32 s4, 0xff
	v_and_b32_sdwa v11, v13, s4 dst_sel:DWORD dst_unused:UNUSED_PAD src0_sel:WORD_1 src1_sel:DWORD
	s_movk_i32 s4, 0x7f
	v_cmp_lt_i16_e32 vcc, s4, v11
	s_mov_b64 s[4:5], 0
                                        ; implicit-def: $sgpr10
	s_and_saveexec_b64 s[6:7], vcc
	s_xor_b64 s[6:7], exec, s[6:7]
	s_cbranch_execnz .LBB16_2421
; %bb.373:
	s_or_saveexec_b64 s[6:7], s[6:7]
	v_mov_b32_e32 v12, s10
	s_xor_b64 exec, exec, s[6:7]
	s_cbranch_execnz .LBB16_2424
.LBB16_374:
	s_or_b64 exec, exec, s[6:7]
	s_and_saveexec_b64 s[6:7], s[4:5]
	s_cbranch_execz .LBB16_376
.LBB16_375:
	v_bfe_u32 v11, v13, 16, 3
	v_ffbh_u32_e32 v15, v11
	v_min_u32_e32 v15, 32, v15
	v_lshrrev_b32_e32 v12, 19, v13
	v_subrev_u32_e32 v16, 28, v15
	v_and_b32_e32 v12, 15, v12
	v_lshlrev_b32_sdwa v16, v16, v13 dst_sel:DWORD dst_unused:UNUSED_PAD src0_sel:DWORD src1_sel:WORD_1
	v_bfe_u32 v14, v13, 19, 4
	v_sub_u32_e32 v15, 29, v15
	v_and_b32_e32 v16, 7, v16
	v_cmp_eq_u16_e32 vcc, 0, v12
	v_cndmask_b32_e32 v11, v11, v16, vcc
	v_cndmask_b32_e32 v12, v14, v15, vcc
	v_lshlrev_b32_e32 v14, 8, v13
	v_mov_b32_e32 v15, 0x3b800000
	v_lshlrev_b32_e32 v11, 20, v11
	v_and_b32_e32 v14, 0x80000000, v14
	v_lshl_add_u32 v12, v12, 23, v15
	v_or3_b32 v12, v14, v12, v11
.LBB16_376:
	s_or_b64 exec, exec, s[6:7]
	s_nop 0
	v_mfma_f32_16x16x4f32 a[0:3], v10, v12, a[0:3]
	s_movk_i32 s4, 0x7f
	v_cmp_gt_i16_sdwa s[6:7], v17, s4 src0_sel:BYTE_3 src1_sel:DWORD
	s_mov_b64 s[4:5], 0
                                        ; implicit-def: $sgpr10
	s_and_saveexec_b64 s[8:9], s[6:7]
	s_xor_b64 s[6:7], exec, s[8:9]
	s_cbranch_execnz .LBB16_2425
; %bb.377:
	s_or_saveexec_b64 s[6:7], s[6:7]
	v_mov_b32_e32 v10, s10
	s_xor_b64 exec, exec, s[6:7]
	s_cbranch_execnz .LBB16_2428
.LBB16_378:
	s_or_b64 exec, exec, s[6:7]
	s_and_saveexec_b64 s[6:7], s[4:5]
	s_cbranch_execz .LBB16_380
.LBB16_379:
	v_bfe_u32 v10, v17, 24, 3
	v_ffbh_u32_e32 v15, v10
	v_min_u32_e32 v15, 32, v15
	v_lshrrev_b32_e32 v12, 27, v17
	v_subrev_u32_e32 v16, 28, v15
	v_and_b32_e32 v12, 15, v12
	v_lshlrev_b32_sdwa v16, v16, v17 dst_sel:DWORD dst_unused:UNUSED_PAD src0_sel:DWORD src1_sel:BYTE_3
	v_bfe_u32 v14, v17, 27, 4
	v_sub_u32_e32 v15, 29, v15
	v_and_b32_e32 v16, 7, v16
	v_cmp_eq_u16_e32 vcc, 0, v12
	v_cndmask_b32_e32 v10, v10, v16, vcc
	v_cndmask_b32_e32 v12, v14, v15, vcc
	v_mov_b32_e32 v14, 0x3b800000
	v_and_b32_e32 v11, 0x80000000, v17
	v_lshlrev_b32_e32 v10, 20, v10
	v_lshl_add_u32 v12, v12, 23, v14
	v_or3_b32 v10, v11, v12, v10
.LBB16_380:
	s_or_b64 exec, exec, s[6:7]
	s_movk_i32 s4, 0x7f
	v_cmp_gt_i16_sdwa s[6:7], v13, s4 src0_sel:BYTE_3 src1_sel:DWORD
	s_mov_b64 s[4:5], 0
                                        ; implicit-def: $sgpr10
	s_and_saveexec_b64 s[8:9], s[6:7]
	s_xor_b64 s[6:7], exec, s[8:9]
	s_cbranch_execnz .LBB16_2429
; %bb.381:
	s_or_saveexec_b64 s[6:7], s[6:7]
	v_mov_b32_e32 v11, s10
	s_xor_b64 exec, exec, s[6:7]
	s_cbranch_execnz .LBB16_2432
.LBB16_382:
	s_or_b64 exec, exec, s[6:7]
	s_and_saveexec_b64 s[6:7], s[4:5]
	s_cbranch_execz .LBB16_384
.LBB16_383:
	v_bfe_u32 v11, v13, 24, 3
	v_ffbh_u32_e32 v16, v11
	v_min_u32_e32 v16, 32, v16
	v_lshrrev_b32_e32 v14, 27, v13
	v_subrev_u32_e32 v17, 28, v16
	v_and_b32_e32 v12, 0x80000000, v13
	v_and_b32_e32 v14, 15, v14
	v_bfe_u32 v15, v13, 27, 4
	v_lshlrev_b32_sdwa v13, v17, v13 dst_sel:DWORD dst_unused:UNUSED_PAD src0_sel:DWORD src1_sel:BYTE_3
	v_sub_u32_e32 v16, 29, v16
	v_and_b32_e32 v13, 7, v13
	v_cmp_eq_u16_e32 vcc, 0, v14
	v_cndmask_b32_e32 v11, v11, v13, vcc
	v_cndmask_b32_e32 v13, v15, v16, vcc
	v_mov_b32_e32 v14, 0x3b800000
	v_lshlrev_b32_e32 v11, 20, v11
	v_lshl_add_u32 v13, v13, 23, v14
	v_or3_b32 v11, v12, v13, v11
.LBB16_384:
	s_or_b64 exec, exec, s[6:7]
	s_nop 0
	v_mfma_f32_16x16x4f32 a[0:3], v10, v11, a[0:3]
	s_movk_i32 s4, 0x7f
	v_cmp_gt_i16_sdwa s[6:7], v6, s4 src0_sel:BYTE_0 src1_sel:DWORD
	s_mov_b64 s[4:5], 0
                                        ; implicit-def: $sgpr10
	s_and_saveexec_b64 s[8:9], s[6:7]
	s_xor_b64 s[6:7], exec, s[8:9]
	s_cbranch_execnz .LBB16_2433
; %bb.385:
	s_or_saveexec_b64 s[6:7], s[6:7]
	v_mov_b32_e32 v10, s10
	s_xor_b64 exec, exec, s[6:7]
	s_cbranch_execnz .LBB16_2436
.LBB16_386:
	s_or_b64 exec, exec, s[6:7]
	s_and_saveexec_b64 s[6:7], s[4:5]
	s_cbranch_execz .LBB16_388
.LBB16_387:
	v_and_b32_e32 v10, 7, v6
	v_ffbh_u32_e32 v12, v10
	v_min_u32_e32 v12, 32, v12
	v_lshrrev_b16_e32 v11, 3, v6
	v_subrev_u32_e32 v13, 28, v12
	v_and_b32_e32 v11, 15, v11
	v_lshlrev_b32_e32 v13, v13, v6
	v_sub_u32_e32 v12, 29, v12
	v_and_b32_e32 v13, 7, v13
	v_cmp_eq_u16_e32 vcc, 0, v11
	v_cndmask_b32_e32 v10, v10, v13, vcc
	v_cndmask_b32_e32 v11, v11, v12, vcc
	v_lshlrev_b32_e32 v12, 24, v6
	v_mov_b32_e32 v13, 0x3b800000
	v_lshlrev_b32_e32 v10, 20, v10
	v_and_b32_e32 v12, 0x80000000, v12
	v_lshl_add_u32 v11, v11, 23, v13
	v_or3_b32 v10, v12, v11, v10
.LBB16_388:
	s_or_b64 exec, exec, s[6:7]
	s_movk_i32 s4, 0x7f
	v_cmp_gt_i16_sdwa s[6:7], v2, s4 src0_sel:BYTE_0 src1_sel:DWORD
	s_mov_b64 s[4:5], 0
                                        ; implicit-def: $sgpr10
	s_and_saveexec_b64 s[8:9], s[6:7]
	s_xor_b64 s[6:7], exec, s[8:9]
	s_cbranch_execnz .LBB16_2437
; %bb.389:
	s_or_saveexec_b64 s[6:7], s[6:7]
	v_mov_b32_e32 v11, s10
	s_xor_b64 exec, exec, s[6:7]
	s_cbranch_execnz .LBB16_2440
.LBB16_390:
	s_or_b64 exec, exec, s[6:7]
	s_and_saveexec_b64 s[6:7], s[4:5]
	s_cbranch_execz .LBB16_392
.LBB16_391:
	v_and_b32_e32 v11, 7, v2
	v_ffbh_u32_e32 v13, v11
	v_min_u32_e32 v13, 32, v13
	v_lshrrev_b16_e32 v12, 3, v2
	v_subrev_u32_e32 v14, 28, v13
	v_and_b32_e32 v12, 15, v12
	v_lshlrev_b32_e32 v14, v14, v2
	v_sub_u32_e32 v13, 29, v13
	v_and_b32_e32 v14, 7, v14
	v_cmp_eq_u16_e32 vcc, 0, v12
	v_cndmask_b32_e32 v11, v11, v14, vcc
	v_cndmask_b32_e32 v12, v12, v13, vcc
	v_lshlrev_b32_e32 v13, 24, v2
	v_mov_b32_e32 v14, 0x3b800000
	v_lshlrev_b32_e32 v11, 20, v11
	v_and_b32_e32 v13, 0x80000000, v13
	v_lshl_add_u32 v12, v12, 23, v14
	v_or3_b32 v11, v13, v12, v11
.LBB16_392:
	s_or_b64 exec, exec, s[6:7]
	s_nop 0
	v_mfma_f32_16x16x4f32 a[0:3], v10, v11, a[0:3]
	v_lshrrev_b32_e32 v11, 8, v6
	s_movk_i32 s4, 0x7f
	v_cmp_gt_i16_sdwa s[6:7], v11, s4 src0_sel:BYTE_0 src1_sel:DWORD
	s_mov_b64 s[4:5], 0
                                        ; implicit-def: $sgpr10
	s_and_saveexec_b64 s[8:9], s[6:7]
	s_xor_b64 s[6:7], exec, s[8:9]
	s_cbranch_execnz .LBB16_2441
; %bb.393:
	s_or_saveexec_b64 s[6:7], s[6:7]
	v_mov_b32_e32 v10, s10
	s_xor_b64 exec, exec, s[6:7]
	s_cbranch_execnz .LBB16_2444
.LBB16_394:
	s_or_b64 exec, exec, s[6:7]
	s_and_saveexec_b64 s[6:7], s[4:5]
	s_cbranch_execz .LBB16_396
.LBB16_395:
	v_bfe_u32 v10, v6, 8, 3
	v_ffbh_u32_e32 v13, v10
	v_min_u32_e32 v13, 32, v13
	v_lshrrev_b16_e32 v12, 3, v11
	v_subrev_u32_e32 v14, 28, v13
	v_and_b32_e32 v12, 15, v12
	v_lshlrev_b32_e32 v11, v14, v11
	v_sub_u32_e32 v13, 29, v13
	v_and_b32_e32 v11, 7, v11
	v_cmp_eq_u16_e32 vcc, 0, v12
	v_cndmask_b32_e32 v10, v10, v11, vcc
	v_cndmask_b32_e32 v11, v12, v13, vcc
	v_lshlrev_b32_e32 v12, 16, v6
	v_mov_b32_e32 v13, 0x3b800000
	v_lshlrev_b32_e32 v10, 20, v10
	v_and_b32_e32 v12, 0x80000000, v12
	v_lshl_add_u32 v11, v11, 23, v13
	v_or3_b32 v10, v12, v11, v10
.LBB16_396:
	s_or_b64 exec, exec, s[6:7]
	v_lshrrev_b32_e32 v11, 8, v2
	s_movk_i32 s4, 0x7f
	v_cmp_gt_i16_sdwa s[6:7], v11, s4 src0_sel:BYTE_0 src1_sel:DWORD
	s_mov_b64 s[4:5], 0
                                        ; implicit-def: $sgpr10
	s_and_saveexec_b64 s[8:9], s[6:7]
	s_xor_b64 s[6:7], exec, s[8:9]
	s_cbranch_execnz .LBB16_2445
; %bb.397:
	s_or_saveexec_b64 s[6:7], s[6:7]
	v_mov_b32_e32 v12, s10
	s_xor_b64 exec, exec, s[6:7]
	s_cbranch_execnz .LBB16_2448
.LBB16_398:
	s_or_b64 exec, exec, s[6:7]
	s_and_saveexec_b64 s[6:7], s[4:5]
	s_cbranch_execz .LBB16_400
.LBB16_399:
	v_bfe_u32 v12, v2, 8, 3
	v_ffbh_u32_e32 v14, v12
	v_min_u32_e32 v14, 32, v14
	v_lshrrev_b16_e32 v13, 3, v11
	v_subrev_u32_e32 v15, 28, v14
	v_and_b32_e32 v13, 15, v13
	v_lshlrev_b32_e32 v11, v15, v11
	v_sub_u32_e32 v14, 29, v14
	v_and_b32_e32 v11, 7, v11
	v_cmp_eq_u16_e32 vcc, 0, v13
	v_cndmask_b32_e32 v11, v12, v11, vcc
	v_cndmask_b32_e32 v12, v13, v14, vcc
	v_lshlrev_b32_e32 v13, 16, v2
	v_mov_b32_e32 v14, 0x3b800000
	v_lshlrev_b32_e32 v11, 20, v11
	v_and_b32_e32 v13, 0x80000000, v13
	v_lshl_add_u32 v12, v12, 23, v14
	v_or3_b32 v12, v13, v12, v11
.LBB16_400:
	s_or_b64 exec, exec, s[6:7]
	s_nop 0
	v_mfma_f32_16x16x4f32 a[0:3], v10, v12, a[0:3]
	s_movk_i32 s4, 0xff
	v_and_b32_sdwa v11, v6, s4 dst_sel:DWORD dst_unused:UNUSED_PAD src0_sel:WORD_1 src1_sel:DWORD
	s_movk_i32 s4, 0x7f
	v_cmp_lt_i16_e32 vcc, s4, v11
	s_mov_b64 s[4:5], 0
                                        ; implicit-def: $sgpr10
	s_and_saveexec_b64 s[6:7], vcc
	s_xor_b64 s[6:7], exec, s[6:7]
	s_cbranch_execnz .LBB16_2449
; %bb.401:
	s_or_saveexec_b64 s[6:7], s[6:7]
	v_mov_b32_e32 v10, s10
	s_xor_b64 exec, exec, s[6:7]
	s_cbranch_execnz .LBB16_2452
.LBB16_402:
	s_or_b64 exec, exec, s[6:7]
	s_and_saveexec_b64 s[6:7], s[4:5]
	s_cbranch_execz .LBB16_404
.LBB16_403:
	v_bfe_u32 v10, v6, 16, 3
	v_ffbh_u32_e32 v13, v10
	v_min_u32_e32 v13, 32, v13
	v_lshrrev_b32_e32 v11, 19, v6
	v_subrev_u32_e32 v14, 28, v13
	v_and_b32_e32 v11, 15, v11
	v_lshlrev_b32_sdwa v14, v14, v6 dst_sel:DWORD dst_unused:UNUSED_PAD src0_sel:DWORD src1_sel:WORD_1
	v_bfe_u32 v12, v6, 19, 4
	v_sub_u32_e32 v13, 29, v13
	v_and_b32_e32 v14, 7, v14
	v_cmp_eq_u16_e32 vcc, 0, v11
	v_cndmask_b32_e32 v10, v10, v14, vcc
	v_cndmask_b32_e32 v11, v12, v13, vcc
	v_lshlrev_b32_e32 v12, 8, v6
	v_mov_b32_e32 v13, 0x3b800000
	v_lshlrev_b32_e32 v10, 20, v10
	v_and_b32_e32 v12, 0x80000000, v12
	v_lshl_add_u32 v11, v11, 23, v13
	v_or3_b32 v10, v12, v11, v10
.LBB16_404:
	s_or_b64 exec, exec, s[6:7]
	s_movk_i32 s4, 0xff
	v_and_b32_sdwa v11, v2, s4 dst_sel:DWORD dst_unused:UNUSED_PAD src0_sel:WORD_1 src1_sel:DWORD
	s_movk_i32 s4, 0x7f
	v_cmp_lt_i16_e32 vcc, s4, v11
	s_mov_b64 s[4:5], 0
                                        ; implicit-def: $sgpr10
	s_and_saveexec_b64 s[6:7], vcc
	s_xor_b64 s[6:7], exec, s[6:7]
	s_cbranch_execnz .LBB16_2453
; %bb.405:
	s_or_saveexec_b64 s[6:7], s[6:7]
	v_mov_b32_e32 v12, s10
	s_xor_b64 exec, exec, s[6:7]
	s_cbranch_execnz .LBB16_2456
.LBB16_406:
	s_or_b64 exec, exec, s[6:7]
	s_and_saveexec_b64 s[6:7], s[4:5]
	s_cbranch_execz .LBB16_408
.LBB16_407:
	v_bfe_u32 v11, v2, 16, 3
	v_ffbh_u32_e32 v14, v11
	v_min_u32_e32 v14, 32, v14
	v_lshrrev_b32_e32 v12, 19, v2
	v_subrev_u32_e32 v15, 28, v14
	v_and_b32_e32 v12, 15, v12
	v_lshlrev_b32_sdwa v15, v15, v2 dst_sel:DWORD dst_unused:UNUSED_PAD src0_sel:DWORD src1_sel:WORD_1
	v_bfe_u32 v13, v2, 19, 4
	v_sub_u32_e32 v14, 29, v14
	v_and_b32_e32 v15, 7, v15
	v_cmp_eq_u16_e32 vcc, 0, v12
	v_cndmask_b32_e32 v11, v11, v15, vcc
	v_cndmask_b32_e32 v12, v13, v14, vcc
	v_lshlrev_b32_e32 v13, 8, v2
	v_mov_b32_e32 v14, 0x3b800000
	v_lshlrev_b32_e32 v11, 20, v11
	v_and_b32_e32 v13, 0x80000000, v13
	v_lshl_add_u32 v12, v12, 23, v14
	v_or3_b32 v12, v13, v12, v11
.LBB16_408:
	s_or_b64 exec, exec, s[6:7]
	s_nop 0
	v_mfma_f32_16x16x4f32 a[0:3], v10, v12, a[0:3]
	s_movk_i32 s4, 0x7f
	v_cmp_gt_i16_sdwa s[6:7], v6, s4 src0_sel:BYTE_3 src1_sel:DWORD
	s_mov_b64 s[4:5], 0
                                        ; implicit-def: $sgpr10
	s_and_saveexec_b64 s[8:9], s[6:7]
	s_xor_b64 s[6:7], exec, s[8:9]
	s_cbranch_execnz .LBB16_2457
; %bb.409:
	s_or_saveexec_b64 s[6:7], s[6:7]
	v_mov_b32_e32 v10, s10
	s_xor_b64 exec, exec, s[6:7]
	s_cbranch_execnz .LBB16_2460
.LBB16_410:
	s_or_b64 exec, exec, s[6:7]
	s_and_saveexec_b64 s[6:7], s[4:5]
	s_cbranch_execz .LBB16_412
.LBB16_411:
	v_bfe_u32 v10, v6, 24, 3
	v_ffbh_u32_e32 v14, v10
	v_min_u32_e32 v14, 32, v14
	v_lshrrev_b32_e32 v12, 27, v6
	v_subrev_u32_e32 v15, 28, v14
	v_and_b32_e32 v11, 0x80000000, v6
	v_and_b32_e32 v12, 15, v12
	v_bfe_u32 v13, v6, 27, 4
	v_lshlrev_b32_sdwa v6, v15, v6 dst_sel:DWORD dst_unused:UNUSED_PAD src0_sel:DWORD src1_sel:BYTE_3
	v_sub_u32_e32 v14, 29, v14
	v_and_b32_e32 v6, 7, v6
	v_cmp_eq_u16_e32 vcc, 0, v12
	v_cndmask_b32_e32 v6, v10, v6, vcc
	v_cndmask_b32_e32 v10, v13, v14, vcc
	v_mov_b32_e32 v12, 0x3b800000
	v_lshlrev_b32_e32 v6, 20, v6
	v_lshl_add_u32 v10, v10, 23, v12
	v_or3_b32 v10, v11, v10, v6
.LBB16_412:
	s_or_b64 exec, exec, s[6:7]
	s_movk_i32 s4, 0x7f
	v_cmp_gt_i16_sdwa s[6:7], v2, s4 src0_sel:BYTE_3 src1_sel:DWORD
	s_mov_b64 s[4:5], 0
                                        ; implicit-def: $sgpr10
	s_and_saveexec_b64 s[8:9], s[6:7]
	s_xor_b64 s[6:7], exec, s[8:9]
	s_cbranch_execnz .LBB16_2461
; %bb.413:
	s_or_saveexec_b64 s[6:7], s[6:7]
	v_mov_b32_e32 v6, s10
	s_xor_b64 exec, exec, s[6:7]
	s_cbranch_execnz .LBB16_2464
.LBB16_414:
	s_or_b64 exec, exec, s[6:7]
	s_and_saveexec_b64 s[6:7], s[4:5]
	s_cbranch_execz .LBB16_416
.LBB16_415:
	v_bfe_u32 v6, v2, 24, 3
	v_ffbh_u32_e32 v14, v6
	v_min_u32_e32 v14, 32, v14
	v_lshrrev_b32_e32 v12, 27, v2
	v_subrev_u32_e32 v15, 28, v14
	v_and_b32_e32 v11, 0x80000000, v2
	v_and_b32_e32 v12, 15, v12
	v_bfe_u32 v13, v2, 27, 4
	v_lshlrev_b32_sdwa v2, v15, v2 dst_sel:DWORD dst_unused:UNUSED_PAD src0_sel:DWORD src1_sel:BYTE_3
	v_sub_u32_e32 v14, 29, v14
	v_and_b32_e32 v2, 7, v2
	v_cmp_eq_u16_e32 vcc, 0, v12
	v_cndmask_b32_e32 v2, v6, v2, vcc
	v_cndmask_b32_e32 v6, v13, v14, vcc
	v_mov_b32_e32 v12, 0x3b800000
	v_lshlrev_b32_e32 v2, 20, v2
	v_lshl_add_u32 v6, v6, 23, v12
	v_or3_b32 v6, v11, v6, v2
.LBB16_416:
	s_or_b64 exec, exec, s[6:7]
	s_nop 0
	v_mfma_f32_16x16x4f32 a[0:3], v10, v6, a[0:3]
	s_movk_i32 s4, 0x7f
	v_cmp_gt_i16_sdwa s[6:7], v7, s4 src0_sel:BYTE_0 src1_sel:DWORD
	s_mov_b64 s[4:5], 0
                                        ; implicit-def: $sgpr10
	s_and_saveexec_b64 s[8:9], s[6:7]
	s_xor_b64 s[6:7], exec, s[8:9]
	s_cbranch_execnz .LBB16_2465
; %bb.417:
	s_or_saveexec_b64 s[6:7], s[6:7]
	v_mov_b32_e32 v2, s10
	s_xor_b64 exec, exec, s[6:7]
	s_cbranch_execnz .LBB16_2468
.LBB16_418:
	s_or_b64 exec, exec, s[6:7]
	s_and_saveexec_b64 s[6:7], s[4:5]
	s_cbranch_execz .LBB16_420
.LBB16_419:
	v_and_b32_e32 v2, 7, v7
	v_ffbh_u32_e32 v10, v2
	v_min_u32_e32 v10, 32, v10
	v_lshrrev_b16_e32 v6, 3, v7
	v_subrev_u32_e32 v11, 28, v10
	v_and_b32_e32 v6, 15, v6
	v_lshlrev_b32_e32 v11, v11, v7
	v_sub_u32_e32 v10, 29, v10
	v_and_b32_e32 v11, 7, v11
	v_cmp_eq_u16_e32 vcc, 0, v6
	v_cndmask_b32_e32 v2, v2, v11, vcc
	v_cndmask_b32_e32 v6, v6, v10, vcc
	v_lshlrev_b32_e32 v10, 24, v7
	v_mov_b32_e32 v11, 0x3b800000
	v_lshlrev_b32_e32 v2, 20, v2
	v_and_b32_e32 v10, 0x80000000, v10
	v_lshl_add_u32 v6, v6, 23, v11
	v_or3_b32 v2, v10, v6, v2
.LBB16_420:
	s_or_b64 exec, exec, s[6:7]
	s_movk_i32 s4, 0x7f
	v_cmp_gt_i16_sdwa s[6:7], v3, s4 src0_sel:BYTE_0 src1_sel:DWORD
	s_mov_b64 s[4:5], 0
                                        ; implicit-def: $sgpr10
	s_and_saveexec_b64 s[8:9], s[6:7]
	s_xor_b64 s[6:7], exec, s[8:9]
	s_cbranch_execnz .LBB16_2469
; %bb.421:
	s_or_saveexec_b64 s[6:7], s[6:7]
	v_mov_b32_e32 v6, s10
	s_xor_b64 exec, exec, s[6:7]
	s_cbranch_execnz .LBB16_2472
.LBB16_422:
	s_or_b64 exec, exec, s[6:7]
	s_and_saveexec_b64 s[6:7], s[4:5]
	s_cbranch_execz .LBB16_424
.LBB16_423:
	v_and_b32_e32 v6, 7, v3
	v_ffbh_u32_e32 v11, v6
	v_min_u32_e32 v11, 32, v11
	v_lshrrev_b16_e32 v10, 3, v3
	v_subrev_u32_e32 v12, 28, v11
	v_and_b32_e32 v10, 15, v10
	v_lshlrev_b32_e32 v12, v12, v3
	v_sub_u32_e32 v11, 29, v11
	v_and_b32_e32 v12, 7, v12
	v_cmp_eq_u16_e32 vcc, 0, v10
	v_cndmask_b32_e32 v6, v6, v12, vcc
	v_cndmask_b32_e32 v10, v10, v11, vcc
	v_lshlrev_b32_e32 v11, 24, v3
	v_mov_b32_e32 v12, 0x3b800000
	v_lshlrev_b32_e32 v6, 20, v6
	v_and_b32_e32 v11, 0x80000000, v11
	v_lshl_add_u32 v10, v10, 23, v12
	v_or3_b32 v6, v11, v10, v6
.LBB16_424:
	s_or_b64 exec, exec, s[6:7]
	s_nop 0
	v_mfma_f32_16x16x4f32 a[0:3], v2, v6, a[0:3]
	v_lshrrev_b32_e32 v6, 8, v7
	s_movk_i32 s4, 0x7f
	v_cmp_gt_i16_sdwa s[6:7], v6, s4 src0_sel:BYTE_0 src1_sel:DWORD
	s_mov_b64 s[4:5], 0
                                        ; implicit-def: $sgpr10
	s_and_saveexec_b64 s[8:9], s[6:7]
	s_xor_b64 s[6:7], exec, s[8:9]
	s_cbranch_execnz .LBB16_2473
; %bb.425:
	s_or_saveexec_b64 s[6:7], s[6:7]
	v_mov_b32_e32 v2, s10
	s_xor_b64 exec, exec, s[6:7]
	s_cbranch_execnz .LBB16_2476
.LBB16_426:
	s_or_b64 exec, exec, s[6:7]
	s_and_saveexec_b64 s[6:7], s[4:5]
	s_cbranch_execz .LBB16_428
.LBB16_427:
	v_bfe_u32 v2, v7, 8, 3
	v_ffbh_u32_e32 v11, v2
	v_min_u32_e32 v11, 32, v11
	v_lshrrev_b16_e32 v10, 3, v6
	v_subrev_u32_e32 v12, 28, v11
	v_and_b32_e32 v10, 15, v10
	v_lshlrev_b32_e32 v6, v12, v6
	v_sub_u32_e32 v11, 29, v11
	v_and_b32_e32 v6, 7, v6
	v_cmp_eq_u16_e32 vcc, 0, v10
	v_cndmask_b32_e32 v2, v2, v6, vcc
	v_cndmask_b32_e32 v6, v10, v11, vcc
	v_lshlrev_b32_e32 v10, 16, v7
	v_mov_b32_e32 v11, 0x3b800000
	v_lshlrev_b32_e32 v2, 20, v2
	v_and_b32_e32 v10, 0x80000000, v10
	v_lshl_add_u32 v6, v6, 23, v11
	v_or3_b32 v2, v10, v6, v2
.LBB16_428:
	s_or_b64 exec, exec, s[6:7]
	v_lshrrev_b32_e32 v6, 8, v3
	s_movk_i32 s4, 0x7f
	v_cmp_gt_i16_sdwa s[6:7], v6, s4 src0_sel:BYTE_0 src1_sel:DWORD
	s_mov_b64 s[4:5], 0
                                        ; implicit-def: $sgpr10
	s_and_saveexec_b64 s[8:9], s[6:7]
	s_xor_b64 s[6:7], exec, s[8:9]
	s_cbranch_execnz .LBB16_2477
; %bb.429:
	s_or_saveexec_b64 s[6:7], s[6:7]
	v_mov_b32_e32 v10, s10
	s_xor_b64 exec, exec, s[6:7]
	s_cbranch_execnz .LBB16_2480
.LBB16_430:
	s_or_b64 exec, exec, s[6:7]
	s_and_saveexec_b64 s[6:7], s[4:5]
	s_cbranch_execz .LBB16_432
.LBB16_431:
	v_bfe_u32 v10, v3, 8, 3
	v_ffbh_u32_e32 v12, v10
	v_min_u32_e32 v12, 32, v12
	v_lshrrev_b16_e32 v11, 3, v6
	v_subrev_u32_e32 v13, 28, v12
	v_and_b32_e32 v11, 15, v11
	v_lshlrev_b32_e32 v6, v13, v6
	v_sub_u32_e32 v12, 29, v12
	v_and_b32_e32 v6, 7, v6
	v_cmp_eq_u16_e32 vcc, 0, v11
	v_cndmask_b32_e32 v6, v10, v6, vcc
	v_cndmask_b32_e32 v10, v11, v12, vcc
	v_lshlrev_b32_e32 v11, 16, v3
	v_mov_b32_e32 v12, 0x3b800000
	v_lshlrev_b32_e32 v6, 20, v6
	v_and_b32_e32 v11, 0x80000000, v11
	v_lshl_add_u32 v10, v10, 23, v12
	v_or3_b32 v10, v11, v10, v6
.LBB16_432:
	s_or_b64 exec, exec, s[6:7]
	s_nop 0
	v_mfma_f32_16x16x4f32 a[0:3], v2, v10, a[0:3]
	s_movk_i32 s4, 0xff
	v_and_b32_sdwa v6, v7, s4 dst_sel:DWORD dst_unused:UNUSED_PAD src0_sel:WORD_1 src1_sel:DWORD
	s_movk_i32 s4, 0x7f
	v_cmp_lt_i16_e32 vcc, s4, v6
	s_mov_b64 s[4:5], 0
                                        ; implicit-def: $sgpr10
	s_and_saveexec_b64 s[6:7], vcc
	s_xor_b64 s[6:7], exec, s[6:7]
	s_cbranch_execnz .LBB16_2481
; %bb.433:
	s_or_saveexec_b64 s[6:7], s[6:7]
	v_mov_b32_e32 v2, s10
	s_xor_b64 exec, exec, s[6:7]
	s_cbranch_execnz .LBB16_2484
.LBB16_434:
	s_or_b64 exec, exec, s[6:7]
	s_and_saveexec_b64 s[6:7], s[4:5]
	s_cbranch_execz .LBB16_436
.LBB16_435:
	v_bfe_u32 v2, v7, 16, 3
	v_ffbh_u32_e32 v11, v2
	v_min_u32_e32 v11, 32, v11
	v_lshrrev_b32_e32 v6, 19, v7
	v_subrev_u32_e32 v12, 28, v11
	v_and_b32_e32 v6, 15, v6
	v_lshlrev_b32_sdwa v12, v12, v7 dst_sel:DWORD dst_unused:UNUSED_PAD src0_sel:DWORD src1_sel:WORD_1
	v_bfe_u32 v10, v7, 19, 4
	v_sub_u32_e32 v11, 29, v11
	v_and_b32_e32 v12, 7, v12
	v_cmp_eq_u16_e32 vcc, 0, v6
	v_cndmask_b32_e32 v2, v2, v12, vcc
	v_cndmask_b32_e32 v6, v10, v11, vcc
	v_lshlrev_b32_e32 v10, 8, v7
	v_mov_b32_e32 v11, 0x3b800000
	v_lshlrev_b32_e32 v2, 20, v2
	v_and_b32_e32 v10, 0x80000000, v10
	v_lshl_add_u32 v6, v6, 23, v11
	v_or3_b32 v2, v10, v6, v2
.LBB16_436:
	s_or_b64 exec, exec, s[6:7]
	s_movk_i32 s4, 0xff
	v_and_b32_sdwa v6, v3, s4 dst_sel:DWORD dst_unused:UNUSED_PAD src0_sel:WORD_1 src1_sel:DWORD
	s_movk_i32 s4, 0x7f
	v_cmp_lt_i16_e32 vcc, s4, v6
	s_mov_b64 s[4:5], 0
                                        ; implicit-def: $sgpr10
	s_and_saveexec_b64 s[6:7], vcc
	s_xor_b64 s[6:7], exec, s[6:7]
	s_cbranch_execnz .LBB16_2485
; %bb.437:
	s_or_saveexec_b64 s[6:7], s[6:7]
	v_mov_b32_e32 v10, s10
	s_xor_b64 exec, exec, s[6:7]
	s_cbranch_execnz .LBB16_2488
.LBB16_438:
	s_or_b64 exec, exec, s[6:7]
	s_and_saveexec_b64 s[6:7], s[4:5]
	s_cbranch_execz .LBB16_440
.LBB16_439:
	v_bfe_u32 v6, v3, 16, 3
	v_ffbh_u32_e32 v12, v6
	v_min_u32_e32 v12, 32, v12
	v_lshrrev_b32_e32 v10, 19, v3
	v_subrev_u32_e32 v13, 28, v12
	v_and_b32_e32 v10, 15, v10
	v_lshlrev_b32_sdwa v13, v13, v3 dst_sel:DWORD dst_unused:UNUSED_PAD src0_sel:DWORD src1_sel:WORD_1
	v_bfe_u32 v11, v3, 19, 4
	v_sub_u32_e32 v12, 29, v12
	v_and_b32_e32 v13, 7, v13
	v_cmp_eq_u16_e32 vcc, 0, v10
	v_cndmask_b32_e32 v6, v6, v13, vcc
	v_cndmask_b32_e32 v10, v11, v12, vcc
	v_lshlrev_b32_e32 v11, 8, v3
	v_mov_b32_e32 v12, 0x3b800000
	v_lshlrev_b32_e32 v6, 20, v6
	v_and_b32_e32 v11, 0x80000000, v11
	v_lshl_add_u32 v10, v10, 23, v12
	v_or3_b32 v10, v11, v10, v6
.LBB16_440:
	s_or_b64 exec, exec, s[6:7]
	s_nop 0
	v_mfma_f32_16x16x4f32 a[0:3], v2, v10, a[0:3]
	s_movk_i32 s4, 0x7f
	v_cmp_gt_i16_sdwa s[6:7], v7, s4 src0_sel:BYTE_3 src1_sel:DWORD
	s_mov_b64 s[4:5], 0
                                        ; implicit-def: $sgpr10
	s_and_saveexec_b64 s[8:9], s[6:7]
	s_xor_b64 s[6:7], exec, s[8:9]
	s_cbranch_execnz .LBB16_2489
; %bb.441:
	s_or_saveexec_b64 s[6:7], s[6:7]
	v_mov_b32_e32 v2, s10
	s_xor_b64 exec, exec, s[6:7]
	s_cbranch_execnz .LBB16_2492
.LBB16_442:
	s_or_b64 exec, exec, s[6:7]
	s_and_saveexec_b64 s[6:7], s[4:5]
	s_cbranch_execz .LBB16_444
.LBB16_443:
	v_bfe_u32 v2, v7, 24, 3
	v_ffbh_u32_e32 v12, v2
	v_min_u32_e32 v12, 32, v12
	v_lshrrev_b32_e32 v10, 27, v7
	v_subrev_u32_e32 v13, 28, v12
	v_and_b32_e32 v6, 0x80000000, v7
	v_and_b32_e32 v10, 15, v10
	v_bfe_u32 v11, v7, 27, 4
	v_lshlrev_b32_sdwa v7, v13, v7 dst_sel:DWORD dst_unused:UNUSED_PAD src0_sel:DWORD src1_sel:BYTE_3
	v_sub_u32_e32 v12, 29, v12
	v_and_b32_e32 v7, 7, v7
	v_cmp_eq_u16_e32 vcc, 0, v10
	v_cndmask_b32_e32 v2, v2, v7, vcc
	v_cndmask_b32_e32 v7, v11, v12, vcc
	v_mov_b32_e32 v10, 0x3b800000
	v_lshlrev_b32_e32 v2, 20, v2
	v_lshl_add_u32 v7, v7, 23, v10
	v_or3_b32 v2, v6, v7, v2
.LBB16_444:
	s_or_b64 exec, exec, s[6:7]
	s_movk_i32 s4, 0x7f
	v_cmp_gt_i16_sdwa s[6:7], v3, s4 src0_sel:BYTE_3 src1_sel:DWORD
	s_mov_b64 s[4:5], 0
                                        ; implicit-def: $sgpr10
	s_and_saveexec_b64 s[8:9], s[6:7]
	s_xor_b64 s[6:7], exec, s[8:9]
	s_cbranch_execnz .LBB16_2493
; %bb.445:
	s_or_saveexec_b64 s[6:7], s[6:7]
	v_mov_b32_e32 v6, s10
	s_xor_b64 exec, exec, s[6:7]
	s_cbranch_execnz .LBB16_2496
.LBB16_446:
	s_or_b64 exec, exec, s[6:7]
	s_and_saveexec_b64 s[6:7], s[4:5]
	s_cbranch_execz .LBB16_448
.LBB16_447:
	v_bfe_u32 v6, v3, 24, 3
	v_ffbh_u32_e32 v12, v6
	v_min_u32_e32 v12, 32, v12
	v_lshrrev_b32_e32 v10, 27, v3
	v_subrev_u32_e32 v13, 28, v12
	v_and_b32_e32 v7, 0x80000000, v3
	v_and_b32_e32 v10, 15, v10
	v_bfe_u32 v11, v3, 27, 4
	v_lshlrev_b32_sdwa v3, v13, v3 dst_sel:DWORD dst_unused:UNUSED_PAD src0_sel:DWORD src1_sel:BYTE_3
	v_sub_u32_e32 v12, 29, v12
	v_and_b32_e32 v3, 7, v3
	v_cmp_eq_u16_e32 vcc, 0, v10
	v_cndmask_b32_e32 v3, v6, v3, vcc
	v_cndmask_b32_e32 v6, v11, v12, vcc
	v_mov_b32_e32 v10, 0x3b800000
	v_lshlrev_b32_e32 v3, 20, v3
	v_lshl_add_u32 v6, v6, 23, v10
	v_or3_b32 v6, v7, v6, v3
.LBB16_448:
	s_or_b64 exec, exec, s[6:7]
	s_nop 0
	v_mfma_f32_16x16x4f32 a[0:3], v2, v6, a[0:3]
	s_movk_i32 s4, 0x7f
	v_cmp_gt_i16_sdwa s[6:7], v8, s4 src0_sel:BYTE_0 src1_sel:DWORD
	s_mov_b64 s[4:5], 0
                                        ; implicit-def: $sgpr10
	s_and_saveexec_b64 s[8:9], s[6:7]
	s_xor_b64 s[6:7], exec, s[8:9]
	s_cbranch_execnz .LBB16_2497
; %bb.449:
	s_or_saveexec_b64 s[6:7], s[6:7]
	v_mov_b32_e32 v2, s10
	s_xor_b64 exec, exec, s[6:7]
	s_cbranch_execnz .LBB16_2500
.LBB16_450:
	s_or_b64 exec, exec, s[6:7]
	s_and_saveexec_b64 s[6:7], s[4:5]
	s_cbranch_execz .LBB16_452
.LBB16_451:
	v_and_b32_e32 v2, 7, v8
	v_ffbh_u32_e32 v6, v2
	v_min_u32_e32 v6, 32, v6
	v_lshrrev_b16_e32 v3, 3, v8
	v_subrev_u32_e32 v7, 28, v6
	v_and_b32_e32 v3, 15, v3
	v_lshlrev_b32_e32 v7, v7, v8
	v_sub_u32_e32 v6, 29, v6
	v_and_b32_e32 v7, 7, v7
	v_cmp_eq_u16_e32 vcc, 0, v3
	v_cndmask_b32_e32 v2, v2, v7, vcc
	v_cndmask_b32_e32 v3, v3, v6, vcc
	v_lshlrev_b32_e32 v6, 24, v8
	v_mov_b32_e32 v7, 0x3b800000
	v_lshlrev_b32_e32 v2, 20, v2
	v_and_b32_e32 v6, 0x80000000, v6
	v_lshl_add_u32 v3, v3, 23, v7
	v_or3_b32 v2, v6, v3, v2
.LBB16_452:
	s_or_b64 exec, exec, s[6:7]
	s_movk_i32 s4, 0x7f
	v_cmp_gt_i16_sdwa s[6:7], v4, s4 src0_sel:BYTE_0 src1_sel:DWORD
	s_mov_b64 s[4:5], 0
                                        ; implicit-def: $sgpr10
	s_and_saveexec_b64 s[8:9], s[6:7]
	s_xor_b64 s[6:7], exec, s[8:9]
	s_cbranch_execnz .LBB16_2501
; %bb.453:
	s_or_saveexec_b64 s[6:7], s[6:7]
	v_mov_b32_e32 v3, s10
	s_xor_b64 exec, exec, s[6:7]
	s_cbranch_execnz .LBB16_2504
.LBB16_454:
	s_or_b64 exec, exec, s[6:7]
	s_and_saveexec_b64 s[6:7], s[4:5]
	s_cbranch_execz .LBB16_456
.LBB16_455:
	v_and_b32_e32 v3, 7, v4
	v_ffbh_u32_e32 v7, v3
	v_min_u32_e32 v7, 32, v7
	v_lshrrev_b16_e32 v6, 3, v4
	v_subrev_u32_e32 v10, 28, v7
	v_and_b32_e32 v6, 15, v6
	v_lshlrev_b32_e32 v10, v10, v4
	v_sub_u32_e32 v7, 29, v7
	v_and_b32_e32 v10, 7, v10
	v_cmp_eq_u16_e32 vcc, 0, v6
	v_cndmask_b32_e32 v3, v3, v10, vcc
	v_cndmask_b32_e32 v6, v6, v7, vcc
	v_lshlrev_b32_e32 v7, 24, v4
	v_mov_b32_e32 v10, 0x3b800000
	v_lshlrev_b32_e32 v3, 20, v3
	v_and_b32_e32 v7, 0x80000000, v7
	v_lshl_add_u32 v6, v6, 23, v10
	v_or3_b32 v3, v7, v6, v3
.LBB16_456:
	s_or_b64 exec, exec, s[6:7]
	s_nop 0
	v_mfma_f32_16x16x4f32 a[0:3], v2, v3, a[0:3]
	v_lshrrev_b32_e32 v3, 8, v8
	s_movk_i32 s4, 0x7f
	v_cmp_gt_i16_sdwa s[6:7], v3, s4 src0_sel:BYTE_0 src1_sel:DWORD
	s_mov_b64 s[4:5], 0
                                        ; implicit-def: $sgpr10
	s_and_saveexec_b64 s[8:9], s[6:7]
	s_xor_b64 s[6:7], exec, s[8:9]
	s_cbranch_execnz .LBB16_2505
; %bb.457:
	s_or_saveexec_b64 s[6:7], s[6:7]
	v_mov_b32_e32 v2, s10
	s_xor_b64 exec, exec, s[6:7]
	s_cbranch_execnz .LBB16_2508
.LBB16_458:
	s_or_b64 exec, exec, s[6:7]
	s_and_saveexec_b64 s[6:7], s[4:5]
	s_cbranch_execz .LBB16_460
.LBB16_459:
	v_bfe_u32 v2, v8, 8, 3
	v_ffbh_u32_e32 v7, v2
	v_min_u32_e32 v7, 32, v7
	v_lshrrev_b16_e32 v6, 3, v3
	v_subrev_u32_e32 v10, 28, v7
	v_and_b32_e32 v6, 15, v6
	v_lshlrev_b32_e32 v3, v10, v3
	v_sub_u32_e32 v7, 29, v7
	v_and_b32_e32 v3, 7, v3
	v_cmp_eq_u16_e32 vcc, 0, v6
	v_cndmask_b32_e32 v2, v2, v3, vcc
	v_cndmask_b32_e32 v3, v6, v7, vcc
	v_lshlrev_b32_e32 v6, 16, v8
	v_mov_b32_e32 v7, 0x3b800000
	v_lshlrev_b32_e32 v2, 20, v2
	v_and_b32_e32 v6, 0x80000000, v6
	v_lshl_add_u32 v3, v3, 23, v7
	v_or3_b32 v2, v6, v3, v2
.LBB16_460:
	s_or_b64 exec, exec, s[6:7]
	v_lshrrev_b32_e32 v3, 8, v4
	s_movk_i32 s4, 0x7f
	v_cmp_gt_i16_sdwa s[6:7], v3, s4 src0_sel:BYTE_0 src1_sel:DWORD
	s_mov_b64 s[4:5], 0
                                        ; implicit-def: $sgpr10
	s_and_saveexec_b64 s[8:9], s[6:7]
	s_xor_b64 s[6:7], exec, s[8:9]
	s_cbranch_execnz .LBB16_2509
; %bb.461:
	s_or_saveexec_b64 s[6:7], s[6:7]
	v_mov_b32_e32 v6, s10
	s_xor_b64 exec, exec, s[6:7]
	s_cbranch_execnz .LBB16_2512
.LBB16_462:
	s_or_b64 exec, exec, s[6:7]
	s_and_saveexec_b64 s[6:7], s[4:5]
	s_cbranch_execz .LBB16_464
.LBB16_463:
	v_bfe_u32 v6, v4, 8, 3
	v_ffbh_u32_e32 v10, v6
	v_min_u32_e32 v10, 32, v10
	v_lshrrev_b16_e32 v7, 3, v3
	v_subrev_u32_e32 v11, 28, v10
	v_and_b32_e32 v7, 15, v7
	v_lshlrev_b32_e32 v3, v11, v3
	v_sub_u32_e32 v10, 29, v10
	v_and_b32_e32 v3, 7, v3
	v_cmp_eq_u16_e32 vcc, 0, v7
	v_cndmask_b32_e32 v3, v6, v3, vcc
	v_cndmask_b32_e32 v6, v7, v10, vcc
	v_lshlrev_b32_e32 v7, 16, v4
	v_mov_b32_e32 v10, 0x3b800000
	v_lshlrev_b32_e32 v3, 20, v3
	v_and_b32_e32 v7, 0x80000000, v7
	v_lshl_add_u32 v6, v6, 23, v10
	v_or3_b32 v6, v7, v6, v3
.LBB16_464:
	s_or_b64 exec, exec, s[6:7]
	s_nop 0
	v_mfma_f32_16x16x4f32 a[0:3], v2, v6, a[0:3]
	s_movk_i32 s4, 0xff
	v_and_b32_sdwa v3, v8, s4 dst_sel:DWORD dst_unused:UNUSED_PAD src0_sel:WORD_1 src1_sel:DWORD
	s_movk_i32 s4, 0x7f
	v_cmp_lt_i16_e32 vcc, s4, v3
	s_mov_b64 s[4:5], 0
                                        ; implicit-def: $sgpr10
	s_and_saveexec_b64 s[6:7], vcc
	s_xor_b64 s[6:7], exec, s[6:7]
	s_cbranch_execnz .LBB16_2513
; %bb.465:
	s_or_saveexec_b64 s[6:7], s[6:7]
	v_mov_b32_e32 v2, s10
	s_xor_b64 exec, exec, s[6:7]
	s_cbranch_execnz .LBB16_2516
.LBB16_466:
	s_or_b64 exec, exec, s[6:7]
	s_and_saveexec_b64 s[6:7], s[4:5]
	s_cbranch_execz .LBB16_468
.LBB16_467:
	v_bfe_u32 v2, v8, 16, 3
	v_ffbh_u32_e32 v7, v2
	v_min_u32_e32 v7, 32, v7
	v_lshrrev_b32_e32 v3, 19, v8
	v_subrev_u32_e32 v10, 28, v7
	v_and_b32_e32 v3, 15, v3
	v_lshlrev_b32_sdwa v10, v10, v8 dst_sel:DWORD dst_unused:UNUSED_PAD src0_sel:DWORD src1_sel:WORD_1
	v_bfe_u32 v6, v8, 19, 4
	v_sub_u32_e32 v7, 29, v7
	v_and_b32_e32 v10, 7, v10
	v_cmp_eq_u16_e32 vcc, 0, v3
	v_cndmask_b32_e32 v2, v2, v10, vcc
	v_cndmask_b32_e32 v3, v6, v7, vcc
	v_lshlrev_b32_e32 v6, 8, v8
	v_mov_b32_e32 v7, 0x3b800000
	v_lshlrev_b32_e32 v2, 20, v2
	v_and_b32_e32 v6, 0x80000000, v6
	v_lshl_add_u32 v3, v3, 23, v7
	v_or3_b32 v2, v6, v3, v2
.LBB16_468:
	s_or_b64 exec, exec, s[6:7]
	s_movk_i32 s4, 0xff
	v_and_b32_sdwa v3, v4, s4 dst_sel:DWORD dst_unused:UNUSED_PAD src0_sel:WORD_1 src1_sel:DWORD
	s_movk_i32 s4, 0x7f
	v_cmp_lt_i16_e32 vcc, s4, v3
	s_mov_b64 s[4:5], 0
                                        ; implicit-def: $sgpr10
	s_and_saveexec_b64 s[6:7], vcc
	s_xor_b64 s[6:7], exec, s[6:7]
	s_cbranch_execnz .LBB16_2517
; %bb.469:
	s_or_saveexec_b64 s[6:7], s[6:7]
	v_mov_b32_e32 v6, s10
	s_xor_b64 exec, exec, s[6:7]
	s_cbranch_execnz .LBB16_2520
.LBB16_470:
	s_or_b64 exec, exec, s[6:7]
	s_and_saveexec_b64 s[6:7], s[4:5]
	s_cbranch_execz .LBB16_472
.LBB16_471:
	v_bfe_u32 v3, v4, 16, 3
	v_ffbh_u32_e32 v10, v3
	v_min_u32_e32 v10, 32, v10
	v_lshrrev_b32_e32 v6, 19, v4
	v_subrev_u32_e32 v11, 28, v10
	v_and_b32_e32 v6, 15, v6
	v_lshlrev_b32_sdwa v11, v11, v4 dst_sel:DWORD dst_unused:UNUSED_PAD src0_sel:DWORD src1_sel:WORD_1
	v_bfe_u32 v7, v4, 19, 4
	v_sub_u32_e32 v10, 29, v10
	v_and_b32_e32 v11, 7, v11
	v_cmp_eq_u16_e32 vcc, 0, v6
	v_cndmask_b32_e32 v3, v3, v11, vcc
	v_cndmask_b32_e32 v6, v7, v10, vcc
	v_lshlrev_b32_e32 v7, 8, v4
	v_mov_b32_e32 v10, 0x3b800000
	v_lshlrev_b32_e32 v3, 20, v3
	v_and_b32_e32 v7, 0x80000000, v7
	v_lshl_add_u32 v6, v6, 23, v10
	v_or3_b32 v6, v7, v6, v3
.LBB16_472:
	s_or_b64 exec, exec, s[6:7]
	s_nop 0
	v_mfma_f32_16x16x4f32 a[0:3], v2, v6, a[0:3]
	s_movk_i32 s4, 0x7f
	v_cmp_gt_i16_sdwa s[6:7], v8, s4 src0_sel:BYTE_3 src1_sel:DWORD
	s_mov_b64 s[4:5], 0
                                        ; implicit-def: $sgpr10
	s_and_saveexec_b64 s[8:9], s[6:7]
	s_xor_b64 s[6:7], exec, s[8:9]
	s_cbranch_execnz .LBB16_2521
; %bb.473:
	s_or_saveexec_b64 s[6:7], s[6:7]
	v_mov_b32_e32 v2, s10
	s_xor_b64 exec, exec, s[6:7]
	s_cbranch_execnz .LBB16_2524
.LBB16_474:
	s_or_b64 exec, exec, s[6:7]
	s_and_saveexec_b64 s[6:7], s[4:5]
	s_cbranch_execz .LBB16_476
.LBB16_475:
	v_bfe_u32 v2, v8, 24, 3
	v_ffbh_u32_e32 v10, v2
	v_min_u32_e32 v10, 32, v10
	v_lshrrev_b32_e32 v6, 27, v8
	v_subrev_u32_e32 v11, 28, v10
	v_and_b32_e32 v3, 0x80000000, v8
	v_and_b32_e32 v6, 15, v6
	v_bfe_u32 v7, v8, 27, 4
	v_lshlrev_b32_sdwa v8, v11, v8 dst_sel:DWORD dst_unused:UNUSED_PAD src0_sel:DWORD src1_sel:BYTE_3
	v_sub_u32_e32 v10, 29, v10
	v_and_b32_e32 v8, 7, v8
	v_cmp_eq_u16_e32 vcc, 0, v6
	v_cndmask_b32_e32 v2, v2, v8, vcc
	v_cndmask_b32_e32 v6, v7, v10, vcc
	v_mov_b32_e32 v7, 0x3b800000
	v_lshlrev_b32_e32 v2, 20, v2
	v_lshl_add_u32 v6, v6, 23, v7
	v_or3_b32 v2, v3, v6, v2
.LBB16_476:
	s_or_b64 exec, exec, s[6:7]
	s_movk_i32 s4, 0x7f
	v_cmp_gt_i16_sdwa s[6:7], v4, s4 src0_sel:BYTE_3 src1_sel:DWORD
	s_mov_b64 s[4:5], 0
                                        ; implicit-def: $sgpr10
	s_and_saveexec_b64 s[8:9], s[6:7]
	s_xor_b64 s[6:7], exec, s[8:9]
	s_cbranch_execnz .LBB16_2525
; %bb.477:
	s_or_saveexec_b64 s[6:7], s[6:7]
	v_mov_b32_e32 v3, s10
	s_xor_b64 exec, exec, s[6:7]
	s_cbranch_execnz .LBB16_2528
.LBB16_478:
	s_or_b64 exec, exec, s[6:7]
	s_and_saveexec_b64 s[6:7], s[4:5]
	s_cbranch_execz .LBB16_480
.LBB16_479:
	v_bfe_u32 v3, v4, 24, 3
	v_ffbh_u32_e32 v10, v3
	v_min_u32_e32 v10, 32, v10
	v_lshrrev_b32_e32 v7, 27, v4
	v_subrev_u32_e32 v11, 28, v10
	v_and_b32_e32 v6, 0x80000000, v4
	v_and_b32_e32 v7, 15, v7
	v_bfe_u32 v8, v4, 27, 4
	v_lshlrev_b32_sdwa v4, v11, v4 dst_sel:DWORD dst_unused:UNUSED_PAD src0_sel:DWORD src1_sel:BYTE_3
	v_sub_u32_e32 v10, 29, v10
	v_and_b32_e32 v4, 7, v4
	v_cmp_eq_u16_e32 vcc, 0, v7
	v_cndmask_b32_e32 v3, v3, v4, vcc
	v_cndmask_b32_e32 v4, v8, v10, vcc
	v_mov_b32_e32 v7, 0x3b800000
	v_lshlrev_b32_e32 v3, 20, v3
	v_lshl_add_u32 v4, v4, 23, v7
	v_or3_b32 v3, v6, v4, v3
.LBB16_480:
	s_or_b64 exec, exec, s[6:7]
	s_nop 0
	v_mfma_f32_16x16x4f32 a[0:3], v2, v3, a[0:3]
	s_movk_i32 s4, 0x7f
	v_cmp_gt_i16_sdwa s[6:7], v9, s4 src0_sel:BYTE_0 src1_sel:DWORD
	s_mov_b64 s[4:5], 0
                                        ; implicit-def: $sgpr10
	s_and_saveexec_b64 s[8:9], s[6:7]
	s_xor_b64 s[6:7], exec, s[8:9]
	s_cbranch_execnz .LBB16_2529
; %bb.481:
	s_or_saveexec_b64 s[6:7], s[6:7]
	v_mov_b32_e32 v2, s10
	s_xor_b64 exec, exec, s[6:7]
	s_cbranch_execnz .LBB16_2532
.LBB16_482:
	s_or_b64 exec, exec, s[6:7]
	s_and_saveexec_b64 s[6:7], s[4:5]
	s_cbranch_execz .LBB16_484
.LBB16_483:
	v_mov_b32_e32 v2, 8
	v_and_b32_e32 v3, 7, v9
	v_lshrrev_b32_sdwa v2, v2, v9 dst_sel:BYTE_1 dst_unused:UNUSED_PAD src0_sel:DWORD src1_sel:DWORD
	v_ffbh_u32_e32 v4, v3
	v_or_b32_sdwa v2, v9, v2 dst_sel:DWORD dst_unused:UNUSED_PAD src0_sel:BYTE_0 src1_sel:DWORD
	v_min_u32_e32 v4, 32, v4
	v_lshrrev_b16_e32 v2, 3, v2
	v_subrev_u32_e32 v6, 28, v4
	v_and_b32_e32 v2, 15, v2
	v_lshlrev_b32_e32 v6, v6, v9
	v_sub_u32_e32 v4, 29, v4
	v_and_b32_e32 v6, 7, v6
	v_cmp_eq_u16_e32 vcc, 0, v2
	v_cndmask_b32_e32 v3, v3, v6, vcc
	v_cndmask_b32_e32 v2, v2, v4, vcc
	v_lshlrev_b32_e32 v4, 24, v9
	v_mov_b32_e32 v6, 0x3b800000
	v_lshlrev_b32_e32 v3, 20, v3
	v_and_b32_e32 v4, 0x80000000, v4
	v_lshl_add_u32 v2, v2, 23, v6
	v_or3_b32 v2, v4, v2, v3
.LBB16_484:
	s_or_b64 exec, exec, s[6:7]
	s_movk_i32 s4, 0x7f
	v_cmp_gt_i16_sdwa s[6:7], v5, s4 src0_sel:BYTE_0 src1_sel:DWORD
	s_mov_b64 s[4:5], 0
                                        ; implicit-def: $sgpr10
	s_and_saveexec_b64 s[8:9], s[6:7]
	s_xor_b64 s[6:7], exec, s[8:9]
	s_cbranch_execnz .LBB16_2533
; %bb.485:
	s_or_saveexec_b64 s[6:7], s[6:7]
	v_mov_b32_e32 v3, s10
	s_xor_b64 exec, exec, s[6:7]
	s_cbranch_execnz .LBB16_2536
.LBB16_486:
	s_or_b64 exec, exec, s[6:7]
	s_and_saveexec_b64 s[6:7], s[4:5]
	s_cbranch_execz .LBB16_488
.LBB16_487:
	v_mov_b32_e32 v3, 8
	v_and_b32_e32 v4, 7, v5
	v_lshrrev_b32_sdwa v3, v3, v5 dst_sel:BYTE_1 dst_unused:UNUSED_PAD src0_sel:DWORD src1_sel:DWORD
	v_ffbh_u32_e32 v6, v4
	v_or_b32_sdwa v3, v5, v3 dst_sel:DWORD dst_unused:UNUSED_PAD src0_sel:BYTE_0 src1_sel:DWORD
	v_min_u32_e32 v6, 32, v6
	v_lshrrev_b16_e32 v3, 3, v3
	v_subrev_u32_e32 v7, 28, v6
	v_and_b32_e32 v3, 15, v3
	v_lshlrev_b32_e32 v7, v7, v5
	v_sub_u32_e32 v6, 29, v6
	v_and_b32_e32 v7, 7, v7
	v_cmp_eq_u16_e32 vcc, 0, v3
	v_cndmask_b32_e32 v4, v4, v7, vcc
	v_cndmask_b32_e32 v3, v3, v6, vcc
	v_lshlrev_b32_e32 v6, 24, v5
	v_mov_b32_e32 v7, 0x3b800000
	v_lshlrev_b32_e32 v4, 20, v4
	v_and_b32_e32 v6, 0x80000000, v6
	v_lshl_add_u32 v3, v3, 23, v7
	v_or3_b32 v3, v6, v3, v4
.LBB16_488:
	s_or_b64 exec, exec, s[6:7]
	s_nop 0
	v_mfma_f32_16x16x4f32 a[0:3], v2, v3, a[0:3]
	v_lshrrev_b32_e32 v3, 8, v9
	s_movk_i32 s4, 0x7f
	v_cmp_gt_i16_sdwa s[6:7], v3, s4 src0_sel:BYTE_0 src1_sel:DWORD
	s_mov_b64 s[4:5], 0
                                        ; implicit-def: $sgpr10
	s_and_saveexec_b64 s[8:9], s[6:7]
	s_xor_b64 s[6:7], exec, s[8:9]
	s_cbranch_execnz .LBB16_2537
; %bb.489:
	s_or_saveexec_b64 s[6:7], s[6:7]
	v_mov_b32_e32 v2, s10
	s_xor_b64 exec, exec, s[6:7]
	s_cbranch_execnz .LBB16_2540
.LBB16_490:
	s_or_b64 exec, exec, s[6:7]
	s_and_saveexec_b64 s[6:7], s[4:5]
	s_cbranch_execz .LBB16_492
.LBB16_491:
	v_bfe_u32 v2, v9, 8, 3
	v_ffbh_u32_e32 v6, v2
	v_min_u32_e32 v6, 32, v6
	v_lshrrev_b16_e32 v4, 3, v3
	v_subrev_u32_e32 v7, 28, v6
	v_and_b32_e32 v4, 15, v4
	v_lshlrev_b32_e32 v3, v7, v3
	v_sub_u32_e32 v6, 29, v6
	v_and_b32_e32 v3, 7, v3
	v_cmp_eq_u16_e32 vcc, 0, v4
	v_cndmask_b32_e32 v2, v2, v3, vcc
	v_cndmask_b32_e32 v3, v4, v6, vcc
	v_lshlrev_b32_e32 v4, 16, v9
	v_mov_b32_e32 v6, 0x3b800000
	v_lshlrev_b32_e32 v2, 20, v2
	v_and_b32_e32 v4, 0x80000000, v4
	v_lshl_add_u32 v3, v3, 23, v6
	v_or3_b32 v2, v4, v3, v2
.LBB16_492:
	s_or_b64 exec, exec, s[6:7]
	v_lshrrev_b32_e32 v3, 8, v5
	s_movk_i32 s4, 0x7f
	v_cmp_gt_i16_sdwa s[6:7], v3, s4 src0_sel:BYTE_0 src1_sel:DWORD
	s_mov_b64 s[4:5], 0
                                        ; implicit-def: $sgpr10
	s_and_saveexec_b64 s[8:9], s[6:7]
	s_xor_b64 s[6:7], exec, s[8:9]
	s_cbranch_execnz .LBB16_2541
; %bb.493:
	s_or_saveexec_b64 s[6:7], s[6:7]
	v_mov_b32_e32 v4, s10
	s_xor_b64 exec, exec, s[6:7]
	s_cbranch_execnz .LBB16_2544
.LBB16_494:
	s_or_b64 exec, exec, s[6:7]
	s_and_saveexec_b64 s[6:7], s[4:5]
	s_cbranch_execz .LBB16_496
.LBB16_495:
	v_bfe_u32 v4, v5, 8, 3
	v_ffbh_u32_e32 v7, v4
	v_min_u32_e32 v7, 32, v7
	v_lshrrev_b16_e32 v6, 3, v3
	v_subrev_u32_e32 v8, 28, v7
	v_and_b32_e32 v6, 15, v6
	v_lshlrev_b32_e32 v3, v8, v3
	v_sub_u32_e32 v7, 29, v7
	v_and_b32_e32 v3, 7, v3
	v_cmp_eq_u16_e32 vcc, 0, v6
	v_cndmask_b32_e32 v3, v4, v3, vcc
	v_cndmask_b32_e32 v4, v6, v7, vcc
	v_lshlrev_b32_e32 v6, 16, v5
	v_mov_b32_e32 v7, 0x3b800000
	v_lshlrev_b32_e32 v3, 20, v3
	v_and_b32_e32 v6, 0x80000000, v6
	v_lshl_add_u32 v4, v4, 23, v7
	v_or3_b32 v4, v6, v4, v3
.LBB16_496:
	s_or_b64 exec, exec, s[6:7]
	s_nop 0
	v_mfma_f32_16x16x4f32 a[0:3], v2, v4, a[0:3]
	s_movk_i32 s4, 0xff
	v_and_b32_sdwa v3, v9, s4 dst_sel:DWORD dst_unused:UNUSED_PAD src0_sel:WORD_1 src1_sel:DWORD
	s_movk_i32 s4, 0x7f
	v_cmp_lt_i16_e32 vcc, s4, v3
	s_mov_b64 s[4:5], 0
                                        ; implicit-def: $sgpr10
	s_and_saveexec_b64 s[6:7], vcc
	s_xor_b64 s[6:7], exec, s[6:7]
	s_cbranch_execnz .LBB16_2545
; %bb.497:
	s_or_saveexec_b64 s[6:7], s[6:7]
	v_mov_b32_e32 v2, s10
	s_xor_b64 exec, exec, s[6:7]
	s_cbranch_execnz .LBB16_2548
.LBB16_498:
	s_or_b64 exec, exec, s[6:7]
	s_and_saveexec_b64 s[6:7], s[4:5]
	s_cbranch_execz .LBB16_500
.LBB16_499:
	v_bfe_u32 v2, v9, 16, 3
	v_ffbh_u32_e32 v6, v2
	v_min_u32_e32 v6, 32, v6
	v_lshrrev_b32_e32 v3, 19, v9
	v_subrev_u32_e32 v7, 28, v6
	v_and_b32_e32 v3, 15, v3
	v_lshlrev_b32_sdwa v7, v7, v9 dst_sel:DWORD dst_unused:UNUSED_PAD src0_sel:DWORD src1_sel:WORD_1
	v_bfe_u32 v4, v9, 19, 4
	v_sub_u32_e32 v6, 29, v6
	v_and_b32_e32 v7, 7, v7
	v_cmp_eq_u16_e32 vcc, 0, v3
	v_cndmask_b32_e32 v2, v2, v7, vcc
	v_cndmask_b32_e32 v3, v4, v6, vcc
	v_lshlrev_b32_e32 v4, 8, v9
	v_mov_b32_e32 v6, 0x3b800000
	v_lshlrev_b32_e32 v2, 20, v2
	v_and_b32_e32 v4, 0x80000000, v4
	v_lshl_add_u32 v3, v3, 23, v6
	v_or3_b32 v2, v4, v3, v2
.LBB16_500:
	s_or_b64 exec, exec, s[6:7]
	s_movk_i32 s4, 0xff
	v_and_b32_sdwa v3, v5, s4 dst_sel:DWORD dst_unused:UNUSED_PAD src0_sel:WORD_1 src1_sel:DWORD
	s_movk_i32 s4, 0x7f
	v_cmp_lt_i16_e32 vcc, s4, v3
	s_mov_b64 s[4:5], 0
                                        ; implicit-def: $sgpr10
	s_and_saveexec_b64 s[6:7], vcc
	s_xor_b64 s[6:7], exec, s[6:7]
	s_cbranch_execnz .LBB16_2549
; %bb.501:
	s_or_saveexec_b64 s[6:7], s[6:7]
	v_mov_b32_e32 v4, s10
	s_xor_b64 exec, exec, s[6:7]
	s_cbranch_execnz .LBB16_2552
.LBB16_502:
	s_or_b64 exec, exec, s[6:7]
	s_and_saveexec_b64 s[6:7], s[4:5]
	s_cbranch_execz .LBB16_504
.LBB16_503:
	v_bfe_u32 v3, v5, 16, 3
	v_ffbh_u32_e32 v7, v3
	v_min_u32_e32 v7, 32, v7
	v_lshrrev_b32_e32 v4, 19, v5
	v_subrev_u32_e32 v8, 28, v7
	v_and_b32_e32 v4, 15, v4
	v_lshlrev_b32_sdwa v8, v8, v5 dst_sel:DWORD dst_unused:UNUSED_PAD src0_sel:DWORD src1_sel:WORD_1
	v_bfe_u32 v6, v5, 19, 4
	v_sub_u32_e32 v7, 29, v7
	v_and_b32_e32 v8, 7, v8
	v_cmp_eq_u16_e32 vcc, 0, v4
	v_cndmask_b32_e32 v3, v3, v8, vcc
	v_cndmask_b32_e32 v4, v6, v7, vcc
	v_lshlrev_b32_e32 v6, 8, v5
	v_mov_b32_e32 v7, 0x3b800000
	v_lshlrev_b32_e32 v3, 20, v3
	v_and_b32_e32 v6, 0x80000000, v6
	v_lshl_add_u32 v4, v4, 23, v7
	v_or3_b32 v4, v6, v4, v3
.LBB16_504:
	s_or_b64 exec, exec, s[6:7]
	s_nop 0
	v_mfma_f32_16x16x4f32 a[0:3], v2, v4, a[0:3]
	s_movk_i32 s4, 0x7f
	v_cmp_gt_i16_sdwa s[6:7], v9, s4 src0_sel:BYTE_3 src1_sel:DWORD
	s_mov_b64 s[4:5], 0
                                        ; implicit-def: $sgpr10
	s_and_saveexec_b64 s[8:9], s[6:7]
	s_xor_b64 s[6:7], exec, s[8:9]
	s_cbranch_execnz .LBB16_2553
; %bb.505:
	s_or_saveexec_b64 s[6:7], s[6:7]
	v_mov_b32_e32 v2, s10
	s_xor_b64 exec, exec, s[6:7]
	s_cbranch_execnz .LBB16_2556
.LBB16_506:
	s_or_b64 exec, exec, s[6:7]
	s_and_saveexec_b64 s[6:7], s[4:5]
	s_cbranch_execz .LBB16_508
.LBB16_507:
	v_bfe_u32 v2, v9, 24, 3
	v_ffbh_u32_e32 v7, v2
	v_min_u32_e32 v7, 32, v7
	v_lshrrev_b32_e32 v4, 27, v9
	v_subrev_u32_e32 v8, 28, v7
	v_and_b32_e32 v4, 15, v4
	v_lshlrev_b32_sdwa v8, v8, v9 dst_sel:DWORD dst_unused:UNUSED_PAD src0_sel:DWORD src1_sel:BYTE_3
	v_bfe_u32 v6, v9, 27, 4
	v_sub_u32_e32 v7, 29, v7
	v_and_b32_e32 v8, 7, v8
	v_cmp_eq_u16_e32 vcc, 0, v4
	v_cndmask_b32_e32 v2, v2, v8, vcc
	v_cndmask_b32_e32 v4, v6, v7, vcc
	v_mov_b32_e32 v6, 0x3b800000
	v_and_b32_e32 v3, 0x80000000, v9
	v_lshlrev_b32_e32 v2, 20, v2
	v_lshl_add_u32 v4, v4, 23, v6
	v_or3_b32 v2, v3, v4, v2
.LBB16_508:
	s_or_b64 exec, exec, s[6:7]
	s_movk_i32 s4, 0x7f
	v_cmp_gt_i16_sdwa s[6:7], v5, s4 src0_sel:BYTE_3 src1_sel:DWORD
	s_mov_b64 s[4:5], 0
                                        ; implicit-def: $sgpr10
	s_and_saveexec_b64 s[8:9], s[6:7]
	s_xor_b64 s[6:7], exec, s[8:9]
	s_cbranch_execnz .LBB16_2557
; %bb.509:
	s_or_saveexec_b64 s[6:7], s[6:7]
	v_mov_b32_e32 v3, s10
	s_xor_b64 exec, exec, s[6:7]
	s_cbranch_execnz .LBB16_2560
.LBB16_510:
	s_or_b64 exec, exec, s[6:7]
	s_and_saveexec_b64 s[6:7], s[4:5]
	s_cbranch_execz .LBB16_512
.LBB16_511:
	v_bfe_u32 v3, v5, 24, 3
	v_ffbh_u32_e32 v8, v3
	v_min_u32_e32 v8, 32, v8
	v_lshrrev_b32_e32 v6, 27, v5
	v_subrev_u32_e32 v9, 28, v8
	v_and_b32_e32 v4, 0x80000000, v5
	v_and_b32_e32 v6, 15, v6
	v_bfe_u32 v7, v5, 27, 4
	v_lshlrev_b32_sdwa v5, v9, v5 dst_sel:DWORD dst_unused:UNUSED_PAD src0_sel:DWORD src1_sel:BYTE_3
	v_sub_u32_e32 v8, 29, v8
	v_and_b32_e32 v5, 7, v5
	v_cmp_eq_u16_e32 vcc, 0, v6
	v_cndmask_b32_e32 v3, v3, v5, vcc
	v_cndmask_b32_e32 v5, v7, v8, vcc
	v_mov_b32_e32 v6, 0x3b800000
	v_lshlrev_b32_e32 v3, 20, v3
	v_lshl_add_u32 v5, v5, 23, v6
	v_or3_b32 v3, v4, v5, v3
.LBB16_512:
	s_or_b64 exec, exec, s[6:7]
	s_nop 0
	v_mfma_f32_16x16x4f32 a[0:3], v2, v3, a[0:3]
	s_movk_i32 s4, 0x7f
                                        ; implicit-def: $sgpr10
	s_nop 7
	s_nop 1
	flat_store_dwordx4 v[18:19], a[0:3] offset:784
	flat_load_dwordx4 v[20:23], v[0:1] offset:16
	s_nop 0
	flat_load_dwordx2 v[18:19], v[0:1] offset:32
	s_waitcnt vmcnt(0) lgkmcnt(0)
	flat_load_dwordx4 v[14:17], v[20:21]
	flat_load_dwordx4 v[6:9], v[20:21] offset:16
	flat_load_dwordx4 v[10:13], v[22:23] offset:320
	;; [unrolled: 1-line block ×3, first 2 shown]
	s_waitcnt vmcnt(0) lgkmcnt(0)
	v_cmp_gt_i16_sdwa s[6:7], v14, s4 src0_sel:BYTE_0 src1_sel:DWORD
	s_mov_b64 s[4:5], 0
	s_and_saveexec_b64 s[8:9], s[6:7]
	s_xor_b64 s[6:7], exec, s[8:9]
	s_cbranch_execnz .LBB16_2561
; %bb.513:
	s_or_saveexec_b64 s[6:7], s[6:7]
	v_mov_b32_e32 v20, s10
	s_xor_b64 exec, exec, s[6:7]
	s_cbranch_execnz .LBB16_2564
.LBB16_514:
	s_or_b64 exec, exec, s[6:7]
	s_and_saveexec_b64 s[6:7], s[4:5]
	s_cbranch_execz .LBB16_516
.LBB16_515:
	v_and_b32_e32 v20, 7, v14
	v_ffbh_u32_e32 v22, v20
	v_min_u32_e32 v22, 32, v22
	v_lshrrev_b16_e32 v21, 3, v14
	v_subrev_u32_e32 v23, 28, v22
	v_and_b32_e32 v21, 15, v21
	v_lshlrev_b32_e32 v23, v23, v14
	v_sub_u32_e32 v22, 29, v22
	v_and_b32_e32 v23, 7, v23
	v_cmp_eq_u16_e32 vcc, 0, v21
	v_cndmask_b32_e32 v20, v20, v23, vcc
	v_cndmask_b32_e32 v21, v21, v22, vcc
	v_lshlrev_b32_e32 v22, 24, v14
	v_mov_b32_e32 v23, 0x3b800000
	v_lshlrev_b32_e32 v20, 20, v20
	v_and_b32_e32 v22, 0x80000000, v22
	v_lshl_add_u32 v21, v21, 23, v23
	v_or3_b32 v20, v22, v21, v20
.LBB16_516:
	s_or_b64 exec, exec, s[6:7]
	s_movk_i32 s4, 0x7f
	v_cmp_gt_i16_sdwa s[6:7], v10, s4 src0_sel:BYTE_0 src1_sel:DWORD
	s_mov_b64 s[4:5], 0
                                        ; implicit-def: $sgpr10
	s_and_saveexec_b64 s[8:9], s[6:7]
	s_xor_b64 s[6:7], exec, s[8:9]
	s_cbranch_execnz .LBB16_2565
; %bb.517:
	s_or_saveexec_b64 s[6:7], s[6:7]
	v_mov_b32_e32 v21, s10
	s_xor_b64 exec, exec, s[6:7]
	s_cbranch_execnz .LBB16_2568
.LBB16_518:
	s_or_b64 exec, exec, s[6:7]
	s_and_saveexec_b64 s[6:7], s[4:5]
	s_cbranch_execz .LBB16_520
.LBB16_519:
	v_and_b32_e32 v21, 7, v10
	v_ffbh_u32_e32 v23, v21
	v_min_u32_e32 v23, 32, v23
	v_lshrrev_b16_e32 v22, 3, v10
	v_subrev_u32_e32 v24, 28, v23
	v_and_b32_e32 v22, 15, v22
	v_lshlrev_b32_e32 v24, v24, v10
	v_sub_u32_e32 v23, 29, v23
	v_and_b32_e32 v24, 7, v24
	v_cmp_eq_u16_e32 vcc, 0, v22
	v_cndmask_b32_e32 v21, v21, v24, vcc
	v_cndmask_b32_e32 v22, v22, v23, vcc
	v_lshlrev_b32_e32 v23, 24, v10
	v_mov_b32_e32 v24, 0x3b800000
	v_lshlrev_b32_e32 v21, 20, v21
	v_and_b32_e32 v23, 0x80000000, v23
	v_lshl_add_u32 v22, v22, 23, v24
	v_or3_b32 v21, v23, v22, v21
.LBB16_520:
	s_or_b64 exec, exec, s[6:7]
	flat_load_dwordx4 a[0:3], v[18:19] offset:800
	s_movk_i32 s4, 0x7f
                                        ; implicit-def: $sgpr10
	s_waitcnt vmcnt(0) lgkmcnt(0)
	v_mfma_f32_16x16x4f32 a[0:3], v20, v21, a[0:3]
	v_lshrrev_b32_e32 v21, 8, v14
	v_cmp_gt_i16_sdwa s[6:7], v21, s4 src0_sel:BYTE_0 src1_sel:DWORD
	s_mov_b64 s[4:5], 0
	s_and_saveexec_b64 s[8:9], s[6:7]
	s_xor_b64 s[6:7], exec, s[8:9]
	s_cbranch_execnz .LBB16_2569
; %bb.521:
	s_or_saveexec_b64 s[6:7], s[6:7]
	v_mov_b32_e32 v20, s10
	s_xor_b64 exec, exec, s[6:7]
	s_cbranch_execnz .LBB16_2572
.LBB16_522:
	s_or_b64 exec, exec, s[6:7]
	s_and_saveexec_b64 s[6:7], s[4:5]
	s_cbranch_execz .LBB16_524
.LBB16_523:
	v_bfe_u32 v20, v14, 8, 3
	v_ffbh_u32_e32 v23, v20
	v_min_u32_e32 v23, 32, v23
	v_lshrrev_b16_e32 v22, 3, v21
	v_subrev_u32_e32 v24, 28, v23
	v_and_b32_e32 v22, 15, v22
	v_lshlrev_b32_e32 v21, v24, v21
	v_sub_u32_e32 v23, 29, v23
	v_and_b32_e32 v21, 7, v21
	v_cmp_eq_u16_e32 vcc, 0, v22
	v_cndmask_b32_e32 v20, v20, v21, vcc
	v_cndmask_b32_e32 v21, v22, v23, vcc
	v_lshlrev_b32_e32 v22, 16, v14
	v_mov_b32_e32 v23, 0x3b800000
	v_lshlrev_b32_e32 v20, 20, v20
	v_and_b32_e32 v22, 0x80000000, v22
	v_lshl_add_u32 v21, v21, 23, v23
	v_or3_b32 v20, v22, v21, v20
.LBB16_524:
	s_or_b64 exec, exec, s[6:7]
	v_lshrrev_b32_e32 v21, 8, v10
	s_movk_i32 s4, 0x7f
	v_cmp_gt_i16_sdwa s[6:7], v21, s4 src0_sel:BYTE_0 src1_sel:DWORD
	s_mov_b64 s[4:5], 0
                                        ; implicit-def: $sgpr10
	s_and_saveexec_b64 s[8:9], s[6:7]
	s_xor_b64 s[6:7], exec, s[8:9]
	s_cbranch_execnz .LBB16_2573
; %bb.525:
	s_or_saveexec_b64 s[6:7], s[6:7]
	v_mov_b32_e32 v22, s10
	s_xor_b64 exec, exec, s[6:7]
	s_cbranch_execnz .LBB16_2576
.LBB16_526:
	s_or_b64 exec, exec, s[6:7]
	s_and_saveexec_b64 s[6:7], s[4:5]
	s_cbranch_execz .LBB16_528
.LBB16_527:
	v_bfe_u32 v22, v10, 8, 3
	v_ffbh_u32_e32 v24, v22
	v_min_u32_e32 v24, 32, v24
	v_lshrrev_b16_e32 v23, 3, v21
	v_subrev_u32_e32 v25, 28, v24
	v_and_b32_e32 v23, 15, v23
	v_lshlrev_b32_e32 v21, v25, v21
	v_sub_u32_e32 v24, 29, v24
	v_and_b32_e32 v21, 7, v21
	v_cmp_eq_u16_e32 vcc, 0, v23
	v_cndmask_b32_e32 v21, v22, v21, vcc
	v_cndmask_b32_e32 v22, v23, v24, vcc
	v_lshlrev_b32_e32 v23, 16, v10
	v_mov_b32_e32 v24, 0x3b800000
	v_lshlrev_b32_e32 v21, 20, v21
	v_and_b32_e32 v23, 0x80000000, v23
	v_lshl_add_u32 v22, v22, 23, v24
	v_or3_b32 v22, v23, v22, v21
.LBB16_528:
	s_or_b64 exec, exec, s[6:7]
	s_nop 0
	v_mfma_f32_16x16x4f32 a[0:3], v20, v22, a[0:3]
	s_movk_i32 s4, 0xff
	v_and_b32_sdwa v21, v14, s4 dst_sel:DWORD dst_unused:UNUSED_PAD src0_sel:WORD_1 src1_sel:DWORD
	s_movk_i32 s4, 0x7f
	v_cmp_lt_i16_e32 vcc, s4, v21
	s_mov_b64 s[4:5], 0
                                        ; implicit-def: $sgpr10
	s_and_saveexec_b64 s[6:7], vcc
	s_xor_b64 s[6:7], exec, s[6:7]
	s_cbranch_execnz .LBB16_2577
; %bb.529:
	s_or_saveexec_b64 s[6:7], s[6:7]
	v_mov_b32_e32 v20, s10
	s_xor_b64 exec, exec, s[6:7]
	s_cbranch_execnz .LBB16_2580
.LBB16_530:
	s_or_b64 exec, exec, s[6:7]
	s_and_saveexec_b64 s[6:7], s[4:5]
	s_cbranch_execz .LBB16_532
.LBB16_531:
	v_bfe_u32 v20, v14, 16, 3
	v_ffbh_u32_e32 v23, v20
	v_min_u32_e32 v23, 32, v23
	v_lshrrev_b32_e32 v21, 19, v14
	v_subrev_u32_e32 v24, 28, v23
	v_and_b32_e32 v21, 15, v21
	v_lshlrev_b32_sdwa v24, v24, v14 dst_sel:DWORD dst_unused:UNUSED_PAD src0_sel:DWORD src1_sel:WORD_1
	v_bfe_u32 v22, v14, 19, 4
	v_sub_u32_e32 v23, 29, v23
	v_and_b32_e32 v24, 7, v24
	v_cmp_eq_u16_e32 vcc, 0, v21
	v_cndmask_b32_e32 v20, v20, v24, vcc
	v_cndmask_b32_e32 v21, v22, v23, vcc
	v_lshlrev_b32_e32 v22, 8, v14
	v_mov_b32_e32 v23, 0x3b800000
	v_lshlrev_b32_e32 v20, 20, v20
	v_and_b32_e32 v22, 0x80000000, v22
	v_lshl_add_u32 v21, v21, 23, v23
	v_or3_b32 v20, v22, v21, v20
.LBB16_532:
	s_or_b64 exec, exec, s[6:7]
	s_movk_i32 s4, 0xff
	v_and_b32_sdwa v21, v10, s4 dst_sel:DWORD dst_unused:UNUSED_PAD src0_sel:WORD_1 src1_sel:DWORD
	s_movk_i32 s4, 0x7f
	v_cmp_lt_i16_e32 vcc, s4, v21
	s_mov_b64 s[4:5], 0
                                        ; implicit-def: $sgpr10
	s_and_saveexec_b64 s[6:7], vcc
	s_xor_b64 s[6:7], exec, s[6:7]
	s_cbranch_execnz .LBB16_2581
; %bb.533:
	s_or_saveexec_b64 s[6:7], s[6:7]
	v_mov_b32_e32 v22, s10
	s_xor_b64 exec, exec, s[6:7]
	s_cbranch_execnz .LBB16_2584
.LBB16_534:
	s_or_b64 exec, exec, s[6:7]
	s_and_saveexec_b64 s[6:7], s[4:5]
	s_cbranch_execz .LBB16_536
.LBB16_535:
	v_bfe_u32 v21, v10, 16, 3
	v_ffbh_u32_e32 v24, v21
	v_min_u32_e32 v24, 32, v24
	v_lshrrev_b32_e32 v22, 19, v10
	v_subrev_u32_e32 v25, 28, v24
	v_and_b32_e32 v22, 15, v22
	v_lshlrev_b32_sdwa v25, v25, v10 dst_sel:DWORD dst_unused:UNUSED_PAD src0_sel:DWORD src1_sel:WORD_1
	v_bfe_u32 v23, v10, 19, 4
	v_sub_u32_e32 v24, 29, v24
	v_and_b32_e32 v25, 7, v25
	v_cmp_eq_u16_e32 vcc, 0, v22
	v_cndmask_b32_e32 v21, v21, v25, vcc
	v_cndmask_b32_e32 v22, v23, v24, vcc
	v_lshlrev_b32_e32 v23, 8, v10
	v_mov_b32_e32 v24, 0x3b800000
	v_lshlrev_b32_e32 v21, 20, v21
	v_and_b32_e32 v23, 0x80000000, v23
	v_lshl_add_u32 v22, v22, 23, v24
	v_or3_b32 v22, v23, v22, v21
.LBB16_536:
	s_or_b64 exec, exec, s[6:7]
	s_nop 0
	v_mfma_f32_16x16x4f32 a[0:3], v20, v22, a[0:3]
	s_movk_i32 s4, 0x7f
	v_cmp_gt_i16_sdwa s[6:7], v14, s4 src0_sel:BYTE_3 src1_sel:DWORD
	s_mov_b64 s[4:5], 0
                                        ; implicit-def: $sgpr10
	s_and_saveexec_b64 s[8:9], s[6:7]
	s_xor_b64 s[6:7], exec, s[8:9]
	s_cbranch_execnz .LBB16_2585
; %bb.537:
	s_or_saveexec_b64 s[6:7], s[6:7]
	v_mov_b32_e32 v20, s10
	s_xor_b64 exec, exec, s[6:7]
	s_cbranch_execnz .LBB16_2588
.LBB16_538:
	s_or_b64 exec, exec, s[6:7]
	s_and_saveexec_b64 s[6:7], s[4:5]
	s_cbranch_execz .LBB16_540
.LBB16_539:
	v_bfe_u32 v20, v14, 24, 3
	v_ffbh_u32_e32 v24, v20
	v_min_u32_e32 v24, 32, v24
	v_lshrrev_b32_e32 v22, 27, v14
	v_subrev_u32_e32 v25, 28, v24
	v_and_b32_e32 v21, 0x80000000, v14
	v_and_b32_e32 v22, 15, v22
	v_bfe_u32 v23, v14, 27, 4
	v_lshlrev_b32_sdwa v14, v25, v14 dst_sel:DWORD dst_unused:UNUSED_PAD src0_sel:DWORD src1_sel:BYTE_3
	v_sub_u32_e32 v24, 29, v24
	v_and_b32_e32 v14, 7, v14
	v_cmp_eq_u16_e32 vcc, 0, v22
	v_cndmask_b32_e32 v14, v20, v14, vcc
	v_cndmask_b32_e32 v20, v23, v24, vcc
	v_mov_b32_e32 v22, 0x3b800000
	v_lshlrev_b32_e32 v14, 20, v14
	v_lshl_add_u32 v20, v20, 23, v22
	v_or3_b32 v20, v21, v20, v14
.LBB16_540:
	s_or_b64 exec, exec, s[6:7]
	s_movk_i32 s4, 0x7f
	v_cmp_gt_i16_sdwa s[6:7], v10, s4 src0_sel:BYTE_3 src1_sel:DWORD
	s_mov_b64 s[4:5], 0
                                        ; implicit-def: $sgpr10
	s_and_saveexec_b64 s[8:9], s[6:7]
	s_xor_b64 s[6:7], exec, s[8:9]
	s_cbranch_execnz .LBB16_2589
; %bb.541:
	s_or_saveexec_b64 s[6:7], s[6:7]
	v_mov_b32_e32 v14, s10
	s_xor_b64 exec, exec, s[6:7]
	s_cbranch_execnz .LBB16_2592
.LBB16_542:
	s_or_b64 exec, exec, s[6:7]
	s_and_saveexec_b64 s[6:7], s[4:5]
	s_cbranch_execz .LBB16_544
.LBB16_543:
	v_bfe_u32 v14, v10, 24, 3
	v_ffbh_u32_e32 v24, v14
	v_min_u32_e32 v24, 32, v24
	v_lshrrev_b32_e32 v22, 27, v10
	v_subrev_u32_e32 v25, 28, v24
	v_and_b32_e32 v21, 0x80000000, v10
	v_and_b32_e32 v22, 15, v22
	v_bfe_u32 v23, v10, 27, 4
	v_lshlrev_b32_sdwa v10, v25, v10 dst_sel:DWORD dst_unused:UNUSED_PAD src0_sel:DWORD src1_sel:BYTE_3
	v_sub_u32_e32 v24, 29, v24
	v_and_b32_e32 v10, 7, v10
	v_cmp_eq_u16_e32 vcc, 0, v22
	v_cndmask_b32_e32 v10, v14, v10, vcc
	v_cndmask_b32_e32 v14, v23, v24, vcc
	v_mov_b32_e32 v22, 0x3b800000
	v_lshlrev_b32_e32 v10, 20, v10
	v_lshl_add_u32 v14, v14, 23, v22
	v_or3_b32 v14, v21, v14, v10
.LBB16_544:
	s_or_b64 exec, exec, s[6:7]
	s_nop 0
	v_mfma_f32_16x16x4f32 a[0:3], v20, v14, a[0:3]
	s_movk_i32 s4, 0x7f
	v_cmp_gt_i16_sdwa s[6:7], v15, s4 src0_sel:BYTE_0 src1_sel:DWORD
	s_mov_b64 s[4:5], 0
                                        ; implicit-def: $sgpr10
	s_and_saveexec_b64 s[8:9], s[6:7]
	s_xor_b64 s[6:7], exec, s[8:9]
	s_cbranch_execnz .LBB16_2593
; %bb.545:
	s_or_saveexec_b64 s[6:7], s[6:7]
	v_mov_b32_e32 v10, s10
	s_xor_b64 exec, exec, s[6:7]
	s_cbranch_execnz .LBB16_2596
.LBB16_546:
	s_or_b64 exec, exec, s[6:7]
	s_and_saveexec_b64 s[6:7], s[4:5]
	s_cbranch_execz .LBB16_548
.LBB16_547:
	v_and_b32_e32 v10, 7, v15
	v_ffbh_u32_e32 v20, v10
	v_min_u32_e32 v20, 32, v20
	v_lshrrev_b16_e32 v14, 3, v15
	v_subrev_u32_e32 v21, 28, v20
	v_and_b32_e32 v14, 15, v14
	v_lshlrev_b32_e32 v21, v21, v15
	v_sub_u32_e32 v20, 29, v20
	v_and_b32_e32 v21, 7, v21
	v_cmp_eq_u16_e32 vcc, 0, v14
	v_cndmask_b32_e32 v10, v10, v21, vcc
	v_cndmask_b32_e32 v14, v14, v20, vcc
	v_lshlrev_b32_e32 v20, 24, v15
	v_mov_b32_e32 v21, 0x3b800000
	v_lshlrev_b32_e32 v10, 20, v10
	v_and_b32_e32 v20, 0x80000000, v20
	v_lshl_add_u32 v14, v14, 23, v21
	v_or3_b32 v10, v20, v14, v10
.LBB16_548:
	s_or_b64 exec, exec, s[6:7]
	s_movk_i32 s4, 0x7f
	v_cmp_gt_i16_sdwa s[6:7], v11, s4 src0_sel:BYTE_0 src1_sel:DWORD
	s_mov_b64 s[4:5], 0
                                        ; implicit-def: $sgpr10
	s_and_saveexec_b64 s[8:9], s[6:7]
	s_xor_b64 s[6:7], exec, s[8:9]
	s_cbranch_execnz .LBB16_2597
; %bb.549:
	s_or_saveexec_b64 s[6:7], s[6:7]
	v_mov_b32_e32 v14, s10
	s_xor_b64 exec, exec, s[6:7]
	s_cbranch_execnz .LBB16_2600
.LBB16_550:
	s_or_b64 exec, exec, s[6:7]
	s_and_saveexec_b64 s[6:7], s[4:5]
	s_cbranch_execz .LBB16_552
.LBB16_551:
	v_and_b32_e32 v14, 7, v11
	v_ffbh_u32_e32 v21, v14
	v_min_u32_e32 v21, 32, v21
	v_lshrrev_b16_e32 v20, 3, v11
	v_subrev_u32_e32 v22, 28, v21
	v_and_b32_e32 v20, 15, v20
	v_lshlrev_b32_e32 v22, v22, v11
	v_sub_u32_e32 v21, 29, v21
	v_and_b32_e32 v22, 7, v22
	v_cmp_eq_u16_e32 vcc, 0, v20
	v_cndmask_b32_e32 v14, v14, v22, vcc
	v_cndmask_b32_e32 v20, v20, v21, vcc
	v_lshlrev_b32_e32 v21, 24, v11
	v_mov_b32_e32 v22, 0x3b800000
	v_lshlrev_b32_e32 v14, 20, v14
	v_and_b32_e32 v21, 0x80000000, v21
	v_lshl_add_u32 v20, v20, 23, v22
	v_or3_b32 v14, v21, v20, v14
.LBB16_552:
	s_or_b64 exec, exec, s[6:7]
	s_nop 0
	v_mfma_f32_16x16x4f32 a[0:3], v10, v14, a[0:3]
	v_lshrrev_b32_e32 v14, 8, v15
	s_movk_i32 s4, 0x7f
	v_cmp_gt_i16_sdwa s[6:7], v14, s4 src0_sel:BYTE_0 src1_sel:DWORD
	s_mov_b64 s[4:5], 0
                                        ; implicit-def: $sgpr10
	s_and_saveexec_b64 s[8:9], s[6:7]
	s_xor_b64 s[6:7], exec, s[8:9]
	s_cbranch_execnz .LBB16_2601
; %bb.553:
	s_or_saveexec_b64 s[6:7], s[6:7]
	v_mov_b32_e32 v10, s10
	s_xor_b64 exec, exec, s[6:7]
	s_cbranch_execnz .LBB16_2604
.LBB16_554:
	s_or_b64 exec, exec, s[6:7]
	s_and_saveexec_b64 s[6:7], s[4:5]
	s_cbranch_execz .LBB16_556
.LBB16_555:
	v_bfe_u32 v10, v15, 8, 3
	v_ffbh_u32_e32 v21, v10
	v_min_u32_e32 v21, 32, v21
	v_lshrrev_b16_e32 v20, 3, v14
	v_subrev_u32_e32 v22, 28, v21
	v_and_b32_e32 v20, 15, v20
	v_lshlrev_b32_e32 v14, v22, v14
	v_sub_u32_e32 v21, 29, v21
	v_and_b32_e32 v14, 7, v14
	v_cmp_eq_u16_e32 vcc, 0, v20
	v_cndmask_b32_e32 v10, v10, v14, vcc
	v_cndmask_b32_e32 v14, v20, v21, vcc
	v_lshlrev_b32_e32 v20, 16, v15
	v_mov_b32_e32 v21, 0x3b800000
	v_lshlrev_b32_e32 v10, 20, v10
	v_and_b32_e32 v20, 0x80000000, v20
	v_lshl_add_u32 v14, v14, 23, v21
	v_or3_b32 v10, v20, v14, v10
.LBB16_556:
	s_or_b64 exec, exec, s[6:7]
	v_lshrrev_b32_e32 v14, 8, v11
	s_movk_i32 s4, 0x7f
	v_cmp_gt_i16_sdwa s[6:7], v14, s4 src0_sel:BYTE_0 src1_sel:DWORD
	s_mov_b64 s[4:5], 0
                                        ; implicit-def: $sgpr10
	s_and_saveexec_b64 s[8:9], s[6:7]
	s_xor_b64 s[6:7], exec, s[8:9]
	s_cbranch_execnz .LBB16_2605
; %bb.557:
	s_or_saveexec_b64 s[6:7], s[6:7]
	v_mov_b32_e32 v20, s10
	s_xor_b64 exec, exec, s[6:7]
	s_cbranch_execnz .LBB16_2608
.LBB16_558:
	s_or_b64 exec, exec, s[6:7]
	s_and_saveexec_b64 s[6:7], s[4:5]
	s_cbranch_execz .LBB16_560
.LBB16_559:
	v_bfe_u32 v20, v11, 8, 3
	v_ffbh_u32_e32 v22, v20
	v_min_u32_e32 v22, 32, v22
	v_lshrrev_b16_e32 v21, 3, v14
	v_subrev_u32_e32 v23, 28, v22
	v_and_b32_e32 v21, 15, v21
	v_lshlrev_b32_e32 v14, v23, v14
	v_sub_u32_e32 v22, 29, v22
	v_and_b32_e32 v14, 7, v14
	v_cmp_eq_u16_e32 vcc, 0, v21
	v_cndmask_b32_e32 v14, v20, v14, vcc
	v_cndmask_b32_e32 v20, v21, v22, vcc
	v_lshlrev_b32_e32 v21, 16, v11
	v_mov_b32_e32 v22, 0x3b800000
	v_lshlrev_b32_e32 v14, 20, v14
	v_and_b32_e32 v21, 0x80000000, v21
	v_lshl_add_u32 v20, v20, 23, v22
	v_or3_b32 v20, v21, v20, v14
.LBB16_560:
	s_or_b64 exec, exec, s[6:7]
	s_nop 0
	v_mfma_f32_16x16x4f32 a[0:3], v10, v20, a[0:3]
	s_movk_i32 s4, 0xff
	v_and_b32_sdwa v14, v15, s4 dst_sel:DWORD dst_unused:UNUSED_PAD src0_sel:WORD_1 src1_sel:DWORD
	s_movk_i32 s4, 0x7f
	v_cmp_lt_i16_e32 vcc, s4, v14
	s_mov_b64 s[4:5], 0
                                        ; implicit-def: $sgpr10
	s_and_saveexec_b64 s[6:7], vcc
	s_xor_b64 s[6:7], exec, s[6:7]
	s_cbranch_execnz .LBB16_2609
; %bb.561:
	s_or_saveexec_b64 s[6:7], s[6:7]
	v_mov_b32_e32 v10, s10
	s_xor_b64 exec, exec, s[6:7]
	s_cbranch_execnz .LBB16_2612
.LBB16_562:
	s_or_b64 exec, exec, s[6:7]
	s_and_saveexec_b64 s[6:7], s[4:5]
	s_cbranch_execz .LBB16_564
.LBB16_563:
	v_bfe_u32 v10, v15, 16, 3
	v_ffbh_u32_e32 v21, v10
	v_min_u32_e32 v21, 32, v21
	v_lshrrev_b32_e32 v14, 19, v15
	v_subrev_u32_e32 v22, 28, v21
	v_and_b32_e32 v14, 15, v14
	v_lshlrev_b32_sdwa v22, v22, v15 dst_sel:DWORD dst_unused:UNUSED_PAD src0_sel:DWORD src1_sel:WORD_1
	v_bfe_u32 v20, v15, 19, 4
	v_sub_u32_e32 v21, 29, v21
	v_and_b32_e32 v22, 7, v22
	v_cmp_eq_u16_e32 vcc, 0, v14
	v_cndmask_b32_e32 v10, v10, v22, vcc
	v_cndmask_b32_e32 v14, v20, v21, vcc
	v_lshlrev_b32_e32 v20, 8, v15
	v_mov_b32_e32 v21, 0x3b800000
	v_lshlrev_b32_e32 v10, 20, v10
	v_and_b32_e32 v20, 0x80000000, v20
	v_lshl_add_u32 v14, v14, 23, v21
	v_or3_b32 v10, v20, v14, v10
.LBB16_564:
	s_or_b64 exec, exec, s[6:7]
	s_movk_i32 s4, 0xff
	v_and_b32_sdwa v14, v11, s4 dst_sel:DWORD dst_unused:UNUSED_PAD src0_sel:WORD_1 src1_sel:DWORD
	s_movk_i32 s4, 0x7f
	v_cmp_lt_i16_e32 vcc, s4, v14
	s_mov_b64 s[4:5], 0
                                        ; implicit-def: $sgpr10
	s_and_saveexec_b64 s[6:7], vcc
	s_xor_b64 s[6:7], exec, s[6:7]
	s_cbranch_execnz .LBB16_2613
; %bb.565:
	s_or_saveexec_b64 s[6:7], s[6:7]
	v_mov_b32_e32 v20, s10
	s_xor_b64 exec, exec, s[6:7]
	s_cbranch_execnz .LBB16_2616
.LBB16_566:
	s_or_b64 exec, exec, s[6:7]
	s_and_saveexec_b64 s[6:7], s[4:5]
	s_cbranch_execz .LBB16_568
.LBB16_567:
	v_bfe_u32 v14, v11, 16, 3
	v_ffbh_u32_e32 v22, v14
	v_min_u32_e32 v22, 32, v22
	v_lshrrev_b32_e32 v20, 19, v11
	v_subrev_u32_e32 v23, 28, v22
	v_and_b32_e32 v20, 15, v20
	v_lshlrev_b32_sdwa v23, v23, v11 dst_sel:DWORD dst_unused:UNUSED_PAD src0_sel:DWORD src1_sel:WORD_1
	v_bfe_u32 v21, v11, 19, 4
	v_sub_u32_e32 v22, 29, v22
	v_and_b32_e32 v23, 7, v23
	v_cmp_eq_u16_e32 vcc, 0, v20
	v_cndmask_b32_e32 v14, v14, v23, vcc
	v_cndmask_b32_e32 v20, v21, v22, vcc
	v_lshlrev_b32_e32 v21, 8, v11
	v_mov_b32_e32 v22, 0x3b800000
	v_lshlrev_b32_e32 v14, 20, v14
	v_and_b32_e32 v21, 0x80000000, v21
	v_lshl_add_u32 v20, v20, 23, v22
	v_or3_b32 v20, v21, v20, v14
.LBB16_568:
	s_or_b64 exec, exec, s[6:7]
	s_nop 0
	v_mfma_f32_16x16x4f32 a[0:3], v10, v20, a[0:3]
	s_movk_i32 s4, 0x7f
	v_cmp_gt_i16_sdwa s[6:7], v15, s4 src0_sel:BYTE_3 src1_sel:DWORD
	s_mov_b64 s[4:5], 0
                                        ; implicit-def: $sgpr10
	s_and_saveexec_b64 s[8:9], s[6:7]
	s_xor_b64 s[6:7], exec, s[8:9]
	s_cbranch_execnz .LBB16_2617
; %bb.569:
	s_or_saveexec_b64 s[6:7], s[6:7]
	v_mov_b32_e32 v10, s10
	s_xor_b64 exec, exec, s[6:7]
	s_cbranch_execnz .LBB16_2620
.LBB16_570:
	s_or_b64 exec, exec, s[6:7]
	s_and_saveexec_b64 s[6:7], s[4:5]
	s_cbranch_execz .LBB16_572
.LBB16_571:
	v_bfe_u32 v10, v15, 24, 3
	v_ffbh_u32_e32 v22, v10
	v_min_u32_e32 v22, 32, v22
	v_lshrrev_b32_e32 v20, 27, v15
	v_subrev_u32_e32 v23, 28, v22
	v_and_b32_e32 v14, 0x80000000, v15
	v_and_b32_e32 v20, 15, v20
	v_bfe_u32 v21, v15, 27, 4
	v_lshlrev_b32_sdwa v15, v23, v15 dst_sel:DWORD dst_unused:UNUSED_PAD src0_sel:DWORD src1_sel:BYTE_3
	v_sub_u32_e32 v22, 29, v22
	v_and_b32_e32 v15, 7, v15
	v_cmp_eq_u16_e32 vcc, 0, v20
	v_cndmask_b32_e32 v10, v10, v15, vcc
	v_cndmask_b32_e32 v15, v21, v22, vcc
	v_mov_b32_e32 v20, 0x3b800000
	v_lshlrev_b32_e32 v10, 20, v10
	v_lshl_add_u32 v15, v15, 23, v20
	v_or3_b32 v10, v14, v15, v10
.LBB16_572:
	s_or_b64 exec, exec, s[6:7]
	s_movk_i32 s4, 0x7f
	v_cmp_gt_i16_sdwa s[6:7], v11, s4 src0_sel:BYTE_3 src1_sel:DWORD
	s_mov_b64 s[4:5], 0
                                        ; implicit-def: $sgpr10
	s_and_saveexec_b64 s[8:9], s[6:7]
	s_xor_b64 s[6:7], exec, s[8:9]
	s_cbranch_execnz .LBB16_2621
; %bb.573:
	s_or_saveexec_b64 s[6:7], s[6:7]
	v_mov_b32_e32 v14, s10
	s_xor_b64 exec, exec, s[6:7]
	s_cbranch_execnz .LBB16_2624
.LBB16_574:
	s_or_b64 exec, exec, s[6:7]
	s_and_saveexec_b64 s[6:7], s[4:5]
	s_cbranch_execz .LBB16_576
.LBB16_575:
	v_bfe_u32 v14, v11, 24, 3
	v_ffbh_u32_e32 v22, v14
	v_min_u32_e32 v22, 32, v22
	v_lshrrev_b32_e32 v20, 27, v11
	v_subrev_u32_e32 v23, 28, v22
	v_and_b32_e32 v15, 0x80000000, v11
	v_and_b32_e32 v20, 15, v20
	v_bfe_u32 v21, v11, 27, 4
	v_lshlrev_b32_sdwa v11, v23, v11 dst_sel:DWORD dst_unused:UNUSED_PAD src0_sel:DWORD src1_sel:BYTE_3
	v_sub_u32_e32 v22, 29, v22
	v_and_b32_e32 v11, 7, v11
	v_cmp_eq_u16_e32 vcc, 0, v20
	v_cndmask_b32_e32 v11, v14, v11, vcc
	v_cndmask_b32_e32 v14, v21, v22, vcc
	v_mov_b32_e32 v20, 0x3b800000
	v_lshlrev_b32_e32 v11, 20, v11
	v_lshl_add_u32 v14, v14, 23, v20
	v_or3_b32 v14, v15, v14, v11
.LBB16_576:
	s_or_b64 exec, exec, s[6:7]
	s_nop 0
	v_mfma_f32_16x16x4f32 a[0:3], v10, v14, a[0:3]
	s_movk_i32 s4, 0x7f
	v_cmp_gt_i16_sdwa s[6:7], v16, s4 src0_sel:BYTE_0 src1_sel:DWORD
	s_mov_b64 s[4:5], 0
                                        ; implicit-def: $sgpr10
	s_and_saveexec_b64 s[8:9], s[6:7]
	s_xor_b64 s[6:7], exec, s[8:9]
	s_cbranch_execnz .LBB16_2625
; %bb.577:
	s_or_saveexec_b64 s[6:7], s[6:7]
	v_mov_b32_e32 v10, s10
	s_xor_b64 exec, exec, s[6:7]
	s_cbranch_execnz .LBB16_2628
.LBB16_578:
	s_or_b64 exec, exec, s[6:7]
	s_and_saveexec_b64 s[6:7], s[4:5]
	s_cbranch_execz .LBB16_580
.LBB16_579:
	v_and_b32_e32 v10, 7, v16
	v_ffbh_u32_e32 v14, v10
	v_min_u32_e32 v14, 32, v14
	v_lshrrev_b16_e32 v11, 3, v16
	v_subrev_u32_e32 v15, 28, v14
	v_and_b32_e32 v11, 15, v11
	v_lshlrev_b32_e32 v15, v15, v16
	v_sub_u32_e32 v14, 29, v14
	v_and_b32_e32 v15, 7, v15
	v_cmp_eq_u16_e32 vcc, 0, v11
	v_cndmask_b32_e32 v10, v10, v15, vcc
	v_cndmask_b32_e32 v11, v11, v14, vcc
	v_lshlrev_b32_e32 v14, 24, v16
	v_mov_b32_e32 v15, 0x3b800000
	v_lshlrev_b32_e32 v10, 20, v10
	v_and_b32_e32 v14, 0x80000000, v14
	v_lshl_add_u32 v11, v11, 23, v15
	v_or3_b32 v10, v14, v11, v10
.LBB16_580:
	s_or_b64 exec, exec, s[6:7]
	s_movk_i32 s4, 0x7f
	v_cmp_gt_i16_sdwa s[6:7], v12, s4 src0_sel:BYTE_0 src1_sel:DWORD
	s_mov_b64 s[4:5], 0
                                        ; implicit-def: $sgpr10
	s_and_saveexec_b64 s[8:9], s[6:7]
	s_xor_b64 s[6:7], exec, s[8:9]
	s_cbranch_execnz .LBB16_2629
; %bb.581:
	s_or_saveexec_b64 s[6:7], s[6:7]
	v_mov_b32_e32 v11, s10
	s_xor_b64 exec, exec, s[6:7]
	s_cbranch_execnz .LBB16_2632
.LBB16_582:
	s_or_b64 exec, exec, s[6:7]
	s_and_saveexec_b64 s[6:7], s[4:5]
	s_cbranch_execz .LBB16_584
.LBB16_583:
	v_and_b32_e32 v11, 7, v12
	v_ffbh_u32_e32 v15, v11
	v_min_u32_e32 v15, 32, v15
	v_lshrrev_b16_e32 v14, 3, v12
	v_subrev_u32_e32 v20, 28, v15
	v_and_b32_e32 v14, 15, v14
	v_lshlrev_b32_e32 v20, v20, v12
	v_sub_u32_e32 v15, 29, v15
	v_and_b32_e32 v20, 7, v20
	v_cmp_eq_u16_e32 vcc, 0, v14
	v_cndmask_b32_e32 v11, v11, v20, vcc
	v_cndmask_b32_e32 v14, v14, v15, vcc
	v_lshlrev_b32_e32 v15, 24, v12
	v_mov_b32_e32 v20, 0x3b800000
	v_lshlrev_b32_e32 v11, 20, v11
	v_and_b32_e32 v15, 0x80000000, v15
	v_lshl_add_u32 v14, v14, 23, v20
	v_or3_b32 v11, v15, v14, v11
.LBB16_584:
	s_or_b64 exec, exec, s[6:7]
	s_nop 0
	v_mfma_f32_16x16x4f32 a[0:3], v10, v11, a[0:3]
	v_lshrrev_b32_e32 v11, 8, v16
	s_movk_i32 s4, 0x7f
	v_cmp_gt_i16_sdwa s[6:7], v11, s4 src0_sel:BYTE_0 src1_sel:DWORD
	s_mov_b64 s[4:5], 0
                                        ; implicit-def: $sgpr10
	s_and_saveexec_b64 s[8:9], s[6:7]
	s_xor_b64 s[6:7], exec, s[8:9]
	s_cbranch_execnz .LBB16_2633
; %bb.585:
	s_or_saveexec_b64 s[6:7], s[6:7]
	v_mov_b32_e32 v10, s10
	s_xor_b64 exec, exec, s[6:7]
	s_cbranch_execnz .LBB16_2636
.LBB16_586:
	s_or_b64 exec, exec, s[6:7]
	s_and_saveexec_b64 s[6:7], s[4:5]
	s_cbranch_execz .LBB16_588
.LBB16_587:
	v_bfe_u32 v10, v16, 8, 3
	v_ffbh_u32_e32 v15, v10
	v_min_u32_e32 v15, 32, v15
	v_lshrrev_b16_e32 v14, 3, v11
	v_subrev_u32_e32 v20, 28, v15
	v_and_b32_e32 v14, 15, v14
	v_lshlrev_b32_e32 v11, v20, v11
	v_sub_u32_e32 v15, 29, v15
	v_and_b32_e32 v11, 7, v11
	v_cmp_eq_u16_e32 vcc, 0, v14
	v_cndmask_b32_e32 v10, v10, v11, vcc
	v_cndmask_b32_e32 v11, v14, v15, vcc
	v_lshlrev_b32_e32 v14, 16, v16
	v_mov_b32_e32 v15, 0x3b800000
	v_lshlrev_b32_e32 v10, 20, v10
	v_and_b32_e32 v14, 0x80000000, v14
	v_lshl_add_u32 v11, v11, 23, v15
	v_or3_b32 v10, v14, v11, v10
.LBB16_588:
	s_or_b64 exec, exec, s[6:7]
	v_lshrrev_b32_e32 v11, 8, v12
	s_movk_i32 s4, 0x7f
	v_cmp_gt_i16_sdwa s[6:7], v11, s4 src0_sel:BYTE_0 src1_sel:DWORD
	s_mov_b64 s[4:5], 0
                                        ; implicit-def: $sgpr10
	s_and_saveexec_b64 s[8:9], s[6:7]
	s_xor_b64 s[6:7], exec, s[8:9]
	s_cbranch_execnz .LBB16_2637
; %bb.589:
	s_or_saveexec_b64 s[6:7], s[6:7]
	v_mov_b32_e32 v14, s10
	s_xor_b64 exec, exec, s[6:7]
	s_cbranch_execnz .LBB16_2640
.LBB16_590:
	s_or_b64 exec, exec, s[6:7]
	s_and_saveexec_b64 s[6:7], s[4:5]
	s_cbranch_execz .LBB16_592
.LBB16_591:
	v_bfe_u32 v14, v12, 8, 3
	v_ffbh_u32_e32 v20, v14
	v_min_u32_e32 v20, 32, v20
	v_lshrrev_b16_e32 v15, 3, v11
	v_subrev_u32_e32 v21, 28, v20
	v_and_b32_e32 v15, 15, v15
	v_lshlrev_b32_e32 v11, v21, v11
	v_sub_u32_e32 v20, 29, v20
	v_and_b32_e32 v11, 7, v11
	v_cmp_eq_u16_e32 vcc, 0, v15
	v_cndmask_b32_e32 v11, v14, v11, vcc
	v_cndmask_b32_e32 v14, v15, v20, vcc
	v_lshlrev_b32_e32 v15, 16, v12
	v_mov_b32_e32 v20, 0x3b800000
	v_lshlrev_b32_e32 v11, 20, v11
	v_and_b32_e32 v15, 0x80000000, v15
	v_lshl_add_u32 v14, v14, 23, v20
	v_or3_b32 v14, v15, v14, v11
.LBB16_592:
	s_or_b64 exec, exec, s[6:7]
	s_nop 0
	v_mfma_f32_16x16x4f32 a[0:3], v10, v14, a[0:3]
	s_movk_i32 s4, 0xff
	v_and_b32_sdwa v11, v16, s4 dst_sel:DWORD dst_unused:UNUSED_PAD src0_sel:WORD_1 src1_sel:DWORD
	s_movk_i32 s4, 0x7f
	v_cmp_lt_i16_e32 vcc, s4, v11
	s_mov_b64 s[4:5], 0
                                        ; implicit-def: $sgpr10
	s_and_saveexec_b64 s[6:7], vcc
	s_xor_b64 s[6:7], exec, s[6:7]
	s_cbranch_execnz .LBB16_2641
; %bb.593:
	s_or_saveexec_b64 s[6:7], s[6:7]
	v_mov_b32_e32 v10, s10
	s_xor_b64 exec, exec, s[6:7]
	s_cbranch_execnz .LBB16_2644
.LBB16_594:
	s_or_b64 exec, exec, s[6:7]
	s_and_saveexec_b64 s[6:7], s[4:5]
	s_cbranch_execz .LBB16_596
.LBB16_595:
	v_bfe_u32 v10, v16, 16, 3
	v_ffbh_u32_e32 v15, v10
	v_min_u32_e32 v15, 32, v15
	v_lshrrev_b32_e32 v11, 19, v16
	v_subrev_u32_e32 v20, 28, v15
	v_and_b32_e32 v11, 15, v11
	v_lshlrev_b32_sdwa v20, v20, v16 dst_sel:DWORD dst_unused:UNUSED_PAD src0_sel:DWORD src1_sel:WORD_1
	v_bfe_u32 v14, v16, 19, 4
	v_sub_u32_e32 v15, 29, v15
	v_and_b32_e32 v20, 7, v20
	v_cmp_eq_u16_e32 vcc, 0, v11
	v_cndmask_b32_e32 v10, v10, v20, vcc
	v_cndmask_b32_e32 v11, v14, v15, vcc
	v_lshlrev_b32_e32 v14, 8, v16
	v_mov_b32_e32 v15, 0x3b800000
	v_lshlrev_b32_e32 v10, 20, v10
	v_and_b32_e32 v14, 0x80000000, v14
	v_lshl_add_u32 v11, v11, 23, v15
	v_or3_b32 v10, v14, v11, v10
.LBB16_596:
	s_or_b64 exec, exec, s[6:7]
	s_movk_i32 s4, 0xff
	v_and_b32_sdwa v11, v12, s4 dst_sel:DWORD dst_unused:UNUSED_PAD src0_sel:WORD_1 src1_sel:DWORD
	s_movk_i32 s4, 0x7f
	v_cmp_lt_i16_e32 vcc, s4, v11
	s_mov_b64 s[4:5], 0
                                        ; implicit-def: $sgpr10
	s_and_saveexec_b64 s[6:7], vcc
	s_xor_b64 s[6:7], exec, s[6:7]
	s_cbranch_execnz .LBB16_2645
; %bb.597:
	s_or_saveexec_b64 s[6:7], s[6:7]
	v_mov_b32_e32 v14, s10
	s_xor_b64 exec, exec, s[6:7]
	s_cbranch_execnz .LBB16_2648
.LBB16_598:
	s_or_b64 exec, exec, s[6:7]
	s_and_saveexec_b64 s[6:7], s[4:5]
	s_cbranch_execz .LBB16_600
.LBB16_599:
	v_bfe_u32 v11, v12, 16, 3
	v_ffbh_u32_e32 v20, v11
	v_min_u32_e32 v20, 32, v20
	v_lshrrev_b32_e32 v14, 19, v12
	v_subrev_u32_e32 v21, 28, v20
	v_and_b32_e32 v14, 15, v14
	v_lshlrev_b32_sdwa v21, v21, v12 dst_sel:DWORD dst_unused:UNUSED_PAD src0_sel:DWORD src1_sel:WORD_1
	v_bfe_u32 v15, v12, 19, 4
	v_sub_u32_e32 v20, 29, v20
	v_and_b32_e32 v21, 7, v21
	v_cmp_eq_u16_e32 vcc, 0, v14
	v_cndmask_b32_e32 v11, v11, v21, vcc
	v_cndmask_b32_e32 v14, v15, v20, vcc
	v_lshlrev_b32_e32 v15, 8, v12
	v_mov_b32_e32 v20, 0x3b800000
	v_lshlrev_b32_e32 v11, 20, v11
	v_and_b32_e32 v15, 0x80000000, v15
	v_lshl_add_u32 v14, v14, 23, v20
	v_or3_b32 v14, v15, v14, v11
.LBB16_600:
	s_or_b64 exec, exec, s[6:7]
	s_nop 0
	v_mfma_f32_16x16x4f32 a[0:3], v10, v14, a[0:3]
	s_movk_i32 s4, 0x7f
	v_cmp_gt_i16_sdwa s[6:7], v16, s4 src0_sel:BYTE_3 src1_sel:DWORD
	s_mov_b64 s[4:5], 0
                                        ; implicit-def: $sgpr10
	s_and_saveexec_b64 s[8:9], s[6:7]
	s_xor_b64 s[6:7], exec, s[8:9]
	s_cbranch_execnz .LBB16_2649
; %bb.601:
	s_or_saveexec_b64 s[6:7], s[6:7]
	v_mov_b32_e32 v10, s10
	s_xor_b64 exec, exec, s[6:7]
	s_cbranch_execnz .LBB16_2652
.LBB16_602:
	s_or_b64 exec, exec, s[6:7]
	s_and_saveexec_b64 s[6:7], s[4:5]
	s_cbranch_execz .LBB16_604
.LBB16_603:
	v_bfe_u32 v10, v16, 24, 3
	v_ffbh_u32_e32 v20, v10
	v_min_u32_e32 v20, 32, v20
	v_lshrrev_b32_e32 v14, 27, v16
	v_subrev_u32_e32 v21, 28, v20
	v_and_b32_e32 v11, 0x80000000, v16
	v_and_b32_e32 v14, 15, v14
	v_bfe_u32 v15, v16, 27, 4
	v_lshlrev_b32_sdwa v16, v21, v16 dst_sel:DWORD dst_unused:UNUSED_PAD src0_sel:DWORD src1_sel:BYTE_3
	v_sub_u32_e32 v20, 29, v20
	v_and_b32_e32 v16, 7, v16
	v_cmp_eq_u16_e32 vcc, 0, v14
	v_cndmask_b32_e32 v10, v10, v16, vcc
	v_cndmask_b32_e32 v14, v15, v20, vcc
	v_mov_b32_e32 v15, 0x3b800000
	v_lshlrev_b32_e32 v10, 20, v10
	v_lshl_add_u32 v14, v14, 23, v15
	v_or3_b32 v10, v11, v14, v10
.LBB16_604:
	s_or_b64 exec, exec, s[6:7]
	s_movk_i32 s4, 0x7f
	v_cmp_gt_i16_sdwa s[6:7], v12, s4 src0_sel:BYTE_3 src1_sel:DWORD
	s_mov_b64 s[4:5], 0
                                        ; implicit-def: $sgpr10
	s_and_saveexec_b64 s[8:9], s[6:7]
	s_xor_b64 s[6:7], exec, s[8:9]
	s_cbranch_execnz .LBB16_2653
; %bb.605:
	s_or_saveexec_b64 s[6:7], s[6:7]
	v_mov_b32_e32 v11, s10
	s_xor_b64 exec, exec, s[6:7]
	s_cbranch_execnz .LBB16_2656
.LBB16_606:
	s_or_b64 exec, exec, s[6:7]
	s_and_saveexec_b64 s[6:7], s[4:5]
	s_cbranch_execz .LBB16_608
.LBB16_607:
	v_bfe_u32 v11, v12, 24, 3
	v_ffbh_u32_e32 v20, v11
	v_min_u32_e32 v20, 32, v20
	v_lshrrev_b32_e32 v15, 27, v12
	v_subrev_u32_e32 v21, 28, v20
	v_and_b32_e32 v14, 0x80000000, v12
	v_and_b32_e32 v15, 15, v15
	v_bfe_u32 v16, v12, 27, 4
	v_lshlrev_b32_sdwa v12, v21, v12 dst_sel:DWORD dst_unused:UNUSED_PAD src0_sel:DWORD src1_sel:BYTE_3
	v_sub_u32_e32 v20, 29, v20
	v_and_b32_e32 v12, 7, v12
	v_cmp_eq_u16_e32 vcc, 0, v15
	v_cndmask_b32_e32 v11, v11, v12, vcc
	v_cndmask_b32_e32 v12, v16, v20, vcc
	v_mov_b32_e32 v15, 0x3b800000
	v_lshlrev_b32_e32 v11, 20, v11
	v_lshl_add_u32 v12, v12, 23, v15
	v_or3_b32 v11, v14, v12, v11
.LBB16_608:
	s_or_b64 exec, exec, s[6:7]
	s_nop 0
	v_mfma_f32_16x16x4f32 a[0:3], v10, v11, a[0:3]
	s_movk_i32 s4, 0x7f
	v_cmp_gt_i16_sdwa s[6:7], v17, s4 src0_sel:BYTE_0 src1_sel:DWORD
	s_mov_b64 s[4:5], 0
                                        ; implicit-def: $sgpr10
	s_and_saveexec_b64 s[8:9], s[6:7]
	s_xor_b64 s[6:7], exec, s[8:9]
	s_cbranch_execnz .LBB16_2657
; %bb.609:
	s_or_saveexec_b64 s[6:7], s[6:7]
	v_mov_b32_e32 v10, s10
	s_xor_b64 exec, exec, s[6:7]
	s_cbranch_execnz .LBB16_2660
.LBB16_610:
	s_or_b64 exec, exec, s[6:7]
	s_and_saveexec_b64 s[6:7], s[4:5]
	s_cbranch_execz .LBB16_612
.LBB16_611:
	v_and_b32_e32 v10, 7, v17
	v_ffbh_u32_e32 v12, v10
	v_min_u32_e32 v12, 32, v12
	v_lshrrev_b16_e32 v11, 3, v17
	v_subrev_u32_e32 v14, 28, v12
	v_and_b32_e32 v11, 15, v11
	v_lshlrev_b32_e32 v14, v14, v17
	v_sub_u32_e32 v12, 29, v12
	v_and_b32_e32 v14, 7, v14
	v_cmp_eq_u16_e32 vcc, 0, v11
	v_cndmask_b32_e32 v10, v10, v14, vcc
	v_cndmask_b32_e32 v11, v11, v12, vcc
	v_lshlrev_b32_e32 v12, 24, v17
	v_mov_b32_e32 v14, 0x3b800000
	v_lshlrev_b32_e32 v10, 20, v10
	v_and_b32_e32 v12, 0x80000000, v12
	v_lshl_add_u32 v11, v11, 23, v14
	v_or3_b32 v10, v12, v11, v10
.LBB16_612:
	s_or_b64 exec, exec, s[6:7]
	s_movk_i32 s4, 0x7f
	v_cmp_gt_i16_sdwa s[6:7], v13, s4 src0_sel:BYTE_0 src1_sel:DWORD
	s_mov_b64 s[4:5], 0
                                        ; implicit-def: $sgpr10
	s_and_saveexec_b64 s[8:9], s[6:7]
	s_xor_b64 s[6:7], exec, s[8:9]
	s_cbranch_execnz .LBB16_2661
; %bb.613:
	s_or_saveexec_b64 s[6:7], s[6:7]
	v_mov_b32_e32 v11, s10
	s_xor_b64 exec, exec, s[6:7]
	s_cbranch_execnz .LBB16_2664
.LBB16_614:
	s_or_b64 exec, exec, s[6:7]
	s_and_saveexec_b64 s[6:7], s[4:5]
	s_cbranch_execz .LBB16_616
.LBB16_615:
	v_and_b32_e32 v11, 7, v13
	v_ffbh_u32_e32 v14, v11
	v_min_u32_e32 v14, 32, v14
	v_lshrrev_b16_e32 v12, 3, v13
	v_subrev_u32_e32 v15, 28, v14
	v_and_b32_e32 v12, 15, v12
	v_lshlrev_b32_e32 v15, v15, v13
	v_sub_u32_e32 v14, 29, v14
	v_and_b32_e32 v15, 7, v15
	v_cmp_eq_u16_e32 vcc, 0, v12
	v_cndmask_b32_e32 v11, v11, v15, vcc
	v_cndmask_b32_e32 v12, v12, v14, vcc
	v_lshlrev_b32_e32 v14, 24, v13
	v_mov_b32_e32 v15, 0x3b800000
	v_lshlrev_b32_e32 v11, 20, v11
	v_and_b32_e32 v14, 0x80000000, v14
	v_lshl_add_u32 v12, v12, 23, v15
	v_or3_b32 v11, v14, v12, v11
.LBB16_616:
	s_or_b64 exec, exec, s[6:7]
	s_nop 0
	v_mfma_f32_16x16x4f32 a[0:3], v10, v11, a[0:3]
	v_lshrrev_b32_e32 v11, 8, v17
	s_movk_i32 s4, 0x7f
	v_cmp_gt_i16_sdwa s[6:7], v11, s4 src0_sel:BYTE_0 src1_sel:DWORD
	s_mov_b64 s[4:5], 0
                                        ; implicit-def: $sgpr10
	s_and_saveexec_b64 s[8:9], s[6:7]
	s_xor_b64 s[6:7], exec, s[8:9]
	s_cbranch_execnz .LBB16_2665
; %bb.617:
	s_or_saveexec_b64 s[6:7], s[6:7]
	v_mov_b32_e32 v10, s10
	s_xor_b64 exec, exec, s[6:7]
	s_cbranch_execnz .LBB16_2668
.LBB16_618:
	s_or_b64 exec, exec, s[6:7]
	s_and_saveexec_b64 s[6:7], s[4:5]
	s_cbranch_execz .LBB16_620
.LBB16_619:
	v_bfe_u32 v10, v17, 8, 3
	v_ffbh_u32_e32 v14, v10
	v_min_u32_e32 v14, 32, v14
	v_lshrrev_b16_e32 v12, 3, v11
	v_subrev_u32_e32 v15, 28, v14
	v_and_b32_e32 v12, 15, v12
	v_lshlrev_b32_e32 v11, v15, v11
	v_sub_u32_e32 v14, 29, v14
	v_and_b32_e32 v11, 7, v11
	v_cmp_eq_u16_e32 vcc, 0, v12
	v_cndmask_b32_e32 v10, v10, v11, vcc
	v_cndmask_b32_e32 v11, v12, v14, vcc
	v_lshlrev_b32_e32 v12, 16, v17
	v_mov_b32_e32 v14, 0x3b800000
	v_lshlrev_b32_e32 v10, 20, v10
	v_and_b32_e32 v12, 0x80000000, v12
	v_lshl_add_u32 v11, v11, 23, v14
	v_or3_b32 v10, v12, v11, v10
.LBB16_620:
	s_or_b64 exec, exec, s[6:7]
	v_lshrrev_b32_e32 v11, 8, v13
	s_movk_i32 s4, 0x7f
	v_cmp_gt_i16_sdwa s[6:7], v11, s4 src0_sel:BYTE_0 src1_sel:DWORD
	s_mov_b64 s[4:5], 0
                                        ; implicit-def: $sgpr10
	s_and_saveexec_b64 s[8:9], s[6:7]
	s_xor_b64 s[6:7], exec, s[8:9]
	s_cbranch_execnz .LBB16_2669
; %bb.621:
	s_or_saveexec_b64 s[6:7], s[6:7]
	v_mov_b32_e32 v12, s10
	s_xor_b64 exec, exec, s[6:7]
	s_cbranch_execnz .LBB16_2672
.LBB16_622:
	s_or_b64 exec, exec, s[6:7]
	s_and_saveexec_b64 s[6:7], s[4:5]
	s_cbranch_execz .LBB16_624
.LBB16_623:
	v_bfe_u32 v12, v13, 8, 3
	v_ffbh_u32_e32 v15, v12
	v_min_u32_e32 v15, 32, v15
	v_lshrrev_b16_e32 v14, 3, v11
	v_subrev_u32_e32 v16, 28, v15
	v_and_b32_e32 v14, 15, v14
	v_lshlrev_b32_e32 v11, v16, v11
	v_sub_u32_e32 v15, 29, v15
	v_and_b32_e32 v11, 7, v11
	v_cmp_eq_u16_e32 vcc, 0, v14
	v_cndmask_b32_e32 v11, v12, v11, vcc
	v_cndmask_b32_e32 v12, v14, v15, vcc
	v_lshlrev_b32_e32 v14, 16, v13
	v_mov_b32_e32 v15, 0x3b800000
	v_lshlrev_b32_e32 v11, 20, v11
	v_and_b32_e32 v14, 0x80000000, v14
	v_lshl_add_u32 v12, v12, 23, v15
	v_or3_b32 v12, v14, v12, v11
.LBB16_624:
	s_or_b64 exec, exec, s[6:7]
	s_nop 0
	v_mfma_f32_16x16x4f32 a[0:3], v10, v12, a[0:3]
	s_movk_i32 s4, 0xff
	v_and_b32_sdwa v11, v17, s4 dst_sel:DWORD dst_unused:UNUSED_PAD src0_sel:WORD_1 src1_sel:DWORD
	s_movk_i32 s4, 0x7f
	v_cmp_lt_i16_e32 vcc, s4, v11
	s_mov_b64 s[4:5], 0
                                        ; implicit-def: $sgpr10
	s_and_saveexec_b64 s[6:7], vcc
	s_xor_b64 s[6:7], exec, s[6:7]
	s_cbranch_execnz .LBB16_2673
; %bb.625:
	s_or_saveexec_b64 s[6:7], s[6:7]
	v_mov_b32_e32 v10, s10
	s_xor_b64 exec, exec, s[6:7]
	s_cbranch_execnz .LBB16_2676
.LBB16_626:
	s_or_b64 exec, exec, s[6:7]
	s_and_saveexec_b64 s[6:7], s[4:5]
	s_cbranch_execz .LBB16_628
.LBB16_627:
	v_bfe_u32 v10, v17, 16, 3
	v_ffbh_u32_e32 v14, v10
	v_min_u32_e32 v14, 32, v14
	v_lshrrev_b32_e32 v11, 19, v17
	v_subrev_u32_e32 v15, 28, v14
	v_and_b32_e32 v11, 15, v11
	v_lshlrev_b32_sdwa v15, v15, v17 dst_sel:DWORD dst_unused:UNUSED_PAD src0_sel:DWORD src1_sel:WORD_1
	v_bfe_u32 v12, v17, 19, 4
	v_sub_u32_e32 v14, 29, v14
	v_and_b32_e32 v15, 7, v15
	v_cmp_eq_u16_e32 vcc, 0, v11
	v_cndmask_b32_e32 v10, v10, v15, vcc
	v_cndmask_b32_e32 v11, v12, v14, vcc
	v_lshlrev_b32_e32 v12, 8, v17
	v_mov_b32_e32 v14, 0x3b800000
	v_lshlrev_b32_e32 v10, 20, v10
	v_and_b32_e32 v12, 0x80000000, v12
	v_lshl_add_u32 v11, v11, 23, v14
	v_or3_b32 v10, v12, v11, v10
.LBB16_628:
	s_or_b64 exec, exec, s[6:7]
	s_movk_i32 s4, 0xff
	v_and_b32_sdwa v11, v13, s4 dst_sel:DWORD dst_unused:UNUSED_PAD src0_sel:WORD_1 src1_sel:DWORD
	s_movk_i32 s4, 0x7f
	v_cmp_lt_i16_e32 vcc, s4, v11
	s_mov_b64 s[4:5], 0
                                        ; implicit-def: $sgpr10
	s_and_saveexec_b64 s[6:7], vcc
	s_xor_b64 s[6:7], exec, s[6:7]
	s_cbranch_execnz .LBB16_2677
; %bb.629:
	s_or_saveexec_b64 s[6:7], s[6:7]
	v_mov_b32_e32 v12, s10
	s_xor_b64 exec, exec, s[6:7]
	s_cbranch_execnz .LBB16_2680
.LBB16_630:
	s_or_b64 exec, exec, s[6:7]
	s_and_saveexec_b64 s[6:7], s[4:5]
	s_cbranch_execz .LBB16_632
.LBB16_631:
	v_bfe_u32 v11, v13, 16, 3
	v_ffbh_u32_e32 v15, v11
	v_min_u32_e32 v15, 32, v15
	v_lshrrev_b32_e32 v12, 19, v13
	v_subrev_u32_e32 v16, 28, v15
	v_and_b32_e32 v12, 15, v12
	v_lshlrev_b32_sdwa v16, v16, v13 dst_sel:DWORD dst_unused:UNUSED_PAD src0_sel:DWORD src1_sel:WORD_1
	v_bfe_u32 v14, v13, 19, 4
	v_sub_u32_e32 v15, 29, v15
	v_and_b32_e32 v16, 7, v16
	v_cmp_eq_u16_e32 vcc, 0, v12
	v_cndmask_b32_e32 v11, v11, v16, vcc
	v_cndmask_b32_e32 v12, v14, v15, vcc
	v_lshlrev_b32_e32 v14, 8, v13
	v_mov_b32_e32 v15, 0x3b800000
	v_lshlrev_b32_e32 v11, 20, v11
	v_and_b32_e32 v14, 0x80000000, v14
	v_lshl_add_u32 v12, v12, 23, v15
	v_or3_b32 v12, v14, v12, v11
.LBB16_632:
	s_or_b64 exec, exec, s[6:7]
	s_nop 0
	v_mfma_f32_16x16x4f32 a[0:3], v10, v12, a[0:3]
	s_movk_i32 s4, 0x7f
	v_cmp_gt_i16_sdwa s[6:7], v17, s4 src0_sel:BYTE_3 src1_sel:DWORD
	s_mov_b64 s[4:5], 0
                                        ; implicit-def: $sgpr10
	s_and_saveexec_b64 s[8:9], s[6:7]
	s_xor_b64 s[6:7], exec, s[8:9]
	s_cbranch_execnz .LBB16_2681
; %bb.633:
	s_or_saveexec_b64 s[6:7], s[6:7]
	v_mov_b32_e32 v10, s10
	s_xor_b64 exec, exec, s[6:7]
	s_cbranch_execnz .LBB16_2684
.LBB16_634:
	s_or_b64 exec, exec, s[6:7]
	s_and_saveexec_b64 s[6:7], s[4:5]
	s_cbranch_execz .LBB16_636
.LBB16_635:
	v_bfe_u32 v10, v17, 24, 3
	v_ffbh_u32_e32 v15, v10
	v_min_u32_e32 v15, 32, v15
	v_lshrrev_b32_e32 v12, 27, v17
	v_subrev_u32_e32 v16, 28, v15
	v_and_b32_e32 v12, 15, v12
	v_lshlrev_b32_sdwa v16, v16, v17 dst_sel:DWORD dst_unused:UNUSED_PAD src0_sel:DWORD src1_sel:BYTE_3
	v_bfe_u32 v14, v17, 27, 4
	v_sub_u32_e32 v15, 29, v15
	v_and_b32_e32 v16, 7, v16
	v_cmp_eq_u16_e32 vcc, 0, v12
	v_cndmask_b32_e32 v10, v10, v16, vcc
	v_cndmask_b32_e32 v12, v14, v15, vcc
	v_mov_b32_e32 v14, 0x3b800000
	v_and_b32_e32 v11, 0x80000000, v17
	v_lshlrev_b32_e32 v10, 20, v10
	v_lshl_add_u32 v12, v12, 23, v14
	v_or3_b32 v10, v11, v12, v10
.LBB16_636:
	s_or_b64 exec, exec, s[6:7]
	s_movk_i32 s4, 0x7f
	v_cmp_gt_i16_sdwa s[6:7], v13, s4 src0_sel:BYTE_3 src1_sel:DWORD
	s_mov_b64 s[4:5], 0
                                        ; implicit-def: $sgpr10
	s_and_saveexec_b64 s[8:9], s[6:7]
	s_xor_b64 s[6:7], exec, s[8:9]
	s_cbranch_execnz .LBB16_2685
; %bb.637:
	s_or_saveexec_b64 s[6:7], s[6:7]
	v_mov_b32_e32 v11, s10
	s_xor_b64 exec, exec, s[6:7]
	s_cbranch_execnz .LBB16_2688
.LBB16_638:
	s_or_b64 exec, exec, s[6:7]
	s_and_saveexec_b64 s[6:7], s[4:5]
	s_cbranch_execz .LBB16_640
.LBB16_639:
	v_bfe_u32 v11, v13, 24, 3
	v_ffbh_u32_e32 v16, v11
	v_min_u32_e32 v16, 32, v16
	v_lshrrev_b32_e32 v14, 27, v13
	v_subrev_u32_e32 v17, 28, v16
	v_and_b32_e32 v12, 0x80000000, v13
	v_and_b32_e32 v14, 15, v14
	v_bfe_u32 v15, v13, 27, 4
	v_lshlrev_b32_sdwa v13, v17, v13 dst_sel:DWORD dst_unused:UNUSED_PAD src0_sel:DWORD src1_sel:BYTE_3
	v_sub_u32_e32 v16, 29, v16
	v_and_b32_e32 v13, 7, v13
	v_cmp_eq_u16_e32 vcc, 0, v14
	v_cndmask_b32_e32 v11, v11, v13, vcc
	v_cndmask_b32_e32 v13, v15, v16, vcc
	v_mov_b32_e32 v14, 0x3b800000
	v_lshlrev_b32_e32 v11, 20, v11
	v_lshl_add_u32 v13, v13, 23, v14
	v_or3_b32 v11, v12, v13, v11
.LBB16_640:
	s_or_b64 exec, exec, s[6:7]
	s_nop 0
	v_mfma_f32_16x16x4f32 a[0:3], v10, v11, a[0:3]
	s_movk_i32 s4, 0x7f
	v_cmp_gt_i16_sdwa s[6:7], v6, s4 src0_sel:BYTE_0 src1_sel:DWORD
	s_mov_b64 s[4:5], 0
                                        ; implicit-def: $sgpr10
	s_and_saveexec_b64 s[8:9], s[6:7]
	s_xor_b64 s[6:7], exec, s[8:9]
	s_cbranch_execnz .LBB16_2689
; %bb.641:
	s_or_saveexec_b64 s[6:7], s[6:7]
	v_mov_b32_e32 v10, s10
	s_xor_b64 exec, exec, s[6:7]
	s_cbranch_execnz .LBB16_2692
.LBB16_642:
	s_or_b64 exec, exec, s[6:7]
	s_and_saveexec_b64 s[6:7], s[4:5]
	s_cbranch_execz .LBB16_644
.LBB16_643:
	v_and_b32_e32 v10, 7, v6
	v_ffbh_u32_e32 v12, v10
	v_min_u32_e32 v12, 32, v12
	v_lshrrev_b16_e32 v11, 3, v6
	v_subrev_u32_e32 v13, 28, v12
	v_and_b32_e32 v11, 15, v11
	v_lshlrev_b32_e32 v13, v13, v6
	v_sub_u32_e32 v12, 29, v12
	v_and_b32_e32 v13, 7, v13
	v_cmp_eq_u16_e32 vcc, 0, v11
	v_cndmask_b32_e32 v10, v10, v13, vcc
	v_cndmask_b32_e32 v11, v11, v12, vcc
	v_lshlrev_b32_e32 v12, 24, v6
	v_mov_b32_e32 v13, 0x3b800000
	v_lshlrev_b32_e32 v10, 20, v10
	v_and_b32_e32 v12, 0x80000000, v12
	v_lshl_add_u32 v11, v11, 23, v13
	v_or3_b32 v10, v12, v11, v10
.LBB16_644:
	s_or_b64 exec, exec, s[6:7]
	s_movk_i32 s4, 0x7f
	v_cmp_gt_i16_sdwa s[6:7], v2, s4 src0_sel:BYTE_0 src1_sel:DWORD
	s_mov_b64 s[4:5], 0
                                        ; implicit-def: $sgpr10
	s_and_saveexec_b64 s[8:9], s[6:7]
	s_xor_b64 s[6:7], exec, s[8:9]
	s_cbranch_execnz .LBB16_2693
; %bb.645:
	s_or_saveexec_b64 s[6:7], s[6:7]
	v_mov_b32_e32 v11, s10
	s_xor_b64 exec, exec, s[6:7]
	s_cbranch_execnz .LBB16_2696
.LBB16_646:
	s_or_b64 exec, exec, s[6:7]
	s_and_saveexec_b64 s[6:7], s[4:5]
	s_cbranch_execz .LBB16_648
.LBB16_647:
	v_and_b32_e32 v11, 7, v2
	v_ffbh_u32_e32 v13, v11
	v_min_u32_e32 v13, 32, v13
	v_lshrrev_b16_e32 v12, 3, v2
	v_subrev_u32_e32 v14, 28, v13
	v_and_b32_e32 v12, 15, v12
	v_lshlrev_b32_e32 v14, v14, v2
	v_sub_u32_e32 v13, 29, v13
	v_and_b32_e32 v14, 7, v14
	v_cmp_eq_u16_e32 vcc, 0, v12
	v_cndmask_b32_e32 v11, v11, v14, vcc
	v_cndmask_b32_e32 v12, v12, v13, vcc
	v_lshlrev_b32_e32 v13, 24, v2
	v_mov_b32_e32 v14, 0x3b800000
	v_lshlrev_b32_e32 v11, 20, v11
	v_and_b32_e32 v13, 0x80000000, v13
	v_lshl_add_u32 v12, v12, 23, v14
	v_or3_b32 v11, v13, v12, v11
.LBB16_648:
	s_or_b64 exec, exec, s[6:7]
	s_nop 0
	v_mfma_f32_16x16x4f32 a[0:3], v10, v11, a[0:3]
	v_lshrrev_b32_e32 v11, 8, v6
	s_movk_i32 s4, 0x7f
	v_cmp_gt_i16_sdwa s[6:7], v11, s4 src0_sel:BYTE_0 src1_sel:DWORD
	s_mov_b64 s[4:5], 0
                                        ; implicit-def: $sgpr10
	s_and_saveexec_b64 s[8:9], s[6:7]
	s_xor_b64 s[6:7], exec, s[8:9]
	s_cbranch_execnz .LBB16_2697
; %bb.649:
	s_or_saveexec_b64 s[6:7], s[6:7]
	v_mov_b32_e32 v10, s10
	s_xor_b64 exec, exec, s[6:7]
	s_cbranch_execnz .LBB16_2700
.LBB16_650:
	s_or_b64 exec, exec, s[6:7]
	s_and_saveexec_b64 s[6:7], s[4:5]
	s_cbranch_execz .LBB16_652
.LBB16_651:
	v_bfe_u32 v10, v6, 8, 3
	v_ffbh_u32_e32 v13, v10
	v_min_u32_e32 v13, 32, v13
	v_lshrrev_b16_e32 v12, 3, v11
	v_subrev_u32_e32 v14, 28, v13
	v_and_b32_e32 v12, 15, v12
	v_lshlrev_b32_e32 v11, v14, v11
	v_sub_u32_e32 v13, 29, v13
	v_and_b32_e32 v11, 7, v11
	v_cmp_eq_u16_e32 vcc, 0, v12
	v_cndmask_b32_e32 v10, v10, v11, vcc
	v_cndmask_b32_e32 v11, v12, v13, vcc
	v_lshlrev_b32_e32 v12, 16, v6
	v_mov_b32_e32 v13, 0x3b800000
	v_lshlrev_b32_e32 v10, 20, v10
	v_and_b32_e32 v12, 0x80000000, v12
	v_lshl_add_u32 v11, v11, 23, v13
	v_or3_b32 v10, v12, v11, v10
.LBB16_652:
	s_or_b64 exec, exec, s[6:7]
	v_lshrrev_b32_e32 v11, 8, v2
	s_movk_i32 s4, 0x7f
	v_cmp_gt_i16_sdwa s[6:7], v11, s4 src0_sel:BYTE_0 src1_sel:DWORD
	s_mov_b64 s[4:5], 0
                                        ; implicit-def: $sgpr10
	s_and_saveexec_b64 s[8:9], s[6:7]
	s_xor_b64 s[6:7], exec, s[8:9]
	s_cbranch_execnz .LBB16_2701
; %bb.653:
	s_or_saveexec_b64 s[6:7], s[6:7]
	v_mov_b32_e32 v12, s10
	s_xor_b64 exec, exec, s[6:7]
	s_cbranch_execnz .LBB16_2704
.LBB16_654:
	s_or_b64 exec, exec, s[6:7]
	s_and_saveexec_b64 s[6:7], s[4:5]
	s_cbranch_execz .LBB16_656
.LBB16_655:
	v_bfe_u32 v12, v2, 8, 3
	v_ffbh_u32_e32 v14, v12
	v_min_u32_e32 v14, 32, v14
	v_lshrrev_b16_e32 v13, 3, v11
	v_subrev_u32_e32 v15, 28, v14
	v_and_b32_e32 v13, 15, v13
	v_lshlrev_b32_e32 v11, v15, v11
	v_sub_u32_e32 v14, 29, v14
	v_and_b32_e32 v11, 7, v11
	v_cmp_eq_u16_e32 vcc, 0, v13
	v_cndmask_b32_e32 v11, v12, v11, vcc
	v_cndmask_b32_e32 v12, v13, v14, vcc
	v_lshlrev_b32_e32 v13, 16, v2
	v_mov_b32_e32 v14, 0x3b800000
	v_lshlrev_b32_e32 v11, 20, v11
	v_and_b32_e32 v13, 0x80000000, v13
	v_lshl_add_u32 v12, v12, 23, v14
	v_or3_b32 v12, v13, v12, v11
.LBB16_656:
	s_or_b64 exec, exec, s[6:7]
	s_nop 0
	v_mfma_f32_16x16x4f32 a[0:3], v10, v12, a[0:3]
	s_movk_i32 s4, 0xff
	v_and_b32_sdwa v11, v6, s4 dst_sel:DWORD dst_unused:UNUSED_PAD src0_sel:WORD_1 src1_sel:DWORD
	s_movk_i32 s4, 0x7f
	v_cmp_lt_i16_e32 vcc, s4, v11
	s_mov_b64 s[4:5], 0
                                        ; implicit-def: $sgpr10
	s_and_saveexec_b64 s[6:7], vcc
	s_xor_b64 s[6:7], exec, s[6:7]
	s_cbranch_execnz .LBB16_2705
; %bb.657:
	s_or_saveexec_b64 s[6:7], s[6:7]
	v_mov_b32_e32 v10, s10
	s_xor_b64 exec, exec, s[6:7]
	s_cbranch_execnz .LBB16_2708
.LBB16_658:
	s_or_b64 exec, exec, s[6:7]
	s_and_saveexec_b64 s[6:7], s[4:5]
	s_cbranch_execz .LBB16_660
.LBB16_659:
	v_bfe_u32 v10, v6, 16, 3
	v_ffbh_u32_e32 v13, v10
	v_min_u32_e32 v13, 32, v13
	v_lshrrev_b32_e32 v11, 19, v6
	v_subrev_u32_e32 v14, 28, v13
	v_and_b32_e32 v11, 15, v11
	v_lshlrev_b32_sdwa v14, v14, v6 dst_sel:DWORD dst_unused:UNUSED_PAD src0_sel:DWORD src1_sel:WORD_1
	v_bfe_u32 v12, v6, 19, 4
	v_sub_u32_e32 v13, 29, v13
	v_and_b32_e32 v14, 7, v14
	v_cmp_eq_u16_e32 vcc, 0, v11
	v_cndmask_b32_e32 v10, v10, v14, vcc
	v_cndmask_b32_e32 v11, v12, v13, vcc
	v_lshlrev_b32_e32 v12, 8, v6
	v_mov_b32_e32 v13, 0x3b800000
	v_lshlrev_b32_e32 v10, 20, v10
	v_and_b32_e32 v12, 0x80000000, v12
	v_lshl_add_u32 v11, v11, 23, v13
	v_or3_b32 v10, v12, v11, v10
.LBB16_660:
	s_or_b64 exec, exec, s[6:7]
	s_movk_i32 s4, 0xff
	v_and_b32_sdwa v11, v2, s4 dst_sel:DWORD dst_unused:UNUSED_PAD src0_sel:WORD_1 src1_sel:DWORD
	s_movk_i32 s4, 0x7f
	v_cmp_lt_i16_e32 vcc, s4, v11
	s_mov_b64 s[4:5], 0
                                        ; implicit-def: $sgpr10
	s_and_saveexec_b64 s[6:7], vcc
	s_xor_b64 s[6:7], exec, s[6:7]
	s_cbranch_execnz .LBB16_2709
; %bb.661:
	s_or_saveexec_b64 s[6:7], s[6:7]
	v_mov_b32_e32 v12, s10
	s_xor_b64 exec, exec, s[6:7]
	s_cbranch_execnz .LBB16_2712
.LBB16_662:
	s_or_b64 exec, exec, s[6:7]
	s_and_saveexec_b64 s[6:7], s[4:5]
	s_cbranch_execz .LBB16_664
.LBB16_663:
	v_bfe_u32 v11, v2, 16, 3
	v_ffbh_u32_e32 v14, v11
	v_min_u32_e32 v14, 32, v14
	v_lshrrev_b32_e32 v12, 19, v2
	v_subrev_u32_e32 v15, 28, v14
	v_and_b32_e32 v12, 15, v12
	v_lshlrev_b32_sdwa v15, v15, v2 dst_sel:DWORD dst_unused:UNUSED_PAD src0_sel:DWORD src1_sel:WORD_1
	v_bfe_u32 v13, v2, 19, 4
	v_sub_u32_e32 v14, 29, v14
	v_and_b32_e32 v15, 7, v15
	v_cmp_eq_u16_e32 vcc, 0, v12
	v_cndmask_b32_e32 v11, v11, v15, vcc
	v_cndmask_b32_e32 v12, v13, v14, vcc
	v_lshlrev_b32_e32 v13, 8, v2
	v_mov_b32_e32 v14, 0x3b800000
	v_lshlrev_b32_e32 v11, 20, v11
	v_and_b32_e32 v13, 0x80000000, v13
	v_lshl_add_u32 v12, v12, 23, v14
	v_or3_b32 v12, v13, v12, v11
.LBB16_664:
	s_or_b64 exec, exec, s[6:7]
	s_nop 0
	v_mfma_f32_16x16x4f32 a[0:3], v10, v12, a[0:3]
	s_movk_i32 s4, 0x7f
	v_cmp_gt_i16_sdwa s[6:7], v6, s4 src0_sel:BYTE_3 src1_sel:DWORD
	s_mov_b64 s[4:5], 0
                                        ; implicit-def: $sgpr10
	s_and_saveexec_b64 s[8:9], s[6:7]
	s_xor_b64 s[6:7], exec, s[8:9]
	s_cbranch_execnz .LBB16_2713
; %bb.665:
	s_or_saveexec_b64 s[6:7], s[6:7]
	v_mov_b32_e32 v10, s10
	s_xor_b64 exec, exec, s[6:7]
	s_cbranch_execnz .LBB16_2716
.LBB16_666:
	s_or_b64 exec, exec, s[6:7]
	s_and_saveexec_b64 s[6:7], s[4:5]
	s_cbranch_execz .LBB16_668
.LBB16_667:
	v_bfe_u32 v10, v6, 24, 3
	v_ffbh_u32_e32 v14, v10
	v_min_u32_e32 v14, 32, v14
	v_lshrrev_b32_e32 v12, 27, v6
	v_subrev_u32_e32 v15, 28, v14
	v_and_b32_e32 v11, 0x80000000, v6
	v_and_b32_e32 v12, 15, v12
	v_bfe_u32 v13, v6, 27, 4
	v_lshlrev_b32_sdwa v6, v15, v6 dst_sel:DWORD dst_unused:UNUSED_PAD src0_sel:DWORD src1_sel:BYTE_3
	v_sub_u32_e32 v14, 29, v14
	v_and_b32_e32 v6, 7, v6
	v_cmp_eq_u16_e32 vcc, 0, v12
	v_cndmask_b32_e32 v6, v10, v6, vcc
	v_cndmask_b32_e32 v10, v13, v14, vcc
	v_mov_b32_e32 v12, 0x3b800000
	v_lshlrev_b32_e32 v6, 20, v6
	v_lshl_add_u32 v10, v10, 23, v12
	v_or3_b32 v10, v11, v10, v6
.LBB16_668:
	s_or_b64 exec, exec, s[6:7]
	s_movk_i32 s4, 0x7f
	v_cmp_gt_i16_sdwa s[6:7], v2, s4 src0_sel:BYTE_3 src1_sel:DWORD
	s_mov_b64 s[4:5], 0
                                        ; implicit-def: $sgpr10
	s_and_saveexec_b64 s[8:9], s[6:7]
	s_xor_b64 s[6:7], exec, s[8:9]
	s_cbranch_execnz .LBB16_2717
; %bb.669:
	s_or_saveexec_b64 s[6:7], s[6:7]
	v_mov_b32_e32 v6, s10
	s_xor_b64 exec, exec, s[6:7]
	s_cbranch_execnz .LBB16_2720
.LBB16_670:
	s_or_b64 exec, exec, s[6:7]
	s_and_saveexec_b64 s[6:7], s[4:5]
	s_cbranch_execz .LBB16_672
.LBB16_671:
	v_bfe_u32 v6, v2, 24, 3
	v_ffbh_u32_e32 v14, v6
	v_min_u32_e32 v14, 32, v14
	v_lshrrev_b32_e32 v12, 27, v2
	v_subrev_u32_e32 v15, 28, v14
	v_and_b32_e32 v11, 0x80000000, v2
	v_and_b32_e32 v12, 15, v12
	v_bfe_u32 v13, v2, 27, 4
	v_lshlrev_b32_sdwa v2, v15, v2 dst_sel:DWORD dst_unused:UNUSED_PAD src0_sel:DWORD src1_sel:BYTE_3
	v_sub_u32_e32 v14, 29, v14
	v_and_b32_e32 v2, 7, v2
	v_cmp_eq_u16_e32 vcc, 0, v12
	v_cndmask_b32_e32 v2, v6, v2, vcc
	v_cndmask_b32_e32 v6, v13, v14, vcc
	v_mov_b32_e32 v12, 0x3b800000
	v_lshlrev_b32_e32 v2, 20, v2
	v_lshl_add_u32 v6, v6, 23, v12
	v_or3_b32 v6, v11, v6, v2
.LBB16_672:
	s_or_b64 exec, exec, s[6:7]
	s_nop 0
	v_mfma_f32_16x16x4f32 a[0:3], v10, v6, a[0:3]
	s_movk_i32 s4, 0x7f
	v_cmp_gt_i16_sdwa s[6:7], v7, s4 src0_sel:BYTE_0 src1_sel:DWORD
	s_mov_b64 s[4:5], 0
                                        ; implicit-def: $sgpr10
	s_and_saveexec_b64 s[8:9], s[6:7]
	s_xor_b64 s[6:7], exec, s[8:9]
	s_cbranch_execnz .LBB16_2721
; %bb.673:
	s_or_saveexec_b64 s[6:7], s[6:7]
	v_mov_b32_e32 v2, s10
	s_xor_b64 exec, exec, s[6:7]
	s_cbranch_execnz .LBB16_2724
.LBB16_674:
	s_or_b64 exec, exec, s[6:7]
	s_and_saveexec_b64 s[6:7], s[4:5]
	s_cbranch_execz .LBB16_676
.LBB16_675:
	v_and_b32_e32 v2, 7, v7
	v_ffbh_u32_e32 v10, v2
	v_min_u32_e32 v10, 32, v10
	v_lshrrev_b16_e32 v6, 3, v7
	v_subrev_u32_e32 v11, 28, v10
	v_and_b32_e32 v6, 15, v6
	v_lshlrev_b32_e32 v11, v11, v7
	v_sub_u32_e32 v10, 29, v10
	v_and_b32_e32 v11, 7, v11
	v_cmp_eq_u16_e32 vcc, 0, v6
	v_cndmask_b32_e32 v2, v2, v11, vcc
	v_cndmask_b32_e32 v6, v6, v10, vcc
	v_lshlrev_b32_e32 v10, 24, v7
	v_mov_b32_e32 v11, 0x3b800000
	v_lshlrev_b32_e32 v2, 20, v2
	v_and_b32_e32 v10, 0x80000000, v10
	v_lshl_add_u32 v6, v6, 23, v11
	v_or3_b32 v2, v10, v6, v2
.LBB16_676:
	s_or_b64 exec, exec, s[6:7]
	s_movk_i32 s4, 0x7f
	v_cmp_gt_i16_sdwa s[6:7], v3, s4 src0_sel:BYTE_0 src1_sel:DWORD
	s_mov_b64 s[4:5], 0
                                        ; implicit-def: $sgpr10
	s_and_saveexec_b64 s[8:9], s[6:7]
	s_xor_b64 s[6:7], exec, s[8:9]
	s_cbranch_execnz .LBB16_2725
; %bb.677:
	s_or_saveexec_b64 s[6:7], s[6:7]
	v_mov_b32_e32 v6, s10
	s_xor_b64 exec, exec, s[6:7]
	s_cbranch_execnz .LBB16_2728
.LBB16_678:
	s_or_b64 exec, exec, s[6:7]
	s_and_saveexec_b64 s[6:7], s[4:5]
	s_cbranch_execz .LBB16_680
.LBB16_679:
	v_and_b32_e32 v6, 7, v3
	v_ffbh_u32_e32 v11, v6
	v_min_u32_e32 v11, 32, v11
	v_lshrrev_b16_e32 v10, 3, v3
	v_subrev_u32_e32 v12, 28, v11
	v_and_b32_e32 v10, 15, v10
	v_lshlrev_b32_e32 v12, v12, v3
	v_sub_u32_e32 v11, 29, v11
	v_and_b32_e32 v12, 7, v12
	v_cmp_eq_u16_e32 vcc, 0, v10
	v_cndmask_b32_e32 v6, v6, v12, vcc
	v_cndmask_b32_e32 v10, v10, v11, vcc
	v_lshlrev_b32_e32 v11, 24, v3
	v_mov_b32_e32 v12, 0x3b800000
	v_lshlrev_b32_e32 v6, 20, v6
	v_and_b32_e32 v11, 0x80000000, v11
	v_lshl_add_u32 v10, v10, 23, v12
	v_or3_b32 v6, v11, v10, v6
.LBB16_680:
	s_or_b64 exec, exec, s[6:7]
	s_nop 0
	v_mfma_f32_16x16x4f32 a[0:3], v2, v6, a[0:3]
	v_lshrrev_b32_e32 v6, 8, v7
	s_movk_i32 s4, 0x7f
	v_cmp_gt_i16_sdwa s[6:7], v6, s4 src0_sel:BYTE_0 src1_sel:DWORD
	s_mov_b64 s[4:5], 0
                                        ; implicit-def: $sgpr10
	s_and_saveexec_b64 s[8:9], s[6:7]
	s_xor_b64 s[6:7], exec, s[8:9]
	s_cbranch_execnz .LBB16_2729
; %bb.681:
	s_or_saveexec_b64 s[6:7], s[6:7]
	v_mov_b32_e32 v2, s10
	s_xor_b64 exec, exec, s[6:7]
	s_cbranch_execnz .LBB16_2732
.LBB16_682:
	s_or_b64 exec, exec, s[6:7]
	s_and_saveexec_b64 s[6:7], s[4:5]
	s_cbranch_execz .LBB16_684
.LBB16_683:
	v_bfe_u32 v2, v7, 8, 3
	v_ffbh_u32_e32 v11, v2
	v_min_u32_e32 v11, 32, v11
	v_lshrrev_b16_e32 v10, 3, v6
	v_subrev_u32_e32 v12, 28, v11
	v_and_b32_e32 v10, 15, v10
	v_lshlrev_b32_e32 v6, v12, v6
	v_sub_u32_e32 v11, 29, v11
	v_and_b32_e32 v6, 7, v6
	v_cmp_eq_u16_e32 vcc, 0, v10
	v_cndmask_b32_e32 v2, v2, v6, vcc
	v_cndmask_b32_e32 v6, v10, v11, vcc
	v_lshlrev_b32_e32 v10, 16, v7
	v_mov_b32_e32 v11, 0x3b800000
	v_lshlrev_b32_e32 v2, 20, v2
	v_and_b32_e32 v10, 0x80000000, v10
	v_lshl_add_u32 v6, v6, 23, v11
	v_or3_b32 v2, v10, v6, v2
.LBB16_684:
	s_or_b64 exec, exec, s[6:7]
	v_lshrrev_b32_e32 v6, 8, v3
	s_movk_i32 s4, 0x7f
	v_cmp_gt_i16_sdwa s[6:7], v6, s4 src0_sel:BYTE_0 src1_sel:DWORD
	s_mov_b64 s[4:5], 0
                                        ; implicit-def: $sgpr10
	s_and_saveexec_b64 s[8:9], s[6:7]
	s_xor_b64 s[6:7], exec, s[8:9]
	s_cbranch_execnz .LBB16_2733
; %bb.685:
	s_or_saveexec_b64 s[6:7], s[6:7]
	v_mov_b32_e32 v10, s10
	s_xor_b64 exec, exec, s[6:7]
	s_cbranch_execnz .LBB16_2736
.LBB16_686:
	s_or_b64 exec, exec, s[6:7]
	s_and_saveexec_b64 s[6:7], s[4:5]
	s_cbranch_execz .LBB16_688
.LBB16_687:
	v_bfe_u32 v10, v3, 8, 3
	v_ffbh_u32_e32 v12, v10
	v_min_u32_e32 v12, 32, v12
	v_lshrrev_b16_e32 v11, 3, v6
	v_subrev_u32_e32 v13, 28, v12
	v_and_b32_e32 v11, 15, v11
	v_lshlrev_b32_e32 v6, v13, v6
	v_sub_u32_e32 v12, 29, v12
	v_and_b32_e32 v6, 7, v6
	v_cmp_eq_u16_e32 vcc, 0, v11
	v_cndmask_b32_e32 v6, v10, v6, vcc
	v_cndmask_b32_e32 v10, v11, v12, vcc
	v_lshlrev_b32_e32 v11, 16, v3
	v_mov_b32_e32 v12, 0x3b800000
	v_lshlrev_b32_e32 v6, 20, v6
	v_and_b32_e32 v11, 0x80000000, v11
	v_lshl_add_u32 v10, v10, 23, v12
	v_or3_b32 v10, v11, v10, v6
.LBB16_688:
	s_or_b64 exec, exec, s[6:7]
	s_nop 0
	v_mfma_f32_16x16x4f32 a[0:3], v2, v10, a[0:3]
	s_movk_i32 s4, 0xff
	v_and_b32_sdwa v6, v7, s4 dst_sel:DWORD dst_unused:UNUSED_PAD src0_sel:WORD_1 src1_sel:DWORD
	s_movk_i32 s4, 0x7f
	v_cmp_lt_i16_e32 vcc, s4, v6
	s_mov_b64 s[4:5], 0
                                        ; implicit-def: $sgpr10
	s_and_saveexec_b64 s[6:7], vcc
	s_xor_b64 s[6:7], exec, s[6:7]
	s_cbranch_execnz .LBB16_2737
; %bb.689:
	s_or_saveexec_b64 s[6:7], s[6:7]
	v_mov_b32_e32 v2, s10
	s_xor_b64 exec, exec, s[6:7]
	s_cbranch_execnz .LBB16_2740
.LBB16_690:
	s_or_b64 exec, exec, s[6:7]
	s_and_saveexec_b64 s[6:7], s[4:5]
	s_cbranch_execz .LBB16_692
.LBB16_691:
	v_bfe_u32 v2, v7, 16, 3
	v_ffbh_u32_e32 v11, v2
	v_min_u32_e32 v11, 32, v11
	v_lshrrev_b32_e32 v6, 19, v7
	v_subrev_u32_e32 v12, 28, v11
	v_and_b32_e32 v6, 15, v6
	v_lshlrev_b32_sdwa v12, v12, v7 dst_sel:DWORD dst_unused:UNUSED_PAD src0_sel:DWORD src1_sel:WORD_1
	v_bfe_u32 v10, v7, 19, 4
	v_sub_u32_e32 v11, 29, v11
	v_and_b32_e32 v12, 7, v12
	v_cmp_eq_u16_e32 vcc, 0, v6
	v_cndmask_b32_e32 v2, v2, v12, vcc
	v_cndmask_b32_e32 v6, v10, v11, vcc
	v_lshlrev_b32_e32 v10, 8, v7
	v_mov_b32_e32 v11, 0x3b800000
	v_lshlrev_b32_e32 v2, 20, v2
	v_and_b32_e32 v10, 0x80000000, v10
	v_lshl_add_u32 v6, v6, 23, v11
	v_or3_b32 v2, v10, v6, v2
.LBB16_692:
	s_or_b64 exec, exec, s[6:7]
	s_movk_i32 s4, 0xff
	v_and_b32_sdwa v6, v3, s4 dst_sel:DWORD dst_unused:UNUSED_PAD src0_sel:WORD_1 src1_sel:DWORD
	s_movk_i32 s4, 0x7f
	v_cmp_lt_i16_e32 vcc, s4, v6
	s_mov_b64 s[4:5], 0
                                        ; implicit-def: $sgpr10
	s_and_saveexec_b64 s[6:7], vcc
	s_xor_b64 s[6:7], exec, s[6:7]
	s_cbranch_execnz .LBB16_2741
; %bb.693:
	s_or_saveexec_b64 s[6:7], s[6:7]
	v_mov_b32_e32 v10, s10
	s_xor_b64 exec, exec, s[6:7]
	s_cbranch_execnz .LBB16_2744
.LBB16_694:
	s_or_b64 exec, exec, s[6:7]
	s_and_saveexec_b64 s[6:7], s[4:5]
	s_cbranch_execz .LBB16_696
.LBB16_695:
	v_bfe_u32 v6, v3, 16, 3
	v_ffbh_u32_e32 v12, v6
	v_min_u32_e32 v12, 32, v12
	v_lshrrev_b32_e32 v10, 19, v3
	v_subrev_u32_e32 v13, 28, v12
	v_and_b32_e32 v10, 15, v10
	v_lshlrev_b32_sdwa v13, v13, v3 dst_sel:DWORD dst_unused:UNUSED_PAD src0_sel:DWORD src1_sel:WORD_1
	v_bfe_u32 v11, v3, 19, 4
	v_sub_u32_e32 v12, 29, v12
	v_and_b32_e32 v13, 7, v13
	v_cmp_eq_u16_e32 vcc, 0, v10
	v_cndmask_b32_e32 v6, v6, v13, vcc
	v_cndmask_b32_e32 v10, v11, v12, vcc
	v_lshlrev_b32_e32 v11, 8, v3
	v_mov_b32_e32 v12, 0x3b800000
	v_lshlrev_b32_e32 v6, 20, v6
	v_and_b32_e32 v11, 0x80000000, v11
	v_lshl_add_u32 v10, v10, 23, v12
	v_or3_b32 v10, v11, v10, v6
.LBB16_696:
	s_or_b64 exec, exec, s[6:7]
	s_nop 0
	v_mfma_f32_16x16x4f32 a[0:3], v2, v10, a[0:3]
	s_movk_i32 s4, 0x7f
	v_cmp_gt_i16_sdwa s[6:7], v7, s4 src0_sel:BYTE_3 src1_sel:DWORD
	s_mov_b64 s[4:5], 0
                                        ; implicit-def: $sgpr10
	s_and_saveexec_b64 s[8:9], s[6:7]
	s_xor_b64 s[6:7], exec, s[8:9]
	s_cbranch_execnz .LBB16_2745
; %bb.697:
	s_or_saveexec_b64 s[6:7], s[6:7]
	v_mov_b32_e32 v2, s10
	s_xor_b64 exec, exec, s[6:7]
	s_cbranch_execnz .LBB16_2748
.LBB16_698:
	s_or_b64 exec, exec, s[6:7]
	s_and_saveexec_b64 s[6:7], s[4:5]
	s_cbranch_execz .LBB16_700
.LBB16_699:
	v_bfe_u32 v2, v7, 24, 3
	v_ffbh_u32_e32 v12, v2
	v_min_u32_e32 v12, 32, v12
	v_lshrrev_b32_e32 v10, 27, v7
	v_subrev_u32_e32 v13, 28, v12
	v_and_b32_e32 v6, 0x80000000, v7
	v_and_b32_e32 v10, 15, v10
	v_bfe_u32 v11, v7, 27, 4
	v_lshlrev_b32_sdwa v7, v13, v7 dst_sel:DWORD dst_unused:UNUSED_PAD src0_sel:DWORD src1_sel:BYTE_3
	v_sub_u32_e32 v12, 29, v12
	v_and_b32_e32 v7, 7, v7
	v_cmp_eq_u16_e32 vcc, 0, v10
	v_cndmask_b32_e32 v2, v2, v7, vcc
	v_cndmask_b32_e32 v7, v11, v12, vcc
	v_mov_b32_e32 v10, 0x3b800000
	v_lshlrev_b32_e32 v2, 20, v2
	v_lshl_add_u32 v7, v7, 23, v10
	v_or3_b32 v2, v6, v7, v2
.LBB16_700:
	s_or_b64 exec, exec, s[6:7]
	s_movk_i32 s4, 0x7f
	v_cmp_gt_i16_sdwa s[6:7], v3, s4 src0_sel:BYTE_3 src1_sel:DWORD
	s_mov_b64 s[4:5], 0
                                        ; implicit-def: $sgpr10
	s_and_saveexec_b64 s[8:9], s[6:7]
	s_xor_b64 s[6:7], exec, s[8:9]
	s_cbranch_execnz .LBB16_2749
; %bb.701:
	s_or_saveexec_b64 s[6:7], s[6:7]
	v_mov_b32_e32 v6, s10
	s_xor_b64 exec, exec, s[6:7]
	s_cbranch_execnz .LBB16_2752
.LBB16_702:
	s_or_b64 exec, exec, s[6:7]
	s_and_saveexec_b64 s[6:7], s[4:5]
	s_cbranch_execz .LBB16_704
.LBB16_703:
	v_bfe_u32 v6, v3, 24, 3
	v_ffbh_u32_e32 v12, v6
	v_min_u32_e32 v12, 32, v12
	v_lshrrev_b32_e32 v10, 27, v3
	v_subrev_u32_e32 v13, 28, v12
	v_and_b32_e32 v7, 0x80000000, v3
	v_and_b32_e32 v10, 15, v10
	v_bfe_u32 v11, v3, 27, 4
	v_lshlrev_b32_sdwa v3, v13, v3 dst_sel:DWORD dst_unused:UNUSED_PAD src0_sel:DWORD src1_sel:BYTE_3
	v_sub_u32_e32 v12, 29, v12
	v_and_b32_e32 v3, 7, v3
	v_cmp_eq_u16_e32 vcc, 0, v10
	v_cndmask_b32_e32 v3, v6, v3, vcc
	v_cndmask_b32_e32 v6, v11, v12, vcc
	v_mov_b32_e32 v10, 0x3b800000
	v_lshlrev_b32_e32 v3, 20, v3
	v_lshl_add_u32 v6, v6, 23, v10
	v_or3_b32 v6, v7, v6, v3
.LBB16_704:
	s_or_b64 exec, exec, s[6:7]
	s_nop 0
	v_mfma_f32_16x16x4f32 a[0:3], v2, v6, a[0:3]
	s_movk_i32 s4, 0x7f
	v_cmp_gt_i16_sdwa s[6:7], v8, s4 src0_sel:BYTE_0 src1_sel:DWORD
	s_mov_b64 s[4:5], 0
                                        ; implicit-def: $sgpr10
	s_and_saveexec_b64 s[8:9], s[6:7]
	s_xor_b64 s[6:7], exec, s[8:9]
	s_cbranch_execnz .LBB16_2753
; %bb.705:
	s_or_saveexec_b64 s[6:7], s[6:7]
	v_mov_b32_e32 v2, s10
	s_xor_b64 exec, exec, s[6:7]
	s_cbranch_execnz .LBB16_2756
.LBB16_706:
	s_or_b64 exec, exec, s[6:7]
	s_and_saveexec_b64 s[6:7], s[4:5]
	s_cbranch_execz .LBB16_708
.LBB16_707:
	v_and_b32_e32 v2, 7, v8
	v_ffbh_u32_e32 v6, v2
	v_min_u32_e32 v6, 32, v6
	v_lshrrev_b16_e32 v3, 3, v8
	v_subrev_u32_e32 v7, 28, v6
	v_and_b32_e32 v3, 15, v3
	v_lshlrev_b32_e32 v7, v7, v8
	v_sub_u32_e32 v6, 29, v6
	v_and_b32_e32 v7, 7, v7
	v_cmp_eq_u16_e32 vcc, 0, v3
	v_cndmask_b32_e32 v2, v2, v7, vcc
	v_cndmask_b32_e32 v3, v3, v6, vcc
	v_lshlrev_b32_e32 v6, 24, v8
	v_mov_b32_e32 v7, 0x3b800000
	v_lshlrev_b32_e32 v2, 20, v2
	v_and_b32_e32 v6, 0x80000000, v6
	v_lshl_add_u32 v3, v3, 23, v7
	v_or3_b32 v2, v6, v3, v2
.LBB16_708:
	s_or_b64 exec, exec, s[6:7]
	s_movk_i32 s4, 0x7f
	v_cmp_gt_i16_sdwa s[6:7], v4, s4 src0_sel:BYTE_0 src1_sel:DWORD
	s_mov_b64 s[4:5], 0
                                        ; implicit-def: $sgpr10
	s_and_saveexec_b64 s[8:9], s[6:7]
	s_xor_b64 s[6:7], exec, s[8:9]
	s_cbranch_execnz .LBB16_2757
; %bb.709:
	s_or_saveexec_b64 s[6:7], s[6:7]
	v_mov_b32_e32 v3, s10
	s_xor_b64 exec, exec, s[6:7]
	s_cbranch_execnz .LBB16_2760
.LBB16_710:
	s_or_b64 exec, exec, s[6:7]
	s_and_saveexec_b64 s[6:7], s[4:5]
	s_cbranch_execz .LBB16_712
.LBB16_711:
	v_and_b32_e32 v3, 7, v4
	v_ffbh_u32_e32 v7, v3
	v_min_u32_e32 v7, 32, v7
	v_lshrrev_b16_e32 v6, 3, v4
	v_subrev_u32_e32 v10, 28, v7
	v_and_b32_e32 v6, 15, v6
	v_lshlrev_b32_e32 v10, v10, v4
	v_sub_u32_e32 v7, 29, v7
	v_and_b32_e32 v10, 7, v10
	v_cmp_eq_u16_e32 vcc, 0, v6
	v_cndmask_b32_e32 v3, v3, v10, vcc
	v_cndmask_b32_e32 v6, v6, v7, vcc
	v_lshlrev_b32_e32 v7, 24, v4
	v_mov_b32_e32 v10, 0x3b800000
	v_lshlrev_b32_e32 v3, 20, v3
	v_and_b32_e32 v7, 0x80000000, v7
	v_lshl_add_u32 v6, v6, 23, v10
	v_or3_b32 v3, v7, v6, v3
.LBB16_712:
	s_or_b64 exec, exec, s[6:7]
	s_nop 0
	v_mfma_f32_16x16x4f32 a[0:3], v2, v3, a[0:3]
	v_lshrrev_b32_e32 v3, 8, v8
	s_movk_i32 s4, 0x7f
	v_cmp_gt_i16_sdwa s[6:7], v3, s4 src0_sel:BYTE_0 src1_sel:DWORD
	s_mov_b64 s[4:5], 0
                                        ; implicit-def: $sgpr10
	s_and_saveexec_b64 s[8:9], s[6:7]
	s_xor_b64 s[6:7], exec, s[8:9]
	s_cbranch_execnz .LBB16_2761
; %bb.713:
	s_or_saveexec_b64 s[6:7], s[6:7]
	v_mov_b32_e32 v2, s10
	s_xor_b64 exec, exec, s[6:7]
	s_cbranch_execnz .LBB16_2764
.LBB16_714:
	s_or_b64 exec, exec, s[6:7]
	s_and_saveexec_b64 s[6:7], s[4:5]
	s_cbranch_execz .LBB16_716
.LBB16_715:
	v_bfe_u32 v2, v8, 8, 3
	v_ffbh_u32_e32 v7, v2
	v_min_u32_e32 v7, 32, v7
	v_lshrrev_b16_e32 v6, 3, v3
	v_subrev_u32_e32 v10, 28, v7
	v_and_b32_e32 v6, 15, v6
	v_lshlrev_b32_e32 v3, v10, v3
	v_sub_u32_e32 v7, 29, v7
	v_and_b32_e32 v3, 7, v3
	v_cmp_eq_u16_e32 vcc, 0, v6
	v_cndmask_b32_e32 v2, v2, v3, vcc
	v_cndmask_b32_e32 v3, v6, v7, vcc
	v_lshlrev_b32_e32 v6, 16, v8
	v_mov_b32_e32 v7, 0x3b800000
	v_lshlrev_b32_e32 v2, 20, v2
	v_and_b32_e32 v6, 0x80000000, v6
	v_lshl_add_u32 v3, v3, 23, v7
	v_or3_b32 v2, v6, v3, v2
.LBB16_716:
	s_or_b64 exec, exec, s[6:7]
	v_lshrrev_b32_e32 v3, 8, v4
	s_movk_i32 s4, 0x7f
	v_cmp_gt_i16_sdwa s[6:7], v3, s4 src0_sel:BYTE_0 src1_sel:DWORD
	s_mov_b64 s[4:5], 0
                                        ; implicit-def: $sgpr10
	s_and_saveexec_b64 s[8:9], s[6:7]
	s_xor_b64 s[6:7], exec, s[8:9]
	s_cbranch_execnz .LBB16_2765
; %bb.717:
	s_or_saveexec_b64 s[6:7], s[6:7]
	v_mov_b32_e32 v6, s10
	s_xor_b64 exec, exec, s[6:7]
	s_cbranch_execnz .LBB16_2768
.LBB16_718:
	s_or_b64 exec, exec, s[6:7]
	s_and_saveexec_b64 s[6:7], s[4:5]
	s_cbranch_execz .LBB16_720
.LBB16_719:
	v_bfe_u32 v6, v4, 8, 3
	v_ffbh_u32_e32 v10, v6
	v_min_u32_e32 v10, 32, v10
	v_lshrrev_b16_e32 v7, 3, v3
	v_subrev_u32_e32 v11, 28, v10
	v_and_b32_e32 v7, 15, v7
	v_lshlrev_b32_e32 v3, v11, v3
	v_sub_u32_e32 v10, 29, v10
	v_and_b32_e32 v3, 7, v3
	v_cmp_eq_u16_e32 vcc, 0, v7
	v_cndmask_b32_e32 v3, v6, v3, vcc
	v_cndmask_b32_e32 v6, v7, v10, vcc
	v_lshlrev_b32_e32 v7, 16, v4
	v_mov_b32_e32 v10, 0x3b800000
	v_lshlrev_b32_e32 v3, 20, v3
	v_and_b32_e32 v7, 0x80000000, v7
	v_lshl_add_u32 v6, v6, 23, v10
	v_or3_b32 v6, v7, v6, v3
.LBB16_720:
	s_or_b64 exec, exec, s[6:7]
	s_nop 0
	v_mfma_f32_16x16x4f32 a[0:3], v2, v6, a[0:3]
	s_movk_i32 s4, 0xff
	v_and_b32_sdwa v3, v8, s4 dst_sel:DWORD dst_unused:UNUSED_PAD src0_sel:WORD_1 src1_sel:DWORD
	s_movk_i32 s4, 0x7f
	v_cmp_lt_i16_e32 vcc, s4, v3
	s_mov_b64 s[4:5], 0
                                        ; implicit-def: $sgpr10
	s_and_saveexec_b64 s[6:7], vcc
	s_xor_b64 s[6:7], exec, s[6:7]
	s_cbranch_execnz .LBB16_2769
; %bb.721:
	s_or_saveexec_b64 s[6:7], s[6:7]
	v_mov_b32_e32 v2, s10
	s_xor_b64 exec, exec, s[6:7]
	s_cbranch_execnz .LBB16_2772
.LBB16_722:
	s_or_b64 exec, exec, s[6:7]
	s_and_saveexec_b64 s[6:7], s[4:5]
	s_cbranch_execz .LBB16_724
.LBB16_723:
	v_bfe_u32 v2, v8, 16, 3
	v_ffbh_u32_e32 v7, v2
	v_min_u32_e32 v7, 32, v7
	v_lshrrev_b32_e32 v3, 19, v8
	v_subrev_u32_e32 v10, 28, v7
	v_and_b32_e32 v3, 15, v3
	v_lshlrev_b32_sdwa v10, v10, v8 dst_sel:DWORD dst_unused:UNUSED_PAD src0_sel:DWORD src1_sel:WORD_1
	v_bfe_u32 v6, v8, 19, 4
	v_sub_u32_e32 v7, 29, v7
	v_and_b32_e32 v10, 7, v10
	v_cmp_eq_u16_e32 vcc, 0, v3
	v_cndmask_b32_e32 v2, v2, v10, vcc
	v_cndmask_b32_e32 v3, v6, v7, vcc
	v_lshlrev_b32_e32 v6, 8, v8
	v_mov_b32_e32 v7, 0x3b800000
	v_lshlrev_b32_e32 v2, 20, v2
	v_and_b32_e32 v6, 0x80000000, v6
	v_lshl_add_u32 v3, v3, 23, v7
	v_or3_b32 v2, v6, v3, v2
.LBB16_724:
	s_or_b64 exec, exec, s[6:7]
	s_movk_i32 s4, 0xff
	v_and_b32_sdwa v3, v4, s4 dst_sel:DWORD dst_unused:UNUSED_PAD src0_sel:WORD_1 src1_sel:DWORD
	s_movk_i32 s4, 0x7f
	v_cmp_lt_i16_e32 vcc, s4, v3
	s_mov_b64 s[4:5], 0
                                        ; implicit-def: $sgpr10
	s_and_saveexec_b64 s[6:7], vcc
	s_xor_b64 s[6:7], exec, s[6:7]
	s_cbranch_execnz .LBB16_2773
; %bb.725:
	s_or_saveexec_b64 s[6:7], s[6:7]
	v_mov_b32_e32 v6, s10
	s_xor_b64 exec, exec, s[6:7]
	s_cbranch_execnz .LBB16_2776
.LBB16_726:
	s_or_b64 exec, exec, s[6:7]
	s_and_saveexec_b64 s[6:7], s[4:5]
	s_cbranch_execz .LBB16_728
.LBB16_727:
	v_bfe_u32 v3, v4, 16, 3
	v_ffbh_u32_e32 v10, v3
	v_min_u32_e32 v10, 32, v10
	v_lshrrev_b32_e32 v6, 19, v4
	v_subrev_u32_e32 v11, 28, v10
	v_and_b32_e32 v6, 15, v6
	v_lshlrev_b32_sdwa v11, v11, v4 dst_sel:DWORD dst_unused:UNUSED_PAD src0_sel:DWORD src1_sel:WORD_1
	v_bfe_u32 v7, v4, 19, 4
	v_sub_u32_e32 v10, 29, v10
	v_and_b32_e32 v11, 7, v11
	v_cmp_eq_u16_e32 vcc, 0, v6
	v_cndmask_b32_e32 v3, v3, v11, vcc
	v_cndmask_b32_e32 v6, v7, v10, vcc
	v_lshlrev_b32_e32 v7, 8, v4
	v_mov_b32_e32 v10, 0x3b800000
	v_lshlrev_b32_e32 v3, 20, v3
	v_and_b32_e32 v7, 0x80000000, v7
	v_lshl_add_u32 v6, v6, 23, v10
	v_or3_b32 v6, v7, v6, v3
.LBB16_728:
	s_or_b64 exec, exec, s[6:7]
	s_nop 0
	v_mfma_f32_16x16x4f32 a[0:3], v2, v6, a[0:3]
	s_movk_i32 s4, 0x7f
	v_cmp_gt_i16_sdwa s[6:7], v8, s4 src0_sel:BYTE_3 src1_sel:DWORD
	s_mov_b64 s[4:5], 0
                                        ; implicit-def: $sgpr10
	s_and_saveexec_b64 s[8:9], s[6:7]
	s_xor_b64 s[6:7], exec, s[8:9]
	s_cbranch_execnz .LBB16_2777
; %bb.729:
	s_or_saveexec_b64 s[6:7], s[6:7]
	v_mov_b32_e32 v2, s10
	s_xor_b64 exec, exec, s[6:7]
	s_cbranch_execnz .LBB16_2780
.LBB16_730:
	s_or_b64 exec, exec, s[6:7]
	s_and_saveexec_b64 s[6:7], s[4:5]
	s_cbranch_execz .LBB16_732
.LBB16_731:
	v_bfe_u32 v2, v8, 24, 3
	v_ffbh_u32_e32 v10, v2
	v_min_u32_e32 v10, 32, v10
	v_lshrrev_b32_e32 v6, 27, v8
	v_subrev_u32_e32 v11, 28, v10
	v_and_b32_e32 v3, 0x80000000, v8
	v_and_b32_e32 v6, 15, v6
	v_bfe_u32 v7, v8, 27, 4
	v_lshlrev_b32_sdwa v8, v11, v8 dst_sel:DWORD dst_unused:UNUSED_PAD src0_sel:DWORD src1_sel:BYTE_3
	v_sub_u32_e32 v10, 29, v10
	v_and_b32_e32 v8, 7, v8
	v_cmp_eq_u16_e32 vcc, 0, v6
	v_cndmask_b32_e32 v2, v2, v8, vcc
	v_cndmask_b32_e32 v6, v7, v10, vcc
	v_mov_b32_e32 v7, 0x3b800000
	v_lshlrev_b32_e32 v2, 20, v2
	v_lshl_add_u32 v6, v6, 23, v7
	v_or3_b32 v2, v3, v6, v2
.LBB16_732:
	s_or_b64 exec, exec, s[6:7]
	s_movk_i32 s4, 0x7f
	v_cmp_gt_i16_sdwa s[6:7], v4, s4 src0_sel:BYTE_3 src1_sel:DWORD
	s_mov_b64 s[4:5], 0
                                        ; implicit-def: $sgpr10
	s_and_saveexec_b64 s[8:9], s[6:7]
	s_xor_b64 s[6:7], exec, s[8:9]
	s_cbranch_execnz .LBB16_2781
; %bb.733:
	s_or_saveexec_b64 s[6:7], s[6:7]
	v_mov_b32_e32 v3, s10
	s_xor_b64 exec, exec, s[6:7]
	s_cbranch_execnz .LBB16_2784
.LBB16_734:
	s_or_b64 exec, exec, s[6:7]
	s_and_saveexec_b64 s[6:7], s[4:5]
	s_cbranch_execz .LBB16_736
.LBB16_735:
	v_bfe_u32 v3, v4, 24, 3
	v_ffbh_u32_e32 v10, v3
	v_min_u32_e32 v10, 32, v10
	v_lshrrev_b32_e32 v7, 27, v4
	v_subrev_u32_e32 v11, 28, v10
	v_and_b32_e32 v6, 0x80000000, v4
	v_and_b32_e32 v7, 15, v7
	v_bfe_u32 v8, v4, 27, 4
	v_lshlrev_b32_sdwa v4, v11, v4 dst_sel:DWORD dst_unused:UNUSED_PAD src0_sel:DWORD src1_sel:BYTE_3
	v_sub_u32_e32 v10, 29, v10
	v_and_b32_e32 v4, 7, v4
	v_cmp_eq_u16_e32 vcc, 0, v7
	v_cndmask_b32_e32 v3, v3, v4, vcc
	v_cndmask_b32_e32 v4, v8, v10, vcc
	v_mov_b32_e32 v7, 0x3b800000
	v_lshlrev_b32_e32 v3, 20, v3
	v_lshl_add_u32 v4, v4, 23, v7
	v_or3_b32 v3, v6, v4, v3
.LBB16_736:
	s_or_b64 exec, exec, s[6:7]
	s_nop 0
	v_mfma_f32_16x16x4f32 a[0:3], v2, v3, a[0:3]
	s_movk_i32 s4, 0x7f
	v_cmp_gt_i16_sdwa s[6:7], v9, s4 src0_sel:BYTE_0 src1_sel:DWORD
	s_mov_b64 s[4:5], 0
                                        ; implicit-def: $sgpr10
	s_and_saveexec_b64 s[8:9], s[6:7]
	s_xor_b64 s[6:7], exec, s[8:9]
	s_cbranch_execnz .LBB16_2785
; %bb.737:
	s_or_saveexec_b64 s[6:7], s[6:7]
	v_mov_b32_e32 v2, s10
	s_xor_b64 exec, exec, s[6:7]
	s_cbranch_execnz .LBB16_2788
.LBB16_738:
	s_or_b64 exec, exec, s[6:7]
	s_and_saveexec_b64 s[6:7], s[4:5]
	s_cbranch_execz .LBB16_740
.LBB16_739:
	v_mov_b32_e32 v2, 8
	v_and_b32_e32 v3, 7, v9
	v_lshrrev_b32_sdwa v2, v2, v9 dst_sel:BYTE_1 dst_unused:UNUSED_PAD src0_sel:DWORD src1_sel:DWORD
	v_ffbh_u32_e32 v4, v3
	v_or_b32_sdwa v2, v9, v2 dst_sel:DWORD dst_unused:UNUSED_PAD src0_sel:BYTE_0 src1_sel:DWORD
	v_min_u32_e32 v4, 32, v4
	v_lshrrev_b16_e32 v2, 3, v2
	v_subrev_u32_e32 v6, 28, v4
	v_and_b32_e32 v2, 15, v2
	v_lshlrev_b32_e32 v6, v6, v9
	v_sub_u32_e32 v4, 29, v4
	v_and_b32_e32 v6, 7, v6
	v_cmp_eq_u16_e32 vcc, 0, v2
	v_cndmask_b32_e32 v3, v3, v6, vcc
	v_cndmask_b32_e32 v2, v2, v4, vcc
	v_lshlrev_b32_e32 v4, 24, v9
	v_mov_b32_e32 v6, 0x3b800000
	v_lshlrev_b32_e32 v3, 20, v3
	v_and_b32_e32 v4, 0x80000000, v4
	v_lshl_add_u32 v2, v2, 23, v6
	v_or3_b32 v2, v4, v2, v3
.LBB16_740:
	s_or_b64 exec, exec, s[6:7]
	s_movk_i32 s4, 0x7f
	v_cmp_gt_i16_sdwa s[6:7], v5, s4 src0_sel:BYTE_0 src1_sel:DWORD
	s_mov_b64 s[4:5], 0
                                        ; implicit-def: $sgpr10
	s_and_saveexec_b64 s[8:9], s[6:7]
	s_xor_b64 s[6:7], exec, s[8:9]
	s_cbranch_execnz .LBB16_2789
; %bb.741:
	s_or_saveexec_b64 s[6:7], s[6:7]
	v_mov_b32_e32 v3, s10
	s_xor_b64 exec, exec, s[6:7]
	s_cbranch_execnz .LBB16_2792
.LBB16_742:
	s_or_b64 exec, exec, s[6:7]
	s_and_saveexec_b64 s[6:7], s[4:5]
	s_cbranch_execz .LBB16_744
.LBB16_743:
	v_mov_b32_e32 v3, 8
	v_and_b32_e32 v4, 7, v5
	v_lshrrev_b32_sdwa v3, v3, v5 dst_sel:BYTE_1 dst_unused:UNUSED_PAD src0_sel:DWORD src1_sel:DWORD
	v_ffbh_u32_e32 v6, v4
	v_or_b32_sdwa v3, v5, v3 dst_sel:DWORD dst_unused:UNUSED_PAD src0_sel:BYTE_0 src1_sel:DWORD
	v_min_u32_e32 v6, 32, v6
	v_lshrrev_b16_e32 v3, 3, v3
	v_subrev_u32_e32 v7, 28, v6
	v_and_b32_e32 v3, 15, v3
	v_lshlrev_b32_e32 v7, v7, v5
	v_sub_u32_e32 v6, 29, v6
	v_and_b32_e32 v7, 7, v7
	v_cmp_eq_u16_e32 vcc, 0, v3
	v_cndmask_b32_e32 v4, v4, v7, vcc
	v_cndmask_b32_e32 v3, v3, v6, vcc
	v_lshlrev_b32_e32 v6, 24, v5
	v_mov_b32_e32 v7, 0x3b800000
	v_lshlrev_b32_e32 v4, 20, v4
	v_and_b32_e32 v6, 0x80000000, v6
	v_lshl_add_u32 v3, v3, 23, v7
	v_or3_b32 v3, v6, v3, v4
.LBB16_744:
	s_or_b64 exec, exec, s[6:7]
	s_nop 0
	v_mfma_f32_16x16x4f32 a[0:3], v2, v3, a[0:3]
	v_lshrrev_b32_e32 v3, 8, v9
	s_movk_i32 s4, 0x7f
	v_cmp_gt_i16_sdwa s[6:7], v3, s4 src0_sel:BYTE_0 src1_sel:DWORD
	s_mov_b64 s[4:5], 0
                                        ; implicit-def: $sgpr10
	s_and_saveexec_b64 s[8:9], s[6:7]
	s_xor_b64 s[6:7], exec, s[8:9]
	s_cbranch_execnz .LBB16_2793
; %bb.745:
	s_or_saveexec_b64 s[6:7], s[6:7]
	v_mov_b32_e32 v2, s10
	s_xor_b64 exec, exec, s[6:7]
	s_cbranch_execnz .LBB16_2796
.LBB16_746:
	s_or_b64 exec, exec, s[6:7]
	s_and_saveexec_b64 s[6:7], s[4:5]
	s_cbranch_execz .LBB16_748
.LBB16_747:
	v_bfe_u32 v2, v9, 8, 3
	v_ffbh_u32_e32 v6, v2
	v_min_u32_e32 v6, 32, v6
	v_lshrrev_b16_e32 v4, 3, v3
	v_subrev_u32_e32 v7, 28, v6
	v_and_b32_e32 v4, 15, v4
	v_lshlrev_b32_e32 v3, v7, v3
	v_sub_u32_e32 v6, 29, v6
	v_and_b32_e32 v3, 7, v3
	v_cmp_eq_u16_e32 vcc, 0, v4
	v_cndmask_b32_e32 v2, v2, v3, vcc
	v_cndmask_b32_e32 v3, v4, v6, vcc
	v_lshlrev_b32_e32 v4, 16, v9
	v_mov_b32_e32 v6, 0x3b800000
	v_lshlrev_b32_e32 v2, 20, v2
	v_and_b32_e32 v4, 0x80000000, v4
	v_lshl_add_u32 v3, v3, 23, v6
	v_or3_b32 v2, v4, v3, v2
.LBB16_748:
	s_or_b64 exec, exec, s[6:7]
	v_lshrrev_b32_e32 v3, 8, v5
	s_movk_i32 s4, 0x7f
	v_cmp_gt_i16_sdwa s[6:7], v3, s4 src0_sel:BYTE_0 src1_sel:DWORD
	s_mov_b64 s[4:5], 0
                                        ; implicit-def: $sgpr10
	s_and_saveexec_b64 s[8:9], s[6:7]
	s_xor_b64 s[6:7], exec, s[8:9]
	s_cbranch_execnz .LBB16_2797
; %bb.749:
	s_or_saveexec_b64 s[6:7], s[6:7]
	v_mov_b32_e32 v4, s10
	s_xor_b64 exec, exec, s[6:7]
	s_cbranch_execnz .LBB16_2800
.LBB16_750:
	s_or_b64 exec, exec, s[6:7]
	s_and_saveexec_b64 s[6:7], s[4:5]
	s_cbranch_execz .LBB16_752
.LBB16_751:
	v_bfe_u32 v4, v5, 8, 3
	v_ffbh_u32_e32 v7, v4
	v_min_u32_e32 v7, 32, v7
	v_lshrrev_b16_e32 v6, 3, v3
	v_subrev_u32_e32 v8, 28, v7
	v_and_b32_e32 v6, 15, v6
	v_lshlrev_b32_e32 v3, v8, v3
	v_sub_u32_e32 v7, 29, v7
	v_and_b32_e32 v3, 7, v3
	v_cmp_eq_u16_e32 vcc, 0, v6
	v_cndmask_b32_e32 v3, v4, v3, vcc
	v_cndmask_b32_e32 v4, v6, v7, vcc
	v_lshlrev_b32_e32 v6, 16, v5
	v_mov_b32_e32 v7, 0x3b800000
	v_lshlrev_b32_e32 v3, 20, v3
	v_and_b32_e32 v6, 0x80000000, v6
	v_lshl_add_u32 v4, v4, 23, v7
	v_or3_b32 v4, v6, v4, v3
.LBB16_752:
	s_or_b64 exec, exec, s[6:7]
	s_nop 0
	v_mfma_f32_16x16x4f32 a[0:3], v2, v4, a[0:3]
	s_movk_i32 s4, 0xff
	v_and_b32_sdwa v3, v9, s4 dst_sel:DWORD dst_unused:UNUSED_PAD src0_sel:WORD_1 src1_sel:DWORD
	s_movk_i32 s4, 0x7f
	v_cmp_lt_i16_e32 vcc, s4, v3
	s_mov_b64 s[4:5], 0
                                        ; implicit-def: $sgpr10
	s_and_saveexec_b64 s[6:7], vcc
	s_xor_b64 s[6:7], exec, s[6:7]
	s_cbranch_execnz .LBB16_2801
; %bb.753:
	s_or_saveexec_b64 s[6:7], s[6:7]
	v_mov_b32_e32 v2, s10
	s_xor_b64 exec, exec, s[6:7]
	s_cbranch_execnz .LBB16_2804
.LBB16_754:
	s_or_b64 exec, exec, s[6:7]
	s_and_saveexec_b64 s[6:7], s[4:5]
	s_cbranch_execz .LBB16_756
.LBB16_755:
	v_bfe_u32 v2, v9, 16, 3
	v_ffbh_u32_e32 v6, v2
	v_min_u32_e32 v6, 32, v6
	v_lshrrev_b32_e32 v3, 19, v9
	v_subrev_u32_e32 v7, 28, v6
	v_and_b32_e32 v3, 15, v3
	v_lshlrev_b32_sdwa v7, v7, v9 dst_sel:DWORD dst_unused:UNUSED_PAD src0_sel:DWORD src1_sel:WORD_1
	v_bfe_u32 v4, v9, 19, 4
	v_sub_u32_e32 v6, 29, v6
	v_and_b32_e32 v7, 7, v7
	v_cmp_eq_u16_e32 vcc, 0, v3
	v_cndmask_b32_e32 v2, v2, v7, vcc
	v_cndmask_b32_e32 v3, v4, v6, vcc
	v_lshlrev_b32_e32 v4, 8, v9
	v_mov_b32_e32 v6, 0x3b800000
	v_lshlrev_b32_e32 v2, 20, v2
	v_and_b32_e32 v4, 0x80000000, v4
	v_lshl_add_u32 v3, v3, 23, v6
	v_or3_b32 v2, v4, v3, v2
.LBB16_756:
	s_or_b64 exec, exec, s[6:7]
	s_movk_i32 s4, 0xff
	v_and_b32_sdwa v3, v5, s4 dst_sel:DWORD dst_unused:UNUSED_PAD src0_sel:WORD_1 src1_sel:DWORD
	s_movk_i32 s4, 0x7f
	v_cmp_lt_i16_e32 vcc, s4, v3
	s_mov_b64 s[4:5], 0
                                        ; implicit-def: $sgpr10
	s_and_saveexec_b64 s[6:7], vcc
	s_xor_b64 s[6:7], exec, s[6:7]
	s_cbranch_execnz .LBB16_2805
; %bb.757:
	s_or_saveexec_b64 s[6:7], s[6:7]
	v_mov_b32_e32 v4, s10
	s_xor_b64 exec, exec, s[6:7]
	s_cbranch_execnz .LBB16_2808
.LBB16_758:
	s_or_b64 exec, exec, s[6:7]
	s_and_saveexec_b64 s[6:7], s[4:5]
	s_cbranch_execz .LBB16_760
.LBB16_759:
	v_bfe_u32 v3, v5, 16, 3
	v_ffbh_u32_e32 v7, v3
	v_min_u32_e32 v7, 32, v7
	v_lshrrev_b32_e32 v4, 19, v5
	v_subrev_u32_e32 v8, 28, v7
	v_and_b32_e32 v4, 15, v4
	v_lshlrev_b32_sdwa v8, v8, v5 dst_sel:DWORD dst_unused:UNUSED_PAD src0_sel:DWORD src1_sel:WORD_1
	v_bfe_u32 v6, v5, 19, 4
	v_sub_u32_e32 v7, 29, v7
	v_and_b32_e32 v8, 7, v8
	v_cmp_eq_u16_e32 vcc, 0, v4
	v_cndmask_b32_e32 v3, v3, v8, vcc
	v_cndmask_b32_e32 v4, v6, v7, vcc
	v_lshlrev_b32_e32 v6, 8, v5
	v_mov_b32_e32 v7, 0x3b800000
	v_lshlrev_b32_e32 v3, 20, v3
	v_and_b32_e32 v6, 0x80000000, v6
	v_lshl_add_u32 v4, v4, 23, v7
	v_or3_b32 v4, v6, v4, v3
.LBB16_760:
	s_or_b64 exec, exec, s[6:7]
	s_nop 0
	v_mfma_f32_16x16x4f32 a[0:3], v2, v4, a[0:3]
	s_movk_i32 s4, 0x7f
	v_cmp_gt_i16_sdwa s[6:7], v9, s4 src0_sel:BYTE_3 src1_sel:DWORD
	s_mov_b64 s[4:5], 0
                                        ; implicit-def: $sgpr10
	s_and_saveexec_b64 s[8:9], s[6:7]
	s_xor_b64 s[6:7], exec, s[8:9]
	s_cbranch_execnz .LBB16_2809
; %bb.761:
	s_or_saveexec_b64 s[6:7], s[6:7]
	v_mov_b32_e32 v2, s10
	s_xor_b64 exec, exec, s[6:7]
	s_cbranch_execnz .LBB16_2812
.LBB16_762:
	s_or_b64 exec, exec, s[6:7]
	s_and_saveexec_b64 s[6:7], s[4:5]
	s_cbranch_execz .LBB16_764
.LBB16_763:
	v_bfe_u32 v2, v9, 24, 3
	v_ffbh_u32_e32 v7, v2
	v_min_u32_e32 v7, 32, v7
	v_lshrrev_b32_e32 v4, 27, v9
	v_subrev_u32_e32 v8, 28, v7
	v_and_b32_e32 v4, 15, v4
	v_lshlrev_b32_sdwa v8, v8, v9 dst_sel:DWORD dst_unused:UNUSED_PAD src0_sel:DWORD src1_sel:BYTE_3
	v_bfe_u32 v6, v9, 27, 4
	v_sub_u32_e32 v7, 29, v7
	v_and_b32_e32 v8, 7, v8
	v_cmp_eq_u16_e32 vcc, 0, v4
	v_cndmask_b32_e32 v2, v2, v8, vcc
	v_cndmask_b32_e32 v4, v6, v7, vcc
	v_mov_b32_e32 v6, 0x3b800000
	v_and_b32_e32 v3, 0x80000000, v9
	v_lshlrev_b32_e32 v2, 20, v2
	v_lshl_add_u32 v4, v4, 23, v6
	v_or3_b32 v2, v3, v4, v2
.LBB16_764:
	s_or_b64 exec, exec, s[6:7]
	s_movk_i32 s4, 0x7f
	v_cmp_gt_i16_sdwa s[6:7], v5, s4 src0_sel:BYTE_3 src1_sel:DWORD
	s_mov_b64 s[4:5], 0
                                        ; implicit-def: $sgpr10
	s_and_saveexec_b64 s[8:9], s[6:7]
	s_xor_b64 s[6:7], exec, s[8:9]
	s_cbranch_execnz .LBB16_2813
; %bb.765:
	s_or_saveexec_b64 s[6:7], s[6:7]
	v_mov_b32_e32 v3, s10
	s_xor_b64 exec, exec, s[6:7]
	s_cbranch_execnz .LBB16_2816
.LBB16_766:
	s_or_b64 exec, exec, s[6:7]
	s_and_saveexec_b64 s[6:7], s[4:5]
	s_cbranch_execz .LBB16_768
.LBB16_767:
	v_bfe_u32 v3, v5, 24, 3
	v_ffbh_u32_e32 v8, v3
	v_min_u32_e32 v8, 32, v8
	v_lshrrev_b32_e32 v6, 27, v5
	v_subrev_u32_e32 v9, 28, v8
	v_and_b32_e32 v4, 0x80000000, v5
	v_and_b32_e32 v6, 15, v6
	v_bfe_u32 v7, v5, 27, 4
	v_lshlrev_b32_sdwa v5, v9, v5 dst_sel:DWORD dst_unused:UNUSED_PAD src0_sel:DWORD src1_sel:BYTE_3
	v_sub_u32_e32 v8, 29, v8
	v_and_b32_e32 v5, 7, v5
	v_cmp_eq_u16_e32 vcc, 0, v6
	v_cndmask_b32_e32 v3, v3, v5, vcc
	v_cndmask_b32_e32 v5, v7, v8, vcc
	v_mov_b32_e32 v6, 0x3b800000
	v_lshlrev_b32_e32 v3, 20, v3
	v_lshl_add_u32 v5, v5, 23, v6
	v_or3_b32 v3, v4, v5, v3
.LBB16_768:
	s_or_b64 exec, exec, s[6:7]
	s_nop 0
	v_mfma_f32_16x16x4f32 a[0:3], v2, v3, a[0:3]
	s_movk_i32 s4, 0x7f
                                        ; implicit-def: $sgpr10
	s_nop 7
	s_nop 1
	flat_store_dwordx4 v[18:19], a[0:3] offset:800
	flat_load_dwordx4 v[20:23], v[0:1] offset:16
	s_nop 0
	flat_load_dwordx2 v[18:19], v[0:1] offset:32
	s_waitcnt vmcnt(0) lgkmcnt(0)
	flat_load_dwordx4 v[14:17], v[20:21]
	flat_load_dwordx4 v[6:9], v[20:21] offset:16
	flat_load_dwordx4 v[10:13], v[22:23] offset:352
	;; [unrolled: 1-line block ×3, first 2 shown]
	s_waitcnt vmcnt(0) lgkmcnt(0)
	v_cmp_gt_i16_sdwa s[6:7], v14, s4 src0_sel:BYTE_0 src1_sel:DWORD
	s_mov_b64 s[4:5], 0
	s_and_saveexec_b64 s[8:9], s[6:7]
	s_xor_b64 s[6:7], exec, s[8:9]
	s_cbranch_execnz .LBB16_2817
; %bb.769:
	s_or_saveexec_b64 s[6:7], s[6:7]
	v_mov_b32_e32 v20, s10
	s_xor_b64 exec, exec, s[6:7]
	s_cbranch_execnz .LBB16_2820
.LBB16_770:
	s_or_b64 exec, exec, s[6:7]
	s_and_saveexec_b64 s[6:7], s[4:5]
	s_cbranch_execz .LBB16_772
.LBB16_771:
	v_and_b32_e32 v20, 7, v14
	v_ffbh_u32_e32 v22, v20
	v_min_u32_e32 v22, 32, v22
	v_lshrrev_b16_e32 v21, 3, v14
	v_subrev_u32_e32 v23, 28, v22
	v_and_b32_e32 v21, 15, v21
	v_lshlrev_b32_e32 v23, v23, v14
	v_sub_u32_e32 v22, 29, v22
	v_and_b32_e32 v23, 7, v23
	v_cmp_eq_u16_e32 vcc, 0, v21
	v_cndmask_b32_e32 v20, v20, v23, vcc
	v_cndmask_b32_e32 v21, v21, v22, vcc
	v_lshlrev_b32_e32 v22, 24, v14
	v_mov_b32_e32 v23, 0x3b800000
	v_lshlrev_b32_e32 v20, 20, v20
	v_and_b32_e32 v22, 0x80000000, v22
	v_lshl_add_u32 v21, v21, 23, v23
	v_or3_b32 v20, v22, v21, v20
.LBB16_772:
	s_or_b64 exec, exec, s[6:7]
	s_movk_i32 s4, 0x7f
	v_cmp_gt_i16_sdwa s[6:7], v10, s4 src0_sel:BYTE_0 src1_sel:DWORD
	s_mov_b64 s[4:5], 0
                                        ; implicit-def: $sgpr10
	s_and_saveexec_b64 s[8:9], s[6:7]
	s_xor_b64 s[6:7], exec, s[8:9]
	s_cbranch_execnz .LBB16_2821
; %bb.773:
	s_or_saveexec_b64 s[6:7], s[6:7]
	v_mov_b32_e32 v21, s10
	s_xor_b64 exec, exec, s[6:7]
	s_cbranch_execnz .LBB16_2824
.LBB16_774:
	s_or_b64 exec, exec, s[6:7]
	s_and_saveexec_b64 s[6:7], s[4:5]
	s_cbranch_execz .LBB16_776
.LBB16_775:
	v_and_b32_e32 v21, 7, v10
	v_ffbh_u32_e32 v23, v21
	v_min_u32_e32 v23, 32, v23
	v_lshrrev_b16_e32 v22, 3, v10
	v_subrev_u32_e32 v24, 28, v23
	v_and_b32_e32 v22, 15, v22
	v_lshlrev_b32_e32 v24, v24, v10
	v_sub_u32_e32 v23, 29, v23
	v_and_b32_e32 v24, 7, v24
	v_cmp_eq_u16_e32 vcc, 0, v22
	v_cndmask_b32_e32 v21, v21, v24, vcc
	v_cndmask_b32_e32 v22, v22, v23, vcc
	v_lshlrev_b32_e32 v23, 24, v10
	v_mov_b32_e32 v24, 0x3b800000
	v_lshlrev_b32_e32 v21, 20, v21
	v_and_b32_e32 v23, 0x80000000, v23
	v_lshl_add_u32 v22, v22, 23, v24
	v_or3_b32 v21, v23, v22, v21
.LBB16_776:
	s_or_b64 exec, exec, s[6:7]
	flat_load_dwordx4 a[0:3], v[18:19] offset:816
	s_movk_i32 s4, 0x7f
                                        ; implicit-def: $sgpr10
	s_waitcnt vmcnt(0) lgkmcnt(0)
	v_mfma_f32_16x16x4f32 a[0:3], v20, v21, a[0:3]
	v_lshrrev_b32_e32 v21, 8, v14
	v_cmp_gt_i16_sdwa s[6:7], v21, s4 src0_sel:BYTE_0 src1_sel:DWORD
	s_mov_b64 s[4:5], 0
	s_and_saveexec_b64 s[8:9], s[6:7]
	s_xor_b64 s[6:7], exec, s[8:9]
	s_cbranch_execnz .LBB16_2825
; %bb.777:
	s_or_saveexec_b64 s[6:7], s[6:7]
	v_mov_b32_e32 v20, s10
	s_xor_b64 exec, exec, s[6:7]
	s_cbranch_execnz .LBB16_2828
.LBB16_778:
	s_or_b64 exec, exec, s[6:7]
	s_and_saveexec_b64 s[6:7], s[4:5]
	s_cbranch_execz .LBB16_780
.LBB16_779:
	v_bfe_u32 v20, v14, 8, 3
	v_ffbh_u32_e32 v23, v20
	v_min_u32_e32 v23, 32, v23
	v_lshrrev_b16_e32 v22, 3, v21
	v_subrev_u32_e32 v24, 28, v23
	v_and_b32_e32 v22, 15, v22
	v_lshlrev_b32_e32 v21, v24, v21
	v_sub_u32_e32 v23, 29, v23
	v_and_b32_e32 v21, 7, v21
	v_cmp_eq_u16_e32 vcc, 0, v22
	v_cndmask_b32_e32 v20, v20, v21, vcc
	v_cndmask_b32_e32 v21, v22, v23, vcc
	v_lshlrev_b32_e32 v22, 16, v14
	v_mov_b32_e32 v23, 0x3b800000
	v_lshlrev_b32_e32 v20, 20, v20
	v_and_b32_e32 v22, 0x80000000, v22
	v_lshl_add_u32 v21, v21, 23, v23
	v_or3_b32 v20, v22, v21, v20
.LBB16_780:
	s_or_b64 exec, exec, s[6:7]
	v_lshrrev_b32_e32 v21, 8, v10
	s_movk_i32 s4, 0x7f
	v_cmp_gt_i16_sdwa s[6:7], v21, s4 src0_sel:BYTE_0 src1_sel:DWORD
	s_mov_b64 s[4:5], 0
                                        ; implicit-def: $sgpr10
	s_and_saveexec_b64 s[8:9], s[6:7]
	s_xor_b64 s[6:7], exec, s[8:9]
	s_cbranch_execnz .LBB16_2829
; %bb.781:
	s_or_saveexec_b64 s[6:7], s[6:7]
	v_mov_b32_e32 v22, s10
	s_xor_b64 exec, exec, s[6:7]
	s_cbranch_execnz .LBB16_2832
.LBB16_782:
	s_or_b64 exec, exec, s[6:7]
	s_and_saveexec_b64 s[6:7], s[4:5]
	s_cbranch_execz .LBB16_784
.LBB16_783:
	v_bfe_u32 v22, v10, 8, 3
	v_ffbh_u32_e32 v24, v22
	v_min_u32_e32 v24, 32, v24
	v_lshrrev_b16_e32 v23, 3, v21
	v_subrev_u32_e32 v25, 28, v24
	v_and_b32_e32 v23, 15, v23
	v_lshlrev_b32_e32 v21, v25, v21
	v_sub_u32_e32 v24, 29, v24
	v_and_b32_e32 v21, 7, v21
	v_cmp_eq_u16_e32 vcc, 0, v23
	v_cndmask_b32_e32 v21, v22, v21, vcc
	v_cndmask_b32_e32 v22, v23, v24, vcc
	v_lshlrev_b32_e32 v23, 16, v10
	v_mov_b32_e32 v24, 0x3b800000
	v_lshlrev_b32_e32 v21, 20, v21
	v_and_b32_e32 v23, 0x80000000, v23
	v_lshl_add_u32 v22, v22, 23, v24
	v_or3_b32 v22, v23, v22, v21
.LBB16_784:
	s_or_b64 exec, exec, s[6:7]
	s_nop 0
	v_mfma_f32_16x16x4f32 a[0:3], v20, v22, a[0:3]
	s_movk_i32 s4, 0xff
	v_and_b32_sdwa v21, v14, s4 dst_sel:DWORD dst_unused:UNUSED_PAD src0_sel:WORD_1 src1_sel:DWORD
	s_movk_i32 s4, 0x7f
	v_cmp_lt_i16_e32 vcc, s4, v21
	s_mov_b64 s[4:5], 0
                                        ; implicit-def: $sgpr10
	s_and_saveexec_b64 s[6:7], vcc
	s_xor_b64 s[6:7], exec, s[6:7]
	s_cbranch_execnz .LBB16_2833
; %bb.785:
	s_or_saveexec_b64 s[6:7], s[6:7]
	v_mov_b32_e32 v20, s10
	s_xor_b64 exec, exec, s[6:7]
	s_cbranch_execnz .LBB16_2836
.LBB16_786:
	s_or_b64 exec, exec, s[6:7]
	s_and_saveexec_b64 s[6:7], s[4:5]
	s_cbranch_execz .LBB16_788
.LBB16_787:
	v_bfe_u32 v20, v14, 16, 3
	v_ffbh_u32_e32 v23, v20
	v_min_u32_e32 v23, 32, v23
	v_lshrrev_b32_e32 v21, 19, v14
	v_subrev_u32_e32 v24, 28, v23
	v_and_b32_e32 v21, 15, v21
	v_lshlrev_b32_sdwa v24, v24, v14 dst_sel:DWORD dst_unused:UNUSED_PAD src0_sel:DWORD src1_sel:WORD_1
	v_bfe_u32 v22, v14, 19, 4
	v_sub_u32_e32 v23, 29, v23
	v_and_b32_e32 v24, 7, v24
	v_cmp_eq_u16_e32 vcc, 0, v21
	v_cndmask_b32_e32 v20, v20, v24, vcc
	v_cndmask_b32_e32 v21, v22, v23, vcc
	v_lshlrev_b32_e32 v22, 8, v14
	v_mov_b32_e32 v23, 0x3b800000
	v_lshlrev_b32_e32 v20, 20, v20
	v_and_b32_e32 v22, 0x80000000, v22
	v_lshl_add_u32 v21, v21, 23, v23
	v_or3_b32 v20, v22, v21, v20
.LBB16_788:
	s_or_b64 exec, exec, s[6:7]
	s_movk_i32 s4, 0xff
	v_and_b32_sdwa v21, v10, s4 dst_sel:DWORD dst_unused:UNUSED_PAD src0_sel:WORD_1 src1_sel:DWORD
	s_movk_i32 s4, 0x7f
	v_cmp_lt_i16_e32 vcc, s4, v21
	s_mov_b64 s[4:5], 0
                                        ; implicit-def: $sgpr10
	s_and_saveexec_b64 s[6:7], vcc
	s_xor_b64 s[6:7], exec, s[6:7]
	s_cbranch_execnz .LBB16_2837
; %bb.789:
	s_or_saveexec_b64 s[6:7], s[6:7]
	v_mov_b32_e32 v22, s10
	s_xor_b64 exec, exec, s[6:7]
	s_cbranch_execnz .LBB16_2840
.LBB16_790:
	s_or_b64 exec, exec, s[6:7]
	s_and_saveexec_b64 s[6:7], s[4:5]
	s_cbranch_execz .LBB16_792
.LBB16_791:
	v_bfe_u32 v21, v10, 16, 3
	v_ffbh_u32_e32 v24, v21
	v_min_u32_e32 v24, 32, v24
	v_lshrrev_b32_e32 v22, 19, v10
	v_subrev_u32_e32 v25, 28, v24
	v_and_b32_e32 v22, 15, v22
	v_lshlrev_b32_sdwa v25, v25, v10 dst_sel:DWORD dst_unused:UNUSED_PAD src0_sel:DWORD src1_sel:WORD_1
	v_bfe_u32 v23, v10, 19, 4
	v_sub_u32_e32 v24, 29, v24
	v_and_b32_e32 v25, 7, v25
	v_cmp_eq_u16_e32 vcc, 0, v22
	v_cndmask_b32_e32 v21, v21, v25, vcc
	v_cndmask_b32_e32 v22, v23, v24, vcc
	v_lshlrev_b32_e32 v23, 8, v10
	v_mov_b32_e32 v24, 0x3b800000
	v_lshlrev_b32_e32 v21, 20, v21
	v_and_b32_e32 v23, 0x80000000, v23
	v_lshl_add_u32 v22, v22, 23, v24
	v_or3_b32 v22, v23, v22, v21
.LBB16_792:
	s_or_b64 exec, exec, s[6:7]
	s_nop 0
	v_mfma_f32_16x16x4f32 a[0:3], v20, v22, a[0:3]
	s_movk_i32 s4, 0x7f
	v_cmp_gt_i16_sdwa s[6:7], v14, s4 src0_sel:BYTE_3 src1_sel:DWORD
	s_mov_b64 s[4:5], 0
                                        ; implicit-def: $sgpr10
	s_and_saveexec_b64 s[8:9], s[6:7]
	s_xor_b64 s[6:7], exec, s[8:9]
	s_cbranch_execnz .LBB16_2841
; %bb.793:
	s_or_saveexec_b64 s[6:7], s[6:7]
	v_mov_b32_e32 v20, s10
	s_xor_b64 exec, exec, s[6:7]
	s_cbranch_execnz .LBB16_2844
.LBB16_794:
	s_or_b64 exec, exec, s[6:7]
	s_and_saveexec_b64 s[6:7], s[4:5]
	s_cbranch_execz .LBB16_796
.LBB16_795:
	v_bfe_u32 v20, v14, 24, 3
	v_ffbh_u32_e32 v24, v20
	v_min_u32_e32 v24, 32, v24
	v_lshrrev_b32_e32 v22, 27, v14
	v_subrev_u32_e32 v25, 28, v24
	v_and_b32_e32 v21, 0x80000000, v14
	v_and_b32_e32 v22, 15, v22
	v_bfe_u32 v23, v14, 27, 4
	v_lshlrev_b32_sdwa v14, v25, v14 dst_sel:DWORD dst_unused:UNUSED_PAD src0_sel:DWORD src1_sel:BYTE_3
	v_sub_u32_e32 v24, 29, v24
	v_and_b32_e32 v14, 7, v14
	v_cmp_eq_u16_e32 vcc, 0, v22
	v_cndmask_b32_e32 v14, v20, v14, vcc
	v_cndmask_b32_e32 v20, v23, v24, vcc
	v_mov_b32_e32 v22, 0x3b800000
	v_lshlrev_b32_e32 v14, 20, v14
	v_lshl_add_u32 v20, v20, 23, v22
	v_or3_b32 v20, v21, v20, v14
.LBB16_796:
	s_or_b64 exec, exec, s[6:7]
	s_movk_i32 s4, 0x7f
	v_cmp_gt_i16_sdwa s[6:7], v10, s4 src0_sel:BYTE_3 src1_sel:DWORD
	s_mov_b64 s[4:5], 0
                                        ; implicit-def: $sgpr10
	s_and_saveexec_b64 s[8:9], s[6:7]
	s_xor_b64 s[6:7], exec, s[8:9]
	s_cbranch_execnz .LBB16_2845
; %bb.797:
	s_or_saveexec_b64 s[6:7], s[6:7]
	v_mov_b32_e32 v14, s10
	s_xor_b64 exec, exec, s[6:7]
	s_cbranch_execnz .LBB16_2848
.LBB16_798:
	s_or_b64 exec, exec, s[6:7]
	s_and_saveexec_b64 s[6:7], s[4:5]
	s_cbranch_execz .LBB16_800
.LBB16_799:
	v_bfe_u32 v14, v10, 24, 3
	v_ffbh_u32_e32 v24, v14
	v_min_u32_e32 v24, 32, v24
	v_lshrrev_b32_e32 v22, 27, v10
	v_subrev_u32_e32 v25, 28, v24
	v_and_b32_e32 v21, 0x80000000, v10
	v_and_b32_e32 v22, 15, v22
	v_bfe_u32 v23, v10, 27, 4
	v_lshlrev_b32_sdwa v10, v25, v10 dst_sel:DWORD dst_unused:UNUSED_PAD src0_sel:DWORD src1_sel:BYTE_3
	v_sub_u32_e32 v24, 29, v24
	v_and_b32_e32 v10, 7, v10
	v_cmp_eq_u16_e32 vcc, 0, v22
	v_cndmask_b32_e32 v10, v14, v10, vcc
	v_cndmask_b32_e32 v14, v23, v24, vcc
	v_mov_b32_e32 v22, 0x3b800000
	v_lshlrev_b32_e32 v10, 20, v10
	v_lshl_add_u32 v14, v14, 23, v22
	v_or3_b32 v14, v21, v14, v10
.LBB16_800:
	s_or_b64 exec, exec, s[6:7]
	s_nop 0
	v_mfma_f32_16x16x4f32 a[0:3], v20, v14, a[0:3]
	s_movk_i32 s4, 0x7f
	v_cmp_gt_i16_sdwa s[6:7], v15, s4 src0_sel:BYTE_0 src1_sel:DWORD
	s_mov_b64 s[4:5], 0
                                        ; implicit-def: $sgpr10
	s_and_saveexec_b64 s[8:9], s[6:7]
	s_xor_b64 s[6:7], exec, s[8:9]
	s_cbranch_execnz .LBB16_2849
; %bb.801:
	s_or_saveexec_b64 s[6:7], s[6:7]
	v_mov_b32_e32 v10, s10
	s_xor_b64 exec, exec, s[6:7]
	s_cbranch_execnz .LBB16_2852
.LBB16_802:
	s_or_b64 exec, exec, s[6:7]
	s_and_saveexec_b64 s[6:7], s[4:5]
	s_cbranch_execz .LBB16_804
.LBB16_803:
	v_and_b32_e32 v10, 7, v15
	v_ffbh_u32_e32 v20, v10
	v_min_u32_e32 v20, 32, v20
	v_lshrrev_b16_e32 v14, 3, v15
	v_subrev_u32_e32 v21, 28, v20
	v_and_b32_e32 v14, 15, v14
	v_lshlrev_b32_e32 v21, v21, v15
	v_sub_u32_e32 v20, 29, v20
	v_and_b32_e32 v21, 7, v21
	v_cmp_eq_u16_e32 vcc, 0, v14
	v_cndmask_b32_e32 v10, v10, v21, vcc
	v_cndmask_b32_e32 v14, v14, v20, vcc
	v_lshlrev_b32_e32 v20, 24, v15
	v_mov_b32_e32 v21, 0x3b800000
	v_lshlrev_b32_e32 v10, 20, v10
	v_and_b32_e32 v20, 0x80000000, v20
	v_lshl_add_u32 v14, v14, 23, v21
	v_or3_b32 v10, v20, v14, v10
.LBB16_804:
	s_or_b64 exec, exec, s[6:7]
	s_movk_i32 s4, 0x7f
	v_cmp_gt_i16_sdwa s[6:7], v11, s4 src0_sel:BYTE_0 src1_sel:DWORD
	s_mov_b64 s[4:5], 0
                                        ; implicit-def: $sgpr10
	s_and_saveexec_b64 s[8:9], s[6:7]
	s_xor_b64 s[6:7], exec, s[8:9]
	s_cbranch_execnz .LBB16_2853
; %bb.805:
	s_or_saveexec_b64 s[6:7], s[6:7]
	v_mov_b32_e32 v14, s10
	s_xor_b64 exec, exec, s[6:7]
	s_cbranch_execnz .LBB16_2856
.LBB16_806:
	s_or_b64 exec, exec, s[6:7]
	s_and_saveexec_b64 s[6:7], s[4:5]
	s_cbranch_execz .LBB16_808
.LBB16_807:
	v_and_b32_e32 v14, 7, v11
	v_ffbh_u32_e32 v21, v14
	v_min_u32_e32 v21, 32, v21
	v_lshrrev_b16_e32 v20, 3, v11
	v_subrev_u32_e32 v22, 28, v21
	v_and_b32_e32 v20, 15, v20
	v_lshlrev_b32_e32 v22, v22, v11
	v_sub_u32_e32 v21, 29, v21
	v_and_b32_e32 v22, 7, v22
	v_cmp_eq_u16_e32 vcc, 0, v20
	v_cndmask_b32_e32 v14, v14, v22, vcc
	v_cndmask_b32_e32 v20, v20, v21, vcc
	v_lshlrev_b32_e32 v21, 24, v11
	v_mov_b32_e32 v22, 0x3b800000
	v_lshlrev_b32_e32 v14, 20, v14
	v_and_b32_e32 v21, 0x80000000, v21
	v_lshl_add_u32 v20, v20, 23, v22
	v_or3_b32 v14, v21, v20, v14
.LBB16_808:
	s_or_b64 exec, exec, s[6:7]
	s_nop 0
	v_mfma_f32_16x16x4f32 a[0:3], v10, v14, a[0:3]
	v_lshrrev_b32_e32 v14, 8, v15
	s_movk_i32 s4, 0x7f
	v_cmp_gt_i16_sdwa s[6:7], v14, s4 src0_sel:BYTE_0 src1_sel:DWORD
	s_mov_b64 s[4:5], 0
                                        ; implicit-def: $sgpr10
	s_and_saveexec_b64 s[8:9], s[6:7]
	s_xor_b64 s[6:7], exec, s[8:9]
	s_cbranch_execnz .LBB16_2857
; %bb.809:
	s_or_saveexec_b64 s[6:7], s[6:7]
	v_mov_b32_e32 v10, s10
	s_xor_b64 exec, exec, s[6:7]
	s_cbranch_execnz .LBB16_2860
.LBB16_810:
	s_or_b64 exec, exec, s[6:7]
	s_and_saveexec_b64 s[6:7], s[4:5]
	s_cbranch_execz .LBB16_812
.LBB16_811:
	v_bfe_u32 v10, v15, 8, 3
	v_ffbh_u32_e32 v21, v10
	v_min_u32_e32 v21, 32, v21
	v_lshrrev_b16_e32 v20, 3, v14
	v_subrev_u32_e32 v22, 28, v21
	v_and_b32_e32 v20, 15, v20
	v_lshlrev_b32_e32 v14, v22, v14
	v_sub_u32_e32 v21, 29, v21
	v_and_b32_e32 v14, 7, v14
	v_cmp_eq_u16_e32 vcc, 0, v20
	v_cndmask_b32_e32 v10, v10, v14, vcc
	v_cndmask_b32_e32 v14, v20, v21, vcc
	v_lshlrev_b32_e32 v20, 16, v15
	v_mov_b32_e32 v21, 0x3b800000
	v_lshlrev_b32_e32 v10, 20, v10
	v_and_b32_e32 v20, 0x80000000, v20
	v_lshl_add_u32 v14, v14, 23, v21
	v_or3_b32 v10, v20, v14, v10
.LBB16_812:
	s_or_b64 exec, exec, s[6:7]
	v_lshrrev_b32_e32 v14, 8, v11
	s_movk_i32 s4, 0x7f
	v_cmp_gt_i16_sdwa s[6:7], v14, s4 src0_sel:BYTE_0 src1_sel:DWORD
	s_mov_b64 s[4:5], 0
                                        ; implicit-def: $sgpr10
	s_and_saveexec_b64 s[8:9], s[6:7]
	s_xor_b64 s[6:7], exec, s[8:9]
	s_cbranch_execnz .LBB16_2861
; %bb.813:
	s_or_saveexec_b64 s[6:7], s[6:7]
	v_mov_b32_e32 v20, s10
	s_xor_b64 exec, exec, s[6:7]
	s_cbranch_execnz .LBB16_2864
.LBB16_814:
	s_or_b64 exec, exec, s[6:7]
	s_and_saveexec_b64 s[6:7], s[4:5]
	s_cbranch_execz .LBB16_816
.LBB16_815:
	v_bfe_u32 v20, v11, 8, 3
	v_ffbh_u32_e32 v22, v20
	v_min_u32_e32 v22, 32, v22
	v_lshrrev_b16_e32 v21, 3, v14
	v_subrev_u32_e32 v23, 28, v22
	v_and_b32_e32 v21, 15, v21
	v_lshlrev_b32_e32 v14, v23, v14
	v_sub_u32_e32 v22, 29, v22
	v_and_b32_e32 v14, 7, v14
	v_cmp_eq_u16_e32 vcc, 0, v21
	v_cndmask_b32_e32 v14, v20, v14, vcc
	v_cndmask_b32_e32 v20, v21, v22, vcc
	v_lshlrev_b32_e32 v21, 16, v11
	v_mov_b32_e32 v22, 0x3b800000
	v_lshlrev_b32_e32 v14, 20, v14
	v_and_b32_e32 v21, 0x80000000, v21
	v_lshl_add_u32 v20, v20, 23, v22
	v_or3_b32 v20, v21, v20, v14
.LBB16_816:
	s_or_b64 exec, exec, s[6:7]
	s_nop 0
	v_mfma_f32_16x16x4f32 a[0:3], v10, v20, a[0:3]
	s_movk_i32 s4, 0xff
	v_and_b32_sdwa v14, v15, s4 dst_sel:DWORD dst_unused:UNUSED_PAD src0_sel:WORD_1 src1_sel:DWORD
	s_movk_i32 s4, 0x7f
	v_cmp_lt_i16_e32 vcc, s4, v14
	s_mov_b64 s[4:5], 0
                                        ; implicit-def: $sgpr10
	s_and_saveexec_b64 s[6:7], vcc
	s_xor_b64 s[6:7], exec, s[6:7]
	s_cbranch_execnz .LBB16_2865
; %bb.817:
	s_or_saveexec_b64 s[6:7], s[6:7]
	v_mov_b32_e32 v10, s10
	s_xor_b64 exec, exec, s[6:7]
	s_cbranch_execnz .LBB16_2868
.LBB16_818:
	s_or_b64 exec, exec, s[6:7]
	s_and_saveexec_b64 s[6:7], s[4:5]
	s_cbranch_execz .LBB16_820
.LBB16_819:
	v_bfe_u32 v10, v15, 16, 3
	v_ffbh_u32_e32 v21, v10
	v_min_u32_e32 v21, 32, v21
	v_lshrrev_b32_e32 v14, 19, v15
	v_subrev_u32_e32 v22, 28, v21
	v_and_b32_e32 v14, 15, v14
	v_lshlrev_b32_sdwa v22, v22, v15 dst_sel:DWORD dst_unused:UNUSED_PAD src0_sel:DWORD src1_sel:WORD_1
	v_bfe_u32 v20, v15, 19, 4
	v_sub_u32_e32 v21, 29, v21
	v_and_b32_e32 v22, 7, v22
	v_cmp_eq_u16_e32 vcc, 0, v14
	v_cndmask_b32_e32 v10, v10, v22, vcc
	v_cndmask_b32_e32 v14, v20, v21, vcc
	v_lshlrev_b32_e32 v20, 8, v15
	v_mov_b32_e32 v21, 0x3b800000
	v_lshlrev_b32_e32 v10, 20, v10
	v_and_b32_e32 v20, 0x80000000, v20
	v_lshl_add_u32 v14, v14, 23, v21
	v_or3_b32 v10, v20, v14, v10
.LBB16_820:
	s_or_b64 exec, exec, s[6:7]
	s_movk_i32 s4, 0xff
	v_and_b32_sdwa v14, v11, s4 dst_sel:DWORD dst_unused:UNUSED_PAD src0_sel:WORD_1 src1_sel:DWORD
	s_movk_i32 s4, 0x7f
	v_cmp_lt_i16_e32 vcc, s4, v14
	s_mov_b64 s[4:5], 0
                                        ; implicit-def: $sgpr10
	s_and_saveexec_b64 s[6:7], vcc
	s_xor_b64 s[6:7], exec, s[6:7]
	s_cbranch_execnz .LBB16_2869
; %bb.821:
	s_or_saveexec_b64 s[6:7], s[6:7]
	v_mov_b32_e32 v20, s10
	s_xor_b64 exec, exec, s[6:7]
	s_cbranch_execnz .LBB16_2872
.LBB16_822:
	s_or_b64 exec, exec, s[6:7]
	s_and_saveexec_b64 s[6:7], s[4:5]
	s_cbranch_execz .LBB16_824
.LBB16_823:
	v_bfe_u32 v14, v11, 16, 3
	v_ffbh_u32_e32 v22, v14
	v_min_u32_e32 v22, 32, v22
	v_lshrrev_b32_e32 v20, 19, v11
	v_subrev_u32_e32 v23, 28, v22
	v_and_b32_e32 v20, 15, v20
	v_lshlrev_b32_sdwa v23, v23, v11 dst_sel:DWORD dst_unused:UNUSED_PAD src0_sel:DWORD src1_sel:WORD_1
	v_bfe_u32 v21, v11, 19, 4
	v_sub_u32_e32 v22, 29, v22
	v_and_b32_e32 v23, 7, v23
	v_cmp_eq_u16_e32 vcc, 0, v20
	v_cndmask_b32_e32 v14, v14, v23, vcc
	v_cndmask_b32_e32 v20, v21, v22, vcc
	v_lshlrev_b32_e32 v21, 8, v11
	v_mov_b32_e32 v22, 0x3b800000
	v_lshlrev_b32_e32 v14, 20, v14
	v_and_b32_e32 v21, 0x80000000, v21
	v_lshl_add_u32 v20, v20, 23, v22
	v_or3_b32 v20, v21, v20, v14
.LBB16_824:
	s_or_b64 exec, exec, s[6:7]
	s_nop 0
	v_mfma_f32_16x16x4f32 a[0:3], v10, v20, a[0:3]
	s_movk_i32 s4, 0x7f
	v_cmp_gt_i16_sdwa s[6:7], v15, s4 src0_sel:BYTE_3 src1_sel:DWORD
	s_mov_b64 s[4:5], 0
                                        ; implicit-def: $sgpr10
	s_and_saveexec_b64 s[8:9], s[6:7]
	s_xor_b64 s[6:7], exec, s[8:9]
	s_cbranch_execnz .LBB16_2873
; %bb.825:
	s_or_saveexec_b64 s[6:7], s[6:7]
	v_mov_b32_e32 v10, s10
	s_xor_b64 exec, exec, s[6:7]
	s_cbranch_execnz .LBB16_2876
.LBB16_826:
	s_or_b64 exec, exec, s[6:7]
	s_and_saveexec_b64 s[6:7], s[4:5]
	s_cbranch_execz .LBB16_828
.LBB16_827:
	v_bfe_u32 v10, v15, 24, 3
	v_ffbh_u32_e32 v22, v10
	v_min_u32_e32 v22, 32, v22
	v_lshrrev_b32_e32 v20, 27, v15
	v_subrev_u32_e32 v23, 28, v22
	v_and_b32_e32 v14, 0x80000000, v15
	v_and_b32_e32 v20, 15, v20
	v_bfe_u32 v21, v15, 27, 4
	v_lshlrev_b32_sdwa v15, v23, v15 dst_sel:DWORD dst_unused:UNUSED_PAD src0_sel:DWORD src1_sel:BYTE_3
	v_sub_u32_e32 v22, 29, v22
	v_and_b32_e32 v15, 7, v15
	v_cmp_eq_u16_e32 vcc, 0, v20
	v_cndmask_b32_e32 v10, v10, v15, vcc
	v_cndmask_b32_e32 v15, v21, v22, vcc
	v_mov_b32_e32 v20, 0x3b800000
	v_lshlrev_b32_e32 v10, 20, v10
	v_lshl_add_u32 v15, v15, 23, v20
	v_or3_b32 v10, v14, v15, v10
.LBB16_828:
	s_or_b64 exec, exec, s[6:7]
	s_movk_i32 s4, 0x7f
	v_cmp_gt_i16_sdwa s[6:7], v11, s4 src0_sel:BYTE_3 src1_sel:DWORD
	s_mov_b64 s[4:5], 0
                                        ; implicit-def: $sgpr10
	s_and_saveexec_b64 s[8:9], s[6:7]
	s_xor_b64 s[6:7], exec, s[8:9]
	s_cbranch_execnz .LBB16_2877
; %bb.829:
	s_or_saveexec_b64 s[6:7], s[6:7]
	v_mov_b32_e32 v14, s10
	s_xor_b64 exec, exec, s[6:7]
	s_cbranch_execnz .LBB16_2880
.LBB16_830:
	s_or_b64 exec, exec, s[6:7]
	s_and_saveexec_b64 s[6:7], s[4:5]
	s_cbranch_execz .LBB16_832
.LBB16_831:
	v_bfe_u32 v14, v11, 24, 3
	v_ffbh_u32_e32 v22, v14
	v_min_u32_e32 v22, 32, v22
	v_lshrrev_b32_e32 v20, 27, v11
	v_subrev_u32_e32 v23, 28, v22
	v_and_b32_e32 v15, 0x80000000, v11
	v_and_b32_e32 v20, 15, v20
	v_bfe_u32 v21, v11, 27, 4
	v_lshlrev_b32_sdwa v11, v23, v11 dst_sel:DWORD dst_unused:UNUSED_PAD src0_sel:DWORD src1_sel:BYTE_3
	v_sub_u32_e32 v22, 29, v22
	v_and_b32_e32 v11, 7, v11
	v_cmp_eq_u16_e32 vcc, 0, v20
	v_cndmask_b32_e32 v11, v14, v11, vcc
	v_cndmask_b32_e32 v14, v21, v22, vcc
	v_mov_b32_e32 v20, 0x3b800000
	v_lshlrev_b32_e32 v11, 20, v11
	v_lshl_add_u32 v14, v14, 23, v20
	v_or3_b32 v14, v15, v14, v11
.LBB16_832:
	s_or_b64 exec, exec, s[6:7]
	s_nop 0
	v_mfma_f32_16x16x4f32 a[0:3], v10, v14, a[0:3]
	s_movk_i32 s4, 0x7f
	v_cmp_gt_i16_sdwa s[6:7], v16, s4 src0_sel:BYTE_0 src1_sel:DWORD
	s_mov_b64 s[4:5], 0
                                        ; implicit-def: $sgpr10
	s_and_saveexec_b64 s[8:9], s[6:7]
	s_xor_b64 s[6:7], exec, s[8:9]
	s_cbranch_execnz .LBB16_2881
; %bb.833:
	s_or_saveexec_b64 s[6:7], s[6:7]
	v_mov_b32_e32 v10, s10
	s_xor_b64 exec, exec, s[6:7]
	s_cbranch_execnz .LBB16_2884
.LBB16_834:
	s_or_b64 exec, exec, s[6:7]
	s_and_saveexec_b64 s[6:7], s[4:5]
	s_cbranch_execz .LBB16_836
.LBB16_835:
	v_and_b32_e32 v10, 7, v16
	v_ffbh_u32_e32 v14, v10
	v_min_u32_e32 v14, 32, v14
	v_lshrrev_b16_e32 v11, 3, v16
	v_subrev_u32_e32 v15, 28, v14
	v_and_b32_e32 v11, 15, v11
	v_lshlrev_b32_e32 v15, v15, v16
	v_sub_u32_e32 v14, 29, v14
	v_and_b32_e32 v15, 7, v15
	v_cmp_eq_u16_e32 vcc, 0, v11
	v_cndmask_b32_e32 v10, v10, v15, vcc
	v_cndmask_b32_e32 v11, v11, v14, vcc
	v_lshlrev_b32_e32 v14, 24, v16
	v_mov_b32_e32 v15, 0x3b800000
	v_lshlrev_b32_e32 v10, 20, v10
	v_and_b32_e32 v14, 0x80000000, v14
	v_lshl_add_u32 v11, v11, 23, v15
	v_or3_b32 v10, v14, v11, v10
.LBB16_836:
	s_or_b64 exec, exec, s[6:7]
	s_movk_i32 s4, 0x7f
	v_cmp_gt_i16_sdwa s[6:7], v12, s4 src0_sel:BYTE_0 src1_sel:DWORD
	s_mov_b64 s[4:5], 0
                                        ; implicit-def: $sgpr10
	s_and_saveexec_b64 s[8:9], s[6:7]
	s_xor_b64 s[6:7], exec, s[8:9]
	s_cbranch_execnz .LBB16_2885
; %bb.837:
	s_or_saveexec_b64 s[6:7], s[6:7]
	v_mov_b32_e32 v11, s10
	s_xor_b64 exec, exec, s[6:7]
	s_cbranch_execnz .LBB16_2888
.LBB16_838:
	s_or_b64 exec, exec, s[6:7]
	s_and_saveexec_b64 s[6:7], s[4:5]
	s_cbranch_execz .LBB16_840
.LBB16_839:
	v_and_b32_e32 v11, 7, v12
	v_ffbh_u32_e32 v15, v11
	v_min_u32_e32 v15, 32, v15
	v_lshrrev_b16_e32 v14, 3, v12
	v_subrev_u32_e32 v20, 28, v15
	v_and_b32_e32 v14, 15, v14
	v_lshlrev_b32_e32 v20, v20, v12
	v_sub_u32_e32 v15, 29, v15
	v_and_b32_e32 v20, 7, v20
	v_cmp_eq_u16_e32 vcc, 0, v14
	v_cndmask_b32_e32 v11, v11, v20, vcc
	v_cndmask_b32_e32 v14, v14, v15, vcc
	v_lshlrev_b32_e32 v15, 24, v12
	v_mov_b32_e32 v20, 0x3b800000
	v_lshlrev_b32_e32 v11, 20, v11
	v_and_b32_e32 v15, 0x80000000, v15
	v_lshl_add_u32 v14, v14, 23, v20
	v_or3_b32 v11, v15, v14, v11
.LBB16_840:
	s_or_b64 exec, exec, s[6:7]
	s_nop 0
	v_mfma_f32_16x16x4f32 a[0:3], v10, v11, a[0:3]
	v_lshrrev_b32_e32 v11, 8, v16
	s_movk_i32 s4, 0x7f
	v_cmp_gt_i16_sdwa s[6:7], v11, s4 src0_sel:BYTE_0 src1_sel:DWORD
	s_mov_b64 s[4:5], 0
                                        ; implicit-def: $sgpr10
	s_and_saveexec_b64 s[8:9], s[6:7]
	s_xor_b64 s[6:7], exec, s[8:9]
	s_cbranch_execnz .LBB16_2889
; %bb.841:
	s_or_saveexec_b64 s[6:7], s[6:7]
	v_mov_b32_e32 v10, s10
	s_xor_b64 exec, exec, s[6:7]
	s_cbranch_execnz .LBB16_2892
.LBB16_842:
	s_or_b64 exec, exec, s[6:7]
	s_and_saveexec_b64 s[6:7], s[4:5]
	s_cbranch_execz .LBB16_844
.LBB16_843:
	v_bfe_u32 v10, v16, 8, 3
	v_ffbh_u32_e32 v15, v10
	v_min_u32_e32 v15, 32, v15
	v_lshrrev_b16_e32 v14, 3, v11
	v_subrev_u32_e32 v20, 28, v15
	v_and_b32_e32 v14, 15, v14
	v_lshlrev_b32_e32 v11, v20, v11
	v_sub_u32_e32 v15, 29, v15
	v_and_b32_e32 v11, 7, v11
	v_cmp_eq_u16_e32 vcc, 0, v14
	v_cndmask_b32_e32 v10, v10, v11, vcc
	v_cndmask_b32_e32 v11, v14, v15, vcc
	v_lshlrev_b32_e32 v14, 16, v16
	v_mov_b32_e32 v15, 0x3b800000
	v_lshlrev_b32_e32 v10, 20, v10
	v_and_b32_e32 v14, 0x80000000, v14
	v_lshl_add_u32 v11, v11, 23, v15
	v_or3_b32 v10, v14, v11, v10
.LBB16_844:
	s_or_b64 exec, exec, s[6:7]
	v_lshrrev_b32_e32 v11, 8, v12
	s_movk_i32 s4, 0x7f
	v_cmp_gt_i16_sdwa s[6:7], v11, s4 src0_sel:BYTE_0 src1_sel:DWORD
	s_mov_b64 s[4:5], 0
                                        ; implicit-def: $sgpr10
	s_and_saveexec_b64 s[8:9], s[6:7]
	s_xor_b64 s[6:7], exec, s[8:9]
	s_cbranch_execnz .LBB16_2893
; %bb.845:
	s_or_saveexec_b64 s[6:7], s[6:7]
	v_mov_b32_e32 v14, s10
	s_xor_b64 exec, exec, s[6:7]
	s_cbranch_execnz .LBB16_2896
.LBB16_846:
	s_or_b64 exec, exec, s[6:7]
	s_and_saveexec_b64 s[6:7], s[4:5]
	s_cbranch_execz .LBB16_848
.LBB16_847:
	v_bfe_u32 v14, v12, 8, 3
	v_ffbh_u32_e32 v20, v14
	v_min_u32_e32 v20, 32, v20
	v_lshrrev_b16_e32 v15, 3, v11
	v_subrev_u32_e32 v21, 28, v20
	v_and_b32_e32 v15, 15, v15
	v_lshlrev_b32_e32 v11, v21, v11
	v_sub_u32_e32 v20, 29, v20
	v_and_b32_e32 v11, 7, v11
	v_cmp_eq_u16_e32 vcc, 0, v15
	v_cndmask_b32_e32 v11, v14, v11, vcc
	v_cndmask_b32_e32 v14, v15, v20, vcc
	v_lshlrev_b32_e32 v15, 16, v12
	v_mov_b32_e32 v20, 0x3b800000
	v_lshlrev_b32_e32 v11, 20, v11
	v_and_b32_e32 v15, 0x80000000, v15
	v_lshl_add_u32 v14, v14, 23, v20
	v_or3_b32 v14, v15, v14, v11
.LBB16_848:
	s_or_b64 exec, exec, s[6:7]
	s_nop 0
	v_mfma_f32_16x16x4f32 a[0:3], v10, v14, a[0:3]
	s_movk_i32 s4, 0xff
	v_and_b32_sdwa v11, v16, s4 dst_sel:DWORD dst_unused:UNUSED_PAD src0_sel:WORD_1 src1_sel:DWORD
	s_movk_i32 s4, 0x7f
	v_cmp_lt_i16_e32 vcc, s4, v11
	s_mov_b64 s[4:5], 0
                                        ; implicit-def: $sgpr10
	s_and_saveexec_b64 s[6:7], vcc
	s_xor_b64 s[6:7], exec, s[6:7]
	s_cbranch_execnz .LBB16_2897
; %bb.849:
	s_or_saveexec_b64 s[6:7], s[6:7]
	v_mov_b32_e32 v10, s10
	s_xor_b64 exec, exec, s[6:7]
	s_cbranch_execnz .LBB16_2900
.LBB16_850:
	s_or_b64 exec, exec, s[6:7]
	s_and_saveexec_b64 s[6:7], s[4:5]
	s_cbranch_execz .LBB16_852
.LBB16_851:
	v_bfe_u32 v10, v16, 16, 3
	v_ffbh_u32_e32 v15, v10
	v_min_u32_e32 v15, 32, v15
	v_lshrrev_b32_e32 v11, 19, v16
	v_subrev_u32_e32 v20, 28, v15
	v_and_b32_e32 v11, 15, v11
	v_lshlrev_b32_sdwa v20, v20, v16 dst_sel:DWORD dst_unused:UNUSED_PAD src0_sel:DWORD src1_sel:WORD_1
	v_bfe_u32 v14, v16, 19, 4
	v_sub_u32_e32 v15, 29, v15
	v_and_b32_e32 v20, 7, v20
	v_cmp_eq_u16_e32 vcc, 0, v11
	v_cndmask_b32_e32 v10, v10, v20, vcc
	v_cndmask_b32_e32 v11, v14, v15, vcc
	v_lshlrev_b32_e32 v14, 8, v16
	v_mov_b32_e32 v15, 0x3b800000
	v_lshlrev_b32_e32 v10, 20, v10
	v_and_b32_e32 v14, 0x80000000, v14
	v_lshl_add_u32 v11, v11, 23, v15
	v_or3_b32 v10, v14, v11, v10
.LBB16_852:
	s_or_b64 exec, exec, s[6:7]
	s_movk_i32 s4, 0xff
	v_and_b32_sdwa v11, v12, s4 dst_sel:DWORD dst_unused:UNUSED_PAD src0_sel:WORD_1 src1_sel:DWORD
	s_movk_i32 s4, 0x7f
	v_cmp_lt_i16_e32 vcc, s4, v11
	s_mov_b64 s[4:5], 0
                                        ; implicit-def: $sgpr10
	s_and_saveexec_b64 s[6:7], vcc
	s_xor_b64 s[6:7], exec, s[6:7]
	s_cbranch_execnz .LBB16_2901
; %bb.853:
	s_or_saveexec_b64 s[6:7], s[6:7]
	v_mov_b32_e32 v14, s10
	s_xor_b64 exec, exec, s[6:7]
	s_cbranch_execnz .LBB16_2904
.LBB16_854:
	s_or_b64 exec, exec, s[6:7]
	s_and_saveexec_b64 s[6:7], s[4:5]
	s_cbranch_execz .LBB16_856
.LBB16_855:
	v_bfe_u32 v11, v12, 16, 3
	v_ffbh_u32_e32 v20, v11
	v_min_u32_e32 v20, 32, v20
	v_lshrrev_b32_e32 v14, 19, v12
	v_subrev_u32_e32 v21, 28, v20
	v_and_b32_e32 v14, 15, v14
	v_lshlrev_b32_sdwa v21, v21, v12 dst_sel:DWORD dst_unused:UNUSED_PAD src0_sel:DWORD src1_sel:WORD_1
	v_bfe_u32 v15, v12, 19, 4
	v_sub_u32_e32 v20, 29, v20
	v_and_b32_e32 v21, 7, v21
	v_cmp_eq_u16_e32 vcc, 0, v14
	v_cndmask_b32_e32 v11, v11, v21, vcc
	v_cndmask_b32_e32 v14, v15, v20, vcc
	v_lshlrev_b32_e32 v15, 8, v12
	v_mov_b32_e32 v20, 0x3b800000
	v_lshlrev_b32_e32 v11, 20, v11
	v_and_b32_e32 v15, 0x80000000, v15
	v_lshl_add_u32 v14, v14, 23, v20
	v_or3_b32 v14, v15, v14, v11
.LBB16_856:
	s_or_b64 exec, exec, s[6:7]
	s_nop 0
	v_mfma_f32_16x16x4f32 a[0:3], v10, v14, a[0:3]
	s_movk_i32 s4, 0x7f
	v_cmp_gt_i16_sdwa s[6:7], v16, s4 src0_sel:BYTE_3 src1_sel:DWORD
	s_mov_b64 s[4:5], 0
                                        ; implicit-def: $sgpr10
	s_and_saveexec_b64 s[8:9], s[6:7]
	s_xor_b64 s[6:7], exec, s[8:9]
	s_cbranch_execnz .LBB16_2905
; %bb.857:
	s_or_saveexec_b64 s[6:7], s[6:7]
	v_mov_b32_e32 v10, s10
	s_xor_b64 exec, exec, s[6:7]
	s_cbranch_execnz .LBB16_2908
.LBB16_858:
	s_or_b64 exec, exec, s[6:7]
	s_and_saveexec_b64 s[6:7], s[4:5]
	s_cbranch_execz .LBB16_860
.LBB16_859:
	v_bfe_u32 v10, v16, 24, 3
	v_ffbh_u32_e32 v20, v10
	v_min_u32_e32 v20, 32, v20
	v_lshrrev_b32_e32 v14, 27, v16
	v_subrev_u32_e32 v21, 28, v20
	v_and_b32_e32 v11, 0x80000000, v16
	v_and_b32_e32 v14, 15, v14
	v_bfe_u32 v15, v16, 27, 4
	v_lshlrev_b32_sdwa v16, v21, v16 dst_sel:DWORD dst_unused:UNUSED_PAD src0_sel:DWORD src1_sel:BYTE_3
	v_sub_u32_e32 v20, 29, v20
	v_and_b32_e32 v16, 7, v16
	v_cmp_eq_u16_e32 vcc, 0, v14
	v_cndmask_b32_e32 v10, v10, v16, vcc
	v_cndmask_b32_e32 v14, v15, v20, vcc
	v_mov_b32_e32 v15, 0x3b800000
	v_lshlrev_b32_e32 v10, 20, v10
	v_lshl_add_u32 v14, v14, 23, v15
	v_or3_b32 v10, v11, v14, v10
.LBB16_860:
	s_or_b64 exec, exec, s[6:7]
	s_movk_i32 s4, 0x7f
	v_cmp_gt_i16_sdwa s[6:7], v12, s4 src0_sel:BYTE_3 src1_sel:DWORD
	s_mov_b64 s[4:5], 0
                                        ; implicit-def: $sgpr10
	s_and_saveexec_b64 s[8:9], s[6:7]
	s_xor_b64 s[6:7], exec, s[8:9]
	s_cbranch_execnz .LBB16_2909
; %bb.861:
	s_or_saveexec_b64 s[6:7], s[6:7]
	v_mov_b32_e32 v11, s10
	s_xor_b64 exec, exec, s[6:7]
	s_cbranch_execnz .LBB16_2912
.LBB16_862:
	s_or_b64 exec, exec, s[6:7]
	s_and_saveexec_b64 s[6:7], s[4:5]
	s_cbranch_execz .LBB16_864
.LBB16_863:
	v_bfe_u32 v11, v12, 24, 3
	v_ffbh_u32_e32 v20, v11
	v_min_u32_e32 v20, 32, v20
	v_lshrrev_b32_e32 v15, 27, v12
	v_subrev_u32_e32 v21, 28, v20
	v_and_b32_e32 v14, 0x80000000, v12
	v_and_b32_e32 v15, 15, v15
	v_bfe_u32 v16, v12, 27, 4
	v_lshlrev_b32_sdwa v12, v21, v12 dst_sel:DWORD dst_unused:UNUSED_PAD src0_sel:DWORD src1_sel:BYTE_3
	v_sub_u32_e32 v20, 29, v20
	v_and_b32_e32 v12, 7, v12
	v_cmp_eq_u16_e32 vcc, 0, v15
	v_cndmask_b32_e32 v11, v11, v12, vcc
	v_cndmask_b32_e32 v12, v16, v20, vcc
	v_mov_b32_e32 v15, 0x3b800000
	v_lshlrev_b32_e32 v11, 20, v11
	v_lshl_add_u32 v12, v12, 23, v15
	v_or3_b32 v11, v14, v12, v11
.LBB16_864:
	s_or_b64 exec, exec, s[6:7]
	s_nop 0
	v_mfma_f32_16x16x4f32 a[0:3], v10, v11, a[0:3]
	s_movk_i32 s4, 0x7f
	v_cmp_gt_i16_sdwa s[6:7], v17, s4 src0_sel:BYTE_0 src1_sel:DWORD
	s_mov_b64 s[4:5], 0
                                        ; implicit-def: $sgpr10
	s_and_saveexec_b64 s[8:9], s[6:7]
	s_xor_b64 s[6:7], exec, s[8:9]
	s_cbranch_execnz .LBB16_2913
; %bb.865:
	s_or_saveexec_b64 s[6:7], s[6:7]
	v_mov_b32_e32 v10, s10
	s_xor_b64 exec, exec, s[6:7]
	s_cbranch_execnz .LBB16_2916
.LBB16_866:
	s_or_b64 exec, exec, s[6:7]
	s_and_saveexec_b64 s[6:7], s[4:5]
	s_cbranch_execz .LBB16_868
.LBB16_867:
	v_and_b32_e32 v10, 7, v17
	v_ffbh_u32_e32 v12, v10
	v_min_u32_e32 v12, 32, v12
	v_lshrrev_b16_e32 v11, 3, v17
	v_subrev_u32_e32 v14, 28, v12
	v_and_b32_e32 v11, 15, v11
	v_lshlrev_b32_e32 v14, v14, v17
	v_sub_u32_e32 v12, 29, v12
	v_and_b32_e32 v14, 7, v14
	v_cmp_eq_u16_e32 vcc, 0, v11
	v_cndmask_b32_e32 v10, v10, v14, vcc
	v_cndmask_b32_e32 v11, v11, v12, vcc
	v_lshlrev_b32_e32 v12, 24, v17
	v_mov_b32_e32 v14, 0x3b800000
	v_lshlrev_b32_e32 v10, 20, v10
	v_and_b32_e32 v12, 0x80000000, v12
	v_lshl_add_u32 v11, v11, 23, v14
	v_or3_b32 v10, v12, v11, v10
.LBB16_868:
	s_or_b64 exec, exec, s[6:7]
	s_movk_i32 s4, 0x7f
	v_cmp_gt_i16_sdwa s[6:7], v13, s4 src0_sel:BYTE_0 src1_sel:DWORD
	s_mov_b64 s[4:5], 0
                                        ; implicit-def: $sgpr10
	s_and_saveexec_b64 s[8:9], s[6:7]
	s_xor_b64 s[6:7], exec, s[8:9]
	s_cbranch_execnz .LBB16_2917
; %bb.869:
	s_or_saveexec_b64 s[6:7], s[6:7]
	v_mov_b32_e32 v11, s10
	s_xor_b64 exec, exec, s[6:7]
	s_cbranch_execnz .LBB16_2920
.LBB16_870:
	s_or_b64 exec, exec, s[6:7]
	s_and_saveexec_b64 s[6:7], s[4:5]
	s_cbranch_execz .LBB16_872
.LBB16_871:
	v_and_b32_e32 v11, 7, v13
	v_ffbh_u32_e32 v14, v11
	v_min_u32_e32 v14, 32, v14
	v_lshrrev_b16_e32 v12, 3, v13
	v_subrev_u32_e32 v15, 28, v14
	v_and_b32_e32 v12, 15, v12
	v_lshlrev_b32_e32 v15, v15, v13
	v_sub_u32_e32 v14, 29, v14
	v_and_b32_e32 v15, 7, v15
	v_cmp_eq_u16_e32 vcc, 0, v12
	v_cndmask_b32_e32 v11, v11, v15, vcc
	v_cndmask_b32_e32 v12, v12, v14, vcc
	v_lshlrev_b32_e32 v14, 24, v13
	v_mov_b32_e32 v15, 0x3b800000
	v_lshlrev_b32_e32 v11, 20, v11
	v_and_b32_e32 v14, 0x80000000, v14
	v_lshl_add_u32 v12, v12, 23, v15
	v_or3_b32 v11, v14, v12, v11
.LBB16_872:
	s_or_b64 exec, exec, s[6:7]
	s_nop 0
	v_mfma_f32_16x16x4f32 a[0:3], v10, v11, a[0:3]
	v_lshrrev_b32_e32 v11, 8, v17
	s_movk_i32 s4, 0x7f
	v_cmp_gt_i16_sdwa s[6:7], v11, s4 src0_sel:BYTE_0 src1_sel:DWORD
	s_mov_b64 s[4:5], 0
                                        ; implicit-def: $sgpr10
	s_and_saveexec_b64 s[8:9], s[6:7]
	s_xor_b64 s[6:7], exec, s[8:9]
	s_cbranch_execnz .LBB16_2921
; %bb.873:
	s_or_saveexec_b64 s[6:7], s[6:7]
	v_mov_b32_e32 v10, s10
	s_xor_b64 exec, exec, s[6:7]
	s_cbranch_execnz .LBB16_2924
.LBB16_874:
	s_or_b64 exec, exec, s[6:7]
	s_and_saveexec_b64 s[6:7], s[4:5]
	s_cbranch_execz .LBB16_876
.LBB16_875:
	v_bfe_u32 v10, v17, 8, 3
	v_ffbh_u32_e32 v14, v10
	v_min_u32_e32 v14, 32, v14
	v_lshrrev_b16_e32 v12, 3, v11
	v_subrev_u32_e32 v15, 28, v14
	v_and_b32_e32 v12, 15, v12
	v_lshlrev_b32_e32 v11, v15, v11
	v_sub_u32_e32 v14, 29, v14
	v_and_b32_e32 v11, 7, v11
	v_cmp_eq_u16_e32 vcc, 0, v12
	v_cndmask_b32_e32 v10, v10, v11, vcc
	v_cndmask_b32_e32 v11, v12, v14, vcc
	v_lshlrev_b32_e32 v12, 16, v17
	v_mov_b32_e32 v14, 0x3b800000
	v_lshlrev_b32_e32 v10, 20, v10
	v_and_b32_e32 v12, 0x80000000, v12
	v_lshl_add_u32 v11, v11, 23, v14
	v_or3_b32 v10, v12, v11, v10
.LBB16_876:
	s_or_b64 exec, exec, s[6:7]
	v_lshrrev_b32_e32 v11, 8, v13
	s_movk_i32 s4, 0x7f
	v_cmp_gt_i16_sdwa s[6:7], v11, s4 src0_sel:BYTE_0 src1_sel:DWORD
	s_mov_b64 s[4:5], 0
                                        ; implicit-def: $sgpr10
	s_and_saveexec_b64 s[8:9], s[6:7]
	s_xor_b64 s[6:7], exec, s[8:9]
	s_cbranch_execnz .LBB16_2925
; %bb.877:
	s_or_saveexec_b64 s[6:7], s[6:7]
	v_mov_b32_e32 v12, s10
	s_xor_b64 exec, exec, s[6:7]
	s_cbranch_execnz .LBB16_2928
.LBB16_878:
	s_or_b64 exec, exec, s[6:7]
	s_and_saveexec_b64 s[6:7], s[4:5]
	s_cbranch_execz .LBB16_880
.LBB16_879:
	v_bfe_u32 v12, v13, 8, 3
	v_ffbh_u32_e32 v15, v12
	v_min_u32_e32 v15, 32, v15
	v_lshrrev_b16_e32 v14, 3, v11
	v_subrev_u32_e32 v16, 28, v15
	v_and_b32_e32 v14, 15, v14
	v_lshlrev_b32_e32 v11, v16, v11
	v_sub_u32_e32 v15, 29, v15
	v_and_b32_e32 v11, 7, v11
	v_cmp_eq_u16_e32 vcc, 0, v14
	v_cndmask_b32_e32 v11, v12, v11, vcc
	v_cndmask_b32_e32 v12, v14, v15, vcc
	v_lshlrev_b32_e32 v14, 16, v13
	v_mov_b32_e32 v15, 0x3b800000
	v_lshlrev_b32_e32 v11, 20, v11
	v_and_b32_e32 v14, 0x80000000, v14
	v_lshl_add_u32 v12, v12, 23, v15
	v_or3_b32 v12, v14, v12, v11
.LBB16_880:
	s_or_b64 exec, exec, s[6:7]
	s_nop 0
	v_mfma_f32_16x16x4f32 a[0:3], v10, v12, a[0:3]
	s_movk_i32 s4, 0xff
	v_and_b32_sdwa v11, v17, s4 dst_sel:DWORD dst_unused:UNUSED_PAD src0_sel:WORD_1 src1_sel:DWORD
	s_movk_i32 s4, 0x7f
	v_cmp_lt_i16_e32 vcc, s4, v11
	s_mov_b64 s[4:5], 0
                                        ; implicit-def: $sgpr10
	s_and_saveexec_b64 s[6:7], vcc
	s_xor_b64 s[6:7], exec, s[6:7]
	s_cbranch_execnz .LBB16_2929
; %bb.881:
	s_or_saveexec_b64 s[6:7], s[6:7]
	v_mov_b32_e32 v10, s10
	s_xor_b64 exec, exec, s[6:7]
	s_cbranch_execnz .LBB16_2932
.LBB16_882:
	s_or_b64 exec, exec, s[6:7]
	s_and_saveexec_b64 s[6:7], s[4:5]
	s_cbranch_execz .LBB16_884
.LBB16_883:
	v_bfe_u32 v10, v17, 16, 3
	v_ffbh_u32_e32 v14, v10
	v_min_u32_e32 v14, 32, v14
	v_lshrrev_b32_e32 v11, 19, v17
	v_subrev_u32_e32 v15, 28, v14
	v_and_b32_e32 v11, 15, v11
	v_lshlrev_b32_sdwa v15, v15, v17 dst_sel:DWORD dst_unused:UNUSED_PAD src0_sel:DWORD src1_sel:WORD_1
	v_bfe_u32 v12, v17, 19, 4
	v_sub_u32_e32 v14, 29, v14
	v_and_b32_e32 v15, 7, v15
	v_cmp_eq_u16_e32 vcc, 0, v11
	v_cndmask_b32_e32 v10, v10, v15, vcc
	v_cndmask_b32_e32 v11, v12, v14, vcc
	v_lshlrev_b32_e32 v12, 8, v17
	v_mov_b32_e32 v14, 0x3b800000
	v_lshlrev_b32_e32 v10, 20, v10
	v_and_b32_e32 v12, 0x80000000, v12
	v_lshl_add_u32 v11, v11, 23, v14
	v_or3_b32 v10, v12, v11, v10
.LBB16_884:
	s_or_b64 exec, exec, s[6:7]
	s_movk_i32 s4, 0xff
	v_and_b32_sdwa v11, v13, s4 dst_sel:DWORD dst_unused:UNUSED_PAD src0_sel:WORD_1 src1_sel:DWORD
	s_movk_i32 s4, 0x7f
	v_cmp_lt_i16_e32 vcc, s4, v11
	s_mov_b64 s[4:5], 0
                                        ; implicit-def: $sgpr10
	s_and_saveexec_b64 s[6:7], vcc
	s_xor_b64 s[6:7], exec, s[6:7]
	s_cbranch_execnz .LBB16_2933
; %bb.885:
	s_or_saveexec_b64 s[6:7], s[6:7]
	v_mov_b32_e32 v12, s10
	s_xor_b64 exec, exec, s[6:7]
	s_cbranch_execnz .LBB16_2936
.LBB16_886:
	s_or_b64 exec, exec, s[6:7]
	s_and_saveexec_b64 s[6:7], s[4:5]
	s_cbranch_execz .LBB16_888
.LBB16_887:
	v_bfe_u32 v11, v13, 16, 3
	v_ffbh_u32_e32 v15, v11
	v_min_u32_e32 v15, 32, v15
	v_lshrrev_b32_e32 v12, 19, v13
	v_subrev_u32_e32 v16, 28, v15
	v_and_b32_e32 v12, 15, v12
	v_lshlrev_b32_sdwa v16, v16, v13 dst_sel:DWORD dst_unused:UNUSED_PAD src0_sel:DWORD src1_sel:WORD_1
	v_bfe_u32 v14, v13, 19, 4
	v_sub_u32_e32 v15, 29, v15
	v_and_b32_e32 v16, 7, v16
	v_cmp_eq_u16_e32 vcc, 0, v12
	v_cndmask_b32_e32 v11, v11, v16, vcc
	v_cndmask_b32_e32 v12, v14, v15, vcc
	v_lshlrev_b32_e32 v14, 8, v13
	v_mov_b32_e32 v15, 0x3b800000
	v_lshlrev_b32_e32 v11, 20, v11
	v_and_b32_e32 v14, 0x80000000, v14
	v_lshl_add_u32 v12, v12, 23, v15
	v_or3_b32 v12, v14, v12, v11
.LBB16_888:
	s_or_b64 exec, exec, s[6:7]
	s_nop 0
	v_mfma_f32_16x16x4f32 a[0:3], v10, v12, a[0:3]
	s_movk_i32 s4, 0x7f
	v_cmp_gt_i16_sdwa s[6:7], v17, s4 src0_sel:BYTE_3 src1_sel:DWORD
	s_mov_b64 s[4:5], 0
                                        ; implicit-def: $sgpr10
	s_and_saveexec_b64 s[8:9], s[6:7]
	s_xor_b64 s[6:7], exec, s[8:9]
	s_cbranch_execnz .LBB16_2937
; %bb.889:
	s_or_saveexec_b64 s[6:7], s[6:7]
	v_mov_b32_e32 v10, s10
	s_xor_b64 exec, exec, s[6:7]
	s_cbranch_execnz .LBB16_2940
.LBB16_890:
	s_or_b64 exec, exec, s[6:7]
	s_and_saveexec_b64 s[6:7], s[4:5]
	s_cbranch_execz .LBB16_892
.LBB16_891:
	v_bfe_u32 v10, v17, 24, 3
	v_ffbh_u32_e32 v15, v10
	v_min_u32_e32 v15, 32, v15
	v_lshrrev_b32_e32 v12, 27, v17
	v_subrev_u32_e32 v16, 28, v15
	v_and_b32_e32 v12, 15, v12
	v_lshlrev_b32_sdwa v16, v16, v17 dst_sel:DWORD dst_unused:UNUSED_PAD src0_sel:DWORD src1_sel:BYTE_3
	v_bfe_u32 v14, v17, 27, 4
	v_sub_u32_e32 v15, 29, v15
	v_and_b32_e32 v16, 7, v16
	v_cmp_eq_u16_e32 vcc, 0, v12
	v_cndmask_b32_e32 v10, v10, v16, vcc
	v_cndmask_b32_e32 v12, v14, v15, vcc
	v_mov_b32_e32 v14, 0x3b800000
	v_and_b32_e32 v11, 0x80000000, v17
	v_lshlrev_b32_e32 v10, 20, v10
	v_lshl_add_u32 v12, v12, 23, v14
	v_or3_b32 v10, v11, v12, v10
.LBB16_892:
	s_or_b64 exec, exec, s[6:7]
	s_movk_i32 s4, 0x7f
	v_cmp_gt_i16_sdwa s[6:7], v13, s4 src0_sel:BYTE_3 src1_sel:DWORD
	s_mov_b64 s[4:5], 0
                                        ; implicit-def: $sgpr10
	s_and_saveexec_b64 s[8:9], s[6:7]
	s_xor_b64 s[6:7], exec, s[8:9]
	s_cbranch_execnz .LBB16_2941
; %bb.893:
	s_or_saveexec_b64 s[6:7], s[6:7]
	v_mov_b32_e32 v11, s10
	s_xor_b64 exec, exec, s[6:7]
	s_cbranch_execnz .LBB16_2944
.LBB16_894:
	s_or_b64 exec, exec, s[6:7]
	s_and_saveexec_b64 s[6:7], s[4:5]
	s_cbranch_execz .LBB16_896
.LBB16_895:
	v_bfe_u32 v11, v13, 24, 3
	v_ffbh_u32_e32 v16, v11
	v_min_u32_e32 v16, 32, v16
	v_lshrrev_b32_e32 v14, 27, v13
	v_subrev_u32_e32 v17, 28, v16
	v_and_b32_e32 v12, 0x80000000, v13
	v_and_b32_e32 v14, 15, v14
	v_bfe_u32 v15, v13, 27, 4
	v_lshlrev_b32_sdwa v13, v17, v13 dst_sel:DWORD dst_unused:UNUSED_PAD src0_sel:DWORD src1_sel:BYTE_3
	v_sub_u32_e32 v16, 29, v16
	v_and_b32_e32 v13, 7, v13
	v_cmp_eq_u16_e32 vcc, 0, v14
	v_cndmask_b32_e32 v11, v11, v13, vcc
	v_cndmask_b32_e32 v13, v15, v16, vcc
	v_mov_b32_e32 v14, 0x3b800000
	v_lshlrev_b32_e32 v11, 20, v11
	v_lshl_add_u32 v13, v13, 23, v14
	v_or3_b32 v11, v12, v13, v11
.LBB16_896:
	s_or_b64 exec, exec, s[6:7]
	s_nop 0
	v_mfma_f32_16x16x4f32 a[0:3], v10, v11, a[0:3]
	s_movk_i32 s4, 0x7f
	v_cmp_gt_i16_sdwa s[6:7], v6, s4 src0_sel:BYTE_0 src1_sel:DWORD
	s_mov_b64 s[4:5], 0
                                        ; implicit-def: $sgpr10
	s_and_saveexec_b64 s[8:9], s[6:7]
	s_xor_b64 s[6:7], exec, s[8:9]
	s_cbranch_execnz .LBB16_2945
; %bb.897:
	s_or_saveexec_b64 s[6:7], s[6:7]
	v_mov_b32_e32 v10, s10
	s_xor_b64 exec, exec, s[6:7]
	s_cbranch_execnz .LBB16_2948
.LBB16_898:
	s_or_b64 exec, exec, s[6:7]
	s_and_saveexec_b64 s[6:7], s[4:5]
	s_cbranch_execz .LBB16_900
.LBB16_899:
	v_and_b32_e32 v10, 7, v6
	v_ffbh_u32_e32 v12, v10
	v_min_u32_e32 v12, 32, v12
	v_lshrrev_b16_e32 v11, 3, v6
	v_subrev_u32_e32 v13, 28, v12
	v_and_b32_e32 v11, 15, v11
	v_lshlrev_b32_e32 v13, v13, v6
	v_sub_u32_e32 v12, 29, v12
	v_and_b32_e32 v13, 7, v13
	v_cmp_eq_u16_e32 vcc, 0, v11
	v_cndmask_b32_e32 v10, v10, v13, vcc
	v_cndmask_b32_e32 v11, v11, v12, vcc
	v_lshlrev_b32_e32 v12, 24, v6
	v_mov_b32_e32 v13, 0x3b800000
	v_lshlrev_b32_e32 v10, 20, v10
	v_and_b32_e32 v12, 0x80000000, v12
	v_lshl_add_u32 v11, v11, 23, v13
	v_or3_b32 v10, v12, v11, v10
.LBB16_900:
	s_or_b64 exec, exec, s[6:7]
	s_movk_i32 s4, 0x7f
	v_cmp_gt_i16_sdwa s[6:7], v2, s4 src0_sel:BYTE_0 src1_sel:DWORD
	s_mov_b64 s[4:5], 0
                                        ; implicit-def: $sgpr10
	s_and_saveexec_b64 s[8:9], s[6:7]
	s_xor_b64 s[6:7], exec, s[8:9]
	s_cbranch_execnz .LBB16_2949
; %bb.901:
	s_or_saveexec_b64 s[6:7], s[6:7]
	v_mov_b32_e32 v11, s10
	s_xor_b64 exec, exec, s[6:7]
	s_cbranch_execnz .LBB16_2952
.LBB16_902:
	s_or_b64 exec, exec, s[6:7]
	s_and_saveexec_b64 s[6:7], s[4:5]
	s_cbranch_execz .LBB16_904
.LBB16_903:
	v_and_b32_e32 v11, 7, v2
	v_ffbh_u32_e32 v13, v11
	v_min_u32_e32 v13, 32, v13
	v_lshrrev_b16_e32 v12, 3, v2
	v_subrev_u32_e32 v14, 28, v13
	v_and_b32_e32 v12, 15, v12
	v_lshlrev_b32_e32 v14, v14, v2
	v_sub_u32_e32 v13, 29, v13
	v_and_b32_e32 v14, 7, v14
	v_cmp_eq_u16_e32 vcc, 0, v12
	v_cndmask_b32_e32 v11, v11, v14, vcc
	v_cndmask_b32_e32 v12, v12, v13, vcc
	v_lshlrev_b32_e32 v13, 24, v2
	v_mov_b32_e32 v14, 0x3b800000
	v_lshlrev_b32_e32 v11, 20, v11
	v_and_b32_e32 v13, 0x80000000, v13
	v_lshl_add_u32 v12, v12, 23, v14
	v_or3_b32 v11, v13, v12, v11
.LBB16_904:
	s_or_b64 exec, exec, s[6:7]
	s_nop 0
	v_mfma_f32_16x16x4f32 a[0:3], v10, v11, a[0:3]
	v_lshrrev_b32_e32 v11, 8, v6
	s_movk_i32 s4, 0x7f
	v_cmp_gt_i16_sdwa s[6:7], v11, s4 src0_sel:BYTE_0 src1_sel:DWORD
	s_mov_b64 s[4:5], 0
                                        ; implicit-def: $sgpr10
	s_and_saveexec_b64 s[8:9], s[6:7]
	s_xor_b64 s[6:7], exec, s[8:9]
	s_cbranch_execnz .LBB16_2953
; %bb.905:
	s_or_saveexec_b64 s[6:7], s[6:7]
	v_mov_b32_e32 v10, s10
	s_xor_b64 exec, exec, s[6:7]
	s_cbranch_execnz .LBB16_2956
.LBB16_906:
	s_or_b64 exec, exec, s[6:7]
	s_and_saveexec_b64 s[6:7], s[4:5]
	s_cbranch_execz .LBB16_908
.LBB16_907:
	v_bfe_u32 v10, v6, 8, 3
	v_ffbh_u32_e32 v13, v10
	v_min_u32_e32 v13, 32, v13
	v_lshrrev_b16_e32 v12, 3, v11
	v_subrev_u32_e32 v14, 28, v13
	v_and_b32_e32 v12, 15, v12
	v_lshlrev_b32_e32 v11, v14, v11
	v_sub_u32_e32 v13, 29, v13
	v_and_b32_e32 v11, 7, v11
	v_cmp_eq_u16_e32 vcc, 0, v12
	v_cndmask_b32_e32 v10, v10, v11, vcc
	v_cndmask_b32_e32 v11, v12, v13, vcc
	v_lshlrev_b32_e32 v12, 16, v6
	v_mov_b32_e32 v13, 0x3b800000
	v_lshlrev_b32_e32 v10, 20, v10
	v_and_b32_e32 v12, 0x80000000, v12
	v_lshl_add_u32 v11, v11, 23, v13
	v_or3_b32 v10, v12, v11, v10
.LBB16_908:
	s_or_b64 exec, exec, s[6:7]
	v_lshrrev_b32_e32 v11, 8, v2
	s_movk_i32 s4, 0x7f
	v_cmp_gt_i16_sdwa s[6:7], v11, s4 src0_sel:BYTE_0 src1_sel:DWORD
	s_mov_b64 s[4:5], 0
                                        ; implicit-def: $sgpr10
	s_and_saveexec_b64 s[8:9], s[6:7]
	s_xor_b64 s[6:7], exec, s[8:9]
	s_cbranch_execnz .LBB16_2957
; %bb.909:
	s_or_saveexec_b64 s[6:7], s[6:7]
	v_mov_b32_e32 v12, s10
	s_xor_b64 exec, exec, s[6:7]
	s_cbranch_execnz .LBB16_2960
.LBB16_910:
	s_or_b64 exec, exec, s[6:7]
	s_and_saveexec_b64 s[6:7], s[4:5]
	s_cbranch_execz .LBB16_912
.LBB16_911:
	v_bfe_u32 v12, v2, 8, 3
	v_ffbh_u32_e32 v14, v12
	v_min_u32_e32 v14, 32, v14
	v_lshrrev_b16_e32 v13, 3, v11
	v_subrev_u32_e32 v15, 28, v14
	v_and_b32_e32 v13, 15, v13
	v_lshlrev_b32_e32 v11, v15, v11
	v_sub_u32_e32 v14, 29, v14
	v_and_b32_e32 v11, 7, v11
	v_cmp_eq_u16_e32 vcc, 0, v13
	v_cndmask_b32_e32 v11, v12, v11, vcc
	v_cndmask_b32_e32 v12, v13, v14, vcc
	v_lshlrev_b32_e32 v13, 16, v2
	v_mov_b32_e32 v14, 0x3b800000
	v_lshlrev_b32_e32 v11, 20, v11
	v_and_b32_e32 v13, 0x80000000, v13
	v_lshl_add_u32 v12, v12, 23, v14
	v_or3_b32 v12, v13, v12, v11
.LBB16_912:
	s_or_b64 exec, exec, s[6:7]
	s_nop 0
	v_mfma_f32_16x16x4f32 a[0:3], v10, v12, a[0:3]
	s_movk_i32 s4, 0xff
	v_and_b32_sdwa v11, v6, s4 dst_sel:DWORD dst_unused:UNUSED_PAD src0_sel:WORD_1 src1_sel:DWORD
	s_movk_i32 s4, 0x7f
	v_cmp_lt_i16_e32 vcc, s4, v11
	s_mov_b64 s[4:5], 0
                                        ; implicit-def: $sgpr10
	s_and_saveexec_b64 s[6:7], vcc
	s_xor_b64 s[6:7], exec, s[6:7]
	s_cbranch_execnz .LBB16_2961
; %bb.913:
	s_or_saveexec_b64 s[6:7], s[6:7]
	v_mov_b32_e32 v10, s10
	s_xor_b64 exec, exec, s[6:7]
	s_cbranch_execnz .LBB16_2964
.LBB16_914:
	s_or_b64 exec, exec, s[6:7]
	s_and_saveexec_b64 s[6:7], s[4:5]
	s_cbranch_execz .LBB16_916
.LBB16_915:
	v_bfe_u32 v10, v6, 16, 3
	v_ffbh_u32_e32 v13, v10
	v_min_u32_e32 v13, 32, v13
	v_lshrrev_b32_e32 v11, 19, v6
	v_subrev_u32_e32 v14, 28, v13
	v_and_b32_e32 v11, 15, v11
	v_lshlrev_b32_sdwa v14, v14, v6 dst_sel:DWORD dst_unused:UNUSED_PAD src0_sel:DWORD src1_sel:WORD_1
	v_bfe_u32 v12, v6, 19, 4
	v_sub_u32_e32 v13, 29, v13
	v_and_b32_e32 v14, 7, v14
	v_cmp_eq_u16_e32 vcc, 0, v11
	v_cndmask_b32_e32 v10, v10, v14, vcc
	v_cndmask_b32_e32 v11, v12, v13, vcc
	v_lshlrev_b32_e32 v12, 8, v6
	v_mov_b32_e32 v13, 0x3b800000
	v_lshlrev_b32_e32 v10, 20, v10
	v_and_b32_e32 v12, 0x80000000, v12
	v_lshl_add_u32 v11, v11, 23, v13
	v_or3_b32 v10, v12, v11, v10
.LBB16_916:
	s_or_b64 exec, exec, s[6:7]
	s_movk_i32 s4, 0xff
	v_and_b32_sdwa v11, v2, s4 dst_sel:DWORD dst_unused:UNUSED_PAD src0_sel:WORD_1 src1_sel:DWORD
	s_movk_i32 s4, 0x7f
	v_cmp_lt_i16_e32 vcc, s4, v11
	s_mov_b64 s[4:5], 0
                                        ; implicit-def: $sgpr10
	s_and_saveexec_b64 s[6:7], vcc
	s_xor_b64 s[6:7], exec, s[6:7]
	s_cbranch_execnz .LBB16_2965
; %bb.917:
	s_or_saveexec_b64 s[6:7], s[6:7]
	v_mov_b32_e32 v12, s10
	s_xor_b64 exec, exec, s[6:7]
	s_cbranch_execnz .LBB16_2968
.LBB16_918:
	s_or_b64 exec, exec, s[6:7]
	s_and_saveexec_b64 s[6:7], s[4:5]
	s_cbranch_execz .LBB16_920
.LBB16_919:
	v_bfe_u32 v11, v2, 16, 3
	v_ffbh_u32_e32 v14, v11
	v_min_u32_e32 v14, 32, v14
	v_lshrrev_b32_e32 v12, 19, v2
	v_subrev_u32_e32 v15, 28, v14
	v_and_b32_e32 v12, 15, v12
	v_lshlrev_b32_sdwa v15, v15, v2 dst_sel:DWORD dst_unused:UNUSED_PAD src0_sel:DWORD src1_sel:WORD_1
	v_bfe_u32 v13, v2, 19, 4
	v_sub_u32_e32 v14, 29, v14
	v_and_b32_e32 v15, 7, v15
	v_cmp_eq_u16_e32 vcc, 0, v12
	v_cndmask_b32_e32 v11, v11, v15, vcc
	v_cndmask_b32_e32 v12, v13, v14, vcc
	v_lshlrev_b32_e32 v13, 8, v2
	v_mov_b32_e32 v14, 0x3b800000
	v_lshlrev_b32_e32 v11, 20, v11
	v_and_b32_e32 v13, 0x80000000, v13
	v_lshl_add_u32 v12, v12, 23, v14
	v_or3_b32 v12, v13, v12, v11
.LBB16_920:
	s_or_b64 exec, exec, s[6:7]
	s_nop 0
	v_mfma_f32_16x16x4f32 a[0:3], v10, v12, a[0:3]
	s_movk_i32 s4, 0x7f
	v_cmp_gt_i16_sdwa s[6:7], v6, s4 src0_sel:BYTE_3 src1_sel:DWORD
	s_mov_b64 s[4:5], 0
                                        ; implicit-def: $sgpr10
	s_and_saveexec_b64 s[8:9], s[6:7]
	s_xor_b64 s[6:7], exec, s[8:9]
	s_cbranch_execnz .LBB16_2969
; %bb.921:
	s_or_saveexec_b64 s[6:7], s[6:7]
	v_mov_b32_e32 v10, s10
	s_xor_b64 exec, exec, s[6:7]
	s_cbranch_execnz .LBB16_2972
.LBB16_922:
	s_or_b64 exec, exec, s[6:7]
	s_and_saveexec_b64 s[6:7], s[4:5]
	s_cbranch_execz .LBB16_924
.LBB16_923:
	v_bfe_u32 v10, v6, 24, 3
	v_ffbh_u32_e32 v14, v10
	v_min_u32_e32 v14, 32, v14
	v_lshrrev_b32_e32 v12, 27, v6
	v_subrev_u32_e32 v15, 28, v14
	v_and_b32_e32 v11, 0x80000000, v6
	v_and_b32_e32 v12, 15, v12
	v_bfe_u32 v13, v6, 27, 4
	v_lshlrev_b32_sdwa v6, v15, v6 dst_sel:DWORD dst_unused:UNUSED_PAD src0_sel:DWORD src1_sel:BYTE_3
	v_sub_u32_e32 v14, 29, v14
	v_and_b32_e32 v6, 7, v6
	v_cmp_eq_u16_e32 vcc, 0, v12
	v_cndmask_b32_e32 v6, v10, v6, vcc
	v_cndmask_b32_e32 v10, v13, v14, vcc
	v_mov_b32_e32 v12, 0x3b800000
	v_lshlrev_b32_e32 v6, 20, v6
	v_lshl_add_u32 v10, v10, 23, v12
	v_or3_b32 v10, v11, v10, v6
.LBB16_924:
	s_or_b64 exec, exec, s[6:7]
	s_movk_i32 s4, 0x7f
	v_cmp_gt_i16_sdwa s[6:7], v2, s4 src0_sel:BYTE_3 src1_sel:DWORD
	s_mov_b64 s[4:5], 0
                                        ; implicit-def: $sgpr10
	s_and_saveexec_b64 s[8:9], s[6:7]
	s_xor_b64 s[6:7], exec, s[8:9]
	s_cbranch_execnz .LBB16_2973
; %bb.925:
	s_or_saveexec_b64 s[6:7], s[6:7]
	v_mov_b32_e32 v6, s10
	s_xor_b64 exec, exec, s[6:7]
	s_cbranch_execnz .LBB16_2976
.LBB16_926:
	s_or_b64 exec, exec, s[6:7]
	s_and_saveexec_b64 s[6:7], s[4:5]
	s_cbranch_execz .LBB16_928
.LBB16_927:
	v_bfe_u32 v6, v2, 24, 3
	v_ffbh_u32_e32 v14, v6
	v_min_u32_e32 v14, 32, v14
	v_lshrrev_b32_e32 v12, 27, v2
	v_subrev_u32_e32 v15, 28, v14
	v_and_b32_e32 v11, 0x80000000, v2
	v_and_b32_e32 v12, 15, v12
	v_bfe_u32 v13, v2, 27, 4
	v_lshlrev_b32_sdwa v2, v15, v2 dst_sel:DWORD dst_unused:UNUSED_PAD src0_sel:DWORD src1_sel:BYTE_3
	v_sub_u32_e32 v14, 29, v14
	v_and_b32_e32 v2, 7, v2
	v_cmp_eq_u16_e32 vcc, 0, v12
	v_cndmask_b32_e32 v2, v6, v2, vcc
	v_cndmask_b32_e32 v6, v13, v14, vcc
	v_mov_b32_e32 v12, 0x3b800000
	v_lshlrev_b32_e32 v2, 20, v2
	v_lshl_add_u32 v6, v6, 23, v12
	v_or3_b32 v6, v11, v6, v2
.LBB16_928:
	s_or_b64 exec, exec, s[6:7]
	s_nop 0
	v_mfma_f32_16x16x4f32 a[0:3], v10, v6, a[0:3]
	s_movk_i32 s4, 0x7f
	v_cmp_gt_i16_sdwa s[6:7], v7, s4 src0_sel:BYTE_0 src1_sel:DWORD
	s_mov_b64 s[4:5], 0
                                        ; implicit-def: $sgpr10
	s_and_saveexec_b64 s[8:9], s[6:7]
	s_xor_b64 s[6:7], exec, s[8:9]
	s_cbranch_execnz .LBB16_2977
; %bb.929:
	s_or_saveexec_b64 s[6:7], s[6:7]
	v_mov_b32_e32 v2, s10
	s_xor_b64 exec, exec, s[6:7]
	s_cbranch_execnz .LBB16_2980
.LBB16_930:
	s_or_b64 exec, exec, s[6:7]
	s_and_saveexec_b64 s[6:7], s[4:5]
	s_cbranch_execz .LBB16_932
.LBB16_931:
	v_and_b32_e32 v2, 7, v7
	v_ffbh_u32_e32 v10, v2
	v_min_u32_e32 v10, 32, v10
	v_lshrrev_b16_e32 v6, 3, v7
	v_subrev_u32_e32 v11, 28, v10
	v_and_b32_e32 v6, 15, v6
	v_lshlrev_b32_e32 v11, v11, v7
	v_sub_u32_e32 v10, 29, v10
	v_and_b32_e32 v11, 7, v11
	v_cmp_eq_u16_e32 vcc, 0, v6
	v_cndmask_b32_e32 v2, v2, v11, vcc
	v_cndmask_b32_e32 v6, v6, v10, vcc
	v_lshlrev_b32_e32 v10, 24, v7
	v_mov_b32_e32 v11, 0x3b800000
	v_lshlrev_b32_e32 v2, 20, v2
	v_and_b32_e32 v10, 0x80000000, v10
	v_lshl_add_u32 v6, v6, 23, v11
	v_or3_b32 v2, v10, v6, v2
.LBB16_932:
	s_or_b64 exec, exec, s[6:7]
	s_movk_i32 s4, 0x7f
	v_cmp_gt_i16_sdwa s[6:7], v3, s4 src0_sel:BYTE_0 src1_sel:DWORD
	s_mov_b64 s[4:5], 0
                                        ; implicit-def: $sgpr10
	s_and_saveexec_b64 s[8:9], s[6:7]
	s_xor_b64 s[6:7], exec, s[8:9]
	s_cbranch_execnz .LBB16_2981
; %bb.933:
	s_or_saveexec_b64 s[6:7], s[6:7]
	v_mov_b32_e32 v6, s10
	s_xor_b64 exec, exec, s[6:7]
	s_cbranch_execnz .LBB16_2984
.LBB16_934:
	s_or_b64 exec, exec, s[6:7]
	s_and_saveexec_b64 s[6:7], s[4:5]
	s_cbranch_execz .LBB16_936
.LBB16_935:
	v_and_b32_e32 v6, 7, v3
	v_ffbh_u32_e32 v11, v6
	v_min_u32_e32 v11, 32, v11
	v_lshrrev_b16_e32 v10, 3, v3
	v_subrev_u32_e32 v12, 28, v11
	v_and_b32_e32 v10, 15, v10
	v_lshlrev_b32_e32 v12, v12, v3
	v_sub_u32_e32 v11, 29, v11
	v_and_b32_e32 v12, 7, v12
	v_cmp_eq_u16_e32 vcc, 0, v10
	v_cndmask_b32_e32 v6, v6, v12, vcc
	v_cndmask_b32_e32 v10, v10, v11, vcc
	v_lshlrev_b32_e32 v11, 24, v3
	v_mov_b32_e32 v12, 0x3b800000
	v_lshlrev_b32_e32 v6, 20, v6
	v_and_b32_e32 v11, 0x80000000, v11
	v_lshl_add_u32 v10, v10, 23, v12
	v_or3_b32 v6, v11, v10, v6
.LBB16_936:
	s_or_b64 exec, exec, s[6:7]
	s_nop 0
	v_mfma_f32_16x16x4f32 a[0:3], v2, v6, a[0:3]
	v_lshrrev_b32_e32 v6, 8, v7
	s_movk_i32 s4, 0x7f
	v_cmp_gt_i16_sdwa s[6:7], v6, s4 src0_sel:BYTE_0 src1_sel:DWORD
	s_mov_b64 s[4:5], 0
                                        ; implicit-def: $sgpr10
	s_and_saveexec_b64 s[8:9], s[6:7]
	s_xor_b64 s[6:7], exec, s[8:9]
	s_cbranch_execnz .LBB16_2985
; %bb.937:
	s_or_saveexec_b64 s[6:7], s[6:7]
	v_mov_b32_e32 v2, s10
	s_xor_b64 exec, exec, s[6:7]
	s_cbranch_execnz .LBB16_2988
.LBB16_938:
	s_or_b64 exec, exec, s[6:7]
	s_and_saveexec_b64 s[6:7], s[4:5]
	s_cbranch_execz .LBB16_940
.LBB16_939:
	v_bfe_u32 v2, v7, 8, 3
	v_ffbh_u32_e32 v11, v2
	v_min_u32_e32 v11, 32, v11
	v_lshrrev_b16_e32 v10, 3, v6
	v_subrev_u32_e32 v12, 28, v11
	v_and_b32_e32 v10, 15, v10
	v_lshlrev_b32_e32 v6, v12, v6
	v_sub_u32_e32 v11, 29, v11
	v_and_b32_e32 v6, 7, v6
	v_cmp_eq_u16_e32 vcc, 0, v10
	v_cndmask_b32_e32 v2, v2, v6, vcc
	v_cndmask_b32_e32 v6, v10, v11, vcc
	v_lshlrev_b32_e32 v10, 16, v7
	v_mov_b32_e32 v11, 0x3b800000
	v_lshlrev_b32_e32 v2, 20, v2
	v_and_b32_e32 v10, 0x80000000, v10
	v_lshl_add_u32 v6, v6, 23, v11
	v_or3_b32 v2, v10, v6, v2
.LBB16_940:
	s_or_b64 exec, exec, s[6:7]
	v_lshrrev_b32_e32 v6, 8, v3
	s_movk_i32 s4, 0x7f
	v_cmp_gt_i16_sdwa s[6:7], v6, s4 src0_sel:BYTE_0 src1_sel:DWORD
	s_mov_b64 s[4:5], 0
                                        ; implicit-def: $sgpr10
	s_and_saveexec_b64 s[8:9], s[6:7]
	s_xor_b64 s[6:7], exec, s[8:9]
	s_cbranch_execnz .LBB16_2989
; %bb.941:
	s_or_saveexec_b64 s[6:7], s[6:7]
	v_mov_b32_e32 v10, s10
	s_xor_b64 exec, exec, s[6:7]
	s_cbranch_execnz .LBB16_2992
.LBB16_942:
	s_or_b64 exec, exec, s[6:7]
	s_and_saveexec_b64 s[6:7], s[4:5]
	s_cbranch_execz .LBB16_944
.LBB16_943:
	v_bfe_u32 v10, v3, 8, 3
	v_ffbh_u32_e32 v12, v10
	v_min_u32_e32 v12, 32, v12
	v_lshrrev_b16_e32 v11, 3, v6
	v_subrev_u32_e32 v13, 28, v12
	v_and_b32_e32 v11, 15, v11
	v_lshlrev_b32_e32 v6, v13, v6
	v_sub_u32_e32 v12, 29, v12
	v_and_b32_e32 v6, 7, v6
	v_cmp_eq_u16_e32 vcc, 0, v11
	v_cndmask_b32_e32 v6, v10, v6, vcc
	v_cndmask_b32_e32 v10, v11, v12, vcc
	v_lshlrev_b32_e32 v11, 16, v3
	v_mov_b32_e32 v12, 0x3b800000
	v_lshlrev_b32_e32 v6, 20, v6
	v_and_b32_e32 v11, 0x80000000, v11
	v_lshl_add_u32 v10, v10, 23, v12
	v_or3_b32 v10, v11, v10, v6
.LBB16_944:
	s_or_b64 exec, exec, s[6:7]
	s_nop 0
	v_mfma_f32_16x16x4f32 a[0:3], v2, v10, a[0:3]
	s_movk_i32 s4, 0xff
	v_and_b32_sdwa v6, v7, s4 dst_sel:DWORD dst_unused:UNUSED_PAD src0_sel:WORD_1 src1_sel:DWORD
	s_movk_i32 s4, 0x7f
	v_cmp_lt_i16_e32 vcc, s4, v6
	s_mov_b64 s[4:5], 0
                                        ; implicit-def: $sgpr10
	s_and_saveexec_b64 s[6:7], vcc
	s_xor_b64 s[6:7], exec, s[6:7]
	s_cbranch_execnz .LBB16_2993
; %bb.945:
	s_or_saveexec_b64 s[6:7], s[6:7]
	v_mov_b32_e32 v2, s10
	s_xor_b64 exec, exec, s[6:7]
	s_cbranch_execnz .LBB16_2996
.LBB16_946:
	s_or_b64 exec, exec, s[6:7]
	s_and_saveexec_b64 s[6:7], s[4:5]
	s_cbranch_execz .LBB16_948
.LBB16_947:
	v_bfe_u32 v2, v7, 16, 3
	v_ffbh_u32_e32 v11, v2
	v_min_u32_e32 v11, 32, v11
	v_lshrrev_b32_e32 v6, 19, v7
	v_subrev_u32_e32 v12, 28, v11
	v_and_b32_e32 v6, 15, v6
	v_lshlrev_b32_sdwa v12, v12, v7 dst_sel:DWORD dst_unused:UNUSED_PAD src0_sel:DWORD src1_sel:WORD_1
	v_bfe_u32 v10, v7, 19, 4
	v_sub_u32_e32 v11, 29, v11
	v_and_b32_e32 v12, 7, v12
	v_cmp_eq_u16_e32 vcc, 0, v6
	v_cndmask_b32_e32 v2, v2, v12, vcc
	v_cndmask_b32_e32 v6, v10, v11, vcc
	v_lshlrev_b32_e32 v10, 8, v7
	v_mov_b32_e32 v11, 0x3b800000
	v_lshlrev_b32_e32 v2, 20, v2
	v_and_b32_e32 v10, 0x80000000, v10
	v_lshl_add_u32 v6, v6, 23, v11
	v_or3_b32 v2, v10, v6, v2
.LBB16_948:
	s_or_b64 exec, exec, s[6:7]
	s_movk_i32 s4, 0xff
	v_and_b32_sdwa v6, v3, s4 dst_sel:DWORD dst_unused:UNUSED_PAD src0_sel:WORD_1 src1_sel:DWORD
	s_movk_i32 s4, 0x7f
	v_cmp_lt_i16_e32 vcc, s4, v6
	s_mov_b64 s[4:5], 0
                                        ; implicit-def: $sgpr10
	s_and_saveexec_b64 s[6:7], vcc
	s_xor_b64 s[6:7], exec, s[6:7]
	s_cbranch_execnz .LBB16_2997
; %bb.949:
	s_or_saveexec_b64 s[6:7], s[6:7]
	v_mov_b32_e32 v10, s10
	s_xor_b64 exec, exec, s[6:7]
	s_cbranch_execnz .LBB16_3000
.LBB16_950:
	s_or_b64 exec, exec, s[6:7]
	s_and_saveexec_b64 s[6:7], s[4:5]
	s_cbranch_execz .LBB16_952
.LBB16_951:
	v_bfe_u32 v6, v3, 16, 3
	v_ffbh_u32_e32 v12, v6
	v_min_u32_e32 v12, 32, v12
	v_lshrrev_b32_e32 v10, 19, v3
	v_subrev_u32_e32 v13, 28, v12
	v_and_b32_e32 v10, 15, v10
	v_lshlrev_b32_sdwa v13, v13, v3 dst_sel:DWORD dst_unused:UNUSED_PAD src0_sel:DWORD src1_sel:WORD_1
	v_bfe_u32 v11, v3, 19, 4
	v_sub_u32_e32 v12, 29, v12
	v_and_b32_e32 v13, 7, v13
	v_cmp_eq_u16_e32 vcc, 0, v10
	v_cndmask_b32_e32 v6, v6, v13, vcc
	v_cndmask_b32_e32 v10, v11, v12, vcc
	v_lshlrev_b32_e32 v11, 8, v3
	v_mov_b32_e32 v12, 0x3b800000
	v_lshlrev_b32_e32 v6, 20, v6
	v_and_b32_e32 v11, 0x80000000, v11
	v_lshl_add_u32 v10, v10, 23, v12
	v_or3_b32 v10, v11, v10, v6
.LBB16_952:
	s_or_b64 exec, exec, s[6:7]
	s_nop 0
	v_mfma_f32_16x16x4f32 a[0:3], v2, v10, a[0:3]
	s_movk_i32 s4, 0x7f
	v_cmp_gt_i16_sdwa s[6:7], v7, s4 src0_sel:BYTE_3 src1_sel:DWORD
	s_mov_b64 s[4:5], 0
                                        ; implicit-def: $sgpr10
	s_and_saveexec_b64 s[8:9], s[6:7]
	s_xor_b64 s[6:7], exec, s[8:9]
	s_cbranch_execnz .LBB16_3001
; %bb.953:
	s_or_saveexec_b64 s[6:7], s[6:7]
	v_mov_b32_e32 v2, s10
	s_xor_b64 exec, exec, s[6:7]
	s_cbranch_execnz .LBB16_3004
.LBB16_954:
	s_or_b64 exec, exec, s[6:7]
	s_and_saveexec_b64 s[6:7], s[4:5]
	s_cbranch_execz .LBB16_956
.LBB16_955:
	v_bfe_u32 v2, v7, 24, 3
	v_ffbh_u32_e32 v12, v2
	v_min_u32_e32 v12, 32, v12
	v_lshrrev_b32_e32 v10, 27, v7
	v_subrev_u32_e32 v13, 28, v12
	v_and_b32_e32 v6, 0x80000000, v7
	v_and_b32_e32 v10, 15, v10
	v_bfe_u32 v11, v7, 27, 4
	v_lshlrev_b32_sdwa v7, v13, v7 dst_sel:DWORD dst_unused:UNUSED_PAD src0_sel:DWORD src1_sel:BYTE_3
	v_sub_u32_e32 v12, 29, v12
	v_and_b32_e32 v7, 7, v7
	v_cmp_eq_u16_e32 vcc, 0, v10
	v_cndmask_b32_e32 v2, v2, v7, vcc
	v_cndmask_b32_e32 v7, v11, v12, vcc
	v_mov_b32_e32 v10, 0x3b800000
	v_lshlrev_b32_e32 v2, 20, v2
	v_lshl_add_u32 v7, v7, 23, v10
	v_or3_b32 v2, v6, v7, v2
.LBB16_956:
	s_or_b64 exec, exec, s[6:7]
	s_movk_i32 s4, 0x7f
	v_cmp_gt_i16_sdwa s[6:7], v3, s4 src0_sel:BYTE_3 src1_sel:DWORD
	s_mov_b64 s[4:5], 0
                                        ; implicit-def: $sgpr10
	s_and_saveexec_b64 s[8:9], s[6:7]
	s_xor_b64 s[6:7], exec, s[8:9]
	s_cbranch_execnz .LBB16_3005
; %bb.957:
	s_or_saveexec_b64 s[6:7], s[6:7]
	v_mov_b32_e32 v6, s10
	s_xor_b64 exec, exec, s[6:7]
	s_cbranch_execnz .LBB16_3008
.LBB16_958:
	s_or_b64 exec, exec, s[6:7]
	s_and_saveexec_b64 s[6:7], s[4:5]
	s_cbranch_execz .LBB16_960
.LBB16_959:
	v_bfe_u32 v6, v3, 24, 3
	v_ffbh_u32_e32 v12, v6
	v_min_u32_e32 v12, 32, v12
	v_lshrrev_b32_e32 v10, 27, v3
	v_subrev_u32_e32 v13, 28, v12
	v_and_b32_e32 v7, 0x80000000, v3
	v_and_b32_e32 v10, 15, v10
	v_bfe_u32 v11, v3, 27, 4
	v_lshlrev_b32_sdwa v3, v13, v3 dst_sel:DWORD dst_unused:UNUSED_PAD src0_sel:DWORD src1_sel:BYTE_3
	v_sub_u32_e32 v12, 29, v12
	v_and_b32_e32 v3, 7, v3
	v_cmp_eq_u16_e32 vcc, 0, v10
	v_cndmask_b32_e32 v3, v6, v3, vcc
	v_cndmask_b32_e32 v6, v11, v12, vcc
	v_mov_b32_e32 v10, 0x3b800000
	v_lshlrev_b32_e32 v3, 20, v3
	v_lshl_add_u32 v6, v6, 23, v10
	v_or3_b32 v6, v7, v6, v3
.LBB16_960:
	s_or_b64 exec, exec, s[6:7]
	s_nop 0
	v_mfma_f32_16x16x4f32 a[0:3], v2, v6, a[0:3]
	s_movk_i32 s4, 0x7f
	v_cmp_gt_i16_sdwa s[6:7], v8, s4 src0_sel:BYTE_0 src1_sel:DWORD
	s_mov_b64 s[4:5], 0
                                        ; implicit-def: $sgpr10
	s_and_saveexec_b64 s[8:9], s[6:7]
	s_xor_b64 s[6:7], exec, s[8:9]
	s_cbranch_execnz .LBB16_3009
; %bb.961:
	s_or_saveexec_b64 s[6:7], s[6:7]
	v_mov_b32_e32 v2, s10
	s_xor_b64 exec, exec, s[6:7]
	s_cbranch_execnz .LBB16_3012
.LBB16_962:
	s_or_b64 exec, exec, s[6:7]
	s_and_saveexec_b64 s[6:7], s[4:5]
	s_cbranch_execz .LBB16_964
.LBB16_963:
	v_and_b32_e32 v2, 7, v8
	v_ffbh_u32_e32 v6, v2
	v_min_u32_e32 v6, 32, v6
	v_lshrrev_b16_e32 v3, 3, v8
	v_subrev_u32_e32 v7, 28, v6
	v_and_b32_e32 v3, 15, v3
	v_lshlrev_b32_e32 v7, v7, v8
	v_sub_u32_e32 v6, 29, v6
	v_and_b32_e32 v7, 7, v7
	v_cmp_eq_u16_e32 vcc, 0, v3
	v_cndmask_b32_e32 v2, v2, v7, vcc
	v_cndmask_b32_e32 v3, v3, v6, vcc
	v_lshlrev_b32_e32 v6, 24, v8
	v_mov_b32_e32 v7, 0x3b800000
	v_lshlrev_b32_e32 v2, 20, v2
	v_and_b32_e32 v6, 0x80000000, v6
	v_lshl_add_u32 v3, v3, 23, v7
	v_or3_b32 v2, v6, v3, v2
.LBB16_964:
	s_or_b64 exec, exec, s[6:7]
	s_movk_i32 s4, 0x7f
	v_cmp_gt_i16_sdwa s[6:7], v4, s4 src0_sel:BYTE_0 src1_sel:DWORD
	s_mov_b64 s[4:5], 0
                                        ; implicit-def: $sgpr10
	s_and_saveexec_b64 s[8:9], s[6:7]
	s_xor_b64 s[6:7], exec, s[8:9]
	s_cbranch_execnz .LBB16_3013
; %bb.965:
	s_or_saveexec_b64 s[6:7], s[6:7]
	v_mov_b32_e32 v3, s10
	s_xor_b64 exec, exec, s[6:7]
	s_cbranch_execnz .LBB16_3016
.LBB16_966:
	s_or_b64 exec, exec, s[6:7]
	s_and_saveexec_b64 s[6:7], s[4:5]
	s_cbranch_execz .LBB16_968
.LBB16_967:
	v_and_b32_e32 v3, 7, v4
	v_ffbh_u32_e32 v7, v3
	v_min_u32_e32 v7, 32, v7
	v_lshrrev_b16_e32 v6, 3, v4
	v_subrev_u32_e32 v10, 28, v7
	v_and_b32_e32 v6, 15, v6
	v_lshlrev_b32_e32 v10, v10, v4
	v_sub_u32_e32 v7, 29, v7
	v_and_b32_e32 v10, 7, v10
	v_cmp_eq_u16_e32 vcc, 0, v6
	v_cndmask_b32_e32 v3, v3, v10, vcc
	v_cndmask_b32_e32 v6, v6, v7, vcc
	v_lshlrev_b32_e32 v7, 24, v4
	v_mov_b32_e32 v10, 0x3b800000
	v_lshlrev_b32_e32 v3, 20, v3
	v_and_b32_e32 v7, 0x80000000, v7
	v_lshl_add_u32 v6, v6, 23, v10
	v_or3_b32 v3, v7, v6, v3
.LBB16_968:
	s_or_b64 exec, exec, s[6:7]
	s_nop 0
	v_mfma_f32_16x16x4f32 a[0:3], v2, v3, a[0:3]
	v_lshrrev_b32_e32 v3, 8, v8
	s_movk_i32 s4, 0x7f
	v_cmp_gt_i16_sdwa s[6:7], v3, s4 src0_sel:BYTE_0 src1_sel:DWORD
	s_mov_b64 s[4:5], 0
                                        ; implicit-def: $sgpr10
	s_and_saveexec_b64 s[8:9], s[6:7]
	s_xor_b64 s[6:7], exec, s[8:9]
	s_cbranch_execnz .LBB16_3017
; %bb.969:
	s_or_saveexec_b64 s[6:7], s[6:7]
	v_mov_b32_e32 v2, s10
	s_xor_b64 exec, exec, s[6:7]
	s_cbranch_execnz .LBB16_3020
.LBB16_970:
	s_or_b64 exec, exec, s[6:7]
	s_and_saveexec_b64 s[6:7], s[4:5]
	s_cbranch_execz .LBB16_972
.LBB16_971:
	v_bfe_u32 v2, v8, 8, 3
	v_ffbh_u32_e32 v7, v2
	v_min_u32_e32 v7, 32, v7
	v_lshrrev_b16_e32 v6, 3, v3
	v_subrev_u32_e32 v10, 28, v7
	v_and_b32_e32 v6, 15, v6
	v_lshlrev_b32_e32 v3, v10, v3
	v_sub_u32_e32 v7, 29, v7
	v_and_b32_e32 v3, 7, v3
	v_cmp_eq_u16_e32 vcc, 0, v6
	v_cndmask_b32_e32 v2, v2, v3, vcc
	v_cndmask_b32_e32 v3, v6, v7, vcc
	v_lshlrev_b32_e32 v6, 16, v8
	v_mov_b32_e32 v7, 0x3b800000
	v_lshlrev_b32_e32 v2, 20, v2
	v_and_b32_e32 v6, 0x80000000, v6
	v_lshl_add_u32 v3, v3, 23, v7
	v_or3_b32 v2, v6, v3, v2
.LBB16_972:
	s_or_b64 exec, exec, s[6:7]
	v_lshrrev_b32_e32 v3, 8, v4
	s_movk_i32 s4, 0x7f
	v_cmp_gt_i16_sdwa s[6:7], v3, s4 src0_sel:BYTE_0 src1_sel:DWORD
	s_mov_b64 s[4:5], 0
                                        ; implicit-def: $sgpr10
	s_and_saveexec_b64 s[8:9], s[6:7]
	s_xor_b64 s[6:7], exec, s[8:9]
	s_cbranch_execnz .LBB16_3021
; %bb.973:
	s_or_saveexec_b64 s[6:7], s[6:7]
	v_mov_b32_e32 v6, s10
	s_xor_b64 exec, exec, s[6:7]
	s_cbranch_execnz .LBB16_3024
.LBB16_974:
	s_or_b64 exec, exec, s[6:7]
	s_and_saveexec_b64 s[6:7], s[4:5]
	s_cbranch_execz .LBB16_976
.LBB16_975:
	v_bfe_u32 v6, v4, 8, 3
	v_ffbh_u32_e32 v10, v6
	v_min_u32_e32 v10, 32, v10
	v_lshrrev_b16_e32 v7, 3, v3
	v_subrev_u32_e32 v11, 28, v10
	v_and_b32_e32 v7, 15, v7
	v_lshlrev_b32_e32 v3, v11, v3
	v_sub_u32_e32 v10, 29, v10
	v_and_b32_e32 v3, 7, v3
	v_cmp_eq_u16_e32 vcc, 0, v7
	v_cndmask_b32_e32 v3, v6, v3, vcc
	v_cndmask_b32_e32 v6, v7, v10, vcc
	v_lshlrev_b32_e32 v7, 16, v4
	v_mov_b32_e32 v10, 0x3b800000
	v_lshlrev_b32_e32 v3, 20, v3
	v_and_b32_e32 v7, 0x80000000, v7
	v_lshl_add_u32 v6, v6, 23, v10
	v_or3_b32 v6, v7, v6, v3
.LBB16_976:
	s_or_b64 exec, exec, s[6:7]
	s_nop 0
	v_mfma_f32_16x16x4f32 a[0:3], v2, v6, a[0:3]
	s_movk_i32 s4, 0xff
	v_and_b32_sdwa v3, v8, s4 dst_sel:DWORD dst_unused:UNUSED_PAD src0_sel:WORD_1 src1_sel:DWORD
	s_movk_i32 s4, 0x7f
	v_cmp_lt_i16_e32 vcc, s4, v3
	s_mov_b64 s[4:5], 0
                                        ; implicit-def: $sgpr10
	s_and_saveexec_b64 s[6:7], vcc
	s_xor_b64 s[6:7], exec, s[6:7]
	s_cbranch_execnz .LBB16_3025
; %bb.977:
	s_or_saveexec_b64 s[6:7], s[6:7]
	v_mov_b32_e32 v2, s10
	s_xor_b64 exec, exec, s[6:7]
	s_cbranch_execnz .LBB16_3028
.LBB16_978:
	s_or_b64 exec, exec, s[6:7]
	s_and_saveexec_b64 s[6:7], s[4:5]
	s_cbranch_execz .LBB16_980
.LBB16_979:
	v_bfe_u32 v2, v8, 16, 3
	v_ffbh_u32_e32 v7, v2
	v_min_u32_e32 v7, 32, v7
	v_lshrrev_b32_e32 v3, 19, v8
	v_subrev_u32_e32 v10, 28, v7
	v_and_b32_e32 v3, 15, v3
	v_lshlrev_b32_sdwa v10, v10, v8 dst_sel:DWORD dst_unused:UNUSED_PAD src0_sel:DWORD src1_sel:WORD_1
	v_bfe_u32 v6, v8, 19, 4
	v_sub_u32_e32 v7, 29, v7
	v_and_b32_e32 v10, 7, v10
	v_cmp_eq_u16_e32 vcc, 0, v3
	v_cndmask_b32_e32 v2, v2, v10, vcc
	v_cndmask_b32_e32 v3, v6, v7, vcc
	v_lshlrev_b32_e32 v6, 8, v8
	v_mov_b32_e32 v7, 0x3b800000
	v_lshlrev_b32_e32 v2, 20, v2
	v_and_b32_e32 v6, 0x80000000, v6
	v_lshl_add_u32 v3, v3, 23, v7
	v_or3_b32 v2, v6, v3, v2
.LBB16_980:
	s_or_b64 exec, exec, s[6:7]
	s_movk_i32 s4, 0xff
	v_and_b32_sdwa v3, v4, s4 dst_sel:DWORD dst_unused:UNUSED_PAD src0_sel:WORD_1 src1_sel:DWORD
	s_movk_i32 s4, 0x7f
	v_cmp_lt_i16_e32 vcc, s4, v3
	s_mov_b64 s[4:5], 0
                                        ; implicit-def: $sgpr10
	s_and_saveexec_b64 s[6:7], vcc
	s_xor_b64 s[6:7], exec, s[6:7]
	s_cbranch_execnz .LBB16_3029
; %bb.981:
	s_or_saveexec_b64 s[6:7], s[6:7]
	v_mov_b32_e32 v6, s10
	s_xor_b64 exec, exec, s[6:7]
	s_cbranch_execnz .LBB16_3032
.LBB16_982:
	s_or_b64 exec, exec, s[6:7]
	s_and_saveexec_b64 s[6:7], s[4:5]
	s_cbranch_execz .LBB16_984
.LBB16_983:
	v_bfe_u32 v3, v4, 16, 3
	v_ffbh_u32_e32 v10, v3
	v_min_u32_e32 v10, 32, v10
	v_lshrrev_b32_e32 v6, 19, v4
	v_subrev_u32_e32 v11, 28, v10
	v_and_b32_e32 v6, 15, v6
	v_lshlrev_b32_sdwa v11, v11, v4 dst_sel:DWORD dst_unused:UNUSED_PAD src0_sel:DWORD src1_sel:WORD_1
	v_bfe_u32 v7, v4, 19, 4
	v_sub_u32_e32 v10, 29, v10
	v_and_b32_e32 v11, 7, v11
	v_cmp_eq_u16_e32 vcc, 0, v6
	v_cndmask_b32_e32 v3, v3, v11, vcc
	v_cndmask_b32_e32 v6, v7, v10, vcc
	v_lshlrev_b32_e32 v7, 8, v4
	v_mov_b32_e32 v10, 0x3b800000
	v_lshlrev_b32_e32 v3, 20, v3
	v_and_b32_e32 v7, 0x80000000, v7
	v_lshl_add_u32 v6, v6, 23, v10
	v_or3_b32 v6, v7, v6, v3
.LBB16_984:
	s_or_b64 exec, exec, s[6:7]
	s_nop 0
	v_mfma_f32_16x16x4f32 a[0:3], v2, v6, a[0:3]
	s_movk_i32 s4, 0x7f
	v_cmp_gt_i16_sdwa s[6:7], v8, s4 src0_sel:BYTE_3 src1_sel:DWORD
	s_mov_b64 s[4:5], 0
                                        ; implicit-def: $sgpr10
	s_and_saveexec_b64 s[8:9], s[6:7]
	s_xor_b64 s[6:7], exec, s[8:9]
	s_cbranch_execnz .LBB16_3033
; %bb.985:
	s_or_saveexec_b64 s[6:7], s[6:7]
	v_mov_b32_e32 v2, s10
	s_xor_b64 exec, exec, s[6:7]
	s_cbranch_execnz .LBB16_3036
.LBB16_986:
	s_or_b64 exec, exec, s[6:7]
	s_and_saveexec_b64 s[6:7], s[4:5]
	s_cbranch_execz .LBB16_988
.LBB16_987:
	v_bfe_u32 v2, v8, 24, 3
	v_ffbh_u32_e32 v10, v2
	v_min_u32_e32 v10, 32, v10
	v_lshrrev_b32_e32 v6, 27, v8
	v_subrev_u32_e32 v11, 28, v10
	v_and_b32_e32 v3, 0x80000000, v8
	v_and_b32_e32 v6, 15, v6
	v_bfe_u32 v7, v8, 27, 4
	v_lshlrev_b32_sdwa v8, v11, v8 dst_sel:DWORD dst_unused:UNUSED_PAD src0_sel:DWORD src1_sel:BYTE_3
	v_sub_u32_e32 v10, 29, v10
	v_and_b32_e32 v8, 7, v8
	v_cmp_eq_u16_e32 vcc, 0, v6
	v_cndmask_b32_e32 v2, v2, v8, vcc
	v_cndmask_b32_e32 v6, v7, v10, vcc
	v_mov_b32_e32 v7, 0x3b800000
	v_lshlrev_b32_e32 v2, 20, v2
	v_lshl_add_u32 v6, v6, 23, v7
	v_or3_b32 v2, v3, v6, v2
.LBB16_988:
	s_or_b64 exec, exec, s[6:7]
	s_movk_i32 s4, 0x7f
	v_cmp_gt_i16_sdwa s[6:7], v4, s4 src0_sel:BYTE_3 src1_sel:DWORD
	s_mov_b64 s[4:5], 0
                                        ; implicit-def: $sgpr10
	s_and_saveexec_b64 s[8:9], s[6:7]
	s_xor_b64 s[6:7], exec, s[8:9]
	s_cbranch_execnz .LBB16_3037
; %bb.989:
	s_or_saveexec_b64 s[6:7], s[6:7]
	v_mov_b32_e32 v3, s10
	s_xor_b64 exec, exec, s[6:7]
	s_cbranch_execnz .LBB16_3040
.LBB16_990:
	s_or_b64 exec, exec, s[6:7]
	s_and_saveexec_b64 s[6:7], s[4:5]
	s_cbranch_execz .LBB16_992
.LBB16_991:
	v_bfe_u32 v3, v4, 24, 3
	v_ffbh_u32_e32 v10, v3
	v_min_u32_e32 v10, 32, v10
	v_lshrrev_b32_e32 v7, 27, v4
	v_subrev_u32_e32 v11, 28, v10
	v_and_b32_e32 v6, 0x80000000, v4
	v_and_b32_e32 v7, 15, v7
	v_bfe_u32 v8, v4, 27, 4
	v_lshlrev_b32_sdwa v4, v11, v4 dst_sel:DWORD dst_unused:UNUSED_PAD src0_sel:DWORD src1_sel:BYTE_3
	v_sub_u32_e32 v10, 29, v10
	v_and_b32_e32 v4, 7, v4
	v_cmp_eq_u16_e32 vcc, 0, v7
	v_cndmask_b32_e32 v3, v3, v4, vcc
	v_cndmask_b32_e32 v4, v8, v10, vcc
	v_mov_b32_e32 v7, 0x3b800000
	v_lshlrev_b32_e32 v3, 20, v3
	v_lshl_add_u32 v4, v4, 23, v7
	v_or3_b32 v3, v6, v4, v3
.LBB16_992:
	s_or_b64 exec, exec, s[6:7]
	s_nop 0
	v_mfma_f32_16x16x4f32 a[0:3], v2, v3, a[0:3]
	s_movk_i32 s4, 0x7f
	v_cmp_gt_i16_sdwa s[6:7], v9, s4 src0_sel:BYTE_0 src1_sel:DWORD
	s_mov_b64 s[4:5], 0
                                        ; implicit-def: $sgpr10
	s_and_saveexec_b64 s[8:9], s[6:7]
	s_xor_b64 s[6:7], exec, s[8:9]
	s_cbranch_execnz .LBB16_3041
; %bb.993:
	s_or_saveexec_b64 s[6:7], s[6:7]
	v_mov_b32_e32 v2, s10
	s_xor_b64 exec, exec, s[6:7]
	s_cbranch_execnz .LBB16_3044
.LBB16_994:
	s_or_b64 exec, exec, s[6:7]
	s_and_saveexec_b64 s[6:7], s[4:5]
	s_cbranch_execz .LBB16_996
.LBB16_995:
	v_mov_b32_e32 v2, 8
	v_and_b32_e32 v3, 7, v9
	v_lshrrev_b32_sdwa v2, v2, v9 dst_sel:BYTE_1 dst_unused:UNUSED_PAD src0_sel:DWORD src1_sel:DWORD
	v_ffbh_u32_e32 v4, v3
	v_or_b32_sdwa v2, v9, v2 dst_sel:DWORD dst_unused:UNUSED_PAD src0_sel:BYTE_0 src1_sel:DWORD
	v_min_u32_e32 v4, 32, v4
	v_lshrrev_b16_e32 v2, 3, v2
	v_subrev_u32_e32 v6, 28, v4
	v_and_b32_e32 v2, 15, v2
	v_lshlrev_b32_e32 v6, v6, v9
	v_sub_u32_e32 v4, 29, v4
	v_and_b32_e32 v6, 7, v6
	v_cmp_eq_u16_e32 vcc, 0, v2
	v_cndmask_b32_e32 v3, v3, v6, vcc
	v_cndmask_b32_e32 v2, v2, v4, vcc
	v_lshlrev_b32_e32 v4, 24, v9
	v_mov_b32_e32 v6, 0x3b800000
	v_lshlrev_b32_e32 v3, 20, v3
	v_and_b32_e32 v4, 0x80000000, v4
	v_lshl_add_u32 v2, v2, 23, v6
	v_or3_b32 v2, v4, v2, v3
.LBB16_996:
	s_or_b64 exec, exec, s[6:7]
	s_movk_i32 s4, 0x7f
	v_cmp_gt_i16_sdwa s[6:7], v5, s4 src0_sel:BYTE_0 src1_sel:DWORD
	s_mov_b64 s[4:5], 0
                                        ; implicit-def: $sgpr10
	s_and_saveexec_b64 s[8:9], s[6:7]
	s_xor_b64 s[6:7], exec, s[8:9]
	s_cbranch_execnz .LBB16_3045
; %bb.997:
	s_or_saveexec_b64 s[6:7], s[6:7]
	v_mov_b32_e32 v3, s10
	s_xor_b64 exec, exec, s[6:7]
	s_cbranch_execnz .LBB16_3048
.LBB16_998:
	s_or_b64 exec, exec, s[6:7]
	s_and_saveexec_b64 s[6:7], s[4:5]
	s_cbranch_execz .LBB16_1000
.LBB16_999:
	v_mov_b32_e32 v3, 8
	v_and_b32_e32 v4, 7, v5
	v_lshrrev_b32_sdwa v3, v3, v5 dst_sel:BYTE_1 dst_unused:UNUSED_PAD src0_sel:DWORD src1_sel:DWORD
	v_ffbh_u32_e32 v6, v4
	v_or_b32_sdwa v3, v5, v3 dst_sel:DWORD dst_unused:UNUSED_PAD src0_sel:BYTE_0 src1_sel:DWORD
	v_min_u32_e32 v6, 32, v6
	v_lshrrev_b16_e32 v3, 3, v3
	v_subrev_u32_e32 v7, 28, v6
	v_and_b32_e32 v3, 15, v3
	v_lshlrev_b32_e32 v7, v7, v5
	v_sub_u32_e32 v6, 29, v6
	v_and_b32_e32 v7, 7, v7
	v_cmp_eq_u16_e32 vcc, 0, v3
	v_cndmask_b32_e32 v4, v4, v7, vcc
	v_cndmask_b32_e32 v3, v3, v6, vcc
	v_lshlrev_b32_e32 v6, 24, v5
	v_mov_b32_e32 v7, 0x3b800000
	v_lshlrev_b32_e32 v4, 20, v4
	v_and_b32_e32 v6, 0x80000000, v6
	v_lshl_add_u32 v3, v3, 23, v7
	v_or3_b32 v3, v6, v3, v4
.LBB16_1000:
	s_or_b64 exec, exec, s[6:7]
	s_nop 0
	v_mfma_f32_16x16x4f32 a[0:3], v2, v3, a[0:3]
	v_lshrrev_b32_e32 v3, 8, v9
	s_movk_i32 s4, 0x7f
	v_cmp_gt_i16_sdwa s[6:7], v3, s4 src0_sel:BYTE_0 src1_sel:DWORD
	s_mov_b64 s[4:5], 0
                                        ; implicit-def: $sgpr10
	s_and_saveexec_b64 s[8:9], s[6:7]
	s_xor_b64 s[6:7], exec, s[8:9]
	s_cbranch_execnz .LBB16_3049
; %bb.1001:
	s_or_saveexec_b64 s[6:7], s[6:7]
	v_mov_b32_e32 v2, s10
	s_xor_b64 exec, exec, s[6:7]
	s_cbranch_execnz .LBB16_3052
.LBB16_1002:
	s_or_b64 exec, exec, s[6:7]
	s_and_saveexec_b64 s[6:7], s[4:5]
	s_cbranch_execz .LBB16_1004
.LBB16_1003:
	v_bfe_u32 v2, v9, 8, 3
	v_ffbh_u32_e32 v6, v2
	v_min_u32_e32 v6, 32, v6
	v_lshrrev_b16_e32 v4, 3, v3
	v_subrev_u32_e32 v7, 28, v6
	v_and_b32_e32 v4, 15, v4
	v_lshlrev_b32_e32 v3, v7, v3
	v_sub_u32_e32 v6, 29, v6
	v_and_b32_e32 v3, 7, v3
	v_cmp_eq_u16_e32 vcc, 0, v4
	v_cndmask_b32_e32 v2, v2, v3, vcc
	v_cndmask_b32_e32 v3, v4, v6, vcc
	v_lshlrev_b32_e32 v4, 16, v9
	v_mov_b32_e32 v6, 0x3b800000
	v_lshlrev_b32_e32 v2, 20, v2
	v_and_b32_e32 v4, 0x80000000, v4
	v_lshl_add_u32 v3, v3, 23, v6
	v_or3_b32 v2, v4, v3, v2
.LBB16_1004:
	s_or_b64 exec, exec, s[6:7]
	v_lshrrev_b32_e32 v3, 8, v5
	s_movk_i32 s4, 0x7f
	v_cmp_gt_i16_sdwa s[6:7], v3, s4 src0_sel:BYTE_0 src1_sel:DWORD
	s_mov_b64 s[4:5], 0
                                        ; implicit-def: $sgpr10
	s_and_saveexec_b64 s[8:9], s[6:7]
	s_xor_b64 s[6:7], exec, s[8:9]
	s_cbranch_execnz .LBB16_3053
; %bb.1005:
	s_or_saveexec_b64 s[6:7], s[6:7]
	v_mov_b32_e32 v4, s10
	s_xor_b64 exec, exec, s[6:7]
	s_cbranch_execnz .LBB16_3056
.LBB16_1006:
	s_or_b64 exec, exec, s[6:7]
	s_and_saveexec_b64 s[6:7], s[4:5]
	s_cbranch_execz .LBB16_1008
.LBB16_1007:
	v_bfe_u32 v4, v5, 8, 3
	v_ffbh_u32_e32 v7, v4
	v_min_u32_e32 v7, 32, v7
	v_lshrrev_b16_e32 v6, 3, v3
	v_subrev_u32_e32 v8, 28, v7
	v_and_b32_e32 v6, 15, v6
	v_lshlrev_b32_e32 v3, v8, v3
	v_sub_u32_e32 v7, 29, v7
	v_and_b32_e32 v3, 7, v3
	v_cmp_eq_u16_e32 vcc, 0, v6
	v_cndmask_b32_e32 v3, v4, v3, vcc
	v_cndmask_b32_e32 v4, v6, v7, vcc
	v_lshlrev_b32_e32 v6, 16, v5
	v_mov_b32_e32 v7, 0x3b800000
	v_lshlrev_b32_e32 v3, 20, v3
	v_and_b32_e32 v6, 0x80000000, v6
	v_lshl_add_u32 v4, v4, 23, v7
	v_or3_b32 v4, v6, v4, v3
.LBB16_1008:
	s_or_b64 exec, exec, s[6:7]
	s_nop 0
	v_mfma_f32_16x16x4f32 a[0:3], v2, v4, a[0:3]
	s_movk_i32 s4, 0xff
	v_and_b32_sdwa v3, v9, s4 dst_sel:DWORD dst_unused:UNUSED_PAD src0_sel:WORD_1 src1_sel:DWORD
	s_movk_i32 s4, 0x7f
	v_cmp_lt_i16_e32 vcc, s4, v3
	s_mov_b64 s[4:5], 0
                                        ; implicit-def: $sgpr10
	s_and_saveexec_b64 s[6:7], vcc
	s_xor_b64 s[6:7], exec, s[6:7]
	s_cbranch_execnz .LBB16_3057
; %bb.1009:
	s_or_saveexec_b64 s[6:7], s[6:7]
	v_mov_b32_e32 v2, s10
	s_xor_b64 exec, exec, s[6:7]
	s_cbranch_execnz .LBB16_3060
.LBB16_1010:
	s_or_b64 exec, exec, s[6:7]
	s_and_saveexec_b64 s[6:7], s[4:5]
	s_cbranch_execz .LBB16_1012
.LBB16_1011:
	v_bfe_u32 v2, v9, 16, 3
	v_ffbh_u32_e32 v6, v2
	v_min_u32_e32 v6, 32, v6
	v_lshrrev_b32_e32 v3, 19, v9
	v_subrev_u32_e32 v7, 28, v6
	v_and_b32_e32 v3, 15, v3
	v_lshlrev_b32_sdwa v7, v7, v9 dst_sel:DWORD dst_unused:UNUSED_PAD src0_sel:DWORD src1_sel:WORD_1
	v_bfe_u32 v4, v9, 19, 4
	v_sub_u32_e32 v6, 29, v6
	v_and_b32_e32 v7, 7, v7
	v_cmp_eq_u16_e32 vcc, 0, v3
	v_cndmask_b32_e32 v2, v2, v7, vcc
	v_cndmask_b32_e32 v3, v4, v6, vcc
	v_lshlrev_b32_e32 v4, 8, v9
	v_mov_b32_e32 v6, 0x3b800000
	v_lshlrev_b32_e32 v2, 20, v2
	v_and_b32_e32 v4, 0x80000000, v4
	v_lshl_add_u32 v3, v3, 23, v6
	v_or3_b32 v2, v4, v3, v2
.LBB16_1012:
	s_or_b64 exec, exec, s[6:7]
	s_movk_i32 s4, 0xff
	v_and_b32_sdwa v3, v5, s4 dst_sel:DWORD dst_unused:UNUSED_PAD src0_sel:WORD_1 src1_sel:DWORD
	s_movk_i32 s4, 0x7f
	v_cmp_lt_i16_e32 vcc, s4, v3
	s_mov_b64 s[4:5], 0
                                        ; implicit-def: $sgpr10
	s_and_saveexec_b64 s[6:7], vcc
	s_xor_b64 s[6:7], exec, s[6:7]
	s_cbranch_execnz .LBB16_3061
; %bb.1013:
	s_or_saveexec_b64 s[6:7], s[6:7]
	v_mov_b32_e32 v4, s10
	s_xor_b64 exec, exec, s[6:7]
	s_cbranch_execnz .LBB16_3064
.LBB16_1014:
	s_or_b64 exec, exec, s[6:7]
	s_and_saveexec_b64 s[6:7], s[4:5]
	s_cbranch_execz .LBB16_1016
.LBB16_1015:
	v_bfe_u32 v3, v5, 16, 3
	v_ffbh_u32_e32 v7, v3
	v_min_u32_e32 v7, 32, v7
	v_lshrrev_b32_e32 v4, 19, v5
	v_subrev_u32_e32 v8, 28, v7
	v_and_b32_e32 v4, 15, v4
	v_lshlrev_b32_sdwa v8, v8, v5 dst_sel:DWORD dst_unused:UNUSED_PAD src0_sel:DWORD src1_sel:WORD_1
	v_bfe_u32 v6, v5, 19, 4
	v_sub_u32_e32 v7, 29, v7
	v_and_b32_e32 v8, 7, v8
	v_cmp_eq_u16_e32 vcc, 0, v4
	v_cndmask_b32_e32 v3, v3, v8, vcc
	v_cndmask_b32_e32 v4, v6, v7, vcc
	v_lshlrev_b32_e32 v6, 8, v5
	v_mov_b32_e32 v7, 0x3b800000
	v_lshlrev_b32_e32 v3, 20, v3
	v_and_b32_e32 v6, 0x80000000, v6
	v_lshl_add_u32 v4, v4, 23, v7
	v_or3_b32 v4, v6, v4, v3
.LBB16_1016:
	s_or_b64 exec, exec, s[6:7]
	s_nop 0
	v_mfma_f32_16x16x4f32 a[0:3], v2, v4, a[0:3]
	s_movk_i32 s4, 0x7f
	v_cmp_gt_i16_sdwa s[6:7], v9, s4 src0_sel:BYTE_3 src1_sel:DWORD
	s_mov_b64 s[4:5], 0
                                        ; implicit-def: $sgpr10
	s_and_saveexec_b64 s[8:9], s[6:7]
	s_xor_b64 s[6:7], exec, s[8:9]
	s_cbranch_execnz .LBB16_3065
; %bb.1017:
	s_or_saveexec_b64 s[6:7], s[6:7]
	v_mov_b32_e32 v2, s10
	s_xor_b64 exec, exec, s[6:7]
	s_cbranch_execnz .LBB16_3068
.LBB16_1018:
	s_or_b64 exec, exec, s[6:7]
	s_and_saveexec_b64 s[6:7], s[4:5]
	s_cbranch_execz .LBB16_1020
.LBB16_1019:
	v_bfe_u32 v2, v9, 24, 3
	v_ffbh_u32_e32 v7, v2
	v_min_u32_e32 v7, 32, v7
	v_lshrrev_b32_e32 v4, 27, v9
	v_subrev_u32_e32 v8, 28, v7
	v_and_b32_e32 v4, 15, v4
	v_lshlrev_b32_sdwa v8, v8, v9 dst_sel:DWORD dst_unused:UNUSED_PAD src0_sel:DWORD src1_sel:BYTE_3
	v_bfe_u32 v6, v9, 27, 4
	v_sub_u32_e32 v7, 29, v7
	v_and_b32_e32 v8, 7, v8
	v_cmp_eq_u16_e32 vcc, 0, v4
	v_cndmask_b32_e32 v2, v2, v8, vcc
	v_cndmask_b32_e32 v4, v6, v7, vcc
	v_mov_b32_e32 v6, 0x3b800000
	v_and_b32_e32 v3, 0x80000000, v9
	v_lshlrev_b32_e32 v2, 20, v2
	v_lshl_add_u32 v4, v4, 23, v6
	v_or3_b32 v2, v3, v4, v2
.LBB16_1020:
	s_or_b64 exec, exec, s[6:7]
	s_movk_i32 s4, 0x7f
	v_cmp_gt_i16_sdwa s[6:7], v5, s4 src0_sel:BYTE_3 src1_sel:DWORD
	s_mov_b64 s[4:5], 0
                                        ; implicit-def: $sgpr10
	s_and_saveexec_b64 s[8:9], s[6:7]
	s_xor_b64 s[6:7], exec, s[8:9]
	s_cbranch_execnz .LBB16_3069
; %bb.1021:
	s_or_saveexec_b64 s[6:7], s[6:7]
	v_mov_b32_e32 v3, s10
	s_xor_b64 exec, exec, s[6:7]
	s_cbranch_execnz .LBB16_3072
.LBB16_1022:
	s_or_b64 exec, exec, s[6:7]
	s_and_saveexec_b64 s[6:7], s[4:5]
	s_cbranch_execz .LBB16_1024
.LBB16_1023:
	v_bfe_u32 v3, v5, 24, 3
	v_ffbh_u32_e32 v8, v3
	v_min_u32_e32 v8, 32, v8
	v_lshrrev_b32_e32 v6, 27, v5
	v_subrev_u32_e32 v9, 28, v8
	v_and_b32_e32 v4, 0x80000000, v5
	v_and_b32_e32 v6, 15, v6
	v_bfe_u32 v7, v5, 27, 4
	v_lshlrev_b32_sdwa v5, v9, v5 dst_sel:DWORD dst_unused:UNUSED_PAD src0_sel:DWORD src1_sel:BYTE_3
	v_sub_u32_e32 v8, 29, v8
	v_and_b32_e32 v5, 7, v5
	v_cmp_eq_u16_e32 vcc, 0, v6
	v_cndmask_b32_e32 v3, v3, v5, vcc
	v_cndmask_b32_e32 v5, v7, v8, vcc
	v_mov_b32_e32 v6, 0x3b800000
	v_lshlrev_b32_e32 v3, 20, v3
	v_lshl_add_u32 v5, v5, 23, v6
	v_or3_b32 v3, v4, v5, v3
.LBB16_1024:
	s_or_b64 exec, exec, s[6:7]
	s_nop 0
	v_mfma_f32_16x16x4f32 a[0:3], v2, v3, a[0:3]
	s_movk_i32 s4, 0x7f
                                        ; implicit-def: $sgpr10
	s_nop 7
	s_nop 1
	flat_store_dwordx4 v[18:19], a[0:3] offset:816
	flat_load_dwordx4 v[20:23], v[0:1] offset:16
	s_nop 0
	flat_load_dwordx2 v[18:19], v[0:1] offset:32
	s_waitcnt vmcnt(0) lgkmcnt(0)
	flat_load_dwordx4 v[14:17], v[20:21]
	flat_load_dwordx4 v[6:9], v[20:21] offset:16
	flat_load_dwordx4 v[10:13], v[22:23] offset:384
	;; [unrolled: 1-line block ×3, first 2 shown]
	s_waitcnt vmcnt(0) lgkmcnt(0)
	v_cmp_gt_i16_sdwa s[6:7], v14, s4 src0_sel:BYTE_0 src1_sel:DWORD
	s_mov_b64 s[4:5], 0
	s_and_saveexec_b64 s[8:9], s[6:7]
	s_xor_b64 s[6:7], exec, s[8:9]
	s_cbranch_execnz .LBB16_3073
; %bb.1025:
	s_or_saveexec_b64 s[6:7], s[6:7]
	v_mov_b32_e32 v20, s10
	s_xor_b64 exec, exec, s[6:7]
	s_cbranch_execnz .LBB16_3076
.LBB16_1026:
	s_or_b64 exec, exec, s[6:7]
	s_and_saveexec_b64 s[6:7], s[4:5]
	s_cbranch_execz .LBB16_1028
.LBB16_1027:
	v_and_b32_e32 v20, 7, v14
	v_ffbh_u32_e32 v22, v20
	v_min_u32_e32 v22, 32, v22
	v_lshrrev_b16_e32 v21, 3, v14
	v_subrev_u32_e32 v23, 28, v22
	v_and_b32_e32 v21, 15, v21
	v_lshlrev_b32_e32 v23, v23, v14
	v_sub_u32_e32 v22, 29, v22
	v_and_b32_e32 v23, 7, v23
	v_cmp_eq_u16_e32 vcc, 0, v21
	v_cndmask_b32_e32 v20, v20, v23, vcc
	v_cndmask_b32_e32 v21, v21, v22, vcc
	v_lshlrev_b32_e32 v22, 24, v14
	v_mov_b32_e32 v23, 0x3b800000
	v_lshlrev_b32_e32 v20, 20, v20
	v_and_b32_e32 v22, 0x80000000, v22
	v_lshl_add_u32 v21, v21, 23, v23
	v_or3_b32 v20, v22, v21, v20
.LBB16_1028:
	s_or_b64 exec, exec, s[6:7]
	s_movk_i32 s4, 0x7f
	v_cmp_gt_i16_sdwa s[6:7], v10, s4 src0_sel:BYTE_0 src1_sel:DWORD
	s_mov_b64 s[4:5], 0
                                        ; implicit-def: $sgpr10
	s_and_saveexec_b64 s[8:9], s[6:7]
	s_xor_b64 s[6:7], exec, s[8:9]
	s_cbranch_execnz .LBB16_3077
; %bb.1029:
	s_or_saveexec_b64 s[6:7], s[6:7]
	v_mov_b32_e32 v21, s10
	s_xor_b64 exec, exec, s[6:7]
	s_cbranch_execnz .LBB16_3080
.LBB16_1030:
	s_or_b64 exec, exec, s[6:7]
	s_and_saveexec_b64 s[6:7], s[4:5]
	s_cbranch_execz .LBB16_1032
.LBB16_1031:
	v_and_b32_e32 v21, 7, v10
	v_ffbh_u32_e32 v23, v21
	v_min_u32_e32 v23, 32, v23
	v_lshrrev_b16_e32 v22, 3, v10
	v_subrev_u32_e32 v24, 28, v23
	v_and_b32_e32 v22, 15, v22
	v_lshlrev_b32_e32 v24, v24, v10
	v_sub_u32_e32 v23, 29, v23
	v_and_b32_e32 v24, 7, v24
	v_cmp_eq_u16_e32 vcc, 0, v22
	v_cndmask_b32_e32 v21, v21, v24, vcc
	v_cndmask_b32_e32 v22, v22, v23, vcc
	v_lshlrev_b32_e32 v23, 24, v10
	v_mov_b32_e32 v24, 0x3b800000
	v_lshlrev_b32_e32 v21, 20, v21
	v_and_b32_e32 v23, 0x80000000, v23
	v_lshl_add_u32 v22, v22, 23, v24
	v_or3_b32 v21, v23, v22, v21
.LBB16_1032:
	s_or_b64 exec, exec, s[6:7]
	flat_load_dwordx4 a[0:3], v[18:19] offset:832
	s_movk_i32 s4, 0x7f
                                        ; implicit-def: $sgpr10
	s_waitcnt vmcnt(0) lgkmcnt(0)
	v_mfma_f32_16x16x4f32 a[0:3], v20, v21, a[0:3]
	v_lshrrev_b32_e32 v21, 8, v14
	v_cmp_gt_i16_sdwa s[6:7], v21, s4 src0_sel:BYTE_0 src1_sel:DWORD
	s_mov_b64 s[4:5], 0
	s_and_saveexec_b64 s[8:9], s[6:7]
	s_xor_b64 s[6:7], exec, s[8:9]
	s_cbranch_execnz .LBB16_3081
; %bb.1033:
	s_or_saveexec_b64 s[6:7], s[6:7]
	v_mov_b32_e32 v20, s10
	s_xor_b64 exec, exec, s[6:7]
	s_cbranch_execnz .LBB16_3084
.LBB16_1034:
	s_or_b64 exec, exec, s[6:7]
	s_and_saveexec_b64 s[6:7], s[4:5]
	s_cbranch_execz .LBB16_1036
.LBB16_1035:
	v_bfe_u32 v20, v14, 8, 3
	v_ffbh_u32_e32 v23, v20
	v_min_u32_e32 v23, 32, v23
	v_lshrrev_b16_e32 v22, 3, v21
	v_subrev_u32_e32 v24, 28, v23
	v_and_b32_e32 v22, 15, v22
	v_lshlrev_b32_e32 v21, v24, v21
	v_sub_u32_e32 v23, 29, v23
	v_and_b32_e32 v21, 7, v21
	v_cmp_eq_u16_e32 vcc, 0, v22
	v_cndmask_b32_e32 v20, v20, v21, vcc
	v_cndmask_b32_e32 v21, v22, v23, vcc
	v_lshlrev_b32_e32 v22, 16, v14
	v_mov_b32_e32 v23, 0x3b800000
	v_lshlrev_b32_e32 v20, 20, v20
	v_and_b32_e32 v22, 0x80000000, v22
	v_lshl_add_u32 v21, v21, 23, v23
	v_or3_b32 v20, v22, v21, v20
.LBB16_1036:
	s_or_b64 exec, exec, s[6:7]
	v_lshrrev_b32_e32 v21, 8, v10
	s_movk_i32 s4, 0x7f
	v_cmp_gt_i16_sdwa s[6:7], v21, s4 src0_sel:BYTE_0 src1_sel:DWORD
	s_mov_b64 s[4:5], 0
                                        ; implicit-def: $sgpr10
	s_and_saveexec_b64 s[8:9], s[6:7]
	s_xor_b64 s[6:7], exec, s[8:9]
	s_cbranch_execnz .LBB16_3085
; %bb.1037:
	s_or_saveexec_b64 s[6:7], s[6:7]
	v_mov_b32_e32 v22, s10
	s_xor_b64 exec, exec, s[6:7]
	s_cbranch_execnz .LBB16_3088
.LBB16_1038:
	s_or_b64 exec, exec, s[6:7]
	s_and_saveexec_b64 s[6:7], s[4:5]
	s_cbranch_execz .LBB16_1040
.LBB16_1039:
	v_bfe_u32 v22, v10, 8, 3
	v_ffbh_u32_e32 v24, v22
	v_min_u32_e32 v24, 32, v24
	v_lshrrev_b16_e32 v23, 3, v21
	v_subrev_u32_e32 v25, 28, v24
	v_and_b32_e32 v23, 15, v23
	v_lshlrev_b32_e32 v21, v25, v21
	v_sub_u32_e32 v24, 29, v24
	v_and_b32_e32 v21, 7, v21
	v_cmp_eq_u16_e32 vcc, 0, v23
	v_cndmask_b32_e32 v21, v22, v21, vcc
	v_cndmask_b32_e32 v22, v23, v24, vcc
	v_lshlrev_b32_e32 v23, 16, v10
	v_mov_b32_e32 v24, 0x3b800000
	v_lshlrev_b32_e32 v21, 20, v21
	v_and_b32_e32 v23, 0x80000000, v23
	v_lshl_add_u32 v22, v22, 23, v24
	v_or3_b32 v22, v23, v22, v21
.LBB16_1040:
	s_or_b64 exec, exec, s[6:7]
	s_nop 0
	v_mfma_f32_16x16x4f32 a[0:3], v20, v22, a[0:3]
	s_movk_i32 s4, 0xff
	v_and_b32_sdwa v21, v14, s4 dst_sel:DWORD dst_unused:UNUSED_PAD src0_sel:WORD_1 src1_sel:DWORD
	s_movk_i32 s4, 0x7f
	v_cmp_lt_i16_e32 vcc, s4, v21
	s_mov_b64 s[4:5], 0
                                        ; implicit-def: $sgpr10
	s_and_saveexec_b64 s[6:7], vcc
	s_xor_b64 s[6:7], exec, s[6:7]
	s_cbranch_execnz .LBB16_3089
; %bb.1041:
	s_or_saveexec_b64 s[6:7], s[6:7]
	v_mov_b32_e32 v20, s10
	s_xor_b64 exec, exec, s[6:7]
	s_cbranch_execnz .LBB16_3092
.LBB16_1042:
	s_or_b64 exec, exec, s[6:7]
	s_and_saveexec_b64 s[6:7], s[4:5]
	s_cbranch_execz .LBB16_1044
.LBB16_1043:
	v_bfe_u32 v20, v14, 16, 3
	v_ffbh_u32_e32 v23, v20
	v_min_u32_e32 v23, 32, v23
	v_lshrrev_b32_e32 v21, 19, v14
	v_subrev_u32_e32 v24, 28, v23
	v_and_b32_e32 v21, 15, v21
	v_lshlrev_b32_sdwa v24, v24, v14 dst_sel:DWORD dst_unused:UNUSED_PAD src0_sel:DWORD src1_sel:WORD_1
	v_bfe_u32 v22, v14, 19, 4
	v_sub_u32_e32 v23, 29, v23
	v_and_b32_e32 v24, 7, v24
	v_cmp_eq_u16_e32 vcc, 0, v21
	v_cndmask_b32_e32 v20, v20, v24, vcc
	v_cndmask_b32_e32 v21, v22, v23, vcc
	v_lshlrev_b32_e32 v22, 8, v14
	v_mov_b32_e32 v23, 0x3b800000
	v_lshlrev_b32_e32 v20, 20, v20
	v_and_b32_e32 v22, 0x80000000, v22
	v_lshl_add_u32 v21, v21, 23, v23
	v_or3_b32 v20, v22, v21, v20
.LBB16_1044:
	s_or_b64 exec, exec, s[6:7]
	s_movk_i32 s4, 0xff
	v_and_b32_sdwa v21, v10, s4 dst_sel:DWORD dst_unused:UNUSED_PAD src0_sel:WORD_1 src1_sel:DWORD
	s_movk_i32 s4, 0x7f
	v_cmp_lt_i16_e32 vcc, s4, v21
	s_mov_b64 s[4:5], 0
                                        ; implicit-def: $sgpr10
	s_and_saveexec_b64 s[6:7], vcc
	s_xor_b64 s[6:7], exec, s[6:7]
	s_cbranch_execnz .LBB16_3093
; %bb.1045:
	s_or_saveexec_b64 s[6:7], s[6:7]
	v_mov_b32_e32 v22, s10
	s_xor_b64 exec, exec, s[6:7]
	s_cbranch_execnz .LBB16_3096
.LBB16_1046:
	s_or_b64 exec, exec, s[6:7]
	s_and_saveexec_b64 s[6:7], s[4:5]
	s_cbranch_execz .LBB16_1048
.LBB16_1047:
	v_bfe_u32 v21, v10, 16, 3
	v_ffbh_u32_e32 v24, v21
	v_min_u32_e32 v24, 32, v24
	v_lshrrev_b32_e32 v22, 19, v10
	v_subrev_u32_e32 v25, 28, v24
	v_and_b32_e32 v22, 15, v22
	v_lshlrev_b32_sdwa v25, v25, v10 dst_sel:DWORD dst_unused:UNUSED_PAD src0_sel:DWORD src1_sel:WORD_1
	v_bfe_u32 v23, v10, 19, 4
	v_sub_u32_e32 v24, 29, v24
	v_and_b32_e32 v25, 7, v25
	v_cmp_eq_u16_e32 vcc, 0, v22
	v_cndmask_b32_e32 v21, v21, v25, vcc
	v_cndmask_b32_e32 v22, v23, v24, vcc
	v_lshlrev_b32_e32 v23, 8, v10
	v_mov_b32_e32 v24, 0x3b800000
	v_lshlrev_b32_e32 v21, 20, v21
	v_and_b32_e32 v23, 0x80000000, v23
	v_lshl_add_u32 v22, v22, 23, v24
	v_or3_b32 v22, v23, v22, v21
.LBB16_1048:
	s_or_b64 exec, exec, s[6:7]
	s_nop 0
	v_mfma_f32_16x16x4f32 a[0:3], v20, v22, a[0:3]
	s_movk_i32 s4, 0x7f
	v_cmp_gt_i16_sdwa s[6:7], v14, s4 src0_sel:BYTE_3 src1_sel:DWORD
	s_mov_b64 s[4:5], 0
                                        ; implicit-def: $sgpr10
	s_and_saveexec_b64 s[8:9], s[6:7]
	s_xor_b64 s[6:7], exec, s[8:9]
	s_cbranch_execnz .LBB16_3097
; %bb.1049:
	s_or_saveexec_b64 s[6:7], s[6:7]
	v_mov_b32_e32 v20, s10
	s_xor_b64 exec, exec, s[6:7]
	s_cbranch_execnz .LBB16_3100
.LBB16_1050:
	s_or_b64 exec, exec, s[6:7]
	s_and_saveexec_b64 s[6:7], s[4:5]
	s_cbranch_execz .LBB16_1052
.LBB16_1051:
	v_bfe_u32 v20, v14, 24, 3
	v_ffbh_u32_e32 v24, v20
	v_min_u32_e32 v24, 32, v24
	v_lshrrev_b32_e32 v22, 27, v14
	v_subrev_u32_e32 v25, 28, v24
	v_and_b32_e32 v21, 0x80000000, v14
	v_and_b32_e32 v22, 15, v22
	v_bfe_u32 v23, v14, 27, 4
	v_lshlrev_b32_sdwa v14, v25, v14 dst_sel:DWORD dst_unused:UNUSED_PAD src0_sel:DWORD src1_sel:BYTE_3
	v_sub_u32_e32 v24, 29, v24
	v_and_b32_e32 v14, 7, v14
	v_cmp_eq_u16_e32 vcc, 0, v22
	v_cndmask_b32_e32 v14, v20, v14, vcc
	v_cndmask_b32_e32 v20, v23, v24, vcc
	v_mov_b32_e32 v22, 0x3b800000
	v_lshlrev_b32_e32 v14, 20, v14
	v_lshl_add_u32 v20, v20, 23, v22
	v_or3_b32 v20, v21, v20, v14
.LBB16_1052:
	s_or_b64 exec, exec, s[6:7]
	s_movk_i32 s4, 0x7f
	v_cmp_gt_i16_sdwa s[6:7], v10, s4 src0_sel:BYTE_3 src1_sel:DWORD
	s_mov_b64 s[4:5], 0
                                        ; implicit-def: $sgpr10
	s_and_saveexec_b64 s[8:9], s[6:7]
	s_xor_b64 s[6:7], exec, s[8:9]
	s_cbranch_execnz .LBB16_3101
; %bb.1053:
	s_or_saveexec_b64 s[6:7], s[6:7]
	v_mov_b32_e32 v14, s10
	s_xor_b64 exec, exec, s[6:7]
	s_cbranch_execnz .LBB16_3104
.LBB16_1054:
	s_or_b64 exec, exec, s[6:7]
	s_and_saveexec_b64 s[6:7], s[4:5]
	s_cbranch_execz .LBB16_1056
.LBB16_1055:
	v_bfe_u32 v14, v10, 24, 3
	v_ffbh_u32_e32 v24, v14
	v_min_u32_e32 v24, 32, v24
	v_lshrrev_b32_e32 v22, 27, v10
	v_subrev_u32_e32 v25, 28, v24
	v_and_b32_e32 v21, 0x80000000, v10
	v_and_b32_e32 v22, 15, v22
	v_bfe_u32 v23, v10, 27, 4
	v_lshlrev_b32_sdwa v10, v25, v10 dst_sel:DWORD dst_unused:UNUSED_PAD src0_sel:DWORD src1_sel:BYTE_3
	v_sub_u32_e32 v24, 29, v24
	v_and_b32_e32 v10, 7, v10
	v_cmp_eq_u16_e32 vcc, 0, v22
	v_cndmask_b32_e32 v10, v14, v10, vcc
	v_cndmask_b32_e32 v14, v23, v24, vcc
	v_mov_b32_e32 v22, 0x3b800000
	v_lshlrev_b32_e32 v10, 20, v10
	v_lshl_add_u32 v14, v14, 23, v22
	v_or3_b32 v14, v21, v14, v10
.LBB16_1056:
	s_or_b64 exec, exec, s[6:7]
	s_nop 0
	v_mfma_f32_16x16x4f32 a[0:3], v20, v14, a[0:3]
	s_movk_i32 s4, 0x7f
	v_cmp_gt_i16_sdwa s[6:7], v15, s4 src0_sel:BYTE_0 src1_sel:DWORD
	s_mov_b64 s[4:5], 0
                                        ; implicit-def: $sgpr10
	s_and_saveexec_b64 s[8:9], s[6:7]
	s_xor_b64 s[6:7], exec, s[8:9]
	s_cbranch_execnz .LBB16_3105
; %bb.1057:
	s_or_saveexec_b64 s[6:7], s[6:7]
	v_mov_b32_e32 v10, s10
	s_xor_b64 exec, exec, s[6:7]
	s_cbranch_execnz .LBB16_3108
.LBB16_1058:
	s_or_b64 exec, exec, s[6:7]
	s_and_saveexec_b64 s[6:7], s[4:5]
	s_cbranch_execz .LBB16_1060
.LBB16_1059:
	v_and_b32_e32 v10, 7, v15
	v_ffbh_u32_e32 v20, v10
	v_min_u32_e32 v20, 32, v20
	v_lshrrev_b16_e32 v14, 3, v15
	v_subrev_u32_e32 v21, 28, v20
	v_and_b32_e32 v14, 15, v14
	v_lshlrev_b32_e32 v21, v21, v15
	v_sub_u32_e32 v20, 29, v20
	v_and_b32_e32 v21, 7, v21
	v_cmp_eq_u16_e32 vcc, 0, v14
	v_cndmask_b32_e32 v10, v10, v21, vcc
	v_cndmask_b32_e32 v14, v14, v20, vcc
	v_lshlrev_b32_e32 v20, 24, v15
	v_mov_b32_e32 v21, 0x3b800000
	v_lshlrev_b32_e32 v10, 20, v10
	v_and_b32_e32 v20, 0x80000000, v20
	v_lshl_add_u32 v14, v14, 23, v21
	v_or3_b32 v10, v20, v14, v10
.LBB16_1060:
	s_or_b64 exec, exec, s[6:7]
	s_movk_i32 s4, 0x7f
	v_cmp_gt_i16_sdwa s[6:7], v11, s4 src0_sel:BYTE_0 src1_sel:DWORD
	s_mov_b64 s[4:5], 0
                                        ; implicit-def: $sgpr10
	s_and_saveexec_b64 s[8:9], s[6:7]
	s_xor_b64 s[6:7], exec, s[8:9]
	s_cbranch_execnz .LBB16_3109
; %bb.1061:
	s_or_saveexec_b64 s[6:7], s[6:7]
	v_mov_b32_e32 v14, s10
	s_xor_b64 exec, exec, s[6:7]
	s_cbranch_execnz .LBB16_3112
.LBB16_1062:
	s_or_b64 exec, exec, s[6:7]
	s_and_saveexec_b64 s[6:7], s[4:5]
	s_cbranch_execz .LBB16_1064
.LBB16_1063:
	v_and_b32_e32 v14, 7, v11
	v_ffbh_u32_e32 v21, v14
	v_min_u32_e32 v21, 32, v21
	v_lshrrev_b16_e32 v20, 3, v11
	v_subrev_u32_e32 v22, 28, v21
	v_and_b32_e32 v20, 15, v20
	v_lshlrev_b32_e32 v22, v22, v11
	v_sub_u32_e32 v21, 29, v21
	v_and_b32_e32 v22, 7, v22
	v_cmp_eq_u16_e32 vcc, 0, v20
	v_cndmask_b32_e32 v14, v14, v22, vcc
	v_cndmask_b32_e32 v20, v20, v21, vcc
	v_lshlrev_b32_e32 v21, 24, v11
	v_mov_b32_e32 v22, 0x3b800000
	v_lshlrev_b32_e32 v14, 20, v14
	v_and_b32_e32 v21, 0x80000000, v21
	v_lshl_add_u32 v20, v20, 23, v22
	v_or3_b32 v14, v21, v20, v14
.LBB16_1064:
	s_or_b64 exec, exec, s[6:7]
	s_nop 0
	v_mfma_f32_16x16x4f32 a[0:3], v10, v14, a[0:3]
	v_lshrrev_b32_e32 v14, 8, v15
	s_movk_i32 s4, 0x7f
	v_cmp_gt_i16_sdwa s[6:7], v14, s4 src0_sel:BYTE_0 src1_sel:DWORD
	s_mov_b64 s[4:5], 0
                                        ; implicit-def: $sgpr10
	s_and_saveexec_b64 s[8:9], s[6:7]
	s_xor_b64 s[6:7], exec, s[8:9]
	s_cbranch_execnz .LBB16_3113
; %bb.1065:
	s_or_saveexec_b64 s[6:7], s[6:7]
	v_mov_b32_e32 v10, s10
	s_xor_b64 exec, exec, s[6:7]
	s_cbranch_execnz .LBB16_3116
.LBB16_1066:
	s_or_b64 exec, exec, s[6:7]
	s_and_saveexec_b64 s[6:7], s[4:5]
	s_cbranch_execz .LBB16_1068
.LBB16_1067:
	v_bfe_u32 v10, v15, 8, 3
	v_ffbh_u32_e32 v21, v10
	v_min_u32_e32 v21, 32, v21
	v_lshrrev_b16_e32 v20, 3, v14
	v_subrev_u32_e32 v22, 28, v21
	v_and_b32_e32 v20, 15, v20
	v_lshlrev_b32_e32 v14, v22, v14
	v_sub_u32_e32 v21, 29, v21
	v_and_b32_e32 v14, 7, v14
	v_cmp_eq_u16_e32 vcc, 0, v20
	v_cndmask_b32_e32 v10, v10, v14, vcc
	v_cndmask_b32_e32 v14, v20, v21, vcc
	v_lshlrev_b32_e32 v20, 16, v15
	v_mov_b32_e32 v21, 0x3b800000
	v_lshlrev_b32_e32 v10, 20, v10
	v_and_b32_e32 v20, 0x80000000, v20
	v_lshl_add_u32 v14, v14, 23, v21
	v_or3_b32 v10, v20, v14, v10
.LBB16_1068:
	s_or_b64 exec, exec, s[6:7]
	v_lshrrev_b32_e32 v14, 8, v11
	s_movk_i32 s4, 0x7f
	v_cmp_gt_i16_sdwa s[6:7], v14, s4 src0_sel:BYTE_0 src1_sel:DWORD
	s_mov_b64 s[4:5], 0
                                        ; implicit-def: $sgpr10
	s_and_saveexec_b64 s[8:9], s[6:7]
	s_xor_b64 s[6:7], exec, s[8:9]
	s_cbranch_execnz .LBB16_3117
; %bb.1069:
	s_or_saveexec_b64 s[6:7], s[6:7]
	v_mov_b32_e32 v20, s10
	s_xor_b64 exec, exec, s[6:7]
	s_cbranch_execnz .LBB16_3120
.LBB16_1070:
	s_or_b64 exec, exec, s[6:7]
	s_and_saveexec_b64 s[6:7], s[4:5]
	s_cbranch_execz .LBB16_1072
.LBB16_1071:
	v_bfe_u32 v20, v11, 8, 3
	v_ffbh_u32_e32 v22, v20
	v_min_u32_e32 v22, 32, v22
	v_lshrrev_b16_e32 v21, 3, v14
	v_subrev_u32_e32 v23, 28, v22
	v_and_b32_e32 v21, 15, v21
	v_lshlrev_b32_e32 v14, v23, v14
	v_sub_u32_e32 v22, 29, v22
	v_and_b32_e32 v14, 7, v14
	v_cmp_eq_u16_e32 vcc, 0, v21
	v_cndmask_b32_e32 v14, v20, v14, vcc
	v_cndmask_b32_e32 v20, v21, v22, vcc
	v_lshlrev_b32_e32 v21, 16, v11
	v_mov_b32_e32 v22, 0x3b800000
	v_lshlrev_b32_e32 v14, 20, v14
	v_and_b32_e32 v21, 0x80000000, v21
	v_lshl_add_u32 v20, v20, 23, v22
	v_or3_b32 v20, v21, v20, v14
.LBB16_1072:
	s_or_b64 exec, exec, s[6:7]
	s_nop 0
	v_mfma_f32_16x16x4f32 a[0:3], v10, v20, a[0:3]
	s_movk_i32 s4, 0xff
	v_and_b32_sdwa v14, v15, s4 dst_sel:DWORD dst_unused:UNUSED_PAD src0_sel:WORD_1 src1_sel:DWORD
	s_movk_i32 s4, 0x7f
	v_cmp_lt_i16_e32 vcc, s4, v14
	s_mov_b64 s[4:5], 0
                                        ; implicit-def: $sgpr10
	s_and_saveexec_b64 s[6:7], vcc
	s_xor_b64 s[6:7], exec, s[6:7]
	s_cbranch_execnz .LBB16_3121
; %bb.1073:
	s_or_saveexec_b64 s[6:7], s[6:7]
	v_mov_b32_e32 v10, s10
	s_xor_b64 exec, exec, s[6:7]
	s_cbranch_execnz .LBB16_3124
.LBB16_1074:
	s_or_b64 exec, exec, s[6:7]
	s_and_saveexec_b64 s[6:7], s[4:5]
	s_cbranch_execz .LBB16_1076
.LBB16_1075:
	v_bfe_u32 v10, v15, 16, 3
	v_ffbh_u32_e32 v21, v10
	v_min_u32_e32 v21, 32, v21
	v_lshrrev_b32_e32 v14, 19, v15
	v_subrev_u32_e32 v22, 28, v21
	v_and_b32_e32 v14, 15, v14
	v_lshlrev_b32_sdwa v22, v22, v15 dst_sel:DWORD dst_unused:UNUSED_PAD src0_sel:DWORD src1_sel:WORD_1
	v_bfe_u32 v20, v15, 19, 4
	v_sub_u32_e32 v21, 29, v21
	v_and_b32_e32 v22, 7, v22
	v_cmp_eq_u16_e32 vcc, 0, v14
	v_cndmask_b32_e32 v10, v10, v22, vcc
	v_cndmask_b32_e32 v14, v20, v21, vcc
	v_lshlrev_b32_e32 v20, 8, v15
	v_mov_b32_e32 v21, 0x3b800000
	v_lshlrev_b32_e32 v10, 20, v10
	v_and_b32_e32 v20, 0x80000000, v20
	v_lshl_add_u32 v14, v14, 23, v21
	v_or3_b32 v10, v20, v14, v10
.LBB16_1076:
	s_or_b64 exec, exec, s[6:7]
	s_movk_i32 s4, 0xff
	v_and_b32_sdwa v14, v11, s4 dst_sel:DWORD dst_unused:UNUSED_PAD src0_sel:WORD_1 src1_sel:DWORD
	s_movk_i32 s4, 0x7f
	v_cmp_lt_i16_e32 vcc, s4, v14
	s_mov_b64 s[4:5], 0
                                        ; implicit-def: $sgpr10
	s_and_saveexec_b64 s[6:7], vcc
	s_xor_b64 s[6:7], exec, s[6:7]
	s_cbranch_execnz .LBB16_3125
; %bb.1077:
	s_or_saveexec_b64 s[6:7], s[6:7]
	v_mov_b32_e32 v20, s10
	s_xor_b64 exec, exec, s[6:7]
	s_cbranch_execnz .LBB16_3128
.LBB16_1078:
	s_or_b64 exec, exec, s[6:7]
	s_and_saveexec_b64 s[6:7], s[4:5]
	s_cbranch_execz .LBB16_1080
.LBB16_1079:
	v_bfe_u32 v14, v11, 16, 3
	v_ffbh_u32_e32 v22, v14
	v_min_u32_e32 v22, 32, v22
	v_lshrrev_b32_e32 v20, 19, v11
	v_subrev_u32_e32 v23, 28, v22
	v_and_b32_e32 v20, 15, v20
	v_lshlrev_b32_sdwa v23, v23, v11 dst_sel:DWORD dst_unused:UNUSED_PAD src0_sel:DWORD src1_sel:WORD_1
	v_bfe_u32 v21, v11, 19, 4
	v_sub_u32_e32 v22, 29, v22
	v_and_b32_e32 v23, 7, v23
	v_cmp_eq_u16_e32 vcc, 0, v20
	v_cndmask_b32_e32 v14, v14, v23, vcc
	v_cndmask_b32_e32 v20, v21, v22, vcc
	v_lshlrev_b32_e32 v21, 8, v11
	v_mov_b32_e32 v22, 0x3b800000
	v_lshlrev_b32_e32 v14, 20, v14
	v_and_b32_e32 v21, 0x80000000, v21
	v_lshl_add_u32 v20, v20, 23, v22
	v_or3_b32 v20, v21, v20, v14
.LBB16_1080:
	s_or_b64 exec, exec, s[6:7]
	s_nop 0
	v_mfma_f32_16x16x4f32 a[0:3], v10, v20, a[0:3]
	s_movk_i32 s4, 0x7f
	v_cmp_gt_i16_sdwa s[6:7], v15, s4 src0_sel:BYTE_3 src1_sel:DWORD
	s_mov_b64 s[4:5], 0
                                        ; implicit-def: $sgpr10
	s_and_saveexec_b64 s[8:9], s[6:7]
	s_xor_b64 s[6:7], exec, s[8:9]
	s_cbranch_execnz .LBB16_3129
; %bb.1081:
	s_or_saveexec_b64 s[6:7], s[6:7]
	v_mov_b32_e32 v10, s10
	s_xor_b64 exec, exec, s[6:7]
	s_cbranch_execnz .LBB16_3132
.LBB16_1082:
	s_or_b64 exec, exec, s[6:7]
	s_and_saveexec_b64 s[6:7], s[4:5]
	s_cbranch_execz .LBB16_1084
.LBB16_1083:
	v_bfe_u32 v10, v15, 24, 3
	v_ffbh_u32_e32 v22, v10
	v_min_u32_e32 v22, 32, v22
	v_lshrrev_b32_e32 v20, 27, v15
	v_subrev_u32_e32 v23, 28, v22
	v_and_b32_e32 v14, 0x80000000, v15
	v_and_b32_e32 v20, 15, v20
	v_bfe_u32 v21, v15, 27, 4
	v_lshlrev_b32_sdwa v15, v23, v15 dst_sel:DWORD dst_unused:UNUSED_PAD src0_sel:DWORD src1_sel:BYTE_3
	v_sub_u32_e32 v22, 29, v22
	v_and_b32_e32 v15, 7, v15
	v_cmp_eq_u16_e32 vcc, 0, v20
	v_cndmask_b32_e32 v10, v10, v15, vcc
	v_cndmask_b32_e32 v15, v21, v22, vcc
	v_mov_b32_e32 v20, 0x3b800000
	v_lshlrev_b32_e32 v10, 20, v10
	v_lshl_add_u32 v15, v15, 23, v20
	v_or3_b32 v10, v14, v15, v10
.LBB16_1084:
	s_or_b64 exec, exec, s[6:7]
	s_movk_i32 s4, 0x7f
	v_cmp_gt_i16_sdwa s[6:7], v11, s4 src0_sel:BYTE_3 src1_sel:DWORD
	s_mov_b64 s[4:5], 0
                                        ; implicit-def: $sgpr10
	s_and_saveexec_b64 s[8:9], s[6:7]
	s_xor_b64 s[6:7], exec, s[8:9]
	s_cbranch_execnz .LBB16_3133
; %bb.1085:
	s_or_saveexec_b64 s[6:7], s[6:7]
	v_mov_b32_e32 v14, s10
	s_xor_b64 exec, exec, s[6:7]
	s_cbranch_execnz .LBB16_3136
.LBB16_1086:
	s_or_b64 exec, exec, s[6:7]
	s_and_saveexec_b64 s[6:7], s[4:5]
	s_cbranch_execz .LBB16_1088
.LBB16_1087:
	v_bfe_u32 v14, v11, 24, 3
	v_ffbh_u32_e32 v22, v14
	v_min_u32_e32 v22, 32, v22
	v_lshrrev_b32_e32 v20, 27, v11
	v_subrev_u32_e32 v23, 28, v22
	v_and_b32_e32 v15, 0x80000000, v11
	v_and_b32_e32 v20, 15, v20
	v_bfe_u32 v21, v11, 27, 4
	v_lshlrev_b32_sdwa v11, v23, v11 dst_sel:DWORD dst_unused:UNUSED_PAD src0_sel:DWORD src1_sel:BYTE_3
	v_sub_u32_e32 v22, 29, v22
	v_and_b32_e32 v11, 7, v11
	v_cmp_eq_u16_e32 vcc, 0, v20
	v_cndmask_b32_e32 v11, v14, v11, vcc
	v_cndmask_b32_e32 v14, v21, v22, vcc
	v_mov_b32_e32 v20, 0x3b800000
	v_lshlrev_b32_e32 v11, 20, v11
	v_lshl_add_u32 v14, v14, 23, v20
	v_or3_b32 v14, v15, v14, v11
.LBB16_1088:
	s_or_b64 exec, exec, s[6:7]
	s_nop 0
	v_mfma_f32_16x16x4f32 a[0:3], v10, v14, a[0:3]
	s_movk_i32 s4, 0x7f
	v_cmp_gt_i16_sdwa s[6:7], v16, s4 src0_sel:BYTE_0 src1_sel:DWORD
	s_mov_b64 s[4:5], 0
                                        ; implicit-def: $sgpr10
	s_and_saveexec_b64 s[8:9], s[6:7]
	s_xor_b64 s[6:7], exec, s[8:9]
	s_cbranch_execnz .LBB16_3137
; %bb.1089:
	s_or_saveexec_b64 s[6:7], s[6:7]
	v_mov_b32_e32 v10, s10
	s_xor_b64 exec, exec, s[6:7]
	s_cbranch_execnz .LBB16_3140
.LBB16_1090:
	s_or_b64 exec, exec, s[6:7]
	s_and_saveexec_b64 s[6:7], s[4:5]
	s_cbranch_execz .LBB16_1092
.LBB16_1091:
	v_and_b32_e32 v10, 7, v16
	v_ffbh_u32_e32 v14, v10
	v_min_u32_e32 v14, 32, v14
	v_lshrrev_b16_e32 v11, 3, v16
	v_subrev_u32_e32 v15, 28, v14
	v_and_b32_e32 v11, 15, v11
	v_lshlrev_b32_e32 v15, v15, v16
	v_sub_u32_e32 v14, 29, v14
	v_and_b32_e32 v15, 7, v15
	v_cmp_eq_u16_e32 vcc, 0, v11
	v_cndmask_b32_e32 v10, v10, v15, vcc
	v_cndmask_b32_e32 v11, v11, v14, vcc
	v_lshlrev_b32_e32 v14, 24, v16
	v_mov_b32_e32 v15, 0x3b800000
	v_lshlrev_b32_e32 v10, 20, v10
	v_and_b32_e32 v14, 0x80000000, v14
	v_lshl_add_u32 v11, v11, 23, v15
	v_or3_b32 v10, v14, v11, v10
.LBB16_1092:
	s_or_b64 exec, exec, s[6:7]
	s_movk_i32 s4, 0x7f
	v_cmp_gt_i16_sdwa s[6:7], v12, s4 src0_sel:BYTE_0 src1_sel:DWORD
	s_mov_b64 s[4:5], 0
                                        ; implicit-def: $sgpr10
	s_and_saveexec_b64 s[8:9], s[6:7]
	s_xor_b64 s[6:7], exec, s[8:9]
	s_cbranch_execnz .LBB16_3141
; %bb.1093:
	s_or_saveexec_b64 s[6:7], s[6:7]
	v_mov_b32_e32 v11, s10
	s_xor_b64 exec, exec, s[6:7]
	s_cbranch_execnz .LBB16_3144
.LBB16_1094:
	s_or_b64 exec, exec, s[6:7]
	s_and_saveexec_b64 s[6:7], s[4:5]
	s_cbranch_execz .LBB16_1096
.LBB16_1095:
	v_and_b32_e32 v11, 7, v12
	v_ffbh_u32_e32 v15, v11
	v_min_u32_e32 v15, 32, v15
	v_lshrrev_b16_e32 v14, 3, v12
	v_subrev_u32_e32 v20, 28, v15
	v_and_b32_e32 v14, 15, v14
	v_lshlrev_b32_e32 v20, v20, v12
	v_sub_u32_e32 v15, 29, v15
	v_and_b32_e32 v20, 7, v20
	v_cmp_eq_u16_e32 vcc, 0, v14
	v_cndmask_b32_e32 v11, v11, v20, vcc
	v_cndmask_b32_e32 v14, v14, v15, vcc
	v_lshlrev_b32_e32 v15, 24, v12
	v_mov_b32_e32 v20, 0x3b800000
	v_lshlrev_b32_e32 v11, 20, v11
	v_and_b32_e32 v15, 0x80000000, v15
	v_lshl_add_u32 v14, v14, 23, v20
	v_or3_b32 v11, v15, v14, v11
.LBB16_1096:
	s_or_b64 exec, exec, s[6:7]
	s_nop 0
	v_mfma_f32_16x16x4f32 a[0:3], v10, v11, a[0:3]
	v_lshrrev_b32_e32 v11, 8, v16
	s_movk_i32 s4, 0x7f
	v_cmp_gt_i16_sdwa s[6:7], v11, s4 src0_sel:BYTE_0 src1_sel:DWORD
	s_mov_b64 s[4:5], 0
                                        ; implicit-def: $sgpr10
	s_and_saveexec_b64 s[8:9], s[6:7]
	s_xor_b64 s[6:7], exec, s[8:9]
	s_cbranch_execnz .LBB16_3145
; %bb.1097:
	s_or_saveexec_b64 s[6:7], s[6:7]
	v_mov_b32_e32 v10, s10
	s_xor_b64 exec, exec, s[6:7]
	s_cbranch_execnz .LBB16_3148
.LBB16_1098:
	s_or_b64 exec, exec, s[6:7]
	s_and_saveexec_b64 s[6:7], s[4:5]
	s_cbranch_execz .LBB16_1100
.LBB16_1099:
	v_bfe_u32 v10, v16, 8, 3
	v_ffbh_u32_e32 v15, v10
	v_min_u32_e32 v15, 32, v15
	v_lshrrev_b16_e32 v14, 3, v11
	v_subrev_u32_e32 v20, 28, v15
	v_and_b32_e32 v14, 15, v14
	v_lshlrev_b32_e32 v11, v20, v11
	v_sub_u32_e32 v15, 29, v15
	v_and_b32_e32 v11, 7, v11
	v_cmp_eq_u16_e32 vcc, 0, v14
	v_cndmask_b32_e32 v10, v10, v11, vcc
	v_cndmask_b32_e32 v11, v14, v15, vcc
	v_lshlrev_b32_e32 v14, 16, v16
	v_mov_b32_e32 v15, 0x3b800000
	v_lshlrev_b32_e32 v10, 20, v10
	v_and_b32_e32 v14, 0x80000000, v14
	v_lshl_add_u32 v11, v11, 23, v15
	v_or3_b32 v10, v14, v11, v10
.LBB16_1100:
	s_or_b64 exec, exec, s[6:7]
	v_lshrrev_b32_e32 v11, 8, v12
	s_movk_i32 s4, 0x7f
	v_cmp_gt_i16_sdwa s[6:7], v11, s4 src0_sel:BYTE_0 src1_sel:DWORD
	s_mov_b64 s[4:5], 0
                                        ; implicit-def: $sgpr10
	s_and_saveexec_b64 s[8:9], s[6:7]
	s_xor_b64 s[6:7], exec, s[8:9]
	s_cbranch_execnz .LBB16_3149
; %bb.1101:
	s_or_saveexec_b64 s[6:7], s[6:7]
	v_mov_b32_e32 v14, s10
	s_xor_b64 exec, exec, s[6:7]
	s_cbranch_execnz .LBB16_3152
.LBB16_1102:
	s_or_b64 exec, exec, s[6:7]
	s_and_saveexec_b64 s[6:7], s[4:5]
	s_cbranch_execz .LBB16_1104
.LBB16_1103:
	v_bfe_u32 v14, v12, 8, 3
	v_ffbh_u32_e32 v20, v14
	v_min_u32_e32 v20, 32, v20
	v_lshrrev_b16_e32 v15, 3, v11
	v_subrev_u32_e32 v21, 28, v20
	v_and_b32_e32 v15, 15, v15
	v_lshlrev_b32_e32 v11, v21, v11
	v_sub_u32_e32 v20, 29, v20
	v_and_b32_e32 v11, 7, v11
	v_cmp_eq_u16_e32 vcc, 0, v15
	v_cndmask_b32_e32 v11, v14, v11, vcc
	v_cndmask_b32_e32 v14, v15, v20, vcc
	v_lshlrev_b32_e32 v15, 16, v12
	v_mov_b32_e32 v20, 0x3b800000
	v_lshlrev_b32_e32 v11, 20, v11
	v_and_b32_e32 v15, 0x80000000, v15
	v_lshl_add_u32 v14, v14, 23, v20
	v_or3_b32 v14, v15, v14, v11
.LBB16_1104:
	s_or_b64 exec, exec, s[6:7]
	s_nop 0
	v_mfma_f32_16x16x4f32 a[0:3], v10, v14, a[0:3]
	s_movk_i32 s4, 0xff
	v_and_b32_sdwa v11, v16, s4 dst_sel:DWORD dst_unused:UNUSED_PAD src0_sel:WORD_1 src1_sel:DWORD
	s_movk_i32 s4, 0x7f
	v_cmp_lt_i16_e32 vcc, s4, v11
	s_mov_b64 s[4:5], 0
                                        ; implicit-def: $sgpr10
	s_and_saveexec_b64 s[6:7], vcc
	s_xor_b64 s[6:7], exec, s[6:7]
	s_cbranch_execnz .LBB16_3153
; %bb.1105:
	s_or_saveexec_b64 s[6:7], s[6:7]
	v_mov_b32_e32 v10, s10
	s_xor_b64 exec, exec, s[6:7]
	s_cbranch_execnz .LBB16_3156
.LBB16_1106:
	s_or_b64 exec, exec, s[6:7]
	s_and_saveexec_b64 s[6:7], s[4:5]
	s_cbranch_execz .LBB16_1108
.LBB16_1107:
	v_bfe_u32 v10, v16, 16, 3
	v_ffbh_u32_e32 v15, v10
	v_min_u32_e32 v15, 32, v15
	v_lshrrev_b32_e32 v11, 19, v16
	v_subrev_u32_e32 v20, 28, v15
	v_and_b32_e32 v11, 15, v11
	v_lshlrev_b32_sdwa v20, v20, v16 dst_sel:DWORD dst_unused:UNUSED_PAD src0_sel:DWORD src1_sel:WORD_1
	v_bfe_u32 v14, v16, 19, 4
	v_sub_u32_e32 v15, 29, v15
	v_and_b32_e32 v20, 7, v20
	v_cmp_eq_u16_e32 vcc, 0, v11
	v_cndmask_b32_e32 v10, v10, v20, vcc
	v_cndmask_b32_e32 v11, v14, v15, vcc
	v_lshlrev_b32_e32 v14, 8, v16
	v_mov_b32_e32 v15, 0x3b800000
	v_lshlrev_b32_e32 v10, 20, v10
	v_and_b32_e32 v14, 0x80000000, v14
	v_lshl_add_u32 v11, v11, 23, v15
	v_or3_b32 v10, v14, v11, v10
.LBB16_1108:
	s_or_b64 exec, exec, s[6:7]
	s_movk_i32 s4, 0xff
	v_and_b32_sdwa v11, v12, s4 dst_sel:DWORD dst_unused:UNUSED_PAD src0_sel:WORD_1 src1_sel:DWORD
	s_movk_i32 s4, 0x7f
	v_cmp_lt_i16_e32 vcc, s4, v11
	s_mov_b64 s[4:5], 0
                                        ; implicit-def: $sgpr10
	s_and_saveexec_b64 s[6:7], vcc
	s_xor_b64 s[6:7], exec, s[6:7]
	s_cbranch_execnz .LBB16_3157
; %bb.1109:
	s_or_saveexec_b64 s[6:7], s[6:7]
	v_mov_b32_e32 v14, s10
	s_xor_b64 exec, exec, s[6:7]
	s_cbranch_execnz .LBB16_3160
.LBB16_1110:
	s_or_b64 exec, exec, s[6:7]
	s_and_saveexec_b64 s[6:7], s[4:5]
	s_cbranch_execz .LBB16_1112
.LBB16_1111:
	v_bfe_u32 v11, v12, 16, 3
	v_ffbh_u32_e32 v20, v11
	v_min_u32_e32 v20, 32, v20
	v_lshrrev_b32_e32 v14, 19, v12
	v_subrev_u32_e32 v21, 28, v20
	v_and_b32_e32 v14, 15, v14
	v_lshlrev_b32_sdwa v21, v21, v12 dst_sel:DWORD dst_unused:UNUSED_PAD src0_sel:DWORD src1_sel:WORD_1
	v_bfe_u32 v15, v12, 19, 4
	v_sub_u32_e32 v20, 29, v20
	v_and_b32_e32 v21, 7, v21
	v_cmp_eq_u16_e32 vcc, 0, v14
	v_cndmask_b32_e32 v11, v11, v21, vcc
	v_cndmask_b32_e32 v14, v15, v20, vcc
	v_lshlrev_b32_e32 v15, 8, v12
	v_mov_b32_e32 v20, 0x3b800000
	v_lshlrev_b32_e32 v11, 20, v11
	v_and_b32_e32 v15, 0x80000000, v15
	v_lshl_add_u32 v14, v14, 23, v20
	v_or3_b32 v14, v15, v14, v11
.LBB16_1112:
	s_or_b64 exec, exec, s[6:7]
	s_nop 0
	v_mfma_f32_16x16x4f32 a[0:3], v10, v14, a[0:3]
	s_movk_i32 s4, 0x7f
	v_cmp_gt_i16_sdwa s[6:7], v16, s4 src0_sel:BYTE_3 src1_sel:DWORD
	s_mov_b64 s[4:5], 0
                                        ; implicit-def: $sgpr10
	s_and_saveexec_b64 s[8:9], s[6:7]
	s_xor_b64 s[6:7], exec, s[8:9]
	s_cbranch_execnz .LBB16_3161
; %bb.1113:
	s_or_saveexec_b64 s[6:7], s[6:7]
	v_mov_b32_e32 v10, s10
	s_xor_b64 exec, exec, s[6:7]
	s_cbranch_execnz .LBB16_3164
.LBB16_1114:
	s_or_b64 exec, exec, s[6:7]
	s_and_saveexec_b64 s[6:7], s[4:5]
	s_cbranch_execz .LBB16_1116
.LBB16_1115:
	v_bfe_u32 v10, v16, 24, 3
	v_ffbh_u32_e32 v20, v10
	v_min_u32_e32 v20, 32, v20
	v_lshrrev_b32_e32 v14, 27, v16
	v_subrev_u32_e32 v21, 28, v20
	v_and_b32_e32 v11, 0x80000000, v16
	v_and_b32_e32 v14, 15, v14
	v_bfe_u32 v15, v16, 27, 4
	v_lshlrev_b32_sdwa v16, v21, v16 dst_sel:DWORD dst_unused:UNUSED_PAD src0_sel:DWORD src1_sel:BYTE_3
	v_sub_u32_e32 v20, 29, v20
	v_and_b32_e32 v16, 7, v16
	v_cmp_eq_u16_e32 vcc, 0, v14
	v_cndmask_b32_e32 v10, v10, v16, vcc
	v_cndmask_b32_e32 v14, v15, v20, vcc
	v_mov_b32_e32 v15, 0x3b800000
	v_lshlrev_b32_e32 v10, 20, v10
	v_lshl_add_u32 v14, v14, 23, v15
	v_or3_b32 v10, v11, v14, v10
.LBB16_1116:
	s_or_b64 exec, exec, s[6:7]
	s_movk_i32 s4, 0x7f
	v_cmp_gt_i16_sdwa s[6:7], v12, s4 src0_sel:BYTE_3 src1_sel:DWORD
	s_mov_b64 s[4:5], 0
                                        ; implicit-def: $sgpr10
	s_and_saveexec_b64 s[8:9], s[6:7]
	s_xor_b64 s[6:7], exec, s[8:9]
	s_cbranch_execnz .LBB16_3165
; %bb.1117:
	s_or_saveexec_b64 s[6:7], s[6:7]
	v_mov_b32_e32 v11, s10
	s_xor_b64 exec, exec, s[6:7]
	s_cbranch_execnz .LBB16_3168
.LBB16_1118:
	s_or_b64 exec, exec, s[6:7]
	s_and_saveexec_b64 s[6:7], s[4:5]
	s_cbranch_execz .LBB16_1120
.LBB16_1119:
	v_bfe_u32 v11, v12, 24, 3
	v_ffbh_u32_e32 v20, v11
	v_min_u32_e32 v20, 32, v20
	v_lshrrev_b32_e32 v15, 27, v12
	v_subrev_u32_e32 v21, 28, v20
	v_and_b32_e32 v14, 0x80000000, v12
	v_and_b32_e32 v15, 15, v15
	v_bfe_u32 v16, v12, 27, 4
	v_lshlrev_b32_sdwa v12, v21, v12 dst_sel:DWORD dst_unused:UNUSED_PAD src0_sel:DWORD src1_sel:BYTE_3
	v_sub_u32_e32 v20, 29, v20
	v_and_b32_e32 v12, 7, v12
	v_cmp_eq_u16_e32 vcc, 0, v15
	v_cndmask_b32_e32 v11, v11, v12, vcc
	v_cndmask_b32_e32 v12, v16, v20, vcc
	v_mov_b32_e32 v15, 0x3b800000
	v_lshlrev_b32_e32 v11, 20, v11
	v_lshl_add_u32 v12, v12, 23, v15
	v_or3_b32 v11, v14, v12, v11
.LBB16_1120:
	s_or_b64 exec, exec, s[6:7]
	s_nop 0
	v_mfma_f32_16x16x4f32 a[0:3], v10, v11, a[0:3]
	s_movk_i32 s4, 0x7f
	v_cmp_gt_i16_sdwa s[6:7], v17, s4 src0_sel:BYTE_0 src1_sel:DWORD
	s_mov_b64 s[4:5], 0
                                        ; implicit-def: $sgpr10
	s_and_saveexec_b64 s[8:9], s[6:7]
	s_xor_b64 s[6:7], exec, s[8:9]
	s_cbranch_execnz .LBB16_3169
; %bb.1121:
	s_or_saveexec_b64 s[6:7], s[6:7]
	v_mov_b32_e32 v10, s10
	s_xor_b64 exec, exec, s[6:7]
	s_cbranch_execnz .LBB16_3172
.LBB16_1122:
	s_or_b64 exec, exec, s[6:7]
	s_and_saveexec_b64 s[6:7], s[4:5]
	s_cbranch_execz .LBB16_1124
.LBB16_1123:
	v_and_b32_e32 v10, 7, v17
	v_ffbh_u32_e32 v12, v10
	v_min_u32_e32 v12, 32, v12
	v_lshrrev_b16_e32 v11, 3, v17
	v_subrev_u32_e32 v14, 28, v12
	v_and_b32_e32 v11, 15, v11
	v_lshlrev_b32_e32 v14, v14, v17
	v_sub_u32_e32 v12, 29, v12
	v_and_b32_e32 v14, 7, v14
	v_cmp_eq_u16_e32 vcc, 0, v11
	v_cndmask_b32_e32 v10, v10, v14, vcc
	v_cndmask_b32_e32 v11, v11, v12, vcc
	v_lshlrev_b32_e32 v12, 24, v17
	v_mov_b32_e32 v14, 0x3b800000
	v_lshlrev_b32_e32 v10, 20, v10
	v_and_b32_e32 v12, 0x80000000, v12
	v_lshl_add_u32 v11, v11, 23, v14
	v_or3_b32 v10, v12, v11, v10
.LBB16_1124:
	s_or_b64 exec, exec, s[6:7]
	s_movk_i32 s4, 0x7f
	v_cmp_gt_i16_sdwa s[6:7], v13, s4 src0_sel:BYTE_0 src1_sel:DWORD
	s_mov_b64 s[4:5], 0
                                        ; implicit-def: $sgpr10
	s_and_saveexec_b64 s[8:9], s[6:7]
	s_xor_b64 s[6:7], exec, s[8:9]
	s_cbranch_execnz .LBB16_3173
; %bb.1125:
	s_or_saveexec_b64 s[6:7], s[6:7]
	v_mov_b32_e32 v11, s10
	s_xor_b64 exec, exec, s[6:7]
	s_cbranch_execnz .LBB16_3176
.LBB16_1126:
	s_or_b64 exec, exec, s[6:7]
	s_and_saveexec_b64 s[6:7], s[4:5]
	s_cbranch_execz .LBB16_1128
.LBB16_1127:
	v_and_b32_e32 v11, 7, v13
	v_ffbh_u32_e32 v14, v11
	v_min_u32_e32 v14, 32, v14
	v_lshrrev_b16_e32 v12, 3, v13
	v_subrev_u32_e32 v15, 28, v14
	v_and_b32_e32 v12, 15, v12
	v_lshlrev_b32_e32 v15, v15, v13
	v_sub_u32_e32 v14, 29, v14
	v_and_b32_e32 v15, 7, v15
	v_cmp_eq_u16_e32 vcc, 0, v12
	v_cndmask_b32_e32 v11, v11, v15, vcc
	v_cndmask_b32_e32 v12, v12, v14, vcc
	v_lshlrev_b32_e32 v14, 24, v13
	v_mov_b32_e32 v15, 0x3b800000
	v_lshlrev_b32_e32 v11, 20, v11
	v_and_b32_e32 v14, 0x80000000, v14
	v_lshl_add_u32 v12, v12, 23, v15
	v_or3_b32 v11, v14, v12, v11
.LBB16_1128:
	s_or_b64 exec, exec, s[6:7]
	s_nop 0
	v_mfma_f32_16x16x4f32 a[0:3], v10, v11, a[0:3]
	v_lshrrev_b32_e32 v11, 8, v17
	s_movk_i32 s4, 0x7f
	v_cmp_gt_i16_sdwa s[6:7], v11, s4 src0_sel:BYTE_0 src1_sel:DWORD
	s_mov_b64 s[4:5], 0
                                        ; implicit-def: $sgpr10
	s_and_saveexec_b64 s[8:9], s[6:7]
	s_xor_b64 s[6:7], exec, s[8:9]
	s_cbranch_execnz .LBB16_3177
; %bb.1129:
	s_or_saveexec_b64 s[6:7], s[6:7]
	v_mov_b32_e32 v10, s10
	s_xor_b64 exec, exec, s[6:7]
	s_cbranch_execnz .LBB16_3180
.LBB16_1130:
	s_or_b64 exec, exec, s[6:7]
	s_and_saveexec_b64 s[6:7], s[4:5]
	s_cbranch_execz .LBB16_1132
.LBB16_1131:
	v_bfe_u32 v10, v17, 8, 3
	v_ffbh_u32_e32 v14, v10
	v_min_u32_e32 v14, 32, v14
	v_lshrrev_b16_e32 v12, 3, v11
	v_subrev_u32_e32 v15, 28, v14
	v_and_b32_e32 v12, 15, v12
	v_lshlrev_b32_e32 v11, v15, v11
	v_sub_u32_e32 v14, 29, v14
	v_and_b32_e32 v11, 7, v11
	v_cmp_eq_u16_e32 vcc, 0, v12
	v_cndmask_b32_e32 v10, v10, v11, vcc
	v_cndmask_b32_e32 v11, v12, v14, vcc
	v_lshlrev_b32_e32 v12, 16, v17
	v_mov_b32_e32 v14, 0x3b800000
	v_lshlrev_b32_e32 v10, 20, v10
	v_and_b32_e32 v12, 0x80000000, v12
	v_lshl_add_u32 v11, v11, 23, v14
	v_or3_b32 v10, v12, v11, v10
.LBB16_1132:
	s_or_b64 exec, exec, s[6:7]
	v_lshrrev_b32_e32 v11, 8, v13
	s_movk_i32 s4, 0x7f
	v_cmp_gt_i16_sdwa s[6:7], v11, s4 src0_sel:BYTE_0 src1_sel:DWORD
	s_mov_b64 s[4:5], 0
                                        ; implicit-def: $sgpr10
	s_and_saveexec_b64 s[8:9], s[6:7]
	s_xor_b64 s[6:7], exec, s[8:9]
	s_cbranch_execnz .LBB16_3181
; %bb.1133:
	s_or_saveexec_b64 s[6:7], s[6:7]
	v_mov_b32_e32 v12, s10
	s_xor_b64 exec, exec, s[6:7]
	s_cbranch_execnz .LBB16_3184
.LBB16_1134:
	s_or_b64 exec, exec, s[6:7]
	s_and_saveexec_b64 s[6:7], s[4:5]
	s_cbranch_execz .LBB16_1136
.LBB16_1135:
	v_bfe_u32 v12, v13, 8, 3
	v_ffbh_u32_e32 v15, v12
	v_min_u32_e32 v15, 32, v15
	v_lshrrev_b16_e32 v14, 3, v11
	v_subrev_u32_e32 v16, 28, v15
	v_and_b32_e32 v14, 15, v14
	v_lshlrev_b32_e32 v11, v16, v11
	v_sub_u32_e32 v15, 29, v15
	v_and_b32_e32 v11, 7, v11
	v_cmp_eq_u16_e32 vcc, 0, v14
	v_cndmask_b32_e32 v11, v12, v11, vcc
	v_cndmask_b32_e32 v12, v14, v15, vcc
	v_lshlrev_b32_e32 v14, 16, v13
	v_mov_b32_e32 v15, 0x3b800000
	v_lshlrev_b32_e32 v11, 20, v11
	v_and_b32_e32 v14, 0x80000000, v14
	v_lshl_add_u32 v12, v12, 23, v15
	v_or3_b32 v12, v14, v12, v11
.LBB16_1136:
	s_or_b64 exec, exec, s[6:7]
	s_nop 0
	v_mfma_f32_16x16x4f32 a[0:3], v10, v12, a[0:3]
	s_movk_i32 s4, 0xff
	v_and_b32_sdwa v11, v17, s4 dst_sel:DWORD dst_unused:UNUSED_PAD src0_sel:WORD_1 src1_sel:DWORD
	s_movk_i32 s4, 0x7f
	v_cmp_lt_i16_e32 vcc, s4, v11
	s_mov_b64 s[4:5], 0
                                        ; implicit-def: $sgpr10
	s_and_saveexec_b64 s[6:7], vcc
	s_xor_b64 s[6:7], exec, s[6:7]
	s_cbranch_execnz .LBB16_3185
; %bb.1137:
	s_or_saveexec_b64 s[6:7], s[6:7]
	v_mov_b32_e32 v10, s10
	s_xor_b64 exec, exec, s[6:7]
	s_cbranch_execnz .LBB16_3188
.LBB16_1138:
	s_or_b64 exec, exec, s[6:7]
	s_and_saveexec_b64 s[6:7], s[4:5]
	s_cbranch_execz .LBB16_1140
.LBB16_1139:
	v_bfe_u32 v10, v17, 16, 3
	v_ffbh_u32_e32 v14, v10
	v_min_u32_e32 v14, 32, v14
	v_lshrrev_b32_e32 v11, 19, v17
	v_subrev_u32_e32 v15, 28, v14
	v_and_b32_e32 v11, 15, v11
	v_lshlrev_b32_sdwa v15, v15, v17 dst_sel:DWORD dst_unused:UNUSED_PAD src0_sel:DWORD src1_sel:WORD_1
	v_bfe_u32 v12, v17, 19, 4
	v_sub_u32_e32 v14, 29, v14
	v_and_b32_e32 v15, 7, v15
	v_cmp_eq_u16_e32 vcc, 0, v11
	v_cndmask_b32_e32 v10, v10, v15, vcc
	v_cndmask_b32_e32 v11, v12, v14, vcc
	v_lshlrev_b32_e32 v12, 8, v17
	v_mov_b32_e32 v14, 0x3b800000
	v_lshlrev_b32_e32 v10, 20, v10
	v_and_b32_e32 v12, 0x80000000, v12
	v_lshl_add_u32 v11, v11, 23, v14
	v_or3_b32 v10, v12, v11, v10
.LBB16_1140:
	s_or_b64 exec, exec, s[6:7]
	s_movk_i32 s4, 0xff
	v_and_b32_sdwa v11, v13, s4 dst_sel:DWORD dst_unused:UNUSED_PAD src0_sel:WORD_1 src1_sel:DWORD
	s_movk_i32 s4, 0x7f
	v_cmp_lt_i16_e32 vcc, s4, v11
	s_mov_b64 s[4:5], 0
                                        ; implicit-def: $sgpr10
	s_and_saveexec_b64 s[6:7], vcc
	s_xor_b64 s[6:7], exec, s[6:7]
	s_cbranch_execnz .LBB16_3189
; %bb.1141:
	s_or_saveexec_b64 s[6:7], s[6:7]
	v_mov_b32_e32 v12, s10
	s_xor_b64 exec, exec, s[6:7]
	s_cbranch_execnz .LBB16_3192
.LBB16_1142:
	s_or_b64 exec, exec, s[6:7]
	s_and_saveexec_b64 s[6:7], s[4:5]
	s_cbranch_execz .LBB16_1144
.LBB16_1143:
	v_bfe_u32 v11, v13, 16, 3
	v_ffbh_u32_e32 v15, v11
	v_min_u32_e32 v15, 32, v15
	v_lshrrev_b32_e32 v12, 19, v13
	v_subrev_u32_e32 v16, 28, v15
	v_and_b32_e32 v12, 15, v12
	v_lshlrev_b32_sdwa v16, v16, v13 dst_sel:DWORD dst_unused:UNUSED_PAD src0_sel:DWORD src1_sel:WORD_1
	v_bfe_u32 v14, v13, 19, 4
	v_sub_u32_e32 v15, 29, v15
	v_and_b32_e32 v16, 7, v16
	v_cmp_eq_u16_e32 vcc, 0, v12
	v_cndmask_b32_e32 v11, v11, v16, vcc
	v_cndmask_b32_e32 v12, v14, v15, vcc
	v_lshlrev_b32_e32 v14, 8, v13
	v_mov_b32_e32 v15, 0x3b800000
	v_lshlrev_b32_e32 v11, 20, v11
	v_and_b32_e32 v14, 0x80000000, v14
	v_lshl_add_u32 v12, v12, 23, v15
	v_or3_b32 v12, v14, v12, v11
.LBB16_1144:
	s_or_b64 exec, exec, s[6:7]
	s_nop 0
	v_mfma_f32_16x16x4f32 a[0:3], v10, v12, a[0:3]
	s_movk_i32 s4, 0x7f
	v_cmp_gt_i16_sdwa s[6:7], v17, s4 src0_sel:BYTE_3 src1_sel:DWORD
	s_mov_b64 s[4:5], 0
                                        ; implicit-def: $sgpr10
	s_and_saveexec_b64 s[8:9], s[6:7]
	s_xor_b64 s[6:7], exec, s[8:9]
	s_cbranch_execnz .LBB16_3193
; %bb.1145:
	s_or_saveexec_b64 s[6:7], s[6:7]
	v_mov_b32_e32 v10, s10
	s_xor_b64 exec, exec, s[6:7]
	s_cbranch_execnz .LBB16_3196
.LBB16_1146:
	s_or_b64 exec, exec, s[6:7]
	s_and_saveexec_b64 s[6:7], s[4:5]
	s_cbranch_execz .LBB16_1148
.LBB16_1147:
	v_bfe_u32 v10, v17, 24, 3
	v_ffbh_u32_e32 v15, v10
	v_min_u32_e32 v15, 32, v15
	v_lshrrev_b32_e32 v12, 27, v17
	v_subrev_u32_e32 v16, 28, v15
	v_and_b32_e32 v12, 15, v12
	v_lshlrev_b32_sdwa v16, v16, v17 dst_sel:DWORD dst_unused:UNUSED_PAD src0_sel:DWORD src1_sel:BYTE_3
	v_bfe_u32 v14, v17, 27, 4
	v_sub_u32_e32 v15, 29, v15
	v_and_b32_e32 v16, 7, v16
	v_cmp_eq_u16_e32 vcc, 0, v12
	v_cndmask_b32_e32 v10, v10, v16, vcc
	v_cndmask_b32_e32 v12, v14, v15, vcc
	v_mov_b32_e32 v14, 0x3b800000
	v_and_b32_e32 v11, 0x80000000, v17
	v_lshlrev_b32_e32 v10, 20, v10
	v_lshl_add_u32 v12, v12, 23, v14
	v_or3_b32 v10, v11, v12, v10
.LBB16_1148:
	s_or_b64 exec, exec, s[6:7]
	s_movk_i32 s4, 0x7f
	v_cmp_gt_i16_sdwa s[6:7], v13, s4 src0_sel:BYTE_3 src1_sel:DWORD
	s_mov_b64 s[4:5], 0
                                        ; implicit-def: $sgpr10
	s_and_saveexec_b64 s[8:9], s[6:7]
	s_xor_b64 s[6:7], exec, s[8:9]
	s_cbranch_execnz .LBB16_3197
; %bb.1149:
	s_or_saveexec_b64 s[6:7], s[6:7]
	v_mov_b32_e32 v11, s10
	s_xor_b64 exec, exec, s[6:7]
	s_cbranch_execnz .LBB16_3200
.LBB16_1150:
	s_or_b64 exec, exec, s[6:7]
	s_and_saveexec_b64 s[6:7], s[4:5]
	s_cbranch_execz .LBB16_1152
.LBB16_1151:
	v_bfe_u32 v11, v13, 24, 3
	v_ffbh_u32_e32 v16, v11
	v_min_u32_e32 v16, 32, v16
	v_lshrrev_b32_e32 v14, 27, v13
	v_subrev_u32_e32 v17, 28, v16
	v_and_b32_e32 v12, 0x80000000, v13
	v_and_b32_e32 v14, 15, v14
	v_bfe_u32 v15, v13, 27, 4
	v_lshlrev_b32_sdwa v13, v17, v13 dst_sel:DWORD dst_unused:UNUSED_PAD src0_sel:DWORD src1_sel:BYTE_3
	v_sub_u32_e32 v16, 29, v16
	v_and_b32_e32 v13, 7, v13
	v_cmp_eq_u16_e32 vcc, 0, v14
	v_cndmask_b32_e32 v11, v11, v13, vcc
	v_cndmask_b32_e32 v13, v15, v16, vcc
	v_mov_b32_e32 v14, 0x3b800000
	v_lshlrev_b32_e32 v11, 20, v11
	v_lshl_add_u32 v13, v13, 23, v14
	v_or3_b32 v11, v12, v13, v11
.LBB16_1152:
	s_or_b64 exec, exec, s[6:7]
	s_nop 0
	v_mfma_f32_16x16x4f32 a[0:3], v10, v11, a[0:3]
	s_movk_i32 s4, 0x7f
	v_cmp_gt_i16_sdwa s[6:7], v6, s4 src0_sel:BYTE_0 src1_sel:DWORD
	s_mov_b64 s[4:5], 0
                                        ; implicit-def: $sgpr10
	s_and_saveexec_b64 s[8:9], s[6:7]
	s_xor_b64 s[6:7], exec, s[8:9]
	s_cbranch_execnz .LBB16_3201
; %bb.1153:
	s_or_saveexec_b64 s[6:7], s[6:7]
	v_mov_b32_e32 v10, s10
	s_xor_b64 exec, exec, s[6:7]
	s_cbranch_execnz .LBB16_3204
.LBB16_1154:
	s_or_b64 exec, exec, s[6:7]
	s_and_saveexec_b64 s[6:7], s[4:5]
	s_cbranch_execz .LBB16_1156
.LBB16_1155:
	v_and_b32_e32 v10, 7, v6
	v_ffbh_u32_e32 v12, v10
	v_min_u32_e32 v12, 32, v12
	v_lshrrev_b16_e32 v11, 3, v6
	v_subrev_u32_e32 v13, 28, v12
	v_and_b32_e32 v11, 15, v11
	v_lshlrev_b32_e32 v13, v13, v6
	v_sub_u32_e32 v12, 29, v12
	v_and_b32_e32 v13, 7, v13
	v_cmp_eq_u16_e32 vcc, 0, v11
	v_cndmask_b32_e32 v10, v10, v13, vcc
	v_cndmask_b32_e32 v11, v11, v12, vcc
	v_lshlrev_b32_e32 v12, 24, v6
	v_mov_b32_e32 v13, 0x3b800000
	v_lshlrev_b32_e32 v10, 20, v10
	v_and_b32_e32 v12, 0x80000000, v12
	v_lshl_add_u32 v11, v11, 23, v13
	v_or3_b32 v10, v12, v11, v10
.LBB16_1156:
	s_or_b64 exec, exec, s[6:7]
	s_movk_i32 s4, 0x7f
	v_cmp_gt_i16_sdwa s[6:7], v2, s4 src0_sel:BYTE_0 src1_sel:DWORD
	s_mov_b64 s[4:5], 0
                                        ; implicit-def: $sgpr10
	s_and_saveexec_b64 s[8:9], s[6:7]
	s_xor_b64 s[6:7], exec, s[8:9]
	s_cbranch_execnz .LBB16_3205
; %bb.1157:
	s_or_saveexec_b64 s[6:7], s[6:7]
	v_mov_b32_e32 v11, s10
	s_xor_b64 exec, exec, s[6:7]
	s_cbranch_execnz .LBB16_3208
.LBB16_1158:
	s_or_b64 exec, exec, s[6:7]
	s_and_saveexec_b64 s[6:7], s[4:5]
	s_cbranch_execz .LBB16_1160
.LBB16_1159:
	v_and_b32_e32 v11, 7, v2
	v_ffbh_u32_e32 v13, v11
	v_min_u32_e32 v13, 32, v13
	v_lshrrev_b16_e32 v12, 3, v2
	v_subrev_u32_e32 v14, 28, v13
	v_and_b32_e32 v12, 15, v12
	v_lshlrev_b32_e32 v14, v14, v2
	v_sub_u32_e32 v13, 29, v13
	v_and_b32_e32 v14, 7, v14
	v_cmp_eq_u16_e32 vcc, 0, v12
	v_cndmask_b32_e32 v11, v11, v14, vcc
	v_cndmask_b32_e32 v12, v12, v13, vcc
	v_lshlrev_b32_e32 v13, 24, v2
	v_mov_b32_e32 v14, 0x3b800000
	v_lshlrev_b32_e32 v11, 20, v11
	v_and_b32_e32 v13, 0x80000000, v13
	v_lshl_add_u32 v12, v12, 23, v14
	v_or3_b32 v11, v13, v12, v11
.LBB16_1160:
	s_or_b64 exec, exec, s[6:7]
	s_nop 0
	v_mfma_f32_16x16x4f32 a[0:3], v10, v11, a[0:3]
	v_lshrrev_b32_e32 v11, 8, v6
	s_movk_i32 s4, 0x7f
	v_cmp_gt_i16_sdwa s[6:7], v11, s4 src0_sel:BYTE_0 src1_sel:DWORD
	s_mov_b64 s[4:5], 0
                                        ; implicit-def: $sgpr10
	s_and_saveexec_b64 s[8:9], s[6:7]
	s_xor_b64 s[6:7], exec, s[8:9]
	s_cbranch_execnz .LBB16_3209
; %bb.1161:
	s_or_saveexec_b64 s[6:7], s[6:7]
	v_mov_b32_e32 v10, s10
	s_xor_b64 exec, exec, s[6:7]
	s_cbranch_execnz .LBB16_3212
.LBB16_1162:
	s_or_b64 exec, exec, s[6:7]
	s_and_saveexec_b64 s[6:7], s[4:5]
	s_cbranch_execz .LBB16_1164
.LBB16_1163:
	v_bfe_u32 v10, v6, 8, 3
	v_ffbh_u32_e32 v13, v10
	v_min_u32_e32 v13, 32, v13
	v_lshrrev_b16_e32 v12, 3, v11
	v_subrev_u32_e32 v14, 28, v13
	v_and_b32_e32 v12, 15, v12
	v_lshlrev_b32_e32 v11, v14, v11
	v_sub_u32_e32 v13, 29, v13
	v_and_b32_e32 v11, 7, v11
	v_cmp_eq_u16_e32 vcc, 0, v12
	v_cndmask_b32_e32 v10, v10, v11, vcc
	v_cndmask_b32_e32 v11, v12, v13, vcc
	v_lshlrev_b32_e32 v12, 16, v6
	v_mov_b32_e32 v13, 0x3b800000
	v_lshlrev_b32_e32 v10, 20, v10
	v_and_b32_e32 v12, 0x80000000, v12
	v_lshl_add_u32 v11, v11, 23, v13
	v_or3_b32 v10, v12, v11, v10
.LBB16_1164:
	s_or_b64 exec, exec, s[6:7]
	v_lshrrev_b32_e32 v11, 8, v2
	s_movk_i32 s4, 0x7f
	v_cmp_gt_i16_sdwa s[6:7], v11, s4 src0_sel:BYTE_0 src1_sel:DWORD
	s_mov_b64 s[4:5], 0
                                        ; implicit-def: $sgpr10
	s_and_saveexec_b64 s[8:9], s[6:7]
	s_xor_b64 s[6:7], exec, s[8:9]
	s_cbranch_execnz .LBB16_3213
; %bb.1165:
	s_or_saveexec_b64 s[6:7], s[6:7]
	v_mov_b32_e32 v12, s10
	s_xor_b64 exec, exec, s[6:7]
	s_cbranch_execnz .LBB16_3216
.LBB16_1166:
	s_or_b64 exec, exec, s[6:7]
	s_and_saveexec_b64 s[6:7], s[4:5]
	s_cbranch_execz .LBB16_1168
.LBB16_1167:
	v_bfe_u32 v12, v2, 8, 3
	v_ffbh_u32_e32 v14, v12
	v_min_u32_e32 v14, 32, v14
	v_lshrrev_b16_e32 v13, 3, v11
	v_subrev_u32_e32 v15, 28, v14
	v_and_b32_e32 v13, 15, v13
	v_lshlrev_b32_e32 v11, v15, v11
	v_sub_u32_e32 v14, 29, v14
	v_and_b32_e32 v11, 7, v11
	v_cmp_eq_u16_e32 vcc, 0, v13
	v_cndmask_b32_e32 v11, v12, v11, vcc
	v_cndmask_b32_e32 v12, v13, v14, vcc
	v_lshlrev_b32_e32 v13, 16, v2
	v_mov_b32_e32 v14, 0x3b800000
	v_lshlrev_b32_e32 v11, 20, v11
	v_and_b32_e32 v13, 0x80000000, v13
	v_lshl_add_u32 v12, v12, 23, v14
	v_or3_b32 v12, v13, v12, v11
.LBB16_1168:
	s_or_b64 exec, exec, s[6:7]
	s_nop 0
	v_mfma_f32_16x16x4f32 a[0:3], v10, v12, a[0:3]
	s_movk_i32 s4, 0xff
	v_and_b32_sdwa v11, v6, s4 dst_sel:DWORD dst_unused:UNUSED_PAD src0_sel:WORD_1 src1_sel:DWORD
	s_movk_i32 s4, 0x7f
	v_cmp_lt_i16_e32 vcc, s4, v11
	s_mov_b64 s[4:5], 0
                                        ; implicit-def: $sgpr10
	s_and_saveexec_b64 s[6:7], vcc
	s_xor_b64 s[6:7], exec, s[6:7]
	s_cbranch_execnz .LBB16_3217
; %bb.1169:
	s_or_saveexec_b64 s[6:7], s[6:7]
	v_mov_b32_e32 v10, s10
	s_xor_b64 exec, exec, s[6:7]
	s_cbranch_execnz .LBB16_3220
.LBB16_1170:
	s_or_b64 exec, exec, s[6:7]
	s_and_saveexec_b64 s[6:7], s[4:5]
	s_cbranch_execz .LBB16_1172
.LBB16_1171:
	v_bfe_u32 v10, v6, 16, 3
	v_ffbh_u32_e32 v13, v10
	v_min_u32_e32 v13, 32, v13
	v_lshrrev_b32_e32 v11, 19, v6
	v_subrev_u32_e32 v14, 28, v13
	v_and_b32_e32 v11, 15, v11
	v_lshlrev_b32_sdwa v14, v14, v6 dst_sel:DWORD dst_unused:UNUSED_PAD src0_sel:DWORD src1_sel:WORD_1
	v_bfe_u32 v12, v6, 19, 4
	v_sub_u32_e32 v13, 29, v13
	v_and_b32_e32 v14, 7, v14
	v_cmp_eq_u16_e32 vcc, 0, v11
	v_cndmask_b32_e32 v10, v10, v14, vcc
	v_cndmask_b32_e32 v11, v12, v13, vcc
	v_lshlrev_b32_e32 v12, 8, v6
	v_mov_b32_e32 v13, 0x3b800000
	v_lshlrev_b32_e32 v10, 20, v10
	v_and_b32_e32 v12, 0x80000000, v12
	v_lshl_add_u32 v11, v11, 23, v13
	v_or3_b32 v10, v12, v11, v10
.LBB16_1172:
	s_or_b64 exec, exec, s[6:7]
	s_movk_i32 s4, 0xff
	v_and_b32_sdwa v11, v2, s4 dst_sel:DWORD dst_unused:UNUSED_PAD src0_sel:WORD_1 src1_sel:DWORD
	s_movk_i32 s4, 0x7f
	v_cmp_lt_i16_e32 vcc, s4, v11
	s_mov_b64 s[4:5], 0
                                        ; implicit-def: $sgpr10
	s_and_saveexec_b64 s[6:7], vcc
	s_xor_b64 s[6:7], exec, s[6:7]
	s_cbranch_execnz .LBB16_3221
; %bb.1173:
	s_or_saveexec_b64 s[6:7], s[6:7]
	v_mov_b32_e32 v12, s10
	s_xor_b64 exec, exec, s[6:7]
	s_cbranch_execnz .LBB16_3224
.LBB16_1174:
	s_or_b64 exec, exec, s[6:7]
	s_and_saveexec_b64 s[6:7], s[4:5]
	s_cbranch_execz .LBB16_1176
.LBB16_1175:
	v_bfe_u32 v11, v2, 16, 3
	v_ffbh_u32_e32 v14, v11
	v_min_u32_e32 v14, 32, v14
	v_lshrrev_b32_e32 v12, 19, v2
	v_subrev_u32_e32 v15, 28, v14
	v_and_b32_e32 v12, 15, v12
	v_lshlrev_b32_sdwa v15, v15, v2 dst_sel:DWORD dst_unused:UNUSED_PAD src0_sel:DWORD src1_sel:WORD_1
	v_bfe_u32 v13, v2, 19, 4
	v_sub_u32_e32 v14, 29, v14
	v_and_b32_e32 v15, 7, v15
	v_cmp_eq_u16_e32 vcc, 0, v12
	v_cndmask_b32_e32 v11, v11, v15, vcc
	v_cndmask_b32_e32 v12, v13, v14, vcc
	v_lshlrev_b32_e32 v13, 8, v2
	v_mov_b32_e32 v14, 0x3b800000
	v_lshlrev_b32_e32 v11, 20, v11
	v_and_b32_e32 v13, 0x80000000, v13
	v_lshl_add_u32 v12, v12, 23, v14
	v_or3_b32 v12, v13, v12, v11
.LBB16_1176:
	s_or_b64 exec, exec, s[6:7]
	s_nop 0
	v_mfma_f32_16x16x4f32 a[0:3], v10, v12, a[0:3]
	s_movk_i32 s4, 0x7f
	v_cmp_gt_i16_sdwa s[6:7], v6, s4 src0_sel:BYTE_3 src1_sel:DWORD
	s_mov_b64 s[4:5], 0
                                        ; implicit-def: $sgpr10
	s_and_saveexec_b64 s[8:9], s[6:7]
	s_xor_b64 s[6:7], exec, s[8:9]
	s_cbranch_execnz .LBB16_3225
; %bb.1177:
	s_or_saveexec_b64 s[6:7], s[6:7]
	v_mov_b32_e32 v10, s10
	s_xor_b64 exec, exec, s[6:7]
	s_cbranch_execnz .LBB16_3228
.LBB16_1178:
	s_or_b64 exec, exec, s[6:7]
	s_and_saveexec_b64 s[6:7], s[4:5]
	s_cbranch_execz .LBB16_1180
.LBB16_1179:
	v_bfe_u32 v10, v6, 24, 3
	v_ffbh_u32_e32 v14, v10
	v_min_u32_e32 v14, 32, v14
	v_lshrrev_b32_e32 v12, 27, v6
	v_subrev_u32_e32 v15, 28, v14
	v_and_b32_e32 v11, 0x80000000, v6
	v_and_b32_e32 v12, 15, v12
	v_bfe_u32 v13, v6, 27, 4
	v_lshlrev_b32_sdwa v6, v15, v6 dst_sel:DWORD dst_unused:UNUSED_PAD src0_sel:DWORD src1_sel:BYTE_3
	v_sub_u32_e32 v14, 29, v14
	v_and_b32_e32 v6, 7, v6
	v_cmp_eq_u16_e32 vcc, 0, v12
	v_cndmask_b32_e32 v6, v10, v6, vcc
	v_cndmask_b32_e32 v10, v13, v14, vcc
	v_mov_b32_e32 v12, 0x3b800000
	v_lshlrev_b32_e32 v6, 20, v6
	v_lshl_add_u32 v10, v10, 23, v12
	v_or3_b32 v10, v11, v10, v6
.LBB16_1180:
	s_or_b64 exec, exec, s[6:7]
	s_movk_i32 s4, 0x7f
	v_cmp_gt_i16_sdwa s[6:7], v2, s4 src0_sel:BYTE_3 src1_sel:DWORD
	s_mov_b64 s[4:5], 0
                                        ; implicit-def: $sgpr10
	s_and_saveexec_b64 s[8:9], s[6:7]
	s_xor_b64 s[6:7], exec, s[8:9]
	s_cbranch_execnz .LBB16_3229
; %bb.1181:
	s_or_saveexec_b64 s[6:7], s[6:7]
	v_mov_b32_e32 v6, s10
	s_xor_b64 exec, exec, s[6:7]
	s_cbranch_execnz .LBB16_3232
.LBB16_1182:
	s_or_b64 exec, exec, s[6:7]
	s_and_saveexec_b64 s[6:7], s[4:5]
	s_cbranch_execz .LBB16_1184
.LBB16_1183:
	v_bfe_u32 v6, v2, 24, 3
	v_ffbh_u32_e32 v14, v6
	v_min_u32_e32 v14, 32, v14
	v_lshrrev_b32_e32 v12, 27, v2
	v_subrev_u32_e32 v15, 28, v14
	v_and_b32_e32 v11, 0x80000000, v2
	v_and_b32_e32 v12, 15, v12
	v_bfe_u32 v13, v2, 27, 4
	v_lshlrev_b32_sdwa v2, v15, v2 dst_sel:DWORD dst_unused:UNUSED_PAD src0_sel:DWORD src1_sel:BYTE_3
	v_sub_u32_e32 v14, 29, v14
	v_and_b32_e32 v2, 7, v2
	v_cmp_eq_u16_e32 vcc, 0, v12
	v_cndmask_b32_e32 v2, v6, v2, vcc
	v_cndmask_b32_e32 v6, v13, v14, vcc
	v_mov_b32_e32 v12, 0x3b800000
	v_lshlrev_b32_e32 v2, 20, v2
	v_lshl_add_u32 v6, v6, 23, v12
	v_or3_b32 v6, v11, v6, v2
.LBB16_1184:
	s_or_b64 exec, exec, s[6:7]
	s_nop 0
	v_mfma_f32_16x16x4f32 a[0:3], v10, v6, a[0:3]
	s_movk_i32 s4, 0x7f
	v_cmp_gt_i16_sdwa s[6:7], v7, s4 src0_sel:BYTE_0 src1_sel:DWORD
	s_mov_b64 s[4:5], 0
                                        ; implicit-def: $sgpr10
	s_and_saveexec_b64 s[8:9], s[6:7]
	s_xor_b64 s[6:7], exec, s[8:9]
	s_cbranch_execnz .LBB16_3233
; %bb.1185:
	s_or_saveexec_b64 s[6:7], s[6:7]
	v_mov_b32_e32 v2, s10
	s_xor_b64 exec, exec, s[6:7]
	s_cbranch_execnz .LBB16_3236
.LBB16_1186:
	s_or_b64 exec, exec, s[6:7]
	s_and_saveexec_b64 s[6:7], s[4:5]
	s_cbranch_execz .LBB16_1188
.LBB16_1187:
	v_and_b32_e32 v2, 7, v7
	v_ffbh_u32_e32 v10, v2
	v_min_u32_e32 v10, 32, v10
	v_lshrrev_b16_e32 v6, 3, v7
	v_subrev_u32_e32 v11, 28, v10
	v_and_b32_e32 v6, 15, v6
	v_lshlrev_b32_e32 v11, v11, v7
	v_sub_u32_e32 v10, 29, v10
	v_and_b32_e32 v11, 7, v11
	v_cmp_eq_u16_e32 vcc, 0, v6
	v_cndmask_b32_e32 v2, v2, v11, vcc
	v_cndmask_b32_e32 v6, v6, v10, vcc
	v_lshlrev_b32_e32 v10, 24, v7
	v_mov_b32_e32 v11, 0x3b800000
	v_lshlrev_b32_e32 v2, 20, v2
	v_and_b32_e32 v10, 0x80000000, v10
	v_lshl_add_u32 v6, v6, 23, v11
	v_or3_b32 v2, v10, v6, v2
.LBB16_1188:
	s_or_b64 exec, exec, s[6:7]
	s_movk_i32 s4, 0x7f
	v_cmp_gt_i16_sdwa s[6:7], v3, s4 src0_sel:BYTE_0 src1_sel:DWORD
	s_mov_b64 s[4:5], 0
                                        ; implicit-def: $sgpr10
	s_and_saveexec_b64 s[8:9], s[6:7]
	s_xor_b64 s[6:7], exec, s[8:9]
	s_cbranch_execnz .LBB16_3237
; %bb.1189:
	s_or_saveexec_b64 s[6:7], s[6:7]
	v_mov_b32_e32 v6, s10
	s_xor_b64 exec, exec, s[6:7]
	s_cbranch_execnz .LBB16_3240
.LBB16_1190:
	s_or_b64 exec, exec, s[6:7]
	s_and_saveexec_b64 s[6:7], s[4:5]
	s_cbranch_execz .LBB16_1192
.LBB16_1191:
	v_and_b32_e32 v6, 7, v3
	v_ffbh_u32_e32 v11, v6
	v_min_u32_e32 v11, 32, v11
	v_lshrrev_b16_e32 v10, 3, v3
	v_subrev_u32_e32 v12, 28, v11
	v_and_b32_e32 v10, 15, v10
	v_lshlrev_b32_e32 v12, v12, v3
	v_sub_u32_e32 v11, 29, v11
	v_and_b32_e32 v12, 7, v12
	v_cmp_eq_u16_e32 vcc, 0, v10
	v_cndmask_b32_e32 v6, v6, v12, vcc
	v_cndmask_b32_e32 v10, v10, v11, vcc
	v_lshlrev_b32_e32 v11, 24, v3
	v_mov_b32_e32 v12, 0x3b800000
	v_lshlrev_b32_e32 v6, 20, v6
	v_and_b32_e32 v11, 0x80000000, v11
	v_lshl_add_u32 v10, v10, 23, v12
	v_or3_b32 v6, v11, v10, v6
.LBB16_1192:
	s_or_b64 exec, exec, s[6:7]
	s_nop 0
	v_mfma_f32_16x16x4f32 a[0:3], v2, v6, a[0:3]
	v_lshrrev_b32_e32 v6, 8, v7
	s_movk_i32 s4, 0x7f
	v_cmp_gt_i16_sdwa s[6:7], v6, s4 src0_sel:BYTE_0 src1_sel:DWORD
	s_mov_b64 s[4:5], 0
                                        ; implicit-def: $sgpr10
	s_and_saveexec_b64 s[8:9], s[6:7]
	s_xor_b64 s[6:7], exec, s[8:9]
	s_cbranch_execnz .LBB16_3241
; %bb.1193:
	s_or_saveexec_b64 s[6:7], s[6:7]
	v_mov_b32_e32 v2, s10
	s_xor_b64 exec, exec, s[6:7]
	s_cbranch_execnz .LBB16_3244
.LBB16_1194:
	s_or_b64 exec, exec, s[6:7]
	s_and_saveexec_b64 s[6:7], s[4:5]
	s_cbranch_execz .LBB16_1196
.LBB16_1195:
	v_bfe_u32 v2, v7, 8, 3
	v_ffbh_u32_e32 v11, v2
	v_min_u32_e32 v11, 32, v11
	v_lshrrev_b16_e32 v10, 3, v6
	v_subrev_u32_e32 v12, 28, v11
	v_and_b32_e32 v10, 15, v10
	v_lshlrev_b32_e32 v6, v12, v6
	v_sub_u32_e32 v11, 29, v11
	v_and_b32_e32 v6, 7, v6
	v_cmp_eq_u16_e32 vcc, 0, v10
	v_cndmask_b32_e32 v2, v2, v6, vcc
	v_cndmask_b32_e32 v6, v10, v11, vcc
	v_lshlrev_b32_e32 v10, 16, v7
	v_mov_b32_e32 v11, 0x3b800000
	v_lshlrev_b32_e32 v2, 20, v2
	v_and_b32_e32 v10, 0x80000000, v10
	v_lshl_add_u32 v6, v6, 23, v11
	v_or3_b32 v2, v10, v6, v2
.LBB16_1196:
	s_or_b64 exec, exec, s[6:7]
	v_lshrrev_b32_e32 v6, 8, v3
	s_movk_i32 s4, 0x7f
	v_cmp_gt_i16_sdwa s[6:7], v6, s4 src0_sel:BYTE_0 src1_sel:DWORD
	s_mov_b64 s[4:5], 0
                                        ; implicit-def: $sgpr10
	s_and_saveexec_b64 s[8:9], s[6:7]
	s_xor_b64 s[6:7], exec, s[8:9]
	s_cbranch_execnz .LBB16_3245
; %bb.1197:
	s_or_saveexec_b64 s[6:7], s[6:7]
	v_mov_b32_e32 v10, s10
	s_xor_b64 exec, exec, s[6:7]
	s_cbranch_execnz .LBB16_3248
.LBB16_1198:
	s_or_b64 exec, exec, s[6:7]
	s_and_saveexec_b64 s[6:7], s[4:5]
	s_cbranch_execz .LBB16_1200
.LBB16_1199:
	v_bfe_u32 v10, v3, 8, 3
	v_ffbh_u32_e32 v12, v10
	v_min_u32_e32 v12, 32, v12
	v_lshrrev_b16_e32 v11, 3, v6
	v_subrev_u32_e32 v13, 28, v12
	v_and_b32_e32 v11, 15, v11
	v_lshlrev_b32_e32 v6, v13, v6
	v_sub_u32_e32 v12, 29, v12
	v_and_b32_e32 v6, 7, v6
	v_cmp_eq_u16_e32 vcc, 0, v11
	v_cndmask_b32_e32 v6, v10, v6, vcc
	v_cndmask_b32_e32 v10, v11, v12, vcc
	v_lshlrev_b32_e32 v11, 16, v3
	v_mov_b32_e32 v12, 0x3b800000
	v_lshlrev_b32_e32 v6, 20, v6
	v_and_b32_e32 v11, 0x80000000, v11
	v_lshl_add_u32 v10, v10, 23, v12
	v_or3_b32 v10, v11, v10, v6
.LBB16_1200:
	s_or_b64 exec, exec, s[6:7]
	s_nop 0
	v_mfma_f32_16x16x4f32 a[0:3], v2, v10, a[0:3]
	s_movk_i32 s4, 0xff
	v_and_b32_sdwa v6, v7, s4 dst_sel:DWORD dst_unused:UNUSED_PAD src0_sel:WORD_1 src1_sel:DWORD
	s_movk_i32 s4, 0x7f
	v_cmp_lt_i16_e32 vcc, s4, v6
	s_mov_b64 s[4:5], 0
                                        ; implicit-def: $sgpr10
	s_and_saveexec_b64 s[6:7], vcc
	s_xor_b64 s[6:7], exec, s[6:7]
	s_cbranch_execnz .LBB16_3249
; %bb.1201:
	s_or_saveexec_b64 s[6:7], s[6:7]
	v_mov_b32_e32 v2, s10
	s_xor_b64 exec, exec, s[6:7]
	s_cbranch_execnz .LBB16_3252
.LBB16_1202:
	s_or_b64 exec, exec, s[6:7]
	s_and_saveexec_b64 s[6:7], s[4:5]
	s_cbranch_execz .LBB16_1204
.LBB16_1203:
	v_bfe_u32 v2, v7, 16, 3
	v_ffbh_u32_e32 v11, v2
	v_min_u32_e32 v11, 32, v11
	v_lshrrev_b32_e32 v6, 19, v7
	v_subrev_u32_e32 v12, 28, v11
	v_and_b32_e32 v6, 15, v6
	v_lshlrev_b32_sdwa v12, v12, v7 dst_sel:DWORD dst_unused:UNUSED_PAD src0_sel:DWORD src1_sel:WORD_1
	v_bfe_u32 v10, v7, 19, 4
	v_sub_u32_e32 v11, 29, v11
	v_and_b32_e32 v12, 7, v12
	v_cmp_eq_u16_e32 vcc, 0, v6
	v_cndmask_b32_e32 v2, v2, v12, vcc
	v_cndmask_b32_e32 v6, v10, v11, vcc
	v_lshlrev_b32_e32 v10, 8, v7
	v_mov_b32_e32 v11, 0x3b800000
	v_lshlrev_b32_e32 v2, 20, v2
	v_and_b32_e32 v10, 0x80000000, v10
	v_lshl_add_u32 v6, v6, 23, v11
	v_or3_b32 v2, v10, v6, v2
.LBB16_1204:
	s_or_b64 exec, exec, s[6:7]
	s_movk_i32 s4, 0xff
	v_and_b32_sdwa v6, v3, s4 dst_sel:DWORD dst_unused:UNUSED_PAD src0_sel:WORD_1 src1_sel:DWORD
	s_movk_i32 s4, 0x7f
	v_cmp_lt_i16_e32 vcc, s4, v6
	s_mov_b64 s[4:5], 0
                                        ; implicit-def: $sgpr10
	s_and_saveexec_b64 s[6:7], vcc
	s_xor_b64 s[6:7], exec, s[6:7]
	s_cbranch_execnz .LBB16_3253
; %bb.1205:
	s_or_saveexec_b64 s[6:7], s[6:7]
	v_mov_b32_e32 v10, s10
	s_xor_b64 exec, exec, s[6:7]
	s_cbranch_execnz .LBB16_3256
.LBB16_1206:
	s_or_b64 exec, exec, s[6:7]
	s_and_saveexec_b64 s[6:7], s[4:5]
	s_cbranch_execz .LBB16_1208
.LBB16_1207:
	v_bfe_u32 v6, v3, 16, 3
	v_ffbh_u32_e32 v12, v6
	v_min_u32_e32 v12, 32, v12
	v_lshrrev_b32_e32 v10, 19, v3
	v_subrev_u32_e32 v13, 28, v12
	v_and_b32_e32 v10, 15, v10
	v_lshlrev_b32_sdwa v13, v13, v3 dst_sel:DWORD dst_unused:UNUSED_PAD src0_sel:DWORD src1_sel:WORD_1
	v_bfe_u32 v11, v3, 19, 4
	v_sub_u32_e32 v12, 29, v12
	v_and_b32_e32 v13, 7, v13
	v_cmp_eq_u16_e32 vcc, 0, v10
	v_cndmask_b32_e32 v6, v6, v13, vcc
	v_cndmask_b32_e32 v10, v11, v12, vcc
	v_lshlrev_b32_e32 v11, 8, v3
	v_mov_b32_e32 v12, 0x3b800000
	v_lshlrev_b32_e32 v6, 20, v6
	v_and_b32_e32 v11, 0x80000000, v11
	v_lshl_add_u32 v10, v10, 23, v12
	v_or3_b32 v10, v11, v10, v6
.LBB16_1208:
	s_or_b64 exec, exec, s[6:7]
	s_nop 0
	v_mfma_f32_16x16x4f32 a[0:3], v2, v10, a[0:3]
	s_movk_i32 s4, 0x7f
	v_cmp_gt_i16_sdwa s[6:7], v7, s4 src0_sel:BYTE_3 src1_sel:DWORD
	s_mov_b64 s[4:5], 0
                                        ; implicit-def: $sgpr10
	s_and_saveexec_b64 s[8:9], s[6:7]
	s_xor_b64 s[6:7], exec, s[8:9]
	s_cbranch_execnz .LBB16_3257
; %bb.1209:
	s_or_saveexec_b64 s[6:7], s[6:7]
	v_mov_b32_e32 v2, s10
	s_xor_b64 exec, exec, s[6:7]
	s_cbranch_execnz .LBB16_3260
.LBB16_1210:
	s_or_b64 exec, exec, s[6:7]
	s_and_saveexec_b64 s[6:7], s[4:5]
	s_cbranch_execz .LBB16_1212
.LBB16_1211:
	v_bfe_u32 v2, v7, 24, 3
	v_ffbh_u32_e32 v12, v2
	v_min_u32_e32 v12, 32, v12
	v_lshrrev_b32_e32 v10, 27, v7
	v_subrev_u32_e32 v13, 28, v12
	v_and_b32_e32 v6, 0x80000000, v7
	v_and_b32_e32 v10, 15, v10
	v_bfe_u32 v11, v7, 27, 4
	v_lshlrev_b32_sdwa v7, v13, v7 dst_sel:DWORD dst_unused:UNUSED_PAD src0_sel:DWORD src1_sel:BYTE_3
	v_sub_u32_e32 v12, 29, v12
	v_and_b32_e32 v7, 7, v7
	v_cmp_eq_u16_e32 vcc, 0, v10
	v_cndmask_b32_e32 v2, v2, v7, vcc
	v_cndmask_b32_e32 v7, v11, v12, vcc
	v_mov_b32_e32 v10, 0x3b800000
	v_lshlrev_b32_e32 v2, 20, v2
	v_lshl_add_u32 v7, v7, 23, v10
	v_or3_b32 v2, v6, v7, v2
.LBB16_1212:
	s_or_b64 exec, exec, s[6:7]
	s_movk_i32 s4, 0x7f
	v_cmp_gt_i16_sdwa s[6:7], v3, s4 src0_sel:BYTE_3 src1_sel:DWORD
	s_mov_b64 s[4:5], 0
                                        ; implicit-def: $sgpr10
	s_and_saveexec_b64 s[8:9], s[6:7]
	s_xor_b64 s[6:7], exec, s[8:9]
	s_cbranch_execnz .LBB16_3261
; %bb.1213:
	s_or_saveexec_b64 s[6:7], s[6:7]
	v_mov_b32_e32 v6, s10
	s_xor_b64 exec, exec, s[6:7]
	s_cbranch_execnz .LBB16_3264
.LBB16_1214:
	s_or_b64 exec, exec, s[6:7]
	s_and_saveexec_b64 s[6:7], s[4:5]
	s_cbranch_execz .LBB16_1216
.LBB16_1215:
	v_bfe_u32 v6, v3, 24, 3
	v_ffbh_u32_e32 v12, v6
	v_min_u32_e32 v12, 32, v12
	v_lshrrev_b32_e32 v10, 27, v3
	v_subrev_u32_e32 v13, 28, v12
	v_and_b32_e32 v7, 0x80000000, v3
	v_and_b32_e32 v10, 15, v10
	v_bfe_u32 v11, v3, 27, 4
	v_lshlrev_b32_sdwa v3, v13, v3 dst_sel:DWORD dst_unused:UNUSED_PAD src0_sel:DWORD src1_sel:BYTE_3
	v_sub_u32_e32 v12, 29, v12
	v_and_b32_e32 v3, 7, v3
	v_cmp_eq_u16_e32 vcc, 0, v10
	v_cndmask_b32_e32 v3, v6, v3, vcc
	v_cndmask_b32_e32 v6, v11, v12, vcc
	v_mov_b32_e32 v10, 0x3b800000
	v_lshlrev_b32_e32 v3, 20, v3
	v_lshl_add_u32 v6, v6, 23, v10
	v_or3_b32 v6, v7, v6, v3
.LBB16_1216:
	s_or_b64 exec, exec, s[6:7]
	s_nop 0
	v_mfma_f32_16x16x4f32 a[0:3], v2, v6, a[0:3]
	s_movk_i32 s4, 0x7f
	v_cmp_gt_i16_sdwa s[6:7], v8, s4 src0_sel:BYTE_0 src1_sel:DWORD
	s_mov_b64 s[4:5], 0
                                        ; implicit-def: $sgpr10
	s_and_saveexec_b64 s[8:9], s[6:7]
	s_xor_b64 s[6:7], exec, s[8:9]
	s_cbranch_execnz .LBB16_3265
; %bb.1217:
	s_or_saveexec_b64 s[6:7], s[6:7]
	v_mov_b32_e32 v2, s10
	s_xor_b64 exec, exec, s[6:7]
	s_cbranch_execnz .LBB16_3268
.LBB16_1218:
	s_or_b64 exec, exec, s[6:7]
	s_and_saveexec_b64 s[6:7], s[4:5]
	s_cbranch_execz .LBB16_1220
.LBB16_1219:
	v_and_b32_e32 v2, 7, v8
	v_ffbh_u32_e32 v6, v2
	v_min_u32_e32 v6, 32, v6
	v_lshrrev_b16_e32 v3, 3, v8
	v_subrev_u32_e32 v7, 28, v6
	v_and_b32_e32 v3, 15, v3
	v_lshlrev_b32_e32 v7, v7, v8
	v_sub_u32_e32 v6, 29, v6
	v_and_b32_e32 v7, 7, v7
	v_cmp_eq_u16_e32 vcc, 0, v3
	v_cndmask_b32_e32 v2, v2, v7, vcc
	v_cndmask_b32_e32 v3, v3, v6, vcc
	v_lshlrev_b32_e32 v6, 24, v8
	v_mov_b32_e32 v7, 0x3b800000
	v_lshlrev_b32_e32 v2, 20, v2
	v_and_b32_e32 v6, 0x80000000, v6
	v_lshl_add_u32 v3, v3, 23, v7
	v_or3_b32 v2, v6, v3, v2
.LBB16_1220:
	s_or_b64 exec, exec, s[6:7]
	s_movk_i32 s4, 0x7f
	v_cmp_gt_i16_sdwa s[6:7], v4, s4 src0_sel:BYTE_0 src1_sel:DWORD
	s_mov_b64 s[4:5], 0
                                        ; implicit-def: $sgpr10
	s_and_saveexec_b64 s[8:9], s[6:7]
	s_xor_b64 s[6:7], exec, s[8:9]
	s_cbranch_execnz .LBB16_3269
; %bb.1221:
	s_or_saveexec_b64 s[6:7], s[6:7]
	v_mov_b32_e32 v3, s10
	s_xor_b64 exec, exec, s[6:7]
	s_cbranch_execnz .LBB16_3272
.LBB16_1222:
	s_or_b64 exec, exec, s[6:7]
	s_and_saveexec_b64 s[6:7], s[4:5]
	s_cbranch_execz .LBB16_1224
.LBB16_1223:
	v_and_b32_e32 v3, 7, v4
	v_ffbh_u32_e32 v7, v3
	v_min_u32_e32 v7, 32, v7
	v_lshrrev_b16_e32 v6, 3, v4
	v_subrev_u32_e32 v10, 28, v7
	v_and_b32_e32 v6, 15, v6
	v_lshlrev_b32_e32 v10, v10, v4
	v_sub_u32_e32 v7, 29, v7
	v_and_b32_e32 v10, 7, v10
	v_cmp_eq_u16_e32 vcc, 0, v6
	v_cndmask_b32_e32 v3, v3, v10, vcc
	v_cndmask_b32_e32 v6, v6, v7, vcc
	v_lshlrev_b32_e32 v7, 24, v4
	v_mov_b32_e32 v10, 0x3b800000
	v_lshlrev_b32_e32 v3, 20, v3
	v_and_b32_e32 v7, 0x80000000, v7
	v_lshl_add_u32 v6, v6, 23, v10
	v_or3_b32 v3, v7, v6, v3
.LBB16_1224:
	s_or_b64 exec, exec, s[6:7]
	s_nop 0
	v_mfma_f32_16x16x4f32 a[0:3], v2, v3, a[0:3]
	v_lshrrev_b32_e32 v3, 8, v8
	s_movk_i32 s4, 0x7f
	v_cmp_gt_i16_sdwa s[6:7], v3, s4 src0_sel:BYTE_0 src1_sel:DWORD
	s_mov_b64 s[4:5], 0
                                        ; implicit-def: $sgpr10
	s_and_saveexec_b64 s[8:9], s[6:7]
	s_xor_b64 s[6:7], exec, s[8:9]
	s_cbranch_execnz .LBB16_3273
; %bb.1225:
	s_or_saveexec_b64 s[6:7], s[6:7]
	v_mov_b32_e32 v2, s10
	s_xor_b64 exec, exec, s[6:7]
	s_cbranch_execnz .LBB16_3276
.LBB16_1226:
	s_or_b64 exec, exec, s[6:7]
	s_and_saveexec_b64 s[6:7], s[4:5]
	s_cbranch_execz .LBB16_1228
.LBB16_1227:
	v_bfe_u32 v2, v8, 8, 3
	v_ffbh_u32_e32 v7, v2
	v_min_u32_e32 v7, 32, v7
	v_lshrrev_b16_e32 v6, 3, v3
	v_subrev_u32_e32 v10, 28, v7
	v_and_b32_e32 v6, 15, v6
	v_lshlrev_b32_e32 v3, v10, v3
	v_sub_u32_e32 v7, 29, v7
	v_and_b32_e32 v3, 7, v3
	v_cmp_eq_u16_e32 vcc, 0, v6
	v_cndmask_b32_e32 v2, v2, v3, vcc
	v_cndmask_b32_e32 v3, v6, v7, vcc
	v_lshlrev_b32_e32 v6, 16, v8
	v_mov_b32_e32 v7, 0x3b800000
	v_lshlrev_b32_e32 v2, 20, v2
	v_and_b32_e32 v6, 0x80000000, v6
	v_lshl_add_u32 v3, v3, 23, v7
	v_or3_b32 v2, v6, v3, v2
.LBB16_1228:
	s_or_b64 exec, exec, s[6:7]
	v_lshrrev_b32_e32 v3, 8, v4
	s_movk_i32 s4, 0x7f
	v_cmp_gt_i16_sdwa s[6:7], v3, s4 src0_sel:BYTE_0 src1_sel:DWORD
	s_mov_b64 s[4:5], 0
                                        ; implicit-def: $sgpr10
	s_and_saveexec_b64 s[8:9], s[6:7]
	s_xor_b64 s[6:7], exec, s[8:9]
	s_cbranch_execnz .LBB16_3277
; %bb.1229:
	s_or_saveexec_b64 s[6:7], s[6:7]
	v_mov_b32_e32 v6, s10
	s_xor_b64 exec, exec, s[6:7]
	s_cbranch_execnz .LBB16_3280
.LBB16_1230:
	s_or_b64 exec, exec, s[6:7]
	s_and_saveexec_b64 s[6:7], s[4:5]
	s_cbranch_execz .LBB16_1232
.LBB16_1231:
	v_bfe_u32 v6, v4, 8, 3
	v_ffbh_u32_e32 v10, v6
	v_min_u32_e32 v10, 32, v10
	v_lshrrev_b16_e32 v7, 3, v3
	v_subrev_u32_e32 v11, 28, v10
	v_and_b32_e32 v7, 15, v7
	v_lshlrev_b32_e32 v3, v11, v3
	v_sub_u32_e32 v10, 29, v10
	v_and_b32_e32 v3, 7, v3
	v_cmp_eq_u16_e32 vcc, 0, v7
	v_cndmask_b32_e32 v3, v6, v3, vcc
	v_cndmask_b32_e32 v6, v7, v10, vcc
	v_lshlrev_b32_e32 v7, 16, v4
	v_mov_b32_e32 v10, 0x3b800000
	v_lshlrev_b32_e32 v3, 20, v3
	v_and_b32_e32 v7, 0x80000000, v7
	v_lshl_add_u32 v6, v6, 23, v10
	v_or3_b32 v6, v7, v6, v3
.LBB16_1232:
	s_or_b64 exec, exec, s[6:7]
	s_nop 0
	v_mfma_f32_16x16x4f32 a[0:3], v2, v6, a[0:3]
	s_movk_i32 s4, 0xff
	v_and_b32_sdwa v3, v8, s4 dst_sel:DWORD dst_unused:UNUSED_PAD src0_sel:WORD_1 src1_sel:DWORD
	s_movk_i32 s4, 0x7f
	v_cmp_lt_i16_e32 vcc, s4, v3
	s_mov_b64 s[4:5], 0
                                        ; implicit-def: $sgpr10
	s_and_saveexec_b64 s[6:7], vcc
	s_xor_b64 s[6:7], exec, s[6:7]
	s_cbranch_execnz .LBB16_3281
; %bb.1233:
	s_or_saveexec_b64 s[6:7], s[6:7]
	v_mov_b32_e32 v2, s10
	s_xor_b64 exec, exec, s[6:7]
	s_cbranch_execnz .LBB16_3284
.LBB16_1234:
	s_or_b64 exec, exec, s[6:7]
	s_and_saveexec_b64 s[6:7], s[4:5]
	s_cbranch_execz .LBB16_1236
.LBB16_1235:
	v_bfe_u32 v2, v8, 16, 3
	v_ffbh_u32_e32 v7, v2
	v_min_u32_e32 v7, 32, v7
	v_lshrrev_b32_e32 v3, 19, v8
	v_subrev_u32_e32 v10, 28, v7
	v_and_b32_e32 v3, 15, v3
	v_lshlrev_b32_sdwa v10, v10, v8 dst_sel:DWORD dst_unused:UNUSED_PAD src0_sel:DWORD src1_sel:WORD_1
	v_bfe_u32 v6, v8, 19, 4
	v_sub_u32_e32 v7, 29, v7
	v_and_b32_e32 v10, 7, v10
	v_cmp_eq_u16_e32 vcc, 0, v3
	v_cndmask_b32_e32 v2, v2, v10, vcc
	v_cndmask_b32_e32 v3, v6, v7, vcc
	v_lshlrev_b32_e32 v6, 8, v8
	v_mov_b32_e32 v7, 0x3b800000
	v_lshlrev_b32_e32 v2, 20, v2
	v_and_b32_e32 v6, 0x80000000, v6
	v_lshl_add_u32 v3, v3, 23, v7
	v_or3_b32 v2, v6, v3, v2
.LBB16_1236:
	s_or_b64 exec, exec, s[6:7]
	s_movk_i32 s4, 0xff
	v_and_b32_sdwa v3, v4, s4 dst_sel:DWORD dst_unused:UNUSED_PAD src0_sel:WORD_1 src1_sel:DWORD
	s_movk_i32 s4, 0x7f
	v_cmp_lt_i16_e32 vcc, s4, v3
	s_mov_b64 s[4:5], 0
                                        ; implicit-def: $sgpr10
	s_and_saveexec_b64 s[6:7], vcc
	s_xor_b64 s[6:7], exec, s[6:7]
	s_cbranch_execnz .LBB16_3285
; %bb.1237:
	s_or_saveexec_b64 s[6:7], s[6:7]
	v_mov_b32_e32 v6, s10
	s_xor_b64 exec, exec, s[6:7]
	s_cbranch_execnz .LBB16_3288
.LBB16_1238:
	s_or_b64 exec, exec, s[6:7]
	s_and_saveexec_b64 s[6:7], s[4:5]
	s_cbranch_execz .LBB16_1240
.LBB16_1239:
	v_bfe_u32 v3, v4, 16, 3
	v_ffbh_u32_e32 v10, v3
	v_min_u32_e32 v10, 32, v10
	v_lshrrev_b32_e32 v6, 19, v4
	v_subrev_u32_e32 v11, 28, v10
	v_and_b32_e32 v6, 15, v6
	v_lshlrev_b32_sdwa v11, v11, v4 dst_sel:DWORD dst_unused:UNUSED_PAD src0_sel:DWORD src1_sel:WORD_1
	v_bfe_u32 v7, v4, 19, 4
	v_sub_u32_e32 v10, 29, v10
	v_and_b32_e32 v11, 7, v11
	v_cmp_eq_u16_e32 vcc, 0, v6
	v_cndmask_b32_e32 v3, v3, v11, vcc
	v_cndmask_b32_e32 v6, v7, v10, vcc
	v_lshlrev_b32_e32 v7, 8, v4
	v_mov_b32_e32 v10, 0x3b800000
	v_lshlrev_b32_e32 v3, 20, v3
	v_and_b32_e32 v7, 0x80000000, v7
	v_lshl_add_u32 v6, v6, 23, v10
	v_or3_b32 v6, v7, v6, v3
.LBB16_1240:
	s_or_b64 exec, exec, s[6:7]
	s_nop 0
	v_mfma_f32_16x16x4f32 a[0:3], v2, v6, a[0:3]
	s_movk_i32 s4, 0x7f
	v_cmp_gt_i16_sdwa s[6:7], v8, s4 src0_sel:BYTE_3 src1_sel:DWORD
	s_mov_b64 s[4:5], 0
                                        ; implicit-def: $sgpr10
	s_and_saveexec_b64 s[8:9], s[6:7]
	s_xor_b64 s[6:7], exec, s[8:9]
	s_cbranch_execnz .LBB16_3289
; %bb.1241:
	s_or_saveexec_b64 s[6:7], s[6:7]
	v_mov_b32_e32 v2, s10
	s_xor_b64 exec, exec, s[6:7]
	s_cbranch_execnz .LBB16_3292
.LBB16_1242:
	s_or_b64 exec, exec, s[6:7]
	s_and_saveexec_b64 s[6:7], s[4:5]
	s_cbranch_execz .LBB16_1244
.LBB16_1243:
	v_bfe_u32 v2, v8, 24, 3
	v_ffbh_u32_e32 v10, v2
	v_min_u32_e32 v10, 32, v10
	v_lshrrev_b32_e32 v6, 27, v8
	v_subrev_u32_e32 v11, 28, v10
	v_and_b32_e32 v3, 0x80000000, v8
	v_and_b32_e32 v6, 15, v6
	v_bfe_u32 v7, v8, 27, 4
	v_lshlrev_b32_sdwa v8, v11, v8 dst_sel:DWORD dst_unused:UNUSED_PAD src0_sel:DWORD src1_sel:BYTE_3
	v_sub_u32_e32 v10, 29, v10
	v_and_b32_e32 v8, 7, v8
	v_cmp_eq_u16_e32 vcc, 0, v6
	v_cndmask_b32_e32 v2, v2, v8, vcc
	v_cndmask_b32_e32 v6, v7, v10, vcc
	v_mov_b32_e32 v7, 0x3b800000
	v_lshlrev_b32_e32 v2, 20, v2
	v_lshl_add_u32 v6, v6, 23, v7
	v_or3_b32 v2, v3, v6, v2
.LBB16_1244:
	s_or_b64 exec, exec, s[6:7]
	s_movk_i32 s4, 0x7f
	v_cmp_gt_i16_sdwa s[6:7], v4, s4 src0_sel:BYTE_3 src1_sel:DWORD
	s_mov_b64 s[4:5], 0
                                        ; implicit-def: $sgpr10
	s_and_saveexec_b64 s[8:9], s[6:7]
	s_xor_b64 s[6:7], exec, s[8:9]
	s_cbranch_execnz .LBB16_3293
; %bb.1245:
	s_or_saveexec_b64 s[6:7], s[6:7]
	v_mov_b32_e32 v3, s10
	s_xor_b64 exec, exec, s[6:7]
	s_cbranch_execnz .LBB16_3296
.LBB16_1246:
	s_or_b64 exec, exec, s[6:7]
	s_and_saveexec_b64 s[6:7], s[4:5]
	s_cbranch_execz .LBB16_1248
.LBB16_1247:
	v_bfe_u32 v3, v4, 24, 3
	v_ffbh_u32_e32 v10, v3
	v_min_u32_e32 v10, 32, v10
	v_lshrrev_b32_e32 v7, 27, v4
	v_subrev_u32_e32 v11, 28, v10
	v_and_b32_e32 v6, 0x80000000, v4
	v_and_b32_e32 v7, 15, v7
	v_bfe_u32 v8, v4, 27, 4
	v_lshlrev_b32_sdwa v4, v11, v4 dst_sel:DWORD dst_unused:UNUSED_PAD src0_sel:DWORD src1_sel:BYTE_3
	v_sub_u32_e32 v10, 29, v10
	v_and_b32_e32 v4, 7, v4
	v_cmp_eq_u16_e32 vcc, 0, v7
	v_cndmask_b32_e32 v3, v3, v4, vcc
	v_cndmask_b32_e32 v4, v8, v10, vcc
	v_mov_b32_e32 v7, 0x3b800000
	v_lshlrev_b32_e32 v3, 20, v3
	v_lshl_add_u32 v4, v4, 23, v7
	v_or3_b32 v3, v6, v4, v3
.LBB16_1248:
	s_or_b64 exec, exec, s[6:7]
	s_nop 0
	v_mfma_f32_16x16x4f32 a[0:3], v2, v3, a[0:3]
	s_movk_i32 s4, 0x7f
	v_cmp_gt_i16_sdwa s[6:7], v9, s4 src0_sel:BYTE_0 src1_sel:DWORD
	s_mov_b64 s[4:5], 0
                                        ; implicit-def: $sgpr10
	s_and_saveexec_b64 s[8:9], s[6:7]
	s_xor_b64 s[6:7], exec, s[8:9]
	s_cbranch_execnz .LBB16_3297
; %bb.1249:
	s_or_saveexec_b64 s[6:7], s[6:7]
	v_mov_b32_e32 v2, s10
	s_xor_b64 exec, exec, s[6:7]
	s_cbranch_execnz .LBB16_3300
.LBB16_1250:
	s_or_b64 exec, exec, s[6:7]
	s_and_saveexec_b64 s[6:7], s[4:5]
	s_cbranch_execz .LBB16_1252
.LBB16_1251:
	v_mov_b32_e32 v2, 8
	v_and_b32_e32 v3, 7, v9
	v_lshrrev_b32_sdwa v2, v2, v9 dst_sel:BYTE_1 dst_unused:UNUSED_PAD src0_sel:DWORD src1_sel:DWORD
	v_ffbh_u32_e32 v4, v3
	v_or_b32_sdwa v2, v9, v2 dst_sel:DWORD dst_unused:UNUSED_PAD src0_sel:BYTE_0 src1_sel:DWORD
	v_min_u32_e32 v4, 32, v4
	v_lshrrev_b16_e32 v2, 3, v2
	v_subrev_u32_e32 v6, 28, v4
	v_and_b32_e32 v2, 15, v2
	v_lshlrev_b32_e32 v6, v6, v9
	v_sub_u32_e32 v4, 29, v4
	v_and_b32_e32 v6, 7, v6
	v_cmp_eq_u16_e32 vcc, 0, v2
	v_cndmask_b32_e32 v3, v3, v6, vcc
	v_cndmask_b32_e32 v2, v2, v4, vcc
	v_lshlrev_b32_e32 v4, 24, v9
	v_mov_b32_e32 v6, 0x3b800000
	v_lshlrev_b32_e32 v3, 20, v3
	v_and_b32_e32 v4, 0x80000000, v4
	v_lshl_add_u32 v2, v2, 23, v6
	v_or3_b32 v2, v4, v2, v3
.LBB16_1252:
	s_or_b64 exec, exec, s[6:7]
	s_movk_i32 s4, 0x7f
	v_cmp_gt_i16_sdwa s[6:7], v5, s4 src0_sel:BYTE_0 src1_sel:DWORD
	s_mov_b64 s[4:5], 0
                                        ; implicit-def: $sgpr10
	s_and_saveexec_b64 s[8:9], s[6:7]
	s_xor_b64 s[6:7], exec, s[8:9]
	s_cbranch_execnz .LBB16_3301
; %bb.1253:
	s_or_saveexec_b64 s[6:7], s[6:7]
	v_mov_b32_e32 v3, s10
	s_xor_b64 exec, exec, s[6:7]
	s_cbranch_execnz .LBB16_3304
.LBB16_1254:
	s_or_b64 exec, exec, s[6:7]
	s_and_saveexec_b64 s[6:7], s[4:5]
	s_cbranch_execz .LBB16_1256
.LBB16_1255:
	v_mov_b32_e32 v3, 8
	v_and_b32_e32 v4, 7, v5
	v_lshrrev_b32_sdwa v3, v3, v5 dst_sel:BYTE_1 dst_unused:UNUSED_PAD src0_sel:DWORD src1_sel:DWORD
	v_ffbh_u32_e32 v6, v4
	v_or_b32_sdwa v3, v5, v3 dst_sel:DWORD dst_unused:UNUSED_PAD src0_sel:BYTE_0 src1_sel:DWORD
	v_min_u32_e32 v6, 32, v6
	v_lshrrev_b16_e32 v3, 3, v3
	v_subrev_u32_e32 v7, 28, v6
	v_and_b32_e32 v3, 15, v3
	v_lshlrev_b32_e32 v7, v7, v5
	v_sub_u32_e32 v6, 29, v6
	v_and_b32_e32 v7, 7, v7
	v_cmp_eq_u16_e32 vcc, 0, v3
	v_cndmask_b32_e32 v4, v4, v7, vcc
	v_cndmask_b32_e32 v3, v3, v6, vcc
	v_lshlrev_b32_e32 v6, 24, v5
	v_mov_b32_e32 v7, 0x3b800000
	v_lshlrev_b32_e32 v4, 20, v4
	v_and_b32_e32 v6, 0x80000000, v6
	v_lshl_add_u32 v3, v3, 23, v7
	v_or3_b32 v3, v6, v3, v4
.LBB16_1256:
	s_or_b64 exec, exec, s[6:7]
	s_nop 0
	v_mfma_f32_16x16x4f32 a[0:3], v2, v3, a[0:3]
	v_lshrrev_b32_e32 v3, 8, v9
	s_movk_i32 s4, 0x7f
	v_cmp_gt_i16_sdwa s[6:7], v3, s4 src0_sel:BYTE_0 src1_sel:DWORD
	s_mov_b64 s[4:5], 0
                                        ; implicit-def: $sgpr10
	s_and_saveexec_b64 s[8:9], s[6:7]
	s_xor_b64 s[6:7], exec, s[8:9]
	s_cbranch_execnz .LBB16_3305
; %bb.1257:
	s_or_saveexec_b64 s[6:7], s[6:7]
	v_mov_b32_e32 v2, s10
	s_xor_b64 exec, exec, s[6:7]
	s_cbranch_execnz .LBB16_3308
.LBB16_1258:
	s_or_b64 exec, exec, s[6:7]
	s_and_saveexec_b64 s[6:7], s[4:5]
	s_cbranch_execz .LBB16_1260
.LBB16_1259:
	v_bfe_u32 v2, v9, 8, 3
	v_ffbh_u32_e32 v6, v2
	v_min_u32_e32 v6, 32, v6
	v_lshrrev_b16_e32 v4, 3, v3
	v_subrev_u32_e32 v7, 28, v6
	v_and_b32_e32 v4, 15, v4
	v_lshlrev_b32_e32 v3, v7, v3
	v_sub_u32_e32 v6, 29, v6
	v_and_b32_e32 v3, 7, v3
	v_cmp_eq_u16_e32 vcc, 0, v4
	v_cndmask_b32_e32 v2, v2, v3, vcc
	v_cndmask_b32_e32 v3, v4, v6, vcc
	v_lshlrev_b32_e32 v4, 16, v9
	v_mov_b32_e32 v6, 0x3b800000
	v_lshlrev_b32_e32 v2, 20, v2
	v_and_b32_e32 v4, 0x80000000, v4
	v_lshl_add_u32 v3, v3, 23, v6
	v_or3_b32 v2, v4, v3, v2
.LBB16_1260:
	s_or_b64 exec, exec, s[6:7]
	v_lshrrev_b32_e32 v3, 8, v5
	s_movk_i32 s4, 0x7f
	v_cmp_gt_i16_sdwa s[6:7], v3, s4 src0_sel:BYTE_0 src1_sel:DWORD
	s_mov_b64 s[4:5], 0
                                        ; implicit-def: $sgpr10
	s_and_saveexec_b64 s[8:9], s[6:7]
	s_xor_b64 s[6:7], exec, s[8:9]
	s_cbranch_execnz .LBB16_3309
; %bb.1261:
	s_or_saveexec_b64 s[6:7], s[6:7]
	v_mov_b32_e32 v4, s10
	s_xor_b64 exec, exec, s[6:7]
	s_cbranch_execnz .LBB16_3312
.LBB16_1262:
	s_or_b64 exec, exec, s[6:7]
	s_and_saveexec_b64 s[6:7], s[4:5]
	s_cbranch_execz .LBB16_1264
.LBB16_1263:
	v_bfe_u32 v4, v5, 8, 3
	v_ffbh_u32_e32 v7, v4
	v_min_u32_e32 v7, 32, v7
	v_lshrrev_b16_e32 v6, 3, v3
	v_subrev_u32_e32 v8, 28, v7
	v_and_b32_e32 v6, 15, v6
	v_lshlrev_b32_e32 v3, v8, v3
	v_sub_u32_e32 v7, 29, v7
	v_and_b32_e32 v3, 7, v3
	v_cmp_eq_u16_e32 vcc, 0, v6
	v_cndmask_b32_e32 v3, v4, v3, vcc
	v_cndmask_b32_e32 v4, v6, v7, vcc
	v_lshlrev_b32_e32 v6, 16, v5
	v_mov_b32_e32 v7, 0x3b800000
	v_lshlrev_b32_e32 v3, 20, v3
	v_and_b32_e32 v6, 0x80000000, v6
	v_lshl_add_u32 v4, v4, 23, v7
	v_or3_b32 v4, v6, v4, v3
.LBB16_1264:
	s_or_b64 exec, exec, s[6:7]
	s_nop 0
	v_mfma_f32_16x16x4f32 a[0:3], v2, v4, a[0:3]
	s_movk_i32 s4, 0xff
	v_and_b32_sdwa v3, v9, s4 dst_sel:DWORD dst_unused:UNUSED_PAD src0_sel:WORD_1 src1_sel:DWORD
	s_movk_i32 s4, 0x7f
	v_cmp_lt_i16_e32 vcc, s4, v3
	s_mov_b64 s[4:5], 0
                                        ; implicit-def: $sgpr10
	s_and_saveexec_b64 s[6:7], vcc
	s_xor_b64 s[6:7], exec, s[6:7]
	s_cbranch_execnz .LBB16_3313
; %bb.1265:
	s_or_saveexec_b64 s[6:7], s[6:7]
	v_mov_b32_e32 v2, s10
	s_xor_b64 exec, exec, s[6:7]
	s_cbranch_execnz .LBB16_3316
.LBB16_1266:
	s_or_b64 exec, exec, s[6:7]
	s_and_saveexec_b64 s[6:7], s[4:5]
	s_cbranch_execz .LBB16_1268
.LBB16_1267:
	v_bfe_u32 v2, v9, 16, 3
	v_ffbh_u32_e32 v6, v2
	v_min_u32_e32 v6, 32, v6
	v_lshrrev_b32_e32 v3, 19, v9
	v_subrev_u32_e32 v7, 28, v6
	v_and_b32_e32 v3, 15, v3
	v_lshlrev_b32_sdwa v7, v7, v9 dst_sel:DWORD dst_unused:UNUSED_PAD src0_sel:DWORD src1_sel:WORD_1
	v_bfe_u32 v4, v9, 19, 4
	v_sub_u32_e32 v6, 29, v6
	v_and_b32_e32 v7, 7, v7
	v_cmp_eq_u16_e32 vcc, 0, v3
	v_cndmask_b32_e32 v2, v2, v7, vcc
	v_cndmask_b32_e32 v3, v4, v6, vcc
	v_lshlrev_b32_e32 v4, 8, v9
	v_mov_b32_e32 v6, 0x3b800000
	v_lshlrev_b32_e32 v2, 20, v2
	v_and_b32_e32 v4, 0x80000000, v4
	v_lshl_add_u32 v3, v3, 23, v6
	v_or3_b32 v2, v4, v3, v2
.LBB16_1268:
	s_or_b64 exec, exec, s[6:7]
	s_movk_i32 s4, 0xff
	v_and_b32_sdwa v3, v5, s4 dst_sel:DWORD dst_unused:UNUSED_PAD src0_sel:WORD_1 src1_sel:DWORD
	s_movk_i32 s4, 0x7f
	v_cmp_lt_i16_e32 vcc, s4, v3
	s_mov_b64 s[4:5], 0
                                        ; implicit-def: $sgpr10
	s_and_saveexec_b64 s[6:7], vcc
	s_xor_b64 s[6:7], exec, s[6:7]
	s_cbranch_execnz .LBB16_3317
; %bb.1269:
	s_or_saveexec_b64 s[6:7], s[6:7]
	v_mov_b32_e32 v4, s10
	s_xor_b64 exec, exec, s[6:7]
	s_cbranch_execnz .LBB16_3320
.LBB16_1270:
	s_or_b64 exec, exec, s[6:7]
	s_and_saveexec_b64 s[6:7], s[4:5]
	s_cbranch_execz .LBB16_1272
.LBB16_1271:
	v_bfe_u32 v3, v5, 16, 3
	v_ffbh_u32_e32 v7, v3
	v_min_u32_e32 v7, 32, v7
	v_lshrrev_b32_e32 v4, 19, v5
	v_subrev_u32_e32 v8, 28, v7
	v_and_b32_e32 v4, 15, v4
	v_lshlrev_b32_sdwa v8, v8, v5 dst_sel:DWORD dst_unused:UNUSED_PAD src0_sel:DWORD src1_sel:WORD_1
	v_bfe_u32 v6, v5, 19, 4
	v_sub_u32_e32 v7, 29, v7
	v_and_b32_e32 v8, 7, v8
	v_cmp_eq_u16_e32 vcc, 0, v4
	v_cndmask_b32_e32 v3, v3, v8, vcc
	v_cndmask_b32_e32 v4, v6, v7, vcc
	v_lshlrev_b32_e32 v6, 8, v5
	v_mov_b32_e32 v7, 0x3b800000
	v_lshlrev_b32_e32 v3, 20, v3
	v_and_b32_e32 v6, 0x80000000, v6
	v_lshl_add_u32 v4, v4, 23, v7
	v_or3_b32 v4, v6, v4, v3
.LBB16_1272:
	s_or_b64 exec, exec, s[6:7]
	s_nop 0
	v_mfma_f32_16x16x4f32 a[0:3], v2, v4, a[0:3]
	s_movk_i32 s4, 0x7f
	v_cmp_gt_i16_sdwa s[6:7], v9, s4 src0_sel:BYTE_3 src1_sel:DWORD
	s_mov_b64 s[4:5], 0
                                        ; implicit-def: $sgpr10
	s_and_saveexec_b64 s[8:9], s[6:7]
	s_xor_b64 s[6:7], exec, s[8:9]
	s_cbranch_execnz .LBB16_3321
; %bb.1273:
	s_or_saveexec_b64 s[6:7], s[6:7]
	v_mov_b32_e32 v2, s10
	s_xor_b64 exec, exec, s[6:7]
	s_cbranch_execnz .LBB16_3324
.LBB16_1274:
	s_or_b64 exec, exec, s[6:7]
	s_and_saveexec_b64 s[6:7], s[4:5]
	s_cbranch_execz .LBB16_1276
.LBB16_1275:
	v_bfe_u32 v2, v9, 24, 3
	v_ffbh_u32_e32 v7, v2
	v_min_u32_e32 v7, 32, v7
	v_lshrrev_b32_e32 v4, 27, v9
	v_subrev_u32_e32 v8, 28, v7
	v_and_b32_e32 v4, 15, v4
	v_lshlrev_b32_sdwa v8, v8, v9 dst_sel:DWORD dst_unused:UNUSED_PAD src0_sel:DWORD src1_sel:BYTE_3
	v_bfe_u32 v6, v9, 27, 4
	v_sub_u32_e32 v7, 29, v7
	v_and_b32_e32 v8, 7, v8
	v_cmp_eq_u16_e32 vcc, 0, v4
	v_cndmask_b32_e32 v2, v2, v8, vcc
	v_cndmask_b32_e32 v4, v6, v7, vcc
	v_mov_b32_e32 v6, 0x3b800000
	v_and_b32_e32 v3, 0x80000000, v9
	v_lshlrev_b32_e32 v2, 20, v2
	v_lshl_add_u32 v4, v4, 23, v6
	v_or3_b32 v2, v3, v4, v2
.LBB16_1276:
	s_or_b64 exec, exec, s[6:7]
	s_movk_i32 s4, 0x7f
	v_cmp_gt_i16_sdwa s[6:7], v5, s4 src0_sel:BYTE_3 src1_sel:DWORD
	s_mov_b64 s[4:5], 0
                                        ; implicit-def: $sgpr10
	s_and_saveexec_b64 s[8:9], s[6:7]
	s_xor_b64 s[6:7], exec, s[8:9]
	s_cbranch_execnz .LBB16_3325
; %bb.1277:
	s_or_saveexec_b64 s[6:7], s[6:7]
	v_mov_b32_e32 v3, s10
	s_xor_b64 exec, exec, s[6:7]
	s_cbranch_execnz .LBB16_3328
.LBB16_1278:
	s_or_b64 exec, exec, s[6:7]
	s_and_saveexec_b64 s[6:7], s[4:5]
	s_cbranch_execz .LBB16_1280
.LBB16_1279:
	v_bfe_u32 v3, v5, 24, 3
	v_ffbh_u32_e32 v8, v3
	v_min_u32_e32 v8, 32, v8
	v_lshrrev_b32_e32 v6, 27, v5
	v_subrev_u32_e32 v9, 28, v8
	v_and_b32_e32 v4, 0x80000000, v5
	v_and_b32_e32 v6, 15, v6
	v_bfe_u32 v7, v5, 27, 4
	v_lshlrev_b32_sdwa v5, v9, v5 dst_sel:DWORD dst_unused:UNUSED_PAD src0_sel:DWORD src1_sel:BYTE_3
	v_sub_u32_e32 v8, 29, v8
	v_and_b32_e32 v5, 7, v5
	v_cmp_eq_u16_e32 vcc, 0, v6
	v_cndmask_b32_e32 v3, v3, v5, vcc
	v_cndmask_b32_e32 v5, v7, v8, vcc
	v_mov_b32_e32 v6, 0x3b800000
	v_lshlrev_b32_e32 v3, 20, v3
	v_lshl_add_u32 v5, v5, 23, v6
	v_or3_b32 v3, v4, v5, v3
.LBB16_1280:
	s_or_b64 exec, exec, s[6:7]
	s_nop 0
	v_mfma_f32_16x16x4f32 a[0:3], v2, v3, a[0:3]
	s_movk_i32 s4, 0x7f
                                        ; implicit-def: $sgpr10
	s_nop 7
	s_nop 1
	flat_store_dwordx4 v[18:19], a[0:3] offset:832
	flat_load_dwordx4 v[20:23], v[0:1] offset:16
	s_nop 0
	flat_load_dwordx2 v[18:19], v[0:1] offset:32
	s_waitcnt vmcnt(0) lgkmcnt(0)
	flat_load_dwordx4 v[14:17], v[20:21]
	flat_load_dwordx4 v[6:9], v[20:21] offset:16
	flat_load_dwordx4 v[10:13], v[22:23] offset:416
	;; [unrolled: 1-line block ×3, first 2 shown]
	s_waitcnt vmcnt(0) lgkmcnt(0)
	v_cmp_gt_i16_sdwa s[6:7], v14, s4 src0_sel:BYTE_0 src1_sel:DWORD
	s_mov_b64 s[4:5], 0
	s_and_saveexec_b64 s[8:9], s[6:7]
	s_xor_b64 s[6:7], exec, s[8:9]
	s_cbranch_execnz .LBB16_3329
; %bb.1281:
	s_or_saveexec_b64 s[6:7], s[6:7]
	v_mov_b32_e32 v20, s10
	s_xor_b64 exec, exec, s[6:7]
	s_cbranch_execnz .LBB16_3332
.LBB16_1282:
	s_or_b64 exec, exec, s[6:7]
	s_and_saveexec_b64 s[6:7], s[4:5]
	s_cbranch_execz .LBB16_1284
.LBB16_1283:
	v_and_b32_e32 v20, 7, v14
	v_ffbh_u32_e32 v22, v20
	v_min_u32_e32 v22, 32, v22
	v_lshrrev_b16_e32 v21, 3, v14
	v_subrev_u32_e32 v23, 28, v22
	v_and_b32_e32 v21, 15, v21
	v_lshlrev_b32_e32 v23, v23, v14
	v_sub_u32_e32 v22, 29, v22
	v_and_b32_e32 v23, 7, v23
	v_cmp_eq_u16_e32 vcc, 0, v21
	v_cndmask_b32_e32 v20, v20, v23, vcc
	v_cndmask_b32_e32 v21, v21, v22, vcc
	v_lshlrev_b32_e32 v22, 24, v14
	v_mov_b32_e32 v23, 0x3b800000
	v_lshlrev_b32_e32 v20, 20, v20
	v_and_b32_e32 v22, 0x80000000, v22
	v_lshl_add_u32 v21, v21, 23, v23
	v_or3_b32 v20, v22, v21, v20
.LBB16_1284:
	s_or_b64 exec, exec, s[6:7]
	s_movk_i32 s4, 0x7f
	v_cmp_gt_i16_sdwa s[6:7], v10, s4 src0_sel:BYTE_0 src1_sel:DWORD
	s_mov_b64 s[4:5], 0
                                        ; implicit-def: $sgpr10
	s_and_saveexec_b64 s[8:9], s[6:7]
	s_xor_b64 s[6:7], exec, s[8:9]
	s_cbranch_execnz .LBB16_3333
; %bb.1285:
	s_or_saveexec_b64 s[6:7], s[6:7]
	v_mov_b32_e32 v21, s10
	s_xor_b64 exec, exec, s[6:7]
	s_cbranch_execnz .LBB16_3336
.LBB16_1286:
	s_or_b64 exec, exec, s[6:7]
	s_and_saveexec_b64 s[6:7], s[4:5]
	s_cbranch_execz .LBB16_1288
.LBB16_1287:
	v_and_b32_e32 v21, 7, v10
	v_ffbh_u32_e32 v23, v21
	v_min_u32_e32 v23, 32, v23
	v_lshrrev_b16_e32 v22, 3, v10
	v_subrev_u32_e32 v24, 28, v23
	v_and_b32_e32 v22, 15, v22
	v_lshlrev_b32_e32 v24, v24, v10
	v_sub_u32_e32 v23, 29, v23
	v_and_b32_e32 v24, 7, v24
	v_cmp_eq_u16_e32 vcc, 0, v22
	v_cndmask_b32_e32 v21, v21, v24, vcc
	v_cndmask_b32_e32 v22, v22, v23, vcc
	v_lshlrev_b32_e32 v23, 24, v10
	v_mov_b32_e32 v24, 0x3b800000
	v_lshlrev_b32_e32 v21, 20, v21
	v_and_b32_e32 v23, 0x80000000, v23
	v_lshl_add_u32 v22, v22, 23, v24
	v_or3_b32 v21, v23, v22, v21
.LBB16_1288:
	s_or_b64 exec, exec, s[6:7]
	flat_load_dwordx4 a[0:3], v[18:19] offset:848
	s_movk_i32 s4, 0x7f
                                        ; implicit-def: $sgpr10
	s_waitcnt vmcnt(0) lgkmcnt(0)
	v_mfma_f32_16x16x4f32 a[0:3], v20, v21, a[0:3]
	v_lshrrev_b32_e32 v21, 8, v14
	v_cmp_gt_i16_sdwa s[6:7], v21, s4 src0_sel:BYTE_0 src1_sel:DWORD
	s_mov_b64 s[4:5], 0
	s_and_saveexec_b64 s[8:9], s[6:7]
	s_xor_b64 s[6:7], exec, s[8:9]
	s_cbranch_execnz .LBB16_3337
; %bb.1289:
	s_or_saveexec_b64 s[6:7], s[6:7]
	v_mov_b32_e32 v20, s10
	s_xor_b64 exec, exec, s[6:7]
	s_cbranch_execnz .LBB16_3340
.LBB16_1290:
	s_or_b64 exec, exec, s[6:7]
	s_and_saveexec_b64 s[6:7], s[4:5]
	s_cbranch_execz .LBB16_1292
.LBB16_1291:
	v_bfe_u32 v20, v14, 8, 3
	v_ffbh_u32_e32 v23, v20
	v_min_u32_e32 v23, 32, v23
	v_lshrrev_b16_e32 v22, 3, v21
	v_subrev_u32_e32 v24, 28, v23
	v_and_b32_e32 v22, 15, v22
	v_lshlrev_b32_e32 v21, v24, v21
	v_sub_u32_e32 v23, 29, v23
	v_and_b32_e32 v21, 7, v21
	v_cmp_eq_u16_e32 vcc, 0, v22
	v_cndmask_b32_e32 v20, v20, v21, vcc
	v_cndmask_b32_e32 v21, v22, v23, vcc
	v_lshlrev_b32_e32 v22, 16, v14
	v_mov_b32_e32 v23, 0x3b800000
	v_lshlrev_b32_e32 v20, 20, v20
	v_and_b32_e32 v22, 0x80000000, v22
	v_lshl_add_u32 v21, v21, 23, v23
	v_or3_b32 v20, v22, v21, v20
.LBB16_1292:
	s_or_b64 exec, exec, s[6:7]
	v_lshrrev_b32_e32 v21, 8, v10
	s_movk_i32 s4, 0x7f
	v_cmp_gt_i16_sdwa s[6:7], v21, s4 src0_sel:BYTE_0 src1_sel:DWORD
	s_mov_b64 s[4:5], 0
                                        ; implicit-def: $sgpr10
	s_and_saveexec_b64 s[8:9], s[6:7]
	s_xor_b64 s[6:7], exec, s[8:9]
	s_cbranch_execnz .LBB16_3341
; %bb.1293:
	s_or_saveexec_b64 s[6:7], s[6:7]
	v_mov_b32_e32 v22, s10
	s_xor_b64 exec, exec, s[6:7]
	s_cbranch_execnz .LBB16_3344
.LBB16_1294:
	s_or_b64 exec, exec, s[6:7]
	s_and_saveexec_b64 s[6:7], s[4:5]
	s_cbranch_execz .LBB16_1296
.LBB16_1295:
	v_bfe_u32 v22, v10, 8, 3
	v_ffbh_u32_e32 v24, v22
	v_min_u32_e32 v24, 32, v24
	v_lshrrev_b16_e32 v23, 3, v21
	v_subrev_u32_e32 v25, 28, v24
	v_and_b32_e32 v23, 15, v23
	v_lshlrev_b32_e32 v21, v25, v21
	v_sub_u32_e32 v24, 29, v24
	v_and_b32_e32 v21, 7, v21
	v_cmp_eq_u16_e32 vcc, 0, v23
	v_cndmask_b32_e32 v21, v22, v21, vcc
	v_cndmask_b32_e32 v22, v23, v24, vcc
	v_lshlrev_b32_e32 v23, 16, v10
	v_mov_b32_e32 v24, 0x3b800000
	v_lshlrev_b32_e32 v21, 20, v21
	v_and_b32_e32 v23, 0x80000000, v23
	v_lshl_add_u32 v22, v22, 23, v24
	v_or3_b32 v22, v23, v22, v21
.LBB16_1296:
	s_or_b64 exec, exec, s[6:7]
	s_nop 0
	v_mfma_f32_16x16x4f32 a[0:3], v20, v22, a[0:3]
	s_movk_i32 s4, 0xff
	v_and_b32_sdwa v21, v14, s4 dst_sel:DWORD dst_unused:UNUSED_PAD src0_sel:WORD_1 src1_sel:DWORD
	s_movk_i32 s4, 0x7f
	v_cmp_lt_i16_e32 vcc, s4, v21
	s_mov_b64 s[4:5], 0
                                        ; implicit-def: $sgpr10
	s_and_saveexec_b64 s[6:7], vcc
	s_xor_b64 s[6:7], exec, s[6:7]
	s_cbranch_execnz .LBB16_3345
; %bb.1297:
	s_or_saveexec_b64 s[6:7], s[6:7]
	v_mov_b32_e32 v20, s10
	s_xor_b64 exec, exec, s[6:7]
	s_cbranch_execnz .LBB16_3348
.LBB16_1298:
	s_or_b64 exec, exec, s[6:7]
	s_and_saveexec_b64 s[6:7], s[4:5]
	s_cbranch_execz .LBB16_1300
.LBB16_1299:
	v_bfe_u32 v20, v14, 16, 3
	v_ffbh_u32_e32 v23, v20
	v_min_u32_e32 v23, 32, v23
	v_lshrrev_b32_e32 v21, 19, v14
	v_subrev_u32_e32 v24, 28, v23
	v_and_b32_e32 v21, 15, v21
	v_lshlrev_b32_sdwa v24, v24, v14 dst_sel:DWORD dst_unused:UNUSED_PAD src0_sel:DWORD src1_sel:WORD_1
	v_bfe_u32 v22, v14, 19, 4
	v_sub_u32_e32 v23, 29, v23
	v_and_b32_e32 v24, 7, v24
	v_cmp_eq_u16_e32 vcc, 0, v21
	v_cndmask_b32_e32 v20, v20, v24, vcc
	v_cndmask_b32_e32 v21, v22, v23, vcc
	v_lshlrev_b32_e32 v22, 8, v14
	v_mov_b32_e32 v23, 0x3b800000
	v_lshlrev_b32_e32 v20, 20, v20
	v_and_b32_e32 v22, 0x80000000, v22
	v_lshl_add_u32 v21, v21, 23, v23
	v_or3_b32 v20, v22, v21, v20
.LBB16_1300:
	s_or_b64 exec, exec, s[6:7]
	s_movk_i32 s4, 0xff
	v_and_b32_sdwa v21, v10, s4 dst_sel:DWORD dst_unused:UNUSED_PAD src0_sel:WORD_1 src1_sel:DWORD
	s_movk_i32 s4, 0x7f
	v_cmp_lt_i16_e32 vcc, s4, v21
	s_mov_b64 s[4:5], 0
                                        ; implicit-def: $sgpr10
	s_and_saveexec_b64 s[6:7], vcc
	s_xor_b64 s[6:7], exec, s[6:7]
	s_cbranch_execnz .LBB16_3349
; %bb.1301:
	s_or_saveexec_b64 s[6:7], s[6:7]
	v_mov_b32_e32 v22, s10
	s_xor_b64 exec, exec, s[6:7]
	s_cbranch_execnz .LBB16_3352
.LBB16_1302:
	s_or_b64 exec, exec, s[6:7]
	s_and_saveexec_b64 s[6:7], s[4:5]
	s_cbranch_execz .LBB16_1304
.LBB16_1303:
	v_bfe_u32 v21, v10, 16, 3
	v_ffbh_u32_e32 v24, v21
	v_min_u32_e32 v24, 32, v24
	v_lshrrev_b32_e32 v22, 19, v10
	v_subrev_u32_e32 v25, 28, v24
	v_and_b32_e32 v22, 15, v22
	v_lshlrev_b32_sdwa v25, v25, v10 dst_sel:DWORD dst_unused:UNUSED_PAD src0_sel:DWORD src1_sel:WORD_1
	v_bfe_u32 v23, v10, 19, 4
	v_sub_u32_e32 v24, 29, v24
	v_and_b32_e32 v25, 7, v25
	v_cmp_eq_u16_e32 vcc, 0, v22
	v_cndmask_b32_e32 v21, v21, v25, vcc
	v_cndmask_b32_e32 v22, v23, v24, vcc
	v_lshlrev_b32_e32 v23, 8, v10
	v_mov_b32_e32 v24, 0x3b800000
	v_lshlrev_b32_e32 v21, 20, v21
	v_and_b32_e32 v23, 0x80000000, v23
	v_lshl_add_u32 v22, v22, 23, v24
	v_or3_b32 v22, v23, v22, v21
.LBB16_1304:
	s_or_b64 exec, exec, s[6:7]
	s_nop 0
	v_mfma_f32_16x16x4f32 a[0:3], v20, v22, a[0:3]
	s_movk_i32 s4, 0x7f
	v_cmp_gt_i16_sdwa s[6:7], v14, s4 src0_sel:BYTE_3 src1_sel:DWORD
	s_mov_b64 s[4:5], 0
                                        ; implicit-def: $sgpr10
	s_and_saveexec_b64 s[8:9], s[6:7]
	s_xor_b64 s[6:7], exec, s[8:9]
	s_cbranch_execnz .LBB16_3353
; %bb.1305:
	s_or_saveexec_b64 s[6:7], s[6:7]
	v_mov_b32_e32 v20, s10
	s_xor_b64 exec, exec, s[6:7]
	s_cbranch_execnz .LBB16_3356
.LBB16_1306:
	s_or_b64 exec, exec, s[6:7]
	s_and_saveexec_b64 s[6:7], s[4:5]
	s_cbranch_execz .LBB16_1308
.LBB16_1307:
	v_bfe_u32 v20, v14, 24, 3
	v_ffbh_u32_e32 v24, v20
	v_min_u32_e32 v24, 32, v24
	v_lshrrev_b32_e32 v22, 27, v14
	v_subrev_u32_e32 v25, 28, v24
	v_and_b32_e32 v21, 0x80000000, v14
	v_and_b32_e32 v22, 15, v22
	v_bfe_u32 v23, v14, 27, 4
	v_lshlrev_b32_sdwa v14, v25, v14 dst_sel:DWORD dst_unused:UNUSED_PAD src0_sel:DWORD src1_sel:BYTE_3
	v_sub_u32_e32 v24, 29, v24
	v_and_b32_e32 v14, 7, v14
	v_cmp_eq_u16_e32 vcc, 0, v22
	v_cndmask_b32_e32 v14, v20, v14, vcc
	v_cndmask_b32_e32 v20, v23, v24, vcc
	v_mov_b32_e32 v22, 0x3b800000
	v_lshlrev_b32_e32 v14, 20, v14
	v_lshl_add_u32 v20, v20, 23, v22
	v_or3_b32 v20, v21, v20, v14
.LBB16_1308:
	s_or_b64 exec, exec, s[6:7]
	s_movk_i32 s4, 0x7f
	v_cmp_gt_i16_sdwa s[6:7], v10, s4 src0_sel:BYTE_3 src1_sel:DWORD
	s_mov_b64 s[4:5], 0
                                        ; implicit-def: $sgpr10
	s_and_saveexec_b64 s[8:9], s[6:7]
	s_xor_b64 s[6:7], exec, s[8:9]
	s_cbranch_execnz .LBB16_3357
; %bb.1309:
	s_or_saveexec_b64 s[6:7], s[6:7]
	v_mov_b32_e32 v14, s10
	s_xor_b64 exec, exec, s[6:7]
	s_cbranch_execnz .LBB16_3360
.LBB16_1310:
	s_or_b64 exec, exec, s[6:7]
	s_and_saveexec_b64 s[6:7], s[4:5]
	s_cbranch_execz .LBB16_1312
.LBB16_1311:
	v_bfe_u32 v14, v10, 24, 3
	v_ffbh_u32_e32 v24, v14
	v_min_u32_e32 v24, 32, v24
	v_lshrrev_b32_e32 v22, 27, v10
	v_subrev_u32_e32 v25, 28, v24
	v_and_b32_e32 v21, 0x80000000, v10
	v_and_b32_e32 v22, 15, v22
	v_bfe_u32 v23, v10, 27, 4
	v_lshlrev_b32_sdwa v10, v25, v10 dst_sel:DWORD dst_unused:UNUSED_PAD src0_sel:DWORD src1_sel:BYTE_3
	v_sub_u32_e32 v24, 29, v24
	v_and_b32_e32 v10, 7, v10
	v_cmp_eq_u16_e32 vcc, 0, v22
	v_cndmask_b32_e32 v10, v14, v10, vcc
	v_cndmask_b32_e32 v14, v23, v24, vcc
	v_mov_b32_e32 v22, 0x3b800000
	v_lshlrev_b32_e32 v10, 20, v10
	v_lshl_add_u32 v14, v14, 23, v22
	v_or3_b32 v14, v21, v14, v10
.LBB16_1312:
	s_or_b64 exec, exec, s[6:7]
	s_nop 0
	v_mfma_f32_16x16x4f32 a[0:3], v20, v14, a[0:3]
	s_movk_i32 s4, 0x7f
	v_cmp_gt_i16_sdwa s[6:7], v15, s4 src0_sel:BYTE_0 src1_sel:DWORD
	s_mov_b64 s[4:5], 0
                                        ; implicit-def: $sgpr10
	s_and_saveexec_b64 s[8:9], s[6:7]
	s_xor_b64 s[6:7], exec, s[8:9]
	s_cbranch_execnz .LBB16_3361
; %bb.1313:
	s_or_saveexec_b64 s[6:7], s[6:7]
	v_mov_b32_e32 v10, s10
	s_xor_b64 exec, exec, s[6:7]
	s_cbranch_execnz .LBB16_3364
.LBB16_1314:
	s_or_b64 exec, exec, s[6:7]
	s_and_saveexec_b64 s[6:7], s[4:5]
	s_cbranch_execz .LBB16_1316
.LBB16_1315:
	v_and_b32_e32 v10, 7, v15
	v_ffbh_u32_e32 v20, v10
	v_min_u32_e32 v20, 32, v20
	v_lshrrev_b16_e32 v14, 3, v15
	v_subrev_u32_e32 v21, 28, v20
	v_and_b32_e32 v14, 15, v14
	v_lshlrev_b32_e32 v21, v21, v15
	v_sub_u32_e32 v20, 29, v20
	v_and_b32_e32 v21, 7, v21
	v_cmp_eq_u16_e32 vcc, 0, v14
	v_cndmask_b32_e32 v10, v10, v21, vcc
	v_cndmask_b32_e32 v14, v14, v20, vcc
	v_lshlrev_b32_e32 v20, 24, v15
	v_mov_b32_e32 v21, 0x3b800000
	v_lshlrev_b32_e32 v10, 20, v10
	v_and_b32_e32 v20, 0x80000000, v20
	v_lshl_add_u32 v14, v14, 23, v21
	v_or3_b32 v10, v20, v14, v10
.LBB16_1316:
	s_or_b64 exec, exec, s[6:7]
	s_movk_i32 s4, 0x7f
	v_cmp_gt_i16_sdwa s[6:7], v11, s4 src0_sel:BYTE_0 src1_sel:DWORD
	s_mov_b64 s[4:5], 0
                                        ; implicit-def: $sgpr10
	s_and_saveexec_b64 s[8:9], s[6:7]
	s_xor_b64 s[6:7], exec, s[8:9]
	s_cbranch_execnz .LBB16_3365
; %bb.1317:
	s_or_saveexec_b64 s[6:7], s[6:7]
	v_mov_b32_e32 v14, s10
	s_xor_b64 exec, exec, s[6:7]
	s_cbranch_execnz .LBB16_3368
.LBB16_1318:
	s_or_b64 exec, exec, s[6:7]
	s_and_saveexec_b64 s[6:7], s[4:5]
	s_cbranch_execz .LBB16_1320
.LBB16_1319:
	v_and_b32_e32 v14, 7, v11
	v_ffbh_u32_e32 v21, v14
	v_min_u32_e32 v21, 32, v21
	v_lshrrev_b16_e32 v20, 3, v11
	v_subrev_u32_e32 v22, 28, v21
	v_and_b32_e32 v20, 15, v20
	v_lshlrev_b32_e32 v22, v22, v11
	v_sub_u32_e32 v21, 29, v21
	v_and_b32_e32 v22, 7, v22
	v_cmp_eq_u16_e32 vcc, 0, v20
	v_cndmask_b32_e32 v14, v14, v22, vcc
	v_cndmask_b32_e32 v20, v20, v21, vcc
	v_lshlrev_b32_e32 v21, 24, v11
	v_mov_b32_e32 v22, 0x3b800000
	v_lshlrev_b32_e32 v14, 20, v14
	v_and_b32_e32 v21, 0x80000000, v21
	v_lshl_add_u32 v20, v20, 23, v22
	v_or3_b32 v14, v21, v20, v14
.LBB16_1320:
	s_or_b64 exec, exec, s[6:7]
	s_nop 0
	v_mfma_f32_16x16x4f32 a[0:3], v10, v14, a[0:3]
	v_lshrrev_b32_e32 v14, 8, v15
	s_movk_i32 s4, 0x7f
	v_cmp_gt_i16_sdwa s[6:7], v14, s4 src0_sel:BYTE_0 src1_sel:DWORD
	s_mov_b64 s[4:5], 0
                                        ; implicit-def: $sgpr10
	s_and_saveexec_b64 s[8:9], s[6:7]
	s_xor_b64 s[6:7], exec, s[8:9]
	s_cbranch_execnz .LBB16_3369
; %bb.1321:
	s_or_saveexec_b64 s[6:7], s[6:7]
	v_mov_b32_e32 v10, s10
	s_xor_b64 exec, exec, s[6:7]
	s_cbranch_execnz .LBB16_3372
.LBB16_1322:
	s_or_b64 exec, exec, s[6:7]
	s_and_saveexec_b64 s[6:7], s[4:5]
	s_cbranch_execz .LBB16_1324
.LBB16_1323:
	v_bfe_u32 v10, v15, 8, 3
	v_ffbh_u32_e32 v21, v10
	v_min_u32_e32 v21, 32, v21
	v_lshrrev_b16_e32 v20, 3, v14
	v_subrev_u32_e32 v22, 28, v21
	v_and_b32_e32 v20, 15, v20
	v_lshlrev_b32_e32 v14, v22, v14
	v_sub_u32_e32 v21, 29, v21
	v_and_b32_e32 v14, 7, v14
	v_cmp_eq_u16_e32 vcc, 0, v20
	v_cndmask_b32_e32 v10, v10, v14, vcc
	v_cndmask_b32_e32 v14, v20, v21, vcc
	v_lshlrev_b32_e32 v20, 16, v15
	v_mov_b32_e32 v21, 0x3b800000
	v_lshlrev_b32_e32 v10, 20, v10
	v_and_b32_e32 v20, 0x80000000, v20
	v_lshl_add_u32 v14, v14, 23, v21
	v_or3_b32 v10, v20, v14, v10
.LBB16_1324:
	s_or_b64 exec, exec, s[6:7]
	v_lshrrev_b32_e32 v14, 8, v11
	s_movk_i32 s4, 0x7f
	v_cmp_gt_i16_sdwa s[6:7], v14, s4 src0_sel:BYTE_0 src1_sel:DWORD
	s_mov_b64 s[4:5], 0
                                        ; implicit-def: $sgpr10
	s_and_saveexec_b64 s[8:9], s[6:7]
	s_xor_b64 s[6:7], exec, s[8:9]
	s_cbranch_execnz .LBB16_3373
; %bb.1325:
	s_or_saveexec_b64 s[6:7], s[6:7]
	v_mov_b32_e32 v20, s10
	s_xor_b64 exec, exec, s[6:7]
	s_cbranch_execnz .LBB16_3376
.LBB16_1326:
	s_or_b64 exec, exec, s[6:7]
	s_and_saveexec_b64 s[6:7], s[4:5]
	s_cbranch_execz .LBB16_1328
.LBB16_1327:
	v_bfe_u32 v20, v11, 8, 3
	v_ffbh_u32_e32 v22, v20
	v_min_u32_e32 v22, 32, v22
	v_lshrrev_b16_e32 v21, 3, v14
	v_subrev_u32_e32 v23, 28, v22
	v_and_b32_e32 v21, 15, v21
	v_lshlrev_b32_e32 v14, v23, v14
	v_sub_u32_e32 v22, 29, v22
	v_and_b32_e32 v14, 7, v14
	v_cmp_eq_u16_e32 vcc, 0, v21
	v_cndmask_b32_e32 v14, v20, v14, vcc
	v_cndmask_b32_e32 v20, v21, v22, vcc
	v_lshlrev_b32_e32 v21, 16, v11
	v_mov_b32_e32 v22, 0x3b800000
	v_lshlrev_b32_e32 v14, 20, v14
	v_and_b32_e32 v21, 0x80000000, v21
	v_lshl_add_u32 v20, v20, 23, v22
	v_or3_b32 v20, v21, v20, v14
.LBB16_1328:
	s_or_b64 exec, exec, s[6:7]
	s_nop 0
	v_mfma_f32_16x16x4f32 a[0:3], v10, v20, a[0:3]
	s_movk_i32 s4, 0xff
	v_and_b32_sdwa v14, v15, s4 dst_sel:DWORD dst_unused:UNUSED_PAD src0_sel:WORD_1 src1_sel:DWORD
	s_movk_i32 s4, 0x7f
	v_cmp_lt_i16_e32 vcc, s4, v14
	s_mov_b64 s[4:5], 0
                                        ; implicit-def: $sgpr10
	s_and_saveexec_b64 s[6:7], vcc
	s_xor_b64 s[6:7], exec, s[6:7]
	s_cbranch_execnz .LBB16_3377
; %bb.1329:
	s_or_saveexec_b64 s[6:7], s[6:7]
	v_mov_b32_e32 v10, s10
	s_xor_b64 exec, exec, s[6:7]
	s_cbranch_execnz .LBB16_3380
.LBB16_1330:
	s_or_b64 exec, exec, s[6:7]
	s_and_saveexec_b64 s[6:7], s[4:5]
	s_cbranch_execz .LBB16_1332
.LBB16_1331:
	v_bfe_u32 v10, v15, 16, 3
	v_ffbh_u32_e32 v21, v10
	v_min_u32_e32 v21, 32, v21
	v_lshrrev_b32_e32 v14, 19, v15
	v_subrev_u32_e32 v22, 28, v21
	v_and_b32_e32 v14, 15, v14
	v_lshlrev_b32_sdwa v22, v22, v15 dst_sel:DWORD dst_unused:UNUSED_PAD src0_sel:DWORD src1_sel:WORD_1
	v_bfe_u32 v20, v15, 19, 4
	v_sub_u32_e32 v21, 29, v21
	v_and_b32_e32 v22, 7, v22
	v_cmp_eq_u16_e32 vcc, 0, v14
	v_cndmask_b32_e32 v10, v10, v22, vcc
	v_cndmask_b32_e32 v14, v20, v21, vcc
	v_lshlrev_b32_e32 v20, 8, v15
	v_mov_b32_e32 v21, 0x3b800000
	v_lshlrev_b32_e32 v10, 20, v10
	v_and_b32_e32 v20, 0x80000000, v20
	v_lshl_add_u32 v14, v14, 23, v21
	v_or3_b32 v10, v20, v14, v10
.LBB16_1332:
	s_or_b64 exec, exec, s[6:7]
	s_movk_i32 s4, 0xff
	v_and_b32_sdwa v14, v11, s4 dst_sel:DWORD dst_unused:UNUSED_PAD src0_sel:WORD_1 src1_sel:DWORD
	s_movk_i32 s4, 0x7f
	v_cmp_lt_i16_e32 vcc, s4, v14
	s_mov_b64 s[4:5], 0
                                        ; implicit-def: $sgpr10
	s_and_saveexec_b64 s[6:7], vcc
	s_xor_b64 s[6:7], exec, s[6:7]
	s_cbranch_execnz .LBB16_3381
; %bb.1333:
	s_or_saveexec_b64 s[6:7], s[6:7]
	v_mov_b32_e32 v20, s10
	s_xor_b64 exec, exec, s[6:7]
	s_cbranch_execnz .LBB16_3384
.LBB16_1334:
	s_or_b64 exec, exec, s[6:7]
	s_and_saveexec_b64 s[6:7], s[4:5]
	s_cbranch_execz .LBB16_1336
.LBB16_1335:
	v_bfe_u32 v14, v11, 16, 3
	v_ffbh_u32_e32 v22, v14
	v_min_u32_e32 v22, 32, v22
	v_lshrrev_b32_e32 v20, 19, v11
	v_subrev_u32_e32 v23, 28, v22
	v_and_b32_e32 v20, 15, v20
	v_lshlrev_b32_sdwa v23, v23, v11 dst_sel:DWORD dst_unused:UNUSED_PAD src0_sel:DWORD src1_sel:WORD_1
	v_bfe_u32 v21, v11, 19, 4
	v_sub_u32_e32 v22, 29, v22
	v_and_b32_e32 v23, 7, v23
	v_cmp_eq_u16_e32 vcc, 0, v20
	v_cndmask_b32_e32 v14, v14, v23, vcc
	v_cndmask_b32_e32 v20, v21, v22, vcc
	v_lshlrev_b32_e32 v21, 8, v11
	v_mov_b32_e32 v22, 0x3b800000
	v_lshlrev_b32_e32 v14, 20, v14
	v_and_b32_e32 v21, 0x80000000, v21
	v_lshl_add_u32 v20, v20, 23, v22
	v_or3_b32 v20, v21, v20, v14
.LBB16_1336:
	s_or_b64 exec, exec, s[6:7]
	s_nop 0
	v_mfma_f32_16x16x4f32 a[0:3], v10, v20, a[0:3]
	s_movk_i32 s4, 0x7f
	v_cmp_gt_i16_sdwa s[6:7], v15, s4 src0_sel:BYTE_3 src1_sel:DWORD
	s_mov_b64 s[4:5], 0
                                        ; implicit-def: $sgpr10
	s_and_saveexec_b64 s[8:9], s[6:7]
	s_xor_b64 s[6:7], exec, s[8:9]
	s_cbranch_execnz .LBB16_3385
; %bb.1337:
	s_or_saveexec_b64 s[6:7], s[6:7]
	v_mov_b32_e32 v10, s10
	s_xor_b64 exec, exec, s[6:7]
	s_cbranch_execnz .LBB16_3388
.LBB16_1338:
	s_or_b64 exec, exec, s[6:7]
	s_and_saveexec_b64 s[6:7], s[4:5]
	s_cbranch_execz .LBB16_1340
.LBB16_1339:
	v_bfe_u32 v10, v15, 24, 3
	v_ffbh_u32_e32 v22, v10
	v_min_u32_e32 v22, 32, v22
	v_lshrrev_b32_e32 v20, 27, v15
	v_subrev_u32_e32 v23, 28, v22
	v_and_b32_e32 v14, 0x80000000, v15
	v_and_b32_e32 v20, 15, v20
	v_bfe_u32 v21, v15, 27, 4
	v_lshlrev_b32_sdwa v15, v23, v15 dst_sel:DWORD dst_unused:UNUSED_PAD src0_sel:DWORD src1_sel:BYTE_3
	v_sub_u32_e32 v22, 29, v22
	v_and_b32_e32 v15, 7, v15
	v_cmp_eq_u16_e32 vcc, 0, v20
	v_cndmask_b32_e32 v10, v10, v15, vcc
	v_cndmask_b32_e32 v15, v21, v22, vcc
	v_mov_b32_e32 v20, 0x3b800000
	v_lshlrev_b32_e32 v10, 20, v10
	v_lshl_add_u32 v15, v15, 23, v20
	v_or3_b32 v10, v14, v15, v10
.LBB16_1340:
	s_or_b64 exec, exec, s[6:7]
	s_movk_i32 s4, 0x7f
	v_cmp_gt_i16_sdwa s[6:7], v11, s4 src0_sel:BYTE_3 src1_sel:DWORD
	s_mov_b64 s[4:5], 0
                                        ; implicit-def: $sgpr10
	s_and_saveexec_b64 s[8:9], s[6:7]
	s_xor_b64 s[6:7], exec, s[8:9]
	s_cbranch_execnz .LBB16_3389
; %bb.1341:
	s_or_saveexec_b64 s[6:7], s[6:7]
	v_mov_b32_e32 v14, s10
	s_xor_b64 exec, exec, s[6:7]
	s_cbranch_execnz .LBB16_3392
.LBB16_1342:
	s_or_b64 exec, exec, s[6:7]
	s_and_saveexec_b64 s[6:7], s[4:5]
	s_cbranch_execz .LBB16_1344
.LBB16_1343:
	v_bfe_u32 v14, v11, 24, 3
	v_ffbh_u32_e32 v22, v14
	v_min_u32_e32 v22, 32, v22
	v_lshrrev_b32_e32 v20, 27, v11
	v_subrev_u32_e32 v23, 28, v22
	v_and_b32_e32 v15, 0x80000000, v11
	v_and_b32_e32 v20, 15, v20
	v_bfe_u32 v21, v11, 27, 4
	v_lshlrev_b32_sdwa v11, v23, v11 dst_sel:DWORD dst_unused:UNUSED_PAD src0_sel:DWORD src1_sel:BYTE_3
	v_sub_u32_e32 v22, 29, v22
	v_and_b32_e32 v11, 7, v11
	v_cmp_eq_u16_e32 vcc, 0, v20
	v_cndmask_b32_e32 v11, v14, v11, vcc
	v_cndmask_b32_e32 v14, v21, v22, vcc
	v_mov_b32_e32 v20, 0x3b800000
	v_lshlrev_b32_e32 v11, 20, v11
	v_lshl_add_u32 v14, v14, 23, v20
	v_or3_b32 v14, v15, v14, v11
.LBB16_1344:
	s_or_b64 exec, exec, s[6:7]
	s_nop 0
	v_mfma_f32_16x16x4f32 a[0:3], v10, v14, a[0:3]
	s_movk_i32 s4, 0x7f
	v_cmp_gt_i16_sdwa s[6:7], v16, s4 src0_sel:BYTE_0 src1_sel:DWORD
	s_mov_b64 s[4:5], 0
                                        ; implicit-def: $sgpr10
	s_and_saveexec_b64 s[8:9], s[6:7]
	s_xor_b64 s[6:7], exec, s[8:9]
	s_cbranch_execnz .LBB16_3393
; %bb.1345:
	s_or_saveexec_b64 s[6:7], s[6:7]
	v_mov_b32_e32 v10, s10
	s_xor_b64 exec, exec, s[6:7]
	s_cbranch_execnz .LBB16_3396
.LBB16_1346:
	s_or_b64 exec, exec, s[6:7]
	s_and_saveexec_b64 s[6:7], s[4:5]
	s_cbranch_execz .LBB16_1348
.LBB16_1347:
	v_and_b32_e32 v10, 7, v16
	v_ffbh_u32_e32 v14, v10
	v_min_u32_e32 v14, 32, v14
	v_lshrrev_b16_e32 v11, 3, v16
	v_subrev_u32_e32 v15, 28, v14
	v_and_b32_e32 v11, 15, v11
	v_lshlrev_b32_e32 v15, v15, v16
	v_sub_u32_e32 v14, 29, v14
	v_and_b32_e32 v15, 7, v15
	v_cmp_eq_u16_e32 vcc, 0, v11
	v_cndmask_b32_e32 v10, v10, v15, vcc
	v_cndmask_b32_e32 v11, v11, v14, vcc
	v_lshlrev_b32_e32 v14, 24, v16
	v_mov_b32_e32 v15, 0x3b800000
	v_lshlrev_b32_e32 v10, 20, v10
	v_and_b32_e32 v14, 0x80000000, v14
	v_lshl_add_u32 v11, v11, 23, v15
	v_or3_b32 v10, v14, v11, v10
.LBB16_1348:
	s_or_b64 exec, exec, s[6:7]
	s_movk_i32 s4, 0x7f
	v_cmp_gt_i16_sdwa s[6:7], v12, s4 src0_sel:BYTE_0 src1_sel:DWORD
	s_mov_b64 s[4:5], 0
                                        ; implicit-def: $sgpr10
	s_and_saveexec_b64 s[8:9], s[6:7]
	s_xor_b64 s[6:7], exec, s[8:9]
	s_cbranch_execnz .LBB16_3397
; %bb.1349:
	s_or_saveexec_b64 s[6:7], s[6:7]
	v_mov_b32_e32 v11, s10
	s_xor_b64 exec, exec, s[6:7]
	s_cbranch_execnz .LBB16_3400
.LBB16_1350:
	s_or_b64 exec, exec, s[6:7]
	s_and_saveexec_b64 s[6:7], s[4:5]
	s_cbranch_execz .LBB16_1352
.LBB16_1351:
	v_and_b32_e32 v11, 7, v12
	v_ffbh_u32_e32 v15, v11
	v_min_u32_e32 v15, 32, v15
	v_lshrrev_b16_e32 v14, 3, v12
	v_subrev_u32_e32 v20, 28, v15
	v_and_b32_e32 v14, 15, v14
	v_lshlrev_b32_e32 v20, v20, v12
	v_sub_u32_e32 v15, 29, v15
	v_and_b32_e32 v20, 7, v20
	v_cmp_eq_u16_e32 vcc, 0, v14
	v_cndmask_b32_e32 v11, v11, v20, vcc
	v_cndmask_b32_e32 v14, v14, v15, vcc
	v_lshlrev_b32_e32 v15, 24, v12
	v_mov_b32_e32 v20, 0x3b800000
	v_lshlrev_b32_e32 v11, 20, v11
	v_and_b32_e32 v15, 0x80000000, v15
	v_lshl_add_u32 v14, v14, 23, v20
	v_or3_b32 v11, v15, v14, v11
.LBB16_1352:
	s_or_b64 exec, exec, s[6:7]
	s_nop 0
	v_mfma_f32_16x16x4f32 a[0:3], v10, v11, a[0:3]
	v_lshrrev_b32_e32 v11, 8, v16
	s_movk_i32 s4, 0x7f
	v_cmp_gt_i16_sdwa s[6:7], v11, s4 src0_sel:BYTE_0 src1_sel:DWORD
	s_mov_b64 s[4:5], 0
                                        ; implicit-def: $sgpr10
	s_and_saveexec_b64 s[8:9], s[6:7]
	s_xor_b64 s[6:7], exec, s[8:9]
	s_cbranch_execnz .LBB16_3401
; %bb.1353:
	s_or_saveexec_b64 s[6:7], s[6:7]
	v_mov_b32_e32 v10, s10
	s_xor_b64 exec, exec, s[6:7]
	s_cbranch_execnz .LBB16_3404
.LBB16_1354:
	s_or_b64 exec, exec, s[6:7]
	s_and_saveexec_b64 s[6:7], s[4:5]
	s_cbranch_execz .LBB16_1356
.LBB16_1355:
	v_bfe_u32 v10, v16, 8, 3
	v_ffbh_u32_e32 v15, v10
	v_min_u32_e32 v15, 32, v15
	v_lshrrev_b16_e32 v14, 3, v11
	v_subrev_u32_e32 v20, 28, v15
	v_and_b32_e32 v14, 15, v14
	v_lshlrev_b32_e32 v11, v20, v11
	v_sub_u32_e32 v15, 29, v15
	v_and_b32_e32 v11, 7, v11
	v_cmp_eq_u16_e32 vcc, 0, v14
	v_cndmask_b32_e32 v10, v10, v11, vcc
	v_cndmask_b32_e32 v11, v14, v15, vcc
	v_lshlrev_b32_e32 v14, 16, v16
	v_mov_b32_e32 v15, 0x3b800000
	v_lshlrev_b32_e32 v10, 20, v10
	v_and_b32_e32 v14, 0x80000000, v14
	v_lshl_add_u32 v11, v11, 23, v15
	v_or3_b32 v10, v14, v11, v10
.LBB16_1356:
	s_or_b64 exec, exec, s[6:7]
	v_lshrrev_b32_e32 v11, 8, v12
	s_movk_i32 s4, 0x7f
	v_cmp_gt_i16_sdwa s[6:7], v11, s4 src0_sel:BYTE_0 src1_sel:DWORD
	s_mov_b64 s[4:5], 0
                                        ; implicit-def: $sgpr10
	s_and_saveexec_b64 s[8:9], s[6:7]
	s_xor_b64 s[6:7], exec, s[8:9]
	s_cbranch_execnz .LBB16_3405
; %bb.1357:
	s_or_saveexec_b64 s[6:7], s[6:7]
	v_mov_b32_e32 v14, s10
	s_xor_b64 exec, exec, s[6:7]
	s_cbranch_execnz .LBB16_3408
.LBB16_1358:
	s_or_b64 exec, exec, s[6:7]
	s_and_saveexec_b64 s[6:7], s[4:5]
	s_cbranch_execz .LBB16_1360
.LBB16_1359:
	v_bfe_u32 v14, v12, 8, 3
	v_ffbh_u32_e32 v20, v14
	v_min_u32_e32 v20, 32, v20
	v_lshrrev_b16_e32 v15, 3, v11
	v_subrev_u32_e32 v21, 28, v20
	v_and_b32_e32 v15, 15, v15
	v_lshlrev_b32_e32 v11, v21, v11
	v_sub_u32_e32 v20, 29, v20
	v_and_b32_e32 v11, 7, v11
	v_cmp_eq_u16_e32 vcc, 0, v15
	v_cndmask_b32_e32 v11, v14, v11, vcc
	v_cndmask_b32_e32 v14, v15, v20, vcc
	v_lshlrev_b32_e32 v15, 16, v12
	v_mov_b32_e32 v20, 0x3b800000
	v_lshlrev_b32_e32 v11, 20, v11
	v_and_b32_e32 v15, 0x80000000, v15
	v_lshl_add_u32 v14, v14, 23, v20
	v_or3_b32 v14, v15, v14, v11
.LBB16_1360:
	s_or_b64 exec, exec, s[6:7]
	s_nop 0
	v_mfma_f32_16x16x4f32 a[0:3], v10, v14, a[0:3]
	s_movk_i32 s4, 0xff
	v_and_b32_sdwa v11, v16, s4 dst_sel:DWORD dst_unused:UNUSED_PAD src0_sel:WORD_1 src1_sel:DWORD
	s_movk_i32 s4, 0x7f
	v_cmp_lt_i16_e32 vcc, s4, v11
	s_mov_b64 s[4:5], 0
                                        ; implicit-def: $sgpr10
	s_and_saveexec_b64 s[6:7], vcc
	s_xor_b64 s[6:7], exec, s[6:7]
	s_cbranch_execnz .LBB16_3409
; %bb.1361:
	s_or_saveexec_b64 s[6:7], s[6:7]
	v_mov_b32_e32 v10, s10
	s_xor_b64 exec, exec, s[6:7]
	s_cbranch_execnz .LBB16_3412
.LBB16_1362:
	s_or_b64 exec, exec, s[6:7]
	s_and_saveexec_b64 s[6:7], s[4:5]
	s_cbranch_execz .LBB16_1364
.LBB16_1363:
	v_bfe_u32 v10, v16, 16, 3
	v_ffbh_u32_e32 v15, v10
	v_min_u32_e32 v15, 32, v15
	v_lshrrev_b32_e32 v11, 19, v16
	v_subrev_u32_e32 v20, 28, v15
	v_and_b32_e32 v11, 15, v11
	v_lshlrev_b32_sdwa v20, v20, v16 dst_sel:DWORD dst_unused:UNUSED_PAD src0_sel:DWORD src1_sel:WORD_1
	v_bfe_u32 v14, v16, 19, 4
	v_sub_u32_e32 v15, 29, v15
	v_and_b32_e32 v20, 7, v20
	v_cmp_eq_u16_e32 vcc, 0, v11
	v_cndmask_b32_e32 v10, v10, v20, vcc
	v_cndmask_b32_e32 v11, v14, v15, vcc
	v_lshlrev_b32_e32 v14, 8, v16
	v_mov_b32_e32 v15, 0x3b800000
	v_lshlrev_b32_e32 v10, 20, v10
	v_and_b32_e32 v14, 0x80000000, v14
	v_lshl_add_u32 v11, v11, 23, v15
	v_or3_b32 v10, v14, v11, v10
.LBB16_1364:
	s_or_b64 exec, exec, s[6:7]
	s_movk_i32 s4, 0xff
	v_and_b32_sdwa v11, v12, s4 dst_sel:DWORD dst_unused:UNUSED_PAD src0_sel:WORD_1 src1_sel:DWORD
	s_movk_i32 s4, 0x7f
	v_cmp_lt_i16_e32 vcc, s4, v11
	s_mov_b64 s[4:5], 0
                                        ; implicit-def: $sgpr10
	s_and_saveexec_b64 s[6:7], vcc
	s_xor_b64 s[6:7], exec, s[6:7]
	s_cbranch_execnz .LBB16_3413
; %bb.1365:
	s_or_saveexec_b64 s[6:7], s[6:7]
	v_mov_b32_e32 v14, s10
	s_xor_b64 exec, exec, s[6:7]
	s_cbranch_execnz .LBB16_3416
.LBB16_1366:
	s_or_b64 exec, exec, s[6:7]
	s_and_saveexec_b64 s[6:7], s[4:5]
	s_cbranch_execz .LBB16_1368
.LBB16_1367:
	v_bfe_u32 v11, v12, 16, 3
	v_ffbh_u32_e32 v20, v11
	v_min_u32_e32 v20, 32, v20
	v_lshrrev_b32_e32 v14, 19, v12
	v_subrev_u32_e32 v21, 28, v20
	v_and_b32_e32 v14, 15, v14
	v_lshlrev_b32_sdwa v21, v21, v12 dst_sel:DWORD dst_unused:UNUSED_PAD src0_sel:DWORD src1_sel:WORD_1
	v_bfe_u32 v15, v12, 19, 4
	v_sub_u32_e32 v20, 29, v20
	v_and_b32_e32 v21, 7, v21
	v_cmp_eq_u16_e32 vcc, 0, v14
	v_cndmask_b32_e32 v11, v11, v21, vcc
	v_cndmask_b32_e32 v14, v15, v20, vcc
	v_lshlrev_b32_e32 v15, 8, v12
	v_mov_b32_e32 v20, 0x3b800000
	v_lshlrev_b32_e32 v11, 20, v11
	v_and_b32_e32 v15, 0x80000000, v15
	v_lshl_add_u32 v14, v14, 23, v20
	v_or3_b32 v14, v15, v14, v11
.LBB16_1368:
	s_or_b64 exec, exec, s[6:7]
	s_nop 0
	v_mfma_f32_16x16x4f32 a[0:3], v10, v14, a[0:3]
	s_movk_i32 s4, 0x7f
	v_cmp_gt_i16_sdwa s[6:7], v16, s4 src0_sel:BYTE_3 src1_sel:DWORD
	s_mov_b64 s[4:5], 0
                                        ; implicit-def: $sgpr10
	s_and_saveexec_b64 s[8:9], s[6:7]
	s_xor_b64 s[6:7], exec, s[8:9]
	s_cbranch_execnz .LBB16_3417
; %bb.1369:
	s_or_saveexec_b64 s[6:7], s[6:7]
	v_mov_b32_e32 v10, s10
	s_xor_b64 exec, exec, s[6:7]
	s_cbranch_execnz .LBB16_3420
.LBB16_1370:
	s_or_b64 exec, exec, s[6:7]
	s_and_saveexec_b64 s[6:7], s[4:5]
	s_cbranch_execz .LBB16_1372
.LBB16_1371:
	v_bfe_u32 v10, v16, 24, 3
	v_ffbh_u32_e32 v20, v10
	v_min_u32_e32 v20, 32, v20
	v_lshrrev_b32_e32 v14, 27, v16
	v_subrev_u32_e32 v21, 28, v20
	v_and_b32_e32 v11, 0x80000000, v16
	v_and_b32_e32 v14, 15, v14
	v_bfe_u32 v15, v16, 27, 4
	v_lshlrev_b32_sdwa v16, v21, v16 dst_sel:DWORD dst_unused:UNUSED_PAD src0_sel:DWORD src1_sel:BYTE_3
	v_sub_u32_e32 v20, 29, v20
	v_and_b32_e32 v16, 7, v16
	v_cmp_eq_u16_e32 vcc, 0, v14
	v_cndmask_b32_e32 v10, v10, v16, vcc
	v_cndmask_b32_e32 v14, v15, v20, vcc
	v_mov_b32_e32 v15, 0x3b800000
	v_lshlrev_b32_e32 v10, 20, v10
	v_lshl_add_u32 v14, v14, 23, v15
	v_or3_b32 v10, v11, v14, v10
.LBB16_1372:
	s_or_b64 exec, exec, s[6:7]
	s_movk_i32 s4, 0x7f
	v_cmp_gt_i16_sdwa s[6:7], v12, s4 src0_sel:BYTE_3 src1_sel:DWORD
	s_mov_b64 s[4:5], 0
                                        ; implicit-def: $sgpr10
	s_and_saveexec_b64 s[8:9], s[6:7]
	s_xor_b64 s[6:7], exec, s[8:9]
	s_cbranch_execnz .LBB16_3421
; %bb.1373:
	s_or_saveexec_b64 s[6:7], s[6:7]
	v_mov_b32_e32 v11, s10
	s_xor_b64 exec, exec, s[6:7]
	s_cbranch_execnz .LBB16_3424
.LBB16_1374:
	s_or_b64 exec, exec, s[6:7]
	s_and_saveexec_b64 s[6:7], s[4:5]
	s_cbranch_execz .LBB16_1376
.LBB16_1375:
	v_bfe_u32 v11, v12, 24, 3
	v_ffbh_u32_e32 v20, v11
	v_min_u32_e32 v20, 32, v20
	v_lshrrev_b32_e32 v15, 27, v12
	v_subrev_u32_e32 v21, 28, v20
	v_and_b32_e32 v14, 0x80000000, v12
	v_and_b32_e32 v15, 15, v15
	v_bfe_u32 v16, v12, 27, 4
	v_lshlrev_b32_sdwa v12, v21, v12 dst_sel:DWORD dst_unused:UNUSED_PAD src0_sel:DWORD src1_sel:BYTE_3
	v_sub_u32_e32 v20, 29, v20
	v_and_b32_e32 v12, 7, v12
	v_cmp_eq_u16_e32 vcc, 0, v15
	v_cndmask_b32_e32 v11, v11, v12, vcc
	v_cndmask_b32_e32 v12, v16, v20, vcc
	v_mov_b32_e32 v15, 0x3b800000
	v_lshlrev_b32_e32 v11, 20, v11
	v_lshl_add_u32 v12, v12, 23, v15
	v_or3_b32 v11, v14, v12, v11
.LBB16_1376:
	s_or_b64 exec, exec, s[6:7]
	s_nop 0
	v_mfma_f32_16x16x4f32 a[0:3], v10, v11, a[0:3]
	s_movk_i32 s4, 0x7f
	v_cmp_gt_i16_sdwa s[6:7], v17, s4 src0_sel:BYTE_0 src1_sel:DWORD
	s_mov_b64 s[4:5], 0
                                        ; implicit-def: $sgpr10
	s_and_saveexec_b64 s[8:9], s[6:7]
	s_xor_b64 s[6:7], exec, s[8:9]
	s_cbranch_execnz .LBB16_3425
; %bb.1377:
	s_or_saveexec_b64 s[6:7], s[6:7]
	v_mov_b32_e32 v10, s10
	s_xor_b64 exec, exec, s[6:7]
	s_cbranch_execnz .LBB16_3428
.LBB16_1378:
	s_or_b64 exec, exec, s[6:7]
	s_and_saveexec_b64 s[6:7], s[4:5]
	s_cbranch_execz .LBB16_1380
.LBB16_1379:
	v_and_b32_e32 v10, 7, v17
	v_ffbh_u32_e32 v12, v10
	v_min_u32_e32 v12, 32, v12
	v_lshrrev_b16_e32 v11, 3, v17
	v_subrev_u32_e32 v14, 28, v12
	v_and_b32_e32 v11, 15, v11
	v_lshlrev_b32_e32 v14, v14, v17
	v_sub_u32_e32 v12, 29, v12
	v_and_b32_e32 v14, 7, v14
	v_cmp_eq_u16_e32 vcc, 0, v11
	v_cndmask_b32_e32 v10, v10, v14, vcc
	v_cndmask_b32_e32 v11, v11, v12, vcc
	v_lshlrev_b32_e32 v12, 24, v17
	v_mov_b32_e32 v14, 0x3b800000
	v_lshlrev_b32_e32 v10, 20, v10
	v_and_b32_e32 v12, 0x80000000, v12
	v_lshl_add_u32 v11, v11, 23, v14
	v_or3_b32 v10, v12, v11, v10
.LBB16_1380:
	s_or_b64 exec, exec, s[6:7]
	s_movk_i32 s4, 0x7f
	v_cmp_gt_i16_sdwa s[6:7], v13, s4 src0_sel:BYTE_0 src1_sel:DWORD
	s_mov_b64 s[4:5], 0
                                        ; implicit-def: $sgpr10
	s_and_saveexec_b64 s[8:9], s[6:7]
	s_xor_b64 s[6:7], exec, s[8:9]
	s_cbranch_execnz .LBB16_3429
; %bb.1381:
	s_or_saveexec_b64 s[6:7], s[6:7]
	v_mov_b32_e32 v11, s10
	s_xor_b64 exec, exec, s[6:7]
	s_cbranch_execnz .LBB16_3432
.LBB16_1382:
	s_or_b64 exec, exec, s[6:7]
	s_and_saveexec_b64 s[6:7], s[4:5]
	s_cbranch_execz .LBB16_1384
.LBB16_1383:
	v_and_b32_e32 v11, 7, v13
	v_ffbh_u32_e32 v14, v11
	v_min_u32_e32 v14, 32, v14
	v_lshrrev_b16_e32 v12, 3, v13
	v_subrev_u32_e32 v15, 28, v14
	v_and_b32_e32 v12, 15, v12
	v_lshlrev_b32_e32 v15, v15, v13
	v_sub_u32_e32 v14, 29, v14
	v_and_b32_e32 v15, 7, v15
	v_cmp_eq_u16_e32 vcc, 0, v12
	v_cndmask_b32_e32 v11, v11, v15, vcc
	v_cndmask_b32_e32 v12, v12, v14, vcc
	v_lshlrev_b32_e32 v14, 24, v13
	v_mov_b32_e32 v15, 0x3b800000
	v_lshlrev_b32_e32 v11, 20, v11
	v_and_b32_e32 v14, 0x80000000, v14
	v_lshl_add_u32 v12, v12, 23, v15
	v_or3_b32 v11, v14, v12, v11
.LBB16_1384:
	s_or_b64 exec, exec, s[6:7]
	s_nop 0
	v_mfma_f32_16x16x4f32 a[0:3], v10, v11, a[0:3]
	v_lshrrev_b32_e32 v11, 8, v17
	s_movk_i32 s4, 0x7f
	v_cmp_gt_i16_sdwa s[6:7], v11, s4 src0_sel:BYTE_0 src1_sel:DWORD
	s_mov_b64 s[4:5], 0
                                        ; implicit-def: $sgpr10
	s_and_saveexec_b64 s[8:9], s[6:7]
	s_xor_b64 s[6:7], exec, s[8:9]
	s_cbranch_execnz .LBB16_3433
; %bb.1385:
	s_or_saveexec_b64 s[6:7], s[6:7]
	v_mov_b32_e32 v10, s10
	s_xor_b64 exec, exec, s[6:7]
	s_cbranch_execnz .LBB16_3436
.LBB16_1386:
	s_or_b64 exec, exec, s[6:7]
	s_and_saveexec_b64 s[6:7], s[4:5]
	s_cbranch_execz .LBB16_1388
.LBB16_1387:
	v_bfe_u32 v10, v17, 8, 3
	v_ffbh_u32_e32 v14, v10
	v_min_u32_e32 v14, 32, v14
	v_lshrrev_b16_e32 v12, 3, v11
	v_subrev_u32_e32 v15, 28, v14
	v_and_b32_e32 v12, 15, v12
	v_lshlrev_b32_e32 v11, v15, v11
	v_sub_u32_e32 v14, 29, v14
	v_and_b32_e32 v11, 7, v11
	v_cmp_eq_u16_e32 vcc, 0, v12
	v_cndmask_b32_e32 v10, v10, v11, vcc
	v_cndmask_b32_e32 v11, v12, v14, vcc
	v_lshlrev_b32_e32 v12, 16, v17
	v_mov_b32_e32 v14, 0x3b800000
	v_lshlrev_b32_e32 v10, 20, v10
	v_and_b32_e32 v12, 0x80000000, v12
	v_lshl_add_u32 v11, v11, 23, v14
	v_or3_b32 v10, v12, v11, v10
.LBB16_1388:
	s_or_b64 exec, exec, s[6:7]
	v_lshrrev_b32_e32 v11, 8, v13
	s_movk_i32 s4, 0x7f
	v_cmp_gt_i16_sdwa s[6:7], v11, s4 src0_sel:BYTE_0 src1_sel:DWORD
	s_mov_b64 s[4:5], 0
                                        ; implicit-def: $sgpr10
	s_and_saveexec_b64 s[8:9], s[6:7]
	s_xor_b64 s[6:7], exec, s[8:9]
	s_cbranch_execnz .LBB16_3437
; %bb.1389:
	s_or_saveexec_b64 s[6:7], s[6:7]
	v_mov_b32_e32 v12, s10
	s_xor_b64 exec, exec, s[6:7]
	s_cbranch_execnz .LBB16_3440
.LBB16_1390:
	s_or_b64 exec, exec, s[6:7]
	s_and_saveexec_b64 s[6:7], s[4:5]
	s_cbranch_execz .LBB16_1392
.LBB16_1391:
	v_bfe_u32 v12, v13, 8, 3
	v_ffbh_u32_e32 v15, v12
	v_min_u32_e32 v15, 32, v15
	v_lshrrev_b16_e32 v14, 3, v11
	v_subrev_u32_e32 v16, 28, v15
	v_and_b32_e32 v14, 15, v14
	v_lshlrev_b32_e32 v11, v16, v11
	v_sub_u32_e32 v15, 29, v15
	v_and_b32_e32 v11, 7, v11
	v_cmp_eq_u16_e32 vcc, 0, v14
	v_cndmask_b32_e32 v11, v12, v11, vcc
	v_cndmask_b32_e32 v12, v14, v15, vcc
	v_lshlrev_b32_e32 v14, 16, v13
	v_mov_b32_e32 v15, 0x3b800000
	v_lshlrev_b32_e32 v11, 20, v11
	v_and_b32_e32 v14, 0x80000000, v14
	v_lshl_add_u32 v12, v12, 23, v15
	v_or3_b32 v12, v14, v12, v11
.LBB16_1392:
	s_or_b64 exec, exec, s[6:7]
	s_nop 0
	v_mfma_f32_16x16x4f32 a[0:3], v10, v12, a[0:3]
	s_movk_i32 s4, 0xff
	v_and_b32_sdwa v11, v17, s4 dst_sel:DWORD dst_unused:UNUSED_PAD src0_sel:WORD_1 src1_sel:DWORD
	s_movk_i32 s4, 0x7f
	v_cmp_lt_i16_e32 vcc, s4, v11
	s_mov_b64 s[4:5], 0
                                        ; implicit-def: $sgpr10
	s_and_saveexec_b64 s[6:7], vcc
	s_xor_b64 s[6:7], exec, s[6:7]
	s_cbranch_execnz .LBB16_3441
; %bb.1393:
	s_or_saveexec_b64 s[6:7], s[6:7]
	v_mov_b32_e32 v10, s10
	s_xor_b64 exec, exec, s[6:7]
	s_cbranch_execnz .LBB16_3444
.LBB16_1394:
	s_or_b64 exec, exec, s[6:7]
	s_and_saveexec_b64 s[6:7], s[4:5]
	s_cbranch_execz .LBB16_1396
.LBB16_1395:
	v_bfe_u32 v10, v17, 16, 3
	v_ffbh_u32_e32 v14, v10
	v_min_u32_e32 v14, 32, v14
	v_lshrrev_b32_e32 v11, 19, v17
	v_subrev_u32_e32 v15, 28, v14
	v_and_b32_e32 v11, 15, v11
	v_lshlrev_b32_sdwa v15, v15, v17 dst_sel:DWORD dst_unused:UNUSED_PAD src0_sel:DWORD src1_sel:WORD_1
	v_bfe_u32 v12, v17, 19, 4
	v_sub_u32_e32 v14, 29, v14
	v_and_b32_e32 v15, 7, v15
	v_cmp_eq_u16_e32 vcc, 0, v11
	v_cndmask_b32_e32 v10, v10, v15, vcc
	v_cndmask_b32_e32 v11, v12, v14, vcc
	v_lshlrev_b32_e32 v12, 8, v17
	v_mov_b32_e32 v14, 0x3b800000
	v_lshlrev_b32_e32 v10, 20, v10
	v_and_b32_e32 v12, 0x80000000, v12
	v_lshl_add_u32 v11, v11, 23, v14
	v_or3_b32 v10, v12, v11, v10
.LBB16_1396:
	s_or_b64 exec, exec, s[6:7]
	s_movk_i32 s4, 0xff
	v_and_b32_sdwa v11, v13, s4 dst_sel:DWORD dst_unused:UNUSED_PAD src0_sel:WORD_1 src1_sel:DWORD
	s_movk_i32 s4, 0x7f
	v_cmp_lt_i16_e32 vcc, s4, v11
	s_mov_b64 s[4:5], 0
                                        ; implicit-def: $sgpr10
	s_and_saveexec_b64 s[6:7], vcc
	s_xor_b64 s[6:7], exec, s[6:7]
	s_cbranch_execnz .LBB16_3445
; %bb.1397:
	s_or_saveexec_b64 s[6:7], s[6:7]
	v_mov_b32_e32 v12, s10
	s_xor_b64 exec, exec, s[6:7]
	s_cbranch_execnz .LBB16_3448
.LBB16_1398:
	s_or_b64 exec, exec, s[6:7]
	s_and_saveexec_b64 s[6:7], s[4:5]
	s_cbranch_execz .LBB16_1400
.LBB16_1399:
	v_bfe_u32 v11, v13, 16, 3
	v_ffbh_u32_e32 v15, v11
	v_min_u32_e32 v15, 32, v15
	v_lshrrev_b32_e32 v12, 19, v13
	v_subrev_u32_e32 v16, 28, v15
	v_and_b32_e32 v12, 15, v12
	v_lshlrev_b32_sdwa v16, v16, v13 dst_sel:DWORD dst_unused:UNUSED_PAD src0_sel:DWORD src1_sel:WORD_1
	v_bfe_u32 v14, v13, 19, 4
	v_sub_u32_e32 v15, 29, v15
	v_and_b32_e32 v16, 7, v16
	v_cmp_eq_u16_e32 vcc, 0, v12
	v_cndmask_b32_e32 v11, v11, v16, vcc
	v_cndmask_b32_e32 v12, v14, v15, vcc
	v_lshlrev_b32_e32 v14, 8, v13
	v_mov_b32_e32 v15, 0x3b800000
	v_lshlrev_b32_e32 v11, 20, v11
	v_and_b32_e32 v14, 0x80000000, v14
	v_lshl_add_u32 v12, v12, 23, v15
	v_or3_b32 v12, v14, v12, v11
.LBB16_1400:
	s_or_b64 exec, exec, s[6:7]
	s_nop 0
	v_mfma_f32_16x16x4f32 a[0:3], v10, v12, a[0:3]
	s_movk_i32 s4, 0x7f
	v_cmp_gt_i16_sdwa s[6:7], v17, s4 src0_sel:BYTE_3 src1_sel:DWORD
	s_mov_b64 s[4:5], 0
                                        ; implicit-def: $sgpr10
	s_and_saveexec_b64 s[8:9], s[6:7]
	s_xor_b64 s[6:7], exec, s[8:9]
	s_cbranch_execnz .LBB16_3449
; %bb.1401:
	s_or_saveexec_b64 s[6:7], s[6:7]
	v_mov_b32_e32 v10, s10
	s_xor_b64 exec, exec, s[6:7]
	s_cbranch_execnz .LBB16_3452
.LBB16_1402:
	s_or_b64 exec, exec, s[6:7]
	s_and_saveexec_b64 s[6:7], s[4:5]
	s_cbranch_execz .LBB16_1404
.LBB16_1403:
	v_bfe_u32 v10, v17, 24, 3
	v_ffbh_u32_e32 v15, v10
	v_min_u32_e32 v15, 32, v15
	v_lshrrev_b32_e32 v12, 27, v17
	v_subrev_u32_e32 v16, 28, v15
	v_and_b32_e32 v12, 15, v12
	v_lshlrev_b32_sdwa v16, v16, v17 dst_sel:DWORD dst_unused:UNUSED_PAD src0_sel:DWORD src1_sel:BYTE_3
	v_bfe_u32 v14, v17, 27, 4
	v_sub_u32_e32 v15, 29, v15
	v_and_b32_e32 v16, 7, v16
	v_cmp_eq_u16_e32 vcc, 0, v12
	v_cndmask_b32_e32 v10, v10, v16, vcc
	v_cndmask_b32_e32 v12, v14, v15, vcc
	v_mov_b32_e32 v14, 0x3b800000
	v_and_b32_e32 v11, 0x80000000, v17
	v_lshlrev_b32_e32 v10, 20, v10
	v_lshl_add_u32 v12, v12, 23, v14
	v_or3_b32 v10, v11, v12, v10
.LBB16_1404:
	s_or_b64 exec, exec, s[6:7]
	s_movk_i32 s4, 0x7f
	v_cmp_gt_i16_sdwa s[6:7], v13, s4 src0_sel:BYTE_3 src1_sel:DWORD
	s_mov_b64 s[4:5], 0
                                        ; implicit-def: $sgpr10
	s_and_saveexec_b64 s[8:9], s[6:7]
	s_xor_b64 s[6:7], exec, s[8:9]
	s_cbranch_execnz .LBB16_3453
; %bb.1405:
	s_or_saveexec_b64 s[6:7], s[6:7]
	v_mov_b32_e32 v11, s10
	s_xor_b64 exec, exec, s[6:7]
	s_cbranch_execnz .LBB16_3456
.LBB16_1406:
	s_or_b64 exec, exec, s[6:7]
	s_and_saveexec_b64 s[6:7], s[4:5]
	s_cbranch_execz .LBB16_1408
.LBB16_1407:
	v_bfe_u32 v11, v13, 24, 3
	v_ffbh_u32_e32 v16, v11
	v_min_u32_e32 v16, 32, v16
	v_lshrrev_b32_e32 v14, 27, v13
	v_subrev_u32_e32 v17, 28, v16
	v_and_b32_e32 v12, 0x80000000, v13
	v_and_b32_e32 v14, 15, v14
	v_bfe_u32 v15, v13, 27, 4
	v_lshlrev_b32_sdwa v13, v17, v13 dst_sel:DWORD dst_unused:UNUSED_PAD src0_sel:DWORD src1_sel:BYTE_3
	v_sub_u32_e32 v16, 29, v16
	v_and_b32_e32 v13, 7, v13
	v_cmp_eq_u16_e32 vcc, 0, v14
	v_cndmask_b32_e32 v11, v11, v13, vcc
	v_cndmask_b32_e32 v13, v15, v16, vcc
	v_mov_b32_e32 v14, 0x3b800000
	v_lshlrev_b32_e32 v11, 20, v11
	v_lshl_add_u32 v13, v13, 23, v14
	v_or3_b32 v11, v12, v13, v11
.LBB16_1408:
	s_or_b64 exec, exec, s[6:7]
	s_nop 0
	v_mfma_f32_16x16x4f32 a[0:3], v10, v11, a[0:3]
	s_movk_i32 s4, 0x7f
	v_cmp_gt_i16_sdwa s[6:7], v6, s4 src0_sel:BYTE_0 src1_sel:DWORD
	s_mov_b64 s[4:5], 0
                                        ; implicit-def: $sgpr10
	s_and_saveexec_b64 s[8:9], s[6:7]
	s_xor_b64 s[6:7], exec, s[8:9]
	s_cbranch_execnz .LBB16_3457
; %bb.1409:
	s_or_saveexec_b64 s[6:7], s[6:7]
	v_mov_b32_e32 v10, s10
	s_xor_b64 exec, exec, s[6:7]
	s_cbranch_execnz .LBB16_3460
.LBB16_1410:
	s_or_b64 exec, exec, s[6:7]
	s_and_saveexec_b64 s[6:7], s[4:5]
	s_cbranch_execz .LBB16_1412
.LBB16_1411:
	v_and_b32_e32 v10, 7, v6
	v_ffbh_u32_e32 v12, v10
	v_min_u32_e32 v12, 32, v12
	v_lshrrev_b16_e32 v11, 3, v6
	v_subrev_u32_e32 v13, 28, v12
	v_and_b32_e32 v11, 15, v11
	v_lshlrev_b32_e32 v13, v13, v6
	v_sub_u32_e32 v12, 29, v12
	v_and_b32_e32 v13, 7, v13
	v_cmp_eq_u16_e32 vcc, 0, v11
	v_cndmask_b32_e32 v10, v10, v13, vcc
	v_cndmask_b32_e32 v11, v11, v12, vcc
	v_lshlrev_b32_e32 v12, 24, v6
	v_mov_b32_e32 v13, 0x3b800000
	v_lshlrev_b32_e32 v10, 20, v10
	v_and_b32_e32 v12, 0x80000000, v12
	v_lshl_add_u32 v11, v11, 23, v13
	v_or3_b32 v10, v12, v11, v10
.LBB16_1412:
	s_or_b64 exec, exec, s[6:7]
	s_movk_i32 s4, 0x7f
	v_cmp_gt_i16_sdwa s[6:7], v2, s4 src0_sel:BYTE_0 src1_sel:DWORD
	s_mov_b64 s[4:5], 0
                                        ; implicit-def: $sgpr10
	s_and_saveexec_b64 s[8:9], s[6:7]
	s_xor_b64 s[6:7], exec, s[8:9]
	s_cbranch_execnz .LBB16_3461
; %bb.1413:
	s_or_saveexec_b64 s[6:7], s[6:7]
	v_mov_b32_e32 v11, s10
	s_xor_b64 exec, exec, s[6:7]
	s_cbranch_execnz .LBB16_3464
.LBB16_1414:
	s_or_b64 exec, exec, s[6:7]
	s_and_saveexec_b64 s[6:7], s[4:5]
	s_cbranch_execz .LBB16_1416
.LBB16_1415:
	v_and_b32_e32 v11, 7, v2
	v_ffbh_u32_e32 v13, v11
	v_min_u32_e32 v13, 32, v13
	v_lshrrev_b16_e32 v12, 3, v2
	v_subrev_u32_e32 v14, 28, v13
	v_and_b32_e32 v12, 15, v12
	v_lshlrev_b32_e32 v14, v14, v2
	v_sub_u32_e32 v13, 29, v13
	v_and_b32_e32 v14, 7, v14
	v_cmp_eq_u16_e32 vcc, 0, v12
	v_cndmask_b32_e32 v11, v11, v14, vcc
	v_cndmask_b32_e32 v12, v12, v13, vcc
	v_lshlrev_b32_e32 v13, 24, v2
	v_mov_b32_e32 v14, 0x3b800000
	v_lshlrev_b32_e32 v11, 20, v11
	v_and_b32_e32 v13, 0x80000000, v13
	v_lshl_add_u32 v12, v12, 23, v14
	v_or3_b32 v11, v13, v12, v11
.LBB16_1416:
	s_or_b64 exec, exec, s[6:7]
	s_nop 0
	v_mfma_f32_16x16x4f32 a[0:3], v10, v11, a[0:3]
	v_lshrrev_b32_e32 v11, 8, v6
	s_movk_i32 s4, 0x7f
	v_cmp_gt_i16_sdwa s[6:7], v11, s4 src0_sel:BYTE_0 src1_sel:DWORD
	s_mov_b64 s[4:5], 0
                                        ; implicit-def: $sgpr10
	s_and_saveexec_b64 s[8:9], s[6:7]
	s_xor_b64 s[6:7], exec, s[8:9]
	s_cbranch_execnz .LBB16_3465
; %bb.1417:
	s_or_saveexec_b64 s[6:7], s[6:7]
	v_mov_b32_e32 v10, s10
	s_xor_b64 exec, exec, s[6:7]
	s_cbranch_execnz .LBB16_3468
.LBB16_1418:
	s_or_b64 exec, exec, s[6:7]
	s_and_saveexec_b64 s[6:7], s[4:5]
	s_cbranch_execz .LBB16_1420
.LBB16_1419:
	v_bfe_u32 v10, v6, 8, 3
	v_ffbh_u32_e32 v13, v10
	v_min_u32_e32 v13, 32, v13
	v_lshrrev_b16_e32 v12, 3, v11
	v_subrev_u32_e32 v14, 28, v13
	v_and_b32_e32 v12, 15, v12
	v_lshlrev_b32_e32 v11, v14, v11
	v_sub_u32_e32 v13, 29, v13
	v_and_b32_e32 v11, 7, v11
	v_cmp_eq_u16_e32 vcc, 0, v12
	v_cndmask_b32_e32 v10, v10, v11, vcc
	v_cndmask_b32_e32 v11, v12, v13, vcc
	v_lshlrev_b32_e32 v12, 16, v6
	v_mov_b32_e32 v13, 0x3b800000
	v_lshlrev_b32_e32 v10, 20, v10
	v_and_b32_e32 v12, 0x80000000, v12
	v_lshl_add_u32 v11, v11, 23, v13
	v_or3_b32 v10, v12, v11, v10
.LBB16_1420:
	s_or_b64 exec, exec, s[6:7]
	v_lshrrev_b32_e32 v11, 8, v2
	s_movk_i32 s4, 0x7f
	v_cmp_gt_i16_sdwa s[6:7], v11, s4 src0_sel:BYTE_0 src1_sel:DWORD
	s_mov_b64 s[4:5], 0
                                        ; implicit-def: $sgpr10
	s_and_saveexec_b64 s[8:9], s[6:7]
	s_xor_b64 s[6:7], exec, s[8:9]
	s_cbranch_execnz .LBB16_3469
; %bb.1421:
	s_or_saveexec_b64 s[6:7], s[6:7]
	v_mov_b32_e32 v12, s10
	s_xor_b64 exec, exec, s[6:7]
	s_cbranch_execnz .LBB16_3472
.LBB16_1422:
	s_or_b64 exec, exec, s[6:7]
	s_and_saveexec_b64 s[6:7], s[4:5]
	s_cbranch_execz .LBB16_1424
.LBB16_1423:
	v_bfe_u32 v12, v2, 8, 3
	v_ffbh_u32_e32 v14, v12
	v_min_u32_e32 v14, 32, v14
	v_lshrrev_b16_e32 v13, 3, v11
	v_subrev_u32_e32 v15, 28, v14
	v_and_b32_e32 v13, 15, v13
	v_lshlrev_b32_e32 v11, v15, v11
	v_sub_u32_e32 v14, 29, v14
	v_and_b32_e32 v11, 7, v11
	v_cmp_eq_u16_e32 vcc, 0, v13
	v_cndmask_b32_e32 v11, v12, v11, vcc
	v_cndmask_b32_e32 v12, v13, v14, vcc
	v_lshlrev_b32_e32 v13, 16, v2
	v_mov_b32_e32 v14, 0x3b800000
	v_lshlrev_b32_e32 v11, 20, v11
	v_and_b32_e32 v13, 0x80000000, v13
	v_lshl_add_u32 v12, v12, 23, v14
	v_or3_b32 v12, v13, v12, v11
.LBB16_1424:
	s_or_b64 exec, exec, s[6:7]
	s_nop 0
	v_mfma_f32_16x16x4f32 a[0:3], v10, v12, a[0:3]
	s_movk_i32 s4, 0xff
	v_and_b32_sdwa v11, v6, s4 dst_sel:DWORD dst_unused:UNUSED_PAD src0_sel:WORD_1 src1_sel:DWORD
	s_movk_i32 s4, 0x7f
	v_cmp_lt_i16_e32 vcc, s4, v11
	s_mov_b64 s[4:5], 0
                                        ; implicit-def: $sgpr10
	s_and_saveexec_b64 s[6:7], vcc
	s_xor_b64 s[6:7], exec, s[6:7]
	s_cbranch_execnz .LBB16_3473
; %bb.1425:
	s_or_saveexec_b64 s[6:7], s[6:7]
	v_mov_b32_e32 v10, s10
	s_xor_b64 exec, exec, s[6:7]
	s_cbranch_execnz .LBB16_3476
.LBB16_1426:
	s_or_b64 exec, exec, s[6:7]
	s_and_saveexec_b64 s[6:7], s[4:5]
	s_cbranch_execz .LBB16_1428
.LBB16_1427:
	v_bfe_u32 v10, v6, 16, 3
	v_ffbh_u32_e32 v13, v10
	v_min_u32_e32 v13, 32, v13
	v_lshrrev_b32_e32 v11, 19, v6
	v_subrev_u32_e32 v14, 28, v13
	v_and_b32_e32 v11, 15, v11
	v_lshlrev_b32_sdwa v14, v14, v6 dst_sel:DWORD dst_unused:UNUSED_PAD src0_sel:DWORD src1_sel:WORD_1
	v_bfe_u32 v12, v6, 19, 4
	v_sub_u32_e32 v13, 29, v13
	v_and_b32_e32 v14, 7, v14
	v_cmp_eq_u16_e32 vcc, 0, v11
	v_cndmask_b32_e32 v10, v10, v14, vcc
	v_cndmask_b32_e32 v11, v12, v13, vcc
	v_lshlrev_b32_e32 v12, 8, v6
	v_mov_b32_e32 v13, 0x3b800000
	v_lshlrev_b32_e32 v10, 20, v10
	v_and_b32_e32 v12, 0x80000000, v12
	v_lshl_add_u32 v11, v11, 23, v13
	v_or3_b32 v10, v12, v11, v10
.LBB16_1428:
	s_or_b64 exec, exec, s[6:7]
	s_movk_i32 s4, 0xff
	v_and_b32_sdwa v11, v2, s4 dst_sel:DWORD dst_unused:UNUSED_PAD src0_sel:WORD_1 src1_sel:DWORD
	s_movk_i32 s4, 0x7f
	v_cmp_lt_i16_e32 vcc, s4, v11
	s_mov_b64 s[4:5], 0
                                        ; implicit-def: $sgpr10
	s_and_saveexec_b64 s[6:7], vcc
	s_xor_b64 s[6:7], exec, s[6:7]
	s_cbranch_execnz .LBB16_3477
; %bb.1429:
	s_or_saveexec_b64 s[6:7], s[6:7]
	v_mov_b32_e32 v12, s10
	s_xor_b64 exec, exec, s[6:7]
	s_cbranch_execnz .LBB16_3480
.LBB16_1430:
	s_or_b64 exec, exec, s[6:7]
	s_and_saveexec_b64 s[6:7], s[4:5]
	s_cbranch_execz .LBB16_1432
.LBB16_1431:
	v_bfe_u32 v11, v2, 16, 3
	v_ffbh_u32_e32 v14, v11
	v_min_u32_e32 v14, 32, v14
	v_lshrrev_b32_e32 v12, 19, v2
	v_subrev_u32_e32 v15, 28, v14
	v_and_b32_e32 v12, 15, v12
	v_lshlrev_b32_sdwa v15, v15, v2 dst_sel:DWORD dst_unused:UNUSED_PAD src0_sel:DWORD src1_sel:WORD_1
	v_bfe_u32 v13, v2, 19, 4
	v_sub_u32_e32 v14, 29, v14
	v_and_b32_e32 v15, 7, v15
	v_cmp_eq_u16_e32 vcc, 0, v12
	v_cndmask_b32_e32 v11, v11, v15, vcc
	v_cndmask_b32_e32 v12, v13, v14, vcc
	v_lshlrev_b32_e32 v13, 8, v2
	v_mov_b32_e32 v14, 0x3b800000
	v_lshlrev_b32_e32 v11, 20, v11
	v_and_b32_e32 v13, 0x80000000, v13
	v_lshl_add_u32 v12, v12, 23, v14
	v_or3_b32 v12, v13, v12, v11
.LBB16_1432:
	s_or_b64 exec, exec, s[6:7]
	s_nop 0
	v_mfma_f32_16x16x4f32 a[0:3], v10, v12, a[0:3]
	s_movk_i32 s4, 0x7f
	v_cmp_gt_i16_sdwa s[6:7], v6, s4 src0_sel:BYTE_3 src1_sel:DWORD
	s_mov_b64 s[4:5], 0
                                        ; implicit-def: $sgpr10
	s_and_saveexec_b64 s[8:9], s[6:7]
	s_xor_b64 s[6:7], exec, s[8:9]
	s_cbranch_execnz .LBB16_3481
; %bb.1433:
	s_or_saveexec_b64 s[6:7], s[6:7]
	v_mov_b32_e32 v10, s10
	s_xor_b64 exec, exec, s[6:7]
	s_cbranch_execnz .LBB16_3484
.LBB16_1434:
	s_or_b64 exec, exec, s[6:7]
	s_and_saveexec_b64 s[6:7], s[4:5]
	s_cbranch_execz .LBB16_1436
.LBB16_1435:
	v_bfe_u32 v10, v6, 24, 3
	v_ffbh_u32_e32 v14, v10
	v_min_u32_e32 v14, 32, v14
	v_lshrrev_b32_e32 v12, 27, v6
	v_subrev_u32_e32 v15, 28, v14
	v_and_b32_e32 v11, 0x80000000, v6
	v_and_b32_e32 v12, 15, v12
	v_bfe_u32 v13, v6, 27, 4
	v_lshlrev_b32_sdwa v6, v15, v6 dst_sel:DWORD dst_unused:UNUSED_PAD src0_sel:DWORD src1_sel:BYTE_3
	v_sub_u32_e32 v14, 29, v14
	v_and_b32_e32 v6, 7, v6
	v_cmp_eq_u16_e32 vcc, 0, v12
	v_cndmask_b32_e32 v6, v10, v6, vcc
	v_cndmask_b32_e32 v10, v13, v14, vcc
	v_mov_b32_e32 v12, 0x3b800000
	v_lshlrev_b32_e32 v6, 20, v6
	v_lshl_add_u32 v10, v10, 23, v12
	v_or3_b32 v10, v11, v10, v6
.LBB16_1436:
	s_or_b64 exec, exec, s[6:7]
	s_movk_i32 s4, 0x7f
	v_cmp_gt_i16_sdwa s[6:7], v2, s4 src0_sel:BYTE_3 src1_sel:DWORD
	s_mov_b64 s[4:5], 0
                                        ; implicit-def: $sgpr10
	s_and_saveexec_b64 s[8:9], s[6:7]
	s_xor_b64 s[6:7], exec, s[8:9]
	s_cbranch_execnz .LBB16_3485
; %bb.1437:
	s_or_saveexec_b64 s[6:7], s[6:7]
	v_mov_b32_e32 v6, s10
	s_xor_b64 exec, exec, s[6:7]
	s_cbranch_execnz .LBB16_3488
.LBB16_1438:
	s_or_b64 exec, exec, s[6:7]
	s_and_saveexec_b64 s[6:7], s[4:5]
	s_cbranch_execz .LBB16_1440
.LBB16_1439:
	v_bfe_u32 v6, v2, 24, 3
	v_ffbh_u32_e32 v14, v6
	v_min_u32_e32 v14, 32, v14
	v_lshrrev_b32_e32 v12, 27, v2
	v_subrev_u32_e32 v15, 28, v14
	v_and_b32_e32 v11, 0x80000000, v2
	v_and_b32_e32 v12, 15, v12
	v_bfe_u32 v13, v2, 27, 4
	v_lshlrev_b32_sdwa v2, v15, v2 dst_sel:DWORD dst_unused:UNUSED_PAD src0_sel:DWORD src1_sel:BYTE_3
	v_sub_u32_e32 v14, 29, v14
	v_and_b32_e32 v2, 7, v2
	v_cmp_eq_u16_e32 vcc, 0, v12
	v_cndmask_b32_e32 v2, v6, v2, vcc
	v_cndmask_b32_e32 v6, v13, v14, vcc
	v_mov_b32_e32 v12, 0x3b800000
	v_lshlrev_b32_e32 v2, 20, v2
	v_lshl_add_u32 v6, v6, 23, v12
	v_or3_b32 v6, v11, v6, v2
.LBB16_1440:
	s_or_b64 exec, exec, s[6:7]
	s_nop 0
	v_mfma_f32_16x16x4f32 a[0:3], v10, v6, a[0:3]
	s_movk_i32 s4, 0x7f
	v_cmp_gt_i16_sdwa s[6:7], v7, s4 src0_sel:BYTE_0 src1_sel:DWORD
	s_mov_b64 s[4:5], 0
                                        ; implicit-def: $sgpr10
	s_and_saveexec_b64 s[8:9], s[6:7]
	s_xor_b64 s[6:7], exec, s[8:9]
	s_cbranch_execnz .LBB16_3489
; %bb.1441:
	s_or_saveexec_b64 s[6:7], s[6:7]
	v_mov_b32_e32 v2, s10
	s_xor_b64 exec, exec, s[6:7]
	s_cbranch_execnz .LBB16_3492
.LBB16_1442:
	s_or_b64 exec, exec, s[6:7]
	s_and_saveexec_b64 s[6:7], s[4:5]
	s_cbranch_execz .LBB16_1444
.LBB16_1443:
	v_and_b32_e32 v2, 7, v7
	v_ffbh_u32_e32 v10, v2
	v_min_u32_e32 v10, 32, v10
	v_lshrrev_b16_e32 v6, 3, v7
	v_subrev_u32_e32 v11, 28, v10
	v_and_b32_e32 v6, 15, v6
	v_lshlrev_b32_e32 v11, v11, v7
	v_sub_u32_e32 v10, 29, v10
	v_and_b32_e32 v11, 7, v11
	v_cmp_eq_u16_e32 vcc, 0, v6
	v_cndmask_b32_e32 v2, v2, v11, vcc
	v_cndmask_b32_e32 v6, v6, v10, vcc
	v_lshlrev_b32_e32 v10, 24, v7
	v_mov_b32_e32 v11, 0x3b800000
	v_lshlrev_b32_e32 v2, 20, v2
	v_and_b32_e32 v10, 0x80000000, v10
	v_lshl_add_u32 v6, v6, 23, v11
	v_or3_b32 v2, v10, v6, v2
.LBB16_1444:
	s_or_b64 exec, exec, s[6:7]
	s_movk_i32 s4, 0x7f
	v_cmp_gt_i16_sdwa s[6:7], v3, s4 src0_sel:BYTE_0 src1_sel:DWORD
	s_mov_b64 s[4:5], 0
                                        ; implicit-def: $sgpr10
	s_and_saveexec_b64 s[8:9], s[6:7]
	s_xor_b64 s[6:7], exec, s[8:9]
	s_cbranch_execnz .LBB16_3493
; %bb.1445:
	s_or_saveexec_b64 s[6:7], s[6:7]
	v_mov_b32_e32 v6, s10
	s_xor_b64 exec, exec, s[6:7]
	s_cbranch_execnz .LBB16_3496
.LBB16_1446:
	s_or_b64 exec, exec, s[6:7]
	s_and_saveexec_b64 s[6:7], s[4:5]
	s_cbranch_execz .LBB16_1448
.LBB16_1447:
	v_and_b32_e32 v6, 7, v3
	v_ffbh_u32_e32 v11, v6
	v_min_u32_e32 v11, 32, v11
	v_lshrrev_b16_e32 v10, 3, v3
	v_subrev_u32_e32 v12, 28, v11
	v_and_b32_e32 v10, 15, v10
	v_lshlrev_b32_e32 v12, v12, v3
	v_sub_u32_e32 v11, 29, v11
	v_and_b32_e32 v12, 7, v12
	v_cmp_eq_u16_e32 vcc, 0, v10
	v_cndmask_b32_e32 v6, v6, v12, vcc
	v_cndmask_b32_e32 v10, v10, v11, vcc
	v_lshlrev_b32_e32 v11, 24, v3
	v_mov_b32_e32 v12, 0x3b800000
	v_lshlrev_b32_e32 v6, 20, v6
	v_and_b32_e32 v11, 0x80000000, v11
	v_lshl_add_u32 v10, v10, 23, v12
	v_or3_b32 v6, v11, v10, v6
.LBB16_1448:
	s_or_b64 exec, exec, s[6:7]
	s_nop 0
	v_mfma_f32_16x16x4f32 a[0:3], v2, v6, a[0:3]
	v_lshrrev_b32_e32 v6, 8, v7
	s_movk_i32 s4, 0x7f
	v_cmp_gt_i16_sdwa s[6:7], v6, s4 src0_sel:BYTE_0 src1_sel:DWORD
	s_mov_b64 s[4:5], 0
                                        ; implicit-def: $sgpr10
	s_and_saveexec_b64 s[8:9], s[6:7]
	s_xor_b64 s[6:7], exec, s[8:9]
	s_cbranch_execnz .LBB16_3497
; %bb.1449:
	s_or_saveexec_b64 s[6:7], s[6:7]
	v_mov_b32_e32 v2, s10
	s_xor_b64 exec, exec, s[6:7]
	s_cbranch_execnz .LBB16_3500
.LBB16_1450:
	s_or_b64 exec, exec, s[6:7]
	s_and_saveexec_b64 s[6:7], s[4:5]
	s_cbranch_execz .LBB16_1452
.LBB16_1451:
	v_bfe_u32 v2, v7, 8, 3
	v_ffbh_u32_e32 v11, v2
	v_min_u32_e32 v11, 32, v11
	v_lshrrev_b16_e32 v10, 3, v6
	v_subrev_u32_e32 v12, 28, v11
	v_and_b32_e32 v10, 15, v10
	v_lshlrev_b32_e32 v6, v12, v6
	v_sub_u32_e32 v11, 29, v11
	v_and_b32_e32 v6, 7, v6
	v_cmp_eq_u16_e32 vcc, 0, v10
	v_cndmask_b32_e32 v2, v2, v6, vcc
	v_cndmask_b32_e32 v6, v10, v11, vcc
	v_lshlrev_b32_e32 v10, 16, v7
	v_mov_b32_e32 v11, 0x3b800000
	v_lshlrev_b32_e32 v2, 20, v2
	v_and_b32_e32 v10, 0x80000000, v10
	v_lshl_add_u32 v6, v6, 23, v11
	v_or3_b32 v2, v10, v6, v2
.LBB16_1452:
	s_or_b64 exec, exec, s[6:7]
	v_lshrrev_b32_e32 v6, 8, v3
	s_movk_i32 s4, 0x7f
	v_cmp_gt_i16_sdwa s[6:7], v6, s4 src0_sel:BYTE_0 src1_sel:DWORD
	s_mov_b64 s[4:5], 0
                                        ; implicit-def: $sgpr10
	s_and_saveexec_b64 s[8:9], s[6:7]
	s_xor_b64 s[6:7], exec, s[8:9]
	s_cbranch_execnz .LBB16_3501
; %bb.1453:
	s_or_saveexec_b64 s[6:7], s[6:7]
	v_mov_b32_e32 v10, s10
	s_xor_b64 exec, exec, s[6:7]
	s_cbranch_execnz .LBB16_3504
.LBB16_1454:
	s_or_b64 exec, exec, s[6:7]
	s_and_saveexec_b64 s[6:7], s[4:5]
	s_cbranch_execz .LBB16_1456
.LBB16_1455:
	v_bfe_u32 v10, v3, 8, 3
	v_ffbh_u32_e32 v12, v10
	v_min_u32_e32 v12, 32, v12
	v_lshrrev_b16_e32 v11, 3, v6
	v_subrev_u32_e32 v13, 28, v12
	v_and_b32_e32 v11, 15, v11
	v_lshlrev_b32_e32 v6, v13, v6
	v_sub_u32_e32 v12, 29, v12
	v_and_b32_e32 v6, 7, v6
	v_cmp_eq_u16_e32 vcc, 0, v11
	v_cndmask_b32_e32 v6, v10, v6, vcc
	v_cndmask_b32_e32 v10, v11, v12, vcc
	v_lshlrev_b32_e32 v11, 16, v3
	v_mov_b32_e32 v12, 0x3b800000
	v_lshlrev_b32_e32 v6, 20, v6
	v_and_b32_e32 v11, 0x80000000, v11
	v_lshl_add_u32 v10, v10, 23, v12
	v_or3_b32 v10, v11, v10, v6
.LBB16_1456:
	s_or_b64 exec, exec, s[6:7]
	s_nop 0
	v_mfma_f32_16x16x4f32 a[0:3], v2, v10, a[0:3]
	s_movk_i32 s4, 0xff
	v_and_b32_sdwa v6, v7, s4 dst_sel:DWORD dst_unused:UNUSED_PAD src0_sel:WORD_1 src1_sel:DWORD
	s_movk_i32 s4, 0x7f
	v_cmp_lt_i16_e32 vcc, s4, v6
	s_mov_b64 s[4:5], 0
                                        ; implicit-def: $sgpr10
	s_and_saveexec_b64 s[6:7], vcc
	s_xor_b64 s[6:7], exec, s[6:7]
	s_cbranch_execnz .LBB16_3505
; %bb.1457:
	s_or_saveexec_b64 s[6:7], s[6:7]
	v_mov_b32_e32 v2, s10
	s_xor_b64 exec, exec, s[6:7]
	s_cbranch_execnz .LBB16_3508
.LBB16_1458:
	s_or_b64 exec, exec, s[6:7]
	s_and_saveexec_b64 s[6:7], s[4:5]
	s_cbranch_execz .LBB16_1460
.LBB16_1459:
	v_bfe_u32 v2, v7, 16, 3
	v_ffbh_u32_e32 v11, v2
	v_min_u32_e32 v11, 32, v11
	v_lshrrev_b32_e32 v6, 19, v7
	v_subrev_u32_e32 v12, 28, v11
	v_and_b32_e32 v6, 15, v6
	v_lshlrev_b32_sdwa v12, v12, v7 dst_sel:DWORD dst_unused:UNUSED_PAD src0_sel:DWORD src1_sel:WORD_1
	v_bfe_u32 v10, v7, 19, 4
	v_sub_u32_e32 v11, 29, v11
	v_and_b32_e32 v12, 7, v12
	v_cmp_eq_u16_e32 vcc, 0, v6
	v_cndmask_b32_e32 v2, v2, v12, vcc
	v_cndmask_b32_e32 v6, v10, v11, vcc
	v_lshlrev_b32_e32 v10, 8, v7
	v_mov_b32_e32 v11, 0x3b800000
	v_lshlrev_b32_e32 v2, 20, v2
	v_and_b32_e32 v10, 0x80000000, v10
	v_lshl_add_u32 v6, v6, 23, v11
	v_or3_b32 v2, v10, v6, v2
.LBB16_1460:
	s_or_b64 exec, exec, s[6:7]
	s_movk_i32 s4, 0xff
	v_and_b32_sdwa v6, v3, s4 dst_sel:DWORD dst_unused:UNUSED_PAD src0_sel:WORD_1 src1_sel:DWORD
	s_movk_i32 s4, 0x7f
	v_cmp_lt_i16_e32 vcc, s4, v6
	s_mov_b64 s[4:5], 0
                                        ; implicit-def: $sgpr10
	s_and_saveexec_b64 s[6:7], vcc
	s_xor_b64 s[6:7], exec, s[6:7]
	s_cbranch_execnz .LBB16_3509
; %bb.1461:
	s_or_saveexec_b64 s[6:7], s[6:7]
	v_mov_b32_e32 v10, s10
	s_xor_b64 exec, exec, s[6:7]
	s_cbranch_execnz .LBB16_3512
.LBB16_1462:
	s_or_b64 exec, exec, s[6:7]
	s_and_saveexec_b64 s[6:7], s[4:5]
	s_cbranch_execz .LBB16_1464
.LBB16_1463:
	v_bfe_u32 v6, v3, 16, 3
	v_ffbh_u32_e32 v12, v6
	v_min_u32_e32 v12, 32, v12
	v_lshrrev_b32_e32 v10, 19, v3
	v_subrev_u32_e32 v13, 28, v12
	v_and_b32_e32 v10, 15, v10
	v_lshlrev_b32_sdwa v13, v13, v3 dst_sel:DWORD dst_unused:UNUSED_PAD src0_sel:DWORD src1_sel:WORD_1
	v_bfe_u32 v11, v3, 19, 4
	v_sub_u32_e32 v12, 29, v12
	v_and_b32_e32 v13, 7, v13
	v_cmp_eq_u16_e32 vcc, 0, v10
	v_cndmask_b32_e32 v6, v6, v13, vcc
	v_cndmask_b32_e32 v10, v11, v12, vcc
	v_lshlrev_b32_e32 v11, 8, v3
	v_mov_b32_e32 v12, 0x3b800000
	v_lshlrev_b32_e32 v6, 20, v6
	v_and_b32_e32 v11, 0x80000000, v11
	v_lshl_add_u32 v10, v10, 23, v12
	v_or3_b32 v10, v11, v10, v6
.LBB16_1464:
	s_or_b64 exec, exec, s[6:7]
	s_nop 0
	v_mfma_f32_16x16x4f32 a[0:3], v2, v10, a[0:3]
	s_movk_i32 s4, 0x7f
	v_cmp_gt_i16_sdwa s[6:7], v7, s4 src0_sel:BYTE_3 src1_sel:DWORD
	s_mov_b64 s[4:5], 0
                                        ; implicit-def: $sgpr10
	s_and_saveexec_b64 s[8:9], s[6:7]
	s_xor_b64 s[6:7], exec, s[8:9]
	s_cbranch_execnz .LBB16_3513
; %bb.1465:
	s_or_saveexec_b64 s[6:7], s[6:7]
	v_mov_b32_e32 v2, s10
	s_xor_b64 exec, exec, s[6:7]
	s_cbranch_execnz .LBB16_3516
.LBB16_1466:
	s_or_b64 exec, exec, s[6:7]
	s_and_saveexec_b64 s[6:7], s[4:5]
	s_cbranch_execz .LBB16_1468
.LBB16_1467:
	v_bfe_u32 v2, v7, 24, 3
	v_ffbh_u32_e32 v12, v2
	v_min_u32_e32 v12, 32, v12
	v_lshrrev_b32_e32 v10, 27, v7
	v_subrev_u32_e32 v13, 28, v12
	v_and_b32_e32 v6, 0x80000000, v7
	v_and_b32_e32 v10, 15, v10
	v_bfe_u32 v11, v7, 27, 4
	v_lshlrev_b32_sdwa v7, v13, v7 dst_sel:DWORD dst_unused:UNUSED_PAD src0_sel:DWORD src1_sel:BYTE_3
	v_sub_u32_e32 v12, 29, v12
	v_and_b32_e32 v7, 7, v7
	v_cmp_eq_u16_e32 vcc, 0, v10
	v_cndmask_b32_e32 v2, v2, v7, vcc
	v_cndmask_b32_e32 v7, v11, v12, vcc
	v_mov_b32_e32 v10, 0x3b800000
	v_lshlrev_b32_e32 v2, 20, v2
	v_lshl_add_u32 v7, v7, 23, v10
	v_or3_b32 v2, v6, v7, v2
.LBB16_1468:
	s_or_b64 exec, exec, s[6:7]
	s_movk_i32 s4, 0x7f
	v_cmp_gt_i16_sdwa s[6:7], v3, s4 src0_sel:BYTE_3 src1_sel:DWORD
	s_mov_b64 s[4:5], 0
                                        ; implicit-def: $sgpr10
	s_and_saveexec_b64 s[8:9], s[6:7]
	s_xor_b64 s[6:7], exec, s[8:9]
	s_cbranch_execnz .LBB16_3517
; %bb.1469:
	s_or_saveexec_b64 s[6:7], s[6:7]
	v_mov_b32_e32 v6, s10
	s_xor_b64 exec, exec, s[6:7]
	s_cbranch_execnz .LBB16_3520
.LBB16_1470:
	s_or_b64 exec, exec, s[6:7]
	s_and_saveexec_b64 s[6:7], s[4:5]
	s_cbranch_execz .LBB16_1472
.LBB16_1471:
	v_bfe_u32 v6, v3, 24, 3
	v_ffbh_u32_e32 v12, v6
	v_min_u32_e32 v12, 32, v12
	v_lshrrev_b32_e32 v10, 27, v3
	v_subrev_u32_e32 v13, 28, v12
	v_and_b32_e32 v7, 0x80000000, v3
	v_and_b32_e32 v10, 15, v10
	v_bfe_u32 v11, v3, 27, 4
	v_lshlrev_b32_sdwa v3, v13, v3 dst_sel:DWORD dst_unused:UNUSED_PAD src0_sel:DWORD src1_sel:BYTE_3
	v_sub_u32_e32 v12, 29, v12
	v_and_b32_e32 v3, 7, v3
	v_cmp_eq_u16_e32 vcc, 0, v10
	v_cndmask_b32_e32 v3, v6, v3, vcc
	v_cndmask_b32_e32 v6, v11, v12, vcc
	v_mov_b32_e32 v10, 0x3b800000
	v_lshlrev_b32_e32 v3, 20, v3
	v_lshl_add_u32 v6, v6, 23, v10
	v_or3_b32 v6, v7, v6, v3
.LBB16_1472:
	s_or_b64 exec, exec, s[6:7]
	s_nop 0
	v_mfma_f32_16x16x4f32 a[0:3], v2, v6, a[0:3]
	s_movk_i32 s4, 0x7f
	v_cmp_gt_i16_sdwa s[6:7], v8, s4 src0_sel:BYTE_0 src1_sel:DWORD
	s_mov_b64 s[4:5], 0
                                        ; implicit-def: $sgpr10
	s_and_saveexec_b64 s[8:9], s[6:7]
	s_xor_b64 s[6:7], exec, s[8:9]
	s_cbranch_execnz .LBB16_3521
; %bb.1473:
	s_or_saveexec_b64 s[6:7], s[6:7]
	v_mov_b32_e32 v2, s10
	s_xor_b64 exec, exec, s[6:7]
	s_cbranch_execnz .LBB16_3524
.LBB16_1474:
	s_or_b64 exec, exec, s[6:7]
	s_and_saveexec_b64 s[6:7], s[4:5]
	s_cbranch_execz .LBB16_1476
.LBB16_1475:
	v_and_b32_e32 v2, 7, v8
	v_ffbh_u32_e32 v6, v2
	v_min_u32_e32 v6, 32, v6
	v_lshrrev_b16_e32 v3, 3, v8
	v_subrev_u32_e32 v7, 28, v6
	v_and_b32_e32 v3, 15, v3
	v_lshlrev_b32_e32 v7, v7, v8
	v_sub_u32_e32 v6, 29, v6
	v_and_b32_e32 v7, 7, v7
	v_cmp_eq_u16_e32 vcc, 0, v3
	v_cndmask_b32_e32 v2, v2, v7, vcc
	v_cndmask_b32_e32 v3, v3, v6, vcc
	v_lshlrev_b32_e32 v6, 24, v8
	v_mov_b32_e32 v7, 0x3b800000
	v_lshlrev_b32_e32 v2, 20, v2
	v_and_b32_e32 v6, 0x80000000, v6
	v_lshl_add_u32 v3, v3, 23, v7
	v_or3_b32 v2, v6, v3, v2
.LBB16_1476:
	s_or_b64 exec, exec, s[6:7]
	s_movk_i32 s4, 0x7f
	v_cmp_gt_i16_sdwa s[6:7], v4, s4 src0_sel:BYTE_0 src1_sel:DWORD
	s_mov_b64 s[4:5], 0
                                        ; implicit-def: $sgpr10
	s_and_saveexec_b64 s[8:9], s[6:7]
	s_xor_b64 s[6:7], exec, s[8:9]
	s_cbranch_execnz .LBB16_3525
; %bb.1477:
	s_or_saveexec_b64 s[6:7], s[6:7]
	v_mov_b32_e32 v3, s10
	s_xor_b64 exec, exec, s[6:7]
	s_cbranch_execnz .LBB16_3528
.LBB16_1478:
	s_or_b64 exec, exec, s[6:7]
	s_and_saveexec_b64 s[6:7], s[4:5]
	s_cbranch_execz .LBB16_1480
.LBB16_1479:
	v_and_b32_e32 v3, 7, v4
	v_ffbh_u32_e32 v7, v3
	v_min_u32_e32 v7, 32, v7
	v_lshrrev_b16_e32 v6, 3, v4
	v_subrev_u32_e32 v10, 28, v7
	v_and_b32_e32 v6, 15, v6
	v_lshlrev_b32_e32 v10, v10, v4
	v_sub_u32_e32 v7, 29, v7
	v_and_b32_e32 v10, 7, v10
	v_cmp_eq_u16_e32 vcc, 0, v6
	v_cndmask_b32_e32 v3, v3, v10, vcc
	v_cndmask_b32_e32 v6, v6, v7, vcc
	v_lshlrev_b32_e32 v7, 24, v4
	v_mov_b32_e32 v10, 0x3b800000
	v_lshlrev_b32_e32 v3, 20, v3
	v_and_b32_e32 v7, 0x80000000, v7
	v_lshl_add_u32 v6, v6, 23, v10
	v_or3_b32 v3, v7, v6, v3
.LBB16_1480:
	s_or_b64 exec, exec, s[6:7]
	s_nop 0
	v_mfma_f32_16x16x4f32 a[0:3], v2, v3, a[0:3]
	v_lshrrev_b32_e32 v3, 8, v8
	s_movk_i32 s4, 0x7f
	v_cmp_gt_i16_sdwa s[6:7], v3, s4 src0_sel:BYTE_0 src1_sel:DWORD
	s_mov_b64 s[4:5], 0
                                        ; implicit-def: $sgpr10
	s_and_saveexec_b64 s[8:9], s[6:7]
	s_xor_b64 s[6:7], exec, s[8:9]
	s_cbranch_execnz .LBB16_3529
; %bb.1481:
	s_or_saveexec_b64 s[6:7], s[6:7]
	v_mov_b32_e32 v2, s10
	s_xor_b64 exec, exec, s[6:7]
	s_cbranch_execnz .LBB16_3532
.LBB16_1482:
	s_or_b64 exec, exec, s[6:7]
	s_and_saveexec_b64 s[6:7], s[4:5]
	s_cbranch_execz .LBB16_1484
.LBB16_1483:
	v_bfe_u32 v2, v8, 8, 3
	v_ffbh_u32_e32 v7, v2
	v_min_u32_e32 v7, 32, v7
	v_lshrrev_b16_e32 v6, 3, v3
	v_subrev_u32_e32 v10, 28, v7
	v_and_b32_e32 v6, 15, v6
	v_lshlrev_b32_e32 v3, v10, v3
	v_sub_u32_e32 v7, 29, v7
	v_and_b32_e32 v3, 7, v3
	v_cmp_eq_u16_e32 vcc, 0, v6
	v_cndmask_b32_e32 v2, v2, v3, vcc
	v_cndmask_b32_e32 v3, v6, v7, vcc
	v_lshlrev_b32_e32 v6, 16, v8
	v_mov_b32_e32 v7, 0x3b800000
	v_lshlrev_b32_e32 v2, 20, v2
	v_and_b32_e32 v6, 0x80000000, v6
	v_lshl_add_u32 v3, v3, 23, v7
	v_or3_b32 v2, v6, v3, v2
.LBB16_1484:
	s_or_b64 exec, exec, s[6:7]
	v_lshrrev_b32_e32 v3, 8, v4
	s_movk_i32 s4, 0x7f
	v_cmp_gt_i16_sdwa s[6:7], v3, s4 src0_sel:BYTE_0 src1_sel:DWORD
	s_mov_b64 s[4:5], 0
                                        ; implicit-def: $sgpr10
	s_and_saveexec_b64 s[8:9], s[6:7]
	s_xor_b64 s[6:7], exec, s[8:9]
	s_cbranch_execnz .LBB16_3533
; %bb.1485:
	s_or_saveexec_b64 s[6:7], s[6:7]
	v_mov_b32_e32 v6, s10
	s_xor_b64 exec, exec, s[6:7]
	s_cbranch_execnz .LBB16_3536
.LBB16_1486:
	s_or_b64 exec, exec, s[6:7]
	s_and_saveexec_b64 s[6:7], s[4:5]
	s_cbranch_execz .LBB16_1488
.LBB16_1487:
	v_bfe_u32 v6, v4, 8, 3
	v_ffbh_u32_e32 v10, v6
	v_min_u32_e32 v10, 32, v10
	v_lshrrev_b16_e32 v7, 3, v3
	v_subrev_u32_e32 v11, 28, v10
	v_and_b32_e32 v7, 15, v7
	v_lshlrev_b32_e32 v3, v11, v3
	v_sub_u32_e32 v10, 29, v10
	v_and_b32_e32 v3, 7, v3
	v_cmp_eq_u16_e32 vcc, 0, v7
	v_cndmask_b32_e32 v3, v6, v3, vcc
	v_cndmask_b32_e32 v6, v7, v10, vcc
	v_lshlrev_b32_e32 v7, 16, v4
	v_mov_b32_e32 v10, 0x3b800000
	v_lshlrev_b32_e32 v3, 20, v3
	v_and_b32_e32 v7, 0x80000000, v7
	v_lshl_add_u32 v6, v6, 23, v10
	v_or3_b32 v6, v7, v6, v3
.LBB16_1488:
	s_or_b64 exec, exec, s[6:7]
	s_nop 0
	v_mfma_f32_16x16x4f32 a[0:3], v2, v6, a[0:3]
	s_movk_i32 s4, 0xff
	v_and_b32_sdwa v3, v8, s4 dst_sel:DWORD dst_unused:UNUSED_PAD src0_sel:WORD_1 src1_sel:DWORD
	s_movk_i32 s4, 0x7f
	v_cmp_lt_i16_e32 vcc, s4, v3
	s_mov_b64 s[4:5], 0
                                        ; implicit-def: $sgpr10
	s_and_saveexec_b64 s[6:7], vcc
	s_xor_b64 s[6:7], exec, s[6:7]
	s_cbranch_execnz .LBB16_3537
; %bb.1489:
	s_or_saveexec_b64 s[6:7], s[6:7]
	v_mov_b32_e32 v2, s10
	s_xor_b64 exec, exec, s[6:7]
	s_cbranch_execnz .LBB16_3540
.LBB16_1490:
	s_or_b64 exec, exec, s[6:7]
	s_and_saveexec_b64 s[6:7], s[4:5]
	s_cbranch_execz .LBB16_1492
.LBB16_1491:
	v_bfe_u32 v2, v8, 16, 3
	v_ffbh_u32_e32 v7, v2
	v_min_u32_e32 v7, 32, v7
	v_lshrrev_b32_e32 v3, 19, v8
	v_subrev_u32_e32 v10, 28, v7
	v_and_b32_e32 v3, 15, v3
	v_lshlrev_b32_sdwa v10, v10, v8 dst_sel:DWORD dst_unused:UNUSED_PAD src0_sel:DWORD src1_sel:WORD_1
	v_bfe_u32 v6, v8, 19, 4
	v_sub_u32_e32 v7, 29, v7
	v_and_b32_e32 v10, 7, v10
	v_cmp_eq_u16_e32 vcc, 0, v3
	v_cndmask_b32_e32 v2, v2, v10, vcc
	v_cndmask_b32_e32 v3, v6, v7, vcc
	v_lshlrev_b32_e32 v6, 8, v8
	v_mov_b32_e32 v7, 0x3b800000
	v_lshlrev_b32_e32 v2, 20, v2
	v_and_b32_e32 v6, 0x80000000, v6
	v_lshl_add_u32 v3, v3, 23, v7
	v_or3_b32 v2, v6, v3, v2
.LBB16_1492:
	s_or_b64 exec, exec, s[6:7]
	s_movk_i32 s4, 0xff
	v_and_b32_sdwa v3, v4, s4 dst_sel:DWORD dst_unused:UNUSED_PAD src0_sel:WORD_1 src1_sel:DWORD
	s_movk_i32 s4, 0x7f
	v_cmp_lt_i16_e32 vcc, s4, v3
	s_mov_b64 s[4:5], 0
                                        ; implicit-def: $sgpr10
	s_and_saveexec_b64 s[6:7], vcc
	s_xor_b64 s[6:7], exec, s[6:7]
	s_cbranch_execnz .LBB16_3541
; %bb.1493:
	s_or_saveexec_b64 s[6:7], s[6:7]
	v_mov_b32_e32 v6, s10
	s_xor_b64 exec, exec, s[6:7]
	s_cbranch_execnz .LBB16_3544
.LBB16_1494:
	s_or_b64 exec, exec, s[6:7]
	s_and_saveexec_b64 s[6:7], s[4:5]
	s_cbranch_execz .LBB16_1496
.LBB16_1495:
	v_bfe_u32 v3, v4, 16, 3
	v_ffbh_u32_e32 v10, v3
	v_min_u32_e32 v10, 32, v10
	v_lshrrev_b32_e32 v6, 19, v4
	v_subrev_u32_e32 v11, 28, v10
	v_and_b32_e32 v6, 15, v6
	v_lshlrev_b32_sdwa v11, v11, v4 dst_sel:DWORD dst_unused:UNUSED_PAD src0_sel:DWORD src1_sel:WORD_1
	v_bfe_u32 v7, v4, 19, 4
	v_sub_u32_e32 v10, 29, v10
	v_and_b32_e32 v11, 7, v11
	v_cmp_eq_u16_e32 vcc, 0, v6
	v_cndmask_b32_e32 v3, v3, v11, vcc
	v_cndmask_b32_e32 v6, v7, v10, vcc
	v_lshlrev_b32_e32 v7, 8, v4
	v_mov_b32_e32 v10, 0x3b800000
	v_lshlrev_b32_e32 v3, 20, v3
	v_and_b32_e32 v7, 0x80000000, v7
	v_lshl_add_u32 v6, v6, 23, v10
	v_or3_b32 v6, v7, v6, v3
.LBB16_1496:
	s_or_b64 exec, exec, s[6:7]
	s_nop 0
	v_mfma_f32_16x16x4f32 a[0:3], v2, v6, a[0:3]
	s_movk_i32 s4, 0x7f
	v_cmp_gt_i16_sdwa s[6:7], v8, s4 src0_sel:BYTE_3 src1_sel:DWORD
	s_mov_b64 s[4:5], 0
                                        ; implicit-def: $sgpr10
	s_and_saveexec_b64 s[8:9], s[6:7]
	s_xor_b64 s[6:7], exec, s[8:9]
	s_cbranch_execnz .LBB16_3545
; %bb.1497:
	s_or_saveexec_b64 s[6:7], s[6:7]
	v_mov_b32_e32 v2, s10
	s_xor_b64 exec, exec, s[6:7]
	s_cbranch_execnz .LBB16_3548
.LBB16_1498:
	s_or_b64 exec, exec, s[6:7]
	s_and_saveexec_b64 s[6:7], s[4:5]
	s_cbranch_execz .LBB16_1500
.LBB16_1499:
	v_bfe_u32 v2, v8, 24, 3
	v_ffbh_u32_e32 v10, v2
	v_min_u32_e32 v10, 32, v10
	v_lshrrev_b32_e32 v6, 27, v8
	v_subrev_u32_e32 v11, 28, v10
	v_and_b32_e32 v3, 0x80000000, v8
	v_and_b32_e32 v6, 15, v6
	v_bfe_u32 v7, v8, 27, 4
	v_lshlrev_b32_sdwa v8, v11, v8 dst_sel:DWORD dst_unused:UNUSED_PAD src0_sel:DWORD src1_sel:BYTE_3
	v_sub_u32_e32 v10, 29, v10
	v_and_b32_e32 v8, 7, v8
	v_cmp_eq_u16_e32 vcc, 0, v6
	v_cndmask_b32_e32 v2, v2, v8, vcc
	v_cndmask_b32_e32 v6, v7, v10, vcc
	v_mov_b32_e32 v7, 0x3b800000
	v_lshlrev_b32_e32 v2, 20, v2
	v_lshl_add_u32 v6, v6, 23, v7
	v_or3_b32 v2, v3, v6, v2
.LBB16_1500:
	s_or_b64 exec, exec, s[6:7]
	s_movk_i32 s4, 0x7f
	v_cmp_gt_i16_sdwa s[6:7], v4, s4 src0_sel:BYTE_3 src1_sel:DWORD
	s_mov_b64 s[4:5], 0
                                        ; implicit-def: $sgpr10
	s_and_saveexec_b64 s[8:9], s[6:7]
	s_xor_b64 s[6:7], exec, s[8:9]
	s_cbranch_execnz .LBB16_3549
; %bb.1501:
	s_or_saveexec_b64 s[6:7], s[6:7]
	v_mov_b32_e32 v3, s10
	s_xor_b64 exec, exec, s[6:7]
	s_cbranch_execnz .LBB16_3552
.LBB16_1502:
	s_or_b64 exec, exec, s[6:7]
	s_and_saveexec_b64 s[6:7], s[4:5]
	s_cbranch_execz .LBB16_1504
.LBB16_1503:
	v_bfe_u32 v3, v4, 24, 3
	v_ffbh_u32_e32 v10, v3
	v_min_u32_e32 v10, 32, v10
	v_lshrrev_b32_e32 v7, 27, v4
	v_subrev_u32_e32 v11, 28, v10
	v_and_b32_e32 v6, 0x80000000, v4
	v_and_b32_e32 v7, 15, v7
	v_bfe_u32 v8, v4, 27, 4
	v_lshlrev_b32_sdwa v4, v11, v4 dst_sel:DWORD dst_unused:UNUSED_PAD src0_sel:DWORD src1_sel:BYTE_3
	v_sub_u32_e32 v10, 29, v10
	v_and_b32_e32 v4, 7, v4
	v_cmp_eq_u16_e32 vcc, 0, v7
	v_cndmask_b32_e32 v3, v3, v4, vcc
	v_cndmask_b32_e32 v4, v8, v10, vcc
	v_mov_b32_e32 v7, 0x3b800000
	v_lshlrev_b32_e32 v3, 20, v3
	v_lshl_add_u32 v4, v4, 23, v7
	v_or3_b32 v3, v6, v4, v3
.LBB16_1504:
	s_or_b64 exec, exec, s[6:7]
	s_nop 0
	v_mfma_f32_16x16x4f32 a[0:3], v2, v3, a[0:3]
	s_movk_i32 s4, 0x7f
	v_cmp_gt_i16_sdwa s[6:7], v9, s4 src0_sel:BYTE_0 src1_sel:DWORD
	s_mov_b64 s[4:5], 0
                                        ; implicit-def: $sgpr10
	s_and_saveexec_b64 s[8:9], s[6:7]
	s_xor_b64 s[6:7], exec, s[8:9]
	s_cbranch_execnz .LBB16_3553
; %bb.1505:
	s_or_saveexec_b64 s[6:7], s[6:7]
	v_mov_b32_e32 v2, s10
	s_xor_b64 exec, exec, s[6:7]
	s_cbranch_execnz .LBB16_3556
.LBB16_1506:
	s_or_b64 exec, exec, s[6:7]
	s_and_saveexec_b64 s[6:7], s[4:5]
	s_cbranch_execz .LBB16_1508
.LBB16_1507:
	v_mov_b32_e32 v2, 8
	v_and_b32_e32 v3, 7, v9
	v_lshrrev_b32_sdwa v2, v2, v9 dst_sel:BYTE_1 dst_unused:UNUSED_PAD src0_sel:DWORD src1_sel:DWORD
	v_ffbh_u32_e32 v4, v3
	v_or_b32_sdwa v2, v9, v2 dst_sel:DWORD dst_unused:UNUSED_PAD src0_sel:BYTE_0 src1_sel:DWORD
	v_min_u32_e32 v4, 32, v4
	v_lshrrev_b16_e32 v2, 3, v2
	v_subrev_u32_e32 v6, 28, v4
	v_and_b32_e32 v2, 15, v2
	v_lshlrev_b32_e32 v6, v6, v9
	v_sub_u32_e32 v4, 29, v4
	v_and_b32_e32 v6, 7, v6
	v_cmp_eq_u16_e32 vcc, 0, v2
	v_cndmask_b32_e32 v3, v3, v6, vcc
	v_cndmask_b32_e32 v2, v2, v4, vcc
	v_lshlrev_b32_e32 v4, 24, v9
	v_mov_b32_e32 v6, 0x3b800000
	v_lshlrev_b32_e32 v3, 20, v3
	v_and_b32_e32 v4, 0x80000000, v4
	v_lshl_add_u32 v2, v2, 23, v6
	v_or3_b32 v2, v4, v2, v3
.LBB16_1508:
	s_or_b64 exec, exec, s[6:7]
	s_movk_i32 s4, 0x7f
	v_cmp_gt_i16_sdwa s[6:7], v5, s4 src0_sel:BYTE_0 src1_sel:DWORD
	s_mov_b64 s[4:5], 0
                                        ; implicit-def: $sgpr10
	s_and_saveexec_b64 s[8:9], s[6:7]
	s_xor_b64 s[6:7], exec, s[8:9]
	s_cbranch_execnz .LBB16_3557
; %bb.1509:
	s_or_saveexec_b64 s[6:7], s[6:7]
	v_mov_b32_e32 v3, s10
	s_xor_b64 exec, exec, s[6:7]
	s_cbranch_execnz .LBB16_3560
.LBB16_1510:
	s_or_b64 exec, exec, s[6:7]
	s_and_saveexec_b64 s[6:7], s[4:5]
	s_cbranch_execz .LBB16_1512
.LBB16_1511:
	v_mov_b32_e32 v3, 8
	v_and_b32_e32 v4, 7, v5
	v_lshrrev_b32_sdwa v3, v3, v5 dst_sel:BYTE_1 dst_unused:UNUSED_PAD src0_sel:DWORD src1_sel:DWORD
	v_ffbh_u32_e32 v6, v4
	v_or_b32_sdwa v3, v5, v3 dst_sel:DWORD dst_unused:UNUSED_PAD src0_sel:BYTE_0 src1_sel:DWORD
	v_min_u32_e32 v6, 32, v6
	v_lshrrev_b16_e32 v3, 3, v3
	v_subrev_u32_e32 v7, 28, v6
	v_and_b32_e32 v3, 15, v3
	v_lshlrev_b32_e32 v7, v7, v5
	v_sub_u32_e32 v6, 29, v6
	v_and_b32_e32 v7, 7, v7
	v_cmp_eq_u16_e32 vcc, 0, v3
	v_cndmask_b32_e32 v4, v4, v7, vcc
	v_cndmask_b32_e32 v3, v3, v6, vcc
	v_lshlrev_b32_e32 v6, 24, v5
	v_mov_b32_e32 v7, 0x3b800000
	v_lshlrev_b32_e32 v4, 20, v4
	v_and_b32_e32 v6, 0x80000000, v6
	v_lshl_add_u32 v3, v3, 23, v7
	v_or3_b32 v3, v6, v3, v4
.LBB16_1512:
	s_or_b64 exec, exec, s[6:7]
	s_nop 0
	v_mfma_f32_16x16x4f32 a[0:3], v2, v3, a[0:3]
	v_lshrrev_b32_e32 v3, 8, v9
	s_movk_i32 s4, 0x7f
	v_cmp_gt_i16_sdwa s[6:7], v3, s4 src0_sel:BYTE_0 src1_sel:DWORD
	s_mov_b64 s[4:5], 0
                                        ; implicit-def: $sgpr10
	s_and_saveexec_b64 s[8:9], s[6:7]
	s_xor_b64 s[6:7], exec, s[8:9]
	s_cbranch_execnz .LBB16_3561
; %bb.1513:
	s_or_saveexec_b64 s[6:7], s[6:7]
	v_mov_b32_e32 v2, s10
	s_xor_b64 exec, exec, s[6:7]
	s_cbranch_execnz .LBB16_3564
.LBB16_1514:
	s_or_b64 exec, exec, s[6:7]
	s_and_saveexec_b64 s[6:7], s[4:5]
	s_cbranch_execz .LBB16_1516
.LBB16_1515:
	v_bfe_u32 v2, v9, 8, 3
	v_ffbh_u32_e32 v6, v2
	v_min_u32_e32 v6, 32, v6
	v_lshrrev_b16_e32 v4, 3, v3
	v_subrev_u32_e32 v7, 28, v6
	v_and_b32_e32 v4, 15, v4
	v_lshlrev_b32_e32 v3, v7, v3
	v_sub_u32_e32 v6, 29, v6
	v_and_b32_e32 v3, 7, v3
	v_cmp_eq_u16_e32 vcc, 0, v4
	v_cndmask_b32_e32 v2, v2, v3, vcc
	v_cndmask_b32_e32 v3, v4, v6, vcc
	v_lshlrev_b32_e32 v4, 16, v9
	v_mov_b32_e32 v6, 0x3b800000
	v_lshlrev_b32_e32 v2, 20, v2
	v_and_b32_e32 v4, 0x80000000, v4
	v_lshl_add_u32 v3, v3, 23, v6
	v_or3_b32 v2, v4, v3, v2
.LBB16_1516:
	s_or_b64 exec, exec, s[6:7]
	v_lshrrev_b32_e32 v3, 8, v5
	s_movk_i32 s4, 0x7f
	v_cmp_gt_i16_sdwa s[6:7], v3, s4 src0_sel:BYTE_0 src1_sel:DWORD
	s_mov_b64 s[4:5], 0
                                        ; implicit-def: $sgpr10
	s_and_saveexec_b64 s[8:9], s[6:7]
	s_xor_b64 s[6:7], exec, s[8:9]
	s_cbranch_execnz .LBB16_3565
; %bb.1517:
	s_or_saveexec_b64 s[6:7], s[6:7]
	v_mov_b32_e32 v4, s10
	s_xor_b64 exec, exec, s[6:7]
	s_cbranch_execnz .LBB16_3568
.LBB16_1518:
	s_or_b64 exec, exec, s[6:7]
	s_and_saveexec_b64 s[6:7], s[4:5]
	s_cbranch_execz .LBB16_1520
.LBB16_1519:
	v_bfe_u32 v4, v5, 8, 3
	v_ffbh_u32_e32 v7, v4
	v_min_u32_e32 v7, 32, v7
	v_lshrrev_b16_e32 v6, 3, v3
	v_subrev_u32_e32 v8, 28, v7
	v_and_b32_e32 v6, 15, v6
	v_lshlrev_b32_e32 v3, v8, v3
	v_sub_u32_e32 v7, 29, v7
	v_and_b32_e32 v3, 7, v3
	v_cmp_eq_u16_e32 vcc, 0, v6
	v_cndmask_b32_e32 v3, v4, v3, vcc
	v_cndmask_b32_e32 v4, v6, v7, vcc
	v_lshlrev_b32_e32 v6, 16, v5
	v_mov_b32_e32 v7, 0x3b800000
	v_lshlrev_b32_e32 v3, 20, v3
	v_and_b32_e32 v6, 0x80000000, v6
	v_lshl_add_u32 v4, v4, 23, v7
	v_or3_b32 v4, v6, v4, v3
.LBB16_1520:
	s_or_b64 exec, exec, s[6:7]
	s_nop 0
	v_mfma_f32_16x16x4f32 a[0:3], v2, v4, a[0:3]
	s_movk_i32 s4, 0xff
	v_and_b32_sdwa v3, v9, s4 dst_sel:DWORD dst_unused:UNUSED_PAD src0_sel:WORD_1 src1_sel:DWORD
	s_movk_i32 s4, 0x7f
	v_cmp_lt_i16_e32 vcc, s4, v3
	s_mov_b64 s[4:5], 0
                                        ; implicit-def: $sgpr10
	s_and_saveexec_b64 s[6:7], vcc
	s_xor_b64 s[6:7], exec, s[6:7]
	s_cbranch_execnz .LBB16_3569
; %bb.1521:
	s_or_saveexec_b64 s[6:7], s[6:7]
	v_mov_b32_e32 v2, s10
	s_xor_b64 exec, exec, s[6:7]
	s_cbranch_execnz .LBB16_3572
.LBB16_1522:
	s_or_b64 exec, exec, s[6:7]
	s_and_saveexec_b64 s[6:7], s[4:5]
	s_cbranch_execz .LBB16_1524
.LBB16_1523:
	v_bfe_u32 v2, v9, 16, 3
	v_ffbh_u32_e32 v6, v2
	v_min_u32_e32 v6, 32, v6
	v_lshrrev_b32_e32 v3, 19, v9
	v_subrev_u32_e32 v7, 28, v6
	v_and_b32_e32 v3, 15, v3
	v_lshlrev_b32_sdwa v7, v7, v9 dst_sel:DWORD dst_unused:UNUSED_PAD src0_sel:DWORD src1_sel:WORD_1
	v_bfe_u32 v4, v9, 19, 4
	v_sub_u32_e32 v6, 29, v6
	v_and_b32_e32 v7, 7, v7
	v_cmp_eq_u16_e32 vcc, 0, v3
	v_cndmask_b32_e32 v2, v2, v7, vcc
	v_cndmask_b32_e32 v3, v4, v6, vcc
	v_lshlrev_b32_e32 v4, 8, v9
	v_mov_b32_e32 v6, 0x3b800000
	v_lshlrev_b32_e32 v2, 20, v2
	v_and_b32_e32 v4, 0x80000000, v4
	v_lshl_add_u32 v3, v3, 23, v6
	v_or3_b32 v2, v4, v3, v2
.LBB16_1524:
	s_or_b64 exec, exec, s[6:7]
	s_movk_i32 s4, 0xff
	v_and_b32_sdwa v3, v5, s4 dst_sel:DWORD dst_unused:UNUSED_PAD src0_sel:WORD_1 src1_sel:DWORD
	s_movk_i32 s4, 0x7f
	v_cmp_lt_i16_e32 vcc, s4, v3
	s_mov_b64 s[4:5], 0
                                        ; implicit-def: $sgpr10
	s_and_saveexec_b64 s[6:7], vcc
	s_xor_b64 s[6:7], exec, s[6:7]
	s_cbranch_execnz .LBB16_3573
; %bb.1525:
	s_or_saveexec_b64 s[6:7], s[6:7]
	v_mov_b32_e32 v4, s10
	s_xor_b64 exec, exec, s[6:7]
	s_cbranch_execnz .LBB16_3576
.LBB16_1526:
	s_or_b64 exec, exec, s[6:7]
	s_and_saveexec_b64 s[6:7], s[4:5]
	s_cbranch_execz .LBB16_1528
.LBB16_1527:
	v_bfe_u32 v3, v5, 16, 3
	v_ffbh_u32_e32 v7, v3
	v_min_u32_e32 v7, 32, v7
	v_lshrrev_b32_e32 v4, 19, v5
	v_subrev_u32_e32 v8, 28, v7
	v_and_b32_e32 v4, 15, v4
	v_lshlrev_b32_sdwa v8, v8, v5 dst_sel:DWORD dst_unused:UNUSED_PAD src0_sel:DWORD src1_sel:WORD_1
	v_bfe_u32 v6, v5, 19, 4
	v_sub_u32_e32 v7, 29, v7
	v_and_b32_e32 v8, 7, v8
	v_cmp_eq_u16_e32 vcc, 0, v4
	v_cndmask_b32_e32 v3, v3, v8, vcc
	v_cndmask_b32_e32 v4, v6, v7, vcc
	v_lshlrev_b32_e32 v6, 8, v5
	v_mov_b32_e32 v7, 0x3b800000
	v_lshlrev_b32_e32 v3, 20, v3
	v_and_b32_e32 v6, 0x80000000, v6
	v_lshl_add_u32 v4, v4, 23, v7
	v_or3_b32 v4, v6, v4, v3
.LBB16_1528:
	s_or_b64 exec, exec, s[6:7]
	s_nop 0
	v_mfma_f32_16x16x4f32 a[0:3], v2, v4, a[0:3]
	s_movk_i32 s4, 0x7f
	v_cmp_gt_i16_sdwa s[6:7], v9, s4 src0_sel:BYTE_3 src1_sel:DWORD
	s_mov_b64 s[4:5], 0
                                        ; implicit-def: $sgpr10
	s_and_saveexec_b64 s[8:9], s[6:7]
	s_xor_b64 s[6:7], exec, s[8:9]
	s_cbranch_execnz .LBB16_3577
; %bb.1529:
	s_or_saveexec_b64 s[6:7], s[6:7]
	v_mov_b32_e32 v2, s10
	s_xor_b64 exec, exec, s[6:7]
	s_cbranch_execnz .LBB16_3580
.LBB16_1530:
	s_or_b64 exec, exec, s[6:7]
	s_and_saveexec_b64 s[6:7], s[4:5]
	s_cbranch_execz .LBB16_1532
.LBB16_1531:
	v_bfe_u32 v2, v9, 24, 3
	v_ffbh_u32_e32 v7, v2
	v_min_u32_e32 v7, 32, v7
	v_lshrrev_b32_e32 v4, 27, v9
	v_subrev_u32_e32 v8, 28, v7
	v_and_b32_e32 v4, 15, v4
	v_lshlrev_b32_sdwa v8, v8, v9 dst_sel:DWORD dst_unused:UNUSED_PAD src0_sel:DWORD src1_sel:BYTE_3
	v_bfe_u32 v6, v9, 27, 4
	v_sub_u32_e32 v7, 29, v7
	v_and_b32_e32 v8, 7, v8
	v_cmp_eq_u16_e32 vcc, 0, v4
	v_cndmask_b32_e32 v2, v2, v8, vcc
	v_cndmask_b32_e32 v4, v6, v7, vcc
	v_mov_b32_e32 v6, 0x3b800000
	v_and_b32_e32 v3, 0x80000000, v9
	v_lshlrev_b32_e32 v2, 20, v2
	v_lshl_add_u32 v4, v4, 23, v6
	v_or3_b32 v2, v3, v4, v2
.LBB16_1532:
	s_or_b64 exec, exec, s[6:7]
	s_movk_i32 s4, 0x7f
	v_cmp_gt_i16_sdwa s[6:7], v5, s4 src0_sel:BYTE_3 src1_sel:DWORD
	s_mov_b64 s[4:5], 0
                                        ; implicit-def: $sgpr10
	s_and_saveexec_b64 s[8:9], s[6:7]
	s_xor_b64 s[6:7], exec, s[8:9]
	s_cbranch_execnz .LBB16_3581
; %bb.1533:
	s_or_saveexec_b64 s[6:7], s[6:7]
	v_mov_b32_e32 v3, s10
	s_xor_b64 exec, exec, s[6:7]
	s_cbranch_execnz .LBB16_3584
.LBB16_1534:
	s_or_b64 exec, exec, s[6:7]
	s_and_saveexec_b64 s[6:7], s[4:5]
	s_cbranch_execz .LBB16_1536
.LBB16_1535:
	v_bfe_u32 v3, v5, 24, 3
	v_ffbh_u32_e32 v8, v3
	v_min_u32_e32 v8, 32, v8
	v_lshrrev_b32_e32 v6, 27, v5
	v_subrev_u32_e32 v9, 28, v8
	v_and_b32_e32 v4, 0x80000000, v5
	v_and_b32_e32 v6, 15, v6
	v_bfe_u32 v7, v5, 27, 4
	v_lshlrev_b32_sdwa v5, v9, v5 dst_sel:DWORD dst_unused:UNUSED_PAD src0_sel:DWORD src1_sel:BYTE_3
	v_sub_u32_e32 v8, 29, v8
	v_and_b32_e32 v5, 7, v5
	v_cmp_eq_u16_e32 vcc, 0, v6
	v_cndmask_b32_e32 v3, v3, v5, vcc
	v_cndmask_b32_e32 v5, v7, v8, vcc
	v_mov_b32_e32 v6, 0x3b800000
	v_lshlrev_b32_e32 v3, 20, v3
	v_lshl_add_u32 v5, v5, 23, v6
	v_or3_b32 v3, v4, v5, v3
.LBB16_1536:
	s_or_b64 exec, exec, s[6:7]
	s_nop 0
	v_mfma_f32_16x16x4f32 a[0:3], v2, v3, a[0:3]
	s_movk_i32 s4, 0x7f
                                        ; implicit-def: $sgpr10
	s_nop 7
	s_nop 1
	flat_store_dwordx4 v[18:19], a[0:3] offset:848
	flat_load_dwordx4 v[20:23], v[0:1] offset:16
	s_nop 0
	flat_load_dwordx2 v[18:19], v[0:1] offset:32
	s_waitcnt vmcnt(0) lgkmcnt(0)
	flat_load_dwordx4 v[14:17], v[20:21]
	flat_load_dwordx4 v[6:9], v[20:21] offset:16
	flat_load_dwordx4 v[10:13], v[22:23] offset:448
	;; [unrolled: 1-line block ×3, first 2 shown]
	s_waitcnt vmcnt(0) lgkmcnt(0)
	v_cmp_gt_i16_sdwa s[6:7], v14, s4 src0_sel:BYTE_0 src1_sel:DWORD
	s_mov_b64 s[4:5], 0
	s_and_saveexec_b64 s[8:9], s[6:7]
	s_xor_b64 s[6:7], exec, s[8:9]
	s_cbranch_execnz .LBB16_3585
; %bb.1537:
	s_or_saveexec_b64 s[6:7], s[6:7]
	v_mov_b32_e32 v20, s10
	s_xor_b64 exec, exec, s[6:7]
	s_cbranch_execnz .LBB16_3588
.LBB16_1538:
	s_or_b64 exec, exec, s[6:7]
	s_and_saveexec_b64 s[6:7], s[4:5]
	s_cbranch_execz .LBB16_1540
.LBB16_1539:
	v_and_b32_e32 v20, 7, v14
	v_ffbh_u32_e32 v22, v20
	v_min_u32_e32 v22, 32, v22
	v_lshrrev_b16_e32 v21, 3, v14
	v_subrev_u32_e32 v23, 28, v22
	v_and_b32_e32 v21, 15, v21
	v_lshlrev_b32_e32 v23, v23, v14
	v_sub_u32_e32 v22, 29, v22
	v_and_b32_e32 v23, 7, v23
	v_cmp_eq_u16_e32 vcc, 0, v21
	v_cndmask_b32_e32 v20, v20, v23, vcc
	v_cndmask_b32_e32 v21, v21, v22, vcc
	v_lshlrev_b32_e32 v22, 24, v14
	v_mov_b32_e32 v23, 0x3b800000
	v_lshlrev_b32_e32 v20, 20, v20
	v_and_b32_e32 v22, 0x80000000, v22
	v_lshl_add_u32 v21, v21, 23, v23
	v_or3_b32 v20, v22, v21, v20
.LBB16_1540:
	s_or_b64 exec, exec, s[6:7]
	s_movk_i32 s4, 0x7f
	v_cmp_gt_i16_sdwa s[6:7], v10, s4 src0_sel:BYTE_0 src1_sel:DWORD
	s_mov_b64 s[4:5], 0
                                        ; implicit-def: $sgpr10
	s_and_saveexec_b64 s[8:9], s[6:7]
	s_xor_b64 s[6:7], exec, s[8:9]
	s_cbranch_execnz .LBB16_3589
; %bb.1541:
	s_or_saveexec_b64 s[6:7], s[6:7]
	v_mov_b32_e32 v21, s10
	s_xor_b64 exec, exec, s[6:7]
	s_cbranch_execnz .LBB16_3592
.LBB16_1542:
	s_or_b64 exec, exec, s[6:7]
	s_and_saveexec_b64 s[6:7], s[4:5]
	s_cbranch_execz .LBB16_1544
.LBB16_1543:
	v_and_b32_e32 v21, 7, v10
	v_ffbh_u32_e32 v23, v21
	v_min_u32_e32 v23, 32, v23
	v_lshrrev_b16_e32 v22, 3, v10
	v_subrev_u32_e32 v24, 28, v23
	v_and_b32_e32 v22, 15, v22
	v_lshlrev_b32_e32 v24, v24, v10
	v_sub_u32_e32 v23, 29, v23
	v_and_b32_e32 v24, 7, v24
	v_cmp_eq_u16_e32 vcc, 0, v22
	v_cndmask_b32_e32 v21, v21, v24, vcc
	v_cndmask_b32_e32 v22, v22, v23, vcc
	v_lshlrev_b32_e32 v23, 24, v10
	v_mov_b32_e32 v24, 0x3b800000
	v_lshlrev_b32_e32 v21, 20, v21
	v_and_b32_e32 v23, 0x80000000, v23
	v_lshl_add_u32 v22, v22, 23, v24
	v_or3_b32 v21, v23, v22, v21
.LBB16_1544:
	s_or_b64 exec, exec, s[6:7]
	flat_load_dwordx4 a[0:3], v[18:19] offset:864
	s_movk_i32 s4, 0x7f
                                        ; implicit-def: $sgpr10
	s_waitcnt vmcnt(0) lgkmcnt(0)
	v_mfma_f32_16x16x4f32 a[0:3], v20, v21, a[0:3]
	v_lshrrev_b32_e32 v21, 8, v14
	v_cmp_gt_i16_sdwa s[6:7], v21, s4 src0_sel:BYTE_0 src1_sel:DWORD
	s_mov_b64 s[4:5], 0
	s_and_saveexec_b64 s[8:9], s[6:7]
	s_xor_b64 s[6:7], exec, s[8:9]
	s_cbranch_execnz .LBB16_3593
; %bb.1545:
	s_or_saveexec_b64 s[6:7], s[6:7]
	v_mov_b32_e32 v20, s10
	s_xor_b64 exec, exec, s[6:7]
	s_cbranch_execnz .LBB16_3596
.LBB16_1546:
	s_or_b64 exec, exec, s[6:7]
	s_and_saveexec_b64 s[6:7], s[4:5]
	s_cbranch_execz .LBB16_1548
.LBB16_1547:
	v_bfe_u32 v20, v14, 8, 3
	v_ffbh_u32_e32 v23, v20
	v_min_u32_e32 v23, 32, v23
	v_lshrrev_b16_e32 v22, 3, v21
	v_subrev_u32_e32 v24, 28, v23
	v_and_b32_e32 v22, 15, v22
	v_lshlrev_b32_e32 v21, v24, v21
	v_sub_u32_e32 v23, 29, v23
	v_and_b32_e32 v21, 7, v21
	v_cmp_eq_u16_e32 vcc, 0, v22
	v_cndmask_b32_e32 v20, v20, v21, vcc
	v_cndmask_b32_e32 v21, v22, v23, vcc
	v_lshlrev_b32_e32 v22, 16, v14
	v_mov_b32_e32 v23, 0x3b800000
	v_lshlrev_b32_e32 v20, 20, v20
	v_and_b32_e32 v22, 0x80000000, v22
	v_lshl_add_u32 v21, v21, 23, v23
	v_or3_b32 v20, v22, v21, v20
.LBB16_1548:
	s_or_b64 exec, exec, s[6:7]
	v_lshrrev_b32_e32 v21, 8, v10
	s_movk_i32 s4, 0x7f
	v_cmp_gt_i16_sdwa s[6:7], v21, s4 src0_sel:BYTE_0 src1_sel:DWORD
	s_mov_b64 s[4:5], 0
                                        ; implicit-def: $sgpr10
	s_and_saveexec_b64 s[8:9], s[6:7]
	s_xor_b64 s[6:7], exec, s[8:9]
	s_cbranch_execnz .LBB16_3597
; %bb.1549:
	s_or_saveexec_b64 s[6:7], s[6:7]
	v_mov_b32_e32 v22, s10
	s_xor_b64 exec, exec, s[6:7]
	s_cbranch_execnz .LBB16_3600
.LBB16_1550:
	s_or_b64 exec, exec, s[6:7]
	s_and_saveexec_b64 s[6:7], s[4:5]
	s_cbranch_execz .LBB16_1552
.LBB16_1551:
	v_bfe_u32 v22, v10, 8, 3
	v_ffbh_u32_e32 v24, v22
	v_min_u32_e32 v24, 32, v24
	v_lshrrev_b16_e32 v23, 3, v21
	v_subrev_u32_e32 v25, 28, v24
	v_and_b32_e32 v23, 15, v23
	v_lshlrev_b32_e32 v21, v25, v21
	v_sub_u32_e32 v24, 29, v24
	v_and_b32_e32 v21, 7, v21
	v_cmp_eq_u16_e32 vcc, 0, v23
	v_cndmask_b32_e32 v21, v22, v21, vcc
	v_cndmask_b32_e32 v22, v23, v24, vcc
	v_lshlrev_b32_e32 v23, 16, v10
	v_mov_b32_e32 v24, 0x3b800000
	v_lshlrev_b32_e32 v21, 20, v21
	v_and_b32_e32 v23, 0x80000000, v23
	v_lshl_add_u32 v22, v22, 23, v24
	v_or3_b32 v22, v23, v22, v21
.LBB16_1552:
	s_or_b64 exec, exec, s[6:7]
	s_nop 0
	v_mfma_f32_16x16x4f32 a[0:3], v20, v22, a[0:3]
	s_movk_i32 s4, 0xff
	v_and_b32_sdwa v21, v14, s4 dst_sel:DWORD dst_unused:UNUSED_PAD src0_sel:WORD_1 src1_sel:DWORD
	s_movk_i32 s4, 0x7f
	v_cmp_lt_i16_e32 vcc, s4, v21
	s_mov_b64 s[4:5], 0
                                        ; implicit-def: $sgpr10
	s_and_saveexec_b64 s[6:7], vcc
	s_xor_b64 s[6:7], exec, s[6:7]
	s_cbranch_execnz .LBB16_3601
; %bb.1553:
	s_or_saveexec_b64 s[6:7], s[6:7]
	v_mov_b32_e32 v20, s10
	s_xor_b64 exec, exec, s[6:7]
	s_cbranch_execnz .LBB16_3604
.LBB16_1554:
	s_or_b64 exec, exec, s[6:7]
	s_and_saveexec_b64 s[6:7], s[4:5]
	s_cbranch_execz .LBB16_1556
.LBB16_1555:
	v_bfe_u32 v20, v14, 16, 3
	v_ffbh_u32_e32 v23, v20
	v_min_u32_e32 v23, 32, v23
	v_lshrrev_b32_e32 v21, 19, v14
	v_subrev_u32_e32 v24, 28, v23
	v_and_b32_e32 v21, 15, v21
	v_lshlrev_b32_sdwa v24, v24, v14 dst_sel:DWORD dst_unused:UNUSED_PAD src0_sel:DWORD src1_sel:WORD_1
	v_bfe_u32 v22, v14, 19, 4
	v_sub_u32_e32 v23, 29, v23
	v_and_b32_e32 v24, 7, v24
	v_cmp_eq_u16_e32 vcc, 0, v21
	v_cndmask_b32_e32 v20, v20, v24, vcc
	v_cndmask_b32_e32 v21, v22, v23, vcc
	v_lshlrev_b32_e32 v22, 8, v14
	v_mov_b32_e32 v23, 0x3b800000
	v_lshlrev_b32_e32 v20, 20, v20
	v_and_b32_e32 v22, 0x80000000, v22
	v_lshl_add_u32 v21, v21, 23, v23
	v_or3_b32 v20, v22, v21, v20
.LBB16_1556:
	s_or_b64 exec, exec, s[6:7]
	s_movk_i32 s4, 0xff
	v_and_b32_sdwa v21, v10, s4 dst_sel:DWORD dst_unused:UNUSED_PAD src0_sel:WORD_1 src1_sel:DWORD
	s_movk_i32 s4, 0x7f
	v_cmp_lt_i16_e32 vcc, s4, v21
	s_mov_b64 s[4:5], 0
                                        ; implicit-def: $sgpr10
	s_and_saveexec_b64 s[6:7], vcc
	s_xor_b64 s[6:7], exec, s[6:7]
	s_cbranch_execnz .LBB16_3605
; %bb.1557:
	s_or_saveexec_b64 s[6:7], s[6:7]
	v_mov_b32_e32 v22, s10
	s_xor_b64 exec, exec, s[6:7]
	s_cbranch_execnz .LBB16_3608
.LBB16_1558:
	s_or_b64 exec, exec, s[6:7]
	s_and_saveexec_b64 s[6:7], s[4:5]
	s_cbranch_execz .LBB16_1560
.LBB16_1559:
	v_bfe_u32 v21, v10, 16, 3
	v_ffbh_u32_e32 v24, v21
	v_min_u32_e32 v24, 32, v24
	v_lshrrev_b32_e32 v22, 19, v10
	v_subrev_u32_e32 v25, 28, v24
	v_and_b32_e32 v22, 15, v22
	v_lshlrev_b32_sdwa v25, v25, v10 dst_sel:DWORD dst_unused:UNUSED_PAD src0_sel:DWORD src1_sel:WORD_1
	v_bfe_u32 v23, v10, 19, 4
	v_sub_u32_e32 v24, 29, v24
	v_and_b32_e32 v25, 7, v25
	v_cmp_eq_u16_e32 vcc, 0, v22
	v_cndmask_b32_e32 v21, v21, v25, vcc
	v_cndmask_b32_e32 v22, v23, v24, vcc
	v_lshlrev_b32_e32 v23, 8, v10
	v_mov_b32_e32 v24, 0x3b800000
	v_lshlrev_b32_e32 v21, 20, v21
	v_and_b32_e32 v23, 0x80000000, v23
	v_lshl_add_u32 v22, v22, 23, v24
	v_or3_b32 v22, v23, v22, v21
.LBB16_1560:
	s_or_b64 exec, exec, s[6:7]
	s_nop 0
	v_mfma_f32_16x16x4f32 a[0:3], v20, v22, a[0:3]
	s_movk_i32 s4, 0x7f
	v_cmp_gt_i16_sdwa s[6:7], v14, s4 src0_sel:BYTE_3 src1_sel:DWORD
	s_mov_b64 s[4:5], 0
                                        ; implicit-def: $sgpr10
	s_and_saveexec_b64 s[8:9], s[6:7]
	s_xor_b64 s[6:7], exec, s[8:9]
	s_cbranch_execnz .LBB16_3609
; %bb.1561:
	s_or_saveexec_b64 s[6:7], s[6:7]
	v_mov_b32_e32 v20, s10
	s_xor_b64 exec, exec, s[6:7]
	s_cbranch_execnz .LBB16_3612
.LBB16_1562:
	s_or_b64 exec, exec, s[6:7]
	s_and_saveexec_b64 s[6:7], s[4:5]
	s_cbranch_execz .LBB16_1564
.LBB16_1563:
	v_bfe_u32 v20, v14, 24, 3
	v_ffbh_u32_e32 v24, v20
	v_min_u32_e32 v24, 32, v24
	v_lshrrev_b32_e32 v22, 27, v14
	v_subrev_u32_e32 v25, 28, v24
	v_and_b32_e32 v21, 0x80000000, v14
	v_and_b32_e32 v22, 15, v22
	v_bfe_u32 v23, v14, 27, 4
	v_lshlrev_b32_sdwa v14, v25, v14 dst_sel:DWORD dst_unused:UNUSED_PAD src0_sel:DWORD src1_sel:BYTE_3
	v_sub_u32_e32 v24, 29, v24
	v_and_b32_e32 v14, 7, v14
	v_cmp_eq_u16_e32 vcc, 0, v22
	v_cndmask_b32_e32 v14, v20, v14, vcc
	v_cndmask_b32_e32 v20, v23, v24, vcc
	v_mov_b32_e32 v22, 0x3b800000
	v_lshlrev_b32_e32 v14, 20, v14
	v_lshl_add_u32 v20, v20, 23, v22
	v_or3_b32 v20, v21, v20, v14
.LBB16_1564:
	s_or_b64 exec, exec, s[6:7]
	s_movk_i32 s4, 0x7f
	v_cmp_gt_i16_sdwa s[6:7], v10, s4 src0_sel:BYTE_3 src1_sel:DWORD
	s_mov_b64 s[4:5], 0
                                        ; implicit-def: $sgpr10
	s_and_saveexec_b64 s[8:9], s[6:7]
	s_xor_b64 s[6:7], exec, s[8:9]
	s_cbranch_execnz .LBB16_3613
; %bb.1565:
	s_or_saveexec_b64 s[6:7], s[6:7]
	v_mov_b32_e32 v14, s10
	s_xor_b64 exec, exec, s[6:7]
	s_cbranch_execnz .LBB16_3616
.LBB16_1566:
	s_or_b64 exec, exec, s[6:7]
	s_and_saveexec_b64 s[6:7], s[4:5]
	s_cbranch_execz .LBB16_1568
.LBB16_1567:
	v_bfe_u32 v14, v10, 24, 3
	v_ffbh_u32_e32 v24, v14
	v_min_u32_e32 v24, 32, v24
	v_lshrrev_b32_e32 v22, 27, v10
	v_subrev_u32_e32 v25, 28, v24
	v_and_b32_e32 v21, 0x80000000, v10
	v_and_b32_e32 v22, 15, v22
	v_bfe_u32 v23, v10, 27, 4
	v_lshlrev_b32_sdwa v10, v25, v10 dst_sel:DWORD dst_unused:UNUSED_PAD src0_sel:DWORD src1_sel:BYTE_3
	v_sub_u32_e32 v24, 29, v24
	v_and_b32_e32 v10, 7, v10
	v_cmp_eq_u16_e32 vcc, 0, v22
	v_cndmask_b32_e32 v10, v14, v10, vcc
	v_cndmask_b32_e32 v14, v23, v24, vcc
	v_mov_b32_e32 v22, 0x3b800000
	v_lshlrev_b32_e32 v10, 20, v10
	v_lshl_add_u32 v14, v14, 23, v22
	v_or3_b32 v14, v21, v14, v10
.LBB16_1568:
	s_or_b64 exec, exec, s[6:7]
	s_nop 0
	v_mfma_f32_16x16x4f32 a[0:3], v20, v14, a[0:3]
	s_movk_i32 s4, 0x7f
	v_cmp_gt_i16_sdwa s[6:7], v15, s4 src0_sel:BYTE_0 src1_sel:DWORD
	s_mov_b64 s[4:5], 0
                                        ; implicit-def: $sgpr10
	s_and_saveexec_b64 s[8:9], s[6:7]
	s_xor_b64 s[6:7], exec, s[8:9]
	s_cbranch_execnz .LBB16_3617
; %bb.1569:
	s_or_saveexec_b64 s[6:7], s[6:7]
	v_mov_b32_e32 v10, s10
	s_xor_b64 exec, exec, s[6:7]
	s_cbranch_execnz .LBB16_3620
.LBB16_1570:
	s_or_b64 exec, exec, s[6:7]
	s_and_saveexec_b64 s[6:7], s[4:5]
	s_cbranch_execz .LBB16_1572
.LBB16_1571:
	v_and_b32_e32 v10, 7, v15
	v_ffbh_u32_e32 v20, v10
	v_min_u32_e32 v20, 32, v20
	v_lshrrev_b16_e32 v14, 3, v15
	v_subrev_u32_e32 v21, 28, v20
	v_and_b32_e32 v14, 15, v14
	v_lshlrev_b32_e32 v21, v21, v15
	v_sub_u32_e32 v20, 29, v20
	v_and_b32_e32 v21, 7, v21
	v_cmp_eq_u16_e32 vcc, 0, v14
	v_cndmask_b32_e32 v10, v10, v21, vcc
	v_cndmask_b32_e32 v14, v14, v20, vcc
	v_lshlrev_b32_e32 v20, 24, v15
	v_mov_b32_e32 v21, 0x3b800000
	v_lshlrev_b32_e32 v10, 20, v10
	v_and_b32_e32 v20, 0x80000000, v20
	v_lshl_add_u32 v14, v14, 23, v21
	v_or3_b32 v10, v20, v14, v10
.LBB16_1572:
	s_or_b64 exec, exec, s[6:7]
	s_movk_i32 s4, 0x7f
	v_cmp_gt_i16_sdwa s[6:7], v11, s4 src0_sel:BYTE_0 src1_sel:DWORD
	s_mov_b64 s[4:5], 0
                                        ; implicit-def: $sgpr10
	s_and_saveexec_b64 s[8:9], s[6:7]
	s_xor_b64 s[6:7], exec, s[8:9]
	s_cbranch_execnz .LBB16_3621
; %bb.1573:
	s_or_saveexec_b64 s[6:7], s[6:7]
	v_mov_b32_e32 v14, s10
	s_xor_b64 exec, exec, s[6:7]
	s_cbranch_execnz .LBB16_3624
.LBB16_1574:
	s_or_b64 exec, exec, s[6:7]
	s_and_saveexec_b64 s[6:7], s[4:5]
	s_cbranch_execz .LBB16_1576
.LBB16_1575:
	v_and_b32_e32 v14, 7, v11
	v_ffbh_u32_e32 v21, v14
	v_min_u32_e32 v21, 32, v21
	v_lshrrev_b16_e32 v20, 3, v11
	v_subrev_u32_e32 v22, 28, v21
	v_and_b32_e32 v20, 15, v20
	v_lshlrev_b32_e32 v22, v22, v11
	v_sub_u32_e32 v21, 29, v21
	v_and_b32_e32 v22, 7, v22
	v_cmp_eq_u16_e32 vcc, 0, v20
	v_cndmask_b32_e32 v14, v14, v22, vcc
	v_cndmask_b32_e32 v20, v20, v21, vcc
	v_lshlrev_b32_e32 v21, 24, v11
	v_mov_b32_e32 v22, 0x3b800000
	v_lshlrev_b32_e32 v14, 20, v14
	v_and_b32_e32 v21, 0x80000000, v21
	v_lshl_add_u32 v20, v20, 23, v22
	v_or3_b32 v14, v21, v20, v14
.LBB16_1576:
	s_or_b64 exec, exec, s[6:7]
	s_nop 0
	v_mfma_f32_16x16x4f32 a[0:3], v10, v14, a[0:3]
	v_lshrrev_b32_e32 v14, 8, v15
	s_movk_i32 s4, 0x7f
	v_cmp_gt_i16_sdwa s[6:7], v14, s4 src0_sel:BYTE_0 src1_sel:DWORD
	s_mov_b64 s[4:5], 0
                                        ; implicit-def: $sgpr10
	s_and_saveexec_b64 s[8:9], s[6:7]
	s_xor_b64 s[6:7], exec, s[8:9]
	s_cbranch_execnz .LBB16_3625
; %bb.1577:
	s_or_saveexec_b64 s[6:7], s[6:7]
	v_mov_b32_e32 v10, s10
	s_xor_b64 exec, exec, s[6:7]
	s_cbranch_execnz .LBB16_3628
.LBB16_1578:
	s_or_b64 exec, exec, s[6:7]
	s_and_saveexec_b64 s[6:7], s[4:5]
	s_cbranch_execz .LBB16_1580
.LBB16_1579:
	v_bfe_u32 v10, v15, 8, 3
	v_ffbh_u32_e32 v21, v10
	v_min_u32_e32 v21, 32, v21
	v_lshrrev_b16_e32 v20, 3, v14
	v_subrev_u32_e32 v22, 28, v21
	v_and_b32_e32 v20, 15, v20
	v_lshlrev_b32_e32 v14, v22, v14
	v_sub_u32_e32 v21, 29, v21
	v_and_b32_e32 v14, 7, v14
	v_cmp_eq_u16_e32 vcc, 0, v20
	v_cndmask_b32_e32 v10, v10, v14, vcc
	v_cndmask_b32_e32 v14, v20, v21, vcc
	v_lshlrev_b32_e32 v20, 16, v15
	v_mov_b32_e32 v21, 0x3b800000
	v_lshlrev_b32_e32 v10, 20, v10
	v_and_b32_e32 v20, 0x80000000, v20
	v_lshl_add_u32 v14, v14, 23, v21
	v_or3_b32 v10, v20, v14, v10
.LBB16_1580:
	s_or_b64 exec, exec, s[6:7]
	v_lshrrev_b32_e32 v14, 8, v11
	s_movk_i32 s4, 0x7f
	v_cmp_gt_i16_sdwa s[6:7], v14, s4 src0_sel:BYTE_0 src1_sel:DWORD
	s_mov_b64 s[4:5], 0
                                        ; implicit-def: $sgpr10
	s_and_saveexec_b64 s[8:9], s[6:7]
	s_xor_b64 s[6:7], exec, s[8:9]
	s_cbranch_execnz .LBB16_3629
; %bb.1581:
	s_or_saveexec_b64 s[6:7], s[6:7]
	v_mov_b32_e32 v20, s10
	s_xor_b64 exec, exec, s[6:7]
	s_cbranch_execnz .LBB16_3632
.LBB16_1582:
	s_or_b64 exec, exec, s[6:7]
	s_and_saveexec_b64 s[6:7], s[4:5]
	s_cbranch_execz .LBB16_1584
.LBB16_1583:
	v_bfe_u32 v20, v11, 8, 3
	v_ffbh_u32_e32 v22, v20
	v_min_u32_e32 v22, 32, v22
	v_lshrrev_b16_e32 v21, 3, v14
	v_subrev_u32_e32 v23, 28, v22
	v_and_b32_e32 v21, 15, v21
	v_lshlrev_b32_e32 v14, v23, v14
	v_sub_u32_e32 v22, 29, v22
	v_and_b32_e32 v14, 7, v14
	v_cmp_eq_u16_e32 vcc, 0, v21
	v_cndmask_b32_e32 v14, v20, v14, vcc
	v_cndmask_b32_e32 v20, v21, v22, vcc
	v_lshlrev_b32_e32 v21, 16, v11
	v_mov_b32_e32 v22, 0x3b800000
	v_lshlrev_b32_e32 v14, 20, v14
	v_and_b32_e32 v21, 0x80000000, v21
	v_lshl_add_u32 v20, v20, 23, v22
	v_or3_b32 v20, v21, v20, v14
.LBB16_1584:
	s_or_b64 exec, exec, s[6:7]
	s_nop 0
	v_mfma_f32_16x16x4f32 a[0:3], v10, v20, a[0:3]
	s_movk_i32 s4, 0xff
	v_and_b32_sdwa v14, v15, s4 dst_sel:DWORD dst_unused:UNUSED_PAD src0_sel:WORD_1 src1_sel:DWORD
	s_movk_i32 s4, 0x7f
	v_cmp_lt_i16_e32 vcc, s4, v14
	s_mov_b64 s[4:5], 0
                                        ; implicit-def: $sgpr10
	s_and_saveexec_b64 s[6:7], vcc
	s_xor_b64 s[6:7], exec, s[6:7]
	s_cbranch_execnz .LBB16_3633
; %bb.1585:
	s_or_saveexec_b64 s[6:7], s[6:7]
	v_mov_b32_e32 v10, s10
	s_xor_b64 exec, exec, s[6:7]
	s_cbranch_execnz .LBB16_3636
.LBB16_1586:
	s_or_b64 exec, exec, s[6:7]
	s_and_saveexec_b64 s[6:7], s[4:5]
	s_cbranch_execz .LBB16_1588
.LBB16_1587:
	v_bfe_u32 v10, v15, 16, 3
	v_ffbh_u32_e32 v21, v10
	v_min_u32_e32 v21, 32, v21
	v_lshrrev_b32_e32 v14, 19, v15
	v_subrev_u32_e32 v22, 28, v21
	v_and_b32_e32 v14, 15, v14
	v_lshlrev_b32_sdwa v22, v22, v15 dst_sel:DWORD dst_unused:UNUSED_PAD src0_sel:DWORD src1_sel:WORD_1
	v_bfe_u32 v20, v15, 19, 4
	v_sub_u32_e32 v21, 29, v21
	v_and_b32_e32 v22, 7, v22
	v_cmp_eq_u16_e32 vcc, 0, v14
	v_cndmask_b32_e32 v10, v10, v22, vcc
	v_cndmask_b32_e32 v14, v20, v21, vcc
	v_lshlrev_b32_e32 v20, 8, v15
	v_mov_b32_e32 v21, 0x3b800000
	v_lshlrev_b32_e32 v10, 20, v10
	v_and_b32_e32 v20, 0x80000000, v20
	v_lshl_add_u32 v14, v14, 23, v21
	v_or3_b32 v10, v20, v14, v10
.LBB16_1588:
	s_or_b64 exec, exec, s[6:7]
	s_movk_i32 s4, 0xff
	v_and_b32_sdwa v14, v11, s4 dst_sel:DWORD dst_unused:UNUSED_PAD src0_sel:WORD_1 src1_sel:DWORD
	s_movk_i32 s4, 0x7f
	v_cmp_lt_i16_e32 vcc, s4, v14
	s_mov_b64 s[4:5], 0
                                        ; implicit-def: $sgpr10
	s_and_saveexec_b64 s[6:7], vcc
	s_xor_b64 s[6:7], exec, s[6:7]
	s_cbranch_execnz .LBB16_3637
; %bb.1589:
	s_or_saveexec_b64 s[6:7], s[6:7]
	v_mov_b32_e32 v20, s10
	s_xor_b64 exec, exec, s[6:7]
	s_cbranch_execnz .LBB16_3640
.LBB16_1590:
	s_or_b64 exec, exec, s[6:7]
	s_and_saveexec_b64 s[6:7], s[4:5]
	s_cbranch_execz .LBB16_1592
.LBB16_1591:
	v_bfe_u32 v14, v11, 16, 3
	v_ffbh_u32_e32 v22, v14
	v_min_u32_e32 v22, 32, v22
	v_lshrrev_b32_e32 v20, 19, v11
	v_subrev_u32_e32 v23, 28, v22
	v_and_b32_e32 v20, 15, v20
	v_lshlrev_b32_sdwa v23, v23, v11 dst_sel:DWORD dst_unused:UNUSED_PAD src0_sel:DWORD src1_sel:WORD_1
	v_bfe_u32 v21, v11, 19, 4
	v_sub_u32_e32 v22, 29, v22
	v_and_b32_e32 v23, 7, v23
	v_cmp_eq_u16_e32 vcc, 0, v20
	v_cndmask_b32_e32 v14, v14, v23, vcc
	v_cndmask_b32_e32 v20, v21, v22, vcc
	v_lshlrev_b32_e32 v21, 8, v11
	v_mov_b32_e32 v22, 0x3b800000
	v_lshlrev_b32_e32 v14, 20, v14
	v_and_b32_e32 v21, 0x80000000, v21
	v_lshl_add_u32 v20, v20, 23, v22
	v_or3_b32 v20, v21, v20, v14
.LBB16_1592:
	s_or_b64 exec, exec, s[6:7]
	s_nop 0
	v_mfma_f32_16x16x4f32 a[0:3], v10, v20, a[0:3]
	s_movk_i32 s4, 0x7f
	v_cmp_gt_i16_sdwa s[6:7], v15, s4 src0_sel:BYTE_3 src1_sel:DWORD
	s_mov_b64 s[4:5], 0
                                        ; implicit-def: $sgpr10
	s_and_saveexec_b64 s[8:9], s[6:7]
	s_xor_b64 s[6:7], exec, s[8:9]
	s_cbranch_execnz .LBB16_3641
; %bb.1593:
	s_or_saveexec_b64 s[6:7], s[6:7]
	v_mov_b32_e32 v10, s10
	s_xor_b64 exec, exec, s[6:7]
	s_cbranch_execnz .LBB16_3644
.LBB16_1594:
	s_or_b64 exec, exec, s[6:7]
	s_and_saveexec_b64 s[6:7], s[4:5]
	s_cbranch_execz .LBB16_1596
.LBB16_1595:
	v_bfe_u32 v10, v15, 24, 3
	v_ffbh_u32_e32 v22, v10
	v_min_u32_e32 v22, 32, v22
	v_lshrrev_b32_e32 v20, 27, v15
	v_subrev_u32_e32 v23, 28, v22
	v_and_b32_e32 v14, 0x80000000, v15
	v_and_b32_e32 v20, 15, v20
	v_bfe_u32 v21, v15, 27, 4
	v_lshlrev_b32_sdwa v15, v23, v15 dst_sel:DWORD dst_unused:UNUSED_PAD src0_sel:DWORD src1_sel:BYTE_3
	v_sub_u32_e32 v22, 29, v22
	v_and_b32_e32 v15, 7, v15
	v_cmp_eq_u16_e32 vcc, 0, v20
	v_cndmask_b32_e32 v10, v10, v15, vcc
	v_cndmask_b32_e32 v15, v21, v22, vcc
	v_mov_b32_e32 v20, 0x3b800000
	v_lshlrev_b32_e32 v10, 20, v10
	v_lshl_add_u32 v15, v15, 23, v20
	v_or3_b32 v10, v14, v15, v10
.LBB16_1596:
	s_or_b64 exec, exec, s[6:7]
	s_movk_i32 s4, 0x7f
	v_cmp_gt_i16_sdwa s[6:7], v11, s4 src0_sel:BYTE_3 src1_sel:DWORD
	s_mov_b64 s[4:5], 0
                                        ; implicit-def: $sgpr10
	s_and_saveexec_b64 s[8:9], s[6:7]
	s_xor_b64 s[6:7], exec, s[8:9]
	s_cbranch_execnz .LBB16_3645
; %bb.1597:
	s_or_saveexec_b64 s[6:7], s[6:7]
	v_mov_b32_e32 v14, s10
	s_xor_b64 exec, exec, s[6:7]
	s_cbranch_execnz .LBB16_3648
.LBB16_1598:
	s_or_b64 exec, exec, s[6:7]
	s_and_saveexec_b64 s[6:7], s[4:5]
	s_cbranch_execz .LBB16_1600
.LBB16_1599:
	v_bfe_u32 v14, v11, 24, 3
	v_ffbh_u32_e32 v22, v14
	v_min_u32_e32 v22, 32, v22
	v_lshrrev_b32_e32 v20, 27, v11
	v_subrev_u32_e32 v23, 28, v22
	v_and_b32_e32 v15, 0x80000000, v11
	v_and_b32_e32 v20, 15, v20
	v_bfe_u32 v21, v11, 27, 4
	v_lshlrev_b32_sdwa v11, v23, v11 dst_sel:DWORD dst_unused:UNUSED_PAD src0_sel:DWORD src1_sel:BYTE_3
	v_sub_u32_e32 v22, 29, v22
	v_and_b32_e32 v11, 7, v11
	v_cmp_eq_u16_e32 vcc, 0, v20
	v_cndmask_b32_e32 v11, v14, v11, vcc
	v_cndmask_b32_e32 v14, v21, v22, vcc
	v_mov_b32_e32 v20, 0x3b800000
	v_lshlrev_b32_e32 v11, 20, v11
	v_lshl_add_u32 v14, v14, 23, v20
	v_or3_b32 v14, v15, v14, v11
.LBB16_1600:
	s_or_b64 exec, exec, s[6:7]
	s_nop 0
	v_mfma_f32_16x16x4f32 a[0:3], v10, v14, a[0:3]
	s_movk_i32 s4, 0x7f
	v_cmp_gt_i16_sdwa s[6:7], v16, s4 src0_sel:BYTE_0 src1_sel:DWORD
	s_mov_b64 s[4:5], 0
                                        ; implicit-def: $sgpr10
	s_and_saveexec_b64 s[8:9], s[6:7]
	s_xor_b64 s[6:7], exec, s[8:9]
	s_cbranch_execnz .LBB16_3649
; %bb.1601:
	s_or_saveexec_b64 s[6:7], s[6:7]
	v_mov_b32_e32 v10, s10
	s_xor_b64 exec, exec, s[6:7]
	s_cbranch_execnz .LBB16_3652
.LBB16_1602:
	s_or_b64 exec, exec, s[6:7]
	s_and_saveexec_b64 s[6:7], s[4:5]
	s_cbranch_execz .LBB16_1604
.LBB16_1603:
	v_and_b32_e32 v10, 7, v16
	v_ffbh_u32_e32 v14, v10
	v_min_u32_e32 v14, 32, v14
	v_lshrrev_b16_e32 v11, 3, v16
	v_subrev_u32_e32 v15, 28, v14
	v_and_b32_e32 v11, 15, v11
	v_lshlrev_b32_e32 v15, v15, v16
	v_sub_u32_e32 v14, 29, v14
	v_and_b32_e32 v15, 7, v15
	v_cmp_eq_u16_e32 vcc, 0, v11
	v_cndmask_b32_e32 v10, v10, v15, vcc
	v_cndmask_b32_e32 v11, v11, v14, vcc
	v_lshlrev_b32_e32 v14, 24, v16
	v_mov_b32_e32 v15, 0x3b800000
	v_lshlrev_b32_e32 v10, 20, v10
	v_and_b32_e32 v14, 0x80000000, v14
	v_lshl_add_u32 v11, v11, 23, v15
	v_or3_b32 v10, v14, v11, v10
.LBB16_1604:
	s_or_b64 exec, exec, s[6:7]
	s_movk_i32 s4, 0x7f
	v_cmp_gt_i16_sdwa s[6:7], v12, s4 src0_sel:BYTE_0 src1_sel:DWORD
	s_mov_b64 s[4:5], 0
                                        ; implicit-def: $sgpr10
	s_and_saveexec_b64 s[8:9], s[6:7]
	s_xor_b64 s[6:7], exec, s[8:9]
	s_cbranch_execnz .LBB16_3653
; %bb.1605:
	s_or_saveexec_b64 s[6:7], s[6:7]
	v_mov_b32_e32 v11, s10
	s_xor_b64 exec, exec, s[6:7]
	s_cbranch_execnz .LBB16_3656
.LBB16_1606:
	s_or_b64 exec, exec, s[6:7]
	s_and_saveexec_b64 s[6:7], s[4:5]
	s_cbranch_execz .LBB16_1608
.LBB16_1607:
	v_and_b32_e32 v11, 7, v12
	v_ffbh_u32_e32 v15, v11
	v_min_u32_e32 v15, 32, v15
	v_lshrrev_b16_e32 v14, 3, v12
	v_subrev_u32_e32 v20, 28, v15
	v_and_b32_e32 v14, 15, v14
	v_lshlrev_b32_e32 v20, v20, v12
	v_sub_u32_e32 v15, 29, v15
	v_and_b32_e32 v20, 7, v20
	v_cmp_eq_u16_e32 vcc, 0, v14
	v_cndmask_b32_e32 v11, v11, v20, vcc
	v_cndmask_b32_e32 v14, v14, v15, vcc
	v_lshlrev_b32_e32 v15, 24, v12
	v_mov_b32_e32 v20, 0x3b800000
	v_lshlrev_b32_e32 v11, 20, v11
	v_and_b32_e32 v15, 0x80000000, v15
	v_lshl_add_u32 v14, v14, 23, v20
	v_or3_b32 v11, v15, v14, v11
.LBB16_1608:
	s_or_b64 exec, exec, s[6:7]
	s_nop 0
	v_mfma_f32_16x16x4f32 a[0:3], v10, v11, a[0:3]
	v_lshrrev_b32_e32 v11, 8, v16
	s_movk_i32 s4, 0x7f
	v_cmp_gt_i16_sdwa s[6:7], v11, s4 src0_sel:BYTE_0 src1_sel:DWORD
	s_mov_b64 s[4:5], 0
                                        ; implicit-def: $sgpr10
	s_and_saveexec_b64 s[8:9], s[6:7]
	s_xor_b64 s[6:7], exec, s[8:9]
	s_cbranch_execnz .LBB16_3657
; %bb.1609:
	s_or_saveexec_b64 s[6:7], s[6:7]
	v_mov_b32_e32 v10, s10
	s_xor_b64 exec, exec, s[6:7]
	s_cbranch_execnz .LBB16_3660
.LBB16_1610:
	s_or_b64 exec, exec, s[6:7]
	s_and_saveexec_b64 s[6:7], s[4:5]
	s_cbranch_execz .LBB16_1612
.LBB16_1611:
	v_bfe_u32 v10, v16, 8, 3
	v_ffbh_u32_e32 v15, v10
	v_min_u32_e32 v15, 32, v15
	v_lshrrev_b16_e32 v14, 3, v11
	v_subrev_u32_e32 v20, 28, v15
	v_and_b32_e32 v14, 15, v14
	v_lshlrev_b32_e32 v11, v20, v11
	v_sub_u32_e32 v15, 29, v15
	v_and_b32_e32 v11, 7, v11
	v_cmp_eq_u16_e32 vcc, 0, v14
	v_cndmask_b32_e32 v10, v10, v11, vcc
	v_cndmask_b32_e32 v11, v14, v15, vcc
	v_lshlrev_b32_e32 v14, 16, v16
	v_mov_b32_e32 v15, 0x3b800000
	v_lshlrev_b32_e32 v10, 20, v10
	v_and_b32_e32 v14, 0x80000000, v14
	v_lshl_add_u32 v11, v11, 23, v15
	v_or3_b32 v10, v14, v11, v10
.LBB16_1612:
	s_or_b64 exec, exec, s[6:7]
	v_lshrrev_b32_e32 v11, 8, v12
	s_movk_i32 s4, 0x7f
	v_cmp_gt_i16_sdwa s[6:7], v11, s4 src0_sel:BYTE_0 src1_sel:DWORD
	s_mov_b64 s[4:5], 0
                                        ; implicit-def: $sgpr10
	s_and_saveexec_b64 s[8:9], s[6:7]
	s_xor_b64 s[6:7], exec, s[8:9]
	s_cbranch_execnz .LBB16_3661
; %bb.1613:
	s_or_saveexec_b64 s[6:7], s[6:7]
	v_mov_b32_e32 v14, s10
	s_xor_b64 exec, exec, s[6:7]
	s_cbranch_execnz .LBB16_3664
.LBB16_1614:
	s_or_b64 exec, exec, s[6:7]
	s_and_saveexec_b64 s[6:7], s[4:5]
	s_cbranch_execz .LBB16_1616
.LBB16_1615:
	v_bfe_u32 v14, v12, 8, 3
	v_ffbh_u32_e32 v20, v14
	v_min_u32_e32 v20, 32, v20
	v_lshrrev_b16_e32 v15, 3, v11
	v_subrev_u32_e32 v21, 28, v20
	v_and_b32_e32 v15, 15, v15
	v_lshlrev_b32_e32 v11, v21, v11
	v_sub_u32_e32 v20, 29, v20
	v_and_b32_e32 v11, 7, v11
	v_cmp_eq_u16_e32 vcc, 0, v15
	v_cndmask_b32_e32 v11, v14, v11, vcc
	v_cndmask_b32_e32 v14, v15, v20, vcc
	v_lshlrev_b32_e32 v15, 16, v12
	v_mov_b32_e32 v20, 0x3b800000
	v_lshlrev_b32_e32 v11, 20, v11
	v_and_b32_e32 v15, 0x80000000, v15
	v_lshl_add_u32 v14, v14, 23, v20
	v_or3_b32 v14, v15, v14, v11
.LBB16_1616:
	s_or_b64 exec, exec, s[6:7]
	s_nop 0
	v_mfma_f32_16x16x4f32 a[0:3], v10, v14, a[0:3]
	s_movk_i32 s4, 0xff
	v_and_b32_sdwa v11, v16, s4 dst_sel:DWORD dst_unused:UNUSED_PAD src0_sel:WORD_1 src1_sel:DWORD
	s_movk_i32 s4, 0x7f
	v_cmp_lt_i16_e32 vcc, s4, v11
	s_mov_b64 s[4:5], 0
                                        ; implicit-def: $sgpr10
	s_and_saveexec_b64 s[6:7], vcc
	s_xor_b64 s[6:7], exec, s[6:7]
	s_cbranch_execnz .LBB16_3665
; %bb.1617:
	s_or_saveexec_b64 s[6:7], s[6:7]
	v_mov_b32_e32 v10, s10
	s_xor_b64 exec, exec, s[6:7]
	s_cbranch_execnz .LBB16_3668
.LBB16_1618:
	s_or_b64 exec, exec, s[6:7]
	s_and_saveexec_b64 s[6:7], s[4:5]
	s_cbranch_execz .LBB16_1620
.LBB16_1619:
	v_bfe_u32 v10, v16, 16, 3
	v_ffbh_u32_e32 v15, v10
	v_min_u32_e32 v15, 32, v15
	v_lshrrev_b32_e32 v11, 19, v16
	v_subrev_u32_e32 v20, 28, v15
	v_and_b32_e32 v11, 15, v11
	v_lshlrev_b32_sdwa v20, v20, v16 dst_sel:DWORD dst_unused:UNUSED_PAD src0_sel:DWORD src1_sel:WORD_1
	v_bfe_u32 v14, v16, 19, 4
	v_sub_u32_e32 v15, 29, v15
	v_and_b32_e32 v20, 7, v20
	v_cmp_eq_u16_e32 vcc, 0, v11
	v_cndmask_b32_e32 v10, v10, v20, vcc
	v_cndmask_b32_e32 v11, v14, v15, vcc
	v_lshlrev_b32_e32 v14, 8, v16
	v_mov_b32_e32 v15, 0x3b800000
	v_lshlrev_b32_e32 v10, 20, v10
	v_and_b32_e32 v14, 0x80000000, v14
	v_lshl_add_u32 v11, v11, 23, v15
	v_or3_b32 v10, v14, v11, v10
.LBB16_1620:
	s_or_b64 exec, exec, s[6:7]
	s_movk_i32 s4, 0xff
	v_and_b32_sdwa v11, v12, s4 dst_sel:DWORD dst_unused:UNUSED_PAD src0_sel:WORD_1 src1_sel:DWORD
	s_movk_i32 s4, 0x7f
	v_cmp_lt_i16_e32 vcc, s4, v11
	s_mov_b64 s[4:5], 0
                                        ; implicit-def: $sgpr10
	s_and_saveexec_b64 s[6:7], vcc
	s_xor_b64 s[6:7], exec, s[6:7]
	s_cbranch_execnz .LBB16_3669
; %bb.1621:
	s_or_saveexec_b64 s[6:7], s[6:7]
	v_mov_b32_e32 v14, s10
	s_xor_b64 exec, exec, s[6:7]
	s_cbranch_execnz .LBB16_3672
.LBB16_1622:
	s_or_b64 exec, exec, s[6:7]
	s_and_saveexec_b64 s[6:7], s[4:5]
	s_cbranch_execz .LBB16_1624
.LBB16_1623:
	v_bfe_u32 v11, v12, 16, 3
	v_ffbh_u32_e32 v20, v11
	v_min_u32_e32 v20, 32, v20
	v_lshrrev_b32_e32 v14, 19, v12
	v_subrev_u32_e32 v21, 28, v20
	v_and_b32_e32 v14, 15, v14
	v_lshlrev_b32_sdwa v21, v21, v12 dst_sel:DWORD dst_unused:UNUSED_PAD src0_sel:DWORD src1_sel:WORD_1
	v_bfe_u32 v15, v12, 19, 4
	v_sub_u32_e32 v20, 29, v20
	v_and_b32_e32 v21, 7, v21
	v_cmp_eq_u16_e32 vcc, 0, v14
	v_cndmask_b32_e32 v11, v11, v21, vcc
	v_cndmask_b32_e32 v14, v15, v20, vcc
	v_lshlrev_b32_e32 v15, 8, v12
	v_mov_b32_e32 v20, 0x3b800000
	v_lshlrev_b32_e32 v11, 20, v11
	v_and_b32_e32 v15, 0x80000000, v15
	v_lshl_add_u32 v14, v14, 23, v20
	v_or3_b32 v14, v15, v14, v11
.LBB16_1624:
	s_or_b64 exec, exec, s[6:7]
	s_nop 0
	v_mfma_f32_16x16x4f32 a[0:3], v10, v14, a[0:3]
	s_movk_i32 s4, 0x7f
	v_cmp_gt_i16_sdwa s[6:7], v16, s4 src0_sel:BYTE_3 src1_sel:DWORD
	s_mov_b64 s[4:5], 0
                                        ; implicit-def: $sgpr10
	s_and_saveexec_b64 s[8:9], s[6:7]
	s_xor_b64 s[6:7], exec, s[8:9]
	s_cbranch_execnz .LBB16_3673
; %bb.1625:
	s_or_saveexec_b64 s[6:7], s[6:7]
	v_mov_b32_e32 v10, s10
	s_xor_b64 exec, exec, s[6:7]
	s_cbranch_execnz .LBB16_3676
.LBB16_1626:
	s_or_b64 exec, exec, s[6:7]
	s_and_saveexec_b64 s[6:7], s[4:5]
	s_cbranch_execz .LBB16_1628
.LBB16_1627:
	v_bfe_u32 v10, v16, 24, 3
	v_ffbh_u32_e32 v20, v10
	v_min_u32_e32 v20, 32, v20
	v_lshrrev_b32_e32 v14, 27, v16
	v_subrev_u32_e32 v21, 28, v20
	v_and_b32_e32 v11, 0x80000000, v16
	v_and_b32_e32 v14, 15, v14
	v_bfe_u32 v15, v16, 27, 4
	v_lshlrev_b32_sdwa v16, v21, v16 dst_sel:DWORD dst_unused:UNUSED_PAD src0_sel:DWORD src1_sel:BYTE_3
	v_sub_u32_e32 v20, 29, v20
	v_and_b32_e32 v16, 7, v16
	v_cmp_eq_u16_e32 vcc, 0, v14
	v_cndmask_b32_e32 v10, v10, v16, vcc
	v_cndmask_b32_e32 v14, v15, v20, vcc
	v_mov_b32_e32 v15, 0x3b800000
	v_lshlrev_b32_e32 v10, 20, v10
	v_lshl_add_u32 v14, v14, 23, v15
	v_or3_b32 v10, v11, v14, v10
.LBB16_1628:
	s_or_b64 exec, exec, s[6:7]
	s_movk_i32 s4, 0x7f
	v_cmp_gt_i16_sdwa s[6:7], v12, s4 src0_sel:BYTE_3 src1_sel:DWORD
	s_mov_b64 s[4:5], 0
                                        ; implicit-def: $sgpr10
	s_and_saveexec_b64 s[8:9], s[6:7]
	s_xor_b64 s[6:7], exec, s[8:9]
	s_cbranch_execnz .LBB16_3677
; %bb.1629:
	s_or_saveexec_b64 s[6:7], s[6:7]
	v_mov_b32_e32 v11, s10
	s_xor_b64 exec, exec, s[6:7]
	s_cbranch_execnz .LBB16_3680
.LBB16_1630:
	s_or_b64 exec, exec, s[6:7]
	s_and_saveexec_b64 s[6:7], s[4:5]
	s_cbranch_execz .LBB16_1632
.LBB16_1631:
	v_bfe_u32 v11, v12, 24, 3
	v_ffbh_u32_e32 v20, v11
	v_min_u32_e32 v20, 32, v20
	v_lshrrev_b32_e32 v15, 27, v12
	v_subrev_u32_e32 v21, 28, v20
	v_and_b32_e32 v14, 0x80000000, v12
	v_and_b32_e32 v15, 15, v15
	v_bfe_u32 v16, v12, 27, 4
	v_lshlrev_b32_sdwa v12, v21, v12 dst_sel:DWORD dst_unused:UNUSED_PAD src0_sel:DWORD src1_sel:BYTE_3
	v_sub_u32_e32 v20, 29, v20
	v_and_b32_e32 v12, 7, v12
	v_cmp_eq_u16_e32 vcc, 0, v15
	v_cndmask_b32_e32 v11, v11, v12, vcc
	v_cndmask_b32_e32 v12, v16, v20, vcc
	v_mov_b32_e32 v15, 0x3b800000
	v_lshlrev_b32_e32 v11, 20, v11
	v_lshl_add_u32 v12, v12, 23, v15
	v_or3_b32 v11, v14, v12, v11
.LBB16_1632:
	s_or_b64 exec, exec, s[6:7]
	s_nop 0
	v_mfma_f32_16x16x4f32 a[0:3], v10, v11, a[0:3]
	s_movk_i32 s4, 0x7f
	v_cmp_gt_i16_sdwa s[6:7], v17, s4 src0_sel:BYTE_0 src1_sel:DWORD
	s_mov_b64 s[4:5], 0
                                        ; implicit-def: $sgpr10
	s_and_saveexec_b64 s[8:9], s[6:7]
	s_xor_b64 s[6:7], exec, s[8:9]
	s_cbranch_execnz .LBB16_3681
; %bb.1633:
	s_or_saveexec_b64 s[6:7], s[6:7]
	v_mov_b32_e32 v10, s10
	s_xor_b64 exec, exec, s[6:7]
	s_cbranch_execnz .LBB16_3684
.LBB16_1634:
	s_or_b64 exec, exec, s[6:7]
	s_and_saveexec_b64 s[6:7], s[4:5]
	s_cbranch_execz .LBB16_1636
.LBB16_1635:
	v_and_b32_e32 v10, 7, v17
	v_ffbh_u32_e32 v12, v10
	v_min_u32_e32 v12, 32, v12
	v_lshrrev_b16_e32 v11, 3, v17
	v_subrev_u32_e32 v14, 28, v12
	v_and_b32_e32 v11, 15, v11
	v_lshlrev_b32_e32 v14, v14, v17
	v_sub_u32_e32 v12, 29, v12
	v_and_b32_e32 v14, 7, v14
	v_cmp_eq_u16_e32 vcc, 0, v11
	v_cndmask_b32_e32 v10, v10, v14, vcc
	v_cndmask_b32_e32 v11, v11, v12, vcc
	v_lshlrev_b32_e32 v12, 24, v17
	v_mov_b32_e32 v14, 0x3b800000
	v_lshlrev_b32_e32 v10, 20, v10
	v_and_b32_e32 v12, 0x80000000, v12
	v_lshl_add_u32 v11, v11, 23, v14
	v_or3_b32 v10, v12, v11, v10
.LBB16_1636:
	s_or_b64 exec, exec, s[6:7]
	s_movk_i32 s4, 0x7f
	v_cmp_gt_i16_sdwa s[6:7], v13, s4 src0_sel:BYTE_0 src1_sel:DWORD
	s_mov_b64 s[4:5], 0
                                        ; implicit-def: $sgpr10
	s_and_saveexec_b64 s[8:9], s[6:7]
	s_xor_b64 s[6:7], exec, s[8:9]
	s_cbranch_execnz .LBB16_3685
; %bb.1637:
	s_or_saveexec_b64 s[6:7], s[6:7]
	v_mov_b32_e32 v11, s10
	s_xor_b64 exec, exec, s[6:7]
	s_cbranch_execnz .LBB16_3688
.LBB16_1638:
	s_or_b64 exec, exec, s[6:7]
	s_and_saveexec_b64 s[6:7], s[4:5]
	s_cbranch_execz .LBB16_1640
.LBB16_1639:
	v_and_b32_e32 v11, 7, v13
	v_ffbh_u32_e32 v14, v11
	v_min_u32_e32 v14, 32, v14
	v_lshrrev_b16_e32 v12, 3, v13
	v_subrev_u32_e32 v15, 28, v14
	v_and_b32_e32 v12, 15, v12
	v_lshlrev_b32_e32 v15, v15, v13
	v_sub_u32_e32 v14, 29, v14
	v_and_b32_e32 v15, 7, v15
	v_cmp_eq_u16_e32 vcc, 0, v12
	v_cndmask_b32_e32 v11, v11, v15, vcc
	v_cndmask_b32_e32 v12, v12, v14, vcc
	v_lshlrev_b32_e32 v14, 24, v13
	v_mov_b32_e32 v15, 0x3b800000
	v_lshlrev_b32_e32 v11, 20, v11
	v_and_b32_e32 v14, 0x80000000, v14
	v_lshl_add_u32 v12, v12, 23, v15
	v_or3_b32 v11, v14, v12, v11
.LBB16_1640:
	s_or_b64 exec, exec, s[6:7]
	s_nop 0
	v_mfma_f32_16x16x4f32 a[0:3], v10, v11, a[0:3]
	v_lshrrev_b32_e32 v11, 8, v17
	s_movk_i32 s4, 0x7f
	v_cmp_gt_i16_sdwa s[6:7], v11, s4 src0_sel:BYTE_0 src1_sel:DWORD
	s_mov_b64 s[4:5], 0
                                        ; implicit-def: $sgpr10
	s_and_saveexec_b64 s[8:9], s[6:7]
	s_xor_b64 s[6:7], exec, s[8:9]
	s_cbranch_execnz .LBB16_3689
; %bb.1641:
	s_or_saveexec_b64 s[6:7], s[6:7]
	v_mov_b32_e32 v10, s10
	s_xor_b64 exec, exec, s[6:7]
	s_cbranch_execnz .LBB16_3692
.LBB16_1642:
	s_or_b64 exec, exec, s[6:7]
	s_and_saveexec_b64 s[6:7], s[4:5]
	s_cbranch_execz .LBB16_1644
.LBB16_1643:
	v_bfe_u32 v10, v17, 8, 3
	v_ffbh_u32_e32 v14, v10
	v_min_u32_e32 v14, 32, v14
	v_lshrrev_b16_e32 v12, 3, v11
	v_subrev_u32_e32 v15, 28, v14
	v_and_b32_e32 v12, 15, v12
	v_lshlrev_b32_e32 v11, v15, v11
	v_sub_u32_e32 v14, 29, v14
	v_and_b32_e32 v11, 7, v11
	v_cmp_eq_u16_e32 vcc, 0, v12
	v_cndmask_b32_e32 v10, v10, v11, vcc
	v_cndmask_b32_e32 v11, v12, v14, vcc
	v_lshlrev_b32_e32 v12, 16, v17
	v_mov_b32_e32 v14, 0x3b800000
	v_lshlrev_b32_e32 v10, 20, v10
	v_and_b32_e32 v12, 0x80000000, v12
	v_lshl_add_u32 v11, v11, 23, v14
	v_or3_b32 v10, v12, v11, v10
.LBB16_1644:
	s_or_b64 exec, exec, s[6:7]
	v_lshrrev_b32_e32 v11, 8, v13
	s_movk_i32 s4, 0x7f
	v_cmp_gt_i16_sdwa s[6:7], v11, s4 src0_sel:BYTE_0 src1_sel:DWORD
	s_mov_b64 s[4:5], 0
                                        ; implicit-def: $sgpr10
	s_and_saveexec_b64 s[8:9], s[6:7]
	s_xor_b64 s[6:7], exec, s[8:9]
	s_cbranch_execnz .LBB16_3693
; %bb.1645:
	s_or_saveexec_b64 s[6:7], s[6:7]
	v_mov_b32_e32 v12, s10
	s_xor_b64 exec, exec, s[6:7]
	s_cbranch_execnz .LBB16_3696
.LBB16_1646:
	s_or_b64 exec, exec, s[6:7]
	s_and_saveexec_b64 s[6:7], s[4:5]
	s_cbranch_execz .LBB16_1648
.LBB16_1647:
	v_bfe_u32 v12, v13, 8, 3
	v_ffbh_u32_e32 v15, v12
	v_min_u32_e32 v15, 32, v15
	v_lshrrev_b16_e32 v14, 3, v11
	v_subrev_u32_e32 v16, 28, v15
	v_and_b32_e32 v14, 15, v14
	v_lshlrev_b32_e32 v11, v16, v11
	v_sub_u32_e32 v15, 29, v15
	v_and_b32_e32 v11, 7, v11
	v_cmp_eq_u16_e32 vcc, 0, v14
	v_cndmask_b32_e32 v11, v12, v11, vcc
	v_cndmask_b32_e32 v12, v14, v15, vcc
	v_lshlrev_b32_e32 v14, 16, v13
	v_mov_b32_e32 v15, 0x3b800000
	v_lshlrev_b32_e32 v11, 20, v11
	v_and_b32_e32 v14, 0x80000000, v14
	v_lshl_add_u32 v12, v12, 23, v15
	v_or3_b32 v12, v14, v12, v11
.LBB16_1648:
	s_or_b64 exec, exec, s[6:7]
	s_nop 0
	v_mfma_f32_16x16x4f32 a[0:3], v10, v12, a[0:3]
	s_movk_i32 s4, 0xff
	v_and_b32_sdwa v11, v17, s4 dst_sel:DWORD dst_unused:UNUSED_PAD src0_sel:WORD_1 src1_sel:DWORD
	s_movk_i32 s4, 0x7f
	v_cmp_lt_i16_e32 vcc, s4, v11
	s_mov_b64 s[4:5], 0
                                        ; implicit-def: $sgpr10
	s_and_saveexec_b64 s[6:7], vcc
	s_xor_b64 s[6:7], exec, s[6:7]
	s_cbranch_execnz .LBB16_3697
; %bb.1649:
	s_or_saveexec_b64 s[6:7], s[6:7]
	v_mov_b32_e32 v10, s10
	s_xor_b64 exec, exec, s[6:7]
	s_cbranch_execnz .LBB16_3700
.LBB16_1650:
	s_or_b64 exec, exec, s[6:7]
	s_and_saveexec_b64 s[6:7], s[4:5]
	s_cbranch_execz .LBB16_1652
.LBB16_1651:
	v_bfe_u32 v10, v17, 16, 3
	v_ffbh_u32_e32 v14, v10
	v_min_u32_e32 v14, 32, v14
	v_lshrrev_b32_e32 v11, 19, v17
	v_subrev_u32_e32 v15, 28, v14
	v_and_b32_e32 v11, 15, v11
	v_lshlrev_b32_sdwa v15, v15, v17 dst_sel:DWORD dst_unused:UNUSED_PAD src0_sel:DWORD src1_sel:WORD_1
	v_bfe_u32 v12, v17, 19, 4
	v_sub_u32_e32 v14, 29, v14
	v_and_b32_e32 v15, 7, v15
	v_cmp_eq_u16_e32 vcc, 0, v11
	v_cndmask_b32_e32 v10, v10, v15, vcc
	v_cndmask_b32_e32 v11, v12, v14, vcc
	v_lshlrev_b32_e32 v12, 8, v17
	v_mov_b32_e32 v14, 0x3b800000
	v_lshlrev_b32_e32 v10, 20, v10
	v_and_b32_e32 v12, 0x80000000, v12
	v_lshl_add_u32 v11, v11, 23, v14
	v_or3_b32 v10, v12, v11, v10
.LBB16_1652:
	s_or_b64 exec, exec, s[6:7]
	s_movk_i32 s4, 0xff
	v_and_b32_sdwa v11, v13, s4 dst_sel:DWORD dst_unused:UNUSED_PAD src0_sel:WORD_1 src1_sel:DWORD
	s_movk_i32 s4, 0x7f
	v_cmp_lt_i16_e32 vcc, s4, v11
	s_mov_b64 s[4:5], 0
                                        ; implicit-def: $sgpr10
	s_and_saveexec_b64 s[6:7], vcc
	s_xor_b64 s[6:7], exec, s[6:7]
	s_cbranch_execnz .LBB16_3701
; %bb.1653:
	s_or_saveexec_b64 s[6:7], s[6:7]
	v_mov_b32_e32 v12, s10
	s_xor_b64 exec, exec, s[6:7]
	s_cbranch_execnz .LBB16_3704
.LBB16_1654:
	s_or_b64 exec, exec, s[6:7]
	s_and_saveexec_b64 s[6:7], s[4:5]
	s_cbranch_execz .LBB16_1656
.LBB16_1655:
	v_bfe_u32 v11, v13, 16, 3
	v_ffbh_u32_e32 v15, v11
	v_min_u32_e32 v15, 32, v15
	v_lshrrev_b32_e32 v12, 19, v13
	v_subrev_u32_e32 v16, 28, v15
	v_and_b32_e32 v12, 15, v12
	v_lshlrev_b32_sdwa v16, v16, v13 dst_sel:DWORD dst_unused:UNUSED_PAD src0_sel:DWORD src1_sel:WORD_1
	v_bfe_u32 v14, v13, 19, 4
	v_sub_u32_e32 v15, 29, v15
	v_and_b32_e32 v16, 7, v16
	v_cmp_eq_u16_e32 vcc, 0, v12
	v_cndmask_b32_e32 v11, v11, v16, vcc
	v_cndmask_b32_e32 v12, v14, v15, vcc
	v_lshlrev_b32_e32 v14, 8, v13
	v_mov_b32_e32 v15, 0x3b800000
	v_lshlrev_b32_e32 v11, 20, v11
	v_and_b32_e32 v14, 0x80000000, v14
	v_lshl_add_u32 v12, v12, 23, v15
	v_or3_b32 v12, v14, v12, v11
.LBB16_1656:
	s_or_b64 exec, exec, s[6:7]
	s_nop 0
	v_mfma_f32_16x16x4f32 a[0:3], v10, v12, a[0:3]
	s_movk_i32 s4, 0x7f
	v_cmp_gt_i16_sdwa s[6:7], v17, s4 src0_sel:BYTE_3 src1_sel:DWORD
	s_mov_b64 s[4:5], 0
                                        ; implicit-def: $sgpr10
	s_and_saveexec_b64 s[8:9], s[6:7]
	s_xor_b64 s[6:7], exec, s[8:9]
	s_cbranch_execnz .LBB16_3705
; %bb.1657:
	s_or_saveexec_b64 s[6:7], s[6:7]
	v_mov_b32_e32 v10, s10
	s_xor_b64 exec, exec, s[6:7]
	s_cbranch_execnz .LBB16_3708
.LBB16_1658:
	s_or_b64 exec, exec, s[6:7]
	s_and_saveexec_b64 s[6:7], s[4:5]
	s_cbranch_execz .LBB16_1660
.LBB16_1659:
	v_bfe_u32 v10, v17, 24, 3
	v_ffbh_u32_e32 v15, v10
	v_min_u32_e32 v15, 32, v15
	v_lshrrev_b32_e32 v12, 27, v17
	v_subrev_u32_e32 v16, 28, v15
	v_and_b32_e32 v12, 15, v12
	v_lshlrev_b32_sdwa v16, v16, v17 dst_sel:DWORD dst_unused:UNUSED_PAD src0_sel:DWORD src1_sel:BYTE_3
	v_bfe_u32 v14, v17, 27, 4
	v_sub_u32_e32 v15, 29, v15
	v_and_b32_e32 v16, 7, v16
	v_cmp_eq_u16_e32 vcc, 0, v12
	v_cndmask_b32_e32 v10, v10, v16, vcc
	v_cndmask_b32_e32 v12, v14, v15, vcc
	v_mov_b32_e32 v14, 0x3b800000
	v_and_b32_e32 v11, 0x80000000, v17
	v_lshlrev_b32_e32 v10, 20, v10
	v_lshl_add_u32 v12, v12, 23, v14
	v_or3_b32 v10, v11, v12, v10
.LBB16_1660:
	s_or_b64 exec, exec, s[6:7]
	s_movk_i32 s4, 0x7f
	v_cmp_gt_i16_sdwa s[6:7], v13, s4 src0_sel:BYTE_3 src1_sel:DWORD
	s_mov_b64 s[4:5], 0
                                        ; implicit-def: $sgpr10
	s_and_saveexec_b64 s[8:9], s[6:7]
	s_xor_b64 s[6:7], exec, s[8:9]
	s_cbranch_execnz .LBB16_3709
; %bb.1661:
	s_or_saveexec_b64 s[6:7], s[6:7]
	v_mov_b32_e32 v11, s10
	s_xor_b64 exec, exec, s[6:7]
	s_cbranch_execnz .LBB16_3712
.LBB16_1662:
	s_or_b64 exec, exec, s[6:7]
	s_and_saveexec_b64 s[6:7], s[4:5]
	s_cbranch_execz .LBB16_1664
.LBB16_1663:
	v_bfe_u32 v11, v13, 24, 3
	v_ffbh_u32_e32 v16, v11
	v_min_u32_e32 v16, 32, v16
	v_lshrrev_b32_e32 v14, 27, v13
	v_subrev_u32_e32 v17, 28, v16
	v_and_b32_e32 v12, 0x80000000, v13
	v_and_b32_e32 v14, 15, v14
	v_bfe_u32 v15, v13, 27, 4
	v_lshlrev_b32_sdwa v13, v17, v13 dst_sel:DWORD dst_unused:UNUSED_PAD src0_sel:DWORD src1_sel:BYTE_3
	v_sub_u32_e32 v16, 29, v16
	v_and_b32_e32 v13, 7, v13
	v_cmp_eq_u16_e32 vcc, 0, v14
	v_cndmask_b32_e32 v11, v11, v13, vcc
	v_cndmask_b32_e32 v13, v15, v16, vcc
	v_mov_b32_e32 v14, 0x3b800000
	v_lshlrev_b32_e32 v11, 20, v11
	v_lshl_add_u32 v13, v13, 23, v14
	v_or3_b32 v11, v12, v13, v11
.LBB16_1664:
	s_or_b64 exec, exec, s[6:7]
	s_nop 0
	v_mfma_f32_16x16x4f32 a[0:3], v10, v11, a[0:3]
	s_movk_i32 s4, 0x7f
	v_cmp_gt_i16_sdwa s[6:7], v6, s4 src0_sel:BYTE_0 src1_sel:DWORD
	s_mov_b64 s[4:5], 0
                                        ; implicit-def: $sgpr10
	s_and_saveexec_b64 s[8:9], s[6:7]
	s_xor_b64 s[6:7], exec, s[8:9]
	s_cbranch_execnz .LBB16_3713
; %bb.1665:
	s_or_saveexec_b64 s[6:7], s[6:7]
	v_mov_b32_e32 v10, s10
	s_xor_b64 exec, exec, s[6:7]
	s_cbranch_execnz .LBB16_3716
.LBB16_1666:
	s_or_b64 exec, exec, s[6:7]
	s_and_saveexec_b64 s[6:7], s[4:5]
	s_cbranch_execz .LBB16_1668
.LBB16_1667:
	v_and_b32_e32 v10, 7, v6
	v_ffbh_u32_e32 v12, v10
	v_min_u32_e32 v12, 32, v12
	v_lshrrev_b16_e32 v11, 3, v6
	v_subrev_u32_e32 v13, 28, v12
	v_and_b32_e32 v11, 15, v11
	v_lshlrev_b32_e32 v13, v13, v6
	v_sub_u32_e32 v12, 29, v12
	v_and_b32_e32 v13, 7, v13
	v_cmp_eq_u16_e32 vcc, 0, v11
	v_cndmask_b32_e32 v10, v10, v13, vcc
	v_cndmask_b32_e32 v11, v11, v12, vcc
	v_lshlrev_b32_e32 v12, 24, v6
	v_mov_b32_e32 v13, 0x3b800000
	v_lshlrev_b32_e32 v10, 20, v10
	v_and_b32_e32 v12, 0x80000000, v12
	v_lshl_add_u32 v11, v11, 23, v13
	v_or3_b32 v10, v12, v11, v10
.LBB16_1668:
	s_or_b64 exec, exec, s[6:7]
	s_movk_i32 s4, 0x7f
	v_cmp_gt_i16_sdwa s[6:7], v2, s4 src0_sel:BYTE_0 src1_sel:DWORD
	s_mov_b64 s[4:5], 0
                                        ; implicit-def: $sgpr10
	s_and_saveexec_b64 s[8:9], s[6:7]
	s_xor_b64 s[6:7], exec, s[8:9]
	s_cbranch_execnz .LBB16_3717
; %bb.1669:
	s_or_saveexec_b64 s[6:7], s[6:7]
	v_mov_b32_e32 v11, s10
	s_xor_b64 exec, exec, s[6:7]
	s_cbranch_execnz .LBB16_3720
.LBB16_1670:
	s_or_b64 exec, exec, s[6:7]
	s_and_saveexec_b64 s[6:7], s[4:5]
	s_cbranch_execz .LBB16_1672
.LBB16_1671:
	v_and_b32_e32 v11, 7, v2
	v_ffbh_u32_e32 v13, v11
	v_min_u32_e32 v13, 32, v13
	v_lshrrev_b16_e32 v12, 3, v2
	v_subrev_u32_e32 v14, 28, v13
	v_and_b32_e32 v12, 15, v12
	v_lshlrev_b32_e32 v14, v14, v2
	v_sub_u32_e32 v13, 29, v13
	v_and_b32_e32 v14, 7, v14
	v_cmp_eq_u16_e32 vcc, 0, v12
	v_cndmask_b32_e32 v11, v11, v14, vcc
	v_cndmask_b32_e32 v12, v12, v13, vcc
	v_lshlrev_b32_e32 v13, 24, v2
	v_mov_b32_e32 v14, 0x3b800000
	v_lshlrev_b32_e32 v11, 20, v11
	v_and_b32_e32 v13, 0x80000000, v13
	v_lshl_add_u32 v12, v12, 23, v14
	v_or3_b32 v11, v13, v12, v11
.LBB16_1672:
	s_or_b64 exec, exec, s[6:7]
	s_nop 0
	v_mfma_f32_16x16x4f32 a[0:3], v10, v11, a[0:3]
	v_lshrrev_b32_e32 v11, 8, v6
	s_movk_i32 s4, 0x7f
	v_cmp_gt_i16_sdwa s[6:7], v11, s4 src0_sel:BYTE_0 src1_sel:DWORD
	s_mov_b64 s[4:5], 0
                                        ; implicit-def: $sgpr10
	s_and_saveexec_b64 s[8:9], s[6:7]
	s_xor_b64 s[6:7], exec, s[8:9]
	s_cbranch_execnz .LBB16_3721
; %bb.1673:
	s_or_saveexec_b64 s[6:7], s[6:7]
	v_mov_b32_e32 v10, s10
	s_xor_b64 exec, exec, s[6:7]
	s_cbranch_execnz .LBB16_3724
.LBB16_1674:
	s_or_b64 exec, exec, s[6:7]
	s_and_saveexec_b64 s[6:7], s[4:5]
	s_cbranch_execz .LBB16_1676
.LBB16_1675:
	v_bfe_u32 v10, v6, 8, 3
	v_ffbh_u32_e32 v13, v10
	v_min_u32_e32 v13, 32, v13
	v_lshrrev_b16_e32 v12, 3, v11
	v_subrev_u32_e32 v14, 28, v13
	v_and_b32_e32 v12, 15, v12
	v_lshlrev_b32_e32 v11, v14, v11
	v_sub_u32_e32 v13, 29, v13
	v_and_b32_e32 v11, 7, v11
	v_cmp_eq_u16_e32 vcc, 0, v12
	v_cndmask_b32_e32 v10, v10, v11, vcc
	v_cndmask_b32_e32 v11, v12, v13, vcc
	v_lshlrev_b32_e32 v12, 16, v6
	v_mov_b32_e32 v13, 0x3b800000
	v_lshlrev_b32_e32 v10, 20, v10
	v_and_b32_e32 v12, 0x80000000, v12
	v_lshl_add_u32 v11, v11, 23, v13
	v_or3_b32 v10, v12, v11, v10
.LBB16_1676:
	s_or_b64 exec, exec, s[6:7]
	v_lshrrev_b32_e32 v11, 8, v2
	s_movk_i32 s4, 0x7f
	v_cmp_gt_i16_sdwa s[6:7], v11, s4 src0_sel:BYTE_0 src1_sel:DWORD
	s_mov_b64 s[4:5], 0
                                        ; implicit-def: $sgpr10
	s_and_saveexec_b64 s[8:9], s[6:7]
	s_xor_b64 s[6:7], exec, s[8:9]
	s_cbranch_execnz .LBB16_3725
; %bb.1677:
	s_or_saveexec_b64 s[6:7], s[6:7]
	v_mov_b32_e32 v12, s10
	s_xor_b64 exec, exec, s[6:7]
	s_cbranch_execnz .LBB16_3728
.LBB16_1678:
	s_or_b64 exec, exec, s[6:7]
	s_and_saveexec_b64 s[6:7], s[4:5]
	s_cbranch_execz .LBB16_1680
.LBB16_1679:
	v_bfe_u32 v12, v2, 8, 3
	v_ffbh_u32_e32 v14, v12
	v_min_u32_e32 v14, 32, v14
	v_lshrrev_b16_e32 v13, 3, v11
	v_subrev_u32_e32 v15, 28, v14
	v_and_b32_e32 v13, 15, v13
	v_lshlrev_b32_e32 v11, v15, v11
	v_sub_u32_e32 v14, 29, v14
	v_and_b32_e32 v11, 7, v11
	v_cmp_eq_u16_e32 vcc, 0, v13
	v_cndmask_b32_e32 v11, v12, v11, vcc
	v_cndmask_b32_e32 v12, v13, v14, vcc
	v_lshlrev_b32_e32 v13, 16, v2
	v_mov_b32_e32 v14, 0x3b800000
	v_lshlrev_b32_e32 v11, 20, v11
	v_and_b32_e32 v13, 0x80000000, v13
	v_lshl_add_u32 v12, v12, 23, v14
	v_or3_b32 v12, v13, v12, v11
.LBB16_1680:
	s_or_b64 exec, exec, s[6:7]
	s_nop 0
	v_mfma_f32_16x16x4f32 a[0:3], v10, v12, a[0:3]
	s_movk_i32 s4, 0xff
	v_and_b32_sdwa v11, v6, s4 dst_sel:DWORD dst_unused:UNUSED_PAD src0_sel:WORD_1 src1_sel:DWORD
	s_movk_i32 s4, 0x7f
	v_cmp_lt_i16_e32 vcc, s4, v11
	s_mov_b64 s[4:5], 0
                                        ; implicit-def: $sgpr10
	s_and_saveexec_b64 s[6:7], vcc
	s_xor_b64 s[6:7], exec, s[6:7]
	s_cbranch_execnz .LBB16_3729
; %bb.1681:
	s_or_saveexec_b64 s[6:7], s[6:7]
	v_mov_b32_e32 v10, s10
	s_xor_b64 exec, exec, s[6:7]
	s_cbranch_execnz .LBB16_3732
.LBB16_1682:
	s_or_b64 exec, exec, s[6:7]
	s_and_saveexec_b64 s[6:7], s[4:5]
	s_cbranch_execz .LBB16_1684
.LBB16_1683:
	v_bfe_u32 v10, v6, 16, 3
	v_ffbh_u32_e32 v13, v10
	v_min_u32_e32 v13, 32, v13
	v_lshrrev_b32_e32 v11, 19, v6
	v_subrev_u32_e32 v14, 28, v13
	v_and_b32_e32 v11, 15, v11
	v_lshlrev_b32_sdwa v14, v14, v6 dst_sel:DWORD dst_unused:UNUSED_PAD src0_sel:DWORD src1_sel:WORD_1
	v_bfe_u32 v12, v6, 19, 4
	v_sub_u32_e32 v13, 29, v13
	v_and_b32_e32 v14, 7, v14
	v_cmp_eq_u16_e32 vcc, 0, v11
	v_cndmask_b32_e32 v10, v10, v14, vcc
	v_cndmask_b32_e32 v11, v12, v13, vcc
	v_lshlrev_b32_e32 v12, 8, v6
	v_mov_b32_e32 v13, 0x3b800000
	v_lshlrev_b32_e32 v10, 20, v10
	v_and_b32_e32 v12, 0x80000000, v12
	v_lshl_add_u32 v11, v11, 23, v13
	v_or3_b32 v10, v12, v11, v10
.LBB16_1684:
	s_or_b64 exec, exec, s[6:7]
	s_movk_i32 s4, 0xff
	v_and_b32_sdwa v11, v2, s4 dst_sel:DWORD dst_unused:UNUSED_PAD src0_sel:WORD_1 src1_sel:DWORD
	s_movk_i32 s4, 0x7f
	v_cmp_lt_i16_e32 vcc, s4, v11
	s_mov_b64 s[4:5], 0
                                        ; implicit-def: $sgpr10
	s_and_saveexec_b64 s[6:7], vcc
	s_xor_b64 s[6:7], exec, s[6:7]
	s_cbranch_execnz .LBB16_3733
; %bb.1685:
	s_or_saveexec_b64 s[6:7], s[6:7]
	v_mov_b32_e32 v12, s10
	s_xor_b64 exec, exec, s[6:7]
	s_cbranch_execnz .LBB16_3736
.LBB16_1686:
	s_or_b64 exec, exec, s[6:7]
	s_and_saveexec_b64 s[6:7], s[4:5]
	s_cbranch_execz .LBB16_1688
.LBB16_1687:
	v_bfe_u32 v11, v2, 16, 3
	v_ffbh_u32_e32 v14, v11
	v_min_u32_e32 v14, 32, v14
	v_lshrrev_b32_e32 v12, 19, v2
	v_subrev_u32_e32 v15, 28, v14
	v_and_b32_e32 v12, 15, v12
	v_lshlrev_b32_sdwa v15, v15, v2 dst_sel:DWORD dst_unused:UNUSED_PAD src0_sel:DWORD src1_sel:WORD_1
	v_bfe_u32 v13, v2, 19, 4
	v_sub_u32_e32 v14, 29, v14
	v_and_b32_e32 v15, 7, v15
	v_cmp_eq_u16_e32 vcc, 0, v12
	v_cndmask_b32_e32 v11, v11, v15, vcc
	v_cndmask_b32_e32 v12, v13, v14, vcc
	v_lshlrev_b32_e32 v13, 8, v2
	v_mov_b32_e32 v14, 0x3b800000
	v_lshlrev_b32_e32 v11, 20, v11
	v_and_b32_e32 v13, 0x80000000, v13
	v_lshl_add_u32 v12, v12, 23, v14
	v_or3_b32 v12, v13, v12, v11
.LBB16_1688:
	s_or_b64 exec, exec, s[6:7]
	s_nop 0
	v_mfma_f32_16x16x4f32 a[0:3], v10, v12, a[0:3]
	s_movk_i32 s4, 0x7f
	v_cmp_gt_i16_sdwa s[6:7], v6, s4 src0_sel:BYTE_3 src1_sel:DWORD
	s_mov_b64 s[4:5], 0
                                        ; implicit-def: $sgpr10
	s_and_saveexec_b64 s[8:9], s[6:7]
	s_xor_b64 s[6:7], exec, s[8:9]
	s_cbranch_execnz .LBB16_3737
; %bb.1689:
	s_or_saveexec_b64 s[6:7], s[6:7]
	v_mov_b32_e32 v10, s10
	s_xor_b64 exec, exec, s[6:7]
	s_cbranch_execnz .LBB16_3740
.LBB16_1690:
	s_or_b64 exec, exec, s[6:7]
	s_and_saveexec_b64 s[6:7], s[4:5]
	s_cbranch_execz .LBB16_1692
.LBB16_1691:
	v_bfe_u32 v10, v6, 24, 3
	v_ffbh_u32_e32 v14, v10
	v_min_u32_e32 v14, 32, v14
	v_lshrrev_b32_e32 v12, 27, v6
	v_subrev_u32_e32 v15, 28, v14
	v_and_b32_e32 v11, 0x80000000, v6
	v_and_b32_e32 v12, 15, v12
	v_bfe_u32 v13, v6, 27, 4
	v_lshlrev_b32_sdwa v6, v15, v6 dst_sel:DWORD dst_unused:UNUSED_PAD src0_sel:DWORD src1_sel:BYTE_3
	v_sub_u32_e32 v14, 29, v14
	v_and_b32_e32 v6, 7, v6
	v_cmp_eq_u16_e32 vcc, 0, v12
	v_cndmask_b32_e32 v6, v10, v6, vcc
	v_cndmask_b32_e32 v10, v13, v14, vcc
	v_mov_b32_e32 v12, 0x3b800000
	v_lshlrev_b32_e32 v6, 20, v6
	v_lshl_add_u32 v10, v10, 23, v12
	v_or3_b32 v10, v11, v10, v6
.LBB16_1692:
	s_or_b64 exec, exec, s[6:7]
	s_movk_i32 s4, 0x7f
	v_cmp_gt_i16_sdwa s[6:7], v2, s4 src0_sel:BYTE_3 src1_sel:DWORD
	s_mov_b64 s[4:5], 0
                                        ; implicit-def: $sgpr10
	s_and_saveexec_b64 s[8:9], s[6:7]
	s_xor_b64 s[6:7], exec, s[8:9]
	s_cbranch_execnz .LBB16_3741
; %bb.1693:
	s_or_saveexec_b64 s[6:7], s[6:7]
	v_mov_b32_e32 v6, s10
	s_xor_b64 exec, exec, s[6:7]
	s_cbranch_execnz .LBB16_3744
.LBB16_1694:
	s_or_b64 exec, exec, s[6:7]
	s_and_saveexec_b64 s[6:7], s[4:5]
	s_cbranch_execz .LBB16_1696
.LBB16_1695:
	v_bfe_u32 v6, v2, 24, 3
	v_ffbh_u32_e32 v14, v6
	v_min_u32_e32 v14, 32, v14
	v_lshrrev_b32_e32 v12, 27, v2
	v_subrev_u32_e32 v15, 28, v14
	v_and_b32_e32 v11, 0x80000000, v2
	v_and_b32_e32 v12, 15, v12
	v_bfe_u32 v13, v2, 27, 4
	v_lshlrev_b32_sdwa v2, v15, v2 dst_sel:DWORD dst_unused:UNUSED_PAD src0_sel:DWORD src1_sel:BYTE_3
	v_sub_u32_e32 v14, 29, v14
	v_and_b32_e32 v2, 7, v2
	v_cmp_eq_u16_e32 vcc, 0, v12
	v_cndmask_b32_e32 v2, v6, v2, vcc
	v_cndmask_b32_e32 v6, v13, v14, vcc
	v_mov_b32_e32 v12, 0x3b800000
	v_lshlrev_b32_e32 v2, 20, v2
	v_lshl_add_u32 v6, v6, 23, v12
	v_or3_b32 v6, v11, v6, v2
.LBB16_1696:
	s_or_b64 exec, exec, s[6:7]
	s_nop 0
	v_mfma_f32_16x16x4f32 a[0:3], v10, v6, a[0:3]
	s_movk_i32 s4, 0x7f
	v_cmp_gt_i16_sdwa s[6:7], v7, s4 src0_sel:BYTE_0 src1_sel:DWORD
	s_mov_b64 s[4:5], 0
                                        ; implicit-def: $sgpr10
	s_and_saveexec_b64 s[8:9], s[6:7]
	s_xor_b64 s[6:7], exec, s[8:9]
	s_cbranch_execnz .LBB16_3745
; %bb.1697:
	s_or_saveexec_b64 s[6:7], s[6:7]
	v_mov_b32_e32 v2, s10
	s_xor_b64 exec, exec, s[6:7]
	s_cbranch_execnz .LBB16_3748
.LBB16_1698:
	s_or_b64 exec, exec, s[6:7]
	s_and_saveexec_b64 s[6:7], s[4:5]
	s_cbranch_execz .LBB16_1700
.LBB16_1699:
	v_and_b32_e32 v2, 7, v7
	v_ffbh_u32_e32 v10, v2
	v_min_u32_e32 v10, 32, v10
	v_lshrrev_b16_e32 v6, 3, v7
	v_subrev_u32_e32 v11, 28, v10
	v_and_b32_e32 v6, 15, v6
	v_lshlrev_b32_e32 v11, v11, v7
	v_sub_u32_e32 v10, 29, v10
	v_and_b32_e32 v11, 7, v11
	v_cmp_eq_u16_e32 vcc, 0, v6
	v_cndmask_b32_e32 v2, v2, v11, vcc
	v_cndmask_b32_e32 v6, v6, v10, vcc
	v_lshlrev_b32_e32 v10, 24, v7
	v_mov_b32_e32 v11, 0x3b800000
	v_lshlrev_b32_e32 v2, 20, v2
	v_and_b32_e32 v10, 0x80000000, v10
	v_lshl_add_u32 v6, v6, 23, v11
	v_or3_b32 v2, v10, v6, v2
.LBB16_1700:
	s_or_b64 exec, exec, s[6:7]
	s_movk_i32 s4, 0x7f
	v_cmp_gt_i16_sdwa s[6:7], v3, s4 src0_sel:BYTE_0 src1_sel:DWORD
	s_mov_b64 s[4:5], 0
                                        ; implicit-def: $sgpr10
	s_and_saveexec_b64 s[8:9], s[6:7]
	s_xor_b64 s[6:7], exec, s[8:9]
	s_cbranch_execnz .LBB16_3749
; %bb.1701:
	s_or_saveexec_b64 s[6:7], s[6:7]
	v_mov_b32_e32 v6, s10
	s_xor_b64 exec, exec, s[6:7]
	s_cbranch_execnz .LBB16_3752
.LBB16_1702:
	s_or_b64 exec, exec, s[6:7]
	s_and_saveexec_b64 s[6:7], s[4:5]
	s_cbranch_execz .LBB16_1704
.LBB16_1703:
	v_and_b32_e32 v6, 7, v3
	v_ffbh_u32_e32 v11, v6
	v_min_u32_e32 v11, 32, v11
	v_lshrrev_b16_e32 v10, 3, v3
	v_subrev_u32_e32 v12, 28, v11
	v_and_b32_e32 v10, 15, v10
	v_lshlrev_b32_e32 v12, v12, v3
	v_sub_u32_e32 v11, 29, v11
	v_and_b32_e32 v12, 7, v12
	v_cmp_eq_u16_e32 vcc, 0, v10
	v_cndmask_b32_e32 v6, v6, v12, vcc
	v_cndmask_b32_e32 v10, v10, v11, vcc
	v_lshlrev_b32_e32 v11, 24, v3
	v_mov_b32_e32 v12, 0x3b800000
	v_lshlrev_b32_e32 v6, 20, v6
	v_and_b32_e32 v11, 0x80000000, v11
	v_lshl_add_u32 v10, v10, 23, v12
	v_or3_b32 v6, v11, v10, v6
.LBB16_1704:
	s_or_b64 exec, exec, s[6:7]
	s_nop 0
	v_mfma_f32_16x16x4f32 a[0:3], v2, v6, a[0:3]
	v_lshrrev_b32_e32 v6, 8, v7
	s_movk_i32 s4, 0x7f
	v_cmp_gt_i16_sdwa s[6:7], v6, s4 src0_sel:BYTE_0 src1_sel:DWORD
	s_mov_b64 s[4:5], 0
                                        ; implicit-def: $sgpr10
	s_and_saveexec_b64 s[8:9], s[6:7]
	s_xor_b64 s[6:7], exec, s[8:9]
	s_cbranch_execnz .LBB16_3753
; %bb.1705:
	s_or_saveexec_b64 s[6:7], s[6:7]
	v_mov_b32_e32 v2, s10
	s_xor_b64 exec, exec, s[6:7]
	s_cbranch_execnz .LBB16_3756
.LBB16_1706:
	s_or_b64 exec, exec, s[6:7]
	s_and_saveexec_b64 s[6:7], s[4:5]
	s_cbranch_execz .LBB16_1708
.LBB16_1707:
	v_bfe_u32 v2, v7, 8, 3
	v_ffbh_u32_e32 v11, v2
	v_min_u32_e32 v11, 32, v11
	v_lshrrev_b16_e32 v10, 3, v6
	v_subrev_u32_e32 v12, 28, v11
	v_and_b32_e32 v10, 15, v10
	v_lshlrev_b32_e32 v6, v12, v6
	v_sub_u32_e32 v11, 29, v11
	v_and_b32_e32 v6, 7, v6
	v_cmp_eq_u16_e32 vcc, 0, v10
	v_cndmask_b32_e32 v2, v2, v6, vcc
	v_cndmask_b32_e32 v6, v10, v11, vcc
	v_lshlrev_b32_e32 v10, 16, v7
	v_mov_b32_e32 v11, 0x3b800000
	v_lshlrev_b32_e32 v2, 20, v2
	v_and_b32_e32 v10, 0x80000000, v10
	v_lshl_add_u32 v6, v6, 23, v11
	v_or3_b32 v2, v10, v6, v2
.LBB16_1708:
	s_or_b64 exec, exec, s[6:7]
	v_lshrrev_b32_e32 v6, 8, v3
	s_movk_i32 s4, 0x7f
	v_cmp_gt_i16_sdwa s[6:7], v6, s4 src0_sel:BYTE_0 src1_sel:DWORD
	s_mov_b64 s[4:5], 0
                                        ; implicit-def: $sgpr10
	s_and_saveexec_b64 s[8:9], s[6:7]
	s_xor_b64 s[6:7], exec, s[8:9]
	s_cbranch_execnz .LBB16_3757
; %bb.1709:
	s_or_saveexec_b64 s[6:7], s[6:7]
	v_mov_b32_e32 v10, s10
	s_xor_b64 exec, exec, s[6:7]
	s_cbranch_execnz .LBB16_3760
.LBB16_1710:
	s_or_b64 exec, exec, s[6:7]
	s_and_saveexec_b64 s[6:7], s[4:5]
	s_cbranch_execz .LBB16_1712
.LBB16_1711:
	v_bfe_u32 v10, v3, 8, 3
	v_ffbh_u32_e32 v12, v10
	v_min_u32_e32 v12, 32, v12
	v_lshrrev_b16_e32 v11, 3, v6
	v_subrev_u32_e32 v13, 28, v12
	v_and_b32_e32 v11, 15, v11
	v_lshlrev_b32_e32 v6, v13, v6
	v_sub_u32_e32 v12, 29, v12
	v_and_b32_e32 v6, 7, v6
	v_cmp_eq_u16_e32 vcc, 0, v11
	v_cndmask_b32_e32 v6, v10, v6, vcc
	v_cndmask_b32_e32 v10, v11, v12, vcc
	v_lshlrev_b32_e32 v11, 16, v3
	v_mov_b32_e32 v12, 0x3b800000
	v_lshlrev_b32_e32 v6, 20, v6
	v_and_b32_e32 v11, 0x80000000, v11
	v_lshl_add_u32 v10, v10, 23, v12
	v_or3_b32 v10, v11, v10, v6
.LBB16_1712:
	s_or_b64 exec, exec, s[6:7]
	s_nop 0
	v_mfma_f32_16x16x4f32 a[0:3], v2, v10, a[0:3]
	s_movk_i32 s4, 0xff
	v_and_b32_sdwa v6, v7, s4 dst_sel:DWORD dst_unused:UNUSED_PAD src0_sel:WORD_1 src1_sel:DWORD
	s_movk_i32 s4, 0x7f
	v_cmp_lt_i16_e32 vcc, s4, v6
	s_mov_b64 s[4:5], 0
                                        ; implicit-def: $sgpr10
	s_and_saveexec_b64 s[6:7], vcc
	s_xor_b64 s[6:7], exec, s[6:7]
	s_cbranch_execnz .LBB16_3761
; %bb.1713:
	s_or_saveexec_b64 s[6:7], s[6:7]
	v_mov_b32_e32 v2, s10
	s_xor_b64 exec, exec, s[6:7]
	s_cbranch_execnz .LBB16_3764
.LBB16_1714:
	s_or_b64 exec, exec, s[6:7]
	s_and_saveexec_b64 s[6:7], s[4:5]
	s_cbranch_execz .LBB16_1716
.LBB16_1715:
	v_bfe_u32 v2, v7, 16, 3
	v_ffbh_u32_e32 v11, v2
	v_min_u32_e32 v11, 32, v11
	v_lshrrev_b32_e32 v6, 19, v7
	v_subrev_u32_e32 v12, 28, v11
	v_and_b32_e32 v6, 15, v6
	v_lshlrev_b32_sdwa v12, v12, v7 dst_sel:DWORD dst_unused:UNUSED_PAD src0_sel:DWORD src1_sel:WORD_1
	v_bfe_u32 v10, v7, 19, 4
	v_sub_u32_e32 v11, 29, v11
	v_and_b32_e32 v12, 7, v12
	v_cmp_eq_u16_e32 vcc, 0, v6
	v_cndmask_b32_e32 v2, v2, v12, vcc
	v_cndmask_b32_e32 v6, v10, v11, vcc
	v_lshlrev_b32_e32 v10, 8, v7
	v_mov_b32_e32 v11, 0x3b800000
	v_lshlrev_b32_e32 v2, 20, v2
	v_and_b32_e32 v10, 0x80000000, v10
	v_lshl_add_u32 v6, v6, 23, v11
	v_or3_b32 v2, v10, v6, v2
.LBB16_1716:
	s_or_b64 exec, exec, s[6:7]
	s_movk_i32 s4, 0xff
	v_and_b32_sdwa v6, v3, s4 dst_sel:DWORD dst_unused:UNUSED_PAD src0_sel:WORD_1 src1_sel:DWORD
	s_movk_i32 s4, 0x7f
	v_cmp_lt_i16_e32 vcc, s4, v6
	s_mov_b64 s[4:5], 0
                                        ; implicit-def: $sgpr10
	s_and_saveexec_b64 s[6:7], vcc
	s_xor_b64 s[6:7], exec, s[6:7]
	s_cbranch_execnz .LBB16_3765
; %bb.1717:
	s_or_saveexec_b64 s[6:7], s[6:7]
	v_mov_b32_e32 v10, s10
	s_xor_b64 exec, exec, s[6:7]
	s_cbranch_execnz .LBB16_3768
.LBB16_1718:
	s_or_b64 exec, exec, s[6:7]
	s_and_saveexec_b64 s[6:7], s[4:5]
	s_cbranch_execz .LBB16_1720
.LBB16_1719:
	v_bfe_u32 v6, v3, 16, 3
	v_ffbh_u32_e32 v12, v6
	v_min_u32_e32 v12, 32, v12
	v_lshrrev_b32_e32 v10, 19, v3
	v_subrev_u32_e32 v13, 28, v12
	v_and_b32_e32 v10, 15, v10
	v_lshlrev_b32_sdwa v13, v13, v3 dst_sel:DWORD dst_unused:UNUSED_PAD src0_sel:DWORD src1_sel:WORD_1
	v_bfe_u32 v11, v3, 19, 4
	v_sub_u32_e32 v12, 29, v12
	v_and_b32_e32 v13, 7, v13
	v_cmp_eq_u16_e32 vcc, 0, v10
	v_cndmask_b32_e32 v6, v6, v13, vcc
	v_cndmask_b32_e32 v10, v11, v12, vcc
	v_lshlrev_b32_e32 v11, 8, v3
	v_mov_b32_e32 v12, 0x3b800000
	v_lshlrev_b32_e32 v6, 20, v6
	v_and_b32_e32 v11, 0x80000000, v11
	v_lshl_add_u32 v10, v10, 23, v12
	v_or3_b32 v10, v11, v10, v6
.LBB16_1720:
	s_or_b64 exec, exec, s[6:7]
	s_nop 0
	v_mfma_f32_16x16x4f32 a[0:3], v2, v10, a[0:3]
	s_movk_i32 s4, 0x7f
	v_cmp_gt_i16_sdwa s[6:7], v7, s4 src0_sel:BYTE_3 src1_sel:DWORD
	s_mov_b64 s[4:5], 0
                                        ; implicit-def: $sgpr10
	s_and_saveexec_b64 s[8:9], s[6:7]
	s_xor_b64 s[6:7], exec, s[8:9]
	s_cbranch_execnz .LBB16_3769
; %bb.1721:
	s_or_saveexec_b64 s[6:7], s[6:7]
	v_mov_b32_e32 v2, s10
	s_xor_b64 exec, exec, s[6:7]
	s_cbranch_execnz .LBB16_3772
.LBB16_1722:
	s_or_b64 exec, exec, s[6:7]
	s_and_saveexec_b64 s[6:7], s[4:5]
	s_cbranch_execz .LBB16_1724
.LBB16_1723:
	v_bfe_u32 v2, v7, 24, 3
	v_ffbh_u32_e32 v12, v2
	v_min_u32_e32 v12, 32, v12
	v_lshrrev_b32_e32 v10, 27, v7
	v_subrev_u32_e32 v13, 28, v12
	v_and_b32_e32 v6, 0x80000000, v7
	v_and_b32_e32 v10, 15, v10
	v_bfe_u32 v11, v7, 27, 4
	v_lshlrev_b32_sdwa v7, v13, v7 dst_sel:DWORD dst_unused:UNUSED_PAD src0_sel:DWORD src1_sel:BYTE_3
	v_sub_u32_e32 v12, 29, v12
	v_and_b32_e32 v7, 7, v7
	v_cmp_eq_u16_e32 vcc, 0, v10
	v_cndmask_b32_e32 v2, v2, v7, vcc
	v_cndmask_b32_e32 v7, v11, v12, vcc
	v_mov_b32_e32 v10, 0x3b800000
	v_lshlrev_b32_e32 v2, 20, v2
	v_lshl_add_u32 v7, v7, 23, v10
	v_or3_b32 v2, v6, v7, v2
.LBB16_1724:
	s_or_b64 exec, exec, s[6:7]
	s_movk_i32 s4, 0x7f
	v_cmp_gt_i16_sdwa s[6:7], v3, s4 src0_sel:BYTE_3 src1_sel:DWORD
	s_mov_b64 s[4:5], 0
                                        ; implicit-def: $sgpr10
	s_and_saveexec_b64 s[8:9], s[6:7]
	s_xor_b64 s[6:7], exec, s[8:9]
	s_cbranch_execnz .LBB16_3773
; %bb.1725:
	s_or_saveexec_b64 s[6:7], s[6:7]
	v_mov_b32_e32 v6, s10
	s_xor_b64 exec, exec, s[6:7]
	s_cbranch_execnz .LBB16_3776
.LBB16_1726:
	s_or_b64 exec, exec, s[6:7]
	s_and_saveexec_b64 s[6:7], s[4:5]
	s_cbranch_execz .LBB16_1728
.LBB16_1727:
	v_bfe_u32 v6, v3, 24, 3
	v_ffbh_u32_e32 v12, v6
	v_min_u32_e32 v12, 32, v12
	v_lshrrev_b32_e32 v10, 27, v3
	v_subrev_u32_e32 v13, 28, v12
	v_and_b32_e32 v7, 0x80000000, v3
	v_and_b32_e32 v10, 15, v10
	v_bfe_u32 v11, v3, 27, 4
	v_lshlrev_b32_sdwa v3, v13, v3 dst_sel:DWORD dst_unused:UNUSED_PAD src0_sel:DWORD src1_sel:BYTE_3
	v_sub_u32_e32 v12, 29, v12
	v_and_b32_e32 v3, 7, v3
	v_cmp_eq_u16_e32 vcc, 0, v10
	v_cndmask_b32_e32 v3, v6, v3, vcc
	v_cndmask_b32_e32 v6, v11, v12, vcc
	v_mov_b32_e32 v10, 0x3b800000
	v_lshlrev_b32_e32 v3, 20, v3
	v_lshl_add_u32 v6, v6, 23, v10
	v_or3_b32 v6, v7, v6, v3
.LBB16_1728:
	s_or_b64 exec, exec, s[6:7]
	s_nop 0
	v_mfma_f32_16x16x4f32 a[0:3], v2, v6, a[0:3]
	s_movk_i32 s4, 0x7f
	v_cmp_gt_i16_sdwa s[6:7], v8, s4 src0_sel:BYTE_0 src1_sel:DWORD
	s_mov_b64 s[4:5], 0
                                        ; implicit-def: $sgpr10
	s_and_saveexec_b64 s[8:9], s[6:7]
	s_xor_b64 s[6:7], exec, s[8:9]
	s_cbranch_execnz .LBB16_3777
; %bb.1729:
	s_or_saveexec_b64 s[6:7], s[6:7]
	v_mov_b32_e32 v2, s10
	s_xor_b64 exec, exec, s[6:7]
	s_cbranch_execnz .LBB16_3780
.LBB16_1730:
	s_or_b64 exec, exec, s[6:7]
	s_and_saveexec_b64 s[6:7], s[4:5]
	s_cbranch_execz .LBB16_1732
.LBB16_1731:
	v_and_b32_e32 v2, 7, v8
	v_ffbh_u32_e32 v6, v2
	v_min_u32_e32 v6, 32, v6
	v_lshrrev_b16_e32 v3, 3, v8
	v_subrev_u32_e32 v7, 28, v6
	v_and_b32_e32 v3, 15, v3
	v_lshlrev_b32_e32 v7, v7, v8
	v_sub_u32_e32 v6, 29, v6
	v_and_b32_e32 v7, 7, v7
	v_cmp_eq_u16_e32 vcc, 0, v3
	v_cndmask_b32_e32 v2, v2, v7, vcc
	v_cndmask_b32_e32 v3, v3, v6, vcc
	v_lshlrev_b32_e32 v6, 24, v8
	v_mov_b32_e32 v7, 0x3b800000
	v_lshlrev_b32_e32 v2, 20, v2
	v_and_b32_e32 v6, 0x80000000, v6
	v_lshl_add_u32 v3, v3, 23, v7
	v_or3_b32 v2, v6, v3, v2
.LBB16_1732:
	s_or_b64 exec, exec, s[6:7]
	s_movk_i32 s4, 0x7f
	v_cmp_gt_i16_sdwa s[6:7], v4, s4 src0_sel:BYTE_0 src1_sel:DWORD
	s_mov_b64 s[4:5], 0
                                        ; implicit-def: $sgpr10
	s_and_saveexec_b64 s[8:9], s[6:7]
	s_xor_b64 s[6:7], exec, s[8:9]
	s_cbranch_execnz .LBB16_3781
; %bb.1733:
	s_or_saveexec_b64 s[6:7], s[6:7]
	v_mov_b32_e32 v3, s10
	s_xor_b64 exec, exec, s[6:7]
	s_cbranch_execnz .LBB16_3784
.LBB16_1734:
	s_or_b64 exec, exec, s[6:7]
	s_and_saveexec_b64 s[6:7], s[4:5]
	s_cbranch_execz .LBB16_1736
.LBB16_1735:
	v_and_b32_e32 v3, 7, v4
	v_ffbh_u32_e32 v7, v3
	v_min_u32_e32 v7, 32, v7
	v_lshrrev_b16_e32 v6, 3, v4
	v_subrev_u32_e32 v10, 28, v7
	v_and_b32_e32 v6, 15, v6
	v_lshlrev_b32_e32 v10, v10, v4
	v_sub_u32_e32 v7, 29, v7
	v_and_b32_e32 v10, 7, v10
	v_cmp_eq_u16_e32 vcc, 0, v6
	v_cndmask_b32_e32 v3, v3, v10, vcc
	v_cndmask_b32_e32 v6, v6, v7, vcc
	v_lshlrev_b32_e32 v7, 24, v4
	v_mov_b32_e32 v10, 0x3b800000
	v_lshlrev_b32_e32 v3, 20, v3
	v_and_b32_e32 v7, 0x80000000, v7
	v_lshl_add_u32 v6, v6, 23, v10
	v_or3_b32 v3, v7, v6, v3
.LBB16_1736:
	s_or_b64 exec, exec, s[6:7]
	s_nop 0
	v_mfma_f32_16x16x4f32 a[0:3], v2, v3, a[0:3]
	v_lshrrev_b32_e32 v3, 8, v8
	s_movk_i32 s4, 0x7f
	v_cmp_gt_i16_sdwa s[6:7], v3, s4 src0_sel:BYTE_0 src1_sel:DWORD
	s_mov_b64 s[4:5], 0
                                        ; implicit-def: $sgpr10
	s_and_saveexec_b64 s[8:9], s[6:7]
	s_xor_b64 s[6:7], exec, s[8:9]
	s_cbranch_execnz .LBB16_3785
; %bb.1737:
	s_or_saveexec_b64 s[6:7], s[6:7]
	v_mov_b32_e32 v2, s10
	s_xor_b64 exec, exec, s[6:7]
	s_cbranch_execnz .LBB16_3788
.LBB16_1738:
	s_or_b64 exec, exec, s[6:7]
	s_and_saveexec_b64 s[6:7], s[4:5]
	s_cbranch_execz .LBB16_1740
.LBB16_1739:
	v_bfe_u32 v2, v8, 8, 3
	v_ffbh_u32_e32 v7, v2
	v_min_u32_e32 v7, 32, v7
	v_lshrrev_b16_e32 v6, 3, v3
	v_subrev_u32_e32 v10, 28, v7
	v_and_b32_e32 v6, 15, v6
	v_lshlrev_b32_e32 v3, v10, v3
	v_sub_u32_e32 v7, 29, v7
	v_and_b32_e32 v3, 7, v3
	v_cmp_eq_u16_e32 vcc, 0, v6
	v_cndmask_b32_e32 v2, v2, v3, vcc
	v_cndmask_b32_e32 v3, v6, v7, vcc
	v_lshlrev_b32_e32 v6, 16, v8
	v_mov_b32_e32 v7, 0x3b800000
	v_lshlrev_b32_e32 v2, 20, v2
	v_and_b32_e32 v6, 0x80000000, v6
	v_lshl_add_u32 v3, v3, 23, v7
	v_or3_b32 v2, v6, v3, v2
.LBB16_1740:
	s_or_b64 exec, exec, s[6:7]
	v_lshrrev_b32_e32 v3, 8, v4
	s_movk_i32 s4, 0x7f
	v_cmp_gt_i16_sdwa s[6:7], v3, s4 src0_sel:BYTE_0 src1_sel:DWORD
	s_mov_b64 s[4:5], 0
                                        ; implicit-def: $sgpr10
	s_and_saveexec_b64 s[8:9], s[6:7]
	s_xor_b64 s[6:7], exec, s[8:9]
	s_cbranch_execnz .LBB16_3789
; %bb.1741:
	s_or_saveexec_b64 s[6:7], s[6:7]
	v_mov_b32_e32 v6, s10
	s_xor_b64 exec, exec, s[6:7]
	s_cbranch_execnz .LBB16_3792
.LBB16_1742:
	s_or_b64 exec, exec, s[6:7]
	s_and_saveexec_b64 s[6:7], s[4:5]
	s_cbranch_execz .LBB16_1744
.LBB16_1743:
	v_bfe_u32 v6, v4, 8, 3
	v_ffbh_u32_e32 v10, v6
	v_min_u32_e32 v10, 32, v10
	v_lshrrev_b16_e32 v7, 3, v3
	v_subrev_u32_e32 v11, 28, v10
	v_and_b32_e32 v7, 15, v7
	v_lshlrev_b32_e32 v3, v11, v3
	v_sub_u32_e32 v10, 29, v10
	v_and_b32_e32 v3, 7, v3
	v_cmp_eq_u16_e32 vcc, 0, v7
	v_cndmask_b32_e32 v3, v6, v3, vcc
	v_cndmask_b32_e32 v6, v7, v10, vcc
	v_lshlrev_b32_e32 v7, 16, v4
	v_mov_b32_e32 v10, 0x3b800000
	v_lshlrev_b32_e32 v3, 20, v3
	v_and_b32_e32 v7, 0x80000000, v7
	v_lshl_add_u32 v6, v6, 23, v10
	v_or3_b32 v6, v7, v6, v3
.LBB16_1744:
	s_or_b64 exec, exec, s[6:7]
	s_nop 0
	v_mfma_f32_16x16x4f32 a[0:3], v2, v6, a[0:3]
	s_movk_i32 s4, 0xff
	v_and_b32_sdwa v3, v8, s4 dst_sel:DWORD dst_unused:UNUSED_PAD src0_sel:WORD_1 src1_sel:DWORD
	s_movk_i32 s4, 0x7f
	v_cmp_lt_i16_e32 vcc, s4, v3
	s_mov_b64 s[4:5], 0
                                        ; implicit-def: $sgpr10
	s_and_saveexec_b64 s[6:7], vcc
	s_xor_b64 s[6:7], exec, s[6:7]
	s_cbranch_execnz .LBB16_3793
; %bb.1745:
	s_or_saveexec_b64 s[6:7], s[6:7]
	v_mov_b32_e32 v2, s10
	s_xor_b64 exec, exec, s[6:7]
	s_cbranch_execnz .LBB16_3796
.LBB16_1746:
	s_or_b64 exec, exec, s[6:7]
	s_and_saveexec_b64 s[6:7], s[4:5]
	s_cbranch_execz .LBB16_1748
.LBB16_1747:
	v_bfe_u32 v2, v8, 16, 3
	v_ffbh_u32_e32 v7, v2
	v_min_u32_e32 v7, 32, v7
	v_lshrrev_b32_e32 v3, 19, v8
	v_subrev_u32_e32 v10, 28, v7
	v_and_b32_e32 v3, 15, v3
	v_lshlrev_b32_sdwa v10, v10, v8 dst_sel:DWORD dst_unused:UNUSED_PAD src0_sel:DWORD src1_sel:WORD_1
	v_bfe_u32 v6, v8, 19, 4
	v_sub_u32_e32 v7, 29, v7
	v_and_b32_e32 v10, 7, v10
	v_cmp_eq_u16_e32 vcc, 0, v3
	v_cndmask_b32_e32 v2, v2, v10, vcc
	v_cndmask_b32_e32 v3, v6, v7, vcc
	v_lshlrev_b32_e32 v6, 8, v8
	v_mov_b32_e32 v7, 0x3b800000
	v_lshlrev_b32_e32 v2, 20, v2
	v_and_b32_e32 v6, 0x80000000, v6
	v_lshl_add_u32 v3, v3, 23, v7
	v_or3_b32 v2, v6, v3, v2
.LBB16_1748:
	s_or_b64 exec, exec, s[6:7]
	s_movk_i32 s4, 0xff
	v_and_b32_sdwa v3, v4, s4 dst_sel:DWORD dst_unused:UNUSED_PAD src0_sel:WORD_1 src1_sel:DWORD
	s_movk_i32 s4, 0x7f
	v_cmp_lt_i16_e32 vcc, s4, v3
	s_mov_b64 s[4:5], 0
                                        ; implicit-def: $sgpr10
	s_and_saveexec_b64 s[6:7], vcc
	s_xor_b64 s[6:7], exec, s[6:7]
	s_cbranch_execnz .LBB16_3797
; %bb.1749:
	s_or_saveexec_b64 s[6:7], s[6:7]
	v_mov_b32_e32 v6, s10
	s_xor_b64 exec, exec, s[6:7]
	s_cbranch_execnz .LBB16_3800
.LBB16_1750:
	s_or_b64 exec, exec, s[6:7]
	s_and_saveexec_b64 s[6:7], s[4:5]
	s_cbranch_execz .LBB16_1752
.LBB16_1751:
	v_bfe_u32 v3, v4, 16, 3
	v_ffbh_u32_e32 v10, v3
	v_min_u32_e32 v10, 32, v10
	v_lshrrev_b32_e32 v6, 19, v4
	v_subrev_u32_e32 v11, 28, v10
	v_and_b32_e32 v6, 15, v6
	v_lshlrev_b32_sdwa v11, v11, v4 dst_sel:DWORD dst_unused:UNUSED_PAD src0_sel:DWORD src1_sel:WORD_1
	v_bfe_u32 v7, v4, 19, 4
	v_sub_u32_e32 v10, 29, v10
	v_and_b32_e32 v11, 7, v11
	v_cmp_eq_u16_e32 vcc, 0, v6
	v_cndmask_b32_e32 v3, v3, v11, vcc
	v_cndmask_b32_e32 v6, v7, v10, vcc
	v_lshlrev_b32_e32 v7, 8, v4
	v_mov_b32_e32 v10, 0x3b800000
	v_lshlrev_b32_e32 v3, 20, v3
	v_and_b32_e32 v7, 0x80000000, v7
	v_lshl_add_u32 v6, v6, 23, v10
	v_or3_b32 v6, v7, v6, v3
.LBB16_1752:
	s_or_b64 exec, exec, s[6:7]
	s_nop 0
	v_mfma_f32_16x16x4f32 a[0:3], v2, v6, a[0:3]
	s_movk_i32 s4, 0x7f
	v_cmp_gt_i16_sdwa s[6:7], v8, s4 src0_sel:BYTE_3 src1_sel:DWORD
	s_mov_b64 s[4:5], 0
                                        ; implicit-def: $sgpr10
	s_and_saveexec_b64 s[8:9], s[6:7]
	s_xor_b64 s[6:7], exec, s[8:9]
	s_cbranch_execnz .LBB16_3801
; %bb.1753:
	s_or_saveexec_b64 s[6:7], s[6:7]
	v_mov_b32_e32 v2, s10
	s_xor_b64 exec, exec, s[6:7]
	s_cbranch_execnz .LBB16_3804
.LBB16_1754:
	s_or_b64 exec, exec, s[6:7]
	s_and_saveexec_b64 s[6:7], s[4:5]
	s_cbranch_execz .LBB16_1756
.LBB16_1755:
	v_bfe_u32 v2, v8, 24, 3
	v_ffbh_u32_e32 v10, v2
	v_min_u32_e32 v10, 32, v10
	v_lshrrev_b32_e32 v6, 27, v8
	v_subrev_u32_e32 v11, 28, v10
	v_and_b32_e32 v3, 0x80000000, v8
	v_and_b32_e32 v6, 15, v6
	v_bfe_u32 v7, v8, 27, 4
	v_lshlrev_b32_sdwa v8, v11, v8 dst_sel:DWORD dst_unused:UNUSED_PAD src0_sel:DWORD src1_sel:BYTE_3
	v_sub_u32_e32 v10, 29, v10
	v_and_b32_e32 v8, 7, v8
	v_cmp_eq_u16_e32 vcc, 0, v6
	v_cndmask_b32_e32 v2, v2, v8, vcc
	v_cndmask_b32_e32 v6, v7, v10, vcc
	v_mov_b32_e32 v7, 0x3b800000
	v_lshlrev_b32_e32 v2, 20, v2
	v_lshl_add_u32 v6, v6, 23, v7
	v_or3_b32 v2, v3, v6, v2
.LBB16_1756:
	s_or_b64 exec, exec, s[6:7]
	s_movk_i32 s4, 0x7f
	v_cmp_gt_i16_sdwa s[6:7], v4, s4 src0_sel:BYTE_3 src1_sel:DWORD
	s_mov_b64 s[4:5], 0
                                        ; implicit-def: $sgpr10
	s_and_saveexec_b64 s[8:9], s[6:7]
	s_xor_b64 s[6:7], exec, s[8:9]
	s_cbranch_execnz .LBB16_3805
; %bb.1757:
	s_or_saveexec_b64 s[6:7], s[6:7]
	v_mov_b32_e32 v3, s10
	s_xor_b64 exec, exec, s[6:7]
	s_cbranch_execnz .LBB16_3808
.LBB16_1758:
	s_or_b64 exec, exec, s[6:7]
	s_and_saveexec_b64 s[6:7], s[4:5]
	s_cbranch_execz .LBB16_1760
.LBB16_1759:
	v_bfe_u32 v3, v4, 24, 3
	v_ffbh_u32_e32 v10, v3
	v_min_u32_e32 v10, 32, v10
	v_lshrrev_b32_e32 v7, 27, v4
	v_subrev_u32_e32 v11, 28, v10
	v_and_b32_e32 v6, 0x80000000, v4
	v_and_b32_e32 v7, 15, v7
	v_bfe_u32 v8, v4, 27, 4
	v_lshlrev_b32_sdwa v4, v11, v4 dst_sel:DWORD dst_unused:UNUSED_PAD src0_sel:DWORD src1_sel:BYTE_3
	v_sub_u32_e32 v10, 29, v10
	v_and_b32_e32 v4, 7, v4
	v_cmp_eq_u16_e32 vcc, 0, v7
	v_cndmask_b32_e32 v3, v3, v4, vcc
	v_cndmask_b32_e32 v4, v8, v10, vcc
	v_mov_b32_e32 v7, 0x3b800000
	v_lshlrev_b32_e32 v3, 20, v3
	v_lshl_add_u32 v4, v4, 23, v7
	v_or3_b32 v3, v6, v4, v3
.LBB16_1760:
	s_or_b64 exec, exec, s[6:7]
	s_nop 0
	v_mfma_f32_16x16x4f32 a[0:3], v2, v3, a[0:3]
	s_movk_i32 s4, 0x7f
	v_cmp_gt_i16_sdwa s[6:7], v9, s4 src0_sel:BYTE_0 src1_sel:DWORD
	s_mov_b64 s[4:5], 0
                                        ; implicit-def: $sgpr10
	s_and_saveexec_b64 s[8:9], s[6:7]
	s_xor_b64 s[6:7], exec, s[8:9]
	s_cbranch_execnz .LBB16_3809
; %bb.1761:
	s_or_saveexec_b64 s[6:7], s[6:7]
	v_mov_b32_e32 v2, s10
	s_xor_b64 exec, exec, s[6:7]
	s_cbranch_execnz .LBB16_3812
.LBB16_1762:
	s_or_b64 exec, exec, s[6:7]
	s_and_saveexec_b64 s[6:7], s[4:5]
	s_cbranch_execz .LBB16_1764
.LBB16_1763:
	v_mov_b32_e32 v2, 8
	v_and_b32_e32 v3, 7, v9
	v_lshrrev_b32_sdwa v2, v2, v9 dst_sel:BYTE_1 dst_unused:UNUSED_PAD src0_sel:DWORD src1_sel:DWORD
	v_ffbh_u32_e32 v4, v3
	v_or_b32_sdwa v2, v9, v2 dst_sel:DWORD dst_unused:UNUSED_PAD src0_sel:BYTE_0 src1_sel:DWORD
	v_min_u32_e32 v4, 32, v4
	v_lshrrev_b16_e32 v2, 3, v2
	v_subrev_u32_e32 v6, 28, v4
	v_and_b32_e32 v2, 15, v2
	v_lshlrev_b32_e32 v6, v6, v9
	v_sub_u32_e32 v4, 29, v4
	v_and_b32_e32 v6, 7, v6
	v_cmp_eq_u16_e32 vcc, 0, v2
	v_cndmask_b32_e32 v3, v3, v6, vcc
	v_cndmask_b32_e32 v2, v2, v4, vcc
	v_lshlrev_b32_e32 v4, 24, v9
	v_mov_b32_e32 v6, 0x3b800000
	v_lshlrev_b32_e32 v3, 20, v3
	v_and_b32_e32 v4, 0x80000000, v4
	v_lshl_add_u32 v2, v2, 23, v6
	v_or3_b32 v2, v4, v2, v3
.LBB16_1764:
	s_or_b64 exec, exec, s[6:7]
	s_movk_i32 s4, 0x7f
	v_cmp_gt_i16_sdwa s[6:7], v5, s4 src0_sel:BYTE_0 src1_sel:DWORD
	s_mov_b64 s[4:5], 0
                                        ; implicit-def: $sgpr10
	s_and_saveexec_b64 s[8:9], s[6:7]
	s_xor_b64 s[6:7], exec, s[8:9]
	s_cbranch_execnz .LBB16_3813
; %bb.1765:
	s_or_saveexec_b64 s[6:7], s[6:7]
	v_mov_b32_e32 v3, s10
	s_xor_b64 exec, exec, s[6:7]
	s_cbranch_execnz .LBB16_3816
.LBB16_1766:
	s_or_b64 exec, exec, s[6:7]
	s_and_saveexec_b64 s[6:7], s[4:5]
	s_cbranch_execz .LBB16_1768
.LBB16_1767:
	v_mov_b32_e32 v3, 8
	v_and_b32_e32 v4, 7, v5
	v_lshrrev_b32_sdwa v3, v3, v5 dst_sel:BYTE_1 dst_unused:UNUSED_PAD src0_sel:DWORD src1_sel:DWORD
	v_ffbh_u32_e32 v6, v4
	v_or_b32_sdwa v3, v5, v3 dst_sel:DWORD dst_unused:UNUSED_PAD src0_sel:BYTE_0 src1_sel:DWORD
	v_min_u32_e32 v6, 32, v6
	v_lshrrev_b16_e32 v3, 3, v3
	v_subrev_u32_e32 v7, 28, v6
	v_and_b32_e32 v3, 15, v3
	v_lshlrev_b32_e32 v7, v7, v5
	v_sub_u32_e32 v6, 29, v6
	v_and_b32_e32 v7, 7, v7
	v_cmp_eq_u16_e32 vcc, 0, v3
	v_cndmask_b32_e32 v4, v4, v7, vcc
	v_cndmask_b32_e32 v3, v3, v6, vcc
	v_lshlrev_b32_e32 v6, 24, v5
	v_mov_b32_e32 v7, 0x3b800000
	v_lshlrev_b32_e32 v4, 20, v4
	v_and_b32_e32 v6, 0x80000000, v6
	v_lshl_add_u32 v3, v3, 23, v7
	v_or3_b32 v3, v6, v3, v4
.LBB16_1768:
	s_or_b64 exec, exec, s[6:7]
	s_nop 0
	v_mfma_f32_16x16x4f32 a[0:3], v2, v3, a[0:3]
	v_lshrrev_b32_e32 v3, 8, v9
	s_movk_i32 s4, 0x7f
	v_cmp_gt_i16_sdwa s[6:7], v3, s4 src0_sel:BYTE_0 src1_sel:DWORD
	s_mov_b64 s[4:5], 0
                                        ; implicit-def: $sgpr10
	s_and_saveexec_b64 s[8:9], s[6:7]
	s_xor_b64 s[6:7], exec, s[8:9]
	s_cbranch_execnz .LBB16_3817
; %bb.1769:
	s_or_saveexec_b64 s[6:7], s[6:7]
	v_mov_b32_e32 v2, s10
	s_xor_b64 exec, exec, s[6:7]
	s_cbranch_execnz .LBB16_3820
.LBB16_1770:
	s_or_b64 exec, exec, s[6:7]
	s_and_saveexec_b64 s[6:7], s[4:5]
	s_cbranch_execz .LBB16_1772
.LBB16_1771:
	v_bfe_u32 v2, v9, 8, 3
	v_ffbh_u32_e32 v6, v2
	v_min_u32_e32 v6, 32, v6
	v_lshrrev_b16_e32 v4, 3, v3
	v_subrev_u32_e32 v7, 28, v6
	v_and_b32_e32 v4, 15, v4
	v_lshlrev_b32_e32 v3, v7, v3
	v_sub_u32_e32 v6, 29, v6
	v_and_b32_e32 v3, 7, v3
	v_cmp_eq_u16_e32 vcc, 0, v4
	v_cndmask_b32_e32 v2, v2, v3, vcc
	v_cndmask_b32_e32 v3, v4, v6, vcc
	v_lshlrev_b32_e32 v4, 16, v9
	v_mov_b32_e32 v6, 0x3b800000
	v_lshlrev_b32_e32 v2, 20, v2
	v_and_b32_e32 v4, 0x80000000, v4
	v_lshl_add_u32 v3, v3, 23, v6
	v_or3_b32 v2, v4, v3, v2
.LBB16_1772:
	s_or_b64 exec, exec, s[6:7]
	v_lshrrev_b32_e32 v3, 8, v5
	s_movk_i32 s4, 0x7f
	v_cmp_gt_i16_sdwa s[6:7], v3, s4 src0_sel:BYTE_0 src1_sel:DWORD
	s_mov_b64 s[4:5], 0
                                        ; implicit-def: $sgpr10
	s_and_saveexec_b64 s[8:9], s[6:7]
	s_xor_b64 s[6:7], exec, s[8:9]
	s_cbranch_execnz .LBB16_3821
; %bb.1773:
	s_or_saveexec_b64 s[6:7], s[6:7]
	v_mov_b32_e32 v4, s10
	s_xor_b64 exec, exec, s[6:7]
	s_cbranch_execnz .LBB16_3824
.LBB16_1774:
	s_or_b64 exec, exec, s[6:7]
	s_and_saveexec_b64 s[6:7], s[4:5]
	s_cbranch_execz .LBB16_1776
.LBB16_1775:
	v_bfe_u32 v4, v5, 8, 3
	v_ffbh_u32_e32 v7, v4
	v_min_u32_e32 v7, 32, v7
	v_lshrrev_b16_e32 v6, 3, v3
	v_subrev_u32_e32 v8, 28, v7
	v_and_b32_e32 v6, 15, v6
	v_lshlrev_b32_e32 v3, v8, v3
	v_sub_u32_e32 v7, 29, v7
	v_and_b32_e32 v3, 7, v3
	v_cmp_eq_u16_e32 vcc, 0, v6
	v_cndmask_b32_e32 v3, v4, v3, vcc
	v_cndmask_b32_e32 v4, v6, v7, vcc
	v_lshlrev_b32_e32 v6, 16, v5
	v_mov_b32_e32 v7, 0x3b800000
	v_lshlrev_b32_e32 v3, 20, v3
	v_and_b32_e32 v6, 0x80000000, v6
	v_lshl_add_u32 v4, v4, 23, v7
	v_or3_b32 v4, v6, v4, v3
.LBB16_1776:
	s_or_b64 exec, exec, s[6:7]
	s_nop 0
	v_mfma_f32_16x16x4f32 a[0:3], v2, v4, a[0:3]
	s_movk_i32 s4, 0xff
	v_and_b32_sdwa v3, v9, s4 dst_sel:DWORD dst_unused:UNUSED_PAD src0_sel:WORD_1 src1_sel:DWORD
	s_movk_i32 s4, 0x7f
	v_cmp_lt_i16_e32 vcc, s4, v3
	s_mov_b64 s[4:5], 0
                                        ; implicit-def: $sgpr10
	s_and_saveexec_b64 s[6:7], vcc
	s_xor_b64 s[6:7], exec, s[6:7]
	s_cbranch_execnz .LBB16_3825
; %bb.1777:
	s_or_saveexec_b64 s[6:7], s[6:7]
	v_mov_b32_e32 v2, s10
	s_xor_b64 exec, exec, s[6:7]
	s_cbranch_execnz .LBB16_3828
.LBB16_1778:
	s_or_b64 exec, exec, s[6:7]
	s_and_saveexec_b64 s[6:7], s[4:5]
	s_cbranch_execz .LBB16_1780
.LBB16_1779:
	v_bfe_u32 v2, v9, 16, 3
	v_ffbh_u32_e32 v6, v2
	v_min_u32_e32 v6, 32, v6
	v_lshrrev_b32_e32 v3, 19, v9
	v_subrev_u32_e32 v7, 28, v6
	v_and_b32_e32 v3, 15, v3
	v_lshlrev_b32_sdwa v7, v7, v9 dst_sel:DWORD dst_unused:UNUSED_PAD src0_sel:DWORD src1_sel:WORD_1
	v_bfe_u32 v4, v9, 19, 4
	v_sub_u32_e32 v6, 29, v6
	v_and_b32_e32 v7, 7, v7
	v_cmp_eq_u16_e32 vcc, 0, v3
	v_cndmask_b32_e32 v2, v2, v7, vcc
	v_cndmask_b32_e32 v3, v4, v6, vcc
	v_lshlrev_b32_e32 v4, 8, v9
	v_mov_b32_e32 v6, 0x3b800000
	v_lshlrev_b32_e32 v2, 20, v2
	v_and_b32_e32 v4, 0x80000000, v4
	v_lshl_add_u32 v3, v3, 23, v6
	v_or3_b32 v2, v4, v3, v2
.LBB16_1780:
	s_or_b64 exec, exec, s[6:7]
	s_movk_i32 s4, 0xff
	v_and_b32_sdwa v3, v5, s4 dst_sel:DWORD dst_unused:UNUSED_PAD src0_sel:WORD_1 src1_sel:DWORD
	s_movk_i32 s4, 0x7f
	v_cmp_lt_i16_e32 vcc, s4, v3
	s_mov_b64 s[4:5], 0
                                        ; implicit-def: $sgpr10
	s_and_saveexec_b64 s[6:7], vcc
	s_xor_b64 s[6:7], exec, s[6:7]
	s_cbranch_execnz .LBB16_3829
; %bb.1781:
	s_or_saveexec_b64 s[6:7], s[6:7]
	v_mov_b32_e32 v4, s10
	s_xor_b64 exec, exec, s[6:7]
	s_cbranch_execnz .LBB16_3832
.LBB16_1782:
	s_or_b64 exec, exec, s[6:7]
	s_and_saveexec_b64 s[6:7], s[4:5]
	s_cbranch_execz .LBB16_1784
.LBB16_1783:
	v_bfe_u32 v3, v5, 16, 3
	v_ffbh_u32_e32 v7, v3
	v_min_u32_e32 v7, 32, v7
	v_lshrrev_b32_e32 v4, 19, v5
	v_subrev_u32_e32 v8, 28, v7
	v_and_b32_e32 v4, 15, v4
	v_lshlrev_b32_sdwa v8, v8, v5 dst_sel:DWORD dst_unused:UNUSED_PAD src0_sel:DWORD src1_sel:WORD_1
	v_bfe_u32 v6, v5, 19, 4
	v_sub_u32_e32 v7, 29, v7
	v_and_b32_e32 v8, 7, v8
	v_cmp_eq_u16_e32 vcc, 0, v4
	v_cndmask_b32_e32 v3, v3, v8, vcc
	v_cndmask_b32_e32 v4, v6, v7, vcc
	v_lshlrev_b32_e32 v6, 8, v5
	v_mov_b32_e32 v7, 0x3b800000
	v_lshlrev_b32_e32 v3, 20, v3
	v_and_b32_e32 v6, 0x80000000, v6
	v_lshl_add_u32 v4, v4, 23, v7
	v_or3_b32 v4, v6, v4, v3
.LBB16_1784:
	s_or_b64 exec, exec, s[6:7]
	s_nop 0
	v_mfma_f32_16x16x4f32 a[0:3], v2, v4, a[0:3]
	s_movk_i32 s4, 0x7f
	v_cmp_gt_i16_sdwa s[6:7], v9, s4 src0_sel:BYTE_3 src1_sel:DWORD
	s_mov_b64 s[4:5], 0
                                        ; implicit-def: $sgpr10
	s_and_saveexec_b64 s[8:9], s[6:7]
	s_xor_b64 s[6:7], exec, s[8:9]
	s_cbranch_execnz .LBB16_3833
; %bb.1785:
	s_or_saveexec_b64 s[6:7], s[6:7]
	v_mov_b32_e32 v2, s10
	s_xor_b64 exec, exec, s[6:7]
	s_cbranch_execnz .LBB16_3836
.LBB16_1786:
	s_or_b64 exec, exec, s[6:7]
	s_and_saveexec_b64 s[6:7], s[4:5]
	s_cbranch_execz .LBB16_1788
.LBB16_1787:
	v_bfe_u32 v2, v9, 24, 3
	v_ffbh_u32_e32 v7, v2
	v_min_u32_e32 v7, 32, v7
	v_lshrrev_b32_e32 v4, 27, v9
	v_subrev_u32_e32 v8, 28, v7
	v_and_b32_e32 v4, 15, v4
	v_lshlrev_b32_sdwa v8, v8, v9 dst_sel:DWORD dst_unused:UNUSED_PAD src0_sel:DWORD src1_sel:BYTE_3
	v_bfe_u32 v6, v9, 27, 4
	v_sub_u32_e32 v7, 29, v7
	v_and_b32_e32 v8, 7, v8
	v_cmp_eq_u16_e32 vcc, 0, v4
	v_cndmask_b32_e32 v2, v2, v8, vcc
	v_cndmask_b32_e32 v4, v6, v7, vcc
	v_mov_b32_e32 v6, 0x3b800000
	v_and_b32_e32 v3, 0x80000000, v9
	v_lshlrev_b32_e32 v2, 20, v2
	v_lshl_add_u32 v4, v4, 23, v6
	v_or3_b32 v2, v3, v4, v2
.LBB16_1788:
	s_or_b64 exec, exec, s[6:7]
	s_movk_i32 s4, 0x7f
	v_cmp_gt_i16_sdwa s[6:7], v5, s4 src0_sel:BYTE_3 src1_sel:DWORD
	s_mov_b64 s[4:5], 0
                                        ; implicit-def: $sgpr10
	s_and_saveexec_b64 s[8:9], s[6:7]
	s_xor_b64 s[6:7], exec, s[8:9]
	s_cbranch_execnz .LBB16_3837
; %bb.1789:
	s_or_saveexec_b64 s[6:7], s[6:7]
	v_mov_b32_e32 v3, s10
	s_xor_b64 exec, exec, s[6:7]
	s_cbranch_execnz .LBB16_3840
.LBB16_1790:
	s_or_b64 exec, exec, s[6:7]
	s_and_saveexec_b64 s[6:7], s[4:5]
	s_cbranch_execz .LBB16_1792
.LBB16_1791:
	v_bfe_u32 v3, v5, 24, 3
	v_ffbh_u32_e32 v8, v3
	v_min_u32_e32 v8, 32, v8
	v_lshrrev_b32_e32 v6, 27, v5
	v_subrev_u32_e32 v9, 28, v8
	v_and_b32_e32 v4, 0x80000000, v5
	v_and_b32_e32 v6, 15, v6
	v_bfe_u32 v7, v5, 27, 4
	v_lshlrev_b32_sdwa v5, v9, v5 dst_sel:DWORD dst_unused:UNUSED_PAD src0_sel:DWORD src1_sel:BYTE_3
	v_sub_u32_e32 v8, 29, v8
	v_and_b32_e32 v5, 7, v5
	v_cmp_eq_u16_e32 vcc, 0, v6
	v_cndmask_b32_e32 v3, v3, v5, vcc
	v_cndmask_b32_e32 v5, v7, v8, vcc
	v_mov_b32_e32 v6, 0x3b800000
	v_lshlrev_b32_e32 v3, 20, v3
	v_lshl_add_u32 v5, v5, 23, v6
	v_or3_b32 v3, v4, v5, v3
.LBB16_1792:
	s_or_b64 exec, exec, s[6:7]
	s_nop 0
	v_mfma_f32_16x16x4f32 a[0:3], v2, v3, a[0:3]
	s_movk_i32 s4, 0x7f
                                        ; implicit-def: $sgpr10
	s_nop 7
	s_nop 1
	flat_store_dwordx4 v[18:19], a[0:3] offset:864
	flat_load_dwordx4 v[18:21], v[0:1] offset:16
	s_nop 0
	flat_load_dwordx2 v[16:17], v[0:1] offset:32
	s_waitcnt vmcnt(0) lgkmcnt(0)
	flat_load_dwordx4 v[12:15], v[18:19]
	flat_load_dwordx4 v[4:7], v[18:19] offset:16
	flat_load_dwordx4 v[8:11], v[20:21] offset:480
	;; [unrolled: 1-line block ×3, first 2 shown]
	s_waitcnt vmcnt(0) lgkmcnt(0)
	v_cmp_gt_i16_sdwa s[6:7], v12, s4 src0_sel:BYTE_0 src1_sel:DWORD
	s_mov_b64 s[4:5], 0
	s_and_saveexec_b64 s[8:9], s[6:7]
	s_xor_b64 s[6:7], exec, s[8:9]
	s_cbranch_execnz .LBB16_3841
; %bb.1793:
	s_or_saveexec_b64 s[6:7], s[6:7]
	v_mov_b32_e32 v18, s10
	s_xor_b64 exec, exec, s[6:7]
	s_cbranch_execnz .LBB16_3844
.LBB16_1794:
	s_or_b64 exec, exec, s[6:7]
	s_and_saveexec_b64 s[6:7], s[4:5]
	s_cbranch_execz .LBB16_1796
.LBB16_1795:
	v_and_b32_e32 v18, 7, v12
	v_ffbh_u32_e32 v20, v18
	v_min_u32_e32 v20, 32, v20
	v_lshrrev_b16_e32 v19, 3, v12
	v_subrev_u32_e32 v21, 28, v20
	v_and_b32_e32 v19, 15, v19
	v_lshlrev_b32_e32 v21, v21, v12
	v_sub_u32_e32 v20, 29, v20
	v_and_b32_e32 v21, 7, v21
	v_cmp_eq_u16_e32 vcc, 0, v19
	v_cndmask_b32_e32 v18, v18, v21, vcc
	v_cndmask_b32_e32 v19, v19, v20, vcc
	v_lshlrev_b32_e32 v20, 24, v12
	v_mov_b32_e32 v21, 0x3b800000
	v_lshlrev_b32_e32 v18, 20, v18
	v_and_b32_e32 v20, 0x80000000, v20
	v_lshl_add_u32 v19, v19, 23, v21
	v_or3_b32 v18, v20, v19, v18
.LBB16_1796:
	s_or_b64 exec, exec, s[6:7]
	s_movk_i32 s4, 0x7f
	v_cmp_gt_i16_sdwa s[6:7], v8, s4 src0_sel:BYTE_0 src1_sel:DWORD
	s_mov_b64 s[4:5], 0
                                        ; implicit-def: $sgpr10
	s_and_saveexec_b64 s[8:9], s[6:7]
	s_xor_b64 s[6:7], exec, s[8:9]
	s_cbranch_execnz .LBB16_3845
; %bb.1797:
	s_or_saveexec_b64 s[6:7], s[6:7]
	v_mov_b32_e32 v19, s10
	s_xor_b64 exec, exec, s[6:7]
	s_cbranch_execnz .LBB16_3848
.LBB16_1798:
	s_or_b64 exec, exec, s[6:7]
	s_and_saveexec_b64 s[6:7], s[4:5]
	s_cbranch_execz .LBB16_1800
.LBB16_1799:
	v_and_b32_e32 v19, 7, v8
	v_ffbh_u32_e32 v21, v19
	v_min_u32_e32 v21, 32, v21
	v_lshrrev_b16_e32 v20, 3, v8
	v_subrev_u32_e32 v22, 28, v21
	v_and_b32_e32 v20, 15, v20
	v_lshlrev_b32_e32 v22, v22, v8
	v_sub_u32_e32 v21, 29, v21
	v_and_b32_e32 v22, 7, v22
	v_cmp_eq_u16_e32 vcc, 0, v20
	v_cndmask_b32_e32 v19, v19, v22, vcc
	v_cndmask_b32_e32 v20, v20, v21, vcc
	v_lshlrev_b32_e32 v21, 24, v8
	v_mov_b32_e32 v22, 0x3b800000
	v_lshlrev_b32_e32 v19, 20, v19
	v_and_b32_e32 v21, 0x80000000, v21
	v_lshl_add_u32 v20, v20, 23, v22
	v_or3_b32 v19, v21, v20, v19
.LBB16_1800:
	s_or_b64 exec, exec, s[6:7]
	flat_load_dwordx4 a[0:3], v[16:17] offset:880
	s_movk_i32 s4, 0x7f
                                        ; implicit-def: $sgpr10
	s_waitcnt vmcnt(0) lgkmcnt(0)
	v_mfma_f32_16x16x4f32 a[0:3], v18, v19, a[0:3]
	v_lshrrev_b32_e32 v19, 8, v12
	v_cmp_gt_i16_sdwa s[6:7], v19, s4 src0_sel:BYTE_0 src1_sel:DWORD
	s_mov_b64 s[4:5], 0
	s_and_saveexec_b64 s[8:9], s[6:7]
	s_xor_b64 s[6:7], exec, s[8:9]
	s_cbranch_execnz .LBB16_3849
; %bb.1801:
	s_or_saveexec_b64 s[6:7], s[6:7]
	v_mov_b32_e32 v18, s10
	s_xor_b64 exec, exec, s[6:7]
	s_cbranch_execnz .LBB16_3852
.LBB16_1802:
	s_or_b64 exec, exec, s[6:7]
	s_and_saveexec_b64 s[6:7], s[4:5]
	s_cbranch_execz .LBB16_1804
.LBB16_1803:
	v_bfe_u32 v18, v12, 8, 3
	v_ffbh_u32_e32 v21, v18
	v_min_u32_e32 v21, 32, v21
	v_lshrrev_b16_e32 v20, 3, v19
	v_subrev_u32_e32 v22, 28, v21
	v_and_b32_e32 v20, 15, v20
	v_lshlrev_b32_e32 v19, v22, v19
	v_sub_u32_e32 v21, 29, v21
	v_and_b32_e32 v19, 7, v19
	v_cmp_eq_u16_e32 vcc, 0, v20
	v_cndmask_b32_e32 v18, v18, v19, vcc
	v_cndmask_b32_e32 v19, v20, v21, vcc
	v_lshlrev_b32_e32 v20, 16, v12
	v_mov_b32_e32 v21, 0x3b800000
	v_lshlrev_b32_e32 v18, 20, v18
	v_and_b32_e32 v20, 0x80000000, v20
	v_lshl_add_u32 v19, v19, 23, v21
	v_or3_b32 v18, v20, v19, v18
.LBB16_1804:
	s_or_b64 exec, exec, s[6:7]
	v_lshrrev_b32_e32 v19, 8, v8
	s_movk_i32 s4, 0x7f
	v_cmp_gt_i16_sdwa s[6:7], v19, s4 src0_sel:BYTE_0 src1_sel:DWORD
	s_mov_b64 s[4:5], 0
                                        ; implicit-def: $sgpr10
	s_and_saveexec_b64 s[8:9], s[6:7]
	s_xor_b64 s[6:7], exec, s[8:9]
	s_cbranch_execnz .LBB16_3853
; %bb.1805:
	s_or_saveexec_b64 s[6:7], s[6:7]
	v_mov_b32_e32 v20, s10
	s_xor_b64 exec, exec, s[6:7]
	s_cbranch_execnz .LBB16_3856
.LBB16_1806:
	s_or_b64 exec, exec, s[6:7]
	s_and_saveexec_b64 s[6:7], s[4:5]
	s_cbranch_execz .LBB16_1808
.LBB16_1807:
	v_bfe_u32 v20, v8, 8, 3
	v_ffbh_u32_e32 v22, v20
	v_min_u32_e32 v22, 32, v22
	v_lshrrev_b16_e32 v21, 3, v19
	v_subrev_u32_e32 v23, 28, v22
	v_and_b32_e32 v21, 15, v21
	v_lshlrev_b32_e32 v19, v23, v19
	v_sub_u32_e32 v22, 29, v22
	v_and_b32_e32 v19, 7, v19
	v_cmp_eq_u16_e32 vcc, 0, v21
	v_cndmask_b32_e32 v19, v20, v19, vcc
	v_cndmask_b32_e32 v20, v21, v22, vcc
	v_lshlrev_b32_e32 v21, 16, v8
	v_mov_b32_e32 v22, 0x3b800000
	v_lshlrev_b32_e32 v19, 20, v19
	v_and_b32_e32 v21, 0x80000000, v21
	v_lshl_add_u32 v20, v20, 23, v22
	v_or3_b32 v20, v21, v20, v19
.LBB16_1808:
	s_or_b64 exec, exec, s[6:7]
	s_nop 0
	v_mfma_f32_16x16x4f32 a[0:3], v18, v20, a[0:3]
	s_movk_i32 s4, 0xff
	v_and_b32_sdwa v19, v12, s4 dst_sel:DWORD dst_unused:UNUSED_PAD src0_sel:WORD_1 src1_sel:DWORD
	s_movk_i32 s4, 0x7f
	v_cmp_lt_i16_e32 vcc, s4, v19
	s_mov_b64 s[4:5], 0
                                        ; implicit-def: $sgpr10
	s_and_saveexec_b64 s[6:7], vcc
	s_xor_b64 s[6:7], exec, s[6:7]
	s_cbranch_execnz .LBB16_3857
; %bb.1809:
	s_or_saveexec_b64 s[6:7], s[6:7]
	v_mov_b32_e32 v18, s10
	s_xor_b64 exec, exec, s[6:7]
	s_cbranch_execnz .LBB16_3860
.LBB16_1810:
	s_or_b64 exec, exec, s[6:7]
	s_and_saveexec_b64 s[6:7], s[4:5]
	s_cbranch_execz .LBB16_1812
.LBB16_1811:
	v_bfe_u32 v18, v12, 16, 3
	v_ffbh_u32_e32 v21, v18
	v_min_u32_e32 v21, 32, v21
	v_lshrrev_b32_e32 v19, 19, v12
	v_subrev_u32_e32 v22, 28, v21
	v_and_b32_e32 v19, 15, v19
	v_lshlrev_b32_sdwa v22, v22, v12 dst_sel:DWORD dst_unused:UNUSED_PAD src0_sel:DWORD src1_sel:WORD_1
	v_bfe_u32 v20, v12, 19, 4
	v_sub_u32_e32 v21, 29, v21
	v_and_b32_e32 v22, 7, v22
	v_cmp_eq_u16_e32 vcc, 0, v19
	v_cndmask_b32_e32 v18, v18, v22, vcc
	v_cndmask_b32_e32 v19, v20, v21, vcc
	v_lshlrev_b32_e32 v20, 8, v12
	v_mov_b32_e32 v21, 0x3b800000
	v_lshlrev_b32_e32 v18, 20, v18
	v_and_b32_e32 v20, 0x80000000, v20
	v_lshl_add_u32 v19, v19, 23, v21
	v_or3_b32 v18, v20, v19, v18
.LBB16_1812:
	s_or_b64 exec, exec, s[6:7]
	s_movk_i32 s4, 0xff
	v_and_b32_sdwa v19, v8, s4 dst_sel:DWORD dst_unused:UNUSED_PAD src0_sel:WORD_1 src1_sel:DWORD
	s_movk_i32 s4, 0x7f
	v_cmp_lt_i16_e32 vcc, s4, v19
	s_mov_b64 s[4:5], 0
                                        ; implicit-def: $sgpr10
	s_and_saveexec_b64 s[6:7], vcc
	s_xor_b64 s[6:7], exec, s[6:7]
	s_cbranch_execnz .LBB16_3861
; %bb.1813:
	s_or_saveexec_b64 s[6:7], s[6:7]
	v_mov_b32_e32 v20, s10
	s_xor_b64 exec, exec, s[6:7]
	s_cbranch_execnz .LBB16_3864
.LBB16_1814:
	s_or_b64 exec, exec, s[6:7]
	s_and_saveexec_b64 s[6:7], s[4:5]
	s_cbranch_execz .LBB16_1816
.LBB16_1815:
	v_bfe_u32 v19, v8, 16, 3
	v_ffbh_u32_e32 v22, v19
	v_min_u32_e32 v22, 32, v22
	v_lshrrev_b32_e32 v20, 19, v8
	v_subrev_u32_e32 v23, 28, v22
	v_and_b32_e32 v20, 15, v20
	v_lshlrev_b32_sdwa v23, v23, v8 dst_sel:DWORD dst_unused:UNUSED_PAD src0_sel:DWORD src1_sel:WORD_1
	v_bfe_u32 v21, v8, 19, 4
	v_sub_u32_e32 v22, 29, v22
	v_and_b32_e32 v23, 7, v23
	v_cmp_eq_u16_e32 vcc, 0, v20
	v_cndmask_b32_e32 v19, v19, v23, vcc
	v_cndmask_b32_e32 v20, v21, v22, vcc
	v_lshlrev_b32_e32 v21, 8, v8
	v_mov_b32_e32 v22, 0x3b800000
	v_lshlrev_b32_e32 v19, 20, v19
	v_and_b32_e32 v21, 0x80000000, v21
	v_lshl_add_u32 v20, v20, 23, v22
	v_or3_b32 v20, v21, v20, v19
.LBB16_1816:
	s_or_b64 exec, exec, s[6:7]
	s_nop 0
	v_mfma_f32_16x16x4f32 a[0:3], v18, v20, a[0:3]
	s_movk_i32 s4, 0x7f
	v_cmp_gt_i16_sdwa s[6:7], v12, s4 src0_sel:BYTE_3 src1_sel:DWORD
	s_mov_b64 s[4:5], 0
                                        ; implicit-def: $sgpr10
	s_and_saveexec_b64 s[8:9], s[6:7]
	s_xor_b64 s[6:7], exec, s[8:9]
	s_cbranch_execnz .LBB16_3865
; %bb.1817:
	s_or_saveexec_b64 s[6:7], s[6:7]
	v_mov_b32_e32 v18, s10
	s_xor_b64 exec, exec, s[6:7]
	s_cbranch_execnz .LBB16_3868
.LBB16_1818:
	s_or_b64 exec, exec, s[6:7]
	s_and_saveexec_b64 s[6:7], s[4:5]
	s_cbranch_execz .LBB16_1820
.LBB16_1819:
	v_bfe_u32 v18, v12, 24, 3
	v_ffbh_u32_e32 v22, v18
	v_min_u32_e32 v22, 32, v22
	v_lshrrev_b32_e32 v20, 27, v12
	v_subrev_u32_e32 v23, 28, v22
	v_and_b32_e32 v19, 0x80000000, v12
	v_and_b32_e32 v20, 15, v20
	v_bfe_u32 v21, v12, 27, 4
	v_lshlrev_b32_sdwa v12, v23, v12 dst_sel:DWORD dst_unused:UNUSED_PAD src0_sel:DWORD src1_sel:BYTE_3
	v_sub_u32_e32 v22, 29, v22
	v_and_b32_e32 v12, 7, v12
	v_cmp_eq_u16_e32 vcc, 0, v20
	v_cndmask_b32_e32 v12, v18, v12, vcc
	v_cndmask_b32_e32 v18, v21, v22, vcc
	v_mov_b32_e32 v20, 0x3b800000
	v_lshlrev_b32_e32 v12, 20, v12
	v_lshl_add_u32 v18, v18, 23, v20
	v_or3_b32 v18, v19, v18, v12
.LBB16_1820:
	s_or_b64 exec, exec, s[6:7]
	s_movk_i32 s4, 0x7f
	v_cmp_gt_i16_sdwa s[6:7], v8, s4 src0_sel:BYTE_3 src1_sel:DWORD
	s_mov_b64 s[4:5], 0
                                        ; implicit-def: $sgpr10
	s_and_saveexec_b64 s[8:9], s[6:7]
	s_xor_b64 s[6:7], exec, s[8:9]
	s_cbranch_execnz .LBB16_3869
; %bb.1821:
	s_or_saveexec_b64 s[6:7], s[6:7]
	v_mov_b32_e32 v12, s10
	s_xor_b64 exec, exec, s[6:7]
	s_cbranch_execnz .LBB16_3872
.LBB16_1822:
	s_or_b64 exec, exec, s[6:7]
	s_and_saveexec_b64 s[6:7], s[4:5]
	s_cbranch_execz .LBB16_1824
.LBB16_1823:
	v_bfe_u32 v12, v8, 24, 3
	v_ffbh_u32_e32 v22, v12
	v_min_u32_e32 v22, 32, v22
	v_lshrrev_b32_e32 v20, 27, v8
	v_subrev_u32_e32 v23, 28, v22
	v_and_b32_e32 v19, 0x80000000, v8
	v_and_b32_e32 v20, 15, v20
	v_bfe_u32 v21, v8, 27, 4
	v_lshlrev_b32_sdwa v8, v23, v8 dst_sel:DWORD dst_unused:UNUSED_PAD src0_sel:DWORD src1_sel:BYTE_3
	v_sub_u32_e32 v22, 29, v22
	v_and_b32_e32 v8, 7, v8
	v_cmp_eq_u16_e32 vcc, 0, v20
	v_cndmask_b32_e32 v8, v12, v8, vcc
	v_cndmask_b32_e32 v12, v21, v22, vcc
	v_mov_b32_e32 v20, 0x3b800000
	v_lshlrev_b32_e32 v8, 20, v8
	v_lshl_add_u32 v12, v12, 23, v20
	v_or3_b32 v12, v19, v12, v8
.LBB16_1824:
	s_or_b64 exec, exec, s[6:7]
	s_nop 0
	v_mfma_f32_16x16x4f32 a[0:3], v18, v12, a[0:3]
	s_movk_i32 s4, 0x7f
	v_cmp_gt_i16_sdwa s[6:7], v13, s4 src0_sel:BYTE_0 src1_sel:DWORD
	s_mov_b64 s[4:5], 0
                                        ; implicit-def: $sgpr10
	s_and_saveexec_b64 s[8:9], s[6:7]
	s_xor_b64 s[6:7], exec, s[8:9]
	s_cbranch_execnz .LBB16_3873
; %bb.1825:
	s_or_saveexec_b64 s[6:7], s[6:7]
	v_mov_b32_e32 v8, s10
	s_xor_b64 exec, exec, s[6:7]
	s_cbranch_execnz .LBB16_3876
.LBB16_1826:
	s_or_b64 exec, exec, s[6:7]
	s_and_saveexec_b64 s[6:7], s[4:5]
	s_cbranch_execz .LBB16_1828
.LBB16_1827:
	v_and_b32_e32 v8, 7, v13
	v_ffbh_u32_e32 v18, v8
	v_min_u32_e32 v18, 32, v18
	v_lshrrev_b16_e32 v12, 3, v13
	v_subrev_u32_e32 v19, 28, v18
	v_and_b32_e32 v12, 15, v12
	v_lshlrev_b32_e32 v19, v19, v13
	v_sub_u32_e32 v18, 29, v18
	v_and_b32_e32 v19, 7, v19
	v_cmp_eq_u16_e32 vcc, 0, v12
	v_cndmask_b32_e32 v8, v8, v19, vcc
	v_cndmask_b32_e32 v12, v12, v18, vcc
	v_lshlrev_b32_e32 v18, 24, v13
	v_mov_b32_e32 v19, 0x3b800000
	v_lshlrev_b32_e32 v8, 20, v8
	v_and_b32_e32 v18, 0x80000000, v18
	v_lshl_add_u32 v12, v12, 23, v19
	v_or3_b32 v8, v18, v12, v8
.LBB16_1828:
	s_or_b64 exec, exec, s[6:7]
	s_movk_i32 s4, 0x7f
	v_cmp_gt_i16_sdwa s[6:7], v9, s4 src0_sel:BYTE_0 src1_sel:DWORD
	s_mov_b64 s[4:5], 0
                                        ; implicit-def: $sgpr10
	s_and_saveexec_b64 s[8:9], s[6:7]
	s_xor_b64 s[6:7], exec, s[8:9]
	s_cbranch_execnz .LBB16_3877
; %bb.1829:
	s_or_saveexec_b64 s[6:7], s[6:7]
	v_mov_b32_e32 v12, s10
	s_xor_b64 exec, exec, s[6:7]
	s_cbranch_execnz .LBB16_3880
.LBB16_1830:
	s_or_b64 exec, exec, s[6:7]
	s_and_saveexec_b64 s[6:7], s[4:5]
	s_cbranch_execz .LBB16_1832
.LBB16_1831:
	v_and_b32_e32 v12, 7, v9
	v_ffbh_u32_e32 v19, v12
	v_min_u32_e32 v19, 32, v19
	v_lshrrev_b16_e32 v18, 3, v9
	v_subrev_u32_e32 v20, 28, v19
	v_and_b32_e32 v18, 15, v18
	v_lshlrev_b32_e32 v20, v20, v9
	v_sub_u32_e32 v19, 29, v19
	v_and_b32_e32 v20, 7, v20
	v_cmp_eq_u16_e32 vcc, 0, v18
	v_cndmask_b32_e32 v12, v12, v20, vcc
	v_cndmask_b32_e32 v18, v18, v19, vcc
	v_lshlrev_b32_e32 v19, 24, v9
	v_mov_b32_e32 v20, 0x3b800000
	v_lshlrev_b32_e32 v12, 20, v12
	v_and_b32_e32 v19, 0x80000000, v19
	v_lshl_add_u32 v18, v18, 23, v20
	v_or3_b32 v12, v19, v18, v12
.LBB16_1832:
	s_or_b64 exec, exec, s[6:7]
	s_nop 0
	v_mfma_f32_16x16x4f32 a[0:3], v8, v12, a[0:3]
	v_lshrrev_b32_e32 v12, 8, v13
	s_movk_i32 s4, 0x7f
	v_cmp_gt_i16_sdwa s[6:7], v12, s4 src0_sel:BYTE_0 src1_sel:DWORD
	s_mov_b64 s[4:5], 0
                                        ; implicit-def: $sgpr10
	s_and_saveexec_b64 s[8:9], s[6:7]
	s_xor_b64 s[6:7], exec, s[8:9]
	s_cbranch_execnz .LBB16_3881
; %bb.1833:
	s_or_saveexec_b64 s[6:7], s[6:7]
	v_mov_b32_e32 v8, s10
	s_xor_b64 exec, exec, s[6:7]
	s_cbranch_execnz .LBB16_3884
.LBB16_1834:
	s_or_b64 exec, exec, s[6:7]
	s_and_saveexec_b64 s[6:7], s[4:5]
	s_cbranch_execz .LBB16_1836
.LBB16_1835:
	v_bfe_u32 v8, v13, 8, 3
	v_ffbh_u32_e32 v19, v8
	v_min_u32_e32 v19, 32, v19
	v_lshrrev_b16_e32 v18, 3, v12
	v_subrev_u32_e32 v20, 28, v19
	v_and_b32_e32 v18, 15, v18
	v_lshlrev_b32_e32 v12, v20, v12
	v_sub_u32_e32 v19, 29, v19
	v_and_b32_e32 v12, 7, v12
	v_cmp_eq_u16_e32 vcc, 0, v18
	v_cndmask_b32_e32 v8, v8, v12, vcc
	v_cndmask_b32_e32 v12, v18, v19, vcc
	v_lshlrev_b32_e32 v18, 16, v13
	v_mov_b32_e32 v19, 0x3b800000
	v_lshlrev_b32_e32 v8, 20, v8
	v_and_b32_e32 v18, 0x80000000, v18
	v_lshl_add_u32 v12, v12, 23, v19
	v_or3_b32 v8, v18, v12, v8
.LBB16_1836:
	s_or_b64 exec, exec, s[6:7]
	v_lshrrev_b32_e32 v12, 8, v9
	s_movk_i32 s4, 0x7f
	v_cmp_gt_i16_sdwa s[6:7], v12, s4 src0_sel:BYTE_0 src1_sel:DWORD
	s_mov_b64 s[4:5], 0
                                        ; implicit-def: $sgpr10
	s_and_saveexec_b64 s[8:9], s[6:7]
	s_xor_b64 s[6:7], exec, s[8:9]
	s_cbranch_execnz .LBB16_3885
; %bb.1837:
	s_or_saveexec_b64 s[6:7], s[6:7]
	v_mov_b32_e32 v18, s10
	s_xor_b64 exec, exec, s[6:7]
	s_cbranch_execnz .LBB16_3888
.LBB16_1838:
	s_or_b64 exec, exec, s[6:7]
	s_and_saveexec_b64 s[6:7], s[4:5]
	s_cbranch_execz .LBB16_1840
.LBB16_1839:
	v_bfe_u32 v18, v9, 8, 3
	v_ffbh_u32_e32 v20, v18
	v_min_u32_e32 v20, 32, v20
	v_lshrrev_b16_e32 v19, 3, v12
	v_subrev_u32_e32 v21, 28, v20
	v_and_b32_e32 v19, 15, v19
	v_lshlrev_b32_e32 v12, v21, v12
	v_sub_u32_e32 v20, 29, v20
	v_and_b32_e32 v12, 7, v12
	v_cmp_eq_u16_e32 vcc, 0, v19
	v_cndmask_b32_e32 v12, v18, v12, vcc
	v_cndmask_b32_e32 v18, v19, v20, vcc
	v_lshlrev_b32_e32 v19, 16, v9
	v_mov_b32_e32 v20, 0x3b800000
	v_lshlrev_b32_e32 v12, 20, v12
	v_and_b32_e32 v19, 0x80000000, v19
	v_lshl_add_u32 v18, v18, 23, v20
	v_or3_b32 v18, v19, v18, v12
.LBB16_1840:
	s_or_b64 exec, exec, s[6:7]
	s_nop 0
	v_mfma_f32_16x16x4f32 a[0:3], v8, v18, a[0:3]
	s_movk_i32 s4, 0xff
	v_and_b32_sdwa v12, v13, s4 dst_sel:DWORD dst_unused:UNUSED_PAD src0_sel:WORD_1 src1_sel:DWORD
	s_movk_i32 s4, 0x7f
	v_cmp_lt_i16_e32 vcc, s4, v12
	s_mov_b64 s[4:5], 0
                                        ; implicit-def: $sgpr10
	s_and_saveexec_b64 s[6:7], vcc
	s_xor_b64 s[6:7], exec, s[6:7]
	s_cbranch_execnz .LBB16_3889
; %bb.1841:
	s_or_saveexec_b64 s[6:7], s[6:7]
	v_mov_b32_e32 v8, s10
	s_xor_b64 exec, exec, s[6:7]
	s_cbranch_execnz .LBB16_3892
.LBB16_1842:
	s_or_b64 exec, exec, s[6:7]
	s_and_saveexec_b64 s[6:7], s[4:5]
	s_cbranch_execz .LBB16_1844
.LBB16_1843:
	v_bfe_u32 v8, v13, 16, 3
	v_ffbh_u32_e32 v19, v8
	v_min_u32_e32 v19, 32, v19
	v_lshrrev_b32_e32 v12, 19, v13
	v_subrev_u32_e32 v20, 28, v19
	v_and_b32_e32 v12, 15, v12
	v_lshlrev_b32_sdwa v20, v20, v13 dst_sel:DWORD dst_unused:UNUSED_PAD src0_sel:DWORD src1_sel:WORD_1
	v_bfe_u32 v18, v13, 19, 4
	v_sub_u32_e32 v19, 29, v19
	v_and_b32_e32 v20, 7, v20
	v_cmp_eq_u16_e32 vcc, 0, v12
	v_cndmask_b32_e32 v8, v8, v20, vcc
	v_cndmask_b32_e32 v12, v18, v19, vcc
	v_lshlrev_b32_e32 v18, 8, v13
	v_mov_b32_e32 v19, 0x3b800000
	v_lshlrev_b32_e32 v8, 20, v8
	v_and_b32_e32 v18, 0x80000000, v18
	v_lshl_add_u32 v12, v12, 23, v19
	v_or3_b32 v8, v18, v12, v8
.LBB16_1844:
	s_or_b64 exec, exec, s[6:7]
	s_movk_i32 s4, 0xff
	v_and_b32_sdwa v12, v9, s4 dst_sel:DWORD dst_unused:UNUSED_PAD src0_sel:WORD_1 src1_sel:DWORD
	s_movk_i32 s4, 0x7f
	v_cmp_lt_i16_e32 vcc, s4, v12
	s_mov_b64 s[4:5], 0
                                        ; implicit-def: $sgpr10
	s_and_saveexec_b64 s[6:7], vcc
	s_xor_b64 s[6:7], exec, s[6:7]
	s_cbranch_execnz .LBB16_3893
; %bb.1845:
	s_or_saveexec_b64 s[6:7], s[6:7]
	v_mov_b32_e32 v18, s10
	s_xor_b64 exec, exec, s[6:7]
	s_cbranch_execnz .LBB16_3896
.LBB16_1846:
	s_or_b64 exec, exec, s[6:7]
	s_and_saveexec_b64 s[6:7], s[4:5]
	s_cbranch_execz .LBB16_1848
.LBB16_1847:
	v_bfe_u32 v12, v9, 16, 3
	v_ffbh_u32_e32 v20, v12
	v_min_u32_e32 v20, 32, v20
	v_lshrrev_b32_e32 v18, 19, v9
	v_subrev_u32_e32 v21, 28, v20
	v_and_b32_e32 v18, 15, v18
	v_lshlrev_b32_sdwa v21, v21, v9 dst_sel:DWORD dst_unused:UNUSED_PAD src0_sel:DWORD src1_sel:WORD_1
	v_bfe_u32 v19, v9, 19, 4
	v_sub_u32_e32 v20, 29, v20
	v_and_b32_e32 v21, 7, v21
	v_cmp_eq_u16_e32 vcc, 0, v18
	v_cndmask_b32_e32 v12, v12, v21, vcc
	v_cndmask_b32_e32 v18, v19, v20, vcc
	v_lshlrev_b32_e32 v19, 8, v9
	v_mov_b32_e32 v20, 0x3b800000
	v_lshlrev_b32_e32 v12, 20, v12
	v_and_b32_e32 v19, 0x80000000, v19
	v_lshl_add_u32 v18, v18, 23, v20
	v_or3_b32 v18, v19, v18, v12
.LBB16_1848:
	s_or_b64 exec, exec, s[6:7]
	s_nop 0
	v_mfma_f32_16x16x4f32 a[0:3], v8, v18, a[0:3]
	s_movk_i32 s4, 0x7f
	v_cmp_gt_i16_sdwa s[6:7], v13, s4 src0_sel:BYTE_3 src1_sel:DWORD
	s_mov_b64 s[4:5], 0
                                        ; implicit-def: $sgpr10
	s_and_saveexec_b64 s[8:9], s[6:7]
	s_xor_b64 s[6:7], exec, s[8:9]
	s_cbranch_execnz .LBB16_3897
; %bb.1849:
	s_or_saveexec_b64 s[6:7], s[6:7]
	v_mov_b32_e32 v8, s10
	s_xor_b64 exec, exec, s[6:7]
	s_cbranch_execnz .LBB16_3900
.LBB16_1850:
	s_or_b64 exec, exec, s[6:7]
	s_and_saveexec_b64 s[6:7], s[4:5]
	s_cbranch_execz .LBB16_1852
.LBB16_1851:
	v_bfe_u32 v8, v13, 24, 3
	v_ffbh_u32_e32 v20, v8
	v_min_u32_e32 v20, 32, v20
	v_lshrrev_b32_e32 v18, 27, v13
	v_subrev_u32_e32 v21, 28, v20
	v_and_b32_e32 v12, 0x80000000, v13
	v_and_b32_e32 v18, 15, v18
	v_bfe_u32 v19, v13, 27, 4
	v_lshlrev_b32_sdwa v13, v21, v13 dst_sel:DWORD dst_unused:UNUSED_PAD src0_sel:DWORD src1_sel:BYTE_3
	v_sub_u32_e32 v20, 29, v20
	v_and_b32_e32 v13, 7, v13
	v_cmp_eq_u16_e32 vcc, 0, v18
	v_cndmask_b32_e32 v8, v8, v13, vcc
	v_cndmask_b32_e32 v13, v19, v20, vcc
	v_mov_b32_e32 v18, 0x3b800000
	v_lshlrev_b32_e32 v8, 20, v8
	v_lshl_add_u32 v13, v13, 23, v18
	v_or3_b32 v8, v12, v13, v8
.LBB16_1852:
	s_or_b64 exec, exec, s[6:7]
	s_movk_i32 s4, 0x7f
	v_cmp_gt_i16_sdwa s[6:7], v9, s4 src0_sel:BYTE_3 src1_sel:DWORD
	s_mov_b64 s[4:5], 0
                                        ; implicit-def: $sgpr10
	s_and_saveexec_b64 s[8:9], s[6:7]
	s_xor_b64 s[6:7], exec, s[8:9]
	s_cbranch_execnz .LBB16_3901
; %bb.1853:
	s_or_saveexec_b64 s[6:7], s[6:7]
	v_mov_b32_e32 v12, s10
	s_xor_b64 exec, exec, s[6:7]
	s_cbranch_execnz .LBB16_3904
.LBB16_1854:
	s_or_b64 exec, exec, s[6:7]
	s_and_saveexec_b64 s[6:7], s[4:5]
	s_cbranch_execz .LBB16_1856
.LBB16_1855:
	v_bfe_u32 v12, v9, 24, 3
	v_ffbh_u32_e32 v20, v12
	v_min_u32_e32 v20, 32, v20
	v_lshrrev_b32_e32 v18, 27, v9
	v_subrev_u32_e32 v21, 28, v20
	v_and_b32_e32 v13, 0x80000000, v9
	v_and_b32_e32 v18, 15, v18
	v_bfe_u32 v19, v9, 27, 4
	v_lshlrev_b32_sdwa v9, v21, v9 dst_sel:DWORD dst_unused:UNUSED_PAD src0_sel:DWORD src1_sel:BYTE_3
	v_sub_u32_e32 v20, 29, v20
	v_and_b32_e32 v9, 7, v9
	v_cmp_eq_u16_e32 vcc, 0, v18
	v_cndmask_b32_e32 v9, v12, v9, vcc
	v_cndmask_b32_e32 v12, v19, v20, vcc
	v_mov_b32_e32 v18, 0x3b800000
	v_lshlrev_b32_e32 v9, 20, v9
	v_lshl_add_u32 v12, v12, 23, v18
	v_or3_b32 v12, v13, v12, v9
.LBB16_1856:
	s_or_b64 exec, exec, s[6:7]
	s_nop 0
	v_mfma_f32_16x16x4f32 a[0:3], v8, v12, a[0:3]
	s_movk_i32 s4, 0x7f
	v_cmp_gt_i16_sdwa s[6:7], v14, s4 src0_sel:BYTE_0 src1_sel:DWORD
	s_mov_b64 s[4:5], 0
                                        ; implicit-def: $sgpr10
	s_and_saveexec_b64 s[8:9], s[6:7]
	s_xor_b64 s[6:7], exec, s[8:9]
	s_cbranch_execnz .LBB16_3905
; %bb.1857:
	s_or_saveexec_b64 s[6:7], s[6:7]
	v_mov_b32_e32 v8, s10
	s_xor_b64 exec, exec, s[6:7]
	s_cbranch_execnz .LBB16_3908
.LBB16_1858:
	s_or_b64 exec, exec, s[6:7]
	s_and_saveexec_b64 s[6:7], s[4:5]
	s_cbranch_execz .LBB16_1860
.LBB16_1859:
	v_and_b32_e32 v8, 7, v14
	v_ffbh_u32_e32 v12, v8
	v_min_u32_e32 v12, 32, v12
	v_lshrrev_b16_e32 v9, 3, v14
	v_subrev_u32_e32 v13, 28, v12
	v_and_b32_e32 v9, 15, v9
	v_lshlrev_b32_e32 v13, v13, v14
	v_sub_u32_e32 v12, 29, v12
	v_and_b32_e32 v13, 7, v13
	v_cmp_eq_u16_e32 vcc, 0, v9
	v_cndmask_b32_e32 v8, v8, v13, vcc
	v_cndmask_b32_e32 v9, v9, v12, vcc
	v_lshlrev_b32_e32 v12, 24, v14
	v_mov_b32_e32 v13, 0x3b800000
	v_lshlrev_b32_e32 v8, 20, v8
	v_and_b32_e32 v12, 0x80000000, v12
	v_lshl_add_u32 v9, v9, 23, v13
	v_or3_b32 v8, v12, v9, v8
.LBB16_1860:
	s_or_b64 exec, exec, s[6:7]
	s_movk_i32 s4, 0x7f
	v_cmp_gt_i16_sdwa s[6:7], v10, s4 src0_sel:BYTE_0 src1_sel:DWORD
	s_mov_b64 s[4:5], 0
                                        ; implicit-def: $sgpr10
	s_and_saveexec_b64 s[8:9], s[6:7]
	s_xor_b64 s[6:7], exec, s[8:9]
	s_cbranch_execnz .LBB16_3909
; %bb.1861:
	s_or_saveexec_b64 s[6:7], s[6:7]
	v_mov_b32_e32 v9, s10
	s_xor_b64 exec, exec, s[6:7]
	s_cbranch_execnz .LBB16_3912
.LBB16_1862:
	s_or_b64 exec, exec, s[6:7]
	s_and_saveexec_b64 s[6:7], s[4:5]
	s_cbranch_execz .LBB16_1864
.LBB16_1863:
	v_and_b32_e32 v9, 7, v10
	v_ffbh_u32_e32 v13, v9
	v_min_u32_e32 v13, 32, v13
	v_lshrrev_b16_e32 v12, 3, v10
	v_subrev_u32_e32 v18, 28, v13
	v_and_b32_e32 v12, 15, v12
	v_lshlrev_b32_e32 v18, v18, v10
	v_sub_u32_e32 v13, 29, v13
	v_and_b32_e32 v18, 7, v18
	v_cmp_eq_u16_e32 vcc, 0, v12
	v_cndmask_b32_e32 v9, v9, v18, vcc
	v_cndmask_b32_e32 v12, v12, v13, vcc
	v_lshlrev_b32_e32 v13, 24, v10
	v_mov_b32_e32 v18, 0x3b800000
	v_lshlrev_b32_e32 v9, 20, v9
	v_and_b32_e32 v13, 0x80000000, v13
	v_lshl_add_u32 v12, v12, 23, v18
	v_or3_b32 v9, v13, v12, v9
.LBB16_1864:
	s_or_b64 exec, exec, s[6:7]
	s_nop 0
	v_mfma_f32_16x16x4f32 a[0:3], v8, v9, a[0:3]
	v_lshrrev_b32_e32 v9, 8, v14
	s_movk_i32 s4, 0x7f
	v_cmp_gt_i16_sdwa s[6:7], v9, s4 src0_sel:BYTE_0 src1_sel:DWORD
	s_mov_b64 s[4:5], 0
                                        ; implicit-def: $sgpr10
	s_and_saveexec_b64 s[8:9], s[6:7]
	s_xor_b64 s[6:7], exec, s[8:9]
	s_cbranch_execnz .LBB16_3913
; %bb.1865:
	s_or_saveexec_b64 s[6:7], s[6:7]
	v_mov_b32_e32 v8, s10
	s_xor_b64 exec, exec, s[6:7]
	s_cbranch_execnz .LBB16_3916
.LBB16_1866:
	s_or_b64 exec, exec, s[6:7]
	s_and_saveexec_b64 s[6:7], s[4:5]
	s_cbranch_execz .LBB16_1868
.LBB16_1867:
	v_bfe_u32 v8, v14, 8, 3
	v_ffbh_u32_e32 v13, v8
	v_min_u32_e32 v13, 32, v13
	v_lshrrev_b16_e32 v12, 3, v9
	v_subrev_u32_e32 v18, 28, v13
	v_and_b32_e32 v12, 15, v12
	v_lshlrev_b32_e32 v9, v18, v9
	v_sub_u32_e32 v13, 29, v13
	v_and_b32_e32 v9, 7, v9
	v_cmp_eq_u16_e32 vcc, 0, v12
	v_cndmask_b32_e32 v8, v8, v9, vcc
	v_cndmask_b32_e32 v9, v12, v13, vcc
	v_lshlrev_b32_e32 v12, 16, v14
	v_mov_b32_e32 v13, 0x3b800000
	v_lshlrev_b32_e32 v8, 20, v8
	v_and_b32_e32 v12, 0x80000000, v12
	v_lshl_add_u32 v9, v9, 23, v13
	v_or3_b32 v8, v12, v9, v8
.LBB16_1868:
	s_or_b64 exec, exec, s[6:7]
	v_lshrrev_b32_e32 v9, 8, v10
	s_movk_i32 s4, 0x7f
	v_cmp_gt_i16_sdwa s[6:7], v9, s4 src0_sel:BYTE_0 src1_sel:DWORD
	s_mov_b64 s[4:5], 0
                                        ; implicit-def: $sgpr10
	s_and_saveexec_b64 s[8:9], s[6:7]
	s_xor_b64 s[6:7], exec, s[8:9]
	s_cbranch_execnz .LBB16_3917
; %bb.1869:
	s_or_saveexec_b64 s[6:7], s[6:7]
	v_mov_b32_e32 v12, s10
	s_xor_b64 exec, exec, s[6:7]
	s_cbranch_execnz .LBB16_3920
.LBB16_1870:
	s_or_b64 exec, exec, s[6:7]
	s_and_saveexec_b64 s[6:7], s[4:5]
	s_cbranch_execz .LBB16_1872
.LBB16_1871:
	v_bfe_u32 v12, v10, 8, 3
	v_ffbh_u32_e32 v18, v12
	v_min_u32_e32 v18, 32, v18
	v_lshrrev_b16_e32 v13, 3, v9
	v_subrev_u32_e32 v19, 28, v18
	v_and_b32_e32 v13, 15, v13
	v_lshlrev_b32_e32 v9, v19, v9
	v_sub_u32_e32 v18, 29, v18
	v_and_b32_e32 v9, 7, v9
	v_cmp_eq_u16_e32 vcc, 0, v13
	v_cndmask_b32_e32 v9, v12, v9, vcc
	v_cndmask_b32_e32 v12, v13, v18, vcc
	v_lshlrev_b32_e32 v13, 16, v10
	v_mov_b32_e32 v18, 0x3b800000
	v_lshlrev_b32_e32 v9, 20, v9
	v_and_b32_e32 v13, 0x80000000, v13
	v_lshl_add_u32 v12, v12, 23, v18
	v_or3_b32 v12, v13, v12, v9
.LBB16_1872:
	s_or_b64 exec, exec, s[6:7]
	s_nop 0
	v_mfma_f32_16x16x4f32 a[0:3], v8, v12, a[0:3]
	s_movk_i32 s4, 0xff
	v_and_b32_sdwa v9, v14, s4 dst_sel:DWORD dst_unused:UNUSED_PAD src0_sel:WORD_1 src1_sel:DWORD
	s_movk_i32 s4, 0x7f
	v_cmp_lt_i16_e32 vcc, s4, v9
	s_mov_b64 s[4:5], 0
                                        ; implicit-def: $sgpr10
	s_and_saveexec_b64 s[6:7], vcc
	s_xor_b64 s[6:7], exec, s[6:7]
	s_cbranch_execnz .LBB16_3921
; %bb.1873:
	s_or_saveexec_b64 s[6:7], s[6:7]
	v_mov_b32_e32 v8, s10
	s_xor_b64 exec, exec, s[6:7]
	s_cbranch_execnz .LBB16_3924
.LBB16_1874:
	s_or_b64 exec, exec, s[6:7]
	s_and_saveexec_b64 s[6:7], s[4:5]
	s_cbranch_execz .LBB16_1876
.LBB16_1875:
	v_bfe_u32 v8, v14, 16, 3
	v_ffbh_u32_e32 v13, v8
	v_min_u32_e32 v13, 32, v13
	v_lshrrev_b32_e32 v9, 19, v14
	v_subrev_u32_e32 v18, 28, v13
	v_and_b32_e32 v9, 15, v9
	v_lshlrev_b32_sdwa v18, v18, v14 dst_sel:DWORD dst_unused:UNUSED_PAD src0_sel:DWORD src1_sel:WORD_1
	v_bfe_u32 v12, v14, 19, 4
	v_sub_u32_e32 v13, 29, v13
	v_and_b32_e32 v18, 7, v18
	v_cmp_eq_u16_e32 vcc, 0, v9
	v_cndmask_b32_e32 v8, v8, v18, vcc
	v_cndmask_b32_e32 v9, v12, v13, vcc
	v_lshlrev_b32_e32 v12, 8, v14
	v_mov_b32_e32 v13, 0x3b800000
	v_lshlrev_b32_e32 v8, 20, v8
	v_and_b32_e32 v12, 0x80000000, v12
	v_lshl_add_u32 v9, v9, 23, v13
	v_or3_b32 v8, v12, v9, v8
.LBB16_1876:
	s_or_b64 exec, exec, s[6:7]
	s_movk_i32 s4, 0xff
	v_and_b32_sdwa v9, v10, s4 dst_sel:DWORD dst_unused:UNUSED_PAD src0_sel:WORD_1 src1_sel:DWORD
	s_movk_i32 s4, 0x7f
	v_cmp_lt_i16_e32 vcc, s4, v9
	s_mov_b64 s[4:5], 0
                                        ; implicit-def: $sgpr10
	s_and_saveexec_b64 s[6:7], vcc
	s_xor_b64 s[6:7], exec, s[6:7]
	s_cbranch_execnz .LBB16_3925
; %bb.1877:
	s_or_saveexec_b64 s[6:7], s[6:7]
	v_mov_b32_e32 v12, s10
	s_xor_b64 exec, exec, s[6:7]
	s_cbranch_execnz .LBB16_3928
.LBB16_1878:
	s_or_b64 exec, exec, s[6:7]
	s_and_saveexec_b64 s[6:7], s[4:5]
	s_cbranch_execz .LBB16_1880
.LBB16_1879:
	v_bfe_u32 v9, v10, 16, 3
	v_ffbh_u32_e32 v18, v9
	v_min_u32_e32 v18, 32, v18
	v_lshrrev_b32_e32 v12, 19, v10
	v_subrev_u32_e32 v19, 28, v18
	v_and_b32_e32 v12, 15, v12
	v_lshlrev_b32_sdwa v19, v19, v10 dst_sel:DWORD dst_unused:UNUSED_PAD src0_sel:DWORD src1_sel:WORD_1
	v_bfe_u32 v13, v10, 19, 4
	v_sub_u32_e32 v18, 29, v18
	v_and_b32_e32 v19, 7, v19
	v_cmp_eq_u16_e32 vcc, 0, v12
	v_cndmask_b32_e32 v9, v9, v19, vcc
	v_cndmask_b32_e32 v12, v13, v18, vcc
	v_lshlrev_b32_e32 v13, 8, v10
	v_mov_b32_e32 v18, 0x3b800000
	v_lshlrev_b32_e32 v9, 20, v9
	v_and_b32_e32 v13, 0x80000000, v13
	v_lshl_add_u32 v12, v12, 23, v18
	v_or3_b32 v12, v13, v12, v9
.LBB16_1880:
	s_or_b64 exec, exec, s[6:7]
	s_nop 0
	v_mfma_f32_16x16x4f32 a[0:3], v8, v12, a[0:3]
	s_movk_i32 s4, 0x7f
	v_cmp_gt_i16_sdwa s[6:7], v14, s4 src0_sel:BYTE_3 src1_sel:DWORD
	s_mov_b64 s[4:5], 0
                                        ; implicit-def: $sgpr10
	s_and_saveexec_b64 s[8:9], s[6:7]
	s_xor_b64 s[6:7], exec, s[8:9]
	s_cbranch_execnz .LBB16_3929
; %bb.1881:
	s_or_saveexec_b64 s[6:7], s[6:7]
	v_mov_b32_e32 v8, s10
	s_xor_b64 exec, exec, s[6:7]
	s_cbranch_execnz .LBB16_3932
.LBB16_1882:
	s_or_b64 exec, exec, s[6:7]
	s_and_saveexec_b64 s[6:7], s[4:5]
	s_cbranch_execz .LBB16_1884
.LBB16_1883:
	v_bfe_u32 v8, v14, 24, 3
	v_ffbh_u32_e32 v18, v8
	v_min_u32_e32 v18, 32, v18
	v_lshrrev_b32_e32 v12, 27, v14
	v_subrev_u32_e32 v19, 28, v18
	v_and_b32_e32 v9, 0x80000000, v14
	v_and_b32_e32 v12, 15, v12
	v_bfe_u32 v13, v14, 27, 4
	v_lshlrev_b32_sdwa v14, v19, v14 dst_sel:DWORD dst_unused:UNUSED_PAD src0_sel:DWORD src1_sel:BYTE_3
	v_sub_u32_e32 v18, 29, v18
	v_and_b32_e32 v14, 7, v14
	v_cmp_eq_u16_e32 vcc, 0, v12
	v_cndmask_b32_e32 v8, v8, v14, vcc
	v_cndmask_b32_e32 v12, v13, v18, vcc
	v_mov_b32_e32 v13, 0x3b800000
	v_lshlrev_b32_e32 v8, 20, v8
	v_lshl_add_u32 v12, v12, 23, v13
	v_or3_b32 v8, v9, v12, v8
.LBB16_1884:
	s_or_b64 exec, exec, s[6:7]
	s_movk_i32 s4, 0x7f
	v_cmp_gt_i16_sdwa s[6:7], v10, s4 src0_sel:BYTE_3 src1_sel:DWORD
	s_mov_b64 s[4:5], 0
                                        ; implicit-def: $sgpr10
	s_and_saveexec_b64 s[8:9], s[6:7]
	s_xor_b64 s[6:7], exec, s[8:9]
	s_cbranch_execnz .LBB16_3933
; %bb.1885:
	s_or_saveexec_b64 s[6:7], s[6:7]
	v_mov_b32_e32 v9, s10
	s_xor_b64 exec, exec, s[6:7]
	s_cbranch_execnz .LBB16_3936
.LBB16_1886:
	s_or_b64 exec, exec, s[6:7]
	s_and_saveexec_b64 s[6:7], s[4:5]
	s_cbranch_execz .LBB16_1888
.LBB16_1887:
	v_bfe_u32 v9, v10, 24, 3
	v_ffbh_u32_e32 v18, v9
	v_min_u32_e32 v18, 32, v18
	v_lshrrev_b32_e32 v13, 27, v10
	v_subrev_u32_e32 v19, 28, v18
	v_and_b32_e32 v12, 0x80000000, v10
	v_and_b32_e32 v13, 15, v13
	v_bfe_u32 v14, v10, 27, 4
	v_lshlrev_b32_sdwa v10, v19, v10 dst_sel:DWORD dst_unused:UNUSED_PAD src0_sel:DWORD src1_sel:BYTE_3
	v_sub_u32_e32 v18, 29, v18
	v_and_b32_e32 v10, 7, v10
	v_cmp_eq_u16_e32 vcc, 0, v13
	v_cndmask_b32_e32 v9, v9, v10, vcc
	v_cndmask_b32_e32 v10, v14, v18, vcc
	v_mov_b32_e32 v13, 0x3b800000
	v_lshlrev_b32_e32 v9, 20, v9
	v_lshl_add_u32 v10, v10, 23, v13
	v_or3_b32 v9, v12, v10, v9
.LBB16_1888:
	s_or_b64 exec, exec, s[6:7]
	s_nop 0
	v_mfma_f32_16x16x4f32 a[0:3], v8, v9, a[0:3]
	s_movk_i32 s4, 0x7f
	v_cmp_gt_i16_sdwa s[6:7], v15, s4 src0_sel:BYTE_0 src1_sel:DWORD
	s_mov_b64 s[4:5], 0
                                        ; implicit-def: $sgpr10
	s_and_saveexec_b64 s[8:9], s[6:7]
	s_xor_b64 s[6:7], exec, s[8:9]
	s_cbranch_execnz .LBB16_3937
; %bb.1889:
	s_or_saveexec_b64 s[6:7], s[6:7]
	v_mov_b32_e32 v8, s10
	s_xor_b64 exec, exec, s[6:7]
	s_cbranch_execnz .LBB16_3940
.LBB16_1890:
	s_or_b64 exec, exec, s[6:7]
	s_and_saveexec_b64 s[6:7], s[4:5]
	s_cbranch_execz .LBB16_1892
.LBB16_1891:
	v_and_b32_e32 v8, 7, v15
	v_ffbh_u32_e32 v10, v8
	v_min_u32_e32 v10, 32, v10
	v_lshrrev_b16_e32 v9, 3, v15
	v_subrev_u32_e32 v12, 28, v10
	v_and_b32_e32 v9, 15, v9
	v_lshlrev_b32_e32 v12, v12, v15
	v_sub_u32_e32 v10, 29, v10
	v_and_b32_e32 v12, 7, v12
	v_cmp_eq_u16_e32 vcc, 0, v9
	v_cndmask_b32_e32 v8, v8, v12, vcc
	v_cndmask_b32_e32 v9, v9, v10, vcc
	v_lshlrev_b32_e32 v10, 24, v15
	v_mov_b32_e32 v12, 0x3b800000
	v_lshlrev_b32_e32 v8, 20, v8
	v_and_b32_e32 v10, 0x80000000, v10
	v_lshl_add_u32 v9, v9, 23, v12
	v_or3_b32 v8, v10, v9, v8
.LBB16_1892:
	s_or_b64 exec, exec, s[6:7]
	s_movk_i32 s4, 0x7f
	v_cmp_gt_i16_sdwa s[6:7], v11, s4 src0_sel:BYTE_0 src1_sel:DWORD
	s_mov_b64 s[4:5], 0
                                        ; implicit-def: $sgpr10
	s_and_saveexec_b64 s[8:9], s[6:7]
	s_xor_b64 s[6:7], exec, s[8:9]
	s_cbranch_execnz .LBB16_3941
; %bb.1893:
	s_or_saveexec_b64 s[6:7], s[6:7]
	v_mov_b32_e32 v9, s10
	s_xor_b64 exec, exec, s[6:7]
	s_cbranch_execnz .LBB16_3944
.LBB16_1894:
	s_or_b64 exec, exec, s[6:7]
	s_and_saveexec_b64 s[6:7], s[4:5]
	s_cbranch_execz .LBB16_1896
.LBB16_1895:
	v_and_b32_e32 v9, 7, v11
	v_ffbh_u32_e32 v12, v9
	v_min_u32_e32 v12, 32, v12
	v_lshrrev_b16_e32 v10, 3, v11
	v_subrev_u32_e32 v13, 28, v12
	v_and_b32_e32 v10, 15, v10
	v_lshlrev_b32_e32 v13, v13, v11
	v_sub_u32_e32 v12, 29, v12
	v_and_b32_e32 v13, 7, v13
	v_cmp_eq_u16_e32 vcc, 0, v10
	v_cndmask_b32_e32 v9, v9, v13, vcc
	v_cndmask_b32_e32 v10, v10, v12, vcc
	v_lshlrev_b32_e32 v12, 24, v11
	v_mov_b32_e32 v13, 0x3b800000
	v_lshlrev_b32_e32 v9, 20, v9
	v_and_b32_e32 v12, 0x80000000, v12
	v_lshl_add_u32 v10, v10, 23, v13
	v_or3_b32 v9, v12, v10, v9
.LBB16_1896:
	s_or_b64 exec, exec, s[6:7]
	s_nop 0
	v_mfma_f32_16x16x4f32 a[0:3], v8, v9, a[0:3]
	v_lshrrev_b32_e32 v9, 8, v15
	s_movk_i32 s4, 0x7f
	v_cmp_gt_i16_sdwa s[6:7], v9, s4 src0_sel:BYTE_0 src1_sel:DWORD
	s_mov_b64 s[4:5], 0
                                        ; implicit-def: $sgpr10
	s_and_saveexec_b64 s[8:9], s[6:7]
	s_xor_b64 s[6:7], exec, s[8:9]
	s_cbranch_execnz .LBB16_3945
; %bb.1897:
	s_or_saveexec_b64 s[6:7], s[6:7]
	v_mov_b32_e32 v8, s10
	s_xor_b64 exec, exec, s[6:7]
	s_cbranch_execnz .LBB16_3948
.LBB16_1898:
	s_or_b64 exec, exec, s[6:7]
	s_and_saveexec_b64 s[6:7], s[4:5]
	s_cbranch_execz .LBB16_1900
.LBB16_1899:
	v_bfe_u32 v8, v15, 8, 3
	v_ffbh_u32_e32 v12, v8
	v_min_u32_e32 v12, 32, v12
	v_lshrrev_b16_e32 v10, 3, v9
	v_subrev_u32_e32 v13, 28, v12
	v_and_b32_e32 v10, 15, v10
	v_lshlrev_b32_e32 v9, v13, v9
	v_sub_u32_e32 v12, 29, v12
	v_and_b32_e32 v9, 7, v9
	v_cmp_eq_u16_e32 vcc, 0, v10
	v_cndmask_b32_e32 v8, v8, v9, vcc
	v_cndmask_b32_e32 v9, v10, v12, vcc
	v_lshlrev_b32_e32 v10, 16, v15
	v_mov_b32_e32 v12, 0x3b800000
	v_lshlrev_b32_e32 v8, 20, v8
	v_and_b32_e32 v10, 0x80000000, v10
	v_lshl_add_u32 v9, v9, 23, v12
	v_or3_b32 v8, v10, v9, v8
.LBB16_1900:
	s_or_b64 exec, exec, s[6:7]
	v_lshrrev_b32_e32 v9, 8, v11
	s_movk_i32 s4, 0x7f
	v_cmp_gt_i16_sdwa s[6:7], v9, s4 src0_sel:BYTE_0 src1_sel:DWORD
	s_mov_b64 s[4:5], 0
                                        ; implicit-def: $sgpr10
	s_and_saveexec_b64 s[8:9], s[6:7]
	s_xor_b64 s[6:7], exec, s[8:9]
	s_cbranch_execnz .LBB16_3949
; %bb.1901:
	s_or_saveexec_b64 s[6:7], s[6:7]
	v_mov_b32_e32 v10, s10
	s_xor_b64 exec, exec, s[6:7]
	s_cbranch_execnz .LBB16_3952
.LBB16_1902:
	s_or_b64 exec, exec, s[6:7]
	s_and_saveexec_b64 s[6:7], s[4:5]
	s_cbranch_execz .LBB16_1904
.LBB16_1903:
	v_bfe_u32 v10, v11, 8, 3
	v_ffbh_u32_e32 v13, v10
	v_min_u32_e32 v13, 32, v13
	v_lshrrev_b16_e32 v12, 3, v9
	v_subrev_u32_e32 v14, 28, v13
	v_and_b32_e32 v12, 15, v12
	v_lshlrev_b32_e32 v9, v14, v9
	v_sub_u32_e32 v13, 29, v13
	v_and_b32_e32 v9, 7, v9
	v_cmp_eq_u16_e32 vcc, 0, v12
	v_cndmask_b32_e32 v9, v10, v9, vcc
	v_cndmask_b32_e32 v10, v12, v13, vcc
	v_lshlrev_b32_e32 v12, 16, v11
	v_mov_b32_e32 v13, 0x3b800000
	v_lshlrev_b32_e32 v9, 20, v9
	v_and_b32_e32 v12, 0x80000000, v12
	v_lshl_add_u32 v10, v10, 23, v13
	v_or3_b32 v10, v12, v10, v9
.LBB16_1904:
	s_or_b64 exec, exec, s[6:7]
	s_nop 0
	v_mfma_f32_16x16x4f32 a[0:3], v8, v10, a[0:3]
	s_movk_i32 s4, 0xff
	v_and_b32_sdwa v9, v15, s4 dst_sel:DWORD dst_unused:UNUSED_PAD src0_sel:WORD_1 src1_sel:DWORD
	s_movk_i32 s4, 0x7f
	v_cmp_lt_i16_e32 vcc, s4, v9
	s_mov_b64 s[4:5], 0
                                        ; implicit-def: $sgpr10
	s_and_saveexec_b64 s[6:7], vcc
	s_xor_b64 s[6:7], exec, s[6:7]
	s_cbranch_execnz .LBB16_3953
; %bb.1905:
	s_or_saveexec_b64 s[6:7], s[6:7]
	v_mov_b32_e32 v8, s10
	s_xor_b64 exec, exec, s[6:7]
	s_cbranch_execnz .LBB16_3956
.LBB16_1906:
	s_or_b64 exec, exec, s[6:7]
	s_and_saveexec_b64 s[6:7], s[4:5]
	s_cbranch_execz .LBB16_1908
.LBB16_1907:
	v_bfe_u32 v8, v15, 16, 3
	v_ffbh_u32_e32 v12, v8
	v_min_u32_e32 v12, 32, v12
	v_lshrrev_b32_e32 v9, 19, v15
	v_subrev_u32_e32 v13, 28, v12
	v_and_b32_e32 v9, 15, v9
	v_lshlrev_b32_sdwa v13, v13, v15 dst_sel:DWORD dst_unused:UNUSED_PAD src0_sel:DWORD src1_sel:WORD_1
	v_bfe_u32 v10, v15, 19, 4
	v_sub_u32_e32 v12, 29, v12
	v_and_b32_e32 v13, 7, v13
	v_cmp_eq_u16_e32 vcc, 0, v9
	v_cndmask_b32_e32 v8, v8, v13, vcc
	v_cndmask_b32_e32 v9, v10, v12, vcc
	v_lshlrev_b32_e32 v10, 8, v15
	v_mov_b32_e32 v12, 0x3b800000
	v_lshlrev_b32_e32 v8, 20, v8
	v_and_b32_e32 v10, 0x80000000, v10
	v_lshl_add_u32 v9, v9, 23, v12
	v_or3_b32 v8, v10, v9, v8
.LBB16_1908:
	s_or_b64 exec, exec, s[6:7]
	s_movk_i32 s4, 0xff
	v_and_b32_sdwa v9, v11, s4 dst_sel:DWORD dst_unused:UNUSED_PAD src0_sel:WORD_1 src1_sel:DWORD
	s_movk_i32 s4, 0x7f
	v_cmp_lt_i16_e32 vcc, s4, v9
	s_mov_b64 s[4:5], 0
                                        ; implicit-def: $sgpr10
	s_and_saveexec_b64 s[6:7], vcc
	s_xor_b64 s[6:7], exec, s[6:7]
	s_cbranch_execnz .LBB16_3957
; %bb.1909:
	s_or_saveexec_b64 s[6:7], s[6:7]
	v_mov_b32_e32 v10, s10
	s_xor_b64 exec, exec, s[6:7]
	s_cbranch_execnz .LBB16_3960
.LBB16_1910:
	s_or_b64 exec, exec, s[6:7]
	s_and_saveexec_b64 s[6:7], s[4:5]
	s_cbranch_execz .LBB16_1912
.LBB16_1911:
	v_bfe_u32 v9, v11, 16, 3
	v_ffbh_u32_e32 v13, v9
	v_min_u32_e32 v13, 32, v13
	v_lshrrev_b32_e32 v10, 19, v11
	v_subrev_u32_e32 v14, 28, v13
	v_and_b32_e32 v10, 15, v10
	v_lshlrev_b32_sdwa v14, v14, v11 dst_sel:DWORD dst_unused:UNUSED_PAD src0_sel:DWORD src1_sel:WORD_1
	v_bfe_u32 v12, v11, 19, 4
	v_sub_u32_e32 v13, 29, v13
	v_and_b32_e32 v14, 7, v14
	v_cmp_eq_u16_e32 vcc, 0, v10
	v_cndmask_b32_e32 v9, v9, v14, vcc
	v_cndmask_b32_e32 v10, v12, v13, vcc
	v_lshlrev_b32_e32 v12, 8, v11
	v_mov_b32_e32 v13, 0x3b800000
	v_lshlrev_b32_e32 v9, 20, v9
	v_and_b32_e32 v12, 0x80000000, v12
	v_lshl_add_u32 v10, v10, 23, v13
	v_or3_b32 v10, v12, v10, v9
.LBB16_1912:
	s_or_b64 exec, exec, s[6:7]
	s_nop 0
	v_mfma_f32_16x16x4f32 a[0:3], v8, v10, a[0:3]
	s_movk_i32 s4, 0x7f
	v_cmp_gt_i16_sdwa s[6:7], v15, s4 src0_sel:BYTE_3 src1_sel:DWORD
	s_mov_b64 s[4:5], 0
                                        ; implicit-def: $sgpr10
	s_and_saveexec_b64 s[8:9], s[6:7]
	s_xor_b64 s[6:7], exec, s[8:9]
	s_cbranch_execnz .LBB16_3961
; %bb.1913:
	s_or_saveexec_b64 s[6:7], s[6:7]
	v_mov_b32_e32 v8, s10
	s_xor_b64 exec, exec, s[6:7]
	s_cbranch_execnz .LBB16_3964
.LBB16_1914:
	s_or_b64 exec, exec, s[6:7]
	s_and_saveexec_b64 s[6:7], s[4:5]
	s_cbranch_execz .LBB16_1916
.LBB16_1915:
	v_bfe_u32 v8, v15, 24, 3
	v_ffbh_u32_e32 v13, v8
	v_min_u32_e32 v13, 32, v13
	v_lshrrev_b32_e32 v10, 27, v15
	v_subrev_u32_e32 v14, 28, v13
	v_and_b32_e32 v10, 15, v10
	v_lshlrev_b32_sdwa v14, v14, v15 dst_sel:DWORD dst_unused:UNUSED_PAD src0_sel:DWORD src1_sel:BYTE_3
	v_bfe_u32 v12, v15, 27, 4
	v_sub_u32_e32 v13, 29, v13
	v_and_b32_e32 v14, 7, v14
	v_cmp_eq_u16_e32 vcc, 0, v10
	v_cndmask_b32_e32 v8, v8, v14, vcc
	v_cndmask_b32_e32 v10, v12, v13, vcc
	v_mov_b32_e32 v12, 0x3b800000
	v_and_b32_e32 v9, 0x80000000, v15
	v_lshlrev_b32_e32 v8, 20, v8
	v_lshl_add_u32 v10, v10, 23, v12
	v_or3_b32 v8, v9, v10, v8
.LBB16_1916:
	s_or_b64 exec, exec, s[6:7]
	s_movk_i32 s4, 0x7f
	v_cmp_gt_i16_sdwa s[6:7], v11, s4 src0_sel:BYTE_3 src1_sel:DWORD
	s_mov_b64 s[4:5], 0
                                        ; implicit-def: $sgpr10
	s_and_saveexec_b64 s[8:9], s[6:7]
	s_xor_b64 s[6:7], exec, s[8:9]
	s_cbranch_execnz .LBB16_3965
; %bb.1917:
	s_or_saveexec_b64 s[6:7], s[6:7]
	v_mov_b32_e32 v9, s10
	s_xor_b64 exec, exec, s[6:7]
	s_cbranch_execnz .LBB16_3968
.LBB16_1918:
	s_or_b64 exec, exec, s[6:7]
	s_and_saveexec_b64 s[6:7], s[4:5]
	s_cbranch_execz .LBB16_1920
.LBB16_1919:
	v_bfe_u32 v9, v11, 24, 3
	v_ffbh_u32_e32 v14, v9
	v_min_u32_e32 v14, 32, v14
	v_lshrrev_b32_e32 v12, 27, v11
	v_subrev_u32_e32 v15, 28, v14
	v_and_b32_e32 v10, 0x80000000, v11
	v_and_b32_e32 v12, 15, v12
	v_bfe_u32 v13, v11, 27, 4
	v_lshlrev_b32_sdwa v11, v15, v11 dst_sel:DWORD dst_unused:UNUSED_PAD src0_sel:DWORD src1_sel:BYTE_3
	v_sub_u32_e32 v14, 29, v14
	v_and_b32_e32 v11, 7, v11
	v_cmp_eq_u16_e32 vcc, 0, v12
	v_cndmask_b32_e32 v9, v9, v11, vcc
	v_cndmask_b32_e32 v11, v13, v14, vcc
	v_mov_b32_e32 v12, 0x3b800000
	v_lshlrev_b32_e32 v9, 20, v9
	v_lshl_add_u32 v11, v11, 23, v12
	v_or3_b32 v9, v10, v11, v9
.LBB16_1920:
	s_or_b64 exec, exec, s[6:7]
	s_nop 0
	v_mfma_f32_16x16x4f32 a[0:3], v8, v9, a[0:3]
	s_movk_i32 s4, 0x7f
	v_cmp_gt_i16_sdwa s[6:7], v4, s4 src0_sel:BYTE_0 src1_sel:DWORD
	s_mov_b64 s[4:5], 0
                                        ; implicit-def: $sgpr10
	s_and_saveexec_b64 s[8:9], s[6:7]
	s_xor_b64 s[6:7], exec, s[8:9]
	s_cbranch_execnz .LBB16_3969
; %bb.1921:
	s_or_saveexec_b64 s[6:7], s[6:7]
	v_mov_b32_e32 v8, s10
	s_xor_b64 exec, exec, s[6:7]
	s_cbranch_execnz .LBB16_3972
.LBB16_1922:
	s_or_b64 exec, exec, s[6:7]
	s_and_saveexec_b64 s[6:7], s[4:5]
	s_cbranch_execz .LBB16_1924
.LBB16_1923:
	v_and_b32_e32 v8, 7, v4
	v_ffbh_u32_e32 v10, v8
	v_min_u32_e32 v10, 32, v10
	v_lshrrev_b16_e32 v9, 3, v4
	v_subrev_u32_e32 v11, 28, v10
	v_and_b32_e32 v9, 15, v9
	v_lshlrev_b32_e32 v11, v11, v4
	v_sub_u32_e32 v10, 29, v10
	v_and_b32_e32 v11, 7, v11
	v_cmp_eq_u16_e32 vcc, 0, v9
	v_cndmask_b32_e32 v8, v8, v11, vcc
	v_cndmask_b32_e32 v9, v9, v10, vcc
	v_lshlrev_b32_e32 v10, 24, v4
	v_mov_b32_e32 v11, 0x3b800000
	v_lshlrev_b32_e32 v8, 20, v8
	v_and_b32_e32 v10, 0x80000000, v10
	v_lshl_add_u32 v9, v9, 23, v11
	v_or3_b32 v8, v10, v9, v8
.LBB16_1924:
	s_or_b64 exec, exec, s[6:7]
	s_movk_i32 s4, 0x7f
	v_cmp_gt_i16_sdwa s[6:7], v0, s4 src0_sel:BYTE_0 src1_sel:DWORD
	s_mov_b64 s[4:5], 0
                                        ; implicit-def: $sgpr10
	s_and_saveexec_b64 s[8:9], s[6:7]
	s_xor_b64 s[6:7], exec, s[8:9]
	s_cbranch_execnz .LBB16_3973
; %bb.1925:
	s_or_saveexec_b64 s[6:7], s[6:7]
	v_mov_b32_e32 v9, s10
	s_xor_b64 exec, exec, s[6:7]
	s_cbranch_execnz .LBB16_3976
.LBB16_1926:
	s_or_b64 exec, exec, s[6:7]
	s_and_saveexec_b64 s[6:7], s[4:5]
	s_cbranch_execz .LBB16_1928
.LBB16_1927:
	v_and_b32_e32 v9, 7, v0
	v_ffbh_u32_e32 v11, v9
	v_min_u32_e32 v11, 32, v11
	v_lshrrev_b16_e32 v10, 3, v0
	v_subrev_u32_e32 v12, 28, v11
	v_and_b32_e32 v10, 15, v10
	v_lshlrev_b32_e32 v12, v12, v0
	v_sub_u32_e32 v11, 29, v11
	v_and_b32_e32 v12, 7, v12
	v_cmp_eq_u16_e32 vcc, 0, v10
	v_cndmask_b32_e32 v9, v9, v12, vcc
	v_cndmask_b32_e32 v10, v10, v11, vcc
	v_lshlrev_b32_e32 v11, 24, v0
	v_mov_b32_e32 v12, 0x3b800000
	v_lshlrev_b32_e32 v9, 20, v9
	v_and_b32_e32 v11, 0x80000000, v11
	v_lshl_add_u32 v10, v10, 23, v12
	v_or3_b32 v9, v11, v10, v9
.LBB16_1928:
	s_or_b64 exec, exec, s[6:7]
	s_nop 0
	v_mfma_f32_16x16x4f32 a[0:3], v8, v9, a[0:3]
	v_lshrrev_b32_e32 v9, 8, v4
	s_movk_i32 s4, 0x7f
	v_cmp_gt_i16_sdwa s[6:7], v9, s4 src0_sel:BYTE_0 src1_sel:DWORD
	s_mov_b64 s[4:5], 0
                                        ; implicit-def: $sgpr10
	s_and_saveexec_b64 s[8:9], s[6:7]
	s_xor_b64 s[6:7], exec, s[8:9]
	s_cbranch_execnz .LBB16_3977
; %bb.1929:
	s_or_saveexec_b64 s[6:7], s[6:7]
	v_mov_b32_e32 v8, s10
	s_xor_b64 exec, exec, s[6:7]
	s_cbranch_execnz .LBB16_3980
.LBB16_1930:
	s_or_b64 exec, exec, s[6:7]
	s_and_saveexec_b64 s[6:7], s[4:5]
	s_cbranch_execz .LBB16_1932
.LBB16_1931:
	v_bfe_u32 v8, v4, 8, 3
	v_ffbh_u32_e32 v11, v8
	v_min_u32_e32 v11, 32, v11
	v_lshrrev_b16_e32 v10, 3, v9
	v_subrev_u32_e32 v12, 28, v11
	v_and_b32_e32 v10, 15, v10
	v_lshlrev_b32_e32 v9, v12, v9
	v_sub_u32_e32 v11, 29, v11
	v_and_b32_e32 v9, 7, v9
	v_cmp_eq_u16_e32 vcc, 0, v10
	v_cndmask_b32_e32 v8, v8, v9, vcc
	v_cndmask_b32_e32 v9, v10, v11, vcc
	v_lshlrev_b32_e32 v10, 16, v4
	v_mov_b32_e32 v11, 0x3b800000
	v_lshlrev_b32_e32 v8, 20, v8
	v_and_b32_e32 v10, 0x80000000, v10
	v_lshl_add_u32 v9, v9, 23, v11
	v_or3_b32 v8, v10, v9, v8
.LBB16_1932:
	s_or_b64 exec, exec, s[6:7]
	v_lshrrev_b32_e32 v9, 8, v0
	s_movk_i32 s4, 0x7f
	v_cmp_gt_i16_sdwa s[6:7], v9, s4 src0_sel:BYTE_0 src1_sel:DWORD
	s_mov_b64 s[4:5], 0
                                        ; implicit-def: $sgpr10
	s_and_saveexec_b64 s[8:9], s[6:7]
	s_xor_b64 s[6:7], exec, s[8:9]
	s_cbranch_execnz .LBB16_3981
; %bb.1933:
	s_or_saveexec_b64 s[6:7], s[6:7]
	v_mov_b32_e32 v10, s10
	s_xor_b64 exec, exec, s[6:7]
	s_cbranch_execnz .LBB16_3984
.LBB16_1934:
	s_or_b64 exec, exec, s[6:7]
	s_and_saveexec_b64 s[6:7], s[4:5]
	s_cbranch_execz .LBB16_1936
.LBB16_1935:
	v_bfe_u32 v10, v0, 8, 3
	v_ffbh_u32_e32 v12, v10
	v_min_u32_e32 v12, 32, v12
	v_lshrrev_b16_e32 v11, 3, v9
	v_subrev_u32_e32 v13, 28, v12
	v_and_b32_e32 v11, 15, v11
	v_lshlrev_b32_e32 v9, v13, v9
	v_sub_u32_e32 v12, 29, v12
	v_and_b32_e32 v9, 7, v9
	v_cmp_eq_u16_e32 vcc, 0, v11
	v_cndmask_b32_e32 v9, v10, v9, vcc
	v_cndmask_b32_e32 v10, v11, v12, vcc
	v_lshlrev_b32_e32 v11, 16, v0
	v_mov_b32_e32 v12, 0x3b800000
	v_lshlrev_b32_e32 v9, 20, v9
	v_and_b32_e32 v11, 0x80000000, v11
	v_lshl_add_u32 v10, v10, 23, v12
	v_or3_b32 v10, v11, v10, v9
.LBB16_1936:
	s_or_b64 exec, exec, s[6:7]
	s_nop 0
	v_mfma_f32_16x16x4f32 a[0:3], v8, v10, a[0:3]
	s_movk_i32 s4, 0xff
	v_and_b32_sdwa v9, v4, s4 dst_sel:DWORD dst_unused:UNUSED_PAD src0_sel:WORD_1 src1_sel:DWORD
	s_movk_i32 s4, 0x7f
	v_cmp_lt_i16_e32 vcc, s4, v9
	s_mov_b64 s[4:5], 0
                                        ; implicit-def: $sgpr10
	s_and_saveexec_b64 s[6:7], vcc
	s_xor_b64 s[6:7], exec, s[6:7]
	s_cbranch_execnz .LBB16_3985
; %bb.1937:
	s_or_saveexec_b64 s[6:7], s[6:7]
	v_mov_b32_e32 v8, s10
	s_xor_b64 exec, exec, s[6:7]
	s_cbranch_execnz .LBB16_3988
.LBB16_1938:
	s_or_b64 exec, exec, s[6:7]
	s_and_saveexec_b64 s[6:7], s[4:5]
	s_cbranch_execz .LBB16_1940
.LBB16_1939:
	v_bfe_u32 v8, v4, 16, 3
	v_ffbh_u32_e32 v11, v8
	v_min_u32_e32 v11, 32, v11
	v_lshrrev_b32_e32 v9, 19, v4
	v_subrev_u32_e32 v12, 28, v11
	v_and_b32_e32 v9, 15, v9
	v_lshlrev_b32_sdwa v12, v12, v4 dst_sel:DWORD dst_unused:UNUSED_PAD src0_sel:DWORD src1_sel:WORD_1
	v_bfe_u32 v10, v4, 19, 4
	v_sub_u32_e32 v11, 29, v11
	v_and_b32_e32 v12, 7, v12
	v_cmp_eq_u16_e32 vcc, 0, v9
	v_cndmask_b32_e32 v8, v8, v12, vcc
	v_cndmask_b32_e32 v9, v10, v11, vcc
	v_lshlrev_b32_e32 v10, 8, v4
	v_mov_b32_e32 v11, 0x3b800000
	v_lshlrev_b32_e32 v8, 20, v8
	v_and_b32_e32 v10, 0x80000000, v10
	v_lshl_add_u32 v9, v9, 23, v11
	v_or3_b32 v8, v10, v9, v8
.LBB16_1940:
	s_or_b64 exec, exec, s[6:7]
	s_movk_i32 s4, 0xff
	v_and_b32_sdwa v9, v0, s4 dst_sel:DWORD dst_unused:UNUSED_PAD src0_sel:WORD_1 src1_sel:DWORD
	s_movk_i32 s4, 0x7f
	v_cmp_lt_i16_e32 vcc, s4, v9
	s_mov_b64 s[4:5], 0
                                        ; implicit-def: $sgpr10
	s_and_saveexec_b64 s[6:7], vcc
	s_xor_b64 s[6:7], exec, s[6:7]
	s_cbranch_execnz .LBB16_3989
; %bb.1941:
	s_or_saveexec_b64 s[6:7], s[6:7]
	v_mov_b32_e32 v10, s10
	s_xor_b64 exec, exec, s[6:7]
	s_cbranch_execnz .LBB16_3992
.LBB16_1942:
	s_or_b64 exec, exec, s[6:7]
	s_and_saveexec_b64 s[6:7], s[4:5]
	s_cbranch_execz .LBB16_1944
.LBB16_1943:
	v_bfe_u32 v9, v0, 16, 3
	v_ffbh_u32_e32 v12, v9
	v_min_u32_e32 v12, 32, v12
	v_lshrrev_b32_e32 v10, 19, v0
	v_subrev_u32_e32 v13, 28, v12
	v_and_b32_e32 v10, 15, v10
	v_lshlrev_b32_sdwa v13, v13, v0 dst_sel:DWORD dst_unused:UNUSED_PAD src0_sel:DWORD src1_sel:WORD_1
	v_bfe_u32 v11, v0, 19, 4
	v_sub_u32_e32 v12, 29, v12
	v_and_b32_e32 v13, 7, v13
	v_cmp_eq_u16_e32 vcc, 0, v10
	v_cndmask_b32_e32 v9, v9, v13, vcc
	v_cndmask_b32_e32 v10, v11, v12, vcc
	v_lshlrev_b32_e32 v11, 8, v0
	v_mov_b32_e32 v12, 0x3b800000
	v_lshlrev_b32_e32 v9, 20, v9
	v_and_b32_e32 v11, 0x80000000, v11
	v_lshl_add_u32 v10, v10, 23, v12
	v_or3_b32 v10, v11, v10, v9
.LBB16_1944:
	s_or_b64 exec, exec, s[6:7]
	s_nop 0
	v_mfma_f32_16x16x4f32 a[0:3], v8, v10, a[0:3]
	s_movk_i32 s4, 0x7f
	v_cmp_gt_i16_sdwa s[6:7], v4, s4 src0_sel:BYTE_3 src1_sel:DWORD
	s_mov_b64 s[4:5], 0
                                        ; implicit-def: $sgpr10
	s_and_saveexec_b64 s[8:9], s[6:7]
	s_xor_b64 s[6:7], exec, s[8:9]
	s_cbranch_execnz .LBB16_3993
; %bb.1945:
	s_or_saveexec_b64 s[6:7], s[6:7]
	v_mov_b32_e32 v8, s10
	s_xor_b64 exec, exec, s[6:7]
	s_cbranch_execnz .LBB16_3996
.LBB16_1946:
	s_or_b64 exec, exec, s[6:7]
	s_and_saveexec_b64 s[6:7], s[4:5]
	s_cbranch_execz .LBB16_1948
.LBB16_1947:
	v_bfe_u32 v8, v4, 24, 3
	v_ffbh_u32_e32 v12, v8
	v_min_u32_e32 v12, 32, v12
	v_lshrrev_b32_e32 v10, 27, v4
	v_subrev_u32_e32 v13, 28, v12
	v_and_b32_e32 v9, 0x80000000, v4
	v_and_b32_e32 v10, 15, v10
	v_bfe_u32 v11, v4, 27, 4
	v_lshlrev_b32_sdwa v4, v13, v4 dst_sel:DWORD dst_unused:UNUSED_PAD src0_sel:DWORD src1_sel:BYTE_3
	v_sub_u32_e32 v12, 29, v12
	v_and_b32_e32 v4, 7, v4
	v_cmp_eq_u16_e32 vcc, 0, v10
	v_cndmask_b32_e32 v4, v8, v4, vcc
	v_cndmask_b32_e32 v8, v11, v12, vcc
	v_mov_b32_e32 v10, 0x3b800000
	v_lshlrev_b32_e32 v4, 20, v4
	v_lshl_add_u32 v8, v8, 23, v10
	v_or3_b32 v8, v9, v8, v4
.LBB16_1948:
	s_or_b64 exec, exec, s[6:7]
	s_movk_i32 s4, 0x7f
	v_cmp_gt_i16_sdwa s[6:7], v0, s4 src0_sel:BYTE_3 src1_sel:DWORD
	s_mov_b64 s[4:5], 0
                                        ; implicit-def: $sgpr10
	s_and_saveexec_b64 s[8:9], s[6:7]
	s_xor_b64 s[6:7], exec, s[8:9]
	s_cbranch_execnz .LBB16_3997
; %bb.1949:
	s_or_saveexec_b64 s[6:7], s[6:7]
	v_mov_b32_e32 v4, s10
	s_xor_b64 exec, exec, s[6:7]
	s_cbranch_execnz .LBB16_4000
.LBB16_1950:
	s_or_b64 exec, exec, s[6:7]
	s_and_saveexec_b64 s[6:7], s[4:5]
	s_cbranch_execz .LBB16_1952
.LBB16_1951:
	v_bfe_u32 v4, v0, 24, 3
	v_ffbh_u32_e32 v12, v4
	v_min_u32_e32 v12, 32, v12
	v_lshrrev_b32_e32 v10, 27, v0
	v_subrev_u32_e32 v13, 28, v12
	v_and_b32_e32 v9, 0x80000000, v0
	v_and_b32_e32 v10, 15, v10
	v_bfe_u32 v11, v0, 27, 4
	v_lshlrev_b32_sdwa v0, v13, v0 dst_sel:DWORD dst_unused:UNUSED_PAD src0_sel:DWORD src1_sel:BYTE_3
	v_sub_u32_e32 v12, 29, v12
	v_and_b32_e32 v0, 7, v0
	v_cmp_eq_u16_e32 vcc, 0, v10
	v_cndmask_b32_e32 v0, v4, v0, vcc
	v_cndmask_b32_e32 v4, v11, v12, vcc
	v_mov_b32_e32 v10, 0x3b800000
	v_lshlrev_b32_e32 v0, 20, v0
	v_lshl_add_u32 v4, v4, 23, v10
	v_or3_b32 v4, v9, v4, v0
.LBB16_1952:
	s_or_b64 exec, exec, s[6:7]
	s_nop 0
	v_mfma_f32_16x16x4f32 a[0:3], v8, v4, a[0:3]
	s_movk_i32 s4, 0x7f
	v_cmp_gt_i16_sdwa s[6:7], v5, s4 src0_sel:BYTE_0 src1_sel:DWORD
	s_mov_b64 s[4:5], 0
                                        ; implicit-def: $sgpr10
	s_and_saveexec_b64 s[8:9], s[6:7]
	s_xor_b64 s[6:7], exec, s[8:9]
	s_cbranch_execnz .LBB16_4001
; %bb.1953:
	s_or_saveexec_b64 s[6:7], s[6:7]
	v_mov_b32_e32 v0, s10
	s_xor_b64 exec, exec, s[6:7]
	s_cbranch_execnz .LBB16_4004
.LBB16_1954:
	s_or_b64 exec, exec, s[6:7]
	s_and_saveexec_b64 s[6:7], s[4:5]
	s_cbranch_execz .LBB16_1956
.LBB16_1955:
	v_and_b32_e32 v0, 7, v5
	v_ffbh_u32_e32 v8, v0
	v_min_u32_e32 v8, 32, v8
	v_lshrrev_b16_e32 v4, 3, v5
	v_subrev_u32_e32 v9, 28, v8
	v_and_b32_e32 v4, 15, v4
	v_lshlrev_b32_e32 v9, v9, v5
	v_sub_u32_e32 v8, 29, v8
	v_and_b32_e32 v9, 7, v9
	v_cmp_eq_u16_e32 vcc, 0, v4
	v_cndmask_b32_e32 v0, v0, v9, vcc
	v_cndmask_b32_e32 v4, v4, v8, vcc
	v_lshlrev_b32_e32 v8, 24, v5
	v_mov_b32_e32 v9, 0x3b800000
	v_lshlrev_b32_e32 v0, 20, v0
	v_and_b32_e32 v8, 0x80000000, v8
	v_lshl_add_u32 v4, v4, 23, v9
	v_or3_b32 v0, v8, v4, v0
.LBB16_1956:
	s_or_b64 exec, exec, s[6:7]
	s_movk_i32 s4, 0x7f
	v_cmp_gt_i16_sdwa s[6:7], v1, s4 src0_sel:BYTE_0 src1_sel:DWORD
	s_mov_b64 s[4:5], 0
                                        ; implicit-def: $sgpr10
	s_and_saveexec_b64 s[8:9], s[6:7]
	s_xor_b64 s[6:7], exec, s[8:9]
	s_cbranch_execnz .LBB16_4005
; %bb.1957:
	s_or_saveexec_b64 s[6:7], s[6:7]
	v_mov_b32_e32 v4, s10
	s_xor_b64 exec, exec, s[6:7]
	s_cbranch_execnz .LBB16_4008
.LBB16_1958:
	s_or_b64 exec, exec, s[6:7]
	s_and_saveexec_b64 s[6:7], s[4:5]
	s_cbranch_execz .LBB16_1960
.LBB16_1959:
	v_and_b32_e32 v4, 7, v1
	v_ffbh_u32_e32 v9, v4
	v_min_u32_e32 v9, 32, v9
	v_lshrrev_b16_e32 v8, 3, v1
	v_subrev_u32_e32 v10, 28, v9
	v_and_b32_e32 v8, 15, v8
	v_lshlrev_b32_e32 v10, v10, v1
	v_sub_u32_e32 v9, 29, v9
	v_and_b32_e32 v10, 7, v10
	v_cmp_eq_u16_e32 vcc, 0, v8
	v_cndmask_b32_e32 v4, v4, v10, vcc
	v_cndmask_b32_e32 v8, v8, v9, vcc
	v_lshlrev_b32_e32 v9, 24, v1
	v_mov_b32_e32 v10, 0x3b800000
	v_lshlrev_b32_e32 v4, 20, v4
	v_and_b32_e32 v9, 0x80000000, v9
	v_lshl_add_u32 v8, v8, 23, v10
	v_or3_b32 v4, v9, v8, v4
.LBB16_1960:
	s_or_b64 exec, exec, s[6:7]
	s_nop 0
	v_mfma_f32_16x16x4f32 a[0:3], v0, v4, a[0:3]
	v_lshrrev_b32_e32 v4, 8, v5
	s_movk_i32 s4, 0x7f
	v_cmp_gt_i16_sdwa s[6:7], v4, s4 src0_sel:BYTE_0 src1_sel:DWORD
	s_mov_b64 s[4:5], 0
                                        ; implicit-def: $sgpr10
	s_and_saveexec_b64 s[8:9], s[6:7]
	s_xor_b64 s[6:7], exec, s[8:9]
	s_cbranch_execnz .LBB16_4009
; %bb.1961:
	s_or_saveexec_b64 s[6:7], s[6:7]
	v_mov_b32_e32 v0, s10
	s_xor_b64 exec, exec, s[6:7]
	s_cbranch_execnz .LBB16_4012
.LBB16_1962:
	s_or_b64 exec, exec, s[6:7]
	s_and_saveexec_b64 s[6:7], s[4:5]
	s_cbranch_execz .LBB16_1964
.LBB16_1963:
	v_bfe_u32 v0, v5, 8, 3
	v_ffbh_u32_e32 v9, v0
	v_min_u32_e32 v9, 32, v9
	v_lshrrev_b16_e32 v8, 3, v4
	v_subrev_u32_e32 v10, 28, v9
	v_and_b32_e32 v8, 15, v8
	v_lshlrev_b32_e32 v4, v10, v4
	v_sub_u32_e32 v9, 29, v9
	v_and_b32_e32 v4, 7, v4
	v_cmp_eq_u16_e32 vcc, 0, v8
	v_cndmask_b32_e32 v0, v0, v4, vcc
	v_cndmask_b32_e32 v4, v8, v9, vcc
	v_lshlrev_b32_e32 v8, 16, v5
	v_mov_b32_e32 v9, 0x3b800000
	v_lshlrev_b32_e32 v0, 20, v0
	v_and_b32_e32 v8, 0x80000000, v8
	v_lshl_add_u32 v4, v4, 23, v9
	v_or3_b32 v0, v8, v4, v0
.LBB16_1964:
	s_or_b64 exec, exec, s[6:7]
	v_lshrrev_b32_e32 v4, 8, v1
	s_movk_i32 s4, 0x7f
	v_cmp_gt_i16_sdwa s[6:7], v4, s4 src0_sel:BYTE_0 src1_sel:DWORD
	s_mov_b64 s[4:5], 0
                                        ; implicit-def: $sgpr10
	s_and_saveexec_b64 s[8:9], s[6:7]
	s_xor_b64 s[6:7], exec, s[8:9]
	s_cbranch_execnz .LBB16_4013
; %bb.1965:
	s_or_saveexec_b64 s[6:7], s[6:7]
	v_mov_b32_e32 v8, s10
	s_xor_b64 exec, exec, s[6:7]
	s_cbranch_execnz .LBB16_4016
.LBB16_1966:
	s_or_b64 exec, exec, s[6:7]
	s_and_saveexec_b64 s[6:7], s[4:5]
	s_cbranch_execz .LBB16_1968
.LBB16_1967:
	v_bfe_u32 v8, v1, 8, 3
	v_ffbh_u32_e32 v10, v8
	v_min_u32_e32 v10, 32, v10
	v_lshrrev_b16_e32 v9, 3, v4
	v_subrev_u32_e32 v11, 28, v10
	v_and_b32_e32 v9, 15, v9
	v_lshlrev_b32_e32 v4, v11, v4
	v_sub_u32_e32 v10, 29, v10
	v_and_b32_e32 v4, 7, v4
	v_cmp_eq_u16_e32 vcc, 0, v9
	v_cndmask_b32_e32 v4, v8, v4, vcc
	v_cndmask_b32_e32 v8, v9, v10, vcc
	v_lshlrev_b32_e32 v9, 16, v1
	v_mov_b32_e32 v10, 0x3b800000
	v_lshlrev_b32_e32 v4, 20, v4
	v_and_b32_e32 v9, 0x80000000, v9
	v_lshl_add_u32 v8, v8, 23, v10
	v_or3_b32 v8, v9, v8, v4
.LBB16_1968:
	s_or_b64 exec, exec, s[6:7]
	s_nop 0
	v_mfma_f32_16x16x4f32 a[0:3], v0, v8, a[0:3]
	s_movk_i32 s4, 0xff
	v_and_b32_sdwa v4, v5, s4 dst_sel:DWORD dst_unused:UNUSED_PAD src0_sel:WORD_1 src1_sel:DWORD
	s_movk_i32 s4, 0x7f
	v_cmp_lt_i16_e32 vcc, s4, v4
	s_mov_b64 s[4:5], 0
                                        ; implicit-def: $sgpr10
	s_and_saveexec_b64 s[6:7], vcc
	s_xor_b64 s[6:7], exec, s[6:7]
	s_cbranch_execnz .LBB16_4017
; %bb.1969:
	s_or_saveexec_b64 s[6:7], s[6:7]
	v_mov_b32_e32 v0, s10
	s_xor_b64 exec, exec, s[6:7]
	s_cbranch_execnz .LBB16_4020
.LBB16_1970:
	s_or_b64 exec, exec, s[6:7]
	s_and_saveexec_b64 s[6:7], s[4:5]
	s_cbranch_execz .LBB16_1972
.LBB16_1971:
	v_bfe_u32 v0, v5, 16, 3
	v_ffbh_u32_e32 v9, v0
	v_min_u32_e32 v9, 32, v9
	v_lshrrev_b32_e32 v4, 19, v5
	v_subrev_u32_e32 v10, 28, v9
	v_and_b32_e32 v4, 15, v4
	v_lshlrev_b32_sdwa v10, v10, v5 dst_sel:DWORD dst_unused:UNUSED_PAD src0_sel:DWORD src1_sel:WORD_1
	v_bfe_u32 v8, v5, 19, 4
	v_sub_u32_e32 v9, 29, v9
	v_and_b32_e32 v10, 7, v10
	v_cmp_eq_u16_e32 vcc, 0, v4
	v_cndmask_b32_e32 v0, v0, v10, vcc
	v_cndmask_b32_e32 v4, v8, v9, vcc
	v_lshlrev_b32_e32 v8, 8, v5
	v_mov_b32_e32 v9, 0x3b800000
	v_lshlrev_b32_e32 v0, 20, v0
	v_and_b32_e32 v8, 0x80000000, v8
	v_lshl_add_u32 v4, v4, 23, v9
	v_or3_b32 v0, v8, v4, v0
.LBB16_1972:
	s_or_b64 exec, exec, s[6:7]
	s_movk_i32 s4, 0xff
	v_and_b32_sdwa v4, v1, s4 dst_sel:DWORD dst_unused:UNUSED_PAD src0_sel:WORD_1 src1_sel:DWORD
	s_movk_i32 s4, 0x7f
	v_cmp_lt_i16_e32 vcc, s4, v4
	s_mov_b64 s[4:5], 0
                                        ; implicit-def: $sgpr10
	s_and_saveexec_b64 s[6:7], vcc
	s_xor_b64 s[6:7], exec, s[6:7]
	s_cbranch_execnz .LBB16_4021
; %bb.1973:
	s_or_saveexec_b64 s[6:7], s[6:7]
	v_mov_b32_e32 v8, s10
	s_xor_b64 exec, exec, s[6:7]
	s_cbranch_execnz .LBB16_4024
.LBB16_1974:
	s_or_b64 exec, exec, s[6:7]
	s_and_saveexec_b64 s[6:7], s[4:5]
	s_cbranch_execz .LBB16_1976
.LBB16_1975:
	v_bfe_u32 v4, v1, 16, 3
	v_ffbh_u32_e32 v10, v4
	v_min_u32_e32 v10, 32, v10
	v_lshrrev_b32_e32 v8, 19, v1
	v_subrev_u32_e32 v11, 28, v10
	v_and_b32_e32 v8, 15, v8
	v_lshlrev_b32_sdwa v11, v11, v1 dst_sel:DWORD dst_unused:UNUSED_PAD src0_sel:DWORD src1_sel:WORD_1
	v_bfe_u32 v9, v1, 19, 4
	v_sub_u32_e32 v10, 29, v10
	v_and_b32_e32 v11, 7, v11
	v_cmp_eq_u16_e32 vcc, 0, v8
	v_cndmask_b32_e32 v4, v4, v11, vcc
	v_cndmask_b32_e32 v8, v9, v10, vcc
	v_lshlrev_b32_e32 v9, 8, v1
	v_mov_b32_e32 v10, 0x3b800000
	v_lshlrev_b32_e32 v4, 20, v4
	v_and_b32_e32 v9, 0x80000000, v9
	v_lshl_add_u32 v8, v8, 23, v10
	v_or3_b32 v8, v9, v8, v4
.LBB16_1976:
	s_or_b64 exec, exec, s[6:7]
	s_nop 0
	v_mfma_f32_16x16x4f32 a[0:3], v0, v8, a[0:3]
	s_movk_i32 s4, 0x7f
	v_cmp_gt_i16_sdwa s[6:7], v5, s4 src0_sel:BYTE_3 src1_sel:DWORD
	s_mov_b64 s[4:5], 0
                                        ; implicit-def: $sgpr10
	s_and_saveexec_b64 s[8:9], s[6:7]
	s_xor_b64 s[6:7], exec, s[8:9]
	s_cbranch_execnz .LBB16_4025
; %bb.1977:
	s_or_saveexec_b64 s[6:7], s[6:7]
	v_mov_b32_e32 v0, s10
	s_xor_b64 exec, exec, s[6:7]
	s_cbranch_execnz .LBB16_4028
.LBB16_1978:
	s_or_b64 exec, exec, s[6:7]
	s_and_saveexec_b64 s[6:7], s[4:5]
	s_cbranch_execz .LBB16_1980
.LBB16_1979:
	v_bfe_u32 v0, v5, 24, 3
	v_ffbh_u32_e32 v10, v0
	v_min_u32_e32 v10, 32, v10
	v_lshrrev_b32_e32 v8, 27, v5
	v_subrev_u32_e32 v11, 28, v10
	v_and_b32_e32 v4, 0x80000000, v5
	v_and_b32_e32 v8, 15, v8
	v_bfe_u32 v9, v5, 27, 4
	v_lshlrev_b32_sdwa v5, v11, v5 dst_sel:DWORD dst_unused:UNUSED_PAD src0_sel:DWORD src1_sel:BYTE_3
	v_sub_u32_e32 v10, 29, v10
	v_and_b32_e32 v5, 7, v5
	v_cmp_eq_u16_e32 vcc, 0, v8
	v_cndmask_b32_e32 v0, v0, v5, vcc
	v_cndmask_b32_e32 v5, v9, v10, vcc
	v_mov_b32_e32 v8, 0x3b800000
	v_lshlrev_b32_e32 v0, 20, v0
	v_lshl_add_u32 v5, v5, 23, v8
	v_or3_b32 v0, v4, v5, v0
.LBB16_1980:
	s_or_b64 exec, exec, s[6:7]
	s_movk_i32 s4, 0x7f
	v_cmp_gt_i16_sdwa s[6:7], v1, s4 src0_sel:BYTE_3 src1_sel:DWORD
	s_mov_b64 s[4:5], 0
                                        ; implicit-def: $sgpr10
	s_and_saveexec_b64 s[8:9], s[6:7]
	s_xor_b64 s[6:7], exec, s[8:9]
	s_cbranch_execnz .LBB16_4029
; %bb.1981:
	s_or_saveexec_b64 s[6:7], s[6:7]
	v_mov_b32_e32 v4, s10
	s_xor_b64 exec, exec, s[6:7]
	s_cbranch_execnz .LBB16_4032
.LBB16_1982:
	s_or_b64 exec, exec, s[6:7]
	s_and_saveexec_b64 s[6:7], s[4:5]
	s_cbranch_execz .LBB16_1984
.LBB16_1983:
	v_bfe_u32 v4, v1, 24, 3
	v_ffbh_u32_e32 v10, v4
	v_min_u32_e32 v10, 32, v10
	v_lshrrev_b32_e32 v8, 27, v1
	v_subrev_u32_e32 v11, 28, v10
	v_and_b32_e32 v5, 0x80000000, v1
	v_and_b32_e32 v8, 15, v8
	v_bfe_u32 v9, v1, 27, 4
	v_lshlrev_b32_sdwa v1, v11, v1 dst_sel:DWORD dst_unused:UNUSED_PAD src0_sel:DWORD src1_sel:BYTE_3
	v_sub_u32_e32 v10, 29, v10
	v_and_b32_e32 v1, 7, v1
	v_cmp_eq_u16_e32 vcc, 0, v8
	v_cndmask_b32_e32 v1, v4, v1, vcc
	v_cndmask_b32_e32 v4, v9, v10, vcc
	v_mov_b32_e32 v8, 0x3b800000
	v_lshlrev_b32_e32 v1, 20, v1
	v_lshl_add_u32 v4, v4, 23, v8
	v_or3_b32 v4, v5, v4, v1
.LBB16_1984:
	s_or_b64 exec, exec, s[6:7]
	s_nop 0
	v_mfma_f32_16x16x4f32 a[0:3], v0, v4, a[0:3]
	s_movk_i32 s4, 0x7f
	v_cmp_gt_i16_sdwa s[6:7], v6, s4 src0_sel:BYTE_0 src1_sel:DWORD
	s_mov_b64 s[4:5], 0
                                        ; implicit-def: $sgpr10
	s_and_saveexec_b64 s[8:9], s[6:7]
	s_xor_b64 s[6:7], exec, s[8:9]
	s_cbranch_execnz .LBB16_4033
; %bb.1985:
	s_or_saveexec_b64 s[6:7], s[6:7]
	v_mov_b32_e32 v0, s10
	s_xor_b64 exec, exec, s[6:7]
	s_cbranch_execnz .LBB16_4036
.LBB16_1986:
	s_or_b64 exec, exec, s[6:7]
	s_and_saveexec_b64 s[6:7], s[4:5]
	s_cbranch_execz .LBB16_1988
.LBB16_1987:
	v_and_b32_e32 v0, 7, v6
	v_ffbh_u32_e32 v4, v0
	v_min_u32_e32 v4, 32, v4
	v_lshrrev_b16_e32 v1, 3, v6
	v_subrev_u32_e32 v5, 28, v4
	v_and_b32_e32 v1, 15, v1
	v_lshlrev_b32_e32 v5, v5, v6
	v_sub_u32_e32 v4, 29, v4
	v_and_b32_e32 v5, 7, v5
	v_cmp_eq_u16_e32 vcc, 0, v1
	v_cndmask_b32_e32 v0, v0, v5, vcc
	v_cndmask_b32_e32 v1, v1, v4, vcc
	v_lshlrev_b32_e32 v4, 24, v6
	v_mov_b32_e32 v5, 0x3b800000
	v_lshlrev_b32_e32 v0, 20, v0
	v_and_b32_e32 v4, 0x80000000, v4
	v_lshl_add_u32 v1, v1, 23, v5
	v_or3_b32 v0, v4, v1, v0
.LBB16_1988:
	s_or_b64 exec, exec, s[6:7]
	s_movk_i32 s4, 0x7f
	v_cmp_gt_i16_sdwa s[6:7], v2, s4 src0_sel:BYTE_0 src1_sel:DWORD
	s_mov_b64 s[4:5], 0
                                        ; implicit-def: $sgpr10
	s_and_saveexec_b64 s[8:9], s[6:7]
	s_xor_b64 s[6:7], exec, s[8:9]
	s_cbranch_execnz .LBB16_4037
; %bb.1989:
	s_or_saveexec_b64 s[6:7], s[6:7]
	v_mov_b32_e32 v1, s10
	s_xor_b64 exec, exec, s[6:7]
	s_cbranch_execnz .LBB16_4040
.LBB16_1990:
	s_or_b64 exec, exec, s[6:7]
	s_and_saveexec_b64 s[6:7], s[4:5]
	s_cbranch_execz .LBB16_1992
.LBB16_1991:
	v_and_b32_e32 v1, 7, v2
	v_ffbh_u32_e32 v5, v1
	v_min_u32_e32 v5, 32, v5
	v_lshrrev_b16_e32 v4, 3, v2
	v_subrev_u32_e32 v8, 28, v5
	v_and_b32_e32 v4, 15, v4
	v_lshlrev_b32_e32 v8, v8, v2
	v_sub_u32_e32 v5, 29, v5
	v_and_b32_e32 v8, 7, v8
	v_cmp_eq_u16_e32 vcc, 0, v4
	v_cndmask_b32_e32 v1, v1, v8, vcc
	v_cndmask_b32_e32 v4, v4, v5, vcc
	v_lshlrev_b32_e32 v5, 24, v2
	v_mov_b32_e32 v8, 0x3b800000
	v_lshlrev_b32_e32 v1, 20, v1
	v_and_b32_e32 v5, 0x80000000, v5
	v_lshl_add_u32 v4, v4, 23, v8
	v_or3_b32 v1, v5, v4, v1
.LBB16_1992:
	s_or_b64 exec, exec, s[6:7]
	s_nop 0
	v_mfma_f32_16x16x4f32 a[0:3], v0, v1, a[0:3]
	v_lshrrev_b32_e32 v1, 8, v6
	s_movk_i32 s4, 0x7f
	v_cmp_gt_i16_sdwa s[6:7], v1, s4 src0_sel:BYTE_0 src1_sel:DWORD
	s_mov_b64 s[4:5], 0
                                        ; implicit-def: $sgpr10
	s_and_saveexec_b64 s[8:9], s[6:7]
	s_xor_b64 s[6:7], exec, s[8:9]
	s_cbranch_execnz .LBB16_4041
; %bb.1993:
	s_or_saveexec_b64 s[6:7], s[6:7]
	v_mov_b32_e32 v0, s10
	s_xor_b64 exec, exec, s[6:7]
	s_cbranch_execnz .LBB16_4044
.LBB16_1994:
	s_or_b64 exec, exec, s[6:7]
	s_and_saveexec_b64 s[6:7], s[4:5]
	s_cbranch_execz .LBB16_1996
.LBB16_1995:
	v_bfe_u32 v0, v6, 8, 3
	v_ffbh_u32_e32 v5, v0
	v_min_u32_e32 v5, 32, v5
	v_lshrrev_b16_e32 v4, 3, v1
	v_subrev_u32_e32 v8, 28, v5
	v_and_b32_e32 v4, 15, v4
	v_lshlrev_b32_e32 v1, v8, v1
	v_sub_u32_e32 v5, 29, v5
	v_and_b32_e32 v1, 7, v1
	v_cmp_eq_u16_e32 vcc, 0, v4
	v_cndmask_b32_e32 v0, v0, v1, vcc
	v_cndmask_b32_e32 v1, v4, v5, vcc
	v_lshlrev_b32_e32 v4, 16, v6
	v_mov_b32_e32 v5, 0x3b800000
	v_lshlrev_b32_e32 v0, 20, v0
	v_and_b32_e32 v4, 0x80000000, v4
	v_lshl_add_u32 v1, v1, 23, v5
	v_or3_b32 v0, v4, v1, v0
.LBB16_1996:
	s_or_b64 exec, exec, s[6:7]
	v_lshrrev_b32_e32 v1, 8, v2
	s_movk_i32 s4, 0x7f
	v_cmp_gt_i16_sdwa s[6:7], v1, s4 src0_sel:BYTE_0 src1_sel:DWORD
	s_mov_b64 s[4:5], 0
                                        ; implicit-def: $sgpr10
	s_and_saveexec_b64 s[8:9], s[6:7]
	s_xor_b64 s[6:7], exec, s[8:9]
	s_cbranch_execnz .LBB16_4045
; %bb.1997:
	s_or_saveexec_b64 s[6:7], s[6:7]
	v_mov_b32_e32 v4, s10
	s_xor_b64 exec, exec, s[6:7]
	s_cbranch_execnz .LBB16_4048
.LBB16_1998:
	s_or_b64 exec, exec, s[6:7]
	s_and_saveexec_b64 s[6:7], s[4:5]
	s_cbranch_execz .LBB16_2000
.LBB16_1999:
	v_bfe_u32 v4, v2, 8, 3
	v_ffbh_u32_e32 v8, v4
	v_min_u32_e32 v8, 32, v8
	v_lshrrev_b16_e32 v5, 3, v1
	v_subrev_u32_e32 v9, 28, v8
	v_and_b32_e32 v5, 15, v5
	v_lshlrev_b32_e32 v1, v9, v1
	v_sub_u32_e32 v8, 29, v8
	v_and_b32_e32 v1, 7, v1
	v_cmp_eq_u16_e32 vcc, 0, v5
	v_cndmask_b32_e32 v1, v4, v1, vcc
	v_cndmask_b32_e32 v4, v5, v8, vcc
	v_lshlrev_b32_e32 v5, 16, v2
	v_mov_b32_e32 v8, 0x3b800000
	v_lshlrev_b32_e32 v1, 20, v1
	v_and_b32_e32 v5, 0x80000000, v5
	v_lshl_add_u32 v4, v4, 23, v8
	v_or3_b32 v4, v5, v4, v1
.LBB16_2000:
	s_or_b64 exec, exec, s[6:7]
	s_nop 0
	v_mfma_f32_16x16x4f32 a[0:3], v0, v4, a[0:3]
	s_movk_i32 s4, 0xff
	v_and_b32_sdwa v1, v6, s4 dst_sel:DWORD dst_unused:UNUSED_PAD src0_sel:WORD_1 src1_sel:DWORD
	s_movk_i32 s4, 0x7f
	v_cmp_lt_i16_e32 vcc, s4, v1
	s_mov_b64 s[4:5], 0
                                        ; implicit-def: $sgpr10
	s_and_saveexec_b64 s[6:7], vcc
	s_xor_b64 s[6:7], exec, s[6:7]
	s_cbranch_execnz .LBB16_4049
; %bb.2001:
	s_or_saveexec_b64 s[6:7], s[6:7]
	v_mov_b32_e32 v0, s10
	s_xor_b64 exec, exec, s[6:7]
	s_cbranch_execnz .LBB16_4052
.LBB16_2002:
	s_or_b64 exec, exec, s[6:7]
	s_and_saveexec_b64 s[6:7], s[4:5]
	s_cbranch_execz .LBB16_2004
.LBB16_2003:
	v_bfe_u32 v0, v6, 16, 3
	v_ffbh_u32_e32 v5, v0
	v_min_u32_e32 v5, 32, v5
	v_lshrrev_b32_e32 v1, 19, v6
	v_subrev_u32_e32 v8, 28, v5
	v_and_b32_e32 v1, 15, v1
	v_lshlrev_b32_sdwa v8, v8, v6 dst_sel:DWORD dst_unused:UNUSED_PAD src0_sel:DWORD src1_sel:WORD_1
	v_bfe_u32 v4, v6, 19, 4
	v_sub_u32_e32 v5, 29, v5
	v_and_b32_e32 v8, 7, v8
	v_cmp_eq_u16_e32 vcc, 0, v1
	v_cndmask_b32_e32 v0, v0, v8, vcc
	v_cndmask_b32_e32 v1, v4, v5, vcc
	v_lshlrev_b32_e32 v4, 8, v6
	v_mov_b32_e32 v5, 0x3b800000
	v_lshlrev_b32_e32 v0, 20, v0
	v_and_b32_e32 v4, 0x80000000, v4
	v_lshl_add_u32 v1, v1, 23, v5
	v_or3_b32 v0, v4, v1, v0
.LBB16_2004:
	s_or_b64 exec, exec, s[6:7]
	s_movk_i32 s4, 0xff
	v_and_b32_sdwa v1, v2, s4 dst_sel:DWORD dst_unused:UNUSED_PAD src0_sel:WORD_1 src1_sel:DWORD
	s_movk_i32 s4, 0x7f
	v_cmp_lt_i16_e32 vcc, s4, v1
	s_mov_b64 s[4:5], 0
                                        ; implicit-def: $sgpr10
	s_and_saveexec_b64 s[6:7], vcc
	s_xor_b64 s[6:7], exec, s[6:7]
	s_cbranch_execnz .LBB16_4053
; %bb.2005:
	s_or_saveexec_b64 s[6:7], s[6:7]
	v_mov_b32_e32 v4, s10
	s_xor_b64 exec, exec, s[6:7]
	s_cbranch_execnz .LBB16_4056
.LBB16_2006:
	s_or_b64 exec, exec, s[6:7]
	s_and_saveexec_b64 s[6:7], s[4:5]
	s_cbranch_execz .LBB16_2008
.LBB16_2007:
	v_bfe_u32 v1, v2, 16, 3
	v_ffbh_u32_e32 v8, v1
	v_min_u32_e32 v8, 32, v8
	v_lshrrev_b32_e32 v4, 19, v2
	v_subrev_u32_e32 v9, 28, v8
	v_and_b32_e32 v4, 15, v4
	v_lshlrev_b32_sdwa v9, v9, v2 dst_sel:DWORD dst_unused:UNUSED_PAD src0_sel:DWORD src1_sel:WORD_1
	v_bfe_u32 v5, v2, 19, 4
	v_sub_u32_e32 v8, 29, v8
	v_and_b32_e32 v9, 7, v9
	v_cmp_eq_u16_e32 vcc, 0, v4
	v_cndmask_b32_e32 v1, v1, v9, vcc
	v_cndmask_b32_e32 v4, v5, v8, vcc
	v_lshlrev_b32_e32 v5, 8, v2
	v_mov_b32_e32 v8, 0x3b800000
	v_lshlrev_b32_e32 v1, 20, v1
	v_and_b32_e32 v5, 0x80000000, v5
	v_lshl_add_u32 v4, v4, 23, v8
	v_or3_b32 v4, v5, v4, v1
.LBB16_2008:
	s_or_b64 exec, exec, s[6:7]
	s_nop 0
	v_mfma_f32_16x16x4f32 a[0:3], v0, v4, a[0:3]
	s_movk_i32 s4, 0x7f
	v_cmp_gt_i16_sdwa s[6:7], v6, s4 src0_sel:BYTE_3 src1_sel:DWORD
	s_mov_b64 s[4:5], 0
                                        ; implicit-def: $sgpr10
	s_and_saveexec_b64 s[8:9], s[6:7]
	s_xor_b64 s[6:7], exec, s[8:9]
	s_cbranch_execnz .LBB16_4057
; %bb.2009:
	s_or_saveexec_b64 s[6:7], s[6:7]
	v_mov_b32_e32 v0, s10
	s_xor_b64 exec, exec, s[6:7]
	s_cbranch_execnz .LBB16_4060
.LBB16_2010:
	s_or_b64 exec, exec, s[6:7]
	s_and_saveexec_b64 s[6:7], s[4:5]
	s_cbranch_execz .LBB16_2012
.LBB16_2011:
	v_bfe_u32 v0, v6, 24, 3
	v_ffbh_u32_e32 v8, v0
	v_min_u32_e32 v8, 32, v8
	v_lshrrev_b32_e32 v4, 27, v6
	v_subrev_u32_e32 v9, 28, v8
	v_and_b32_e32 v1, 0x80000000, v6
	v_and_b32_e32 v4, 15, v4
	v_bfe_u32 v5, v6, 27, 4
	v_lshlrev_b32_sdwa v6, v9, v6 dst_sel:DWORD dst_unused:UNUSED_PAD src0_sel:DWORD src1_sel:BYTE_3
	v_sub_u32_e32 v8, 29, v8
	v_and_b32_e32 v6, 7, v6
	v_cmp_eq_u16_e32 vcc, 0, v4
	v_cndmask_b32_e32 v0, v0, v6, vcc
	v_cndmask_b32_e32 v4, v5, v8, vcc
	v_mov_b32_e32 v5, 0x3b800000
	v_lshlrev_b32_e32 v0, 20, v0
	v_lshl_add_u32 v4, v4, 23, v5
	v_or3_b32 v0, v1, v4, v0
.LBB16_2012:
	s_or_b64 exec, exec, s[6:7]
	s_movk_i32 s4, 0x7f
	v_cmp_gt_i16_sdwa s[6:7], v2, s4 src0_sel:BYTE_3 src1_sel:DWORD
	s_mov_b64 s[4:5], 0
                                        ; implicit-def: $sgpr10
	s_and_saveexec_b64 s[8:9], s[6:7]
	s_xor_b64 s[6:7], exec, s[8:9]
	s_cbranch_execnz .LBB16_4061
; %bb.2013:
	s_or_saveexec_b64 s[6:7], s[6:7]
	v_mov_b32_e32 v1, s10
	s_xor_b64 exec, exec, s[6:7]
	s_cbranch_execnz .LBB16_4064
.LBB16_2014:
	s_or_b64 exec, exec, s[6:7]
	s_and_saveexec_b64 s[6:7], s[4:5]
	s_cbranch_execz .LBB16_2016
.LBB16_2015:
	v_bfe_u32 v1, v2, 24, 3
	v_ffbh_u32_e32 v8, v1
	v_min_u32_e32 v8, 32, v8
	v_lshrrev_b32_e32 v5, 27, v2
	v_subrev_u32_e32 v9, 28, v8
	v_and_b32_e32 v4, 0x80000000, v2
	v_and_b32_e32 v5, 15, v5
	v_bfe_u32 v6, v2, 27, 4
	v_lshlrev_b32_sdwa v2, v9, v2 dst_sel:DWORD dst_unused:UNUSED_PAD src0_sel:DWORD src1_sel:BYTE_3
	v_sub_u32_e32 v8, 29, v8
	v_and_b32_e32 v2, 7, v2
	v_cmp_eq_u16_e32 vcc, 0, v5
	v_cndmask_b32_e32 v1, v1, v2, vcc
	v_cndmask_b32_e32 v2, v6, v8, vcc
	v_mov_b32_e32 v5, 0x3b800000
	v_lshlrev_b32_e32 v1, 20, v1
	v_lshl_add_u32 v2, v2, 23, v5
	v_or3_b32 v1, v4, v2, v1
.LBB16_2016:
	s_or_b64 exec, exec, s[6:7]
	s_nop 0
	v_mfma_f32_16x16x4f32 a[0:3], v0, v1, a[0:3]
	s_movk_i32 s4, 0x7f
	v_cmp_gt_i16_sdwa s[6:7], v7, s4 src0_sel:BYTE_0 src1_sel:DWORD
	s_mov_b64 s[4:5], 0
                                        ; implicit-def: $sgpr10
	s_and_saveexec_b64 s[8:9], s[6:7]
	s_xor_b64 s[6:7], exec, s[8:9]
	s_cbranch_execnz .LBB16_4065
; %bb.2017:
	s_or_saveexec_b64 s[6:7], s[6:7]
	v_mov_b32_e32 v0, s10
	s_xor_b64 exec, exec, s[6:7]
	s_cbranch_execnz .LBB16_4068
.LBB16_2018:
	s_or_b64 exec, exec, s[6:7]
	s_and_saveexec_b64 s[6:7], s[4:5]
	s_cbranch_execz .LBB16_2020
.LBB16_2019:
	v_mov_b32_e32 v0, 8
	v_and_b32_e32 v1, 7, v7
	v_lshrrev_b32_sdwa v0, v0, v7 dst_sel:BYTE_1 dst_unused:UNUSED_PAD src0_sel:DWORD src1_sel:DWORD
	v_ffbh_u32_e32 v2, v1
	v_or_b32_sdwa v0, v7, v0 dst_sel:DWORD dst_unused:UNUSED_PAD src0_sel:BYTE_0 src1_sel:DWORD
	v_min_u32_e32 v2, 32, v2
	v_lshrrev_b16_e32 v0, 3, v0
	v_subrev_u32_e32 v4, 28, v2
	v_and_b32_e32 v0, 15, v0
	v_lshlrev_b32_e32 v4, v4, v7
	v_sub_u32_e32 v2, 29, v2
	v_and_b32_e32 v4, 7, v4
	v_cmp_eq_u16_e32 vcc, 0, v0
	v_cndmask_b32_e32 v1, v1, v4, vcc
	v_cndmask_b32_e32 v0, v0, v2, vcc
	v_lshlrev_b32_e32 v2, 24, v7
	v_mov_b32_e32 v4, 0x3b800000
	v_lshlrev_b32_e32 v1, 20, v1
	v_and_b32_e32 v2, 0x80000000, v2
	v_lshl_add_u32 v0, v0, 23, v4
	v_or3_b32 v0, v2, v0, v1
.LBB16_2020:
	s_or_b64 exec, exec, s[6:7]
	s_movk_i32 s4, 0x7f
	v_cmp_gt_i16_sdwa s[6:7], v3, s4 src0_sel:BYTE_0 src1_sel:DWORD
	s_mov_b64 s[4:5], 0
                                        ; implicit-def: $sgpr10
	s_and_saveexec_b64 s[8:9], s[6:7]
	s_xor_b64 s[6:7], exec, s[8:9]
	s_cbranch_execnz .LBB16_4069
; %bb.2021:
	s_or_saveexec_b64 s[6:7], s[6:7]
	v_mov_b32_e32 v1, s10
	s_xor_b64 exec, exec, s[6:7]
	s_cbranch_execnz .LBB16_4072
.LBB16_2022:
	s_or_b64 exec, exec, s[6:7]
	s_and_saveexec_b64 s[6:7], s[4:5]
	s_cbranch_execz .LBB16_2024
.LBB16_2023:
	v_mov_b32_e32 v1, 8
	v_and_b32_e32 v2, 7, v3
	v_lshrrev_b32_sdwa v1, v1, v3 dst_sel:BYTE_1 dst_unused:UNUSED_PAD src0_sel:DWORD src1_sel:DWORD
	v_ffbh_u32_e32 v4, v2
	v_or_b32_sdwa v1, v3, v1 dst_sel:DWORD dst_unused:UNUSED_PAD src0_sel:BYTE_0 src1_sel:DWORD
	v_min_u32_e32 v4, 32, v4
	v_lshrrev_b16_e32 v1, 3, v1
	v_subrev_u32_e32 v5, 28, v4
	v_and_b32_e32 v1, 15, v1
	v_lshlrev_b32_e32 v5, v5, v3
	v_sub_u32_e32 v4, 29, v4
	v_and_b32_e32 v5, 7, v5
	v_cmp_eq_u16_e32 vcc, 0, v1
	v_cndmask_b32_e32 v2, v2, v5, vcc
	v_cndmask_b32_e32 v1, v1, v4, vcc
	v_lshlrev_b32_e32 v4, 24, v3
	v_mov_b32_e32 v5, 0x3b800000
	v_lshlrev_b32_e32 v2, 20, v2
	v_and_b32_e32 v4, 0x80000000, v4
	v_lshl_add_u32 v1, v1, 23, v5
	v_or3_b32 v1, v4, v1, v2
.LBB16_2024:
	s_or_b64 exec, exec, s[6:7]
	s_nop 0
	v_mfma_f32_16x16x4f32 a[0:3], v0, v1, a[0:3]
	v_lshrrev_b32_e32 v1, 8, v7
	s_movk_i32 s4, 0x7f
	v_cmp_gt_i16_sdwa s[6:7], v1, s4 src0_sel:BYTE_0 src1_sel:DWORD
	s_mov_b64 s[4:5], 0
                                        ; implicit-def: $sgpr10
	s_and_saveexec_b64 s[8:9], s[6:7]
	s_xor_b64 s[6:7], exec, s[8:9]
	s_cbranch_execnz .LBB16_4073
; %bb.2025:
	s_or_saveexec_b64 s[6:7], s[6:7]
	v_mov_b32_e32 v0, s10
	s_xor_b64 exec, exec, s[6:7]
	s_cbranch_execnz .LBB16_4076
.LBB16_2026:
	s_or_b64 exec, exec, s[6:7]
	s_and_saveexec_b64 s[6:7], s[4:5]
	s_cbranch_execz .LBB16_2028
.LBB16_2027:
	v_bfe_u32 v0, v7, 8, 3
	v_ffbh_u32_e32 v4, v0
	v_min_u32_e32 v4, 32, v4
	v_lshrrev_b16_e32 v2, 3, v1
	v_subrev_u32_e32 v5, 28, v4
	v_and_b32_e32 v2, 15, v2
	v_lshlrev_b32_e32 v1, v5, v1
	v_sub_u32_e32 v4, 29, v4
	v_and_b32_e32 v1, 7, v1
	v_cmp_eq_u16_e32 vcc, 0, v2
	v_cndmask_b32_e32 v0, v0, v1, vcc
	v_cndmask_b32_e32 v1, v2, v4, vcc
	v_lshlrev_b32_e32 v2, 16, v7
	v_mov_b32_e32 v4, 0x3b800000
	v_lshlrev_b32_e32 v0, 20, v0
	v_and_b32_e32 v2, 0x80000000, v2
	v_lshl_add_u32 v1, v1, 23, v4
	v_or3_b32 v0, v2, v1, v0
.LBB16_2028:
	s_or_b64 exec, exec, s[6:7]
	v_lshrrev_b32_e32 v1, 8, v3
	s_movk_i32 s4, 0x7f
	v_cmp_gt_i16_sdwa s[6:7], v1, s4 src0_sel:BYTE_0 src1_sel:DWORD
	s_mov_b64 s[4:5], 0
                                        ; implicit-def: $sgpr10
	s_and_saveexec_b64 s[8:9], s[6:7]
	s_xor_b64 s[6:7], exec, s[8:9]
	s_cbranch_execnz .LBB16_4077
; %bb.2029:
	s_or_saveexec_b64 s[6:7], s[6:7]
	v_mov_b32_e32 v2, s10
	s_xor_b64 exec, exec, s[6:7]
	s_cbranch_execnz .LBB16_4080
.LBB16_2030:
	s_or_b64 exec, exec, s[6:7]
	s_and_saveexec_b64 s[6:7], s[4:5]
	s_cbranch_execz .LBB16_2032
.LBB16_2031:
	v_bfe_u32 v2, v3, 8, 3
	v_ffbh_u32_e32 v5, v2
	v_min_u32_e32 v5, 32, v5
	v_lshrrev_b16_e32 v4, 3, v1
	v_subrev_u32_e32 v6, 28, v5
	v_and_b32_e32 v4, 15, v4
	v_lshlrev_b32_e32 v1, v6, v1
	v_sub_u32_e32 v5, 29, v5
	v_and_b32_e32 v1, 7, v1
	v_cmp_eq_u16_e32 vcc, 0, v4
	v_cndmask_b32_e32 v1, v2, v1, vcc
	v_cndmask_b32_e32 v2, v4, v5, vcc
	v_lshlrev_b32_e32 v4, 16, v3
	v_mov_b32_e32 v5, 0x3b800000
	v_lshlrev_b32_e32 v1, 20, v1
	v_and_b32_e32 v4, 0x80000000, v4
	v_lshl_add_u32 v2, v2, 23, v5
	v_or3_b32 v2, v4, v2, v1
.LBB16_2032:
	s_or_b64 exec, exec, s[6:7]
	s_nop 0
	v_mfma_f32_16x16x4f32 a[0:3], v0, v2, a[0:3]
	s_movk_i32 s4, 0xff
	v_and_b32_sdwa v1, v7, s4 dst_sel:DWORD dst_unused:UNUSED_PAD src0_sel:WORD_1 src1_sel:DWORD
	s_movk_i32 s4, 0x7f
	v_cmp_lt_i16_e32 vcc, s4, v1
	s_mov_b64 s[4:5], 0
                                        ; implicit-def: $sgpr10
	s_and_saveexec_b64 s[6:7], vcc
	s_xor_b64 s[6:7], exec, s[6:7]
	s_cbranch_execnz .LBB16_4081
; %bb.2033:
	s_or_saveexec_b64 s[6:7], s[6:7]
	v_mov_b32_e32 v0, s10
	s_xor_b64 exec, exec, s[6:7]
	s_cbranch_execnz .LBB16_4084
.LBB16_2034:
	s_or_b64 exec, exec, s[6:7]
	s_and_saveexec_b64 s[6:7], s[4:5]
	s_cbranch_execz .LBB16_2036
.LBB16_2035:
	v_bfe_u32 v0, v7, 16, 3
	v_ffbh_u32_e32 v4, v0
	v_min_u32_e32 v4, 32, v4
	v_lshrrev_b32_e32 v1, 19, v7
	v_subrev_u32_e32 v5, 28, v4
	v_and_b32_e32 v1, 15, v1
	v_lshlrev_b32_sdwa v5, v5, v7 dst_sel:DWORD dst_unused:UNUSED_PAD src0_sel:DWORD src1_sel:WORD_1
	v_bfe_u32 v2, v7, 19, 4
	v_sub_u32_e32 v4, 29, v4
	v_and_b32_e32 v5, 7, v5
	v_cmp_eq_u16_e32 vcc, 0, v1
	v_cndmask_b32_e32 v0, v0, v5, vcc
	v_cndmask_b32_e32 v1, v2, v4, vcc
	v_lshlrev_b32_e32 v2, 8, v7
	v_mov_b32_e32 v4, 0x3b800000
	v_lshlrev_b32_e32 v0, 20, v0
	v_and_b32_e32 v2, 0x80000000, v2
	v_lshl_add_u32 v1, v1, 23, v4
	v_or3_b32 v0, v2, v1, v0
.LBB16_2036:
	s_or_b64 exec, exec, s[6:7]
	s_movk_i32 s4, 0xff
	v_and_b32_sdwa v1, v3, s4 dst_sel:DWORD dst_unused:UNUSED_PAD src0_sel:WORD_1 src1_sel:DWORD
	s_movk_i32 s4, 0x7f
	v_cmp_lt_i16_e32 vcc, s4, v1
	s_mov_b64 s[4:5], 0
                                        ; implicit-def: $sgpr10
	s_and_saveexec_b64 s[6:7], vcc
	s_xor_b64 s[6:7], exec, s[6:7]
	s_cbranch_execnz .LBB16_4085
; %bb.2037:
	s_or_saveexec_b64 s[6:7], s[6:7]
	v_mov_b32_e32 v2, s10
	s_xor_b64 exec, exec, s[6:7]
	s_cbranch_execnz .LBB16_4088
.LBB16_2038:
	s_or_b64 exec, exec, s[6:7]
	s_and_saveexec_b64 s[6:7], s[4:5]
	s_cbranch_execz .LBB16_2040
.LBB16_2039:
	v_bfe_u32 v1, v3, 16, 3
	v_ffbh_u32_e32 v5, v1
	v_min_u32_e32 v5, 32, v5
	v_lshrrev_b32_e32 v2, 19, v3
	v_subrev_u32_e32 v6, 28, v5
	v_and_b32_e32 v2, 15, v2
	v_lshlrev_b32_sdwa v6, v6, v3 dst_sel:DWORD dst_unused:UNUSED_PAD src0_sel:DWORD src1_sel:WORD_1
	v_bfe_u32 v4, v3, 19, 4
	v_sub_u32_e32 v5, 29, v5
	v_and_b32_e32 v6, 7, v6
	v_cmp_eq_u16_e32 vcc, 0, v2
	v_cndmask_b32_e32 v1, v1, v6, vcc
	v_cndmask_b32_e32 v2, v4, v5, vcc
	v_lshlrev_b32_e32 v4, 8, v3
	v_mov_b32_e32 v5, 0x3b800000
	v_lshlrev_b32_e32 v1, 20, v1
	v_and_b32_e32 v4, 0x80000000, v4
	v_lshl_add_u32 v2, v2, 23, v5
	v_or3_b32 v2, v4, v2, v1
.LBB16_2040:
	s_or_b64 exec, exec, s[6:7]
	s_nop 0
	v_mfma_f32_16x16x4f32 a[0:3], v0, v2, a[0:3]
	s_movk_i32 s4, 0x7f
	v_cmp_gt_i16_sdwa s[6:7], v7, s4 src0_sel:BYTE_3 src1_sel:DWORD
	s_mov_b64 s[4:5], 0
                                        ; implicit-def: $sgpr10
	s_and_saveexec_b64 s[8:9], s[6:7]
	s_xor_b64 s[6:7], exec, s[8:9]
	s_cbranch_execnz .LBB16_4089
; %bb.2041:
	s_or_saveexec_b64 s[6:7], s[6:7]
	v_mov_b32_e32 v0, s10
	s_xor_b64 exec, exec, s[6:7]
	s_cbranch_execnz .LBB16_4092
.LBB16_2042:
	s_or_b64 exec, exec, s[6:7]
	s_and_saveexec_b64 s[6:7], s[4:5]
	s_cbranch_execz .LBB16_2044
.LBB16_2043:
	v_bfe_u32 v0, v7, 24, 3
	v_ffbh_u32_e32 v5, v0
	v_min_u32_e32 v5, 32, v5
	v_lshrrev_b32_e32 v2, 27, v7
	v_subrev_u32_e32 v6, 28, v5
	v_and_b32_e32 v2, 15, v2
	v_lshlrev_b32_sdwa v6, v6, v7 dst_sel:DWORD dst_unused:UNUSED_PAD src0_sel:DWORD src1_sel:BYTE_3
	v_bfe_u32 v4, v7, 27, 4
	v_sub_u32_e32 v5, 29, v5
	v_and_b32_e32 v6, 7, v6
	v_cmp_eq_u16_e32 vcc, 0, v2
	v_cndmask_b32_e32 v0, v0, v6, vcc
	v_cndmask_b32_e32 v2, v4, v5, vcc
	v_mov_b32_e32 v4, 0x3b800000
	v_and_b32_e32 v1, 0x80000000, v7
	v_lshlrev_b32_e32 v0, 20, v0
	v_lshl_add_u32 v2, v2, 23, v4
	v_or3_b32 v0, v1, v2, v0
.LBB16_2044:
	s_or_b64 exec, exec, s[6:7]
	s_movk_i32 s4, 0x7f
	v_cmp_gt_i16_sdwa s[6:7], v3, s4 src0_sel:BYTE_3 src1_sel:DWORD
	s_mov_b64 s[4:5], 0
                                        ; implicit-def: $sgpr10
	s_and_saveexec_b64 s[8:9], s[6:7]
	s_xor_b64 s[6:7], exec, s[8:9]
	s_cbranch_execnz .LBB16_4093
; %bb.2045:
	s_or_saveexec_b64 s[6:7], s[6:7]
	v_mov_b32_e32 v1, s10
	s_xor_b64 exec, exec, s[6:7]
	s_cbranch_execnz .LBB16_4096
.LBB16_2046:
	s_or_b64 exec, exec, s[6:7]
	s_and_saveexec_b64 s[6:7], s[4:5]
	s_cbranch_execz .LBB16_2048
.LBB16_2047:
	v_bfe_u32 v1, v3, 24, 3
	v_ffbh_u32_e32 v6, v1
	v_min_u32_e32 v6, 32, v6
	v_lshrrev_b32_e32 v4, 27, v3
	v_subrev_u32_e32 v7, 28, v6
	v_and_b32_e32 v2, 0x80000000, v3
	v_and_b32_e32 v4, 15, v4
	v_bfe_u32 v5, v3, 27, 4
	v_lshlrev_b32_sdwa v3, v7, v3 dst_sel:DWORD dst_unused:UNUSED_PAD src0_sel:DWORD src1_sel:BYTE_3
	v_sub_u32_e32 v6, 29, v6
	v_and_b32_e32 v3, 7, v3
	v_cmp_eq_u16_e32 vcc, 0, v4
	v_cndmask_b32_e32 v1, v1, v3, vcc
	v_cndmask_b32_e32 v3, v5, v6, vcc
	v_mov_b32_e32 v4, 0x3b800000
	v_lshlrev_b32_e32 v1, 20, v1
	v_lshl_add_u32 v3, v3, 23, v4
	v_or3_b32 v1, v2, v3, v1
.LBB16_2048:
	s_or_b64 exec, exec, s[6:7]
	s_nop 0
	v_mfma_f32_16x16x4f32 a[0:3], v0, v1, a[0:3]
	s_nop 7
	s_nop 2
	flat_store_dwordx4 v[16:17], a[0:3] offset:880
	s_waitcnt vmcnt(0) lgkmcnt(0)
	s_setpc_b64 s[30:31]
.LBB16_2049:
	s_movk_i32 s4, 0x80
	v_cmp_eq_u16_sdwa s[12:13], v14, s4 src0_sel:BYTE_0 src1_sel:DWORD
	s_mov_b64 s[4:5], -1
                                        ; implicit-def: $sgpr10
	s_and_saveexec_b64 s[8:9], s[12:13]
; %bb.2050:
	s_mov_b32 s10, 0x7f800001
	s_xor_b64 s[4:5], exec, -1
; %bb.2051:
	s_or_b64 exec, exec, s[8:9]
	s_and_b64 s[4:5], s[4:5], exec
	s_or_saveexec_b64 s[6:7], s[6:7]
	v_mov_b32_e32 v20, s10
	s_xor_b64 exec, exec, s[6:7]
	s_cbranch_execz .LBB16_2
.LBB16_2052:
	v_mov_b32_e32 v20, 0
	v_cmp_ne_u16_sdwa s[8:9], v14, v20 src0_sel:BYTE_0 src1_sel:DWORD
	s_andn2_b64 s[4:5], s[4:5], exec
	s_and_b64 s[8:9], s[8:9], exec
	s_or_b64 s[4:5], s[4:5], s[8:9]
	s_or_b64 exec, exec, s[6:7]
	s_and_saveexec_b64 s[6:7], s[4:5]
	s_cbranch_execnz .LBB16_3
	s_branch .LBB16_4
.LBB16_2053:
	s_movk_i32 s4, 0x80
	v_cmp_eq_u16_sdwa s[12:13], v10, s4 src0_sel:BYTE_0 src1_sel:DWORD
	s_mov_b64 s[4:5], -1
                                        ; implicit-def: $sgpr10
	s_and_saveexec_b64 s[8:9], s[12:13]
; %bb.2054:
	s_mov_b32 s10, 0x7f800001
	s_xor_b64 s[4:5], exec, -1
; %bb.2055:
	s_or_b64 exec, exec, s[8:9]
	s_and_b64 s[4:5], s[4:5], exec
	s_or_saveexec_b64 s[6:7], s[6:7]
	v_mov_b32_e32 v21, s10
	s_xor_b64 exec, exec, s[6:7]
	s_cbranch_execz .LBB16_6
.LBB16_2056:
	v_mov_b32_e32 v21, 0
	v_cmp_ne_u16_sdwa s[8:9], v10, v21 src0_sel:BYTE_0 src1_sel:DWORD
	s_andn2_b64 s[4:5], s[4:5], exec
	s_and_b64 s[8:9], s[8:9], exec
	s_or_b64 s[4:5], s[4:5], s[8:9]
	s_or_b64 exec, exec, s[6:7]
	s_and_saveexec_b64 s[6:7], s[4:5]
	s_cbranch_execnz .LBB16_7
	s_branch .LBB16_8
.LBB16_2057:
	s_movk_i32 s4, 0x80
	v_cmp_eq_u16_sdwa s[12:13], v21, s4 src0_sel:BYTE_0 src1_sel:DWORD
	s_mov_b64 s[4:5], -1
                                        ; implicit-def: $sgpr10
	s_and_saveexec_b64 s[8:9], s[12:13]
; %bb.2058:
	s_mov_b32 s10, 0x7f800001
	s_xor_b64 s[4:5], exec, -1
; %bb.2059:
	s_or_b64 exec, exec, s[8:9]
	s_and_b64 s[4:5], s[4:5], exec
	s_or_saveexec_b64 s[6:7], s[6:7]
	v_mov_b32_e32 v20, s10
	s_xor_b64 exec, exec, s[6:7]
	s_cbranch_execz .LBB16_10
.LBB16_2060:
	v_mov_b32_e32 v20, 0
	v_cmp_ne_u16_sdwa s[8:9], v21, v20 src0_sel:BYTE_0 src1_sel:DWORD
	s_andn2_b64 s[4:5], s[4:5], exec
	s_and_b64 s[8:9], s[8:9], exec
	s_or_b64 s[4:5], s[4:5], s[8:9]
	s_or_b64 exec, exec, s[6:7]
	s_and_saveexec_b64 s[6:7], s[4:5]
	s_cbranch_execnz .LBB16_11
	s_branch .LBB16_12
.LBB16_2061:
	s_movk_i32 s4, 0x80
	v_cmp_eq_u16_sdwa s[12:13], v21, s4 src0_sel:BYTE_0 src1_sel:DWORD
	s_mov_b64 s[4:5], -1
                                        ; implicit-def: $sgpr10
	s_and_saveexec_b64 s[8:9], s[12:13]
; %bb.2062:
	s_mov_b32 s10, 0x7f800001
	s_xor_b64 s[4:5], exec, -1
; %bb.2063:
	s_or_b64 exec, exec, s[8:9]
	s_and_b64 s[4:5], s[4:5], exec
	s_or_saveexec_b64 s[6:7], s[6:7]
	v_mov_b32_e32 v22, s10
	s_xor_b64 exec, exec, s[6:7]
	s_cbranch_execz .LBB16_14
.LBB16_2064:
	v_mov_b32_e32 v22, 0
	v_cmp_ne_u16_sdwa s[8:9], v21, v22 src0_sel:BYTE_0 src1_sel:DWORD
	s_andn2_b64 s[4:5], s[4:5], exec
	s_and_b64 s[8:9], s[8:9], exec
	s_or_b64 s[4:5], s[4:5], s[8:9]
	s_or_b64 exec, exec, s[6:7]
	s_and_saveexec_b64 s[6:7], s[4:5]
	s_cbranch_execnz .LBB16_15
	s_branch .LBB16_16
.LBB16_2065:
	s_movk_i32 s4, 0x80
	v_cmp_eq_u16_e32 vcc, s4, v21
	s_mov_b64 s[4:5], -1
                                        ; implicit-def: $sgpr10
	s_and_saveexec_b64 s[8:9], vcc
; %bb.2066:
	s_mov_b32 s10, 0x7f800001
	s_xor_b64 s[4:5], exec, -1
; %bb.2067:
	s_or_b64 exec, exec, s[8:9]
	s_and_b64 s[4:5], s[4:5], exec
                                        ; implicit-def: $vgpr21
	s_or_saveexec_b64 s[6:7], s[6:7]
	v_mov_b32_e32 v20, s10
	s_xor_b64 exec, exec, s[6:7]
	s_cbranch_execz .LBB16_18
.LBB16_2068:
	v_cmp_ne_u16_e32 vcc, 0, v21
	s_andn2_b64 s[4:5], s[4:5], exec
	s_and_b64 s[8:9], vcc, exec
	v_mov_b32_e32 v20, 0
	s_or_b64 s[4:5], s[4:5], s[8:9]
	s_or_b64 exec, exec, s[6:7]
	s_and_saveexec_b64 s[6:7], s[4:5]
	s_cbranch_execnz .LBB16_19
	s_branch .LBB16_20
.LBB16_2069:
	s_movk_i32 s4, 0x80
	v_cmp_eq_u16_e32 vcc, s4, v21
	s_mov_b64 s[4:5], -1
                                        ; implicit-def: $sgpr10
	s_and_saveexec_b64 s[8:9], vcc
; %bb.2070:
	s_mov_b32 s10, 0x7f800001
	s_xor_b64 s[4:5], exec, -1
; %bb.2071:
	s_or_b64 exec, exec, s[8:9]
	s_and_b64 s[4:5], s[4:5], exec
                                        ; implicit-def: $vgpr21
	s_or_saveexec_b64 s[6:7], s[6:7]
	v_mov_b32_e32 v22, s10
	s_xor_b64 exec, exec, s[6:7]
	s_cbranch_execz .LBB16_22
.LBB16_2072:
	v_cmp_ne_u16_e32 vcc, 0, v21
	s_andn2_b64 s[4:5], s[4:5], exec
	s_and_b64 s[8:9], vcc, exec
	v_mov_b32_e32 v22, 0
	s_or_b64 s[4:5], s[4:5], s[8:9]
	s_or_b64 exec, exec, s[6:7]
	s_and_saveexec_b64 s[6:7], s[4:5]
	s_cbranch_execnz .LBB16_23
	s_branch .LBB16_24
.LBB16_2073:
	s_movk_i32 s4, 0x80
	v_cmp_eq_u16_sdwa s[12:13], v14, s4 src0_sel:BYTE_3 src1_sel:DWORD
	s_mov_b64 s[4:5], -1
                                        ; implicit-def: $sgpr10
	s_and_saveexec_b64 s[8:9], s[12:13]
; %bb.2074:
	s_mov_b32 s10, 0x7f800001
	s_xor_b64 s[4:5], exec, -1
; %bb.2075:
	s_or_b64 exec, exec, s[8:9]
	s_and_b64 s[4:5], s[4:5], exec
	s_or_saveexec_b64 s[6:7], s[6:7]
	v_mov_b32_e32 v20, s10
	s_xor_b64 exec, exec, s[6:7]
	s_cbranch_execz .LBB16_26
.LBB16_2076:
	v_mov_b32_e32 v20, 0
	v_cmp_ne_u16_sdwa s[8:9], v14, v20 src0_sel:BYTE_3 src1_sel:DWORD
	s_andn2_b64 s[4:5], s[4:5], exec
	s_and_b64 s[8:9], s[8:9], exec
	s_or_b64 s[4:5], s[4:5], s[8:9]
	s_or_b64 exec, exec, s[6:7]
	s_and_saveexec_b64 s[6:7], s[4:5]
	s_cbranch_execnz .LBB16_27
	s_branch .LBB16_28
.LBB16_2077:
	s_movk_i32 s4, 0x80
	v_cmp_eq_u16_sdwa s[12:13], v10, s4 src0_sel:BYTE_3 src1_sel:DWORD
	s_mov_b64 s[4:5], -1
                                        ; implicit-def: $sgpr10
	s_and_saveexec_b64 s[8:9], s[12:13]
; %bb.2078:
	s_mov_b32 s10, 0x7f800001
	s_xor_b64 s[4:5], exec, -1
; %bb.2079:
	s_or_b64 exec, exec, s[8:9]
	s_and_b64 s[4:5], s[4:5], exec
	s_or_saveexec_b64 s[6:7], s[6:7]
	v_mov_b32_e32 v14, s10
	s_xor_b64 exec, exec, s[6:7]
	s_cbranch_execz .LBB16_30
.LBB16_2080:
	v_mov_b32_e32 v14, 0
	v_cmp_ne_u16_sdwa s[8:9], v10, v14 src0_sel:BYTE_3 src1_sel:DWORD
	s_andn2_b64 s[4:5], s[4:5], exec
	s_and_b64 s[8:9], s[8:9], exec
	s_or_b64 s[4:5], s[4:5], s[8:9]
	s_or_b64 exec, exec, s[6:7]
	s_and_saveexec_b64 s[6:7], s[4:5]
	s_cbranch_execnz .LBB16_31
	s_branch .LBB16_32
.LBB16_2081:
	s_movk_i32 s4, 0x80
	v_cmp_eq_u16_sdwa s[12:13], v15, s4 src0_sel:BYTE_0 src1_sel:DWORD
	s_mov_b64 s[4:5], -1
                                        ; implicit-def: $sgpr10
	s_and_saveexec_b64 s[8:9], s[12:13]
; %bb.2082:
	s_mov_b32 s10, 0x7f800001
	s_xor_b64 s[4:5], exec, -1
; %bb.2083:
	s_or_b64 exec, exec, s[8:9]
	s_and_b64 s[4:5], s[4:5], exec
	s_or_saveexec_b64 s[6:7], s[6:7]
	v_mov_b32_e32 v10, s10
	s_xor_b64 exec, exec, s[6:7]
	s_cbranch_execz .LBB16_34
.LBB16_2084:
	v_mov_b32_e32 v10, 0
	v_cmp_ne_u16_sdwa s[8:9], v15, v10 src0_sel:BYTE_0 src1_sel:DWORD
	s_andn2_b64 s[4:5], s[4:5], exec
	s_and_b64 s[8:9], s[8:9], exec
	s_or_b64 s[4:5], s[4:5], s[8:9]
	s_or_b64 exec, exec, s[6:7]
	s_and_saveexec_b64 s[6:7], s[4:5]
	s_cbranch_execnz .LBB16_35
	s_branch .LBB16_36
.LBB16_2085:
	s_movk_i32 s4, 0x80
	v_cmp_eq_u16_sdwa s[12:13], v11, s4 src0_sel:BYTE_0 src1_sel:DWORD
	s_mov_b64 s[4:5], -1
                                        ; implicit-def: $sgpr10
	s_and_saveexec_b64 s[8:9], s[12:13]
; %bb.2086:
	s_mov_b32 s10, 0x7f800001
	s_xor_b64 s[4:5], exec, -1
; %bb.2087:
	s_or_b64 exec, exec, s[8:9]
	s_and_b64 s[4:5], s[4:5], exec
	s_or_saveexec_b64 s[6:7], s[6:7]
	v_mov_b32_e32 v14, s10
	s_xor_b64 exec, exec, s[6:7]
	s_cbranch_execz .LBB16_38
.LBB16_2088:
	v_mov_b32_e32 v14, 0
	v_cmp_ne_u16_sdwa s[8:9], v11, v14 src0_sel:BYTE_0 src1_sel:DWORD
	s_andn2_b64 s[4:5], s[4:5], exec
	s_and_b64 s[8:9], s[8:9], exec
	s_or_b64 s[4:5], s[4:5], s[8:9]
	s_or_b64 exec, exec, s[6:7]
	s_and_saveexec_b64 s[6:7], s[4:5]
	s_cbranch_execnz .LBB16_39
	s_branch .LBB16_40
.LBB16_2089:
	s_movk_i32 s4, 0x80
	v_cmp_eq_u16_sdwa s[12:13], v14, s4 src0_sel:BYTE_0 src1_sel:DWORD
	s_mov_b64 s[4:5], -1
                                        ; implicit-def: $sgpr10
	s_and_saveexec_b64 s[8:9], s[12:13]
; %bb.2090:
	s_mov_b32 s10, 0x7f800001
	s_xor_b64 s[4:5], exec, -1
; %bb.2091:
	s_or_b64 exec, exec, s[8:9]
	s_and_b64 s[4:5], s[4:5], exec
	s_or_saveexec_b64 s[6:7], s[6:7]
	v_mov_b32_e32 v10, s10
	s_xor_b64 exec, exec, s[6:7]
	s_cbranch_execz .LBB16_42
.LBB16_2092:
	v_mov_b32_e32 v10, 0
	v_cmp_ne_u16_sdwa s[8:9], v14, v10 src0_sel:BYTE_0 src1_sel:DWORD
	s_andn2_b64 s[4:5], s[4:5], exec
	s_and_b64 s[8:9], s[8:9], exec
	s_or_b64 s[4:5], s[4:5], s[8:9]
	s_or_b64 exec, exec, s[6:7]
	s_and_saveexec_b64 s[6:7], s[4:5]
	s_cbranch_execnz .LBB16_43
	s_branch .LBB16_44
.LBB16_2093:
	s_movk_i32 s4, 0x80
	v_cmp_eq_u16_sdwa s[12:13], v14, s4 src0_sel:BYTE_0 src1_sel:DWORD
	s_mov_b64 s[4:5], -1
                                        ; implicit-def: $sgpr10
	s_and_saveexec_b64 s[8:9], s[12:13]
; %bb.2094:
	s_mov_b32 s10, 0x7f800001
	s_xor_b64 s[4:5], exec, -1
; %bb.2095:
	s_or_b64 exec, exec, s[8:9]
	s_and_b64 s[4:5], s[4:5], exec
	s_or_saveexec_b64 s[6:7], s[6:7]
	v_mov_b32_e32 v20, s10
	s_xor_b64 exec, exec, s[6:7]
	s_cbranch_execz .LBB16_46
.LBB16_2096:
	v_mov_b32_e32 v20, 0
	v_cmp_ne_u16_sdwa s[8:9], v14, v20 src0_sel:BYTE_0 src1_sel:DWORD
	s_andn2_b64 s[4:5], s[4:5], exec
	s_and_b64 s[8:9], s[8:9], exec
	s_or_b64 s[4:5], s[4:5], s[8:9]
	s_or_b64 exec, exec, s[6:7]
	s_and_saveexec_b64 s[6:7], s[4:5]
	s_cbranch_execnz .LBB16_47
	s_branch .LBB16_48
.LBB16_2097:
	s_movk_i32 s4, 0x80
	v_cmp_eq_u16_e32 vcc, s4, v14
	s_mov_b64 s[4:5], -1
                                        ; implicit-def: $sgpr10
	s_and_saveexec_b64 s[8:9], vcc
; %bb.2098:
	s_mov_b32 s10, 0x7f800001
	s_xor_b64 s[4:5], exec, -1
; %bb.2099:
	s_or_b64 exec, exec, s[8:9]
	s_and_b64 s[4:5], s[4:5], exec
                                        ; implicit-def: $vgpr14
	s_or_saveexec_b64 s[6:7], s[6:7]
	v_mov_b32_e32 v10, s10
	s_xor_b64 exec, exec, s[6:7]
	s_cbranch_execz .LBB16_50
.LBB16_2100:
	v_cmp_ne_u16_e32 vcc, 0, v14
	s_andn2_b64 s[4:5], s[4:5], exec
	s_and_b64 s[8:9], vcc, exec
	v_mov_b32_e32 v10, 0
	s_or_b64 s[4:5], s[4:5], s[8:9]
	s_or_b64 exec, exec, s[6:7]
	s_and_saveexec_b64 s[6:7], s[4:5]
	s_cbranch_execnz .LBB16_51
	s_branch .LBB16_52
.LBB16_2101:
	s_movk_i32 s4, 0x80
	v_cmp_eq_u16_e32 vcc, s4, v14
	s_mov_b64 s[4:5], -1
                                        ; implicit-def: $sgpr10
	s_and_saveexec_b64 s[8:9], vcc
; %bb.2102:
	s_mov_b32 s10, 0x7f800001
	s_xor_b64 s[4:5], exec, -1
; %bb.2103:
	s_or_b64 exec, exec, s[8:9]
	s_and_b64 s[4:5], s[4:5], exec
                                        ; implicit-def: $vgpr14
	s_or_saveexec_b64 s[6:7], s[6:7]
	v_mov_b32_e32 v20, s10
	s_xor_b64 exec, exec, s[6:7]
	s_cbranch_execz .LBB16_54
.LBB16_2104:
	v_cmp_ne_u16_e32 vcc, 0, v14
	s_andn2_b64 s[4:5], s[4:5], exec
	s_and_b64 s[8:9], vcc, exec
	v_mov_b32_e32 v20, 0
	s_or_b64 s[4:5], s[4:5], s[8:9]
	s_or_b64 exec, exec, s[6:7]
	s_and_saveexec_b64 s[6:7], s[4:5]
	s_cbranch_execnz .LBB16_55
	s_branch .LBB16_56
.LBB16_2105:
	s_movk_i32 s4, 0x80
	v_cmp_eq_u16_sdwa s[12:13], v15, s4 src0_sel:BYTE_3 src1_sel:DWORD
	s_mov_b64 s[4:5], -1
                                        ; implicit-def: $sgpr10
	s_and_saveexec_b64 s[8:9], s[12:13]
; %bb.2106:
	s_mov_b32 s10, 0x7f800001
	s_xor_b64 s[4:5], exec, -1
; %bb.2107:
	s_or_b64 exec, exec, s[8:9]
	s_and_b64 s[4:5], s[4:5], exec
	s_or_saveexec_b64 s[6:7], s[6:7]
	v_mov_b32_e32 v10, s10
	s_xor_b64 exec, exec, s[6:7]
	s_cbranch_execz .LBB16_58
.LBB16_2108:
	v_mov_b32_e32 v10, 0
	v_cmp_ne_u16_sdwa s[8:9], v15, v10 src0_sel:BYTE_3 src1_sel:DWORD
	s_andn2_b64 s[4:5], s[4:5], exec
	s_and_b64 s[8:9], s[8:9], exec
	s_or_b64 s[4:5], s[4:5], s[8:9]
	s_or_b64 exec, exec, s[6:7]
	s_and_saveexec_b64 s[6:7], s[4:5]
	s_cbranch_execnz .LBB16_59
	s_branch .LBB16_60
.LBB16_2109:
	s_movk_i32 s4, 0x80
	v_cmp_eq_u16_sdwa s[12:13], v11, s4 src0_sel:BYTE_3 src1_sel:DWORD
	s_mov_b64 s[4:5], -1
                                        ; implicit-def: $sgpr10
	s_and_saveexec_b64 s[8:9], s[12:13]
; %bb.2110:
	s_mov_b32 s10, 0x7f800001
	s_xor_b64 s[4:5], exec, -1
; %bb.2111:
	s_or_b64 exec, exec, s[8:9]
	s_and_b64 s[4:5], s[4:5], exec
	s_or_saveexec_b64 s[6:7], s[6:7]
	v_mov_b32_e32 v14, s10
	s_xor_b64 exec, exec, s[6:7]
	s_cbranch_execz .LBB16_62
.LBB16_2112:
	v_mov_b32_e32 v14, 0
	v_cmp_ne_u16_sdwa s[8:9], v11, v14 src0_sel:BYTE_3 src1_sel:DWORD
	s_andn2_b64 s[4:5], s[4:5], exec
	s_and_b64 s[8:9], s[8:9], exec
	s_or_b64 s[4:5], s[4:5], s[8:9]
	s_or_b64 exec, exec, s[6:7]
	s_and_saveexec_b64 s[6:7], s[4:5]
	s_cbranch_execnz .LBB16_63
	s_branch .LBB16_64
.LBB16_2113:
	s_movk_i32 s4, 0x80
	v_cmp_eq_u16_sdwa s[12:13], v16, s4 src0_sel:BYTE_0 src1_sel:DWORD
	s_mov_b64 s[4:5], -1
                                        ; implicit-def: $sgpr10
	s_and_saveexec_b64 s[8:9], s[12:13]
; %bb.2114:
	s_mov_b32 s10, 0x7f800001
	s_xor_b64 s[4:5], exec, -1
; %bb.2115:
	s_or_b64 exec, exec, s[8:9]
	s_and_b64 s[4:5], s[4:5], exec
	s_or_saveexec_b64 s[6:7], s[6:7]
	v_mov_b32_e32 v10, s10
	s_xor_b64 exec, exec, s[6:7]
	s_cbranch_execz .LBB16_66
.LBB16_2116:
	v_mov_b32_e32 v10, 0
	v_cmp_ne_u16_sdwa s[8:9], v16, v10 src0_sel:BYTE_0 src1_sel:DWORD
	s_andn2_b64 s[4:5], s[4:5], exec
	s_and_b64 s[8:9], s[8:9], exec
	s_or_b64 s[4:5], s[4:5], s[8:9]
	s_or_b64 exec, exec, s[6:7]
	s_and_saveexec_b64 s[6:7], s[4:5]
	s_cbranch_execnz .LBB16_67
	s_branch .LBB16_68
.LBB16_2117:
	s_movk_i32 s4, 0x80
	v_cmp_eq_u16_sdwa s[12:13], v12, s4 src0_sel:BYTE_0 src1_sel:DWORD
	s_mov_b64 s[4:5], -1
                                        ; implicit-def: $sgpr10
	s_and_saveexec_b64 s[8:9], s[12:13]
; %bb.2118:
	s_mov_b32 s10, 0x7f800001
	s_xor_b64 s[4:5], exec, -1
; %bb.2119:
	s_or_b64 exec, exec, s[8:9]
	s_and_b64 s[4:5], s[4:5], exec
	s_or_saveexec_b64 s[6:7], s[6:7]
	v_mov_b32_e32 v11, s10
	s_xor_b64 exec, exec, s[6:7]
	s_cbranch_execz .LBB16_70
.LBB16_2120:
	v_mov_b32_e32 v11, 0
	v_cmp_ne_u16_sdwa s[8:9], v12, v11 src0_sel:BYTE_0 src1_sel:DWORD
	s_andn2_b64 s[4:5], s[4:5], exec
	s_and_b64 s[8:9], s[8:9], exec
	s_or_b64 s[4:5], s[4:5], s[8:9]
	s_or_b64 exec, exec, s[6:7]
	s_and_saveexec_b64 s[6:7], s[4:5]
	s_cbranch_execnz .LBB16_71
	s_branch .LBB16_72
.LBB16_2121:
	s_movk_i32 s4, 0x80
	v_cmp_eq_u16_sdwa s[12:13], v11, s4 src0_sel:BYTE_0 src1_sel:DWORD
	s_mov_b64 s[4:5], -1
                                        ; implicit-def: $sgpr10
	s_and_saveexec_b64 s[8:9], s[12:13]
; %bb.2122:
	s_mov_b32 s10, 0x7f800001
	s_xor_b64 s[4:5], exec, -1
; %bb.2123:
	s_or_b64 exec, exec, s[8:9]
	s_and_b64 s[4:5], s[4:5], exec
	s_or_saveexec_b64 s[6:7], s[6:7]
	v_mov_b32_e32 v10, s10
	s_xor_b64 exec, exec, s[6:7]
	s_cbranch_execz .LBB16_74
.LBB16_2124:
	v_mov_b32_e32 v10, 0
	v_cmp_ne_u16_sdwa s[8:9], v11, v10 src0_sel:BYTE_0 src1_sel:DWORD
	s_andn2_b64 s[4:5], s[4:5], exec
	s_and_b64 s[8:9], s[8:9], exec
	s_or_b64 s[4:5], s[4:5], s[8:9]
	s_or_b64 exec, exec, s[6:7]
	s_and_saveexec_b64 s[6:7], s[4:5]
	s_cbranch_execnz .LBB16_75
	s_branch .LBB16_76
.LBB16_2125:
	s_movk_i32 s4, 0x80
	v_cmp_eq_u16_sdwa s[12:13], v11, s4 src0_sel:BYTE_0 src1_sel:DWORD
	s_mov_b64 s[4:5], -1
                                        ; implicit-def: $sgpr10
	s_and_saveexec_b64 s[8:9], s[12:13]
; %bb.2126:
	s_mov_b32 s10, 0x7f800001
	s_xor_b64 s[4:5], exec, -1
; %bb.2127:
	s_or_b64 exec, exec, s[8:9]
	s_and_b64 s[4:5], s[4:5], exec
	s_or_saveexec_b64 s[6:7], s[6:7]
	v_mov_b32_e32 v14, s10
	s_xor_b64 exec, exec, s[6:7]
	s_cbranch_execz .LBB16_78
.LBB16_2128:
	v_mov_b32_e32 v14, 0
	v_cmp_ne_u16_sdwa s[8:9], v11, v14 src0_sel:BYTE_0 src1_sel:DWORD
	s_andn2_b64 s[4:5], s[4:5], exec
	s_and_b64 s[8:9], s[8:9], exec
	s_or_b64 s[4:5], s[4:5], s[8:9]
	s_or_b64 exec, exec, s[6:7]
	s_and_saveexec_b64 s[6:7], s[4:5]
	s_cbranch_execnz .LBB16_79
	s_branch .LBB16_80
.LBB16_2129:
	s_movk_i32 s4, 0x80
	v_cmp_eq_u16_e32 vcc, s4, v11
	s_mov_b64 s[4:5], -1
                                        ; implicit-def: $sgpr10
	s_and_saveexec_b64 s[8:9], vcc
; %bb.2130:
	s_mov_b32 s10, 0x7f800001
	s_xor_b64 s[4:5], exec, -1
; %bb.2131:
	s_or_b64 exec, exec, s[8:9]
	s_and_b64 s[4:5], s[4:5], exec
                                        ; implicit-def: $vgpr11
	s_or_saveexec_b64 s[6:7], s[6:7]
	v_mov_b32_e32 v10, s10
	s_xor_b64 exec, exec, s[6:7]
	s_cbranch_execz .LBB16_82
.LBB16_2132:
	v_cmp_ne_u16_e32 vcc, 0, v11
	s_andn2_b64 s[4:5], s[4:5], exec
	s_and_b64 s[8:9], vcc, exec
	v_mov_b32_e32 v10, 0
	s_or_b64 s[4:5], s[4:5], s[8:9]
	s_or_b64 exec, exec, s[6:7]
	s_and_saveexec_b64 s[6:7], s[4:5]
	s_cbranch_execnz .LBB16_83
	s_branch .LBB16_84
.LBB16_2133:
	s_movk_i32 s4, 0x80
	v_cmp_eq_u16_e32 vcc, s4, v11
	s_mov_b64 s[4:5], -1
                                        ; implicit-def: $sgpr10
	s_and_saveexec_b64 s[8:9], vcc
; %bb.2134:
	s_mov_b32 s10, 0x7f800001
	s_xor_b64 s[4:5], exec, -1
; %bb.2135:
	s_or_b64 exec, exec, s[8:9]
	s_and_b64 s[4:5], s[4:5], exec
                                        ; implicit-def: $vgpr11
	s_or_saveexec_b64 s[6:7], s[6:7]
	v_mov_b32_e32 v14, s10
	s_xor_b64 exec, exec, s[6:7]
	s_cbranch_execz .LBB16_86
.LBB16_2136:
	v_cmp_ne_u16_e32 vcc, 0, v11
	s_andn2_b64 s[4:5], s[4:5], exec
	s_and_b64 s[8:9], vcc, exec
	v_mov_b32_e32 v14, 0
	s_or_b64 s[4:5], s[4:5], s[8:9]
	s_or_b64 exec, exec, s[6:7]
	s_and_saveexec_b64 s[6:7], s[4:5]
	s_cbranch_execnz .LBB16_87
	s_branch .LBB16_88
.LBB16_2137:
	s_movk_i32 s4, 0x80
	v_cmp_eq_u16_sdwa s[12:13], v16, s4 src0_sel:BYTE_3 src1_sel:DWORD
	s_mov_b64 s[4:5], -1
                                        ; implicit-def: $sgpr10
	s_and_saveexec_b64 s[8:9], s[12:13]
; %bb.2138:
	s_mov_b32 s10, 0x7f800001
	s_xor_b64 s[4:5], exec, -1
; %bb.2139:
	s_or_b64 exec, exec, s[8:9]
	s_and_b64 s[4:5], s[4:5], exec
	s_or_saveexec_b64 s[6:7], s[6:7]
	v_mov_b32_e32 v10, s10
	s_xor_b64 exec, exec, s[6:7]
	s_cbranch_execz .LBB16_90
.LBB16_2140:
	v_mov_b32_e32 v10, 0
	v_cmp_ne_u16_sdwa s[8:9], v16, v10 src0_sel:BYTE_3 src1_sel:DWORD
	s_andn2_b64 s[4:5], s[4:5], exec
	s_and_b64 s[8:9], s[8:9], exec
	s_or_b64 s[4:5], s[4:5], s[8:9]
	s_or_b64 exec, exec, s[6:7]
	s_and_saveexec_b64 s[6:7], s[4:5]
	s_cbranch_execnz .LBB16_91
	s_branch .LBB16_92
.LBB16_2141:
	s_movk_i32 s4, 0x80
	v_cmp_eq_u16_sdwa s[12:13], v12, s4 src0_sel:BYTE_3 src1_sel:DWORD
	s_mov_b64 s[4:5], -1
                                        ; implicit-def: $sgpr10
	s_and_saveexec_b64 s[8:9], s[12:13]
; %bb.2142:
	s_mov_b32 s10, 0x7f800001
	s_xor_b64 s[4:5], exec, -1
; %bb.2143:
	s_or_b64 exec, exec, s[8:9]
	s_and_b64 s[4:5], s[4:5], exec
	s_or_saveexec_b64 s[6:7], s[6:7]
	v_mov_b32_e32 v11, s10
	s_xor_b64 exec, exec, s[6:7]
	s_cbranch_execz .LBB16_94
.LBB16_2144:
	v_mov_b32_e32 v11, 0
	v_cmp_ne_u16_sdwa s[8:9], v12, v11 src0_sel:BYTE_3 src1_sel:DWORD
	s_andn2_b64 s[4:5], s[4:5], exec
	s_and_b64 s[8:9], s[8:9], exec
	s_or_b64 s[4:5], s[4:5], s[8:9]
	s_or_b64 exec, exec, s[6:7]
	s_and_saveexec_b64 s[6:7], s[4:5]
	s_cbranch_execnz .LBB16_95
	s_branch .LBB16_96
.LBB16_2145:
	s_movk_i32 s4, 0x80
	v_cmp_eq_u16_sdwa s[12:13], v17, s4 src0_sel:BYTE_0 src1_sel:DWORD
	s_mov_b64 s[4:5], -1
                                        ; implicit-def: $sgpr10
	s_and_saveexec_b64 s[8:9], s[12:13]
; %bb.2146:
	s_mov_b32 s10, 0x7f800001
	s_xor_b64 s[4:5], exec, -1
; %bb.2147:
	s_or_b64 exec, exec, s[8:9]
	s_and_b64 s[4:5], s[4:5], exec
	s_or_saveexec_b64 s[6:7], s[6:7]
	v_mov_b32_e32 v10, s10
	s_xor_b64 exec, exec, s[6:7]
	s_cbranch_execz .LBB16_98
.LBB16_2148:
	v_mov_b32_e32 v10, 0
	v_cmp_ne_u16_sdwa s[8:9], v17, v10 src0_sel:BYTE_0 src1_sel:DWORD
	s_andn2_b64 s[4:5], s[4:5], exec
	s_and_b64 s[8:9], s[8:9], exec
	s_or_b64 s[4:5], s[4:5], s[8:9]
	s_or_b64 exec, exec, s[6:7]
	s_and_saveexec_b64 s[6:7], s[4:5]
	s_cbranch_execnz .LBB16_99
	s_branch .LBB16_100
.LBB16_2149:
	s_movk_i32 s4, 0x80
	v_cmp_eq_u16_sdwa s[12:13], v13, s4 src0_sel:BYTE_0 src1_sel:DWORD
	s_mov_b64 s[4:5], -1
                                        ; implicit-def: $sgpr10
	s_and_saveexec_b64 s[8:9], s[12:13]
; %bb.2150:
	s_mov_b32 s10, 0x7f800001
	s_xor_b64 s[4:5], exec, -1
; %bb.2151:
	s_or_b64 exec, exec, s[8:9]
	s_and_b64 s[4:5], s[4:5], exec
	s_or_saveexec_b64 s[6:7], s[6:7]
	v_mov_b32_e32 v11, s10
	s_xor_b64 exec, exec, s[6:7]
	s_cbranch_execz .LBB16_102
.LBB16_2152:
	v_mov_b32_e32 v11, 0
	v_cmp_ne_u16_sdwa s[8:9], v13, v11 src0_sel:BYTE_0 src1_sel:DWORD
	s_andn2_b64 s[4:5], s[4:5], exec
	s_and_b64 s[8:9], s[8:9], exec
	s_or_b64 s[4:5], s[4:5], s[8:9]
	s_or_b64 exec, exec, s[6:7]
	s_and_saveexec_b64 s[6:7], s[4:5]
	s_cbranch_execnz .LBB16_103
	s_branch .LBB16_104
.LBB16_2153:
	s_movk_i32 s4, 0x80
	v_cmp_eq_u16_sdwa s[12:13], v11, s4 src0_sel:BYTE_0 src1_sel:DWORD
	s_mov_b64 s[4:5], -1
                                        ; implicit-def: $sgpr10
	s_and_saveexec_b64 s[8:9], s[12:13]
; %bb.2154:
	s_mov_b32 s10, 0x7f800001
	s_xor_b64 s[4:5], exec, -1
; %bb.2155:
	s_or_b64 exec, exec, s[8:9]
	s_and_b64 s[4:5], s[4:5], exec
	s_or_saveexec_b64 s[6:7], s[6:7]
	v_mov_b32_e32 v10, s10
	s_xor_b64 exec, exec, s[6:7]
	s_cbranch_execz .LBB16_106
.LBB16_2156:
	v_mov_b32_e32 v10, 0
	v_cmp_ne_u16_sdwa s[8:9], v11, v10 src0_sel:BYTE_0 src1_sel:DWORD
	s_andn2_b64 s[4:5], s[4:5], exec
	s_and_b64 s[8:9], s[8:9], exec
	s_or_b64 s[4:5], s[4:5], s[8:9]
	s_or_b64 exec, exec, s[6:7]
	s_and_saveexec_b64 s[6:7], s[4:5]
	s_cbranch_execnz .LBB16_107
	s_branch .LBB16_108
.LBB16_2157:
	s_movk_i32 s4, 0x80
	v_cmp_eq_u16_sdwa s[12:13], v11, s4 src0_sel:BYTE_0 src1_sel:DWORD
	s_mov_b64 s[4:5], -1
                                        ; implicit-def: $sgpr10
	s_and_saveexec_b64 s[8:9], s[12:13]
; %bb.2158:
	s_mov_b32 s10, 0x7f800001
	s_xor_b64 s[4:5], exec, -1
; %bb.2159:
	s_or_b64 exec, exec, s[8:9]
	s_and_b64 s[4:5], s[4:5], exec
	s_or_saveexec_b64 s[6:7], s[6:7]
	v_mov_b32_e32 v12, s10
	s_xor_b64 exec, exec, s[6:7]
	s_cbranch_execz .LBB16_110
.LBB16_2160:
	v_mov_b32_e32 v12, 0
	v_cmp_ne_u16_sdwa s[8:9], v11, v12 src0_sel:BYTE_0 src1_sel:DWORD
	s_andn2_b64 s[4:5], s[4:5], exec
	s_and_b64 s[8:9], s[8:9], exec
	s_or_b64 s[4:5], s[4:5], s[8:9]
	s_or_b64 exec, exec, s[6:7]
	s_and_saveexec_b64 s[6:7], s[4:5]
	s_cbranch_execnz .LBB16_111
	s_branch .LBB16_112
.LBB16_2161:
	s_movk_i32 s4, 0x80
	v_cmp_eq_u16_e32 vcc, s4, v11
	s_mov_b64 s[4:5], -1
                                        ; implicit-def: $sgpr10
	s_and_saveexec_b64 s[8:9], vcc
; %bb.2162:
	s_mov_b32 s10, 0x7f800001
	s_xor_b64 s[4:5], exec, -1
; %bb.2163:
	s_or_b64 exec, exec, s[8:9]
	s_and_b64 s[4:5], s[4:5], exec
                                        ; implicit-def: $vgpr11
	s_or_saveexec_b64 s[6:7], s[6:7]
	v_mov_b32_e32 v10, s10
	s_xor_b64 exec, exec, s[6:7]
	s_cbranch_execz .LBB16_114
.LBB16_2164:
	v_cmp_ne_u16_e32 vcc, 0, v11
	s_andn2_b64 s[4:5], s[4:5], exec
	s_and_b64 s[8:9], vcc, exec
	v_mov_b32_e32 v10, 0
	s_or_b64 s[4:5], s[4:5], s[8:9]
	s_or_b64 exec, exec, s[6:7]
	s_and_saveexec_b64 s[6:7], s[4:5]
	s_cbranch_execnz .LBB16_115
	s_branch .LBB16_116
.LBB16_2165:
	s_movk_i32 s4, 0x80
	v_cmp_eq_u16_e32 vcc, s4, v11
	s_mov_b64 s[4:5], -1
                                        ; implicit-def: $sgpr10
	s_and_saveexec_b64 s[8:9], vcc
; %bb.2166:
	s_mov_b32 s10, 0x7f800001
	s_xor_b64 s[4:5], exec, -1
; %bb.2167:
	s_or_b64 exec, exec, s[8:9]
	s_and_b64 s[4:5], s[4:5], exec
                                        ; implicit-def: $vgpr11
	s_or_saveexec_b64 s[6:7], s[6:7]
	v_mov_b32_e32 v12, s10
	s_xor_b64 exec, exec, s[6:7]
	s_cbranch_execz .LBB16_118
.LBB16_2168:
	v_cmp_ne_u16_e32 vcc, 0, v11
	s_andn2_b64 s[4:5], s[4:5], exec
	s_and_b64 s[8:9], vcc, exec
	v_mov_b32_e32 v12, 0
	s_or_b64 s[4:5], s[4:5], s[8:9]
	s_or_b64 exec, exec, s[6:7]
	s_and_saveexec_b64 s[6:7], s[4:5]
	s_cbranch_execnz .LBB16_119
	s_branch .LBB16_120
.LBB16_2169:
	s_movk_i32 s4, 0x80
	v_cmp_eq_u16_sdwa s[12:13], v17, s4 src0_sel:BYTE_3 src1_sel:DWORD
	s_mov_b64 s[4:5], -1
                                        ; implicit-def: $sgpr10
	s_and_saveexec_b64 s[8:9], s[12:13]
; %bb.2170:
	s_mov_b32 s10, 0x7f800001
	s_xor_b64 s[4:5], exec, -1
; %bb.2171:
	s_or_b64 exec, exec, s[8:9]
	s_and_b64 s[4:5], s[4:5], exec
	s_or_saveexec_b64 s[6:7], s[6:7]
	v_mov_b32_e32 v10, s10
	s_xor_b64 exec, exec, s[6:7]
	s_cbranch_execz .LBB16_122
.LBB16_2172:
	v_mov_b32_e32 v10, 0
	v_cmp_ne_u16_sdwa s[8:9], v17, v10 src0_sel:BYTE_3 src1_sel:DWORD
	s_andn2_b64 s[4:5], s[4:5], exec
	s_and_b64 s[8:9], s[8:9], exec
	s_or_b64 s[4:5], s[4:5], s[8:9]
	s_or_b64 exec, exec, s[6:7]
	s_and_saveexec_b64 s[6:7], s[4:5]
	s_cbranch_execnz .LBB16_123
	s_branch .LBB16_124
.LBB16_2173:
	s_movk_i32 s4, 0x80
	v_cmp_eq_u16_sdwa s[12:13], v13, s4 src0_sel:BYTE_3 src1_sel:DWORD
	s_mov_b64 s[4:5], -1
                                        ; implicit-def: $sgpr10
	s_and_saveexec_b64 s[8:9], s[12:13]
; %bb.2174:
	s_mov_b32 s10, 0x7f800001
	s_xor_b64 s[4:5], exec, -1
; %bb.2175:
	s_or_b64 exec, exec, s[8:9]
	s_and_b64 s[4:5], s[4:5], exec
	s_or_saveexec_b64 s[6:7], s[6:7]
	v_mov_b32_e32 v11, s10
	s_xor_b64 exec, exec, s[6:7]
	s_cbranch_execz .LBB16_126
.LBB16_2176:
	v_mov_b32_e32 v11, 0
	v_cmp_ne_u16_sdwa s[8:9], v13, v11 src0_sel:BYTE_3 src1_sel:DWORD
	s_andn2_b64 s[4:5], s[4:5], exec
	s_and_b64 s[8:9], s[8:9], exec
	s_or_b64 s[4:5], s[4:5], s[8:9]
	s_or_b64 exec, exec, s[6:7]
	s_and_saveexec_b64 s[6:7], s[4:5]
	s_cbranch_execnz .LBB16_127
	s_branch .LBB16_128
.LBB16_2177:
	s_movk_i32 s4, 0x80
	v_cmp_eq_u16_sdwa s[12:13], v6, s4 src0_sel:BYTE_0 src1_sel:DWORD
	s_mov_b64 s[4:5], -1
                                        ; implicit-def: $sgpr10
	s_and_saveexec_b64 s[8:9], s[12:13]
; %bb.2178:
	s_mov_b32 s10, 0x7f800001
	s_xor_b64 s[4:5], exec, -1
; %bb.2179:
	s_or_b64 exec, exec, s[8:9]
	s_and_b64 s[4:5], s[4:5], exec
	s_or_saveexec_b64 s[6:7], s[6:7]
	v_mov_b32_e32 v10, s10
	s_xor_b64 exec, exec, s[6:7]
	s_cbranch_execz .LBB16_130
.LBB16_2180:
	v_mov_b32_e32 v10, 0
	v_cmp_ne_u16_sdwa s[8:9], v6, v10 src0_sel:BYTE_0 src1_sel:DWORD
	s_andn2_b64 s[4:5], s[4:5], exec
	s_and_b64 s[8:9], s[8:9], exec
	s_or_b64 s[4:5], s[4:5], s[8:9]
	s_or_b64 exec, exec, s[6:7]
	s_and_saveexec_b64 s[6:7], s[4:5]
	s_cbranch_execnz .LBB16_131
	s_branch .LBB16_132
.LBB16_2181:
	s_movk_i32 s4, 0x80
	v_cmp_eq_u16_sdwa s[12:13], v2, s4 src0_sel:BYTE_0 src1_sel:DWORD
	s_mov_b64 s[4:5], -1
                                        ; implicit-def: $sgpr10
	s_and_saveexec_b64 s[8:9], s[12:13]
; %bb.2182:
	s_mov_b32 s10, 0x7f800001
	s_xor_b64 s[4:5], exec, -1
; %bb.2183:
	s_or_b64 exec, exec, s[8:9]
	s_and_b64 s[4:5], s[4:5], exec
	s_or_saveexec_b64 s[6:7], s[6:7]
	v_mov_b32_e32 v11, s10
	s_xor_b64 exec, exec, s[6:7]
	s_cbranch_execz .LBB16_134
.LBB16_2184:
	v_mov_b32_e32 v11, 0
	v_cmp_ne_u16_sdwa s[8:9], v2, v11 src0_sel:BYTE_0 src1_sel:DWORD
	s_andn2_b64 s[4:5], s[4:5], exec
	s_and_b64 s[8:9], s[8:9], exec
	s_or_b64 s[4:5], s[4:5], s[8:9]
	s_or_b64 exec, exec, s[6:7]
	s_and_saveexec_b64 s[6:7], s[4:5]
	s_cbranch_execnz .LBB16_135
	s_branch .LBB16_136
.LBB16_2185:
	s_movk_i32 s4, 0x80
	v_cmp_eq_u16_sdwa s[12:13], v11, s4 src0_sel:BYTE_0 src1_sel:DWORD
	s_mov_b64 s[4:5], -1
                                        ; implicit-def: $sgpr10
	s_and_saveexec_b64 s[8:9], s[12:13]
; %bb.2186:
	s_mov_b32 s10, 0x7f800001
	s_xor_b64 s[4:5], exec, -1
; %bb.2187:
	s_or_b64 exec, exec, s[8:9]
	s_and_b64 s[4:5], s[4:5], exec
	s_or_saveexec_b64 s[6:7], s[6:7]
	v_mov_b32_e32 v10, s10
	s_xor_b64 exec, exec, s[6:7]
	s_cbranch_execz .LBB16_138
.LBB16_2188:
	v_mov_b32_e32 v10, 0
	v_cmp_ne_u16_sdwa s[8:9], v11, v10 src0_sel:BYTE_0 src1_sel:DWORD
	s_andn2_b64 s[4:5], s[4:5], exec
	s_and_b64 s[8:9], s[8:9], exec
	s_or_b64 s[4:5], s[4:5], s[8:9]
	s_or_b64 exec, exec, s[6:7]
	s_and_saveexec_b64 s[6:7], s[4:5]
	s_cbranch_execnz .LBB16_139
	s_branch .LBB16_140
.LBB16_2189:
	s_movk_i32 s4, 0x80
	v_cmp_eq_u16_sdwa s[12:13], v11, s4 src0_sel:BYTE_0 src1_sel:DWORD
	s_mov_b64 s[4:5], -1
                                        ; implicit-def: $sgpr10
	s_and_saveexec_b64 s[8:9], s[12:13]
; %bb.2190:
	s_mov_b32 s10, 0x7f800001
	s_xor_b64 s[4:5], exec, -1
; %bb.2191:
	s_or_b64 exec, exec, s[8:9]
	s_and_b64 s[4:5], s[4:5], exec
	s_or_saveexec_b64 s[6:7], s[6:7]
	v_mov_b32_e32 v12, s10
	s_xor_b64 exec, exec, s[6:7]
	s_cbranch_execz .LBB16_142
.LBB16_2192:
	v_mov_b32_e32 v12, 0
	v_cmp_ne_u16_sdwa s[8:9], v11, v12 src0_sel:BYTE_0 src1_sel:DWORD
	s_andn2_b64 s[4:5], s[4:5], exec
	s_and_b64 s[8:9], s[8:9], exec
	s_or_b64 s[4:5], s[4:5], s[8:9]
	s_or_b64 exec, exec, s[6:7]
	s_and_saveexec_b64 s[6:7], s[4:5]
	s_cbranch_execnz .LBB16_143
	s_branch .LBB16_144
.LBB16_2193:
	s_movk_i32 s4, 0x80
	v_cmp_eq_u16_e32 vcc, s4, v11
	s_mov_b64 s[4:5], -1
                                        ; implicit-def: $sgpr10
	s_and_saveexec_b64 s[8:9], vcc
; %bb.2194:
	s_mov_b32 s10, 0x7f800001
	s_xor_b64 s[4:5], exec, -1
; %bb.2195:
	s_or_b64 exec, exec, s[8:9]
	s_and_b64 s[4:5], s[4:5], exec
                                        ; implicit-def: $vgpr11
	s_or_saveexec_b64 s[6:7], s[6:7]
	v_mov_b32_e32 v10, s10
	s_xor_b64 exec, exec, s[6:7]
	s_cbranch_execz .LBB16_146
.LBB16_2196:
	v_cmp_ne_u16_e32 vcc, 0, v11
	s_andn2_b64 s[4:5], s[4:5], exec
	s_and_b64 s[8:9], vcc, exec
	v_mov_b32_e32 v10, 0
	s_or_b64 s[4:5], s[4:5], s[8:9]
	s_or_b64 exec, exec, s[6:7]
	s_and_saveexec_b64 s[6:7], s[4:5]
	s_cbranch_execnz .LBB16_147
	s_branch .LBB16_148
.LBB16_2197:
	s_movk_i32 s4, 0x80
	v_cmp_eq_u16_e32 vcc, s4, v11
	s_mov_b64 s[4:5], -1
                                        ; implicit-def: $sgpr10
	s_and_saveexec_b64 s[8:9], vcc
; %bb.2198:
	s_mov_b32 s10, 0x7f800001
	s_xor_b64 s[4:5], exec, -1
; %bb.2199:
	s_or_b64 exec, exec, s[8:9]
	s_and_b64 s[4:5], s[4:5], exec
                                        ; implicit-def: $vgpr11
	s_or_saveexec_b64 s[6:7], s[6:7]
	v_mov_b32_e32 v12, s10
	s_xor_b64 exec, exec, s[6:7]
	s_cbranch_execz .LBB16_150
.LBB16_2200:
	v_cmp_ne_u16_e32 vcc, 0, v11
	s_andn2_b64 s[4:5], s[4:5], exec
	s_and_b64 s[8:9], vcc, exec
	v_mov_b32_e32 v12, 0
	s_or_b64 s[4:5], s[4:5], s[8:9]
	s_or_b64 exec, exec, s[6:7]
	s_and_saveexec_b64 s[6:7], s[4:5]
	s_cbranch_execnz .LBB16_151
	s_branch .LBB16_152
.LBB16_2201:
	s_movk_i32 s4, 0x80
	v_cmp_eq_u16_sdwa s[12:13], v6, s4 src0_sel:BYTE_3 src1_sel:DWORD
	s_mov_b64 s[4:5], -1
                                        ; implicit-def: $sgpr10
	s_and_saveexec_b64 s[8:9], s[12:13]
; %bb.2202:
	s_mov_b32 s10, 0x7f800001
	s_xor_b64 s[4:5], exec, -1
; %bb.2203:
	s_or_b64 exec, exec, s[8:9]
	s_and_b64 s[4:5], s[4:5], exec
	s_or_saveexec_b64 s[6:7], s[6:7]
	v_mov_b32_e32 v10, s10
	s_xor_b64 exec, exec, s[6:7]
	s_cbranch_execz .LBB16_154
.LBB16_2204:
	v_mov_b32_e32 v10, 0
	v_cmp_ne_u16_sdwa s[8:9], v6, v10 src0_sel:BYTE_3 src1_sel:DWORD
	s_andn2_b64 s[4:5], s[4:5], exec
	s_and_b64 s[8:9], s[8:9], exec
	s_or_b64 s[4:5], s[4:5], s[8:9]
	s_or_b64 exec, exec, s[6:7]
	s_and_saveexec_b64 s[6:7], s[4:5]
	s_cbranch_execnz .LBB16_155
	s_branch .LBB16_156
.LBB16_2205:
	s_movk_i32 s4, 0x80
	v_cmp_eq_u16_sdwa s[12:13], v2, s4 src0_sel:BYTE_3 src1_sel:DWORD
	s_mov_b64 s[4:5], -1
                                        ; implicit-def: $sgpr10
	s_and_saveexec_b64 s[8:9], s[12:13]
; %bb.2206:
	s_mov_b32 s10, 0x7f800001
	s_xor_b64 s[4:5], exec, -1
; %bb.2207:
	s_or_b64 exec, exec, s[8:9]
	s_and_b64 s[4:5], s[4:5], exec
	s_or_saveexec_b64 s[6:7], s[6:7]
	v_mov_b32_e32 v6, s10
	s_xor_b64 exec, exec, s[6:7]
	s_cbranch_execz .LBB16_158
.LBB16_2208:
	v_mov_b32_e32 v6, 0
	v_cmp_ne_u16_sdwa s[8:9], v2, v6 src0_sel:BYTE_3 src1_sel:DWORD
	s_andn2_b64 s[4:5], s[4:5], exec
	s_and_b64 s[8:9], s[8:9], exec
	s_or_b64 s[4:5], s[4:5], s[8:9]
	s_or_b64 exec, exec, s[6:7]
	s_and_saveexec_b64 s[6:7], s[4:5]
	s_cbranch_execnz .LBB16_159
	s_branch .LBB16_160
.LBB16_2209:
	s_movk_i32 s4, 0x80
	v_cmp_eq_u16_sdwa s[12:13], v7, s4 src0_sel:BYTE_0 src1_sel:DWORD
	s_mov_b64 s[4:5], -1
                                        ; implicit-def: $sgpr10
	s_and_saveexec_b64 s[8:9], s[12:13]
; %bb.2210:
	s_mov_b32 s10, 0x7f800001
	s_xor_b64 s[4:5], exec, -1
; %bb.2211:
	s_or_b64 exec, exec, s[8:9]
	s_and_b64 s[4:5], s[4:5], exec
	s_or_saveexec_b64 s[6:7], s[6:7]
	v_mov_b32_e32 v2, s10
	s_xor_b64 exec, exec, s[6:7]
	s_cbranch_execz .LBB16_162
.LBB16_2212:
	v_mov_b32_e32 v2, 0
	v_cmp_ne_u16_sdwa s[8:9], v7, v2 src0_sel:BYTE_0 src1_sel:DWORD
	s_andn2_b64 s[4:5], s[4:5], exec
	s_and_b64 s[8:9], s[8:9], exec
	s_or_b64 s[4:5], s[4:5], s[8:9]
	s_or_b64 exec, exec, s[6:7]
	s_and_saveexec_b64 s[6:7], s[4:5]
	s_cbranch_execnz .LBB16_163
	s_branch .LBB16_164
.LBB16_2213:
	s_movk_i32 s4, 0x80
	v_cmp_eq_u16_sdwa s[12:13], v3, s4 src0_sel:BYTE_0 src1_sel:DWORD
	s_mov_b64 s[4:5], -1
                                        ; implicit-def: $sgpr10
	s_and_saveexec_b64 s[8:9], s[12:13]
; %bb.2214:
	s_mov_b32 s10, 0x7f800001
	s_xor_b64 s[4:5], exec, -1
; %bb.2215:
	s_or_b64 exec, exec, s[8:9]
	s_and_b64 s[4:5], s[4:5], exec
	s_or_saveexec_b64 s[6:7], s[6:7]
	v_mov_b32_e32 v6, s10
	s_xor_b64 exec, exec, s[6:7]
	s_cbranch_execz .LBB16_166
.LBB16_2216:
	v_mov_b32_e32 v6, 0
	v_cmp_ne_u16_sdwa s[8:9], v3, v6 src0_sel:BYTE_0 src1_sel:DWORD
	s_andn2_b64 s[4:5], s[4:5], exec
	s_and_b64 s[8:9], s[8:9], exec
	s_or_b64 s[4:5], s[4:5], s[8:9]
	s_or_b64 exec, exec, s[6:7]
	s_and_saveexec_b64 s[6:7], s[4:5]
	s_cbranch_execnz .LBB16_167
	s_branch .LBB16_168
.LBB16_2217:
	s_movk_i32 s4, 0x80
	v_cmp_eq_u16_sdwa s[12:13], v6, s4 src0_sel:BYTE_0 src1_sel:DWORD
	s_mov_b64 s[4:5], -1
                                        ; implicit-def: $sgpr10
	s_and_saveexec_b64 s[8:9], s[12:13]
; %bb.2218:
	s_mov_b32 s10, 0x7f800001
	s_xor_b64 s[4:5], exec, -1
; %bb.2219:
	s_or_b64 exec, exec, s[8:9]
	s_and_b64 s[4:5], s[4:5], exec
	s_or_saveexec_b64 s[6:7], s[6:7]
	v_mov_b32_e32 v2, s10
	s_xor_b64 exec, exec, s[6:7]
	s_cbranch_execz .LBB16_170
.LBB16_2220:
	v_mov_b32_e32 v2, 0
	v_cmp_ne_u16_sdwa s[8:9], v6, v2 src0_sel:BYTE_0 src1_sel:DWORD
	s_andn2_b64 s[4:5], s[4:5], exec
	s_and_b64 s[8:9], s[8:9], exec
	s_or_b64 s[4:5], s[4:5], s[8:9]
	s_or_b64 exec, exec, s[6:7]
	s_and_saveexec_b64 s[6:7], s[4:5]
	s_cbranch_execnz .LBB16_171
	s_branch .LBB16_172
.LBB16_2221:
	s_movk_i32 s4, 0x80
	v_cmp_eq_u16_sdwa s[12:13], v6, s4 src0_sel:BYTE_0 src1_sel:DWORD
	s_mov_b64 s[4:5], -1
                                        ; implicit-def: $sgpr10
	s_and_saveexec_b64 s[8:9], s[12:13]
; %bb.2222:
	s_mov_b32 s10, 0x7f800001
	s_xor_b64 s[4:5], exec, -1
; %bb.2223:
	s_or_b64 exec, exec, s[8:9]
	s_and_b64 s[4:5], s[4:5], exec
	s_or_saveexec_b64 s[6:7], s[6:7]
	v_mov_b32_e32 v10, s10
	s_xor_b64 exec, exec, s[6:7]
	s_cbranch_execz .LBB16_174
.LBB16_2224:
	v_mov_b32_e32 v10, 0
	v_cmp_ne_u16_sdwa s[8:9], v6, v10 src0_sel:BYTE_0 src1_sel:DWORD
	s_andn2_b64 s[4:5], s[4:5], exec
	s_and_b64 s[8:9], s[8:9], exec
	s_or_b64 s[4:5], s[4:5], s[8:9]
	s_or_b64 exec, exec, s[6:7]
	s_and_saveexec_b64 s[6:7], s[4:5]
	s_cbranch_execnz .LBB16_175
	s_branch .LBB16_176
.LBB16_2225:
	s_movk_i32 s4, 0x80
	v_cmp_eq_u16_e32 vcc, s4, v6
	s_mov_b64 s[4:5], -1
                                        ; implicit-def: $sgpr10
	s_and_saveexec_b64 s[8:9], vcc
; %bb.2226:
	s_mov_b32 s10, 0x7f800001
	s_xor_b64 s[4:5], exec, -1
; %bb.2227:
	s_or_b64 exec, exec, s[8:9]
	s_and_b64 s[4:5], s[4:5], exec
                                        ; implicit-def: $vgpr6
	s_or_saveexec_b64 s[6:7], s[6:7]
	v_mov_b32_e32 v2, s10
	s_xor_b64 exec, exec, s[6:7]
	s_cbranch_execz .LBB16_178
.LBB16_2228:
	v_cmp_ne_u16_e32 vcc, 0, v6
	s_andn2_b64 s[4:5], s[4:5], exec
	s_and_b64 s[8:9], vcc, exec
	v_mov_b32_e32 v2, 0
	s_or_b64 s[4:5], s[4:5], s[8:9]
	s_or_b64 exec, exec, s[6:7]
	s_and_saveexec_b64 s[6:7], s[4:5]
	s_cbranch_execnz .LBB16_179
	s_branch .LBB16_180
.LBB16_2229:
	s_movk_i32 s4, 0x80
	v_cmp_eq_u16_e32 vcc, s4, v6
	s_mov_b64 s[4:5], -1
                                        ; implicit-def: $sgpr10
	s_and_saveexec_b64 s[8:9], vcc
; %bb.2230:
	s_mov_b32 s10, 0x7f800001
	s_xor_b64 s[4:5], exec, -1
; %bb.2231:
	s_or_b64 exec, exec, s[8:9]
	s_and_b64 s[4:5], s[4:5], exec
                                        ; implicit-def: $vgpr6
	s_or_saveexec_b64 s[6:7], s[6:7]
	v_mov_b32_e32 v10, s10
	s_xor_b64 exec, exec, s[6:7]
	s_cbranch_execz .LBB16_182
.LBB16_2232:
	v_cmp_ne_u16_e32 vcc, 0, v6
	s_andn2_b64 s[4:5], s[4:5], exec
	s_and_b64 s[8:9], vcc, exec
	v_mov_b32_e32 v10, 0
	s_or_b64 s[4:5], s[4:5], s[8:9]
	s_or_b64 exec, exec, s[6:7]
	s_and_saveexec_b64 s[6:7], s[4:5]
	s_cbranch_execnz .LBB16_183
	s_branch .LBB16_184
.LBB16_2233:
	s_movk_i32 s4, 0x80
	v_cmp_eq_u16_sdwa s[12:13], v7, s4 src0_sel:BYTE_3 src1_sel:DWORD
	s_mov_b64 s[4:5], -1
                                        ; implicit-def: $sgpr10
	s_and_saveexec_b64 s[8:9], s[12:13]
; %bb.2234:
	s_mov_b32 s10, 0x7f800001
	s_xor_b64 s[4:5], exec, -1
; %bb.2235:
	s_or_b64 exec, exec, s[8:9]
	s_and_b64 s[4:5], s[4:5], exec
	s_or_saveexec_b64 s[6:7], s[6:7]
	v_mov_b32_e32 v2, s10
	s_xor_b64 exec, exec, s[6:7]
	s_cbranch_execz .LBB16_186
.LBB16_2236:
	v_mov_b32_e32 v2, 0
	v_cmp_ne_u16_sdwa s[8:9], v7, v2 src0_sel:BYTE_3 src1_sel:DWORD
	s_andn2_b64 s[4:5], s[4:5], exec
	s_and_b64 s[8:9], s[8:9], exec
	s_or_b64 s[4:5], s[4:5], s[8:9]
	s_or_b64 exec, exec, s[6:7]
	s_and_saveexec_b64 s[6:7], s[4:5]
	s_cbranch_execnz .LBB16_187
	s_branch .LBB16_188
.LBB16_2237:
	s_movk_i32 s4, 0x80
	v_cmp_eq_u16_sdwa s[12:13], v3, s4 src0_sel:BYTE_3 src1_sel:DWORD
	s_mov_b64 s[4:5], -1
                                        ; implicit-def: $sgpr10
	s_and_saveexec_b64 s[8:9], s[12:13]
; %bb.2238:
	s_mov_b32 s10, 0x7f800001
	s_xor_b64 s[4:5], exec, -1
; %bb.2239:
	s_or_b64 exec, exec, s[8:9]
	s_and_b64 s[4:5], s[4:5], exec
	s_or_saveexec_b64 s[6:7], s[6:7]
	v_mov_b32_e32 v6, s10
	s_xor_b64 exec, exec, s[6:7]
	s_cbranch_execz .LBB16_190
.LBB16_2240:
	v_mov_b32_e32 v6, 0
	v_cmp_ne_u16_sdwa s[8:9], v3, v6 src0_sel:BYTE_3 src1_sel:DWORD
	s_andn2_b64 s[4:5], s[4:5], exec
	s_and_b64 s[8:9], s[8:9], exec
	s_or_b64 s[4:5], s[4:5], s[8:9]
	s_or_b64 exec, exec, s[6:7]
	s_and_saveexec_b64 s[6:7], s[4:5]
	s_cbranch_execnz .LBB16_191
	s_branch .LBB16_192
.LBB16_2241:
	s_movk_i32 s4, 0x80
	v_cmp_eq_u16_sdwa s[12:13], v8, s4 src0_sel:BYTE_0 src1_sel:DWORD
	s_mov_b64 s[4:5], -1
                                        ; implicit-def: $sgpr10
	s_and_saveexec_b64 s[8:9], s[12:13]
; %bb.2242:
	s_mov_b32 s10, 0x7f800001
	s_xor_b64 s[4:5], exec, -1
; %bb.2243:
	s_or_b64 exec, exec, s[8:9]
	s_and_b64 s[4:5], s[4:5], exec
	s_or_saveexec_b64 s[6:7], s[6:7]
	v_mov_b32_e32 v2, s10
	s_xor_b64 exec, exec, s[6:7]
	s_cbranch_execz .LBB16_194
.LBB16_2244:
	v_mov_b32_e32 v2, 0
	v_cmp_ne_u16_sdwa s[8:9], v8, v2 src0_sel:BYTE_0 src1_sel:DWORD
	s_andn2_b64 s[4:5], s[4:5], exec
	s_and_b64 s[8:9], s[8:9], exec
	s_or_b64 s[4:5], s[4:5], s[8:9]
	s_or_b64 exec, exec, s[6:7]
	s_and_saveexec_b64 s[6:7], s[4:5]
	s_cbranch_execnz .LBB16_195
	s_branch .LBB16_196
.LBB16_2245:
	s_movk_i32 s4, 0x80
	v_cmp_eq_u16_sdwa s[12:13], v4, s4 src0_sel:BYTE_0 src1_sel:DWORD
	s_mov_b64 s[4:5], -1
                                        ; implicit-def: $sgpr10
	s_and_saveexec_b64 s[8:9], s[12:13]
; %bb.2246:
	s_mov_b32 s10, 0x7f800001
	s_xor_b64 s[4:5], exec, -1
; %bb.2247:
	s_or_b64 exec, exec, s[8:9]
	s_and_b64 s[4:5], s[4:5], exec
	s_or_saveexec_b64 s[6:7], s[6:7]
	v_mov_b32_e32 v3, s10
	s_xor_b64 exec, exec, s[6:7]
	s_cbranch_execz .LBB16_198
.LBB16_2248:
	v_mov_b32_e32 v3, 0
	v_cmp_ne_u16_sdwa s[8:9], v4, v3 src0_sel:BYTE_0 src1_sel:DWORD
	s_andn2_b64 s[4:5], s[4:5], exec
	s_and_b64 s[8:9], s[8:9], exec
	s_or_b64 s[4:5], s[4:5], s[8:9]
	s_or_b64 exec, exec, s[6:7]
	s_and_saveexec_b64 s[6:7], s[4:5]
	s_cbranch_execnz .LBB16_199
	s_branch .LBB16_200
.LBB16_2249:
	s_movk_i32 s4, 0x80
	v_cmp_eq_u16_sdwa s[12:13], v3, s4 src0_sel:BYTE_0 src1_sel:DWORD
	s_mov_b64 s[4:5], -1
                                        ; implicit-def: $sgpr10
	s_and_saveexec_b64 s[8:9], s[12:13]
; %bb.2250:
	s_mov_b32 s10, 0x7f800001
	s_xor_b64 s[4:5], exec, -1
; %bb.2251:
	s_or_b64 exec, exec, s[8:9]
	s_and_b64 s[4:5], s[4:5], exec
	s_or_saveexec_b64 s[6:7], s[6:7]
	v_mov_b32_e32 v2, s10
	s_xor_b64 exec, exec, s[6:7]
	s_cbranch_execz .LBB16_202
.LBB16_2252:
	v_mov_b32_e32 v2, 0
	v_cmp_ne_u16_sdwa s[8:9], v3, v2 src0_sel:BYTE_0 src1_sel:DWORD
	s_andn2_b64 s[4:5], s[4:5], exec
	s_and_b64 s[8:9], s[8:9], exec
	s_or_b64 s[4:5], s[4:5], s[8:9]
	s_or_b64 exec, exec, s[6:7]
	s_and_saveexec_b64 s[6:7], s[4:5]
	s_cbranch_execnz .LBB16_203
	s_branch .LBB16_204
.LBB16_2253:
	s_movk_i32 s4, 0x80
	v_cmp_eq_u16_sdwa s[12:13], v3, s4 src0_sel:BYTE_0 src1_sel:DWORD
	s_mov_b64 s[4:5], -1
                                        ; implicit-def: $sgpr10
	s_and_saveexec_b64 s[8:9], s[12:13]
; %bb.2254:
	s_mov_b32 s10, 0x7f800001
	s_xor_b64 s[4:5], exec, -1
; %bb.2255:
	s_or_b64 exec, exec, s[8:9]
	s_and_b64 s[4:5], s[4:5], exec
	s_or_saveexec_b64 s[6:7], s[6:7]
	v_mov_b32_e32 v6, s10
	s_xor_b64 exec, exec, s[6:7]
	s_cbranch_execz .LBB16_206
.LBB16_2256:
	v_mov_b32_e32 v6, 0
	v_cmp_ne_u16_sdwa s[8:9], v3, v6 src0_sel:BYTE_0 src1_sel:DWORD
	s_andn2_b64 s[4:5], s[4:5], exec
	s_and_b64 s[8:9], s[8:9], exec
	s_or_b64 s[4:5], s[4:5], s[8:9]
	s_or_b64 exec, exec, s[6:7]
	s_and_saveexec_b64 s[6:7], s[4:5]
	s_cbranch_execnz .LBB16_207
	s_branch .LBB16_208
.LBB16_2257:
	s_movk_i32 s4, 0x80
	v_cmp_eq_u16_e32 vcc, s4, v3
	s_mov_b64 s[4:5], -1
                                        ; implicit-def: $sgpr10
	s_and_saveexec_b64 s[8:9], vcc
; %bb.2258:
	s_mov_b32 s10, 0x7f800001
	s_xor_b64 s[4:5], exec, -1
; %bb.2259:
	s_or_b64 exec, exec, s[8:9]
	s_and_b64 s[4:5], s[4:5], exec
                                        ; implicit-def: $vgpr3
	s_or_saveexec_b64 s[6:7], s[6:7]
	v_mov_b32_e32 v2, s10
	s_xor_b64 exec, exec, s[6:7]
	s_cbranch_execz .LBB16_210
.LBB16_2260:
	v_cmp_ne_u16_e32 vcc, 0, v3
	s_andn2_b64 s[4:5], s[4:5], exec
	s_and_b64 s[8:9], vcc, exec
	v_mov_b32_e32 v2, 0
	s_or_b64 s[4:5], s[4:5], s[8:9]
	s_or_b64 exec, exec, s[6:7]
	s_and_saveexec_b64 s[6:7], s[4:5]
	s_cbranch_execnz .LBB16_211
	s_branch .LBB16_212
.LBB16_2261:
	s_movk_i32 s4, 0x80
	v_cmp_eq_u16_e32 vcc, s4, v3
	s_mov_b64 s[4:5], -1
                                        ; implicit-def: $sgpr10
	s_and_saveexec_b64 s[8:9], vcc
; %bb.2262:
	s_mov_b32 s10, 0x7f800001
	s_xor_b64 s[4:5], exec, -1
; %bb.2263:
	s_or_b64 exec, exec, s[8:9]
	s_and_b64 s[4:5], s[4:5], exec
                                        ; implicit-def: $vgpr3
	s_or_saveexec_b64 s[6:7], s[6:7]
	v_mov_b32_e32 v6, s10
	s_xor_b64 exec, exec, s[6:7]
	s_cbranch_execz .LBB16_214
.LBB16_2264:
	v_cmp_ne_u16_e32 vcc, 0, v3
	s_andn2_b64 s[4:5], s[4:5], exec
	s_and_b64 s[8:9], vcc, exec
	v_mov_b32_e32 v6, 0
	s_or_b64 s[4:5], s[4:5], s[8:9]
	s_or_b64 exec, exec, s[6:7]
	s_and_saveexec_b64 s[6:7], s[4:5]
	s_cbranch_execnz .LBB16_215
	s_branch .LBB16_216
.LBB16_2265:
	s_movk_i32 s4, 0x80
	v_cmp_eq_u16_sdwa s[12:13], v8, s4 src0_sel:BYTE_3 src1_sel:DWORD
	s_mov_b64 s[4:5], -1
                                        ; implicit-def: $sgpr10
	s_and_saveexec_b64 s[8:9], s[12:13]
; %bb.2266:
	s_mov_b32 s10, 0x7f800001
	s_xor_b64 s[4:5], exec, -1
; %bb.2267:
	s_or_b64 exec, exec, s[8:9]
	s_and_b64 s[4:5], s[4:5], exec
	s_or_saveexec_b64 s[6:7], s[6:7]
	v_mov_b32_e32 v2, s10
	s_xor_b64 exec, exec, s[6:7]
	s_cbranch_execz .LBB16_218
.LBB16_2268:
	v_mov_b32_e32 v2, 0
	v_cmp_ne_u16_sdwa s[8:9], v8, v2 src0_sel:BYTE_3 src1_sel:DWORD
	s_andn2_b64 s[4:5], s[4:5], exec
	s_and_b64 s[8:9], s[8:9], exec
	s_or_b64 s[4:5], s[4:5], s[8:9]
	s_or_b64 exec, exec, s[6:7]
	s_and_saveexec_b64 s[6:7], s[4:5]
	s_cbranch_execnz .LBB16_219
	s_branch .LBB16_220
.LBB16_2269:
	s_movk_i32 s4, 0x80
	v_cmp_eq_u16_sdwa s[12:13], v4, s4 src0_sel:BYTE_3 src1_sel:DWORD
	s_mov_b64 s[4:5], -1
                                        ; implicit-def: $sgpr10
	s_and_saveexec_b64 s[8:9], s[12:13]
; %bb.2270:
	s_mov_b32 s10, 0x7f800001
	s_xor_b64 s[4:5], exec, -1
; %bb.2271:
	s_or_b64 exec, exec, s[8:9]
	s_and_b64 s[4:5], s[4:5], exec
	s_or_saveexec_b64 s[6:7], s[6:7]
	v_mov_b32_e32 v3, s10
	s_xor_b64 exec, exec, s[6:7]
	s_cbranch_execz .LBB16_222
.LBB16_2272:
	v_mov_b32_e32 v3, 0
	v_cmp_ne_u16_sdwa s[8:9], v4, v3 src0_sel:BYTE_3 src1_sel:DWORD
	s_andn2_b64 s[4:5], s[4:5], exec
	s_and_b64 s[8:9], s[8:9], exec
	s_or_b64 s[4:5], s[4:5], s[8:9]
	s_or_b64 exec, exec, s[6:7]
	s_and_saveexec_b64 s[6:7], s[4:5]
	s_cbranch_execnz .LBB16_223
	s_branch .LBB16_224
.LBB16_2273:
	s_movk_i32 s4, 0x80
	v_cmp_eq_u16_sdwa s[12:13], v9, s4 src0_sel:BYTE_0 src1_sel:DWORD
	s_mov_b64 s[4:5], -1
                                        ; implicit-def: $sgpr10
	s_and_saveexec_b64 s[8:9], s[12:13]
; %bb.2274:
	s_mov_b32 s10, 0x7f800001
	s_xor_b64 s[4:5], exec, -1
; %bb.2275:
	s_or_b64 exec, exec, s[8:9]
	s_and_b64 s[4:5], s[4:5], exec
	s_or_saveexec_b64 s[6:7], s[6:7]
	v_mov_b32_e32 v2, s10
	s_xor_b64 exec, exec, s[6:7]
	s_cbranch_execz .LBB16_226
.LBB16_2276:
	v_mov_b32_e32 v2, 0
	v_cmp_ne_u16_sdwa s[8:9], v9, v2 src0_sel:BYTE_0 src1_sel:DWORD
	s_andn2_b64 s[4:5], s[4:5], exec
	s_and_b64 s[8:9], s[8:9], exec
	s_or_b64 s[4:5], s[4:5], s[8:9]
	s_or_b64 exec, exec, s[6:7]
	s_and_saveexec_b64 s[6:7], s[4:5]
	s_cbranch_execnz .LBB16_227
	s_branch .LBB16_228
.LBB16_2277:
	s_movk_i32 s4, 0x80
	v_cmp_eq_u16_sdwa s[12:13], v5, s4 src0_sel:BYTE_0 src1_sel:DWORD
	s_mov_b64 s[4:5], -1
                                        ; implicit-def: $sgpr10
	s_and_saveexec_b64 s[8:9], s[12:13]
; %bb.2278:
	s_mov_b32 s10, 0x7f800001
	s_xor_b64 s[4:5], exec, -1
; %bb.2279:
	s_or_b64 exec, exec, s[8:9]
	s_and_b64 s[4:5], s[4:5], exec
	s_or_saveexec_b64 s[6:7], s[6:7]
	v_mov_b32_e32 v3, s10
	s_xor_b64 exec, exec, s[6:7]
	s_cbranch_execz .LBB16_230
.LBB16_2280:
	v_mov_b32_e32 v3, 0
	v_cmp_ne_u16_sdwa s[8:9], v5, v3 src0_sel:BYTE_0 src1_sel:DWORD
	s_andn2_b64 s[4:5], s[4:5], exec
	s_and_b64 s[8:9], s[8:9], exec
	s_or_b64 s[4:5], s[4:5], s[8:9]
	s_or_b64 exec, exec, s[6:7]
	s_and_saveexec_b64 s[6:7], s[4:5]
	s_cbranch_execnz .LBB16_231
	s_branch .LBB16_232
.LBB16_2281:
	s_movk_i32 s4, 0x80
	v_cmp_eq_u16_sdwa s[12:13], v3, s4 src0_sel:BYTE_0 src1_sel:DWORD
	s_mov_b64 s[4:5], -1
                                        ; implicit-def: $sgpr10
	s_and_saveexec_b64 s[8:9], s[12:13]
; %bb.2282:
	s_mov_b32 s10, 0x7f800001
	s_xor_b64 s[4:5], exec, -1
; %bb.2283:
	s_or_b64 exec, exec, s[8:9]
	s_and_b64 s[4:5], s[4:5], exec
	s_or_saveexec_b64 s[6:7], s[6:7]
	v_mov_b32_e32 v2, s10
	s_xor_b64 exec, exec, s[6:7]
	s_cbranch_execz .LBB16_234
.LBB16_2284:
	v_mov_b32_e32 v2, 0
	v_cmp_ne_u16_sdwa s[8:9], v3, v2 src0_sel:BYTE_0 src1_sel:DWORD
	s_andn2_b64 s[4:5], s[4:5], exec
	s_and_b64 s[8:9], s[8:9], exec
	s_or_b64 s[4:5], s[4:5], s[8:9]
	s_or_b64 exec, exec, s[6:7]
	s_and_saveexec_b64 s[6:7], s[4:5]
	s_cbranch_execnz .LBB16_235
	s_branch .LBB16_236
.LBB16_2285:
	s_movk_i32 s4, 0x80
	v_cmp_eq_u16_sdwa s[12:13], v3, s4 src0_sel:BYTE_0 src1_sel:DWORD
	s_mov_b64 s[4:5], -1
                                        ; implicit-def: $sgpr10
	s_and_saveexec_b64 s[8:9], s[12:13]
; %bb.2286:
	s_mov_b32 s10, 0x7f800001
	s_xor_b64 s[4:5], exec, -1
; %bb.2287:
	s_or_b64 exec, exec, s[8:9]
	s_and_b64 s[4:5], s[4:5], exec
	s_or_saveexec_b64 s[6:7], s[6:7]
	v_mov_b32_e32 v4, s10
	s_xor_b64 exec, exec, s[6:7]
	s_cbranch_execz .LBB16_238
.LBB16_2288:
	v_mov_b32_e32 v4, 0
	v_cmp_ne_u16_sdwa s[8:9], v3, v4 src0_sel:BYTE_0 src1_sel:DWORD
	s_andn2_b64 s[4:5], s[4:5], exec
	s_and_b64 s[8:9], s[8:9], exec
	s_or_b64 s[4:5], s[4:5], s[8:9]
	s_or_b64 exec, exec, s[6:7]
	s_and_saveexec_b64 s[6:7], s[4:5]
	s_cbranch_execnz .LBB16_239
	s_branch .LBB16_240
.LBB16_2289:
	s_movk_i32 s4, 0x80
	v_cmp_eq_u16_e32 vcc, s4, v3
	s_mov_b64 s[4:5], -1
                                        ; implicit-def: $sgpr10
	s_and_saveexec_b64 s[8:9], vcc
; %bb.2290:
	s_mov_b32 s10, 0x7f800001
	s_xor_b64 s[4:5], exec, -1
; %bb.2291:
	s_or_b64 exec, exec, s[8:9]
	s_and_b64 s[4:5], s[4:5], exec
                                        ; implicit-def: $vgpr3
	s_or_saveexec_b64 s[6:7], s[6:7]
	v_mov_b32_e32 v2, s10
	s_xor_b64 exec, exec, s[6:7]
	s_cbranch_execz .LBB16_242
.LBB16_2292:
	v_cmp_ne_u16_e32 vcc, 0, v3
	s_andn2_b64 s[4:5], s[4:5], exec
	s_and_b64 s[8:9], vcc, exec
	v_mov_b32_e32 v2, 0
	s_or_b64 s[4:5], s[4:5], s[8:9]
	s_or_b64 exec, exec, s[6:7]
	s_and_saveexec_b64 s[6:7], s[4:5]
	s_cbranch_execnz .LBB16_243
	s_branch .LBB16_244
.LBB16_2293:
	s_movk_i32 s4, 0x80
	v_cmp_eq_u16_e32 vcc, s4, v3
	s_mov_b64 s[4:5], -1
                                        ; implicit-def: $sgpr10
	s_and_saveexec_b64 s[8:9], vcc
; %bb.2294:
	s_mov_b32 s10, 0x7f800001
	s_xor_b64 s[4:5], exec, -1
; %bb.2295:
	s_or_b64 exec, exec, s[8:9]
	s_and_b64 s[4:5], s[4:5], exec
                                        ; implicit-def: $vgpr3
	s_or_saveexec_b64 s[6:7], s[6:7]
	v_mov_b32_e32 v4, s10
	s_xor_b64 exec, exec, s[6:7]
	s_cbranch_execz .LBB16_246
.LBB16_2296:
	v_cmp_ne_u16_e32 vcc, 0, v3
	s_andn2_b64 s[4:5], s[4:5], exec
	s_and_b64 s[8:9], vcc, exec
	v_mov_b32_e32 v4, 0
	s_or_b64 s[4:5], s[4:5], s[8:9]
	s_or_b64 exec, exec, s[6:7]
	s_and_saveexec_b64 s[6:7], s[4:5]
	s_cbranch_execnz .LBB16_247
	s_branch .LBB16_248
.LBB16_2297:
	s_movk_i32 s4, 0x80
	v_cmp_eq_u16_sdwa s[12:13], v9, s4 src0_sel:BYTE_3 src1_sel:DWORD
	s_mov_b64 s[4:5], -1
                                        ; implicit-def: $sgpr10
	s_and_saveexec_b64 s[8:9], s[12:13]
; %bb.2298:
	s_mov_b32 s10, 0x7f800001
	s_xor_b64 s[4:5], exec, -1
; %bb.2299:
	s_or_b64 exec, exec, s[8:9]
	s_and_b64 s[4:5], s[4:5], exec
	s_or_saveexec_b64 s[6:7], s[6:7]
	v_mov_b32_e32 v2, s10
	s_xor_b64 exec, exec, s[6:7]
	s_cbranch_execz .LBB16_250
.LBB16_2300:
	v_mov_b32_e32 v2, 0
	v_cmp_ne_u16_sdwa s[8:9], v9, v2 src0_sel:BYTE_3 src1_sel:DWORD
	s_andn2_b64 s[4:5], s[4:5], exec
	s_and_b64 s[8:9], s[8:9], exec
	s_or_b64 s[4:5], s[4:5], s[8:9]
	s_or_b64 exec, exec, s[6:7]
	s_and_saveexec_b64 s[6:7], s[4:5]
	s_cbranch_execnz .LBB16_251
	s_branch .LBB16_252
.LBB16_2301:
	s_movk_i32 s4, 0x80
	v_cmp_eq_u16_sdwa s[12:13], v5, s4 src0_sel:BYTE_3 src1_sel:DWORD
	s_mov_b64 s[4:5], -1
                                        ; implicit-def: $sgpr10
	s_and_saveexec_b64 s[8:9], s[12:13]
; %bb.2302:
	s_mov_b32 s10, 0x7f800001
	s_xor_b64 s[4:5], exec, -1
; %bb.2303:
	s_or_b64 exec, exec, s[8:9]
	s_and_b64 s[4:5], s[4:5], exec
	s_or_saveexec_b64 s[6:7], s[6:7]
	v_mov_b32_e32 v3, s10
	s_xor_b64 exec, exec, s[6:7]
	s_cbranch_execz .LBB16_254
.LBB16_2304:
	v_mov_b32_e32 v3, 0
	v_cmp_ne_u16_sdwa s[8:9], v5, v3 src0_sel:BYTE_3 src1_sel:DWORD
	s_andn2_b64 s[4:5], s[4:5], exec
	s_and_b64 s[8:9], s[8:9], exec
	s_or_b64 s[4:5], s[4:5], s[8:9]
	s_or_b64 exec, exec, s[6:7]
	s_and_saveexec_b64 s[6:7], s[4:5]
	s_cbranch_execnz .LBB16_255
	s_branch .LBB16_256
.LBB16_2305:
	s_movk_i32 s4, 0x80
	v_cmp_eq_u16_sdwa s[12:13], v14, s4 src0_sel:BYTE_0 src1_sel:DWORD
	s_mov_b64 s[4:5], -1
                                        ; implicit-def: $sgpr10
	s_and_saveexec_b64 s[8:9], s[12:13]
; %bb.2306:
	s_mov_b32 s10, 0x7f800001
	s_xor_b64 s[4:5], exec, -1
; %bb.2307:
	s_or_b64 exec, exec, s[8:9]
	s_and_b64 s[4:5], s[4:5], exec
	s_or_saveexec_b64 s[6:7], s[6:7]
	v_mov_b32_e32 v20, s10
	s_xor_b64 exec, exec, s[6:7]
	s_cbranch_execz .LBB16_258
.LBB16_2308:
	v_mov_b32_e32 v20, 0
	v_cmp_ne_u16_sdwa s[8:9], v14, v20 src0_sel:BYTE_0 src1_sel:DWORD
	s_andn2_b64 s[4:5], s[4:5], exec
	s_and_b64 s[8:9], s[8:9], exec
	s_or_b64 s[4:5], s[4:5], s[8:9]
	s_or_b64 exec, exec, s[6:7]
	s_and_saveexec_b64 s[6:7], s[4:5]
	s_cbranch_execnz .LBB16_259
	s_branch .LBB16_260
.LBB16_2309:
	s_movk_i32 s4, 0x80
	v_cmp_eq_u16_sdwa s[12:13], v10, s4 src0_sel:BYTE_0 src1_sel:DWORD
	s_mov_b64 s[4:5], -1
                                        ; implicit-def: $sgpr10
	s_and_saveexec_b64 s[8:9], s[12:13]
; %bb.2310:
	s_mov_b32 s10, 0x7f800001
	s_xor_b64 s[4:5], exec, -1
; %bb.2311:
	s_or_b64 exec, exec, s[8:9]
	s_and_b64 s[4:5], s[4:5], exec
	s_or_saveexec_b64 s[6:7], s[6:7]
	v_mov_b32_e32 v21, s10
	s_xor_b64 exec, exec, s[6:7]
	s_cbranch_execz .LBB16_262
.LBB16_2312:
	v_mov_b32_e32 v21, 0
	v_cmp_ne_u16_sdwa s[8:9], v10, v21 src0_sel:BYTE_0 src1_sel:DWORD
	s_andn2_b64 s[4:5], s[4:5], exec
	s_and_b64 s[8:9], s[8:9], exec
	s_or_b64 s[4:5], s[4:5], s[8:9]
	s_or_b64 exec, exec, s[6:7]
	s_and_saveexec_b64 s[6:7], s[4:5]
	s_cbranch_execnz .LBB16_263
	s_branch .LBB16_264
.LBB16_2313:
	s_movk_i32 s4, 0x80
	v_cmp_eq_u16_sdwa s[12:13], v21, s4 src0_sel:BYTE_0 src1_sel:DWORD
	s_mov_b64 s[4:5], -1
                                        ; implicit-def: $sgpr10
	s_and_saveexec_b64 s[8:9], s[12:13]
; %bb.2314:
	s_mov_b32 s10, 0x7f800001
	s_xor_b64 s[4:5], exec, -1
; %bb.2315:
	s_or_b64 exec, exec, s[8:9]
	s_and_b64 s[4:5], s[4:5], exec
	s_or_saveexec_b64 s[6:7], s[6:7]
	v_mov_b32_e32 v20, s10
	s_xor_b64 exec, exec, s[6:7]
	s_cbranch_execz .LBB16_266
.LBB16_2316:
	v_mov_b32_e32 v20, 0
	v_cmp_ne_u16_sdwa s[8:9], v21, v20 src0_sel:BYTE_0 src1_sel:DWORD
	s_andn2_b64 s[4:5], s[4:5], exec
	s_and_b64 s[8:9], s[8:9], exec
	s_or_b64 s[4:5], s[4:5], s[8:9]
	s_or_b64 exec, exec, s[6:7]
	s_and_saveexec_b64 s[6:7], s[4:5]
	s_cbranch_execnz .LBB16_267
	s_branch .LBB16_268
.LBB16_2317:
	s_movk_i32 s4, 0x80
	v_cmp_eq_u16_sdwa s[12:13], v21, s4 src0_sel:BYTE_0 src1_sel:DWORD
	s_mov_b64 s[4:5], -1
                                        ; implicit-def: $sgpr10
	s_and_saveexec_b64 s[8:9], s[12:13]
; %bb.2318:
	s_mov_b32 s10, 0x7f800001
	s_xor_b64 s[4:5], exec, -1
; %bb.2319:
	s_or_b64 exec, exec, s[8:9]
	s_and_b64 s[4:5], s[4:5], exec
	s_or_saveexec_b64 s[6:7], s[6:7]
	v_mov_b32_e32 v22, s10
	s_xor_b64 exec, exec, s[6:7]
	s_cbranch_execz .LBB16_270
.LBB16_2320:
	v_mov_b32_e32 v22, 0
	v_cmp_ne_u16_sdwa s[8:9], v21, v22 src0_sel:BYTE_0 src1_sel:DWORD
	s_andn2_b64 s[4:5], s[4:5], exec
	s_and_b64 s[8:9], s[8:9], exec
	s_or_b64 s[4:5], s[4:5], s[8:9]
	s_or_b64 exec, exec, s[6:7]
	s_and_saveexec_b64 s[6:7], s[4:5]
	s_cbranch_execnz .LBB16_271
	s_branch .LBB16_272
.LBB16_2321:
	s_movk_i32 s4, 0x80
	v_cmp_eq_u16_e32 vcc, s4, v21
	s_mov_b64 s[4:5], -1
                                        ; implicit-def: $sgpr10
	s_and_saveexec_b64 s[8:9], vcc
; %bb.2322:
	s_mov_b32 s10, 0x7f800001
	s_xor_b64 s[4:5], exec, -1
; %bb.2323:
	s_or_b64 exec, exec, s[8:9]
	s_and_b64 s[4:5], s[4:5], exec
                                        ; implicit-def: $vgpr21
	s_or_saveexec_b64 s[6:7], s[6:7]
	v_mov_b32_e32 v20, s10
	s_xor_b64 exec, exec, s[6:7]
	s_cbranch_execz .LBB16_274
.LBB16_2324:
	v_cmp_ne_u16_e32 vcc, 0, v21
	s_andn2_b64 s[4:5], s[4:5], exec
	s_and_b64 s[8:9], vcc, exec
	v_mov_b32_e32 v20, 0
	s_or_b64 s[4:5], s[4:5], s[8:9]
	s_or_b64 exec, exec, s[6:7]
	s_and_saveexec_b64 s[6:7], s[4:5]
	s_cbranch_execnz .LBB16_275
	s_branch .LBB16_276
.LBB16_2325:
	s_movk_i32 s4, 0x80
	v_cmp_eq_u16_e32 vcc, s4, v21
	s_mov_b64 s[4:5], -1
                                        ; implicit-def: $sgpr10
	s_and_saveexec_b64 s[8:9], vcc
; %bb.2326:
	s_mov_b32 s10, 0x7f800001
	s_xor_b64 s[4:5], exec, -1
; %bb.2327:
	s_or_b64 exec, exec, s[8:9]
	s_and_b64 s[4:5], s[4:5], exec
                                        ; implicit-def: $vgpr21
	s_or_saveexec_b64 s[6:7], s[6:7]
	v_mov_b32_e32 v22, s10
	s_xor_b64 exec, exec, s[6:7]
	s_cbranch_execz .LBB16_278
.LBB16_2328:
	v_cmp_ne_u16_e32 vcc, 0, v21
	s_andn2_b64 s[4:5], s[4:5], exec
	s_and_b64 s[8:9], vcc, exec
	v_mov_b32_e32 v22, 0
	s_or_b64 s[4:5], s[4:5], s[8:9]
	s_or_b64 exec, exec, s[6:7]
	s_and_saveexec_b64 s[6:7], s[4:5]
	s_cbranch_execnz .LBB16_279
	s_branch .LBB16_280
.LBB16_2329:
	s_movk_i32 s4, 0x80
	v_cmp_eq_u16_sdwa s[12:13], v14, s4 src0_sel:BYTE_3 src1_sel:DWORD
	s_mov_b64 s[4:5], -1
                                        ; implicit-def: $sgpr10
	s_and_saveexec_b64 s[8:9], s[12:13]
; %bb.2330:
	s_mov_b32 s10, 0x7f800001
	s_xor_b64 s[4:5], exec, -1
; %bb.2331:
	s_or_b64 exec, exec, s[8:9]
	s_and_b64 s[4:5], s[4:5], exec
	s_or_saveexec_b64 s[6:7], s[6:7]
	v_mov_b32_e32 v20, s10
	s_xor_b64 exec, exec, s[6:7]
	s_cbranch_execz .LBB16_282
.LBB16_2332:
	v_mov_b32_e32 v20, 0
	v_cmp_ne_u16_sdwa s[8:9], v14, v20 src0_sel:BYTE_3 src1_sel:DWORD
	s_andn2_b64 s[4:5], s[4:5], exec
	s_and_b64 s[8:9], s[8:9], exec
	s_or_b64 s[4:5], s[4:5], s[8:9]
	s_or_b64 exec, exec, s[6:7]
	s_and_saveexec_b64 s[6:7], s[4:5]
	s_cbranch_execnz .LBB16_283
	s_branch .LBB16_284
.LBB16_2333:
	s_movk_i32 s4, 0x80
	v_cmp_eq_u16_sdwa s[12:13], v10, s4 src0_sel:BYTE_3 src1_sel:DWORD
	s_mov_b64 s[4:5], -1
                                        ; implicit-def: $sgpr10
	s_and_saveexec_b64 s[8:9], s[12:13]
; %bb.2334:
	s_mov_b32 s10, 0x7f800001
	s_xor_b64 s[4:5], exec, -1
; %bb.2335:
	s_or_b64 exec, exec, s[8:9]
	s_and_b64 s[4:5], s[4:5], exec
	s_or_saveexec_b64 s[6:7], s[6:7]
	v_mov_b32_e32 v14, s10
	s_xor_b64 exec, exec, s[6:7]
	s_cbranch_execz .LBB16_286
.LBB16_2336:
	v_mov_b32_e32 v14, 0
	v_cmp_ne_u16_sdwa s[8:9], v10, v14 src0_sel:BYTE_3 src1_sel:DWORD
	s_andn2_b64 s[4:5], s[4:5], exec
	s_and_b64 s[8:9], s[8:9], exec
	s_or_b64 s[4:5], s[4:5], s[8:9]
	s_or_b64 exec, exec, s[6:7]
	s_and_saveexec_b64 s[6:7], s[4:5]
	s_cbranch_execnz .LBB16_287
	s_branch .LBB16_288
.LBB16_2337:
	s_movk_i32 s4, 0x80
	v_cmp_eq_u16_sdwa s[12:13], v15, s4 src0_sel:BYTE_0 src1_sel:DWORD
	s_mov_b64 s[4:5], -1
                                        ; implicit-def: $sgpr10
	s_and_saveexec_b64 s[8:9], s[12:13]
; %bb.2338:
	s_mov_b32 s10, 0x7f800001
	s_xor_b64 s[4:5], exec, -1
; %bb.2339:
	s_or_b64 exec, exec, s[8:9]
	s_and_b64 s[4:5], s[4:5], exec
	s_or_saveexec_b64 s[6:7], s[6:7]
	v_mov_b32_e32 v10, s10
	s_xor_b64 exec, exec, s[6:7]
	s_cbranch_execz .LBB16_290
.LBB16_2340:
	v_mov_b32_e32 v10, 0
	v_cmp_ne_u16_sdwa s[8:9], v15, v10 src0_sel:BYTE_0 src1_sel:DWORD
	s_andn2_b64 s[4:5], s[4:5], exec
	s_and_b64 s[8:9], s[8:9], exec
	s_or_b64 s[4:5], s[4:5], s[8:9]
	s_or_b64 exec, exec, s[6:7]
	s_and_saveexec_b64 s[6:7], s[4:5]
	s_cbranch_execnz .LBB16_291
	s_branch .LBB16_292
.LBB16_2341:
	s_movk_i32 s4, 0x80
	v_cmp_eq_u16_sdwa s[12:13], v11, s4 src0_sel:BYTE_0 src1_sel:DWORD
	s_mov_b64 s[4:5], -1
                                        ; implicit-def: $sgpr10
	s_and_saveexec_b64 s[8:9], s[12:13]
; %bb.2342:
	s_mov_b32 s10, 0x7f800001
	s_xor_b64 s[4:5], exec, -1
; %bb.2343:
	s_or_b64 exec, exec, s[8:9]
	s_and_b64 s[4:5], s[4:5], exec
	s_or_saveexec_b64 s[6:7], s[6:7]
	v_mov_b32_e32 v14, s10
	s_xor_b64 exec, exec, s[6:7]
	s_cbranch_execz .LBB16_294
.LBB16_2344:
	v_mov_b32_e32 v14, 0
	v_cmp_ne_u16_sdwa s[8:9], v11, v14 src0_sel:BYTE_0 src1_sel:DWORD
	s_andn2_b64 s[4:5], s[4:5], exec
	s_and_b64 s[8:9], s[8:9], exec
	s_or_b64 s[4:5], s[4:5], s[8:9]
	s_or_b64 exec, exec, s[6:7]
	s_and_saveexec_b64 s[6:7], s[4:5]
	s_cbranch_execnz .LBB16_295
	s_branch .LBB16_296
.LBB16_2345:
	s_movk_i32 s4, 0x80
	v_cmp_eq_u16_sdwa s[12:13], v14, s4 src0_sel:BYTE_0 src1_sel:DWORD
	s_mov_b64 s[4:5], -1
                                        ; implicit-def: $sgpr10
	s_and_saveexec_b64 s[8:9], s[12:13]
; %bb.2346:
	s_mov_b32 s10, 0x7f800001
	s_xor_b64 s[4:5], exec, -1
; %bb.2347:
	s_or_b64 exec, exec, s[8:9]
	s_and_b64 s[4:5], s[4:5], exec
	s_or_saveexec_b64 s[6:7], s[6:7]
	v_mov_b32_e32 v10, s10
	s_xor_b64 exec, exec, s[6:7]
	s_cbranch_execz .LBB16_298
.LBB16_2348:
	v_mov_b32_e32 v10, 0
	v_cmp_ne_u16_sdwa s[8:9], v14, v10 src0_sel:BYTE_0 src1_sel:DWORD
	s_andn2_b64 s[4:5], s[4:5], exec
	s_and_b64 s[8:9], s[8:9], exec
	s_or_b64 s[4:5], s[4:5], s[8:9]
	s_or_b64 exec, exec, s[6:7]
	s_and_saveexec_b64 s[6:7], s[4:5]
	s_cbranch_execnz .LBB16_299
	s_branch .LBB16_300
.LBB16_2349:
	s_movk_i32 s4, 0x80
	v_cmp_eq_u16_sdwa s[12:13], v14, s4 src0_sel:BYTE_0 src1_sel:DWORD
	s_mov_b64 s[4:5], -1
                                        ; implicit-def: $sgpr10
	s_and_saveexec_b64 s[8:9], s[12:13]
; %bb.2350:
	s_mov_b32 s10, 0x7f800001
	s_xor_b64 s[4:5], exec, -1
; %bb.2351:
	s_or_b64 exec, exec, s[8:9]
	s_and_b64 s[4:5], s[4:5], exec
	s_or_saveexec_b64 s[6:7], s[6:7]
	v_mov_b32_e32 v20, s10
	s_xor_b64 exec, exec, s[6:7]
	s_cbranch_execz .LBB16_302
.LBB16_2352:
	v_mov_b32_e32 v20, 0
	v_cmp_ne_u16_sdwa s[8:9], v14, v20 src0_sel:BYTE_0 src1_sel:DWORD
	s_andn2_b64 s[4:5], s[4:5], exec
	s_and_b64 s[8:9], s[8:9], exec
	s_or_b64 s[4:5], s[4:5], s[8:9]
	s_or_b64 exec, exec, s[6:7]
	s_and_saveexec_b64 s[6:7], s[4:5]
	s_cbranch_execnz .LBB16_303
	s_branch .LBB16_304
.LBB16_2353:
	s_movk_i32 s4, 0x80
	v_cmp_eq_u16_e32 vcc, s4, v14
	s_mov_b64 s[4:5], -1
                                        ; implicit-def: $sgpr10
	s_and_saveexec_b64 s[8:9], vcc
; %bb.2354:
	s_mov_b32 s10, 0x7f800001
	s_xor_b64 s[4:5], exec, -1
; %bb.2355:
	s_or_b64 exec, exec, s[8:9]
	s_and_b64 s[4:5], s[4:5], exec
                                        ; implicit-def: $vgpr14
	s_or_saveexec_b64 s[6:7], s[6:7]
	v_mov_b32_e32 v10, s10
	s_xor_b64 exec, exec, s[6:7]
	s_cbranch_execz .LBB16_306
.LBB16_2356:
	v_cmp_ne_u16_e32 vcc, 0, v14
	s_andn2_b64 s[4:5], s[4:5], exec
	s_and_b64 s[8:9], vcc, exec
	v_mov_b32_e32 v10, 0
	s_or_b64 s[4:5], s[4:5], s[8:9]
	s_or_b64 exec, exec, s[6:7]
	s_and_saveexec_b64 s[6:7], s[4:5]
	s_cbranch_execnz .LBB16_307
	s_branch .LBB16_308
.LBB16_2357:
	s_movk_i32 s4, 0x80
	v_cmp_eq_u16_e32 vcc, s4, v14
	s_mov_b64 s[4:5], -1
                                        ; implicit-def: $sgpr10
	s_and_saveexec_b64 s[8:9], vcc
; %bb.2358:
	s_mov_b32 s10, 0x7f800001
	s_xor_b64 s[4:5], exec, -1
; %bb.2359:
	s_or_b64 exec, exec, s[8:9]
	s_and_b64 s[4:5], s[4:5], exec
                                        ; implicit-def: $vgpr14
	s_or_saveexec_b64 s[6:7], s[6:7]
	v_mov_b32_e32 v20, s10
	s_xor_b64 exec, exec, s[6:7]
	s_cbranch_execz .LBB16_310
.LBB16_2360:
	v_cmp_ne_u16_e32 vcc, 0, v14
	s_andn2_b64 s[4:5], s[4:5], exec
	s_and_b64 s[8:9], vcc, exec
	v_mov_b32_e32 v20, 0
	s_or_b64 s[4:5], s[4:5], s[8:9]
	s_or_b64 exec, exec, s[6:7]
	s_and_saveexec_b64 s[6:7], s[4:5]
	s_cbranch_execnz .LBB16_311
	s_branch .LBB16_312
.LBB16_2361:
	s_movk_i32 s4, 0x80
	v_cmp_eq_u16_sdwa s[12:13], v15, s4 src0_sel:BYTE_3 src1_sel:DWORD
	s_mov_b64 s[4:5], -1
                                        ; implicit-def: $sgpr10
	s_and_saveexec_b64 s[8:9], s[12:13]
; %bb.2362:
	s_mov_b32 s10, 0x7f800001
	s_xor_b64 s[4:5], exec, -1
; %bb.2363:
	s_or_b64 exec, exec, s[8:9]
	s_and_b64 s[4:5], s[4:5], exec
	s_or_saveexec_b64 s[6:7], s[6:7]
	v_mov_b32_e32 v10, s10
	s_xor_b64 exec, exec, s[6:7]
	s_cbranch_execz .LBB16_314
.LBB16_2364:
	v_mov_b32_e32 v10, 0
	v_cmp_ne_u16_sdwa s[8:9], v15, v10 src0_sel:BYTE_3 src1_sel:DWORD
	s_andn2_b64 s[4:5], s[4:5], exec
	s_and_b64 s[8:9], s[8:9], exec
	s_or_b64 s[4:5], s[4:5], s[8:9]
	s_or_b64 exec, exec, s[6:7]
	s_and_saveexec_b64 s[6:7], s[4:5]
	s_cbranch_execnz .LBB16_315
	s_branch .LBB16_316
.LBB16_2365:
	s_movk_i32 s4, 0x80
	v_cmp_eq_u16_sdwa s[12:13], v11, s4 src0_sel:BYTE_3 src1_sel:DWORD
	s_mov_b64 s[4:5], -1
                                        ; implicit-def: $sgpr10
	s_and_saveexec_b64 s[8:9], s[12:13]
; %bb.2366:
	s_mov_b32 s10, 0x7f800001
	s_xor_b64 s[4:5], exec, -1
; %bb.2367:
	s_or_b64 exec, exec, s[8:9]
	s_and_b64 s[4:5], s[4:5], exec
	s_or_saveexec_b64 s[6:7], s[6:7]
	v_mov_b32_e32 v14, s10
	s_xor_b64 exec, exec, s[6:7]
	s_cbranch_execz .LBB16_318
.LBB16_2368:
	v_mov_b32_e32 v14, 0
	v_cmp_ne_u16_sdwa s[8:9], v11, v14 src0_sel:BYTE_3 src1_sel:DWORD
	s_andn2_b64 s[4:5], s[4:5], exec
	s_and_b64 s[8:9], s[8:9], exec
	s_or_b64 s[4:5], s[4:5], s[8:9]
	s_or_b64 exec, exec, s[6:7]
	s_and_saveexec_b64 s[6:7], s[4:5]
	s_cbranch_execnz .LBB16_319
	s_branch .LBB16_320
.LBB16_2369:
	s_movk_i32 s4, 0x80
	v_cmp_eq_u16_sdwa s[12:13], v16, s4 src0_sel:BYTE_0 src1_sel:DWORD
	s_mov_b64 s[4:5], -1
                                        ; implicit-def: $sgpr10
	s_and_saveexec_b64 s[8:9], s[12:13]
; %bb.2370:
	s_mov_b32 s10, 0x7f800001
	s_xor_b64 s[4:5], exec, -1
; %bb.2371:
	s_or_b64 exec, exec, s[8:9]
	s_and_b64 s[4:5], s[4:5], exec
	s_or_saveexec_b64 s[6:7], s[6:7]
	v_mov_b32_e32 v10, s10
	s_xor_b64 exec, exec, s[6:7]
	s_cbranch_execz .LBB16_322
.LBB16_2372:
	v_mov_b32_e32 v10, 0
	v_cmp_ne_u16_sdwa s[8:9], v16, v10 src0_sel:BYTE_0 src1_sel:DWORD
	s_andn2_b64 s[4:5], s[4:5], exec
	s_and_b64 s[8:9], s[8:9], exec
	s_or_b64 s[4:5], s[4:5], s[8:9]
	s_or_b64 exec, exec, s[6:7]
	s_and_saveexec_b64 s[6:7], s[4:5]
	s_cbranch_execnz .LBB16_323
	s_branch .LBB16_324
.LBB16_2373:
	s_movk_i32 s4, 0x80
	v_cmp_eq_u16_sdwa s[12:13], v12, s4 src0_sel:BYTE_0 src1_sel:DWORD
	s_mov_b64 s[4:5], -1
                                        ; implicit-def: $sgpr10
	s_and_saveexec_b64 s[8:9], s[12:13]
; %bb.2374:
	s_mov_b32 s10, 0x7f800001
	s_xor_b64 s[4:5], exec, -1
; %bb.2375:
	s_or_b64 exec, exec, s[8:9]
	s_and_b64 s[4:5], s[4:5], exec
	s_or_saveexec_b64 s[6:7], s[6:7]
	v_mov_b32_e32 v11, s10
	s_xor_b64 exec, exec, s[6:7]
	s_cbranch_execz .LBB16_326
.LBB16_2376:
	v_mov_b32_e32 v11, 0
	v_cmp_ne_u16_sdwa s[8:9], v12, v11 src0_sel:BYTE_0 src1_sel:DWORD
	s_andn2_b64 s[4:5], s[4:5], exec
	s_and_b64 s[8:9], s[8:9], exec
	s_or_b64 s[4:5], s[4:5], s[8:9]
	s_or_b64 exec, exec, s[6:7]
	s_and_saveexec_b64 s[6:7], s[4:5]
	s_cbranch_execnz .LBB16_327
	s_branch .LBB16_328
.LBB16_2377:
	s_movk_i32 s4, 0x80
	v_cmp_eq_u16_sdwa s[12:13], v11, s4 src0_sel:BYTE_0 src1_sel:DWORD
	s_mov_b64 s[4:5], -1
                                        ; implicit-def: $sgpr10
	s_and_saveexec_b64 s[8:9], s[12:13]
; %bb.2378:
	s_mov_b32 s10, 0x7f800001
	s_xor_b64 s[4:5], exec, -1
; %bb.2379:
	s_or_b64 exec, exec, s[8:9]
	s_and_b64 s[4:5], s[4:5], exec
	s_or_saveexec_b64 s[6:7], s[6:7]
	v_mov_b32_e32 v10, s10
	s_xor_b64 exec, exec, s[6:7]
	s_cbranch_execz .LBB16_330
.LBB16_2380:
	v_mov_b32_e32 v10, 0
	v_cmp_ne_u16_sdwa s[8:9], v11, v10 src0_sel:BYTE_0 src1_sel:DWORD
	s_andn2_b64 s[4:5], s[4:5], exec
	s_and_b64 s[8:9], s[8:9], exec
	s_or_b64 s[4:5], s[4:5], s[8:9]
	s_or_b64 exec, exec, s[6:7]
	s_and_saveexec_b64 s[6:7], s[4:5]
	s_cbranch_execnz .LBB16_331
	s_branch .LBB16_332
.LBB16_2381:
	s_movk_i32 s4, 0x80
	v_cmp_eq_u16_sdwa s[12:13], v11, s4 src0_sel:BYTE_0 src1_sel:DWORD
	s_mov_b64 s[4:5], -1
                                        ; implicit-def: $sgpr10
	s_and_saveexec_b64 s[8:9], s[12:13]
; %bb.2382:
	s_mov_b32 s10, 0x7f800001
	s_xor_b64 s[4:5], exec, -1
; %bb.2383:
	s_or_b64 exec, exec, s[8:9]
	s_and_b64 s[4:5], s[4:5], exec
	s_or_saveexec_b64 s[6:7], s[6:7]
	v_mov_b32_e32 v14, s10
	s_xor_b64 exec, exec, s[6:7]
	s_cbranch_execz .LBB16_334
.LBB16_2384:
	v_mov_b32_e32 v14, 0
	v_cmp_ne_u16_sdwa s[8:9], v11, v14 src0_sel:BYTE_0 src1_sel:DWORD
	s_andn2_b64 s[4:5], s[4:5], exec
	s_and_b64 s[8:9], s[8:9], exec
	s_or_b64 s[4:5], s[4:5], s[8:9]
	s_or_b64 exec, exec, s[6:7]
	s_and_saveexec_b64 s[6:7], s[4:5]
	s_cbranch_execnz .LBB16_335
	s_branch .LBB16_336
.LBB16_2385:
	s_movk_i32 s4, 0x80
	v_cmp_eq_u16_e32 vcc, s4, v11
	s_mov_b64 s[4:5], -1
                                        ; implicit-def: $sgpr10
	s_and_saveexec_b64 s[8:9], vcc
; %bb.2386:
	s_mov_b32 s10, 0x7f800001
	s_xor_b64 s[4:5], exec, -1
; %bb.2387:
	s_or_b64 exec, exec, s[8:9]
	s_and_b64 s[4:5], s[4:5], exec
                                        ; implicit-def: $vgpr11
	s_or_saveexec_b64 s[6:7], s[6:7]
	v_mov_b32_e32 v10, s10
	s_xor_b64 exec, exec, s[6:7]
	s_cbranch_execz .LBB16_338
.LBB16_2388:
	v_cmp_ne_u16_e32 vcc, 0, v11
	s_andn2_b64 s[4:5], s[4:5], exec
	s_and_b64 s[8:9], vcc, exec
	v_mov_b32_e32 v10, 0
	s_or_b64 s[4:5], s[4:5], s[8:9]
	s_or_b64 exec, exec, s[6:7]
	s_and_saveexec_b64 s[6:7], s[4:5]
	s_cbranch_execnz .LBB16_339
	s_branch .LBB16_340
.LBB16_2389:
	s_movk_i32 s4, 0x80
	v_cmp_eq_u16_e32 vcc, s4, v11
	s_mov_b64 s[4:5], -1
                                        ; implicit-def: $sgpr10
	s_and_saveexec_b64 s[8:9], vcc
; %bb.2390:
	s_mov_b32 s10, 0x7f800001
	s_xor_b64 s[4:5], exec, -1
; %bb.2391:
	s_or_b64 exec, exec, s[8:9]
	s_and_b64 s[4:5], s[4:5], exec
                                        ; implicit-def: $vgpr11
	s_or_saveexec_b64 s[6:7], s[6:7]
	v_mov_b32_e32 v14, s10
	s_xor_b64 exec, exec, s[6:7]
	s_cbranch_execz .LBB16_342
.LBB16_2392:
	v_cmp_ne_u16_e32 vcc, 0, v11
	s_andn2_b64 s[4:5], s[4:5], exec
	s_and_b64 s[8:9], vcc, exec
	v_mov_b32_e32 v14, 0
	s_or_b64 s[4:5], s[4:5], s[8:9]
	s_or_b64 exec, exec, s[6:7]
	s_and_saveexec_b64 s[6:7], s[4:5]
	s_cbranch_execnz .LBB16_343
	s_branch .LBB16_344
.LBB16_2393:
	s_movk_i32 s4, 0x80
	v_cmp_eq_u16_sdwa s[12:13], v16, s4 src0_sel:BYTE_3 src1_sel:DWORD
	s_mov_b64 s[4:5], -1
                                        ; implicit-def: $sgpr10
	s_and_saveexec_b64 s[8:9], s[12:13]
; %bb.2394:
	s_mov_b32 s10, 0x7f800001
	s_xor_b64 s[4:5], exec, -1
; %bb.2395:
	s_or_b64 exec, exec, s[8:9]
	s_and_b64 s[4:5], s[4:5], exec
	s_or_saveexec_b64 s[6:7], s[6:7]
	v_mov_b32_e32 v10, s10
	s_xor_b64 exec, exec, s[6:7]
	s_cbranch_execz .LBB16_346
.LBB16_2396:
	v_mov_b32_e32 v10, 0
	v_cmp_ne_u16_sdwa s[8:9], v16, v10 src0_sel:BYTE_3 src1_sel:DWORD
	s_andn2_b64 s[4:5], s[4:5], exec
	s_and_b64 s[8:9], s[8:9], exec
	s_or_b64 s[4:5], s[4:5], s[8:9]
	s_or_b64 exec, exec, s[6:7]
	s_and_saveexec_b64 s[6:7], s[4:5]
	s_cbranch_execnz .LBB16_347
	s_branch .LBB16_348
.LBB16_2397:
	s_movk_i32 s4, 0x80
	v_cmp_eq_u16_sdwa s[12:13], v12, s4 src0_sel:BYTE_3 src1_sel:DWORD
	s_mov_b64 s[4:5], -1
                                        ; implicit-def: $sgpr10
	s_and_saveexec_b64 s[8:9], s[12:13]
; %bb.2398:
	s_mov_b32 s10, 0x7f800001
	s_xor_b64 s[4:5], exec, -1
; %bb.2399:
	s_or_b64 exec, exec, s[8:9]
	s_and_b64 s[4:5], s[4:5], exec
	s_or_saveexec_b64 s[6:7], s[6:7]
	v_mov_b32_e32 v11, s10
	s_xor_b64 exec, exec, s[6:7]
	s_cbranch_execz .LBB16_350
.LBB16_2400:
	v_mov_b32_e32 v11, 0
	v_cmp_ne_u16_sdwa s[8:9], v12, v11 src0_sel:BYTE_3 src1_sel:DWORD
	s_andn2_b64 s[4:5], s[4:5], exec
	s_and_b64 s[8:9], s[8:9], exec
	s_or_b64 s[4:5], s[4:5], s[8:9]
	s_or_b64 exec, exec, s[6:7]
	s_and_saveexec_b64 s[6:7], s[4:5]
	s_cbranch_execnz .LBB16_351
	s_branch .LBB16_352
.LBB16_2401:
	s_movk_i32 s4, 0x80
	v_cmp_eq_u16_sdwa s[12:13], v17, s4 src0_sel:BYTE_0 src1_sel:DWORD
	s_mov_b64 s[4:5], -1
                                        ; implicit-def: $sgpr10
	s_and_saveexec_b64 s[8:9], s[12:13]
; %bb.2402:
	s_mov_b32 s10, 0x7f800001
	s_xor_b64 s[4:5], exec, -1
; %bb.2403:
	s_or_b64 exec, exec, s[8:9]
	s_and_b64 s[4:5], s[4:5], exec
	s_or_saveexec_b64 s[6:7], s[6:7]
	v_mov_b32_e32 v10, s10
	s_xor_b64 exec, exec, s[6:7]
	s_cbranch_execz .LBB16_354
.LBB16_2404:
	v_mov_b32_e32 v10, 0
	v_cmp_ne_u16_sdwa s[8:9], v17, v10 src0_sel:BYTE_0 src1_sel:DWORD
	s_andn2_b64 s[4:5], s[4:5], exec
	s_and_b64 s[8:9], s[8:9], exec
	s_or_b64 s[4:5], s[4:5], s[8:9]
	s_or_b64 exec, exec, s[6:7]
	s_and_saveexec_b64 s[6:7], s[4:5]
	s_cbranch_execnz .LBB16_355
	s_branch .LBB16_356
.LBB16_2405:
	s_movk_i32 s4, 0x80
	v_cmp_eq_u16_sdwa s[12:13], v13, s4 src0_sel:BYTE_0 src1_sel:DWORD
	s_mov_b64 s[4:5], -1
                                        ; implicit-def: $sgpr10
	s_and_saveexec_b64 s[8:9], s[12:13]
; %bb.2406:
	s_mov_b32 s10, 0x7f800001
	s_xor_b64 s[4:5], exec, -1
; %bb.2407:
	s_or_b64 exec, exec, s[8:9]
	s_and_b64 s[4:5], s[4:5], exec
	s_or_saveexec_b64 s[6:7], s[6:7]
	v_mov_b32_e32 v11, s10
	s_xor_b64 exec, exec, s[6:7]
	s_cbranch_execz .LBB16_358
.LBB16_2408:
	v_mov_b32_e32 v11, 0
	v_cmp_ne_u16_sdwa s[8:9], v13, v11 src0_sel:BYTE_0 src1_sel:DWORD
	s_andn2_b64 s[4:5], s[4:5], exec
	s_and_b64 s[8:9], s[8:9], exec
	s_or_b64 s[4:5], s[4:5], s[8:9]
	s_or_b64 exec, exec, s[6:7]
	s_and_saveexec_b64 s[6:7], s[4:5]
	s_cbranch_execnz .LBB16_359
	s_branch .LBB16_360
.LBB16_2409:
	s_movk_i32 s4, 0x80
	v_cmp_eq_u16_sdwa s[12:13], v11, s4 src0_sel:BYTE_0 src1_sel:DWORD
	s_mov_b64 s[4:5], -1
                                        ; implicit-def: $sgpr10
	s_and_saveexec_b64 s[8:9], s[12:13]
; %bb.2410:
	s_mov_b32 s10, 0x7f800001
	s_xor_b64 s[4:5], exec, -1
; %bb.2411:
	s_or_b64 exec, exec, s[8:9]
	s_and_b64 s[4:5], s[4:5], exec
	s_or_saveexec_b64 s[6:7], s[6:7]
	v_mov_b32_e32 v10, s10
	s_xor_b64 exec, exec, s[6:7]
	s_cbranch_execz .LBB16_362
.LBB16_2412:
	v_mov_b32_e32 v10, 0
	v_cmp_ne_u16_sdwa s[8:9], v11, v10 src0_sel:BYTE_0 src1_sel:DWORD
	s_andn2_b64 s[4:5], s[4:5], exec
	s_and_b64 s[8:9], s[8:9], exec
	s_or_b64 s[4:5], s[4:5], s[8:9]
	s_or_b64 exec, exec, s[6:7]
	s_and_saveexec_b64 s[6:7], s[4:5]
	s_cbranch_execnz .LBB16_363
	s_branch .LBB16_364
.LBB16_2413:
	s_movk_i32 s4, 0x80
	v_cmp_eq_u16_sdwa s[12:13], v11, s4 src0_sel:BYTE_0 src1_sel:DWORD
	s_mov_b64 s[4:5], -1
                                        ; implicit-def: $sgpr10
	s_and_saveexec_b64 s[8:9], s[12:13]
; %bb.2414:
	s_mov_b32 s10, 0x7f800001
	s_xor_b64 s[4:5], exec, -1
; %bb.2415:
	s_or_b64 exec, exec, s[8:9]
	s_and_b64 s[4:5], s[4:5], exec
	s_or_saveexec_b64 s[6:7], s[6:7]
	v_mov_b32_e32 v12, s10
	s_xor_b64 exec, exec, s[6:7]
	s_cbranch_execz .LBB16_366
.LBB16_2416:
	v_mov_b32_e32 v12, 0
	v_cmp_ne_u16_sdwa s[8:9], v11, v12 src0_sel:BYTE_0 src1_sel:DWORD
	s_andn2_b64 s[4:5], s[4:5], exec
	s_and_b64 s[8:9], s[8:9], exec
	s_or_b64 s[4:5], s[4:5], s[8:9]
	s_or_b64 exec, exec, s[6:7]
	s_and_saveexec_b64 s[6:7], s[4:5]
	s_cbranch_execnz .LBB16_367
	s_branch .LBB16_368
.LBB16_2417:
	s_movk_i32 s4, 0x80
	v_cmp_eq_u16_e32 vcc, s4, v11
	s_mov_b64 s[4:5], -1
                                        ; implicit-def: $sgpr10
	s_and_saveexec_b64 s[8:9], vcc
; %bb.2418:
	s_mov_b32 s10, 0x7f800001
	s_xor_b64 s[4:5], exec, -1
; %bb.2419:
	s_or_b64 exec, exec, s[8:9]
	s_and_b64 s[4:5], s[4:5], exec
                                        ; implicit-def: $vgpr11
	s_or_saveexec_b64 s[6:7], s[6:7]
	v_mov_b32_e32 v10, s10
	s_xor_b64 exec, exec, s[6:7]
	s_cbranch_execz .LBB16_370
.LBB16_2420:
	v_cmp_ne_u16_e32 vcc, 0, v11
	s_andn2_b64 s[4:5], s[4:5], exec
	s_and_b64 s[8:9], vcc, exec
	v_mov_b32_e32 v10, 0
	s_or_b64 s[4:5], s[4:5], s[8:9]
	s_or_b64 exec, exec, s[6:7]
	s_and_saveexec_b64 s[6:7], s[4:5]
	s_cbranch_execnz .LBB16_371
	s_branch .LBB16_372
.LBB16_2421:
	s_movk_i32 s4, 0x80
	v_cmp_eq_u16_e32 vcc, s4, v11
	s_mov_b64 s[4:5], -1
                                        ; implicit-def: $sgpr10
	s_and_saveexec_b64 s[8:9], vcc
; %bb.2422:
	s_mov_b32 s10, 0x7f800001
	s_xor_b64 s[4:5], exec, -1
; %bb.2423:
	s_or_b64 exec, exec, s[8:9]
	s_and_b64 s[4:5], s[4:5], exec
                                        ; implicit-def: $vgpr11
	s_or_saveexec_b64 s[6:7], s[6:7]
	v_mov_b32_e32 v12, s10
	s_xor_b64 exec, exec, s[6:7]
	s_cbranch_execz .LBB16_374
.LBB16_2424:
	v_cmp_ne_u16_e32 vcc, 0, v11
	s_andn2_b64 s[4:5], s[4:5], exec
	s_and_b64 s[8:9], vcc, exec
	v_mov_b32_e32 v12, 0
	s_or_b64 s[4:5], s[4:5], s[8:9]
	s_or_b64 exec, exec, s[6:7]
	s_and_saveexec_b64 s[6:7], s[4:5]
	s_cbranch_execnz .LBB16_375
	s_branch .LBB16_376
.LBB16_2425:
	s_movk_i32 s4, 0x80
	v_cmp_eq_u16_sdwa s[12:13], v17, s4 src0_sel:BYTE_3 src1_sel:DWORD
	s_mov_b64 s[4:5], -1
                                        ; implicit-def: $sgpr10
	s_and_saveexec_b64 s[8:9], s[12:13]
; %bb.2426:
	s_mov_b32 s10, 0x7f800001
	s_xor_b64 s[4:5], exec, -1
; %bb.2427:
	s_or_b64 exec, exec, s[8:9]
	s_and_b64 s[4:5], s[4:5], exec
	s_or_saveexec_b64 s[6:7], s[6:7]
	v_mov_b32_e32 v10, s10
	s_xor_b64 exec, exec, s[6:7]
	s_cbranch_execz .LBB16_378
.LBB16_2428:
	v_mov_b32_e32 v10, 0
	v_cmp_ne_u16_sdwa s[8:9], v17, v10 src0_sel:BYTE_3 src1_sel:DWORD
	s_andn2_b64 s[4:5], s[4:5], exec
	s_and_b64 s[8:9], s[8:9], exec
	s_or_b64 s[4:5], s[4:5], s[8:9]
	s_or_b64 exec, exec, s[6:7]
	s_and_saveexec_b64 s[6:7], s[4:5]
	s_cbranch_execnz .LBB16_379
	s_branch .LBB16_380
.LBB16_2429:
	s_movk_i32 s4, 0x80
	v_cmp_eq_u16_sdwa s[12:13], v13, s4 src0_sel:BYTE_3 src1_sel:DWORD
	s_mov_b64 s[4:5], -1
                                        ; implicit-def: $sgpr10
	s_and_saveexec_b64 s[8:9], s[12:13]
; %bb.2430:
	s_mov_b32 s10, 0x7f800001
	s_xor_b64 s[4:5], exec, -1
; %bb.2431:
	s_or_b64 exec, exec, s[8:9]
	s_and_b64 s[4:5], s[4:5], exec
	s_or_saveexec_b64 s[6:7], s[6:7]
	v_mov_b32_e32 v11, s10
	s_xor_b64 exec, exec, s[6:7]
	s_cbranch_execz .LBB16_382
.LBB16_2432:
	v_mov_b32_e32 v11, 0
	v_cmp_ne_u16_sdwa s[8:9], v13, v11 src0_sel:BYTE_3 src1_sel:DWORD
	s_andn2_b64 s[4:5], s[4:5], exec
	s_and_b64 s[8:9], s[8:9], exec
	s_or_b64 s[4:5], s[4:5], s[8:9]
	s_or_b64 exec, exec, s[6:7]
	s_and_saveexec_b64 s[6:7], s[4:5]
	s_cbranch_execnz .LBB16_383
	s_branch .LBB16_384
.LBB16_2433:
	s_movk_i32 s4, 0x80
	v_cmp_eq_u16_sdwa s[12:13], v6, s4 src0_sel:BYTE_0 src1_sel:DWORD
	s_mov_b64 s[4:5], -1
                                        ; implicit-def: $sgpr10
	s_and_saveexec_b64 s[8:9], s[12:13]
; %bb.2434:
	s_mov_b32 s10, 0x7f800001
	s_xor_b64 s[4:5], exec, -1
; %bb.2435:
	s_or_b64 exec, exec, s[8:9]
	s_and_b64 s[4:5], s[4:5], exec
	s_or_saveexec_b64 s[6:7], s[6:7]
	v_mov_b32_e32 v10, s10
	s_xor_b64 exec, exec, s[6:7]
	s_cbranch_execz .LBB16_386
.LBB16_2436:
	v_mov_b32_e32 v10, 0
	v_cmp_ne_u16_sdwa s[8:9], v6, v10 src0_sel:BYTE_0 src1_sel:DWORD
	s_andn2_b64 s[4:5], s[4:5], exec
	s_and_b64 s[8:9], s[8:9], exec
	s_or_b64 s[4:5], s[4:5], s[8:9]
	s_or_b64 exec, exec, s[6:7]
	s_and_saveexec_b64 s[6:7], s[4:5]
	s_cbranch_execnz .LBB16_387
	s_branch .LBB16_388
.LBB16_2437:
	s_movk_i32 s4, 0x80
	v_cmp_eq_u16_sdwa s[12:13], v2, s4 src0_sel:BYTE_0 src1_sel:DWORD
	s_mov_b64 s[4:5], -1
                                        ; implicit-def: $sgpr10
	s_and_saveexec_b64 s[8:9], s[12:13]
; %bb.2438:
	s_mov_b32 s10, 0x7f800001
	s_xor_b64 s[4:5], exec, -1
; %bb.2439:
	s_or_b64 exec, exec, s[8:9]
	s_and_b64 s[4:5], s[4:5], exec
	s_or_saveexec_b64 s[6:7], s[6:7]
	v_mov_b32_e32 v11, s10
	s_xor_b64 exec, exec, s[6:7]
	s_cbranch_execz .LBB16_390
.LBB16_2440:
	v_mov_b32_e32 v11, 0
	v_cmp_ne_u16_sdwa s[8:9], v2, v11 src0_sel:BYTE_0 src1_sel:DWORD
	s_andn2_b64 s[4:5], s[4:5], exec
	s_and_b64 s[8:9], s[8:9], exec
	s_or_b64 s[4:5], s[4:5], s[8:9]
	s_or_b64 exec, exec, s[6:7]
	s_and_saveexec_b64 s[6:7], s[4:5]
	s_cbranch_execnz .LBB16_391
	s_branch .LBB16_392
.LBB16_2441:
	s_movk_i32 s4, 0x80
	v_cmp_eq_u16_sdwa s[12:13], v11, s4 src0_sel:BYTE_0 src1_sel:DWORD
	s_mov_b64 s[4:5], -1
                                        ; implicit-def: $sgpr10
	s_and_saveexec_b64 s[8:9], s[12:13]
; %bb.2442:
	s_mov_b32 s10, 0x7f800001
	s_xor_b64 s[4:5], exec, -1
; %bb.2443:
	s_or_b64 exec, exec, s[8:9]
	s_and_b64 s[4:5], s[4:5], exec
	s_or_saveexec_b64 s[6:7], s[6:7]
	v_mov_b32_e32 v10, s10
	s_xor_b64 exec, exec, s[6:7]
	s_cbranch_execz .LBB16_394
.LBB16_2444:
	v_mov_b32_e32 v10, 0
	v_cmp_ne_u16_sdwa s[8:9], v11, v10 src0_sel:BYTE_0 src1_sel:DWORD
	s_andn2_b64 s[4:5], s[4:5], exec
	s_and_b64 s[8:9], s[8:9], exec
	s_or_b64 s[4:5], s[4:5], s[8:9]
	s_or_b64 exec, exec, s[6:7]
	s_and_saveexec_b64 s[6:7], s[4:5]
	s_cbranch_execnz .LBB16_395
	s_branch .LBB16_396
.LBB16_2445:
	s_movk_i32 s4, 0x80
	v_cmp_eq_u16_sdwa s[12:13], v11, s4 src0_sel:BYTE_0 src1_sel:DWORD
	s_mov_b64 s[4:5], -1
                                        ; implicit-def: $sgpr10
	s_and_saveexec_b64 s[8:9], s[12:13]
; %bb.2446:
	s_mov_b32 s10, 0x7f800001
	s_xor_b64 s[4:5], exec, -1
; %bb.2447:
	s_or_b64 exec, exec, s[8:9]
	s_and_b64 s[4:5], s[4:5], exec
	s_or_saveexec_b64 s[6:7], s[6:7]
	v_mov_b32_e32 v12, s10
	s_xor_b64 exec, exec, s[6:7]
	s_cbranch_execz .LBB16_398
.LBB16_2448:
	v_mov_b32_e32 v12, 0
	v_cmp_ne_u16_sdwa s[8:9], v11, v12 src0_sel:BYTE_0 src1_sel:DWORD
	s_andn2_b64 s[4:5], s[4:5], exec
	s_and_b64 s[8:9], s[8:9], exec
	s_or_b64 s[4:5], s[4:5], s[8:9]
	s_or_b64 exec, exec, s[6:7]
	s_and_saveexec_b64 s[6:7], s[4:5]
	s_cbranch_execnz .LBB16_399
	s_branch .LBB16_400
.LBB16_2449:
	s_movk_i32 s4, 0x80
	v_cmp_eq_u16_e32 vcc, s4, v11
	s_mov_b64 s[4:5], -1
                                        ; implicit-def: $sgpr10
	s_and_saveexec_b64 s[8:9], vcc
; %bb.2450:
	s_mov_b32 s10, 0x7f800001
	s_xor_b64 s[4:5], exec, -1
; %bb.2451:
	s_or_b64 exec, exec, s[8:9]
	s_and_b64 s[4:5], s[4:5], exec
                                        ; implicit-def: $vgpr11
	s_or_saveexec_b64 s[6:7], s[6:7]
	v_mov_b32_e32 v10, s10
	s_xor_b64 exec, exec, s[6:7]
	s_cbranch_execz .LBB16_402
.LBB16_2452:
	v_cmp_ne_u16_e32 vcc, 0, v11
	s_andn2_b64 s[4:5], s[4:5], exec
	s_and_b64 s[8:9], vcc, exec
	v_mov_b32_e32 v10, 0
	s_or_b64 s[4:5], s[4:5], s[8:9]
	s_or_b64 exec, exec, s[6:7]
	s_and_saveexec_b64 s[6:7], s[4:5]
	s_cbranch_execnz .LBB16_403
	s_branch .LBB16_404
.LBB16_2453:
	s_movk_i32 s4, 0x80
	v_cmp_eq_u16_e32 vcc, s4, v11
	s_mov_b64 s[4:5], -1
                                        ; implicit-def: $sgpr10
	s_and_saveexec_b64 s[8:9], vcc
; %bb.2454:
	s_mov_b32 s10, 0x7f800001
	s_xor_b64 s[4:5], exec, -1
; %bb.2455:
	s_or_b64 exec, exec, s[8:9]
	s_and_b64 s[4:5], s[4:5], exec
                                        ; implicit-def: $vgpr11
	s_or_saveexec_b64 s[6:7], s[6:7]
	v_mov_b32_e32 v12, s10
	s_xor_b64 exec, exec, s[6:7]
	s_cbranch_execz .LBB16_406
.LBB16_2456:
	v_cmp_ne_u16_e32 vcc, 0, v11
	s_andn2_b64 s[4:5], s[4:5], exec
	s_and_b64 s[8:9], vcc, exec
	v_mov_b32_e32 v12, 0
	s_or_b64 s[4:5], s[4:5], s[8:9]
	s_or_b64 exec, exec, s[6:7]
	s_and_saveexec_b64 s[6:7], s[4:5]
	s_cbranch_execnz .LBB16_407
	s_branch .LBB16_408
.LBB16_2457:
	s_movk_i32 s4, 0x80
	v_cmp_eq_u16_sdwa s[12:13], v6, s4 src0_sel:BYTE_3 src1_sel:DWORD
	s_mov_b64 s[4:5], -1
                                        ; implicit-def: $sgpr10
	s_and_saveexec_b64 s[8:9], s[12:13]
; %bb.2458:
	s_mov_b32 s10, 0x7f800001
	s_xor_b64 s[4:5], exec, -1
; %bb.2459:
	s_or_b64 exec, exec, s[8:9]
	s_and_b64 s[4:5], s[4:5], exec
	s_or_saveexec_b64 s[6:7], s[6:7]
	v_mov_b32_e32 v10, s10
	s_xor_b64 exec, exec, s[6:7]
	s_cbranch_execz .LBB16_410
.LBB16_2460:
	v_mov_b32_e32 v10, 0
	v_cmp_ne_u16_sdwa s[8:9], v6, v10 src0_sel:BYTE_3 src1_sel:DWORD
	s_andn2_b64 s[4:5], s[4:5], exec
	s_and_b64 s[8:9], s[8:9], exec
	s_or_b64 s[4:5], s[4:5], s[8:9]
	s_or_b64 exec, exec, s[6:7]
	s_and_saveexec_b64 s[6:7], s[4:5]
	s_cbranch_execnz .LBB16_411
	s_branch .LBB16_412
.LBB16_2461:
	s_movk_i32 s4, 0x80
	v_cmp_eq_u16_sdwa s[12:13], v2, s4 src0_sel:BYTE_3 src1_sel:DWORD
	s_mov_b64 s[4:5], -1
                                        ; implicit-def: $sgpr10
	s_and_saveexec_b64 s[8:9], s[12:13]
; %bb.2462:
	s_mov_b32 s10, 0x7f800001
	s_xor_b64 s[4:5], exec, -1
; %bb.2463:
	s_or_b64 exec, exec, s[8:9]
	s_and_b64 s[4:5], s[4:5], exec
	s_or_saveexec_b64 s[6:7], s[6:7]
	v_mov_b32_e32 v6, s10
	s_xor_b64 exec, exec, s[6:7]
	s_cbranch_execz .LBB16_414
.LBB16_2464:
	v_mov_b32_e32 v6, 0
	v_cmp_ne_u16_sdwa s[8:9], v2, v6 src0_sel:BYTE_3 src1_sel:DWORD
	s_andn2_b64 s[4:5], s[4:5], exec
	s_and_b64 s[8:9], s[8:9], exec
	s_or_b64 s[4:5], s[4:5], s[8:9]
	s_or_b64 exec, exec, s[6:7]
	s_and_saveexec_b64 s[6:7], s[4:5]
	s_cbranch_execnz .LBB16_415
	s_branch .LBB16_416
.LBB16_2465:
	s_movk_i32 s4, 0x80
	v_cmp_eq_u16_sdwa s[12:13], v7, s4 src0_sel:BYTE_0 src1_sel:DWORD
	s_mov_b64 s[4:5], -1
                                        ; implicit-def: $sgpr10
	s_and_saveexec_b64 s[8:9], s[12:13]
; %bb.2466:
	s_mov_b32 s10, 0x7f800001
	s_xor_b64 s[4:5], exec, -1
; %bb.2467:
	s_or_b64 exec, exec, s[8:9]
	s_and_b64 s[4:5], s[4:5], exec
	s_or_saveexec_b64 s[6:7], s[6:7]
	v_mov_b32_e32 v2, s10
	s_xor_b64 exec, exec, s[6:7]
	s_cbranch_execz .LBB16_418
.LBB16_2468:
	v_mov_b32_e32 v2, 0
	v_cmp_ne_u16_sdwa s[8:9], v7, v2 src0_sel:BYTE_0 src1_sel:DWORD
	s_andn2_b64 s[4:5], s[4:5], exec
	s_and_b64 s[8:9], s[8:9], exec
	s_or_b64 s[4:5], s[4:5], s[8:9]
	s_or_b64 exec, exec, s[6:7]
	s_and_saveexec_b64 s[6:7], s[4:5]
	s_cbranch_execnz .LBB16_419
	s_branch .LBB16_420
.LBB16_2469:
	s_movk_i32 s4, 0x80
	v_cmp_eq_u16_sdwa s[12:13], v3, s4 src0_sel:BYTE_0 src1_sel:DWORD
	s_mov_b64 s[4:5], -1
                                        ; implicit-def: $sgpr10
	s_and_saveexec_b64 s[8:9], s[12:13]
; %bb.2470:
	s_mov_b32 s10, 0x7f800001
	s_xor_b64 s[4:5], exec, -1
; %bb.2471:
	s_or_b64 exec, exec, s[8:9]
	s_and_b64 s[4:5], s[4:5], exec
	s_or_saveexec_b64 s[6:7], s[6:7]
	v_mov_b32_e32 v6, s10
	s_xor_b64 exec, exec, s[6:7]
	s_cbranch_execz .LBB16_422
.LBB16_2472:
	v_mov_b32_e32 v6, 0
	v_cmp_ne_u16_sdwa s[8:9], v3, v6 src0_sel:BYTE_0 src1_sel:DWORD
	s_andn2_b64 s[4:5], s[4:5], exec
	s_and_b64 s[8:9], s[8:9], exec
	s_or_b64 s[4:5], s[4:5], s[8:9]
	s_or_b64 exec, exec, s[6:7]
	s_and_saveexec_b64 s[6:7], s[4:5]
	s_cbranch_execnz .LBB16_423
	s_branch .LBB16_424
.LBB16_2473:
	s_movk_i32 s4, 0x80
	v_cmp_eq_u16_sdwa s[12:13], v6, s4 src0_sel:BYTE_0 src1_sel:DWORD
	s_mov_b64 s[4:5], -1
                                        ; implicit-def: $sgpr10
	s_and_saveexec_b64 s[8:9], s[12:13]
; %bb.2474:
	s_mov_b32 s10, 0x7f800001
	s_xor_b64 s[4:5], exec, -1
; %bb.2475:
	s_or_b64 exec, exec, s[8:9]
	s_and_b64 s[4:5], s[4:5], exec
	s_or_saveexec_b64 s[6:7], s[6:7]
	v_mov_b32_e32 v2, s10
	s_xor_b64 exec, exec, s[6:7]
	s_cbranch_execz .LBB16_426
.LBB16_2476:
	v_mov_b32_e32 v2, 0
	v_cmp_ne_u16_sdwa s[8:9], v6, v2 src0_sel:BYTE_0 src1_sel:DWORD
	s_andn2_b64 s[4:5], s[4:5], exec
	s_and_b64 s[8:9], s[8:9], exec
	s_or_b64 s[4:5], s[4:5], s[8:9]
	s_or_b64 exec, exec, s[6:7]
	s_and_saveexec_b64 s[6:7], s[4:5]
	s_cbranch_execnz .LBB16_427
	s_branch .LBB16_428
.LBB16_2477:
	s_movk_i32 s4, 0x80
	v_cmp_eq_u16_sdwa s[12:13], v6, s4 src0_sel:BYTE_0 src1_sel:DWORD
	s_mov_b64 s[4:5], -1
                                        ; implicit-def: $sgpr10
	s_and_saveexec_b64 s[8:9], s[12:13]
; %bb.2478:
	s_mov_b32 s10, 0x7f800001
	s_xor_b64 s[4:5], exec, -1
; %bb.2479:
	s_or_b64 exec, exec, s[8:9]
	s_and_b64 s[4:5], s[4:5], exec
	s_or_saveexec_b64 s[6:7], s[6:7]
	v_mov_b32_e32 v10, s10
	s_xor_b64 exec, exec, s[6:7]
	s_cbranch_execz .LBB16_430
.LBB16_2480:
	v_mov_b32_e32 v10, 0
	v_cmp_ne_u16_sdwa s[8:9], v6, v10 src0_sel:BYTE_0 src1_sel:DWORD
	s_andn2_b64 s[4:5], s[4:5], exec
	s_and_b64 s[8:9], s[8:9], exec
	s_or_b64 s[4:5], s[4:5], s[8:9]
	s_or_b64 exec, exec, s[6:7]
	s_and_saveexec_b64 s[6:7], s[4:5]
	s_cbranch_execnz .LBB16_431
	s_branch .LBB16_432
.LBB16_2481:
	s_movk_i32 s4, 0x80
	v_cmp_eq_u16_e32 vcc, s4, v6
	s_mov_b64 s[4:5], -1
                                        ; implicit-def: $sgpr10
	s_and_saveexec_b64 s[8:9], vcc
; %bb.2482:
	s_mov_b32 s10, 0x7f800001
	s_xor_b64 s[4:5], exec, -1
; %bb.2483:
	s_or_b64 exec, exec, s[8:9]
	s_and_b64 s[4:5], s[4:5], exec
                                        ; implicit-def: $vgpr6
	s_or_saveexec_b64 s[6:7], s[6:7]
	v_mov_b32_e32 v2, s10
	s_xor_b64 exec, exec, s[6:7]
	s_cbranch_execz .LBB16_434
.LBB16_2484:
	v_cmp_ne_u16_e32 vcc, 0, v6
	s_andn2_b64 s[4:5], s[4:5], exec
	s_and_b64 s[8:9], vcc, exec
	v_mov_b32_e32 v2, 0
	s_or_b64 s[4:5], s[4:5], s[8:9]
	s_or_b64 exec, exec, s[6:7]
	s_and_saveexec_b64 s[6:7], s[4:5]
	s_cbranch_execnz .LBB16_435
	s_branch .LBB16_436
.LBB16_2485:
	s_movk_i32 s4, 0x80
	v_cmp_eq_u16_e32 vcc, s4, v6
	s_mov_b64 s[4:5], -1
                                        ; implicit-def: $sgpr10
	s_and_saveexec_b64 s[8:9], vcc
; %bb.2486:
	s_mov_b32 s10, 0x7f800001
	s_xor_b64 s[4:5], exec, -1
; %bb.2487:
	s_or_b64 exec, exec, s[8:9]
	s_and_b64 s[4:5], s[4:5], exec
                                        ; implicit-def: $vgpr6
	s_or_saveexec_b64 s[6:7], s[6:7]
	v_mov_b32_e32 v10, s10
	s_xor_b64 exec, exec, s[6:7]
	s_cbranch_execz .LBB16_438
.LBB16_2488:
	v_cmp_ne_u16_e32 vcc, 0, v6
	s_andn2_b64 s[4:5], s[4:5], exec
	s_and_b64 s[8:9], vcc, exec
	v_mov_b32_e32 v10, 0
	s_or_b64 s[4:5], s[4:5], s[8:9]
	s_or_b64 exec, exec, s[6:7]
	s_and_saveexec_b64 s[6:7], s[4:5]
	s_cbranch_execnz .LBB16_439
	s_branch .LBB16_440
.LBB16_2489:
	s_movk_i32 s4, 0x80
	v_cmp_eq_u16_sdwa s[12:13], v7, s4 src0_sel:BYTE_3 src1_sel:DWORD
	s_mov_b64 s[4:5], -1
                                        ; implicit-def: $sgpr10
	s_and_saveexec_b64 s[8:9], s[12:13]
; %bb.2490:
	s_mov_b32 s10, 0x7f800001
	s_xor_b64 s[4:5], exec, -1
; %bb.2491:
	s_or_b64 exec, exec, s[8:9]
	s_and_b64 s[4:5], s[4:5], exec
	s_or_saveexec_b64 s[6:7], s[6:7]
	v_mov_b32_e32 v2, s10
	s_xor_b64 exec, exec, s[6:7]
	s_cbranch_execz .LBB16_442
.LBB16_2492:
	v_mov_b32_e32 v2, 0
	v_cmp_ne_u16_sdwa s[8:9], v7, v2 src0_sel:BYTE_3 src1_sel:DWORD
	s_andn2_b64 s[4:5], s[4:5], exec
	s_and_b64 s[8:9], s[8:9], exec
	s_or_b64 s[4:5], s[4:5], s[8:9]
	s_or_b64 exec, exec, s[6:7]
	s_and_saveexec_b64 s[6:7], s[4:5]
	s_cbranch_execnz .LBB16_443
	s_branch .LBB16_444
.LBB16_2493:
	s_movk_i32 s4, 0x80
	v_cmp_eq_u16_sdwa s[12:13], v3, s4 src0_sel:BYTE_3 src1_sel:DWORD
	s_mov_b64 s[4:5], -1
                                        ; implicit-def: $sgpr10
	s_and_saveexec_b64 s[8:9], s[12:13]
; %bb.2494:
	s_mov_b32 s10, 0x7f800001
	s_xor_b64 s[4:5], exec, -1
; %bb.2495:
	s_or_b64 exec, exec, s[8:9]
	s_and_b64 s[4:5], s[4:5], exec
	s_or_saveexec_b64 s[6:7], s[6:7]
	v_mov_b32_e32 v6, s10
	s_xor_b64 exec, exec, s[6:7]
	s_cbranch_execz .LBB16_446
.LBB16_2496:
	v_mov_b32_e32 v6, 0
	v_cmp_ne_u16_sdwa s[8:9], v3, v6 src0_sel:BYTE_3 src1_sel:DWORD
	s_andn2_b64 s[4:5], s[4:5], exec
	s_and_b64 s[8:9], s[8:9], exec
	s_or_b64 s[4:5], s[4:5], s[8:9]
	s_or_b64 exec, exec, s[6:7]
	s_and_saveexec_b64 s[6:7], s[4:5]
	s_cbranch_execnz .LBB16_447
	s_branch .LBB16_448
.LBB16_2497:
	s_movk_i32 s4, 0x80
	v_cmp_eq_u16_sdwa s[12:13], v8, s4 src0_sel:BYTE_0 src1_sel:DWORD
	s_mov_b64 s[4:5], -1
                                        ; implicit-def: $sgpr10
	s_and_saveexec_b64 s[8:9], s[12:13]
; %bb.2498:
	s_mov_b32 s10, 0x7f800001
	s_xor_b64 s[4:5], exec, -1
; %bb.2499:
	s_or_b64 exec, exec, s[8:9]
	s_and_b64 s[4:5], s[4:5], exec
	s_or_saveexec_b64 s[6:7], s[6:7]
	v_mov_b32_e32 v2, s10
	s_xor_b64 exec, exec, s[6:7]
	s_cbranch_execz .LBB16_450
.LBB16_2500:
	v_mov_b32_e32 v2, 0
	v_cmp_ne_u16_sdwa s[8:9], v8, v2 src0_sel:BYTE_0 src1_sel:DWORD
	s_andn2_b64 s[4:5], s[4:5], exec
	s_and_b64 s[8:9], s[8:9], exec
	s_or_b64 s[4:5], s[4:5], s[8:9]
	s_or_b64 exec, exec, s[6:7]
	s_and_saveexec_b64 s[6:7], s[4:5]
	s_cbranch_execnz .LBB16_451
	s_branch .LBB16_452
.LBB16_2501:
	s_movk_i32 s4, 0x80
	v_cmp_eq_u16_sdwa s[12:13], v4, s4 src0_sel:BYTE_0 src1_sel:DWORD
	s_mov_b64 s[4:5], -1
                                        ; implicit-def: $sgpr10
	s_and_saveexec_b64 s[8:9], s[12:13]
; %bb.2502:
	s_mov_b32 s10, 0x7f800001
	s_xor_b64 s[4:5], exec, -1
; %bb.2503:
	s_or_b64 exec, exec, s[8:9]
	s_and_b64 s[4:5], s[4:5], exec
	s_or_saveexec_b64 s[6:7], s[6:7]
	v_mov_b32_e32 v3, s10
	s_xor_b64 exec, exec, s[6:7]
	s_cbranch_execz .LBB16_454
.LBB16_2504:
	v_mov_b32_e32 v3, 0
	v_cmp_ne_u16_sdwa s[8:9], v4, v3 src0_sel:BYTE_0 src1_sel:DWORD
	s_andn2_b64 s[4:5], s[4:5], exec
	s_and_b64 s[8:9], s[8:9], exec
	s_or_b64 s[4:5], s[4:5], s[8:9]
	s_or_b64 exec, exec, s[6:7]
	s_and_saveexec_b64 s[6:7], s[4:5]
	s_cbranch_execnz .LBB16_455
	s_branch .LBB16_456
.LBB16_2505:
	s_movk_i32 s4, 0x80
	v_cmp_eq_u16_sdwa s[12:13], v3, s4 src0_sel:BYTE_0 src1_sel:DWORD
	s_mov_b64 s[4:5], -1
                                        ; implicit-def: $sgpr10
	s_and_saveexec_b64 s[8:9], s[12:13]
; %bb.2506:
	s_mov_b32 s10, 0x7f800001
	s_xor_b64 s[4:5], exec, -1
; %bb.2507:
	s_or_b64 exec, exec, s[8:9]
	s_and_b64 s[4:5], s[4:5], exec
	s_or_saveexec_b64 s[6:7], s[6:7]
	v_mov_b32_e32 v2, s10
	s_xor_b64 exec, exec, s[6:7]
	s_cbranch_execz .LBB16_458
.LBB16_2508:
	v_mov_b32_e32 v2, 0
	v_cmp_ne_u16_sdwa s[8:9], v3, v2 src0_sel:BYTE_0 src1_sel:DWORD
	s_andn2_b64 s[4:5], s[4:5], exec
	s_and_b64 s[8:9], s[8:9], exec
	s_or_b64 s[4:5], s[4:5], s[8:9]
	s_or_b64 exec, exec, s[6:7]
	s_and_saveexec_b64 s[6:7], s[4:5]
	s_cbranch_execnz .LBB16_459
	s_branch .LBB16_460
.LBB16_2509:
	s_movk_i32 s4, 0x80
	v_cmp_eq_u16_sdwa s[12:13], v3, s4 src0_sel:BYTE_0 src1_sel:DWORD
	s_mov_b64 s[4:5], -1
                                        ; implicit-def: $sgpr10
	s_and_saveexec_b64 s[8:9], s[12:13]
; %bb.2510:
	s_mov_b32 s10, 0x7f800001
	s_xor_b64 s[4:5], exec, -1
; %bb.2511:
	s_or_b64 exec, exec, s[8:9]
	s_and_b64 s[4:5], s[4:5], exec
	s_or_saveexec_b64 s[6:7], s[6:7]
	v_mov_b32_e32 v6, s10
	s_xor_b64 exec, exec, s[6:7]
	s_cbranch_execz .LBB16_462
.LBB16_2512:
	v_mov_b32_e32 v6, 0
	v_cmp_ne_u16_sdwa s[8:9], v3, v6 src0_sel:BYTE_0 src1_sel:DWORD
	s_andn2_b64 s[4:5], s[4:5], exec
	s_and_b64 s[8:9], s[8:9], exec
	s_or_b64 s[4:5], s[4:5], s[8:9]
	s_or_b64 exec, exec, s[6:7]
	s_and_saveexec_b64 s[6:7], s[4:5]
	s_cbranch_execnz .LBB16_463
	s_branch .LBB16_464
.LBB16_2513:
	s_movk_i32 s4, 0x80
	v_cmp_eq_u16_e32 vcc, s4, v3
	s_mov_b64 s[4:5], -1
                                        ; implicit-def: $sgpr10
	s_and_saveexec_b64 s[8:9], vcc
; %bb.2514:
	s_mov_b32 s10, 0x7f800001
	s_xor_b64 s[4:5], exec, -1
; %bb.2515:
	s_or_b64 exec, exec, s[8:9]
	s_and_b64 s[4:5], s[4:5], exec
                                        ; implicit-def: $vgpr3
	s_or_saveexec_b64 s[6:7], s[6:7]
	v_mov_b32_e32 v2, s10
	s_xor_b64 exec, exec, s[6:7]
	s_cbranch_execz .LBB16_466
.LBB16_2516:
	v_cmp_ne_u16_e32 vcc, 0, v3
	s_andn2_b64 s[4:5], s[4:5], exec
	s_and_b64 s[8:9], vcc, exec
	v_mov_b32_e32 v2, 0
	s_or_b64 s[4:5], s[4:5], s[8:9]
	s_or_b64 exec, exec, s[6:7]
	s_and_saveexec_b64 s[6:7], s[4:5]
	s_cbranch_execnz .LBB16_467
	s_branch .LBB16_468
.LBB16_2517:
	s_movk_i32 s4, 0x80
	v_cmp_eq_u16_e32 vcc, s4, v3
	s_mov_b64 s[4:5], -1
                                        ; implicit-def: $sgpr10
	s_and_saveexec_b64 s[8:9], vcc
; %bb.2518:
	s_mov_b32 s10, 0x7f800001
	s_xor_b64 s[4:5], exec, -1
; %bb.2519:
	s_or_b64 exec, exec, s[8:9]
	s_and_b64 s[4:5], s[4:5], exec
                                        ; implicit-def: $vgpr3
	s_or_saveexec_b64 s[6:7], s[6:7]
	v_mov_b32_e32 v6, s10
	s_xor_b64 exec, exec, s[6:7]
	s_cbranch_execz .LBB16_470
.LBB16_2520:
	v_cmp_ne_u16_e32 vcc, 0, v3
	s_andn2_b64 s[4:5], s[4:5], exec
	s_and_b64 s[8:9], vcc, exec
	v_mov_b32_e32 v6, 0
	s_or_b64 s[4:5], s[4:5], s[8:9]
	s_or_b64 exec, exec, s[6:7]
	s_and_saveexec_b64 s[6:7], s[4:5]
	s_cbranch_execnz .LBB16_471
	s_branch .LBB16_472
.LBB16_2521:
	s_movk_i32 s4, 0x80
	v_cmp_eq_u16_sdwa s[12:13], v8, s4 src0_sel:BYTE_3 src1_sel:DWORD
	s_mov_b64 s[4:5], -1
                                        ; implicit-def: $sgpr10
	s_and_saveexec_b64 s[8:9], s[12:13]
; %bb.2522:
	s_mov_b32 s10, 0x7f800001
	s_xor_b64 s[4:5], exec, -1
; %bb.2523:
	s_or_b64 exec, exec, s[8:9]
	s_and_b64 s[4:5], s[4:5], exec
	s_or_saveexec_b64 s[6:7], s[6:7]
	v_mov_b32_e32 v2, s10
	s_xor_b64 exec, exec, s[6:7]
	s_cbranch_execz .LBB16_474
.LBB16_2524:
	v_mov_b32_e32 v2, 0
	v_cmp_ne_u16_sdwa s[8:9], v8, v2 src0_sel:BYTE_3 src1_sel:DWORD
	s_andn2_b64 s[4:5], s[4:5], exec
	s_and_b64 s[8:9], s[8:9], exec
	s_or_b64 s[4:5], s[4:5], s[8:9]
	s_or_b64 exec, exec, s[6:7]
	s_and_saveexec_b64 s[6:7], s[4:5]
	s_cbranch_execnz .LBB16_475
	s_branch .LBB16_476
.LBB16_2525:
	s_movk_i32 s4, 0x80
	v_cmp_eq_u16_sdwa s[12:13], v4, s4 src0_sel:BYTE_3 src1_sel:DWORD
	s_mov_b64 s[4:5], -1
                                        ; implicit-def: $sgpr10
	s_and_saveexec_b64 s[8:9], s[12:13]
; %bb.2526:
	s_mov_b32 s10, 0x7f800001
	s_xor_b64 s[4:5], exec, -1
; %bb.2527:
	s_or_b64 exec, exec, s[8:9]
	s_and_b64 s[4:5], s[4:5], exec
	s_or_saveexec_b64 s[6:7], s[6:7]
	v_mov_b32_e32 v3, s10
	s_xor_b64 exec, exec, s[6:7]
	s_cbranch_execz .LBB16_478
.LBB16_2528:
	v_mov_b32_e32 v3, 0
	v_cmp_ne_u16_sdwa s[8:9], v4, v3 src0_sel:BYTE_3 src1_sel:DWORD
	s_andn2_b64 s[4:5], s[4:5], exec
	s_and_b64 s[8:9], s[8:9], exec
	s_or_b64 s[4:5], s[4:5], s[8:9]
	s_or_b64 exec, exec, s[6:7]
	s_and_saveexec_b64 s[6:7], s[4:5]
	s_cbranch_execnz .LBB16_479
	s_branch .LBB16_480
.LBB16_2529:
	s_movk_i32 s4, 0x80
	v_cmp_eq_u16_sdwa s[12:13], v9, s4 src0_sel:BYTE_0 src1_sel:DWORD
	s_mov_b64 s[4:5], -1
                                        ; implicit-def: $sgpr10
	s_and_saveexec_b64 s[8:9], s[12:13]
; %bb.2530:
	s_mov_b32 s10, 0x7f800001
	s_xor_b64 s[4:5], exec, -1
; %bb.2531:
	s_or_b64 exec, exec, s[8:9]
	s_and_b64 s[4:5], s[4:5], exec
	s_or_saveexec_b64 s[6:7], s[6:7]
	v_mov_b32_e32 v2, s10
	s_xor_b64 exec, exec, s[6:7]
	s_cbranch_execz .LBB16_482
.LBB16_2532:
	v_mov_b32_e32 v2, 0
	v_cmp_ne_u16_sdwa s[8:9], v9, v2 src0_sel:BYTE_0 src1_sel:DWORD
	s_andn2_b64 s[4:5], s[4:5], exec
	s_and_b64 s[8:9], s[8:9], exec
	s_or_b64 s[4:5], s[4:5], s[8:9]
	s_or_b64 exec, exec, s[6:7]
	s_and_saveexec_b64 s[6:7], s[4:5]
	s_cbranch_execnz .LBB16_483
	s_branch .LBB16_484
.LBB16_2533:
	s_movk_i32 s4, 0x80
	v_cmp_eq_u16_sdwa s[12:13], v5, s4 src0_sel:BYTE_0 src1_sel:DWORD
	s_mov_b64 s[4:5], -1
                                        ; implicit-def: $sgpr10
	s_and_saveexec_b64 s[8:9], s[12:13]
; %bb.2534:
	s_mov_b32 s10, 0x7f800001
	s_xor_b64 s[4:5], exec, -1
; %bb.2535:
	s_or_b64 exec, exec, s[8:9]
	s_and_b64 s[4:5], s[4:5], exec
	s_or_saveexec_b64 s[6:7], s[6:7]
	v_mov_b32_e32 v3, s10
	s_xor_b64 exec, exec, s[6:7]
	s_cbranch_execz .LBB16_486
.LBB16_2536:
	v_mov_b32_e32 v3, 0
	v_cmp_ne_u16_sdwa s[8:9], v5, v3 src0_sel:BYTE_0 src1_sel:DWORD
	s_andn2_b64 s[4:5], s[4:5], exec
	s_and_b64 s[8:9], s[8:9], exec
	s_or_b64 s[4:5], s[4:5], s[8:9]
	s_or_b64 exec, exec, s[6:7]
	s_and_saveexec_b64 s[6:7], s[4:5]
	s_cbranch_execnz .LBB16_487
	s_branch .LBB16_488
.LBB16_2537:
	s_movk_i32 s4, 0x80
	v_cmp_eq_u16_sdwa s[12:13], v3, s4 src0_sel:BYTE_0 src1_sel:DWORD
	s_mov_b64 s[4:5], -1
                                        ; implicit-def: $sgpr10
	s_and_saveexec_b64 s[8:9], s[12:13]
; %bb.2538:
	s_mov_b32 s10, 0x7f800001
	s_xor_b64 s[4:5], exec, -1
; %bb.2539:
	s_or_b64 exec, exec, s[8:9]
	s_and_b64 s[4:5], s[4:5], exec
	s_or_saveexec_b64 s[6:7], s[6:7]
	v_mov_b32_e32 v2, s10
	s_xor_b64 exec, exec, s[6:7]
	s_cbranch_execz .LBB16_490
.LBB16_2540:
	v_mov_b32_e32 v2, 0
	v_cmp_ne_u16_sdwa s[8:9], v3, v2 src0_sel:BYTE_0 src1_sel:DWORD
	s_andn2_b64 s[4:5], s[4:5], exec
	s_and_b64 s[8:9], s[8:9], exec
	s_or_b64 s[4:5], s[4:5], s[8:9]
	s_or_b64 exec, exec, s[6:7]
	s_and_saveexec_b64 s[6:7], s[4:5]
	s_cbranch_execnz .LBB16_491
	s_branch .LBB16_492
.LBB16_2541:
	s_movk_i32 s4, 0x80
	v_cmp_eq_u16_sdwa s[12:13], v3, s4 src0_sel:BYTE_0 src1_sel:DWORD
	s_mov_b64 s[4:5], -1
                                        ; implicit-def: $sgpr10
	s_and_saveexec_b64 s[8:9], s[12:13]
; %bb.2542:
	s_mov_b32 s10, 0x7f800001
	s_xor_b64 s[4:5], exec, -1
; %bb.2543:
	s_or_b64 exec, exec, s[8:9]
	s_and_b64 s[4:5], s[4:5], exec
	s_or_saveexec_b64 s[6:7], s[6:7]
	v_mov_b32_e32 v4, s10
	s_xor_b64 exec, exec, s[6:7]
	s_cbranch_execz .LBB16_494
.LBB16_2544:
	v_mov_b32_e32 v4, 0
	v_cmp_ne_u16_sdwa s[8:9], v3, v4 src0_sel:BYTE_0 src1_sel:DWORD
	s_andn2_b64 s[4:5], s[4:5], exec
	s_and_b64 s[8:9], s[8:9], exec
	s_or_b64 s[4:5], s[4:5], s[8:9]
	s_or_b64 exec, exec, s[6:7]
	s_and_saveexec_b64 s[6:7], s[4:5]
	s_cbranch_execnz .LBB16_495
	s_branch .LBB16_496
.LBB16_2545:
	s_movk_i32 s4, 0x80
	v_cmp_eq_u16_e32 vcc, s4, v3
	s_mov_b64 s[4:5], -1
                                        ; implicit-def: $sgpr10
	s_and_saveexec_b64 s[8:9], vcc
; %bb.2546:
	s_mov_b32 s10, 0x7f800001
	s_xor_b64 s[4:5], exec, -1
; %bb.2547:
	s_or_b64 exec, exec, s[8:9]
	s_and_b64 s[4:5], s[4:5], exec
                                        ; implicit-def: $vgpr3
	s_or_saveexec_b64 s[6:7], s[6:7]
	v_mov_b32_e32 v2, s10
	s_xor_b64 exec, exec, s[6:7]
	s_cbranch_execz .LBB16_498
.LBB16_2548:
	v_cmp_ne_u16_e32 vcc, 0, v3
	s_andn2_b64 s[4:5], s[4:5], exec
	s_and_b64 s[8:9], vcc, exec
	v_mov_b32_e32 v2, 0
	s_or_b64 s[4:5], s[4:5], s[8:9]
	s_or_b64 exec, exec, s[6:7]
	s_and_saveexec_b64 s[6:7], s[4:5]
	s_cbranch_execnz .LBB16_499
	s_branch .LBB16_500
.LBB16_2549:
	s_movk_i32 s4, 0x80
	v_cmp_eq_u16_e32 vcc, s4, v3
	s_mov_b64 s[4:5], -1
                                        ; implicit-def: $sgpr10
	s_and_saveexec_b64 s[8:9], vcc
; %bb.2550:
	s_mov_b32 s10, 0x7f800001
	s_xor_b64 s[4:5], exec, -1
; %bb.2551:
	s_or_b64 exec, exec, s[8:9]
	s_and_b64 s[4:5], s[4:5], exec
                                        ; implicit-def: $vgpr3
	s_or_saveexec_b64 s[6:7], s[6:7]
	v_mov_b32_e32 v4, s10
	s_xor_b64 exec, exec, s[6:7]
	s_cbranch_execz .LBB16_502
.LBB16_2552:
	v_cmp_ne_u16_e32 vcc, 0, v3
	s_andn2_b64 s[4:5], s[4:5], exec
	s_and_b64 s[8:9], vcc, exec
	v_mov_b32_e32 v4, 0
	s_or_b64 s[4:5], s[4:5], s[8:9]
	s_or_b64 exec, exec, s[6:7]
	s_and_saveexec_b64 s[6:7], s[4:5]
	s_cbranch_execnz .LBB16_503
	s_branch .LBB16_504
.LBB16_2553:
	s_movk_i32 s4, 0x80
	v_cmp_eq_u16_sdwa s[12:13], v9, s4 src0_sel:BYTE_3 src1_sel:DWORD
	s_mov_b64 s[4:5], -1
                                        ; implicit-def: $sgpr10
	s_and_saveexec_b64 s[8:9], s[12:13]
; %bb.2554:
	s_mov_b32 s10, 0x7f800001
	s_xor_b64 s[4:5], exec, -1
; %bb.2555:
	s_or_b64 exec, exec, s[8:9]
	s_and_b64 s[4:5], s[4:5], exec
	s_or_saveexec_b64 s[6:7], s[6:7]
	v_mov_b32_e32 v2, s10
	s_xor_b64 exec, exec, s[6:7]
	s_cbranch_execz .LBB16_506
.LBB16_2556:
	v_mov_b32_e32 v2, 0
	v_cmp_ne_u16_sdwa s[8:9], v9, v2 src0_sel:BYTE_3 src1_sel:DWORD
	s_andn2_b64 s[4:5], s[4:5], exec
	s_and_b64 s[8:9], s[8:9], exec
	s_or_b64 s[4:5], s[4:5], s[8:9]
	s_or_b64 exec, exec, s[6:7]
	s_and_saveexec_b64 s[6:7], s[4:5]
	s_cbranch_execnz .LBB16_507
	s_branch .LBB16_508
.LBB16_2557:
	s_movk_i32 s4, 0x80
	v_cmp_eq_u16_sdwa s[12:13], v5, s4 src0_sel:BYTE_3 src1_sel:DWORD
	s_mov_b64 s[4:5], -1
                                        ; implicit-def: $sgpr10
	s_and_saveexec_b64 s[8:9], s[12:13]
; %bb.2558:
	s_mov_b32 s10, 0x7f800001
	s_xor_b64 s[4:5], exec, -1
; %bb.2559:
	s_or_b64 exec, exec, s[8:9]
	s_and_b64 s[4:5], s[4:5], exec
	s_or_saveexec_b64 s[6:7], s[6:7]
	v_mov_b32_e32 v3, s10
	s_xor_b64 exec, exec, s[6:7]
	s_cbranch_execz .LBB16_510
.LBB16_2560:
	v_mov_b32_e32 v3, 0
	v_cmp_ne_u16_sdwa s[8:9], v5, v3 src0_sel:BYTE_3 src1_sel:DWORD
	s_andn2_b64 s[4:5], s[4:5], exec
	s_and_b64 s[8:9], s[8:9], exec
	s_or_b64 s[4:5], s[4:5], s[8:9]
	s_or_b64 exec, exec, s[6:7]
	s_and_saveexec_b64 s[6:7], s[4:5]
	s_cbranch_execnz .LBB16_511
	s_branch .LBB16_512
.LBB16_2561:
	s_movk_i32 s4, 0x80
	v_cmp_eq_u16_sdwa s[12:13], v14, s4 src0_sel:BYTE_0 src1_sel:DWORD
	s_mov_b64 s[4:5], -1
                                        ; implicit-def: $sgpr10
	s_and_saveexec_b64 s[8:9], s[12:13]
; %bb.2562:
	s_mov_b32 s10, 0x7f800001
	s_xor_b64 s[4:5], exec, -1
; %bb.2563:
	s_or_b64 exec, exec, s[8:9]
	s_and_b64 s[4:5], s[4:5], exec
	s_or_saveexec_b64 s[6:7], s[6:7]
	v_mov_b32_e32 v20, s10
	s_xor_b64 exec, exec, s[6:7]
	s_cbranch_execz .LBB16_514
.LBB16_2564:
	v_mov_b32_e32 v20, 0
	v_cmp_ne_u16_sdwa s[8:9], v14, v20 src0_sel:BYTE_0 src1_sel:DWORD
	s_andn2_b64 s[4:5], s[4:5], exec
	s_and_b64 s[8:9], s[8:9], exec
	s_or_b64 s[4:5], s[4:5], s[8:9]
	s_or_b64 exec, exec, s[6:7]
	s_and_saveexec_b64 s[6:7], s[4:5]
	s_cbranch_execnz .LBB16_515
	s_branch .LBB16_516
.LBB16_2565:
	s_movk_i32 s4, 0x80
	v_cmp_eq_u16_sdwa s[12:13], v10, s4 src0_sel:BYTE_0 src1_sel:DWORD
	s_mov_b64 s[4:5], -1
                                        ; implicit-def: $sgpr10
	s_and_saveexec_b64 s[8:9], s[12:13]
; %bb.2566:
	s_mov_b32 s10, 0x7f800001
	s_xor_b64 s[4:5], exec, -1
; %bb.2567:
	s_or_b64 exec, exec, s[8:9]
	s_and_b64 s[4:5], s[4:5], exec
	s_or_saveexec_b64 s[6:7], s[6:7]
	v_mov_b32_e32 v21, s10
	s_xor_b64 exec, exec, s[6:7]
	s_cbranch_execz .LBB16_518
.LBB16_2568:
	v_mov_b32_e32 v21, 0
	v_cmp_ne_u16_sdwa s[8:9], v10, v21 src0_sel:BYTE_0 src1_sel:DWORD
	s_andn2_b64 s[4:5], s[4:5], exec
	s_and_b64 s[8:9], s[8:9], exec
	s_or_b64 s[4:5], s[4:5], s[8:9]
	s_or_b64 exec, exec, s[6:7]
	s_and_saveexec_b64 s[6:7], s[4:5]
	s_cbranch_execnz .LBB16_519
	s_branch .LBB16_520
.LBB16_2569:
	s_movk_i32 s4, 0x80
	v_cmp_eq_u16_sdwa s[12:13], v21, s4 src0_sel:BYTE_0 src1_sel:DWORD
	s_mov_b64 s[4:5], -1
                                        ; implicit-def: $sgpr10
	s_and_saveexec_b64 s[8:9], s[12:13]
; %bb.2570:
	s_mov_b32 s10, 0x7f800001
	s_xor_b64 s[4:5], exec, -1
; %bb.2571:
	s_or_b64 exec, exec, s[8:9]
	s_and_b64 s[4:5], s[4:5], exec
	s_or_saveexec_b64 s[6:7], s[6:7]
	v_mov_b32_e32 v20, s10
	s_xor_b64 exec, exec, s[6:7]
	s_cbranch_execz .LBB16_522
.LBB16_2572:
	v_mov_b32_e32 v20, 0
	v_cmp_ne_u16_sdwa s[8:9], v21, v20 src0_sel:BYTE_0 src1_sel:DWORD
	s_andn2_b64 s[4:5], s[4:5], exec
	s_and_b64 s[8:9], s[8:9], exec
	s_or_b64 s[4:5], s[4:5], s[8:9]
	s_or_b64 exec, exec, s[6:7]
	s_and_saveexec_b64 s[6:7], s[4:5]
	s_cbranch_execnz .LBB16_523
	s_branch .LBB16_524
.LBB16_2573:
	s_movk_i32 s4, 0x80
	v_cmp_eq_u16_sdwa s[12:13], v21, s4 src0_sel:BYTE_0 src1_sel:DWORD
	s_mov_b64 s[4:5], -1
                                        ; implicit-def: $sgpr10
	s_and_saveexec_b64 s[8:9], s[12:13]
; %bb.2574:
	s_mov_b32 s10, 0x7f800001
	s_xor_b64 s[4:5], exec, -1
; %bb.2575:
	s_or_b64 exec, exec, s[8:9]
	s_and_b64 s[4:5], s[4:5], exec
	s_or_saveexec_b64 s[6:7], s[6:7]
	v_mov_b32_e32 v22, s10
	s_xor_b64 exec, exec, s[6:7]
	s_cbranch_execz .LBB16_526
.LBB16_2576:
	v_mov_b32_e32 v22, 0
	v_cmp_ne_u16_sdwa s[8:9], v21, v22 src0_sel:BYTE_0 src1_sel:DWORD
	s_andn2_b64 s[4:5], s[4:5], exec
	s_and_b64 s[8:9], s[8:9], exec
	s_or_b64 s[4:5], s[4:5], s[8:9]
	s_or_b64 exec, exec, s[6:7]
	s_and_saveexec_b64 s[6:7], s[4:5]
	s_cbranch_execnz .LBB16_527
	s_branch .LBB16_528
.LBB16_2577:
	s_movk_i32 s4, 0x80
	v_cmp_eq_u16_e32 vcc, s4, v21
	s_mov_b64 s[4:5], -1
                                        ; implicit-def: $sgpr10
	s_and_saveexec_b64 s[8:9], vcc
; %bb.2578:
	s_mov_b32 s10, 0x7f800001
	s_xor_b64 s[4:5], exec, -1
; %bb.2579:
	s_or_b64 exec, exec, s[8:9]
	s_and_b64 s[4:5], s[4:5], exec
                                        ; implicit-def: $vgpr21
	s_or_saveexec_b64 s[6:7], s[6:7]
	v_mov_b32_e32 v20, s10
	s_xor_b64 exec, exec, s[6:7]
	s_cbranch_execz .LBB16_530
.LBB16_2580:
	v_cmp_ne_u16_e32 vcc, 0, v21
	s_andn2_b64 s[4:5], s[4:5], exec
	s_and_b64 s[8:9], vcc, exec
	v_mov_b32_e32 v20, 0
	s_or_b64 s[4:5], s[4:5], s[8:9]
	s_or_b64 exec, exec, s[6:7]
	s_and_saveexec_b64 s[6:7], s[4:5]
	s_cbranch_execnz .LBB16_531
	s_branch .LBB16_532
.LBB16_2581:
	s_movk_i32 s4, 0x80
	v_cmp_eq_u16_e32 vcc, s4, v21
	s_mov_b64 s[4:5], -1
                                        ; implicit-def: $sgpr10
	s_and_saveexec_b64 s[8:9], vcc
; %bb.2582:
	s_mov_b32 s10, 0x7f800001
	s_xor_b64 s[4:5], exec, -1
; %bb.2583:
	s_or_b64 exec, exec, s[8:9]
	s_and_b64 s[4:5], s[4:5], exec
                                        ; implicit-def: $vgpr21
	s_or_saveexec_b64 s[6:7], s[6:7]
	v_mov_b32_e32 v22, s10
	s_xor_b64 exec, exec, s[6:7]
	s_cbranch_execz .LBB16_534
.LBB16_2584:
	v_cmp_ne_u16_e32 vcc, 0, v21
	s_andn2_b64 s[4:5], s[4:5], exec
	s_and_b64 s[8:9], vcc, exec
	v_mov_b32_e32 v22, 0
	s_or_b64 s[4:5], s[4:5], s[8:9]
	s_or_b64 exec, exec, s[6:7]
	s_and_saveexec_b64 s[6:7], s[4:5]
	s_cbranch_execnz .LBB16_535
	s_branch .LBB16_536
.LBB16_2585:
	s_movk_i32 s4, 0x80
	v_cmp_eq_u16_sdwa s[12:13], v14, s4 src0_sel:BYTE_3 src1_sel:DWORD
	s_mov_b64 s[4:5], -1
                                        ; implicit-def: $sgpr10
	s_and_saveexec_b64 s[8:9], s[12:13]
; %bb.2586:
	s_mov_b32 s10, 0x7f800001
	s_xor_b64 s[4:5], exec, -1
; %bb.2587:
	s_or_b64 exec, exec, s[8:9]
	s_and_b64 s[4:5], s[4:5], exec
	s_or_saveexec_b64 s[6:7], s[6:7]
	v_mov_b32_e32 v20, s10
	s_xor_b64 exec, exec, s[6:7]
	s_cbranch_execz .LBB16_538
.LBB16_2588:
	v_mov_b32_e32 v20, 0
	v_cmp_ne_u16_sdwa s[8:9], v14, v20 src0_sel:BYTE_3 src1_sel:DWORD
	s_andn2_b64 s[4:5], s[4:5], exec
	s_and_b64 s[8:9], s[8:9], exec
	s_or_b64 s[4:5], s[4:5], s[8:9]
	s_or_b64 exec, exec, s[6:7]
	s_and_saveexec_b64 s[6:7], s[4:5]
	s_cbranch_execnz .LBB16_539
	s_branch .LBB16_540
.LBB16_2589:
	s_movk_i32 s4, 0x80
	v_cmp_eq_u16_sdwa s[12:13], v10, s4 src0_sel:BYTE_3 src1_sel:DWORD
	s_mov_b64 s[4:5], -1
                                        ; implicit-def: $sgpr10
	s_and_saveexec_b64 s[8:9], s[12:13]
; %bb.2590:
	s_mov_b32 s10, 0x7f800001
	s_xor_b64 s[4:5], exec, -1
; %bb.2591:
	s_or_b64 exec, exec, s[8:9]
	s_and_b64 s[4:5], s[4:5], exec
	s_or_saveexec_b64 s[6:7], s[6:7]
	v_mov_b32_e32 v14, s10
	s_xor_b64 exec, exec, s[6:7]
	s_cbranch_execz .LBB16_542
.LBB16_2592:
	v_mov_b32_e32 v14, 0
	v_cmp_ne_u16_sdwa s[8:9], v10, v14 src0_sel:BYTE_3 src1_sel:DWORD
	s_andn2_b64 s[4:5], s[4:5], exec
	s_and_b64 s[8:9], s[8:9], exec
	s_or_b64 s[4:5], s[4:5], s[8:9]
	s_or_b64 exec, exec, s[6:7]
	s_and_saveexec_b64 s[6:7], s[4:5]
	s_cbranch_execnz .LBB16_543
	s_branch .LBB16_544
.LBB16_2593:
	s_movk_i32 s4, 0x80
	v_cmp_eq_u16_sdwa s[12:13], v15, s4 src0_sel:BYTE_0 src1_sel:DWORD
	s_mov_b64 s[4:5], -1
                                        ; implicit-def: $sgpr10
	s_and_saveexec_b64 s[8:9], s[12:13]
; %bb.2594:
	s_mov_b32 s10, 0x7f800001
	s_xor_b64 s[4:5], exec, -1
; %bb.2595:
	s_or_b64 exec, exec, s[8:9]
	s_and_b64 s[4:5], s[4:5], exec
	s_or_saveexec_b64 s[6:7], s[6:7]
	v_mov_b32_e32 v10, s10
	s_xor_b64 exec, exec, s[6:7]
	s_cbranch_execz .LBB16_546
.LBB16_2596:
	v_mov_b32_e32 v10, 0
	v_cmp_ne_u16_sdwa s[8:9], v15, v10 src0_sel:BYTE_0 src1_sel:DWORD
	s_andn2_b64 s[4:5], s[4:5], exec
	s_and_b64 s[8:9], s[8:9], exec
	s_or_b64 s[4:5], s[4:5], s[8:9]
	s_or_b64 exec, exec, s[6:7]
	s_and_saveexec_b64 s[6:7], s[4:5]
	s_cbranch_execnz .LBB16_547
	s_branch .LBB16_548
.LBB16_2597:
	s_movk_i32 s4, 0x80
	v_cmp_eq_u16_sdwa s[12:13], v11, s4 src0_sel:BYTE_0 src1_sel:DWORD
	s_mov_b64 s[4:5], -1
                                        ; implicit-def: $sgpr10
	s_and_saveexec_b64 s[8:9], s[12:13]
; %bb.2598:
	s_mov_b32 s10, 0x7f800001
	s_xor_b64 s[4:5], exec, -1
; %bb.2599:
	s_or_b64 exec, exec, s[8:9]
	s_and_b64 s[4:5], s[4:5], exec
	s_or_saveexec_b64 s[6:7], s[6:7]
	v_mov_b32_e32 v14, s10
	s_xor_b64 exec, exec, s[6:7]
	s_cbranch_execz .LBB16_550
.LBB16_2600:
	v_mov_b32_e32 v14, 0
	v_cmp_ne_u16_sdwa s[8:9], v11, v14 src0_sel:BYTE_0 src1_sel:DWORD
	s_andn2_b64 s[4:5], s[4:5], exec
	s_and_b64 s[8:9], s[8:9], exec
	s_or_b64 s[4:5], s[4:5], s[8:9]
	s_or_b64 exec, exec, s[6:7]
	s_and_saveexec_b64 s[6:7], s[4:5]
	s_cbranch_execnz .LBB16_551
	s_branch .LBB16_552
.LBB16_2601:
	s_movk_i32 s4, 0x80
	v_cmp_eq_u16_sdwa s[12:13], v14, s4 src0_sel:BYTE_0 src1_sel:DWORD
	s_mov_b64 s[4:5], -1
                                        ; implicit-def: $sgpr10
	s_and_saveexec_b64 s[8:9], s[12:13]
; %bb.2602:
	s_mov_b32 s10, 0x7f800001
	s_xor_b64 s[4:5], exec, -1
; %bb.2603:
	s_or_b64 exec, exec, s[8:9]
	s_and_b64 s[4:5], s[4:5], exec
	s_or_saveexec_b64 s[6:7], s[6:7]
	v_mov_b32_e32 v10, s10
	s_xor_b64 exec, exec, s[6:7]
	s_cbranch_execz .LBB16_554
.LBB16_2604:
	v_mov_b32_e32 v10, 0
	v_cmp_ne_u16_sdwa s[8:9], v14, v10 src0_sel:BYTE_0 src1_sel:DWORD
	s_andn2_b64 s[4:5], s[4:5], exec
	s_and_b64 s[8:9], s[8:9], exec
	s_or_b64 s[4:5], s[4:5], s[8:9]
	s_or_b64 exec, exec, s[6:7]
	s_and_saveexec_b64 s[6:7], s[4:5]
	s_cbranch_execnz .LBB16_555
	s_branch .LBB16_556
.LBB16_2605:
	s_movk_i32 s4, 0x80
	v_cmp_eq_u16_sdwa s[12:13], v14, s4 src0_sel:BYTE_0 src1_sel:DWORD
	s_mov_b64 s[4:5], -1
                                        ; implicit-def: $sgpr10
	s_and_saveexec_b64 s[8:9], s[12:13]
; %bb.2606:
	s_mov_b32 s10, 0x7f800001
	s_xor_b64 s[4:5], exec, -1
; %bb.2607:
	s_or_b64 exec, exec, s[8:9]
	s_and_b64 s[4:5], s[4:5], exec
	s_or_saveexec_b64 s[6:7], s[6:7]
	v_mov_b32_e32 v20, s10
	s_xor_b64 exec, exec, s[6:7]
	s_cbranch_execz .LBB16_558
.LBB16_2608:
	v_mov_b32_e32 v20, 0
	v_cmp_ne_u16_sdwa s[8:9], v14, v20 src0_sel:BYTE_0 src1_sel:DWORD
	s_andn2_b64 s[4:5], s[4:5], exec
	s_and_b64 s[8:9], s[8:9], exec
	s_or_b64 s[4:5], s[4:5], s[8:9]
	s_or_b64 exec, exec, s[6:7]
	s_and_saveexec_b64 s[6:7], s[4:5]
	s_cbranch_execnz .LBB16_559
	s_branch .LBB16_560
.LBB16_2609:
	s_movk_i32 s4, 0x80
	v_cmp_eq_u16_e32 vcc, s4, v14
	s_mov_b64 s[4:5], -1
                                        ; implicit-def: $sgpr10
	s_and_saveexec_b64 s[8:9], vcc
; %bb.2610:
	s_mov_b32 s10, 0x7f800001
	s_xor_b64 s[4:5], exec, -1
; %bb.2611:
	s_or_b64 exec, exec, s[8:9]
	s_and_b64 s[4:5], s[4:5], exec
                                        ; implicit-def: $vgpr14
	s_or_saveexec_b64 s[6:7], s[6:7]
	v_mov_b32_e32 v10, s10
	s_xor_b64 exec, exec, s[6:7]
	s_cbranch_execz .LBB16_562
.LBB16_2612:
	v_cmp_ne_u16_e32 vcc, 0, v14
	s_andn2_b64 s[4:5], s[4:5], exec
	s_and_b64 s[8:9], vcc, exec
	v_mov_b32_e32 v10, 0
	s_or_b64 s[4:5], s[4:5], s[8:9]
	s_or_b64 exec, exec, s[6:7]
	s_and_saveexec_b64 s[6:7], s[4:5]
	s_cbranch_execnz .LBB16_563
	s_branch .LBB16_564
.LBB16_2613:
	s_movk_i32 s4, 0x80
	v_cmp_eq_u16_e32 vcc, s4, v14
	s_mov_b64 s[4:5], -1
                                        ; implicit-def: $sgpr10
	s_and_saveexec_b64 s[8:9], vcc
; %bb.2614:
	s_mov_b32 s10, 0x7f800001
	s_xor_b64 s[4:5], exec, -1
; %bb.2615:
	s_or_b64 exec, exec, s[8:9]
	s_and_b64 s[4:5], s[4:5], exec
                                        ; implicit-def: $vgpr14
	s_or_saveexec_b64 s[6:7], s[6:7]
	v_mov_b32_e32 v20, s10
	s_xor_b64 exec, exec, s[6:7]
	s_cbranch_execz .LBB16_566
.LBB16_2616:
	v_cmp_ne_u16_e32 vcc, 0, v14
	s_andn2_b64 s[4:5], s[4:5], exec
	s_and_b64 s[8:9], vcc, exec
	v_mov_b32_e32 v20, 0
	s_or_b64 s[4:5], s[4:5], s[8:9]
	s_or_b64 exec, exec, s[6:7]
	s_and_saveexec_b64 s[6:7], s[4:5]
	s_cbranch_execnz .LBB16_567
	s_branch .LBB16_568
.LBB16_2617:
	s_movk_i32 s4, 0x80
	v_cmp_eq_u16_sdwa s[12:13], v15, s4 src0_sel:BYTE_3 src1_sel:DWORD
	s_mov_b64 s[4:5], -1
                                        ; implicit-def: $sgpr10
	s_and_saveexec_b64 s[8:9], s[12:13]
; %bb.2618:
	s_mov_b32 s10, 0x7f800001
	s_xor_b64 s[4:5], exec, -1
; %bb.2619:
	s_or_b64 exec, exec, s[8:9]
	s_and_b64 s[4:5], s[4:5], exec
	s_or_saveexec_b64 s[6:7], s[6:7]
	v_mov_b32_e32 v10, s10
	s_xor_b64 exec, exec, s[6:7]
	s_cbranch_execz .LBB16_570
.LBB16_2620:
	v_mov_b32_e32 v10, 0
	v_cmp_ne_u16_sdwa s[8:9], v15, v10 src0_sel:BYTE_3 src1_sel:DWORD
	s_andn2_b64 s[4:5], s[4:5], exec
	s_and_b64 s[8:9], s[8:9], exec
	s_or_b64 s[4:5], s[4:5], s[8:9]
	s_or_b64 exec, exec, s[6:7]
	s_and_saveexec_b64 s[6:7], s[4:5]
	s_cbranch_execnz .LBB16_571
	s_branch .LBB16_572
.LBB16_2621:
	s_movk_i32 s4, 0x80
	v_cmp_eq_u16_sdwa s[12:13], v11, s4 src0_sel:BYTE_3 src1_sel:DWORD
	s_mov_b64 s[4:5], -1
                                        ; implicit-def: $sgpr10
	s_and_saveexec_b64 s[8:9], s[12:13]
; %bb.2622:
	s_mov_b32 s10, 0x7f800001
	s_xor_b64 s[4:5], exec, -1
; %bb.2623:
	s_or_b64 exec, exec, s[8:9]
	s_and_b64 s[4:5], s[4:5], exec
	s_or_saveexec_b64 s[6:7], s[6:7]
	v_mov_b32_e32 v14, s10
	s_xor_b64 exec, exec, s[6:7]
	s_cbranch_execz .LBB16_574
.LBB16_2624:
	v_mov_b32_e32 v14, 0
	v_cmp_ne_u16_sdwa s[8:9], v11, v14 src0_sel:BYTE_3 src1_sel:DWORD
	s_andn2_b64 s[4:5], s[4:5], exec
	s_and_b64 s[8:9], s[8:9], exec
	s_or_b64 s[4:5], s[4:5], s[8:9]
	s_or_b64 exec, exec, s[6:7]
	s_and_saveexec_b64 s[6:7], s[4:5]
	s_cbranch_execnz .LBB16_575
	s_branch .LBB16_576
.LBB16_2625:
	s_movk_i32 s4, 0x80
	v_cmp_eq_u16_sdwa s[12:13], v16, s4 src0_sel:BYTE_0 src1_sel:DWORD
	s_mov_b64 s[4:5], -1
                                        ; implicit-def: $sgpr10
	s_and_saveexec_b64 s[8:9], s[12:13]
; %bb.2626:
	s_mov_b32 s10, 0x7f800001
	s_xor_b64 s[4:5], exec, -1
; %bb.2627:
	s_or_b64 exec, exec, s[8:9]
	s_and_b64 s[4:5], s[4:5], exec
	s_or_saveexec_b64 s[6:7], s[6:7]
	v_mov_b32_e32 v10, s10
	s_xor_b64 exec, exec, s[6:7]
	s_cbranch_execz .LBB16_578
.LBB16_2628:
	v_mov_b32_e32 v10, 0
	v_cmp_ne_u16_sdwa s[8:9], v16, v10 src0_sel:BYTE_0 src1_sel:DWORD
	s_andn2_b64 s[4:5], s[4:5], exec
	s_and_b64 s[8:9], s[8:9], exec
	s_or_b64 s[4:5], s[4:5], s[8:9]
	s_or_b64 exec, exec, s[6:7]
	s_and_saveexec_b64 s[6:7], s[4:5]
	s_cbranch_execnz .LBB16_579
	s_branch .LBB16_580
.LBB16_2629:
	s_movk_i32 s4, 0x80
	v_cmp_eq_u16_sdwa s[12:13], v12, s4 src0_sel:BYTE_0 src1_sel:DWORD
	s_mov_b64 s[4:5], -1
                                        ; implicit-def: $sgpr10
	s_and_saveexec_b64 s[8:9], s[12:13]
; %bb.2630:
	s_mov_b32 s10, 0x7f800001
	s_xor_b64 s[4:5], exec, -1
; %bb.2631:
	s_or_b64 exec, exec, s[8:9]
	s_and_b64 s[4:5], s[4:5], exec
	s_or_saveexec_b64 s[6:7], s[6:7]
	v_mov_b32_e32 v11, s10
	s_xor_b64 exec, exec, s[6:7]
	s_cbranch_execz .LBB16_582
.LBB16_2632:
	v_mov_b32_e32 v11, 0
	v_cmp_ne_u16_sdwa s[8:9], v12, v11 src0_sel:BYTE_0 src1_sel:DWORD
	s_andn2_b64 s[4:5], s[4:5], exec
	s_and_b64 s[8:9], s[8:9], exec
	s_or_b64 s[4:5], s[4:5], s[8:9]
	s_or_b64 exec, exec, s[6:7]
	s_and_saveexec_b64 s[6:7], s[4:5]
	s_cbranch_execnz .LBB16_583
	s_branch .LBB16_584
.LBB16_2633:
	s_movk_i32 s4, 0x80
	v_cmp_eq_u16_sdwa s[12:13], v11, s4 src0_sel:BYTE_0 src1_sel:DWORD
	s_mov_b64 s[4:5], -1
                                        ; implicit-def: $sgpr10
	s_and_saveexec_b64 s[8:9], s[12:13]
; %bb.2634:
	s_mov_b32 s10, 0x7f800001
	s_xor_b64 s[4:5], exec, -1
; %bb.2635:
	s_or_b64 exec, exec, s[8:9]
	s_and_b64 s[4:5], s[4:5], exec
	s_or_saveexec_b64 s[6:7], s[6:7]
	v_mov_b32_e32 v10, s10
	s_xor_b64 exec, exec, s[6:7]
	s_cbranch_execz .LBB16_586
.LBB16_2636:
	v_mov_b32_e32 v10, 0
	v_cmp_ne_u16_sdwa s[8:9], v11, v10 src0_sel:BYTE_0 src1_sel:DWORD
	s_andn2_b64 s[4:5], s[4:5], exec
	s_and_b64 s[8:9], s[8:9], exec
	s_or_b64 s[4:5], s[4:5], s[8:9]
	s_or_b64 exec, exec, s[6:7]
	s_and_saveexec_b64 s[6:7], s[4:5]
	s_cbranch_execnz .LBB16_587
	s_branch .LBB16_588
.LBB16_2637:
	s_movk_i32 s4, 0x80
	v_cmp_eq_u16_sdwa s[12:13], v11, s4 src0_sel:BYTE_0 src1_sel:DWORD
	s_mov_b64 s[4:5], -1
                                        ; implicit-def: $sgpr10
	s_and_saveexec_b64 s[8:9], s[12:13]
; %bb.2638:
	s_mov_b32 s10, 0x7f800001
	s_xor_b64 s[4:5], exec, -1
; %bb.2639:
	s_or_b64 exec, exec, s[8:9]
	s_and_b64 s[4:5], s[4:5], exec
	s_or_saveexec_b64 s[6:7], s[6:7]
	v_mov_b32_e32 v14, s10
	s_xor_b64 exec, exec, s[6:7]
	s_cbranch_execz .LBB16_590
.LBB16_2640:
	v_mov_b32_e32 v14, 0
	v_cmp_ne_u16_sdwa s[8:9], v11, v14 src0_sel:BYTE_0 src1_sel:DWORD
	s_andn2_b64 s[4:5], s[4:5], exec
	s_and_b64 s[8:9], s[8:9], exec
	s_or_b64 s[4:5], s[4:5], s[8:9]
	s_or_b64 exec, exec, s[6:7]
	s_and_saveexec_b64 s[6:7], s[4:5]
	s_cbranch_execnz .LBB16_591
	s_branch .LBB16_592
.LBB16_2641:
	s_movk_i32 s4, 0x80
	v_cmp_eq_u16_e32 vcc, s4, v11
	s_mov_b64 s[4:5], -1
                                        ; implicit-def: $sgpr10
	s_and_saveexec_b64 s[8:9], vcc
; %bb.2642:
	s_mov_b32 s10, 0x7f800001
	s_xor_b64 s[4:5], exec, -1
; %bb.2643:
	s_or_b64 exec, exec, s[8:9]
	s_and_b64 s[4:5], s[4:5], exec
                                        ; implicit-def: $vgpr11
	s_or_saveexec_b64 s[6:7], s[6:7]
	v_mov_b32_e32 v10, s10
	s_xor_b64 exec, exec, s[6:7]
	s_cbranch_execz .LBB16_594
.LBB16_2644:
	v_cmp_ne_u16_e32 vcc, 0, v11
	s_andn2_b64 s[4:5], s[4:5], exec
	s_and_b64 s[8:9], vcc, exec
	v_mov_b32_e32 v10, 0
	s_or_b64 s[4:5], s[4:5], s[8:9]
	s_or_b64 exec, exec, s[6:7]
	s_and_saveexec_b64 s[6:7], s[4:5]
	s_cbranch_execnz .LBB16_595
	s_branch .LBB16_596
.LBB16_2645:
	s_movk_i32 s4, 0x80
	v_cmp_eq_u16_e32 vcc, s4, v11
	s_mov_b64 s[4:5], -1
                                        ; implicit-def: $sgpr10
	s_and_saveexec_b64 s[8:9], vcc
; %bb.2646:
	s_mov_b32 s10, 0x7f800001
	s_xor_b64 s[4:5], exec, -1
; %bb.2647:
	s_or_b64 exec, exec, s[8:9]
	s_and_b64 s[4:5], s[4:5], exec
                                        ; implicit-def: $vgpr11
	s_or_saveexec_b64 s[6:7], s[6:7]
	v_mov_b32_e32 v14, s10
	s_xor_b64 exec, exec, s[6:7]
	s_cbranch_execz .LBB16_598
.LBB16_2648:
	v_cmp_ne_u16_e32 vcc, 0, v11
	s_andn2_b64 s[4:5], s[4:5], exec
	s_and_b64 s[8:9], vcc, exec
	v_mov_b32_e32 v14, 0
	s_or_b64 s[4:5], s[4:5], s[8:9]
	s_or_b64 exec, exec, s[6:7]
	s_and_saveexec_b64 s[6:7], s[4:5]
	s_cbranch_execnz .LBB16_599
	s_branch .LBB16_600
.LBB16_2649:
	s_movk_i32 s4, 0x80
	v_cmp_eq_u16_sdwa s[12:13], v16, s4 src0_sel:BYTE_3 src1_sel:DWORD
	s_mov_b64 s[4:5], -1
                                        ; implicit-def: $sgpr10
	s_and_saveexec_b64 s[8:9], s[12:13]
; %bb.2650:
	s_mov_b32 s10, 0x7f800001
	s_xor_b64 s[4:5], exec, -1
; %bb.2651:
	s_or_b64 exec, exec, s[8:9]
	s_and_b64 s[4:5], s[4:5], exec
	s_or_saveexec_b64 s[6:7], s[6:7]
	v_mov_b32_e32 v10, s10
	s_xor_b64 exec, exec, s[6:7]
	s_cbranch_execz .LBB16_602
.LBB16_2652:
	v_mov_b32_e32 v10, 0
	v_cmp_ne_u16_sdwa s[8:9], v16, v10 src0_sel:BYTE_3 src1_sel:DWORD
	s_andn2_b64 s[4:5], s[4:5], exec
	s_and_b64 s[8:9], s[8:9], exec
	s_or_b64 s[4:5], s[4:5], s[8:9]
	s_or_b64 exec, exec, s[6:7]
	s_and_saveexec_b64 s[6:7], s[4:5]
	s_cbranch_execnz .LBB16_603
	s_branch .LBB16_604
.LBB16_2653:
	s_movk_i32 s4, 0x80
	v_cmp_eq_u16_sdwa s[12:13], v12, s4 src0_sel:BYTE_3 src1_sel:DWORD
	s_mov_b64 s[4:5], -1
                                        ; implicit-def: $sgpr10
	s_and_saveexec_b64 s[8:9], s[12:13]
; %bb.2654:
	s_mov_b32 s10, 0x7f800001
	s_xor_b64 s[4:5], exec, -1
; %bb.2655:
	s_or_b64 exec, exec, s[8:9]
	s_and_b64 s[4:5], s[4:5], exec
	s_or_saveexec_b64 s[6:7], s[6:7]
	v_mov_b32_e32 v11, s10
	s_xor_b64 exec, exec, s[6:7]
	s_cbranch_execz .LBB16_606
.LBB16_2656:
	v_mov_b32_e32 v11, 0
	v_cmp_ne_u16_sdwa s[8:9], v12, v11 src0_sel:BYTE_3 src1_sel:DWORD
	s_andn2_b64 s[4:5], s[4:5], exec
	s_and_b64 s[8:9], s[8:9], exec
	s_or_b64 s[4:5], s[4:5], s[8:9]
	s_or_b64 exec, exec, s[6:7]
	s_and_saveexec_b64 s[6:7], s[4:5]
	s_cbranch_execnz .LBB16_607
	s_branch .LBB16_608
.LBB16_2657:
	s_movk_i32 s4, 0x80
	v_cmp_eq_u16_sdwa s[12:13], v17, s4 src0_sel:BYTE_0 src1_sel:DWORD
	s_mov_b64 s[4:5], -1
                                        ; implicit-def: $sgpr10
	s_and_saveexec_b64 s[8:9], s[12:13]
; %bb.2658:
	s_mov_b32 s10, 0x7f800001
	s_xor_b64 s[4:5], exec, -1
; %bb.2659:
	s_or_b64 exec, exec, s[8:9]
	s_and_b64 s[4:5], s[4:5], exec
	s_or_saveexec_b64 s[6:7], s[6:7]
	v_mov_b32_e32 v10, s10
	s_xor_b64 exec, exec, s[6:7]
	s_cbranch_execz .LBB16_610
.LBB16_2660:
	v_mov_b32_e32 v10, 0
	v_cmp_ne_u16_sdwa s[8:9], v17, v10 src0_sel:BYTE_0 src1_sel:DWORD
	s_andn2_b64 s[4:5], s[4:5], exec
	s_and_b64 s[8:9], s[8:9], exec
	s_or_b64 s[4:5], s[4:5], s[8:9]
	s_or_b64 exec, exec, s[6:7]
	s_and_saveexec_b64 s[6:7], s[4:5]
	s_cbranch_execnz .LBB16_611
	s_branch .LBB16_612
.LBB16_2661:
	s_movk_i32 s4, 0x80
	v_cmp_eq_u16_sdwa s[12:13], v13, s4 src0_sel:BYTE_0 src1_sel:DWORD
	s_mov_b64 s[4:5], -1
                                        ; implicit-def: $sgpr10
	s_and_saveexec_b64 s[8:9], s[12:13]
; %bb.2662:
	s_mov_b32 s10, 0x7f800001
	s_xor_b64 s[4:5], exec, -1
; %bb.2663:
	s_or_b64 exec, exec, s[8:9]
	s_and_b64 s[4:5], s[4:5], exec
	s_or_saveexec_b64 s[6:7], s[6:7]
	v_mov_b32_e32 v11, s10
	s_xor_b64 exec, exec, s[6:7]
	s_cbranch_execz .LBB16_614
.LBB16_2664:
	v_mov_b32_e32 v11, 0
	v_cmp_ne_u16_sdwa s[8:9], v13, v11 src0_sel:BYTE_0 src1_sel:DWORD
	s_andn2_b64 s[4:5], s[4:5], exec
	s_and_b64 s[8:9], s[8:9], exec
	s_or_b64 s[4:5], s[4:5], s[8:9]
	s_or_b64 exec, exec, s[6:7]
	s_and_saveexec_b64 s[6:7], s[4:5]
	s_cbranch_execnz .LBB16_615
	s_branch .LBB16_616
.LBB16_2665:
	s_movk_i32 s4, 0x80
	v_cmp_eq_u16_sdwa s[12:13], v11, s4 src0_sel:BYTE_0 src1_sel:DWORD
	s_mov_b64 s[4:5], -1
                                        ; implicit-def: $sgpr10
	s_and_saveexec_b64 s[8:9], s[12:13]
; %bb.2666:
	s_mov_b32 s10, 0x7f800001
	s_xor_b64 s[4:5], exec, -1
; %bb.2667:
	s_or_b64 exec, exec, s[8:9]
	s_and_b64 s[4:5], s[4:5], exec
	s_or_saveexec_b64 s[6:7], s[6:7]
	v_mov_b32_e32 v10, s10
	s_xor_b64 exec, exec, s[6:7]
	s_cbranch_execz .LBB16_618
.LBB16_2668:
	v_mov_b32_e32 v10, 0
	v_cmp_ne_u16_sdwa s[8:9], v11, v10 src0_sel:BYTE_0 src1_sel:DWORD
	s_andn2_b64 s[4:5], s[4:5], exec
	s_and_b64 s[8:9], s[8:9], exec
	s_or_b64 s[4:5], s[4:5], s[8:9]
	s_or_b64 exec, exec, s[6:7]
	s_and_saveexec_b64 s[6:7], s[4:5]
	s_cbranch_execnz .LBB16_619
	s_branch .LBB16_620
.LBB16_2669:
	s_movk_i32 s4, 0x80
	v_cmp_eq_u16_sdwa s[12:13], v11, s4 src0_sel:BYTE_0 src1_sel:DWORD
	s_mov_b64 s[4:5], -1
                                        ; implicit-def: $sgpr10
	s_and_saveexec_b64 s[8:9], s[12:13]
; %bb.2670:
	s_mov_b32 s10, 0x7f800001
	s_xor_b64 s[4:5], exec, -1
; %bb.2671:
	s_or_b64 exec, exec, s[8:9]
	s_and_b64 s[4:5], s[4:5], exec
	s_or_saveexec_b64 s[6:7], s[6:7]
	v_mov_b32_e32 v12, s10
	s_xor_b64 exec, exec, s[6:7]
	s_cbranch_execz .LBB16_622
.LBB16_2672:
	v_mov_b32_e32 v12, 0
	v_cmp_ne_u16_sdwa s[8:9], v11, v12 src0_sel:BYTE_0 src1_sel:DWORD
	s_andn2_b64 s[4:5], s[4:5], exec
	s_and_b64 s[8:9], s[8:9], exec
	s_or_b64 s[4:5], s[4:5], s[8:9]
	s_or_b64 exec, exec, s[6:7]
	s_and_saveexec_b64 s[6:7], s[4:5]
	s_cbranch_execnz .LBB16_623
	s_branch .LBB16_624
.LBB16_2673:
	s_movk_i32 s4, 0x80
	v_cmp_eq_u16_e32 vcc, s4, v11
	s_mov_b64 s[4:5], -1
                                        ; implicit-def: $sgpr10
	s_and_saveexec_b64 s[8:9], vcc
; %bb.2674:
	s_mov_b32 s10, 0x7f800001
	s_xor_b64 s[4:5], exec, -1
; %bb.2675:
	s_or_b64 exec, exec, s[8:9]
	s_and_b64 s[4:5], s[4:5], exec
                                        ; implicit-def: $vgpr11
	s_or_saveexec_b64 s[6:7], s[6:7]
	v_mov_b32_e32 v10, s10
	s_xor_b64 exec, exec, s[6:7]
	s_cbranch_execz .LBB16_626
.LBB16_2676:
	v_cmp_ne_u16_e32 vcc, 0, v11
	s_andn2_b64 s[4:5], s[4:5], exec
	s_and_b64 s[8:9], vcc, exec
	v_mov_b32_e32 v10, 0
	s_or_b64 s[4:5], s[4:5], s[8:9]
	s_or_b64 exec, exec, s[6:7]
	s_and_saveexec_b64 s[6:7], s[4:5]
	s_cbranch_execnz .LBB16_627
	s_branch .LBB16_628
.LBB16_2677:
	s_movk_i32 s4, 0x80
	v_cmp_eq_u16_e32 vcc, s4, v11
	s_mov_b64 s[4:5], -1
                                        ; implicit-def: $sgpr10
	s_and_saveexec_b64 s[8:9], vcc
; %bb.2678:
	s_mov_b32 s10, 0x7f800001
	s_xor_b64 s[4:5], exec, -1
; %bb.2679:
	s_or_b64 exec, exec, s[8:9]
	s_and_b64 s[4:5], s[4:5], exec
                                        ; implicit-def: $vgpr11
	s_or_saveexec_b64 s[6:7], s[6:7]
	v_mov_b32_e32 v12, s10
	s_xor_b64 exec, exec, s[6:7]
	s_cbranch_execz .LBB16_630
.LBB16_2680:
	v_cmp_ne_u16_e32 vcc, 0, v11
	s_andn2_b64 s[4:5], s[4:5], exec
	s_and_b64 s[8:9], vcc, exec
	v_mov_b32_e32 v12, 0
	s_or_b64 s[4:5], s[4:5], s[8:9]
	s_or_b64 exec, exec, s[6:7]
	s_and_saveexec_b64 s[6:7], s[4:5]
	s_cbranch_execnz .LBB16_631
	s_branch .LBB16_632
.LBB16_2681:
	s_movk_i32 s4, 0x80
	v_cmp_eq_u16_sdwa s[12:13], v17, s4 src0_sel:BYTE_3 src1_sel:DWORD
	s_mov_b64 s[4:5], -1
                                        ; implicit-def: $sgpr10
	s_and_saveexec_b64 s[8:9], s[12:13]
; %bb.2682:
	s_mov_b32 s10, 0x7f800001
	s_xor_b64 s[4:5], exec, -1
; %bb.2683:
	s_or_b64 exec, exec, s[8:9]
	s_and_b64 s[4:5], s[4:5], exec
	s_or_saveexec_b64 s[6:7], s[6:7]
	v_mov_b32_e32 v10, s10
	s_xor_b64 exec, exec, s[6:7]
	s_cbranch_execz .LBB16_634
.LBB16_2684:
	v_mov_b32_e32 v10, 0
	v_cmp_ne_u16_sdwa s[8:9], v17, v10 src0_sel:BYTE_3 src1_sel:DWORD
	s_andn2_b64 s[4:5], s[4:5], exec
	s_and_b64 s[8:9], s[8:9], exec
	s_or_b64 s[4:5], s[4:5], s[8:9]
	s_or_b64 exec, exec, s[6:7]
	s_and_saveexec_b64 s[6:7], s[4:5]
	s_cbranch_execnz .LBB16_635
	s_branch .LBB16_636
.LBB16_2685:
	s_movk_i32 s4, 0x80
	v_cmp_eq_u16_sdwa s[12:13], v13, s4 src0_sel:BYTE_3 src1_sel:DWORD
	s_mov_b64 s[4:5], -1
                                        ; implicit-def: $sgpr10
	s_and_saveexec_b64 s[8:9], s[12:13]
; %bb.2686:
	s_mov_b32 s10, 0x7f800001
	s_xor_b64 s[4:5], exec, -1
; %bb.2687:
	s_or_b64 exec, exec, s[8:9]
	s_and_b64 s[4:5], s[4:5], exec
	s_or_saveexec_b64 s[6:7], s[6:7]
	v_mov_b32_e32 v11, s10
	s_xor_b64 exec, exec, s[6:7]
	s_cbranch_execz .LBB16_638
.LBB16_2688:
	v_mov_b32_e32 v11, 0
	v_cmp_ne_u16_sdwa s[8:9], v13, v11 src0_sel:BYTE_3 src1_sel:DWORD
	s_andn2_b64 s[4:5], s[4:5], exec
	s_and_b64 s[8:9], s[8:9], exec
	s_or_b64 s[4:5], s[4:5], s[8:9]
	s_or_b64 exec, exec, s[6:7]
	s_and_saveexec_b64 s[6:7], s[4:5]
	s_cbranch_execnz .LBB16_639
	s_branch .LBB16_640
.LBB16_2689:
	s_movk_i32 s4, 0x80
	v_cmp_eq_u16_sdwa s[12:13], v6, s4 src0_sel:BYTE_0 src1_sel:DWORD
	s_mov_b64 s[4:5], -1
                                        ; implicit-def: $sgpr10
	s_and_saveexec_b64 s[8:9], s[12:13]
; %bb.2690:
	s_mov_b32 s10, 0x7f800001
	s_xor_b64 s[4:5], exec, -1
; %bb.2691:
	s_or_b64 exec, exec, s[8:9]
	s_and_b64 s[4:5], s[4:5], exec
	s_or_saveexec_b64 s[6:7], s[6:7]
	v_mov_b32_e32 v10, s10
	s_xor_b64 exec, exec, s[6:7]
	s_cbranch_execz .LBB16_642
.LBB16_2692:
	v_mov_b32_e32 v10, 0
	v_cmp_ne_u16_sdwa s[8:9], v6, v10 src0_sel:BYTE_0 src1_sel:DWORD
	s_andn2_b64 s[4:5], s[4:5], exec
	s_and_b64 s[8:9], s[8:9], exec
	s_or_b64 s[4:5], s[4:5], s[8:9]
	s_or_b64 exec, exec, s[6:7]
	s_and_saveexec_b64 s[6:7], s[4:5]
	s_cbranch_execnz .LBB16_643
	s_branch .LBB16_644
.LBB16_2693:
	s_movk_i32 s4, 0x80
	v_cmp_eq_u16_sdwa s[12:13], v2, s4 src0_sel:BYTE_0 src1_sel:DWORD
	s_mov_b64 s[4:5], -1
                                        ; implicit-def: $sgpr10
	s_and_saveexec_b64 s[8:9], s[12:13]
; %bb.2694:
	s_mov_b32 s10, 0x7f800001
	s_xor_b64 s[4:5], exec, -1
; %bb.2695:
	s_or_b64 exec, exec, s[8:9]
	s_and_b64 s[4:5], s[4:5], exec
	s_or_saveexec_b64 s[6:7], s[6:7]
	v_mov_b32_e32 v11, s10
	s_xor_b64 exec, exec, s[6:7]
	s_cbranch_execz .LBB16_646
.LBB16_2696:
	v_mov_b32_e32 v11, 0
	v_cmp_ne_u16_sdwa s[8:9], v2, v11 src0_sel:BYTE_0 src1_sel:DWORD
	s_andn2_b64 s[4:5], s[4:5], exec
	s_and_b64 s[8:9], s[8:9], exec
	s_or_b64 s[4:5], s[4:5], s[8:9]
	s_or_b64 exec, exec, s[6:7]
	s_and_saveexec_b64 s[6:7], s[4:5]
	s_cbranch_execnz .LBB16_647
	s_branch .LBB16_648
.LBB16_2697:
	s_movk_i32 s4, 0x80
	v_cmp_eq_u16_sdwa s[12:13], v11, s4 src0_sel:BYTE_0 src1_sel:DWORD
	s_mov_b64 s[4:5], -1
                                        ; implicit-def: $sgpr10
	s_and_saveexec_b64 s[8:9], s[12:13]
; %bb.2698:
	s_mov_b32 s10, 0x7f800001
	s_xor_b64 s[4:5], exec, -1
; %bb.2699:
	s_or_b64 exec, exec, s[8:9]
	s_and_b64 s[4:5], s[4:5], exec
	s_or_saveexec_b64 s[6:7], s[6:7]
	v_mov_b32_e32 v10, s10
	s_xor_b64 exec, exec, s[6:7]
	s_cbranch_execz .LBB16_650
.LBB16_2700:
	v_mov_b32_e32 v10, 0
	v_cmp_ne_u16_sdwa s[8:9], v11, v10 src0_sel:BYTE_0 src1_sel:DWORD
	s_andn2_b64 s[4:5], s[4:5], exec
	s_and_b64 s[8:9], s[8:9], exec
	s_or_b64 s[4:5], s[4:5], s[8:9]
	s_or_b64 exec, exec, s[6:7]
	s_and_saveexec_b64 s[6:7], s[4:5]
	s_cbranch_execnz .LBB16_651
	s_branch .LBB16_652
.LBB16_2701:
	s_movk_i32 s4, 0x80
	v_cmp_eq_u16_sdwa s[12:13], v11, s4 src0_sel:BYTE_0 src1_sel:DWORD
	s_mov_b64 s[4:5], -1
                                        ; implicit-def: $sgpr10
	s_and_saveexec_b64 s[8:9], s[12:13]
; %bb.2702:
	s_mov_b32 s10, 0x7f800001
	s_xor_b64 s[4:5], exec, -1
; %bb.2703:
	s_or_b64 exec, exec, s[8:9]
	s_and_b64 s[4:5], s[4:5], exec
	s_or_saveexec_b64 s[6:7], s[6:7]
	v_mov_b32_e32 v12, s10
	s_xor_b64 exec, exec, s[6:7]
	s_cbranch_execz .LBB16_654
.LBB16_2704:
	v_mov_b32_e32 v12, 0
	v_cmp_ne_u16_sdwa s[8:9], v11, v12 src0_sel:BYTE_0 src1_sel:DWORD
	s_andn2_b64 s[4:5], s[4:5], exec
	s_and_b64 s[8:9], s[8:9], exec
	s_or_b64 s[4:5], s[4:5], s[8:9]
	s_or_b64 exec, exec, s[6:7]
	s_and_saveexec_b64 s[6:7], s[4:5]
	s_cbranch_execnz .LBB16_655
	s_branch .LBB16_656
.LBB16_2705:
	s_movk_i32 s4, 0x80
	v_cmp_eq_u16_e32 vcc, s4, v11
	s_mov_b64 s[4:5], -1
                                        ; implicit-def: $sgpr10
	s_and_saveexec_b64 s[8:9], vcc
; %bb.2706:
	s_mov_b32 s10, 0x7f800001
	s_xor_b64 s[4:5], exec, -1
; %bb.2707:
	s_or_b64 exec, exec, s[8:9]
	s_and_b64 s[4:5], s[4:5], exec
                                        ; implicit-def: $vgpr11
	s_or_saveexec_b64 s[6:7], s[6:7]
	v_mov_b32_e32 v10, s10
	s_xor_b64 exec, exec, s[6:7]
	s_cbranch_execz .LBB16_658
.LBB16_2708:
	v_cmp_ne_u16_e32 vcc, 0, v11
	s_andn2_b64 s[4:5], s[4:5], exec
	s_and_b64 s[8:9], vcc, exec
	v_mov_b32_e32 v10, 0
	s_or_b64 s[4:5], s[4:5], s[8:9]
	s_or_b64 exec, exec, s[6:7]
	s_and_saveexec_b64 s[6:7], s[4:5]
	s_cbranch_execnz .LBB16_659
	s_branch .LBB16_660
.LBB16_2709:
	s_movk_i32 s4, 0x80
	v_cmp_eq_u16_e32 vcc, s4, v11
	s_mov_b64 s[4:5], -1
                                        ; implicit-def: $sgpr10
	s_and_saveexec_b64 s[8:9], vcc
; %bb.2710:
	s_mov_b32 s10, 0x7f800001
	s_xor_b64 s[4:5], exec, -1
; %bb.2711:
	s_or_b64 exec, exec, s[8:9]
	s_and_b64 s[4:5], s[4:5], exec
                                        ; implicit-def: $vgpr11
	s_or_saveexec_b64 s[6:7], s[6:7]
	v_mov_b32_e32 v12, s10
	s_xor_b64 exec, exec, s[6:7]
	s_cbranch_execz .LBB16_662
.LBB16_2712:
	v_cmp_ne_u16_e32 vcc, 0, v11
	s_andn2_b64 s[4:5], s[4:5], exec
	s_and_b64 s[8:9], vcc, exec
	v_mov_b32_e32 v12, 0
	s_or_b64 s[4:5], s[4:5], s[8:9]
	s_or_b64 exec, exec, s[6:7]
	s_and_saveexec_b64 s[6:7], s[4:5]
	s_cbranch_execnz .LBB16_663
	s_branch .LBB16_664
.LBB16_2713:
	s_movk_i32 s4, 0x80
	v_cmp_eq_u16_sdwa s[12:13], v6, s4 src0_sel:BYTE_3 src1_sel:DWORD
	s_mov_b64 s[4:5], -1
                                        ; implicit-def: $sgpr10
	s_and_saveexec_b64 s[8:9], s[12:13]
; %bb.2714:
	s_mov_b32 s10, 0x7f800001
	s_xor_b64 s[4:5], exec, -1
; %bb.2715:
	s_or_b64 exec, exec, s[8:9]
	s_and_b64 s[4:5], s[4:5], exec
	s_or_saveexec_b64 s[6:7], s[6:7]
	v_mov_b32_e32 v10, s10
	s_xor_b64 exec, exec, s[6:7]
	s_cbranch_execz .LBB16_666
.LBB16_2716:
	v_mov_b32_e32 v10, 0
	v_cmp_ne_u16_sdwa s[8:9], v6, v10 src0_sel:BYTE_3 src1_sel:DWORD
	s_andn2_b64 s[4:5], s[4:5], exec
	s_and_b64 s[8:9], s[8:9], exec
	s_or_b64 s[4:5], s[4:5], s[8:9]
	s_or_b64 exec, exec, s[6:7]
	s_and_saveexec_b64 s[6:7], s[4:5]
	s_cbranch_execnz .LBB16_667
	s_branch .LBB16_668
.LBB16_2717:
	s_movk_i32 s4, 0x80
	v_cmp_eq_u16_sdwa s[12:13], v2, s4 src0_sel:BYTE_3 src1_sel:DWORD
	s_mov_b64 s[4:5], -1
                                        ; implicit-def: $sgpr10
	s_and_saveexec_b64 s[8:9], s[12:13]
; %bb.2718:
	s_mov_b32 s10, 0x7f800001
	s_xor_b64 s[4:5], exec, -1
; %bb.2719:
	s_or_b64 exec, exec, s[8:9]
	s_and_b64 s[4:5], s[4:5], exec
	s_or_saveexec_b64 s[6:7], s[6:7]
	v_mov_b32_e32 v6, s10
	s_xor_b64 exec, exec, s[6:7]
	s_cbranch_execz .LBB16_670
.LBB16_2720:
	v_mov_b32_e32 v6, 0
	v_cmp_ne_u16_sdwa s[8:9], v2, v6 src0_sel:BYTE_3 src1_sel:DWORD
	s_andn2_b64 s[4:5], s[4:5], exec
	s_and_b64 s[8:9], s[8:9], exec
	s_or_b64 s[4:5], s[4:5], s[8:9]
	s_or_b64 exec, exec, s[6:7]
	s_and_saveexec_b64 s[6:7], s[4:5]
	s_cbranch_execnz .LBB16_671
	s_branch .LBB16_672
.LBB16_2721:
	s_movk_i32 s4, 0x80
	v_cmp_eq_u16_sdwa s[12:13], v7, s4 src0_sel:BYTE_0 src1_sel:DWORD
	s_mov_b64 s[4:5], -1
                                        ; implicit-def: $sgpr10
	s_and_saveexec_b64 s[8:9], s[12:13]
; %bb.2722:
	s_mov_b32 s10, 0x7f800001
	s_xor_b64 s[4:5], exec, -1
; %bb.2723:
	s_or_b64 exec, exec, s[8:9]
	s_and_b64 s[4:5], s[4:5], exec
	s_or_saveexec_b64 s[6:7], s[6:7]
	v_mov_b32_e32 v2, s10
	s_xor_b64 exec, exec, s[6:7]
	s_cbranch_execz .LBB16_674
.LBB16_2724:
	v_mov_b32_e32 v2, 0
	v_cmp_ne_u16_sdwa s[8:9], v7, v2 src0_sel:BYTE_0 src1_sel:DWORD
	s_andn2_b64 s[4:5], s[4:5], exec
	s_and_b64 s[8:9], s[8:9], exec
	s_or_b64 s[4:5], s[4:5], s[8:9]
	s_or_b64 exec, exec, s[6:7]
	s_and_saveexec_b64 s[6:7], s[4:5]
	s_cbranch_execnz .LBB16_675
	s_branch .LBB16_676
.LBB16_2725:
	s_movk_i32 s4, 0x80
	v_cmp_eq_u16_sdwa s[12:13], v3, s4 src0_sel:BYTE_0 src1_sel:DWORD
	s_mov_b64 s[4:5], -1
                                        ; implicit-def: $sgpr10
	s_and_saveexec_b64 s[8:9], s[12:13]
; %bb.2726:
	s_mov_b32 s10, 0x7f800001
	s_xor_b64 s[4:5], exec, -1
; %bb.2727:
	s_or_b64 exec, exec, s[8:9]
	s_and_b64 s[4:5], s[4:5], exec
	s_or_saveexec_b64 s[6:7], s[6:7]
	v_mov_b32_e32 v6, s10
	s_xor_b64 exec, exec, s[6:7]
	s_cbranch_execz .LBB16_678
.LBB16_2728:
	v_mov_b32_e32 v6, 0
	v_cmp_ne_u16_sdwa s[8:9], v3, v6 src0_sel:BYTE_0 src1_sel:DWORD
	s_andn2_b64 s[4:5], s[4:5], exec
	s_and_b64 s[8:9], s[8:9], exec
	s_or_b64 s[4:5], s[4:5], s[8:9]
	s_or_b64 exec, exec, s[6:7]
	s_and_saveexec_b64 s[6:7], s[4:5]
	s_cbranch_execnz .LBB16_679
	s_branch .LBB16_680
.LBB16_2729:
	s_movk_i32 s4, 0x80
	v_cmp_eq_u16_sdwa s[12:13], v6, s4 src0_sel:BYTE_0 src1_sel:DWORD
	s_mov_b64 s[4:5], -1
                                        ; implicit-def: $sgpr10
	s_and_saveexec_b64 s[8:9], s[12:13]
; %bb.2730:
	s_mov_b32 s10, 0x7f800001
	s_xor_b64 s[4:5], exec, -1
; %bb.2731:
	s_or_b64 exec, exec, s[8:9]
	s_and_b64 s[4:5], s[4:5], exec
	s_or_saveexec_b64 s[6:7], s[6:7]
	v_mov_b32_e32 v2, s10
	s_xor_b64 exec, exec, s[6:7]
	s_cbranch_execz .LBB16_682
.LBB16_2732:
	v_mov_b32_e32 v2, 0
	v_cmp_ne_u16_sdwa s[8:9], v6, v2 src0_sel:BYTE_0 src1_sel:DWORD
	s_andn2_b64 s[4:5], s[4:5], exec
	s_and_b64 s[8:9], s[8:9], exec
	s_or_b64 s[4:5], s[4:5], s[8:9]
	s_or_b64 exec, exec, s[6:7]
	s_and_saveexec_b64 s[6:7], s[4:5]
	s_cbranch_execnz .LBB16_683
	s_branch .LBB16_684
.LBB16_2733:
	s_movk_i32 s4, 0x80
	v_cmp_eq_u16_sdwa s[12:13], v6, s4 src0_sel:BYTE_0 src1_sel:DWORD
	s_mov_b64 s[4:5], -1
                                        ; implicit-def: $sgpr10
	s_and_saveexec_b64 s[8:9], s[12:13]
; %bb.2734:
	s_mov_b32 s10, 0x7f800001
	s_xor_b64 s[4:5], exec, -1
; %bb.2735:
	s_or_b64 exec, exec, s[8:9]
	s_and_b64 s[4:5], s[4:5], exec
	s_or_saveexec_b64 s[6:7], s[6:7]
	v_mov_b32_e32 v10, s10
	s_xor_b64 exec, exec, s[6:7]
	s_cbranch_execz .LBB16_686
.LBB16_2736:
	v_mov_b32_e32 v10, 0
	v_cmp_ne_u16_sdwa s[8:9], v6, v10 src0_sel:BYTE_0 src1_sel:DWORD
	s_andn2_b64 s[4:5], s[4:5], exec
	s_and_b64 s[8:9], s[8:9], exec
	s_or_b64 s[4:5], s[4:5], s[8:9]
	s_or_b64 exec, exec, s[6:7]
	s_and_saveexec_b64 s[6:7], s[4:5]
	s_cbranch_execnz .LBB16_687
	s_branch .LBB16_688
.LBB16_2737:
	s_movk_i32 s4, 0x80
	v_cmp_eq_u16_e32 vcc, s4, v6
	s_mov_b64 s[4:5], -1
                                        ; implicit-def: $sgpr10
	s_and_saveexec_b64 s[8:9], vcc
; %bb.2738:
	s_mov_b32 s10, 0x7f800001
	s_xor_b64 s[4:5], exec, -1
; %bb.2739:
	s_or_b64 exec, exec, s[8:9]
	s_and_b64 s[4:5], s[4:5], exec
                                        ; implicit-def: $vgpr6
	s_or_saveexec_b64 s[6:7], s[6:7]
	v_mov_b32_e32 v2, s10
	s_xor_b64 exec, exec, s[6:7]
	s_cbranch_execz .LBB16_690
.LBB16_2740:
	v_cmp_ne_u16_e32 vcc, 0, v6
	s_andn2_b64 s[4:5], s[4:5], exec
	s_and_b64 s[8:9], vcc, exec
	v_mov_b32_e32 v2, 0
	s_or_b64 s[4:5], s[4:5], s[8:9]
	s_or_b64 exec, exec, s[6:7]
	s_and_saveexec_b64 s[6:7], s[4:5]
	s_cbranch_execnz .LBB16_691
	s_branch .LBB16_692
.LBB16_2741:
	s_movk_i32 s4, 0x80
	v_cmp_eq_u16_e32 vcc, s4, v6
	s_mov_b64 s[4:5], -1
                                        ; implicit-def: $sgpr10
	s_and_saveexec_b64 s[8:9], vcc
; %bb.2742:
	s_mov_b32 s10, 0x7f800001
	s_xor_b64 s[4:5], exec, -1
; %bb.2743:
	s_or_b64 exec, exec, s[8:9]
	s_and_b64 s[4:5], s[4:5], exec
                                        ; implicit-def: $vgpr6
	s_or_saveexec_b64 s[6:7], s[6:7]
	v_mov_b32_e32 v10, s10
	s_xor_b64 exec, exec, s[6:7]
	s_cbranch_execz .LBB16_694
.LBB16_2744:
	v_cmp_ne_u16_e32 vcc, 0, v6
	s_andn2_b64 s[4:5], s[4:5], exec
	s_and_b64 s[8:9], vcc, exec
	v_mov_b32_e32 v10, 0
	s_or_b64 s[4:5], s[4:5], s[8:9]
	s_or_b64 exec, exec, s[6:7]
	s_and_saveexec_b64 s[6:7], s[4:5]
	s_cbranch_execnz .LBB16_695
	s_branch .LBB16_696
.LBB16_2745:
	s_movk_i32 s4, 0x80
	v_cmp_eq_u16_sdwa s[12:13], v7, s4 src0_sel:BYTE_3 src1_sel:DWORD
	s_mov_b64 s[4:5], -1
                                        ; implicit-def: $sgpr10
	s_and_saveexec_b64 s[8:9], s[12:13]
; %bb.2746:
	s_mov_b32 s10, 0x7f800001
	s_xor_b64 s[4:5], exec, -1
; %bb.2747:
	s_or_b64 exec, exec, s[8:9]
	s_and_b64 s[4:5], s[4:5], exec
	s_or_saveexec_b64 s[6:7], s[6:7]
	v_mov_b32_e32 v2, s10
	s_xor_b64 exec, exec, s[6:7]
	s_cbranch_execz .LBB16_698
.LBB16_2748:
	v_mov_b32_e32 v2, 0
	v_cmp_ne_u16_sdwa s[8:9], v7, v2 src0_sel:BYTE_3 src1_sel:DWORD
	s_andn2_b64 s[4:5], s[4:5], exec
	s_and_b64 s[8:9], s[8:9], exec
	s_or_b64 s[4:5], s[4:5], s[8:9]
	s_or_b64 exec, exec, s[6:7]
	s_and_saveexec_b64 s[6:7], s[4:5]
	s_cbranch_execnz .LBB16_699
	s_branch .LBB16_700
.LBB16_2749:
	s_movk_i32 s4, 0x80
	v_cmp_eq_u16_sdwa s[12:13], v3, s4 src0_sel:BYTE_3 src1_sel:DWORD
	s_mov_b64 s[4:5], -1
                                        ; implicit-def: $sgpr10
	s_and_saveexec_b64 s[8:9], s[12:13]
; %bb.2750:
	s_mov_b32 s10, 0x7f800001
	s_xor_b64 s[4:5], exec, -1
; %bb.2751:
	s_or_b64 exec, exec, s[8:9]
	s_and_b64 s[4:5], s[4:5], exec
	s_or_saveexec_b64 s[6:7], s[6:7]
	v_mov_b32_e32 v6, s10
	s_xor_b64 exec, exec, s[6:7]
	s_cbranch_execz .LBB16_702
.LBB16_2752:
	v_mov_b32_e32 v6, 0
	v_cmp_ne_u16_sdwa s[8:9], v3, v6 src0_sel:BYTE_3 src1_sel:DWORD
	s_andn2_b64 s[4:5], s[4:5], exec
	s_and_b64 s[8:9], s[8:9], exec
	s_or_b64 s[4:5], s[4:5], s[8:9]
	s_or_b64 exec, exec, s[6:7]
	s_and_saveexec_b64 s[6:7], s[4:5]
	s_cbranch_execnz .LBB16_703
	s_branch .LBB16_704
.LBB16_2753:
	s_movk_i32 s4, 0x80
	v_cmp_eq_u16_sdwa s[12:13], v8, s4 src0_sel:BYTE_0 src1_sel:DWORD
	s_mov_b64 s[4:5], -1
                                        ; implicit-def: $sgpr10
	s_and_saveexec_b64 s[8:9], s[12:13]
; %bb.2754:
	s_mov_b32 s10, 0x7f800001
	s_xor_b64 s[4:5], exec, -1
; %bb.2755:
	s_or_b64 exec, exec, s[8:9]
	s_and_b64 s[4:5], s[4:5], exec
	s_or_saveexec_b64 s[6:7], s[6:7]
	v_mov_b32_e32 v2, s10
	s_xor_b64 exec, exec, s[6:7]
	s_cbranch_execz .LBB16_706
.LBB16_2756:
	v_mov_b32_e32 v2, 0
	v_cmp_ne_u16_sdwa s[8:9], v8, v2 src0_sel:BYTE_0 src1_sel:DWORD
	s_andn2_b64 s[4:5], s[4:5], exec
	s_and_b64 s[8:9], s[8:9], exec
	s_or_b64 s[4:5], s[4:5], s[8:9]
	s_or_b64 exec, exec, s[6:7]
	s_and_saveexec_b64 s[6:7], s[4:5]
	s_cbranch_execnz .LBB16_707
	s_branch .LBB16_708
.LBB16_2757:
	s_movk_i32 s4, 0x80
	v_cmp_eq_u16_sdwa s[12:13], v4, s4 src0_sel:BYTE_0 src1_sel:DWORD
	s_mov_b64 s[4:5], -1
                                        ; implicit-def: $sgpr10
	s_and_saveexec_b64 s[8:9], s[12:13]
; %bb.2758:
	s_mov_b32 s10, 0x7f800001
	s_xor_b64 s[4:5], exec, -1
; %bb.2759:
	s_or_b64 exec, exec, s[8:9]
	s_and_b64 s[4:5], s[4:5], exec
	s_or_saveexec_b64 s[6:7], s[6:7]
	v_mov_b32_e32 v3, s10
	s_xor_b64 exec, exec, s[6:7]
	s_cbranch_execz .LBB16_710
.LBB16_2760:
	v_mov_b32_e32 v3, 0
	v_cmp_ne_u16_sdwa s[8:9], v4, v3 src0_sel:BYTE_0 src1_sel:DWORD
	s_andn2_b64 s[4:5], s[4:5], exec
	s_and_b64 s[8:9], s[8:9], exec
	s_or_b64 s[4:5], s[4:5], s[8:9]
	s_or_b64 exec, exec, s[6:7]
	s_and_saveexec_b64 s[6:7], s[4:5]
	s_cbranch_execnz .LBB16_711
	s_branch .LBB16_712
.LBB16_2761:
	s_movk_i32 s4, 0x80
	v_cmp_eq_u16_sdwa s[12:13], v3, s4 src0_sel:BYTE_0 src1_sel:DWORD
	s_mov_b64 s[4:5], -1
                                        ; implicit-def: $sgpr10
	s_and_saveexec_b64 s[8:9], s[12:13]
; %bb.2762:
	s_mov_b32 s10, 0x7f800001
	s_xor_b64 s[4:5], exec, -1
; %bb.2763:
	s_or_b64 exec, exec, s[8:9]
	s_and_b64 s[4:5], s[4:5], exec
	s_or_saveexec_b64 s[6:7], s[6:7]
	v_mov_b32_e32 v2, s10
	s_xor_b64 exec, exec, s[6:7]
	s_cbranch_execz .LBB16_714
.LBB16_2764:
	v_mov_b32_e32 v2, 0
	v_cmp_ne_u16_sdwa s[8:9], v3, v2 src0_sel:BYTE_0 src1_sel:DWORD
	s_andn2_b64 s[4:5], s[4:5], exec
	s_and_b64 s[8:9], s[8:9], exec
	s_or_b64 s[4:5], s[4:5], s[8:9]
	s_or_b64 exec, exec, s[6:7]
	s_and_saveexec_b64 s[6:7], s[4:5]
	s_cbranch_execnz .LBB16_715
	s_branch .LBB16_716
.LBB16_2765:
	s_movk_i32 s4, 0x80
	v_cmp_eq_u16_sdwa s[12:13], v3, s4 src0_sel:BYTE_0 src1_sel:DWORD
	s_mov_b64 s[4:5], -1
                                        ; implicit-def: $sgpr10
	s_and_saveexec_b64 s[8:9], s[12:13]
; %bb.2766:
	s_mov_b32 s10, 0x7f800001
	s_xor_b64 s[4:5], exec, -1
; %bb.2767:
	s_or_b64 exec, exec, s[8:9]
	s_and_b64 s[4:5], s[4:5], exec
	s_or_saveexec_b64 s[6:7], s[6:7]
	v_mov_b32_e32 v6, s10
	s_xor_b64 exec, exec, s[6:7]
	s_cbranch_execz .LBB16_718
.LBB16_2768:
	v_mov_b32_e32 v6, 0
	v_cmp_ne_u16_sdwa s[8:9], v3, v6 src0_sel:BYTE_0 src1_sel:DWORD
	s_andn2_b64 s[4:5], s[4:5], exec
	s_and_b64 s[8:9], s[8:9], exec
	s_or_b64 s[4:5], s[4:5], s[8:9]
	s_or_b64 exec, exec, s[6:7]
	s_and_saveexec_b64 s[6:7], s[4:5]
	s_cbranch_execnz .LBB16_719
	s_branch .LBB16_720
.LBB16_2769:
	s_movk_i32 s4, 0x80
	v_cmp_eq_u16_e32 vcc, s4, v3
	s_mov_b64 s[4:5], -1
                                        ; implicit-def: $sgpr10
	s_and_saveexec_b64 s[8:9], vcc
; %bb.2770:
	s_mov_b32 s10, 0x7f800001
	s_xor_b64 s[4:5], exec, -1
; %bb.2771:
	s_or_b64 exec, exec, s[8:9]
	s_and_b64 s[4:5], s[4:5], exec
                                        ; implicit-def: $vgpr3
	s_or_saveexec_b64 s[6:7], s[6:7]
	v_mov_b32_e32 v2, s10
	s_xor_b64 exec, exec, s[6:7]
	s_cbranch_execz .LBB16_722
.LBB16_2772:
	v_cmp_ne_u16_e32 vcc, 0, v3
	s_andn2_b64 s[4:5], s[4:5], exec
	s_and_b64 s[8:9], vcc, exec
	v_mov_b32_e32 v2, 0
	s_or_b64 s[4:5], s[4:5], s[8:9]
	s_or_b64 exec, exec, s[6:7]
	s_and_saveexec_b64 s[6:7], s[4:5]
	s_cbranch_execnz .LBB16_723
	s_branch .LBB16_724
.LBB16_2773:
	s_movk_i32 s4, 0x80
	v_cmp_eq_u16_e32 vcc, s4, v3
	s_mov_b64 s[4:5], -1
                                        ; implicit-def: $sgpr10
	s_and_saveexec_b64 s[8:9], vcc
; %bb.2774:
	s_mov_b32 s10, 0x7f800001
	s_xor_b64 s[4:5], exec, -1
; %bb.2775:
	s_or_b64 exec, exec, s[8:9]
	s_and_b64 s[4:5], s[4:5], exec
                                        ; implicit-def: $vgpr3
	s_or_saveexec_b64 s[6:7], s[6:7]
	v_mov_b32_e32 v6, s10
	s_xor_b64 exec, exec, s[6:7]
	s_cbranch_execz .LBB16_726
.LBB16_2776:
	v_cmp_ne_u16_e32 vcc, 0, v3
	s_andn2_b64 s[4:5], s[4:5], exec
	s_and_b64 s[8:9], vcc, exec
	v_mov_b32_e32 v6, 0
	s_or_b64 s[4:5], s[4:5], s[8:9]
	s_or_b64 exec, exec, s[6:7]
	s_and_saveexec_b64 s[6:7], s[4:5]
	s_cbranch_execnz .LBB16_727
	s_branch .LBB16_728
.LBB16_2777:
	s_movk_i32 s4, 0x80
	v_cmp_eq_u16_sdwa s[12:13], v8, s4 src0_sel:BYTE_3 src1_sel:DWORD
	s_mov_b64 s[4:5], -1
                                        ; implicit-def: $sgpr10
	s_and_saveexec_b64 s[8:9], s[12:13]
; %bb.2778:
	s_mov_b32 s10, 0x7f800001
	s_xor_b64 s[4:5], exec, -1
; %bb.2779:
	s_or_b64 exec, exec, s[8:9]
	s_and_b64 s[4:5], s[4:5], exec
	s_or_saveexec_b64 s[6:7], s[6:7]
	v_mov_b32_e32 v2, s10
	s_xor_b64 exec, exec, s[6:7]
	s_cbranch_execz .LBB16_730
.LBB16_2780:
	v_mov_b32_e32 v2, 0
	v_cmp_ne_u16_sdwa s[8:9], v8, v2 src0_sel:BYTE_3 src1_sel:DWORD
	s_andn2_b64 s[4:5], s[4:5], exec
	s_and_b64 s[8:9], s[8:9], exec
	s_or_b64 s[4:5], s[4:5], s[8:9]
	s_or_b64 exec, exec, s[6:7]
	s_and_saveexec_b64 s[6:7], s[4:5]
	s_cbranch_execnz .LBB16_731
	s_branch .LBB16_732
.LBB16_2781:
	s_movk_i32 s4, 0x80
	v_cmp_eq_u16_sdwa s[12:13], v4, s4 src0_sel:BYTE_3 src1_sel:DWORD
	s_mov_b64 s[4:5], -1
                                        ; implicit-def: $sgpr10
	s_and_saveexec_b64 s[8:9], s[12:13]
; %bb.2782:
	s_mov_b32 s10, 0x7f800001
	s_xor_b64 s[4:5], exec, -1
; %bb.2783:
	s_or_b64 exec, exec, s[8:9]
	s_and_b64 s[4:5], s[4:5], exec
	s_or_saveexec_b64 s[6:7], s[6:7]
	v_mov_b32_e32 v3, s10
	s_xor_b64 exec, exec, s[6:7]
	s_cbranch_execz .LBB16_734
.LBB16_2784:
	v_mov_b32_e32 v3, 0
	v_cmp_ne_u16_sdwa s[8:9], v4, v3 src0_sel:BYTE_3 src1_sel:DWORD
	s_andn2_b64 s[4:5], s[4:5], exec
	s_and_b64 s[8:9], s[8:9], exec
	s_or_b64 s[4:5], s[4:5], s[8:9]
	s_or_b64 exec, exec, s[6:7]
	s_and_saveexec_b64 s[6:7], s[4:5]
	s_cbranch_execnz .LBB16_735
	s_branch .LBB16_736
.LBB16_2785:
	s_movk_i32 s4, 0x80
	v_cmp_eq_u16_sdwa s[12:13], v9, s4 src0_sel:BYTE_0 src1_sel:DWORD
	s_mov_b64 s[4:5], -1
                                        ; implicit-def: $sgpr10
	s_and_saveexec_b64 s[8:9], s[12:13]
; %bb.2786:
	s_mov_b32 s10, 0x7f800001
	s_xor_b64 s[4:5], exec, -1
; %bb.2787:
	s_or_b64 exec, exec, s[8:9]
	s_and_b64 s[4:5], s[4:5], exec
	s_or_saveexec_b64 s[6:7], s[6:7]
	v_mov_b32_e32 v2, s10
	s_xor_b64 exec, exec, s[6:7]
	s_cbranch_execz .LBB16_738
.LBB16_2788:
	v_mov_b32_e32 v2, 0
	v_cmp_ne_u16_sdwa s[8:9], v9, v2 src0_sel:BYTE_0 src1_sel:DWORD
	s_andn2_b64 s[4:5], s[4:5], exec
	s_and_b64 s[8:9], s[8:9], exec
	s_or_b64 s[4:5], s[4:5], s[8:9]
	s_or_b64 exec, exec, s[6:7]
	s_and_saveexec_b64 s[6:7], s[4:5]
	s_cbranch_execnz .LBB16_739
	s_branch .LBB16_740
.LBB16_2789:
	s_movk_i32 s4, 0x80
	v_cmp_eq_u16_sdwa s[12:13], v5, s4 src0_sel:BYTE_0 src1_sel:DWORD
	s_mov_b64 s[4:5], -1
                                        ; implicit-def: $sgpr10
	s_and_saveexec_b64 s[8:9], s[12:13]
; %bb.2790:
	s_mov_b32 s10, 0x7f800001
	s_xor_b64 s[4:5], exec, -1
; %bb.2791:
	s_or_b64 exec, exec, s[8:9]
	s_and_b64 s[4:5], s[4:5], exec
	s_or_saveexec_b64 s[6:7], s[6:7]
	v_mov_b32_e32 v3, s10
	s_xor_b64 exec, exec, s[6:7]
	s_cbranch_execz .LBB16_742
.LBB16_2792:
	v_mov_b32_e32 v3, 0
	v_cmp_ne_u16_sdwa s[8:9], v5, v3 src0_sel:BYTE_0 src1_sel:DWORD
	s_andn2_b64 s[4:5], s[4:5], exec
	s_and_b64 s[8:9], s[8:9], exec
	s_or_b64 s[4:5], s[4:5], s[8:9]
	s_or_b64 exec, exec, s[6:7]
	s_and_saveexec_b64 s[6:7], s[4:5]
	s_cbranch_execnz .LBB16_743
	s_branch .LBB16_744
.LBB16_2793:
	s_movk_i32 s4, 0x80
	v_cmp_eq_u16_sdwa s[12:13], v3, s4 src0_sel:BYTE_0 src1_sel:DWORD
	s_mov_b64 s[4:5], -1
                                        ; implicit-def: $sgpr10
	s_and_saveexec_b64 s[8:9], s[12:13]
; %bb.2794:
	s_mov_b32 s10, 0x7f800001
	s_xor_b64 s[4:5], exec, -1
; %bb.2795:
	s_or_b64 exec, exec, s[8:9]
	s_and_b64 s[4:5], s[4:5], exec
	s_or_saveexec_b64 s[6:7], s[6:7]
	v_mov_b32_e32 v2, s10
	s_xor_b64 exec, exec, s[6:7]
	s_cbranch_execz .LBB16_746
.LBB16_2796:
	v_mov_b32_e32 v2, 0
	v_cmp_ne_u16_sdwa s[8:9], v3, v2 src0_sel:BYTE_0 src1_sel:DWORD
	s_andn2_b64 s[4:5], s[4:5], exec
	s_and_b64 s[8:9], s[8:9], exec
	s_or_b64 s[4:5], s[4:5], s[8:9]
	s_or_b64 exec, exec, s[6:7]
	s_and_saveexec_b64 s[6:7], s[4:5]
	s_cbranch_execnz .LBB16_747
	s_branch .LBB16_748
.LBB16_2797:
	s_movk_i32 s4, 0x80
	v_cmp_eq_u16_sdwa s[12:13], v3, s4 src0_sel:BYTE_0 src1_sel:DWORD
	s_mov_b64 s[4:5], -1
                                        ; implicit-def: $sgpr10
	s_and_saveexec_b64 s[8:9], s[12:13]
; %bb.2798:
	s_mov_b32 s10, 0x7f800001
	s_xor_b64 s[4:5], exec, -1
; %bb.2799:
	s_or_b64 exec, exec, s[8:9]
	s_and_b64 s[4:5], s[4:5], exec
	s_or_saveexec_b64 s[6:7], s[6:7]
	v_mov_b32_e32 v4, s10
	s_xor_b64 exec, exec, s[6:7]
	s_cbranch_execz .LBB16_750
.LBB16_2800:
	v_mov_b32_e32 v4, 0
	v_cmp_ne_u16_sdwa s[8:9], v3, v4 src0_sel:BYTE_0 src1_sel:DWORD
	s_andn2_b64 s[4:5], s[4:5], exec
	s_and_b64 s[8:9], s[8:9], exec
	s_or_b64 s[4:5], s[4:5], s[8:9]
	s_or_b64 exec, exec, s[6:7]
	s_and_saveexec_b64 s[6:7], s[4:5]
	s_cbranch_execnz .LBB16_751
	s_branch .LBB16_752
.LBB16_2801:
	s_movk_i32 s4, 0x80
	v_cmp_eq_u16_e32 vcc, s4, v3
	s_mov_b64 s[4:5], -1
                                        ; implicit-def: $sgpr10
	s_and_saveexec_b64 s[8:9], vcc
; %bb.2802:
	s_mov_b32 s10, 0x7f800001
	s_xor_b64 s[4:5], exec, -1
; %bb.2803:
	s_or_b64 exec, exec, s[8:9]
	s_and_b64 s[4:5], s[4:5], exec
                                        ; implicit-def: $vgpr3
	s_or_saveexec_b64 s[6:7], s[6:7]
	v_mov_b32_e32 v2, s10
	s_xor_b64 exec, exec, s[6:7]
	s_cbranch_execz .LBB16_754
.LBB16_2804:
	v_cmp_ne_u16_e32 vcc, 0, v3
	s_andn2_b64 s[4:5], s[4:5], exec
	s_and_b64 s[8:9], vcc, exec
	v_mov_b32_e32 v2, 0
	s_or_b64 s[4:5], s[4:5], s[8:9]
	s_or_b64 exec, exec, s[6:7]
	s_and_saveexec_b64 s[6:7], s[4:5]
	s_cbranch_execnz .LBB16_755
	s_branch .LBB16_756
.LBB16_2805:
	s_movk_i32 s4, 0x80
	v_cmp_eq_u16_e32 vcc, s4, v3
	s_mov_b64 s[4:5], -1
                                        ; implicit-def: $sgpr10
	s_and_saveexec_b64 s[8:9], vcc
; %bb.2806:
	s_mov_b32 s10, 0x7f800001
	s_xor_b64 s[4:5], exec, -1
; %bb.2807:
	s_or_b64 exec, exec, s[8:9]
	s_and_b64 s[4:5], s[4:5], exec
                                        ; implicit-def: $vgpr3
	s_or_saveexec_b64 s[6:7], s[6:7]
	v_mov_b32_e32 v4, s10
	s_xor_b64 exec, exec, s[6:7]
	s_cbranch_execz .LBB16_758
.LBB16_2808:
	v_cmp_ne_u16_e32 vcc, 0, v3
	s_andn2_b64 s[4:5], s[4:5], exec
	s_and_b64 s[8:9], vcc, exec
	v_mov_b32_e32 v4, 0
	s_or_b64 s[4:5], s[4:5], s[8:9]
	s_or_b64 exec, exec, s[6:7]
	s_and_saveexec_b64 s[6:7], s[4:5]
	s_cbranch_execnz .LBB16_759
	s_branch .LBB16_760
.LBB16_2809:
	s_movk_i32 s4, 0x80
	v_cmp_eq_u16_sdwa s[12:13], v9, s4 src0_sel:BYTE_3 src1_sel:DWORD
	s_mov_b64 s[4:5], -1
                                        ; implicit-def: $sgpr10
	s_and_saveexec_b64 s[8:9], s[12:13]
; %bb.2810:
	s_mov_b32 s10, 0x7f800001
	s_xor_b64 s[4:5], exec, -1
; %bb.2811:
	s_or_b64 exec, exec, s[8:9]
	s_and_b64 s[4:5], s[4:5], exec
	s_or_saveexec_b64 s[6:7], s[6:7]
	v_mov_b32_e32 v2, s10
	s_xor_b64 exec, exec, s[6:7]
	s_cbranch_execz .LBB16_762
.LBB16_2812:
	v_mov_b32_e32 v2, 0
	v_cmp_ne_u16_sdwa s[8:9], v9, v2 src0_sel:BYTE_3 src1_sel:DWORD
	s_andn2_b64 s[4:5], s[4:5], exec
	s_and_b64 s[8:9], s[8:9], exec
	s_or_b64 s[4:5], s[4:5], s[8:9]
	s_or_b64 exec, exec, s[6:7]
	s_and_saveexec_b64 s[6:7], s[4:5]
	s_cbranch_execnz .LBB16_763
	s_branch .LBB16_764
.LBB16_2813:
	s_movk_i32 s4, 0x80
	v_cmp_eq_u16_sdwa s[12:13], v5, s4 src0_sel:BYTE_3 src1_sel:DWORD
	s_mov_b64 s[4:5], -1
                                        ; implicit-def: $sgpr10
	s_and_saveexec_b64 s[8:9], s[12:13]
; %bb.2814:
	s_mov_b32 s10, 0x7f800001
	s_xor_b64 s[4:5], exec, -1
; %bb.2815:
	s_or_b64 exec, exec, s[8:9]
	s_and_b64 s[4:5], s[4:5], exec
	s_or_saveexec_b64 s[6:7], s[6:7]
	v_mov_b32_e32 v3, s10
	s_xor_b64 exec, exec, s[6:7]
	s_cbranch_execz .LBB16_766
.LBB16_2816:
	v_mov_b32_e32 v3, 0
	v_cmp_ne_u16_sdwa s[8:9], v5, v3 src0_sel:BYTE_3 src1_sel:DWORD
	s_andn2_b64 s[4:5], s[4:5], exec
	s_and_b64 s[8:9], s[8:9], exec
	s_or_b64 s[4:5], s[4:5], s[8:9]
	s_or_b64 exec, exec, s[6:7]
	s_and_saveexec_b64 s[6:7], s[4:5]
	s_cbranch_execnz .LBB16_767
	s_branch .LBB16_768
.LBB16_2817:
	s_movk_i32 s4, 0x80
	v_cmp_eq_u16_sdwa s[12:13], v14, s4 src0_sel:BYTE_0 src1_sel:DWORD
	s_mov_b64 s[4:5], -1
                                        ; implicit-def: $sgpr10
	s_and_saveexec_b64 s[8:9], s[12:13]
; %bb.2818:
	s_mov_b32 s10, 0x7f800001
	s_xor_b64 s[4:5], exec, -1
; %bb.2819:
	s_or_b64 exec, exec, s[8:9]
	s_and_b64 s[4:5], s[4:5], exec
	s_or_saveexec_b64 s[6:7], s[6:7]
	v_mov_b32_e32 v20, s10
	s_xor_b64 exec, exec, s[6:7]
	s_cbranch_execz .LBB16_770
.LBB16_2820:
	v_mov_b32_e32 v20, 0
	v_cmp_ne_u16_sdwa s[8:9], v14, v20 src0_sel:BYTE_0 src1_sel:DWORD
	s_andn2_b64 s[4:5], s[4:5], exec
	s_and_b64 s[8:9], s[8:9], exec
	s_or_b64 s[4:5], s[4:5], s[8:9]
	s_or_b64 exec, exec, s[6:7]
	s_and_saveexec_b64 s[6:7], s[4:5]
	s_cbranch_execnz .LBB16_771
	s_branch .LBB16_772
.LBB16_2821:
	s_movk_i32 s4, 0x80
	v_cmp_eq_u16_sdwa s[12:13], v10, s4 src0_sel:BYTE_0 src1_sel:DWORD
	s_mov_b64 s[4:5], -1
                                        ; implicit-def: $sgpr10
	s_and_saveexec_b64 s[8:9], s[12:13]
; %bb.2822:
	s_mov_b32 s10, 0x7f800001
	s_xor_b64 s[4:5], exec, -1
; %bb.2823:
	s_or_b64 exec, exec, s[8:9]
	s_and_b64 s[4:5], s[4:5], exec
	s_or_saveexec_b64 s[6:7], s[6:7]
	v_mov_b32_e32 v21, s10
	s_xor_b64 exec, exec, s[6:7]
	s_cbranch_execz .LBB16_774
.LBB16_2824:
	v_mov_b32_e32 v21, 0
	v_cmp_ne_u16_sdwa s[8:9], v10, v21 src0_sel:BYTE_0 src1_sel:DWORD
	s_andn2_b64 s[4:5], s[4:5], exec
	s_and_b64 s[8:9], s[8:9], exec
	s_or_b64 s[4:5], s[4:5], s[8:9]
	s_or_b64 exec, exec, s[6:7]
	s_and_saveexec_b64 s[6:7], s[4:5]
	s_cbranch_execnz .LBB16_775
	s_branch .LBB16_776
.LBB16_2825:
	s_movk_i32 s4, 0x80
	v_cmp_eq_u16_sdwa s[12:13], v21, s4 src0_sel:BYTE_0 src1_sel:DWORD
	s_mov_b64 s[4:5], -1
                                        ; implicit-def: $sgpr10
	s_and_saveexec_b64 s[8:9], s[12:13]
; %bb.2826:
	s_mov_b32 s10, 0x7f800001
	s_xor_b64 s[4:5], exec, -1
; %bb.2827:
	s_or_b64 exec, exec, s[8:9]
	s_and_b64 s[4:5], s[4:5], exec
	s_or_saveexec_b64 s[6:7], s[6:7]
	v_mov_b32_e32 v20, s10
	s_xor_b64 exec, exec, s[6:7]
	s_cbranch_execz .LBB16_778
.LBB16_2828:
	v_mov_b32_e32 v20, 0
	v_cmp_ne_u16_sdwa s[8:9], v21, v20 src0_sel:BYTE_0 src1_sel:DWORD
	s_andn2_b64 s[4:5], s[4:5], exec
	s_and_b64 s[8:9], s[8:9], exec
	s_or_b64 s[4:5], s[4:5], s[8:9]
	s_or_b64 exec, exec, s[6:7]
	s_and_saveexec_b64 s[6:7], s[4:5]
	s_cbranch_execnz .LBB16_779
	s_branch .LBB16_780
.LBB16_2829:
	s_movk_i32 s4, 0x80
	v_cmp_eq_u16_sdwa s[12:13], v21, s4 src0_sel:BYTE_0 src1_sel:DWORD
	s_mov_b64 s[4:5], -1
                                        ; implicit-def: $sgpr10
	s_and_saveexec_b64 s[8:9], s[12:13]
; %bb.2830:
	s_mov_b32 s10, 0x7f800001
	s_xor_b64 s[4:5], exec, -1
; %bb.2831:
	s_or_b64 exec, exec, s[8:9]
	s_and_b64 s[4:5], s[4:5], exec
	s_or_saveexec_b64 s[6:7], s[6:7]
	v_mov_b32_e32 v22, s10
	s_xor_b64 exec, exec, s[6:7]
	s_cbranch_execz .LBB16_782
.LBB16_2832:
	v_mov_b32_e32 v22, 0
	v_cmp_ne_u16_sdwa s[8:9], v21, v22 src0_sel:BYTE_0 src1_sel:DWORD
	s_andn2_b64 s[4:5], s[4:5], exec
	s_and_b64 s[8:9], s[8:9], exec
	s_or_b64 s[4:5], s[4:5], s[8:9]
	s_or_b64 exec, exec, s[6:7]
	s_and_saveexec_b64 s[6:7], s[4:5]
	s_cbranch_execnz .LBB16_783
	s_branch .LBB16_784
.LBB16_2833:
	s_movk_i32 s4, 0x80
	v_cmp_eq_u16_e32 vcc, s4, v21
	s_mov_b64 s[4:5], -1
                                        ; implicit-def: $sgpr10
	s_and_saveexec_b64 s[8:9], vcc
; %bb.2834:
	s_mov_b32 s10, 0x7f800001
	s_xor_b64 s[4:5], exec, -1
; %bb.2835:
	s_or_b64 exec, exec, s[8:9]
	s_and_b64 s[4:5], s[4:5], exec
                                        ; implicit-def: $vgpr21
	s_or_saveexec_b64 s[6:7], s[6:7]
	v_mov_b32_e32 v20, s10
	s_xor_b64 exec, exec, s[6:7]
	s_cbranch_execz .LBB16_786
.LBB16_2836:
	v_cmp_ne_u16_e32 vcc, 0, v21
	s_andn2_b64 s[4:5], s[4:5], exec
	s_and_b64 s[8:9], vcc, exec
	v_mov_b32_e32 v20, 0
	s_or_b64 s[4:5], s[4:5], s[8:9]
	s_or_b64 exec, exec, s[6:7]
	s_and_saveexec_b64 s[6:7], s[4:5]
	s_cbranch_execnz .LBB16_787
	s_branch .LBB16_788
.LBB16_2837:
	s_movk_i32 s4, 0x80
	v_cmp_eq_u16_e32 vcc, s4, v21
	s_mov_b64 s[4:5], -1
                                        ; implicit-def: $sgpr10
	s_and_saveexec_b64 s[8:9], vcc
; %bb.2838:
	s_mov_b32 s10, 0x7f800001
	s_xor_b64 s[4:5], exec, -1
; %bb.2839:
	s_or_b64 exec, exec, s[8:9]
	s_and_b64 s[4:5], s[4:5], exec
                                        ; implicit-def: $vgpr21
	s_or_saveexec_b64 s[6:7], s[6:7]
	v_mov_b32_e32 v22, s10
	s_xor_b64 exec, exec, s[6:7]
	s_cbranch_execz .LBB16_790
.LBB16_2840:
	v_cmp_ne_u16_e32 vcc, 0, v21
	s_andn2_b64 s[4:5], s[4:5], exec
	s_and_b64 s[8:9], vcc, exec
	v_mov_b32_e32 v22, 0
	s_or_b64 s[4:5], s[4:5], s[8:9]
	s_or_b64 exec, exec, s[6:7]
	s_and_saveexec_b64 s[6:7], s[4:5]
	s_cbranch_execnz .LBB16_791
	s_branch .LBB16_792
.LBB16_2841:
	s_movk_i32 s4, 0x80
	v_cmp_eq_u16_sdwa s[12:13], v14, s4 src0_sel:BYTE_3 src1_sel:DWORD
	s_mov_b64 s[4:5], -1
                                        ; implicit-def: $sgpr10
	s_and_saveexec_b64 s[8:9], s[12:13]
; %bb.2842:
	s_mov_b32 s10, 0x7f800001
	s_xor_b64 s[4:5], exec, -1
; %bb.2843:
	s_or_b64 exec, exec, s[8:9]
	s_and_b64 s[4:5], s[4:5], exec
	s_or_saveexec_b64 s[6:7], s[6:7]
	v_mov_b32_e32 v20, s10
	s_xor_b64 exec, exec, s[6:7]
	s_cbranch_execz .LBB16_794
.LBB16_2844:
	v_mov_b32_e32 v20, 0
	v_cmp_ne_u16_sdwa s[8:9], v14, v20 src0_sel:BYTE_3 src1_sel:DWORD
	s_andn2_b64 s[4:5], s[4:5], exec
	s_and_b64 s[8:9], s[8:9], exec
	s_or_b64 s[4:5], s[4:5], s[8:9]
	s_or_b64 exec, exec, s[6:7]
	s_and_saveexec_b64 s[6:7], s[4:5]
	s_cbranch_execnz .LBB16_795
	s_branch .LBB16_796
.LBB16_2845:
	s_movk_i32 s4, 0x80
	v_cmp_eq_u16_sdwa s[12:13], v10, s4 src0_sel:BYTE_3 src1_sel:DWORD
	s_mov_b64 s[4:5], -1
                                        ; implicit-def: $sgpr10
	s_and_saveexec_b64 s[8:9], s[12:13]
; %bb.2846:
	s_mov_b32 s10, 0x7f800001
	s_xor_b64 s[4:5], exec, -1
; %bb.2847:
	s_or_b64 exec, exec, s[8:9]
	s_and_b64 s[4:5], s[4:5], exec
	s_or_saveexec_b64 s[6:7], s[6:7]
	v_mov_b32_e32 v14, s10
	s_xor_b64 exec, exec, s[6:7]
	s_cbranch_execz .LBB16_798
.LBB16_2848:
	v_mov_b32_e32 v14, 0
	v_cmp_ne_u16_sdwa s[8:9], v10, v14 src0_sel:BYTE_3 src1_sel:DWORD
	s_andn2_b64 s[4:5], s[4:5], exec
	s_and_b64 s[8:9], s[8:9], exec
	s_or_b64 s[4:5], s[4:5], s[8:9]
	s_or_b64 exec, exec, s[6:7]
	s_and_saveexec_b64 s[6:7], s[4:5]
	s_cbranch_execnz .LBB16_799
	s_branch .LBB16_800
.LBB16_2849:
	s_movk_i32 s4, 0x80
	v_cmp_eq_u16_sdwa s[12:13], v15, s4 src0_sel:BYTE_0 src1_sel:DWORD
	s_mov_b64 s[4:5], -1
                                        ; implicit-def: $sgpr10
	s_and_saveexec_b64 s[8:9], s[12:13]
; %bb.2850:
	s_mov_b32 s10, 0x7f800001
	s_xor_b64 s[4:5], exec, -1
; %bb.2851:
	s_or_b64 exec, exec, s[8:9]
	s_and_b64 s[4:5], s[4:5], exec
	s_or_saveexec_b64 s[6:7], s[6:7]
	v_mov_b32_e32 v10, s10
	s_xor_b64 exec, exec, s[6:7]
	s_cbranch_execz .LBB16_802
.LBB16_2852:
	v_mov_b32_e32 v10, 0
	v_cmp_ne_u16_sdwa s[8:9], v15, v10 src0_sel:BYTE_0 src1_sel:DWORD
	s_andn2_b64 s[4:5], s[4:5], exec
	s_and_b64 s[8:9], s[8:9], exec
	s_or_b64 s[4:5], s[4:5], s[8:9]
	s_or_b64 exec, exec, s[6:7]
	s_and_saveexec_b64 s[6:7], s[4:5]
	s_cbranch_execnz .LBB16_803
	s_branch .LBB16_804
.LBB16_2853:
	s_movk_i32 s4, 0x80
	v_cmp_eq_u16_sdwa s[12:13], v11, s4 src0_sel:BYTE_0 src1_sel:DWORD
	s_mov_b64 s[4:5], -1
                                        ; implicit-def: $sgpr10
	s_and_saveexec_b64 s[8:9], s[12:13]
; %bb.2854:
	s_mov_b32 s10, 0x7f800001
	s_xor_b64 s[4:5], exec, -1
; %bb.2855:
	s_or_b64 exec, exec, s[8:9]
	s_and_b64 s[4:5], s[4:5], exec
	s_or_saveexec_b64 s[6:7], s[6:7]
	v_mov_b32_e32 v14, s10
	s_xor_b64 exec, exec, s[6:7]
	s_cbranch_execz .LBB16_806
.LBB16_2856:
	v_mov_b32_e32 v14, 0
	v_cmp_ne_u16_sdwa s[8:9], v11, v14 src0_sel:BYTE_0 src1_sel:DWORD
	s_andn2_b64 s[4:5], s[4:5], exec
	s_and_b64 s[8:9], s[8:9], exec
	s_or_b64 s[4:5], s[4:5], s[8:9]
	s_or_b64 exec, exec, s[6:7]
	s_and_saveexec_b64 s[6:7], s[4:5]
	s_cbranch_execnz .LBB16_807
	s_branch .LBB16_808
.LBB16_2857:
	s_movk_i32 s4, 0x80
	v_cmp_eq_u16_sdwa s[12:13], v14, s4 src0_sel:BYTE_0 src1_sel:DWORD
	s_mov_b64 s[4:5], -1
                                        ; implicit-def: $sgpr10
	s_and_saveexec_b64 s[8:9], s[12:13]
; %bb.2858:
	s_mov_b32 s10, 0x7f800001
	s_xor_b64 s[4:5], exec, -1
; %bb.2859:
	s_or_b64 exec, exec, s[8:9]
	s_and_b64 s[4:5], s[4:5], exec
	s_or_saveexec_b64 s[6:7], s[6:7]
	v_mov_b32_e32 v10, s10
	s_xor_b64 exec, exec, s[6:7]
	s_cbranch_execz .LBB16_810
.LBB16_2860:
	v_mov_b32_e32 v10, 0
	v_cmp_ne_u16_sdwa s[8:9], v14, v10 src0_sel:BYTE_0 src1_sel:DWORD
	s_andn2_b64 s[4:5], s[4:5], exec
	s_and_b64 s[8:9], s[8:9], exec
	s_or_b64 s[4:5], s[4:5], s[8:9]
	s_or_b64 exec, exec, s[6:7]
	s_and_saveexec_b64 s[6:7], s[4:5]
	s_cbranch_execnz .LBB16_811
	s_branch .LBB16_812
.LBB16_2861:
	s_movk_i32 s4, 0x80
	v_cmp_eq_u16_sdwa s[12:13], v14, s4 src0_sel:BYTE_0 src1_sel:DWORD
	s_mov_b64 s[4:5], -1
                                        ; implicit-def: $sgpr10
	s_and_saveexec_b64 s[8:9], s[12:13]
; %bb.2862:
	s_mov_b32 s10, 0x7f800001
	s_xor_b64 s[4:5], exec, -1
; %bb.2863:
	s_or_b64 exec, exec, s[8:9]
	s_and_b64 s[4:5], s[4:5], exec
	s_or_saveexec_b64 s[6:7], s[6:7]
	v_mov_b32_e32 v20, s10
	s_xor_b64 exec, exec, s[6:7]
	s_cbranch_execz .LBB16_814
.LBB16_2864:
	v_mov_b32_e32 v20, 0
	v_cmp_ne_u16_sdwa s[8:9], v14, v20 src0_sel:BYTE_0 src1_sel:DWORD
	s_andn2_b64 s[4:5], s[4:5], exec
	s_and_b64 s[8:9], s[8:9], exec
	s_or_b64 s[4:5], s[4:5], s[8:9]
	s_or_b64 exec, exec, s[6:7]
	s_and_saveexec_b64 s[6:7], s[4:5]
	s_cbranch_execnz .LBB16_815
	s_branch .LBB16_816
.LBB16_2865:
	s_movk_i32 s4, 0x80
	v_cmp_eq_u16_e32 vcc, s4, v14
	s_mov_b64 s[4:5], -1
                                        ; implicit-def: $sgpr10
	s_and_saveexec_b64 s[8:9], vcc
; %bb.2866:
	s_mov_b32 s10, 0x7f800001
	s_xor_b64 s[4:5], exec, -1
; %bb.2867:
	s_or_b64 exec, exec, s[8:9]
	s_and_b64 s[4:5], s[4:5], exec
                                        ; implicit-def: $vgpr14
	s_or_saveexec_b64 s[6:7], s[6:7]
	v_mov_b32_e32 v10, s10
	s_xor_b64 exec, exec, s[6:7]
	s_cbranch_execz .LBB16_818
.LBB16_2868:
	v_cmp_ne_u16_e32 vcc, 0, v14
	s_andn2_b64 s[4:5], s[4:5], exec
	s_and_b64 s[8:9], vcc, exec
	v_mov_b32_e32 v10, 0
	s_or_b64 s[4:5], s[4:5], s[8:9]
	s_or_b64 exec, exec, s[6:7]
	s_and_saveexec_b64 s[6:7], s[4:5]
	s_cbranch_execnz .LBB16_819
	s_branch .LBB16_820
.LBB16_2869:
	s_movk_i32 s4, 0x80
	v_cmp_eq_u16_e32 vcc, s4, v14
	s_mov_b64 s[4:5], -1
                                        ; implicit-def: $sgpr10
	s_and_saveexec_b64 s[8:9], vcc
; %bb.2870:
	s_mov_b32 s10, 0x7f800001
	s_xor_b64 s[4:5], exec, -1
; %bb.2871:
	s_or_b64 exec, exec, s[8:9]
	s_and_b64 s[4:5], s[4:5], exec
                                        ; implicit-def: $vgpr14
	s_or_saveexec_b64 s[6:7], s[6:7]
	v_mov_b32_e32 v20, s10
	s_xor_b64 exec, exec, s[6:7]
	s_cbranch_execz .LBB16_822
.LBB16_2872:
	v_cmp_ne_u16_e32 vcc, 0, v14
	s_andn2_b64 s[4:5], s[4:5], exec
	s_and_b64 s[8:9], vcc, exec
	v_mov_b32_e32 v20, 0
	s_or_b64 s[4:5], s[4:5], s[8:9]
	s_or_b64 exec, exec, s[6:7]
	s_and_saveexec_b64 s[6:7], s[4:5]
	s_cbranch_execnz .LBB16_823
	s_branch .LBB16_824
.LBB16_2873:
	s_movk_i32 s4, 0x80
	v_cmp_eq_u16_sdwa s[12:13], v15, s4 src0_sel:BYTE_3 src1_sel:DWORD
	s_mov_b64 s[4:5], -1
                                        ; implicit-def: $sgpr10
	s_and_saveexec_b64 s[8:9], s[12:13]
; %bb.2874:
	s_mov_b32 s10, 0x7f800001
	s_xor_b64 s[4:5], exec, -1
; %bb.2875:
	s_or_b64 exec, exec, s[8:9]
	s_and_b64 s[4:5], s[4:5], exec
	s_or_saveexec_b64 s[6:7], s[6:7]
	v_mov_b32_e32 v10, s10
	s_xor_b64 exec, exec, s[6:7]
	s_cbranch_execz .LBB16_826
.LBB16_2876:
	v_mov_b32_e32 v10, 0
	v_cmp_ne_u16_sdwa s[8:9], v15, v10 src0_sel:BYTE_3 src1_sel:DWORD
	s_andn2_b64 s[4:5], s[4:5], exec
	s_and_b64 s[8:9], s[8:9], exec
	s_or_b64 s[4:5], s[4:5], s[8:9]
	s_or_b64 exec, exec, s[6:7]
	s_and_saveexec_b64 s[6:7], s[4:5]
	s_cbranch_execnz .LBB16_827
	s_branch .LBB16_828
.LBB16_2877:
	s_movk_i32 s4, 0x80
	v_cmp_eq_u16_sdwa s[12:13], v11, s4 src0_sel:BYTE_3 src1_sel:DWORD
	s_mov_b64 s[4:5], -1
                                        ; implicit-def: $sgpr10
	s_and_saveexec_b64 s[8:9], s[12:13]
; %bb.2878:
	s_mov_b32 s10, 0x7f800001
	s_xor_b64 s[4:5], exec, -1
; %bb.2879:
	s_or_b64 exec, exec, s[8:9]
	s_and_b64 s[4:5], s[4:5], exec
	s_or_saveexec_b64 s[6:7], s[6:7]
	v_mov_b32_e32 v14, s10
	s_xor_b64 exec, exec, s[6:7]
	s_cbranch_execz .LBB16_830
.LBB16_2880:
	v_mov_b32_e32 v14, 0
	v_cmp_ne_u16_sdwa s[8:9], v11, v14 src0_sel:BYTE_3 src1_sel:DWORD
	s_andn2_b64 s[4:5], s[4:5], exec
	s_and_b64 s[8:9], s[8:9], exec
	s_or_b64 s[4:5], s[4:5], s[8:9]
	s_or_b64 exec, exec, s[6:7]
	s_and_saveexec_b64 s[6:7], s[4:5]
	s_cbranch_execnz .LBB16_831
	s_branch .LBB16_832
.LBB16_2881:
	s_movk_i32 s4, 0x80
	v_cmp_eq_u16_sdwa s[12:13], v16, s4 src0_sel:BYTE_0 src1_sel:DWORD
	s_mov_b64 s[4:5], -1
                                        ; implicit-def: $sgpr10
	s_and_saveexec_b64 s[8:9], s[12:13]
; %bb.2882:
	s_mov_b32 s10, 0x7f800001
	s_xor_b64 s[4:5], exec, -1
; %bb.2883:
	s_or_b64 exec, exec, s[8:9]
	s_and_b64 s[4:5], s[4:5], exec
	s_or_saveexec_b64 s[6:7], s[6:7]
	v_mov_b32_e32 v10, s10
	s_xor_b64 exec, exec, s[6:7]
	s_cbranch_execz .LBB16_834
.LBB16_2884:
	v_mov_b32_e32 v10, 0
	v_cmp_ne_u16_sdwa s[8:9], v16, v10 src0_sel:BYTE_0 src1_sel:DWORD
	s_andn2_b64 s[4:5], s[4:5], exec
	s_and_b64 s[8:9], s[8:9], exec
	s_or_b64 s[4:5], s[4:5], s[8:9]
	s_or_b64 exec, exec, s[6:7]
	s_and_saveexec_b64 s[6:7], s[4:5]
	s_cbranch_execnz .LBB16_835
	s_branch .LBB16_836
.LBB16_2885:
	s_movk_i32 s4, 0x80
	v_cmp_eq_u16_sdwa s[12:13], v12, s4 src0_sel:BYTE_0 src1_sel:DWORD
	s_mov_b64 s[4:5], -1
                                        ; implicit-def: $sgpr10
	s_and_saveexec_b64 s[8:9], s[12:13]
; %bb.2886:
	s_mov_b32 s10, 0x7f800001
	s_xor_b64 s[4:5], exec, -1
; %bb.2887:
	s_or_b64 exec, exec, s[8:9]
	s_and_b64 s[4:5], s[4:5], exec
	s_or_saveexec_b64 s[6:7], s[6:7]
	v_mov_b32_e32 v11, s10
	s_xor_b64 exec, exec, s[6:7]
	s_cbranch_execz .LBB16_838
.LBB16_2888:
	v_mov_b32_e32 v11, 0
	v_cmp_ne_u16_sdwa s[8:9], v12, v11 src0_sel:BYTE_0 src1_sel:DWORD
	s_andn2_b64 s[4:5], s[4:5], exec
	s_and_b64 s[8:9], s[8:9], exec
	s_or_b64 s[4:5], s[4:5], s[8:9]
	s_or_b64 exec, exec, s[6:7]
	s_and_saveexec_b64 s[6:7], s[4:5]
	s_cbranch_execnz .LBB16_839
	s_branch .LBB16_840
.LBB16_2889:
	s_movk_i32 s4, 0x80
	v_cmp_eq_u16_sdwa s[12:13], v11, s4 src0_sel:BYTE_0 src1_sel:DWORD
	s_mov_b64 s[4:5], -1
                                        ; implicit-def: $sgpr10
	s_and_saveexec_b64 s[8:9], s[12:13]
; %bb.2890:
	s_mov_b32 s10, 0x7f800001
	s_xor_b64 s[4:5], exec, -1
; %bb.2891:
	s_or_b64 exec, exec, s[8:9]
	s_and_b64 s[4:5], s[4:5], exec
	s_or_saveexec_b64 s[6:7], s[6:7]
	v_mov_b32_e32 v10, s10
	s_xor_b64 exec, exec, s[6:7]
	s_cbranch_execz .LBB16_842
.LBB16_2892:
	v_mov_b32_e32 v10, 0
	v_cmp_ne_u16_sdwa s[8:9], v11, v10 src0_sel:BYTE_0 src1_sel:DWORD
	s_andn2_b64 s[4:5], s[4:5], exec
	s_and_b64 s[8:9], s[8:9], exec
	s_or_b64 s[4:5], s[4:5], s[8:9]
	s_or_b64 exec, exec, s[6:7]
	s_and_saveexec_b64 s[6:7], s[4:5]
	s_cbranch_execnz .LBB16_843
	s_branch .LBB16_844
.LBB16_2893:
	s_movk_i32 s4, 0x80
	v_cmp_eq_u16_sdwa s[12:13], v11, s4 src0_sel:BYTE_0 src1_sel:DWORD
	s_mov_b64 s[4:5], -1
                                        ; implicit-def: $sgpr10
	s_and_saveexec_b64 s[8:9], s[12:13]
; %bb.2894:
	s_mov_b32 s10, 0x7f800001
	s_xor_b64 s[4:5], exec, -1
; %bb.2895:
	s_or_b64 exec, exec, s[8:9]
	s_and_b64 s[4:5], s[4:5], exec
	s_or_saveexec_b64 s[6:7], s[6:7]
	v_mov_b32_e32 v14, s10
	s_xor_b64 exec, exec, s[6:7]
	s_cbranch_execz .LBB16_846
.LBB16_2896:
	v_mov_b32_e32 v14, 0
	v_cmp_ne_u16_sdwa s[8:9], v11, v14 src0_sel:BYTE_0 src1_sel:DWORD
	s_andn2_b64 s[4:5], s[4:5], exec
	s_and_b64 s[8:9], s[8:9], exec
	s_or_b64 s[4:5], s[4:5], s[8:9]
	s_or_b64 exec, exec, s[6:7]
	s_and_saveexec_b64 s[6:7], s[4:5]
	s_cbranch_execnz .LBB16_847
	s_branch .LBB16_848
.LBB16_2897:
	s_movk_i32 s4, 0x80
	v_cmp_eq_u16_e32 vcc, s4, v11
	s_mov_b64 s[4:5], -1
                                        ; implicit-def: $sgpr10
	s_and_saveexec_b64 s[8:9], vcc
; %bb.2898:
	s_mov_b32 s10, 0x7f800001
	s_xor_b64 s[4:5], exec, -1
; %bb.2899:
	s_or_b64 exec, exec, s[8:9]
	s_and_b64 s[4:5], s[4:5], exec
                                        ; implicit-def: $vgpr11
	s_or_saveexec_b64 s[6:7], s[6:7]
	v_mov_b32_e32 v10, s10
	s_xor_b64 exec, exec, s[6:7]
	s_cbranch_execz .LBB16_850
.LBB16_2900:
	v_cmp_ne_u16_e32 vcc, 0, v11
	s_andn2_b64 s[4:5], s[4:5], exec
	s_and_b64 s[8:9], vcc, exec
	v_mov_b32_e32 v10, 0
	s_or_b64 s[4:5], s[4:5], s[8:9]
	s_or_b64 exec, exec, s[6:7]
	s_and_saveexec_b64 s[6:7], s[4:5]
	s_cbranch_execnz .LBB16_851
	s_branch .LBB16_852
.LBB16_2901:
	s_movk_i32 s4, 0x80
	v_cmp_eq_u16_e32 vcc, s4, v11
	s_mov_b64 s[4:5], -1
                                        ; implicit-def: $sgpr10
	s_and_saveexec_b64 s[8:9], vcc
; %bb.2902:
	s_mov_b32 s10, 0x7f800001
	s_xor_b64 s[4:5], exec, -1
; %bb.2903:
	s_or_b64 exec, exec, s[8:9]
	s_and_b64 s[4:5], s[4:5], exec
                                        ; implicit-def: $vgpr11
	s_or_saveexec_b64 s[6:7], s[6:7]
	v_mov_b32_e32 v14, s10
	s_xor_b64 exec, exec, s[6:7]
	s_cbranch_execz .LBB16_854
.LBB16_2904:
	v_cmp_ne_u16_e32 vcc, 0, v11
	s_andn2_b64 s[4:5], s[4:5], exec
	s_and_b64 s[8:9], vcc, exec
	v_mov_b32_e32 v14, 0
	s_or_b64 s[4:5], s[4:5], s[8:9]
	s_or_b64 exec, exec, s[6:7]
	s_and_saveexec_b64 s[6:7], s[4:5]
	s_cbranch_execnz .LBB16_855
	s_branch .LBB16_856
.LBB16_2905:
	s_movk_i32 s4, 0x80
	v_cmp_eq_u16_sdwa s[12:13], v16, s4 src0_sel:BYTE_3 src1_sel:DWORD
	s_mov_b64 s[4:5], -1
                                        ; implicit-def: $sgpr10
	s_and_saveexec_b64 s[8:9], s[12:13]
; %bb.2906:
	s_mov_b32 s10, 0x7f800001
	s_xor_b64 s[4:5], exec, -1
; %bb.2907:
	s_or_b64 exec, exec, s[8:9]
	s_and_b64 s[4:5], s[4:5], exec
	s_or_saveexec_b64 s[6:7], s[6:7]
	v_mov_b32_e32 v10, s10
	s_xor_b64 exec, exec, s[6:7]
	s_cbranch_execz .LBB16_858
.LBB16_2908:
	v_mov_b32_e32 v10, 0
	v_cmp_ne_u16_sdwa s[8:9], v16, v10 src0_sel:BYTE_3 src1_sel:DWORD
	s_andn2_b64 s[4:5], s[4:5], exec
	s_and_b64 s[8:9], s[8:9], exec
	s_or_b64 s[4:5], s[4:5], s[8:9]
	s_or_b64 exec, exec, s[6:7]
	s_and_saveexec_b64 s[6:7], s[4:5]
	s_cbranch_execnz .LBB16_859
	s_branch .LBB16_860
.LBB16_2909:
	s_movk_i32 s4, 0x80
	v_cmp_eq_u16_sdwa s[12:13], v12, s4 src0_sel:BYTE_3 src1_sel:DWORD
	s_mov_b64 s[4:5], -1
                                        ; implicit-def: $sgpr10
	s_and_saveexec_b64 s[8:9], s[12:13]
; %bb.2910:
	s_mov_b32 s10, 0x7f800001
	s_xor_b64 s[4:5], exec, -1
; %bb.2911:
	s_or_b64 exec, exec, s[8:9]
	s_and_b64 s[4:5], s[4:5], exec
	s_or_saveexec_b64 s[6:7], s[6:7]
	v_mov_b32_e32 v11, s10
	s_xor_b64 exec, exec, s[6:7]
	s_cbranch_execz .LBB16_862
.LBB16_2912:
	v_mov_b32_e32 v11, 0
	v_cmp_ne_u16_sdwa s[8:9], v12, v11 src0_sel:BYTE_3 src1_sel:DWORD
	s_andn2_b64 s[4:5], s[4:5], exec
	s_and_b64 s[8:9], s[8:9], exec
	s_or_b64 s[4:5], s[4:5], s[8:9]
	s_or_b64 exec, exec, s[6:7]
	s_and_saveexec_b64 s[6:7], s[4:5]
	s_cbranch_execnz .LBB16_863
	s_branch .LBB16_864
.LBB16_2913:
	s_movk_i32 s4, 0x80
	v_cmp_eq_u16_sdwa s[12:13], v17, s4 src0_sel:BYTE_0 src1_sel:DWORD
	s_mov_b64 s[4:5], -1
                                        ; implicit-def: $sgpr10
	s_and_saveexec_b64 s[8:9], s[12:13]
; %bb.2914:
	s_mov_b32 s10, 0x7f800001
	s_xor_b64 s[4:5], exec, -1
; %bb.2915:
	s_or_b64 exec, exec, s[8:9]
	s_and_b64 s[4:5], s[4:5], exec
	s_or_saveexec_b64 s[6:7], s[6:7]
	v_mov_b32_e32 v10, s10
	s_xor_b64 exec, exec, s[6:7]
	s_cbranch_execz .LBB16_866
.LBB16_2916:
	v_mov_b32_e32 v10, 0
	v_cmp_ne_u16_sdwa s[8:9], v17, v10 src0_sel:BYTE_0 src1_sel:DWORD
	s_andn2_b64 s[4:5], s[4:5], exec
	s_and_b64 s[8:9], s[8:9], exec
	s_or_b64 s[4:5], s[4:5], s[8:9]
	s_or_b64 exec, exec, s[6:7]
	s_and_saveexec_b64 s[6:7], s[4:5]
	s_cbranch_execnz .LBB16_867
	s_branch .LBB16_868
.LBB16_2917:
	s_movk_i32 s4, 0x80
	v_cmp_eq_u16_sdwa s[12:13], v13, s4 src0_sel:BYTE_0 src1_sel:DWORD
	s_mov_b64 s[4:5], -1
                                        ; implicit-def: $sgpr10
	s_and_saveexec_b64 s[8:9], s[12:13]
; %bb.2918:
	s_mov_b32 s10, 0x7f800001
	s_xor_b64 s[4:5], exec, -1
; %bb.2919:
	s_or_b64 exec, exec, s[8:9]
	s_and_b64 s[4:5], s[4:5], exec
	s_or_saveexec_b64 s[6:7], s[6:7]
	v_mov_b32_e32 v11, s10
	s_xor_b64 exec, exec, s[6:7]
	s_cbranch_execz .LBB16_870
.LBB16_2920:
	v_mov_b32_e32 v11, 0
	v_cmp_ne_u16_sdwa s[8:9], v13, v11 src0_sel:BYTE_0 src1_sel:DWORD
	s_andn2_b64 s[4:5], s[4:5], exec
	s_and_b64 s[8:9], s[8:9], exec
	s_or_b64 s[4:5], s[4:5], s[8:9]
	s_or_b64 exec, exec, s[6:7]
	s_and_saveexec_b64 s[6:7], s[4:5]
	s_cbranch_execnz .LBB16_871
	s_branch .LBB16_872
.LBB16_2921:
	s_movk_i32 s4, 0x80
	v_cmp_eq_u16_sdwa s[12:13], v11, s4 src0_sel:BYTE_0 src1_sel:DWORD
	s_mov_b64 s[4:5], -1
                                        ; implicit-def: $sgpr10
	s_and_saveexec_b64 s[8:9], s[12:13]
; %bb.2922:
	s_mov_b32 s10, 0x7f800001
	s_xor_b64 s[4:5], exec, -1
; %bb.2923:
	s_or_b64 exec, exec, s[8:9]
	s_and_b64 s[4:5], s[4:5], exec
	s_or_saveexec_b64 s[6:7], s[6:7]
	v_mov_b32_e32 v10, s10
	s_xor_b64 exec, exec, s[6:7]
	s_cbranch_execz .LBB16_874
.LBB16_2924:
	v_mov_b32_e32 v10, 0
	v_cmp_ne_u16_sdwa s[8:9], v11, v10 src0_sel:BYTE_0 src1_sel:DWORD
	s_andn2_b64 s[4:5], s[4:5], exec
	s_and_b64 s[8:9], s[8:9], exec
	s_or_b64 s[4:5], s[4:5], s[8:9]
	s_or_b64 exec, exec, s[6:7]
	s_and_saveexec_b64 s[6:7], s[4:5]
	s_cbranch_execnz .LBB16_875
	s_branch .LBB16_876
.LBB16_2925:
	s_movk_i32 s4, 0x80
	v_cmp_eq_u16_sdwa s[12:13], v11, s4 src0_sel:BYTE_0 src1_sel:DWORD
	s_mov_b64 s[4:5], -1
                                        ; implicit-def: $sgpr10
	s_and_saveexec_b64 s[8:9], s[12:13]
; %bb.2926:
	s_mov_b32 s10, 0x7f800001
	s_xor_b64 s[4:5], exec, -1
; %bb.2927:
	s_or_b64 exec, exec, s[8:9]
	s_and_b64 s[4:5], s[4:5], exec
	s_or_saveexec_b64 s[6:7], s[6:7]
	v_mov_b32_e32 v12, s10
	s_xor_b64 exec, exec, s[6:7]
	s_cbranch_execz .LBB16_878
.LBB16_2928:
	v_mov_b32_e32 v12, 0
	v_cmp_ne_u16_sdwa s[8:9], v11, v12 src0_sel:BYTE_0 src1_sel:DWORD
	s_andn2_b64 s[4:5], s[4:5], exec
	s_and_b64 s[8:9], s[8:9], exec
	s_or_b64 s[4:5], s[4:5], s[8:9]
	s_or_b64 exec, exec, s[6:7]
	s_and_saveexec_b64 s[6:7], s[4:5]
	s_cbranch_execnz .LBB16_879
	s_branch .LBB16_880
.LBB16_2929:
	s_movk_i32 s4, 0x80
	v_cmp_eq_u16_e32 vcc, s4, v11
	s_mov_b64 s[4:5], -1
                                        ; implicit-def: $sgpr10
	s_and_saveexec_b64 s[8:9], vcc
; %bb.2930:
	s_mov_b32 s10, 0x7f800001
	s_xor_b64 s[4:5], exec, -1
; %bb.2931:
	s_or_b64 exec, exec, s[8:9]
	s_and_b64 s[4:5], s[4:5], exec
                                        ; implicit-def: $vgpr11
	s_or_saveexec_b64 s[6:7], s[6:7]
	v_mov_b32_e32 v10, s10
	s_xor_b64 exec, exec, s[6:7]
	s_cbranch_execz .LBB16_882
.LBB16_2932:
	v_cmp_ne_u16_e32 vcc, 0, v11
	s_andn2_b64 s[4:5], s[4:5], exec
	s_and_b64 s[8:9], vcc, exec
	v_mov_b32_e32 v10, 0
	s_or_b64 s[4:5], s[4:5], s[8:9]
	s_or_b64 exec, exec, s[6:7]
	s_and_saveexec_b64 s[6:7], s[4:5]
	s_cbranch_execnz .LBB16_883
	s_branch .LBB16_884
.LBB16_2933:
	s_movk_i32 s4, 0x80
	v_cmp_eq_u16_e32 vcc, s4, v11
	s_mov_b64 s[4:5], -1
                                        ; implicit-def: $sgpr10
	s_and_saveexec_b64 s[8:9], vcc
; %bb.2934:
	s_mov_b32 s10, 0x7f800001
	s_xor_b64 s[4:5], exec, -1
; %bb.2935:
	s_or_b64 exec, exec, s[8:9]
	s_and_b64 s[4:5], s[4:5], exec
                                        ; implicit-def: $vgpr11
	s_or_saveexec_b64 s[6:7], s[6:7]
	v_mov_b32_e32 v12, s10
	s_xor_b64 exec, exec, s[6:7]
	s_cbranch_execz .LBB16_886
.LBB16_2936:
	v_cmp_ne_u16_e32 vcc, 0, v11
	s_andn2_b64 s[4:5], s[4:5], exec
	s_and_b64 s[8:9], vcc, exec
	v_mov_b32_e32 v12, 0
	s_or_b64 s[4:5], s[4:5], s[8:9]
	s_or_b64 exec, exec, s[6:7]
	s_and_saveexec_b64 s[6:7], s[4:5]
	s_cbranch_execnz .LBB16_887
	s_branch .LBB16_888
.LBB16_2937:
	s_movk_i32 s4, 0x80
	v_cmp_eq_u16_sdwa s[12:13], v17, s4 src0_sel:BYTE_3 src1_sel:DWORD
	s_mov_b64 s[4:5], -1
                                        ; implicit-def: $sgpr10
	s_and_saveexec_b64 s[8:9], s[12:13]
; %bb.2938:
	s_mov_b32 s10, 0x7f800001
	s_xor_b64 s[4:5], exec, -1
; %bb.2939:
	s_or_b64 exec, exec, s[8:9]
	s_and_b64 s[4:5], s[4:5], exec
	s_or_saveexec_b64 s[6:7], s[6:7]
	v_mov_b32_e32 v10, s10
	s_xor_b64 exec, exec, s[6:7]
	s_cbranch_execz .LBB16_890
.LBB16_2940:
	v_mov_b32_e32 v10, 0
	v_cmp_ne_u16_sdwa s[8:9], v17, v10 src0_sel:BYTE_3 src1_sel:DWORD
	s_andn2_b64 s[4:5], s[4:5], exec
	s_and_b64 s[8:9], s[8:9], exec
	s_or_b64 s[4:5], s[4:5], s[8:9]
	s_or_b64 exec, exec, s[6:7]
	s_and_saveexec_b64 s[6:7], s[4:5]
	s_cbranch_execnz .LBB16_891
	s_branch .LBB16_892
.LBB16_2941:
	s_movk_i32 s4, 0x80
	v_cmp_eq_u16_sdwa s[12:13], v13, s4 src0_sel:BYTE_3 src1_sel:DWORD
	s_mov_b64 s[4:5], -1
                                        ; implicit-def: $sgpr10
	s_and_saveexec_b64 s[8:9], s[12:13]
; %bb.2942:
	s_mov_b32 s10, 0x7f800001
	s_xor_b64 s[4:5], exec, -1
; %bb.2943:
	s_or_b64 exec, exec, s[8:9]
	s_and_b64 s[4:5], s[4:5], exec
	s_or_saveexec_b64 s[6:7], s[6:7]
	v_mov_b32_e32 v11, s10
	s_xor_b64 exec, exec, s[6:7]
	s_cbranch_execz .LBB16_894
.LBB16_2944:
	v_mov_b32_e32 v11, 0
	v_cmp_ne_u16_sdwa s[8:9], v13, v11 src0_sel:BYTE_3 src1_sel:DWORD
	s_andn2_b64 s[4:5], s[4:5], exec
	s_and_b64 s[8:9], s[8:9], exec
	s_or_b64 s[4:5], s[4:5], s[8:9]
	s_or_b64 exec, exec, s[6:7]
	s_and_saveexec_b64 s[6:7], s[4:5]
	s_cbranch_execnz .LBB16_895
	s_branch .LBB16_896
.LBB16_2945:
	s_movk_i32 s4, 0x80
	v_cmp_eq_u16_sdwa s[12:13], v6, s4 src0_sel:BYTE_0 src1_sel:DWORD
	s_mov_b64 s[4:5], -1
                                        ; implicit-def: $sgpr10
	s_and_saveexec_b64 s[8:9], s[12:13]
; %bb.2946:
	s_mov_b32 s10, 0x7f800001
	s_xor_b64 s[4:5], exec, -1
; %bb.2947:
	s_or_b64 exec, exec, s[8:9]
	s_and_b64 s[4:5], s[4:5], exec
	s_or_saveexec_b64 s[6:7], s[6:7]
	v_mov_b32_e32 v10, s10
	s_xor_b64 exec, exec, s[6:7]
	s_cbranch_execz .LBB16_898
.LBB16_2948:
	v_mov_b32_e32 v10, 0
	v_cmp_ne_u16_sdwa s[8:9], v6, v10 src0_sel:BYTE_0 src1_sel:DWORD
	s_andn2_b64 s[4:5], s[4:5], exec
	s_and_b64 s[8:9], s[8:9], exec
	s_or_b64 s[4:5], s[4:5], s[8:9]
	s_or_b64 exec, exec, s[6:7]
	s_and_saveexec_b64 s[6:7], s[4:5]
	s_cbranch_execnz .LBB16_899
	s_branch .LBB16_900
.LBB16_2949:
	s_movk_i32 s4, 0x80
	v_cmp_eq_u16_sdwa s[12:13], v2, s4 src0_sel:BYTE_0 src1_sel:DWORD
	s_mov_b64 s[4:5], -1
                                        ; implicit-def: $sgpr10
	s_and_saveexec_b64 s[8:9], s[12:13]
; %bb.2950:
	s_mov_b32 s10, 0x7f800001
	s_xor_b64 s[4:5], exec, -1
; %bb.2951:
	s_or_b64 exec, exec, s[8:9]
	s_and_b64 s[4:5], s[4:5], exec
	s_or_saveexec_b64 s[6:7], s[6:7]
	v_mov_b32_e32 v11, s10
	s_xor_b64 exec, exec, s[6:7]
	s_cbranch_execz .LBB16_902
.LBB16_2952:
	v_mov_b32_e32 v11, 0
	v_cmp_ne_u16_sdwa s[8:9], v2, v11 src0_sel:BYTE_0 src1_sel:DWORD
	s_andn2_b64 s[4:5], s[4:5], exec
	s_and_b64 s[8:9], s[8:9], exec
	s_or_b64 s[4:5], s[4:5], s[8:9]
	s_or_b64 exec, exec, s[6:7]
	s_and_saveexec_b64 s[6:7], s[4:5]
	s_cbranch_execnz .LBB16_903
	s_branch .LBB16_904
.LBB16_2953:
	s_movk_i32 s4, 0x80
	v_cmp_eq_u16_sdwa s[12:13], v11, s4 src0_sel:BYTE_0 src1_sel:DWORD
	s_mov_b64 s[4:5], -1
                                        ; implicit-def: $sgpr10
	s_and_saveexec_b64 s[8:9], s[12:13]
; %bb.2954:
	s_mov_b32 s10, 0x7f800001
	s_xor_b64 s[4:5], exec, -1
; %bb.2955:
	s_or_b64 exec, exec, s[8:9]
	s_and_b64 s[4:5], s[4:5], exec
	s_or_saveexec_b64 s[6:7], s[6:7]
	v_mov_b32_e32 v10, s10
	s_xor_b64 exec, exec, s[6:7]
	s_cbranch_execz .LBB16_906
.LBB16_2956:
	v_mov_b32_e32 v10, 0
	v_cmp_ne_u16_sdwa s[8:9], v11, v10 src0_sel:BYTE_0 src1_sel:DWORD
	s_andn2_b64 s[4:5], s[4:5], exec
	s_and_b64 s[8:9], s[8:9], exec
	s_or_b64 s[4:5], s[4:5], s[8:9]
	s_or_b64 exec, exec, s[6:7]
	s_and_saveexec_b64 s[6:7], s[4:5]
	s_cbranch_execnz .LBB16_907
	s_branch .LBB16_908
.LBB16_2957:
	s_movk_i32 s4, 0x80
	v_cmp_eq_u16_sdwa s[12:13], v11, s4 src0_sel:BYTE_0 src1_sel:DWORD
	s_mov_b64 s[4:5], -1
                                        ; implicit-def: $sgpr10
	s_and_saveexec_b64 s[8:9], s[12:13]
; %bb.2958:
	s_mov_b32 s10, 0x7f800001
	s_xor_b64 s[4:5], exec, -1
; %bb.2959:
	s_or_b64 exec, exec, s[8:9]
	s_and_b64 s[4:5], s[4:5], exec
	s_or_saveexec_b64 s[6:7], s[6:7]
	v_mov_b32_e32 v12, s10
	s_xor_b64 exec, exec, s[6:7]
	s_cbranch_execz .LBB16_910
.LBB16_2960:
	v_mov_b32_e32 v12, 0
	v_cmp_ne_u16_sdwa s[8:9], v11, v12 src0_sel:BYTE_0 src1_sel:DWORD
	s_andn2_b64 s[4:5], s[4:5], exec
	s_and_b64 s[8:9], s[8:9], exec
	s_or_b64 s[4:5], s[4:5], s[8:9]
	s_or_b64 exec, exec, s[6:7]
	s_and_saveexec_b64 s[6:7], s[4:5]
	s_cbranch_execnz .LBB16_911
	s_branch .LBB16_912
.LBB16_2961:
	s_movk_i32 s4, 0x80
	v_cmp_eq_u16_e32 vcc, s4, v11
	s_mov_b64 s[4:5], -1
                                        ; implicit-def: $sgpr10
	s_and_saveexec_b64 s[8:9], vcc
; %bb.2962:
	s_mov_b32 s10, 0x7f800001
	s_xor_b64 s[4:5], exec, -1
; %bb.2963:
	s_or_b64 exec, exec, s[8:9]
	s_and_b64 s[4:5], s[4:5], exec
                                        ; implicit-def: $vgpr11
	s_or_saveexec_b64 s[6:7], s[6:7]
	v_mov_b32_e32 v10, s10
	s_xor_b64 exec, exec, s[6:7]
	s_cbranch_execz .LBB16_914
.LBB16_2964:
	v_cmp_ne_u16_e32 vcc, 0, v11
	s_andn2_b64 s[4:5], s[4:5], exec
	s_and_b64 s[8:9], vcc, exec
	v_mov_b32_e32 v10, 0
	s_or_b64 s[4:5], s[4:5], s[8:9]
	s_or_b64 exec, exec, s[6:7]
	s_and_saveexec_b64 s[6:7], s[4:5]
	s_cbranch_execnz .LBB16_915
	s_branch .LBB16_916
.LBB16_2965:
	s_movk_i32 s4, 0x80
	v_cmp_eq_u16_e32 vcc, s4, v11
	s_mov_b64 s[4:5], -1
                                        ; implicit-def: $sgpr10
	s_and_saveexec_b64 s[8:9], vcc
; %bb.2966:
	s_mov_b32 s10, 0x7f800001
	s_xor_b64 s[4:5], exec, -1
; %bb.2967:
	s_or_b64 exec, exec, s[8:9]
	s_and_b64 s[4:5], s[4:5], exec
                                        ; implicit-def: $vgpr11
	s_or_saveexec_b64 s[6:7], s[6:7]
	v_mov_b32_e32 v12, s10
	s_xor_b64 exec, exec, s[6:7]
	s_cbranch_execz .LBB16_918
.LBB16_2968:
	v_cmp_ne_u16_e32 vcc, 0, v11
	s_andn2_b64 s[4:5], s[4:5], exec
	s_and_b64 s[8:9], vcc, exec
	v_mov_b32_e32 v12, 0
	s_or_b64 s[4:5], s[4:5], s[8:9]
	s_or_b64 exec, exec, s[6:7]
	s_and_saveexec_b64 s[6:7], s[4:5]
	s_cbranch_execnz .LBB16_919
	s_branch .LBB16_920
.LBB16_2969:
	s_movk_i32 s4, 0x80
	v_cmp_eq_u16_sdwa s[12:13], v6, s4 src0_sel:BYTE_3 src1_sel:DWORD
	s_mov_b64 s[4:5], -1
                                        ; implicit-def: $sgpr10
	s_and_saveexec_b64 s[8:9], s[12:13]
; %bb.2970:
	s_mov_b32 s10, 0x7f800001
	s_xor_b64 s[4:5], exec, -1
; %bb.2971:
	s_or_b64 exec, exec, s[8:9]
	s_and_b64 s[4:5], s[4:5], exec
	s_or_saveexec_b64 s[6:7], s[6:7]
	v_mov_b32_e32 v10, s10
	s_xor_b64 exec, exec, s[6:7]
	s_cbranch_execz .LBB16_922
.LBB16_2972:
	v_mov_b32_e32 v10, 0
	v_cmp_ne_u16_sdwa s[8:9], v6, v10 src0_sel:BYTE_3 src1_sel:DWORD
	s_andn2_b64 s[4:5], s[4:5], exec
	s_and_b64 s[8:9], s[8:9], exec
	s_or_b64 s[4:5], s[4:5], s[8:9]
	s_or_b64 exec, exec, s[6:7]
	s_and_saveexec_b64 s[6:7], s[4:5]
	s_cbranch_execnz .LBB16_923
	s_branch .LBB16_924
.LBB16_2973:
	s_movk_i32 s4, 0x80
	v_cmp_eq_u16_sdwa s[12:13], v2, s4 src0_sel:BYTE_3 src1_sel:DWORD
	s_mov_b64 s[4:5], -1
                                        ; implicit-def: $sgpr10
	s_and_saveexec_b64 s[8:9], s[12:13]
; %bb.2974:
	s_mov_b32 s10, 0x7f800001
	s_xor_b64 s[4:5], exec, -1
; %bb.2975:
	s_or_b64 exec, exec, s[8:9]
	s_and_b64 s[4:5], s[4:5], exec
	s_or_saveexec_b64 s[6:7], s[6:7]
	v_mov_b32_e32 v6, s10
	s_xor_b64 exec, exec, s[6:7]
	s_cbranch_execz .LBB16_926
.LBB16_2976:
	v_mov_b32_e32 v6, 0
	v_cmp_ne_u16_sdwa s[8:9], v2, v6 src0_sel:BYTE_3 src1_sel:DWORD
	s_andn2_b64 s[4:5], s[4:5], exec
	s_and_b64 s[8:9], s[8:9], exec
	s_or_b64 s[4:5], s[4:5], s[8:9]
	s_or_b64 exec, exec, s[6:7]
	s_and_saveexec_b64 s[6:7], s[4:5]
	s_cbranch_execnz .LBB16_927
	s_branch .LBB16_928
.LBB16_2977:
	s_movk_i32 s4, 0x80
	v_cmp_eq_u16_sdwa s[12:13], v7, s4 src0_sel:BYTE_0 src1_sel:DWORD
	s_mov_b64 s[4:5], -1
                                        ; implicit-def: $sgpr10
	s_and_saveexec_b64 s[8:9], s[12:13]
; %bb.2978:
	s_mov_b32 s10, 0x7f800001
	s_xor_b64 s[4:5], exec, -1
; %bb.2979:
	s_or_b64 exec, exec, s[8:9]
	s_and_b64 s[4:5], s[4:5], exec
	s_or_saveexec_b64 s[6:7], s[6:7]
	v_mov_b32_e32 v2, s10
	s_xor_b64 exec, exec, s[6:7]
	s_cbranch_execz .LBB16_930
.LBB16_2980:
	v_mov_b32_e32 v2, 0
	v_cmp_ne_u16_sdwa s[8:9], v7, v2 src0_sel:BYTE_0 src1_sel:DWORD
	s_andn2_b64 s[4:5], s[4:5], exec
	s_and_b64 s[8:9], s[8:9], exec
	s_or_b64 s[4:5], s[4:5], s[8:9]
	s_or_b64 exec, exec, s[6:7]
	s_and_saveexec_b64 s[6:7], s[4:5]
	s_cbranch_execnz .LBB16_931
	s_branch .LBB16_932
.LBB16_2981:
	s_movk_i32 s4, 0x80
	v_cmp_eq_u16_sdwa s[12:13], v3, s4 src0_sel:BYTE_0 src1_sel:DWORD
	s_mov_b64 s[4:5], -1
                                        ; implicit-def: $sgpr10
	s_and_saveexec_b64 s[8:9], s[12:13]
; %bb.2982:
	s_mov_b32 s10, 0x7f800001
	s_xor_b64 s[4:5], exec, -1
; %bb.2983:
	s_or_b64 exec, exec, s[8:9]
	s_and_b64 s[4:5], s[4:5], exec
	s_or_saveexec_b64 s[6:7], s[6:7]
	v_mov_b32_e32 v6, s10
	s_xor_b64 exec, exec, s[6:7]
	s_cbranch_execz .LBB16_934
.LBB16_2984:
	v_mov_b32_e32 v6, 0
	v_cmp_ne_u16_sdwa s[8:9], v3, v6 src0_sel:BYTE_0 src1_sel:DWORD
	s_andn2_b64 s[4:5], s[4:5], exec
	s_and_b64 s[8:9], s[8:9], exec
	s_or_b64 s[4:5], s[4:5], s[8:9]
	s_or_b64 exec, exec, s[6:7]
	s_and_saveexec_b64 s[6:7], s[4:5]
	s_cbranch_execnz .LBB16_935
	s_branch .LBB16_936
.LBB16_2985:
	s_movk_i32 s4, 0x80
	v_cmp_eq_u16_sdwa s[12:13], v6, s4 src0_sel:BYTE_0 src1_sel:DWORD
	s_mov_b64 s[4:5], -1
                                        ; implicit-def: $sgpr10
	s_and_saveexec_b64 s[8:9], s[12:13]
; %bb.2986:
	s_mov_b32 s10, 0x7f800001
	s_xor_b64 s[4:5], exec, -1
; %bb.2987:
	s_or_b64 exec, exec, s[8:9]
	s_and_b64 s[4:5], s[4:5], exec
	s_or_saveexec_b64 s[6:7], s[6:7]
	v_mov_b32_e32 v2, s10
	s_xor_b64 exec, exec, s[6:7]
	s_cbranch_execz .LBB16_938
.LBB16_2988:
	v_mov_b32_e32 v2, 0
	v_cmp_ne_u16_sdwa s[8:9], v6, v2 src0_sel:BYTE_0 src1_sel:DWORD
	s_andn2_b64 s[4:5], s[4:5], exec
	s_and_b64 s[8:9], s[8:9], exec
	s_or_b64 s[4:5], s[4:5], s[8:9]
	s_or_b64 exec, exec, s[6:7]
	s_and_saveexec_b64 s[6:7], s[4:5]
	s_cbranch_execnz .LBB16_939
	s_branch .LBB16_940
.LBB16_2989:
	s_movk_i32 s4, 0x80
	v_cmp_eq_u16_sdwa s[12:13], v6, s4 src0_sel:BYTE_0 src1_sel:DWORD
	s_mov_b64 s[4:5], -1
                                        ; implicit-def: $sgpr10
	s_and_saveexec_b64 s[8:9], s[12:13]
; %bb.2990:
	s_mov_b32 s10, 0x7f800001
	s_xor_b64 s[4:5], exec, -1
; %bb.2991:
	s_or_b64 exec, exec, s[8:9]
	s_and_b64 s[4:5], s[4:5], exec
	s_or_saveexec_b64 s[6:7], s[6:7]
	v_mov_b32_e32 v10, s10
	s_xor_b64 exec, exec, s[6:7]
	s_cbranch_execz .LBB16_942
.LBB16_2992:
	v_mov_b32_e32 v10, 0
	v_cmp_ne_u16_sdwa s[8:9], v6, v10 src0_sel:BYTE_0 src1_sel:DWORD
	s_andn2_b64 s[4:5], s[4:5], exec
	s_and_b64 s[8:9], s[8:9], exec
	s_or_b64 s[4:5], s[4:5], s[8:9]
	s_or_b64 exec, exec, s[6:7]
	s_and_saveexec_b64 s[6:7], s[4:5]
	s_cbranch_execnz .LBB16_943
	s_branch .LBB16_944
.LBB16_2993:
	s_movk_i32 s4, 0x80
	v_cmp_eq_u16_e32 vcc, s4, v6
	s_mov_b64 s[4:5], -1
                                        ; implicit-def: $sgpr10
	s_and_saveexec_b64 s[8:9], vcc
; %bb.2994:
	s_mov_b32 s10, 0x7f800001
	s_xor_b64 s[4:5], exec, -1
; %bb.2995:
	s_or_b64 exec, exec, s[8:9]
	s_and_b64 s[4:5], s[4:5], exec
                                        ; implicit-def: $vgpr6
	s_or_saveexec_b64 s[6:7], s[6:7]
	v_mov_b32_e32 v2, s10
	s_xor_b64 exec, exec, s[6:7]
	s_cbranch_execz .LBB16_946
.LBB16_2996:
	v_cmp_ne_u16_e32 vcc, 0, v6
	s_andn2_b64 s[4:5], s[4:5], exec
	s_and_b64 s[8:9], vcc, exec
	v_mov_b32_e32 v2, 0
	s_or_b64 s[4:5], s[4:5], s[8:9]
	s_or_b64 exec, exec, s[6:7]
	s_and_saveexec_b64 s[6:7], s[4:5]
	s_cbranch_execnz .LBB16_947
	s_branch .LBB16_948
.LBB16_2997:
	s_movk_i32 s4, 0x80
	v_cmp_eq_u16_e32 vcc, s4, v6
	s_mov_b64 s[4:5], -1
                                        ; implicit-def: $sgpr10
	s_and_saveexec_b64 s[8:9], vcc
; %bb.2998:
	s_mov_b32 s10, 0x7f800001
	s_xor_b64 s[4:5], exec, -1
; %bb.2999:
	s_or_b64 exec, exec, s[8:9]
	s_and_b64 s[4:5], s[4:5], exec
                                        ; implicit-def: $vgpr6
	s_or_saveexec_b64 s[6:7], s[6:7]
	v_mov_b32_e32 v10, s10
	s_xor_b64 exec, exec, s[6:7]
	s_cbranch_execz .LBB16_950
.LBB16_3000:
	v_cmp_ne_u16_e32 vcc, 0, v6
	s_andn2_b64 s[4:5], s[4:5], exec
	s_and_b64 s[8:9], vcc, exec
	v_mov_b32_e32 v10, 0
	s_or_b64 s[4:5], s[4:5], s[8:9]
	s_or_b64 exec, exec, s[6:7]
	s_and_saveexec_b64 s[6:7], s[4:5]
	s_cbranch_execnz .LBB16_951
	s_branch .LBB16_952
.LBB16_3001:
	s_movk_i32 s4, 0x80
	v_cmp_eq_u16_sdwa s[12:13], v7, s4 src0_sel:BYTE_3 src1_sel:DWORD
	s_mov_b64 s[4:5], -1
                                        ; implicit-def: $sgpr10
	s_and_saveexec_b64 s[8:9], s[12:13]
; %bb.3002:
	s_mov_b32 s10, 0x7f800001
	s_xor_b64 s[4:5], exec, -1
; %bb.3003:
	s_or_b64 exec, exec, s[8:9]
	s_and_b64 s[4:5], s[4:5], exec
	s_or_saveexec_b64 s[6:7], s[6:7]
	v_mov_b32_e32 v2, s10
	s_xor_b64 exec, exec, s[6:7]
	s_cbranch_execz .LBB16_954
.LBB16_3004:
	v_mov_b32_e32 v2, 0
	v_cmp_ne_u16_sdwa s[8:9], v7, v2 src0_sel:BYTE_3 src1_sel:DWORD
	s_andn2_b64 s[4:5], s[4:5], exec
	s_and_b64 s[8:9], s[8:9], exec
	s_or_b64 s[4:5], s[4:5], s[8:9]
	s_or_b64 exec, exec, s[6:7]
	s_and_saveexec_b64 s[6:7], s[4:5]
	s_cbranch_execnz .LBB16_955
	s_branch .LBB16_956
.LBB16_3005:
	s_movk_i32 s4, 0x80
	v_cmp_eq_u16_sdwa s[12:13], v3, s4 src0_sel:BYTE_3 src1_sel:DWORD
	s_mov_b64 s[4:5], -1
                                        ; implicit-def: $sgpr10
	s_and_saveexec_b64 s[8:9], s[12:13]
; %bb.3006:
	s_mov_b32 s10, 0x7f800001
	s_xor_b64 s[4:5], exec, -1
; %bb.3007:
	s_or_b64 exec, exec, s[8:9]
	s_and_b64 s[4:5], s[4:5], exec
	s_or_saveexec_b64 s[6:7], s[6:7]
	v_mov_b32_e32 v6, s10
	s_xor_b64 exec, exec, s[6:7]
	s_cbranch_execz .LBB16_958
.LBB16_3008:
	v_mov_b32_e32 v6, 0
	v_cmp_ne_u16_sdwa s[8:9], v3, v6 src0_sel:BYTE_3 src1_sel:DWORD
	s_andn2_b64 s[4:5], s[4:5], exec
	s_and_b64 s[8:9], s[8:9], exec
	s_or_b64 s[4:5], s[4:5], s[8:9]
	s_or_b64 exec, exec, s[6:7]
	s_and_saveexec_b64 s[6:7], s[4:5]
	s_cbranch_execnz .LBB16_959
	s_branch .LBB16_960
.LBB16_3009:
	s_movk_i32 s4, 0x80
	v_cmp_eq_u16_sdwa s[12:13], v8, s4 src0_sel:BYTE_0 src1_sel:DWORD
	s_mov_b64 s[4:5], -1
                                        ; implicit-def: $sgpr10
	s_and_saveexec_b64 s[8:9], s[12:13]
; %bb.3010:
	s_mov_b32 s10, 0x7f800001
	s_xor_b64 s[4:5], exec, -1
; %bb.3011:
	s_or_b64 exec, exec, s[8:9]
	s_and_b64 s[4:5], s[4:5], exec
	s_or_saveexec_b64 s[6:7], s[6:7]
	v_mov_b32_e32 v2, s10
	s_xor_b64 exec, exec, s[6:7]
	s_cbranch_execz .LBB16_962
.LBB16_3012:
	v_mov_b32_e32 v2, 0
	v_cmp_ne_u16_sdwa s[8:9], v8, v2 src0_sel:BYTE_0 src1_sel:DWORD
	s_andn2_b64 s[4:5], s[4:5], exec
	s_and_b64 s[8:9], s[8:9], exec
	s_or_b64 s[4:5], s[4:5], s[8:9]
	s_or_b64 exec, exec, s[6:7]
	s_and_saveexec_b64 s[6:7], s[4:5]
	s_cbranch_execnz .LBB16_963
	s_branch .LBB16_964
.LBB16_3013:
	s_movk_i32 s4, 0x80
	v_cmp_eq_u16_sdwa s[12:13], v4, s4 src0_sel:BYTE_0 src1_sel:DWORD
	s_mov_b64 s[4:5], -1
                                        ; implicit-def: $sgpr10
	s_and_saveexec_b64 s[8:9], s[12:13]
; %bb.3014:
	s_mov_b32 s10, 0x7f800001
	s_xor_b64 s[4:5], exec, -1
; %bb.3015:
	s_or_b64 exec, exec, s[8:9]
	s_and_b64 s[4:5], s[4:5], exec
	s_or_saveexec_b64 s[6:7], s[6:7]
	v_mov_b32_e32 v3, s10
	s_xor_b64 exec, exec, s[6:7]
	s_cbranch_execz .LBB16_966
.LBB16_3016:
	v_mov_b32_e32 v3, 0
	v_cmp_ne_u16_sdwa s[8:9], v4, v3 src0_sel:BYTE_0 src1_sel:DWORD
	s_andn2_b64 s[4:5], s[4:5], exec
	s_and_b64 s[8:9], s[8:9], exec
	s_or_b64 s[4:5], s[4:5], s[8:9]
	s_or_b64 exec, exec, s[6:7]
	s_and_saveexec_b64 s[6:7], s[4:5]
	s_cbranch_execnz .LBB16_967
	s_branch .LBB16_968
.LBB16_3017:
	s_movk_i32 s4, 0x80
	v_cmp_eq_u16_sdwa s[12:13], v3, s4 src0_sel:BYTE_0 src1_sel:DWORD
	s_mov_b64 s[4:5], -1
                                        ; implicit-def: $sgpr10
	s_and_saveexec_b64 s[8:9], s[12:13]
; %bb.3018:
	s_mov_b32 s10, 0x7f800001
	s_xor_b64 s[4:5], exec, -1
; %bb.3019:
	s_or_b64 exec, exec, s[8:9]
	s_and_b64 s[4:5], s[4:5], exec
	s_or_saveexec_b64 s[6:7], s[6:7]
	v_mov_b32_e32 v2, s10
	s_xor_b64 exec, exec, s[6:7]
	s_cbranch_execz .LBB16_970
.LBB16_3020:
	v_mov_b32_e32 v2, 0
	v_cmp_ne_u16_sdwa s[8:9], v3, v2 src0_sel:BYTE_0 src1_sel:DWORD
	s_andn2_b64 s[4:5], s[4:5], exec
	s_and_b64 s[8:9], s[8:9], exec
	s_or_b64 s[4:5], s[4:5], s[8:9]
	s_or_b64 exec, exec, s[6:7]
	s_and_saveexec_b64 s[6:7], s[4:5]
	s_cbranch_execnz .LBB16_971
	s_branch .LBB16_972
.LBB16_3021:
	s_movk_i32 s4, 0x80
	v_cmp_eq_u16_sdwa s[12:13], v3, s4 src0_sel:BYTE_0 src1_sel:DWORD
	s_mov_b64 s[4:5], -1
                                        ; implicit-def: $sgpr10
	s_and_saveexec_b64 s[8:9], s[12:13]
; %bb.3022:
	s_mov_b32 s10, 0x7f800001
	s_xor_b64 s[4:5], exec, -1
; %bb.3023:
	s_or_b64 exec, exec, s[8:9]
	s_and_b64 s[4:5], s[4:5], exec
	s_or_saveexec_b64 s[6:7], s[6:7]
	v_mov_b32_e32 v6, s10
	s_xor_b64 exec, exec, s[6:7]
	s_cbranch_execz .LBB16_974
.LBB16_3024:
	v_mov_b32_e32 v6, 0
	v_cmp_ne_u16_sdwa s[8:9], v3, v6 src0_sel:BYTE_0 src1_sel:DWORD
	s_andn2_b64 s[4:5], s[4:5], exec
	s_and_b64 s[8:9], s[8:9], exec
	s_or_b64 s[4:5], s[4:5], s[8:9]
	s_or_b64 exec, exec, s[6:7]
	s_and_saveexec_b64 s[6:7], s[4:5]
	s_cbranch_execnz .LBB16_975
	s_branch .LBB16_976
.LBB16_3025:
	s_movk_i32 s4, 0x80
	v_cmp_eq_u16_e32 vcc, s4, v3
	s_mov_b64 s[4:5], -1
                                        ; implicit-def: $sgpr10
	s_and_saveexec_b64 s[8:9], vcc
; %bb.3026:
	s_mov_b32 s10, 0x7f800001
	s_xor_b64 s[4:5], exec, -1
; %bb.3027:
	s_or_b64 exec, exec, s[8:9]
	s_and_b64 s[4:5], s[4:5], exec
                                        ; implicit-def: $vgpr3
	s_or_saveexec_b64 s[6:7], s[6:7]
	v_mov_b32_e32 v2, s10
	s_xor_b64 exec, exec, s[6:7]
	s_cbranch_execz .LBB16_978
.LBB16_3028:
	v_cmp_ne_u16_e32 vcc, 0, v3
	s_andn2_b64 s[4:5], s[4:5], exec
	s_and_b64 s[8:9], vcc, exec
	v_mov_b32_e32 v2, 0
	s_or_b64 s[4:5], s[4:5], s[8:9]
	s_or_b64 exec, exec, s[6:7]
	s_and_saveexec_b64 s[6:7], s[4:5]
	s_cbranch_execnz .LBB16_979
	s_branch .LBB16_980
.LBB16_3029:
	s_movk_i32 s4, 0x80
	v_cmp_eq_u16_e32 vcc, s4, v3
	s_mov_b64 s[4:5], -1
                                        ; implicit-def: $sgpr10
	s_and_saveexec_b64 s[8:9], vcc
; %bb.3030:
	s_mov_b32 s10, 0x7f800001
	s_xor_b64 s[4:5], exec, -1
; %bb.3031:
	s_or_b64 exec, exec, s[8:9]
	s_and_b64 s[4:5], s[4:5], exec
                                        ; implicit-def: $vgpr3
	s_or_saveexec_b64 s[6:7], s[6:7]
	v_mov_b32_e32 v6, s10
	s_xor_b64 exec, exec, s[6:7]
	s_cbranch_execz .LBB16_982
.LBB16_3032:
	v_cmp_ne_u16_e32 vcc, 0, v3
	s_andn2_b64 s[4:5], s[4:5], exec
	s_and_b64 s[8:9], vcc, exec
	v_mov_b32_e32 v6, 0
	s_or_b64 s[4:5], s[4:5], s[8:9]
	s_or_b64 exec, exec, s[6:7]
	s_and_saveexec_b64 s[6:7], s[4:5]
	s_cbranch_execnz .LBB16_983
	s_branch .LBB16_984
.LBB16_3033:
	s_movk_i32 s4, 0x80
	v_cmp_eq_u16_sdwa s[12:13], v8, s4 src0_sel:BYTE_3 src1_sel:DWORD
	s_mov_b64 s[4:5], -1
                                        ; implicit-def: $sgpr10
	s_and_saveexec_b64 s[8:9], s[12:13]
; %bb.3034:
	s_mov_b32 s10, 0x7f800001
	s_xor_b64 s[4:5], exec, -1
; %bb.3035:
	s_or_b64 exec, exec, s[8:9]
	s_and_b64 s[4:5], s[4:5], exec
	s_or_saveexec_b64 s[6:7], s[6:7]
	v_mov_b32_e32 v2, s10
	s_xor_b64 exec, exec, s[6:7]
	s_cbranch_execz .LBB16_986
.LBB16_3036:
	v_mov_b32_e32 v2, 0
	v_cmp_ne_u16_sdwa s[8:9], v8, v2 src0_sel:BYTE_3 src1_sel:DWORD
	s_andn2_b64 s[4:5], s[4:5], exec
	s_and_b64 s[8:9], s[8:9], exec
	s_or_b64 s[4:5], s[4:5], s[8:9]
	s_or_b64 exec, exec, s[6:7]
	s_and_saveexec_b64 s[6:7], s[4:5]
	s_cbranch_execnz .LBB16_987
	s_branch .LBB16_988
.LBB16_3037:
	s_movk_i32 s4, 0x80
	v_cmp_eq_u16_sdwa s[12:13], v4, s4 src0_sel:BYTE_3 src1_sel:DWORD
	s_mov_b64 s[4:5], -1
                                        ; implicit-def: $sgpr10
	s_and_saveexec_b64 s[8:9], s[12:13]
; %bb.3038:
	s_mov_b32 s10, 0x7f800001
	s_xor_b64 s[4:5], exec, -1
; %bb.3039:
	s_or_b64 exec, exec, s[8:9]
	s_and_b64 s[4:5], s[4:5], exec
	s_or_saveexec_b64 s[6:7], s[6:7]
	v_mov_b32_e32 v3, s10
	s_xor_b64 exec, exec, s[6:7]
	s_cbranch_execz .LBB16_990
.LBB16_3040:
	v_mov_b32_e32 v3, 0
	v_cmp_ne_u16_sdwa s[8:9], v4, v3 src0_sel:BYTE_3 src1_sel:DWORD
	s_andn2_b64 s[4:5], s[4:5], exec
	s_and_b64 s[8:9], s[8:9], exec
	s_or_b64 s[4:5], s[4:5], s[8:9]
	s_or_b64 exec, exec, s[6:7]
	s_and_saveexec_b64 s[6:7], s[4:5]
	s_cbranch_execnz .LBB16_991
	s_branch .LBB16_992
.LBB16_3041:
	s_movk_i32 s4, 0x80
	v_cmp_eq_u16_sdwa s[12:13], v9, s4 src0_sel:BYTE_0 src1_sel:DWORD
	s_mov_b64 s[4:5], -1
                                        ; implicit-def: $sgpr10
	s_and_saveexec_b64 s[8:9], s[12:13]
; %bb.3042:
	s_mov_b32 s10, 0x7f800001
	s_xor_b64 s[4:5], exec, -1
; %bb.3043:
	s_or_b64 exec, exec, s[8:9]
	s_and_b64 s[4:5], s[4:5], exec
	s_or_saveexec_b64 s[6:7], s[6:7]
	v_mov_b32_e32 v2, s10
	s_xor_b64 exec, exec, s[6:7]
	s_cbranch_execz .LBB16_994
.LBB16_3044:
	v_mov_b32_e32 v2, 0
	v_cmp_ne_u16_sdwa s[8:9], v9, v2 src0_sel:BYTE_0 src1_sel:DWORD
	s_andn2_b64 s[4:5], s[4:5], exec
	s_and_b64 s[8:9], s[8:9], exec
	s_or_b64 s[4:5], s[4:5], s[8:9]
	s_or_b64 exec, exec, s[6:7]
	s_and_saveexec_b64 s[6:7], s[4:5]
	s_cbranch_execnz .LBB16_995
	s_branch .LBB16_996
.LBB16_3045:
	s_movk_i32 s4, 0x80
	v_cmp_eq_u16_sdwa s[12:13], v5, s4 src0_sel:BYTE_0 src1_sel:DWORD
	s_mov_b64 s[4:5], -1
                                        ; implicit-def: $sgpr10
	s_and_saveexec_b64 s[8:9], s[12:13]
; %bb.3046:
	s_mov_b32 s10, 0x7f800001
	s_xor_b64 s[4:5], exec, -1
; %bb.3047:
	s_or_b64 exec, exec, s[8:9]
	s_and_b64 s[4:5], s[4:5], exec
	s_or_saveexec_b64 s[6:7], s[6:7]
	v_mov_b32_e32 v3, s10
	s_xor_b64 exec, exec, s[6:7]
	s_cbranch_execz .LBB16_998
.LBB16_3048:
	v_mov_b32_e32 v3, 0
	v_cmp_ne_u16_sdwa s[8:9], v5, v3 src0_sel:BYTE_0 src1_sel:DWORD
	s_andn2_b64 s[4:5], s[4:5], exec
	s_and_b64 s[8:9], s[8:9], exec
	s_or_b64 s[4:5], s[4:5], s[8:9]
	s_or_b64 exec, exec, s[6:7]
	s_and_saveexec_b64 s[6:7], s[4:5]
	s_cbranch_execnz .LBB16_999
	s_branch .LBB16_1000
.LBB16_3049:
	s_movk_i32 s4, 0x80
	v_cmp_eq_u16_sdwa s[12:13], v3, s4 src0_sel:BYTE_0 src1_sel:DWORD
	s_mov_b64 s[4:5], -1
                                        ; implicit-def: $sgpr10
	s_and_saveexec_b64 s[8:9], s[12:13]
; %bb.3050:
	s_mov_b32 s10, 0x7f800001
	s_xor_b64 s[4:5], exec, -1
; %bb.3051:
	s_or_b64 exec, exec, s[8:9]
	s_and_b64 s[4:5], s[4:5], exec
	s_or_saveexec_b64 s[6:7], s[6:7]
	v_mov_b32_e32 v2, s10
	s_xor_b64 exec, exec, s[6:7]
	s_cbranch_execz .LBB16_1002
.LBB16_3052:
	v_mov_b32_e32 v2, 0
	v_cmp_ne_u16_sdwa s[8:9], v3, v2 src0_sel:BYTE_0 src1_sel:DWORD
	s_andn2_b64 s[4:5], s[4:5], exec
	s_and_b64 s[8:9], s[8:9], exec
	s_or_b64 s[4:5], s[4:5], s[8:9]
	s_or_b64 exec, exec, s[6:7]
	s_and_saveexec_b64 s[6:7], s[4:5]
	s_cbranch_execnz .LBB16_1003
	s_branch .LBB16_1004
.LBB16_3053:
	s_movk_i32 s4, 0x80
	v_cmp_eq_u16_sdwa s[12:13], v3, s4 src0_sel:BYTE_0 src1_sel:DWORD
	s_mov_b64 s[4:5], -1
                                        ; implicit-def: $sgpr10
	s_and_saveexec_b64 s[8:9], s[12:13]
; %bb.3054:
	s_mov_b32 s10, 0x7f800001
	s_xor_b64 s[4:5], exec, -1
; %bb.3055:
	s_or_b64 exec, exec, s[8:9]
	s_and_b64 s[4:5], s[4:5], exec
	s_or_saveexec_b64 s[6:7], s[6:7]
	v_mov_b32_e32 v4, s10
	s_xor_b64 exec, exec, s[6:7]
	s_cbranch_execz .LBB16_1006
.LBB16_3056:
	v_mov_b32_e32 v4, 0
	v_cmp_ne_u16_sdwa s[8:9], v3, v4 src0_sel:BYTE_0 src1_sel:DWORD
	s_andn2_b64 s[4:5], s[4:5], exec
	s_and_b64 s[8:9], s[8:9], exec
	s_or_b64 s[4:5], s[4:5], s[8:9]
	s_or_b64 exec, exec, s[6:7]
	s_and_saveexec_b64 s[6:7], s[4:5]
	s_cbranch_execnz .LBB16_1007
	s_branch .LBB16_1008
.LBB16_3057:
	s_movk_i32 s4, 0x80
	v_cmp_eq_u16_e32 vcc, s4, v3
	s_mov_b64 s[4:5], -1
                                        ; implicit-def: $sgpr10
	s_and_saveexec_b64 s[8:9], vcc
; %bb.3058:
	s_mov_b32 s10, 0x7f800001
	s_xor_b64 s[4:5], exec, -1
; %bb.3059:
	s_or_b64 exec, exec, s[8:9]
	s_and_b64 s[4:5], s[4:5], exec
                                        ; implicit-def: $vgpr3
	s_or_saveexec_b64 s[6:7], s[6:7]
	v_mov_b32_e32 v2, s10
	s_xor_b64 exec, exec, s[6:7]
	s_cbranch_execz .LBB16_1010
.LBB16_3060:
	v_cmp_ne_u16_e32 vcc, 0, v3
	s_andn2_b64 s[4:5], s[4:5], exec
	s_and_b64 s[8:9], vcc, exec
	v_mov_b32_e32 v2, 0
	s_or_b64 s[4:5], s[4:5], s[8:9]
	s_or_b64 exec, exec, s[6:7]
	s_and_saveexec_b64 s[6:7], s[4:5]
	s_cbranch_execnz .LBB16_1011
	s_branch .LBB16_1012
.LBB16_3061:
	s_movk_i32 s4, 0x80
	v_cmp_eq_u16_e32 vcc, s4, v3
	s_mov_b64 s[4:5], -1
                                        ; implicit-def: $sgpr10
	s_and_saveexec_b64 s[8:9], vcc
; %bb.3062:
	s_mov_b32 s10, 0x7f800001
	s_xor_b64 s[4:5], exec, -1
; %bb.3063:
	s_or_b64 exec, exec, s[8:9]
	s_and_b64 s[4:5], s[4:5], exec
                                        ; implicit-def: $vgpr3
	s_or_saveexec_b64 s[6:7], s[6:7]
	v_mov_b32_e32 v4, s10
	s_xor_b64 exec, exec, s[6:7]
	s_cbranch_execz .LBB16_1014
.LBB16_3064:
	v_cmp_ne_u16_e32 vcc, 0, v3
	s_andn2_b64 s[4:5], s[4:5], exec
	s_and_b64 s[8:9], vcc, exec
	v_mov_b32_e32 v4, 0
	s_or_b64 s[4:5], s[4:5], s[8:9]
	s_or_b64 exec, exec, s[6:7]
	s_and_saveexec_b64 s[6:7], s[4:5]
	s_cbranch_execnz .LBB16_1015
	s_branch .LBB16_1016
.LBB16_3065:
	s_movk_i32 s4, 0x80
	v_cmp_eq_u16_sdwa s[12:13], v9, s4 src0_sel:BYTE_3 src1_sel:DWORD
	s_mov_b64 s[4:5], -1
                                        ; implicit-def: $sgpr10
	s_and_saveexec_b64 s[8:9], s[12:13]
; %bb.3066:
	s_mov_b32 s10, 0x7f800001
	s_xor_b64 s[4:5], exec, -1
; %bb.3067:
	s_or_b64 exec, exec, s[8:9]
	s_and_b64 s[4:5], s[4:5], exec
	s_or_saveexec_b64 s[6:7], s[6:7]
	v_mov_b32_e32 v2, s10
	s_xor_b64 exec, exec, s[6:7]
	s_cbranch_execz .LBB16_1018
.LBB16_3068:
	v_mov_b32_e32 v2, 0
	v_cmp_ne_u16_sdwa s[8:9], v9, v2 src0_sel:BYTE_3 src1_sel:DWORD
	s_andn2_b64 s[4:5], s[4:5], exec
	s_and_b64 s[8:9], s[8:9], exec
	s_or_b64 s[4:5], s[4:5], s[8:9]
	s_or_b64 exec, exec, s[6:7]
	s_and_saveexec_b64 s[6:7], s[4:5]
	s_cbranch_execnz .LBB16_1019
	s_branch .LBB16_1020
.LBB16_3069:
	s_movk_i32 s4, 0x80
	v_cmp_eq_u16_sdwa s[12:13], v5, s4 src0_sel:BYTE_3 src1_sel:DWORD
	s_mov_b64 s[4:5], -1
                                        ; implicit-def: $sgpr10
	s_and_saveexec_b64 s[8:9], s[12:13]
; %bb.3070:
	s_mov_b32 s10, 0x7f800001
	s_xor_b64 s[4:5], exec, -1
; %bb.3071:
	s_or_b64 exec, exec, s[8:9]
	s_and_b64 s[4:5], s[4:5], exec
	s_or_saveexec_b64 s[6:7], s[6:7]
	v_mov_b32_e32 v3, s10
	s_xor_b64 exec, exec, s[6:7]
	s_cbranch_execz .LBB16_1022
.LBB16_3072:
	v_mov_b32_e32 v3, 0
	v_cmp_ne_u16_sdwa s[8:9], v5, v3 src0_sel:BYTE_3 src1_sel:DWORD
	s_andn2_b64 s[4:5], s[4:5], exec
	s_and_b64 s[8:9], s[8:9], exec
	s_or_b64 s[4:5], s[4:5], s[8:9]
	s_or_b64 exec, exec, s[6:7]
	s_and_saveexec_b64 s[6:7], s[4:5]
	s_cbranch_execnz .LBB16_1023
	s_branch .LBB16_1024
.LBB16_3073:
	s_movk_i32 s4, 0x80
	v_cmp_eq_u16_sdwa s[12:13], v14, s4 src0_sel:BYTE_0 src1_sel:DWORD
	s_mov_b64 s[4:5], -1
                                        ; implicit-def: $sgpr10
	s_and_saveexec_b64 s[8:9], s[12:13]
; %bb.3074:
	s_mov_b32 s10, 0x7f800001
	s_xor_b64 s[4:5], exec, -1
; %bb.3075:
	s_or_b64 exec, exec, s[8:9]
	s_and_b64 s[4:5], s[4:5], exec
	s_or_saveexec_b64 s[6:7], s[6:7]
	v_mov_b32_e32 v20, s10
	s_xor_b64 exec, exec, s[6:7]
	s_cbranch_execz .LBB16_1026
.LBB16_3076:
	v_mov_b32_e32 v20, 0
	v_cmp_ne_u16_sdwa s[8:9], v14, v20 src0_sel:BYTE_0 src1_sel:DWORD
	s_andn2_b64 s[4:5], s[4:5], exec
	s_and_b64 s[8:9], s[8:9], exec
	s_or_b64 s[4:5], s[4:5], s[8:9]
	s_or_b64 exec, exec, s[6:7]
	s_and_saveexec_b64 s[6:7], s[4:5]
	s_cbranch_execnz .LBB16_1027
	s_branch .LBB16_1028
.LBB16_3077:
	s_movk_i32 s4, 0x80
	v_cmp_eq_u16_sdwa s[12:13], v10, s4 src0_sel:BYTE_0 src1_sel:DWORD
	s_mov_b64 s[4:5], -1
                                        ; implicit-def: $sgpr10
	s_and_saveexec_b64 s[8:9], s[12:13]
; %bb.3078:
	s_mov_b32 s10, 0x7f800001
	s_xor_b64 s[4:5], exec, -1
; %bb.3079:
	s_or_b64 exec, exec, s[8:9]
	s_and_b64 s[4:5], s[4:5], exec
	s_or_saveexec_b64 s[6:7], s[6:7]
	v_mov_b32_e32 v21, s10
	s_xor_b64 exec, exec, s[6:7]
	s_cbranch_execz .LBB16_1030
.LBB16_3080:
	v_mov_b32_e32 v21, 0
	v_cmp_ne_u16_sdwa s[8:9], v10, v21 src0_sel:BYTE_0 src1_sel:DWORD
	s_andn2_b64 s[4:5], s[4:5], exec
	s_and_b64 s[8:9], s[8:9], exec
	s_or_b64 s[4:5], s[4:5], s[8:9]
	s_or_b64 exec, exec, s[6:7]
	s_and_saveexec_b64 s[6:7], s[4:5]
	s_cbranch_execnz .LBB16_1031
	s_branch .LBB16_1032
.LBB16_3081:
	s_movk_i32 s4, 0x80
	v_cmp_eq_u16_sdwa s[12:13], v21, s4 src0_sel:BYTE_0 src1_sel:DWORD
	s_mov_b64 s[4:5], -1
                                        ; implicit-def: $sgpr10
	s_and_saveexec_b64 s[8:9], s[12:13]
; %bb.3082:
	s_mov_b32 s10, 0x7f800001
	s_xor_b64 s[4:5], exec, -1
; %bb.3083:
	s_or_b64 exec, exec, s[8:9]
	s_and_b64 s[4:5], s[4:5], exec
	s_or_saveexec_b64 s[6:7], s[6:7]
	v_mov_b32_e32 v20, s10
	s_xor_b64 exec, exec, s[6:7]
	s_cbranch_execz .LBB16_1034
.LBB16_3084:
	v_mov_b32_e32 v20, 0
	v_cmp_ne_u16_sdwa s[8:9], v21, v20 src0_sel:BYTE_0 src1_sel:DWORD
	s_andn2_b64 s[4:5], s[4:5], exec
	s_and_b64 s[8:9], s[8:9], exec
	s_or_b64 s[4:5], s[4:5], s[8:9]
	s_or_b64 exec, exec, s[6:7]
	s_and_saveexec_b64 s[6:7], s[4:5]
	s_cbranch_execnz .LBB16_1035
	s_branch .LBB16_1036
.LBB16_3085:
	s_movk_i32 s4, 0x80
	v_cmp_eq_u16_sdwa s[12:13], v21, s4 src0_sel:BYTE_0 src1_sel:DWORD
	s_mov_b64 s[4:5], -1
                                        ; implicit-def: $sgpr10
	s_and_saveexec_b64 s[8:9], s[12:13]
; %bb.3086:
	s_mov_b32 s10, 0x7f800001
	s_xor_b64 s[4:5], exec, -1
; %bb.3087:
	s_or_b64 exec, exec, s[8:9]
	s_and_b64 s[4:5], s[4:5], exec
	s_or_saveexec_b64 s[6:7], s[6:7]
	v_mov_b32_e32 v22, s10
	s_xor_b64 exec, exec, s[6:7]
	s_cbranch_execz .LBB16_1038
.LBB16_3088:
	v_mov_b32_e32 v22, 0
	v_cmp_ne_u16_sdwa s[8:9], v21, v22 src0_sel:BYTE_0 src1_sel:DWORD
	s_andn2_b64 s[4:5], s[4:5], exec
	s_and_b64 s[8:9], s[8:9], exec
	s_or_b64 s[4:5], s[4:5], s[8:9]
	s_or_b64 exec, exec, s[6:7]
	s_and_saveexec_b64 s[6:7], s[4:5]
	s_cbranch_execnz .LBB16_1039
	s_branch .LBB16_1040
.LBB16_3089:
	s_movk_i32 s4, 0x80
	v_cmp_eq_u16_e32 vcc, s4, v21
	s_mov_b64 s[4:5], -1
                                        ; implicit-def: $sgpr10
	s_and_saveexec_b64 s[8:9], vcc
; %bb.3090:
	s_mov_b32 s10, 0x7f800001
	s_xor_b64 s[4:5], exec, -1
; %bb.3091:
	s_or_b64 exec, exec, s[8:9]
	s_and_b64 s[4:5], s[4:5], exec
                                        ; implicit-def: $vgpr21
	s_or_saveexec_b64 s[6:7], s[6:7]
	v_mov_b32_e32 v20, s10
	s_xor_b64 exec, exec, s[6:7]
	s_cbranch_execz .LBB16_1042
.LBB16_3092:
	v_cmp_ne_u16_e32 vcc, 0, v21
	s_andn2_b64 s[4:5], s[4:5], exec
	s_and_b64 s[8:9], vcc, exec
	v_mov_b32_e32 v20, 0
	s_or_b64 s[4:5], s[4:5], s[8:9]
	s_or_b64 exec, exec, s[6:7]
	s_and_saveexec_b64 s[6:7], s[4:5]
	s_cbranch_execnz .LBB16_1043
	s_branch .LBB16_1044
.LBB16_3093:
	s_movk_i32 s4, 0x80
	v_cmp_eq_u16_e32 vcc, s4, v21
	s_mov_b64 s[4:5], -1
                                        ; implicit-def: $sgpr10
	s_and_saveexec_b64 s[8:9], vcc
; %bb.3094:
	s_mov_b32 s10, 0x7f800001
	s_xor_b64 s[4:5], exec, -1
; %bb.3095:
	s_or_b64 exec, exec, s[8:9]
	s_and_b64 s[4:5], s[4:5], exec
                                        ; implicit-def: $vgpr21
	s_or_saveexec_b64 s[6:7], s[6:7]
	v_mov_b32_e32 v22, s10
	s_xor_b64 exec, exec, s[6:7]
	s_cbranch_execz .LBB16_1046
.LBB16_3096:
	v_cmp_ne_u16_e32 vcc, 0, v21
	s_andn2_b64 s[4:5], s[4:5], exec
	s_and_b64 s[8:9], vcc, exec
	v_mov_b32_e32 v22, 0
	s_or_b64 s[4:5], s[4:5], s[8:9]
	s_or_b64 exec, exec, s[6:7]
	s_and_saveexec_b64 s[6:7], s[4:5]
	s_cbranch_execnz .LBB16_1047
	s_branch .LBB16_1048
.LBB16_3097:
	s_movk_i32 s4, 0x80
	v_cmp_eq_u16_sdwa s[12:13], v14, s4 src0_sel:BYTE_3 src1_sel:DWORD
	s_mov_b64 s[4:5], -1
                                        ; implicit-def: $sgpr10
	s_and_saveexec_b64 s[8:9], s[12:13]
; %bb.3098:
	s_mov_b32 s10, 0x7f800001
	s_xor_b64 s[4:5], exec, -1
; %bb.3099:
	s_or_b64 exec, exec, s[8:9]
	s_and_b64 s[4:5], s[4:5], exec
	s_or_saveexec_b64 s[6:7], s[6:7]
	v_mov_b32_e32 v20, s10
	s_xor_b64 exec, exec, s[6:7]
	s_cbranch_execz .LBB16_1050
.LBB16_3100:
	v_mov_b32_e32 v20, 0
	v_cmp_ne_u16_sdwa s[8:9], v14, v20 src0_sel:BYTE_3 src1_sel:DWORD
	s_andn2_b64 s[4:5], s[4:5], exec
	s_and_b64 s[8:9], s[8:9], exec
	s_or_b64 s[4:5], s[4:5], s[8:9]
	s_or_b64 exec, exec, s[6:7]
	s_and_saveexec_b64 s[6:7], s[4:5]
	s_cbranch_execnz .LBB16_1051
	s_branch .LBB16_1052
.LBB16_3101:
	s_movk_i32 s4, 0x80
	v_cmp_eq_u16_sdwa s[12:13], v10, s4 src0_sel:BYTE_3 src1_sel:DWORD
	s_mov_b64 s[4:5], -1
                                        ; implicit-def: $sgpr10
	s_and_saveexec_b64 s[8:9], s[12:13]
; %bb.3102:
	s_mov_b32 s10, 0x7f800001
	s_xor_b64 s[4:5], exec, -1
; %bb.3103:
	s_or_b64 exec, exec, s[8:9]
	s_and_b64 s[4:5], s[4:5], exec
	s_or_saveexec_b64 s[6:7], s[6:7]
	v_mov_b32_e32 v14, s10
	s_xor_b64 exec, exec, s[6:7]
	s_cbranch_execz .LBB16_1054
.LBB16_3104:
	v_mov_b32_e32 v14, 0
	v_cmp_ne_u16_sdwa s[8:9], v10, v14 src0_sel:BYTE_3 src1_sel:DWORD
	s_andn2_b64 s[4:5], s[4:5], exec
	s_and_b64 s[8:9], s[8:9], exec
	s_or_b64 s[4:5], s[4:5], s[8:9]
	s_or_b64 exec, exec, s[6:7]
	s_and_saveexec_b64 s[6:7], s[4:5]
	s_cbranch_execnz .LBB16_1055
	s_branch .LBB16_1056
.LBB16_3105:
	s_movk_i32 s4, 0x80
	v_cmp_eq_u16_sdwa s[12:13], v15, s4 src0_sel:BYTE_0 src1_sel:DWORD
	s_mov_b64 s[4:5], -1
                                        ; implicit-def: $sgpr10
	s_and_saveexec_b64 s[8:9], s[12:13]
; %bb.3106:
	s_mov_b32 s10, 0x7f800001
	s_xor_b64 s[4:5], exec, -1
; %bb.3107:
	s_or_b64 exec, exec, s[8:9]
	s_and_b64 s[4:5], s[4:5], exec
	s_or_saveexec_b64 s[6:7], s[6:7]
	v_mov_b32_e32 v10, s10
	s_xor_b64 exec, exec, s[6:7]
	s_cbranch_execz .LBB16_1058
.LBB16_3108:
	v_mov_b32_e32 v10, 0
	v_cmp_ne_u16_sdwa s[8:9], v15, v10 src0_sel:BYTE_0 src1_sel:DWORD
	s_andn2_b64 s[4:5], s[4:5], exec
	s_and_b64 s[8:9], s[8:9], exec
	s_or_b64 s[4:5], s[4:5], s[8:9]
	s_or_b64 exec, exec, s[6:7]
	s_and_saveexec_b64 s[6:7], s[4:5]
	s_cbranch_execnz .LBB16_1059
	s_branch .LBB16_1060
.LBB16_3109:
	s_movk_i32 s4, 0x80
	v_cmp_eq_u16_sdwa s[12:13], v11, s4 src0_sel:BYTE_0 src1_sel:DWORD
	s_mov_b64 s[4:5], -1
                                        ; implicit-def: $sgpr10
	s_and_saveexec_b64 s[8:9], s[12:13]
; %bb.3110:
	s_mov_b32 s10, 0x7f800001
	s_xor_b64 s[4:5], exec, -1
; %bb.3111:
	s_or_b64 exec, exec, s[8:9]
	s_and_b64 s[4:5], s[4:5], exec
	s_or_saveexec_b64 s[6:7], s[6:7]
	v_mov_b32_e32 v14, s10
	s_xor_b64 exec, exec, s[6:7]
	s_cbranch_execz .LBB16_1062
.LBB16_3112:
	v_mov_b32_e32 v14, 0
	v_cmp_ne_u16_sdwa s[8:9], v11, v14 src0_sel:BYTE_0 src1_sel:DWORD
	s_andn2_b64 s[4:5], s[4:5], exec
	s_and_b64 s[8:9], s[8:9], exec
	s_or_b64 s[4:5], s[4:5], s[8:9]
	s_or_b64 exec, exec, s[6:7]
	s_and_saveexec_b64 s[6:7], s[4:5]
	s_cbranch_execnz .LBB16_1063
	s_branch .LBB16_1064
.LBB16_3113:
	s_movk_i32 s4, 0x80
	v_cmp_eq_u16_sdwa s[12:13], v14, s4 src0_sel:BYTE_0 src1_sel:DWORD
	s_mov_b64 s[4:5], -1
                                        ; implicit-def: $sgpr10
	s_and_saveexec_b64 s[8:9], s[12:13]
; %bb.3114:
	s_mov_b32 s10, 0x7f800001
	s_xor_b64 s[4:5], exec, -1
; %bb.3115:
	s_or_b64 exec, exec, s[8:9]
	s_and_b64 s[4:5], s[4:5], exec
	s_or_saveexec_b64 s[6:7], s[6:7]
	v_mov_b32_e32 v10, s10
	s_xor_b64 exec, exec, s[6:7]
	s_cbranch_execz .LBB16_1066
.LBB16_3116:
	v_mov_b32_e32 v10, 0
	v_cmp_ne_u16_sdwa s[8:9], v14, v10 src0_sel:BYTE_0 src1_sel:DWORD
	s_andn2_b64 s[4:5], s[4:5], exec
	s_and_b64 s[8:9], s[8:9], exec
	s_or_b64 s[4:5], s[4:5], s[8:9]
	s_or_b64 exec, exec, s[6:7]
	s_and_saveexec_b64 s[6:7], s[4:5]
	s_cbranch_execnz .LBB16_1067
	s_branch .LBB16_1068
.LBB16_3117:
	s_movk_i32 s4, 0x80
	v_cmp_eq_u16_sdwa s[12:13], v14, s4 src0_sel:BYTE_0 src1_sel:DWORD
	s_mov_b64 s[4:5], -1
                                        ; implicit-def: $sgpr10
	s_and_saveexec_b64 s[8:9], s[12:13]
; %bb.3118:
	s_mov_b32 s10, 0x7f800001
	s_xor_b64 s[4:5], exec, -1
; %bb.3119:
	s_or_b64 exec, exec, s[8:9]
	s_and_b64 s[4:5], s[4:5], exec
	s_or_saveexec_b64 s[6:7], s[6:7]
	v_mov_b32_e32 v20, s10
	s_xor_b64 exec, exec, s[6:7]
	s_cbranch_execz .LBB16_1070
.LBB16_3120:
	v_mov_b32_e32 v20, 0
	v_cmp_ne_u16_sdwa s[8:9], v14, v20 src0_sel:BYTE_0 src1_sel:DWORD
	s_andn2_b64 s[4:5], s[4:5], exec
	s_and_b64 s[8:9], s[8:9], exec
	s_or_b64 s[4:5], s[4:5], s[8:9]
	s_or_b64 exec, exec, s[6:7]
	s_and_saveexec_b64 s[6:7], s[4:5]
	s_cbranch_execnz .LBB16_1071
	s_branch .LBB16_1072
.LBB16_3121:
	s_movk_i32 s4, 0x80
	v_cmp_eq_u16_e32 vcc, s4, v14
	s_mov_b64 s[4:5], -1
                                        ; implicit-def: $sgpr10
	s_and_saveexec_b64 s[8:9], vcc
; %bb.3122:
	s_mov_b32 s10, 0x7f800001
	s_xor_b64 s[4:5], exec, -1
; %bb.3123:
	s_or_b64 exec, exec, s[8:9]
	s_and_b64 s[4:5], s[4:5], exec
                                        ; implicit-def: $vgpr14
	s_or_saveexec_b64 s[6:7], s[6:7]
	v_mov_b32_e32 v10, s10
	s_xor_b64 exec, exec, s[6:7]
	s_cbranch_execz .LBB16_1074
.LBB16_3124:
	v_cmp_ne_u16_e32 vcc, 0, v14
	s_andn2_b64 s[4:5], s[4:5], exec
	s_and_b64 s[8:9], vcc, exec
	v_mov_b32_e32 v10, 0
	s_or_b64 s[4:5], s[4:5], s[8:9]
	s_or_b64 exec, exec, s[6:7]
	s_and_saveexec_b64 s[6:7], s[4:5]
	s_cbranch_execnz .LBB16_1075
	s_branch .LBB16_1076
.LBB16_3125:
	s_movk_i32 s4, 0x80
	v_cmp_eq_u16_e32 vcc, s4, v14
	s_mov_b64 s[4:5], -1
                                        ; implicit-def: $sgpr10
	s_and_saveexec_b64 s[8:9], vcc
; %bb.3126:
	s_mov_b32 s10, 0x7f800001
	s_xor_b64 s[4:5], exec, -1
; %bb.3127:
	s_or_b64 exec, exec, s[8:9]
	s_and_b64 s[4:5], s[4:5], exec
                                        ; implicit-def: $vgpr14
	s_or_saveexec_b64 s[6:7], s[6:7]
	v_mov_b32_e32 v20, s10
	s_xor_b64 exec, exec, s[6:7]
	s_cbranch_execz .LBB16_1078
.LBB16_3128:
	v_cmp_ne_u16_e32 vcc, 0, v14
	s_andn2_b64 s[4:5], s[4:5], exec
	s_and_b64 s[8:9], vcc, exec
	v_mov_b32_e32 v20, 0
	s_or_b64 s[4:5], s[4:5], s[8:9]
	s_or_b64 exec, exec, s[6:7]
	s_and_saveexec_b64 s[6:7], s[4:5]
	s_cbranch_execnz .LBB16_1079
	s_branch .LBB16_1080
.LBB16_3129:
	s_movk_i32 s4, 0x80
	v_cmp_eq_u16_sdwa s[12:13], v15, s4 src0_sel:BYTE_3 src1_sel:DWORD
	s_mov_b64 s[4:5], -1
                                        ; implicit-def: $sgpr10
	s_and_saveexec_b64 s[8:9], s[12:13]
; %bb.3130:
	s_mov_b32 s10, 0x7f800001
	s_xor_b64 s[4:5], exec, -1
; %bb.3131:
	s_or_b64 exec, exec, s[8:9]
	s_and_b64 s[4:5], s[4:5], exec
	s_or_saveexec_b64 s[6:7], s[6:7]
	v_mov_b32_e32 v10, s10
	s_xor_b64 exec, exec, s[6:7]
	s_cbranch_execz .LBB16_1082
.LBB16_3132:
	v_mov_b32_e32 v10, 0
	v_cmp_ne_u16_sdwa s[8:9], v15, v10 src0_sel:BYTE_3 src1_sel:DWORD
	s_andn2_b64 s[4:5], s[4:5], exec
	s_and_b64 s[8:9], s[8:9], exec
	s_or_b64 s[4:5], s[4:5], s[8:9]
	s_or_b64 exec, exec, s[6:7]
	s_and_saveexec_b64 s[6:7], s[4:5]
	s_cbranch_execnz .LBB16_1083
	s_branch .LBB16_1084
.LBB16_3133:
	s_movk_i32 s4, 0x80
	v_cmp_eq_u16_sdwa s[12:13], v11, s4 src0_sel:BYTE_3 src1_sel:DWORD
	s_mov_b64 s[4:5], -1
                                        ; implicit-def: $sgpr10
	s_and_saveexec_b64 s[8:9], s[12:13]
; %bb.3134:
	s_mov_b32 s10, 0x7f800001
	s_xor_b64 s[4:5], exec, -1
; %bb.3135:
	s_or_b64 exec, exec, s[8:9]
	s_and_b64 s[4:5], s[4:5], exec
	s_or_saveexec_b64 s[6:7], s[6:7]
	v_mov_b32_e32 v14, s10
	s_xor_b64 exec, exec, s[6:7]
	s_cbranch_execz .LBB16_1086
.LBB16_3136:
	v_mov_b32_e32 v14, 0
	v_cmp_ne_u16_sdwa s[8:9], v11, v14 src0_sel:BYTE_3 src1_sel:DWORD
	s_andn2_b64 s[4:5], s[4:5], exec
	s_and_b64 s[8:9], s[8:9], exec
	s_or_b64 s[4:5], s[4:5], s[8:9]
	s_or_b64 exec, exec, s[6:7]
	s_and_saveexec_b64 s[6:7], s[4:5]
	s_cbranch_execnz .LBB16_1087
	s_branch .LBB16_1088
.LBB16_3137:
	s_movk_i32 s4, 0x80
	v_cmp_eq_u16_sdwa s[12:13], v16, s4 src0_sel:BYTE_0 src1_sel:DWORD
	s_mov_b64 s[4:5], -1
                                        ; implicit-def: $sgpr10
	s_and_saveexec_b64 s[8:9], s[12:13]
; %bb.3138:
	s_mov_b32 s10, 0x7f800001
	s_xor_b64 s[4:5], exec, -1
; %bb.3139:
	s_or_b64 exec, exec, s[8:9]
	s_and_b64 s[4:5], s[4:5], exec
	s_or_saveexec_b64 s[6:7], s[6:7]
	v_mov_b32_e32 v10, s10
	s_xor_b64 exec, exec, s[6:7]
	s_cbranch_execz .LBB16_1090
.LBB16_3140:
	v_mov_b32_e32 v10, 0
	v_cmp_ne_u16_sdwa s[8:9], v16, v10 src0_sel:BYTE_0 src1_sel:DWORD
	s_andn2_b64 s[4:5], s[4:5], exec
	s_and_b64 s[8:9], s[8:9], exec
	s_or_b64 s[4:5], s[4:5], s[8:9]
	s_or_b64 exec, exec, s[6:7]
	s_and_saveexec_b64 s[6:7], s[4:5]
	s_cbranch_execnz .LBB16_1091
	s_branch .LBB16_1092
.LBB16_3141:
	s_movk_i32 s4, 0x80
	v_cmp_eq_u16_sdwa s[12:13], v12, s4 src0_sel:BYTE_0 src1_sel:DWORD
	s_mov_b64 s[4:5], -1
                                        ; implicit-def: $sgpr10
	s_and_saveexec_b64 s[8:9], s[12:13]
; %bb.3142:
	s_mov_b32 s10, 0x7f800001
	s_xor_b64 s[4:5], exec, -1
; %bb.3143:
	s_or_b64 exec, exec, s[8:9]
	s_and_b64 s[4:5], s[4:5], exec
	s_or_saveexec_b64 s[6:7], s[6:7]
	v_mov_b32_e32 v11, s10
	s_xor_b64 exec, exec, s[6:7]
	s_cbranch_execz .LBB16_1094
.LBB16_3144:
	v_mov_b32_e32 v11, 0
	v_cmp_ne_u16_sdwa s[8:9], v12, v11 src0_sel:BYTE_0 src1_sel:DWORD
	s_andn2_b64 s[4:5], s[4:5], exec
	s_and_b64 s[8:9], s[8:9], exec
	s_or_b64 s[4:5], s[4:5], s[8:9]
	s_or_b64 exec, exec, s[6:7]
	s_and_saveexec_b64 s[6:7], s[4:5]
	s_cbranch_execnz .LBB16_1095
	s_branch .LBB16_1096
.LBB16_3145:
	s_movk_i32 s4, 0x80
	v_cmp_eq_u16_sdwa s[12:13], v11, s4 src0_sel:BYTE_0 src1_sel:DWORD
	s_mov_b64 s[4:5], -1
                                        ; implicit-def: $sgpr10
	s_and_saveexec_b64 s[8:9], s[12:13]
; %bb.3146:
	s_mov_b32 s10, 0x7f800001
	s_xor_b64 s[4:5], exec, -1
; %bb.3147:
	s_or_b64 exec, exec, s[8:9]
	s_and_b64 s[4:5], s[4:5], exec
	s_or_saveexec_b64 s[6:7], s[6:7]
	v_mov_b32_e32 v10, s10
	s_xor_b64 exec, exec, s[6:7]
	s_cbranch_execz .LBB16_1098
.LBB16_3148:
	v_mov_b32_e32 v10, 0
	v_cmp_ne_u16_sdwa s[8:9], v11, v10 src0_sel:BYTE_0 src1_sel:DWORD
	s_andn2_b64 s[4:5], s[4:5], exec
	s_and_b64 s[8:9], s[8:9], exec
	s_or_b64 s[4:5], s[4:5], s[8:9]
	s_or_b64 exec, exec, s[6:7]
	s_and_saveexec_b64 s[6:7], s[4:5]
	s_cbranch_execnz .LBB16_1099
	s_branch .LBB16_1100
.LBB16_3149:
	s_movk_i32 s4, 0x80
	v_cmp_eq_u16_sdwa s[12:13], v11, s4 src0_sel:BYTE_0 src1_sel:DWORD
	s_mov_b64 s[4:5], -1
                                        ; implicit-def: $sgpr10
	s_and_saveexec_b64 s[8:9], s[12:13]
; %bb.3150:
	s_mov_b32 s10, 0x7f800001
	s_xor_b64 s[4:5], exec, -1
; %bb.3151:
	s_or_b64 exec, exec, s[8:9]
	s_and_b64 s[4:5], s[4:5], exec
	s_or_saveexec_b64 s[6:7], s[6:7]
	v_mov_b32_e32 v14, s10
	s_xor_b64 exec, exec, s[6:7]
	s_cbranch_execz .LBB16_1102
.LBB16_3152:
	v_mov_b32_e32 v14, 0
	v_cmp_ne_u16_sdwa s[8:9], v11, v14 src0_sel:BYTE_0 src1_sel:DWORD
	s_andn2_b64 s[4:5], s[4:5], exec
	s_and_b64 s[8:9], s[8:9], exec
	s_or_b64 s[4:5], s[4:5], s[8:9]
	s_or_b64 exec, exec, s[6:7]
	s_and_saveexec_b64 s[6:7], s[4:5]
	s_cbranch_execnz .LBB16_1103
	s_branch .LBB16_1104
.LBB16_3153:
	s_movk_i32 s4, 0x80
	v_cmp_eq_u16_e32 vcc, s4, v11
	s_mov_b64 s[4:5], -1
                                        ; implicit-def: $sgpr10
	s_and_saveexec_b64 s[8:9], vcc
; %bb.3154:
	s_mov_b32 s10, 0x7f800001
	s_xor_b64 s[4:5], exec, -1
; %bb.3155:
	s_or_b64 exec, exec, s[8:9]
	s_and_b64 s[4:5], s[4:5], exec
                                        ; implicit-def: $vgpr11
	s_or_saveexec_b64 s[6:7], s[6:7]
	v_mov_b32_e32 v10, s10
	s_xor_b64 exec, exec, s[6:7]
	s_cbranch_execz .LBB16_1106
.LBB16_3156:
	v_cmp_ne_u16_e32 vcc, 0, v11
	s_andn2_b64 s[4:5], s[4:5], exec
	s_and_b64 s[8:9], vcc, exec
	v_mov_b32_e32 v10, 0
	s_or_b64 s[4:5], s[4:5], s[8:9]
	s_or_b64 exec, exec, s[6:7]
	s_and_saveexec_b64 s[6:7], s[4:5]
	s_cbranch_execnz .LBB16_1107
	s_branch .LBB16_1108
.LBB16_3157:
	s_movk_i32 s4, 0x80
	v_cmp_eq_u16_e32 vcc, s4, v11
	s_mov_b64 s[4:5], -1
                                        ; implicit-def: $sgpr10
	s_and_saveexec_b64 s[8:9], vcc
; %bb.3158:
	s_mov_b32 s10, 0x7f800001
	s_xor_b64 s[4:5], exec, -1
; %bb.3159:
	s_or_b64 exec, exec, s[8:9]
	s_and_b64 s[4:5], s[4:5], exec
                                        ; implicit-def: $vgpr11
	s_or_saveexec_b64 s[6:7], s[6:7]
	v_mov_b32_e32 v14, s10
	s_xor_b64 exec, exec, s[6:7]
	s_cbranch_execz .LBB16_1110
.LBB16_3160:
	v_cmp_ne_u16_e32 vcc, 0, v11
	s_andn2_b64 s[4:5], s[4:5], exec
	s_and_b64 s[8:9], vcc, exec
	v_mov_b32_e32 v14, 0
	s_or_b64 s[4:5], s[4:5], s[8:9]
	s_or_b64 exec, exec, s[6:7]
	s_and_saveexec_b64 s[6:7], s[4:5]
	s_cbranch_execnz .LBB16_1111
	s_branch .LBB16_1112
.LBB16_3161:
	s_movk_i32 s4, 0x80
	v_cmp_eq_u16_sdwa s[12:13], v16, s4 src0_sel:BYTE_3 src1_sel:DWORD
	s_mov_b64 s[4:5], -1
                                        ; implicit-def: $sgpr10
	s_and_saveexec_b64 s[8:9], s[12:13]
; %bb.3162:
	s_mov_b32 s10, 0x7f800001
	s_xor_b64 s[4:5], exec, -1
; %bb.3163:
	s_or_b64 exec, exec, s[8:9]
	s_and_b64 s[4:5], s[4:5], exec
	s_or_saveexec_b64 s[6:7], s[6:7]
	v_mov_b32_e32 v10, s10
	s_xor_b64 exec, exec, s[6:7]
	s_cbranch_execz .LBB16_1114
.LBB16_3164:
	v_mov_b32_e32 v10, 0
	v_cmp_ne_u16_sdwa s[8:9], v16, v10 src0_sel:BYTE_3 src1_sel:DWORD
	s_andn2_b64 s[4:5], s[4:5], exec
	s_and_b64 s[8:9], s[8:9], exec
	s_or_b64 s[4:5], s[4:5], s[8:9]
	s_or_b64 exec, exec, s[6:7]
	s_and_saveexec_b64 s[6:7], s[4:5]
	s_cbranch_execnz .LBB16_1115
	s_branch .LBB16_1116
.LBB16_3165:
	s_movk_i32 s4, 0x80
	v_cmp_eq_u16_sdwa s[12:13], v12, s4 src0_sel:BYTE_3 src1_sel:DWORD
	s_mov_b64 s[4:5], -1
                                        ; implicit-def: $sgpr10
	s_and_saveexec_b64 s[8:9], s[12:13]
; %bb.3166:
	s_mov_b32 s10, 0x7f800001
	s_xor_b64 s[4:5], exec, -1
; %bb.3167:
	s_or_b64 exec, exec, s[8:9]
	s_and_b64 s[4:5], s[4:5], exec
	s_or_saveexec_b64 s[6:7], s[6:7]
	v_mov_b32_e32 v11, s10
	s_xor_b64 exec, exec, s[6:7]
	s_cbranch_execz .LBB16_1118
.LBB16_3168:
	v_mov_b32_e32 v11, 0
	v_cmp_ne_u16_sdwa s[8:9], v12, v11 src0_sel:BYTE_3 src1_sel:DWORD
	s_andn2_b64 s[4:5], s[4:5], exec
	s_and_b64 s[8:9], s[8:9], exec
	s_or_b64 s[4:5], s[4:5], s[8:9]
	s_or_b64 exec, exec, s[6:7]
	s_and_saveexec_b64 s[6:7], s[4:5]
	s_cbranch_execnz .LBB16_1119
	s_branch .LBB16_1120
.LBB16_3169:
	s_movk_i32 s4, 0x80
	v_cmp_eq_u16_sdwa s[12:13], v17, s4 src0_sel:BYTE_0 src1_sel:DWORD
	s_mov_b64 s[4:5], -1
                                        ; implicit-def: $sgpr10
	s_and_saveexec_b64 s[8:9], s[12:13]
; %bb.3170:
	s_mov_b32 s10, 0x7f800001
	s_xor_b64 s[4:5], exec, -1
; %bb.3171:
	s_or_b64 exec, exec, s[8:9]
	s_and_b64 s[4:5], s[4:5], exec
	s_or_saveexec_b64 s[6:7], s[6:7]
	v_mov_b32_e32 v10, s10
	s_xor_b64 exec, exec, s[6:7]
	s_cbranch_execz .LBB16_1122
.LBB16_3172:
	v_mov_b32_e32 v10, 0
	v_cmp_ne_u16_sdwa s[8:9], v17, v10 src0_sel:BYTE_0 src1_sel:DWORD
	s_andn2_b64 s[4:5], s[4:5], exec
	s_and_b64 s[8:9], s[8:9], exec
	s_or_b64 s[4:5], s[4:5], s[8:9]
	s_or_b64 exec, exec, s[6:7]
	s_and_saveexec_b64 s[6:7], s[4:5]
	s_cbranch_execnz .LBB16_1123
	s_branch .LBB16_1124
.LBB16_3173:
	s_movk_i32 s4, 0x80
	v_cmp_eq_u16_sdwa s[12:13], v13, s4 src0_sel:BYTE_0 src1_sel:DWORD
	s_mov_b64 s[4:5], -1
                                        ; implicit-def: $sgpr10
	s_and_saveexec_b64 s[8:9], s[12:13]
; %bb.3174:
	s_mov_b32 s10, 0x7f800001
	s_xor_b64 s[4:5], exec, -1
; %bb.3175:
	s_or_b64 exec, exec, s[8:9]
	s_and_b64 s[4:5], s[4:5], exec
	s_or_saveexec_b64 s[6:7], s[6:7]
	v_mov_b32_e32 v11, s10
	s_xor_b64 exec, exec, s[6:7]
	s_cbranch_execz .LBB16_1126
.LBB16_3176:
	v_mov_b32_e32 v11, 0
	v_cmp_ne_u16_sdwa s[8:9], v13, v11 src0_sel:BYTE_0 src1_sel:DWORD
	s_andn2_b64 s[4:5], s[4:5], exec
	s_and_b64 s[8:9], s[8:9], exec
	s_or_b64 s[4:5], s[4:5], s[8:9]
	s_or_b64 exec, exec, s[6:7]
	s_and_saveexec_b64 s[6:7], s[4:5]
	s_cbranch_execnz .LBB16_1127
	s_branch .LBB16_1128
.LBB16_3177:
	s_movk_i32 s4, 0x80
	v_cmp_eq_u16_sdwa s[12:13], v11, s4 src0_sel:BYTE_0 src1_sel:DWORD
	s_mov_b64 s[4:5], -1
                                        ; implicit-def: $sgpr10
	s_and_saveexec_b64 s[8:9], s[12:13]
; %bb.3178:
	s_mov_b32 s10, 0x7f800001
	s_xor_b64 s[4:5], exec, -1
; %bb.3179:
	s_or_b64 exec, exec, s[8:9]
	s_and_b64 s[4:5], s[4:5], exec
	s_or_saveexec_b64 s[6:7], s[6:7]
	v_mov_b32_e32 v10, s10
	s_xor_b64 exec, exec, s[6:7]
	s_cbranch_execz .LBB16_1130
.LBB16_3180:
	v_mov_b32_e32 v10, 0
	v_cmp_ne_u16_sdwa s[8:9], v11, v10 src0_sel:BYTE_0 src1_sel:DWORD
	s_andn2_b64 s[4:5], s[4:5], exec
	s_and_b64 s[8:9], s[8:9], exec
	s_or_b64 s[4:5], s[4:5], s[8:9]
	s_or_b64 exec, exec, s[6:7]
	s_and_saveexec_b64 s[6:7], s[4:5]
	s_cbranch_execnz .LBB16_1131
	s_branch .LBB16_1132
.LBB16_3181:
	s_movk_i32 s4, 0x80
	v_cmp_eq_u16_sdwa s[12:13], v11, s4 src0_sel:BYTE_0 src1_sel:DWORD
	s_mov_b64 s[4:5], -1
                                        ; implicit-def: $sgpr10
	s_and_saveexec_b64 s[8:9], s[12:13]
; %bb.3182:
	s_mov_b32 s10, 0x7f800001
	s_xor_b64 s[4:5], exec, -1
; %bb.3183:
	s_or_b64 exec, exec, s[8:9]
	s_and_b64 s[4:5], s[4:5], exec
	s_or_saveexec_b64 s[6:7], s[6:7]
	v_mov_b32_e32 v12, s10
	s_xor_b64 exec, exec, s[6:7]
	s_cbranch_execz .LBB16_1134
.LBB16_3184:
	v_mov_b32_e32 v12, 0
	v_cmp_ne_u16_sdwa s[8:9], v11, v12 src0_sel:BYTE_0 src1_sel:DWORD
	s_andn2_b64 s[4:5], s[4:5], exec
	s_and_b64 s[8:9], s[8:9], exec
	s_or_b64 s[4:5], s[4:5], s[8:9]
	s_or_b64 exec, exec, s[6:7]
	s_and_saveexec_b64 s[6:7], s[4:5]
	s_cbranch_execnz .LBB16_1135
	s_branch .LBB16_1136
.LBB16_3185:
	s_movk_i32 s4, 0x80
	v_cmp_eq_u16_e32 vcc, s4, v11
	s_mov_b64 s[4:5], -1
                                        ; implicit-def: $sgpr10
	s_and_saveexec_b64 s[8:9], vcc
; %bb.3186:
	s_mov_b32 s10, 0x7f800001
	s_xor_b64 s[4:5], exec, -1
; %bb.3187:
	s_or_b64 exec, exec, s[8:9]
	s_and_b64 s[4:5], s[4:5], exec
                                        ; implicit-def: $vgpr11
	s_or_saveexec_b64 s[6:7], s[6:7]
	v_mov_b32_e32 v10, s10
	s_xor_b64 exec, exec, s[6:7]
	s_cbranch_execz .LBB16_1138
.LBB16_3188:
	v_cmp_ne_u16_e32 vcc, 0, v11
	s_andn2_b64 s[4:5], s[4:5], exec
	s_and_b64 s[8:9], vcc, exec
	v_mov_b32_e32 v10, 0
	s_or_b64 s[4:5], s[4:5], s[8:9]
	s_or_b64 exec, exec, s[6:7]
	s_and_saveexec_b64 s[6:7], s[4:5]
	s_cbranch_execnz .LBB16_1139
	s_branch .LBB16_1140
.LBB16_3189:
	s_movk_i32 s4, 0x80
	v_cmp_eq_u16_e32 vcc, s4, v11
	s_mov_b64 s[4:5], -1
                                        ; implicit-def: $sgpr10
	s_and_saveexec_b64 s[8:9], vcc
; %bb.3190:
	s_mov_b32 s10, 0x7f800001
	s_xor_b64 s[4:5], exec, -1
; %bb.3191:
	s_or_b64 exec, exec, s[8:9]
	s_and_b64 s[4:5], s[4:5], exec
                                        ; implicit-def: $vgpr11
	s_or_saveexec_b64 s[6:7], s[6:7]
	v_mov_b32_e32 v12, s10
	s_xor_b64 exec, exec, s[6:7]
	s_cbranch_execz .LBB16_1142
.LBB16_3192:
	v_cmp_ne_u16_e32 vcc, 0, v11
	s_andn2_b64 s[4:5], s[4:5], exec
	s_and_b64 s[8:9], vcc, exec
	v_mov_b32_e32 v12, 0
	s_or_b64 s[4:5], s[4:5], s[8:9]
	s_or_b64 exec, exec, s[6:7]
	s_and_saveexec_b64 s[6:7], s[4:5]
	s_cbranch_execnz .LBB16_1143
	s_branch .LBB16_1144
.LBB16_3193:
	s_movk_i32 s4, 0x80
	v_cmp_eq_u16_sdwa s[12:13], v17, s4 src0_sel:BYTE_3 src1_sel:DWORD
	s_mov_b64 s[4:5], -1
                                        ; implicit-def: $sgpr10
	s_and_saveexec_b64 s[8:9], s[12:13]
; %bb.3194:
	s_mov_b32 s10, 0x7f800001
	s_xor_b64 s[4:5], exec, -1
; %bb.3195:
	s_or_b64 exec, exec, s[8:9]
	s_and_b64 s[4:5], s[4:5], exec
	s_or_saveexec_b64 s[6:7], s[6:7]
	v_mov_b32_e32 v10, s10
	s_xor_b64 exec, exec, s[6:7]
	s_cbranch_execz .LBB16_1146
.LBB16_3196:
	v_mov_b32_e32 v10, 0
	v_cmp_ne_u16_sdwa s[8:9], v17, v10 src0_sel:BYTE_3 src1_sel:DWORD
	s_andn2_b64 s[4:5], s[4:5], exec
	s_and_b64 s[8:9], s[8:9], exec
	s_or_b64 s[4:5], s[4:5], s[8:9]
	s_or_b64 exec, exec, s[6:7]
	s_and_saveexec_b64 s[6:7], s[4:5]
	s_cbranch_execnz .LBB16_1147
	s_branch .LBB16_1148
.LBB16_3197:
	s_movk_i32 s4, 0x80
	v_cmp_eq_u16_sdwa s[12:13], v13, s4 src0_sel:BYTE_3 src1_sel:DWORD
	s_mov_b64 s[4:5], -1
                                        ; implicit-def: $sgpr10
	s_and_saveexec_b64 s[8:9], s[12:13]
; %bb.3198:
	s_mov_b32 s10, 0x7f800001
	s_xor_b64 s[4:5], exec, -1
; %bb.3199:
	s_or_b64 exec, exec, s[8:9]
	s_and_b64 s[4:5], s[4:5], exec
	s_or_saveexec_b64 s[6:7], s[6:7]
	v_mov_b32_e32 v11, s10
	s_xor_b64 exec, exec, s[6:7]
	s_cbranch_execz .LBB16_1150
.LBB16_3200:
	v_mov_b32_e32 v11, 0
	v_cmp_ne_u16_sdwa s[8:9], v13, v11 src0_sel:BYTE_3 src1_sel:DWORD
	s_andn2_b64 s[4:5], s[4:5], exec
	s_and_b64 s[8:9], s[8:9], exec
	s_or_b64 s[4:5], s[4:5], s[8:9]
	s_or_b64 exec, exec, s[6:7]
	s_and_saveexec_b64 s[6:7], s[4:5]
	s_cbranch_execnz .LBB16_1151
	s_branch .LBB16_1152
.LBB16_3201:
	s_movk_i32 s4, 0x80
	v_cmp_eq_u16_sdwa s[12:13], v6, s4 src0_sel:BYTE_0 src1_sel:DWORD
	s_mov_b64 s[4:5], -1
                                        ; implicit-def: $sgpr10
	s_and_saveexec_b64 s[8:9], s[12:13]
; %bb.3202:
	s_mov_b32 s10, 0x7f800001
	s_xor_b64 s[4:5], exec, -1
; %bb.3203:
	s_or_b64 exec, exec, s[8:9]
	s_and_b64 s[4:5], s[4:5], exec
	s_or_saveexec_b64 s[6:7], s[6:7]
	v_mov_b32_e32 v10, s10
	s_xor_b64 exec, exec, s[6:7]
	s_cbranch_execz .LBB16_1154
.LBB16_3204:
	v_mov_b32_e32 v10, 0
	v_cmp_ne_u16_sdwa s[8:9], v6, v10 src0_sel:BYTE_0 src1_sel:DWORD
	s_andn2_b64 s[4:5], s[4:5], exec
	s_and_b64 s[8:9], s[8:9], exec
	s_or_b64 s[4:5], s[4:5], s[8:9]
	s_or_b64 exec, exec, s[6:7]
	s_and_saveexec_b64 s[6:7], s[4:5]
	s_cbranch_execnz .LBB16_1155
	s_branch .LBB16_1156
.LBB16_3205:
	s_movk_i32 s4, 0x80
	v_cmp_eq_u16_sdwa s[12:13], v2, s4 src0_sel:BYTE_0 src1_sel:DWORD
	s_mov_b64 s[4:5], -1
                                        ; implicit-def: $sgpr10
	s_and_saveexec_b64 s[8:9], s[12:13]
; %bb.3206:
	s_mov_b32 s10, 0x7f800001
	s_xor_b64 s[4:5], exec, -1
; %bb.3207:
	s_or_b64 exec, exec, s[8:9]
	s_and_b64 s[4:5], s[4:5], exec
	s_or_saveexec_b64 s[6:7], s[6:7]
	v_mov_b32_e32 v11, s10
	s_xor_b64 exec, exec, s[6:7]
	s_cbranch_execz .LBB16_1158
.LBB16_3208:
	v_mov_b32_e32 v11, 0
	v_cmp_ne_u16_sdwa s[8:9], v2, v11 src0_sel:BYTE_0 src1_sel:DWORD
	s_andn2_b64 s[4:5], s[4:5], exec
	s_and_b64 s[8:9], s[8:9], exec
	s_or_b64 s[4:5], s[4:5], s[8:9]
	s_or_b64 exec, exec, s[6:7]
	s_and_saveexec_b64 s[6:7], s[4:5]
	s_cbranch_execnz .LBB16_1159
	s_branch .LBB16_1160
.LBB16_3209:
	s_movk_i32 s4, 0x80
	v_cmp_eq_u16_sdwa s[12:13], v11, s4 src0_sel:BYTE_0 src1_sel:DWORD
	s_mov_b64 s[4:5], -1
                                        ; implicit-def: $sgpr10
	s_and_saveexec_b64 s[8:9], s[12:13]
; %bb.3210:
	s_mov_b32 s10, 0x7f800001
	s_xor_b64 s[4:5], exec, -1
; %bb.3211:
	s_or_b64 exec, exec, s[8:9]
	s_and_b64 s[4:5], s[4:5], exec
	s_or_saveexec_b64 s[6:7], s[6:7]
	v_mov_b32_e32 v10, s10
	s_xor_b64 exec, exec, s[6:7]
	s_cbranch_execz .LBB16_1162
.LBB16_3212:
	v_mov_b32_e32 v10, 0
	v_cmp_ne_u16_sdwa s[8:9], v11, v10 src0_sel:BYTE_0 src1_sel:DWORD
	s_andn2_b64 s[4:5], s[4:5], exec
	s_and_b64 s[8:9], s[8:9], exec
	s_or_b64 s[4:5], s[4:5], s[8:9]
	s_or_b64 exec, exec, s[6:7]
	s_and_saveexec_b64 s[6:7], s[4:5]
	s_cbranch_execnz .LBB16_1163
	s_branch .LBB16_1164
.LBB16_3213:
	s_movk_i32 s4, 0x80
	v_cmp_eq_u16_sdwa s[12:13], v11, s4 src0_sel:BYTE_0 src1_sel:DWORD
	s_mov_b64 s[4:5], -1
                                        ; implicit-def: $sgpr10
	s_and_saveexec_b64 s[8:9], s[12:13]
; %bb.3214:
	s_mov_b32 s10, 0x7f800001
	s_xor_b64 s[4:5], exec, -1
; %bb.3215:
	s_or_b64 exec, exec, s[8:9]
	s_and_b64 s[4:5], s[4:5], exec
	s_or_saveexec_b64 s[6:7], s[6:7]
	v_mov_b32_e32 v12, s10
	s_xor_b64 exec, exec, s[6:7]
	s_cbranch_execz .LBB16_1166
.LBB16_3216:
	v_mov_b32_e32 v12, 0
	v_cmp_ne_u16_sdwa s[8:9], v11, v12 src0_sel:BYTE_0 src1_sel:DWORD
	s_andn2_b64 s[4:5], s[4:5], exec
	s_and_b64 s[8:9], s[8:9], exec
	s_or_b64 s[4:5], s[4:5], s[8:9]
	s_or_b64 exec, exec, s[6:7]
	s_and_saveexec_b64 s[6:7], s[4:5]
	s_cbranch_execnz .LBB16_1167
	s_branch .LBB16_1168
.LBB16_3217:
	s_movk_i32 s4, 0x80
	v_cmp_eq_u16_e32 vcc, s4, v11
	s_mov_b64 s[4:5], -1
                                        ; implicit-def: $sgpr10
	s_and_saveexec_b64 s[8:9], vcc
; %bb.3218:
	s_mov_b32 s10, 0x7f800001
	s_xor_b64 s[4:5], exec, -1
; %bb.3219:
	s_or_b64 exec, exec, s[8:9]
	s_and_b64 s[4:5], s[4:5], exec
                                        ; implicit-def: $vgpr11
	s_or_saveexec_b64 s[6:7], s[6:7]
	v_mov_b32_e32 v10, s10
	s_xor_b64 exec, exec, s[6:7]
	s_cbranch_execz .LBB16_1170
.LBB16_3220:
	v_cmp_ne_u16_e32 vcc, 0, v11
	s_andn2_b64 s[4:5], s[4:5], exec
	s_and_b64 s[8:9], vcc, exec
	v_mov_b32_e32 v10, 0
	s_or_b64 s[4:5], s[4:5], s[8:9]
	s_or_b64 exec, exec, s[6:7]
	s_and_saveexec_b64 s[6:7], s[4:5]
	s_cbranch_execnz .LBB16_1171
	s_branch .LBB16_1172
.LBB16_3221:
	s_movk_i32 s4, 0x80
	v_cmp_eq_u16_e32 vcc, s4, v11
	s_mov_b64 s[4:5], -1
                                        ; implicit-def: $sgpr10
	s_and_saveexec_b64 s[8:9], vcc
; %bb.3222:
	s_mov_b32 s10, 0x7f800001
	s_xor_b64 s[4:5], exec, -1
; %bb.3223:
	s_or_b64 exec, exec, s[8:9]
	s_and_b64 s[4:5], s[4:5], exec
                                        ; implicit-def: $vgpr11
	s_or_saveexec_b64 s[6:7], s[6:7]
	v_mov_b32_e32 v12, s10
	s_xor_b64 exec, exec, s[6:7]
	s_cbranch_execz .LBB16_1174
.LBB16_3224:
	v_cmp_ne_u16_e32 vcc, 0, v11
	s_andn2_b64 s[4:5], s[4:5], exec
	s_and_b64 s[8:9], vcc, exec
	v_mov_b32_e32 v12, 0
	s_or_b64 s[4:5], s[4:5], s[8:9]
	s_or_b64 exec, exec, s[6:7]
	s_and_saveexec_b64 s[6:7], s[4:5]
	s_cbranch_execnz .LBB16_1175
	s_branch .LBB16_1176
.LBB16_3225:
	s_movk_i32 s4, 0x80
	v_cmp_eq_u16_sdwa s[12:13], v6, s4 src0_sel:BYTE_3 src1_sel:DWORD
	s_mov_b64 s[4:5], -1
                                        ; implicit-def: $sgpr10
	s_and_saveexec_b64 s[8:9], s[12:13]
; %bb.3226:
	s_mov_b32 s10, 0x7f800001
	s_xor_b64 s[4:5], exec, -1
; %bb.3227:
	s_or_b64 exec, exec, s[8:9]
	s_and_b64 s[4:5], s[4:5], exec
	s_or_saveexec_b64 s[6:7], s[6:7]
	v_mov_b32_e32 v10, s10
	s_xor_b64 exec, exec, s[6:7]
	s_cbranch_execz .LBB16_1178
.LBB16_3228:
	v_mov_b32_e32 v10, 0
	v_cmp_ne_u16_sdwa s[8:9], v6, v10 src0_sel:BYTE_3 src1_sel:DWORD
	s_andn2_b64 s[4:5], s[4:5], exec
	s_and_b64 s[8:9], s[8:9], exec
	s_or_b64 s[4:5], s[4:5], s[8:9]
	s_or_b64 exec, exec, s[6:7]
	s_and_saveexec_b64 s[6:7], s[4:5]
	s_cbranch_execnz .LBB16_1179
	s_branch .LBB16_1180
.LBB16_3229:
	s_movk_i32 s4, 0x80
	v_cmp_eq_u16_sdwa s[12:13], v2, s4 src0_sel:BYTE_3 src1_sel:DWORD
	s_mov_b64 s[4:5], -1
                                        ; implicit-def: $sgpr10
	s_and_saveexec_b64 s[8:9], s[12:13]
; %bb.3230:
	s_mov_b32 s10, 0x7f800001
	s_xor_b64 s[4:5], exec, -1
; %bb.3231:
	s_or_b64 exec, exec, s[8:9]
	s_and_b64 s[4:5], s[4:5], exec
	s_or_saveexec_b64 s[6:7], s[6:7]
	v_mov_b32_e32 v6, s10
	s_xor_b64 exec, exec, s[6:7]
	s_cbranch_execz .LBB16_1182
.LBB16_3232:
	v_mov_b32_e32 v6, 0
	v_cmp_ne_u16_sdwa s[8:9], v2, v6 src0_sel:BYTE_3 src1_sel:DWORD
	s_andn2_b64 s[4:5], s[4:5], exec
	s_and_b64 s[8:9], s[8:9], exec
	s_or_b64 s[4:5], s[4:5], s[8:9]
	s_or_b64 exec, exec, s[6:7]
	s_and_saveexec_b64 s[6:7], s[4:5]
	s_cbranch_execnz .LBB16_1183
	s_branch .LBB16_1184
.LBB16_3233:
	s_movk_i32 s4, 0x80
	v_cmp_eq_u16_sdwa s[12:13], v7, s4 src0_sel:BYTE_0 src1_sel:DWORD
	s_mov_b64 s[4:5], -1
                                        ; implicit-def: $sgpr10
	s_and_saveexec_b64 s[8:9], s[12:13]
; %bb.3234:
	s_mov_b32 s10, 0x7f800001
	s_xor_b64 s[4:5], exec, -1
; %bb.3235:
	s_or_b64 exec, exec, s[8:9]
	s_and_b64 s[4:5], s[4:5], exec
	s_or_saveexec_b64 s[6:7], s[6:7]
	v_mov_b32_e32 v2, s10
	s_xor_b64 exec, exec, s[6:7]
	s_cbranch_execz .LBB16_1186
.LBB16_3236:
	v_mov_b32_e32 v2, 0
	v_cmp_ne_u16_sdwa s[8:9], v7, v2 src0_sel:BYTE_0 src1_sel:DWORD
	s_andn2_b64 s[4:5], s[4:5], exec
	s_and_b64 s[8:9], s[8:9], exec
	s_or_b64 s[4:5], s[4:5], s[8:9]
	s_or_b64 exec, exec, s[6:7]
	s_and_saveexec_b64 s[6:7], s[4:5]
	s_cbranch_execnz .LBB16_1187
	s_branch .LBB16_1188
.LBB16_3237:
	s_movk_i32 s4, 0x80
	v_cmp_eq_u16_sdwa s[12:13], v3, s4 src0_sel:BYTE_0 src1_sel:DWORD
	s_mov_b64 s[4:5], -1
                                        ; implicit-def: $sgpr10
	s_and_saveexec_b64 s[8:9], s[12:13]
; %bb.3238:
	s_mov_b32 s10, 0x7f800001
	s_xor_b64 s[4:5], exec, -1
; %bb.3239:
	s_or_b64 exec, exec, s[8:9]
	s_and_b64 s[4:5], s[4:5], exec
	s_or_saveexec_b64 s[6:7], s[6:7]
	v_mov_b32_e32 v6, s10
	s_xor_b64 exec, exec, s[6:7]
	s_cbranch_execz .LBB16_1190
.LBB16_3240:
	v_mov_b32_e32 v6, 0
	v_cmp_ne_u16_sdwa s[8:9], v3, v6 src0_sel:BYTE_0 src1_sel:DWORD
	s_andn2_b64 s[4:5], s[4:5], exec
	s_and_b64 s[8:9], s[8:9], exec
	s_or_b64 s[4:5], s[4:5], s[8:9]
	s_or_b64 exec, exec, s[6:7]
	s_and_saveexec_b64 s[6:7], s[4:5]
	s_cbranch_execnz .LBB16_1191
	s_branch .LBB16_1192
.LBB16_3241:
	s_movk_i32 s4, 0x80
	v_cmp_eq_u16_sdwa s[12:13], v6, s4 src0_sel:BYTE_0 src1_sel:DWORD
	s_mov_b64 s[4:5], -1
                                        ; implicit-def: $sgpr10
	s_and_saveexec_b64 s[8:9], s[12:13]
; %bb.3242:
	s_mov_b32 s10, 0x7f800001
	s_xor_b64 s[4:5], exec, -1
; %bb.3243:
	s_or_b64 exec, exec, s[8:9]
	s_and_b64 s[4:5], s[4:5], exec
	s_or_saveexec_b64 s[6:7], s[6:7]
	v_mov_b32_e32 v2, s10
	s_xor_b64 exec, exec, s[6:7]
	s_cbranch_execz .LBB16_1194
.LBB16_3244:
	v_mov_b32_e32 v2, 0
	v_cmp_ne_u16_sdwa s[8:9], v6, v2 src0_sel:BYTE_0 src1_sel:DWORD
	s_andn2_b64 s[4:5], s[4:5], exec
	s_and_b64 s[8:9], s[8:9], exec
	s_or_b64 s[4:5], s[4:5], s[8:9]
	s_or_b64 exec, exec, s[6:7]
	s_and_saveexec_b64 s[6:7], s[4:5]
	s_cbranch_execnz .LBB16_1195
	s_branch .LBB16_1196
.LBB16_3245:
	s_movk_i32 s4, 0x80
	v_cmp_eq_u16_sdwa s[12:13], v6, s4 src0_sel:BYTE_0 src1_sel:DWORD
	s_mov_b64 s[4:5], -1
                                        ; implicit-def: $sgpr10
	s_and_saveexec_b64 s[8:9], s[12:13]
; %bb.3246:
	s_mov_b32 s10, 0x7f800001
	s_xor_b64 s[4:5], exec, -1
; %bb.3247:
	s_or_b64 exec, exec, s[8:9]
	s_and_b64 s[4:5], s[4:5], exec
	s_or_saveexec_b64 s[6:7], s[6:7]
	v_mov_b32_e32 v10, s10
	s_xor_b64 exec, exec, s[6:7]
	s_cbranch_execz .LBB16_1198
.LBB16_3248:
	v_mov_b32_e32 v10, 0
	v_cmp_ne_u16_sdwa s[8:9], v6, v10 src0_sel:BYTE_0 src1_sel:DWORD
	s_andn2_b64 s[4:5], s[4:5], exec
	s_and_b64 s[8:9], s[8:9], exec
	s_or_b64 s[4:5], s[4:5], s[8:9]
	s_or_b64 exec, exec, s[6:7]
	s_and_saveexec_b64 s[6:7], s[4:5]
	s_cbranch_execnz .LBB16_1199
	s_branch .LBB16_1200
.LBB16_3249:
	s_movk_i32 s4, 0x80
	v_cmp_eq_u16_e32 vcc, s4, v6
	s_mov_b64 s[4:5], -1
                                        ; implicit-def: $sgpr10
	s_and_saveexec_b64 s[8:9], vcc
; %bb.3250:
	s_mov_b32 s10, 0x7f800001
	s_xor_b64 s[4:5], exec, -1
; %bb.3251:
	s_or_b64 exec, exec, s[8:9]
	s_and_b64 s[4:5], s[4:5], exec
                                        ; implicit-def: $vgpr6
	s_or_saveexec_b64 s[6:7], s[6:7]
	v_mov_b32_e32 v2, s10
	s_xor_b64 exec, exec, s[6:7]
	s_cbranch_execz .LBB16_1202
.LBB16_3252:
	v_cmp_ne_u16_e32 vcc, 0, v6
	s_andn2_b64 s[4:5], s[4:5], exec
	s_and_b64 s[8:9], vcc, exec
	v_mov_b32_e32 v2, 0
	s_or_b64 s[4:5], s[4:5], s[8:9]
	s_or_b64 exec, exec, s[6:7]
	s_and_saveexec_b64 s[6:7], s[4:5]
	s_cbranch_execnz .LBB16_1203
	s_branch .LBB16_1204
.LBB16_3253:
	s_movk_i32 s4, 0x80
	v_cmp_eq_u16_e32 vcc, s4, v6
	s_mov_b64 s[4:5], -1
                                        ; implicit-def: $sgpr10
	s_and_saveexec_b64 s[8:9], vcc
; %bb.3254:
	s_mov_b32 s10, 0x7f800001
	s_xor_b64 s[4:5], exec, -1
; %bb.3255:
	s_or_b64 exec, exec, s[8:9]
	s_and_b64 s[4:5], s[4:5], exec
                                        ; implicit-def: $vgpr6
	s_or_saveexec_b64 s[6:7], s[6:7]
	v_mov_b32_e32 v10, s10
	s_xor_b64 exec, exec, s[6:7]
	s_cbranch_execz .LBB16_1206
.LBB16_3256:
	v_cmp_ne_u16_e32 vcc, 0, v6
	s_andn2_b64 s[4:5], s[4:5], exec
	s_and_b64 s[8:9], vcc, exec
	v_mov_b32_e32 v10, 0
	s_or_b64 s[4:5], s[4:5], s[8:9]
	s_or_b64 exec, exec, s[6:7]
	s_and_saveexec_b64 s[6:7], s[4:5]
	s_cbranch_execnz .LBB16_1207
	s_branch .LBB16_1208
.LBB16_3257:
	s_movk_i32 s4, 0x80
	v_cmp_eq_u16_sdwa s[12:13], v7, s4 src0_sel:BYTE_3 src1_sel:DWORD
	s_mov_b64 s[4:5], -1
                                        ; implicit-def: $sgpr10
	s_and_saveexec_b64 s[8:9], s[12:13]
; %bb.3258:
	s_mov_b32 s10, 0x7f800001
	s_xor_b64 s[4:5], exec, -1
; %bb.3259:
	s_or_b64 exec, exec, s[8:9]
	s_and_b64 s[4:5], s[4:5], exec
	s_or_saveexec_b64 s[6:7], s[6:7]
	v_mov_b32_e32 v2, s10
	s_xor_b64 exec, exec, s[6:7]
	s_cbranch_execz .LBB16_1210
.LBB16_3260:
	v_mov_b32_e32 v2, 0
	v_cmp_ne_u16_sdwa s[8:9], v7, v2 src0_sel:BYTE_3 src1_sel:DWORD
	s_andn2_b64 s[4:5], s[4:5], exec
	s_and_b64 s[8:9], s[8:9], exec
	s_or_b64 s[4:5], s[4:5], s[8:9]
	s_or_b64 exec, exec, s[6:7]
	s_and_saveexec_b64 s[6:7], s[4:5]
	s_cbranch_execnz .LBB16_1211
	s_branch .LBB16_1212
.LBB16_3261:
	s_movk_i32 s4, 0x80
	v_cmp_eq_u16_sdwa s[12:13], v3, s4 src0_sel:BYTE_3 src1_sel:DWORD
	s_mov_b64 s[4:5], -1
                                        ; implicit-def: $sgpr10
	s_and_saveexec_b64 s[8:9], s[12:13]
; %bb.3262:
	s_mov_b32 s10, 0x7f800001
	s_xor_b64 s[4:5], exec, -1
; %bb.3263:
	s_or_b64 exec, exec, s[8:9]
	s_and_b64 s[4:5], s[4:5], exec
	s_or_saveexec_b64 s[6:7], s[6:7]
	v_mov_b32_e32 v6, s10
	s_xor_b64 exec, exec, s[6:7]
	s_cbranch_execz .LBB16_1214
.LBB16_3264:
	v_mov_b32_e32 v6, 0
	v_cmp_ne_u16_sdwa s[8:9], v3, v6 src0_sel:BYTE_3 src1_sel:DWORD
	s_andn2_b64 s[4:5], s[4:5], exec
	s_and_b64 s[8:9], s[8:9], exec
	s_or_b64 s[4:5], s[4:5], s[8:9]
	s_or_b64 exec, exec, s[6:7]
	s_and_saveexec_b64 s[6:7], s[4:5]
	s_cbranch_execnz .LBB16_1215
	s_branch .LBB16_1216
.LBB16_3265:
	s_movk_i32 s4, 0x80
	v_cmp_eq_u16_sdwa s[12:13], v8, s4 src0_sel:BYTE_0 src1_sel:DWORD
	s_mov_b64 s[4:5], -1
                                        ; implicit-def: $sgpr10
	s_and_saveexec_b64 s[8:9], s[12:13]
; %bb.3266:
	s_mov_b32 s10, 0x7f800001
	s_xor_b64 s[4:5], exec, -1
; %bb.3267:
	s_or_b64 exec, exec, s[8:9]
	s_and_b64 s[4:5], s[4:5], exec
	s_or_saveexec_b64 s[6:7], s[6:7]
	v_mov_b32_e32 v2, s10
	s_xor_b64 exec, exec, s[6:7]
	s_cbranch_execz .LBB16_1218
.LBB16_3268:
	v_mov_b32_e32 v2, 0
	v_cmp_ne_u16_sdwa s[8:9], v8, v2 src0_sel:BYTE_0 src1_sel:DWORD
	s_andn2_b64 s[4:5], s[4:5], exec
	s_and_b64 s[8:9], s[8:9], exec
	s_or_b64 s[4:5], s[4:5], s[8:9]
	s_or_b64 exec, exec, s[6:7]
	s_and_saveexec_b64 s[6:7], s[4:5]
	s_cbranch_execnz .LBB16_1219
	s_branch .LBB16_1220
.LBB16_3269:
	s_movk_i32 s4, 0x80
	v_cmp_eq_u16_sdwa s[12:13], v4, s4 src0_sel:BYTE_0 src1_sel:DWORD
	s_mov_b64 s[4:5], -1
                                        ; implicit-def: $sgpr10
	s_and_saveexec_b64 s[8:9], s[12:13]
; %bb.3270:
	s_mov_b32 s10, 0x7f800001
	s_xor_b64 s[4:5], exec, -1
; %bb.3271:
	s_or_b64 exec, exec, s[8:9]
	s_and_b64 s[4:5], s[4:5], exec
	s_or_saveexec_b64 s[6:7], s[6:7]
	v_mov_b32_e32 v3, s10
	s_xor_b64 exec, exec, s[6:7]
	s_cbranch_execz .LBB16_1222
.LBB16_3272:
	v_mov_b32_e32 v3, 0
	v_cmp_ne_u16_sdwa s[8:9], v4, v3 src0_sel:BYTE_0 src1_sel:DWORD
	s_andn2_b64 s[4:5], s[4:5], exec
	s_and_b64 s[8:9], s[8:9], exec
	s_or_b64 s[4:5], s[4:5], s[8:9]
	s_or_b64 exec, exec, s[6:7]
	s_and_saveexec_b64 s[6:7], s[4:5]
	s_cbranch_execnz .LBB16_1223
	s_branch .LBB16_1224
.LBB16_3273:
	s_movk_i32 s4, 0x80
	v_cmp_eq_u16_sdwa s[12:13], v3, s4 src0_sel:BYTE_0 src1_sel:DWORD
	s_mov_b64 s[4:5], -1
                                        ; implicit-def: $sgpr10
	s_and_saveexec_b64 s[8:9], s[12:13]
; %bb.3274:
	s_mov_b32 s10, 0x7f800001
	s_xor_b64 s[4:5], exec, -1
; %bb.3275:
	s_or_b64 exec, exec, s[8:9]
	s_and_b64 s[4:5], s[4:5], exec
	s_or_saveexec_b64 s[6:7], s[6:7]
	v_mov_b32_e32 v2, s10
	s_xor_b64 exec, exec, s[6:7]
	s_cbranch_execz .LBB16_1226
.LBB16_3276:
	v_mov_b32_e32 v2, 0
	v_cmp_ne_u16_sdwa s[8:9], v3, v2 src0_sel:BYTE_0 src1_sel:DWORD
	s_andn2_b64 s[4:5], s[4:5], exec
	s_and_b64 s[8:9], s[8:9], exec
	s_or_b64 s[4:5], s[4:5], s[8:9]
	s_or_b64 exec, exec, s[6:7]
	s_and_saveexec_b64 s[6:7], s[4:5]
	s_cbranch_execnz .LBB16_1227
	s_branch .LBB16_1228
.LBB16_3277:
	s_movk_i32 s4, 0x80
	v_cmp_eq_u16_sdwa s[12:13], v3, s4 src0_sel:BYTE_0 src1_sel:DWORD
	s_mov_b64 s[4:5], -1
                                        ; implicit-def: $sgpr10
	s_and_saveexec_b64 s[8:9], s[12:13]
; %bb.3278:
	s_mov_b32 s10, 0x7f800001
	s_xor_b64 s[4:5], exec, -1
; %bb.3279:
	s_or_b64 exec, exec, s[8:9]
	s_and_b64 s[4:5], s[4:5], exec
	s_or_saveexec_b64 s[6:7], s[6:7]
	v_mov_b32_e32 v6, s10
	s_xor_b64 exec, exec, s[6:7]
	s_cbranch_execz .LBB16_1230
.LBB16_3280:
	v_mov_b32_e32 v6, 0
	v_cmp_ne_u16_sdwa s[8:9], v3, v6 src0_sel:BYTE_0 src1_sel:DWORD
	s_andn2_b64 s[4:5], s[4:5], exec
	s_and_b64 s[8:9], s[8:9], exec
	s_or_b64 s[4:5], s[4:5], s[8:9]
	s_or_b64 exec, exec, s[6:7]
	s_and_saveexec_b64 s[6:7], s[4:5]
	s_cbranch_execnz .LBB16_1231
	s_branch .LBB16_1232
.LBB16_3281:
	s_movk_i32 s4, 0x80
	v_cmp_eq_u16_e32 vcc, s4, v3
	s_mov_b64 s[4:5], -1
                                        ; implicit-def: $sgpr10
	s_and_saveexec_b64 s[8:9], vcc
; %bb.3282:
	s_mov_b32 s10, 0x7f800001
	s_xor_b64 s[4:5], exec, -1
; %bb.3283:
	s_or_b64 exec, exec, s[8:9]
	s_and_b64 s[4:5], s[4:5], exec
                                        ; implicit-def: $vgpr3
	s_or_saveexec_b64 s[6:7], s[6:7]
	v_mov_b32_e32 v2, s10
	s_xor_b64 exec, exec, s[6:7]
	s_cbranch_execz .LBB16_1234
.LBB16_3284:
	v_cmp_ne_u16_e32 vcc, 0, v3
	s_andn2_b64 s[4:5], s[4:5], exec
	s_and_b64 s[8:9], vcc, exec
	v_mov_b32_e32 v2, 0
	s_or_b64 s[4:5], s[4:5], s[8:9]
	s_or_b64 exec, exec, s[6:7]
	s_and_saveexec_b64 s[6:7], s[4:5]
	s_cbranch_execnz .LBB16_1235
	s_branch .LBB16_1236
.LBB16_3285:
	s_movk_i32 s4, 0x80
	v_cmp_eq_u16_e32 vcc, s4, v3
	s_mov_b64 s[4:5], -1
                                        ; implicit-def: $sgpr10
	s_and_saveexec_b64 s[8:9], vcc
; %bb.3286:
	s_mov_b32 s10, 0x7f800001
	s_xor_b64 s[4:5], exec, -1
; %bb.3287:
	s_or_b64 exec, exec, s[8:9]
	s_and_b64 s[4:5], s[4:5], exec
                                        ; implicit-def: $vgpr3
	s_or_saveexec_b64 s[6:7], s[6:7]
	v_mov_b32_e32 v6, s10
	s_xor_b64 exec, exec, s[6:7]
	s_cbranch_execz .LBB16_1238
.LBB16_3288:
	v_cmp_ne_u16_e32 vcc, 0, v3
	s_andn2_b64 s[4:5], s[4:5], exec
	s_and_b64 s[8:9], vcc, exec
	v_mov_b32_e32 v6, 0
	s_or_b64 s[4:5], s[4:5], s[8:9]
	s_or_b64 exec, exec, s[6:7]
	s_and_saveexec_b64 s[6:7], s[4:5]
	s_cbranch_execnz .LBB16_1239
	s_branch .LBB16_1240
.LBB16_3289:
	s_movk_i32 s4, 0x80
	v_cmp_eq_u16_sdwa s[12:13], v8, s4 src0_sel:BYTE_3 src1_sel:DWORD
	s_mov_b64 s[4:5], -1
                                        ; implicit-def: $sgpr10
	s_and_saveexec_b64 s[8:9], s[12:13]
; %bb.3290:
	s_mov_b32 s10, 0x7f800001
	s_xor_b64 s[4:5], exec, -1
; %bb.3291:
	s_or_b64 exec, exec, s[8:9]
	s_and_b64 s[4:5], s[4:5], exec
	s_or_saveexec_b64 s[6:7], s[6:7]
	v_mov_b32_e32 v2, s10
	s_xor_b64 exec, exec, s[6:7]
	s_cbranch_execz .LBB16_1242
.LBB16_3292:
	v_mov_b32_e32 v2, 0
	v_cmp_ne_u16_sdwa s[8:9], v8, v2 src0_sel:BYTE_3 src1_sel:DWORD
	s_andn2_b64 s[4:5], s[4:5], exec
	s_and_b64 s[8:9], s[8:9], exec
	s_or_b64 s[4:5], s[4:5], s[8:9]
	s_or_b64 exec, exec, s[6:7]
	s_and_saveexec_b64 s[6:7], s[4:5]
	s_cbranch_execnz .LBB16_1243
	s_branch .LBB16_1244
.LBB16_3293:
	s_movk_i32 s4, 0x80
	v_cmp_eq_u16_sdwa s[12:13], v4, s4 src0_sel:BYTE_3 src1_sel:DWORD
	s_mov_b64 s[4:5], -1
                                        ; implicit-def: $sgpr10
	s_and_saveexec_b64 s[8:9], s[12:13]
; %bb.3294:
	s_mov_b32 s10, 0x7f800001
	s_xor_b64 s[4:5], exec, -1
; %bb.3295:
	s_or_b64 exec, exec, s[8:9]
	s_and_b64 s[4:5], s[4:5], exec
	s_or_saveexec_b64 s[6:7], s[6:7]
	v_mov_b32_e32 v3, s10
	s_xor_b64 exec, exec, s[6:7]
	s_cbranch_execz .LBB16_1246
.LBB16_3296:
	v_mov_b32_e32 v3, 0
	v_cmp_ne_u16_sdwa s[8:9], v4, v3 src0_sel:BYTE_3 src1_sel:DWORD
	s_andn2_b64 s[4:5], s[4:5], exec
	s_and_b64 s[8:9], s[8:9], exec
	s_or_b64 s[4:5], s[4:5], s[8:9]
	s_or_b64 exec, exec, s[6:7]
	s_and_saveexec_b64 s[6:7], s[4:5]
	s_cbranch_execnz .LBB16_1247
	s_branch .LBB16_1248
.LBB16_3297:
	s_movk_i32 s4, 0x80
	v_cmp_eq_u16_sdwa s[12:13], v9, s4 src0_sel:BYTE_0 src1_sel:DWORD
	s_mov_b64 s[4:5], -1
                                        ; implicit-def: $sgpr10
	s_and_saveexec_b64 s[8:9], s[12:13]
; %bb.3298:
	s_mov_b32 s10, 0x7f800001
	s_xor_b64 s[4:5], exec, -1
; %bb.3299:
	s_or_b64 exec, exec, s[8:9]
	s_and_b64 s[4:5], s[4:5], exec
	s_or_saveexec_b64 s[6:7], s[6:7]
	v_mov_b32_e32 v2, s10
	s_xor_b64 exec, exec, s[6:7]
	s_cbranch_execz .LBB16_1250
.LBB16_3300:
	v_mov_b32_e32 v2, 0
	v_cmp_ne_u16_sdwa s[8:9], v9, v2 src0_sel:BYTE_0 src1_sel:DWORD
	s_andn2_b64 s[4:5], s[4:5], exec
	s_and_b64 s[8:9], s[8:9], exec
	s_or_b64 s[4:5], s[4:5], s[8:9]
	s_or_b64 exec, exec, s[6:7]
	s_and_saveexec_b64 s[6:7], s[4:5]
	s_cbranch_execnz .LBB16_1251
	s_branch .LBB16_1252
.LBB16_3301:
	s_movk_i32 s4, 0x80
	v_cmp_eq_u16_sdwa s[12:13], v5, s4 src0_sel:BYTE_0 src1_sel:DWORD
	s_mov_b64 s[4:5], -1
                                        ; implicit-def: $sgpr10
	s_and_saveexec_b64 s[8:9], s[12:13]
; %bb.3302:
	s_mov_b32 s10, 0x7f800001
	s_xor_b64 s[4:5], exec, -1
; %bb.3303:
	s_or_b64 exec, exec, s[8:9]
	s_and_b64 s[4:5], s[4:5], exec
	s_or_saveexec_b64 s[6:7], s[6:7]
	v_mov_b32_e32 v3, s10
	s_xor_b64 exec, exec, s[6:7]
	s_cbranch_execz .LBB16_1254
.LBB16_3304:
	v_mov_b32_e32 v3, 0
	v_cmp_ne_u16_sdwa s[8:9], v5, v3 src0_sel:BYTE_0 src1_sel:DWORD
	s_andn2_b64 s[4:5], s[4:5], exec
	s_and_b64 s[8:9], s[8:9], exec
	s_or_b64 s[4:5], s[4:5], s[8:9]
	s_or_b64 exec, exec, s[6:7]
	s_and_saveexec_b64 s[6:7], s[4:5]
	s_cbranch_execnz .LBB16_1255
	s_branch .LBB16_1256
.LBB16_3305:
	s_movk_i32 s4, 0x80
	v_cmp_eq_u16_sdwa s[12:13], v3, s4 src0_sel:BYTE_0 src1_sel:DWORD
	s_mov_b64 s[4:5], -1
                                        ; implicit-def: $sgpr10
	s_and_saveexec_b64 s[8:9], s[12:13]
; %bb.3306:
	s_mov_b32 s10, 0x7f800001
	s_xor_b64 s[4:5], exec, -1
; %bb.3307:
	s_or_b64 exec, exec, s[8:9]
	s_and_b64 s[4:5], s[4:5], exec
	s_or_saveexec_b64 s[6:7], s[6:7]
	v_mov_b32_e32 v2, s10
	s_xor_b64 exec, exec, s[6:7]
	s_cbranch_execz .LBB16_1258
.LBB16_3308:
	v_mov_b32_e32 v2, 0
	v_cmp_ne_u16_sdwa s[8:9], v3, v2 src0_sel:BYTE_0 src1_sel:DWORD
	s_andn2_b64 s[4:5], s[4:5], exec
	s_and_b64 s[8:9], s[8:9], exec
	s_or_b64 s[4:5], s[4:5], s[8:9]
	s_or_b64 exec, exec, s[6:7]
	s_and_saveexec_b64 s[6:7], s[4:5]
	s_cbranch_execnz .LBB16_1259
	s_branch .LBB16_1260
.LBB16_3309:
	s_movk_i32 s4, 0x80
	v_cmp_eq_u16_sdwa s[12:13], v3, s4 src0_sel:BYTE_0 src1_sel:DWORD
	s_mov_b64 s[4:5], -1
                                        ; implicit-def: $sgpr10
	s_and_saveexec_b64 s[8:9], s[12:13]
; %bb.3310:
	s_mov_b32 s10, 0x7f800001
	s_xor_b64 s[4:5], exec, -1
; %bb.3311:
	s_or_b64 exec, exec, s[8:9]
	s_and_b64 s[4:5], s[4:5], exec
	s_or_saveexec_b64 s[6:7], s[6:7]
	v_mov_b32_e32 v4, s10
	s_xor_b64 exec, exec, s[6:7]
	s_cbranch_execz .LBB16_1262
.LBB16_3312:
	v_mov_b32_e32 v4, 0
	v_cmp_ne_u16_sdwa s[8:9], v3, v4 src0_sel:BYTE_0 src1_sel:DWORD
	s_andn2_b64 s[4:5], s[4:5], exec
	s_and_b64 s[8:9], s[8:9], exec
	s_or_b64 s[4:5], s[4:5], s[8:9]
	s_or_b64 exec, exec, s[6:7]
	s_and_saveexec_b64 s[6:7], s[4:5]
	s_cbranch_execnz .LBB16_1263
	s_branch .LBB16_1264
.LBB16_3313:
	s_movk_i32 s4, 0x80
	v_cmp_eq_u16_e32 vcc, s4, v3
	s_mov_b64 s[4:5], -1
                                        ; implicit-def: $sgpr10
	s_and_saveexec_b64 s[8:9], vcc
; %bb.3314:
	s_mov_b32 s10, 0x7f800001
	s_xor_b64 s[4:5], exec, -1
; %bb.3315:
	s_or_b64 exec, exec, s[8:9]
	s_and_b64 s[4:5], s[4:5], exec
                                        ; implicit-def: $vgpr3
	s_or_saveexec_b64 s[6:7], s[6:7]
	v_mov_b32_e32 v2, s10
	s_xor_b64 exec, exec, s[6:7]
	s_cbranch_execz .LBB16_1266
.LBB16_3316:
	v_cmp_ne_u16_e32 vcc, 0, v3
	s_andn2_b64 s[4:5], s[4:5], exec
	s_and_b64 s[8:9], vcc, exec
	v_mov_b32_e32 v2, 0
	s_or_b64 s[4:5], s[4:5], s[8:9]
	s_or_b64 exec, exec, s[6:7]
	s_and_saveexec_b64 s[6:7], s[4:5]
	s_cbranch_execnz .LBB16_1267
	s_branch .LBB16_1268
.LBB16_3317:
	s_movk_i32 s4, 0x80
	v_cmp_eq_u16_e32 vcc, s4, v3
	s_mov_b64 s[4:5], -1
                                        ; implicit-def: $sgpr10
	s_and_saveexec_b64 s[8:9], vcc
; %bb.3318:
	s_mov_b32 s10, 0x7f800001
	s_xor_b64 s[4:5], exec, -1
; %bb.3319:
	s_or_b64 exec, exec, s[8:9]
	s_and_b64 s[4:5], s[4:5], exec
                                        ; implicit-def: $vgpr3
	s_or_saveexec_b64 s[6:7], s[6:7]
	v_mov_b32_e32 v4, s10
	s_xor_b64 exec, exec, s[6:7]
	s_cbranch_execz .LBB16_1270
.LBB16_3320:
	v_cmp_ne_u16_e32 vcc, 0, v3
	s_andn2_b64 s[4:5], s[4:5], exec
	s_and_b64 s[8:9], vcc, exec
	v_mov_b32_e32 v4, 0
	s_or_b64 s[4:5], s[4:5], s[8:9]
	s_or_b64 exec, exec, s[6:7]
	s_and_saveexec_b64 s[6:7], s[4:5]
	s_cbranch_execnz .LBB16_1271
	s_branch .LBB16_1272
.LBB16_3321:
	s_movk_i32 s4, 0x80
	v_cmp_eq_u16_sdwa s[12:13], v9, s4 src0_sel:BYTE_3 src1_sel:DWORD
	s_mov_b64 s[4:5], -1
                                        ; implicit-def: $sgpr10
	s_and_saveexec_b64 s[8:9], s[12:13]
; %bb.3322:
	s_mov_b32 s10, 0x7f800001
	s_xor_b64 s[4:5], exec, -1
; %bb.3323:
	s_or_b64 exec, exec, s[8:9]
	s_and_b64 s[4:5], s[4:5], exec
	s_or_saveexec_b64 s[6:7], s[6:7]
	v_mov_b32_e32 v2, s10
	s_xor_b64 exec, exec, s[6:7]
	s_cbranch_execz .LBB16_1274
.LBB16_3324:
	v_mov_b32_e32 v2, 0
	v_cmp_ne_u16_sdwa s[8:9], v9, v2 src0_sel:BYTE_3 src1_sel:DWORD
	s_andn2_b64 s[4:5], s[4:5], exec
	s_and_b64 s[8:9], s[8:9], exec
	s_or_b64 s[4:5], s[4:5], s[8:9]
	s_or_b64 exec, exec, s[6:7]
	s_and_saveexec_b64 s[6:7], s[4:5]
	s_cbranch_execnz .LBB16_1275
	s_branch .LBB16_1276
.LBB16_3325:
	s_movk_i32 s4, 0x80
	v_cmp_eq_u16_sdwa s[12:13], v5, s4 src0_sel:BYTE_3 src1_sel:DWORD
	s_mov_b64 s[4:5], -1
                                        ; implicit-def: $sgpr10
	s_and_saveexec_b64 s[8:9], s[12:13]
; %bb.3326:
	s_mov_b32 s10, 0x7f800001
	s_xor_b64 s[4:5], exec, -1
; %bb.3327:
	s_or_b64 exec, exec, s[8:9]
	s_and_b64 s[4:5], s[4:5], exec
	s_or_saveexec_b64 s[6:7], s[6:7]
	v_mov_b32_e32 v3, s10
	s_xor_b64 exec, exec, s[6:7]
	s_cbranch_execz .LBB16_1278
.LBB16_3328:
	v_mov_b32_e32 v3, 0
	v_cmp_ne_u16_sdwa s[8:9], v5, v3 src0_sel:BYTE_3 src1_sel:DWORD
	s_andn2_b64 s[4:5], s[4:5], exec
	s_and_b64 s[8:9], s[8:9], exec
	s_or_b64 s[4:5], s[4:5], s[8:9]
	s_or_b64 exec, exec, s[6:7]
	s_and_saveexec_b64 s[6:7], s[4:5]
	s_cbranch_execnz .LBB16_1279
	s_branch .LBB16_1280
.LBB16_3329:
	s_movk_i32 s4, 0x80
	v_cmp_eq_u16_sdwa s[12:13], v14, s4 src0_sel:BYTE_0 src1_sel:DWORD
	s_mov_b64 s[4:5], -1
                                        ; implicit-def: $sgpr10
	s_and_saveexec_b64 s[8:9], s[12:13]
; %bb.3330:
	s_mov_b32 s10, 0x7f800001
	s_xor_b64 s[4:5], exec, -1
; %bb.3331:
	s_or_b64 exec, exec, s[8:9]
	s_and_b64 s[4:5], s[4:5], exec
	s_or_saveexec_b64 s[6:7], s[6:7]
	v_mov_b32_e32 v20, s10
	s_xor_b64 exec, exec, s[6:7]
	s_cbranch_execz .LBB16_1282
.LBB16_3332:
	v_mov_b32_e32 v20, 0
	v_cmp_ne_u16_sdwa s[8:9], v14, v20 src0_sel:BYTE_0 src1_sel:DWORD
	s_andn2_b64 s[4:5], s[4:5], exec
	s_and_b64 s[8:9], s[8:9], exec
	s_or_b64 s[4:5], s[4:5], s[8:9]
	s_or_b64 exec, exec, s[6:7]
	s_and_saveexec_b64 s[6:7], s[4:5]
	s_cbranch_execnz .LBB16_1283
	s_branch .LBB16_1284
.LBB16_3333:
	s_movk_i32 s4, 0x80
	v_cmp_eq_u16_sdwa s[12:13], v10, s4 src0_sel:BYTE_0 src1_sel:DWORD
	s_mov_b64 s[4:5], -1
                                        ; implicit-def: $sgpr10
	s_and_saveexec_b64 s[8:9], s[12:13]
; %bb.3334:
	s_mov_b32 s10, 0x7f800001
	s_xor_b64 s[4:5], exec, -1
; %bb.3335:
	s_or_b64 exec, exec, s[8:9]
	s_and_b64 s[4:5], s[4:5], exec
	s_or_saveexec_b64 s[6:7], s[6:7]
	v_mov_b32_e32 v21, s10
	s_xor_b64 exec, exec, s[6:7]
	s_cbranch_execz .LBB16_1286
.LBB16_3336:
	v_mov_b32_e32 v21, 0
	v_cmp_ne_u16_sdwa s[8:9], v10, v21 src0_sel:BYTE_0 src1_sel:DWORD
	s_andn2_b64 s[4:5], s[4:5], exec
	s_and_b64 s[8:9], s[8:9], exec
	s_or_b64 s[4:5], s[4:5], s[8:9]
	s_or_b64 exec, exec, s[6:7]
	s_and_saveexec_b64 s[6:7], s[4:5]
	s_cbranch_execnz .LBB16_1287
	s_branch .LBB16_1288
.LBB16_3337:
	s_movk_i32 s4, 0x80
	v_cmp_eq_u16_sdwa s[12:13], v21, s4 src0_sel:BYTE_0 src1_sel:DWORD
	s_mov_b64 s[4:5], -1
                                        ; implicit-def: $sgpr10
	s_and_saveexec_b64 s[8:9], s[12:13]
; %bb.3338:
	s_mov_b32 s10, 0x7f800001
	s_xor_b64 s[4:5], exec, -1
; %bb.3339:
	s_or_b64 exec, exec, s[8:9]
	s_and_b64 s[4:5], s[4:5], exec
	s_or_saveexec_b64 s[6:7], s[6:7]
	v_mov_b32_e32 v20, s10
	s_xor_b64 exec, exec, s[6:7]
	s_cbranch_execz .LBB16_1290
.LBB16_3340:
	v_mov_b32_e32 v20, 0
	v_cmp_ne_u16_sdwa s[8:9], v21, v20 src0_sel:BYTE_0 src1_sel:DWORD
	s_andn2_b64 s[4:5], s[4:5], exec
	s_and_b64 s[8:9], s[8:9], exec
	s_or_b64 s[4:5], s[4:5], s[8:9]
	s_or_b64 exec, exec, s[6:7]
	s_and_saveexec_b64 s[6:7], s[4:5]
	s_cbranch_execnz .LBB16_1291
	s_branch .LBB16_1292
.LBB16_3341:
	s_movk_i32 s4, 0x80
	v_cmp_eq_u16_sdwa s[12:13], v21, s4 src0_sel:BYTE_0 src1_sel:DWORD
	s_mov_b64 s[4:5], -1
                                        ; implicit-def: $sgpr10
	s_and_saveexec_b64 s[8:9], s[12:13]
; %bb.3342:
	s_mov_b32 s10, 0x7f800001
	s_xor_b64 s[4:5], exec, -1
; %bb.3343:
	s_or_b64 exec, exec, s[8:9]
	s_and_b64 s[4:5], s[4:5], exec
	s_or_saveexec_b64 s[6:7], s[6:7]
	v_mov_b32_e32 v22, s10
	s_xor_b64 exec, exec, s[6:7]
	s_cbranch_execz .LBB16_1294
.LBB16_3344:
	v_mov_b32_e32 v22, 0
	v_cmp_ne_u16_sdwa s[8:9], v21, v22 src0_sel:BYTE_0 src1_sel:DWORD
	s_andn2_b64 s[4:5], s[4:5], exec
	s_and_b64 s[8:9], s[8:9], exec
	s_or_b64 s[4:5], s[4:5], s[8:9]
	s_or_b64 exec, exec, s[6:7]
	s_and_saveexec_b64 s[6:7], s[4:5]
	s_cbranch_execnz .LBB16_1295
	s_branch .LBB16_1296
.LBB16_3345:
	s_movk_i32 s4, 0x80
	v_cmp_eq_u16_e32 vcc, s4, v21
	s_mov_b64 s[4:5], -1
                                        ; implicit-def: $sgpr10
	s_and_saveexec_b64 s[8:9], vcc
; %bb.3346:
	s_mov_b32 s10, 0x7f800001
	s_xor_b64 s[4:5], exec, -1
; %bb.3347:
	s_or_b64 exec, exec, s[8:9]
	s_and_b64 s[4:5], s[4:5], exec
                                        ; implicit-def: $vgpr21
	s_or_saveexec_b64 s[6:7], s[6:7]
	v_mov_b32_e32 v20, s10
	s_xor_b64 exec, exec, s[6:7]
	s_cbranch_execz .LBB16_1298
.LBB16_3348:
	v_cmp_ne_u16_e32 vcc, 0, v21
	s_andn2_b64 s[4:5], s[4:5], exec
	s_and_b64 s[8:9], vcc, exec
	v_mov_b32_e32 v20, 0
	s_or_b64 s[4:5], s[4:5], s[8:9]
	s_or_b64 exec, exec, s[6:7]
	s_and_saveexec_b64 s[6:7], s[4:5]
	s_cbranch_execnz .LBB16_1299
	s_branch .LBB16_1300
.LBB16_3349:
	s_movk_i32 s4, 0x80
	v_cmp_eq_u16_e32 vcc, s4, v21
	s_mov_b64 s[4:5], -1
                                        ; implicit-def: $sgpr10
	s_and_saveexec_b64 s[8:9], vcc
; %bb.3350:
	s_mov_b32 s10, 0x7f800001
	s_xor_b64 s[4:5], exec, -1
; %bb.3351:
	s_or_b64 exec, exec, s[8:9]
	s_and_b64 s[4:5], s[4:5], exec
                                        ; implicit-def: $vgpr21
	s_or_saveexec_b64 s[6:7], s[6:7]
	v_mov_b32_e32 v22, s10
	s_xor_b64 exec, exec, s[6:7]
	s_cbranch_execz .LBB16_1302
.LBB16_3352:
	v_cmp_ne_u16_e32 vcc, 0, v21
	s_andn2_b64 s[4:5], s[4:5], exec
	s_and_b64 s[8:9], vcc, exec
	v_mov_b32_e32 v22, 0
	s_or_b64 s[4:5], s[4:5], s[8:9]
	s_or_b64 exec, exec, s[6:7]
	s_and_saveexec_b64 s[6:7], s[4:5]
	s_cbranch_execnz .LBB16_1303
	s_branch .LBB16_1304
.LBB16_3353:
	s_movk_i32 s4, 0x80
	v_cmp_eq_u16_sdwa s[12:13], v14, s4 src0_sel:BYTE_3 src1_sel:DWORD
	s_mov_b64 s[4:5], -1
                                        ; implicit-def: $sgpr10
	s_and_saveexec_b64 s[8:9], s[12:13]
; %bb.3354:
	s_mov_b32 s10, 0x7f800001
	s_xor_b64 s[4:5], exec, -1
; %bb.3355:
	s_or_b64 exec, exec, s[8:9]
	s_and_b64 s[4:5], s[4:5], exec
	s_or_saveexec_b64 s[6:7], s[6:7]
	v_mov_b32_e32 v20, s10
	s_xor_b64 exec, exec, s[6:7]
	s_cbranch_execz .LBB16_1306
.LBB16_3356:
	v_mov_b32_e32 v20, 0
	v_cmp_ne_u16_sdwa s[8:9], v14, v20 src0_sel:BYTE_3 src1_sel:DWORD
	s_andn2_b64 s[4:5], s[4:5], exec
	s_and_b64 s[8:9], s[8:9], exec
	s_or_b64 s[4:5], s[4:5], s[8:9]
	s_or_b64 exec, exec, s[6:7]
	s_and_saveexec_b64 s[6:7], s[4:5]
	s_cbranch_execnz .LBB16_1307
	s_branch .LBB16_1308
.LBB16_3357:
	s_movk_i32 s4, 0x80
	v_cmp_eq_u16_sdwa s[12:13], v10, s4 src0_sel:BYTE_3 src1_sel:DWORD
	s_mov_b64 s[4:5], -1
                                        ; implicit-def: $sgpr10
	s_and_saveexec_b64 s[8:9], s[12:13]
; %bb.3358:
	s_mov_b32 s10, 0x7f800001
	s_xor_b64 s[4:5], exec, -1
; %bb.3359:
	s_or_b64 exec, exec, s[8:9]
	s_and_b64 s[4:5], s[4:5], exec
	s_or_saveexec_b64 s[6:7], s[6:7]
	v_mov_b32_e32 v14, s10
	s_xor_b64 exec, exec, s[6:7]
	s_cbranch_execz .LBB16_1310
.LBB16_3360:
	v_mov_b32_e32 v14, 0
	v_cmp_ne_u16_sdwa s[8:9], v10, v14 src0_sel:BYTE_3 src1_sel:DWORD
	s_andn2_b64 s[4:5], s[4:5], exec
	s_and_b64 s[8:9], s[8:9], exec
	s_or_b64 s[4:5], s[4:5], s[8:9]
	s_or_b64 exec, exec, s[6:7]
	s_and_saveexec_b64 s[6:7], s[4:5]
	s_cbranch_execnz .LBB16_1311
	s_branch .LBB16_1312
.LBB16_3361:
	s_movk_i32 s4, 0x80
	v_cmp_eq_u16_sdwa s[12:13], v15, s4 src0_sel:BYTE_0 src1_sel:DWORD
	s_mov_b64 s[4:5], -1
                                        ; implicit-def: $sgpr10
	s_and_saveexec_b64 s[8:9], s[12:13]
; %bb.3362:
	s_mov_b32 s10, 0x7f800001
	s_xor_b64 s[4:5], exec, -1
; %bb.3363:
	s_or_b64 exec, exec, s[8:9]
	s_and_b64 s[4:5], s[4:5], exec
	s_or_saveexec_b64 s[6:7], s[6:7]
	v_mov_b32_e32 v10, s10
	s_xor_b64 exec, exec, s[6:7]
	s_cbranch_execz .LBB16_1314
.LBB16_3364:
	v_mov_b32_e32 v10, 0
	v_cmp_ne_u16_sdwa s[8:9], v15, v10 src0_sel:BYTE_0 src1_sel:DWORD
	s_andn2_b64 s[4:5], s[4:5], exec
	s_and_b64 s[8:9], s[8:9], exec
	s_or_b64 s[4:5], s[4:5], s[8:9]
	s_or_b64 exec, exec, s[6:7]
	s_and_saveexec_b64 s[6:7], s[4:5]
	s_cbranch_execnz .LBB16_1315
	s_branch .LBB16_1316
.LBB16_3365:
	s_movk_i32 s4, 0x80
	v_cmp_eq_u16_sdwa s[12:13], v11, s4 src0_sel:BYTE_0 src1_sel:DWORD
	s_mov_b64 s[4:5], -1
                                        ; implicit-def: $sgpr10
	s_and_saveexec_b64 s[8:9], s[12:13]
; %bb.3366:
	s_mov_b32 s10, 0x7f800001
	s_xor_b64 s[4:5], exec, -1
; %bb.3367:
	s_or_b64 exec, exec, s[8:9]
	s_and_b64 s[4:5], s[4:5], exec
	s_or_saveexec_b64 s[6:7], s[6:7]
	v_mov_b32_e32 v14, s10
	s_xor_b64 exec, exec, s[6:7]
	s_cbranch_execz .LBB16_1318
.LBB16_3368:
	v_mov_b32_e32 v14, 0
	v_cmp_ne_u16_sdwa s[8:9], v11, v14 src0_sel:BYTE_0 src1_sel:DWORD
	s_andn2_b64 s[4:5], s[4:5], exec
	s_and_b64 s[8:9], s[8:9], exec
	s_or_b64 s[4:5], s[4:5], s[8:9]
	s_or_b64 exec, exec, s[6:7]
	s_and_saveexec_b64 s[6:7], s[4:5]
	s_cbranch_execnz .LBB16_1319
	s_branch .LBB16_1320
.LBB16_3369:
	s_movk_i32 s4, 0x80
	v_cmp_eq_u16_sdwa s[12:13], v14, s4 src0_sel:BYTE_0 src1_sel:DWORD
	s_mov_b64 s[4:5], -1
                                        ; implicit-def: $sgpr10
	s_and_saveexec_b64 s[8:9], s[12:13]
; %bb.3370:
	s_mov_b32 s10, 0x7f800001
	s_xor_b64 s[4:5], exec, -1
; %bb.3371:
	s_or_b64 exec, exec, s[8:9]
	s_and_b64 s[4:5], s[4:5], exec
	s_or_saveexec_b64 s[6:7], s[6:7]
	v_mov_b32_e32 v10, s10
	s_xor_b64 exec, exec, s[6:7]
	s_cbranch_execz .LBB16_1322
.LBB16_3372:
	v_mov_b32_e32 v10, 0
	v_cmp_ne_u16_sdwa s[8:9], v14, v10 src0_sel:BYTE_0 src1_sel:DWORD
	s_andn2_b64 s[4:5], s[4:5], exec
	s_and_b64 s[8:9], s[8:9], exec
	s_or_b64 s[4:5], s[4:5], s[8:9]
	s_or_b64 exec, exec, s[6:7]
	s_and_saveexec_b64 s[6:7], s[4:5]
	s_cbranch_execnz .LBB16_1323
	s_branch .LBB16_1324
.LBB16_3373:
	s_movk_i32 s4, 0x80
	v_cmp_eq_u16_sdwa s[12:13], v14, s4 src0_sel:BYTE_0 src1_sel:DWORD
	s_mov_b64 s[4:5], -1
                                        ; implicit-def: $sgpr10
	s_and_saveexec_b64 s[8:9], s[12:13]
; %bb.3374:
	s_mov_b32 s10, 0x7f800001
	s_xor_b64 s[4:5], exec, -1
; %bb.3375:
	s_or_b64 exec, exec, s[8:9]
	s_and_b64 s[4:5], s[4:5], exec
	s_or_saveexec_b64 s[6:7], s[6:7]
	v_mov_b32_e32 v20, s10
	s_xor_b64 exec, exec, s[6:7]
	s_cbranch_execz .LBB16_1326
.LBB16_3376:
	v_mov_b32_e32 v20, 0
	v_cmp_ne_u16_sdwa s[8:9], v14, v20 src0_sel:BYTE_0 src1_sel:DWORD
	s_andn2_b64 s[4:5], s[4:5], exec
	s_and_b64 s[8:9], s[8:9], exec
	s_or_b64 s[4:5], s[4:5], s[8:9]
	s_or_b64 exec, exec, s[6:7]
	s_and_saveexec_b64 s[6:7], s[4:5]
	s_cbranch_execnz .LBB16_1327
	s_branch .LBB16_1328
.LBB16_3377:
	s_movk_i32 s4, 0x80
	v_cmp_eq_u16_e32 vcc, s4, v14
	s_mov_b64 s[4:5], -1
                                        ; implicit-def: $sgpr10
	s_and_saveexec_b64 s[8:9], vcc
; %bb.3378:
	s_mov_b32 s10, 0x7f800001
	s_xor_b64 s[4:5], exec, -1
; %bb.3379:
	s_or_b64 exec, exec, s[8:9]
	s_and_b64 s[4:5], s[4:5], exec
                                        ; implicit-def: $vgpr14
	s_or_saveexec_b64 s[6:7], s[6:7]
	v_mov_b32_e32 v10, s10
	s_xor_b64 exec, exec, s[6:7]
	s_cbranch_execz .LBB16_1330
.LBB16_3380:
	v_cmp_ne_u16_e32 vcc, 0, v14
	s_andn2_b64 s[4:5], s[4:5], exec
	s_and_b64 s[8:9], vcc, exec
	v_mov_b32_e32 v10, 0
	s_or_b64 s[4:5], s[4:5], s[8:9]
	s_or_b64 exec, exec, s[6:7]
	s_and_saveexec_b64 s[6:7], s[4:5]
	s_cbranch_execnz .LBB16_1331
	s_branch .LBB16_1332
.LBB16_3381:
	s_movk_i32 s4, 0x80
	v_cmp_eq_u16_e32 vcc, s4, v14
	s_mov_b64 s[4:5], -1
                                        ; implicit-def: $sgpr10
	s_and_saveexec_b64 s[8:9], vcc
; %bb.3382:
	s_mov_b32 s10, 0x7f800001
	s_xor_b64 s[4:5], exec, -1
; %bb.3383:
	s_or_b64 exec, exec, s[8:9]
	s_and_b64 s[4:5], s[4:5], exec
                                        ; implicit-def: $vgpr14
	s_or_saveexec_b64 s[6:7], s[6:7]
	v_mov_b32_e32 v20, s10
	s_xor_b64 exec, exec, s[6:7]
	s_cbranch_execz .LBB16_1334
.LBB16_3384:
	v_cmp_ne_u16_e32 vcc, 0, v14
	s_andn2_b64 s[4:5], s[4:5], exec
	s_and_b64 s[8:9], vcc, exec
	v_mov_b32_e32 v20, 0
	s_or_b64 s[4:5], s[4:5], s[8:9]
	s_or_b64 exec, exec, s[6:7]
	s_and_saveexec_b64 s[6:7], s[4:5]
	s_cbranch_execnz .LBB16_1335
	s_branch .LBB16_1336
.LBB16_3385:
	s_movk_i32 s4, 0x80
	v_cmp_eq_u16_sdwa s[12:13], v15, s4 src0_sel:BYTE_3 src1_sel:DWORD
	s_mov_b64 s[4:5], -1
                                        ; implicit-def: $sgpr10
	s_and_saveexec_b64 s[8:9], s[12:13]
; %bb.3386:
	s_mov_b32 s10, 0x7f800001
	s_xor_b64 s[4:5], exec, -1
; %bb.3387:
	s_or_b64 exec, exec, s[8:9]
	s_and_b64 s[4:5], s[4:5], exec
	s_or_saveexec_b64 s[6:7], s[6:7]
	v_mov_b32_e32 v10, s10
	s_xor_b64 exec, exec, s[6:7]
	s_cbranch_execz .LBB16_1338
.LBB16_3388:
	v_mov_b32_e32 v10, 0
	v_cmp_ne_u16_sdwa s[8:9], v15, v10 src0_sel:BYTE_3 src1_sel:DWORD
	s_andn2_b64 s[4:5], s[4:5], exec
	s_and_b64 s[8:9], s[8:9], exec
	s_or_b64 s[4:5], s[4:5], s[8:9]
	s_or_b64 exec, exec, s[6:7]
	s_and_saveexec_b64 s[6:7], s[4:5]
	s_cbranch_execnz .LBB16_1339
	s_branch .LBB16_1340
.LBB16_3389:
	s_movk_i32 s4, 0x80
	v_cmp_eq_u16_sdwa s[12:13], v11, s4 src0_sel:BYTE_3 src1_sel:DWORD
	s_mov_b64 s[4:5], -1
                                        ; implicit-def: $sgpr10
	s_and_saveexec_b64 s[8:9], s[12:13]
; %bb.3390:
	s_mov_b32 s10, 0x7f800001
	s_xor_b64 s[4:5], exec, -1
; %bb.3391:
	s_or_b64 exec, exec, s[8:9]
	s_and_b64 s[4:5], s[4:5], exec
	s_or_saveexec_b64 s[6:7], s[6:7]
	v_mov_b32_e32 v14, s10
	s_xor_b64 exec, exec, s[6:7]
	s_cbranch_execz .LBB16_1342
.LBB16_3392:
	v_mov_b32_e32 v14, 0
	v_cmp_ne_u16_sdwa s[8:9], v11, v14 src0_sel:BYTE_3 src1_sel:DWORD
	s_andn2_b64 s[4:5], s[4:5], exec
	s_and_b64 s[8:9], s[8:9], exec
	s_or_b64 s[4:5], s[4:5], s[8:9]
	s_or_b64 exec, exec, s[6:7]
	s_and_saveexec_b64 s[6:7], s[4:5]
	s_cbranch_execnz .LBB16_1343
	s_branch .LBB16_1344
.LBB16_3393:
	s_movk_i32 s4, 0x80
	v_cmp_eq_u16_sdwa s[12:13], v16, s4 src0_sel:BYTE_0 src1_sel:DWORD
	s_mov_b64 s[4:5], -1
                                        ; implicit-def: $sgpr10
	s_and_saveexec_b64 s[8:9], s[12:13]
; %bb.3394:
	s_mov_b32 s10, 0x7f800001
	s_xor_b64 s[4:5], exec, -1
; %bb.3395:
	s_or_b64 exec, exec, s[8:9]
	s_and_b64 s[4:5], s[4:5], exec
	s_or_saveexec_b64 s[6:7], s[6:7]
	v_mov_b32_e32 v10, s10
	s_xor_b64 exec, exec, s[6:7]
	s_cbranch_execz .LBB16_1346
.LBB16_3396:
	v_mov_b32_e32 v10, 0
	v_cmp_ne_u16_sdwa s[8:9], v16, v10 src0_sel:BYTE_0 src1_sel:DWORD
	s_andn2_b64 s[4:5], s[4:5], exec
	s_and_b64 s[8:9], s[8:9], exec
	s_or_b64 s[4:5], s[4:5], s[8:9]
	s_or_b64 exec, exec, s[6:7]
	s_and_saveexec_b64 s[6:7], s[4:5]
	s_cbranch_execnz .LBB16_1347
	s_branch .LBB16_1348
.LBB16_3397:
	s_movk_i32 s4, 0x80
	v_cmp_eq_u16_sdwa s[12:13], v12, s4 src0_sel:BYTE_0 src1_sel:DWORD
	s_mov_b64 s[4:5], -1
                                        ; implicit-def: $sgpr10
	s_and_saveexec_b64 s[8:9], s[12:13]
; %bb.3398:
	s_mov_b32 s10, 0x7f800001
	s_xor_b64 s[4:5], exec, -1
; %bb.3399:
	s_or_b64 exec, exec, s[8:9]
	s_and_b64 s[4:5], s[4:5], exec
	s_or_saveexec_b64 s[6:7], s[6:7]
	v_mov_b32_e32 v11, s10
	s_xor_b64 exec, exec, s[6:7]
	s_cbranch_execz .LBB16_1350
.LBB16_3400:
	v_mov_b32_e32 v11, 0
	v_cmp_ne_u16_sdwa s[8:9], v12, v11 src0_sel:BYTE_0 src1_sel:DWORD
	s_andn2_b64 s[4:5], s[4:5], exec
	s_and_b64 s[8:9], s[8:9], exec
	s_or_b64 s[4:5], s[4:5], s[8:9]
	s_or_b64 exec, exec, s[6:7]
	s_and_saveexec_b64 s[6:7], s[4:5]
	s_cbranch_execnz .LBB16_1351
	s_branch .LBB16_1352
.LBB16_3401:
	s_movk_i32 s4, 0x80
	v_cmp_eq_u16_sdwa s[12:13], v11, s4 src0_sel:BYTE_0 src1_sel:DWORD
	s_mov_b64 s[4:5], -1
                                        ; implicit-def: $sgpr10
	s_and_saveexec_b64 s[8:9], s[12:13]
; %bb.3402:
	s_mov_b32 s10, 0x7f800001
	s_xor_b64 s[4:5], exec, -1
; %bb.3403:
	s_or_b64 exec, exec, s[8:9]
	s_and_b64 s[4:5], s[4:5], exec
	s_or_saveexec_b64 s[6:7], s[6:7]
	v_mov_b32_e32 v10, s10
	s_xor_b64 exec, exec, s[6:7]
	s_cbranch_execz .LBB16_1354
.LBB16_3404:
	v_mov_b32_e32 v10, 0
	v_cmp_ne_u16_sdwa s[8:9], v11, v10 src0_sel:BYTE_0 src1_sel:DWORD
	s_andn2_b64 s[4:5], s[4:5], exec
	s_and_b64 s[8:9], s[8:9], exec
	s_or_b64 s[4:5], s[4:5], s[8:9]
	s_or_b64 exec, exec, s[6:7]
	s_and_saveexec_b64 s[6:7], s[4:5]
	s_cbranch_execnz .LBB16_1355
	s_branch .LBB16_1356
.LBB16_3405:
	s_movk_i32 s4, 0x80
	v_cmp_eq_u16_sdwa s[12:13], v11, s4 src0_sel:BYTE_0 src1_sel:DWORD
	s_mov_b64 s[4:5], -1
                                        ; implicit-def: $sgpr10
	s_and_saveexec_b64 s[8:9], s[12:13]
; %bb.3406:
	s_mov_b32 s10, 0x7f800001
	s_xor_b64 s[4:5], exec, -1
; %bb.3407:
	s_or_b64 exec, exec, s[8:9]
	s_and_b64 s[4:5], s[4:5], exec
	s_or_saveexec_b64 s[6:7], s[6:7]
	v_mov_b32_e32 v14, s10
	s_xor_b64 exec, exec, s[6:7]
	s_cbranch_execz .LBB16_1358
.LBB16_3408:
	v_mov_b32_e32 v14, 0
	v_cmp_ne_u16_sdwa s[8:9], v11, v14 src0_sel:BYTE_0 src1_sel:DWORD
	s_andn2_b64 s[4:5], s[4:5], exec
	s_and_b64 s[8:9], s[8:9], exec
	s_or_b64 s[4:5], s[4:5], s[8:9]
	s_or_b64 exec, exec, s[6:7]
	s_and_saveexec_b64 s[6:7], s[4:5]
	s_cbranch_execnz .LBB16_1359
	s_branch .LBB16_1360
.LBB16_3409:
	s_movk_i32 s4, 0x80
	v_cmp_eq_u16_e32 vcc, s4, v11
	s_mov_b64 s[4:5], -1
                                        ; implicit-def: $sgpr10
	s_and_saveexec_b64 s[8:9], vcc
; %bb.3410:
	s_mov_b32 s10, 0x7f800001
	s_xor_b64 s[4:5], exec, -1
; %bb.3411:
	s_or_b64 exec, exec, s[8:9]
	s_and_b64 s[4:5], s[4:5], exec
                                        ; implicit-def: $vgpr11
	s_or_saveexec_b64 s[6:7], s[6:7]
	v_mov_b32_e32 v10, s10
	s_xor_b64 exec, exec, s[6:7]
	s_cbranch_execz .LBB16_1362
.LBB16_3412:
	v_cmp_ne_u16_e32 vcc, 0, v11
	s_andn2_b64 s[4:5], s[4:5], exec
	s_and_b64 s[8:9], vcc, exec
	v_mov_b32_e32 v10, 0
	s_or_b64 s[4:5], s[4:5], s[8:9]
	s_or_b64 exec, exec, s[6:7]
	s_and_saveexec_b64 s[6:7], s[4:5]
	s_cbranch_execnz .LBB16_1363
	s_branch .LBB16_1364
.LBB16_3413:
	s_movk_i32 s4, 0x80
	v_cmp_eq_u16_e32 vcc, s4, v11
	s_mov_b64 s[4:5], -1
                                        ; implicit-def: $sgpr10
	s_and_saveexec_b64 s[8:9], vcc
; %bb.3414:
	s_mov_b32 s10, 0x7f800001
	s_xor_b64 s[4:5], exec, -1
; %bb.3415:
	s_or_b64 exec, exec, s[8:9]
	s_and_b64 s[4:5], s[4:5], exec
                                        ; implicit-def: $vgpr11
	s_or_saveexec_b64 s[6:7], s[6:7]
	v_mov_b32_e32 v14, s10
	s_xor_b64 exec, exec, s[6:7]
	s_cbranch_execz .LBB16_1366
.LBB16_3416:
	v_cmp_ne_u16_e32 vcc, 0, v11
	s_andn2_b64 s[4:5], s[4:5], exec
	s_and_b64 s[8:9], vcc, exec
	v_mov_b32_e32 v14, 0
	s_or_b64 s[4:5], s[4:5], s[8:9]
	s_or_b64 exec, exec, s[6:7]
	s_and_saveexec_b64 s[6:7], s[4:5]
	s_cbranch_execnz .LBB16_1367
	s_branch .LBB16_1368
.LBB16_3417:
	s_movk_i32 s4, 0x80
	v_cmp_eq_u16_sdwa s[12:13], v16, s4 src0_sel:BYTE_3 src1_sel:DWORD
	s_mov_b64 s[4:5], -1
                                        ; implicit-def: $sgpr10
	s_and_saveexec_b64 s[8:9], s[12:13]
; %bb.3418:
	s_mov_b32 s10, 0x7f800001
	s_xor_b64 s[4:5], exec, -1
; %bb.3419:
	s_or_b64 exec, exec, s[8:9]
	s_and_b64 s[4:5], s[4:5], exec
	s_or_saveexec_b64 s[6:7], s[6:7]
	v_mov_b32_e32 v10, s10
	s_xor_b64 exec, exec, s[6:7]
	s_cbranch_execz .LBB16_1370
.LBB16_3420:
	v_mov_b32_e32 v10, 0
	v_cmp_ne_u16_sdwa s[8:9], v16, v10 src0_sel:BYTE_3 src1_sel:DWORD
	s_andn2_b64 s[4:5], s[4:5], exec
	s_and_b64 s[8:9], s[8:9], exec
	s_or_b64 s[4:5], s[4:5], s[8:9]
	s_or_b64 exec, exec, s[6:7]
	s_and_saveexec_b64 s[6:7], s[4:5]
	s_cbranch_execnz .LBB16_1371
	s_branch .LBB16_1372
.LBB16_3421:
	s_movk_i32 s4, 0x80
	v_cmp_eq_u16_sdwa s[12:13], v12, s4 src0_sel:BYTE_3 src1_sel:DWORD
	s_mov_b64 s[4:5], -1
                                        ; implicit-def: $sgpr10
	s_and_saveexec_b64 s[8:9], s[12:13]
; %bb.3422:
	s_mov_b32 s10, 0x7f800001
	s_xor_b64 s[4:5], exec, -1
; %bb.3423:
	s_or_b64 exec, exec, s[8:9]
	s_and_b64 s[4:5], s[4:5], exec
	s_or_saveexec_b64 s[6:7], s[6:7]
	v_mov_b32_e32 v11, s10
	s_xor_b64 exec, exec, s[6:7]
	s_cbranch_execz .LBB16_1374
.LBB16_3424:
	v_mov_b32_e32 v11, 0
	v_cmp_ne_u16_sdwa s[8:9], v12, v11 src0_sel:BYTE_3 src1_sel:DWORD
	s_andn2_b64 s[4:5], s[4:5], exec
	s_and_b64 s[8:9], s[8:9], exec
	s_or_b64 s[4:5], s[4:5], s[8:9]
	s_or_b64 exec, exec, s[6:7]
	s_and_saveexec_b64 s[6:7], s[4:5]
	s_cbranch_execnz .LBB16_1375
	s_branch .LBB16_1376
.LBB16_3425:
	s_movk_i32 s4, 0x80
	v_cmp_eq_u16_sdwa s[12:13], v17, s4 src0_sel:BYTE_0 src1_sel:DWORD
	s_mov_b64 s[4:5], -1
                                        ; implicit-def: $sgpr10
	s_and_saveexec_b64 s[8:9], s[12:13]
; %bb.3426:
	s_mov_b32 s10, 0x7f800001
	s_xor_b64 s[4:5], exec, -1
; %bb.3427:
	s_or_b64 exec, exec, s[8:9]
	s_and_b64 s[4:5], s[4:5], exec
	s_or_saveexec_b64 s[6:7], s[6:7]
	v_mov_b32_e32 v10, s10
	s_xor_b64 exec, exec, s[6:7]
	s_cbranch_execz .LBB16_1378
.LBB16_3428:
	v_mov_b32_e32 v10, 0
	v_cmp_ne_u16_sdwa s[8:9], v17, v10 src0_sel:BYTE_0 src1_sel:DWORD
	s_andn2_b64 s[4:5], s[4:5], exec
	s_and_b64 s[8:9], s[8:9], exec
	s_or_b64 s[4:5], s[4:5], s[8:9]
	s_or_b64 exec, exec, s[6:7]
	s_and_saveexec_b64 s[6:7], s[4:5]
	s_cbranch_execnz .LBB16_1379
	s_branch .LBB16_1380
.LBB16_3429:
	s_movk_i32 s4, 0x80
	v_cmp_eq_u16_sdwa s[12:13], v13, s4 src0_sel:BYTE_0 src1_sel:DWORD
	s_mov_b64 s[4:5], -1
                                        ; implicit-def: $sgpr10
	s_and_saveexec_b64 s[8:9], s[12:13]
; %bb.3430:
	s_mov_b32 s10, 0x7f800001
	s_xor_b64 s[4:5], exec, -1
; %bb.3431:
	s_or_b64 exec, exec, s[8:9]
	s_and_b64 s[4:5], s[4:5], exec
	s_or_saveexec_b64 s[6:7], s[6:7]
	v_mov_b32_e32 v11, s10
	s_xor_b64 exec, exec, s[6:7]
	s_cbranch_execz .LBB16_1382
.LBB16_3432:
	v_mov_b32_e32 v11, 0
	v_cmp_ne_u16_sdwa s[8:9], v13, v11 src0_sel:BYTE_0 src1_sel:DWORD
	s_andn2_b64 s[4:5], s[4:5], exec
	s_and_b64 s[8:9], s[8:9], exec
	s_or_b64 s[4:5], s[4:5], s[8:9]
	s_or_b64 exec, exec, s[6:7]
	s_and_saveexec_b64 s[6:7], s[4:5]
	s_cbranch_execnz .LBB16_1383
	s_branch .LBB16_1384
.LBB16_3433:
	s_movk_i32 s4, 0x80
	v_cmp_eq_u16_sdwa s[12:13], v11, s4 src0_sel:BYTE_0 src1_sel:DWORD
	s_mov_b64 s[4:5], -1
                                        ; implicit-def: $sgpr10
	s_and_saveexec_b64 s[8:9], s[12:13]
; %bb.3434:
	s_mov_b32 s10, 0x7f800001
	s_xor_b64 s[4:5], exec, -1
; %bb.3435:
	s_or_b64 exec, exec, s[8:9]
	s_and_b64 s[4:5], s[4:5], exec
	s_or_saveexec_b64 s[6:7], s[6:7]
	v_mov_b32_e32 v10, s10
	s_xor_b64 exec, exec, s[6:7]
	s_cbranch_execz .LBB16_1386
.LBB16_3436:
	v_mov_b32_e32 v10, 0
	v_cmp_ne_u16_sdwa s[8:9], v11, v10 src0_sel:BYTE_0 src1_sel:DWORD
	s_andn2_b64 s[4:5], s[4:5], exec
	s_and_b64 s[8:9], s[8:9], exec
	s_or_b64 s[4:5], s[4:5], s[8:9]
	s_or_b64 exec, exec, s[6:7]
	s_and_saveexec_b64 s[6:7], s[4:5]
	s_cbranch_execnz .LBB16_1387
	s_branch .LBB16_1388
.LBB16_3437:
	s_movk_i32 s4, 0x80
	v_cmp_eq_u16_sdwa s[12:13], v11, s4 src0_sel:BYTE_0 src1_sel:DWORD
	s_mov_b64 s[4:5], -1
                                        ; implicit-def: $sgpr10
	s_and_saveexec_b64 s[8:9], s[12:13]
; %bb.3438:
	s_mov_b32 s10, 0x7f800001
	s_xor_b64 s[4:5], exec, -1
; %bb.3439:
	s_or_b64 exec, exec, s[8:9]
	s_and_b64 s[4:5], s[4:5], exec
	s_or_saveexec_b64 s[6:7], s[6:7]
	v_mov_b32_e32 v12, s10
	s_xor_b64 exec, exec, s[6:7]
	s_cbranch_execz .LBB16_1390
.LBB16_3440:
	v_mov_b32_e32 v12, 0
	v_cmp_ne_u16_sdwa s[8:9], v11, v12 src0_sel:BYTE_0 src1_sel:DWORD
	s_andn2_b64 s[4:5], s[4:5], exec
	s_and_b64 s[8:9], s[8:9], exec
	s_or_b64 s[4:5], s[4:5], s[8:9]
	s_or_b64 exec, exec, s[6:7]
	s_and_saveexec_b64 s[6:7], s[4:5]
	s_cbranch_execnz .LBB16_1391
	s_branch .LBB16_1392
.LBB16_3441:
	s_movk_i32 s4, 0x80
	v_cmp_eq_u16_e32 vcc, s4, v11
	s_mov_b64 s[4:5], -1
                                        ; implicit-def: $sgpr10
	s_and_saveexec_b64 s[8:9], vcc
; %bb.3442:
	s_mov_b32 s10, 0x7f800001
	s_xor_b64 s[4:5], exec, -1
; %bb.3443:
	s_or_b64 exec, exec, s[8:9]
	s_and_b64 s[4:5], s[4:5], exec
                                        ; implicit-def: $vgpr11
	s_or_saveexec_b64 s[6:7], s[6:7]
	v_mov_b32_e32 v10, s10
	s_xor_b64 exec, exec, s[6:7]
	s_cbranch_execz .LBB16_1394
.LBB16_3444:
	v_cmp_ne_u16_e32 vcc, 0, v11
	s_andn2_b64 s[4:5], s[4:5], exec
	s_and_b64 s[8:9], vcc, exec
	v_mov_b32_e32 v10, 0
	s_or_b64 s[4:5], s[4:5], s[8:9]
	s_or_b64 exec, exec, s[6:7]
	s_and_saveexec_b64 s[6:7], s[4:5]
	s_cbranch_execnz .LBB16_1395
	s_branch .LBB16_1396
.LBB16_3445:
	s_movk_i32 s4, 0x80
	v_cmp_eq_u16_e32 vcc, s4, v11
	s_mov_b64 s[4:5], -1
                                        ; implicit-def: $sgpr10
	s_and_saveexec_b64 s[8:9], vcc
; %bb.3446:
	s_mov_b32 s10, 0x7f800001
	s_xor_b64 s[4:5], exec, -1
; %bb.3447:
	s_or_b64 exec, exec, s[8:9]
	s_and_b64 s[4:5], s[4:5], exec
                                        ; implicit-def: $vgpr11
	s_or_saveexec_b64 s[6:7], s[6:7]
	v_mov_b32_e32 v12, s10
	s_xor_b64 exec, exec, s[6:7]
	s_cbranch_execz .LBB16_1398
.LBB16_3448:
	v_cmp_ne_u16_e32 vcc, 0, v11
	s_andn2_b64 s[4:5], s[4:5], exec
	s_and_b64 s[8:9], vcc, exec
	v_mov_b32_e32 v12, 0
	s_or_b64 s[4:5], s[4:5], s[8:9]
	s_or_b64 exec, exec, s[6:7]
	s_and_saveexec_b64 s[6:7], s[4:5]
	s_cbranch_execnz .LBB16_1399
	s_branch .LBB16_1400
.LBB16_3449:
	s_movk_i32 s4, 0x80
	v_cmp_eq_u16_sdwa s[12:13], v17, s4 src0_sel:BYTE_3 src1_sel:DWORD
	s_mov_b64 s[4:5], -1
                                        ; implicit-def: $sgpr10
	s_and_saveexec_b64 s[8:9], s[12:13]
; %bb.3450:
	s_mov_b32 s10, 0x7f800001
	s_xor_b64 s[4:5], exec, -1
; %bb.3451:
	s_or_b64 exec, exec, s[8:9]
	s_and_b64 s[4:5], s[4:5], exec
	s_or_saveexec_b64 s[6:7], s[6:7]
	v_mov_b32_e32 v10, s10
	s_xor_b64 exec, exec, s[6:7]
	s_cbranch_execz .LBB16_1402
.LBB16_3452:
	v_mov_b32_e32 v10, 0
	v_cmp_ne_u16_sdwa s[8:9], v17, v10 src0_sel:BYTE_3 src1_sel:DWORD
	s_andn2_b64 s[4:5], s[4:5], exec
	s_and_b64 s[8:9], s[8:9], exec
	s_or_b64 s[4:5], s[4:5], s[8:9]
	s_or_b64 exec, exec, s[6:7]
	s_and_saveexec_b64 s[6:7], s[4:5]
	s_cbranch_execnz .LBB16_1403
	s_branch .LBB16_1404
.LBB16_3453:
	s_movk_i32 s4, 0x80
	v_cmp_eq_u16_sdwa s[12:13], v13, s4 src0_sel:BYTE_3 src1_sel:DWORD
	s_mov_b64 s[4:5], -1
                                        ; implicit-def: $sgpr10
	s_and_saveexec_b64 s[8:9], s[12:13]
; %bb.3454:
	s_mov_b32 s10, 0x7f800001
	s_xor_b64 s[4:5], exec, -1
; %bb.3455:
	s_or_b64 exec, exec, s[8:9]
	s_and_b64 s[4:5], s[4:5], exec
	s_or_saveexec_b64 s[6:7], s[6:7]
	v_mov_b32_e32 v11, s10
	s_xor_b64 exec, exec, s[6:7]
	s_cbranch_execz .LBB16_1406
.LBB16_3456:
	v_mov_b32_e32 v11, 0
	v_cmp_ne_u16_sdwa s[8:9], v13, v11 src0_sel:BYTE_3 src1_sel:DWORD
	s_andn2_b64 s[4:5], s[4:5], exec
	s_and_b64 s[8:9], s[8:9], exec
	s_or_b64 s[4:5], s[4:5], s[8:9]
	s_or_b64 exec, exec, s[6:7]
	s_and_saveexec_b64 s[6:7], s[4:5]
	s_cbranch_execnz .LBB16_1407
	s_branch .LBB16_1408
.LBB16_3457:
	s_movk_i32 s4, 0x80
	v_cmp_eq_u16_sdwa s[12:13], v6, s4 src0_sel:BYTE_0 src1_sel:DWORD
	s_mov_b64 s[4:5], -1
                                        ; implicit-def: $sgpr10
	s_and_saveexec_b64 s[8:9], s[12:13]
; %bb.3458:
	s_mov_b32 s10, 0x7f800001
	s_xor_b64 s[4:5], exec, -1
; %bb.3459:
	s_or_b64 exec, exec, s[8:9]
	s_and_b64 s[4:5], s[4:5], exec
	s_or_saveexec_b64 s[6:7], s[6:7]
	v_mov_b32_e32 v10, s10
	s_xor_b64 exec, exec, s[6:7]
	s_cbranch_execz .LBB16_1410
.LBB16_3460:
	v_mov_b32_e32 v10, 0
	v_cmp_ne_u16_sdwa s[8:9], v6, v10 src0_sel:BYTE_0 src1_sel:DWORD
	s_andn2_b64 s[4:5], s[4:5], exec
	s_and_b64 s[8:9], s[8:9], exec
	s_or_b64 s[4:5], s[4:5], s[8:9]
	s_or_b64 exec, exec, s[6:7]
	s_and_saveexec_b64 s[6:7], s[4:5]
	s_cbranch_execnz .LBB16_1411
	s_branch .LBB16_1412
.LBB16_3461:
	s_movk_i32 s4, 0x80
	v_cmp_eq_u16_sdwa s[12:13], v2, s4 src0_sel:BYTE_0 src1_sel:DWORD
	s_mov_b64 s[4:5], -1
                                        ; implicit-def: $sgpr10
	s_and_saveexec_b64 s[8:9], s[12:13]
; %bb.3462:
	s_mov_b32 s10, 0x7f800001
	s_xor_b64 s[4:5], exec, -1
; %bb.3463:
	s_or_b64 exec, exec, s[8:9]
	s_and_b64 s[4:5], s[4:5], exec
	s_or_saveexec_b64 s[6:7], s[6:7]
	v_mov_b32_e32 v11, s10
	s_xor_b64 exec, exec, s[6:7]
	s_cbranch_execz .LBB16_1414
.LBB16_3464:
	v_mov_b32_e32 v11, 0
	v_cmp_ne_u16_sdwa s[8:9], v2, v11 src0_sel:BYTE_0 src1_sel:DWORD
	s_andn2_b64 s[4:5], s[4:5], exec
	s_and_b64 s[8:9], s[8:9], exec
	s_or_b64 s[4:5], s[4:5], s[8:9]
	s_or_b64 exec, exec, s[6:7]
	s_and_saveexec_b64 s[6:7], s[4:5]
	s_cbranch_execnz .LBB16_1415
	s_branch .LBB16_1416
.LBB16_3465:
	s_movk_i32 s4, 0x80
	v_cmp_eq_u16_sdwa s[12:13], v11, s4 src0_sel:BYTE_0 src1_sel:DWORD
	s_mov_b64 s[4:5], -1
                                        ; implicit-def: $sgpr10
	s_and_saveexec_b64 s[8:9], s[12:13]
; %bb.3466:
	s_mov_b32 s10, 0x7f800001
	s_xor_b64 s[4:5], exec, -1
; %bb.3467:
	s_or_b64 exec, exec, s[8:9]
	s_and_b64 s[4:5], s[4:5], exec
	s_or_saveexec_b64 s[6:7], s[6:7]
	v_mov_b32_e32 v10, s10
	s_xor_b64 exec, exec, s[6:7]
	s_cbranch_execz .LBB16_1418
.LBB16_3468:
	v_mov_b32_e32 v10, 0
	v_cmp_ne_u16_sdwa s[8:9], v11, v10 src0_sel:BYTE_0 src1_sel:DWORD
	s_andn2_b64 s[4:5], s[4:5], exec
	s_and_b64 s[8:9], s[8:9], exec
	s_or_b64 s[4:5], s[4:5], s[8:9]
	s_or_b64 exec, exec, s[6:7]
	s_and_saveexec_b64 s[6:7], s[4:5]
	s_cbranch_execnz .LBB16_1419
	s_branch .LBB16_1420
.LBB16_3469:
	s_movk_i32 s4, 0x80
	v_cmp_eq_u16_sdwa s[12:13], v11, s4 src0_sel:BYTE_0 src1_sel:DWORD
	s_mov_b64 s[4:5], -1
                                        ; implicit-def: $sgpr10
	s_and_saveexec_b64 s[8:9], s[12:13]
; %bb.3470:
	s_mov_b32 s10, 0x7f800001
	s_xor_b64 s[4:5], exec, -1
; %bb.3471:
	s_or_b64 exec, exec, s[8:9]
	s_and_b64 s[4:5], s[4:5], exec
	s_or_saveexec_b64 s[6:7], s[6:7]
	v_mov_b32_e32 v12, s10
	s_xor_b64 exec, exec, s[6:7]
	s_cbranch_execz .LBB16_1422
.LBB16_3472:
	v_mov_b32_e32 v12, 0
	v_cmp_ne_u16_sdwa s[8:9], v11, v12 src0_sel:BYTE_0 src1_sel:DWORD
	s_andn2_b64 s[4:5], s[4:5], exec
	s_and_b64 s[8:9], s[8:9], exec
	s_or_b64 s[4:5], s[4:5], s[8:9]
	s_or_b64 exec, exec, s[6:7]
	s_and_saveexec_b64 s[6:7], s[4:5]
	s_cbranch_execnz .LBB16_1423
	s_branch .LBB16_1424
.LBB16_3473:
	s_movk_i32 s4, 0x80
	v_cmp_eq_u16_e32 vcc, s4, v11
	s_mov_b64 s[4:5], -1
                                        ; implicit-def: $sgpr10
	s_and_saveexec_b64 s[8:9], vcc
; %bb.3474:
	s_mov_b32 s10, 0x7f800001
	s_xor_b64 s[4:5], exec, -1
; %bb.3475:
	s_or_b64 exec, exec, s[8:9]
	s_and_b64 s[4:5], s[4:5], exec
                                        ; implicit-def: $vgpr11
	s_or_saveexec_b64 s[6:7], s[6:7]
	v_mov_b32_e32 v10, s10
	s_xor_b64 exec, exec, s[6:7]
	s_cbranch_execz .LBB16_1426
.LBB16_3476:
	v_cmp_ne_u16_e32 vcc, 0, v11
	s_andn2_b64 s[4:5], s[4:5], exec
	s_and_b64 s[8:9], vcc, exec
	v_mov_b32_e32 v10, 0
	s_or_b64 s[4:5], s[4:5], s[8:9]
	s_or_b64 exec, exec, s[6:7]
	s_and_saveexec_b64 s[6:7], s[4:5]
	s_cbranch_execnz .LBB16_1427
	s_branch .LBB16_1428
.LBB16_3477:
	s_movk_i32 s4, 0x80
	v_cmp_eq_u16_e32 vcc, s4, v11
	s_mov_b64 s[4:5], -1
                                        ; implicit-def: $sgpr10
	s_and_saveexec_b64 s[8:9], vcc
; %bb.3478:
	s_mov_b32 s10, 0x7f800001
	s_xor_b64 s[4:5], exec, -1
; %bb.3479:
	s_or_b64 exec, exec, s[8:9]
	s_and_b64 s[4:5], s[4:5], exec
                                        ; implicit-def: $vgpr11
	s_or_saveexec_b64 s[6:7], s[6:7]
	v_mov_b32_e32 v12, s10
	s_xor_b64 exec, exec, s[6:7]
	s_cbranch_execz .LBB16_1430
.LBB16_3480:
	v_cmp_ne_u16_e32 vcc, 0, v11
	s_andn2_b64 s[4:5], s[4:5], exec
	s_and_b64 s[8:9], vcc, exec
	v_mov_b32_e32 v12, 0
	s_or_b64 s[4:5], s[4:5], s[8:9]
	s_or_b64 exec, exec, s[6:7]
	s_and_saveexec_b64 s[6:7], s[4:5]
	s_cbranch_execnz .LBB16_1431
	s_branch .LBB16_1432
.LBB16_3481:
	s_movk_i32 s4, 0x80
	v_cmp_eq_u16_sdwa s[12:13], v6, s4 src0_sel:BYTE_3 src1_sel:DWORD
	s_mov_b64 s[4:5], -1
                                        ; implicit-def: $sgpr10
	s_and_saveexec_b64 s[8:9], s[12:13]
; %bb.3482:
	s_mov_b32 s10, 0x7f800001
	s_xor_b64 s[4:5], exec, -1
; %bb.3483:
	s_or_b64 exec, exec, s[8:9]
	s_and_b64 s[4:5], s[4:5], exec
	s_or_saveexec_b64 s[6:7], s[6:7]
	v_mov_b32_e32 v10, s10
	s_xor_b64 exec, exec, s[6:7]
	s_cbranch_execz .LBB16_1434
.LBB16_3484:
	v_mov_b32_e32 v10, 0
	v_cmp_ne_u16_sdwa s[8:9], v6, v10 src0_sel:BYTE_3 src1_sel:DWORD
	s_andn2_b64 s[4:5], s[4:5], exec
	s_and_b64 s[8:9], s[8:9], exec
	s_or_b64 s[4:5], s[4:5], s[8:9]
	s_or_b64 exec, exec, s[6:7]
	s_and_saveexec_b64 s[6:7], s[4:5]
	s_cbranch_execnz .LBB16_1435
	s_branch .LBB16_1436
.LBB16_3485:
	s_movk_i32 s4, 0x80
	v_cmp_eq_u16_sdwa s[12:13], v2, s4 src0_sel:BYTE_3 src1_sel:DWORD
	s_mov_b64 s[4:5], -1
                                        ; implicit-def: $sgpr10
	s_and_saveexec_b64 s[8:9], s[12:13]
; %bb.3486:
	s_mov_b32 s10, 0x7f800001
	s_xor_b64 s[4:5], exec, -1
; %bb.3487:
	s_or_b64 exec, exec, s[8:9]
	s_and_b64 s[4:5], s[4:5], exec
	s_or_saveexec_b64 s[6:7], s[6:7]
	v_mov_b32_e32 v6, s10
	s_xor_b64 exec, exec, s[6:7]
	s_cbranch_execz .LBB16_1438
.LBB16_3488:
	v_mov_b32_e32 v6, 0
	v_cmp_ne_u16_sdwa s[8:9], v2, v6 src0_sel:BYTE_3 src1_sel:DWORD
	s_andn2_b64 s[4:5], s[4:5], exec
	s_and_b64 s[8:9], s[8:9], exec
	s_or_b64 s[4:5], s[4:5], s[8:9]
	s_or_b64 exec, exec, s[6:7]
	s_and_saveexec_b64 s[6:7], s[4:5]
	s_cbranch_execnz .LBB16_1439
	s_branch .LBB16_1440
.LBB16_3489:
	s_movk_i32 s4, 0x80
	v_cmp_eq_u16_sdwa s[12:13], v7, s4 src0_sel:BYTE_0 src1_sel:DWORD
	s_mov_b64 s[4:5], -1
                                        ; implicit-def: $sgpr10
	s_and_saveexec_b64 s[8:9], s[12:13]
; %bb.3490:
	s_mov_b32 s10, 0x7f800001
	s_xor_b64 s[4:5], exec, -1
; %bb.3491:
	s_or_b64 exec, exec, s[8:9]
	s_and_b64 s[4:5], s[4:5], exec
	s_or_saveexec_b64 s[6:7], s[6:7]
	v_mov_b32_e32 v2, s10
	s_xor_b64 exec, exec, s[6:7]
	s_cbranch_execz .LBB16_1442
.LBB16_3492:
	v_mov_b32_e32 v2, 0
	v_cmp_ne_u16_sdwa s[8:9], v7, v2 src0_sel:BYTE_0 src1_sel:DWORD
	s_andn2_b64 s[4:5], s[4:5], exec
	s_and_b64 s[8:9], s[8:9], exec
	s_or_b64 s[4:5], s[4:5], s[8:9]
	s_or_b64 exec, exec, s[6:7]
	s_and_saveexec_b64 s[6:7], s[4:5]
	s_cbranch_execnz .LBB16_1443
	s_branch .LBB16_1444
.LBB16_3493:
	s_movk_i32 s4, 0x80
	v_cmp_eq_u16_sdwa s[12:13], v3, s4 src0_sel:BYTE_0 src1_sel:DWORD
	s_mov_b64 s[4:5], -1
                                        ; implicit-def: $sgpr10
	s_and_saveexec_b64 s[8:9], s[12:13]
; %bb.3494:
	s_mov_b32 s10, 0x7f800001
	s_xor_b64 s[4:5], exec, -1
; %bb.3495:
	s_or_b64 exec, exec, s[8:9]
	s_and_b64 s[4:5], s[4:5], exec
	s_or_saveexec_b64 s[6:7], s[6:7]
	v_mov_b32_e32 v6, s10
	s_xor_b64 exec, exec, s[6:7]
	s_cbranch_execz .LBB16_1446
.LBB16_3496:
	v_mov_b32_e32 v6, 0
	v_cmp_ne_u16_sdwa s[8:9], v3, v6 src0_sel:BYTE_0 src1_sel:DWORD
	s_andn2_b64 s[4:5], s[4:5], exec
	s_and_b64 s[8:9], s[8:9], exec
	s_or_b64 s[4:5], s[4:5], s[8:9]
	s_or_b64 exec, exec, s[6:7]
	s_and_saveexec_b64 s[6:7], s[4:5]
	s_cbranch_execnz .LBB16_1447
	s_branch .LBB16_1448
.LBB16_3497:
	s_movk_i32 s4, 0x80
	v_cmp_eq_u16_sdwa s[12:13], v6, s4 src0_sel:BYTE_0 src1_sel:DWORD
	s_mov_b64 s[4:5], -1
                                        ; implicit-def: $sgpr10
	s_and_saveexec_b64 s[8:9], s[12:13]
; %bb.3498:
	s_mov_b32 s10, 0x7f800001
	s_xor_b64 s[4:5], exec, -1
; %bb.3499:
	s_or_b64 exec, exec, s[8:9]
	s_and_b64 s[4:5], s[4:5], exec
	s_or_saveexec_b64 s[6:7], s[6:7]
	v_mov_b32_e32 v2, s10
	s_xor_b64 exec, exec, s[6:7]
	s_cbranch_execz .LBB16_1450
.LBB16_3500:
	v_mov_b32_e32 v2, 0
	v_cmp_ne_u16_sdwa s[8:9], v6, v2 src0_sel:BYTE_0 src1_sel:DWORD
	s_andn2_b64 s[4:5], s[4:5], exec
	s_and_b64 s[8:9], s[8:9], exec
	s_or_b64 s[4:5], s[4:5], s[8:9]
	s_or_b64 exec, exec, s[6:7]
	s_and_saveexec_b64 s[6:7], s[4:5]
	s_cbranch_execnz .LBB16_1451
	s_branch .LBB16_1452
.LBB16_3501:
	s_movk_i32 s4, 0x80
	v_cmp_eq_u16_sdwa s[12:13], v6, s4 src0_sel:BYTE_0 src1_sel:DWORD
	s_mov_b64 s[4:5], -1
                                        ; implicit-def: $sgpr10
	s_and_saveexec_b64 s[8:9], s[12:13]
; %bb.3502:
	s_mov_b32 s10, 0x7f800001
	s_xor_b64 s[4:5], exec, -1
; %bb.3503:
	s_or_b64 exec, exec, s[8:9]
	s_and_b64 s[4:5], s[4:5], exec
	s_or_saveexec_b64 s[6:7], s[6:7]
	v_mov_b32_e32 v10, s10
	s_xor_b64 exec, exec, s[6:7]
	s_cbranch_execz .LBB16_1454
.LBB16_3504:
	v_mov_b32_e32 v10, 0
	v_cmp_ne_u16_sdwa s[8:9], v6, v10 src0_sel:BYTE_0 src1_sel:DWORD
	s_andn2_b64 s[4:5], s[4:5], exec
	s_and_b64 s[8:9], s[8:9], exec
	s_or_b64 s[4:5], s[4:5], s[8:9]
	s_or_b64 exec, exec, s[6:7]
	s_and_saveexec_b64 s[6:7], s[4:5]
	s_cbranch_execnz .LBB16_1455
	s_branch .LBB16_1456
.LBB16_3505:
	s_movk_i32 s4, 0x80
	v_cmp_eq_u16_e32 vcc, s4, v6
	s_mov_b64 s[4:5], -1
                                        ; implicit-def: $sgpr10
	s_and_saveexec_b64 s[8:9], vcc
; %bb.3506:
	s_mov_b32 s10, 0x7f800001
	s_xor_b64 s[4:5], exec, -1
; %bb.3507:
	s_or_b64 exec, exec, s[8:9]
	s_and_b64 s[4:5], s[4:5], exec
                                        ; implicit-def: $vgpr6
	s_or_saveexec_b64 s[6:7], s[6:7]
	v_mov_b32_e32 v2, s10
	s_xor_b64 exec, exec, s[6:7]
	s_cbranch_execz .LBB16_1458
.LBB16_3508:
	v_cmp_ne_u16_e32 vcc, 0, v6
	s_andn2_b64 s[4:5], s[4:5], exec
	s_and_b64 s[8:9], vcc, exec
	v_mov_b32_e32 v2, 0
	s_or_b64 s[4:5], s[4:5], s[8:9]
	s_or_b64 exec, exec, s[6:7]
	s_and_saveexec_b64 s[6:7], s[4:5]
	s_cbranch_execnz .LBB16_1459
	s_branch .LBB16_1460
.LBB16_3509:
	s_movk_i32 s4, 0x80
	v_cmp_eq_u16_e32 vcc, s4, v6
	s_mov_b64 s[4:5], -1
                                        ; implicit-def: $sgpr10
	s_and_saveexec_b64 s[8:9], vcc
; %bb.3510:
	s_mov_b32 s10, 0x7f800001
	s_xor_b64 s[4:5], exec, -1
; %bb.3511:
	s_or_b64 exec, exec, s[8:9]
	s_and_b64 s[4:5], s[4:5], exec
                                        ; implicit-def: $vgpr6
	s_or_saveexec_b64 s[6:7], s[6:7]
	v_mov_b32_e32 v10, s10
	s_xor_b64 exec, exec, s[6:7]
	s_cbranch_execz .LBB16_1462
.LBB16_3512:
	v_cmp_ne_u16_e32 vcc, 0, v6
	s_andn2_b64 s[4:5], s[4:5], exec
	s_and_b64 s[8:9], vcc, exec
	v_mov_b32_e32 v10, 0
	s_or_b64 s[4:5], s[4:5], s[8:9]
	s_or_b64 exec, exec, s[6:7]
	s_and_saveexec_b64 s[6:7], s[4:5]
	s_cbranch_execnz .LBB16_1463
	s_branch .LBB16_1464
.LBB16_3513:
	s_movk_i32 s4, 0x80
	v_cmp_eq_u16_sdwa s[12:13], v7, s4 src0_sel:BYTE_3 src1_sel:DWORD
	s_mov_b64 s[4:5], -1
                                        ; implicit-def: $sgpr10
	s_and_saveexec_b64 s[8:9], s[12:13]
; %bb.3514:
	s_mov_b32 s10, 0x7f800001
	s_xor_b64 s[4:5], exec, -1
; %bb.3515:
	s_or_b64 exec, exec, s[8:9]
	s_and_b64 s[4:5], s[4:5], exec
	s_or_saveexec_b64 s[6:7], s[6:7]
	v_mov_b32_e32 v2, s10
	s_xor_b64 exec, exec, s[6:7]
	s_cbranch_execz .LBB16_1466
.LBB16_3516:
	v_mov_b32_e32 v2, 0
	v_cmp_ne_u16_sdwa s[8:9], v7, v2 src0_sel:BYTE_3 src1_sel:DWORD
	s_andn2_b64 s[4:5], s[4:5], exec
	s_and_b64 s[8:9], s[8:9], exec
	s_or_b64 s[4:5], s[4:5], s[8:9]
	s_or_b64 exec, exec, s[6:7]
	s_and_saveexec_b64 s[6:7], s[4:5]
	s_cbranch_execnz .LBB16_1467
	s_branch .LBB16_1468
.LBB16_3517:
	s_movk_i32 s4, 0x80
	v_cmp_eq_u16_sdwa s[12:13], v3, s4 src0_sel:BYTE_3 src1_sel:DWORD
	s_mov_b64 s[4:5], -1
                                        ; implicit-def: $sgpr10
	s_and_saveexec_b64 s[8:9], s[12:13]
; %bb.3518:
	s_mov_b32 s10, 0x7f800001
	s_xor_b64 s[4:5], exec, -1
; %bb.3519:
	s_or_b64 exec, exec, s[8:9]
	s_and_b64 s[4:5], s[4:5], exec
	s_or_saveexec_b64 s[6:7], s[6:7]
	v_mov_b32_e32 v6, s10
	s_xor_b64 exec, exec, s[6:7]
	s_cbranch_execz .LBB16_1470
.LBB16_3520:
	v_mov_b32_e32 v6, 0
	v_cmp_ne_u16_sdwa s[8:9], v3, v6 src0_sel:BYTE_3 src1_sel:DWORD
	s_andn2_b64 s[4:5], s[4:5], exec
	s_and_b64 s[8:9], s[8:9], exec
	s_or_b64 s[4:5], s[4:5], s[8:9]
	s_or_b64 exec, exec, s[6:7]
	s_and_saveexec_b64 s[6:7], s[4:5]
	s_cbranch_execnz .LBB16_1471
	s_branch .LBB16_1472
.LBB16_3521:
	s_movk_i32 s4, 0x80
	v_cmp_eq_u16_sdwa s[12:13], v8, s4 src0_sel:BYTE_0 src1_sel:DWORD
	s_mov_b64 s[4:5], -1
                                        ; implicit-def: $sgpr10
	s_and_saveexec_b64 s[8:9], s[12:13]
; %bb.3522:
	s_mov_b32 s10, 0x7f800001
	s_xor_b64 s[4:5], exec, -1
; %bb.3523:
	s_or_b64 exec, exec, s[8:9]
	s_and_b64 s[4:5], s[4:5], exec
	s_or_saveexec_b64 s[6:7], s[6:7]
	v_mov_b32_e32 v2, s10
	s_xor_b64 exec, exec, s[6:7]
	s_cbranch_execz .LBB16_1474
.LBB16_3524:
	v_mov_b32_e32 v2, 0
	v_cmp_ne_u16_sdwa s[8:9], v8, v2 src0_sel:BYTE_0 src1_sel:DWORD
	s_andn2_b64 s[4:5], s[4:5], exec
	s_and_b64 s[8:9], s[8:9], exec
	s_or_b64 s[4:5], s[4:5], s[8:9]
	s_or_b64 exec, exec, s[6:7]
	s_and_saveexec_b64 s[6:7], s[4:5]
	s_cbranch_execnz .LBB16_1475
	s_branch .LBB16_1476
.LBB16_3525:
	s_movk_i32 s4, 0x80
	v_cmp_eq_u16_sdwa s[12:13], v4, s4 src0_sel:BYTE_0 src1_sel:DWORD
	s_mov_b64 s[4:5], -1
                                        ; implicit-def: $sgpr10
	s_and_saveexec_b64 s[8:9], s[12:13]
; %bb.3526:
	s_mov_b32 s10, 0x7f800001
	s_xor_b64 s[4:5], exec, -1
; %bb.3527:
	s_or_b64 exec, exec, s[8:9]
	s_and_b64 s[4:5], s[4:5], exec
	s_or_saveexec_b64 s[6:7], s[6:7]
	v_mov_b32_e32 v3, s10
	s_xor_b64 exec, exec, s[6:7]
	s_cbranch_execz .LBB16_1478
.LBB16_3528:
	v_mov_b32_e32 v3, 0
	v_cmp_ne_u16_sdwa s[8:9], v4, v3 src0_sel:BYTE_0 src1_sel:DWORD
	s_andn2_b64 s[4:5], s[4:5], exec
	s_and_b64 s[8:9], s[8:9], exec
	s_or_b64 s[4:5], s[4:5], s[8:9]
	s_or_b64 exec, exec, s[6:7]
	s_and_saveexec_b64 s[6:7], s[4:5]
	s_cbranch_execnz .LBB16_1479
	s_branch .LBB16_1480
.LBB16_3529:
	s_movk_i32 s4, 0x80
	v_cmp_eq_u16_sdwa s[12:13], v3, s4 src0_sel:BYTE_0 src1_sel:DWORD
	s_mov_b64 s[4:5], -1
                                        ; implicit-def: $sgpr10
	s_and_saveexec_b64 s[8:9], s[12:13]
; %bb.3530:
	s_mov_b32 s10, 0x7f800001
	s_xor_b64 s[4:5], exec, -1
; %bb.3531:
	s_or_b64 exec, exec, s[8:9]
	s_and_b64 s[4:5], s[4:5], exec
	s_or_saveexec_b64 s[6:7], s[6:7]
	v_mov_b32_e32 v2, s10
	s_xor_b64 exec, exec, s[6:7]
	s_cbranch_execz .LBB16_1482
.LBB16_3532:
	v_mov_b32_e32 v2, 0
	v_cmp_ne_u16_sdwa s[8:9], v3, v2 src0_sel:BYTE_0 src1_sel:DWORD
	s_andn2_b64 s[4:5], s[4:5], exec
	s_and_b64 s[8:9], s[8:9], exec
	s_or_b64 s[4:5], s[4:5], s[8:9]
	s_or_b64 exec, exec, s[6:7]
	s_and_saveexec_b64 s[6:7], s[4:5]
	s_cbranch_execnz .LBB16_1483
	s_branch .LBB16_1484
.LBB16_3533:
	s_movk_i32 s4, 0x80
	v_cmp_eq_u16_sdwa s[12:13], v3, s4 src0_sel:BYTE_0 src1_sel:DWORD
	s_mov_b64 s[4:5], -1
                                        ; implicit-def: $sgpr10
	s_and_saveexec_b64 s[8:9], s[12:13]
; %bb.3534:
	s_mov_b32 s10, 0x7f800001
	s_xor_b64 s[4:5], exec, -1
; %bb.3535:
	s_or_b64 exec, exec, s[8:9]
	s_and_b64 s[4:5], s[4:5], exec
	s_or_saveexec_b64 s[6:7], s[6:7]
	v_mov_b32_e32 v6, s10
	s_xor_b64 exec, exec, s[6:7]
	s_cbranch_execz .LBB16_1486
.LBB16_3536:
	v_mov_b32_e32 v6, 0
	v_cmp_ne_u16_sdwa s[8:9], v3, v6 src0_sel:BYTE_0 src1_sel:DWORD
	s_andn2_b64 s[4:5], s[4:5], exec
	s_and_b64 s[8:9], s[8:9], exec
	s_or_b64 s[4:5], s[4:5], s[8:9]
	s_or_b64 exec, exec, s[6:7]
	s_and_saveexec_b64 s[6:7], s[4:5]
	s_cbranch_execnz .LBB16_1487
	s_branch .LBB16_1488
.LBB16_3537:
	s_movk_i32 s4, 0x80
	v_cmp_eq_u16_e32 vcc, s4, v3
	s_mov_b64 s[4:5], -1
                                        ; implicit-def: $sgpr10
	s_and_saveexec_b64 s[8:9], vcc
; %bb.3538:
	s_mov_b32 s10, 0x7f800001
	s_xor_b64 s[4:5], exec, -1
; %bb.3539:
	s_or_b64 exec, exec, s[8:9]
	s_and_b64 s[4:5], s[4:5], exec
                                        ; implicit-def: $vgpr3
	s_or_saveexec_b64 s[6:7], s[6:7]
	v_mov_b32_e32 v2, s10
	s_xor_b64 exec, exec, s[6:7]
	s_cbranch_execz .LBB16_1490
.LBB16_3540:
	v_cmp_ne_u16_e32 vcc, 0, v3
	s_andn2_b64 s[4:5], s[4:5], exec
	s_and_b64 s[8:9], vcc, exec
	v_mov_b32_e32 v2, 0
	s_or_b64 s[4:5], s[4:5], s[8:9]
	s_or_b64 exec, exec, s[6:7]
	s_and_saveexec_b64 s[6:7], s[4:5]
	s_cbranch_execnz .LBB16_1491
	s_branch .LBB16_1492
.LBB16_3541:
	s_movk_i32 s4, 0x80
	v_cmp_eq_u16_e32 vcc, s4, v3
	s_mov_b64 s[4:5], -1
                                        ; implicit-def: $sgpr10
	s_and_saveexec_b64 s[8:9], vcc
; %bb.3542:
	s_mov_b32 s10, 0x7f800001
	s_xor_b64 s[4:5], exec, -1
; %bb.3543:
	s_or_b64 exec, exec, s[8:9]
	s_and_b64 s[4:5], s[4:5], exec
                                        ; implicit-def: $vgpr3
	s_or_saveexec_b64 s[6:7], s[6:7]
	v_mov_b32_e32 v6, s10
	s_xor_b64 exec, exec, s[6:7]
	s_cbranch_execz .LBB16_1494
.LBB16_3544:
	v_cmp_ne_u16_e32 vcc, 0, v3
	s_andn2_b64 s[4:5], s[4:5], exec
	s_and_b64 s[8:9], vcc, exec
	v_mov_b32_e32 v6, 0
	s_or_b64 s[4:5], s[4:5], s[8:9]
	s_or_b64 exec, exec, s[6:7]
	s_and_saveexec_b64 s[6:7], s[4:5]
	s_cbranch_execnz .LBB16_1495
	s_branch .LBB16_1496
.LBB16_3545:
	s_movk_i32 s4, 0x80
	v_cmp_eq_u16_sdwa s[12:13], v8, s4 src0_sel:BYTE_3 src1_sel:DWORD
	s_mov_b64 s[4:5], -1
                                        ; implicit-def: $sgpr10
	s_and_saveexec_b64 s[8:9], s[12:13]
; %bb.3546:
	s_mov_b32 s10, 0x7f800001
	s_xor_b64 s[4:5], exec, -1
; %bb.3547:
	s_or_b64 exec, exec, s[8:9]
	s_and_b64 s[4:5], s[4:5], exec
	s_or_saveexec_b64 s[6:7], s[6:7]
	v_mov_b32_e32 v2, s10
	s_xor_b64 exec, exec, s[6:7]
	s_cbranch_execz .LBB16_1498
.LBB16_3548:
	v_mov_b32_e32 v2, 0
	v_cmp_ne_u16_sdwa s[8:9], v8, v2 src0_sel:BYTE_3 src1_sel:DWORD
	s_andn2_b64 s[4:5], s[4:5], exec
	s_and_b64 s[8:9], s[8:9], exec
	s_or_b64 s[4:5], s[4:5], s[8:9]
	s_or_b64 exec, exec, s[6:7]
	s_and_saveexec_b64 s[6:7], s[4:5]
	s_cbranch_execnz .LBB16_1499
	s_branch .LBB16_1500
.LBB16_3549:
	s_movk_i32 s4, 0x80
	v_cmp_eq_u16_sdwa s[12:13], v4, s4 src0_sel:BYTE_3 src1_sel:DWORD
	s_mov_b64 s[4:5], -1
                                        ; implicit-def: $sgpr10
	s_and_saveexec_b64 s[8:9], s[12:13]
; %bb.3550:
	s_mov_b32 s10, 0x7f800001
	s_xor_b64 s[4:5], exec, -1
; %bb.3551:
	s_or_b64 exec, exec, s[8:9]
	s_and_b64 s[4:5], s[4:5], exec
	s_or_saveexec_b64 s[6:7], s[6:7]
	v_mov_b32_e32 v3, s10
	s_xor_b64 exec, exec, s[6:7]
	s_cbranch_execz .LBB16_1502
.LBB16_3552:
	v_mov_b32_e32 v3, 0
	v_cmp_ne_u16_sdwa s[8:9], v4, v3 src0_sel:BYTE_3 src1_sel:DWORD
	s_andn2_b64 s[4:5], s[4:5], exec
	s_and_b64 s[8:9], s[8:9], exec
	s_or_b64 s[4:5], s[4:5], s[8:9]
	s_or_b64 exec, exec, s[6:7]
	s_and_saveexec_b64 s[6:7], s[4:5]
	s_cbranch_execnz .LBB16_1503
	s_branch .LBB16_1504
.LBB16_3553:
	s_movk_i32 s4, 0x80
	v_cmp_eq_u16_sdwa s[12:13], v9, s4 src0_sel:BYTE_0 src1_sel:DWORD
	s_mov_b64 s[4:5], -1
                                        ; implicit-def: $sgpr10
	s_and_saveexec_b64 s[8:9], s[12:13]
; %bb.3554:
	s_mov_b32 s10, 0x7f800001
	s_xor_b64 s[4:5], exec, -1
; %bb.3555:
	s_or_b64 exec, exec, s[8:9]
	s_and_b64 s[4:5], s[4:5], exec
	s_or_saveexec_b64 s[6:7], s[6:7]
	v_mov_b32_e32 v2, s10
	s_xor_b64 exec, exec, s[6:7]
	s_cbranch_execz .LBB16_1506
.LBB16_3556:
	v_mov_b32_e32 v2, 0
	v_cmp_ne_u16_sdwa s[8:9], v9, v2 src0_sel:BYTE_0 src1_sel:DWORD
	s_andn2_b64 s[4:5], s[4:5], exec
	s_and_b64 s[8:9], s[8:9], exec
	s_or_b64 s[4:5], s[4:5], s[8:9]
	s_or_b64 exec, exec, s[6:7]
	s_and_saveexec_b64 s[6:7], s[4:5]
	s_cbranch_execnz .LBB16_1507
	s_branch .LBB16_1508
.LBB16_3557:
	s_movk_i32 s4, 0x80
	v_cmp_eq_u16_sdwa s[12:13], v5, s4 src0_sel:BYTE_0 src1_sel:DWORD
	s_mov_b64 s[4:5], -1
                                        ; implicit-def: $sgpr10
	s_and_saveexec_b64 s[8:9], s[12:13]
; %bb.3558:
	s_mov_b32 s10, 0x7f800001
	s_xor_b64 s[4:5], exec, -1
; %bb.3559:
	s_or_b64 exec, exec, s[8:9]
	s_and_b64 s[4:5], s[4:5], exec
	s_or_saveexec_b64 s[6:7], s[6:7]
	v_mov_b32_e32 v3, s10
	s_xor_b64 exec, exec, s[6:7]
	s_cbranch_execz .LBB16_1510
.LBB16_3560:
	v_mov_b32_e32 v3, 0
	v_cmp_ne_u16_sdwa s[8:9], v5, v3 src0_sel:BYTE_0 src1_sel:DWORD
	s_andn2_b64 s[4:5], s[4:5], exec
	s_and_b64 s[8:9], s[8:9], exec
	s_or_b64 s[4:5], s[4:5], s[8:9]
	s_or_b64 exec, exec, s[6:7]
	s_and_saveexec_b64 s[6:7], s[4:5]
	s_cbranch_execnz .LBB16_1511
	s_branch .LBB16_1512
.LBB16_3561:
	s_movk_i32 s4, 0x80
	v_cmp_eq_u16_sdwa s[12:13], v3, s4 src0_sel:BYTE_0 src1_sel:DWORD
	s_mov_b64 s[4:5], -1
                                        ; implicit-def: $sgpr10
	s_and_saveexec_b64 s[8:9], s[12:13]
; %bb.3562:
	s_mov_b32 s10, 0x7f800001
	s_xor_b64 s[4:5], exec, -1
; %bb.3563:
	s_or_b64 exec, exec, s[8:9]
	s_and_b64 s[4:5], s[4:5], exec
	s_or_saveexec_b64 s[6:7], s[6:7]
	v_mov_b32_e32 v2, s10
	s_xor_b64 exec, exec, s[6:7]
	s_cbranch_execz .LBB16_1514
.LBB16_3564:
	v_mov_b32_e32 v2, 0
	v_cmp_ne_u16_sdwa s[8:9], v3, v2 src0_sel:BYTE_0 src1_sel:DWORD
	s_andn2_b64 s[4:5], s[4:5], exec
	s_and_b64 s[8:9], s[8:9], exec
	s_or_b64 s[4:5], s[4:5], s[8:9]
	s_or_b64 exec, exec, s[6:7]
	s_and_saveexec_b64 s[6:7], s[4:5]
	s_cbranch_execnz .LBB16_1515
	s_branch .LBB16_1516
.LBB16_3565:
	s_movk_i32 s4, 0x80
	v_cmp_eq_u16_sdwa s[12:13], v3, s4 src0_sel:BYTE_0 src1_sel:DWORD
	s_mov_b64 s[4:5], -1
                                        ; implicit-def: $sgpr10
	s_and_saveexec_b64 s[8:9], s[12:13]
; %bb.3566:
	s_mov_b32 s10, 0x7f800001
	s_xor_b64 s[4:5], exec, -1
; %bb.3567:
	s_or_b64 exec, exec, s[8:9]
	s_and_b64 s[4:5], s[4:5], exec
	s_or_saveexec_b64 s[6:7], s[6:7]
	v_mov_b32_e32 v4, s10
	s_xor_b64 exec, exec, s[6:7]
	s_cbranch_execz .LBB16_1518
.LBB16_3568:
	v_mov_b32_e32 v4, 0
	v_cmp_ne_u16_sdwa s[8:9], v3, v4 src0_sel:BYTE_0 src1_sel:DWORD
	s_andn2_b64 s[4:5], s[4:5], exec
	s_and_b64 s[8:9], s[8:9], exec
	s_or_b64 s[4:5], s[4:5], s[8:9]
	s_or_b64 exec, exec, s[6:7]
	s_and_saveexec_b64 s[6:7], s[4:5]
	s_cbranch_execnz .LBB16_1519
	s_branch .LBB16_1520
.LBB16_3569:
	s_movk_i32 s4, 0x80
	v_cmp_eq_u16_e32 vcc, s4, v3
	s_mov_b64 s[4:5], -1
                                        ; implicit-def: $sgpr10
	s_and_saveexec_b64 s[8:9], vcc
; %bb.3570:
	s_mov_b32 s10, 0x7f800001
	s_xor_b64 s[4:5], exec, -1
; %bb.3571:
	s_or_b64 exec, exec, s[8:9]
	s_and_b64 s[4:5], s[4:5], exec
                                        ; implicit-def: $vgpr3
	s_or_saveexec_b64 s[6:7], s[6:7]
	v_mov_b32_e32 v2, s10
	s_xor_b64 exec, exec, s[6:7]
	s_cbranch_execz .LBB16_1522
.LBB16_3572:
	v_cmp_ne_u16_e32 vcc, 0, v3
	s_andn2_b64 s[4:5], s[4:5], exec
	s_and_b64 s[8:9], vcc, exec
	v_mov_b32_e32 v2, 0
	s_or_b64 s[4:5], s[4:5], s[8:9]
	s_or_b64 exec, exec, s[6:7]
	s_and_saveexec_b64 s[6:7], s[4:5]
	s_cbranch_execnz .LBB16_1523
	s_branch .LBB16_1524
.LBB16_3573:
	s_movk_i32 s4, 0x80
	v_cmp_eq_u16_e32 vcc, s4, v3
	s_mov_b64 s[4:5], -1
                                        ; implicit-def: $sgpr10
	s_and_saveexec_b64 s[8:9], vcc
; %bb.3574:
	s_mov_b32 s10, 0x7f800001
	s_xor_b64 s[4:5], exec, -1
; %bb.3575:
	s_or_b64 exec, exec, s[8:9]
	s_and_b64 s[4:5], s[4:5], exec
                                        ; implicit-def: $vgpr3
	s_or_saveexec_b64 s[6:7], s[6:7]
	v_mov_b32_e32 v4, s10
	s_xor_b64 exec, exec, s[6:7]
	s_cbranch_execz .LBB16_1526
.LBB16_3576:
	v_cmp_ne_u16_e32 vcc, 0, v3
	s_andn2_b64 s[4:5], s[4:5], exec
	s_and_b64 s[8:9], vcc, exec
	v_mov_b32_e32 v4, 0
	s_or_b64 s[4:5], s[4:5], s[8:9]
	s_or_b64 exec, exec, s[6:7]
	s_and_saveexec_b64 s[6:7], s[4:5]
	s_cbranch_execnz .LBB16_1527
	s_branch .LBB16_1528
.LBB16_3577:
	s_movk_i32 s4, 0x80
	v_cmp_eq_u16_sdwa s[12:13], v9, s4 src0_sel:BYTE_3 src1_sel:DWORD
	s_mov_b64 s[4:5], -1
                                        ; implicit-def: $sgpr10
	s_and_saveexec_b64 s[8:9], s[12:13]
; %bb.3578:
	s_mov_b32 s10, 0x7f800001
	s_xor_b64 s[4:5], exec, -1
; %bb.3579:
	s_or_b64 exec, exec, s[8:9]
	s_and_b64 s[4:5], s[4:5], exec
	s_or_saveexec_b64 s[6:7], s[6:7]
	v_mov_b32_e32 v2, s10
	s_xor_b64 exec, exec, s[6:7]
	s_cbranch_execz .LBB16_1530
.LBB16_3580:
	v_mov_b32_e32 v2, 0
	v_cmp_ne_u16_sdwa s[8:9], v9, v2 src0_sel:BYTE_3 src1_sel:DWORD
	s_andn2_b64 s[4:5], s[4:5], exec
	s_and_b64 s[8:9], s[8:9], exec
	s_or_b64 s[4:5], s[4:5], s[8:9]
	s_or_b64 exec, exec, s[6:7]
	s_and_saveexec_b64 s[6:7], s[4:5]
	s_cbranch_execnz .LBB16_1531
	s_branch .LBB16_1532
.LBB16_3581:
	s_movk_i32 s4, 0x80
	v_cmp_eq_u16_sdwa s[12:13], v5, s4 src0_sel:BYTE_3 src1_sel:DWORD
	s_mov_b64 s[4:5], -1
                                        ; implicit-def: $sgpr10
	s_and_saveexec_b64 s[8:9], s[12:13]
; %bb.3582:
	s_mov_b32 s10, 0x7f800001
	s_xor_b64 s[4:5], exec, -1
; %bb.3583:
	s_or_b64 exec, exec, s[8:9]
	s_and_b64 s[4:5], s[4:5], exec
	s_or_saveexec_b64 s[6:7], s[6:7]
	v_mov_b32_e32 v3, s10
	s_xor_b64 exec, exec, s[6:7]
	s_cbranch_execz .LBB16_1534
.LBB16_3584:
	v_mov_b32_e32 v3, 0
	v_cmp_ne_u16_sdwa s[8:9], v5, v3 src0_sel:BYTE_3 src1_sel:DWORD
	s_andn2_b64 s[4:5], s[4:5], exec
	s_and_b64 s[8:9], s[8:9], exec
	s_or_b64 s[4:5], s[4:5], s[8:9]
	s_or_b64 exec, exec, s[6:7]
	s_and_saveexec_b64 s[6:7], s[4:5]
	s_cbranch_execnz .LBB16_1535
	s_branch .LBB16_1536
.LBB16_3585:
	s_movk_i32 s4, 0x80
	v_cmp_eq_u16_sdwa s[12:13], v14, s4 src0_sel:BYTE_0 src1_sel:DWORD
	s_mov_b64 s[4:5], -1
                                        ; implicit-def: $sgpr10
	s_and_saveexec_b64 s[8:9], s[12:13]
; %bb.3586:
	s_mov_b32 s10, 0x7f800001
	s_xor_b64 s[4:5], exec, -1
; %bb.3587:
	s_or_b64 exec, exec, s[8:9]
	s_and_b64 s[4:5], s[4:5], exec
	s_or_saveexec_b64 s[6:7], s[6:7]
	v_mov_b32_e32 v20, s10
	s_xor_b64 exec, exec, s[6:7]
	s_cbranch_execz .LBB16_1538
.LBB16_3588:
	v_mov_b32_e32 v20, 0
	v_cmp_ne_u16_sdwa s[8:9], v14, v20 src0_sel:BYTE_0 src1_sel:DWORD
	s_andn2_b64 s[4:5], s[4:5], exec
	s_and_b64 s[8:9], s[8:9], exec
	s_or_b64 s[4:5], s[4:5], s[8:9]
	s_or_b64 exec, exec, s[6:7]
	s_and_saveexec_b64 s[6:7], s[4:5]
	s_cbranch_execnz .LBB16_1539
	s_branch .LBB16_1540
.LBB16_3589:
	s_movk_i32 s4, 0x80
	v_cmp_eq_u16_sdwa s[12:13], v10, s4 src0_sel:BYTE_0 src1_sel:DWORD
	s_mov_b64 s[4:5], -1
                                        ; implicit-def: $sgpr10
	s_and_saveexec_b64 s[8:9], s[12:13]
; %bb.3590:
	s_mov_b32 s10, 0x7f800001
	s_xor_b64 s[4:5], exec, -1
; %bb.3591:
	s_or_b64 exec, exec, s[8:9]
	s_and_b64 s[4:5], s[4:5], exec
	s_or_saveexec_b64 s[6:7], s[6:7]
	v_mov_b32_e32 v21, s10
	s_xor_b64 exec, exec, s[6:7]
	s_cbranch_execz .LBB16_1542
.LBB16_3592:
	v_mov_b32_e32 v21, 0
	v_cmp_ne_u16_sdwa s[8:9], v10, v21 src0_sel:BYTE_0 src1_sel:DWORD
	s_andn2_b64 s[4:5], s[4:5], exec
	s_and_b64 s[8:9], s[8:9], exec
	s_or_b64 s[4:5], s[4:5], s[8:9]
	s_or_b64 exec, exec, s[6:7]
	s_and_saveexec_b64 s[6:7], s[4:5]
	s_cbranch_execnz .LBB16_1543
	s_branch .LBB16_1544
.LBB16_3593:
	s_movk_i32 s4, 0x80
	v_cmp_eq_u16_sdwa s[12:13], v21, s4 src0_sel:BYTE_0 src1_sel:DWORD
	s_mov_b64 s[4:5], -1
                                        ; implicit-def: $sgpr10
	s_and_saveexec_b64 s[8:9], s[12:13]
; %bb.3594:
	s_mov_b32 s10, 0x7f800001
	s_xor_b64 s[4:5], exec, -1
; %bb.3595:
	s_or_b64 exec, exec, s[8:9]
	s_and_b64 s[4:5], s[4:5], exec
	s_or_saveexec_b64 s[6:7], s[6:7]
	v_mov_b32_e32 v20, s10
	s_xor_b64 exec, exec, s[6:7]
	s_cbranch_execz .LBB16_1546
.LBB16_3596:
	v_mov_b32_e32 v20, 0
	v_cmp_ne_u16_sdwa s[8:9], v21, v20 src0_sel:BYTE_0 src1_sel:DWORD
	s_andn2_b64 s[4:5], s[4:5], exec
	s_and_b64 s[8:9], s[8:9], exec
	s_or_b64 s[4:5], s[4:5], s[8:9]
	s_or_b64 exec, exec, s[6:7]
	s_and_saveexec_b64 s[6:7], s[4:5]
	s_cbranch_execnz .LBB16_1547
	s_branch .LBB16_1548
.LBB16_3597:
	s_movk_i32 s4, 0x80
	v_cmp_eq_u16_sdwa s[12:13], v21, s4 src0_sel:BYTE_0 src1_sel:DWORD
	s_mov_b64 s[4:5], -1
                                        ; implicit-def: $sgpr10
	s_and_saveexec_b64 s[8:9], s[12:13]
; %bb.3598:
	s_mov_b32 s10, 0x7f800001
	s_xor_b64 s[4:5], exec, -1
; %bb.3599:
	s_or_b64 exec, exec, s[8:9]
	s_and_b64 s[4:5], s[4:5], exec
	s_or_saveexec_b64 s[6:7], s[6:7]
	v_mov_b32_e32 v22, s10
	s_xor_b64 exec, exec, s[6:7]
	s_cbranch_execz .LBB16_1550
.LBB16_3600:
	v_mov_b32_e32 v22, 0
	v_cmp_ne_u16_sdwa s[8:9], v21, v22 src0_sel:BYTE_0 src1_sel:DWORD
	s_andn2_b64 s[4:5], s[4:5], exec
	s_and_b64 s[8:9], s[8:9], exec
	s_or_b64 s[4:5], s[4:5], s[8:9]
	s_or_b64 exec, exec, s[6:7]
	s_and_saveexec_b64 s[6:7], s[4:5]
	s_cbranch_execnz .LBB16_1551
	s_branch .LBB16_1552
.LBB16_3601:
	s_movk_i32 s4, 0x80
	v_cmp_eq_u16_e32 vcc, s4, v21
	s_mov_b64 s[4:5], -1
                                        ; implicit-def: $sgpr10
	s_and_saveexec_b64 s[8:9], vcc
; %bb.3602:
	s_mov_b32 s10, 0x7f800001
	s_xor_b64 s[4:5], exec, -1
; %bb.3603:
	s_or_b64 exec, exec, s[8:9]
	s_and_b64 s[4:5], s[4:5], exec
                                        ; implicit-def: $vgpr21
	s_or_saveexec_b64 s[6:7], s[6:7]
	v_mov_b32_e32 v20, s10
	s_xor_b64 exec, exec, s[6:7]
	s_cbranch_execz .LBB16_1554
.LBB16_3604:
	v_cmp_ne_u16_e32 vcc, 0, v21
	s_andn2_b64 s[4:5], s[4:5], exec
	s_and_b64 s[8:9], vcc, exec
	v_mov_b32_e32 v20, 0
	s_or_b64 s[4:5], s[4:5], s[8:9]
	s_or_b64 exec, exec, s[6:7]
	s_and_saveexec_b64 s[6:7], s[4:5]
	s_cbranch_execnz .LBB16_1555
	s_branch .LBB16_1556
.LBB16_3605:
	s_movk_i32 s4, 0x80
	v_cmp_eq_u16_e32 vcc, s4, v21
	s_mov_b64 s[4:5], -1
                                        ; implicit-def: $sgpr10
	s_and_saveexec_b64 s[8:9], vcc
; %bb.3606:
	s_mov_b32 s10, 0x7f800001
	s_xor_b64 s[4:5], exec, -1
; %bb.3607:
	s_or_b64 exec, exec, s[8:9]
	s_and_b64 s[4:5], s[4:5], exec
                                        ; implicit-def: $vgpr21
	s_or_saveexec_b64 s[6:7], s[6:7]
	v_mov_b32_e32 v22, s10
	s_xor_b64 exec, exec, s[6:7]
	s_cbranch_execz .LBB16_1558
.LBB16_3608:
	v_cmp_ne_u16_e32 vcc, 0, v21
	s_andn2_b64 s[4:5], s[4:5], exec
	s_and_b64 s[8:9], vcc, exec
	v_mov_b32_e32 v22, 0
	s_or_b64 s[4:5], s[4:5], s[8:9]
	s_or_b64 exec, exec, s[6:7]
	s_and_saveexec_b64 s[6:7], s[4:5]
	s_cbranch_execnz .LBB16_1559
	s_branch .LBB16_1560
.LBB16_3609:
	s_movk_i32 s4, 0x80
	v_cmp_eq_u16_sdwa s[12:13], v14, s4 src0_sel:BYTE_3 src1_sel:DWORD
	s_mov_b64 s[4:5], -1
                                        ; implicit-def: $sgpr10
	s_and_saveexec_b64 s[8:9], s[12:13]
; %bb.3610:
	s_mov_b32 s10, 0x7f800001
	s_xor_b64 s[4:5], exec, -1
; %bb.3611:
	s_or_b64 exec, exec, s[8:9]
	s_and_b64 s[4:5], s[4:5], exec
	s_or_saveexec_b64 s[6:7], s[6:7]
	v_mov_b32_e32 v20, s10
	s_xor_b64 exec, exec, s[6:7]
	s_cbranch_execz .LBB16_1562
.LBB16_3612:
	v_mov_b32_e32 v20, 0
	v_cmp_ne_u16_sdwa s[8:9], v14, v20 src0_sel:BYTE_3 src1_sel:DWORD
	s_andn2_b64 s[4:5], s[4:5], exec
	s_and_b64 s[8:9], s[8:9], exec
	s_or_b64 s[4:5], s[4:5], s[8:9]
	s_or_b64 exec, exec, s[6:7]
	s_and_saveexec_b64 s[6:7], s[4:5]
	s_cbranch_execnz .LBB16_1563
	s_branch .LBB16_1564
.LBB16_3613:
	s_movk_i32 s4, 0x80
	v_cmp_eq_u16_sdwa s[12:13], v10, s4 src0_sel:BYTE_3 src1_sel:DWORD
	s_mov_b64 s[4:5], -1
                                        ; implicit-def: $sgpr10
	s_and_saveexec_b64 s[8:9], s[12:13]
; %bb.3614:
	s_mov_b32 s10, 0x7f800001
	s_xor_b64 s[4:5], exec, -1
; %bb.3615:
	s_or_b64 exec, exec, s[8:9]
	s_and_b64 s[4:5], s[4:5], exec
	s_or_saveexec_b64 s[6:7], s[6:7]
	v_mov_b32_e32 v14, s10
	s_xor_b64 exec, exec, s[6:7]
	s_cbranch_execz .LBB16_1566
.LBB16_3616:
	v_mov_b32_e32 v14, 0
	v_cmp_ne_u16_sdwa s[8:9], v10, v14 src0_sel:BYTE_3 src1_sel:DWORD
	s_andn2_b64 s[4:5], s[4:5], exec
	s_and_b64 s[8:9], s[8:9], exec
	s_or_b64 s[4:5], s[4:5], s[8:9]
	s_or_b64 exec, exec, s[6:7]
	s_and_saveexec_b64 s[6:7], s[4:5]
	s_cbranch_execnz .LBB16_1567
	s_branch .LBB16_1568
.LBB16_3617:
	s_movk_i32 s4, 0x80
	v_cmp_eq_u16_sdwa s[12:13], v15, s4 src0_sel:BYTE_0 src1_sel:DWORD
	s_mov_b64 s[4:5], -1
                                        ; implicit-def: $sgpr10
	s_and_saveexec_b64 s[8:9], s[12:13]
; %bb.3618:
	s_mov_b32 s10, 0x7f800001
	s_xor_b64 s[4:5], exec, -1
; %bb.3619:
	s_or_b64 exec, exec, s[8:9]
	s_and_b64 s[4:5], s[4:5], exec
	s_or_saveexec_b64 s[6:7], s[6:7]
	v_mov_b32_e32 v10, s10
	s_xor_b64 exec, exec, s[6:7]
	s_cbranch_execz .LBB16_1570
.LBB16_3620:
	v_mov_b32_e32 v10, 0
	v_cmp_ne_u16_sdwa s[8:9], v15, v10 src0_sel:BYTE_0 src1_sel:DWORD
	s_andn2_b64 s[4:5], s[4:5], exec
	s_and_b64 s[8:9], s[8:9], exec
	s_or_b64 s[4:5], s[4:5], s[8:9]
	s_or_b64 exec, exec, s[6:7]
	s_and_saveexec_b64 s[6:7], s[4:5]
	s_cbranch_execnz .LBB16_1571
	s_branch .LBB16_1572
.LBB16_3621:
	s_movk_i32 s4, 0x80
	v_cmp_eq_u16_sdwa s[12:13], v11, s4 src0_sel:BYTE_0 src1_sel:DWORD
	s_mov_b64 s[4:5], -1
                                        ; implicit-def: $sgpr10
	s_and_saveexec_b64 s[8:9], s[12:13]
; %bb.3622:
	s_mov_b32 s10, 0x7f800001
	s_xor_b64 s[4:5], exec, -1
; %bb.3623:
	s_or_b64 exec, exec, s[8:9]
	s_and_b64 s[4:5], s[4:5], exec
	s_or_saveexec_b64 s[6:7], s[6:7]
	v_mov_b32_e32 v14, s10
	s_xor_b64 exec, exec, s[6:7]
	s_cbranch_execz .LBB16_1574
.LBB16_3624:
	v_mov_b32_e32 v14, 0
	v_cmp_ne_u16_sdwa s[8:9], v11, v14 src0_sel:BYTE_0 src1_sel:DWORD
	s_andn2_b64 s[4:5], s[4:5], exec
	s_and_b64 s[8:9], s[8:9], exec
	s_or_b64 s[4:5], s[4:5], s[8:9]
	s_or_b64 exec, exec, s[6:7]
	s_and_saveexec_b64 s[6:7], s[4:5]
	s_cbranch_execnz .LBB16_1575
	s_branch .LBB16_1576
.LBB16_3625:
	s_movk_i32 s4, 0x80
	v_cmp_eq_u16_sdwa s[12:13], v14, s4 src0_sel:BYTE_0 src1_sel:DWORD
	s_mov_b64 s[4:5], -1
                                        ; implicit-def: $sgpr10
	s_and_saveexec_b64 s[8:9], s[12:13]
; %bb.3626:
	s_mov_b32 s10, 0x7f800001
	s_xor_b64 s[4:5], exec, -1
; %bb.3627:
	s_or_b64 exec, exec, s[8:9]
	s_and_b64 s[4:5], s[4:5], exec
	s_or_saveexec_b64 s[6:7], s[6:7]
	v_mov_b32_e32 v10, s10
	s_xor_b64 exec, exec, s[6:7]
	s_cbranch_execz .LBB16_1578
.LBB16_3628:
	v_mov_b32_e32 v10, 0
	v_cmp_ne_u16_sdwa s[8:9], v14, v10 src0_sel:BYTE_0 src1_sel:DWORD
	s_andn2_b64 s[4:5], s[4:5], exec
	s_and_b64 s[8:9], s[8:9], exec
	s_or_b64 s[4:5], s[4:5], s[8:9]
	s_or_b64 exec, exec, s[6:7]
	s_and_saveexec_b64 s[6:7], s[4:5]
	s_cbranch_execnz .LBB16_1579
	s_branch .LBB16_1580
.LBB16_3629:
	s_movk_i32 s4, 0x80
	v_cmp_eq_u16_sdwa s[12:13], v14, s4 src0_sel:BYTE_0 src1_sel:DWORD
	s_mov_b64 s[4:5], -1
                                        ; implicit-def: $sgpr10
	s_and_saveexec_b64 s[8:9], s[12:13]
; %bb.3630:
	s_mov_b32 s10, 0x7f800001
	s_xor_b64 s[4:5], exec, -1
; %bb.3631:
	s_or_b64 exec, exec, s[8:9]
	s_and_b64 s[4:5], s[4:5], exec
	s_or_saveexec_b64 s[6:7], s[6:7]
	v_mov_b32_e32 v20, s10
	s_xor_b64 exec, exec, s[6:7]
	s_cbranch_execz .LBB16_1582
.LBB16_3632:
	v_mov_b32_e32 v20, 0
	v_cmp_ne_u16_sdwa s[8:9], v14, v20 src0_sel:BYTE_0 src1_sel:DWORD
	s_andn2_b64 s[4:5], s[4:5], exec
	s_and_b64 s[8:9], s[8:9], exec
	s_or_b64 s[4:5], s[4:5], s[8:9]
	s_or_b64 exec, exec, s[6:7]
	s_and_saveexec_b64 s[6:7], s[4:5]
	s_cbranch_execnz .LBB16_1583
	s_branch .LBB16_1584
.LBB16_3633:
	s_movk_i32 s4, 0x80
	v_cmp_eq_u16_e32 vcc, s4, v14
	s_mov_b64 s[4:5], -1
                                        ; implicit-def: $sgpr10
	s_and_saveexec_b64 s[8:9], vcc
; %bb.3634:
	s_mov_b32 s10, 0x7f800001
	s_xor_b64 s[4:5], exec, -1
; %bb.3635:
	s_or_b64 exec, exec, s[8:9]
	s_and_b64 s[4:5], s[4:5], exec
                                        ; implicit-def: $vgpr14
	s_or_saveexec_b64 s[6:7], s[6:7]
	v_mov_b32_e32 v10, s10
	s_xor_b64 exec, exec, s[6:7]
	s_cbranch_execz .LBB16_1586
.LBB16_3636:
	v_cmp_ne_u16_e32 vcc, 0, v14
	s_andn2_b64 s[4:5], s[4:5], exec
	s_and_b64 s[8:9], vcc, exec
	v_mov_b32_e32 v10, 0
	s_or_b64 s[4:5], s[4:5], s[8:9]
	s_or_b64 exec, exec, s[6:7]
	s_and_saveexec_b64 s[6:7], s[4:5]
	s_cbranch_execnz .LBB16_1587
	s_branch .LBB16_1588
.LBB16_3637:
	s_movk_i32 s4, 0x80
	v_cmp_eq_u16_e32 vcc, s4, v14
	s_mov_b64 s[4:5], -1
                                        ; implicit-def: $sgpr10
	s_and_saveexec_b64 s[8:9], vcc
; %bb.3638:
	s_mov_b32 s10, 0x7f800001
	s_xor_b64 s[4:5], exec, -1
; %bb.3639:
	s_or_b64 exec, exec, s[8:9]
	s_and_b64 s[4:5], s[4:5], exec
                                        ; implicit-def: $vgpr14
	s_or_saveexec_b64 s[6:7], s[6:7]
	v_mov_b32_e32 v20, s10
	s_xor_b64 exec, exec, s[6:7]
	s_cbranch_execz .LBB16_1590
.LBB16_3640:
	v_cmp_ne_u16_e32 vcc, 0, v14
	s_andn2_b64 s[4:5], s[4:5], exec
	s_and_b64 s[8:9], vcc, exec
	v_mov_b32_e32 v20, 0
	s_or_b64 s[4:5], s[4:5], s[8:9]
	s_or_b64 exec, exec, s[6:7]
	s_and_saveexec_b64 s[6:7], s[4:5]
	s_cbranch_execnz .LBB16_1591
	s_branch .LBB16_1592
.LBB16_3641:
	s_movk_i32 s4, 0x80
	v_cmp_eq_u16_sdwa s[12:13], v15, s4 src0_sel:BYTE_3 src1_sel:DWORD
	s_mov_b64 s[4:5], -1
                                        ; implicit-def: $sgpr10
	s_and_saveexec_b64 s[8:9], s[12:13]
; %bb.3642:
	s_mov_b32 s10, 0x7f800001
	s_xor_b64 s[4:5], exec, -1
; %bb.3643:
	s_or_b64 exec, exec, s[8:9]
	s_and_b64 s[4:5], s[4:5], exec
	s_or_saveexec_b64 s[6:7], s[6:7]
	v_mov_b32_e32 v10, s10
	s_xor_b64 exec, exec, s[6:7]
	s_cbranch_execz .LBB16_1594
.LBB16_3644:
	v_mov_b32_e32 v10, 0
	v_cmp_ne_u16_sdwa s[8:9], v15, v10 src0_sel:BYTE_3 src1_sel:DWORD
	s_andn2_b64 s[4:5], s[4:5], exec
	s_and_b64 s[8:9], s[8:9], exec
	s_or_b64 s[4:5], s[4:5], s[8:9]
	s_or_b64 exec, exec, s[6:7]
	s_and_saveexec_b64 s[6:7], s[4:5]
	s_cbranch_execnz .LBB16_1595
	s_branch .LBB16_1596
.LBB16_3645:
	s_movk_i32 s4, 0x80
	v_cmp_eq_u16_sdwa s[12:13], v11, s4 src0_sel:BYTE_3 src1_sel:DWORD
	s_mov_b64 s[4:5], -1
                                        ; implicit-def: $sgpr10
	s_and_saveexec_b64 s[8:9], s[12:13]
; %bb.3646:
	s_mov_b32 s10, 0x7f800001
	s_xor_b64 s[4:5], exec, -1
; %bb.3647:
	s_or_b64 exec, exec, s[8:9]
	s_and_b64 s[4:5], s[4:5], exec
	s_or_saveexec_b64 s[6:7], s[6:7]
	v_mov_b32_e32 v14, s10
	s_xor_b64 exec, exec, s[6:7]
	s_cbranch_execz .LBB16_1598
.LBB16_3648:
	v_mov_b32_e32 v14, 0
	v_cmp_ne_u16_sdwa s[8:9], v11, v14 src0_sel:BYTE_3 src1_sel:DWORD
	s_andn2_b64 s[4:5], s[4:5], exec
	s_and_b64 s[8:9], s[8:9], exec
	s_or_b64 s[4:5], s[4:5], s[8:9]
	s_or_b64 exec, exec, s[6:7]
	s_and_saveexec_b64 s[6:7], s[4:5]
	s_cbranch_execnz .LBB16_1599
	s_branch .LBB16_1600
.LBB16_3649:
	s_movk_i32 s4, 0x80
	v_cmp_eq_u16_sdwa s[12:13], v16, s4 src0_sel:BYTE_0 src1_sel:DWORD
	s_mov_b64 s[4:5], -1
                                        ; implicit-def: $sgpr10
	s_and_saveexec_b64 s[8:9], s[12:13]
; %bb.3650:
	s_mov_b32 s10, 0x7f800001
	s_xor_b64 s[4:5], exec, -1
; %bb.3651:
	s_or_b64 exec, exec, s[8:9]
	s_and_b64 s[4:5], s[4:5], exec
	s_or_saveexec_b64 s[6:7], s[6:7]
	v_mov_b32_e32 v10, s10
	s_xor_b64 exec, exec, s[6:7]
	s_cbranch_execz .LBB16_1602
.LBB16_3652:
	v_mov_b32_e32 v10, 0
	v_cmp_ne_u16_sdwa s[8:9], v16, v10 src0_sel:BYTE_0 src1_sel:DWORD
	s_andn2_b64 s[4:5], s[4:5], exec
	s_and_b64 s[8:9], s[8:9], exec
	s_or_b64 s[4:5], s[4:5], s[8:9]
	s_or_b64 exec, exec, s[6:7]
	s_and_saveexec_b64 s[6:7], s[4:5]
	s_cbranch_execnz .LBB16_1603
	s_branch .LBB16_1604
.LBB16_3653:
	s_movk_i32 s4, 0x80
	v_cmp_eq_u16_sdwa s[12:13], v12, s4 src0_sel:BYTE_0 src1_sel:DWORD
	s_mov_b64 s[4:5], -1
                                        ; implicit-def: $sgpr10
	s_and_saveexec_b64 s[8:9], s[12:13]
; %bb.3654:
	s_mov_b32 s10, 0x7f800001
	s_xor_b64 s[4:5], exec, -1
; %bb.3655:
	s_or_b64 exec, exec, s[8:9]
	s_and_b64 s[4:5], s[4:5], exec
	s_or_saveexec_b64 s[6:7], s[6:7]
	v_mov_b32_e32 v11, s10
	s_xor_b64 exec, exec, s[6:7]
	s_cbranch_execz .LBB16_1606
.LBB16_3656:
	v_mov_b32_e32 v11, 0
	v_cmp_ne_u16_sdwa s[8:9], v12, v11 src0_sel:BYTE_0 src1_sel:DWORD
	s_andn2_b64 s[4:5], s[4:5], exec
	s_and_b64 s[8:9], s[8:9], exec
	s_or_b64 s[4:5], s[4:5], s[8:9]
	s_or_b64 exec, exec, s[6:7]
	s_and_saveexec_b64 s[6:7], s[4:5]
	s_cbranch_execnz .LBB16_1607
	s_branch .LBB16_1608
.LBB16_3657:
	s_movk_i32 s4, 0x80
	v_cmp_eq_u16_sdwa s[12:13], v11, s4 src0_sel:BYTE_0 src1_sel:DWORD
	s_mov_b64 s[4:5], -1
                                        ; implicit-def: $sgpr10
	s_and_saveexec_b64 s[8:9], s[12:13]
; %bb.3658:
	s_mov_b32 s10, 0x7f800001
	s_xor_b64 s[4:5], exec, -1
; %bb.3659:
	s_or_b64 exec, exec, s[8:9]
	s_and_b64 s[4:5], s[4:5], exec
	s_or_saveexec_b64 s[6:7], s[6:7]
	v_mov_b32_e32 v10, s10
	s_xor_b64 exec, exec, s[6:7]
	s_cbranch_execz .LBB16_1610
.LBB16_3660:
	v_mov_b32_e32 v10, 0
	v_cmp_ne_u16_sdwa s[8:9], v11, v10 src0_sel:BYTE_0 src1_sel:DWORD
	s_andn2_b64 s[4:5], s[4:5], exec
	s_and_b64 s[8:9], s[8:9], exec
	s_or_b64 s[4:5], s[4:5], s[8:9]
	s_or_b64 exec, exec, s[6:7]
	s_and_saveexec_b64 s[6:7], s[4:5]
	s_cbranch_execnz .LBB16_1611
	s_branch .LBB16_1612
.LBB16_3661:
	s_movk_i32 s4, 0x80
	v_cmp_eq_u16_sdwa s[12:13], v11, s4 src0_sel:BYTE_0 src1_sel:DWORD
	s_mov_b64 s[4:5], -1
                                        ; implicit-def: $sgpr10
	s_and_saveexec_b64 s[8:9], s[12:13]
; %bb.3662:
	s_mov_b32 s10, 0x7f800001
	s_xor_b64 s[4:5], exec, -1
; %bb.3663:
	s_or_b64 exec, exec, s[8:9]
	s_and_b64 s[4:5], s[4:5], exec
	s_or_saveexec_b64 s[6:7], s[6:7]
	v_mov_b32_e32 v14, s10
	s_xor_b64 exec, exec, s[6:7]
	s_cbranch_execz .LBB16_1614
.LBB16_3664:
	v_mov_b32_e32 v14, 0
	v_cmp_ne_u16_sdwa s[8:9], v11, v14 src0_sel:BYTE_0 src1_sel:DWORD
	s_andn2_b64 s[4:5], s[4:5], exec
	s_and_b64 s[8:9], s[8:9], exec
	s_or_b64 s[4:5], s[4:5], s[8:9]
	s_or_b64 exec, exec, s[6:7]
	s_and_saveexec_b64 s[6:7], s[4:5]
	s_cbranch_execnz .LBB16_1615
	s_branch .LBB16_1616
.LBB16_3665:
	s_movk_i32 s4, 0x80
	v_cmp_eq_u16_e32 vcc, s4, v11
	s_mov_b64 s[4:5], -1
                                        ; implicit-def: $sgpr10
	s_and_saveexec_b64 s[8:9], vcc
; %bb.3666:
	s_mov_b32 s10, 0x7f800001
	s_xor_b64 s[4:5], exec, -1
; %bb.3667:
	s_or_b64 exec, exec, s[8:9]
	s_and_b64 s[4:5], s[4:5], exec
                                        ; implicit-def: $vgpr11
	s_or_saveexec_b64 s[6:7], s[6:7]
	v_mov_b32_e32 v10, s10
	s_xor_b64 exec, exec, s[6:7]
	s_cbranch_execz .LBB16_1618
.LBB16_3668:
	v_cmp_ne_u16_e32 vcc, 0, v11
	s_andn2_b64 s[4:5], s[4:5], exec
	s_and_b64 s[8:9], vcc, exec
	v_mov_b32_e32 v10, 0
	s_or_b64 s[4:5], s[4:5], s[8:9]
	s_or_b64 exec, exec, s[6:7]
	s_and_saveexec_b64 s[6:7], s[4:5]
	s_cbranch_execnz .LBB16_1619
	s_branch .LBB16_1620
.LBB16_3669:
	s_movk_i32 s4, 0x80
	v_cmp_eq_u16_e32 vcc, s4, v11
	s_mov_b64 s[4:5], -1
                                        ; implicit-def: $sgpr10
	s_and_saveexec_b64 s[8:9], vcc
; %bb.3670:
	s_mov_b32 s10, 0x7f800001
	s_xor_b64 s[4:5], exec, -1
; %bb.3671:
	s_or_b64 exec, exec, s[8:9]
	s_and_b64 s[4:5], s[4:5], exec
                                        ; implicit-def: $vgpr11
	s_or_saveexec_b64 s[6:7], s[6:7]
	v_mov_b32_e32 v14, s10
	s_xor_b64 exec, exec, s[6:7]
	s_cbranch_execz .LBB16_1622
.LBB16_3672:
	v_cmp_ne_u16_e32 vcc, 0, v11
	s_andn2_b64 s[4:5], s[4:5], exec
	s_and_b64 s[8:9], vcc, exec
	v_mov_b32_e32 v14, 0
	s_or_b64 s[4:5], s[4:5], s[8:9]
	s_or_b64 exec, exec, s[6:7]
	s_and_saveexec_b64 s[6:7], s[4:5]
	s_cbranch_execnz .LBB16_1623
	s_branch .LBB16_1624
.LBB16_3673:
	s_movk_i32 s4, 0x80
	v_cmp_eq_u16_sdwa s[12:13], v16, s4 src0_sel:BYTE_3 src1_sel:DWORD
	s_mov_b64 s[4:5], -1
                                        ; implicit-def: $sgpr10
	s_and_saveexec_b64 s[8:9], s[12:13]
; %bb.3674:
	s_mov_b32 s10, 0x7f800001
	s_xor_b64 s[4:5], exec, -1
; %bb.3675:
	s_or_b64 exec, exec, s[8:9]
	s_and_b64 s[4:5], s[4:5], exec
	s_or_saveexec_b64 s[6:7], s[6:7]
	v_mov_b32_e32 v10, s10
	s_xor_b64 exec, exec, s[6:7]
	s_cbranch_execz .LBB16_1626
.LBB16_3676:
	v_mov_b32_e32 v10, 0
	v_cmp_ne_u16_sdwa s[8:9], v16, v10 src0_sel:BYTE_3 src1_sel:DWORD
	s_andn2_b64 s[4:5], s[4:5], exec
	s_and_b64 s[8:9], s[8:9], exec
	s_or_b64 s[4:5], s[4:5], s[8:9]
	s_or_b64 exec, exec, s[6:7]
	s_and_saveexec_b64 s[6:7], s[4:5]
	s_cbranch_execnz .LBB16_1627
	s_branch .LBB16_1628
.LBB16_3677:
	s_movk_i32 s4, 0x80
	v_cmp_eq_u16_sdwa s[12:13], v12, s4 src0_sel:BYTE_3 src1_sel:DWORD
	s_mov_b64 s[4:5], -1
                                        ; implicit-def: $sgpr10
	s_and_saveexec_b64 s[8:9], s[12:13]
; %bb.3678:
	s_mov_b32 s10, 0x7f800001
	s_xor_b64 s[4:5], exec, -1
; %bb.3679:
	s_or_b64 exec, exec, s[8:9]
	s_and_b64 s[4:5], s[4:5], exec
	s_or_saveexec_b64 s[6:7], s[6:7]
	v_mov_b32_e32 v11, s10
	s_xor_b64 exec, exec, s[6:7]
	s_cbranch_execz .LBB16_1630
.LBB16_3680:
	v_mov_b32_e32 v11, 0
	v_cmp_ne_u16_sdwa s[8:9], v12, v11 src0_sel:BYTE_3 src1_sel:DWORD
	s_andn2_b64 s[4:5], s[4:5], exec
	s_and_b64 s[8:9], s[8:9], exec
	s_or_b64 s[4:5], s[4:5], s[8:9]
	s_or_b64 exec, exec, s[6:7]
	s_and_saveexec_b64 s[6:7], s[4:5]
	s_cbranch_execnz .LBB16_1631
	s_branch .LBB16_1632
.LBB16_3681:
	s_movk_i32 s4, 0x80
	v_cmp_eq_u16_sdwa s[12:13], v17, s4 src0_sel:BYTE_0 src1_sel:DWORD
	s_mov_b64 s[4:5], -1
                                        ; implicit-def: $sgpr10
	s_and_saveexec_b64 s[8:9], s[12:13]
; %bb.3682:
	s_mov_b32 s10, 0x7f800001
	s_xor_b64 s[4:5], exec, -1
; %bb.3683:
	s_or_b64 exec, exec, s[8:9]
	s_and_b64 s[4:5], s[4:5], exec
	s_or_saveexec_b64 s[6:7], s[6:7]
	v_mov_b32_e32 v10, s10
	s_xor_b64 exec, exec, s[6:7]
	s_cbranch_execz .LBB16_1634
.LBB16_3684:
	v_mov_b32_e32 v10, 0
	v_cmp_ne_u16_sdwa s[8:9], v17, v10 src0_sel:BYTE_0 src1_sel:DWORD
	s_andn2_b64 s[4:5], s[4:5], exec
	s_and_b64 s[8:9], s[8:9], exec
	s_or_b64 s[4:5], s[4:5], s[8:9]
	s_or_b64 exec, exec, s[6:7]
	s_and_saveexec_b64 s[6:7], s[4:5]
	s_cbranch_execnz .LBB16_1635
	s_branch .LBB16_1636
.LBB16_3685:
	s_movk_i32 s4, 0x80
	v_cmp_eq_u16_sdwa s[12:13], v13, s4 src0_sel:BYTE_0 src1_sel:DWORD
	s_mov_b64 s[4:5], -1
                                        ; implicit-def: $sgpr10
	s_and_saveexec_b64 s[8:9], s[12:13]
; %bb.3686:
	s_mov_b32 s10, 0x7f800001
	s_xor_b64 s[4:5], exec, -1
; %bb.3687:
	s_or_b64 exec, exec, s[8:9]
	s_and_b64 s[4:5], s[4:5], exec
	s_or_saveexec_b64 s[6:7], s[6:7]
	v_mov_b32_e32 v11, s10
	s_xor_b64 exec, exec, s[6:7]
	s_cbranch_execz .LBB16_1638
.LBB16_3688:
	v_mov_b32_e32 v11, 0
	v_cmp_ne_u16_sdwa s[8:9], v13, v11 src0_sel:BYTE_0 src1_sel:DWORD
	s_andn2_b64 s[4:5], s[4:5], exec
	s_and_b64 s[8:9], s[8:9], exec
	s_or_b64 s[4:5], s[4:5], s[8:9]
	s_or_b64 exec, exec, s[6:7]
	s_and_saveexec_b64 s[6:7], s[4:5]
	s_cbranch_execnz .LBB16_1639
	s_branch .LBB16_1640
.LBB16_3689:
	s_movk_i32 s4, 0x80
	v_cmp_eq_u16_sdwa s[12:13], v11, s4 src0_sel:BYTE_0 src1_sel:DWORD
	s_mov_b64 s[4:5], -1
                                        ; implicit-def: $sgpr10
	s_and_saveexec_b64 s[8:9], s[12:13]
; %bb.3690:
	s_mov_b32 s10, 0x7f800001
	s_xor_b64 s[4:5], exec, -1
; %bb.3691:
	s_or_b64 exec, exec, s[8:9]
	s_and_b64 s[4:5], s[4:5], exec
	s_or_saveexec_b64 s[6:7], s[6:7]
	v_mov_b32_e32 v10, s10
	s_xor_b64 exec, exec, s[6:7]
	s_cbranch_execz .LBB16_1642
.LBB16_3692:
	v_mov_b32_e32 v10, 0
	v_cmp_ne_u16_sdwa s[8:9], v11, v10 src0_sel:BYTE_0 src1_sel:DWORD
	s_andn2_b64 s[4:5], s[4:5], exec
	s_and_b64 s[8:9], s[8:9], exec
	s_or_b64 s[4:5], s[4:5], s[8:9]
	s_or_b64 exec, exec, s[6:7]
	s_and_saveexec_b64 s[6:7], s[4:5]
	s_cbranch_execnz .LBB16_1643
	s_branch .LBB16_1644
.LBB16_3693:
	s_movk_i32 s4, 0x80
	v_cmp_eq_u16_sdwa s[12:13], v11, s4 src0_sel:BYTE_0 src1_sel:DWORD
	s_mov_b64 s[4:5], -1
                                        ; implicit-def: $sgpr10
	s_and_saveexec_b64 s[8:9], s[12:13]
; %bb.3694:
	s_mov_b32 s10, 0x7f800001
	s_xor_b64 s[4:5], exec, -1
; %bb.3695:
	s_or_b64 exec, exec, s[8:9]
	s_and_b64 s[4:5], s[4:5], exec
	s_or_saveexec_b64 s[6:7], s[6:7]
	v_mov_b32_e32 v12, s10
	s_xor_b64 exec, exec, s[6:7]
	s_cbranch_execz .LBB16_1646
.LBB16_3696:
	v_mov_b32_e32 v12, 0
	v_cmp_ne_u16_sdwa s[8:9], v11, v12 src0_sel:BYTE_0 src1_sel:DWORD
	s_andn2_b64 s[4:5], s[4:5], exec
	s_and_b64 s[8:9], s[8:9], exec
	s_or_b64 s[4:5], s[4:5], s[8:9]
	s_or_b64 exec, exec, s[6:7]
	s_and_saveexec_b64 s[6:7], s[4:5]
	s_cbranch_execnz .LBB16_1647
	s_branch .LBB16_1648
.LBB16_3697:
	s_movk_i32 s4, 0x80
	v_cmp_eq_u16_e32 vcc, s4, v11
	s_mov_b64 s[4:5], -1
                                        ; implicit-def: $sgpr10
	s_and_saveexec_b64 s[8:9], vcc
; %bb.3698:
	s_mov_b32 s10, 0x7f800001
	s_xor_b64 s[4:5], exec, -1
; %bb.3699:
	s_or_b64 exec, exec, s[8:9]
	s_and_b64 s[4:5], s[4:5], exec
                                        ; implicit-def: $vgpr11
	s_or_saveexec_b64 s[6:7], s[6:7]
	v_mov_b32_e32 v10, s10
	s_xor_b64 exec, exec, s[6:7]
	s_cbranch_execz .LBB16_1650
.LBB16_3700:
	v_cmp_ne_u16_e32 vcc, 0, v11
	s_andn2_b64 s[4:5], s[4:5], exec
	s_and_b64 s[8:9], vcc, exec
	v_mov_b32_e32 v10, 0
	s_or_b64 s[4:5], s[4:5], s[8:9]
	s_or_b64 exec, exec, s[6:7]
	s_and_saveexec_b64 s[6:7], s[4:5]
	s_cbranch_execnz .LBB16_1651
	s_branch .LBB16_1652
.LBB16_3701:
	s_movk_i32 s4, 0x80
	v_cmp_eq_u16_e32 vcc, s4, v11
	s_mov_b64 s[4:5], -1
                                        ; implicit-def: $sgpr10
	s_and_saveexec_b64 s[8:9], vcc
; %bb.3702:
	s_mov_b32 s10, 0x7f800001
	s_xor_b64 s[4:5], exec, -1
; %bb.3703:
	s_or_b64 exec, exec, s[8:9]
	s_and_b64 s[4:5], s[4:5], exec
                                        ; implicit-def: $vgpr11
	s_or_saveexec_b64 s[6:7], s[6:7]
	v_mov_b32_e32 v12, s10
	s_xor_b64 exec, exec, s[6:7]
	s_cbranch_execz .LBB16_1654
.LBB16_3704:
	v_cmp_ne_u16_e32 vcc, 0, v11
	s_andn2_b64 s[4:5], s[4:5], exec
	s_and_b64 s[8:9], vcc, exec
	v_mov_b32_e32 v12, 0
	s_or_b64 s[4:5], s[4:5], s[8:9]
	s_or_b64 exec, exec, s[6:7]
	s_and_saveexec_b64 s[6:7], s[4:5]
	s_cbranch_execnz .LBB16_1655
	s_branch .LBB16_1656
.LBB16_3705:
	s_movk_i32 s4, 0x80
	v_cmp_eq_u16_sdwa s[12:13], v17, s4 src0_sel:BYTE_3 src1_sel:DWORD
	s_mov_b64 s[4:5], -1
                                        ; implicit-def: $sgpr10
	s_and_saveexec_b64 s[8:9], s[12:13]
; %bb.3706:
	s_mov_b32 s10, 0x7f800001
	s_xor_b64 s[4:5], exec, -1
; %bb.3707:
	s_or_b64 exec, exec, s[8:9]
	s_and_b64 s[4:5], s[4:5], exec
	s_or_saveexec_b64 s[6:7], s[6:7]
	v_mov_b32_e32 v10, s10
	s_xor_b64 exec, exec, s[6:7]
	s_cbranch_execz .LBB16_1658
.LBB16_3708:
	v_mov_b32_e32 v10, 0
	v_cmp_ne_u16_sdwa s[8:9], v17, v10 src0_sel:BYTE_3 src1_sel:DWORD
	s_andn2_b64 s[4:5], s[4:5], exec
	s_and_b64 s[8:9], s[8:9], exec
	s_or_b64 s[4:5], s[4:5], s[8:9]
	s_or_b64 exec, exec, s[6:7]
	s_and_saveexec_b64 s[6:7], s[4:5]
	s_cbranch_execnz .LBB16_1659
	s_branch .LBB16_1660
.LBB16_3709:
	s_movk_i32 s4, 0x80
	v_cmp_eq_u16_sdwa s[12:13], v13, s4 src0_sel:BYTE_3 src1_sel:DWORD
	s_mov_b64 s[4:5], -1
                                        ; implicit-def: $sgpr10
	s_and_saveexec_b64 s[8:9], s[12:13]
; %bb.3710:
	s_mov_b32 s10, 0x7f800001
	s_xor_b64 s[4:5], exec, -1
; %bb.3711:
	s_or_b64 exec, exec, s[8:9]
	s_and_b64 s[4:5], s[4:5], exec
	s_or_saveexec_b64 s[6:7], s[6:7]
	v_mov_b32_e32 v11, s10
	s_xor_b64 exec, exec, s[6:7]
	s_cbranch_execz .LBB16_1662
.LBB16_3712:
	v_mov_b32_e32 v11, 0
	v_cmp_ne_u16_sdwa s[8:9], v13, v11 src0_sel:BYTE_3 src1_sel:DWORD
	s_andn2_b64 s[4:5], s[4:5], exec
	s_and_b64 s[8:9], s[8:9], exec
	s_or_b64 s[4:5], s[4:5], s[8:9]
	s_or_b64 exec, exec, s[6:7]
	s_and_saveexec_b64 s[6:7], s[4:5]
	s_cbranch_execnz .LBB16_1663
	s_branch .LBB16_1664
.LBB16_3713:
	s_movk_i32 s4, 0x80
	v_cmp_eq_u16_sdwa s[12:13], v6, s4 src0_sel:BYTE_0 src1_sel:DWORD
	s_mov_b64 s[4:5], -1
                                        ; implicit-def: $sgpr10
	s_and_saveexec_b64 s[8:9], s[12:13]
; %bb.3714:
	s_mov_b32 s10, 0x7f800001
	s_xor_b64 s[4:5], exec, -1
; %bb.3715:
	s_or_b64 exec, exec, s[8:9]
	s_and_b64 s[4:5], s[4:5], exec
	s_or_saveexec_b64 s[6:7], s[6:7]
	v_mov_b32_e32 v10, s10
	s_xor_b64 exec, exec, s[6:7]
	s_cbranch_execz .LBB16_1666
.LBB16_3716:
	v_mov_b32_e32 v10, 0
	v_cmp_ne_u16_sdwa s[8:9], v6, v10 src0_sel:BYTE_0 src1_sel:DWORD
	s_andn2_b64 s[4:5], s[4:5], exec
	s_and_b64 s[8:9], s[8:9], exec
	s_or_b64 s[4:5], s[4:5], s[8:9]
	s_or_b64 exec, exec, s[6:7]
	s_and_saveexec_b64 s[6:7], s[4:5]
	s_cbranch_execnz .LBB16_1667
	s_branch .LBB16_1668
.LBB16_3717:
	s_movk_i32 s4, 0x80
	v_cmp_eq_u16_sdwa s[12:13], v2, s4 src0_sel:BYTE_0 src1_sel:DWORD
	s_mov_b64 s[4:5], -1
                                        ; implicit-def: $sgpr10
	s_and_saveexec_b64 s[8:9], s[12:13]
; %bb.3718:
	s_mov_b32 s10, 0x7f800001
	s_xor_b64 s[4:5], exec, -1
; %bb.3719:
	s_or_b64 exec, exec, s[8:9]
	s_and_b64 s[4:5], s[4:5], exec
	s_or_saveexec_b64 s[6:7], s[6:7]
	v_mov_b32_e32 v11, s10
	s_xor_b64 exec, exec, s[6:7]
	s_cbranch_execz .LBB16_1670
.LBB16_3720:
	v_mov_b32_e32 v11, 0
	v_cmp_ne_u16_sdwa s[8:9], v2, v11 src0_sel:BYTE_0 src1_sel:DWORD
	s_andn2_b64 s[4:5], s[4:5], exec
	s_and_b64 s[8:9], s[8:9], exec
	s_or_b64 s[4:5], s[4:5], s[8:9]
	s_or_b64 exec, exec, s[6:7]
	s_and_saveexec_b64 s[6:7], s[4:5]
	s_cbranch_execnz .LBB16_1671
	s_branch .LBB16_1672
.LBB16_3721:
	s_movk_i32 s4, 0x80
	v_cmp_eq_u16_sdwa s[12:13], v11, s4 src0_sel:BYTE_0 src1_sel:DWORD
	s_mov_b64 s[4:5], -1
                                        ; implicit-def: $sgpr10
	s_and_saveexec_b64 s[8:9], s[12:13]
; %bb.3722:
	s_mov_b32 s10, 0x7f800001
	s_xor_b64 s[4:5], exec, -1
; %bb.3723:
	s_or_b64 exec, exec, s[8:9]
	s_and_b64 s[4:5], s[4:5], exec
	s_or_saveexec_b64 s[6:7], s[6:7]
	v_mov_b32_e32 v10, s10
	s_xor_b64 exec, exec, s[6:7]
	s_cbranch_execz .LBB16_1674
.LBB16_3724:
	v_mov_b32_e32 v10, 0
	v_cmp_ne_u16_sdwa s[8:9], v11, v10 src0_sel:BYTE_0 src1_sel:DWORD
	s_andn2_b64 s[4:5], s[4:5], exec
	s_and_b64 s[8:9], s[8:9], exec
	s_or_b64 s[4:5], s[4:5], s[8:9]
	s_or_b64 exec, exec, s[6:7]
	s_and_saveexec_b64 s[6:7], s[4:5]
	s_cbranch_execnz .LBB16_1675
	s_branch .LBB16_1676
.LBB16_3725:
	s_movk_i32 s4, 0x80
	v_cmp_eq_u16_sdwa s[12:13], v11, s4 src0_sel:BYTE_0 src1_sel:DWORD
	s_mov_b64 s[4:5], -1
                                        ; implicit-def: $sgpr10
	s_and_saveexec_b64 s[8:9], s[12:13]
; %bb.3726:
	s_mov_b32 s10, 0x7f800001
	s_xor_b64 s[4:5], exec, -1
; %bb.3727:
	s_or_b64 exec, exec, s[8:9]
	s_and_b64 s[4:5], s[4:5], exec
	s_or_saveexec_b64 s[6:7], s[6:7]
	v_mov_b32_e32 v12, s10
	s_xor_b64 exec, exec, s[6:7]
	s_cbranch_execz .LBB16_1678
.LBB16_3728:
	v_mov_b32_e32 v12, 0
	v_cmp_ne_u16_sdwa s[8:9], v11, v12 src0_sel:BYTE_0 src1_sel:DWORD
	s_andn2_b64 s[4:5], s[4:5], exec
	s_and_b64 s[8:9], s[8:9], exec
	s_or_b64 s[4:5], s[4:5], s[8:9]
	s_or_b64 exec, exec, s[6:7]
	s_and_saveexec_b64 s[6:7], s[4:5]
	s_cbranch_execnz .LBB16_1679
	s_branch .LBB16_1680
.LBB16_3729:
	s_movk_i32 s4, 0x80
	v_cmp_eq_u16_e32 vcc, s4, v11
	s_mov_b64 s[4:5], -1
                                        ; implicit-def: $sgpr10
	s_and_saveexec_b64 s[8:9], vcc
; %bb.3730:
	s_mov_b32 s10, 0x7f800001
	s_xor_b64 s[4:5], exec, -1
; %bb.3731:
	s_or_b64 exec, exec, s[8:9]
	s_and_b64 s[4:5], s[4:5], exec
                                        ; implicit-def: $vgpr11
	s_or_saveexec_b64 s[6:7], s[6:7]
	v_mov_b32_e32 v10, s10
	s_xor_b64 exec, exec, s[6:7]
	s_cbranch_execz .LBB16_1682
.LBB16_3732:
	v_cmp_ne_u16_e32 vcc, 0, v11
	s_andn2_b64 s[4:5], s[4:5], exec
	s_and_b64 s[8:9], vcc, exec
	v_mov_b32_e32 v10, 0
	s_or_b64 s[4:5], s[4:5], s[8:9]
	s_or_b64 exec, exec, s[6:7]
	s_and_saveexec_b64 s[6:7], s[4:5]
	s_cbranch_execnz .LBB16_1683
	s_branch .LBB16_1684
.LBB16_3733:
	s_movk_i32 s4, 0x80
	v_cmp_eq_u16_e32 vcc, s4, v11
	s_mov_b64 s[4:5], -1
                                        ; implicit-def: $sgpr10
	s_and_saveexec_b64 s[8:9], vcc
; %bb.3734:
	s_mov_b32 s10, 0x7f800001
	s_xor_b64 s[4:5], exec, -1
; %bb.3735:
	s_or_b64 exec, exec, s[8:9]
	s_and_b64 s[4:5], s[4:5], exec
                                        ; implicit-def: $vgpr11
	s_or_saveexec_b64 s[6:7], s[6:7]
	v_mov_b32_e32 v12, s10
	s_xor_b64 exec, exec, s[6:7]
	s_cbranch_execz .LBB16_1686
.LBB16_3736:
	v_cmp_ne_u16_e32 vcc, 0, v11
	s_andn2_b64 s[4:5], s[4:5], exec
	s_and_b64 s[8:9], vcc, exec
	v_mov_b32_e32 v12, 0
	s_or_b64 s[4:5], s[4:5], s[8:9]
	s_or_b64 exec, exec, s[6:7]
	s_and_saveexec_b64 s[6:7], s[4:5]
	s_cbranch_execnz .LBB16_1687
	s_branch .LBB16_1688
.LBB16_3737:
	s_movk_i32 s4, 0x80
	v_cmp_eq_u16_sdwa s[12:13], v6, s4 src0_sel:BYTE_3 src1_sel:DWORD
	s_mov_b64 s[4:5], -1
                                        ; implicit-def: $sgpr10
	s_and_saveexec_b64 s[8:9], s[12:13]
; %bb.3738:
	s_mov_b32 s10, 0x7f800001
	s_xor_b64 s[4:5], exec, -1
; %bb.3739:
	s_or_b64 exec, exec, s[8:9]
	s_and_b64 s[4:5], s[4:5], exec
	s_or_saveexec_b64 s[6:7], s[6:7]
	v_mov_b32_e32 v10, s10
	s_xor_b64 exec, exec, s[6:7]
	s_cbranch_execz .LBB16_1690
.LBB16_3740:
	v_mov_b32_e32 v10, 0
	v_cmp_ne_u16_sdwa s[8:9], v6, v10 src0_sel:BYTE_3 src1_sel:DWORD
	s_andn2_b64 s[4:5], s[4:5], exec
	s_and_b64 s[8:9], s[8:9], exec
	s_or_b64 s[4:5], s[4:5], s[8:9]
	s_or_b64 exec, exec, s[6:7]
	s_and_saveexec_b64 s[6:7], s[4:5]
	s_cbranch_execnz .LBB16_1691
	s_branch .LBB16_1692
.LBB16_3741:
	s_movk_i32 s4, 0x80
	v_cmp_eq_u16_sdwa s[12:13], v2, s4 src0_sel:BYTE_3 src1_sel:DWORD
	s_mov_b64 s[4:5], -1
                                        ; implicit-def: $sgpr10
	s_and_saveexec_b64 s[8:9], s[12:13]
; %bb.3742:
	s_mov_b32 s10, 0x7f800001
	s_xor_b64 s[4:5], exec, -1
; %bb.3743:
	s_or_b64 exec, exec, s[8:9]
	s_and_b64 s[4:5], s[4:5], exec
	s_or_saveexec_b64 s[6:7], s[6:7]
	v_mov_b32_e32 v6, s10
	s_xor_b64 exec, exec, s[6:7]
	s_cbranch_execz .LBB16_1694
.LBB16_3744:
	v_mov_b32_e32 v6, 0
	v_cmp_ne_u16_sdwa s[8:9], v2, v6 src0_sel:BYTE_3 src1_sel:DWORD
	s_andn2_b64 s[4:5], s[4:5], exec
	s_and_b64 s[8:9], s[8:9], exec
	s_or_b64 s[4:5], s[4:5], s[8:9]
	s_or_b64 exec, exec, s[6:7]
	s_and_saveexec_b64 s[6:7], s[4:5]
	s_cbranch_execnz .LBB16_1695
	s_branch .LBB16_1696
.LBB16_3745:
	s_movk_i32 s4, 0x80
	v_cmp_eq_u16_sdwa s[12:13], v7, s4 src0_sel:BYTE_0 src1_sel:DWORD
	s_mov_b64 s[4:5], -1
                                        ; implicit-def: $sgpr10
	s_and_saveexec_b64 s[8:9], s[12:13]
; %bb.3746:
	s_mov_b32 s10, 0x7f800001
	s_xor_b64 s[4:5], exec, -1
; %bb.3747:
	s_or_b64 exec, exec, s[8:9]
	s_and_b64 s[4:5], s[4:5], exec
	s_or_saveexec_b64 s[6:7], s[6:7]
	v_mov_b32_e32 v2, s10
	s_xor_b64 exec, exec, s[6:7]
	s_cbranch_execz .LBB16_1698
.LBB16_3748:
	v_mov_b32_e32 v2, 0
	v_cmp_ne_u16_sdwa s[8:9], v7, v2 src0_sel:BYTE_0 src1_sel:DWORD
	s_andn2_b64 s[4:5], s[4:5], exec
	s_and_b64 s[8:9], s[8:9], exec
	s_or_b64 s[4:5], s[4:5], s[8:9]
	s_or_b64 exec, exec, s[6:7]
	s_and_saveexec_b64 s[6:7], s[4:5]
	s_cbranch_execnz .LBB16_1699
	s_branch .LBB16_1700
.LBB16_3749:
	s_movk_i32 s4, 0x80
	v_cmp_eq_u16_sdwa s[12:13], v3, s4 src0_sel:BYTE_0 src1_sel:DWORD
	s_mov_b64 s[4:5], -1
                                        ; implicit-def: $sgpr10
	s_and_saveexec_b64 s[8:9], s[12:13]
; %bb.3750:
	s_mov_b32 s10, 0x7f800001
	s_xor_b64 s[4:5], exec, -1
; %bb.3751:
	s_or_b64 exec, exec, s[8:9]
	s_and_b64 s[4:5], s[4:5], exec
	s_or_saveexec_b64 s[6:7], s[6:7]
	v_mov_b32_e32 v6, s10
	s_xor_b64 exec, exec, s[6:7]
	s_cbranch_execz .LBB16_1702
.LBB16_3752:
	v_mov_b32_e32 v6, 0
	v_cmp_ne_u16_sdwa s[8:9], v3, v6 src0_sel:BYTE_0 src1_sel:DWORD
	s_andn2_b64 s[4:5], s[4:5], exec
	s_and_b64 s[8:9], s[8:9], exec
	s_or_b64 s[4:5], s[4:5], s[8:9]
	s_or_b64 exec, exec, s[6:7]
	s_and_saveexec_b64 s[6:7], s[4:5]
	s_cbranch_execnz .LBB16_1703
	s_branch .LBB16_1704
.LBB16_3753:
	s_movk_i32 s4, 0x80
	v_cmp_eq_u16_sdwa s[12:13], v6, s4 src0_sel:BYTE_0 src1_sel:DWORD
	s_mov_b64 s[4:5], -1
                                        ; implicit-def: $sgpr10
	s_and_saveexec_b64 s[8:9], s[12:13]
; %bb.3754:
	s_mov_b32 s10, 0x7f800001
	s_xor_b64 s[4:5], exec, -1
; %bb.3755:
	s_or_b64 exec, exec, s[8:9]
	s_and_b64 s[4:5], s[4:5], exec
	s_or_saveexec_b64 s[6:7], s[6:7]
	v_mov_b32_e32 v2, s10
	s_xor_b64 exec, exec, s[6:7]
	s_cbranch_execz .LBB16_1706
.LBB16_3756:
	v_mov_b32_e32 v2, 0
	v_cmp_ne_u16_sdwa s[8:9], v6, v2 src0_sel:BYTE_0 src1_sel:DWORD
	s_andn2_b64 s[4:5], s[4:5], exec
	s_and_b64 s[8:9], s[8:9], exec
	s_or_b64 s[4:5], s[4:5], s[8:9]
	s_or_b64 exec, exec, s[6:7]
	s_and_saveexec_b64 s[6:7], s[4:5]
	s_cbranch_execnz .LBB16_1707
	s_branch .LBB16_1708
.LBB16_3757:
	s_movk_i32 s4, 0x80
	v_cmp_eq_u16_sdwa s[12:13], v6, s4 src0_sel:BYTE_0 src1_sel:DWORD
	s_mov_b64 s[4:5], -1
                                        ; implicit-def: $sgpr10
	s_and_saveexec_b64 s[8:9], s[12:13]
; %bb.3758:
	s_mov_b32 s10, 0x7f800001
	s_xor_b64 s[4:5], exec, -1
; %bb.3759:
	s_or_b64 exec, exec, s[8:9]
	s_and_b64 s[4:5], s[4:5], exec
	s_or_saveexec_b64 s[6:7], s[6:7]
	v_mov_b32_e32 v10, s10
	s_xor_b64 exec, exec, s[6:7]
	s_cbranch_execz .LBB16_1710
.LBB16_3760:
	v_mov_b32_e32 v10, 0
	v_cmp_ne_u16_sdwa s[8:9], v6, v10 src0_sel:BYTE_0 src1_sel:DWORD
	s_andn2_b64 s[4:5], s[4:5], exec
	s_and_b64 s[8:9], s[8:9], exec
	s_or_b64 s[4:5], s[4:5], s[8:9]
	s_or_b64 exec, exec, s[6:7]
	s_and_saveexec_b64 s[6:7], s[4:5]
	s_cbranch_execnz .LBB16_1711
	s_branch .LBB16_1712
.LBB16_3761:
	s_movk_i32 s4, 0x80
	v_cmp_eq_u16_e32 vcc, s4, v6
	s_mov_b64 s[4:5], -1
                                        ; implicit-def: $sgpr10
	s_and_saveexec_b64 s[8:9], vcc
; %bb.3762:
	s_mov_b32 s10, 0x7f800001
	s_xor_b64 s[4:5], exec, -1
; %bb.3763:
	s_or_b64 exec, exec, s[8:9]
	s_and_b64 s[4:5], s[4:5], exec
                                        ; implicit-def: $vgpr6
	s_or_saveexec_b64 s[6:7], s[6:7]
	v_mov_b32_e32 v2, s10
	s_xor_b64 exec, exec, s[6:7]
	s_cbranch_execz .LBB16_1714
.LBB16_3764:
	v_cmp_ne_u16_e32 vcc, 0, v6
	s_andn2_b64 s[4:5], s[4:5], exec
	s_and_b64 s[8:9], vcc, exec
	v_mov_b32_e32 v2, 0
	s_or_b64 s[4:5], s[4:5], s[8:9]
	s_or_b64 exec, exec, s[6:7]
	s_and_saveexec_b64 s[6:7], s[4:5]
	s_cbranch_execnz .LBB16_1715
	s_branch .LBB16_1716
.LBB16_3765:
	s_movk_i32 s4, 0x80
	v_cmp_eq_u16_e32 vcc, s4, v6
	s_mov_b64 s[4:5], -1
                                        ; implicit-def: $sgpr10
	s_and_saveexec_b64 s[8:9], vcc
; %bb.3766:
	s_mov_b32 s10, 0x7f800001
	s_xor_b64 s[4:5], exec, -1
; %bb.3767:
	s_or_b64 exec, exec, s[8:9]
	s_and_b64 s[4:5], s[4:5], exec
                                        ; implicit-def: $vgpr6
	s_or_saveexec_b64 s[6:7], s[6:7]
	v_mov_b32_e32 v10, s10
	s_xor_b64 exec, exec, s[6:7]
	s_cbranch_execz .LBB16_1718
.LBB16_3768:
	v_cmp_ne_u16_e32 vcc, 0, v6
	s_andn2_b64 s[4:5], s[4:5], exec
	s_and_b64 s[8:9], vcc, exec
	v_mov_b32_e32 v10, 0
	s_or_b64 s[4:5], s[4:5], s[8:9]
	s_or_b64 exec, exec, s[6:7]
	s_and_saveexec_b64 s[6:7], s[4:5]
	s_cbranch_execnz .LBB16_1719
	s_branch .LBB16_1720
.LBB16_3769:
	s_movk_i32 s4, 0x80
	v_cmp_eq_u16_sdwa s[12:13], v7, s4 src0_sel:BYTE_3 src1_sel:DWORD
	s_mov_b64 s[4:5], -1
                                        ; implicit-def: $sgpr10
	s_and_saveexec_b64 s[8:9], s[12:13]
; %bb.3770:
	s_mov_b32 s10, 0x7f800001
	s_xor_b64 s[4:5], exec, -1
; %bb.3771:
	s_or_b64 exec, exec, s[8:9]
	s_and_b64 s[4:5], s[4:5], exec
	s_or_saveexec_b64 s[6:7], s[6:7]
	v_mov_b32_e32 v2, s10
	s_xor_b64 exec, exec, s[6:7]
	s_cbranch_execz .LBB16_1722
.LBB16_3772:
	v_mov_b32_e32 v2, 0
	v_cmp_ne_u16_sdwa s[8:9], v7, v2 src0_sel:BYTE_3 src1_sel:DWORD
	s_andn2_b64 s[4:5], s[4:5], exec
	s_and_b64 s[8:9], s[8:9], exec
	s_or_b64 s[4:5], s[4:5], s[8:9]
	s_or_b64 exec, exec, s[6:7]
	s_and_saveexec_b64 s[6:7], s[4:5]
	s_cbranch_execnz .LBB16_1723
	s_branch .LBB16_1724
.LBB16_3773:
	s_movk_i32 s4, 0x80
	v_cmp_eq_u16_sdwa s[12:13], v3, s4 src0_sel:BYTE_3 src1_sel:DWORD
	s_mov_b64 s[4:5], -1
                                        ; implicit-def: $sgpr10
	s_and_saveexec_b64 s[8:9], s[12:13]
; %bb.3774:
	s_mov_b32 s10, 0x7f800001
	s_xor_b64 s[4:5], exec, -1
; %bb.3775:
	s_or_b64 exec, exec, s[8:9]
	s_and_b64 s[4:5], s[4:5], exec
	s_or_saveexec_b64 s[6:7], s[6:7]
	v_mov_b32_e32 v6, s10
	s_xor_b64 exec, exec, s[6:7]
	s_cbranch_execz .LBB16_1726
.LBB16_3776:
	v_mov_b32_e32 v6, 0
	v_cmp_ne_u16_sdwa s[8:9], v3, v6 src0_sel:BYTE_3 src1_sel:DWORD
	s_andn2_b64 s[4:5], s[4:5], exec
	s_and_b64 s[8:9], s[8:9], exec
	s_or_b64 s[4:5], s[4:5], s[8:9]
	s_or_b64 exec, exec, s[6:7]
	s_and_saveexec_b64 s[6:7], s[4:5]
	s_cbranch_execnz .LBB16_1727
	s_branch .LBB16_1728
.LBB16_3777:
	s_movk_i32 s4, 0x80
	v_cmp_eq_u16_sdwa s[12:13], v8, s4 src0_sel:BYTE_0 src1_sel:DWORD
	s_mov_b64 s[4:5], -1
                                        ; implicit-def: $sgpr10
	s_and_saveexec_b64 s[8:9], s[12:13]
; %bb.3778:
	s_mov_b32 s10, 0x7f800001
	s_xor_b64 s[4:5], exec, -1
; %bb.3779:
	s_or_b64 exec, exec, s[8:9]
	s_and_b64 s[4:5], s[4:5], exec
	s_or_saveexec_b64 s[6:7], s[6:7]
	v_mov_b32_e32 v2, s10
	s_xor_b64 exec, exec, s[6:7]
	s_cbranch_execz .LBB16_1730
.LBB16_3780:
	v_mov_b32_e32 v2, 0
	v_cmp_ne_u16_sdwa s[8:9], v8, v2 src0_sel:BYTE_0 src1_sel:DWORD
	s_andn2_b64 s[4:5], s[4:5], exec
	s_and_b64 s[8:9], s[8:9], exec
	s_or_b64 s[4:5], s[4:5], s[8:9]
	s_or_b64 exec, exec, s[6:7]
	s_and_saveexec_b64 s[6:7], s[4:5]
	s_cbranch_execnz .LBB16_1731
	s_branch .LBB16_1732
.LBB16_3781:
	s_movk_i32 s4, 0x80
	v_cmp_eq_u16_sdwa s[12:13], v4, s4 src0_sel:BYTE_0 src1_sel:DWORD
	s_mov_b64 s[4:5], -1
                                        ; implicit-def: $sgpr10
	s_and_saveexec_b64 s[8:9], s[12:13]
; %bb.3782:
	s_mov_b32 s10, 0x7f800001
	s_xor_b64 s[4:5], exec, -1
; %bb.3783:
	s_or_b64 exec, exec, s[8:9]
	s_and_b64 s[4:5], s[4:5], exec
	s_or_saveexec_b64 s[6:7], s[6:7]
	v_mov_b32_e32 v3, s10
	s_xor_b64 exec, exec, s[6:7]
	s_cbranch_execz .LBB16_1734
.LBB16_3784:
	v_mov_b32_e32 v3, 0
	v_cmp_ne_u16_sdwa s[8:9], v4, v3 src0_sel:BYTE_0 src1_sel:DWORD
	s_andn2_b64 s[4:5], s[4:5], exec
	s_and_b64 s[8:9], s[8:9], exec
	s_or_b64 s[4:5], s[4:5], s[8:9]
	s_or_b64 exec, exec, s[6:7]
	s_and_saveexec_b64 s[6:7], s[4:5]
	s_cbranch_execnz .LBB16_1735
	s_branch .LBB16_1736
.LBB16_3785:
	s_movk_i32 s4, 0x80
	v_cmp_eq_u16_sdwa s[12:13], v3, s4 src0_sel:BYTE_0 src1_sel:DWORD
	s_mov_b64 s[4:5], -1
                                        ; implicit-def: $sgpr10
	s_and_saveexec_b64 s[8:9], s[12:13]
; %bb.3786:
	s_mov_b32 s10, 0x7f800001
	s_xor_b64 s[4:5], exec, -1
; %bb.3787:
	s_or_b64 exec, exec, s[8:9]
	s_and_b64 s[4:5], s[4:5], exec
	s_or_saveexec_b64 s[6:7], s[6:7]
	v_mov_b32_e32 v2, s10
	s_xor_b64 exec, exec, s[6:7]
	s_cbranch_execz .LBB16_1738
.LBB16_3788:
	v_mov_b32_e32 v2, 0
	v_cmp_ne_u16_sdwa s[8:9], v3, v2 src0_sel:BYTE_0 src1_sel:DWORD
	s_andn2_b64 s[4:5], s[4:5], exec
	s_and_b64 s[8:9], s[8:9], exec
	s_or_b64 s[4:5], s[4:5], s[8:9]
	s_or_b64 exec, exec, s[6:7]
	s_and_saveexec_b64 s[6:7], s[4:5]
	s_cbranch_execnz .LBB16_1739
	s_branch .LBB16_1740
.LBB16_3789:
	s_movk_i32 s4, 0x80
	v_cmp_eq_u16_sdwa s[12:13], v3, s4 src0_sel:BYTE_0 src1_sel:DWORD
	s_mov_b64 s[4:5], -1
                                        ; implicit-def: $sgpr10
	s_and_saveexec_b64 s[8:9], s[12:13]
; %bb.3790:
	s_mov_b32 s10, 0x7f800001
	s_xor_b64 s[4:5], exec, -1
; %bb.3791:
	s_or_b64 exec, exec, s[8:9]
	s_and_b64 s[4:5], s[4:5], exec
	s_or_saveexec_b64 s[6:7], s[6:7]
	v_mov_b32_e32 v6, s10
	s_xor_b64 exec, exec, s[6:7]
	s_cbranch_execz .LBB16_1742
.LBB16_3792:
	v_mov_b32_e32 v6, 0
	v_cmp_ne_u16_sdwa s[8:9], v3, v6 src0_sel:BYTE_0 src1_sel:DWORD
	s_andn2_b64 s[4:5], s[4:5], exec
	s_and_b64 s[8:9], s[8:9], exec
	s_or_b64 s[4:5], s[4:5], s[8:9]
	s_or_b64 exec, exec, s[6:7]
	s_and_saveexec_b64 s[6:7], s[4:5]
	s_cbranch_execnz .LBB16_1743
	s_branch .LBB16_1744
.LBB16_3793:
	s_movk_i32 s4, 0x80
	v_cmp_eq_u16_e32 vcc, s4, v3
	s_mov_b64 s[4:5], -1
                                        ; implicit-def: $sgpr10
	s_and_saveexec_b64 s[8:9], vcc
; %bb.3794:
	s_mov_b32 s10, 0x7f800001
	s_xor_b64 s[4:5], exec, -1
; %bb.3795:
	s_or_b64 exec, exec, s[8:9]
	s_and_b64 s[4:5], s[4:5], exec
                                        ; implicit-def: $vgpr3
	s_or_saveexec_b64 s[6:7], s[6:7]
	v_mov_b32_e32 v2, s10
	s_xor_b64 exec, exec, s[6:7]
	s_cbranch_execz .LBB16_1746
.LBB16_3796:
	v_cmp_ne_u16_e32 vcc, 0, v3
	s_andn2_b64 s[4:5], s[4:5], exec
	s_and_b64 s[8:9], vcc, exec
	v_mov_b32_e32 v2, 0
	s_or_b64 s[4:5], s[4:5], s[8:9]
	s_or_b64 exec, exec, s[6:7]
	s_and_saveexec_b64 s[6:7], s[4:5]
	s_cbranch_execnz .LBB16_1747
	s_branch .LBB16_1748
.LBB16_3797:
	s_movk_i32 s4, 0x80
	v_cmp_eq_u16_e32 vcc, s4, v3
	s_mov_b64 s[4:5], -1
                                        ; implicit-def: $sgpr10
	s_and_saveexec_b64 s[8:9], vcc
; %bb.3798:
	s_mov_b32 s10, 0x7f800001
	s_xor_b64 s[4:5], exec, -1
; %bb.3799:
	s_or_b64 exec, exec, s[8:9]
	s_and_b64 s[4:5], s[4:5], exec
                                        ; implicit-def: $vgpr3
	s_or_saveexec_b64 s[6:7], s[6:7]
	v_mov_b32_e32 v6, s10
	s_xor_b64 exec, exec, s[6:7]
	s_cbranch_execz .LBB16_1750
.LBB16_3800:
	v_cmp_ne_u16_e32 vcc, 0, v3
	s_andn2_b64 s[4:5], s[4:5], exec
	s_and_b64 s[8:9], vcc, exec
	v_mov_b32_e32 v6, 0
	s_or_b64 s[4:5], s[4:5], s[8:9]
	s_or_b64 exec, exec, s[6:7]
	s_and_saveexec_b64 s[6:7], s[4:5]
	s_cbranch_execnz .LBB16_1751
	s_branch .LBB16_1752
.LBB16_3801:
	s_movk_i32 s4, 0x80
	v_cmp_eq_u16_sdwa s[12:13], v8, s4 src0_sel:BYTE_3 src1_sel:DWORD
	s_mov_b64 s[4:5], -1
                                        ; implicit-def: $sgpr10
	s_and_saveexec_b64 s[8:9], s[12:13]
; %bb.3802:
	s_mov_b32 s10, 0x7f800001
	s_xor_b64 s[4:5], exec, -1
; %bb.3803:
	s_or_b64 exec, exec, s[8:9]
	s_and_b64 s[4:5], s[4:5], exec
	s_or_saveexec_b64 s[6:7], s[6:7]
	v_mov_b32_e32 v2, s10
	s_xor_b64 exec, exec, s[6:7]
	s_cbranch_execz .LBB16_1754
.LBB16_3804:
	v_mov_b32_e32 v2, 0
	v_cmp_ne_u16_sdwa s[8:9], v8, v2 src0_sel:BYTE_3 src1_sel:DWORD
	s_andn2_b64 s[4:5], s[4:5], exec
	s_and_b64 s[8:9], s[8:9], exec
	s_or_b64 s[4:5], s[4:5], s[8:9]
	s_or_b64 exec, exec, s[6:7]
	s_and_saveexec_b64 s[6:7], s[4:5]
	s_cbranch_execnz .LBB16_1755
	s_branch .LBB16_1756
.LBB16_3805:
	s_movk_i32 s4, 0x80
	v_cmp_eq_u16_sdwa s[12:13], v4, s4 src0_sel:BYTE_3 src1_sel:DWORD
	s_mov_b64 s[4:5], -1
                                        ; implicit-def: $sgpr10
	s_and_saveexec_b64 s[8:9], s[12:13]
; %bb.3806:
	s_mov_b32 s10, 0x7f800001
	s_xor_b64 s[4:5], exec, -1
; %bb.3807:
	s_or_b64 exec, exec, s[8:9]
	s_and_b64 s[4:5], s[4:5], exec
	s_or_saveexec_b64 s[6:7], s[6:7]
	v_mov_b32_e32 v3, s10
	s_xor_b64 exec, exec, s[6:7]
	s_cbranch_execz .LBB16_1758
.LBB16_3808:
	v_mov_b32_e32 v3, 0
	v_cmp_ne_u16_sdwa s[8:9], v4, v3 src0_sel:BYTE_3 src1_sel:DWORD
	s_andn2_b64 s[4:5], s[4:5], exec
	s_and_b64 s[8:9], s[8:9], exec
	s_or_b64 s[4:5], s[4:5], s[8:9]
	s_or_b64 exec, exec, s[6:7]
	s_and_saveexec_b64 s[6:7], s[4:5]
	s_cbranch_execnz .LBB16_1759
	s_branch .LBB16_1760
.LBB16_3809:
	s_movk_i32 s4, 0x80
	v_cmp_eq_u16_sdwa s[12:13], v9, s4 src0_sel:BYTE_0 src1_sel:DWORD
	s_mov_b64 s[4:5], -1
                                        ; implicit-def: $sgpr10
	s_and_saveexec_b64 s[8:9], s[12:13]
; %bb.3810:
	s_mov_b32 s10, 0x7f800001
	s_xor_b64 s[4:5], exec, -1
; %bb.3811:
	s_or_b64 exec, exec, s[8:9]
	s_and_b64 s[4:5], s[4:5], exec
	s_or_saveexec_b64 s[6:7], s[6:7]
	v_mov_b32_e32 v2, s10
	s_xor_b64 exec, exec, s[6:7]
	s_cbranch_execz .LBB16_1762
.LBB16_3812:
	v_mov_b32_e32 v2, 0
	v_cmp_ne_u16_sdwa s[8:9], v9, v2 src0_sel:BYTE_0 src1_sel:DWORD
	s_andn2_b64 s[4:5], s[4:5], exec
	s_and_b64 s[8:9], s[8:9], exec
	s_or_b64 s[4:5], s[4:5], s[8:9]
	s_or_b64 exec, exec, s[6:7]
	s_and_saveexec_b64 s[6:7], s[4:5]
	s_cbranch_execnz .LBB16_1763
	s_branch .LBB16_1764
.LBB16_3813:
	s_movk_i32 s4, 0x80
	v_cmp_eq_u16_sdwa s[12:13], v5, s4 src0_sel:BYTE_0 src1_sel:DWORD
	s_mov_b64 s[4:5], -1
                                        ; implicit-def: $sgpr10
	s_and_saveexec_b64 s[8:9], s[12:13]
; %bb.3814:
	s_mov_b32 s10, 0x7f800001
	s_xor_b64 s[4:5], exec, -1
; %bb.3815:
	s_or_b64 exec, exec, s[8:9]
	s_and_b64 s[4:5], s[4:5], exec
	s_or_saveexec_b64 s[6:7], s[6:7]
	v_mov_b32_e32 v3, s10
	s_xor_b64 exec, exec, s[6:7]
	s_cbranch_execz .LBB16_1766
.LBB16_3816:
	v_mov_b32_e32 v3, 0
	v_cmp_ne_u16_sdwa s[8:9], v5, v3 src0_sel:BYTE_0 src1_sel:DWORD
	s_andn2_b64 s[4:5], s[4:5], exec
	s_and_b64 s[8:9], s[8:9], exec
	s_or_b64 s[4:5], s[4:5], s[8:9]
	s_or_b64 exec, exec, s[6:7]
	s_and_saveexec_b64 s[6:7], s[4:5]
	s_cbranch_execnz .LBB16_1767
	s_branch .LBB16_1768
.LBB16_3817:
	s_movk_i32 s4, 0x80
	v_cmp_eq_u16_sdwa s[12:13], v3, s4 src0_sel:BYTE_0 src1_sel:DWORD
	s_mov_b64 s[4:5], -1
                                        ; implicit-def: $sgpr10
	s_and_saveexec_b64 s[8:9], s[12:13]
; %bb.3818:
	s_mov_b32 s10, 0x7f800001
	s_xor_b64 s[4:5], exec, -1
; %bb.3819:
	s_or_b64 exec, exec, s[8:9]
	s_and_b64 s[4:5], s[4:5], exec
	s_or_saveexec_b64 s[6:7], s[6:7]
	v_mov_b32_e32 v2, s10
	s_xor_b64 exec, exec, s[6:7]
	s_cbranch_execz .LBB16_1770
.LBB16_3820:
	v_mov_b32_e32 v2, 0
	v_cmp_ne_u16_sdwa s[8:9], v3, v2 src0_sel:BYTE_0 src1_sel:DWORD
	s_andn2_b64 s[4:5], s[4:5], exec
	s_and_b64 s[8:9], s[8:9], exec
	s_or_b64 s[4:5], s[4:5], s[8:9]
	s_or_b64 exec, exec, s[6:7]
	s_and_saveexec_b64 s[6:7], s[4:5]
	s_cbranch_execnz .LBB16_1771
	s_branch .LBB16_1772
.LBB16_3821:
	s_movk_i32 s4, 0x80
	v_cmp_eq_u16_sdwa s[12:13], v3, s4 src0_sel:BYTE_0 src1_sel:DWORD
	s_mov_b64 s[4:5], -1
                                        ; implicit-def: $sgpr10
	s_and_saveexec_b64 s[8:9], s[12:13]
; %bb.3822:
	s_mov_b32 s10, 0x7f800001
	s_xor_b64 s[4:5], exec, -1
; %bb.3823:
	s_or_b64 exec, exec, s[8:9]
	s_and_b64 s[4:5], s[4:5], exec
	s_or_saveexec_b64 s[6:7], s[6:7]
	v_mov_b32_e32 v4, s10
	s_xor_b64 exec, exec, s[6:7]
	s_cbranch_execz .LBB16_1774
.LBB16_3824:
	v_mov_b32_e32 v4, 0
	v_cmp_ne_u16_sdwa s[8:9], v3, v4 src0_sel:BYTE_0 src1_sel:DWORD
	s_andn2_b64 s[4:5], s[4:5], exec
	s_and_b64 s[8:9], s[8:9], exec
	s_or_b64 s[4:5], s[4:5], s[8:9]
	s_or_b64 exec, exec, s[6:7]
	s_and_saveexec_b64 s[6:7], s[4:5]
	s_cbranch_execnz .LBB16_1775
	s_branch .LBB16_1776
.LBB16_3825:
	s_movk_i32 s4, 0x80
	v_cmp_eq_u16_e32 vcc, s4, v3
	s_mov_b64 s[4:5], -1
                                        ; implicit-def: $sgpr10
	s_and_saveexec_b64 s[8:9], vcc
; %bb.3826:
	s_mov_b32 s10, 0x7f800001
	s_xor_b64 s[4:5], exec, -1
; %bb.3827:
	s_or_b64 exec, exec, s[8:9]
	s_and_b64 s[4:5], s[4:5], exec
                                        ; implicit-def: $vgpr3
	s_or_saveexec_b64 s[6:7], s[6:7]
	v_mov_b32_e32 v2, s10
	s_xor_b64 exec, exec, s[6:7]
	s_cbranch_execz .LBB16_1778
.LBB16_3828:
	v_cmp_ne_u16_e32 vcc, 0, v3
	s_andn2_b64 s[4:5], s[4:5], exec
	s_and_b64 s[8:9], vcc, exec
	v_mov_b32_e32 v2, 0
	s_or_b64 s[4:5], s[4:5], s[8:9]
	s_or_b64 exec, exec, s[6:7]
	s_and_saveexec_b64 s[6:7], s[4:5]
	s_cbranch_execnz .LBB16_1779
	s_branch .LBB16_1780
.LBB16_3829:
	s_movk_i32 s4, 0x80
	v_cmp_eq_u16_e32 vcc, s4, v3
	s_mov_b64 s[4:5], -1
                                        ; implicit-def: $sgpr10
	s_and_saveexec_b64 s[8:9], vcc
; %bb.3830:
	s_mov_b32 s10, 0x7f800001
	s_xor_b64 s[4:5], exec, -1
; %bb.3831:
	s_or_b64 exec, exec, s[8:9]
	s_and_b64 s[4:5], s[4:5], exec
                                        ; implicit-def: $vgpr3
	s_or_saveexec_b64 s[6:7], s[6:7]
	v_mov_b32_e32 v4, s10
	s_xor_b64 exec, exec, s[6:7]
	s_cbranch_execz .LBB16_1782
.LBB16_3832:
	v_cmp_ne_u16_e32 vcc, 0, v3
	s_andn2_b64 s[4:5], s[4:5], exec
	s_and_b64 s[8:9], vcc, exec
	v_mov_b32_e32 v4, 0
	s_or_b64 s[4:5], s[4:5], s[8:9]
	s_or_b64 exec, exec, s[6:7]
	s_and_saveexec_b64 s[6:7], s[4:5]
	s_cbranch_execnz .LBB16_1783
	s_branch .LBB16_1784
.LBB16_3833:
	s_movk_i32 s4, 0x80
	v_cmp_eq_u16_sdwa s[12:13], v9, s4 src0_sel:BYTE_3 src1_sel:DWORD
	s_mov_b64 s[4:5], -1
                                        ; implicit-def: $sgpr10
	s_and_saveexec_b64 s[8:9], s[12:13]
; %bb.3834:
	s_mov_b32 s10, 0x7f800001
	s_xor_b64 s[4:5], exec, -1
; %bb.3835:
	s_or_b64 exec, exec, s[8:9]
	s_and_b64 s[4:5], s[4:5], exec
	s_or_saveexec_b64 s[6:7], s[6:7]
	v_mov_b32_e32 v2, s10
	s_xor_b64 exec, exec, s[6:7]
	s_cbranch_execz .LBB16_1786
.LBB16_3836:
	v_mov_b32_e32 v2, 0
	v_cmp_ne_u16_sdwa s[8:9], v9, v2 src0_sel:BYTE_3 src1_sel:DWORD
	s_andn2_b64 s[4:5], s[4:5], exec
	s_and_b64 s[8:9], s[8:9], exec
	s_or_b64 s[4:5], s[4:5], s[8:9]
	s_or_b64 exec, exec, s[6:7]
	s_and_saveexec_b64 s[6:7], s[4:5]
	s_cbranch_execnz .LBB16_1787
	s_branch .LBB16_1788
.LBB16_3837:
	s_movk_i32 s4, 0x80
	v_cmp_eq_u16_sdwa s[12:13], v5, s4 src0_sel:BYTE_3 src1_sel:DWORD
	s_mov_b64 s[4:5], -1
                                        ; implicit-def: $sgpr10
	s_and_saveexec_b64 s[8:9], s[12:13]
; %bb.3838:
	s_mov_b32 s10, 0x7f800001
	s_xor_b64 s[4:5], exec, -1
; %bb.3839:
	s_or_b64 exec, exec, s[8:9]
	s_and_b64 s[4:5], s[4:5], exec
	s_or_saveexec_b64 s[6:7], s[6:7]
	v_mov_b32_e32 v3, s10
	s_xor_b64 exec, exec, s[6:7]
	s_cbranch_execz .LBB16_1790
.LBB16_3840:
	v_mov_b32_e32 v3, 0
	v_cmp_ne_u16_sdwa s[8:9], v5, v3 src0_sel:BYTE_3 src1_sel:DWORD
	s_andn2_b64 s[4:5], s[4:5], exec
	s_and_b64 s[8:9], s[8:9], exec
	s_or_b64 s[4:5], s[4:5], s[8:9]
	s_or_b64 exec, exec, s[6:7]
	s_and_saveexec_b64 s[6:7], s[4:5]
	s_cbranch_execnz .LBB16_1791
	s_branch .LBB16_1792
.LBB16_3841:
	s_movk_i32 s4, 0x80
	v_cmp_eq_u16_sdwa s[12:13], v12, s4 src0_sel:BYTE_0 src1_sel:DWORD
	s_mov_b64 s[4:5], -1
                                        ; implicit-def: $sgpr10
	s_and_saveexec_b64 s[8:9], s[12:13]
; %bb.3842:
	s_mov_b32 s10, 0x7f800001
	s_xor_b64 s[4:5], exec, -1
; %bb.3843:
	s_or_b64 exec, exec, s[8:9]
	s_and_b64 s[4:5], s[4:5], exec
	s_or_saveexec_b64 s[6:7], s[6:7]
	v_mov_b32_e32 v18, s10
	s_xor_b64 exec, exec, s[6:7]
	s_cbranch_execz .LBB16_1794
.LBB16_3844:
	v_mov_b32_e32 v18, 0
	v_cmp_ne_u16_sdwa s[8:9], v12, v18 src0_sel:BYTE_0 src1_sel:DWORD
	s_andn2_b64 s[4:5], s[4:5], exec
	s_and_b64 s[8:9], s[8:9], exec
	s_or_b64 s[4:5], s[4:5], s[8:9]
	s_or_b64 exec, exec, s[6:7]
	s_and_saveexec_b64 s[6:7], s[4:5]
	s_cbranch_execnz .LBB16_1795
	s_branch .LBB16_1796
.LBB16_3845:
	s_movk_i32 s4, 0x80
	v_cmp_eq_u16_sdwa s[12:13], v8, s4 src0_sel:BYTE_0 src1_sel:DWORD
	s_mov_b64 s[4:5], -1
                                        ; implicit-def: $sgpr10
	s_and_saveexec_b64 s[8:9], s[12:13]
; %bb.3846:
	s_mov_b32 s10, 0x7f800001
	s_xor_b64 s[4:5], exec, -1
; %bb.3847:
	s_or_b64 exec, exec, s[8:9]
	s_and_b64 s[4:5], s[4:5], exec
	s_or_saveexec_b64 s[6:7], s[6:7]
	v_mov_b32_e32 v19, s10
	s_xor_b64 exec, exec, s[6:7]
	s_cbranch_execz .LBB16_1798
.LBB16_3848:
	v_mov_b32_e32 v19, 0
	v_cmp_ne_u16_sdwa s[8:9], v8, v19 src0_sel:BYTE_0 src1_sel:DWORD
	s_andn2_b64 s[4:5], s[4:5], exec
	s_and_b64 s[8:9], s[8:9], exec
	s_or_b64 s[4:5], s[4:5], s[8:9]
	s_or_b64 exec, exec, s[6:7]
	s_and_saveexec_b64 s[6:7], s[4:5]
	s_cbranch_execnz .LBB16_1799
	s_branch .LBB16_1800
.LBB16_3849:
	s_movk_i32 s4, 0x80
	v_cmp_eq_u16_sdwa s[12:13], v19, s4 src0_sel:BYTE_0 src1_sel:DWORD
	s_mov_b64 s[4:5], -1
                                        ; implicit-def: $sgpr10
	s_and_saveexec_b64 s[8:9], s[12:13]
; %bb.3850:
	s_mov_b32 s10, 0x7f800001
	s_xor_b64 s[4:5], exec, -1
; %bb.3851:
	s_or_b64 exec, exec, s[8:9]
	s_and_b64 s[4:5], s[4:5], exec
	s_or_saveexec_b64 s[6:7], s[6:7]
	v_mov_b32_e32 v18, s10
	s_xor_b64 exec, exec, s[6:7]
	s_cbranch_execz .LBB16_1802
.LBB16_3852:
	v_mov_b32_e32 v18, 0
	v_cmp_ne_u16_sdwa s[8:9], v19, v18 src0_sel:BYTE_0 src1_sel:DWORD
	s_andn2_b64 s[4:5], s[4:5], exec
	s_and_b64 s[8:9], s[8:9], exec
	s_or_b64 s[4:5], s[4:5], s[8:9]
	s_or_b64 exec, exec, s[6:7]
	s_and_saveexec_b64 s[6:7], s[4:5]
	s_cbranch_execnz .LBB16_1803
	s_branch .LBB16_1804
.LBB16_3853:
	s_movk_i32 s4, 0x80
	v_cmp_eq_u16_sdwa s[12:13], v19, s4 src0_sel:BYTE_0 src1_sel:DWORD
	s_mov_b64 s[4:5], -1
                                        ; implicit-def: $sgpr10
	s_and_saveexec_b64 s[8:9], s[12:13]
; %bb.3854:
	s_mov_b32 s10, 0x7f800001
	s_xor_b64 s[4:5], exec, -1
; %bb.3855:
	s_or_b64 exec, exec, s[8:9]
	s_and_b64 s[4:5], s[4:5], exec
	s_or_saveexec_b64 s[6:7], s[6:7]
	v_mov_b32_e32 v20, s10
	s_xor_b64 exec, exec, s[6:7]
	s_cbranch_execz .LBB16_1806
.LBB16_3856:
	v_mov_b32_e32 v20, 0
	v_cmp_ne_u16_sdwa s[8:9], v19, v20 src0_sel:BYTE_0 src1_sel:DWORD
	s_andn2_b64 s[4:5], s[4:5], exec
	s_and_b64 s[8:9], s[8:9], exec
	s_or_b64 s[4:5], s[4:5], s[8:9]
	s_or_b64 exec, exec, s[6:7]
	s_and_saveexec_b64 s[6:7], s[4:5]
	s_cbranch_execnz .LBB16_1807
	s_branch .LBB16_1808
.LBB16_3857:
	s_movk_i32 s4, 0x80
	v_cmp_eq_u16_e32 vcc, s4, v19
	s_mov_b64 s[4:5], -1
                                        ; implicit-def: $sgpr10
	s_and_saveexec_b64 s[8:9], vcc
; %bb.3858:
	s_mov_b32 s10, 0x7f800001
	s_xor_b64 s[4:5], exec, -1
; %bb.3859:
	s_or_b64 exec, exec, s[8:9]
	s_and_b64 s[4:5], s[4:5], exec
                                        ; implicit-def: $vgpr19
	s_or_saveexec_b64 s[6:7], s[6:7]
	v_mov_b32_e32 v18, s10
	s_xor_b64 exec, exec, s[6:7]
	s_cbranch_execz .LBB16_1810
.LBB16_3860:
	v_cmp_ne_u16_e32 vcc, 0, v19
	s_andn2_b64 s[4:5], s[4:5], exec
	s_and_b64 s[8:9], vcc, exec
	v_mov_b32_e32 v18, 0
	s_or_b64 s[4:5], s[4:5], s[8:9]
	s_or_b64 exec, exec, s[6:7]
	s_and_saveexec_b64 s[6:7], s[4:5]
	s_cbranch_execnz .LBB16_1811
	s_branch .LBB16_1812
.LBB16_3861:
	s_movk_i32 s4, 0x80
	v_cmp_eq_u16_e32 vcc, s4, v19
	s_mov_b64 s[4:5], -1
                                        ; implicit-def: $sgpr10
	s_and_saveexec_b64 s[8:9], vcc
; %bb.3862:
	s_mov_b32 s10, 0x7f800001
	s_xor_b64 s[4:5], exec, -1
; %bb.3863:
	s_or_b64 exec, exec, s[8:9]
	s_and_b64 s[4:5], s[4:5], exec
                                        ; implicit-def: $vgpr19
	s_or_saveexec_b64 s[6:7], s[6:7]
	v_mov_b32_e32 v20, s10
	s_xor_b64 exec, exec, s[6:7]
	s_cbranch_execz .LBB16_1814
.LBB16_3864:
	v_cmp_ne_u16_e32 vcc, 0, v19
	s_andn2_b64 s[4:5], s[4:5], exec
	s_and_b64 s[8:9], vcc, exec
	v_mov_b32_e32 v20, 0
	s_or_b64 s[4:5], s[4:5], s[8:9]
	s_or_b64 exec, exec, s[6:7]
	s_and_saveexec_b64 s[6:7], s[4:5]
	s_cbranch_execnz .LBB16_1815
	s_branch .LBB16_1816
.LBB16_3865:
	s_movk_i32 s4, 0x80
	v_cmp_eq_u16_sdwa s[12:13], v12, s4 src0_sel:BYTE_3 src1_sel:DWORD
	s_mov_b64 s[4:5], -1
                                        ; implicit-def: $sgpr10
	s_and_saveexec_b64 s[8:9], s[12:13]
; %bb.3866:
	s_mov_b32 s10, 0x7f800001
	s_xor_b64 s[4:5], exec, -1
; %bb.3867:
	s_or_b64 exec, exec, s[8:9]
	s_and_b64 s[4:5], s[4:5], exec
	s_or_saveexec_b64 s[6:7], s[6:7]
	v_mov_b32_e32 v18, s10
	s_xor_b64 exec, exec, s[6:7]
	s_cbranch_execz .LBB16_1818
.LBB16_3868:
	v_mov_b32_e32 v18, 0
	v_cmp_ne_u16_sdwa s[8:9], v12, v18 src0_sel:BYTE_3 src1_sel:DWORD
	s_andn2_b64 s[4:5], s[4:5], exec
	s_and_b64 s[8:9], s[8:9], exec
	s_or_b64 s[4:5], s[4:5], s[8:9]
	s_or_b64 exec, exec, s[6:7]
	s_and_saveexec_b64 s[6:7], s[4:5]
	s_cbranch_execnz .LBB16_1819
	s_branch .LBB16_1820
.LBB16_3869:
	s_movk_i32 s4, 0x80
	v_cmp_eq_u16_sdwa s[12:13], v8, s4 src0_sel:BYTE_3 src1_sel:DWORD
	s_mov_b64 s[4:5], -1
                                        ; implicit-def: $sgpr10
	s_and_saveexec_b64 s[8:9], s[12:13]
; %bb.3870:
	s_mov_b32 s10, 0x7f800001
	s_xor_b64 s[4:5], exec, -1
; %bb.3871:
	s_or_b64 exec, exec, s[8:9]
	s_and_b64 s[4:5], s[4:5], exec
	s_or_saveexec_b64 s[6:7], s[6:7]
	v_mov_b32_e32 v12, s10
	s_xor_b64 exec, exec, s[6:7]
	s_cbranch_execz .LBB16_1822
.LBB16_3872:
	v_mov_b32_e32 v12, 0
	v_cmp_ne_u16_sdwa s[8:9], v8, v12 src0_sel:BYTE_3 src1_sel:DWORD
	s_andn2_b64 s[4:5], s[4:5], exec
	s_and_b64 s[8:9], s[8:9], exec
	s_or_b64 s[4:5], s[4:5], s[8:9]
	s_or_b64 exec, exec, s[6:7]
	s_and_saveexec_b64 s[6:7], s[4:5]
	s_cbranch_execnz .LBB16_1823
	s_branch .LBB16_1824
.LBB16_3873:
	s_movk_i32 s4, 0x80
	v_cmp_eq_u16_sdwa s[12:13], v13, s4 src0_sel:BYTE_0 src1_sel:DWORD
	s_mov_b64 s[4:5], -1
                                        ; implicit-def: $sgpr10
	s_and_saveexec_b64 s[8:9], s[12:13]
; %bb.3874:
	s_mov_b32 s10, 0x7f800001
	s_xor_b64 s[4:5], exec, -1
; %bb.3875:
	s_or_b64 exec, exec, s[8:9]
	s_and_b64 s[4:5], s[4:5], exec
	s_or_saveexec_b64 s[6:7], s[6:7]
	v_mov_b32_e32 v8, s10
	s_xor_b64 exec, exec, s[6:7]
	s_cbranch_execz .LBB16_1826
.LBB16_3876:
	v_mov_b32_e32 v8, 0
	v_cmp_ne_u16_sdwa s[8:9], v13, v8 src0_sel:BYTE_0 src1_sel:DWORD
	s_andn2_b64 s[4:5], s[4:5], exec
	s_and_b64 s[8:9], s[8:9], exec
	s_or_b64 s[4:5], s[4:5], s[8:9]
	s_or_b64 exec, exec, s[6:7]
	s_and_saveexec_b64 s[6:7], s[4:5]
	s_cbranch_execnz .LBB16_1827
	s_branch .LBB16_1828
.LBB16_3877:
	s_movk_i32 s4, 0x80
	v_cmp_eq_u16_sdwa s[12:13], v9, s4 src0_sel:BYTE_0 src1_sel:DWORD
	s_mov_b64 s[4:5], -1
                                        ; implicit-def: $sgpr10
	s_and_saveexec_b64 s[8:9], s[12:13]
; %bb.3878:
	s_mov_b32 s10, 0x7f800001
	s_xor_b64 s[4:5], exec, -1
; %bb.3879:
	s_or_b64 exec, exec, s[8:9]
	s_and_b64 s[4:5], s[4:5], exec
	s_or_saveexec_b64 s[6:7], s[6:7]
	v_mov_b32_e32 v12, s10
	s_xor_b64 exec, exec, s[6:7]
	s_cbranch_execz .LBB16_1830
.LBB16_3880:
	v_mov_b32_e32 v12, 0
	v_cmp_ne_u16_sdwa s[8:9], v9, v12 src0_sel:BYTE_0 src1_sel:DWORD
	s_andn2_b64 s[4:5], s[4:5], exec
	s_and_b64 s[8:9], s[8:9], exec
	s_or_b64 s[4:5], s[4:5], s[8:9]
	s_or_b64 exec, exec, s[6:7]
	s_and_saveexec_b64 s[6:7], s[4:5]
	s_cbranch_execnz .LBB16_1831
	s_branch .LBB16_1832
.LBB16_3881:
	s_movk_i32 s4, 0x80
	v_cmp_eq_u16_sdwa s[12:13], v12, s4 src0_sel:BYTE_0 src1_sel:DWORD
	s_mov_b64 s[4:5], -1
                                        ; implicit-def: $sgpr10
	s_and_saveexec_b64 s[8:9], s[12:13]
; %bb.3882:
	s_mov_b32 s10, 0x7f800001
	s_xor_b64 s[4:5], exec, -1
; %bb.3883:
	s_or_b64 exec, exec, s[8:9]
	s_and_b64 s[4:5], s[4:5], exec
	s_or_saveexec_b64 s[6:7], s[6:7]
	v_mov_b32_e32 v8, s10
	s_xor_b64 exec, exec, s[6:7]
	s_cbranch_execz .LBB16_1834
.LBB16_3884:
	v_mov_b32_e32 v8, 0
	v_cmp_ne_u16_sdwa s[8:9], v12, v8 src0_sel:BYTE_0 src1_sel:DWORD
	s_andn2_b64 s[4:5], s[4:5], exec
	s_and_b64 s[8:9], s[8:9], exec
	s_or_b64 s[4:5], s[4:5], s[8:9]
	s_or_b64 exec, exec, s[6:7]
	s_and_saveexec_b64 s[6:7], s[4:5]
	s_cbranch_execnz .LBB16_1835
	s_branch .LBB16_1836
.LBB16_3885:
	s_movk_i32 s4, 0x80
	v_cmp_eq_u16_sdwa s[12:13], v12, s4 src0_sel:BYTE_0 src1_sel:DWORD
	s_mov_b64 s[4:5], -1
                                        ; implicit-def: $sgpr10
	s_and_saveexec_b64 s[8:9], s[12:13]
; %bb.3886:
	s_mov_b32 s10, 0x7f800001
	s_xor_b64 s[4:5], exec, -1
; %bb.3887:
	s_or_b64 exec, exec, s[8:9]
	s_and_b64 s[4:5], s[4:5], exec
	s_or_saveexec_b64 s[6:7], s[6:7]
	v_mov_b32_e32 v18, s10
	s_xor_b64 exec, exec, s[6:7]
	s_cbranch_execz .LBB16_1838
.LBB16_3888:
	v_mov_b32_e32 v18, 0
	v_cmp_ne_u16_sdwa s[8:9], v12, v18 src0_sel:BYTE_0 src1_sel:DWORD
	s_andn2_b64 s[4:5], s[4:5], exec
	s_and_b64 s[8:9], s[8:9], exec
	s_or_b64 s[4:5], s[4:5], s[8:9]
	s_or_b64 exec, exec, s[6:7]
	s_and_saveexec_b64 s[6:7], s[4:5]
	s_cbranch_execnz .LBB16_1839
	s_branch .LBB16_1840
.LBB16_3889:
	s_movk_i32 s4, 0x80
	v_cmp_eq_u16_e32 vcc, s4, v12
	s_mov_b64 s[4:5], -1
                                        ; implicit-def: $sgpr10
	s_and_saveexec_b64 s[8:9], vcc
; %bb.3890:
	s_mov_b32 s10, 0x7f800001
	s_xor_b64 s[4:5], exec, -1
; %bb.3891:
	s_or_b64 exec, exec, s[8:9]
	s_and_b64 s[4:5], s[4:5], exec
                                        ; implicit-def: $vgpr12
	s_or_saveexec_b64 s[6:7], s[6:7]
	v_mov_b32_e32 v8, s10
	s_xor_b64 exec, exec, s[6:7]
	s_cbranch_execz .LBB16_1842
.LBB16_3892:
	v_cmp_ne_u16_e32 vcc, 0, v12
	s_andn2_b64 s[4:5], s[4:5], exec
	s_and_b64 s[8:9], vcc, exec
	v_mov_b32_e32 v8, 0
	s_or_b64 s[4:5], s[4:5], s[8:9]
	s_or_b64 exec, exec, s[6:7]
	s_and_saveexec_b64 s[6:7], s[4:5]
	s_cbranch_execnz .LBB16_1843
	s_branch .LBB16_1844
.LBB16_3893:
	s_movk_i32 s4, 0x80
	v_cmp_eq_u16_e32 vcc, s4, v12
	s_mov_b64 s[4:5], -1
                                        ; implicit-def: $sgpr10
	s_and_saveexec_b64 s[8:9], vcc
; %bb.3894:
	s_mov_b32 s10, 0x7f800001
	s_xor_b64 s[4:5], exec, -1
; %bb.3895:
	s_or_b64 exec, exec, s[8:9]
	s_and_b64 s[4:5], s[4:5], exec
                                        ; implicit-def: $vgpr12
	s_or_saveexec_b64 s[6:7], s[6:7]
	v_mov_b32_e32 v18, s10
	s_xor_b64 exec, exec, s[6:7]
	s_cbranch_execz .LBB16_1846
.LBB16_3896:
	v_cmp_ne_u16_e32 vcc, 0, v12
	s_andn2_b64 s[4:5], s[4:5], exec
	s_and_b64 s[8:9], vcc, exec
	v_mov_b32_e32 v18, 0
	s_or_b64 s[4:5], s[4:5], s[8:9]
	s_or_b64 exec, exec, s[6:7]
	s_and_saveexec_b64 s[6:7], s[4:5]
	s_cbranch_execnz .LBB16_1847
	s_branch .LBB16_1848
.LBB16_3897:
	s_movk_i32 s4, 0x80
	v_cmp_eq_u16_sdwa s[12:13], v13, s4 src0_sel:BYTE_3 src1_sel:DWORD
	s_mov_b64 s[4:5], -1
                                        ; implicit-def: $sgpr10
	s_and_saveexec_b64 s[8:9], s[12:13]
; %bb.3898:
	s_mov_b32 s10, 0x7f800001
	s_xor_b64 s[4:5], exec, -1
; %bb.3899:
	s_or_b64 exec, exec, s[8:9]
	s_and_b64 s[4:5], s[4:5], exec
	s_or_saveexec_b64 s[6:7], s[6:7]
	v_mov_b32_e32 v8, s10
	s_xor_b64 exec, exec, s[6:7]
	s_cbranch_execz .LBB16_1850
.LBB16_3900:
	v_mov_b32_e32 v8, 0
	v_cmp_ne_u16_sdwa s[8:9], v13, v8 src0_sel:BYTE_3 src1_sel:DWORD
	s_andn2_b64 s[4:5], s[4:5], exec
	s_and_b64 s[8:9], s[8:9], exec
	s_or_b64 s[4:5], s[4:5], s[8:9]
	s_or_b64 exec, exec, s[6:7]
	s_and_saveexec_b64 s[6:7], s[4:5]
	s_cbranch_execnz .LBB16_1851
	s_branch .LBB16_1852
.LBB16_3901:
	s_movk_i32 s4, 0x80
	v_cmp_eq_u16_sdwa s[12:13], v9, s4 src0_sel:BYTE_3 src1_sel:DWORD
	s_mov_b64 s[4:5], -1
                                        ; implicit-def: $sgpr10
	s_and_saveexec_b64 s[8:9], s[12:13]
; %bb.3902:
	s_mov_b32 s10, 0x7f800001
	s_xor_b64 s[4:5], exec, -1
; %bb.3903:
	s_or_b64 exec, exec, s[8:9]
	s_and_b64 s[4:5], s[4:5], exec
	s_or_saveexec_b64 s[6:7], s[6:7]
	v_mov_b32_e32 v12, s10
	s_xor_b64 exec, exec, s[6:7]
	s_cbranch_execz .LBB16_1854
.LBB16_3904:
	v_mov_b32_e32 v12, 0
	v_cmp_ne_u16_sdwa s[8:9], v9, v12 src0_sel:BYTE_3 src1_sel:DWORD
	s_andn2_b64 s[4:5], s[4:5], exec
	s_and_b64 s[8:9], s[8:9], exec
	s_or_b64 s[4:5], s[4:5], s[8:9]
	s_or_b64 exec, exec, s[6:7]
	s_and_saveexec_b64 s[6:7], s[4:5]
	s_cbranch_execnz .LBB16_1855
	s_branch .LBB16_1856
.LBB16_3905:
	s_movk_i32 s4, 0x80
	v_cmp_eq_u16_sdwa s[12:13], v14, s4 src0_sel:BYTE_0 src1_sel:DWORD
	s_mov_b64 s[4:5], -1
                                        ; implicit-def: $sgpr10
	s_and_saveexec_b64 s[8:9], s[12:13]
; %bb.3906:
	s_mov_b32 s10, 0x7f800001
	s_xor_b64 s[4:5], exec, -1
; %bb.3907:
	s_or_b64 exec, exec, s[8:9]
	s_and_b64 s[4:5], s[4:5], exec
	s_or_saveexec_b64 s[6:7], s[6:7]
	v_mov_b32_e32 v8, s10
	s_xor_b64 exec, exec, s[6:7]
	s_cbranch_execz .LBB16_1858
.LBB16_3908:
	v_mov_b32_e32 v8, 0
	v_cmp_ne_u16_sdwa s[8:9], v14, v8 src0_sel:BYTE_0 src1_sel:DWORD
	s_andn2_b64 s[4:5], s[4:5], exec
	s_and_b64 s[8:9], s[8:9], exec
	s_or_b64 s[4:5], s[4:5], s[8:9]
	s_or_b64 exec, exec, s[6:7]
	s_and_saveexec_b64 s[6:7], s[4:5]
	s_cbranch_execnz .LBB16_1859
	s_branch .LBB16_1860
.LBB16_3909:
	s_movk_i32 s4, 0x80
	v_cmp_eq_u16_sdwa s[12:13], v10, s4 src0_sel:BYTE_0 src1_sel:DWORD
	s_mov_b64 s[4:5], -1
                                        ; implicit-def: $sgpr10
	s_and_saveexec_b64 s[8:9], s[12:13]
; %bb.3910:
	s_mov_b32 s10, 0x7f800001
	s_xor_b64 s[4:5], exec, -1
; %bb.3911:
	s_or_b64 exec, exec, s[8:9]
	s_and_b64 s[4:5], s[4:5], exec
	s_or_saveexec_b64 s[6:7], s[6:7]
	v_mov_b32_e32 v9, s10
	s_xor_b64 exec, exec, s[6:7]
	s_cbranch_execz .LBB16_1862
.LBB16_3912:
	v_mov_b32_e32 v9, 0
	v_cmp_ne_u16_sdwa s[8:9], v10, v9 src0_sel:BYTE_0 src1_sel:DWORD
	s_andn2_b64 s[4:5], s[4:5], exec
	s_and_b64 s[8:9], s[8:9], exec
	s_or_b64 s[4:5], s[4:5], s[8:9]
	s_or_b64 exec, exec, s[6:7]
	s_and_saveexec_b64 s[6:7], s[4:5]
	s_cbranch_execnz .LBB16_1863
	s_branch .LBB16_1864
.LBB16_3913:
	s_movk_i32 s4, 0x80
	v_cmp_eq_u16_sdwa s[12:13], v9, s4 src0_sel:BYTE_0 src1_sel:DWORD
	s_mov_b64 s[4:5], -1
                                        ; implicit-def: $sgpr10
	s_and_saveexec_b64 s[8:9], s[12:13]
; %bb.3914:
	s_mov_b32 s10, 0x7f800001
	s_xor_b64 s[4:5], exec, -1
; %bb.3915:
	s_or_b64 exec, exec, s[8:9]
	s_and_b64 s[4:5], s[4:5], exec
	s_or_saveexec_b64 s[6:7], s[6:7]
	v_mov_b32_e32 v8, s10
	s_xor_b64 exec, exec, s[6:7]
	s_cbranch_execz .LBB16_1866
.LBB16_3916:
	v_mov_b32_e32 v8, 0
	v_cmp_ne_u16_sdwa s[8:9], v9, v8 src0_sel:BYTE_0 src1_sel:DWORD
	s_andn2_b64 s[4:5], s[4:5], exec
	s_and_b64 s[8:9], s[8:9], exec
	s_or_b64 s[4:5], s[4:5], s[8:9]
	s_or_b64 exec, exec, s[6:7]
	s_and_saveexec_b64 s[6:7], s[4:5]
	s_cbranch_execnz .LBB16_1867
	s_branch .LBB16_1868
.LBB16_3917:
	s_movk_i32 s4, 0x80
	v_cmp_eq_u16_sdwa s[12:13], v9, s4 src0_sel:BYTE_0 src1_sel:DWORD
	s_mov_b64 s[4:5], -1
                                        ; implicit-def: $sgpr10
	s_and_saveexec_b64 s[8:9], s[12:13]
; %bb.3918:
	s_mov_b32 s10, 0x7f800001
	s_xor_b64 s[4:5], exec, -1
; %bb.3919:
	s_or_b64 exec, exec, s[8:9]
	s_and_b64 s[4:5], s[4:5], exec
	s_or_saveexec_b64 s[6:7], s[6:7]
	v_mov_b32_e32 v12, s10
	s_xor_b64 exec, exec, s[6:7]
	s_cbranch_execz .LBB16_1870
.LBB16_3920:
	v_mov_b32_e32 v12, 0
	v_cmp_ne_u16_sdwa s[8:9], v9, v12 src0_sel:BYTE_0 src1_sel:DWORD
	s_andn2_b64 s[4:5], s[4:5], exec
	s_and_b64 s[8:9], s[8:9], exec
	s_or_b64 s[4:5], s[4:5], s[8:9]
	s_or_b64 exec, exec, s[6:7]
	s_and_saveexec_b64 s[6:7], s[4:5]
	s_cbranch_execnz .LBB16_1871
	s_branch .LBB16_1872
.LBB16_3921:
	s_movk_i32 s4, 0x80
	v_cmp_eq_u16_e32 vcc, s4, v9
	s_mov_b64 s[4:5], -1
                                        ; implicit-def: $sgpr10
	s_and_saveexec_b64 s[8:9], vcc
; %bb.3922:
	s_mov_b32 s10, 0x7f800001
	s_xor_b64 s[4:5], exec, -1
; %bb.3923:
	s_or_b64 exec, exec, s[8:9]
	s_and_b64 s[4:5], s[4:5], exec
                                        ; implicit-def: $vgpr9
	s_or_saveexec_b64 s[6:7], s[6:7]
	v_mov_b32_e32 v8, s10
	s_xor_b64 exec, exec, s[6:7]
	s_cbranch_execz .LBB16_1874
.LBB16_3924:
	v_cmp_ne_u16_e32 vcc, 0, v9
	s_andn2_b64 s[4:5], s[4:5], exec
	s_and_b64 s[8:9], vcc, exec
	v_mov_b32_e32 v8, 0
	s_or_b64 s[4:5], s[4:5], s[8:9]
	s_or_b64 exec, exec, s[6:7]
	s_and_saveexec_b64 s[6:7], s[4:5]
	s_cbranch_execnz .LBB16_1875
	s_branch .LBB16_1876
.LBB16_3925:
	s_movk_i32 s4, 0x80
	v_cmp_eq_u16_e32 vcc, s4, v9
	s_mov_b64 s[4:5], -1
                                        ; implicit-def: $sgpr10
	s_and_saveexec_b64 s[8:9], vcc
; %bb.3926:
	s_mov_b32 s10, 0x7f800001
	s_xor_b64 s[4:5], exec, -1
; %bb.3927:
	s_or_b64 exec, exec, s[8:9]
	s_and_b64 s[4:5], s[4:5], exec
                                        ; implicit-def: $vgpr9
	s_or_saveexec_b64 s[6:7], s[6:7]
	v_mov_b32_e32 v12, s10
	s_xor_b64 exec, exec, s[6:7]
	s_cbranch_execz .LBB16_1878
.LBB16_3928:
	v_cmp_ne_u16_e32 vcc, 0, v9
	s_andn2_b64 s[4:5], s[4:5], exec
	s_and_b64 s[8:9], vcc, exec
	v_mov_b32_e32 v12, 0
	s_or_b64 s[4:5], s[4:5], s[8:9]
	s_or_b64 exec, exec, s[6:7]
	s_and_saveexec_b64 s[6:7], s[4:5]
	s_cbranch_execnz .LBB16_1879
	s_branch .LBB16_1880
.LBB16_3929:
	s_movk_i32 s4, 0x80
	v_cmp_eq_u16_sdwa s[12:13], v14, s4 src0_sel:BYTE_3 src1_sel:DWORD
	s_mov_b64 s[4:5], -1
                                        ; implicit-def: $sgpr10
	s_and_saveexec_b64 s[8:9], s[12:13]
; %bb.3930:
	s_mov_b32 s10, 0x7f800001
	s_xor_b64 s[4:5], exec, -1
; %bb.3931:
	s_or_b64 exec, exec, s[8:9]
	s_and_b64 s[4:5], s[4:5], exec
	s_or_saveexec_b64 s[6:7], s[6:7]
	v_mov_b32_e32 v8, s10
	s_xor_b64 exec, exec, s[6:7]
	s_cbranch_execz .LBB16_1882
.LBB16_3932:
	v_mov_b32_e32 v8, 0
	v_cmp_ne_u16_sdwa s[8:9], v14, v8 src0_sel:BYTE_3 src1_sel:DWORD
	s_andn2_b64 s[4:5], s[4:5], exec
	s_and_b64 s[8:9], s[8:9], exec
	s_or_b64 s[4:5], s[4:5], s[8:9]
	s_or_b64 exec, exec, s[6:7]
	s_and_saveexec_b64 s[6:7], s[4:5]
	s_cbranch_execnz .LBB16_1883
	s_branch .LBB16_1884
.LBB16_3933:
	s_movk_i32 s4, 0x80
	v_cmp_eq_u16_sdwa s[12:13], v10, s4 src0_sel:BYTE_3 src1_sel:DWORD
	s_mov_b64 s[4:5], -1
                                        ; implicit-def: $sgpr10
	s_and_saveexec_b64 s[8:9], s[12:13]
; %bb.3934:
	s_mov_b32 s10, 0x7f800001
	s_xor_b64 s[4:5], exec, -1
; %bb.3935:
	s_or_b64 exec, exec, s[8:9]
	s_and_b64 s[4:5], s[4:5], exec
	s_or_saveexec_b64 s[6:7], s[6:7]
	v_mov_b32_e32 v9, s10
	s_xor_b64 exec, exec, s[6:7]
	s_cbranch_execz .LBB16_1886
.LBB16_3936:
	v_mov_b32_e32 v9, 0
	v_cmp_ne_u16_sdwa s[8:9], v10, v9 src0_sel:BYTE_3 src1_sel:DWORD
	s_andn2_b64 s[4:5], s[4:5], exec
	s_and_b64 s[8:9], s[8:9], exec
	s_or_b64 s[4:5], s[4:5], s[8:9]
	s_or_b64 exec, exec, s[6:7]
	s_and_saveexec_b64 s[6:7], s[4:5]
	s_cbranch_execnz .LBB16_1887
	s_branch .LBB16_1888
.LBB16_3937:
	s_movk_i32 s4, 0x80
	v_cmp_eq_u16_sdwa s[12:13], v15, s4 src0_sel:BYTE_0 src1_sel:DWORD
	s_mov_b64 s[4:5], -1
                                        ; implicit-def: $sgpr10
	s_and_saveexec_b64 s[8:9], s[12:13]
; %bb.3938:
	s_mov_b32 s10, 0x7f800001
	s_xor_b64 s[4:5], exec, -1
; %bb.3939:
	s_or_b64 exec, exec, s[8:9]
	s_and_b64 s[4:5], s[4:5], exec
	s_or_saveexec_b64 s[6:7], s[6:7]
	v_mov_b32_e32 v8, s10
	s_xor_b64 exec, exec, s[6:7]
	s_cbranch_execz .LBB16_1890
.LBB16_3940:
	v_mov_b32_e32 v8, 0
	v_cmp_ne_u16_sdwa s[8:9], v15, v8 src0_sel:BYTE_0 src1_sel:DWORD
	s_andn2_b64 s[4:5], s[4:5], exec
	s_and_b64 s[8:9], s[8:9], exec
	s_or_b64 s[4:5], s[4:5], s[8:9]
	s_or_b64 exec, exec, s[6:7]
	s_and_saveexec_b64 s[6:7], s[4:5]
	s_cbranch_execnz .LBB16_1891
	s_branch .LBB16_1892
.LBB16_3941:
	s_movk_i32 s4, 0x80
	v_cmp_eq_u16_sdwa s[12:13], v11, s4 src0_sel:BYTE_0 src1_sel:DWORD
	s_mov_b64 s[4:5], -1
                                        ; implicit-def: $sgpr10
	s_and_saveexec_b64 s[8:9], s[12:13]
; %bb.3942:
	s_mov_b32 s10, 0x7f800001
	s_xor_b64 s[4:5], exec, -1
; %bb.3943:
	s_or_b64 exec, exec, s[8:9]
	s_and_b64 s[4:5], s[4:5], exec
	s_or_saveexec_b64 s[6:7], s[6:7]
	v_mov_b32_e32 v9, s10
	s_xor_b64 exec, exec, s[6:7]
	s_cbranch_execz .LBB16_1894
.LBB16_3944:
	v_mov_b32_e32 v9, 0
	v_cmp_ne_u16_sdwa s[8:9], v11, v9 src0_sel:BYTE_0 src1_sel:DWORD
	s_andn2_b64 s[4:5], s[4:5], exec
	s_and_b64 s[8:9], s[8:9], exec
	s_or_b64 s[4:5], s[4:5], s[8:9]
	s_or_b64 exec, exec, s[6:7]
	s_and_saveexec_b64 s[6:7], s[4:5]
	s_cbranch_execnz .LBB16_1895
	s_branch .LBB16_1896
.LBB16_3945:
	s_movk_i32 s4, 0x80
	v_cmp_eq_u16_sdwa s[12:13], v9, s4 src0_sel:BYTE_0 src1_sel:DWORD
	s_mov_b64 s[4:5], -1
                                        ; implicit-def: $sgpr10
	s_and_saveexec_b64 s[8:9], s[12:13]
; %bb.3946:
	s_mov_b32 s10, 0x7f800001
	s_xor_b64 s[4:5], exec, -1
; %bb.3947:
	s_or_b64 exec, exec, s[8:9]
	s_and_b64 s[4:5], s[4:5], exec
	s_or_saveexec_b64 s[6:7], s[6:7]
	v_mov_b32_e32 v8, s10
	s_xor_b64 exec, exec, s[6:7]
	s_cbranch_execz .LBB16_1898
.LBB16_3948:
	v_mov_b32_e32 v8, 0
	v_cmp_ne_u16_sdwa s[8:9], v9, v8 src0_sel:BYTE_0 src1_sel:DWORD
	s_andn2_b64 s[4:5], s[4:5], exec
	s_and_b64 s[8:9], s[8:9], exec
	s_or_b64 s[4:5], s[4:5], s[8:9]
	s_or_b64 exec, exec, s[6:7]
	s_and_saveexec_b64 s[6:7], s[4:5]
	s_cbranch_execnz .LBB16_1899
	s_branch .LBB16_1900
.LBB16_3949:
	s_movk_i32 s4, 0x80
	v_cmp_eq_u16_sdwa s[12:13], v9, s4 src0_sel:BYTE_0 src1_sel:DWORD
	s_mov_b64 s[4:5], -1
                                        ; implicit-def: $sgpr10
	s_and_saveexec_b64 s[8:9], s[12:13]
; %bb.3950:
	s_mov_b32 s10, 0x7f800001
	s_xor_b64 s[4:5], exec, -1
; %bb.3951:
	s_or_b64 exec, exec, s[8:9]
	s_and_b64 s[4:5], s[4:5], exec
	s_or_saveexec_b64 s[6:7], s[6:7]
	v_mov_b32_e32 v10, s10
	s_xor_b64 exec, exec, s[6:7]
	s_cbranch_execz .LBB16_1902
.LBB16_3952:
	v_mov_b32_e32 v10, 0
	v_cmp_ne_u16_sdwa s[8:9], v9, v10 src0_sel:BYTE_0 src1_sel:DWORD
	s_andn2_b64 s[4:5], s[4:5], exec
	s_and_b64 s[8:9], s[8:9], exec
	s_or_b64 s[4:5], s[4:5], s[8:9]
	s_or_b64 exec, exec, s[6:7]
	s_and_saveexec_b64 s[6:7], s[4:5]
	s_cbranch_execnz .LBB16_1903
	s_branch .LBB16_1904
.LBB16_3953:
	s_movk_i32 s4, 0x80
	v_cmp_eq_u16_e32 vcc, s4, v9
	s_mov_b64 s[4:5], -1
                                        ; implicit-def: $sgpr10
	s_and_saveexec_b64 s[8:9], vcc
; %bb.3954:
	s_mov_b32 s10, 0x7f800001
	s_xor_b64 s[4:5], exec, -1
; %bb.3955:
	s_or_b64 exec, exec, s[8:9]
	s_and_b64 s[4:5], s[4:5], exec
                                        ; implicit-def: $vgpr9
	s_or_saveexec_b64 s[6:7], s[6:7]
	v_mov_b32_e32 v8, s10
	s_xor_b64 exec, exec, s[6:7]
	s_cbranch_execz .LBB16_1906
.LBB16_3956:
	v_cmp_ne_u16_e32 vcc, 0, v9
	s_andn2_b64 s[4:5], s[4:5], exec
	s_and_b64 s[8:9], vcc, exec
	v_mov_b32_e32 v8, 0
	s_or_b64 s[4:5], s[4:5], s[8:9]
	s_or_b64 exec, exec, s[6:7]
	s_and_saveexec_b64 s[6:7], s[4:5]
	s_cbranch_execnz .LBB16_1907
	s_branch .LBB16_1908
.LBB16_3957:
	s_movk_i32 s4, 0x80
	v_cmp_eq_u16_e32 vcc, s4, v9
	s_mov_b64 s[4:5], -1
                                        ; implicit-def: $sgpr10
	s_and_saveexec_b64 s[8:9], vcc
; %bb.3958:
	s_mov_b32 s10, 0x7f800001
	s_xor_b64 s[4:5], exec, -1
; %bb.3959:
	s_or_b64 exec, exec, s[8:9]
	s_and_b64 s[4:5], s[4:5], exec
                                        ; implicit-def: $vgpr9
	s_or_saveexec_b64 s[6:7], s[6:7]
	v_mov_b32_e32 v10, s10
	s_xor_b64 exec, exec, s[6:7]
	s_cbranch_execz .LBB16_1910
.LBB16_3960:
	v_cmp_ne_u16_e32 vcc, 0, v9
	s_andn2_b64 s[4:5], s[4:5], exec
	s_and_b64 s[8:9], vcc, exec
	v_mov_b32_e32 v10, 0
	s_or_b64 s[4:5], s[4:5], s[8:9]
	s_or_b64 exec, exec, s[6:7]
	s_and_saveexec_b64 s[6:7], s[4:5]
	s_cbranch_execnz .LBB16_1911
	s_branch .LBB16_1912
.LBB16_3961:
	s_movk_i32 s4, 0x80
	v_cmp_eq_u16_sdwa s[12:13], v15, s4 src0_sel:BYTE_3 src1_sel:DWORD
	s_mov_b64 s[4:5], -1
                                        ; implicit-def: $sgpr10
	s_and_saveexec_b64 s[8:9], s[12:13]
; %bb.3962:
	s_mov_b32 s10, 0x7f800001
	s_xor_b64 s[4:5], exec, -1
; %bb.3963:
	s_or_b64 exec, exec, s[8:9]
	s_and_b64 s[4:5], s[4:5], exec
	s_or_saveexec_b64 s[6:7], s[6:7]
	v_mov_b32_e32 v8, s10
	s_xor_b64 exec, exec, s[6:7]
	s_cbranch_execz .LBB16_1914
.LBB16_3964:
	v_mov_b32_e32 v8, 0
	v_cmp_ne_u16_sdwa s[8:9], v15, v8 src0_sel:BYTE_3 src1_sel:DWORD
	s_andn2_b64 s[4:5], s[4:5], exec
	s_and_b64 s[8:9], s[8:9], exec
	s_or_b64 s[4:5], s[4:5], s[8:9]
	s_or_b64 exec, exec, s[6:7]
	s_and_saveexec_b64 s[6:7], s[4:5]
	s_cbranch_execnz .LBB16_1915
	s_branch .LBB16_1916
.LBB16_3965:
	s_movk_i32 s4, 0x80
	v_cmp_eq_u16_sdwa s[12:13], v11, s4 src0_sel:BYTE_3 src1_sel:DWORD
	s_mov_b64 s[4:5], -1
                                        ; implicit-def: $sgpr10
	s_and_saveexec_b64 s[8:9], s[12:13]
; %bb.3966:
	s_mov_b32 s10, 0x7f800001
	s_xor_b64 s[4:5], exec, -1
; %bb.3967:
	s_or_b64 exec, exec, s[8:9]
	s_and_b64 s[4:5], s[4:5], exec
	s_or_saveexec_b64 s[6:7], s[6:7]
	v_mov_b32_e32 v9, s10
	s_xor_b64 exec, exec, s[6:7]
	s_cbranch_execz .LBB16_1918
.LBB16_3968:
	v_mov_b32_e32 v9, 0
	v_cmp_ne_u16_sdwa s[8:9], v11, v9 src0_sel:BYTE_3 src1_sel:DWORD
	s_andn2_b64 s[4:5], s[4:5], exec
	s_and_b64 s[8:9], s[8:9], exec
	s_or_b64 s[4:5], s[4:5], s[8:9]
	s_or_b64 exec, exec, s[6:7]
	s_and_saveexec_b64 s[6:7], s[4:5]
	s_cbranch_execnz .LBB16_1919
	s_branch .LBB16_1920
.LBB16_3969:
	s_movk_i32 s4, 0x80
	v_cmp_eq_u16_sdwa s[12:13], v4, s4 src0_sel:BYTE_0 src1_sel:DWORD
	s_mov_b64 s[4:5], -1
                                        ; implicit-def: $sgpr10
	s_and_saveexec_b64 s[8:9], s[12:13]
; %bb.3970:
	s_mov_b32 s10, 0x7f800001
	s_xor_b64 s[4:5], exec, -1
; %bb.3971:
	s_or_b64 exec, exec, s[8:9]
	s_and_b64 s[4:5], s[4:5], exec
	s_or_saveexec_b64 s[6:7], s[6:7]
	v_mov_b32_e32 v8, s10
	s_xor_b64 exec, exec, s[6:7]
	s_cbranch_execz .LBB16_1922
.LBB16_3972:
	v_mov_b32_e32 v8, 0
	v_cmp_ne_u16_sdwa s[8:9], v4, v8 src0_sel:BYTE_0 src1_sel:DWORD
	s_andn2_b64 s[4:5], s[4:5], exec
	s_and_b64 s[8:9], s[8:9], exec
	s_or_b64 s[4:5], s[4:5], s[8:9]
	s_or_b64 exec, exec, s[6:7]
	s_and_saveexec_b64 s[6:7], s[4:5]
	s_cbranch_execnz .LBB16_1923
	s_branch .LBB16_1924
.LBB16_3973:
	s_movk_i32 s4, 0x80
	v_cmp_eq_u16_sdwa s[12:13], v0, s4 src0_sel:BYTE_0 src1_sel:DWORD
	s_mov_b64 s[4:5], -1
                                        ; implicit-def: $sgpr10
	s_and_saveexec_b64 s[8:9], s[12:13]
; %bb.3974:
	s_mov_b32 s10, 0x7f800001
	s_xor_b64 s[4:5], exec, -1
; %bb.3975:
	s_or_b64 exec, exec, s[8:9]
	s_and_b64 s[4:5], s[4:5], exec
	s_or_saveexec_b64 s[6:7], s[6:7]
	v_mov_b32_e32 v9, s10
	s_xor_b64 exec, exec, s[6:7]
	s_cbranch_execz .LBB16_1926
.LBB16_3976:
	v_mov_b32_e32 v9, 0
	v_cmp_ne_u16_sdwa s[8:9], v0, v9 src0_sel:BYTE_0 src1_sel:DWORD
	s_andn2_b64 s[4:5], s[4:5], exec
	s_and_b64 s[8:9], s[8:9], exec
	s_or_b64 s[4:5], s[4:5], s[8:9]
	s_or_b64 exec, exec, s[6:7]
	s_and_saveexec_b64 s[6:7], s[4:5]
	s_cbranch_execnz .LBB16_1927
	s_branch .LBB16_1928
.LBB16_3977:
	s_movk_i32 s4, 0x80
	v_cmp_eq_u16_sdwa s[12:13], v9, s4 src0_sel:BYTE_0 src1_sel:DWORD
	s_mov_b64 s[4:5], -1
                                        ; implicit-def: $sgpr10
	s_and_saveexec_b64 s[8:9], s[12:13]
; %bb.3978:
	s_mov_b32 s10, 0x7f800001
	s_xor_b64 s[4:5], exec, -1
; %bb.3979:
	s_or_b64 exec, exec, s[8:9]
	s_and_b64 s[4:5], s[4:5], exec
	s_or_saveexec_b64 s[6:7], s[6:7]
	v_mov_b32_e32 v8, s10
	s_xor_b64 exec, exec, s[6:7]
	s_cbranch_execz .LBB16_1930
.LBB16_3980:
	v_mov_b32_e32 v8, 0
	v_cmp_ne_u16_sdwa s[8:9], v9, v8 src0_sel:BYTE_0 src1_sel:DWORD
	s_andn2_b64 s[4:5], s[4:5], exec
	s_and_b64 s[8:9], s[8:9], exec
	s_or_b64 s[4:5], s[4:5], s[8:9]
	s_or_b64 exec, exec, s[6:7]
	s_and_saveexec_b64 s[6:7], s[4:5]
	s_cbranch_execnz .LBB16_1931
	s_branch .LBB16_1932
.LBB16_3981:
	s_movk_i32 s4, 0x80
	v_cmp_eq_u16_sdwa s[12:13], v9, s4 src0_sel:BYTE_0 src1_sel:DWORD
	s_mov_b64 s[4:5], -1
                                        ; implicit-def: $sgpr10
	s_and_saveexec_b64 s[8:9], s[12:13]
; %bb.3982:
	s_mov_b32 s10, 0x7f800001
	s_xor_b64 s[4:5], exec, -1
; %bb.3983:
	s_or_b64 exec, exec, s[8:9]
	s_and_b64 s[4:5], s[4:5], exec
	s_or_saveexec_b64 s[6:7], s[6:7]
	v_mov_b32_e32 v10, s10
	s_xor_b64 exec, exec, s[6:7]
	s_cbranch_execz .LBB16_1934
.LBB16_3984:
	v_mov_b32_e32 v10, 0
	v_cmp_ne_u16_sdwa s[8:9], v9, v10 src0_sel:BYTE_0 src1_sel:DWORD
	s_andn2_b64 s[4:5], s[4:5], exec
	s_and_b64 s[8:9], s[8:9], exec
	s_or_b64 s[4:5], s[4:5], s[8:9]
	s_or_b64 exec, exec, s[6:7]
	s_and_saveexec_b64 s[6:7], s[4:5]
	s_cbranch_execnz .LBB16_1935
	s_branch .LBB16_1936
.LBB16_3985:
	s_movk_i32 s4, 0x80
	v_cmp_eq_u16_e32 vcc, s4, v9
	s_mov_b64 s[4:5], -1
                                        ; implicit-def: $sgpr10
	s_and_saveexec_b64 s[8:9], vcc
; %bb.3986:
	s_mov_b32 s10, 0x7f800001
	s_xor_b64 s[4:5], exec, -1
; %bb.3987:
	s_or_b64 exec, exec, s[8:9]
	s_and_b64 s[4:5], s[4:5], exec
                                        ; implicit-def: $vgpr9
	s_or_saveexec_b64 s[6:7], s[6:7]
	v_mov_b32_e32 v8, s10
	s_xor_b64 exec, exec, s[6:7]
	s_cbranch_execz .LBB16_1938
.LBB16_3988:
	v_cmp_ne_u16_e32 vcc, 0, v9
	s_andn2_b64 s[4:5], s[4:5], exec
	s_and_b64 s[8:9], vcc, exec
	v_mov_b32_e32 v8, 0
	s_or_b64 s[4:5], s[4:5], s[8:9]
	s_or_b64 exec, exec, s[6:7]
	s_and_saveexec_b64 s[6:7], s[4:5]
	s_cbranch_execnz .LBB16_1939
	s_branch .LBB16_1940
.LBB16_3989:
	s_movk_i32 s4, 0x80
	v_cmp_eq_u16_e32 vcc, s4, v9
	s_mov_b64 s[4:5], -1
                                        ; implicit-def: $sgpr10
	s_and_saveexec_b64 s[8:9], vcc
; %bb.3990:
	s_mov_b32 s10, 0x7f800001
	s_xor_b64 s[4:5], exec, -1
; %bb.3991:
	s_or_b64 exec, exec, s[8:9]
	s_and_b64 s[4:5], s[4:5], exec
                                        ; implicit-def: $vgpr9
	s_or_saveexec_b64 s[6:7], s[6:7]
	v_mov_b32_e32 v10, s10
	s_xor_b64 exec, exec, s[6:7]
	s_cbranch_execz .LBB16_1942
.LBB16_3992:
	v_cmp_ne_u16_e32 vcc, 0, v9
	s_andn2_b64 s[4:5], s[4:5], exec
	s_and_b64 s[8:9], vcc, exec
	v_mov_b32_e32 v10, 0
	s_or_b64 s[4:5], s[4:5], s[8:9]
	s_or_b64 exec, exec, s[6:7]
	s_and_saveexec_b64 s[6:7], s[4:5]
	s_cbranch_execnz .LBB16_1943
	s_branch .LBB16_1944
.LBB16_3993:
	s_movk_i32 s4, 0x80
	v_cmp_eq_u16_sdwa s[12:13], v4, s4 src0_sel:BYTE_3 src1_sel:DWORD
	s_mov_b64 s[4:5], -1
                                        ; implicit-def: $sgpr10
	s_and_saveexec_b64 s[8:9], s[12:13]
; %bb.3994:
	s_mov_b32 s10, 0x7f800001
	s_xor_b64 s[4:5], exec, -1
; %bb.3995:
	s_or_b64 exec, exec, s[8:9]
	s_and_b64 s[4:5], s[4:5], exec
	s_or_saveexec_b64 s[6:7], s[6:7]
	v_mov_b32_e32 v8, s10
	s_xor_b64 exec, exec, s[6:7]
	s_cbranch_execz .LBB16_1946
.LBB16_3996:
	v_mov_b32_e32 v8, 0
	v_cmp_ne_u16_sdwa s[8:9], v4, v8 src0_sel:BYTE_3 src1_sel:DWORD
	s_andn2_b64 s[4:5], s[4:5], exec
	s_and_b64 s[8:9], s[8:9], exec
	s_or_b64 s[4:5], s[4:5], s[8:9]
	s_or_b64 exec, exec, s[6:7]
	s_and_saveexec_b64 s[6:7], s[4:5]
	s_cbranch_execnz .LBB16_1947
	s_branch .LBB16_1948
.LBB16_3997:
	s_movk_i32 s4, 0x80
	v_cmp_eq_u16_sdwa s[12:13], v0, s4 src0_sel:BYTE_3 src1_sel:DWORD
	s_mov_b64 s[4:5], -1
                                        ; implicit-def: $sgpr10
	s_and_saveexec_b64 s[8:9], s[12:13]
; %bb.3998:
	s_mov_b32 s10, 0x7f800001
	s_xor_b64 s[4:5], exec, -1
; %bb.3999:
	s_or_b64 exec, exec, s[8:9]
	s_and_b64 s[4:5], s[4:5], exec
	s_or_saveexec_b64 s[6:7], s[6:7]
	v_mov_b32_e32 v4, s10
	s_xor_b64 exec, exec, s[6:7]
	s_cbranch_execz .LBB16_1950
.LBB16_4000:
	v_mov_b32_e32 v4, 0
	v_cmp_ne_u16_sdwa s[8:9], v0, v4 src0_sel:BYTE_3 src1_sel:DWORD
	s_andn2_b64 s[4:5], s[4:5], exec
	s_and_b64 s[8:9], s[8:9], exec
	s_or_b64 s[4:5], s[4:5], s[8:9]
	s_or_b64 exec, exec, s[6:7]
	s_and_saveexec_b64 s[6:7], s[4:5]
	s_cbranch_execnz .LBB16_1951
	s_branch .LBB16_1952
.LBB16_4001:
	s_movk_i32 s4, 0x80
	v_cmp_eq_u16_sdwa s[12:13], v5, s4 src0_sel:BYTE_0 src1_sel:DWORD
	s_mov_b64 s[4:5], -1
                                        ; implicit-def: $sgpr10
	s_and_saveexec_b64 s[8:9], s[12:13]
; %bb.4002:
	s_mov_b32 s10, 0x7f800001
	s_xor_b64 s[4:5], exec, -1
; %bb.4003:
	s_or_b64 exec, exec, s[8:9]
	s_and_b64 s[4:5], s[4:5], exec
	s_or_saveexec_b64 s[6:7], s[6:7]
	v_mov_b32_e32 v0, s10
	s_xor_b64 exec, exec, s[6:7]
	s_cbranch_execz .LBB16_1954
.LBB16_4004:
	v_mov_b32_e32 v0, 0
	v_cmp_ne_u16_sdwa s[8:9], v5, v0 src0_sel:BYTE_0 src1_sel:DWORD
	s_andn2_b64 s[4:5], s[4:5], exec
	s_and_b64 s[8:9], s[8:9], exec
	s_or_b64 s[4:5], s[4:5], s[8:9]
	s_or_b64 exec, exec, s[6:7]
	s_and_saveexec_b64 s[6:7], s[4:5]
	s_cbranch_execnz .LBB16_1955
	s_branch .LBB16_1956
.LBB16_4005:
	s_movk_i32 s4, 0x80
	v_cmp_eq_u16_sdwa s[12:13], v1, s4 src0_sel:BYTE_0 src1_sel:DWORD
	s_mov_b64 s[4:5], -1
                                        ; implicit-def: $sgpr10
	s_and_saveexec_b64 s[8:9], s[12:13]
; %bb.4006:
	s_mov_b32 s10, 0x7f800001
	s_xor_b64 s[4:5], exec, -1
; %bb.4007:
	s_or_b64 exec, exec, s[8:9]
	s_and_b64 s[4:5], s[4:5], exec
	s_or_saveexec_b64 s[6:7], s[6:7]
	v_mov_b32_e32 v4, s10
	s_xor_b64 exec, exec, s[6:7]
	s_cbranch_execz .LBB16_1958
.LBB16_4008:
	v_mov_b32_e32 v4, 0
	v_cmp_ne_u16_sdwa s[8:9], v1, v4 src0_sel:BYTE_0 src1_sel:DWORD
	s_andn2_b64 s[4:5], s[4:5], exec
	s_and_b64 s[8:9], s[8:9], exec
	s_or_b64 s[4:5], s[4:5], s[8:9]
	s_or_b64 exec, exec, s[6:7]
	s_and_saveexec_b64 s[6:7], s[4:5]
	s_cbranch_execnz .LBB16_1959
	s_branch .LBB16_1960
.LBB16_4009:
	s_movk_i32 s4, 0x80
	v_cmp_eq_u16_sdwa s[12:13], v4, s4 src0_sel:BYTE_0 src1_sel:DWORD
	s_mov_b64 s[4:5], -1
                                        ; implicit-def: $sgpr10
	s_and_saveexec_b64 s[8:9], s[12:13]
; %bb.4010:
	s_mov_b32 s10, 0x7f800001
	s_xor_b64 s[4:5], exec, -1
; %bb.4011:
	s_or_b64 exec, exec, s[8:9]
	s_and_b64 s[4:5], s[4:5], exec
	s_or_saveexec_b64 s[6:7], s[6:7]
	v_mov_b32_e32 v0, s10
	s_xor_b64 exec, exec, s[6:7]
	s_cbranch_execz .LBB16_1962
.LBB16_4012:
	v_mov_b32_e32 v0, 0
	v_cmp_ne_u16_sdwa s[8:9], v4, v0 src0_sel:BYTE_0 src1_sel:DWORD
	s_andn2_b64 s[4:5], s[4:5], exec
	s_and_b64 s[8:9], s[8:9], exec
	s_or_b64 s[4:5], s[4:5], s[8:9]
	s_or_b64 exec, exec, s[6:7]
	s_and_saveexec_b64 s[6:7], s[4:5]
	s_cbranch_execnz .LBB16_1963
	s_branch .LBB16_1964
.LBB16_4013:
	s_movk_i32 s4, 0x80
	v_cmp_eq_u16_sdwa s[12:13], v4, s4 src0_sel:BYTE_0 src1_sel:DWORD
	s_mov_b64 s[4:5], -1
                                        ; implicit-def: $sgpr10
	s_and_saveexec_b64 s[8:9], s[12:13]
; %bb.4014:
	s_mov_b32 s10, 0x7f800001
	s_xor_b64 s[4:5], exec, -1
; %bb.4015:
	s_or_b64 exec, exec, s[8:9]
	s_and_b64 s[4:5], s[4:5], exec
	s_or_saveexec_b64 s[6:7], s[6:7]
	v_mov_b32_e32 v8, s10
	s_xor_b64 exec, exec, s[6:7]
	s_cbranch_execz .LBB16_1966
.LBB16_4016:
	v_mov_b32_e32 v8, 0
	v_cmp_ne_u16_sdwa s[8:9], v4, v8 src0_sel:BYTE_0 src1_sel:DWORD
	s_andn2_b64 s[4:5], s[4:5], exec
	s_and_b64 s[8:9], s[8:9], exec
	s_or_b64 s[4:5], s[4:5], s[8:9]
	s_or_b64 exec, exec, s[6:7]
	s_and_saveexec_b64 s[6:7], s[4:5]
	s_cbranch_execnz .LBB16_1967
	s_branch .LBB16_1968
.LBB16_4017:
	s_movk_i32 s4, 0x80
	v_cmp_eq_u16_e32 vcc, s4, v4
	s_mov_b64 s[4:5], -1
                                        ; implicit-def: $sgpr10
	s_and_saveexec_b64 s[8:9], vcc
; %bb.4018:
	s_mov_b32 s10, 0x7f800001
	s_xor_b64 s[4:5], exec, -1
; %bb.4019:
	s_or_b64 exec, exec, s[8:9]
	s_and_b64 s[4:5], s[4:5], exec
                                        ; implicit-def: $vgpr4
	s_or_saveexec_b64 s[6:7], s[6:7]
	v_mov_b32_e32 v0, s10
	s_xor_b64 exec, exec, s[6:7]
	s_cbranch_execz .LBB16_1970
.LBB16_4020:
	v_cmp_ne_u16_e32 vcc, 0, v4
	s_andn2_b64 s[4:5], s[4:5], exec
	s_and_b64 s[8:9], vcc, exec
	v_mov_b32_e32 v0, 0
	s_or_b64 s[4:5], s[4:5], s[8:9]
	s_or_b64 exec, exec, s[6:7]
	s_and_saveexec_b64 s[6:7], s[4:5]
	s_cbranch_execnz .LBB16_1971
	s_branch .LBB16_1972
.LBB16_4021:
	s_movk_i32 s4, 0x80
	v_cmp_eq_u16_e32 vcc, s4, v4
	s_mov_b64 s[4:5], -1
                                        ; implicit-def: $sgpr10
	s_and_saveexec_b64 s[8:9], vcc
; %bb.4022:
	s_mov_b32 s10, 0x7f800001
	s_xor_b64 s[4:5], exec, -1
; %bb.4023:
	s_or_b64 exec, exec, s[8:9]
	s_and_b64 s[4:5], s[4:5], exec
                                        ; implicit-def: $vgpr4
	s_or_saveexec_b64 s[6:7], s[6:7]
	v_mov_b32_e32 v8, s10
	s_xor_b64 exec, exec, s[6:7]
	s_cbranch_execz .LBB16_1974
.LBB16_4024:
	v_cmp_ne_u16_e32 vcc, 0, v4
	s_andn2_b64 s[4:5], s[4:5], exec
	s_and_b64 s[8:9], vcc, exec
	v_mov_b32_e32 v8, 0
	s_or_b64 s[4:5], s[4:5], s[8:9]
	s_or_b64 exec, exec, s[6:7]
	s_and_saveexec_b64 s[6:7], s[4:5]
	s_cbranch_execnz .LBB16_1975
	s_branch .LBB16_1976
.LBB16_4025:
	s_movk_i32 s4, 0x80
	v_cmp_eq_u16_sdwa s[12:13], v5, s4 src0_sel:BYTE_3 src1_sel:DWORD
	s_mov_b64 s[4:5], -1
                                        ; implicit-def: $sgpr10
	s_and_saveexec_b64 s[8:9], s[12:13]
; %bb.4026:
	s_mov_b32 s10, 0x7f800001
	s_xor_b64 s[4:5], exec, -1
; %bb.4027:
	s_or_b64 exec, exec, s[8:9]
	s_and_b64 s[4:5], s[4:5], exec
	s_or_saveexec_b64 s[6:7], s[6:7]
	v_mov_b32_e32 v0, s10
	s_xor_b64 exec, exec, s[6:7]
	s_cbranch_execz .LBB16_1978
.LBB16_4028:
	v_mov_b32_e32 v0, 0
	v_cmp_ne_u16_sdwa s[8:9], v5, v0 src0_sel:BYTE_3 src1_sel:DWORD
	s_andn2_b64 s[4:5], s[4:5], exec
	s_and_b64 s[8:9], s[8:9], exec
	s_or_b64 s[4:5], s[4:5], s[8:9]
	s_or_b64 exec, exec, s[6:7]
	s_and_saveexec_b64 s[6:7], s[4:5]
	s_cbranch_execnz .LBB16_1979
	s_branch .LBB16_1980
.LBB16_4029:
	s_movk_i32 s4, 0x80
	v_cmp_eq_u16_sdwa s[12:13], v1, s4 src0_sel:BYTE_3 src1_sel:DWORD
	s_mov_b64 s[4:5], -1
                                        ; implicit-def: $sgpr10
	s_and_saveexec_b64 s[8:9], s[12:13]
; %bb.4030:
	s_mov_b32 s10, 0x7f800001
	s_xor_b64 s[4:5], exec, -1
; %bb.4031:
	s_or_b64 exec, exec, s[8:9]
	s_and_b64 s[4:5], s[4:5], exec
	s_or_saveexec_b64 s[6:7], s[6:7]
	v_mov_b32_e32 v4, s10
	s_xor_b64 exec, exec, s[6:7]
	s_cbranch_execz .LBB16_1982
.LBB16_4032:
	v_mov_b32_e32 v4, 0
	v_cmp_ne_u16_sdwa s[8:9], v1, v4 src0_sel:BYTE_3 src1_sel:DWORD
	s_andn2_b64 s[4:5], s[4:5], exec
	s_and_b64 s[8:9], s[8:9], exec
	s_or_b64 s[4:5], s[4:5], s[8:9]
	s_or_b64 exec, exec, s[6:7]
	s_and_saveexec_b64 s[6:7], s[4:5]
	s_cbranch_execnz .LBB16_1983
	s_branch .LBB16_1984
.LBB16_4033:
	s_movk_i32 s4, 0x80
	v_cmp_eq_u16_sdwa s[12:13], v6, s4 src0_sel:BYTE_0 src1_sel:DWORD
	s_mov_b64 s[4:5], -1
                                        ; implicit-def: $sgpr10
	s_and_saveexec_b64 s[8:9], s[12:13]
; %bb.4034:
	s_mov_b32 s10, 0x7f800001
	s_xor_b64 s[4:5], exec, -1
; %bb.4035:
	s_or_b64 exec, exec, s[8:9]
	s_and_b64 s[4:5], s[4:5], exec
	s_or_saveexec_b64 s[6:7], s[6:7]
	v_mov_b32_e32 v0, s10
	s_xor_b64 exec, exec, s[6:7]
	s_cbranch_execz .LBB16_1986
.LBB16_4036:
	v_mov_b32_e32 v0, 0
	v_cmp_ne_u16_sdwa s[8:9], v6, v0 src0_sel:BYTE_0 src1_sel:DWORD
	s_andn2_b64 s[4:5], s[4:5], exec
	s_and_b64 s[8:9], s[8:9], exec
	s_or_b64 s[4:5], s[4:5], s[8:9]
	s_or_b64 exec, exec, s[6:7]
	s_and_saveexec_b64 s[6:7], s[4:5]
	s_cbranch_execnz .LBB16_1987
	s_branch .LBB16_1988
.LBB16_4037:
	s_movk_i32 s4, 0x80
	v_cmp_eq_u16_sdwa s[12:13], v2, s4 src0_sel:BYTE_0 src1_sel:DWORD
	s_mov_b64 s[4:5], -1
                                        ; implicit-def: $sgpr10
	s_and_saveexec_b64 s[8:9], s[12:13]
; %bb.4038:
	s_mov_b32 s10, 0x7f800001
	s_xor_b64 s[4:5], exec, -1
; %bb.4039:
	s_or_b64 exec, exec, s[8:9]
	s_and_b64 s[4:5], s[4:5], exec
	s_or_saveexec_b64 s[6:7], s[6:7]
	v_mov_b32_e32 v1, s10
	s_xor_b64 exec, exec, s[6:7]
	s_cbranch_execz .LBB16_1990
.LBB16_4040:
	v_mov_b32_e32 v1, 0
	v_cmp_ne_u16_sdwa s[8:9], v2, v1 src0_sel:BYTE_0 src1_sel:DWORD
	s_andn2_b64 s[4:5], s[4:5], exec
	s_and_b64 s[8:9], s[8:9], exec
	s_or_b64 s[4:5], s[4:5], s[8:9]
	s_or_b64 exec, exec, s[6:7]
	s_and_saveexec_b64 s[6:7], s[4:5]
	s_cbranch_execnz .LBB16_1991
	s_branch .LBB16_1992
.LBB16_4041:
	s_movk_i32 s4, 0x80
	v_cmp_eq_u16_sdwa s[12:13], v1, s4 src0_sel:BYTE_0 src1_sel:DWORD
	s_mov_b64 s[4:5], -1
                                        ; implicit-def: $sgpr10
	s_and_saveexec_b64 s[8:9], s[12:13]
; %bb.4042:
	s_mov_b32 s10, 0x7f800001
	s_xor_b64 s[4:5], exec, -1
; %bb.4043:
	s_or_b64 exec, exec, s[8:9]
	s_and_b64 s[4:5], s[4:5], exec
	s_or_saveexec_b64 s[6:7], s[6:7]
	v_mov_b32_e32 v0, s10
	s_xor_b64 exec, exec, s[6:7]
	s_cbranch_execz .LBB16_1994
.LBB16_4044:
	v_mov_b32_e32 v0, 0
	v_cmp_ne_u16_sdwa s[8:9], v1, v0 src0_sel:BYTE_0 src1_sel:DWORD
	s_andn2_b64 s[4:5], s[4:5], exec
	s_and_b64 s[8:9], s[8:9], exec
	s_or_b64 s[4:5], s[4:5], s[8:9]
	s_or_b64 exec, exec, s[6:7]
	s_and_saveexec_b64 s[6:7], s[4:5]
	s_cbranch_execnz .LBB16_1995
	s_branch .LBB16_1996
.LBB16_4045:
	s_movk_i32 s4, 0x80
	v_cmp_eq_u16_sdwa s[12:13], v1, s4 src0_sel:BYTE_0 src1_sel:DWORD
	s_mov_b64 s[4:5], -1
                                        ; implicit-def: $sgpr10
	s_and_saveexec_b64 s[8:9], s[12:13]
; %bb.4046:
	s_mov_b32 s10, 0x7f800001
	s_xor_b64 s[4:5], exec, -1
; %bb.4047:
	s_or_b64 exec, exec, s[8:9]
	s_and_b64 s[4:5], s[4:5], exec
	s_or_saveexec_b64 s[6:7], s[6:7]
	v_mov_b32_e32 v4, s10
	s_xor_b64 exec, exec, s[6:7]
	s_cbranch_execz .LBB16_1998
.LBB16_4048:
	v_mov_b32_e32 v4, 0
	v_cmp_ne_u16_sdwa s[8:9], v1, v4 src0_sel:BYTE_0 src1_sel:DWORD
	s_andn2_b64 s[4:5], s[4:5], exec
	s_and_b64 s[8:9], s[8:9], exec
	s_or_b64 s[4:5], s[4:5], s[8:9]
	s_or_b64 exec, exec, s[6:7]
	s_and_saveexec_b64 s[6:7], s[4:5]
	s_cbranch_execnz .LBB16_1999
	s_branch .LBB16_2000
.LBB16_4049:
	s_movk_i32 s4, 0x80
	v_cmp_eq_u16_e32 vcc, s4, v1
	s_mov_b64 s[4:5], -1
                                        ; implicit-def: $sgpr10
	s_and_saveexec_b64 s[8:9], vcc
; %bb.4050:
	s_mov_b32 s10, 0x7f800001
	s_xor_b64 s[4:5], exec, -1
; %bb.4051:
	s_or_b64 exec, exec, s[8:9]
	s_and_b64 s[4:5], s[4:5], exec
                                        ; implicit-def: $vgpr1
	s_or_saveexec_b64 s[6:7], s[6:7]
	v_mov_b32_e32 v0, s10
	s_xor_b64 exec, exec, s[6:7]
	s_cbranch_execz .LBB16_2002
.LBB16_4052:
	v_cmp_ne_u16_e32 vcc, 0, v1
	s_andn2_b64 s[4:5], s[4:5], exec
	s_and_b64 s[8:9], vcc, exec
	v_mov_b32_e32 v0, 0
	s_or_b64 s[4:5], s[4:5], s[8:9]
	s_or_b64 exec, exec, s[6:7]
	s_and_saveexec_b64 s[6:7], s[4:5]
	s_cbranch_execnz .LBB16_2003
	s_branch .LBB16_2004
.LBB16_4053:
	s_movk_i32 s4, 0x80
	v_cmp_eq_u16_e32 vcc, s4, v1
	s_mov_b64 s[4:5], -1
                                        ; implicit-def: $sgpr10
	s_and_saveexec_b64 s[8:9], vcc
; %bb.4054:
	s_mov_b32 s10, 0x7f800001
	s_xor_b64 s[4:5], exec, -1
; %bb.4055:
	s_or_b64 exec, exec, s[8:9]
	s_and_b64 s[4:5], s[4:5], exec
                                        ; implicit-def: $vgpr1
	s_or_saveexec_b64 s[6:7], s[6:7]
	v_mov_b32_e32 v4, s10
	s_xor_b64 exec, exec, s[6:7]
	s_cbranch_execz .LBB16_2006
.LBB16_4056:
	v_cmp_ne_u16_e32 vcc, 0, v1
	s_andn2_b64 s[4:5], s[4:5], exec
	s_and_b64 s[8:9], vcc, exec
	v_mov_b32_e32 v4, 0
	s_or_b64 s[4:5], s[4:5], s[8:9]
	s_or_b64 exec, exec, s[6:7]
	s_and_saveexec_b64 s[6:7], s[4:5]
	s_cbranch_execnz .LBB16_2007
	s_branch .LBB16_2008
.LBB16_4057:
	s_movk_i32 s4, 0x80
	v_cmp_eq_u16_sdwa s[12:13], v6, s4 src0_sel:BYTE_3 src1_sel:DWORD
	s_mov_b64 s[4:5], -1
                                        ; implicit-def: $sgpr10
	s_and_saveexec_b64 s[8:9], s[12:13]
; %bb.4058:
	s_mov_b32 s10, 0x7f800001
	s_xor_b64 s[4:5], exec, -1
; %bb.4059:
	s_or_b64 exec, exec, s[8:9]
	s_and_b64 s[4:5], s[4:5], exec
	s_or_saveexec_b64 s[6:7], s[6:7]
	v_mov_b32_e32 v0, s10
	s_xor_b64 exec, exec, s[6:7]
	s_cbranch_execz .LBB16_2010
.LBB16_4060:
	v_mov_b32_e32 v0, 0
	v_cmp_ne_u16_sdwa s[8:9], v6, v0 src0_sel:BYTE_3 src1_sel:DWORD
	s_andn2_b64 s[4:5], s[4:5], exec
	s_and_b64 s[8:9], s[8:9], exec
	s_or_b64 s[4:5], s[4:5], s[8:9]
	s_or_b64 exec, exec, s[6:7]
	s_and_saveexec_b64 s[6:7], s[4:5]
	s_cbranch_execnz .LBB16_2011
	s_branch .LBB16_2012
.LBB16_4061:
	s_movk_i32 s4, 0x80
	v_cmp_eq_u16_sdwa s[12:13], v2, s4 src0_sel:BYTE_3 src1_sel:DWORD
	s_mov_b64 s[4:5], -1
                                        ; implicit-def: $sgpr10
	s_and_saveexec_b64 s[8:9], s[12:13]
; %bb.4062:
	s_mov_b32 s10, 0x7f800001
	s_xor_b64 s[4:5], exec, -1
; %bb.4063:
	s_or_b64 exec, exec, s[8:9]
	s_and_b64 s[4:5], s[4:5], exec
	s_or_saveexec_b64 s[6:7], s[6:7]
	v_mov_b32_e32 v1, s10
	s_xor_b64 exec, exec, s[6:7]
	s_cbranch_execz .LBB16_2014
.LBB16_4064:
	v_mov_b32_e32 v1, 0
	v_cmp_ne_u16_sdwa s[8:9], v2, v1 src0_sel:BYTE_3 src1_sel:DWORD
	s_andn2_b64 s[4:5], s[4:5], exec
	s_and_b64 s[8:9], s[8:9], exec
	s_or_b64 s[4:5], s[4:5], s[8:9]
	s_or_b64 exec, exec, s[6:7]
	s_and_saveexec_b64 s[6:7], s[4:5]
	s_cbranch_execnz .LBB16_2015
	s_branch .LBB16_2016
.LBB16_4065:
	s_movk_i32 s4, 0x80
	v_cmp_eq_u16_sdwa s[12:13], v7, s4 src0_sel:BYTE_0 src1_sel:DWORD
	s_mov_b64 s[4:5], -1
                                        ; implicit-def: $sgpr10
	s_and_saveexec_b64 s[8:9], s[12:13]
; %bb.4066:
	s_mov_b32 s10, 0x7f800001
	s_xor_b64 s[4:5], exec, -1
; %bb.4067:
	s_or_b64 exec, exec, s[8:9]
	s_and_b64 s[4:5], s[4:5], exec
	s_or_saveexec_b64 s[6:7], s[6:7]
	v_mov_b32_e32 v0, s10
	s_xor_b64 exec, exec, s[6:7]
	s_cbranch_execz .LBB16_2018
.LBB16_4068:
	v_mov_b32_e32 v0, 0
	v_cmp_ne_u16_sdwa s[8:9], v7, v0 src0_sel:BYTE_0 src1_sel:DWORD
	s_andn2_b64 s[4:5], s[4:5], exec
	s_and_b64 s[8:9], s[8:9], exec
	s_or_b64 s[4:5], s[4:5], s[8:9]
	s_or_b64 exec, exec, s[6:7]
	s_and_saveexec_b64 s[6:7], s[4:5]
	s_cbranch_execnz .LBB16_2019
	s_branch .LBB16_2020
.LBB16_4069:
	s_movk_i32 s4, 0x80
	v_cmp_eq_u16_sdwa s[12:13], v3, s4 src0_sel:BYTE_0 src1_sel:DWORD
	s_mov_b64 s[4:5], -1
                                        ; implicit-def: $sgpr10
	s_and_saveexec_b64 s[8:9], s[12:13]
; %bb.4070:
	s_mov_b32 s10, 0x7f800001
	s_xor_b64 s[4:5], exec, -1
; %bb.4071:
	s_or_b64 exec, exec, s[8:9]
	s_and_b64 s[4:5], s[4:5], exec
	s_or_saveexec_b64 s[6:7], s[6:7]
	v_mov_b32_e32 v1, s10
	s_xor_b64 exec, exec, s[6:7]
	s_cbranch_execz .LBB16_2022
.LBB16_4072:
	v_mov_b32_e32 v1, 0
	v_cmp_ne_u16_sdwa s[8:9], v3, v1 src0_sel:BYTE_0 src1_sel:DWORD
	s_andn2_b64 s[4:5], s[4:5], exec
	s_and_b64 s[8:9], s[8:9], exec
	s_or_b64 s[4:5], s[4:5], s[8:9]
	s_or_b64 exec, exec, s[6:7]
	s_and_saveexec_b64 s[6:7], s[4:5]
	s_cbranch_execnz .LBB16_2023
	s_branch .LBB16_2024
.LBB16_4073:
	s_movk_i32 s4, 0x80
	v_cmp_eq_u16_sdwa s[12:13], v1, s4 src0_sel:BYTE_0 src1_sel:DWORD
	s_mov_b64 s[4:5], -1
                                        ; implicit-def: $sgpr10
	s_and_saveexec_b64 s[8:9], s[12:13]
; %bb.4074:
	s_mov_b32 s10, 0x7f800001
	s_xor_b64 s[4:5], exec, -1
; %bb.4075:
	s_or_b64 exec, exec, s[8:9]
	s_and_b64 s[4:5], s[4:5], exec
	s_or_saveexec_b64 s[6:7], s[6:7]
	v_mov_b32_e32 v0, s10
	s_xor_b64 exec, exec, s[6:7]
	s_cbranch_execz .LBB16_2026
.LBB16_4076:
	v_mov_b32_e32 v0, 0
	v_cmp_ne_u16_sdwa s[8:9], v1, v0 src0_sel:BYTE_0 src1_sel:DWORD
	s_andn2_b64 s[4:5], s[4:5], exec
	s_and_b64 s[8:9], s[8:9], exec
	s_or_b64 s[4:5], s[4:5], s[8:9]
	s_or_b64 exec, exec, s[6:7]
	s_and_saveexec_b64 s[6:7], s[4:5]
	s_cbranch_execnz .LBB16_2027
	s_branch .LBB16_2028
.LBB16_4077:
	s_movk_i32 s4, 0x80
	v_cmp_eq_u16_sdwa s[12:13], v1, s4 src0_sel:BYTE_0 src1_sel:DWORD
	s_mov_b64 s[4:5], -1
                                        ; implicit-def: $sgpr10
	s_and_saveexec_b64 s[8:9], s[12:13]
; %bb.4078:
	s_mov_b32 s10, 0x7f800001
	s_xor_b64 s[4:5], exec, -1
; %bb.4079:
	s_or_b64 exec, exec, s[8:9]
	s_and_b64 s[4:5], s[4:5], exec
	s_or_saveexec_b64 s[6:7], s[6:7]
	v_mov_b32_e32 v2, s10
	s_xor_b64 exec, exec, s[6:7]
	s_cbranch_execz .LBB16_2030
.LBB16_4080:
	v_mov_b32_e32 v2, 0
	v_cmp_ne_u16_sdwa s[8:9], v1, v2 src0_sel:BYTE_0 src1_sel:DWORD
	s_andn2_b64 s[4:5], s[4:5], exec
	s_and_b64 s[8:9], s[8:9], exec
	s_or_b64 s[4:5], s[4:5], s[8:9]
	s_or_b64 exec, exec, s[6:7]
	s_and_saveexec_b64 s[6:7], s[4:5]
	s_cbranch_execnz .LBB16_2031
	s_branch .LBB16_2032
.LBB16_4081:
	s_movk_i32 s4, 0x80
	v_cmp_eq_u16_e32 vcc, s4, v1
	s_mov_b64 s[4:5], -1
                                        ; implicit-def: $sgpr10
	s_and_saveexec_b64 s[8:9], vcc
; %bb.4082:
	s_mov_b32 s10, 0x7f800001
	s_xor_b64 s[4:5], exec, -1
; %bb.4083:
	s_or_b64 exec, exec, s[8:9]
	s_and_b64 s[4:5], s[4:5], exec
                                        ; implicit-def: $vgpr1
	s_or_saveexec_b64 s[6:7], s[6:7]
	v_mov_b32_e32 v0, s10
	s_xor_b64 exec, exec, s[6:7]
	s_cbranch_execz .LBB16_2034
.LBB16_4084:
	v_cmp_ne_u16_e32 vcc, 0, v1
	s_andn2_b64 s[4:5], s[4:5], exec
	s_and_b64 s[8:9], vcc, exec
	v_mov_b32_e32 v0, 0
	s_or_b64 s[4:5], s[4:5], s[8:9]
	s_or_b64 exec, exec, s[6:7]
	s_and_saveexec_b64 s[6:7], s[4:5]
	s_cbranch_execnz .LBB16_2035
	s_branch .LBB16_2036
.LBB16_4085:
	s_movk_i32 s4, 0x80
	v_cmp_eq_u16_e32 vcc, s4, v1
	s_mov_b64 s[4:5], -1
                                        ; implicit-def: $sgpr10
	s_and_saveexec_b64 s[8:9], vcc
; %bb.4086:
	s_mov_b32 s10, 0x7f800001
	s_xor_b64 s[4:5], exec, -1
; %bb.4087:
	s_or_b64 exec, exec, s[8:9]
	s_and_b64 s[4:5], s[4:5], exec
                                        ; implicit-def: $vgpr1
	s_or_saveexec_b64 s[6:7], s[6:7]
	v_mov_b32_e32 v2, s10
	s_xor_b64 exec, exec, s[6:7]
	s_cbranch_execz .LBB16_2038
.LBB16_4088:
	v_cmp_ne_u16_e32 vcc, 0, v1
	s_andn2_b64 s[4:5], s[4:5], exec
	s_and_b64 s[8:9], vcc, exec
	v_mov_b32_e32 v2, 0
	s_or_b64 s[4:5], s[4:5], s[8:9]
	s_or_b64 exec, exec, s[6:7]
	s_and_saveexec_b64 s[6:7], s[4:5]
	s_cbranch_execnz .LBB16_2039
	s_branch .LBB16_2040
.LBB16_4089:
	s_movk_i32 s4, 0x80
	v_cmp_eq_u16_sdwa s[12:13], v7, s4 src0_sel:BYTE_3 src1_sel:DWORD
	s_mov_b64 s[4:5], -1
                                        ; implicit-def: $sgpr10
	s_and_saveexec_b64 s[8:9], s[12:13]
; %bb.4090:
	s_mov_b32 s10, 0x7f800001
	s_xor_b64 s[4:5], exec, -1
; %bb.4091:
	s_or_b64 exec, exec, s[8:9]
	s_and_b64 s[4:5], s[4:5], exec
	s_or_saveexec_b64 s[6:7], s[6:7]
	v_mov_b32_e32 v0, s10
	s_xor_b64 exec, exec, s[6:7]
	s_cbranch_execz .LBB16_2042
.LBB16_4092:
	v_mov_b32_e32 v0, 0
	v_cmp_ne_u16_sdwa s[8:9], v7, v0 src0_sel:BYTE_3 src1_sel:DWORD
	s_andn2_b64 s[4:5], s[4:5], exec
	s_and_b64 s[8:9], s[8:9], exec
	s_or_b64 s[4:5], s[4:5], s[8:9]
	s_or_b64 exec, exec, s[6:7]
	s_and_saveexec_b64 s[6:7], s[4:5]
	s_cbranch_execnz .LBB16_2043
	s_branch .LBB16_2044
.LBB16_4093:
	s_movk_i32 s4, 0x80
	v_cmp_eq_u16_sdwa s[12:13], v3, s4 src0_sel:BYTE_3 src1_sel:DWORD
	s_mov_b64 s[4:5], -1
                                        ; implicit-def: $sgpr10
	s_and_saveexec_b64 s[8:9], s[12:13]
; %bb.4094:
	s_mov_b32 s10, 0x7f800001
	s_xor_b64 s[4:5], exec, -1
; %bb.4095:
	s_or_b64 exec, exec, s[8:9]
	s_and_b64 s[4:5], s[4:5], exec
	s_or_saveexec_b64 s[6:7], s[6:7]
	v_mov_b32_e32 v1, s10
	s_xor_b64 exec, exec, s[6:7]
	s_cbranch_execz .LBB16_2046
.LBB16_4096:
	v_mov_b32_e32 v1, 0
	v_cmp_ne_u16_sdwa s[8:9], v3, v1 src0_sel:BYTE_3 src1_sel:DWORD
	s_andn2_b64 s[4:5], s[4:5], exec
	s_and_b64 s[8:9], s[8:9], exec
	s_or_b64 s[4:5], s[4:5], s[8:9]
	s_or_b64 exec, exec, s[6:7]
	s_and_saveexec_b64 s[6:7], s[4:5]
	s_cbranch_execnz .LBB16_2047
	s_branch .LBB16_2048
.Lfunc_end16:
	.size	_ZNK2ck6detail7applierIiJLi0ELi1ELi2ELi3ELi4ELi5ELi6ELi7EEEclIZNKS_11static_fordINS_8SequenceIJLi1ELi8EEEENS5_IJLi0ELi1EEEEEclIZZZNKS_52BlockwiseGemmXdlops_pipeline_bpreshuffle_bdequant_v3ILNS_26BlockGemmPipelineSchedulerE0ELi256ENS_9f8_fnuz_tENS_7pk_i4_tESC_fNS_16TensorDescriptorINS_5TupleIJNS_5EmbedINSF_IJNS_17integral_constantIiLi8EEENSH_IiLi256EEENSH_IiLi16EEEEEENSF_IJSK_NSH_IiLi128EEENSH_IiLi1EEEEEELb0EEENS_3XorINSF_IJSJ_SI_EEELb1EEENS_11PassThroughISK_EENS_7UnMergeINSF_IJSI_SN_EEELb0EEENST_ISJ_EESU_NST_ISI_EENS_21Merge_v3_division_modINSF_IJSJ_SN_EEEEESU_EEENSF_IJNS5_IJLi0EEEENS5_IJLi2ELi1EEEENS5_IJLi3EEEENS5_IJLi5EEEENS5_IJLi4EEEENS5_IJLi6EEEENS5_IJLi7EEEENS5_IJLi9ELi8EEEENS5_IJLi10EEEEEEENSF_IJNS5_IJLi1ELi2ELi3EEEENS5_IJLi4ELi5EEEES19_NS5_IJLi7ELi8EEEENS5_IJLi9EEEES1C_NS5_IJLi11EEEENS5_IJLi12EEEENS5_IJLi13EEEEEEENS5_IJLi11ELi12ELi13EEEENSH_IlLl32768EEEEENSE_INSF_IJNSV_INSF_IJSI_SN_SN_NSH_IiLi32EEEEEELb0EEEEEENSF_IJS14_EEENSF_IJNS5_IJLi1ELi2ELi3ELi4EEEEEEES1U_NSH_IlLl256EEEEENSE_INSF_IJSP_SS_SU_SX_SY_SU_SZ_S12_SU_NS10_INSF_IJSI_SK_EEEEENSV_INSF_IJSI_NSH_IiLi2EEESK_EEELb0EEEEEENSF_IJS14_S15_S16_S17_S18_S19_S1A_S1B_S1C_NS5_IJLi11ELi13EEEES1J_EEENSF_IJS1E_S1F_S19_S1G_S1H_S1C_S1I_S1J_S1K_NS5_IJLi14EEEENS5_IJLi15ELi16ELi17EEEEEEENS5_IJLi15ELi16ELi17ELi14EEEES1N_EENSE_INSF_IJS1R_NS10_ISW_EES22_EEENSF_IJS14_NS5_IJLi1ELi3EEEENS5_IJLi2EEEEEEENSF_IJS1U_S17_NS5_IJLi6ELi7ELi8EEEEEEENS5_IJLi6ELi7ELi8ELi5EEEES1W_EELi16ELi32ELi256ELi256ELi128ELi16ELi16ELi8ELi8ELi32ELb0EE3RunILb1ELNS_10TailNumberE0ENSE_INSF_IJNSG_INSF_IJiiEEENSF_IJiSN_EEELb0EEENSV_IS2N_Lb0EEENST_IiEEEEENSF_IJS14_S2E_NS5_IJLi1EEEEEEENSF_IJNS5_IJLi1ELi2EEEENS5_IJLi3ELi4EEEES17_EEENS5_IJLi3ELi5ELi4EEEElEES1O_NS_35ThreadGroupTensorSliceTransfer_v4r1INS_15ThisThreadBlockILi256EEENS_16tensor_operation12element_wise11PassThroughES35_LNS_25InMemoryDataOperationEnumE0ENS5_IJLi8ELi256ELi16EEEENS5_IJLi8ELi32ELi1EEEENS5_IJLi1ELi0ELi2EEEESC_SC_RKS2Z_KS1O_S39_NS5_IJLi0ELi1ELi2EEEELi2ELi2ELi16ELi16ELi1ELi1ELb0ELb1ELi2EiEENS_13DynamicBufferILNS_16AddressSpaceEnumE1EKSC_lLb1ELNS_22AmdBufferCoherenceEnumE0EiEENSF_IJNS3F_ILS3G_2ESC_S1N_Lb1ELS3I_0EiEES3K_EEENSF_IJiiiEEENSE_INSF_IJNSG_INSF_IJiiiiEEENSF_IJiiiSN_EEELb0EEEEEES1T_S1V_S1U_lEENS_32ThreadwiseTensorSliceTransfer_v2ISD_SD_RKS3R_KS1X_NS5_IJLi8ELi1ELi1ELi32EEEENS5_IJLi1ELi2ELi0ELi3EEEELi3ELi32ELi0ELb1ELb0ELb0EEENS3F_ILS3G_1EKSD_lLb1ELS3I_0EiEENSF_IJNS_12StaticBufferILS3G_4ESD_Li256ELb1EEES42_EEES3N_NS_25StaticBufferTupleOfVectorILS3G_4EfLi64ELi4ELb1ELb0EEEEEvRKT1_RKT2_RT3_RKT4_RT5_RKT6_RKT7_RT8_RKT9_RT10_RKT11_RT12_iENKUlT_T0_E_clISN_NSH_IiLi0EEEEEDaS51_S52_ENKUlS51_E_clINSH_IiLi6EEEEEDaS51_EUlS51_E_EEvS51_EUlS51_E_EEvS51_, .Lfunc_end16-_ZNK2ck6detail7applierIiJLi0ELi1ELi2ELi3ELi4ELi5ELi6ELi7EEEclIZNKS_11static_fordINS_8SequenceIJLi1ELi8EEEENS5_IJLi0ELi1EEEEEclIZZZNKS_52BlockwiseGemmXdlops_pipeline_bpreshuffle_bdequant_v3ILNS_26BlockGemmPipelineSchedulerE0ELi256ENS_9f8_fnuz_tENS_7pk_i4_tESC_fNS_16TensorDescriptorINS_5TupleIJNS_5EmbedINSF_IJNS_17integral_constantIiLi8EEENSH_IiLi256EEENSH_IiLi16EEEEEENSF_IJSK_NSH_IiLi128EEENSH_IiLi1EEEEEELb0EEENS_3XorINSF_IJSJ_SI_EEELb1EEENS_11PassThroughISK_EENS_7UnMergeINSF_IJSI_SN_EEELb0EEENST_ISJ_EESU_NST_ISI_EENS_21Merge_v3_division_modINSF_IJSJ_SN_EEEEESU_EEENSF_IJNS5_IJLi0EEEENS5_IJLi2ELi1EEEENS5_IJLi3EEEENS5_IJLi5EEEENS5_IJLi4EEEENS5_IJLi6EEEENS5_IJLi7EEEENS5_IJLi9ELi8EEEENS5_IJLi10EEEEEEENSF_IJNS5_IJLi1ELi2ELi3EEEENS5_IJLi4ELi5EEEES19_NS5_IJLi7ELi8EEEENS5_IJLi9EEEES1C_NS5_IJLi11EEEENS5_IJLi12EEEENS5_IJLi13EEEEEEENS5_IJLi11ELi12ELi13EEEENSH_IlLl32768EEEEENSE_INSF_IJNSV_INSF_IJSI_SN_SN_NSH_IiLi32EEEEEELb0EEEEEENSF_IJS14_EEENSF_IJNS5_IJLi1ELi2ELi3ELi4EEEEEEES1U_NSH_IlLl256EEEEENSE_INSF_IJSP_SS_SU_SX_SY_SU_SZ_S12_SU_NS10_INSF_IJSI_SK_EEEEENSV_INSF_IJSI_NSH_IiLi2EEESK_EEELb0EEEEEENSF_IJS14_S15_S16_S17_S18_S19_S1A_S1B_S1C_NS5_IJLi11ELi13EEEES1J_EEENSF_IJS1E_S1F_S19_S1G_S1H_S1C_S1I_S1J_S1K_NS5_IJLi14EEEENS5_IJLi15ELi16ELi17EEEEEEENS5_IJLi15ELi16ELi17ELi14EEEES1N_EENSE_INSF_IJS1R_NS10_ISW_EES22_EEENSF_IJS14_NS5_IJLi1ELi3EEEENS5_IJLi2EEEEEEENSF_IJS1U_S17_NS5_IJLi6ELi7ELi8EEEEEEENS5_IJLi6ELi7ELi8ELi5EEEES1W_EELi16ELi32ELi256ELi256ELi128ELi16ELi16ELi8ELi8ELi32ELb0EE3RunILb1ELNS_10TailNumberE0ENSE_INSF_IJNSG_INSF_IJiiEEENSF_IJiSN_EEELb0EEENSV_IS2N_Lb0EEENST_IiEEEEENSF_IJS14_S2E_NS5_IJLi1EEEEEEENSF_IJNS5_IJLi1ELi2EEEENS5_IJLi3ELi4EEEES17_EEENS5_IJLi3ELi5ELi4EEEElEES1O_NS_35ThreadGroupTensorSliceTransfer_v4r1INS_15ThisThreadBlockILi256EEENS_16tensor_operation12element_wise11PassThroughES35_LNS_25InMemoryDataOperationEnumE0ENS5_IJLi8ELi256ELi16EEEENS5_IJLi8ELi32ELi1EEEENS5_IJLi1ELi0ELi2EEEESC_SC_RKS2Z_KS1O_S39_NS5_IJLi0ELi1ELi2EEEELi2ELi2ELi16ELi16ELi1ELi1ELb0ELb1ELi2EiEENS_13DynamicBufferILNS_16AddressSpaceEnumE1EKSC_lLb1ELNS_22AmdBufferCoherenceEnumE0EiEENSF_IJNS3F_ILS3G_2ESC_S1N_Lb1ELS3I_0EiEES3K_EEENSF_IJiiiEEENSE_INSF_IJNSG_INSF_IJiiiiEEENSF_IJiiiSN_EEELb0EEEEEES1T_S1V_S1U_lEENS_32ThreadwiseTensorSliceTransfer_v2ISD_SD_RKS3R_KS1X_NS5_IJLi8ELi1ELi1ELi32EEEENS5_IJLi1ELi2ELi0ELi3EEEELi3ELi32ELi0ELb1ELb0ELb0EEENS3F_ILS3G_1EKSD_lLb1ELS3I_0EiEENSF_IJNS_12StaticBufferILS3G_4ESD_Li256ELb1EEES42_EEES3N_NS_25StaticBufferTupleOfVectorILS3G_4EfLi64ELi4ELb1ELb0EEEEEvRKT1_RKT2_RT3_RKT4_RT5_RKT6_RKT7_RT8_RKT9_RT10_RKT11_RT12_iENKUlT_T0_E_clISN_NSH_IiLi0EEEEEDaS51_S52_ENKUlS51_E_clINSH_IiLi6EEEEEDaS51_EUlS51_E_EEvS51_EUlS51_E_EEvS51_
                                        ; -- End function
	.section	.AMDGPU.csdata,"",@progbits
; Function info:
; codeLenInByte = 133608
; NumSgprs: 36
; NumVgprs: 26
; NumAgprs: 4
; TotalNumVgprs: 32
; ScratchSize: 0
; MemoryBound: 1
	.text
	.p2align	2                               ; -- Begin function _ZNK2ck6detail7applierIiJLi0ELi1ELi2ELi3ELi4ELi5ELi6ELi7EEEclIZNKS_11static_fordINS_8SequenceIJLi1ELi8EEEENS5_IJLi0ELi1EEEEEclIZZZNKS_52BlockwiseGemmXdlops_pipeline_bpreshuffle_bdequant_v3ILNS_26BlockGemmPipelineSchedulerE0ELi256ENS_9f8_fnuz_tENS_7pk_i4_tESC_fNS_16TensorDescriptorINS_5TupleIJNS_5EmbedINSF_IJNS_17integral_constantIiLi8EEENSH_IiLi256EEENSH_IiLi16EEEEEENSF_IJSK_NSH_IiLi128EEENSH_IiLi1EEEEEELb0EEENS_3XorINSF_IJSJ_SI_EEELb1EEENS_11PassThroughISK_EENS_7UnMergeINSF_IJSI_SN_EEELb0EEENST_ISJ_EESU_NST_ISI_EENS_21Merge_v3_division_modINSF_IJSJ_SN_EEEEESU_EEENSF_IJNS5_IJLi0EEEENS5_IJLi2ELi1EEEENS5_IJLi3EEEENS5_IJLi5EEEENS5_IJLi4EEEENS5_IJLi6EEEENS5_IJLi7EEEENS5_IJLi9ELi8EEEENS5_IJLi10EEEEEEENSF_IJNS5_IJLi1ELi2ELi3EEEENS5_IJLi4ELi5EEEES19_NS5_IJLi7ELi8EEEENS5_IJLi9EEEES1C_NS5_IJLi11EEEENS5_IJLi12EEEENS5_IJLi13EEEEEEENS5_IJLi11ELi12ELi13EEEENSH_IlLl32768EEEEENSE_INSF_IJNSV_INSF_IJSI_SN_SN_NSH_IiLi32EEEEEELb0EEEEEENSF_IJS14_EEENSF_IJNS5_IJLi1ELi2ELi3ELi4EEEEEEES1U_NSH_IlLl256EEEEENSE_INSF_IJSP_SS_SU_SX_SY_SU_SZ_S12_SU_NS10_INSF_IJSI_SK_EEEEENSV_INSF_IJSI_NSH_IiLi2EEESK_EEELb0EEEEEENSF_IJS14_S15_S16_S17_S18_S19_S1A_S1B_S1C_NS5_IJLi11ELi13EEEES1J_EEENSF_IJS1E_S1F_S19_S1G_S1H_S1C_S1I_S1J_S1K_NS5_IJLi14EEEENS5_IJLi15ELi16ELi17EEEEEEENS5_IJLi15ELi16ELi17ELi14EEEES1N_EENSE_INSF_IJS1R_NS10_ISW_EES22_EEENSF_IJS14_NS5_IJLi1ELi3EEEENS5_IJLi2EEEEEEENSF_IJS1U_S17_NS5_IJLi6ELi7ELi8EEEEEEENS5_IJLi6ELi7ELi8ELi5EEEES1W_EELi16ELi32ELi256ELi256ELi128ELi16ELi16ELi8ELi8ELi32ELb0EE3RunILb1ELNS_10TailNumberE0ENSE_INSF_IJNSG_INSF_IJiiEEENSF_IJiSN_EEELb0EEENSV_IS2N_Lb0EEENST_IiEEEEENSF_IJS14_S2E_NS5_IJLi1EEEEEEENSF_IJNS5_IJLi1ELi2EEEENS5_IJLi3ELi4EEEES17_EEENS5_IJLi3ELi5ELi4EEEElEES1O_NS_35ThreadGroupTensorSliceTransfer_v4r1INS_15ThisThreadBlockILi256EEENS_16tensor_operation12element_wise11PassThroughES35_LNS_25InMemoryDataOperationEnumE0ENS5_IJLi8ELi256ELi16EEEENS5_IJLi8ELi32ELi1EEEENS5_IJLi1ELi0ELi2EEEESC_SC_RKS2Z_KS1O_S39_NS5_IJLi0ELi1ELi2EEEELi2ELi2ELi16ELi16ELi1ELi1ELb0ELb1ELi2EiEENS_13DynamicBufferILNS_16AddressSpaceEnumE1EKSC_lLb1ELNS_22AmdBufferCoherenceEnumE0EiEENSF_IJNS3F_ILS3G_2ESC_S1N_Lb1ELS3I_0EiEES3K_EEENSF_IJiiiEEENSE_INSF_IJNSG_INSF_IJiiiiEEENSF_IJiiiSN_EEELb0EEEEEES1T_S1V_S1U_lEENS_32ThreadwiseTensorSliceTransfer_v2ISD_SD_RKS3R_KS1X_NS5_IJLi8ELi1ELi1ELi32EEEENS5_IJLi1ELi2ELi0ELi3EEEELi3ELi32ELi0ELb1ELb0ELb0EEENS3F_ILS3G_1EKSD_lLb1ELS3I_0EiEENSF_IJNS_12StaticBufferILS3G_4ESD_Li256ELb1EEES42_EEES3N_NS_25StaticBufferTupleOfVectorILS3G_4EfLi64ELi4ELb1ELb0EEEEEvRKT1_RKT2_RT3_RKT4_RT5_RKT6_RKT7_RT8_RKT9_RT10_RKT11_RT12_iENKUlT_T0_E_clISN_NSH_IiLi0EEEEEDaS51_S52_ENKUlS51_E_clINSH_IiLi7EEEEEDaS51_EUlS51_E_EEvS51_EUlS51_E_EEvS51_
	.type	_ZNK2ck6detail7applierIiJLi0ELi1ELi2ELi3ELi4ELi5ELi6ELi7EEEclIZNKS_11static_fordINS_8SequenceIJLi1ELi8EEEENS5_IJLi0ELi1EEEEEclIZZZNKS_52BlockwiseGemmXdlops_pipeline_bpreshuffle_bdequant_v3ILNS_26BlockGemmPipelineSchedulerE0ELi256ENS_9f8_fnuz_tENS_7pk_i4_tESC_fNS_16TensorDescriptorINS_5TupleIJNS_5EmbedINSF_IJNS_17integral_constantIiLi8EEENSH_IiLi256EEENSH_IiLi16EEEEEENSF_IJSK_NSH_IiLi128EEENSH_IiLi1EEEEEELb0EEENS_3XorINSF_IJSJ_SI_EEELb1EEENS_11PassThroughISK_EENS_7UnMergeINSF_IJSI_SN_EEELb0EEENST_ISJ_EESU_NST_ISI_EENS_21Merge_v3_division_modINSF_IJSJ_SN_EEEEESU_EEENSF_IJNS5_IJLi0EEEENS5_IJLi2ELi1EEEENS5_IJLi3EEEENS5_IJLi5EEEENS5_IJLi4EEEENS5_IJLi6EEEENS5_IJLi7EEEENS5_IJLi9ELi8EEEENS5_IJLi10EEEEEEENSF_IJNS5_IJLi1ELi2ELi3EEEENS5_IJLi4ELi5EEEES19_NS5_IJLi7ELi8EEEENS5_IJLi9EEEES1C_NS5_IJLi11EEEENS5_IJLi12EEEENS5_IJLi13EEEEEEENS5_IJLi11ELi12ELi13EEEENSH_IlLl32768EEEEENSE_INSF_IJNSV_INSF_IJSI_SN_SN_NSH_IiLi32EEEEEELb0EEEEEENSF_IJS14_EEENSF_IJNS5_IJLi1ELi2ELi3ELi4EEEEEEES1U_NSH_IlLl256EEEEENSE_INSF_IJSP_SS_SU_SX_SY_SU_SZ_S12_SU_NS10_INSF_IJSI_SK_EEEEENSV_INSF_IJSI_NSH_IiLi2EEESK_EEELb0EEEEEENSF_IJS14_S15_S16_S17_S18_S19_S1A_S1B_S1C_NS5_IJLi11ELi13EEEES1J_EEENSF_IJS1E_S1F_S19_S1G_S1H_S1C_S1I_S1J_S1K_NS5_IJLi14EEEENS5_IJLi15ELi16ELi17EEEEEEENS5_IJLi15ELi16ELi17ELi14EEEES1N_EENSE_INSF_IJS1R_NS10_ISW_EES22_EEENSF_IJS14_NS5_IJLi1ELi3EEEENS5_IJLi2EEEEEEENSF_IJS1U_S17_NS5_IJLi6ELi7ELi8EEEEEEENS5_IJLi6ELi7ELi8ELi5EEEES1W_EELi16ELi32ELi256ELi256ELi128ELi16ELi16ELi8ELi8ELi32ELb0EE3RunILb1ELNS_10TailNumberE0ENSE_INSF_IJNSG_INSF_IJiiEEENSF_IJiSN_EEELb0EEENSV_IS2N_Lb0EEENST_IiEEEEENSF_IJS14_S2E_NS5_IJLi1EEEEEEENSF_IJNS5_IJLi1ELi2EEEENS5_IJLi3ELi4EEEES17_EEENS5_IJLi3ELi5ELi4EEEElEES1O_NS_35ThreadGroupTensorSliceTransfer_v4r1INS_15ThisThreadBlockILi256EEENS_16tensor_operation12element_wise11PassThroughES35_LNS_25InMemoryDataOperationEnumE0ENS5_IJLi8ELi256ELi16EEEENS5_IJLi8ELi32ELi1EEEENS5_IJLi1ELi0ELi2EEEESC_SC_RKS2Z_KS1O_S39_NS5_IJLi0ELi1ELi2EEEELi2ELi2ELi16ELi16ELi1ELi1ELb0ELb1ELi2EiEENS_13DynamicBufferILNS_16AddressSpaceEnumE1EKSC_lLb1ELNS_22AmdBufferCoherenceEnumE0EiEENSF_IJNS3F_ILS3G_2ESC_S1N_Lb1ELS3I_0EiEES3K_EEENSF_IJiiiEEENSE_INSF_IJNSG_INSF_IJiiiiEEENSF_IJiiiSN_EEELb0EEEEEES1T_S1V_S1U_lEENS_32ThreadwiseTensorSliceTransfer_v2ISD_SD_RKS3R_KS1X_NS5_IJLi8ELi1ELi1ELi32EEEENS5_IJLi1ELi2ELi0ELi3EEEELi3ELi32ELi0ELb1ELb0ELb0EEENS3F_ILS3G_1EKSD_lLb1ELS3I_0EiEENSF_IJNS_12StaticBufferILS3G_4ESD_Li256ELb1EEES42_EEES3N_NS_25StaticBufferTupleOfVectorILS3G_4EfLi64ELi4ELb1ELb0EEEEEvRKT1_RKT2_RT3_RKT4_RT5_RKT6_RKT7_RT8_RKT9_RT10_RKT11_RT12_iENKUlT_T0_E_clISN_NSH_IiLi0EEEEEDaS51_S52_ENKUlS51_E_clINSH_IiLi7EEEEEDaS51_EUlS51_E_EEvS51_EUlS51_E_EEvS51_,@function
_ZNK2ck6detail7applierIiJLi0ELi1ELi2ELi3ELi4ELi5ELi6ELi7EEEclIZNKS_11static_fordINS_8SequenceIJLi1ELi8EEEENS5_IJLi0ELi1EEEEEclIZZZNKS_52BlockwiseGemmXdlops_pipeline_bpreshuffle_bdequant_v3ILNS_26BlockGemmPipelineSchedulerE0ELi256ENS_9f8_fnuz_tENS_7pk_i4_tESC_fNS_16TensorDescriptorINS_5TupleIJNS_5EmbedINSF_IJNS_17integral_constantIiLi8EEENSH_IiLi256EEENSH_IiLi16EEEEEENSF_IJSK_NSH_IiLi128EEENSH_IiLi1EEEEEELb0EEENS_3XorINSF_IJSJ_SI_EEELb1EEENS_11PassThroughISK_EENS_7UnMergeINSF_IJSI_SN_EEELb0EEENST_ISJ_EESU_NST_ISI_EENS_21Merge_v3_division_modINSF_IJSJ_SN_EEEEESU_EEENSF_IJNS5_IJLi0EEEENS5_IJLi2ELi1EEEENS5_IJLi3EEEENS5_IJLi5EEEENS5_IJLi4EEEENS5_IJLi6EEEENS5_IJLi7EEEENS5_IJLi9ELi8EEEENS5_IJLi10EEEEEEENSF_IJNS5_IJLi1ELi2ELi3EEEENS5_IJLi4ELi5EEEES19_NS5_IJLi7ELi8EEEENS5_IJLi9EEEES1C_NS5_IJLi11EEEENS5_IJLi12EEEENS5_IJLi13EEEEEEENS5_IJLi11ELi12ELi13EEEENSH_IlLl32768EEEEENSE_INSF_IJNSV_INSF_IJSI_SN_SN_NSH_IiLi32EEEEEELb0EEEEEENSF_IJS14_EEENSF_IJNS5_IJLi1ELi2ELi3ELi4EEEEEEES1U_NSH_IlLl256EEEEENSE_INSF_IJSP_SS_SU_SX_SY_SU_SZ_S12_SU_NS10_INSF_IJSI_SK_EEEEENSV_INSF_IJSI_NSH_IiLi2EEESK_EEELb0EEEEEENSF_IJS14_S15_S16_S17_S18_S19_S1A_S1B_S1C_NS5_IJLi11ELi13EEEES1J_EEENSF_IJS1E_S1F_S19_S1G_S1H_S1C_S1I_S1J_S1K_NS5_IJLi14EEEENS5_IJLi15ELi16ELi17EEEEEEENS5_IJLi15ELi16ELi17ELi14EEEES1N_EENSE_INSF_IJS1R_NS10_ISW_EES22_EEENSF_IJS14_NS5_IJLi1ELi3EEEENS5_IJLi2EEEEEEENSF_IJS1U_S17_NS5_IJLi6ELi7ELi8EEEEEEENS5_IJLi6ELi7ELi8ELi5EEEES1W_EELi16ELi32ELi256ELi256ELi128ELi16ELi16ELi8ELi8ELi32ELb0EE3RunILb1ELNS_10TailNumberE0ENSE_INSF_IJNSG_INSF_IJiiEEENSF_IJiSN_EEELb0EEENSV_IS2N_Lb0EEENST_IiEEEEENSF_IJS14_S2E_NS5_IJLi1EEEEEEENSF_IJNS5_IJLi1ELi2EEEENS5_IJLi3ELi4EEEES17_EEENS5_IJLi3ELi5ELi4EEEElEES1O_NS_35ThreadGroupTensorSliceTransfer_v4r1INS_15ThisThreadBlockILi256EEENS_16tensor_operation12element_wise11PassThroughES35_LNS_25InMemoryDataOperationEnumE0ENS5_IJLi8ELi256ELi16EEEENS5_IJLi8ELi32ELi1EEEENS5_IJLi1ELi0ELi2EEEESC_SC_RKS2Z_KS1O_S39_NS5_IJLi0ELi1ELi2EEEELi2ELi2ELi16ELi16ELi1ELi1ELb0ELb1ELi2EiEENS_13DynamicBufferILNS_16AddressSpaceEnumE1EKSC_lLb1ELNS_22AmdBufferCoherenceEnumE0EiEENSF_IJNS3F_ILS3G_2ESC_S1N_Lb1ELS3I_0EiEES3K_EEENSF_IJiiiEEENSE_INSF_IJNSG_INSF_IJiiiiEEENSF_IJiiiSN_EEELb0EEEEEES1T_S1V_S1U_lEENS_32ThreadwiseTensorSliceTransfer_v2ISD_SD_RKS3R_KS1X_NS5_IJLi8ELi1ELi1ELi32EEEENS5_IJLi1ELi2ELi0ELi3EEEELi3ELi32ELi0ELb1ELb0ELb0EEENS3F_ILS3G_1EKSD_lLb1ELS3I_0EiEENSF_IJNS_12StaticBufferILS3G_4ESD_Li256ELb1EEES42_EEES3N_NS_25StaticBufferTupleOfVectorILS3G_4EfLi64ELi4ELb1ELb0EEEEEvRKT1_RKT2_RT3_RKT4_RT5_RKT6_RKT7_RT8_RKT9_RT10_RKT11_RT12_iENKUlT_T0_E_clISN_NSH_IiLi0EEEEEDaS51_S52_ENKUlS51_E_clINSH_IiLi7EEEEEDaS51_EUlS51_E_EEvS51_EUlS51_E_EEvS51_: ; @_ZNK2ck6detail7applierIiJLi0ELi1ELi2ELi3ELi4ELi5ELi6ELi7EEEclIZNKS_11static_fordINS_8SequenceIJLi1ELi8EEEENS5_IJLi0ELi1EEEEEclIZZZNKS_52BlockwiseGemmXdlops_pipeline_bpreshuffle_bdequant_v3ILNS_26BlockGemmPipelineSchedulerE0ELi256ENS_9f8_fnuz_tENS_7pk_i4_tESC_fNS_16TensorDescriptorINS_5TupleIJNS_5EmbedINSF_IJNS_17integral_constantIiLi8EEENSH_IiLi256EEENSH_IiLi16EEEEEENSF_IJSK_NSH_IiLi128EEENSH_IiLi1EEEEEELb0EEENS_3XorINSF_IJSJ_SI_EEELb1EEENS_11PassThroughISK_EENS_7UnMergeINSF_IJSI_SN_EEELb0EEENST_ISJ_EESU_NST_ISI_EENS_21Merge_v3_division_modINSF_IJSJ_SN_EEEEESU_EEENSF_IJNS5_IJLi0EEEENS5_IJLi2ELi1EEEENS5_IJLi3EEEENS5_IJLi5EEEENS5_IJLi4EEEENS5_IJLi6EEEENS5_IJLi7EEEENS5_IJLi9ELi8EEEENS5_IJLi10EEEEEEENSF_IJNS5_IJLi1ELi2ELi3EEEENS5_IJLi4ELi5EEEES19_NS5_IJLi7ELi8EEEENS5_IJLi9EEEES1C_NS5_IJLi11EEEENS5_IJLi12EEEENS5_IJLi13EEEEEEENS5_IJLi11ELi12ELi13EEEENSH_IlLl32768EEEEENSE_INSF_IJNSV_INSF_IJSI_SN_SN_NSH_IiLi32EEEEEELb0EEEEEENSF_IJS14_EEENSF_IJNS5_IJLi1ELi2ELi3ELi4EEEEEEES1U_NSH_IlLl256EEEEENSE_INSF_IJSP_SS_SU_SX_SY_SU_SZ_S12_SU_NS10_INSF_IJSI_SK_EEEEENSV_INSF_IJSI_NSH_IiLi2EEESK_EEELb0EEEEEENSF_IJS14_S15_S16_S17_S18_S19_S1A_S1B_S1C_NS5_IJLi11ELi13EEEES1J_EEENSF_IJS1E_S1F_S19_S1G_S1H_S1C_S1I_S1J_S1K_NS5_IJLi14EEEENS5_IJLi15ELi16ELi17EEEEEEENS5_IJLi15ELi16ELi17ELi14EEEES1N_EENSE_INSF_IJS1R_NS10_ISW_EES22_EEENSF_IJS14_NS5_IJLi1ELi3EEEENS5_IJLi2EEEEEEENSF_IJS1U_S17_NS5_IJLi6ELi7ELi8EEEEEEENS5_IJLi6ELi7ELi8ELi5EEEES1W_EELi16ELi32ELi256ELi256ELi128ELi16ELi16ELi8ELi8ELi32ELb0EE3RunILb1ELNS_10TailNumberE0ENSE_INSF_IJNSG_INSF_IJiiEEENSF_IJiSN_EEELb0EEENSV_IS2N_Lb0EEENST_IiEEEEENSF_IJS14_S2E_NS5_IJLi1EEEEEEENSF_IJNS5_IJLi1ELi2EEEENS5_IJLi3ELi4EEEES17_EEENS5_IJLi3ELi5ELi4EEEElEES1O_NS_35ThreadGroupTensorSliceTransfer_v4r1INS_15ThisThreadBlockILi256EEENS_16tensor_operation12element_wise11PassThroughES35_LNS_25InMemoryDataOperationEnumE0ENS5_IJLi8ELi256ELi16EEEENS5_IJLi8ELi32ELi1EEEENS5_IJLi1ELi0ELi2EEEESC_SC_RKS2Z_KS1O_S39_NS5_IJLi0ELi1ELi2EEEELi2ELi2ELi16ELi16ELi1ELi1ELb0ELb1ELi2EiEENS_13DynamicBufferILNS_16AddressSpaceEnumE1EKSC_lLb1ELNS_22AmdBufferCoherenceEnumE0EiEENSF_IJNS3F_ILS3G_2ESC_S1N_Lb1ELS3I_0EiEES3K_EEENSF_IJiiiEEENSE_INSF_IJNSG_INSF_IJiiiiEEENSF_IJiiiSN_EEELb0EEEEEES1T_S1V_S1U_lEENS_32ThreadwiseTensorSliceTransfer_v2ISD_SD_RKS3R_KS1X_NS5_IJLi8ELi1ELi1ELi32EEEENS5_IJLi1ELi2ELi0ELi3EEEELi3ELi32ELi0ELb1ELb0ELb0EEENS3F_ILS3G_1EKSD_lLb1ELS3I_0EiEENSF_IJNS_12StaticBufferILS3G_4ESD_Li256ELb1EEES42_EEES3N_NS_25StaticBufferTupleOfVectorILS3G_4EfLi64ELi4ELb1ELb0EEEEEvRKT1_RKT2_RT3_RKT4_RT5_RKT6_RKT7_RT8_RKT9_RT10_RKT11_RT12_iENKUlT_T0_E_clISN_NSH_IiLi0EEEEEDaS51_S52_ENKUlS51_E_clINSH_IiLi7EEEEEDaS51_EUlS51_E_EEvS51_EUlS51_E_EEvS51_
; %bb.0:
	s_waitcnt vmcnt(0) expcnt(0) lgkmcnt(0)
	flat_load_dwordx4 v[20:23], v[0:1] offset:16
	flat_load_dwordx2 v[18:19], v[0:1] offset:32
	s_movk_i32 s4, 0x7f
                                        ; implicit-def: $sgpr10
	s_waitcnt vmcnt(0) lgkmcnt(0)
	flat_load_dwordx4 v[14:17], v[20:21] offset:32
	flat_load_dwordx4 v[6:9], v[20:21] offset:48
	;; [unrolled: 1-line block ×4, first 2 shown]
	s_waitcnt vmcnt(0) lgkmcnt(0)
	v_cmp_gt_i16_sdwa s[6:7], v14, s4 src0_sel:BYTE_0 src1_sel:DWORD
	s_mov_b64 s[4:5], 0
	s_and_saveexec_b64 s[8:9], s[6:7]
	s_xor_b64 s[6:7], exec, s[8:9]
	s_cbranch_execnz .LBB17_2049
; %bb.1:
	s_or_saveexec_b64 s[6:7], s[6:7]
	v_mov_b32_e32 v20, s10
	s_xor_b64 exec, exec, s[6:7]
	s_cbranch_execnz .LBB17_2052
.LBB17_2:
	s_or_b64 exec, exec, s[6:7]
	s_and_saveexec_b64 s[6:7], s[4:5]
	s_cbranch_execz .LBB17_4
.LBB17_3:
	v_and_b32_e32 v20, 7, v14
	v_ffbh_u32_e32 v22, v20
	v_min_u32_e32 v22, 32, v22
	v_lshrrev_b16_e32 v21, 3, v14
	v_subrev_u32_e32 v23, 28, v22
	v_and_b32_e32 v21, 15, v21
	v_lshlrev_b32_e32 v23, v23, v14
	v_sub_u32_e32 v22, 29, v22
	v_and_b32_e32 v23, 7, v23
	v_cmp_eq_u16_e32 vcc, 0, v21
	v_cndmask_b32_e32 v20, v20, v23, vcc
	v_cndmask_b32_e32 v21, v21, v22, vcc
	v_lshlrev_b32_e32 v22, 24, v14
	v_mov_b32_e32 v23, 0x3b800000
	v_lshlrev_b32_e32 v20, 20, v20
	v_and_b32_e32 v22, 0x80000000, v22
	v_lshl_add_u32 v21, v21, 23, v23
	v_or3_b32 v20, v22, v21, v20
.LBB17_4:
	s_or_b64 exec, exec, s[6:7]
	s_movk_i32 s4, 0x7f
	v_cmp_gt_i16_sdwa s[6:7], v10, s4 src0_sel:BYTE_0 src1_sel:DWORD
	s_mov_b64 s[4:5], 0
                                        ; implicit-def: $sgpr10
	s_and_saveexec_b64 s[8:9], s[6:7]
	s_xor_b64 s[6:7], exec, s[8:9]
	s_cbranch_execnz .LBB17_2053
; %bb.5:
	s_or_saveexec_b64 s[6:7], s[6:7]
	v_mov_b32_e32 v21, s10
	s_xor_b64 exec, exec, s[6:7]
	s_cbranch_execnz .LBB17_2056
.LBB17_6:
	s_or_b64 exec, exec, s[6:7]
	s_and_saveexec_b64 s[6:7], s[4:5]
	s_cbranch_execz .LBB17_8
.LBB17_7:
	v_and_b32_e32 v21, 7, v10
	v_ffbh_u32_e32 v23, v21
	v_min_u32_e32 v23, 32, v23
	v_lshrrev_b16_e32 v22, 3, v10
	v_subrev_u32_e32 v24, 28, v23
	v_and_b32_e32 v22, 15, v22
	v_lshlrev_b32_e32 v24, v24, v10
	v_sub_u32_e32 v23, 29, v23
	v_and_b32_e32 v24, 7, v24
	v_cmp_eq_u16_e32 vcc, 0, v22
	v_cndmask_b32_e32 v21, v21, v24, vcc
	v_cndmask_b32_e32 v22, v22, v23, vcc
	v_lshlrev_b32_e32 v23, 24, v10
	v_mov_b32_e32 v24, 0x3b800000
	v_lshlrev_b32_e32 v21, 20, v21
	v_and_b32_e32 v23, 0x80000000, v23
	v_lshl_add_u32 v22, v22, 23, v24
	v_or3_b32 v21, v23, v22, v21
.LBB17_8:
	s_or_b64 exec, exec, s[6:7]
	flat_load_dwordx4 a[0:3], v[18:19] offset:896
	s_movk_i32 s4, 0x7f
                                        ; implicit-def: $sgpr10
	s_waitcnt vmcnt(0) lgkmcnt(0)
	v_mfma_f32_16x16x4f32 a[0:3], v20, v21, a[0:3]
	v_lshrrev_b32_e32 v21, 8, v14
	v_cmp_gt_i16_sdwa s[6:7], v21, s4 src0_sel:BYTE_0 src1_sel:DWORD
	s_mov_b64 s[4:5], 0
	s_and_saveexec_b64 s[8:9], s[6:7]
	s_xor_b64 s[6:7], exec, s[8:9]
	s_cbranch_execnz .LBB17_2057
; %bb.9:
	s_or_saveexec_b64 s[6:7], s[6:7]
	v_mov_b32_e32 v20, s10
	s_xor_b64 exec, exec, s[6:7]
	s_cbranch_execnz .LBB17_2060
.LBB17_10:
	s_or_b64 exec, exec, s[6:7]
	s_and_saveexec_b64 s[6:7], s[4:5]
	s_cbranch_execz .LBB17_12
.LBB17_11:
	v_bfe_u32 v20, v14, 8, 3
	v_ffbh_u32_e32 v23, v20
	v_min_u32_e32 v23, 32, v23
	v_lshrrev_b16_e32 v22, 3, v21
	v_subrev_u32_e32 v24, 28, v23
	v_and_b32_e32 v22, 15, v22
	v_lshlrev_b32_e32 v21, v24, v21
	v_sub_u32_e32 v23, 29, v23
	v_and_b32_e32 v21, 7, v21
	v_cmp_eq_u16_e32 vcc, 0, v22
	v_cndmask_b32_e32 v20, v20, v21, vcc
	v_cndmask_b32_e32 v21, v22, v23, vcc
	v_lshlrev_b32_e32 v22, 16, v14
	v_mov_b32_e32 v23, 0x3b800000
	v_lshlrev_b32_e32 v20, 20, v20
	v_and_b32_e32 v22, 0x80000000, v22
	v_lshl_add_u32 v21, v21, 23, v23
	v_or3_b32 v20, v22, v21, v20
.LBB17_12:
	s_or_b64 exec, exec, s[6:7]
	v_lshrrev_b32_e32 v21, 8, v10
	s_movk_i32 s4, 0x7f
	v_cmp_gt_i16_sdwa s[6:7], v21, s4 src0_sel:BYTE_0 src1_sel:DWORD
	s_mov_b64 s[4:5], 0
                                        ; implicit-def: $sgpr10
	s_and_saveexec_b64 s[8:9], s[6:7]
	s_xor_b64 s[6:7], exec, s[8:9]
	s_cbranch_execnz .LBB17_2061
; %bb.13:
	s_or_saveexec_b64 s[6:7], s[6:7]
	v_mov_b32_e32 v22, s10
	s_xor_b64 exec, exec, s[6:7]
	s_cbranch_execnz .LBB17_2064
.LBB17_14:
	s_or_b64 exec, exec, s[6:7]
	s_and_saveexec_b64 s[6:7], s[4:5]
	s_cbranch_execz .LBB17_16
.LBB17_15:
	v_bfe_u32 v22, v10, 8, 3
	v_ffbh_u32_e32 v24, v22
	v_min_u32_e32 v24, 32, v24
	v_lshrrev_b16_e32 v23, 3, v21
	v_subrev_u32_e32 v25, 28, v24
	v_and_b32_e32 v23, 15, v23
	v_lshlrev_b32_e32 v21, v25, v21
	v_sub_u32_e32 v24, 29, v24
	v_and_b32_e32 v21, 7, v21
	v_cmp_eq_u16_e32 vcc, 0, v23
	v_cndmask_b32_e32 v21, v22, v21, vcc
	v_cndmask_b32_e32 v22, v23, v24, vcc
	v_lshlrev_b32_e32 v23, 16, v10
	v_mov_b32_e32 v24, 0x3b800000
	v_lshlrev_b32_e32 v21, 20, v21
	v_and_b32_e32 v23, 0x80000000, v23
	v_lshl_add_u32 v22, v22, 23, v24
	v_or3_b32 v22, v23, v22, v21
.LBB17_16:
	s_or_b64 exec, exec, s[6:7]
	s_nop 0
	v_mfma_f32_16x16x4f32 a[0:3], v20, v22, a[0:3]
	s_movk_i32 s4, 0xff
	v_and_b32_sdwa v21, v14, s4 dst_sel:DWORD dst_unused:UNUSED_PAD src0_sel:WORD_1 src1_sel:DWORD
	s_movk_i32 s4, 0x7f
	v_cmp_lt_i16_e32 vcc, s4, v21
	s_mov_b64 s[4:5], 0
                                        ; implicit-def: $sgpr10
	s_and_saveexec_b64 s[6:7], vcc
	s_xor_b64 s[6:7], exec, s[6:7]
	s_cbranch_execnz .LBB17_2065
; %bb.17:
	s_or_saveexec_b64 s[6:7], s[6:7]
	v_mov_b32_e32 v20, s10
	s_xor_b64 exec, exec, s[6:7]
	s_cbranch_execnz .LBB17_2068
.LBB17_18:
	s_or_b64 exec, exec, s[6:7]
	s_and_saveexec_b64 s[6:7], s[4:5]
	s_cbranch_execz .LBB17_20
.LBB17_19:
	v_bfe_u32 v20, v14, 16, 3
	v_ffbh_u32_e32 v23, v20
	v_min_u32_e32 v23, 32, v23
	v_lshrrev_b32_e32 v21, 19, v14
	v_subrev_u32_e32 v24, 28, v23
	v_and_b32_e32 v21, 15, v21
	v_lshlrev_b32_sdwa v24, v24, v14 dst_sel:DWORD dst_unused:UNUSED_PAD src0_sel:DWORD src1_sel:WORD_1
	v_bfe_u32 v22, v14, 19, 4
	v_sub_u32_e32 v23, 29, v23
	v_and_b32_e32 v24, 7, v24
	v_cmp_eq_u16_e32 vcc, 0, v21
	v_cndmask_b32_e32 v20, v20, v24, vcc
	v_cndmask_b32_e32 v21, v22, v23, vcc
	v_lshlrev_b32_e32 v22, 8, v14
	v_mov_b32_e32 v23, 0x3b800000
	v_lshlrev_b32_e32 v20, 20, v20
	v_and_b32_e32 v22, 0x80000000, v22
	v_lshl_add_u32 v21, v21, 23, v23
	v_or3_b32 v20, v22, v21, v20
.LBB17_20:
	s_or_b64 exec, exec, s[6:7]
	s_movk_i32 s4, 0xff
	v_and_b32_sdwa v21, v10, s4 dst_sel:DWORD dst_unused:UNUSED_PAD src0_sel:WORD_1 src1_sel:DWORD
	s_movk_i32 s4, 0x7f
	v_cmp_lt_i16_e32 vcc, s4, v21
	s_mov_b64 s[4:5], 0
                                        ; implicit-def: $sgpr10
	s_and_saveexec_b64 s[6:7], vcc
	s_xor_b64 s[6:7], exec, s[6:7]
	s_cbranch_execnz .LBB17_2069
; %bb.21:
	s_or_saveexec_b64 s[6:7], s[6:7]
	v_mov_b32_e32 v22, s10
	s_xor_b64 exec, exec, s[6:7]
	s_cbranch_execnz .LBB17_2072
.LBB17_22:
	s_or_b64 exec, exec, s[6:7]
	s_and_saveexec_b64 s[6:7], s[4:5]
	s_cbranch_execz .LBB17_24
.LBB17_23:
	v_bfe_u32 v21, v10, 16, 3
	v_ffbh_u32_e32 v24, v21
	v_min_u32_e32 v24, 32, v24
	v_lshrrev_b32_e32 v22, 19, v10
	v_subrev_u32_e32 v25, 28, v24
	v_and_b32_e32 v22, 15, v22
	v_lshlrev_b32_sdwa v25, v25, v10 dst_sel:DWORD dst_unused:UNUSED_PAD src0_sel:DWORD src1_sel:WORD_1
	v_bfe_u32 v23, v10, 19, 4
	v_sub_u32_e32 v24, 29, v24
	v_and_b32_e32 v25, 7, v25
	v_cmp_eq_u16_e32 vcc, 0, v22
	v_cndmask_b32_e32 v21, v21, v25, vcc
	v_cndmask_b32_e32 v22, v23, v24, vcc
	v_lshlrev_b32_e32 v23, 8, v10
	v_mov_b32_e32 v24, 0x3b800000
	v_lshlrev_b32_e32 v21, 20, v21
	v_and_b32_e32 v23, 0x80000000, v23
	v_lshl_add_u32 v22, v22, 23, v24
	v_or3_b32 v22, v23, v22, v21
.LBB17_24:
	s_or_b64 exec, exec, s[6:7]
	s_nop 0
	v_mfma_f32_16x16x4f32 a[0:3], v20, v22, a[0:3]
	s_movk_i32 s4, 0x7f
	v_cmp_gt_i16_sdwa s[6:7], v14, s4 src0_sel:BYTE_3 src1_sel:DWORD
	s_mov_b64 s[4:5], 0
                                        ; implicit-def: $sgpr10
	s_and_saveexec_b64 s[8:9], s[6:7]
	s_xor_b64 s[6:7], exec, s[8:9]
	s_cbranch_execnz .LBB17_2073
; %bb.25:
	s_or_saveexec_b64 s[6:7], s[6:7]
	v_mov_b32_e32 v20, s10
	s_xor_b64 exec, exec, s[6:7]
	s_cbranch_execnz .LBB17_2076
.LBB17_26:
	s_or_b64 exec, exec, s[6:7]
	s_and_saveexec_b64 s[6:7], s[4:5]
	s_cbranch_execz .LBB17_28
.LBB17_27:
	v_bfe_u32 v20, v14, 24, 3
	v_ffbh_u32_e32 v24, v20
	v_min_u32_e32 v24, 32, v24
	v_lshrrev_b32_e32 v22, 27, v14
	v_subrev_u32_e32 v25, 28, v24
	v_and_b32_e32 v21, 0x80000000, v14
	v_and_b32_e32 v22, 15, v22
	v_bfe_u32 v23, v14, 27, 4
	v_lshlrev_b32_sdwa v14, v25, v14 dst_sel:DWORD dst_unused:UNUSED_PAD src0_sel:DWORD src1_sel:BYTE_3
	v_sub_u32_e32 v24, 29, v24
	v_and_b32_e32 v14, 7, v14
	v_cmp_eq_u16_e32 vcc, 0, v22
	v_cndmask_b32_e32 v14, v20, v14, vcc
	v_cndmask_b32_e32 v20, v23, v24, vcc
	v_mov_b32_e32 v22, 0x3b800000
	v_lshlrev_b32_e32 v14, 20, v14
	v_lshl_add_u32 v20, v20, 23, v22
	v_or3_b32 v20, v21, v20, v14
.LBB17_28:
	s_or_b64 exec, exec, s[6:7]
	s_movk_i32 s4, 0x7f
	v_cmp_gt_i16_sdwa s[6:7], v10, s4 src0_sel:BYTE_3 src1_sel:DWORD
	s_mov_b64 s[4:5], 0
                                        ; implicit-def: $sgpr10
	s_and_saveexec_b64 s[8:9], s[6:7]
	s_xor_b64 s[6:7], exec, s[8:9]
	s_cbranch_execnz .LBB17_2077
; %bb.29:
	s_or_saveexec_b64 s[6:7], s[6:7]
	v_mov_b32_e32 v14, s10
	s_xor_b64 exec, exec, s[6:7]
	s_cbranch_execnz .LBB17_2080
.LBB17_30:
	s_or_b64 exec, exec, s[6:7]
	s_and_saveexec_b64 s[6:7], s[4:5]
	s_cbranch_execz .LBB17_32
.LBB17_31:
	v_bfe_u32 v14, v10, 24, 3
	v_ffbh_u32_e32 v24, v14
	v_min_u32_e32 v24, 32, v24
	v_lshrrev_b32_e32 v22, 27, v10
	v_subrev_u32_e32 v25, 28, v24
	v_and_b32_e32 v21, 0x80000000, v10
	v_and_b32_e32 v22, 15, v22
	v_bfe_u32 v23, v10, 27, 4
	v_lshlrev_b32_sdwa v10, v25, v10 dst_sel:DWORD dst_unused:UNUSED_PAD src0_sel:DWORD src1_sel:BYTE_3
	v_sub_u32_e32 v24, 29, v24
	v_and_b32_e32 v10, 7, v10
	v_cmp_eq_u16_e32 vcc, 0, v22
	v_cndmask_b32_e32 v10, v14, v10, vcc
	v_cndmask_b32_e32 v14, v23, v24, vcc
	v_mov_b32_e32 v22, 0x3b800000
	v_lshlrev_b32_e32 v10, 20, v10
	v_lshl_add_u32 v14, v14, 23, v22
	v_or3_b32 v14, v21, v14, v10
.LBB17_32:
	s_or_b64 exec, exec, s[6:7]
	s_nop 0
	v_mfma_f32_16x16x4f32 a[0:3], v20, v14, a[0:3]
	s_movk_i32 s4, 0x7f
	v_cmp_gt_i16_sdwa s[6:7], v15, s4 src0_sel:BYTE_0 src1_sel:DWORD
	s_mov_b64 s[4:5], 0
                                        ; implicit-def: $sgpr10
	s_and_saveexec_b64 s[8:9], s[6:7]
	s_xor_b64 s[6:7], exec, s[8:9]
	s_cbranch_execnz .LBB17_2081
; %bb.33:
	s_or_saveexec_b64 s[6:7], s[6:7]
	v_mov_b32_e32 v10, s10
	s_xor_b64 exec, exec, s[6:7]
	s_cbranch_execnz .LBB17_2084
.LBB17_34:
	s_or_b64 exec, exec, s[6:7]
	s_and_saveexec_b64 s[6:7], s[4:5]
	s_cbranch_execz .LBB17_36
.LBB17_35:
	v_and_b32_e32 v10, 7, v15
	v_ffbh_u32_e32 v20, v10
	v_min_u32_e32 v20, 32, v20
	v_lshrrev_b16_e32 v14, 3, v15
	v_subrev_u32_e32 v21, 28, v20
	v_and_b32_e32 v14, 15, v14
	v_lshlrev_b32_e32 v21, v21, v15
	v_sub_u32_e32 v20, 29, v20
	v_and_b32_e32 v21, 7, v21
	v_cmp_eq_u16_e32 vcc, 0, v14
	v_cndmask_b32_e32 v10, v10, v21, vcc
	v_cndmask_b32_e32 v14, v14, v20, vcc
	v_lshlrev_b32_e32 v20, 24, v15
	v_mov_b32_e32 v21, 0x3b800000
	v_lshlrev_b32_e32 v10, 20, v10
	v_and_b32_e32 v20, 0x80000000, v20
	v_lshl_add_u32 v14, v14, 23, v21
	v_or3_b32 v10, v20, v14, v10
.LBB17_36:
	s_or_b64 exec, exec, s[6:7]
	s_movk_i32 s4, 0x7f
	v_cmp_gt_i16_sdwa s[6:7], v11, s4 src0_sel:BYTE_0 src1_sel:DWORD
	s_mov_b64 s[4:5], 0
                                        ; implicit-def: $sgpr10
	s_and_saveexec_b64 s[8:9], s[6:7]
	s_xor_b64 s[6:7], exec, s[8:9]
	s_cbranch_execnz .LBB17_2085
; %bb.37:
	s_or_saveexec_b64 s[6:7], s[6:7]
	v_mov_b32_e32 v14, s10
	s_xor_b64 exec, exec, s[6:7]
	s_cbranch_execnz .LBB17_2088
.LBB17_38:
	s_or_b64 exec, exec, s[6:7]
	s_and_saveexec_b64 s[6:7], s[4:5]
	s_cbranch_execz .LBB17_40
.LBB17_39:
	v_and_b32_e32 v14, 7, v11
	v_ffbh_u32_e32 v21, v14
	v_min_u32_e32 v21, 32, v21
	v_lshrrev_b16_e32 v20, 3, v11
	v_subrev_u32_e32 v22, 28, v21
	v_and_b32_e32 v20, 15, v20
	v_lshlrev_b32_e32 v22, v22, v11
	v_sub_u32_e32 v21, 29, v21
	v_and_b32_e32 v22, 7, v22
	v_cmp_eq_u16_e32 vcc, 0, v20
	v_cndmask_b32_e32 v14, v14, v22, vcc
	v_cndmask_b32_e32 v20, v20, v21, vcc
	v_lshlrev_b32_e32 v21, 24, v11
	v_mov_b32_e32 v22, 0x3b800000
	v_lshlrev_b32_e32 v14, 20, v14
	v_and_b32_e32 v21, 0x80000000, v21
	v_lshl_add_u32 v20, v20, 23, v22
	v_or3_b32 v14, v21, v20, v14
.LBB17_40:
	s_or_b64 exec, exec, s[6:7]
	s_nop 0
	v_mfma_f32_16x16x4f32 a[0:3], v10, v14, a[0:3]
	v_lshrrev_b32_e32 v14, 8, v15
	s_movk_i32 s4, 0x7f
	v_cmp_gt_i16_sdwa s[6:7], v14, s4 src0_sel:BYTE_0 src1_sel:DWORD
	s_mov_b64 s[4:5], 0
                                        ; implicit-def: $sgpr10
	s_and_saveexec_b64 s[8:9], s[6:7]
	s_xor_b64 s[6:7], exec, s[8:9]
	s_cbranch_execnz .LBB17_2089
; %bb.41:
	s_or_saveexec_b64 s[6:7], s[6:7]
	v_mov_b32_e32 v10, s10
	s_xor_b64 exec, exec, s[6:7]
	s_cbranch_execnz .LBB17_2092
.LBB17_42:
	s_or_b64 exec, exec, s[6:7]
	s_and_saveexec_b64 s[6:7], s[4:5]
	s_cbranch_execz .LBB17_44
.LBB17_43:
	v_bfe_u32 v10, v15, 8, 3
	v_ffbh_u32_e32 v21, v10
	v_min_u32_e32 v21, 32, v21
	v_lshrrev_b16_e32 v20, 3, v14
	v_subrev_u32_e32 v22, 28, v21
	v_and_b32_e32 v20, 15, v20
	v_lshlrev_b32_e32 v14, v22, v14
	v_sub_u32_e32 v21, 29, v21
	v_and_b32_e32 v14, 7, v14
	v_cmp_eq_u16_e32 vcc, 0, v20
	v_cndmask_b32_e32 v10, v10, v14, vcc
	v_cndmask_b32_e32 v14, v20, v21, vcc
	v_lshlrev_b32_e32 v20, 16, v15
	v_mov_b32_e32 v21, 0x3b800000
	v_lshlrev_b32_e32 v10, 20, v10
	v_and_b32_e32 v20, 0x80000000, v20
	v_lshl_add_u32 v14, v14, 23, v21
	v_or3_b32 v10, v20, v14, v10
.LBB17_44:
	s_or_b64 exec, exec, s[6:7]
	v_lshrrev_b32_e32 v14, 8, v11
	s_movk_i32 s4, 0x7f
	v_cmp_gt_i16_sdwa s[6:7], v14, s4 src0_sel:BYTE_0 src1_sel:DWORD
	s_mov_b64 s[4:5], 0
                                        ; implicit-def: $sgpr10
	s_and_saveexec_b64 s[8:9], s[6:7]
	s_xor_b64 s[6:7], exec, s[8:9]
	s_cbranch_execnz .LBB17_2093
; %bb.45:
	s_or_saveexec_b64 s[6:7], s[6:7]
	v_mov_b32_e32 v20, s10
	s_xor_b64 exec, exec, s[6:7]
	s_cbranch_execnz .LBB17_2096
.LBB17_46:
	s_or_b64 exec, exec, s[6:7]
	s_and_saveexec_b64 s[6:7], s[4:5]
	s_cbranch_execz .LBB17_48
.LBB17_47:
	v_bfe_u32 v20, v11, 8, 3
	v_ffbh_u32_e32 v22, v20
	v_min_u32_e32 v22, 32, v22
	v_lshrrev_b16_e32 v21, 3, v14
	v_subrev_u32_e32 v23, 28, v22
	v_and_b32_e32 v21, 15, v21
	v_lshlrev_b32_e32 v14, v23, v14
	v_sub_u32_e32 v22, 29, v22
	v_and_b32_e32 v14, 7, v14
	v_cmp_eq_u16_e32 vcc, 0, v21
	v_cndmask_b32_e32 v14, v20, v14, vcc
	v_cndmask_b32_e32 v20, v21, v22, vcc
	v_lshlrev_b32_e32 v21, 16, v11
	v_mov_b32_e32 v22, 0x3b800000
	v_lshlrev_b32_e32 v14, 20, v14
	v_and_b32_e32 v21, 0x80000000, v21
	v_lshl_add_u32 v20, v20, 23, v22
	v_or3_b32 v20, v21, v20, v14
.LBB17_48:
	s_or_b64 exec, exec, s[6:7]
	s_nop 0
	v_mfma_f32_16x16x4f32 a[0:3], v10, v20, a[0:3]
	s_movk_i32 s4, 0xff
	v_and_b32_sdwa v14, v15, s4 dst_sel:DWORD dst_unused:UNUSED_PAD src0_sel:WORD_1 src1_sel:DWORD
	s_movk_i32 s4, 0x7f
	v_cmp_lt_i16_e32 vcc, s4, v14
	s_mov_b64 s[4:5], 0
                                        ; implicit-def: $sgpr10
	s_and_saveexec_b64 s[6:7], vcc
	s_xor_b64 s[6:7], exec, s[6:7]
	s_cbranch_execnz .LBB17_2097
; %bb.49:
	s_or_saveexec_b64 s[6:7], s[6:7]
	v_mov_b32_e32 v10, s10
	s_xor_b64 exec, exec, s[6:7]
	s_cbranch_execnz .LBB17_2100
.LBB17_50:
	s_or_b64 exec, exec, s[6:7]
	s_and_saveexec_b64 s[6:7], s[4:5]
	s_cbranch_execz .LBB17_52
.LBB17_51:
	v_bfe_u32 v10, v15, 16, 3
	v_ffbh_u32_e32 v21, v10
	v_min_u32_e32 v21, 32, v21
	v_lshrrev_b32_e32 v14, 19, v15
	v_subrev_u32_e32 v22, 28, v21
	v_and_b32_e32 v14, 15, v14
	v_lshlrev_b32_sdwa v22, v22, v15 dst_sel:DWORD dst_unused:UNUSED_PAD src0_sel:DWORD src1_sel:WORD_1
	v_bfe_u32 v20, v15, 19, 4
	v_sub_u32_e32 v21, 29, v21
	v_and_b32_e32 v22, 7, v22
	v_cmp_eq_u16_e32 vcc, 0, v14
	v_cndmask_b32_e32 v10, v10, v22, vcc
	v_cndmask_b32_e32 v14, v20, v21, vcc
	v_lshlrev_b32_e32 v20, 8, v15
	v_mov_b32_e32 v21, 0x3b800000
	v_lshlrev_b32_e32 v10, 20, v10
	v_and_b32_e32 v20, 0x80000000, v20
	v_lshl_add_u32 v14, v14, 23, v21
	v_or3_b32 v10, v20, v14, v10
.LBB17_52:
	s_or_b64 exec, exec, s[6:7]
	s_movk_i32 s4, 0xff
	v_and_b32_sdwa v14, v11, s4 dst_sel:DWORD dst_unused:UNUSED_PAD src0_sel:WORD_1 src1_sel:DWORD
	s_movk_i32 s4, 0x7f
	v_cmp_lt_i16_e32 vcc, s4, v14
	s_mov_b64 s[4:5], 0
                                        ; implicit-def: $sgpr10
	s_and_saveexec_b64 s[6:7], vcc
	s_xor_b64 s[6:7], exec, s[6:7]
	s_cbranch_execnz .LBB17_2101
; %bb.53:
	s_or_saveexec_b64 s[6:7], s[6:7]
	v_mov_b32_e32 v20, s10
	s_xor_b64 exec, exec, s[6:7]
	s_cbranch_execnz .LBB17_2104
.LBB17_54:
	s_or_b64 exec, exec, s[6:7]
	s_and_saveexec_b64 s[6:7], s[4:5]
	s_cbranch_execz .LBB17_56
.LBB17_55:
	v_bfe_u32 v14, v11, 16, 3
	v_ffbh_u32_e32 v22, v14
	v_min_u32_e32 v22, 32, v22
	v_lshrrev_b32_e32 v20, 19, v11
	v_subrev_u32_e32 v23, 28, v22
	v_and_b32_e32 v20, 15, v20
	v_lshlrev_b32_sdwa v23, v23, v11 dst_sel:DWORD dst_unused:UNUSED_PAD src0_sel:DWORD src1_sel:WORD_1
	v_bfe_u32 v21, v11, 19, 4
	v_sub_u32_e32 v22, 29, v22
	v_and_b32_e32 v23, 7, v23
	v_cmp_eq_u16_e32 vcc, 0, v20
	v_cndmask_b32_e32 v14, v14, v23, vcc
	v_cndmask_b32_e32 v20, v21, v22, vcc
	v_lshlrev_b32_e32 v21, 8, v11
	v_mov_b32_e32 v22, 0x3b800000
	v_lshlrev_b32_e32 v14, 20, v14
	v_and_b32_e32 v21, 0x80000000, v21
	v_lshl_add_u32 v20, v20, 23, v22
	v_or3_b32 v20, v21, v20, v14
.LBB17_56:
	s_or_b64 exec, exec, s[6:7]
	s_nop 0
	v_mfma_f32_16x16x4f32 a[0:3], v10, v20, a[0:3]
	s_movk_i32 s4, 0x7f
	v_cmp_gt_i16_sdwa s[6:7], v15, s4 src0_sel:BYTE_3 src1_sel:DWORD
	s_mov_b64 s[4:5], 0
                                        ; implicit-def: $sgpr10
	s_and_saveexec_b64 s[8:9], s[6:7]
	s_xor_b64 s[6:7], exec, s[8:9]
	s_cbranch_execnz .LBB17_2105
; %bb.57:
	s_or_saveexec_b64 s[6:7], s[6:7]
	v_mov_b32_e32 v10, s10
	s_xor_b64 exec, exec, s[6:7]
	s_cbranch_execnz .LBB17_2108
.LBB17_58:
	s_or_b64 exec, exec, s[6:7]
	s_and_saveexec_b64 s[6:7], s[4:5]
	s_cbranch_execz .LBB17_60
.LBB17_59:
	v_bfe_u32 v10, v15, 24, 3
	v_ffbh_u32_e32 v22, v10
	v_min_u32_e32 v22, 32, v22
	v_lshrrev_b32_e32 v20, 27, v15
	v_subrev_u32_e32 v23, 28, v22
	v_and_b32_e32 v14, 0x80000000, v15
	v_and_b32_e32 v20, 15, v20
	v_bfe_u32 v21, v15, 27, 4
	v_lshlrev_b32_sdwa v15, v23, v15 dst_sel:DWORD dst_unused:UNUSED_PAD src0_sel:DWORD src1_sel:BYTE_3
	v_sub_u32_e32 v22, 29, v22
	v_and_b32_e32 v15, 7, v15
	v_cmp_eq_u16_e32 vcc, 0, v20
	v_cndmask_b32_e32 v10, v10, v15, vcc
	v_cndmask_b32_e32 v15, v21, v22, vcc
	v_mov_b32_e32 v20, 0x3b800000
	v_lshlrev_b32_e32 v10, 20, v10
	v_lshl_add_u32 v15, v15, 23, v20
	v_or3_b32 v10, v14, v15, v10
.LBB17_60:
	s_or_b64 exec, exec, s[6:7]
	s_movk_i32 s4, 0x7f
	v_cmp_gt_i16_sdwa s[6:7], v11, s4 src0_sel:BYTE_3 src1_sel:DWORD
	s_mov_b64 s[4:5], 0
                                        ; implicit-def: $sgpr10
	s_and_saveexec_b64 s[8:9], s[6:7]
	s_xor_b64 s[6:7], exec, s[8:9]
	s_cbranch_execnz .LBB17_2109
; %bb.61:
	s_or_saveexec_b64 s[6:7], s[6:7]
	v_mov_b32_e32 v14, s10
	s_xor_b64 exec, exec, s[6:7]
	s_cbranch_execnz .LBB17_2112
.LBB17_62:
	s_or_b64 exec, exec, s[6:7]
	s_and_saveexec_b64 s[6:7], s[4:5]
	s_cbranch_execz .LBB17_64
.LBB17_63:
	v_bfe_u32 v14, v11, 24, 3
	v_ffbh_u32_e32 v22, v14
	v_min_u32_e32 v22, 32, v22
	v_lshrrev_b32_e32 v20, 27, v11
	v_subrev_u32_e32 v23, 28, v22
	v_and_b32_e32 v15, 0x80000000, v11
	v_and_b32_e32 v20, 15, v20
	v_bfe_u32 v21, v11, 27, 4
	v_lshlrev_b32_sdwa v11, v23, v11 dst_sel:DWORD dst_unused:UNUSED_PAD src0_sel:DWORD src1_sel:BYTE_3
	v_sub_u32_e32 v22, 29, v22
	v_and_b32_e32 v11, 7, v11
	v_cmp_eq_u16_e32 vcc, 0, v20
	v_cndmask_b32_e32 v11, v14, v11, vcc
	v_cndmask_b32_e32 v14, v21, v22, vcc
	v_mov_b32_e32 v20, 0x3b800000
	v_lshlrev_b32_e32 v11, 20, v11
	v_lshl_add_u32 v14, v14, 23, v20
	v_or3_b32 v14, v15, v14, v11
.LBB17_64:
	s_or_b64 exec, exec, s[6:7]
	s_nop 0
	v_mfma_f32_16x16x4f32 a[0:3], v10, v14, a[0:3]
	s_movk_i32 s4, 0x7f
	v_cmp_gt_i16_sdwa s[6:7], v16, s4 src0_sel:BYTE_0 src1_sel:DWORD
	s_mov_b64 s[4:5], 0
                                        ; implicit-def: $sgpr10
	s_and_saveexec_b64 s[8:9], s[6:7]
	s_xor_b64 s[6:7], exec, s[8:9]
	s_cbranch_execnz .LBB17_2113
; %bb.65:
	s_or_saveexec_b64 s[6:7], s[6:7]
	v_mov_b32_e32 v10, s10
	s_xor_b64 exec, exec, s[6:7]
	s_cbranch_execnz .LBB17_2116
.LBB17_66:
	s_or_b64 exec, exec, s[6:7]
	s_and_saveexec_b64 s[6:7], s[4:5]
	s_cbranch_execz .LBB17_68
.LBB17_67:
	v_and_b32_e32 v10, 7, v16
	v_ffbh_u32_e32 v14, v10
	v_min_u32_e32 v14, 32, v14
	v_lshrrev_b16_e32 v11, 3, v16
	v_subrev_u32_e32 v15, 28, v14
	v_and_b32_e32 v11, 15, v11
	v_lshlrev_b32_e32 v15, v15, v16
	v_sub_u32_e32 v14, 29, v14
	v_and_b32_e32 v15, 7, v15
	v_cmp_eq_u16_e32 vcc, 0, v11
	v_cndmask_b32_e32 v10, v10, v15, vcc
	v_cndmask_b32_e32 v11, v11, v14, vcc
	v_lshlrev_b32_e32 v14, 24, v16
	v_mov_b32_e32 v15, 0x3b800000
	v_lshlrev_b32_e32 v10, 20, v10
	v_and_b32_e32 v14, 0x80000000, v14
	v_lshl_add_u32 v11, v11, 23, v15
	v_or3_b32 v10, v14, v11, v10
.LBB17_68:
	s_or_b64 exec, exec, s[6:7]
	s_movk_i32 s4, 0x7f
	v_cmp_gt_i16_sdwa s[6:7], v12, s4 src0_sel:BYTE_0 src1_sel:DWORD
	s_mov_b64 s[4:5], 0
                                        ; implicit-def: $sgpr10
	s_and_saveexec_b64 s[8:9], s[6:7]
	s_xor_b64 s[6:7], exec, s[8:9]
	s_cbranch_execnz .LBB17_2117
; %bb.69:
	s_or_saveexec_b64 s[6:7], s[6:7]
	v_mov_b32_e32 v11, s10
	s_xor_b64 exec, exec, s[6:7]
	s_cbranch_execnz .LBB17_2120
.LBB17_70:
	s_or_b64 exec, exec, s[6:7]
	s_and_saveexec_b64 s[6:7], s[4:5]
	s_cbranch_execz .LBB17_72
.LBB17_71:
	v_and_b32_e32 v11, 7, v12
	v_ffbh_u32_e32 v15, v11
	v_min_u32_e32 v15, 32, v15
	v_lshrrev_b16_e32 v14, 3, v12
	v_subrev_u32_e32 v20, 28, v15
	v_and_b32_e32 v14, 15, v14
	v_lshlrev_b32_e32 v20, v20, v12
	v_sub_u32_e32 v15, 29, v15
	v_and_b32_e32 v20, 7, v20
	v_cmp_eq_u16_e32 vcc, 0, v14
	v_cndmask_b32_e32 v11, v11, v20, vcc
	v_cndmask_b32_e32 v14, v14, v15, vcc
	v_lshlrev_b32_e32 v15, 24, v12
	v_mov_b32_e32 v20, 0x3b800000
	v_lshlrev_b32_e32 v11, 20, v11
	v_and_b32_e32 v15, 0x80000000, v15
	v_lshl_add_u32 v14, v14, 23, v20
	v_or3_b32 v11, v15, v14, v11
.LBB17_72:
	s_or_b64 exec, exec, s[6:7]
	s_nop 0
	v_mfma_f32_16x16x4f32 a[0:3], v10, v11, a[0:3]
	v_lshrrev_b32_e32 v11, 8, v16
	s_movk_i32 s4, 0x7f
	v_cmp_gt_i16_sdwa s[6:7], v11, s4 src0_sel:BYTE_0 src1_sel:DWORD
	s_mov_b64 s[4:5], 0
                                        ; implicit-def: $sgpr10
	s_and_saveexec_b64 s[8:9], s[6:7]
	s_xor_b64 s[6:7], exec, s[8:9]
	s_cbranch_execnz .LBB17_2121
; %bb.73:
	s_or_saveexec_b64 s[6:7], s[6:7]
	v_mov_b32_e32 v10, s10
	s_xor_b64 exec, exec, s[6:7]
	s_cbranch_execnz .LBB17_2124
.LBB17_74:
	s_or_b64 exec, exec, s[6:7]
	s_and_saveexec_b64 s[6:7], s[4:5]
	s_cbranch_execz .LBB17_76
.LBB17_75:
	v_bfe_u32 v10, v16, 8, 3
	v_ffbh_u32_e32 v15, v10
	v_min_u32_e32 v15, 32, v15
	v_lshrrev_b16_e32 v14, 3, v11
	v_subrev_u32_e32 v20, 28, v15
	v_and_b32_e32 v14, 15, v14
	v_lshlrev_b32_e32 v11, v20, v11
	v_sub_u32_e32 v15, 29, v15
	v_and_b32_e32 v11, 7, v11
	v_cmp_eq_u16_e32 vcc, 0, v14
	v_cndmask_b32_e32 v10, v10, v11, vcc
	v_cndmask_b32_e32 v11, v14, v15, vcc
	v_lshlrev_b32_e32 v14, 16, v16
	v_mov_b32_e32 v15, 0x3b800000
	v_lshlrev_b32_e32 v10, 20, v10
	v_and_b32_e32 v14, 0x80000000, v14
	v_lshl_add_u32 v11, v11, 23, v15
	v_or3_b32 v10, v14, v11, v10
.LBB17_76:
	s_or_b64 exec, exec, s[6:7]
	v_lshrrev_b32_e32 v11, 8, v12
	s_movk_i32 s4, 0x7f
	v_cmp_gt_i16_sdwa s[6:7], v11, s4 src0_sel:BYTE_0 src1_sel:DWORD
	s_mov_b64 s[4:5], 0
                                        ; implicit-def: $sgpr10
	s_and_saveexec_b64 s[8:9], s[6:7]
	s_xor_b64 s[6:7], exec, s[8:9]
	s_cbranch_execnz .LBB17_2125
; %bb.77:
	s_or_saveexec_b64 s[6:7], s[6:7]
	v_mov_b32_e32 v14, s10
	s_xor_b64 exec, exec, s[6:7]
	s_cbranch_execnz .LBB17_2128
.LBB17_78:
	s_or_b64 exec, exec, s[6:7]
	s_and_saveexec_b64 s[6:7], s[4:5]
	s_cbranch_execz .LBB17_80
.LBB17_79:
	v_bfe_u32 v14, v12, 8, 3
	v_ffbh_u32_e32 v20, v14
	v_min_u32_e32 v20, 32, v20
	v_lshrrev_b16_e32 v15, 3, v11
	v_subrev_u32_e32 v21, 28, v20
	v_and_b32_e32 v15, 15, v15
	v_lshlrev_b32_e32 v11, v21, v11
	v_sub_u32_e32 v20, 29, v20
	v_and_b32_e32 v11, 7, v11
	v_cmp_eq_u16_e32 vcc, 0, v15
	v_cndmask_b32_e32 v11, v14, v11, vcc
	v_cndmask_b32_e32 v14, v15, v20, vcc
	v_lshlrev_b32_e32 v15, 16, v12
	v_mov_b32_e32 v20, 0x3b800000
	v_lshlrev_b32_e32 v11, 20, v11
	v_and_b32_e32 v15, 0x80000000, v15
	v_lshl_add_u32 v14, v14, 23, v20
	v_or3_b32 v14, v15, v14, v11
.LBB17_80:
	s_or_b64 exec, exec, s[6:7]
	s_nop 0
	v_mfma_f32_16x16x4f32 a[0:3], v10, v14, a[0:3]
	s_movk_i32 s4, 0xff
	v_and_b32_sdwa v11, v16, s4 dst_sel:DWORD dst_unused:UNUSED_PAD src0_sel:WORD_1 src1_sel:DWORD
	s_movk_i32 s4, 0x7f
	v_cmp_lt_i16_e32 vcc, s4, v11
	s_mov_b64 s[4:5], 0
                                        ; implicit-def: $sgpr10
	s_and_saveexec_b64 s[6:7], vcc
	s_xor_b64 s[6:7], exec, s[6:7]
	s_cbranch_execnz .LBB17_2129
; %bb.81:
	s_or_saveexec_b64 s[6:7], s[6:7]
	v_mov_b32_e32 v10, s10
	s_xor_b64 exec, exec, s[6:7]
	s_cbranch_execnz .LBB17_2132
.LBB17_82:
	s_or_b64 exec, exec, s[6:7]
	s_and_saveexec_b64 s[6:7], s[4:5]
	s_cbranch_execz .LBB17_84
.LBB17_83:
	v_bfe_u32 v10, v16, 16, 3
	v_ffbh_u32_e32 v15, v10
	v_min_u32_e32 v15, 32, v15
	v_lshrrev_b32_e32 v11, 19, v16
	v_subrev_u32_e32 v20, 28, v15
	v_and_b32_e32 v11, 15, v11
	v_lshlrev_b32_sdwa v20, v20, v16 dst_sel:DWORD dst_unused:UNUSED_PAD src0_sel:DWORD src1_sel:WORD_1
	v_bfe_u32 v14, v16, 19, 4
	v_sub_u32_e32 v15, 29, v15
	v_and_b32_e32 v20, 7, v20
	v_cmp_eq_u16_e32 vcc, 0, v11
	v_cndmask_b32_e32 v10, v10, v20, vcc
	v_cndmask_b32_e32 v11, v14, v15, vcc
	v_lshlrev_b32_e32 v14, 8, v16
	v_mov_b32_e32 v15, 0x3b800000
	v_lshlrev_b32_e32 v10, 20, v10
	v_and_b32_e32 v14, 0x80000000, v14
	v_lshl_add_u32 v11, v11, 23, v15
	v_or3_b32 v10, v14, v11, v10
.LBB17_84:
	s_or_b64 exec, exec, s[6:7]
	s_movk_i32 s4, 0xff
	v_and_b32_sdwa v11, v12, s4 dst_sel:DWORD dst_unused:UNUSED_PAD src0_sel:WORD_1 src1_sel:DWORD
	s_movk_i32 s4, 0x7f
	v_cmp_lt_i16_e32 vcc, s4, v11
	s_mov_b64 s[4:5], 0
                                        ; implicit-def: $sgpr10
	s_and_saveexec_b64 s[6:7], vcc
	s_xor_b64 s[6:7], exec, s[6:7]
	s_cbranch_execnz .LBB17_2133
; %bb.85:
	s_or_saveexec_b64 s[6:7], s[6:7]
	v_mov_b32_e32 v14, s10
	s_xor_b64 exec, exec, s[6:7]
	s_cbranch_execnz .LBB17_2136
.LBB17_86:
	s_or_b64 exec, exec, s[6:7]
	s_and_saveexec_b64 s[6:7], s[4:5]
	s_cbranch_execz .LBB17_88
.LBB17_87:
	v_bfe_u32 v11, v12, 16, 3
	v_ffbh_u32_e32 v20, v11
	v_min_u32_e32 v20, 32, v20
	v_lshrrev_b32_e32 v14, 19, v12
	v_subrev_u32_e32 v21, 28, v20
	v_and_b32_e32 v14, 15, v14
	v_lshlrev_b32_sdwa v21, v21, v12 dst_sel:DWORD dst_unused:UNUSED_PAD src0_sel:DWORD src1_sel:WORD_1
	v_bfe_u32 v15, v12, 19, 4
	v_sub_u32_e32 v20, 29, v20
	v_and_b32_e32 v21, 7, v21
	v_cmp_eq_u16_e32 vcc, 0, v14
	v_cndmask_b32_e32 v11, v11, v21, vcc
	v_cndmask_b32_e32 v14, v15, v20, vcc
	v_lshlrev_b32_e32 v15, 8, v12
	v_mov_b32_e32 v20, 0x3b800000
	v_lshlrev_b32_e32 v11, 20, v11
	v_and_b32_e32 v15, 0x80000000, v15
	v_lshl_add_u32 v14, v14, 23, v20
	v_or3_b32 v14, v15, v14, v11
.LBB17_88:
	s_or_b64 exec, exec, s[6:7]
	s_nop 0
	v_mfma_f32_16x16x4f32 a[0:3], v10, v14, a[0:3]
	s_movk_i32 s4, 0x7f
	v_cmp_gt_i16_sdwa s[6:7], v16, s4 src0_sel:BYTE_3 src1_sel:DWORD
	s_mov_b64 s[4:5], 0
                                        ; implicit-def: $sgpr10
	s_and_saveexec_b64 s[8:9], s[6:7]
	s_xor_b64 s[6:7], exec, s[8:9]
	s_cbranch_execnz .LBB17_2137
; %bb.89:
	s_or_saveexec_b64 s[6:7], s[6:7]
	v_mov_b32_e32 v10, s10
	s_xor_b64 exec, exec, s[6:7]
	s_cbranch_execnz .LBB17_2140
.LBB17_90:
	s_or_b64 exec, exec, s[6:7]
	s_and_saveexec_b64 s[6:7], s[4:5]
	s_cbranch_execz .LBB17_92
.LBB17_91:
	v_bfe_u32 v10, v16, 24, 3
	v_ffbh_u32_e32 v20, v10
	v_min_u32_e32 v20, 32, v20
	v_lshrrev_b32_e32 v14, 27, v16
	v_subrev_u32_e32 v21, 28, v20
	v_and_b32_e32 v11, 0x80000000, v16
	v_and_b32_e32 v14, 15, v14
	v_bfe_u32 v15, v16, 27, 4
	v_lshlrev_b32_sdwa v16, v21, v16 dst_sel:DWORD dst_unused:UNUSED_PAD src0_sel:DWORD src1_sel:BYTE_3
	v_sub_u32_e32 v20, 29, v20
	v_and_b32_e32 v16, 7, v16
	v_cmp_eq_u16_e32 vcc, 0, v14
	v_cndmask_b32_e32 v10, v10, v16, vcc
	v_cndmask_b32_e32 v14, v15, v20, vcc
	v_mov_b32_e32 v15, 0x3b800000
	v_lshlrev_b32_e32 v10, 20, v10
	v_lshl_add_u32 v14, v14, 23, v15
	v_or3_b32 v10, v11, v14, v10
.LBB17_92:
	s_or_b64 exec, exec, s[6:7]
	s_movk_i32 s4, 0x7f
	v_cmp_gt_i16_sdwa s[6:7], v12, s4 src0_sel:BYTE_3 src1_sel:DWORD
	s_mov_b64 s[4:5], 0
                                        ; implicit-def: $sgpr10
	s_and_saveexec_b64 s[8:9], s[6:7]
	s_xor_b64 s[6:7], exec, s[8:9]
	s_cbranch_execnz .LBB17_2141
; %bb.93:
	s_or_saveexec_b64 s[6:7], s[6:7]
	v_mov_b32_e32 v11, s10
	s_xor_b64 exec, exec, s[6:7]
	s_cbranch_execnz .LBB17_2144
.LBB17_94:
	s_or_b64 exec, exec, s[6:7]
	s_and_saveexec_b64 s[6:7], s[4:5]
	s_cbranch_execz .LBB17_96
.LBB17_95:
	v_bfe_u32 v11, v12, 24, 3
	v_ffbh_u32_e32 v20, v11
	v_min_u32_e32 v20, 32, v20
	v_lshrrev_b32_e32 v15, 27, v12
	v_subrev_u32_e32 v21, 28, v20
	v_and_b32_e32 v14, 0x80000000, v12
	v_and_b32_e32 v15, 15, v15
	v_bfe_u32 v16, v12, 27, 4
	v_lshlrev_b32_sdwa v12, v21, v12 dst_sel:DWORD dst_unused:UNUSED_PAD src0_sel:DWORD src1_sel:BYTE_3
	v_sub_u32_e32 v20, 29, v20
	v_and_b32_e32 v12, 7, v12
	v_cmp_eq_u16_e32 vcc, 0, v15
	v_cndmask_b32_e32 v11, v11, v12, vcc
	v_cndmask_b32_e32 v12, v16, v20, vcc
	v_mov_b32_e32 v15, 0x3b800000
	v_lshlrev_b32_e32 v11, 20, v11
	v_lshl_add_u32 v12, v12, 23, v15
	v_or3_b32 v11, v14, v12, v11
.LBB17_96:
	s_or_b64 exec, exec, s[6:7]
	s_nop 0
	v_mfma_f32_16x16x4f32 a[0:3], v10, v11, a[0:3]
	s_movk_i32 s4, 0x7f
	v_cmp_gt_i16_sdwa s[6:7], v17, s4 src0_sel:BYTE_0 src1_sel:DWORD
	s_mov_b64 s[4:5], 0
                                        ; implicit-def: $sgpr10
	s_and_saveexec_b64 s[8:9], s[6:7]
	s_xor_b64 s[6:7], exec, s[8:9]
	s_cbranch_execnz .LBB17_2145
; %bb.97:
	s_or_saveexec_b64 s[6:7], s[6:7]
	v_mov_b32_e32 v10, s10
	s_xor_b64 exec, exec, s[6:7]
	s_cbranch_execnz .LBB17_2148
.LBB17_98:
	s_or_b64 exec, exec, s[6:7]
	s_and_saveexec_b64 s[6:7], s[4:5]
	s_cbranch_execz .LBB17_100
.LBB17_99:
	v_and_b32_e32 v10, 7, v17
	v_ffbh_u32_e32 v12, v10
	v_min_u32_e32 v12, 32, v12
	v_lshrrev_b16_e32 v11, 3, v17
	v_subrev_u32_e32 v14, 28, v12
	v_and_b32_e32 v11, 15, v11
	v_lshlrev_b32_e32 v14, v14, v17
	v_sub_u32_e32 v12, 29, v12
	v_and_b32_e32 v14, 7, v14
	v_cmp_eq_u16_e32 vcc, 0, v11
	v_cndmask_b32_e32 v10, v10, v14, vcc
	v_cndmask_b32_e32 v11, v11, v12, vcc
	v_lshlrev_b32_e32 v12, 24, v17
	v_mov_b32_e32 v14, 0x3b800000
	v_lshlrev_b32_e32 v10, 20, v10
	v_and_b32_e32 v12, 0x80000000, v12
	v_lshl_add_u32 v11, v11, 23, v14
	v_or3_b32 v10, v12, v11, v10
.LBB17_100:
	s_or_b64 exec, exec, s[6:7]
	s_movk_i32 s4, 0x7f
	v_cmp_gt_i16_sdwa s[6:7], v13, s4 src0_sel:BYTE_0 src1_sel:DWORD
	s_mov_b64 s[4:5], 0
                                        ; implicit-def: $sgpr10
	s_and_saveexec_b64 s[8:9], s[6:7]
	s_xor_b64 s[6:7], exec, s[8:9]
	s_cbranch_execnz .LBB17_2149
; %bb.101:
	s_or_saveexec_b64 s[6:7], s[6:7]
	v_mov_b32_e32 v11, s10
	s_xor_b64 exec, exec, s[6:7]
	s_cbranch_execnz .LBB17_2152
.LBB17_102:
	s_or_b64 exec, exec, s[6:7]
	s_and_saveexec_b64 s[6:7], s[4:5]
	s_cbranch_execz .LBB17_104
.LBB17_103:
	v_and_b32_e32 v11, 7, v13
	v_ffbh_u32_e32 v14, v11
	v_min_u32_e32 v14, 32, v14
	v_lshrrev_b16_e32 v12, 3, v13
	v_subrev_u32_e32 v15, 28, v14
	v_and_b32_e32 v12, 15, v12
	v_lshlrev_b32_e32 v15, v15, v13
	v_sub_u32_e32 v14, 29, v14
	v_and_b32_e32 v15, 7, v15
	v_cmp_eq_u16_e32 vcc, 0, v12
	v_cndmask_b32_e32 v11, v11, v15, vcc
	v_cndmask_b32_e32 v12, v12, v14, vcc
	v_lshlrev_b32_e32 v14, 24, v13
	v_mov_b32_e32 v15, 0x3b800000
	v_lshlrev_b32_e32 v11, 20, v11
	v_and_b32_e32 v14, 0x80000000, v14
	v_lshl_add_u32 v12, v12, 23, v15
	v_or3_b32 v11, v14, v12, v11
.LBB17_104:
	s_or_b64 exec, exec, s[6:7]
	s_nop 0
	v_mfma_f32_16x16x4f32 a[0:3], v10, v11, a[0:3]
	v_lshrrev_b32_e32 v11, 8, v17
	s_movk_i32 s4, 0x7f
	v_cmp_gt_i16_sdwa s[6:7], v11, s4 src0_sel:BYTE_0 src1_sel:DWORD
	s_mov_b64 s[4:5], 0
                                        ; implicit-def: $sgpr10
	s_and_saveexec_b64 s[8:9], s[6:7]
	s_xor_b64 s[6:7], exec, s[8:9]
	s_cbranch_execnz .LBB17_2153
; %bb.105:
	s_or_saveexec_b64 s[6:7], s[6:7]
	v_mov_b32_e32 v10, s10
	s_xor_b64 exec, exec, s[6:7]
	s_cbranch_execnz .LBB17_2156
.LBB17_106:
	s_or_b64 exec, exec, s[6:7]
	s_and_saveexec_b64 s[6:7], s[4:5]
	s_cbranch_execz .LBB17_108
.LBB17_107:
	v_bfe_u32 v10, v17, 8, 3
	v_ffbh_u32_e32 v14, v10
	v_min_u32_e32 v14, 32, v14
	v_lshrrev_b16_e32 v12, 3, v11
	v_subrev_u32_e32 v15, 28, v14
	v_and_b32_e32 v12, 15, v12
	v_lshlrev_b32_e32 v11, v15, v11
	v_sub_u32_e32 v14, 29, v14
	v_and_b32_e32 v11, 7, v11
	v_cmp_eq_u16_e32 vcc, 0, v12
	v_cndmask_b32_e32 v10, v10, v11, vcc
	v_cndmask_b32_e32 v11, v12, v14, vcc
	v_lshlrev_b32_e32 v12, 16, v17
	v_mov_b32_e32 v14, 0x3b800000
	v_lshlrev_b32_e32 v10, 20, v10
	v_and_b32_e32 v12, 0x80000000, v12
	v_lshl_add_u32 v11, v11, 23, v14
	v_or3_b32 v10, v12, v11, v10
.LBB17_108:
	s_or_b64 exec, exec, s[6:7]
	v_lshrrev_b32_e32 v11, 8, v13
	s_movk_i32 s4, 0x7f
	v_cmp_gt_i16_sdwa s[6:7], v11, s4 src0_sel:BYTE_0 src1_sel:DWORD
	s_mov_b64 s[4:5], 0
                                        ; implicit-def: $sgpr10
	s_and_saveexec_b64 s[8:9], s[6:7]
	s_xor_b64 s[6:7], exec, s[8:9]
	s_cbranch_execnz .LBB17_2157
; %bb.109:
	s_or_saveexec_b64 s[6:7], s[6:7]
	v_mov_b32_e32 v12, s10
	s_xor_b64 exec, exec, s[6:7]
	s_cbranch_execnz .LBB17_2160
.LBB17_110:
	s_or_b64 exec, exec, s[6:7]
	s_and_saveexec_b64 s[6:7], s[4:5]
	s_cbranch_execz .LBB17_112
.LBB17_111:
	v_bfe_u32 v12, v13, 8, 3
	v_ffbh_u32_e32 v15, v12
	v_min_u32_e32 v15, 32, v15
	v_lshrrev_b16_e32 v14, 3, v11
	v_subrev_u32_e32 v16, 28, v15
	v_and_b32_e32 v14, 15, v14
	v_lshlrev_b32_e32 v11, v16, v11
	v_sub_u32_e32 v15, 29, v15
	v_and_b32_e32 v11, 7, v11
	v_cmp_eq_u16_e32 vcc, 0, v14
	v_cndmask_b32_e32 v11, v12, v11, vcc
	v_cndmask_b32_e32 v12, v14, v15, vcc
	v_lshlrev_b32_e32 v14, 16, v13
	v_mov_b32_e32 v15, 0x3b800000
	v_lshlrev_b32_e32 v11, 20, v11
	v_and_b32_e32 v14, 0x80000000, v14
	v_lshl_add_u32 v12, v12, 23, v15
	v_or3_b32 v12, v14, v12, v11
.LBB17_112:
	s_or_b64 exec, exec, s[6:7]
	s_nop 0
	v_mfma_f32_16x16x4f32 a[0:3], v10, v12, a[0:3]
	s_movk_i32 s4, 0xff
	v_and_b32_sdwa v11, v17, s4 dst_sel:DWORD dst_unused:UNUSED_PAD src0_sel:WORD_1 src1_sel:DWORD
	s_movk_i32 s4, 0x7f
	v_cmp_lt_i16_e32 vcc, s4, v11
	s_mov_b64 s[4:5], 0
                                        ; implicit-def: $sgpr10
	s_and_saveexec_b64 s[6:7], vcc
	s_xor_b64 s[6:7], exec, s[6:7]
	s_cbranch_execnz .LBB17_2161
; %bb.113:
	s_or_saveexec_b64 s[6:7], s[6:7]
	v_mov_b32_e32 v10, s10
	s_xor_b64 exec, exec, s[6:7]
	s_cbranch_execnz .LBB17_2164
.LBB17_114:
	s_or_b64 exec, exec, s[6:7]
	s_and_saveexec_b64 s[6:7], s[4:5]
	s_cbranch_execz .LBB17_116
.LBB17_115:
	v_bfe_u32 v10, v17, 16, 3
	v_ffbh_u32_e32 v14, v10
	v_min_u32_e32 v14, 32, v14
	v_lshrrev_b32_e32 v11, 19, v17
	v_subrev_u32_e32 v15, 28, v14
	v_and_b32_e32 v11, 15, v11
	v_lshlrev_b32_sdwa v15, v15, v17 dst_sel:DWORD dst_unused:UNUSED_PAD src0_sel:DWORD src1_sel:WORD_1
	v_bfe_u32 v12, v17, 19, 4
	v_sub_u32_e32 v14, 29, v14
	v_and_b32_e32 v15, 7, v15
	v_cmp_eq_u16_e32 vcc, 0, v11
	v_cndmask_b32_e32 v10, v10, v15, vcc
	v_cndmask_b32_e32 v11, v12, v14, vcc
	v_lshlrev_b32_e32 v12, 8, v17
	v_mov_b32_e32 v14, 0x3b800000
	v_lshlrev_b32_e32 v10, 20, v10
	v_and_b32_e32 v12, 0x80000000, v12
	v_lshl_add_u32 v11, v11, 23, v14
	v_or3_b32 v10, v12, v11, v10
.LBB17_116:
	s_or_b64 exec, exec, s[6:7]
	s_movk_i32 s4, 0xff
	v_and_b32_sdwa v11, v13, s4 dst_sel:DWORD dst_unused:UNUSED_PAD src0_sel:WORD_1 src1_sel:DWORD
	s_movk_i32 s4, 0x7f
	v_cmp_lt_i16_e32 vcc, s4, v11
	s_mov_b64 s[4:5], 0
                                        ; implicit-def: $sgpr10
	s_and_saveexec_b64 s[6:7], vcc
	s_xor_b64 s[6:7], exec, s[6:7]
	s_cbranch_execnz .LBB17_2165
; %bb.117:
	s_or_saveexec_b64 s[6:7], s[6:7]
	v_mov_b32_e32 v12, s10
	s_xor_b64 exec, exec, s[6:7]
	s_cbranch_execnz .LBB17_2168
.LBB17_118:
	s_or_b64 exec, exec, s[6:7]
	s_and_saveexec_b64 s[6:7], s[4:5]
	s_cbranch_execz .LBB17_120
.LBB17_119:
	v_bfe_u32 v11, v13, 16, 3
	v_ffbh_u32_e32 v15, v11
	v_min_u32_e32 v15, 32, v15
	v_lshrrev_b32_e32 v12, 19, v13
	v_subrev_u32_e32 v16, 28, v15
	v_and_b32_e32 v12, 15, v12
	v_lshlrev_b32_sdwa v16, v16, v13 dst_sel:DWORD dst_unused:UNUSED_PAD src0_sel:DWORD src1_sel:WORD_1
	v_bfe_u32 v14, v13, 19, 4
	v_sub_u32_e32 v15, 29, v15
	v_and_b32_e32 v16, 7, v16
	v_cmp_eq_u16_e32 vcc, 0, v12
	v_cndmask_b32_e32 v11, v11, v16, vcc
	v_cndmask_b32_e32 v12, v14, v15, vcc
	v_lshlrev_b32_e32 v14, 8, v13
	v_mov_b32_e32 v15, 0x3b800000
	v_lshlrev_b32_e32 v11, 20, v11
	v_and_b32_e32 v14, 0x80000000, v14
	v_lshl_add_u32 v12, v12, 23, v15
	v_or3_b32 v12, v14, v12, v11
.LBB17_120:
	s_or_b64 exec, exec, s[6:7]
	s_nop 0
	v_mfma_f32_16x16x4f32 a[0:3], v10, v12, a[0:3]
	s_movk_i32 s4, 0x7f
	v_cmp_gt_i16_sdwa s[6:7], v17, s4 src0_sel:BYTE_3 src1_sel:DWORD
	s_mov_b64 s[4:5], 0
                                        ; implicit-def: $sgpr10
	s_and_saveexec_b64 s[8:9], s[6:7]
	s_xor_b64 s[6:7], exec, s[8:9]
	s_cbranch_execnz .LBB17_2169
; %bb.121:
	s_or_saveexec_b64 s[6:7], s[6:7]
	v_mov_b32_e32 v10, s10
	s_xor_b64 exec, exec, s[6:7]
	s_cbranch_execnz .LBB17_2172
.LBB17_122:
	s_or_b64 exec, exec, s[6:7]
	s_and_saveexec_b64 s[6:7], s[4:5]
	s_cbranch_execz .LBB17_124
.LBB17_123:
	v_bfe_u32 v10, v17, 24, 3
	v_ffbh_u32_e32 v15, v10
	v_min_u32_e32 v15, 32, v15
	v_lshrrev_b32_e32 v12, 27, v17
	v_subrev_u32_e32 v16, 28, v15
	v_and_b32_e32 v12, 15, v12
	v_lshlrev_b32_sdwa v16, v16, v17 dst_sel:DWORD dst_unused:UNUSED_PAD src0_sel:DWORD src1_sel:BYTE_3
	v_bfe_u32 v14, v17, 27, 4
	v_sub_u32_e32 v15, 29, v15
	v_and_b32_e32 v16, 7, v16
	v_cmp_eq_u16_e32 vcc, 0, v12
	v_cndmask_b32_e32 v10, v10, v16, vcc
	v_cndmask_b32_e32 v12, v14, v15, vcc
	v_mov_b32_e32 v14, 0x3b800000
	v_and_b32_e32 v11, 0x80000000, v17
	v_lshlrev_b32_e32 v10, 20, v10
	v_lshl_add_u32 v12, v12, 23, v14
	v_or3_b32 v10, v11, v12, v10
.LBB17_124:
	s_or_b64 exec, exec, s[6:7]
	s_movk_i32 s4, 0x7f
	v_cmp_gt_i16_sdwa s[6:7], v13, s4 src0_sel:BYTE_3 src1_sel:DWORD
	s_mov_b64 s[4:5], 0
                                        ; implicit-def: $sgpr10
	s_and_saveexec_b64 s[8:9], s[6:7]
	s_xor_b64 s[6:7], exec, s[8:9]
	s_cbranch_execnz .LBB17_2173
; %bb.125:
	s_or_saveexec_b64 s[6:7], s[6:7]
	v_mov_b32_e32 v11, s10
	s_xor_b64 exec, exec, s[6:7]
	s_cbranch_execnz .LBB17_2176
.LBB17_126:
	s_or_b64 exec, exec, s[6:7]
	s_and_saveexec_b64 s[6:7], s[4:5]
	s_cbranch_execz .LBB17_128
.LBB17_127:
	v_bfe_u32 v11, v13, 24, 3
	v_ffbh_u32_e32 v16, v11
	v_min_u32_e32 v16, 32, v16
	v_lshrrev_b32_e32 v14, 27, v13
	v_subrev_u32_e32 v17, 28, v16
	v_and_b32_e32 v12, 0x80000000, v13
	v_and_b32_e32 v14, 15, v14
	v_bfe_u32 v15, v13, 27, 4
	v_lshlrev_b32_sdwa v13, v17, v13 dst_sel:DWORD dst_unused:UNUSED_PAD src0_sel:DWORD src1_sel:BYTE_3
	v_sub_u32_e32 v16, 29, v16
	v_and_b32_e32 v13, 7, v13
	v_cmp_eq_u16_e32 vcc, 0, v14
	v_cndmask_b32_e32 v11, v11, v13, vcc
	v_cndmask_b32_e32 v13, v15, v16, vcc
	v_mov_b32_e32 v14, 0x3b800000
	v_lshlrev_b32_e32 v11, 20, v11
	v_lshl_add_u32 v13, v13, 23, v14
	v_or3_b32 v11, v12, v13, v11
.LBB17_128:
	s_or_b64 exec, exec, s[6:7]
	s_nop 0
	v_mfma_f32_16x16x4f32 a[0:3], v10, v11, a[0:3]
	s_movk_i32 s4, 0x7f
	v_cmp_gt_i16_sdwa s[6:7], v6, s4 src0_sel:BYTE_0 src1_sel:DWORD
	s_mov_b64 s[4:5], 0
                                        ; implicit-def: $sgpr10
	s_and_saveexec_b64 s[8:9], s[6:7]
	s_xor_b64 s[6:7], exec, s[8:9]
	s_cbranch_execnz .LBB17_2177
; %bb.129:
	s_or_saveexec_b64 s[6:7], s[6:7]
	v_mov_b32_e32 v10, s10
	s_xor_b64 exec, exec, s[6:7]
	s_cbranch_execnz .LBB17_2180
.LBB17_130:
	s_or_b64 exec, exec, s[6:7]
	s_and_saveexec_b64 s[6:7], s[4:5]
	s_cbranch_execz .LBB17_132
.LBB17_131:
	v_and_b32_e32 v10, 7, v6
	v_ffbh_u32_e32 v12, v10
	v_min_u32_e32 v12, 32, v12
	v_lshrrev_b16_e32 v11, 3, v6
	v_subrev_u32_e32 v13, 28, v12
	v_and_b32_e32 v11, 15, v11
	v_lshlrev_b32_e32 v13, v13, v6
	v_sub_u32_e32 v12, 29, v12
	v_and_b32_e32 v13, 7, v13
	v_cmp_eq_u16_e32 vcc, 0, v11
	v_cndmask_b32_e32 v10, v10, v13, vcc
	v_cndmask_b32_e32 v11, v11, v12, vcc
	v_lshlrev_b32_e32 v12, 24, v6
	v_mov_b32_e32 v13, 0x3b800000
	v_lshlrev_b32_e32 v10, 20, v10
	v_and_b32_e32 v12, 0x80000000, v12
	v_lshl_add_u32 v11, v11, 23, v13
	v_or3_b32 v10, v12, v11, v10
.LBB17_132:
	s_or_b64 exec, exec, s[6:7]
	s_movk_i32 s4, 0x7f
	v_cmp_gt_i16_sdwa s[6:7], v2, s4 src0_sel:BYTE_0 src1_sel:DWORD
	s_mov_b64 s[4:5], 0
                                        ; implicit-def: $sgpr10
	s_and_saveexec_b64 s[8:9], s[6:7]
	s_xor_b64 s[6:7], exec, s[8:9]
	s_cbranch_execnz .LBB17_2181
; %bb.133:
	s_or_saveexec_b64 s[6:7], s[6:7]
	v_mov_b32_e32 v11, s10
	s_xor_b64 exec, exec, s[6:7]
	s_cbranch_execnz .LBB17_2184
.LBB17_134:
	s_or_b64 exec, exec, s[6:7]
	s_and_saveexec_b64 s[6:7], s[4:5]
	s_cbranch_execz .LBB17_136
.LBB17_135:
	v_and_b32_e32 v11, 7, v2
	v_ffbh_u32_e32 v13, v11
	v_min_u32_e32 v13, 32, v13
	v_lshrrev_b16_e32 v12, 3, v2
	v_subrev_u32_e32 v14, 28, v13
	v_and_b32_e32 v12, 15, v12
	v_lshlrev_b32_e32 v14, v14, v2
	v_sub_u32_e32 v13, 29, v13
	v_and_b32_e32 v14, 7, v14
	v_cmp_eq_u16_e32 vcc, 0, v12
	v_cndmask_b32_e32 v11, v11, v14, vcc
	v_cndmask_b32_e32 v12, v12, v13, vcc
	v_lshlrev_b32_e32 v13, 24, v2
	v_mov_b32_e32 v14, 0x3b800000
	v_lshlrev_b32_e32 v11, 20, v11
	v_and_b32_e32 v13, 0x80000000, v13
	v_lshl_add_u32 v12, v12, 23, v14
	v_or3_b32 v11, v13, v12, v11
.LBB17_136:
	s_or_b64 exec, exec, s[6:7]
	s_nop 0
	v_mfma_f32_16x16x4f32 a[0:3], v10, v11, a[0:3]
	v_lshrrev_b32_e32 v11, 8, v6
	s_movk_i32 s4, 0x7f
	v_cmp_gt_i16_sdwa s[6:7], v11, s4 src0_sel:BYTE_0 src1_sel:DWORD
	s_mov_b64 s[4:5], 0
                                        ; implicit-def: $sgpr10
	s_and_saveexec_b64 s[8:9], s[6:7]
	s_xor_b64 s[6:7], exec, s[8:9]
	s_cbranch_execnz .LBB17_2185
; %bb.137:
	s_or_saveexec_b64 s[6:7], s[6:7]
	v_mov_b32_e32 v10, s10
	s_xor_b64 exec, exec, s[6:7]
	s_cbranch_execnz .LBB17_2188
.LBB17_138:
	s_or_b64 exec, exec, s[6:7]
	s_and_saveexec_b64 s[6:7], s[4:5]
	s_cbranch_execz .LBB17_140
.LBB17_139:
	v_bfe_u32 v10, v6, 8, 3
	v_ffbh_u32_e32 v13, v10
	v_min_u32_e32 v13, 32, v13
	v_lshrrev_b16_e32 v12, 3, v11
	v_subrev_u32_e32 v14, 28, v13
	v_and_b32_e32 v12, 15, v12
	v_lshlrev_b32_e32 v11, v14, v11
	v_sub_u32_e32 v13, 29, v13
	v_and_b32_e32 v11, 7, v11
	v_cmp_eq_u16_e32 vcc, 0, v12
	v_cndmask_b32_e32 v10, v10, v11, vcc
	v_cndmask_b32_e32 v11, v12, v13, vcc
	v_lshlrev_b32_e32 v12, 16, v6
	v_mov_b32_e32 v13, 0x3b800000
	v_lshlrev_b32_e32 v10, 20, v10
	v_and_b32_e32 v12, 0x80000000, v12
	v_lshl_add_u32 v11, v11, 23, v13
	v_or3_b32 v10, v12, v11, v10
.LBB17_140:
	s_or_b64 exec, exec, s[6:7]
	v_lshrrev_b32_e32 v11, 8, v2
	s_movk_i32 s4, 0x7f
	v_cmp_gt_i16_sdwa s[6:7], v11, s4 src0_sel:BYTE_0 src1_sel:DWORD
	s_mov_b64 s[4:5], 0
                                        ; implicit-def: $sgpr10
	s_and_saveexec_b64 s[8:9], s[6:7]
	s_xor_b64 s[6:7], exec, s[8:9]
	s_cbranch_execnz .LBB17_2189
; %bb.141:
	s_or_saveexec_b64 s[6:7], s[6:7]
	v_mov_b32_e32 v12, s10
	s_xor_b64 exec, exec, s[6:7]
	s_cbranch_execnz .LBB17_2192
.LBB17_142:
	s_or_b64 exec, exec, s[6:7]
	s_and_saveexec_b64 s[6:7], s[4:5]
	s_cbranch_execz .LBB17_144
.LBB17_143:
	v_bfe_u32 v12, v2, 8, 3
	v_ffbh_u32_e32 v14, v12
	v_min_u32_e32 v14, 32, v14
	v_lshrrev_b16_e32 v13, 3, v11
	v_subrev_u32_e32 v15, 28, v14
	v_and_b32_e32 v13, 15, v13
	v_lshlrev_b32_e32 v11, v15, v11
	v_sub_u32_e32 v14, 29, v14
	v_and_b32_e32 v11, 7, v11
	v_cmp_eq_u16_e32 vcc, 0, v13
	v_cndmask_b32_e32 v11, v12, v11, vcc
	v_cndmask_b32_e32 v12, v13, v14, vcc
	v_lshlrev_b32_e32 v13, 16, v2
	v_mov_b32_e32 v14, 0x3b800000
	v_lshlrev_b32_e32 v11, 20, v11
	v_and_b32_e32 v13, 0x80000000, v13
	v_lshl_add_u32 v12, v12, 23, v14
	v_or3_b32 v12, v13, v12, v11
.LBB17_144:
	s_or_b64 exec, exec, s[6:7]
	s_nop 0
	v_mfma_f32_16x16x4f32 a[0:3], v10, v12, a[0:3]
	s_movk_i32 s4, 0xff
	v_and_b32_sdwa v11, v6, s4 dst_sel:DWORD dst_unused:UNUSED_PAD src0_sel:WORD_1 src1_sel:DWORD
	s_movk_i32 s4, 0x7f
	v_cmp_lt_i16_e32 vcc, s4, v11
	s_mov_b64 s[4:5], 0
                                        ; implicit-def: $sgpr10
	s_and_saveexec_b64 s[6:7], vcc
	s_xor_b64 s[6:7], exec, s[6:7]
	s_cbranch_execnz .LBB17_2193
; %bb.145:
	s_or_saveexec_b64 s[6:7], s[6:7]
	v_mov_b32_e32 v10, s10
	s_xor_b64 exec, exec, s[6:7]
	s_cbranch_execnz .LBB17_2196
.LBB17_146:
	s_or_b64 exec, exec, s[6:7]
	s_and_saveexec_b64 s[6:7], s[4:5]
	s_cbranch_execz .LBB17_148
.LBB17_147:
	v_bfe_u32 v10, v6, 16, 3
	v_ffbh_u32_e32 v13, v10
	v_min_u32_e32 v13, 32, v13
	v_lshrrev_b32_e32 v11, 19, v6
	v_subrev_u32_e32 v14, 28, v13
	v_and_b32_e32 v11, 15, v11
	v_lshlrev_b32_sdwa v14, v14, v6 dst_sel:DWORD dst_unused:UNUSED_PAD src0_sel:DWORD src1_sel:WORD_1
	v_bfe_u32 v12, v6, 19, 4
	v_sub_u32_e32 v13, 29, v13
	v_and_b32_e32 v14, 7, v14
	v_cmp_eq_u16_e32 vcc, 0, v11
	v_cndmask_b32_e32 v10, v10, v14, vcc
	v_cndmask_b32_e32 v11, v12, v13, vcc
	v_lshlrev_b32_e32 v12, 8, v6
	v_mov_b32_e32 v13, 0x3b800000
	v_lshlrev_b32_e32 v10, 20, v10
	v_and_b32_e32 v12, 0x80000000, v12
	v_lshl_add_u32 v11, v11, 23, v13
	v_or3_b32 v10, v12, v11, v10
.LBB17_148:
	s_or_b64 exec, exec, s[6:7]
	s_movk_i32 s4, 0xff
	v_and_b32_sdwa v11, v2, s4 dst_sel:DWORD dst_unused:UNUSED_PAD src0_sel:WORD_1 src1_sel:DWORD
	s_movk_i32 s4, 0x7f
	v_cmp_lt_i16_e32 vcc, s4, v11
	s_mov_b64 s[4:5], 0
                                        ; implicit-def: $sgpr10
	s_and_saveexec_b64 s[6:7], vcc
	s_xor_b64 s[6:7], exec, s[6:7]
	s_cbranch_execnz .LBB17_2197
; %bb.149:
	s_or_saveexec_b64 s[6:7], s[6:7]
	v_mov_b32_e32 v12, s10
	s_xor_b64 exec, exec, s[6:7]
	s_cbranch_execnz .LBB17_2200
.LBB17_150:
	s_or_b64 exec, exec, s[6:7]
	s_and_saveexec_b64 s[6:7], s[4:5]
	s_cbranch_execz .LBB17_152
.LBB17_151:
	v_bfe_u32 v11, v2, 16, 3
	v_ffbh_u32_e32 v14, v11
	v_min_u32_e32 v14, 32, v14
	v_lshrrev_b32_e32 v12, 19, v2
	v_subrev_u32_e32 v15, 28, v14
	v_and_b32_e32 v12, 15, v12
	v_lshlrev_b32_sdwa v15, v15, v2 dst_sel:DWORD dst_unused:UNUSED_PAD src0_sel:DWORD src1_sel:WORD_1
	v_bfe_u32 v13, v2, 19, 4
	v_sub_u32_e32 v14, 29, v14
	v_and_b32_e32 v15, 7, v15
	v_cmp_eq_u16_e32 vcc, 0, v12
	v_cndmask_b32_e32 v11, v11, v15, vcc
	v_cndmask_b32_e32 v12, v13, v14, vcc
	v_lshlrev_b32_e32 v13, 8, v2
	v_mov_b32_e32 v14, 0x3b800000
	v_lshlrev_b32_e32 v11, 20, v11
	v_and_b32_e32 v13, 0x80000000, v13
	v_lshl_add_u32 v12, v12, 23, v14
	v_or3_b32 v12, v13, v12, v11
.LBB17_152:
	s_or_b64 exec, exec, s[6:7]
	s_nop 0
	v_mfma_f32_16x16x4f32 a[0:3], v10, v12, a[0:3]
	s_movk_i32 s4, 0x7f
	v_cmp_gt_i16_sdwa s[6:7], v6, s4 src0_sel:BYTE_3 src1_sel:DWORD
	s_mov_b64 s[4:5], 0
                                        ; implicit-def: $sgpr10
	s_and_saveexec_b64 s[8:9], s[6:7]
	s_xor_b64 s[6:7], exec, s[8:9]
	s_cbranch_execnz .LBB17_2201
; %bb.153:
	s_or_saveexec_b64 s[6:7], s[6:7]
	v_mov_b32_e32 v10, s10
	s_xor_b64 exec, exec, s[6:7]
	s_cbranch_execnz .LBB17_2204
.LBB17_154:
	s_or_b64 exec, exec, s[6:7]
	s_and_saveexec_b64 s[6:7], s[4:5]
	s_cbranch_execz .LBB17_156
.LBB17_155:
	v_bfe_u32 v10, v6, 24, 3
	v_ffbh_u32_e32 v14, v10
	v_min_u32_e32 v14, 32, v14
	v_lshrrev_b32_e32 v12, 27, v6
	v_subrev_u32_e32 v15, 28, v14
	v_and_b32_e32 v11, 0x80000000, v6
	v_and_b32_e32 v12, 15, v12
	v_bfe_u32 v13, v6, 27, 4
	v_lshlrev_b32_sdwa v6, v15, v6 dst_sel:DWORD dst_unused:UNUSED_PAD src0_sel:DWORD src1_sel:BYTE_3
	v_sub_u32_e32 v14, 29, v14
	v_and_b32_e32 v6, 7, v6
	v_cmp_eq_u16_e32 vcc, 0, v12
	v_cndmask_b32_e32 v6, v10, v6, vcc
	v_cndmask_b32_e32 v10, v13, v14, vcc
	v_mov_b32_e32 v12, 0x3b800000
	v_lshlrev_b32_e32 v6, 20, v6
	v_lshl_add_u32 v10, v10, 23, v12
	v_or3_b32 v10, v11, v10, v6
.LBB17_156:
	s_or_b64 exec, exec, s[6:7]
	s_movk_i32 s4, 0x7f
	v_cmp_gt_i16_sdwa s[6:7], v2, s4 src0_sel:BYTE_3 src1_sel:DWORD
	s_mov_b64 s[4:5], 0
                                        ; implicit-def: $sgpr10
	s_and_saveexec_b64 s[8:9], s[6:7]
	s_xor_b64 s[6:7], exec, s[8:9]
	s_cbranch_execnz .LBB17_2205
; %bb.157:
	s_or_saveexec_b64 s[6:7], s[6:7]
	v_mov_b32_e32 v6, s10
	s_xor_b64 exec, exec, s[6:7]
	s_cbranch_execnz .LBB17_2208
.LBB17_158:
	s_or_b64 exec, exec, s[6:7]
	s_and_saveexec_b64 s[6:7], s[4:5]
	s_cbranch_execz .LBB17_160
.LBB17_159:
	v_bfe_u32 v6, v2, 24, 3
	v_ffbh_u32_e32 v14, v6
	v_min_u32_e32 v14, 32, v14
	v_lshrrev_b32_e32 v12, 27, v2
	v_subrev_u32_e32 v15, 28, v14
	v_and_b32_e32 v11, 0x80000000, v2
	v_and_b32_e32 v12, 15, v12
	v_bfe_u32 v13, v2, 27, 4
	v_lshlrev_b32_sdwa v2, v15, v2 dst_sel:DWORD dst_unused:UNUSED_PAD src0_sel:DWORD src1_sel:BYTE_3
	v_sub_u32_e32 v14, 29, v14
	v_and_b32_e32 v2, 7, v2
	v_cmp_eq_u16_e32 vcc, 0, v12
	v_cndmask_b32_e32 v2, v6, v2, vcc
	v_cndmask_b32_e32 v6, v13, v14, vcc
	v_mov_b32_e32 v12, 0x3b800000
	v_lshlrev_b32_e32 v2, 20, v2
	v_lshl_add_u32 v6, v6, 23, v12
	v_or3_b32 v6, v11, v6, v2
.LBB17_160:
	s_or_b64 exec, exec, s[6:7]
	s_nop 0
	v_mfma_f32_16x16x4f32 a[0:3], v10, v6, a[0:3]
	s_movk_i32 s4, 0x7f
	v_cmp_gt_i16_sdwa s[6:7], v7, s4 src0_sel:BYTE_0 src1_sel:DWORD
	s_mov_b64 s[4:5], 0
                                        ; implicit-def: $sgpr10
	s_and_saveexec_b64 s[8:9], s[6:7]
	s_xor_b64 s[6:7], exec, s[8:9]
	s_cbranch_execnz .LBB17_2209
; %bb.161:
	s_or_saveexec_b64 s[6:7], s[6:7]
	v_mov_b32_e32 v2, s10
	s_xor_b64 exec, exec, s[6:7]
	s_cbranch_execnz .LBB17_2212
.LBB17_162:
	s_or_b64 exec, exec, s[6:7]
	s_and_saveexec_b64 s[6:7], s[4:5]
	s_cbranch_execz .LBB17_164
.LBB17_163:
	v_and_b32_e32 v2, 7, v7
	v_ffbh_u32_e32 v10, v2
	v_min_u32_e32 v10, 32, v10
	v_lshrrev_b16_e32 v6, 3, v7
	v_subrev_u32_e32 v11, 28, v10
	v_and_b32_e32 v6, 15, v6
	v_lshlrev_b32_e32 v11, v11, v7
	v_sub_u32_e32 v10, 29, v10
	v_and_b32_e32 v11, 7, v11
	v_cmp_eq_u16_e32 vcc, 0, v6
	v_cndmask_b32_e32 v2, v2, v11, vcc
	v_cndmask_b32_e32 v6, v6, v10, vcc
	v_lshlrev_b32_e32 v10, 24, v7
	v_mov_b32_e32 v11, 0x3b800000
	v_lshlrev_b32_e32 v2, 20, v2
	v_and_b32_e32 v10, 0x80000000, v10
	v_lshl_add_u32 v6, v6, 23, v11
	v_or3_b32 v2, v10, v6, v2
.LBB17_164:
	s_or_b64 exec, exec, s[6:7]
	s_movk_i32 s4, 0x7f
	v_cmp_gt_i16_sdwa s[6:7], v3, s4 src0_sel:BYTE_0 src1_sel:DWORD
	s_mov_b64 s[4:5], 0
                                        ; implicit-def: $sgpr10
	s_and_saveexec_b64 s[8:9], s[6:7]
	s_xor_b64 s[6:7], exec, s[8:9]
	s_cbranch_execnz .LBB17_2213
; %bb.165:
	s_or_saveexec_b64 s[6:7], s[6:7]
	v_mov_b32_e32 v6, s10
	s_xor_b64 exec, exec, s[6:7]
	s_cbranch_execnz .LBB17_2216
.LBB17_166:
	s_or_b64 exec, exec, s[6:7]
	s_and_saveexec_b64 s[6:7], s[4:5]
	s_cbranch_execz .LBB17_168
.LBB17_167:
	v_and_b32_e32 v6, 7, v3
	v_ffbh_u32_e32 v11, v6
	v_min_u32_e32 v11, 32, v11
	v_lshrrev_b16_e32 v10, 3, v3
	v_subrev_u32_e32 v12, 28, v11
	v_and_b32_e32 v10, 15, v10
	v_lshlrev_b32_e32 v12, v12, v3
	v_sub_u32_e32 v11, 29, v11
	v_and_b32_e32 v12, 7, v12
	v_cmp_eq_u16_e32 vcc, 0, v10
	v_cndmask_b32_e32 v6, v6, v12, vcc
	v_cndmask_b32_e32 v10, v10, v11, vcc
	v_lshlrev_b32_e32 v11, 24, v3
	v_mov_b32_e32 v12, 0x3b800000
	v_lshlrev_b32_e32 v6, 20, v6
	v_and_b32_e32 v11, 0x80000000, v11
	v_lshl_add_u32 v10, v10, 23, v12
	v_or3_b32 v6, v11, v10, v6
.LBB17_168:
	s_or_b64 exec, exec, s[6:7]
	s_nop 0
	v_mfma_f32_16x16x4f32 a[0:3], v2, v6, a[0:3]
	v_lshrrev_b32_e32 v6, 8, v7
	s_movk_i32 s4, 0x7f
	v_cmp_gt_i16_sdwa s[6:7], v6, s4 src0_sel:BYTE_0 src1_sel:DWORD
	s_mov_b64 s[4:5], 0
                                        ; implicit-def: $sgpr10
	s_and_saveexec_b64 s[8:9], s[6:7]
	s_xor_b64 s[6:7], exec, s[8:9]
	s_cbranch_execnz .LBB17_2217
; %bb.169:
	s_or_saveexec_b64 s[6:7], s[6:7]
	v_mov_b32_e32 v2, s10
	s_xor_b64 exec, exec, s[6:7]
	s_cbranch_execnz .LBB17_2220
.LBB17_170:
	s_or_b64 exec, exec, s[6:7]
	s_and_saveexec_b64 s[6:7], s[4:5]
	s_cbranch_execz .LBB17_172
.LBB17_171:
	v_bfe_u32 v2, v7, 8, 3
	v_ffbh_u32_e32 v11, v2
	v_min_u32_e32 v11, 32, v11
	v_lshrrev_b16_e32 v10, 3, v6
	v_subrev_u32_e32 v12, 28, v11
	v_and_b32_e32 v10, 15, v10
	v_lshlrev_b32_e32 v6, v12, v6
	v_sub_u32_e32 v11, 29, v11
	v_and_b32_e32 v6, 7, v6
	v_cmp_eq_u16_e32 vcc, 0, v10
	v_cndmask_b32_e32 v2, v2, v6, vcc
	v_cndmask_b32_e32 v6, v10, v11, vcc
	v_lshlrev_b32_e32 v10, 16, v7
	v_mov_b32_e32 v11, 0x3b800000
	v_lshlrev_b32_e32 v2, 20, v2
	v_and_b32_e32 v10, 0x80000000, v10
	v_lshl_add_u32 v6, v6, 23, v11
	v_or3_b32 v2, v10, v6, v2
.LBB17_172:
	s_or_b64 exec, exec, s[6:7]
	v_lshrrev_b32_e32 v6, 8, v3
	s_movk_i32 s4, 0x7f
	v_cmp_gt_i16_sdwa s[6:7], v6, s4 src0_sel:BYTE_0 src1_sel:DWORD
	s_mov_b64 s[4:5], 0
                                        ; implicit-def: $sgpr10
	s_and_saveexec_b64 s[8:9], s[6:7]
	s_xor_b64 s[6:7], exec, s[8:9]
	s_cbranch_execnz .LBB17_2221
; %bb.173:
	s_or_saveexec_b64 s[6:7], s[6:7]
	v_mov_b32_e32 v10, s10
	s_xor_b64 exec, exec, s[6:7]
	s_cbranch_execnz .LBB17_2224
.LBB17_174:
	s_or_b64 exec, exec, s[6:7]
	s_and_saveexec_b64 s[6:7], s[4:5]
	s_cbranch_execz .LBB17_176
.LBB17_175:
	v_bfe_u32 v10, v3, 8, 3
	v_ffbh_u32_e32 v12, v10
	v_min_u32_e32 v12, 32, v12
	v_lshrrev_b16_e32 v11, 3, v6
	v_subrev_u32_e32 v13, 28, v12
	v_and_b32_e32 v11, 15, v11
	v_lshlrev_b32_e32 v6, v13, v6
	v_sub_u32_e32 v12, 29, v12
	v_and_b32_e32 v6, 7, v6
	v_cmp_eq_u16_e32 vcc, 0, v11
	v_cndmask_b32_e32 v6, v10, v6, vcc
	v_cndmask_b32_e32 v10, v11, v12, vcc
	v_lshlrev_b32_e32 v11, 16, v3
	v_mov_b32_e32 v12, 0x3b800000
	v_lshlrev_b32_e32 v6, 20, v6
	v_and_b32_e32 v11, 0x80000000, v11
	v_lshl_add_u32 v10, v10, 23, v12
	v_or3_b32 v10, v11, v10, v6
.LBB17_176:
	s_or_b64 exec, exec, s[6:7]
	s_nop 0
	v_mfma_f32_16x16x4f32 a[0:3], v2, v10, a[0:3]
	s_movk_i32 s4, 0xff
	v_and_b32_sdwa v6, v7, s4 dst_sel:DWORD dst_unused:UNUSED_PAD src0_sel:WORD_1 src1_sel:DWORD
	s_movk_i32 s4, 0x7f
	v_cmp_lt_i16_e32 vcc, s4, v6
	s_mov_b64 s[4:5], 0
                                        ; implicit-def: $sgpr10
	s_and_saveexec_b64 s[6:7], vcc
	s_xor_b64 s[6:7], exec, s[6:7]
	s_cbranch_execnz .LBB17_2225
; %bb.177:
	s_or_saveexec_b64 s[6:7], s[6:7]
	v_mov_b32_e32 v2, s10
	s_xor_b64 exec, exec, s[6:7]
	s_cbranch_execnz .LBB17_2228
.LBB17_178:
	s_or_b64 exec, exec, s[6:7]
	s_and_saveexec_b64 s[6:7], s[4:5]
	s_cbranch_execz .LBB17_180
.LBB17_179:
	v_bfe_u32 v2, v7, 16, 3
	v_ffbh_u32_e32 v11, v2
	v_min_u32_e32 v11, 32, v11
	v_lshrrev_b32_e32 v6, 19, v7
	v_subrev_u32_e32 v12, 28, v11
	v_and_b32_e32 v6, 15, v6
	v_lshlrev_b32_sdwa v12, v12, v7 dst_sel:DWORD dst_unused:UNUSED_PAD src0_sel:DWORD src1_sel:WORD_1
	v_bfe_u32 v10, v7, 19, 4
	v_sub_u32_e32 v11, 29, v11
	v_and_b32_e32 v12, 7, v12
	v_cmp_eq_u16_e32 vcc, 0, v6
	v_cndmask_b32_e32 v2, v2, v12, vcc
	v_cndmask_b32_e32 v6, v10, v11, vcc
	v_lshlrev_b32_e32 v10, 8, v7
	v_mov_b32_e32 v11, 0x3b800000
	v_lshlrev_b32_e32 v2, 20, v2
	v_and_b32_e32 v10, 0x80000000, v10
	v_lshl_add_u32 v6, v6, 23, v11
	v_or3_b32 v2, v10, v6, v2
.LBB17_180:
	s_or_b64 exec, exec, s[6:7]
	s_movk_i32 s4, 0xff
	v_and_b32_sdwa v6, v3, s4 dst_sel:DWORD dst_unused:UNUSED_PAD src0_sel:WORD_1 src1_sel:DWORD
	s_movk_i32 s4, 0x7f
	v_cmp_lt_i16_e32 vcc, s4, v6
	s_mov_b64 s[4:5], 0
                                        ; implicit-def: $sgpr10
	s_and_saveexec_b64 s[6:7], vcc
	s_xor_b64 s[6:7], exec, s[6:7]
	s_cbranch_execnz .LBB17_2229
; %bb.181:
	s_or_saveexec_b64 s[6:7], s[6:7]
	v_mov_b32_e32 v10, s10
	s_xor_b64 exec, exec, s[6:7]
	s_cbranch_execnz .LBB17_2232
.LBB17_182:
	s_or_b64 exec, exec, s[6:7]
	s_and_saveexec_b64 s[6:7], s[4:5]
	s_cbranch_execz .LBB17_184
.LBB17_183:
	v_bfe_u32 v6, v3, 16, 3
	v_ffbh_u32_e32 v12, v6
	v_min_u32_e32 v12, 32, v12
	v_lshrrev_b32_e32 v10, 19, v3
	v_subrev_u32_e32 v13, 28, v12
	v_and_b32_e32 v10, 15, v10
	v_lshlrev_b32_sdwa v13, v13, v3 dst_sel:DWORD dst_unused:UNUSED_PAD src0_sel:DWORD src1_sel:WORD_1
	v_bfe_u32 v11, v3, 19, 4
	v_sub_u32_e32 v12, 29, v12
	v_and_b32_e32 v13, 7, v13
	v_cmp_eq_u16_e32 vcc, 0, v10
	v_cndmask_b32_e32 v6, v6, v13, vcc
	v_cndmask_b32_e32 v10, v11, v12, vcc
	v_lshlrev_b32_e32 v11, 8, v3
	v_mov_b32_e32 v12, 0x3b800000
	v_lshlrev_b32_e32 v6, 20, v6
	v_and_b32_e32 v11, 0x80000000, v11
	v_lshl_add_u32 v10, v10, 23, v12
	v_or3_b32 v10, v11, v10, v6
.LBB17_184:
	s_or_b64 exec, exec, s[6:7]
	s_nop 0
	v_mfma_f32_16x16x4f32 a[0:3], v2, v10, a[0:3]
	s_movk_i32 s4, 0x7f
	v_cmp_gt_i16_sdwa s[6:7], v7, s4 src0_sel:BYTE_3 src1_sel:DWORD
	s_mov_b64 s[4:5], 0
                                        ; implicit-def: $sgpr10
	s_and_saveexec_b64 s[8:9], s[6:7]
	s_xor_b64 s[6:7], exec, s[8:9]
	s_cbranch_execnz .LBB17_2233
; %bb.185:
	s_or_saveexec_b64 s[6:7], s[6:7]
	v_mov_b32_e32 v2, s10
	s_xor_b64 exec, exec, s[6:7]
	s_cbranch_execnz .LBB17_2236
.LBB17_186:
	s_or_b64 exec, exec, s[6:7]
	s_and_saveexec_b64 s[6:7], s[4:5]
	s_cbranch_execz .LBB17_188
.LBB17_187:
	v_bfe_u32 v2, v7, 24, 3
	v_ffbh_u32_e32 v12, v2
	v_min_u32_e32 v12, 32, v12
	v_lshrrev_b32_e32 v10, 27, v7
	v_subrev_u32_e32 v13, 28, v12
	v_and_b32_e32 v6, 0x80000000, v7
	v_and_b32_e32 v10, 15, v10
	v_bfe_u32 v11, v7, 27, 4
	v_lshlrev_b32_sdwa v7, v13, v7 dst_sel:DWORD dst_unused:UNUSED_PAD src0_sel:DWORD src1_sel:BYTE_3
	v_sub_u32_e32 v12, 29, v12
	v_and_b32_e32 v7, 7, v7
	v_cmp_eq_u16_e32 vcc, 0, v10
	v_cndmask_b32_e32 v2, v2, v7, vcc
	v_cndmask_b32_e32 v7, v11, v12, vcc
	v_mov_b32_e32 v10, 0x3b800000
	v_lshlrev_b32_e32 v2, 20, v2
	v_lshl_add_u32 v7, v7, 23, v10
	v_or3_b32 v2, v6, v7, v2
.LBB17_188:
	s_or_b64 exec, exec, s[6:7]
	s_movk_i32 s4, 0x7f
	v_cmp_gt_i16_sdwa s[6:7], v3, s4 src0_sel:BYTE_3 src1_sel:DWORD
	s_mov_b64 s[4:5], 0
                                        ; implicit-def: $sgpr10
	s_and_saveexec_b64 s[8:9], s[6:7]
	s_xor_b64 s[6:7], exec, s[8:9]
	s_cbranch_execnz .LBB17_2237
; %bb.189:
	s_or_saveexec_b64 s[6:7], s[6:7]
	v_mov_b32_e32 v6, s10
	s_xor_b64 exec, exec, s[6:7]
	s_cbranch_execnz .LBB17_2240
.LBB17_190:
	s_or_b64 exec, exec, s[6:7]
	s_and_saveexec_b64 s[6:7], s[4:5]
	s_cbranch_execz .LBB17_192
.LBB17_191:
	v_bfe_u32 v6, v3, 24, 3
	v_ffbh_u32_e32 v12, v6
	v_min_u32_e32 v12, 32, v12
	v_lshrrev_b32_e32 v10, 27, v3
	v_subrev_u32_e32 v13, 28, v12
	v_and_b32_e32 v7, 0x80000000, v3
	v_and_b32_e32 v10, 15, v10
	v_bfe_u32 v11, v3, 27, 4
	v_lshlrev_b32_sdwa v3, v13, v3 dst_sel:DWORD dst_unused:UNUSED_PAD src0_sel:DWORD src1_sel:BYTE_3
	v_sub_u32_e32 v12, 29, v12
	v_and_b32_e32 v3, 7, v3
	v_cmp_eq_u16_e32 vcc, 0, v10
	v_cndmask_b32_e32 v3, v6, v3, vcc
	v_cndmask_b32_e32 v6, v11, v12, vcc
	v_mov_b32_e32 v10, 0x3b800000
	v_lshlrev_b32_e32 v3, 20, v3
	v_lshl_add_u32 v6, v6, 23, v10
	v_or3_b32 v6, v7, v6, v3
.LBB17_192:
	s_or_b64 exec, exec, s[6:7]
	s_nop 0
	v_mfma_f32_16x16x4f32 a[0:3], v2, v6, a[0:3]
	s_movk_i32 s4, 0x7f
	v_cmp_gt_i16_sdwa s[6:7], v8, s4 src0_sel:BYTE_0 src1_sel:DWORD
	s_mov_b64 s[4:5], 0
                                        ; implicit-def: $sgpr10
	s_and_saveexec_b64 s[8:9], s[6:7]
	s_xor_b64 s[6:7], exec, s[8:9]
	s_cbranch_execnz .LBB17_2241
; %bb.193:
	s_or_saveexec_b64 s[6:7], s[6:7]
	v_mov_b32_e32 v2, s10
	s_xor_b64 exec, exec, s[6:7]
	s_cbranch_execnz .LBB17_2244
.LBB17_194:
	s_or_b64 exec, exec, s[6:7]
	s_and_saveexec_b64 s[6:7], s[4:5]
	s_cbranch_execz .LBB17_196
.LBB17_195:
	v_and_b32_e32 v2, 7, v8
	v_ffbh_u32_e32 v6, v2
	v_min_u32_e32 v6, 32, v6
	v_lshrrev_b16_e32 v3, 3, v8
	v_subrev_u32_e32 v7, 28, v6
	v_and_b32_e32 v3, 15, v3
	v_lshlrev_b32_e32 v7, v7, v8
	v_sub_u32_e32 v6, 29, v6
	v_and_b32_e32 v7, 7, v7
	v_cmp_eq_u16_e32 vcc, 0, v3
	v_cndmask_b32_e32 v2, v2, v7, vcc
	v_cndmask_b32_e32 v3, v3, v6, vcc
	v_lshlrev_b32_e32 v6, 24, v8
	v_mov_b32_e32 v7, 0x3b800000
	v_lshlrev_b32_e32 v2, 20, v2
	v_and_b32_e32 v6, 0x80000000, v6
	v_lshl_add_u32 v3, v3, 23, v7
	v_or3_b32 v2, v6, v3, v2
.LBB17_196:
	s_or_b64 exec, exec, s[6:7]
	s_movk_i32 s4, 0x7f
	v_cmp_gt_i16_sdwa s[6:7], v4, s4 src0_sel:BYTE_0 src1_sel:DWORD
	s_mov_b64 s[4:5], 0
                                        ; implicit-def: $sgpr10
	s_and_saveexec_b64 s[8:9], s[6:7]
	s_xor_b64 s[6:7], exec, s[8:9]
	s_cbranch_execnz .LBB17_2245
; %bb.197:
	s_or_saveexec_b64 s[6:7], s[6:7]
	v_mov_b32_e32 v3, s10
	s_xor_b64 exec, exec, s[6:7]
	s_cbranch_execnz .LBB17_2248
.LBB17_198:
	s_or_b64 exec, exec, s[6:7]
	s_and_saveexec_b64 s[6:7], s[4:5]
	s_cbranch_execz .LBB17_200
.LBB17_199:
	v_and_b32_e32 v3, 7, v4
	v_ffbh_u32_e32 v7, v3
	v_min_u32_e32 v7, 32, v7
	v_lshrrev_b16_e32 v6, 3, v4
	v_subrev_u32_e32 v10, 28, v7
	v_and_b32_e32 v6, 15, v6
	v_lshlrev_b32_e32 v10, v10, v4
	v_sub_u32_e32 v7, 29, v7
	v_and_b32_e32 v10, 7, v10
	v_cmp_eq_u16_e32 vcc, 0, v6
	v_cndmask_b32_e32 v3, v3, v10, vcc
	v_cndmask_b32_e32 v6, v6, v7, vcc
	v_lshlrev_b32_e32 v7, 24, v4
	v_mov_b32_e32 v10, 0x3b800000
	v_lshlrev_b32_e32 v3, 20, v3
	v_and_b32_e32 v7, 0x80000000, v7
	v_lshl_add_u32 v6, v6, 23, v10
	v_or3_b32 v3, v7, v6, v3
.LBB17_200:
	s_or_b64 exec, exec, s[6:7]
	s_nop 0
	v_mfma_f32_16x16x4f32 a[0:3], v2, v3, a[0:3]
	v_lshrrev_b32_e32 v3, 8, v8
	s_movk_i32 s4, 0x7f
	v_cmp_gt_i16_sdwa s[6:7], v3, s4 src0_sel:BYTE_0 src1_sel:DWORD
	s_mov_b64 s[4:5], 0
                                        ; implicit-def: $sgpr10
	s_and_saveexec_b64 s[8:9], s[6:7]
	s_xor_b64 s[6:7], exec, s[8:9]
	s_cbranch_execnz .LBB17_2249
; %bb.201:
	s_or_saveexec_b64 s[6:7], s[6:7]
	v_mov_b32_e32 v2, s10
	s_xor_b64 exec, exec, s[6:7]
	s_cbranch_execnz .LBB17_2252
.LBB17_202:
	s_or_b64 exec, exec, s[6:7]
	s_and_saveexec_b64 s[6:7], s[4:5]
	s_cbranch_execz .LBB17_204
.LBB17_203:
	v_bfe_u32 v2, v8, 8, 3
	v_ffbh_u32_e32 v7, v2
	v_min_u32_e32 v7, 32, v7
	v_lshrrev_b16_e32 v6, 3, v3
	v_subrev_u32_e32 v10, 28, v7
	v_and_b32_e32 v6, 15, v6
	v_lshlrev_b32_e32 v3, v10, v3
	v_sub_u32_e32 v7, 29, v7
	v_and_b32_e32 v3, 7, v3
	v_cmp_eq_u16_e32 vcc, 0, v6
	v_cndmask_b32_e32 v2, v2, v3, vcc
	v_cndmask_b32_e32 v3, v6, v7, vcc
	v_lshlrev_b32_e32 v6, 16, v8
	v_mov_b32_e32 v7, 0x3b800000
	v_lshlrev_b32_e32 v2, 20, v2
	v_and_b32_e32 v6, 0x80000000, v6
	v_lshl_add_u32 v3, v3, 23, v7
	v_or3_b32 v2, v6, v3, v2
.LBB17_204:
	s_or_b64 exec, exec, s[6:7]
	v_lshrrev_b32_e32 v3, 8, v4
	s_movk_i32 s4, 0x7f
	v_cmp_gt_i16_sdwa s[6:7], v3, s4 src0_sel:BYTE_0 src1_sel:DWORD
	s_mov_b64 s[4:5], 0
                                        ; implicit-def: $sgpr10
	s_and_saveexec_b64 s[8:9], s[6:7]
	s_xor_b64 s[6:7], exec, s[8:9]
	s_cbranch_execnz .LBB17_2253
; %bb.205:
	s_or_saveexec_b64 s[6:7], s[6:7]
	v_mov_b32_e32 v6, s10
	s_xor_b64 exec, exec, s[6:7]
	s_cbranch_execnz .LBB17_2256
.LBB17_206:
	s_or_b64 exec, exec, s[6:7]
	s_and_saveexec_b64 s[6:7], s[4:5]
	s_cbranch_execz .LBB17_208
.LBB17_207:
	v_bfe_u32 v6, v4, 8, 3
	v_ffbh_u32_e32 v10, v6
	v_min_u32_e32 v10, 32, v10
	v_lshrrev_b16_e32 v7, 3, v3
	v_subrev_u32_e32 v11, 28, v10
	v_and_b32_e32 v7, 15, v7
	v_lshlrev_b32_e32 v3, v11, v3
	v_sub_u32_e32 v10, 29, v10
	v_and_b32_e32 v3, 7, v3
	v_cmp_eq_u16_e32 vcc, 0, v7
	v_cndmask_b32_e32 v3, v6, v3, vcc
	v_cndmask_b32_e32 v6, v7, v10, vcc
	v_lshlrev_b32_e32 v7, 16, v4
	v_mov_b32_e32 v10, 0x3b800000
	v_lshlrev_b32_e32 v3, 20, v3
	v_and_b32_e32 v7, 0x80000000, v7
	v_lshl_add_u32 v6, v6, 23, v10
	v_or3_b32 v6, v7, v6, v3
.LBB17_208:
	s_or_b64 exec, exec, s[6:7]
	s_nop 0
	v_mfma_f32_16x16x4f32 a[0:3], v2, v6, a[0:3]
	s_movk_i32 s4, 0xff
	v_and_b32_sdwa v3, v8, s4 dst_sel:DWORD dst_unused:UNUSED_PAD src0_sel:WORD_1 src1_sel:DWORD
	s_movk_i32 s4, 0x7f
	v_cmp_lt_i16_e32 vcc, s4, v3
	s_mov_b64 s[4:5], 0
                                        ; implicit-def: $sgpr10
	s_and_saveexec_b64 s[6:7], vcc
	s_xor_b64 s[6:7], exec, s[6:7]
	s_cbranch_execnz .LBB17_2257
; %bb.209:
	s_or_saveexec_b64 s[6:7], s[6:7]
	v_mov_b32_e32 v2, s10
	s_xor_b64 exec, exec, s[6:7]
	s_cbranch_execnz .LBB17_2260
.LBB17_210:
	s_or_b64 exec, exec, s[6:7]
	s_and_saveexec_b64 s[6:7], s[4:5]
	s_cbranch_execz .LBB17_212
.LBB17_211:
	v_bfe_u32 v2, v8, 16, 3
	v_ffbh_u32_e32 v7, v2
	v_min_u32_e32 v7, 32, v7
	v_lshrrev_b32_e32 v3, 19, v8
	v_subrev_u32_e32 v10, 28, v7
	v_and_b32_e32 v3, 15, v3
	v_lshlrev_b32_sdwa v10, v10, v8 dst_sel:DWORD dst_unused:UNUSED_PAD src0_sel:DWORD src1_sel:WORD_1
	v_bfe_u32 v6, v8, 19, 4
	v_sub_u32_e32 v7, 29, v7
	v_and_b32_e32 v10, 7, v10
	v_cmp_eq_u16_e32 vcc, 0, v3
	v_cndmask_b32_e32 v2, v2, v10, vcc
	v_cndmask_b32_e32 v3, v6, v7, vcc
	v_lshlrev_b32_e32 v6, 8, v8
	v_mov_b32_e32 v7, 0x3b800000
	v_lshlrev_b32_e32 v2, 20, v2
	v_and_b32_e32 v6, 0x80000000, v6
	v_lshl_add_u32 v3, v3, 23, v7
	v_or3_b32 v2, v6, v3, v2
.LBB17_212:
	s_or_b64 exec, exec, s[6:7]
	s_movk_i32 s4, 0xff
	v_and_b32_sdwa v3, v4, s4 dst_sel:DWORD dst_unused:UNUSED_PAD src0_sel:WORD_1 src1_sel:DWORD
	s_movk_i32 s4, 0x7f
	v_cmp_lt_i16_e32 vcc, s4, v3
	s_mov_b64 s[4:5], 0
                                        ; implicit-def: $sgpr10
	s_and_saveexec_b64 s[6:7], vcc
	s_xor_b64 s[6:7], exec, s[6:7]
	s_cbranch_execnz .LBB17_2261
; %bb.213:
	s_or_saveexec_b64 s[6:7], s[6:7]
	v_mov_b32_e32 v6, s10
	s_xor_b64 exec, exec, s[6:7]
	s_cbranch_execnz .LBB17_2264
.LBB17_214:
	s_or_b64 exec, exec, s[6:7]
	s_and_saveexec_b64 s[6:7], s[4:5]
	s_cbranch_execz .LBB17_216
.LBB17_215:
	v_bfe_u32 v3, v4, 16, 3
	v_ffbh_u32_e32 v10, v3
	v_min_u32_e32 v10, 32, v10
	v_lshrrev_b32_e32 v6, 19, v4
	v_subrev_u32_e32 v11, 28, v10
	v_and_b32_e32 v6, 15, v6
	v_lshlrev_b32_sdwa v11, v11, v4 dst_sel:DWORD dst_unused:UNUSED_PAD src0_sel:DWORD src1_sel:WORD_1
	v_bfe_u32 v7, v4, 19, 4
	v_sub_u32_e32 v10, 29, v10
	v_and_b32_e32 v11, 7, v11
	v_cmp_eq_u16_e32 vcc, 0, v6
	v_cndmask_b32_e32 v3, v3, v11, vcc
	v_cndmask_b32_e32 v6, v7, v10, vcc
	v_lshlrev_b32_e32 v7, 8, v4
	v_mov_b32_e32 v10, 0x3b800000
	v_lshlrev_b32_e32 v3, 20, v3
	v_and_b32_e32 v7, 0x80000000, v7
	v_lshl_add_u32 v6, v6, 23, v10
	v_or3_b32 v6, v7, v6, v3
.LBB17_216:
	s_or_b64 exec, exec, s[6:7]
	s_nop 0
	v_mfma_f32_16x16x4f32 a[0:3], v2, v6, a[0:3]
	s_movk_i32 s4, 0x7f
	v_cmp_gt_i16_sdwa s[6:7], v8, s4 src0_sel:BYTE_3 src1_sel:DWORD
	s_mov_b64 s[4:5], 0
                                        ; implicit-def: $sgpr10
	s_and_saveexec_b64 s[8:9], s[6:7]
	s_xor_b64 s[6:7], exec, s[8:9]
	s_cbranch_execnz .LBB17_2265
; %bb.217:
	s_or_saveexec_b64 s[6:7], s[6:7]
	v_mov_b32_e32 v2, s10
	s_xor_b64 exec, exec, s[6:7]
	s_cbranch_execnz .LBB17_2268
.LBB17_218:
	s_or_b64 exec, exec, s[6:7]
	s_and_saveexec_b64 s[6:7], s[4:5]
	s_cbranch_execz .LBB17_220
.LBB17_219:
	v_bfe_u32 v2, v8, 24, 3
	v_ffbh_u32_e32 v10, v2
	v_min_u32_e32 v10, 32, v10
	v_lshrrev_b32_e32 v6, 27, v8
	v_subrev_u32_e32 v11, 28, v10
	v_and_b32_e32 v3, 0x80000000, v8
	v_and_b32_e32 v6, 15, v6
	v_bfe_u32 v7, v8, 27, 4
	v_lshlrev_b32_sdwa v8, v11, v8 dst_sel:DWORD dst_unused:UNUSED_PAD src0_sel:DWORD src1_sel:BYTE_3
	v_sub_u32_e32 v10, 29, v10
	v_and_b32_e32 v8, 7, v8
	v_cmp_eq_u16_e32 vcc, 0, v6
	v_cndmask_b32_e32 v2, v2, v8, vcc
	v_cndmask_b32_e32 v6, v7, v10, vcc
	v_mov_b32_e32 v7, 0x3b800000
	v_lshlrev_b32_e32 v2, 20, v2
	v_lshl_add_u32 v6, v6, 23, v7
	v_or3_b32 v2, v3, v6, v2
.LBB17_220:
	s_or_b64 exec, exec, s[6:7]
	s_movk_i32 s4, 0x7f
	v_cmp_gt_i16_sdwa s[6:7], v4, s4 src0_sel:BYTE_3 src1_sel:DWORD
	s_mov_b64 s[4:5], 0
                                        ; implicit-def: $sgpr10
	s_and_saveexec_b64 s[8:9], s[6:7]
	s_xor_b64 s[6:7], exec, s[8:9]
	s_cbranch_execnz .LBB17_2269
; %bb.221:
	s_or_saveexec_b64 s[6:7], s[6:7]
	v_mov_b32_e32 v3, s10
	s_xor_b64 exec, exec, s[6:7]
	s_cbranch_execnz .LBB17_2272
.LBB17_222:
	s_or_b64 exec, exec, s[6:7]
	s_and_saveexec_b64 s[6:7], s[4:5]
	s_cbranch_execz .LBB17_224
.LBB17_223:
	v_bfe_u32 v3, v4, 24, 3
	v_ffbh_u32_e32 v10, v3
	v_min_u32_e32 v10, 32, v10
	v_lshrrev_b32_e32 v7, 27, v4
	v_subrev_u32_e32 v11, 28, v10
	v_and_b32_e32 v6, 0x80000000, v4
	v_and_b32_e32 v7, 15, v7
	v_bfe_u32 v8, v4, 27, 4
	v_lshlrev_b32_sdwa v4, v11, v4 dst_sel:DWORD dst_unused:UNUSED_PAD src0_sel:DWORD src1_sel:BYTE_3
	v_sub_u32_e32 v10, 29, v10
	v_and_b32_e32 v4, 7, v4
	v_cmp_eq_u16_e32 vcc, 0, v7
	v_cndmask_b32_e32 v3, v3, v4, vcc
	v_cndmask_b32_e32 v4, v8, v10, vcc
	v_mov_b32_e32 v7, 0x3b800000
	v_lshlrev_b32_e32 v3, 20, v3
	v_lshl_add_u32 v4, v4, 23, v7
	v_or3_b32 v3, v6, v4, v3
.LBB17_224:
	s_or_b64 exec, exec, s[6:7]
	s_nop 0
	v_mfma_f32_16x16x4f32 a[0:3], v2, v3, a[0:3]
	s_movk_i32 s4, 0x7f
	v_cmp_gt_i16_sdwa s[6:7], v9, s4 src0_sel:BYTE_0 src1_sel:DWORD
	s_mov_b64 s[4:5], 0
                                        ; implicit-def: $sgpr10
	s_and_saveexec_b64 s[8:9], s[6:7]
	s_xor_b64 s[6:7], exec, s[8:9]
	s_cbranch_execnz .LBB17_2273
; %bb.225:
	s_or_saveexec_b64 s[6:7], s[6:7]
	v_mov_b32_e32 v2, s10
	s_xor_b64 exec, exec, s[6:7]
	s_cbranch_execnz .LBB17_2276
.LBB17_226:
	s_or_b64 exec, exec, s[6:7]
	s_and_saveexec_b64 s[6:7], s[4:5]
	s_cbranch_execz .LBB17_228
.LBB17_227:
	v_mov_b32_e32 v2, 8
	v_and_b32_e32 v3, 7, v9
	v_lshrrev_b32_sdwa v2, v2, v9 dst_sel:BYTE_1 dst_unused:UNUSED_PAD src0_sel:DWORD src1_sel:DWORD
	v_ffbh_u32_e32 v4, v3
	v_or_b32_sdwa v2, v9, v2 dst_sel:DWORD dst_unused:UNUSED_PAD src0_sel:BYTE_0 src1_sel:DWORD
	v_min_u32_e32 v4, 32, v4
	v_lshrrev_b16_e32 v2, 3, v2
	v_subrev_u32_e32 v6, 28, v4
	v_and_b32_e32 v2, 15, v2
	v_lshlrev_b32_e32 v6, v6, v9
	v_sub_u32_e32 v4, 29, v4
	v_and_b32_e32 v6, 7, v6
	v_cmp_eq_u16_e32 vcc, 0, v2
	v_cndmask_b32_e32 v3, v3, v6, vcc
	v_cndmask_b32_e32 v2, v2, v4, vcc
	v_lshlrev_b32_e32 v4, 24, v9
	v_mov_b32_e32 v6, 0x3b800000
	v_lshlrev_b32_e32 v3, 20, v3
	v_and_b32_e32 v4, 0x80000000, v4
	v_lshl_add_u32 v2, v2, 23, v6
	v_or3_b32 v2, v4, v2, v3
.LBB17_228:
	s_or_b64 exec, exec, s[6:7]
	s_movk_i32 s4, 0x7f
	v_cmp_gt_i16_sdwa s[6:7], v5, s4 src0_sel:BYTE_0 src1_sel:DWORD
	s_mov_b64 s[4:5], 0
                                        ; implicit-def: $sgpr10
	s_and_saveexec_b64 s[8:9], s[6:7]
	s_xor_b64 s[6:7], exec, s[8:9]
	s_cbranch_execnz .LBB17_2277
; %bb.229:
	s_or_saveexec_b64 s[6:7], s[6:7]
	v_mov_b32_e32 v3, s10
	s_xor_b64 exec, exec, s[6:7]
	s_cbranch_execnz .LBB17_2280
.LBB17_230:
	s_or_b64 exec, exec, s[6:7]
	s_and_saveexec_b64 s[6:7], s[4:5]
	s_cbranch_execz .LBB17_232
.LBB17_231:
	v_mov_b32_e32 v3, 8
	v_and_b32_e32 v4, 7, v5
	v_lshrrev_b32_sdwa v3, v3, v5 dst_sel:BYTE_1 dst_unused:UNUSED_PAD src0_sel:DWORD src1_sel:DWORD
	v_ffbh_u32_e32 v6, v4
	v_or_b32_sdwa v3, v5, v3 dst_sel:DWORD dst_unused:UNUSED_PAD src0_sel:BYTE_0 src1_sel:DWORD
	v_min_u32_e32 v6, 32, v6
	v_lshrrev_b16_e32 v3, 3, v3
	v_subrev_u32_e32 v7, 28, v6
	v_and_b32_e32 v3, 15, v3
	v_lshlrev_b32_e32 v7, v7, v5
	v_sub_u32_e32 v6, 29, v6
	v_and_b32_e32 v7, 7, v7
	v_cmp_eq_u16_e32 vcc, 0, v3
	v_cndmask_b32_e32 v4, v4, v7, vcc
	v_cndmask_b32_e32 v3, v3, v6, vcc
	v_lshlrev_b32_e32 v6, 24, v5
	v_mov_b32_e32 v7, 0x3b800000
	v_lshlrev_b32_e32 v4, 20, v4
	v_and_b32_e32 v6, 0x80000000, v6
	v_lshl_add_u32 v3, v3, 23, v7
	v_or3_b32 v3, v6, v3, v4
.LBB17_232:
	s_or_b64 exec, exec, s[6:7]
	s_nop 0
	v_mfma_f32_16x16x4f32 a[0:3], v2, v3, a[0:3]
	v_lshrrev_b32_e32 v3, 8, v9
	s_movk_i32 s4, 0x7f
	v_cmp_gt_i16_sdwa s[6:7], v3, s4 src0_sel:BYTE_0 src1_sel:DWORD
	s_mov_b64 s[4:5], 0
                                        ; implicit-def: $sgpr10
	s_and_saveexec_b64 s[8:9], s[6:7]
	s_xor_b64 s[6:7], exec, s[8:9]
	s_cbranch_execnz .LBB17_2281
; %bb.233:
	s_or_saveexec_b64 s[6:7], s[6:7]
	v_mov_b32_e32 v2, s10
	s_xor_b64 exec, exec, s[6:7]
	s_cbranch_execnz .LBB17_2284
.LBB17_234:
	s_or_b64 exec, exec, s[6:7]
	s_and_saveexec_b64 s[6:7], s[4:5]
	s_cbranch_execz .LBB17_236
.LBB17_235:
	v_bfe_u32 v2, v9, 8, 3
	v_ffbh_u32_e32 v6, v2
	v_min_u32_e32 v6, 32, v6
	v_lshrrev_b16_e32 v4, 3, v3
	v_subrev_u32_e32 v7, 28, v6
	v_and_b32_e32 v4, 15, v4
	v_lshlrev_b32_e32 v3, v7, v3
	v_sub_u32_e32 v6, 29, v6
	v_and_b32_e32 v3, 7, v3
	v_cmp_eq_u16_e32 vcc, 0, v4
	v_cndmask_b32_e32 v2, v2, v3, vcc
	v_cndmask_b32_e32 v3, v4, v6, vcc
	v_lshlrev_b32_e32 v4, 16, v9
	v_mov_b32_e32 v6, 0x3b800000
	v_lshlrev_b32_e32 v2, 20, v2
	v_and_b32_e32 v4, 0x80000000, v4
	v_lshl_add_u32 v3, v3, 23, v6
	v_or3_b32 v2, v4, v3, v2
.LBB17_236:
	s_or_b64 exec, exec, s[6:7]
	v_lshrrev_b32_e32 v3, 8, v5
	s_movk_i32 s4, 0x7f
	v_cmp_gt_i16_sdwa s[6:7], v3, s4 src0_sel:BYTE_0 src1_sel:DWORD
	s_mov_b64 s[4:5], 0
                                        ; implicit-def: $sgpr10
	s_and_saveexec_b64 s[8:9], s[6:7]
	s_xor_b64 s[6:7], exec, s[8:9]
	s_cbranch_execnz .LBB17_2285
; %bb.237:
	s_or_saveexec_b64 s[6:7], s[6:7]
	v_mov_b32_e32 v4, s10
	s_xor_b64 exec, exec, s[6:7]
	s_cbranch_execnz .LBB17_2288
.LBB17_238:
	s_or_b64 exec, exec, s[6:7]
	s_and_saveexec_b64 s[6:7], s[4:5]
	s_cbranch_execz .LBB17_240
.LBB17_239:
	v_bfe_u32 v4, v5, 8, 3
	v_ffbh_u32_e32 v7, v4
	v_min_u32_e32 v7, 32, v7
	v_lshrrev_b16_e32 v6, 3, v3
	v_subrev_u32_e32 v8, 28, v7
	v_and_b32_e32 v6, 15, v6
	v_lshlrev_b32_e32 v3, v8, v3
	v_sub_u32_e32 v7, 29, v7
	v_and_b32_e32 v3, 7, v3
	v_cmp_eq_u16_e32 vcc, 0, v6
	v_cndmask_b32_e32 v3, v4, v3, vcc
	v_cndmask_b32_e32 v4, v6, v7, vcc
	v_lshlrev_b32_e32 v6, 16, v5
	v_mov_b32_e32 v7, 0x3b800000
	v_lshlrev_b32_e32 v3, 20, v3
	v_and_b32_e32 v6, 0x80000000, v6
	v_lshl_add_u32 v4, v4, 23, v7
	v_or3_b32 v4, v6, v4, v3
.LBB17_240:
	s_or_b64 exec, exec, s[6:7]
	s_nop 0
	v_mfma_f32_16x16x4f32 a[0:3], v2, v4, a[0:3]
	s_movk_i32 s4, 0xff
	v_and_b32_sdwa v3, v9, s4 dst_sel:DWORD dst_unused:UNUSED_PAD src0_sel:WORD_1 src1_sel:DWORD
	s_movk_i32 s4, 0x7f
	v_cmp_lt_i16_e32 vcc, s4, v3
	s_mov_b64 s[4:5], 0
                                        ; implicit-def: $sgpr10
	s_and_saveexec_b64 s[6:7], vcc
	s_xor_b64 s[6:7], exec, s[6:7]
	s_cbranch_execnz .LBB17_2289
; %bb.241:
	s_or_saveexec_b64 s[6:7], s[6:7]
	v_mov_b32_e32 v2, s10
	s_xor_b64 exec, exec, s[6:7]
	s_cbranch_execnz .LBB17_2292
.LBB17_242:
	s_or_b64 exec, exec, s[6:7]
	s_and_saveexec_b64 s[6:7], s[4:5]
	s_cbranch_execz .LBB17_244
.LBB17_243:
	v_bfe_u32 v2, v9, 16, 3
	v_ffbh_u32_e32 v6, v2
	v_min_u32_e32 v6, 32, v6
	v_lshrrev_b32_e32 v3, 19, v9
	v_subrev_u32_e32 v7, 28, v6
	v_and_b32_e32 v3, 15, v3
	v_lshlrev_b32_sdwa v7, v7, v9 dst_sel:DWORD dst_unused:UNUSED_PAD src0_sel:DWORD src1_sel:WORD_1
	v_bfe_u32 v4, v9, 19, 4
	v_sub_u32_e32 v6, 29, v6
	v_and_b32_e32 v7, 7, v7
	v_cmp_eq_u16_e32 vcc, 0, v3
	v_cndmask_b32_e32 v2, v2, v7, vcc
	v_cndmask_b32_e32 v3, v4, v6, vcc
	v_lshlrev_b32_e32 v4, 8, v9
	v_mov_b32_e32 v6, 0x3b800000
	v_lshlrev_b32_e32 v2, 20, v2
	v_and_b32_e32 v4, 0x80000000, v4
	v_lshl_add_u32 v3, v3, 23, v6
	v_or3_b32 v2, v4, v3, v2
.LBB17_244:
	s_or_b64 exec, exec, s[6:7]
	s_movk_i32 s4, 0xff
	v_and_b32_sdwa v3, v5, s4 dst_sel:DWORD dst_unused:UNUSED_PAD src0_sel:WORD_1 src1_sel:DWORD
	s_movk_i32 s4, 0x7f
	v_cmp_lt_i16_e32 vcc, s4, v3
	s_mov_b64 s[4:5], 0
                                        ; implicit-def: $sgpr10
	s_and_saveexec_b64 s[6:7], vcc
	s_xor_b64 s[6:7], exec, s[6:7]
	s_cbranch_execnz .LBB17_2293
; %bb.245:
	s_or_saveexec_b64 s[6:7], s[6:7]
	v_mov_b32_e32 v4, s10
	s_xor_b64 exec, exec, s[6:7]
	s_cbranch_execnz .LBB17_2296
.LBB17_246:
	s_or_b64 exec, exec, s[6:7]
	s_and_saveexec_b64 s[6:7], s[4:5]
	s_cbranch_execz .LBB17_248
.LBB17_247:
	v_bfe_u32 v3, v5, 16, 3
	v_ffbh_u32_e32 v7, v3
	v_min_u32_e32 v7, 32, v7
	v_lshrrev_b32_e32 v4, 19, v5
	v_subrev_u32_e32 v8, 28, v7
	v_and_b32_e32 v4, 15, v4
	v_lshlrev_b32_sdwa v8, v8, v5 dst_sel:DWORD dst_unused:UNUSED_PAD src0_sel:DWORD src1_sel:WORD_1
	v_bfe_u32 v6, v5, 19, 4
	v_sub_u32_e32 v7, 29, v7
	v_and_b32_e32 v8, 7, v8
	v_cmp_eq_u16_e32 vcc, 0, v4
	v_cndmask_b32_e32 v3, v3, v8, vcc
	v_cndmask_b32_e32 v4, v6, v7, vcc
	v_lshlrev_b32_e32 v6, 8, v5
	v_mov_b32_e32 v7, 0x3b800000
	v_lshlrev_b32_e32 v3, 20, v3
	v_and_b32_e32 v6, 0x80000000, v6
	v_lshl_add_u32 v4, v4, 23, v7
	v_or3_b32 v4, v6, v4, v3
.LBB17_248:
	s_or_b64 exec, exec, s[6:7]
	s_nop 0
	v_mfma_f32_16x16x4f32 a[0:3], v2, v4, a[0:3]
	s_movk_i32 s4, 0x7f
	v_cmp_gt_i16_sdwa s[6:7], v9, s4 src0_sel:BYTE_3 src1_sel:DWORD
	s_mov_b64 s[4:5], 0
                                        ; implicit-def: $sgpr10
	s_and_saveexec_b64 s[8:9], s[6:7]
	s_xor_b64 s[6:7], exec, s[8:9]
	s_cbranch_execnz .LBB17_2297
; %bb.249:
	s_or_saveexec_b64 s[6:7], s[6:7]
	v_mov_b32_e32 v2, s10
	s_xor_b64 exec, exec, s[6:7]
	s_cbranch_execnz .LBB17_2300
.LBB17_250:
	s_or_b64 exec, exec, s[6:7]
	s_and_saveexec_b64 s[6:7], s[4:5]
	s_cbranch_execz .LBB17_252
.LBB17_251:
	v_bfe_u32 v2, v9, 24, 3
	v_ffbh_u32_e32 v7, v2
	v_min_u32_e32 v7, 32, v7
	v_lshrrev_b32_e32 v4, 27, v9
	v_subrev_u32_e32 v8, 28, v7
	v_and_b32_e32 v4, 15, v4
	v_lshlrev_b32_sdwa v8, v8, v9 dst_sel:DWORD dst_unused:UNUSED_PAD src0_sel:DWORD src1_sel:BYTE_3
	v_bfe_u32 v6, v9, 27, 4
	v_sub_u32_e32 v7, 29, v7
	v_and_b32_e32 v8, 7, v8
	v_cmp_eq_u16_e32 vcc, 0, v4
	v_cndmask_b32_e32 v2, v2, v8, vcc
	v_cndmask_b32_e32 v4, v6, v7, vcc
	v_mov_b32_e32 v6, 0x3b800000
	v_and_b32_e32 v3, 0x80000000, v9
	v_lshlrev_b32_e32 v2, 20, v2
	v_lshl_add_u32 v4, v4, 23, v6
	v_or3_b32 v2, v3, v4, v2
.LBB17_252:
	s_or_b64 exec, exec, s[6:7]
	s_movk_i32 s4, 0x7f
	v_cmp_gt_i16_sdwa s[6:7], v5, s4 src0_sel:BYTE_3 src1_sel:DWORD
	s_mov_b64 s[4:5], 0
                                        ; implicit-def: $sgpr10
	s_and_saveexec_b64 s[8:9], s[6:7]
	s_xor_b64 s[6:7], exec, s[8:9]
	s_cbranch_execnz .LBB17_2301
; %bb.253:
	s_or_saveexec_b64 s[6:7], s[6:7]
	v_mov_b32_e32 v3, s10
	s_xor_b64 exec, exec, s[6:7]
	s_cbranch_execnz .LBB17_2304
.LBB17_254:
	s_or_b64 exec, exec, s[6:7]
	s_and_saveexec_b64 s[6:7], s[4:5]
	s_cbranch_execz .LBB17_256
.LBB17_255:
	v_bfe_u32 v3, v5, 24, 3
	v_ffbh_u32_e32 v8, v3
	v_min_u32_e32 v8, 32, v8
	v_lshrrev_b32_e32 v6, 27, v5
	v_subrev_u32_e32 v9, 28, v8
	v_and_b32_e32 v4, 0x80000000, v5
	v_and_b32_e32 v6, 15, v6
	v_bfe_u32 v7, v5, 27, 4
	v_lshlrev_b32_sdwa v5, v9, v5 dst_sel:DWORD dst_unused:UNUSED_PAD src0_sel:DWORD src1_sel:BYTE_3
	v_sub_u32_e32 v8, 29, v8
	v_and_b32_e32 v5, 7, v5
	v_cmp_eq_u16_e32 vcc, 0, v6
	v_cndmask_b32_e32 v3, v3, v5, vcc
	v_cndmask_b32_e32 v5, v7, v8, vcc
	v_mov_b32_e32 v6, 0x3b800000
	v_lshlrev_b32_e32 v3, 20, v3
	v_lshl_add_u32 v5, v5, 23, v6
	v_or3_b32 v3, v4, v5, v3
.LBB17_256:
	s_or_b64 exec, exec, s[6:7]
	s_nop 0
	v_mfma_f32_16x16x4f32 a[0:3], v2, v3, a[0:3]
	s_movk_i32 s4, 0x7f
                                        ; implicit-def: $sgpr10
	s_nop 7
	s_nop 1
	flat_store_dwordx4 v[18:19], a[0:3] offset:896
	flat_load_dwordx4 v[20:23], v[0:1] offset:16
	s_nop 0
	flat_load_dwordx2 v[18:19], v[0:1] offset:32
	s_waitcnt vmcnt(0) lgkmcnt(0)
	flat_load_dwordx4 v[14:17], v[20:21] offset:32
	flat_load_dwordx4 v[6:9], v[20:21] offset:48
	;; [unrolled: 1-line block ×4, first 2 shown]
	s_waitcnt vmcnt(0) lgkmcnt(0)
	v_cmp_gt_i16_sdwa s[6:7], v14, s4 src0_sel:BYTE_0 src1_sel:DWORD
	s_mov_b64 s[4:5], 0
	s_and_saveexec_b64 s[8:9], s[6:7]
	s_xor_b64 s[6:7], exec, s[8:9]
	s_cbranch_execnz .LBB17_2305
; %bb.257:
	s_or_saveexec_b64 s[6:7], s[6:7]
	v_mov_b32_e32 v20, s10
	s_xor_b64 exec, exec, s[6:7]
	s_cbranch_execnz .LBB17_2308
.LBB17_258:
	s_or_b64 exec, exec, s[6:7]
	s_and_saveexec_b64 s[6:7], s[4:5]
	s_cbranch_execz .LBB17_260
.LBB17_259:
	v_and_b32_e32 v20, 7, v14
	v_ffbh_u32_e32 v22, v20
	v_min_u32_e32 v22, 32, v22
	v_lshrrev_b16_e32 v21, 3, v14
	v_subrev_u32_e32 v23, 28, v22
	v_and_b32_e32 v21, 15, v21
	v_lshlrev_b32_e32 v23, v23, v14
	v_sub_u32_e32 v22, 29, v22
	v_and_b32_e32 v23, 7, v23
	v_cmp_eq_u16_e32 vcc, 0, v21
	v_cndmask_b32_e32 v20, v20, v23, vcc
	v_cndmask_b32_e32 v21, v21, v22, vcc
	v_lshlrev_b32_e32 v22, 24, v14
	v_mov_b32_e32 v23, 0x3b800000
	v_lshlrev_b32_e32 v20, 20, v20
	v_and_b32_e32 v22, 0x80000000, v22
	v_lshl_add_u32 v21, v21, 23, v23
	v_or3_b32 v20, v22, v21, v20
.LBB17_260:
	s_or_b64 exec, exec, s[6:7]
	s_movk_i32 s4, 0x7f
	v_cmp_gt_i16_sdwa s[6:7], v10, s4 src0_sel:BYTE_0 src1_sel:DWORD
	s_mov_b64 s[4:5], 0
                                        ; implicit-def: $sgpr10
	s_and_saveexec_b64 s[8:9], s[6:7]
	s_xor_b64 s[6:7], exec, s[8:9]
	s_cbranch_execnz .LBB17_2309
; %bb.261:
	s_or_saveexec_b64 s[6:7], s[6:7]
	v_mov_b32_e32 v21, s10
	s_xor_b64 exec, exec, s[6:7]
	s_cbranch_execnz .LBB17_2312
.LBB17_262:
	s_or_b64 exec, exec, s[6:7]
	s_and_saveexec_b64 s[6:7], s[4:5]
	s_cbranch_execz .LBB17_264
.LBB17_263:
	v_and_b32_e32 v21, 7, v10
	v_ffbh_u32_e32 v23, v21
	v_min_u32_e32 v23, 32, v23
	v_lshrrev_b16_e32 v22, 3, v10
	v_subrev_u32_e32 v24, 28, v23
	v_and_b32_e32 v22, 15, v22
	v_lshlrev_b32_e32 v24, v24, v10
	v_sub_u32_e32 v23, 29, v23
	v_and_b32_e32 v24, 7, v24
	v_cmp_eq_u16_e32 vcc, 0, v22
	v_cndmask_b32_e32 v21, v21, v24, vcc
	v_cndmask_b32_e32 v22, v22, v23, vcc
	v_lshlrev_b32_e32 v23, 24, v10
	v_mov_b32_e32 v24, 0x3b800000
	v_lshlrev_b32_e32 v21, 20, v21
	v_and_b32_e32 v23, 0x80000000, v23
	v_lshl_add_u32 v22, v22, 23, v24
	v_or3_b32 v21, v23, v22, v21
.LBB17_264:
	s_or_b64 exec, exec, s[6:7]
	flat_load_dwordx4 a[0:3], v[18:19] offset:912
	s_movk_i32 s4, 0x7f
                                        ; implicit-def: $sgpr10
	s_waitcnt vmcnt(0) lgkmcnt(0)
	v_mfma_f32_16x16x4f32 a[0:3], v20, v21, a[0:3]
	v_lshrrev_b32_e32 v21, 8, v14
	v_cmp_gt_i16_sdwa s[6:7], v21, s4 src0_sel:BYTE_0 src1_sel:DWORD
	s_mov_b64 s[4:5], 0
	s_and_saveexec_b64 s[8:9], s[6:7]
	s_xor_b64 s[6:7], exec, s[8:9]
	s_cbranch_execnz .LBB17_2313
; %bb.265:
	s_or_saveexec_b64 s[6:7], s[6:7]
	v_mov_b32_e32 v20, s10
	s_xor_b64 exec, exec, s[6:7]
	s_cbranch_execnz .LBB17_2316
.LBB17_266:
	s_or_b64 exec, exec, s[6:7]
	s_and_saveexec_b64 s[6:7], s[4:5]
	s_cbranch_execz .LBB17_268
.LBB17_267:
	v_bfe_u32 v20, v14, 8, 3
	v_ffbh_u32_e32 v23, v20
	v_min_u32_e32 v23, 32, v23
	v_lshrrev_b16_e32 v22, 3, v21
	v_subrev_u32_e32 v24, 28, v23
	v_and_b32_e32 v22, 15, v22
	v_lshlrev_b32_e32 v21, v24, v21
	v_sub_u32_e32 v23, 29, v23
	v_and_b32_e32 v21, 7, v21
	v_cmp_eq_u16_e32 vcc, 0, v22
	v_cndmask_b32_e32 v20, v20, v21, vcc
	v_cndmask_b32_e32 v21, v22, v23, vcc
	v_lshlrev_b32_e32 v22, 16, v14
	v_mov_b32_e32 v23, 0x3b800000
	v_lshlrev_b32_e32 v20, 20, v20
	v_and_b32_e32 v22, 0x80000000, v22
	v_lshl_add_u32 v21, v21, 23, v23
	v_or3_b32 v20, v22, v21, v20
.LBB17_268:
	s_or_b64 exec, exec, s[6:7]
	v_lshrrev_b32_e32 v21, 8, v10
	s_movk_i32 s4, 0x7f
	v_cmp_gt_i16_sdwa s[6:7], v21, s4 src0_sel:BYTE_0 src1_sel:DWORD
	s_mov_b64 s[4:5], 0
                                        ; implicit-def: $sgpr10
	s_and_saveexec_b64 s[8:9], s[6:7]
	s_xor_b64 s[6:7], exec, s[8:9]
	s_cbranch_execnz .LBB17_2317
; %bb.269:
	s_or_saveexec_b64 s[6:7], s[6:7]
	v_mov_b32_e32 v22, s10
	s_xor_b64 exec, exec, s[6:7]
	s_cbranch_execnz .LBB17_2320
.LBB17_270:
	s_or_b64 exec, exec, s[6:7]
	s_and_saveexec_b64 s[6:7], s[4:5]
	s_cbranch_execz .LBB17_272
.LBB17_271:
	v_bfe_u32 v22, v10, 8, 3
	v_ffbh_u32_e32 v24, v22
	v_min_u32_e32 v24, 32, v24
	v_lshrrev_b16_e32 v23, 3, v21
	v_subrev_u32_e32 v25, 28, v24
	v_and_b32_e32 v23, 15, v23
	v_lshlrev_b32_e32 v21, v25, v21
	v_sub_u32_e32 v24, 29, v24
	v_and_b32_e32 v21, 7, v21
	v_cmp_eq_u16_e32 vcc, 0, v23
	v_cndmask_b32_e32 v21, v22, v21, vcc
	v_cndmask_b32_e32 v22, v23, v24, vcc
	v_lshlrev_b32_e32 v23, 16, v10
	v_mov_b32_e32 v24, 0x3b800000
	v_lshlrev_b32_e32 v21, 20, v21
	v_and_b32_e32 v23, 0x80000000, v23
	v_lshl_add_u32 v22, v22, 23, v24
	v_or3_b32 v22, v23, v22, v21
.LBB17_272:
	s_or_b64 exec, exec, s[6:7]
	s_nop 0
	v_mfma_f32_16x16x4f32 a[0:3], v20, v22, a[0:3]
	s_movk_i32 s4, 0xff
	v_and_b32_sdwa v21, v14, s4 dst_sel:DWORD dst_unused:UNUSED_PAD src0_sel:WORD_1 src1_sel:DWORD
	s_movk_i32 s4, 0x7f
	v_cmp_lt_i16_e32 vcc, s4, v21
	s_mov_b64 s[4:5], 0
                                        ; implicit-def: $sgpr10
	s_and_saveexec_b64 s[6:7], vcc
	s_xor_b64 s[6:7], exec, s[6:7]
	s_cbranch_execnz .LBB17_2321
; %bb.273:
	s_or_saveexec_b64 s[6:7], s[6:7]
	v_mov_b32_e32 v20, s10
	s_xor_b64 exec, exec, s[6:7]
	s_cbranch_execnz .LBB17_2324
.LBB17_274:
	s_or_b64 exec, exec, s[6:7]
	s_and_saveexec_b64 s[6:7], s[4:5]
	s_cbranch_execz .LBB17_276
.LBB17_275:
	v_bfe_u32 v20, v14, 16, 3
	v_ffbh_u32_e32 v23, v20
	v_min_u32_e32 v23, 32, v23
	v_lshrrev_b32_e32 v21, 19, v14
	v_subrev_u32_e32 v24, 28, v23
	v_and_b32_e32 v21, 15, v21
	v_lshlrev_b32_sdwa v24, v24, v14 dst_sel:DWORD dst_unused:UNUSED_PAD src0_sel:DWORD src1_sel:WORD_1
	v_bfe_u32 v22, v14, 19, 4
	v_sub_u32_e32 v23, 29, v23
	v_and_b32_e32 v24, 7, v24
	v_cmp_eq_u16_e32 vcc, 0, v21
	v_cndmask_b32_e32 v20, v20, v24, vcc
	v_cndmask_b32_e32 v21, v22, v23, vcc
	v_lshlrev_b32_e32 v22, 8, v14
	v_mov_b32_e32 v23, 0x3b800000
	v_lshlrev_b32_e32 v20, 20, v20
	v_and_b32_e32 v22, 0x80000000, v22
	v_lshl_add_u32 v21, v21, 23, v23
	v_or3_b32 v20, v22, v21, v20
.LBB17_276:
	s_or_b64 exec, exec, s[6:7]
	s_movk_i32 s4, 0xff
	v_and_b32_sdwa v21, v10, s4 dst_sel:DWORD dst_unused:UNUSED_PAD src0_sel:WORD_1 src1_sel:DWORD
	s_movk_i32 s4, 0x7f
	v_cmp_lt_i16_e32 vcc, s4, v21
	s_mov_b64 s[4:5], 0
                                        ; implicit-def: $sgpr10
	s_and_saveexec_b64 s[6:7], vcc
	s_xor_b64 s[6:7], exec, s[6:7]
	s_cbranch_execnz .LBB17_2325
; %bb.277:
	s_or_saveexec_b64 s[6:7], s[6:7]
	v_mov_b32_e32 v22, s10
	s_xor_b64 exec, exec, s[6:7]
	s_cbranch_execnz .LBB17_2328
.LBB17_278:
	s_or_b64 exec, exec, s[6:7]
	s_and_saveexec_b64 s[6:7], s[4:5]
	s_cbranch_execz .LBB17_280
.LBB17_279:
	v_bfe_u32 v21, v10, 16, 3
	v_ffbh_u32_e32 v24, v21
	v_min_u32_e32 v24, 32, v24
	v_lshrrev_b32_e32 v22, 19, v10
	v_subrev_u32_e32 v25, 28, v24
	v_and_b32_e32 v22, 15, v22
	v_lshlrev_b32_sdwa v25, v25, v10 dst_sel:DWORD dst_unused:UNUSED_PAD src0_sel:DWORD src1_sel:WORD_1
	v_bfe_u32 v23, v10, 19, 4
	v_sub_u32_e32 v24, 29, v24
	v_and_b32_e32 v25, 7, v25
	v_cmp_eq_u16_e32 vcc, 0, v22
	v_cndmask_b32_e32 v21, v21, v25, vcc
	v_cndmask_b32_e32 v22, v23, v24, vcc
	v_lshlrev_b32_e32 v23, 8, v10
	v_mov_b32_e32 v24, 0x3b800000
	v_lshlrev_b32_e32 v21, 20, v21
	v_and_b32_e32 v23, 0x80000000, v23
	v_lshl_add_u32 v22, v22, 23, v24
	v_or3_b32 v22, v23, v22, v21
.LBB17_280:
	s_or_b64 exec, exec, s[6:7]
	s_nop 0
	v_mfma_f32_16x16x4f32 a[0:3], v20, v22, a[0:3]
	s_movk_i32 s4, 0x7f
	v_cmp_gt_i16_sdwa s[6:7], v14, s4 src0_sel:BYTE_3 src1_sel:DWORD
	s_mov_b64 s[4:5], 0
                                        ; implicit-def: $sgpr10
	s_and_saveexec_b64 s[8:9], s[6:7]
	s_xor_b64 s[6:7], exec, s[8:9]
	s_cbranch_execnz .LBB17_2329
; %bb.281:
	s_or_saveexec_b64 s[6:7], s[6:7]
	v_mov_b32_e32 v20, s10
	s_xor_b64 exec, exec, s[6:7]
	s_cbranch_execnz .LBB17_2332
.LBB17_282:
	s_or_b64 exec, exec, s[6:7]
	s_and_saveexec_b64 s[6:7], s[4:5]
	s_cbranch_execz .LBB17_284
.LBB17_283:
	v_bfe_u32 v20, v14, 24, 3
	v_ffbh_u32_e32 v24, v20
	v_min_u32_e32 v24, 32, v24
	v_lshrrev_b32_e32 v22, 27, v14
	v_subrev_u32_e32 v25, 28, v24
	v_and_b32_e32 v21, 0x80000000, v14
	v_and_b32_e32 v22, 15, v22
	v_bfe_u32 v23, v14, 27, 4
	v_lshlrev_b32_sdwa v14, v25, v14 dst_sel:DWORD dst_unused:UNUSED_PAD src0_sel:DWORD src1_sel:BYTE_3
	v_sub_u32_e32 v24, 29, v24
	v_and_b32_e32 v14, 7, v14
	v_cmp_eq_u16_e32 vcc, 0, v22
	v_cndmask_b32_e32 v14, v20, v14, vcc
	v_cndmask_b32_e32 v20, v23, v24, vcc
	v_mov_b32_e32 v22, 0x3b800000
	v_lshlrev_b32_e32 v14, 20, v14
	v_lshl_add_u32 v20, v20, 23, v22
	v_or3_b32 v20, v21, v20, v14
.LBB17_284:
	s_or_b64 exec, exec, s[6:7]
	s_movk_i32 s4, 0x7f
	v_cmp_gt_i16_sdwa s[6:7], v10, s4 src0_sel:BYTE_3 src1_sel:DWORD
	s_mov_b64 s[4:5], 0
                                        ; implicit-def: $sgpr10
	s_and_saveexec_b64 s[8:9], s[6:7]
	s_xor_b64 s[6:7], exec, s[8:9]
	s_cbranch_execnz .LBB17_2333
; %bb.285:
	s_or_saveexec_b64 s[6:7], s[6:7]
	v_mov_b32_e32 v14, s10
	s_xor_b64 exec, exec, s[6:7]
	s_cbranch_execnz .LBB17_2336
.LBB17_286:
	s_or_b64 exec, exec, s[6:7]
	s_and_saveexec_b64 s[6:7], s[4:5]
	s_cbranch_execz .LBB17_288
.LBB17_287:
	v_bfe_u32 v14, v10, 24, 3
	v_ffbh_u32_e32 v24, v14
	v_min_u32_e32 v24, 32, v24
	v_lshrrev_b32_e32 v22, 27, v10
	v_subrev_u32_e32 v25, 28, v24
	v_and_b32_e32 v21, 0x80000000, v10
	v_and_b32_e32 v22, 15, v22
	v_bfe_u32 v23, v10, 27, 4
	v_lshlrev_b32_sdwa v10, v25, v10 dst_sel:DWORD dst_unused:UNUSED_PAD src0_sel:DWORD src1_sel:BYTE_3
	v_sub_u32_e32 v24, 29, v24
	v_and_b32_e32 v10, 7, v10
	v_cmp_eq_u16_e32 vcc, 0, v22
	v_cndmask_b32_e32 v10, v14, v10, vcc
	v_cndmask_b32_e32 v14, v23, v24, vcc
	v_mov_b32_e32 v22, 0x3b800000
	v_lshlrev_b32_e32 v10, 20, v10
	v_lshl_add_u32 v14, v14, 23, v22
	v_or3_b32 v14, v21, v14, v10
.LBB17_288:
	s_or_b64 exec, exec, s[6:7]
	s_nop 0
	v_mfma_f32_16x16x4f32 a[0:3], v20, v14, a[0:3]
	s_movk_i32 s4, 0x7f
	v_cmp_gt_i16_sdwa s[6:7], v15, s4 src0_sel:BYTE_0 src1_sel:DWORD
	s_mov_b64 s[4:5], 0
                                        ; implicit-def: $sgpr10
	s_and_saveexec_b64 s[8:9], s[6:7]
	s_xor_b64 s[6:7], exec, s[8:9]
	s_cbranch_execnz .LBB17_2337
; %bb.289:
	s_or_saveexec_b64 s[6:7], s[6:7]
	v_mov_b32_e32 v10, s10
	s_xor_b64 exec, exec, s[6:7]
	s_cbranch_execnz .LBB17_2340
.LBB17_290:
	s_or_b64 exec, exec, s[6:7]
	s_and_saveexec_b64 s[6:7], s[4:5]
	s_cbranch_execz .LBB17_292
.LBB17_291:
	v_and_b32_e32 v10, 7, v15
	v_ffbh_u32_e32 v20, v10
	v_min_u32_e32 v20, 32, v20
	v_lshrrev_b16_e32 v14, 3, v15
	v_subrev_u32_e32 v21, 28, v20
	v_and_b32_e32 v14, 15, v14
	v_lshlrev_b32_e32 v21, v21, v15
	v_sub_u32_e32 v20, 29, v20
	v_and_b32_e32 v21, 7, v21
	v_cmp_eq_u16_e32 vcc, 0, v14
	v_cndmask_b32_e32 v10, v10, v21, vcc
	v_cndmask_b32_e32 v14, v14, v20, vcc
	v_lshlrev_b32_e32 v20, 24, v15
	v_mov_b32_e32 v21, 0x3b800000
	v_lshlrev_b32_e32 v10, 20, v10
	v_and_b32_e32 v20, 0x80000000, v20
	v_lshl_add_u32 v14, v14, 23, v21
	v_or3_b32 v10, v20, v14, v10
.LBB17_292:
	s_or_b64 exec, exec, s[6:7]
	s_movk_i32 s4, 0x7f
	v_cmp_gt_i16_sdwa s[6:7], v11, s4 src0_sel:BYTE_0 src1_sel:DWORD
	s_mov_b64 s[4:5], 0
                                        ; implicit-def: $sgpr10
	s_and_saveexec_b64 s[8:9], s[6:7]
	s_xor_b64 s[6:7], exec, s[8:9]
	s_cbranch_execnz .LBB17_2341
; %bb.293:
	s_or_saveexec_b64 s[6:7], s[6:7]
	v_mov_b32_e32 v14, s10
	s_xor_b64 exec, exec, s[6:7]
	s_cbranch_execnz .LBB17_2344
.LBB17_294:
	s_or_b64 exec, exec, s[6:7]
	s_and_saveexec_b64 s[6:7], s[4:5]
	s_cbranch_execz .LBB17_296
.LBB17_295:
	v_and_b32_e32 v14, 7, v11
	v_ffbh_u32_e32 v21, v14
	v_min_u32_e32 v21, 32, v21
	v_lshrrev_b16_e32 v20, 3, v11
	v_subrev_u32_e32 v22, 28, v21
	v_and_b32_e32 v20, 15, v20
	v_lshlrev_b32_e32 v22, v22, v11
	v_sub_u32_e32 v21, 29, v21
	v_and_b32_e32 v22, 7, v22
	v_cmp_eq_u16_e32 vcc, 0, v20
	v_cndmask_b32_e32 v14, v14, v22, vcc
	v_cndmask_b32_e32 v20, v20, v21, vcc
	v_lshlrev_b32_e32 v21, 24, v11
	v_mov_b32_e32 v22, 0x3b800000
	v_lshlrev_b32_e32 v14, 20, v14
	v_and_b32_e32 v21, 0x80000000, v21
	v_lshl_add_u32 v20, v20, 23, v22
	v_or3_b32 v14, v21, v20, v14
.LBB17_296:
	s_or_b64 exec, exec, s[6:7]
	s_nop 0
	v_mfma_f32_16x16x4f32 a[0:3], v10, v14, a[0:3]
	v_lshrrev_b32_e32 v14, 8, v15
	s_movk_i32 s4, 0x7f
	v_cmp_gt_i16_sdwa s[6:7], v14, s4 src0_sel:BYTE_0 src1_sel:DWORD
	s_mov_b64 s[4:5], 0
                                        ; implicit-def: $sgpr10
	s_and_saveexec_b64 s[8:9], s[6:7]
	s_xor_b64 s[6:7], exec, s[8:9]
	s_cbranch_execnz .LBB17_2345
; %bb.297:
	s_or_saveexec_b64 s[6:7], s[6:7]
	v_mov_b32_e32 v10, s10
	s_xor_b64 exec, exec, s[6:7]
	s_cbranch_execnz .LBB17_2348
.LBB17_298:
	s_or_b64 exec, exec, s[6:7]
	s_and_saveexec_b64 s[6:7], s[4:5]
	s_cbranch_execz .LBB17_300
.LBB17_299:
	v_bfe_u32 v10, v15, 8, 3
	v_ffbh_u32_e32 v21, v10
	v_min_u32_e32 v21, 32, v21
	v_lshrrev_b16_e32 v20, 3, v14
	v_subrev_u32_e32 v22, 28, v21
	v_and_b32_e32 v20, 15, v20
	v_lshlrev_b32_e32 v14, v22, v14
	v_sub_u32_e32 v21, 29, v21
	v_and_b32_e32 v14, 7, v14
	v_cmp_eq_u16_e32 vcc, 0, v20
	v_cndmask_b32_e32 v10, v10, v14, vcc
	v_cndmask_b32_e32 v14, v20, v21, vcc
	v_lshlrev_b32_e32 v20, 16, v15
	v_mov_b32_e32 v21, 0x3b800000
	v_lshlrev_b32_e32 v10, 20, v10
	v_and_b32_e32 v20, 0x80000000, v20
	v_lshl_add_u32 v14, v14, 23, v21
	v_or3_b32 v10, v20, v14, v10
.LBB17_300:
	s_or_b64 exec, exec, s[6:7]
	v_lshrrev_b32_e32 v14, 8, v11
	s_movk_i32 s4, 0x7f
	v_cmp_gt_i16_sdwa s[6:7], v14, s4 src0_sel:BYTE_0 src1_sel:DWORD
	s_mov_b64 s[4:5], 0
                                        ; implicit-def: $sgpr10
	s_and_saveexec_b64 s[8:9], s[6:7]
	s_xor_b64 s[6:7], exec, s[8:9]
	s_cbranch_execnz .LBB17_2349
; %bb.301:
	s_or_saveexec_b64 s[6:7], s[6:7]
	v_mov_b32_e32 v20, s10
	s_xor_b64 exec, exec, s[6:7]
	s_cbranch_execnz .LBB17_2352
.LBB17_302:
	s_or_b64 exec, exec, s[6:7]
	s_and_saveexec_b64 s[6:7], s[4:5]
	s_cbranch_execz .LBB17_304
.LBB17_303:
	v_bfe_u32 v20, v11, 8, 3
	v_ffbh_u32_e32 v22, v20
	v_min_u32_e32 v22, 32, v22
	v_lshrrev_b16_e32 v21, 3, v14
	v_subrev_u32_e32 v23, 28, v22
	v_and_b32_e32 v21, 15, v21
	v_lshlrev_b32_e32 v14, v23, v14
	v_sub_u32_e32 v22, 29, v22
	v_and_b32_e32 v14, 7, v14
	v_cmp_eq_u16_e32 vcc, 0, v21
	v_cndmask_b32_e32 v14, v20, v14, vcc
	v_cndmask_b32_e32 v20, v21, v22, vcc
	v_lshlrev_b32_e32 v21, 16, v11
	v_mov_b32_e32 v22, 0x3b800000
	v_lshlrev_b32_e32 v14, 20, v14
	v_and_b32_e32 v21, 0x80000000, v21
	v_lshl_add_u32 v20, v20, 23, v22
	v_or3_b32 v20, v21, v20, v14
.LBB17_304:
	s_or_b64 exec, exec, s[6:7]
	s_nop 0
	v_mfma_f32_16x16x4f32 a[0:3], v10, v20, a[0:3]
	s_movk_i32 s4, 0xff
	v_and_b32_sdwa v14, v15, s4 dst_sel:DWORD dst_unused:UNUSED_PAD src0_sel:WORD_1 src1_sel:DWORD
	s_movk_i32 s4, 0x7f
	v_cmp_lt_i16_e32 vcc, s4, v14
	s_mov_b64 s[4:5], 0
                                        ; implicit-def: $sgpr10
	s_and_saveexec_b64 s[6:7], vcc
	s_xor_b64 s[6:7], exec, s[6:7]
	s_cbranch_execnz .LBB17_2353
; %bb.305:
	s_or_saveexec_b64 s[6:7], s[6:7]
	v_mov_b32_e32 v10, s10
	s_xor_b64 exec, exec, s[6:7]
	s_cbranch_execnz .LBB17_2356
.LBB17_306:
	s_or_b64 exec, exec, s[6:7]
	s_and_saveexec_b64 s[6:7], s[4:5]
	s_cbranch_execz .LBB17_308
.LBB17_307:
	v_bfe_u32 v10, v15, 16, 3
	v_ffbh_u32_e32 v21, v10
	v_min_u32_e32 v21, 32, v21
	v_lshrrev_b32_e32 v14, 19, v15
	v_subrev_u32_e32 v22, 28, v21
	v_and_b32_e32 v14, 15, v14
	v_lshlrev_b32_sdwa v22, v22, v15 dst_sel:DWORD dst_unused:UNUSED_PAD src0_sel:DWORD src1_sel:WORD_1
	v_bfe_u32 v20, v15, 19, 4
	v_sub_u32_e32 v21, 29, v21
	v_and_b32_e32 v22, 7, v22
	v_cmp_eq_u16_e32 vcc, 0, v14
	v_cndmask_b32_e32 v10, v10, v22, vcc
	v_cndmask_b32_e32 v14, v20, v21, vcc
	v_lshlrev_b32_e32 v20, 8, v15
	v_mov_b32_e32 v21, 0x3b800000
	v_lshlrev_b32_e32 v10, 20, v10
	v_and_b32_e32 v20, 0x80000000, v20
	v_lshl_add_u32 v14, v14, 23, v21
	v_or3_b32 v10, v20, v14, v10
.LBB17_308:
	s_or_b64 exec, exec, s[6:7]
	s_movk_i32 s4, 0xff
	v_and_b32_sdwa v14, v11, s4 dst_sel:DWORD dst_unused:UNUSED_PAD src0_sel:WORD_1 src1_sel:DWORD
	s_movk_i32 s4, 0x7f
	v_cmp_lt_i16_e32 vcc, s4, v14
	s_mov_b64 s[4:5], 0
                                        ; implicit-def: $sgpr10
	s_and_saveexec_b64 s[6:7], vcc
	s_xor_b64 s[6:7], exec, s[6:7]
	s_cbranch_execnz .LBB17_2357
; %bb.309:
	s_or_saveexec_b64 s[6:7], s[6:7]
	v_mov_b32_e32 v20, s10
	s_xor_b64 exec, exec, s[6:7]
	s_cbranch_execnz .LBB17_2360
.LBB17_310:
	s_or_b64 exec, exec, s[6:7]
	s_and_saveexec_b64 s[6:7], s[4:5]
	s_cbranch_execz .LBB17_312
.LBB17_311:
	v_bfe_u32 v14, v11, 16, 3
	v_ffbh_u32_e32 v22, v14
	v_min_u32_e32 v22, 32, v22
	v_lshrrev_b32_e32 v20, 19, v11
	v_subrev_u32_e32 v23, 28, v22
	v_and_b32_e32 v20, 15, v20
	v_lshlrev_b32_sdwa v23, v23, v11 dst_sel:DWORD dst_unused:UNUSED_PAD src0_sel:DWORD src1_sel:WORD_1
	v_bfe_u32 v21, v11, 19, 4
	v_sub_u32_e32 v22, 29, v22
	v_and_b32_e32 v23, 7, v23
	v_cmp_eq_u16_e32 vcc, 0, v20
	v_cndmask_b32_e32 v14, v14, v23, vcc
	v_cndmask_b32_e32 v20, v21, v22, vcc
	v_lshlrev_b32_e32 v21, 8, v11
	v_mov_b32_e32 v22, 0x3b800000
	v_lshlrev_b32_e32 v14, 20, v14
	v_and_b32_e32 v21, 0x80000000, v21
	v_lshl_add_u32 v20, v20, 23, v22
	v_or3_b32 v20, v21, v20, v14
.LBB17_312:
	s_or_b64 exec, exec, s[6:7]
	s_nop 0
	v_mfma_f32_16x16x4f32 a[0:3], v10, v20, a[0:3]
	s_movk_i32 s4, 0x7f
	v_cmp_gt_i16_sdwa s[6:7], v15, s4 src0_sel:BYTE_3 src1_sel:DWORD
	s_mov_b64 s[4:5], 0
                                        ; implicit-def: $sgpr10
	s_and_saveexec_b64 s[8:9], s[6:7]
	s_xor_b64 s[6:7], exec, s[8:9]
	s_cbranch_execnz .LBB17_2361
; %bb.313:
	s_or_saveexec_b64 s[6:7], s[6:7]
	v_mov_b32_e32 v10, s10
	s_xor_b64 exec, exec, s[6:7]
	s_cbranch_execnz .LBB17_2364
.LBB17_314:
	s_or_b64 exec, exec, s[6:7]
	s_and_saveexec_b64 s[6:7], s[4:5]
	s_cbranch_execz .LBB17_316
.LBB17_315:
	v_bfe_u32 v10, v15, 24, 3
	v_ffbh_u32_e32 v22, v10
	v_min_u32_e32 v22, 32, v22
	v_lshrrev_b32_e32 v20, 27, v15
	v_subrev_u32_e32 v23, 28, v22
	v_and_b32_e32 v14, 0x80000000, v15
	v_and_b32_e32 v20, 15, v20
	v_bfe_u32 v21, v15, 27, 4
	v_lshlrev_b32_sdwa v15, v23, v15 dst_sel:DWORD dst_unused:UNUSED_PAD src0_sel:DWORD src1_sel:BYTE_3
	v_sub_u32_e32 v22, 29, v22
	v_and_b32_e32 v15, 7, v15
	v_cmp_eq_u16_e32 vcc, 0, v20
	v_cndmask_b32_e32 v10, v10, v15, vcc
	v_cndmask_b32_e32 v15, v21, v22, vcc
	v_mov_b32_e32 v20, 0x3b800000
	v_lshlrev_b32_e32 v10, 20, v10
	v_lshl_add_u32 v15, v15, 23, v20
	v_or3_b32 v10, v14, v15, v10
.LBB17_316:
	s_or_b64 exec, exec, s[6:7]
	s_movk_i32 s4, 0x7f
	v_cmp_gt_i16_sdwa s[6:7], v11, s4 src0_sel:BYTE_3 src1_sel:DWORD
	s_mov_b64 s[4:5], 0
                                        ; implicit-def: $sgpr10
	s_and_saveexec_b64 s[8:9], s[6:7]
	s_xor_b64 s[6:7], exec, s[8:9]
	s_cbranch_execnz .LBB17_2365
; %bb.317:
	s_or_saveexec_b64 s[6:7], s[6:7]
	v_mov_b32_e32 v14, s10
	s_xor_b64 exec, exec, s[6:7]
	s_cbranch_execnz .LBB17_2368
.LBB17_318:
	s_or_b64 exec, exec, s[6:7]
	s_and_saveexec_b64 s[6:7], s[4:5]
	s_cbranch_execz .LBB17_320
.LBB17_319:
	v_bfe_u32 v14, v11, 24, 3
	v_ffbh_u32_e32 v22, v14
	v_min_u32_e32 v22, 32, v22
	v_lshrrev_b32_e32 v20, 27, v11
	v_subrev_u32_e32 v23, 28, v22
	v_and_b32_e32 v15, 0x80000000, v11
	v_and_b32_e32 v20, 15, v20
	v_bfe_u32 v21, v11, 27, 4
	v_lshlrev_b32_sdwa v11, v23, v11 dst_sel:DWORD dst_unused:UNUSED_PAD src0_sel:DWORD src1_sel:BYTE_3
	v_sub_u32_e32 v22, 29, v22
	v_and_b32_e32 v11, 7, v11
	v_cmp_eq_u16_e32 vcc, 0, v20
	v_cndmask_b32_e32 v11, v14, v11, vcc
	v_cndmask_b32_e32 v14, v21, v22, vcc
	v_mov_b32_e32 v20, 0x3b800000
	v_lshlrev_b32_e32 v11, 20, v11
	v_lshl_add_u32 v14, v14, 23, v20
	v_or3_b32 v14, v15, v14, v11
.LBB17_320:
	s_or_b64 exec, exec, s[6:7]
	s_nop 0
	v_mfma_f32_16x16x4f32 a[0:3], v10, v14, a[0:3]
	s_movk_i32 s4, 0x7f
	v_cmp_gt_i16_sdwa s[6:7], v16, s4 src0_sel:BYTE_0 src1_sel:DWORD
	s_mov_b64 s[4:5], 0
                                        ; implicit-def: $sgpr10
	s_and_saveexec_b64 s[8:9], s[6:7]
	s_xor_b64 s[6:7], exec, s[8:9]
	s_cbranch_execnz .LBB17_2369
; %bb.321:
	s_or_saveexec_b64 s[6:7], s[6:7]
	v_mov_b32_e32 v10, s10
	s_xor_b64 exec, exec, s[6:7]
	s_cbranch_execnz .LBB17_2372
.LBB17_322:
	s_or_b64 exec, exec, s[6:7]
	s_and_saveexec_b64 s[6:7], s[4:5]
	s_cbranch_execz .LBB17_324
.LBB17_323:
	v_and_b32_e32 v10, 7, v16
	v_ffbh_u32_e32 v14, v10
	v_min_u32_e32 v14, 32, v14
	v_lshrrev_b16_e32 v11, 3, v16
	v_subrev_u32_e32 v15, 28, v14
	v_and_b32_e32 v11, 15, v11
	v_lshlrev_b32_e32 v15, v15, v16
	v_sub_u32_e32 v14, 29, v14
	v_and_b32_e32 v15, 7, v15
	v_cmp_eq_u16_e32 vcc, 0, v11
	v_cndmask_b32_e32 v10, v10, v15, vcc
	v_cndmask_b32_e32 v11, v11, v14, vcc
	v_lshlrev_b32_e32 v14, 24, v16
	v_mov_b32_e32 v15, 0x3b800000
	v_lshlrev_b32_e32 v10, 20, v10
	v_and_b32_e32 v14, 0x80000000, v14
	v_lshl_add_u32 v11, v11, 23, v15
	v_or3_b32 v10, v14, v11, v10
.LBB17_324:
	s_or_b64 exec, exec, s[6:7]
	s_movk_i32 s4, 0x7f
	v_cmp_gt_i16_sdwa s[6:7], v12, s4 src0_sel:BYTE_0 src1_sel:DWORD
	s_mov_b64 s[4:5], 0
                                        ; implicit-def: $sgpr10
	s_and_saveexec_b64 s[8:9], s[6:7]
	s_xor_b64 s[6:7], exec, s[8:9]
	s_cbranch_execnz .LBB17_2373
; %bb.325:
	s_or_saveexec_b64 s[6:7], s[6:7]
	v_mov_b32_e32 v11, s10
	s_xor_b64 exec, exec, s[6:7]
	s_cbranch_execnz .LBB17_2376
.LBB17_326:
	s_or_b64 exec, exec, s[6:7]
	s_and_saveexec_b64 s[6:7], s[4:5]
	s_cbranch_execz .LBB17_328
.LBB17_327:
	v_and_b32_e32 v11, 7, v12
	v_ffbh_u32_e32 v15, v11
	v_min_u32_e32 v15, 32, v15
	v_lshrrev_b16_e32 v14, 3, v12
	v_subrev_u32_e32 v20, 28, v15
	v_and_b32_e32 v14, 15, v14
	v_lshlrev_b32_e32 v20, v20, v12
	v_sub_u32_e32 v15, 29, v15
	v_and_b32_e32 v20, 7, v20
	v_cmp_eq_u16_e32 vcc, 0, v14
	v_cndmask_b32_e32 v11, v11, v20, vcc
	v_cndmask_b32_e32 v14, v14, v15, vcc
	v_lshlrev_b32_e32 v15, 24, v12
	v_mov_b32_e32 v20, 0x3b800000
	v_lshlrev_b32_e32 v11, 20, v11
	v_and_b32_e32 v15, 0x80000000, v15
	v_lshl_add_u32 v14, v14, 23, v20
	v_or3_b32 v11, v15, v14, v11
.LBB17_328:
	s_or_b64 exec, exec, s[6:7]
	s_nop 0
	v_mfma_f32_16x16x4f32 a[0:3], v10, v11, a[0:3]
	v_lshrrev_b32_e32 v11, 8, v16
	s_movk_i32 s4, 0x7f
	v_cmp_gt_i16_sdwa s[6:7], v11, s4 src0_sel:BYTE_0 src1_sel:DWORD
	s_mov_b64 s[4:5], 0
                                        ; implicit-def: $sgpr10
	s_and_saveexec_b64 s[8:9], s[6:7]
	s_xor_b64 s[6:7], exec, s[8:9]
	s_cbranch_execnz .LBB17_2377
; %bb.329:
	s_or_saveexec_b64 s[6:7], s[6:7]
	v_mov_b32_e32 v10, s10
	s_xor_b64 exec, exec, s[6:7]
	s_cbranch_execnz .LBB17_2380
.LBB17_330:
	s_or_b64 exec, exec, s[6:7]
	s_and_saveexec_b64 s[6:7], s[4:5]
	s_cbranch_execz .LBB17_332
.LBB17_331:
	v_bfe_u32 v10, v16, 8, 3
	v_ffbh_u32_e32 v15, v10
	v_min_u32_e32 v15, 32, v15
	v_lshrrev_b16_e32 v14, 3, v11
	v_subrev_u32_e32 v20, 28, v15
	v_and_b32_e32 v14, 15, v14
	v_lshlrev_b32_e32 v11, v20, v11
	v_sub_u32_e32 v15, 29, v15
	v_and_b32_e32 v11, 7, v11
	v_cmp_eq_u16_e32 vcc, 0, v14
	v_cndmask_b32_e32 v10, v10, v11, vcc
	v_cndmask_b32_e32 v11, v14, v15, vcc
	v_lshlrev_b32_e32 v14, 16, v16
	v_mov_b32_e32 v15, 0x3b800000
	v_lshlrev_b32_e32 v10, 20, v10
	v_and_b32_e32 v14, 0x80000000, v14
	v_lshl_add_u32 v11, v11, 23, v15
	v_or3_b32 v10, v14, v11, v10
.LBB17_332:
	s_or_b64 exec, exec, s[6:7]
	v_lshrrev_b32_e32 v11, 8, v12
	s_movk_i32 s4, 0x7f
	v_cmp_gt_i16_sdwa s[6:7], v11, s4 src0_sel:BYTE_0 src1_sel:DWORD
	s_mov_b64 s[4:5], 0
                                        ; implicit-def: $sgpr10
	s_and_saveexec_b64 s[8:9], s[6:7]
	s_xor_b64 s[6:7], exec, s[8:9]
	s_cbranch_execnz .LBB17_2381
; %bb.333:
	s_or_saveexec_b64 s[6:7], s[6:7]
	v_mov_b32_e32 v14, s10
	s_xor_b64 exec, exec, s[6:7]
	s_cbranch_execnz .LBB17_2384
.LBB17_334:
	s_or_b64 exec, exec, s[6:7]
	s_and_saveexec_b64 s[6:7], s[4:5]
	s_cbranch_execz .LBB17_336
.LBB17_335:
	v_bfe_u32 v14, v12, 8, 3
	v_ffbh_u32_e32 v20, v14
	v_min_u32_e32 v20, 32, v20
	v_lshrrev_b16_e32 v15, 3, v11
	v_subrev_u32_e32 v21, 28, v20
	v_and_b32_e32 v15, 15, v15
	v_lshlrev_b32_e32 v11, v21, v11
	v_sub_u32_e32 v20, 29, v20
	v_and_b32_e32 v11, 7, v11
	v_cmp_eq_u16_e32 vcc, 0, v15
	v_cndmask_b32_e32 v11, v14, v11, vcc
	v_cndmask_b32_e32 v14, v15, v20, vcc
	v_lshlrev_b32_e32 v15, 16, v12
	v_mov_b32_e32 v20, 0x3b800000
	v_lshlrev_b32_e32 v11, 20, v11
	v_and_b32_e32 v15, 0x80000000, v15
	v_lshl_add_u32 v14, v14, 23, v20
	v_or3_b32 v14, v15, v14, v11
.LBB17_336:
	s_or_b64 exec, exec, s[6:7]
	s_nop 0
	v_mfma_f32_16x16x4f32 a[0:3], v10, v14, a[0:3]
	s_movk_i32 s4, 0xff
	v_and_b32_sdwa v11, v16, s4 dst_sel:DWORD dst_unused:UNUSED_PAD src0_sel:WORD_1 src1_sel:DWORD
	s_movk_i32 s4, 0x7f
	v_cmp_lt_i16_e32 vcc, s4, v11
	s_mov_b64 s[4:5], 0
                                        ; implicit-def: $sgpr10
	s_and_saveexec_b64 s[6:7], vcc
	s_xor_b64 s[6:7], exec, s[6:7]
	s_cbranch_execnz .LBB17_2385
; %bb.337:
	s_or_saveexec_b64 s[6:7], s[6:7]
	v_mov_b32_e32 v10, s10
	s_xor_b64 exec, exec, s[6:7]
	s_cbranch_execnz .LBB17_2388
.LBB17_338:
	s_or_b64 exec, exec, s[6:7]
	s_and_saveexec_b64 s[6:7], s[4:5]
	s_cbranch_execz .LBB17_340
.LBB17_339:
	v_bfe_u32 v10, v16, 16, 3
	v_ffbh_u32_e32 v15, v10
	v_min_u32_e32 v15, 32, v15
	v_lshrrev_b32_e32 v11, 19, v16
	v_subrev_u32_e32 v20, 28, v15
	v_and_b32_e32 v11, 15, v11
	v_lshlrev_b32_sdwa v20, v20, v16 dst_sel:DWORD dst_unused:UNUSED_PAD src0_sel:DWORD src1_sel:WORD_1
	v_bfe_u32 v14, v16, 19, 4
	v_sub_u32_e32 v15, 29, v15
	v_and_b32_e32 v20, 7, v20
	v_cmp_eq_u16_e32 vcc, 0, v11
	v_cndmask_b32_e32 v10, v10, v20, vcc
	v_cndmask_b32_e32 v11, v14, v15, vcc
	v_lshlrev_b32_e32 v14, 8, v16
	v_mov_b32_e32 v15, 0x3b800000
	v_lshlrev_b32_e32 v10, 20, v10
	v_and_b32_e32 v14, 0x80000000, v14
	v_lshl_add_u32 v11, v11, 23, v15
	v_or3_b32 v10, v14, v11, v10
.LBB17_340:
	s_or_b64 exec, exec, s[6:7]
	s_movk_i32 s4, 0xff
	v_and_b32_sdwa v11, v12, s4 dst_sel:DWORD dst_unused:UNUSED_PAD src0_sel:WORD_1 src1_sel:DWORD
	s_movk_i32 s4, 0x7f
	v_cmp_lt_i16_e32 vcc, s4, v11
	s_mov_b64 s[4:5], 0
                                        ; implicit-def: $sgpr10
	s_and_saveexec_b64 s[6:7], vcc
	s_xor_b64 s[6:7], exec, s[6:7]
	s_cbranch_execnz .LBB17_2389
; %bb.341:
	s_or_saveexec_b64 s[6:7], s[6:7]
	v_mov_b32_e32 v14, s10
	s_xor_b64 exec, exec, s[6:7]
	s_cbranch_execnz .LBB17_2392
.LBB17_342:
	s_or_b64 exec, exec, s[6:7]
	s_and_saveexec_b64 s[6:7], s[4:5]
	s_cbranch_execz .LBB17_344
.LBB17_343:
	v_bfe_u32 v11, v12, 16, 3
	v_ffbh_u32_e32 v20, v11
	v_min_u32_e32 v20, 32, v20
	v_lshrrev_b32_e32 v14, 19, v12
	v_subrev_u32_e32 v21, 28, v20
	v_and_b32_e32 v14, 15, v14
	v_lshlrev_b32_sdwa v21, v21, v12 dst_sel:DWORD dst_unused:UNUSED_PAD src0_sel:DWORD src1_sel:WORD_1
	v_bfe_u32 v15, v12, 19, 4
	v_sub_u32_e32 v20, 29, v20
	v_and_b32_e32 v21, 7, v21
	v_cmp_eq_u16_e32 vcc, 0, v14
	v_cndmask_b32_e32 v11, v11, v21, vcc
	v_cndmask_b32_e32 v14, v15, v20, vcc
	v_lshlrev_b32_e32 v15, 8, v12
	v_mov_b32_e32 v20, 0x3b800000
	v_lshlrev_b32_e32 v11, 20, v11
	v_and_b32_e32 v15, 0x80000000, v15
	v_lshl_add_u32 v14, v14, 23, v20
	v_or3_b32 v14, v15, v14, v11
.LBB17_344:
	s_or_b64 exec, exec, s[6:7]
	s_nop 0
	v_mfma_f32_16x16x4f32 a[0:3], v10, v14, a[0:3]
	s_movk_i32 s4, 0x7f
	v_cmp_gt_i16_sdwa s[6:7], v16, s4 src0_sel:BYTE_3 src1_sel:DWORD
	s_mov_b64 s[4:5], 0
                                        ; implicit-def: $sgpr10
	s_and_saveexec_b64 s[8:9], s[6:7]
	s_xor_b64 s[6:7], exec, s[8:9]
	s_cbranch_execnz .LBB17_2393
; %bb.345:
	s_or_saveexec_b64 s[6:7], s[6:7]
	v_mov_b32_e32 v10, s10
	s_xor_b64 exec, exec, s[6:7]
	s_cbranch_execnz .LBB17_2396
.LBB17_346:
	s_or_b64 exec, exec, s[6:7]
	s_and_saveexec_b64 s[6:7], s[4:5]
	s_cbranch_execz .LBB17_348
.LBB17_347:
	v_bfe_u32 v10, v16, 24, 3
	v_ffbh_u32_e32 v20, v10
	v_min_u32_e32 v20, 32, v20
	v_lshrrev_b32_e32 v14, 27, v16
	v_subrev_u32_e32 v21, 28, v20
	v_and_b32_e32 v11, 0x80000000, v16
	v_and_b32_e32 v14, 15, v14
	v_bfe_u32 v15, v16, 27, 4
	v_lshlrev_b32_sdwa v16, v21, v16 dst_sel:DWORD dst_unused:UNUSED_PAD src0_sel:DWORD src1_sel:BYTE_3
	v_sub_u32_e32 v20, 29, v20
	v_and_b32_e32 v16, 7, v16
	v_cmp_eq_u16_e32 vcc, 0, v14
	v_cndmask_b32_e32 v10, v10, v16, vcc
	v_cndmask_b32_e32 v14, v15, v20, vcc
	v_mov_b32_e32 v15, 0x3b800000
	v_lshlrev_b32_e32 v10, 20, v10
	v_lshl_add_u32 v14, v14, 23, v15
	v_or3_b32 v10, v11, v14, v10
.LBB17_348:
	s_or_b64 exec, exec, s[6:7]
	s_movk_i32 s4, 0x7f
	v_cmp_gt_i16_sdwa s[6:7], v12, s4 src0_sel:BYTE_3 src1_sel:DWORD
	s_mov_b64 s[4:5], 0
                                        ; implicit-def: $sgpr10
	s_and_saveexec_b64 s[8:9], s[6:7]
	s_xor_b64 s[6:7], exec, s[8:9]
	s_cbranch_execnz .LBB17_2397
; %bb.349:
	s_or_saveexec_b64 s[6:7], s[6:7]
	v_mov_b32_e32 v11, s10
	s_xor_b64 exec, exec, s[6:7]
	s_cbranch_execnz .LBB17_2400
.LBB17_350:
	s_or_b64 exec, exec, s[6:7]
	s_and_saveexec_b64 s[6:7], s[4:5]
	s_cbranch_execz .LBB17_352
.LBB17_351:
	v_bfe_u32 v11, v12, 24, 3
	v_ffbh_u32_e32 v20, v11
	v_min_u32_e32 v20, 32, v20
	v_lshrrev_b32_e32 v15, 27, v12
	v_subrev_u32_e32 v21, 28, v20
	v_and_b32_e32 v14, 0x80000000, v12
	v_and_b32_e32 v15, 15, v15
	v_bfe_u32 v16, v12, 27, 4
	v_lshlrev_b32_sdwa v12, v21, v12 dst_sel:DWORD dst_unused:UNUSED_PAD src0_sel:DWORD src1_sel:BYTE_3
	v_sub_u32_e32 v20, 29, v20
	v_and_b32_e32 v12, 7, v12
	v_cmp_eq_u16_e32 vcc, 0, v15
	v_cndmask_b32_e32 v11, v11, v12, vcc
	v_cndmask_b32_e32 v12, v16, v20, vcc
	v_mov_b32_e32 v15, 0x3b800000
	v_lshlrev_b32_e32 v11, 20, v11
	v_lshl_add_u32 v12, v12, 23, v15
	v_or3_b32 v11, v14, v12, v11
.LBB17_352:
	s_or_b64 exec, exec, s[6:7]
	s_nop 0
	v_mfma_f32_16x16x4f32 a[0:3], v10, v11, a[0:3]
	s_movk_i32 s4, 0x7f
	v_cmp_gt_i16_sdwa s[6:7], v17, s4 src0_sel:BYTE_0 src1_sel:DWORD
	s_mov_b64 s[4:5], 0
                                        ; implicit-def: $sgpr10
	s_and_saveexec_b64 s[8:9], s[6:7]
	s_xor_b64 s[6:7], exec, s[8:9]
	s_cbranch_execnz .LBB17_2401
; %bb.353:
	s_or_saveexec_b64 s[6:7], s[6:7]
	v_mov_b32_e32 v10, s10
	s_xor_b64 exec, exec, s[6:7]
	s_cbranch_execnz .LBB17_2404
.LBB17_354:
	s_or_b64 exec, exec, s[6:7]
	s_and_saveexec_b64 s[6:7], s[4:5]
	s_cbranch_execz .LBB17_356
.LBB17_355:
	v_and_b32_e32 v10, 7, v17
	v_ffbh_u32_e32 v12, v10
	v_min_u32_e32 v12, 32, v12
	v_lshrrev_b16_e32 v11, 3, v17
	v_subrev_u32_e32 v14, 28, v12
	v_and_b32_e32 v11, 15, v11
	v_lshlrev_b32_e32 v14, v14, v17
	v_sub_u32_e32 v12, 29, v12
	v_and_b32_e32 v14, 7, v14
	v_cmp_eq_u16_e32 vcc, 0, v11
	v_cndmask_b32_e32 v10, v10, v14, vcc
	v_cndmask_b32_e32 v11, v11, v12, vcc
	v_lshlrev_b32_e32 v12, 24, v17
	v_mov_b32_e32 v14, 0x3b800000
	v_lshlrev_b32_e32 v10, 20, v10
	v_and_b32_e32 v12, 0x80000000, v12
	v_lshl_add_u32 v11, v11, 23, v14
	v_or3_b32 v10, v12, v11, v10
.LBB17_356:
	s_or_b64 exec, exec, s[6:7]
	s_movk_i32 s4, 0x7f
	v_cmp_gt_i16_sdwa s[6:7], v13, s4 src0_sel:BYTE_0 src1_sel:DWORD
	s_mov_b64 s[4:5], 0
                                        ; implicit-def: $sgpr10
	s_and_saveexec_b64 s[8:9], s[6:7]
	s_xor_b64 s[6:7], exec, s[8:9]
	s_cbranch_execnz .LBB17_2405
; %bb.357:
	s_or_saveexec_b64 s[6:7], s[6:7]
	v_mov_b32_e32 v11, s10
	s_xor_b64 exec, exec, s[6:7]
	s_cbranch_execnz .LBB17_2408
.LBB17_358:
	s_or_b64 exec, exec, s[6:7]
	s_and_saveexec_b64 s[6:7], s[4:5]
	s_cbranch_execz .LBB17_360
.LBB17_359:
	v_and_b32_e32 v11, 7, v13
	v_ffbh_u32_e32 v14, v11
	v_min_u32_e32 v14, 32, v14
	v_lshrrev_b16_e32 v12, 3, v13
	v_subrev_u32_e32 v15, 28, v14
	v_and_b32_e32 v12, 15, v12
	v_lshlrev_b32_e32 v15, v15, v13
	v_sub_u32_e32 v14, 29, v14
	v_and_b32_e32 v15, 7, v15
	v_cmp_eq_u16_e32 vcc, 0, v12
	v_cndmask_b32_e32 v11, v11, v15, vcc
	v_cndmask_b32_e32 v12, v12, v14, vcc
	v_lshlrev_b32_e32 v14, 24, v13
	v_mov_b32_e32 v15, 0x3b800000
	v_lshlrev_b32_e32 v11, 20, v11
	v_and_b32_e32 v14, 0x80000000, v14
	v_lshl_add_u32 v12, v12, 23, v15
	v_or3_b32 v11, v14, v12, v11
.LBB17_360:
	s_or_b64 exec, exec, s[6:7]
	s_nop 0
	v_mfma_f32_16x16x4f32 a[0:3], v10, v11, a[0:3]
	v_lshrrev_b32_e32 v11, 8, v17
	s_movk_i32 s4, 0x7f
	v_cmp_gt_i16_sdwa s[6:7], v11, s4 src0_sel:BYTE_0 src1_sel:DWORD
	s_mov_b64 s[4:5], 0
                                        ; implicit-def: $sgpr10
	s_and_saveexec_b64 s[8:9], s[6:7]
	s_xor_b64 s[6:7], exec, s[8:9]
	s_cbranch_execnz .LBB17_2409
; %bb.361:
	s_or_saveexec_b64 s[6:7], s[6:7]
	v_mov_b32_e32 v10, s10
	s_xor_b64 exec, exec, s[6:7]
	s_cbranch_execnz .LBB17_2412
.LBB17_362:
	s_or_b64 exec, exec, s[6:7]
	s_and_saveexec_b64 s[6:7], s[4:5]
	s_cbranch_execz .LBB17_364
.LBB17_363:
	v_bfe_u32 v10, v17, 8, 3
	v_ffbh_u32_e32 v14, v10
	v_min_u32_e32 v14, 32, v14
	v_lshrrev_b16_e32 v12, 3, v11
	v_subrev_u32_e32 v15, 28, v14
	v_and_b32_e32 v12, 15, v12
	v_lshlrev_b32_e32 v11, v15, v11
	v_sub_u32_e32 v14, 29, v14
	v_and_b32_e32 v11, 7, v11
	v_cmp_eq_u16_e32 vcc, 0, v12
	v_cndmask_b32_e32 v10, v10, v11, vcc
	v_cndmask_b32_e32 v11, v12, v14, vcc
	v_lshlrev_b32_e32 v12, 16, v17
	v_mov_b32_e32 v14, 0x3b800000
	v_lshlrev_b32_e32 v10, 20, v10
	v_and_b32_e32 v12, 0x80000000, v12
	v_lshl_add_u32 v11, v11, 23, v14
	v_or3_b32 v10, v12, v11, v10
.LBB17_364:
	s_or_b64 exec, exec, s[6:7]
	v_lshrrev_b32_e32 v11, 8, v13
	s_movk_i32 s4, 0x7f
	v_cmp_gt_i16_sdwa s[6:7], v11, s4 src0_sel:BYTE_0 src1_sel:DWORD
	s_mov_b64 s[4:5], 0
                                        ; implicit-def: $sgpr10
	s_and_saveexec_b64 s[8:9], s[6:7]
	s_xor_b64 s[6:7], exec, s[8:9]
	s_cbranch_execnz .LBB17_2413
; %bb.365:
	s_or_saveexec_b64 s[6:7], s[6:7]
	v_mov_b32_e32 v12, s10
	s_xor_b64 exec, exec, s[6:7]
	s_cbranch_execnz .LBB17_2416
.LBB17_366:
	s_or_b64 exec, exec, s[6:7]
	s_and_saveexec_b64 s[6:7], s[4:5]
	s_cbranch_execz .LBB17_368
.LBB17_367:
	v_bfe_u32 v12, v13, 8, 3
	v_ffbh_u32_e32 v15, v12
	v_min_u32_e32 v15, 32, v15
	v_lshrrev_b16_e32 v14, 3, v11
	v_subrev_u32_e32 v16, 28, v15
	v_and_b32_e32 v14, 15, v14
	v_lshlrev_b32_e32 v11, v16, v11
	v_sub_u32_e32 v15, 29, v15
	v_and_b32_e32 v11, 7, v11
	v_cmp_eq_u16_e32 vcc, 0, v14
	v_cndmask_b32_e32 v11, v12, v11, vcc
	v_cndmask_b32_e32 v12, v14, v15, vcc
	v_lshlrev_b32_e32 v14, 16, v13
	v_mov_b32_e32 v15, 0x3b800000
	v_lshlrev_b32_e32 v11, 20, v11
	v_and_b32_e32 v14, 0x80000000, v14
	v_lshl_add_u32 v12, v12, 23, v15
	v_or3_b32 v12, v14, v12, v11
.LBB17_368:
	s_or_b64 exec, exec, s[6:7]
	s_nop 0
	v_mfma_f32_16x16x4f32 a[0:3], v10, v12, a[0:3]
	s_movk_i32 s4, 0xff
	v_and_b32_sdwa v11, v17, s4 dst_sel:DWORD dst_unused:UNUSED_PAD src0_sel:WORD_1 src1_sel:DWORD
	s_movk_i32 s4, 0x7f
	v_cmp_lt_i16_e32 vcc, s4, v11
	s_mov_b64 s[4:5], 0
                                        ; implicit-def: $sgpr10
	s_and_saveexec_b64 s[6:7], vcc
	s_xor_b64 s[6:7], exec, s[6:7]
	s_cbranch_execnz .LBB17_2417
; %bb.369:
	s_or_saveexec_b64 s[6:7], s[6:7]
	v_mov_b32_e32 v10, s10
	s_xor_b64 exec, exec, s[6:7]
	s_cbranch_execnz .LBB17_2420
.LBB17_370:
	s_or_b64 exec, exec, s[6:7]
	s_and_saveexec_b64 s[6:7], s[4:5]
	s_cbranch_execz .LBB17_372
.LBB17_371:
	v_bfe_u32 v10, v17, 16, 3
	v_ffbh_u32_e32 v14, v10
	v_min_u32_e32 v14, 32, v14
	v_lshrrev_b32_e32 v11, 19, v17
	v_subrev_u32_e32 v15, 28, v14
	v_and_b32_e32 v11, 15, v11
	v_lshlrev_b32_sdwa v15, v15, v17 dst_sel:DWORD dst_unused:UNUSED_PAD src0_sel:DWORD src1_sel:WORD_1
	v_bfe_u32 v12, v17, 19, 4
	v_sub_u32_e32 v14, 29, v14
	v_and_b32_e32 v15, 7, v15
	v_cmp_eq_u16_e32 vcc, 0, v11
	v_cndmask_b32_e32 v10, v10, v15, vcc
	v_cndmask_b32_e32 v11, v12, v14, vcc
	v_lshlrev_b32_e32 v12, 8, v17
	v_mov_b32_e32 v14, 0x3b800000
	v_lshlrev_b32_e32 v10, 20, v10
	v_and_b32_e32 v12, 0x80000000, v12
	v_lshl_add_u32 v11, v11, 23, v14
	v_or3_b32 v10, v12, v11, v10
.LBB17_372:
	s_or_b64 exec, exec, s[6:7]
	s_movk_i32 s4, 0xff
	v_and_b32_sdwa v11, v13, s4 dst_sel:DWORD dst_unused:UNUSED_PAD src0_sel:WORD_1 src1_sel:DWORD
	s_movk_i32 s4, 0x7f
	v_cmp_lt_i16_e32 vcc, s4, v11
	s_mov_b64 s[4:5], 0
                                        ; implicit-def: $sgpr10
	s_and_saveexec_b64 s[6:7], vcc
	s_xor_b64 s[6:7], exec, s[6:7]
	s_cbranch_execnz .LBB17_2421
; %bb.373:
	s_or_saveexec_b64 s[6:7], s[6:7]
	v_mov_b32_e32 v12, s10
	s_xor_b64 exec, exec, s[6:7]
	s_cbranch_execnz .LBB17_2424
.LBB17_374:
	s_or_b64 exec, exec, s[6:7]
	s_and_saveexec_b64 s[6:7], s[4:5]
	s_cbranch_execz .LBB17_376
.LBB17_375:
	v_bfe_u32 v11, v13, 16, 3
	v_ffbh_u32_e32 v15, v11
	v_min_u32_e32 v15, 32, v15
	v_lshrrev_b32_e32 v12, 19, v13
	v_subrev_u32_e32 v16, 28, v15
	v_and_b32_e32 v12, 15, v12
	v_lshlrev_b32_sdwa v16, v16, v13 dst_sel:DWORD dst_unused:UNUSED_PAD src0_sel:DWORD src1_sel:WORD_1
	v_bfe_u32 v14, v13, 19, 4
	v_sub_u32_e32 v15, 29, v15
	v_and_b32_e32 v16, 7, v16
	v_cmp_eq_u16_e32 vcc, 0, v12
	v_cndmask_b32_e32 v11, v11, v16, vcc
	v_cndmask_b32_e32 v12, v14, v15, vcc
	v_lshlrev_b32_e32 v14, 8, v13
	v_mov_b32_e32 v15, 0x3b800000
	v_lshlrev_b32_e32 v11, 20, v11
	v_and_b32_e32 v14, 0x80000000, v14
	v_lshl_add_u32 v12, v12, 23, v15
	v_or3_b32 v12, v14, v12, v11
.LBB17_376:
	s_or_b64 exec, exec, s[6:7]
	s_nop 0
	v_mfma_f32_16x16x4f32 a[0:3], v10, v12, a[0:3]
	s_movk_i32 s4, 0x7f
	v_cmp_gt_i16_sdwa s[6:7], v17, s4 src0_sel:BYTE_3 src1_sel:DWORD
	s_mov_b64 s[4:5], 0
                                        ; implicit-def: $sgpr10
	s_and_saveexec_b64 s[8:9], s[6:7]
	s_xor_b64 s[6:7], exec, s[8:9]
	s_cbranch_execnz .LBB17_2425
; %bb.377:
	s_or_saveexec_b64 s[6:7], s[6:7]
	v_mov_b32_e32 v10, s10
	s_xor_b64 exec, exec, s[6:7]
	s_cbranch_execnz .LBB17_2428
.LBB17_378:
	s_or_b64 exec, exec, s[6:7]
	s_and_saveexec_b64 s[6:7], s[4:5]
	s_cbranch_execz .LBB17_380
.LBB17_379:
	v_bfe_u32 v10, v17, 24, 3
	v_ffbh_u32_e32 v15, v10
	v_min_u32_e32 v15, 32, v15
	v_lshrrev_b32_e32 v12, 27, v17
	v_subrev_u32_e32 v16, 28, v15
	v_and_b32_e32 v12, 15, v12
	v_lshlrev_b32_sdwa v16, v16, v17 dst_sel:DWORD dst_unused:UNUSED_PAD src0_sel:DWORD src1_sel:BYTE_3
	v_bfe_u32 v14, v17, 27, 4
	v_sub_u32_e32 v15, 29, v15
	v_and_b32_e32 v16, 7, v16
	v_cmp_eq_u16_e32 vcc, 0, v12
	v_cndmask_b32_e32 v10, v10, v16, vcc
	v_cndmask_b32_e32 v12, v14, v15, vcc
	v_mov_b32_e32 v14, 0x3b800000
	v_and_b32_e32 v11, 0x80000000, v17
	v_lshlrev_b32_e32 v10, 20, v10
	v_lshl_add_u32 v12, v12, 23, v14
	v_or3_b32 v10, v11, v12, v10
.LBB17_380:
	s_or_b64 exec, exec, s[6:7]
	s_movk_i32 s4, 0x7f
	v_cmp_gt_i16_sdwa s[6:7], v13, s4 src0_sel:BYTE_3 src1_sel:DWORD
	s_mov_b64 s[4:5], 0
                                        ; implicit-def: $sgpr10
	s_and_saveexec_b64 s[8:9], s[6:7]
	s_xor_b64 s[6:7], exec, s[8:9]
	s_cbranch_execnz .LBB17_2429
; %bb.381:
	s_or_saveexec_b64 s[6:7], s[6:7]
	v_mov_b32_e32 v11, s10
	s_xor_b64 exec, exec, s[6:7]
	s_cbranch_execnz .LBB17_2432
.LBB17_382:
	s_or_b64 exec, exec, s[6:7]
	s_and_saveexec_b64 s[6:7], s[4:5]
	s_cbranch_execz .LBB17_384
.LBB17_383:
	v_bfe_u32 v11, v13, 24, 3
	v_ffbh_u32_e32 v16, v11
	v_min_u32_e32 v16, 32, v16
	v_lshrrev_b32_e32 v14, 27, v13
	v_subrev_u32_e32 v17, 28, v16
	v_and_b32_e32 v12, 0x80000000, v13
	v_and_b32_e32 v14, 15, v14
	v_bfe_u32 v15, v13, 27, 4
	v_lshlrev_b32_sdwa v13, v17, v13 dst_sel:DWORD dst_unused:UNUSED_PAD src0_sel:DWORD src1_sel:BYTE_3
	v_sub_u32_e32 v16, 29, v16
	v_and_b32_e32 v13, 7, v13
	v_cmp_eq_u16_e32 vcc, 0, v14
	v_cndmask_b32_e32 v11, v11, v13, vcc
	v_cndmask_b32_e32 v13, v15, v16, vcc
	v_mov_b32_e32 v14, 0x3b800000
	v_lshlrev_b32_e32 v11, 20, v11
	v_lshl_add_u32 v13, v13, 23, v14
	v_or3_b32 v11, v12, v13, v11
.LBB17_384:
	s_or_b64 exec, exec, s[6:7]
	s_nop 0
	v_mfma_f32_16x16x4f32 a[0:3], v10, v11, a[0:3]
	s_movk_i32 s4, 0x7f
	v_cmp_gt_i16_sdwa s[6:7], v6, s4 src0_sel:BYTE_0 src1_sel:DWORD
	s_mov_b64 s[4:5], 0
                                        ; implicit-def: $sgpr10
	s_and_saveexec_b64 s[8:9], s[6:7]
	s_xor_b64 s[6:7], exec, s[8:9]
	s_cbranch_execnz .LBB17_2433
; %bb.385:
	s_or_saveexec_b64 s[6:7], s[6:7]
	v_mov_b32_e32 v10, s10
	s_xor_b64 exec, exec, s[6:7]
	s_cbranch_execnz .LBB17_2436
.LBB17_386:
	s_or_b64 exec, exec, s[6:7]
	s_and_saveexec_b64 s[6:7], s[4:5]
	s_cbranch_execz .LBB17_388
.LBB17_387:
	v_and_b32_e32 v10, 7, v6
	v_ffbh_u32_e32 v12, v10
	v_min_u32_e32 v12, 32, v12
	v_lshrrev_b16_e32 v11, 3, v6
	v_subrev_u32_e32 v13, 28, v12
	v_and_b32_e32 v11, 15, v11
	v_lshlrev_b32_e32 v13, v13, v6
	v_sub_u32_e32 v12, 29, v12
	v_and_b32_e32 v13, 7, v13
	v_cmp_eq_u16_e32 vcc, 0, v11
	v_cndmask_b32_e32 v10, v10, v13, vcc
	v_cndmask_b32_e32 v11, v11, v12, vcc
	v_lshlrev_b32_e32 v12, 24, v6
	v_mov_b32_e32 v13, 0x3b800000
	v_lshlrev_b32_e32 v10, 20, v10
	v_and_b32_e32 v12, 0x80000000, v12
	v_lshl_add_u32 v11, v11, 23, v13
	v_or3_b32 v10, v12, v11, v10
.LBB17_388:
	s_or_b64 exec, exec, s[6:7]
	s_movk_i32 s4, 0x7f
	v_cmp_gt_i16_sdwa s[6:7], v2, s4 src0_sel:BYTE_0 src1_sel:DWORD
	s_mov_b64 s[4:5], 0
                                        ; implicit-def: $sgpr10
	s_and_saveexec_b64 s[8:9], s[6:7]
	s_xor_b64 s[6:7], exec, s[8:9]
	s_cbranch_execnz .LBB17_2437
; %bb.389:
	s_or_saveexec_b64 s[6:7], s[6:7]
	v_mov_b32_e32 v11, s10
	s_xor_b64 exec, exec, s[6:7]
	s_cbranch_execnz .LBB17_2440
.LBB17_390:
	s_or_b64 exec, exec, s[6:7]
	s_and_saveexec_b64 s[6:7], s[4:5]
	s_cbranch_execz .LBB17_392
.LBB17_391:
	v_and_b32_e32 v11, 7, v2
	v_ffbh_u32_e32 v13, v11
	v_min_u32_e32 v13, 32, v13
	v_lshrrev_b16_e32 v12, 3, v2
	v_subrev_u32_e32 v14, 28, v13
	v_and_b32_e32 v12, 15, v12
	v_lshlrev_b32_e32 v14, v14, v2
	v_sub_u32_e32 v13, 29, v13
	v_and_b32_e32 v14, 7, v14
	v_cmp_eq_u16_e32 vcc, 0, v12
	v_cndmask_b32_e32 v11, v11, v14, vcc
	v_cndmask_b32_e32 v12, v12, v13, vcc
	v_lshlrev_b32_e32 v13, 24, v2
	v_mov_b32_e32 v14, 0x3b800000
	v_lshlrev_b32_e32 v11, 20, v11
	v_and_b32_e32 v13, 0x80000000, v13
	v_lshl_add_u32 v12, v12, 23, v14
	v_or3_b32 v11, v13, v12, v11
.LBB17_392:
	s_or_b64 exec, exec, s[6:7]
	s_nop 0
	v_mfma_f32_16x16x4f32 a[0:3], v10, v11, a[0:3]
	v_lshrrev_b32_e32 v11, 8, v6
	s_movk_i32 s4, 0x7f
	v_cmp_gt_i16_sdwa s[6:7], v11, s4 src0_sel:BYTE_0 src1_sel:DWORD
	s_mov_b64 s[4:5], 0
                                        ; implicit-def: $sgpr10
	s_and_saveexec_b64 s[8:9], s[6:7]
	s_xor_b64 s[6:7], exec, s[8:9]
	s_cbranch_execnz .LBB17_2441
; %bb.393:
	s_or_saveexec_b64 s[6:7], s[6:7]
	v_mov_b32_e32 v10, s10
	s_xor_b64 exec, exec, s[6:7]
	s_cbranch_execnz .LBB17_2444
.LBB17_394:
	s_or_b64 exec, exec, s[6:7]
	s_and_saveexec_b64 s[6:7], s[4:5]
	s_cbranch_execz .LBB17_396
.LBB17_395:
	v_bfe_u32 v10, v6, 8, 3
	v_ffbh_u32_e32 v13, v10
	v_min_u32_e32 v13, 32, v13
	v_lshrrev_b16_e32 v12, 3, v11
	v_subrev_u32_e32 v14, 28, v13
	v_and_b32_e32 v12, 15, v12
	v_lshlrev_b32_e32 v11, v14, v11
	v_sub_u32_e32 v13, 29, v13
	v_and_b32_e32 v11, 7, v11
	v_cmp_eq_u16_e32 vcc, 0, v12
	v_cndmask_b32_e32 v10, v10, v11, vcc
	v_cndmask_b32_e32 v11, v12, v13, vcc
	v_lshlrev_b32_e32 v12, 16, v6
	v_mov_b32_e32 v13, 0x3b800000
	v_lshlrev_b32_e32 v10, 20, v10
	v_and_b32_e32 v12, 0x80000000, v12
	v_lshl_add_u32 v11, v11, 23, v13
	v_or3_b32 v10, v12, v11, v10
.LBB17_396:
	s_or_b64 exec, exec, s[6:7]
	v_lshrrev_b32_e32 v11, 8, v2
	s_movk_i32 s4, 0x7f
	v_cmp_gt_i16_sdwa s[6:7], v11, s4 src0_sel:BYTE_0 src1_sel:DWORD
	s_mov_b64 s[4:5], 0
                                        ; implicit-def: $sgpr10
	s_and_saveexec_b64 s[8:9], s[6:7]
	s_xor_b64 s[6:7], exec, s[8:9]
	s_cbranch_execnz .LBB17_2445
; %bb.397:
	s_or_saveexec_b64 s[6:7], s[6:7]
	v_mov_b32_e32 v12, s10
	s_xor_b64 exec, exec, s[6:7]
	s_cbranch_execnz .LBB17_2448
.LBB17_398:
	s_or_b64 exec, exec, s[6:7]
	s_and_saveexec_b64 s[6:7], s[4:5]
	s_cbranch_execz .LBB17_400
.LBB17_399:
	v_bfe_u32 v12, v2, 8, 3
	v_ffbh_u32_e32 v14, v12
	v_min_u32_e32 v14, 32, v14
	v_lshrrev_b16_e32 v13, 3, v11
	v_subrev_u32_e32 v15, 28, v14
	v_and_b32_e32 v13, 15, v13
	v_lshlrev_b32_e32 v11, v15, v11
	v_sub_u32_e32 v14, 29, v14
	v_and_b32_e32 v11, 7, v11
	v_cmp_eq_u16_e32 vcc, 0, v13
	v_cndmask_b32_e32 v11, v12, v11, vcc
	v_cndmask_b32_e32 v12, v13, v14, vcc
	v_lshlrev_b32_e32 v13, 16, v2
	v_mov_b32_e32 v14, 0x3b800000
	v_lshlrev_b32_e32 v11, 20, v11
	v_and_b32_e32 v13, 0x80000000, v13
	v_lshl_add_u32 v12, v12, 23, v14
	v_or3_b32 v12, v13, v12, v11
.LBB17_400:
	s_or_b64 exec, exec, s[6:7]
	s_nop 0
	v_mfma_f32_16x16x4f32 a[0:3], v10, v12, a[0:3]
	s_movk_i32 s4, 0xff
	v_and_b32_sdwa v11, v6, s4 dst_sel:DWORD dst_unused:UNUSED_PAD src0_sel:WORD_1 src1_sel:DWORD
	s_movk_i32 s4, 0x7f
	v_cmp_lt_i16_e32 vcc, s4, v11
	s_mov_b64 s[4:5], 0
                                        ; implicit-def: $sgpr10
	s_and_saveexec_b64 s[6:7], vcc
	s_xor_b64 s[6:7], exec, s[6:7]
	s_cbranch_execnz .LBB17_2449
; %bb.401:
	s_or_saveexec_b64 s[6:7], s[6:7]
	v_mov_b32_e32 v10, s10
	s_xor_b64 exec, exec, s[6:7]
	s_cbranch_execnz .LBB17_2452
.LBB17_402:
	s_or_b64 exec, exec, s[6:7]
	s_and_saveexec_b64 s[6:7], s[4:5]
	s_cbranch_execz .LBB17_404
.LBB17_403:
	v_bfe_u32 v10, v6, 16, 3
	v_ffbh_u32_e32 v13, v10
	v_min_u32_e32 v13, 32, v13
	v_lshrrev_b32_e32 v11, 19, v6
	v_subrev_u32_e32 v14, 28, v13
	v_and_b32_e32 v11, 15, v11
	v_lshlrev_b32_sdwa v14, v14, v6 dst_sel:DWORD dst_unused:UNUSED_PAD src0_sel:DWORD src1_sel:WORD_1
	v_bfe_u32 v12, v6, 19, 4
	v_sub_u32_e32 v13, 29, v13
	v_and_b32_e32 v14, 7, v14
	v_cmp_eq_u16_e32 vcc, 0, v11
	v_cndmask_b32_e32 v10, v10, v14, vcc
	v_cndmask_b32_e32 v11, v12, v13, vcc
	v_lshlrev_b32_e32 v12, 8, v6
	v_mov_b32_e32 v13, 0x3b800000
	v_lshlrev_b32_e32 v10, 20, v10
	v_and_b32_e32 v12, 0x80000000, v12
	v_lshl_add_u32 v11, v11, 23, v13
	v_or3_b32 v10, v12, v11, v10
.LBB17_404:
	s_or_b64 exec, exec, s[6:7]
	s_movk_i32 s4, 0xff
	v_and_b32_sdwa v11, v2, s4 dst_sel:DWORD dst_unused:UNUSED_PAD src0_sel:WORD_1 src1_sel:DWORD
	s_movk_i32 s4, 0x7f
	v_cmp_lt_i16_e32 vcc, s4, v11
	s_mov_b64 s[4:5], 0
                                        ; implicit-def: $sgpr10
	s_and_saveexec_b64 s[6:7], vcc
	s_xor_b64 s[6:7], exec, s[6:7]
	s_cbranch_execnz .LBB17_2453
; %bb.405:
	s_or_saveexec_b64 s[6:7], s[6:7]
	v_mov_b32_e32 v12, s10
	s_xor_b64 exec, exec, s[6:7]
	s_cbranch_execnz .LBB17_2456
.LBB17_406:
	s_or_b64 exec, exec, s[6:7]
	s_and_saveexec_b64 s[6:7], s[4:5]
	s_cbranch_execz .LBB17_408
.LBB17_407:
	v_bfe_u32 v11, v2, 16, 3
	v_ffbh_u32_e32 v14, v11
	v_min_u32_e32 v14, 32, v14
	v_lshrrev_b32_e32 v12, 19, v2
	v_subrev_u32_e32 v15, 28, v14
	v_and_b32_e32 v12, 15, v12
	v_lshlrev_b32_sdwa v15, v15, v2 dst_sel:DWORD dst_unused:UNUSED_PAD src0_sel:DWORD src1_sel:WORD_1
	v_bfe_u32 v13, v2, 19, 4
	v_sub_u32_e32 v14, 29, v14
	v_and_b32_e32 v15, 7, v15
	v_cmp_eq_u16_e32 vcc, 0, v12
	v_cndmask_b32_e32 v11, v11, v15, vcc
	v_cndmask_b32_e32 v12, v13, v14, vcc
	v_lshlrev_b32_e32 v13, 8, v2
	v_mov_b32_e32 v14, 0x3b800000
	v_lshlrev_b32_e32 v11, 20, v11
	v_and_b32_e32 v13, 0x80000000, v13
	v_lshl_add_u32 v12, v12, 23, v14
	v_or3_b32 v12, v13, v12, v11
.LBB17_408:
	s_or_b64 exec, exec, s[6:7]
	s_nop 0
	v_mfma_f32_16x16x4f32 a[0:3], v10, v12, a[0:3]
	s_movk_i32 s4, 0x7f
	v_cmp_gt_i16_sdwa s[6:7], v6, s4 src0_sel:BYTE_3 src1_sel:DWORD
	s_mov_b64 s[4:5], 0
                                        ; implicit-def: $sgpr10
	s_and_saveexec_b64 s[8:9], s[6:7]
	s_xor_b64 s[6:7], exec, s[8:9]
	s_cbranch_execnz .LBB17_2457
; %bb.409:
	s_or_saveexec_b64 s[6:7], s[6:7]
	v_mov_b32_e32 v10, s10
	s_xor_b64 exec, exec, s[6:7]
	s_cbranch_execnz .LBB17_2460
.LBB17_410:
	s_or_b64 exec, exec, s[6:7]
	s_and_saveexec_b64 s[6:7], s[4:5]
	s_cbranch_execz .LBB17_412
.LBB17_411:
	v_bfe_u32 v10, v6, 24, 3
	v_ffbh_u32_e32 v14, v10
	v_min_u32_e32 v14, 32, v14
	v_lshrrev_b32_e32 v12, 27, v6
	v_subrev_u32_e32 v15, 28, v14
	v_and_b32_e32 v11, 0x80000000, v6
	v_and_b32_e32 v12, 15, v12
	v_bfe_u32 v13, v6, 27, 4
	v_lshlrev_b32_sdwa v6, v15, v6 dst_sel:DWORD dst_unused:UNUSED_PAD src0_sel:DWORD src1_sel:BYTE_3
	v_sub_u32_e32 v14, 29, v14
	v_and_b32_e32 v6, 7, v6
	v_cmp_eq_u16_e32 vcc, 0, v12
	v_cndmask_b32_e32 v6, v10, v6, vcc
	v_cndmask_b32_e32 v10, v13, v14, vcc
	v_mov_b32_e32 v12, 0x3b800000
	v_lshlrev_b32_e32 v6, 20, v6
	v_lshl_add_u32 v10, v10, 23, v12
	v_or3_b32 v10, v11, v10, v6
.LBB17_412:
	s_or_b64 exec, exec, s[6:7]
	s_movk_i32 s4, 0x7f
	v_cmp_gt_i16_sdwa s[6:7], v2, s4 src0_sel:BYTE_3 src1_sel:DWORD
	s_mov_b64 s[4:5], 0
                                        ; implicit-def: $sgpr10
	s_and_saveexec_b64 s[8:9], s[6:7]
	s_xor_b64 s[6:7], exec, s[8:9]
	s_cbranch_execnz .LBB17_2461
; %bb.413:
	s_or_saveexec_b64 s[6:7], s[6:7]
	v_mov_b32_e32 v6, s10
	s_xor_b64 exec, exec, s[6:7]
	s_cbranch_execnz .LBB17_2464
.LBB17_414:
	s_or_b64 exec, exec, s[6:7]
	s_and_saveexec_b64 s[6:7], s[4:5]
	s_cbranch_execz .LBB17_416
.LBB17_415:
	v_bfe_u32 v6, v2, 24, 3
	v_ffbh_u32_e32 v14, v6
	v_min_u32_e32 v14, 32, v14
	v_lshrrev_b32_e32 v12, 27, v2
	v_subrev_u32_e32 v15, 28, v14
	v_and_b32_e32 v11, 0x80000000, v2
	v_and_b32_e32 v12, 15, v12
	v_bfe_u32 v13, v2, 27, 4
	v_lshlrev_b32_sdwa v2, v15, v2 dst_sel:DWORD dst_unused:UNUSED_PAD src0_sel:DWORD src1_sel:BYTE_3
	v_sub_u32_e32 v14, 29, v14
	v_and_b32_e32 v2, 7, v2
	v_cmp_eq_u16_e32 vcc, 0, v12
	v_cndmask_b32_e32 v2, v6, v2, vcc
	v_cndmask_b32_e32 v6, v13, v14, vcc
	v_mov_b32_e32 v12, 0x3b800000
	v_lshlrev_b32_e32 v2, 20, v2
	v_lshl_add_u32 v6, v6, 23, v12
	v_or3_b32 v6, v11, v6, v2
.LBB17_416:
	s_or_b64 exec, exec, s[6:7]
	s_nop 0
	v_mfma_f32_16x16x4f32 a[0:3], v10, v6, a[0:3]
	s_movk_i32 s4, 0x7f
	v_cmp_gt_i16_sdwa s[6:7], v7, s4 src0_sel:BYTE_0 src1_sel:DWORD
	s_mov_b64 s[4:5], 0
                                        ; implicit-def: $sgpr10
	s_and_saveexec_b64 s[8:9], s[6:7]
	s_xor_b64 s[6:7], exec, s[8:9]
	s_cbranch_execnz .LBB17_2465
; %bb.417:
	s_or_saveexec_b64 s[6:7], s[6:7]
	v_mov_b32_e32 v2, s10
	s_xor_b64 exec, exec, s[6:7]
	s_cbranch_execnz .LBB17_2468
.LBB17_418:
	s_or_b64 exec, exec, s[6:7]
	s_and_saveexec_b64 s[6:7], s[4:5]
	s_cbranch_execz .LBB17_420
.LBB17_419:
	v_and_b32_e32 v2, 7, v7
	v_ffbh_u32_e32 v10, v2
	v_min_u32_e32 v10, 32, v10
	v_lshrrev_b16_e32 v6, 3, v7
	v_subrev_u32_e32 v11, 28, v10
	v_and_b32_e32 v6, 15, v6
	v_lshlrev_b32_e32 v11, v11, v7
	v_sub_u32_e32 v10, 29, v10
	v_and_b32_e32 v11, 7, v11
	v_cmp_eq_u16_e32 vcc, 0, v6
	v_cndmask_b32_e32 v2, v2, v11, vcc
	v_cndmask_b32_e32 v6, v6, v10, vcc
	v_lshlrev_b32_e32 v10, 24, v7
	v_mov_b32_e32 v11, 0x3b800000
	v_lshlrev_b32_e32 v2, 20, v2
	v_and_b32_e32 v10, 0x80000000, v10
	v_lshl_add_u32 v6, v6, 23, v11
	v_or3_b32 v2, v10, v6, v2
.LBB17_420:
	s_or_b64 exec, exec, s[6:7]
	s_movk_i32 s4, 0x7f
	v_cmp_gt_i16_sdwa s[6:7], v3, s4 src0_sel:BYTE_0 src1_sel:DWORD
	s_mov_b64 s[4:5], 0
                                        ; implicit-def: $sgpr10
	s_and_saveexec_b64 s[8:9], s[6:7]
	s_xor_b64 s[6:7], exec, s[8:9]
	s_cbranch_execnz .LBB17_2469
; %bb.421:
	s_or_saveexec_b64 s[6:7], s[6:7]
	v_mov_b32_e32 v6, s10
	s_xor_b64 exec, exec, s[6:7]
	s_cbranch_execnz .LBB17_2472
.LBB17_422:
	s_or_b64 exec, exec, s[6:7]
	s_and_saveexec_b64 s[6:7], s[4:5]
	s_cbranch_execz .LBB17_424
.LBB17_423:
	v_and_b32_e32 v6, 7, v3
	v_ffbh_u32_e32 v11, v6
	v_min_u32_e32 v11, 32, v11
	v_lshrrev_b16_e32 v10, 3, v3
	v_subrev_u32_e32 v12, 28, v11
	v_and_b32_e32 v10, 15, v10
	v_lshlrev_b32_e32 v12, v12, v3
	v_sub_u32_e32 v11, 29, v11
	v_and_b32_e32 v12, 7, v12
	v_cmp_eq_u16_e32 vcc, 0, v10
	v_cndmask_b32_e32 v6, v6, v12, vcc
	v_cndmask_b32_e32 v10, v10, v11, vcc
	v_lshlrev_b32_e32 v11, 24, v3
	v_mov_b32_e32 v12, 0x3b800000
	v_lshlrev_b32_e32 v6, 20, v6
	v_and_b32_e32 v11, 0x80000000, v11
	v_lshl_add_u32 v10, v10, 23, v12
	v_or3_b32 v6, v11, v10, v6
.LBB17_424:
	s_or_b64 exec, exec, s[6:7]
	s_nop 0
	v_mfma_f32_16x16x4f32 a[0:3], v2, v6, a[0:3]
	v_lshrrev_b32_e32 v6, 8, v7
	s_movk_i32 s4, 0x7f
	v_cmp_gt_i16_sdwa s[6:7], v6, s4 src0_sel:BYTE_0 src1_sel:DWORD
	s_mov_b64 s[4:5], 0
                                        ; implicit-def: $sgpr10
	s_and_saveexec_b64 s[8:9], s[6:7]
	s_xor_b64 s[6:7], exec, s[8:9]
	s_cbranch_execnz .LBB17_2473
; %bb.425:
	s_or_saveexec_b64 s[6:7], s[6:7]
	v_mov_b32_e32 v2, s10
	s_xor_b64 exec, exec, s[6:7]
	s_cbranch_execnz .LBB17_2476
.LBB17_426:
	s_or_b64 exec, exec, s[6:7]
	s_and_saveexec_b64 s[6:7], s[4:5]
	s_cbranch_execz .LBB17_428
.LBB17_427:
	v_bfe_u32 v2, v7, 8, 3
	v_ffbh_u32_e32 v11, v2
	v_min_u32_e32 v11, 32, v11
	v_lshrrev_b16_e32 v10, 3, v6
	v_subrev_u32_e32 v12, 28, v11
	v_and_b32_e32 v10, 15, v10
	v_lshlrev_b32_e32 v6, v12, v6
	v_sub_u32_e32 v11, 29, v11
	v_and_b32_e32 v6, 7, v6
	v_cmp_eq_u16_e32 vcc, 0, v10
	v_cndmask_b32_e32 v2, v2, v6, vcc
	v_cndmask_b32_e32 v6, v10, v11, vcc
	v_lshlrev_b32_e32 v10, 16, v7
	v_mov_b32_e32 v11, 0x3b800000
	v_lshlrev_b32_e32 v2, 20, v2
	v_and_b32_e32 v10, 0x80000000, v10
	v_lshl_add_u32 v6, v6, 23, v11
	v_or3_b32 v2, v10, v6, v2
.LBB17_428:
	s_or_b64 exec, exec, s[6:7]
	v_lshrrev_b32_e32 v6, 8, v3
	s_movk_i32 s4, 0x7f
	v_cmp_gt_i16_sdwa s[6:7], v6, s4 src0_sel:BYTE_0 src1_sel:DWORD
	s_mov_b64 s[4:5], 0
                                        ; implicit-def: $sgpr10
	s_and_saveexec_b64 s[8:9], s[6:7]
	s_xor_b64 s[6:7], exec, s[8:9]
	s_cbranch_execnz .LBB17_2477
; %bb.429:
	s_or_saveexec_b64 s[6:7], s[6:7]
	v_mov_b32_e32 v10, s10
	s_xor_b64 exec, exec, s[6:7]
	s_cbranch_execnz .LBB17_2480
.LBB17_430:
	s_or_b64 exec, exec, s[6:7]
	s_and_saveexec_b64 s[6:7], s[4:5]
	s_cbranch_execz .LBB17_432
.LBB17_431:
	v_bfe_u32 v10, v3, 8, 3
	v_ffbh_u32_e32 v12, v10
	v_min_u32_e32 v12, 32, v12
	v_lshrrev_b16_e32 v11, 3, v6
	v_subrev_u32_e32 v13, 28, v12
	v_and_b32_e32 v11, 15, v11
	v_lshlrev_b32_e32 v6, v13, v6
	v_sub_u32_e32 v12, 29, v12
	v_and_b32_e32 v6, 7, v6
	v_cmp_eq_u16_e32 vcc, 0, v11
	v_cndmask_b32_e32 v6, v10, v6, vcc
	v_cndmask_b32_e32 v10, v11, v12, vcc
	v_lshlrev_b32_e32 v11, 16, v3
	v_mov_b32_e32 v12, 0x3b800000
	v_lshlrev_b32_e32 v6, 20, v6
	v_and_b32_e32 v11, 0x80000000, v11
	v_lshl_add_u32 v10, v10, 23, v12
	v_or3_b32 v10, v11, v10, v6
.LBB17_432:
	s_or_b64 exec, exec, s[6:7]
	s_nop 0
	v_mfma_f32_16x16x4f32 a[0:3], v2, v10, a[0:3]
	s_movk_i32 s4, 0xff
	v_and_b32_sdwa v6, v7, s4 dst_sel:DWORD dst_unused:UNUSED_PAD src0_sel:WORD_1 src1_sel:DWORD
	s_movk_i32 s4, 0x7f
	v_cmp_lt_i16_e32 vcc, s4, v6
	s_mov_b64 s[4:5], 0
                                        ; implicit-def: $sgpr10
	s_and_saveexec_b64 s[6:7], vcc
	s_xor_b64 s[6:7], exec, s[6:7]
	s_cbranch_execnz .LBB17_2481
; %bb.433:
	s_or_saveexec_b64 s[6:7], s[6:7]
	v_mov_b32_e32 v2, s10
	s_xor_b64 exec, exec, s[6:7]
	s_cbranch_execnz .LBB17_2484
.LBB17_434:
	s_or_b64 exec, exec, s[6:7]
	s_and_saveexec_b64 s[6:7], s[4:5]
	s_cbranch_execz .LBB17_436
.LBB17_435:
	v_bfe_u32 v2, v7, 16, 3
	v_ffbh_u32_e32 v11, v2
	v_min_u32_e32 v11, 32, v11
	v_lshrrev_b32_e32 v6, 19, v7
	v_subrev_u32_e32 v12, 28, v11
	v_and_b32_e32 v6, 15, v6
	v_lshlrev_b32_sdwa v12, v12, v7 dst_sel:DWORD dst_unused:UNUSED_PAD src0_sel:DWORD src1_sel:WORD_1
	v_bfe_u32 v10, v7, 19, 4
	v_sub_u32_e32 v11, 29, v11
	v_and_b32_e32 v12, 7, v12
	v_cmp_eq_u16_e32 vcc, 0, v6
	v_cndmask_b32_e32 v2, v2, v12, vcc
	v_cndmask_b32_e32 v6, v10, v11, vcc
	v_lshlrev_b32_e32 v10, 8, v7
	v_mov_b32_e32 v11, 0x3b800000
	v_lshlrev_b32_e32 v2, 20, v2
	v_and_b32_e32 v10, 0x80000000, v10
	v_lshl_add_u32 v6, v6, 23, v11
	v_or3_b32 v2, v10, v6, v2
.LBB17_436:
	s_or_b64 exec, exec, s[6:7]
	s_movk_i32 s4, 0xff
	v_and_b32_sdwa v6, v3, s4 dst_sel:DWORD dst_unused:UNUSED_PAD src0_sel:WORD_1 src1_sel:DWORD
	s_movk_i32 s4, 0x7f
	v_cmp_lt_i16_e32 vcc, s4, v6
	s_mov_b64 s[4:5], 0
                                        ; implicit-def: $sgpr10
	s_and_saveexec_b64 s[6:7], vcc
	s_xor_b64 s[6:7], exec, s[6:7]
	s_cbranch_execnz .LBB17_2485
; %bb.437:
	s_or_saveexec_b64 s[6:7], s[6:7]
	v_mov_b32_e32 v10, s10
	s_xor_b64 exec, exec, s[6:7]
	s_cbranch_execnz .LBB17_2488
.LBB17_438:
	s_or_b64 exec, exec, s[6:7]
	s_and_saveexec_b64 s[6:7], s[4:5]
	s_cbranch_execz .LBB17_440
.LBB17_439:
	v_bfe_u32 v6, v3, 16, 3
	v_ffbh_u32_e32 v12, v6
	v_min_u32_e32 v12, 32, v12
	v_lshrrev_b32_e32 v10, 19, v3
	v_subrev_u32_e32 v13, 28, v12
	v_and_b32_e32 v10, 15, v10
	v_lshlrev_b32_sdwa v13, v13, v3 dst_sel:DWORD dst_unused:UNUSED_PAD src0_sel:DWORD src1_sel:WORD_1
	v_bfe_u32 v11, v3, 19, 4
	v_sub_u32_e32 v12, 29, v12
	v_and_b32_e32 v13, 7, v13
	v_cmp_eq_u16_e32 vcc, 0, v10
	v_cndmask_b32_e32 v6, v6, v13, vcc
	v_cndmask_b32_e32 v10, v11, v12, vcc
	v_lshlrev_b32_e32 v11, 8, v3
	v_mov_b32_e32 v12, 0x3b800000
	v_lshlrev_b32_e32 v6, 20, v6
	v_and_b32_e32 v11, 0x80000000, v11
	v_lshl_add_u32 v10, v10, 23, v12
	v_or3_b32 v10, v11, v10, v6
.LBB17_440:
	s_or_b64 exec, exec, s[6:7]
	s_nop 0
	v_mfma_f32_16x16x4f32 a[0:3], v2, v10, a[0:3]
	s_movk_i32 s4, 0x7f
	v_cmp_gt_i16_sdwa s[6:7], v7, s4 src0_sel:BYTE_3 src1_sel:DWORD
	s_mov_b64 s[4:5], 0
                                        ; implicit-def: $sgpr10
	s_and_saveexec_b64 s[8:9], s[6:7]
	s_xor_b64 s[6:7], exec, s[8:9]
	s_cbranch_execnz .LBB17_2489
; %bb.441:
	s_or_saveexec_b64 s[6:7], s[6:7]
	v_mov_b32_e32 v2, s10
	s_xor_b64 exec, exec, s[6:7]
	s_cbranch_execnz .LBB17_2492
.LBB17_442:
	s_or_b64 exec, exec, s[6:7]
	s_and_saveexec_b64 s[6:7], s[4:5]
	s_cbranch_execz .LBB17_444
.LBB17_443:
	v_bfe_u32 v2, v7, 24, 3
	v_ffbh_u32_e32 v12, v2
	v_min_u32_e32 v12, 32, v12
	v_lshrrev_b32_e32 v10, 27, v7
	v_subrev_u32_e32 v13, 28, v12
	v_and_b32_e32 v6, 0x80000000, v7
	v_and_b32_e32 v10, 15, v10
	v_bfe_u32 v11, v7, 27, 4
	v_lshlrev_b32_sdwa v7, v13, v7 dst_sel:DWORD dst_unused:UNUSED_PAD src0_sel:DWORD src1_sel:BYTE_3
	v_sub_u32_e32 v12, 29, v12
	v_and_b32_e32 v7, 7, v7
	v_cmp_eq_u16_e32 vcc, 0, v10
	v_cndmask_b32_e32 v2, v2, v7, vcc
	v_cndmask_b32_e32 v7, v11, v12, vcc
	v_mov_b32_e32 v10, 0x3b800000
	v_lshlrev_b32_e32 v2, 20, v2
	v_lshl_add_u32 v7, v7, 23, v10
	v_or3_b32 v2, v6, v7, v2
.LBB17_444:
	s_or_b64 exec, exec, s[6:7]
	s_movk_i32 s4, 0x7f
	v_cmp_gt_i16_sdwa s[6:7], v3, s4 src0_sel:BYTE_3 src1_sel:DWORD
	s_mov_b64 s[4:5], 0
                                        ; implicit-def: $sgpr10
	s_and_saveexec_b64 s[8:9], s[6:7]
	s_xor_b64 s[6:7], exec, s[8:9]
	s_cbranch_execnz .LBB17_2493
; %bb.445:
	s_or_saveexec_b64 s[6:7], s[6:7]
	v_mov_b32_e32 v6, s10
	s_xor_b64 exec, exec, s[6:7]
	s_cbranch_execnz .LBB17_2496
.LBB17_446:
	s_or_b64 exec, exec, s[6:7]
	s_and_saveexec_b64 s[6:7], s[4:5]
	s_cbranch_execz .LBB17_448
.LBB17_447:
	v_bfe_u32 v6, v3, 24, 3
	v_ffbh_u32_e32 v12, v6
	v_min_u32_e32 v12, 32, v12
	v_lshrrev_b32_e32 v10, 27, v3
	v_subrev_u32_e32 v13, 28, v12
	v_and_b32_e32 v7, 0x80000000, v3
	v_and_b32_e32 v10, 15, v10
	v_bfe_u32 v11, v3, 27, 4
	v_lshlrev_b32_sdwa v3, v13, v3 dst_sel:DWORD dst_unused:UNUSED_PAD src0_sel:DWORD src1_sel:BYTE_3
	v_sub_u32_e32 v12, 29, v12
	v_and_b32_e32 v3, 7, v3
	v_cmp_eq_u16_e32 vcc, 0, v10
	v_cndmask_b32_e32 v3, v6, v3, vcc
	v_cndmask_b32_e32 v6, v11, v12, vcc
	v_mov_b32_e32 v10, 0x3b800000
	v_lshlrev_b32_e32 v3, 20, v3
	v_lshl_add_u32 v6, v6, 23, v10
	v_or3_b32 v6, v7, v6, v3
.LBB17_448:
	s_or_b64 exec, exec, s[6:7]
	s_nop 0
	v_mfma_f32_16x16x4f32 a[0:3], v2, v6, a[0:3]
	s_movk_i32 s4, 0x7f
	v_cmp_gt_i16_sdwa s[6:7], v8, s4 src0_sel:BYTE_0 src1_sel:DWORD
	s_mov_b64 s[4:5], 0
                                        ; implicit-def: $sgpr10
	s_and_saveexec_b64 s[8:9], s[6:7]
	s_xor_b64 s[6:7], exec, s[8:9]
	s_cbranch_execnz .LBB17_2497
; %bb.449:
	s_or_saveexec_b64 s[6:7], s[6:7]
	v_mov_b32_e32 v2, s10
	s_xor_b64 exec, exec, s[6:7]
	s_cbranch_execnz .LBB17_2500
.LBB17_450:
	s_or_b64 exec, exec, s[6:7]
	s_and_saveexec_b64 s[6:7], s[4:5]
	s_cbranch_execz .LBB17_452
.LBB17_451:
	v_and_b32_e32 v2, 7, v8
	v_ffbh_u32_e32 v6, v2
	v_min_u32_e32 v6, 32, v6
	v_lshrrev_b16_e32 v3, 3, v8
	v_subrev_u32_e32 v7, 28, v6
	v_and_b32_e32 v3, 15, v3
	v_lshlrev_b32_e32 v7, v7, v8
	v_sub_u32_e32 v6, 29, v6
	v_and_b32_e32 v7, 7, v7
	v_cmp_eq_u16_e32 vcc, 0, v3
	v_cndmask_b32_e32 v2, v2, v7, vcc
	v_cndmask_b32_e32 v3, v3, v6, vcc
	v_lshlrev_b32_e32 v6, 24, v8
	v_mov_b32_e32 v7, 0x3b800000
	v_lshlrev_b32_e32 v2, 20, v2
	v_and_b32_e32 v6, 0x80000000, v6
	v_lshl_add_u32 v3, v3, 23, v7
	v_or3_b32 v2, v6, v3, v2
.LBB17_452:
	s_or_b64 exec, exec, s[6:7]
	s_movk_i32 s4, 0x7f
	v_cmp_gt_i16_sdwa s[6:7], v4, s4 src0_sel:BYTE_0 src1_sel:DWORD
	s_mov_b64 s[4:5], 0
                                        ; implicit-def: $sgpr10
	s_and_saveexec_b64 s[8:9], s[6:7]
	s_xor_b64 s[6:7], exec, s[8:9]
	s_cbranch_execnz .LBB17_2501
; %bb.453:
	s_or_saveexec_b64 s[6:7], s[6:7]
	v_mov_b32_e32 v3, s10
	s_xor_b64 exec, exec, s[6:7]
	s_cbranch_execnz .LBB17_2504
.LBB17_454:
	s_or_b64 exec, exec, s[6:7]
	s_and_saveexec_b64 s[6:7], s[4:5]
	s_cbranch_execz .LBB17_456
.LBB17_455:
	v_and_b32_e32 v3, 7, v4
	v_ffbh_u32_e32 v7, v3
	v_min_u32_e32 v7, 32, v7
	v_lshrrev_b16_e32 v6, 3, v4
	v_subrev_u32_e32 v10, 28, v7
	v_and_b32_e32 v6, 15, v6
	v_lshlrev_b32_e32 v10, v10, v4
	v_sub_u32_e32 v7, 29, v7
	v_and_b32_e32 v10, 7, v10
	v_cmp_eq_u16_e32 vcc, 0, v6
	v_cndmask_b32_e32 v3, v3, v10, vcc
	v_cndmask_b32_e32 v6, v6, v7, vcc
	v_lshlrev_b32_e32 v7, 24, v4
	v_mov_b32_e32 v10, 0x3b800000
	v_lshlrev_b32_e32 v3, 20, v3
	v_and_b32_e32 v7, 0x80000000, v7
	v_lshl_add_u32 v6, v6, 23, v10
	v_or3_b32 v3, v7, v6, v3
.LBB17_456:
	s_or_b64 exec, exec, s[6:7]
	s_nop 0
	v_mfma_f32_16x16x4f32 a[0:3], v2, v3, a[0:3]
	v_lshrrev_b32_e32 v3, 8, v8
	s_movk_i32 s4, 0x7f
	v_cmp_gt_i16_sdwa s[6:7], v3, s4 src0_sel:BYTE_0 src1_sel:DWORD
	s_mov_b64 s[4:5], 0
                                        ; implicit-def: $sgpr10
	s_and_saveexec_b64 s[8:9], s[6:7]
	s_xor_b64 s[6:7], exec, s[8:9]
	s_cbranch_execnz .LBB17_2505
; %bb.457:
	s_or_saveexec_b64 s[6:7], s[6:7]
	v_mov_b32_e32 v2, s10
	s_xor_b64 exec, exec, s[6:7]
	s_cbranch_execnz .LBB17_2508
.LBB17_458:
	s_or_b64 exec, exec, s[6:7]
	s_and_saveexec_b64 s[6:7], s[4:5]
	s_cbranch_execz .LBB17_460
.LBB17_459:
	v_bfe_u32 v2, v8, 8, 3
	v_ffbh_u32_e32 v7, v2
	v_min_u32_e32 v7, 32, v7
	v_lshrrev_b16_e32 v6, 3, v3
	v_subrev_u32_e32 v10, 28, v7
	v_and_b32_e32 v6, 15, v6
	v_lshlrev_b32_e32 v3, v10, v3
	v_sub_u32_e32 v7, 29, v7
	v_and_b32_e32 v3, 7, v3
	v_cmp_eq_u16_e32 vcc, 0, v6
	v_cndmask_b32_e32 v2, v2, v3, vcc
	v_cndmask_b32_e32 v3, v6, v7, vcc
	v_lshlrev_b32_e32 v6, 16, v8
	v_mov_b32_e32 v7, 0x3b800000
	v_lshlrev_b32_e32 v2, 20, v2
	v_and_b32_e32 v6, 0x80000000, v6
	v_lshl_add_u32 v3, v3, 23, v7
	v_or3_b32 v2, v6, v3, v2
.LBB17_460:
	s_or_b64 exec, exec, s[6:7]
	v_lshrrev_b32_e32 v3, 8, v4
	s_movk_i32 s4, 0x7f
	v_cmp_gt_i16_sdwa s[6:7], v3, s4 src0_sel:BYTE_0 src1_sel:DWORD
	s_mov_b64 s[4:5], 0
                                        ; implicit-def: $sgpr10
	s_and_saveexec_b64 s[8:9], s[6:7]
	s_xor_b64 s[6:7], exec, s[8:9]
	s_cbranch_execnz .LBB17_2509
; %bb.461:
	s_or_saveexec_b64 s[6:7], s[6:7]
	v_mov_b32_e32 v6, s10
	s_xor_b64 exec, exec, s[6:7]
	s_cbranch_execnz .LBB17_2512
.LBB17_462:
	s_or_b64 exec, exec, s[6:7]
	s_and_saveexec_b64 s[6:7], s[4:5]
	s_cbranch_execz .LBB17_464
.LBB17_463:
	v_bfe_u32 v6, v4, 8, 3
	v_ffbh_u32_e32 v10, v6
	v_min_u32_e32 v10, 32, v10
	v_lshrrev_b16_e32 v7, 3, v3
	v_subrev_u32_e32 v11, 28, v10
	v_and_b32_e32 v7, 15, v7
	v_lshlrev_b32_e32 v3, v11, v3
	v_sub_u32_e32 v10, 29, v10
	v_and_b32_e32 v3, 7, v3
	v_cmp_eq_u16_e32 vcc, 0, v7
	v_cndmask_b32_e32 v3, v6, v3, vcc
	v_cndmask_b32_e32 v6, v7, v10, vcc
	v_lshlrev_b32_e32 v7, 16, v4
	v_mov_b32_e32 v10, 0x3b800000
	v_lshlrev_b32_e32 v3, 20, v3
	v_and_b32_e32 v7, 0x80000000, v7
	v_lshl_add_u32 v6, v6, 23, v10
	v_or3_b32 v6, v7, v6, v3
.LBB17_464:
	s_or_b64 exec, exec, s[6:7]
	s_nop 0
	v_mfma_f32_16x16x4f32 a[0:3], v2, v6, a[0:3]
	s_movk_i32 s4, 0xff
	v_and_b32_sdwa v3, v8, s4 dst_sel:DWORD dst_unused:UNUSED_PAD src0_sel:WORD_1 src1_sel:DWORD
	s_movk_i32 s4, 0x7f
	v_cmp_lt_i16_e32 vcc, s4, v3
	s_mov_b64 s[4:5], 0
                                        ; implicit-def: $sgpr10
	s_and_saveexec_b64 s[6:7], vcc
	s_xor_b64 s[6:7], exec, s[6:7]
	s_cbranch_execnz .LBB17_2513
; %bb.465:
	s_or_saveexec_b64 s[6:7], s[6:7]
	v_mov_b32_e32 v2, s10
	s_xor_b64 exec, exec, s[6:7]
	s_cbranch_execnz .LBB17_2516
.LBB17_466:
	s_or_b64 exec, exec, s[6:7]
	s_and_saveexec_b64 s[6:7], s[4:5]
	s_cbranch_execz .LBB17_468
.LBB17_467:
	v_bfe_u32 v2, v8, 16, 3
	v_ffbh_u32_e32 v7, v2
	v_min_u32_e32 v7, 32, v7
	v_lshrrev_b32_e32 v3, 19, v8
	v_subrev_u32_e32 v10, 28, v7
	v_and_b32_e32 v3, 15, v3
	v_lshlrev_b32_sdwa v10, v10, v8 dst_sel:DWORD dst_unused:UNUSED_PAD src0_sel:DWORD src1_sel:WORD_1
	v_bfe_u32 v6, v8, 19, 4
	v_sub_u32_e32 v7, 29, v7
	v_and_b32_e32 v10, 7, v10
	v_cmp_eq_u16_e32 vcc, 0, v3
	v_cndmask_b32_e32 v2, v2, v10, vcc
	v_cndmask_b32_e32 v3, v6, v7, vcc
	v_lshlrev_b32_e32 v6, 8, v8
	v_mov_b32_e32 v7, 0x3b800000
	v_lshlrev_b32_e32 v2, 20, v2
	v_and_b32_e32 v6, 0x80000000, v6
	v_lshl_add_u32 v3, v3, 23, v7
	v_or3_b32 v2, v6, v3, v2
.LBB17_468:
	s_or_b64 exec, exec, s[6:7]
	s_movk_i32 s4, 0xff
	v_and_b32_sdwa v3, v4, s4 dst_sel:DWORD dst_unused:UNUSED_PAD src0_sel:WORD_1 src1_sel:DWORD
	s_movk_i32 s4, 0x7f
	v_cmp_lt_i16_e32 vcc, s4, v3
	s_mov_b64 s[4:5], 0
                                        ; implicit-def: $sgpr10
	s_and_saveexec_b64 s[6:7], vcc
	s_xor_b64 s[6:7], exec, s[6:7]
	s_cbranch_execnz .LBB17_2517
; %bb.469:
	s_or_saveexec_b64 s[6:7], s[6:7]
	v_mov_b32_e32 v6, s10
	s_xor_b64 exec, exec, s[6:7]
	s_cbranch_execnz .LBB17_2520
.LBB17_470:
	s_or_b64 exec, exec, s[6:7]
	s_and_saveexec_b64 s[6:7], s[4:5]
	s_cbranch_execz .LBB17_472
.LBB17_471:
	v_bfe_u32 v3, v4, 16, 3
	v_ffbh_u32_e32 v10, v3
	v_min_u32_e32 v10, 32, v10
	v_lshrrev_b32_e32 v6, 19, v4
	v_subrev_u32_e32 v11, 28, v10
	v_and_b32_e32 v6, 15, v6
	v_lshlrev_b32_sdwa v11, v11, v4 dst_sel:DWORD dst_unused:UNUSED_PAD src0_sel:DWORD src1_sel:WORD_1
	v_bfe_u32 v7, v4, 19, 4
	v_sub_u32_e32 v10, 29, v10
	v_and_b32_e32 v11, 7, v11
	v_cmp_eq_u16_e32 vcc, 0, v6
	v_cndmask_b32_e32 v3, v3, v11, vcc
	v_cndmask_b32_e32 v6, v7, v10, vcc
	v_lshlrev_b32_e32 v7, 8, v4
	v_mov_b32_e32 v10, 0x3b800000
	v_lshlrev_b32_e32 v3, 20, v3
	v_and_b32_e32 v7, 0x80000000, v7
	v_lshl_add_u32 v6, v6, 23, v10
	v_or3_b32 v6, v7, v6, v3
.LBB17_472:
	s_or_b64 exec, exec, s[6:7]
	s_nop 0
	v_mfma_f32_16x16x4f32 a[0:3], v2, v6, a[0:3]
	s_movk_i32 s4, 0x7f
	v_cmp_gt_i16_sdwa s[6:7], v8, s4 src0_sel:BYTE_3 src1_sel:DWORD
	s_mov_b64 s[4:5], 0
                                        ; implicit-def: $sgpr10
	s_and_saveexec_b64 s[8:9], s[6:7]
	s_xor_b64 s[6:7], exec, s[8:9]
	s_cbranch_execnz .LBB17_2521
; %bb.473:
	s_or_saveexec_b64 s[6:7], s[6:7]
	v_mov_b32_e32 v2, s10
	s_xor_b64 exec, exec, s[6:7]
	s_cbranch_execnz .LBB17_2524
.LBB17_474:
	s_or_b64 exec, exec, s[6:7]
	s_and_saveexec_b64 s[6:7], s[4:5]
	s_cbranch_execz .LBB17_476
.LBB17_475:
	v_bfe_u32 v2, v8, 24, 3
	v_ffbh_u32_e32 v10, v2
	v_min_u32_e32 v10, 32, v10
	v_lshrrev_b32_e32 v6, 27, v8
	v_subrev_u32_e32 v11, 28, v10
	v_and_b32_e32 v3, 0x80000000, v8
	v_and_b32_e32 v6, 15, v6
	v_bfe_u32 v7, v8, 27, 4
	v_lshlrev_b32_sdwa v8, v11, v8 dst_sel:DWORD dst_unused:UNUSED_PAD src0_sel:DWORD src1_sel:BYTE_3
	v_sub_u32_e32 v10, 29, v10
	v_and_b32_e32 v8, 7, v8
	v_cmp_eq_u16_e32 vcc, 0, v6
	v_cndmask_b32_e32 v2, v2, v8, vcc
	v_cndmask_b32_e32 v6, v7, v10, vcc
	v_mov_b32_e32 v7, 0x3b800000
	v_lshlrev_b32_e32 v2, 20, v2
	v_lshl_add_u32 v6, v6, 23, v7
	v_or3_b32 v2, v3, v6, v2
.LBB17_476:
	s_or_b64 exec, exec, s[6:7]
	s_movk_i32 s4, 0x7f
	v_cmp_gt_i16_sdwa s[6:7], v4, s4 src0_sel:BYTE_3 src1_sel:DWORD
	s_mov_b64 s[4:5], 0
                                        ; implicit-def: $sgpr10
	s_and_saveexec_b64 s[8:9], s[6:7]
	s_xor_b64 s[6:7], exec, s[8:9]
	s_cbranch_execnz .LBB17_2525
; %bb.477:
	s_or_saveexec_b64 s[6:7], s[6:7]
	v_mov_b32_e32 v3, s10
	s_xor_b64 exec, exec, s[6:7]
	s_cbranch_execnz .LBB17_2528
.LBB17_478:
	s_or_b64 exec, exec, s[6:7]
	s_and_saveexec_b64 s[6:7], s[4:5]
	s_cbranch_execz .LBB17_480
.LBB17_479:
	v_bfe_u32 v3, v4, 24, 3
	v_ffbh_u32_e32 v10, v3
	v_min_u32_e32 v10, 32, v10
	v_lshrrev_b32_e32 v7, 27, v4
	v_subrev_u32_e32 v11, 28, v10
	v_and_b32_e32 v6, 0x80000000, v4
	v_and_b32_e32 v7, 15, v7
	v_bfe_u32 v8, v4, 27, 4
	v_lshlrev_b32_sdwa v4, v11, v4 dst_sel:DWORD dst_unused:UNUSED_PAD src0_sel:DWORD src1_sel:BYTE_3
	v_sub_u32_e32 v10, 29, v10
	v_and_b32_e32 v4, 7, v4
	v_cmp_eq_u16_e32 vcc, 0, v7
	v_cndmask_b32_e32 v3, v3, v4, vcc
	v_cndmask_b32_e32 v4, v8, v10, vcc
	v_mov_b32_e32 v7, 0x3b800000
	v_lshlrev_b32_e32 v3, 20, v3
	v_lshl_add_u32 v4, v4, 23, v7
	v_or3_b32 v3, v6, v4, v3
.LBB17_480:
	s_or_b64 exec, exec, s[6:7]
	s_nop 0
	v_mfma_f32_16x16x4f32 a[0:3], v2, v3, a[0:3]
	s_movk_i32 s4, 0x7f
	v_cmp_gt_i16_sdwa s[6:7], v9, s4 src0_sel:BYTE_0 src1_sel:DWORD
	s_mov_b64 s[4:5], 0
                                        ; implicit-def: $sgpr10
	s_and_saveexec_b64 s[8:9], s[6:7]
	s_xor_b64 s[6:7], exec, s[8:9]
	s_cbranch_execnz .LBB17_2529
; %bb.481:
	s_or_saveexec_b64 s[6:7], s[6:7]
	v_mov_b32_e32 v2, s10
	s_xor_b64 exec, exec, s[6:7]
	s_cbranch_execnz .LBB17_2532
.LBB17_482:
	s_or_b64 exec, exec, s[6:7]
	s_and_saveexec_b64 s[6:7], s[4:5]
	s_cbranch_execz .LBB17_484
.LBB17_483:
	v_mov_b32_e32 v2, 8
	v_and_b32_e32 v3, 7, v9
	v_lshrrev_b32_sdwa v2, v2, v9 dst_sel:BYTE_1 dst_unused:UNUSED_PAD src0_sel:DWORD src1_sel:DWORD
	v_ffbh_u32_e32 v4, v3
	v_or_b32_sdwa v2, v9, v2 dst_sel:DWORD dst_unused:UNUSED_PAD src0_sel:BYTE_0 src1_sel:DWORD
	v_min_u32_e32 v4, 32, v4
	v_lshrrev_b16_e32 v2, 3, v2
	v_subrev_u32_e32 v6, 28, v4
	v_and_b32_e32 v2, 15, v2
	v_lshlrev_b32_e32 v6, v6, v9
	v_sub_u32_e32 v4, 29, v4
	v_and_b32_e32 v6, 7, v6
	v_cmp_eq_u16_e32 vcc, 0, v2
	v_cndmask_b32_e32 v3, v3, v6, vcc
	v_cndmask_b32_e32 v2, v2, v4, vcc
	v_lshlrev_b32_e32 v4, 24, v9
	v_mov_b32_e32 v6, 0x3b800000
	v_lshlrev_b32_e32 v3, 20, v3
	v_and_b32_e32 v4, 0x80000000, v4
	v_lshl_add_u32 v2, v2, 23, v6
	v_or3_b32 v2, v4, v2, v3
.LBB17_484:
	s_or_b64 exec, exec, s[6:7]
	s_movk_i32 s4, 0x7f
	v_cmp_gt_i16_sdwa s[6:7], v5, s4 src0_sel:BYTE_0 src1_sel:DWORD
	s_mov_b64 s[4:5], 0
                                        ; implicit-def: $sgpr10
	s_and_saveexec_b64 s[8:9], s[6:7]
	s_xor_b64 s[6:7], exec, s[8:9]
	s_cbranch_execnz .LBB17_2533
; %bb.485:
	s_or_saveexec_b64 s[6:7], s[6:7]
	v_mov_b32_e32 v3, s10
	s_xor_b64 exec, exec, s[6:7]
	s_cbranch_execnz .LBB17_2536
.LBB17_486:
	s_or_b64 exec, exec, s[6:7]
	s_and_saveexec_b64 s[6:7], s[4:5]
	s_cbranch_execz .LBB17_488
.LBB17_487:
	v_mov_b32_e32 v3, 8
	v_and_b32_e32 v4, 7, v5
	v_lshrrev_b32_sdwa v3, v3, v5 dst_sel:BYTE_1 dst_unused:UNUSED_PAD src0_sel:DWORD src1_sel:DWORD
	v_ffbh_u32_e32 v6, v4
	v_or_b32_sdwa v3, v5, v3 dst_sel:DWORD dst_unused:UNUSED_PAD src0_sel:BYTE_0 src1_sel:DWORD
	v_min_u32_e32 v6, 32, v6
	v_lshrrev_b16_e32 v3, 3, v3
	v_subrev_u32_e32 v7, 28, v6
	v_and_b32_e32 v3, 15, v3
	v_lshlrev_b32_e32 v7, v7, v5
	v_sub_u32_e32 v6, 29, v6
	v_and_b32_e32 v7, 7, v7
	v_cmp_eq_u16_e32 vcc, 0, v3
	v_cndmask_b32_e32 v4, v4, v7, vcc
	v_cndmask_b32_e32 v3, v3, v6, vcc
	v_lshlrev_b32_e32 v6, 24, v5
	v_mov_b32_e32 v7, 0x3b800000
	v_lshlrev_b32_e32 v4, 20, v4
	v_and_b32_e32 v6, 0x80000000, v6
	v_lshl_add_u32 v3, v3, 23, v7
	v_or3_b32 v3, v6, v3, v4
.LBB17_488:
	s_or_b64 exec, exec, s[6:7]
	s_nop 0
	v_mfma_f32_16x16x4f32 a[0:3], v2, v3, a[0:3]
	v_lshrrev_b32_e32 v3, 8, v9
	s_movk_i32 s4, 0x7f
	v_cmp_gt_i16_sdwa s[6:7], v3, s4 src0_sel:BYTE_0 src1_sel:DWORD
	s_mov_b64 s[4:5], 0
                                        ; implicit-def: $sgpr10
	s_and_saveexec_b64 s[8:9], s[6:7]
	s_xor_b64 s[6:7], exec, s[8:9]
	s_cbranch_execnz .LBB17_2537
; %bb.489:
	s_or_saveexec_b64 s[6:7], s[6:7]
	v_mov_b32_e32 v2, s10
	s_xor_b64 exec, exec, s[6:7]
	s_cbranch_execnz .LBB17_2540
.LBB17_490:
	s_or_b64 exec, exec, s[6:7]
	s_and_saveexec_b64 s[6:7], s[4:5]
	s_cbranch_execz .LBB17_492
.LBB17_491:
	v_bfe_u32 v2, v9, 8, 3
	v_ffbh_u32_e32 v6, v2
	v_min_u32_e32 v6, 32, v6
	v_lshrrev_b16_e32 v4, 3, v3
	v_subrev_u32_e32 v7, 28, v6
	v_and_b32_e32 v4, 15, v4
	v_lshlrev_b32_e32 v3, v7, v3
	v_sub_u32_e32 v6, 29, v6
	v_and_b32_e32 v3, 7, v3
	v_cmp_eq_u16_e32 vcc, 0, v4
	v_cndmask_b32_e32 v2, v2, v3, vcc
	v_cndmask_b32_e32 v3, v4, v6, vcc
	v_lshlrev_b32_e32 v4, 16, v9
	v_mov_b32_e32 v6, 0x3b800000
	v_lshlrev_b32_e32 v2, 20, v2
	v_and_b32_e32 v4, 0x80000000, v4
	v_lshl_add_u32 v3, v3, 23, v6
	v_or3_b32 v2, v4, v3, v2
.LBB17_492:
	s_or_b64 exec, exec, s[6:7]
	v_lshrrev_b32_e32 v3, 8, v5
	s_movk_i32 s4, 0x7f
	v_cmp_gt_i16_sdwa s[6:7], v3, s4 src0_sel:BYTE_0 src1_sel:DWORD
	s_mov_b64 s[4:5], 0
                                        ; implicit-def: $sgpr10
	s_and_saveexec_b64 s[8:9], s[6:7]
	s_xor_b64 s[6:7], exec, s[8:9]
	s_cbranch_execnz .LBB17_2541
; %bb.493:
	s_or_saveexec_b64 s[6:7], s[6:7]
	v_mov_b32_e32 v4, s10
	s_xor_b64 exec, exec, s[6:7]
	s_cbranch_execnz .LBB17_2544
.LBB17_494:
	s_or_b64 exec, exec, s[6:7]
	s_and_saveexec_b64 s[6:7], s[4:5]
	s_cbranch_execz .LBB17_496
.LBB17_495:
	v_bfe_u32 v4, v5, 8, 3
	v_ffbh_u32_e32 v7, v4
	v_min_u32_e32 v7, 32, v7
	v_lshrrev_b16_e32 v6, 3, v3
	v_subrev_u32_e32 v8, 28, v7
	v_and_b32_e32 v6, 15, v6
	v_lshlrev_b32_e32 v3, v8, v3
	v_sub_u32_e32 v7, 29, v7
	v_and_b32_e32 v3, 7, v3
	v_cmp_eq_u16_e32 vcc, 0, v6
	v_cndmask_b32_e32 v3, v4, v3, vcc
	v_cndmask_b32_e32 v4, v6, v7, vcc
	v_lshlrev_b32_e32 v6, 16, v5
	v_mov_b32_e32 v7, 0x3b800000
	v_lshlrev_b32_e32 v3, 20, v3
	v_and_b32_e32 v6, 0x80000000, v6
	v_lshl_add_u32 v4, v4, 23, v7
	v_or3_b32 v4, v6, v4, v3
.LBB17_496:
	s_or_b64 exec, exec, s[6:7]
	s_nop 0
	v_mfma_f32_16x16x4f32 a[0:3], v2, v4, a[0:3]
	s_movk_i32 s4, 0xff
	v_and_b32_sdwa v3, v9, s4 dst_sel:DWORD dst_unused:UNUSED_PAD src0_sel:WORD_1 src1_sel:DWORD
	s_movk_i32 s4, 0x7f
	v_cmp_lt_i16_e32 vcc, s4, v3
	s_mov_b64 s[4:5], 0
                                        ; implicit-def: $sgpr10
	s_and_saveexec_b64 s[6:7], vcc
	s_xor_b64 s[6:7], exec, s[6:7]
	s_cbranch_execnz .LBB17_2545
; %bb.497:
	s_or_saveexec_b64 s[6:7], s[6:7]
	v_mov_b32_e32 v2, s10
	s_xor_b64 exec, exec, s[6:7]
	s_cbranch_execnz .LBB17_2548
.LBB17_498:
	s_or_b64 exec, exec, s[6:7]
	s_and_saveexec_b64 s[6:7], s[4:5]
	s_cbranch_execz .LBB17_500
.LBB17_499:
	v_bfe_u32 v2, v9, 16, 3
	v_ffbh_u32_e32 v6, v2
	v_min_u32_e32 v6, 32, v6
	v_lshrrev_b32_e32 v3, 19, v9
	v_subrev_u32_e32 v7, 28, v6
	v_and_b32_e32 v3, 15, v3
	v_lshlrev_b32_sdwa v7, v7, v9 dst_sel:DWORD dst_unused:UNUSED_PAD src0_sel:DWORD src1_sel:WORD_1
	v_bfe_u32 v4, v9, 19, 4
	v_sub_u32_e32 v6, 29, v6
	v_and_b32_e32 v7, 7, v7
	v_cmp_eq_u16_e32 vcc, 0, v3
	v_cndmask_b32_e32 v2, v2, v7, vcc
	v_cndmask_b32_e32 v3, v4, v6, vcc
	v_lshlrev_b32_e32 v4, 8, v9
	v_mov_b32_e32 v6, 0x3b800000
	v_lshlrev_b32_e32 v2, 20, v2
	v_and_b32_e32 v4, 0x80000000, v4
	v_lshl_add_u32 v3, v3, 23, v6
	v_or3_b32 v2, v4, v3, v2
.LBB17_500:
	s_or_b64 exec, exec, s[6:7]
	s_movk_i32 s4, 0xff
	v_and_b32_sdwa v3, v5, s4 dst_sel:DWORD dst_unused:UNUSED_PAD src0_sel:WORD_1 src1_sel:DWORD
	s_movk_i32 s4, 0x7f
	v_cmp_lt_i16_e32 vcc, s4, v3
	s_mov_b64 s[4:5], 0
                                        ; implicit-def: $sgpr10
	s_and_saveexec_b64 s[6:7], vcc
	s_xor_b64 s[6:7], exec, s[6:7]
	s_cbranch_execnz .LBB17_2549
; %bb.501:
	s_or_saveexec_b64 s[6:7], s[6:7]
	v_mov_b32_e32 v4, s10
	s_xor_b64 exec, exec, s[6:7]
	s_cbranch_execnz .LBB17_2552
.LBB17_502:
	s_or_b64 exec, exec, s[6:7]
	s_and_saveexec_b64 s[6:7], s[4:5]
	s_cbranch_execz .LBB17_504
.LBB17_503:
	v_bfe_u32 v3, v5, 16, 3
	v_ffbh_u32_e32 v7, v3
	v_min_u32_e32 v7, 32, v7
	v_lshrrev_b32_e32 v4, 19, v5
	v_subrev_u32_e32 v8, 28, v7
	v_and_b32_e32 v4, 15, v4
	v_lshlrev_b32_sdwa v8, v8, v5 dst_sel:DWORD dst_unused:UNUSED_PAD src0_sel:DWORD src1_sel:WORD_1
	v_bfe_u32 v6, v5, 19, 4
	v_sub_u32_e32 v7, 29, v7
	v_and_b32_e32 v8, 7, v8
	v_cmp_eq_u16_e32 vcc, 0, v4
	v_cndmask_b32_e32 v3, v3, v8, vcc
	v_cndmask_b32_e32 v4, v6, v7, vcc
	v_lshlrev_b32_e32 v6, 8, v5
	v_mov_b32_e32 v7, 0x3b800000
	v_lshlrev_b32_e32 v3, 20, v3
	v_and_b32_e32 v6, 0x80000000, v6
	v_lshl_add_u32 v4, v4, 23, v7
	v_or3_b32 v4, v6, v4, v3
.LBB17_504:
	s_or_b64 exec, exec, s[6:7]
	s_nop 0
	v_mfma_f32_16x16x4f32 a[0:3], v2, v4, a[0:3]
	s_movk_i32 s4, 0x7f
	v_cmp_gt_i16_sdwa s[6:7], v9, s4 src0_sel:BYTE_3 src1_sel:DWORD
	s_mov_b64 s[4:5], 0
                                        ; implicit-def: $sgpr10
	s_and_saveexec_b64 s[8:9], s[6:7]
	s_xor_b64 s[6:7], exec, s[8:9]
	s_cbranch_execnz .LBB17_2553
; %bb.505:
	s_or_saveexec_b64 s[6:7], s[6:7]
	v_mov_b32_e32 v2, s10
	s_xor_b64 exec, exec, s[6:7]
	s_cbranch_execnz .LBB17_2556
.LBB17_506:
	s_or_b64 exec, exec, s[6:7]
	s_and_saveexec_b64 s[6:7], s[4:5]
	s_cbranch_execz .LBB17_508
.LBB17_507:
	v_bfe_u32 v2, v9, 24, 3
	v_ffbh_u32_e32 v7, v2
	v_min_u32_e32 v7, 32, v7
	v_lshrrev_b32_e32 v4, 27, v9
	v_subrev_u32_e32 v8, 28, v7
	v_and_b32_e32 v4, 15, v4
	v_lshlrev_b32_sdwa v8, v8, v9 dst_sel:DWORD dst_unused:UNUSED_PAD src0_sel:DWORD src1_sel:BYTE_3
	v_bfe_u32 v6, v9, 27, 4
	v_sub_u32_e32 v7, 29, v7
	v_and_b32_e32 v8, 7, v8
	v_cmp_eq_u16_e32 vcc, 0, v4
	v_cndmask_b32_e32 v2, v2, v8, vcc
	v_cndmask_b32_e32 v4, v6, v7, vcc
	v_mov_b32_e32 v6, 0x3b800000
	v_and_b32_e32 v3, 0x80000000, v9
	v_lshlrev_b32_e32 v2, 20, v2
	v_lshl_add_u32 v4, v4, 23, v6
	v_or3_b32 v2, v3, v4, v2
.LBB17_508:
	s_or_b64 exec, exec, s[6:7]
	s_movk_i32 s4, 0x7f
	v_cmp_gt_i16_sdwa s[6:7], v5, s4 src0_sel:BYTE_3 src1_sel:DWORD
	s_mov_b64 s[4:5], 0
                                        ; implicit-def: $sgpr10
	s_and_saveexec_b64 s[8:9], s[6:7]
	s_xor_b64 s[6:7], exec, s[8:9]
	s_cbranch_execnz .LBB17_2557
; %bb.509:
	s_or_saveexec_b64 s[6:7], s[6:7]
	v_mov_b32_e32 v3, s10
	s_xor_b64 exec, exec, s[6:7]
	s_cbranch_execnz .LBB17_2560
.LBB17_510:
	s_or_b64 exec, exec, s[6:7]
	s_and_saveexec_b64 s[6:7], s[4:5]
	s_cbranch_execz .LBB17_512
.LBB17_511:
	v_bfe_u32 v3, v5, 24, 3
	v_ffbh_u32_e32 v8, v3
	v_min_u32_e32 v8, 32, v8
	v_lshrrev_b32_e32 v6, 27, v5
	v_subrev_u32_e32 v9, 28, v8
	v_and_b32_e32 v4, 0x80000000, v5
	v_and_b32_e32 v6, 15, v6
	v_bfe_u32 v7, v5, 27, 4
	v_lshlrev_b32_sdwa v5, v9, v5 dst_sel:DWORD dst_unused:UNUSED_PAD src0_sel:DWORD src1_sel:BYTE_3
	v_sub_u32_e32 v8, 29, v8
	v_and_b32_e32 v5, 7, v5
	v_cmp_eq_u16_e32 vcc, 0, v6
	v_cndmask_b32_e32 v3, v3, v5, vcc
	v_cndmask_b32_e32 v5, v7, v8, vcc
	v_mov_b32_e32 v6, 0x3b800000
	v_lshlrev_b32_e32 v3, 20, v3
	v_lshl_add_u32 v5, v5, 23, v6
	v_or3_b32 v3, v4, v5, v3
.LBB17_512:
	s_or_b64 exec, exec, s[6:7]
	s_nop 0
	v_mfma_f32_16x16x4f32 a[0:3], v2, v3, a[0:3]
	s_movk_i32 s4, 0x7f
                                        ; implicit-def: $sgpr10
	s_nop 7
	s_nop 1
	flat_store_dwordx4 v[18:19], a[0:3] offset:912
	flat_load_dwordx4 v[20:23], v[0:1] offset:16
	s_nop 0
	flat_load_dwordx2 v[18:19], v[0:1] offset:32
	s_waitcnt vmcnt(0) lgkmcnt(0)
	flat_load_dwordx4 v[14:17], v[20:21] offset:32
	flat_load_dwordx4 v[6:9], v[20:21] offset:48
	;; [unrolled: 1-line block ×4, first 2 shown]
	s_waitcnt vmcnt(0) lgkmcnt(0)
	v_cmp_gt_i16_sdwa s[6:7], v14, s4 src0_sel:BYTE_0 src1_sel:DWORD
	s_mov_b64 s[4:5], 0
	s_and_saveexec_b64 s[8:9], s[6:7]
	s_xor_b64 s[6:7], exec, s[8:9]
	s_cbranch_execnz .LBB17_2561
; %bb.513:
	s_or_saveexec_b64 s[6:7], s[6:7]
	v_mov_b32_e32 v20, s10
	s_xor_b64 exec, exec, s[6:7]
	s_cbranch_execnz .LBB17_2564
.LBB17_514:
	s_or_b64 exec, exec, s[6:7]
	s_and_saveexec_b64 s[6:7], s[4:5]
	s_cbranch_execz .LBB17_516
.LBB17_515:
	v_and_b32_e32 v20, 7, v14
	v_ffbh_u32_e32 v22, v20
	v_min_u32_e32 v22, 32, v22
	v_lshrrev_b16_e32 v21, 3, v14
	v_subrev_u32_e32 v23, 28, v22
	v_and_b32_e32 v21, 15, v21
	v_lshlrev_b32_e32 v23, v23, v14
	v_sub_u32_e32 v22, 29, v22
	v_and_b32_e32 v23, 7, v23
	v_cmp_eq_u16_e32 vcc, 0, v21
	v_cndmask_b32_e32 v20, v20, v23, vcc
	v_cndmask_b32_e32 v21, v21, v22, vcc
	v_lshlrev_b32_e32 v22, 24, v14
	v_mov_b32_e32 v23, 0x3b800000
	v_lshlrev_b32_e32 v20, 20, v20
	v_and_b32_e32 v22, 0x80000000, v22
	v_lshl_add_u32 v21, v21, 23, v23
	v_or3_b32 v20, v22, v21, v20
.LBB17_516:
	s_or_b64 exec, exec, s[6:7]
	s_movk_i32 s4, 0x7f
	v_cmp_gt_i16_sdwa s[6:7], v10, s4 src0_sel:BYTE_0 src1_sel:DWORD
	s_mov_b64 s[4:5], 0
                                        ; implicit-def: $sgpr10
	s_and_saveexec_b64 s[8:9], s[6:7]
	s_xor_b64 s[6:7], exec, s[8:9]
	s_cbranch_execnz .LBB17_2565
; %bb.517:
	s_or_saveexec_b64 s[6:7], s[6:7]
	v_mov_b32_e32 v21, s10
	s_xor_b64 exec, exec, s[6:7]
	s_cbranch_execnz .LBB17_2568
.LBB17_518:
	s_or_b64 exec, exec, s[6:7]
	s_and_saveexec_b64 s[6:7], s[4:5]
	s_cbranch_execz .LBB17_520
.LBB17_519:
	v_and_b32_e32 v21, 7, v10
	v_ffbh_u32_e32 v23, v21
	v_min_u32_e32 v23, 32, v23
	v_lshrrev_b16_e32 v22, 3, v10
	v_subrev_u32_e32 v24, 28, v23
	v_and_b32_e32 v22, 15, v22
	v_lshlrev_b32_e32 v24, v24, v10
	v_sub_u32_e32 v23, 29, v23
	v_and_b32_e32 v24, 7, v24
	v_cmp_eq_u16_e32 vcc, 0, v22
	v_cndmask_b32_e32 v21, v21, v24, vcc
	v_cndmask_b32_e32 v22, v22, v23, vcc
	v_lshlrev_b32_e32 v23, 24, v10
	v_mov_b32_e32 v24, 0x3b800000
	v_lshlrev_b32_e32 v21, 20, v21
	v_and_b32_e32 v23, 0x80000000, v23
	v_lshl_add_u32 v22, v22, 23, v24
	v_or3_b32 v21, v23, v22, v21
.LBB17_520:
	s_or_b64 exec, exec, s[6:7]
	flat_load_dwordx4 a[0:3], v[18:19] offset:928
	s_movk_i32 s4, 0x7f
                                        ; implicit-def: $sgpr10
	s_waitcnt vmcnt(0) lgkmcnt(0)
	v_mfma_f32_16x16x4f32 a[0:3], v20, v21, a[0:3]
	v_lshrrev_b32_e32 v21, 8, v14
	v_cmp_gt_i16_sdwa s[6:7], v21, s4 src0_sel:BYTE_0 src1_sel:DWORD
	s_mov_b64 s[4:5], 0
	s_and_saveexec_b64 s[8:9], s[6:7]
	s_xor_b64 s[6:7], exec, s[8:9]
	s_cbranch_execnz .LBB17_2569
; %bb.521:
	s_or_saveexec_b64 s[6:7], s[6:7]
	v_mov_b32_e32 v20, s10
	s_xor_b64 exec, exec, s[6:7]
	s_cbranch_execnz .LBB17_2572
.LBB17_522:
	s_or_b64 exec, exec, s[6:7]
	s_and_saveexec_b64 s[6:7], s[4:5]
	s_cbranch_execz .LBB17_524
.LBB17_523:
	v_bfe_u32 v20, v14, 8, 3
	v_ffbh_u32_e32 v23, v20
	v_min_u32_e32 v23, 32, v23
	v_lshrrev_b16_e32 v22, 3, v21
	v_subrev_u32_e32 v24, 28, v23
	v_and_b32_e32 v22, 15, v22
	v_lshlrev_b32_e32 v21, v24, v21
	v_sub_u32_e32 v23, 29, v23
	v_and_b32_e32 v21, 7, v21
	v_cmp_eq_u16_e32 vcc, 0, v22
	v_cndmask_b32_e32 v20, v20, v21, vcc
	v_cndmask_b32_e32 v21, v22, v23, vcc
	v_lshlrev_b32_e32 v22, 16, v14
	v_mov_b32_e32 v23, 0x3b800000
	v_lshlrev_b32_e32 v20, 20, v20
	v_and_b32_e32 v22, 0x80000000, v22
	v_lshl_add_u32 v21, v21, 23, v23
	v_or3_b32 v20, v22, v21, v20
.LBB17_524:
	s_or_b64 exec, exec, s[6:7]
	v_lshrrev_b32_e32 v21, 8, v10
	s_movk_i32 s4, 0x7f
	v_cmp_gt_i16_sdwa s[6:7], v21, s4 src0_sel:BYTE_0 src1_sel:DWORD
	s_mov_b64 s[4:5], 0
                                        ; implicit-def: $sgpr10
	s_and_saveexec_b64 s[8:9], s[6:7]
	s_xor_b64 s[6:7], exec, s[8:9]
	s_cbranch_execnz .LBB17_2573
; %bb.525:
	s_or_saveexec_b64 s[6:7], s[6:7]
	v_mov_b32_e32 v22, s10
	s_xor_b64 exec, exec, s[6:7]
	s_cbranch_execnz .LBB17_2576
.LBB17_526:
	s_or_b64 exec, exec, s[6:7]
	s_and_saveexec_b64 s[6:7], s[4:5]
	s_cbranch_execz .LBB17_528
.LBB17_527:
	v_bfe_u32 v22, v10, 8, 3
	v_ffbh_u32_e32 v24, v22
	v_min_u32_e32 v24, 32, v24
	v_lshrrev_b16_e32 v23, 3, v21
	v_subrev_u32_e32 v25, 28, v24
	v_and_b32_e32 v23, 15, v23
	v_lshlrev_b32_e32 v21, v25, v21
	v_sub_u32_e32 v24, 29, v24
	v_and_b32_e32 v21, 7, v21
	v_cmp_eq_u16_e32 vcc, 0, v23
	v_cndmask_b32_e32 v21, v22, v21, vcc
	v_cndmask_b32_e32 v22, v23, v24, vcc
	v_lshlrev_b32_e32 v23, 16, v10
	v_mov_b32_e32 v24, 0x3b800000
	v_lshlrev_b32_e32 v21, 20, v21
	v_and_b32_e32 v23, 0x80000000, v23
	v_lshl_add_u32 v22, v22, 23, v24
	v_or3_b32 v22, v23, v22, v21
.LBB17_528:
	s_or_b64 exec, exec, s[6:7]
	s_nop 0
	v_mfma_f32_16x16x4f32 a[0:3], v20, v22, a[0:3]
	s_movk_i32 s4, 0xff
	v_and_b32_sdwa v21, v14, s4 dst_sel:DWORD dst_unused:UNUSED_PAD src0_sel:WORD_1 src1_sel:DWORD
	s_movk_i32 s4, 0x7f
	v_cmp_lt_i16_e32 vcc, s4, v21
	s_mov_b64 s[4:5], 0
                                        ; implicit-def: $sgpr10
	s_and_saveexec_b64 s[6:7], vcc
	s_xor_b64 s[6:7], exec, s[6:7]
	s_cbranch_execnz .LBB17_2577
; %bb.529:
	s_or_saveexec_b64 s[6:7], s[6:7]
	v_mov_b32_e32 v20, s10
	s_xor_b64 exec, exec, s[6:7]
	s_cbranch_execnz .LBB17_2580
.LBB17_530:
	s_or_b64 exec, exec, s[6:7]
	s_and_saveexec_b64 s[6:7], s[4:5]
	s_cbranch_execz .LBB17_532
.LBB17_531:
	v_bfe_u32 v20, v14, 16, 3
	v_ffbh_u32_e32 v23, v20
	v_min_u32_e32 v23, 32, v23
	v_lshrrev_b32_e32 v21, 19, v14
	v_subrev_u32_e32 v24, 28, v23
	v_and_b32_e32 v21, 15, v21
	v_lshlrev_b32_sdwa v24, v24, v14 dst_sel:DWORD dst_unused:UNUSED_PAD src0_sel:DWORD src1_sel:WORD_1
	v_bfe_u32 v22, v14, 19, 4
	v_sub_u32_e32 v23, 29, v23
	v_and_b32_e32 v24, 7, v24
	v_cmp_eq_u16_e32 vcc, 0, v21
	v_cndmask_b32_e32 v20, v20, v24, vcc
	v_cndmask_b32_e32 v21, v22, v23, vcc
	v_lshlrev_b32_e32 v22, 8, v14
	v_mov_b32_e32 v23, 0x3b800000
	v_lshlrev_b32_e32 v20, 20, v20
	v_and_b32_e32 v22, 0x80000000, v22
	v_lshl_add_u32 v21, v21, 23, v23
	v_or3_b32 v20, v22, v21, v20
.LBB17_532:
	s_or_b64 exec, exec, s[6:7]
	s_movk_i32 s4, 0xff
	v_and_b32_sdwa v21, v10, s4 dst_sel:DWORD dst_unused:UNUSED_PAD src0_sel:WORD_1 src1_sel:DWORD
	s_movk_i32 s4, 0x7f
	v_cmp_lt_i16_e32 vcc, s4, v21
	s_mov_b64 s[4:5], 0
                                        ; implicit-def: $sgpr10
	s_and_saveexec_b64 s[6:7], vcc
	s_xor_b64 s[6:7], exec, s[6:7]
	s_cbranch_execnz .LBB17_2581
; %bb.533:
	s_or_saveexec_b64 s[6:7], s[6:7]
	v_mov_b32_e32 v22, s10
	s_xor_b64 exec, exec, s[6:7]
	s_cbranch_execnz .LBB17_2584
.LBB17_534:
	s_or_b64 exec, exec, s[6:7]
	s_and_saveexec_b64 s[6:7], s[4:5]
	s_cbranch_execz .LBB17_536
.LBB17_535:
	v_bfe_u32 v21, v10, 16, 3
	v_ffbh_u32_e32 v24, v21
	v_min_u32_e32 v24, 32, v24
	v_lshrrev_b32_e32 v22, 19, v10
	v_subrev_u32_e32 v25, 28, v24
	v_and_b32_e32 v22, 15, v22
	v_lshlrev_b32_sdwa v25, v25, v10 dst_sel:DWORD dst_unused:UNUSED_PAD src0_sel:DWORD src1_sel:WORD_1
	v_bfe_u32 v23, v10, 19, 4
	v_sub_u32_e32 v24, 29, v24
	v_and_b32_e32 v25, 7, v25
	v_cmp_eq_u16_e32 vcc, 0, v22
	v_cndmask_b32_e32 v21, v21, v25, vcc
	v_cndmask_b32_e32 v22, v23, v24, vcc
	v_lshlrev_b32_e32 v23, 8, v10
	v_mov_b32_e32 v24, 0x3b800000
	v_lshlrev_b32_e32 v21, 20, v21
	v_and_b32_e32 v23, 0x80000000, v23
	v_lshl_add_u32 v22, v22, 23, v24
	v_or3_b32 v22, v23, v22, v21
.LBB17_536:
	s_or_b64 exec, exec, s[6:7]
	s_nop 0
	v_mfma_f32_16x16x4f32 a[0:3], v20, v22, a[0:3]
	s_movk_i32 s4, 0x7f
	v_cmp_gt_i16_sdwa s[6:7], v14, s4 src0_sel:BYTE_3 src1_sel:DWORD
	s_mov_b64 s[4:5], 0
                                        ; implicit-def: $sgpr10
	s_and_saveexec_b64 s[8:9], s[6:7]
	s_xor_b64 s[6:7], exec, s[8:9]
	s_cbranch_execnz .LBB17_2585
; %bb.537:
	s_or_saveexec_b64 s[6:7], s[6:7]
	v_mov_b32_e32 v20, s10
	s_xor_b64 exec, exec, s[6:7]
	s_cbranch_execnz .LBB17_2588
.LBB17_538:
	s_or_b64 exec, exec, s[6:7]
	s_and_saveexec_b64 s[6:7], s[4:5]
	s_cbranch_execz .LBB17_540
.LBB17_539:
	v_bfe_u32 v20, v14, 24, 3
	v_ffbh_u32_e32 v24, v20
	v_min_u32_e32 v24, 32, v24
	v_lshrrev_b32_e32 v22, 27, v14
	v_subrev_u32_e32 v25, 28, v24
	v_and_b32_e32 v21, 0x80000000, v14
	v_and_b32_e32 v22, 15, v22
	v_bfe_u32 v23, v14, 27, 4
	v_lshlrev_b32_sdwa v14, v25, v14 dst_sel:DWORD dst_unused:UNUSED_PAD src0_sel:DWORD src1_sel:BYTE_3
	v_sub_u32_e32 v24, 29, v24
	v_and_b32_e32 v14, 7, v14
	v_cmp_eq_u16_e32 vcc, 0, v22
	v_cndmask_b32_e32 v14, v20, v14, vcc
	v_cndmask_b32_e32 v20, v23, v24, vcc
	v_mov_b32_e32 v22, 0x3b800000
	v_lshlrev_b32_e32 v14, 20, v14
	v_lshl_add_u32 v20, v20, 23, v22
	v_or3_b32 v20, v21, v20, v14
.LBB17_540:
	s_or_b64 exec, exec, s[6:7]
	s_movk_i32 s4, 0x7f
	v_cmp_gt_i16_sdwa s[6:7], v10, s4 src0_sel:BYTE_3 src1_sel:DWORD
	s_mov_b64 s[4:5], 0
                                        ; implicit-def: $sgpr10
	s_and_saveexec_b64 s[8:9], s[6:7]
	s_xor_b64 s[6:7], exec, s[8:9]
	s_cbranch_execnz .LBB17_2589
; %bb.541:
	s_or_saveexec_b64 s[6:7], s[6:7]
	v_mov_b32_e32 v14, s10
	s_xor_b64 exec, exec, s[6:7]
	s_cbranch_execnz .LBB17_2592
.LBB17_542:
	s_or_b64 exec, exec, s[6:7]
	s_and_saveexec_b64 s[6:7], s[4:5]
	s_cbranch_execz .LBB17_544
.LBB17_543:
	v_bfe_u32 v14, v10, 24, 3
	v_ffbh_u32_e32 v24, v14
	v_min_u32_e32 v24, 32, v24
	v_lshrrev_b32_e32 v22, 27, v10
	v_subrev_u32_e32 v25, 28, v24
	v_and_b32_e32 v21, 0x80000000, v10
	v_and_b32_e32 v22, 15, v22
	v_bfe_u32 v23, v10, 27, 4
	v_lshlrev_b32_sdwa v10, v25, v10 dst_sel:DWORD dst_unused:UNUSED_PAD src0_sel:DWORD src1_sel:BYTE_3
	v_sub_u32_e32 v24, 29, v24
	v_and_b32_e32 v10, 7, v10
	v_cmp_eq_u16_e32 vcc, 0, v22
	v_cndmask_b32_e32 v10, v14, v10, vcc
	v_cndmask_b32_e32 v14, v23, v24, vcc
	v_mov_b32_e32 v22, 0x3b800000
	v_lshlrev_b32_e32 v10, 20, v10
	v_lshl_add_u32 v14, v14, 23, v22
	v_or3_b32 v14, v21, v14, v10
.LBB17_544:
	s_or_b64 exec, exec, s[6:7]
	s_nop 0
	v_mfma_f32_16x16x4f32 a[0:3], v20, v14, a[0:3]
	s_movk_i32 s4, 0x7f
	v_cmp_gt_i16_sdwa s[6:7], v15, s4 src0_sel:BYTE_0 src1_sel:DWORD
	s_mov_b64 s[4:5], 0
                                        ; implicit-def: $sgpr10
	s_and_saveexec_b64 s[8:9], s[6:7]
	s_xor_b64 s[6:7], exec, s[8:9]
	s_cbranch_execnz .LBB17_2593
; %bb.545:
	s_or_saveexec_b64 s[6:7], s[6:7]
	v_mov_b32_e32 v10, s10
	s_xor_b64 exec, exec, s[6:7]
	s_cbranch_execnz .LBB17_2596
.LBB17_546:
	s_or_b64 exec, exec, s[6:7]
	s_and_saveexec_b64 s[6:7], s[4:5]
	s_cbranch_execz .LBB17_548
.LBB17_547:
	v_and_b32_e32 v10, 7, v15
	v_ffbh_u32_e32 v20, v10
	v_min_u32_e32 v20, 32, v20
	v_lshrrev_b16_e32 v14, 3, v15
	v_subrev_u32_e32 v21, 28, v20
	v_and_b32_e32 v14, 15, v14
	v_lshlrev_b32_e32 v21, v21, v15
	v_sub_u32_e32 v20, 29, v20
	v_and_b32_e32 v21, 7, v21
	v_cmp_eq_u16_e32 vcc, 0, v14
	v_cndmask_b32_e32 v10, v10, v21, vcc
	v_cndmask_b32_e32 v14, v14, v20, vcc
	v_lshlrev_b32_e32 v20, 24, v15
	v_mov_b32_e32 v21, 0x3b800000
	v_lshlrev_b32_e32 v10, 20, v10
	v_and_b32_e32 v20, 0x80000000, v20
	v_lshl_add_u32 v14, v14, 23, v21
	v_or3_b32 v10, v20, v14, v10
.LBB17_548:
	s_or_b64 exec, exec, s[6:7]
	s_movk_i32 s4, 0x7f
	v_cmp_gt_i16_sdwa s[6:7], v11, s4 src0_sel:BYTE_0 src1_sel:DWORD
	s_mov_b64 s[4:5], 0
                                        ; implicit-def: $sgpr10
	s_and_saveexec_b64 s[8:9], s[6:7]
	s_xor_b64 s[6:7], exec, s[8:9]
	s_cbranch_execnz .LBB17_2597
; %bb.549:
	s_or_saveexec_b64 s[6:7], s[6:7]
	v_mov_b32_e32 v14, s10
	s_xor_b64 exec, exec, s[6:7]
	s_cbranch_execnz .LBB17_2600
.LBB17_550:
	s_or_b64 exec, exec, s[6:7]
	s_and_saveexec_b64 s[6:7], s[4:5]
	s_cbranch_execz .LBB17_552
.LBB17_551:
	v_and_b32_e32 v14, 7, v11
	v_ffbh_u32_e32 v21, v14
	v_min_u32_e32 v21, 32, v21
	v_lshrrev_b16_e32 v20, 3, v11
	v_subrev_u32_e32 v22, 28, v21
	v_and_b32_e32 v20, 15, v20
	v_lshlrev_b32_e32 v22, v22, v11
	v_sub_u32_e32 v21, 29, v21
	v_and_b32_e32 v22, 7, v22
	v_cmp_eq_u16_e32 vcc, 0, v20
	v_cndmask_b32_e32 v14, v14, v22, vcc
	v_cndmask_b32_e32 v20, v20, v21, vcc
	v_lshlrev_b32_e32 v21, 24, v11
	v_mov_b32_e32 v22, 0x3b800000
	v_lshlrev_b32_e32 v14, 20, v14
	v_and_b32_e32 v21, 0x80000000, v21
	v_lshl_add_u32 v20, v20, 23, v22
	v_or3_b32 v14, v21, v20, v14
.LBB17_552:
	s_or_b64 exec, exec, s[6:7]
	s_nop 0
	v_mfma_f32_16x16x4f32 a[0:3], v10, v14, a[0:3]
	v_lshrrev_b32_e32 v14, 8, v15
	s_movk_i32 s4, 0x7f
	v_cmp_gt_i16_sdwa s[6:7], v14, s4 src0_sel:BYTE_0 src1_sel:DWORD
	s_mov_b64 s[4:5], 0
                                        ; implicit-def: $sgpr10
	s_and_saveexec_b64 s[8:9], s[6:7]
	s_xor_b64 s[6:7], exec, s[8:9]
	s_cbranch_execnz .LBB17_2601
; %bb.553:
	s_or_saveexec_b64 s[6:7], s[6:7]
	v_mov_b32_e32 v10, s10
	s_xor_b64 exec, exec, s[6:7]
	s_cbranch_execnz .LBB17_2604
.LBB17_554:
	s_or_b64 exec, exec, s[6:7]
	s_and_saveexec_b64 s[6:7], s[4:5]
	s_cbranch_execz .LBB17_556
.LBB17_555:
	v_bfe_u32 v10, v15, 8, 3
	v_ffbh_u32_e32 v21, v10
	v_min_u32_e32 v21, 32, v21
	v_lshrrev_b16_e32 v20, 3, v14
	v_subrev_u32_e32 v22, 28, v21
	v_and_b32_e32 v20, 15, v20
	v_lshlrev_b32_e32 v14, v22, v14
	v_sub_u32_e32 v21, 29, v21
	v_and_b32_e32 v14, 7, v14
	v_cmp_eq_u16_e32 vcc, 0, v20
	v_cndmask_b32_e32 v10, v10, v14, vcc
	v_cndmask_b32_e32 v14, v20, v21, vcc
	v_lshlrev_b32_e32 v20, 16, v15
	v_mov_b32_e32 v21, 0x3b800000
	v_lshlrev_b32_e32 v10, 20, v10
	v_and_b32_e32 v20, 0x80000000, v20
	v_lshl_add_u32 v14, v14, 23, v21
	v_or3_b32 v10, v20, v14, v10
.LBB17_556:
	s_or_b64 exec, exec, s[6:7]
	v_lshrrev_b32_e32 v14, 8, v11
	s_movk_i32 s4, 0x7f
	v_cmp_gt_i16_sdwa s[6:7], v14, s4 src0_sel:BYTE_0 src1_sel:DWORD
	s_mov_b64 s[4:5], 0
                                        ; implicit-def: $sgpr10
	s_and_saveexec_b64 s[8:9], s[6:7]
	s_xor_b64 s[6:7], exec, s[8:9]
	s_cbranch_execnz .LBB17_2605
; %bb.557:
	s_or_saveexec_b64 s[6:7], s[6:7]
	v_mov_b32_e32 v20, s10
	s_xor_b64 exec, exec, s[6:7]
	s_cbranch_execnz .LBB17_2608
.LBB17_558:
	s_or_b64 exec, exec, s[6:7]
	s_and_saveexec_b64 s[6:7], s[4:5]
	s_cbranch_execz .LBB17_560
.LBB17_559:
	v_bfe_u32 v20, v11, 8, 3
	v_ffbh_u32_e32 v22, v20
	v_min_u32_e32 v22, 32, v22
	v_lshrrev_b16_e32 v21, 3, v14
	v_subrev_u32_e32 v23, 28, v22
	v_and_b32_e32 v21, 15, v21
	v_lshlrev_b32_e32 v14, v23, v14
	v_sub_u32_e32 v22, 29, v22
	v_and_b32_e32 v14, 7, v14
	v_cmp_eq_u16_e32 vcc, 0, v21
	v_cndmask_b32_e32 v14, v20, v14, vcc
	v_cndmask_b32_e32 v20, v21, v22, vcc
	v_lshlrev_b32_e32 v21, 16, v11
	v_mov_b32_e32 v22, 0x3b800000
	v_lshlrev_b32_e32 v14, 20, v14
	v_and_b32_e32 v21, 0x80000000, v21
	v_lshl_add_u32 v20, v20, 23, v22
	v_or3_b32 v20, v21, v20, v14
.LBB17_560:
	s_or_b64 exec, exec, s[6:7]
	s_nop 0
	v_mfma_f32_16x16x4f32 a[0:3], v10, v20, a[0:3]
	s_movk_i32 s4, 0xff
	v_and_b32_sdwa v14, v15, s4 dst_sel:DWORD dst_unused:UNUSED_PAD src0_sel:WORD_1 src1_sel:DWORD
	s_movk_i32 s4, 0x7f
	v_cmp_lt_i16_e32 vcc, s4, v14
	s_mov_b64 s[4:5], 0
                                        ; implicit-def: $sgpr10
	s_and_saveexec_b64 s[6:7], vcc
	s_xor_b64 s[6:7], exec, s[6:7]
	s_cbranch_execnz .LBB17_2609
; %bb.561:
	s_or_saveexec_b64 s[6:7], s[6:7]
	v_mov_b32_e32 v10, s10
	s_xor_b64 exec, exec, s[6:7]
	s_cbranch_execnz .LBB17_2612
.LBB17_562:
	s_or_b64 exec, exec, s[6:7]
	s_and_saveexec_b64 s[6:7], s[4:5]
	s_cbranch_execz .LBB17_564
.LBB17_563:
	v_bfe_u32 v10, v15, 16, 3
	v_ffbh_u32_e32 v21, v10
	v_min_u32_e32 v21, 32, v21
	v_lshrrev_b32_e32 v14, 19, v15
	v_subrev_u32_e32 v22, 28, v21
	v_and_b32_e32 v14, 15, v14
	v_lshlrev_b32_sdwa v22, v22, v15 dst_sel:DWORD dst_unused:UNUSED_PAD src0_sel:DWORD src1_sel:WORD_1
	v_bfe_u32 v20, v15, 19, 4
	v_sub_u32_e32 v21, 29, v21
	v_and_b32_e32 v22, 7, v22
	v_cmp_eq_u16_e32 vcc, 0, v14
	v_cndmask_b32_e32 v10, v10, v22, vcc
	v_cndmask_b32_e32 v14, v20, v21, vcc
	v_lshlrev_b32_e32 v20, 8, v15
	v_mov_b32_e32 v21, 0x3b800000
	v_lshlrev_b32_e32 v10, 20, v10
	v_and_b32_e32 v20, 0x80000000, v20
	v_lshl_add_u32 v14, v14, 23, v21
	v_or3_b32 v10, v20, v14, v10
.LBB17_564:
	s_or_b64 exec, exec, s[6:7]
	s_movk_i32 s4, 0xff
	v_and_b32_sdwa v14, v11, s4 dst_sel:DWORD dst_unused:UNUSED_PAD src0_sel:WORD_1 src1_sel:DWORD
	s_movk_i32 s4, 0x7f
	v_cmp_lt_i16_e32 vcc, s4, v14
	s_mov_b64 s[4:5], 0
                                        ; implicit-def: $sgpr10
	s_and_saveexec_b64 s[6:7], vcc
	s_xor_b64 s[6:7], exec, s[6:7]
	s_cbranch_execnz .LBB17_2613
; %bb.565:
	s_or_saveexec_b64 s[6:7], s[6:7]
	v_mov_b32_e32 v20, s10
	s_xor_b64 exec, exec, s[6:7]
	s_cbranch_execnz .LBB17_2616
.LBB17_566:
	s_or_b64 exec, exec, s[6:7]
	s_and_saveexec_b64 s[6:7], s[4:5]
	s_cbranch_execz .LBB17_568
.LBB17_567:
	v_bfe_u32 v14, v11, 16, 3
	v_ffbh_u32_e32 v22, v14
	v_min_u32_e32 v22, 32, v22
	v_lshrrev_b32_e32 v20, 19, v11
	v_subrev_u32_e32 v23, 28, v22
	v_and_b32_e32 v20, 15, v20
	v_lshlrev_b32_sdwa v23, v23, v11 dst_sel:DWORD dst_unused:UNUSED_PAD src0_sel:DWORD src1_sel:WORD_1
	v_bfe_u32 v21, v11, 19, 4
	v_sub_u32_e32 v22, 29, v22
	v_and_b32_e32 v23, 7, v23
	v_cmp_eq_u16_e32 vcc, 0, v20
	v_cndmask_b32_e32 v14, v14, v23, vcc
	v_cndmask_b32_e32 v20, v21, v22, vcc
	v_lshlrev_b32_e32 v21, 8, v11
	v_mov_b32_e32 v22, 0x3b800000
	v_lshlrev_b32_e32 v14, 20, v14
	v_and_b32_e32 v21, 0x80000000, v21
	v_lshl_add_u32 v20, v20, 23, v22
	v_or3_b32 v20, v21, v20, v14
.LBB17_568:
	s_or_b64 exec, exec, s[6:7]
	s_nop 0
	v_mfma_f32_16x16x4f32 a[0:3], v10, v20, a[0:3]
	s_movk_i32 s4, 0x7f
	v_cmp_gt_i16_sdwa s[6:7], v15, s4 src0_sel:BYTE_3 src1_sel:DWORD
	s_mov_b64 s[4:5], 0
                                        ; implicit-def: $sgpr10
	s_and_saveexec_b64 s[8:9], s[6:7]
	s_xor_b64 s[6:7], exec, s[8:9]
	s_cbranch_execnz .LBB17_2617
; %bb.569:
	s_or_saveexec_b64 s[6:7], s[6:7]
	v_mov_b32_e32 v10, s10
	s_xor_b64 exec, exec, s[6:7]
	s_cbranch_execnz .LBB17_2620
.LBB17_570:
	s_or_b64 exec, exec, s[6:7]
	s_and_saveexec_b64 s[6:7], s[4:5]
	s_cbranch_execz .LBB17_572
.LBB17_571:
	v_bfe_u32 v10, v15, 24, 3
	v_ffbh_u32_e32 v22, v10
	v_min_u32_e32 v22, 32, v22
	v_lshrrev_b32_e32 v20, 27, v15
	v_subrev_u32_e32 v23, 28, v22
	v_and_b32_e32 v14, 0x80000000, v15
	v_and_b32_e32 v20, 15, v20
	v_bfe_u32 v21, v15, 27, 4
	v_lshlrev_b32_sdwa v15, v23, v15 dst_sel:DWORD dst_unused:UNUSED_PAD src0_sel:DWORD src1_sel:BYTE_3
	v_sub_u32_e32 v22, 29, v22
	v_and_b32_e32 v15, 7, v15
	v_cmp_eq_u16_e32 vcc, 0, v20
	v_cndmask_b32_e32 v10, v10, v15, vcc
	v_cndmask_b32_e32 v15, v21, v22, vcc
	v_mov_b32_e32 v20, 0x3b800000
	v_lshlrev_b32_e32 v10, 20, v10
	v_lshl_add_u32 v15, v15, 23, v20
	v_or3_b32 v10, v14, v15, v10
.LBB17_572:
	s_or_b64 exec, exec, s[6:7]
	s_movk_i32 s4, 0x7f
	v_cmp_gt_i16_sdwa s[6:7], v11, s4 src0_sel:BYTE_3 src1_sel:DWORD
	s_mov_b64 s[4:5], 0
                                        ; implicit-def: $sgpr10
	s_and_saveexec_b64 s[8:9], s[6:7]
	s_xor_b64 s[6:7], exec, s[8:9]
	s_cbranch_execnz .LBB17_2621
; %bb.573:
	s_or_saveexec_b64 s[6:7], s[6:7]
	v_mov_b32_e32 v14, s10
	s_xor_b64 exec, exec, s[6:7]
	s_cbranch_execnz .LBB17_2624
.LBB17_574:
	s_or_b64 exec, exec, s[6:7]
	s_and_saveexec_b64 s[6:7], s[4:5]
	s_cbranch_execz .LBB17_576
.LBB17_575:
	v_bfe_u32 v14, v11, 24, 3
	v_ffbh_u32_e32 v22, v14
	v_min_u32_e32 v22, 32, v22
	v_lshrrev_b32_e32 v20, 27, v11
	v_subrev_u32_e32 v23, 28, v22
	v_and_b32_e32 v15, 0x80000000, v11
	v_and_b32_e32 v20, 15, v20
	v_bfe_u32 v21, v11, 27, 4
	v_lshlrev_b32_sdwa v11, v23, v11 dst_sel:DWORD dst_unused:UNUSED_PAD src0_sel:DWORD src1_sel:BYTE_3
	v_sub_u32_e32 v22, 29, v22
	v_and_b32_e32 v11, 7, v11
	v_cmp_eq_u16_e32 vcc, 0, v20
	v_cndmask_b32_e32 v11, v14, v11, vcc
	v_cndmask_b32_e32 v14, v21, v22, vcc
	v_mov_b32_e32 v20, 0x3b800000
	v_lshlrev_b32_e32 v11, 20, v11
	v_lshl_add_u32 v14, v14, 23, v20
	v_or3_b32 v14, v15, v14, v11
.LBB17_576:
	s_or_b64 exec, exec, s[6:7]
	s_nop 0
	v_mfma_f32_16x16x4f32 a[0:3], v10, v14, a[0:3]
	s_movk_i32 s4, 0x7f
	v_cmp_gt_i16_sdwa s[6:7], v16, s4 src0_sel:BYTE_0 src1_sel:DWORD
	s_mov_b64 s[4:5], 0
                                        ; implicit-def: $sgpr10
	s_and_saveexec_b64 s[8:9], s[6:7]
	s_xor_b64 s[6:7], exec, s[8:9]
	s_cbranch_execnz .LBB17_2625
; %bb.577:
	s_or_saveexec_b64 s[6:7], s[6:7]
	v_mov_b32_e32 v10, s10
	s_xor_b64 exec, exec, s[6:7]
	s_cbranch_execnz .LBB17_2628
.LBB17_578:
	s_or_b64 exec, exec, s[6:7]
	s_and_saveexec_b64 s[6:7], s[4:5]
	s_cbranch_execz .LBB17_580
.LBB17_579:
	v_and_b32_e32 v10, 7, v16
	v_ffbh_u32_e32 v14, v10
	v_min_u32_e32 v14, 32, v14
	v_lshrrev_b16_e32 v11, 3, v16
	v_subrev_u32_e32 v15, 28, v14
	v_and_b32_e32 v11, 15, v11
	v_lshlrev_b32_e32 v15, v15, v16
	v_sub_u32_e32 v14, 29, v14
	v_and_b32_e32 v15, 7, v15
	v_cmp_eq_u16_e32 vcc, 0, v11
	v_cndmask_b32_e32 v10, v10, v15, vcc
	v_cndmask_b32_e32 v11, v11, v14, vcc
	v_lshlrev_b32_e32 v14, 24, v16
	v_mov_b32_e32 v15, 0x3b800000
	v_lshlrev_b32_e32 v10, 20, v10
	v_and_b32_e32 v14, 0x80000000, v14
	v_lshl_add_u32 v11, v11, 23, v15
	v_or3_b32 v10, v14, v11, v10
.LBB17_580:
	s_or_b64 exec, exec, s[6:7]
	s_movk_i32 s4, 0x7f
	v_cmp_gt_i16_sdwa s[6:7], v12, s4 src0_sel:BYTE_0 src1_sel:DWORD
	s_mov_b64 s[4:5], 0
                                        ; implicit-def: $sgpr10
	s_and_saveexec_b64 s[8:9], s[6:7]
	s_xor_b64 s[6:7], exec, s[8:9]
	s_cbranch_execnz .LBB17_2629
; %bb.581:
	s_or_saveexec_b64 s[6:7], s[6:7]
	v_mov_b32_e32 v11, s10
	s_xor_b64 exec, exec, s[6:7]
	s_cbranch_execnz .LBB17_2632
.LBB17_582:
	s_or_b64 exec, exec, s[6:7]
	s_and_saveexec_b64 s[6:7], s[4:5]
	s_cbranch_execz .LBB17_584
.LBB17_583:
	v_and_b32_e32 v11, 7, v12
	v_ffbh_u32_e32 v15, v11
	v_min_u32_e32 v15, 32, v15
	v_lshrrev_b16_e32 v14, 3, v12
	v_subrev_u32_e32 v20, 28, v15
	v_and_b32_e32 v14, 15, v14
	v_lshlrev_b32_e32 v20, v20, v12
	v_sub_u32_e32 v15, 29, v15
	v_and_b32_e32 v20, 7, v20
	v_cmp_eq_u16_e32 vcc, 0, v14
	v_cndmask_b32_e32 v11, v11, v20, vcc
	v_cndmask_b32_e32 v14, v14, v15, vcc
	v_lshlrev_b32_e32 v15, 24, v12
	v_mov_b32_e32 v20, 0x3b800000
	v_lshlrev_b32_e32 v11, 20, v11
	v_and_b32_e32 v15, 0x80000000, v15
	v_lshl_add_u32 v14, v14, 23, v20
	v_or3_b32 v11, v15, v14, v11
.LBB17_584:
	s_or_b64 exec, exec, s[6:7]
	s_nop 0
	v_mfma_f32_16x16x4f32 a[0:3], v10, v11, a[0:3]
	v_lshrrev_b32_e32 v11, 8, v16
	s_movk_i32 s4, 0x7f
	v_cmp_gt_i16_sdwa s[6:7], v11, s4 src0_sel:BYTE_0 src1_sel:DWORD
	s_mov_b64 s[4:5], 0
                                        ; implicit-def: $sgpr10
	s_and_saveexec_b64 s[8:9], s[6:7]
	s_xor_b64 s[6:7], exec, s[8:9]
	s_cbranch_execnz .LBB17_2633
; %bb.585:
	s_or_saveexec_b64 s[6:7], s[6:7]
	v_mov_b32_e32 v10, s10
	s_xor_b64 exec, exec, s[6:7]
	s_cbranch_execnz .LBB17_2636
.LBB17_586:
	s_or_b64 exec, exec, s[6:7]
	s_and_saveexec_b64 s[6:7], s[4:5]
	s_cbranch_execz .LBB17_588
.LBB17_587:
	v_bfe_u32 v10, v16, 8, 3
	v_ffbh_u32_e32 v15, v10
	v_min_u32_e32 v15, 32, v15
	v_lshrrev_b16_e32 v14, 3, v11
	v_subrev_u32_e32 v20, 28, v15
	v_and_b32_e32 v14, 15, v14
	v_lshlrev_b32_e32 v11, v20, v11
	v_sub_u32_e32 v15, 29, v15
	v_and_b32_e32 v11, 7, v11
	v_cmp_eq_u16_e32 vcc, 0, v14
	v_cndmask_b32_e32 v10, v10, v11, vcc
	v_cndmask_b32_e32 v11, v14, v15, vcc
	v_lshlrev_b32_e32 v14, 16, v16
	v_mov_b32_e32 v15, 0x3b800000
	v_lshlrev_b32_e32 v10, 20, v10
	v_and_b32_e32 v14, 0x80000000, v14
	v_lshl_add_u32 v11, v11, 23, v15
	v_or3_b32 v10, v14, v11, v10
.LBB17_588:
	s_or_b64 exec, exec, s[6:7]
	v_lshrrev_b32_e32 v11, 8, v12
	s_movk_i32 s4, 0x7f
	v_cmp_gt_i16_sdwa s[6:7], v11, s4 src0_sel:BYTE_0 src1_sel:DWORD
	s_mov_b64 s[4:5], 0
                                        ; implicit-def: $sgpr10
	s_and_saveexec_b64 s[8:9], s[6:7]
	s_xor_b64 s[6:7], exec, s[8:9]
	s_cbranch_execnz .LBB17_2637
; %bb.589:
	s_or_saveexec_b64 s[6:7], s[6:7]
	v_mov_b32_e32 v14, s10
	s_xor_b64 exec, exec, s[6:7]
	s_cbranch_execnz .LBB17_2640
.LBB17_590:
	s_or_b64 exec, exec, s[6:7]
	s_and_saveexec_b64 s[6:7], s[4:5]
	s_cbranch_execz .LBB17_592
.LBB17_591:
	v_bfe_u32 v14, v12, 8, 3
	v_ffbh_u32_e32 v20, v14
	v_min_u32_e32 v20, 32, v20
	v_lshrrev_b16_e32 v15, 3, v11
	v_subrev_u32_e32 v21, 28, v20
	v_and_b32_e32 v15, 15, v15
	v_lshlrev_b32_e32 v11, v21, v11
	v_sub_u32_e32 v20, 29, v20
	v_and_b32_e32 v11, 7, v11
	v_cmp_eq_u16_e32 vcc, 0, v15
	v_cndmask_b32_e32 v11, v14, v11, vcc
	v_cndmask_b32_e32 v14, v15, v20, vcc
	v_lshlrev_b32_e32 v15, 16, v12
	v_mov_b32_e32 v20, 0x3b800000
	v_lshlrev_b32_e32 v11, 20, v11
	v_and_b32_e32 v15, 0x80000000, v15
	v_lshl_add_u32 v14, v14, 23, v20
	v_or3_b32 v14, v15, v14, v11
.LBB17_592:
	s_or_b64 exec, exec, s[6:7]
	s_nop 0
	v_mfma_f32_16x16x4f32 a[0:3], v10, v14, a[0:3]
	s_movk_i32 s4, 0xff
	v_and_b32_sdwa v11, v16, s4 dst_sel:DWORD dst_unused:UNUSED_PAD src0_sel:WORD_1 src1_sel:DWORD
	s_movk_i32 s4, 0x7f
	v_cmp_lt_i16_e32 vcc, s4, v11
	s_mov_b64 s[4:5], 0
                                        ; implicit-def: $sgpr10
	s_and_saveexec_b64 s[6:7], vcc
	s_xor_b64 s[6:7], exec, s[6:7]
	s_cbranch_execnz .LBB17_2641
; %bb.593:
	s_or_saveexec_b64 s[6:7], s[6:7]
	v_mov_b32_e32 v10, s10
	s_xor_b64 exec, exec, s[6:7]
	s_cbranch_execnz .LBB17_2644
.LBB17_594:
	s_or_b64 exec, exec, s[6:7]
	s_and_saveexec_b64 s[6:7], s[4:5]
	s_cbranch_execz .LBB17_596
.LBB17_595:
	v_bfe_u32 v10, v16, 16, 3
	v_ffbh_u32_e32 v15, v10
	v_min_u32_e32 v15, 32, v15
	v_lshrrev_b32_e32 v11, 19, v16
	v_subrev_u32_e32 v20, 28, v15
	v_and_b32_e32 v11, 15, v11
	v_lshlrev_b32_sdwa v20, v20, v16 dst_sel:DWORD dst_unused:UNUSED_PAD src0_sel:DWORD src1_sel:WORD_1
	v_bfe_u32 v14, v16, 19, 4
	v_sub_u32_e32 v15, 29, v15
	v_and_b32_e32 v20, 7, v20
	v_cmp_eq_u16_e32 vcc, 0, v11
	v_cndmask_b32_e32 v10, v10, v20, vcc
	v_cndmask_b32_e32 v11, v14, v15, vcc
	v_lshlrev_b32_e32 v14, 8, v16
	v_mov_b32_e32 v15, 0x3b800000
	v_lshlrev_b32_e32 v10, 20, v10
	v_and_b32_e32 v14, 0x80000000, v14
	v_lshl_add_u32 v11, v11, 23, v15
	v_or3_b32 v10, v14, v11, v10
.LBB17_596:
	s_or_b64 exec, exec, s[6:7]
	s_movk_i32 s4, 0xff
	v_and_b32_sdwa v11, v12, s4 dst_sel:DWORD dst_unused:UNUSED_PAD src0_sel:WORD_1 src1_sel:DWORD
	s_movk_i32 s4, 0x7f
	v_cmp_lt_i16_e32 vcc, s4, v11
	s_mov_b64 s[4:5], 0
                                        ; implicit-def: $sgpr10
	s_and_saveexec_b64 s[6:7], vcc
	s_xor_b64 s[6:7], exec, s[6:7]
	s_cbranch_execnz .LBB17_2645
; %bb.597:
	s_or_saveexec_b64 s[6:7], s[6:7]
	v_mov_b32_e32 v14, s10
	s_xor_b64 exec, exec, s[6:7]
	s_cbranch_execnz .LBB17_2648
.LBB17_598:
	s_or_b64 exec, exec, s[6:7]
	s_and_saveexec_b64 s[6:7], s[4:5]
	s_cbranch_execz .LBB17_600
.LBB17_599:
	v_bfe_u32 v11, v12, 16, 3
	v_ffbh_u32_e32 v20, v11
	v_min_u32_e32 v20, 32, v20
	v_lshrrev_b32_e32 v14, 19, v12
	v_subrev_u32_e32 v21, 28, v20
	v_and_b32_e32 v14, 15, v14
	v_lshlrev_b32_sdwa v21, v21, v12 dst_sel:DWORD dst_unused:UNUSED_PAD src0_sel:DWORD src1_sel:WORD_1
	v_bfe_u32 v15, v12, 19, 4
	v_sub_u32_e32 v20, 29, v20
	v_and_b32_e32 v21, 7, v21
	v_cmp_eq_u16_e32 vcc, 0, v14
	v_cndmask_b32_e32 v11, v11, v21, vcc
	v_cndmask_b32_e32 v14, v15, v20, vcc
	v_lshlrev_b32_e32 v15, 8, v12
	v_mov_b32_e32 v20, 0x3b800000
	v_lshlrev_b32_e32 v11, 20, v11
	v_and_b32_e32 v15, 0x80000000, v15
	v_lshl_add_u32 v14, v14, 23, v20
	v_or3_b32 v14, v15, v14, v11
.LBB17_600:
	s_or_b64 exec, exec, s[6:7]
	s_nop 0
	v_mfma_f32_16x16x4f32 a[0:3], v10, v14, a[0:3]
	s_movk_i32 s4, 0x7f
	v_cmp_gt_i16_sdwa s[6:7], v16, s4 src0_sel:BYTE_3 src1_sel:DWORD
	s_mov_b64 s[4:5], 0
                                        ; implicit-def: $sgpr10
	s_and_saveexec_b64 s[8:9], s[6:7]
	s_xor_b64 s[6:7], exec, s[8:9]
	s_cbranch_execnz .LBB17_2649
; %bb.601:
	s_or_saveexec_b64 s[6:7], s[6:7]
	v_mov_b32_e32 v10, s10
	s_xor_b64 exec, exec, s[6:7]
	s_cbranch_execnz .LBB17_2652
.LBB17_602:
	s_or_b64 exec, exec, s[6:7]
	s_and_saveexec_b64 s[6:7], s[4:5]
	s_cbranch_execz .LBB17_604
.LBB17_603:
	v_bfe_u32 v10, v16, 24, 3
	v_ffbh_u32_e32 v20, v10
	v_min_u32_e32 v20, 32, v20
	v_lshrrev_b32_e32 v14, 27, v16
	v_subrev_u32_e32 v21, 28, v20
	v_and_b32_e32 v11, 0x80000000, v16
	v_and_b32_e32 v14, 15, v14
	v_bfe_u32 v15, v16, 27, 4
	v_lshlrev_b32_sdwa v16, v21, v16 dst_sel:DWORD dst_unused:UNUSED_PAD src0_sel:DWORD src1_sel:BYTE_3
	v_sub_u32_e32 v20, 29, v20
	v_and_b32_e32 v16, 7, v16
	v_cmp_eq_u16_e32 vcc, 0, v14
	v_cndmask_b32_e32 v10, v10, v16, vcc
	v_cndmask_b32_e32 v14, v15, v20, vcc
	v_mov_b32_e32 v15, 0x3b800000
	v_lshlrev_b32_e32 v10, 20, v10
	v_lshl_add_u32 v14, v14, 23, v15
	v_or3_b32 v10, v11, v14, v10
.LBB17_604:
	s_or_b64 exec, exec, s[6:7]
	s_movk_i32 s4, 0x7f
	v_cmp_gt_i16_sdwa s[6:7], v12, s4 src0_sel:BYTE_3 src1_sel:DWORD
	s_mov_b64 s[4:5], 0
                                        ; implicit-def: $sgpr10
	s_and_saveexec_b64 s[8:9], s[6:7]
	s_xor_b64 s[6:7], exec, s[8:9]
	s_cbranch_execnz .LBB17_2653
; %bb.605:
	s_or_saveexec_b64 s[6:7], s[6:7]
	v_mov_b32_e32 v11, s10
	s_xor_b64 exec, exec, s[6:7]
	s_cbranch_execnz .LBB17_2656
.LBB17_606:
	s_or_b64 exec, exec, s[6:7]
	s_and_saveexec_b64 s[6:7], s[4:5]
	s_cbranch_execz .LBB17_608
.LBB17_607:
	v_bfe_u32 v11, v12, 24, 3
	v_ffbh_u32_e32 v20, v11
	v_min_u32_e32 v20, 32, v20
	v_lshrrev_b32_e32 v15, 27, v12
	v_subrev_u32_e32 v21, 28, v20
	v_and_b32_e32 v14, 0x80000000, v12
	v_and_b32_e32 v15, 15, v15
	v_bfe_u32 v16, v12, 27, 4
	v_lshlrev_b32_sdwa v12, v21, v12 dst_sel:DWORD dst_unused:UNUSED_PAD src0_sel:DWORD src1_sel:BYTE_3
	v_sub_u32_e32 v20, 29, v20
	v_and_b32_e32 v12, 7, v12
	v_cmp_eq_u16_e32 vcc, 0, v15
	v_cndmask_b32_e32 v11, v11, v12, vcc
	v_cndmask_b32_e32 v12, v16, v20, vcc
	v_mov_b32_e32 v15, 0x3b800000
	v_lshlrev_b32_e32 v11, 20, v11
	v_lshl_add_u32 v12, v12, 23, v15
	v_or3_b32 v11, v14, v12, v11
.LBB17_608:
	s_or_b64 exec, exec, s[6:7]
	s_nop 0
	v_mfma_f32_16x16x4f32 a[0:3], v10, v11, a[0:3]
	s_movk_i32 s4, 0x7f
	v_cmp_gt_i16_sdwa s[6:7], v17, s4 src0_sel:BYTE_0 src1_sel:DWORD
	s_mov_b64 s[4:5], 0
                                        ; implicit-def: $sgpr10
	s_and_saveexec_b64 s[8:9], s[6:7]
	s_xor_b64 s[6:7], exec, s[8:9]
	s_cbranch_execnz .LBB17_2657
; %bb.609:
	s_or_saveexec_b64 s[6:7], s[6:7]
	v_mov_b32_e32 v10, s10
	s_xor_b64 exec, exec, s[6:7]
	s_cbranch_execnz .LBB17_2660
.LBB17_610:
	s_or_b64 exec, exec, s[6:7]
	s_and_saveexec_b64 s[6:7], s[4:5]
	s_cbranch_execz .LBB17_612
.LBB17_611:
	v_and_b32_e32 v10, 7, v17
	v_ffbh_u32_e32 v12, v10
	v_min_u32_e32 v12, 32, v12
	v_lshrrev_b16_e32 v11, 3, v17
	v_subrev_u32_e32 v14, 28, v12
	v_and_b32_e32 v11, 15, v11
	v_lshlrev_b32_e32 v14, v14, v17
	v_sub_u32_e32 v12, 29, v12
	v_and_b32_e32 v14, 7, v14
	v_cmp_eq_u16_e32 vcc, 0, v11
	v_cndmask_b32_e32 v10, v10, v14, vcc
	v_cndmask_b32_e32 v11, v11, v12, vcc
	v_lshlrev_b32_e32 v12, 24, v17
	v_mov_b32_e32 v14, 0x3b800000
	v_lshlrev_b32_e32 v10, 20, v10
	v_and_b32_e32 v12, 0x80000000, v12
	v_lshl_add_u32 v11, v11, 23, v14
	v_or3_b32 v10, v12, v11, v10
.LBB17_612:
	s_or_b64 exec, exec, s[6:7]
	s_movk_i32 s4, 0x7f
	v_cmp_gt_i16_sdwa s[6:7], v13, s4 src0_sel:BYTE_0 src1_sel:DWORD
	s_mov_b64 s[4:5], 0
                                        ; implicit-def: $sgpr10
	s_and_saveexec_b64 s[8:9], s[6:7]
	s_xor_b64 s[6:7], exec, s[8:9]
	s_cbranch_execnz .LBB17_2661
; %bb.613:
	s_or_saveexec_b64 s[6:7], s[6:7]
	v_mov_b32_e32 v11, s10
	s_xor_b64 exec, exec, s[6:7]
	s_cbranch_execnz .LBB17_2664
.LBB17_614:
	s_or_b64 exec, exec, s[6:7]
	s_and_saveexec_b64 s[6:7], s[4:5]
	s_cbranch_execz .LBB17_616
.LBB17_615:
	v_and_b32_e32 v11, 7, v13
	v_ffbh_u32_e32 v14, v11
	v_min_u32_e32 v14, 32, v14
	v_lshrrev_b16_e32 v12, 3, v13
	v_subrev_u32_e32 v15, 28, v14
	v_and_b32_e32 v12, 15, v12
	v_lshlrev_b32_e32 v15, v15, v13
	v_sub_u32_e32 v14, 29, v14
	v_and_b32_e32 v15, 7, v15
	v_cmp_eq_u16_e32 vcc, 0, v12
	v_cndmask_b32_e32 v11, v11, v15, vcc
	v_cndmask_b32_e32 v12, v12, v14, vcc
	v_lshlrev_b32_e32 v14, 24, v13
	v_mov_b32_e32 v15, 0x3b800000
	v_lshlrev_b32_e32 v11, 20, v11
	v_and_b32_e32 v14, 0x80000000, v14
	v_lshl_add_u32 v12, v12, 23, v15
	v_or3_b32 v11, v14, v12, v11
.LBB17_616:
	s_or_b64 exec, exec, s[6:7]
	s_nop 0
	v_mfma_f32_16x16x4f32 a[0:3], v10, v11, a[0:3]
	v_lshrrev_b32_e32 v11, 8, v17
	s_movk_i32 s4, 0x7f
	v_cmp_gt_i16_sdwa s[6:7], v11, s4 src0_sel:BYTE_0 src1_sel:DWORD
	s_mov_b64 s[4:5], 0
                                        ; implicit-def: $sgpr10
	s_and_saveexec_b64 s[8:9], s[6:7]
	s_xor_b64 s[6:7], exec, s[8:9]
	s_cbranch_execnz .LBB17_2665
; %bb.617:
	s_or_saveexec_b64 s[6:7], s[6:7]
	v_mov_b32_e32 v10, s10
	s_xor_b64 exec, exec, s[6:7]
	s_cbranch_execnz .LBB17_2668
.LBB17_618:
	s_or_b64 exec, exec, s[6:7]
	s_and_saveexec_b64 s[6:7], s[4:5]
	s_cbranch_execz .LBB17_620
.LBB17_619:
	v_bfe_u32 v10, v17, 8, 3
	v_ffbh_u32_e32 v14, v10
	v_min_u32_e32 v14, 32, v14
	v_lshrrev_b16_e32 v12, 3, v11
	v_subrev_u32_e32 v15, 28, v14
	v_and_b32_e32 v12, 15, v12
	v_lshlrev_b32_e32 v11, v15, v11
	v_sub_u32_e32 v14, 29, v14
	v_and_b32_e32 v11, 7, v11
	v_cmp_eq_u16_e32 vcc, 0, v12
	v_cndmask_b32_e32 v10, v10, v11, vcc
	v_cndmask_b32_e32 v11, v12, v14, vcc
	v_lshlrev_b32_e32 v12, 16, v17
	v_mov_b32_e32 v14, 0x3b800000
	v_lshlrev_b32_e32 v10, 20, v10
	v_and_b32_e32 v12, 0x80000000, v12
	v_lshl_add_u32 v11, v11, 23, v14
	v_or3_b32 v10, v12, v11, v10
.LBB17_620:
	s_or_b64 exec, exec, s[6:7]
	v_lshrrev_b32_e32 v11, 8, v13
	s_movk_i32 s4, 0x7f
	v_cmp_gt_i16_sdwa s[6:7], v11, s4 src0_sel:BYTE_0 src1_sel:DWORD
	s_mov_b64 s[4:5], 0
                                        ; implicit-def: $sgpr10
	s_and_saveexec_b64 s[8:9], s[6:7]
	s_xor_b64 s[6:7], exec, s[8:9]
	s_cbranch_execnz .LBB17_2669
; %bb.621:
	s_or_saveexec_b64 s[6:7], s[6:7]
	v_mov_b32_e32 v12, s10
	s_xor_b64 exec, exec, s[6:7]
	s_cbranch_execnz .LBB17_2672
.LBB17_622:
	s_or_b64 exec, exec, s[6:7]
	s_and_saveexec_b64 s[6:7], s[4:5]
	s_cbranch_execz .LBB17_624
.LBB17_623:
	v_bfe_u32 v12, v13, 8, 3
	v_ffbh_u32_e32 v15, v12
	v_min_u32_e32 v15, 32, v15
	v_lshrrev_b16_e32 v14, 3, v11
	v_subrev_u32_e32 v16, 28, v15
	v_and_b32_e32 v14, 15, v14
	v_lshlrev_b32_e32 v11, v16, v11
	v_sub_u32_e32 v15, 29, v15
	v_and_b32_e32 v11, 7, v11
	v_cmp_eq_u16_e32 vcc, 0, v14
	v_cndmask_b32_e32 v11, v12, v11, vcc
	v_cndmask_b32_e32 v12, v14, v15, vcc
	v_lshlrev_b32_e32 v14, 16, v13
	v_mov_b32_e32 v15, 0x3b800000
	v_lshlrev_b32_e32 v11, 20, v11
	v_and_b32_e32 v14, 0x80000000, v14
	v_lshl_add_u32 v12, v12, 23, v15
	v_or3_b32 v12, v14, v12, v11
.LBB17_624:
	s_or_b64 exec, exec, s[6:7]
	s_nop 0
	v_mfma_f32_16x16x4f32 a[0:3], v10, v12, a[0:3]
	s_movk_i32 s4, 0xff
	v_and_b32_sdwa v11, v17, s4 dst_sel:DWORD dst_unused:UNUSED_PAD src0_sel:WORD_1 src1_sel:DWORD
	s_movk_i32 s4, 0x7f
	v_cmp_lt_i16_e32 vcc, s4, v11
	s_mov_b64 s[4:5], 0
                                        ; implicit-def: $sgpr10
	s_and_saveexec_b64 s[6:7], vcc
	s_xor_b64 s[6:7], exec, s[6:7]
	s_cbranch_execnz .LBB17_2673
; %bb.625:
	s_or_saveexec_b64 s[6:7], s[6:7]
	v_mov_b32_e32 v10, s10
	s_xor_b64 exec, exec, s[6:7]
	s_cbranch_execnz .LBB17_2676
.LBB17_626:
	s_or_b64 exec, exec, s[6:7]
	s_and_saveexec_b64 s[6:7], s[4:5]
	s_cbranch_execz .LBB17_628
.LBB17_627:
	v_bfe_u32 v10, v17, 16, 3
	v_ffbh_u32_e32 v14, v10
	v_min_u32_e32 v14, 32, v14
	v_lshrrev_b32_e32 v11, 19, v17
	v_subrev_u32_e32 v15, 28, v14
	v_and_b32_e32 v11, 15, v11
	v_lshlrev_b32_sdwa v15, v15, v17 dst_sel:DWORD dst_unused:UNUSED_PAD src0_sel:DWORD src1_sel:WORD_1
	v_bfe_u32 v12, v17, 19, 4
	v_sub_u32_e32 v14, 29, v14
	v_and_b32_e32 v15, 7, v15
	v_cmp_eq_u16_e32 vcc, 0, v11
	v_cndmask_b32_e32 v10, v10, v15, vcc
	v_cndmask_b32_e32 v11, v12, v14, vcc
	v_lshlrev_b32_e32 v12, 8, v17
	v_mov_b32_e32 v14, 0x3b800000
	v_lshlrev_b32_e32 v10, 20, v10
	v_and_b32_e32 v12, 0x80000000, v12
	v_lshl_add_u32 v11, v11, 23, v14
	v_or3_b32 v10, v12, v11, v10
.LBB17_628:
	s_or_b64 exec, exec, s[6:7]
	s_movk_i32 s4, 0xff
	v_and_b32_sdwa v11, v13, s4 dst_sel:DWORD dst_unused:UNUSED_PAD src0_sel:WORD_1 src1_sel:DWORD
	s_movk_i32 s4, 0x7f
	v_cmp_lt_i16_e32 vcc, s4, v11
	s_mov_b64 s[4:5], 0
                                        ; implicit-def: $sgpr10
	s_and_saveexec_b64 s[6:7], vcc
	s_xor_b64 s[6:7], exec, s[6:7]
	s_cbranch_execnz .LBB17_2677
; %bb.629:
	s_or_saveexec_b64 s[6:7], s[6:7]
	v_mov_b32_e32 v12, s10
	s_xor_b64 exec, exec, s[6:7]
	s_cbranch_execnz .LBB17_2680
.LBB17_630:
	s_or_b64 exec, exec, s[6:7]
	s_and_saveexec_b64 s[6:7], s[4:5]
	s_cbranch_execz .LBB17_632
.LBB17_631:
	v_bfe_u32 v11, v13, 16, 3
	v_ffbh_u32_e32 v15, v11
	v_min_u32_e32 v15, 32, v15
	v_lshrrev_b32_e32 v12, 19, v13
	v_subrev_u32_e32 v16, 28, v15
	v_and_b32_e32 v12, 15, v12
	v_lshlrev_b32_sdwa v16, v16, v13 dst_sel:DWORD dst_unused:UNUSED_PAD src0_sel:DWORD src1_sel:WORD_1
	v_bfe_u32 v14, v13, 19, 4
	v_sub_u32_e32 v15, 29, v15
	v_and_b32_e32 v16, 7, v16
	v_cmp_eq_u16_e32 vcc, 0, v12
	v_cndmask_b32_e32 v11, v11, v16, vcc
	v_cndmask_b32_e32 v12, v14, v15, vcc
	v_lshlrev_b32_e32 v14, 8, v13
	v_mov_b32_e32 v15, 0x3b800000
	v_lshlrev_b32_e32 v11, 20, v11
	v_and_b32_e32 v14, 0x80000000, v14
	v_lshl_add_u32 v12, v12, 23, v15
	v_or3_b32 v12, v14, v12, v11
.LBB17_632:
	s_or_b64 exec, exec, s[6:7]
	s_nop 0
	v_mfma_f32_16x16x4f32 a[0:3], v10, v12, a[0:3]
	s_movk_i32 s4, 0x7f
	v_cmp_gt_i16_sdwa s[6:7], v17, s4 src0_sel:BYTE_3 src1_sel:DWORD
	s_mov_b64 s[4:5], 0
                                        ; implicit-def: $sgpr10
	s_and_saveexec_b64 s[8:9], s[6:7]
	s_xor_b64 s[6:7], exec, s[8:9]
	s_cbranch_execnz .LBB17_2681
; %bb.633:
	s_or_saveexec_b64 s[6:7], s[6:7]
	v_mov_b32_e32 v10, s10
	s_xor_b64 exec, exec, s[6:7]
	s_cbranch_execnz .LBB17_2684
.LBB17_634:
	s_or_b64 exec, exec, s[6:7]
	s_and_saveexec_b64 s[6:7], s[4:5]
	s_cbranch_execz .LBB17_636
.LBB17_635:
	v_bfe_u32 v10, v17, 24, 3
	v_ffbh_u32_e32 v15, v10
	v_min_u32_e32 v15, 32, v15
	v_lshrrev_b32_e32 v12, 27, v17
	v_subrev_u32_e32 v16, 28, v15
	v_and_b32_e32 v12, 15, v12
	v_lshlrev_b32_sdwa v16, v16, v17 dst_sel:DWORD dst_unused:UNUSED_PAD src0_sel:DWORD src1_sel:BYTE_3
	v_bfe_u32 v14, v17, 27, 4
	v_sub_u32_e32 v15, 29, v15
	v_and_b32_e32 v16, 7, v16
	v_cmp_eq_u16_e32 vcc, 0, v12
	v_cndmask_b32_e32 v10, v10, v16, vcc
	v_cndmask_b32_e32 v12, v14, v15, vcc
	v_mov_b32_e32 v14, 0x3b800000
	v_and_b32_e32 v11, 0x80000000, v17
	v_lshlrev_b32_e32 v10, 20, v10
	v_lshl_add_u32 v12, v12, 23, v14
	v_or3_b32 v10, v11, v12, v10
.LBB17_636:
	s_or_b64 exec, exec, s[6:7]
	s_movk_i32 s4, 0x7f
	v_cmp_gt_i16_sdwa s[6:7], v13, s4 src0_sel:BYTE_3 src1_sel:DWORD
	s_mov_b64 s[4:5], 0
                                        ; implicit-def: $sgpr10
	s_and_saveexec_b64 s[8:9], s[6:7]
	s_xor_b64 s[6:7], exec, s[8:9]
	s_cbranch_execnz .LBB17_2685
; %bb.637:
	s_or_saveexec_b64 s[6:7], s[6:7]
	v_mov_b32_e32 v11, s10
	s_xor_b64 exec, exec, s[6:7]
	s_cbranch_execnz .LBB17_2688
.LBB17_638:
	s_or_b64 exec, exec, s[6:7]
	s_and_saveexec_b64 s[6:7], s[4:5]
	s_cbranch_execz .LBB17_640
.LBB17_639:
	v_bfe_u32 v11, v13, 24, 3
	v_ffbh_u32_e32 v16, v11
	v_min_u32_e32 v16, 32, v16
	v_lshrrev_b32_e32 v14, 27, v13
	v_subrev_u32_e32 v17, 28, v16
	v_and_b32_e32 v12, 0x80000000, v13
	v_and_b32_e32 v14, 15, v14
	v_bfe_u32 v15, v13, 27, 4
	v_lshlrev_b32_sdwa v13, v17, v13 dst_sel:DWORD dst_unused:UNUSED_PAD src0_sel:DWORD src1_sel:BYTE_3
	v_sub_u32_e32 v16, 29, v16
	v_and_b32_e32 v13, 7, v13
	v_cmp_eq_u16_e32 vcc, 0, v14
	v_cndmask_b32_e32 v11, v11, v13, vcc
	v_cndmask_b32_e32 v13, v15, v16, vcc
	v_mov_b32_e32 v14, 0x3b800000
	v_lshlrev_b32_e32 v11, 20, v11
	v_lshl_add_u32 v13, v13, 23, v14
	v_or3_b32 v11, v12, v13, v11
.LBB17_640:
	s_or_b64 exec, exec, s[6:7]
	s_nop 0
	v_mfma_f32_16x16x4f32 a[0:3], v10, v11, a[0:3]
	s_movk_i32 s4, 0x7f
	v_cmp_gt_i16_sdwa s[6:7], v6, s4 src0_sel:BYTE_0 src1_sel:DWORD
	s_mov_b64 s[4:5], 0
                                        ; implicit-def: $sgpr10
	s_and_saveexec_b64 s[8:9], s[6:7]
	s_xor_b64 s[6:7], exec, s[8:9]
	s_cbranch_execnz .LBB17_2689
; %bb.641:
	s_or_saveexec_b64 s[6:7], s[6:7]
	v_mov_b32_e32 v10, s10
	s_xor_b64 exec, exec, s[6:7]
	s_cbranch_execnz .LBB17_2692
.LBB17_642:
	s_or_b64 exec, exec, s[6:7]
	s_and_saveexec_b64 s[6:7], s[4:5]
	s_cbranch_execz .LBB17_644
.LBB17_643:
	v_and_b32_e32 v10, 7, v6
	v_ffbh_u32_e32 v12, v10
	v_min_u32_e32 v12, 32, v12
	v_lshrrev_b16_e32 v11, 3, v6
	v_subrev_u32_e32 v13, 28, v12
	v_and_b32_e32 v11, 15, v11
	v_lshlrev_b32_e32 v13, v13, v6
	v_sub_u32_e32 v12, 29, v12
	v_and_b32_e32 v13, 7, v13
	v_cmp_eq_u16_e32 vcc, 0, v11
	v_cndmask_b32_e32 v10, v10, v13, vcc
	v_cndmask_b32_e32 v11, v11, v12, vcc
	v_lshlrev_b32_e32 v12, 24, v6
	v_mov_b32_e32 v13, 0x3b800000
	v_lshlrev_b32_e32 v10, 20, v10
	v_and_b32_e32 v12, 0x80000000, v12
	v_lshl_add_u32 v11, v11, 23, v13
	v_or3_b32 v10, v12, v11, v10
.LBB17_644:
	s_or_b64 exec, exec, s[6:7]
	s_movk_i32 s4, 0x7f
	v_cmp_gt_i16_sdwa s[6:7], v2, s4 src0_sel:BYTE_0 src1_sel:DWORD
	s_mov_b64 s[4:5], 0
                                        ; implicit-def: $sgpr10
	s_and_saveexec_b64 s[8:9], s[6:7]
	s_xor_b64 s[6:7], exec, s[8:9]
	s_cbranch_execnz .LBB17_2693
; %bb.645:
	s_or_saveexec_b64 s[6:7], s[6:7]
	v_mov_b32_e32 v11, s10
	s_xor_b64 exec, exec, s[6:7]
	s_cbranch_execnz .LBB17_2696
.LBB17_646:
	s_or_b64 exec, exec, s[6:7]
	s_and_saveexec_b64 s[6:7], s[4:5]
	s_cbranch_execz .LBB17_648
.LBB17_647:
	v_and_b32_e32 v11, 7, v2
	v_ffbh_u32_e32 v13, v11
	v_min_u32_e32 v13, 32, v13
	v_lshrrev_b16_e32 v12, 3, v2
	v_subrev_u32_e32 v14, 28, v13
	v_and_b32_e32 v12, 15, v12
	v_lshlrev_b32_e32 v14, v14, v2
	v_sub_u32_e32 v13, 29, v13
	v_and_b32_e32 v14, 7, v14
	v_cmp_eq_u16_e32 vcc, 0, v12
	v_cndmask_b32_e32 v11, v11, v14, vcc
	v_cndmask_b32_e32 v12, v12, v13, vcc
	v_lshlrev_b32_e32 v13, 24, v2
	v_mov_b32_e32 v14, 0x3b800000
	v_lshlrev_b32_e32 v11, 20, v11
	v_and_b32_e32 v13, 0x80000000, v13
	v_lshl_add_u32 v12, v12, 23, v14
	v_or3_b32 v11, v13, v12, v11
.LBB17_648:
	s_or_b64 exec, exec, s[6:7]
	s_nop 0
	v_mfma_f32_16x16x4f32 a[0:3], v10, v11, a[0:3]
	v_lshrrev_b32_e32 v11, 8, v6
	s_movk_i32 s4, 0x7f
	v_cmp_gt_i16_sdwa s[6:7], v11, s4 src0_sel:BYTE_0 src1_sel:DWORD
	s_mov_b64 s[4:5], 0
                                        ; implicit-def: $sgpr10
	s_and_saveexec_b64 s[8:9], s[6:7]
	s_xor_b64 s[6:7], exec, s[8:9]
	s_cbranch_execnz .LBB17_2697
; %bb.649:
	s_or_saveexec_b64 s[6:7], s[6:7]
	v_mov_b32_e32 v10, s10
	s_xor_b64 exec, exec, s[6:7]
	s_cbranch_execnz .LBB17_2700
.LBB17_650:
	s_or_b64 exec, exec, s[6:7]
	s_and_saveexec_b64 s[6:7], s[4:5]
	s_cbranch_execz .LBB17_652
.LBB17_651:
	v_bfe_u32 v10, v6, 8, 3
	v_ffbh_u32_e32 v13, v10
	v_min_u32_e32 v13, 32, v13
	v_lshrrev_b16_e32 v12, 3, v11
	v_subrev_u32_e32 v14, 28, v13
	v_and_b32_e32 v12, 15, v12
	v_lshlrev_b32_e32 v11, v14, v11
	v_sub_u32_e32 v13, 29, v13
	v_and_b32_e32 v11, 7, v11
	v_cmp_eq_u16_e32 vcc, 0, v12
	v_cndmask_b32_e32 v10, v10, v11, vcc
	v_cndmask_b32_e32 v11, v12, v13, vcc
	v_lshlrev_b32_e32 v12, 16, v6
	v_mov_b32_e32 v13, 0x3b800000
	v_lshlrev_b32_e32 v10, 20, v10
	v_and_b32_e32 v12, 0x80000000, v12
	v_lshl_add_u32 v11, v11, 23, v13
	v_or3_b32 v10, v12, v11, v10
.LBB17_652:
	s_or_b64 exec, exec, s[6:7]
	v_lshrrev_b32_e32 v11, 8, v2
	s_movk_i32 s4, 0x7f
	v_cmp_gt_i16_sdwa s[6:7], v11, s4 src0_sel:BYTE_0 src1_sel:DWORD
	s_mov_b64 s[4:5], 0
                                        ; implicit-def: $sgpr10
	s_and_saveexec_b64 s[8:9], s[6:7]
	s_xor_b64 s[6:7], exec, s[8:9]
	s_cbranch_execnz .LBB17_2701
; %bb.653:
	s_or_saveexec_b64 s[6:7], s[6:7]
	v_mov_b32_e32 v12, s10
	s_xor_b64 exec, exec, s[6:7]
	s_cbranch_execnz .LBB17_2704
.LBB17_654:
	s_or_b64 exec, exec, s[6:7]
	s_and_saveexec_b64 s[6:7], s[4:5]
	s_cbranch_execz .LBB17_656
.LBB17_655:
	v_bfe_u32 v12, v2, 8, 3
	v_ffbh_u32_e32 v14, v12
	v_min_u32_e32 v14, 32, v14
	v_lshrrev_b16_e32 v13, 3, v11
	v_subrev_u32_e32 v15, 28, v14
	v_and_b32_e32 v13, 15, v13
	v_lshlrev_b32_e32 v11, v15, v11
	v_sub_u32_e32 v14, 29, v14
	v_and_b32_e32 v11, 7, v11
	v_cmp_eq_u16_e32 vcc, 0, v13
	v_cndmask_b32_e32 v11, v12, v11, vcc
	v_cndmask_b32_e32 v12, v13, v14, vcc
	v_lshlrev_b32_e32 v13, 16, v2
	v_mov_b32_e32 v14, 0x3b800000
	v_lshlrev_b32_e32 v11, 20, v11
	v_and_b32_e32 v13, 0x80000000, v13
	v_lshl_add_u32 v12, v12, 23, v14
	v_or3_b32 v12, v13, v12, v11
.LBB17_656:
	s_or_b64 exec, exec, s[6:7]
	s_nop 0
	v_mfma_f32_16x16x4f32 a[0:3], v10, v12, a[0:3]
	s_movk_i32 s4, 0xff
	v_and_b32_sdwa v11, v6, s4 dst_sel:DWORD dst_unused:UNUSED_PAD src0_sel:WORD_1 src1_sel:DWORD
	s_movk_i32 s4, 0x7f
	v_cmp_lt_i16_e32 vcc, s4, v11
	s_mov_b64 s[4:5], 0
                                        ; implicit-def: $sgpr10
	s_and_saveexec_b64 s[6:7], vcc
	s_xor_b64 s[6:7], exec, s[6:7]
	s_cbranch_execnz .LBB17_2705
; %bb.657:
	s_or_saveexec_b64 s[6:7], s[6:7]
	v_mov_b32_e32 v10, s10
	s_xor_b64 exec, exec, s[6:7]
	s_cbranch_execnz .LBB17_2708
.LBB17_658:
	s_or_b64 exec, exec, s[6:7]
	s_and_saveexec_b64 s[6:7], s[4:5]
	s_cbranch_execz .LBB17_660
.LBB17_659:
	v_bfe_u32 v10, v6, 16, 3
	v_ffbh_u32_e32 v13, v10
	v_min_u32_e32 v13, 32, v13
	v_lshrrev_b32_e32 v11, 19, v6
	v_subrev_u32_e32 v14, 28, v13
	v_and_b32_e32 v11, 15, v11
	v_lshlrev_b32_sdwa v14, v14, v6 dst_sel:DWORD dst_unused:UNUSED_PAD src0_sel:DWORD src1_sel:WORD_1
	v_bfe_u32 v12, v6, 19, 4
	v_sub_u32_e32 v13, 29, v13
	v_and_b32_e32 v14, 7, v14
	v_cmp_eq_u16_e32 vcc, 0, v11
	v_cndmask_b32_e32 v10, v10, v14, vcc
	v_cndmask_b32_e32 v11, v12, v13, vcc
	v_lshlrev_b32_e32 v12, 8, v6
	v_mov_b32_e32 v13, 0x3b800000
	v_lshlrev_b32_e32 v10, 20, v10
	v_and_b32_e32 v12, 0x80000000, v12
	v_lshl_add_u32 v11, v11, 23, v13
	v_or3_b32 v10, v12, v11, v10
.LBB17_660:
	s_or_b64 exec, exec, s[6:7]
	s_movk_i32 s4, 0xff
	v_and_b32_sdwa v11, v2, s4 dst_sel:DWORD dst_unused:UNUSED_PAD src0_sel:WORD_1 src1_sel:DWORD
	s_movk_i32 s4, 0x7f
	v_cmp_lt_i16_e32 vcc, s4, v11
	s_mov_b64 s[4:5], 0
                                        ; implicit-def: $sgpr10
	s_and_saveexec_b64 s[6:7], vcc
	s_xor_b64 s[6:7], exec, s[6:7]
	s_cbranch_execnz .LBB17_2709
; %bb.661:
	s_or_saveexec_b64 s[6:7], s[6:7]
	v_mov_b32_e32 v12, s10
	s_xor_b64 exec, exec, s[6:7]
	s_cbranch_execnz .LBB17_2712
.LBB17_662:
	s_or_b64 exec, exec, s[6:7]
	s_and_saveexec_b64 s[6:7], s[4:5]
	s_cbranch_execz .LBB17_664
.LBB17_663:
	v_bfe_u32 v11, v2, 16, 3
	v_ffbh_u32_e32 v14, v11
	v_min_u32_e32 v14, 32, v14
	v_lshrrev_b32_e32 v12, 19, v2
	v_subrev_u32_e32 v15, 28, v14
	v_and_b32_e32 v12, 15, v12
	v_lshlrev_b32_sdwa v15, v15, v2 dst_sel:DWORD dst_unused:UNUSED_PAD src0_sel:DWORD src1_sel:WORD_1
	v_bfe_u32 v13, v2, 19, 4
	v_sub_u32_e32 v14, 29, v14
	v_and_b32_e32 v15, 7, v15
	v_cmp_eq_u16_e32 vcc, 0, v12
	v_cndmask_b32_e32 v11, v11, v15, vcc
	v_cndmask_b32_e32 v12, v13, v14, vcc
	v_lshlrev_b32_e32 v13, 8, v2
	v_mov_b32_e32 v14, 0x3b800000
	v_lshlrev_b32_e32 v11, 20, v11
	v_and_b32_e32 v13, 0x80000000, v13
	v_lshl_add_u32 v12, v12, 23, v14
	v_or3_b32 v12, v13, v12, v11
.LBB17_664:
	s_or_b64 exec, exec, s[6:7]
	s_nop 0
	v_mfma_f32_16x16x4f32 a[0:3], v10, v12, a[0:3]
	s_movk_i32 s4, 0x7f
	v_cmp_gt_i16_sdwa s[6:7], v6, s4 src0_sel:BYTE_3 src1_sel:DWORD
	s_mov_b64 s[4:5], 0
                                        ; implicit-def: $sgpr10
	s_and_saveexec_b64 s[8:9], s[6:7]
	s_xor_b64 s[6:7], exec, s[8:9]
	s_cbranch_execnz .LBB17_2713
; %bb.665:
	s_or_saveexec_b64 s[6:7], s[6:7]
	v_mov_b32_e32 v10, s10
	s_xor_b64 exec, exec, s[6:7]
	s_cbranch_execnz .LBB17_2716
.LBB17_666:
	s_or_b64 exec, exec, s[6:7]
	s_and_saveexec_b64 s[6:7], s[4:5]
	s_cbranch_execz .LBB17_668
.LBB17_667:
	v_bfe_u32 v10, v6, 24, 3
	v_ffbh_u32_e32 v14, v10
	v_min_u32_e32 v14, 32, v14
	v_lshrrev_b32_e32 v12, 27, v6
	v_subrev_u32_e32 v15, 28, v14
	v_and_b32_e32 v11, 0x80000000, v6
	v_and_b32_e32 v12, 15, v12
	v_bfe_u32 v13, v6, 27, 4
	v_lshlrev_b32_sdwa v6, v15, v6 dst_sel:DWORD dst_unused:UNUSED_PAD src0_sel:DWORD src1_sel:BYTE_3
	v_sub_u32_e32 v14, 29, v14
	v_and_b32_e32 v6, 7, v6
	v_cmp_eq_u16_e32 vcc, 0, v12
	v_cndmask_b32_e32 v6, v10, v6, vcc
	v_cndmask_b32_e32 v10, v13, v14, vcc
	v_mov_b32_e32 v12, 0x3b800000
	v_lshlrev_b32_e32 v6, 20, v6
	v_lshl_add_u32 v10, v10, 23, v12
	v_or3_b32 v10, v11, v10, v6
.LBB17_668:
	s_or_b64 exec, exec, s[6:7]
	s_movk_i32 s4, 0x7f
	v_cmp_gt_i16_sdwa s[6:7], v2, s4 src0_sel:BYTE_3 src1_sel:DWORD
	s_mov_b64 s[4:5], 0
                                        ; implicit-def: $sgpr10
	s_and_saveexec_b64 s[8:9], s[6:7]
	s_xor_b64 s[6:7], exec, s[8:9]
	s_cbranch_execnz .LBB17_2717
; %bb.669:
	s_or_saveexec_b64 s[6:7], s[6:7]
	v_mov_b32_e32 v6, s10
	s_xor_b64 exec, exec, s[6:7]
	s_cbranch_execnz .LBB17_2720
.LBB17_670:
	s_or_b64 exec, exec, s[6:7]
	s_and_saveexec_b64 s[6:7], s[4:5]
	s_cbranch_execz .LBB17_672
.LBB17_671:
	v_bfe_u32 v6, v2, 24, 3
	v_ffbh_u32_e32 v14, v6
	v_min_u32_e32 v14, 32, v14
	v_lshrrev_b32_e32 v12, 27, v2
	v_subrev_u32_e32 v15, 28, v14
	v_and_b32_e32 v11, 0x80000000, v2
	v_and_b32_e32 v12, 15, v12
	v_bfe_u32 v13, v2, 27, 4
	v_lshlrev_b32_sdwa v2, v15, v2 dst_sel:DWORD dst_unused:UNUSED_PAD src0_sel:DWORD src1_sel:BYTE_3
	v_sub_u32_e32 v14, 29, v14
	v_and_b32_e32 v2, 7, v2
	v_cmp_eq_u16_e32 vcc, 0, v12
	v_cndmask_b32_e32 v2, v6, v2, vcc
	v_cndmask_b32_e32 v6, v13, v14, vcc
	v_mov_b32_e32 v12, 0x3b800000
	v_lshlrev_b32_e32 v2, 20, v2
	v_lshl_add_u32 v6, v6, 23, v12
	v_or3_b32 v6, v11, v6, v2
.LBB17_672:
	s_or_b64 exec, exec, s[6:7]
	s_nop 0
	v_mfma_f32_16x16x4f32 a[0:3], v10, v6, a[0:3]
	s_movk_i32 s4, 0x7f
	v_cmp_gt_i16_sdwa s[6:7], v7, s4 src0_sel:BYTE_0 src1_sel:DWORD
	s_mov_b64 s[4:5], 0
                                        ; implicit-def: $sgpr10
	s_and_saveexec_b64 s[8:9], s[6:7]
	s_xor_b64 s[6:7], exec, s[8:9]
	s_cbranch_execnz .LBB17_2721
; %bb.673:
	s_or_saveexec_b64 s[6:7], s[6:7]
	v_mov_b32_e32 v2, s10
	s_xor_b64 exec, exec, s[6:7]
	s_cbranch_execnz .LBB17_2724
.LBB17_674:
	s_or_b64 exec, exec, s[6:7]
	s_and_saveexec_b64 s[6:7], s[4:5]
	s_cbranch_execz .LBB17_676
.LBB17_675:
	v_and_b32_e32 v2, 7, v7
	v_ffbh_u32_e32 v10, v2
	v_min_u32_e32 v10, 32, v10
	v_lshrrev_b16_e32 v6, 3, v7
	v_subrev_u32_e32 v11, 28, v10
	v_and_b32_e32 v6, 15, v6
	v_lshlrev_b32_e32 v11, v11, v7
	v_sub_u32_e32 v10, 29, v10
	v_and_b32_e32 v11, 7, v11
	v_cmp_eq_u16_e32 vcc, 0, v6
	v_cndmask_b32_e32 v2, v2, v11, vcc
	v_cndmask_b32_e32 v6, v6, v10, vcc
	v_lshlrev_b32_e32 v10, 24, v7
	v_mov_b32_e32 v11, 0x3b800000
	v_lshlrev_b32_e32 v2, 20, v2
	v_and_b32_e32 v10, 0x80000000, v10
	v_lshl_add_u32 v6, v6, 23, v11
	v_or3_b32 v2, v10, v6, v2
.LBB17_676:
	s_or_b64 exec, exec, s[6:7]
	s_movk_i32 s4, 0x7f
	v_cmp_gt_i16_sdwa s[6:7], v3, s4 src0_sel:BYTE_0 src1_sel:DWORD
	s_mov_b64 s[4:5], 0
                                        ; implicit-def: $sgpr10
	s_and_saveexec_b64 s[8:9], s[6:7]
	s_xor_b64 s[6:7], exec, s[8:9]
	s_cbranch_execnz .LBB17_2725
; %bb.677:
	s_or_saveexec_b64 s[6:7], s[6:7]
	v_mov_b32_e32 v6, s10
	s_xor_b64 exec, exec, s[6:7]
	s_cbranch_execnz .LBB17_2728
.LBB17_678:
	s_or_b64 exec, exec, s[6:7]
	s_and_saveexec_b64 s[6:7], s[4:5]
	s_cbranch_execz .LBB17_680
.LBB17_679:
	v_and_b32_e32 v6, 7, v3
	v_ffbh_u32_e32 v11, v6
	v_min_u32_e32 v11, 32, v11
	v_lshrrev_b16_e32 v10, 3, v3
	v_subrev_u32_e32 v12, 28, v11
	v_and_b32_e32 v10, 15, v10
	v_lshlrev_b32_e32 v12, v12, v3
	v_sub_u32_e32 v11, 29, v11
	v_and_b32_e32 v12, 7, v12
	v_cmp_eq_u16_e32 vcc, 0, v10
	v_cndmask_b32_e32 v6, v6, v12, vcc
	v_cndmask_b32_e32 v10, v10, v11, vcc
	v_lshlrev_b32_e32 v11, 24, v3
	v_mov_b32_e32 v12, 0x3b800000
	v_lshlrev_b32_e32 v6, 20, v6
	v_and_b32_e32 v11, 0x80000000, v11
	v_lshl_add_u32 v10, v10, 23, v12
	v_or3_b32 v6, v11, v10, v6
.LBB17_680:
	s_or_b64 exec, exec, s[6:7]
	s_nop 0
	v_mfma_f32_16x16x4f32 a[0:3], v2, v6, a[0:3]
	v_lshrrev_b32_e32 v6, 8, v7
	s_movk_i32 s4, 0x7f
	v_cmp_gt_i16_sdwa s[6:7], v6, s4 src0_sel:BYTE_0 src1_sel:DWORD
	s_mov_b64 s[4:5], 0
                                        ; implicit-def: $sgpr10
	s_and_saveexec_b64 s[8:9], s[6:7]
	s_xor_b64 s[6:7], exec, s[8:9]
	s_cbranch_execnz .LBB17_2729
; %bb.681:
	s_or_saveexec_b64 s[6:7], s[6:7]
	v_mov_b32_e32 v2, s10
	s_xor_b64 exec, exec, s[6:7]
	s_cbranch_execnz .LBB17_2732
.LBB17_682:
	s_or_b64 exec, exec, s[6:7]
	s_and_saveexec_b64 s[6:7], s[4:5]
	s_cbranch_execz .LBB17_684
.LBB17_683:
	v_bfe_u32 v2, v7, 8, 3
	v_ffbh_u32_e32 v11, v2
	v_min_u32_e32 v11, 32, v11
	v_lshrrev_b16_e32 v10, 3, v6
	v_subrev_u32_e32 v12, 28, v11
	v_and_b32_e32 v10, 15, v10
	v_lshlrev_b32_e32 v6, v12, v6
	v_sub_u32_e32 v11, 29, v11
	v_and_b32_e32 v6, 7, v6
	v_cmp_eq_u16_e32 vcc, 0, v10
	v_cndmask_b32_e32 v2, v2, v6, vcc
	v_cndmask_b32_e32 v6, v10, v11, vcc
	v_lshlrev_b32_e32 v10, 16, v7
	v_mov_b32_e32 v11, 0x3b800000
	v_lshlrev_b32_e32 v2, 20, v2
	v_and_b32_e32 v10, 0x80000000, v10
	v_lshl_add_u32 v6, v6, 23, v11
	v_or3_b32 v2, v10, v6, v2
.LBB17_684:
	s_or_b64 exec, exec, s[6:7]
	v_lshrrev_b32_e32 v6, 8, v3
	s_movk_i32 s4, 0x7f
	v_cmp_gt_i16_sdwa s[6:7], v6, s4 src0_sel:BYTE_0 src1_sel:DWORD
	s_mov_b64 s[4:5], 0
                                        ; implicit-def: $sgpr10
	s_and_saveexec_b64 s[8:9], s[6:7]
	s_xor_b64 s[6:7], exec, s[8:9]
	s_cbranch_execnz .LBB17_2733
; %bb.685:
	s_or_saveexec_b64 s[6:7], s[6:7]
	v_mov_b32_e32 v10, s10
	s_xor_b64 exec, exec, s[6:7]
	s_cbranch_execnz .LBB17_2736
.LBB17_686:
	s_or_b64 exec, exec, s[6:7]
	s_and_saveexec_b64 s[6:7], s[4:5]
	s_cbranch_execz .LBB17_688
.LBB17_687:
	v_bfe_u32 v10, v3, 8, 3
	v_ffbh_u32_e32 v12, v10
	v_min_u32_e32 v12, 32, v12
	v_lshrrev_b16_e32 v11, 3, v6
	v_subrev_u32_e32 v13, 28, v12
	v_and_b32_e32 v11, 15, v11
	v_lshlrev_b32_e32 v6, v13, v6
	v_sub_u32_e32 v12, 29, v12
	v_and_b32_e32 v6, 7, v6
	v_cmp_eq_u16_e32 vcc, 0, v11
	v_cndmask_b32_e32 v6, v10, v6, vcc
	v_cndmask_b32_e32 v10, v11, v12, vcc
	v_lshlrev_b32_e32 v11, 16, v3
	v_mov_b32_e32 v12, 0x3b800000
	v_lshlrev_b32_e32 v6, 20, v6
	v_and_b32_e32 v11, 0x80000000, v11
	v_lshl_add_u32 v10, v10, 23, v12
	v_or3_b32 v10, v11, v10, v6
.LBB17_688:
	s_or_b64 exec, exec, s[6:7]
	s_nop 0
	v_mfma_f32_16x16x4f32 a[0:3], v2, v10, a[0:3]
	s_movk_i32 s4, 0xff
	v_and_b32_sdwa v6, v7, s4 dst_sel:DWORD dst_unused:UNUSED_PAD src0_sel:WORD_1 src1_sel:DWORD
	s_movk_i32 s4, 0x7f
	v_cmp_lt_i16_e32 vcc, s4, v6
	s_mov_b64 s[4:5], 0
                                        ; implicit-def: $sgpr10
	s_and_saveexec_b64 s[6:7], vcc
	s_xor_b64 s[6:7], exec, s[6:7]
	s_cbranch_execnz .LBB17_2737
; %bb.689:
	s_or_saveexec_b64 s[6:7], s[6:7]
	v_mov_b32_e32 v2, s10
	s_xor_b64 exec, exec, s[6:7]
	s_cbranch_execnz .LBB17_2740
.LBB17_690:
	s_or_b64 exec, exec, s[6:7]
	s_and_saveexec_b64 s[6:7], s[4:5]
	s_cbranch_execz .LBB17_692
.LBB17_691:
	v_bfe_u32 v2, v7, 16, 3
	v_ffbh_u32_e32 v11, v2
	v_min_u32_e32 v11, 32, v11
	v_lshrrev_b32_e32 v6, 19, v7
	v_subrev_u32_e32 v12, 28, v11
	v_and_b32_e32 v6, 15, v6
	v_lshlrev_b32_sdwa v12, v12, v7 dst_sel:DWORD dst_unused:UNUSED_PAD src0_sel:DWORD src1_sel:WORD_1
	v_bfe_u32 v10, v7, 19, 4
	v_sub_u32_e32 v11, 29, v11
	v_and_b32_e32 v12, 7, v12
	v_cmp_eq_u16_e32 vcc, 0, v6
	v_cndmask_b32_e32 v2, v2, v12, vcc
	v_cndmask_b32_e32 v6, v10, v11, vcc
	v_lshlrev_b32_e32 v10, 8, v7
	v_mov_b32_e32 v11, 0x3b800000
	v_lshlrev_b32_e32 v2, 20, v2
	v_and_b32_e32 v10, 0x80000000, v10
	v_lshl_add_u32 v6, v6, 23, v11
	v_or3_b32 v2, v10, v6, v2
.LBB17_692:
	s_or_b64 exec, exec, s[6:7]
	s_movk_i32 s4, 0xff
	v_and_b32_sdwa v6, v3, s4 dst_sel:DWORD dst_unused:UNUSED_PAD src0_sel:WORD_1 src1_sel:DWORD
	s_movk_i32 s4, 0x7f
	v_cmp_lt_i16_e32 vcc, s4, v6
	s_mov_b64 s[4:5], 0
                                        ; implicit-def: $sgpr10
	s_and_saveexec_b64 s[6:7], vcc
	s_xor_b64 s[6:7], exec, s[6:7]
	s_cbranch_execnz .LBB17_2741
; %bb.693:
	s_or_saveexec_b64 s[6:7], s[6:7]
	v_mov_b32_e32 v10, s10
	s_xor_b64 exec, exec, s[6:7]
	s_cbranch_execnz .LBB17_2744
.LBB17_694:
	s_or_b64 exec, exec, s[6:7]
	s_and_saveexec_b64 s[6:7], s[4:5]
	s_cbranch_execz .LBB17_696
.LBB17_695:
	v_bfe_u32 v6, v3, 16, 3
	v_ffbh_u32_e32 v12, v6
	v_min_u32_e32 v12, 32, v12
	v_lshrrev_b32_e32 v10, 19, v3
	v_subrev_u32_e32 v13, 28, v12
	v_and_b32_e32 v10, 15, v10
	v_lshlrev_b32_sdwa v13, v13, v3 dst_sel:DWORD dst_unused:UNUSED_PAD src0_sel:DWORD src1_sel:WORD_1
	v_bfe_u32 v11, v3, 19, 4
	v_sub_u32_e32 v12, 29, v12
	v_and_b32_e32 v13, 7, v13
	v_cmp_eq_u16_e32 vcc, 0, v10
	v_cndmask_b32_e32 v6, v6, v13, vcc
	v_cndmask_b32_e32 v10, v11, v12, vcc
	v_lshlrev_b32_e32 v11, 8, v3
	v_mov_b32_e32 v12, 0x3b800000
	v_lshlrev_b32_e32 v6, 20, v6
	v_and_b32_e32 v11, 0x80000000, v11
	v_lshl_add_u32 v10, v10, 23, v12
	v_or3_b32 v10, v11, v10, v6
.LBB17_696:
	s_or_b64 exec, exec, s[6:7]
	s_nop 0
	v_mfma_f32_16x16x4f32 a[0:3], v2, v10, a[0:3]
	s_movk_i32 s4, 0x7f
	v_cmp_gt_i16_sdwa s[6:7], v7, s4 src0_sel:BYTE_3 src1_sel:DWORD
	s_mov_b64 s[4:5], 0
                                        ; implicit-def: $sgpr10
	s_and_saveexec_b64 s[8:9], s[6:7]
	s_xor_b64 s[6:7], exec, s[8:9]
	s_cbranch_execnz .LBB17_2745
; %bb.697:
	s_or_saveexec_b64 s[6:7], s[6:7]
	v_mov_b32_e32 v2, s10
	s_xor_b64 exec, exec, s[6:7]
	s_cbranch_execnz .LBB17_2748
.LBB17_698:
	s_or_b64 exec, exec, s[6:7]
	s_and_saveexec_b64 s[6:7], s[4:5]
	s_cbranch_execz .LBB17_700
.LBB17_699:
	v_bfe_u32 v2, v7, 24, 3
	v_ffbh_u32_e32 v12, v2
	v_min_u32_e32 v12, 32, v12
	v_lshrrev_b32_e32 v10, 27, v7
	v_subrev_u32_e32 v13, 28, v12
	v_and_b32_e32 v6, 0x80000000, v7
	v_and_b32_e32 v10, 15, v10
	v_bfe_u32 v11, v7, 27, 4
	v_lshlrev_b32_sdwa v7, v13, v7 dst_sel:DWORD dst_unused:UNUSED_PAD src0_sel:DWORD src1_sel:BYTE_3
	v_sub_u32_e32 v12, 29, v12
	v_and_b32_e32 v7, 7, v7
	v_cmp_eq_u16_e32 vcc, 0, v10
	v_cndmask_b32_e32 v2, v2, v7, vcc
	v_cndmask_b32_e32 v7, v11, v12, vcc
	v_mov_b32_e32 v10, 0x3b800000
	v_lshlrev_b32_e32 v2, 20, v2
	v_lshl_add_u32 v7, v7, 23, v10
	v_or3_b32 v2, v6, v7, v2
.LBB17_700:
	s_or_b64 exec, exec, s[6:7]
	s_movk_i32 s4, 0x7f
	v_cmp_gt_i16_sdwa s[6:7], v3, s4 src0_sel:BYTE_3 src1_sel:DWORD
	s_mov_b64 s[4:5], 0
                                        ; implicit-def: $sgpr10
	s_and_saveexec_b64 s[8:9], s[6:7]
	s_xor_b64 s[6:7], exec, s[8:9]
	s_cbranch_execnz .LBB17_2749
; %bb.701:
	s_or_saveexec_b64 s[6:7], s[6:7]
	v_mov_b32_e32 v6, s10
	s_xor_b64 exec, exec, s[6:7]
	s_cbranch_execnz .LBB17_2752
.LBB17_702:
	s_or_b64 exec, exec, s[6:7]
	s_and_saveexec_b64 s[6:7], s[4:5]
	s_cbranch_execz .LBB17_704
.LBB17_703:
	v_bfe_u32 v6, v3, 24, 3
	v_ffbh_u32_e32 v12, v6
	v_min_u32_e32 v12, 32, v12
	v_lshrrev_b32_e32 v10, 27, v3
	v_subrev_u32_e32 v13, 28, v12
	v_and_b32_e32 v7, 0x80000000, v3
	v_and_b32_e32 v10, 15, v10
	v_bfe_u32 v11, v3, 27, 4
	v_lshlrev_b32_sdwa v3, v13, v3 dst_sel:DWORD dst_unused:UNUSED_PAD src0_sel:DWORD src1_sel:BYTE_3
	v_sub_u32_e32 v12, 29, v12
	v_and_b32_e32 v3, 7, v3
	v_cmp_eq_u16_e32 vcc, 0, v10
	v_cndmask_b32_e32 v3, v6, v3, vcc
	v_cndmask_b32_e32 v6, v11, v12, vcc
	v_mov_b32_e32 v10, 0x3b800000
	v_lshlrev_b32_e32 v3, 20, v3
	v_lshl_add_u32 v6, v6, 23, v10
	v_or3_b32 v6, v7, v6, v3
.LBB17_704:
	s_or_b64 exec, exec, s[6:7]
	s_nop 0
	v_mfma_f32_16x16x4f32 a[0:3], v2, v6, a[0:3]
	s_movk_i32 s4, 0x7f
	v_cmp_gt_i16_sdwa s[6:7], v8, s4 src0_sel:BYTE_0 src1_sel:DWORD
	s_mov_b64 s[4:5], 0
                                        ; implicit-def: $sgpr10
	s_and_saveexec_b64 s[8:9], s[6:7]
	s_xor_b64 s[6:7], exec, s[8:9]
	s_cbranch_execnz .LBB17_2753
; %bb.705:
	s_or_saveexec_b64 s[6:7], s[6:7]
	v_mov_b32_e32 v2, s10
	s_xor_b64 exec, exec, s[6:7]
	s_cbranch_execnz .LBB17_2756
.LBB17_706:
	s_or_b64 exec, exec, s[6:7]
	s_and_saveexec_b64 s[6:7], s[4:5]
	s_cbranch_execz .LBB17_708
.LBB17_707:
	v_and_b32_e32 v2, 7, v8
	v_ffbh_u32_e32 v6, v2
	v_min_u32_e32 v6, 32, v6
	v_lshrrev_b16_e32 v3, 3, v8
	v_subrev_u32_e32 v7, 28, v6
	v_and_b32_e32 v3, 15, v3
	v_lshlrev_b32_e32 v7, v7, v8
	v_sub_u32_e32 v6, 29, v6
	v_and_b32_e32 v7, 7, v7
	v_cmp_eq_u16_e32 vcc, 0, v3
	v_cndmask_b32_e32 v2, v2, v7, vcc
	v_cndmask_b32_e32 v3, v3, v6, vcc
	v_lshlrev_b32_e32 v6, 24, v8
	v_mov_b32_e32 v7, 0x3b800000
	v_lshlrev_b32_e32 v2, 20, v2
	v_and_b32_e32 v6, 0x80000000, v6
	v_lshl_add_u32 v3, v3, 23, v7
	v_or3_b32 v2, v6, v3, v2
.LBB17_708:
	s_or_b64 exec, exec, s[6:7]
	s_movk_i32 s4, 0x7f
	v_cmp_gt_i16_sdwa s[6:7], v4, s4 src0_sel:BYTE_0 src1_sel:DWORD
	s_mov_b64 s[4:5], 0
                                        ; implicit-def: $sgpr10
	s_and_saveexec_b64 s[8:9], s[6:7]
	s_xor_b64 s[6:7], exec, s[8:9]
	s_cbranch_execnz .LBB17_2757
; %bb.709:
	s_or_saveexec_b64 s[6:7], s[6:7]
	v_mov_b32_e32 v3, s10
	s_xor_b64 exec, exec, s[6:7]
	s_cbranch_execnz .LBB17_2760
.LBB17_710:
	s_or_b64 exec, exec, s[6:7]
	s_and_saveexec_b64 s[6:7], s[4:5]
	s_cbranch_execz .LBB17_712
.LBB17_711:
	v_and_b32_e32 v3, 7, v4
	v_ffbh_u32_e32 v7, v3
	v_min_u32_e32 v7, 32, v7
	v_lshrrev_b16_e32 v6, 3, v4
	v_subrev_u32_e32 v10, 28, v7
	v_and_b32_e32 v6, 15, v6
	v_lshlrev_b32_e32 v10, v10, v4
	v_sub_u32_e32 v7, 29, v7
	v_and_b32_e32 v10, 7, v10
	v_cmp_eq_u16_e32 vcc, 0, v6
	v_cndmask_b32_e32 v3, v3, v10, vcc
	v_cndmask_b32_e32 v6, v6, v7, vcc
	v_lshlrev_b32_e32 v7, 24, v4
	v_mov_b32_e32 v10, 0x3b800000
	v_lshlrev_b32_e32 v3, 20, v3
	v_and_b32_e32 v7, 0x80000000, v7
	v_lshl_add_u32 v6, v6, 23, v10
	v_or3_b32 v3, v7, v6, v3
.LBB17_712:
	s_or_b64 exec, exec, s[6:7]
	s_nop 0
	v_mfma_f32_16x16x4f32 a[0:3], v2, v3, a[0:3]
	v_lshrrev_b32_e32 v3, 8, v8
	s_movk_i32 s4, 0x7f
	v_cmp_gt_i16_sdwa s[6:7], v3, s4 src0_sel:BYTE_0 src1_sel:DWORD
	s_mov_b64 s[4:5], 0
                                        ; implicit-def: $sgpr10
	s_and_saveexec_b64 s[8:9], s[6:7]
	s_xor_b64 s[6:7], exec, s[8:9]
	s_cbranch_execnz .LBB17_2761
; %bb.713:
	s_or_saveexec_b64 s[6:7], s[6:7]
	v_mov_b32_e32 v2, s10
	s_xor_b64 exec, exec, s[6:7]
	s_cbranch_execnz .LBB17_2764
.LBB17_714:
	s_or_b64 exec, exec, s[6:7]
	s_and_saveexec_b64 s[6:7], s[4:5]
	s_cbranch_execz .LBB17_716
.LBB17_715:
	v_bfe_u32 v2, v8, 8, 3
	v_ffbh_u32_e32 v7, v2
	v_min_u32_e32 v7, 32, v7
	v_lshrrev_b16_e32 v6, 3, v3
	v_subrev_u32_e32 v10, 28, v7
	v_and_b32_e32 v6, 15, v6
	v_lshlrev_b32_e32 v3, v10, v3
	v_sub_u32_e32 v7, 29, v7
	v_and_b32_e32 v3, 7, v3
	v_cmp_eq_u16_e32 vcc, 0, v6
	v_cndmask_b32_e32 v2, v2, v3, vcc
	v_cndmask_b32_e32 v3, v6, v7, vcc
	v_lshlrev_b32_e32 v6, 16, v8
	v_mov_b32_e32 v7, 0x3b800000
	v_lshlrev_b32_e32 v2, 20, v2
	v_and_b32_e32 v6, 0x80000000, v6
	v_lshl_add_u32 v3, v3, 23, v7
	v_or3_b32 v2, v6, v3, v2
.LBB17_716:
	s_or_b64 exec, exec, s[6:7]
	v_lshrrev_b32_e32 v3, 8, v4
	s_movk_i32 s4, 0x7f
	v_cmp_gt_i16_sdwa s[6:7], v3, s4 src0_sel:BYTE_0 src1_sel:DWORD
	s_mov_b64 s[4:5], 0
                                        ; implicit-def: $sgpr10
	s_and_saveexec_b64 s[8:9], s[6:7]
	s_xor_b64 s[6:7], exec, s[8:9]
	s_cbranch_execnz .LBB17_2765
; %bb.717:
	s_or_saveexec_b64 s[6:7], s[6:7]
	v_mov_b32_e32 v6, s10
	s_xor_b64 exec, exec, s[6:7]
	s_cbranch_execnz .LBB17_2768
.LBB17_718:
	s_or_b64 exec, exec, s[6:7]
	s_and_saveexec_b64 s[6:7], s[4:5]
	s_cbranch_execz .LBB17_720
.LBB17_719:
	v_bfe_u32 v6, v4, 8, 3
	v_ffbh_u32_e32 v10, v6
	v_min_u32_e32 v10, 32, v10
	v_lshrrev_b16_e32 v7, 3, v3
	v_subrev_u32_e32 v11, 28, v10
	v_and_b32_e32 v7, 15, v7
	v_lshlrev_b32_e32 v3, v11, v3
	v_sub_u32_e32 v10, 29, v10
	v_and_b32_e32 v3, 7, v3
	v_cmp_eq_u16_e32 vcc, 0, v7
	v_cndmask_b32_e32 v3, v6, v3, vcc
	v_cndmask_b32_e32 v6, v7, v10, vcc
	v_lshlrev_b32_e32 v7, 16, v4
	v_mov_b32_e32 v10, 0x3b800000
	v_lshlrev_b32_e32 v3, 20, v3
	v_and_b32_e32 v7, 0x80000000, v7
	v_lshl_add_u32 v6, v6, 23, v10
	v_or3_b32 v6, v7, v6, v3
.LBB17_720:
	s_or_b64 exec, exec, s[6:7]
	s_nop 0
	v_mfma_f32_16x16x4f32 a[0:3], v2, v6, a[0:3]
	s_movk_i32 s4, 0xff
	v_and_b32_sdwa v3, v8, s4 dst_sel:DWORD dst_unused:UNUSED_PAD src0_sel:WORD_1 src1_sel:DWORD
	s_movk_i32 s4, 0x7f
	v_cmp_lt_i16_e32 vcc, s4, v3
	s_mov_b64 s[4:5], 0
                                        ; implicit-def: $sgpr10
	s_and_saveexec_b64 s[6:7], vcc
	s_xor_b64 s[6:7], exec, s[6:7]
	s_cbranch_execnz .LBB17_2769
; %bb.721:
	s_or_saveexec_b64 s[6:7], s[6:7]
	v_mov_b32_e32 v2, s10
	s_xor_b64 exec, exec, s[6:7]
	s_cbranch_execnz .LBB17_2772
.LBB17_722:
	s_or_b64 exec, exec, s[6:7]
	s_and_saveexec_b64 s[6:7], s[4:5]
	s_cbranch_execz .LBB17_724
.LBB17_723:
	v_bfe_u32 v2, v8, 16, 3
	v_ffbh_u32_e32 v7, v2
	v_min_u32_e32 v7, 32, v7
	v_lshrrev_b32_e32 v3, 19, v8
	v_subrev_u32_e32 v10, 28, v7
	v_and_b32_e32 v3, 15, v3
	v_lshlrev_b32_sdwa v10, v10, v8 dst_sel:DWORD dst_unused:UNUSED_PAD src0_sel:DWORD src1_sel:WORD_1
	v_bfe_u32 v6, v8, 19, 4
	v_sub_u32_e32 v7, 29, v7
	v_and_b32_e32 v10, 7, v10
	v_cmp_eq_u16_e32 vcc, 0, v3
	v_cndmask_b32_e32 v2, v2, v10, vcc
	v_cndmask_b32_e32 v3, v6, v7, vcc
	v_lshlrev_b32_e32 v6, 8, v8
	v_mov_b32_e32 v7, 0x3b800000
	v_lshlrev_b32_e32 v2, 20, v2
	v_and_b32_e32 v6, 0x80000000, v6
	v_lshl_add_u32 v3, v3, 23, v7
	v_or3_b32 v2, v6, v3, v2
.LBB17_724:
	s_or_b64 exec, exec, s[6:7]
	s_movk_i32 s4, 0xff
	v_and_b32_sdwa v3, v4, s4 dst_sel:DWORD dst_unused:UNUSED_PAD src0_sel:WORD_1 src1_sel:DWORD
	s_movk_i32 s4, 0x7f
	v_cmp_lt_i16_e32 vcc, s4, v3
	s_mov_b64 s[4:5], 0
                                        ; implicit-def: $sgpr10
	s_and_saveexec_b64 s[6:7], vcc
	s_xor_b64 s[6:7], exec, s[6:7]
	s_cbranch_execnz .LBB17_2773
; %bb.725:
	s_or_saveexec_b64 s[6:7], s[6:7]
	v_mov_b32_e32 v6, s10
	s_xor_b64 exec, exec, s[6:7]
	s_cbranch_execnz .LBB17_2776
.LBB17_726:
	s_or_b64 exec, exec, s[6:7]
	s_and_saveexec_b64 s[6:7], s[4:5]
	s_cbranch_execz .LBB17_728
.LBB17_727:
	v_bfe_u32 v3, v4, 16, 3
	v_ffbh_u32_e32 v10, v3
	v_min_u32_e32 v10, 32, v10
	v_lshrrev_b32_e32 v6, 19, v4
	v_subrev_u32_e32 v11, 28, v10
	v_and_b32_e32 v6, 15, v6
	v_lshlrev_b32_sdwa v11, v11, v4 dst_sel:DWORD dst_unused:UNUSED_PAD src0_sel:DWORD src1_sel:WORD_1
	v_bfe_u32 v7, v4, 19, 4
	v_sub_u32_e32 v10, 29, v10
	v_and_b32_e32 v11, 7, v11
	v_cmp_eq_u16_e32 vcc, 0, v6
	v_cndmask_b32_e32 v3, v3, v11, vcc
	v_cndmask_b32_e32 v6, v7, v10, vcc
	v_lshlrev_b32_e32 v7, 8, v4
	v_mov_b32_e32 v10, 0x3b800000
	v_lshlrev_b32_e32 v3, 20, v3
	v_and_b32_e32 v7, 0x80000000, v7
	v_lshl_add_u32 v6, v6, 23, v10
	v_or3_b32 v6, v7, v6, v3
.LBB17_728:
	s_or_b64 exec, exec, s[6:7]
	s_nop 0
	v_mfma_f32_16x16x4f32 a[0:3], v2, v6, a[0:3]
	s_movk_i32 s4, 0x7f
	v_cmp_gt_i16_sdwa s[6:7], v8, s4 src0_sel:BYTE_3 src1_sel:DWORD
	s_mov_b64 s[4:5], 0
                                        ; implicit-def: $sgpr10
	s_and_saveexec_b64 s[8:9], s[6:7]
	s_xor_b64 s[6:7], exec, s[8:9]
	s_cbranch_execnz .LBB17_2777
; %bb.729:
	s_or_saveexec_b64 s[6:7], s[6:7]
	v_mov_b32_e32 v2, s10
	s_xor_b64 exec, exec, s[6:7]
	s_cbranch_execnz .LBB17_2780
.LBB17_730:
	s_or_b64 exec, exec, s[6:7]
	s_and_saveexec_b64 s[6:7], s[4:5]
	s_cbranch_execz .LBB17_732
.LBB17_731:
	v_bfe_u32 v2, v8, 24, 3
	v_ffbh_u32_e32 v10, v2
	v_min_u32_e32 v10, 32, v10
	v_lshrrev_b32_e32 v6, 27, v8
	v_subrev_u32_e32 v11, 28, v10
	v_and_b32_e32 v3, 0x80000000, v8
	v_and_b32_e32 v6, 15, v6
	v_bfe_u32 v7, v8, 27, 4
	v_lshlrev_b32_sdwa v8, v11, v8 dst_sel:DWORD dst_unused:UNUSED_PAD src0_sel:DWORD src1_sel:BYTE_3
	v_sub_u32_e32 v10, 29, v10
	v_and_b32_e32 v8, 7, v8
	v_cmp_eq_u16_e32 vcc, 0, v6
	v_cndmask_b32_e32 v2, v2, v8, vcc
	v_cndmask_b32_e32 v6, v7, v10, vcc
	v_mov_b32_e32 v7, 0x3b800000
	v_lshlrev_b32_e32 v2, 20, v2
	v_lshl_add_u32 v6, v6, 23, v7
	v_or3_b32 v2, v3, v6, v2
.LBB17_732:
	s_or_b64 exec, exec, s[6:7]
	s_movk_i32 s4, 0x7f
	v_cmp_gt_i16_sdwa s[6:7], v4, s4 src0_sel:BYTE_3 src1_sel:DWORD
	s_mov_b64 s[4:5], 0
                                        ; implicit-def: $sgpr10
	s_and_saveexec_b64 s[8:9], s[6:7]
	s_xor_b64 s[6:7], exec, s[8:9]
	s_cbranch_execnz .LBB17_2781
; %bb.733:
	s_or_saveexec_b64 s[6:7], s[6:7]
	v_mov_b32_e32 v3, s10
	s_xor_b64 exec, exec, s[6:7]
	s_cbranch_execnz .LBB17_2784
.LBB17_734:
	s_or_b64 exec, exec, s[6:7]
	s_and_saveexec_b64 s[6:7], s[4:5]
	s_cbranch_execz .LBB17_736
.LBB17_735:
	v_bfe_u32 v3, v4, 24, 3
	v_ffbh_u32_e32 v10, v3
	v_min_u32_e32 v10, 32, v10
	v_lshrrev_b32_e32 v7, 27, v4
	v_subrev_u32_e32 v11, 28, v10
	v_and_b32_e32 v6, 0x80000000, v4
	v_and_b32_e32 v7, 15, v7
	v_bfe_u32 v8, v4, 27, 4
	v_lshlrev_b32_sdwa v4, v11, v4 dst_sel:DWORD dst_unused:UNUSED_PAD src0_sel:DWORD src1_sel:BYTE_3
	v_sub_u32_e32 v10, 29, v10
	v_and_b32_e32 v4, 7, v4
	v_cmp_eq_u16_e32 vcc, 0, v7
	v_cndmask_b32_e32 v3, v3, v4, vcc
	v_cndmask_b32_e32 v4, v8, v10, vcc
	v_mov_b32_e32 v7, 0x3b800000
	v_lshlrev_b32_e32 v3, 20, v3
	v_lshl_add_u32 v4, v4, 23, v7
	v_or3_b32 v3, v6, v4, v3
.LBB17_736:
	s_or_b64 exec, exec, s[6:7]
	s_nop 0
	v_mfma_f32_16x16x4f32 a[0:3], v2, v3, a[0:3]
	s_movk_i32 s4, 0x7f
	v_cmp_gt_i16_sdwa s[6:7], v9, s4 src0_sel:BYTE_0 src1_sel:DWORD
	s_mov_b64 s[4:5], 0
                                        ; implicit-def: $sgpr10
	s_and_saveexec_b64 s[8:9], s[6:7]
	s_xor_b64 s[6:7], exec, s[8:9]
	s_cbranch_execnz .LBB17_2785
; %bb.737:
	s_or_saveexec_b64 s[6:7], s[6:7]
	v_mov_b32_e32 v2, s10
	s_xor_b64 exec, exec, s[6:7]
	s_cbranch_execnz .LBB17_2788
.LBB17_738:
	s_or_b64 exec, exec, s[6:7]
	s_and_saveexec_b64 s[6:7], s[4:5]
	s_cbranch_execz .LBB17_740
.LBB17_739:
	v_mov_b32_e32 v2, 8
	v_and_b32_e32 v3, 7, v9
	v_lshrrev_b32_sdwa v2, v2, v9 dst_sel:BYTE_1 dst_unused:UNUSED_PAD src0_sel:DWORD src1_sel:DWORD
	v_ffbh_u32_e32 v4, v3
	v_or_b32_sdwa v2, v9, v2 dst_sel:DWORD dst_unused:UNUSED_PAD src0_sel:BYTE_0 src1_sel:DWORD
	v_min_u32_e32 v4, 32, v4
	v_lshrrev_b16_e32 v2, 3, v2
	v_subrev_u32_e32 v6, 28, v4
	v_and_b32_e32 v2, 15, v2
	v_lshlrev_b32_e32 v6, v6, v9
	v_sub_u32_e32 v4, 29, v4
	v_and_b32_e32 v6, 7, v6
	v_cmp_eq_u16_e32 vcc, 0, v2
	v_cndmask_b32_e32 v3, v3, v6, vcc
	v_cndmask_b32_e32 v2, v2, v4, vcc
	v_lshlrev_b32_e32 v4, 24, v9
	v_mov_b32_e32 v6, 0x3b800000
	v_lshlrev_b32_e32 v3, 20, v3
	v_and_b32_e32 v4, 0x80000000, v4
	v_lshl_add_u32 v2, v2, 23, v6
	v_or3_b32 v2, v4, v2, v3
.LBB17_740:
	s_or_b64 exec, exec, s[6:7]
	s_movk_i32 s4, 0x7f
	v_cmp_gt_i16_sdwa s[6:7], v5, s4 src0_sel:BYTE_0 src1_sel:DWORD
	s_mov_b64 s[4:5], 0
                                        ; implicit-def: $sgpr10
	s_and_saveexec_b64 s[8:9], s[6:7]
	s_xor_b64 s[6:7], exec, s[8:9]
	s_cbranch_execnz .LBB17_2789
; %bb.741:
	s_or_saveexec_b64 s[6:7], s[6:7]
	v_mov_b32_e32 v3, s10
	s_xor_b64 exec, exec, s[6:7]
	s_cbranch_execnz .LBB17_2792
.LBB17_742:
	s_or_b64 exec, exec, s[6:7]
	s_and_saveexec_b64 s[6:7], s[4:5]
	s_cbranch_execz .LBB17_744
.LBB17_743:
	v_mov_b32_e32 v3, 8
	v_and_b32_e32 v4, 7, v5
	v_lshrrev_b32_sdwa v3, v3, v5 dst_sel:BYTE_1 dst_unused:UNUSED_PAD src0_sel:DWORD src1_sel:DWORD
	v_ffbh_u32_e32 v6, v4
	v_or_b32_sdwa v3, v5, v3 dst_sel:DWORD dst_unused:UNUSED_PAD src0_sel:BYTE_0 src1_sel:DWORD
	v_min_u32_e32 v6, 32, v6
	v_lshrrev_b16_e32 v3, 3, v3
	v_subrev_u32_e32 v7, 28, v6
	v_and_b32_e32 v3, 15, v3
	v_lshlrev_b32_e32 v7, v7, v5
	v_sub_u32_e32 v6, 29, v6
	v_and_b32_e32 v7, 7, v7
	v_cmp_eq_u16_e32 vcc, 0, v3
	v_cndmask_b32_e32 v4, v4, v7, vcc
	v_cndmask_b32_e32 v3, v3, v6, vcc
	v_lshlrev_b32_e32 v6, 24, v5
	v_mov_b32_e32 v7, 0x3b800000
	v_lshlrev_b32_e32 v4, 20, v4
	v_and_b32_e32 v6, 0x80000000, v6
	v_lshl_add_u32 v3, v3, 23, v7
	v_or3_b32 v3, v6, v3, v4
.LBB17_744:
	s_or_b64 exec, exec, s[6:7]
	s_nop 0
	v_mfma_f32_16x16x4f32 a[0:3], v2, v3, a[0:3]
	v_lshrrev_b32_e32 v3, 8, v9
	s_movk_i32 s4, 0x7f
	v_cmp_gt_i16_sdwa s[6:7], v3, s4 src0_sel:BYTE_0 src1_sel:DWORD
	s_mov_b64 s[4:5], 0
                                        ; implicit-def: $sgpr10
	s_and_saveexec_b64 s[8:9], s[6:7]
	s_xor_b64 s[6:7], exec, s[8:9]
	s_cbranch_execnz .LBB17_2793
; %bb.745:
	s_or_saveexec_b64 s[6:7], s[6:7]
	v_mov_b32_e32 v2, s10
	s_xor_b64 exec, exec, s[6:7]
	s_cbranch_execnz .LBB17_2796
.LBB17_746:
	s_or_b64 exec, exec, s[6:7]
	s_and_saveexec_b64 s[6:7], s[4:5]
	s_cbranch_execz .LBB17_748
.LBB17_747:
	v_bfe_u32 v2, v9, 8, 3
	v_ffbh_u32_e32 v6, v2
	v_min_u32_e32 v6, 32, v6
	v_lshrrev_b16_e32 v4, 3, v3
	v_subrev_u32_e32 v7, 28, v6
	v_and_b32_e32 v4, 15, v4
	v_lshlrev_b32_e32 v3, v7, v3
	v_sub_u32_e32 v6, 29, v6
	v_and_b32_e32 v3, 7, v3
	v_cmp_eq_u16_e32 vcc, 0, v4
	v_cndmask_b32_e32 v2, v2, v3, vcc
	v_cndmask_b32_e32 v3, v4, v6, vcc
	v_lshlrev_b32_e32 v4, 16, v9
	v_mov_b32_e32 v6, 0x3b800000
	v_lshlrev_b32_e32 v2, 20, v2
	v_and_b32_e32 v4, 0x80000000, v4
	v_lshl_add_u32 v3, v3, 23, v6
	v_or3_b32 v2, v4, v3, v2
.LBB17_748:
	s_or_b64 exec, exec, s[6:7]
	v_lshrrev_b32_e32 v3, 8, v5
	s_movk_i32 s4, 0x7f
	v_cmp_gt_i16_sdwa s[6:7], v3, s4 src0_sel:BYTE_0 src1_sel:DWORD
	s_mov_b64 s[4:5], 0
                                        ; implicit-def: $sgpr10
	s_and_saveexec_b64 s[8:9], s[6:7]
	s_xor_b64 s[6:7], exec, s[8:9]
	s_cbranch_execnz .LBB17_2797
; %bb.749:
	s_or_saveexec_b64 s[6:7], s[6:7]
	v_mov_b32_e32 v4, s10
	s_xor_b64 exec, exec, s[6:7]
	s_cbranch_execnz .LBB17_2800
.LBB17_750:
	s_or_b64 exec, exec, s[6:7]
	s_and_saveexec_b64 s[6:7], s[4:5]
	s_cbranch_execz .LBB17_752
.LBB17_751:
	v_bfe_u32 v4, v5, 8, 3
	v_ffbh_u32_e32 v7, v4
	v_min_u32_e32 v7, 32, v7
	v_lshrrev_b16_e32 v6, 3, v3
	v_subrev_u32_e32 v8, 28, v7
	v_and_b32_e32 v6, 15, v6
	v_lshlrev_b32_e32 v3, v8, v3
	v_sub_u32_e32 v7, 29, v7
	v_and_b32_e32 v3, 7, v3
	v_cmp_eq_u16_e32 vcc, 0, v6
	v_cndmask_b32_e32 v3, v4, v3, vcc
	v_cndmask_b32_e32 v4, v6, v7, vcc
	v_lshlrev_b32_e32 v6, 16, v5
	v_mov_b32_e32 v7, 0x3b800000
	v_lshlrev_b32_e32 v3, 20, v3
	v_and_b32_e32 v6, 0x80000000, v6
	v_lshl_add_u32 v4, v4, 23, v7
	v_or3_b32 v4, v6, v4, v3
.LBB17_752:
	s_or_b64 exec, exec, s[6:7]
	s_nop 0
	v_mfma_f32_16x16x4f32 a[0:3], v2, v4, a[0:3]
	s_movk_i32 s4, 0xff
	v_and_b32_sdwa v3, v9, s4 dst_sel:DWORD dst_unused:UNUSED_PAD src0_sel:WORD_1 src1_sel:DWORD
	s_movk_i32 s4, 0x7f
	v_cmp_lt_i16_e32 vcc, s4, v3
	s_mov_b64 s[4:5], 0
                                        ; implicit-def: $sgpr10
	s_and_saveexec_b64 s[6:7], vcc
	s_xor_b64 s[6:7], exec, s[6:7]
	s_cbranch_execnz .LBB17_2801
; %bb.753:
	s_or_saveexec_b64 s[6:7], s[6:7]
	v_mov_b32_e32 v2, s10
	s_xor_b64 exec, exec, s[6:7]
	s_cbranch_execnz .LBB17_2804
.LBB17_754:
	s_or_b64 exec, exec, s[6:7]
	s_and_saveexec_b64 s[6:7], s[4:5]
	s_cbranch_execz .LBB17_756
.LBB17_755:
	v_bfe_u32 v2, v9, 16, 3
	v_ffbh_u32_e32 v6, v2
	v_min_u32_e32 v6, 32, v6
	v_lshrrev_b32_e32 v3, 19, v9
	v_subrev_u32_e32 v7, 28, v6
	v_and_b32_e32 v3, 15, v3
	v_lshlrev_b32_sdwa v7, v7, v9 dst_sel:DWORD dst_unused:UNUSED_PAD src0_sel:DWORD src1_sel:WORD_1
	v_bfe_u32 v4, v9, 19, 4
	v_sub_u32_e32 v6, 29, v6
	v_and_b32_e32 v7, 7, v7
	v_cmp_eq_u16_e32 vcc, 0, v3
	v_cndmask_b32_e32 v2, v2, v7, vcc
	v_cndmask_b32_e32 v3, v4, v6, vcc
	v_lshlrev_b32_e32 v4, 8, v9
	v_mov_b32_e32 v6, 0x3b800000
	v_lshlrev_b32_e32 v2, 20, v2
	v_and_b32_e32 v4, 0x80000000, v4
	v_lshl_add_u32 v3, v3, 23, v6
	v_or3_b32 v2, v4, v3, v2
.LBB17_756:
	s_or_b64 exec, exec, s[6:7]
	s_movk_i32 s4, 0xff
	v_and_b32_sdwa v3, v5, s4 dst_sel:DWORD dst_unused:UNUSED_PAD src0_sel:WORD_1 src1_sel:DWORD
	s_movk_i32 s4, 0x7f
	v_cmp_lt_i16_e32 vcc, s4, v3
	s_mov_b64 s[4:5], 0
                                        ; implicit-def: $sgpr10
	s_and_saveexec_b64 s[6:7], vcc
	s_xor_b64 s[6:7], exec, s[6:7]
	s_cbranch_execnz .LBB17_2805
; %bb.757:
	s_or_saveexec_b64 s[6:7], s[6:7]
	v_mov_b32_e32 v4, s10
	s_xor_b64 exec, exec, s[6:7]
	s_cbranch_execnz .LBB17_2808
.LBB17_758:
	s_or_b64 exec, exec, s[6:7]
	s_and_saveexec_b64 s[6:7], s[4:5]
	s_cbranch_execz .LBB17_760
.LBB17_759:
	v_bfe_u32 v3, v5, 16, 3
	v_ffbh_u32_e32 v7, v3
	v_min_u32_e32 v7, 32, v7
	v_lshrrev_b32_e32 v4, 19, v5
	v_subrev_u32_e32 v8, 28, v7
	v_and_b32_e32 v4, 15, v4
	v_lshlrev_b32_sdwa v8, v8, v5 dst_sel:DWORD dst_unused:UNUSED_PAD src0_sel:DWORD src1_sel:WORD_1
	v_bfe_u32 v6, v5, 19, 4
	v_sub_u32_e32 v7, 29, v7
	v_and_b32_e32 v8, 7, v8
	v_cmp_eq_u16_e32 vcc, 0, v4
	v_cndmask_b32_e32 v3, v3, v8, vcc
	v_cndmask_b32_e32 v4, v6, v7, vcc
	v_lshlrev_b32_e32 v6, 8, v5
	v_mov_b32_e32 v7, 0x3b800000
	v_lshlrev_b32_e32 v3, 20, v3
	v_and_b32_e32 v6, 0x80000000, v6
	v_lshl_add_u32 v4, v4, 23, v7
	v_or3_b32 v4, v6, v4, v3
.LBB17_760:
	s_or_b64 exec, exec, s[6:7]
	s_nop 0
	v_mfma_f32_16x16x4f32 a[0:3], v2, v4, a[0:3]
	s_movk_i32 s4, 0x7f
	v_cmp_gt_i16_sdwa s[6:7], v9, s4 src0_sel:BYTE_3 src1_sel:DWORD
	s_mov_b64 s[4:5], 0
                                        ; implicit-def: $sgpr10
	s_and_saveexec_b64 s[8:9], s[6:7]
	s_xor_b64 s[6:7], exec, s[8:9]
	s_cbranch_execnz .LBB17_2809
; %bb.761:
	s_or_saveexec_b64 s[6:7], s[6:7]
	v_mov_b32_e32 v2, s10
	s_xor_b64 exec, exec, s[6:7]
	s_cbranch_execnz .LBB17_2812
.LBB17_762:
	s_or_b64 exec, exec, s[6:7]
	s_and_saveexec_b64 s[6:7], s[4:5]
	s_cbranch_execz .LBB17_764
.LBB17_763:
	v_bfe_u32 v2, v9, 24, 3
	v_ffbh_u32_e32 v7, v2
	v_min_u32_e32 v7, 32, v7
	v_lshrrev_b32_e32 v4, 27, v9
	v_subrev_u32_e32 v8, 28, v7
	v_and_b32_e32 v4, 15, v4
	v_lshlrev_b32_sdwa v8, v8, v9 dst_sel:DWORD dst_unused:UNUSED_PAD src0_sel:DWORD src1_sel:BYTE_3
	v_bfe_u32 v6, v9, 27, 4
	v_sub_u32_e32 v7, 29, v7
	v_and_b32_e32 v8, 7, v8
	v_cmp_eq_u16_e32 vcc, 0, v4
	v_cndmask_b32_e32 v2, v2, v8, vcc
	v_cndmask_b32_e32 v4, v6, v7, vcc
	v_mov_b32_e32 v6, 0x3b800000
	v_and_b32_e32 v3, 0x80000000, v9
	v_lshlrev_b32_e32 v2, 20, v2
	v_lshl_add_u32 v4, v4, 23, v6
	v_or3_b32 v2, v3, v4, v2
.LBB17_764:
	s_or_b64 exec, exec, s[6:7]
	s_movk_i32 s4, 0x7f
	v_cmp_gt_i16_sdwa s[6:7], v5, s4 src0_sel:BYTE_3 src1_sel:DWORD
	s_mov_b64 s[4:5], 0
                                        ; implicit-def: $sgpr10
	s_and_saveexec_b64 s[8:9], s[6:7]
	s_xor_b64 s[6:7], exec, s[8:9]
	s_cbranch_execnz .LBB17_2813
; %bb.765:
	s_or_saveexec_b64 s[6:7], s[6:7]
	v_mov_b32_e32 v3, s10
	s_xor_b64 exec, exec, s[6:7]
	s_cbranch_execnz .LBB17_2816
.LBB17_766:
	s_or_b64 exec, exec, s[6:7]
	s_and_saveexec_b64 s[6:7], s[4:5]
	s_cbranch_execz .LBB17_768
.LBB17_767:
	v_bfe_u32 v3, v5, 24, 3
	v_ffbh_u32_e32 v8, v3
	v_min_u32_e32 v8, 32, v8
	v_lshrrev_b32_e32 v6, 27, v5
	v_subrev_u32_e32 v9, 28, v8
	v_and_b32_e32 v4, 0x80000000, v5
	v_and_b32_e32 v6, 15, v6
	v_bfe_u32 v7, v5, 27, 4
	v_lshlrev_b32_sdwa v5, v9, v5 dst_sel:DWORD dst_unused:UNUSED_PAD src0_sel:DWORD src1_sel:BYTE_3
	v_sub_u32_e32 v8, 29, v8
	v_and_b32_e32 v5, 7, v5
	v_cmp_eq_u16_e32 vcc, 0, v6
	v_cndmask_b32_e32 v3, v3, v5, vcc
	v_cndmask_b32_e32 v5, v7, v8, vcc
	v_mov_b32_e32 v6, 0x3b800000
	v_lshlrev_b32_e32 v3, 20, v3
	v_lshl_add_u32 v5, v5, 23, v6
	v_or3_b32 v3, v4, v5, v3
.LBB17_768:
	s_or_b64 exec, exec, s[6:7]
	s_nop 0
	v_mfma_f32_16x16x4f32 a[0:3], v2, v3, a[0:3]
	s_movk_i32 s4, 0x7f
                                        ; implicit-def: $sgpr10
	s_nop 7
	s_nop 1
	flat_store_dwordx4 v[18:19], a[0:3] offset:928
	flat_load_dwordx4 v[20:23], v[0:1] offset:16
	s_nop 0
	flat_load_dwordx2 v[18:19], v[0:1] offset:32
	s_waitcnt vmcnt(0) lgkmcnt(0)
	flat_load_dwordx4 v[14:17], v[20:21] offset:32
	flat_load_dwordx4 v[6:9], v[20:21] offset:48
	;; [unrolled: 1-line block ×4, first 2 shown]
	s_waitcnt vmcnt(0) lgkmcnt(0)
	v_cmp_gt_i16_sdwa s[6:7], v14, s4 src0_sel:BYTE_0 src1_sel:DWORD
	s_mov_b64 s[4:5], 0
	s_and_saveexec_b64 s[8:9], s[6:7]
	s_xor_b64 s[6:7], exec, s[8:9]
	s_cbranch_execnz .LBB17_2817
; %bb.769:
	s_or_saveexec_b64 s[6:7], s[6:7]
	v_mov_b32_e32 v20, s10
	s_xor_b64 exec, exec, s[6:7]
	s_cbranch_execnz .LBB17_2820
.LBB17_770:
	s_or_b64 exec, exec, s[6:7]
	s_and_saveexec_b64 s[6:7], s[4:5]
	s_cbranch_execz .LBB17_772
.LBB17_771:
	v_and_b32_e32 v20, 7, v14
	v_ffbh_u32_e32 v22, v20
	v_min_u32_e32 v22, 32, v22
	v_lshrrev_b16_e32 v21, 3, v14
	v_subrev_u32_e32 v23, 28, v22
	v_and_b32_e32 v21, 15, v21
	v_lshlrev_b32_e32 v23, v23, v14
	v_sub_u32_e32 v22, 29, v22
	v_and_b32_e32 v23, 7, v23
	v_cmp_eq_u16_e32 vcc, 0, v21
	v_cndmask_b32_e32 v20, v20, v23, vcc
	v_cndmask_b32_e32 v21, v21, v22, vcc
	v_lshlrev_b32_e32 v22, 24, v14
	v_mov_b32_e32 v23, 0x3b800000
	v_lshlrev_b32_e32 v20, 20, v20
	v_and_b32_e32 v22, 0x80000000, v22
	v_lshl_add_u32 v21, v21, 23, v23
	v_or3_b32 v20, v22, v21, v20
.LBB17_772:
	s_or_b64 exec, exec, s[6:7]
	s_movk_i32 s4, 0x7f
	v_cmp_gt_i16_sdwa s[6:7], v10, s4 src0_sel:BYTE_0 src1_sel:DWORD
	s_mov_b64 s[4:5], 0
                                        ; implicit-def: $sgpr10
	s_and_saveexec_b64 s[8:9], s[6:7]
	s_xor_b64 s[6:7], exec, s[8:9]
	s_cbranch_execnz .LBB17_2821
; %bb.773:
	s_or_saveexec_b64 s[6:7], s[6:7]
	v_mov_b32_e32 v21, s10
	s_xor_b64 exec, exec, s[6:7]
	s_cbranch_execnz .LBB17_2824
.LBB17_774:
	s_or_b64 exec, exec, s[6:7]
	s_and_saveexec_b64 s[6:7], s[4:5]
	s_cbranch_execz .LBB17_776
.LBB17_775:
	v_and_b32_e32 v21, 7, v10
	v_ffbh_u32_e32 v23, v21
	v_min_u32_e32 v23, 32, v23
	v_lshrrev_b16_e32 v22, 3, v10
	v_subrev_u32_e32 v24, 28, v23
	v_and_b32_e32 v22, 15, v22
	v_lshlrev_b32_e32 v24, v24, v10
	v_sub_u32_e32 v23, 29, v23
	v_and_b32_e32 v24, 7, v24
	v_cmp_eq_u16_e32 vcc, 0, v22
	v_cndmask_b32_e32 v21, v21, v24, vcc
	v_cndmask_b32_e32 v22, v22, v23, vcc
	v_lshlrev_b32_e32 v23, 24, v10
	v_mov_b32_e32 v24, 0x3b800000
	v_lshlrev_b32_e32 v21, 20, v21
	v_and_b32_e32 v23, 0x80000000, v23
	v_lshl_add_u32 v22, v22, 23, v24
	v_or3_b32 v21, v23, v22, v21
.LBB17_776:
	s_or_b64 exec, exec, s[6:7]
	flat_load_dwordx4 a[0:3], v[18:19] offset:944
	s_movk_i32 s4, 0x7f
                                        ; implicit-def: $sgpr10
	s_waitcnt vmcnt(0) lgkmcnt(0)
	v_mfma_f32_16x16x4f32 a[0:3], v20, v21, a[0:3]
	v_lshrrev_b32_e32 v21, 8, v14
	v_cmp_gt_i16_sdwa s[6:7], v21, s4 src0_sel:BYTE_0 src1_sel:DWORD
	s_mov_b64 s[4:5], 0
	s_and_saveexec_b64 s[8:9], s[6:7]
	s_xor_b64 s[6:7], exec, s[8:9]
	s_cbranch_execnz .LBB17_2825
; %bb.777:
	s_or_saveexec_b64 s[6:7], s[6:7]
	v_mov_b32_e32 v20, s10
	s_xor_b64 exec, exec, s[6:7]
	s_cbranch_execnz .LBB17_2828
.LBB17_778:
	s_or_b64 exec, exec, s[6:7]
	s_and_saveexec_b64 s[6:7], s[4:5]
	s_cbranch_execz .LBB17_780
.LBB17_779:
	v_bfe_u32 v20, v14, 8, 3
	v_ffbh_u32_e32 v23, v20
	v_min_u32_e32 v23, 32, v23
	v_lshrrev_b16_e32 v22, 3, v21
	v_subrev_u32_e32 v24, 28, v23
	v_and_b32_e32 v22, 15, v22
	v_lshlrev_b32_e32 v21, v24, v21
	v_sub_u32_e32 v23, 29, v23
	v_and_b32_e32 v21, 7, v21
	v_cmp_eq_u16_e32 vcc, 0, v22
	v_cndmask_b32_e32 v20, v20, v21, vcc
	v_cndmask_b32_e32 v21, v22, v23, vcc
	v_lshlrev_b32_e32 v22, 16, v14
	v_mov_b32_e32 v23, 0x3b800000
	v_lshlrev_b32_e32 v20, 20, v20
	v_and_b32_e32 v22, 0x80000000, v22
	v_lshl_add_u32 v21, v21, 23, v23
	v_or3_b32 v20, v22, v21, v20
.LBB17_780:
	s_or_b64 exec, exec, s[6:7]
	v_lshrrev_b32_e32 v21, 8, v10
	s_movk_i32 s4, 0x7f
	v_cmp_gt_i16_sdwa s[6:7], v21, s4 src0_sel:BYTE_0 src1_sel:DWORD
	s_mov_b64 s[4:5], 0
                                        ; implicit-def: $sgpr10
	s_and_saveexec_b64 s[8:9], s[6:7]
	s_xor_b64 s[6:7], exec, s[8:9]
	s_cbranch_execnz .LBB17_2829
; %bb.781:
	s_or_saveexec_b64 s[6:7], s[6:7]
	v_mov_b32_e32 v22, s10
	s_xor_b64 exec, exec, s[6:7]
	s_cbranch_execnz .LBB17_2832
.LBB17_782:
	s_or_b64 exec, exec, s[6:7]
	s_and_saveexec_b64 s[6:7], s[4:5]
	s_cbranch_execz .LBB17_784
.LBB17_783:
	v_bfe_u32 v22, v10, 8, 3
	v_ffbh_u32_e32 v24, v22
	v_min_u32_e32 v24, 32, v24
	v_lshrrev_b16_e32 v23, 3, v21
	v_subrev_u32_e32 v25, 28, v24
	v_and_b32_e32 v23, 15, v23
	v_lshlrev_b32_e32 v21, v25, v21
	v_sub_u32_e32 v24, 29, v24
	v_and_b32_e32 v21, 7, v21
	v_cmp_eq_u16_e32 vcc, 0, v23
	v_cndmask_b32_e32 v21, v22, v21, vcc
	v_cndmask_b32_e32 v22, v23, v24, vcc
	v_lshlrev_b32_e32 v23, 16, v10
	v_mov_b32_e32 v24, 0x3b800000
	v_lshlrev_b32_e32 v21, 20, v21
	v_and_b32_e32 v23, 0x80000000, v23
	v_lshl_add_u32 v22, v22, 23, v24
	v_or3_b32 v22, v23, v22, v21
.LBB17_784:
	s_or_b64 exec, exec, s[6:7]
	s_nop 0
	v_mfma_f32_16x16x4f32 a[0:3], v20, v22, a[0:3]
	s_movk_i32 s4, 0xff
	v_and_b32_sdwa v21, v14, s4 dst_sel:DWORD dst_unused:UNUSED_PAD src0_sel:WORD_1 src1_sel:DWORD
	s_movk_i32 s4, 0x7f
	v_cmp_lt_i16_e32 vcc, s4, v21
	s_mov_b64 s[4:5], 0
                                        ; implicit-def: $sgpr10
	s_and_saveexec_b64 s[6:7], vcc
	s_xor_b64 s[6:7], exec, s[6:7]
	s_cbranch_execnz .LBB17_2833
; %bb.785:
	s_or_saveexec_b64 s[6:7], s[6:7]
	v_mov_b32_e32 v20, s10
	s_xor_b64 exec, exec, s[6:7]
	s_cbranch_execnz .LBB17_2836
.LBB17_786:
	s_or_b64 exec, exec, s[6:7]
	s_and_saveexec_b64 s[6:7], s[4:5]
	s_cbranch_execz .LBB17_788
.LBB17_787:
	v_bfe_u32 v20, v14, 16, 3
	v_ffbh_u32_e32 v23, v20
	v_min_u32_e32 v23, 32, v23
	v_lshrrev_b32_e32 v21, 19, v14
	v_subrev_u32_e32 v24, 28, v23
	v_and_b32_e32 v21, 15, v21
	v_lshlrev_b32_sdwa v24, v24, v14 dst_sel:DWORD dst_unused:UNUSED_PAD src0_sel:DWORD src1_sel:WORD_1
	v_bfe_u32 v22, v14, 19, 4
	v_sub_u32_e32 v23, 29, v23
	v_and_b32_e32 v24, 7, v24
	v_cmp_eq_u16_e32 vcc, 0, v21
	v_cndmask_b32_e32 v20, v20, v24, vcc
	v_cndmask_b32_e32 v21, v22, v23, vcc
	v_lshlrev_b32_e32 v22, 8, v14
	v_mov_b32_e32 v23, 0x3b800000
	v_lshlrev_b32_e32 v20, 20, v20
	v_and_b32_e32 v22, 0x80000000, v22
	v_lshl_add_u32 v21, v21, 23, v23
	v_or3_b32 v20, v22, v21, v20
.LBB17_788:
	s_or_b64 exec, exec, s[6:7]
	s_movk_i32 s4, 0xff
	v_and_b32_sdwa v21, v10, s4 dst_sel:DWORD dst_unused:UNUSED_PAD src0_sel:WORD_1 src1_sel:DWORD
	s_movk_i32 s4, 0x7f
	v_cmp_lt_i16_e32 vcc, s4, v21
	s_mov_b64 s[4:5], 0
                                        ; implicit-def: $sgpr10
	s_and_saveexec_b64 s[6:7], vcc
	s_xor_b64 s[6:7], exec, s[6:7]
	s_cbranch_execnz .LBB17_2837
; %bb.789:
	s_or_saveexec_b64 s[6:7], s[6:7]
	v_mov_b32_e32 v22, s10
	s_xor_b64 exec, exec, s[6:7]
	s_cbranch_execnz .LBB17_2840
.LBB17_790:
	s_or_b64 exec, exec, s[6:7]
	s_and_saveexec_b64 s[6:7], s[4:5]
	s_cbranch_execz .LBB17_792
.LBB17_791:
	v_bfe_u32 v21, v10, 16, 3
	v_ffbh_u32_e32 v24, v21
	v_min_u32_e32 v24, 32, v24
	v_lshrrev_b32_e32 v22, 19, v10
	v_subrev_u32_e32 v25, 28, v24
	v_and_b32_e32 v22, 15, v22
	v_lshlrev_b32_sdwa v25, v25, v10 dst_sel:DWORD dst_unused:UNUSED_PAD src0_sel:DWORD src1_sel:WORD_1
	v_bfe_u32 v23, v10, 19, 4
	v_sub_u32_e32 v24, 29, v24
	v_and_b32_e32 v25, 7, v25
	v_cmp_eq_u16_e32 vcc, 0, v22
	v_cndmask_b32_e32 v21, v21, v25, vcc
	v_cndmask_b32_e32 v22, v23, v24, vcc
	v_lshlrev_b32_e32 v23, 8, v10
	v_mov_b32_e32 v24, 0x3b800000
	v_lshlrev_b32_e32 v21, 20, v21
	v_and_b32_e32 v23, 0x80000000, v23
	v_lshl_add_u32 v22, v22, 23, v24
	v_or3_b32 v22, v23, v22, v21
.LBB17_792:
	s_or_b64 exec, exec, s[6:7]
	s_nop 0
	v_mfma_f32_16x16x4f32 a[0:3], v20, v22, a[0:3]
	s_movk_i32 s4, 0x7f
	v_cmp_gt_i16_sdwa s[6:7], v14, s4 src0_sel:BYTE_3 src1_sel:DWORD
	s_mov_b64 s[4:5], 0
                                        ; implicit-def: $sgpr10
	s_and_saveexec_b64 s[8:9], s[6:7]
	s_xor_b64 s[6:7], exec, s[8:9]
	s_cbranch_execnz .LBB17_2841
; %bb.793:
	s_or_saveexec_b64 s[6:7], s[6:7]
	v_mov_b32_e32 v20, s10
	s_xor_b64 exec, exec, s[6:7]
	s_cbranch_execnz .LBB17_2844
.LBB17_794:
	s_or_b64 exec, exec, s[6:7]
	s_and_saveexec_b64 s[6:7], s[4:5]
	s_cbranch_execz .LBB17_796
.LBB17_795:
	v_bfe_u32 v20, v14, 24, 3
	v_ffbh_u32_e32 v24, v20
	v_min_u32_e32 v24, 32, v24
	v_lshrrev_b32_e32 v22, 27, v14
	v_subrev_u32_e32 v25, 28, v24
	v_and_b32_e32 v21, 0x80000000, v14
	v_and_b32_e32 v22, 15, v22
	v_bfe_u32 v23, v14, 27, 4
	v_lshlrev_b32_sdwa v14, v25, v14 dst_sel:DWORD dst_unused:UNUSED_PAD src0_sel:DWORD src1_sel:BYTE_3
	v_sub_u32_e32 v24, 29, v24
	v_and_b32_e32 v14, 7, v14
	v_cmp_eq_u16_e32 vcc, 0, v22
	v_cndmask_b32_e32 v14, v20, v14, vcc
	v_cndmask_b32_e32 v20, v23, v24, vcc
	v_mov_b32_e32 v22, 0x3b800000
	v_lshlrev_b32_e32 v14, 20, v14
	v_lshl_add_u32 v20, v20, 23, v22
	v_or3_b32 v20, v21, v20, v14
.LBB17_796:
	s_or_b64 exec, exec, s[6:7]
	s_movk_i32 s4, 0x7f
	v_cmp_gt_i16_sdwa s[6:7], v10, s4 src0_sel:BYTE_3 src1_sel:DWORD
	s_mov_b64 s[4:5], 0
                                        ; implicit-def: $sgpr10
	s_and_saveexec_b64 s[8:9], s[6:7]
	s_xor_b64 s[6:7], exec, s[8:9]
	s_cbranch_execnz .LBB17_2845
; %bb.797:
	s_or_saveexec_b64 s[6:7], s[6:7]
	v_mov_b32_e32 v14, s10
	s_xor_b64 exec, exec, s[6:7]
	s_cbranch_execnz .LBB17_2848
.LBB17_798:
	s_or_b64 exec, exec, s[6:7]
	s_and_saveexec_b64 s[6:7], s[4:5]
	s_cbranch_execz .LBB17_800
.LBB17_799:
	v_bfe_u32 v14, v10, 24, 3
	v_ffbh_u32_e32 v24, v14
	v_min_u32_e32 v24, 32, v24
	v_lshrrev_b32_e32 v22, 27, v10
	v_subrev_u32_e32 v25, 28, v24
	v_and_b32_e32 v21, 0x80000000, v10
	v_and_b32_e32 v22, 15, v22
	v_bfe_u32 v23, v10, 27, 4
	v_lshlrev_b32_sdwa v10, v25, v10 dst_sel:DWORD dst_unused:UNUSED_PAD src0_sel:DWORD src1_sel:BYTE_3
	v_sub_u32_e32 v24, 29, v24
	v_and_b32_e32 v10, 7, v10
	v_cmp_eq_u16_e32 vcc, 0, v22
	v_cndmask_b32_e32 v10, v14, v10, vcc
	v_cndmask_b32_e32 v14, v23, v24, vcc
	v_mov_b32_e32 v22, 0x3b800000
	v_lshlrev_b32_e32 v10, 20, v10
	v_lshl_add_u32 v14, v14, 23, v22
	v_or3_b32 v14, v21, v14, v10
.LBB17_800:
	s_or_b64 exec, exec, s[6:7]
	s_nop 0
	v_mfma_f32_16x16x4f32 a[0:3], v20, v14, a[0:3]
	s_movk_i32 s4, 0x7f
	v_cmp_gt_i16_sdwa s[6:7], v15, s4 src0_sel:BYTE_0 src1_sel:DWORD
	s_mov_b64 s[4:5], 0
                                        ; implicit-def: $sgpr10
	s_and_saveexec_b64 s[8:9], s[6:7]
	s_xor_b64 s[6:7], exec, s[8:9]
	s_cbranch_execnz .LBB17_2849
; %bb.801:
	s_or_saveexec_b64 s[6:7], s[6:7]
	v_mov_b32_e32 v10, s10
	s_xor_b64 exec, exec, s[6:7]
	s_cbranch_execnz .LBB17_2852
.LBB17_802:
	s_or_b64 exec, exec, s[6:7]
	s_and_saveexec_b64 s[6:7], s[4:5]
	s_cbranch_execz .LBB17_804
.LBB17_803:
	v_and_b32_e32 v10, 7, v15
	v_ffbh_u32_e32 v20, v10
	v_min_u32_e32 v20, 32, v20
	v_lshrrev_b16_e32 v14, 3, v15
	v_subrev_u32_e32 v21, 28, v20
	v_and_b32_e32 v14, 15, v14
	v_lshlrev_b32_e32 v21, v21, v15
	v_sub_u32_e32 v20, 29, v20
	v_and_b32_e32 v21, 7, v21
	v_cmp_eq_u16_e32 vcc, 0, v14
	v_cndmask_b32_e32 v10, v10, v21, vcc
	v_cndmask_b32_e32 v14, v14, v20, vcc
	v_lshlrev_b32_e32 v20, 24, v15
	v_mov_b32_e32 v21, 0x3b800000
	v_lshlrev_b32_e32 v10, 20, v10
	v_and_b32_e32 v20, 0x80000000, v20
	v_lshl_add_u32 v14, v14, 23, v21
	v_or3_b32 v10, v20, v14, v10
.LBB17_804:
	s_or_b64 exec, exec, s[6:7]
	s_movk_i32 s4, 0x7f
	v_cmp_gt_i16_sdwa s[6:7], v11, s4 src0_sel:BYTE_0 src1_sel:DWORD
	s_mov_b64 s[4:5], 0
                                        ; implicit-def: $sgpr10
	s_and_saveexec_b64 s[8:9], s[6:7]
	s_xor_b64 s[6:7], exec, s[8:9]
	s_cbranch_execnz .LBB17_2853
; %bb.805:
	s_or_saveexec_b64 s[6:7], s[6:7]
	v_mov_b32_e32 v14, s10
	s_xor_b64 exec, exec, s[6:7]
	s_cbranch_execnz .LBB17_2856
.LBB17_806:
	s_or_b64 exec, exec, s[6:7]
	s_and_saveexec_b64 s[6:7], s[4:5]
	s_cbranch_execz .LBB17_808
.LBB17_807:
	v_and_b32_e32 v14, 7, v11
	v_ffbh_u32_e32 v21, v14
	v_min_u32_e32 v21, 32, v21
	v_lshrrev_b16_e32 v20, 3, v11
	v_subrev_u32_e32 v22, 28, v21
	v_and_b32_e32 v20, 15, v20
	v_lshlrev_b32_e32 v22, v22, v11
	v_sub_u32_e32 v21, 29, v21
	v_and_b32_e32 v22, 7, v22
	v_cmp_eq_u16_e32 vcc, 0, v20
	v_cndmask_b32_e32 v14, v14, v22, vcc
	v_cndmask_b32_e32 v20, v20, v21, vcc
	v_lshlrev_b32_e32 v21, 24, v11
	v_mov_b32_e32 v22, 0x3b800000
	v_lshlrev_b32_e32 v14, 20, v14
	v_and_b32_e32 v21, 0x80000000, v21
	v_lshl_add_u32 v20, v20, 23, v22
	v_or3_b32 v14, v21, v20, v14
.LBB17_808:
	s_or_b64 exec, exec, s[6:7]
	s_nop 0
	v_mfma_f32_16x16x4f32 a[0:3], v10, v14, a[0:3]
	v_lshrrev_b32_e32 v14, 8, v15
	s_movk_i32 s4, 0x7f
	v_cmp_gt_i16_sdwa s[6:7], v14, s4 src0_sel:BYTE_0 src1_sel:DWORD
	s_mov_b64 s[4:5], 0
                                        ; implicit-def: $sgpr10
	s_and_saveexec_b64 s[8:9], s[6:7]
	s_xor_b64 s[6:7], exec, s[8:9]
	s_cbranch_execnz .LBB17_2857
; %bb.809:
	s_or_saveexec_b64 s[6:7], s[6:7]
	v_mov_b32_e32 v10, s10
	s_xor_b64 exec, exec, s[6:7]
	s_cbranch_execnz .LBB17_2860
.LBB17_810:
	s_or_b64 exec, exec, s[6:7]
	s_and_saveexec_b64 s[6:7], s[4:5]
	s_cbranch_execz .LBB17_812
.LBB17_811:
	v_bfe_u32 v10, v15, 8, 3
	v_ffbh_u32_e32 v21, v10
	v_min_u32_e32 v21, 32, v21
	v_lshrrev_b16_e32 v20, 3, v14
	v_subrev_u32_e32 v22, 28, v21
	v_and_b32_e32 v20, 15, v20
	v_lshlrev_b32_e32 v14, v22, v14
	v_sub_u32_e32 v21, 29, v21
	v_and_b32_e32 v14, 7, v14
	v_cmp_eq_u16_e32 vcc, 0, v20
	v_cndmask_b32_e32 v10, v10, v14, vcc
	v_cndmask_b32_e32 v14, v20, v21, vcc
	v_lshlrev_b32_e32 v20, 16, v15
	v_mov_b32_e32 v21, 0x3b800000
	v_lshlrev_b32_e32 v10, 20, v10
	v_and_b32_e32 v20, 0x80000000, v20
	v_lshl_add_u32 v14, v14, 23, v21
	v_or3_b32 v10, v20, v14, v10
.LBB17_812:
	s_or_b64 exec, exec, s[6:7]
	v_lshrrev_b32_e32 v14, 8, v11
	s_movk_i32 s4, 0x7f
	v_cmp_gt_i16_sdwa s[6:7], v14, s4 src0_sel:BYTE_0 src1_sel:DWORD
	s_mov_b64 s[4:5], 0
                                        ; implicit-def: $sgpr10
	s_and_saveexec_b64 s[8:9], s[6:7]
	s_xor_b64 s[6:7], exec, s[8:9]
	s_cbranch_execnz .LBB17_2861
; %bb.813:
	s_or_saveexec_b64 s[6:7], s[6:7]
	v_mov_b32_e32 v20, s10
	s_xor_b64 exec, exec, s[6:7]
	s_cbranch_execnz .LBB17_2864
.LBB17_814:
	s_or_b64 exec, exec, s[6:7]
	s_and_saveexec_b64 s[6:7], s[4:5]
	s_cbranch_execz .LBB17_816
.LBB17_815:
	v_bfe_u32 v20, v11, 8, 3
	v_ffbh_u32_e32 v22, v20
	v_min_u32_e32 v22, 32, v22
	v_lshrrev_b16_e32 v21, 3, v14
	v_subrev_u32_e32 v23, 28, v22
	v_and_b32_e32 v21, 15, v21
	v_lshlrev_b32_e32 v14, v23, v14
	v_sub_u32_e32 v22, 29, v22
	v_and_b32_e32 v14, 7, v14
	v_cmp_eq_u16_e32 vcc, 0, v21
	v_cndmask_b32_e32 v14, v20, v14, vcc
	v_cndmask_b32_e32 v20, v21, v22, vcc
	v_lshlrev_b32_e32 v21, 16, v11
	v_mov_b32_e32 v22, 0x3b800000
	v_lshlrev_b32_e32 v14, 20, v14
	v_and_b32_e32 v21, 0x80000000, v21
	v_lshl_add_u32 v20, v20, 23, v22
	v_or3_b32 v20, v21, v20, v14
.LBB17_816:
	s_or_b64 exec, exec, s[6:7]
	s_nop 0
	v_mfma_f32_16x16x4f32 a[0:3], v10, v20, a[0:3]
	s_movk_i32 s4, 0xff
	v_and_b32_sdwa v14, v15, s4 dst_sel:DWORD dst_unused:UNUSED_PAD src0_sel:WORD_1 src1_sel:DWORD
	s_movk_i32 s4, 0x7f
	v_cmp_lt_i16_e32 vcc, s4, v14
	s_mov_b64 s[4:5], 0
                                        ; implicit-def: $sgpr10
	s_and_saveexec_b64 s[6:7], vcc
	s_xor_b64 s[6:7], exec, s[6:7]
	s_cbranch_execnz .LBB17_2865
; %bb.817:
	s_or_saveexec_b64 s[6:7], s[6:7]
	v_mov_b32_e32 v10, s10
	s_xor_b64 exec, exec, s[6:7]
	s_cbranch_execnz .LBB17_2868
.LBB17_818:
	s_or_b64 exec, exec, s[6:7]
	s_and_saveexec_b64 s[6:7], s[4:5]
	s_cbranch_execz .LBB17_820
.LBB17_819:
	v_bfe_u32 v10, v15, 16, 3
	v_ffbh_u32_e32 v21, v10
	v_min_u32_e32 v21, 32, v21
	v_lshrrev_b32_e32 v14, 19, v15
	v_subrev_u32_e32 v22, 28, v21
	v_and_b32_e32 v14, 15, v14
	v_lshlrev_b32_sdwa v22, v22, v15 dst_sel:DWORD dst_unused:UNUSED_PAD src0_sel:DWORD src1_sel:WORD_1
	v_bfe_u32 v20, v15, 19, 4
	v_sub_u32_e32 v21, 29, v21
	v_and_b32_e32 v22, 7, v22
	v_cmp_eq_u16_e32 vcc, 0, v14
	v_cndmask_b32_e32 v10, v10, v22, vcc
	v_cndmask_b32_e32 v14, v20, v21, vcc
	v_lshlrev_b32_e32 v20, 8, v15
	v_mov_b32_e32 v21, 0x3b800000
	v_lshlrev_b32_e32 v10, 20, v10
	v_and_b32_e32 v20, 0x80000000, v20
	v_lshl_add_u32 v14, v14, 23, v21
	v_or3_b32 v10, v20, v14, v10
.LBB17_820:
	s_or_b64 exec, exec, s[6:7]
	s_movk_i32 s4, 0xff
	v_and_b32_sdwa v14, v11, s4 dst_sel:DWORD dst_unused:UNUSED_PAD src0_sel:WORD_1 src1_sel:DWORD
	s_movk_i32 s4, 0x7f
	v_cmp_lt_i16_e32 vcc, s4, v14
	s_mov_b64 s[4:5], 0
                                        ; implicit-def: $sgpr10
	s_and_saveexec_b64 s[6:7], vcc
	s_xor_b64 s[6:7], exec, s[6:7]
	s_cbranch_execnz .LBB17_2869
; %bb.821:
	s_or_saveexec_b64 s[6:7], s[6:7]
	v_mov_b32_e32 v20, s10
	s_xor_b64 exec, exec, s[6:7]
	s_cbranch_execnz .LBB17_2872
.LBB17_822:
	s_or_b64 exec, exec, s[6:7]
	s_and_saveexec_b64 s[6:7], s[4:5]
	s_cbranch_execz .LBB17_824
.LBB17_823:
	v_bfe_u32 v14, v11, 16, 3
	v_ffbh_u32_e32 v22, v14
	v_min_u32_e32 v22, 32, v22
	v_lshrrev_b32_e32 v20, 19, v11
	v_subrev_u32_e32 v23, 28, v22
	v_and_b32_e32 v20, 15, v20
	v_lshlrev_b32_sdwa v23, v23, v11 dst_sel:DWORD dst_unused:UNUSED_PAD src0_sel:DWORD src1_sel:WORD_1
	v_bfe_u32 v21, v11, 19, 4
	v_sub_u32_e32 v22, 29, v22
	v_and_b32_e32 v23, 7, v23
	v_cmp_eq_u16_e32 vcc, 0, v20
	v_cndmask_b32_e32 v14, v14, v23, vcc
	v_cndmask_b32_e32 v20, v21, v22, vcc
	v_lshlrev_b32_e32 v21, 8, v11
	v_mov_b32_e32 v22, 0x3b800000
	v_lshlrev_b32_e32 v14, 20, v14
	v_and_b32_e32 v21, 0x80000000, v21
	v_lshl_add_u32 v20, v20, 23, v22
	v_or3_b32 v20, v21, v20, v14
.LBB17_824:
	s_or_b64 exec, exec, s[6:7]
	s_nop 0
	v_mfma_f32_16x16x4f32 a[0:3], v10, v20, a[0:3]
	s_movk_i32 s4, 0x7f
	v_cmp_gt_i16_sdwa s[6:7], v15, s4 src0_sel:BYTE_3 src1_sel:DWORD
	s_mov_b64 s[4:5], 0
                                        ; implicit-def: $sgpr10
	s_and_saveexec_b64 s[8:9], s[6:7]
	s_xor_b64 s[6:7], exec, s[8:9]
	s_cbranch_execnz .LBB17_2873
; %bb.825:
	s_or_saveexec_b64 s[6:7], s[6:7]
	v_mov_b32_e32 v10, s10
	s_xor_b64 exec, exec, s[6:7]
	s_cbranch_execnz .LBB17_2876
.LBB17_826:
	s_or_b64 exec, exec, s[6:7]
	s_and_saveexec_b64 s[6:7], s[4:5]
	s_cbranch_execz .LBB17_828
.LBB17_827:
	v_bfe_u32 v10, v15, 24, 3
	v_ffbh_u32_e32 v22, v10
	v_min_u32_e32 v22, 32, v22
	v_lshrrev_b32_e32 v20, 27, v15
	v_subrev_u32_e32 v23, 28, v22
	v_and_b32_e32 v14, 0x80000000, v15
	v_and_b32_e32 v20, 15, v20
	v_bfe_u32 v21, v15, 27, 4
	v_lshlrev_b32_sdwa v15, v23, v15 dst_sel:DWORD dst_unused:UNUSED_PAD src0_sel:DWORD src1_sel:BYTE_3
	v_sub_u32_e32 v22, 29, v22
	v_and_b32_e32 v15, 7, v15
	v_cmp_eq_u16_e32 vcc, 0, v20
	v_cndmask_b32_e32 v10, v10, v15, vcc
	v_cndmask_b32_e32 v15, v21, v22, vcc
	v_mov_b32_e32 v20, 0x3b800000
	v_lshlrev_b32_e32 v10, 20, v10
	v_lshl_add_u32 v15, v15, 23, v20
	v_or3_b32 v10, v14, v15, v10
.LBB17_828:
	s_or_b64 exec, exec, s[6:7]
	s_movk_i32 s4, 0x7f
	v_cmp_gt_i16_sdwa s[6:7], v11, s4 src0_sel:BYTE_3 src1_sel:DWORD
	s_mov_b64 s[4:5], 0
                                        ; implicit-def: $sgpr10
	s_and_saveexec_b64 s[8:9], s[6:7]
	s_xor_b64 s[6:7], exec, s[8:9]
	s_cbranch_execnz .LBB17_2877
; %bb.829:
	s_or_saveexec_b64 s[6:7], s[6:7]
	v_mov_b32_e32 v14, s10
	s_xor_b64 exec, exec, s[6:7]
	s_cbranch_execnz .LBB17_2880
.LBB17_830:
	s_or_b64 exec, exec, s[6:7]
	s_and_saveexec_b64 s[6:7], s[4:5]
	s_cbranch_execz .LBB17_832
.LBB17_831:
	v_bfe_u32 v14, v11, 24, 3
	v_ffbh_u32_e32 v22, v14
	v_min_u32_e32 v22, 32, v22
	v_lshrrev_b32_e32 v20, 27, v11
	v_subrev_u32_e32 v23, 28, v22
	v_and_b32_e32 v15, 0x80000000, v11
	v_and_b32_e32 v20, 15, v20
	v_bfe_u32 v21, v11, 27, 4
	v_lshlrev_b32_sdwa v11, v23, v11 dst_sel:DWORD dst_unused:UNUSED_PAD src0_sel:DWORD src1_sel:BYTE_3
	v_sub_u32_e32 v22, 29, v22
	v_and_b32_e32 v11, 7, v11
	v_cmp_eq_u16_e32 vcc, 0, v20
	v_cndmask_b32_e32 v11, v14, v11, vcc
	v_cndmask_b32_e32 v14, v21, v22, vcc
	v_mov_b32_e32 v20, 0x3b800000
	v_lshlrev_b32_e32 v11, 20, v11
	v_lshl_add_u32 v14, v14, 23, v20
	v_or3_b32 v14, v15, v14, v11
.LBB17_832:
	s_or_b64 exec, exec, s[6:7]
	s_nop 0
	v_mfma_f32_16x16x4f32 a[0:3], v10, v14, a[0:3]
	s_movk_i32 s4, 0x7f
	v_cmp_gt_i16_sdwa s[6:7], v16, s4 src0_sel:BYTE_0 src1_sel:DWORD
	s_mov_b64 s[4:5], 0
                                        ; implicit-def: $sgpr10
	s_and_saveexec_b64 s[8:9], s[6:7]
	s_xor_b64 s[6:7], exec, s[8:9]
	s_cbranch_execnz .LBB17_2881
; %bb.833:
	s_or_saveexec_b64 s[6:7], s[6:7]
	v_mov_b32_e32 v10, s10
	s_xor_b64 exec, exec, s[6:7]
	s_cbranch_execnz .LBB17_2884
.LBB17_834:
	s_or_b64 exec, exec, s[6:7]
	s_and_saveexec_b64 s[6:7], s[4:5]
	s_cbranch_execz .LBB17_836
.LBB17_835:
	v_and_b32_e32 v10, 7, v16
	v_ffbh_u32_e32 v14, v10
	v_min_u32_e32 v14, 32, v14
	v_lshrrev_b16_e32 v11, 3, v16
	v_subrev_u32_e32 v15, 28, v14
	v_and_b32_e32 v11, 15, v11
	v_lshlrev_b32_e32 v15, v15, v16
	v_sub_u32_e32 v14, 29, v14
	v_and_b32_e32 v15, 7, v15
	v_cmp_eq_u16_e32 vcc, 0, v11
	v_cndmask_b32_e32 v10, v10, v15, vcc
	v_cndmask_b32_e32 v11, v11, v14, vcc
	v_lshlrev_b32_e32 v14, 24, v16
	v_mov_b32_e32 v15, 0x3b800000
	v_lshlrev_b32_e32 v10, 20, v10
	v_and_b32_e32 v14, 0x80000000, v14
	v_lshl_add_u32 v11, v11, 23, v15
	v_or3_b32 v10, v14, v11, v10
.LBB17_836:
	s_or_b64 exec, exec, s[6:7]
	s_movk_i32 s4, 0x7f
	v_cmp_gt_i16_sdwa s[6:7], v12, s4 src0_sel:BYTE_0 src1_sel:DWORD
	s_mov_b64 s[4:5], 0
                                        ; implicit-def: $sgpr10
	s_and_saveexec_b64 s[8:9], s[6:7]
	s_xor_b64 s[6:7], exec, s[8:9]
	s_cbranch_execnz .LBB17_2885
; %bb.837:
	s_or_saveexec_b64 s[6:7], s[6:7]
	v_mov_b32_e32 v11, s10
	s_xor_b64 exec, exec, s[6:7]
	s_cbranch_execnz .LBB17_2888
.LBB17_838:
	s_or_b64 exec, exec, s[6:7]
	s_and_saveexec_b64 s[6:7], s[4:5]
	s_cbranch_execz .LBB17_840
.LBB17_839:
	v_and_b32_e32 v11, 7, v12
	v_ffbh_u32_e32 v15, v11
	v_min_u32_e32 v15, 32, v15
	v_lshrrev_b16_e32 v14, 3, v12
	v_subrev_u32_e32 v20, 28, v15
	v_and_b32_e32 v14, 15, v14
	v_lshlrev_b32_e32 v20, v20, v12
	v_sub_u32_e32 v15, 29, v15
	v_and_b32_e32 v20, 7, v20
	v_cmp_eq_u16_e32 vcc, 0, v14
	v_cndmask_b32_e32 v11, v11, v20, vcc
	v_cndmask_b32_e32 v14, v14, v15, vcc
	v_lshlrev_b32_e32 v15, 24, v12
	v_mov_b32_e32 v20, 0x3b800000
	v_lshlrev_b32_e32 v11, 20, v11
	v_and_b32_e32 v15, 0x80000000, v15
	v_lshl_add_u32 v14, v14, 23, v20
	v_or3_b32 v11, v15, v14, v11
.LBB17_840:
	s_or_b64 exec, exec, s[6:7]
	s_nop 0
	v_mfma_f32_16x16x4f32 a[0:3], v10, v11, a[0:3]
	v_lshrrev_b32_e32 v11, 8, v16
	s_movk_i32 s4, 0x7f
	v_cmp_gt_i16_sdwa s[6:7], v11, s4 src0_sel:BYTE_0 src1_sel:DWORD
	s_mov_b64 s[4:5], 0
                                        ; implicit-def: $sgpr10
	s_and_saveexec_b64 s[8:9], s[6:7]
	s_xor_b64 s[6:7], exec, s[8:9]
	s_cbranch_execnz .LBB17_2889
; %bb.841:
	s_or_saveexec_b64 s[6:7], s[6:7]
	v_mov_b32_e32 v10, s10
	s_xor_b64 exec, exec, s[6:7]
	s_cbranch_execnz .LBB17_2892
.LBB17_842:
	s_or_b64 exec, exec, s[6:7]
	s_and_saveexec_b64 s[6:7], s[4:5]
	s_cbranch_execz .LBB17_844
.LBB17_843:
	v_bfe_u32 v10, v16, 8, 3
	v_ffbh_u32_e32 v15, v10
	v_min_u32_e32 v15, 32, v15
	v_lshrrev_b16_e32 v14, 3, v11
	v_subrev_u32_e32 v20, 28, v15
	v_and_b32_e32 v14, 15, v14
	v_lshlrev_b32_e32 v11, v20, v11
	v_sub_u32_e32 v15, 29, v15
	v_and_b32_e32 v11, 7, v11
	v_cmp_eq_u16_e32 vcc, 0, v14
	v_cndmask_b32_e32 v10, v10, v11, vcc
	v_cndmask_b32_e32 v11, v14, v15, vcc
	v_lshlrev_b32_e32 v14, 16, v16
	v_mov_b32_e32 v15, 0x3b800000
	v_lshlrev_b32_e32 v10, 20, v10
	v_and_b32_e32 v14, 0x80000000, v14
	v_lshl_add_u32 v11, v11, 23, v15
	v_or3_b32 v10, v14, v11, v10
.LBB17_844:
	s_or_b64 exec, exec, s[6:7]
	v_lshrrev_b32_e32 v11, 8, v12
	s_movk_i32 s4, 0x7f
	v_cmp_gt_i16_sdwa s[6:7], v11, s4 src0_sel:BYTE_0 src1_sel:DWORD
	s_mov_b64 s[4:5], 0
                                        ; implicit-def: $sgpr10
	s_and_saveexec_b64 s[8:9], s[6:7]
	s_xor_b64 s[6:7], exec, s[8:9]
	s_cbranch_execnz .LBB17_2893
; %bb.845:
	s_or_saveexec_b64 s[6:7], s[6:7]
	v_mov_b32_e32 v14, s10
	s_xor_b64 exec, exec, s[6:7]
	s_cbranch_execnz .LBB17_2896
.LBB17_846:
	s_or_b64 exec, exec, s[6:7]
	s_and_saveexec_b64 s[6:7], s[4:5]
	s_cbranch_execz .LBB17_848
.LBB17_847:
	v_bfe_u32 v14, v12, 8, 3
	v_ffbh_u32_e32 v20, v14
	v_min_u32_e32 v20, 32, v20
	v_lshrrev_b16_e32 v15, 3, v11
	v_subrev_u32_e32 v21, 28, v20
	v_and_b32_e32 v15, 15, v15
	v_lshlrev_b32_e32 v11, v21, v11
	v_sub_u32_e32 v20, 29, v20
	v_and_b32_e32 v11, 7, v11
	v_cmp_eq_u16_e32 vcc, 0, v15
	v_cndmask_b32_e32 v11, v14, v11, vcc
	v_cndmask_b32_e32 v14, v15, v20, vcc
	v_lshlrev_b32_e32 v15, 16, v12
	v_mov_b32_e32 v20, 0x3b800000
	v_lshlrev_b32_e32 v11, 20, v11
	v_and_b32_e32 v15, 0x80000000, v15
	v_lshl_add_u32 v14, v14, 23, v20
	v_or3_b32 v14, v15, v14, v11
.LBB17_848:
	s_or_b64 exec, exec, s[6:7]
	s_nop 0
	v_mfma_f32_16x16x4f32 a[0:3], v10, v14, a[0:3]
	s_movk_i32 s4, 0xff
	v_and_b32_sdwa v11, v16, s4 dst_sel:DWORD dst_unused:UNUSED_PAD src0_sel:WORD_1 src1_sel:DWORD
	s_movk_i32 s4, 0x7f
	v_cmp_lt_i16_e32 vcc, s4, v11
	s_mov_b64 s[4:5], 0
                                        ; implicit-def: $sgpr10
	s_and_saveexec_b64 s[6:7], vcc
	s_xor_b64 s[6:7], exec, s[6:7]
	s_cbranch_execnz .LBB17_2897
; %bb.849:
	s_or_saveexec_b64 s[6:7], s[6:7]
	v_mov_b32_e32 v10, s10
	s_xor_b64 exec, exec, s[6:7]
	s_cbranch_execnz .LBB17_2900
.LBB17_850:
	s_or_b64 exec, exec, s[6:7]
	s_and_saveexec_b64 s[6:7], s[4:5]
	s_cbranch_execz .LBB17_852
.LBB17_851:
	v_bfe_u32 v10, v16, 16, 3
	v_ffbh_u32_e32 v15, v10
	v_min_u32_e32 v15, 32, v15
	v_lshrrev_b32_e32 v11, 19, v16
	v_subrev_u32_e32 v20, 28, v15
	v_and_b32_e32 v11, 15, v11
	v_lshlrev_b32_sdwa v20, v20, v16 dst_sel:DWORD dst_unused:UNUSED_PAD src0_sel:DWORD src1_sel:WORD_1
	v_bfe_u32 v14, v16, 19, 4
	v_sub_u32_e32 v15, 29, v15
	v_and_b32_e32 v20, 7, v20
	v_cmp_eq_u16_e32 vcc, 0, v11
	v_cndmask_b32_e32 v10, v10, v20, vcc
	v_cndmask_b32_e32 v11, v14, v15, vcc
	v_lshlrev_b32_e32 v14, 8, v16
	v_mov_b32_e32 v15, 0x3b800000
	v_lshlrev_b32_e32 v10, 20, v10
	v_and_b32_e32 v14, 0x80000000, v14
	v_lshl_add_u32 v11, v11, 23, v15
	v_or3_b32 v10, v14, v11, v10
.LBB17_852:
	s_or_b64 exec, exec, s[6:7]
	s_movk_i32 s4, 0xff
	v_and_b32_sdwa v11, v12, s4 dst_sel:DWORD dst_unused:UNUSED_PAD src0_sel:WORD_1 src1_sel:DWORD
	s_movk_i32 s4, 0x7f
	v_cmp_lt_i16_e32 vcc, s4, v11
	s_mov_b64 s[4:5], 0
                                        ; implicit-def: $sgpr10
	s_and_saveexec_b64 s[6:7], vcc
	s_xor_b64 s[6:7], exec, s[6:7]
	s_cbranch_execnz .LBB17_2901
; %bb.853:
	s_or_saveexec_b64 s[6:7], s[6:7]
	v_mov_b32_e32 v14, s10
	s_xor_b64 exec, exec, s[6:7]
	s_cbranch_execnz .LBB17_2904
.LBB17_854:
	s_or_b64 exec, exec, s[6:7]
	s_and_saveexec_b64 s[6:7], s[4:5]
	s_cbranch_execz .LBB17_856
.LBB17_855:
	v_bfe_u32 v11, v12, 16, 3
	v_ffbh_u32_e32 v20, v11
	v_min_u32_e32 v20, 32, v20
	v_lshrrev_b32_e32 v14, 19, v12
	v_subrev_u32_e32 v21, 28, v20
	v_and_b32_e32 v14, 15, v14
	v_lshlrev_b32_sdwa v21, v21, v12 dst_sel:DWORD dst_unused:UNUSED_PAD src0_sel:DWORD src1_sel:WORD_1
	v_bfe_u32 v15, v12, 19, 4
	v_sub_u32_e32 v20, 29, v20
	v_and_b32_e32 v21, 7, v21
	v_cmp_eq_u16_e32 vcc, 0, v14
	v_cndmask_b32_e32 v11, v11, v21, vcc
	v_cndmask_b32_e32 v14, v15, v20, vcc
	v_lshlrev_b32_e32 v15, 8, v12
	v_mov_b32_e32 v20, 0x3b800000
	v_lshlrev_b32_e32 v11, 20, v11
	v_and_b32_e32 v15, 0x80000000, v15
	v_lshl_add_u32 v14, v14, 23, v20
	v_or3_b32 v14, v15, v14, v11
.LBB17_856:
	s_or_b64 exec, exec, s[6:7]
	s_nop 0
	v_mfma_f32_16x16x4f32 a[0:3], v10, v14, a[0:3]
	s_movk_i32 s4, 0x7f
	v_cmp_gt_i16_sdwa s[6:7], v16, s4 src0_sel:BYTE_3 src1_sel:DWORD
	s_mov_b64 s[4:5], 0
                                        ; implicit-def: $sgpr10
	s_and_saveexec_b64 s[8:9], s[6:7]
	s_xor_b64 s[6:7], exec, s[8:9]
	s_cbranch_execnz .LBB17_2905
; %bb.857:
	s_or_saveexec_b64 s[6:7], s[6:7]
	v_mov_b32_e32 v10, s10
	s_xor_b64 exec, exec, s[6:7]
	s_cbranch_execnz .LBB17_2908
.LBB17_858:
	s_or_b64 exec, exec, s[6:7]
	s_and_saveexec_b64 s[6:7], s[4:5]
	s_cbranch_execz .LBB17_860
.LBB17_859:
	v_bfe_u32 v10, v16, 24, 3
	v_ffbh_u32_e32 v20, v10
	v_min_u32_e32 v20, 32, v20
	v_lshrrev_b32_e32 v14, 27, v16
	v_subrev_u32_e32 v21, 28, v20
	v_and_b32_e32 v11, 0x80000000, v16
	v_and_b32_e32 v14, 15, v14
	v_bfe_u32 v15, v16, 27, 4
	v_lshlrev_b32_sdwa v16, v21, v16 dst_sel:DWORD dst_unused:UNUSED_PAD src0_sel:DWORD src1_sel:BYTE_3
	v_sub_u32_e32 v20, 29, v20
	v_and_b32_e32 v16, 7, v16
	v_cmp_eq_u16_e32 vcc, 0, v14
	v_cndmask_b32_e32 v10, v10, v16, vcc
	v_cndmask_b32_e32 v14, v15, v20, vcc
	v_mov_b32_e32 v15, 0x3b800000
	v_lshlrev_b32_e32 v10, 20, v10
	v_lshl_add_u32 v14, v14, 23, v15
	v_or3_b32 v10, v11, v14, v10
.LBB17_860:
	s_or_b64 exec, exec, s[6:7]
	s_movk_i32 s4, 0x7f
	v_cmp_gt_i16_sdwa s[6:7], v12, s4 src0_sel:BYTE_3 src1_sel:DWORD
	s_mov_b64 s[4:5], 0
                                        ; implicit-def: $sgpr10
	s_and_saveexec_b64 s[8:9], s[6:7]
	s_xor_b64 s[6:7], exec, s[8:9]
	s_cbranch_execnz .LBB17_2909
; %bb.861:
	s_or_saveexec_b64 s[6:7], s[6:7]
	v_mov_b32_e32 v11, s10
	s_xor_b64 exec, exec, s[6:7]
	s_cbranch_execnz .LBB17_2912
.LBB17_862:
	s_or_b64 exec, exec, s[6:7]
	s_and_saveexec_b64 s[6:7], s[4:5]
	s_cbranch_execz .LBB17_864
.LBB17_863:
	v_bfe_u32 v11, v12, 24, 3
	v_ffbh_u32_e32 v20, v11
	v_min_u32_e32 v20, 32, v20
	v_lshrrev_b32_e32 v15, 27, v12
	v_subrev_u32_e32 v21, 28, v20
	v_and_b32_e32 v14, 0x80000000, v12
	v_and_b32_e32 v15, 15, v15
	v_bfe_u32 v16, v12, 27, 4
	v_lshlrev_b32_sdwa v12, v21, v12 dst_sel:DWORD dst_unused:UNUSED_PAD src0_sel:DWORD src1_sel:BYTE_3
	v_sub_u32_e32 v20, 29, v20
	v_and_b32_e32 v12, 7, v12
	v_cmp_eq_u16_e32 vcc, 0, v15
	v_cndmask_b32_e32 v11, v11, v12, vcc
	v_cndmask_b32_e32 v12, v16, v20, vcc
	v_mov_b32_e32 v15, 0x3b800000
	v_lshlrev_b32_e32 v11, 20, v11
	v_lshl_add_u32 v12, v12, 23, v15
	v_or3_b32 v11, v14, v12, v11
.LBB17_864:
	s_or_b64 exec, exec, s[6:7]
	s_nop 0
	v_mfma_f32_16x16x4f32 a[0:3], v10, v11, a[0:3]
	s_movk_i32 s4, 0x7f
	v_cmp_gt_i16_sdwa s[6:7], v17, s4 src0_sel:BYTE_0 src1_sel:DWORD
	s_mov_b64 s[4:5], 0
                                        ; implicit-def: $sgpr10
	s_and_saveexec_b64 s[8:9], s[6:7]
	s_xor_b64 s[6:7], exec, s[8:9]
	s_cbranch_execnz .LBB17_2913
; %bb.865:
	s_or_saveexec_b64 s[6:7], s[6:7]
	v_mov_b32_e32 v10, s10
	s_xor_b64 exec, exec, s[6:7]
	s_cbranch_execnz .LBB17_2916
.LBB17_866:
	s_or_b64 exec, exec, s[6:7]
	s_and_saveexec_b64 s[6:7], s[4:5]
	s_cbranch_execz .LBB17_868
.LBB17_867:
	v_and_b32_e32 v10, 7, v17
	v_ffbh_u32_e32 v12, v10
	v_min_u32_e32 v12, 32, v12
	v_lshrrev_b16_e32 v11, 3, v17
	v_subrev_u32_e32 v14, 28, v12
	v_and_b32_e32 v11, 15, v11
	v_lshlrev_b32_e32 v14, v14, v17
	v_sub_u32_e32 v12, 29, v12
	v_and_b32_e32 v14, 7, v14
	v_cmp_eq_u16_e32 vcc, 0, v11
	v_cndmask_b32_e32 v10, v10, v14, vcc
	v_cndmask_b32_e32 v11, v11, v12, vcc
	v_lshlrev_b32_e32 v12, 24, v17
	v_mov_b32_e32 v14, 0x3b800000
	v_lshlrev_b32_e32 v10, 20, v10
	v_and_b32_e32 v12, 0x80000000, v12
	v_lshl_add_u32 v11, v11, 23, v14
	v_or3_b32 v10, v12, v11, v10
.LBB17_868:
	s_or_b64 exec, exec, s[6:7]
	s_movk_i32 s4, 0x7f
	v_cmp_gt_i16_sdwa s[6:7], v13, s4 src0_sel:BYTE_0 src1_sel:DWORD
	s_mov_b64 s[4:5], 0
                                        ; implicit-def: $sgpr10
	s_and_saveexec_b64 s[8:9], s[6:7]
	s_xor_b64 s[6:7], exec, s[8:9]
	s_cbranch_execnz .LBB17_2917
; %bb.869:
	s_or_saveexec_b64 s[6:7], s[6:7]
	v_mov_b32_e32 v11, s10
	s_xor_b64 exec, exec, s[6:7]
	s_cbranch_execnz .LBB17_2920
.LBB17_870:
	s_or_b64 exec, exec, s[6:7]
	s_and_saveexec_b64 s[6:7], s[4:5]
	s_cbranch_execz .LBB17_872
.LBB17_871:
	v_and_b32_e32 v11, 7, v13
	v_ffbh_u32_e32 v14, v11
	v_min_u32_e32 v14, 32, v14
	v_lshrrev_b16_e32 v12, 3, v13
	v_subrev_u32_e32 v15, 28, v14
	v_and_b32_e32 v12, 15, v12
	v_lshlrev_b32_e32 v15, v15, v13
	v_sub_u32_e32 v14, 29, v14
	v_and_b32_e32 v15, 7, v15
	v_cmp_eq_u16_e32 vcc, 0, v12
	v_cndmask_b32_e32 v11, v11, v15, vcc
	v_cndmask_b32_e32 v12, v12, v14, vcc
	v_lshlrev_b32_e32 v14, 24, v13
	v_mov_b32_e32 v15, 0x3b800000
	v_lshlrev_b32_e32 v11, 20, v11
	v_and_b32_e32 v14, 0x80000000, v14
	v_lshl_add_u32 v12, v12, 23, v15
	v_or3_b32 v11, v14, v12, v11
.LBB17_872:
	s_or_b64 exec, exec, s[6:7]
	s_nop 0
	v_mfma_f32_16x16x4f32 a[0:3], v10, v11, a[0:3]
	v_lshrrev_b32_e32 v11, 8, v17
	s_movk_i32 s4, 0x7f
	v_cmp_gt_i16_sdwa s[6:7], v11, s4 src0_sel:BYTE_0 src1_sel:DWORD
	s_mov_b64 s[4:5], 0
                                        ; implicit-def: $sgpr10
	s_and_saveexec_b64 s[8:9], s[6:7]
	s_xor_b64 s[6:7], exec, s[8:9]
	s_cbranch_execnz .LBB17_2921
; %bb.873:
	s_or_saveexec_b64 s[6:7], s[6:7]
	v_mov_b32_e32 v10, s10
	s_xor_b64 exec, exec, s[6:7]
	s_cbranch_execnz .LBB17_2924
.LBB17_874:
	s_or_b64 exec, exec, s[6:7]
	s_and_saveexec_b64 s[6:7], s[4:5]
	s_cbranch_execz .LBB17_876
.LBB17_875:
	v_bfe_u32 v10, v17, 8, 3
	v_ffbh_u32_e32 v14, v10
	v_min_u32_e32 v14, 32, v14
	v_lshrrev_b16_e32 v12, 3, v11
	v_subrev_u32_e32 v15, 28, v14
	v_and_b32_e32 v12, 15, v12
	v_lshlrev_b32_e32 v11, v15, v11
	v_sub_u32_e32 v14, 29, v14
	v_and_b32_e32 v11, 7, v11
	v_cmp_eq_u16_e32 vcc, 0, v12
	v_cndmask_b32_e32 v10, v10, v11, vcc
	v_cndmask_b32_e32 v11, v12, v14, vcc
	v_lshlrev_b32_e32 v12, 16, v17
	v_mov_b32_e32 v14, 0x3b800000
	v_lshlrev_b32_e32 v10, 20, v10
	v_and_b32_e32 v12, 0x80000000, v12
	v_lshl_add_u32 v11, v11, 23, v14
	v_or3_b32 v10, v12, v11, v10
.LBB17_876:
	s_or_b64 exec, exec, s[6:7]
	v_lshrrev_b32_e32 v11, 8, v13
	s_movk_i32 s4, 0x7f
	v_cmp_gt_i16_sdwa s[6:7], v11, s4 src0_sel:BYTE_0 src1_sel:DWORD
	s_mov_b64 s[4:5], 0
                                        ; implicit-def: $sgpr10
	s_and_saveexec_b64 s[8:9], s[6:7]
	s_xor_b64 s[6:7], exec, s[8:9]
	s_cbranch_execnz .LBB17_2925
; %bb.877:
	s_or_saveexec_b64 s[6:7], s[6:7]
	v_mov_b32_e32 v12, s10
	s_xor_b64 exec, exec, s[6:7]
	s_cbranch_execnz .LBB17_2928
.LBB17_878:
	s_or_b64 exec, exec, s[6:7]
	s_and_saveexec_b64 s[6:7], s[4:5]
	s_cbranch_execz .LBB17_880
.LBB17_879:
	v_bfe_u32 v12, v13, 8, 3
	v_ffbh_u32_e32 v15, v12
	v_min_u32_e32 v15, 32, v15
	v_lshrrev_b16_e32 v14, 3, v11
	v_subrev_u32_e32 v16, 28, v15
	v_and_b32_e32 v14, 15, v14
	v_lshlrev_b32_e32 v11, v16, v11
	v_sub_u32_e32 v15, 29, v15
	v_and_b32_e32 v11, 7, v11
	v_cmp_eq_u16_e32 vcc, 0, v14
	v_cndmask_b32_e32 v11, v12, v11, vcc
	v_cndmask_b32_e32 v12, v14, v15, vcc
	v_lshlrev_b32_e32 v14, 16, v13
	v_mov_b32_e32 v15, 0x3b800000
	v_lshlrev_b32_e32 v11, 20, v11
	v_and_b32_e32 v14, 0x80000000, v14
	v_lshl_add_u32 v12, v12, 23, v15
	v_or3_b32 v12, v14, v12, v11
.LBB17_880:
	s_or_b64 exec, exec, s[6:7]
	s_nop 0
	v_mfma_f32_16x16x4f32 a[0:3], v10, v12, a[0:3]
	s_movk_i32 s4, 0xff
	v_and_b32_sdwa v11, v17, s4 dst_sel:DWORD dst_unused:UNUSED_PAD src0_sel:WORD_1 src1_sel:DWORD
	s_movk_i32 s4, 0x7f
	v_cmp_lt_i16_e32 vcc, s4, v11
	s_mov_b64 s[4:5], 0
                                        ; implicit-def: $sgpr10
	s_and_saveexec_b64 s[6:7], vcc
	s_xor_b64 s[6:7], exec, s[6:7]
	s_cbranch_execnz .LBB17_2929
; %bb.881:
	s_or_saveexec_b64 s[6:7], s[6:7]
	v_mov_b32_e32 v10, s10
	s_xor_b64 exec, exec, s[6:7]
	s_cbranch_execnz .LBB17_2932
.LBB17_882:
	s_or_b64 exec, exec, s[6:7]
	s_and_saveexec_b64 s[6:7], s[4:5]
	s_cbranch_execz .LBB17_884
.LBB17_883:
	v_bfe_u32 v10, v17, 16, 3
	v_ffbh_u32_e32 v14, v10
	v_min_u32_e32 v14, 32, v14
	v_lshrrev_b32_e32 v11, 19, v17
	v_subrev_u32_e32 v15, 28, v14
	v_and_b32_e32 v11, 15, v11
	v_lshlrev_b32_sdwa v15, v15, v17 dst_sel:DWORD dst_unused:UNUSED_PAD src0_sel:DWORD src1_sel:WORD_1
	v_bfe_u32 v12, v17, 19, 4
	v_sub_u32_e32 v14, 29, v14
	v_and_b32_e32 v15, 7, v15
	v_cmp_eq_u16_e32 vcc, 0, v11
	v_cndmask_b32_e32 v10, v10, v15, vcc
	v_cndmask_b32_e32 v11, v12, v14, vcc
	v_lshlrev_b32_e32 v12, 8, v17
	v_mov_b32_e32 v14, 0x3b800000
	v_lshlrev_b32_e32 v10, 20, v10
	v_and_b32_e32 v12, 0x80000000, v12
	v_lshl_add_u32 v11, v11, 23, v14
	v_or3_b32 v10, v12, v11, v10
.LBB17_884:
	s_or_b64 exec, exec, s[6:7]
	s_movk_i32 s4, 0xff
	v_and_b32_sdwa v11, v13, s4 dst_sel:DWORD dst_unused:UNUSED_PAD src0_sel:WORD_1 src1_sel:DWORD
	s_movk_i32 s4, 0x7f
	v_cmp_lt_i16_e32 vcc, s4, v11
	s_mov_b64 s[4:5], 0
                                        ; implicit-def: $sgpr10
	s_and_saveexec_b64 s[6:7], vcc
	s_xor_b64 s[6:7], exec, s[6:7]
	s_cbranch_execnz .LBB17_2933
; %bb.885:
	s_or_saveexec_b64 s[6:7], s[6:7]
	v_mov_b32_e32 v12, s10
	s_xor_b64 exec, exec, s[6:7]
	s_cbranch_execnz .LBB17_2936
.LBB17_886:
	s_or_b64 exec, exec, s[6:7]
	s_and_saveexec_b64 s[6:7], s[4:5]
	s_cbranch_execz .LBB17_888
.LBB17_887:
	v_bfe_u32 v11, v13, 16, 3
	v_ffbh_u32_e32 v15, v11
	v_min_u32_e32 v15, 32, v15
	v_lshrrev_b32_e32 v12, 19, v13
	v_subrev_u32_e32 v16, 28, v15
	v_and_b32_e32 v12, 15, v12
	v_lshlrev_b32_sdwa v16, v16, v13 dst_sel:DWORD dst_unused:UNUSED_PAD src0_sel:DWORD src1_sel:WORD_1
	v_bfe_u32 v14, v13, 19, 4
	v_sub_u32_e32 v15, 29, v15
	v_and_b32_e32 v16, 7, v16
	v_cmp_eq_u16_e32 vcc, 0, v12
	v_cndmask_b32_e32 v11, v11, v16, vcc
	v_cndmask_b32_e32 v12, v14, v15, vcc
	v_lshlrev_b32_e32 v14, 8, v13
	v_mov_b32_e32 v15, 0x3b800000
	v_lshlrev_b32_e32 v11, 20, v11
	v_and_b32_e32 v14, 0x80000000, v14
	v_lshl_add_u32 v12, v12, 23, v15
	v_or3_b32 v12, v14, v12, v11
.LBB17_888:
	s_or_b64 exec, exec, s[6:7]
	s_nop 0
	v_mfma_f32_16x16x4f32 a[0:3], v10, v12, a[0:3]
	s_movk_i32 s4, 0x7f
	v_cmp_gt_i16_sdwa s[6:7], v17, s4 src0_sel:BYTE_3 src1_sel:DWORD
	s_mov_b64 s[4:5], 0
                                        ; implicit-def: $sgpr10
	s_and_saveexec_b64 s[8:9], s[6:7]
	s_xor_b64 s[6:7], exec, s[8:9]
	s_cbranch_execnz .LBB17_2937
; %bb.889:
	s_or_saveexec_b64 s[6:7], s[6:7]
	v_mov_b32_e32 v10, s10
	s_xor_b64 exec, exec, s[6:7]
	s_cbranch_execnz .LBB17_2940
.LBB17_890:
	s_or_b64 exec, exec, s[6:7]
	s_and_saveexec_b64 s[6:7], s[4:5]
	s_cbranch_execz .LBB17_892
.LBB17_891:
	v_bfe_u32 v10, v17, 24, 3
	v_ffbh_u32_e32 v15, v10
	v_min_u32_e32 v15, 32, v15
	v_lshrrev_b32_e32 v12, 27, v17
	v_subrev_u32_e32 v16, 28, v15
	v_and_b32_e32 v12, 15, v12
	v_lshlrev_b32_sdwa v16, v16, v17 dst_sel:DWORD dst_unused:UNUSED_PAD src0_sel:DWORD src1_sel:BYTE_3
	v_bfe_u32 v14, v17, 27, 4
	v_sub_u32_e32 v15, 29, v15
	v_and_b32_e32 v16, 7, v16
	v_cmp_eq_u16_e32 vcc, 0, v12
	v_cndmask_b32_e32 v10, v10, v16, vcc
	v_cndmask_b32_e32 v12, v14, v15, vcc
	v_mov_b32_e32 v14, 0x3b800000
	v_and_b32_e32 v11, 0x80000000, v17
	v_lshlrev_b32_e32 v10, 20, v10
	v_lshl_add_u32 v12, v12, 23, v14
	v_or3_b32 v10, v11, v12, v10
.LBB17_892:
	s_or_b64 exec, exec, s[6:7]
	s_movk_i32 s4, 0x7f
	v_cmp_gt_i16_sdwa s[6:7], v13, s4 src0_sel:BYTE_3 src1_sel:DWORD
	s_mov_b64 s[4:5], 0
                                        ; implicit-def: $sgpr10
	s_and_saveexec_b64 s[8:9], s[6:7]
	s_xor_b64 s[6:7], exec, s[8:9]
	s_cbranch_execnz .LBB17_2941
; %bb.893:
	s_or_saveexec_b64 s[6:7], s[6:7]
	v_mov_b32_e32 v11, s10
	s_xor_b64 exec, exec, s[6:7]
	s_cbranch_execnz .LBB17_2944
.LBB17_894:
	s_or_b64 exec, exec, s[6:7]
	s_and_saveexec_b64 s[6:7], s[4:5]
	s_cbranch_execz .LBB17_896
.LBB17_895:
	v_bfe_u32 v11, v13, 24, 3
	v_ffbh_u32_e32 v16, v11
	v_min_u32_e32 v16, 32, v16
	v_lshrrev_b32_e32 v14, 27, v13
	v_subrev_u32_e32 v17, 28, v16
	v_and_b32_e32 v12, 0x80000000, v13
	v_and_b32_e32 v14, 15, v14
	v_bfe_u32 v15, v13, 27, 4
	v_lshlrev_b32_sdwa v13, v17, v13 dst_sel:DWORD dst_unused:UNUSED_PAD src0_sel:DWORD src1_sel:BYTE_3
	v_sub_u32_e32 v16, 29, v16
	v_and_b32_e32 v13, 7, v13
	v_cmp_eq_u16_e32 vcc, 0, v14
	v_cndmask_b32_e32 v11, v11, v13, vcc
	v_cndmask_b32_e32 v13, v15, v16, vcc
	v_mov_b32_e32 v14, 0x3b800000
	v_lshlrev_b32_e32 v11, 20, v11
	v_lshl_add_u32 v13, v13, 23, v14
	v_or3_b32 v11, v12, v13, v11
.LBB17_896:
	s_or_b64 exec, exec, s[6:7]
	s_nop 0
	v_mfma_f32_16x16x4f32 a[0:3], v10, v11, a[0:3]
	s_movk_i32 s4, 0x7f
	v_cmp_gt_i16_sdwa s[6:7], v6, s4 src0_sel:BYTE_0 src1_sel:DWORD
	s_mov_b64 s[4:5], 0
                                        ; implicit-def: $sgpr10
	s_and_saveexec_b64 s[8:9], s[6:7]
	s_xor_b64 s[6:7], exec, s[8:9]
	s_cbranch_execnz .LBB17_2945
; %bb.897:
	s_or_saveexec_b64 s[6:7], s[6:7]
	v_mov_b32_e32 v10, s10
	s_xor_b64 exec, exec, s[6:7]
	s_cbranch_execnz .LBB17_2948
.LBB17_898:
	s_or_b64 exec, exec, s[6:7]
	s_and_saveexec_b64 s[6:7], s[4:5]
	s_cbranch_execz .LBB17_900
.LBB17_899:
	v_and_b32_e32 v10, 7, v6
	v_ffbh_u32_e32 v12, v10
	v_min_u32_e32 v12, 32, v12
	v_lshrrev_b16_e32 v11, 3, v6
	v_subrev_u32_e32 v13, 28, v12
	v_and_b32_e32 v11, 15, v11
	v_lshlrev_b32_e32 v13, v13, v6
	v_sub_u32_e32 v12, 29, v12
	v_and_b32_e32 v13, 7, v13
	v_cmp_eq_u16_e32 vcc, 0, v11
	v_cndmask_b32_e32 v10, v10, v13, vcc
	v_cndmask_b32_e32 v11, v11, v12, vcc
	v_lshlrev_b32_e32 v12, 24, v6
	v_mov_b32_e32 v13, 0x3b800000
	v_lshlrev_b32_e32 v10, 20, v10
	v_and_b32_e32 v12, 0x80000000, v12
	v_lshl_add_u32 v11, v11, 23, v13
	v_or3_b32 v10, v12, v11, v10
.LBB17_900:
	s_or_b64 exec, exec, s[6:7]
	s_movk_i32 s4, 0x7f
	v_cmp_gt_i16_sdwa s[6:7], v2, s4 src0_sel:BYTE_0 src1_sel:DWORD
	s_mov_b64 s[4:5], 0
                                        ; implicit-def: $sgpr10
	s_and_saveexec_b64 s[8:9], s[6:7]
	s_xor_b64 s[6:7], exec, s[8:9]
	s_cbranch_execnz .LBB17_2949
; %bb.901:
	s_or_saveexec_b64 s[6:7], s[6:7]
	v_mov_b32_e32 v11, s10
	s_xor_b64 exec, exec, s[6:7]
	s_cbranch_execnz .LBB17_2952
.LBB17_902:
	s_or_b64 exec, exec, s[6:7]
	s_and_saveexec_b64 s[6:7], s[4:5]
	s_cbranch_execz .LBB17_904
.LBB17_903:
	v_and_b32_e32 v11, 7, v2
	v_ffbh_u32_e32 v13, v11
	v_min_u32_e32 v13, 32, v13
	v_lshrrev_b16_e32 v12, 3, v2
	v_subrev_u32_e32 v14, 28, v13
	v_and_b32_e32 v12, 15, v12
	v_lshlrev_b32_e32 v14, v14, v2
	v_sub_u32_e32 v13, 29, v13
	v_and_b32_e32 v14, 7, v14
	v_cmp_eq_u16_e32 vcc, 0, v12
	v_cndmask_b32_e32 v11, v11, v14, vcc
	v_cndmask_b32_e32 v12, v12, v13, vcc
	v_lshlrev_b32_e32 v13, 24, v2
	v_mov_b32_e32 v14, 0x3b800000
	v_lshlrev_b32_e32 v11, 20, v11
	v_and_b32_e32 v13, 0x80000000, v13
	v_lshl_add_u32 v12, v12, 23, v14
	v_or3_b32 v11, v13, v12, v11
.LBB17_904:
	s_or_b64 exec, exec, s[6:7]
	s_nop 0
	v_mfma_f32_16x16x4f32 a[0:3], v10, v11, a[0:3]
	v_lshrrev_b32_e32 v11, 8, v6
	s_movk_i32 s4, 0x7f
	v_cmp_gt_i16_sdwa s[6:7], v11, s4 src0_sel:BYTE_0 src1_sel:DWORD
	s_mov_b64 s[4:5], 0
                                        ; implicit-def: $sgpr10
	s_and_saveexec_b64 s[8:9], s[6:7]
	s_xor_b64 s[6:7], exec, s[8:9]
	s_cbranch_execnz .LBB17_2953
; %bb.905:
	s_or_saveexec_b64 s[6:7], s[6:7]
	v_mov_b32_e32 v10, s10
	s_xor_b64 exec, exec, s[6:7]
	s_cbranch_execnz .LBB17_2956
.LBB17_906:
	s_or_b64 exec, exec, s[6:7]
	s_and_saveexec_b64 s[6:7], s[4:5]
	s_cbranch_execz .LBB17_908
.LBB17_907:
	v_bfe_u32 v10, v6, 8, 3
	v_ffbh_u32_e32 v13, v10
	v_min_u32_e32 v13, 32, v13
	v_lshrrev_b16_e32 v12, 3, v11
	v_subrev_u32_e32 v14, 28, v13
	v_and_b32_e32 v12, 15, v12
	v_lshlrev_b32_e32 v11, v14, v11
	v_sub_u32_e32 v13, 29, v13
	v_and_b32_e32 v11, 7, v11
	v_cmp_eq_u16_e32 vcc, 0, v12
	v_cndmask_b32_e32 v10, v10, v11, vcc
	v_cndmask_b32_e32 v11, v12, v13, vcc
	v_lshlrev_b32_e32 v12, 16, v6
	v_mov_b32_e32 v13, 0x3b800000
	v_lshlrev_b32_e32 v10, 20, v10
	v_and_b32_e32 v12, 0x80000000, v12
	v_lshl_add_u32 v11, v11, 23, v13
	v_or3_b32 v10, v12, v11, v10
.LBB17_908:
	s_or_b64 exec, exec, s[6:7]
	v_lshrrev_b32_e32 v11, 8, v2
	s_movk_i32 s4, 0x7f
	v_cmp_gt_i16_sdwa s[6:7], v11, s4 src0_sel:BYTE_0 src1_sel:DWORD
	s_mov_b64 s[4:5], 0
                                        ; implicit-def: $sgpr10
	s_and_saveexec_b64 s[8:9], s[6:7]
	s_xor_b64 s[6:7], exec, s[8:9]
	s_cbranch_execnz .LBB17_2957
; %bb.909:
	s_or_saveexec_b64 s[6:7], s[6:7]
	v_mov_b32_e32 v12, s10
	s_xor_b64 exec, exec, s[6:7]
	s_cbranch_execnz .LBB17_2960
.LBB17_910:
	s_or_b64 exec, exec, s[6:7]
	s_and_saveexec_b64 s[6:7], s[4:5]
	s_cbranch_execz .LBB17_912
.LBB17_911:
	v_bfe_u32 v12, v2, 8, 3
	v_ffbh_u32_e32 v14, v12
	v_min_u32_e32 v14, 32, v14
	v_lshrrev_b16_e32 v13, 3, v11
	v_subrev_u32_e32 v15, 28, v14
	v_and_b32_e32 v13, 15, v13
	v_lshlrev_b32_e32 v11, v15, v11
	v_sub_u32_e32 v14, 29, v14
	v_and_b32_e32 v11, 7, v11
	v_cmp_eq_u16_e32 vcc, 0, v13
	v_cndmask_b32_e32 v11, v12, v11, vcc
	v_cndmask_b32_e32 v12, v13, v14, vcc
	v_lshlrev_b32_e32 v13, 16, v2
	v_mov_b32_e32 v14, 0x3b800000
	v_lshlrev_b32_e32 v11, 20, v11
	v_and_b32_e32 v13, 0x80000000, v13
	v_lshl_add_u32 v12, v12, 23, v14
	v_or3_b32 v12, v13, v12, v11
.LBB17_912:
	s_or_b64 exec, exec, s[6:7]
	s_nop 0
	v_mfma_f32_16x16x4f32 a[0:3], v10, v12, a[0:3]
	s_movk_i32 s4, 0xff
	v_and_b32_sdwa v11, v6, s4 dst_sel:DWORD dst_unused:UNUSED_PAD src0_sel:WORD_1 src1_sel:DWORD
	s_movk_i32 s4, 0x7f
	v_cmp_lt_i16_e32 vcc, s4, v11
	s_mov_b64 s[4:5], 0
                                        ; implicit-def: $sgpr10
	s_and_saveexec_b64 s[6:7], vcc
	s_xor_b64 s[6:7], exec, s[6:7]
	s_cbranch_execnz .LBB17_2961
; %bb.913:
	s_or_saveexec_b64 s[6:7], s[6:7]
	v_mov_b32_e32 v10, s10
	s_xor_b64 exec, exec, s[6:7]
	s_cbranch_execnz .LBB17_2964
.LBB17_914:
	s_or_b64 exec, exec, s[6:7]
	s_and_saveexec_b64 s[6:7], s[4:5]
	s_cbranch_execz .LBB17_916
.LBB17_915:
	v_bfe_u32 v10, v6, 16, 3
	v_ffbh_u32_e32 v13, v10
	v_min_u32_e32 v13, 32, v13
	v_lshrrev_b32_e32 v11, 19, v6
	v_subrev_u32_e32 v14, 28, v13
	v_and_b32_e32 v11, 15, v11
	v_lshlrev_b32_sdwa v14, v14, v6 dst_sel:DWORD dst_unused:UNUSED_PAD src0_sel:DWORD src1_sel:WORD_1
	v_bfe_u32 v12, v6, 19, 4
	v_sub_u32_e32 v13, 29, v13
	v_and_b32_e32 v14, 7, v14
	v_cmp_eq_u16_e32 vcc, 0, v11
	v_cndmask_b32_e32 v10, v10, v14, vcc
	v_cndmask_b32_e32 v11, v12, v13, vcc
	v_lshlrev_b32_e32 v12, 8, v6
	v_mov_b32_e32 v13, 0x3b800000
	v_lshlrev_b32_e32 v10, 20, v10
	v_and_b32_e32 v12, 0x80000000, v12
	v_lshl_add_u32 v11, v11, 23, v13
	v_or3_b32 v10, v12, v11, v10
.LBB17_916:
	s_or_b64 exec, exec, s[6:7]
	s_movk_i32 s4, 0xff
	v_and_b32_sdwa v11, v2, s4 dst_sel:DWORD dst_unused:UNUSED_PAD src0_sel:WORD_1 src1_sel:DWORD
	s_movk_i32 s4, 0x7f
	v_cmp_lt_i16_e32 vcc, s4, v11
	s_mov_b64 s[4:5], 0
                                        ; implicit-def: $sgpr10
	s_and_saveexec_b64 s[6:7], vcc
	s_xor_b64 s[6:7], exec, s[6:7]
	s_cbranch_execnz .LBB17_2965
; %bb.917:
	s_or_saveexec_b64 s[6:7], s[6:7]
	v_mov_b32_e32 v12, s10
	s_xor_b64 exec, exec, s[6:7]
	s_cbranch_execnz .LBB17_2968
.LBB17_918:
	s_or_b64 exec, exec, s[6:7]
	s_and_saveexec_b64 s[6:7], s[4:5]
	s_cbranch_execz .LBB17_920
.LBB17_919:
	v_bfe_u32 v11, v2, 16, 3
	v_ffbh_u32_e32 v14, v11
	v_min_u32_e32 v14, 32, v14
	v_lshrrev_b32_e32 v12, 19, v2
	v_subrev_u32_e32 v15, 28, v14
	v_and_b32_e32 v12, 15, v12
	v_lshlrev_b32_sdwa v15, v15, v2 dst_sel:DWORD dst_unused:UNUSED_PAD src0_sel:DWORD src1_sel:WORD_1
	v_bfe_u32 v13, v2, 19, 4
	v_sub_u32_e32 v14, 29, v14
	v_and_b32_e32 v15, 7, v15
	v_cmp_eq_u16_e32 vcc, 0, v12
	v_cndmask_b32_e32 v11, v11, v15, vcc
	v_cndmask_b32_e32 v12, v13, v14, vcc
	v_lshlrev_b32_e32 v13, 8, v2
	v_mov_b32_e32 v14, 0x3b800000
	v_lshlrev_b32_e32 v11, 20, v11
	v_and_b32_e32 v13, 0x80000000, v13
	v_lshl_add_u32 v12, v12, 23, v14
	v_or3_b32 v12, v13, v12, v11
.LBB17_920:
	s_or_b64 exec, exec, s[6:7]
	s_nop 0
	v_mfma_f32_16x16x4f32 a[0:3], v10, v12, a[0:3]
	s_movk_i32 s4, 0x7f
	v_cmp_gt_i16_sdwa s[6:7], v6, s4 src0_sel:BYTE_3 src1_sel:DWORD
	s_mov_b64 s[4:5], 0
                                        ; implicit-def: $sgpr10
	s_and_saveexec_b64 s[8:9], s[6:7]
	s_xor_b64 s[6:7], exec, s[8:9]
	s_cbranch_execnz .LBB17_2969
; %bb.921:
	s_or_saveexec_b64 s[6:7], s[6:7]
	v_mov_b32_e32 v10, s10
	s_xor_b64 exec, exec, s[6:7]
	s_cbranch_execnz .LBB17_2972
.LBB17_922:
	s_or_b64 exec, exec, s[6:7]
	s_and_saveexec_b64 s[6:7], s[4:5]
	s_cbranch_execz .LBB17_924
.LBB17_923:
	v_bfe_u32 v10, v6, 24, 3
	v_ffbh_u32_e32 v14, v10
	v_min_u32_e32 v14, 32, v14
	v_lshrrev_b32_e32 v12, 27, v6
	v_subrev_u32_e32 v15, 28, v14
	v_and_b32_e32 v11, 0x80000000, v6
	v_and_b32_e32 v12, 15, v12
	v_bfe_u32 v13, v6, 27, 4
	v_lshlrev_b32_sdwa v6, v15, v6 dst_sel:DWORD dst_unused:UNUSED_PAD src0_sel:DWORD src1_sel:BYTE_3
	v_sub_u32_e32 v14, 29, v14
	v_and_b32_e32 v6, 7, v6
	v_cmp_eq_u16_e32 vcc, 0, v12
	v_cndmask_b32_e32 v6, v10, v6, vcc
	v_cndmask_b32_e32 v10, v13, v14, vcc
	v_mov_b32_e32 v12, 0x3b800000
	v_lshlrev_b32_e32 v6, 20, v6
	v_lshl_add_u32 v10, v10, 23, v12
	v_or3_b32 v10, v11, v10, v6
.LBB17_924:
	s_or_b64 exec, exec, s[6:7]
	s_movk_i32 s4, 0x7f
	v_cmp_gt_i16_sdwa s[6:7], v2, s4 src0_sel:BYTE_3 src1_sel:DWORD
	s_mov_b64 s[4:5], 0
                                        ; implicit-def: $sgpr10
	s_and_saveexec_b64 s[8:9], s[6:7]
	s_xor_b64 s[6:7], exec, s[8:9]
	s_cbranch_execnz .LBB17_2973
; %bb.925:
	s_or_saveexec_b64 s[6:7], s[6:7]
	v_mov_b32_e32 v6, s10
	s_xor_b64 exec, exec, s[6:7]
	s_cbranch_execnz .LBB17_2976
.LBB17_926:
	s_or_b64 exec, exec, s[6:7]
	s_and_saveexec_b64 s[6:7], s[4:5]
	s_cbranch_execz .LBB17_928
.LBB17_927:
	v_bfe_u32 v6, v2, 24, 3
	v_ffbh_u32_e32 v14, v6
	v_min_u32_e32 v14, 32, v14
	v_lshrrev_b32_e32 v12, 27, v2
	v_subrev_u32_e32 v15, 28, v14
	v_and_b32_e32 v11, 0x80000000, v2
	v_and_b32_e32 v12, 15, v12
	v_bfe_u32 v13, v2, 27, 4
	v_lshlrev_b32_sdwa v2, v15, v2 dst_sel:DWORD dst_unused:UNUSED_PAD src0_sel:DWORD src1_sel:BYTE_3
	v_sub_u32_e32 v14, 29, v14
	v_and_b32_e32 v2, 7, v2
	v_cmp_eq_u16_e32 vcc, 0, v12
	v_cndmask_b32_e32 v2, v6, v2, vcc
	v_cndmask_b32_e32 v6, v13, v14, vcc
	v_mov_b32_e32 v12, 0x3b800000
	v_lshlrev_b32_e32 v2, 20, v2
	v_lshl_add_u32 v6, v6, 23, v12
	v_or3_b32 v6, v11, v6, v2
.LBB17_928:
	s_or_b64 exec, exec, s[6:7]
	s_nop 0
	v_mfma_f32_16x16x4f32 a[0:3], v10, v6, a[0:3]
	s_movk_i32 s4, 0x7f
	v_cmp_gt_i16_sdwa s[6:7], v7, s4 src0_sel:BYTE_0 src1_sel:DWORD
	s_mov_b64 s[4:5], 0
                                        ; implicit-def: $sgpr10
	s_and_saveexec_b64 s[8:9], s[6:7]
	s_xor_b64 s[6:7], exec, s[8:9]
	s_cbranch_execnz .LBB17_2977
; %bb.929:
	s_or_saveexec_b64 s[6:7], s[6:7]
	v_mov_b32_e32 v2, s10
	s_xor_b64 exec, exec, s[6:7]
	s_cbranch_execnz .LBB17_2980
.LBB17_930:
	s_or_b64 exec, exec, s[6:7]
	s_and_saveexec_b64 s[6:7], s[4:5]
	s_cbranch_execz .LBB17_932
.LBB17_931:
	v_and_b32_e32 v2, 7, v7
	v_ffbh_u32_e32 v10, v2
	v_min_u32_e32 v10, 32, v10
	v_lshrrev_b16_e32 v6, 3, v7
	v_subrev_u32_e32 v11, 28, v10
	v_and_b32_e32 v6, 15, v6
	v_lshlrev_b32_e32 v11, v11, v7
	v_sub_u32_e32 v10, 29, v10
	v_and_b32_e32 v11, 7, v11
	v_cmp_eq_u16_e32 vcc, 0, v6
	v_cndmask_b32_e32 v2, v2, v11, vcc
	v_cndmask_b32_e32 v6, v6, v10, vcc
	v_lshlrev_b32_e32 v10, 24, v7
	v_mov_b32_e32 v11, 0x3b800000
	v_lshlrev_b32_e32 v2, 20, v2
	v_and_b32_e32 v10, 0x80000000, v10
	v_lshl_add_u32 v6, v6, 23, v11
	v_or3_b32 v2, v10, v6, v2
.LBB17_932:
	s_or_b64 exec, exec, s[6:7]
	s_movk_i32 s4, 0x7f
	v_cmp_gt_i16_sdwa s[6:7], v3, s4 src0_sel:BYTE_0 src1_sel:DWORD
	s_mov_b64 s[4:5], 0
                                        ; implicit-def: $sgpr10
	s_and_saveexec_b64 s[8:9], s[6:7]
	s_xor_b64 s[6:7], exec, s[8:9]
	s_cbranch_execnz .LBB17_2981
; %bb.933:
	s_or_saveexec_b64 s[6:7], s[6:7]
	v_mov_b32_e32 v6, s10
	s_xor_b64 exec, exec, s[6:7]
	s_cbranch_execnz .LBB17_2984
.LBB17_934:
	s_or_b64 exec, exec, s[6:7]
	s_and_saveexec_b64 s[6:7], s[4:5]
	s_cbranch_execz .LBB17_936
.LBB17_935:
	v_and_b32_e32 v6, 7, v3
	v_ffbh_u32_e32 v11, v6
	v_min_u32_e32 v11, 32, v11
	v_lshrrev_b16_e32 v10, 3, v3
	v_subrev_u32_e32 v12, 28, v11
	v_and_b32_e32 v10, 15, v10
	v_lshlrev_b32_e32 v12, v12, v3
	v_sub_u32_e32 v11, 29, v11
	v_and_b32_e32 v12, 7, v12
	v_cmp_eq_u16_e32 vcc, 0, v10
	v_cndmask_b32_e32 v6, v6, v12, vcc
	v_cndmask_b32_e32 v10, v10, v11, vcc
	v_lshlrev_b32_e32 v11, 24, v3
	v_mov_b32_e32 v12, 0x3b800000
	v_lshlrev_b32_e32 v6, 20, v6
	v_and_b32_e32 v11, 0x80000000, v11
	v_lshl_add_u32 v10, v10, 23, v12
	v_or3_b32 v6, v11, v10, v6
.LBB17_936:
	s_or_b64 exec, exec, s[6:7]
	s_nop 0
	v_mfma_f32_16x16x4f32 a[0:3], v2, v6, a[0:3]
	v_lshrrev_b32_e32 v6, 8, v7
	s_movk_i32 s4, 0x7f
	v_cmp_gt_i16_sdwa s[6:7], v6, s4 src0_sel:BYTE_0 src1_sel:DWORD
	s_mov_b64 s[4:5], 0
                                        ; implicit-def: $sgpr10
	s_and_saveexec_b64 s[8:9], s[6:7]
	s_xor_b64 s[6:7], exec, s[8:9]
	s_cbranch_execnz .LBB17_2985
; %bb.937:
	s_or_saveexec_b64 s[6:7], s[6:7]
	v_mov_b32_e32 v2, s10
	s_xor_b64 exec, exec, s[6:7]
	s_cbranch_execnz .LBB17_2988
.LBB17_938:
	s_or_b64 exec, exec, s[6:7]
	s_and_saveexec_b64 s[6:7], s[4:5]
	s_cbranch_execz .LBB17_940
.LBB17_939:
	v_bfe_u32 v2, v7, 8, 3
	v_ffbh_u32_e32 v11, v2
	v_min_u32_e32 v11, 32, v11
	v_lshrrev_b16_e32 v10, 3, v6
	v_subrev_u32_e32 v12, 28, v11
	v_and_b32_e32 v10, 15, v10
	v_lshlrev_b32_e32 v6, v12, v6
	v_sub_u32_e32 v11, 29, v11
	v_and_b32_e32 v6, 7, v6
	v_cmp_eq_u16_e32 vcc, 0, v10
	v_cndmask_b32_e32 v2, v2, v6, vcc
	v_cndmask_b32_e32 v6, v10, v11, vcc
	v_lshlrev_b32_e32 v10, 16, v7
	v_mov_b32_e32 v11, 0x3b800000
	v_lshlrev_b32_e32 v2, 20, v2
	v_and_b32_e32 v10, 0x80000000, v10
	v_lshl_add_u32 v6, v6, 23, v11
	v_or3_b32 v2, v10, v6, v2
.LBB17_940:
	s_or_b64 exec, exec, s[6:7]
	v_lshrrev_b32_e32 v6, 8, v3
	s_movk_i32 s4, 0x7f
	v_cmp_gt_i16_sdwa s[6:7], v6, s4 src0_sel:BYTE_0 src1_sel:DWORD
	s_mov_b64 s[4:5], 0
                                        ; implicit-def: $sgpr10
	s_and_saveexec_b64 s[8:9], s[6:7]
	s_xor_b64 s[6:7], exec, s[8:9]
	s_cbranch_execnz .LBB17_2989
; %bb.941:
	s_or_saveexec_b64 s[6:7], s[6:7]
	v_mov_b32_e32 v10, s10
	s_xor_b64 exec, exec, s[6:7]
	s_cbranch_execnz .LBB17_2992
.LBB17_942:
	s_or_b64 exec, exec, s[6:7]
	s_and_saveexec_b64 s[6:7], s[4:5]
	s_cbranch_execz .LBB17_944
.LBB17_943:
	v_bfe_u32 v10, v3, 8, 3
	v_ffbh_u32_e32 v12, v10
	v_min_u32_e32 v12, 32, v12
	v_lshrrev_b16_e32 v11, 3, v6
	v_subrev_u32_e32 v13, 28, v12
	v_and_b32_e32 v11, 15, v11
	v_lshlrev_b32_e32 v6, v13, v6
	v_sub_u32_e32 v12, 29, v12
	v_and_b32_e32 v6, 7, v6
	v_cmp_eq_u16_e32 vcc, 0, v11
	v_cndmask_b32_e32 v6, v10, v6, vcc
	v_cndmask_b32_e32 v10, v11, v12, vcc
	v_lshlrev_b32_e32 v11, 16, v3
	v_mov_b32_e32 v12, 0x3b800000
	v_lshlrev_b32_e32 v6, 20, v6
	v_and_b32_e32 v11, 0x80000000, v11
	v_lshl_add_u32 v10, v10, 23, v12
	v_or3_b32 v10, v11, v10, v6
.LBB17_944:
	s_or_b64 exec, exec, s[6:7]
	s_nop 0
	v_mfma_f32_16x16x4f32 a[0:3], v2, v10, a[0:3]
	s_movk_i32 s4, 0xff
	v_and_b32_sdwa v6, v7, s4 dst_sel:DWORD dst_unused:UNUSED_PAD src0_sel:WORD_1 src1_sel:DWORD
	s_movk_i32 s4, 0x7f
	v_cmp_lt_i16_e32 vcc, s4, v6
	s_mov_b64 s[4:5], 0
                                        ; implicit-def: $sgpr10
	s_and_saveexec_b64 s[6:7], vcc
	s_xor_b64 s[6:7], exec, s[6:7]
	s_cbranch_execnz .LBB17_2993
; %bb.945:
	s_or_saveexec_b64 s[6:7], s[6:7]
	v_mov_b32_e32 v2, s10
	s_xor_b64 exec, exec, s[6:7]
	s_cbranch_execnz .LBB17_2996
.LBB17_946:
	s_or_b64 exec, exec, s[6:7]
	s_and_saveexec_b64 s[6:7], s[4:5]
	s_cbranch_execz .LBB17_948
.LBB17_947:
	v_bfe_u32 v2, v7, 16, 3
	v_ffbh_u32_e32 v11, v2
	v_min_u32_e32 v11, 32, v11
	v_lshrrev_b32_e32 v6, 19, v7
	v_subrev_u32_e32 v12, 28, v11
	v_and_b32_e32 v6, 15, v6
	v_lshlrev_b32_sdwa v12, v12, v7 dst_sel:DWORD dst_unused:UNUSED_PAD src0_sel:DWORD src1_sel:WORD_1
	v_bfe_u32 v10, v7, 19, 4
	v_sub_u32_e32 v11, 29, v11
	v_and_b32_e32 v12, 7, v12
	v_cmp_eq_u16_e32 vcc, 0, v6
	v_cndmask_b32_e32 v2, v2, v12, vcc
	v_cndmask_b32_e32 v6, v10, v11, vcc
	v_lshlrev_b32_e32 v10, 8, v7
	v_mov_b32_e32 v11, 0x3b800000
	v_lshlrev_b32_e32 v2, 20, v2
	v_and_b32_e32 v10, 0x80000000, v10
	v_lshl_add_u32 v6, v6, 23, v11
	v_or3_b32 v2, v10, v6, v2
.LBB17_948:
	s_or_b64 exec, exec, s[6:7]
	s_movk_i32 s4, 0xff
	v_and_b32_sdwa v6, v3, s4 dst_sel:DWORD dst_unused:UNUSED_PAD src0_sel:WORD_1 src1_sel:DWORD
	s_movk_i32 s4, 0x7f
	v_cmp_lt_i16_e32 vcc, s4, v6
	s_mov_b64 s[4:5], 0
                                        ; implicit-def: $sgpr10
	s_and_saveexec_b64 s[6:7], vcc
	s_xor_b64 s[6:7], exec, s[6:7]
	s_cbranch_execnz .LBB17_2997
; %bb.949:
	s_or_saveexec_b64 s[6:7], s[6:7]
	v_mov_b32_e32 v10, s10
	s_xor_b64 exec, exec, s[6:7]
	s_cbranch_execnz .LBB17_3000
.LBB17_950:
	s_or_b64 exec, exec, s[6:7]
	s_and_saveexec_b64 s[6:7], s[4:5]
	s_cbranch_execz .LBB17_952
.LBB17_951:
	v_bfe_u32 v6, v3, 16, 3
	v_ffbh_u32_e32 v12, v6
	v_min_u32_e32 v12, 32, v12
	v_lshrrev_b32_e32 v10, 19, v3
	v_subrev_u32_e32 v13, 28, v12
	v_and_b32_e32 v10, 15, v10
	v_lshlrev_b32_sdwa v13, v13, v3 dst_sel:DWORD dst_unused:UNUSED_PAD src0_sel:DWORD src1_sel:WORD_1
	v_bfe_u32 v11, v3, 19, 4
	v_sub_u32_e32 v12, 29, v12
	v_and_b32_e32 v13, 7, v13
	v_cmp_eq_u16_e32 vcc, 0, v10
	v_cndmask_b32_e32 v6, v6, v13, vcc
	v_cndmask_b32_e32 v10, v11, v12, vcc
	v_lshlrev_b32_e32 v11, 8, v3
	v_mov_b32_e32 v12, 0x3b800000
	v_lshlrev_b32_e32 v6, 20, v6
	v_and_b32_e32 v11, 0x80000000, v11
	v_lshl_add_u32 v10, v10, 23, v12
	v_or3_b32 v10, v11, v10, v6
.LBB17_952:
	s_or_b64 exec, exec, s[6:7]
	s_nop 0
	v_mfma_f32_16x16x4f32 a[0:3], v2, v10, a[0:3]
	s_movk_i32 s4, 0x7f
	v_cmp_gt_i16_sdwa s[6:7], v7, s4 src0_sel:BYTE_3 src1_sel:DWORD
	s_mov_b64 s[4:5], 0
                                        ; implicit-def: $sgpr10
	s_and_saveexec_b64 s[8:9], s[6:7]
	s_xor_b64 s[6:7], exec, s[8:9]
	s_cbranch_execnz .LBB17_3001
; %bb.953:
	s_or_saveexec_b64 s[6:7], s[6:7]
	v_mov_b32_e32 v2, s10
	s_xor_b64 exec, exec, s[6:7]
	s_cbranch_execnz .LBB17_3004
.LBB17_954:
	s_or_b64 exec, exec, s[6:7]
	s_and_saveexec_b64 s[6:7], s[4:5]
	s_cbranch_execz .LBB17_956
.LBB17_955:
	v_bfe_u32 v2, v7, 24, 3
	v_ffbh_u32_e32 v12, v2
	v_min_u32_e32 v12, 32, v12
	v_lshrrev_b32_e32 v10, 27, v7
	v_subrev_u32_e32 v13, 28, v12
	v_and_b32_e32 v6, 0x80000000, v7
	v_and_b32_e32 v10, 15, v10
	v_bfe_u32 v11, v7, 27, 4
	v_lshlrev_b32_sdwa v7, v13, v7 dst_sel:DWORD dst_unused:UNUSED_PAD src0_sel:DWORD src1_sel:BYTE_3
	v_sub_u32_e32 v12, 29, v12
	v_and_b32_e32 v7, 7, v7
	v_cmp_eq_u16_e32 vcc, 0, v10
	v_cndmask_b32_e32 v2, v2, v7, vcc
	v_cndmask_b32_e32 v7, v11, v12, vcc
	v_mov_b32_e32 v10, 0x3b800000
	v_lshlrev_b32_e32 v2, 20, v2
	v_lshl_add_u32 v7, v7, 23, v10
	v_or3_b32 v2, v6, v7, v2
.LBB17_956:
	s_or_b64 exec, exec, s[6:7]
	s_movk_i32 s4, 0x7f
	v_cmp_gt_i16_sdwa s[6:7], v3, s4 src0_sel:BYTE_3 src1_sel:DWORD
	s_mov_b64 s[4:5], 0
                                        ; implicit-def: $sgpr10
	s_and_saveexec_b64 s[8:9], s[6:7]
	s_xor_b64 s[6:7], exec, s[8:9]
	s_cbranch_execnz .LBB17_3005
; %bb.957:
	s_or_saveexec_b64 s[6:7], s[6:7]
	v_mov_b32_e32 v6, s10
	s_xor_b64 exec, exec, s[6:7]
	s_cbranch_execnz .LBB17_3008
.LBB17_958:
	s_or_b64 exec, exec, s[6:7]
	s_and_saveexec_b64 s[6:7], s[4:5]
	s_cbranch_execz .LBB17_960
.LBB17_959:
	v_bfe_u32 v6, v3, 24, 3
	v_ffbh_u32_e32 v12, v6
	v_min_u32_e32 v12, 32, v12
	v_lshrrev_b32_e32 v10, 27, v3
	v_subrev_u32_e32 v13, 28, v12
	v_and_b32_e32 v7, 0x80000000, v3
	v_and_b32_e32 v10, 15, v10
	v_bfe_u32 v11, v3, 27, 4
	v_lshlrev_b32_sdwa v3, v13, v3 dst_sel:DWORD dst_unused:UNUSED_PAD src0_sel:DWORD src1_sel:BYTE_3
	v_sub_u32_e32 v12, 29, v12
	v_and_b32_e32 v3, 7, v3
	v_cmp_eq_u16_e32 vcc, 0, v10
	v_cndmask_b32_e32 v3, v6, v3, vcc
	v_cndmask_b32_e32 v6, v11, v12, vcc
	v_mov_b32_e32 v10, 0x3b800000
	v_lshlrev_b32_e32 v3, 20, v3
	v_lshl_add_u32 v6, v6, 23, v10
	v_or3_b32 v6, v7, v6, v3
.LBB17_960:
	s_or_b64 exec, exec, s[6:7]
	s_nop 0
	v_mfma_f32_16x16x4f32 a[0:3], v2, v6, a[0:3]
	s_movk_i32 s4, 0x7f
	v_cmp_gt_i16_sdwa s[6:7], v8, s4 src0_sel:BYTE_0 src1_sel:DWORD
	s_mov_b64 s[4:5], 0
                                        ; implicit-def: $sgpr10
	s_and_saveexec_b64 s[8:9], s[6:7]
	s_xor_b64 s[6:7], exec, s[8:9]
	s_cbranch_execnz .LBB17_3009
; %bb.961:
	s_or_saveexec_b64 s[6:7], s[6:7]
	v_mov_b32_e32 v2, s10
	s_xor_b64 exec, exec, s[6:7]
	s_cbranch_execnz .LBB17_3012
.LBB17_962:
	s_or_b64 exec, exec, s[6:7]
	s_and_saveexec_b64 s[6:7], s[4:5]
	s_cbranch_execz .LBB17_964
.LBB17_963:
	v_and_b32_e32 v2, 7, v8
	v_ffbh_u32_e32 v6, v2
	v_min_u32_e32 v6, 32, v6
	v_lshrrev_b16_e32 v3, 3, v8
	v_subrev_u32_e32 v7, 28, v6
	v_and_b32_e32 v3, 15, v3
	v_lshlrev_b32_e32 v7, v7, v8
	v_sub_u32_e32 v6, 29, v6
	v_and_b32_e32 v7, 7, v7
	v_cmp_eq_u16_e32 vcc, 0, v3
	v_cndmask_b32_e32 v2, v2, v7, vcc
	v_cndmask_b32_e32 v3, v3, v6, vcc
	v_lshlrev_b32_e32 v6, 24, v8
	v_mov_b32_e32 v7, 0x3b800000
	v_lshlrev_b32_e32 v2, 20, v2
	v_and_b32_e32 v6, 0x80000000, v6
	v_lshl_add_u32 v3, v3, 23, v7
	v_or3_b32 v2, v6, v3, v2
.LBB17_964:
	s_or_b64 exec, exec, s[6:7]
	s_movk_i32 s4, 0x7f
	v_cmp_gt_i16_sdwa s[6:7], v4, s4 src0_sel:BYTE_0 src1_sel:DWORD
	s_mov_b64 s[4:5], 0
                                        ; implicit-def: $sgpr10
	s_and_saveexec_b64 s[8:9], s[6:7]
	s_xor_b64 s[6:7], exec, s[8:9]
	s_cbranch_execnz .LBB17_3013
; %bb.965:
	s_or_saveexec_b64 s[6:7], s[6:7]
	v_mov_b32_e32 v3, s10
	s_xor_b64 exec, exec, s[6:7]
	s_cbranch_execnz .LBB17_3016
.LBB17_966:
	s_or_b64 exec, exec, s[6:7]
	s_and_saveexec_b64 s[6:7], s[4:5]
	s_cbranch_execz .LBB17_968
.LBB17_967:
	v_and_b32_e32 v3, 7, v4
	v_ffbh_u32_e32 v7, v3
	v_min_u32_e32 v7, 32, v7
	v_lshrrev_b16_e32 v6, 3, v4
	v_subrev_u32_e32 v10, 28, v7
	v_and_b32_e32 v6, 15, v6
	v_lshlrev_b32_e32 v10, v10, v4
	v_sub_u32_e32 v7, 29, v7
	v_and_b32_e32 v10, 7, v10
	v_cmp_eq_u16_e32 vcc, 0, v6
	v_cndmask_b32_e32 v3, v3, v10, vcc
	v_cndmask_b32_e32 v6, v6, v7, vcc
	v_lshlrev_b32_e32 v7, 24, v4
	v_mov_b32_e32 v10, 0x3b800000
	v_lshlrev_b32_e32 v3, 20, v3
	v_and_b32_e32 v7, 0x80000000, v7
	v_lshl_add_u32 v6, v6, 23, v10
	v_or3_b32 v3, v7, v6, v3
.LBB17_968:
	s_or_b64 exec, exec, s[6:7]
	s_nop 0
	v_mfma_f32_16x16x4f32 a[0:3], v2, v3, a[0:3]
	v_lshrrev_b32_e32 v3, 8, v8
	s_movk_i32 s4, 0x7f
	v_cmp_gt_i16_sdwa s[6:7], v3, s4 src0_sel:BYTE_0 src1_sel:DWORD
	s_mov_b64 s[4:5], 0
                                        ; implicit-def: $sgpr10
	s_and_saveexec_b64 s[8:9], s[6:7]
	s_xor_b64 s[6:7], exec, s[8:9]
	s_cbranch_execnz .LBB17_3017
; %bb.969:
	s_or_saveexec_b64 s[6:7], s[6:7]
	v_mov_b32_e32 v2, s10
	s_xor_b64 exec, exec, s[6:7]
	s_cbranch_execnz .LBB17_3020
.LBB17_970:
	s_or_b64 exec, exec, s[6:7]
	s_and_saveexec_b64 s[6:7], s[4:5]
	s_cbranch_execz .LBB17_972
.LBB17_971:
	v_bfe_u32 v2, v8, 8, 3
	v_ffbh_u32_e32 v7, v2
	v_min_u32_e32 v7, 32, v7
	v_lshrrev_b16_e32 v6, 3, v3
	v_subrev_u32_e32 v10, 28, v7
	v_and_b32_e32 v6, 15, v6
	v_lshlrev_b32_e32 v3, v10, v3
	v_sub_u32_e32 v7, 29, v7
	v_and_b32_e32 v3, 7, v3
	v_cmp_eq_u16_e32 vcc, 0, v6
	v_cndmask_b32_e32 v2, v2, v3, vcc
	v_cndmask_b32_e32 v3, v6, v7, vcc
	v_lshlrev_b32_e32 v6, 16, v8
	v_mov_b32_e32 v7, 0x3b800000
	v_lshlrev_b32_e32 v2, 20, v2
	v_and_b32_e32 v6, 0x80000000, v6
	v_lshl_add_u32 v3, v3, 23, v7
	v_or3_b32 v2, v6, v3, v2
.LBB17_972:
	s_or_b64 exec, exec, s[6:7]
	v_lshrrev_b32_e32 v3, 8, v4
	s_movk_i32 s4, 0x7f
	v_cmp_gt_i16_sdwa s[6:7], v3, s4 src0_sel:BYTE_0 src1_sel:DWORD
	s_mov_b64 s[4:5], 0
                                        ; implicit-def: $sgpr10
	s_and_saveexec_b64 s[8:9], s[6:7]
	s_xor_b64 s[6:7], exec, s[8:9]
	s_cbranch_execnz .LBB17_3021
; %bb.973:
	s_or_saveexec_b64 s[6:7], s[6:7]
	v_mov_b32_e32 v6, s10
	s_xor_b64 exec, exec, s[6:7]
	s_cbranch_execnz .LBB17_3024
.LBB17_974:
	s_or_b64 exec, exec, s[6:7]
	s_and_saveexec_b64 s[6:7], s[4:5]
	s_cbranch_execz .LBB17_976
.LBB17_975:
	v_bfe_u32 v6, v4, 8, 3
	v_ffbh_u32_e32 v10, v6
	v_min_u32_e32 v10, 32, v10
	v_lshrrev_b16_e32 v7, 3, v3
	v_subrev_u32_e32 v11, 28, v10
	v_and_b32_e32 v7, 15, v7
	v_lshlrev_b32_e32 v3, v11, v3
	v_sub_u32_e32 v10, 29, v10
	v_and_b32_e32 v3, 7, v3
	v_cmp_eq_u16_e32 vcc, 0, v7
	v_cndmask_b32_e32 v3, v6, v3, vcc
	v_cndmask_b32_e32 v6, v7, v10, vcc
	v_lshlrev_b32_e32 v7, 16, v4
	v_mov_b32_e32 v10, 0x3b800000
	v_lshlrev_b32_e32 v3, 20, v3
	v_and_b32_e32 v7, 0x80000000, v7
	v_lshl_add_u32 v6, v6, 23, v10
	v_or3_b32 v6, v7, v6, v3
.LBB17_976:
	s_or_b64 exec, exec, s[6:7]
	s_nop 0
	v_mfma_f32_16x16x4f32 a[0:3], v2, v6, a[0:3]
	s_movk_i32 s4, 0xff
	v_and_b32_sdwa v3, v8, s4 dst_sel:DWORD dst_unused:UNUSED_PAD src0_sel:WORD_1 src1_sel:DWORD
	s_movk_i32 s4, 0x7f
	v_cmp_lt_i16_e32 vcc, s4, v3
	s_mov_b64 s[4:5], 0
                                        ; implicit-def: $sgpr10
	s_and_saveexec_b64 s[6:7], vcc
	s_xor_b64 s[6:7], exec, s[6:7]
	s_cbranch_execnz .LBB17_3025
; %bb.977:
	s_or_saveexec_b64 s[6:7], s[6:7]
	v_mov_b32_e32 v2, s10
	s_xor_b64 exec, exec, s[6:7]
	s_cbranch_execnz .LBB17_3028
.LBB17_978:
	s_or_b64 exec, exec, s[6:7]
	s_and_saveexec_b64 s[6:7], s[4:5]
	s_cbranch_execz .LBB17_980
.LBB17_979:
	v_bfe_u32 v2, v8, 16, 3
	v_ffbh_u32_e32 v7, v2
	v_min_u32_e32 v7, 32, v7
	v_lshrrev_b32_e32 v3, 19, v8
	v_subrev_u32_e32 v10, 28, v7
	v_and_b32_e32 v3, 15, v3
	v_lshlrev_b32_sdwa v10, v10, v8 dst_sel:DWORD dst_unused:UNUSED_PAD src0_sel:DWORD src1_sel:WORD_1
	v_bfe_u32 v6, v8, 19, 4
	v_sub_u32_e32 v7, 29, v7
	v_and_b32_e32 v10, 7, v10
	v_cmp_eq_u16_e32 vcc, 0, v3
	v_cndmask_b32_e32 v2, v2, v10, vcc
	v_cndmask_b32_e32 v3, v6, v7, vcc
	v_lshlrev_b32_e32 v6, 8, v8
	v_mov_b32_e32 v7, 0x3b800000
	v_lshlrev_b32_e32 v2, 20, v2
	v_and_b32_e32 v6, 0x80000000, v6
	v_lshl_add_u32 v3, v3, 23, v7
	v_or3_b32 v2, v6, v3, v2
.LBB17_980:
	s_or_b64 exec, exec, s[6:7]
	s_movk_i32 s4, 0xff
	v_and_b32_sdwa v3, v4, s4 dst_sel:DWORD dst_unused:UNUSED_PAD src0_sel:WORD_1 src1_sel:DWORD
	s_movk_i32 s4, 0x7f
	v_cmp_lt_i16_e32 vcc, s4, v3
	s_mov_b64 s[4:5], 0
                                        ; implicit-def: $sgpr10
	s_and_saveexec_b64 s[6:7], vcc
	s_xor_b64 s[6:7], exec, s[6:7]
	s_cbranch_execnz .LBB17_3029
; %bb.981:
	s_or_saveexec_b64 s[6:7], s[6:7]
	v_mov_b32_e32 v6, s10
	s_xor_b64 exec, exec, s[6:7]
	s_cbranch_execnz .LBB17_3032
.LBB17_982:
	s_or_b64 exec, exec, s[6:7]
	s_and_saveexec_b64 s[6:7], s[4:5]
	s_cbranch_execz .LBB17_984
.LBB17_983:
	v_bfe_u32 v3, v4, 16, 3
	v_ffbh_u32_e32 v10, v3
	v_min_u32_e32 v10, 32, v10
	v_lshrrev_b32_e32 v6, 19, v4
	v_subrev_u32_e32 v11, 28, v10
	v_and_b32_e32 v6, 15, v6
	v_lshlrev_b32_sdwa v11, v11, v4 dst_sel:DWORD dst_unused:UNUSED_PAD src0_sel:DWORD src1_sel:WORD_1
	v_bfe_u32 v7, v4, 19, 4
	v_sub_u32_e32 v10, 29, v10
	v_and_b32_e32 v11, 7, v11
	v_cmp_eq_u16_e32 vcc, 0, v6
	v_cndmask_b32_e32 v3, v3, v11, vcc
	v_cndmask_b32_e32 v6, v7, v10, vcc
	v_lshlrev_b32_e32 v7, 8, v4
	v_mov_b32_e32 v10, 0x3b800000
	v_lshlrev_b32_e32 v3, 20, v3
	v_and_b32_e32 v7, 0x80000000, v7
	v_lshl_add_u32 v6, v6, 23, v10
	v_or3_b32 v6, v7, v6, v3
.LBB17_984:
	s_or_b64 exec, exec, s[6:7]
	s_nop 0
	v_mfma_f32_16x16x4f32 a[0:3], v2, v6, a[0:3]
	s_movk_i32 s4, 0x7f
	v_cmp_gt_i16_sdwa s[6:7], v8, s4 src0_sel:BYTE_3 src1_sel:DWORD
	s_mov_b64 s[4:5], 0
                                        ; implicit-def: $sgpr10
	s_and_saveexec_b64 s[8:9], s[6:7]
	s_xor_b64 s[6:7], exec, s[8:9]
	s_cbranch_execnz .LBB17_3033
; %bb.985:
	s_or_saveexec_b64 s[6:7], s[6:7]
	v_mov_b32_e32 v2, s10
	s_xor_b64 exec, exec, s[6:7]
	s_cbranch_execnz .LBB17_3036
.LBB17_986:
	s_or_b64 exec, exec, s[6:7]
	s_and_saveexec_b64 s[6:7], s[4:5]
	s_cbranch_execz .LBB17_988
.LBB17_987:
	v_bfe_u32 v2, v8, 24, 3
	v_ffbh_u32_e32 v10, v2
	v_min_u32_e32 v10, 32, v10
	v_lshrrev_b32_e32 v6, 27, v8
	v_subrev_u32_e32 v11, 28, v10
	v_and_b32_e32 v3, 0x80000000, v8
	v_and_b32_e32 v6, 15, v6
	v_bfe_u32 v7, v8, 27, 4
	v_lshlrev_b32_sdwa v8, v11, v8 dst_sel:DWORD dst_unused:UNUSED_PAD src0_sel:DWORD src1_sel:BYTE_3
	v_sub_u32_e32 v10, 29, v10
	v_and_b32_e32 v8, 7, v8
	v_cmp_eq_u16_e32 vcc, 0, v6
	v_cndmask_b32_e32 v2, v2, v8, vcc
	v_cndmask_b32_e32 v6, v7, v10, vcc
	v_mov_b32_e32 v7, 0x3b800000
	v_lshlrev_b32_e32 v2, 20, v2
	v_lshl_add_u32 v6, v6, 23, v7
	v_or3_b32 v2, v3, v6, v2
.LBB17_988:
	s_or_b64 exec, exec, s[6:7]
	s_movk_i32 s4, 0x7f
	v_cmp_gt_i16_sdwa s[6:7], v4, s4 src0_sel:BYTE_3 src1_sel:DWORD
	s_mov_b64 s[4:5], 0
                                        ; implicit-def: $sgpr10
	s_and_saveexec_b64 s[8:9], s[6:7]
	s_xor_b64 s[6:7], exec, s[8:9]
	s_cbranch_execnz .LBB17_3037
; %bb.989:
	s_or_saveexec_b64 s[6:7], s[6:7]
	v_mov_b32_e32 v3, s10
	s_xor_b64 exec, exec, s[6:7]
	s_cbranch_execnz .LBB17_3040
.LBB17_990:
	s_or_b64 exec, exec, s[6:7]
	s_and_saveexec_b64 s[6:7], s[4:5]
	s_cbranch_execz .LBB17_992
.LBB17_991:
	v_bfe_u32 v3, v4, 24, 3
	v_ffbh_u32_e32 v10, v3
	v_min_u32_e32 v10, 32, v10
	v_lshrrev_b32_e32 v7, 27, v4
	v_subrev_u32_e32 v11, 28, v10
	v_and_b32_e32 v6, 0x80000000, v4
	v_and_b32_e32 v7, 15, v7
	v_bfe_u32 v8, v4, 27, 4
	v_lshlrev_b32_sdwa v4, v11, v4 dst_sel:DWORD dst_unused:UNUSED_PAD src0_sel:DWORD src1_sel:BYTE_3
	v_sub_u32_e32 v10, 29, v10
	v_and_b32_e32 v4, 7, v4
	v_cmp_eq_u16_e32 vcc, 0, v7
	v_cndmask_b32_e32 v3, v3, v4, vcc
	v_cndmask_b32_e32 v4, v8, v10, vcc
	v_mov_b32_e32 v7, 0x3b800000
	v_lshlrev_b32_e32 v3, 20, v3
	v_lshl_add_u32 v4, v4, 23, v7
	v_or3_b32 v3, v6, v4, v3
.LBB17_992:
	s_or_b64 exec, exec, s[6:7]
	s_nop 0
	v_mfma_f32_16x16x4f32 a[0:3], v2, v3, a[0:3]
	s_movk_i32 s4, 0x7f
	v_cmp_gt_i16_sdwa s[6:7], v9, s4 src0_sel:BYTE_0 src1_sel:DWORD
	s_mov_b64 s[4:5], 0
                                        ; implicit-def: $sgpr10
	s_and_saveexec_b64 s[8:9], s[6:7]
	s_xor_b64 s[6:7], exec, s[8:9]
	s_cbranch_execnz .LBB17_3041
; %bb.993:
	s_or_saveexec_b64 s[6:7], s[6:7]
	v_mov_b32_e32 v2, s10
	s_xor_b64 exec, exec, s[6:7]
	s_cbranch_execnz .LBB17_3044
.LBB17_994:
	s_or_b64 exec, exec, s[6:7]
	s_and_saveexec_b64 s[6:7], s[4:5]
	s_cbranch_execz .LBB17_996
.LBB17_995:
	v_mov_b32_e32 v2, 8
	v_and_b32_e32 v3, 7, v9
	v_lshrrev_b32_sdwa v2, v2, v9 dst_sel:BYTE_1 dst_unused:UNUSED_PAD src0_sel:DWORD src1_sel:DWORD
	v_ffbh_u32_e32 v4, v3
	v_or_b32_sdwa v2, v9, v2 dst_sel:DWORD dst_unused:UNUSED_PAD src0_sel:BYTE_0 src1_sel:DWORD
	v_min_u32_e32 v4, 32, v4
	v_lshrrev_b16_e32 v2, 3, v2
	v_subrev_u32_e32 v6, 28, v4
	v_and_b32_e32 v2, 15, v2
	v_lshlrev_b32_e32 v6, v6, v9
	v_sub_u32_e32 v4, 29, v4
	v_and_b32_e32 v6, 7, v6
	v_cmp_eq_u16_e32 vcc, 0, v2
	v_cndmask_b32_e32 v3, v3, v6, vcc
	v_cndmask_b32_e32 v2, v2, v4, vcc
	v_lshlrev_b32_e32 v4, 24, v9
	v_mov_b32_e32 v6, 0x3b800000
	v_lshlrev_b32_e32 v3, 20, v3
	v_and_b32_e32 v4, 0x80000000, v4
	v_lshl_add_u32 v2, v2, 23, v6
	v_or3_b32 v2, v4, v2, v3
.LBB17_996:
	s_or_b64 exec, exec, s[6:7]
	s_movk_i32 s4, 0x7f
	v_cmp_gt_i16_sdwa s[6:7], v5, s4 src0_sel:BYTE_0 src1_sel:DWORD
	s_mov_b64 s[4:5], 0
                                        ; implicit-def: $sgpr10
	s_and_saveexec_b64 s[8:9], s[6:7]
	s_xor_b64 s[6:7], exec, s[8:9]
	s_cbranch_execnz .LBB17_3045
; %bb.997:
	s_or_saveexec_b64 s[6:7], s[6:7]
	v_mov_b32_e32 v3, s10
	s_xor_b64 exec, exec, s[6:7]
	s_cbranch_execnz .LBB17_3048
.LBB17_998:
	s_or_b64 exec, exec, s[6:7]
	s_and_saveexec_b64 s[6:7], s[4:5]
	s_cbranch_execz .LBB17_1000
.LBB17_999:
	v_mov_b32_e32 v3, 8
	v_and_b32_e32 v4, 7, v5
	v_lshrrev_b32_sdwa v3, v3, v5 dst_sel:BYTE_1 dst_unused:UNUSED_PAD src0_sel:DWORD src1_sel:DWORD
	v_ffbh_u32_e32 v6, v4
	v_or_b32_sdwa v3, v5, v3 dst_sel:DWORD dst_unused:UNUSED_PAD src0_sel:BYTE_0 src1_sel:DWORD
	v_min_u32_e32 v6, 32, v6
	v_lshrrev_b16_e32 v3, 3, v3
	v_subrev_u32_e32 v7, 28, v6
	v_and_b32_e32 v3, 15, v3
	v_lshlrev_b32_e32 v7, v7, v5
	v_sub_u32_e32 v6, 29, v6
	v_and_b32_e32 v7, 7, v7
	v_cmp_eq_u16_e32 vcc, 0, v3
	v_cndmask_b32_e32 v4, v4, v7, vcc
	v_cndmask_b32_e32 v3, v3, v6, vcc
	v_lshlrev_b32_e32 v6, 24, v5
	v_mov_b32_e32 v7, 0x3b800000
	v_lshlrev_b32_e32 v4, 20, v4
	v_and_b32_e32 v6, 0x80000000, v6
	v_lshl_add_u32 v3, v3, 23, v7
	v_or3_b32 v3, v6, v3, v4
.LBB17_1000:
	s_or_b64 exec, exec, s[6:7]
	s_nop 0
	v_mfma_f32_16x16x4f32 a[0:3], v2, v3, a[0:3]
	v_lshrrev_b32_e32 v3, 8, v9
	s_movk_i32 s4, 0x7f
	v_cmp_gt_i16_sdwa s[6:7], v3, s4 src0_sel:BYTE_0 src1_sel:DWORD
	s_mov_b64 s[4:5], 0
                                        ; implicit-def: $sgpr10
	s_and_saveexec_b64 s[8:9], s[6:7]
	s_xor_b64 s[6:7], exec, s[8:9]
	s_cbranch_execnz .LBB17_3049
; %bb.1001:
	s_or_saveexec_b64 s[6:7], s[6:7]
	v_mov_b32_e32 v2, s10
	s_xor_b64 exec, exec, s[6:7]
	s_cbranch_execnz .LBB17_3052
.LBB17_1002:
	s_or_b64 exec, exec, s[6:7]
	s_and_saveexec_b64 s[6:7], s[4:5]
	s_cbranch_execz .LBB17_1004
.LBB17_1003:
	v_bfe_u32 v2, v9, 8, 3
	v_ffbh_u32_e32 v6, v2
	v_min_u32_e32 v6, 32, v6
	v_lshrrev_b16_e32 v4, 3, v3
	v_subrev_u32_e32 v7, 28, v6
	v_and_b32_e32 v4, 15, v4
	v_lshlrev_b32_e32 v3, v7, v3
	v_sub_u32_e32 v6, 29, v6
	v_and_b32_e32 v3, 7, v3
	v_cmp_eq_u16_e32 vcc, 0, v4
	v_cndmask_b32_e32 v2, v2, v3, vcc
	v_cndmask_b32_e32 v3, v4, v6, vcc
	v_lshlrev_b32_e32 v4, 16, v9
	v_mov_b32_e32 v6, 0x3b800000
	v_lshlrev_b32_e32 v2, 20, v2
	v_and_b32_e32 v4, 0x80000000, v4
	v_lshl_add_u32 v3, v3, 23, v6
	v_or3_b32 v2, v4, v3, v2
.LBB17_1004:
	s_or_b64 exec, exec, s[6:7]
	v_lshrrev_b32_e32 v3, 8, v5
	s_movk_i32 s4, 0x7f
	v_cmp_gt_i16_sdwa s[6:7], v3, s4 src0_sel:BYTE_0 src1_sel:DWORD
	s_mov_b64 s[4:5], 0
                                        ; implicit-def: $sgpr10
	s_and_saveexec_b64 s[8:9], s[6:7]
	s_xor_b64 s[6:7], exec, s[8:9]
	s_cbranch_execnz .LBB17_3053
; %bb.1005:
	s_or_saveexec_b64 s[6:7], s[6:7]
	v_mov_b32_e32 v4, s10
	s_xor_b64 exec, exec, s[6:7]
	s_cbranch_execnz .LBB17_3056
.LBB17_1006:
	s_or_b64 exec, exec, s[6:7]
	s_and_saveexec_b64 s[6:7], s[4:5]
	s_cbranch_execz .LBB17_1008
.LBB17_1007:
	v_bfe_u32 v4, v5, 8, 3
	v_ffbh_u32_e32 v7, v4
	v_min_u32_e32 v7, 32, v7
	v_lshrrev_b16_e32 v6, 3, v3
	v_subrev_u32_e32 v8, 28, v7
	v_and_b32_e32 v6, 15, v6
	v_lshlrev_b32_e32 v3, v8, v3
	v_sub_u32_e32 v7, 29, v7
	v_and_b32_e32 v3, 7, v3
	v_cmp_eq_u16_e32 vcc, 0, v6
	v_cndmask_b32_e32 v3, v4, v3, vcc
	v_cndmask_b32_e32 v4, v6, v7, vcc
	v_lshlrev_b32_e32 v6, 16, v5
	v_mov_b32_e32 v7, 0x3b800000
	v_lshlrev_b32_e32 v3, 20, v3
	v_and_b32_e32 v6, 0x80000000, v6
	v_lshl_add_u32 v4, v4, 23, v7
	v_or3_b32 v4, v6, v4, v3
.LBB17_1008:
	s_or_b64 exec, exec, s[6:7]
	s_nop 0
	v_mfma_f32_16x16x4f32 a[0:3], v2, v4, a[0:3]
	s_movk_i32 s4, 0xff
	v_and_b32_sdwa v3, v9, s4 dst_sel:DWORD dst_unused:UNUSED_PAD src0_sel:WORD_1 src1_sel:DWORD
	s_movk_i32 s4, 0x7f
	v_cmp_lt_i16_e32 vcc, s4, v3
	s_mov_b64 s[4:5], 0
                                        ; implicit-def: $sgpr10
	s_and_saveexec_b64 s[6:7], vcc
	s_xor_b64 s[6:7], exec, s[6:7]
	s_cbranch_execnz .LBB17_3057
; %bb.1009:
	s_or_saveexec_b64 s[6:7], s[6:7]
	v_mov_b32_e32 v2, s10
	s_xor_b64 exec, exec, s[6:7]
	s_cbranch_execnz .LBB17_3060
.LBB17_1010:
	s_or_b64 exec, exec, s[6:7]
	s_and_saveexec_b64 s[6:7], s[4:5]
	s_cbranch_execz .LBB17_1012
.LBB17_1011:
	v_bfe_u32 v2, v9, 16, 3
	v_ffbh_u32_e32 v6, v2
	v_min_u32_e32 v6, 32, v6
	v_lshrrev_b32_e32 v3, 19, v9
	v_subrev_u32_e32 v7, 28, v6
	v_and_b32_e32 v3, 15, v3
	v_lshlrev_b32_sdwa v7, v7, v9 dst_sel:DWORD dst_unused:UNUSED_PAD src0_sel:DWORD src1_sel:WORD_1
	v_bfe_u32 v4, v9, 19, 4
	v_sub_u32_e32 v6, 29, v6
	v_and_b32_e32 v7, 7, v7
	v_cmp_eq_u16_e32 vcc, 0, v3
	v_cndmask_b32_e32 v2, v2, v7, vcc
	v_cndmask_b32_e32 v3, v4, v6, vcc
	v_lshlrev_b32_e32 v4, 8, v9
	v_mov_b32_e32 v6, 0x3b800000
	v_lshlrev_b32_e32 v2, 20, v2
	v_and_b32_e32 v4, 0x80000000, v4
	v_lshl_add_u32 v3, v3, 23, v6
	v_or3_b32 v2, v4, v3, v2
.LBB17_1012:
	s_or_b64 exec, exec, s[6:7]
	s_movk_i32 s4, 0xff
	v_and_b32_sdwa v3, v5, s4 dst_sel:DWORD dst_unused:UNUSED_PAD src0_sel:WORD_1 src1_sel:DWORD
	s_movk_i32 s4, 0x7f
	v_cmp_lt_i16_e32 vcc, s4, v3
	s_mov_b64 s[4:5], 0
                                        ; implicit-def: $sgpr10
	s_and_saveexec_b64 s[6:7], vcc
	s_xor_b64 s[6:7], exec, s[6:7]
	s_cbranch_execnz .LBB17_3061
; %bb.1013:
	s_or_saveexec_b64 s[6:7], s[6:7]
	v_mov_b32_e32 v4, s10
	s_xor_b64 exec, exec, s[6:7]
	s_cbranch_execnz .LBB17_3064
.LBB17_1014:
	s_or_b64 exec, exec, s[6:7]
	s_and_saveexec_b64 s[6:7], s[4:5]
	s_cbranch_execz .LBB17_1016
.LBB17_1015:
	v_bfe_u32 v3, v5, 16, 3
	v_ffbh_u32_e32 v7, v3
	v_min_u32_e32 v7, 32, v7
	v_lshrrev_b32_e32 v4, 19, v5
	v_subrev_u32_e32 v8, 28, v7
	v_and_b32_e32 v4, 15, v4
	v_lshlrev_b32_sdwa v8, v8, v5 dst_sel:DWORD dst_unused:UNUSED_PAD src0_sel:DWORD src1_sel:WORD_1
	v_bfe_u32 v6, v5, 19, 4
	v_sub_u32_e32 v7, 29, v7
	v_and_b32_e32 v8, 7, v8
	v_cmp_eq_u16_e32 vcc, 0, v4
	v_cndmask_b32_e32 v3, v3, v8, vcc
	v_cndmask_b32_e32 v4, v6, v7, vcc
	v_lshlrev_b32_e32 v6, 8, v5
	v_mov_b32_e32 v7, 0x3b800000
	v_lshlrev_b32_e32 v3, 20, v3
	v_and_b32_e32 v6, 0x80000000, v6
	v_lshl_add_u32 v4, v4, 23, v7
	v_or3_b32 v4, v6, v4, v3
.LBB17_1016:
	s_or_b64 exec, exec, s[6:7]
	s_nop 0
	v_mfma_f32_16x16x4f32 a[0:3], v2, v4, a[0:3]
	s_movk_i32 s4, 0x7f
	v_cmp_gt_i16_sdwa s[6:7], v9, s4 src0_sel:BYTE_3 src1_sel:DWORD
	s_mov_b64 s[4:5], 0
                                        ; implicit-def: $sgpr10
	s_and_saveexec_b64 s[8:9], s[6:7]
	s_xor_b64 s[6:7], exec, s[8:9]
	s_cbranch_execnz .LBB17_3065
; %bb.1017:
	s_or_saveexec_b64 s[6:7], s[6:7]
	v_mov_b32_e32 v2, s10
	s_xor_b64 exec, exec, s[6:7]
	s_cbranch_execnz .LBB17_3068
.LBB17_1018:
	s_or_b64 exec, exec, s[6:7]
	s_and_saveexec_b64 s[6:7], s[4:5]
	s_cbranch_execz .LBB17_1020
.LBB17_1019:
	v_bfe_u32 v2, v9, 24, 3
	v_ffbh_u32_e32 v7, v2
	v_min_u32_e32 v7, 32, v7
	v_lshrrev_b32_e32 v4, 27, v9
	v_subrev_u32_e32 v8, 28, v7
	v_and_b32_e32 v4, 15, v4
	v_lshlrev_b32_sdwa v8, v8, v9 dst_sel:DWORD dst_unused:UNUSED_PAD src0_sel:DWORD src1_sel:BYTE_3
	v_bfe_u32 v6, v9, 27, 4
	v_sub_u32_e32 v7, 29, v7
	v_and_b32_e32 v8, 7, v8
	v_cmp_eq_u16_e32 vcc, 0, v4
	v_cndmask_b32_e32 v2, v2, v8, vcc
	v_cndmask_b32_e32 v4, v6, v7, vcc
	v_mov_b32_e32 v6, 0x3b800000
	v_and_b32_e32 v3, 0x80000000, v9
	v_lshlrev_b32_e32 v2, 20, v2
	v_lshl_add_u32 v4, v4, 23, v6
	v_or3_b32 v2, v3, v4, v2
.LBB17_1020:
	s_or_b64 exec, exec, s[6:7]
	s_movk_i32 s4, 0x7f
	v_cmp_gt_i16_sdwa s[6:7], v5, s4 src0_sel:BYTE_3 src1_sel:DWORD
	s_mov_b64 s[4:5], 0
                                        ; implicit-def: $sgpr10
	s_and_saveexec_b64 s[8:9], s[6:7]
	s_xor_b64 s[6:7], exec, s[8:9]
	s_cbranch_execnz .LBB17_3069
; %bb.1021:
	s_or_saveexec_b64 s[6:7], s[6:7]
	v_mov_b32_e32 v3, s10
	s_xor_b64 exec, exec, s[6:7]
	s_cbranch_execnz .LBB17_3072
.LBB17_1022:
	s_or_b64 exec, exec, s[6:7]
	s_and_saveexec_b64 s[6:7], s[4:5]
	s_cbranch_execz .LBB17_1024
.LBB17_1023:
	v_bfe_u32 v3, v5, 24, 3
	v_ffbh_u32_e32 v8, v3
	v_min_u32_e32 v8, 32, v8
	v_lshrrev_b32_e32 v6, 27, v5
	v_subrev_u32_e32 v9, 28, v8
	v_and_b32_e32 v4, 0x80000000, v5
	v_and_b32_e32 v6, 15, v6
	v_bfe_u32 v7, v5, 27, 4
	v_lshlrev_b32_sdwa v5, v9, v5 dst_sel:DWORD dst_unused:UNUSED_PAD src0_sel:DWORD src1_sel:BYTE_3
	v_sub_u32_e32 v8, 29, v8
	v_and_b32_e32 v5, 7, v5
	v_cmp_eq_u16_e32 vcc, 0, v6
	v_cndmask_b32_e32 v3, v3, v5, vcc
	v_cndmask_b32_e32 v5, v7, v8, vcc
	v_mov_b32_e32 v6, 0x3b800000
	v_lshlrev_b32_e32 v3, 20, v3
	v_lshl_add_u32 v5, v5, 23, v6
	v_or3_b32 v3, v4, v5, v3
.LBB17_1024:
	s_or_b64 exec, exec, s[6:7]
	s_nop 0
	v_mfma_f32_16x16x4f32 a[0:3], v2, v3, a[0:3]
	s_movk_i32 s4, 0x7f
                                        ; implicit-def: $sgpr10
	s_nop 7
	s_nop 1
	flat_store_dwordx4 v[18:19], a[0:3] offset:944
	flat_load_dwordx4 v[20:23], v[0:1] offset:16
	s_nop 0
	flat_load_dwordx2 v[18:19], v[0:1] offset:32
	s_waitcnt vmcnt(0) lgkmcnt(0)
	flat_load_dwordx4 v[14:17], v[20:21] offset:32
	flat_load_dwordx4 v[6:9], v[20:21] offset:48
	;; [unrolled: 1-line block ×4, first 2 shown]
	s_waitcnt vmcnt(0) lgkmcnt(0)
	v_cmp_gt_i16_sdwa s[6:7], v14, s4 src0_sel:BYTE_0 src1_sel:DWORD
	s_mov_b64 s[4:5], 0
	s_and_saveexec_b64 s[8:9], s[6:7]
	s_xor_b64 s[6:7], exec, s[8:9]
	s_cbranch_execnz .LBB17_3073
; %bb.1025:
	s_or_saveexec_b64 s[6:7], s[6:7]
	v_mov_b32_e32 v20, s10
	s_xor_b64 exec, exec, s[6:7]
	s_cbranch_execnz .LBB17_3076
.LBB17_1026:
	s_or_b64 exec, exec, s[6:7]
	s_and_saveexec_b64 s[6:7], s[4:5]
	s_cbranch_execz .LBB17_1028
.LBB17_1027:
	v_and_b32_e32 v20, 7, v14
	v_ffbh_u32_e32 v22, v20
	v_min_u32_e32 v22, 32, v22
	v_lshrrev_b16_e32 v21, 3, v14
	v_subrev_u32_e32 v23, 28, v22
	v_and_b32_e32 v21, 15, v21
	v_lshlrev_b32_e32 v23, v23, v14
	v_sub_u32_e32 v22, 29, v22
	v_and_b32_e32 v23, 7, v23
	v_cmp_eq_u16_e32 vcc, 0, v21
	v_cndmask_b32_e32 v20, v20, v23, vcc
	v_cndmask_b32_e32 v21, v21, v22, vcc
	v_lshlrev_b32_e32 v22, 24, v14
	v_mov_b32_e32 v23, 0x3b800000
	v_lshlrev_b32_e32 v20, 20, v20
	v_and_b32_e32 v22, 0x80000000, v22
	v_lshl_add_u32 v21, v21, 23, v23
	v_or3_b32 v20, v22, v21, v20
.LBB17_1028:
	s_or_b64 exec, exec, s[6:7]
	s_movk_i32 s4, 0x7f
	v_cmp_gt_i16_sdwa s[6:7], v10, s4 src0_sel:BYTE_0 src1_sel:DWORD
	s_mov_b64 s[4:5], 0
                                        ; implicit-def: $sgpr10
	s_and_saveexec_b64 s[8:9], s[6:7]
	s_xor_b64 s[6:7], exec, s[8:9]
	s_cbranch_execnz .LBB17_3077
; %bb.1029:
	s_or_saveexec_b64 s[6:7], s[6:7]
	v_mov_b32_e32 v21, s10
	s_xor_b64 exec, exec, s[6:7]
	s_cbranch_execnz .LBB17_3080
.LBB17_1030:
	s_or_b64 exec, exec, s[6:7]
	s_and_saveexec_b64 s[6:7], s[4:5]
	s_cbranch_execz .LBB17_1032
.LBB17_1031:
	v_and_b32_e32 v21, 7, v10
	v_ffbh_u32_e32 v23, v21
	v_min_u32_e32 v23, 32, v23
	v_lshrrev_b16_e32 v22, 3, v10
	v_subrev_u32_e32 v24, 28, v23
	v_and_b32_e32 v22, 15, v22
	v_lshlrev_b32_e32 v24, v24, v10
	v_sub_u32_e32 v23, 29, v23
	v_and_b32_e32 v24, 7, v24
	v_cmp_eq_u16_e32 vcc, 0, v22
	v_cndmask_b32_e32 v21, v21, v24, vcc
	v_cndmask_b32_e32 v22, v22, v23, vcc
	v_lshlrev_b32_e32 v23, 24, v10
	v_mov_b32_e32 v24, 0x3b800000
	v_lshlrev_b32_e32 v21, 20, v21
	v_and_b32_e32 v23, 0x80000000, v23
	v_lshl_add_u32 v22, v22, 23, v24
	v_or3_b32 v21, v23, v22, v21
.LBB17_1032:
	s_or_b64 exec, exec, s[6:7]
	flat_load_dwordx4 a[0:3], v[18:19] offset:960
	s_movk_i32 s4, 0x7f
                                        ; implicit-def: $sgpr10
	s_waitcnt vmcnt(0) lgkmcnt(0)
	v_mfma_f32_16x16x4f32 a[0:3], v20, v21, a[0:3]
	v_lshrrev_b32_e32 v21, 8, v14
	v_cmp_gt_i16_sdwa s[6:7], v21, s4 src0_sel:BYTE_0 src1_sel:DWORD
	s_mov_b64 s[4:5], 0
	s_and_saveexec_b64 s[8:9], s[6:7]
	s_xor_b64 s[6:7], exec, s[8:9]
	s_cbranch_execnz .LBB17_3081
; %bb.1033:
	s_or_saveexec_b64 s[6:7], s[6:7]
	v_mov_b32_e32 v20, s10
	s_xor_b64 exec, exec, s[6:7]
	s_cbranch_execnz .LBB17_3084
.LBB17_1034:
	s_or_b64 exec, exec, s[6:7]
	s_and_saveexec_b64 s[6:7], s[4:5]
	s_cbranch_execz .LBB17_1036
.LBB17_1035:
	v_bfe_u32 v20, v14, 8, 3
	v_ffbh_u32_e32 v23, v20
	v_min_u32_e32 v23, 32, v23
	v_lshrrev_b16_e32 v22, 3, v21
	v_subrev_u32_e32 v24, 28, v23
	v_and_b32_e32 v22, 15, v22
	v_lshlrev_b32_e32 v21, v24, v21
	v_sub_u32_e32 v23, 29, v23
	v_and_b32_e32 v21, 7, v21
	v_cmp_eq_u16_e32 vcc, 0, v22
	v_cndmask_b32_e32 v20, v20, v21, vcc
	v_cndmask_b32_e32 v21, v22, v23, vcc
	v_lshlrev_b32_e32 v22, 16, v14
	v_mov_b32_e32 v23, 0x3b800000
	v_lshlrev_b32_e32 v20, 20, v20
	v_and_b32_e32 v22, 0x80000000, v22
	v_lshl_add_u32 v21, v21, 23, v23
	v_or3_b32 v20, v22, v21, v20
.LBB17_1036:
	s_or_b64 exec, exec, s[6:7]
	v_lshrrev_b32_e32 v21, 8, v10
	s_movk_i32 s4, 0x7f
	v_cmp_gt_i16_sdwa s[6:7], v21, s4 src0_sel:BYTE_0 src1_sel:DWORD
	s_mov_b64 s[4:5], 0
                                        ; implicit-def: $sgpr10
	s_and_saveexec_b64 s[8:9], s[6:7]
	s_xor_b64 s[6:7], exec, s[8:9]
	s_cbranch_execnz .LBB17_3085
; %bb.1037:
	s_or_saveexec_b64 s[6:7], s[6:7]
	v_mov_b32_e32 v22, s10
	s_xor_b64 exec, exec, s[6:7]
	s_cbranch_execnz .LBB17_3088
.LBB17_1038:
	s_or_b64 exec, exec, s[6:7]
	s_and_saveexec_b64 s[6:7], s[4:5]
	s_cbranch_execz .LBB17_1040
.LBB17_1039:
	v_bfe_u32 v22, v10, 8, 3
	v_ffbh_u32_e32 v24, v22
	v_min_u32_e32 v24, 32, v24
	v_lshrrev_b16_e32 v23, 3, v21
	v_subrev_u32_e32 v25, 28, v24
	v_and_b32_e32 v23, 15, v23
	v_lshlrev_b32_e32 v21, v25, v21
	v_sub_u32_e32 v24, 29, v24
	v_and_b32_e32 v21, 7, v21
	v_cmp_eq_u16_e32 vcc, 0, v23
	v_cndmask_b32_e32 v21, v22, v21, vcc
	v_cndmask_b32_e32 v22, v23, v24, vcc
	v_lshlrev_b32_e32 v23, 16, v10
	v_mov_b32_e32 v24, 0x3b800000
	v_lshlrev_b32_e32 v21, 20, v21
	v_and_b32_e32 v23, 0x80000000, v23
	v_lshl_add_u32 v22, v22, 23, v24
	v_or3_b32 v22, v23, v22, v21
.LBB17_1040:
	s_or_b64 exec, exec, s[6:7]
	s_nop 0
	v_mfma_f32_16x16x4f32 a[0:3], v20, v22, a[0:3]
	s_movk_i32 s4, 0xff
	v_and_b32_sdwa v21, v14, s4 dst_sel:DWORD dst_unused:UNUSED_PAD src0_sel:WORD_1 src1_sel:DWORD
	s_movk_i32 s4, 0x7f
	v_cmp_lt_i16_e32 vcc, s4, v21
	s_mov_b64 s[4:5], 0
                                        ; implicit-def: $sgpr10
	s_and_saveexec_b64 s[6:7], vcc
	s_xor_b64 s[6:7], exec, s[6:7]
	s_cbranch_execnz .LBB17_3089
; %bb.1041:
	s_or_saveexec_b64 s[6:7], s[6:7]
	v_mov_b32_e32 v20, s10
	s_xor_b64 exec, exec, s[6:7]
	s_cbranch_execnz .LBB17_3092
.LBB17_1042:
	s_or_b64 exec, exec, s[6:7]
	s_and_saveexec_b64 s[6:7], s[4:5]
	s_cbranch_execz .LBB17_1044
.LBB17_1043:
	v_bfe_u32 v20, v14, 16, 3
	v_ffbh_u32_e32 v23, v20
	v_min_u32_e32 v23, 32, v23
	v_lshrrev_b32_e32 v21, 19, v14
	v_subrev_u32_e32 v24, 28, v23
	v_and_b32_e32 v21, 15, v21
	v_lshlrev_b32_sdwa v24, v24, v14 dst_sel:DWORD dst_unused:UNUSED_PAD src0_sel:DWORD src1_sel:WORD_1
	v_bfe_u32 v22, v14, 19, 4
	v_sub_u32_e32 v23, 29, v23
	v_and_b32_e32 v24, 7, v24
	v_cmp_eq_u16_e32 vcc, 0, v21
	v_cndmask_b32_e32 v20, v20, v24, vcc
	v_cndmask_b32_e32 v21, v22, v23, vcc
	v_lshlrev_b32_e32 v22, 8, v14
	v_mov_b32_e32 v23, 0x3b800000
	v_lshlrev_b32_e32 v20, 20, v20
	v_and_b32_e32 v22, 0x80000000, v22
	v_lshl_add_u32 v21, v21, 23, v23
	v_or3_b32 v20, v22, v21, v20
.LBB17_1044:
	s_or_b64 exec, exec, s[6:7]
	s_movk_i32 s4, 0xff
	v_and_b32_sdwa v21, v10, s4 dst_sel:DWORD dst_unused:UNUSED_PAD src0_sel:WORD_1 src1_sel:DWORD
	s_movk_i32 s4, 0x7f
	v_cmp_lt_i16_e32 vcc, s4, v21
	s_mov_b64 s[4:5], 0
                                        ; implicit-def: $sgpr10
	s_and_saveexec_b64 s[6:7], vcc
	s_xor_b64 s[6:7], exec, s[6:7]
	s_cbranch_execnz .LBB17_3093
; %bb.1045:
	s_or_saveexec_b64 s[6:7], s[6:7]
	v_mov_b32_e32 v22, s10
	s_xor_b64 exec, exec, s[6:7]
	s_cbranch_execnz .LBB17_3096
.LBB17_1046:
	s_or_b64 exec, exec, s[6:7]
	s_and_saveexec_b64 s[6:7], s[4:5]
	s_cbranch_execz .LBB17_1048
.LBB17_1047:
	v_bfe_u32 v21, v10, 16, 3
	v_ffbh_u32_e32 v24, v21
	v_min_u32_e32 v24, 32, v24
	v_lshrrev_b32_e32 v22, 19, v10
	v_subrev_u32_e32 v25, 28, v24
	v_and_b32_e32 v22, 15, v22
	v_lshlrev_b32_sdwa v25, v25, v10 dst_sel:DWORD dst_unused:UNUSED_PAD src0_sel:DWORD src1_sel:WORD_1
	v_bfe_u32 v23, v10, 19, 4
	v_sub_u32_e32 v24, 29, v24
	v_and_b32_e32 v25, 7, v25
	v_cmp_eq_u16_e32 vcc, 0, v22
	v_cndmask_b32_e32 v21, v21, v25, vcc
	v_cndmask_b32_e32 v22, v23, v24, vcc
	v_lshlrev_b32_e32 v23, 8, v10
	v_mov_b32_e32 v24, 0x3b800000
	v_lshlrev_b32_e32 v21, 20, v21
	v_and_b32_e32 v23, 0x80000000, v23
	v_lshl_add_u32 v22, v22, 23, v24
	v_or3_b32 v22, v23, v22, v21
.LBB17_1048:
	s_or_b64 exec, exec, s[6:7]
	s_nop 0
	v_mfma_f32_16x16x4f32 a[0:3], v20, v22, a[0:3]
	s_movk_i32 s4, 0x7f
	v_cmp_gt_i16_sdwa s[6:7], v14, s4 src0_sel:BYTE_3 src1_sel:DWORD
	s_mov_b64 s[4:5], 0
                                        ; implicit-def: $sgpr10
	s_and_saveexec_b64 s[8:9], s[6:7]
	s_xor_b64 s[6:7], exec, s[8:9]
	s_cbranch_execnz .LBB17_3097
; %bb.1049:
	s_or_saveexec_b64 s[6:7], s[6:7]
	v_mov_b32_e32 v20, s10
	s_xor_b64 exec, exec, s[6:7]
	s_cbranch_execnz .LBB17_3100
.LBB17_1050:
	s_or_b64 exec, exec, s[6:7]
	s_and_saveexec_b64 s[6:7], s[4:5]
	s_cbranch_execz .LBB17_1052
.LBB17_1051:
	v_bfe_u32 v20, v14, 24, 3
	v_ffbh_u32_e32 v24, v20
	v_min_u32_e32 v24, 32, v24
	v_lshrrev_b32_e32 v22, 27, v14
	v_subrev_u32_e32 v25, 28, v24
	v_and_b32_e32 v21, 0x80000000, v14
	v_and_b32_e32 v22, 15, v22
	v_bfe_u32 v23, v14, 27, 4
	v_lshlrev_b32_sdwa v14, v25, v14 dst_sel:DWORD dst_unused:UNUSED_PAD src0_sel:DWORD src1_sel:BYTE_3
	v_sub_u32_e32 v24, 29, v24
	v_and_b32_e32 v14, 7, v14
	v_cmp_eq_u16_e32 vcc, 0, v22
	v_cndmask_b32_e32 v14, v20, v14, vcc
	v_cndmask_b32_e32 v20, v23, v24, vcc
	v_mov_b32_e32 v22, 0x3b800000
	v_lshlrev_b32_e32 v14, 20, v14
	v_lshl_add_u32 v20, v20, 23, v22
	v_or3_b32 v20, v21, v20, v14
.LBB17_1052:
	s_or_b64 exec, exec, s[6:7]
	s_movk_i32 s4, 0x7f
	v_cmp_gt_i16_sdwa s[6:7], v10, s4 src0_sel:BYTE_3 src1_sel:DWORD
	s_mov_b64 s[4:5], 0
                                        ; implicit-def: $sgpr10
	s_and_saveexec_b64 s[8:9], s[6:7]
	s_xor_b64 s[6:7], exec, s[8:9]
	s_cbranch_execnz .LBB17_3101
; %bb.1053:
	s_or_saveexec_b64 s[6:7], s[6:7]
	v_mov_b32_e32 v14, s10
	s_xor_b64 exec, exec, s[6:7]
	s_cbranch_execnz .LBB17_3104
.LBB17_1054:
	s_or_b64 exec, exec, s[6:7]
	s_and_saveexec_b64 s[6:7], s[4:5]
	s_cbranch_execz .LBB17_1056
.LBB17_1055:
	v_bfe_u32 v14, v10, 24, 3
	v_ffbh_u32_e32 v24, v14
	v_min_u32_e32 v24, 32, v24
	v_lshrrev_b32_e32 v22, 27, v10
	v_subrev_u32_e32 v25, 28, v24
	v_and_b32_e32 v21, 0x80000000, v10
	v_and_b32_e32 v22, 15, v22
	v_bfe_u32 v23, v10, 27, 4
	v_lshlrev_b32_sdwa v10, v25, v10 dst_sel:DWORD dst_unused:UNUSED_PAD src0_sel:DWORD src1_sel:BYTE_3
	v_sub_u32_e32 v24, 29, v24
	v_and_b32_e32 v10, 7, v10
	v_cmp_eq_u16_e32 vcc, 0, v22
	v_cndmask_b32_e32 v10, v14, v10, vcc
	v_cndmask_b32_e32 v14, v23, v24, vcc
	v_mov_b32_e32 v22, 0x3b800000
	v_lshlrev_b32_e32 v10, 20, v10
	v_lshl_add_u32 v14, v14, 23, v22
	v_or3_b32 v14, v21, v14, v10
.LBB17_1056:
	s_or_b64 exec, exec, s[6:7]
	s_nop 0
	v_mfma_f32_16x16x4f32 a[0:3], v20, v14, a[0:3]
	s_movk_i32 s4, 0x7f
	v_cmp_gt_i16_sdwa s[6:7], v15, s4 src0_sel:BYTE_0 src1_sel:DWORD
	s_mov_b64 s[4:5], 0
                                        ; implicit-def: $sgpr10
	s_and_saveexec_b64 s[8:9], s[6:7]
	s_xor_b64 s[6:7], exec, s[8:9]
	s_cbranch_execnz .LBB17_3105
; %bb.1057:
	s_or_saveexec_b64 s[6:7], s[6:7]
	v_mov_b32_e32 v10, s10
	s_xor_b64 exec, exec, s[6:7]
	s_cbranch_execnz .LBB17_3108
.LBB17_1058:
	s_or_b64 exec, exec, s[6:7]
	s_and_saveexec_b64 s[6:7], s[4:5]
	s_cbranch_execz .LBB17_1060
.LBB17_1059:
	v_and_b32_e32 v10, 7, v15
	v_ffbh_u32_e32 v20, v10
	v_min_u32_e32 v20, 32, v20
	v_lshrrev_b16_e32 v14, 3, v15
	v_subrev_u32_e32 v21, 28, v20
	v_and_b32_e32 v14, 15, v14
	v_lshlrev_b32_e32 v21, v21, v15
	v_sub_u32_e32 v20, 29, v20
	v_and_b32_e32 v21, 7, v21
	v_cmp_eq_u16_e32 vcc, 0, v14
	v_cndmask_b32_e32 v10, v10, v21, vcc
	v_cndmask_b32_e32 v14, v14, v20, vcc
	v_lshlrev_b32_e32 v20, 24, v15
	v_mov_b32_e32 v21, 0x3b800000
	v_lshlrev_b32_e32 v10, 20, v10
	v_and_b32_e32 v20, 0x80000000, v20
	v_lshl_add_u32 v14, v14, 23, v21
	v_or3_b32 v10, v20, v14, v10
.LBB17_1060:
	s_or_b64 exec, exec, s[6:7]
	s_movk_i32 s4, 0x7f
	v_cmp_gt_i16_sdwa s[6:7], v11, s4 src0_sel:BYTE_0 src1_sel:DWORD
	s_mov_b64 s[4:5], 0
                                        ; implicit-def: $sgpr10
	s_and_saveexec_b64 s[8:9], s[6:7]
	s_xor_b64 s[6:7], exec, s[8:9]
	s_cbranch_execnz .LBB17_3109
; %bb.1061:
	s_or_saveexec_b64 s[6:7], s[6:7]
	v_mov_b32_e32 v14, s10
	s_xor_b64 exec, exec, s[6:7]
	s_cbranch_execnz .LBB17_3112
.LBB17_1062:
	s_or_b64 exec, exec, s[6:7]
	s_and_saveexec_b64 s[6:7], s[4:5]
	s_cbranch_execz .LBB17_1064
.LBB17_1063:
	v_and_b32_e32 v14, 7, v11
	v_ffbh_u32_e32 v21, v14
	v_min_u32_e32 v21, 32, v21
	v_lshrrev_b16_e32 v20, 3, v11
	v_subrev_u32_e32 v22, 28, v21
	v_and_b32_e32 v20, 15, v20
	v_lshlrev_b32_e32 v22, v22, v11
	v_sub_u32_e32 v21, 29, v21
	v_and_b32_e32 v22, 7, v22
	v_cmp_eq_u16_e32 vcc, 0, v20
	v_cndmask_b32_e32 v14, v14, v22, vcc
	v_cndmask_b32_e32 v20, v20, v21, vcc
	v_lshlrev_b32_e32 v21, 24, v11
	v_mov_b32_e32 v22, 0x3b800000
	v_lshlrev_b32_e32 v14, 20, v14
	v_and_b32_e32 v21, 0x80000000, v21
	v_lshl_add_u32 v20, v20, 23, v22
	v_or3_b32 v14, v21, v20, v14
.LBB17_1064:
	s_or_b64 exec, exec, s[6:7]
	s_nop 0
	v_mfma_f32_16x16x4f32 a[0:3], v10, v14, a[0:3]
	v_lshrrev_b32_e32 v14, 8, v15
	s_movk_i32 s4, 0x7f
	v_cmp_gt_i16_sdwa s[6:7], v14, s4 src0_sel:BYTE_0 src1_sel:DWORD
	s_mov_b64 s[4:5], 0
                                        ; implicit-def: $sgpr10
	s_and_saveexec_b64 s[8:9], s[6:7]
	s_xor_b64 s[6:7], exec, s[8:9]
	s_cbranch_execnz .LBB17_3113
; %bb.1065:
	s_or_saveexec_b64 s[6:7], s[6:7]
	v_mov_b32_e32 v10, s10
	s_xor_b64 exec, exec, s[6:7]
	s_cbranch_execnz .LBB17_3116
.LBB17_1066:
	s_or_b64 exec, exec, s[6:7]
	s_and_saveexec_b64 s[6:7], s[4:5]
	s_cbranch_execz .LBB17_1068
.LBB17_1067:
	v_bfe_u32 v10, v15, 8, 3
	v_ffbh_u32_e32 v21, v10
	v_min_u32_e32 v21, 32, v21
	v_lshrrev_b16_e32 v20, 3, v14
	v_subrev_u32_e32 v22, 28, v21
	v_and_b32_e32 v20, 15, v20
	v_lshlrev_b32_e32 v14, v22, v14
	v_sub_u32_e32 v21, 29, v21
	v_and_b32_e32 v14, 7, v14
	v_cmp_eq_u16_e32 vcc, 0, v20
	v_cndmask_b32_e32 v10, v10, v14, vcc
	v_cndmask_b32_e32 v14, v20, v21, vcc
	v_lshlrev_b32_e32 v20, 16, v15
	v_mov_b32_e32 v21, 0x3b800000
	v_lshlrev_b32_e32 v10, 20, v10
	v_and_b32_e32 v20, 0x80000000, v20
	v_lshl_add_u32 v14, v14, 23, v21
	v_or3_b32 v10, v20, v14, v10
.LBB17_1068:
	s_or_b64 exec, exec, s[6:7]
	v_lshrrev_b32_e32 v14, 8, v11
	s_movk_i32 s4, 0x7f
	v_cmp_gt_i16_sdwa s[6:7], v14, s4 src0_sel:BYTE_0 src1_sel:DWORD
	s_mov_b64 s[4:5], 0
                                        ; implicit-def: $sgpr10
	s_and_saveexec_b64 s[8:9], s[6:7]
	s_xor_b64 s[6:7], exec, s[8:9]
	s_cbranch_execnz .LBB17_3117
; %bb.1069:
	s_or_saveexec_b64 s[6:7], s[6:7]
	v_mov_b32_e32 v20, s10
	s_xor_b64 exec, exec, s[6:7]
	s_cbranch_execnz .LBB17_3120
.LBB17_1070:
	s_or_b64 exec, exec, s[6:7]
	s_and_saveexec_b64 s[6:7], s[4:5]
	s_cbranch_execz .LBB17_1072
.LBB17_1071:
	v_bfe_u32 v20, v11, 8, 3
	v_ffbh_u32_e32 v22, v20
	v_min_u32_e32 v22, 32, v22
	v_lshrrev_b16_e32 v21, 3, v14
	v_subrev_u32_e32 v23, 28, v22
	v_and_b32_e32 v21, 15, v21
	v_lshlrev_b32_e32 v14, v23, v14
	v_sub_u32_e32 v22, 29, v22
	v_and_b32_e32 v14, 7, v14
	v_cmp_eq_u16_e32 vcc, 0, v21
	v_cndmask_b32_e32 v14, v20, v14, vcc
	v_cndmask_b32_e32 v20, v21, v22, vcc
	v_lshlrev_b32_e32 v21, 16, v11
	v_mov_b32_e32 v22, 0x3b800000
	v_lshlrev_b32_e32 v14, 20, v14
	v_and_b32_e32 v21, 0x80000000, v21
	v_lshl_add_u32 v20, v20, 23, v22
	v_or3_b32 v20, v21, v20, v14
.LBB17_1072:
	s_or_b64 exec, exec, s[6:7]
	s_nop 0
	v_mfma_f32_16x16x4f32 a[0:3], v10, v20, a[0:3]
	s_movk_i32 s4, 0xff
	v_and_b32_sdwa v14, v15, s4 dst_sel:DWORD dst_unused:UNUSED_PAD src0_sel:WORD_1 src1_sel:DWORD
	s_movk_i32 s4, 0x7f
	v_cmp_lt_i16_e32 vcc, s4, v14
	s_mov_b64 s[4:5], 0
                                        ; implicit-def: $sgpr10
	s_and_saveexec_b64 s[6:7], vcc
	s_xor_b64 s[6:7], exec, s[6:7]
	s_cbranch_execnz .LBB17_3121
; %bb.1073:
	s_or_saveexec_b64 s[6:7], s[6:7]
	v_mov_b32_e32 v10, s10
	s_xor_b64 exec, exec, s[6:7]
	s_cbranch_execnz .LBB17_3124
.LBB17_1074:
	s_or_b64 exec, exec, s[6:7]
	s_and_saveexec_b64 s[6:7], s[4:5]
	s_cbranch_execz .LBB17_1076
.LBB17_1075:
	v_bfe_u32 v10, v15, 16, 3
	v_ffbh_u32_e32 v21, v10
	v_min_u32_e32 v21, 32, v21
	v_lshrrev_b32_e32 v14, 19, v15
	v_subrev_u32_e32 v22, 28, v21
	v_and_b32_e32 v14, 15, v14
	v_lshlrev_b32_sdwa v22, v22, v15 dst_sel:DWORD dst_unused:UNUSED_PAD src0_sel:DWORD src1_sel:WORD_1
	v_bfe_u32 v20, v15, 19, 4
	v_sub_u32_e32 v21, 29, v21
	v_and_b32_e32 v22, 7, v22
	v_cmp_eq_u16_e32 vcc, 0, v14
	v_cndmask_b32_e32 v10, v10, v22, vcc
	v_cndmask_b32_e32 v14, v20, v21, vcc
	v_lshlrev_b32_e32 v20, 8, v15
	v_mov_b32_e32 v21, 0x3b800000
	v_lshlrev_b32_e32 v10, 20, v10
	v_and_b32_e32 v20, 0x80000000, v20
	v_lshl_add_u32 v14, v14, 23, v21
	v_or3_b32 v10, v20, v14, v10
.LBB17_1076:
	s_or_b64 exec, exec, s[6:7]
	s_movk_i32 s4, 0xff
	v_and_b32_sdwa v14, v11, s4 dst_sel:DWORD dst_unused:UNUSED_PAD src0_sel:WORD_1 src1_sel:DWORD
	s_movk_i32 s4, 0x7f
	v_cmp_lt_i16_e32 vcc, s4, v14
	s_mov_b64 s[4:5], 0
                                        ; implicit-def: $sgpr10
	s_and_saveexec_b64 s[6:7], vcc
	s_xor_b64 s[6:7], exec, s[6:7]
	s_cbranch_execnz .LBB17_3125
; %bb.1077:
	s_or_saveexec_b64 s[6:7], s[6:7]
	v_mov_b32_e32 v20, s10
	s_xor_b64 exec, exec, s[6:7]
	s_cbranch_execnz .LBB17_3128
.LBB17_1078:
	s_or_b64 exec, exec, s[6:7]
	s_and_saveexec_b64 s[6:7], s[4:5]
	s_cbranch_execz .LBB17_1080
.LBB17_1079:
	v_bfe_u32 v14, v11, 16, 3
	v_ffbh_u32_e32 v22, v14
	v_min_u32_e32 v22, 32, v22
	v_lshrrev_b32_e32 v20, 19, v11
	v_subrev_u32_e32 v23, 28, v22
	v_and_b32_e32 v20, 15, v20
	v_lshlrev_b32_sdwa v23, v23, v11 dst_sel:DWORD dst_unused:UNUSED_PAD src0_sel:DWORD src1_sel:WORD_1
	v_bfe_u32 v21, v11, 19, 4
	v_sub_u32_e32 v22, 29, v22
	v_and_b32_e32 v23, 7, v23
	v_cmp_eq_u16_e32 vcc, 0, v20
	v_cndmask_b32_e32 v14, v14, v23, vcc
	v_cndmask_b32_e32 v20, v21, v22, vcc
	v_lshlrev_b32_e32 v21, 8, v11
	v_mov_b32_e32 v22, 0x3b800000
	v_lshlrev_b32_e32 v14, 20, v14
	v_and_b32_e32 v21, 0x80000000, v21
	v_lshl_add_u32 v20, v20, 23, v22
	v_or3_b32 v20, v21, v20, v14
.LBB17_1080:
	s_or_b64 exec, exec, s[6:7]
	s_nop 0
	v_mfma_f32_16x16x4f32 a[0:3], v10, v20, a[0:3]
	s_movk_i32 s4, 0x7f
	v_cmp_gt_i16_sdwa s[6:7], v15, s4 src0_sel:BYTE_3 src1_sel:DWORD
	s_mov_b64 s[4:5], 0
                                        ; implicit-def: $sgpr10
	s_and_saveexec_b64 s[8:9], s[6:7]
	s_xor_b64 s[6:7], exec, s[8:9]
	s_cbranch_execnz .LBB17_3129
; %bb.1081:
	s_or_saveexec_b64 s[6:7], s[6:7]
	v_mov_b32_e32 v10, s10
	s_xor_b64 exec, exec, s[6:7]
	s_cbranch_execnz .LBB17_3132
.LBB17_1082:
	s_or_b64 exec, exec, s[6:7]
	s_and_saveexec_b64 s[6:7], s[4:5]
	s_cbranch_execz .LBB17_1084
.LBB17_1083:
	v_bfe_u32 v10, v15, 24, 3
	v_ffbh_u32_e32 v22, v10
	v_min_u32_e32 v22, 32, v22
	v_lshrrev_b32_e32 v20, 27, v15
	v_subrev_u32_e32 v23, 28, v22
	v_and_b32_e32 v14, 0x80000000, v15
	v_and_b32_e32 v20, 15, v20
	v_bfe_u32 v21, v15, 27, 4
	v_lshlrev_b32_sdwa v15, v23, v15 dst_sel:DWORD dst_unused:UNUSED_PAD src0_sel:DWORD src1_sel:BYTE_3
	v_sub_u32_e32 v22, 29, v22
	v_and_b32_e32 v15, 7, v15
	v_cmp_eq_u16_e32 vcc, 0, v20
	v_cndmask_b32_e32 v10, v10, v15, vcc
	v_cndmask_b32_e32 v15, v21, v22, vcc
	v_mov_b32_e32 v20, 0x3b800000
	v_lshlrev_b32_e32 v10, 20, v10
	v_lshl_add_u32 v15, v15, 23, v20
	v_or3_b32 v10, v14, v15, v10
.LBB17_1084:
	s_or_b64 exec, exec, s[6:7]
	s_movk_i32 s4, 0x7f
	v_cmp_gt_i16_sdwa s[6:7], v11, s4 src0_sel:BYTE_3 src1_sel:DWORD
	s_mov_b64 s[4:5], 0
                                        ; implicit-def: $sgpr10
	s_and_saveexec_b64 s[8:9], s[6:7]
	s_xor_b64 s[6:7], exec, s[8:9]
	s_cbranch_execnz .LBB17_3133
; %bb.1085:
	s_or_saveexec_b64 s[6:7], s[6:7]
	v_mov_b32_e32 v14, s10
	s_xor_b64 exec, exec, s[6:7]
	s_cbranch_execnz .LBB17_3136
.LBB17_1086:
	s_or_b64 exec, exec, s[6:7]
	s_and_saveexec_b64 s[6:7], s[4:5]
	s_cbranch_execz .LBB17_1088
.LBB17_1087:
	v_bfe_u32 v14, v11, 24, 3
	v_ffbh_u32_e32 v22, v14
	v_min_u32_e32 v22, 32, v22
	v_lshrrev_b32_e32 v20, 27, v11
	v_subrev_u32_e32 v23, 28, v22
	v_and_b32_e32 v15, 0x80000000, v11
	v_and_b32_e32 v20, 15, v20
	v_bfe_u32 v21, v11, 27, 4
	v_lshlrev_b32_sdwa v11, v23, v11 dst_sel:DWORD dst_unused:UNUSED_PAD src0_sel:DWORD src1_sel:BYTE_3
	v_sub_u32_e32 v22, 29, v22
	v_and_b32_e32 v11, 7, v11
	v_cmp_eq_u16_e32 vcc, 0, v20
	v_cndmask_b32_e32 v11, v14, v11, vcc
	v_cndmask_b32_e32 v14, v21, v22, vcc
	v_mov_b32_e32 v20, 0x3b800000
	v_lshlrev_b32_e32 v11, 20, v11
	v_lshl_add_u32 v14, v14, 23, v20
	v_or3_b32 v14, v15, v14, v11
.LBB17_1088:
	s_or_b64 exec, exec, s[6:7]
	s_nop 0
	v_mfma_f32_16x16x4f32 a[0:3], v10, v14, a[0:3]
	s_movk_i32 s4, 0x7f
	v_cmp_gt_i16_sdwa s[6:7], v16, s4 src0_sel:BYTE_0 src1_sel:DWORD
	s_mov_b64 s[4:5], 0
                                        ; implicit-def: $sgpr10
	s_and_saveexec_b64 s[8:9], s[6:7]
	s_xor_b64 s[6:7], exec, s[8:9]
	s_cbranch_execnz .LBB17_3137
; %bb.1089:
	s_or_saveexec_b64 s[6:7], s[6:7]
	v_mov_b32_e32 v10, s10
	s_xor_b64 exec, exec, s[6:7]
	s_cbranch_execnz .LBB17_3140
.LBB17_1090:
	s_or_b64 exec, exec, s[6:7]
	s_and_saveexec_b64 s[6:7], s[4:5]
	s_cbranch_execz .LBB17_1092
.LBB17_1091:
	v_and_b32_e32 v10, 7, v16
	v_ffbh_u32_e32 v14, v10
	v_min_u32_e32 v14, 32, v14
	v_lshrrev_b16_e32 v11, 3, v16
	v_subrev_u32_e32 v15, 28, v14
	v_and_b32_e32 v11, 15, v11
	v_lshlrev_b32_e32 v15, v15, v16
	v_sub_u32_e32 v14, 29, v14
	v_and_b32_e32 v15, 7, v15
	v_cmp_eq_u16_e32 vcc, 0, v11
	v_cndmask_b32_e32 v10, v10, v15, vcc
	v_cndmask_b32_e32 v11, v11, v14, vcc
	v_lshlrev_b32_e32 v14, 24, v16
	v_mov_b32_e32 v15, 0x3b800000
	v_lshlrev_b32_e32 v10, 20, v10
	v_and_b32_e32 v14, 0x80000000, v14
	v_lshl_add_u32 v11, v11, 23, v15
	v_or3_b32 v10, v14, v11, v10
.LBB17_1092:
	s_or_b64 exec, exec, s[6:7]
	s_movk_i32 s4, 0x7f
	v_cmp_gt_i16_sdwa s[6:7], v12, s4 src0_sel:BYTE_0 src1_sel:DWORD
	s_mov_b64 s[4:5], 0
                                        ; implicit-def: $sgpr10
	s_and_saveexec_b64 s[8:9], s[6:7]
	s_xor_b64 s[6:7], exec, s[8:9]
	s_cbranch_execnz .LBB17_3141
; %bb.1093:
	s_or_saveexec_b64 s[6:7], s[6:7]
	v_mov_b32_e32 v11, s10
	s_xor_b64 exec, exec, s[6:7]
	s_cbranch_execnz .LBB17_3144
.LBB17_1094:
	s_or_b64 exec, exec, s[6:7]
	s_and_saveexec_b64 s[6:7], s[4:5]
	s_cbranch_execz .LBB17_1096
.LBB17_1095:
	v_and_b32_e32 v11, 7, v12
	v_ffbh_u32_e32 v15, v11
	v_min_u32_e32 v15, 32, v15
	v_lshrrev_b16_e32 v14, 3, v12
	v_subrev_u32_e32 v20, 28, v15
	v_and_b32_e32 v14, 15, v14
	v_lshlrev_b32_e32 v20, v20, v12
	v_sub_u32_e32 v15, 29, v15
	v_and_b32_e32 v20, 7, v20
	v_cmp_eq_u16_e32 vcc, 0, v14
	v_cndmask_b32_e32 v11, v11, v20, vcc
	v_cndmask_b32_e32 v14, v14, v15, vcc
	v_lshlrev_b32_e32 v15, 24, v12
	v_mov_b32_e32 v20, 0x3b800000
	v_lshlrev_b32_e32 v11, 20, v11
	v_and_b32_e32 v15, 0x80000000, v15
	v_lshl_add_u32 v14, v14, 23, v20
	v_or3_b32 v11, v15, v14, v11
.LBB17_1096:
	s_or_b64 exec, exec, s[6:7]
	s_nop 0
	v_mfma_f32_16x16x4f32 a[0:3], v10, v11, a[0:3]
	v_lshrrev_b32_e32 v11, 8, v16
	s_movk_i32 s4, 0x7f
	v_cmp_gt_i16_sdwa s[6:7], v11, s4 src0_sel:BYTE_0 src1_sel:DWORD
	s_mov_b64 s[4:5], 0
                                        ; implicit-def: $sgpr10
	s_and_saveexec_b64 s[8:9], s[6:7]
	s_xor_b64 s[6:7], exec, s[8:9]
	s_cbranch_execnz .LBB17_3145
; %bb.1097:
	s_or_saveexec_b64 s[6:7], s[6:7]
	v_mov_b32_e32 v10, s10
	s_xor_b64 exec, exec, s[6:7]
	s_cbranch_execnz .LBB17_3148
.LBB17_1098:
	s_or_b64 exec, exec, s[6:7]
	s_and_saveexec_b64 s[6:7], s[4:5]
	s_cbranch_execz .LBB17_1100
.LBB17_1099:
	v_bfe_u32 v10, v16, 8, 3
	v_ffbh_u32_e32 v15, v10
	v_min_u32_e32 v15, 32, v15
	v_lshrrev_b16_e32 v14, 3, v11
	v_subrev_u32_e32 v20, 28, v15
	v_and_b32_e32 v14, 15, v14
	v_lshlrev_b32_e32 v11, v20, v11
	v_sub_u32_e32 v15, 29, v15
	v_and_b32_e32 v11, 7, v11
	v_cmp_eq_u16_e32 vcc, 0, v14
	v_cndmask_b32_e32 v10, v10, v11, vcc
	v_cndmask_b32_e32 v11, v14, v15, vcc
	v_lshlrev_b32_e32 v14, 16, v16
	v_mov_b32_e32 v15, 0x3b800000
	v_lshlrev_b32_e32 v10, 20, v10
	v_and_b32_e32 v14, 0x80000000, v14
	v_lshl_add_u32 v11, v11, 23, v15
	v_or3_b32 v10, v14, v11, v10
.LBB17_1100:
	s_or_b64 exec, exec, s[6:7]
	v_lshrrev_b32_e32 v11, 8, v12
	s_movk_i32 s4, 0x7f
	v_cmp_gt_i16_sdwa s[6:7], v11, s4 src0_sel:BYTE_0 src1_sel:DWORD
	s_mov_b64 s[4:5], 0
                                        ; implicit-def: $sgpr10
	s_and_saveexec_b64 s[8:9], s[6:7]
	s_xor_b64 s[6:7], exec, s[8:9]
	s_cbranch_execnz .LBB17_3149
; %bb.1101:
	s_or_saveexec_b64 s[6:7], s[6:7]
	v_mov_b32_e32 v14, s10
	s_xor_b64 exec, exec, s[6:7]
	s_cbranch_execnz .LBB17_3152
.LBB17_1102:
	s_or_b64 exec, exec, s[6:7]
	s_and_saveexec_b64 s[6:7], s[4:5]
	s_cbranch_execz .LBB17_1104
.LBB17_1103:
	v_bfe_u32 v14, v12, 8, 3
	v_ffbh_u32_e32 v20, v14
	v_min_u32_e32 v20, 32, v20
	v_lshrrev_b16_e32 v15, 3, v11
	v_subrev_u32_e32 v21, 28, v20
	v_and_b32_e32 v15, 15, v15
	v_lshlrev_b32_e32 v11, v21, v11
	v_sub_u32_e32 v20, 29, v20
	v_and_b32_e32 v11, 7, v11
	v_cmp_eq_u16_e32 vcc, 0, v15
	v_cndmask_b32_e32 v11, v14, v11, vcc
	v_cndmask_b32_e32 v14, v15, v20, vcc
	v_lshlrev_b32_e32 v15, 16, v12
	v_mov_b32_e32 v20, 0x3b800000
	v_lshlrev_b32_e32 v11, 20, v11
	v_and_b32_e32 v15, 0x80000000, v15
	v_lshl_add_u32 v14, v14, 23, v20
	v_or3_b32 v14, v15, v14, v11
.LBB17_1104:
	s_or_b64 exec, exec, s[6:7]
	s_nop 0
	v_mfma_f32_16x16x4f32 a[0:3], v10, v14, a[0:3]
	s_movk_i32 s4, 0xff
	v_and_b32_sdwa v11, v16, s4 dst_sel:DWORD dst_unused:UNUSED_PAD src0_sel:WORD_1 src1_sel:DWORD
	s_movk_i32 s4, 0x7f
	v_cmp_lt_i16_e32 vcc, s4, v11
	s_mov_b64 s[4:5], 0
                                        ; implicit-def: $sgpr10
	s_and_saveexec_b64 s[6:7], vcc
	s_xor_b64 s[6:7], exec, s[6:7]
	s_cbranch_execnz .LBB17_3153
; %bb.1105:
	s_or_saveexec_b64 s[6:7], s[6:7]
	v_mov_b32_e32 v10, s10
	s_xor_b64 exec, exec, s[6:7]
	s_cbranch_execnz .LBB17_3156
.LBB17_1106:
	s_or_b64 exec, exec, s[6:7]
	s_and_saveexec_b64 s[6:7], s[4:5]
	s_cbranch_execz .LBB17_1108
.LBB17_1107:
	v_bfe_u32 v10, v16, 16, 3
	v_ffbh_u32_e32 v15, v10
	v_min_u32_e32 v15, 32, v15
	v_lshrrev_b32_e32 v11, 19, v16
	v_subrev_u32_e32 v20, 28, v15
	v_and_b32_e32 v11, 15, v11
	v_lshlrev_b32_sdwa v20, v20, v16 dst_sel:DWORD dst_unused:UNUSED_PAD src0_sel:DWORD src1_sel:WORD_1
	v_bfe_u32 v14, v16, 19, 4
	v_sub_u32_e32 v15, 29, v15
	v_and_b32_e32 v20, 7, v20
	v_cmp_eq_u16_e32 vcc, 0, v11
	v_cndmask_b32_e32 v10, v10, v20, vcc
	v_cndmask_b32_e32 v11, v14, v15, vcc
	v_lshlrev_b32_e32 v14, 8, v16
	v_mov_b32_e32 v15, 0x3b800000
	v_lshlrev_b32_e32 v10, 20, v10
	v_and_b32_e32 v14, 0x80000000, v14
	v_lshl_add_u32 v11, v11, 23, v15
	v_or3_b32 v10, v14, v11, v10
.LBB17_1108:
	s_or_b64 exec, exec, s[6:7]
	s_movk_i32 s4, 0xff
	v_and_b32_sdwa v11, v12, s4 dst_sel:DWORD dst_unused:UNUSED_PAD src0_sel:WORD_1 src1_sel:DWORD
	s_movk_i32 s4, 0x7f
	v_cmp_lt_i16_e32 vcc, s4, v11
	s_mov_b64 s[4:5], 0
                                        ; implicit-def: $sgpr10
	s_and_saveexec_b64 s[6:7], vcc
	s_xor_b64 s[6:7], exec, s[6:7]
	s_cbranch_execnz .LBB17_3157
; %bb.1109:
	s_or_saveexec_b64 s[6:7], s[6:7]
	v_mov_b32_e32 v14, s10
	s_xor_b64 exec, exec, s[6:7]
	s_cbranch_execnz .LBB17_3160
.LBB17_1110:
	s_or_b64 exec, exec, s[6:7]
	s_and_saveexec_b64 s[6:7], s[4:5]
	s_cbranch_execz .LBB17_1112
.LBB17_1111:
	v_bfe_u32 v11, v12, 16, 3
	v_ffbh_u32_e32 v20, v11
	v_min_u32_e32 v20, 32, v20
	v_lshrrev_b32_e32 v14, 19, v12
	v_subrev_u32_e32 v21, 28, v20
	v_and_b32_e32 v14, 15, v14
	v_lshlrev_b32_sdwa v21, v21, v12 dst_sel:DWORD dst_unused:UNUSED_PAD src0_sel:DWORD src1_sel:WORD_1
	v_bfe_u32 v15, v12, 19, 4
	v_sub_u32_e32 v20, 29, v20
	v_and_b32_e32 v21, 7, v21
	v_cmp_eq_u16_e32 vcc, 0, v14
	v_cndmask_b32_e32 v11, v11, v21, vcc
	v_cndmask_b32_e32 v14, v15, v20, vcc
	v_lshlrev_b32_e32 v15, 8, v12
	v_mov_b32_e32 v20, 0x3b800000
	v_lshlrev_b32_e32 v11, 20, v11
	v_and_b32_e32 v15, 0x80000000, v15
	v_lshl_add_u32 v14, v14, 23, v20
	v_or3_b32 v14, v15, v14, v11
.LBB17_1112:
	s_or_b64 exec, exec, s[6:7]
	s_nop 0
	v_mfma_f32_16x16x4f32 a[0:3], v10, v14, a[0:3]
	s_movk_i32 s4, 0x7f
	v_cmp_gt_i16_sdwa s[6:7], v16, s4 src0_sel:BYTE_3 src1_sel:DWORD
	s_mov_b64 s[4:5], 0
                                        ; implicit-def: $sgpr10
	s_and_saveexec_b64 s[8:9], s[6:7]
	s_xor_b64 s[6:7], exec, s[8:9]
	s_cbranch_execnz .LBB17_3161
; %bb.1113:
	s_or_saveexec_b64 s[6:7], s[6:7]
	v_mov_b32_e32 v10, s10
	s_xor_b64 exec, exec, s[6:7]
	s_cbranch_execnz .LBB17_3164
.LBB17_1114:
	s_or_b64 exec, exec, s[6:7]
	s_and_saveexec_b64 s[6:7], s[4:5]
	s_cbranch_execz .LBB17_1116
.LBB17_1115:
	v_bfe_u32 v10, v16, 24, 3
	v_ffbh_u32_e32 v20, v10
	v_min_u32_e32 v20, 32, v20
	v_lshrrev_b32_e32 v14, 27, v16
	v_subrev_u32_e32 v21, 28, v20
	v_and_b32_e32 v11, 0x80000000, v16
	v_and_b32_e32 v14, 15, v14
	v_bfe_u32 v15, v16, 27, 4
	v_lshlrev_b32_sdwa v16, v21, v16 dst_sel:DWORD dst_unused:UNUSED_PAD src0_sel:DWORD src1_sel:BYTE_3
	v_sub_u32_e32 v20, 29, v20
	v_and_b32_e32 v16, 7, v16
	v_cmp_eq_u16_e32 vcc, 0, v14
	v_cndmask_b32_e32 v10, v10, v16, vcc
	v_cndmask_b32_e32 v14, v15, v20, vcc
	v_mov_b32_e32 v15, 0x3b800000
	v_lshlrev_b32_e32 v10, 20, v10
	v_lshl_add_u32 v14, v14, 23, v15
	v_or3_b32 v10, v11, v14, v10
.LBB17_1116:
	s_or_b64 exec, exec, s[6:7]
	s_movk_i32 s4, 0x7f
	v_cmp_gt_i16_sdwa s[6:7], v12, s4 src0_sel:BYTE_3 src1_sel:DWORD
	s_mov_b64 s[4:5], 0
                                        ; implicit-def: $sgpr10
	s_and_saveexec_b64 s[8:9], s[6:7]
	s_xor_b64 s[6:7], exec, s[8:9]
	s_cbranch_execnz .LBB17_3165
; %bb.1117:
	s_or_saveexec_b64 s[6:7], s[6:7]
	v_mov_b32_e32 v11, s10
	s_xor_b64 exec, exec, s[6:7]
	s_cbranch_execnz .LBB17_3168
.LBB17_1118:
	s_or_b64 exec, exec, s[6:7]
	s_and_saveexec_b64 s[6:7], s[4:5]
	s_cbranch_execz .LBB17_1120
.LBB17_1119:
	v_bfe_u32 v11, v12, 24, 3
	v_ffbh_u32_e32 v20, v11
	v_min_u32_e32 v20, 32, v20
	v_lshrrev_b32_e32 v15, 27, v12
	v_subrev_u32_e32 v21, 28, v20
	v_and_b32_e32 v14, 0x80000000, v12
	v_and_b32_e32 v15, 15, v15
	v_bfe_u32 v16, v12, 27, 4
	v_lshlrev_b32_sdwa v12, v21, v12 dst_sel:DWORD dst_unused:UNUSED_PAD src0_sel:DWORD src1_sel:BYTE_3
	v_sub_u32_e32 v20, 29, v20
	v_and_b32_e32 v12, 7, v12
	v_cmp_eq_u16_e32 vcc, 0, v15
	v_cndmask_b32_e32 v11, v11, v12, vcc
	v_cndmask_b32_e32 v12, v16, v20, vcc
	v_mov_b32_e32 v15, 0x3b800000
	v_lshlrev_b32_e32 v11, 20, v11
	v_lshl_add_u32 v12, v12, 23, v15
	v_or3_b32 v11, v14, v12, v11
.LBB17_1120:
	s_or_b64 exec, exec, s[6:7]
	s_nop 0
	v_mfma_f32_16x16x4f32 a[0:3], v10, v11, a[0:3]
	s_movk_i32 s4, 0x7f
	v_cmp_gt_i16_sdwa s[6:7], v17, s4 src0_sel:BYTE_0 src1_sel:DWORD
	s_mov_b64 s[4:5], 0
                                        ; implicit-def: $sgpr10
	s_and_saveexec_b64 s[8:9], s[6:7]
	s_xor_b64 s[6:7], exec, s[8:9]
	s_cbranch_execnz .LBB17_3169
; %bb.1121:
	s_or_saveexec_b64 s[6:7], s[6:7]
	v_mov_b32_e32 v10, s10
	s_xor_b64 exec, exec, s[6:7]
	s_cbranch_execnz .LBB17_3172
.LBB17_1122:
	s_or_b64 exec, exec, s[6:7]
	s_and_saveexec_b64 s[6:7], s[4:5]
	s_cbranch_execz .LBB17_1124
.LBB17_1123:
	v_and_b32_e32 v10, 7, v17
	v_ffbh_u32_e32 v12, v10
	v_min_u32_e32 v12, 32, v12
	v_lshrrev_b16_e32 v11, 3, v17
	v_subrev_u32_e32 v14, 28, v12
	v_and_b32_e32 v11, 15, v11
	v_lshlrev_b32_e32 v14, v14, v17
	v_sub_u32_e32 v12, 29, v12
	v_and_b32_e32 v14, 7, v14
	v_cmp_eq_u16_e32 vcc, 0, v11
	v_cndmask_b32_e32 v10, v10, v14, vcc
	v_cndmask_b32_e32 v11, v11, v12, vcc
	v_lshlrev_b32_e32 v12, 24, v17
	v_mov_b32_e32 v14, 0x3b800000
	v_lshlrev_b32_e32 v10, 20, v10
	v_and_b32_e32 v12, 0x80000000, v12
	v_lshl_add_u32 v11, v11, 23, v14
	v_or3_b32 v10, v12, v11, v10
.LBB17_1124:
	s_or_b64 exec, exec, s[6:7]
	s_movk_i32 s4, 0x7f
	v_cmp_gt_i16_sdwa s[6:7], v13, s4 src0_sel:BYTE_0 src1_sel:DWORD
	s_mov_b64 s[4:5], 0
                                        ; implicit-def: $sgpr10
	s_and_saveexec_b64 s[8:9], s[6:7]
	s_xor_b64 s[6:7], exec, s[8:9]
	s_cbranch_execnz .LBB17_3173
; %bb.1125:
	s_or_saveexec_b64 s[6:7], s[6:7]
	v_mov_b32_e32 v11, s10
	s_xor_b64 exec, exec, s[6:7]
	s_cbranch_execnz .LBB17_3176
.LBB17_1126:
	s_or_b64 exec, exec, s[6:7]
	s_and_saveexec_b64 s[6:7], s[4:5]
	s_cbranch_execz .LBB17_1128
.LBB17_1127:
	v_and_b32_e32 v11, 7, v13
	v_ffbh_u32_e32 v14, v11
	v_min_u32_e32 v14, 32, v14
	v_lshrrev_b16_e32 v12, 3, v13
	v_subrev_u32_e32 v15, 28, v14
	v_and_b32_e32 v12, 15, v12
	v_lshlrev_b32_e32 v15, v15, v13
	v_sub_u32_e32 v14, 29, v14
	v_and_b32_e32 v15, 7, v15
	v_cmp_eq_u16_e32 vcc, 0, v12
	v_cndmask_b32_e32 v11, v11, v15, vcc
	v_cndmask_b32_e32 v12, v12, v14, vcc
	v_lshlrev_b32_e32 v14, 24, v13
	v_mov_b32_e32 v15, 0x3b800000
	v_lshlrev_b32_e32 v11, 20, v11
	v_and_b32_e32 v14, 0x80000000, v14
	v_lshl_add_u32 v12, v12, 23, v15
	v_or3_b32 v11, v14, v12, v11
.LBB17_1128:
	s_or_b64 exec, exec, s[6:7]
	s_nop 0
	v_mfma_f32_16x16x4f32 a[0:3], v10, v11, a[0:3]
	v_lshrrev_b32_e32 v11, 8, v17
	s_movk_i32 s4, 0x7f
	v_cmp_gt_i16_sdwa s[6:7], v11, s4 src0_sel:BYTE_0 src1_sel:DWORD
	s_mov_b64 s[4:5], 0
                                        ; implicit-def: $sgpr10
	s_and_saveexec_b64 s[8:9], s[6:7]
	s_xor_b64 s[6:7], exec, s[8:9]
	s_cbranch_execnz .LBB17_3177
; %bb.1129:
	s_or_saveexec_b64 s[6:7], s[6:7]
	v_mov_b32_e32 v10, s10
	s_xor_b64 exec, exec, s[6:7]
	s_cbranch_execnz .LBB17_3180
.LBB17_1130:
	s_or_b64 exec, exec, s[6:7]
	s_and_saveexec_b64 s[6:7], s[4:5]
	s_cbranch_execz .LBB17_1132
.LBB17_1131:
	v_bfe_u32 v10, v17, 8, 3
	v_ffbh_u32_e32 v14, v10
	v_min_u32_e32 v14, 32, v14
	v_lshrrev_b16_e32 v12, 3, v11
	v_subrev_u32_e32 v15, 28, v14
	v_and_b32_e32 v12, 15, v12
	v_lshlrev_b32_e32 v11, v15, v11
	v_sub_u32_e32 v14, 29, v14
	v_and_b32_e32 v11, 7, v11
	v_cmp_eq_u16_e32 vcc, 0, v12
	v_cndmask_b32_e32 v10, v10, v11, vcc
	v_cndmask_b32_e32 v11, v12, v14, vcc
	v_lshlrev_b32_e32 v12, 16, v17
	v_mov_b32_e32 v14, 0x3b800000
	v_lshlrev_b32_e32 v10, 20, v10
	v_and_b32_e32 v12, 0x80000000, v12
	v_lshl_add_u32 v11, v11, 23, v14
	v_or3_b32 v10, v12, v11, v10
.LBB17_1132:
	s_or_b64 exec, exec, s[6:7]
	v_lshrrev_b32_e32 v11, 8, v13
	s_movk_i32 s4, 0x7f
	v_cmp_gt_i16_sdwa s[6:7], v11, s4 src0_sel:BYTE_0 src1_sel:DWORD
	s_mov_b64 s[4:5], 0
                                        ; implicit-def: $sgpr10
	s_and_saveexec_b64 s[8:9], s[6:7]
	s_xor_b64 s[6:7], exec, s[8:9]
	s_cbranch_execnz .LBB17_3181
; %bb.1133:
	s_or_saveexec_b64 s[6:7], s[6:7]
	v_mov_b32_e32 v12, s10
	s_xor_b64 exec, exec, s[6:7]
	s_cbranch_execnz .LBB17_3184
.LBB17_1134:
	s_or_b64 exec, exec, s[6:7]
	s_and_saveexec_b64 s[6:7], s[4:5]
	s_cbranch_execz .LBB17_1136
.LBB17_1135:
	v_bfe_u32 v12, v13, 8, 3
	v_ffbh_u32_e32 v15, v12
	v_min_u32_e32 v15, 32, v15
	v_lshrrev_b16_e32 v14, 3, v11
	v_subrev_u32_e32 v16, 28, v15
	v_and_b32_e32 v14, 15, v14
	v_lshlrev_b32_e32 v11, v16, v11
	v_sub_u32_e32 v15, 29, v15
	v_and_b32_e32 v11, 7, v11
	v_cmp_eq_u16_e32 vcc, 0, v14
	v_cndmask_b32_e32 v11, v12, v11, vcc
	v_cndmask_b32_e32 v12, v14, v15, vcc
	v_lshlrev_b32_e32 v14, 16, v13
	v_mov_b32_e32 v15, 0x3b800000
	v_lshlrev_b32_e32 v11, 20, v11
	v_and_b32_e32 v14, 0x80000000, v14
	v_lshl_add_u32 v12, v12, 23, v15
	v_or3_b32 v12, v14, v12, v11
.LBB17_1136:
	s_or_b64 exec, exec, s[6:7]
	s_nop 0
	v_mfma_f32_16x16x4f32 a[0:3], v10, v12, a[0:3]
	s_movk_i32 s4, 0xff
	v_and_b32_sdwa v11, v17, s4 dst_sel:DWORD dst_unused:UNUSED_PAD src0_sel:WORD_1 src1_sel:DWORD
	s_movk_i32 s4, 0x7f
	v_cmp_lt_i16_e32 vcc, s4, v11
	s_mov_b64 s[4:5], 0
                                        ; implicit-def: $sgpr10
	s_and_saveexec_b64 s[6:7], vcc
	s_xor_b64 s[6:7], exec, s[6:7]
	s_cbranch_execnz .LBB17_3185
; %bb.1137:
	s_or_saveexec_b64 s[6:7], s[6:7]
	v_mov_b32_e32 v10, s10
	s_xor_b64 exec, exec, s[6:7]
	s_cbranch_execnz .LBB17_3188
.LBB17_1138:
	s_or_b64 exec, exec, s[6:7]
	s_and_saveexec_b64 s[6:7], s[4:5]
	s_cbranch_execz .LBB17_1140
.LBB17_1139:
	v_bfe_u32 v10, v17, 16, 3
	v_ffbh_u32_e32 v14, v10
	v_min_u32_e32 v14, 32, v14
	v_lshrrev_b32_e32 v11, 19, v17
	v_subrev_u32_e32 v15, 28, v14
	v_and_b32_e32 v11, 15, v11
	v_lshlrev_b32_sdwa v15, v15, v17 dst_sel:DWORD dst_unused:UNUSED_PAD src0_sel:DWORD src1_sel:WORD_1
	v_bfe_u32 v12, v17, 19, 4
	v_sub_u32_e32 v14, 29, v14
	v_and_b32_e32 v15, 7, v15
	v_cmp_eq_u16_e32 vcc, 0, v11
	v_cndmask_b32_e32 v10, v10, v15, vcc
	v_cndmask_b32_e32 v11, v12, v14, vcc
	v_lshlrev_b32_e32 v12, 8, v17
	v_mov_b32_e32 v14, 0x3b800000
	v_lshlrev_b32_e32 v10, 20, v10
	v_and_b32_e32 v12, 0x80000000, v12
	v_lshl_add_u32 v11, v11, 23, v14
	v_or3_b32 v10, v12, v11, v10
.LBB17_1140:
	s_or_b64 exec, exec, s[6:7]
	s_movk_i32 s4, 0xff
	v_and_b32_sdwa v11, v13, s4 dst_sel:DWORD dst_unused:UNUSED_PAD src0_sel:WORD_1 src1_sel:DWORD
	s_movk_i32 s4, 0x7f
	v_cmp_lt_i16_e32 vcc, s4, v11
	s_mov_b64 s[4:5], 0
                                        ; implicit-def: $sgpr10
	s_and_saveexec_b64 s[6:7], vcc
	s_xor_b64 s[6:7], exec, s[6:7]
	s_cbranch_execnz .LBB17_3189
; %bb.1141:
	s_or_saveexec_b64 s[6:7], s[6:7]
	v_mov_b32_e32 v12, s10
	s_xor_b64 exec, exec, s[6:7]
	s_cbranch_execnz .LBB17_3192
.LBB17_1142:
	s_or_b64 exec, exec, s[6:7]
	s_and_saveexec_b64 s[6:7], s[4:5]
	s_cbranch_execz .LBB17_1144
.LBB17_1143:
	v_bfe_u32 v11, v13, 16, 3
	v_ffbh_u32_e32 v15, v11
	v_min_u32_e32 v15, 32, v15
	v_lshrrev_b32_e32 v12, 19, v13
	v_subrev_u32_e32 v16, 28, v15
	v_and_b32_e32 v12, 15, v12
	v_lshlrev_b32_sdwa v16, v16, v13 dst_sel:DWORD dst_unused:UNUSED_PAD src0_sel:DWORD src1_sel:WORD_1
	v_bfe_u32 v14, v13, 19, 4
	v_sub_u32_e32 v15, 29, v15
	v_and_b32_e32 v16, 7, v16
	v_cmp_eq_u16_e32 vcc, 0, v12
	v_cndmask_b32_e32 v11, v11, v16, vcc
	v_cndmask_b32_e32 v12, v14, v15, vcc
	v_lshlrev_b32_e32 v14, 8, v13
	v_mov_b32_e32 v15, 0x3b800000
	v_lshlrev_b32_e32 v11, 20, v11
	v_and_b32_e32 v14, 0x80000000, v14
	v_lshl_add_u32 v12, v12, 23, v15
	v_or3_b32 v12, v14, v12, v11
.LBB17_1144:
	s_or_b64 exec, exec, s[6:7]
	s_nop 0
	v_mfma_f32_16x16x4f32 a[0:3], v10, v12, a[0:3]
	s_movk_i32 s4, 0x7f
	v_cmp_gt_i16_sdwa s[6:7], v17, s4 src0_sel:BYTE_3 src1_sel:DWORD
	s_mov_b64 s[4:5], 0
                                        ; implicit-def: $sgpr10
	s_and_saveexec_b64 s[8:9], s[6:7]
	s_xor_b64 s[6:7], exec, s[8:9]
	s_cbranch_execnz .LBB17_3193
; %bb.1145:
	s_or_saveexec_b64 s[6:7], s[6:7]
	v_mov_b32_e32 v10, s10
	s_xor_b64 exec, exec, s[6:7]
	s_cbranch_execnz .LBB17_3196
.LBB17_1146:
	s_or_b64 exec, exec, s[6:7]
	s_and_saveexec_b64 s[6:7], s[4:5]
	s_cbranch_execz .LBB17_1148
.LBB17_1147:
	v_bfe_u32 v10, v17, 24, 3
	v_ffbh_u32_e32 v15, v10
	v_min_u32_e32 v15, 32, v15
	v_lshrrev_b32_e32 v12, 27, v17
	v_subrev_u32_e32 v16, 28, v15
	v_and_b32_e32 v12, 15, v12
	v_lshlrev_b32_sdwa v16, v16, v17 dst_sel:DWORD dst_unused:UNUSED_PAD src0_sel:DWORD src1_sel:BYTE_3
	v_bfe_u32 v14, v17, 27, 4
	v_sub_u32_e32 v15, 29, v15
	v_and_b32_e32 v16, 7, v16
	v_cmp_eq_u16_e32 vcc, 0, v12
	v_cndmask_b32_e32 v10, v10, v16, vcc
	v_cndmask_b32_e32 v12, v14, v15, vcc
	v_mov_b32_e32 v14, 0x3b800000
	v_and_b32_e32 v11, 0x80000000, v17
	v_lshlrev_b32_e32 v10, 20, v10
	v_lshl_add_u32 v12, v12, 23, v14
	v_or3_b32 v10, v11, v12, v10
.LBB17_1148:
	s_or_b64 exec, exec, s[6:7]
	s_movk_i32 s4, 0x7f
	v_cmp_gt_i16_sdwa s[6:7], v13, s4 src0_sel:BYTE_3 src1_sel:DWORD
	s_mov_b64 s[4:5], 0
                                        ; implicit-def: $sgpr10
	s_and_saveexec_b64 s[8:9], s[6:7]
	s_xor_b64 s[6:7], exec, s[8:9]
	s_cbranch_execnz .LBB17_3197
; %bb.1149:
	s_or_saveexec_b64 s[6:7], s[6:7]
	v_mov_b32_e32 v11, s10
	s_xor_b64 exec, exec, s[6:7]
	s_cbranch_execnz .LBB17_3200
.LBB17_1150:
	s_or_b64 exec, exec, s[6:7]
	s_and_saveexec_b64 s[6:7], s[4:5]
	s_cbranch_execz .LBB17_1152
.LBB17_1151:
	v_bfe_u32 v11, v13, 24, 3
	v_ffbh_u32_e32 v16, v11
	v_min_u32_e32 v16, 32, v16
	v_lshrrev_b32_e32 v14, 27, v13
	v_subrev_u32_e32 v17, 28, v16
	v_and_b32_e32 v12, 0x80000000, v13
	v_and_b32_e32 v14, 15, v14
	v_bfe_u32 v15, v13, 27, 4
	v_lshlrev_b32_sdwa v13, v17, v13 dst_sel:DWORD dst_unused:UNUSED_PAD src0_sel:DWORD src1_sel:BYTE_3
	v_sub_u32_e32 v16, 29, v16
	v_and_b32_e32 v13, 7, v13
	v_cmp_eq_u16_e32 vcc, 0, v14
	v_cndmask_b32_e32 v11, v11, v13, vcc
	v_cndmask_b32_e32 v13, v15, v16, vcc
	v_mov_b32_e32 v14, 0x3b800000
	v_lshlrev_b32_e32 v11, 20, v11
	v_lshl_add_u32 v13, v13, 23, v14
	v_or3_b32 v11, v12, v13, v11
.LBB17_1152:
	s_or_b64 exec, exec, s[6:7]
	s_nop 0
	v_mfma_f32_16x16x4f32 a[0:3], v10, v11, a[0:3]
	s_movk_i32 s4, 0x7f
	v_cmp_gt_i16_sdwa s[6:7], v6, s4 src0_sel:BYTE_0 src1_sel:DWORD
	s_mov_b64 s[4:5], 0
                                        ; implicit-def: $sgpr10
	s_and_saveexec_b64 s[8:9], s[6:7]
	s_xor_b64 s[6:7], exec, s[8:9]
	s_cbranch_execnz .LBB17_3201
; %bb.1153:
	s_or_saveexec_b64 s[6:7], s[6:7]
	v_mov_b32_e32 v10, s10
	s_xor_b64 exec, exec, s[6:7]
	s_cbranch_execnz .LBB17_3204
.LBB17_1154:
	s_or_b64 exec, exec, s[6:7]
	s_and_saveexec_b64 s[6:7], s[4:5]
	s_cbranch_execz .LBB17_1156
.LBB17_1155:
	v_and_b32_e32 v10, 7, v6
	v_ffbh_u32_e32 v12, v10
	v_min_u32_e32 v12, 32, v12
	v_lshrrev_b16_e32 v11, 3, v6
	v_subrev_u32_e32 v13, 28, v12
	v_and_b32_e32 v11, 15, v11
	v_lshlrev_b32_e32 v13, v13, v6
	v_sub_u32_e32 v12, 29, v12
	v_and_b32_e32 v13, 7, v13
	v_cmp_eq_u16_e32 vcc, 0, v11
	v_cndmask_b32_e32 v10, v10, v13, vcc
	v_cndmask_b32_e32 v11, v11, v12, vcc
	v_lshlrev_b32_e32 v12, 24, v6
	v_mov_b32_e32 v13, 0x3b800000
	v_lshlrev_b32_e32 v10, 20, v10
	v_and_b32_e32 v12, 0x80000000, v12
	v_lshl_add_u32 v11, v11, 23, v13
	v_or3_b32 v10, v12, v11, v10
.LBB17_1156:
	s_or_b64 exec, exec, s[6:7]
	s_movk_i32 s4, 0x7f
	v_cmp_gt_i16_sdwa s[6:7], v2, s4 src0_sel:BYTE_0 src1_sel:DWORD
	s_mov_b64 s[4:5], 0
                                        ; implicit-def: $sgpr10
	s_and_saveexec_b64 s[8:9], s[6:7]
	s_xor_b64 s[6:7], exec, s[8:9]
	s_cbranch_execnz .LBB17_3205
; %bb.1157:
	s_or_saveexec_b64 s[6:7], s[6:7]
	v_mov_b32_e32 v11, s10
	s_xor_b64 exec, exec, s[6:7]
	s_cbranch_execnz .LBB17_3208
.LBB17_1158:
	s_or_b64 exec, exec, s[6:7]
	s_and_saveexec_b64 s[6:7], s[4:5]
	s_cbranch_execz .LBB17_1160
.LBB17_1159:
	v_and_b32_e32 v11, 7, v2
	v_ffbh_u32_e32 v13, v11
	v_min_u32_e32 v13, 32, v13
	v_lshrrev_b16_e32 v12, 3, v2
	v_subrev_u32_e32 v14, 28, v13
	v_and_b32_e32 v12, 15, v12
	v_lshlrev_b32_e32 v14, v14, v2
	v_sub_u32_e32 v13, 29, v13
	v_and_b32_e32 v14, 7, v14
	v_cmp_eq_u16_e32 vcc, 0, v12
	v_cndmask_b32_e32 v11, v11, v14, vcc
	v_cndmask_b32_e32 v12, v12, v13, vcc
	v_lshlrev_b32_e32 v13, 24, v2
	v_mov_b32_e32 v14, 0x3b800000
	v_lshlrev_b32_e32 v11, 20, v11
	v_and_b32_e32 v13, 0x80000000, v13
	v_lshl_add_u32 v12, v12, 23, v14
	v_or3_b32 v11, v13, v12, v11
.LBB17_1160:
	s_or_b64 exec, exec, s[6:7]
	s_nop 0
	v_mfma_f32_16x16x4f32 a[0:3], v10, v11, a[0:3]
	v_lshrrev_b32_e32 v11, 8, v6
	s_movk_i32 s4, 0x7f
	v_cmp_gt_i16_sdwa s[6:7], v11, s4 src0_sel:BYTE_0 src1_sel:DWORD
	s_mov_b64 s[4:5], 0
                                        ; implicit-def: $sgpr10
	s_and_saveexec_b64 s[8:9], s[6:7]
	s_xor_b64 s[6:7], exec, s[8:9]
	s_cbranch_execnz .LBB17_3209
; %bb.1161:
	s_or_saveexec_b64 s[6:7], s[6:7]
	v_mov_b32_e32 v10, s10
	s_xor_b64 exec, exec, s[6:7]
	s_cbranch_execnz .LBB17_3212
.LBB17_1162:
	s_or_b64 exec, exec, s[6:7]
	s_and_saveexec_b64 s[6:7], s[4:5]
	s_cbranch_execz .LBB17_1164
.LBB17_1163:
	v_bfe_u32 v10, v6, 8, 3
	v_ffbh_u32_e32 v13, v10
	v_min_u32_e32 v13, 32, v13
	v_lshrrev_b16_e32 v12, 3, v11
	v_subrev_u32_e32 v14, 28, v13
	v_and_b32_e32 v12, 15, v12
	v_lshlrev_b32_e32 v11, v14, v11
	v_sub_u32_e32 v13, 29, v13
	v_and_b32_e32 v11, 7, v11
	v_cmp_eq_u16_e32 vcc, 0, v12
	v_cndmask_b32_e32 v10, v10, v11, vcc
	v_cndmask_b32_e32 v11, v12, v13, vcc
	v_lshlrev_b32_e32 v12, 16, v6
	v_mov_b32_e32 v13, 0x3b800000
	v_lshlrev_b32_e32 v10, 20, v10
	v_and_b32_e32 v12, 0x80000000, v12
	v_lshl_add_u32 v11, v11, 23, v13
	v_or3_b32 v10, v12, v11, v10
.LBB17_1164:
	s_or_b64 exec, exec, s[6:7]
	v_lshrrev_b32_e32 v11, 8, v2
	s_movk_i32 s4, 0x7f
	v_cmp_gt_i16_sdwa s[6:7], v11, s4 src0_sel:BYTE_0 src1_sel:DWORD
	s_mov_b64 s[4:5], 0
                                        ; implicit-def: $sgpr10
	s_and_saveexec_b64 s[8:9], s[6:7]
	s_xor_b64 s[6:7], exec, s[8:9]
	s_cbranch_execnz .LBB17_3213
; %bb.1165:
	s_or_saveexec_b64 s[6:7], s[6:7]
	v_mov_b32_e32 v12, s10
	s_xor_b64 exec, exec, s[6:7]
	s_cbranch_execnz .LBB17_3216
.LBB17_1166:
	s_or_b64 exec, exec, s[6:7]
	s_and_saveexec_b64 s[6:7], s[4:5]
	s_cbranch_execz .LBB17_1168
.LBB17_1167:
	v_bfe_u32 v12, v2, 8, 3
	v_ffbh_u32_e32 v14, v12
	v_min_u32_e32 v14, 32, v14
	v_lshrrev_b16_e32 v13, 3, v11
	v_subrev_u32_e32 v15, 28, v14
	v_and_b32_e32 v13, 15, v13
	v_lshlrev_b32_e32 v11, v15, v11
	v_sub_u32_e32 v14, 29, v14
	v_and_b32_e32 v11, 7, v11
	v_cmp_eq_u16_e32 vcc, 0, v13
	v_cndmask_b32_e32 v11, v12, v11, vcc
	v_cndmask_b32_e32 v12, v13, v14, vcc
	v_lshlrev_b32_e32 v13, 16, v2
	v_mov_b32_e32 v14, 0x3b800000
	v_lshlrev_b32_e32 v11, 20, v11
	v_and_b32_e32 v13, 0x80000000, v13
	v_lshl_add_u32 v12, v12, 23, v14
	v_or3_b32 v12, v13, v12, v11
.LBB17_1168:
	s_or_b64 exec, exec, s[6:7]
	s_nop 0
	v_mfma_f32_16x16x4f32 a[0:3], v10, v12, a[0:3]
	s_movk_i32 s4, 0xff
	v_and_b32_sdwa v11, v6, s4 dst_sel:DWORD dst_unused:UNUSED_PAD src0_sel:WORD_1 src1_sel:DWORD
	s_movk_i32 s4, 0x7f
	v_cmp_lt_i16_e32 vcc, s4, v11
	s_mov_b64 s[4:5], 0
                                        ; implicit-def: $sgpr10
	s_and_saveexec_b64 s[6:7], vcc
	s_xor_b64 s[6:7], exec, s[6:7]
	s_cbranch_execnz .LBB17_3217
; %bb.1169:
	s_or_saveexec_b64 s[6:7], s[6:7]
	v_mov_b32_e32 v10, s10
	s_xor_b64 exec, exec, s[6:7]
	s_cbranch_execnz .LBB17_3220
.LBB17_1170:
	s_or_b64 exec, exec, s[6:7]
	s_and_saveexec_b64 s[6:7], s[4:5]
	s_cbranch_execz .LBB17_1172
.LBB17_1171:
	v_bfe_u32 v10, v6, 16, 3
	v_ffbh_u32_e32 v13, v10
	v_min_u32_e32 v13, 32, v13
	v_lshrrev_b32_e32 v11, 19, v6
	v_subrev_u32_e32 v14, 28, v13
	v_and_b32_e32 v11, 15, v11
	v_lshlrev_b32_sdwa v14, v14, v6 dst_sel:DWORD dst_unused:UNUSED_PAD src0_sel:DWORD src1_sel:WORD_1
	v_bfe_u32 v12, v6, 19, 4
	v_sub_u32_e32 v13, 29, v13
	v_and_b32_e32 v14, 7, v14
	v_cmp_eq_u16_e32 vcc, 0, v11
	v_cndmask_b32_e32 v10, v10, v14, vcc
	v_cndmask_b32_e32 v11, v12, v13, vcc
	v_lshlrev_b32_e32 v12, 8, v6
	v_mov_b32_e32 v13, 0x3b800000
	v_lshlrev_b32_e32 v10, 20, v10
	v_and_b32_e32 v12, 0x80000000, v12
	v_lshl_add_u32 v11, v11, 23, v13
	v_or3_b32 v10, v12, v11, v10
.LBB17_1172:
	s_or_b64 exec, exec, s[6:7]
	s_movk_i32 s4, 0xff
	v_and_b32_sdwa v11, v2, s4 dst_sel:DWORD dst_unused:UNUSED_PAD src0_sel:WORD_1 src1_sel:DWORD
	s_movk_i32 s4, 0x7f
	v_cmp_lt_i16_e32 vcc, s4, v11
	s_mov_b64 s[4:5], 0
                                        ; implicit-def: $sgpr10
	s_and_saveexec_b64 s[6:7], vcc
	s_xor_b64 s[6:7], exec, s[6:7]
	s_cbranch_execnz .LBB17_3221
; %bb.1173:
	s_or_saveexec_b64 s[6:7], s[6:7]
	v_mov_b32_e32 v12, s10
	s_xor_b64 exec, exec, s[6:7]
	s_cbranch_execnz .LBB17_3224
.LBB17_1174:
	s_or_b64 exec, exec, s[6:7]
	s_and_saveexec_b64 s[6:7], s[4:5]
	s_cbranch_execz .LBB17_1176
.LBB17_1175:
	v_bfe_u32 v11, v2, 16, 3
	v_ffbh_u32_e32 v14, v11
	v_min_u32_e32 v14, 32, v14
	v_lshrrev_b32_e32 v12, 19, v2
	v_subrev_u32_e32 v15, 28, v14
	v_and_b32_e32 v12, 15, v12
	v_lshlrev_b32_sdwa v15, v15, v2 dst_sel:DWORD dst_unused:UNUSED_PAD src0_sel:DWORD src1_sel:WORD_1
	v_bfe_u32 v13, v2, 19, 4
	v_sub_u32_e32 v14, 29, v14
	v_and_b32_e32 v15, 7, v15
	v_cmp_eq_u16_e32 vcc, 0, v12
	v_cndmask_b32_e32 v11, v11, v15, vcc
	v_cndmask_b32_e32 v12, v13, v14, vcc
	v_lshlrev_b32_e32 v13, 8, v2
	v_mov_b32_e32 v14, 0x3b800000
	v_lshlrev_b32_e32 v11, 20, v11
	v_and_b32_e32 v13, 0x80000000, v13
	v_lshl_add_u32 v12, v12, 23, v14
	v_or3_b32 v12, v13, v12, v11
.LBB17_1176:
	s_or_b64 exec, exec, s[6:7]
	s_nop 0
	v_mfma_f32_16x16x4f32 a[0:3], v10, v12, a[0:3]
	s_movk_i32 s4, 0x7f
	v_cmp_gt_i16_sdwa s[6:7], v6, s4 src0_sel:BYTE_3 src1_sel:DWORD
	s_mov_b64 s[4:5], 0
                                        ; implicit-def: $sgpr10
	s_and_saveexec_b64 s[8:9], s[6:7]
	s_xor_b64 s[6:7], exec, s[8:9]
	s_cbranch_execnz .LBB17_3225
; %bb.1177:
	s_or_saveexec_b64 s[6:7], s[6:7]
	v_mov_b32_e32 v10, s10
	s_xor_b64 exec, exec, s[6:7]
	s_cbranch_execnz .LBB17_3228
.LBB17_1178:
	s_or_b64 exec, exec, s[6:7]
	s_and_saveexec_b64 s[6:7], s[4:5]
	s_cbranch_execz .LBB17_1180
.LBB17_1179:
	v_bfe_u32 v10, v6, 24, 3
	v_ffbh_u32_e32 v14, v10
	v_min_u32_e32 v14, 32, v14
	v_lshrrev_b32_e32 v12, 27, v6
	v_subrev_u32_e32 v15, 28, v14
	v_and_b32_e32 v11, 0x80000000, v6
	v_and_b32_e32 v12, 15, v12
	v_bfe_u32 v13, v6, 27, 4
	v_lshlrev_b32_sdwa v6, v15, v6 dst_sel:DWORD dst_unused:UNUSED_PAD src0_sel:DWORD src1_sel:BYTE_3
	v_sub_u32_e32 v14, 29, v14
	v_and_b32_e32 v6, 7, v6
	v_cmp_eq_u16_e32 vcc, 0, v12
	v_cndmask_b32_e32 v6, v10, v6, vcc
	v_cndmask_b32_e32 v10, v13, v14, vcc
	v_mov_b32_e32 v12, 0x3b800000
	v_lshlrev_b32_e32 v6, 20, v6
	v_lshl_add_u32 v10, v10, 23, v12
	v_or3_b32 v10, v11, v10, v6
.LBB17_1180:
	s_or_b64 exec, exec, s[6:7]
	s_movk_i32 s4, 0x7f
	v_cmp_gt_i16_sdwa s[6:7], v2, s4 src0_sel:BYTE_3 src1_sel:DWORD
	s_mov_b64 s[4:5], 0
                                        ; implicit-def: $sgpr10
	s_and_saveexec_b64 s[8:9], s[6:7]
	s_xor_b64 s[6:7], exec, s[8:9]
	s_cbranch_execnz .LBB17_3229
; %bb.1181:
	s_or_saveexec_b64 s[6:7], s[6:7]
	v_mov_b32_e32 v6, s10
	s_xor_b64 exec, exec, s[6:7]
	s_cbranch_execnz .LBB17_3232
.LBB17_1182:
	s_or_b64 exec, exec, s[6:7]
	s_and_saveexec_b64 s[6:7], s[4:5]
	s_cbranch_execz .LBB17_1184
.LBB17_1183:
	v_bfe_u32 v6, v2, 24, 3
	v_ffbh_u32_e32 v14, v6
	v_min_u32_e32 v14, 32, v14
	v_lshrrev_b32_e32 v12, 27, v2
	v_subrev_u32_e32 v15, 28, v14
	v_and_b32_e32 v11, 0x80000000, v2
	v_and_b32_e32 v12, 15, v12
	v_bfe_u32 v13, v2, 27, 4
	v_lshlrev_b32_sdwa v2, v15, v2 dst_sel:DWORD dst_unused:UNUSED_PAD src0_sel:DWORD src1_sel:BYTE_3
	v_sub_u32_e32 v14, 29, v14
	v_and_b32_e32 v2, 7, v2
	v_cmp_eq_u16_e32 vcc, 0, v12
	v_cndmask_b32_e32 v2, v6, v2, vcc
	v_cndmask_b32_e32 v6, v13, v14, vcc
	v_mov_b32_e32 v12, 0x3b800000
	v_lshlrev_b32_e32 v2, 20, v2
	v_lshl_add_u32 v6, v6, 23, v12
	v_or3_b32 v6, v11, v6, v2
.LBB17_1184:
	s_or_b64 exec, exec, s[6:7]
	s_nop 0
	v_mfma_f32_16x16x4f32 a[0:3], v10, v6, a[0:3]
	s_movk_i32 s4, 0x7f
	v_cmp_gt_i16_sdwa s[6:7], v7, s4 src0_sel:BYTE_0 src1_sel:DWORD
	s_mov_b64 s[4:5], 0
                                        ; implicit-def: $sgpr10
	s_and_saveexec_b64 s[8:9], s[6:7]
	s_xor_b64 s[6:7], exec, s[8:9]
	s_cbranch_execnz .LBB17_3233
; %bb.1185:
	s_or_saveexec_b64 s[6:7], s[6:7]
	v_mov_b32_e32 v2, s10
	s_xor_b64 exec, exec, s[6:7]
	s_cbranch_execnz .LBB17_3236
.LBB17_1186:
	s_or_b64 exec, exec, s[6:7]
	s_and_saveexec_b64 s[6:7], s[4:5]
	s_cbranch_execz .LBB17_1188
.LBB17_1187:
	v_and_b32_e32 v2, 7, v7
	v_ffbh_u32_e32 v10, v2
	v_min_u32_e32 v10, 32, v10
	v_lshrrev_b16_e32 v6, 3, v7
	v_subrev_u32_e32 v11, 28, v10
	v_and_b32_e32 v6, 15, v6
	v_lshlrev_b32_e32 v11, v11, v7
	v_sub_u32_e32 v10, 29, v10
	v_and_b32_e32 v11, 7, v11
	v_cmp_eq_u16_e32 vcc, 0, v6
	v_cndmask_b32_e32 v2, v2, v11, vcc
	v_cndmask_b32_e32 v6, v6, v10, vcc
	v_lshlrev_b32_e32 v10, 24, v7
	v_mov_b32_e32 v11, 0x3b800000
	v_lshlrev_b32_e32 v2, 20, v2
	v_and_b32_e32 v10, 0x80000000, v10
	v_lshl_add_u32 v6, v6, 23, v11
	v_or3_b32 v2, v10, v6, v2
.LBB17_1188:
	s_or_b64 exec, exec, s[6:7]
	s_movk_i32 s4, 0x7f
	v_cmp_gt_i16_sdwa s[6:7], v3, s4 src0_sel:BYTE_0 src1_sel:DWORD
	s_mov_b64 s[4:5], 0
                                        ; implicit-def: $sgpr10
	s_and_saveexec_b64 s[8:9], s[6:7]
	s_xor_b64 s[6:7], exec, s[8:9]
	s_cbranch_execnz .LBB17_3237
; %bb.1189:
	s_or_saveexec_b64 s[6:7], s[6:7]
	v_mov_b32_e32 v6, s10
	s_xor_b64 exec, exec, s[6:7]
	s_cbranch_execnz .LBB17_3240
.LBB17_1190:
	s_or_b64 exec, exec, s[6:7]
	s_and_saveexec_b64 s[6:7], s[4:5]
	s_cbranch_execz .LBB17_1192
.LBB17_1191:
	v_and_b32_e32 v6, 7, v3
	v_ffbh_u32_e32 v11, v6
	v_min_u32_e32 v11, 32, v11
	v_lshrrev_b16_e32 v10, 3, v3
	v_subrev_u32_e32 v12, 28, v11
	v_and_b32_e32 v10, 15, v10
	v_lshlrev_b32_e32 v12, v12, v3
	v_sub_u32_e32 v11, 29, v11
	v_and_b32_e32 v12, 7, v12
	v_cmp_eq_u16_e32 vcc, 0, v10
	v_cndmask_b32_e32 v6, v6, v12, vcc
	v_cndmask_b32_e32 v10, v10, v11, vcc
	v_lshlrev_b32_e32 v11, 24, v3
	v_mov_b32_e32 v12, 0x3b800000
	v_lshlrev_b32_e32 v6, 20, v6
	v_and_b32_e32 v11, 0x80000000, v11
	v_lshl_add_u32 v10, v10, 23, v12
	v_or3_b32 v6, v11, v10, v6
.LBB17_1192:
	s_or_b64 exec, exec, s[6:7]
	s_nop 0
	v_mfma_f32_16x16x4f32 a[0:3], v2, v6, a[0:3]
	v_lshrrev_b32_e32 v6, 8, v7
	s_movk_i32 s4, 0x7f
	v_cmp_gt_i16_sdwa s[6:7], v6, s4 src0_sel:BYTE_0 src1_sel:DWORD
	s_mov_b64 s[4:5], 0
                                        ; implicit-def: $sgpr10
	s_and_saveexec_b64 s[8:9], s[6:7]
	s_xor_b64 s[6:7], exec, s[8:9]
	s_cbranch_execnz .LBB17_3241
; %bb.1193:
	s_or_saveexec_b64 s[6:7], s[6:7]
	v_mov_b32_e32 v2, s10
	s_xor_b64 exec, exec, s[6:7]
	s_cbranch_execnz .LBB17_3244
.LBB17_1194:
	s_or_b64 exec, exec, s[6:7]
	s_and_saveexec_b64 s[6:7], s[4:5]
	s_cbranch_execz .LBB17_1196
.LBB17_1195:
	v_bfe_u32 v2, v7, 8, 3
	v_ffbh_u32_e32 v11, v2
	v_min_u32_e32 v11, 32, v11
	v_lshrrev_b16_e32 v10, 3, v6
	v_subrev_u32_e32 v12, 28, v11
	v_and_b32_e32 v10, 15, v10
	v_lshlrev_b32_e32 v6, v12, v6
	v_sub_u32_e32 v11, 29, v11
	v_and_b32_e32 v6, 7, v6
	v_cmp_eq_u16_e32 vcc, 0, v10
	v_cndmask_b32_e32 v2, v2, v6, vcc
	v_cndmask_b32_e32 v6, v10, v11, vcc
	v_lshlrev_b32_e32 v10, 16, v7
	v_mov_b32_e32 v11, 0x3b800000
	v_lshlrev_b32_e32 v2, 20, v2
	v_and_b32_e32 v10, 0x80000000, v10
	v_lshl_add_u32 v6, v6, 23, v11
	v_or3_b32 v2, v10, v6, v2
.LBB17_1196:
	s_or_b64 exec, exec, s[6:7]
	v_lshrrev_b32_e32 v6, 8, v3
	s_movk_i32 s4, 0x7f
	v_cmp_gt_i16_sdwa s[6:7], v6, s4 src0_sel:BYTE_0 src1_sel:DWORD
	s_mov_b64 s[4:5], 0
                                        ; implicit-def: $sgpr10
	s_and_saveexec_b64 s[8:9], s[6:7]
	s_xor_b64 s[6:7], exec, s[8:9]
	s_cbranch_execnz .LBB17_3245
; %bb.1197:
	s_or_saveexec_b64 s[6:7], s[6:7]
	v_mov_b32_e32 v10, s10
	s_xor_b64 exec, exec, s[6:7]
	s_cbranch_execnz .LBB17_3248
.LBB17_1198:
	s_or_b64 exec, exec, s[6:7]
	s_and_saveexec_b64 s[6:7], s[4:5]
	s_cbranch_execz .LBB17_1200
.LBB17_1199:
	v_bfe_u32 v10, v3, 8, 3
	v_ffbh_u32_e32 v12, v10
	v_min_u32_e32 v12, 32, v12
	v_lshrrev_b16_e32 v11, 3, v6
	v_subrev_u32_e32 v13, 28, v12
	v_and_b32_e32 v11, 15, v11
	v_lshlrev_b32_e32 v6, v13, v6
	v_sub_u32_e32 v12, 29, v12
	v_and_b32_e32 v6, 7, v6
	v_cmp_eq_u16_e32 vcc, 0, v11
	v_cndmask_b32_e32 v6, v10, v6, vcc
	v_cndmask_b32_e32 v10, v11, v12, vcc
	v_lshlrev_b32_e32 v11, 16, v3
	v_mov_b32_e32 v12, 0x3b800000
	v_lshlrev_b32_e32 v6, 20, v6
	v_and_b32_e32 v11, 0x80000000, v11
	v_lshl_add_u32 v10, v10, 23, v12
	v_or3_b32 v10, v11, v10, v6
.LBB17_1200:
	s_or_b64 exec, exec, s[6:7]
	s_nop 0
	v_mfma_f32_16x16x4f32 a[0:3], v2, v10, a[0:3]
	s_movk_i32 s4, 0xff
	v_and_b32_sdwa v6, v7, s4 dst_sel:DWORD dst_unused:UNUSED_PAD src0_sel:WORD_1 src1_sel:DWORD
	s_movk_i32 s4, 0x7f
	v_cmp_lt_i16_e32 vcc, s4, v6
	s_mov_b64 s[4:5], 0
                                        ; implicit-def: $sgpr10
	s_and_saveexec_b64 s[6:7], vcc
	s_xor_b64 s[6:7], exec, s[6:7]
	s_cbranch_execnz .LBB17_3249
; %bb.1201:
	s_or_saveexec_b64 s[6:7], s[6:7]
	v_mov_b32_e32 v2, s10
	s_xor_b64 exec, exec, s[6:7]
	s_cbranch_execnz .LBB17_3252
.LBB17_1202:
	s_or_b64 exec, exec, s[6:7]
	s_and_saveexec_b64 s[6:7], s[4:5]
	s_cbranch_execz .LBB17_1204
.LBB17_1203:
	v_bfe_u32 v2, v7, 16, 3
	v_ffbh_u32_e32 v11, v2
	v_min_u32_e32 v11, 32, v11
	v_lshrrev_b32_e32 v6, 19, v7
	v_subrev_u32_e32 v12, 28, v11
	v_and_b32_e32 v6, 15, v6
	v_lshlrev_b32_sdwa v12, v12, v7 dst_sel:DWORD dst_unused:UNUSED_PAD src0_sel:DWORD src1_sel:WORD_1
	v_bfe_u32 v10, v7, 19, 4
	v_sub_u32_e32 v11, 29, v11
	v_and_b32_e32 v12, 7, v12
	v_cmp_eq_u16_e32 vcc, 0, v6
	v_cndmask_b32_e32 v2, v2, v12, vcc
	v_cndmask_b32_e32 v6, v10, v11, vcc
	v_lshlrev_b32_e32 v10, 8, v7
	v_mov_b32_e32 v11, 0x3b800000
	v_lshlrev_b32_e32 v2, 20, v2
	v_and_b32_e32 v10, 0x80000000, v10
	v_lshl_add_u32 v6, v6, 23, v11
	v_or3_b32 v2, v10, v6, v2
.LBB17_1204:
	s_or_b64 exec, exec, s[6:7]
	s_movk_i32 s4, 0xff
	v_and_b32_sdwa v6, v3, s4 dst_sel:DWORD dst_unused:UNUSED_PAD src0_sel:WORD_1 src1_sel:DWORD
	s_movk_i32 s4, 0x7f
	v_cmp_lt_i16_e32 vcc, s4, v6
	s_mov_b64 s[4:5], 0
                                        ; implicit-def: $sgpr10
	s_and_saveexec_b64 s[6:7], vcc
	s_xor_b64 s[6:7], exec, s[6:7]
	s_cbranch_execnz .LBB17_3253
; %bb.1205:
	s_or_saveexec_b64 s[6:7], s[6:7]
	v_mov_b32_e32 v10, s10
	s_xor_b64 exec, exec, s[6:7]
	s_cbranch_execnz .LBB17_3256
.LBB17_1206:
	s_or_b64 exec, exec, s[6:7]
	s_and_saveexec_b64 s[6:7], s[4:5]
	s_cbranch_execz .LBB17_1208
.LBB17_1207:
	v_bfe_u32 v6, v3, 16, 3
	v_ffbh_u32_e32 v12, v6
	v_min_u32_e32 v12, 32, v12
	v_lshrrev_b32_e32 v10, 19, v3
	v_subrev_u32_e32 v13, 28, v12
	v_and_b32_e32 v10, 15, v10
	v_lshlrev_b32_sdwa v13, v13, v3 dst_sel:DWORD dst_unused:UNUSED_PAD src0_sel:DWORD src1_sel:WORD_1
	v_bfe_u32 v11, v3, 19, 4
	v_sub_u32_e32 v12, 29, v12
	v_and_b32_e32 v13, 7, v13
	v_cmp_eq_u16_e32 vcc, 0, v10
	v_cndmask_b32_e32 v6, v6, v13, vcc
	v_cndmask_b32_e32 v10, v11, v12, vcc
	v_lshlrev_b32_e32 v11, 8, v3
	v_mov_b32_e32 v12, 0x3b800000
	v_lshlrev_b32_e32 v6, 20, v6
	v_and_b32_e32 v11, 0x80000000, v11
	v_lshl_add_u32 v10, v10, 23, v12
	v_or3_b32 v10, v11, v10, v6
.LBB17_1208:
	s_or_b64 exec, exec, s[6:7]
	s_nop 0
	v_mfma_f32_16x16x4f32 a[0:3], v2, v10, a[0:3]
	s_movk_i32 s4, 0x7f
	v_cmp_gt_i16_sdwa s[6:7], v7, s4 src0_sel:BYTE_3 src1_sel:DWORD
	s_mov_b64 s[4:5], 0
                                        ; implicit-def: $sgpr10
	s_and_saveexec_b64 s[8:9], s[6:7]
	s_xor_b64 s[6:7], exec, s[8:9]
	s_cbranch_execnz .LBB17_3257
; %bb.1209:
	s_or_saveexec_b64 s[6:7], s[6:7]
	v_mov_b32_e32 v2, s10
	s_xor_b64 exec, exec, s[6:7]
	s_cbranch_execnz .LBB17_3260
.LBB17_1210:
	s_or_b64 exec, exec, s[6:7]
	s_and_saveexec_b64 s[6:7], s[4:5]
	s_cbranch_execz .LBB17_1212
.LBB17_1211:
	v_bfe_u32 v2, v7, 24, 3
	v_ffbh_u32_e32 v12, v2
	v_min_u32_e32 v12, 32, v12
	v_lshrrev_b32_e32 v10, 27, v7
	v_subrev_u32_e32 v13, 28, v12
	v_and_b32_e32 v6, 0x80000000, v7
	v_and_b32_e32 v10, 15, v10
	v_bfe_u32 v11, v7, 27, 4
	v_lshlrev_b32_sdwa v7, v13, v7 dst_sel:DWORD dst_unused:UNUSED_PAD src0_sel:DWORD src1_sel:BYTE_3
	v_sub_u32_e32 v12, 29, v12
	v_and_b32_e32 v7, 7, v7
	v_cmp_eq_u16_e32 vcc, 0, v10
	v_cndmask_b32_e32 v2, v2, v7, vcc
	v_cndmask_b32_e32 v7, v11, v12, vcc
	v_mov_b32_e32 v10, 0x3b800000
	v_lshlrev_b32_e32 v2, 20, v2
	v_lshl_add_u32 v7, v7, 23, v10
	v_or3_b32 v2, v6, v7, v2
.LBB17_1212:
	s_or_b64 exec, exec, s[6:7]
	s_movk_i32 s4, 0x7f
	v_cmp_gt_i16_sdwa s[6:7], v3, s4 src0_sel:BYTE_3 src1_sel:DWORD
	s_mov_b64 s[4:5], 0
                                        ; implicit-def: $sgpr10
	s_and_saveexec_b64 s[8:9], s[6:7]
	s_xor_b64 s[6:7], exec, s[8:9]
	s_cbranch_execnz .LBB17_3261
; %bb.1213:
	s_or_saveexec_b64 s[6:7], s[6:7]
	v_mov_b32_e32 v6, s10
	s_xor_b64 exec, exec, s[6:7]
	s_cbranch_execnz .LBB17_3264
.LBB17_1214:
	s_or_b64 exec, exec, s[6:7]
	s_and_saveexec_b64 s[6:7], s[4:5]
	s_cbranch_execz .LBB17_1216
.LBB17_1215:
	v_bfe_u32 v6, v3, 24, 3
	v_ffbh_u32_e32 v12, v6
	v_min_u32_e32 v12, 32, v12
	v_lshrrev_b32_e32 v10, 27, v3
	v_subrev_u32_e32 v13, 28, v12
	v_and_b32_e32 v7, 0x80000000, v3
	v_and_b32_e32 v10, 15, v10
	v_bfe_u32 v11, v3, 27, 4
	v_lshlrev_b32_sdwa v3, v13, v3 dst_sel:DWORD dst_unused:UNUSED_PAD src0_sel:DWORD src1_sel:BYTE_3
	v_sub_u32_e32 v12, 29, v12
	v_and_b32_e32 v3, 7, v3
	v_cmp_eq_u16_e32 vcc, 0, v10
	v_cndmask_b32_e32 v3, v6, v3, vcc
	v_cndmask_b32_e32 v6, v11, v12, vcc
	v_mov_b32_e32 v10, 0x3b800000
	v_lshlrev_b32_e32 v3, 20, v3
	v_lshl_add_u32 v6, v6, 23, v10
	v_or3_b32 v6, v7, v6, v3
.LBB17_1216:
	s_or_b64 exec, exec, s[6:7]
	s_nop 0
	v_mfma_f32_16x16x4f32 a[0:3], v2, v6, a[0:3]
	s_movk_i32 s4, 0x7f
	v_cmp_gt_i16_sdwa s[6:7], v8, s4 src0_sel:BYTE_0 src1_sel:DWORD
	s_mov_b64 s[4:5], 0
                                        ; implicit-def: $sgpr10
	s_and_saveexec_b64 s[8:9], s[6:7]
	s_xor_b64 s[6:7], exec, s[8:9]
	s_cbranch_execnz .LBB17_3265
; %bb.1217:
	s_or_saveexec_b64 s[6:7], s[6:7]
	v_mov_b32_e32 v2, s10
	s_xor_b64 exec, exec, s[6:7]
	s_cbranch_execnz .LBB17_3268
.LBB17_1218:
	s_or_b64 exec, exec, s[6:7]
	s_and_saveexec_b64 s[6:7], s[4:5]
	s_cbranch_execz .LBB17_1220
.LBB17_1219:
	v_and_b32_e32 v2, 7, v8
	v_ffbh_u32_e32 v6, v2
	v_min_u32_e32 v6, 32, v6
	v_lshrrev_b16_e32 v3, 3, v8
	v_subrev_u32_e32 v7, 28, v6
	v_and_b32_e32 v3, 15, v3
	v_lshlrev_b32_e32 v7, v7, v8
	v_sub_u32_e32 v6, 29, v6
	v_and_b32_e32 v7, 7, v7
	v_cmp_eq_u16_e32 vcc, 0, v3
	v_cndmask_b32_e32 v2, v2, v7, vcc
	v_cndmask_b32_e32 v3, v3, v6, vcc
	v_lshlrev_b32_e32 v6, 24, v8
	v_mov_b32_e32 v7, 0x3b800000
	v_lshlrev_b32_e32 v2, 20, v2
	v_and_b32_e32 v6, 0x80000000, v6
	v_lshl_add_u32 v3, v3, 23, v7
	v_or3_b32 v2, v6, v3, v2
.LBB17_1220:
	s_or_b64 exec, exec, s[6:7]
	s_movk_i32 s4, 0x7f
	v_cmp_gt_i16_sdwa s[6:7], v4, s4 src0_sel:BYTE_0 src1_sel:DWORD
	s_mov_b64 s[4:5], 0
                                        ; implicit-def: $sgpr10
	s_and_saveexec_b64 s[8:9], s[6:7]
	s_xor_b64 s[6:7], exec, s[8:9]
	s_cbranch_execnz .LBB17_3269
; %bb.1221:
	s_or_saveexec_b64 s[6:7], s[6:7]
	v_mov_b32_e32 v3, s10
	s_xor_b64 exec, exec, s[6:7]
	s_cbranch_execnz .LBB17_3272
.LBB17_1222:
	s_or_b64 exec, exec, s[6:7]
	s_and_saveexec_b64 s[6:7], s[4:5]
	s_cbranch_execz .LBB17_1224
.LBB17_1223:
	v_and_b32_e32 v3, 7, v4
	v_ffbh_u32_e32 v7, v3
	v_min_u32_e32 v7, 32, v7
	v_lshrrev_b16_e32 v6, 3, v4
	v_subrev_u32_e32 v10, 28, v7
	v_and_b32_e32 v6, 15, v6
	v_lshlrev_b32_e32 v10, v10, v4
	v_sub_u32_e32 v7, 29, v7
	v_and_b32_e32 v10, 7, v10
	v_cmp_eq_u16_e32 vcc, 0, v6
	v_cndmask_b32_e32 v3, v3, v10, vcc
	v_cndmask_b32_e32 v6, v6, v7, vcc
	v_lshlrev_b32_e32 v7, 24, v4
	v_mov_b32_e32 v10, 0x3b800000
	v_lshlrev_b32_e32 v3, 20, v3
	v_and_b32_e32 v7, 0x80000000, v7
	v_lshl_add_u32 v6, v6, 23, v10
	v_or3_b32 v3, v7, v6, v3
.LBB17_1224:
	s_or_b64 exec, exec, s[6:7]
	s_nop 0
	v_mfma_f32_16x16x4f32 a[0:3], v2, v3, a[0:3]
	v_lshrrev_b32_e32 v3, 8, v8
	s_movk_i32 s4, 0x7f
	v_cmp_gt_i16_sdwa s[6:7], v3, s4 src0_sel:BYTE_0 src1_sel:DWORD
	s_mov_b64 s[4:5], 0
                                        ; implicit-def: $sgpr10
	s_and_saveexec_b64 s[8:9], s[6:7]
	s_xor_b64 s[6:7], exec, s[8:9]
	s_cbranch_execnz .LBB17_3273
; %bb.1225:
	s_or_saveexec_b64 s[6:7], s[6:7]
	v_mov_b32_e32 v2, s10
	s_xor_b64 exec, exec, s[6:7]
	s_cbranch_execnz .LBB17_3276
.LBB17_1226:
	s_or_b64 exec, exec, s[6:7]
	s_and_saveexec_b64 s[6:7], s[4:5]
	s_cbranch_execz .LBB17_1228
.LBB17_1227:
	v_bfe_u32 v2, v8, 8, 3
	v_ffbh_u32_e32 v7, v2
	v_min_u32_e32 v7, 32, v7
	v_lshrrev_b16_e32 v6, 3, v3
	v_subrev_u32_e32 v10, 28, v7
	v_and_b32_e32 v6, 15, v6
	v_lshlrev_b32_e32 v3, v10, v3
	v_sub_u32_e32 v7, 29, v7
	v_and_b32_e32 v3, 7, v3
	v_cmp_eq_u16_e32 vcc, 0, v6
	v_cndmask_b32_e32 v2, v2, v3, vcc
	v_cndmask_b32_e32 v3, v6, v7, vcc
	v_lshlrev_b32_e32 v6, 16, v8
	v_mov_b32_e32 v7, 0x3b800000
	v_lshlrev_b32_e32 v2, 20, v2
	v_and_b32_e32 v6, 0x80000000, v6
	v_lshl_add_u32 v3, v3, 23, v7
	v_or3_b32 v2, v6, v3, v2
.LBB17_1228:
	s_or_b64 exec, exec, s[6:7]
	v_lshrrev_b32_e32 v3, 8, v4
	s_movk_i32 s4, 0x7f
	v_cmp_gt_i16_sdwa s[6:7], v3, s4 src0_sel:BYTE_0 src1_sel:DWORD
	s_mov_b64 s[4:5], 0
                                        ; implicit-def: $sgpr10
	s_and_saveexec_b64 s[8:9], s[6:7]
	s_xor_b64 s[6:7], exec, s[8:9]
	s_cbranch_execnz .LBB17_3277
; %bb.1229:
	s_or_saveexec_b64 s[6:7], s[6:7]
	v_mov_b32_e32 v6, s10
	s_xor_b64 exec, exec, s[6:7]
	s_cbranch_execnz .LBB17_3280
.LBB17_1230:
	s_or_b64 exec, exec, s[6:7]
	s_and_saveexec_b64 s[6:7], s[4:5]
	s_cbranch_execz .LBB17_1232
.LBB17_1231:
	v_bfe_u32 v6, v4, 8, 3
	v_ffbh_u32_e32 v10, v6
	v_min_u32_e32 v10, 32, v10
	v_lshrrev_b16_e32 v7, 3, v3
	v_subrev_u32_e32 v11, 28, v10
	v_and_b32_e32 v7, 15, v7
	v_lshlrev_b32_e32 v3, v11, v3
	v_sub_u32_e32 v10, 29, v10
	v_and_b32_e32 v3, 7, v3
	v_cmp_eq_u16_e32 vcc, 0, v7
	v_cndmask_b32_e32 v3, v6, v3, vcc
	v_cndmask_b32_e32 v6, v7, v10, vcc
	v_lshlrev_b32_e32 v7, 16, v4
	v_mov_b32_e32 v10, 0x3b800000
	v_lshlrev_b32_e32 v3, 20, v3
	v_and_b32_e32 v7, 0x80000000, v7
	v_lshl_add_u32 v6, v6, 23, v10
	v_or3_b32 v6, v7, v6, v3
.LBB17_1232:
	s_or_b64 exec, exec, s[6:7]
	s_nop 0
	v_mfma_f32_16x16x4f32 a[0:3], v2, v6, a[0:3]
	s_movk_i32 s4, 0xff
	v_and_b32_sdwa v3, v8, s4 dst_sel:DWORD dst_unused:UNUSED_PAD src0_sel:WORD_1 src1_sel:DWORD
	s_movk_i32 s4, 0x7f
	v_cmp_lt_i16_e32 vcc, s4, v3
	s_mov_b64 s[4:5], 0
                                        ; implicit-def: $sgpr10
	s_and_saveexec_b64 s[6:7], vcc
	s_xor_b64 s[6:7], exec, s[6:7]
	s_cbranch_execnz .LBB17_3281
; %bb.1233:
	s_or_saveexec_b64 s[6:7], s[6:7]
	v_mov_b32_e32 v2, s10
	s_xor_b64 exec, exec, s[6:7]
	s_cbranch_execnz .LBB17_3284
.LBB17_1234:
	s_or_b64 exec, exec, s[6:7]
	s_and_saveexec_b64 s[6:7], s[4:5]
	s_cbranch_execz .LBB17_1236
.LBB17_1235:
	v_bfe_u32 v2, v8, 16, 3
	v_ffbh_u32_e32 v7, v2
	v_min_u32_e32 v7, 32, v7
	v_lshrrev_b32_e32 v3, 19, v8
	v_subrev_u32_e32 v10, 28, v7
	v_and_b32_e32 v3, 15, v3
	v_lshlrev_b32_sdwa v10, v10, v8 dst_sel:DWORD dst_unused:UNUSED_PAD src0_sel:DWORD src1_sel:WORD_1
	v_bfe_u32 v6, v8, 19, 4
	v_sub_u32_e32 v7, 29, v7
	v_and_b32_e32 v10, 7, v10
	v_cmp_eq_u16_e32 vcc, 0, v3
	v_cndmask_b32_e32 v2, v2, v10, vcc
	v_cndmask_b32_e32 v3, v6, v7, vcc
	v_lshlrev_b32_e32 v6, 8, v8
	v_mov_b32_e32 v7, 0x3b800000
	v_lshlrev_b32_e32 v2, 20, v2
	v_and_b32_e32 v6, 0x80000000, v6
	v_lshl_add_u32 v3, v3, 23, v7
	v_or3_b32 v2, v6, v3, v2
.LBB17_1236:
	s_or_b64 exec, exec, s[6:7]
	s_movk_i32 s4, 0xff
	v_and_b32_sdwa v3, v4, s4 dst_sel:DWORD dst_unused:UNUSED_PAD src0_sel:WORD_1 src1_sel:DWORD
	s_movk_i32 s4, 0x7f
	v_cmp_lt_i16_e32 vcc, s4, v3
	s_mov_b64 s[4:5], 0
                                        ; implicit-def: $sgpr10
	s_and_saveexec_b64 s[6:7], vcc
	s_xor_b64 s[6:7], exec, s[6:7]
	s_cbranch_execnz .LBB17_3285
; %bb.1237:
	s_or_saveexec_b64 s[6:7], s[6:7]
	v_mov_b32_e32 v6, s10
	s_xor_b64 exec, exec, s[6:7]
	s_cbranch_execnz .LBB17_3288
.LBB17_1238:
	s_or_b64 exec, exec, s[6:7]
	s_and_saveexec_b64 s[6:7], s[4:5]
	s_cbranch_execz .LBB17_1240
.LBB17_1239:
	v_bfe_u32 v3, v4, 16, 3
	v_ffbh_u32_e32 v10, v3
	v_min_u32_e32 v10, 32, v10
	v_lshrrev_b32_e32 v6, 19, v4
	v_subrev_u32_e32 v11, 28, v10
	v_and_b32_e32 v6, 15, v6
	v_lshlrev_b32_sdwa v11, v11, v4 dst_sel:DWORD dst_unused:UNUSED_PAD src0_sel:DWORD src1_sel:WORD_1
	v_bfe_u32 v7, v4, 19, 4
	v_sub_u32_e32 v10, 29, v10
	v_and_b32_e32 v11, 7, v11
	v_cmp_eq_u16_e32 vcc, 0, v6
	v_cndmask_b32_e32 v3, v3, v11, vcc
	v_cndmask_b32_e32 v6, v7, v10, vcc
	v_lshlrev_b32_e32 v7, 8, v4
	v_mov_b32_e32 v10, 0x3b800000
	v_lshlrev_b32_e32 v3, 20, v3
	v_and_b32_e32 v7, 0x80000000, v7
	v_lshl_add_u32 v6, v6, 23, v10
	v_or3_b32 v6, v7, v6, v3
.LBB17_1240:
	s_or_b64 exec, exec, s[6:7]
	s_nop 0
	v_mfma_f32_16x16x4f32 a[0:3], v2, v6, a[0:3]
	s_movk_i32 s4, 0x7f
	v_cmp_gt_i16_sdwa s[6:7], v8, s4 src0_sel:BYTE_3 src1_sel:DWORD
	s_mov_b64 s[4:5], 0
                                        ; implicit-def: $sgpr10
	s_and_saveexec_b64 s[8:9], s[6:7]
	s_xor_b64 s[6:7], exec, s[8:9]
	s_cbranch_execnz .LBB17_3289
; %bb.1241:
	s_or_saveexec_b64 s[6:7], s[6:7]
	v_mov_b32_e32 v2, s10
	s_xor_b64 exec, exec, s[6:7]
	s_cbranch_execnz .LBB17_3292
.LBB17_1242:
	s_or_b64 exec, exec, s[6:7]
	s_and_saveexec_b64 s[6:7], s[4:5]
	s_cbranch_execz .LBB17_1244
.LBB17_1243:
	v_bfe_u32 v2, v8, 24, 3
	v_ffbh_u32_e32 v10, v2
	v_min_u32_e32 v10, 32, v10
	v_lshrrev_b32_e32 v6, 27, v8
	v_subrev_u32_e32 v11, 28, v10
	v_and_b32_e32 v3, 0x80000000, v8
	v_and_b32_e32 v6, 15, v6
	v_bfe_u32 v7, v8, 27, 4
	v_lshlrev_b32_sdwa v8, v11, v8 dst_sel:DWORD dst_unused:UNUSED_PAD src0_sel:DWORD src1_sel:BYTE_3
	v_sub_u32_e32 v10, 29, v10
	v_and_b32_e32 v8, 7, v8
	v_cmp_eq_u16_e32 vcc, 0, v6
	v_cndmask_b32_e32 v2, v2, v8, vcc
	v_cndmask_b32_e32 v6, v7, v10, vcc
	v_mov_b32_e32 v7, 0x3b800000
	v_lshlrev_b32_e32 v2, 20, v2
	v_lshl_add_u32 v6, v6, 23, v7
	v_or3_b32 v2, v3, v6, v2
.LBB17_1244:
	s_or_b64 exec, exec, s[6:7]
	s_movk_i32 s4, 0x7f
	v_cmp_gt_i16_sdwa s[6:7], v4, s4 src0_sel:BYTE_3 src1_sel:DWORD
	s_mov_b64 s[4:5], 0
                                        ; implicit-def: $sgpr10
	s_and_saveexec_b64 s[8:9], s[6:7]
	s_xor_b64 s[6:7], exec, s[8:9]
	s_cbranch_execnz .LBB17_3293
; %bb.1245:
	s_or_saveexec_b64 s[6:7], s[6:7]
	v_mov_b32_e32 v3, s10
	s_xor_b64 exec, exec, s[6:7]
	s_cbranch_execnz .LBB17_3296
.LBB17_1246:
	s_or_b64 exec, exec, s[6:7]
	s_and_saveexec_b64 s[6:7], s[4:5]
	s_cbranch_execz .LBB17_1248
.LBB17_1247:
	v_bfe_u32 v3, v4, 24, 3
	v_ffbh_u32_e32 v10, v3
	v_min_u32_e32 v10, 32, v10
	v_lshrrev_b32_e32 v7, 27, v4
	v_subrev_u32_e32 v11, 28, v10
	v_and_b32_e32 v6, 0x80000000, v4
	v_and_b32_e32 v7, 15, v7
	v_bfe_u32 v8, v4, 27, 4
	v_lshlrev_b32_sdwa v4, v11, v4 dst_sel:DWORD dst_unused:UNUSED_PAD src0_sel:DWORD src1_sel:BYTE_3
	v_sub_u32_e32 v10, 29, v10
	v_and_b32_e32 v4, 7, v4
	v_cmp_eq_u16_e32 vcc, 0, v7
	v_cndmask_b32_e32 v3, v3, v4, vcc
	v_cndmask_b32_e32 v4, v8, v10, vcc
	v_mov_b32_e32 v7, 0x3b800000
	v_lshlrev_b32_e32 v3, 20, v3
	v_lshl_add_u32 v4, v4, 23, v7
	v_or3_b32 v3, v6, v4, v3
.LBB17_1248:
	s_or_b64 exec, exec, s[6:7]
	s_nop 0
	v_mfma_f32_16x16x4f32 a[0:3], v2, v3, a[0:3]
	s_movk_i32 s4, 0x7f
	v_cmp_gt_i16_sdwa s[6:7], v9, s4 src0_sel:BYTE_0 src1_sel:DWORD
	s_mov_b64 s[4:5], 0
                                        ; implicit-def: $sgpr10
	s_and_saveexec_b64 s[8:9], s[6:7]
	s_xor_b64 s[6:7], exec, s[8:9]
	s_cbranch_execnz .LBB17_3297
; %bb.1249:
	s_or_saveexec_b64 s[6:7], s[6:7]
	v_mov_b32_e32 v2, s10
	s_xor_b64 exec, exec, s[6:7]
	s_cbranch_execnz .LBB17_3300
.LBB17_1250:
	s_or_b64 exec, exec, s[6:7]
	s_and_saveexec_b64 s[6:7], s[4:5]
	s_cbranch_execz .LBB17_1252
.LBB17_1251:
	v_mov_b32_e32 v2, 8
	v_and_b32_e32 v3, 7, v9
	v_lshrrev_b32_sdwa v2, v2, v9 dst_sel:BYTE_1 dst_unused:UNUSED_PAD src0_sel:DWORD src1_sel:DWORD
	v_ffbh_u32_e32 v4, v3
	v_or_b32_sdwa v2, v9, v2 dst_sel:DWORD dst_unused:UNUSED_PAD src0_sel:BYTE_0 src1_sel:DWORD
	v_min_u32_e32 v4, 32, v4
	v_lshrrev_b16_e32 v2, 3, v2
	v_subrev_u32_e32 v6, 28, v4
	v_and_b32_e32 v2, 15, v2
	v_lshlrev_b32_e32 v6, v6, v9
	v_sub_u32_e32 v4, 29, v4
	v_and_b32_e32 v6, 7, v6
	v_cmp_eq_u16_e32 vcc, 0, v2
	v_cndmask_b32_e32 v3, v3, v6, vcc
	v_cndmask_b32_e32 v2, v2, v4, vcc
	v_lshlrev_b32_e32 v4, 24, v9
	v_mov_b32_e32 v6, 0x3b800000
	v_lshlrev_b32_e32 v3, 20, v3
	v_and_b32_e32 v4, 0x80000000, v4
	v_lshl_add_u32 v2, v2, 23, v6
	v_or3_b32 v2, v4, v2, v3
.LBB17_1252:
	s_or_b64 exec, exec, s[6:7]
	s_movk_i32 s4, 0x7f
	v_cmp_gt_i16_sdwa s[6:7], v5, s4 src0_sel:BYTE_0 src1_sel:DWORD
	s_mov_b64 s[4:5], 0
                                        ; implicit-def: $sgpr10
	s_and_saveexec_b64 s[8:9], s[6:7]
	s_xor_b64 s[6:7], exec, s[8:9]
	s_cbranch_execnz .LBB17_3301
; %bb.1253:
	s_or_saveexec_b64 s[6:7], s[6:7]
	v_mov_b32_e32 v3, s10
	s_xor_b64 exec, exec, s[6:7]
	s_cbranch_execnz .LBB17_3304
.LBB17_1254:
	s_or_b64 exec, exec, s[6:7]
	s_and_saveexec_b64 s[6:7], s[4:5]
	s_cbranch_execz .LBB17_1256
.LBB17_1255:
	v_mov_b32_e32 v3, 8
	v_and_b32_e32 v4, 7, v5
	v_lshrrev_b32_sdwa v3, v3, v5 dst_sel:BYTE_1 dst_unused:UNUSED_PAD src0_sel:DWORD src1_sel:DWORD
	v_ffbh_u32_e32 v6, v4
	v_or_b32_sdwa v3, v5, v3 dst_sel:DWORD dst_unused:UNUSED_PAD src0_sel:BYTE_0 src1_sel:DWORD
	v_min_u32_e32 v6, 32, v6
	v_lshrrev_b16_e32 v3, 3, v3
	v_subrev_u32_e32 v7, 28, v6
	v_and_b32_e32 v3, 15, v3
	v_lshlrev_b32_e32 v7, v7, v5
	v_sub_u32_e32 v6, 29, v6
	v_and_b32_e32 v7, 7, v7
	v_cmp_eq_u16_e32 vcc, 0, v3
	v_cndmask_b32_e32 v4, v4, v7, vcc
	v_cndmask_b32_e32 v3, v3, v6, vcc
	v_lshlrev_b32_e32 v6, 24, v5
	v_mov_b32_e32 v7, 0x3b800000
	v_lshlrev_b32_e32 v4, 20, v4
	v_and_b32_e32 v6, 0x80000000, v6
	v_lshl_add_u32 v3, v3, 23, v7
	v_or3_b32 v3, v6, v3, v4
.LBB17_1256:
	s_or_b64 exec, exec, s[6:7]
	s_nop 0
	v_mfma_f32_16x16x4f32 a[0:3], v2, v3, a[0:3]
	v_lshrrev_b32_e32 v3, 8, v9
	s_movk_i32 s4, 0x7f
	v_cmp_gt_i16_sdwa s[6:7], v3, s4 src0_sel:BYTE_0 src1_sel:DWORD
	s_mov_b64 s[4:5], 0
                                        ; implicit-def: $sgpr10
	s_and_saveexec_b64 s[8:9], s[6:7]
	s_xor_b64 s[6:7], exec, s[8:9]
	s_cbranch_execnz .LBB17_3305
; %bb.1257:
	s_or_saveexec_b64 s[6:7], s[6:7]
	v_mov_b32_e32 v2, s10
	s_xor_b64 exec, exec, s[6:7]
	s_cbranch_execnz .LBB17_3308
.LBB17_1258:
	s_or_b64 exec, exec, s[6:7]
	s_and_saveexec_b64 s[6:7], s[4:5]
	s_cbranch_execz .LBB17_1260
.LBB17_1259:
	v_bfe_u32 v2, v9, 8, 3
	v_ffbh_u32_e32 v6, v2
	v_min_u32_e32 v6, 32, v6
	v_lshrrev_b16_e32 v4, 3, v3
	v_subrev_u32_e32 v7, 28, v6
	v_and_b32_e32 v4, 15, v4
	v_lshlrev_b32_e32 v3, v7, v3
	v_sub_u32_e32 v6, 29, v6
	v_and_b32_e32 v3, 7, v3
	v_cmp_eq_u16_e32 vcc, 0, v4
	v_cndmask_b32_e32 v2, v2, v3, vcc
	v_cndmask_b32_e32 v3, v4, v6, vcc
	v_lshlrev_b32_e32 v4, 16, v9
	v_mov_b32_e32 v6, 0x3b800000
	v_lshlrev_b32_e32 v2, 20, v2
	v_and_b32_e32 v4, 0x80000000, v4
	v_lshl_add_u32 v3, v3, 23, v6
	v_or3_b32 v2, v4, v3, v2
.LBB17_1260:
	s_or_b64 exec, exec, s[6:7]
	v_lshrrev_b32_e32 v3, 8, v5
	s_movk_i32 s4, 0x7f
	v_cmp_gt_i16_sdwa s[6:7], v3, s4 src0_sel:BYTE_0 src1_sel:DWORD
	s_mov_b64 s[4:5], 0
                                        ; implicit-def: $sgpr10
	s_and_saveexec_b64 s[8:9], s[6:7]
	s_xor_b64 s[6:7], exec, s[8:9]
	s_cbranch_execnz .LBB17_3309
; %bb.1261:
	s_or_saveexec_b64 s[6:7], s[6:7]
	v_mov_b32_e32 v4, s10
	s_xor_b64 exec, exec, s[6:7]
	s_cbranch_execnz .LBB17_3312
.LBB17_1262:
	s_or_b64 exec, exec, s[6:7]
	s_and_saveexec_b64 s[6:7], s[4:5]
	s_cbranch_execz .LBB17_1264
.LBB17_1263:
	v_bfe_u32 v4, v5, 8, 3
	v_ffbh_u32_e32 v7, v4
	v_min_u32_e32 v7, 32, v7
	v_lshrrev_b16_e32 v6, 3, v3
	v_subrev_u32_e32 v8, 28, v7
	v_and_b32_e32 v6, 15, v6
	v_lshlrev_b32_e32 v3, v8, v3
	v_sub_u32_e32 v7, 29, v7
	v_and_b32_e32 v3, 7, v3
	v_cmp_eq_u16_e32 vcc, 0, v6
	v_cndmask_b32_e32 v3, v4, v3, vcc
	v_cndmask_b32_e32 v4, v6, v7, vcc
	v_lshlrev_b32_e32 v6, 16, v5
	v_mov_b32_e32 v7, 0x3b800000
	v_lshlrev_b32_e32 v3, 20, v3
	v_and_b32_e32 v6, 0x80000000, v6
	v_lshl_add_u32 v4, v4, 23, v7
	v_or3_b32 v4, v6, v4, v3
.LBB17_1264:
	s_or_b64 exec, exec, s[6:7]
	s_nop 0
	v_mfma_f32_16x16x4f32 a[0:3], v2, v4, a[0:3]
	s_movk_i32 s4, 0xff
	v_and_b32_sdwa v3, v9, s4 dst_sel:DWORD dst_unused:UNUSED_PAD src0_sel:WORD_1 src1_sel:DWORD
	s_movk_i32 s4, 0x7f
	v_cmp_lt_i16_e32 vcc, s4, v3
	s_mov_b64 s[4:5], 0
                                        ; implicit-def: $sgpr10
	s_and_saveexec_b64 s[6:7], vcc
	s_xor_b64 s[6:7], exec, s[6:7]
	s_cbranch_execnz .LBB17_3313
; %bb.1265:
	s_or_saveexec_b64 s[6:7], s[6:7]
	v_mov_b32_e32 v2, s10
	s_xor_b64 exec, exec, s[6:7]
	s_cbranch_execnz .LBB17_3316
.LBB17_1266:
	s_or_b64 exec, exec, s[6:7]
	s_and_saveexec_b64 s[6:7], s[4:5]
	s_cbranch_execz .LBB17_1268
.LBB17_1267:
	v_bfe_u32 v2, v9, 16, 3
	v_ffbh_u32_e32 v6, v2
	v_min_u32_e32 v6, 32, v6
	v_lshrrev_b32_e32 v3, 19, v9
	v_subrev_u32_e32 v7, 28, v6
	v_and_b32_e32 v3, 15, v3
	v_lshlrev_b32_sdwa v7, v7, v9 dst_sel:DWORD dst_unused:UNUSED_PAD src0_sel:DWORD src1_sel:WORD_1
	v_bfe_u32 v4, v9, 19, 4
	v_sub_u32_e32 v6, 29, v6
	v_and_b32_e32 v7, 7, v7
	v_cmp_eq_u16_e32 vcc, 0, v3
	v_cndmask_b32_e32 v2, v2, v7, vcc
	v_cndmask_b32_e32 v3, v4, v6, vcc
	v_lshlrev_b32_e32 v4, 8, v9
	v_mov_b32_e32 v6, 0x3b800000
	v_lshlrev_b32_e32 v2, 20, v2
	v_and_b32_e32 v4, 0x80000000, v4
	v_lshl_add_u32 v3, v3, 23, v6
	v_or3_b32 v2, v4, v3, v2
.LBB17_1268:
	s_or_b64 exec, exec, s[6:7]
	s_movk_i32 s4, 0xff
	v_and_b32_sdwa v3, v5, s4 dst_sel:DWORD dst_unused:UNUSED_PAD src0_sel:WORD_1 src1_sel:DWORD
	s_movk_i32 s4, 0x7f
	v_cmp_lt_i16_e32 vcc, s4, v3
	s_mov_b64 s[4:5], 0
                                        ; implicit-def: $sgpr10
	s_and_saveexec_b64 s[6:7], vcc
	s_xor_b64 s[6:7], exec, s[6:7]
	s_cbranch_execnz .LBB17_3317
; %bb.1269:
	s_or_saveexec_b64 s[6:7], s[6:7]
	v_mov_b32_e32 v4, s10
	s_xor_b64 exec, exec, s[6:7]
	s_cbranch_execnz .LBB17_3320
.LBB17_1270:
	s_or_b64 exec, exec, s[6:7]
	s_and_saveexec_b64 s[6:7], s[4:5]
	s_cbranch_execz .LBB17_1272
.LBB17_1271:
	v_bfe_u32 v3, v5, 16, 3
	v_ffbh_u32_e32 v7, v3
	v_min_u32_e32 v7, 32, v7
	v_lshrrev_b32_e32 v4, 19, v5
	v_subrev_u32_e32 v8, 28, v7
	v_and_b32_e32 v4, 15, v4
	v_lshlrev_b32_sdwa v8, v8, v5 dst_sel:DWORD dst_unused:UNUSED_PAD src0_sel:DWORD src1_sel:WORD_1
	v_bfe_u32 v6, v5, 19, 4
	v_sub_u32_e32 v7, 29, v7
	v_and_b32_e32 v8, 7, v8
	v_cmp_eq_u16_e32 vcc, 0, v4
	v_cndmask_b32_e32 v3, v3, v8, vcc
	v_cndmask_b32_e32 v4, v6, v7, vcc
	v_lshlrev_b32_e32 v6, 8, v5
	v_mov_b32_e32 v7, 0x3b800000
	v_lshlrev_b32_e32 v3, 20, v3
	v_and_b32_e32 v6, 0x80000000, v6
	v_lshl_add_u32 v4, v4, 23, v7
	v_or3_b32 v4, v6, v4, v3
.LBB17_1272:
	s_or_b64 exec, exec, s[6:7]
	s_nop 0
	v_mfma_f32_16x16x4f32 a[0:3], v2, v4, a[0:3]
	s_movk_i32 s4, 0x7f
	v_cmp_gt_i16_sdwa s[6:7], v9, s4 src0_sel:BYTE_3 src1_sel:DWORD
	s_mov_b64 s[4:5], 0
                                        ; implicit-def: $sgpr10
	s_and_saveexec_b64 s[8:9], s[6:7]
	s_xor_b64 s[6:7], exec, s[8:9]
	s_cbranch_execnz .LBB17_3321
; %bb.1273:
	s_or_saveexec_b64 s[6:7], s[6:7]
	v_mov_b32_e32 v2, s10
	s_xor_b64 exec, exec, s[6:7]
	s_cbranch_execnz .LBB17_3324
.LBB17_1274:
	s_or_b64 exec, exec, s[6:7]
	s_and_saveexec_b64 s[6:7], s[4:5]
	s_cbranch_execz .LBB17_1276
.LBB17_1275:
	v_bfe_u32 v2, v9, 24, 3
	v_ffbh_u32_e32 v7, v2
	v_min_u32_e32 v7, 32, v7
	v_lshrrev_b32_e32 v4, 27, v9
	v_subrev_u32_e32 v8, 28, v7
	v_and_b32_e32 v4, 15, v4
	v_lshlrev_b32_sdwa v8, v8, v9 dst_sel:DWORD dst_unused:UNUSED_PAD src0_sel:DWORD src1_sel:BYTE_3
	v_bfe_u32 v6, v9, 27, 4
	v_sub_u32_e32 v7, 29, v7
	v_and_b32_e32 v8, 7, v8
	v_cmp_eq_u16_e32 vcc, 0, v4
	v_cndmask_b32_e32 v2, v2, v8, vcc
	v_cndmask_b32_e32 v4, v6, v7, vcc
	v_mov_b32_e32 v6, 0x3b800000
	v_and_b32_e32 v3, 0x80000000, v9
	v_lshlrev_b32_e32 v2, 20, v2
	v_lshl_add_u32 v4, v4, 23, v6
	v_or3_b32 v2, v3, v4, v2
.LBB17_1276:
	s_or_b64 exec, exec, s[6:7]
	s_movk_i32 s4, 0x7f
	v_cmp_gt_i16_sdwa s[6:7], v5, s4 src0_sel:BYTE_3 src1_sel:DWORD
	s_mov_b64 s[4:5], 0
                                        ; implicit-def: $sgpr10
	s_and_saveexec_b64 s[8:9], s[6:7]
	s_xor_b64 s[6:7], exec, s[8:9]
	s_cbranch_execnz .LBB17_3325
; %bb.1277:
	s_or_saveexec_b64 s[6:7], s[6:7]
	v_mov_b32_e32 v3, s10
	s_xor_b64 exec, exec, s[6:7]
	s_cbranch_execnz .LBB17_3328
.LBB17_1278:
	s_or_b64 exec, exec, s[6:7]
	s_and_saveexec_b64 s[6:7], s[4:5]
	s_cbranch_execz .LBB17_1280
.LBB17_1279:
	v_bfe_u32 v3, v5, 24, 3
	v_ffbh_u32_e32 v8, v3
	v_min_u32_e32 v8, 32, v8
	v_lshrrev_b32_e32 v6, 27, v5
	v_subrev_u32_e32 v9, 28, v8
	v_and_b32_e32 v4, 0x80000000, v5
	v_and_b32_e32 v6, 15, v6
	v_bfe_u32 v7, v5, 27, 4
	v_lshlrev_b32_sdwa v5, v9, v5 dst_sel:DWORD dst_unused:UNUSED_PAD src0_sel:DWORD src1_sel:BYTE_3
	v_sub_u32_e32 v8, 29, v8
	v_and_b32_e32 v5, 7, v5
	v_cmp_eq_u16_e32 vcc, 0, v6
	v_cndmask_b32_e32 v3, v3, v5, vcc
	v_cndmask_b32_e32 v5, v7, v8, vcc
	v_mov_b32_e32 v6, 0x3b800000
	v_lshlrev_b32_e32 v3, 20, v3
	v_lshl_add_u32 v5, v5, 23, v6
	v_or3_b32 v3, v4, v5, v3
.LBB17_1280:
	s_or_b64 exec, exec, s[6:7]
	s_nop 0
	v_mfma_f32_16x16x4f32 a[0:3], v2, v3, a[0:3]
	s_movk_i32 s4, 0x7f
                                        ; implicit-def: $sgpr10
	s_nop 7
	s_nop 1
	flat_store_dwordx4 v[18:19], a[0:3] offset:960
	flat_load_dwordx4 v[20:23], v[0:1] offset:16
	s_nop 0
	flat_load_dwordx2 v[18:19], v[0:1] offset:32
	s_waitcnt vmcnt(0) lgkmcnt(0)
	flat_load_dwordx4 v[14:17], v[20:21] offset:32
	flat_load_dwordx4 v[6:9], v[20:21] offset:48
	;; [unrolled: 1-line block ×4, first 2 shown]
	s_waitcnt vmcnt(0) lgkmcnt(0)
	v_cmp_gt_i16_sdwa s[6:7], v14, s4 src0_sel:BYTE_0 src1_sel:DWORD
	s_mov_b64 s[4:5], 0
	s_and_saveexec_b64 s[8:9], s[6:7]
	s_xor_b64 s[6:7], exec, s[8:9]
	s_cbranch_execnz .LBB17_3329
; %bb.1281:
	s_or_saveexec_b64 s[6:7], s[6:7]
	v_mov_b32_e32 v20, s10
	s_xor_b64 exec, exec, s[6:7]
	s_cbranch_execnz .LBB17_3332
.LBB17_1282:
	s_or_b64 exec, exec, s[6:7]
	s_and_saveexec_b64 s[6:7], s[4:5]
	s_cbranch_execz .LBB17_1284
.LBB17_1283:
	v_and_b32_e32 v20, 7, v14
	v_ffbh_u32_e32 v22, v20
	v_min_u32_e32 v22, 32, v22
	v_lshrrev_b16_e32 v21, 3, v14
	v_subrev_u32_e32 v23, 28, v22
	v_and_b32_e32 v21, 15, v21
	v_lshlrev_b32_e32 v23, v23, v14
	v_sub_u32_e32 v22, 29, v22
	v_and_b32_e32 v23, 7, v23
	v_cmp_eq_u16_e32 vcc, 0, v21
	v_cndmask_b32_e32 v20, v20, v23, vcc
	v_cndmask_b32_e32 v21, v21, v22, vcc
	v_lshlrev_b32_e32 v22, 24, v14
	v_mov_b32_e32 v23, 0x3b800000
	v_lshlrev_b32_e32 v20, 20, v20
	v_and_b32_e32 v22, 0x80000000, v22
	v_lshl_add_u32 v21, v21, 23, v23
	v_or3_b32 v20, v22, v21, v20
.LBB17_1284:
	s_or_b64 exec, exec, s[6:7]
	s_movk_i32 s4, 0x7f
	v_cmp_gt_i16_sdwa s[6:7], v10, s4 src0_sel:BYTE_0 src1_sel:DWORD
	s_mov_b64 s[4:5], 0
                                        ; implicit-def: $sgpr10
	s_and_saveexec_b64 s[8:9], s[6:7]
	s_xor_b64 s[6:7], exec, s[8:9]
	s_cbranch_execnz .LBB17_3333
; %bb.1285:
	s_or_saveexec_b64 s[6:7], s[6:7]
	v_mov_b32_e32 v21, s10
	s_xor_b64 exec, exec, s[6:7]
	s_cbranch_execnz .LBB17_3336
.LBB17_1286:
	s_or_b64 exec, exec, s[6:7]
	s_and_saveexec_b64 s[6:7], s[4:5]
	s_cbranch_execz .LBB17_1288
.LBB17_1287:
	v_and_b32_e32 v21, 7, v10
	v_ffbh_u32_e32 v23, v21
	v_min_u32_e32 v23, 32, v23
	v_lshrrev_b16_e32 v22, 3, v10
	v_subrev_u32_e32 v24, 28, v23
	v_and_b32_e32 v22, 15, v22
	v_lshlrev_b32_e32 v24, v24, v10
	v_sub_u32_e32 v23, 29, v23
	v_and_b32_e32 v24, 7, v24
	v_cmp_eq_u16_e32 vcc, 0, v22
	v_cndmask_b32_e32 v21, v21, v24, vcc
	v_cndmask_b32_e32 v22, v22, v23, vcc
	v_lshlrev_b32_e32 v23, 24, v10
	v_mov_b32_e32 v24, 0x3b800000
	v_lshlrev_b32_e32 v21, 20, v21
	v_and_b32_e32 v23, 0x80000000, v23
	v_lshl_add_u32 v22, v22, 23, v24
	v_or3_b32 v21, v23, v22, v21
.LBB17_1288:
	s_or_b64 exec, exec, s[6:7]
	flat_load_dwordx4 a[0:3], v[18:19] offset:976
	s_movk_i32 s4, 0x7f
                                        ; implicit-def: $sgpr10
	s_waitcnt vmcnt(0) lgkmcnt(0)
	v_mfma_f32_16x16x4f32 a[0:3], v20, v21, a[0:3]
	v_lshrrev_b32_e32 v21, 8, v14
	v_cmp_gt_i16_sdwa s[6:7], v21, s4 src0_sel:BYTE_0 src1_sel:DWORD
	s_mov_b64 s[4:5], 0
	s_and_saveexec_b64 s[8:9], s[6:7]
	s_xor_b64 s[6:7], exec, s[8:9]
	s_cbranch_execnz .LBB17_3337
; %bb.1289:
	s_or_saveexec_b64 s[6:7], s[6:7]
	v_mov_b32_e32 v20, s10
	s_xor_b64 exec, exec, s[6:7]
	s_cbranch_execnz .LBB17_3340
.LBB17_1290:
	s_or_b64 exec, exec, s[6:7]
	s_and_saveexec_b64 s[6:7], s[4:5]
	s_cbranch_execz .LBB17_1292
.LBB17_1291:
	v_bfe_u32 v20, v14, 8, 3
	v_ffbh_u32_e32 v23, v20
	v_min_u32_e32 v23, 32, v23
	v_lshrrev_b16_e32 v22, 3, v21
	v_subrev_u32_e32 v24, 28, v23
	v_and_b32_e32 v22, 15, v22
	v_lshlrev_b32_e32 v21, v24, v21
	v_sub_u32_e32 v23, 29, v23
	v_and_b32_e32 v21, 7, v21
	v_cmp_eq_u16_e32 vcc, 0, v22
	v_cndmask_b32_e32 v20, v20, v21, vcc
	v_cndmask_b32_e32 v21, v22, v23, vcc
	v_lshlrev_b32_e32 v22, 16, v14
	v_mov_b32_e32 v23, 0x3b800000
	v_lshlrev_b32_e32 v20, 20, v20
	v_and_b32_e32 v22, 0x80000000, v22
	v_lshl_add_u32 v21, v21, 23, v23
	v_or3_b32 v20, v22, v21, v20
.LBB17_1292:
	s_or_b64 exec, exec, s[6:7]
	v_lshrrev_b32_e32 v21, 8, v10
	s_movk_i32 s4, 0x7f
	v_cmp_gt_i16_sdwa s[6:7], v21, s4 src0_sel:BYTE_0 src1_sel:DWORD
	s_mov_b64 s[4:5], 0
                                        ; implicit-def: $sgpr10
	s_and_saveexec_b64 s[8:9], s[6:7]
	s_xor_b64 s[6:7], exec, s[8:9]
	s_cbranch_execnz .LBB17_3341
; %bb.1293:
	s_or_saveexec_b64 s[6:7], s[6:7]
	v_mov_b32_e32 v22, s10
	s_xor_b64 exec, exec, s[6:7]
	s_cbranch_execnz .LBB17_3344
.LBB17_1294:
	s_or_b64 exec, exec, s[6:7]
	s_and_saveexec_b64 s[6:7], s[4:5]
	s_cbranch_execz .LBB17_1296
.LBB17_1295:
	v_bfe_u32 v22, v10, 8, 3
	v_ffbh_u32_e32 v24, v22
	v_min_u32_e32 v24, 32, v24
	v_lshrrev_b16_e32 v23, 3, v21
	v_subrev_u32_e32 v25, 28, v24
	v_and_b32_e32 v23, 15, v23
	v_lshlrev_b32_e32 v21, v25, v21
	v_sub_u32_e32 v24, 29, v24
	v_and_b32_e32 v21, 7, v21
	v_cmp_eq_u16_e32 vcc, 0, v23
	v_cndmask_b32_e32 v21, v22, v21, vcc
	v_cndmask_b32_e32 v22, v23, v24, vcc
	v_lshlrev_b32_e32 v23, 16, v10
	v_mov_b32_e32 v24, 0x3b800000
	v_lshlrev_b32_e32 v21, 20, v21
	v_and_b32_e32 v23, 0x80000000, v23
	v_lshl_add_u32 v22, v22, 23, v24
	v_or3_b32 v22, v23, v22, v21
.LBB17_1296:
	s_or_b64 exec, exec, s[6:7]
	s_nop 0
	v_mfma_f32_16x16x4f32 a[0:3], v20, v22, a[0:3]
	s_movk_i32 s4, 0xff
	v_and_b32_sdwa v21, v14, s4 dst_sel:DWORD dst_unused:UNUSED_PAD src0_sel:WORD_1 src1_sel:DWORD
	s_movk_i32 s4, 0x7f
	v_cmp_lt_i16_e32 vcc, s4, v21
	s_mov_b64 s[4:5], 0
                                        ; implicit-def: $sgpr10
	s_and_saveexec_b64 s[6:7], vcc
	s_xor_b64 s[6:7], exec, s[6:7]
	s_cbranch_execnz .LBB17_3345
; %bb.1297:
	s_or_saveexec_b64 s[6:7], s[6:7]
	v_mov_b32_e32 v20, s10
	s_xor_b64 exec, exec, s[6:7]
	s_cbranch_execnz .LBB17_3348
.LBB17_1298:
	s_or_b64 exec, exec, s[6:7]
	s_and_saveexec_b64 s[6:7], s[4:5]
	s_cbranch_execz .LBB17_1300
.LBB17_1299:
	v_bfe_u32 v20, v14, 16, 3
	v_ffbh_u32_e32 v23, v20
	v_min_u32_e32 v23, 32, v23
	v_lshrrev_b32_e32 v21, 19, v14
	v_subrev_u32_e32 v24, 28, v23
	v_and_b32_e32 v21, 15, v21
	v_lshlrev_b32_sdwa v24, v24, v14 dst_sel:DWORD dst_unused:UNUSED_PAD src0_sel:DWORD src1_sel:WORD_1
	v_bfe_u32 v22, v14, 19, 4
	v_sub_u32_e32 v23, 29, v23
	v_and_b32_e32 v24, 7, v24
	v_cmp_eq_u16_e32 vcc, 0, v21
	v_cndmask_b32_e32 v20, v20, v24, vcc
	v_cndmask_b32_e32 v21, v22, v23, vcc
	v_lshlrev_b32_e32 v22, 8, v14
	v_mov_b32_e32 v23, 0x3b800000
	v_lshlrev_b32_e32 v20, 20, v20
	v_and_b32_e32 v22, 0x80000000, v22
	v_lshl_add_u32 v21, v21, 23, v23
	v_or3_b32 v20, v22, v21, v20
.LBB17_1300:
	s_or_b64 exec, exec, s[6:7]
	s_movk_i32 s4, 0xff
	v_and_b32_sdwa v21, v10, s4 dst_sel:DWORD dst_unused:UNUSED_PAD src0_sel:WORD_1 src1_sel:DWORD
	s_movk_i32 s4, 0x7f
	v_cmp_lt_i16_e32 vcc, s4, v21
	s_mov_b64 s[4:5], 0
                                        ; implicit-def: $sgpr10
	s_and_saveexec_b64 s[6:7], vcc
	s_xor_b64 s[6:7], exec, s[6:7]
	s_cbranch_execnz .LBB17_3349
; %bb.1301:
	s_or_saveexec_b64 s[6:7], s[6:7]
	v_mov_b32_e32 v22, s10
	s_xor_b64 exec, exec, s[6:7]
	s_cbranch_execnz .LBB17_3352
.LBB17_1302:
	s_or_b64 exec, exec, s[6:7]
	s_and_saveexec_b64 s[6:7], s[4:5]
	s_cbranch_execz .LBB17_1304
.LBB17_1303:
	v_bfe_u32 v21, v10, 16, 3
	v_ffbh_u32_e32 v24, v21
	v_min_u32_e32 v24, 32, v24
	v_lshrrev_b32_e32 v22, 19, v10
	v_subrev_u32_e32 v25, 28, v24
	v_and_b32_e32 v22, 15, v22
	v_lshlrev_b32_sdwa v25, v25, v10 dst_sel:DWORD dst_unused:UNUSED_PAD src0_sel:DWORD src1_sel:WORD_1
	v_bfe_u32 v23, v10, 19, 4
	v_sub_u32_e32 v24, 29, v24
	v_and_b32_e32 v25, 7, v25
	v_cmp_eq_u16_e32 vcc, 0, v22
	v_cndmask_b32_e32 v21, v21, v25, vcc
	v_cndmask_b32_e32 v22, v23, v24, vcc
	v_lshlrev_b32_e32 v23, 8, v10
	v_mov_b32_e32 v24, 0x3b800000
	v_lshlrev_b32_e32 v21, 20, v21
	v_and_b32_e32 v23, 0x80000000, v23
	v_lshl_add_u32 v22, v22, 23, v24
	v_or3_b32 v22, v23, v22, v21
.LBB17_1304:
	s_or_b64 exec, exec, s[6:7]
	s_nop 0
	v_mfma_f32_16x16x4f32 a[0:3], v20, v22, a[0:3]
	s_movk_i32 s4, 0x7f
	v_cmp_gt_i16_sdwa s[6:7], v14, s4 src0_sel:BYTE_3 src1_sel:DWORD
	s_mov_b64 s[4:5], 0
                                        ; implicit-def: $sgpr10
	s_and_saveexec_b64 s[8:9], s[6:7]
	s_xor_b64 s[6:7], exec, s[8:9]
	s_cbranch_execnz .LBB17_3353
; %bb.1305:
	s_or_saveexec_b64 s[6:7], s[6:7]
	v_mov_b32_e32 v20, s10
	s_xor_b64 exec, exec, s[6:7]
	s_cbranch_execnz .LBB17_3356
.LBB17_1306:
	s_or_b64 exec, exec, s[6:7]
	s_and_saveexec_b64 s[6:7], s[4:5]
	s_cbranch_execz .LBB17_1308
.LBB17_1307:
	v_bfe_u32 v20, v14, 24, 3
	v_ffbh_u32_e32 v24, v20
	v_min_u32_e32 v24, 32, v24
	v_lshrrev_b32_e32 v22, 27, v14
	v_subrev_u32_e32 v25, 28, v24
	v_and_b32_e32 v21, 0x80000000, v14
	v_and_b32_e32 v22, 15, v22
	v_bfe_u32 v23, v14, 27, 4
	v_lshlrev_b32_sdwa v14, v25, v14 dst_sel:DWORD dst_unused:UNUSED_PAD src0_sel:DWORD src1_sel:BYTE_3
	v_sub_u32_e32 v24, 29, v24
	v_and_b32_e32 v14, 7, v14
	v_cmp_eq_u16_e32 vcc, 0, v22
	v_cndmask_b32_e32 v14, v20, v14, vcc
	v_cndmask_b32_e32 v20, v23, v24, vcc
	v_mov_b32_e32 v22, 0x3b800000
	v_lshlrev_b32_e32 v14, 20, v14
	v_lshl_add_u32 v20, v20, 23, v22
	v_or3_b32 v20, v21, v20, v14
.LBB17_1308:
	s_or_b64 exec, exec, s[6:7]
	s_movk_i32 s4, 0x7f
	v_cmp_gt_i16_sdwa s[6:7], v10, s4 src0_sel:BYTE_3 src1_sel:DWORD
	s_mov_b64 s[4:5], 0
                                        ; implicit-def: $sgpr10
	s_and_saveexec_b64 s[8:9], s[6:7]
	s_xor_b64 s[6:7], exec, s[8:9]
	s_cbranch_execnz .LBB17_3357
; %bb.1309:
	s_or_saveexec_b64 s[6:7], s[6:7]
	v_mov_b32_e32 v14, s10
	s_xor_b64 exec, exec, s[6:7]
	s_cbranch_execnz .LBB17_3360
.LBB17_1310:
	s_or_b64 exec, exec, s[6:7]
	s_and_saveexec_b64 s[6:7], s[4:5]
	s_cbranch_execz .LBB17_1312
.LBB17_1311:
	v_bfe_u32 v14, v10, 24, 3
	v_ffbh_u32_e32 v24, v14
	v_min_u32_e32 v24, 32, v24
	v_lshrrev_b32_e32 v22, 27, v10
	v_subrev_u32_e32 v25, 28, v24
	v_and_b32_e32 v21, 0x80000000, v10
	v_and_b32_e32 v22, 15, v22
	v_bfe_u32 v23, v10, 27, 4
	v_lshlrev_b32_sdwa v10, v25, v10 dst_sel:DWORD dst_unused:UNUSED_PAD src0_sel:DWORD src1_sel:BYTE_3
	v_sub_u32_e32 v24, 29, v24
	v_and_b32_e32 v10, 7, v10
	v_cmp_eq_u16_e32 vcc, 0, v22
	v_cndmask_b32_e32 v10, v14, v10, vcc
	v_cndmask_b32_e32 v14, v23, v24, vcc
	v_mov_b32_e32 v22, 0x3b800000
	v_lshlrev_b32_e32 v10, 20, v10
	v_lshl_add_u32 v14, v14, 23, v22
	v_or3_b32 v14, v21, v14, v10
.LBB17_1312:
	s_or_b64 exec, exec, s[6:7]
	s_nop 0
	v_mfma_f32_16x16x4f32 a[0:3], v20, v14, a[0:3]
	s_movk_i32 s4, 0x7f
	v_cmp_gt_i16_sdwa s[6:7], v15, s4 src0_sel:BYTE_0 src1_sel:DWORD
	s_mov_b64 s[4:5], 0
                                        ; implicit-def: $sgpr10
	s_and_saveexec_b64 s[8:9], s[6:7]
	s_xor_b64 s[6:7], exec, s[8:9]
	s_cbranch_execnz .LBB17_3361
; %bb.1313:
	s_or_saveexec_b64 s[6:7], s[6:7]
	v_mov_b32_e32 v10, s10
	s_xor_b64 exec, exec, s[6:7]
	s_cbranch_execnz .LBB17_3364
.LBB17_1314:
	s_or_b64 exec, exec, s[6:7]
	s_and_saveexec_b64 s[6:7], s[4:5]
	s_cbranch_execz .LBB17_1316
.LBB17_1315:
	v_and_b32_e32 v10, 7, v15
	v_ffbh_u32_e32 v20, v10
	v_min_u32_e32 v20, 32, v20
	v_lshrrev_b16_e32 v14, 3, v15
	v_subrev_u32_e32 v21, 28, v20
	v_and_b32_e32 v14, 15, v14
	v_lshlrev_b32_e32 v21, v21, v15
	v_sub_u32_e32 v20, 29, v20
	v_and_b32_e32 v21, 7, v21
	v_cmp_eq_u16_e32 vcc, 0, v14
	v_cndmask_b32_e32 v10, v10, v21, vcc
	v_cndmask_b32_e32 v14, v14, v20, vcc
	v_lshlrev_b32_e32 v20, 24, v15
	v_mov_b32_e32 v21, 0x3b800000
	v_lshlrev_b32_e32 v10, 20, v10
	v_and_b32_e32 v20, 0x80000000, v20
	v_lshl_add_u32 v14, v14, 23, v21
	v_or3_b32 v10, v20, v14, v10
.LBB17_1316:
	s_or_b64 exec, exec, s[6:7]
	s_movk_i32 s4, 0x7f
	v_cmp_gt_i16_sdwa s[6:7], v11, s4 src0_sel:BYTE_0 src1_sel:DWORD
	s_mov_b64 s[4:5], 0
                                        ; implicit-def: $sgpr10
	s_and_saveexec_b64 s[8:9], s[6:7]
	s_xor_b64 s[6:7], exec, s[8:9]
	s_cbranch_execnz .LBB17_3365
; %bb.1317:
	s_or_saveexec_b64 s[6:7], s[6:7]
	v_mov_b32_e32 v14, s10
	s_xor_b64 exec, exec, s[6:7]
	s_cbranch_execnz .LBB17_3368
.LBB17_1318:
	s_or_b64 exec, exec, s[6:7]
	s_and_saveexec_b64 s[6:7], s[4:5]
	s_cbranch_execz .LBB17_1320
.LBB17_1319:
	v_and_b32_e32 v14, 7, v11
	v_ffbh_u32_e32 v21, v14
	v_min_u32_e32 v21, 32, v21
	v_lshrrev_b16_e32 v20, 3, v11
	v_subrev_u32_e32 v22, 28, v21
	v_and_b32_e32 v20, 15, v20
	v_lshlrev_b32_e32 v22, v22, v11
	v_sub_u32_e32 v21, 29, v21
	v_and_b32_e32 v22, 7, v22
	v_cmp_eq_u16_e32 vcc, 0, v20
	v_cndmask_b32_e32 v14, v14, v22, vcc
	v_cndmask_b32_e32 v20, v20, v21, vcc
	v_lshlrev_b32_e32 v21, 24, v11
	v_mov_b32_e32 v22, 0x3b800000
	v_lshlrev_b32_e32 v14, 20, v14
	v_and_b32_e32 v21, 0x80000000, v21
	v_lshl_add_u32 v20, v20, 23, v22
	v_or3_b32 v14, v21, v20, v14
.LBB17_1320:
	s_or_b64 exec, exec, s[6:7]
	s_nop 0
	v_mfma_f32_16x16x4f32 a[0:3], v10, v14, a[0:3]
	v_lshrrev_b32_e32 v14, 8, v15
	s_movk_i32 s4, 0x7f
	v_cmp_gt_i16_sdwa s[6:7], v14, s4 src0_sel:BYTE_0 src1_sel:DWORD
	s_mov_b64 s[4:5], 0
                                        ; implicit-def: $sgpr10
	s_and_saveexec_b64 s[8:9], s[6:7]
	s_xor_b64 s[6:7], exec, s[8:9]
	s_cbranch_execnz .LBB17_3369
; %bb.1321:
	s_or_saveexec_b64 s[6:7], s[6:7]
	v_mov_b32_e32 v10, s10
	s_xor_b64 exec, exec, s[6:7]
	s_cbranch_execnz .LBB17_3372
.LBB17_1322:
	s_or_b64 exec, exec, s[6:7]
	s_and_saveexec_b64 s[6:7], s[4:5]
	s_cbranch_execz .LBB17_1324
.LBB17_1323:
	v_bfe_u32 v10, v15, 8, 3
	v_ffbh_u32_e32 v21, v10
	v_min_u32_e32 v21, 32, v21
	v_lshrrev_b16_e32 v20, 3, v14
	v_subrev_u32_e32 v22, 28, v21
	v_and_b32_e32 v20, 15, v20
	v_lshlrev_b32_e32 v14, v22, v14
	v_sub_u32_e32 v21, 29, v21
	v_and_b32_e32 v14, 7, v14
	v_cmp_eq_u16_e32 vcc, 0, v20
	v_cndmask_b32_e32 v10, v10, v14, vcc
	v_cndmask_b32_e32 v14, v20, v21, vcc
	v_lshlrev_b32_e32 v20, 16, v15
	v_mov_b32_e32 v21, 0x3b800000
	v_lshlrev_b32_e32 v10, 20, v10
	v_and_b32_e32 v20, 0x80000000, v20
	v_lshl_add_u32 v14, v14, 23, v21
	v_or3_b32 v10, v20, v14, v10
.LBB17_1324:
	s_or_b64 exec, exec, s[6:7]
	v_lshrrev_b32_e32 v14, 8, v11
	s_movk_i32 s4, 0x7f
	v_cmp_gt_i16_sdwa s[6:7], v14, s4 src0_sel:BYTE_0 src1_sel:DWORD
	s_mov_b64 s[4:5], 0
                                        ; implicit-def: $sgpr10
	s_and_saveexec_b64 s[8:9], s[6:7]
	s_xor_b64 s[6:7], exec, s[8:9]
	s_cbranch_execnz .LBB17_3373
; %bb.1325:
	s_or_saveexec_b64 s[6:7], s[6:7]
	v_mov_b32_e32 v20, s10
	s_xor_b64 exec, exec, s[6:7]
	s_cbranch_execnz .LBB17_3376
.LBB17_1326:
	s_or_b64 exec, exec, s[6:7]
	s_and_saveexec_b64 s[6:7], s[4:5]
	s_cbranch_execz .LBB17_1328
.LBB17_1327:
	v_bfe_u32 v20, v11, 8, 3
	v_ffbh_u32_e32 v22, v20
	v_min_u32_e32 v22, 32, v22
	v_lshrrev_b16_e32 v21, 3, v14
	v_subrev_u32_e32 v23, 28, v22
	v_and_b32_e32 v21, 15, v21
	v_lshlrev_b32_e32 v14, v23, v14
	v_sub_u32_e32 v22, 29, v22
	v_and_b32_e32 v14, 7, v14
	v_cmp_eq_u16_e32 vcc, 0, v21
	v_cndmask_b32_e32 v14, v20, v14, vcc
	v_cndmask_b32_e32 v20, v21, v22, vcc
	v_lshlrev_b32_e32 v21, 16, v11
	v_mov_b32_e32 v22, 0x3b800000
	v_lshlrev_b32_e32 v14, 20, v14
	v_and_b32_e32 v21, 0x80000000, v21
	v_lshl_add_u32 v20, v20, 23, v22
	v_or3_b32 v20, v21, v20, v14
.LBB17_1328:
	s_or_b64 exec, exec, s[6:7]
	s_nop 0
	v_mfma_f32_16x16x4f32 a[0:3], v10, v20, a[0:3]
	s_movk_i32 s4, 0xff
	v_and_b32_sdwa v14, v15, s4 dst_sel:DWORD dst_unused:UNUSED_PAD src0_sel:WORD_1 src1_sel:DWORD
	s_movk_i32 s4, 0x7f
	v_cmp_lt_i16_e32 vcc, s4, v14
	s_mov_b64 s[4:5], 0
                                        ; implicit-def: $sgpr10
	s_and_saveexec_b64 s[6:7], vcc
	s_xor_b64 s[6:7], exec, s[6:7]
	s_cbranch_execnz .LBB17_3377
; %bb.1329:
	s_or_saveexec_b64 s[6:7], s[6:7]
	v_mov_b32_e32 v10, s10
	s_xor_b64 exec, exec, s[6:7]
	s_cbranch_execnz .LBB17_3380
.LBB17_1330:
	s_or_b64 exec, exec, s[6:7]
	s_and_saveexec_b64 s[6:7], s[4:5]
	s_cbranch_execz .LBB17_1332
.LBB17_1331:
	v_bfe_u32 v10, v15, 16, 3
	v_ffbh_u32_e32 v21, v10
	v_min_u32_e32 v21, 32, v21
	v_lshrrev_b32_e32 v14, 19, v15
	v_subrev_u32_e32 v22, 28, v21
	v_and_b32_e32 v14, 15, v14
	v_lshlrev_b32_sdwa v22, v22, v15 dst_sel:DWORD dst_unused:UNUSED_PAD src0_sel:DWORD src1_sel:WORD_1
	v_bfe_u32 v20, v15, 19, 4
	v_sub_u32_e32 v21, 29, v21
	v_and_b32_e32 v22, 7, v22
	v_cmp_eq_u16_e32 vcc, 0, v14
	v_cndmask_b32_e32 v10, v10, v22, vcc
	v_cndmask_b32_e32 v14, v20, v21, vcc
	v_lshlrev_b32_e32 v20, 8, v15
	v_mov_b32_e32 v21, 0x3b800000
	v_lshlrev_b32_e32 v10, 20, v10
	v_and_b32_e32 v20, 0x80000000, v20
	v_lshl_add_u32 v14, v14, 23, v21
	v_or3_b32 v10, v20, v14, v10
.LBB17_1332:
	s_or_b64 exec, exec, s[6:7]
	s_movk_i32 s4, 0xff
	v_and_b32_sdwa v14, v11, s4 dst_sel:DWORD dst_unused:UNUSED_PAD src0_sel:WORD_1 src1_sel:DWORD
	s_movk_i32 s4, 0x7f
	v_cmp_lt_i16_e32 vcc, s4, v14
	s_mov_b64 s[4:5], 0
                                        ; implicit-def: $sgpr10
	s_and_saveexec_b64 s[6:7], vcc
	s_xor_b64 s[6:7], exec, s[6:7]
	s_cbranch_execnz .LBB17_3381
; %bb.1333:
	s_or_saveexec_b64 s[6:7], s[6:7]
	v_mov_b32_e32 v20, s10
	s_xor_b64 exec, exec, s[6:7]
	s_cbranch_execnz .LBB17_3384
.LBB17_1334:
	s_or_b64 exec, exec, s[6:7]
	s_and_saveexec_b64 s[6:7], s[4:5]
	s_cbranch_execz .LBB17_1336
.LBB17_1335:
	v_bfe_u32 v14, v11, 16, 3
	v_ffbh_u32_e32 v22, v14
	v_min_u32_e32 v22, 32, v22
	v_lshrrev_b32_e32 v20, 19, v11
	v_subrev_u32_e32 v23, 28, v22
	v_and_b32_e32 v20, 15, v20
	v_lshlrev_b32_sdwa v23, v23, v11 dst_sel:DWORD dst_unused:UNUSED_PAD src0_sel:DWORD src1_sel:WORD_1
	v_bfe_u32 v21, v11, 19, 4
	v_sub_u32_e32 v22, 29, v22
	v_and_b32_e32 v23, 7, v23
	v_cmp_eq_u16_e32 vcc, 0, v20
	v_cndmask_b32_e32 v14, v14, v23, vcc
	v_cndmask_b32_e32 v20, v21, v22, vcc
	v_lshlrev_b32_e32 v21, 8, v11
	v_mov_b32_e32 v22, 0x3b800000
	v_lshlrev_b32_e32 v14, 20, v14
	v_and_b32_e32 v21, 0x80000000, v21
	v_lshl_add_u32 v20, v20, 23, v22
	v_or3_b32 v20, v21, v20, v14
.LBB17_1336:
	s_or_b64 exec, exec, s[6:7]
	s_nop 0
	v_mfma_f32_16x16x4f32 a[0:3], v10, v20, a[0:3]
	s_movk_i32 s4, 0x7f
	v_cmp_gt_i16_sdwa s[6:7], v15, s4 src0_sel:BYTE_3 src1_sel:DWORD
	s_mov_b64 s[4:5], 0
                                        ; implicit-def: $sgpr10
	s_and_saveexec_b64 s[8:9], s[6:7]
	s_xor_b64 s[6:7], exec, s[8:9]
	s_cbranch_execnz .LBB17_3385
; %bb.1337:
	s_or_saveexec_b64 s[6:7], s[6:7]
	v_mov_b32_e32 v10, s10
	s_xor_b64 exec, exec, s[6:7]
	s_cbranch_execnz .LBB17_3388
.LBB17_1338:
	s_or_b64 exec, exec, s[6:7]
	s_and_saveexec_b64 s[6:7], s[4:5]
	s_cbranch_execz .LBB17_1340
.LBB17_1339:
	v_bfe_u32 v10, v15, 24, 3
	v_ffbh_u32_e32 v22, v10
	v_min_u32_e32 v22, 32, v22
	v_lshrrev_b32_e32 v20, 27, v15
	v_subrev_u32_e32 v23, 28, v22
	v_and_b32_e32 v14, 0x80000000, v15
	v_and_b32_e32 v20, 15, v20
	v_bfe_u32 v21, v15, 27, 4
	v_lshlrev_b32_sdwa v15, v23, v15 dst_sel:DWORD dst_unused:UNUSED_PAD src0_sel:DWORD src1_sel:BYTE_3
	v_sub_u32_e32 v22, 29, v22
	v_and_b32_e32 v15, 7, v15
	v_cmp_eq_u16_e32 vcc, 0, v20
	v_cndmask_b32_e32 v10, v10, v15, vcc
	v_cndmask_b32_e32 v15, v21, v22, vcc
	v_mov_b32_e32 v20, 0x3b800000
	v_lshlrev_b32_e32 v10, 20, v10
	v_lshl_add_u32 v15, v15, 23, v20
	v_or3_b32 v10, v14, v15, v10
.LBB17_1340:
	s_or_b64 exec, exec, s[6:7]
	s_movk_i32 s4, 0x7f
	v_cmp_gt_i16_sdwa s[6:7], v11, s4 src0_sel:BYTE_3 src1_sel:DWORD
	s_mov_b64 s[4:5], 0
                                        ; implicit-def: $sgpr10
	s_and_saveexec_b64 s[8:9], s[6:7]
	s_xor_b64 s[6:7], exec, s[8:9]
	s_cbranch_execnz .LBB17_3389
; %bb.1341:
	s_or_saveexec_b64 s[6:7], s[6:7]
	v_mov_b32_e32 v14, s10
	s_xor_b64 exec, exec, s[6:7]
	s_cbranch_execnz .LBB17_3392
.LBB17_1342:
	s_or_b64 exec, exec, s[6:7]
	s_and_saveexec_b64 s[6:7], s[4:5]
	s_cbranch_execz .LBB17_1344
.LBB17_1343:
	v_bfe_u32 v14, v11, 24, 3
	v_ffbh_u32_e32 v22, v14
	v_min_u32_e32 v22, 32, v22
	v_lshrrev_b32_e32 v20, 27, v11
	v_subrev_u32_e32 v23, 28, v22
	v_and_b32_e32 v15, 0x80000000, v11
	v_and_b32_e32 v20, 15, v20
	v_bfe_u32 v21, v11, 27, 4
	v_lshlrev_b32_sdwa v11, v23, v11 dst_sel:DWORD dst_unused:UNUSED_PAD src0_sel:DWORD src1_sel:BYTE_3
	v_sub_u32_e32 v22, 29, v22
	v_and_b32_e32 v11, 7, v11
	v_cmp_eq_u16_e32 vcc, 0, v20
	v_cndmask_b32_e32 v11, v14, v11, vcc
	v_cndmask_b32_e32 v14, v21, v22, vcc
	v_mov_b32_e32 v20, 0x3b800000
	v_lshlrev_b32_e32 v11, 20, v11
	v_lshl_add_u32 v14, v14, 23, v20
	v_or3_b32 v14, v15, v14, v11
.LBB17_1344:
	s_or_b64 exec, exec, s[6:7]
	s_nop 0
	v_mfma_f32_16x16x4f32 a[0:3], v10, v14, a[0:3]
	s_movk_i32 s4, 0x7f
	v_cmp_gt_i16_sdwa s[6:7], v16, s4 src0_sel:BYTE_0 src1_sel:DWORD
	s_mov_b64 s[4:5], 0
                                        ; implicit-def: $sgpr10
	s_and_saveexec_b64 s[8:9], s[6:7]
	s_xor_b64 s[6:7], exec, s[8:9]
	s_cbranch_execnz .LBB17_3393
; %bb.1345:
	s_or_saveexec_b64 s[6:7], s[6:7]
	v_mov_b32_e32 v10, s10
	s_xor_b64 exec, exec, s[6:7]
	s_cbranch_execnz .LBB17_3396
.LBB17_1346:
	s_or_b64 exec, exec, s[6:7]
	s_and_saveexec_b64 s[6:7], s[4:5]
	s_cbranch_execz .LBB17_1348
.LBB17_1347:
	v_and_b32_e32 v10, 7, v16
	v_ffbh_u32_e32 v14, v10
	v_min_u32_e32 v14, 32, v14
	v_lshrrev_b16_e32 v11, 3, v16
	v_subrev_u32_e32 v15, 28, v14
	v_and_b32_e32 v11, 15, v11
	v_lshlrev_b32_e32 v15, v15, v16
	v_sub_u32_e32 v14, 29, v14
	v_and_b32_e32 v15, 7, v15
	v_cmp_eq_u16_e32 vcc, 0, v11
	v_cndmask_b32_e32 v10, v10, v15, vcc
	v_cndmask_b32_e32 v11, v11, v14, vcc
	v_lshlrev_b32_e32 v14, 24, v16
	v_mov_b32_e32 v15, 0x3b800000
	v_lshlrev_b32_e32 v10, 20, v10
	v_and_b32_e32 v14, 0x80000000, v14
	v_lshl_add_u32 v11, v11, 23, v15
	v_or3_b32 v10, v14, v11, v10
.LBB17_1348:
	s_or_b64 exec, exec, s[6:7]
	s_movk_i32 s4, 0x7f
	v_cmp_gt_i16_sdwa s[6:7], v12, s4 src0_sel:BYTE_0 src1_sel:DWORD
	s_mov_b64 s[4:5], 0
                                        ; implicit-def: $sgpr10
	s_and_saveexec_b64 s[8:9], s[6:7]
	s_xor_b64 s[6:7], exec, s[8:9]
	s_cbranch_execnz .LBB17_3397
; %bb.1349:
	s_or_saveexec_b64 s[6:7], s[6:7]
	v_mov_b32_e32 v11, s10
	s_xor_b64 exec, exec, s[6:7]
	s_cbranch_execnz .LBB17_3400
.LBB17_1350:
	s_or_b64 exec, exec, s[6:7]
	s_and_saveexec_b64 s[6:7], s[4:5]
	s_cbranch_execz .LBB17_1352
.LBB17_1351:
	v_and_b32_e32 v11, 7, v12
	v_ffbh_u32_e32 v15, v11
	v_min_u32_e32 v15, 32, v15
	v_lshrrev_b16_e32 v14, 3, v12
	v_subrev_u32_e32 v20, 28, v15
	v_and_b32_e32 v14, 15, v14
	v_lshlrev_b32_e32 v20, v20, v12
	v_sub_u32_e32 v15, 29, v15
	v_and_b32_e32 v20, 7, v20
	v_cmp_eq_u16_e32 vcc, 0, v14
	v_cndmask_b32_e32 v11, v11, v20, vcc
	v_cndmask_b32_e32 v14, v14, v15, vcc
	v_lshlrev_b32_e32 v15, 24, v12
	v_mov_b32_e32 v20, 0x3b800000
	v_lshlrev_b32_e32 v11, 20, v11
	v_and_b32_e32 v15, 0x80000000, v15
	v_lshl_add_u32 v14, v14, 23, v20
	v_or3_b32 v11, v15, v14, v11
.LBB17_1352:
	s_or_b64 exec, exec, s[6:7]
	s_nop 0
	v_mfma_f32_16x16x4f32 a[0:3], v10, v11, a[0:3]
	v_lshrrev_b32_e32 v11, 8, v16
	s_movk_i32 s4, 0x7f
	v_cmp_gt_i16_sdwa s[6:7], v11, s4 src0_sel:BYTE_0 src1_sel:DWORD
	s_mov_b64 s[4:5], 0
                                        ; implicit-def: $sgpr10
	s_and_saveexec_b64 s[8:9], s[6:7]
	s_xor_b64 s[6:7], exec, s[8:9]
	s_cbranch_execnz .LBB17_3401
; %bb.1353:
	s_or_saveexec_b64 s[6:7], s[6:7]
	v_mov_b32_e32 v10, s10
	s_xor_b64 exec, exec, s[6:7]
	s_cbranch_execnz .LBB17_3404
.LBB17_1354:
	s_or_b64 exec, exec, s[6:7]
	s_and_saveexec_b64 s[6:7], s[4:5]
	s_cbranch_execz .LBB17_1356
.LBB17_1355:
	v_bfe_u32 v10, v16, 8, 3
	v_ffbh_u32_e32 v15, v10
	v_min_u32_e32 v15, 32, v15
	v_lshrrev_b16_e32 v14, 3, v11
	v_subrev_u32_e32 v20, 28, v15
	v_and_b32_e32 v14, 15, v14
	v_lshlrev_b32_e32 v11, v20, v11
	v_sub_u32_e32 v15, 29, v15
	v_and_b32_e32 v11, 7, v11
	v_cmp_eq_u16_e32 vcc, 0, v14
	v_cndmask_b32_e32 v10, v10, v11, vcc
	v_cndmask_b32_e32 v11, v14, v15, vcc
	v_lshlrev_b32_e32 v14, 16, v16
	v_mov_b32_e32 v15, 0x3b800000
	v_lshlrev_b32_e32 v10, 20, v10
	v_and_b32_e32 v14, 0x80000000, v14
	v_lshl_add_u32 v11, v11, 23, v15
	v_or3_b32 v10, v14, v11, v10
.LBB17_1356:
	s_or_b64 exec, exec, s[6:7]
	v_lshrrev_b32_e32 v11, 8, v12
	s_movk_i32 s4, 0x7f
	v_cmp_gt_i16_sdwa s[6:7], v11, s4 src0_sel:BYTE_0 src1_sel:DWORD
	s_mov_b64 s[4:5], 0
                                        ; implicit-def: $sgpr10
	s_and_saveexec_b64 s[8:9], s[6:7]
	s_xor_b64 s[6:7], exec, s[8:9]
	s_cbranch_execnz .LBB17_3405
; %bb.1357:
	s_or_saveexec_b64 s[6:7], s[6:7]
	v_mov_b32_e32 v14, s10
	s_xor_b64 exec, exec, s[6:7]
	s_cbranch_execnz .LBB17_3408
.LBB17_1358:
	s_or_b64 exec, exec, s[6:7]
	s_and_saveexec_b64 s[6:7], s[4:5]
	s_cbranch_execz .LBB17_1360
.LBB17_1359:
	v_bfe_u32 v14, v12, 8, 3
	v_ffbh_u32_e32 v20, v14
	v_min_u32_e32 v20, 32, v20
	v_lshrrev_b16_e32 v15, 3, v11
	v_subrev_u32_e32 v21, 28, v20
	v_and_b32_e32 v15, 15, v15
	v_lshlrev_b32_e32 v11, v21, v11
	v_sub_u32_e32 v20, 29, v20
	v_and_b32_e32 v11, 7, v11
	v_cmp_eq_u16_e32 vcc, 0, v15
	v_cndmask_b32_e32 v11, v14, v11, vcc
	v_cndmask_b32_e32 v14, v15, v20, vcc
	v_lshlrev_b32_e32 v15, 16, v12
	v_mov_b32_e32 v20, 0x3b800000
	v_lshlrev_b32_e32 v11, 20, v11
	v_and_b32_e32 v15, 0x80000000, v15
	v_lshl_add_u32 v14, v14, 23, v20
	v_or3_b32 v14, v15, v14, v11
.LBB17_1360:
	s_or_b64 exec, exec, s[6:7]
	s_nop 0
	v_mfma_f32_16x16x4f32 a[0:3], v10, v14, a[0:3]
	s_movk_i32 s4, 0xff
	v_and_b32_sdwa v11, v16, s4 dst_sel:DWORD dst_unused:UNUSED_PAD src0_sel:WORD_1 src1_sel:DWORD
	s_movk_i32 s4, 0x7f
	v_cmp_lt_i16_e32 vcc, s4, v11
	s_mov_b64 s[4:5], 0
                                        ; implicit-def: $sgpr10
	s_and_saveexec_b64 s[6:7], vcc
	s_xor_b64 s[6:7], exec, s[6:7]
	s_cbranch_execnz .LBB17_3409
; %bb.1361:
	s_or_saveexec_b64 s[6:7], s[6:7]
	v_mov_b32_e32 v10, s10
	s_xor_b64 exec, exec, s[6:7]
	s_cbranch_execnz .LBB17_3412
.LBB17_1362:
	s_or_b64 exec, exec, s[6:7]
	s_and_saveexec_b64 s[6:7], s[4:5]
	s_cbranch_execz .LBB17_1364
.LBB17_1363:
	v_bfe_u32 v10, v16, 16, 3
	v_ffbh_u32_e32 v15, v10
	v_min_u32_e32 v15, 32, v15
	v_lshrrev_b32_e32 v11, 19, v16
	v_subrev_u32_e32 v20, 28, v15
	v_and_b32_e32 v11, 15, v11
	v_lshlrev_b32_sdwa v20, v20, v16 dst_sel:DWORD dst_unused:UNUSED_PAD src0_sel:DWORD src1_sel:WORD_1
	v_bfe_u32 v14, v16, 19, 4
	v_sub_u32_e32 v15, 29, v15
	v_and_b32_e32 v20, 7, v20
	v_cmp_eq_u16_e32 vcc, 0, v11
	v_cndmask_b32_e32 v10, v10, v20, vcc
	v_cndmask_b32_e32 v11, v14, v15, vcc
	v_lshlrev_b32_e32 v14, 8, v16
	v_mov_b32_e32 v15, 0x3b800000
	v_lshlrev_b32_e32 v10, 20, v10
	v_and_b32_e32 v14, 0x80000000, v14
	v_lshl_add_u32 v11, v11, 23, v15
	v_or3_b32 v10, v14, v11, v10
.LBB17_1364:
	s_or_b64 exec, exec, s[6:7]
	s_movk_i32 s4, 0xff
	v_and_b32_sdwa v11, v12, s4 dst_sel:DWORD dst_unused:UNUSED_PAD src0_sel:WORD_1 src1_sel:DWORD
	s_movk_i32 s4, 0x7f
	v_cmp_lt_i16_e32 vcc, s4, v11
	s_mov_b64 s[4:5], 0
                                        ; implicit-def: $sgpr10
	s_and_saveexec_b64 s[6:7], vcc
	s_xor_b64 s[6:7], exec, s[6:7]
	s_cbranch_execnz .LBB17_3413
; %bb.1365:
	s_or_saveexec_b64 s[6:7], s[6:7]
	v_mov_b32_e32 v14, s10
	s_xor_b64 exec, exec, s[6:7]
	s_cbranch_execnz .LBB17_3416
.LBB17_1366:
	s_or_b64 exec, exec, s[6:7]
	s_and_saveexec_b64 s[6:7], s[4:5]
	s_cbranch_execz .LBB17_1368
.LBB17_1367:
	v_bfe_u32 v11, v12, 16, 3
	v_ffbh_u32_e32 v20, v11
	v_min_u32_e32 v20, 32, v20
	v_lshrrev_b32_e32 v14, 19, v12
	v_subrev_u32_e32 v21, 28, v20
	v_and_b32_e32 v14, 15, v14
	v_lshlrev_b32_sdwa v21, v21, v12 dst_sel:DWORD dst_unused:UNUSED_PAD src0_sel:DWORD src1_sel:WORD_1
	v_bfe_u32 v15, v12, 19, 4
	v_sub_u32_e32 v20, 29, v20
	v_and_b32_e32 v21, 7, v21
	v_cmp_eq_u16_e32 vcc, 0, v14
	v_cndmask_b32_e32 v11, v11, v21, vcc
	v_cndmask_b32_e32 v14, v15, v20, vcc
	v_lshlrev_b32_e32 v15, 8, v12
	v_mov_b32_e32 v20, 0x3b800000
	v_lshlrev_b32_e32 v11, 20, v11
	v_and_b32_e32 v15, 0x80000000, v15
	v_lshl_add_u32 v14, v14, 23, v20
	v_or3_b32 v14, v15, v14, v11
.LBB17_1368:
	s_or_b64 exec, exec, s[6:7]
	s_nop 0
	v_mfma_f32_16x16x4f32 a[0:3], v10, v14, a[0:3]
	s_movk_i32 s4, 0x7f
	v_cmp_gt_i16_sdwa s[6:7], v16, s4 src0_sel:BYTE_3 src1_sel:DWORD
	s_mov_b64 s[4:5], 0
                                        ; implicit-def: $sgpr10
	s_and_saveexec_b64 s[8:9], s[6:7]
	s_xor_b64 s[6:7], exec, s[8:9]
	s_cbranch_execnz .LBB17_3417
; %bb.1369:
	s_or_saveexec_b64 s[6:7], s[6:7]
	v_mov_b32_e32 v10, s10
	s_xor_b64 exec, exec, s[6:7]
	s_cbranch_execnz .LBB17_3420
.LBB17_1370:
	s_or_b64 exec, exec, s[6:7]
	s_and_saveexec_b64 s[6:7], s[4:5]
	s_cbranch_execz .LBB17_1372
.LBB17_1371:
	v_bfe_u32 v10, v16, 24, 3
	v_ffbh_u32_e32 v20, v10
	v_min_u32_e32 v20, 32, v20
	v_lshrrev_b32_e32 v14, 27, v16
	v_subrev_u32_e32 v21, 28, v20
	v_and_b32_e32 v11, 0x80000000, v16
	v_and_b32_e32 v14, 15, v14
	v_bfe_u32 v15, v16, 27, 4
	v_lshlrev_b32_sdwa v16, v21, v16 dst_sel:DWORD dst_unused:UNUSED_PAD src0_sel:DWORD src1_sel:BYTE_3
	v_sub_u32_e32 v20, 29, v20
	v_and_b32_e32 v16, 7, v16
	v_cmp_eq_u16_e32 vcc, 0, v14
	v_cndmask_b32_e32 v10, v10, v16, vcc
	v_cndmask_b32_e32 v14, v15, v20, vcc
	v_mov_b32_e32 v15, 0x3b800000
	v_lshlrev_b32_e32 v10, 20, v10
	v_lshl_add_u32 v14, v14, 23, v15
	v_or3_b32 v10, v11, v14, v10
.LBB17_1372:
	s_or_b64 exec, exec, s[6:7]
	s_movk_i32 s4, 0x7f
	v_cmp_gt_i16_sdwa s[6:7], v12, s4 src0_sel:BYTE_3 src1_sel:DWORD
	s_mov_b64 s[4:5], 0
                                        ; implicit-def: $sgpr10
	s_and_saveexec_b64 s[8:9], s[6:7]
	s_xor_b64 s[6:7], exec, s[8:9]
	s_cbranch_execnz .LBB17_3421
; %bb.1373:
	s_or_saveexec_b64 s[6:7], s[6:7]
	v_mov_b32_e32 v11, s10
	s_xor_b64 exec, exec, s[6:7]
	s_cbranch_execnz .LBB17_3424
.LBB17_1374:
	s_or_b64 exec, exec, s[6:7]
	s_and_saveexec_b64 s[6:7], s[4:5]
	s_cbranch_execz .LBB17_1376
.LBB17_1375:
	v_bfe_u32 v11, v12, 24, 3
	v_ffbh_u32_e32 v20, v11
	v_min_u32_e32 v20, 32, v20
	v_lshrrev_b32_e32 v15, 27, v12
	v_subrev_u32_e32 v21, 28, v20
	v_and_b32_e32 v14, 0x80000000, v12
	v_and_b32_e32 v15, 15, v15
	v_bfe_u32 v16, v12, 27, 4
	v_lshlrev_b32_sdwa v12, v21, v12 dst_sel:DWORD dst_unused:UNUSED_PAD src0_sel:DWORD src1_sel:BYTE_3
	v_sub_u32_e32 v20, 29, v20
	v_and_b32_e32 v12, 7, v12
	v_cmp_eq_u16_e32 vcc, 0, v15
	v_cndmask_b32_e32 v11, v11, v12, vcc
	v_cndmask_b32_e32 v12, v16, v20, vcc
	v_mov_b32_e32 v15, 0x3b800000
	v_lshlrev_b32_e32 v11, 20, v11
	v_lshl_add_u32 v12, v12, 23, v15
	v_or3_b32 v11, v14, v12, v11
.LBB17_1376:
	s_or_b64 exec, exec, s[6:7]
	s_nop 0
	v_mfma_f32_16x16x4f32 a[0:3], v10, v11, a[0:3]
	s_movk_i32 s4, 0x7f
	v_cmp_gt_i16_sdwa s[6:7], v17, s4 src0_sel:BYTE_0 src1_sel:DWORD
	s_mov_b64 s[4:5], 0
                                        ; implicit-def: $sgpr10
	s_and_saveexec_b64 s[8:9], s[6:7]
	s_xor_b64 s[6:7], exec, s[8:9]
	s_cbranch_execnz .LBB17_3425
; %bb.1377:
	s_or_saveexec_b64 s[6:7], s[6:7]
	v_mov_b32_e32 v10, s10
	s_xor_b64 exec, exec, s[6:7]
	s_cbranch_execnz .LBB17_3428
.LBB17_1378:
	s_or_b64 exec, exec, s[6:7]
	s_and_saveexec_b64 s[6:7], s[4:5]
	s_cbranch_execz .LBB17_1380
.LBB17_1379:
	v_and_b32_e32 v10, 7, v17
	v_ffbh_u32_e32 v12, v10
	v_min_u32_e32 v12, 32, v12
	v_lshrrev_b16_e32 v11, 3, v17
	v_subrev_u32_e32 v14, 28, v12
	v_and_b32_e32 v11, 15, v11
	v_lshlrev_b32_e32 v14, v14, v17
	v_sub_u32_e32 v12, 29, v12
	v_and_b32_e32 v14, 7, v14
	v_cmp_eq_u16_e32 vcc, 0, v11
	v_cndmask_b32_e32 v10, v10, v14, vcc
	v_cndmask_b32_e32 v11, v11, v12, vcc
	v_lshlrev_b32_e32 v12, 24, v17
	v_mov_b32_e32 v14, 0x3b800000
	v_lshlrev_b32_e32 v10, 20, v10
	v_and_b32_e32 v12, 0x80000000, v12
	v_lshl_add_u32 v11, v11, 23, v14
	v_or3_b32 v10, v12, v11, v10
.LBB17_1380:
	s_or_b64 exec, exec, s[6:7]
	s_movk_i32 s4, 0x7f
	v_cmp_gt_i16_sdwa s[6:7], v13, s4 src0_sel:BYTE_0 src1_sel:DWORD
	s_mov_b64 s[4:5], 0
                                        ; implicit-def: $sgpr10
	s_and_saveexec_b64 s[8:9], s[6:7]
	s_xor_b64 s[6:7], exec, s[8:9]
	s_cbranch_execnz .LBB17_3429
; %bb.1381:
	s_or_saveexec_b64 s[6:7], s[6:7]
	v_mov_b32_e32 v11, s10
	s_xor_b64 exec, exec, s[6:7]
	s_cbranch_execnz .LBB17_3432
.LBB17_1382:
	s_or_b64 exec, exec, s[6:7]
	s_and_saveexec_b64 s[6:7], s[4:5]
	s_cbranch_execz .LBB17_1384
.LBB17_1383:
	v_and_b32_e32 v11, 7, v13
	v_ffbh_u32_e32 v14, v11
	v_min_u32_e32 v14, 32, v14
	v_lshrrev_b16_e32 v12, 3, v13
	v_subrev_u32_e32 v15, 28, v14
	v_and_b32_e32 v12, 15, v12
	v_lshlrev_b32_e32 v15, v15, v13
	v_sub_u32_e32 v14, 29, v14
	v_and_b32_e32 v15, 7, v15
	v_cmp_eq_u16_e32 vcc, 0, v12
	v_cndmask_b32_e32 v11, v11, v15, vcc
	v_cndmask_b32_e32 v12, v12, v14, vcc
	v_lshlrev_b32_e32 v14, 24, v13
	v_mov_b32_e32 v15, 0x3b800000
	v_lshlrev_b32_e32 v11, 20, v11
	v_and_b32_e32 v14, 0x80000000, v14
	v_lshl_add_u32 v12, v12, 23, v15
	v_or3_b32 v11, v14, v12, v11
.LBB17_1384:
	s_or_b64 exec, exec, s[6:7]
	s_nop 0
	v_mfma_f32_16x16x4f32 a[0:3], v10, v11, a[0:3]
	v_lshrrev_b32_e32 v11, 8, v17
	s_movk_i32 s4, 0x7f
	v_cmp_gt_i16_sdwa s[6:7], v11, s4 src0_sel:BYTE_0 src1_sel:DWORD
	s_mov_b64 s[4:5], 0
                                        ; implicit-def: $sgpr10
	s_and_saveexec_b64 s[8:9], s[6:7]
	s_xor_b64 s[6:7], exec, s[8:9]
	s_cbranch_execnz .LBB17_3433
; %bb.1385:
	s_or_saveexec_b64 s[6:7], s[6:7]
	v_mov_b32_e32 v10, s10
	s_xor_b64 exec, exec, s[6:7]
	s_cbranch_execnz .LBB17_3436
.LBB17_1386:
	s_or_b64 exec, exec, s[6:7]
	s_and_saveexec_b64 s[6:7], s[4:5]
	s_cbranch_execz .LBB17_1388
.LBB17_1387:
	v_bfe_u32 v10, v17, 8, 3
	v_ffbh_u32_e32 v14, v10
	v_min_u32_e32 v14, 32, v14
	v_lshrrev_b16_e32 v12, 3, v11
	v_subrev_u32_e32 v15, 28, v14
	v_and_b32_e32 v12, 15, v12
	v_lshlrev_b32_e32 v11, v15, v11
	v_sub_u32_e32 v14, 29, v14
	v_and_b32_e32 v11, 7, v11
	v_cmp_eq_u16_e32 vcc, 0, v12
	v_cndmask_b32_e32 v10, v10, v11, vcc
	v_cndmask_b32_e32 v11, v12, v14, vcc
	v_lshlrev_b32_e32 v12, 16, v17
	v_mov_b32_e32 v14, 0x3b800000
	v_lshlrev_b32_e32 v10, 20, v10
	v_and_b32_e32 v12, 0x80000000, v12
	v_lshl_add_u32 v11, v11, 23, v14
	v_or3_b32 v10, v12, v11, v10
.LBB17_1388:
	s_or_b64 exec, exec, s[6:7]
	v_lshrrev_b32_e32 v11, 8, v13
	s_movk_i32 s4, 0x7f
	v_cmp_gt_i16_sdwa s[6:7], v11, s4 src0_sel:BYTE_0 src1_sel:DWORD
	s_mov_b64 s[4:5], 0
                                        ; implicit-def: $sgpr10
	s_and_saveexec_b64 s[8:9], s[6:7]
	s_xor_b64 s[6:7], exec, s[8:9]
	s_cbranch_execnz .LBB17_3437
; %bb.1389:
	s_or_saveexec_b64 s[6:7], s[6:7]
	v_mov_b32_e32 v12, s10
	s_xor_b64 exec, exec, s[6:7]
	s_cbranch_execnz .LBB17_3440
.LBB17_1390:
	s_or_b64 exec, exec, s[6:7]
	s_and_saveexec_b64 s[6:7], s[4:5]
	s_cbranch_execz .LBB17_1392
.LBB17_1391:
	v_bfe_u32 v12, v13, 8, 3
	v_ffbh_u32_e32 v15, v12
	v_min_u32_e32 v15, 32, v15
	v_lshrrev_b16_e32 v14, 3, v11
	v_subrev_u32_e32 v16, 28, v15
	v_and_b32_e32 v14, 15, v14
	v_lshlrev_b32_e32 v11, v16, v11
	v_sub_u32_e32 v15, 29, v15
	v_and_b32_e32 v11, 7, v11
	v_cmp_eq_u16_e32 vcc, 0, v14
	v_cndmask_b32_e32 v11, v12, v11, vcc
	v_cndmask_b32_e32 v12, v14, v15, vcc
	v_lshlrev_b32_e32 v14, 16, v13
	v_mov_b32_e32 v15, 0x3b800000
	v_lshlrev_b32_e32 v11, 20, v11
	v_and_b32_e32 v14, 0x80000000, v14
	v_lshl_add_u32 v12, v12, 23, v15
	v_or3_b32 v12, v14, v12, v11
.LBB17_1392:
	s_or_b64 exec, exec, s[6:7]
	s_nop 0
	v_mfma_f32_16x16x4f32 a[0:3], v10, v12, a[0:3]
	s_movk_i32 s4, 0xff
	v_and_b32_sdwa v11, v17, s4 dst_sel:DWORD dst_unused:UNUSED_PAD src0_sel:WORD_1 src1_sel:DWORD
	s_movk_i32 s4, 0x7f
	v_cmp_lt_i16_e32 vcc, s4, v11
	s_mov_b64 s[4:5], 0
                                        ; implicit-def: $sgpr10
	s_and_saveexec_b64 s[6:7], vcc
	s_xor_b64 s[6:7], exec, s[6:7]
	s_cbranch_execnz .LBB17_3441
; %bb.1393:
	s_or_saveexec_b64 s[6:7], s[6:7]
	v_mov_b32_e32 v10, s10
	s_xor_b64 exec, exec, s[6:7]
	s_cbranch_execnz .LBB17_3444
.LBB17_1394:
	s_or_b64 exec, exec, s[6:7]
	s_and_saveexec_b64 s[6:7], s[4:5]
	s_cbranch_execz .LBB17_1396
.LBB17_1395:
	v_bfe_u32 v10, v17, 16, 3
	v_ffbh_u32_e32 v14, v10
	v_min_u32_e32 v14, 32, v14
	v_lshrrev_b32_e32 v11, 19, v17
	v_subrev_u32_e32 v15, 28, v14
	v_and_b32_e32 v11, 15, v11
	v_lshlrev_b32_sdwa v15, v15, v17 dst_sel:DWORD dst_unused:UNUSED_PAD src0_sel:DWORD src1_sel:WORD_1
	v_bfe_u32 v12, v17, 19, 4
	v_sub_u32_e32 v14, 29, v14
	v_and_b32_e32 v15, 7, v15
	v_cmp_eq_u16_e32 vcc, 0, v11
	v_cndmask_b32_e32 v10, v10, v15, vcc
	v_cndmask_b32_e32 v11, v12, v14, vcc
	v_lshlrev_b32_e32 v12, 8, v17
	v_mov_b32_e32 v14, 0x3b800000
	v_lshlrev_b32_e32 v10, 20, v10
	v_and_b32_e32 v12, 0x80000000, v12
	v_lshl_add_u32 v11, v11, 23, v14
	v_or3_b32 v10, v12, v11, v10
.LBB17_1396:
	s_or_b64 exec, exec, s[6:7]
	s_movk_i32 s4, 0xff
	v_and_b32_sdwa v11, v13, s4 dst_sel:DWORD dst_unused:UNUSED_PAD src0_sel:WORD_1 src1_sel:DWORD
	s_movk_i32 s4, 0x7f
	v_cmp_lt_i16_e32 vcc, s4, v11
	s_mov_b64 s[4:5], 0
                                        ; implicit-def: $sgpr10
	s_and_saveexec_b64 s[6:7], vcc
	s_xor_b64 s[6:7], exec, s[6:7]
	s_cbranch_execnz .LBB17_3445
; %bb.1397:
	s_or_saveexec_b64 s[6:7], s[6:7]
	v_mov_b32_e32 v12, s10
	s_xor_b64 exec, exec, s[6:7]
	s_cbranch_execnz .LBB17_3448
.LBB17_1398:
	s_or_b64 exec, exec, s[6:7]
	s_and_saveexec_b64 s[6:7], s[4:5]
	s_cbranch_execz .LBB17_1400
.LBB17_1399:
	v_bfe_u32 v11, v13, 16, 3
	v_ffbh_u32_e32 v15, v11
	v_min_u32_e32 v15, 32, v15
	v_lshrrev_b32_e32 v12, 19, v13
	v_subrev_u32_e32 v16, 28, v15
	v_and_b32_e32 v12, 15, v12
	v_lshlrev_b32_sdwa v16, v16, v13 dst_sel:DWORD dst_unused:UNUSED_PAD src0_sel:DWORD src1_sel:WORD_1
	v_bfe_u32 v14, v13, 19, 4
	v_sub_u32_e32 v15, 29, v15
	v_and_b32_e32 v16, 7, v16
	v_cmp_eq_u16_e32 vcc, 0, v12
	v_cndmask_b32_e32 v11, v11, v16, vcc
	v_cndmask_b32_e32 v12, v14, v15, vcc
	v_lshlrev_b32_e32 v14, 8, v13
	v_mov_b32_e32 v15, 0x3b800000
	v_lshlrev_b32_e32 v11, 20, v11
	v_and_b32_e32 v14, 0x80000000, v14
	v_lshl_add_u32 v12, v12, 23, v15
	v_or3_b32 v12, v14, v12, v11
.LBB17_1400:
	s_or_b64 exec, exec, s[6:7]
	s_nop 0
	v_mfma_f32_16x16x4f32 a[0:3], v10, v12, a[0:3]
	s_movk_i32 s4, 0x7f
	v_cmp_gt_i16_sdwa s[6:7], v17, s4 src0_sel:BYTE_3 src1_sel:DWORD
	s_mov_b64 s[4:5], 0
                                        ; implicit-def: $sgpr10
	s_and_saveexec_b64 s[8:9], s[6:7]
	s_xor_b64 s[6:7], exec, s[8:9]
	s_cbranch_execnz .LBB17_3449
; %bb.1401:
	s_or_saveexec_b64 s[6:7], s[6:7]
	v_mov_b32_e32 v10, s10
	s_xor_b64 exec, exec, s[6:7]
	s_cbranch_execnz .LBB17_3452
.LBB17_1402:
	s_or_b64 exec, exec, s[6:7]
	s_and_saveexec_b64 s[6:7], s[4:5]
	s_cbranch_execz .LBB17_1404
.LBB17_1403:
	v_bfe_u32 v10, v17, 24, 3
	v_ffbh_u32_e32 v15, v10
	v_min_u32_e32 v15, 32, v15
	v_lshrrev_b32_e32 v12, 27, v17
	v_subrev_u32_e32 v16, 28, v15
	v_and_b32_e32 v12, 15, v12
	v_lshlrev_b32_sdwa v16, v16, v17 dst_sel:DWORD dst_unused:UNUSED_PAD src0_sel:DWORD src1_sel:BYTE_3
	v_bfe_u32 v14, v17, 27, 4
	v_sub_u32_e32 v15, 29, v15
	v_and_b32_e32 v16, 7, v16
	v_cmp_eq_u16_e32 vcc, 0, v12
	v_cndmask_b32_e32 v10, v10, v16, vcc
	v_cndmask_b32_e32 v12, v14, v15, vcc
	v_mov_b32_e32 v14, 0x3b800000
	v_and_b32_e32 v11, 0x80000000, v17
	v_lshlrev_b32_e32 v10, 20, v10
	v_lshl_add_u32 v12, v12, 23, v14
	v_or3_b32 v10, v11, v12, v10
.LBB17_1404:
	s_or_b64 exec, exec, s[6:7]
	s_movk_i32 s4, 0x7f
	v_cmp_gt_i16_sdwa s[6:7], v13, s4 src0_sel:BYTE_3 src1_sel:DWORD
	s_mov_b64 s[4:5], 0
                                        ; implicit-def: $sgpr10
	s_and_saveexec_b64 s[8:9], s[6:7]
	s_xor_b64 s[6:7], exec, s[8:9]
	s_cbranch_execnz .LBB17_3453
; %bb.1405:
	s_or_saveexec_b64 s[6:7], s[6:7]
	v_mov_b32_e32 v11, s10
	s_xor_b64 exec, exec, s[6:7]
	s_cbranch_execnz .LBB17_3456
.LBB17_1406:
	s_or_b64 exec, exec, s[6:7]
	s_and_saveexec_b64 s[6:7], s[4:5]
	s_cbranch_execz .LBB17_1408
.LBB17_1407:
	v_bfe_u32 v11, v13, 24, 3
	v_ffbh_u32_e32 v16, v11
	v_min_u32_e32 v16, 32, v16
	v_lshrrev_b32_e32 v14, 27, v13
	v_subrev_u32_e32 v17, 28, v16
	v_and_b32_e32 v12, 0x80000000, v13
	v_and_b32_e32 v14, 15, v14
	v_bfe_u32 v15, v13, 27, 4
	v_lshlrev_b32_sdwa v13, v17, v13 dst_sel:DWORD dst_unused:UNUSED_PAD src0_sel:DWORD src1_sel:BYTE_3
	v_sub_u32_e32 v16, 29, v16
	v_and_b32_e32 v13, 7, v13
	v_cmp_eq_u16_e32 vcc, 0, v14
	v_cndmask_b32_e32 v11, v11, v13, vcc
	v_cndmask_b32_e32 v13, v15, v16, vcc
	v_mov_b32_e32 v14, 0x3b800000
	v_lshlrev_b32_e32 v11, 20, v11
	v_lshl_add_u32 v13, v13, 23, v14
	v_or3_b32 v11, v12, v13, v11
.LBB17_1408:
	s_or_b64 exec, exec, s[6:7]
	s_nop 0
	v_mfma_f32_16x16x4f32 a[0:3], v10, v11, a[0:3]
	s_movk_i32 s4, 0x7f
	v_cmp_gt_i16_sdwa s[6:7], v6, s4 src0_sel:BYTE_0 src1_sel:DWORD
	s_mov_b64 s[4:5], 0
                                        ; implicit-def: $sgpr10
	s_and_saveexec_b64 s[8:9], s[6:7]
	s_xor_b64 s[6:7], exec, s[8:9]
	s_cbranch_execnz .LBB17_3457
; %bb.1409:
	s_or_saveexec_b64 s[6:7], s[6:7]
	v_mov_b32_e32 v10, s10
	s_xor_b64 exec, exec, s[6:7]
	s_cbranch_execnz .LBB17_3460
.LBB17_1410:
	s_or_b64 exec, exec, s[6:7]
	s_and_saveexec_b64 s[6:7], s[4:5]
	s_cbranch_execz .LBB17_1412
.LBB17_1411:
	v_and_b32_e32 v10, 7, v6
	v_ffbh_u32_e32 v12, v10
	v_min_u32_e32 v12, 32, v12
	v_lshrrev_b16_e32 v11, 3, v6
	v_subrev_u32_e32 v13, 28, v12
	v_and_b32_e32 v11, 15, v11
	v_lshlrev_b32_e32 v13, v13, v6
	v_sub_u32_e32 v12, 29, v12
	v_and_b32_e32 v13, 7, v13
	v_cmp_eq_u16_e32 vcc, 0, v11
	v_cndmask_b32_e32 v10, v10, v13, vcc
	v_cndmask_b32_e32 v11, v11, v12, vcc
	v_lshlrev_b32_e32 v12, 24, v6
	v_mov_b32_e32 v13, 0x3b800000
	v_lshlrev_b32_e32 v10, 20, v10
	v_and_b32_e32 v12, 0x80000000, v12
	v_lshl_add_u32 v11, v11, 23, v13
	v_or3_b32 v10, v12, v11, v10
.LBB17_1412:
	s_or_b64 exec, exec, s[6:7]
	s_movk_i32 s4, 0x7f
	v_cmp_gt_i16_sdwa s[6:7], v2, s4 src0_sel:BYTE_0 src1_sel:DWORD
	s_mov_b64 s[4:5], 0
                                        ; implicit-def: $sgpr10
	s_and_saveexec_b64 s[8:9], s[6:7]
	s_xor_b64 s[6:7], exec, s[8:9]
	s_cbranch_execnz .LBB17_3461
; %bb.1413:
	s_or_saveexec_b64 s[6:7], s[6:7]
	v_mov_b32_e32 v11, s10
	s_xor_b64 exec, exec, s[6:7]
	s_cbranch_execnz .LBB17_3464
.LBB17_1414:
	s_or_b64 exec, exec, s[6:7]
	s_and_saveexec_b64 s[6:7], s[4:5]
	s_cbranch_execz .LBB17_1416
.LBB17_1415:
	v_and_b32_e32 v11, 7, v2
	v_ffbh_u32_e32 v13, v11
	v_min_u32_e32 v13, 32, v13
	v_lshrrev_b16_e32 v12, 3, v2
	v_subrev_u32_e32 v14, 28, v13
	v_and_b32_e32 v12, 15, v12
	v_lshlrev_b32_e32 v14, v14, v2
	v_sub_u32_e32 v13, 29, v13
	v_and_b32_e32 v14, 7, v14
	v_cmp_eq_u16_e32 vcc, 0, v12
	v_cndmask_b32_e32 v11, v11, v14, vcc
	v_cndmask_b32_e32 v12, v12, v13, vcc
	v_lshlrev_b32_e32 v13, 24, v2
	v_mov_b32_e32 v14, 0x3b800000
	v_lshlrev_b32_e32 v11, 20, v11
	v_and_b32_e32 v13, 0x80000000, v13
	v_lshl_add_u32 v12, v12, 23, v14
	v_or3_b32 v11, v13, v12, v11
.LBB17_1416:
	s_or_b64 exec, exec, s[6:7]
	s_nop 0
	v_mfma_f32_16x16x4f32 a[0:3], v10, v11, a[0:3]
	v_lshrrev_b32_e32 v11, 8, v6
	s_movk_i32 s4, 0x7f
	v_cmp_gt_i16_sdwa s[6:7], v11, s4 src0_sel:BYTE_0 src1_sel:DWORD
	s_mov_b64 s[4:5], 0
                                        ; implicit-def: $sgpr10
	s_and_saveexec_b64 s[8:9], s[6:7]
	s_xor_b64 s[6:7], exec, s[8:9]
	s_cbranch_execnz .LBB17_3465
; %bb.1417:
	s_or_saveexec_b64 s[6:7], s[6:7]
	v_mov_b32_e32 v10, s10
	s_xor_b64 exec, exec, s[6:7]
	s_cbranch_execnz .LBB17_3468
.LBB17_1418:
	s_or_b64 exec, exec, s[6:7]
	s_and_saveexec_b64 s[6:7], s[4:5]
	s_cbranch_execz .LBB17_1420
.LBB17_1419:
	v_bfe_u32 v10, v6, 8, 3
	v_ffbh_u32_e32 v13, v10
	v_min_u32_e32 v13, 32, v13
	v_lshrrev_b16_e32 v12, 3, v11
	v_subrev_u32_e32 v14, 28, v13
	v_and_b32_e32 v12, 15, v12
	v_lshlrev_b32_e32 v11, v14, v11
	v_sub_u32_e32 v13, 29, v13
	v_and_b32_e32 v11, 7, v11
	v_cmp_eq_u16_e32 vcc, 0, v12
	v_cndmask_b32_e32 v10, v10, v11, vcc
	v_cndmask_b32_e32 v11, v12, v13, vcc
	v_lshlrev_b32_e32 v12, 16, v6
	v_mov_b32_e32 v13, 0x3b800000
	v_lshlrev_b32_e32 v10, 20, v10
	v_and_b32_e32 v12, 0x80000000, v12
	v_lshl_add_u32 v11, v11, 23, v13
	v_or3_b32 v10, v12, v11, v10
.LBB17_1420:
	s_or_b64 exec, exec, s[6:7]
	v_lshrrev_b32_e32 v11, 8, v2
	s_movk_i32 s4, 0x7f
	v_cmp_gt_i16_sdwa s[6:7], v11, s4 src0_sel:BYTE_0 src1_sel:DWORD
	s_mov_b64 s[4:5], 0
                                        ; implicit-def: $sgpr10
	s_and_saveexec_b64 s[8:9], s[6:7]
	s_xor_b64 s[6:7], exec, s[8:9]
	s_cbranch_execnz .LBB17_3469
; %bb.1421:
	s_or_saveexec_b64 s[6:7], s[6:7]
	v_mov_b32_e32 v12, s10
	s_xor_b64 exec, exec, s[6:7]
	s_cbranch_execnz .LBB17_3472
.LBB17_1422:
	s_or_b64 exec, exec, s[6:7]
	s_and_saveexec_b64 s[6:7], s[4:5]
	s_cbranch_execz .LBB17_1424
.LBB17_1423:
	v_bfe_u32 v12, v2, 8, 3
	v_ffbh_u32_e32 v14, v12
	v_min_u32_e32 v14, 32, v14
	v_lshrrev_b16_e32 v13, 3, v11
	v_subrev_u32_e32 v15, 28, v14
	v_and_b32_e32 v13, 15, v13
	v_lshlrev_b32_e32 v11, v15, v11
	v_sub_u32_e32 v14, 29, v14
	v_and_b32_e32 v11, 7, v11
	v_cmp_eq_u16_e32 vcc, 0, v13
	v_cndmask_b32_e32 v11, v12, v11, vcc
	v_cndmask_b32_e32 v12, v13, v14, vcc
	v_lshlrev_b32_e32 v13, 16, v2
	v_mov_b32_e32 v14, 0x3b800000
	v_lshlrev_b32_e32 v11, 20, v11
	v_and_b32_e32 v13, 0x80000000, v13
	v_lshl_add_u32 v12, v12, 23, v14
	v_or3_b32 v12, v13, v12, v11
.LBB17_1424:
	s_or_b64 exec, exec, s[6:7]
	s_nop 0
	v_mfma_f32_16x16x4f32 a[0:3], v10, v12, a[0:3]
	s_movk_i32 s4, 0xff
	v_and_b32_sdwa v11, v6, s4 dst_sel:DWORD dst_unused:UNUSED_PAD src0_sel:WORD_1 src1_sel:DWORD
	s_movk_i32 s4, 0x7f
	v_cmp_lt_i16_e32 vcc, s4, v11
	s_mov_b64 s[4:5], 0
                                        ; implicit-def: $sgpr10
	s_and_saveexec_b64 s[6:7], vcc
	s_xor_b64 s[6:7], exec, s[6:7]
	s_cbranch_execnz .LBB17_3473
; %bb.1425:
	s_or_saveexec_b64 s[6:7], s[6:7]
	v_mov_b32_e32 v10, s10
	s_xor_b64 exec, exec, s[6:7]
	s_cbranch_execnz .LBB17_3476
.LBB17_1426:
	s_or_b64 exec, exec, s[6:7]
	s_and_saveexec_b64 s[6:7], s[4:5]
	s_cbranch_execz .LBB17_1428
.LBB17_1427:
	v_bfe_u32 v10, v6, 16, 3
	v_ffbh_u32_e32 v13, v10
	v_min_u32_e32 v13, 32, v13
	v_lshrrev_b32_e32 v11, 19, v6
	v_subrev_u32_e32 v14, 28, v13
	v_and_b32_e32 v11, 15, v11
	v_lshlrev_b32_sdwa v14, v14, v6 dst_sel:DWORD dst_unused:UNUSED_PAD src0_sel:DWORD src1_sel:WORD_1
	v_bfe_u32 v12, v6, 19, 4
	v_sub_u32_e32 v13, 29, v13
	v_and_b32_e32 v14, 7, v14
	v_cmp_eq_u16_e32 vcc, 0, v11
	v_cndmask_b32_e32 v10, v10, v14, vcc
	v_cndmask_b32_e32 v11, v12, v13, vcc
	v_lshlrev_b32_e32 v12, 8, v6
	v_mov_b32_e32 v13, 0x3b800000
	v_lshlrev_b32_e32 v10, 20, v10
	v_and_b32_e32 v12, 0x80000000, v12
	v_lshl_add_u32 v11, v11, 23, v13
	v_or3_b32 v10, v12, v11, v10
.LBB17_1428:
	s_or_b64 exec, exec, s[6:7]
	s_movk_i32 s4, 0xff
	v_and_b32_sdwa v11, v2, s4 dst_sel:DWORD dst_unused:UNUSED_PAD src0_sel:WORD_1 src1_sel:DWORD
	s_movk_i32 s4, 0x7f
	v_cmp_lt_i16_e32 vcc, s4, v11
	s_mov_b64 s[4:5], 0
                                        ; implicit-def: $sgpr10
	s_and_saveexec_b64 s[6:7], vcc
	s_xor_b64 s[6:7], exec, s[6:7]
	s_cbranch_execnz .LBB17_3477
; %bb.1429:
	s_or_saveexec_b64 s[6:7], s[6:7]
	v_mov_b32_e32 v12, s10
	s_xor_b64 exec, exec, s[6:7]
	s_cbranch_execnz .LBB17_3480
.LBB17_1430:
	s_or_b64 exec, exec, s[6:7]
	s_and_saveexec_b64 s[6:7], s[4:5]
	s_cbranch_execz .LBB17_1432
.LBB17_1431:
	v_bfe_u32 v11, v2, 16, 3
	v_ffbh_u32_e32 v14, v11
	v_min_u32_e32 v14, 32, v14
	v_lshrrev_b32_e32 v12, 19, v2
	v_subrev_u32_e32 v15, 28, v14
	v_and_b32_e32 v12, 15, v12
	v_lshlrev_b32_sdwa v15, v15, v2 dst_sel:DWORD dst_unused:UNUSED_PAD src0_sel:DWORD src1_sel:WORD_1
	v_bfe_u32 v13, v2, 19, 4
	v_sub_u32_e32 v14, 29, v14
	v_and_b32_e32 v15, 7, v15
	v_cmp_eq_u16_e32 vcc, 0, v12
	v_cndmask_b32_e32 v11, v11, v15, vcc
	v_cndmask_b32_e32 v12, v13, v14, vcc
	v_lshlrev_b32_e32 v13, 8, v2
	v_mov_b32_e32 v14, 0x3b800000
	v_lshlrev_b32_e32 v11, 20, v11
	v_and_b32_e32 v13, 0x80000000, v13
	v_lshl_add_u32 v12, v12, 23, v14
	v_or3_b32 v12, v13, v12, v11
.LBB17_1432:
	s_or_b64 exec, exec, s[6:7]
	s_nop 0
	v_mfma_f32_16x16x4f32 a[0:3], v10, v12, a[0:3]
	s_movk_i32 s4, 0x7f
	v_cmp_gt_i16_sdwa s[6:7], v6, s4 src0_sel:BYTE_3 src1_sel:DWORD
	s_mov_b64 s[4:5], 0
                                        ; implicit-def: $sgpr10
	s_and_saveexec_b64 s[8:9], s[6:7]
	s_xor_b64 s[6:7], exec, s[8:9]
	s_cbranch_execnz .LBB17_3481
; %bb.1433:
	s_or_saveexec_b64 s[6:7], s[6:7]
	v_mov_b32_e32 v10, s10
	s_xor_b64 exec, exec, s[6:7]
	s_cbranch_execnz .LBB17_3484
.LBB17_1434:
	s_or_b64 exec, exec, s[6:7]
	s_and_saveexec_b64 s[6:7], s[4:5]
	s_cbranch_execz .LBB17_1436
.LBB17_1435:
	v_bfe_u32 v10, v6, 24, 3
	v_ffbh_u32_e32 v14, v10
	v_min_u32_e32 v14, 32, v14
	v_lshrrev_b32_e32 v12, 27, v6
	v_subrev_u32_e32 v15, 28, v14
	v_and_b32_e32 v11, 0x80000000, v6
	v_and_b32_e32 v12, 15, v12
	v_bfe_u32 v13, v6, 27, 4
	v_lshlrev_b32_sdwa v6, v15, v6 dst_sel:DWORD dst_unused:UNUSED_PAD src0_sel:DWORD src1_sel:BYTE_3
	v_sub_u32_e32 v14, 29, v14
	v_and_b32_e32 v6, 7, v6
	v_cmp_eq_u16_e32 vcc, 0, v12
	v_cndmask_b32_e32 v6, v10, v6, vcc
	v_cndmask_b32_e32 v10, v13, v14, vcc
	v_mov_b32_e32 v12, 0x3b800000
	v_lshlrev_b32_e32 v6, 20, v6
	v_lshl_add_u32 v10, v10, 23, v12
	v_or3_b32 v10, v11, v10, v6
.LBB17_1436:
	s_or_b64 exec, exec, s[6:7]
	s_movk_i32 s4, 0x7f
	v_cmp_gt_i16_sdwa s[6:7], v2, s4 src0_sel:BYTE_3 src1_sel:DWORD
	s_mov_b64 s[4:5], 0
                                        ; implicit-def: $sgpr10
	s_and_saveexec_b64 s[8:9], s[6:7]
	s_xor_b64 s[6:7], exec, s[8:9]
	s_cbranch_execnz .LBB17_3485
; %bb.1437:
	s_or_saveexec_b64 s[6:7], s[6:7]
	v_mov_b32_e32 v6, s10
	s_xor_b64 exec, exec, s[6:7]
	s_cbranch_execnz .LBB17_3488
.LBB17_1438:
	s_or_b64 exec, exec, s[6:7]
	s_and_saveexec_b64 s[6:7], s[4:5]
	s_cbranch_execz .LBB17_1440
.LBB17_1439:
	v_bfe_u32 v6, v2, 24, 3
	v_ffbh_u32_e32 v14, v6
	v_min_u32_e32 v14, 32, v14
	v_lshrrev_b32_e32 v12, 27, v2
	v_subrev_u32_e32 v15, 28, v14
	v_and_b32_e32 v11, 0x80000000, v2
	v_and_b32_e32 v12, 15, v12
	v_bfe_u32 v13, v2, 27, 4
	v_lshlrev_b32_sdwa v2, v15, v2 dst_sel:DWORD dst_unused:UNUSED_PAD src0_sel:DWORD src1_sel:BYTE_3
	v_sub_u32_e32 v14, 29, v14
	v_and_b32_e32 v2, 7, v2
	v_cmp_eq_u16_e32 vcc, 0, v12
	v_cndmask_b32_e32 v2, v6, v2, vcc
	v_cndmask_b32_e32 v6, v13, v14, vcc
	v_mov_b32_e32 v12, 0x3b800000
	v_lshlrev_b32_e32 v2, 20, v2
	v_lshl_add_u32 v6, v6, 23, v12
	v_or3_b32 v6, v11, v6, v2
.LBB17_1440:
	s_or_b64 exec, exec, s[6:7]
	s_nop 0
	v_mfma_f32_16x16x4f32 a[0:3], v10, v6, a[0:3]
	s_movk_i32 s4, 0x7f
	v_cmp_gt_i16_sdwa s[6:7], v7, s4 src0_sel:BYTE_0 src1_sel:DWORD
	s_mov_b64 s[4:5], 0
                                        ; implicit-def: $sgpr10
	s_and_saveexec_b64 s[8:9], s[6:7]
	s_xor_b64 s[6:7], exec, s[8:9]
	s_cbranch_execnz .LBB17_3489
; %bb.1441:
	s_or_saveexec_b64 s[6:7], s[6:7]
	v_mov_b32_e32 v2, s10
	s_xor_b64 exec, exec, s[6:7]
	s_cbranch_execnz .LBB17_3492
.LBB17_1442:
	s_or_b64 exec, exec, s[6:7]
	s_and_saveexec_b64 s[6:7], s[4:5]
	s_cbranch_execz .LBB17_1444
.LBB17_1443:
	v_and_b32_e32 v2, 7, v7
	v_ffbh_u32_e32 v10, v2
	v_min_u32_e32 v10, 32, v10
	v_lshrrev_b16_e32 v6, 3, v7
	v_subrev_u32_e32 v11, 28, v10
	v_and_b32_e32 v6, 15, v6
	v_lshlrev_b32_e32 v11, v11, v7
	v_sub_u32_e32 v10, 29, v10
	v_and_b32_e32 v11, 7, v11
	v_cmp_eq_u16_e32 vcc, 0, v6
	v_cndmask_b32_e32 v2, v2, v11, vcc
	v_cndmask_b32_e32 v6, v6, v10, vcc
	v_lshlrev_b32_e32 v10, 24, v7
	v_mov_b32_e32 v11, 0x3b800000
	v_lshlrev_b32_e32 v2, 20, v2
	v_and_b32_e32 v10, 0x80000000, v10
	v_lshl_add_u32 v6, v6, 23, v11
	v_or3_b32 v2, v10, v6, v2
.LBB17_1444:
	s_or_b64 exec, exec, s[6:7]
	s_movk_i32 s4, 0x7f
	v_cmp_gt_i16_sdwa s[6:7], v3, s4 src0_sel:BYTE_0 src1_sel:DWORD
	s_mov_b64 s[4:5], 0
                                        ; implicit-def: $sgpr10
	s_and_saveexec_b64 s[8:9], s[6:7]
	s_xor_b64 s[6:7], exec, s[8:9]
	s_cbranch_execnz .LBB17_3493
; %bb.1445:
	s_or_saveexec_b64 s[6:7], s[6:7]
	v_mov_b32_e32 v6, s10
	s_xor_b64 exec, exec, s[6:7]
	s_cbranch_execnz .LBB17_3496
.LBB17_1446:
	s_or_b64 exec, exec, s[6:7]
	s_and_saveexec_b64 s[6:7], s[4:5]
	s_cbranch_execz .LBB17_1448
.LBB17_1447:
	v_and_b32_e32 v6, 7, v3
	v_ffbh_u32_e32 v11, v6
	v_min_u32_e32 v11, 32, v11
	v_lshrrev_b16_e32 v10, 3, v3
	v_subrev_u32_e32 v12, 28, v11
	v_and_b32_e32 v10, 15, v10
	v_lshlrev_b32_e32 v12, v12, v3
	v_sub_u32_e32 v11, 29, v11
	v_and_b32_e32 v12, 7, v12
	v_cmp_eq_u16_e32 vcc, 0, v10
	v_cndmask_b32_e32 v6, v6, v12, vcc
	v_cndmask_b32_e32 v10, v10, v11, vcc
	v_lshlrev_b32_e32 v11, 24, v3
	v_mov_b32_e32 v12, 0x3b800000
	v_lshlrev_b32_e32 v6, 20, v6
	v_and_b32_e32 v11, 0x80000000, v11
	v_lshl_add_u32 v10, v10, 23, v12
	v_or3_b32 v6, v11, v10, v6
.LBB17_1448:
	s_or_b64 exec, exec, s[6:7]
	s_nop 0
	v_mfma_f32_16x16x4f32 a[0:3], v2, v6, a[0:3]
	v_lshrrev_b32_e32 v6, 8, v7
	s_movk_i32 s4, 0x7f
	v_cmp_gt_i16_sdwa s[6:7], v6, s4 src0_sel:BYTE_0 src1_sel:DWORD
	s_mov_b64 s[4:5], 0
                                        ; implicit-def: $sgpr10
	s_and_saveexec_b64 s[8:9], s[6:7]
	s_xor_b64 s[6:7], exec, s[8:9]
	s_cbranch_execnz .LBB17_3497
; %bb.1449:
	s_or_saveexec_b64 s[6:7], s[6:7]
	v_mov_b32_e32 v2, s10
	s_xor_b64 exec, exec, s[6:7]
	s_cbranch_execnz .LBB17_3500
.LBB17_1450:
	s_or_b64 exec, exec, s[6:7]
	s_and_saveexec_b64 s[6:7], s[4:5]
	s_cbranch_execz .LBB17_1452
.LBB17_1451:
	v_bfe_u32 v2, v7, 8, 3
	v_ffbh_u32_e32 v11, v2
	v_min_u32_e32 v11, 32, v11
	v_lshrrev_b16_e32 v10, 3, v6
	v_subrev_u32_e32 v12, 28, v11
	v_and_b32_e32 v10, 15, v10
	v_lshlrev_b32_e32 v6, v12, v6
	v_sub_u32_e32 v11, 29, v11
	v_and_b32_e32 v6, 7, v6
	v_cmp_eq_u16_e32 vcc, 0, v10
	v_cndmask_b32_e32 v2, v2, v6, vcc
	v_cndmask_b32_e32 v6, v10, v11, vcc
	v_lshlrev_b32_e32 v10, 16, v7
	v_mov_b32_e32 v11, 0x3b800000
	v_lshlrev_b32_e32 v2, 20, v2
	v_and_b32_e32 v10, 0x80000000, v10
	v_lshl_add_u32 v6, v6, 23, v11
	v_or3_b32 v2, v10, v6, v2
.LBB17_1452:
	s_or_b64 exec, exec, s[6:7]
	v_lshrrev_b32_e32 v6, 8, v3
	s_movk_i32 s4, 0x7f
	v_cmp_gt_i16_sdwa s[6:7], v6, s4 src0_sel:BYTE_0 src1_sel:DWORD
	s_mov_b64 s[4:5], 0
                                        ; implicit-def: $sgpr10
	s_and_saveexec_b64 s[8:9], s[6:7]
	s_xor_b64 s[6:7], exec, s[8:9]
	s_cbranch_execnz .LBB17_3501
; %bb.1453:
	s_or_saveexec_b64 s[6:7], s[6:7]
	v_mov_b32_e32 v10, s10
	s_xor_b64 exec, exec, s[6:7]
	s_cbranch_execnz .LBB17_3504
.LBB17_1454:
	s_or_b64 exec, exec, s[6:7]
	s_and_saveexec_b64 s[6:7], s[4:5]
	s_cbranch_execz .LBB17_1456
.LBB17_1455:
	v_bfe_u32 v10, v3, 8, 3
	v_ffbh_u32_e32 v12, v10
	v_min_u32_e32 v12, 32, v12
	v_lshrrev_b16_e32 v11, 3, v6
	v_subrev_u32_e32 v13, 28, v12
	v_and_b32_e32 v11, 15, v11
	v_lshlrev_b32_e32 v6, v13, v6
	v_sub_u32_e32 v12, 29, v12
	v_and_b32_e32 v6, 7, v6
	v_cmp_eq_u16_e32 vcc, 0, v11
	v_cndmask_b32_e32 v6, v10, v6, vcc
	v_cndmask_b32_e32 v10, v11, v12, vcc
	v_lshlrev_b32_e32 v11, 16, v3
	v_mov_b32_e32 v12, 0x3b800000
	v_lshlrev_b32_e32 v6, 20, v6
	v_and_b32_e32 v11, 0x80000000, v11
	v_lshl_add_u32 v10, v10, 23, v12
	v_or3_b32 v10, v11, v10, v6
.LBB17_1456:
	s_or_b64 exec, exec, s[6:7]
	s_nop 0
	v_mfma_f32_16x16x4f32 a[0:3], v2, v10, a[0:3]
	s_movk_i32 s4, 0xff
	v_and_b32_sdwa v6, v7, s4 dst_sel:DWORD dst_unused:UNUSED_PAD src0_sel:WORD_1 src1_sel:DWORD
	s_movk_i32 s4, 0x7f
	v_cmp_lt_i16_e32 vcc, s4, v6
	s_mov_b64 s[4:5], 0
                                        ; implicit-def: $sgpr10
	s_and_saveexec_b64 s[6:7], vcc
	s_xor_b64 s[6:7], exec, s[6:7]
	s_cbranch_execnz .LBB17_3505
; %bb.1457:
	s_or_saveexec_b64 s[6:7], s[6:7]
	v_mov_b32_e32 v2, s10
	s_xor_b64 exec, exec, s[6:7]
	s_cbranch_execnz .LBB17_3508
.LBB17_1458:
	s_or_b64 exec, exec, s[6:7]
	s_and_saveexec_b64 s[6:7], s[4:5]
	s_cbranch_execz .LBB17_1460
.LBB17_1459:
	v_bfe_u32 v2, v7, 16, 3
	v_ffbh_u32_e32 v11, v2
	v_min_u32_e32 v11, 32, v11
	v_lshrrev_b32_e32 v6, 19, v7
	v_subrev_u32_e32 v12, 28, v11
	v_and_b32_e32 v6, 15, v6
	v_lshlrev_b32_sdwa v12, v12, v7 dst_sel:DWORD dst_unused:UNUSED_PAD src0_sel:DWORD src1_sel:WORD_1
	v_bfe_u32 v10, v7, 19, 4
	v_sub_u32_e32 v11, 29, v11
	v_and_b32_e32 v12, 7, v12
	v_cmp_eq_u16_e32 vcc, 0, v6
	v_cndmask_b32_e32 v2, v2, v12, vcc
	v_cndmask_b32_e32 v6, v10, v11, vcc
	v_lshlrev_b32_e32 v10, 8, v7
	v_mov_b32_e32 v11, 0x3b800000
	v_lshlrev_b32_e32 v2, 20, v2
	v_and_b32_e32 v10, 0x80000000, v10
	v_lshl_add_u32 v6, v6, 23, v11
	v_or3_b32 v2, v10, v6, v2
.LBB17_1460:
	s_or_b64 exec, exec, s[6:7]
	s_movk_i32 s4, 0xff
	v_and_b32_sdwa v6, v3, s4 dst_sel:DWORD dst_unused:UNUSED_PAD src0_sel:WORD_1 src1_sel:DWORD
	s_movk_i32 s4, 0x7f
	v_cmp_lt_i16_e32 vcc, s4, v6
	s_mov_b64 s[4:5], 0
                                        ; implicit-def: $sgpr10
	s_and_saveexec_b64 s[6:7], vcc
	s_xor_b64 s[6:7], exec, s[6:7]
	s_cbranch_execnz .LBB17_3509
; %bb.1461:
	s_or_saveexec_b64 s[6:7], s[6:7]
	v_mov_b32_e32 v10, s10
	s_xor_b64 exec, exec, s[6:7]
	s_cbranch_execnz .LBB17_3512
.LBB17_1462:
	s_or_b64 exec, exec, s[6:7]
	s_and_saveexec_b64 s[6:7], s[4:5]
	s_cbranch_execz .LBB17_1464
.LBB17_1463:
	v_bfe_u32 v6, v3, 16, 3
	v_ffbh_u32_e32 v12, v6
	v_min_u32_e32 v12, 32, v12
	v_lshrrev_b32_e32 v10, 19, v3
	v_subrev_u32_e32 v13, 28, v12
	v_and_b32_e32 v10, 15, v10
	v_lshlrev_b32_sdwa v13, v13, v3 dst_sel:DWORD dst_unused:UNUSED_PAD src0_sel:DWORD src1_sel:WORD_1
	v_bfe_u32 v11, v3, 19, 4
	v_sub_u32_e32 v12, 29, v12
	v_and_b32_e32 v13, 7, v13
	v_cmp_eq_u16_e32 vcc, 0, v10
	v_cndmask_b32_e32 v6, v6, v13, vcc
	v_cndmask_b32_e32 v10, v11, v12, vcc
	v_lshlrev_b32_e32 v11, 8, v3
	v_mov_b32_e32 v12, 0x3b800000
	v_lshlrev_b32_e32 v6, 20, v6
	v_and_b32_e32 v11, 0x80000000, v11
	v_lshl_add_u32 v10, v10, 23, v12
	v_or3_b32 v10, v11, v10, v6
.LBB17_1464:
	s_or_b64 exec, exec, s[6:7]
	s_nop 0
	v_mfma_f32_16x16x4f32 a[0:3], v2, v10, a[0:3]
	s_movk_i32 s4, 0x7f
	v_cmp_gt_i16_sdwa s[6:7], v7, s4 src0_sel:BYTE_3 src1_sel:DWORD
	s_mov_b64 s[4:5], 0
                                        ; implicit-def: $sgpr10
	s_and_saveexec_b64 s[8:9], s[6:7]
	s_xor_b64 s[6:7], exec, s[8:9]
	s_cbranch_execnz .LBB17_3513
; %bb.1465:
	s_or_saveexec_b64 s[6:7], s[6:7]
	v_mov_b32_e32 v2, s10
	s_xor_b64 exec, exec, s[6:7]
	s_cbranch_execnz .LBB17_3516
.LBB17_1466:
	s_or_b64 exec, exec, s[6:7]
	s_and_saveexec_b64 s[6:7], s[4:5]
	s_cbranch_execz .LBB17_1468
.LBB17_1467:
	v_bfe_u32 v2, v7, 24, 3
	v_ffbh_u32_e32 v12, v2
	v_min_u32_e32 v12, 32, v12
	v_lshrrev_b32_e32 v10, 27, v7
	v_subrev_u32_e32 v13, 28, v12
	v_and_b32_e32 v6, 0x80000000, v7
	v_and_b32_e32 v10, 15, v10
	v_bfe_u32 v11, v7, 27, 4
	v_lshlrev_b32_sdwa v7, v13, v7 dst_sel:DWORD dst_unused:UNUSED_PAD src0_sel:DWORD src1_sel:BYTE_3
	v_sub_u32_e32 v12, 29, v12
	v_and_b32_e32 v7, 7, v7
	v_cmp_eq_u16_e32 vcc, 0, v10
	v_cndmask_b32_e32 v2, v2, v7, vcc
	v_cndmask_b32_e32 v7, v11, v12, vcc
	v_mov_b32_e32 v10, 0x3b800000
	v_lshlrev_b32_e32 v2, 20, v2
	v_lshl_add_u32 v7, v7, 23, v10
	v_or3_b32 v2, v6, v7, v2
.LBB17_1468:
	s_or_b64 exec, exec, s[6:7]
	s_movk_i32 s4, 0x7f
	v_cmp_gt_i16_sdwa s[6:7], v3, s4 src0_sel:BYTE_3 src1_sel:DWORD
	s_mov_b64 s[4:5], 0
                                        ; implicit-def: $sgpr10
	s_and_saveexec_b64 s[8:9], s[6:7]
	s_xor_b64 s[6:7], exec, s[8:9]
	s_cbranch_execnz .LBB17_3517
; %bb.1469:
	s_or_saveexec_b64 s[6:7], s[6:7]
	v_mov_b32_e32 v6, s10
	s_xor_b64 exec, exec, s[6:7]
	s_cbranch_execnz .LBB17_3520
.LBB17_1470:
	s_or_b64 exec, exec, s[6:7]
	s_and_saveexec_b64 s[6:7], s[4:5]
	s_cbranch_execz .LBB17_1472
.LBB17_1471:
	v_bfe_u32 v6, v3, 24, 3
	v_ffbh_u32_e32 v12, v6
	v_min_u32_e32 v12, 32, v12
	v_lshrrev_b32_e32 v10, 27, v3
	v_subrev_u32_e32 v13, 28, v12
	v_and_b32_e32 v7, 0x80000000, v3
	v_and_b32_e32 v10, 15, v10
	v_bfe_u32 v11, v3, 27, 4
	v_lshlrev_b32_sdwa v3, v13, v3 dst_sel:DWORD dst_unused:UNUSED_PAD src0_sel:DWORD src1_sel:BYTE_3
	v_sub_u32_e32 v12, 29, v12
	v_and_b32_e32 v3, 7, v3
	v_cmp_eq_u16_e32 vcc, 0, v10
	v_cndmask_b32_e32 v3, v6, v3, vcc
	v_cndmask_b32_e32 v6, v11, v12, vcc
	v_mov_b32_e32 v10, 0x3b800000
	v_lshlrev_b32_e32 v3, 20, v3
	v_lshl_add_u32 v6, v6, 23, v10
	v_or3_b32 v6, v7, v6, v3
.LBB17_1472:
	s_or_b64 exec, exec, s[6:7]
	s_nop 0
	v_mfma_f32_16x16x4f32 a[0:3], v2, v6, a[0:3]
	s_movk_i32 s4, 0x7f
	v_cmp_gt_i16_sdwa s[6:7], v8, s4 src0_sel:BYTE_0 src1_sel:DWORD
	s_mov_b64 s[4:5], 0
                                        ; implicit-def: $sgpr10
	s_and_saveexec_b64 s[8:9], s[6:7]
	s_xor_b64 s[6:7], exec, s[8:9]
	s_cbranch_execnz .LBB17_3521
; %bb.1473:
	s_or_saveexec_b64 s[6:7], s[6:7]
	v_mov_b32_e32 v2, s10
	s_xor_b64 exec, exec, s[6:7]
	s_cbranch_execnz .LBB17_3524
.LBB17_1474:
	s_or_b64 exec, exec, s[6:7]
	s_and_saveexec_b64 s[6:7], s[4:5]
	s_cbranch_execz .LBB17_1476
.LBB17_1475:
	v_and_b32_e32 v2, 7, v8
	v_ffbh_u32_e32 v6, v2
	v_min_u32_e32 v6, 32, v6
	v_lshrrev_b16_e32 v3, 3, v8
	v_subrev_u32_e32 v7, 28, v6
	v_and_b32_e32 v3, 15, v3
	v_lshlrev_b32_e32 v7, v7, v8
	v_sub_u32_e32 v6, 29, v6
	v_and_b32_e32 v7, 7, v7
	v_cmp_eq_u16_e32 vcc, 0, v3
	v_cndmask_b32_e32 v2, v2, v7, vcc
	v_cndmask_b32_e32 v3, v3, v6, vcc
	v_lshlrev_b32_e32 v6, 24, v8
	v_mov_b32_e32 v7, 0x3b800000
	v_lshlrev_b32_e32 v2, 20, v2
	v_and_b32_e32 v6, 0x80000000, v6
	v_lshl_add_u32 v3, v3, 23, v7
	v_or3_b32 v2, v6, v3, v2
.LBB17_1476:
	s_or_b64 exec, exec, s[6:7]
	s_movk_i32 s4, 0x7f
	v_cmp_gt_i16_sdwa s[6:7], v4, s4 src0_sel:BYTE_0 src1_sel:DWORD
	s_mov_b64 s[4:5], 0
                                        ; implicit-def: $sgpr10
	s_and_saveexec_b64 s[8:9], s[6:7]
	s_xor_b64 s[6:7], exec, s[8:9]
	s_cbranch_execnz .LBB17_3525
; %bb.1477:
	s_or_saveexec_b64 s[6:7], s[6:7]
	v_mov_b32_e32 v3, s10
	s_xor_b64 exec, exec, s[6:7]
	s_cbranch_execnz .LBB17_3528
.LBB17_1478:
	s_or_b64 exec, exec, s[6:7]
	s_and_saveexec_b64 s[6:7], s[4:5]
	s_cbranch_execz .LBB17_1480
.LBB17_1479:
	v_and_b32_e32 v3, 7, v4
	v_ffbh_u32_e32 v7, v3
	v_min_u32_e32 v7, 32, v7
	v_lshrrev_b16_e32 v6, 3, v4
	v_subrev_u32_e32 v10, 28, v7
	v_and_b32_e32 v6, 15, v6
	v_lshlrev_b32_e32 v10, v10, v4
	v_sub_u32_e32 v7, 29, v7
	v_and_b32_e32 v10, 7, v10
	v_cmp_eq_u16_e32 vcc, 0, v6
	v_cndmask_b32_e32 v3, v3, v10, vcc
	v_cndmask_b32_e32 v6, v6, v7, vcc
	v_lshlrev_b32_e32 v7, 24, v4
	v_mov_b32_e32 v10, 0x3b800000
	v_lshlrev_b32_e32 v3, 20, v3
	v_and_b32_e32 v7, 0x80000000, v7
	v_lshl_add_u32 v6, v6, 23, v10
	v_or3_b32 v3, v7, v6, v3
.LBB17_1480:
	s_or_b64 exec, exec, s[6:7]
	s_nop 0
	v_mfma_f32_16x16x4f32 a[0:3], v2, v3, a[0:3]
	v_lshrrev_b32_e32 v3, 8, v8
	s_movk_i32 s4, 0x7f
	v_cmp_gt_i16_sdwa s[6:7], v3, s4 src0_sel:BYTE_0 src1_sel:DWORD
	s_mov_b64 s[4:5], 0
                                        ; implicit-def: $sgpr10
	s_and_saveexec_b64 s[8:9], s[6:7]
	s_xor_b64 s[6:7], exec, s[8:9]
	s_cbranch_execnz .LBB17_3529
; %bb.1481:
	s_or_saveexec_b64 s[6:7], s[6:7]
	v_mov_b32_e32 v2, s10
	s_xor_b64 exec, exec, s[6:7]
	s_cbranch_execnz .LBB17_3532
.LBB17_1482:
	s_or_b64 exec, exec, s[6:7]
	s_and_saveexec_b64 s[6:7], s[4:5]
	s_cbranch_execz .LBB17_1484
.LBB17_1483:
	v_bfe_u32 v2, v8, 8, 3
	v_ffbh_u32_e32 v7, v2
	v_min_u32_e32 v7, 32, v7
	v_lshrrev_b16_e32 v6, 3, v3
	v_subrev_u32_e32 v10, 28, v7
	v_and_b32_e32 v6, 15, v6
	v_lshlrev_b32_e32 v3, v10, v3
	v_sub_u32_e32 v7, 29, v7
	v_and_b32_e32 v3, 7, v3
	v_cmp_eq_u16_e32 vcc, 0, v6
	v_cndmask_b32_e32 v2, v2, v3, vcc
	v_cndmask_b32_e32 v3, v6, v7, vcc
	v_lshlrev_b32_e32 v6, 16, v8
	v_mov_b32_e32 v7, 0x3b800000
	v_lshlrev_b32_e32 v2, 20, v2
	v_and_b32_e32 v6, 0x80000000, v6
	v_lshl_add_u32 v3, v3, 23, v7
	v_or3_b32 v2, v6, v3, v2
.LBB17_1484:
	s_or_b64 exec, exec, s[6:7]
	v_lshrrev_b32_e32 v3, 8, v4
	s_movk_i32 s4, 0x7f
	v_cmp_gt_i16_sdwa s[6:7], v3, s4 src0_sel:BYTE_0 src1_sel:DWORD
	s_mov_b64 s[4:5], 0
                                        ; implicit-def: $sgpr10
	s_and_saveexec_b64 s[8:9], s[6:7]
	s_xor_b64 s[6:7], exec, s[8:9]
	s_cbranch_execnz .LBB17_3533
; %bb.1485:
	s_or_saveexec_b64 s[6:7], s[6:7]
	v_mov_b32_e32 v6, s10
	s_xor_b64 exec, exec, s[6:7]
	s_cbranch_execnz .LBB17_3536
.LBB17_1486:
	s_or_b64 exec, exec, s[6:7]
	s_and_saveexec_b64 s[6:7], s[4:5]
	s_cbranch_execz .LBB17_1488
.LBB17_1487:
	v_bfe_u32 v6, v4, 8, 3
	v_ffbh_u32_e32 v10, v6
	v_min_u32_e32 v10, 32, v10
	v_lshrrev_b16_e32 v7, 3, v3
	v_subrev_u32_e32 v11, 28, v10
	v_and_b32_e32 v7, 15, v7
	v_lshlrev_b32_e32 v3, v11, v3
	v_sub_u32_e32 v10, 29, v10
	v_and_b32_e32 v3, 7, v3
	v_cmp_eq_u16_e32 vcc, 0, v7
	v_cndmask_b32_e32 v3, v6, v3, vcc
	v_cndmask_b32_e32 v6, v7, v10, vcc
	v_lshlrev_b32_e32 v7, 16, v4
	v_mov_b32_e32 v10, 0x3b800000
	v_lshlrev_b32_e32 v3, 20, v3
	v_and_b32_e32 v7, 0x80000000, v7
	v_lshl_add_u32 v6, v6, 23, v10
	v_or3_b32 v6, v7, v6, v3
.LBB17_1488:
	s_or_b64 exec, exec, s[6:7]
	s_nop 0
	v_mfma_f32_16x16x4f32 a[0:3], v2, v6, a[0:3]
	s_movk_i32 s4, 0xff
	v_and_b32_sdwa v3, v8, s4 dst_sel:DWORD dst_unused:UNUSED_PAD src0_sel:WORD_1 src1_sel:DWORD
	s_movk_i32 s4, 0x7f
	v_cmp_lt_i16_e32 vcc, s4, v3
	s_mov_b64 s[4:5], 0
                                        ; implicit-def: $sgpr10
	s_and_saveexec_b64 s[6:7], vcc
	s_xor_b64 s[6:7], exec, s[6:7]
	s_cbranch_execnz .LBB17_3537
; %bb.1489:
	s_or_saveexec_b64 s[6:7], s[6:7]
	v_mov_b32_e32 v2, s10
	s_xor_b64 exec, exec, s[6:7]
	s_cbranch_execnz .LBB17_3540
.LBB17_1490:
	s_or_b64 exec, exec, s[6:7]
	s_and_saveexec_b64 s[6:7], s[4:5]
	s_cbranch_execz .LBB17_1492
.LBB17_1491:
	v_bfe_u32 v2, v8, 16, 3
	v_ffbh_u32_e32 v7, v2
	v_min_u32_e32 v7, 32, v7
	v_lshrrev_b32_e32 v3, 19, v8
	v_subrev_u32_e32 v10, 28, v7
	v_and_b32_e32 v3, 15, v3
	v_lshlrev_b32_sdwa v10, v10, v8 dst_sel:DWORD dst_unused:UNUSED_PAD src0_sel:DWORD src1_sel:WORD_1
	v_bfe_u32 v6, v8, 19, 4
	v_sub_u32_e32 v7, 29, v7
	v_and_b32_e32 v10, 7, v10
	v_cmp_eq_u16_e32 vcc, 0, v3
	v_cndmask_b32_e32 v2, v2, v10, vcc
	v_cndmask_b32_e32 v3, v6, v7, vcc
	v_lshlrev_b32_e32 v6, 8, v8
	v_mov_b32_e32 v7, 0x3b800000
	v_lshlrev_b32_e32 v2, 20, v2
	v_and_b32_e32 v6, 0x80000000, v6
	v_lshl_add_u32 v3, v3, 23, v7
	v_or3_b32 v2, v6, v3, v2
.LBB17_1492:
	s_or_b64 exec, exec, s[6:7]
	s_movk_i32 s4, 0xff
	v_and_b32_sdwa v3, v4, s4 dst_sel:DWORD dst_unused:UNUSED_PAD src0_sel:WORD_1 src1_sel:DWORD
	s_movk_i32 s4, 0x7f
	v_cmp_lt_i16_e32 vcc, s4, v3
	s_mov_b64 s[4:5], 0
                                        ; implicit-def: $sgpr10
	s_and_saveexec_b64 s[6:7], vcc
	s_xor_b64 s[6:7], exec, s[6:7]
	s_cbranch_execnz .LBB17_3541
; %bb.1493:
	s_or_saveexec_b64 s[6:7], s[6:7]
	v_mov_b32_e32 v6, s10
	s_xor_b64 exec, exec, s[6:7]
	s_cbranch_execnz .LBB17_3544
.LBB17_1494:
	s_or_b64 exec, exec, s[6:7]
	s_and_saveexec_b64 s[6:7], s[4:5]
	s_cbranch_execz .LBB17_1496
.LBB17_1495:
	v_bfe_u32 v3, v4, 16, 3
	v_ffbh_u32_e32 v10, v3
	v_min_u32_e32 v10, 32, v10
	v_lshrrev_b32_e32 v6, 19, v4
	v_subrev_u32_e32 v11, 28, v10
	v_and_b32_e32 v6, 15, v6
	v_lshlrev_b32_sdwa v11, v11, v4 dst_sel:DWORD dst_unused:UNUSED_PAD src0_sel:DWORD src1_sel:WORD_1
	v_bfe_u32 v7, v4, 19, 4
	v_sub_u32_e32 v10, 29, v10
	v_and_b32_e32 v11, 7, v11
	v_cmp_eq_u16_e32 vcc, 0, v6
	v_cndmask_b32_e32 v3, v3, v11, vcc
	v_cndmask_b32_e32 v6, v7, v10, vcc
	v_lshlrev_b32_e32 v7, 8, v4
	v_mov_b32_e32 v10, 0x3b800000
	v_lshlrev_b32_e32 v3, 20, v3
	v_and_b32_e32 v7, 0x80000000, v7
	v_lshl_add_u32 v6, v6, 23, v10
	v_or3_b32 v6, v7, v6, v3
.LBB17_1496:
	s_or_b64 exec, exec, s[6:7]
	s_nop 0
	v_mfma_f32_16x16x4f32 a[0:3], v2, v6, a[0:3]
	s_movk_i32 s4, 0x7f
	v_cmp_gt_i16_sdwa s[6:7], v8, s4 src0_sel:BYTE_3 src1_sel:DWORD
	s_mov_b64 s[4:5], 0
                                        ; implicit-def: $sgpr10
	s_and_saveexec_b64 s[8:9], s[6:7]
	s_xor_b64 s[6:7], exec, s[8:9]
	s_cbranch_execnz .LBB17_3545
; %bb.1497:
	s_or_saveexec_b64 s[6:7], s[6:7]
	v_mov_b32_e32 v2, s10
	s_xor_b64 exec, exec, s[6:7]
	s_cbranch_execnz .LBB17_3548
.LBB17_1498:
	s_or_b64 exec, exec, s[6:7]
	s_and_saveexec_b64 s[6:7], s[4:5]
	s_cbranch_execz .LBB17_1500
.LBB17_1499:
	v_bfe_u32 v2, v8, 24, 3
	v_ffbh_u32_e32 v10, v2
	v_min_u32_e32 v10, 32, v10
	v_lshrrev_b32_e32 v6, 27, v8
	v_subrev_u32_e32 v11, 28, v10
	v_and_b32_e32 v3, 0x80000000, v8
	v_and_b32_e32 v6, 15, v6
	v_bfe_u32 v7, v8, 27, 4
	v_lshlrev_b32_sdwa v8, v11, v8 dst_sel:DWORD dst_unused:UNUSED_PAD src0_sel:DWORD src1_sel:BYTE_3
	v_sub_u32_e32 v10, 29, v10
	v_and_b32_e32 v8, 7, v8
	v_cmp_eq_u16_e32 vcc, 0, v6
	v_cndmask_b32_e32 v2, v2, v8, vcc
	v_cndmask_b32_e32 v6, v7, v10, vcc
	v_mov_b32_e32 v7, 0x3b800000
	v_lshlrev_b32_e32 v2, 20, v2
	v_lshl_add_u32 v6, v6, 23, v7
	v_or3_b32 v2, v3, v6, v2
.LBB17_1500:
	s_or_b64 exec, exec, s[6:7]
	s_movk_i32 s4, 0x7f
	v_cmp_gt_i16_sdwa s[6:7], v4, s4 src0_sel:BYTE_3 src1_sel:DWORD
	s_mov_b64 s[4:5], 0
                                        ; implicit-def: $sgpr10
	s_and_saveexec_b64 s[8:9], s[6:7]
	s_xor_b64 s[6:7], exec, s[8:9]
	s_cbranch_execnz .LBB17_3549
; %bb.1501:
	s_or_saveexec_b64 s[6:7], s[6:7]
	v_mov_b32_e32 v3, s10
	s_xor_b64 exec, exec, s[6:7]
	s_cbranch_execnz .LBB17_3552
.LBB17_1502:
	s_or_b64 exec, exec, s[6:7]
	s_and_saveexec_b64 s[6:7], s[4:5]
	s_cbranch_execz .LBB17_1504
.LBB17_1503:
	v_bfe_u32 v3, v4, 24, 3
	v_ffbh_u32_e32 v10, v3
	v_min_u32_e32 v10, 32, v10
	v_lshrrev_b32_e32 v7, 27, v4
	v_subrev_u32_e32 v11, 28, v10
	v_and_b32_e32 v6, 0x80000000, v4
	v_and_b32_e32 v7, 15, v7
	v_bfe_u32 v8, v4, 27, 4
	v_lshlrev_b32_sdwa v4, v11, v4 dst_sel:DWORD dst_unused:UNUSED_PAD src0_sel:DWORD src1_sel:BYTE_3
	v_sub_u32_e32 v10, 29, v10
	v_and_b32_e32 v4, 7, v4
	v_cmp_eq_u16_e32 vcc, 0, v7
	v_cndmask_b32_e32 v3, v3, v4, vcc
	v_cndmask_b32_e32 v4, v8, v10, vcc
	v_mov_b32_e32 v7, 0x3b800000
	v_lshlrev_b32_e32 v3, 20, v3
	v_lshl_add_u32 v4, v4, 23, v7
	v_or3_b32 v3, v6, v4, v3
.LBB17_1504:
	s_or_b64 exec, exec, s[6:7]
	s_nop 0
	v_mfma_f32_16x16x4f32 a[0:3], v2, v3, a[0:3]
	s_movk_i32 s4, 0x7f
	v_cmp_gt_i16_sdwa s[6:7], v9, s4 src0_sel:BYTE_0 src1_sel:DWORD
	s_mov_b64 s[4:5], 0
                                        ; implicit-def: $sgpr10
	s_and_saveexec_b64 s[8:9], s[6:7]
	s_xor_b64 s[6:7], exec, s[8:9]
	s_cbranch_execnz .LBB17_3553
; %bb.1505:
	s_or_saveexec_b64 s[6:7], s[6:7]
	v_mov_b32_e32 v2, s10
	s_xor_b64 exec, exec, s[6:7]
	s_cbranch_execnz .LBB17_3556
.LBB17_1506:
	s_or_b64 exec, exec, s[6:7]
	s_and_saveexec_b64 s[6:7], s[4:5]
	s_cbranch_execz .LBB17_1508
.LBB17_1507:
	v_mov_b32_e32 v2, 8
	v_and_b32_e32 v3, 7, v9
	v_lshrrev_b32_sdwa v2, v2, v9 dst_sel:BYTE_1 dst_unused:UNUSED_PAD src0_sel:DWORD src1_sel:DWORD
	v_ffbh_u32_e32 v4, v3
	v_or_b32_sdwa v2, v9, v2 dst_sel:DWORD dst_unused:UNUSED_PAD src0_sel:BYTE_0 src1_sel:DWORD
	v_min_u32_e32 v4, 32, v4
	v_lshrrev_b16_e32 v2, 3, v2
	v_subrev_u32_e32 v6, 28, v4
	v_and_b32_e32 v2, 15, v2
	v_lshlrev_b32_e32 v6, v6, v9
	v_sub_u32_e32 v4, 29, v4
	v_and_b32_e32 v6, 7, v6
	v_cmp_eq_u16_e32 vcc, 0, v2
	v_cndmask_b32_e32 v3, v3, v6, vcc
	v_cndmask_b32_e32 v2, v2, v4, vcc
	v_lshlrev_b32_e32 v4, 24, v9
	v_mov_b32_e32 v6, 0x3b800000
	v_lshlrev_b32_e32 v3, 20, v3
	v_and_b32_e32 v4, 0x80000000, v4
	v_lshl_add_u32 v2, v2, 23, v6
	v_or3_b32 v2, v4, v2, v3
.LBB17_1508:
	s_or_b64 exec, exec, s[6:7]
	s_movk_i32 s4, 0x7f
	v_cmp_gt_i16_sdwa s[6:7], v5, s4 src0_sel:BYTE_0 src1_sel:DWORD
	s_mov_b64 s[4:5], 0
                                        ; implicit-def: $sgpr10
	s_and_saveexec_b64 s[8:9], s[6:7]
	s_xor_b64 s[6:7], exec, s[8:9]
	s_cbranch_execnz .LBB17_3557
; %bb.1509:
	s_or_saveexec_b64 s[6:7], s[6:7]
	v_mov_b32_e32 v3, s10
	s_xor_b64 exec, exec, s[6:7]
	s_cbranch_execnz .LBB17_3560
.LBB17_1510:
	s_or_b64 exec, exec, s[6:7]
	s_and_saveexec_b64 s[6:7], s[4:5]
	s_cbranch_execz .LBB17_1512
.LBB17_1511:
	v_mov_b32_e32 v3, 8
	v_and_b32_e32 v4, 7, v5
	v_lshrrev_b32_sdwa v3, v3, v5 dst_sel:BYTE_1 dst_unused:UNUSED_PAD src0_sel:DWORD src1_sel:DWORD
	v_ffbh_u32_e32 v6, v4
	v_or_b32_sdwa v3, v5, v3 dst_sel:DWORD dst_unused:UNUSED_PAD src0_sel:BYTE_0 src1_sel:DWORD
	v_min_u32_e32 v6, 32, v6
	v_lshrrev_b16_e32 v3, 3, v3
	v_subrev_u32_e32 v7, 28, v6
	v_and_b32_e32 v3, 15, v3
	v_lshlrev_b32_e32 v7, v7, v5
	v_sub_u32_e32 v6, 29, v6
	v_and_b32_e32 v7, 7, v7
	v_cmp_eq_u16_e32 vcc, 0, v3
	v_cndmask_b32_e32 v4, v4, v7, vcc
	v_cndmask_b32_e32 v3, v3, v6, vcc
	v_lshlrev_b32_e32 v6, 24, v5
	v_mov_b32_e32 v7, 0x3b800000
	v_lshlrev_b32_e32 v4, 20, v4
	v_and_b32_e32 v6, 0x80000000, v6
	v_lshl_add_u32 v3, v3, 23, v7
	v_or3_b32 v3, v6, v3, v4
.LBB17_1512:
	s_or_b64 exec, exec, s[6:7]
	s_nop 0
	v_mfma_f32_16x16x4f32 a[0:3], v2, v3, a[0:3]
	v_lshrrev_b32_e32 v3, 8, v9
	s_movk_i32 s4, 0x7f
	v_cmp_gt_i16_sdwa s[6:7], v3, s4 src0_sel:BYTE_0 src1_sel:DWORD
	s_mov_b64 s[4:5], 0
                                        ; implicit-def: $sgpr10
	s_and_saveexec_b64 s[8:9], s[6:7]
	s_xor_b64 s[6:7], exec, s[8:9]
	s_cbranch_execnz .LBB17_3561
; %bb.1513:
	s_or_saveexec_b64 s[6:7], s[6:7]
	v_mov_b32_e32 v2, s10
	s_xor_b64 exec, exec, s[6:7]
	s_cbranch_execnz .LBB17_3564
.LBB17_1514:
	s_or_b64 exec, exec, s[6:7]
	s_and_saveexec_b64 s[6:7], s[4:5]
	s_cbranch_execz .LBB17_1516
.LBB17_1515:
	v_bfe_u32 v2, v9, 8, 3
	v_ffbh_u32_e32 v6, v2
	v_min_u32_e32 v6, 32, v6
	v_lshrrev_b16_e32 v4, 3, v3
	v_subrev_u32_e32 v7, 28, v6
	v_and_b32_e32 v4, 15, v4
	v_lshlrev_b32_e32 v3, v7, v3
	v_sub_u32_e32 v6, 29, v6
	v_and_b32_e32 v3, 7, v3
	v_cmp_eq_u16_e32 vcc, 0, v4
	v_cndmask_b32_e32 v2, v2, v3, vcc
	v_cndmask_b32_e32 v3, v4, v6, vcc
	v_lshlrev_b32_e32 v4, 16, v9
	v_mov_b32_e32 v6, 0x3b800000
	v_lshlrev_b32_e32 v2, 20, v2
	v_and_b32_e32 v4, 0x80000000, v4
	v_lshl_add_u32 v3, v3, 23, v6
	v_or3_b32 v2, v4, v3, v2
.LBB17_1516:
	s_or_b64 exec, exec, s[6:7]
	v_lshrrev_b32_e32 v3, 8, v5
	s_movk_i32 s4, 0x7f
	v_cmp_gt_i16_sdwa s[6:7], v3, s4 src0_sel:BYTE_0 src1_sel:DWORD
	s_mov_b64 s[4:5], 0
                                        ; implicit-def: $sgpr10
	s_and_saveexec_b64 s[8:9], s[6:7]
	s_xor_b64 s[6:7], exec, s[8:9]
	s_cbranch_execnz .LBB17_3565
; %bb.1517:
	s_or_saveexec_b64 s[6:7], s[6:7]
	v_mov_b32_e32 v4, s10
	s_xor_b64 exec, exec, s[6:7]
	s_cbranch_execnz .LBB17_3568
.LBB17_1518:
	s_or_b64 exec, exec, s[6:7]
	s_and_saveexec_b64 s[6:7], s[4:5]
	s_cbranch_execz .LBB17_1520
.LBB17_1519:
	v_bfe_u32 v4, v5, 8, 3
	v_ffbh_u32_e32 v7, v4
	v_min_u32_e32 v7, 32, v7
	v_lshrrev_b16_e32 v6, 3, v3
	v_subrev_u32_e32 v8, 28, v7
	v_and_b32_e32 v6, 15, v6
	v_lshlrev_b32_e32 v3, v8, v3
	v_sub_u32_e32 v7, 29, v7
	v_and_b32_e32 v3, 7, v3
	v_cmp_eq_u16_e32 vcc, 0, v6
	v_cndmask_b32_e32 v3, v4, v3, vcc
	v_cndmask_b32_e32 v4, v6, v7, vcc
	v_lshlrev_b32_e32 v6, 16, v5
	v_mov_b32_e32 v7, 0x3b800000
	v_lshlrev_b32_e32 v3, 20, v3
	v_and_b32_e32 v6, 0x80000000, v6
	v_lshl_add_u32 v4, v4, 23, v7
	v_or3_b32 v4, v6, v4, v3
.LBB17_1520:
	s_or_b64 exec, exec, s[6:7]
	s_nop 0
	v_mfma_f32_16x16x4f32 a[0:3], v2, v4, a[0:3]
	s_movk_i32 s4, 0xff
	v_and_b32_sdwa v3, v9, s4 dst_sel:DWORD dst_unused:UNUSED_PAD src0_sel:WORD_1 src1_sel:DWORD
	s_movk_i32 s4, 0x7f
	v_cmp_lt_i16_e32 vcc, s4, v3
	s_mov_b64 s[4:5], 0
                                        ; implicit-def: $sgpr10
	s_and_saveexec_b64 s[6:7], vcc
	s_xor_b64 s[6:7], exec, s[6:7]
	s_cbranch_execnz .LBB17_3569
; %bb.1521:
	s_or_saveexec_b64 s[6:7], s[6:7]
	v_mov_b32_e32 v2, s10
	s_xor_b64 exec, exec, s[6:7]
	s_cbranch_execnz .LBB17_3572
.LBB17_1522:
	s_or_b64 exec, exec, s[6:7]
	s_and_saveexec_b64 s[6:7], s[4:5]
	s_cbranch_execz .LBB17_1524
.LBB17_1523:
	v_bfe_u32 v2, v9, 16, 3
	v_ffbh_u32_e32 v6, v2
	v_min_u32_e32 v6, 32, v6
	v_lshrrev_b32_e32 v3, 19, v9
	v_subrev_u32_e32 v7, 28, v6
	v_and_b32_e32 v3, 15, v3
	v_lshlrev_b32_sdwa v7, v7, v9 dst_sel:DWORD dst_unused:UNUSED_PAD src0_sel:DWORD src1_sel:WORD_1
	v_bfe_u32 v4, v9, 19, 4
	v_sub_u32_e32 v6, 29, v6
	v_and_b32_e32 v7, 7, v7
	v_cmp_eq_u16_e32 vcc, 0, v3
	v_cndmask_b32_e32 v2, v2, v7, vcc
	v_cndmask_b32_e32 v3, v4, v6, vcc
	v_lshlrev_b32_e32 v4, 8, v9
	v_mov_b32_e32 v6, 0x3b800000
	v_lshlrev_b32_e32 v2, 20, v2
	v_and_b32_e32 v4, 0x80000000, v4
	v_lshl_add_u32 v3, v3, 23, v6
	v_or3_b32 v2, v4, v3, v2
.LBB17_1524:
	s_or_b64 exec, exec, s[6:7]
	s_movk_i32 s4, 0xff
	v_and_b32_sdwa v3, v5, s4 dst_sel:DWORD dst_unused:UNUSED_PAD src0_sel:WORD_1 src1_sel:DWORD
	s_movk_i32 s4, 0x7f
	v_cmp_lt_i16_e32 vcc, s4, v3
	s_mov_b64 s[4:5], 0
                                        ; implicit-def: $sgpr10
	s_and_saveexec_b64 s[6:7], vcc
	s_xor_b64 s[6:7], exec, s[6:7]
	s_cbranch_execnz .LBB17_3573
; %bb.1525:
	s_or_saveexec_b64 s[6:7], s[6:7]
	v_mov_b32_e32 v4, s10
	s_xor_b64 exec, exec, s[6:7]
	s_cbranch_execnz .LBB17_3576
.LBB17_1526:
	s_or_b64 exec, exec, s[6:7]
	s_and_saveexec_b64 s[6:7], s[4:5]
	s_cbranch_execz .LBB17_1528
.LBB17_1527:
	v_bfe_u32 v3, v5, 16, 3
	v_ffbh_u32_e32 v7, v3
	v_min_u32_e32 v7, 32, v7
	v_lshrrev_b32_e32 v4, 19, v5
	v_subrev_u32_e32 v8, 28, v7
	v_and_b32_e32 v4, 15, v4
	v_lshlrev_b32_sdwa v8, v8, v5 dst_sel:DWORD dst_unused:UNUSED_PAD src0_sel:DWORD src1_sel:WORD_1
	v_bfe_u32 v6, v5, 19, 4
	v_sub_u32_e32 v7, 29, v7
	v_and_b32_e32 v8, 7, v8
	v_cmp_eq_u16_e32 vcc, 0, v4
	v_cndmask_b32_e32 v3, v3, v8, vcc
	v_cndmask_b32_e32 v4, v6, v7, vcc
	v_lshlrev_b32_e32 v6, 8, v5
	v_mov_b32_e32 v7, 0x3b800000
	v_lshlrev_b32_e32 v3, 20, v3
	v_and_b32_e32 v6, 0x80000000, v6
	v_lshl_add_u32 v4, v4, 23, v7
	v_or3_b32 v4, v6, v4, v3
.LBB17_1528:
	s_or_b64 exec, exec, s[6:7]
	s_nop 0
	v_mfma_f32_16x16x4f32 a[0:3], v2, v4, a[0:3]
	s_movk_i32 s4, 0x7f
	v_cmp_gt_i16_sdwa s[6:7], v9, s4 src0_sel:BYTE_3 src1_sel:DWORD
	s_mov_b64 s[4:5], 0
                                        ; implicit-def: $sgpr10
	s_and_saveexec_b64 s[8:9], s[6:7]
	s_xor_b64 s[6:7], exec, s[8:9]
	s_cbranch_execnz .LBB17_3577
; %bb.1529:
	s_or_saveexec_b64 s[6:7], s[6:7]
	v_mov_b32_e32 v2, s10
	s_xor_b64 exec, exec, s[6:7]
	s_cbranch_execnz .LBB17_3580
.LBB17_1530:
	s_or_b64 exec, exec, s[6:7]
	s_and_saveexec_b64 s[6:7], s[4:5]
	s_cbranch_execz .LBB17_1532
.LBB17_1531:
	v_bfe_u32 v2, v9, 24, 3
	v_ffbh_u32_e32 v7, v2
	v_min_u32_e32 v7, 32, v7
	v_lshrrev_b32_e32 v4, 27, v9
	v_subrev_u32_e32 v8, 28, v7
	v_and_b32_e32 v4, 15, v4
	v_lshlrev_b32_sdwa v8, v8, v9 dst_sel:DWORD dst_unused:UNUSED_PAD src0_sel:DWORD src1_sel:BYTE_3
	v_bfe_u32 v6, v9, 27, 4
	v_sub_u32_e32 v7, 29, v7
	v_and_b32_e32 v8, 7, v8
	v_cmp_eq_u16_e32 vcc, 0, v4
	v_cndmask_b32_e32 v2, v2, v8, vcc
	v_cndmask_b32_e32 v4, v6, v7, vcc
	v_mov_b32_e32 v6, 0x3b800000
	v_and_b32_e32 v3, 0x80000000, v9
	v_lshlrev_b32_e32 v2, 20, v2
	v_lshl_add_u32 v4, v4, 23, v6
	v_or3_b32 v2, v3, v4, v2
.LBB17_1532:
	s_or_b64 exec, exec, s[6:7]
	s_movk_i32 s4, 0x7f
	v_cmp_gt_i16_sdwa s[6:7], v5, s4 src0_sel:BYTE_3 src1_sel:DWORD
	s_mov_b64 s[4:5], 0
                                        ; implicit-def: $sgpr10
	s_and_saveexec_b64 s[8:9], s[6:7]
	s_xor_b64 s[6:7], exec, s[8:9]
	s_cbranch_execnz .LBB17_3581
; %bb.1533:
	s_or_saveexec_b64 s[6:7], s[6:7]
	v_mov_b32_e32 v3, s10
	s_xor_b64 exec, exec, s[6:7]
	s_cbranch_execnz .LBB17_3584
.LBB17_1534:
	s_or_b64 exec, exec, s[6:7]
	s_and_saveexec_b64 s[6:7], s[4:5]
	s_cbranch_execz .LBB17_1536
.LBB17_1535:
	v_bfe_u32 v3, v5, 24, 3
	v_ffbh_u32_e32 v8, v3
	v_min_u32_e32 v8, 32, v8
	v_lshrrev_b32_e32 v6, 27, v5
	v_subrev_u32_e32 v9, 28, v8
	v_and_b32_e32 v4, 0x80000000, v5
	v_and_b32_e32 v6, 15, v6
	v_bfe_u32 v7, v5, 27, 4
	v_lshlrev_b32_sdwa v5, v9, v5 dst_sel:DWORD dst_unused:UNUSED_PAD src0_sel:DWORD src1_sel:BYTE_3
	v_sub_u32_e32 v8, 29, v8
	v_and_b32_e32 v5, 7, v5
	v_cmp_eq_u16_e32 vcc, 0, v6
	v_cndmask_b32_e32 v3, v3, v5, vcc
	v_cndmask_b32_e32 v5, v7, v8, vcc
	v_mov_b32_e32 v6, 0x3b800000
	v_lshlrev_b32_e32 v3, 20, v3
	v_lshl_add_u32 v5, v5, 23, v6
	v_or3_b32 v3, v4, v5, v3
.LBB17_1536:
	s_or_b64 exec, exec, s[6:7]
	s_nop 0
	v_mfma_f32_16x16x4f32 a[0:3], v2, v3, a[0:3]
	s_movk_i32 s4, 0x7f
                                        ; implicit-def: $sgpr10
	s_nop 7
	s_nop 1
	flat_store_dwordx4 v[18:19], a[0:3] offset:976
	flat_load_dwordx4 v[20:23], v[0:1] offset:16
	s_nop 0
	flat_load_dwordx2 v[18:19], v[0:1] offset:32
	s_waitcnt vmcnt(0) lgkmcnt(0)
	flat_load_dwordx4 v[14:17], v[20:21] offset:32
	flat_load_dwordx4 v[6:9], v[20:21] offset:48
	;; [unrolled: 1-line block ×4, first 2 shown]
	s_waitcnt vmcnt(0) lgkmcnt(0)
	v_cmp_gt_i16_sdwa s[6:7], v14, s4 src0_sel:BYTE_0 src1_sel:DWORD
	s_mov_b64 s[4:5], 0
	s_and_saveexec_b64 s[8:9], s[6:7]
	s_xor_b64 s[6:7], exec, s[8:9]
	s_cbranch_execnz .LBB17_3585
; %bb.1537:
	s_or_saveexec_b64 s[6:7], s[6:7]
	v_mov_b32_e32 v20, s10
	s_xor_b64 exec, exec, s[6:7]
	s_cbranch_execnz .LBB17_3588
.LBB17_1538:
	s_or_b64 exec, exec, s[6:7]
	s_and_saveexec_b64 s[6:7], s[4:5]
	s_cbranch_execz .LBB17_1540
.LBB17_1539:
	v_and_b32_e32 v20, 7, v14
	v_ffbh_u32_e32 v22, v20
	v_min_u32_e32 v22, 32, v22
	v_lshrrev_b16_e32 v21, 3, v14
	v_subrev_u32_e32 v23, 28, v22
	v_and_b32_e32 v21, 15, v21
	v_lshlrev_b32_e32 v23, v23, v14
	v_sub_u32_e32 v22, 29, v22
	v_and_b32_e32 v23, 7, v23
	v_cmp_eq_u16_e32 vcc, 0, v21
	v_cndmask_b32_e32 v20, v20, v23, vcc
	v_cndmask_b32_e32 v21, v21, v22, vcc
	v_lshlrev_b32_e32 v22, 24, v14
	v_mov_b32_e32 v23, 0x3b800000
	v_lshlrev_b32_e32 v20, 20, v20
	v_and_b32_e32 v22, 0x80000000, v22
	v_lshl_add_u32 v21, v21, 23, v23
	v_or3_b32 v20, v22, v21, v20
.LBB17_1540:
	s_or_b64 exec, exec, s[6:7]
	s_movk_i32 s4, 0x7f
	v_cmp_gt_i16_sdwa s[6:7], v10, s4 src0_sel:BYTE_0 src1_sel:DWORD
	s_mov_b64 s[4:5], 0
                                        ; implicit-def: $sgpr10
	s_and_saveexec_b64 s[8:9], s[6:7]
	s_xor_b64 s[6:7], exec, s[8:9]
	s_cbranch_execnz .LBB17_3589
; %bb.1541:
	s_or_saveexec_b64 s[6:7], s[6:7]
	v_mov_b32_e32 v21, s10
	s_xor_b64 exec, exec, s[6:7]
	s_cbranch_execnz .LBB17_3592
.LBB17_1542:
	s_or_b64 exec, exec, s[6:7]
	s_and_saveexec_b64 s[6:7], s[4:5]
	s_cbranch_execz .LBB17_1544
.LBB17_1543:
	v_and_b32_e32 v21, 7, v10
	v_ffbh_u32_e32 v23, v21
	v_min_u32_e32 v23, 32, v23
	v_lshrrev_b16_e32 v22, 3, v10
	v_subrev_u32_e32 v24, 28, v23
	v_and_b32_e32 v22, 15, v22
	v_lshlrev_b32_e32 v24, v24, v10
	v_sub_u32_e32 v23, 29, v23
	v_and_b32_e32 v24, 7, v24
	v_cmp_eq_u16_e32 vcc, 0, v22
	v_cndmask_b32_e32 v21, v21, v24, vcc
	v_cndmask_b32_e32 v22, v22, v23, vcc
	v_lshlrev_b32_e32 v23, 24, v10
	v_mov_b32_e32 v24, 0x3b800000
	v_lshlrev_b32_e32 v21, 20, v21
	v_and_b32_e32 v23, 0x80000000, v23
	v_lshl_add_u32 v22, v22, 23, v24
	v_or3_b32 v21, v23, v22, v21
.LBB17_1544:
	s_or_b64 exec, exec, s[6:7]
	flat_load_dwordx4 a[0:3], v[18:19] offset:992
	s_movk_i32 s4, 0x7f
                                        ; implicit-def: $sgpr10
	s_waitcnt vmcnt(0) lgkmcnt(0)
	v_mfma_f32_16x16x4f32 a[0:3], v20, v21, a[0:3]
	v_lshrrev_b32_e32 v21, 8, v14
	v_cmp_gt_i16_sdwa s[6:7], v21, s4 src0_sel:BYTE_0 src1_sel:DWORD
	s_mov_b64 s[4:5], 0
	s_and_saveexec_b64 s[8:9], s[6:7]
	s_xor_b64 s[6:7], exec, s[8:9]
	s_cbranch_execnz .LBB17_3593
; %bb.1545:
	s_or_saveexec_b64 s[6:7], s[6:7]
	v_mov_b32_e32 v20, s10
	s_xor_b64 exec, exec, s[6:7]
	s_cbranch_execnz .LBB17_3596
.LBB17_1546:
	s_or_b64 exec, exec, s[6:7]
	s_and_saveexec_b64 s[6:7], s[4:5]
	s_cbranch_execz .LBB17_1548
.LBB17_1547:
	v_bfe_u32 v20, v14, 8, 3
	v_ffbh_u32_e32 v23, v20
	v_min_u32_e32 v23, 32, v23
	v_lshrrev_b16_e32 v22, 3, v21
	v_subrev_u32_e32 v24, 28, v23
	v_and_b32_e32 v22, 15, v22
	v_lshlrev_b32_e32 v21, v24, v21
	v_sub_u32_e32 v23, 29, v23
	v_and_b32_e32 v21, 7, v21
	v_cmp_eq_u16_e32 vcc, 0, v22
	v_cndmask_b32_e32 v20, v20, v21, vcc
	v_cndmask_b32_e32 v21, v22, v23, vcc
	v_lshlrev_b32_e32 v22, 16, v14
	v_mov_b32_e32 v23, 0x3b800000
	v_lshlrev_b32_e32 v20, 20, v20
	v_and_b32_e32 v22, 0x80000000, v22
	v_lshl_add_u32 v21, v21, 23, v23
	v_or3_b32 v20, v22, v21, v20
.LBB17_1548:
	s_or_b64 exec, exec, s[6:7]
	v_lshrrev_b32_e32 v21, 8, v10
	s_movk_i32 s4, 0x7f
	v_cmp_gt_i16_sdwa s[6:7], v21, s4 src0_sel:BYTE_0 src1_sel:DWORD
	s_mov_b64 s[4:5], 0
                                        ; implicit-def: $sgpr10
	s_and_saveexec_b64 s[8:9], s[6:7]
	s_xor_b64 s[6:7], exec, s[8:9]
	s_cbranch_execnz .LBB17_3597
; %bb.1549:
	s_or_saveexec_b64 s[6:7], s[6:7]
	v_mov_b32_e32 v22, s10
	s_xor_b64 exec, exec, s[6:7]
	s_cbranch_execnz .LBB17_3600
.LBB17_1550:
	s_or_b64 exec, exec, s[6:7]
	s_and_saveexec_b64 s[6:7], s[4:5]
	s_cbranch_execz .LBB17_1552
.LBB17_1551:
	v_bfe_u32 v22, v10, 8, 3
	v_ffbh_u32_e32 v24, v22
	v_min_u32_e32 v24, 32, v24
	v_lshrrev_b16_e32 v23, 3, v21
	v_subrev_u32_e32 v25, 28, v24
	v_and_b32_e32 v23, 15, v23
	v_lshlrev_b32_e32 v21, v25, v21
	v_sub_u32_e32 v24, 29, v24
	v_and_b32_e32 v21, 7, v21
	v_cmp_eq_u16_e32 vcc, 0, v23
	v_cndmask_b32_e32 v21, v22, v21, vcc
	v_cndmask_b32_e32 v22, v23, v24, vcc
	v_lshlrev_b32_e32 v23, 16, v10
	v_mov_b32_e32 v24, 0x3b800000
	v_lshlrev_b32_e32 v21, 20, v21
	v_and_b32_e32 v23, 0x80000000, v23
	v_lshl_add_u32 v22, v22, 23, v24
	v_or3_b32 v22, v23, v22, v21
.LBB17_1552:
	s_or_b64 exec, exec, s[6:7]
	s_nop 0
	v_mfma_f32_16x16x4f32 a[0:3], v20, v22, a[0:3]
	s_movk_i32 s4, 0xff
	v_and_b32_sdwa v21, v14, s4 dst_sel:DWORD dst_unused:UNUSED_PAD src0_sel:WORD_1 src1_sel:DWORD
	s_movk_i32 s4, 0x7f
	v_cmp_lt_i16_e32 vcc, s4, v21
	s_mov_b64 s[4:5], 0
                                        ; implicit-def: $sgpr10
	s_and_saveexec_b64 s[6:7], vcc
	s_xor_b64 s[6:7], exec, s[6:7]
	s_cbranch_execnz .LBB17_3601
; %bb.1553:
	s_or_saveexec_b64 s[6:7], s[6:7]
	v_mov_b32_e32 v20, s10
	s_xor_b64 exec, exec, s[6:7]
	s_cbranch_execnz .LBB17_3604
.LBB17_1554:
	s_or_b64 exec, exec, s[6:7]
	s_and_saveexec_b64 s[6:7], s[4:5]
	s_cbranch_execz .LBB17_1556
.LBB17_1555:
	v_bfe_u32 v20, v14, 16, 3
	v_ffbh_u32_e32 v23, v20
	v_min_u32_e32 v23, 32, v23
	v_lshrrev_b32_e32 v21, 19, v14
	v_subrev_u32_e32 v24, 28, v23
	v_and_b32_e32 v21, 15, v21
	v_lshlrev_b32_sdwa v24, v24, v14 dst_sel:DWORD dst_unused:UNUSED_PAD src0_sel:DWORD src1_sel:WORD_1
	v_bfe_u32 v22, v14, 19, 4
	v_sub_u32_e32 v23, 29, v23
	v_and_b32_e32 v24, 7, v24
	v_cmp_eq_u16_e32 vcc, 0, v21
	v_cndmask_b32_e32 v20, v20, v24, vcc
	v_cndmask_b32_e32 v21, v22, v23, vcc
	v_lshlrev_b32_e32 v22, 8, v14
	v_mov_b32_e32 v23, 0x3b800000
	v_lshlrev_b32_e32 v20, 20, v20
	v_and_b32_e32 v22, 0x80000000, v22
	v_lshl_add_u32 v21, v21, 23, v23
	v_or3_b32 v20, v22, v21, v20
.LBB17_1556:
	s_or_b64 exec, exec, s[6:7]
	s_movk_i32 s4, 0xff
	v_and_b32_sdwa v21, v10, s4 dst_sel:DWORD dst_unused:UNUSED_PAD src0_sel:WORD_1 src1_sel:DWORD
	s_movk_i32 s4, 0x7f
	v_cmp_lt_i16_e32 vcc, s4, v21
	s_mov_b64 s[4:5], 0
                                        ; implicit-def: $sgpr10
	s_and_saveexec_b64 s[6:7], vcc
	s_xor_b64 s[6:7], exec, s[6:7]
	s_cbranch_execnz .LBB17_3605
; %bb.1557:
	s_or_saveexec_b64 s[6:7], s[6:7]
	v_mov_b32_e32 v22, s10
	s_xor_b64 exec, exec, s[6:7]
	s_cbranch_execnz .LBB17_3608
.LBB17_1558:
	s_or_b64 exec, exec, s[6:7]
	s_and_saveexec_b64 s[6:7], s[4:5]
	s_cbranch_execz .LBB17_1560
.LBB17_1559:
	v_bfe_u32 v21, v10, 16, 3
	v_ffbh_u32_e32 v24, v21
	v_min_u32_e32 v24, 32, v24
	v_lshrrev_b32_e32 v22, 19, v10
	v_subrev_u32_e32 v25, 28, v24
	v_and_b32_e32 v22, 15, v22
	v_lshlrev_b32_sdwa v25, v25, v10 dst_sel:DWORD dst_unused:UNUSED_PAD src0_sel:DWORD src1_sel:WORD_1
	v_bfe_u32 v23, v10, 19, 4
	v_sub_u32_e32 v24, 29, v24
	v_and_b32_e32 v25, 7, v25
	v_cmp_eq_u16_e32 vcc, 0, v22
	v_cndmask_b32_e32 v21, v21, v25, vcc
	v_cndmask_b32_e32 v22, v23, v24, vcc
	v_lshlrev_b32_e32 v23, 8, v10
	v_mov_b32_e32 v24, 0x3b800000
	v_lshlrev_b32_e32 v21, 20, v21
	v_and_b32_e32 v23, 0x80000000, v23
	v_lshl_add_u32 v22, v22, 23, v24
	v_or3_b32 v22, v23, v22, v21
.LBB17_1560:
	s_or_b64 exec, exec, s[6:7]
	s_nop 0
	v_mfma_f32_16x16x4f32 a[0:3], v20, v22, a[0:3]
	s_movk_i32 s4, 0x7f
	v_cmp_gt_i16_sdwa s[6:7], v14, s4 src0_sel:BYTE_3 src1_sel:DWORD
	s_mov_b64 s[4:5], 0
                                        ; implicit-def: $sgpr10
	s_and_saveexec_b64 s[8:9], s[6:7]
	s_xor_b64 s[6:7], exec, s[8:9]
	s_cbranch_execnz .LBB17_3609
; %bb.1561:
	s_or_saveexec_b64 s[6:7], s[6:7]
	v_mov_b32_e32 v20, s10
	s_xor_b64 exec, exec, s[6:7]
	s_cbranch_execnz .LBB17_3612
.LBB17_1562:
	s_or_b64 exec, exec, s[6:7]
	s_and_saveexec_b64 s[6:7], s[4:5]
	s_cbranch_execz .LBB17_1564
.LBB17_1563:
	v_bfe_u32 v20, v14, 24, 3
	v_ffbh_u32_e32 v24, v20
	v_min_u32_e32 v24, 32, v24
	v_lshrrev_b32_e32 v22, 27, v14
	v_subrev_u32_e32 v25, 28, v24
	v_and_b32_e32 v21, 0x80000000, v14
	v_and_b32_e32 v22, 15, v22
	v_bfe_u32 v23, v14, 27, 4
	v_lshlrev_b32_sdwa v14, v25, v14 dst_sel:DWORD dst_unused:UNUSED_PAD src0_sel:DWORD src1_sel:BYTE_3
	v_sub_u32_e32 v24, 29, v24
	v_and_b32_e32 v14, 7, v14
	v_cmp_eq_u16_e32 vcc, 0, v22
	v_cndmask_b32_e32 v14, v20, v14, vcc
	v_cndmask_b32_e32 v20, v23, v24, vcc
	v_mov_b32_e32 v22, 0x3b800000
	v_lshlrev_b32_e32 v14, 20, v14
	v_lshl_add_u32 v20, v20, 23, v22
	v_or3_b32 v20, v21, v20, v14
.LBB17_1564:
	s_or_b64 exec, exec, s[6:7]
	s_movk_i32 s4, 0x7f
	v_cmp_gt_i16_sdwa s[6:7], v10, s4 src0_sel:BYTE_3 src1_sel:DWORD
	s_mov_b64 s[4:5], 0
                                        ; implicit-def: $sgpr10
	s_and_saveexec_b64 s[8:9], s[6:7]
	s_xor_b64 s[6:7], exec, s[8:9]
	s_cbranch_execnz .LBB17_3613
; %bb.1565:
	s_or_saveexec_b64 s[6:7], s[6:7]
	v_mov_b32_e32 v14, s10
	s_xor_b64 exec, exec, s[6:7]
	s_cbranch_execnz .LBB17_3616
.LBB17_1566:
	s_or_b64 exec, exec, s[6:7]
	s_and_saveexec_b64 s[6:7], s[4:5]
	s_cbranch_execz .LBB17_1568
.LBB17_1567:
	v_bfe_u32 v14, v10, 24, 3
	v_ffbh_u32_e32 v24, v14
	v_min_u32_e32 v24, 32, v24
	v_lshrrev_b32_e32 v22, 27, v10
	v_subrev_u32_e32 v25, 28, v24
	v_and_b32_e32 v21, 0x80000000, v10
	v_and_b32_e32 v22, 15, v22
	v_bfe_u32 v23, v10, 27, 4
	v_lshlrev_b32_sdwa v10, v25, v10 dst_sel:DWORD dst_unused:UNUSED_PAD src0_sel:DWORD src1_sel:BYTE_3
	v_sub_u32_e32 v24, 29, v24
	v_and_b32_e32 v10, 7, v10
	v_cmp_eq_u16_e32 vcc, 0, v22
	v_cndmask_b32_e32 v10, v14, v10, vcc
	v_cndmask_b32_e32 v14, v23, v24, vcc
	v_mov_b32_e32 v22, 0x3b800000
	v_lshlrev_b32_e32 v10, 20, v10
	v_lshl_add_u32 v14, v14, 23, v22
	v_or3_b32 v14, v21, v14, v10
.LBB17_1568:
	s_or_b64 exec, exec, s[6:7]
	s_nop 0
	v_mfma_f32_16x16x4f32 a[0:3], v20, v14, a[0:3]
	s_movk_i32 s4, 0x7f
	v_cmp_gt_i16_sdwa s[6:7], v15, s4 src0_sel:BYTE_0 src1_sel:DWORD
	s_mov_b64 s[4:5], 0
                                        ; implicit-def: $sgpr10
	s_and_saveexec_b64 s[8:9], s[6:7]
	s_xor_b64 s[6:7], exec, s[8:9]
	s_cbranch_execnz .LBB17_3617
; %bb.1569:
	s_or_saveexec_b64 s[6:7], s[6:7]
	v_mov_b32_e32 v10, s10
	s_xor_b64 exec, exec, s[6:7]
	s_cbranch_execnz .LBB17_3620
.LBB17_1570:
	s_or_b64 exec, exec, s[6:7]
	s_and_saveexec_b64 s[6:7], s[4:5]
	s_cbranch_execz .LBB17_1572
.LBB17_1571:
	v_and_b32_e32 v10, 7, v15
	v_ffbh_u32_e32 v20, v10
	v_min_u32_e32 v20, 32, v20
	v_lshrrev_b16_e32 v14, 3, v15
	v_subrev_u32_e32 v21, 28, v20
	v_and_b32_e32 v14, 15, v14
	v_lshlrev_b32_e32 v21, v21, v15
	v_sub_u32_e32 v20, 29, v20
	v_and_b32_e32 v21, 7, v21
	v_cmp_eq_u16_e32 vcc, 0, v14
	v_cndmask_b32_e32 v10, v10, v21, vcc
	v_cndmask_b32_e32 v14, v14, v20, vcc
	v_lshlrev_b32_e32 v20, 24, v15
	v_mov_b32_e32 v21, 0x3b800000
	v_lshlrev_b32_e32 v10, 20, v10
	v_and_b32_e32 v20, 0x80000000, v20
	v_lshl_add_u32 v14, v14, 23, v21
	v_or3_b32 v10, v20, v14, v10
.LBB17_1572:
	s_or_b64 exec, exec, s[6:7]
	s_movk_i32 s4, 0x7f
	v_cmp_gt_i16_sdwa s[6:7], v11, s4 src0_sel:BYTE_0 src1_sel:DWORD
	s_mov_b64 s[4:5], 0
                                        ; implicit-def: $sgpr10
	s_and_saveexec_b64 s[8:9], s[6:7]
	s_xor_b64 s[6:7], exec, s[8:9]
	s_cbranch_execnz .LBB17_3621
; %bb.1573:
	s_or_saveexec_b64 s[6:7], s[6:7]
	v_mov_b32_e32 v14, s10
	s_xor_b64 exec, exec, s[6:7]
	s_cbranch_execnz .LBB17_3624
.LBB17_1574:
	s_or_b64 exec, exec, s[6:7]
	s_and_saveexec_b64 s[6:7], s[4:5]
	s_cbranch_execz .LBB17_1576
.LBB17_1575:
	v_and_b32_e32 v14, 7, v11
	v_ffbh_u32_e32 v21, v14
	v_min_u32_e32 v21, 32, v21
	v_lshrrev_b16_e32 v20, 3, v11
	v_subrev_u32_e32 v22, 28, v21
	v_and_b32_e32 v20, 15, v20
	v_lshlrev_b32_e32 v22, v22, v11
	v_sub_u32_e32 v21, 29, v21
	v_and_b32_e32 v22, 7, v22
	v_cmp_eq_u16_e32 vcc, 0, v20
	v_cndmask_b32_e32 v14, v14, v22, vcc
	v_cndmask_b32_e32 v20, v20, v21, vcc
	v_lshlrev_b32_e32 v21, 24, v11
	v_mov_b32_e32 v22, 0x3b800000
	v_lshlrev_b32_e32 v14, 20, v14
	v_and_b32_e32 v21, 0x80000000, v21
	v_lshl_add_u32 v20, v20, 23, v22
	v_or3_b32 v14, v21, v20, v14
.LBB17_1576:
	s_or_b64 exec, exec, s[6:7]
	s_nop 0
	v_mfma_f32_16x16x4f32 a[0:3], v10, v14, a[0:3]
	v_lshrrev_b32_e32 v14, 8, v15
	s_movk_i32 s4, 0x7f
	v_cmp_gt_i16_sdwa s[6:7], v14, s4 src0_sel:BYTE_0 src1_sel:DWORD
	s_mov_b64 s[4:5], 0
                                        ; implicit-def: $sgpr10
	s_and_saveexec_b64 s[8:9], s[6:7]
	s_xor_b64 s[6:7], exec, s[8:9]
	s_cbranch_execnz .LBB17_3625
; %bb.1577:
	s_or_saveexec_b64 s[6:7], s[6:7]
	v_mov_b32_e32 v10, s10
	s_xor_b64 exec, exec, s[6:7]
	s_cbranch_execnz .LBB17_3628
.LBB17_1578:
	s_or_b64 exec, exec, s[6:7]
	s_and_saveexec_b64 s[6:7], s[4:5]
	s_cbranch_execz .LBB17_1580
.LBB17_1579:
	v_bfe_u32 v10, v15, 8, 3
	v_ffbh_u32_e32 v21, v10
	v_min_u32_e32 v21, 32, v21
	v_lshrrev_b16_e32 v20, 3, v14
	v_subrev_u32_e32 v22, 28, v21
	v_and_b32_e32 v20, 15, v20
	v_lshlrev_b32_e32 v14, v22, v14
	v_sub_u32_e32 v21, 29, v21
	v_and_b32_e32 v14, 7, v14
	v_cmp_eq_u16_e32 vcc, 0, v20
	v_cndmask_b32_e32 v10, v10, v14, vcc
	v_cndmask_b32_e32 v14, v20, v21, vcc
	v_lshlrev_b32_e32 v20, 16, v15
	v_mov_b32_e32 v21, 0x3b800000
	v_lshlrev_b32_e32 v10, 20, v10
	v_and_b32_e32 v20, 0x80000000, v20
	v_lshl_add_u32 v14, v14, 23, v21
	v_or3_b32 v10, v20, v14, v10
.LBB17_1580:
	s_or_b64 exec, exec, s[6:7]
	v_lshrrev_b32_e32 v14, 8, v11
	s_movk_i32 s4, 0x7f
	v_cmp_gt_i16_sdwa s[6:7], v14, s4 src0_sel:BYTE_0 src1_sel:DWORD
	s_mov_b64 s[4:5], 0
                                        ; implicit-def: $sgpr10
	s_and_saveexec_b64 s[8:9], s[6:7]
	s_xor_b64 s[6:7], exec, s[8:9]
	s_cbranch_execnz .LBB17_3629
; %bb.1581:
	s_or_saveexec_b64 s[6:7], s[6:7]
	v_mov_b32_e32 v20, s10
	s_xor_b64 exec, exec, s[6:7]
	s_cbranch_execnz .LBB17_3632
.LBB17_1582:
	s_or_b64 exec, exec, s[6:7]
	s_and_saveexec_b64 s[6:7], s[4:5]
	s_cbranch_execz .LBB17_1584
.LBB17_1583:
	v_bfe_u32 v20, v11, 8, 3
	v_ffbh_u32_e32 v22, v20
	v_min_u32_e32 v22, 32, v22
	v_lshrrev_b16_e32 v21, 3, v14
	v_subrev_u32_e32 v23, 28, v22
	v_and_b32_e32 v21, 15, v21
	v_lshlrev_b32_e32 v14, v23, v14
	v_sub_u32_e32 v22, 29, v22
	v_and_b32_e32 v14, 7, v14
	v_cmp_eq_u16_e32 vcc, 0, v21
	v_cndmask_b32_e32 v14, v20, v14, vcc
	v_cndmask_b32_e32 v20, v21, v22, vcc
	v_lshlrev_b32_e32 v21, 16, v11
	v_mov_b32_e32 v22, 0x3b800000
	v_lshlrev_b32_e32 v14, 20, v14
	v_and_b32_e32 v21, 0x80000000, v21
	v_lshl_add_u32 v20, v20, 23, v22
	v_or3_b32 v20, v21, v20, v14
.LBB17_1584:
	s_or_b64 exec, exec, s[6:7]
	s_nop 0
	v_mfma_f32_16x16x4f32 a[0:3], v10, v20, a[0:3]
	s_movk_i32 s4, 0xff
	v_and_b32_sdwa v14, v15, s4 dst_sel:DWORD dst_unused:UNUSED_PAD src0_sel:WORD_1 src1_sel:DWORD
	s_movk_i32 s4, 0x7f
	v_cmp_lt_i16_e32 vcc, s4, v14
	s_mov_b64 s[4:5], 0
                                        ; implicit-def: $sgpr10
	s_and_saveexec_b64 s[6:7], vcc
	s_xor_b64 s[6:7], exec, s[6:7]
	s_cbranch_execnz .LBB17_3633
; %bb.1585:
	s_or_saveexec_b64 s[6:7], s[6:7]
	v_mov_b32_e32 v10, s10
	s_xor_b64 exec, exec, s[6:7]
	s_cbranch_execnz .LBB17_3636
.LBB17_1586:
	s_or_b64 exec, exec, s[6:7]
	s_and_saveexec_b64 s[6:7], s[4:5]
	s_cbranch_execz .LBB17_1588
.LBB17_1587:
	v_bfe_u32 v10, v15, 16, 3
	v_ffbh_u32_e32 v21, v10
	v_min_u32_e32 v21, 32, v21
	v_lshrrev_b32_e32 v14, 19, v15
	v_subrev_u32_e32 v22, 28, v21
	v_and_b32_e32 v14, 15, v14
	v_lshlrev_b32_sdwa v22, v22, v15 dst_sel:DWORD dst_unused:UNUSED_PAD src0_sel:DWORD src1_sel:WORD_1
	v_bfe_u32 v20, v15, 19, 4
	v_sub_u32_e32 v21, 29, v21
	v_and_b32_e32 v22, 7, v22
	v_cmp_eq_u16_e32 vcc, 0, v14
	v_cndmask_b32_e32 v10, v10, v22, vcc
	v_cndmask_b32_e32 v14, v20, v21, vcc
	v_lshlrev_b32_e32 v20, 8, v15
	v_mov_b32_e32 v21, 0x3b800000
	v_lshlrev_b32_e32 v10, 20, v10
	v_and_b32_e32 v20, 0x80000000, v20
	v_lshl_add_u32 v14, v14, 23, v21
	v_or3_b32 v10, v20, v14, v10
.LBB17_1588:
	s_or_b64 exec, exec, s[6:7]
	s_movk_i32 s4, 0xff
	v_and_b32_sdwa v14, v11, s4 dst_sel:DWORD dst_unused:UNUSED_PAD src0_sel:WORD_1 src1_sel:DWORD
	s_movk_i32 s4, 0x7f
	v_cmp_lt_i16_e32 vcc, s4, v14
	s_mov_b64 s[4:5], 0
                                        ; implicit-def: $sgpr10
	s_and_saveexec_b64 s[6:7], vcc
	s_xor_b64 s[6:7], exec, s[6:7]
	s_cbranch_execnz .LBB17_3637
; %bb.1589:
	s_or_saveexec_b64 s[6:7], s[6:7]
	v_mov_b32_e32 v20, s10
	s_xor_b64 exec, exec, s[6:7]
	s_cbranch_execnz .LBB17_3640
.LBB17_1590:
	s_or_b64 exec, exec, s[6:7]
	s_and_saveexec_b64 s[6:7], s[4:5]
	s_cbranch_execz .LBB17_1592
.LBB17_1591:
	v_bfe_u32 v14, v11, 16, 3
	v_ffbh_u32_e32 v22, v14
	v_min_u32_e32 v22, 32, v22
	v_lshrrev_b32_e32 v20, 19, v11
	v_subrev_u32_e32 v23, 28, v22
	v_and_b32_e32 v20, 15, v20
	v_lshlrev_b32_sdwa v23, v23, v11 dst_sel:DWORD dst_unused:UNUSED_PAD src0_sel:DWORD src1_sel:WORD_1
	v_bfe_u32 v21, v11, 19, 4
	v_sub_u32_e32 v22, 29, v22
	v_and_b32_e32 v23, 7, v23
	v_cmp_eq_u16_e32 vcc, 0, v20
	v_cndmask_b32_e32 v14, v14, v23, vcc
	v_cndmask_b32_e32 v20, v21, v22, vcc
	v_lshlrev_b32_e32 v21, 8, v11
	v_mov_b32_e32 v22, 0x3b800000
	v_lshlrev_b32_e32 v14, 20, v14
	v_and_b32_e32 v21, 0x80000000, v21
	v_lshl_add_u32 v20, v20, 23, v22
	v_or3_b32 v20, v21, v20, v14
.LBB17_1592:
	s_or_b64 exec, exec, s[6:7]
	s_nop 0
	v_mfma_f32_16x16x4f32 a[0:3], v10, v20, a[0:3]
	s_movk_i32 s4, 0x7f
	v_cmp_gt_i16_sdwa s[6:7], v15, s4 src0_sel:BYTE_3 src1_sel:DWORD
	s_mov_b64 s[4:5], 0
                                        ; implicit-def: $sgpr10
	s_and_saveexec_b64 s[8:9], s[6:7]
	s_xor_b64 s[6:7], exec, s[8:9]
	s_cbranch_execnz .LBB17_3641
; %bb.1593:
	s_or_saveexec_b64 s[6:7], s[6:7]
	v_mov_b32_e32 v10, s10
	s_xor_b64 exec, exec, s[6:7]
	s_cbranch_execnz .LBB17_3644
.LBB17_1594:
	s_or_b64 exec, exec, s[6:7]
	s_and_saveexec_b64 s[6:7], s[4:5]
	s_cbranch_execz .LBB17_1596
.LBB17_1595:
	v_bfe_u32 v10, v15, 24, 3
	v_ffbh_u32_e32 v22, v10
	v_min_u32_e32 v22, 32, v22
	v_lshrrev_b32_e32 v20, 27, v15
	v_subrev_u32_e32 v23, 28, v22
	v_and_b32_e32 v14, 0x80000000, v15
	v_and_b32_e32 v20, 15, v20
	v_bfe_u32 v21, v15, 27, 4
	v_lshlrev_b32_sdwa v15, v23, v15 dst_sel:DWORD dst_unused:UNUSED_PAD src0_sel:DWORD src1_sel:BYTE_3
	v_sub_u32_e32 v22, 29, v22
	v_and_b32_e32 v15, 7, v15
	v_cmp_eq_u16_e32 vcc, 0, v20
	v_cndmask_b32_e32 v10, v10, v15, vcc
	v_cndmask_b32_e32 v15, v21, v22, vcc
	v_mov_b32_e32 v20, 0x3b800000
	v_lshlrev_b32_e32 v10, 20, v10
	v_lshl_add_u32 v15, v15, 23, v20
	v_or3_b32 v10, v14, v15, v10
.LBB17_1596:
	s_or_b64 exec, exec, s[6:7]
	s_movk_i32 s4, 0x7f
	v_cmp_gt_i16_sdwa s[6:7], v11, s4 src0_sel:BYTE_3 src1_sel:DWORD
	s_mov_b64 s[4:5], 0
                                        ; implicit-def: $sgpr10
	s_and_saveexec_b64 s[8:9], s[6:7]
	s_xor_b64 s[6:7], exec, s[8:9]
	s_cbranch_execnz .LBB17_3645
; %bb.1597:
	s_or_saveexec_b64 s[6:7], s[6:7]
	v_mov_b32_e32 v14, s10
	s_xor_b64 exec, exec, s[6:7]
	s_cbranch_execnz .LBB17_3648
.LBB17_1598:
	s_or_b64 exec, exec, s[6:7]
	s_and_saveexec_b64 s[6:7], s[4:5]
	s_cbranch_execz .LBB17_1600
.LBB17_1599:
	v_bfe_u32 v14, v11, 24, 3
	v_ffbh_u32_e32 v22, v14
	v_min_u32_e32 v22, 32, v22
	v_lshrrev_b32_e32 v20, 27, v11
	v_subrev_u32_e32 v23, 28, v22
	v_and_b32_e32 v15, 0x80000000, v11
	v_and_b32_e32 v20, 15, v20
	v_bfe_u32 v21, v11, 27, 4
	v_lshlrev_b32_sdwa v11, v23, v11 dst_sel:DWORD dst_unused:UNUSED_PAD src0_sel:DWORD src1_sel:BYTE_3
	v_sub_u32_e32 v22, 29, v22
	v_and_b32_e32 v11, 7, v11
	v_cmp_eq_u16_e32 vcc, 0, v20
	v_cndmask_b32_e32 v11, v14, v11, vcc
	v_cndmask_b32_e32 v14, v21, v22, vcc
	v_mov_b32_e32 v20, 0x3b800000
	v_lshlrev_b32_e32 v11, 20, v11
	v_lshl_add_u32 v14, v14, 23, v20
	v_or3_b32 v14, v15, v14, v11
.LBB17_1600:
	s_or_b64 exec, exec, s[6:7]
	s_nop 0
	v_mfma_f32_16x16x4f32 a[0:3], v10, v14, a[0:3]
	s_movk_i32 s4, 0x7f
	v_cmp_gt_i16_sdwa s[6:7], v16, s4 src0_sel:BYTE_0 src1_sel:DWORD
	s_mov_b64 s[4:5], 0
                                        ; implicit-def: $sgpr10
	s_and_saveexec_b64 s[8:9], s[6:7]
	s_xor_b64 s[6:7], exec, s[8:9]
	s_cbranch_execnz .LBB17_3649
; %bb.1601:
	s_or_saveexec_b64 s[6:7], s[6:7]
	v_mov_b32_e32 v10, s10
	s_xor_b64 exec, exec, s[6:7]
	s_cbranch_execnz .LBB17_3652
.LBB17_1602:
	s_or_b64 exec, exec, s[6:7]
	s_and_saveexec_b64 s[6:7], s[4:5]
	s_cbranch_execz .LBB17_1604
.LBB17_1603:
	v_and_b32_e32 v10, 7, v16
	v_ffbh_u32_e32 v14, v10
	v_min_u32_e32 v14, 32, v14
	v_lshrrev_b16_e32 v11, 3, v16
	v_subrev_u32_e32 v15, 28, v14
	v_and_b32_e32 v11, 15, v11
	v_lshlrev_b32_e32 v15, v15, v16
	v_sub_u32_e32 v14, 29, v14
	v_and_b32_e32 v15, 7, v15
	v_cmp_eq_u16_e32 vcc, 0, v11
	v_cndmask_b32_e32 v10, v10, v15, vcc
	v_cndmask_b32_e32 v11, v11, v14, vcc
	v_lshlrev_b32_e32 v14, 24, v16
	v_mov_b32_e32 v15, 0x3b800000
	v_lshlrev_b32_e32 v10, 20, v10
	v_and_b32_e32 v14, 0x80000000, v14
	v_lshl_add_u32 v11, v11, 23, v15
	v_or3_b32 v10, v14, v11, v10
.LBB17_1604:
	s_or_b64 exec, exec, s[6:7]
	s_movk_i32 s4, 0x7f
	v_cmp_gt_i16_sdwa s[6:7], v12, s4 src0_sel:BYTE_0 src1_sel:DWORD
	s_mov_b64 s[4:5], 0
                                        ; implicit-def: $sgpr10
	s_and_saveexec_b64 s[8:9], s[6:7]
	s_xor_b64 s[6:7], exec, s[8:9]
	s_cbranch_execnz .LBB17_3653
; %bb.1605:
	s_or_saveexec_b64 s[6:7], s[6:7]
	v_mov_b32_e32 v11, s10
	s_xor_b64 exec, exec, s[6:7]
	s_cbranch_execnz .LBB17_3656
.LBB17_1606:
	s_or_b64 exec, exec, s[6:7]
	s_and_saveexec_b64 s[6:7], s[4:5]
	s_cbranch_execz .LBB17_1608
.LBB17_1607:
	v_and_b32_e32 v11, 7, v12
	v_ffbh_u32_e32 v15, v11
	v_min_u32_e32 v15, 32, v15
	v_lshrrev_b16_e32 v14, 3, v12
	v_subrev_u32_e32 v20, 28, v15
	v_and_b32_e32 v14, 15, v14
	v_lshlrev_b32_e32 v20, v20, v12
	v_sub_u32_e32 v15, 29, v15
	v_and_b32_e32 v20, 7, v20
	v_cmp_eq_u16_e32 vcc, 0, v14
	v_cndmask_b32_e32 v11, v11, v20, vcc
	v_cndmask_b32_e32 v14, v14, v15, vcc
	v_lshlrev_b32_e32 v15, 24, v12
	v_mov_b32_e32 v20, 0x3b800000
	v_lshlrev_b32_e32 v11, 20, v11
	v_and_b32_e32 v15, 0x80000000, v15
	v_lshl_add_u32 v14, v14, 23, v20
	v_or3_b32 v11, v15, v14, v11
.LBB17_1608:
	s_or_b64 exec, exec, s[6:7]
	s_nop 0
	v_mfma_f32_16x16x4f32 a[0:3], v10, v11, a[0:3]
	v_lshrrev_b32_e32 v11, 8, v16
	s_movk_i32 s4, 0x7f
	v_cmp_gt_i16_sdwa s[6:7], v11, s4 src0_sel:BYTE_0 src1_sel:DWORD
	s_mov_b64 s[4:5], 0
                                        ; implicit-def: $sgpr10
	s_and_saveexec_b64 s[8:9], s[6:7]
	s_xor_b64 s[6:7], exec, s[8:9]
	s_cbranch_execnz .LBB17_3657
; %bb.1609:
	s_or_saveexec_b64 s[6:7], s[6:7]
	v_mov_b32_e32 v10, s10
	s_xor_b64 exec, exec, s[6:7]
	s_cbranch_execnz .LBB17_3660
.LBB17_1610:
	s_or_b64 exec, exec, s[6:7]
	s_and_saveexec_b64 s[6:7], s[4:5]
	s_cbranch_execz .LBB17_1612
.LBB17_1611:
	v_bfe_u32 v10, v16, 8, 3
	v_ffbh_u32_e32 v15, v10
	v_min_u32_e32 v15, 32, v15
	v_lshrrev_b16_e32 v14, 3, v11
	v_subrev_u32_e32 v20, 28, v15
	v_and_b32_e32 v14, 15, v14
	v_lshlrev_b32_e32 v11, v20, v11
	v_sub_u32_e32 v15, 29, v15
	v_and_b32_e32 v11, 7, v11
	v_cmp_eq_u16_e32 vcc, 0, v14
	v_cndmask_b32_e32 v10, v10, v11, vcc
	v_cndmask_b32_e32 v11, v14, v15, vcc
	v_lshlrev_b32_e32 v14, 16, v16
	v_mov_b32_e32 v15, 0x3b800000
	v_lshlrev_b32_e32 v10, 20, v10
	v_and_b32_e32 v14, 0x80000000, v14
	v_lshl_add_u32 v11, v11, 23, v15
	v_or3_b32 v10, v14, v11, v10
.LBB17_1612:
	s_or_b64 exec, exec, s[6:7]
	v_lshrrev_b32_e32 v11, 8, v12
	s_movk_i32 s4, 0x7f
	v_cmp_gt_i16_sdwa s[6:7], v11, s4 src0_sel:BYTE_0 src1_sel:DWORD
	s_mov_b64 s[4:5], 0
                                        ; implicit-def: $sgpr10
	s_and_saveexec_b64 s[8:9], s[6:7]
	s_xor_b64 s[6:7], exec, s[8:9]
	s_cbranch_execnz .LBB17_3661
; %bb.1613:
	s_or_saveexec_b64 s[6:7], s[6:7]
	v_mov_b32_e32 v14, s10
	s_xor_b64 exec, exec, s[6:7]
	s_cbranch_execnz .LBB17_3664
.LBB17_1614:
	s_or_b64 exec, exec, s[6:7]
	s_and_saveexec_b64 s[6:7], s[4:5]
	s_cbranch_execz .LBB17_1616
.LBB17_1615:
	v_bfe_u32 v14, v12, 8, 3
	v_ffbh_u32_e32 v20, v14
	v_min_u32_e32 v20, 32, v20
	v_lshrrev_b16_e32 v15, 3, v11
	v_subrev_u32_e32 v21, 28, v20
	v_and_b32_e32 v15, 15, v15
	v_lshlrev_b32_e32 v11, v21, v11
	v_sub_u32_e32 v20, 29, v20
	v_and_b32_e32 v11, 7, v11
	v_cmp_eq_u16_e32 vcc, 0, v15
	v_cndmask_b32_e32 v11, v14, v11, vcc
	v_cndmask_b32_e32 v14, v15, v20, vcc
	v_lshlrev_b32_e32 v15, 16, v12
	v_mov_b32_e32 v20, 0x3b800000
	v_lshlrev_b32_e32 v11, 20, v11
	v_and_b32_e32 v15, 0x80000000, v15
	v_lshl_add_u32 v14, v14, 23, v20
	v_or3_b32 v14, v15, v14, v11
.LBB17_1616:
	s_or_b64 exec, exec, s[6:7]
	s_nop 0
	v_mfma_f32_16x16x4f32 a[0:3], v10, v14, a[0:3]
	s_movk_i32 s4, 0xff
	v_and_b32_sdwa v11, v16, s4 dst_sel:DWORD dst_unused:UNUSED_PAD src0_sel:WORD_1 src1_sel:DWORD
	s_movk_i32 s4, 0x7f
	v_cmp_lt_i16_e32 vcc, s4, v11
	s_mov_b64 s[4:5], 0
                                        ; implicit-def: $sgpr10
	s_and_saveexec_b64 s[6:7], vcc
	s_xor_b64 s[6:7], exec, s[6:7]
	s_cbranch_execnz .LBB17_3665
; %bb.1617:
	s_or_saveexec_b64 s[6:7], s[6:7]
	v_mov_b32_e32 v10, s10
	s_xor_b64 exec, exec, s[6:7]
	s_cbranch_execnz .LBB17_3668
.LBB17_1618:
	s_or_b64 exec, exec, s[6:7]
	s_and_saveexec_b64 s[6:7], s[4:5]
	s_cbranch_execz .LBB17_1620
.LBB17_1619:
	v_bfe_u32 v10, v16, 16, 3
	v_ffbh_u32_e32 v15, v10
	v_min_u32_e32 v15, 32, v15
	v_lshrrev_b32_e32 v11, 19, v16
	v_subrev_u32_e32 v20, 28, v15
	v_and_b32_e32 v11, 15, v11
	v_lshlrev_b32_sdwa v20, v20, v16 dst_sel:DWORD dst_unused:UNUSED_PAD src0_sel:DWORD src1_sel:WORD_1
	v_bfe_u32 v14, v16, 19, 4
	v_sub_u32_e32 v15, 29, v15
	v_and_b32_e32 v20, 7, v20
	v_cmp_eq_u16_e32 vcc, 0, v11
	v_cndmask_b32_e32 v10, v10, v20, vcc
	v_cndmask_b32_e32 v11, v14, v15, vcc
	v_lshlrev_b32_e32 v14, 8, v16
	v_mov_b32_e32 v15, 0x3b800000
	v_lshlrev_b32_e32 v10, 20, v10
	v_and_b32_e32 v14, 0x80000000, v14
	v_lshl_add_u32 v11, v11, 23, v15
	v_or3_b32 v10, v14, v11, v10
.LBB17_1620:
	s_or_b64 exec, exec, s[6:7]
	s_movk_i32 s4, 0xff
	v_and_b32_sdwa v11, v12, s4 dst_sel:DWORD dst_unused:UNUSED_PAD src0_sel:WORD_1 src1_sel:DWORD
	s_movk_i32 s4, 0x7f
	v_cmp_lt_i16_e32 vcc, s4, v11
	s_mov_b64 s[4:5], 0
                                        ; implicit-def: $sgpr10
	s_and_saveexec_b64 s[6:7], vcc
	s_xor_b64 s[6:7], exec, s[6:7]
	s_cbranch_execnz .LBB17_3669
; %bb.1621:
	s_or_saveexec_b64 s[6:7], s[6:7]
	v_mov_b32_e32 v14, s10
	s_xor_b64 exec, exec, s[6:7]
	s_cbranch_execnz .LBB17_3672
.LBB17_1622:
	s_or_b64 exec, exec, s[6:7]
	s_and_saveexec_b64 s[6:7], s[4:5]
	s_cbranch_execz .LBB17_1624
.LBB17_1623:
	v_bfe_u32 v11, v12, 16, 3
	v_ffbh_u32_e32 v20, v11
	v_min_u32_e32 v20, 32, v20
	v_lshrrev_b32_e32 v14, 19, v12
	v_subrev_u32_e32 v21, 28, v20
	v_and_b32_e32 v14, 15, v14
	v_lshlrev_b32_sdwa v21, v21, v12 dst_sel:DWORD dst_unused:UNUSED_PAD src0_sel:DWORD src1_sel:WORD_1
	v_bfe_u32 v15, v12, 19, 4
	v_sub_u32_e32 v20, 29, v20
	v_and_b32_e32 v21, 7, v21
	v_cmp_eq_u16_e32 vcc, 0, v14
	v_cndmask_b32_e32 v11, v11, v21, vcc
	v_cndmask_b32_e32 v14, v15, v20, vcc
	v_lshlrev_b32_e32 v15, 8, v12
	v_mov_b32_e32 v20, 0x3b800000
	v_lshlrev_b32_e32 v11, 20, v11
	v_and_b32_e32 v15, 0x80000000, v15
	v_lshl_add_u32 v14, v14, 23, v20
	v_or3_b32 v14, v15, v14, v11
.LBB17_1624:
	s_or_b64 exec, exec, s[6:7]
	s_nop 0
	v_mfma_f32_16x16x4f32 a[0:3], v10, v14, a[0:3]
	s_movk_i32 s4, 0x7f
	v_cmp_gt_i16_sdwa s[6:7], v16, s4 src0_sel:BYTE_3 src1_sel:DWORD
	s_mov_b64 s[4:5], 0
                                        ; implicit-def: $sgpr10
	s_and_saveexec_b64 s[8:9], s[6:7]
	s_xor_b64 s[6:7], exec, s[8:9]
	s_cbranch_execnz .LBB17_3673
; %bb.1625:
	s_or_saveexec_b64 s[6:7], s[6:7]
	v_mov_b32_e32 v10, s10
	s_xor_b64 exec, exec, s[6:7]
	s_cbranch_execnz .LBB17_3676
.LBB17_1626:
	s_or_b64 exec, exec, s[6:7]
	s_and_saveexec_b64 s[6:7], s[4:5]
	s_cbranch_execz .LBB17_1628
.LBB17_1627:
	v_bfe_u32 v10, v16, 24, 3
	v_ffbh_u32_e32 v20, v10
	v_min_u32_e32 v20, 32, v20
	v_lshrrev_b32_e32 v14, 27, v16
	v_subrev_u32_e32 v21, 28, v20
	v_and_b32_e32 v11, 0x80000000, v16
	v_and_b32_e32 v14, 15, v14
	v_bfe_u32 v15, v16, 27, 4
	v_lshlrev_b32_sdwa v16, v21, v16 dst_sel:DWORD dst_unused:UNUSED_PAD src0_sel:DWORD src1_sel:BYTE_3
	v_sub_u32_e32 v20, 29, v20
	v_and_b32_e32 v16, 7, v16
	v_cmp_eq_u16_e32 vcc, 0, v14
	v_cndmask_b32_e32 v10, v10, v16, vcc
	v_cndmask_b32_e32 v14, v15, v20, vcc
	v_mov_b32_e32 v15, 0x3b800000
	v_lshlrev_b32_e32 v10, 20, v10
	v_lshl_add_u32 v14, v14, 23, v15
	v_or3_b32 v10, v11, v14, v10
.LBB17_1628:
	s_or_b64 exec, exec, s[6:7]
	s_movk_i32 s4, 0x7f
	v_cmp_gt_i16_sdwa s[6:7], v12, s4 src0_sel:BYTE_3 src1_sel:DWORD
	s_mov_b64 s[4:5], 0
                                        ; implicit-def: $sgpr10
	s_and_saveexec_b64 s[8:9], s[6:7]
	s_xor_b64 s[6:7], exec, s[8:9]
	s_cbranch_execnz .LBB17_3677
; %bb.1629:
	s_or_saveexec_b64 s[6:7], s[6:7]
	v_mov_b32_e32 v11, s10
	s_xor_b64 exec, exec, s[6:7]
	s_cbranch_execnz .LBB17_3680
.LBB17_1630:
	s_or_b64 exec, exec, s[6:7]
	s_and_saveexec_b64 s[6:7], s[4:5]
	s_cbranch_execz .LBB17_1632
.LBB17_1631:
	v_bfe_u32 v11, v12, 24, 3
	v_ffbh_u32_e32 v20, v11
	v_min_u32_e32 v20, 32, v20
	v_lshrrev_b32_e32 v15, 27, v12
	v_subrev_u32_e32 v21, 28, v20
	v_and_b32_e32 v14, 0x80000000, v12
	v_and_b32_e32 v15, 15, v15
	v_bfe_u32 v16, v12, 27, 4
	v_lshlrev_b32_sdwa v12, v21, v12 dst_sel:DWORD dst_unused:UNUSED_PAD src0_sel:DWORD src1_sel:BYTE_3
	v_sub_u32_e32 v20, 29, v20
	v_and_b32_e32 v12, 7, v12
	v_cmp_eq_u16_e32 vcc, 0, v15
	v_cndmask_b32_e32 v11, v11, v12, vcc
	v_cndmask_b32_e32 v12, v16, v20, vcc
	v_mov_b32_e32 v15, 0x3b800000
	v_lshlrev_b32_e32 v11, 20, v11
	v_lshl_add_u32 v12, v12, 23, v15
	v_or3_b32 v11, v14, v12, v11
.LBB17_1632:
	s_or_b64 exec, exec, s[6:7]
	s_nop 0
	v_mfma_f32_16x16x4f32 a[0:3], v10, v11, a[0:3]
	s_movk_i32 s4, 0x7f
	v_cmp_gt_i16_sdwa s[6:7], v17, s4 src0_sel:BYTE_0 src1_sel:DWORD
	s_mov_b64 s[4:5], 0
                                        ; implicit-def: $sgpr10
	s_and_saveexec_b64 s[8:9], s[6:7]
	s_xor_b64 s[6:7], exec, s[8:9]
	s_cbranch_execnz .LBB17_3681
; %bb.1633:
	s_or_saveexec_b64 s[6:7], s[6:7]
	v_mov_b32_e32 v10, s10
	s_xor_b64 exec, exec, s[6:7]
	s_cbranch_execnz .LBB17_3684
.LBB17_1634:
	s_or_b64 exec, exec, s[6:7]
	s_and_saveexec_b64 s[6:7], s[4:5]
	s_cbranch_execz .LBB17_1636
.LBB17_1635:
	v_and_b32_e32 v10, 7, v17
	v_ffbh_u32_e32 v12, v10
	v_min_u32_e32 v12, 32, v12
	v_lshrrev_b16_e32 v11, 3, v17
	v_subrev_u32_e32 v14, 28, v12
	v_and_b32_e32 v11, 15, v11
	v_lshlrev_b32_e32 v14, v14, v17
	v_sub_u32_e32 v12, 29, v12
	v_and_b32_e32 v14, 7, v14
	v_cmp_eq_u16_e32 vcc, 0, v11
	v_cndmask_b32_e32 v10, v10, v14, vcc
	v_cndmask_b32_e32 v11, v11, v12, vcc
	v_lshlrev_b32_e32 v12, 24, v17
	v_mov_b32_e32 v14, 0x3b800000
	v_lshlrev_b32_e32 v10, 20, v10
	v_and_b32_e32 v12, 0x80000000, v12
	v_lshl_add_u32 v11, v11, 23, v14
	v_or3_b32 v10, v12, v11, v10
.LBB17_1636:
	s_or_b64 exec, exec, s[6:7]
	s_movk_i32 s4, 0x7f
	v_cmp_gt_i16_sdwa s[6:7], v13, s4 src0_sel:BYTE_0 src1_sel:DWORD
	s_mov_b64 s[4:5], 0
                                        ; implicit-def: $sgpr10
	s_and_saveexec_b64 s[8:9], s[6:7]
	s_xor_b64 s[6:7], exec, s[8:9]
	s_cbranch_execnz .LBB17_3685
; %bb.1637:
	s_or_saveexec_b64 s[6:7], s[6:7]
	v_mov_b32_e32 v11, s10
	s_xor_b64 exec, exec, s[6:7]
	s_cbranch_execnz .LBB17_3688
.LBB17_1638:
	s_or_b64 exec, exec, s[6:7]
	s_and_saveexec_b64 s[6:7], s[4:5]
	s_cbranch_execz .LBB17_1640
.LBB17_1639:
	v_and_b32_e32 v11, 7, v13
	v_ffbh_u32_e32 v14, v11
	v_min_u32_e32 v14, 32, v14
	v_lshrrev_b16_e32 v12, 3, v13
	v_subrev_u32_e32 v15, 28, v14
	v_and_b32_e32 v12, 15, v12
	v_lshlrev_b32_e32 v15, v15, v13
	v_sub_u32_e32 v14, 29, v14
	v_and_b32_e32 v15, 7, v15
	v_cmp_eq_u16_e32 vcc, 0, v12
	v_cndmask_b32_e32 v11, v11, v15, vcc
	v_cndmask_b32_e32 v12, v12, v14, vcc
	v_lshlrev_b32_e32 v14, 24, v13
	v_mov_b32_e32 v15, 0x3b800000
	v_lshlrev_b32_e32 v11, 20, v11
	v_and_b32_e32 v14, 0x80000000, v14
	v_lshl_add_u32 v12, v12, 23, v15
	v_or3_b32 v11, v14, v12, v11
.LBB17_1640:
	s_or_b64 exec, exec, s[6:7]
	s_nop 0
	v_mfma_f32_16x16x4f32 a[0:3], v10, v11, a[0:3]
	v_lshrrev_b32_e32 v11, 8, v17
	s_movk_i32 s4, 0x7f
	v_cmp_gt_i16_sdwa s[6:7], v11, s4 src0_sel:BYTE_0 src1_sel:DWORD
	s_mov_b64 s[4:5], 0
                                        ; implicit-def: $sgpr10
	s_and_saveexec_b64 s[8:9], s[6:7]
	s_xor_b64 s[6:7], exec, s[8:9]
	s_cbranch_execnz .LBB17_3689
; %bb.1641:
	s_or_saveexec_b64 s[6:7], s[6:7]
	v_mov_b32_e32 v10, s10
	s_xor_b64 exec, exec, s[6:7]
	s_cbranch_execnz .LBB17_3692
.LBB17_1642:
	s_or_b64 exec, exec, s[6:7]
	s_and_saveexec_b64 s[6:7], s[4:5]
	s_cbranch_execz .LBB17_1644
.LBB17_1643:
	v_bfe_u32 v10, v17, 8, 3
	v_ffbh_u32_e32 v14, v10
	v_min_u32_e32 v14, 32, v14
	v_lshrrev_b16_e32 v12, 3, v11
	v_subrev_u32_e32 v15, 28, v14
	v_and_b32_e32 v12, 15, v12
	v_lshlrev_b32_e32 v11, v15, v11
	v_sub_u32_e32 v14, 29, v14
	v_and_b32_e32 v11, 7, v11
	v_cmp_eq_u16_e32 vcc, 0, v12
	v_cndmask_b32_e32 v10, v10, v11, vcc
	v_cndmask_b32_e32 v11, v12, v14, vcc
	v_lshlrev_b32_e32 v12, 16, v17
	v_mov_b32_e32 v14, 0x3b800000
	v_lshlrev_b32_e32 v10, 20, v10
	v_and_b32_e32 v12, 0x80000000, v12
	v_lshl_add_u32 v11, v11, 23, v14
	v_or3_b32 v10, v12, v11, v10
.LBB17_1644:
	s_or_b64 exec, exec, s[6:7]
	v_lshrrev_b32_e32 v11, 8, v13
	s_movk_i32 s4, 0x7f
	v_cmp_gt_i16_sdwa s[6:7], v11, s4 src0_sel:BYTE_0 src1_sel:DWORD
	s_mov_b64 s[4:5], 0
                                        ; implicit-def: $sgpr10
	s_and_saveexec_b64 s[8:9], s[6:7]
	s_xor_b64 s[6:7], exec, s[8:9]
	s_cbranch_execnz .LBB17_3693
; %bb.1645:
	s_or_saveexec_b64 s[6:7], s[6:7]
	v_mov_b32_e32 v12, s10
	s_xor_b64 exec, exec, s[6:7]
	s_cbranch_execnz .LBB17_3696
.LBB17_1646:
	s_or_b64 exec, exec, s[6:7]
	s_and_saveexec_b64 s[6:7], s[4:5]
	s_cbranch_execz .LBB17_1648
.LBB17_1647:
	v_bfe_u32 v12, v13, 8, 3
	v_ffbh_u32_e32 v15, v12
	v_min_u32_e32 v15, 32, v15
	v_lshrrev_b16_e32 v14, 3, v11
	v_subrev_u32_e32 v16, 28, v15
	v_and_b32_e32 v14, 15, v14
	v_lshlrev_b32_e32 v11, v16, v11
	v_sub_u32_e32 v15, 29, v15
	v_and_b32_e32 v11, 7, v11
	v_cmp_eq_u16_e32 vcc, 0, v14
	v_cndmask_b32_e32 v11, v12, v11, vcc
	v_cndmask_b32_e32 v12, v14, v15, vcc
	v_lshlrev_b32_e32 v14, 16, v13
	v_mov_b32_e32 v15, 0x3b800000
	v_lshlrev_b32_e32 v11, 20, v11
	v_and_b32_e32 v14, 0x80000000, v14
	v_lshl_add_u32 v12, v12, 23, v15
	v_or3_b32 v12, v14, v12, v11
.LBB17_1648:
	s_or_b64 exec, exec, s[6:7]
	s_nop 0
	v_mfma_f32_16x16x4f32 a[0:3], v10, v12, a[0:3]
	s_movk_i32 s4, 0xff
	v_and_b32_sdwa v11, v17, s4 dst_sel:DWORD dst_unused:UNUSED_PAD src0_sel:WORD_1 src1_sel:DWORD
	s_movk_i32 s4, 0x7f
	v_cmp_lt_i16_e32 vcc, s4, v11
	s_mov_b64 s[4:5], 0
                                        ; implicit-def: $sgpr10
	s_and_saveexec_b64 s[6:7], vcc
	s_xor_b64 s[6:7], exec, s[6:7]
	s_cbranch_execnz .LBB17_3697
; %bb.1649:
	s_or_saveexec_b64 s[6:7], s[6:7]
	v_mov_b32_e32 v10, s10
	s_xor_b64 exec, exec, s[6:7]
	s_cbranch_execnz .LBB17_3700
.LBB17_1650:
	s_or_b64 exec, exec, s[6:7]
	s_and_saveexec_b64 s[6:7], s[4:5]
	s_cbranch_execz .LBB17_1652
.LBB17_1651:
	v_bfe_u32 v10, v17, 16, 3
	v_ffbh_u32_e32 v14, v10
	v_min_u32_e32 v14, 32, v14
	v_lshrrev_b32_e32 v11, 19, v17
	v_subrev_u32_e32 v15, 28, v14
	v_and_b32_e32 v11, 15, v11
	v_lshlrev_b32_sdwa v15, v15, v17 dst_sel:DWORD dst_unused:UNUSED_PAD src0_sel:DWORD src1_sel:WORD_1
	v_bfe_u32 v12, v17, 19, 4
	v_sub_u32_e32 v14, 29, v14
	v_and_b32_e32 v15, 7, v15
	v_cmp_eq_u16_e32 vcc, 0, v11
	v_cndmask_b32_e32 v10, v10, v15, vcc
	v_cndmask_b32_e32 v11, v12, v14, vcc
	v_lshlrev_b32_e32 v12, 8, v17
	v_mov_b32_e32 v14, 0x3b800000
	v_lshlrev_b32_e32 v10, 20, v10
	v_and_b32_e32 v12, 0x80000000, v12
	v_lshl_add_u32 v11, v11, 23, v14
	v_or3_b32 v10, v12, v11, v10
.LBB17_1652:
	s_or_b64 exec, exec, s[6:7]
	s_movk_i32 s4, 0xff
	v_and_b32_sdwa v11, v13, s4 dst_sel:DWORD dst_unused:UNUSED_PAD src0_sel:WORD_1 src1_sel:DWORD
	s_movk_i32 s4, 0x7f
	v_cmp_lt_i16_e32 vcc, s4, v11
	s_mov_b64 s[4:5], 0
                                        ; implicit-def: $sgpr10
	s_and_saveexec_b64 s[6:7], vcc
	s_xor_b64 s[6:7], exec, s[6:7]
	s_cbranch_execnz .LBB17_3701
; %bb.1653:
	s_or_saveexec_b64 s[6:7], s[6:7]
	v_mov_b32_e32 v12, s10
	s_xor_b64 exec, exec, s[6:7]
	s_cbranch_execnz .LBB17_3704
.LBB17_1654:
	s_or_b64 exec, exec, s[6:7]
	s_and_saveexec_b64 s[6:7], s[4:5]
	s_cbranch_execz .LBB17_1656
.LBB17_1655:
	v_bfe_u32 v11, v13, 16, 3
	v_ffbh_u32_e32 v15, v11
	v_min_u32_e32 v15, 32, v15
	v_lshrrev_b32_e32 v12, 19, v13
	v_subrev_u32_e32 v16, 28, v15
	v_and_b32_e32 v12, 15, v12
	v_lshlrev_b32_sdwa v16, v16, v13 dst_sel:DWORD dst_unused:UNUSED_PAD src0_sel:DWORD src1_sel:WORD_1
	v_bfe_u32 v14, v13, 19, 4
	v_sub_u32_e32 v15, 29, v15
	v_and_b32_e32 v16, 7, v16
	v_cmp_eq_u16_e32 vcc, 0, v12
	v_cndmask_b32_e32 v11, v11, v16, vcc
	v_cndmask_b32_e32 v12, v14, v15, vcc
	v_lshlrev_b32_e32 v14, 8, v13
	v_mov_b32_e32 v15, 0x3b800000
	v_lshlrev_b32_e32 v11, 20, v11
	v_and_b32_e32 v14, 0x80000000, v14
	v_lshl_add_u32 v12, v12, 23, v15
	v_or3_b32 v12, v14, v12, v11
.LBB17_1656:
	s_or_b64 exec, exec, s[6:7]
	s_nop 0
	v_mfma_f32_16x16x4f32 a[0:3], v10, v12, a[0:3]
	s_movk_i32 s4, 0x7f
	v_cmp_gt_i16_sdwa s[6:7], v17, s4 src0_sel:BYTE_3 src1_sel:DWORD
	s_mov_b64 s[4:5], 0
                                        ; implicit-def: $sgpr10
	s_and_saveexec_b64 s[8:9], s[6:7]
	s_xor_b64 s[6:7], exec, s[8:9]
	s_cbranch_execnz .LBB17_3705
; %bb.1657:
	s_or_saveexec_b64 s[6:7], s[6:7]
	v_mov_b32_e32 v10, s10
	s_xor_b64 exec, exec, s[6:7]
	s_cbranch_execnz .LBB17_3708
.LBB17_1658:
	s_or_b64 exec, exec, s[6:7]
	s_and_saveexec_b64 s[6:7], s[4:5]
	s_cbranch_execz .LBB17_1660
.LBB17_1659:
	v_bfe_u32 v10, v17, 24, 3
	v_ffbh_u32_e32 v15, v10
	v_min_u32_e32 v15, 32, v15
	v_lshrrev_b32_e32 v12, 27, v17
	v_subrev_u32_e32 v16, 28, v15
	v_and_b32_e32 v12, 15, v12
	v_lshlrev_b32_sdwa v16, v16, v17 dst_sel:DWORD dst_unused:UNUSED_PAD src0_sel:DWORD src1_sel:BYTE_3
	v_bfe_u32 v14, v17, 27, 4
	v_sub_u32_e32 v15, 29, v15
	v_and_b32_e32 v16, 7, v16
	v_cmp_eq_u16_e32 vcc, 0, v12
	v_cndmask_b32_e32 v10, v10, v16, vcc
	v_cndmask_b32_e32 v12, v14, v15, vcc
	v_mov_b32_e32 v14, 0x3b800000
	v_and_b32_e32 v11, 0x80000000, v17
	v_lshlrev_b32_e32 v10, 20, v10
	v_lshl_add_u32 v12, v12, 23, v14
	v_or3_b32 v10, v11, v12, v10
.LBB17_1660:
	s_or_b64 exec, exec, s[6:7]
	s_movk_i32 s4, 0x7f
	v_cmp_gt_i16_sdwa s[6:7], v13, s4 src0_sel:BYTE_3 src1_sel:DWORD
	s_mov_b64 s[4:5], 0
                                        ; implicit-def: $sgpr10
	s_and_saveexec_b64 s[8:9], s[6:7]
	s_xor_b64 s[6:7], exec, s[8:9]
	s_cbranch_execnz .LBB17_3709
; %bb.1661:
	s_or_saveexec_b64 s[6:7], s[6:7]
	v_mov_b32_e32 v11, s10
	s_xor_b64 exec, exec, s[6:7]
	s_cbranch_execnz .LBB17_3712
.LBB17_1662:
	s_or_b64 exec, exec, s[6:7]
	s_and_saveexec_b64 s[6:7], s[4:5]
	s_cbranch_execz .LBB17_1664
.LBB17_1663:
	v_bfe_u32 v11, v13, 24, 3
	v_ffbh_u32_e32 v16, v11
	v_min_u32_e32 v16, 32, v16
	v_lshrrev_b32_e32 v14, 27, v13
	v_subrev_u32_e32 v17, 28, v16
	v_and_b32_e32 v12, 0x80000000, v13
	v_and_b32_e32 v14, 15, v14
	v_bfe_u32 v15, v13, 27, 4
	v_lshlrev_b32_sdwa v13, v17, v13 dst_sel:DWORD dst_unused:UNUSED_PAD src0_sel:DWORD src1_sel:BYTE_3
	v_sub_u32_e32 v16, 29, v16
	v_and_b32_e32 v13, 7, v13
	v_cmp_eq_u16_e32 vcc, 0, v14
	v_cndmask_b32_e32 v11, v11, v13, vcc
	v_cndmask_b32_e32 v13, v15, v16, vcc
	v_mov_b32_e32 v14, 0x3b800000
	v_lshlrev_b32_e32 v11, 20, v11
	v_lshl_add_u32 v13, v13, 23, v14
	v_or3_b32 v11, v12, v13, v11
.LBB17_1664:
	s_or_b64 exec, exec, s[6:7]
	s_nop 0
	v_mfma_f32_16x16x4f32 a[0:3], v10, v11, a[0:3]
	s_movk_i32 s4, 0x7f
	v_cmp_gt_i16_sdwa s[6:7], v6, s4 src0_sel:BYTE_0 src1_sel:DWORD
	s_mov_b64 s[4:5], 0
                                        ; implicit-def: $sgpr10
	s_and_saveexec_b64 s[8:9], s[6:7]
	s_xor_b64 s[6:7], exec, s[8:9]
	s_cbranch_execnz .LBB17_3713
; %bb.1665:
	s_or_saveexec_b64 s[6:7], s[6:7]
	v_mov_b32_e32 v10, s10
	s_xor_b64 exec, exec, s[6:7]
	s_cbranch_execnz .LBB17_3716
.LBB17_1666:
	s_or_b64 exec, exec, s[6:7]
	s_and_saveexec_b64 s[6:7], s[4:5]
	s_cbranch_execz .LBB17_1668
.LBB17_1667:
	v_and_b32_e32 v10, 7, v6
	v_ffbh_u32_e32 v12, v10
	v_min_u32_e32 v12, 32, v12
	v_lshrrev_b16_e32 v11, 3, v6
	v_subrev_u32_e32 v13, 28, v12
	v_and_b32_e32 v11, 15, v11
	v_lshlrev_b32_e32 v13, v13, v6
	v_sub_u32_e32 v12, 29, v12
	v_and_b32_e32 v13, 7, v13
	v_cmp_eq_u16_e32 vcc, 0, v11
	v_cndmask_b32_e32 v10, v10, v13, vcc
	v_cndmask_b32_e32 v11, v11, v12, vcc
	v_lshlrev_b32_e32 v12, 24, v6
	v_mov_b32_e32 v13, 0x3b800000
	v_lshlrev_b32_e32 v10, 20, v10
	v_and_b32_e32 v12, 0x80000000, v12
	v_lshl_add_u32 v11, v11, 23, v13
	v_or3_b32 v10, v12, v11, v10
.LBB17_1668:
	s_or_b64 exec, exec, s[6:7]
	s_movk_i32 s4, 0x7f
	v_cmp_gt_i16_sdwa s[6:7], v2, s4 src0_sel:BYTE_0 src1_sel:DWORD
	s_mov_b64 s[4:5], 0
                                        ; implicit-def: $sgpr10
	s_and_saveexec_b64 s[8:9], s[6:7]
	s_xor_b64 s[6:7], exec, s[8:9]
	s_cbranch_execnz .LBB17_3717
; %bb.1669:
	s_or_saveexec_b64 s[6:7], s[6:7]
	v_mov_b32_e32 v11, s10
	s_xor_b64 exec, exec, s[6:7]
	s_cbranch_execnz .LBB17_3720
.LBB17_1670:
	s_or_b64 exec, exec, s[6:7]
	s_and_saveexec_b64 s[6:7], s[4:5]
	s_cbranch_execz .LBB17_1672
.LBB17_1671:
	v_and_b32_e32 v11, 7, v2
	v_ffbh_u32_e32 v13, v11
	v_min_u32_e32 v13, 32, v13
	v_lshrrev_b16_e32 v12, 3, v2
	v_subrev_u32_e32 v14, 28, v13
	v_and_b32_e32 v12, 15, v12
	v_lshlrev_b32_e32 v14, v14, v2
	v_sub_u32_e32 v13, 29, v13
	v_and_b32_e32 v14, 7, v14
	v_cmp_eq_u16_e32 vcc, 0, v12
	v_cndmask_b32_e32 v11, v11, v14, vcc
	v_cndmask_b32_e32 v12, v12, v13, vcc
	v_lshlrev_b32_e32 v13, 24, v2
	v_mov_b32_e32 v14, 0x3b800000
	v_lshlrev_b32_e32 v11, 20, v11
	v_and_b32_e32 v13, 0x80000000, v13
	v_lshl_add_u32 v12, v12, 23, v14
	v_or3_b32 v11, v13, v12, v11
.LBB17_1672:
	s_or_b64 exec, exec, s[6:7]
	s_nop 0
	v_mfma_f32_16x16x4f32 a[0:3], v10, v11, a[0:3]
	v_lshrrev_b32_e32 v11, 8, v6
	s_movk_i32 s4, 0x7f
	v_cmp_gt_i16_sdwa s[6:7], v11, s4 src0_sel:BYTE_0 src1_sel:DWORD
	s_mov_b64 s[4:5], 0
                                        ; implicit-def: $sgpr10
	s_and_saveexec_b64 s[8:9], s[6:7]
	s_xor_b64 s[6:7], exec, s[8:9]
	s_cbranch_execnz .LBB17_3721
; %bb.1673:
	s_or_saveexec_b64 s[6:7], s[6:7]
	v_mov_b32_e32 v10, s10
	s_xor_b64 exec, exec, s[6:7]
	s_cbranch_execnz .LBB17_3724
.LBB17_1674:
	s_or_b64 exec, exec, s[6:7]
	s_and_saveexec_b64 s[6:7], s[4:5]
	s_cbranch_execz .LBB17_1676
.LBB17_1675:
	v_bfe_u32 v10, v6, 8, 3
	v_ffbh_u32_e32 v13, v10
	v_min_u32_e32 v13, 32, v13
	v_lshrrev_b16_e32 v12, 3, v11
	v_subrev_u32_e32 v14, 28, v13
	v_and_b32_e32 v12, 15, v12
	v_lshlrev_b32_e32 v11, v14, v11
	v_sub_u32_e32 v13, 29, v13
	v_and_b32_e32 v11, 7, v11
	v_cmp_eq_u16_e32 vcc, 0, v12
	v_cndmask_b32_e32 v10, v10, v11, vcc
	v_cndmask_b32_e32 v11, v12, v13, vcc
	v_lshlrev_b32_e32 v12, 16, v6
	v_mov_b32_e32 v13, 0x3b800000
	v_lshlrev_b32_e32 v10, 20, v10
	v_and_b32_e32 v12, 0x80000000, v12
	v_lshl_add_u32 v11, v11, 23, v13
	v_or3_b32 v10, v12, v11, v10
.LBB17_1676:
	s_or_b64 exec, exec, s[6:7]
	v_lshrrev_b32_e32 v11, 8, v2
	s_movk_i32 s4, 0x7f
	v_cmp_gt_i16_sdwa s[6:7], v11, s4 src0_sel:BYTE_0 src1_sel:DWORD
	s_mov_b64 s[4:5], 0
                                        ; implicit-def: $sgpr10
	s_and_saveexec_b64 s[8:9], s[6:7]
	s_xor_b64 s[6:7], exec, s[8:9]
	s_cbranch_execnz .LBB17_3725
; %bb.1677:
	s_or_saveexec_b64 s[6:7], s[6:7]
	v_mov_b32_e32 v12, s10
	s_xor_b64 exec, exec, s[6:7]
	s_cbranch_execnz .LBB17_3728
.LBB17_1678:
	s_or_b64 exec, exec, s[6:7]
	s_and_saveexec_b64 s[6:7], s[4:5]
	s_cbranch_execz .LBB17_1680
.LBB17_1679:
	v_bfe_u32 v12, v2, 8, 3
	v_ffbh_u32_e32 v14, v12
	v_min_u32_e32 v14, 32, v14
	v_lshrrev_b16_e32 v13, 3, v11
	v_subrev_u32_e32 v15, 28, v14
	v_and_b32_e32 v13, 15, v13
	v_lshlrev_b32_e32 v11, v15, v11
	v_sub_u32_e32 v14, 29, v14
	v_and_b32_e32 v11, 7, v11
	v_cmp_eq_u16_e32 vcc, 0, v13
	v_cndmask_b32_e32 v11, v12, v11, vcc
	v_cndmask_b32_e32 v12, v13, v14, vcc
	v_lshlrev_b32_e32 v13, 16, v2
	v_mov_b32_e32 v14, 0x3b800000
	v_lshlrev_b32_e32 v11, 20, v11
	v_and_b32_e32 v13, 0x80000000, v13
	v_lshl_add_u32 v12, v12, 23, v14
	v_or3_b32 v12, v13, v12, v11
.LBB17_1680:
	s_or_b64 exec, exec, s[6:7]
	s_nop 0
	v_mfma_f32_16x16x4f32 a[0:3], v10, v12, a[0:3]
	s_movk_i32 s4, 0xff
	v_and_b32_sdwa v11, v6, s4 dst_sel:DWORD dst_unused:UNUSED_PAD src0_sel:WORD_1 src1_sel:DWORD
	s_movk_i32 s4, 0x7f
	v_cmp_lt_i16_e32 vcc, s4, v11
	s_mov_b64 s[4:5], 0
                                        ; implicit-def: $sgpr10
	s_and_saveexec_b64 s[6:7], vcc
	s_xor_b64 s[6:7], exec, s[6:7]
	s_cbranch_execnz .LBB17_3729
; %bb.1681:
	s_or_saveexec_b64 s[6:7], s[6:7]
	v_mov_b32_e32 v10, s10
	s_xor_b64 exec, exec, s[6:7]
	s_cbranch_execnz .LBB17_3732
.LBB17_1682:
	s_or_b64 exec, exec, s[6:7]
	s_and_saveexec_b64 s[6:7], s[4:5]
	s_cbranch_execz .LBB17_1684
.LBB17_1683:
	v_bfe_u32 v10, v6, 16, 3
	v_ffbh_u32_e32 v13, v10
	v_min_u32_e32 v13, 32, v13
	v_lshrrev_b32_e32 v11, 19, v6
	v_subrev_u32_e32 v14, 28, v13
	v_and_b32_e32 v11, 15, v11
	v_lshlrev_b32_sdwa v14, v14, v6 dst_sel:DWORD dst_unused:UNUSED_PAD src0_sel:DWORD src1_sel:WORD_1
	v_bfe_u32 v12, v6, 19, 4
	v_sub_u32_e32 v13, 29, v13
	v_and_b32_e32 v14, 7, v14
	v_cmp_eq_u16_e32 vcc, 0, v11
	v_cndmask_b32_e32 v10, v10, v14, vcc
	v_cndmask_b32_e32 v11, v12, v13, vcc
	v_lshlrev_b32_e32 v12, 8, v6
	v_mov_b32_e32 v13, 0x3b800000
	v_lshlrev_b32_e32 v10, 20, v10
	v_and_b32_e32 v12, 0x80000000, v12
	v_lshl_add_u32 v11, v11, 23, v13
	v_or3_b32 v10, v12, v11, v10
.LBB17_1684:
	s_or_b64 exec, exec, s[6:7]
	s_movk_i32 s4, 0xff
	v_and_b32_sdwa v11, v2, s4 dst_sel:DWORD dst_unused:UNUSED_PAD src0_sel:WORD_1 src1_sel:DWORD
	s_movk_i32 s4, 0x7f
	v_cmp_lt_i16_e32 vcc, s4, v11
	s_mov_b64 s[4:5], 0
                                        ; implicit-def: $sgpr10
	s_and_saveexec_b64 s[6:7], vcc
	s_xor_b64 s[6:7], exec, s[6:7]
	s_cbranch_execnz .LBB17_3733
; %bb.1685:
	s_or_saveexec_b64 s[6:7], s[6:7]
	v_mov_b32_e32 v12, s10
	s_xor_b64 exec, exec, s[6:7]
	s_cbranch_execnz .LBB17_3736
.LBB17_1686:
	s_or_b64 exec, exec, s[6:7]
	s_and_saveexec_b64 s[6:7], s[4:5]
	s_cbranch_execz .LBB17_1688
.LBB17_1687:
	v_bfe_u32 v11, v2, 16, 3
	v_ffbh_u32_e32 v14, v11
	v_min_u32_e32 v14, 32, v14
	v_lshrrev_b32_e32 v12, 19, v2
	v_subrev_u32_e32 v15, 28, v14
	v_and_b32_e32 v12, 15, v12
	v_lshlrev_b32_sdwa v15, v15, v2 dst_sel:DWORD dst_unused:UNUSED_PAD src0_sel:DWORD src1_sel:WORD_1
	v_bfe_u32 v13, v2, 19, 4
	v_sub_u32_e32 v14, 29, v14
	v_and_b32_e32 v15, 7, v15
	v_cmp_eq_u16_e32 vcc, 0, v12
	v_cndmask_b32_e32 v11, v11, v15, vcc
	v_cndmask_b32_e32 v12, v13, v14, vcc
	v_lshlrev_b32_e32 v13, 8, v2
	v_mov_b32_e32 v14, 0x3b800000
	v_lshlrev_b32_e32 v11, 20, v11
	v_and_b32_e32 v13, 0x80000000, v13
	v_lshl_add_u32 v12, v12, 23, v14
	v_or3_b32 v12, v13, v12, v11
.LBB17_1688:
	s_or_b64 exec, exec, s[6:7]
	s_nop 0
	v_mfma_f32_16x16x4f32 a[0:3], v10, v12, a[0:3]
	s_movk_i32 s4, 0x7f
	v_cmp_gt_i16_sdwa s[6:7], v6, s4 src0_sel:BYTE_3 src1_sel:DWORD
	s_mov_b64 s[4:5], 0
                                        ; implicit-def: $sgpr10
	s_and_saveexec_b64 s[8:9], s[6:7]
	s_xor_b64 s[6:7], exec, s[8:9]
	s_cbranch_execnz .LBB17_3737
; %bb.1689:
	s_or_saveexec_b64 s[6:7], s[6:7]
	v_mov_b32_e32 v10, s10
	s_xor_b64 exec, exec, s[6:7]
	s_cbranch_execnz .LBB17_3740
.LBB17_1690:
	s_or_b64 exec, exec, s[6:7]
	s_and_saveexec_b64 s[6:7], s[4:5]
	s_cbranch_execz .LBB17_1692
.LBB17_1691:
	v_bfe_u32 v10, v6, 24, 3
	v_ffbh_u32_e32 v14, v10
	v_min_u32_e32 v14, 32, v14
	v_lshrrev_b32_e32 v12, 27, v6
	v_subrev_u32_e32 v15, 28, v14
	v_and_b32_e32 v11, 0x80000000, v6
	v_and_b32_e32 v12, 15, v12
	v_bfe_u32 v13, v6, 27, 4
	v_lshlrev_b32_sdwa v6, v15, v6 dst_sel:DWORD dst_unused:UNUSED_PAD src0_sel:DWORD src1_sel:BYTE_3
	v_sub_u32_e32 v14, 29, v14
	v_and_b32_e32 v6, 7, v6
	v_cmp_eq_u16_e32 vcc, 0, v12
	v_cndmask_b32_e32 v6, v10, v6, vcc
	v_cndmask_b32_e32 v10, v13, v14, vcc
	v_mov_b32_e32 v12, 0x3b800000
	v_lshlrev_b32_e32 v6, 20, v6
	v_lshl_add_u32 v10, v10, 23, v12
	v_or3_b32 v10, v11, v10, v6
.LBB17_1692:
	s_or_b64 exec, exec, s[6:7]
	s_movk_i32 s4, 0x7f
	v_cmp_gt_i16_sdwa s[6:7], v2, s4 src0_sel:BYTE_3 src1_sel:DWORD
	s_mov_b64 s[4:5], 0
                                        ; implicit-def: $sgpr10
	s_and_saveexec_b64 s[8:9], s[6:7]
	s_xor_b64 s[6:7], exec, s[8:9]
	s_cbranch_execnz .LBB17_3741
; %bb.1693:
	s_or_saveexec_b64 s[6:7], s[6:7]
	v_mov_b32_e32 v6, s10
	s_xor_b64 exec, exec, s[6:7]
	s_cbranch_execnz .LBB17_3744
.LBB17_1694:
	s_or_b64 exec, exec, s[6:7]
	s_and_saveexec_b64 s[6:7], s[4:5]
	s_cbranch_execz .LBB17_1696
.LBB17_1695:
	v_bfe_u32 v6, v2, 24, 3
	v_ffbh_u32_e32 v14, v6
	v_min_u32_e32 v14, 32, v14
	v_lshrrev_b32_e32 v12, 27, v2
	v_subrev_u32_e32 v15, 28, v14
	v_and_b32_e32 v11, 0x80000000, v2
	v_and_b32_e32 v12, 15, v12
	v_bfe_u32 v13, v2, 27, 4
	v_lshlrev_b32_sdwa v2, v15, v2 dst_sel:DWORD dst_unused:UNUSED_PAD src0_sel:DWORD src1_sel:BYTE_3
	v_sub_u32_e32 v14, 29, v14
	v_and_b32_e32 v2, 7, v2
	v_cmp_eq_u16_e32 vcc, 0, v12
	v_cndmask_b32_e32 v2, v6, v2, vcc
	v_cndmask_b32_e32 v6, v13, v14, vcc
	v_mov_b32_e32 v12, 0x3b800000
	v_lshlrev_b32_e32 v2, 20, v2
	v_lshl_add_u32 v6, v6, 23, v12
	v_or3_b32 v6, v11, v6, v2
.LBB17_1696:
	s_or_b64 exec, exec, s[6:7]
	s_nop 0
	v_mfma_f32_16x16x4f32 a[0:3], v10, v6, a[0:3]
	s_movk_i32 s4, 0x7f
	v_cmp_gt_i16_sdwa s[6:7], v7, s4 src0_sel:BYTE_0 src1_sel:DWORD
	s_mov_b64 s[4:5], 0
                                        ; implicit-def: $sgpr10
	s_and_saveexec_b64 s[8:9], s[6:7]
	s_xor_b64 s[6:7], exec, s[8:9]
	s_cbranch_execnz .LBB17_3745
; %bb.1697:
	s_or_saveexec_b64 s[6:7], s[6:7]
	v_mov_b32_e32 v2, s10
	s_xor_b64 exec, exec, s[6:7]
	s_cbranch_execnz .LBB17_3748
.LBB17_1698:
	s_or_b64 exec, exec, s[6:7]
	s_and_saveexec_b64 s[6:7], s[4:5]
	s_cbranch_execz .LBB17_1700
.LBB17_1699:
	v_and_b32_e32 v2, 7, v7
	v_ffbh_u32_e32 v10, v2
	v_min_u32_e32 v10, 32, v10
	v_lshrrev_b16_e32 v6, 3, v7
	v_subrev_u32_e32 v11, 28, v10
	v_and_b32_e32 v6, 15, v6
	v_lshlrev_b32_e32 v11, v11, v7
	v_sub_u32_e32 v10, 29, v10
	v_and_b32_e32 v11, 7, v11
	v_cmp_eq_u16_e32 vcc, 0, v6
	v_cndmask_b32_e32 v2, v2, v11, vcc
	v_cndmask_b32_e32 v6, v6, v10, vcc
	v_lshlrev_b32_e32 v10, 24, v7
	v_mov_b32_e32 v11, 0x3b800000
	v_lshlrev_b32_e32 v2, 20, v2
	v_and_b32_e32 v10, 0x80000000, v10
	v_lshl_add_u32 v6, v6, 23, v11
	v_or3_b32 v2, v10, v6, v2
.LBB17_1700:
	s_or_b64 exec, exec, s[6:7]
	s_movk_i32 s4, 0x7f
	v_cmp_gt_i16_sdwa s[6:7], v3, s4 src0_sel:BYTE_0 src1_sel:DWORD
	s_mov_b64 s[4:5], 0
                                        ; implicit-def: $sgpr10
	s_and_saveexec_b64 s[8:9], s[6:7]
	s_xor_b64 s[6:7], exec, s[8:9]
	s_cbranch_execnz .LBB17_3749
; %bb.1701:
	s_or_saveexec_b64 s[6:7], s[6:7]
	v_mov_b32_e32 v6, s10
	s_xor_b64 exec, exec, s[6:7]
	s_cbranch_execnz .LBB17_3752
.LBB17_1702:
	s_or_b64 exec, exec, s[6:7]
	s_and_saveexec_b64 s[6:7], s[4:5]
	s_cbranch_execz .LBB17_1704
.LBB17_1703:
	v_and_b32_e32 v6, 7, v3
	v_ffbh_u32_e32 v11, v6
	v_min_u32_e32 v11, 32, v11
	v_lshrrev_b16_e32 v10, 3, v3
	v_subrev_u32_e32 v12, 28, v11
	v_and_b32_e32 v10, 15, v10
	v_lshlrev_b32_e32 v12, v12, v3
	v_sub_u32_e32 v11, 29, v11
	v_and_b32_e32 v12, 7, v12
	v_cmp_eq_u16_e32 vcc, 0, v10
	v_cndmask_b32_e32 v6, v6, v12, vcc
	v_cndmask_b32_e32 v10, v10, v11, vcc
	v_lshlrev_b32_e32 v11, 24, v3
	v_mov_b32_e32 v12, 0x3b800000
	v_lshlrev_b32_e32 v6, 20, v6
	v_and_b32_e32 v11, 0x80000000, v11
	v_lshl_add_u32 v10, v10, 23, v12
	v_or3_b32 v6, v11, v10, v6
.LBB17_1704:
	s_or_b64 exec, exec, s[6:7]
	s_nop 0
	v_mfma_f32_16x16x4f32 a[0:3], v2, v6, a[0:3]
	v_lshrrev_b32_e32 v6, 8, v7
	s_movk_i32 s4, 0x7f
	v_cmp_gt_i16_sdwa s[6:7], v6, s4 src0_sel:BYTE_0 src1_sel:DWORD
	s_mov_b64 s[4:5], 0
                                        ; implicit-def: $sgpr10
	s_and_saveexec_b64 s[8:9], s[6:7]
	s_xor_b64 s[6:7], exec, s[8:9]
	s_cbranch_execnz .LBB17_3753
; %bb.1705:
	s_or_saveexec_b64 s[6:7], s[6:7]
	v_mov_b32_e32 v2, s10
	s_xor_b64 exec, exec, s[6:7]
	s_cbranch_execnz .LBB17_3756
.LBB17_1706:
	s_or_b64 exec, exec, s[6:7]
	s_and_saveexec_b64 s[6:7], s[4:5]
	s_cbranch_execz .LBB17_1708
.LBB17_1707:
	v_bfe_u32 v2, v7, 8, 3
	v_ffbh_u32_e32 v11, v2
	v_min_u32_e32 v11, 32, v11
	v_lshrrev_b16_e32 v10, 3, v6
	v_subrev_u32_e32 v12, 28, v11
	v_and_b32_e32 v10, 15, v10
	v_lshlrev_b32_e32 v6, v12, v6
	v_sub_u32_e32 v11, 29, v11
	v_and_b32_e32 v6, 7, v6
	v_cmp_eq_u16_e32 vcc, 0, v10
	v_cndmask_b32_e32 v2, v2, v6, vcc
	v_cndmask_b32_e32 v6, v10, v11, vcc
	v_lshlrev_b32_e32 v10, 16, v7
	v_mov_b32_e32 v11, 0x3b800000
	v_lshlrev_b32_e32 v2, 20, v2
	v_and_b32_e32 v10, 0x80000000, v10
	v_lshl_add_u32 v6, v6, 23, v11
	v_or3_b32 v2, v10, v6, v2
.LBB17_1708:
	s_or_b64 exec, exec, s[6:7]
	v_lshrrev_b32_e32 v6, 8, v3
	s_movk_i32 s4, 0x7f
	v_cmp_gt_i16_sdwa s[6:7], v6, s4 src0_sel:BYTE_0 src1_sel:DWORD
	s_mov_b64 s[4:5], 0
                                        ; implicit-def: $sgpr10
	s_and_saveexec_b64 s[8:9], s[6:7]
	s_xor_b64 s[6:7], exec, s[8:9]
	s_cbranch_execnz .LBB17_3757
; %bb.1709:
	s_or_saveexec_b64 s[6:7], s[6:7]
	v_mov_b32_e32 v10, s10
	s_xor_b64 exec, exec, s[6:7]
	s_cbranch_execnz .LBB17_3760
.LBB17_1710:
	s_or_b64 exec, exec, s[6:7]
	s_and_saveexec_b64 s[6:7], s[4:5]
	s_cbranch_execz .LBB17_1712
.LBB17_1711:
	v_bfe_u32 v10, v3, 8, 3
	v_ffbh_u32_e32 v12, v10
	v_min_u32_e32 v12, 32, v12
	v_lshrrev_b16_e32 v11, 3, v6
	v_subrev_u32_e32 v13, 28, v12
	v_and_b32_e32 v11, 15, v11
	v_lshlrev_b32_e32 v6, v13, v6
	v_sub_u32_e32 v12, 29, v12
	v_and_b32_e32 v6, 7, v6
	v_cmp_eq_u16_e32 vcc, 0, v11
	v_cndmask_b32_e32 v6, v10, v6, vcc
	v_cndmask_b32_e32 v10, v11, v12, vcc
	v_lshlrev_b32_e32 v11, 16, v3
	v_mov_b32_e32 v12, 0x3b800000
	v_lshlrev_b32_e32 v6, 20, v6
	v_and_b32_e32 v11, 0x80000000, v11
	v_lshl_add_u32 v10, v10, 23, v12
	v_or3_b32 v10, v11, v10, v6
.LBB17_1712:
	s_or_b64 exec, exec, s[6:7]
	s_nop 0
	v_mfma_f32_16x16x4f32 a[0:3], v2, v10, a[0:3]
	s_movk_i32 s4, 0xff
	v_and_b32_sdwa v6, v7, s4 dst_sel:DWORD dst_unused:UNUSED_PAD src0_sel:WORD_1 src1_sel:DWORD
	s_movk_i32 s4, 0x7f
	v_cmp_lt_i16_e32 vcc, s4, v6
	s_mov_b64 s[4:5], 0
                                        ; implicit-def: $sgpr10
	s_and_saveexec_b64 s[6:7], vcc
	s_xor_b64 s[6:7], exec, s[6:7]
	s_cbranch_execnz .LBB17_3761
; %bb.1713:
	s_or_saveexec_b64 s[6:7], s[6:7]
	v_mov_b32_e32 v2, s10
	s_xor_b64 exec, exec, s[6:7]
	s_cbranch_execnz .LBB17_3764
.LBB17_1714:
	s_or_b64 exec, exec, s[6:7]
	s_and_saveexec_b64 s[6:7], s[4:5]
	s_cbranch_execz .LBB17_1716
.LBB17_1715:
	v_bfe_u32 v2, v7, 16, 3
	v_ffbh_u32_e32 v11, v2
	v_min_u32_e32 v11, 32, v11
	v_lshrrev_b32_e32 v6, 19, v7
	v_subrev_u32_e32 v12, 28, v11
	v_and_b32_e32 v6, 15, v6
	v_lshlrev_b32_sdwa v12, v12, v7 dst_sel:DWORD dst_unused:UNUSED_PAD src0_sel:DWORD src1_sel:WORD_1
	v_bfe_u32 v10, v7, 19, 4
	v_sub_u32_e32 v11, 29, v11
	v_and_b32_e32 v12, 7, v12
	v_cmp_eq_u16_e32 vcc, 0, v6
	v_cndmask_b32_e32 v2, v2, v12, vcc
	v_cndmask_b32_e32 v6, v10, v11, vcc
	v_lshlrev_b32_e32 v10, 8, v7
	v_mov_b32_e32 v11, 0x3b800000
	v_lshlrev_b32_e32 v2, 20, v2
	v_and_b32_e32 v10, 0x80000000, v10
	v_lshl_add_u32 v6, v6, 23, v11
	v_or3_b32 v2, v10, v6, v2
.LBB17_1716:
	s_or_b64 exec, exec, s[6:7]
	s_movk_i32 s4, 0xff
	v_and_b32_sdwa v6, v3, s4 dst_sel:DWORD dst_unused:UNUSED_PAD src0_sel:WORD_1 src1_sel:DWORD
	s_movk_i32 s4, 0x7f
	v_cmp_lt_i16_e32 vcc, s4, v6
	s_mov_b64 s[4:5], 0
                                        ; implicit-def: $sgpr10
	s_and_saveexec_b64 s[6:7], vcc
	s_xor_b64 s[6:7], exec, s[6:7]
	s_cbranch_execnz .LBB17_3765
; %bb.1717:
	s_or_saveexec_b64 s[6:7], s[6:7]
	v_mov_b32_e32 v10, s10
	s_xor_b64 exec, exec, s[6:7]
	s_cbranch_execnz .LBB17_3768
.LBB17_1718:
	s_or_b64 exec, exec, s[6:7]
	s_and_saveexec_b64 s[6:7], s[4:5]
	s_cbranch_execz .LBB17_1720
.LBB17_1719:
	v_bfe_u32 v6, v3, 16, 3
	v_ffbh_u32_e32 v12, v6
	v_min_u32_e32 v12, 32, v12
	v_lshrrev_b32_e32 v10, 19, v3
	v_subrev_u32_e32 v13, 28, v12
	v_and_b32_e32 v10, 15, v10
	v_lshlrev_b32_sdwa v13, v13, v3 dst_sel:DWORD dst_unused:UNUSED_PAD src0_sel:DWORD src1_sel:WORD_1
	v_bfe_u32 v11, v3, 19, 4
	v_sub_u32_e32 v12, 29, v12
	v_and_b32_e32 v13, 7, v13
	v_cmp_eq_u16_e32 vcc, 0, v10
	v_cndmask_b32_e32 v6, v6, v13, vcc
	v_cndmask_b32_e32 v10, v11, v12, vcc
	v_lshlrev_b32_e32 v11, 8, v3
	v_mov_b32_e32 v12, 0x3b800000
	v_lshlrev_b32_e32 v6, 20, v6
	v_and_b32_e32 v11, 0x80000000, v11
	v_lshl_add_u32 v10, v10, 23, v12
	v_or3_b32 v10, v11, v10, v6
.LBB17_1720:
	s_or_b64 exec, exec, s[6:7]
	s_nop 0
	v_mfma_f32_16x16x4f32 a[0:3], v2, v10, a[0:3]
	s_movk_i32 s4, 0x7f
	v_cmp_gt_i16_sdwa s[6:7], v7, s4 src0_sel:BYTE_3 src1_sel:DWORD
	s_mov_b64 s[4:5], 0
                                        ; implicit-def: $sgpr10
	s_and_saveexec_b64 s[8:9], s[6:7]
	s_xor_b64 s[6:7], exec, s[8:9]
	s_cbranch_execnz .LBB17_3769
; %bb.1721:
	s_or_saveexec_b64 s[6:7], s[6:7]
	v_mov_b32_e32 v2, s10
	s_xor_b64 exec, exec, s[6:7]
	s_cbranch_execnz .LBB17_3772
.LBB17_1722:
	s_or_b64 exec, exec, s[6:7]
	s_and_saveexec_b64 s[6:7], s[4:5]
	s_cbranch_execz .LBB17_1724
.LBB17_1723:
	v_bfe_u32 v2, v7, 24, 3
	v_ffbh_u32_e32 v12, v2
	v_min_u32_e32 v12, 32, v12
	v_lshrrev_b32_e32 v10, 27, v7
	v_subrev_u32_e32 v13, 28, v12
	v_and_b32_e32 v6, 0x80000000, v7
	v_and_b32_e32 v10, 15, v10
	v_bfe_u32 v11, v7, 27, 4
	v_lshlrev_b32_sdwa v7, v13, v7 dst_sel:DWORD dst_unused:UNUSED_PAD src0_sel:DWORD src1_sel:BYTE_3
	v_sub_u32_e32 v12, 29, v12
	v_and_b32_e32 v7, 7, v7
	v_cmp_eq_u16_e32 vcc, 0, v10
	v_cndmask_b32_e32 v2, v2, v7, vcc
	v_cndmask_b32_e32 v7, v11, v12, vcc
	v_mov_b32_e32 v10, 0x3b800000
	v_lshlrev_b32_e32 v2, 20, v2
	v_lshl_add_u32 v7, v7, 23, v10
	v_or3_b32 v2, v6, v7, v2
.LBB17_1724:
	s_or_b64 exec, exec, s[6:7]
	s_movk_i32 s4, 0x7f
	v_cmp_gt_i16_sdwa s[6:7], v3, s4 src0_sel:BYTE_3 src1_sel:DWORD
	s_mov_b64 s[4:5], 0
                                        ; implicit-def: $sgpr10
	s_and_saveexec_b64 s[8:9], s[6:7]
	s_xor_b64 s[6:7], exec, s[8:9]
	s_cbranch_execnz .LBB17_3773
; %bb.1725:
	s_or_saveexec_b64 s[6:7], s[6:7]
	v_mov_b32_e32 v6, s10
	s_xor_b64 exec, exec, s[6:7]
	s_cbranch_execnz .LBB17_3776
.LBB17_1726:
	s_or_b64 exec, exec, s[6:7]
	s_and_saveexec_b64 s[6:7], s[4:5]
	s_cbranch_execz .LBB17_1728
.LBB17_1727:
	v_bfe_u32 v6, v3, 24, 3
	v_ffbh_u32_e32 v12, v6
	v_min_u32_e32 v12, 32, v12
	v_lshrrev_b32_e32 v10, 27, v3
	v_subrev_u32_e32 v13, 28, v12
	v_and_b32_e32 v7, 0x80000000, v3
	v_and_b32_e32 v10, 15, v10
	v_bfe_u32 v11, v3, 27, 4
	v_lshlrev_b32_sdwa v3, v13, v3 dst_sel:DWORD dst_unused:UNUSED_PAD src0_sel:DWORD src1_sel:BYTE_3
	v_sub_u32_e32 v12, 29, v12
	v_and_b32_e32 v3, 7, v3
	v_cmp_eq_u16_e32 vcc, 0, v10
	v_cndmask_b32_e32 v3, v6, v3, vcc
	v_cndmask_b32_e32 v6, v11, v12, vcc
	v_mov_b32_e32 v10, 0x3b800000
	v_lshlrev_b32_e32 v3, 20, v3
	v_lshl_add_u32 v6, v6, 23, v10
	v_or3_b32 v6, v7, v6, v3
.LBB17_1728:
	s_or_b64 exec, exec, s[6:7]
	s_nop 0
	v_mfma_f32_16x16x4f32 a[0:3], v2, v6, a[0:3]
	s_movk_i32 s4, 0x7f
	v_cmp_gt_i16_sdwa s[6:7], v8, s4 src0_sel:BYTE_0 src1_sel:DWORD
	s_mov_b64 s[4:5], 0
                                        ; implicit-def: $sgpr10
	s_and_saveexec_b64 s[8:9], s[6:7]
	s_xor_b64 s[6:7], exec, s[8:9]
	s_cbranch_execnz .LBB17_3777
; %bb.1729:
	s_or_saveexec_b64 s[6:7], s[6:7]
	v_mov_b32_e32 v2, s10
	s_xor_b64 exec, exec, s[6:7]
	s_cbranch_execnz .LBB17_3780
.LBB17_1730:
	s_or_b64 exec, exec, s[6:7]
	s_and_saveexec_b64 s[6:7], s[4:5]
	s_cbranch_execz .LBB17_1732
.LBB17_1731:
	v_and_b32_e32 v2, 7, v8
	v_ffbh_u32_e32 v6, v2
	v_min_u32_e32 v6, 32, v6
	v_lshrrev_b16_e32 v3, 3, v8
	v_subrev_u32_e32 v7, 28, v6
	v_and_b32_e32 v3, 15, v3
	v_lshlrev_b32_e32 v7, v7, v8
	v_sub_u32_e32 v6, 29, v6
	v_and_b32_e32 v7, 7, v7
	v_cmp_eq_u16_e32 vcc, 0, v3
	v_cndmask_b32_e32 v2, v2, v7, vcc
	v_cndmask_b32_e32 v3, v3, v6, vcc
	v_lshlrev_b32_e32 v6, 24, v8
	v_mov_b32_e32 v7, 0x3b800000
	v_lshlrev_b32_e32 v2, 20, v2
	v_and_b32_e32 v6, 0x80000000, v6
	v_lshl_add_u32 v3, v3, 23, v7
	v_or3_b32 v2, v6, v3, v2
.LBB17_1732:
	s_or_b64 exec, exec, s[6:7]
	s_movk_i32 s4, 0x7f
	v_cmp_gt_i16_sdwa s[6:7], v4, s4 src0_sel:BYTE_0 src1_sel:DWORD
	s_mov_b64 s[4:5], 0
                                        ; implicit-def: $sgpr10
	s_and_saveexec_b64 s[8:9], s[6:7]
	s_xor_b64 s[6:7], exec, s[8:9]
	s_cbranch_execnz .LBB17_3781
; %bb.1733:
	s_or_saveexec_b64 s[6:7], s[6:7]
	v_mov_b32_e32 v3, s10
	s_xor_b64 exec, exec, s[6:7]
	s_cbranch_execnz .LBB17_3784
.LBB17_1734:
	s_or_b64 exec, exec, s[6:7]
	s_and_saveexec_b64 s[6:7], s[4:5]
	s_cbranch_execz .LBB17_1736
.LBB17_1735:
	v_and_b32_e32 v3, 7, v4
	v_ffbh_u32_e32 v7, v3
	v_min_u32_e32 v7, 32, v7
	v_lshrrev_b16_e32 v6, 3, v4
	v_subrev_u32_e32 v10, 28, v7
	v_and_b32_e32 v6, 15, v6
	v_lshlrev_b32_e32 v10, v10, v4
	v_sub_u32_e32 v7, 29, v7
	v_and_b32_e32 v10, 7, v10
	v_cmp_eq_u16_e32 vcc, 0, v6
	v_cndmask_b32_e32 v3, v3, v10, vcc
	v_cndmask_b32_e32 v6, v6, v7, vcc
	v_lshlrev_b32_e32 v7, 24, v4
	v_mov_b32_e32 v10, 0x3b800000
	v_lshlrev_b32_e32 v3, 20, v3
	v_and_b32_e32 v7, 0x80000000, v7
	v_lshl_add_u32 v6, v6, 23, v10
	v_or3_b32 v3, v7, v6, v3
.LBB17_1736:
	s_or_b64 exec, exec, s[6:7]
	s_nop 0
	v_mfma_f32_16x16x4f32 a[0:3], v2, v3, a[0:3]
	v_lshrrev_b32_e32 v3, 8, v8
	s_movk_i32 s4, 0x7f
	v_cmp_gt_i16_sdwa s[6:7], v3, s4 src0_sel:BYTE_0 src1_sel:DWORD
	s_mov_b64 s[4:5], 0
                                        ; implicit-def: $sgpr10
	s_and_saveexec_b64 s[8:9], s[6:7]
	s_xor_b64 s[6:7], exec, s[8:9]
	s_cbranch_execnz .LBB17_3785
; %bb.1737:
	s_or_saveexec_b64 s[6:7], s[6:7]
	v_mov_b32_e32 v2, s10
	s_xor_b64 exec, exec, s[6:7]
	s_cbranch_execnz .LBB17_3788
.LBB17_1738:
	s_or_b64 exec, exec, s[6:7]
	s_and_saveexec_b64 s[6:7], s[4:5]
	s_cbranch_execz .LBB17_1740
.LBB17_1739:
	v_bfe_u32 v2, v8, 8, 3
	v_ffbh_u32_e32 v7, v2
	v_min_u32_e32 v7, 32, v7
	v_lshrrev_b16_e32 v6, 3, v3
	v_subrev_u32_e32 v10, 28, v7
	v_and_b32_e32 v6, 15, v6
	v_lshlrev_b32_e32 v3, v10, v3
	v_sub_u32_e32 v7, 29, v7
	v_and_b32_e32 v3, 7, v3
	v_cmp_eq_u16_e32 vcc, 0, v6
	v_cndmask_b32_e32 v2, v2, v3, vcc
	v_cndmask_b32_e32 v3, v6, v7, vcc
	v_lshlrev_b32_e32 v6, 16, v8
	v_mov_b32_e32 v7, 0x3b800000
	v_lshlrev_b32_e32 v2, 20, v2
	v_and_b32_e32 v6, 0x80000000, v6
	v_lshl_add_u32 v3, v3, 23, v7
	v_or3_b32 v2, v6, v3, v2
.LBB17_1740:
	s_or_b64 exec, exec, s[6:7]
	v_lshrrev_b32_e32 v3, 8, v4
	s_movk_i32 s4, 0x7f
	v_cmp_gt_i16_sdwa s[6:7], v3, s4 src0_sel:BYTE_0 src1_sel:DWORD
	s_mov_b64 s[4:5], 0
                                        ; implicit-def: $sgpr10
	s_and_saveexec_b64 s[8:9], s[6:7]
	s_xor_b64 s[6:7], exec, s[8:9]
	s_cbranch_execnz .LBB17_3789
; %bb.1741:
	s_or_saveexec_b64 s[6:7], s[6:7]
	v_mov_b32_e32 v6, s10
	s_xor_b64 exec, exec, s[6:7]
	s_cbranch_execnz .LBB17_3792
.LBB17_1742:
	s_or_b64 exec, exec, s[6:7]
	s_and_saveexec_b64 s[6:7], s[4:5]
	s_cbranch_execz .LBB17_1744
.LBB17_1743:
	v_bfe_u32 v6, v4, 8, 3
	v_ffbh_u32_e32 v10, v6
	v_min_u32_e32 v10, 32, v10
	v_lshrrev_b16_e32 v7, 3, v3
	v_subrev_u32_e32 v11, 28, v10
	v_and_b32_e32 v7, 15, v7
	v_lshlrev_b32_e32 v3, v11, v3
	v_sub_u32_e32 v10, 29, v10
	v_and_b32_e32 v3, 7, v3
	v_cmp_eq_u16_e32 vcc, 0, v7
	v_cndmask_b32_e32 v3, v6, v3, vcc
	v_cndmask_b32_e32 v6, v7, v10, vcc
	v_lshlrev_b32_e32 v7, 16, v4
	v_mov_b32_e32 v10, 0x3b800000
	v_lshlrev_b32_e32 v3, 20, v3
	v_and_b32_e32 v7, 0x80000000, v7
	v_lshl_add_u32 v6, v6, 23, v10
	v_or3_b32 v6, v7, v6, v3
.LBB17_1744:
	s_or_b64 exec, exec, s[6:7]
	s_nop 0
	v_mfma_f32_16x16x4f32 a[0:3], v2, v6, a[0:3]
	s_movk_i32 s4, 0xff
	v_and_b32_sdwa v3, v8, s4 dst_sel:DWORD dst_unused:UNUSED_PAD src0_sel:WORD_1 src1_sel:DWORD
	s_movk_i32 s4, 0x7f
	v_cmp_lt_i16_e32 vcc, s4, v3
	s_mov_b64 s[4:5], 0
                                        ; implicit-def: $sgpr10
	s_and_saveexec_b64 s[6:7], vcc
	s_xor_b64 s[6:7], exec, s[6:7]
	s_cbranch_execnz .LBB17_3793
; %bb.1745:
	s_or_saveexec_b64 s[6:7], s[6:7]
	v_mov_b32_e32 v2, s10
	s_xor_b64 exec, exec, s[6:7]
	s_cbranch_execnz .LBB17_3796
.LBB17_1746:
	s_or_b64 exec, exec, s[6:7]
	s_and_saveexec_b64 s[6:7], s[4:5]
	s_cbranch_execz .LBB17_1748
.LBB17_1747:
	v_bfe_u32 v2, v8, 16, 3
	v_ffbh_u32_e32 v7, v2
	v_min_u32_e32 v7, 32, v7
	v_lshrrev_b32_e32 v3, 19, v8
	v_subrev_u32_e32 v10, 28, v7
	v_and_b32_e32 v3, 15, v3
	v_lshlrev_b32_sdwa v10, v10, v8 dst_sel:DWORD dst_unused:UNUSED_PAD src0_sel:DWORD src1_sel:WORD_1
	v_bfe_u32 v6, v8, 19, 4
	v_sub_u32_e32 v7, 29, v7
	v_and_b32_e32 v10, 7, v10
	v_cmp_eq_u16_e32 vcc, 0, v3
	v_cndmask_b32_e32 v2, v2, v10, vcc
	v_cndmask_b32_e32 v3, v6, v7, vcc
	v_lshlrev_b32_e32 v6, 8, v8
	v_mov_b32_e32 v7, 0x3b800000
	v_lshlrev_b32_e32 v2, 20, v2
	v_and_b32_e32 v6, 0x80000000, v6
	v_lshl_add_u32 v3, v3, 23, v7
	v_or3_b32 v2, v6, v3, v2
.LBB17_1748:
	s_or_b64 exec, exec, s[6:7]
	s_movk_i32 s4, 0xff
	v_and_b32_sdwa v3, v4, s4 dst_sel:DWORD dst_unused:UNUSED_PAD src0_sel:WORD_1 src1_sel:DWORD
	s_movk_i32 s4, 0x7f
	v_cmp_lt_i16_e32 vcc, s4, v3
	s_mov_b64 s[4:5], 0
                                        ; implicit-def: $sgpr10
	s_and_saveexec_b64 s[6:7], vcc
	s_xor_b64 s[6:7], exec, s[6:7]
	s_cbranch_execnz .LBB17_3797
; %bb.1749:
	s_or_saveexec_b64 s[6:7], s[6:7]
	v_mov_b32_e32 v6, s10
	s_xor_b64 exec, exec, s[6:7]
	s_cbranch_execnz .LBB17_3800
.LBB17_1750:
	s_or_b64 exec, exec, s[6:7]
	s_and_saveexec_b64 s[6:7], s[4:5]
	s_cbranch_execz .LBB17_1752
.LBB17_1751:
	v_bfe_u32 v3, v4, 16, 3
	v_ffbh_u32_e32 v10, v3
	v_min_u32_e32 v10, 32, v10
	v_lshrrev_b32_e32 v6, 19, v4
	v_subrev_u32_e32 v11, 28, v10
	v_and_b32_e32 v6, 15, v6
	v_lshlrev_b32_sdwa v11, v11, v4 dst_sel:DWORD dst_unused:UNUSED_PAD src0_sel:DWORD src1_sel:WORD_1
	v_bfe_u32 v7, v4, 19, 4
	v_sub_u32_e32 v10, 29, v10
	v_and_b32_e32 v11, 7, v11
	v_cmp_eq_u16_e32 vcc, 0, v6
	v_cndmask_b32_e32 v3, v3, v11, vcc
	v_cndmask_b32_e32 v6, v7, v10, vcc
	v_lshlrev_b32_e32 v7, 8, v4
	v_mov_b32_e32 v10, 0x3b800000
	v_lshlrev_b32_e32 v3, 20, v3
	v_and_b32_e32 v7, 0x80000000, v7
	v_lshl_add_u32 v6, v6, 23, v10
	v_or3_b32 v6, v7, v6, v3
.LBB17_1752:
	s_or_b64 exec, exec, s[6:7]
	s_nop 0
	v_mfma_f32_16x16x4f32 a[0:3], v2, v6, a[0:3]
	s_movk_i32 s4, 0x7f
	v_cmp_gt_i16_sdwa s[6:7], v8, s4 src0_sel:BYTE_3 src1_sel:DWORD
	s_mov_b64 s[4:5], 0
                                        ; implicit-def: $sgpr10
	s_and_saveexec_b64 s[8:9], s[6:7]
	s_xor_b64 s[6:7], exec, s[8:9]
	s_cbranch_execnz .LBB17_3801
; %bb.1753:
	s_or_saveexec_b64 s[6:7], s[6:7]
	v_mov_b32_e32 v2, s10
	s_xor_b64 exec, exec, s[6:7]
	s_cbranch_execnz .LBB17_3804
.LBB17_1754:
	s_or_b64 exec, exec, s[6:7]
	s_and_saveexec_b64 s[6:7], s[4:5]
	s_cbranch_execz .LBB17_1756
.LBB17_1755:
	v_bfe_u32 v2, v8, 24, 3
	v_ffbh_u32_e32 v10, v2
	v_min_u32_e32 v10, 32, v10
	v_lshrrev_b32_e32 v6, 27, v8
	v_subrev_u32_e32 v11, 28, v10
	v_and_b32_e32 v3, 0x80000000, v8
	v_and_b32_e32 v6, 15, v6
	v_bfe_u32 v7, v8, 27, 4
	v_lshlrev_b32_sdwa v8, v11, v8 dst_sel:DWORD dst_unused:UNUSED_PAD src0_sel:DWORD src1_sel:BYTE_3
	v_sub_u32_e32 v10, 29, v10
	v_and_b32_e32 v8, 7, v8
	v_cmp_eq_u16_e32 vcc, 0, v6
	v_cndmask_b32_e32 v2, v2, v8, vcc
	v_cndmask_b32_e32 v6, v7, v10, vcc
	v_mov_b32_e32 v7, 0x3b800000
	v_lshlrev_b32_e32 v2, 20, v2
	v_lshl_add_u32 v6, v6, 23, v7
	v_or3_b32 v2, v3, v6, v2
.LBB17_1756:
	s_or_b64 exec, exec, s[6:7]
	s_movk_i32 s4, 0x7f
	v_cmp_gt_i16_sdwa s[6:7], v4, s4 src0_sel:BYTE_3 src1_sel:DWORD
	s_mov_b64 s[4:5], 0
                                        ; implicit-def: $sgpr10
	s_and_saveexec_b64 s[8:9], s[6:7]
	s_xor_b64 s[6:7], exec, s[8:9]
	s_cbranch_execnz .LBB17_3805
; %bb.1757:
	s_or_saveexec_b64 s[6:7], s[6:7]
	v_mov_b32_e32 v3, s10
	s_xor_b64 exec, exec, s[6:7]
	s_cbranch_execnz .LBB17_3808
.LBB17_1758:
	s_or_b64 exec, exec, s[6:7]
	s_and_saveexec_b64 s[6:7], s[4:5]
	s_cbranch_execz .LBB17_1760
.LBB17_1759:
	v_bfe_u32 v3, v4, 24, 3
	v_ffbh_u32_e32 v10, v3
	v_min_u32_e32 v10, 32, v10
	v_lshrrev_b32_e32 v7, 27, v4
	v_subrev_u32_e32 v11, 28, v10
	v_and_b32_e32 v6, 0x80000000, v4
	v_and_b32_e32 v7, 15, v7
	v_bfe_u32 v8, v4, 27, 4
	v_lshlrev_b32_sdwa v4, v11, v4 dst_sel:DWORD dst_unused:UNUSED_PAD src0_sel:DWORD src1_sel:BYTE_3
	v_sub_u32_e32 v10, 29, v10
	v_and_b32_e32 v4, 7, v4
	v_cmp_eq_u16_e32 vcc, 0, v7
	v_cndmask_b32_e32 v3, v3, v4, vcc
	v_cndmask_b32_e32 v4, v8, v10, vcc
	v_mov_b32_e32 v7, 0x3b800000
	v_lshlrev_b32_e32 v3, 20, v3
	v_lshl_add_u32 v4, v4, 23, v7
	v_or3_b32 v3, v6, v4, v3
.LBB17_1760:
	s_or_b64 exec, exec, s[6:7]
	s_nop 0
	v_mfma_f32_16x16x4f32 a[0:3], v2, v3, a[0:3]
	s_movk_i32 s4, 0x7f
	v_cmp_gt_i16_sdwa s[6:7], v9, s4 src0_sel:BYTE_0 src1_sel:DWORD
	s_mov_b64 s[4:5], 0
                                        ; implicit-def: $sgpr10
	s_and_saveexec_b64 s[8:9], s[6:7]
	s_xor_b64 s[6:7], exec, s[8:9]
	s_cbranch_execnz .LBB17_3809
; %bb.1761:
	s_or_saveexec_b64 s[6:7], s[6:7]
	v_mov_b32_e32 v2, s10
	s_xor_b64 exec, exec, s[6:7]
	s_cbranch_execnz .LBB17_3812
.LBB17_1762:
	s_or_b64 exec, exec, s[6:7]
	s_and_saveexec_b64 s[6:7], s[4:5]
	s_cbranch_execz .LBB17_1764
.LBB17_1763:
	v_mov_b32_e32 v2, 8
	v_and_b32_e32 v3, 7, v9
	v_lshrrev_b32_sdwa v2, v2, v9 dst_sel:BYTE_1 dst_unused:UNUSED_PAD src0_sel:DWORD src1_sel:DWORD
	v_ffbh_u32_e32 v4, v3
	v_or_b32_sdwa v2, v9, v2 dst_sel:DWORD dst_unused:UNUSED_PAD src0_sel:BYTE_0 src1_sel:DWORD
	v_min_u32_e32 v4, 32, v4
	v_lshrrev_b16_e32 v2, 3, v2
	v_subrev_u32_e32 v6, 28, v4
	v_and_b32_e32 v2, 15, v2
	v_lshlrev_b32_e32 v6, v6, v9
	v_sub_u32_e32 v4, 29, v4
	v_and_b32_e32 v6, 7, v6
	v_cmp_eq_u16_e32 vcc, 0, v2
	v_cndmask_b32_e32 v3, v3, v6, vcc
	v_cndmask_b32_e32 v2, v2, v4, vcc
	v_lshlrev_b32_e32 v4, 24, v9
	v_mov_b32_e32 v6, 0x3b800000
	v_lshlrev_b32_e32 v3, 20, v3
	v_and_b32_e32 v4, 0x80000000, v4
	v_lshl_add_u32 v2, v2, 23, v6
	v_or3_b32 v2, v4, v2, v3
.LBB17_1764:
	s_or_b64 exec, exec, s[6:7]
	s_movk_i32 s4, 0x7f
	v_cmp_gt_i16_sdwa s[6:7], v5, s4 src0_sel:BYTE_0 src1_sel:DWORD
	s_mov_b64 s[4:5], 0
                                        ; implicit-def: $sgpr10
	s_and_saveexec_b64 s[8:9], s[6:7]
	s_xor_b64 s[6:7], exec, s[8:9]
	s_cbranch_execnz .LBB17_3813
; %bb.1765:
	s_or_saveexec_b64 s[6:7], s[6:7]
	v_mov_b32_e32 v3, s10
	s_xor_b64 exec, exec, s[6:7]
	s_cbranch_execnz .LBB17_3816
.LBB17_1766:
	s_or_b64 exec, exec, s[6:7]
	s_and_saveexec_b64 s[6:7], s[4:5]
	s_cbranch_execz .LBB17_1768
.LBB17_1767:
	v_mov_b32_e32 v3, 8
	v_and_b32_e32 v4, 7, v5
	v_lshrrev_b32_sdwa v3, v3, v5 dst_sel:BYTE_1 dst_unused:UNUSED_PAD src0_sel:DWORD src1_sel:DWORD
	v_ffbh_u32_e32 v6, v4
	v_or_b32_sdwa v3, v5, v3 dst_sel:DWORD dst_unused:UNUSED_PAD src0_sel:BYTE_0 src1_sel:DWORD
	v_min_u32_e32 v6, 32, v6
	v_lshrrev_b16_e32 v3, 3, v3
	v_subrev_u32_e32 v7, 28, v6
	v_and_b32_e32 v3, 15, v3
	v_lshlrev_b32_e32 v7, v7, v5
	v_sub_u32_e32 v6, 29, v6
	v_and_b32_e32 v7, 7, v7
	v_cmp_eq_u16_e32 vcc, 0, v3
	v_cndmask_b32_e32 v4, v4, v7, vcc
	v_cndmask_b32_e32 v3, v3, v6, vcc
	v_lshlrev_b32_e32 v6, 24, v5
	v_mov_b32_e32 v7, 0x3b800000
	v_lshlrev_b32_e32 v4, 20, v4
	v_and_b32_e32 v6, 0x80000000, v6
	v_lshl_add_u32 v3, v3, 23, v7
	v_or3_b32 v3, v6, v3, v4
.LBB17_1768:
	s_or_b64 exec, exec, s[6:7]
	s_nop 0
	v_mfma_f32_16x16x4f32 a[0:3], v2, v3, a[0:3]
	v_lshrrev_b32_e32 v3, 8, v9
	s_movk_i32 s4, 0x7f
	v_cmp_gt_i16_sdwa s[6:7], v3, s4 src0_sel:BYTE_0 src1_sel:DWORD
	s_mov_b64 s[4:5], 0
                                        ; implicit-def: $sgpr10
	s_and_saveexec_b64 s[8:9], s[6:7]
	s_xor_b64 s[6:7], exec, s[8:9]
	s_cbranch_execnz .LBB17_3817
; %bb.1769:
	s_or_saveexec_b64 s[6:7], s[6:7]
	v_mov_b32_e32 v2, s10
	s_xor_b64 exec, exec, s[6:7]
	s_cbranch_execnz .LBB17_3820
.LBB17_1770:
	s_or_b64 exec, exec, s[6:7]
	s_and_saveexec_b64 s[6:7], s[4:5]
	s_cbranch_execz .LBB17_1772
.LBB17_1771:
	v_bfe_u32 v2, v9, 8, 3
	v_ffbh_u32_e32 v6, v2
	v_min_u32_e32 v6, 32, v6
	v_lshrrev_b16_e32 v4, 3, v3
	v_subrev_u32_e32 v7, 28, v6
	v_and_b32_e32 v4, 15, v4
	v_lshlrev_b32_e32 v3, v7, v3
	v_sub_u32_e32 v6, 29, v6
	v_and_b32_e32 v3, 7, v3
	v_cmp_eq_u16_e32 vcc, 0, v4
	v_cndmask_b32_e32 v2, v2, v3, vcc
	v_cndmask_b32_e32 v3, v4, v6, vcc
	v_lshlrev_b32_e32 v4, 16, v9
	v_mov_b32_e32 v6, 0x3b800000
	v_lshlrev_b32_e32 v2, 20, v2
	v_and_b32_e32 v4, 0x80000000, v4
	v_lshl_add_u32 v3, v3, 23, v6
	v_or3_b32 v2, v4, v3, v2
.LBB17_1772:
	s_or_b64 exec, exec, s[6:7]
	v_lshrrev_b32_e32 v3, 8, v5
	s_movk_i32 s4, 0x7f
	v_cmp_gt_i16_sdwa s[6:7], v3, s4 src0_sel:BYTE_0 src1_sel:DWORD
	s_mov_b64 s[4:5], 0
                                        ; implicit-def: $sgpr10
	s_and_saveexec_b64 s[8:9], s[6:7]
	s_xor_b64 s[6:7], exec, s[8:9]
	s_cbranch_execnz .LBB17_3821
; %bb.1773:
	s_or_saveexec_b64 s[6:7], s[6:7]
	v_mov_b32_e32 v4, s10
	s_xor_b64 exec, exec, s[6:7]
	s_cbranch_execnz .LBB17_3824
.LBB17_1774:
	s_or_b64 exec, exec, s[6:7]
	s_and_saveexec_b64 s[6:7], s[4:5]
	s_cbranch_execz .LBB17_1776
.LBB17_1775:
	v_bfe_u32 v4, v5, 8, 3
	v_ffbh_u32_e32 v7, v4
	v_min_u32_e32 v7, 32, v7
	v_lshrrev_b16_e32 v6, 3, v3
	v_subrev_u32_e32 v8, 28, v7
	v_and_b32_e32 v6, 15, v6
	v_lshlrev_b32_e32 v3, v8, v3
	v_sub_u32_e32 v7, 29, v7
	v_and_b32_e32 v3, 7, v3
	v_cmp_eq_u16_e32 vcc, 0, v6
	v_cndmask_b32_e32 v3, v4, v3, vcc
	v_cndmask_b32_e32 v4, v6, v7, vcc
	v_lshlrev_b32_e32 v6, 16, v5
	v_mov_b32_e32 v7, 0x3b800000
	v_lshlrev_b32_e32 v3, 20, v3
	v_and_b32_e32 v6, 0x80000000, v6
	v_lshl_add_u32 v4, v4, 23, v7
	v_or3_b32 v4, v6, v4, v3
.LBB17_1776:
	s_or_b64 exec, exec, s[6:7]
	s_nop 0
	v_mfma_f32_16x16x4f32 a[0:3], v2, v4, a[0:3]
	s_movk_i32 s4, 0xff
	v_and_b32_sdwa v3, v9, s4 dst_sel:DWORD dst_unused:UNUSED_PAD src0_sel:WORD_1 src1_sel:DWORD
	s_movk_i32 s4, 0x7f
	v_cmp_lt_i16_e32 vcc, s4, v3
	s_mov_b64 s[4:5], 0
                                        ; implicit-def: $sgpr10
	s_and_saveexec_b64 s[6:7], vcc
	s_xor_b64 s[6:7], exec, s[6:7]
	s_cbranch_execnz .LBB17_3825
; %bb.1777:
	s_or_saveexec_b64 s[6:7], s[6:7]
	v_mov_b32_e32 v2, s10
	s_xor_b64 exec, exec, s[6:7]
	s_cbranch_execnz .LBB17_3828
.LBB17_1778:
	s_or_b64 exec, exec, s[6:7]
	s_and_saveexec_b64 s[6:7], s[4:5]
	s_cbranch_execz .LBB17_1780
.LBB17_1779:
	v_bfe_u32 v2, v9, 16, 3
	v_ffbh_u32_e32 v6, v2
	v_min_u32_e32 v6, 32, v6
	v_lshrrev_b32_e32 v3, 19, v9
	v_subrev_u32_e32 v7, 28, v6
	v_and_b32_e32 v3, 15, v3
	v_lshlrev_b32_sdwa v7, v7, v9 dst_sel:DWORD dst_unused:UNUSED_PAD src0_sel:DWORD src1_sel:WORD_1
	v_bfe_u32 v4, v9, 19, 4
	v_sub_u32_e32 v6, 29, v6
	v_and_b32_e32 v7, 7, v7
	v_cmp_eq_u16_e32 vcc, 0, v3
	v_cndmask_b32_e32 v2, v2, v7, vcc
	v_cndmask_b32_e32 v3, v4, v6, vcc
	v_lshlrev_b32_e32 v4, 8, v9
	v_mov_b32_e32 v6, 0x3b800000
	v_lshlrev_b32_e32 v2, 20, v2
	v_and_b32_e32 v4, 0x80000000, v4
	v_lshl_add_u32 v3, v3, 23, v6
	v_or3_b32 v2, v4, v3, v2
.LBB17_1780:
	s_or_b64 exec, exec, s[6:7]
	s_movk_i32 s4, 0xff
	v_and_b32_sdwa v3, v5, s4 dst_sel:DWORD dst_unused:UNUSED_PAD src0_sel:WORD_1 src1_sel:DWORD
	s_movk_i32 s4, 0x7f
	v_cmp_lt_i16_e32 vcc, s4, v3
	s_mov_b64 s[4:5], 0
                                        ; implicit-def: $sgpr10
	s_and_saveexec_b64 s[6:7], vcc
	s_xor_b64 s[6:7], exec, s[6:7]
	s_cbranch_execnz .LBB17_3829
; %bb.1781:
	s_or_saveexec_b64 s[6:7], s[6:7]
	v_mov_b32_e32 v4, s10
	s_xor_b64 exec, exec, s[6:7]
	s_cbranch_execnz .LBB17_3832
.LBB17_1782:
	s_or_b64 exec, exec, s[6:7]
	s_and_saveexec_b64 s[6:7], s[4:5]
	s_cbranch_execz .LBB17_1784
.LBB17_1783:
	v_bfe_u32 v3, v5, 16, 3
	v_ffbh_u32_e32 v7, v3
	v_min_u32_e32 v7, 32, v7
	v_lshrrev_b32_e32 v4, 19, v5
	v_subrev_u32_e32 v8, 28, v7
	v_and_b32_e32 v4, 15, v4
	v_lshlrev_b32_sdwa v8, v8, v5 dst_sel:DWORD dst_unused:UNUSED_PAD src0_sel:DWORD src1_sel:WORD_1
	v_bfe_u32 v6, v5, 19, 4
	v_sub_u32_e32 v7, 29, v7
	v_and_b32_e32 v8, 7, v8
	v_cmp_eq_u16_e32 vcc, 0, v4
	v_cndmask_b32_e32 v3, v3, v8, vcc
	v_cndmask_b32_e32 v4, v6, v7, vcc
	v_lshlrev_b32_e32 v6, 8, v5
	v_mov_b32_e32 v7, 0x3b800000
	v_lshlrev_b32_e32 v3, 20, v3
	v_and_b32_e32 v6, 0x80000000, v6
	v_lshl_add_u32 v4, v4, 23, v7
	v_or3_b32 v4, v6, v4, v3
.LBB17_1784:
	s_or_b64 exec, exec, s[6:7]
	s_nop 0
	v_mfma_f32_16x16x4f32 a[0:3], v2, v4, a[0:3]
	s_movk_i32 s4, 0x7f
	v_cmp_gt_i16_sdwa s[6:7], v9, s4 src0_sel:BYTE_3 src1_sel:DWORD
	s_mov_b64 s[4:5], 0
                                        ; implicit-def: $sgpr10
	s_and_saveexec_b64 s[8:9], s[6:7]
	s_xor_b64 s[6:7], exec, s[8:9]
	s_cbranch_execnz .LBB17_3833
; %bb.1785:
	s_or_saveexec_b64 s[6:7], s[6:7]
	v_mov_b32_e32 v2, s10
	s_xor_b64 exec, exec, s[6:7]
	s_cbranch_execnz .LBB17_3836
.LBB17_1786:
	s_or_b64 exec, exec, s[6:7]
	s_and_saveexec_b64 s[6:7], s[4:5]
	s_cbranch_execz .LBB17_1788
.LBB17_1787:
	v_bfe_u32 v2, v9, 24, 3
	v_ffbh_u32_e32 v7, v2
	v_min_u32_e32 v7, 32, v7
	v_lshrrev_b32_e32 v4, 27, v9
	v_subrev_u32_e32 v8, 28, v7
	v_and_b32_e32 v4, 15, v4
	v_lshlrev_b32_sdwa v8, v8, v9 dst_sel:DWORD dst_unused:UNUSED_PAD src0_sel:DWORD src1_sel:BYTE_3
	v_bfe_u32 v6, v9, 27, 4
	v_sub_u32_e32 v7, 29, v7
	v_and_b32_e32 v8, 7, v8
	v_cmp_eq_u16_e32 vcc, 0, v4
	v_cndmask_b32_e32 v2, v2, v8, vcc
	v_cndmask_b32_e32 v4, v6, v7, vcc
	v_mov_b32_e32 v6, 0x3b800000
	v_and_b32_e32 v3, 0x80000000, v9
	v_lshlrev_b32_e32 v2, 20, v2
	v_lshl_add_u32 v4, v4, 23, v6
	v_or3_b32 v2, v3, v4, v2
.LBB17_1788:
	s_or_b64 exec, exec, s[6:7]
	s_movk_i32 s4, 0x7f
	v_cmp_gt_i16_sdwa s[6:7], v5, s4 src0_sel:BYTE_3 src1_sel:DWORD
	s_mov_b64 s[4:5], 0
                                        ; implicit-def: $sgpr10
	s_and_saveexec_b64 s[8:9], s[6:7]
	s_xor_b64 s[6:7], exec, s[8:9]
	s_cbranch_execnz .LBB17_3837
; %bb.1789:
	s_or_saveexec_b64 s[6:7], s[6:7]
	v_mov_b32_e32 v3, s10
	s_xor_b64 exec, exec, s[6:7]
	s_cbranch_execnz .LBB17_3840
.LBB17_1790:
	s_or_b64 exec, exec, s[6:7]
	s_and_saveexec_b64 s[6:7], s[4:5]
	s_cbranch_execz .LBB17_1792
.LBB17_1791:
	v_bfe_u32 v3, v5, 24, 3
	v_ffbh_u32_e32 v8, v3
	v_min_u32_e32 v8, 32, v8
	v_lshrrev_b32_e32 v6, 27, v5
	v_subrev_u32_e32 v9, 28, v8
	v_and_b32_e32 v4, 0x80000000, v5
	v_and_b32_e32 v6, 15, v6
	v_bfe_u32 v7, v5, 27, 4
	v_lshlrev_b32_sdwa v5, v9, v5 dst_sel:DWORD dst_unused:UNUSED_PAD src0_sel:DWORD src1_sel:BYTE_3
	v_sub_u32_e32 v8, 29, v8
	v_and_b32_e32 v5, 7, v5
	v_cmp_eq_u16_e32 vcc, 0, v6
	v_cndmask_b32_e32 v3, v3, v5, vcc
	v_cndmask_b32_e32 v5, v7, v8, vcc
	v_mov_b32_e32 v6, 0x3b800000
	v_lshlrev_b32_e32 v3, 20, v3
	v_lshl_add_u32 v5, v5, 23, v6
	v_or3_b32 v3, v4, v5, v3
.LBB17_1792:
	s_or_b64 exec, exec, s[6:7]
	s_nop 0
	v_mfma_f32_16x16x4f32 a[0:3], v2, v3, a[0:3]
	s_movk_i32 s4, 0x7f
                                        ; implicit-def: $sgpr10
	s_nop 7
	s_nop 1
	flat_store_dwordx4 v[18:19], a[0:3] offset:992
	flat_load_dwordx4 v[18:21], v[0:1] offset:16
	s_nop 0
	flat_load_dwordx2 v[16:17], v[0:1] offset:32
	s_waitcnt vmcnt(0) lgkmcnt(0)
	flat_load_dwordx4 v[12:15], v[18:19] offset:32
	flat_load_dwordx4 v[4:7], v[18:19] offset:48
	;; [unrolled: 1-line block ×4, first 2 shown]
	s_waitcnt vmcnt(0) lgkmcnt(0)
	v_cmp_gt_i16_sdwa s[6:7], v12, s4 src0_sel:BYTE_0 src1_sel:DWORD
	s_mov_b64 s[4:5], 0
	s_and_saveexec_b64 s[8:9], s[6:7]
	s_xor_b64 s[6:7], exec, s[8:9]
	s_cbranch_execnz .LBB17_3841
; %bb.1793:
	s_or_saveexec_b64 s[6:7], s[6:7]
	v_mov_b32_e32 v18, s10
	s_xor_b64 exec, exec, s[6:7]
	s_cbranch_execnz .LBB17_3844
.LBB17_1794:
	s_or_b64 exec, exec, s[6:7]
	s_and_saveexec_b64 s[6:7], s[4:5]
	s_cbranch_execz .LBB17_1796
.LBB17_1795:
	v_and_b32_e32 v18, 7, v12
	v_ffbh_u32_e32 v20, v18
	v_min_u32_e32 v20, 32, v20
	v_lshrrev_b16_e32 v19, 3, v12
	v_subrev_u32_e32 v21, 28, v20
	v_and_b32_e32 v19, 15, v19
	v_lshlrev_b32_e32 v21, v21, v12
	v_sub_u32_e32 v20, 29, v20
	v_and_b32_e32 v21, 7, v21
	v_cmp_eq_u16_e32 vcc, 0, v19
	v_cndmask_b32_e32 v18, v18, v21, vcc
	v_cndmask_b32_e32 v19, v19, v20, vcc
	v_lshlrev_b32_e32 v20, 24, v12
	v_mov_b32_e32 v21, 0x3b800000
	v_lshlrev_b32_e32 v18, 20, v18
	v_and_b32_e32 v20, 0x80000000, v20
	v_lshl_add_u32 v19, v19, 23, v21
	v_or3_b32 v18, v20, v19, v18
.LBB17_1796:
	s_or_b64 exec, exec, s[6:7]
	s_movk_i32 s4, 0x7f
	v_cmp_gt_i16_sdwa s[6:7], v8, s4 src0_sel:BYTE_0 src1_sel:DWORD
	s_mov_b64 s[4:5], 0
                                        ; implicit-def: $sgpr10
	s_and_saveexec_b64 s[8:9], s[6:7]
	s_xor_b64 s[6:7], exec, s[8:9]
	s_cbranch_execnz .LBB17_3845
; %bb.1797:
	s_or_saveexec_b64 s[6:7], s[6:7]
	v_mov_b32_e32 v19, s10
	s_xor_b64 exec, exec, s[6:7]
	s_cbranch_execnz .LBB17_3848
.LBB17_1798:
	s_or_b64 exec, exec, s[6:7]
	s_and_saveexec_b64 s[6:7], s[4:5]
	s_cbranch_execz .LBB17_1800
.LBB17_1799:
	v_and_b32_e32 v19, 7, v8
	v_ffbh_u32_e32 v21, v19
	v_min_u32_e32 v21, 32, v21
	v_lshrrev_b16_e32 v20, 3, v8
	v_subrev_u32_e32 v22, 28, v21
	v_and_b32_e32 v20, 15, v20
	v_lshlrev_b32_e32 v22, v22, v8
	v_sub_u32_e32 v21, 29, v21
	v_and_b32_e32 v22, 7, v22
	v_cmp_eq_u16_e32 vcc, 0, v20
	v_cndmask_b32_e32 v19, v19, v22, vcc
	v_cndmask_b32_e32 v20, v20, v21, vcc
	v_lshlrev_b32_e32 v21, 24, v8
	v_mov_b32_e32 v22, 0x3b800000
	v_lshlrev_b32_e32 v19, 20, v19
	v_and_b32_e32 v21, 0x80000000, v21
	v_lshl_add_u32 v20, v20, 23, v22
	v_or3_b32 v19, v21, v20, v19
.LBB17_1800:
	s_or_b64 exec, exec, s[6:7]
	flat_load_dwordx4 a[0:3], v[16:17] offset:1008
	s_movk_i32 s4, 0x7f
                                        ; implicit-def: $sgpr10
	s_waitcnt vmcnt(0) lgkmcnt(0)
	v_mfma_f32_16x16x4f32 a[0:3], v18, v19, a[0:3]
	v_lshrrev_b32_e32 v19, 8, v12
	v_cmp_gt_i16_sdwa s[6:7], v19, s4 src0_sel:BYTE_0 src1_sel:DWORD
	s_mov_b64 s[4:5], 0
	s_and_saveexec_b64 s[8:9], s[6:7]
	s_xor_b64 s[6:7], exec, s[8:9]
	s_cbranch_execnz .LBB17_3849
; %bb.1801:
	s_or_saveexec_b64 s[6:7], s[6:7]
	v_mov_b32_e32 v18, s10
	s_xor_b64 exec, exec, s[6:7]
	s_cbranch_execnz .LBB17_3852
.LBB17_1802:
	s_or_b64 exec, exec, s[6:7]
	s_and_saveexec_b64 s[6:7], s[4:5]
	s_cbranch_execz .LBB17_1804
.LBB17_1803:
	v_bfe_u32 v18, v12, 8, 3
	v_ffbh_u32_e32 v21, v18
	v_min_u32_e32 v21, 32, v21
	v_lshrrev_b16_e32 v20, 3, v19
	v_subrev_u32_e32 v22, 28, v21
	v_and_b32_e32 v20, 15, v20
	v_lshlrev_b32_e32 v19, v22, v19
	v_sub_u32_e32 v21, 29, v21
	v_and_b32_e32 v19, 7, v19
	v_cmp_eq_u16_e32 vcc, 0, v20
	v_cndmask_b32_e32 v18, v18, v19, vcc
	v_cndmask_b32_e32 v19, v20, v21, vcc
	v_lshlrev_b32_e32 v20, 16, v12
	v_mov_b32_e32 v21, 0x3b800000
	v_lshlrev_b32_e32 v18, 20, v18
	v_and_b32_e32 v20, 0x80000000, v20
	v_lshl_add_u32 v19, v19, 23, v21
	v_or3_b32 v18, v20, v19, v18
.LBB17_1804:
	s_or_b64 exec, exec, s[6:7]
	v_lshrrev_b32_e32 v19, 8, v8
	s_movk_i32 s4, 0x7f
	v_cmp_gt_i16_sdwa s[6:7], v19, s4 src0_sel:BYTE_0 src1_sel:DWORD
	s_mov_b64 s[4:5], 0
                                        ; implicit-def: $sgpr10
	s_and_saveexec_b64 s[8:9], s[6:7]
	s_xor_b64 s[6:7], exec, s[8:9]
	s_cbranch_execnz .LBB17_3853
; %bb.1805:
	s_or_saveexec_b64 s[6:7], s[6:7]
	v_mov_b32_e32 v20, s10
	s_xor_b64 exec, exec, s[6:7]
	s_cbranch_execnz .LBB17_3856
.LBB17_1806:
	s_or_b64 exec, exec, s[6:7]
	s_and_saveexec_b64 s[6:7], s[4:5]
	s_cbranch_execz .LBB17_1808
.LBB17_1807:
	v_bfe_u32 v20, v8, 8, 3
	v_ffbh_u32_e32 v22, v20
	v_min_u32_e32 v22, 32, v22
	v_lshrrev_b16_e32 v21, 3, v19
	v_subrev_u32_e32 v23, 28, v22
	v_and_b32_e32 v21, 15, v21
	v_lshlrev_b32_e32 v19, v23, v19
	v_sub_u32_e32 v22, 29, v22
	v_and_b32_e32 v19, 7, v19
	v_cmp_eq_u16_e32 vcc, 0, v21
	v_cndmask_b32_e32 v19, v20, v19, vcc
	v_cndmask_b32_e32 v20, v21, v22, vcc
	v_lshlrev_b32_e32 v21, 16, v8
	v_mov_b32_e32 v22, 0x3b800000
	v_lshlrev_b32_e32 v19, 20, v19
	v_and_b32_e32 v21, 0x80000000, v21
	v_lshl_add_u32 v20, v20, 23, v22
	v_or3_b32 v20, v21, v20, v19
.LBB17_1808:
	s_or_b64 exec, exec, s[6:7]
	s_nop 0
	v_mfma_f32_16x16x4f32 a[0:3], v18, v20, a[0:3]
	s_movk_i32 s4, 0xff
	v_and_b32_sdwa v19, v12, s4 dst_sel:DWORD dst_unused:UNUSED_PAD src0_sel:WORD_1 src1_sel:DWORD
	s_movk_i32 s4, 0x7f
	v_cmp_lt_i16_e32 vcc, s4, v19
	s_mov_b64 s[4:5], 0
                                        ; implicit-def: $sgpr10
	s_and_saveexec_b64 s[6:7], vcc
	s_xor_b64 s[6:7], exec, s[6:7]
	s_cbranch_execnz .LBB17_3857
; %bb.1809:
	s_or_saveexec_b64 s[6:7], s[6:7]
	v_mov_b32_e32 v18, s10
	s_xor_b64 exec, exec, s[6:7]
	s_cbranch_execnz .LBB17_3860
.LBB17_1810:
	s_or_b64 exec, exec, s[6:7]
	s_and_saveexec_b64 s[6:7], s[4:5]
	s_cbranch_execz .LBB17_1812
.LBB17_1811:
	v_bfe_u32 v18, v12, 16, 3
	v_ffbh_u32_e32 v21, v18
	v_min_u32_e32 v21, 32, v21
	v_lshrrev_b32_e32 v19, 19, v12
	v_subrev_u32_e32 v22, 28, v21
	v_and_b32_e32 v19, 15, v19
	v_lshlrev_b32_sdwa v22, v22, v12 dst_sel:DWORD dst_unused:UNUSED_PAD src0_sel:DWORD src1_sel:WORD_1
	v_bfe_u32 v20, v12, 19, 4
	v_sub_u32_e32 v21, 29, v21
	v_and_b32_e32 v22, 7, v22
	v_cmp_eq_u16_e32 vcc, 0, v19
	v_cndmask_b32_e32 v18, v18, v22, vcc
	v_cndmask_b32_e32 v19, v20, v21, vcc
	v_lshlrev_b32_e32 v20, 8, v12
	v_mov_b32_e32 v21, 0x3b800000
	v_lshlrev_b32_e32 v18, 20, v18
	v_and_b32_e32 v20, 0x80000000, v20
	v_lshl_add_u32 v19, v19, 23, v21
	v_or3_b32 v18, v20, v19, v18
.LBB17_1812:
	s_or_b64 exec, exec, s[6:7]
	s_movk_i32 s4, 0xff
	v_and_b32_sdwa v19, v8, s4 dst_sel:DWORD dst_unused:UNUSED_PAD src0_sel:WORD_1 src1_sel:DWORD
	s_movk_i32 s4, 0x7f
	v_cmp_lt_i16_e32 vcc, s4, v19
	s_mov_b64 s[4:5], 0
                                        ; implicit-def: $sgpr10
	s_and_saveexec_b64 s[6:7], vcc
	s_xor_b64 s[6:7], exec, s[6:7]
	s_cbranch_execnz .LBB17_3861
; %bb.1813:
	s_or_saveexec_b64 s[6:7], s[6:7]
	v_mov_b32_e32 v20, s10
	s_xor_b64 exec, exec, s[6:7]
	s_cbranch_execnz .LBB17_3864
.LBB17_1814:
	s_or_b64 exec, exec, s[6:7]
	s_and_saveexec_b64 s[6:7], s[4:5]
	s_cbranch_execz .LBB17_1816
.LBB17_1815:
	v_bfe_u32 v19, v8, 16, 3
	v_ffbh_u32_e32 v22, v19
	v_min_u32_e32 v22, 32, v22
	v_lshrrev_b32_e32 v20, 19, v8
	v_subrev_u32_e32 v23, 28, v22
	v_and_b32_e32 v20, 15, v20
	v_lshlrev_b32_sdwa v23, v23, v8 dst_sel:DWORD dst_unused:UNUSED_PAD src0_sel:DWORD src1_sel:WORD_1
	v_bfe_u32 v21, v8, 19, 4
	v_sub_u32_e32 v22, 29, v22
	v_and_b32_e32 v23, 7, v23
	v_cmp_eq_u16_e32 vcc, 0, v20
	v_cndmask_b32_e32 v19, v19, v23, vcc
	v_cndmask_b32_e32 v20, v21, v22, vcc
	v_lshlrev_b32_e32 v21, 8, v8
	v_mov_b32_e32 v22, 0x3b800000
	v_lshlrev_b32_e32 v19, 20, v19
	v_and_b32_e32 v21, 0x80000000, v21
	v_lshl_add_u32 v20, v20, 23, v22
	v_or3_b32 v20, v21, v20, v19
.LBB17_1816:
	s_or_b64 exec, exec, s[6:7]
	s_nop 0
	v_mfma_f32_16x16x4f32 a[0:3], v18, v20, a[0:3]
	s_movk_i32 s4, 0x7f
	v_cmp_gt_i16_sdwa s[6:7], v12, s4 src0_sel:BYTE_3 src1_sel:DWORD
	s_mov_b64 s[4:5], 0
                                        ; implicit-def: $sgpr10
	s_and_saveexec_b64 s[8:9], s[6:7]
	s_xor_b64 s[6:7], exec, s[8:9]
	s_cbranch_execnz .LBB17_3865
; %bb.1817:
	s_or_saveexec_b64 s[6:7], s[6:7]
	v_mov_b32_e32 v18, s10
	s_xor_b64 exec, exec, s[6:7]
	s_cbranch_execnz .LBB17_3868
.LBB17_1818:
	s_or_b64 exec, exec, s[6:7]
	s_and_saveexec_b64 s[6:7], s[4:5]
	s_cbranch_execz .LBB17_1820
.LBB17_1819:
	v_bfe_u32 v18, v12, 24, 3
	v_ffbh_u32_e32 v22, v18
	v_min_u32_e32 v22, 32, v22
	v_lshrrev_b32_e32 v20, 27, v12
	v_subrev_u32_e32 v23, 28, v22
	v_and_b32_e32 v19, 0x80000000, v12
	v_and_b32_e32 v20, 15, v20
	v_bfe_u32 v21, v12, 27, 4
	v_lshlrev_b32_sdwa v12, v23, v12 dst_sel:DWORD dst_unused:UNUSED_PAD src0_sel:DWORD src1_sel:BYTE_3
	v_sub_u32_e32 v22, 29, v22
	v_and_b32_e32 v12, 7, v12
	v_cmp_eq_u16_e32 vcc, 0, v20
	v_cndmask_b32_e32 v12, v18, v12, vcc
	v_cndmask_b32_e32 v18, v21, v22, vcc
	v_mov_b32_e32 v20, 0x3b800000
	v_lshlrev_b32_e32 v12, 20, v12
	v_lshl_add_u32 v18, v18, 23, v20
	v_or3_b32 v18, v19, v18, v12
.LBB17_1820:
	s_or_b64 exec, exec, s[6:7]
	s_movk_i32 s4, 0x7f
	v_cmp_gt_i16_sdwa s[6:7], v8, s4 src0_sel:BYTE_3 src1_sel:DWORD
	s_mov_b64 s[4:5], 0
                                        ; implicit-def: $sgpr10
	s_and_saveexec_b64 s[8:9], s[6:7]
	s_xor_b64 s[6:7], exec, s[8:9]
	s_cbranch_execnz .LBB17_3869
; %bb.1821:
	s_or_saveexec_b64 s[6:7], s[6:7]
	v_mov_b32_e32 v12, s10
	s_xor_b64 exec, exec, s[6:7]
	s_cbranch_execnz .LBB17_3872
.LBB17_1822:
	s_or_b64 exec, exec, s[6:7]
	s_and_saveexec_b64 s[6:7], s[4:5]
	s_cbranch_execz .LBB17_1824
.LBB17_1823:
	v_bfe_u32 v12, v8, 24, 3
	v_ffbh_u32_e32 v22, v12
	v_min_u32_e32 v22, 32, v22
	v_lshrrev_b32_e32 v20, 27, v8
	v_subrev_u32_e32 v23, 28, v22
	v_and_b32_e32 v19, 0x80000000, v8
	v_and_b32_e32 v20, 15, v20
	v_bfe_u32 v21, v8, 27, 4
	v_lshlrev_b32_sdwa v8, v23, v8 dst_sel:DWORD dst_unused:UNUSED_PAD src0_sel:DWORD src1_sel:BYTE_3
	v_sub_u32_e32 v22, 29, v22
	v_and_b32_e32 v8, 7, v8
	v_cmp_eq_u16_e32 vcc, 0, v20
	v_cndmask_b32_e32 v8, v12, v8, vcc
	v_cndmask_b32_e32 v12, v21, v22, vcc
	v_mov_b32_e32 v20, 0x3b800000
	v_lshlrev_b32_e32 v8, 20, v8
	v_lshl_add_u32 v12, v12, 23, v20
	v_or3_b32 v12, v19, v12, v8
.LBB17_1824:
	s_or_b64 exec, exec, s[6:7]
	s_nop 0
	v_mfma_f32_16x16x4f32 a[0:3], v18, v12, a[0:3]
	s_movk_i32 s4, 0x7f
	v_cmp_gt_i16_sdwa s[6:7], v13, s4 src0_sel:BYTE_0 src1_sel:DWORD
	s_mov_b64 s[4:5], 0
                                        ; implicit-def: $sgpr10
	s_and_saveexec_b64 s[8:9], s[6:7]
	s_xor_b64 s[6:7], exec, s[8:9]
	s_cbranch_execnz .LBB17_3873
; %bb.1825:
	s_or_saveexec_b64 s[6:7], s[6:7]
	v_mov_b32_e32 v8, s10
	s_xor_b64 exec, exec, s[6:7]
	s_cbranch_execnz .LBB17_3876
.LBB17_1826:
	s_or_b64 exec, exec, s[6:7]
	s_and_saveexec_b64 s[6:7], s[4:5]
	s_cbranch_execz .LBB17_1828
.LBB17_1827:
	v_and_b32_e32 v8, 7, v13
	v_ffbh_u32_e32 v18, v8
	v_min_u32_e32 v18, 32, v18
	v_lshrrev_b16_e32 v12, 3, v13
	v_subrev_u32_e32 v19, 28, v18
	v_and_b32_e32 v12, 15, v12
	v_lshlrev_b32_e32 v19, v19, v13
	v_sub_u32_e32 v18, 29, v18
	v_and_b32_e32 v19, 7, v19
	v_cmp_eq_u16_e32 vcc, 0, v12
	v_cndmask_b32_e32 v8, v8, v19, vcc
	v_cndmask_b32_e32 v12, v12, v18, vcc
	v_lshlrev_b32_e32 v18, 24, v13
	v_mov_b32_e32 v19, 0x3b800000
	v_lshlrev_b32_e32 v8, 20, v8
	v_and_b32_e32 v18, 0x80000000, v18
	v_lshl_add_u32 v12, v12, 23, v19
	v_or3_b32 v8, v18, v12, v8
.LBB17_1828:
	s_or_b64 exec, exec, s[6:7]
	s_movk_i32 s4, 0x7f
	v_cmp_gt_i16_sdwa s[6:7], v9, s4 src0_sel:BYTE_0 src1_sel:DWORD
	s_mov_b64 s[4:5], 0
                                        ; implicit-def: $sgpr10
	s_and_saveexec_b64 s[8:9], s[6:7]
	s_xor_b64 s[6:7], exec, s[8:9]
	s_cbranch_execnz .LBB17_3877
; %bb.1829:
	s_or_saveexec_b64 s[6:7], s[6:7]
	v_mov_b32_e32 v12, s10
	s_xor_b64 exec, exec, s[6:7]
	s_cbranch_execnz .LBB17_3880
.LBB17_1830:
	s_or_b64 exec, exec, s[6:7]
	s_and_saveexec_b64 s[6:7], s[4:5]
	s_cbranch_execz .LBB17_1832
.LBB17_1831:
	v_and_b32_e32 v12, 7, v9
	v_ffbh_u32_e32 v19, v12
	v_min_u32_e32 v19, 32, v19
	v_lshrrev_b16_e32 v18, 3, v9
	v_subrev_u32_e32 v20, 28, v19
	v_and_b32_e32 v18, 15, v18
	v_lshlrev_b32_e32 v20, v20, v9
	v_sub_u32_e32 v19, 29, v19
	v_and_b32_e32 v20, 7, v20
	v_cmp_eq_u16_e32 vcc, 0, v18
	v_cndmask_b32_e32 v12, v12, v20, vcc
	v_cndmask_b32_e32 v18, v18, v19, vcc
	v_lshlrev_b32_e32 v19, 24, v9
	v_mov_b32_e32 v20, 0x3b800000
	v_lshlrev_b32_e32 v12, 20, v12
	v_and_b32_e32 v19, 0x80000000, v19
	v_lshl_add_u32 v18, v18, 23, v20
	v_or3_b32 v12, v19, v18, v12
.LBB17_1832:
	s_or_b64 exec, exec, s[6:7]
	s_nop 0
	v_mfma_f32_16x16x4f32 a[0:3], v8, v12, a[0:3]
	v_lshrrev_b32_e32 v12, 8, v13
	s_movk_i32 s4, 0x7f
	v_cmp_gt_i16_sdwa s[6:7], v12, s4 src0_sel:BYTE_0 src1_sel:DWORD
	s_mov_b64 s[4:5], 0
                                        ; implicit-def: $sgpr10
	s_and_saveexec_b64 s[8:9], s[6:7]
	s_xor_b64 s[6:7], exec, s[8:9]
	s_cbranch_execnz .LBB17_3881
; %bb.1833:
	s_or_saveexec_b64 s[6:7], s[6:7]
	v_mov_b32_e32 v8, s10
	s_xor_b64 exec, exec, s[6:7]
	s_cbranch_execnz .LBB17_3884
.LBB17_1834:
	s_or_b64 exec, exec, s[6:7]
	s_and_saveexec_b64 s[6:7], s[4:5]
	s_cbranch_execz .LBB17_1836
.LBB17_1835:
	v_bfe_u32 v8, v13, 8, 3
	v_ffbh_u32_e32 v19, v8
	v_min_u32_e32 v19, 32, v19
	v_lshrrev_b16_e32 v18, 3, v12
	v_subrev_u32_e32 v20, 28, v19
	v_and_b32_e32 v18, 15, v18
	v_lshlrev_b32_e32 v12, v20, v12
	v_sub_u32_e32 v19, 29, v19
	v_and_b32_e32 v12, 7, v12
	v_cmp_eq_u16_e32 vcc, 0, v18
	v_cndmask_b32_e32 v8, v8, v12, vcc
	v_cndmask_b32_e32 v12, v18, v19, vcc
	v_lshlrev_b32_e32 v18, 16, v13
	v_mov_b32_e32 v19, 0x3b800000
	v_lshlrev_b32_e32 v8, 20, v8
	v_and_b32_e32 v18, 0x80000000, v18
	v_lshl_add_u32 v12, v12, 23, v19
	v_or3_b32 v8, v18, v12, v8
.LBB17_1836:
	s_or_b64 exec, exec, s[6:7]
	v_lshrrev_b32_e32 v12, 8, v9
	s_movk_i32 s4, 0x7f
	v_cmp_gt_i16_sdwa s[6:7], v12, s4 src0_sel:BYTE_0 src1_sel:DWORD
	s_mov_b64 s[4:5], 0
                                        ; implicit-def: $sgpr10
	s_and_saveexec_b64 s[8:9], s[6:7]
	s_xor_b64 s[6:7], exec, s[8:9]
	s_cbranch_execnz .LBB17_3885
; %bb.1837:
	s_or_saveexec_b64 s[6:7], s[6:7]
	v_mov_b32_e32 v18, s10
	s_xor_b64 exec, exec, s[6:7]
	s_cbranch_execnz .LBB17_3888
.LBB17_1838:
	s_or_b64 exec, exec, s[6:7]
	s_and_saveexec_b64 s[6:7], s[4:5]
	s_cbranch_execz .LBB17_1840
.LBB17_1839:
	v_bfe_u32 v18, v9, 8, 3
	v_ffbh_u32_e32 v20, v18
	v_min_u32_e32 v20, 32, v20
	v_lshrrev_b16_e32 v19, 3, v12
	v_subrev_u32_e32 v21, 28, v20
	v_and_b32_e32 v19, 15, v19
	v_lshlrev_b32_e32 v12, v21, v12
	v_sub_u32_e32 v20, 29, v20
	v_and_b32_e32 v12, 7, v12
	v_cmp_eq_u16_e32 vcc, 0, v19
	v_cndmask_b32_e32 v12, v18, v12, vcc
	v_cndmask_b32_e32 v18, v19, v20, vcc
	v_lshlrev_b32_e32 v19, 16, v9
	v_mov_b32_e32 v20, 0x3b800000
	v_lshlrev_b32_e32 v12, 20, v12
	v_and_b32_e32 v19, 0x80000000, v19
	v_lshl_add_u32 v18, v18, 23, v20
	v_or3_b32 v18, v19, v18, v12
.LBB17_1840:
	s_or_b64 exec, exec, s[6:7]
	s_nop 0
	v_mfma_f32_16x16x4f32 a[0:3], v8, v18, a[0:3]
	s_movk_i32 s4, 0xff
	v_and_b32_sdwa v12, v13, s4 dst_sel:DWORD dst_unused:UNUSED_PAD src0_sel:WORD_1 src1_sel:DWORD
	s_movk_i32 s4, 0x7f
	v_cmp_lt_i16_e32 vcc, s4, v12
	s_mov_b64 s[4:5], 0
                                        ; implicit-def: $sgpr10
	s_and_saveexec_b64 s[6:7], vcc
	s_xor_b64 s[6:7], exec, s[6:7]
	s_cbranch_execnz .LBB17_3889
; %bb.1841:
	s_or_saveexec_b64 s[6:7], s[6:7]
	v_mov_b32_e32 v8, s10
	s_xor_b64 exec, exec, s[6:7]
	s_cbranch_execnz .LBB17_3892
.LBB17_1842:
	s_or_b64 exec, exec, s[6:7]
	s_and_saveexec_b64 s[6:7], s[4:5]
	s_cbranch_execz .LBB17_1844
.LBB17_1843:
	v_bfe_u32 v8, v13, 16, 3
	v_ffbh_u32_e32 v19, v8
	v_min_u32_e32 v19, 32, v19
	v_lshrrev_b32_e32 v12, 19, v13
	v_subrev_u32_e32 v20, 28, v19
	v_and_b32_e32 v12, 15, v12
	v_lshlrev_b32_sdwa v20, v20, v13 dst_sel:DWORD dst_unused:UNUSED_PAD src0_sel:DWORD src1_sel:WORD_1
	v_bfe_u32 v18, v13, 19, 4
	v_sub_u32_e32 v19, 29, v19
	v_and_b32_e32 v20, 7, v20
	v_cmp_eq_u16_e32 vcc, 0, v12
	v_cndmask_b32_e32 v8, v8, v20, vcc
	v_cndmask_b32_e32 v12, v18, v19, vcc
	v_lshlrev_b32_e32 v18, 8, v13
	v_mov_b32_e32 v19, 0x3b800000
	v_lshlrev_b32_e32 v8, 20, v8
	v_and_b32_e32 v18, 0x80000000, v18
	v_lshl_add_u32 v12, v12, 23, v19
	v_or3_b32 v8, v18, v12, v8
.LBB17_1844:
	s_or_b64 exec, exec, s[6:7]
	s_movk_i32 s4, 0xff
	v_and_b32_sdwa v12, v9, s4 dst_sel:DWORD dst_unused:UNUSED_PAD src0_sel:WORD_1 src1_sel:DWORD
	s_movk_i32 s4, 0x7f
	v_cmp_lt_i16_e32 vcc, s4, v12
	s_mov_b64 s[4:5], 0
                                        ; implicit-def: $sgpr10
	s_and_saveexec_b64 s[6:7], vcc
	s_xor_b64 s[6:7], exec, s[6:7]
	s_cbranch_execnz .LBB17_3893
; %bb.1845:
	s_or_saveexec_b64 s[6:7], s[6:7]
	v_mov_b32_e32 v18, s10
	s_xor_b64 exec, exec, s[6:7]
	s_cbranch_execnz .LBB17_3896
.LBB17_1846:
	s_or_b64 exec, exec, s[6:7]
	s_and_saveexec_b64 s[6:7], s[4:5]
	s_cbranch_execz .LBB17_1848
.LBB17_1847:
	v_bfe_u32 v12, v9, 16, 3
	v_ffbh_u32_e32 v20, v12
	v_min_u32_e32 v20, 32, v20
	v_lshrrev_b32_e32 v18, 19, v9
	v_subrev_u32_e32 v21, 28, v20
	v_and_b32_e32 v18, 15, v18
	v_lshlrev_b32_sdwa v21, v21, v9 dst_sel:DWORD dst_unused:UNUSED_PAD src0_sel:DWORD src1_sel:WORD_1
	v_bfe_u32 v19, v9, 19, 4
	v_sub_u32_e32 v20, 29, v20
	v_and_b32_e32 v21, 7, v21
	v_cmp_eq_u16_e32 vcc, 0, v18
	v_cndmask_b32_e32 v12, v12, v21, vcc
	v_cndmask_b32_e32 v18, v19, v20, vcc
	v_lshlrev_b32_e32 v19, 8, v9
	v_mov_b32_e32 v20, 0x3b800000
	v_lshlrev_b32_e32 v12, 20, v12
	v_and_b32_e32 v19, 0x80000000, v19
	v_lshl_add_u32 v18, v18, 23, v20
	v_or3_b32 v18, v19, v18, v12
.LBB17_1848:
	s_or_b64 exec, exec, s[6:7]
	s_nop 0
	v_mfma_f32_16x16x4f32 a[0:3], v8, v18, a[0:3]
	s_movk_i32 s4, 0x7f
	v_cmp_gt_i16_sdwa s[6:7], v13, s4 src0_sel:BYTE_3 src1_sel:DWORD
	s_mov_b64 s[4:5], 0
                                        ; implicit-def: $sgpr10
	s_and_saveexec_b64 s[8:9], s[6:7]
	s_xor_b64 s[6:7], exec, s[8:9]
	s_cbranch_execnz .LBB17_3897
; %bb.1849:
	s_or_saveexec_b64 s[6:7], s[6:7]
	v_mov_b32_e32 v8, s10
	s_xor_b64 exec, exec, s[6:7]
	s_cbranch_execnz .LBB17_3900
.LBB17_1850:
	s_or_b64 exec, exec, s[6:7]
	s_and_saveexec_b64 s[6:7], s[4:5]
	s_cbranch_execz .LBB17_1852
.LBB17_1851:
	v_bfe_u32 v8, v13, 24, 3
	v_ffbh_u32_e32 v20, v8
	v_min_u32_e32 v20, 32, v20
	v_lshrrev_b32_e32 v18, 27, v13
	v_subrev_u32_e32 v21, 28, v20
	v_and_b32_e32 v12, 0x80000000, v13
	v_and_b32_e32 v18, 15, v18
	v_bfe_u32 v19, v13, 27, 4
	v_lshlrev_b32_sdwa v13, v21, v13 dst_sel:DWORD dst_unused:UNUSED_PAD src0_sel:DWORD src1_sel:BYTE_3
	v_sub_u32_e32 v20, 29, v20
	v_and_b32_e32 v13, 7, v13
	v_cmp_eq_u16_e32 vcc, 0, v18
	v_cndmask_b32_e32 v8, v8, v13, vcc
	v_cndmask_b32_e32 v13, v19, v20, vcc
	v_mov_b32_e32 v18, 0x3b800000
	v_lshlrev_b32_e32 v8, 20, v8
	v_lshl_add_u32 v13, v13, 23, v18
	v_or3_b32 v8, v12, v13, v8
.LBB17_1852:
	s_or_b64 exec, exec, s[6:7]
	s_movk_i32 s4, 0x7f
	v_cmp_gt_i16_sdwa s[6:7], v9, s4 src0_sel:BYTE_3 src1_sel:DWORD
	s_mov_b64 s[4:5], 0
                                        ; implicit-def: $sgpr10
	s_and_saveexec_b64 s[8:9], s[6:7]
	s_xor_b64 s[6:7], exec, s[8:9]
	s_cbranch_execnz .LBB17_3901
; %bb.1853:
	s_or_saveexec_b64 s[6:7], s[6:7]
	v_mov_b32_e32 v12, s10
	s_xor_b64 exec, exec, s[6:7]
	s_cbranch_execnz .LBB17_3904
.LBB17_1854:
	s_or_b64 exec, exec, s[6:7]
	s_and_saveexec_b64 s[6:7], s[4:5]
	s_cbranch_execz .LBB17_1856
.LBB17_1855:
	v_bfe_u32 v12, v9, 24, 3
	v_ffbh_u32_e32 v20, v12
	v_min_u32_e32 v20, 32, v20
	v_lshrrev_b32_e32 v18, 27, v9
	v_subrev_u32_e32 v21, 28, v20
	v_and_b32_e32 v13, 0x80000000, v9
	v_and_b32_e32 v18, 15, v18
	v_bfe_u32 v19, v9, 27, 4
	v_lshlrev_b32_sdwa v9, v21, v9 dst_sel:DWORD dst_unused:UNUSED_PAD src0_sel:DWORD src1_sel:BYTE_3
	v_sub_u32_e32 v20, 29, v20
	v_and_b32_e32 v9, 7, v9
	v_cmp_eq_u16_e32 vcc, 0, v18
	v_cndmask_b32_e32 v9, v12, v9, vcc
	v_cndmask_b32_e32 v12, v19, v20, vcc
	v_mov_b32_e32 v18, 0x3b800000
	v_lshlrev_b32_e32 v9, 20, v9
	v_lshl_add_u32 v12, v12, 23, v18
	v_or3_b32 v12, v13, v12, v9
.LBB17_1856:
	s_or_b64 exec, exec, s[6:7]
	s_nop 0
	v_mfma_f32_16x16x4f32 a[0:3], v8, v12, a[0:3]
	s_movk_i32 s4, 0x7f
	v_cmp_gt_i16_sdwa s[6:7], v14, s4 src0_sel:BYTE_0 src1_sel:DWORD
	s_mov_b64 s[4:5], 0
                                        ; implicit-def: $sgpr10
	s_and_saveexec_b64 s[8:9], s[6:7]
	s_xor_b64 s[6:7], exec, s[8:9]
	s_cbranch_execnz .LBB17_3905
; %bb.1857:
	s_or_saveexec_b64 s[6:7], s[6:7]
	v_mov_b32_e32 v8, s10
	s_xor_b64 exec, exec, s[6:7]
	s_cbranch_execnz .LBB17_3908
.LBB17_1858:
	s_or_b64 exec, exec, s[6:7]
	s_and_saveexec_b64 s[6:7], s[4:5]
	s_cbranch_execz .LBB17_1860
.LBB17_1859:
	v_and_b32_e32 v8, 7, v14
	v_ffbh_u32_e32 v12, v8
	v_min_u32_e32 v12, 32, v12
	v_lshrrev_b16_e32 v9, 3, v14
	v_subrev_u32_e32 v13, 28, v12
	v_and_b32_e32 v9, 15, v9
	v_lshlrev_b32_e32 v13, v13, v14
	v_sub_u32_e32 v12, 29, v12
	v_and_b32_e32 v13, 7, v13
	v_cmp_eq_u16_e32 vcc, 0, v9
	v_cndmask_b32_e32 v8, v8, v13, vcc
	v_cndmask_b32_e32 v9, v9, v12, vcc
	v_lshlrev_b32_e32 v12, 24, v14
	v_mov_b32_e32 v13, 0x3b800000
	v_lshlrev_b32_e32 v8, 20, v8
	v_and_b32_e32 v12, 0x80000000, v12
	v_lshl_add_u32 v9, v9, 23, v13
	v_or3_b32 v8, v12, v9, v8
.LBB17_1860:
	s_or_b64 exec, exec, s[6:7]
	s_movk_i32 s4, 0x7f
	v_cmp_gt_i16_sdwa s[6:7], v10, s4 src0_sel:BYTE_0 src1_sel:DWORD
	s_mov_b64 s[4:5], 0
                                        ; implicit-def: $sgpr10
	s_and_saveexec_b64 s[8:9], s[6:7]
	s_xor_b64 s[6:7], exec, s[8:9]
	s_cbranch_execnz .LBB17_3909
; %bb.1861:
	s_or_saveexec_b64 s[6:7], s[6:7]
	v_mov_b32_e32 v9, s10
	s_xor_b64 exec, exec, s[6:7]
	s_cbranch_execnz .LBB17_3912
.LBB17_1862:
	s_or_b64 exec, exec, s[6:7]
	s_and_saveexec_b64 s[6:7], s[4:5]
	s_cbranch_execz .LBB17_1864
.LBB17_1863:
	v_and_b32_e32 v9, 7, v10
	v_ffbh_u32_e32 v13, v9
	v_min_u32_e32 v13, 32, v13
	v_lshrrev_b16_e32 v12, 3, v10
	v_subrev_u32_e32 v18, 28, v13
	v_and_b32_e32 v12, 15, v12
	v_lshlrev_b32_e32 v18, v18, v10
	v_sub_u32_e32 v13, 29, v13
	v_and_b32_e32 v18, 7, v18
	v_cmp_eq_u16_e32 vcc, 0, v12
	v_cndmask_b32_e32 v9, v9, v18, vcc
	v_cndmask_b32_e32 v12, v12, v13, vcc
	v_lshlrev_b32_e32 v13, 24, v10
	v_mov_b32_e32 v18, 0x3b800000
	v_lshlrev_b32_e32 v9, 20, v9
	v_and_b32_e32 v13, 0x80000000, v13
	v_lshl_add_u32 v12, v12, 23, v18
	v_or3_b32 v9, v13, v12, v9
.LBB17_1864:
	s_or_b64 exec, exec, s[6:7]
	s_nop 0
	v_mfma_f32_16x16x4f32 a[0:3], v8, v9, a[0:3]
	v_lshrrev_b32_e32 v9, 8, v14
	s_movk_i32 s4, 0x7f
	v_cmp_gt_i16_sdwa s[6:7], v9, s4 src0_sel:BYTE_0 src1_sel:DWORD
	s_mov_b64 s[4:5], 0
                                        ; implicit-def: $sgpr10
	s_and_saveexec_b64 s[8:9], s[6:7]
	s_xor_b64 s[6:7], exec, s[8:9]
	s_cbranch_execnz .LBB17_3913
; %bb.1865:
	s_or_saveexec_b64 s[6:7], s[6:7]
	v_mov_b32_e32 v8, s10
	s_xor_b64 exec, exec, s[6:7]
	s_cbranch_execnz .LBB17_3916
.LBB17_1866:
	s_or_b64 exec, exec, s[6:7]
	s_and_saveexec_b64 s[6:7], s[4:5]
	s_cbranch_execz .LBB17_1868
.LBB17_1867:
	v_bfe_u32 v8, v14, 8, 3
	v_ffbh_u32_e32 v13, v8
	v_min_u32_e32 v13, 32, v13
	v_lshrrev_b16_e32 v12, 3, v9
	v_subrev_u32_e32 v18, 28, v13
	v_and_b32_e32 v12, 15, v12
	v_lshlrev_b32_e32 v9, v18, v9
	v_sub_u32_e32 v13, 29, v13
	v_and_b32_e32 v9, 7, v9
	v_cmp_eq_u16_e32 vcc, 0, v12
	v_cndmask_b32_e32 v8, v8, v9, vcc
	v_cndmask_b32_e32 v9, v12, v13, vcc
	v_lshlrev_b32_e32 v12, 16, v14
	v_mov_b32_e32 v13, 0x3b800000
	v_lshlrev_b32_e32 v8, 20, v8
	v_and_b32_e32 v12, 0x80000000, v12
	v_lshl_add_u32 v9, v9, 23, v13
	v_or3_b32 v8, v12, v9, v8
.LBB17_1868:
	s_or_b64 exec, exec, s[6:7]
	v_lshrrev_b32_e32 v9, 8, v10
	s_movk_i32 s4, 0x7f
	v_cmp_gt_i16_sdwa s[6:7], v9, s4 src0_sel:BYTE_0 src1_sel:DWORD
	s_mov_b64 s[4:5], 0
                                        ; implicit-def: $sgpr10
	s_and_saveexec_b64 s[8:9], s[6:7]
	s_xor_b64 s[6:7], exec, s[8:9]
	s_cbranch_execnz .LBB17_3917
; %bb.1869:
	s_or_saveexec_b64 s[6:7], s[6:7]
	v_mov_b32_e32 v12, s10
	s_xor_b64 exec, exec, s[6:7]
	s_cbranch_execnz .LBB17_3920
.LBB17_1870:
	s_or_b64 exec, exec, s[6:7]
	s_and_saveexec_b64 s[6:7], s[4:5]
	s_cbranch_execz .LBB17_1872
.LBB17_1871:
	v_bfe_u32 v12, v10, 8, 3
	v_ffbh_u32_e32 v18, v12
	v_min_u32_e32 v18, 32, v18
	v_lshrrev_b16_e32 v13, 3, v9
	v_subrev_u32_e32 v19, 28, v18
	v_and_b32_e32 v13, 15, v13
	v_lshlrev_b32_e32 v9, v19, v9
	v_sub_u32_e32 v18, 29, v18
	v_and_b32_e32 v9, 7, v9
	v_cmp_eq_u16_e32 vcc, 0, v13
	v_cndmask_b32_e32 v9, v12, v9, vcc
	v_cndmask_b32_e32 v12, v13, v18, vcc
	v_lshlrev_b32_e32 v13, 16, v10
	v_mov_b32_e32 v18, 0x3b800000
	v_lshlrev_b32_e32 v9, 20, v9
	v_and_b32_e32 v13, 0x80000000, v13
	v_lshl_add_u32 v12, v12, 23, v18
	v_or3_b32 v12, v13, v12, v9
.LBB17_1872:
	s_or_b64 exec, exec, s[6:7]
	s_nop 0
	v_mfma_f32_16x16x4f32 a[0:3], v8, v12, a[0:3]
	s_movk_i32 s4, 0xff
	v_and_b32_sdwa v9, v14, s4 dst_sel:DWORD dst_unused:UNUSED_PAD src0_sel:WORD_1 src1_sel:DWORD
	s_movk_i32 s4, 0x7f
	v_cmp_lt_i16_e32 vcc, s4, v9
	s_mov_b64 s[4:5], 0
                                        ; implicit-def: $sgpr10
	s_and_saveexec_b64 s[6:7], vcc
	s_xor_b64 s[6:7], exec, s[6:7]
	s_cbranch_execnz .LBB17_3921
; %bb.1873:
	s_or_saveexec_b64 s[6:7], s[6:7]
	v_mov_b32_e32 v8, s10
	s_xor_b64 exec, exec, s[6:7]
	s_cbranch_execnz .LBB17_3924
.LBB17_1874:
	s_or_b64 exec, exec, s[6:7]
	s_and_saveexec_b64 s[6:7], s[4:5]
	s_cbranch_execz .LBB17_1876
.LBB17_1875:
	v_bfe_u32 v8, v14, 16, 3
	v_ffbh_u32_e32 v13, v8
	v_min_u32_e32 v13, 32, v13
	v_lshrrev_b32_e32 v9, 19, v14
	v_subrev_u32_e32 v18, 28, v13
	v_and_b32_e32 v9, 15, v9
	v_lshlrev_b32_sdwa v18, v18, v14 dst_sel:DWORD dst_unused:UNUSED_PAD src0_sel:DWORD src1_sel:WORD_1
	v_bfe_u32 v12, v14, 19, 4
	v_sub_u32_e32 v13, 29, v13
	v_and_b32_e32 v18, 7, v18
	v_cmp_eq_u16_e32 vcc, 0, v9
	v_cndmask_b32_e32 v8, v8, v18, vcc
	v_cndmask_b32_e32 v9, v12, v13, vcc
	v_lshlrev_b32_e32 v12, 8, v14
	v_mov_b32_e32 v13, 0x3b800000
	v_lshlrev_b32_e32 v8, 20, v8
	v_and_b32_e32 v12, 0x80000000, v12
	v_lshl_add_u32 v9, v9, 23, v13
	v_or3_b32 v8, v12, v9, v8
.LBB17_1876:
	s_or_b64 exec, exec, s[6:7]
	s_movk_i32 s4, 0xff
	v_and_b32_sdwa v9, v10, s4 dst_sel:DWORD dst_unused:UNUSED_PAD src0_sel:WORD_1 src1_sel:DWORD
	s_movk_i32 s4, 0x7f
	v_cmp_lt_i16_e32 vcc, s4, v9
	s_mov_b64 s[4:5], 0
                                        ; implicit-def: $sgpr10
	s_and_saveexec_b64 s[6:7], vcc
	s_xor_b64 s[6:7], exec, s[6:7]
	s_cbranch_execnz .LBB17_3925
; %bb.1877:
	s_or_saveexec_b64 s[6:7], s[6:7]
	v_mov_b32_e32 v12, s10
	s_xor_b64 exec, exec, s[6:7]
	s_cbranch_execnz .LBB17_3928
.LBB17_1878:
	s_or_b64 exec, exec, s[6:7]
	s_and_saveexec_b64 s[6:7], s[4:5]
	s_cbranch_execz .LBB17_1880
.LBB17_1879:
	v_bfe_u32 v9, v10, 16, 3
	v_ffbh_u32_e32 v18, v9
	v_min_u32_e32 v18, 32, v18
	v_lshrrev_b32_e32 v12, 19, v10
	v_subrev_u32_e32 v19, 28, v18
	v_and_b32_e32 v12, 15, v12
	v_lshlrev_b32_sdwa v19, v19, v10 dst_sel:DWORD dst_unused:UNUSED_PAD src0_sel:DWORD src1_sel:WORD_1
	v_bfe_u32 v13, v10, 19, 4
	v_sub_u32_e32 v18, 29, v18
	v_and_b32_e32 v19, 7, v19
	v_cmp_eq_u16_e32 vcc, 0, v12
	v_cndmask_b32_e32 v9, v9, v19, vcc
	v_cndmask_b32_e32 v12, v13, v18, vcc
	v_lshlrev_b32_e32 v13, 8, v10
	v_mov_b32_e32 v18, 0x3b800000
	v_lshlrev_b32_e32 v9, 20, v9
	v_and_b32_e32 v13, 0x80000000, v13
	v_lshl_add_u32 v12, v12, 23, v18
	v_or3_b32 v12, v13, v12, v9
.LBB17_1880:
	s_or_b64 exec, exec, s[6:7]
	s_nop 0
	v_mfma_f32_16x16x4f32 a[0:3], v8, v12, a[0:3]
	s_movk_i32 s4, 0x7f
	v_cmp_gt_i16_sdwa s[6:7], v14, s4 src0_sel:BYTE_3 src1_sel:DWORD
	s_mov_b64 s[4:5], 0
                                        ; implicit-def: $sgpr10
	s_and_saveexec_b64 s[8:9], s[6:7]
	s_xor_b64 s[6:7], exec, s[8:9]
	s_cbranch_execnz .LBB17_3929
; %bb.1881:
	s_or_saveexec_b64 s[6:7], s[6:7]
	v_mov_b32_e32 v8, s10
	s_xor_b64 exec, exec, s[6:7]
	s_cbranch_execnz .LBB17_3932
.LBB17_1882:
	s_or_b64 exec, exec, s[6:7]
	s_and_saveexec_b64 s[6:7], s[4:5]
	s_cbranch_execz .LBB17_1884
.LBB17_1883:
	v_bfe_u32 v8, v14, 24, 3
	v_ffbh_u32_e32 v18, v8
	v_min_u32_e32 v18, 32, v18
	v_lshrrev_b32_e32 v12, 27, v14
	v_subrev_u32_e32 v19, 28, v18
	v_and_b32_e32 v9, 0x80000000, v14
	v_and_b32_e32 v12, 15, v12
	v_bfe_u32 v13, v14, 27, 4
	v_lshlrev_b32_sdwa v14, v19, v14 dst_sel:DWORD dst_unused:UNUSED_PAD src0_sel:DWORD src1_sel:BYTE_3
	v_sub_u32_e32 v18, 29, v18
	v_and_b32_e32 v14, 7, v14
	v_cmp_eq_u16_e32 vcc, 0, v12
	v_cndmask_b32_e32 v8, v8, v14, vcc
	v_cndmask_b32_e32 v12, v13, v18, vcc
	v_mov_b32_e32 v13, 0x3b800000
	v_lshlrev_b32_e32 v8, 20, v8
	v_lshl_add_u32 v12, v12, 23, v13
	v_or3_b32 v8, v9, v12, v8
.LBB17_1884:
	s_or_b64 exec, exec, s[6:7]
	s_movk_i32 s4, 0x7f
	v_cmp_gt_i16_sdwa s[6:7], v10, s4 src0_sel:BYTE_3 src1_sel:DWORD
	s_mov_b64 s[4:5], 0
                                        ; implicit-def: $sgpr10
	s_and_saveexec_b64 s[8:9], s[6:7]
	s_xor_b64 s[6:7], exec, s[8:9]
	s_cbranch_execnz .LBB17_3933
; %bb.1885:
	s_or_saveexec_b64 s[6:7], s[6:7]
	v_mov_b32_e32 v9, s10
	s_xor_b64 exec, exec, s[6:7]
	s_cbranch_execnz .LBB17_3936
.LBB17_1886:
	s_or_b64 exec, exec, s[6:7]
	s_and_saveexec_b64 s[6:7], s[4:5]
	s_cbranch_execz .LBB17_1888
.LBB17_1887:
	v_bfe_u32 v9, v10, 24, 3
	v_ffbh_u32_e32 v18, v9
	v_min_u32_e32 v18, 32, v18
	v_lshrrev_b32_e32 v13, 27, v10
	v_subrev_u32_e32 v19, 28, v18
	v_and_b32_e32 v12, 0x80000000, v10
	v_and_b32_e32 v13, 15, v13
	v_bfe_u32 v14, v10, 27, 4
	v_lshlrev_b32_sdwa v10, v19, v10 dst_sel:DWORD dst_unused:UNUSED_PAD src0_sel:DWORD src1_sel:BYTE_3
	v_sub_u32_e32 v18, 29, v18
	v_and_b32_e32 v10, 7, v10
	v_cmp_eq_u16_e32 vcc, 0, v13
	v_cndmask_b32_e32 v9, v9, v10, vcc
	v_cndmask_b32_e32 v10, v14, v18, vcc
	v_mov_b32_e32 v13, 0x3b800000
	v_lshlrev_b32_e32 v9, 20, v9
	v_lshl_add_u32 v10, v10, 23, v13
	v_or3_b32 v9, v12, v10, v9
.LBB17_1888:
	s_or_b64 exec, exec, s[6:7]
	s_nop 0
	v_mfma_f32_16x16x4f32 a[0:3], v8, v9, a[0:3]
	s_movk_i32 s4, 0x7f
	v_cmp_gt_i16_sdwa s[6:7], v15, s4 src0_sel:BYTE_0 src1_sel:DWORD
	s_mov_b64 s[4:5], 0
                                        ; implicit-def: $sgpr10
	s_and_saveexec_b64 s[8:9], s[6:7]
	s_xor_b64 s[6:7], exec, s[8:9]
	s_cbranch_execnz .LBB17_3937
; %bb.1889:
	s_or_saveexec_b64 s[6:7], s[6:7]
	v_mov_b32_e32 v8, s10
	s_xor_b64 exec, exec, s[6:7]
	s_cbranch_execnz .LBB17_3940
.LBB17_1890:
	s_or_b64 exec, exec, s[6:7]
	s_and_saveexec_b64 s[6:7], s[4:5]
	s_cbranch_execz .LBB17_1892
.LBB17_1891:
	v_and_b32_e32 v8, 7, v15
	v_ffbh_u32_e32 v10, v8
	v_min_u32_e32 v10, 32, v10
	v_lshrrev_b16_e32 v9, 3, v15
	v_subrev_u32_e32 v12, 28, v10
	v_and_b32_e32 v9, 15, v9
	v_lshlrev_b32_e32 v12, v12, v15
	v_sub_u32_e32 v10, 29, v10
	v_and_b32_e32 v12, 7, v12
	v_cmp_eq_u16_e32 vcc, 0, v9
	v_cndmask_b32_e32 v8, v8, v12, vcc
	v_cndmask_b32_e32 v9, v9, v10, vcc
	v_lshlrev_b32_e32 v10, 24, v15
	v_mov_b32_e32 v12, 0x3b800000
	v_lshlrev_b32_e32 v8, 20, v8
	v_and_b32_e32 v10, 0x80000000, v10
	v_lshl_add_u32 v9, v9, 23, v12
	v_or3_b32 v8, v10, v9, v8
.LBB17_1892:
	s_or_b64 exec, exec, s[6:7]
	s_movk_i32 s4, 0x7f
	v_cmp_gt_i16_sdwa s[6:7], v11, s4 src0_sel:BYTE_0 src1_sel:DWORD
	s_mov_b64 s[4:5], 0
                                        ; implicit-def: $sgpr10
	s_and_saveexec_b64 s[8:9], s[6:7]
	s_xor_b64 s[6:7], exec, s[8:9]
	s_cbranch_execnz .LBB17_3941
; %bb.1893:
	s_or_saveexec_b64 s[6:7], s[6:7]
	v_mov_b32_e32 v9, s10
	s_xor_b64 exec, exec, s[6:7]
	s_cbranch_execnz .LBB17_3944
.LBB17_1894:
	s_or_b64 exec, exec, s[6:7]
	s_and_saveexec_b64 s[6:7], s[4:5]
	s_cbranch_execz .LBB17_1896
.LBB17_1895:
	v_and_b32_e32 v9, 7, v11
	v_ffbh_u32_e32 v12, v9
	v_min_u32_e32 v12, 32, v12
	v_lshrrev_b16_e32 v10, 3, v11
	v_subrev_u32_e32 v13, 28, v12
	v_and_b32_e32 v10, 15, v10
	v_lshlrev_b32_e32 v13, v13, v11
	v_sub_u32_e32 v12, 29, v12
	v_and_b32_e32 v13, 7, v13
	v_cmp_eq_u16_e32 vcc, 0, v10
	v_cndmask_b32_e32 v9, v9, v13, vcc
	v_cndmask_b32_e32 v10, v10, v12, vcc
	v_lshlrev_b32_e32 v12, 24, v11
	v_mov_b32_e32 v13, 0x3b800000
	v_lshlrev_b32_e32 v9, 20, v9
	v_and_b32_e32 v12, 0x80000000, v12
	v_lshl_add_u32 v10, v10, 23, v13
	v_or3_b32 v9, v12, v10, v9
.LBB17_1896:
	s_or_b64 exec, exec, s[6:7]
	s_nop 0
	v_mfma_f32_16x16x4f32 a[0:3], v8, v9, a[0:3]
	v_lshrrev_b32_e32 v9, 8, v15
	s_movk_i32 s4, 0x7f
	v_cmp_gt_i16_sdwa s[6:7], v9, s4 src0_sel:BYTE_0 src1_sel:DWORD
	s_mov_b64 s[4:5], 0
                                        ; implicit-def: $sgpr10
	s_and_saveexec_b64 s[8:9], s[6:7]
	s_xor_b64 s[6:7], exec, s[8:9]
	s_cbranch_execnz .LBB17_3945
; %bb.1897:
	s_or_saveexec_b64 s[6:7], s[6:7]
	v_mov_b32_e32 v8, s10
	s_xor_b64 exec, exec, s[6:7]
	s_cbranch_execnz .LBB17_3948
.LBB17_1898:
	s_or_b64 exec, exec, s[6:7]
	s_and_saveexec_b64 s[6:7], s[4:5]
	s_cbranch_execz .LBB17_1900
.LBB17_1899:
	v_bfe_u32 v8, v15, 8, 3
	v_ffbh_u32_e32 v12, v8
	v_min_u32_e32 v12, 32, v12
	v_lshrrev_b16_e32 v10, 3, v9
	v_subrev_u32_e32 v13, 28, v12
	v_and_b32_e32 v10, 15, v10
	v_lshlrev_b32_e32 v9, v13, v9
	v_sub_u32_e32 v12, 29, v12
	v_and_b32_e32 v9, 7, v9
	v_cmp_eq_u16_e32 vcc, 0, v10
	v_cndmask_b32_e32 v8, v8, v9, vcc
	v_cndmask_b32_e32 v9, v10, v12, vcc
	v_lshlrev_b32_e32 v10, 16, v15
	v_mov_b32_e32 v12, 0x3b800000
	v_lshlrev_b32_e32 v8, 20, v8
	v_and_b32_e32 v10, 0x80000000, v10
	v_lshl_add_u32 v9, v9, 23, v12
	v_or3_b32 v8, v10, v9, v8
.LBB17_1900:
	s_or_b64 exec, exec, s[6:7]
	v_lshrrev_b32_e32 v9, 8, v11
	s_movk_i32 s4, 0x7f
	v_cmp_gt_i16_sdwa s[6:7], v9, s4 src0_sel:BYTE_0 src1_sel:DWORD
	s_mov_b64 s[4:5], 0
                                        ; implicit-def: $sgpr10
	s_and_saveexec_b64 s[8:9], s[6:7]
	s_xor_b64 s[6:7], exec, s[8:9]
	s_cbranch_execnz .LBB17_3949
; %bb.1901:
	s_or_saveexec_b64 s[6:7], s[6:7]
	v_mov_b32_e32 v10, s10
	s_xor_b64 exec, exec, s[6:7]
	s_cbranch_execnz .LBB17_3952
.LBB17_1902:
	s_or_b64 exec, exec, s[6:7]
	s_and_saveexec_b64 s[6:7], s[4:5]
	s_cbranch_execz .LBB17_1904
.LBB17_1903:
	v_bfe_u32 v10, v11, 8, 3
	v_ffbh_u32_e32 v13, v10
	v_min_u32_e32 v13, 32, v13
	v_lshrrev_b16_e32 v12, 3, v9
	v_subrev_u32_e32 v14, 28, v13
	v_and_b32_e32 v12, 15, v12
	v_lshlrev_b32_e32 v9, v14, v9
	v_sub_u32_e32 v13, 29, v13
	v_and_b32_e32 v9, 7, v9
	v_cmp_eq_u16_e32 vcc, 0, v12
	v_cndmask_b32_e32 v9, v10, v9, vcc
	v_cndmask_b32_e32 v10, v12, v13, vcc
	v_lshlrev_b32_e32 v12, 16, v11
	v_mov_b32_e32 v13, 0x3b800000
	v_lshlrev_b32_e32 v9, 20, v9
	v_and_b32_e32 v12, 0x80000000, v12
	v_lshl_add_u32 v10, v10, 23, v13
	v_or3_b32 v10, v12, v10, v9
.LBB17_1904:
	s_or_b64 exec, exec, s[6:7]
	s_nop 0
	v_mfma_f32_16x16x4f32 a[0:3], v8, v10, a[0:3]
	s_movk_i32 s4, 0xff
	v_and_b32_sdwa v9, v15, s4 dst_sel:DWORD dst_unused:UNUSED_PAD src0_sel:WORD_1 src1_sel:DWORD
	s_movk_i32 s4, 0x7f
	v_cmp_lt_i16_e32 vcc, s4, v9
	s_mov_b64 s[4:5], 0
                                        ; implicit-def: $sgpr10
	s_and_saveexec_b64 s[6:7], vcc
	s_xor_b64 s[6:7], exec, s[6:7]
	s_cbranch_execnz .LBB17_3953
; %bb.1905:
	s_or_saveexec_b64 s[6:7], s[6:7]
	v_mov_b32_e32 v8, s10
	s_xor_b64 exec, exec, s[6:7]
	s_cbranch_execnz .LBB17_3956
.LBB17_1906:
	s_or_b64 exec, exec, s[6:7]
	s_and_saveexec_b64 s[6:7], s[4:5]
	s_cbranch_execz .LBB17_1908
.LBB17_1907:
	v_bfe_u32 v8, v15, 16, 3
	v_ffbh_u32_e32 v12, v8
	v_min_u32_e32 v12, 32, v12
	v_lshrrev_b32_e32 v9, 19, v15
	v_subrev_u32_e32 v13, 28, v12
	v_and_b32_e32 v9, 15, v9
	v_lshlrev_b32_sdwa v13, v13, v15 dst_sel:DWORD dst_unused:UNUSED_PAD src0_sel:DWORD src1_sel:WORD_1
	v_bfe_u32 v10, v15, 19, 4
	v_sub_u32_e32 v12, 29, v12
	v_and_b32_e32 v13, 7, v13
	v_cmp_eq_u16_e32 vcc, 0, v9
	v_cndmask_b32_e32 v8, v8, v13, vcc
	v_cndmask_b32_e32 v9, v10, v12, vcc
	v_lshlrev_b32_e32 v10, 8, v15
	v_mov_b32_e32 v12, 0x3b800000
	v_lshlrev_b32_e32 v8, 20, v8
	v_and_b32_e32 v10, 0x80000000, v10
	v_lshl_add_u32 v9, v9, 23, v12
	v_or3_b32 v8, v10, v9, v8
.LBB17_1908:
	s_or_b64 exec, exec, s[6:7]
	s_movk_i32 s4, 0xff
	v_and_b32_sdwa v9, v11, s4 dst_sel:DWORD dst_unused:UNUSED_PAD src0_sel:WORD_1 src1_sel:DWORD
	s_movk_i32 s4, 0x7f
	v_cmp_lt_i16_e32 vcc, s4, v9
	s_mov_b64 s[4:5], 0
                                        ; implicit-def: $sgpr10
	s_and_saveexec_b64 s[6:7], vcc
	s_xor_b64 s[6:7], exec, s[6:7]
	s_cbranch_execnz .LBB17_3957
; %bb.1909:
	s_or_saveexec_b64 s[6:7], s[6:7]
	v_mov_b32_e32 v10, s10
	s_xor_b64 exec, exec, s[6:7]
	s_cbranch_execnz .LBB17_3960
.LBB17_1910:
	s_or_b64 exec, exec, s[6:7]
	s_and_saveexec_b64 s[6:7], s[4:5]
	s_cbranch_execz .LBB17_1912
.LBB17_1911:
	v_bfe_u32 v9, v11, 16, 3
	v_ffbh_u32_e32 v13, v9
	v_min_u32_e32 v13, 32, v13
	v_lshrrev_b32_e32 v10, 19, v11
	v_subrev_u32_e32 v14, 28, v13
	v_and_b32_e32 v10, 15, v10
	v_lshlrev_b32_sdwa v14, v14, v11 dst_sel:DWORD dst_unused:UNUSED_PAD src0_sel:DWORD src1_sel:WORD_1
	v_bfe_u32 v12, v11, 19, 4
	v_sub_u32_e32 v13, 29, v13
	v_and_b32_e32 v14, 7, v14
	v_cmp_eq_u16_e32 vcc, 0, v10
	v_cndmask_b32_e32 v9, v9, v14, vcc
	v_cndmask_b32_e32 v10, v12, v13, vcc
	v_lshlrev_b32_e32 v12, 8, v11
	v_mov_b32_e32 v13, 0x3b800000
	v_lshlrev_b32_e32 v9, 20, v9
	v_and_b32_e32 v12, 0x80000000, v12
	v_lshl_add_u32 v10, v10, 23, v13
	v_or3_b32 v10, v12, v10, v9
.LBB17_1912:
	s_or_b64 exec, exec, s[6:7]
	s_nop 0
	v_mfma_f32_16x16x4f32 a[0:3], v8, v10, a[0:3]
	s_movk_i32 s4, 0x7f
	v_cmp_gt_i16_sdwa s[6:7], v15, s4 src0_sel:BYTE_3 src1_sel:DWORD
	s_mov_b64 s[4:5], 0
                                        ; implicit-def: $sgpr10
	s_and_saveexec_b64 s[8:9], s[6:7]
	s_xor_b64 s[6:7], exec, s[8:9]
	s_cbranch_execnz .LBB17_3961
; %bb.1913:
	s_or_saveexec_b64 s[6:7], s[6:7]
	v_mov_b32_e32 v8, s10
	s_xor_b64 exec, exec, s[6:7]
	s_cbranch_execnz .LBB17_3964
.LBB17_1914:
	s_or_b64 exec, exec, s[6:7]
	s_and_saveexec_b64 s[6:7], s[4:5]
	s_cbranch_execz .LBB17_1916
.LBB17_1915:
	v_bfe_u32 v8, v15, 24, 3
	v_ffbh_u32_e32 v13, v8
	v_min_u32_e32 v13, 32, v13
	v_lshrrev_b32_e32 v10, 27, v15
	v_subrev_u32_e32 v14, 28, v13
	v_and_b32_e32 v10, 15, v10
	v_lshlrev_b32_sdwa v14, v14, v15 dst_sel:DWORD dst_unused:UNUSED_PAD src0_sel:DWORD src1_sel:BYTE_3
	v_bfe_u32 v12, v15, 27, 4
	v_sub_u32_e32 v13, 29, v13
	v_and_b32_e32 v14, 7, v14
	v_cmp_eq_u16_e32 vcc, 0, v10
	v_cndmask_b32_e32 v8, v8, v14, vcc
	v_cndmask_b32_e32 v10, v12, v13, vcc
	v_mov_b32_e32 v12, 0x3b800000
	v_and_b32_e32 v9, 0x80000000, v15
	v_lshlrev_b32_e32 v8, 20, v8
	v_lshl_add_u32 v10, v10, 23, v12
	v_or3_b32 v8, v9, v10, v8
.LBB17_1916:
	s_or_b64 exec, exec, s[6:7]
	s_movk_i32 s4, 0x7f
	v_cmp_gt_i16_sdwa s[6:7], v11, s4 src0_sel:BYTE_3 src1_sel:DWORD
	s_mov_b64 s[4:5], 0
                                        ; implicit-def: $sgpr10
	s_and_saveexec_b64 s[8:9], s[6:7]
	s_xor_b64 s[6:7], exec, s[8:9]
	s_cbranch_execnz .LBB17_3965
; %bb.1917:
	s_or_saveexec_b64 s[6:7], s[6:7]
	v_mov_b32_e32 v9, s10
	s_xor_b64 exec, exec, s[6:7]
	s_cbranch_execnz .LBB17_3968
.LBB17_1918:
	s_or_b64 exec, exec, s[6:7]
	s_and_saveexec_b64 s[6:7], s[4:5]
	s_cbranch_execz .LBB17_1920
.LBB17_1919:
	v_bfe_u32 v9, v11, 24, 3
	v_ffbh_u32_e32 v14, v9
	v_min_u32_e32 v14, 32, v14
	v_lshrrev_b32_e32 v12, 27, v11
	v_subrev_u32_e32 v15, 28, v14
	v_and_b32_e32 v10, 0x80000000, v11
	v_and_b32_e32 v12, 15, v12
	v_bfe_u32 v13, v11, 27, 4
	v_lshlrev_b32_sdwa v11, v15, v11 dst_sel:DWORD dst_unused:UNUSED_PAD src0_sel:DWORD src1_sel:BYTE_3
	v_sub_u32_e32 v14, 29, v14
	v_and_b32_e32 v11, 7, v11
	v_cmp_eq_u16_e32 vcc, 0, v12
	v_cndmask_b32_e32 v9, v9, v11, vcc
	v_cndmask_b32_e32 v11, v13, v14, vcc
	v_mov_b32_e32 v12, 0x3b800000
	v_lshlrev_b32_e32 v9, 20, v9
	v_lshl_add_u32 v11, v11, 23, v12
	v_or3_b32 v9, v10, v11, v9
.LBB17_1920:
	s_or_b64 exec, exec, s[6:7]
	s_nop 0
	v_mfma_f32_16x16x4f32 a[0:3], v8, v9, a[0:3]
	s_movk_i32 s4, 0x7f
	v_cmp_gt_i16_sdwa s[6:7], v4, s4 src0_sel:BYTE_0 src1_sel:DWORD
	s_mov_b64 s[4:5], 0
                                        ; implicit-def: $sgpr10
	s_and_saveexec_b64 s[8:9], s[6:7]
	s_xor_b64 s[6:7], exec, s[8:9]
	s_cbranch_execnz .LBB17_3969
; %bb.1921:
	s_or_saveexec_b64 s[6:7], s[6:7]
	v_mov_b32_e32 v8, s10
	s_xor_b64 exec, exec, s[6:7]
	s_cbranch_execnz .LBB17_3972
.LBB17_1922:
	s_or_b64 exec, exec, s[6:7]
	s_and_saveexec_b64 s[6:7], s[4:5]
	s_cbranch_execz .LBB17_1924
.LBB17_1923:
	v_and_b32_e32 v8, 7, v4
	v_ffbh_u32_e32 v10, v8
	v_min_u32_e32 v10, 32, v10
	v_lshrrev_b16_e32 v9, 3, v4
	v_subrev_u32_e32 v11, 28, v10
	v_and_b32_e32 v9, 15, v9
	v_lshlrev_b32_e32 v11, v11, v4
	v_sub_u32_e32 v10, 29, v10
	v_and_b32_e32 v11, 7, v11
	v_cmp_eq_u16_e32 vcc, 0, v9
	v_cndmask_b32_e32 v8, v8, v11, vcc
	v_cndmask_b32_e32 v9, v9, v10, vcc
	v_lshlrev_b32_e32 v10, 24, v4
	v_mov_b32_e32 v11, 0x3b800000
	v_lshlrev_b32_e32 v8, 20, v8
	v_and_b32_e32 v10, 0x80000000, v10
	v_lshl_add_u32 v9, v9, 23, v11
	v_or3_b32 v8, v10, v9, v8
.LBB17_1924:
	s_or_b64 exec, exec, s[6:7]
	s_movk_i32 s4, 0x7f
	v_cmp_gt_i16_sdwa s[6:7], v0, s4 src0_sel:BYTE_0 src1_sel:DWORD
	s_mov_b64 s[4:5], 0
                                        ; implicit-def: $sgpr10
	s_and_saveexec_b64 s[8:9], s[6:7]
	s_xor_b64 s[6:7], exec, s[8:9]
	s_cbranch_execnz .LBB17_3973
; %bb.1925:
	s_or_saveexec_b64 s[6:7], s[6:7]
	v_mov_b32_e32 v9, s10
	s_xor_b64 exec, exec, s[6:7]
	s_cbranch_execnz .LBB17_3976
.LBB17_1926:
	s_or_b64 exec, exec, s[6:7]
	s_and_saveexec_b64 s[6:7], s[4:5]
	s_cbranch_execz .LBB17_1928
.LBB17_1927:
	v_and_b32_e32 v9, 7, v0
	v_ffbh_u32_e32 v11, v9
	v_min_u32_e32 v11, 32, v11
	v_lshrrev_b16_e32 v10, 3, v0
	v_subrev_u32_e32 v12, 28, v11
	v_and_b32_e32 v10, 15, v10
	v_lshlrev_b32_e32 v12, v12, v0
	v_sub_u32_e32 v11, 29, v11
	v_and_b32_e32 v12, 7, v12
	v_cmp_eq_u16_e32 vcc, 0, v10
	v_cndmask_b32_e32 v9, v9, v12, vcc
	v_cndmask_b32_e32 v10, v10, v11, vcc
	v_lshlrev_b32_e32 v11, 24, v0
	v_mov_b32_e32 v12, 0x3b800000
	v_lshlrev_b32_e32 v9, 20, v9
	v_and_b32_e32 v11, 0x80000000, v11
	v_lshl_add_u32 v10, v10, 23, v12
	v_or3_b32 v9, v11, v10, v9
.LBB17_1928:
	s_or_b64 exec, exec, s[6:7]
	s_nop 0
	v_mfma_f32_16x16x4f32 a[0:3], v8, v9, a[0:3]
	v_lshrrev_b32_e32 v9, 8, v4
	s_movk_i32 s4, 0x7f
	v_cmp_gt_i16_sdwa s[6:7], v9, s4 src0_sel:BYTE_0 src1_sel:DWORD
	s_mov_b64 s[4:5], 0
                                        ; implicit-def: $sgpr10
	s_and_saveexec_b64 s[8:9], s[6:7]
	s_xor_b64 s[6:7], exec, s[8:9]
	s_cbranch_execnz .LBB17_3977
; %bb.1929:
	s_or_saveexec_b64 s[6:7], s[6:7]
	v_mov_b32_e32 v8, s10
	s_xor_b64 exec, exec, s[6:7]
	s_cbranch_execnz .LBB17_3980
.LBB17_1930:
	s_or_b64 exec, exec, s[6:7]
	s_and_saveexec_b64 s[6:7], s[4:5]
	s_cbranch_execz .LBB17_1932
.LBB17_1931:
	v_bfe_u32 v8, v4, 8, 3
	v_ffbh_u32_e32 v11, v8
	v_min_u32_e32 v11, 32, v11
	v_lshrrev_b16_e32 v10, 3, v9
	v_subrev_u32_e32 v12, 28, v11
	v_and_b32_e32 v10, 15, v10
	v_lshlrev_b32_e32 v9, v12, v9
	v_sub_u32_e32 v11, 29, v11
	v_and_b32_e32 v9, 7, v9
	v_cmp_eq_u16_e32 vcc, 0, v10
	v_cndmask_b32_e32 v8, v8, v9, vcc
	v_cndmask_b32_e32 v9, v10, v11, vcc
	v_lshlrev_b32_e32 v10, 16, v4
	v_mov_b32_e32 v11, 0x3b800000
	v_lshlrev_b32_e32 v8, 20, v8
	v_and_b32_e32 v10, 0x80000000, v10
	v_lshl_add_u32 v9, v9, 23, v11
	v_or3_b32 v8, v10, v9, v8
.LBB17_1932:
	s_or_b64 exec, exec, s[6:7]
	v_lshrrev_b32_e32 v9, 8, v0
	s_movk_i32 s4, 0x7f
	v_cmp_gt_i16_sdwa s[6:7], v9, s4 src0_sel:BYTE_0 src1_sel:DWORD
	s_mov_b64 s[4:5], 0
                                        ; implicit-def: $sgpr10
	s_and_saveexec_b64 s[8:9], s[6:7]
	s_xor_b64 s[6:7], exec, s[8:9]
	s_cbranch_execnz .LBB17_3981
; %bb.1933:
	s_or_saveexec_b64 s[6:7], s[6:7]
	v_mov_b32_e32 v10, s10
	s_xor_b64 exec, exec, s[6:7]
	s_cbranch_execnz .LBB17_3984
.LBB17_1934:
	s_or_b64 exec, exec, s[6:7]
	s_and_saveexec_b64 s[6:7], s[4:5]
	s_cbranch_execz .LBB17_1936
.LBB17_1935:
	v_bfe_u32 v10, v0, 8, 3
	v_ffbh_u32_e32 v12, v10
	v_min_u32_e32 v12, 32, v12
	v_lshrrev_b16_e32 v11, 3, v9
	v_subrev_u32_e32 v13, 28, v12
	v_and_b32_e32 v11, 15, v11
	v_lshlrev_b32_e32 v9, v13, v9
	v_sub_u32_e32 v12, 29, v12
	v_and_b32_e32 v9, 7, v9
	v_cmp_eq_u16_e32 vcc, 0, v11
	v_cndmask_b32_e32 v9, v10, v9, vcc
	v_cndmask_b32_e32 v10, v11, v12, vcc
	v_lshlrev_b32_e32 v11, 16, v0
	v_mov_b32_e32 v12, 0x3b800000
	v_lshlrev_b32_e32 v9, 20, v9
	v_and_b32_e32 v11, 0x80000000, v11
	v_lshl_add_u32 v10, v10, 23, v12
	v_or3_b32 v10, v11, v10, v9
.LBB17_1936:
	s_or_b64 exec, exec, s[6:7]
	s_nop 0
	v_mfma_f32_16x16x4f32 a[0:3], v8, v10, a[0:3]
	s_movk_i32 s4, 0xff
	v_and_b32_sdwa v9, v4, s4 dst_sel:DWORD dst_unused:UNUSED_PAD src0_sel:WORD_1 src1_sel:DWORD
	s_movk_i32 s4, 0x7f
	v_cmp_lt_i16_e32 vcc, s4, v9
	s_mov_b64 s[4:5], 0
                                        ; implicit-def: $sgpr10
	s_and_saveexec_b64 s[6:7], vcc
	s_xor_b64 s[6:7], exec, s[6:7]
	s_cbranch_execnz .LBB17_3985
; %bb.1937:
	s_or_saveexec_b64 s[6:7], s[6:7]
	v_mov_b32_e32 v8, s10
	s_xor_b64 exec, exec, s[6:7]
	s_cbranch_execnz .LBB17_3988
.LBB17_1938:
	s_or_b64 exec, exec, s[6:7]
	s_and_saveexec_b64 s[6:7], s[4:5]
	s_cbranch_execz .LBB17_1940
.LBB17_1939:
	v_bfe_u32 v8, v4, 16, 3
	v_ffbh_u32_e32 v11, v8
	v_min_u32_e32 v11, 32, v11
	v_lshrrev_b32_e32 v9, 19, v4
	v_subrev_u32_e32 v12, 28, v11
	v_and_b32_e32 v9, 15, v9
	v_lshlrev_b32_sdwa v12, v12, v4 dst_sel:DWORD dst_unused:UNUSED_PAD src0_sel:DWORD src1_sel:WORD_1
	v_bfe_u32 v10, v4, 19, 4
	v_sub_u32_e32 v11, 29, v11
	v_and_b32_e32 v12, 7, v12
	v_cmp_eq_u16_e32 vcc, 0, v9
	v_cndmask_b32_e32 v8, v8, v12, vcc
	v_cndmask_b32_e32 v9, v10, v11, vcc
	v_lshlrev_b32_e32 v10, 8, v4
	v_mov_b32_e32 v11, 0x3b800000
	v_lshlrev_b32_e32 v8, 20, v8
	v_and_b32_e32 v10, 0x80000000, v10
	v_lshl_add_u32 v9, v9, 23, v11
	v_or3_b32 v8, v10, v9, v8
.LBB17_1940:
	s_or_b64 exec, exec, s[6:7]
	s_movk_i32 s4, 0xff
	v_and_b32_sdwa v9, v0, s4 dst_sel:DWORD dst_unused:UNUSED_PAD src0_sel:WORD_1 src1_sel:DWORD
	s_movk_i32 s4, 0x7f
	v_cmp_lt_i16_e32 vcc, s4, v9
	s_mov_b64 s[4:5], 0
                                        ; implicit-def: $sgpr10
	s_and_saveexec_b64 s[6:7], vcc
	s_xor_b64 s[6:7], exec, s[6:7]
	s_cbranch_execnz .LBB17_3989
; %bb.1941:
	s_or_saveexec_b64 s[6:7], s[6:7]
	v_mov_b32_e32 v10, s10
	s_xor_b64 exec, exec, s[6:7]
	s_cbranch_execnz .LBB17_3992
.LBB17_1942:
	s_or_b64 exec, exec, s[6:7]
	s_and_saveexec_b64 s[6:7], s[4:5]
	s_cbranch_execz .LBB17_1944
.LBB17_1943:
	v_bfe_u32 v9, v0, 16, 3
	v_ffbh_u32_e32 v12, v9
	v_min_u32_e32 v12, 32, v12
	v_lshrrev_b32_e32 v10, 19, v0
	v_subrev_u32_e32 v13, 28, v12
	v_and_b32_e32 v10, 15, v10
	v_lshlrev_b32_sdwa v13, v13, v0 dst_sel:DWORD dst_unused:UNUSED_PAD src0_sel:DWORD src1_sel:WORD_1
	v_bfe_u32 v11, v0, 19, 4
	v_sub_u32_e32 v12, 29, v12
	v_and_b32_e32 v13, 7, v13
	v_cmp_eq_u16_e32 vcc, 0, v10
	v_cndmask_b32_e32 v9, v9, v13, vcc
	v_cndmask_b32_e32 v10, v11, v12, vcc
	v_lshlrev_b32_e32 v11, 8, v0
	v_mov_b32_e32 v12, 0x3b800000
	v_lshlrev_b32_e32 v9, 20, v9
	v_and_b32_e32 v11, 0x80000000, v11
	v_lshl_add_u32 v10, v10, 23, v12
	v_or3_b32 v10, v11, v10, v9
.LBB17_1944:
	s_or_b64 exec, exec, s[6:7]
	s_nop 0
	v_mfma_f32_16x16x4f32 a[0:3], v8, v10, a[0:3]
	s_movk_i32 s4, 0x7f
	v_cmp_gt_i16_sdwa s[6:7], v4, s4 src0_sel:BYTE_3 src1_sel:DWORD
	s_mov_b64 s[4:5], 0
                                        ; implicit-def: $sgpr10
	s_and_saveexec_b64 s[8:9], s[6:7]
	s_xor_b64 s[6:7], exec, s[8:9]
	s_cbranch_execnz .LBB17_3993
; %bb.1945:
	s_or_saveexec_b64 s[6:7], s[6:7]
	v_mov_b32_e32 v8, s10
	s_xor_b64 exec, exec, s[6:7]
	s_cbranch_execnz .LBB17_3996
.LBB17_1946:
	s_or_b64 exec, exec, s[6:7]
	s_and_saveexec_b64 s[6:7], s[4:5]
	s_cbranch_execz .LBB17_1948
.LBB17_1947:
	v_bfe_u32 v8, v4, 24, 3
	v_ffbh_u32_e32 v12, v8
	v_min_u32_e32 v12, 32, v12
	v_lshrrev_b32_e32 v10, 27, v4
	v_subrev_u32_e32 v13, 28, v12
	v_and_b32_e32 v9, 0x80000000, v4
	v_and_b32_e32 v10, 15, v10
	v_bfe_u32 v11, v4, 27, 4
	v_lshlrev_b32_sdwa v4, v13, v4 dst_sel:DWORD dst_unused:UNUSED_PAD src0_sel:DWORD src1_sel:BYTE_3
	v_sub_u32_e32 v12, 29, v12
	v_and_b32_e32 v4, 7, v4
	v_cmp_eq_u16_e32 vcc, 0, v10
	v_cndmask_b32_e32 v4, v8, v4, vcc
	v_cndmask_b32_e32 v8, v11, v12, vcc
	v_mov_b32_e32 v10, 0x3b800000
	v_lshlrev_b32_e32 v4, 20, v4
	v_lshl_add_u32 v8, v8, 23, v10
	v_or3_b32 v8, v9, v8, v4
.LBB17_1948:
	s_or_b64 exec, exec, s[6:7]
	s_movk_i32 s4, 0x7f
	v_cmp_gt_i16_sdwa s[6:7], v0, s4 src0_sel:BYTE_3 src1_sel:DWORD
	s_mov_b64 s[4:5], 0
                                        ; implicit-def: $sgpr10
	s_and_saveexec_b64 s[8:9], s[6:7]
	s_xor_b64 s[6:7], exec, s[8:9]
	s_cbranch_execnz .LBB17_3997
; %bb.1949:
	s_or_saveexec_b64 s[6:7], s[6:7]
	v_mov_b32_e32 v4, s10
	s_xor_b64 exec, exec, s[6:7]
	s_cbranch_execnz .LBB17_4000
.LBB17_1950:
	s_or_b64 exec, exec, s[6:7]
	s_and_saveexec_b64 s[6:7], s[4:5]
	s_cbranch_execz .LBB17_1952
.LBB17_1951:
	v_bfe_u32 v4, v0, 24, 3
	v_ffbh_u32_e32 v12, v4
	v_min_u32_e32 v12, 32, v12
	v_lshrrev_b32_e32 v10, 27, v0
	v_subrev_u32_e32 v13, 28, v12
	v_and_b32_e32 v9, 0x80000000, v0
	v_and_b32_e32 v10, 15, v10
	v_bfe_u32 v11, v0, 27, 4
	v_lshlrev_b32_sdwa v0, v13, v0 dst_sel:DWORD dst_unused:UNUSED_PAD src0_sel:DWORD src1_sel:BYTE_3
	v_sub_u32_e32 v12, 29, v12
	v_and_b32_e32 v0, 7, v0
	v_cmp_eq_u16_e32 vcc, 0, v10
	v_cndmask_b32_e32 v0, v4, v0, vcc
	v_cndmask_b32_e32 v4, v11, v12, vcc
	v_mov_b32_e32 v10, 0x3b800000
	v_lshlrev_b32_e32 v0, 20, v0
	v_lshl_add_u32 v4, v4, 23, v10
	v_or3_b32 v4, v9, v4, v0
.LBB17_1952:
	s_or_b64 exec, exec, s[6:7]
	s_nop 0
	v_mfma_f32_16x16x4f32 a[0:3], v8, v4, a[0:3]
	s_movk_i32 s4, 0x7f
	v_cmp_gt_i16_sdwa s[6:7], v5, s4 src0_sel:BYTE_0 src1_sel:DWORD
	s_mov_b64 s[4:5], 0
                                        ; implicit-def: $sgpr10
	s_and_saveexec_b64 s[8:9], s[6:7]
	s_xor_b64 s[6:7], exec, s[8:9]
	s_cbranch_execnz .LBB17_4001
; %bb.1953:
	s_or_saveexec_b64 s[6:7], s[6:7]
	v_mov_b32_e32 v0, s10
	s_xor_b64 exec, exec, s[6:7]
	s_cbranch_execnz .LBB17_4004
.LBB17_1954:
	s_or_b64 exec, exec, s[6:7]
	s_and_saveexec_b64 s[6:7], s[4:5]
	s_cbranch_execz .LBB17_1956
.LBB17_1955:
	v_and_b32_e32 v0, 7, v5
	v_ffbh_u32_e32 v8, v0
	v_min_u32_e32 v8, 32, v8
	v_lshrrev_b16_e32 v4, 3, v5
	v_subrev_u32_e32 v9, 28, v8
	v_and_b32_e32 v4, 15, v4
	v_lshlrev_b32_e32 v9, v9, v5
	v_sub_u32_e32 v8, 29, v8
	v_and_b32_e32 v9, 7, v9
	v_cmp_eq_u16_e32 vcc, 0, v4
	v_cndmask_b32_e32 v0, v0, v9, vcc
	v_cndmask_b32_e32 v4, v4, v8, vcc
	v_lshlrev_b32_e32 v8, 24, v5
	v_mov_b32_e32 v9, 0x3b800000
	v_lshlrev_b32_e32 v0, 20, v0
	v_and_b32_e32 v8, 0x80000000, v8
	v_lshl_add_u32 v4, v4, 23, v9
	v_or3_b32 v0, v8, v4, v0
.LBB17_1956:
	s_or_b64 exec, exec, s[6:7]
	s_movk_i32 s4, 0x7f
	v_cmp_gt_i16_sdwa s[6:7], v1, s4 src0_sel:BYTE_0 src1_sel:DWORD
	s_mov_b64 s[4:5], 0
                                        ; implicit-def: $sgpr10
	s_and_saveexec_b64 s[8:9], s[6:7]
	s_xor_b64 s[6:7], exec, s[8:9]
	s_cbranch_execnz .LBB17_4005
; %bb.1957:
	s_or_saveexec_b64 s[6:7], s[6:7]
	v_mov_b32_e32 v4, s10
	s_xor_b64 exec, exec, s[6:7]
	s_cbranch_execnz .LBB17_4008
.LBB17_1958:
	s_or_b64 exec, exec, s[6:7]
	s_and_saveexec_b64 s[6:7], s[4:5]
	s_cbranch_execz .LBB17_1960
.LBB17_1959:
	v_and_b32_e32 v4, 7, v1
	v_ffbh_u32_e32 v9, v4
	v_min_u32_e32 v9, 32, v9
	v_lshrrev_b16_e32 v8, 3, v1
	v_subrev_u32_e32 v10, 28, v9
	v_and_b32_e32 v8, 15, v8
	v_lshlrev_b32_e32 v10, v10, v1
	v_sub_u32_e32 v9, 29, v9
	v_and_b32_e32 v10, 7, v10
	v_cmp_eq_u16_e32 vcc, 0, v8
	v_cndmask_b32_e32 v4, v4, v10, vcc
	v_cndmask_b32_e32 v8, v8, v9, vcc
	v_lshlrev_b32_e32 v9, 24, v1
	v_mov_b32_e32 v10, 0x3b800000
	v_lshlrev_b32_e32 v4, 20, v4
	v_and_b32_e32 v9, 0x80000000, v9
	v_lshl_add_u32 v8, v8, 23, v10
	v_or3_b32 v4, v9, v8, v4
.LBB17_1960:
	s_or_b64 exec, exec, s[6:7]
	s_nop 0
	v_mfma_f32_16x16x4f32 a[0:3], v0, v4, a[0:3]
	v_lshrrev_b32_e32 v4, 8, v5
	s_movk_i32 s4, 0x7f
	v_cmp_gt_i16_sdwa s[6:7], v4, s4 src0_sel:BYTE_0 src1_sel:DWORD
	s_mov_b64 s[4:5], 0
                                        ; implicit-def: $sgpr10
	s_and_saveexec_b64 s[8:9], s[6:7]
	s_xor_b64 s[6:7], exec, s[8:9]
	s_cbranch_execnz .LBB17_4009
; %bb.1961:
	s_or_saveexec_b64 s[6:7], s[6:7]
	v_mov_b32_e32 v0, s10
	s_xor_b64 exec, exec, s[6:7]
	s_cbranch_execnz .LBB17_4012
.LBB17_1962:
	s_or_b64 exec, exec, s[6:7]
	s_and_saveexec_b64 s[6:7], s[4:5]
	s_cbranch_execz .LBB17_1964
.LBB17_1963:
	v_bfe_u32 v0, v5, 8, 3
	v_ffbh_u32_e32 v9, v0
	v_min_u32_e32 v9, 32, v9
	v_lshrrev_b16_e32 v8, 3, v4
	v_subrev_u32_e32 v10, 28, v9
	v_and_b32_e32 v8, 15, v8
	v_lshlrev_b32_e32 v4, v10, v4
	v_sub_u32_e32 v9, 29, v9
	v_and_b32_e32 v4, 7, v4
	v_cmp_eq_u16_e32 vcc, 0, v8
	v_cndmask_b32_e32 v0, v0, v4, vcc
	v_cndmask_b32_e32 v4, v8, v9, vcc
	v_lshlrev_b32_e32 v8, 16, v5
	v_mov_b32_e32 v9, 0x3b800000
	v_lshlrev_b32_e32 v0, 20, v0
	v_and_b32_e32 v8, 0x80000000, v8
	v_lshl_add_u32 v4, v4, 23, v9
	v_or3_b32 v0, v8, v4, v0
.LBB17_1964:
	s_or_b64 exec, exec, s[6:7]
	v_lshrrev_b32_e32 v4, 8, v1
	s_movk_i32 s4, 0x7f
	v_cmp_gt_i16_sdwa s[6:7], v4, s4 src0_sel:BYTE_0 src1_sel:DWORD
	s_mov_b64 s[4:5], 0
                                        ; implicit-def: $sgpr10
	s_and_saveexec_b64 s[8:9], s[6:7]
	s_xor_b64 s[6:7], exec, s[8:9]
	s_cbranch_execnz .LBB17_4013
; %bb.1965:
	s_or_saveexec_b64 s[6:7], s[6:7]
	v_mov_b32_e32 v8, s10
	s_xor_b64 exec, exec, s[6:7]
	s_cbranch_execnz .LBB17_4016
.LBB17_1966:
	s_or_b64 exec, exec, s[6:7]
	s_and_saveexec_b64 s[6:7], s[4:5]
	s_cbranch_execz .LBB17_1968
.LBB17_1967:
	v_bfe_u32 v8, v1, 8, 3
	v_ffbh_u32_e32 v10, v8
	v_min_u32_e32 v10, 32, v10
	v_lshrrev_b16_e32 v9, 3, v4
	v_subrev_u32_e32 v11, 28, v10
	v_and_b32_e32 v9, 15, v9
	v_lshlrev_b32_e32 v4, v11, v4
	v_sub_u32_e32 v10, 29, v10
	v_and_b32_e32 v4, 7, v4
	v_cmp_eq_u16_e32 vcc, 0, v9
	v_cndmask_b32_e32 v4, v8, v4, vcc
	v_cndmask_b32_e32 v8, v9, v10, vcc
	v_lshlrev_b32_e32 v9, 16, v1
	v_mov_b32_e32 v10, 0x3b800000
	v_lshlrev_b32_e32 v4, 20, v4
	v_and_b32_e32 v9, 0x80000000, v9
	v_lshl_add_u32 v8, v8, 23, v10
	v_or3_b32 v8, v9, v8, v4
.LBB17_1968:
	s_or_b64 exec, exec, s[6:7]
	s_nop 0
	v_mfma_f32_16x16x4f32 a[0:3], v0, v8, a[0:3]
	s_movk_i32 s4, 0xff
	v_and_b32_sdwa v4, v5, s4 dst_sel:DWORD dst_unused:UNUSED_PAD src0_sel:WORD_1 src1_sel:DWORD
	s_movk_i32 s4, 0x7f
	v_cmp_lt_i16_e32 vcc, s4, v4
	s_mov_b64 s[4:5], 0
                                        ; implicit-def: $sgpr10
	s_and_saveexec_b64 s[6:7], vcc
	s_xor_b64 s[6:7], exec, s[6:7]
	s_cbranch_execnz .LBB17_4017
; %bb.1969:
	s_or_saveexec_b64 s[6:7], s[6:7]
	v_mov_b32_e32 v0, s10
	s_xor_b64 exec, exec, s[6:7]
	s_cbranch_execnz .LBB17_4020
.LBB17_1970:
	s_or_b64 exec, exec, s[6:7]
	s_and_saveexec_b64 s[6:7], s[4:5]
	s_cbranch_execz .LBB17_1972
.LBB17_1971:
	v_bfe_u32 v0, v5, 16, 3
	v_ffbh_u32_e32 v9, v0
	v_min_u32_e32 v9, 32, v9
	v_lshrrev_b32_e32 v4, 19, v5
	v_subrev_u32_e32 v10, 28, v9
	v_and_b32_e32 v4, 15, v4
	v_lshlrev_b32_sdwa v10, v10, v5 dst_sel:DWORD dst_unused:UNUSED_PAD src0_sel:DWORD src1_sel:WORD_1
	v_bfe_u32 v8, v5, 19, 4
	v_sub_u32_e32 v9, 29, v9
	v_and_b32_e32 v10, 7, v10
	v_cmp_eq_u16_e32 vcc, 0, v4
	v_cndmask_b32_e32 v0, v0, v10, vcc
	v_cndmask_b32_e32 v4, v8, v9, vcc
	v_lshlrev_b32_e32 v8, 8, v5
	v_mov_b32_e32 v9, 0x3b800000
	v_lshlrev_b32_e32 v0, 20, v0
	v_and_b32_e32 v8, 0x80000000, v8
	v_lshl_add_u32 v4, v4, 23, v9
	v_or3_b32 v0, v8, v4, v0
.LBB17_1972:
	s_or_b64 exec, exec, s[6:7]
	s_movk_i32 s4, 0xff
	v_and_b32_sdwa v4, v1, s4 dst_sel:DWORD dst_unused:UNUSED_PAD src0_sel:WORD_1 src1_sel:DWORD
	s_movk_i32 s4, 0x7f
	v_cmp_lt_i16_e32 vcc, s4, v4
	s_mov_b64 s[4:5], 0
                                        ; implicit-def: $sgpr10
	s_and_saveexec_b64 s[6:7], vcc
	s_xor_b64 s[6:7], exec, s[6:7]
	s_cbranch_execnz .LBB17_4021
; %bb.1973:
	s_or_saveexec_b64 s[6:7], s[6:7]
	v_mov_b32_e32 v8, s10
	s_xor_b64 exec, exec, s[6:7]
	s_cbranch_execnz .LBB17_4024
.LBB17_1974:
	s_or_b64 exec, exec, s[6:7]
	s_and_saveexec_b64 s[6:7], s[4:5]
	s_cbranch_execz .LBB17_1976
.LBB17_1975:
	v_bfe_u32 v4, v1, 16, 3
	v_ffbh_u32_e32 v10, v4
	v_min_u32_e32 v10, 32, v10
	v_lshrrev_b32_e32 v8, 19, v1
	v_subrev_u32_e32 v11, 28, v10
	v_and_b32_e32 v8, 15, v8
	v_lshlrev_b32_sdwa v11, v11, v1 dst_sel:DWORD dst_unused:UNUSED_PAD src0_sel:DWORD src1_sel:WORD_1
	v_bfe_u32 v9, v1, 19, 4
	v_sub_u32_e32 v10, 29, v10
	v_and_b32_e32 v11, 7, v11
	v_cmp_eq_u16_e32 vcc, 0, v8
	v_cndmask_b32_e32 v4, v4, v11, vcc
	v_cndmask_b32_e32 v8, v9, v10, vcc
	v_lshlrev_b32_e32 v9, 8, v1
	v_mov_b32_e32 v10, 0x3b800000
	v_lshlrev_b32_e32 v4, 20, v4
	v_and_b32_e32 v9, 0x80000000, v9
	v_lshl_add_u32 v8, v8, 23, v10
	v_or3_b32 v8, v9, v8, v4
.LBB17_1976:
	s_or_b64 exec, exec, s[6:7]
	s_nop 0
	v_mfma_f32_16x16x4f32 a[0:3], v0, v8, a[0:3]
	s_movk_i32 s4, 0x7f
	v_cmp_gt_i16_sdwa s[6:7], v5, s4 src0_sel:BYTE_3 src1_sel:DWORD
	s_mov_b64 s[4:5], 0
                                        ; implicit-def: $sgpr10
	s_and_saveexec_b64 s[8:9], s[6:7]
	s_xor_b64 s[6:7], exec, s[8:9]
	s_cbranch_execnz .LBB17_4025
; %bb.1977:
	s_or_saveexec_b64 s[6:7], s[6:7]
	v_mov_b32_e32 v0, s10
	s_xor_b64 exec, exec, s[6:7]
	s_cbranch_execnz .LBB17_4028
.LBB17_1978:
	s_or_b64 exec, exec, s[6:7]
	s_and_saveexec_b64 s[6:7], s[4:5]
	s_cbranch_execz .LBB17_1980
.LBB17_1979:
	v_bfe_u32 v0, v5, 24, 3
	v_ffbh_u32_e32 v10, v0
	v_min_u32_e32 v10, 32, v10
	v_lshrrev_b32_e32 v8, 27, v5
	v_subrev_u32_e32 v11, 28, v10
	v_and_b32_e32 v4, 0x80000000, v5
	v_and_b32_e32 v8, 15, v8
	v_bfe_u32 v9, v5, 27, 4
	v_lshlrev_b32_sdwa v5, v11, v5 dst_sel:DWORD dst_unused:UNUSED_PAD src0_sel:DWORD src1_sel:BYTE_3
	v_sub_u32_e32 v10, 29, v10
	v_and_b32_e32 v5, 7, v5
	v_cmp_eq_u16_e32 vcc, 0, v8
	v_cndmask_b32_e32 v0, v0, v5, vcc
	v_cndmask_b32_e32 v5, v9, v10, vcc
	v_mov_b32_e32 v8, 0x3b800000
	v_lshlrev_b32_e32 v0, 20, v0
	v_lshl_add_u32 v5, v5, 23, v8
	v_or3_b32 v0, v4, v5, v0
.LBB17_1980:
	s_or_b64 exec, exec, s[6:7]
	s_movk_i32 s4, 0x7f
	v_cmp_gt_i16_sdwa s[6:7], v1, s4 src0_sel:BYTE_3 src1_sel:DWORD
	s_mov_b64 s[4:5], 0
                                        ; implicit-def: $sgpr10
	s_and_saveexec_b64 s[8:9], s[6:7]
	s_xor_b64 s[6:7], exec, s[8:9]
	s_cbranch_execnz .LBB17_4029
; %bb.1981:
	s_or_saveexec_b64 s[6:7], s[6:7]
	v_mov_b32_e32 v4, s10
	s_xor_b64 exec, exec, s[6:7]
	s_cbranch_execnz .LBB17_4032
.LBB17_1982:
	s_or_b64 exec, exec, s[6:7]
	s_and_saveexec_b64 s[6:7], s[4:5]
	s_cbranch_execz .LBB17_1984
.LBB17_1983:
	v_bfe_u32 v4, v1, 24, 3
	v_ffbh_u32_e32 v10, v4
	v_min_u32_e32 v10, 32, v10
	v_lshrrev_b32_e32 v8, 27, v1
	v_subrev_u32_e32 v11, 28, v10
	v_and_b32_e32 v5, 0x80000000, v1
	v_and_b32_e32 v8, 15, v8
	v_bfe_u32 v9, v1, 27, 4
	v_lshlrev_b32_sdwa v1, v11, v1 dst_sel:DWORD dst_unused:UNUSED_PAD src0_sel:DWORD src1_sel:BYTE_3
	v_sub_u32_e32 v10, 29, v10
	v_and_b32_e32 v1, 7, v1
	v_cmp_eq_u16_e32 vcc, 0, v8
	v_cndmask_b32_e32 v1, v4, v1, vcc
	v_cndmask_b32_e32 v4, v9, v10, vcc
	v_mov_b32_e32 v8, 0x3b800000
	v_lshlrev_b32_e32 v1, 20, v1
	v_lshl_add_u32 v4, v4, 23, v8
	v_or3_b32 v4, v5, v4, v1
.LBB17_1984:
	s_or_b64 exec, exec, s[6:7]
	s_nop 0
	v_mfma_f32_16x16x4f32 a[0:3], v0, v4, a[0:3]
	s_movk_i32 s4, 0x7f
	v_cmp_gt_i16_sdwa s[6:7], v6, s4 src0_sel:BYTE_0 src1_sel:DWORD
	s_mov_b64 s[4:5], 0
                                        ; implicit-def: $sgpr10
	s_and_saveexec_b64 s[8:9], s[6:7]
	s_xor_b64 s[6:7], exec, s[8:9]
	s_cbranch_execnz .LBB17_4033
; %bb.1985:
	s_or_saveexec_b64 s[6:7], s[6:7]
	v_mov_b32_e32 v0, s10
	s_xor_b64 exec, exec, s[6:7]
	s_cbranch_execnz .LBB17_4036
.LBB17_1986:
	s_or_b64 exec, exec, s[6:7]
	s_and_saveexec_b64 s[6:7], s[4:5]
	s_cbranch_execz .LBB17_1988
.LBB17_1987:
	v_and_b32_e32 v0, 7, v6
	v_ffbh_u32_e32 v4, v0
	v_min_u32_e32 v4, 32, v4
	v_lshrrev_b16_e32 v1, 3, v6
	v_subrev_u32_e32 v5, 28, v4
	v_and_b32_e32 v1, 15, v1
	v_lshlrev_b32_e32 v5, v5, v6
	v_sub_u32_e32 v4, 29, v4
	v_and_b32_e32 v5, 7, v5
	v_cmp_eq_u16_e32 vcc, 0, v1
	v_cndmask_b32_e32 v0, v0, v5, vcc
	v_cndmask_b32_e32 v1, v1, v4, vcc
	v_lshlrev_b32_e32 v4, 24, v6
	v_mov_b32_e32 v5, 0x3b800000
	v_lshlrev_b32_e32 v0, 20, v0
	v_and_b32_e32 v4, 0x80000000, v4
	v_lshl_add_u32 v1, v1, 23, v5
	v_or3_b32 v0, v4, v1, v0
.LBB17_1988:
	s_or_b64 exec, exec, s[6:7]
	s_movk_i32 s4, 0x7f
	v_cmp_gt_i16_sdwa s[6:7], v2, s4 src0_sel:BYTE_0 src1_sel:DWORD
	s_mov_b64 s[4:5], 0
                                        ; implicit-def: $sgpr10
	s_and_saveexec_b64 s[8:9], s[6:7]
	s_xor_b64 s[6:7], exec, s[8:9]
	s_cbranch_execnz .LBB17_4037
; %bb.1989:
	s_or_saveexec_b64 s[6:7], s[6:7]
	v_mov_b32_e32 v1, s10
	s_xor_b64 exec, exec, s[6:7]
	s_cbranch_execnz .LBB17_4040
.LBB17_1990:
	s_or_b64 exec, exec, s[6:7]
	s_and_saveexec_b64 s[6:7], s[4:5]
	s_cbranch_execz .LBB17_1992
.LBB17_1991:
	v_and_b32_e32 v1, 7, v2
	v_ffbh_u32_e32 v5, v1
	v_min_u32_e32 v5, 32, v5
	v_lshrrev_b16_e32 v4, 3, v2
	v_subrev_u32_e32 v8, 28, v5
	v_and_b32_e32 v4, 15, v4
	v_lshlrev_b32_e32 v8, v8, v2
	v_sub_u32_e32 v5, 29, v5
	v_and_b32_e32 v8, 7, v8
	v_cmp_eq_u16_e32 vcc, 0, v4
	v_cndmask_b32_e32 v1, v1, v8, vcc
	v_cndmask_b32_e32 v4, v4, v5, vcc
	v_lshlrev_b32_e32 v5, 24, v2
	v_mov_b32_e32 v8, 0x3b800000
	v_lshlrev_b32_e32 v1, 20, v1
	v_and_b32_e32 v5, 0x80000000, v5
	v_lshl_add_u32 v4, v4, 23, v8
	v_or3_b32 v1, v5, v4, v1
.LBB17_1992:
	s_or_b64 exec, exec, s[6:7]
	s_nop 0
	v_mfma_f32_16x16x4f32 a[0:3], v0, v1, a[0:3]
	v_lshrrev_b32_e32 v1, 8, v6
	s_movk_i32 s4, 0x7f
	v_cmp_gt_i16_sdwa s[6:7], v1, s4 src0_sel:BYTE_0 src1_sel:DWORD
	s_mov_b64 s[4:5], 0
                                        ; implicit-def: $sgpr10
	s_and_saveexec_b64 s[8:9], s[6:7]
	s_xor_b64 s[6:7], exec, s[8:9]
	s_cbranch_execnz .LBB17_4041
; %bb.1993:
	s_or_saveexec_b64 s[6:7], s[6:7]
	v_mov_b32_e32 v0, s10
	s_xor_b64 exec, exec, s[6:7]
	s_cbranch_execnz .LBB17_4044
.LBB17_1994:
	s_or_b64 exec, exec, s[6:7]
	s_and_saveexec_b64 s[6:7], s[4:5]
	s_cbranch_execz .LBB17_1996
.LBB17_1995:
	v_bfe_u32 v0, v6, 8, 3
	v_ffbh_u32_e32 v5, v0
	v_min_u32_e32 v5, 32, v5
	v_lshrrev_b16_e32 v4, 3, v1
	v_subrev_u32_e32 v8, 28, v5
	v_and_b32_e32 v4, 15, v4
	v_lshlrev_b32_e32 v1, v8, v1
	v_sub_u32_e32 v5, 29, v5
	v_and_b32_e32 v1, 7, v1
	v_cmp_eq_u16_e32 vcc, 0, v4
	v_cndmask_b32_e32 v0, v0, v1, vcc
	v_cndmask_b32_e32 v1, v4, v5, vcc
	v_lshlrev_b32_e32 v4, 16, v6
	v_mov_b32_e32 v5, 0x3b800000
	v_lshlrev_b32_e32 v0, 20, v0
	v_and_b32_e32 v4, 0x80000000, v4
	v_lshl_add_u32 v1, v1, 23, v5
	v_or3_b32 v0, v4, v1, v0
.LBB17_1996:
	s_or_b64 exec, exec, s[6:7]
	v_lshrrev_b32_e32 v1, 8, v2
	s_movk_i32 s4, 0x7f
	v_cmp_gt_i16_sdwa s[6:7], v1, s4 src0_sel:BYTE_0 src1_sel:DWORD
	s_mov_b64 s[4:5], 0
                                        ; implicit-def: $sgpr10
	s_and_saveexec_b64 s[8:9], s[6:7]
	s_xor_b64 s[6:7], exec, s[8:9]
	s_cbranch_execnz .LBB17_4045
; %bb.1997:
	s_or_saveexec_b64 s[6:7], s[6:7]
	v_mov_b32_e32 v4, s10
	s_xor_b64 exec, exec, s[6:7]
	s_cbranch_execnz .LBB17_4048
.LBB17_1998:
	s_or_b64 exec, exec, s[6:7]
	s_and_saveexec_b64 s[6:7], s[4:5]
	s_cbranch_execz .LBB17_2000
.LBB17_1999:
	v_bfe_u32 v4, v2, 8, 3
	v_ffbh_u32_e32 v8, v4
	v_min_u32_e32 v8, 32, v8
	v_lshrrev_b16_e32 v5, 3, v1
	v_subrev_u32_e32 v9, 28, v8
	v_and_b32_e32 v5, 15, v5
	v_lshlrev_b32_e32 v1, v9, v1
	v_sub_u32_e32 v8, 29, v8
	v_and_b32_e32 v1, 7, v1
	v_cmp_eq_u16_e32 vcc, 0, v5
	v_cndmask_b32_e32 v1, v4, v1, vcc
	v_cndmask_b32_e32 v4, v5, v8, vcc
	v_lshlrev_b32_e32 v5, 16, v2
	v_mov_b32_e32 v8, 0x3b800000
	v_lshlrev_b32_e32 v1, 20, v1
	v_and_b32_e32 v5, 0x80000000, v5
	v_lshl_add_u32 v4, v4, 23, v8
	v_or3_b32 v4, v5, v4, v1
.LBB17_2000:
	s_or_b64 exec, exec, s[6:7]
	s_nop 0
	v_mfma_f32_16x16x4f32 a[0:3], v0, v4, a[0:3]
	s_movk_i32 s4, 0xff
	v_and_b32_sdwa v1, v6, s4 dst_sel:DWORD dst_unused:UNUSED_PAD src0_sel:WORD_1 src1_sel:DWORD
	s_movk_i32 s4, 0x7f
	v_cmp_lt_i16_e32 vcc, s4, v1
	s_mov_b64 s[4:5], 0
                                        ; implicit-def: $sgpr10
	s_and_saveexec_b64 s[6:7], vcc
	s_xor_b64 s[6:7], exec, s[6:7]
	s_cbranch_execnz .LBB17_4049
; %bb.2001:
	s_or_saveexec_b64 s[6:7], s[6:7]
	v_mov_b32_e32 v0, s10
	s_xor_b64 exec, exec, s[6:7]
	s_cbranch_execnz .LBB17_4052
.LBB17_2002:
	s_or_b64 exec, exec, s[6:7]
	s_and_saveexec_b64 s[6:7], s[4:5]
	s_cbranch_execz .LBB17_2004
.LBB17_2003:
	v_bfe_u32 v0, v6, 16, 3
	v_ffbh_u32_e32 v5, v0
	v_min_u32_e32 v5, 32, v5
	v_lshrrev_b32_e32 v1, 19, v6
	v_subrev_u32_e32 v8, 28, v5
	v_and_b32_e32 v1, 15, v1
	v_lshlrev_b32_sdwa v8, v8, v6 dst_sel:DWORD dst_unused:UNUSED_PAD src0_sel:DWORD src1_sel:WORD_1
	v_bfe_u32 v4, v6, 19, 4
	v_sub_u32_e32 v5, 29, v5
	v_and_b32_e32 v8, 7, v8
	v_cmp_eq_u16_e32 vcc, 0, v1
	v_cndmask_b32_e32 v0, v0, v8, vcc
	v_cndmask_b32_e32 v1, v4, v5, vcc
	v_lshlrev_b32_e32 v4, 8, v6
	v_mov_b32_e32 v5, 0x3b800000
	v_lshlrev_b32_e32 v0, 20, v0
	v_and_b32_e32 v4, 0x80000000, v4
	v_lshl_add_u32 v1, v1, 23, v5
	v_or3_b32 v0, v4, v1, v0
.LBB17_2004:
	s_or_b64 exec, exec, s[6:7]
	s_movk_i32 s4, 0xff
	v_and_b32_sdwa v1, v2, s4 dst_sel:DWORD dst_unused:UNUSED_PAD src0_sel:WORD_1 src1_sel:DWORD
	s_movk_i32 s4, 0x7f
	v_cmp_lt_i16_e32 vcc, s4, v1
	s_mov_b64 s[4:5], 0
                                        ; implicit-def: $sgpr10
	s_and_saveexec_b64 s[6:7], vcc
	s_xor_b64 s[6:7], exec, s[6:7]
	s_cbranch_execnz .LBB17_4053
; %bb.2005:
	s_or_saveexec_b64 s[6:7], s[6:7]
	v_mov_b32_e32 v4, s10
	s_xor_b64 exec, exec, s[6:7]
	s_cbranch_execnz .LBB17_4056
.LBB17_2006:
	s_or_b64 exec, exec, s[6:7]
	s_and_saveexec_b64 s[6:7], s[4:5]
	s_cbranch_execz .LBB17_2008
.LBB17_2007:
	v_bfe_u32 v1, v2, 16, 3
	v_ffbh_u32_e32 v8, v1
	v_min_u32_e32 v8, 32, v8
	v_lshrrev_b32_e32 v4, 19, v2
	v_subrev_u32_e32 v9, 28, v8
	v_and_b32_e32 v4, 15, v4
	v_lshlrev_b32_sdwa v9, v9, v2 dst_sel:DWORD dst_unused:UNUSED_PAD src0_sel:DWORD src1_sel:WORD_1
	v_bfe_u32 v5, v2, 19, 4
	v_sub_u32_e32 v8, 29, v8
	v_and_b32_e32 v9, 7, v9
	v_cmp_eq_u16_e32 vcc, 0, v4
	v_cndmask_b32_e32 v1, v1, v9, vcc
	v_cndmask_b32_e32 v4, v5, v8, vcc
	v_lshlrev_b32_e32 v5, 8, v2
	v_mov_b32_e32 v8, 0x3b800000
	v_lshlrev_b32_e32 v1, 20, v1
	v_and_b32_e32 v5, 0x80000000, v5
	v_lshl_add_u32 v4, v4, 23, v8
	v_or3_b32 v4, v5, v4, v1
.LBB17_2008:
	s_or_b64 exec, exec, s[6:7]
	s_nop 0
	v_mfma_f32_16x16x4f32 a[0:3], v0, v4, a[0:3]
	s_movk_i32 s4, 0x7f
	v_cmp_gt_i16_sdwa s[6:7], v6, s4 src0_sel:BYTE_3 src1_sel:DWORD
	s_mov_b64 s[4:5], 0
                                        ; implicit-def: $sgpr10
	s_and_saveexec_b64 s[8:9], s[6:7]
	s_xor_b64 s[6:7], exec, s[8:9]
	s_cbranch_execnz .LBB17_4057
; %bb.2009:
	s_or_saveexec_b64 s[6:7], s[6:7]
	v_mov_b32_e32 v0, s10
	s_xor_b64 exec, exec, s[6:7]
	s_cbranch_execnz .LBB17_4060
.LBB17_2010:
	s_or_b64 exec, exec, s[6:7]
	s_and_saveexec_b64 s[6:7], s[4:5]
	s_cbranch_execz .LBB17_2012
.LBB17_2011:
	v_bfe_u32 v0, v6, 24, 3
	v_ffbh_u32_e32 v8, v0
	v_min_u32_e32 v8, 32, v8
	v_lshrrev_b32_e32 v4, 27, v6
	v_subrev_u32_e32 v9, 28, v8
	v_and_b32_e32 v1, 0x80000000, v6
	v_and_b32_e32 v4, 15, v4
	v_bfe_u32 v5, v6, 27, 4
	v_lshlrev_b32_sdwa v6, v9, v6 dst_sel:DWORD dst_unused:UNUSED_PAD src0_sel:DWORD src1_sel:BYTE_3
	v_sub_u32_e32 v8, 29, v8
	v_and_b32_e32 v6, 7, v6
	v_cmp_eq_u16_e32 vcc, 0, v4
	v_cndmask_b32_e32 v0, v0, v6, vcc
	v_cndmask_b32_e32 v4, v5, v8, vcc
	v_mov_b32_e32 v5, 0x3b800000
	v_lshlrev_b32_e32 v0, 20, v0
	v_lshl_add_u32 v4, v4, 23, v5
	v_or3_b32 v0, v1, v4, v0
.LBB17_2012:
	s_or_b64 exec, exec, s[6:7]
	s_movk_i32 s4, 0x7f
	v_cmp_gt_i16_sdwa s[6:7], v2, s4 src0_sel:BYTE_3 src1_sel:DWORD
	s_mov_b64 s[4:5], 0
                                        ; implicit-def: $sgpr10
	s_and_saveexec_b64 s[8:9], s[6:7]
	s_xor_b64 s[6:7], exec, s[8:9]
	s_cbranch_execnz .LBB17_4061
; %bb.2013:
	s_or_saveexec_b64 s[6:7], s[6:7]
	v_mov_b32_e32 v1, s10
	s_xor_b64 exec, exec, s[6:7]
	s_cbranch_execnz .LBB17_4064
.LBB17_2014:
	s_or_b64 exec, exec, s[6:7]
	s_and_saveexec_b64 s[6:7], s[4:5]
	s_cbranch_execz .LBB17_2016
.LBB17_2015:
	v_bfe_u32 v1, v2, 24, 3
	v_ffbh_u32_e32 v8, v1
	v_min_u32_e32 v8, 32, v8
	v_lshrrev_b32_e32 v5, 27, v2
	v_subrev_u32_e32 v9, 28, v8
	v_and_b32_e32 v4, 0x80000000, v2
	v_and_b32_e32 v5, 15, v5
	v_bfe_u32 v6, v2, 27, 4
	v_lshlrev_b32_sdwa v2, v9, v2 dst_sel:DWORD dst_unused:UNUSED_PAD src0_sel:DWORD src1_sel:BYTE_3
	v_sub_u32_e32 v8, 29, v8
	v_and_b32_e32 v2, 7, v2
	v_cmp_eq_u16_e32 vcc, 0, v5
	v_cndmask_b32_e32 v1, v1, v2, vcc
	v_cndmask_b32_e32 v2, v6, v8, vcc
	v_mov_b32_e32 v5, 0x3b800000
	v_lshlrev_b32_e32 v1, 20, v1
	v_lshl_add_u32 v2, v2, 23, v5
	v_or3_b32 v1, v4, v2, v1
.LBB17_2016:
	s_or_b64 exec, exec, s[6:7]
	s_nop 0
	v_mfma_f32_16x16x4f32 a[0:3], v0, v1, a[0:3]
	s_movk_i32 s4, 0x7f
	v_cmp_gt_i16_sdwa s[6:7], v7, s4 src0_sel:BYTE_0 src1_sel:DWORD
	s_mov_b64 s[4:5], 0
                                        ; implicit-def: $sgpr10
	s_and_saveexec_b64 s[8:9], s[6:7]
	s_xor_b64 s[6:7], exec, s[8:9]
	s_cbranch_execnz .LBB17_4065
; %bb.2017:
	s_or_saveexec_b64 s[6:7], s[6:7]
	v_mov_b32_e32 v0, s10
	s_xor_b64 exec, exec, s[6:7]
	s_cbranch_execnz .LBB17_4068
.LBB17_2018:
	s_or_b64 exec, exec, s[6:7]
	s_and_saveexec_b64 s[6:7], s[4:5]
	s_cbranch_execz .LBB17_2020
.LBB17_2019:
	v_mov_b32_e32 v0, 8
	v_and_b32_e32 v1, 7, v7
	v_lshrrev_b32_sdwa v0, v0, v7 dst_sel:BYTE_1 dst_unused:UNUSED_PAD src0_sel:DWORD src1_sel:DWORD
	v_ffbh_u32_e32 v2, v1
	v_or_b32_sdwa v0, v7, v0 dst_sel:DWORD dst_unused:UNUSED_PAD src0_sel:BYTE_0 src1_sel:DWORD
	v_min_u32_e32 v2, 32, v2
	v_lshrrev_b16_e32 v0, 3, v0
	v_subrev_u32_e32 v4, 28, v2
	v_and_b32_e32 v0, 15, v0
	v_lshlrev_b32_e32 v4, v4, v7
	v_sub_u32_e32 v2, 29, v2
	v_and_b32_e32 v4, 7, v4
	v_cmp_eq_u16_e32 vcc, 0, v0
	v_cndmask_b32_e32 v1, v1, v4, vcc
	v_cndmask_b32_e32 v0, v0, v2, vcc
	v_lshlrev_b32_e32 v2, 24, v7
	v_mov_b32_e32 v4, 0x3b800000
	v_lshlrev_b32_e32 v1, 20, v1
	v_and_b32_e32 v2, 0x80000000, v2
	v_lshl_add_u32 v0, v0, 23, v4
	v_or3_b32 v0, v2, v0, v1
.LBB17_2020:
	s_or_b64 exec, exec, s[6:7]
	s_movk_i32 s4, 0x7f
	v_cmp_gt_i16_sdwa s[6:7], v3, s4 src0_sel:BYTE_0 src1_sel:DWORD
	s_mov_b64 s[4:5], 0
                                        ; implicit-def: $sgpr10
	s_and_saveexec_b64 s[8:9], s[6:7]
	s_xor_b64 s[6:7], exec, s[8:9]
	s_cbranch_execnz .LBB17_4069
; %bb.2021:
	s_or_saveexec_b64 s[6:7], s[6:7]
	v_mov_b32_e32 v1, s10
	s_xor_b64 exec, exec, s[6:7]
	s_cbranch_execnz .LBB17_4072
.LBB17_2022:
	s_or_b64 exec, exec, s[6:7]
	s_and_saveexec_b64 s[6:7], s[4:5]
	s_cbranch_execz .LBB17_2024
.LBB17_2023:
	v_mov_b32_e32 v1, 8
	v_and_b32_e32 v2, 7, v3
	v_lshrrev_b32_sdwa v1, v1, v3 dst_sel:BYTE_1 dst_unused:UNUSED_PAD src0_sel:DWORD src1_sel:DWORD
	v_ffbh_u32_e32 v4, v2
	v_or_b32_sdwa v1, v3, v1 dst_sel:DWORD dst_unused:UNUSED_PAD src0_sel:BYTE_0 src1_sel:DWORD
	v_min_u32_e32 v4, 32, v4
	v_lshrrev_b16_e32 v1, 3, v1
	v_subrev_u32_e32 v5, 28, v4
	v_and_b32_e32 v1, 15, v1
	v_lshlrev_b32_e32 v5, v5, v3
	v_sub_u32_e32 v4, 29, v4
	v_and_b32_e32 v5, 7, v5
	v_cmp_eq_u16_e32 vcc, 0, v1
	v_cndmask_b32_e32 v2, v2, v5, vcc
	v_cndmask_b32_e32 v1, v1, v4, vcc
	v_lshlrev_b32_e32 v4, 24, v3
	v_mov_b32_e32 v5, 0x3b800000
	v_lshlrev_b32_e32 v2, 20, v2
	v_and_b32_e32 v4, 0x80000000, v4
	v_lshl_add_u32 v1, v1, 23, v5
	v_or3_b32 v1, v4, v1, v2
.LBB17_2024:
	s_or_b64 exec, exec, s[6:7]
	s_nop 0
	v_mfma_f32_16x16x4f32 a[0:3], v0, v1, a[0:3]
	v_lshrrev_b32_e32 v1, 8, v7
	s_movk_i32 s4, 0x7f
	v_cmp_gt_i16_sdwa s[6:7], v1, s4 src0_sel:BYTE_0 src1_sel:DWORD
	s_mov_b64 s[4:5], 0
                                        ; implicit-def: $sgpr10
	s_and_saveexec_b64 s[8:9], s[6:7]
	s_xor_b64 s[6:7], exec, s[8:9]
	s_cbranch_execnz .LBB17_4073
; %bb.2025:
	s_or_saveexec_b64 s[6:7], s[6:7]
	v_mov_b32_e32 v0, s10
	s_xor_b64 exec, exec, s[6:7]
	s_cbranch_execnz .LBB17_4076
.LBB17_2026:
	s_or_b64 exec, exec, s[6:7]
	s_and_saveexec_b64 s[6:7], s[4:5]
	s_cbranch_execz .LBB17_2028
.LBB17_2027:
	v_bfe_u32 v0, v7, 8, 3
	v_ffbh_u32_e32 v4, v0
	v_min_u32_e32 v4, 32, v4
	v_lshrrev_b16_e32 v2, 3, v1
	v_subrev_u32_e32 v5, 28, v4
	v_and_b32_e32 v2, 15, v2
	v_lshlrev_b32_e32 v1, v5, v1
	v_sub_u32_e32 v4, 29, v4
	v_and_b32_e32 v1, 7, v1
	v_cmp_eq_u16_e32 vcc, 0, v2
	v_cndmask_b32_e32 v0, v0, v1, vcc
	v_cndmask_b32_e32 v1, v2, v4, vcc
	v_lshlrev_b32_e32 v2, 16, v7
	v_mov_b32_e32 v4, 0x3b800000
	v_lshlrev_b32_e32 v0, 20, v0
	v_and_b32_e32 v2, 0x80000000, v2
	v_lshl_add_u32 v1, v1, 23, v4
	v_or3_b32 v0, v2, v1, v0
.LBB17_2028:
	s_or_b64 exec, exec, s[6:7]
	v_lshrrev_b32_e32 v1, 8, v3
	s_movk_i32 s4, 0x7f
	v_cmp_gt_i16_sdwa s[6:7], v1, s4 src0_sel:BYTE_0 src1_sel:DWORD
	s_mov_b64 s[4:5], 0
                                        ; implicit-def: $sgpr10
	s_and_saveexec_b64 s[8:9], s[6:7]
	s_xor_b64 s[6:7], exec, s[8:9]
	s_cbranch_execnz .LBB17_4077
; %bb.2029:
	s_or_saveexec_b64 s[6:7], s[6:7]
	v_mov_b32_e32 v2, s10
	s_xor_b64 exec, exec, s[6:7]
	s_cbranch_execnz .LBB17_4080
.LBB17_2030:
	s_or_b64 exec, exec, s[6:7]
	s_and_saveexec_b64 s[6:7], s[4:5]
	s_cbranch_execz .LBB17_2032
.LBB17_2031:
	v_bfe_u32 v2, v3, 8, 3
	v_ffbh_u32_e32 v5, v2
	v_min_u32_e32 v5, 32, v5
	v_lshrrev_b16_e32 v4, 3, v1
	v_subrev_u32_e32 v6, 28, v5
	v_and_b32_e32 v4, 15, v4
	v_lshlrev_b32_e32 v1, v6, v1
	v_sub_u32_e32 v5, 29, v5
	v_and_b32_e32 v1, 7, v1
	v_cmp_eq_u16_e32 vcc, 0, v4
	v_cndmask_b32_e32 v1, v2, v1, vcc
	v_cndmask_b32_e32 v2, v4, v5, vcc
	v_lshlrev_b32_e32 v4, 16, v3
	v_mov_b32_e32 v5, 0x3b800000
	v_lshlrev_b32_e32 v1, 20, v1
	v_and_b32_e32 v4, 0x80000000, v4
	v_lshl_add_u32 v2, v2, 23, v5
	v_or3_b32 v2, v4, v2, v1
.LBB17_2032:
	s_or_b64 exec, exec, s[6:7]
	s_nop 0
	v_mfma_f32_16x16x4f32 a[0:3], v0, v2, a[0:3]
	s_movk_i32 s4, 0xff
	v_and_b32_sdwa v1, v7, s4 dst_sel:DWORD dst_unused:UNUSED_PAD src0_sel:WORD_1 src1_sel:DWORD
	s_movk_i32 s4, 0x7f
	v_cmp_lt_i16_e32 vcc, s4, v1
	s_mov_b64 s[4:5], 0
                                        ; implicit-def: $sgpr10
	s_and_saveexec_b64 s[6:7], vcc
	s_xor_b64 s[6:7], exec, s[6:7]
	s_cbranch_execnz .LBB17_4081
; %bb.2033:
	s_or_saveexec_b64 s[6:7], s[6:7]
	v_mov_b32_e32 v0, s10
	s_xor_b64 exec, exec, s[6:7]
	s_cbranch_execnz .LBB17_4084
.LBB17_2034:
	s_or_b64 exec, exec, s[6:7]
	s_and_saveexec_b64 s[6:7], s[4:5]
	s_cbranch_execz .LBB17_2036
.LBB17_2035:
	v_bfe_u32 v0, v7, 16, 3
	v_ffbh_u32_e32 v4, v0
	v_min_u32_e32 v4, 32, v4
	v_lshrrev_b32_e32 v1, 19, v7
	v_subrev_u32_e32 v5, 28, v4
	v_and_b32_e32 v1, 15, v1
	v_lshlrev_b32_sdwa v5, v5, v7 dst_sel:DWORD dst_unused:UNUSED_PAD src0_sel:DWORD src1_sel:WORD_1
	v_bfe_u32 v2, v7, 19, 4
	v_sub_u32_e32 v4, 29, v4
	v_and_b32_e32 v5, 7, v5
	v_cmp_eq_u16_e32 vcc, 0, v1
	v_cndmask_b32_e32 v0, v0, v5, vcc
	v_cndmask_b32_e32 v1, v2, v4, vcc
	v_lshlrev_b32_e32 v2, 8, v7
	v_mov_b32_e32 v4, 0x3b800000
	v_lshlrev_b32_e32 v0, 20, v0
	v_and_b32_e32 v2, 0x80000000, v2
	v_lshl_add_u32 v1, v1, 23, v4
	v_or3_b32 v0, v2, v1, v0
.LBB17_2036:
	s_or_b64 exec, exec, s[6:7]
	s_movk_i32 s4, 0xff
	v_and_b32_sdwa v1, v3, s4 dst_sel:DWORD dst_unused:UNUSED_PAD src0_sel:WORD_1 src1_sel:DWORD
	s_movk_i32 s4, 0x7f
	v_cmp_lt_i16_e32 vcc, s4, v1
	s_mov_b64 s[4:5], 0
                                        ; implicit-def: $sgpr10
	s_and_saveexec_b64 s[6:7], vcc
	s_xor_b64 s[6:7], exec, s[6:7]
	s_cbranch_execnz .LBB17_4085
; %bb.2037:
	s_or_saveexec_b64 s[6:7], s[6:7]
	v_mov_b32_e32 v2, s10
	s_xor_b64 exec, exec, s[6:7]
	s_cbranch_execnz .LBB17_4088
.LBB17_2038:
	s_or_b64 exec, exec, s[6:7]
	s_and_saveexec_b64 s[6:7], s[4:5]
	s_cbranch_execz .LBB17_2040
.LBB17_2039:
	v_bfe_u32 v1, v3, 16, 3
	v_ffbh_u32_e32 v5, v1
	v_min_u32_e32 v5, 32, v5
	v_lshrrev_b32_e32 v2, 19, v3
	v_subrev_u32_e32 v6, 28, v5
	v_and_b32_e32 v2, 15, v2
	v_lshlrev_b32_sdwa v6, v6, v3 dst_sel:DWORD dst_unused:UNUSED_PAD src0_sel:DWORD src1_sel:WORD_1
	v_bfe_u32 v4, v3, 19, 4
	v_sub_u32_e32 v5, 29, v5
	v_and_b32_e32 v6, 7, v6
	v_cmp_eq_u16_e32 vcc, 0, v2
	v_cndmask_b32_e32 v1, v1, v6, vcc
	v_cndmask_b32_e32 v2, v4, v5, vcc
	v_lshlrev_b32_e32 v4, 8, v3
	v_mov_b32_e32 v5, 0x3b800000
	v_lshlrev_b32_e32 v1, 20, v1
	v_and_b32_e32 v4, 0x80000000, v4
	v_lshl_add_u32 v2, v2, 23, v5
	v_or3_b32 v2, v4, v2, v1
.LBB17_2040:
	s_or_b64 exec, exec, s[6:7]
	s_nop 0
	v_mfma_f32_16x16x4f32 a[0:3], v0, v2, a[0:3]
	s_movk_i32 s4, 0x7f
	v_cmp_gt_i16_sdwa s[6:7], v7, s4 src0_sel:BYTE_3 src1_sel:DWORD
	s_mov_b64 s[4:5], 0
                                        ; implicit-def: $sgpr10
	s_and_saveexec_b64 s[8:9], s[6:7]
	s_xor_b64 s[6:7], exec, s[8:9]
	s_cbranch_execnz .LBB17_4089
; %bb.2041:
	s_or_saveexec_b64 s[6:7], s[6:7]
	v_mov_b32_e32 v0, s10
	s_xor_b64 exec, exec, s[6:7]
	s_cbranch_execnz .LBB17_4092
.LBB17_2042:
	s_or_b64 exec, exec, s[6:7]
	s_and_saveexec_b64 s[6:7], s[4:5]
	s_cbranch_execz .LBB17_2044
.LBB17_2043:
	v_bfe_u32 v0, v7, 24, 3
	v_ffbh_u32_e32 v5, v0
	v_min_u32_e32 v5, 32, v5
	v_lshrrev_b32_e32 v2, 27, v7
	v_subrev_u32_e32 v6, 28, v5
	v_and_b32_e32 v2, 15, v2
	v_lshlrev_b32_sdwa v6, v6, v7 dst_sel:DWORD dst_unused:UNUSED_PAD src0_sel:DWORD src1_sel:BYTE_3
	v_bfe_u32 v4, v7, 27, 4
	v_sub_u32_e32 v5, 29, v5
	v_and_b32_e32 v6, 7, v6
	v_cmp_eq_u16_e32 vcc, 0, v2
	v_cndmask_b32_e32 v0, v0, v6, vcc
	v_cndmask_b32_e32 v2, v4, v5, vcc
	v_mov_b32_e32 v4, 0x3b800000
	v_and_b32_e32 v1, 0x80000000, v7
	v_lshlrev_b32_e32 v0, 20, v0
	v_lshl_add_u32 v2, v2, 23, v4
	v_or3_b32 v0, v1, v2, v0
.LBB17_2044:
	s_or_b64 exec, exec, s[6:7]
	s_movk_i32 s4, 0x7f
	v_cmp_gt_i16_sdwa s[6:7], v3, s4 src0_sel:BYTE_3 src1_sel:DWORD
	s_mov_b64 s[4:5], 0
                                        ; implicit-def: $sgpr10
	s_and_saveexec_b64 s[8:9], s[6:7]
	s_xor_b64 s[6:7], exec, s[8:9]
	s_cbranch_execnz .LBB17_4093
; %bb.2045:
	s_or_saveexec_b64 s[6:7], s[6:7]
	v_mov_b32_e32 v1, s10
	s_xor_b64 exec, exec, s[6:7]
	s_cbranch_execnz .LBB17_4096
.LBB17_2046:
	s_or_b64 exec, exec, s[6:7]
	s_and_saveexec_b64 s[6:7], s[4:5]
	s_cbranch_execz .LBB17_2048
.LBB17_2047:
	v_bfe_u32 v1, v3, 24, 3
	v_ffbh_u32_e32 v6, v1
	v_min_u32_e32 v6, 32, v6
	v_lshrrev_b32_e32 v4, 27, v3
	v_subrev_u32_e32 v7, 28, v6
	v_and_b32_e32 v2, 0x80000000, v3
	v_and_b32_e32 v4, 15, v4
	v_bfe_u32 v5, v3, 27, 4
	v_lshlrev_b32_sdwa v3, v7, v3 dst_sel:DWORD dst_unused:UNUSED_PAD src0_sel:DWORD src1_sel:BYTE_3
	v_sub_u32_e32 v6, 29, v6
	v_and_b32_e32 v3, 7, v3
	v_cmp_eq_u16_e32 vcc, 0, v4
	v_cndmask_b32_e32 v1, v1, v3, vcc
	v_cndmask_b32_e32 v3, v5, v6, vcc
	v_mov_b32_e32 v4, 0x3b800000
	v_lshlrev_b32_e32 v1, 20, v1
	v_lshl_add_u32 v3, v3, 23, v4
	v_or3_b32 v1, v2, v3, v1
.LBB17_2048:
	s_or_b64 exec, exec, s[6:7]
	s_nop 0
	v_mfma_f32_16x16x4f32 a[0:3], v0, v1, a[0:3]
	s_nop 7
	s_nop 2
	flat_store_dwordx4 v[16:17], a[0:3] offset:1008
	s_waitcnt vmcnt(0) lgkmcnt(0)
	s_setpc_b64 s[30:31]
.LBB17_2049:
	s_movk_i32 s4, 0x80
	v_cmp_eq_u16_sdwa s[12:13], v14, s4 src0_sel:BYTE_0 src1_sel:DWORD
	s_mov_b64 s[4:5], -1
                                        ; implicit-def: $sgpr10
	s_and_saveexec_b64 s[8:9], s[12:13]
; %bb.2050:
	s_mov_b32 s10, 0x7f800001
	s_xor_b64 s[4:5], exec, -1
; %bb.2051:
	s_or_b64 exec, exec, s[8:9]
	s_and_b64 s[4:5], s[4:5], exec
	s_or_saveexec_b64 s[6:7], s[6:7]
	v_mov_b32_e32 v20, s10
	s_xor_b64 exec, exec, s[6:7]
	s_cbranch_execz .LBB17_2
.LBB17_2052:
	v_mov_b32_e32 v20, 0
	v_cmp_ne_u16_sdwa s[8:9], v14, v20 src0_sel:BYTE_0 src1_sel:DWORD
	s_andn2_b64 s[4:5], s[4:5], exec
	s_and_b64 s[8:9], s[8:9], exec
	s_or_b64 s[4:5], s[4:5], s[8:9]
	s_or_b64 exec, exec, s[6:7]
	s_and_saveexec_b64 s[6:7], s[4:5]
	s_cbranch_execnz .LBB17_3
	s_branch .LBB17_4
.LBB17_2053:
	s_movk_i32 s4, 0x80
	v_cmp_eq_u16_sdwa s[12:13], v10, s4 src0_sel:BYTE_0 src1_sel:DWORD
	s_mov_b64 s[4:5], -1
                                        ; implicit-def: $sgpr10
	s_and_saveexec_b64 s[8:9], s[12:13]
; %bb.2054:
	s_mov_b32 s10, 0x7f800001
	s_xor_b64 s[4:5], exec, -1
; %bb.2055:
	s_or_b64 exec, exec, s[8:9]
	s_and_b64 s[4:5], s[4:5], exec
	s_or_saveexec_b64 s[6:7], s[6:7]
	v_mov_b32_e32 v21, s10
	s_xor_b64 exec, exec, s[6:7]
	s_cbranch_execz .LBB17_6
.LBB17_2056:
	v_mov_b32_e32 v21, 0
	v_cmp_ne_u16_sdwa s[8:9], v10, v21 src0_sel:BYTE_0 src1_sel:DWORD
	s_andn2_b64 s[4:5], s[4:5], exec
	s_and_b64 s[8:9], s[8:9], exec
	s_or_b64 s[4:5], s[4:5], s[8:9]
	s_or_b64 exec, exec, s[6:7]
	s_and_saveexec_b64 s[6:7], s[4:5]
	s_cbranch_execnz .LBB17_7
	s_branch .LBB17_8
.LBB17_2057:
	s_movk_i32 s4, 0x80
	v_cmp_eq_u16_sdwa s[12:13], v21, s4 src0_sel:BYTE_0 src1_sel:DWORD
	s_mov_b64 s[4:5], -1
                                        ; implicit-def: $sgpr10
	s_and_saveexec_b64 s[8:9], s[12:13]
; %bb.2058:
	s_mov_b32 s10, 0x7f800001
	s_xor_b64 s[4:5], exec, -1
; %bb.2059:
	s_or_b64 exec, exec, s[8:9]
	s_and_b64 s[4:5], s[4:5], exec
	s_or_saveexec_b64 s[6:7], s[6:7]
	v_mov_b32_e32 v20, s10
	s_xor_b64 exec, exec, s[6:7]
	s_cbranch_execz .LBB17_10
.LBB17_2060:
	v_mov_b32_e32 v20, 0
	v_cmp_ne_u16_sdwa s[8:9], v21, v20 src0_sel:BYTE_0 src1_sel:DWORD
	s_andn2_b64 s[4:5], s[4:5], exec
	s_and_b64 s[8:9], s[8:9], exec
	s_or_b64 s[4:5], s[4:5], s[8:9]
	s_or_b64 exec, exec, s[6:7]
	s_and_saveexec_b64 s[6:7], s[4:5]
	s_cbranch_execnz .LBB17_11
	s_branch .LBB17_12
.LBB17_2061:
	s_movk_i32 s4, 0x80
	v_cmp_eq_u16_sdwa s[12:13], v21, s4 src0_sel:BYTE_0 src1_sel:DWORD
	s_mov_b64 s[4:5], -1
                                        ; implicit-def: $sgpr10
	s_and_saveexec_b64 s[8:9], s[12:13]
; %bb.2062:
	s_mov_b32 s10, 0x7f800001
	s_xor_b64 s[4:5], exec, -1
; %bb.2063:
	s_or_b64 exec, exec, s[8:9]
	s_and_b64 s[4:5], s[4:5], exec
	s_or_saveexec_b64 s[6:7], s[6:7]
	v_mov_b32_e32 v22, s10
	s_xor_b64 exec, exec, s[6:7]
	s_cbranch_execz .LBB17_14
.LBB17_2064:
	v_mov_b32_e32 v22, 0
	v_cmp_ne_u16_sdwa s[8:9], v21, v22 src0_sel:BYTE_0 src1_sel:DWORD
	s_andn2_b64 s[4:5], s[4:5], exec
	s_and_b64 s[8:9], s[8:9], exec
	s_or_b64 s[4:5], s[4:5], s[8:9]
	s_or_b64 exec, exec, s[6:7]
	s_and_saveexec_b64 s[6:7], s[4:5]
	s_cbranch_execnz .LBB17_15
	s_branch .LBB17_16
.LBB17_2065:
	s_movk_i32 s4, 0x80
	v_cmp_eq_u16_e32 vcc, s4, v21
	s_mov_b64 s[4:5], -1
                                        ; implicit-def: $sgpr10
	s_and_saveexec_b64 s[8:9], vcc
; %bb.2066:
	s_mov_b32 s10, 0x7f800001
	s_xor_b64 s[4:5], exec, -1
; %bb.2067:
	s_or_b64 exec, exec, s[8:9]
	s_and_b64 s[4:5], s[4:5], exec
                                        ; implicit-def: $vgpr21
	s_or_saveexec_b64 s[6:7], s[6:7]
	v_mov_b32_e32 v20, s10
	s_xor_b64 exec, exec, s[6:7]
	s_cbranch_execz .LBB17_18
.LBB17_2068:
	v_cmp_ne_u16_e32 vcc, 0, v21
	s_andn2_b64 s[4:5], s[4:5], exec
	s_and_b64 s[8:9], vcc, exec
	v_mov_b32_e32 v20, 0
	s_or_b64 s[4:5], s[4:5], s[8:9]
	s_or_b64 exec, exec, s[6:7]
	s_and_saveexec_b64 s[6:7], s[4:5]
	s_cbranch_execnz .LBB17_19
	s_branch .LBB17_20
.LBB17_2069:
	s_movk_i32 s4, 0x80
	v_cmp_eq_u16_e32 vcc, s4, v21
	s_mov_b64 s[4:5], -1
                                        ; implicit-def: $sgpr10
	s_and_saveexec_b64 s[8:9], vcc
; %bb.2070:
	s_mov_b32 s10, 0x7f800001
	s_xor_b64 s[4:5], exec, -1
; %bb.2071:
	s_or_b64 exec, exec, s[8:9]
	s_and_b64 s[4:5], s[4:5], exec
                                        ; implicit-def: $vgpr21
	s_or_saveexec_b64 s[6:7], s[6:7]
	v_mov_b32_e32 v22, s10
	s_xor_b64 exec, exec, s[6:7]
	s_cbranch_execz .LBB17_22
.LBB17_2072:
	v_cmp_ne_u16_e32 vcc, 0, v21
	s_andn2_b64 s[4:5], s[4:5], exec
	s_and_b64 s[8:9], vcc, exec
	v_mov_b32_e32 v22, 0
	s_or_b64 s[4:5], s[4:5], s[8:9]
	s_or_b64 exec, exec, s[6:7]
	s_and_saveexec_b64 s[6:7], s[4:5]
	s_cbranch_execnz .LBB17_23
	s_branch .LBB17_24
.LBB17_2073:
	s_movk_i32 s4, 0x80
	v_cmp_eq_u16_sdwa s[12:13], v14, s4 src0_sel:BYTE_3 src1_sel:DWORD
	s_mov_b64 s[4:5], -1
                                        ; implicit-def: $sgpr10
	s_and_saveexec_b64 s[8:9], s[12:13]
; %bb.2074:
	s_mov_b32 s10, 0x7f800001
	s_xor_b64 s[4:5], exec, -1
; %bb.2075:
	s_or_b64 exec, exec, s[8:9]
	s_and_b64 s[4:5], s[4:5], exec
	s_or_saveexec_b64 s[6:7], s[6:7]
	v_mov_b32_e32 v20, s10
	s_xor_b64 exec, exec, s[6:7]
	s_cbranch_execz .LBB17_26
.LBB17_2076:
	v_mov_b32_e32 v20, 0
	v_cmp_ne_u16_sdwa s[8:9], v14, v20 src0_sel:BYTE_3 src1_sel:DWORD
	s_andn2_b64 s[4:5], s[4:5], exec
	s_and_b64 s[8:9], s[8:9], exec
	s_or_b64 s[4:5], s[4:5], s[8:9]
	s_or_b64 exec, exec, s[6:7]
	s_and_saveexec_b64 s[6:7], s[4:5]
	s_cbranch_execnz .LBB17_27
	s_branch .LBB17_28
.LBB17_2077:
	s_movk_i32 s4, 0x80
	v_cmp_eq_u16_sdwa s[12:13], v10, s4 src0_sel:BYTE_3 src1_sel:DWORD
	s_mov_b64 s[4:5], -1
                                        ; implicit-def: $sgpr10
	s_and_saveexec_b64 s[8:9], s[12:13]
; %bb.2078:
	s_mov_b32 s10, 0x7f800001
	s_xor_b64 s[4:5], exec, -1
; %bb.2079:
	s_or_b64 exec, exec, s[8:9]
	s_and_b64 s[4:5], s[4:5], exec
	s_or_saveexec_b64 s[6:7], s[6:7]
	v_mov_b32_e32 v14, s10
	s_xor_b64 exec, exec, s[6:7]
	s_cbranch_execz .LBB17_30
.LBB17_2080:
	v_mov_b32_e32 v14, 0
	v_cmp_ne_u16_sdwa s[8:9], v10, v14 src0_sel:BYTE_3 src1_sel:DWORD
	s_andn2_b64 s[4:5], s[4:5], exec
	s_and_b64 s[8:9], s[8:9], exec
	s_or_b64 s[4:5], s[4:5], s[8:9]
	s_or_b64 exec, exec, s[6:7]
	s_and_saveexec_b64 s[6:7], s[4:5]
	s_cbranch_execnz .LBB17_31
	s_branch .LBB17_32
.LBB17_2081:
	s_movk_i32 s4, 0x80
	v_cmp_eq_u16_sdwa s[12:13], v15, s4 src0_sel:BYTE_0 src1_sel:DWORD
	s_mov_b64 s[4:5], -1
                                        ; implicit-def: $sgpr10
	s_and_saveexec_b64 s[8:9], s[12:13]
; %bb.2082:
	s_mov_b32 s10, 0x7f800001
	s_xor_b64 s[4:5], exec, -1
; %bb.2083:
	s_or_b64 exec, exec, s[8:9]
	s_and_b64 s[4:5], s[4:5], exec
	s_or_saveexec_b64 s[6:7], s[6:7]
	v_mov_b32_e32 v10, s10
	s_xor_b64 exec, exec, s[6:7]
	s_cbranch_execz .LBB17_34
.LBB17_2084:
	v_mov_b32_e32 v10, 0
	v_cmp_ne_u16_sdwa s[8:9], v15, v10 src0_sel:BYTE_0 src1_sel:DWORD
	s_andn2_b64 s[4:5], s[4:5], exec
	s_and_b64 s[8:9], s[8:9], exec
	s_or_b64 s[4:5], s[4:5], s[8:9]
	s_or_b64 exec, exec, s[6:7]
	s_and_saveexec_b64 s[6:7], s[4:5]
	s_cbranch_execnz .LBB17_35
	s_branch .LBB17_36
.LBB17_2085:
	s_movk_i32 s4, 0x80
	v_cmp_eq_u16_sdwa s[12:13], v11, s4 src0_sel:BYTE_0 src1_sel:DWORD
	s_mov_b64 s[4:5], -1
                                        ; implicit-def: $sgpr10
	s_and_saveexec_b64 s[8:9], s[12:13]
; %bb.2086:
	s_mov_b32 s10, 0x7f800001
	s_xor_b64 s[4:5], exec, -1
; %bb.2087:
	s_or_b64 exec, exec, s[8:9]
	s_and_b64 s[4:5], s[4:5], exec
	s_or_saveexec_b64 s[6:7], s[6:7]
	v_mov_b32_e32 v14, s10
	s_xor_b64 exec, exec, s[6:7]
	s_cbranch_execz .LBB17_38
.LBB17_2088:
	v_mov_b32_e32 v14, 0
	v_cmp_ne_u16_sdwa s[8:9], v11, v14 src0_sel:BYTE_0 src1_sel:DWORD
	s_andn2_b64 s[4:5], s[4:5], exec
	s_and_b64 s[8:9], s[8:9], exec
	s_or_b64 s[4:5], s[4:5], s[8:9]
	s_or_b64 exec, exec, s[6:7]
	s_and_saveexec_b64 s[6:7], s[4:5]
	s_cbranch_execnz .LBB17_39
	s_branch .LBB17_40
.LBB17_2089:
	s_movk_i32 s4, 0x80
	v_cmp_eq_u16_sdwa s[12:13], v14, s4 src0_sel:BYTE_0 src1_sel:DWORD
	s_mov_b64 s[4:5], -1
                                        ; implicit-def: $sgpr10
	s_and_saveexec_b64 s[8:9], s[12:13]
; %bb.2090:
	s_mov_b32 s10, 0x7f800001
	s_xor_b64 s[4:5], exec, -1
; %bb.2091:
	s_or_b64 exec, exec, s[8:9]
	s_and_b64 s[4:5], s[4:5], exec
	s_or_saveexec_b64 s[6:7], s[6:7]
	v_mov_b32_e32 v10, s10
	s_xor_b64 exec, exec, s[6:7]
	s_cbranch_execz .LBB17_42
.LBB17_2092:
	v_mov_b32_e32 v10, 0
	v_cmp_ne_u16_sdwa s[8:9], v14, v10 src0_sel:BYTE_0 src1_sel:DWORD
	s_andn2_b64 s[4:5], s[4:5], exec
	s_and_b64 s[8:9], s[8:9], exec
	s_or_b64 s[4:5], s[4:5], s[8:9]
	s_or_b64 exec, exec, s[6:7]
	s_and_saveexec_b64 s[6:7], s[4:5]
	s_cbranch_execnz .LBB17_43
	s_branch .LBB17_44
.LBB17_2093:
	s_movk_i32 s4, 0x80
	v_cmp_eq_u16_sdwa s[12:13], v14, s4 src0_sel:BYTE_0 src1_sel:DWORD
	s_mov_b64 s[4:5], -1
                                        ; implicit-def: $sgpr10
	s_and_saveexec_b64 s[8:9], s[12:13]
; %bb.2094:
	s_mov_b32 s10, 0x7f800001
	s_xor_b64 s[4:5], exec, -1
; %bb.2095:
	s_or_b64 exec, exec, s[8:9]
	s_and_b64 s[4:5], s[4:5], exec
	s_or_saveexec_b64 s[6:7], s[6:7]
	v_mov_b32_e32 v20, s10
	s_xor_b64 exec, exec, s[6:7]
	s_cbranch_execz .LBB17_46
.LBB17_2096:
	v_mov_b32_e32 v20, 0
	v_cmp_ne_u16_sdwa s[8:9], v14, v20 src0_sel:BYTE_0 src1_sel:DWORD
	s_andn2_b64 s[4:5], s[4:5], exec
	s_and_b64 s[8:9], s[8:9], exec
	s_or_b64 s[4:5], s[4:5], s[8:9]
	s_or_b64 exec, exec, s[6:7]
	s_and_saveexec_b64 s[6:7], s[4:5]
	s_cbranch_execnz .LBB17_47
	s_branch .LBB17_48
.LBB17_2097:
	s_movk_i32 s4, 0x80
	v_cmp_eq_u16_e32 vcc, s4, v14
	s_mov_b64 s[4:5], -1
                                        ; implicit-def: $sgpr10
	s_and_saveexec_b64 s[8:9], vcc
; %bb.2098:
	s_mov_b32 s10, 0x7f800001
	s_xor_b64 s[4:5], exec, -1
; %bb.2099:
	s_or_b64 exec, exec, s[8:9]
	s_and_b64 s[4:5], s[4:5], exec
                                        ; implicit-def: $vgpr14
	s_or_saveexec_b64 s[6:7], s[6:7]
	v_mov_b32_e32 v10, s10
	s_xor_b64 exec, exec, s[6:7]
	s_cbranch_execz .LBB17_50
.LBB17_2100:
	v_cmp_ne_u16_e32 vcc, 0, v14
	s_andn2_b64 s[4:5], s[4:5], exec
	s_and_b64 s[8:9], vcc, exec
	v_mov_b32_e32 v10, 0
	s_or_b64 s[4:5], s[4:5], s[8:9]
	s_or_b64 exec, exec, s[6:7]
	s_and_saveexec_b64 s[6:7], s[4:5]
	s_cbranch_execnz .LBB17_51
	s_branch .LBB17_52
.LBB17_2101:
	s_movk_i32 s4, 0x80
	v_cmp_eq_u16_e32 vcc, s4, v14
	s_mov_b64 s[4:5], -1
                                        ; implicit-def: $sgpr10
	s_and_saveexec_b64 s[8:9], vcc
; %bb.2102:
	s_mov_b32 s10, 0x7f800001
	s_xor_b64 s[4:5], exec, -1
; %bb.2103:
	s_or_b64 exec, exec, s[8:9]
	s_and_b64 s[4:5], s[4:5], exec
                                        ; implicit-def: $vgpr14
	s_or_saveexec_b64 s[6:7], s[6:7]
	v_mov_b32_e32 v20, s10
	s_xor_b64 exec, exec, s[6:7]
	s_cbranch_execz .LBB17_54
.LBB17_2104:
	v_cmp_ne_u16_e32 vcc, 0, v14
	s_andn2_b64 s[4:5], s[4:5], exec
	s_and_b64 s[8:9], vcc, exec
	v_mov_b32_e32 v20, 0
	s_or_b64 s[4:5], s[4:5], s[8:9]
	s_or_b64 exec, exec, s[6:7]
	s_and_saveexec_b64 s[6:7], s[4:5]
	s_cbranch_execnz .LBB17_55
	s_branch .LBB17_56
.LBB17_2105:
	s_movk_i32 s4, 0x80
	v_cmp_eq_u16_sdwa s[12:13], v15, s4 src0_sel:BYTE_3 src1_sel:DWORD
	s_mov_b64 s[4:5], -1
                                        ; implicit-def: $sgpr10
	s_and_saveexec_b64 s[8:9], s[12:13]
; %bb.2106:
	s_mov_b32 s10, 0x7f800001
	s_xor_b64 s[4:5], exec, -1
; %bb.2107:
	s_or_b64 exec, exec, s[8:9]
	s_and_b64 s[4:5], s[4:5], exec
	s_or_saveexec_b64 s[6:7], s[6:7]
	v_mov_b32_e32 v10, s10
	s_xor_b64 exec, exec, s[6:7]
	s_cbranch_execz .LBB17_58
.LBB17_2108:
	v_mov_b32_e32 v10, 0
	v_cmp_ne_u16_sdwa s[8:9], v15, v10 src0_sel:BYTE_3 src1_sel:DWORD
	s_andn2_b64 s[4:5], s[4:5], exec
	s_and_b64 s[8:9], s[8:9], exec
	s_or_b64 s[4:5], s[4:5], s[8:9]
	s_or_b64 exec, exec, s[6:7]
	s_and_saveexec_b64 s[6:7], s[4:5]
	s_cbranch_execnz .LBB17_59
	s_branch .LBB17_60
.LBB17_2109:
	s_movk_i32 s4, 0x80
	v_cmp_eq_u16_sdwa s[12:13], v11, s4 src0_sel:BYTE_3 src1_sel:DWORD
	s_mov_b64 s[4:5], -1
                                        ; implicit-def: $sgpr10
	s_and_saveexec_b64 s[8:9], s[12:13]
; %bb.2110:
	s_mov_b32 s10, 0x7f800001
	s_xor_b64 s[4:5], exec, -1
; %bb.2111:
	s_or_b64 exec, exec, s[8:9]
	s_and_b64 s[4:5], s[4:5], exec
	s_or_saveexec_b64 s[6:7], s[6:7]
	v_mov_b32_e32 v14, s10
	s_xor_b64 exec, exec, s[6:7]
	s_cbranch_execz .LBB17_62
.LBB17_2112:
	v_mov_b32_e32 v14, 0
	v_cmp_ne_u16_sdwa s[8:9], v11, v14 src0_sel:BYTE_3 src1_sel:DWORD
	s_andn2_b64 s[4:5], s[4:5], exec
	s_and_b64 s[8:9], s[8:9], exec
	s_or_b64 s[4:5], s[4:5], s[8:9]
	s_or_b64 exec, exec, s[6:7]
	s_and_saveexec_b64 s[6:7], s[4:5]
	s_cbranch_execnz .LBB17_63
	s_branch .LBB17_64
.LBB17_2113:
	s_movk_i32 s4, 0x80
	v_cmp_eq_u16_sdwa s[12:13], v16, s4 src0_sel:BYTE_0 src1_sel:DWORD
	s_mov_b64 s[4:5], -1
                                        ; implicit-def: $sgpr10
	s_and_saveexec_b64 s[8:9], s[12:13]
; %bb.2114:
	s_mov_b32 s10, 0x7f800001
	s_xor_b64 s[4:5], exec, -1
; %bb.2115:
	s_or_b64 exec, exec, s[8:9]
	s_and_b64 s[4:5], s[4:5], exec
	s_or_saveexec_b64 s[6:7], s[6:7]
	v_mov_b32_e32 v10, s10
	s_xor_b64 exec, exec, s[6:7]
	s_cbranch_execz .LBB17_66
.LBB17_2116:
	v_mov_b32_e32 v10, 0
	v_cmp_ne_u16_sdwa s[8:9], v16, v10 src0_sel:BYTE_0 src1_sel:DWORD
	s_andn2_b64 s[4:5], s[4:5], exec
	s_and_b64 s[8:9], s[8:9], exec
	s_or_b64 s[4:5], s[4:5], s[8:9]
	s_or_b64 exec, exec, s[6:7]
	s_and_saveexec_b64 s[6:7], s[4:5]
	s_cbranch_execnz .LBB17_67
	s_branch .LBB17_68
.LBB17_2117:
	s_movk_i32 s4, 0x80
	v_cmp_eq_u16_sdwa s[12:13], v12, s4 src0_sel:BYTE_0 src1_sel:DWORD
	s_mov_b64 s[4:5], -1
                                        ; implicit-def: $sgpr10
	s_and_saveexec_b64 s[8:9], s[12:13]
; %bb.2118:
	s_mov_b32 s10, 0x7f800001
	s_xor_b64 s[4:5], exec, -1
; %bb.2119:
	s_or_b64 exec, exec, s[8:9]
	s_and_b64 s[4:5], s[4:5], exec
	s_or_saveexec_b64 s[6:7], s[6:7]
	v_mov_b32_e32 v11, s10
	s_xor_b64 exec, exec, s[6:7]
	s_cbranch_execz .LBB17_70
.LBB17_2120:
	v_mov_b32_e32 v11, 0
	v_cmp_ne_u16_sdwa s[8:9], v12, v11 src0_sel:BYTE_0 src1_sel:DWORD
	s_andn2_b64 s[4:5], s[4:5], exec
	s_and_b64 s[8:9], s[8:9], exec
	s_or_b64 s[4:5], s[4:5], s[8:9]
	s_or_b64 exec, exec, s[6:7]
	s_and_saveexec_b64 s[6:7], s[4:5]
	s_cbranch_execnz .LBB17_71
	s_branch .LBB17_72
.LBB17_2121:
	s_movk_i32 s4, 0x80
	v_cmp_eq_u16_sdwa s[12:13], v11, s4 src0_sel:BYTE_0 src1_sel:DWORD
	s_mov_b64 s[4:5], -1
                                        ; implicit-def: $sgpr10
	s_and_saveexec_b64 s[8:9], s[12:13]
; %bb.2122:
	s_mov_b32 s10, 0x7f800001
	s_xor_b64 s[4:5], exec, -1
; %bb.2123:
	s_or_b64 exec, exec, s[8:9]
	s_and_b64 s[4:5], s[4:5], exec
	s_or_saveexec_b64 s[6:7], s[6:7]
	v_mov_b32_e32 v10, s10
	s_xor_b64 exec, exec, s[6:7]
	s_cbranch_execz .LBB17_74
.LBB17_2124:
	v_mov_b32_e32 v10, 0
	v_cmp_ne_u16_sdwa s[8:9], v11, v10 src0_sel:BYTE_0 src1_sel:DWORD
	s_andn2_b64 s[4:5], s[4:5], exec
	s_and_b64 s[8:9], s[8:9], exec
	s_or_b64 s[4:5], s[4:5], s[8:9]
	s_or_b64 exec, exec, s[6:7]
	s_and_saveexec_b64 s[6:7], s[4:5]
	s_cbranch_execnz .LBB17_75
	s_branch .LBB17_76
.LBB17_2125:
	s_movk_i32 s4, 0x80
	v_cmp_eq_u16_sdwa s[12:13], v11, s4 src0_sel:BYTE_0 src1_sel:DWORD
	s_mov_b64 s[4:5], -1
                                        ; implicit-def: $sgpr10
	s_and_saveexec_b64 s[8:9], s[12:13]
; %bb.2126:
	s_mov_b32 s10, 0x7f800001
	s_xor_b64 s[4:5], exec, -1
; %bb.2127:
	s_or_b64 exec, exec, s[8:9]
	s_and_b64 s[4:5], s[4:5], exec
	s_or_saveexec_b64 s[6:7], s[6:7]
	v_mov_b32_e32 v14, s10
	s_xor_b64 exec, exec, s[6:7]
	s_cbranch_execz .LBB17_78
.LBB17_2128:
	v_mov_b32_e32 v14, 0
	v_cmp_ne_u16_sdwa s[8:9], v11, v14 src0_sel:BYTE_0 src1_sel:DWORD
	s_andn2_b64 s[4:5], s[4:5], exec
	s_and_b64 s[8:9], s[8:9], exec
	s_or_b64 s[4:5], s[4:5], s[8:9]
	s_or_b64 exec, exec, s[6:7]
	s_and_saveexec_b64 s[6:7], s[4:5]
	s_cbranch_execnz .LBB17_79
	s_branch .LBB17_80
.LBB17_2129:
	s_movk_i32 s4, 0x80
	v_cmp_eq_u16_e32 vcc, s4, v11
	s_mov_b64 s[4:5], -1
                                        ; implicit-def: $sgpr10
	s_and_saveexec_b64 s[8:9], vcc
; %bb.2130:
	s_mov_b32 s10, 0x7f800001
	s_xor_b64 s[4:5], exec, -1
; %bb.2131:
	s_or_b64 exec, exec, s[8:9]
	s_and_b64 s[4:5], s[4:5], exec
                                        ; implicit-def: $vgpr11
	s_or_saveexec_b64 s[6:7], s[6:7]
	v_mov_b32_e32 v10, s10
	s_xor_b64 exec, exec, s[6:7]
	s_cbranch_execz .LBB17_82
.LBB17_2132:
	v_cmp_ne_u16_e32 vcc, 0, v11
	s_andn2_b64 s[4:5], s[4:5], exec
	s_and_b64 s[8:9], vcc, exec
	v_mov_b32_e32 v10, 0
	s_or_b64 s[4:5], s[4:5], s[8:9]
	s_or_b64 exec, exec, s[6:7]
	s_and_saveexec_b64 s[6:7], s[4:5]
	s_cbranch_execnz .LBB17_83
	s_branch .LBB17_84
.LBB17_2133:
	s_movk_i32 s4, 0x80
	v_cmp_eq_u16_e32 vcc, s4, v11
	s_mov_b64 s[4:5], -1
                                        ; implicit-def: $sgpr10
	s_and_saveexec_b64 s[8:9], vcc
; %bb.2134:
	s_mov_b32 s10, 0x7f800001
	s_xor_b64 s[4:5], exec, -1
; %bb.2135:
	s_or_b64 exec, exec, s[8:9]
	s_and_b64 s[4:5], s[4:5], exec
                                        ; implicit-def: $vgpr11
	s_or_saveexec_b64 s[6:7], s[6:7]
	v_mov_b32_e32 v14, s10
	s_xor_b64 exec, exec, s[6:7]
	s_cbranch_execz .LBB17_86
.LBB17_2136:
	v_cmp_ne_u16_e32 vcc, 0, v11
	s_andn2_b64 s[4:5], s[4:5], exec
	s_and_b64 s[8:9], vcc, exec
	v_mov_b32_e32 v14, 0
	s_or_b64 s[4:5], s[4:5], s[8:9]
	s_or_b64 exec, exec, s[6:7]
	s_and_saveexec_b64 s[6:7], s[4:5]
	s_cbranch_execnz .LBB17_87
	s_branch .LBB17_88
.LBB17_2137:
	s_movk_i32 s4, 0x80
	v_cmp_eq_u16_sdwa s[12:13], v16, s4 src0_sel:BYTE_3 src1_sel:DWORD
	s_mov_b64 s[4:5], -1
                                        ; implicit-def: $sgpr10
	s_and_saveexec_b64 s[8:9], s[12:13]
; %bb.2138:
	s_mov_b32 s10, 0x7f800001
	s_xor_b64 s[4:5], exec, -1
; %bb.2139:
	s_or_b64 exec, exec, s[8:9]
	s_and_b64 s[4:5], s[4:5], exec
	s_or_saveexec_b64 s[6:7], s[6:7]
	v_mov_b32_e32 v10, s10
	s_xor_b64 exec, exec, s[6:7]
	s_cbranch_execz .LBB17_90
.LBB17_2140:
	v_mov_b32_e32 v10, 0
	v_cmp_ne_u16_sdwa s[8:9], v16, v10 src0_sel:BYTE_3 src1_sel:DWORD
	s_andn2_b64 s[4:5], s[4:5], exec
	s_and_b64 s[8:9], s[8:9], exec
	s_or_b64 s[4:5], s[4:5], s[8:9]
	s_or_b64 exec, exec, s[6:7]
	s_and_saveexec_b64 s[6:7], s[4:5]
	s_cbranch_execnz .LBB17_91
	s_branch .LBB17_92
.LBB17_2141:
	s_movk_i32 s4, 0x80
	v_cmp_eq_u16_sdwa s[12:13], v12, s4 src0_sel:BYTE_3 src1_sel:DWORD
	s_mov_b64 s[4:5], -1
                                        ; implicit-def: $sgpr10
	s_and_saveexec_b64 s[8:9], s[12:13]
; %bb.2142:
	s_mov_b32 s10, 0x7f800001
	s_xor_b64 s[4:5], exec, -1
; %bb.2143:
	s_or_b64 exec, exec, s[8:9]
	s_and_b64 s[4:5], s[4:5], exec
	s_or_saveexec_b64 s[6:7], s[6:7]
	v_mov_b32_e32 v11, s10
	s_xor_b64 exec, exec, s[6:7]
	s_cbranch_execz .LBB17_94
.LBB17_2144:
	v_mov_b32_e32 v11, 0
	v_cmp_ne_u16_sdwa s[8:9], v12, v11 src0_sel:BYTE_3 src1_sel:DWORD
	s_andn2_b64 s[4:5], s[4:5], exec
	s_and_b64 s[8:9], s[8:9], exec
	s_or_b64 s[4:5], s[4:5], s[8:9]
	s_or_b64 exec, exec, s[6:7]
	s_and_saveexec_b64 s[6:7], s[4:5]
	s_cbranch_execnz .LBB17_95
	s_branch .LBB17_96
.LBB17_2145:
	s_movk_i32 s4, 0x80
	v_cmp_eq_u16_sdwa s[12:13], v17, s4 src0_sel:BYTE_0 src1_sel:DWORD
	s_mov_b64 s[4:5], -1
                                        ; implicit-def: $sgpr10
	s_and_saveexec_b64 s[8:9], s[12:13]
; %bb.2146:
	s_mov_b32 s10, 0x7f800001
	s_xor_b64 s[4:5], exec, -1
; %bb.2147:
	s_or_b64 exec, exec, s[8:9]
	s_and_b64 s[4:5], s[4:5], exec
	s_or_saveexec_b64 s[6:7], s[6:7]
	v_mov_b32_e32 v10, s10
	s_xor_b64 exec, exec, s[6:7]
	s_cbranch_execz .LBB17_98
.LBB17_2148:
	v_mov_b32_e32 v10, 0
	v_cmp_ne_u16_sdwa s[8:9], v17, v10 src0_sel:BYTE_0 src1_sel:DWORD
	s_andn2_b64 s[4:5], s[4:5], exec
	s_and_b64 s[8:9], s[8:9], exec
	s_or_b64 s[4:5], s[4:5], s[8:9]
	s_or_b64 exec, exec, s[6:7]
	s_and_saveexec_b64 s[6:7], s[4:5]
	s_cbranch_execnz .LBB17_99
	s_branch .LBB17_100
.LBB17_2149:
	s_movk_i32 s4, 0x80
	v_cmp_eq_u16_sdwa s[12:13], v13, s4 src0_sel:BYTE_0 src1_sel:DWORD
	s_mov_b64 s[4:5], -1
                                        ; implicit-def: $sgpr10
	s_and_saveexec_b64 s[8:9], s[12:13]
; %bb.2150:
	s_mov_b32 s10, 0x7f800001
	s_xor_b64 s[4:5], exec, -1
; %bb.2151:
	s_or_b64 exec, exec, s[8:9]
	s_and_b64 s[4:5], s[4:5], exec
	s_or_saveexec_b64 s[6:7], s[6:7]
	v_mov_b32_e32 v11, s10
	s_xor_b64 exec, exec, s[6:7]
	s_cbranch_execz .LBB17_102
.LBB17_2152:
	v_mov_b32_e32 v11, 0
	v_cmp_ne_u16_sdwa s[8:9], v13, v11 src0_sel:BYTE_0 src1_sel:DWORD
	s_andn2_b64 s[4:5], s[4:5], exec
	s_and_b64 s[8:9], s[8:9], exec
	s_or_b64 s[4:5], s[4:5], s[8:9]
	s_or_b64 exec, exec, s[6:7]
	s_and_saveexec_b64 s[6:7], s[4:5]
	s_cbranch_execnz .LBB17_103
	s_branch .LBB17_104
.LBB17_2153:
	s_movk_i32 s4, 0x80
	v_cmp_eq_u16_sdwa s[12:13], v11, s4 src0_sel:BYTE_0 src1_sel:DWORD
	s_mov_b64 s[4:5], -1
                                        ; implicit-def: $sgpr10
	s_and_saveexec_b64 s[8:9], s[12:13]
; %bb.2154:
	s_mov_b32 s10, 0x7f800001
	s_xor_b64 s[4:5], exec, -1
; %bb.2155:
	s_or_b64 exec, exec, s[8:9]
	s_and_b64 s[4:5], s[4:5], exec
	s_or_saveexec_b64 s[6:7], s[6:7]
	v_mov_b32_e32 v10, s10
	s_xor_b64 exec, exec, s[6:7]
	s_cbranch_execz .LBB17_106
.LBB17_2156:
	v_mov_b32_e32 v10, 0
	v_cmp_ne_u16_sdwa s[8:9], v11, v10 src0_sel:BYTE_0 src1_sel:DWORD
	s_andn2_b64 s[4:5], s[4:5], exec
	s_and_b64 s[8:9], s[8:9], exec
	s_or_b64 s[4:5], s[4:5], s[8:9]
	s_or_b64 exec, exec, s[6:7]
	s_and_saveexec_b64 s[6:7], s[4:5]
	s_cbranch_execnz .LBB17_107
	s_branch .LBB17_108
.LBB17_2157:
	s_movk_i32 s4, 0x80
	v_cmp_eq_u16_sdwa s[12:13], v11, s4 src0_sel:BYTE_0 src1_sel:DWORD
	s_mov_b64 s[4:5], -1
                                        ; implicit-def: $sgpr10
	s_and_saveexec_b64 s[8:9], s[12:13]
; %bb.2158:
	s_mov_b32 s10, 0x7f800001
	s_xor_b64 s[4:5], exec, -1
; %bb.2159:
	s_or_b64 exec, exec, s[8:9]
	s_and_b64 s[4:5], s[4:5], exec
	s_or_saveexec_b64 s[6:7], s[6:7]
	v_mov_b32_e32 v12, s10
	s_xor_b64 exec, exec, s[6:7]
	s_cbranch_execz .LBB17_110
.LBB17_2160:
	v_mov_b32_e32 v12, 0
	v_cmp_ne_u16_sdwa s[8:9], v11, v12 src0_sel:BYTE_0 src1_sel:DWORD
	s_andn2_b64 s[4:5], s[4:5], exec
	s_and_b64 s[8:9], s[8:9], exec
	s_or_b64 s[4:5], s[4:5], s[8:9]
	s_or_b64 exec, exec, s[6:7]
	s_and_saveexec_b64 s[6:7], s[4:5]
	s_cbranch_execnz .LBB17_111
	s_branch .LBB17_112
.LBB17_2161:
	s_movk_i32 s4, 0x80
	v_cmp_eq_u16_e32 vcc, s4, v11
	s_mov_b64 s[4:5], -1
                                        ; implicit-def: $sgpr10
	s_and_saveexec_b64 s[8:9], vcc
; %bb.2162:
	s_mov_b32 s10, 0x7f800001
	s_xor_b64 s[4:5], exec, -1
; %bb.2163:
	s_or_b64 exec, exec, s[8:9]
	s_and_b64 s[4:5], s[4:5], exec
                                        ; implicit-def: $vgpr11
	s_or_saveexec_b64 s[6:7], s[6:7]
	v_mov_b32_e32 v10, s10
	s_xor_b64 exec, exec, s[6:7]
	s_cbranch_execz .LBB17_114
.LBB17_2164:
	v_cmp_ne_u16_e32 vcc, 0, v11
	s_andn2_b64 s[4:5], s[4:5], exec
	s_and_b64 s[8:9], vcc, exec
	v_mov_b32_e32 v10, 0
	s_or_b64 s[4:5], s[4:5], s[8:9]
	s_or_b64 exec, exec, s[6:7]
	s_and_saveexec_b64 s[6:7], s[4:5]
	s_cbranch_execnz .LBB17_115
	s_branch .LBB17_116
.LBB17_2165:
	s_movk_i32 s4, 0x80
	v_cmp_eq_u16_e32 vcc, s4, v11
	s_mov_b64 s[4:5], -1
                                        ; implicit-def: $sgpr10
	s_and_saveexec_b64 s[8:9], vcc
; %bb.2166:
	s_mov_b32 s10, 0x7f800001
	s_xor_b64 s[4:5], exec, -1
; %bb.2167:
	s_or_b64 exec, exec, s[8:9]
	s_and_b64 s[4:5], s[4:5], exec
                                        ; implicit-def: $vgpr11
	s_or_saveexec_b64 s[6:7], s[6:7]
	v_mov_b32_e32 v12, s10
	s_xor_b64 exec, exec, s[6:7]
	s_cbranch_execz .LBB17_118
.LBB17_2168:
	v_cmp_ne_u16_e32 vcc, 0, v11
	s_andn2_b64 s[4:5], s[4:5], exec
	s_and_b64 s[8:9], vcc, exec
	v_mov_b32_e32 v12, 0
	s_or_b64 s[4:5], s[4:5], s[8:9]
	s_or_b64 exec, exec, s[6:7]
	s_and_saveexec_b64 s[6:7], s[4:5]
	s_cbranch_execnz .LBB17_119
	s_branch .LBB17_120
.LBB17_2169:
	s_movk_i32 s4, 0x80
	v_cmp_eq_u16_sdwa s[12:13], v17, s4 src0_sel:BYTE_3 src1_sel:DWORD
	s_mov_b64 s[4:5], -1
                                        ; implicit-def: $sgpr10
	s_and_saveexec_b64 s[8:9], s[12:13]
; %bb.2170:
	s_mov_b32 s10, 0x7f800001
	s_xor_b64 s[4:5], exec, -1
; %bb.2171:
	s_or_b64 exec, exec, s[8:9]
	s_and_b64 s[4:5], s[4:5], exec
	s_or_saveexec_b64 s[6:7], s[6:7]
	v_mov_b32_e32 v10, s10
	s_xor_b64 exec, exec, s[6:7]
	s_cbranch_execz .LBB17_122
.LBB17_2172:
	v_mov_b32_e32 v10, 0
	v_cmp_ne_u16_sdwa s[8:9], v17, v10 src0_sel:BYTE_3 src1_sel:DWORD
	s_andn2_b64 s[4:5], s[4:5], exec
	s_and_b64 s[8:9], s[8:9], exec
	s_or_b64 s[4:5], s[4:5], s[8:9]
	s_or_b64 exec, exec, s[6:7]
	s_and_saveexec_b64 s[6:7], s[4:5]
	s_cbranch_execnz .LBB17_123
	s_branch .LBB17_124
.LBB17_2173:
	s_movk_i32 s4, 0x80
	v_cmp_eq_u16_sdwa s[12:13], v13, s4 src0_sel:BYTE_3 src1_sel:DWORD
	s_mov_b64 s[4:5], -1
                                        ; implicit-def: $sgpr10
	s_and_saveexec_b64 s[8:9], s[12:13]
; %bb.2174:
	s_mov_b32 s10, 0x7f800001
	s_xor_b64 s[4:5], exec, -1
; %bb.2175:
	s_or_b64 exec, exec, s[8:9]
	s_and_b64 s[4:5], s[4:5], exec
	s_or_saveexec_b64 s[6:7], s[6:7]
	v_mov_b32_e32 v11, s10
	s_xor_b64 exec, exec, s[6:7]
	s_cbranch_execz .LBB17_126
.LBB17_2176:
	v_mov_b32_e32 v11, 0
	v_cmp_ne_u16_sdwa s[8:9], v13, v11 src0_sel:BYTE_3 src1_sel:DWORD
	s_andn2_b64 s[4:5], s[4:5], exec
	s_and_b64 s[8:9], s[8:9], exec
	s_or_b64 s[4:5], s[4:5], s[8:9]
	s_or_b64 exec, exec, s[6:7]
	s_and_saveexec_b64 s[6:7], s[4:5]
	s_cbranch_execnz .LBB17_127
	s_branch .LBB17_128
.LBB17_2177:
	s_movk_i32 s4, 0x80
	v_cmp_eq_u16_sdwa s[12:13], v6, s4 src0_sel:BYTE_0 src1_sel:DWORD
	s_mov_b64 s[4:5], -1
                                        ; implicit-def: $sgpr10
	s_and_saveexec_b64 s[8:9], s[12:13]
; %bb.2178:
	s_mov_b32 s10, 0x7f800001
	s_xor_b64 s[4:5], exec, -1
; %bb.2179:
	s_or_b64 exec, exec, s[8:9]
	s_and_b64 s[4:5], s[4:5], exec
	s_or_saveexec_b64 s[6:7], s[6:7]
	v_mov_b32_e32 v10, s10
	s_xor_b64 exec, exec, s[6:7]
	s_cbranch_execz .LBB17_130
.LBB17_2180:
	v_mov_b32_e32 v10, 0
	v_cmp_ne_u16_sdwa s[8:9], v6, v10 src0_sel:BYTE_0 src1_sel:DWORD
	s_andn2_b64 s[4:5], s[4:5], exec
	s_and_b64 s[8:9], s[8:9], exec
	s_or_b64 s[4:5], s[4:5], s[8:9]
	s_or_b64 exec, exec, s[6:7]
	s_and_saveexec_b64 s[6:7], s[4:5]
	s_cbranch_execnz .LBB17_131
	s_branch .LBB17_132
.LBB17_2181:
	s_movk_i32 s4, 0x80
	v_cmp_eq_u16_sdwa s[12:13], v2, s4 src0_sel:BYTE_0 src1_sel:DWORD
	s_mov_b64 s[4:5], -1
                                        ; implicit-def: $sgpr10
	s_and_saveexec_b64 s[8:9], s[12:13]
; %bb.2182:
	s_mov_b32 s10, 0x7f800001
	s_xor_b64 s[4:5], exec, -1
; %bb.2183:
	s_or_b64 exec, exec, s[8:9]
	s_and_b64 s[4:5], s[4:5], exec
	s_or_saveexec_b64 s[6:7], s[6:7]
	v_mov_b32_e32 v11, s10
	s_xor_b64 exec, exec, s[6:7]
	s_cbranch_execz .LBB17_134
.LBB17_2184:
	v_mov_b32_e32 v11, 0
	v_cmp_ne_u16_sdwa s[8:9], v2, v11 src0_sel:BYTE_0 src1_sel:DWORD
	s_andn2_b64 s[4:5], s[4:5], exec
	s_and_b64 s[8:9], s[8:9], exec
	s_or_b64 s[4:5], s[4:5], s[8:9]
	s_or_b64 exec, exec, s[6:7]
	s_and_saveexec_b64 s[6:7], s[4:5]
	s_cbranch_execnz .LBB17_135
	s_branch .LBB17_136
.LBB17_2185:
	s_movk_i32 s4, 0x80
	v_cmp_eq_u16_sdwa s[12:13], v11, s4 src0_sel:BYTE_0 src1_sel:DWORD
	s_mov_b64 s[4:5], -1
                                        ; implicit-def: $sgpr10
	s_and_saveexec_b64 s[8:9], s[12:13]
; %bb.2186:
	s_mov_b32 s10, 0x7f800001
	s_xor_b64 s[4:5], exec, -1
; %bb.2187:
	s_or_b64 exec, exec, s[8:9]
	s_and_b64 s[4:5], s[4:5], exec
	s_or_saveexec_b64 s[6:7], s[6:7]
	v_mov_b32_e32 v10, s10
	s_xor_b64 exec, exec, s[6:7]
	s_cbranch_execz .LBB17_138
.LBB17_2188:
	v_mov_b32_e32 v10, 0
	v_cmp_ne_u16_sdwa s[8:9], v11, v10 src0_sel:BYTE_0 src1_sel:DWORD
	s_andn2_b64 s[4:5], s[4:5], exec
	s_and_b64 s[8:9], s[8:9], exec
	s_or_b64 s[4:5], s[4:5], s[8:9]
	s_or_b64 exec, exec, s[6:7]
	s_and_saveexec_b64 s[6:7], s[4:5]
	s_cbranch_execnz .LBB17_139
	s_branch .LBB17_140
.LBB17_2189:
	s_movk_i32 s4, 0x80
	v_cmp_eq_u16_sdwa s[12:13], v11, s4 src0_sel:BYTE_0 src1_sel:DWORD
	s_mov_b64 s[4:5], -1
                                        ; implicit-def: $sgpr10
	s_and_saveexec_b64 s[8:9], s[12:13]
; %bb.2190:
	s_mov_b32 s10, 0x7f800001
	s_xor_b64 s[4:5], exec, -1
; %bb.2191:
	s_or_b64 exec, exec, s[8:9]
	s_and_b64 s[4:5], s[4:5], exec
	s_or_saveexec_b64 s[6:7], s[6:7]
	v_mov_b32_e32 v12, s10
	s_xor_b64 exec, exec, s[6:7]
	s_cbranch_execz .LBB17_142
.LBB17_2192:
	v_mov_b32_e32 v12, 0
	v_cmp_ne_u16_sdwa s[8:9], v11, v12 src0_sel:BYTE_0 src1_sel:DWORD
	s_andn2_b64 s[4:5], s[4:5], exec
	s_and_b64 s[8:9], s[8:9], exec
	s_or_b64 s[4:5], s[4:5], s[8:9]
	s_or_b64 exec, exec, s[6:7]
	s_and_saveexec_b64 s[6:7], s[4:5]
	s_cbranch_execnz .LBB17_143
	s_branch .LBB17_144
.LBB17_2193:
	s_movk_i32 s4, 0x80
	v_cmp_eq_u16_e32 vcc, s4, v11
	s_mov_b64 s[4:5], -1
                                        ; implicit-def: $sgpr10
	s_and_saveexec_b64 s[8:9], vcc
; %bb.2194:
	s_mov_b32 s10, 0x7f800001
	s_xor_b64 s[4:5], exec, -1
; %bb.2195:
	s_or_b64 exec, exec, s[8:9]
	s_and_b64 s[4:5], s[4:5], exec
                                        ; implicit-def: $vgpr11
	s_or_saveexec_b64 s[6:7], s[6:7]
	v_mov_b32_e32 v10, s10
	s_xor_b64 exec, exec, s[6:7]
	s_cbranch_execz .LBB17_146
.LBB17_2196:
	v_cmp_ne_u16_e32 vcc, 0, v11
	s_andn2_b64 s[4:5], s[4:5], exec
	s_and_b64 s[8:9], vcc, exec
	v_mov_b32_e32 v10, 0
	s_or_b64 s[4:5], s[4:5], s[8:9]
	s_or_b64 exec, exec, s[6:7]
	s_and_saveexec_b64 s[6:7], s[4:5]
	s_cbranch_execnz .LBB17_147
	s_branch .LBB17_148
.LBB17_2197:
	s_movk_i32 s4, 0x80
	v_cmp_eq_u16_e32 vcc, s4, v11
	s_mov_b64 s[4:5], -1
                                        ; implicit-def: $sgpr10
	s_and_saveexec_b64 s[8:9], vcc
; %bb.2198:
	s_mov_b32 s10, 0x7f800001
	s_xor_b64 s[4:5], exec, -1
; %bb.2199:
	s_or_b64 exec, exec, s[8:9]
	s_and_b64 s[4:5], s[4:5], exec
                                        ; implicit-def: $vgpr11
	s_or_saveexec_b64 s[6:7], s[6:7]
	v_mov_b32_e32 v12, s10
	s_xor_b64 exec, exec, s[6:7]
	s_cbranch_execz .LBB17_150
.LBB17_2200:
	v_cmp_ne_u16_e32 vcc, 0, v11
	s_andn2_b64 s[4:5], s[4:5], exec
	s_and_b64 s[8:9], vcc, exec
	v_mov_b32_e32 v12, 0
	s_or_b64 s[4:5], s[4:5], s[8:9]
	s_or_b64 exec, exec, s[6:7]
	s_and_saveexec_b64 s[6:7], s[4:5]
	s_cbranch_execnz .LBB17_151
	s_branch .LBB17_152
.LBB17_2201:
	s_movk_i32 s4, 0x80
	v_cmp_eq_u16_sdwa s[12:13], v6, s4 src0_sel:BYTE_3 src1_sel:DWORD
	s_mov_b64 s[4:5], -1
                                        ; implicit-def: $sgpr10
	s_and_saveexec_b64 s[8:9], s[12:13]
; %bb.2202:
	s_mov_b32 s10, 0x7f800001
	s_xor_b64 s[4:5], exec, -1
; %bb.2203:
	s_or_b64 exec, exec, s[8:9]
	s_and_b64 s[4:5], s[4:5], exec
	s_or_saveexec_b64 s[6:7], s[6:7]
	v_mov_b32_e32 v10, s10
	s_xor_b64 exec, exec, s[6:7]
	s_cbranch_execz .LBB17_154
.LBB17_2204:
	v_mov_b32_e32 v10, 0
	v_cmp_ne_u16_sdwa s[8:9], v6, v10 src0_sel:BYTE_3 src1_sel:DWORD
	s_andn2_b64 s[4:5], s[4:5], exec
	s_and_b64 s[8:9], s[8:9], exec
	s_or_b64 s[4:5], s[4:5], s[8:9]
	s_or_b64 exec, exec, s[6:7]
	s_and_saveexec_b64 s[6:7], s[4:5]
	s_cbranch_execnz .LBB17_155
	s_branch .LBB17_156
.LBB17_2205:
	s_movk_i32 s4, 0x80
	v_cmp_eq_u16_sdwa s[12:13], v2, s4 src0_sel:BYTE_3 src1_sel:DWORD
	s_mov_b64 s[4:5], -1
                                        ; implicit-def: $sgpr10
	s_and_saveexec_b64 s[8:9], s[12:13]
; %bb.2206:
	s_mov_b32 s10, 0x7f800001
	s_xor_b64 s[4:5], exec, -1
; %bb.2207:
	s_or_b64 exec, exec, s[8:9]
	s_and_b64 s[4:5], s[4:5], exec
	s_or_saveexec_b64 s[6:7], s[6:7]
	v_mov_b32_e32 v6, s10
	s_xor_b64 exec, exec, s[6:7]
	s_cbranch_execz .LBB17_158
.LBB17_2208:
	v_mov_b32_e32 v6, 0
	v_cmp_ne_u16_sdwa s[8:9], v2, v6 src0_sel:BYTE_3 src1_sel:DWORD
	s_andn2_b64 s[4:5], s[4:5], exec
	s_and_b64 s[8:9], s[8:9], exec
	s_or_b64 s[4:5], s[4:5], s[8:9]
	s_or_b64 exec, exec, s[6:7]
	s_and_saveexec_b64 s[6:7], s[4:5]
	s_cbranch_execnz .LBB17_159
	s_branch .LBB17_160
.LBB17_2209:
	s_movk_i32 s4, 0x80
	v_cmp_eq_u16_sdwa s[12:13], v7, s4 src0_sel:BYTE_0 src1_sel:DWORD
	s_mov_b64 s[4:5], -1
                                        ; implicit-def: $sgpr10
	s_and_saveexec_b64 s[8:9], s[12:13]
; %bb.2210:
	s_mov_b32 s10, 0x7f800001
	s_xor_b64 s[4:5], exec, -1
; %bb.2211:
	s_or_b64 exec, exec, s[8:9]
	s_and_b64 s[4:5], s[4:5], exec
	s_or_saveexec_b64 s[6:7], s[6:7]
	v_mov_b32_e32 v2, s10
	s_xor_b64 exec, exec, s[6:7]
	s_cbranch_execz .LBB17_162
.LBB17_2212:
	v_mov_b32_e32 v2, 0
	v_cmp_ne_u16_sdwa s[8:9], v7, v2 src0_sel:BYTE_0 src1_sel:DWORD
	s_andn2_b64 s[4:5], s[4:5], exec
	s_and_b64 s[8:9], s[8:9], exec
	s_or_b64 s[4:5], s[4:5], s[8:9]
	s_or_b64 exec, exec, s[6:7]
	s_and_saveexec_b64 s[6:7], s[4:5]
	s_cbranch_execnz .LBB17_163
	s_branch .LBB17_164
.LBB17_2213:
	s_movk_i32 s4, 0x80
	v_cmp_eq_u16_sdwa s[12:13], v3, s4 src0_sel:BYTE_0 src1_sel:DWORD
	s_mov_b64 s[4:5], -1
                                        ; implicit-def: $sgpr10
	s_and_saveexec_b64 s[8:9], s[12:13]
; %bb.2214:
	s_mov_b32 s10, 0x7f800001
	s_xor_b64 s[4:5], exec, -1
; %bb.2215:
	s_or_b64 exec, exec, s[8:9]
	s_and_b64 s[4:5], s[4:5], exec
	s_or_saveexec_b64 s[6:7], s[6:7]
	v_mov_b32_e32 v6, s10
	s_xor_b64 exec, exec, s[6:7]
	s_cbranch_execz .LBB17_166
.LBB17_2216:
	v_mov_b32_e32 v6, 0
	v_cmp_ne_u16_sdwa s[8:9], v3, v6 src0_sel:BYTE_0 src1_sel:DWORD
	s_andn2_b64 s[4:5], s[4:5], exec
	s_and_b64 s[8:9], s[8:9], exec
	s_or_b64 s[4:5], s[4:5], s[8:9]
	s_or_b64 exec, exec, s[6:7]
	s_and_saveexec_b64 s[6:7], s[4:5]
	s_cbranch_execnz .LBB17_167
	s_branch .LBB17_168
.LBB17_2217:
	s_movk_i32 s4, 0x80
	v_cmp_eq_u16_sdwa s[12:13], v6, s4 src0_sel:BYTE_0 src1_sel:DWORD
	s_mov_b64 s[4:5], -1
                                        ; implicit-def: $sgpr10
	s_and_saveexec_b64 s[8:9], s[12:13]
; %bb.2218:
	s_mov_b32 s10, 0x7f800001
	s_xor_b64 s[4:5], exec, -1
; %bb.2219:
	s_or_b64 exec, exec, s[8:9]
	s_and_b64 s[4:5], s[4:5], exec
	s_or_saveexec_b64 s[6:7], s[6:7]
	v_mov_b32_e32 v2, s10
	s_xor_b64 exec, exec, s[6:7]
	s_cbranch_execz .LBB17_170
.LBB17_2220:
	v_mov_b32_e32 v2, 0
	v_cmp_ne_u16_sdwa s[8:9], v6, v2 src0_sel:BYTE_0 src1_sel:DWORD
	s_andn2_b64 s[4:5], s[4:5], exec
	s_and_b64 s[8:9], s[8:9], exec
	s_or_b64 s[4:5], s[4:5], s[8:9]
	s_or_b64 exec, exec, s[6:7]
	s_and_saveexec_b64 s[6:7], s[4:5]
	s_cbranch_execnz .LBB17_171
	s_branch .LBB17_172
.LBB17_2221:
	s_movk_i32 s4, 0x80
	v_cmp_eq_u16_sdwa s[12:13], v6, s4 src0_sel:BYTE_0 src1_sel:DWORD
	s_mov_b64 s[4:5], -1
                                        ; implicit-def: $sgpr10
	s_and_saveexec_b64 s[8:9], s[12:13]
; %bb.2222:
	s_mov_b32 s10, 0x7f800001
	s_xor_b64 s[4:5], exec, -1
; %bb.2223:
	s_or_b64 exec, exec, s[8:9]
	s_and_b64 s[4:5], s[4:5], exec
	s_or_saveexec_b64 s[6:7], s[6:7]
	v_mov_b32_e32 v10, s10
	s_xor_b64 exec, exec, s[6:7]
	s_cbranch_execz .LBB17_174
.LBB17_2224:
	v_mov_b32_e32 v10, 0
	v_cmp_ne_u16_sdwa s[8:9], v6, v10 src0_sel:BYTE_0 src1_sel:DWORD
	s_andn2_b64 s[4:5], s[4:5], exec
	s_and_b64 s[8:9], s[8:9], exec
	s_or_b64 s[4:5], s[4:5], s[8:9]
	s_or_b64 exec, exec, s[6:7]
	s_and_saveexec_b64 s[6:7], s[4:5]
	s_cbranch_execnz .LBB17_175
	s_branch .LBB17_176
.LBB17_2225:
	s_movk_i32 s4, 0x80
	v_cmp_eq_u16_e32 vcc, s4, v6
	s_mov_b64 s[4:5], -1
                                        ; implicit-def: $sgpr10
	s_and_saveexec_b64 s[8:9], vcc
; %bb.2226:
	s_mov_b32 s10, 0x7f800001
	s_xor_b64 s[4:5], exec, -1
; %bb.2227:
	s_or_b64 exec, exec, s[8:9]
	s_and_b64 s[4:5], s[4:5], exec
                                        ; implicit-def: $vgpr6
	s_or_saveexec_b64 s[6:7], s[6:7]
	v_mov_b32_e32 v2, s10
	s_xor_b64 exec, exec, s[6:7]
	s_cbranch_execz .LBB17_178
.LBB17_2228:
	v_cmp_ne_u16_e32 vcc, 0, v6
	s_andn2_b64 s[4:5], s[4:5], exec
	s_and_b64 s[8:9], vcc, exec
	v_mov_b32_e32 v2, 0
	s_or_b64 s[4:5], s[4:5], s[8:9]
	s_or_b64 exec, exec, s[6:7]
	s_and_saveexec_b64 s[6:7], s[4:5]
	s_cbranch_execnz .LBB17_179
	s_branch .LBB17_180
.LBB17_2229:
	s_movk_i32 s4, 0x80
	v_cmp_eq_u16_e32 vcc, s4, v6
	s_mov_b64 s[4:5], -1
                                        ; implicit-def: $sgpr10
	s_and_saveexec_b64 s[8:9], vcc
; %bb.2230:
	s_mov_b32 s10, 0x7f800001
	s_xor_b64 s[4:5], exec, -1
; %bb.2231:
	s_or_b64 exec, exec, s[8:9]
	s_and_b64 s[4:5], s[4:5], exec
                                        ; implicit-def: $vgpr6
	s_or_saveexec_b64 s[6:7], s[6:7]
	v_mov_b32_e32 v10, s10
	s_xor_b64 exec, exec, s[6:7]
	s_cbranch_execz .LBB17_182
.LBB17_2232:
	v_cmp_ne_u16_e32 vcc, 0, v6
	s_andn2_b64 s[4:5], s[4:5], exec
	s_and_b64 s[8:9], vcc, exec
	v_mov_b32_e32 v10, 0
	s_or_b64 s[4:5], s[4:5], s[8:9]
	s_or_b64 exec, exec, s[6:7]
	s_and_saveexec_b64 s[6:7], s[4:5]
	s_cbranch_execnz .LBB17_183
	s_branch .LBB17_184
.LBB17_2233:
	s_movk_i32 s4, 0x80
	v_cmp_eq_u16_sdwa s[12:13], v7, s4 src0_sel:BYTE_3 src1_sel:DWORD
	s_mov_b64 s[4:5], -1
                                        ; implicit-def: $sgpr10
	s_and_saveexec_b64 s[8:9], s[12:13]
; %bb.2234:
	s_mov_b32 s10, 0x7f800001
	s_xor_b64 s[4:5], exec, -1
; %bb.2235:
	s_or_b64 exec, exec, s[8:9]
	s_and_b64 s[4:5], s[4:5], exec
	s_or_saveexec_b64 s[6:7], s[6:7]
	v_mov_b32_e32 v2, s10
	s_xor_b64 exec, exec, s[6:7]
	s_cbranch_execz .LBB17_186
.LBB17_2236:
	v_mov_b32_e32 v2, 0
	v_cmp_ne_u16_sdwa s[8:9], v7, v2 src0_sel:BYTE_3 src1_sel:DWORD
	s_andn2_b64 s[4:5], s[4:5], exec
	s_and_b64 s[8:9], s[8:9], exec
	s_or_b64 s[4:5], s[4:5], s[8:9]
	s_or_b64 exec, exec, s[6:7]
	s_and_saveexec_b64 s[6:7], s[4:5]
	s_cbranch_execnz .LBB17_187
	s_branch .LBB17_188
.LBB17_2237:
	s_movk_i32 s4, 0x80
	v_cmp_eq_u16_sdwa s[12:13], v3, s4 src0_sel:BYTE_3 src1_sel:DWORD
	s_mov_b64 s[4:5], -1
                                        ; implicit-def: $sgpr10
	s_and_saveexec_b64 s[8:9], s[12:13]
; %bb.2238:
	s_mov_b32 s10, 0x7f800001
	s_xor_b64 s[4:5], exec, -1
; %bb.2239:
	s_or_b64 exec, exec, s[8:9]
	s_and_b64 s[4:5], s[4:5], exec
	s_or_saveexec_b64 s[6:7], s[6:7]
	v_mov_b32_e32 v6, s10
	s_xor_b64 exec, exec, s[6:7]
	s_cbranch_execz .LBB17_190
.LBB17_2240:
	v_mov_b32_e32 v6, 0
	v_cmp_ne_u16_sdwa s[8:9], v3, v6 src0_sel:BYTE_3 src1_sel:DWORD
	s_andn2_b64 s[4:5], s[4:5], exec
	s_and_b64 s[8:9], s[8:9], exec
	s_or_b64 s[4:5], s[4:5], s[8:9]
	s_or_b64 exec, exec, s[6:7]
	s_and_saveexec_b64 s[6:7], s[4:5]
	s_cbranch_execnz .LBB17_191
	s_branch .LBB17_192
.LBB17_2241:
	s_movk_i32 s4, 0x80
	v_cmp_eq_u16_sdwa s[12:13], v8, s4 src0_sel:BYTE_0 src1_sel:DWORD
	s_mov_b64 s[4:5], -1
                                        ; implicit-def: $sgpr10
	s_and_saveexec_b64 s[8:9], s[12:13]
; %bb.2242:
	s_mov_b32 s10, 0x7f800001
	s_xor_b64 s[4:5], exec, -1
; %bb.2243:
	s_or_b64 exec, exec, s[8:9]
	s_and_b64 s[4:5], s[4:5], exec
	s_or_saveexec_b64 s[6:7], s[6:7]
	v_mov_b32_e32 v2, s10
	s_xor_b64 exec, exec, s[6:7]
	s_cbranch_execz .LBB17_194
.LBB17_2244:
	v_mov_b32_e32 v2, 0
	v_cmp_ne_u16_sdwa s[8:9], v8, v2 src0_sel:BYTE_0 src1_sel:DWORD
	s_andn2_b64 s[4:5], s[4:5], exec
	s_and_b64 s[8:9], s[8:9], exec
	s_or_b64 s[4:5], s[4:5], s[8:9]
	s_or_b64 exec, exec, s[6:7]
	s_and_saveexec_b64 s[6:7], s[4:5]
	s_cbranch_execnz .LBB17_195
	s_branch .LBB17_196
.LBB17_2245:
	s_movk_i32 s4, 0x80
	v_cmp_eq_u16_sdwa s[12:13], v4, s4 src0_sel:BYTE_0 src1_sel:DWORD
	s_mov_b64 s[4:5], -1
                                        ; implicit-def: $sgpr10
	s_and_saveexec_b64 s[8:9], s[12:13]
; %bb.2246:
	s_mov_b32 s10, 0x7f800001
	s_xor_b64 s[4:5], exec, -1
; %bb.2247:
	s_or_b64 exec, exec, s[8:9]
	s_and_b64 s[4:5], s[4:5], exec
	s_or_saveexec_b64 s[6:7], s[6:7]
	v_mov_b32_e32 v3, s10
	s_xor_b64 exec, exec, s[6:7]
	s_cbranch_execz .LBB17_198
.LBB17_2248:
	v_mov_b32_e32 v3, 0
	v_cmp_ne_u16_sdwa s[8:9], v4, v3 src0_sel:BYTE_0 src1_sel:DWORD
	s_andn2_b64 s[4:5], s[4:5], exec
	s_and_b64 s[8:9], s[8:9], exec
	s_or_b64 s[4:5], s[4:5], s[8:9]
	s_or_b64 exec, exec, s[6:7]
	s_and_saveexec_b64 s[6:7], s[4:5]
	s_cbranch_execnz .LBB17_199
	s_branch .LBB17_200
.LBB17_2249:
	s_movk_i32 s4, 0x80
	v_cmp_eq_u16_sdwa s[12:13], v3, s4 src0_sel:BYTE_0 src1_sel:DWORD
	s_mov_b64 s[4:5], -1
                                        ; implicit-def: $sgpr10
	s_and_saveexec_b64 s[8:9], s[12:13]
; %bb.2250:
	s_mov_b32 s10, 0x7f800001
	s_xor_b64 s[4:5], exec, -1
; %bb.2251:
	s_or_b64 exec, exec, s[8:9]
	s_and_b64 s[4:5], s[4:5], exec
	s_or_saveexec_b64 s[6:7], s[6:7]
	v_mov_b32_e32 v2, s10
	s_xor_b64 exec, exec, s[6:7]
	s_cbranch_execz .LBB17_202
.LBB17_2252:
	v_mov_b32_e32 v2, 0
	v_cmp_ne_u16_sdwa s[8:9], v3, v2 src0_sel:BYTE_0 src1_sel:DWORD
	s_andn2_b64 s[4:5], s[4:5], exec
	s_and_b64 s[8:9], s[8:9], exec
	s_or_b64 s[4:5], s[4:5], s[8:9]
	s_or_b64 exec, exec, s[6:7]
	s_and_saveexec_b64 s[6:7], s[4:5]
	s_cbranch_execnz .LBB17_203
	s_branch .LBB17_204
.LBB17_2253:
	s_movk_i32 s4, 0x80
	v_cmp_eq_u16_sdwa s[12:13], v3, s4 src0_sel:BYTE_0 src1_sel:DWORD
	s_mov_b64 s[4:5], -1
                                        ; implicit-def: $sgpr10
	s_and_saveexec_b64 s[8:9], s[12:13]
; %bb.2254:
	s_mov_b32 s10, 0x7f800001
	s_xor_b64 s[4:5], exec, -1
; %bb.2255:
	s_or_b64 exec, exec, s[8:9]
	s_and_b64 s[4:5], s[4:5], exec
	s_or_saveexec_b64 s[6:7], s[6:7]
	v_mov_b32_e32 v6, s10
	s_xor_b64 exec, exec, s[6:7]
	s_cbranch_execz .LBB17_206
.LBB17_2256:
	v_mov_b32_e32 v6, 0
	v_cmp_ne_u16_sdwa s[8:9], v3, v6 src0_sel:BYTE_0 src1_sel:DWORD
	s_andn2_b64 s[4:5], s[4:5], exec
	s_and_b64 s[8:9], s[8:9], exec
	s_or_b64 s[4:5], s[4:5], s[8:9]
	s_or_b64 exec, exec, s[6:7]
	s_and_saveexec_b64 s[6:7], s[4:5]
	s_cbranch_execnz .LBB17_207
	s_branch .LBB17_208
.LBB17_2257:
	s_movk_i32 s4, 0x80
	v_cmp_eq_u16_e32 vcc, s4, v3
	s_mov_b64 s[4:5], -1
                                        ; implicit-def: $sgpr10
	s_and_saveexec_b64 s[8:9], vcc
; %bb.2258:
	s_mov_b32 s10, 0x7f800001
	s_xor_b64 s[4:5], exec, -1
; %bb.2259:
	s_or_b64 exec, exec, s[8:9]
	s_and_b64 s[4:5], s[4:5], exec
                                        ; implicit-def: $vgpr3
	s_or_saveexec_b64 s[6:7], s[6:7]
	v_mov_b32_e32 v2, s10
	s_xor_b64 exec, exec, s[6:7]
	s_cbranch_execz .LBB17_210
.LBB17_2260:
	v_cmp_ne_u16_e32 vcc, 0, v3
	s_andn2_b64 s[4:5], s[4:5], exec
	s_and_b64 s[8:9], vcc, exec
	v_mov_b32_e32 v2, 0
	s_or_b64 s[4:5], s[4:5], s[8:9]
	s_or_b64 exec, exec, s[6:7]
	s_and_saveexec_b64 s[6:7], s[4:5]
	s_cbranch_execnz .LBB17_211
	s_branch .LBB17_212
.LBB17_2261:
	s_movk_i32 s4, 0x80
	v_cmp_eq_u16_e32 vcc, s4, v3
	s_mov_b64 s[4:5], -1
                                        ; implicit-def: $sgpr10
	s_and_saveexec_b64 s[8:9], vcc
; %bb.2262:
	s_mov_b32 s10, 0x7f800001
	s_xor_b64 s[4:5], exec, -1
; %bb.2263:
	s_or_b64 exec, exec, s[8:9]
	s_and_b64 s[4:5], s[4:5], exec
                                        ; implicit-def: $vgpr3
	s_or_saveexec_b64 s[6:7], s[6:7]
	v_mov_b32_e32 v6, s10
	s_xor_b64 exec, exec, s[6:7]
	s_cbranch_execz .LBB17_214
.LBB17_2264:
	v_cmp_ne_u16_e32 vcc, 0, v3
	s_andn2_b64 s[4:5], s[4:5], exec
	s_and_b64 s[8:9], vcc, exec
	v_mov_b32_e32 v6, 0
	s_or_b64 s[4:5], s[4:5], s[8:9]
	s_or_b64 exec, exec, s[6:7]
	s_and_saveexec_b64 s[6:7], s[4:5]
	s_cbranch_execnz .LBB17_215
	s_branch .LBB17_216
.LBB17_2265:
	s_movk_i32 s4, 0x80
	v_cmp_eq_u16_sdwa s[12:13], v8, s4 src0_sel:BYTE_3 src1_sel:DWORD
	s_mov_b64 s[4:5], -1
                                        ; implicit-def: $sgpr10
	s_and_saveexec_b64 s[8:9], s[12:13]
; %bb.2266:
	s_mov_b32 s10, 0x7f800001
	s_xor_b64 s[4:5], exec, -1
; %bb.2267:
	s_or_b64 exec, exec, s[8:9]
	s_and_b64 s[4:5], s[4:5], exec
	s_or_saveexec_b64 s[6:7], s[6:7]
	v_mov_b32_e32 v2, s10
	s_xor_b64 exec, exec, s[6:7]
	s_cbranch_execz .LBB17_218
.LBB17_2268:
	v_mov_b32_e32 v2, 0
	v_cmp_ne_u16_sdwa s[8:9], v8, v2 src0_sel:BYTE_3 src1_sel:DWORD
	s_andn2_b64 s[4:5], s[4:5], exec
	s_and_b64 s[8:9], s[8:9], exec
	s_or_b64 s[4:5], s[4:5], s[8:9]
	s_or_b64 exec, exec, s[6:7]
	s_and_saveexec_b64 s[6:7], s[4:5]
	s_cbranch_execnz .LBB17_219
	s_branch .LBB17_220
.LBB17_2269:
	s_movk_i32 s4, 0x80
	v_cmp_eq_u16_sdwa s[12:13], v4, s4 src0_sel:BYTE_3 src1_sel:DWORD
	s_mov_b64 s[4:5], -1
                                        ; implicit-def: $sgpr10
	s_and_saveexec_b64 s[8:9], s[12:13]
; %bb.2270:
	s_mov_b32 s10, 0x7f800001
	s_xor_b64 s[4:5], exec, -1
; %bb.2271:
	s_or_b64 exec, exec, s[8:9]
	s_and_b64 s[4:5], s[4:5], exec
	s_or_saveexec_b64 s[6:7], s[6:7]
	v_mov_b32_e32 v3, s10
	s_xor_b64 exec, exec, s[6:7]
	s_cbranch_execz .LBB17_222
.LBB17_2272:
	v_mov_b32_e32 v3, 0
	v_cmp_ne_u16_sdwa s[8:9], v4, v3 src0_sel:BYTE_3 src1_sel:DWORD
	s_andn2_b64 s[4:5], s[4:5], exec
	s_and_b64 s[8:9], s[8:9], exec
	s_or_b64 s[4:5], s[4:5], s[8:9]
	s_or_b64 exec, exec, s[6:7]
	s_and_saveexec_b64 s[6:7], s[4:5]
	s_cbranch_execnz .LBB17_223
	s_branch .LBB17_224
.LBB17_2273:
	s_movk_i32 s4, 0x80
	v_cmp_eq_u16_sdwa s[12:13], v9, s4 src0_sel:BYTE_0 src1_sel:DWORD
	s_mov_b64 s[4:5], -1
                                        ; implicit-def: $sgpr10
	s_and_saveexec_b64 s[8:9], s[12:13]
; %bb.2274:
	s_mov_b32 s10, 0x7f800001
	s_xor_b64 s[4:5], exec, -1
; %bb.2275:
	s_or_b64 exec, exec, s[8:9]
	s_and_b64 s[4:5], s[4:5], exec
	s_or_saveexec_b64 s[6:7], s[6:7]
	v_mov_b32_e32 v2, s10
	s_xor_b64 exec, exec, s[6:7]
	s_cbranch_execz .LBB17_226
.LBB17_2276:
	v_mov_b32_e32 v2, 0
	v_cmp_ne_u16_sdwa s[8:9], v9, v2 src0_sel:BYTE_0 src1_sel:DWORD
	s_andn2_b64 s[4:5], s[4:5], exec
	s_and_b64 s[8:9], s[8:9], exec
	s_or_b64 s[4:5], s[4:5], s[8:9]
	s_or_b64 exec, exec, s[6:7]
	s_and_saveexec_b64 s[6:7], s[4:5]
	s_cbranch_execnz .LBB17_227
	s_branch .LBB17_228
.LBB17_2277:
	s_movk_i32 s4, 0x80
	v_cmp_eq_u16_sdwa s[12:13], v5, s4 src0_sel:BYTE_0 src1_sel:DWORD
	s_mov_b64 s[4:5], -1
                                        ; implicit-def: $sgpr10
	s_and_saveexec_b64 s[8:9], s[12:13]
; %bb.2278:
	s_mov_b32 s10, 0x7f800001
	s_xor_b64 s[4:5], exec, -1
; %bb.2279:
	s_or_b64 exec, exec, s[8:9]
	s_and_b64 s[4:5], s[4:5], exec
	s_or_saveexec_b64 s[6:7], s[6:7]
	v_mov_b32_e32 v3, s10
	s_xor_b64 exec, exec, s[6:7]
	s_cbranch_execz .LBB17_230
.LBB17_2280:
	v_mov_b32_e32 v3, 0
	v_cmp_ne_u16_sdwa s[8:9], v5, v3 src0_sel:BYTE_0 src1_sel:DWORD
	s_andn2_b64 s[4:5], s[4:5], exec
	s_and_b64 s[8:9], s[8:9], exec
	s_or_b64 s[4:5], s[4:5], s[8:9]
	s_or_b64 exec, exec, s[6:7]
	s_and_saveexec_b64 s[6:7], s[4:5]
	s_cbranch_execnz .LBB17_231
	s_branch .LBB17_232
.LBB17_2281:
	s_movk_i32 s4, 0x80
	v_cmp_eq_u16_sdwa s[12:13], v3, s4 src0_sel:BYTE_0 src1_sel:DWORD
	s_mov_b64 s[4:5], -1
                                        ; implicit-def: $sgpr10
	s_and_saveexec_b64 s[8:9], s[12:13]
; %bb.2282:
	s_mov_b32 s10, 0x7f800001
	s_xor_b64 s[4:5], exec, -1
; %bb.2283:
	s_or_b64 exec, exec, s[8:9]
	s_and_b64 s[4:5], s[4:5], exec
	s_or_saveexec_b64 s[6:7], s[6:7]
	v_mov_b32_e32 v2, s10
	s_xor_b64 exec, exec, s[6:7]
	s_cbranch_execz .LBB17_234
.LBB17_2284:
	v_mov_b32_e32 v2, 0
	v_cmp_ne_u16_sdwa s[8:9], v3, v2 src0_sel:BYTE_0 src1_sel:DWORD
	s_andn2_b64 s[4:5], s[4:5], exec
	s_and_b64 s[8:9], s[8:9], exec
	s_or_b64 s[4:5], s[4:5], s[8:9]
	s_or_b64 exec, exec, s[6:7]
	s_and_saveexec_b64 s[6:7], s[4:5]
	s_cbranch_execnz .LBB17_235
	s_branch .LBB17_236
.LBB17_2285:
	s_movk_i32 s4, 0x80
	v_cmp_eq_u16_sdwa s[12:13], v3, s4 src0_sel:BYTE_0 src1_sel:DWORD
	s_mov_b64 s[4:5], -1
                                        ; implicit-def: $sgpr10
	s_and_saveexec_b64 s[8:9], s[12:13]
; %bb.2286:
	s_mov_b32 s10, 0x7f800001
	s_xor_b64 s[4:5], exec, -1
; %bb.2287:
	s_or_b64 exec, exec, s[8:9]
	s_and_b64 s[4:5], s[4:5], exec
	s_or_saveexec_b64 s[6:7], s[6:7]
	v_mov_b32_e32 v4, s10
	s_xor_b64 exec, exec, s[6:7]
	s_cbranch_execz .LBB17_238
.LBB17_2288:
	v_mov_b32_e32 v4, 0
	v_cmp_ne_u16_sdwa s[8:9], v3, v4 src0_sel:BYTE_0 src1_sel:DWORD
	s_andn2_b64 s[4:5], s[4:5], exec
	s_and_b64 s[8:9], s[8:9], exec
	s_or_b64 s[4:5], s[4:5], s[8:9]
	s_or_b64 exec, exec, s[6:7]
	s_and_saveexec_b64 s[6:7], s[4:5]
	s_cbranch_execnz .LBB17_239
	s_branch .LBB17_240
.LBB17_2289:
	s_movk_i32 s4, 0x80
	v_cmp_eq_u16_e32 vcc, s4, v3
	s_mov_b64 s[4:5], -1
                                        ; implicit-def: $sgpr10
	s_and_saveexec_b64 s[8:9], vcc
; %bb.2290:
	s_mov_b32 s10, 0x7f800001
	s_xor_b64 s[4:5], exec, -1
; %bb.2291:
	s_or_b64 exec, exec, s[8:9]
	s_and_b64 s[4:5], s[4:5], exec
                                        ; implicit-def: $vgpr3
	s_or_saveexec_b64 s[6:7], s[6:7]
	v_mov_b32_e32 v2, s10
	s_xor_b64 exec, exec, s[6:7]
	s_cbranch_execz .LBB17_242
.LBB17_2292:
	v_cmp_ne_u16_e32 vcc, 0, v3
	s_andn2_b64 s[4:5], s[4:5], exec
	s_and_b64 s[8:9], vcc, exec
	v_mov_b32_e32 v2, 0
	s_or_b64 s[4:5], s[4:5], s[8:9]
	s_or_b64 exec, exec, s[6:7]
	s_and_saveexec_b64 s[6:7], s[4:5]
	s_cbranch_execnz .LBB17_243
	s_branch .LBB17_244
.LBB17_2293:
	s_movk_i32 s4, 0x80
	v_cmp_eq_u16_e32 vcc, s4, v3
	s_mov_b64 s[4:5], -1
                                        ; implicit-def: $sgpr10
	s_and_saveexec_b64 s[8:9], vcc
; %bb.2294:
	s_mov_b32 s10, 0x7f800001
	s_xor_b64 s[4:5], exec, -1
; %bb.2295:
	s_or_b64 exec, exec, s[8:9]
	s_and_b64 s[4:5], s[4:5], exec
                                        ; implicit-def: $vgpr3
	s_or_saveexec_b64 s[6:7], s[6:7]
	v_mov_b32_e32 v4, s10
	s_xor_b64 exec, exec, s[6:7]
	s_cbranch_execz .LBB17_246
.LBB17_2296:
	v_cmp_ne_u16_e32 vcc, 0, v3
	s_andn2_b64 s[4:5], s[4:5], exec
	s_and_b64 s[8:9], vcc, exec
	v_mov_b32_e32 v4, 0
	s_or_b64 s[4:5], s[4:5], s[8:9]
	s_or_b64 exec, exec, s[6:7]
	s_and_saveexec_b64 s[6:7], s[4:5]
	s_cbranch_execnz .LBB17_247
	s_branch .LBB17_248
.LBB17_2297:
	s_movk_i32 s4, 0x80
	v_cmp_eq_u16_sdwa s[12:13], v9, s4 src0_sel:BYTE_3 src1_sel:DWORD
	s_mov_b64 s[4:5], -1
                                        ; implicit-def: $sgpr10
	s_and_saveexec_b64 s[8:9], s[12:13]
; %bb.2298:
	s_mov_b32 s10, 0x7f800001
	s_xor_b64 s[4:5], exec, -1
; %bb.2299:
	s_or_b64 exec, exec, s[8:9]
	s_and_b64 s[4:5], s[4:5], exec
	s_or_saveexec_b64 s[6:7], s[6:7]
	v_mov_b32_e32 v2, s10
	s_xor_b64 exec, exec, s[6:7]
	s_cbranch_execz .LBB17_250
.LBB17_2300:
	v_mov_b32_e32 v2, 0
	v_cmp_ne_u16_sdwa s[8:9], v9, v2 src0_sel:BYTE_3 src1_sel:DWORD
	s_andn2_b64 s[4:5], s[4:5], exec
	s_and_b64 s[8:9], s[8:9], exec
	s_or_b64 s[4:5], s[4:5], s[8:9]
	s_or_b64 exec, exec, s[6:7]
	s_and_saveexec_b64 s[6:7], s[4:5]
	s_cbranch_execnz .LBB17_251
	s_branch .LBB17_252
.LBB17_2301:
	s_movk_i32 s4, 0x80
	v_cmp_eq_u16_sdwa s[12:13], v5, s4 src0_sel:BYTE_3 src1_sel:DWORD
	s_mov_b64 s[4:5], -1
                                        ; implicit-def: $sgpr10
	s_and_saveexec_b64 s[8:9], s[12:13]
; %bb.2302:
	s_mov_b32 s10, 0x7f800001
	s_xor_b64 s[4:5], exec, -1
; %bb.2303:
	s_or_b64 exec, exec, s[8:9]
	s_and_b64 s[4:5], s[4:5], exec
	s_or_saveexec_b64 s[6:7], s[6:7]
	v_mov_b32_e32 v3, s10
	s_xor_b64 exec, exec, s[6:7]
	s_cbranch_execz .LBB17_254
.LBB17_2304:
	v_mov_b32_e32 v3, 0
	v_cmp_ne_u16_sdwa s[8:9], v5, v3 src0_sel:BYTE_3 src1_sel:DWORD
	s_andn2_b64 s[4:5], s[4:5], exec
	s_and_b64 s[8:9], s[8:9], exec
	s_or_b64 s[4:5], s[4:5], s[8:9]
	s_or_b64 exec, exec, s[6:7]
	s_and_saveexec_b64 s[6:7], s[4:5]
	s_cbranch_execnz .LBB17_255
	s_branch .LBB17_256
.LBB17_2305:
	s_movk_i32 s4, 0x80
	v_cmp_eq_u16_sdwa s[12:13], v14, s4 src0_sel:BYTE_0 src1_sel:DWORD
	s_mov_b64 s[4:5], -1
                                        ; implicit-def: $sgpr10
	s_and_saveexec_b64 s[8:9], s[12:13]
; %bb.2306:
	s_mov_b32 s10, 0x7f800001
	s_xor_b64 s[4:5], exec, -1
; %bb.2307:
	s_or_b64 exec, exec, s[8:9]
	s_and_b64 s[4:5], s[4:5], exec
	s_or_saveexec_b64 s[6:7], s[6:7]
	v_mov_b32_e32 v20, s10
	s_xor_b64 exec, exec, s[6:7]
	s_cbranch_execz .LBB17_258
.LBB17_2308:
	v_mov_b32_e32 v20, 0
	v_cmp_ne_u16_sdwa s[8:9], v14, v20 src0_sel:BYTE_0 src1_sel:DWORD
	s_andn2_b64 s[4:5], s[4:5], exec
	s_and_b64 s[8:9], s[8:9], exec
	s_or_b64 s[4:5], s[4:5], s[8:9]
	s_or_b64 exec, exec, s[6:7]
	s_and_saveexec_b64 s[6:7], s[4:5]
	s_cbranch_execnz .LBB17_259
	s_branch .LBB17_260
.LBB17_2309:
	s_movk_i32 s4, 0x80
	v_cmp_eq_u16_sdwa s[12:13], v10, s4 src0_sel:BYTE_0 src1_sel:DWORD
	s_mov_b64 s[4:5], -1
                                        ; implicit-def: $sgpr10
	s_and_saveexec_b64 s[8:9], s[12:13]
; %bb.2310:
	s_mov_b32 s10, 0x7f800001
	s_xor_b64 s[4:5], exec, -1
; %bb.2311:
	s_or_b64 exec, exec, s[8:9]
	s_and_b64 s[4:5], s[4:5], exec
	s_or_saveexec_b64 s[6:7], s[6:7]
	v_mov_b32_e32 v21, s10
	s_xor_b64 exec, exec, s[6:7]
	s_cbranch_execz .LBB17_262
.LBB17_2312:
	v_mov_b32_e32 v21, 0
	v_cmp_ne_u16_sdwa s[8:9], v10, v21 src0_sel:BYTE_0 src1_sel:DWORD
	s_andn2_b64 s[4:5], s[4:5], exec
	s_and_b64 s[8:9], s[8:9], exec
	s_or_b64 s[4:5], s[4:5], s[8:9]
	s_or_b64 exec, exec, s[6:7]
	s_and_saveexec_b64 s[6:7], s[4:5]
	s_cbranch_execnz .LBB17_263
	s_branch .LBB17_264
.LBB17_2313:
	s_movk_i32 s4, 0x80
	v_cmp_eq_u16_sdwa s[12:13], v21, s4 src0_sel:BYTE_0 src1_sel:DWORD
	s_mov_b64 s[4:5], -1
                                        ; implicit-def: $sgpr10
	s_and_saveexec_b64 s[8:9], s[12:13]
; %bb.2314:
	s_mov_b32 s10, 0x7f800001
	s_xor_b64 s[4:5], exec, -1
; %bb.2315:
	s_or_b64 exec, exec, s[8:9]
	s_and_b64 s[4:5], s[4:5], exec
	s_or_saveexec_b64 s[6:7], s[6:7]
	v_mov_b32_e32 v20, s10
	s_xor_b64 exec, exec, s[6:7]
	s_cbranch_execz .LBB17_266
.LBB17_2316:
	v_mov_b32_e32 v20, 0
	v_cmp_ne_u16_sdwa s[8:9], v21, v20 src0_sel:BYTE_0 src1_sel:DWORD
	s_andn2_b64 s[4:5], s[4:5], exec
	s_and_b64 s[8:9], s[8:9], exec
	s_or_b64 s[4:5], s[4:5], s[8:9]
	s_or_b64 exec, exec, s[6:7]
	s_and_saveexec_b64 s[6:7], s[4:5]
	s_cbranch_execnz .LBB17_267
	s_branch .LBB17_268
.LBB17_2317:
	s_movk_i32 s4, 0x80
	v_cmp_eq_u16_sdwa s[12:13], v21, s4 src0_sel:BYTE_0 src1_sel:DWORD
	s_mov_b64 s[4:5], -1
                                        ; implicit-def: $sgpr10
	s_and_saveexec_b64 s[8:9], s[12:13]
; %bb.2318:
	s_mov_b32 s10, 0x7f800001
	s_xor_b64 s[4:5], exec, -1
; %bb.2319:
	s_or_b64 exec, exec, s[8:9]
	s_and_b64 s[4:5], s[4:5], exec
	s_or_saveexec_b64 s[6:7], s[6:7]
	v_mov_b32_e32 v22, s10
	s_xor_b64 exec, exec, s[6:7]
	s_cbranch_execz .LBB17_270
.LBB17_2320:
	v_mov_b32_e32 v22, 0
	v_cmp_ne_u16_sdwa s[8:9], v21, v22 src0_sel:BYTE_0 src1_sel:DWORD
	s_andn2_b64 s[4:5], s[4:5], exec
	s_and_b64 s[8:9], s[8:9], exec
	s_or_b64 s[4:5], s[4:5], s[8:9]
	s_or_b64 exec, exec, s[6:7]
	s_and_saveexec_b64 s[6:7], s[4:5]
	s_cbranch_execnz .LBB17_271
	s_branch .LBB17_272
.LBB17_2321:
	s_movk_i32 s4, 0x80
	v_cmp_eq_u16_e32 vcc, s4, v21
	s_mov_b64 s[4:5], -1
                                        ; implicit-def: $sgpr10
	s_and_saveexec_b64 s[8:9], vcc
; %bb.2322:
	s_mov_b32 s10, 0x7f800001
	s_xor_b64 s[4:5], exec, -1
; %bb.2323:
	s_or_b64 exec, exec, s[8:9]
	s_and_b64 s[4:5], s[4:5], exec
                                        ; implicit-def: $vgpr21
	s_or_saveexec_b64 s[6:7], s[6:7]
	v_mov_b32_e32 v20, s10
	s_xor_b64 exec, exec, s[6:7]
	s_cbranch_execz .LBB17_274
.LBB17_2324:
	v_cmp_ne_u16_e32 vcc, 0, v21
	s_andn2_b64 s[4:5], s[4:5], exec
	s_and_b64 s[8:9], vcc, exec
	v_mov_b32_e32 v20, 0
	s_or_b64 s[4:5], s[4:5], s[8:9]
	s_or_b64 exec, exec, s[6:7]
	s_and_saveexec_b64 s[6:7], s[4:5]
	s_cbranch_execnz .LBB17_275
	s_branch .LBB17_276
.LBB17_2325:
	s_movk_i32 s4, 0x80
	v_cmp_eq_u16_e32 vcc, s4, v21
	s_mov_b64 s[4:5], -1
                                        ; implicit-def: $sgpr10
	s_and_saveexec_b64 s[8:9], vcc
; %bb.2326:
	s_mov_b32 s10, 0x7f800001
	s_xor_b64 s[4:5], exec, -1
; %bb.2327:
	s_or_b64 exec, exec, s[8:9]
	s_and_b64 s[4:5], s[4:5], exec
                                        ; implicit-def: $vgpr21
	s_or_saveexec_b64 s[6:7], s[6:7]
	v_mov_b32_e32 v22, s10
	s_xor_b64 exec, exec, s[6:7]
	s_cbranch_execz .LBB17_278
.LBB17_2328:
	v_cmp_ne_u16_e32 vcc, 0, v21
	s_andn2_b64 s[4:5], s[4:5], exec
	s_and_b64 s[8:9], vcc, exec
	v_mov_b32_e32 v22, 0
	s_or_b64 s[4:5], s[4:5], s[8:9]
	s_or_b64 exec, exec, s[6:7]
	s_and_saveexec_b64 s[6:7], s[4:5]
	s_cbranch_execnz .LBB17_279
	s_branch .LBB17_280
.LBB17_2329:
	s_movk_i32 s4, 0x80
	v_cmp_eq_u16_sdwa s[12:13], v14, s4 src0_sel:BYTE_3 src1_sel:DWORD
	s_mov_b64 s[4:5], -1
                                        ; implicit-def: $sgpr10
	s_and_saveexec_b64 s[8:9], s[12:13]
; %bb.2330:
	s_mov_b32 s10, 0x7f800001
	s_xor_b64 s[4:5], exec, -1
; %bb.2331:
	s_or_b64 exec, exec, s[8:9]
	s_and_b64 s[4:5], s[4:5], exec
	s_or_saveexec_b64 s[6:7], s[6:7]
	v_mov_b32_e32 v20, s10
	s_xor_b64 exec, exec, s[6:7]
	s_cbranch_execz .LBB17_282
.LBB17_2332:
	v_mov_b32_e32 v20, 0
	v_cmp_ne_u16_sdwa s[8:9], v14, v20 src0_sel:BYTE_3 src1_sel:DWORD
	s_andn2_b64 s[4:5], s[4:5], exec
	s_and_b64 s[8:9], s[8:9], exec
	s_or_b64 s[4:5], s[4:5], s[8:9]
	s_or_b64 exec, exec, s[6:7]
	s_and_saveexec_b64 s[6:7], s[4:5]
	s_cbranch_execnz .LBB17_283
	s_branch .LBB17_284
.LBB17_2333:
	s_movk_i32 s4, 0x80
	v_cmp_eq_u16_sdwa s[12:13], v10, s4 src0_sel:BYTE_3 src1_sel:DWORD
	s_mov_b64 s[4:5], -1
                                        ; implicit-def: $sgpr10
	s_and_saveexec_b64 s[8:9], s[12:13]
; %bb.2334:
	s_mov_b32 s10, 0x7f800001
	s_xor_b64 s[4:5], exec, -1
; %bb.2335:
	s_or_b64 exec, exec, s[8:9]
	s_and_b64 s[4:5], s[4:5], exec
	s_or_saveexec_b64 s[6:7], s[6:7]
	v_mov_b32_e32 v14, s10
	s_xor_b64 exec, exec, s[6:7]
	s_cbranch_execz .LBB17_286
.LBB17_2336:
	v_mov_b32_e32 v14, 0
	v_cmp_ne_u16_sdwa s[8:9], v10, v14 src0_sel:BYTE_3 src1_sel:DWORD
	s_andn2_b64 s[4:5], s[4:5], exec
	s_and_b64 s[8:9], s[8:9], exec
	s_or_b64 s[4:5], s[4:5], s[8:9]
	s_or_b64 exec, exec, s[6:7]
	s_and_saveexec_b64 s[6:7], s[4:5]
	s_cbranch_execnz .LBB17_287
	s_branch .LBB17_288
.LBB17_2337:
	s_movk_i32 s4, 0x80
	v_cmp_eq_u16_sdwa s[12:13], v15, s4 src0_sel:BYTE_0 src1_sel:DWORD
	s_mov_b64 s[4:5], -1
                                        ; implicit-def: $sgpr10
	s_and_saveexec_b64 s[8:9], s[12:13]
; %bb.2338:
	s_mov_b32 s10, 0x7f800001
	s_xor_b64 s[4:5], exec, -1
; %bb.2339:
	s_or_b64 exec, exec, s[8:9]
	s_and_b64 s[4:5], s[4:5], exec
	s_or_saveexec_b64 s[6:7], s[6:7]
	v_mov_b32_e32 v10, s10
	s_xor_b64 exec, exec, s[6:7]
	s_cbranch_execz .LBB17_290
.LBB17_2340:
	v_mov_b32_e32 v10, 0
	v_cmp_ne_u16_sdwa s[8:9], v15, v10 src0_sel:BYTE_0 src1_sel:DWORD
	s_andn2_b64 s[4:5], s[4:5], exec
	s_and_b64 s[8:9], s[8:9], exec
	s_or_b64 s[4:5], s[4:5], s[8:9]
	s_or_b64 exec, exec, s[6:7]
	s_and_saveexec_b64 s[6:7], s[4:5]
	s_cbranch_execnz .LBB17_291
	s_branch .LBB17_292
.LBB17_2341:
	s_movk_i32 s4, 0x80
	v_cmp_eq_u16_sdwa s[12:13], v11, s4 src0_sel:BYTE_0 src1_sel:DWORD
	s_mov_b64 s[4:5], -1
                                        ; implicit-def: $sgpr10
	s_and_saveexec_b64 s[8:9], s[12:13]
; %bb.2342:
	s_mov_b32 s10, 0x7f800001
	s_xor_b64 s[4:5], exec, -1
; %bb.2343:
	s_or_b64 exec, exec, s[8:9]
	s_and_b64 s[4:5], s[4:5], exec
	s_or_saveexec_b64 s[6:7], s[6:7]
	v_mov_b32_e32 v14, s10
	s_xor_b64 exec, exec, s[6:7]
	s_cbranch_execz .LBB17_294
.LBB17_2344:
	v_mov_b32_e32 v14, 0
	v_cmp_ne_u16_sdwa s[8:9], v11, v14 src0_sel:BYTE_0 src1_sel:DWORD
	s_andn2_b64 s[4:5], s[4:5], exec
	s_and_b64 s[8:9], s[8:9], exec
	s_or_b64 s[4:5], s[4:5], s[8:9]
	s_or_b64 exec, exec, s[6:7]
	s_and_saveexec_b64 s[6:7], s[4:5]
	s_cbranch_execnz .LBB17_295
	s_branch .LBB17_296
.LBB17_2345:
	s_movk_i32 s4, 0x80
	v_cmp_eq_u16_sdwa s[12:13], v14, s4 src0_sel:BYTE_0 src1_sel:DWORD
	s_mov_b64 s[4:5], -1
                                        ; implicit-def: $sgpr10
	s_and_saveexec_b64 s[8:9], s[12:13]
; %bb.2346:
	s_mov_b32 s10, 0x7f800001
	s_xor_b64 s[4:5], exec, -1
; %bb.2347:
	s_or_b64 exec, exec, s[8:9]
	s_and_b64 s[4:5], s[4:5], exec
	s_or_saveexec_b64 s[6:7], s[6:7]
	v_mov_b32_e32 v10, s10
	s_xor_b64 exec, exec, s[6:7]
	s_cbranch_execz .LBB17_298
.LBB17_2348:
	v_mov_b32_e32 v10, 0
	v_cmp_ne_u16_sdwa s[8:9], v14, v10 src0_sel:BYTE_0 src1_sel:DWORD
	s_andn2_b64 s[4:5], s[4:5], exec
	s_and_b64 s[8:9], s[8:9], exec
	s_or_b64 s[4:5], s[4:5], s[8:9]
	s_or_b64 exec, exec, s[6:7]
	s_and_saveexec_b64 s[6:7], s[4:5]
	s_cbranch_execnz .LBB17_299
	s_branch .LBB17_300
.LBB17_2349:
	s_movk_i32 s4, 0x80
	v_cmp_eq_u16_sdwa s[12:13], v14, s4 src0_sel:BYTE_0 src1_sel:DWORD
	s_mov_b64 s[4:5], -1
                                        ; implicit-def: $sgpr10
	s_and_saveexec_b64 s[8:9], s[12:13]
; %bb.2350:
	s_mov_b32 s10, 0x7f800001
	s_xor_b64 s[4:5], exec, -1
; %bb.2351:
	s_or_b64 exec, exec, s[8:9]
	s_and_b64 s[4:5], s[4:5], exec
	s_or_saveexec_b64 s[6:7], s[6:7]
	v_mov_b32_e32 v20, s10
	s_xor_b64 exec, exec, s[6:7]
	s_cbranch_execz .LBB17_302
.LBB17_2352:
	v_mov_b32_e32 v20, 0
	v_cmp_ne_u16_sdwa s[8:9], v14, v20 src0_sel:BYTE_0 src1_sel:DWORD
	s_andn2_b64 s[4:5], s[4:5], exec
	s_and_b64 s[8:9], s[8:9], exec
	s_or_b64 s[4:5], s[4:5], s[8:9]
	s_or_b64 exec, exec, s[6:7]
	s_and_saveexec_b64 s[6:7], s[4:5]
	s_cbranch_execnz .LBB17_303
	s_branch .LBB17_304
.LBB17_2353:
	s_movk_i32 s4, 0x80
	v_cmp_eq_u16_e32 vcc, s4, v14
	s_mov_b64 s[4:5], -1
                                        ; implicit-def: $sgpr10
	s_and_saveexec_b64 s[8:9], vcc
; %bb.2354:
	s_mov_b32 s10, 0x7f800001
	s_xor_b64 s[4:5], exec, -1
; %bb.2355:
	s_or_b64 exec, exec, s[8:9]
	s_and_b64 s[4:5], s[4:5], exec
                                        ; implicit-def: $vgpr14
	s_or_saveexec_b64 s[6:7], s[6:7]
	v_mov_b32_e32 v10, s10
	s_xor_b64 exec, exec, s[6:7]
	s_cbranch_execz .LBB17_306
.LBB17_2356:
	v_cmp_ne_u16_e32 vcc, 0, v14
	s_andn2_b64 s[4:5], s[4:5], exec
	s_and_b64 s[8:9], vcc, exec
	v_mov_b32_e32 v10, 0
	s_or_b64 s[4:5], s[4:5], s[8:9]
	s_or_b64 exec, exec, s[6:7]
	s_and_saveexec_b64 s[6:7], s[4:5]
	s_cbranch_execnz .LBB17_307
	s_branch .LBB17_308
.LBB17_2357:
	s_movk_i32 s4, 0x80
	v_cmp_eq_u16_e32 vcc, s4, v14
	s_mov_b64 s[4:5], -1
                                        ; implicit-def: $sgpr10
	s_and_saveexec_b64 s[8:9], vcc
; %bb.2358:
	s_mov_b32 s10, 0x7f800001
	s_xor_b64 s[4:5], exec, -1
; %bb.2359:
	s_or_b64 exec, exec, s[8:9]
	s_and_b64 s[4:5], s[4:5], exec
                                        ; implicit-def: $vgpr14
	s_or_saveexec_b64 s[6:7], s[6:7]
	v_mov_b32_e32 v20, s10
	s_xor_b64 exec, exec, s[6:7]
	s_cbranch_execz .LBB17_310
.LBB17_2360:
	v_cmp_ne_u16_e32 vcc, 0, v14
	s_andn2_b64 s[4:5], s[4:5], exec
	s_and_b64 s[8:9], vcc, exec
	v_mov_b32_e32 v20, 0
	s_or_b64 s[4:5], s[4:5], s[8:9]
	s_or_b64 exec, exec, s[6:7]
	s_and_saveexec_b64 s[6:7], s[4:5]
	s_cbranch_execnz .LBB17_311
	s_branch .LBB17_312
.LBB17_2361:
	s_movk_i32 s4, 0x80
	v_cmp_eq_u16_sdwa s[12:13], v15, s4 src0_sel:BYTE_3 src1_sel:DWORD
	s_mov_b64 s[4:5], -1
                                        ; implicit-def: $sgpr10
	s_and_saveexec_b64 s[8:9], s[12:13]
; %bb.2362:
	s_mov_b32 s10, 0x7f800001
	s_xor_b64 s[4:5], exec, -1
; %bb.2363:
	s_or_b64 exec, exec, s[8:9]
	s_and_b64 s[4:5], s[4:5], exec
	s_or_saveexec_b64 s[6:7], s[6:7]
	v_mov_b32_e32 v10, s10
	s_xor_b64 exec, exec, s[6:7]
	s_cbranch_execz .LBB17_314
.LBB17_2364:
	v_mov_b32_e32 v10, 0
	v_cmp_ne_u16_sdwa s[8:9], v15, v10 src0_sel:BYTE_3 src1_sel:DWORD
	s_andn2_b64 s[4:5], s[4:5], exec
	s_and_b64 s[8:9], s[8:9], exec
	s_or_b64 s[4:5], s[4:5], s[8:9]
	s_or_b64 exec, exec, s[6:7]
	s_and_saveexec_b64 s[6:7], s[4:5]
	s_cbranch_execnz .LBB17_315
	s_branch .LBB17_316
.LBB17_2365:
	s_movk_i32 s4, 0x80
	v_cmp_eq_u16_sdwa s[12:13], v11, s4 src0_sel:BYTE_3 src1_sel:DWORD
	s_mov_b64 s[4:5], -1
                                        ; implicit-def: $sgpr10
	s_and_saveexec_b64 s[8:9], s[12:13]
; %bb.2366:
	s_mov_b32 s10, 0x7f800001
	s_xor_b64 s[4:5], exec, -1
; %bb.2367:
	s_or_b64 exec, exec, s[8:9]
	s_and_b64 s[4:5], s[4:5], exec
	s_or_saveexec_b64 s[6:7], s[6:7]
	v_mov_b32_e32 v14, s10
	s_xor_b64 exec, exec, s[6:7]
	s_cbranch_execz .LBB17_318
.LBB17_2368:
	v_mov_b32_e32 v14, 0
	v_cmp_ne_u16_sdwa s[8:9], v11, v14 src0_sel:BYTE_3 src1_sel:DWORD
	s_andn2_b64 s[4:5], s[4:5], exec
	s_and_b64 s[8:9], s[8:9], exec
	s_or_b64 s[4:5], s[4:5], s[8:9]
	s_or_b64 exec, exec, s[6:7]
	s_and_saveexec_b64 s[6:7], s[4:5]
	s_cbranch_execnz .LBB17_319
	s_branch .LBB17_320
.LBB17_2369:
	s_movk_i32 s4, 0x80
	v_cmp_eq_u16_sdwa s[12:13], v16, s4 src0_sel:BYTE_0 src1_sel:DWORD
	s_mov_b64 s[4:5], -1
                                        ; implicit-def: $sgpr10
	s_and_saveexec_b64 s[8:9], s[12:13]
; %bb.2370:
	s_mov_b32 s10, 0x7f800001
	s_xor_b64 s[4:5], exec, -1
; %bb.2371:
	s_or_b64 exec, exec, s[8:9]
	s_and_b64 s[4:5], s[4:5], exec
	s_or_saveexec_b64 s[6:7], s[6:7]
	v_mov_b32_e32 v10, s10
	s_xor_b64 exec, exec, s[6:7]
	s_cbranch_execz .LBB17_322
.LBB17_2372:
	v_mov_b32_e32 v10, 0
	v_cmp_ne_u16_sdwa s[8:9], v16, v10 src0_sel:BYTE_0 src1_sel:DWORD
	s_andn2_b64 s[4:5], s[4:5], exec
	s_and_b64 s[8:9], s[8:9], exec
	s_or_b64 s[4:5], s[4:5], s[8:9]
	s_or_b64 exec, exec, s[6:7]
	s_and_saveexec_b64 s[6:7], s[4:5]
	s_cbranch_execnz .LBB17_323
	s_branch .LBB17_324
.LBB17_2373:
	s_movk_i32 s4, 0x80
	v_cmp_eq_u16_sdwa s[12:13], v12, s4 src0_sel:BYTE_0 src1_sel:DWORD
	s_mov_b64 s[4:5], -1
                                        ; implicit-def: $sgpr10
	s_and_saveexec_b64 s[8:9], s[12:13]
; %bb.2374:
	s_mov_b32 s10, 0x7f800001
	s_xor_b64 s[4:5], exec, -1
; %bb.2375:
	s_or_b64 exec, exec, s[8:9]
	s_and_b64 s[4:5], s[4:5], exec
	s_or_saveexec_b64 s[6:7], s[6:7]
	v_mov_b32_e32 v11, s10
	s_xor_b64 exec, exec, s[6:7]
	s_cbranch_execz .LBB17_326
.LBB17_2376:
	v_mov_b32_e32 v11, 0
	v_cmp_ne_u16_sdwa s[8:9], v12, v11 src0_sel:BYTE_0 src1_sel:DWORD
	s_andn2_b64 s[4:5], s[4:5], exec
	s_and_b64 s[8:9], s[8:9], exec
	s_or_b64 s[4:5], s[4:5], s[8:9]
	s_or_b64 exec, exec, s[6:7]
	s_and_saveexec_b64 s[6:7], s[4:5]
	s_cbranch_execnz .LBB17_327
	s_branch .LBB17_328
.LBB17_2377:
	s_movk_i32 s4, 0x80
	v_cmp_eq_u16_sdwa s[12:13], v11, s4 src0_sel:BYTE_0 src1_sel:DWORD
	s_mov_b64 s[4:5], -1
                                        ; implicit-def: $sgpr10
	s_and_saveexec_b64 s[8:9], s[12:13]
; %bb.2378:
	s_mov_b32 s10, 0x7f800001
	s_xor_b64 s[4:5], exec, -1
; %bb.2379:
	s_or_b64 exec, exec, s[8:9]
	s_and_b64 s[4:5], s[4:5], exec
	s_or_saveexec_b64 s[6:7], s[6:7]
	v_mov_b32_e32 v10, s10
	s_xor_b64 exec, exec, s[6:7]
	s_cbranch_execz .LBB17_330
.LBB17_2380:
	v_mov_b32_e32 v10, 0
	v_cmp_ne_u16_sdwa s[8:9], v11, v10 src0_sel:BYTE_0 src1_sel:DWORD
	s_andn2_b64 s[4:5], s[4:5], exec
	s_and_b64 s[8:9], s[8:9], exec
	s_or_b64 s[4:5], s[4:5], s[8:9]
	s_or_b64 exec, exec, s[6:7]
	s_and_saveexec_b64 s[6:7], s[4:5]
	s_cbranch_execnz .LBB17_331
	s_branch .LBB17_332
.LBB17_2381:
	s_movk_i32 s4, 0x80
	v_cmp_eq_u16_sdwa s[12:13], v11, s4 src0_sel:BYTE_0 src1_sel:DWORD
	s_mov_b64 s[4:5], -1
                                        ; implicit-def: $sgpr10
	s_and_saveexec_b64 s[8:9], s[12:13]
; %bb.2382:
	s_mov_b32 s10, 0x7f800001
	s_xor_b64 s[4:5], exec, -1
; %bb.2383:
	s_or_b64 exec, exec, s[8:9]
	s_and_b64 s[4:5], s[4:5], exec
	s_or_saveexec_b64 s[6:7], s[6:7]
	v_mov_b32_e32 v14, s10
	s_xor_b64 exec, exec, s[6:7]
	s_cbranch_execz .LBB17_334
.LBB17_2384:
	v_mov_b32_e32 v14, 0
	v_cmp_ne_u16_sdwa s[8:9], v11, v14 src0_sel:BYTE_0 src1_sel:DWORD
	s_andn2_b64 s[4:5], s[4:5], exec
	s_and_b64 s[8:9], s[8:9], exec
	s_or_b64 s[4:5], s[4:5], s[8:9]
	s_or_b64 exec, exec, s[6:7]
	s_and_saveexec_b64 s[6:7], s[4:5]
	s_cbranch_execnz .LBB17_335
	s_branch .LBB17_336
.LBB17_2385:
	s_movk_i32 s4, 0x80
	v_cmp_eq_u16_e32 vcc, s4, v11
	s_mov_b64 s[4:5], -1
                                        ; implicit-def: $sgpr10
	s_and_saveexec_b64 s[8:9], vcc
; %bb.2386:
	s_mov_b32 s10, 0x7f800001
	s_xor_b64 s[4:5], exec, -1
; %bb.2387:
	s_or_b64 exec, exec, s[8:9]
	s_and_b64 s[4:5], s[4:5], exec
                                        ; implicit-def: $vgpr11
	s_or_saveexec_b64 s[6:7], s[6:7]
	v_mov_b32_e32 v10, s10
	s_xor_b64 exec, exec, s[6:7]
	s_cbranch_execz .LBB17_338
.LBB17_2388:
	v_cmp_ne_u16_e32 vcc, 0, v11
	s_andn2_b64 s[4:5], s[4:5], exec
	s_and_b64 s[8:9], vcc, exec
	v_mov_b32_e32 v10, 0
	s_or_b64 s[4:5], s[4:5], s[8:9]
	s_or_b64 exec, exec, s[6:7]
	s_and_saveexec_b64 s[6:7], s[4:5]
	s_cbranch_execnz .LBB17_339
	s_branch .LBB17_340
.LBB17_2389:
	s_movk_i32 s4, 0x80
	v_cmp_eq_u16_e32 vcc, s4, v11
	s_mov_b64 s[4:5], -1
                                        ; implicit-def: $sgpr10
	s_and_saveexec_b64 s[8:9], vcc
; %bb.2390:
	s_mov_b32 s10, 0x7f800001
	s_xor_b64 s[4:5], exec, -1
; %bb.2391:
	s_or_b64 exec, exec, s[8:9]
	s_and_b64 s[4:5], s[4:5], exec
                                        ; implicit-def: $vgpr11
	s_or_saveexec_b64 s[6:7], s[6:7]
	v_mov_b32_e32 v14, s10
	s_xor_b64 exec, exec, s[6:7]
	s_cbranch_execz .LBB17_342
.LBB17_2392:
	v_cmp_ne_u16_e32 vcc, 0, v11
	s_andn2_b64 s[4:5], s[4:5], exec
	s_and_b64 s[8:9], vcc, exec
	v_mov_b32_e32 v14, 0
	s_or_b64 s[4:5], s[4:5], s[8:9]
	s_or_b64 exec, exec, s[6:7]
	s_and_saveexec_b64 s[6:7], s[4:5]
	s_cbranch_execnz .LBB17_343
	s_branch .LBB17_344
.LBB17_2393:
	s_movk_i32 s4, 0x80
	v_cmp_eq_u16_sdwa s[12:13], v16, s4 src0_sel:BYTE_3 src1_sel:DWORD
	s_mov_b64 s[4:5], -1
                                        ; implicit-def: $sgpr10
	s_and_saveexec_b64 s[8:9], s[12:13]
; %bb.2394:
	s_mov_b32 s10, 0x7f800001
	s_xor_b64 s[4:5], exec, -1
; %bb.2395:
	s_or_b64 exec, exec, s[8:9]
	s_and_b64 s[4:5], s[4:5], exec
	s_or_saveexec_b64 s[6:7], s[6:7]
	v_mov_b32_e32 v10, s10
	s_xor_b64 exec, exec, s[6:7]
	s_cbranch_execz .LBB17_346
.LBB17_2396:
	v_mov_b32_e32 v10, 0
	v_cmp_ne_u16_sdwa s[8:9], v16, v10 src0_sel:BYTE_3 src1_sel:DWORD
	s_andn2_b64 s[4:5], s[4:5], exec
	s_and_b64 s[8:9], s[8:9], exec
	s_or_b64 s[4:5], s[4:5], s[8:9]
	s_or_b64 exec, exec, s[6:7]
	s_and_saveexec_b64 s[6:7], s[4:5]
	s_cbranch_execnz .LBB17_347
	s_branch .LBB17_348
.LBB17_2397:
	s_movk_i32 s4, 0x80
	v_cmp_eq_u16_sdwa s[12:13], v12, s4 src0_sel:BYTE_3 src1_sel:DWORD
	s_mov_b64 s[4:5], -1
                                        ; implicit-def: $sgpr10
	s_and_saveexec_b64 s[8:9], s[12:13]
; %bb.2398:
	s_mov_b32 s10, 0x7f800001
	s_xor_b64 s[4:5], exec, -1
; %bb.2399:
	s_or_b64 exec, exec, s[8:9]
	s_and_b64 s[4:5], s[4:5], exec
	s_or_saveexec_b64 s[6:7], s[6:7]
	v_mov_b32_e32 v11, s10
	s_xor_b64 exec, exec, s[6:7]
	s_cbranch_execz .LBB17_350
.LBB17_2400:
	v_mov_b32_e32 v11, 0
	v_cmp_ne_u16_sdwa s[8:9], v12, v11 src0_sel:BYTE_3 src1_sel:DWORD
	s_andn2_b64 s[4:5], s[4:5], exec
	s_and_b64 s[8:9], s[8:9], exec
	s_or_b64 s[4:5], s[4:5], s[8:9]
	s_or_b64 exec, exec, s[6:7]
	s_and_saveexec_b64 s[6:7], s[4:5]
	s_cbranch_execnz .LBB17_351
	s_branch .LBB17_352
.LBB17_2401:
	s_movk_i32 s4, 0x80
	v_cmp_eq_u16_sdwa s[12:13], v17, s4 src0_sel:BYTE_0 src1_sel:DWORD
	s_mov_b64 s[4:5], -1
                                        ; implicit-def: $sgpr10
	s_and_saveexec_b64 s[8:9], s[12:13]
; %bb.2402:
	s_mov_b32 s10, 0x7f800001
	s_xor_b64 s[4:5], exec, -1
; %bb.2403:
	s_or_b64 exec, exec, s[8:9]
	s_and_b64 s[4:5], s[4:5], exec
	s_or_saveexec_b64 s[6:7], s[6:7]
	v_mov_b32_e32 v10, s10
	s_xor_b64 exec, exec, s[6:7]
	s_cbranch_execz .LBB17_354
.LBB17_2404:
	v_mov_b32_e32 v10, 0
	v_cmp_ne_u16_sdwa s[8:9], v17, v10 src0_sel:BYTE_0 src1_sel:DWORD
	s_andn2_b64 s[4:5], s[4:5], exec
	s_and_b64 s[8:9], s[8:9], exec
	s_or_b64 s[4:5], s[4:5], s[8:9]
	s_or_b64 exec, exec, s[6:7]
	s_and_saveexec_b64 s[6:7], s[4:5]
	s_cbranch_execnz .LBB17_355
	s_branch .LBB17_356
.LBB17_2405:
	s_movk_i32 s4, 0x80
	v_cmp_eq_u16_sdwa s[12:13], v13, s4 src0_sel:BYTE_0 src1_sel:DWORD
	s_mov_b64 s[4:5], -1
                                        ; implicit-def: $sgpr10
	s_and_saveexec_b64 s[8:9], s[12:13]
; %bb.2406:
	s_mov_b32 s10, 0x7f800001
	s_xor_b64 s[4:5], exec, -1
; %bb.2407:
	s_or_b64 exec, exec, s[8:9]
	s_and_b64 s[4:5], s[4:5], exec
	s_or_saveexec_b64 s[6:7], s[6:7]
	v_mov_b32_e32 v11, s10
	s_xor_b64 exec, exec, s[6:7]
	s_cbranch_execz .LBB17_358
.LBB17_2408:
	v_mov_b32_e32 v11, 0
	v_cmp_ne_u16_sdwa s[8:9], v13, v11 src0_sel:BYTE_0 src1_sel:DWORD
	s_andn2_b64 s[4:5], s[4:5], exec
	s_and_b64 s[8:9], s[8:9], exec
	s_or_b64 s[4:5], s[4:5], s[8:9]
	s_or_b64 exec, exec, s[6:7]
	s_and_saveexec_b64 s[6:7], s[4:5]
	s_cbranch_execnz .LBB17_359
	s_branch .LBB17_360
.LBB17_2409:
	s_movk_i32 s4, 0x80
	v_cmp_eq_u16_sdwa s[12:13], v11, s4 src0_sel:BYTE_0 src1_sel:DWORD
	s_mov_b64 s[4:5], -1
                                        ; implicit-def: $sgpr10
	s_and_saveexec_b64 s[8:9], s[12:13]
; %bb.2410:
	s_mov_b32 s10, 0x7f800001
	s_xor_b64 s[4:5], exec, -1
; %bb.2411:
	s_or_b64 exec, exec, s[8:9]
	s_and_b64 s[4:5], s[4:5], exec
	s_or_saveexec_b64 s[6:7], s[6:7]
	v_mov_b32_e32 v10, s10
	s_xor_b64 exec, exec, s[6:7]
	s_cbranch_execz .LBB17_362
.LBB17_2412:
	v_mov_b32_e32 v10, 0
	v_cmp_ne_u16_sdwa s[8:9], v11, v10 src0_sel:BYTE_0 src1_sel:DWORD
	s_andn2_b64 s[4:5], s[4:5], exec
	s_and_b64 s[8:9], s[8:9], exec
	s_or_b64 s[4:5], s[4:5], s[8:9]
	s_or_b64 exec, exec, s[6:7]
	s_and_saveexec_b64 s[6:7], s[4:5]
	s_cbranch_execnz .LBB17_363
	s_branch .LBB17_364
.LBB17_2413:
	s_movk_i32 s4, 0x80
	v_cmp_eq_u16_sdwa s[12:13], v11, s4 src0_sel:BYTE_0 src1_sel:DWORD
	s_mov_b64 s[4:5], -1
                                        ; implicit-def: $sgpr10
	s_and_saveexec_b64 s[8:9], s[12:13]
; %bb.2414:
	s_mov_b32 s10, 0x7f800001
	s_xor_b64 s[4:5], exec, -1
; %bb.2415:
	s_or_b64 exec, exec, s[8:9]
	s_and_b64 s[4:5], s[4:5], exec
	s_or_saveexec_b64 s[6:7], s[6:7]
	v_mov_b32_e32 v12, s10
	s_xor_b64 exec, exec, s[6:7]
	s_cbranch_execz .LBB17_366
.LBB17_2416:
	v_mov_b32_e32 v12, 0
	v_cmp_ne_u16_sdwa s[8:9], v11, v12 src0_sel:BYTE_0 src1_sel:DWORD
	s_andn2_b64 s[4:5], s[4:5], exec
	s_and_b64 s[8:9], s[8:9], exec
	s_or_b64 s[4:5], s[4:5], s[8:9]
	s_or_b64 exec, exec, s[6:7]
	s_and_saveexec_b64 s[6:7], s[4:5]
	s_cbranch_execnz .LBB17_367
	s_branch .LBB17_368
.LBB17_2417:
	s_movk_i32 s4, 0x80
	v_cmp_eq_u16_e32 vcc, s4, v11
	s_mov_b64 s[4:5], -1
                                        ; implicit-def: $sgpr10
	s_and_saveexec_b64 s[8:9], vcc
; %bb.2418:
	s_mov_b32 s10, 0x7f800001
	s_xor_b64 s[4:5], exec, -1
; %bb.2419:
	s_or_b64 exec, exec, s[8:9]
	s_and_b64 s[4:5], s[4:5], exec
                                        ; implicit-def: $vgpr11
	s_or_saveexec_b64 s[6:7], s[6:7]
	v_mov_b32_e32 v10, s10
	s_xor_b64 exec, exec, s[6:7]
	s_cbranch_execz .LBB17_370
.LBB17_2420:
	v_cmp_ne_u16_e32 vcc, 0, v11
	s_andn2_b64 s[4:5], s[4:5], exec
	s_and_b64 s[8:9], vcc, exec
	v_mov_b32_e32 v10, 0
	s_or_b64 s[4:5], s[4:5], s[8:9]
	s_or_b64 exec, exec, s[6:7]
	s_and_saveexec_b64 s[6:7], s[4:5]
	s_cbranch_execnz .LBB17_371
	s_branch .LBB17_372
.LBB17_2421:
	s_movk_i32 s4, 0x80
	v_cmp_eq_u16_e32 vcc, s4, v11
	s_mov_b64 s[4:5], -1
                                        ; implicit-def: $sgpr10
	s_and_saveexec_b64 s[8:9], vcc
; %bb.2422:
	s_mov_b32 s10, 0x7f800001
	s_xor_b64 s[4:5], exec, -1
; %bb.2423:
	s_or_b64 exec, exec, s[8:9]
	s_and_b64 s[4:5], s[4:5], exec
                                        ; implicit-def: $vgpr11
	s_or_saveexec_b64 s[6:7], s[6:7]
	v_mov_b32_e32 v12, s10
	s_xor_b64 exec, exec, s[6:7]
	s_cbranch_execz .LBB17_374
.LBB17_2424:
	v_cmp_ne_u16_e32 vcc, 0, v11
	s_andn2_b64 s[4:5], s[4:5], exec
	s_and_b64 s[8:9], vcc, exec
	v_mov_b32_e32 v12, 0
	s_or_b64 s[4:5], s[4:5], s[8:9]
	s_or_b64 exec, exec, s[6:7]
	s_and_saveexec_b64 s[6:7], s[4:5]
	s_cbranch_execnz .LBB17_375
	s_branch .LBB17_376
.LBB17_2425:
	s_movk_i32 s4, 0x80
	v_cmp_eq_u16_sdwa s[12:13], v17, s4 src0_sel:BYTE_3 src1_sel:DWORD
	s_mov_b64 s[4:5], -1
                                        ; implicit-def: $sgpr10
	s_and_saveexec_b64 s[8:9], s[12:13]
; %bb.2426:
	s_mov_b32 s10, 0x7f800001
	s_xor_b64 s[4:5], exec, -1
; %bb.2427:
	s_or_b64 exec, exec, s[8:9]
	s_and_b64 s[4:5], s[4:5], exec
	s_or_saveexec_b64 s[6:7], s[6:7]
	v_mov_b32_e32 v10, s10
	s_xor_b64 exec, exec, s[6:7]
	s_cbranch_execz .LBB17_378
.LBB17_2428:
	v_mov_b32_e32 v10, 0
	v_cmp_ne_u16_sdwa s[8:9], v17, v10 src0_sel:BYTE_3 src1_sel:DWORD
	s_andn2_b64 s[4:5], s[4:5], exec
	s_and_b64 s[8:9], s[8:9], exec
	s_or_b64 s[4:5], s[4:5], s[8:9]
	s_or_b64 exec, exec, s[6:7]
	s_and_saveexec_b64 s[6:7], s[4:5]
	s_cbranch_execnz .LBB17_379
	s_branch .LBB17_380
.LBB17_2429:
	s_movk_i32 s4, 0x80
	v_cmp_eq_u16_sdwa s[12:13], v13, s4 src0_sel:BYTE_3 src1_sel:DWORD
	s_mov_b64 s[4:5], -1
                                        ; implicit-def: $sgpr10
	s_and_saveexec_b64 s[8:9], s[12:13]
; %bb.2430:
	s_mov_b32 s10, 0x7f800001
	s_xor_b64 s[4:5], exec, -1
; %bb.2431:
	s_or_b64 exec, exec, s[8:9]
	s_and_b64 s[4:5], s[4:5], exec
	s_or_saveexec_b64 s[6:7], s[6:7]
	v_mov_b32_e32 v11, s10
	s_xor_b64 exec, exec, s[6:7]
	s_cbranch_execz .LBB17_382
.LBB17_2432:
	v_mov_b32_e32 v11, 0
	v_cmp_ne_u16_sdwa s[8:9], v13, v11 src0_sel:BYTE_3 src1_sel:DWORD
	s_andn2_b64 s[4:5], s[4:5], exec
	s_and_b64 s[8:9], s[8:9], exec
	s_or_b64 s[4:5], s[4:5], s[8:9]
	s_or_b64 exec, exec, s[6:7]
	s_and_saveexec_b64 s[6:7], s[4:5]
	s_cbranch_execnz .LBB17_383
	s_branch .LBB17_384
.LBB17_2433:
	s_movk_i32 s4, 0x80
	v_cmp_eq_u16_sdwa s[12:13], v6, s4 src0_sel:BYTE_0 src1_sel:DWORD
	s_mov_b64 s[4:5], -1
                                        ; implicit-def: $sgpr10
	s_and_saveexec_b64 s[8:9], s[12:13]
; %bb.2434:
	s_mov_b32 s10, 0x7f800001
	s_xor_b64 s[4:5], exec, -1
; %bb.2435:
	s_or_b64 exec, exec, s[8:9]
	s_and_b64 s[4:5], s[4:5], exec
	s_or_saveexec_b64 s[6:7], s[6:7]
	v_mov_b32_e32 v10, s10
	s_xor_b64 exec, exec, s[6:7]
	s_cbranch_execz .LBB17_386
.LBB17_2436:
	v_mov_b32_e32 v10, 0
	v_cmp_ne_u16_sdwa s[8:9], v6, v10 src0_sel:BYTE_0 src1_sel:DWORD
	s_andn2_b64 s[4:5], s[4:5], exec
	s_and_b64 s[8:9], s[8:9], exec
	s_or_b64 s[4:5], s[4:5], s[8:9]
	s_or_b64 exec, exec, s[6:7]
	s_and_saveexec_b64 s[6:7], s[4:5]
	s_cbranch_execnz .LBB17_387
	s_branch .LBB17_388
.LBB17_2437:
	s_movk_i32 s4, 0x80
	v_cmp_eq_u16_sdwa s[12:13], v2, s4 src0_sel:BYTE_0 src1_sel:DWORD
	s_mov_b64 s[4:5], -1
                                        ; implicit-def: $sgpr10
	s_and_saveexec_b64 s[8:9], s[12:13]
; %bb.2438:
	s_mov_b32 s10, 0x7f800001
	s_xor_b64 s[4:5], exec, -1
; %bb.2439:
	s_or_b64 exec, exec, s[8:9]
	s_and_b64 s[4:5], s[4:5], exec
	s_or_saveexec_b64 s[6:7], s[6:7]
	v_mov_b32_e32 v11, s10
	s_xor_b64 exec, exec, s[6:7]
	s_cbranch_execz .LBB17_390
.LBB17_2440:
	v_mov_b32_e32 v11, 0
	v_cmp_ne_u16_sdwa s[8:9], v2, v11 src0_sel:BYTE_0 src1_sel:DWORD
	s_andn2_b64 s[4:5], s[4:5], exec
	s_and_b64 s[8:9], s[8:9], exec
	s_or_b64 s[4:5], s[4:5], s[8:9]
	s_or_b64 exec, exec, s[6:7]
	s_and_saveexec_b64 s[6:7], s[4:5]
	s_cbranch_execnz .LBB17_391
	s_branch .LBB17_392
.LBB17_2441:
	s_movk_i32 s4, 0x80
	v_cmp_eq_u16_sdwa s[12:13], v11, s4 src0_sel:BYTE_0 src1_sel:DWORD
	s_mov_b64 s[4:5], -1
                                        ; implicit-def: $sgpr10
	s_and_saveexec_b64 s[8:9], s[12:13]
; %bb.2442:
	s_mov_b32 s10, 0x7f800001
	s_xor_b64 s[4:5], exec, -1
; %bb.2443:
	s_or_b64 exec, exec, s[8:9]
	s_and_b64 s[4:5], s[4:5], exec
	s_or_saveexec_b64 s[6:7], s[6:7]
	v_mov_b32_e32 v10, s10
	s_xor_b64 exec, exec, s[6:7]
	s_cbranch_execz .LBB17_394
.LBB17_2444:
	v_mov_b32_e32 v10, 0
	v_cmp_ne_u16_sdwa s[8:9], v11, v10 src0_sel:BYTE_0 src1_sel:DWORD
	s_andn2_b64 s[4:5], s[4:5], exec
	s_and_b64 s[8:9], s[8:9], exec
	s_or_b64 s[4:5], s[4:5], s[8:9]
	s_or_b64 exec, exec, s[6:7]
	s_and_saveexec_b64 s[6:7], s[4:5]
	s_cbranch_execnz .LBB17_395
	s_branch .LBB17_396
.LBB17_2445:
	s_movk_i32 s4, 0x80
	v_cmp_eq_u16_sdwa s[12:13], v11, s4 src0_sel:BYTE_0 src1_sel:DWORD
	s_mov_b64 s[4:5], -1
                                        ; implicit-def: $sgpr10
	s_and_saveexec_b64 s[8:9], s[12:13]
; %bb.2446:
	s_mov_b32 s10, 0x7f800001
	s_xor_b64 s[4:5], exec, -1
; %bb.2447:
	s_or_b64 exec, exec, s[8:9]
	s_and_b64 s[4:5], s[4:5], exec
	s_or_saveexec_b64 s[6:7], s[6:7]
	v_mov_b32_e32 v12, s10
	s_xor_b64 exec, exec, s[6:7]
	s_cbranch_execz .LBB17_398
.LBB17_2448:
	v_mov_b32_e32 v12, 0
	v_cmp_ne_u16_sdwa s[8:9], v11, v12 src0_sel:BYTE_0 src1_sel:DWORD
	s_andn2_b64 s[4:5], s[4:5], exec
	s_and_b64 s[8:9], s[8:9], exec
	s_or_b64 s[4:5], s[4:5], s[8:9]
	s_or_b64 exec, exec, s[6:7]
	s_and_saveexec_b64 s[6:7], s[4:5]
	s_cbranch_execnz .LBB17_399
	s_branch .LBB17_400
.LBB17_2449:
	s_movk_i32 s4, 0x80
	v_cmp_eq_u16_e32 vcc, s4, v11
	s_mov_b64 s[4:5], -1
                                        ; implicit-def: $sgpr10
	s_and_saveexec_b64 s[8:9], vcc
; %bb.2450:
	s_mov_b32 s10, 0x7f800001
	s_xor_b64 s[4:5], exec, -1
; %bb.2451:
	s_or_b64 exec, exec, s[8:9]
	s_and_b64 s[4:5], s[4:5], exec
                                        ; implicit-def: $vgpr11
	s_or_saveexec_b64 s[6:7], s[6:7]
	v_mov_b32_e32 v10, s10
	s_xor_b64 exec, exec, s[6:7]
	s_cbranch_execz .LBB17_402
.LBB17_2452:
	v_cmp_ne_u16_e32 vcc, 0, v11
	s_andn2_b64 s[4:5], s[4:5], exec
	s_and_b64 s[8:9], vcc, exec
	v_mov_b32_e32 v10, 0
	s_or_b64 s[4:5], s[4:5], s[8:9]
	s_or_b64 exec, exec, s[6:7]
	s_and_saveexec_b64 s[6:7], s[4:5]
	s_cbranch_execnz .LBB17_403
	s_branch .LBB17_404
.LBB17_2453:
	s_movk_i32 s4, 0x80
	v_cmp_eq_u16_e32 vcc, s4, v11
	s_mov_b64 s[4:5], -1
                                        ; implicit-def: $sgpr10
	s_and_saveexec_b64 s[8:9], vcc
; %bb.2454:
	s_mov_b32 s10, 0x7f800001
	s_xor_b64 s[4:5], exec, -1
; %bb.2455:
	s_or_b64 exec, exec, s[8:9]
	s_and_b64 s[4:5], s[4:5], exec
                                        ; implicit-def: $vgpr11
	s_or_saveexec_b64 s[6:7], s[6:7]
	v_mov_b32_e32 v12, s10
	s_xor_b64 exec, exec, s[6:7]
	s_cbranch_execz .LBB17_406
.LBB17_2456:
	v_cmp_ne_u16_e32 vcc, 0, v11
	s_andn2_b64 s[4:5], s[4:5], exec
	s_and_b64 s[8:9], vcc, exec
	v_mov_b32_e32 v12, 0
	s_or_b64 s[4:5], s[4:5], s[8:9]
	s_or_b64 exec, exec, s[6:7]
	s_and_saveexec_b64 s[6:7], s[4:5]
	s_cbranch_execnz .LBB17_407
	s_branch .LBB17_408
.LBB17_2457:
	s_movk_i32 s4, 0x80
	v_cmp_eq_u16_sdwa s[12:13], v6, s4 src0_sel:BYTE_3 src1_sel:DWORD
	s_mov_b64 s[4:5], -1
                                        ; implicit-def: $sgpr10
	s_and_saveexec_b64 s[8:9], s[12:13]
; %bb.2458:
	s_mov_b32 s10, 0x7f800001
	s_xor_b64 s[4:5], exec, -1
; %bb.2459:
	s_or_b64 exec, exec, s[8:9]
	s_and_b64 s[4:5], s[4:5], exec
	s_or_saveexec_b64 s[6:7], s[6:7]
	v_mov_b32_e32 v10, s10
	s_xor_b64 exec, exec, s[6:7]
	s_cbranch_execz .LBB17_410
.LBB17_2460:
	v_mov_b32_e32 v10, 0
	v_cmp_ne_u16_sdwa s[8:9], v6, v10 src0_sel:BYTE_3 src1_sel:DWORD
	s_andn2_b64 s[4:5], s[4:5], exec
	s_and_b64 s[8:9], s[8:9], exec
	s_or_b64 s[4:5], s[4:5], s[8:9]
	s_or_b64 exec, exec, s[6:7]
	s_and_saveexec_b64 s[6:7], s[4:5]
	s_cbranch_execnz .LBB17_411
	s_branch .LBB17_412
.LBB17_2461:
	s_movk_i32 s4, 0x80
	v_cmp_eq_u16_sdwa s[12:13], v2, s4 src0_sel:BYTE_3 src1_sel:DWORD
	s_mov_b64 s[4:5], -1
                                        ; implicit-def: $sgpr10
	s_and_saveexec_b64 s[8:9], s[12:13]
; %bb.2462:
	s_mov_b32 s10, 0x7f800001
	s_xor_b64 s[4:5], exec, -1
; %bb.2463:
	s_or_b64 exec, exec, s[8:9]
	s_and_b64 s[4:5], s[4:5], exec
	s_or_saveexec_b64 s[6:7], s[6:7]
	v_mov_b32_e32 v6, s10
	s_xor_b64 exec, exec, s[6:7]
	s_cbranch_execz .LBB17_414
.LBB17_2464:
	v_mov_b32_e32 v6, 0
	v_cmp_ne_u16_sdwa s[8:9], v2, v6 src0_sel:BYTE_3 src1_sel:DWORD
	s_andn2_b64 s[4:5], s[4:5], exec
	s_and_b64 s[8:9], s[8:9], exec
	s_or_b64 s[4:5], s[4:5], s[8:9]
	s_or_b64 exec, exec, s[6:7]
	s_and_saveexec_b64 s[6:7], s[4:5]
	s_cbranch_execnz .LBB17_415
	s_branch .LBB17_416
.LBB17_2465:
	s_movk_i32 s4, 0x80
	v_cmp_eq_u16_sdwa s[12:13], v7, s4 src0_sel:BYTE_0 src1_sel:DWORD
	s_mov_b64 s[4:5], -1
                                        ; implicit-def: $sgpr10
	s_and_saveexec_b64 s[8:9], s[12:13]
; %bb.2466:
	s_mov_b32 s10, 0x7f800001
	s_xor_b64 s[4:5], exec, -1
; %bb.2467:
	s_or_b64 exec, exec, s[8:9]
	s_and_b64 s[4:5], s[4:5], exec
	s_or_saveexec_b64 s[6:7], s[6:7]
	v_mov_b32_e32 v2, s10
	s_xor_b64 exec, exec, s[6:7]
	s_cbranch_execz .LBB17_418
.LBB17_2468:
	v_mov_b32_e32 v2, 0
	v_cmp_ne_u16_sdwa s[8:9], v7, v2 src0_sel:BYTE_0 src1_sel:DWORD
	s_andn2_b64 s[4:5], s[4:5], exec
	s_and_b64 s[8:9], s[8:9], exec
	s_or_b64 s[4:5], s[4:5], s[8:9]
	s_or_b64 exec, exec, s[6:7]
	s_and_saveexec_b64 s[6:7], s[4:5]
	s_cbranch_execnz .LBB17_419
	s_branch .LBB17_420
.LBB17_2469:
	s_movk_i32 s4, 0x80
	v_cmp_eq_u16_sdwa s[12:13], v3, s4 src0_sel:BYTE_0 src1_sel:DWORD
	s_mov_b64 s[4:5], -1
                                        ; implicit-def: $sgpr10
	s_and_saveexec_b64 s[8:9], s[12:13]
; %bb.2470:
	s_mov_b32 s10, 0x7f800001
	s_xor_b64 s[4:5], exec, -1
; %bb.2471:
	s_or_b64 exec, exec, s[8:9]
	s_and_b64 s[4:5], s[4:5], exec
	s_or_saveexec_b64 s[6:7], s[6:7]
	v_mov_b32_e32 v6, s10
	s_xor_b64 exec, exec, s[6:7]
	s_cbranch_execz .LBB17_422
.LBB17_2472:
	v_mov_b32_e32 v6, 0
	v_cmp_ne_u16_sdwa s[8:9], v3, v6 src0_sel:BYTE_0 src1_sel:DWORD
	s_andn2_b64 s[4:5], s[4:5], exec
	s_and_b64 s[8:9], s[8:9], exec
	s_or_b64 s[4:5], s[4:5], s[8:9]
	s_or_b64 exec, exec, s[6:7]
	s_and_saveexec_b64 s[6:7], s[4:5]
	s_cbranch_execnz .LBB17_423
	s_branch .LBB17_424
.LBB17_2473:
	s_movk_i32 s4, 0x80
	v_cmp_eq_u16_sdwa s[12:13], v6, s4 src0_sel:BYTE_0 src1_sel:DWORD
	s_mov_b64 s[4:5], -1
                                        ; implicit-def: $sgpr10
	s_and_saveexec_b64 s[8:9], s[12:13]
; %bb.2474:
	s_mov_b32 s10, 0x7f800001
	s_xor_b64 s[4:5], exec, -1
; %bb.2475:
	s_or_b64 exec, exec, s[8:9]
	s_and_b64 s[4:5], s[4:5], exec
	s_or_saveexec_b64 s[6:7], s[6:7]
	v_mov_b32_e32 v2, s10
	s_xor_b64 exec, exec, s[6:7]
	s_cbranch_execz .LBB17_426
.LBB17_2476:
	v_mov_b32_e32 v2, 0
	v_cmp_ne_u16_sdwa s[8:9], v6, v2 src0_sel:BYTE_0 src1_sel:DWORD
	s_andn2_b64 s[4:5], s[4:5], exec
	s_and_b64 s[8:9], s[8:9], exec
	s_or_b64 s[4:5], s[4:5], s[8:9]
	s_or_b64 exec, exec, s[6:7]
	s_and_saveexec_b64 s[6:7], s[4:5]
	s_cbranch_execnz .LBB17_427
	s_branch .LBB17_428
.LBB17_2477:
	s_movk_i32 s4, 0x80
	v_cmp_eq_u16_sdwa s[12:13], v6, s4 src0_sel:BYTE_0 src1_sel:DWORD
	s_mov_b64 s[4:5], -1
                                        ; implicit-def: $sgpr10
	s_and_saveexec_b64 s[8:9], s[12:13]
; %bb.2478:
	s_mov_b32 s10, 0x7f800001
	s_xor_b64 s[4:5], exec, -1
; %bb.2479:
	s_or_b64 exec, exec, s[8:9]
	s_and_b64 s[4:5], s[4:5], exec
	s_or_saveexec_b64 s[6:7], s[6:7]
	v_mov_b32_e32 v10, s10
	s_xor_b64 exec, exec, s[6:7]
	s_cbranch_execz .LBB17_430
.LBB17_2480:
	v_mov_b32_e32 v10, 0
	v_cmp_ne_u16_sdwa s[8:9], v6, v10 src0_sel:BYTE_0 src1_sel:DWORD
	s_andn2_b64 s[4:5], s[4:5], exec
	s_and_b64 s[8:9], s[8:9], exec
	s_or_b64 s[4:5], s[4:5], s[8:9]
	s_or_b64 exec, exec, s[6:7]
	s_and_saveexec_b64 s[6:7], s[4:5]
	s_cbranch_execnz .LBB17_431
	s_branch .LBB17_432
.LBB17_2481:
	s_movk_i32 s4, 0x80
	v_cmp_eq_u16_e32 vcc, s4, v6
	s_mov_b64 s[4:5], -1
                                        ; implicit-def: $sgpr10
	s_and_saveexec_b64 s[8:9], vcc
; %bb.2482:
	s_mov_b32 s10, 0x7f800001
	s_xor_b64 s[4:5], exec, -1
; %bb.2483:
	s_or_b64 exec, exec, s[8:9]
	s_and_b64 s[4:5], s[4:5], exec
                                        ; implicit-def: $vgpr6
	s_or_saveexec_b64 s[6:7], s[6:7]
	v_mov_b32_e32 v2, s10
	s_xor_b64 exec, exec, s[6:7]
	s_cbranch_execz .LBB17_434
.LBB17_2484:
	v_cmp_ne_u16_e32 vcc, 0, v6
	s_andn2_b64 s[4:5], s[4:5], exec
	s_and_b64 s[8:9], vcc, exec
	v_mov_b32_e32 v2, 0
	s_or_b64 s[4:5], s[4:5], s[8:9]
	s_or_b64 exec, exec, s[6:7]
	s_and_saveexec_b64 s[6:7], s[4:5]
	s_cbranch_execnz .LBB17_435
	s_branch .LBB17_436
.LBB17_2485:
	s_movk_i32 s4, 0x80
	v_cmp_eq_u16_e32 vcc, s4, v6
	s_mov_b64 s[4:5], -1
                                        ; implicit-def: $sgpr10
	s_and_saveexec_b64 s[8:9], vcc
; %bb.2486:
	s_mov_b32 s10, 0x7f800001
	s_xor_b64 s[4:5], exec, -1
; %bb.2487:
	s_or_b64 exec, exec, s[8:9]
	s_and_b64 s[4:5], s[4:5], exec
                                        ; implicit-def: $vgpr6
	s_or_saveexec_b64 s[6:7], s[6:7]
	v_mov_b32_e32 v10, s10
	s_xor_b64 exec, exec, s[6:7]
	s_cbranch_execz .LBB17_438
.LBB17_2488:
	v_cmp_ne_u16_e32 vcc, 0, v6
	s_andn2_b64 s[4:5], s[4:5], exec
	s_and_b64 s[8:9], vcc, exec
	v_mov_b32_e32 v10, 0
	s_or_b64 s[4:5], s[4:5], s[8:9]
	s_or_b64 exec, exec, s[6:7]
	s_and_saveexec_b64 s[6:7], s[4:5]
	s_cbranch_execnz .LBB17_439
	s_branch .LBB17_440
.LBB17_2489:
	s_movk_i32 s4, 0x80
	v_cmp_eq_u16_sdwa s[12:13], v7, s4 src0_sel:BYTE_3 src1_sel:DWORD
	s_mov_b64 s[4:5], -1
                                        ; implicit-def: $sgpr10
	s_and_saveexec_b64 s[8:9], s[12:13]
; %bb.2490:
	s_mov_b32 s10, 0x7f800001
	s_xor_b64 s[4:5], exec, -1
; %bb.2491:
	s_or_b64 exec, exec, s[8:9]
	s_and_b64 s[4:5], s[4:5], exec
	s_or_saveexec_b64 s[6:7], s[6:7]
	v_mov_b32_e32 v2, s10
	s_xor_b64 exec, exec, s[6:7]
	s_cbranch_execz .LBB17_442
.LBB17_2492:
	v_mov_b32_e32 v2, 0
	v_cmp_ne_u16_sdwa s[8:9], v7, v2 src0_sel:BYTE_3 src1_sel:DWORD
	s_andn2_b64 s[4:5], s[4:5], exec
	s_and_b64 s[8:9], s[8:9], exec
	s_or_b64 s[4:5], s[4:5], s[8:9]
	s_or_b64 exec, exec, s[6:7]
	s_and_saveexec_b64 s[6:7], s[4:5]
	s_cbranch_execnz .LBB17_443
	s_branch .LBB17_444
.LBB17_2493:
	s_movk_i32 s4, 0x80
	v_cmp_eq_u16_sdwa s[12:13], v3, s4 src0_sel:BYTE_3 src1_sel:DWORD
	s_mov_b64 s[4:5], -1
                                        ; implicit-def: $sgpr10
	s_and_saveexec_b64 s[8:9], s[12:13]
; %bb.2494:
	s_mov_b32 s10, 0x7f800001
	s_xor_b64 s[4:5], exec, -1
; %bb.2495:
	s_or_b64 exec, exec, s[8:9]
	s_and_b64 s[4:5], s[4:5], exec
	s_or_saveexec_b64 s[6:7], s[6:7]
	v_mov_b32_e32 v6, s10
	s_xor_b64 exec, exec, s[6:7]
	s_cbranch_execz .LBB17_446
.LBB17_2496:
	v_mov_b32_e32 v6, 0
	v_cmp_ne_u16_sdwa s[8:9], v3, v6 src0_sel:BYTE_3 src1_sel:DWORD
	s_andn2_b64 s[4:5], s[4:5], exec
	s_and_b64 s[8:9], s[8:9], exec
	s_or_b64 s[4:5], s[4:5], s[8:9]
	s_or_b64 exec, exec, s[6:7]
	s_and_saveexec_b64 s[6:7], s[4:5]
	s_cbranch_execnz .LBB17_447
	s_branch .LBB17_448
.LBB17_2497:
	s_movk_i32 s4, 0x80
	v_cmp_eq_u16_sdwa s[12:13], v8, s4 src0_sel:BYTE_0 src1_sel:DWORD
	s_mov_b64 s[4:5], -1
                                        ; implicit-def: $sgpr10
	s_and_saveexec_b64 s[8:9], s[12:13]
; %bb.2498:
	s_mov_b32 s10, 0x7f800001
	s_xor_b64 s[4:5], exec, -1
; %bb.2499:
	s_or_b64 exec, exec, s[8:9]
	s_and_b64 s[4:5], s[4:5], exec
	s_or_saveexec_b64 s[6:7], s[6:7]
	v_mov_b32_e32 v2, s10
	s_xor_b64 exec, exec, s[6:7]
	s_cbranch_execz .LBB17_450
.LBB17_2500:
	v_mov_b32_e32 v2, 0
	v_cmp_ne_u16_sdwa s[8:9], v8, v2 src0_sel:BYTE_0 src1_sel:DWORD
	s_andn2_b64 s[4:5], s[4:5], exec
	s_and_b64 s[8:9], s[8:9], exec
	s_or_b64 s[4:5], s[4:5], s[8:9]
	s_or_b64 exec, exec, s[6:7]
	s_and_saveexec_b64 s[6:7], s[4:5]
	s_cbranch_execnz .LBB17_451
	s_branch .LBB17_452
.LBB17_2501:
	s_movk_i32 s4, 0x80
	v_cmp_eq_u16_sdwa s[12:13], v4, s4 src0_sel:BYTE_0 src1_sel:DWORD
	s_mov_b64 s[4:5], -1
                                        ; implicit-def: $sgpr10
	s_and_saveexec_b64 s[8:9], s[12:13]
; %bb.2502:
	s_mov_b32 s10, 0x7f800001
	s_xor_b64 s[4:5], exec, -1
; %bb.2503:
	s_or_b64 exec, exec, s[8:9]
	s_and_b64 s[4:5], s[4:5], exec
	s_or_saveexec_b64 s[6:7], s[6:7]
	v_mov_b32_e32 v3, s10
	s_xor_b64 exec, exec, s[6:7]
	s_cbranch_execz .LBB17_454
.LBB17_2504:
	v_mov_b32_e32 v3, 0
	v_cmp_ne_u16_sdwa s[8:9], v4, v3 src0_sel:BYTE_0 src1_sel:DWORD
	s_andn2_b64 s[4:5], s[4:5], exec
	s_and_b64 s[8:9], s[8:9], exec
	s_or_b64 s[4:5], s[4:5], s[8:9]
	s_or_b64 exec, exec, s[6:7]
	s_and_saveexec_b64 s[6:7], s[4:5]
	s_cbranch_execnz .LBB17_455
	s_branch .LBB17_456
.LBB17_2505:
	s_movk_i32 s4, 0x80
	v_cmp_eq_u16_sdwa s[12:13], v3, s4 src0_sel:BYTE_0 src1_sel:DWORD
	s_mov_b64 s[4:5], -1
                                        ; implicit-def: $sgpr10
	s_and_saveexec_b64 s[8:9], s[12:13]
; %bb.2506:
	s_mov_b32 s10, 0x7f800001
	s_xor_b64 s[4:5], exec, -1
; %bb.2507:
	s_or_b64 exec, exec, s[8:9]
	s_and_b64 s[4:5], s[4:5], exec
	s_or_saveexec_b64 s[6:7], s[6:7]
	v_mov_b32_e32 v2, s10
	s_xor_b64 exec, exec, s[6:7]
	s_cbranch_execz .LBB17_458
.LBB17_2508:
	v_mov_b32_e32 v2, 0
	v_cmp_ne_u16_sdwa s[8:9], v3, v2 src0_sel:BYTE_0 src1_sel:DWORD
	s_andn2_b64 s[4:5], s[4:5], exec
	s_and_b64 s[8:9], s[8:9], exec
	s_or_b64 s[4:5], s[4:5], s[8:9]
	s_or_b64 exec, exec, s[6:7]
	s_and_saveexec_b64 s[6:7], s[4:5]
	s_cbranch_execnz .LBB17_459
	s_branch .LBB17_460
.LBB17_2509:
	s_movk_i32 s4, 0x80
	v_cmp_eq_u16_sdwa s[12:13], v3, s4 src0_sel:BYTE_0 src1_sel:DWORD
	s_mov_b64 s[4:5], -1
                                        ; implicit-def: $sgpr10
	s_and_saveexec_b64 s[8:9], s[12:13]
; %bb.2510:
	s_mov_b32 s10, 0x7f800001
	s_xor_b64 s[4:5], exec, -1
; %bb.2511:
	s_or_b64 exec, exec, s[8:9]
	s_and_b64 s[4:5], s[4:5], exec
	s_or_saveexec_b64 s[6:7], s[6:7]
	v_mov_b32_e32 v6, s10
	s_xor_b64 exec, exec, s[6:7]
	s_cbranch_execz .LBB17_462
.LBB17_2512:
	v_mov_b32_e32 v6, 0
	v_cmp_ne_u16_sdwa s[8:9], v3, v6 src0_sel:BYTE_0 src1_sel:DWORD
	s_andn2_b64 s[4:5], s[4:5], exec
	s_and_b64 s[8:9], s[8:9], exec
	s_or_b64 s[4:5], s[4:5], s[8:9]
	s_or_b64 exec, exec, s[6:7]
	s_and_saveexec_b64 s[6:7], s[4:5]
	s_cbranch_execnz .LBB17_463
	s_branch .LBB17_464
.LBB17_2513:
	s_movk_i32 s4, 0x80
	v_cmp_eq_u16_e32 vcc, s4, v3
	s_mov_b64 s[4:5], -1
                                        ; implicit-def: $sgpr10
	s_and_saveexec_b64 s[8:9], vcc
; %bb.2514:
	s_mov_b32 s10, 0x7f800001
	s_xor_b64 s[4:5], exec, -1
; %bb.2515:
	s_or_b64 exec, exec, s[8:9]
	s_and_b64 s[4:5], s[4:5], exec
                                        ; implicit-def: $vgpr3
	s_or_saveexec_b64 s[6:7], s[6:7]
	v_mov_b32_e32 v2, s10
	s_xor_b64 exec, exec, s[6:7]
	s_cbranch_execz .LBB17_466
.LBB17_2516:
	v_cmp_ne_u16_e32 vcc, 0, v3
	s_andn2_b64 s[4:5], s[4:5], exec
	s_and_b64 s[8:9], vcc, exec
	v_mov_b32_e32 v2, 0
	s_or_b64 s[4:5], s[4:5], s[8:9]
	s_or_b64 exec, exec, s[6:7]
	s_and_saveexec_b64 s[6:7], s[4:5]
	s_cbranch_execnz .LBB17_467
	s_branch .LBB17_468
.LBB17_2517:
	s_movk_i32 s4, 0x80
	v_cmp_eq_u16_e32 vcc, s4, v3
	s_mov_b64 s[4:5], -1
                                        ; implicit-def: $sgpr10
	s_and_saveexec_b64 s[8:9], vcc
; %bb.2518:
	s_mov_b32 s10, 0x7f800001
	s_xor_b64 s[4:5], exec, -1
; %bb.2519:
	s_or_b64 exec, exec, s[8:9]
	s_and_b64 s[4:5], s[4:5], exec
                                        ; implicit-def: $vgpr3
	s_or_saveexec_b64 s[6:7], s[6:7]
	v_mov_b32_e32 v6, s10
	s_xor_b64 exec, exec, s[6:7]
	s_cbranch_execz .LBB17_470
.LBB17_2520:
	v_cmp_ne_u16_e32 vcc, 0, v3
	s_andn2_b64 s[4:5], s[4:5], exec
	s_and_b64 s[8:9], vcc, exec
	v_mov_b32_e32 v6, 0
	s_or_b64 s[4:5], s[4:5], s[8:9]
	s_or_b64 exec, exec, s[6:7]
	s_and_saveexec_b64 s[6:7], s[4:5]
	s_cbranch_execnz .LBB17_471
	s_branch .LBB17_472
.LBB17_2521:
	s_movk_i32 s4, 0x80
	v_cmp_eq_u16_sdwa s[12:13], v8, s4 src0_sel:BYTE_3 src1_sel:DWORD
	s_mov_b64 s[4:5], -1
                                        ; implicit-def: $sgpr10
	s_and_saveexec_b64 s[8:9], s[12:13]
; %bb.2522:
	s_mov_b32 s10, 0x7f800001
	s_xor_b64 s[4:5], exec, -1
; %bb.2523:
	s_or_b64 exec, exec, s[8:9]
	s_and_b64 s[4:5], s[4:5], exec
	s_or_saveexec_b64 s[6:7], s[6:7]
	v_mov_b32_e32 v2, s10
	s_xor_b64 exec, exec, s[6:7]
	s_cbranch_execz .LBB17_474
.LBB17_2524:
	v_mov_b32_e32 v2, 0
	v_cmp_ne_u16_sdwa s[8:9], v8, v2 src0_sel:BYTE_3 src1_sel:DWORD
	s_andn2_b64 s[4:5], s[4:5], exec
	s_and_b64 s[8:9], s[8:9], exec
	s_or_b64 s[4:5], s[4:5], s[8:9]
	s_or_b64 exec, exec, s[6:7]
	s_and_saveexec_b64 s[6:7], s[4:5]
	s_cbranch_execnz .LBB17_475
	s_branch .LBB17_476
.LBB17_2525:
	s_movk_i32 s4, 0x80
	v_cmp_eq_u16_sdwa s[12:13], v4, s4 src0_sel:BYTE_3 src1_sel:DWORD
	s_mov_b64 s[4:5], -1
                                        ; implicit-def: $sgpr10
	s_and_saveexec_b64 s[8:9], s[12:13]
; %bb.2526:
	s_mov_b32 s10, 0x7f800001
	s_xor_b64 s[4:5], exec, -1
; %bb.2527:
	s_or_b64 exec, exec, s[8:9]
	s_and_b64 s[4:5], s[4:5], exec
	s_or_saveexec_b64 s[6:7], s[6:7]
	v_mov_b32_e32 v3, s10
	s_xor_b64 exec, exec, s[6:7]
	s_cbranch_execz .LBB17_478
.LBB17_2528:
	v_mov_b32_e32 v3, 0
	v_cmp_ne_u16_sdwa s[8:9], v4, v3 src0_sel:BYTE_3 src1_sel:DWORD
	s_andn2_b64 s[4:5], s[4:5], exec
	s_and_b64 s[8:9], s[8:9], exec
	s_or_b64 s[4:5], s[4:5], s[8:9]
	s_or_b64 exec, exec, s[6:7]
	s_and_saveexec_b64 s[6:7], s[4:5]
	s_cbranch_execnz .LBB17_479
	s_branch .LBB17_480
.LBB17_2529:
	s_movk_i32 s4, 0x80
	v_cmp_eq_u16_sdwa s[12:13], v9, s4 src0_sel:BYTE_0 src1_sel:DWORD
	s_mov_b64 s[4:5], -1
                                        ; implicit-def: $sgpr10
	s_and_saveexec_b64 s[8:9], s[12:13]
; %bb.2530:
	s_mov_b32 s10, 0x7f800001
	s_xor_b64 s[4:5], exec, -1
; %bb.2531:
	s_or_b64 exec, exec, s[8:9]
	s_and_b64 s[4:5], s[4:5], exec
	s_or_saveexec_b64 s[6:7], s[6:7]
	v_mov_b32_e32 v2, s10
	s_xor_b64 exec, exec, s[6:7]
	s_cbranch_execz .LBB17_482
.LBB17_2532:
	v_mov_b32_e32 v2, 0
	v_cmp_ne_u16_sdwa s[8:9], v9, v2 src0_sel:BYTE_0 src1_sel:DWORD
	s_andn2_b64 s[4:5], s[4:5], exec
	s_and_b64 s[8:9], s[8:9], exec
	s_or_b64 s[4:5], s[4:5], s[8:9]
	s_or_b64 exec, exec, s[6:7]
	s_and_saveexec_b64 s[6:7], s[4:5]
	s_cbranch_execnz .LBB17_483
	s_branch .LBB17_484
.LBB17_2533:
	s_movk_i32 s4, 0x80
	v_cmp_eq_u16_sdwa s[12:13], v5, s4 src0_sel:BYTE_0 src1_sel:DWORD
	s_mov_b64 s[4:5], -1
                                        ; implicit-def: $sgpr10
	s_and_saveexec_b64 s[8:9], s[12:13]
; %bb.2534:
	s_mov_b32 s10, 0x7f800001
	s_xor_b64 s[4:5], exec, -1
; %bb.2535:
	s_or_b64 exec, exec, s[8:9]
	s_and_b64 s[4:5], s[4:5], exec
	s_or_saveexec_b64 s[6:7], s[6:7]
	v_mov_b32_e32 v3, s10
	s_xor_b64 exec, exec, s[6:7]
	s_cbranch_execz .LBB17_486
.LBB17_2536:
	v_mov_b32_e32 v3, 0
	v_cmp_ne_u16_sdwa s[8:9], v5, v3 src0_sel:BYTE_0 src1_sel:DWORD
	s_andn2_b64 s[4:5], s[4:5], exec
	s_and_b64 s[8:9], s[8:9], exec
	s_or_b64 s[4:5], s[4:5], s[8:9]
	s_or_b64 exec, exec, s[6:7]
	s_and_saveexec_b64 s[6:7], s[4:5]
	s_cbranch_execnz .LBB17_487
	s_branch .LBB17_488
.LBB17_2537:
	s_movk_i32 s4, 0x80
	v_cmp_eq_u16_sdwa s[12:13], v3, s4 src0_sel:BYTE_0 src1_sel:DWORD
	s_mov_b64 s[4:5], -1
                                        ; implicit-def: $sgpr10
	s_and_saveexec_b64 s[8:9], s[12:13]
; %bb.2538:
	s_mov_b32 s10, 0x7f800001
	s_xor_b64 s[4:5], exec, -1
; %bb.2539:
	s_or_b64 exec, exec, s[8:9]
	s_and_b64 s[4:5], s[4:5], exec
	s_or_saveexec_b64 s[6:7], s[6:7]
	v_mov_b32_e32 v2, s10
	s_xor_b64 exec, exec, s[6:7]
	s_cbranch_execz .LBB17_490
.LBB17_2540:
	v_mov_b32_e32 v2, 0
	v_cmp_ne_u16_sdwa s[8:9], v3, v2 src0_sel:BYTE_0 src1_sel:DWORD
	s_andn2_b64 s[4:5], s[4:5], exec
	s_and_b64 s[8:9], s[8:9], exec
	s_or_b64 s[4:5], s[4:5], s[8:9]
	s_or_b64 exec, exec, s[6:7]
	s_and_saveexec_b64 s[6:7], s[4:5]
	s_cbranch_execnz .LBB17_491
	s_branch .LBB17_492
.LBB17_2541:
	s_movk_i32 s4, 0x80
	v_cmp_eq_u16_sdwa s[12:13], v3, s4 src0_sel:BYTE_0 src1_sel:DWORD
	s_mov_b64 s[4:5], -1
                                        ; implicit-def: $sgpr10
	s_and_saveexec_b64 s[8:9], s[12:13]
; %bb.2542:
	s_mov_b32 s10, 0x7f800001
	s_xor_b64 s[4:5], exec, -1
; %bb.2543:
	s_or_b64 exec, exec, s[8:9]
	s_and_b64 s[4:5], s[4:5], exec
	s_or_saveexec_b64 s[6:7], s[6:7]
	v_mov_b32_e32 v4, s10
	s_xor_b64 exec, exec, s[6:7]
	s_cbranch_execz .LBB17_494
.LBB17_2544:
	v_mov_b32_e32 v4, 0
	v_cmp_ne_u16_sdwa s[8:9], v3, v4 src0_sel:BYTE_0 src1_sel:DWORD
	s_andn2_b64 s[4:5], s[4:5], exec
	s_and_b64 s[8:9], s[8:9], exec
	s_or_b64 s[4:5], s[4:5], s[8:9]
	s_or_b64 exec, exec, s[6:7]
	s_and_saveexec_b64 s[6:7], s[4:5]
	s_cbranch_execnz .LBB17_495
	s_branch .LBB17_496
.LBB17_2545:
	s_movk_i32 s4, 0x80
	v_cmp_eq_u16_e32 vcc, s4, v3
	s_mov_b64 s[4:5], -1
                                        ; implicit-def: $sgpr10
	s_and_saveexec_b64 s[8:9], vcc
; %bb.2546:
	s_mov_b32 s10, 0x7f800001
	s_xor_b64 s[4:5], exec, -1
; %bb.2547:
	s_or_b64 exec, exec, s[8:9]
	s_and_b64 s[4:5], s[4:5], exec
                                        ; implicit-def: $vgpr3
	s_or_saveexec_b64 s[6:7], s[6:7]
	v_mov_b32_e32 v2, s10
	s_xor_b64 exec, exec, s[6:7]
	s_cbranch_execz .LBB17_498
.LBB17_2548:
	v_cmp_ne_u16_e32 vcc, 0, v3
	s_andn2_b64 s[4:5], s[4:5], exec
	s_and_b64 s[8:9], vcc, exec
	v_mov_b32_e32 v2, 0
	s_or_b64 s[4:5], s[4:5], s[8:9]
	s_or_b64 exec, exec, s[6:7]
	s_and_saveexec_b64 s[6:7], s[4:5]
	s_cbranch_execnz .LBB17_499
	s_branch .LBB17_500
.LBB17_2549:
	s_movk_i32 s4, 0x80
	v_cmp_eq_u16_e32 vcc, s4, v3
	s_mov_b64 s[4:5], -1
                                        ; implicit-def: $sgpr10
	s_and_saveexec_b64 s[8:9], vcc
; %bb.2550:
	s_mov_b32 s10, 0x7f800001
	s_xor_b64 s[4:5], exec, -1
; %bb.2551:
	s_or_b64 exec, exec, s[8:9]
	s_and_b64 s[4:5], s[4:5], exec
                                        ; implicit-def: $vgpr3
	s_or_saveexec_b64 s[6:7], s[6:7]
	v_mov_b32_e32 v4, s10
	s_xor_b64 exec, exec, s[6:7]
	s_cbranch_execz .LBB17_502
.LBB17_2552:
	v_cmp_ne_u16_e32 vcc, 0, v3
	s_andn2_b64 s[4:5], s[4:5], exec
	s_and_b64 s[8:9], vcc, exec
	v_mov_b32_e32 v4, 0
	s_or_b64 s[4:5], s[4:5], s[8:9]
	s_or_b64 exec, exec, s[6:7]
	s_and_saveexec_b64 s[6:7], s[4:5]
	s_cbranch_execnz .LBB17_503
	s_branch .LBB17_504
.LBB17_2553:
	s_movk_i32 s4, 0x80
	v_cmp_eq_u16_sdwa s[12:13], v9, s4 src0_sel:BYTE_3 src1_sel:DWORD
	s_mov_b64 s[4:5], -1
                                        ; implicit-def: $sgpr10
	s_and_saveexec_b64 s[8:9], s[12:13]
; %bb.2554:
	s_mov_b32 s10, 0x7f800001
	s_xor_b64 s[4:5], exec, -1
; %bb.2555:
	s_or_b64 exec, exec, s[8:9]
	s_and_b64 s[4:5], s[4:5], exec
	s_or_saveexec_b64 s[6:7], s[6:7]
	v_mov_b32_e32 v2, s10
	s_xor_b64 exec, exec, s[6:7]
	s_cbranch_execz .LBB17_506
.LBB17_2556:
	v_mov_b32_e32 v2, 0
	v_cmp_ne_u16_sdwa s[8:9], v9, v2 src0_sel:BYTE_3 src1_sel:DWORD
	s_andn2_b64 s[4:5], s[4:5], exec
	s_and_b64 s[8:9], s[8:9], exec
	s_or_b64 s[4:5], s[4:5], s[8:9]
	s_or_b64 exec, exec, s[6:7]
	s_and_saveexec_b64 s[6:7], s[4:5]
	s_cbranch_execnz .LBB17_507
	s_branch .LBB17_508
.LBB17_2557:
	s_movk_i32 s4, 0x80
	v_cmp_eq_u16_sdwa s[12:13], v5, s4 src0_sel:BYTE_3 src1_sel:DWORD
	s_mov_b64 s[4:5], -1
                                        ; implicit-def: $sgpr10
	s_and_saveexec_b64 s[8:9], s[12:13]
; %bb.2558:
	s_mov_b32 s10, 0x7f800001
	s_xor_b64 s[4:5], exec, -1
; %bb.2559:
	s_or_b64 exec, exec, s[8:9]
	s_and_b64 s[4:5], s[4:5], exec
	s_or_saveexec_b64 s[6:7], s[6:7]
	v_mov_b32_e32 v3, s10
	s_xor_b64 exec, exec, s[6:7]
	s_cbranch_execz .LBB17_510
.LBB17_2560:
	v_mov_b32_e32 v3, 0
	v_cmp_ne_u16_sdwa s[8:9], v5, v3 src0_sel:BYTE_3 src1_sel:DWORD
	s_andn2_b64 s[4:5], s[4:5], exec
	s_and_b64 s[8:9], s[8:9], exec
	s_or_b64 s[4:5], s[4:5], s[8:9]
	s_or_b64 exec, exec, s[6:7]
	s_and_saveexec_b64 s[6:7], s[4:5]
	s_cbranch_execnz .LBB17_511
	s_branch .LBB17_512
.LBB17_2561:
	s_movk_i32 s4, 0x80
	v_cmp_eq_u16_sdwa s[12:13], v14, s4 src0_sel:BYTE_0 src1_sel:DWORD
	s_mov_b64 s[4:5], -1
                                        ; implicit-def: $sgpr10
	s_and_saveexec_b64 s[8:9], s[12:13]
; %bb.2562:
	s_mov_b32 s10, 0x7f800001
	s_xor_b64 s[4:5], exec, -1
; %bb.2563:
	s_or_b64 exec, exec, s[8:9]
	s_and_b64 s[4:5], s[4:5], exec
	s_or_saveexec_b64 s[6:7], s[6:7]
	v_mov_b32_e32 v20, s10
	s_xor_b64 exec, exec, s[6:7]
	s_cbranch_execz .LBB17_514
.LBB17_2564:
	v_mov_b32_e32 v20, 0
	v_cmp_ne_u16_sdwa s[8:9], v14, v20 src0_sel:BYTE_0 src1_sel:DWORD
	s_andn2_b64 s[4:5], s[4:5], exec
	s_and_b64 s[8:9], s[8:9], exec
	s_or_b64 s[4:5], s[4:5], s[8:9]
	s_or_b64 exec, exec, s[6:7]
	s_and_saveexec_b64 s[6:7], s[4:5]
	s_cbranch_execnz .LBB17_515
	s_branch .LBB17_516
.LBB17_2565:
	s_movk_i32 s4, 0x80
	v_cmp_eq_u16_sdwa s[12:13], v10, s4 src0_sel:BYTE_0 src1_sel:DWORD
	s_mov_b64 s[4:5], -1
                                        ; implicit-def: $sgpr10
	s_and_saveexec_b64 s[8:9], s[12:13]
; %bb.2566:
	s_mov_b32 s10, 0x7f800001
	s_xor_b64 s[4:5], exec, -1
; %bb.2567:
	s_or_b64 exec, exec, s[8:9]
	s_and_b64 s[4:5], s[4:5], exec
	s_or_saveexec_b64 s[6:7], s[6:7]
	v_mov_b32_e32 v21, s10
	s_xor_b64 exec, exec, s[6:7]
	s_cbranch_execz .LBB17_518
.LBB17_2568:
	v_mov_b32_e32 v21, 0
	v_cmp_ne_u16_sdwa s[8:9], v10, v21 src0_sel:BYTE_0 src1_sel:DWORD
	s_andn2_b64 s[4:5], s[4:5], exec
	s_and_b64 s[8:9], s[8:9], exec
	s_or_b64 s[4:5], s[4:5], s[8:9]
	s_or_b64 exec, exec, s[6:7]
	s_and_saveexec_b64 s[6:7], s[4:5]
	s_cbranch_execnz .LBB17_519
	s_branch .LBB17_520
.LBB17_2569:
	s_movk_i32 s4, 0x80
	v_cmp_eq_u16_sdwa s[12:13], v21, s4 src0_sel:BYTE_0 src1_sel:DWORD
	s_mov_b64 s[4:5], -1
                                        ; implicit-def: $sgpr10
	s_and_saveexec_b64 s[8:9], s[12:13]
; %bb.2570:
	s_mov_b32 s10, 0x7f800001
	s_xor_b64 s[4:5], exec, -1
; %bb.2571:
	s_or_b64 exec, exec, s[8:9]
	s_and_b64 s[4:5], s[4:5], exec
	s_or_saveexec_b64 s[6:7], s[6:7]
	v_mov_b32_e32 v20, s10
	s_xor_b64 exec, exec, s[6:7]
	s_cbranch_execz .LBB17_522
.LBB17_2572:
	v_mov_b32_e32 v20, 0
	v_cmp_ne_u16_sdwa s[8:9], v21, v20 src0_sel:BYTE_0 src1_sel:DWORD
	s_andn2_b64 s[4:5], s[4:5], exec
	s_and_b64 s[8:9], s[8:9], exec
	s_or_b64 s[4:5], s[4:5], s[8:9]
	s_or_b64 exec, exec, s[6:7]
	s_and_saveexec_b64 s[6:7], s[4:5]
	s_cbranch_execnz .LBB17_523
	s_branch .LBB17_524
.LBB17_2573:
	s_movk_i32 s4, 0x80
	v_cmp_eq_u16_sdwa s[12:13], v21, s4 src0_sel:BYTE_0 src1_sel:DWORD
	s_mov_b64 s[4:5], -1
                                        ; implicit-def: $sgpr10
	s_and_saveexec_b64 s[8:9], s[12:13]
; %bb.2574:
	s_mov_b32 s10, 0x7f800001
	s_xor_b64 s[4:5], exec, -1
; %bb.2575:
	s_or_b64 exec, exec, s[8:9]
	s_and_b64 s[4:5], s[4:5], exec
	s_or_saveexec_b64 s[6:7], s[6:7]
	v_mov_b32_e32 v22, s10
	s_xor_b64 exec, exec, s[6:7]
	s_cbranch_execz .LBB17_526
.LBB17_2576:
	v_mov_b32_e32 v22, 0
	v_cmp_ne_u16_sdwa s[8:9], v21, v22 src0_sel:BYTE_0 src1_sel:DWORD
	s_andn2_b64 s[4:5], s[4:5], exec
	s_and_b64 s[8:9], s[8:9], exec
	s_or_b64 s[4:5], s[4:5], s[8:9]
	s_or_b64 exec, exec, s[6:7]
	s_and_saveexec_b64 s[6:7], s[4:5]
	s_cbranch_execnz .LBB17_527
	s_branch .LBB17_528
.LBB17_2577:
	s_movk_i32 s4, 0x80
	v_cmp_eq_u16_e32 vcc, s4, v21
	s_mov_b64 s[4:5], -1
                                        ; implicit-def: $sgpr10
	s_and_saveexec_b64 s[8:9], vcc
; %bb.2578:
	s_mov_b32 s10, 0x7f800001
	s_xor_b64 s[4:5], exec, -1
; %bb.2579:
	s_or_b64 exec, exec, s[8:9]
	s_and_b64 s[4:5], s[4:5], exec
                                        ; implicit-def: $vgpr21
	s_or_saveexec_b64 s[6:7], s[6:7]
	v_mov_b32_e32 v20, s10
	s_xor_b64 exec, exec, s[6:7]
	s_cbranch_execz .LBB17_530
.LBB17_2580:
	v_cmp_ne_u16_e32 vcc, 0, v21
	s_andn2_b64 s[4:5], s[4:5], exec
	s_and_b64 s[8:9], vcc, exec
	v_mov_b32_e32 v20, 0
	s_or_b64 s[4:5], s[4:5], s[8:9]
	s_or_b64 exec, exec, s[6:7]
	s_and_saveexec_b64 s[6:7], s[4:5]
	s_cbranch_execnz .LBB17_531
	s_branch .LBB17_532
.LBB17_2581:
	s_movk_i32 s4, 0x80
	v_cmp_eq_u16_e32 vcc, s4, v21
	s_mov_b64 s[4:5], -1
                                        ; implicit-def: $sgpr10
	s_and_saveexec_b64 s[8:9], vcc
; %bb.2582:
	s_mov_b32 s10, 0x7f800001
	s_xor_b64 s[4:5], exec, -1
; %bb.2583:
	s_or_b64 exec, exec, s[8:9]
	s_and_b64 s[4:5], s[4:5], exec
                                        ; implicit-def: $vgpr21
	s_or_saveexec_b64 s[6:7], s[6:7]
	v_mov_b32_e32 v22, s10
	s_xor_b64 exec, exec, s[6:7]
	s_cbranch_execz .LBB17_534
.LBB17_2584:
	v_cmp_ne_u16_e32 vcc, 0, v21
	s_andn2_b64 s[4:5], s[4:5], exec
	s_and_b64 s[8:9], vcc, exec
	v_mov_b32_e32 v22, 0
	s_or_b64 s[4:5], s[4:5], s[8:9]
	s_or_b64 exec, exec, s[6:7]
	s_and_saveexec_b64 s[6:7], s[4:5]
	s_cbranch_execnz .LBB17_535
	s_branch .LBB17_536
.LBB17_2585:
	s_movk_i32 s4, 0x80
	v_cmp_eq_u16_sdwa s[12:13], v14, s4 src0_sel:BYTE_3 src1_sel:DWORD
	s_mov_b64 s[4:5], -1
                                        ; implicit-def: $sgpr10
	s_and_saveexec_b64 s[8:9], s[12:13]
; %bb.2586:
	s_mov_b32 s10, 0x7f800001
	s_xor_b64 s[4:5], exec, -1
; %bb.2587:
	s_or_b64 exec, exec, s[8:9]
	s_and_b64 s[4:5], s[4:5], exec
	s_or_saveexec_b64 s[6:7], s[6:7]
	v_mov_b32_e32 v20, s10
	s_xor_b64 exec, exec, s[6:7]
	s_cbranch_execz .LBB17_538
.LBB17_2588:
	v_mov_b32_e32 v20, 0
	v_cmp_ne_u16_sdwa s[8:9], v14, v20 src0_sel:BYTE_3 src1_sel:DWORD
	s_andn2_b64 s[4:5], s[4:5], exec
	s_and_b64 s[8:9], s[8:9], exec
	s_or_b64 s[4:5], s[4:5], s[8:9]
	s_or_b64 exec, exec, s[6:7]
	s_and_saveexec_b64 s[6:7], s[4:5]
	s_cbranch_execnz .LBB17_539
	s_branch .LBB17_540
.LBB17_2589:
	s_movk_i32 s4, 0x80
	v_cmp_eq_u16_sdwa s[12:13], v10, s4 src0_sel:BYTE_3 src1_sel:DWORD
	s_mov_b64 s[4:5], -1
                                        ; implicit-def: $sgpr10
	s_and_saveexec_b64 s[8:9], s[12:13]
; %bb.2590:
	s_mov_b32 s10, 0x7f800001
	s_xor_b64 s[4:5], exec, -1
; %bb.2591:
	s_or_b64 exec, exec, s[8:9]
	s_and_b64 s[4:5], s[4:5], exec
	s_or_saveexec_b64 s[6:7], s[6:7]
	v_mov_b32_e32 v14, s10
	s_xor_b64 exec, exec, s[6:7]
	s_cbranch_execz .LBB17_542
.LBB17_2592:
	v_mov_b32_e32 v14, 0
	v_cmp_ne_u16_sdwa s[8:9], v10, v14 src0_sel:BYTE_3 src1_sel:DWORD
	s_andn2_b64 s[4:5], s[4:5], exec
	s_and_b64 s[8:9], s[8:9], exec
	s_or_b64 s[4:5], s[4:5], s[8:9]
	s_or_b64 exec, exec, s[6:7]
	s_and_saveexec_b64 s[6:7], s[4:5]
	s_cbranch_execnz .LBB17_543
	s_branch .LBB17_544
.LBB17_2593:
	s_movk_i32 s4, 0x80
	v_cmp_eq_u16_sdwa s[12:13], v15, s4 src0_sel:BYTE_0 src1_sel:DWORD
	s_mov_b64 s[4:5], -1
                                        ; implicit-def: $sgpr10
	s_and_saveexec_b64 s[8:9], s[12:13]
; %bb.2594:
	s_mov_b32 s10, 0x7f800001
	s_xor_b64 s[4:5], exec, -1
; %bb.2595:
	s_or_b64 exec, exec, s[8:9]
	s_and_b64 s[4:5], s[4:5], exec
	s_or_saveexec_b64 s[6:7], s[6:7]
	v_mov_b32_e32 v10, s10
	s_xor_b64 exec, exec, s[6:7]
	s_cbranch_execz .LBB17_546
.LBB17_2596:
	v_mov_b32_e32 v10, 0
	v_cmp_ne_u16_sdwa s[8:9], v15, v10 src0_sel:BYTE_0 src1_sel:DWORD
	s_andn2_b64 s[4:5], s[4:5], exec
	s_and_b64 s[8:9], s[8:9], exec
	s_or_b64 s[4:5], s[4:5], s[8:9]
	s_or_b64 exec, exec, s[6:7]
	s_and_saveexec_b64 s[6:7], s[4:5]
	s_cbranch_execnz .LBB17_547
	s_branch .LBB17_548
.LBB17_2597:
	s_movk_i32 s4, 0x80
	v_cmp_eq_u16_sdwa s[12:13], v11, s4 src0_sel:BYTE_0 src1_sel:DWORD
	s_mov_b64 s[4:5], -1
                                        ; implicit-def: $sgpr10
	s_and_saveexec_b64 s[8:9], s[12:13]
; %bb.2598:
	s_mov_b32 s10, 0x7f800001
	s_xor_b64 s[4:5], exec, -1
; %bb.2599:
	s_or_b64 exec, exec, s[8:9]
	s_and_b64 s[4:5], s[4:5], exec
	s_or_saveexec_b64 s[6:7], s[6:7]
	v_mov_b32_e32 v14, s10
	s_xor_b64 exec, exec, s[6:7]
	s_cbranch_execz .LBB17_550
.LBB17_2600:
	v_mov_b32_e32 v14, 0
	v_cmp_ne_u16_sdwa s[8:9], v11, v14 src0_sel:BYTE_0 src1_sel:DWORD
	s_andn2_b64 s[4:5], s[4:5], exec
	s_and_b64 s[8:9], s[8:9], exec
	s_or_b64 s[4:5], s[4:5], s[8:9]
	s_or_b64 exec, exec, s[6:7]
	s_and_saveexec_b64 s[6:7], s[4:5]
	s_cbranch_execnz .LBB17_551
	s_branch .LBB17_552
.LBB17_2601:
	s_movk_i32 s4, 0x80
	v_cmp_eq_u16_sdwa s[12:13], v14, s4 src0_sel:BYTE_0 src1_sel:DWORD
	s_mov_b64 s[4:5], -1
                                        ; implicit-def: $sgpr10
	s_and_saveexec_b64 s[8:9], s[12:13]
; %bb.2602:
	s_mov_b32 s10, 0x7f800001
	s_xor_b64 s[4:5], exec, -1
; %bb.2603:
	s_or_b64 exec, exec, s[8:9]
	s_and_b64 s[4:5], s[4:5], exec
	s_or_saveexec_b64 s[6:7], s[6:7]
	v_mov_b32_e32 v10, s10
	s_xor_b64 exec, exec, s[6:7]
	s_cbranch_execz .LBB17_554
.LBB17_2604:
	v_mov_b32_e32 v10, 0
	v_cmp_ne_u16_sdwa s[8:9], v14, v10 src0_sel:BYTE_0 src1_sel:DWORD
	s_andn2_b64 s[4:5], s[4:5], exec
	s_and_b64 s[8:9], s[8:9], exec
	s_or_b64 s[4:5], s[4:5], s[8:9]
	s_or_b64 exec, exec, s[6:7]
	s_and_saveexec_b64 s[6:7], s[4:5]
	s_cbranch_execnz .LBB17_555
	s_branch .LBB17_556
.LBB17_2605:
	s_movk_i32 s4, 0x80
	v_cmp_eq_u16_sdwa s[12:13], v14, s4 src0_sel:BYTE_0 src1_sel:DWORD
	s_mov_b64 s[4:5], -1
                                        ; implicit-def: $sgpr10
	s_and_saveexec_b64 s[8:9], s[12:13]
; %bb.2606:
	s_mov_b32 s10, 0x7f800001
	s_xor_b64 s[4:5], exec, -1
; %bb.2607:
	s_or_b64 exec, exec, s[8:9]
	s_and_b64 s[4:5], s[4:5], exec
	s_or_saveexec_b64 s[6:7], s[6:7]
	v_mov_b32_e32 v20, s10
	s_xor_b64 exec, exec, s[6:7]
	s_cbranch_execz .LBB17_558
.LBB17_2608:
	v_mov_b32_e32 v20, 0
	v_cmp_ne_u16_sdwa s[8:9], v14, v20 src0_sel:BYTE_0 src1_sel:DWORD
	s_andn2_b64 s[4:5], s[4:5], exec
	s_and_b64 s[8:9], s[8:9], exec
	s_or_b64 s[4:5], s[4:5], s[8:9]
	s_or_b64 exec, exec, s[6:7]
	s_and_saveexec_b64 s[6:7], s[4:5]
	s_cbranch_execnz .LBB17_559
	s_branch .LBB17_560
.LBB17_2609:
	s_movk_i32 s4, 0x80
	v_cmp_eq_u16_e32 vcc, s4, v14
	s_mov_b64 s[4:5], -1
                                        ; implicit-def: $sgpr10
	s_and_saveexec_b64 s[8:9], vcc
; %bb.2610:
	s_mov_b32 s10, 0x7f800001
	s_xor_b64 s[4:5], exec, -1
; %bb.2611:
	s_or_b64 exec, exec, s[8:9]
	s_and_b64 s[4:5], s[4:5], exec
                                        ; implicit-def: $vgpr14
	s_or_saveexec_b64 s[6:7], s[6:7]
	v_mov_b32_e32 v10, s10
	s_xor_b64 exec, exec, s[6:7]
	s_cbranch_execz .LBB17_562
.LBB17_2612:
	v_cmp_ne_u16_e32 vcc, 0, v14
	s_andn2_b64 s[4:5], s[4:5], exec
	s_and_b64 s[8:9], vcc, exec
	v_mov_b32_e32 v10, 0
	s_or_b64 s[4:5], s[4:5], s[8:9]
	s_or_b64 exec, exec, s[6:7]
	s_and_saveexec_b64 s[6:7], s[4:5]
	s_cbranch_execnz .LBB17_563
	s_branch .LBB17_564
.LBB17_2613:
	s_movk_i32 s4, 0x80
	v_cmp_eq_u16_e32 vcc, s4, v14
	s_mov_b64 s[4:5], -1
                                        ; implicit-def: $sgpr10
	s_and_saveexec_b64 s[8:9], vcc
; %bb.2614:
	s_mov_b32 s10, 0x7f800001
	s_xor_b64 s[4:5], exec, -1
; %bb.2615:
	s_or_b64 exec, exec, s[8:9]
	s_and_b64 s[4:5], s[4:5], exec
                                        ; implicit-def: $vgpr14
	s_or_saveexec_b64 s[6:7], s[6:7]
	v_mov_b32_e32 v20, s10
	s_xor_b64 exec, exec, s[6:7]
	s_cbranch_execz .LBB17_566
.LBB17_2616:
	v_cmp_ne_u16_e32 vcc, 0, v14
	s_andn2_b64 s[4:5], s[4:5], exec
	s_and_b64 s[8:9], vcc, exec
	v_mov_b32_e32 v20, 0
	s_or_b64 s[4:5], s[4:5], s[8:9]
	s_or_b64 exec, exec, s[6:7]
	s_and_saveexec_b64 s[6:7], s[4:5]
	s_cbranch_execnz .LBB17_567
	s_branch .LBB17_568
.LBB17_2617:
	s_movk_i32 s4, 0x80
	v_cmp_eq_u16_sdwa s[12:13], v15, s4 src0_sel:BYTE_3 src1_sel:DWORD
	s_mov_b64 s[4:5], -1
                                        ; implicit-def: $sgpr10
	s_and_saveexec_b64 s[8:9], s[12:13]
; %bb.2618:
	s_mov_b32 s10, 0x7f800001
	s_xor_b64 s[4:5], exec, -1
; %bb.2619:
	s_or_b64 exec, exec, s[8:9]
	s_and_b64 s[4:5], s[4:5], exec
	s_or_saveexec_b64 s[6:7], s[6:7]
	v_mov_b32_e32 v10, s10
	s_xor_b64 exec, exec, s[6:7]
	s_cbranch_execz .LBB17_570
.LBB17_2620:
	v_mov_b32_e32 v10, 0
	v_cmp_ne_u16_sdwa s[8:9], v15, v10 src0_sel:BYTE_3 src1_sel:DWORD
	s_andn2_b64 s[4:5], s[4:5], exec
	s_and_b64 s[8:9], s[8:9], exec
	s_or_b64 s[4:5], s[4:5], s[8:9]
	s_or_b64 exec, exec, s[6:7]
	s_and_saveexec_b64 s[6:7], s[4:5]
	s_cbranch_execnz .LBB17_571
	s_branch .LBB17_572
.LBB17_2621:
	s_movk_i32 s4, 0x80
	v_cmp_eq_u16_sdwa s[12:13], v11, s4 src0_sel:BYTE_3 src1_sel:DWORD
	s_mov_b64 s[4:5], -1
                                        ; implicit-def: $sgpr10
	s_and_saveexec_b64 s[8:9], s[12:13]
; %bb.2622:
	s_mov_b32 s10, 0x7f800001
	s_xor_b64 s[4:5], exec, -1
; %bb.2623:
	s_or_b64 exec, exec, s[8:9]
	s_and_b64 s[4:5], s[4:5], exec
	s_or_saveexec_b64 s[6:7], s[6:7]
	v_mov_b32_e32 v14, s10
	s_xor_b64 exec, exec, s[6:7]
	s_cbranch_execz .LBB17_574
.LBB17_2624:
	v_mov_b32_e32 v14, 0
	v_cmp_ne_u16_sdwa s[8:9], v11, v14 src0_sel:BYTE_3 src1_sel:DWORD
	s_andn2_b64 s[4:5], s[4:5], exec
	s_and_b64 s[8:9], s[8:9], exec
	s_or_b64 s[4:5], s[4:5], s[8:9]
	s_or_b64 exec, exec, s[6:7]
	s_and_saveexec_b64 s[6:7], s[4:5]
	s_cbranch_execnz .LBB17_575
	s_branch .LBB17_576
.LBB17_2625:
	s_movk_i32 s4, 0x80
	v_cmp_eq_u16_sdwa s[12:13], v16, s4 src0_sel:BYTE_0 src1_sel:DWORD
	s_mov_b64 s[4:5], -1
                                        ; implicit-def: $sgpr10
	s_and_saveexec_b64 s[8:9], s[12:13]
; %bb.2626:
	s_mov_b32 s10, 0x7f800001
	s_xor_b64 s[4:5], exec, -1
; %bb.2627:
	s_or_b64 exec, exec, s[8:9]
	s_and_b64 s[4:5], s[4:5], exec
	s_or_saveexec_b64 s[6:7], s[6:7]
	v_mov_b32_e32 v10, s10
	s_xor_b64 exec, exec, s[6:7]
	s_cbranch_execz .LBB17_578
.LBB17_2628:
	v_mov_b32_e32 v10, 0
	v_cmp_ne_u16_sdwa s[8:9], v16, v10 src0_sel:BYTE_0 src1_sel:DWORD
	s_andn2_b64 s[4:5], s[4:5], exec
	s_and_b64 s[8:9], s[8:9], exec
	s_or_b64 s[4:5], s[4:5], s[8:9]
	s_or_b64 exec, exec, s[6:7]
	s_and_saveexec_b64 s[6:7], s[4:5]
	s_cbranch_execnz .LBB17_579
	s_branch .LBB17_580
.LBB17_2629:
	s_movk_i32 s4, 0x80
	v_cmp_eq_u16_sdwa s[12:13], v12, s4 src0_sel:BYTE_0 src1_sel:DWORD
	s_mov_b64 s[4:5], -1
                                        ; implicit-def: $sgpr10
	s_and_saveexec_b64 s[8:9], s[12:13]
; %bb.2630:
	s_mov_b32 s10, 0x7f800001
	s_xor_b64 s[4:5], exec, -1
; %bb.2631:
	s_or_b64 exec, exec, s[8:9]
	s_and_b64 s[4:5], s[4:5], exec
	s_or_saveexec_b64 s[6:7], s[6:7]
	v_mov_b32_e32 v11, s10
	s_xor_b64 exec, exec, s[6:7]
	s_cbranch_execz .LBB17_582
.LBB17_2632:
	v_mov_b32_e32 v11, 0
	v_cmp_ne_u16_sdwa s[8:9], v12, v11 src0_sel:BYTE_0 src1_sel:DWORD
	s_andn2_b64 s[4:5], s[4:5], exec
	s_and_b64 s[8:9], s[8:9], exec
	s_or_b64 s[4:5], s[4:5], s[8:9]
	s_or_b64 exec, exec, s[6:7]
	s_and_saveexec_b64 s[6:7], s[4:5]
	s_cbranch_execnz .LBB17_583
	s_branch .LBB17_584
.LBB17_2633:
	s_movk_i32 s4, 0x80
	v_cmp_eq_u16_sdwa s[12:13], v11, s4 src0_sel:BYTE_0 src1_sel:DWORD
	s_mov_b64 s[4:5], -1
                                        ; implicit-def: $sgpr10
	s_and_saveexec_b64 s[8:9], s[12:13]
; %bb.2634:
	s_mov_b32 s10, 0x7f800001
	s_xor_b64 s[4:5], exec, -1
; %bb.2635:
	s_or_b64 exec, exec, s[8:9]
	s_and_b64 s[4:5], s[4:5], exec
	s_or_saveexec_b64 s[6:7], s[6:7]
	v_mov_b32_e32 v10, s10
	s_xor_b64 exec, exec, s[6:7]
	s_cbranch_execz .LBB17_586
.LBB17_2636:
	v_mov_b32_e32 v10, 0
	v_cmp_ne_u16_sdwa s[8:9], v11, v10 src0_sel:BYTE_0 src1_sel:DWORD
	s_andn2_b64 s[4:5], s[4:5], exec
	s_and_b64 s[8:9], s[8:9], exec
	s_or_b64 s[4:5], s[4:5], s[8:9]
	s_or_b64 exec, exec, s[6:7]
	s_and_saveexec_b64 s[6:7], s[4:5]
	s_cbranch_execnz .LBB17_587
	s_branch .LBB17_588
.LBB17_2637:
	s_movk_i32 s4, 0x80
	v_cmp_eq_u16_sdwa s[12:13], v11, s4 src0_sel:BYTE_0 src1_sel:DWORD
	s_mov_b64 s[4:5], -1
                                        ; implicit-def: $sgpr10
	s_and_saveexec_b64 s[8:9], s[12:13]
; %bb.2638:
	s_mov_b32 s10, 0x7f800001
	s_xor_b64 s[4:5], exec, -1
; %bb.2639:
	s_or_b64 exec, exec, s[8:9]
	s_and_b64 s[4:5], s[4:5], exec
	s_or_saveexec_b64 s[6:7], s[6:7]
	v_mov_b32_e32 v14, s10
	s_xor_b64 exec, exec, s[6:7]
	s_cbranch_execz .LBB17_590
.LBB17_2640:
	v_mov_b32_e32 v14, 0
	v_cmp_ne_u16_sdwa s[8:9], v11, v14 src0_sel:BYTE_0 src1_sel:DWORD
	s_andn2_b64 s[4:5], s[4:5], exec
	s_and_b64 s[8:9], s[8:9], exec
	s_or_b64 s[4:5], s[4:5], s[8:9]
	s_or_b64 exec, exec, s[6:7]
	s_and_saveexec_b64 s[6:7], s[4:5]
	s_cbranch_execnz .LBB17_591
	s_branch .LBB17_592
.LBB17_2641:
	s_movk_i32 s4, 0x80
	v_cmp_eq_u16_e32 vcc, s4, v11
	s_mov_b64 s[4:5], -1
                                        ; implicit-def: $sgpr10
	s_and_saveexec_b64 s[8:9], vcc
; %bb.2642:
	s_mov_b32 s10, 0x7f800001
	s_xor_b64 s[4:5], exec, -1
; %bb.2643:
	s_or_b64 exec, exec, s[8:9]
	s_and_b64 s[4:5], s[4:5], exec
                                        ; implicit-def: $vgpr11
	s_or_saveexec_b64 s[6:7], s[6:7]
	v_mov_b32_e32 v10, s10
	s_xor_b64 exec, exec, s[6:7]
	s_cbranch_execz .LBB17_594
.LBB17_2644:
	v_cmp_ne_u16_e32 vcc, 0, v11
	s_andn2_b64 s[4:5], s[4:5], exec
	s_and_b64 s[8:9], vcc, exec
	v_mov_b32_e32 v10, 0
	s_or_b64 s[4:5], s[4:5], s[8:9]
	s_or_b64 exec, exec, s[6:7]
	s_and_saveexec_b64 s[6:7], s[4:5]
	s_cbranch_execnz .LBB17_595
	s_branch .LBB17_596
.LBB17_2645:
	s_movk_i32 s4, 0x80
	v_cmp_eq_u16_e32 vcc, s4, v11
	s_mov_b64 s[4:5], -1
                                        ; implicit-def: $sgpr10
	s_and_saveexec_b64 s[8:9], vcc
; %bb.2646:
	s_mov_b32 s10, 0x7f800001
	s_xor_b64 s[4:5], exec, -1
; %bb.2647:
	s_or_b64 exec, exec, s[8:9]
	s_and_b64 s[4:5], s[4:5], exec
                                        ; implicit-def: $vgpr11
	s_or_saveexec_b64 s[6:7], s[6:7]
	v_mov_b32_e32 v14, s10
	s_xor_b64 exec, exec, s[6:7]
	s_cbranch_execz .LBB17_598
.LBB17_2648:
	v_cmp_ne_u16_e32 vcc, 0, v11
	s_andn2_b64 s[4:5], s[4:5], exec
	s_and_b64 s[8:9], vcc, exec
	v_mov_b32_e32 v14, 0
	s_or_b64 s[4:5], s[4:5], s[8:9]
	s_or_b64 exec, exec, s[6:7]
	s_and_saveexec_b64 s[6:7], s[4:5]
	s_cbranch_execnz .LBB17_599
	s_branch .LBB17_600
.LBB17_2649:
	s_movk_i32 s4, 0x80
	v_cmp_eq_u16_sdwa s[12:13], v16, s4 src0_sel:BYTE_3 src1_sel:DWORD
	s_mov_b64 s[4:5], -1
                                        ; implicit-def: $sgpr10
	s_and_saveexec_b64 s[8:9], s[12:13]
; %bb.2650:
	s_mov_b32 s10, 0x7f800001
	s_xor_b64 s[4:5], exec, -1
; %bb.2651:
	s_or_b64 exec, exec, s[8:9]
	s_and_b64 s[4:5], s[4:5], exec
	s_or_saveexec_b64 s[6:7], s[6:7]
	v_mov_b32_e32 v10, s10
	s_xor_b64 exec, exec, s[6:7]
	s_cbranch_execz .LBB17_602
.LBB17_2652:
	v_mov_b32_e32 v10, 0
	v_cmp_ne_u16_sdwa s[8:9], v16, v10 src0_sel:BYTE_3 src1_sel:DWORD
	s_andn2_b64 s[4:5], s[4:5], exec
	s_and_b64 s[8:9], s[8:9], exec
	s_or_b64 s[4:5], s[4:5], s[8:9]
	s_or_b64 exec, exec, s[6:7]
	s_and_saveexec_b64 s[6:7], s[4:5]
	s_cbranch_execnz .LBB17_603
	s_branch .LBB17_604
.LBB17_2653:
	s_movk_i32 s4, 0x80
	v_cmp_eq_u16_sdwa s[12:13], v12, s4 src0_sel:BYTE_3 src1_sel:DWORD
	s_mov_b64 s[4:5], -1
                                        ; implicit-def: $sgpr10
	s_and_saveexec_b64 s[8:9], s[12:13]
; %bb.2654:
	s_mov_b32 s10, 0x7f800001
	s_xor_b64 s[4:5], exec, -1
; %bb.2655:
	s_or_b64 exec, exec, s[8:9]
	s_and_b64 s[4:5], s[4:5], exec
	s_or_saveexec_b64 s[6:7], s[6:7]
	v_mov_b32_e32 v11, s10
	s_xor_b64 exec, exec, s[6:7]
	s_cbranch_execz .LBB17_606
.LBB17_2656:
	v_mov_b32_e32 v11, 0
	v_cmp_ne_u16_sdwa s[8:9], v12, v11 src0_sel:BYTE_3 src1_sel:DWORD
	s_andn2_b64 s[4:5], s[4:5], exec
	s_and_b64 s[8:9], s[8:9], exec
	s_or_b64 s[4:5], s[4:5], s[8:9]
	s_or_b64 exec, exec, s[6:7]
	s_and_saveexec_b64 s[6:7], s[4:5]
	s_cbranch_execnz .LBB17_607
	s_branch .LBB17_608
.LBB17_2657:
	s_movk_i32 s4, 0x80
	v_cmp_eq_u16_sdwa s[12:13], v17, s4 src0_sel:BYTE_0 src1_sel:DWORD
	s_mov_b64 s[4:5], -1
                                        ; implicit-def: $sgpr10
	s_and_saveexec_b64 s[8:9], s[12:13]
; %bb.2658:
	s_mov_b32 s10, 0x7f800001
	s_xor_b64 s[4:5], exec, -1
; %bb.2659:
	s_or_b64 exec, exec, s[8:9]
	s_and_b64 s[4:5], s[4:5], exec
	s_or_saveexec_b64 s[6:7], s[6:7]
	v_mov_b32_e32 v10, s10
	s_xor_b64 exec, exec, s[6:7]
	s_cbranch_execz .LBB17_610
.LBB17_2660:
	v_mov_b32_e32 v10, 0
	v_cmp_ne_u16_sdwa s[8:9], v17, v10 src0_sel:BYTE_0 src1_sel:DWORD
	s_andn2_b64 s[4:5], s[4:5], exec
	s_and_b64 s[8:9], s[8:9], exec
	s_or_b64 s[4:5], s[4:5], s[8:9]
	s_or_b64 exec, exec, s[6:7]
	s_and_saveexec_b64 s[6:7], s[4:5]
	s_cbranch_execnz .LBB17_611
	s_branch .LBB17_612
.LBB17_2661:
	s_movk_i32 s4, 0x80
	v_cmp_eq_u16_sdwa s[12:13], v13, s4 src0_sel:BYTE_0 src1_sel:DWORD
	s_mov_b64 s[4:5], -1
                                        ; implicit-def: $sgpr10
	s_and_saveexec_b64 s[8:9], s[12:13]
; %bb.2662:
	s_mov_b32 s10, 0x7f800001
	s_xor_b64 s[4:5], exec, -1
; %bb.2663:
	s_or_b64 exec, exec, s[8:9]
	s_and_b64 s[4:5], s[4:5], exec
	s_or_saveexec_b64 s[6:7], s[6:7]
	v_mov_b32_e32 v11, s10
	s_xor_b64 exec, exec, s[6:7]
	s_cbranch_execz .LBB17_614
.LBB17_2664:
	v_mov_b32_e32 v11, 0
	v_cmp_ne_u16_sdwa s[8:9], v13, v11 src0_sel:BYTE_0 src1_sel:DWORD
	s_andn2_b64 s[4:5], s[4:5], exec
	s_and_b64 s[8:9], s[8:9], exec
	s_or_b64 s[4:5], s[4:5], s[8:9]
	s_or_b64 exec, exec, s[6:7]
	s_and_saveexec_b64 s[6:7], s[4:5]
	s_cbranch_execnz .LBB17_615
	s_branch .LBB17_616
.LBB17_2665:
	s_movk_i32 s4, 0x80
	v_cmp_eq_u16_sdwa s[12:13], v11, s4 src0_sel:BYTE_0 src1_sel:DWORD
	s_mov_b64 s[4:5], -1
                                        ; implicit-def: $sgpr10
	s_and_saveexec_b64 s[8:9], s[12:13]
; %bb.2666:
	s_mov_b32 s10, 0x7f800001
	s_xor_b64 s[4:5], exec, -1
; %bb.2667:
	s_or_b64 exec, exec, s[8:9]
	s_and_b64 s[4:5], s[4:5], exec
	s_or_saveexec_b64 s[6:7], s[6:7]
	v_mov_b32_e32 v10, s10
	s_xor_b64 exec, exec, s[6:7]
	s_cbranch_execz .LBB17_618
.LBB17_2668:
	v_mov_b32_e32 v10, 0
	v_cmp_ne_u16_sdwa s[8:9], v11, v10 src0_sel:BYTE_0 src1_sel:DWORD
	s_andn2_b64 s[4:5], s[4:5], exec
	s_and_b64 s[8:9], s[8:9], exec
	s_or_b64 s[4:5], s[4:5], s[8:9]
	s_or_b64 exec, exec, s[6:7]
	s_and_saveexec_b64 s[6:7], s[4:5]
	s_cbranch_execnz .LBB17_619
	s_branch .LBB17_620
.LBB17_2669:
	s_movk_i32 s4, 0x80
	v_cmp_eq_u16_sdwa s[12:13], v11, s4 src0_sel:BYTE_0 src1_sel:DWORD
	s_mov_b64 s[4:5], -1
                                        ; implicit-def: $sgpr10
	s_and_saveexec_b64 s[8:9], s[12:13]
; %bb.2670:
	s_mov_b32 s10, 0x7f800001
	s_xor_b64 s[4:5], exec, -1
; %bb.2671:
	s_or_b64 exec, exec, s[8:9]
	s_and_b64 s[4:5], s[4:5], exec
	s_or_saveexec_b64 s[6:7], s[6:7]
	v_mov_b32_e32 v12, s10
	s_xor_b64 exec, exec, s[6:7]
	s_cbranch_execz .LBB17_622
.LBB17_2672:
	v_mov_b32_e32 v12, 0
	v_cmp_ne_u16_sdwa s[8:9], v11, v12 src0_sel:BYTE_0 src1_sel:DWORD
	s_andn2_b64 s[4:5], s[4:5], exec
	s_and_b64 s[8:9], s[8:9], exec
	s_or_b64 s[4:5], s[4:5], s[8:9]
	s_or_b64 exec, exec, s[6:7]
	s_and_saveexec_b64 s[6:7], s[4:5]
	s_cbranch_execnz .LBB17_623
	s_branch .LBB17_624
.LBB17_2673:
	s_movk_i32 s4, 0x80
	v_cmp_eq_u16_e32 vcc, s4, v11
	s_mov_b64 s[4:5], -1
                                        ; implicit-def: $sgpr10
	s_and_saveexec_b64 s[8:9], vcc
; %bb.2674:
	s_mov_b32 s10, 0x7f800001
	s_xor_b64 s[4:5], exec, -1
; %bb.2675:
	s_or_b64 exec, exec, s[8:9]
	s_and_b64 s[4:5], s[4:5], exec
                                        ; implicit-def: $vgpr11
	s_or_saveexec_b64 s[6:7], s[6:7]
	v_mov_b32_e32 v10, s10
	s_xor_b64 exec, exec, s[6:7]
	s_cbranch_execz .LBB17_626
.LBB17_2676:
	v_cmp_ne_u16_e32 vcc, 0, v11
	s_andn2_b64 s[4:5], s[4:5], exec
	s_and_b64 s[8:9], vcc, exec
	v_mov_b32_e32 v10, 0
	s_or_b64 s[4:5], s[4:5], s[8:9]
	s_or_b64 exec, exec, s[6:7]
	s_and_saveexec_b64 s[6:7], s[4:5]
	s_cbranch_execnz .LBB17_627
	s_branch .LBB17_628
.LBB17_2677:
	s_movk_i32 s4, 0x80
	v_cmp_eq_u16_e32 vcc, s4, v11
	s_mov_b64 s[4:5], -1
                                        ; implicit-def: $sgpr10
	s_and_saveexec_b64 s[8:9], vcc
; %bb.2678:
	s_mov_b32 s10, 0x7f800001
	s_xor_b64 s[4:5], exec, -1
; %bb.2679:
	s_or_b64 exec, exec, s[8:9]
	s_and_b64 s[4:5], s[4:5], exec
                                        ; implicit-def: $vgpr11
	s_or_saveexec_b64 s[6:7], s[6:7]
	v_mov_b32_e32 v12, s10
	s_xor_b64 exec, exec, s[6:7]
	s_cbranch_execz .LBB17_630
.LBB17_2680:
	v_cmp_ne_u16_e32 vcc, 0, v11
	s_andn2_b64 s[4:5], s[4:5], exec
	s_and_b64 s[8:9], vcc, exec
	v_mov_b32_e32 v12, 0
	s_or_b64 s[4:5], s[4:5], s[8:9]
	s_or_b64 exec, exec, s[6:7]
	s_and_saveexec_b64 s[6:7], s[4:5]
	s_cbranch_execnz .LBB17_631
	s_branch .LBB17_632
.LBB17_2681:
	s_movk_i32 s4, 0x80
	v_cmp_eq_u16_sdwa s[12:13], v17, s4 src0_sel:BYTE_3 src1_sel:DWORD
	s_mov_b64 s[4:5], -1
                                        ; implicit-def: $sgpr10
	s_and_saveexec_b64 s[8:9], s[12:13]
; %bb.2682:
	s_mov_b32 s10, 0x7f800001
	s_xor_b64 s[4:5], exec, -1
; %bb.2683:
	s_or_b64 exec, exec, s[8:9]
	s_and_b64 s[4:5], s[4:5], exec
	s_or_saveexec_b64 s[6:7], s[6:7]
	v_mov_b32_e32 v10, s10
	s_xor_b64 exec, exec, s[6:7]
	s_cbranch_execz .LBB17_634
.LBB17_2684:
	v_mov_b32_e32 v10, 0
	v_cmp_ne_u16_sdwa s[8:9], v17, v10 src0_sel:BYTE_3 src1_sel:DWORD
	s_andn2_b64 s[4:5], s[4:5], exec
	s_and_b64 s[8:9], s[8:9], exec
	s_or_b64 s[4:5], s[4:5], s[8:9]
	s_or_b64 exec, exec, s[6:7]
	s_and_saveexec_b64 s[6:7], s[4:5]
	s_cbranch_execnz .LBB17_635
	s_branch .LBB17_636
.LBB17_2685:
	s_movk_i32 s4, 0x80
	v_cmp_eq_u16_sdwa s[12:13], v13, s4 src0_sel:BYTE_3 src1_sel:DWORD
	s_mov_b64 s[4:5], -1
                                        ; implicit-def: $sgpr10
	s_and_saveexec_b64 s[8:9], s[12:13]
; %bb.2686:
	s_mov_b32 s10, 0x7f800001
	s_xor_b64 s[4:5], exec, -1
; %bb.2687:
	s_or_b64 exec, exec, s[8:9]
	s_and_b64 s[4:5], s[4:5], exec
	s_or_saveexec_b64 s[6:7], s[6:7]
	v_mov_b32_e32 v11, s10
	s_xor_b64 exec, exec, s[6:7]
	s_cbranch_execz .LBB17_638
.LBB17_2688:
	v_mov_b32_e32 v11, 0
	v_cmp_ne_u16_sdwa s[8:9], v13, v11 src0_sel:BYTE_3 src1_sel:DWORD
	s_andn2_b64 s[4:5], s[4:5], exec
	s_and_b64 s[8:9], s[8:9], exec
	s_or_b64 s[4:5], s[4:5], s[8:9]
	s_or_b64 exec, exec, s[6:7]
	s_and_saveexec_b64 s[6:7], s[4:5]
	s_cbranch_execnz .LBB17_639
	s_branch .LBB17_640
.LBB17_2689:
	s_movk_i32 s4, 0x80
	v_cmp_eq_u16_sdwa s[12:13], v6, s4 src0_sel:BYTE_0 src1_sel:DWORD
	s_mov_b64 s[4:5], -1
                                        ; implicit-def: $sgpr10
	s_and_saveexec_b64 s[8:9], s[12:13]
; %bb.2690:
	s_mov_b32 s10, 0x7f800001
	s_xor_b64 s[4:5], exec, -1
; %bb.2691:
	s_or_b64 exec, exec, s[8:9]
	s_and_b64 s[4:5], s[4:5], exec
	s_or_saveexec_b64 s[6:7], s[6:7]
	v_mov_b32_e32 v10, s10
	s_xor_b64 exec, exec, s[6:7]
	s_cbranch_execz .LBB17_642
.LBB17_2692:
	v_mov_b32_e32 v10, 0
	v_cmp_ne_u16_sdwa s[8:9], v6, v10 src0_sel:BYTE_0 src1_sel:DWORD
	s_andn2_b64 s[4:5], s[4:5], exec
	s_and_b64 s[8:9], s[8:9], exec
	s_or_b64 s[4:5], s[4:5], s[8:9]
	s_or_b64 exec, exec, s[6:7]
	s_and_saveexec_b64 s[6:7], s[4:5]
	s_cbranch_execnz .LBB17_643
	s_branch .LBB17_644
.LBB17_2693:
	s_movk_i32 s4, 0x80
	v_cmp_eq_u16_sdwa s[12:13], v2, s4 src0_sel:BYTE_0 src1_sel:DWORD
	s_mov_b64 s[4:5], -1
                                        ; implicit-def: $sgpr10
	s_and_saveexec_b64 s[8:9], s[12:13]
; %bb.2694:
	s_mov_b32 s10, 0x7f800001
	s_xor_b64 s[4:5], exec, -1
; %bb.2695:
	s_or_b64 exec, exec, s[8:9]
	s_and_b64 s[4:5], s[4:5], exec
	s_or_saveexec_b64 s[6:7], s[6:7]
	v_mov_b32_e32 v11, s10
	s_xor_b64 exec, exec, s[6:7]
	s_cbranch_execz .LBB17_646
.LBB17_2696:
	v_mov_b32_e32 v11, 0
	v_cmp_ne_u16_sdwa s[8:9], v2, v11 src0_sel:BYTE_0 src1_sel:DWORD
	s_andn2_b64 s[4:5], s[4:5], exec
	s_and_b64 s[8:9], s[8:9], exec
	s_or_b64 s[4:5], s[4:5], s[8:9]
	s_or_b64 exec, exec, s[6:7]
	s_and_saveexec_b64 s[6:7], s[4:5]
	s_cbranch_execnz .LBB17_647
	s_branch .LBB17_648
.LBB17_2697:
	s_movk_i32 s4, 0x80
	v_cmp_eq_u16_sdwa s[12:13], v11, s4 src0_sel:BYTE_0 src1_sel:DWORD
	s_mov_b64 s[4:5], -1
                                        ; implicit-def: $sgpr10
	s_and_saveexec_b64 s[8:9], s[12:13]
; %bb.2698:
	s_mov_b32 s10, 0x7f800001
	s_xor_b64 s[4:5], exec, -1
; %bb.2699:
	s_or_b64 exec, exec, s[8:9]
	s_and_b64 s[4:5], s[4:5], exec
	s_or_saveexec_b64 s[6:7], s[6:7]
	v_mov_b32_e32 v10, s10
	s_xor_b64 exec, exec, s[6:7]
	s_cbranch_execz .LBB17_650
.LBB17_2700:
	v_mov_b32_e32 v10, 0
	v_cmp_ne_u16_sdwa s[8:9], v11, v10 src0_sel:BYTE_0 src1_sel:DWORD
	s_andn2_b64 s[4:5], s[4:5], exec
	s_and_b64 s[8:9], s[8:9], exec
	s_or_b64 s[4:5], s[4:5], s[8:9]
	s_or_b64 exec, exec, s[6:7]
	s_and_saveexec_b64 s[6:7], s[4:5]
	s_cbranch_execnz .LBB17_651
	s_branch .LBB17_652
.LBB17_2701:
	s_movk_i32 s4, 0x80
	v_cmp_eq_u16_sdwa s[12:13], v11, s4 src0_sel:BYTE_0 src1_sel:DWORD
	s_mov_b64 s[4:5], -1
                                        ; implicit-def: $sgpr10
	s_and_saveexec_b64 s[8:9], s[12:13]
; %bb.2702:
	s_mov_b32 s10, 0x7f800001
	s_xor_b64 s[4:5], exec, -1
; %bb.2703:
	s_or_b64 exec, exec, s[8:9]
	s_and_b64 s[4:5], s[4:5], exec
	s_or_saveexec_b64 s[6:7], s[6:7]
	v_mov_b32_e32 v12, s10
	s_xor_b64 exec, exec, s[6:7]
	s_cbranch_execz .LBB17_654
.LBB17_2704:
	v_mov_b32_e32 v12, 0
	v_cmp_ne_u16_sdwa s[8:9], v11, v12 src0_sel:BYTE_0 src1_sel:DWORD
	s_andn2_b64 s[4:5], s[4:5], exec
	s_and_b64 s[8:9], s[8:9], exec
	s_or_b64 s[4:5], s[4:5], s[8:9]
	s_or_b64 exec, exec, s[6:7]
	s_and_saveexec_b64 s[6:7], s[4:5]
	s_cbranch_execnz .LBB17_655
	s_branch .LBB17_656
.LBB17_2705:
	s_movk_i32 s4, 0x80
	v_cmp_eq_u16_e32 vcc, s4, v11
	s_mov_b64 s[4:5], -1
                                        ; implicit-def: $sgpr10
	s_and_saveexec_b64 s[8:9], vcc
; %bb.2706:
	s_mov_b32 s10, 0x7f800001
	s_xor_b64 s[4:5], exec, -1
; %bb.2707:
	s_or_b64 exec, exec, s[8:9]
	s_and_b64 s[4:5], s[4:5], exec
                                        ; implicit-def: $vgpr11
	s_or_saveexec_b64 s[6:7], s[6:7]
	v_mov_b32_e32 v10, s10
	s_xor_b64 exec, exec, s[6:7]
	s_cbranch_execz .LBB17_658
.LBB17_2708:
	v_cmp_ne_u16_e32 vcc, 0, v11
	s_andn2_b64 s[4:5], s[4:5], exec
	s_and_b64 s[8:9], vcc, exec
	v_mov_b32_e32 v10, 0
	s_or_b64 s[4:5], s[4:5], s[8:9]
	s_or_b64 exec, exec, s[6:7]
	s_and_saveexec_b64 s[6:7], s[4:5]
	s_cbranch_execnz .LBB17_659
	s_branch .LBB17_660
.LBB17_2709:
	s_movk_i32 s4, 0x80
	v_cmp_eq_u16_e32 vcc, s4, v11
	s_mov_b64 s[4:5], -1
                                        ; implicit-def: $sgpr10
	s_and_saveexec_b64 s[8:9], vcc
; %bb.2710:
	s_mov_b32 s10, 0x7f800001
	s_xor_b64 s[4:5], exec, -1
; %bb.2711:
	s_or_b64 exec, exec, s[8:9]
	s_and_b64 s[4:5], s[4:5], exec
                                        ; implicit-def: $vgpr11
	s_or_saveexec_b64 s[6:7], s[6:7]
	v_mov_b32_e32 v12, s10
	s_xor_b64 exec, exec, s[6:7]
	s_cbranch_execz .LBB17_662
.LBB17_2712:
	v_cmp_ne_u16_e32 vcc, 0, v11
	s_andn2_b64 s[4:5], s[4:5], exec
	s_and_b64 s[8:9], vcc, exec
	v_mov_b32_e32 v12, 0
	s_or_b64 s[4:5], s[4:5], s[8:9]
	s_or_b64 exec, exec, s[6:7]
	s_and_saveexec_b64 s[6:7], s[4:5]
	s_cbranch_execnz .LBB17_663
	s_branch .LBB17_664
.LBB17_2713:
	s_movk_i32 s4, 0x80
	v_cmp_eq_u16_sdwa s[12:13], v6, s4 src0_sel:BYTE_3 src1_sel:DWORD
	s_mov_b64 s[4:5], -1
                                        ; implicit-def: $sgpr10
	s_and_saveexec_b64 s[8:9], s[12:13]
; %bb.2714:
	s_mov_b32 s10, 0x7f800001
	s_xor_b64 s[4:5], exec, -1
; %bb.2715:
	s_or_b64 exec, exec, s[8:9]
	s_and_b64 s[4:5], s[4:5], exec
	s_or_saveexec_b64 s[6:7], s[6:7]
	v_mov_b32_e32 v10, s10
	s_xor_b64 exec, exec, s[6:7]
	s_cbranch_execz .LBB17_666
.LBB17_2716:
	v_mov_b32_e32 v10, 0
	v_cmp_ne_u16_sdwa s[8:9], v6, v10 src0_sel:BYTE_3 src1_sel:DWORD
	s_andn2_b64 s[4:5], s[4:5], exec
	s_and_b64 s[8:9], s[8:9], exec
	s_or_b64 s[4:5], s[4:5], s[8:9]
	s_or_b64 exec, exec, s[6:7]
	s_and_saveexec_b64 s[6:7], s[4:5]
	s_cbranch_execnz .LBB17_667
	s_branch .LBB17_668
.LBB17_2717:
	s_movk_i32 s4, 0x80
	v_cmp_eq_u16_sdwa s[12:13], v2, s4 src0_sel:BYTE_3 src1_sel:DWORD
	s_mov_b64 s[4:5], -1
                                        ; implicit-def: $sgpr10
	s_and_saveexec_b64 s[8:9], s[12:13]
; %bb.2718:
	s_mov_b32 s10, 0x7f800001
	s_xor_b64 s[4:5], exec, -1
; %bb.2719:
	s_or_b64 exec, exec, s[8:9]
	s_and_b64 s[4:5], s[4:5], exec
	s_or_saveexec_b64 s[6:7], s[6:7]
	v_mov_b32_e32 v6, s10
	s_xor_b64 exec, exec, s[6:7]
	s_cbranch_execz .LBB17_670
.LBB17_2720:
	v_mov_b32_e32 v6, 0
	v_cmp_ne_u16_sdwa s[8:9], v2, v6 src0_sel:BYTE_3 src1_sel:DWORD
	s_andn2_b64 s[4:5], s[4:5], exec
	s_and_b64 s[8:9], s[8:9], exec
	s_or_b64 s[4:5], s[4:5], s[8:9]
	s_or_b64 exec, exec, s[6:7]
	s_and_saveexec_b64 s[6:7], s[4:5]
	s_cbranch_execnz .LBB17_671
	s_branch .LBB17_672
.LBB17_2721:
	s_movk_i32 s4, 0x80
	v_cmp_eq_u16_sdwa s[12:13], v7, s4 src0_sel:BYTE_0 src1_sel:DWORD
	s_mov_b64 s[4:5], -1
                                        ; implicit-def: $sgpr10
	s_and_saveexec_b64 s[8:9], s[12:13]
; %bb.2722:
	s_mov_b32 s10, 0x7f800001
	s_xor_b64 s[4:5], exec, -1
; %bb.2723:
	s_or_b64 exec, exec, s[8:9]
	s_and_b64 s[4:5], s[4:5], exec
	s_or_saveexec_b64 s[6:7], s[6:7]
	v_mov_b32_e32 v2, s10
	s_xor_b64 exec, exec, s[6:7]
	s_cbranch_execz .LBB17_674
.LBB17_2724:
	v_mov_b32_e32 v2, 0
	v_cmp_ne_u16_sdwa s[8:9], v7, v2 src0_sel:BYTE_0 src1_sel:DWORD
	s_andn2_b64 s[4:5], s[4:5], exec
	s_and_b64 s[8:9], s[8:9], exec
	s_or_b64 s[4:5], s[4:5], s[8:9]
	s_or_b64 exec, exec, s[6:7]
	s_and_saveexec_b64 s[6:7], s[4:5]
	s_cbranch_execnz .LBB17_675
	s_branch .LBB17_676
.LBB17_2725:
	s_movk_i32 s4, 0x80
	v_cmp_eq_u16_sdwa s[12:13], v3, s4 src0_sel:BYTE_0 src1_sel:DWORD
	s_mov_b64 s[4:5], -1
                                        ; implicit-def: $sgpr10
	s_and_saveexec_b64 s[8:9], s[12:13]
; %bb.2726:
	s_mov_b32 s10, 0x7f800001
	s_xor_b64 s[4:5], exec, -1
; %bb.2727:
	s_or_b64 exec, exec, s[8:9]
	s_and_b64 s[4:5], s[4:5], exec
	s_or_saveexec_b64 s[6:7], s[6:7]
	v_mov_b32_e32 v6, s10
	s_xor_b64 exec, exec, s[6:7]
	s_cbranch_execz .LBB17_678
.LBB17_2728:
	v_mov_b32_e32 v6, 0
	v_cmp_ne_u16_sdwa s[8:9], v3, v6 src0_sel:BYTE_0 src1_sel:DWORD
	s_andn2_b64 s[4:5], s[4:5], exec
	s_and_b64 s[8:9], s[8:9], exec
	s_or_b64 s[4:5], s[4:5], s[8:9]
	s_or_b64 exec, exec, s[6:7]
	s_and_saveexec_b64 s[6:7], s[4:5]
	s_cbranch_execnz .LBB17_679
	s_branch .LBB17_680
.LBB17_2729:
	s_movk_i32 s4, 0x80
	v_cmp_eq_u16_sdwa s[12:13], v6, s4 src0_sel:BYTE_0 src1_sel:DWORD
	s_mov_b64 s[4:5], -1
                                        ; implicit-def: $sgpr10
	s_and_saveexec_b64 s[8:9], s[12:13]
; %bb.2730:
	s_mov_b32 s10, 0x7f800001
	s_xor_b64 s[4:5], exec, -1
; %bb.2731:
	s_or_b64 exec, exec, s[8:9]
	s_and_b64 s[4:5], s[4:5], exec
	s_or_saveexec_b64 s[6:7], s[6:7]
	v_mov_b32_e32 v2, s10
	s_xor_b64 exec, exec, s[6:7]
	s_cbranch_execz .LBB17_682
.LBB17_2732:
	v_mov_b32_e32 v2, 0
	v_cmp_ne_u16_sdwa s[8:9], v6, v2 src0_sel:BYTE_0 src1_sel:DWORD
	s_andn2_b64 s[4:5], s[4:5], exec
	s_and_b64 s[8:9], s[8:9], exec
	s_or_b64 s[4:5], s[4:5], s[8:9]
	s_or_b64 exec, exec, s[6:7]
	s_and_saveexec_b64 s[6:7], s[4:5]
	s_cbranch_execnz .LBB17_683
	s_branch .LBB17_684
.LBB17_2733:
	s_movk_i32 s4, 0x80
	v_cmp_eq_u16_sdwa s[12:13], v6, s4 src0_sel:BYTE_0 src1_sel:DWORD
	s_mov_b64 s[4:5], -1
                                        ; implicit-def: $sgpr10
	s_and_saveexec_b64 s[8:9], s[12:13]
; %bb.2734:
	s_mov_b32 s10, 0x7f800001
	s_xor_b64 s[4:5], exec, -1
; %bb.2735:
	s_or_b64 exec, exec, s[8:9]
	s_and_b64 s[4:5], s[4:5], exec
	s_or_saveexec_b64 s[6:7], s[6:7]
	v_mov_b32_e32 v10, s10
	s_xor_b64 exec, exec, s[6:7]
	s_cbranch_execz .LBB17_686
.LBB17_2736:
	v_mov_b32_e32 v10, 0
	v_cmp_ne_u16_sdwa s[8:9], v6, v10 src0_sel:BYTE_0 src1_sel:DWORD
	s_andn2_b64 s[4:5], s[4:5], exec
	s_and_b64 s[8:9], s[8:9], exec
	s_or_b64 s[4:5], s[4:5], s[8:9]
	s_or_b64 exec, exec, s[6:7]
	s_and_saveexec_b64 s[6:7], s[4:5]
	s_cbranch_execnz .LBB17_687
	s_branch .LBB17_688
.LBB17_2737:
	s_movk_i32 s4, 0x80
	v_cmp_eq_u16_e32 vcc, s4, v6
	s_mov_b64 s[4:5], -1
                                        ; implicit-def: $sgpr10
	s_and_saveexec_b64 s[8:9], vcc
; %bb.2738:
	s_mov_b32 s10, 0x7f800001
	s_xor_b64 s[4:5], exec, -1
; %bb.2739:
	s_or_b64 exec, exec, s[8:9]
	s_and_b64 s[4:5], s[4:5], exec
                                        ; implicit-def: $vgpr6
	s_or_saveexec_b64 s[6:7], s[6:7]
	v_mov_b32_e32 v2, s10
	s_xor_b64 exec, exec, s[6:7]
	s_cbranch_execz .LBB17_690
.LBB17_2740:
	v_cmp_ne_u16_e32 vcc, 0, v6
	s_andn2_b64 s[4:5], s[4:5], exec
	s_and_b64 s[8:9], vcc, exec
	v_mov_b32_e32 v2, 0
	s_or_b64 s[4:5], s[4:5], s[8:9]
	s_or_b64 exec, exec, s[6:7]
	s_and_saveexec_b64 s[6:7], s[4:5]
	s_cbranch_execnz .LBB17_691
	s_branch .LBB17_692
.LBB17_2741:
	s_movk_i32 s4, 0x80
	v_cmp_eq_u16_e32 vcc, s4, v6
	s_mov_b64 s[4:5], -1
                                        ; implicit-def: $sgpr10
	s_and_saveexec_b64 s[8:9], vcc
; %bb.2742:
	s_mov_b32 s10, 0x7f800001
	s_xor_b64 s[4:5], exec, -1
; %bb.2743:
	s_or_b64 exec, exec, s[8:9]
	s_and_b64 s[4:5], s[4:5], exec
                                        ; implicit-def: $vgpr6
	s_or_saveexec_b64 s[6:7], s[6:7]
	v_mov_b32_e32 v10, s10
	s_xor_b64 exec, exec, s[6:7]
	s_cbranch_execz .LBB17_694
.LBB17_2744:
	v_cmp_ne_u16_e32 vcc, 0, v6
	s_andn2_b64 s[4:5], s[4:5], exec
	s_and_b64 s[8:9], vcc, exec
	v_mov_b32_e32 v10, 0
	s_or_b64 s[4:5], s[4:5], s[8:9]
	s_or_b64 exec, exec, s[6:7]
	s_and_saveexec_b64 s[6:7], s[4:5]
	s_cbranch_execnz .LBB17_695
	s_branch .LBB17_696
.LBB17_2745:
	s_movk_i32 s4, 0x80
	v_cmp_eq_u16_sdwa s[12:13], v7, s4 src0_sel:BYTE_3 src1_sel:DWORD
	s_mov_b64 s[4:5], -1
                                        ; implicit-def: $sgpr10
	s_and_saveexec_b64 s[8:9], s[12:13]
; %bb.2746:
	s_mov_b32 s10, 0x7f800001
	s_xor_b64 s[4:5], exec, -1
; %bb.2747:
	s_or_b64 exec, exec, s[8:9]
	s_and_b64 s[4:5], s[4:5], exec
	s_or_saveexec_b64 s[6:7], s[6:7]
	v_mov_b32_e32 v2, s10
	s_xor_b64 exec, exec, s[6:7]
	s_cbranch_execz .LBB17_698
.LBB17_2748:
	v_mov_b32_e32 v2, 0
	v_cmp_ne_u16_sdwa s[8:9], v7, v2 src0_sel:BYTE_3 src1_sel:DWORD
	s_andn2_b64 s[4:5], s[4:5], exec
	s_and_b64 s[8:9], s[8:9], exec
	s_or_b64 s[4:5], s[4:5], s[8:9]
	s_or_b64 exec, exec, s[6:7]
	s_and_saveexec_b64 s[6:7], s[4:5]
	s_cbranch_execnz .LBB17_699
	s_branch .LBB17_700
.LBB17_2749:
	s_movk_i32 s4, 0x80
	v_cmp_eq_u16_sdwa s[12:13], v3, s4 src0_sel:BYTE_3 src1_sel:DWORD
	s_mov_b64 s[4:5], -1
                                        ; implicit-def: $sgpr10
	s_and_saveexec_b64 s[8:9], s[12:13]
; %bb.2750:
	s_mov_b32 s10, 0x7f800001
	s_xor_b64 s[4:5], exec, -1
; %bb.2751:
	s_or_b64 exec, exec, s[8:9]
	s_and_b64 s[4:5], s[4:5], exec
	s_or_saveexec_b64 s[6:7], s[6:7]
	v_mov_b32_e32 v6, s10
	s_xor_b64 exec, exec, s[6:7]
	s_cbranch_execz .LBB17_702
.LBB17_2752:
	v_mov_b32_e32 v6, 0
	v_cmp_ne_u16_sdwa s[8:9], v3, v6 src0_sel:BYTE_3 src1_sel:DWORD
	s_andn2_b64 s[4:5], s[4:5], exec
	s_and_b64 s[8:9], s[8:9], exec
	s_or_b64 s[4:5], s[4:5], s[8:9]
	s_or_b64 exec, exec, s[6:7]
	s_and_saveexec_b64 s[6:7], s[4:5]
	s_cbranch_execnz .LBB17_703
	s_branch .LBB17_704
.LBB17_2753:
	s_movk_i32 s4, 0x80
	v_cmp_eq_u16_sdwa s[12:13], v8, s4 src0_sel:BYTE_0 src1_sel:DWORD
	s_mov_b64 s[4:5], -1
                                        ; implicit-def: $sgpr10
	s_and_saveexec_b64 s[8:9], s[12:13]
; %bb.2754:
	s_mov_b32 s10, 0x7f800001
	s_xor_b64 s[4:5], exec, -1
; %bb.2755:
	s_or_b64 exec, exec, s[8:9]
	s_and_b64 s[4:5], s[4:5], exec
	s_or_saveexec_b64 s[6:7], s[6:7]
	v_mov_b32_e32 v2, s10
	s_xor_b64 exec, exec, s[6:7]
	s_cbranch_execz .LBB17_706
.LBB17_2756:
	v_mov_b32_e32 v2, 0
	v_cmp_ne_u16_sdwa s[8:9], v8, v2 src0_sel:BYTE_0 src1_sel:DWORD
	s_andn2_b64 s[4:5], s[4:5], exec
	s_and_b64 s[8:9], s[8:9], exec
	s_or_b64 s[4:5], s[4:5], s[8:9]
	s_or_b64 exec, exec, s[6:7]
	s_and_saveexec_b64 s[6:7], s[4:5]
	s_cbranch_execnz .LBB17_707
	s_branch .LBB17_708
.LBB17_2757:
	s_movk_i32 s4, 0x80
	v_cmp_eq_u16_sdwa s[12:13], v4, s4 src0_sel:BYTE_0 src1_sel:DWORD
	s_mov_b64 s[4:5], -1
                                        ; implicit-def: $sgpr10
	s_and_saveexec_b64 s[8:9], s[12:13]
; %bb.2758:
	s_mov_b32 s10, 0x7f800001
	s_xor_b64 s[4:5], exec, -1
; %bb.2759:
	s_or_b64 exec, exec, s[8:9]
	s_and_b64 s[4:5], s[4:5], exec
	s_or_saveexec_b64 s[6:7], s[6:7]
	v_mov_b32_e32 v3, s10
	s_xor_b64 exec, exec, s[6:7]
	s_cbranch_execz .LBB17_710
.LBB17_2760:
	v_mov_b32_e32 v3, 0
	v_cmp_ne_u16_sdwa s[8:9], v4, v3 src0_sel:BYTE_0 src1_sel:DWORD
	s_andn2_b64 s[4:5], s[4:5], exec
	s_and_b64 s[8:9], s[8:9], exec
	s_or_b64 s[4:5], s[4:5], s[8:9]
	s_or_b64 exec, exec, s[6:7]
	s_and_saveexec_b64 s[6:7], s[4:5]
	s_cbranch_execnz .LBB17_711
	s_branch .LBB17_712
.LBB17_2761:
	s_movk_i32 s4, 0x80
	v_cmp_eq_u16_sdwa s[12:13], v3, s4 src0_sel:BYTE_0 src1_sel:DWORD
	s_mov_b64 s[4:5], -1
                                        ; implicit-def: $sgpr10
	s_and_saveexec_b64 s[8:9], s[12:13]
; %bb.2762:
	s_mov_b32 s10, 0x7f800001
	s_xor_b64 s[4:5], exec, -1
; %bb.2763:
	s_or_b64 exec, exec, s[8:9]
	s_and_b64 s[4:5], s[4:5], exec
	s_or_saveexec_b64 s[6:7], s[6:7]
	v_mov_b32_e32 v2, s10
	s_xor_b64 exec, exec, s[6:7]
	s_cbranch_execz .LBB17_714
.LBB17_2764:
	v_mov_b32_e32 v2, 0
	v_cmp_ne_u16_sdwa s[8:9], v3, v2 src0_sel:BYTE_0 src1_sel:DWORD
	s_andn2_b64 s[4:5], s[4:5], exec
	s_and_b64 s[8:9], s[8:9], exec
	s_or_b64 s[4:5], s[4:5], s[8:9]
	s_or_b64 exec, exec, s[6:7]
	s_and_saveexec_b64 s[6:7], s[4:5]
	s_cbranch_execnz .LBB17_715
	s_branch .LBB17_716
.LBB17_2765:
	s_movk_i32 s4, 0x80
	v_cmp_eq_u16_sdwa s[12:13], v3, s4 src0_sel:BYTE_0 src1_sel:DWORD
	s_mov_b64 s[4:5], -1
                                        ; implicit-def: $sgpr10
	s_and_saveexec_b64 s[8:9], s[12:13]
; %bb.2766:
	s_mov_b32 s10, 0x7f800001
	s_xor_b64 s[4:5], exec, -1
; %bb.2767:
	s_or_b64 exec, exec, s[8:9]
	s_and_b64 s[4:5], s[4:5], exec
	s_or_saveexec_b64 s[6:7], s[6:7]
	v_mov_b32_e32 v6, s10
	s_xor_b64 exec, exec, s[6:7]
	s_cbranch_execz .LBB17_718
.LBB17_2768:
	v_mov_b32_e32 v6, 0
	v_cmp_ne_u16_sdwa s[8:9], v3, v6 src0_sel:BYTE_0 src1_sel:DWORD
	s_andn2_b64 s[4:5], s[4:5], exec
	s_and_b64 s[8:9], s[8:9], exec
	s_or_b64 s[4:5], s[4:5], s[8:9]
	s_or_b64 exec, exec, s[6:7]
	s_and_saveexec_b64 s[6:7], s[4:5]
	s_cbranch_execnz .LBB17_719
	s_branch .LBB17_720
.LBB17_2769:
	s_movk_i32 s4, 0x80
	v_cmp_eq_u16_e32 vcc, s4, v3
	s_mov_b64 s[4:5], -1
                                        ; implicit-def: $sgpr10
	s_and_saveexec_b64 s[8:9], vcc
; %bb.2770:
	s_mov_b32 s10, 0x7f800001
	s_xor_b64 s[4:5], exec, -1
; %bb.2771:
	s_or_b64 exec, exec, s[8:9]
	s_and_b64 s[4:5], s[4:5], exec
                                        ; implicit-def: $vgpr3
	s_or_saveexec_b64 s[6:7], s[6:7]
	v_mov_b32_e32 v2, s10
	s_xor_b64 exec, exec, s[6:7]
	s_cbranch_execz .LBB17_722
.LBB17_2772:
	v_cmp_ne_u16_e32 vcc, 0, v3
	s_andn2_b64 s[4:5], s[4:5], exec
	s_and_b64 s[8:9], vcc, exec
	v_mov_b32_e32 v2, 0
	s_or_b64 s[4:5], s[4:5], s[8:9]
	s_or_b64 exec, exec, s[6:7]
	s_and_saveexec_b64 s[6:7], s[4:5]
	s_cbranch_execnz .LBB17_723
	s_branch .LBB17_724
.LBB17_2773:
	s_movk_i32 s4, 0x80
	v_cmp_eq_u16_e32 vcc, s4, v3
	s_mov_b64 s[4:5], -1
                                        ; implicit-def: $sgpr10
	s_and_saveexec_b64 s[8:9], vcc
; %bb.2774:
	s_mov_b32 s10, 0x7f800001
	s_xor_b64 s[4:5], exec, -1
; %bb.2775:
	s_or_b64 exec, exec, s[8:9]
	s_and_b64 s[4:5], s[4:5], exec
                                        ; implicit-def: $vgpr3
	s_or_saveexec_b64 s[6:7], s[6:7]
	v_mov_b32_e32 v6, s10
	s_xor_b64 exec, exec, s[6:7]
	s_cbranch_execz .LBB17_726
.LBB17_2776:
	v_cmp_ne_u16_e32 vcc, 0, v3
	s_andn2_b64 s[4:5], s[4:5], exec
	s_and_b64 s[8:9], vcc, exec
	v_mov_b32_e32 v6, 0
	s_or_b64 s[4:5], s[4:5], s[8:9]
	s_or_b64 exec, exec, s[6:7]
	s_and_saveexec_b64 s[6:7], s[4:5]
	s_cbranch_execnz .LBB17_727
	s_branch .LBB17_728
.LBB17_2777:
	s_movk_i32 s4, 0x80
	v_cmp_eq_u16_sdwa s[12:13], v8, s4 src0_sel:BYTE_3 src1_sel:DWORD
	s_mov_b64 s[4:5], -1
                                        ; implicit-def: $sgpr10
	s_and_saveexec_b64 s[8:9], s[12:13]
; %bb.2778:
	s_mov_b32 s10, 0x7f800001
	s_xor_b64 s[4:5], exec, -1
; %bb.2779:
	s_or_b64 exec, exec, s[8:9]
	s_and_b64 s[4:5], s[4:5], exec
	s_or_saveexec_b64 s[6:7], s[6:7]
	v_mov_b32_e32 v2, s10
	s_xor_b64 exec, exec, s[6:7]
	s_cbranch_execz .LBB17_730
.LBB17_2780:
	v_mov_b32_e32 v2, 0
	v_cmp_ne_u16_sdwa s[8:9], v8, v2 src0_sel:BYTE_3 src1_sel:DWORD
	s_andn2_b64 s[4:5], s[4:5], exec
	s_and_b64 s[8:9], s[8:9], exec
	s_or_b64 s[4:5], s[4:5], s[8:9]
	s_or_b64 exec, exec, s[6:7]
	s_and_saveexec_b64 s[6:7], s[4:5]
	s_cbranch_execnz .LBB17_731
	s_branch .LBB17_732
.LBB17_2781:
	s_movk_i32 s4, 0x80
	v_cmp_eq_u16_sdwa s[12:13], v4, s4 src0_sel:BYTE_3 src1_sel:DWORD
	s_mov_b64 s[4:5], -1
                                        ; implicit-def: $sgpr10
	s_and_saveexec_b64 s[8:9], s[12:13]
; %bb.2782:
	s_mov_b32 s10, 0x7f800001
	s_xor_b64 s[4:5], exec, -1
; %bb.2783:
	s_or_b64 exec, exec, s[8:9]
	s_and_b64 s[4:5], s[4:5], exec
	s_or_saveexec_b64 s[6:7], s[6:7]
	v_mov_b32_e32 v3, s10
	s_xor_b64 exec, exec, s[6:7]
	s_cbranch_execz .LBB17_734
.LBB17_2784:
	v_mov_b32_e32 v3, 0
	v_cmp_ne_u16_sdwa s[8:9], v4, v3 src0_sel:BYTE_3 src1_sel:DWORD
	s_andn2_b64 s[4:5], s[4:5], exec
	s_and_b64 s[8:9], s[8:9], exec
	s_or_b64 s[4:5], s[4:5], s[8:9]
	s_or_b64 exec, exec, s[6:7]
	s_and_saveexec_b64 s[6:7], s[4:5]
	s_cbranch_execnz .LBB17_735
	s_branch .LBB17_736
.LBB17_2785:
	s_movk_i32 s4, 0x80
	v_cmp_eq_u16_sdwa s[12:13], v9, s4 src0_sel:BYTE_0 src1_sel:DWORD
	s_mov_b64 s[4:5], -1
                                        ; implicit-def: $sgpr10
	s_and_saveexec_b64 s[8:9], s[12:13]
; %bb.2786:
	s_mov_b32 s10, 0x7f800001
	s_xor_b64 s[4:5], exec, -1
; %bb.2787:
	s_or_b64 exec, exec, s[8:9]
	s_and_b64 s[4:5], s[4:5], exec
	s_or_saveexec_b64 s[6:7], s[6:7]
	v_mov_b32_e32 v2, s10
	s_xor_b64 exec, exec, s[6:7]
	s_cbranch_execz .LBB17_738
.LBB17_2788:
	v_mov_b32_e32 v2, 0
	v_cmp_ne_u16_sdwa s[8:9], v9, v2 src0_sel:BYTE_0 src1_sel:DWORD
	s_andn2_b64 s[4:5], s[4:5], exec
	s_and_b64 s[8:9], s[8:9], exec
	s_or_b64 s[4:5], s[4:5], s[8:9]
	s_or_b64 exec, exec, s[6:7]
	s_and_saveexec_b64 s[6:7], s[4:5]
	s_cbranch_execnz .LBB17_739
	s_branch .LBB17_740
.LBB17_2789:
	s_movk_i32 s4, 0x80
	v_cmp_eq_u16_sdwa s[12:13], v5, s4 src0_sel:BYTE_0 src1_sel:DWORD
	s_mov_b64 s[4:5], -1
                                        ; implicit-def: $sgpr10
	s_and_saveexec_b64 s[8:9], s[12:13]
; %bb.2790:
	s_mov_b32 s10, 0x7f800001
	s_xor_b64 s[4:5], exec, -1
; %bb.2791:
	s_or_b64 exec, exec, s[8:9]
	s_and_b64 s[4:5], s[4:5], exec
	s_or_saveexec_b64 s[6:7], s[6:7]
	v_mov_b32_e32 v3, s10
	s_xor_b64 exec, exec, s[6:7]
	s_cbranch_execz .LBB17_742
.LBB17_2792:
	v_mov_b32_e32 v3, 0
	v_cmp_ne_u16_sdwa s[8:9], v5, v3 src0_sel:BYTE_0 src1_sel:DWORD
	s_andn2_b64 s[4:5], s[4:5], exec
	s_and_b64 s[8:9], s[8:9], exec
	s_or_b64 s[4:5], s[4:5], s[8:9]
	s_or_b64 exec, exec, s[6:7]
	s_and_saveexec_b64 s[6:7], s[4:5]
	s_cbranch_execnz .LBB17_743
	s_branch .LBB17_744
.LBB17_2793:
	s_movk_i32 s4, 0x80
	v_cmp_eq_u16_sdwa s[12:13], v3, s4 src0_sel:BYTE_0 src1_sel:DWORD
	s_mov_b64 s[4:5], -1
                                        ; implicit-def: $sgpr10
	s_and_saveexec_b64 s[8:9], s[12:13]
; %bb.2794:
	s_mov_b32 s10, 0x7f800001
	s_xor_b64 s[4:5], exec, -1
; %bb.2795:
	s_or_b64 exec, exec, s[8:9]
	s_and_b64 s[4:5], s[4:5], exec
	s_or_saveexec_b64 s[6:7], s[6:7]
	v_mov_b32_e32 v2, s10
	s_xor_b64 exec, exec, s[6:7]
	s_cbranch_execz .LBB17_746
.LBB17_2796:
	v_mov_b32_e32 v2, 0
	v_cmp_ne_u16_sdwa s[8:9], v3, v2 src0_sel:BYTE_0 src1_sel:DWORD
	s_andn2_b64 s[4:5], s[4:5], exec
	s_and_b64 s[8:9], s[8:9], exec
	s_or_b64 s[4:5], s[4:5], s[8:9]
	s_or_b64 exec, exec, s[6:7]
	s_and_saveexec_b64 s[6:7], s[4:5]
	s_cbranch_execnz .LBB17_747
	s_branch .LBB17_748
.LBB17_2797:
	s_movk_i32 s4, 0x80
	v_cmp_eq_u16_sdwa s[12:13], v3, s4 src0_sel:BYTE_0 src1_sel:DWORD
	s_mov_b64 s[4:5], -1
                                        ; implicit-def: $sgpr10
	s_and_saveexec_b64 s[8:9], s[12:13]
; %bb.2798:
	s_mov_b32 s10, 0x7f800001
	s_xor_b64 s[4:5], exec, -1
; %bb.2799:
	s_or_b64 exec, exec, s[8:9]
	s_and_b64 s[4:5], s[4:5], exec
	s_or_saveexec_b64 s[6:7], s[6:7]
	v_mov_b32_e32 v4, s10
	s_xor_b64 exec, exec, s[6:7]
	s_cbranch_execz .LBB17_750
.LBB17_2800:
	v_mov_b32_e32 v4, 0
	v_cmp_ne_u16_sdwa s[8:9], v3, v4 src0_sel:BYTE_0 src1_sel:DWORD
	s_andn2_b64 s[4:5], s[4:5], exec
	s_and_b64 s[8:9], s[8:9], exec
	s_or_b64 s[4:5], s[4:5], s[8:9]
	s_or_b64 exec, exec, s[6:7]
	s_and_saveexec_b64 s[6:7], s[4:5]
	s_cbranch_execnz .LBB17_751
	s_branch .LBB17_752
.LBB17_2801:
	s_movk_i32 s4, 0x80
	v_cmp_eq_u16_e32 vcc, s4, v3
	s_mov_b64 s[4:5], -1
                                        ; implicit-def: $sgpr10
	s_and_saveexec_b64 s[8:9], vcc
; %bb.2802:
	s_mov_b32 s10, 0x7f800001
	s_xor_b64 s[4:5], exec, -1
; %bb.2803:
	s_or_b64 exec, exec, s[8:9]
	s_and_b64 s[4:5], s[4:5], exec
                                        ; implicit-def: $vgpr3
	s_or_saveexec_b64 s[6:7], s[6:7]
	v_mov_b32_e32 v2, s10
	s_xor_b64 exec, exec, s[6:7]
	s_cbranch_execz .LBB17_754
.LBB17_2804:
	v_cmp_ne_u16_e32 vcc, 0, v3
	s_andn2_b64 s[4:5], s[4:5], exec
	s_and_b64 s[8:9], vcc, exec
	v_mov_b32_e32 v2, 0
	s_or_b64 s[4:5], s[4:5], s[8:9]
	s_or_b64 exec, exec, s[6:7]
	s_and_saveexec_b64 s[6:7], s[4:5]
	s_cbranch_execnz .LBB17_755
	s_branch .LBB17_756
.LBB17_2805:
	s_movk_i32 s4, 0x80
	v_cmp_eq_u16_e32 vcc, s4, v3
	s_mov_b64 s[4:5], -1
                                        ; implicit-def: $sgpr10
	s_and_saveexec_b64 s[8:9], vcc
; %bb.2806:
	s_mov_b32 s10, 0x7f800001
	s_xor_b64 s[4:5], exec, -1
; %bb.2807:
	s_or_b64 exec, exec, s[8:9]
	s_and_b64 s[4:5], s[4:5], exec
                                        ; implicit-def: $vgpr3
	s_or_saveexec_b64 s[6:7], s[6:7]
	v_mov_b32_e32 v4, s10
	s_xor_b64 exec, exec, s[6:7]
	s_cbranch_execz .LBB17_758
.LBB17_2808:
	v_cmp_ne_u16_e32 vcc, 0, v3
	s_andn2_b64 s[4:5], s[4:5], exec
	s_and_b64 s[8:9], vcc, exec
	v_mov_b32_e32 v4, 0
	s_or_b64 s[4:5], s[4:5], s[8:9]
	s_or_b64 exec, exec, s[6:7]
	s_and_saveexec_b64 s[6:7], s[4:5]
	s_cbranch_execnz .LBB17_759
	s_branch .LBB17_760
.LBB17_2809:
	s_movk_i32 s4, 0x80
	v_cmp_eq_u16_sdwa s[12:13], v9, s4 src0_sel:BYTE_3 src1_sel:DWORD
	s_mov_b64 s[4:5], -1
                                        ; implicit-def: $sgpr10
	s_and_saveexec_b64 s[8:9], s[12:13]
; %bb.2810:
	s_mov_b32 s10, 0x7f800001
	s_xor_b64 s[4:5], exec, -1
; %bb.2811:
	s_or_b64 exec, exec, s[8:9]
	s_and_b64 s[4:5], s[4:5], exec
	s_or_saveexec_b64 s[6:7], s[6:7]
	v_mov_b32_e32 v2, s10
	s_xor_b64 exec, exec, s[6:7]
	s_cbranch_execz .LBB17_762
.LBB17_2812:
	v_mov_b32_e32 v2, 0
	v_cmp_ne_u16_sdwa s[8:9], v9, v2 src0_sel:BYTE_3 src1_sel:DWORD
	s_andn2_b64 s[4:5], s[4:5], exec
	s_and_b64 s[8:9], s[8:9], exec
	s_or_b64 s[4:5], s[4:5], s[8:9]
	s_or_b64 exec, exec, s[6:7]
	s_and_saveexec_b64 s[6:7], s[4:5]
	s_cbranch_execnz .LBB17_763
	s_branch .LBB17_764
.LBB17_2813:
	s_movk_i32 s4, 0x80
	v_cmp_eq_u16_sdwa s[12:13], v5, s4 src0_sel:BYTE_3 src1_sel:DWORD
	s_mov_b64 s[4:5], -1
                                        ; implicit-def: $sgpr10
	s_and_saveexec_b64 s[8:9], s[12:13]
; %bb.2814:
	s_mov_b32 s10, 0x7f800001
	s_xor_b64 s[4:5], exec, -1
; %bb.2815:
	s_or_b64 exec, exec, s[8:9]
	s_and_b64 s[4:5], s[4:5], exec
	s_or_saveexec_b64 s[6:7], s[6:7]
	v_mov_b32_e32 v3, s10
	s_xor_b64 exec, exec, s[6:7]
	s_cbranch_execz .LBB17_766
.LBB17_2816:
	v_mov_b32_e32 v3, 0
	v_cmp_ne_u16_sdwa s[8:9], v5, v3 src0_sel:BYTE_3 src1_sel:DWORD
	s_andn2_b64 s[4:5], s[4:5], exec
	s_and_b64 s[8:9], s[8:9], exec
	s_or_b64 s[4:5], s[4:5], s[8:9]
	s_or_b64 exec, exec, s[6:7]
	s_and_saveexec_b64 s[6:7], s[4:5]
	s_cbranch_execnz .LBB17_767
	s_branch .LBB17_768
.LBB17_2817:
	s_movk_i32 s4, 0x80
	v_cmp_eq_u16_sdwa s[12:13], v14, s4 src0_sel:BYTE_0 src1_sel:DWORD
	s_mov_b64 s[4:5], -1
                                        ; implicit-def: $sgpr10
	s_and_saveexec_b64 s[8:9], s[12:13]
; %bb.2818:
	s_mov_b32 s10, 0x7f800001
	s_xor_b64 s[4:5], exec, -1
; %bb.2819:
	s_or_b64 exec, exec, s[8:9]
	s_and_b64 s[4:5], s[4:5], exec
	s_or_saveexec_b64 s[6:7], s[6:7]
	v_mov_b32_e32 v20, s10
	s_xor_b64 exec, exec, s[6:7]
	s_cbranch_execz .LBB17_770
.LBB17_2820:
	v_mov_b32_e32 v20, 0
	v_cmp_ne_u16_sdwa s[8:9], v14, v20 src0_sel:BYTE_0 src1_sel:DWORD
	s_andn2_b64 s[4:5], s[4:5], exec
	s_and_b64 s[8:9], s[8:9], exec
	s_or_b64 s[4:5], s[4:5], s[8:9]
	s_or_b64 exec, exec, s[6:7]
	s_and_saveexec_b64 s[6:7], s[4:5]
	s_cbranch_execnz .LBB17_771
	s_branch .LBB17_772
.LBB17_2821:
	s_movk_i32 s4, 0x80
	v_cmp_eq_u16_sdwa s[12:13], v10, s4 src0_sel:BYTE_0 src1_sel:DWORD
	s_mov_b64 s[4:5], -1
                                        ; implicit-def: $sgpr10
	s_and_saveexec_b64 s[8:9], s[12:13]
; %bb.2822:
	s_mov_b32 s10, 0x7f800001
	s_xor_b64 s[4:5], exec, -1
; %bb.2823:
	s_or_b64 exec, exec, s[8:9]
	s_and_b64 s[4:5], s[4:5], exec
	s_or_saveexec_b64 s[6:7], s[6:7]
	v_mov_b32_e32 v21, s10
	s_xor_b64 exec, exec, s[6:7]
	s_cbranch_execz .LBB17_774
.LBB17_2824:
	v_mov_b32_e32 v21, 0
	v_cmp_ne_u16_sdwa s[8:9], v10, v21 src0_sel:BYTE_0 src1_sel:DWORD
	s_andn2_b64 s[4:5], s[4:5], exec
	s_and_b64 s[8:9], s[8:9], exec
	s_or_b64 s[4:5], s[4:5], s[8:9]
	s_or_b64 exec, exec, s[6:7]
	s_and_saveexec_b64 s[6:7], s[4:5]
	s_cbranch_execnz .LBB17_775
	s_branch .LBB17_776
.LBB17_2825:
	s_movk_i32 s4, 0x80
	v_cmp_eq_u16_sdwa s[12:13], v21, s4 src0_sel:BYTE_0 src1_sel:DWORD
	s_mov_b64 s[4:5], -1
                                        ; implicit-def: $sgpr10
	s_and_saveexec_b64 s[8:9], s[12:13]
; %bb.2826:
	s_mov_b32 s10, 0x7f800001
	s_xor_b64 s[4:5], exec, -1
; %bb.2827:
	s_or_b64 exec, exec, s[8:9]
	s_and_b64 s[4:5], s[4:5], exec
	s_or_saveexec_b64 s[6:7], s[6:7]
	v_mov_b32_e32 v20, s10
	s_xor_b64 exec, exec, s[6:7]
	s_cbranch_execz .LBB17_778
.LBB17_2828:
	v_mov_b32_e32 v20, 0
	v_cmp_ne_u16_sdwa s[8:9], v21, v20 src0_sel:BYTE_0 src1_sel:DWORD
	s_andn2_b64 s[4:5], s[4:5], exec
	s_and_b64 s[8:9], s[8:9], exec
	s_or_b64 s[4:5], s[4:5], s[8:9]
	s_or_b64 exec, exec, s[6:7]
	s_and_saveexec_b64 s[6:7], s[4:5]
	s_cbranch_execnz .LBB17_779
	s_branch .LBB17_780
.LBB17_2829:
	s_movk_i32 s4, 0x80
	v_cmp_eq_u16_sdwa s[12:13], v21, s4 src0_sel:BYTE_0 src1_sel:DWORD
	s_mov_b64 s[4:5], -1
                                        ; implicit-def: $sgpr10
	s_and_saveexec_b64 s[8:9], s[12:13]
; %bb.2830:
	s_mov_b32 s10, 0x7f800001
	s_xor_b64 s[4:5], exec, -1
; %bb.2831:
	s_or_b64 exec, exec, s[8:9]
	s_and_b64 s[4:5], s[4:5], exec
	s_or_saveexec_b64 s[6:7], s[6:7]
	v_mov_b32_e32 v22, s10
	s_xor_b64 exec, exec, s[6:7]
	s_cbranch_execz .LBB17_782
.LBB17_2832:
	v_mov_b32_e32 v22, 0
	v_cmp_ne_u16_sdwa s[8:9], v21, v22 src0_sel:BYTE_0 src1_sel:DWORD
	s_andn2_b64 s[4:5], s[4:5], exec
	s_and_b64 s[8:9], s[8:9], exec
	s_or_b64 s[4:5], s[4:5], s[8:9]
	s_or_b64 exec, exec, s[6:7]
	s_and_saveexec_b64 s[6:7], s[4:5]
	s_cbranch_execnz .LBB17_783
	s_branch .LBB17_784
.LBB17_2833:
	s_movk_i32 s4, 0x80
	v_cmp_eq_u16_e32 vcc, s4, v21
	s_mov_b64 s[4:5], -1
                                        ; implicit-def: $sgpr10
	s_and_saveexec_b64 s[8:9], vcc
; %bb.2834:
	s_mov_b32 s10, 0x7f800001
	s_xor_b64 s[4:5], exec, -1
; %bb.2835:
	s_or_b64 exec, exec, s[8:9]
	s_and_b64 s[4:5], s[4:5], exec
                                        ; implicit-def: $vgpr21
	s_or_saveexec_b64 s[6:7], s[6:7]
	v_mov_b32_e32 v20, s10
	s_xor_b64 exec, exec, s[6:7]
	s_cbranch_execz .LBB17_786
.LBB17_2836:
	v_cmp_ne_u16_e32 vcc, 0, v21
	s_andn2_b64 s[4:5], s[4:5], exec
	s_and_b64 s[8:9], vcc, exec
	v_mov_b32_e32 v20, 0
	s_or_b64 s[4:5], s[4:5], s[8:9]
	s_or_b64 exec, exec, s[6:7]
	s_and_saveexec_b64 s[6:7], s[4:5]
	s_cbranch_execnz .LBB17_787
	s_branch .LBB17_788
.LBB17_2837:
	s_movk_i32 s4, 0x80
	v_cmp_eq_u16_e32 vcc, s4, v21
	s_mov_b64 s[4:5], -1
                                        ; implicit-def: $sgpr10
	s_and_saveexec_b64 s[8:9], vcc
; %bb.2838:
	s_mov_b32 s10, 0x7f800001
	s_xor_b64 s[4:5], exec, -1
; %bb.2839:
	s_or_b64 exec, exec, s[8:9]
	s_and_b64 s[4:5], s[4:5], exec
                                        ; implicit-def: $vgpr21
	s_or_saveexec_b64 s[6:7], s[6:7]
	v_mov_b32_e32 v22, s10
	s_xor_b64 exec, exec, s[6:7]
	s_cbranch_execz .LBB17_790
.LBB17_2840:
	v_cmp_ne_u16_e32 vcc, 0, v21
	s_andn2_b64 s[4:5], s[4:5], exec
	s_and_b64 s[8:9], vcc, exec
	v_mov_b32_e32 v22, 0
	s_or_b64 s[4:5], s[4:5], s[8:9]
	s_or_b64 exec, exec, s[6:7]
	s_and_saveexec_b64 s[6:7], s[4:5]
	s_cbranch_execnz .LBB17_791
	s_branch .LBB17_792
.LBB17_2841:
	s_movk_i32 s4, 0x80
	v_cmp_eq_u16_sdwa s[12:13], v14, s4 src0_sel:BYTE_3 src1_sel:DWORD
	s_mov_b64 s[4:5], -1
                                        ; implicit-def: $sgpr10
	s_and_saveexec_b64 s[8:9], s[12:13]
; %bb.2842:
	s_mov_b32 s10, 0x7f800001
	s_xor_b64 s[4:5], exec, -1
; %bb.2843:
	s_or_b64 exec, exec, s[8:9]
	s_and_b64 s[4:5], s[4:5], exec
	s_or_saveexec_b64 s[6:7], s[6:7]
	v_mov_b32_e32 v20, s10
	s_xor_b64 exec, exec, s[6:7]
	s_cbranch_execz .LBB17_794
.LBB17_2844:
	v_mov_b32_e32 v20, 0
	v_cmp_ne_u16_sdwa s[8:9], v14, v20 src0_sel:BYTE_3 src1_sel:DWORD
	s_andn2_b64 s[4:5], s[4:5], exec
	s_and_b64 s[8:9], s[8:9], exec
	s_or_b64 s[4:5], s[4:5], s[8:9]
	s_or_b64 exec, exec, s[6:7]
	s_and_saveexec_b64 s[6:7], s[4:5]
	s_cbranch_execnz .LBB17_795
	s_branch .LBB17_796
.LBB17_2845:
	s_movk_i32 s4, 0x80
	v_cmp_eq_u16_sdwa s[12:13], v10, s4 src0_sel:BYTE_3 src1_sel:DWORD
	s_mov_b64 s[4:5], -1
                                        ; implicit-def: $sgpr10
	s_and_saveexec_b64 s[8:9], s[12:13]
; %bb.2846:
	s_mov_b32 s10, 0x7f800001
	s_xor_b64 s[4:5], exec, -1
; %bb.2847:
	s_or_b64 exec, exec, s[8:9]
	s_and_b64 s[4:5], s[4:5], exec
	s_or_saveexec_b64 s[6:7], s[6:7]
	v_mov_b32_e32 v14, s10
	s_xor_b64 exec, exec, s[6:7]
	s_cbranch_execz .LBB17_798
.LBB17_2848:
	v_mov_b32_e32 v14, 0
	v_cmp_ne_u16_sdwa s[8:9], v10, v14 src0_sel:BYTE_3 src1_sel:DWORD
	s_andn2_b64 s[4:5], s[4:5], exec
	s_and_b64 s[8:9], s[8:9], exec
	s_or_b64 s[4:5], s[4:5], s[8:9]
	s_or_b64 exec, exec, s[6:7]
	s_and_saveexec_b64 s[6:7], s[4:5]
	s_cbranch_execnz .LBB17_799
	s_branch .LBB17_800
.LBB17_2849:
	s_movk_i32 s4, 0x80
	v_cmp_eq_u16_sdwa s[12:13], v15, s4 src0_sel:BYTE_0 src1_sel:DWORD
	s_mov_b64 s[4:5], -1
                                        ; implicit-def: $sgpr10
	s_and_saveexec_b64 s[8:9], s[12:13]
; %bb.2850:
	s_mov_b32 s10, 0x7f800001
	s_xor_b64 s[4:5], exec, -1
; %bb.2851:
	s_or_b64 exec, exec, s[8:9]
	s_and_b64 s[4:5], s[4:5], exec
	s_or_saveexec_b64 s[6:7], s[6:7]
	v_mov_b32_e32 v10, s10
	s_xor_b64 exec, exec, s[6:7]
	s_cbranch_execz .LBB17_802
.LBB17_2852:
	v_mov_b32_e32 v10, 0
	v_cmp_ne_u16_sdwa s[8:9], v15, v10 src0_sel:BYTE_0 src1_sel:DWORD
	s_andn2_b64 s[4:5], s[4:5], exec
	s_and_b64 s[8:9], s[8:9], exec
	s_or_b64 s[4:5], s[4:5], s[8:9]
	s_or_b64 exec, exec, s[6:7]
	s_and_saveexec_b64 s[6:7], s[4:5]
	s_cbranch_execnz .LBB17_803
	s_branch .LBB17_804
.LBB17_2853:
	s_movk_i32 s4, 0x80
	v_cmp_eq_u16_sdwa s[12:13], v11, s4 src0_sel:BYTE_0 src1_sel:DWORD
	s_mov_b64 s[4:5], -1
                                        ; implicit-def: $sgpr10
	s_and_saveexec_b64 s[8:9], s[12:13]
; %bb.2854:
	s_mov_b32 s10, 0x7f800001
	s_xor_b64 s[4:5], exec, -1
; %bb.2855:
	s_or_b64 exec, exec, s[8:9]
	s_and_b64 s[4:5], s[4:5], exec
	s_or_saveexec_b64 s[6:7], s[6:7]
	v_mov_b32_e32 v14, s10
	s_xor_b64 exec, exec, s[6:7]
	s_cbranch_execz .LBB17_806
.LBB17_2856:
	v_mov_b32_e32 v14, 0
	v_cmp_ne_u16_sdwa s[8:9], v11, v14 src0_sel:BYTE_0 src1_sel:DWORD
	s_andn2_b64 s[4:5], s[4:5], exec
	s_and_b64 s[8:9], s[8:9], exec
	s_or_b64 s[4:5], s[4:5], s[8:9]
	s_or_b64 exec, exec, s[6:7]
	s_and_saveexec_b64 s[6:7], s[4:5]
	s_cbranch_execnz .LBB17_807
	s_branch .LBB17_808
.LBB17_2857:
	s_movk_i32 s4, 0x80
	v_cmp_eq_u16_sdwa s[12:13], v14, s4 src0_sel:BYTE_0 src1_sel:DWORD
	s_mov_b64 s[4:5], -1
                                        ; implicit-def: $sgpr10
	s_and_saveexec_b64 s[8:9], s[12:13]
; %bb.2858:
	s_mov_b32 s10, 0x7f800001
	s_xor_b64 s[4:5], exec, -1
; %bb.2859:
	s_or_b64 exec, exec, s[8:9]
	s_and_b64 s[4:5], s[4:5], exec
	s_or_saveexec_b64 s[6:7], s[6:7]
	v_mov_b32_e32 v10, s10
	s_xor_b64 exec, exec, s[6:7]
	s_cbranch_execz .LBB17_810
.LBB17_2860:
	v_mov_b32_e32 v10, 0
	v_cmp_ne_u16_sdwa s[8:9], v14, v10 src0_sel:BYTE_0 src1_sel:DWORD
	s_andn2_b64 s[4:5], s[4:5], exec
	s_and_b64 s[8:9], s[8:9], exec
	s_or_b64 s[4:5], s[4:5], s[8:9]
	s_or_b64 exec, exec, s[6:7]
	s_and_saveexec_b64 s[6:7], s[4:5]
	s_cbranch_execnz .LBB17_811
	s_branch .LBB17_812
.LBB17_2861:
	s_movk_i32 s4, 0x80
	v_cmp_eq_u16_sdwa s[12:13], v14, s4 src0_sel:BYTE_0 src1_sel:DWORD
	s_mov_b64 s[4:5], -1
                                        ; implicit-def: $sgpr10
	s_and_saveexec_b64 s[8:9], s[12:13]
; %bb.2862:
	s_mov_b32 s10, 0x7f800001
	s_xor_b64 s[4:5], exec, -1
; %bb.2863:
	s_or_b64 exec, exec, s[8:9]
	s_and_b64 s[4:5], s[4:5], exec
	s_or_saveexec_b64 s[6:7], s[6:7]
	v_mov_b32_e32 v20, s10
	s_xor_b64 exec, exec, s[6:7]
	s_cbranch_execz .LBB17_814
.LBB17_2864:
	v_mov_b32_e32 v20, 0
	v_cmp_ne_u16_sdwa s[8:9], v14, v20 src0_sel:BYTE_0 src1_sel:DWORD
	s_andn2_b64 s[4:5], s[4:5], exec
	s_and_b64 s[8:9], s[8:9], exec
	s_or_b64 s[4:5], s[4:5], s[8:9]
	s_or_b64 exec, exec, s[6:7]
	s_and_saveexec_b64 s[6:7], s[4:5]
	s_cbranch_execnz .LBB17_815
	s_branch .LBB17_816
.LBB17_2865:
	s_movk_i32 s4, 0x80
	v_cmp_eq_u16_e32 vcc, s4, v14
	s_mov_b64 s[4:5], -1
                                        ; implicit-def: $sgpr10
	s_and_saveexec_b64 s[8:9], vcc
; %bb.2866:
	s_mov_b32 s10, 0x7f800001
	s_xor_b64 s[4:5], exec, -1
; %bb.2867:
	s_or_b64 exec, exec, s[8:9]
	s_and_b64 s[4:5], s[4:5], exec
                                        ; implicit-def: $vgpr14
	s_or_saveexec_b64 s[6:7], s[6:7]
	v_mov_b32_e32 v10, s10
	s_xor_b64 exec, exec, s[6:7]
	s_cbranch_execz .LBB17_818
.LBB17_2868:
	v_cmp_ne_u16_e32 vcc, 0, v14
	s_andn2_b64 s[4:5], s[4:5], exec
	s_and_b64 s[8:9], vcc, exec
	v_mov_b32_e32 v10, 0
	s_or_b64 s[4:5], s[4:5], s[8:9]
	s_or_b64 exec, exec, s[6:7]
	s_and_saveexec_b64 s[6:7], s[4:5]
	s_cbranch_execnz .LBB17_819
	s_branch .LBB17_820
.LBB17_2869:
	s_movk_i32 s4, 0x80
	v_cmp_eq_u16_e32 vcc, s4, v14
	s_mov_b64 s[4:5], -1
                                        ; implicit-def: $sgpr10
	s_and_saveexec_b64 s[8:9], vcc
; %bb.2870:
	s_mov_b32 s10, 0x7f800001
	s_xor_b64 s[4:5], exec, -1
; %bb.2871:
	s_or_b64 exec, exec, s[8:9]
	s_and_b64 s[4:5], s[4:5], exec
                                        ; implicit-def: $vgpr14
	s_or_saveexec_b64 s[6:7], s[6:7]
	v_mov_b32_e32 v20, s10
	s_xor_b64 exec, exec, s[6:7]
	s_cbranch_execz .LBB17_822
.LBB17_2872:
	v_cmp_ne_u16_e32 vcc, 0, v14
	s_andn2_b64 s[4:5], s[4:5], exec
	s_and_b64 s[8:9], vcc, exec
	v_mov_b32_e32 v20, 0
	s_or_b64 s[4:5], s[4:5], s[8:9]
	s_or_b64 exec, exec, s[6:7]
	s_and_saveexec_b64 s[6:7], s[4:5]
	s_cbranch_execnz .LBB17_823
	s_branch .LBB17_824
.LBB17_2873:
	s_movk_i32 s4, 0x80
	v_cmp_eq_u16_sdwa s[12:13], v15, s4 src0_sel:BYTE_3 src1_sel:DWORD
	s_mov_b64 s[4:5], -1
                                        ; implicit-def: $sgpr10
	s_and_saveexec_b64 s[8:9], s[12:13]
; %bb.2874:
	s_mov_b32 s10, 0x7f800001
	s_xor_b64 s[4:5], exec, -1
; %bb.2875:
	s_or_b64 exec, exec, s[8:9]
	s_and_b64 s[4:5], s[4:5], exec
	s_or_saveexec_b64 s[6:7], s[6:7]
	v_mov_b32_e32 v10, s10
	s_xor_b64 exec, exec, s[6:7]
	s_cbranch_execz .LBB17_826
.LBB17_2876:
	v_mov_b32_e32 v10, 0
	v_cmp_ne_u16_sdwa s[8:9], v15, v10 src0_sel:BYTE_3 src1_sel:DWORD
	s_andn2_b64 s[4:5], s[4:5], exec
	s_and_b64 s[8:9], s[8:9], exec
	s_or_b64 s[4:5], s[4:5], s[8:9]
	s_or_b64 exec, exec, s[6:7]
	s_and_saveexec_b64 s[6:7], s[4:5]
	s_cbranch_execnz .LBB17_827
	s_branch .LBB17_828
.LBB17_2877:
	s_movk_i32 s4, 0x80
	v_cmp_eq_u16_sdwa s[12:13], v11, s4 src0_sel:BYTE_3 src1_sel:DWORD
	s_mov_b64 s[4:5], -1
                                        ; implicit-def: $sgpr10
	s_and_saveexec_b64 s[8:9], s[12:13]
; %bb.2878:
	s_mov_b32 s10, 0x7f800001
	s_xor_b64 s[4:5], exec, -1
; %bb.2879:
	s_or_b64 exec, exec, s[8:9]
	s_and_b64 s[4:5], s[4:5], exec
	s_or_saveexec_b64 s[6:7], s[6:7]
	v_mov_b32_e32 v14, s10
	s_xor_b64 exec, exec, s[6:7]
	s_cbranch_execz .LBB17_830
.LBB17_2880:
	v_mov_b32_e32 v14, 0
	v_cmp_ne_u16_sdwa s[8:9], v11, v14 src0_sel:BYTE_3 src1_sel:DWORD
	s_andn2_b64 s[4:5], s[4:5], exec
	s_and_b64 s[8:9], s[8:9], exec
	s_or_b64 s[4:5], s[4:5], s[8:9]
	s_or_b64 exec, exec, s[6:7]
	s_and_saveexec_b64 s[6:7], s[4:5]
	s_cbranch_execnz .LBB17_831
	s_branch .LBB17_832
.LBB17_2881:
	s_movk_i32 s4, 0x80
	v_cmp_eq_u16_sdwa s[12:13], v16, s4 src0_sel:BYTE_0 src1_sel:DWORD
	s_mov_b64 s[4:5], -1
                                        ; implicit-def: $sgpr10
	s_and_saveexec_b64 s[8:9], s[12:13]
; %bb.2882:
	s_mov_b32 s10, 0x7f800001
	s_xor_b64 s[4:5], exec, -1
; %bb.2883:
	s_or_b64 exec, exec, s[8:9]
	s_and_b64 s[4:5], s[4:5], exec
	s_or_saveexec_b64 s[6:7], s[6:7]
	v_mov_b32_e32 v10, s10
	s_xor_b64 exec, exec, s[6:7]
	s_cbranch_execz .LBB17_834
.LBB17_2884:
	v_mov_b32_e32 v10, 0
	v_cmp_ne_u16_sdwa s[8:9], v16, v10 src0_sel:BYTE_0 src1_sel:DWORD
	s_andn2_b64 s[4:5], s[4:5], exec
	s_and_b64 s[8:9], s[8:9], exec
	s_or_b64 s[4:5], s[4:5], s[8:9]
	s_or_b64 exec, exec, s[6:7]
	s_and_saveexec_b64 s[6:7], s[4:5]
	s_cbranch_execnz .LBB17_835
	s_branch .LBB17_836
.LBB17_2885:
	s_movk_i32 s4, 0x80
	v_cmp_eq_u16_sdwa s[12:13], v12, s4 src0_sel:BYTE_0 src1_sel:DWORD
	s_mov_b64 s[4:5], -1
                                        ; implicit-def: $sgpr10
	s_and_saveexec_b64 s[8:9], s[12:13]
; %bb.2886:
	s_mov_b32 s10, 0x7f800001
	s_xor_b64 s[4:5], exec, -1
; %bb.2887:
	s_or_b64 exec, exec, s[8:9]
	s_and_b64 s[4:5], s[4:5], exec
	s_or_saveexec_b64 s[6:7], s[6:7]
	v_mov_b32_e32 v11, s10
	s_xor_b64 exec, exec, s[6:7]
	s_cbranch_execz .LBB17_838
.LBB17_2888:
	v_mov_b32_e32 v11, 0
	v_cmp_ne_u16_sdwa s[8:9], v12, v11 src0_sel:BYTE_0 src1_sel:DWORD
	s_andn2_b64 s[4:5], s[4:5], exec
	s_and_b64 s[8:9], s[8:9], exec
	s_or_b64 s[4:5], s[4:5], s[8:9]
	s_or_b64 exec, exec, s[6:7]
	s_and_saveexec_b64 s[6:7], s[4:5]
	s_cbranch_execnz .LBB17_839
	s_branch .LBB17_840
.LBB17_2889:
	s_movk_i32 s4, 0x80
	v_cmp_eq_u16_sdwa s[12:13], v11, s4 src0_sel:BYTE_0 src1_sel:DWORD
	s_mov_b64 s[4:5], -1
                                        ; implicit-def: $sgpr10
	s_and_saveexec_b64 s[8:9], s[12:13]
; %bb.2890:
	s_mov_b32 s10, 0x7f800001
	s_xor_b64 s[4:5], exec, -1
; %bb.2891:
	s_or_b64 exec, exec, s[8:9]
	s_and_b64 s[4:5], s[4:5], exec
	s_or_saveexec_b64 s[6:7], s[6:7]
	v_mov_b32_e32 v10, s10
	s_xor_b64 exec, exec, s[6:7]
	s_cbranch_execz .LBB17_842
.LBB17_2892:
	v_mov_b32_e32 v10, 0
	v_cmp_ne_u16_sdwa s[8:9], v11, v10 src0_sel:BYTE_0 src1_sel:DWORD
	s_andn2_b64 s[4:5], s[4:5], exec
	s_and_b64 s[8:9], s[8:9], exec
	s_or_b64 s[4:5], s[4:5], s[8:9]
	s_or_b64 exec, exec, s[6:7]
	s_and_saveexec_b64 s[6:7], s[4:5]
	s_cbranch_execnz .LBB17_843
	s_branch .LBB17_844
.LBB17_2893:
	s_movk_i32 s4, 0x80
	v_cmp_eq_u16_sdwa s[12:13], v11, s4 src0_sel:BYTE_0 src1_sel:DWORD
	s_mov_b64 s[4:5], -1
                                        ; implicit-def: $sgpr10
	s_and_saveexec_b64 s[8:9], s[12:13]
; %bb.2894:
	s_mov_b32 s10, 0x7f800001
	s_xor_b64 s[4:5], exec, -1
; %bb.2895:
	s_or_b64 exec, exec, s[8:9]
	s_and_b64 s[4:5], s[4:5], exec
	s_or_saveexec_b64 s[6:7], s[6:7]
	v_mov_b32_e32 v14, s10
	s_xor_b64 exec, exec, s[6:7]
	s_cbranch_execz .LBB17_846
.LBB17_2896:
	v_mov_b32_e32 v14, 0
	v_cmp_ne_u16_sdwa s[8:9], v11, v14 src0_sel:BYTE_0 src1_sel:DWORD
	s_andn2_b64 s[4:5], s[4:5], exec
	s_and_b64 s[8:9], s[8:9], exec
	s_or_b64 s[4:5], s[4:5], s[8:9]
	s_or_b64 exec, exec, s[6:7]
	s_and_saveexec_b64 s[6:7], s[4:5]
	s_cbranch_execnz .LBB17_847
	s_branch .LBB17_848
.LBB17_2897:
	s_movk_i32 s4, 0x80
	v_cmp_eq_u16_e32 vcc, s4, v11
	s_mov_b64 s[4:5], -1
                                        ; implicit-def: $sgpr10
	s_and_saveexec_b64 s[8:9], vcc
; %bb.2898:
	s_mov_b32 s10, 0x7f800001
	s_xor_b64 s[4:5], exec, -1
; %bb.2899:
	s_or_b64 exec, exec, s[8:9]
	s_and_b64 s[4:5], s[4:5], exec
                                        ; implicit-def: $vgpr11
	s_or_saveexec_b64 s[6:7], s[6:7]
	v_mov_b32_e32 v10, s10
	s_xor_b64 exec, exec, s[6:7]
	s_cbranch_execz .LBB17_850
.LBB17_2900:
	v_cmp_ne_u16_e32 vcc, 0, v11
	s_andn2_b64 s[4:5], s[4:5], exec
	s_and_b64 s[8:9], vcc, exec
	v_mov_b32_e32 v10, 0
	s_or_b64 s[4:5], s[4:5], s[8:9]
	s_or_b64 exec, exec, s[6:7]
	s_and_saveexec_b64 s[6:7], s[4:5]
	s_cbranch_execnz .LBB17_851
	s_branch .LBB17_852
.LBB17_2901:
	s_movk_i32 s4, 0x80
	v_cmp_eq_u16_e32 vcc, s4, v11
	s_mov_b64 s[4:5], -1
                                        ; implicit-def: $sgpr10
	s_and_saveexec_b64 s[8:9], vcc
; %bb.2902:
	s_mov_b32 s10, 0x7f800001
	s_xor_b64 s[4:5], exec, -1
; %bb.2903:
	s_or_b64 exec, exec, s[8:9]
	s_and_b64 s[4:5], s[4:5], exec
                                        ; implicit-def: $vgpr11
	s_or_saveexec_b64 s[6:7], s[6:7]
	v_mov_b32_e32 v14, s10
	s_xor_b64 exec, exec, s[6:7]
	s_cbranch_execz .LBB17_854
.LBB17_2904:
	v_cmp_ne_u16_e32 vcc, 0, v11
	s_andn2_b64 s[4:5], s[4:5], exec
	s_and_b64 s[8:9], vcc, exec
	v_mov_b32_e32 v14, 0
	s_or_b64 s[4:5], s[4:5], s[8:9]
	s_or_b64 exec, exec, s[6:7]
	s_and_saveexec_b64 s[6:7], s[4:5]
	s_cbranch_execnz .LBB17_855
	s_branch .LBB17_856
.LBB17_2905:
	s_movk_i32 s4, 0x80
	v_cmp_eq_u16_sdwa s[12:13], v16, s4 src0_sel:BYTE_3 src1_sel:DWORD
	s_mov_b64 s[4:5], -1
                                        ; implicit-def: $sgpr10
	s_and_saveexec_b64 s[8:9], s[12:13]
; %bb.2906:
	s_mov_b32 s10, 0x7f800001
	s_xor_b64 s[4:5], exec, -1
; %bb.2907:
	s_or_b64 exec, exec, s[8:9]
	s_and_b64 s[4:5], s[4:5], exec
	s_or_saveexec_b64 s[6:7], s[6:7]
	v_mov_b32_e32 v10, s10
	s_xor_b64 exec, exec, s[6:7]
	s_cbranch_execz .LBB17_858
.LBB17_2908:
	v_mov_b32_e32 v10, 0
	v_cmp_ne_u16_sdwa s[8:9], v16, v10 src0_sel:BYTE_3 src1_sel:DWORD
	s_andn2_b64 s[4:5], s[4:5], exec
	s_and_b64 s[8:9], s[8:9], exec
	s_or_b64 s[4:5], s[4:5], s[8:9]
	s_or_b64 exec, exec, s[6:7]
	s_and_saveexec_b64 s[6:7], s[4:5]
	s_cbranch_execnz .LBB17_859
	s_branch .LBB17_860
.LBB17_2909:
	s_movk_i32 s4, 0x80
	v_cmp_eq_u16_sdwa s[12:13], v12, s4 src0_sel:BYTE_3 src1_sel:DWORD
	s_mov_b64 s[4:5], -1
                                        ; implicit-def: $sgpr10
	s_and_saveexec_b64 s[8:9], s[12:13]
; %bb.2910:
	s_mov_b32 s10, 0x7f800001
	s_xor_b64 s[4:5], exec, -1
; %bb.2911:
	s_or_b64 exec, exec, s[8:9]
	s_and_b64 s[4:5], s[4:5], exec
	s_or_saveexec_b64 s[6:7], s[6:7]
	v_mov_b32_e32 v11, s10
	s_xor_b64 exec, exec, s[6:7]
	s_cbranch_execz .LBB17_862
.LBB17_2912:
	v_mov_b32_e32 v11, 0
	v_cmp_ne_u16_sdwa s[8:9], v12, v11 src0_sel:BYTE_3 src1_sel:DWORD
	s_andn2_b64 s[4:5], s[4:5], exec
	s_and_b64 s[8:9], s[8:9], exec
	s_or_b64 s[4:5], s[4:5], s[8:9]
	s_or_b64 exec, exec, s[6:7]
	s_and_saveexec_b64 s[6:7], s[4:5]
	s_cbranch_execnz .LBB17_863
	s_branch .LBB17_864
.LBB17_2913:
	s_movk_i32 s4, 0x80
	v_cmp_eq_u16_sdwa s[12:13], v17, s4 src0_sel:BYTE_0 src1_sel:DWORD
	s_mov_b64 s[4:5], -1
                                        ; implicit-def: $sgpr10
	s_and_saveexec_b64 s[8:9], s[12:13]
; %bb.2914:
	s_mov_b32 s10, 0x7f800001
	s_xor_b64 s[4:5], exec, -1
; %bb.2915:
	s_or_b64 exec, exec, s[8:9]
	s_and_b64 s[4:5], s[4:5], exec
	s_or_saveexec_b64 s[6:7], s[6:7]
	v_mov_b32_e32 v10, s10
	s_xor_b64 exec, exec, s[6:7]
	s_cbranch_execz .LBB17_866
.LBB17_2916:
	v_mov_b32_e32 v10, 0
	v_cmp_ne_u16_sdwa s[8:9], v17, v10 src0_sel:BYTE_0 src1_sel:DWORD
	s_andn2_b64 s[4:5], s[4:5], exec
	s_and_b64 s[8:9], s[8:9], exec
	s_or_b64 s[4:5], s[4:5], s[8:9]
	s_or_b64 exec, exec, s[6:7]
	s_and_saveexec_b64 s[6:7], s[4:5]
	s_cbranch_execnz .LBB17_867
	s_branch .LBB17_868
.LBB17_2917:
	s_movk_i32 s4, 0x80
	v_cmp_eq_u16_sdwa s[12:13], v13, s4 src0_sel:BYTE_0 src1_sel:DWORD
	s_mov_b64 s[4:5], -1
                                        ; implicit-def: $sgpr10
	s_and_saveexec_b64 s[8:9], s[12:13]
; %bb.2918:
	s_mov_b32 s10, 0x7f800001
	s_xor_b64 s[4:5], exec, -1
; %bb.2919:
	s_or_b64 exec, exec, s[8:9]
	s_and_b64 s[4:5], s[4:5], exec
	s_or_saveexec_b64 s[6:7], s[6:7]
	v_mov_b32_e32 v11, s10
	s_xor_b64 exec, exec, s[6:7]
	s_cbranch_execz .LBB17_870
.LBB17_2920:
	v_mov_b32_e32 v11, 0
	v_cmp_ne_u16_sdwa s[8:9], v13, v11 src0_sel:BYTE_0 src1_sel:DWORD
	s_andn2_b64 s[4:5], s[4:5], exec
	s_and_b64 s[8:9], s[8:9], exec
	s_or_b64 s[4:5], s[4:5], s[8:9]
	s_or_b64 exec, exec, s[6:7]
	s_and_saveexec_b64 s[6:7], s[4:5]
	s_cbranch_execnz .LBB17_871
	s_branch .LBB17_872
.LBB17_2921:
	s_movk_i32 s4, 0x80
	v_cmp_eq_u16_sdwa s[12:13], v11, s4 src0_sel:BYTE_0 src1_sel:DWORD
	s_mov_b64 s[4:5], -1
                                        ; implicit-def: $sgpr10
	s_and_saveexec_b64 s[8:9], s[12:13]
; %bb.2922:
	s_mov_b32 s10, 0x7f800001
	s_xor_b64 s[4:5], exec, -1
; %bb.2923:
	s_or_b64 exec, exec, s[8:9]
	s_and_b64 s[4:5], s[4:5], exec
	s_or_saveexec_b64 s[6:7], s[6:7]
	v_mov_b32_e32 v10, s10
	s_xor_b64 exec, exec, s[6:7]
	s_cbranch_execz .LBB17_874
.LBB17_2924:
	v_mov_b32_e32 v10, 0
	v_cmp_ne_u16_sdwa s[8:9], v11, v10 src0_sel:BYTE_0 src1_sel:DWORD
	s_andn2_b64 s[4:5], s[4:5], exec
	s_and_b64 s[8:9], s[8:9], exec
	s_or_b64 s[4:5], s[4:5], s[8:9]
	s_or_b64 exec, exec, s[6:7]
	s_and_saveexec_b64 s[6:7], s[4:5]
	s_cbranch_execnz .LBB17_875
	s_branch .LBB17_876
.LBB17_2925:
	s_movk_i32 s4, 0x80
	v_cmp_eq_u16_sdwa s[12:13], v11, s4 src0_sel:BYTE_0 src1_sel:DWORD
	s_mov_b64 s[4:5], -1
                                        ; implicit-def: $sgpr10
	s_and_saveexec_b64 s[8:9], s[12:13]
; %bb.2926:
	s_mov_b32 s10, 0x7f800001
	s_xor_b64 s[4:5], exec, -1
; %bb.2927:
	s_or_b64 exec, exec, s[8:9]
	s_and_b64 s[4:5], s[4:5], exec
	s_or_saveexec_b64 s[6:7], s[6:7]
	v_mov_b32_e32 v12, s10
	s_xor_b64 exec, exec, s[6:7]
	s_cbranch_execz .LBB17_878
.LBB17_2928:
	v_mov_b32_e32 v12, 0
	v_cmp_ne_u16_sdwa s[8:9], v11, v12 src0_sel:BYTE_0 src1_sel:DWORD
	s_andn2_b64 s[4:5], s[4:5], exec
	s_and_b64 s[8:9], s[8:9], exec
	s_or_b64 s[4:5], s[4:5], s[8:9]
	s_or_b64 exec, exec, s[6:7]
	s_and_saveexec_b64 s[6:7], s[4:5]
	s_cbranch_execnz .LBB17_879
	s_branch .LBB17_880
.LBB17_2929:
	s_movk_i32 s4, 0x80
	v_cmp_eq_u16_e32 vcc, s4, v11
	s_mov_b64 s[4:5], -1
                                        ; implicit-def: $sgpr10
	s_and_saveexec_b64 s[8:9], vcc
; %bb.2930:
	s_mov_b32 s10, 0x7f800001
	s_xor_b64 s[4:5], exec, -1
; %bb.2931:
	s_or_b64 exec, exec, s[8:9]
	s_and_b64 s[4:5], s[4:5], exec
                                        ; implicit-def: $vgpr11
	s_or_saveexec_b64 s[6:7], s[6:7]
	v_mov_b32_e32 v10, s10
	s_xor_b64 exec, exec, s[6:7]
	s_cbranch_execz .LBB17_882
.LBB17_2932:
	v_cmp_ne_u16_e32 vcc, 0, v11
	s_andn2_b64 s[4:5], s[4:5], exec
	s_and_b64 s[8:9], vcc, exec
	v_mov_b32_e32 v10, 0
	s_or_b64 s[4:5], s[4:5], s[8:9]
	s_or_b64 exec, exec, s[6:7]
	s_and_saveexec_b64 s[6:7], s[4:5]
	s_cbranch_execnz .LBB17_883
	s_branch .LBB17_884
.LBB17_2933:
	s_movk_i32 s4, 0x80
	v_cmp_eq_u16_e32 vcc, s4, v11
	s_mov_b64 s[4:5], -1
                                        ; implicit-def: $sgpr10
	s_and_saveexec_b64 s[8:9], vcc
; %bb.2934:
	s_mov_b32 s10, 0x7f800001
	s_xor_b64 s[4:5], exec, -1
; %bb.2935:
	s_or_b64 exec, exec, s[8:9]
	s_and_b64 s[4:5], s[4:5], exec
                                        ; implicit-def: $vgpr11
	s_or_saveexec_b64 s[6:7], s[6:7]
	v_mov_b32_e32 v12, s10
	s_xor_b64 exec, exec, s[6:7]
	s_cbranch_execz .LBB17_886
.LBB17_2936:
	v_cmp_ne_u16_e32 vcc, 0, v11
	s_andn2_b64 s[4:5], s[4:5], exec
	s_and_b64 s[8:9], vcc, exec
	v_mov_b32_e32 v12, 0
	s_or_b64 s[4:5], s[4:5], s[8:9]
	s_or_b64 exec, exec, s[6:7]
	s_and_saveexec_b64 s[6:7], s[4:5]
	s_cbranch_execnz .LBB17_887
	s_branch .LBB17_888
.LBB17_2937:
	s_movk_i32 s4, 0x80
	v_cmp_eq_u16_sdwa s[12:13], v17, s4 src0_sel:BYTE_3 src1_sel:DWORD
	s_mov_b64 s[4:5], -1
                                        ; implicit-def: $sgpr10
	s_and_saveexec_b64 s[8:9], s[12:13]
; %bb.2938:
	s_mov_b32 s10, 0x7f800001
	s_xor_b64 s[4:5], exec, -1
; %bb.2939:
	s_or_b64 exec, exec, s[8:9]
	s_and_b64 s[4:5], s[4:5], exec
	s_or_saveexec_b64 s[6:7], s[6:7]
	v_mov_b32_e32 v10, s10
	s_xor_b64 exec, exec, s[6:7]
	s_cbranch_execz .LBB17_890
.LBB17_2940:
	v_mov_b32_e32 v10, 0
	v_cmp_ne_u16_sdwa s[8:9], v17, v10 src0_sel:BYTE_3 src1_sel:DWORD
	s_andn2_b64 s[4:5], s[4:5], exec
	s_and_b64 s[8:9], s[8:9], exec
	s_or_b64 s[4:5], s[4:5], s[8:9]
	s_or_b64 exec, exec, s[6:7]
	s_and_saveexec_b64 s[6:7], s[4:5]
	s_cbranch_execnz .LBB17_891
	s_branch .LBB17_892
.LBB17_2941:
	s_movk_i32 s4, 0x80
	v_cmp_eq_u16_sdwa s[12:13], v13, s4 src0_sel:BYTE_3 src1_sel:DWORD
	s_mov_b64 s[4:5], -1
                                        ; implicit-def: $sgpr10
	s_and_saveexec_b64 s[8:9], s[12:13]
; %bb.2942:
	s_mov_b32 s10, 0x7f800001
	s_xor_b64 s[4:5], exec, -1
; %bb.2943:
	s_or_b64 exec, exec, s[8:9]
	s_and_b64 s[4:5], s[4:5], exec
	s_or_saveexec_b64 s[6:7], s[6:7]
	v_mov_b32_e32 v11, s10
	s_xor_b64 exec, exec, s[6:7]
	s_cbranch_execz .LBB17_894
.LBB17_2944:
	v_mov_b32_e32 v11, 0
	v_cmp_ne_u16_sdwa s[8:9], v13, v11 src0_sel:BYTE_3 src1_sel:DWORD
	s_andn2_b64 s[4:5], s[4:5], exec
	s_and_b64 s[8:9], s[8:9], exec
	s_or_b64 s[4:5], s[4:5], s[8:9]
	s_or_b64 exec, exec, s[6:7]
	s_and_saveexec_b64 s[6:7], s[4:5]
	s_cbranch_execnz .LBB17_895
	s_branch .LBB17_896
.LBB17_2945:
	s_movk_i32 s4, 0x80
	v_cmp_eq_u16_sdwa s[12:13], v6, s4 src0_sel:BYTE_0 src1_sel:DWORD
	s_mov_b64 s[4:5], -1
                                        ; implicit-def: $sgpr10
	s_and_saveexec_b64 s[8:9], s[12:13]
; %bb.2946:
	s_mov_b32 s10, 0x7f800001
	s_xor_b64 s[4:5], exec, -1
; %bb.2947:
	s_or_b64 exec, exec, s[8:9]
	s_and_b64 s[4:5], s[4:5], exec
	s_or_saveexec_b64 s[6:7], s[6:7]
	v_mov_b32_e32 v10, s10
	s_xor_b64 exec, exec, s[6:7]
	s_cbranch_execz .LBB17_898
.LBB17_2948:
	v_mov_b32_e32 v10, 0
	v_cmp_ne_u16_sdwa s[8:9], v6, v10 src0_sel:BYTE_0 src1_sel:DWORD
	s_andn2_b64 s[4:5], s[4:5], exec
	s_and_b64 s[8:9], s[8:9], exec
	s_or_b64 s[4:5], s[4:5], s[8:9]
	s_or_b64 exec, exec, s[6:7]
	s_and_saveexec_b64 s[6:7], s[4:5]
	s_cbranch_execnz .LBB17_899
	s_branch .LBB17_900
.LBB17_2949:
	s_movk_i32 s4, 0x80
	v_cmp_eq_u16_sdwa s[12:13], v2, s4 src0_sel:BYTE_0 src1_sel:DWORD
	s_mov_b64 s[4:5], -1
                                        ; implicit-def: $sgpr10
	s_and_saveexec_b64 s[8:9], s[12:13]
; %bb.2950:
	s_mov_b32 s10, 0x7f800001
	s_xor_b64 s[4:5], exec, -1
; %bb.2951:
	s_or_b64 exec, exec, s[8:9]
	s_and_b64 s[4:5], s[4:5], exec
	s_or_saveexec_b64 s[6:7], s[6:7]
	v_mov_b32_e32 v11, s10
	s_xor_b64 exec, exec, s[6:7]
	s_cbranch_execz .LBB17_902
.LBB17_2952:
	v_mov_b32_e32 v11, 0
	v_cmp_ne_u16_sdwa s[8:9], v2, v11 src0_sel:BYTE_0 src1_sel:DWORD
	s_andn2_b64 s[4:5], s[4:5], exec
	s_and_b64 s[8:9], s[8:9], exec
	s_or_b64 s[4:5], s[4:5], s[8:9]
	s_or_b64 exec, exec, s[6:7]
	s_and_saveexec_b64 s[6:7], s[4:5]
	s_cbranch_execnz .LBB17_903
	s_branch .LBB17_904
.LBB17_2953:
	s_movk_i32 s4, 0x80
	v_cmp_eq_u16_sdwa s[12:13], v11, s4 src0_sel:BYTE_0 src1_sel:DWORD
	s_mov_b64 s[4:5], -1
                                        ; implicit-def: $sgpr10
	s_and_saveexec_b64 s[8:9], s[12:13]
; %bb.2954:
	s_mov_b32 s10, 0x7f800001
	s_xor_b64 s[4:5], exec, -1
; %bb.2955:
	s_or_b64 exec, exec, s[8:9]
	s_and_b64 s[4:5], s[4:5], exec
	s_or_saveexec_b64 s[6:7], s[6:7]
	v_mov_b32_e32 v10, s10
	s_xor_b64 exec, exec, s[6:7]
	s_cbranch_execz .LBB17_906
.LBB17_2956:
	v_mov_b32_e32 v10, 0
	v_cmp_ne_u16_sdwa s[8:9], v11, v10 src0_sel:BYTE_0 src1_sel:DWORD
	s_andn2_b64 s[4:5], s[4:5], exec
	s_and_b64 s[8:9], s[8:9], exec
	s_or_b64 s[4:5], s[4:5], s[8:9]
	s_or_b64 exec, exec, s[6:7]
	s_and_saveexec_b64 s[6:7], s[4:5]
	s_cbranch_execnz .LBB17_907
	s_branch .LBB17_908
.LBB17_2957:
	s_movk_i32 s4, 0x80
	v_cmp_eq_u16_sdwa s[12:13], v11, s4 src0_sel:BYTE_0 src1_sel:DWORD
	s_mov_b64 s[4:5], -1
                                        ; implicit-def: $sgpr10
	s_and_saveexec_b64 s[8:9], s[12:13]
; %bb.2958:
	s_mov_b32 s10, 0x7f800001
	s_xor_b64 s[4:5], exec, -1
; %bb.2959:
	s_or_b64 exec, exec, s[8:9]
	s_and_b64 s[4:5], s[4:5], exec
	s_or_saveexec_b64 s[6:7], s[6:7]
	v_mov_b32_e32 v12, s10
	s_xor_b64 exec, exec, s[6:7]
	s_cbranch_execz .LBB17_910
.LBB17_2960:
	v_mov_b32_e32 v12, 0
	v_cmp_ne_u16_sdwa s[8:9], v11, v12 src0_sel:BYTE_0 src1_sel:DWORD
	s_andn2_b64 s[4:5], s[4:5], exec
	s_and_b64 s[8:9], s[8:9], exec
	s_or_b64 s[4:5], s[4:5], s[8:9]
	s_or_b64 exec, exec, s[6:7]
	s_and_saveexec_b64 s[6:7], s[4:5]
	s_cbranch_execnz .LBB17_911
	s_branch .LBB17_912
.LBB17_2961:
	s_movk_i32 s4, 0x80
	v_cmp_eq_u16_e32 vcc, s4, v11
	s_mov_b64 s[4:5], -1
                                        ; implicit-def: $sgpr10
	s_and_saveexec_b64 s[8:9], vcc
; %bb.2962:
	s_mov_b32 s10, 0x7f800001
	s_xor_b64 s[4:5], exec, -1
; %bb.2963:
	s_or_b64 exec, exec, s[8:9]
	s_and_b64 s[4:5], s[4:5], exec
                                        ; implicit-def: $vgpr11
	s_or_saveexec_b64 s[6:7], s[6:7]
	v_mov_b32_e32 v10, s10
	s_xor_b64 exec, exec, s[6:7]
	s_cbranch_execz .LBB17_914
.LBB17_2964:
	v_cmp_ne_u16_e32 vcc, 0, v11
	s_andn2_b64 s[4:5], s[4:5], exec
	s_and_b64 s[8:9], vcc, exec
	v_mov_b32_e32 v10, 0
	s_or_b64 s[4:5], s[4:5], s[8:9]
	s_or_b64 exec, exec, s[6:7]
	s_and_saveexec_b64 s[6:7], s[4:5]
	s_cbranch_execnz .LBB17_915
	s_branch .LBB17_916
.LBB17_2965:
	s_movk_i32 s4, 0x80
	v_cmp_eq_u16_e32 vcc, s4, v11
	s_mov_b64 s[4:5], -1
                                        ; implicit-def: $sgpr10
	s_and_saveexec_b64 s[8:9], vcc
; %bb.2966:
	s_mov_b32 s10, 0x7f800001
	s_xor_b64 s[4:5], exec, -1
; %bb.2967:
	s_or_b64 exec, exec, s[8:9]
	s_and_b64 s[4:5], s[4:5], exec
                                        ; implicit-def: $vgpr11
	s_or_saveexec_b64 s[6:7], s[6:7]
	v_mov_b32_e32 v12, s10
	s_xor_b64 exec, exec, s[6:7]
	s_cbranch_execz .LBB17_918
.LBB17_2968:
	v_cmp_ne_u16_e32 vcc, 0, v11
	s_andn2_b64 s[4:5], s[4:5], exec
	s_and_b64 s[8:9], vcc, exec
	v_mov_b32_e32 v12, 0
	s_or_b64 s[4:5], s[4:5], s[8:9]
	s_or_b64 exec, exec, s[6:7]
	s_and_saveexec_b64 s[6:7], s[4:5]
	s_cbranch_execnz .LBB17_919
	s_branch .LBB17_920
.LBB17_2969:
	s_movk_i32 s4, 0x80
	v_cmp_eq_u16_sdwa s[12:13], v6, s4 src0_sel:BYTE_3 src1_sel:DWORD
	s_mov_b64 s[4:5], -1
                                        ; implicit-def: $sgpr10
	s_and_saveexec_b64 s[8:9], s[12:13]
; %bb.2970:
	s_mov_b32 s10, 0x7f800001
	s_xor_b64 s[4:5], exec, -1
; %bb.2971:
	s_or_b64 exec, exec, s[8:9]
	s_and_b64 s[4:5], s[4:5], exec
	s_or_saveexec_b64 s[6:7], s[6:7]
	v_mov_b32_e32 v10, s10
	s_xor_b64 exec, exec, s[6:7]
	s_cbranch_execz .LBB17_922
.LBB17_2972:
	v_mov_b32_e32 v10, 0
	v_cmp_ne_u16_sdwa s[8:9], v6, v10 src0_sel:BYTE_3 src1_sel:DWORD
	s_andn2_b64 s[4:5], s[4:5], exec
	s_and_b64 s[8:9], s[8:9], exec
	s_or_b64 s[4:5], s[4:5], s[8:9]
	s_or_b64 exec, exec, s[6:7]
	s_and_saveexec_b64 s[6:7], s[4:5]
	s_cbranch_execnz .LBB17_923
	s_branch .LBB17_924
.LBB17_2973:
	s_movk_i32 s4, 0x80
	v_cmp_eq_u16_sdwa s[12:13], v2, s4 src0_sel:BYTE_3 src1_sel:DWORD
	s_mov_b64 s[4:5], -1
                                        ; implicit-def: $sgpr10
	s_and_saveexec_b64 s[8:9], s[12:13]
; %bb.2974:
	s_mov_b32 s10, 0x7f800001
	s_xor_b64 s[4:5], exec, -1
; %bb.2975:
	s_or_b64 exec, exec, s[8:9]
	s_and_b64 s[4:5], s[4:5], exec
	s_or_saveexec_b64 s[6:7], s[6:7]
	v_mov_b32_e32 v6, s10
	s_xor_b64 exec, exec, s[6:7]
	s_cbranch_execz .LBB17_926
.LBB17_2976:
	v_mov_b32_e32 v6, 0
	v_cmp_ne_u16_sdwa s[8:9], v2, v6 src0_sel:BYTE_3 src1_sel:DWORD
	s_andn2_b64 s[4:5], s[4:5], exec
	s_and_b64 s[8:9], s[8:9], exec
	s_or_b64 s[4:5], s[4:5], s[8:9]
	s_or_b64 exec, exec, s[6:7]
	s_and_saveexec_b64 s[6:7], s[4:5]
	s_cbranch_execnz .LBB17_927
	s_branch .LBB17_928
.LBB17_2977:
	s_movk_i32 s4, 0x80
	v_cmp_eq_u16_sdwa s[12:13], v7, s4 src0_sel:BYTE_0 src1_sel:DWORD
	s_mov_b64 s[4:5], -1
                                        ; implicit-def: $sgpr10
	s_and_saveexec_b64 s[8:9], s[12:13]
; %bb.2978:
	s_mov_b32 s10, 0x7f800001
	s_xor_b64 s[4:5], exec, -1
; %bb.2979:
	s_or_b64 exec, exec, s[8:9]
	s_and_b64 s[4:5], s[4:5], exec
	s_or_saveexec_b64 s[6:7], s[6:7]
	v_mov_b32_e32 v2, s10
	s_xor_b64 exec, exec, s[6:7]
	s_cbranch_execz .LBB17_930
.LBB17_2980:
	v_mov_b32_e32 v2, 0
	v_cmp_ne_u16_sdwa s[8:9], v7, v2 src0_sel:BYTE_0 src1_sel:DWORD
	s_andn2_b64 s[4:5], s[4:5], exec
	s_and_b64 s[8:9], s[8:9], exec
	s_or_b64 s[4:5], s[4:5], s[8:9]
	s_or_b64 exec, exec, s[6:7]
	s_and_saveexec_b64 s[6:7], s[4:5]
	s_cbranch_execnz .LBB17_931
	s_branch .LBB17_932
.LBB17_2981:
	s_movk_i32 s4, 0x80
	v_cmp_eq_u16_sdwa s[12:13], v3, s4 src0_sel:BYTE_0 src1_sel:DWORD
	s_mov_b64 s[4:5], -1
                                        ; implicit-def: $sgpr10
	s_and_saveexec_b64 s[8:9], s[12:13]
; %bb.2982:
	s_mov_b32 s10, 0x7f800001
	s_xor_b64 s[4:5], exec, -1
; %bb.2983:
	s_or_b64 exec, exec, s[8:9]
	s_and_b64 s[4:5], s[4:5], exec
	s_or_saveexec_b64 s[6:7], s[6:7]
	v_mov_b32_e32 v6, s10
	s_xor_b64 exec, exec, s[6:7]
	s_cbranch_execz .LBB17_934
.LBB17_2984:
	v_mov_b32_e32 v6, 0
	v_cmp_ne_u16_sdwa s[8:9], v3, v6 src0_sel:BYTE_0 src1_sel:DWORD
	s_andn2_b64 s[4:5], s[4:5], exec
	s_and_b64 s[8:9], s[8:9], exec
	s_or_b64 s[4:5], s[4:5], s[8:9]
	s_or_b64 exec, exec, s[6:7]
	s_and_saveexec_b64 s[6:7], s[4:5]
	s_cbranch_execnz .LBB17_935
	s_branch .LBB17_936
.LBB17_2985:
	s_movk_i32 s4, 0x80
	v_cmp_eq_u16_sdwa s[12:13], v6, s4 src0_sel:BYTE_0 src1_sel:DWORD
	s_mov_b64 s[4:5], -1
                                        ; implicit-def: $sgpr10
	s_and_saveexec_b64 s[8:9], s[12:13]
; %bb.2986:
	s_mov_b32 s10, 0x7f800001
	s_xor_b64 s[4:5], exec, -1
; %bb.2987:
	s_or_b64 exec, exec, s[8:9]
	s_and_b64 s[4:5], s[4:5], exec
	s_or_saveexec_b64 s[6:7], s[6:7]
	v_mov_b32_e32 v2, s10
	s_xor_b64 exec, exec, s[6:7]
	s_cbranch_execz .LBB17_938
.LBB17_2988:
	v_mov_b32_e32 v2, 0
	v_cmp_ne_u16_sdwa s[8:9], v6, v2 src0_sel:BYTE_0 src1_sel:DWORD
	s_andn2_b64 s[4:5], s[4:5], exec
	s_and_b64 s[8:9], s[8:9], exec
	s_or_b64 s[4:5], s[4:5], s[8:9]
	s_or_b64 exec, exec, s[6:7]
	s_and_saveexec_b64 s[6:7], s[4:5]
	s_cbranch_execnz .LBB17_939
	s_branch .LBB17_940
.LBB17_2989:
	s_movk_i32 s4, 0x80
	v_cmp_eq_u16_sdwa s[12:13], v6, s4 src0_sel:BYTE_0 src1_sel:DWORD
	s_mov_b64 s[4:5], -1
                                        ; implicit-def: $sgpr10
	s_and_saveexec_b64 s[8:9], s[12:13]
; %bb.2990:
	s_mov_b32 s10, 0x7f800001
	s_xor_b64 s[4:5], exec, -1
; %bb.2991:
	s_or_b64 exec, exec, s[8:9]
	s_and_b64 s[4:5], s[4:5], exec
	s_or_saveexec_b64 s[6:7], s[6:7]
	v_mov_b32_e32 v10, s10
	s_xor_b64 exec, exec, s[6:7]
	s_cbranch_execz .LBB17_942
.LBB17_2992:
	v_mov_b32_e32 v10, 0
	v_cmp_ne_u16_sdwa s[8:9], v6, v10 src0_sel:BYTE_0 src1_sel:DWORD
	s_andn2_b64 s[4:5], s[4:5], exec
	s_and_b64 s[8:9], s[8:9], exec
	s_or_b64 s[4:5], s[4:5], s[8:9]
	s_or_b64 exec, exec, s[6:7]
	s_and_saveexec_b64 s[6:7], s[4:5]
	s_cbranch_execnz .LBB17_943
	s_branch .LBB17_944
.LBB17_2993:
	s_movk_i32 s4, 0x80
	v_cmp_eq_u16_e32 vcc, s4, v6
	s_mov_b64 s[4:5], -1
                                        ; implicit-def: $sgpr10
	s_and_saveexec_b64 s[8:9], vcc
; %bb.2994:
	s_mov_b32 s10, 0x7f800001
	s_xor_b64 s[4:5], exec, -1
; %bb.2995:
	s_or_b64 exec, exec, s[8:9]
	s_and_b64 s[4:5], s[4:5], exec
                                        ; implicit-def: $vgpr6
	s_or_saveexec_b64 s[6:7], s[6:7]
	v_mov_b32_e32 v2, s10
	s_xor_b64 exec, exec, s[6:7]
	s_cbranch_execz .LBB17_946
.LBB17_2996:
	v_cmp_ne_u16_e32 vcc, 0, v6
	s_andn2_b64 s[4:5], s[4:5], exec
	s_and_b64 s[8:9], vcc, exec
	v_mov_b32_e32 v2, 0
	s_or_b64 s[4:5], s[4:5], s[8:9]
	s_or_b64 exec, exec, s[6:7]
	s_and_saveexec_b64 s[6:7], s[4:5]
	s_cbranch_execnz .LBB17_947
	s_branch .LBB17_948
.LBB17_2997:
	s_movk_i32 s4, 0x80
	v_cmp_eq_u16_e32 vcc, s4, v6
	s_mov_b64 s[4:5], -1
                                        ; implicit-def: $sgpr10
	s_and_saveexec_b64 s[8:9], vcc
; %bb.2998:
	s_mov_b32 s10, 0x7f800001
	s_xor_b64 s[4:5], exec, -1
; %bb.2999:
	s_or_b64 exec, exec, s[8:9]
	s_and_b64 s[4:5], s[4:5], exec
                                        ; implicit-def: $vgpr6
	s_or_saveexec_b64 s[6:7], s[6:7]
	v_mov_b32_e32 v10, s10
	s_xor_b64 exec, exec, s[6:7]
	s_cbranch_execz .LBB17_950
.LBB17_3000:
	v_cmp_ne_u16_e32 vcc, 0, v6
	s_andn2_b64 s[4:5], s[4:5], exec
	s_and_b64 s[8:9], vcc, exec
	v_mov_b32_e32 v10, 0
	s_or_b64 s[4:5], s[4:5], s[8:9]
	s_or_b64 exec, exec, s[6:7]
	s_and_saveexec_b64 s[6:7], s[4:5]
	s_cbranch_execnz .LBB17_951
	s_branch .LBB17_952
.LBB17_3001:
	s_movk_i32 s4, 0x80
	v_cmp_eq_u16_sdwa s[12:13], v7, s4 src0_sel:BYTE_3 src1_sel:DWORD
	s_mov_b64 s[4:5], -1
                                        ; implicit-def: $sgpr10
	s_and_saveexec_b64 s[8:9], s[12:13]
; %bb.3002:
	s_mov_b32 s10, 0x7f800001
	s_xor_b64 s[4:5], exec, -1
; %bb.3003:
	s_or_b64 exec, exec, s[8:9]
	s_and_b64 s[4:5], s[4:5], exec
	s_or_saveexec_b64 s[6:7], s[6:7]
	v_mov_b32_e32 v2, s10
	s_xor_b64 exec, exec, s[6:7]
	s_cbranch_execz .LBB17_954
.LBB17_3004:
	v_mov_b32_e32 v2, 0
	v_cmp_ne_u16_sdwa s[8:9], v7, v2 src0_sel:BYTE_3 src1_sel:DWORD
	s_andn2_b64 s[4:5], s[4:5], exec
	s_and_b64 s[8:9], s[8:9], exec
	s_or_b64 s[4:5], s[4:5], s[8:9]
	s_or_b64 exec, exec, s[6:7]
	s_and_saveexec_b64 s[6:7], s[4:5]
	s_cbranch_execnz .LBB17_955
	s_branch .LBB17_956
.LBB17_3005:
	s_movk_i32 s4, 0x80
	v_cmp_eq_u16_sdwa s[12:13], v3, s4 src0_sel:BYTE_3 src1_sel:DWORD
	s_mov_b64 s[4:5], -1
                                        ; implicit-def: $sgpr10
	s_and_saveexec_b64 s[8:9], s[12:13]
; %bb.3006:
	s_mov_b32 s10, 0x7f800001
	s_xor_b64 s[4:5], exec, -1
; %bb.3007:
	s_or_b64 exec, exec, s[8:9]
	s_and_b64 s[4:5], s[4:5], exec
	s_or_saveexec_b64 s[6:7], s[6:7]
	v_mov_b32_e32 v6, s10
	s_xor_b64 exec, exec, s[6:7]
	s_cbranch_execz .LBB17_958
.LBB17_3008:
	v_mov_b32_e32 v6, 0
	v_cmp_ne_u16_sdwa s[8:9], v3, v6 src0_sel:BYTE_3 src1_sel:DWORD
	s_andn2_b64 s[4:5], s[4:5], exec
	s_and_b64 s[8:9], s[8:9], exec
	s_or_b64 s[4:5], s[4:5], s[8:9]
	s_or_b64 exec, exec, s[6:7]
	s_and_saveexec_b64 s[6:7], s[4:5]
	s_cbranch_execnz .LBB17_959
	s_branch .LBB17_960
.LBB17_3009:
	s_movk_i32 s4, 0x80
	v_cmp_eq_u16_sdwa s[12:13], v8, s4 src0_sel:BYTE_0 src1_sel:DWORD
	s_mov_b64 s[4:5], -1
                                        ; implicit-def: $sgpr10
	s_and_saveexec_b64 s[8:9], s[12:13]
; %bb.3010:
	s_mov_b32 s10, 0x7f800001
	s_xor_b64 s[4:5], exec, -1
; %bb.3011:
	s_or_b64 exec, exec, s[8:9]
	s_and_b64 s[4:5], s[4:5], exec
	s_or_saveexec_b64 s[6:7], s[6:7]
	v_mov_b32_e32 v2, s10
	s_xor_b64 exec, exec, s[6:7]
	s_cbranch_execz .LBB17_962
.LBB17_3012:
	v_mov_b32_e32 v2, 0
	v_cmp_ne_u16_sdwa s[8:9], v8, v2 src0_sel:BYTE_0 src1_sel:DWORD
	s_andn2_b64 s[4:5], s[4:5], exec
	s_and_b64 s[8:9], s[8:9], exec
	s_or_b64 s[4:5], s[4:5], s[8:9]
	s_or_b64 exec, exec, s[6:7]
	s_and_saveexec_b64 s[6:7], s[4:5]
	s_cbranch_execnz .LBB17_963
	s_branch .LBB17_964
.LBB17_3013:
	s_movk_i32 s4, 0x80
	v_cmp_eq_u16_sdwa s[12:13], v4, s4 src0_sel:BYTE_0 src1_sel:DWORD
	s_mov_b64 s[4:5], -1
                                        ; implicit-def: $sgpr10
	s_and_saveexec_b64 s[8:9], s[12:13]
; %bb.3014:
	s_mov_b32 s10, 0x7f800001
	s_xor_b64 s[4:5], exec, -1
; %bb.3015:
	s_or_b64 exec, exec, s[8:9]
	s_and_b64 s[4:5], s[4:5], exec
	s_or_saveexec_b64 s[6:7], s[6:7]
	v_mov_b32_e32 v3, s10
	s_xor_b64 exec, exec, s[6:7]
	s_cbranch_execz .LBB17_966
.LBB17_3016:
	v_mov_b32_e32 v3, 0
	v_cmp_ne_u16_sdwa s[8:9], v4, v3 src0_sel:BYTE_0 src1_sel:DWORD
	s_andn2_b64 s[4:5], s[4:5], exec
	s_and_b64 s[8:9], s[8:9], exec
	s_or_b64 s[4:5], s[4:5], s[8:9]
	s_or_b64 exec, exec, s[6:7]
	s_and_saveexec_b64 s[6:7], s[4:5]
	s_cbranch_execnz .LBB17_967
	s_branch .LBB17_968
.LBB17_3017:
	s_movk_i32 s4, 0x80
	v_cmp_eq_u16_sdwa s[12:13], v3, s4 src0_sel:BYTE_0 src1_sel:DWORD
	s_mov_b64 s[4:5], -1
                                        ; implicit-def: $sgpr10
	s_and_saveexec_b64 s[8:9], s[12:13]
; %bb.3018:
	s_mov_b32 s10, 0x7f800001
	s_xor_b64 s[4:5], exec, -1
; %bb.3019:
	s_or_b64 exec, exec, s[8:9]
	s_and_b64 s[4:5], s[4:5], exec
	s_or_saveexec_b64 s[6:7], s[6:7]
	v_mov_b32_e32 v2, s10
	s_xor_b64 exec, exec, s[6:7]
	s_cbranch_execz .LBB17_970
.LBB17_3020:
	v_mov_b32_e32 v2, 0
	v_cmp_ne_u16_sdwa s[8:9], v3, v2 src0_sel:BYTE_0 src1_sel:DWORD
	s_andn2_b64 s[4:5], s[4:5], exec
	s_and_b64 s[8:9], s[8:9], exec
	s_or_b64 s[4:5], s[4:5], s[8:9]
	s_or_b64 exec, exec, s[6:7]
	s_and_saveexec_b64 s[6:7], s[4:5]
	s_cbranch_execnz .LBB17_971
	s_branch .LBB17_972
.LBB17_3021:
	s_movk_i32 s4, 0x80
	v_cmp_eq_u16_sdwa s[12:13], v3, s4 src0_sel:BYTE_0 src1_sel:DWORD
	s_mov_b64 s[4:5], -1
                                        ; implicit-def: $sgpr10
	s_and_saveexec_b64 s[8:9], s[12:13]
; %bb.3022:
	s_mov_b32 s10, 0x7f800001
	s_xor_b64 s[4:5], exec, -1
; %bb.3023:
	s_or_b64 exec, exec, s[8:9]
	s_and_b64 s[4:5], s[4:5], exec
	s_or_saveexec_b64 s[6:7], s[6:7]
	v_mov_b32_e32 v6, s10
	s_xor_b64 exec, exec, s[6:7]
	s_cbranch_execz .LBB17_974
.LBB17_3024:
	v_mov_b32_e32 v6, 0
	v_cmp_ne_u16_sdwa s[8:9], v3, v6 src0_sel:BYTE_0 src1_sel:DWORD
	s_andn2_b64 s[4:5], s[4:5], exec
	s_and_b64 s[8:9], s[8:9], exec
	s_or_b64 s[4:5], s[4:5], s[8:9]
	s_or_b64 exec, exec, s[6:7]
	s_and_saveexec_b64 s[6:7], s[4:5]
	s_cbranch_execnz .LBB17_975
	s_branch .LBB17_976
.LBB17_3025:
	s_movk_i32 s4, 0x80
	v_cmp_eq_u16_e32 vcc, s4, v3
	s_mov_b64 s[4:5], -1
                                        ; implicit-def: $sgpr10
	s_and_saveexec_b64 s[8:9], vcc
; %bb.3026:
	s_mov_b32 s10, 0x7f800001
	s_xor_b64 s[4:5], exec, -1
; %bb.3027:
	s_or_b64 exec, exec, s[8:9]
	s_and_b64 s[4:5], s[4:5], exec
                                        ; implicit-def: $vgpr3
	s_or_saveexec_b64 s[6:7], s[6:7]
	v_mov_b32_e32 v2, s10
	s_xor_b64 exec, exec, s[6:7]
	s_cbranch_execz .LBB17_978
.LBB17_3028:
	v_cmp_ne_u16_e32 vcc, 0, v3
	s_andn2_b64 s[4:5], s[4:5], exec
	s_and_b64 s[8:9], vcc, exec
	v_mov_b32_e32 v2, 0
	s_or_b64 s[4:5], s[4:5], s[8:9]
	s_or_b64 exec, exec, s[6:7]
	s_and_saveexec_b64 s[6:7], s[4:5]
	s_cbranch_execnz .LBB17_979
	s_branch .LBB17_980
.LBB17_3029:
	s_movk_i32 s4, 0x80
	v_cmp_eq_u16_e32 vcc, s4, v3
	s_mov_b64 s[4:5], -1
                                        ; implicit-def: $sgpr10
	s_and_saveexec_b64 s[8:9], vcc
; %bb.3030:
	s_mov_b32 s10, 0x7f800001
	s_xor_b64 s[4:5], exec, -1
; %bb.3031:
	s_or_b64 exec, exec, s[8:9]
	s_and_b64 s[4:5], s[4:5], exec
                                        ; implicit-def: $vgpr3
	s_or_saveexec_b64 s[6:7], s[6:7]
	v_mov_b32_e32 v6, s10
	s_xor_b64 exec, exec, s[6:7]
	s_cbranch_execz .LBB17_982
.LBB17_3032:
	v_cmp_ne_u16_e32 vcc, 0, v3
	s_andn2_b64 s[4:5], s[4:5], exec
	s_and_b64 s[8:9], vcc, exec
	v_mov_b32_e32 v6, 0
	s_or_b64 s[4:5], s[4:5], s[8:9]
	s_or_b64 exec, exec, s[6:7]
	s_and_saveexec_b64 s[6:7], s[4:5]
	s_cbranch_execnz .LBB17_983
	s_branch .LBB17_984
.LBB17_3033:
	s_movk_i32 s4, 0x80
	v_cmp_eq_u16_sdwa s[12:13], v8, s4 src0_sel:BYTE_3 src1_sel:DWORD
	s_mov_b64 s[4:5], -1
                                        ; implicit-def: $sgpr10
	s_and_saveexec_b64 s[8:9], s[12:13]
; %bb.3034:
	s_mov_b32 s10, 0x7f800001
	s_xor_b64 s[4:5], exec, -1
; %bb.3035:
	s_or_b64 exec, exec, s[8:9]
	s_and_b64 s[4:5], s[4:5], exec
	s_or_saveexec_b64 s[6:7], s[6:7]
	v_mov_b32_e32 v2, s10
	s_xor_b64 exec, exec, s[6:7]
	s_cbranch_execz .LBB17_986
.LBB17_3036:
	v_mov_b32_e32 v2, 0
	v_cmp_ne_u16_sdwa s[8:9], v8, v2 src0_sel:BYTE_3 src1_sel:DWORD
	s_andn2_b64 s[4:5], s[4:5], exec
	s_and_b64 s[8:9], s[8:9], exec
	s_or_b64 s[4:5], s[4:5], s[8:9]
	s_or_b64 exec, exec, s[6:7]
	s_and_saveexec_b64 s[6:7], s[4:5]
	s_cbranch_execnz .LBB17_987
	s_branch .LBB17_988
.LBB17_3037:
	s_movk_i32 s4, 0x80
	v_cmp_eq_u16_sdwa s[12:13], v4, s4 src0_sel:BYTE_3 src1_sel:DWORD
	s_mov_b64 s[4:5], -1
                                        ; implicit-def: $sgpr10
	s_and_saveexec_b64 s[8:9], s[12:13]
; %bb.3038:
	s_mov_b32 s10, 0x7f800001
	s_xor_b64 s[4:5], exec, -1
; %bb.3039:
	s_or_b64 exec, exec, s[8:9]
	s_and_b64 s[4:5], s[4:5], exec
	s_or_saveexec_b64 s[6:7], s[6:7]
	v_mov_b32_e32 v3, s10
	s_xor_b64 exec, exec, s[6:7]
	s_cbranch_execz .LBB17_990
.LBB17_3040:
	v_mov_b32_e32 v3, 0
	v_cmp_ne_u16_sdwa s[8:9], v4, v3 src0_sel:BYTE_3 src1_sel:DWORD
	s_andn2_b64 s[4:5], s[4:5], exec
	s_and_b64 s[8:9], s[8:9], exec
	s_or_b64 s[4:5], s[4:5], s[8:9]
	s_or_b64 exec, exec, s[6:7]
	s_and_saveexec_b64 s[6:7], s[4:5]
	s_cbranch_execnz .LBB17_991
	s_branch .LBB17_992
.LBB17_3041:
	s_movk_i32 s4, 0x80
	v_cmp_eq_u16_sdwa s[12:13], v9, s4 src0_sel:BYTE_0 src1_sel:DWORD
	s_mov_b64 s[4:5], -1
                                        ; implicit-def: $sgpr10
	s_and_saveexec_b64 s[8:9], s[12:13]
; %bb.3042:
	s_mov_b32 s10, 0x7f800001
	s_xor_b64 s[4:5], exec, -1
; %bb.3043:
	s_or_b64 exec, exec, s[8:9]
	s_and_b64 s[4:5], s[4:5], exec
	s_or_saveexec_b64 s[6:7], s[6:7]
	v_mov_b32_e32 v2, s10
	s_xor_b64 exec, exec, s[6:7]
	s_cbranch_execz .LBB17_994
.LBB17_3044:
	v_mov_b32_e32 v2, 0
	v_cmp_ne_u16_sdwa s[8:9], v9, v2 src0_sel:BYTE_0 src1_sel:DWORD
	s_andn2_b64 s[4:5], s[4:5], exec
	s_and_b64 s[8:9], s[8:9], exec
	s_or_b64 s[4:5], s[4:5], s[8:9]
	s_or_b64 exec, exec, s[6:7]
	s_and_saveexec_b64 s[6:7], s[4:5]
	s_cbranch_execnz .LBB17_995
	s_branch .LBB17_996
.LBB17_3045:
	s_movk_i32 s4, 0x80
	v_cmp_eq_u16_sdwa s[12:13], v5, s4 src0_sel:BYTE_0 src1_sel:DWORD
	s_mov_b64 s[4:5], -1
                                        ; implicit-def: $sgpr10
	s_and_saveexec_b64 s[8:9], s[12:13]
; %bb.3046:
	s_mov_b32 s10, 0x7f800001
	s_xor_b64 s[4:5], exec, -1
; %bb.3047:
	s_or_b64 exec, exec, s[8:9]
	s_and_b64 s[4:5], s[4:5], exec
	s_or_saveexec_b64 s[6:7], s[6:7]
	v_mov_b32_e32 v3, s10
	s_xor_b64 exec, exec, s[6:7]
	s_cbranch_execz .LBB17_998
.LBB17_3048:
	v_mov_b32_e32 v3, 0
	v_cmp_ne_u16_sdwa s[8:9], v5, v3 src0_sel:BYTE_0 src1_sel:DWORD
	s_andn2_b64 s[4:5], s[4:5], exec
	s_and_b64 s[8:9], s[8:9], exec
	s_or_b64 s[4:5], s[4:5], s[8:9]
	s_or_b64 exec, exec, s[6:7]
	s_and_saveexec_b64 s[6:7], s[4:5]
	s_cbranch_execnz .LBB17_999
	s_branch .LBB17_1000
.LBB17_3049:
	s_movk_i32 s4, 0x80
	v_cmp_eq_u16_sdwa s[12:13], v3, s4 src0_sel:BYTE_0 src1_sel:DWORD
	s_mov_b64 s[4:5], -1
                                        ; implicit-def: $sgpr10
	s_and_saveexec_b64 s[8:9], s[12:13]
; %bb.3050:
	s_mov_b32 s10, 0x7f800001
	s_xor_b64 s[4:5], exec, -1
; %bb.3051:
	s_or_b64 exec, exec, s[8:9]
	s_and_b64 s[4:5], s[4:5], exec
	s_or_saveexec_b64 s[6:7], s[6:7]
	v_mov_b32_e32 v2, s10
	s_xor_b64 exec, exec, s[6:7]
	s_cbranch_execz .LBB17_1002
.LBB17_3052:
	v_mov_b32_e32 v2, 0
	v_cmp_ne_u16_sdwa s[8:9], v3, v2 src0_sel:BYTE_0 src1_sel:DWORD
	s_andn2_b64 s[4:5], s[4:5], exec
	s_and_b64 s[8:9], s[8:9], exec
	s_or_b64 s[4:5], s[4:5], s[8:9]
	s_or_b64 exec, exec, s[6:7]
	s_and_saveexec_b64 s[6:7], s[4:5]
	s_cbranch_execnz .LBB17_1003
	s_branch .LBB17_1004
.LBB17_3053:
	s_movk_i32 s4, 0x80
	v_cmp_eq_u16_sdwa s[12:13], v3, s4 src0_sel:BYTE_0 src1_sel:DWORD
	s_mov_b64 s[4:5], -1
                                        ; implicit-def: $sgpr10
	s_and_saveexec_b64 s[8:9], s[12:13]
; %bb.3054:
	s_mov_b32 s10, 0x7f800001
	s_xor_b64 s[4:5], exec, -1
; %bb.3055:
	s_or_b64 exec, exec, s[8:9]
	s_and_b64 s[4:5], s[4:5], exec
	s_or_saveexec_b64 s[6:7], s[6:7]
	v_mov_b32_e32 v4, s10
	s_xor_b64 exec, exec, s[6:7]
	s_cbranch_execz .LBB17_1006
.LBB17_3056:
	v_mov_b32_e32 v4, 0
	v_cmp_ne_u16_sdwa s[8:9], v3, v4 src0_sel:BYTE_0 src1_sel:DWORD
	s_andn2_b64 s[4:5], s[4:5], exec
	s_and_b64 s[8:9], s[8:9], exec
	s_or_b64 s[4:5], s[4:5], s[8:9]
	s_or_b64 exec, exec, s[6:7]
	s_and_saveexec_b64 s[6:7], s[4:5]
	s_cbranch_execnz .LBB17_1007
	s_branch .LBB17_1008
.LBB17_3057:
	s_movk_i32 s4, 0x80
	v_cmp_eq_u16_e32 vcc, s4, v3
	s_mov_b64 s[4:5], -1
                                        ; implicit-def: $sgpr10
	s_and_saveexec_b64 s[8:9], vcc
; %bb.3058:
	s_mov_b32 s10, 0x7f800001
	s_xor_b64 s[4:5], exec, -1
; %bb.3059:
	s_or_b64 exec, exec, s[8:9]
	s_and_b64 s[4:5], s[4:5], exec
                                        ; implicit-def: $vgpr3
	s_or_saveexec_b64 s[6:7], s[6:7]
	v_mov_b32_e32 v2, s10
	s_xor_b64 exec, exec, s[6:7]
	s_cbranch_execz .LBB17_1010
.LBB17_3060:
	v_cmp_ne_u16_e32 vcc, 0, v3
	s_andn2_b64 s[4:5], s[4:5], exec
	s_and_b64 s[8:9], vcc, exec
	v_mov_b32_e32 v2, 0
	s_or_b64 s[4:5], s[4:5], s[8:9]
	s_or_b64 exec, exec, s[6:7]
	s_and_saveexec_b64 s[6:7], s[4:5]
	s_cbranch_execnz .LBB17_1011
	s_branch .LBB17_1012
.LBB17_3061:
	s_movk_i32 s4, 0x80
	v_cmp_eq_u16_e32 vcc, s4, v3
	s_mov_b64 s[4:5], -1
                                        ; implicit-def: $sgpr10
	s_and_saveexec_b64 s[8:9], vcc
; %bb.3062:
	s_mov_b32 s10, 0x7f800001
	s_xor_b64 s[4:5], exec, -1
; %bb.3063:
	s_or_b64 exec, exec, s[8:9]
	s_and_b64 s[4:5], s[4:5], exec
                                        ; implicit-def: $vgpr3
	s_or_saveexec_b64 s[6:7], s[6:7]
	v_mov_b32_e32 v4, s10
	s_xor_b64 exec, exec, s[6:7]
	s_cbranch_execz .LBB17_1014
.LBB17_3064:
	v_cmp_ne_u16_e32 vcc, 0, v3
	s_andn2_b64 s[4:5], s[4:5], exec
	s_and_b64 s[8:9], vcc, exec
	v_mov_b32_e32 v4, 0
	s_or_b64 s[4:5], s[4:5], s[8:9]
	s_or_b64 exec, exec, s[6:7]
	s_and_saveexec_b64 s[6:7], s[4:5]
	s_cbranch_execnz .LBB17_1015
	s_branch .LBB17_1016
.LBB17_3065:
	s_movk_i32 s4, 0x80
	v_cmp_eq_u16_sdwa s[12:13], v9, s4 src0_sel:BYTE_3 src1_sel:DWORD
	s_mov_b64 s[4:5], -1
                                        ; implicit-def: $sgpr10
	s_and_saveexec_b64 s[8:9], s[12:13]
; %bb.3066:
	s_mov_b32 s10, 0x7f800001
	s_xor_b64 s[4:5], exec, -1
; %bb.3067:
	s_or_b64 exec, exec, s[8:9]
	s_and_b64 s[4:5], s[4:5], exec
	s_or_saveexec_b64 s[6:7], s[6:7]
	v_mov_b32_e32 v2, s10
	s_xor_b64 exec, exec, s[6:7]
	s_cbranch_execz .LBB17_1018
.LBB17_3068:
	v_mov_b32_e32 v2, 0
	v_cmp_ne_u16_sdwa s[8:9], v9, v2 src0_sel:BYTE_3 src1_sel:DWORD
	s_andn2_b64 s[4:5], s[4:5], exec
	s_and_b64 s[8:9], s[8:9], exec
	s_or_b64 s[4:5], s[4:5], s[8:9]
	s_or_b64 exec, exec, s[6:7]
	s_and_saveexec_b64 s[6:7], s[4:5]
	s_cbranch_execnz .LBB17_1019
	s_branch .LBB17_1020
.LBB17_3069:
	s_movk_i32 s4, 0x80
	v_cmp_eq_u16_sdwa s[12:13], v5, s4 src0_sel:BYTE_3 src1_sel:DWORD
	s_mov_b64 s[4:5], -1
                                        ; implicit-def: $sgpr10
	s_and_saveexec_b64 s[8:9], s[12:13]
; %bb.3070:
	s_mov_b32 s10, 0x7f800001
	s_xor_b64 s[4:5], exec, -1
; %bb.3071:
	s_or_b64 exec, exec, s[8:9]
	s_and_b64 s[4:5], s[4:5], exec
	s_or_saveexec_b64 s[6:7], s[6:7]
	v_mov_b32_e32 v3, s10
	s_xor_b64 exec, exec, s[6:7]
	s_cbranch_execz .LBB17_1022
.LBB17_3072:
	v_mov_b32_e32 v3, 0
	v_cmp_ne_u16_sdwa s[8:9], v5, v3 src0_sel:BYTE_3 src1_sel:DWORD
	s_andn2_b64 s[4:5], s[4:5], exec
	s_and_b64 s[8:9], s[8:9], exec
	s_or_b64 s[4:5], s[4:5], s[8:9]
	s_or_b64 exec, exec, s[6:7]
	s_and_saveexec_b64 s[6:7], s[4:5]
	s_cbranch_execnz .LBB17_1023
	s_branch .LBB17_1024
.LBB17_3073:
	s_movk_i32 s4, 0x80
	v_cmp_eq_u16_sdwa s[12:13], v14, s4 src0_sel:BYTE_0 src1_sel:DWORD
	s_mov_b64 s[4:5], -1
                                        ; implicit-def: $sgpr10
	s_and_saveexec_b64 s[8:9], s[12:13]
; %bb.3074:
	s_mov_b32 s10, 0x7f800001
	s_xor_b64 s[4:5], exec, -1
; %bb.3075:
	s_or_b64 exec, exec, s[8:9]
	s_and_b64 s[4:5], s[4:5], exec
	s_or_saveexec_b64 s[6:7], s[6:7]
	v_mov_b32_e32 v20, s10
	s_xor_b64 exec, exec, s[6:7]
	s_cbranch_execz .LBB17_1026
.LBB17_3076:
	v_mov_b32_e32 v20, 0
	v_cmp_ne_u16_sdwa s[8:9], v14, v20 src0_sel:BYTE_0 src1_sel:DWORD
	s_andn2_b64 s[4:5], s[4:5], exec
	s_and_b64 s[8:9], s[8:9], exec
	s_or_b64 s[4:5], s[4:5], s[8:9]
	s_or_b64 exec, exec, s[6:7]
	s_and_saveexec_b64 s[6:7], s[4:5]
	s_cbranch_execnz .LBB17_1027
	s_branch .LBB17_1028
.LBB17_3077:
	s_movk_i32 s4, 0x80
	v_cmp_eq_u16_sdwa s[12:13], v10, s4 src0_sel:BYTE_0 src1_sel:DWORD
	s_mov_b64 s[4:5], -1
                                        ; implicit-def: $sgpr10
	s_and_saveexec_b64 s[8:9], s[12:13]
; %bb.3078:
	s_mov_b32 s10, 0x7f800001
	s_xor_b64 s[4:5], exec, -1
; %bb.3079:
	s_or_b64 exec, exec, s[8:9]
	s_and_b64 s[4:5], s[4:5], exec
	s_or_saveexec_b64 s[6:7], s[6:7]
	v_mov_b32_e32 v21, s10
	s_xor_b64 exec, exec, s[6:7]
	s_cbranch_execz .LBB17_1030
.LBB17_3080:
	v_mov_b32_e32 v21, 0
	v_cmp_ne_u16_sdwa s[8:9], v10, v21 src0_sel:BYTE_0 src1_sel:DWORD
	s_andn2_b64 s[4:5], s[4:5], exec
	s_and_b64 s[8:9], s[8:9], exec
	s_or_b64 s[4:5], s[4:5], s[8:9]
	s_or_b64 exec, exec, s[6:7]
	s_and_saveexec_b64 s[6:7], s[4:5]
	s_cbranch_execnz .LBB17_1031
	s_branch .LBB17_1032
.LBB17_3081:
	s_movk_i32 s4, 0x80
	v_cmp_eq_u16_sdwa s[12:13], v21, s4 src0_sel:BYTE_0 src1_sel:DWORD
	s_mov_b64 s[4:5], -1
                                        ; implicit-def: $sgpr10
	s_and_saveexec_b64 s[8:9], s[12:13]
; %bb.3082:
	s_mov_b32 s10, 0x7f800001
	s_xor_b64 s[4:5], exec, -1
; %bb.3083:
	s_or_b64 exec, exec, s[8:9]
	s_and_b64 s[4:5], s[4:5], exec
	s_or_saveexec_b64 s[6:7], s[6:7]
	v_mov_b32_e32 v20, s10
	s_xor_b64 exec, exec, s[6:7]
	s_cbranch_execz .LBB17_1034
.LBB17_3084:
	v_mov_b32_e32 v20, 0
	v_cmp_ne_u16_sdwa s[8:9], v21, v20 src0_sel:BYTE_0 src1_sel:DWORD
	s_andn2_b64 s[4:5], s[4:5], exec
	s_and_b64 s[8:9], s[8:9], exec
	s_or_b64 s[4:5], s[4:5], s[8:9]
	s_or_b64 exec, exec, s[6:7]
	s_and_saveexec_b64 s[6:7], s[4:5]
	s_cbranch_execnz .LBB17_1035
	s_branch .LBB17_1036
.LBB17_3085:
	s_movk_i32 s4, 0x80
	v_cmp_eq_u16_sdwa s[12:13], v21, s4 src0_sel:BYTE_0 src1_sel:DWORD
	s_mov_b64 s[4:5], -1
                                        ; implicit-def: $sgpr10
	s_and_saveexec_b64 s[8:9], s[12:13]
; %bb.3086:
	s_mov_b32 s10, 0x7f800001
	s_xor_b64 s[4:5], exec, -1
; %bb.3087:
	s_or_b64 exec, exec, s[8:9]
	s_and_b64 s[4:5], s[4:5], exec
	s_or_saveexec_b64 s[6:7], s[6:7]
	v_mov_b32_e32 v22, s10
	s_xor_b64 exec, exec, s[6:7]
	s_cbranch_execz .LBB17_1038
.LBB17_3088:
	v_mov_b32_e32 v22, 0
	v_cmp_ne_u16_sdwa s[8:9], v21, v22 src0_sel:BYTE_0 src1_sel:DWORD
	s_andn2_b64 s[4:5], s[4:5], exec
	s_and_b64 s[8:9], s[8:9], exec
	s_or_b64 s[4:5], s[4:5], s[8:9]
	s_or_b64 exec, exec, s[6:7]
	s_and_saveexec_b64 s[6:7], s[4:5]
	s_cbranch_execnz .LBB17_1039
	s_branch .LBB17_1040
.LBB17_3089:
	s_movk_i32 s4, 0x80
	v_cmp_eq_u16_e32 vcc, s4, v21
	s_mov_b64 s[4:5], -1
                                        ; implicit-def: $sgpr10
	s_and_saveexec_b64 s[8:9], vcc
; %bb.3090:
	s_mov_b32 s10, 0x7f800001
	s_xor_b64 s[4:5], exec, -1
; %bb.3091:
	s_or_b64 exec, exec, s[8:9]
	s_and_b64 s[4:5], s[4:5], exec
                                        ; implicit-def: $vgpr21
	s_or_saveexec_b64 s[6:7], s[6:7]
	v_mov_b32_e32 v20, s10
	s_xor_b64 exec, exec, s[6:7]
	s_cbranch_execz .LBB17_1042
.LBB17_3092:
	v_cmp_ne_u16_e32 vcc, 0, v21
	s_andn2_b64 s[4:5], s[4:5], exec
	s_and_b64 s[8:9], vcc, exec
	v_mov_b32_e32 v20, 0
	s_or_b64 s[4:5], s[4:5], s[8:9]
	s_or_b64 exec, exec, s[6:7]
	s_and_saveexec_b64 s[6:7], s[4:5]
	s_cbranch_execnz .LBB17_1043
	s_branch .LBB17_1044
.LBB17_3093:
	s_movk_i32 s4, 0x80
	v_cmp_eq_u16_e32 vcc, s4, v21
	s_mov_b64 s[4:5], -1
                                        ; implicit-def: $sgpr10
	s_and_saveexec_b64 s[8:9], vcc
; %bb.3094:
	s_mov_b32 s10, 0x7f800001
	s_xor_b64 s[4:5], exec, -1
; %bb.3095:
	s_or_b64 exec, exec, s[8:9]
	s_and_b64 s[4:5], s[4:5], exec
                                        ; implicit-def: $vgpr21
	s_or_saveexec_b64 s[6:7], s[6:7]
	v_mov_b32_e32 v22, s10
	s_xor_b64 exec, exec, s[6:7]
	s_cbranch_execz .LBB17_1046
.LBB17_3096:
	v_cmp_ne_u16_e32 vcc, 0, v21
	s_andn2_b64 s[4:5], s[4:5], exec
	s_and_b64 s[8:9], vcc, exec
	v_mov_b32_e32 v22, 0
	s_or_b64 s[4:5], s[4:5], s[8:9]
	s_or_b64 exec, exec, s[6:7]
	s_and_saveexec_b64 s[6:7], s[4:5]
	s_cbranch_execnz .LBB17_1047
	s_branch .LBB17_1048
.LBB17_3097:
	s_movk_i32 s4, 0x80
	v_cmp_eq_u16_sdwa s[12:13], v14, s4 src0_sel:BYTE_3 src1_sel:DWORD
	s_mov_b64 s[4:5], -1
                                        ; implicit-def: $sgpr10
	s_and_saveexec_b64 s[8:9], s[12:13]
; %bb.3098:
	s_mov_b32 s10, 0x7f800001
	s_xor_b64 s[4:5], exec, -1
; %bb.3099:
	s_or_b64 exec, exec, s[8:9]
	s_and_b64 s[4:5], s[4:5], exec
	s_or_saveexec_b64 s[6:7], s[6:7]
	v_mov_b32_e32 v20, s10
	s_xor_b64 exec, exec, s[6:7]
	s_cbranch_execz .LBB17_1050
.LBB17_3100:
	v_mov_b32_e32 v20, 0
	v_cmp_ne_u16_sdwa s[8:9], v14, v20 src0_sel:BYTE_3 src1_sel:DWORD
	s_andn2_b64 s[4:5], s[4:5], exec
	s_and_b64 s[8:9], s[8:9], exec
	s_or_b64 s[4:5], s[4:5], s[8:9]
	s_or_b64 exec, exec, s[6:7]
	s_and_saveexec_b64 s[6:7], s[4:5]
	s_cbranch_execnz .LBB17_1051
	s_branch .LBB17_1052
.LBB17_3101:
	s_movk_i32 s4, 0x80
	v_cmp_eq_u16_sdwa s[12:13], v10, s4 src0_sel:BYTE_3 src1_sel:DWORD
	s_mov_b64 s[4:5], -1
                                        ; implicit-def: $sgpr10
	s_and_saveexec_b64 s[8:9], s[12:13]
; %bb.3102:
	s_mov_b32 s10, 0x7f800001
	s_xor_b64 s[4:5], exec, -1
; %bb.3103:
	s_or_b64 exec, exec, s[8:9]
	s_and_b64 s[4:5], s[4:5], exec
	s_or_saveexec_b64 s[6:7], s[6:7]
	v_mov_b32_e32 v14, s10
	s_xor_b64 exec, exec, s[6:7]
	s_cbranch_execz .LBB17_1054
.LBB17_3104:
	v_mov_b32_e32 v14, 0
	v_cmp_ne_u16_sdwa s[8:9], v10, v14 src0_sel:BYTE_3 src1_sel:DWORD
	s_andn2_b64 s[4:5], s[4:5], exec
	s_and_b64 s[8:9], s[8:9], exec
	s_or_b64 s[4:5], s[4:5], s[8:9]
	s_or_b64 exec, exec, s[6:7]
	s_and_saveexec_b64 s[6:7], s[4:5]
	s_cbranch_execnz .LBB17_1055
	s_branch .LBB17_1056
.LBB17_3105:
	s_movk_i32 s4, 0x80
	v_cmp_eq_u16_sdwa s[12:13], v15, s4 src0_sel:BYTE_0 src1_sel:DWORD
	s_mov_b64 s[4:5], -1
                                        ; implicit-def: $sgpr10
	s_and_saveexec_b64 s[8:9], s[12:13]
; %bb.3106:
	s_mov_b32 s10, 0x7f800001
	s_xor_b64 s[4:5], exec, -1
; %bb.3107:
	s_or_b64 exec, exec, s[8:9]
	s_and_b64 s[4:5], s[4:5], exec
	s_or_saveexec_b64 s[6:7], s[6:7]
	v_mov_b32_e32 v10, s10
	s_xor_b64 exec, exec, s[6:7]
	s_cbranch_execz .LBB17_1058
.LBB17_3108:
	v_mov_b32_e32 v10, 0
	v_cmp_ne_u16_sdwa s[8:9], v15, v10 src0_sel:BYTE_0 src1_sel:DWORD
	s_andn2_b64 s[4:5], s[4:5], exec
	s_and_b64 s[8:9], s[8:9], exec
	s_or_b64 s[4:5], s[4:5], s[8:9]
	s_or_b64 exec, exec, s[6:7]
	s_and_saveexec_b64 s[6:7], s[4:5]
	s_cbranch_execnz .LBB17_1059
	s_branch .LBB17_1060
.LBB17_3109:
	s_movk_i32 s4, 0x80
	v_cmp_eq_u16_sdwa s[12:13], v11, s4 src0_sel:BYTE_0 src1_sel:DWORD
	s_mov_b64 s[4:5], -1
                                        ; implicit-def: $sgpr10
	s_and_saveexec_b64 s[8:9], s[12:13]
; %bb.3110:
	s_mov_b32 s10, 0x7f800001
	s_xor_b64 s[4:5], exec, -1
; %bb.3111:
	s_or_b64 exec, exec, s[8:9]
	s_and_b64 s[4:5], s[4:5], exec
	s_or_saveexec_b64 s[6:7], s[6:7]
	v_mov_b32_e32 v14, s10
	s_xor_b64 exec, exec, s[6:7]
	s_cbranch_execz .LBB17_1062
.LBB17_3112:
	v_mov_b32_e32 v14, 0
	v_cmp_ne_u16_sdwa s[8:9], v11, v14 src0_sel:BYTE_0 src1_sel:DWORD
	s_andn2_b64 s[4:5], s[4:5], exec
	s_and_b64 s[8:9], s[8:9], exec
	s_or_b64 s[4:5], s[4:5], s[8:9]
	s_or_b64 exec, exec, s[6:7]
	s_and_saveexec_b64 s[6:7], s[4:5]
	s_cbranch_execnz .LBB17_1063
	s_branch .LBB17_1064
.LBB17_3113:
	s_movk_i32 s4, 0x80
	v_cmp_eq_u16_sdwa s[12:13], v14, s4 src0_sel:BYTE_0 src1_sel:DWORD
	s_mov_b64 s[4:5], -1
                                        ; implicit-def: $sgpr10
	s_and_saveexec_b64 s[8:9], s[12:13]
; %bb.3114:
	s_mov_b32 s10, 0x7f800001
	s_xor_b64 s[4:5], exec, -1
; %bb.3115:
	s_or_b64 exec, exec, s[8:9]
	s_and_b64 s[4:5], s[4:5], exec
	s_or_saveexec_b64 s[6:7], s[6:7]
	v_mov_b32_e32 v10, s10
	s_xor_b64 exec, exec, s[6:7]
	s_cbranch_execz .LBB17_1066
.LBB17_3116:
	v_mov_b32_e32 v10, 0
	v_cmp_ne_u16_sdwa s[8:9], v14, v10 src0_sel:BYTE_0 src1_sel:DWORD
	s_andn2_b64 s[4:5], s[4:5], exec
	s_and_b64 s[8:9], s[8:9], exec
	s_or_b64 s[4:5], s[4:5], s[8:9]
	s_or_b64 exec, exec, s[6:7]
	s_and_saveexec_b64 s[6:7], s[4:5]
	s_cbranch_execnz .LBB17_1067
	s_branch .LBB17_1068
.LBB17_3117:
	s_movk_i32 s4, 0x80
	v_cmp_eq_u16_sdwa s[12:13], v14, s4 src0_sel:BYTE_0 src1_sel:DWORD
	s_mov_b64 s[4:5], -1
                                        ; implicit-def: $sgpr10
	s_and_saveexec_b64 s[8:9], s[12:13]
; %bb.3118:
	s_mov_b32 s10, 0x7f800001
	s_xor_b64 s[4:5], exec, -1
; %bb.3119:
	s_or_b64 exec, exec, s[8:9]
	s_and_b64 s[4:5], s[4:5], exec
	s_or_saveexec_b64 s[6:7], s[6:7]
	v_mov_b32_e32 v20, s10
	s_xor_b64 exec, exec, s[6:7]
	s_cbranch_execz .LBB17_1070
.LBB17_3120:
	v_mov_b32_e32 v20, 0
	v_cmp_ne_u16_sdwa s[8:9], v14, v20 src0_sel:BYTE_0 src1_sel:DWORD
	s_andn2_b64 s[4:5], s[4:5], exec
	s_and_b64 s[8:9], s[8:9], exec
	s_or_b64 s[4:5], s[4:5], s[8:9]
	s_or_b64 exec, exec, s[6:7]
	s_and_saveexec_b64 s[6:7], s[4:5]
	s_cbranch_execnz .LBB17_1071
	s_branch .LBB17_1072
.LBB17_3121:
	s_movk_i32 s4, 0x80
	v_cmp_eq_u16_e32 vcc, s4, v14
	s_mov_b64 s[4:5], -1
                                        ; implicit-def: $sgpr10
	s_and_saveexec_b64 s[8:9], vcc
; %bb.3122:
	s_mov_b32 s10, 0x7f800001
	s_xor_b64 s[4:5], exec, -1
; %bb.3123:
	s_or_b64 exec, exec, s[8:9]
	s_and_b64 s[4:5], s[4:5], exec
                                        ; implicit-def: $vgpr14
	s_or_saveexec_b64 s[6:7], s[6:7]
	v_mov_b32_e32 v10, s10
	s_xor_b64 exec, exec, s[6:7]
	s_cbranch_execz .LBB17_1074
.LBB17_3124:
	v_cmp_ne_u16_e32 vcc, 0, v14
	s_andn2_b64 s[4:5], s[4:5], exec
	s_and_b64 s[8:9], vcc, exec
	v_mov_b32_e32 v10, 0
	s_or_b64 s[4:5], s[4:5], s[8:9]
	s_or_b64 exec, exec, s[6:7]
	s_and_saveexec_b64 s[6:7], s[4:5]
	s_cbranch_execnz .LBB17_1075
	s_branch .LBB17_1076
.LBB17_3125:
	s_movk_i32 s4, 0x80
	v_cmp_eq_u16_e32 vcc, s4, v14
	s_mov_b64 s[4:5], -1
                                        ; implicit-def: $sgpr10
	s_and_saveexec_b64 s[8:9], vcc
; %bb.3126:
	s_mov_b32 s10, 0x7f800001
	s_xor_b64 s[4:5], exec, -1
; %bb.3127:
	s_or_b64 exec, exec, s[8:9]
	s_and_b64 s[4:5], s[4:5], exec
                                        ; implicit-def: $vgpr14
	s_or_saveexec_b64 s[6:7], s[6:7]
	v_mov_b32_e32 v20, s10
	s_xor_b64 exec, exec, s[6:7]
	s_cbranch_execz .LBB17_1078
.LBB17_3128:
	v_cmp_ne_u16_e32 vcc, 0, v14
	s_andn2_b64 s[4:5], s[4:5], exec
	s_and_b64 s[8:9], vcc, exec
	v_mov_b32_e32 v20, 0
	s_or_b64 s[4:5], s[4:5], s[8:9]
	s_or_b64 exec, exec, s[6:7]
	s_and_saveexec_b64 s[6:7], s[4:5]
	s_cbranch_execnz .LBB17_1079
	s_branch .LBB17_1080
.LBB17_3129:
	s_movk_i32 s4, 0x80
	v_cmp_eq_u16_sdwa s[12:13], v15, s4 src0_sel:BYTE_3 src1_sel:DWORD
	s_mov_b64 s[4:5], -1
                                        ; implicit-def: $sgpr10
	s_and_saveexec_b64 s[8:9], s[12:13]
; %bb.3130:
	s_mov_b32 s10, 0x7f800001
	s_xor_b64 s[4:5], exec, -1
; %bb.3131:
	s_or_b64 exec, exec, s[8:9]
	s_and_b64 s[4:5], s[4:5], exec
	s_or_saveexec_b64 s[6:7], s[6:7]
	v_mov_b32_e32 v10, s10
	s_xor_b64 exec, exec, s[6:7]
	s_cbranch_execz .LBB17_1082
.LBB17_3132:
	v_mov_b32_e32 v10, 0
	v_cmp_ne_u16_sdwa s[8:9], v15, v10 src0_sel:BYTE_3 src1_sel:DWORD
	s_andn2_b64 s[4:5], s[4:5], exec
	s_and_b64 s[8:9], s[8:9], exec
	s_or_b64 s[4:5], s[4:5], s[8:9]
	s_or_b64 exec, exec, s[6:7]
	s_and_saveexec_b64 s[6:7], s[4:5]
	s_cbranch_execnz .LBB17_1083
	s_branch .LBB17_1084
.LBB17_3133:
	s_movk_i32 s4, 0x80
	v_cmp_eq_u16_sdwa s[12:13], v11, s4 src0_sel:BYTE_3 src1_sel:DWORD
	s_mov_b64 s[4:5], -1
                                        ; implicit-def: $sgpr10
	s_and_saveexec_b64 s[8:9], s[12:13]
; %bb.3134:
	s_mov_b32 s10, 0x7f800001
	s_xor_b64 s[4:5], exec, -1
; %bb.3135:
	s_or_b64 exec, exec, s[8:9]
	s_and_b64 s[4:5], s[4:5], exec
	s_or_saveexec_b64 s[6:7], s[6:7]
	v_mov_b32_e32 v14, s10
	s_xor_b64 exec, exec, s[6:7]
	s_cbranch_execz .LBB17_1086
.LBB17_3136:
	v_mov_b32_e32 v14, 0
	v_cmp_ne_u16_sdwa s[8:9], v11, v14 src0_sel:BYTE_3 src1_sel:DWORD
	s_andn2_b64 s[4:5], s[4:5], exec
	s_and_b64 s[8:9], s[8:9], exec
	s_or_b64 s[4:5], s[4:5], s[8:9]
	s_or_b64 exec, exec, s[6:7]
	s_and_saveexec_b64 s[6:7], s[4:5]
	s_cbranch_execnz .LBB17_1087
	s_branch .LBB17_1088
.LBB17_3137:
	s_movk_i32 s4, 0x80
	v_cmp_eq_u16_sdwa s[12:13], v16, s4 src0_sel:BYTE_0 src1_sel:DWORD
	s_mov_b64 s[4:5], -1
                                        ; implicit-def: $sgpr10
	s_and_saveexec_b64 s[8:9], s[12:13]
; %bb.3138:
	s_mov_b32 s10, 0x7f800001
	s_xor_b64 s[4:5], exec, -1
; %bb.3139:
	s_or_b64 exec, exec, s[8:9]
	s_and_b64 s[4:5], s[4:5], exec
	s_or_saveexec_b64 s[6:7], s[6:7]
	v_mov_b32_e32 v10, s10
	s_xor_b64 exec, exec, s[6:7]
	s_cbranch_execz .LBB17_1090
.LBB17_3140:
	v_mov_b32_e32 v10, 0
	v_cmp_ne_u16_sdwa s[8:9], v16, v10 src0_sel:BYTE_0 src1_sel:DWORD
	s_andn2_b64 s[4:5], s[4:5], exec
	s_and_b64 s[8:9], s[8:9], exec
	s_or_b64 s[4:5], s[4:5], s[8:9]
	s_or_b64 exec, exec, s[6:7]
	s_and_saveexec_b64 s[6:7], s[4:5]
	s_cbranch_execnz .LBB17_1091
	s_branch .LBB17_1092
.LBB17_3141:
	s_movk_i32 s4, 0x80
	v_cmp_eq_u16_sdwa s[12:13], v12, s4 src0_sel:BYTE_0 src1_sel:DWORD
	s_mov_b64 s[4:5], -1
                                        ; implicit-def: $sgpr10
	s_and_saveexec_b64 s[8:9], s[12:13]
; %bb.3142:
	s_mov_b32 s10, 0x7f800001
	s_xor_b64 s[4:5], exec, -1
; %bb.3143:
	s_or_b64 exec, exec, s[8:9]
	s_and_b64 s[4:5], s[4:5], exec
	s_or_saveexec_b64 s[6:7], s[6:7]
	v_mov_b32_e32 v11, s10
	s_xor_b64 exec, exec, s[6:7]
	s_cbranch_execz .LBB17_1094
.LBB17_3144:
	v_mov_b32_e32 v11, 0
	v_cmp_ne_u16_sdwa s[8:9], v12, v11 src0_sel:BYTE_0 src1_sel:DWORD
	s_andn2_b64 s[4:5], s[4:5], exec
	s_and_b64 s[8:9], s[8:9], exec
	s_or_b64 s[4:5], s[4:5], s[8:9]
	s_or_b64 exec, exec, s[6:7]
	s_and_saveexec_b64 s[6:7], s[4:5]
	s_cbranch_execnz .LBB17_1095
	s_branch .LBB17_1096
.LBB17_3145:
	s_movk_i32 s4, 0x80
	v_cmp_eq_u16_sdwa s[12:13], v11, s4 src0_sel:BYTE_0 src1_sel:DWORD
	s_mov_b64 s[4:5], -1
                                        ; implicit-def: $sgpr10
	s_and_saveexec_b64 s[8:9], s[12:13]
; %bb.3146:
	s_mov_b32 s10, 0x7f800001
	s_xor_b64 s[4:5], exec, -1
; %bb.3147:
	s_or_b64 exec, exec, s[8:9]
	s_and_b64 s[4:5], s[4:5], exec
	s_or_saveexec_b64 s[6:7], s[6:7]
	v_mov_b32_e32 v10, s10
	s_xor_b64 exec, exec, s[6:7]
	s_cbranch_execz .LBB17_1098
.LBB17_3148:
	v_mov_b32_e32 v10, 0
	v_cmp_ne_u16_sdwa s[8:9], v11, v10 src0_sel:BYTE_0 src1_sel:DWORD
	s_andn2_b64 s[4:5], s[4:5], exec
	s_and_b64 s[8:9], s[8:9], exec
	s_or_b64 s[4:5], s[4:5], s[8:9]
	s_or_b64 exec, exec, s[6:7]
	s_and_saveexec_b64 s[6:7], s[4:5]
	s_cbranch_execnz .LBB17_1099
	s_branch .LBB17_1100
.LBB17_3149:
	s_movk_i32 s4, 0x80
	v_cmp_eq_u16_sdwa s[12:13], v11, s4 src0_sel:BYTE_0 src1_sel:DWORD
	s_mov_b64 s[4:5], -1
                                        ; implicit-def: $sgpr10
	s_and_saveexec_b64 s[8:9], s[12:13]
; %bb.3150:
	s_mov_b32 s10, 0x7f800001
	s_xor_b64 s[4:5], exec, -1
; %bb.3151:
	s_or_b64 exec, exec, s[8:9]
	s_and_b64 s[4:5], s[4:5], exec
	s_or_saveexec_b64 s[6:7], s[6:7]
	v_mov_b32_e32 v14, s10
	s_xor_b64 exec, exec, s[6:7]
	s_cbranch_execz .LBB17_1102
.LBB17_3152:
	v_mov_b32_e32 v14, 0
	v_cmp_ne_u16_sdwa s[8:9], v11, v14 src0_sel:BYTE_0 src1_sel:DWORD
	s_andn2_b64 s[4:5], s[4:5], exec
	s_and_b64 s[8:9], s[8:9], exec
	s_or_b64 s[4:5], s[4:5], s[8:9]
	s_or_b64 exec, exec, s[6:7]
	s_and_saveexec_b64 s[6:7], s[4:5]
	s_cbranch_execnz .LBB17_1103
	s_branch .LBB17_1104
.LBB17_3153:
	s_movk_i32 s4, 0x80
	v_cmp_eq_u16_e32 vcc, s4, v11
	s_mov_b64 s[4:5], -1
                                        ; implicit-def: $sgpr10
	s_and_saveexec_b64 s[8:9], vcc
; %bb.3154:
	s_mov_b32 s10, 0x7f800001
	s_xor_b64 s[4:5], exec, -1
; %bb.3155:
	s_or_b64 exec, exec, s[8:9]
	s_and_b64 s[4:5], s[4:5], exec
                                        ; implicit-def: $vgpr11
	s_or_saveexec_b64 s[6:7], s[6:7]
	v_mov_b32_e32 v10, s10
	s_xor_b64 exec, exec, s[6:7]
	s_cbranch_execz .LBB17_1106
.LBB17_3156:
	v_cmp_ne_u16_e32 vcc, 0, v11
	s_andn2_b64 s[4:5], s[4:5], exec
	s_and_b64 s[8:9], vcc, exec
	v_mov_b32_e32 v10, 0
	s_or_b64 s[4:5], s[4:5], s[8:9]
	s_or_b64 exec, exec, s[6:7]
	s_and_saveexec_b64 s[6:7], s[4:5]
	s_cbranch_execnz .LBB17_1107
	s_branch .LBB17_1108
.LBB17_3157:
	s_movk_i32 s4, 0x80
	v_cmp_eq_u16_e32 vcc, s4, v11
	s_mov_b64 s[4:5], -1
                                        ; implicit-def: $sgpr10
	s_and_saveexec_b64 s[8:9], vcc
; %bb.3158:
	s_mov_b32 s10, 0x7f800001
	s_xor_b64 s[4:5], exec, -1
; %bb.3159:
	s_or_b64 exec, exec, s[8:9]
	s_and_b64 s[4:5], s[4:5], exec
                                        ; implicit-def: $vgpr11
	s_or_saveexec_b64 s[6:7], s[6:7]
	v_mov_b32_e32 v14, s10
	s_xor_b64 exec, exec, s[6:7]
	s_cbranch_execz .LBB17_1110
.LBB17_3160:
	v_cmp_ne_u16_e32 vcc, 0, v11
	s_andn2_b64 s[4:5], s[4:5], exec
	s_and_b64 s[8:9], vcc, exec
	v_mov_b32_e32 v14, 0
	s_or_b64 s[4:5], s[4:5], s[8:9]
	s_or_b64 exec, exec, s[6:7]
	s_and_saveexec_b64 s[6:7], s[4:5]
	s_cbranch_execnz .LBB17_1111
	s_branch .LBB17_1112
.LBB17_3161:
	s_movk_i32 s4, 0x80
	v_cmp_eq_u16_sdwa s[12:13], v16, s4 src0_sel:BYTE_3 src1_sel:DWORD
	s_mov_b64 s[4:5], -1
                                        ; implicit-def: $sgpr10
	s_and_saveexec_b64 s[8:9], s[12:13]
; %bb.3162:
	s_mov_b32 s10, 0x7f800001
	s_xor_b64 s[4:5], exec, -1
; %bb.3163:
	s_or_b64 exec, exec, s[8:9]
	s_and_b64 s[4:5], s[4:5], exec
	s_or_saveexec_b64 s[6:7], s[6:7]
	v_mov_b32_e32 v10, s10
	s_xor_b64 exec, exec, s[6:7]
	s_cbranch_execz .LBB17_1114
.LBB17_3164:
	v_mov_b32_e32 v10, 0
	v_cmp_ne_u16_sdwa s[8:9], v16, v10 src0_sel:BYTE_3 src1_sel:DWORD
	s_andn2_b64 s[4:5], s[4:5], exec
	s_and_b64 s[8:9], s[8:9], exec
	s_or_b64 s[4:5], s[4:5], s[8:9]
	s_or_b64 exec, exec, s[6:7]
	s_and_saveexec_b64 s[6:7], s[4:5]
	s_cbranch_execnz .LBB17_1115
	s_branch .LBB17_1116
.LBB17_3165:
	s_movk_i32 s4, 0x80
	v_cmp_eq_u16_sdwa s[12:13], v12, s4 src0_sel:BYTE_3 src1_sel:DWORD
	s_mov_b64 s[4:5], -1
                                        ; implicit-def: $sgpr10
	s_and_saveexec_b64 s[8:9], s[12:13]
; %bb.3166:
	s_mov_b32 s10, 0x7f800001
	s_xor_b64 s[4:5], exec, -1
; %bb.3167:
	s_or_b64 exec, exec, s[8:9]
	s_and_b64 s[4:5], s[4:5], exec
	s_or_saveexec_b64 s[6:7], s[6:7]
	v_mov_b32_e32 v11, s10
	s_xor_b64 exec, exec, s[6:7]
	s_cbranch_execz .LBB17_1118
.LBB17_3168:
	v_mov_b32_e32 v11, 0
	v_cmp_ne_u16_sdwa s[8:9], v12, v11 src0_sel:BYTE_3 src1_sel:DWORD
	s_andn2_b64 s[4:5], s[4:5], exec
	s_and_b64 s[8:9], s[8:9], exec
	s_or_b64 s[4:5], s[4:5], s[8:9]
	s_or_b64 exec, exec, s[6:7]
	s_and_saveexec_b64 s[6:7], s[4:5]
	s_cbranch_execnz .LBB17_1119
	s_branch .LBB17_1120
.LBB17_3169:
	s_movk_i32 s4, 0x80
	v_cmp_eq_u16_sdwa s[12:13], v17, s4 src0_sel:BYTE_0 src1_sel:DWORD
	s_mov_b64 s[4:5], -1
                                        ; implicit-def: $sgpr10
	s_and_saveexec_b64 s[8:9], s[12:13]
; %bb.3170:
	s_mov_b32 s10, 0x7f800001
	s_xor_b64 s[4:5], exec, -1
; %bb.3171:
	s_or_b64 exec, exec, s[8:9]
	s_and_b64 s[4:5], s[4:5], exec
	s_or_saveexec_b64 s[6:7], s[6:7]
	v_mov_b32_e32 v10, s10
	s_xor_b64 exec, exec, s[6:7]
	s_cbranch_execz .LBB17_1122
.LBB17_3172:
	v_mov_b32_e32 v10, 0
	v_cmp_ne_u16_sdwa s[8:9], v17, v10 src0_sel:BYTE_0 src1_sel:DWORD
	s_andn2_b64 s[4:5], s[4:5], exec
	s_and_b64 s[8:9], s[8:9], exec
	s_or_b64 s[4:5], s[4:5], s[8:9]
	s_or_b64 exec, exec, s[6:7]
	s_and_saveexec_b64 s[6:7], s[4:5]
	s_cbranch_execnz .LBB17_1123
	s_branch .LBB17_1124
.LBB17_3173:
	s_movk_i32 s4, 0x80
	v_cmp_eq_u16_sdwa s[12:13], v13, s4 src0_sel:BYTE_0 src1_sel:DWORD
	s_mov_b64 s[4:5], -1
                                        ; implicit-def: $sgpr10
	s_and_saveexec_b64 s[8:9], s[12:13]
; %bb.3174:
	s_mov_b32 s10, 0x7f800001
	s_xor_b64 s[4:5], exec, -1
; %bb.3175:
	s_or_b64 exec, exec, s[8:9]
	s_and_b64 s[4:5], s[4:5], exec
	s_or_saveexec_b64 s[6:7], s[6:7]
	v_mov_b32_e32 v11, s10
	s_xor_b64 exec, exec, s[6:7]
	s_cbranch_execz .LBB17_1126
.LBB17_3176:
	v_mov_b32_e32 v11, 0
	v_cmp_ne_u16_sdwa s[8:9], v13, v11 src0_sel:BYTE_0 src1_sel:DWORD
	s_andn2_b64 s[4:5], s[4:5], exec
	s_and_b64 s[8:9], s[8:9], exec
	s_or_b64 s[4:5], s[4:5], s[8:9]
	s_or_b64 exec, exec, s[6:7]
	s_and_saveexec_b64 s[6:7], s[4:5]
	s_cbranch_execnz .LBB17_1127
	s_branch .LBB17_1128
.LBB17_3177:
	s_movk_i32 s4, 0x80
	v_cmp_eq_u16_sdwa s[12:13], v11, s4 src0_sel:BYTE_0 src1_sel:DWORD
	s_mov_b64 s[4:5], -1
                                        ; implicit-def: $sgpr10
	s_and_saveexec_b64 s[8:9], s[12:13]
; %bb.3178:
	s_mov_b32 s10, 0x7f800001
	s_xor_b64 s[4:5], exec, -1
; %bb.3179:
	s_or_b64 exec, exec, s[8:9]
	s_and_b64 s[4:5], s[4:5], exec
	s_or_saveexec_b64 s[6:7], s[6:7]
	v_mov_b32_e32 v10, s10
	s_xor_b64 exec, exec, s[6:7]
	s_cbranch_execz .LBB17_1130
.LBB17_3180:
	v_mov_b32_e32 v10, 0
	v_cmp_ne_u16_sdwa s[8:9], v11, v10 src0_sel:BYTE_0 src1_sel:DWORD
	s_andn2_b64 s[4:5], s[4:5], exec
	s_and_b64 s[8:9], s[8:9], exec
	s_or_b64 s[4:5], s[4:5], s[8:9]
	s_or_b64 exec, exec, s[6:7]
	s_and_saveexec_b64 s[6:7], s[4:5]
	s_cbranch_execnz .LBB17_1131
	s_branch .LBB17_1132
.LBB17_3181:
	s_movk_i32 s4, 0x80
	v_cmp_eq_u16_sdwa s[12:13], v11, s4 src0_sel:BYTE_0 src1_sel:DWORD
	s_mov_b64 s[4:5], -1
                                        ; implicit-def: $sgpr10
	s_and_saveexec_b64 s[8:9], s[12:13]
; %bb.3182:
	s_mov_b32 s10, 0x7f800001
	s_xor_b64 s[4:5], exec, -1
; %bb.3183:
	s_or_b64 exec, exec, s[8:9]
	s_and_b64 s[4:5], s[4:5], exec
	s_or_saveexec_b64 s[6:7], s[6:7]
	v_mov_b32_e32 v12, s10
	s_xor_b64 exec, exec, s[6:7]
	s_cbranch_execz .LBB17_1134
.LBB17_3184:
	v_mov_b32_e32 v12, 0
	v_cmp_ne_u16_sdwa s[8:9], v11, v12 src0_sel:BYTE_0 src1_sel:DWORD
	s_andn2_b64 s[4:5], s[4:5], exec
	s_and_b64 s[8:9], s[8:9], exec
	s_or_b64 s[4:5], s[4:5], s[8:9]
	s_or_b64 exec, exec, s[6:7]
	s_and_saveexec_b64 s[6:7], s[4:5]
	s_cbranch_execnz .LBB17_1135
	s_branch .LBB17_1136
.LBB17_3185:
	s_movk_i32 s4, 0x80
	v_cmp_eq_u16_e32 vcc, s4, v11
	s_mov_b64 s[4:5], -1
                                        ; implicit-def: $sgpr10
	s_and_saveexec_b64 s[8:9], vcc
; %bb.3186:
	s_mov_b32 s10, 0x7f800001
	s_xor_b64 s[4:5], exec, -1
; %bb.3187:
	s_or_b64 exec, exec, s[8:9]
	s_and_b64 s[4:5], s[4:5], exec
                                        ; implicit-def: $vgpr11
	s_or_saveexec_b64 s[6:7], s[6:7]
	v_mov_b32_e32 v10, s10
	s_xor_b64 exec, exec, s[6:7]
	s_cbranch_execz .LBB17_1138
.LBB17_3188:
	v_cmp_ne_u16_e32 vcc, 0, v11
	s_andn2_b64 s[4:5], s[4:5], exec
	s_and_b64 s[8:9], vcc, exec
	v_mov_b32_e32 v10, 0
	s_or_b64 s[4:5], s[4:5], s[8:9]
	s_or_b64 exec, exec, s[6:7]
	s_and_saveexec_b64 s[6:7], s[4:5]
	s_cbranch_execnz .LBB17_1139
	s_branch .LBB17_1140
.LBB17_3189:
	s_movk_i32 s4, 0x80
	v_cmp_eq_u16_e32 vcc, s4, v11
	s_mov_b64 s[4:5], -1
                                        ; implicit-def: $sgpr10
	s_and_saveexec_b64 s[8:9], vcc
; %bb.3190:
	s_mov_b32 s10, 0x7f800001
	s_xor_b64 s[4:5], exec, -1
; %bb.3191:
	s_or_b64 exec, exec, s[8:9]
	s_and_b64 s[4:5], s[4:5], exec
                                        ; implicit-def: $vgpr11
	s_or_saveexec_b64 s[6:7], s[6:7]
	v_mov_b32_e32 v12, s10
	s_xor_b64 exec, exec, s[6:7]
	s_cbranch_execz .LBB17_1142
.LBB17_3192:
	v_cmp_ne_u16_e32 vcc, 0, v11
	s_andn2_b64 s[4:5], s[4:5], exec
	s_and_b64 s[8:9], vcc, exec
	v_mov_b32_e32 v12, 0
	s_or_b64 s[4:5], s[4:5], s[8:9]
	s_or_b64 exec, exec, s[6:7]
	s_and_saveexec_b64 s[6:7], s[4:5]
	s_cbranch_execnz .LBB17_1143
	s_branch .LBB17_1144
.LBB17_3193:
	s_movk_i32 s4, 0x80
	v_cmp_eq_u16_sdwa s[12:13], v17, s4 src0_sel:BYTE_3 src1_sel:DWORD
	s_mov_b64 s[4:5], -1
                                        ; implicit-def: $sgpr10
	s_and_saveexec_b64 s[8:9], s[12:13]
; %bb.3194:
	s_mov_b32 s10, 0x7f800001
	s_xor_b64 s[4:5], exec, -1
; %bb.3195:
	s_or_b64 exec, exec, s[8:9]
	s_and_b64 s[4:5], s[4:5], exec
	s_or_saveexec_b64 s[6:7], s[6:7]
	v_mov_b32_e32 v10, s10
	s_xor_b64 exec, exec, s[6:7]
	s_cbranch_execz .LBB17_1146
.LBB17_3196:
	v_mov_b32_e32 v10, 0
	v_cmp_ne_u16_sdwa s[8:9], v17, v10 src0_sel:BYTE_3 src1_sel:DWORD
	s_andn2_b64 s[4:5], s[4:5], exec
	s_and_b64 s[8:9], s[8:9], exec
	s_or_b64 s[4:5], s[4:5], s[8:9]
	s_or_b64 exec, exec, s[6:7]
	s_and_saveexec_b64 s[6:7], s[4:5]
	s_cbranch_execnz .LBB17_1147
	s_branch .LBB17_1148
.LBB17_3197:
	s_movk_i32 s4, 0x80
	v_cmp_eq_u16_sdwa s[12:13], v13, s4 src0_sel:BYTE_3 src1_sel:DWORD
	s_mov_b64 s[4:5], -1
                                        ; implicit-def: $sgpr10
	s_and_saveexec_b64 s[8:9], s[12:13]
; %bb.3198:
	s_mov_b32 s10, 0x7f800001
	s_xor_b64 s[4:5], exec, -1
; %bb.3199:
	s_or_b64 exec, exec, s[8:9]
	s_and_b64 s[4:5], s[4:5], exec
	s_or_saveexec_b64 s[6:7], s[6:7]
	v_mov_b32_e32 v11, s10
	s_xor_b64 exec, exec, s[6:7]
	s_cbranch_execz .LBB17_1150
.LBB17_3200:
	v_mov_b32_e32 v11, 0
	v_cmp_ne_u16_sdwa s[8:9], v13, v11 src0_sel:BYTE_3 src1_sel:DWORD
	s_andn2_b64 s[4:5], s[4:5], exec
	s_and_b64 s[8:9], s[8:9], exec
	s_or_b64 s[4:5], s[4:5], s[8:9]
	s_or_b64 exec, exec, s[6:7]
	s_and_saveexec_b64 s[6:7], s[4:5]
	s_cbranch_execnz .LBB17_1151
	s_branch .LBB17_1152
.LBB17_3201:
	s_movk_i32 s4, 0x80
	v_cmp_eq_u16_sdwa s[12:13], v6, s4 src0_sel:BYTE_0 src1_sel:DWORD
	s_mov_b64 s[4:5], -1
                                        ; implicit-def: $sgpr10
	s_and_saveexec_b64 s[8:9], s[12:13]
; %bb.3202:
	s_mov_b32 s10, 0x7f800001
	s_xor_b64 s[4:5], exec, -1
; %bb.3203:
	s_or_b64 exec, exec, s[8:9]
	s_and_b64 s[4:5], s[4:5], exec
	s_or_saveexec_b64 s[6:7], s[6:7]
	v_mov_b32_e32 v10, s10
	s_xor_b64 exec, exec, s[6:7]
	s_cbranch_execz .LBB17_1154
.LBB17_3204:
	v_mov_b32_e32 v10, 0
	v_cmp_ne_u16_sdwa s[8:9], v6, v10 src0_sel:BYTE_0 src1_sel:DWORD
	s_andn2_b64 s[4:5], s[4:5], exec
	s_and_b64 s[8:9], s[8:9], exec
	s_or_b64 s[4:5], s[4:5], s[8:9]
	s_or_b64 exec, exec, s[6:7]
	s_and_saveexec_b64 s[6:7], s[4:5]
	s_cbranch_execnz .LBB17_1155
	s_branch .LBB17_1156
.LBB17_3205:
	s_movk_i32 s4, 0x80
	v_cmp_eq_u16_sdwa s[12:13], v2, s4 src0_sel:BYTE_0 src1_sel:DWORD
	s_mov_b64 s[4:5], -1
                                        ; implicit-def: $sgpr10
	s_and_saveexec_b64 s[8:9], s[12:13]
; %bb.3206:
	s_mov_b32 s10, 0x7f800001
	s_xor_b64 s[4:5], exec, -1
; %bb.3207:
	s_or_b64 exec, exec, s[8:9]
	s_and_b64 s[4:5], s[4:5], exec
	s_or_saveexec_b64 s[6:7], s[6:7]
	v_mov_b32_e32 v11, s10
	s_xor_b64 exec, exec, s[6:7]
	s_cbranch_execz .LBB17_1158
.LBB17_3208:
	v_mov_b32_e32 v11, 0
	v_cmp_ne_u16_sdwa s[8:9], v2, v11 src0_sel:BYTE_0 src1_sel:DWORD
	s_andn2_b64 s[4:5], s[4:5], exec
	s_and_b64 s[8:9], s[8:9], exec
	s_or_b64 s[4:5], s[4:5], s[8:9]
	s_or_b64 exec, exec, s[6:7]
	s_and_saveexec_b64 s[6:7], s[4:5]
	s_cbranch_execnz .LBB17_1159
	s_branch .LBB17_1160
.LBB17_3209:
	s_movk_i32 s4, 0x80
	v_cmp_eq_u16_sdwa s[12:13], v11, s4 src0_sel:BYTE_0 src1_sel:DWORD
	s_mov_b64 s[4:5], -1
                                        ; implicit-def: $sgpr10
	s_and_saveexec_b64 s[8:9], s[12:13]
; %bb.3210:
	s_mov_b32 s10, 0x7f800001
	s_xor_b64 s[4:5], exec, -1
; %bb.3211:
	s_or_b64 exec, exec, s[8:9]
	s_and_b64 s[4:5], s[4:5], exec
	s_or_saveexec_b64 s[6:7], s[6:7]
	v_mov_b32_e32 v10, s10
	s_xor_b64 exec, exec, s[6:7]
	s_cbranch_execz .LBB17_1162
.LBB17_3212:
	v_mov_b32_e32 v10, 0
	v_cmp_ne_u16_sdwa s[8:9], v11, v10 src0_sel:BYTE_0 src1_sel:DWORD
	s_andn2_b64 s[4:5], s[4:5], exec
	s_and_b64 s[8:9], s[8:9], exec
	s_or_b64 s[4:5], s[4:5], s[8:9]
	s_or_b64 exec, exec, s[6:7]
	s_and_saveexec_b64 s[6:7], s[4:5]
	s_cbranch_execnz .LBB17_1163
	s_branch .LBB17_1164
.LBB17_3213:
	s_movk_i32 s4, 0x80
	v_cmp_eq_u16_sdwa s[12:13], v11, s4 src0_sel:BYTE_0 src1_sel:DWORD
	s_mov_b64 s[4:5], -1
                                        ; implicit-def: $sgpr10
	s_and_saveexec_b64 s[8:9], s[12:13]
; %bb.3214:
	s_mov_b32 s10, 0x7f800001
	s_xor_b64 s[4:5], exec, -1
; %bb.3215:
	s_or_b64 exec, exec, s[8:9]
	s_and_b64 s[4:5], s[4:5], exec
	s_or_saveexec_b64 s[6:7], s[6:7]
	v_mov_b32_e32 v12, s10
	s_xor_b64 exec, exec, s[6:7]
	s_cbranch_execz .LBB17_1166
.LBB17_3216:
	v_mov_b32_e32 v12, 0
	v_cmp_ne_u16_sdwa s[8:9], v11, v12 src0_sel:BYTE_0 src1_sel:DWORD
	s_andn2_b64 s[4:5], s[4:5], exec
	s_and_b64 s[8:9], s[8:9], exec
	s_or_b64 s[4:5], s[4:5], s[8:9]
	s_or_b64 exec, exec, s[6:7]
	s_and_saveexec_b64 s[6:7], s[4:5]
	s_cbranch_execnz .LBB17_1167
	s_branch .LBB17_1168
.LBB17_3217:
	s_movk_i32 s4, 0x80
	v_cmp_eq_u16_e32 vcc, s4, v11
	s_mov_b64 s[4:5], -1
                                        ; implicit-def: $sgpr10
	s_and_saveexec_b64 s[8:9], vcc
; %bb.3218:
	s_mov_b32 s10, 0x7f800001
	s_xor_b64 s[4:5], exec, -1
; %bb.3219:
	s_or_b64 exec, exec, s[8:9]
	s_and_b64 s[4:5], s[4:5], exec
                                        ; implicit-def: $vgpr11
	s_or_saveexec_b64 s[6:7], s[6:7]
	v_mov_b32_e32 v10, s10
	s_xor_b64 exec, exec, s[6:7]
	s_cbranch_execz .LBB17_1170
.LBB17_3220:
	v_cmp_ne_u16_e32 vcc, 0, v11
	s_andn2_b64 s[4:5], s[4:5], exec
	s_and_b64 s[8:9], vcc, exec
	v_mov_b32_e32 v10, 0
	s_or_b64 s[4:5], s[4:5], s[8:9]
	s_or_b64 exec, exec, s[6:7]
	s_and_saveexec_b64 s[6:7], s[4:5]
	s_cbranch_execnz .LBB17_1171
	s_branch .LBB17_1172
.LBB17_3221:
	s_movk_i32 s4, 0x80
	v_cmp_eq_u16_e32 vcc, s4, v11
	s_mov_b64 s[4:5], -1
                                        ; implicit-def: $sgpr10
	s_and_saveexec_b64 s[8:9], vcc
; %bb.3222:
	s_mov_b32 s10, 0x7f800001
	s_xor_b64 s[4:5], exec, -1
; %bb.3223:
	s_or_b64 exec, exec, s[8:9]
	s_and_b64 s[4:5], s[4:5], exec
                                        ; implicit-def: $vgpr11
	s_or_saveexec_b64 s[6:7], s[6:7]
	v_mov_b32_e32 v12, s10
	s_xor_b64 exec, exec, s[6:7]
	s_cbranch_execz .LBB17_1174
.LBB17_3224:
	v_cmp_ne_u16_e32 vcc, 0, v11
	s_andn2_b64 s[4:5], s[4:5], exec
	s_and_b64 s[8:9], vcc, exec
	v_mov_b32_e32 v12, 0
	s_or_b64 s[4:5], s[4:5], s[8:9]
	s_or_b64 exec, exec, s[6:7]
	s_and_saveexec_b64 s[6:7], s[4:5]
	s_cbranch_execnz .LBB17_1175
	s_branch .LBB17_1176
.LBB17_3225:
	s_movk_i32 s4, 0x80
	v_cmp_eq_u16_sdwa s[12:13], v6, s4 src0_sel:BYTE_3 src1_sel:DWORD
	s_mov_b64 s[4:5], -1
                                        ; implicit-def: $sgpr10
	s_and_saveexec_b64 s[8:9], s[12:13]
; %bb.3226:
	s_mov_b32 s10, 0x7f800001
	s_xor_b64 s[4:5], exec, -1
; %bb.3227:
	s_or_b64 exec, exec, s[8:9]
	s_and_b64 s[4:5], s[4:5], exec
	s_or_saveexec_b64 s[6:7], s[6:7]
	v_mov_b32_e32 v10, s10
	s_xor_b64 exec, exec, s[6:7]
	s_cbranch_execz .LBB17_1178
.LBB17_3228:
	v_mov_b32_e32 v10, 0
	v_cmp_ne_u16_sdwa s[8:9], v6, v10 src0_sel:BYTE_3 src1_sel:DWORD
	s_andn2_b64 s[4:5], s[4:5], exec
	s_and_b64 s[8:9], s[8:9], exec
	s_or_b64 s[4:5], s[4:5], s[8:9]
	s_or_b64 exec, exec, s[6:7]
	s_and_saveexec_b64 s[6:7], s[4:5]
	s_cbranch_execnz .LBB17_1179
	s_branch .LBB17_1180
.LBB17_3229:
	s_movk_i32 s4, 0x80
	v_cmp_eq_u16_sdwa s[12:13], v2, s4 src0_sel:BYTE_3 src1_sel:DWORD
	s_mov_b64 s[4:5], -1
                                        ; implicit-def: $sgpr10
	s_and_saveexec_b64 s[8:9], s[12:13]
; %bb.3230:
	s_mov_b32 s10, 0x7f800001
	s_xor_b64 s[4:5], exec, -1
; %bb.3231:
	s_or_b64 exec, exec, s[8:9]
	s_and_b64 s[4:5], s[4:5], exec
	s_or_saveexec_b64 s[6:7], s[6:7]
	v_mov_b32_e32 v6, s10
	s_xor_b64 exec, exec, s[6:7]
	s_cbranch_execz .LBB17_1182
.LBB17_3232:
	v_mov_b32_e32 v6, 0
	v_cmp_ne_u16_sdwa s[8:9], v2, v6 src0_sel:BYTE_3 src1_sel:DWORD
	s_andn2_b64 s[4:5], s[4:5], exec
	s_and_b64 s[8:9], s[8:9], exec
	s_or_b64 s[4:5], s[4:5], s[8:9]
	s_or_b64 exec, exec, s[6:7]
	s_and_saveexec_b64 s[6:7], s[4:5]
	s_cbranch_execnz .LBB17_1183
	s_branch .LBB17_1184
.LBB17_3233:
	s_movk_i32 s4, 0x80
	v_cmp_eq_u16_sdwa s[12:13], v7, s4 src0_sel:BYTE_0 src1_sel:DWORD
	s_mov_b64 s[4:5], -1
                                        ; implicit-def: $sgpr10
	s_and_saveexec_b64 s[8:9], s[12:13]
; %bb.3234:
	s_mov_b32 s10, 0x7f800001
	s_xor_b64 s[4:5], exec, -1
; %bb.3235:
	s_or_b64 exec, exec, s[8:9]
	s_and_b64 s[4:5], s[4:5], exec
	s_or_saveexec_b64 s[6:7], s[6:7]
	v_mov_b32_e32 v2, s10
	s_xor_b64 exec, exec, s[6:7]
	s_cbranch_execz .LBB17_1186
.LBB17_3236:
	v_mov_b32_e32 v2, 0
	v_cmp_ne_u16_sdwa s[8:9], v7, v2 src0_sel:BYTE_0 src1_sel:DWORD
	s_andn2_b64 s[4:5], s[4:5], exec
	s_and_b64 s[8:9], s[8:9], exec
	s_or_b64 s[4:5], s[4:5], s[8:9]
	s_or_b64 exec, exec, s[6:7]
	s_and_saveexec_b64 s[6:7], s[4:5]
	s_cbranch_execnz .LBB17_1187
	s_branch .LBB17_1188
.LBB17_3237:
	s_movk_i32 s4, 0x80
	v_cmp_eq_u16_sdwa s[12:13], v3, s4 src0_sel:BYTE_0 src1_sel:DWORD
	s_mov_b64 s[4:5], -1
                                        ; implicit-def: $sgpr10
	s_and_saveexec_b64 s[8:9], s[12:13]
; %bb.3238:
	s_mov_b32 s10, 0x7f800001
	s_xor_b64 s[4:5], exec, -1
; %bb.3239:
	s_or_b64 exec, exec, s[8:9]
	s_and_b64 s[4:5], s[4:5], exec
	s_or_saveexec_b64 s[6:7], s[6:7]
	v_mov_b32_e32 v6, s10
	s_xor_b64 exec, exec, s[6:7]
	s_cbranch_execz .LBB17_1190
.LBB17_3240:
	v_mov_b32_e32 v6, 0
	v_cmp_ne_u16_sdwa s[8:9], v3, v6 src0_sel:BYTE_0 src1_sel:DWORD
	s_andn2_b64 s[4:5], s[4:5], exec
	s_and_b64 s[8:9], s[8:9], exec
	s_or_b64 s[4:5], s[4:5], s[8:9]
	s_or_b64 exec, exec, s[6:7]
	s_and_saveexec_b64 s[6:7], s[4:5]
	s_cbranch_execnz .LBB17_1191
	s_branch .LBB17_1192
.LBB17_3241:
	s_movk_i32 s4, 0x80
	v_cmp_eq_u16_sdwa s[12:13], v6, s4 src0_sel:BYTE_0 src1_sel:DWORD
	s_mov_b64 s[4:5], -1
                                        ; implicit-def: $sgpr10
	s_and_saveexec_b64 s[8:9], s[12:13]
; %bb.3242:
	s_mov_b32 s10, 0x7f800001
	s_xor_b64 s[4:5], exec, -1
; %bb.3243:
	s_or_b64 exec, exec, s[8:9]
	s_and_b64 s[4:5], s[4:5], exec
	s_or_saveexec_b64 s[6:7], s[6:7]
	v_mov_b32_e32 v2, s10
	s_xor_b64 exec, exec, s[6:7]
	s_cbranch_execz .LBB17_1194
.LBB17_3244:
	v_mov_b32_e32 v2, 0
	v_cmp_ne_u16_sdwa s[8:9], v6, v2 src0_sel:BYTE_0 src1_sel:DWORD
	s_andn2_b64 s[4:5], s[4:5], exec
	s_and_b64 s[8:9], s[8:9], exec
	s_or_b64 s[4:5], s[4:5], s[8:9]
	s_or_b64 exec, exec, s[6:7]
	s_and_saveexec_b64 s[6:7], s[4:5]
	s_cbranch_execnz .LBB17_1195
	s_branch .LBB17_1196
.LBB17_3245:
	s_movk_i32 s4, 0x80
	v_cmp_eq_u16_sdwa s[12:13], v6, s4 src0_sel:BYTE_0 src1_sel:DWORD
	s_mov_b64 s[4:5], -1
                                        ; implicit-def: $sgpr10
	s_and_saveexec_b64 s[8:9], s[12:13]
; %bb.3246:
	s_mov_b32 s10, 0x7f800001
	s_xor_b64 s[4:5], exec, -1
; %bb.3247:
	s_or_b64 exec, exec, s[8:9]
	s_and_b64 s[4:5], s[4:5], exec
	s_or_saveexec_b64 s[6:7], s[6:7]
	v_mov_b32_e32 v10, s10
	s_xor_b64 exec, exec, s[6:7]
	s_cbranch_execz .LBB17_1198
.LBB17_3248:
	v_mov_b32_e32 v10, 0
	v_cmp_ne_u16_sdwa s[8:9], v6, v10 src0_sel:BYTE_0 src1_sel:DWORD
	s_andn2_b64 s[4:5], s[4:5], exec
	s_and_b64 s[8:9], s[8:9], exec
	s_or_b64 s[4:5], s[4:5], s[8:9]
	s_or_b64 exec, exec, s[6:7]
	s_and_saveexec_b64 s[6:7], s[4:5]
	s_cbranch_execnz .LBB17_1199
	s_branch .LBB17_1200
.LBB17_3249:
	s_movk_i32 s4, 0x80
	v_cmp_eq_u16_e32 vcc, s4, v6
	s_mov_b64 s[4:5], -1
                                        ; implicit-def: $sgpr10
	s_and_saveexec_b64 s[8:9], vcc
; %bb.3250:
	s_mov_b32 s10, 0x7f800001
	s_xor_b64 s[4:5], exec, -1
; %bb.3251:
	s_or_b64 exec, exec, s[8:9]
	s_and_b64 s[4:5], s[4:5], exec
                                        ; implicit-def: $vgpr6
	s_or_saveexec_b64 s[6:7], s[6:7]
	v_mov_b32_e32 v2, s10
	s_xor_b64 exec, exec, s[6:7]
	s_cbranch_execz .LBB17_1202
.LBB17_3252:
	v_cmp_ne_u16_e32 vcc, 0, v6
	s_andn2_b64 s[4:5], s[4:5], exec
	s_and_b64 s[8:9], vcc, exec
	v_mov_b32_e32 v2, 0
	s_or_b64 s[4:5], s[4:5], s[8:9]
	s_or_b64 exec, exec, s[6:7]
	s_and_saveexec_b64 s[6:7], s[4:5]
	s_cbranch_execnz .LBB17_1203
	s_branch .LBB17_1204
.LBB17_3253:
	s_movk_i32 s4, 0x80
	v_cmp_eq_u16_e32 vcc, s4, v6
	s_mov_b64 s[4:5], -1
                                        ; implicit-def: $sgpr10
	s_and_saveexec_b64 s[8:9], vcc
; %bb.3254:
	s_mov_b32 s10, 0x7f800001
	s_xor_b64 s[4:5], exec, -1
; %bb.3255:
	s_or_b64 exec, exec, s[8:9]
	s_and_b64 s[4:5], s[4:5], exec
                                        ; implicit-def: $vgpr6
	s_or_saveexec_b64 s[6:7], s[6:7]
	v_mov_b32_e32 v10, s10
	s_xor_b64 exec, exec, s[6:7]
	s_cbranch_execz .LBB17_1206
.LBB17_3256:
	v_cmp_ne_u16_e32 vcc, 0, v6
	s_andn2_b64 s[4:5], s[4:5], exec
	s_and_b64 s[8:9], vcc, exec
	v_mov_b32_e32 v10, 0
	s_or_b64 s[4:5], s[4:5], s[8:9]
	s_or_b64 exec, exec, s[6:7]
	s_and_saveexec_b64 s[6:7], s[4:5]
	s_cbranch_execnz .LBB17_1207
	s_branch .LBB17_1208
.LBB17_3257:
	s_movk_i32 s4, 0x80
	v_cmp_eq_u16_sdwa s[12:13], v7, s4 src0_sel:BYTE_3 src1_sel:DWORD
	s_mov_b64 s[4:5], -1
                                        ; implicit-def: $sgpr10
	s_and_saveexec_b64 s[8:9], s[12:13]
; %bb.3258:
	s_mov_b32 s10, 0x7f800001
	s_xor_b64 s[4:5], exec, -1
; %bb.3259:
	s_or_b64 exec, exec, s[8:9]
	s_and_b64 s[4:5], s[4:5], exec
	s_or_saveexec_b64 s[6:7], s[6:7]
	v_mov_b32_e32 v2, s10
	s_xor_b64 exec, exec, s[6:7]
	s_cbranch_execz .LBB17_1210
.LBB17_3260:
	v_mov_b32_e32 v2, 0
	v_cmp_ne_u16_sdwa s[8:9], v7, v2 src0_sel:BYTE_3 src1_sel:DWORD
	s_andn2_b64 s[4:5], s[4:5], exec
	s_and_b64 s[8:9], s[8:9], exec
	s_or_b64 s[4:5], s[4:5], s[8:9]
	s_or_b64 exec, exec, s[6:7]
	s_and_saveexec_b64 s[6:7], s[4:5]
	s_cbranch_execnz .LBB17_1211
	s_branch .LBB17_1212
.LBB17_3261:
	s_movk_i32 s4, 0x80
	v_cmp_eq_u16_sdwa s[12:13], v3, s4 src0_sel:BYTE_3 src1_sel:DWORD
	s_mov_b64 s[4:5], -1
                                        ; implicit-def: $sgpr10
	s_and_saveexec_b64 s[8:9], s[12:13]
; %bb.3262:
	s_mov_b32 s10, 0x7f800001
	s_xor_b64 s[4:5], exec, -1
; %bb.3263:
	s_or_b64 exec, exec, s[8:9]
	s_and_b64 s[4:5], s[4:5], exec
	s_or_saveexec_b64 s[6:7], s[6:7]
	v_mov_b32_e32 v6, s10
	s_xor_b64 exec, exec, s[6:7]
	s_cbranch_execz .LBB17_1214
.LBB17_3264:
	v_mov_b32_e32 v6, 0
	v_cmp_ne_u16_sdwa s[8:9], v3, v6 src0_sel:BYTE_3 src1_sel:DWORD
	s_andn2_b64 s[4:5], s[4:5], exec
	s_and_b64 s[8:9], s[8:9], exec
	s_or_b64 s[4:5], s[4:5], s[8:9]
	s_or_b64 exec, exec, s[6:7]
	s_and_saveexec_b64 s[6:7], s[4:5]
	s_cbranch_execnz .LBB17_1215
	s_branch .LBB17_1216
.LBB17_3265:
	s_movk_i32 s4, 0x80
	v_cmp_eq_u16_sdwa s[12:13], v8, s4 src0_sel:BYTE_0 src1_sel:DWORD
	s_mov_b64 s[4:5], -1
                                        ; implicit-def: $sgpr10
	s_and_saveexec_b64 s[8:9], s[12:13]
; %bb.3266:
	s_mov_b32 s10, 0x7f800001
	s_xor_b64 s[4:5], exec, -1
; %bb.3267:
	s_or_b64 exec, exec, s[8:9]
	s_and_b64 s[4:5], s[4:5], exec
	s_or_saveexec_b64 s[6:7], s[6:7]
	v_mov_b32_e32 v2, s10
	s_xor_b64 exec, exec, s[6:7]
	s_cbranch_execz .LBB17_1218
.LBB17_3268:
	v_mov_b32_e32 v2, 0
	v_cmp_ne_u16_sdwa s[8:9], v8, v2 src0_sel:BYTE_0 src1_sel:DWORD
	s_andn2_b64 s[4:5], s[4:5], exec
	s_and_b64 s[8:9], s[8:9], exec
	s_or_b64 s[4:5], s[4:5], s[8:9]
	s_or_b64 exec, exec, s[6:7]
	s_and_saveexec_b64 s[6:7], s[4:5]
	s_cbranch_execnz .LBB17_1219
	s_branch .LBB17_1220
.LBB17_3269:
	s_movk_i32 s4, 0x80
	v_cmp_eq_u16_sdwa s[12:13], v4, s4 src0_sel:BYTE_0 src1_sel:DWORD
	s_mov_b64 s[4:5], -1
                                        ; implicit-def: $sgpr10
	s_and_saveexec_b64 s[8:9], s[12:13]
; %bb.3270:
	s_mov_b32 s10, 0x7f800001
	s_xor_b64 s[4:5], exec, -1
; %bb.3271:
	s_or_b64 exec, exec, s[8:9]
	s_and_b64 s[4:5], s[4:5], exec
	s_or_saveexec_b64 s[6:7], s[6:7]
	v_mov_b32_e32 v3, s10
	s_xor_b64 exec, exec, s[6:7]
	s_cbranch_execz .LBB17_1222
.LBB17_3272:
	v_mov_b32_e32 v3, 0
	v_cmp_ne_u16_sdwa s[8:9], v4, v3 src0_sel:BYTE_0 src1_sel:DWORD
	s_andn2_b64 s[4:5], s[4:5], exec
	s_and_b64 s[8:9], s[8:9], exec
	s_or_b64 s[4:5], s[4:5], s[8:9]
	s_or_b64 exec, exec, s[6:7]
	s_and_saveexec_b64 s[6:7], s[4:5]
	s_cbranch_execnz .LBB17_1223
	s_branch .LBB17_1224
.LBB17_3273:
	s_movk_i32 s4, 0x80
	v_cmp_eq_u16_sdwa s[12:13], v3, s4 src0_sel:BYTE_0 src1_sel:DWORD
	s_mov_b64 s[4:5], -1
                                        ; implicit-def: $sgpr10
	s_and_saveexec_b64 s[8:9], s[12:13]
; %bb.3274:
	s_mov_b32 s10, 0x7f800001
	s_xor_b64 s[4:5], exec, -1
; %bb.3275:
	s_or_b64 exec, exec, s[8:9]
	s_and_b64 s[4:5], s[4:5], exec
	s_or_saveexec_b64 s[6:7], s[6:7]
	v_mov_b32_e32 v2, s10
	s_xor_b64 exec, exec, s[6:7]
	s_cbranch_execz .LBB17_1226
.LBB17_3276:
	v_mov_b32_e32 v2, 0
	v_cmp_ne_u16_sdwa s[8:9], v3, v2 src0_sel:BYTE_0 src1_sel:DWORD
	s_andn2_b64 s[4:5], s[4:5], exec
	s_and_b64 s[8:9], s[8:9], exec
	s_or_b64 s[4:5], s[4:5], s[8:9]
	s_or_b64 exec, exec, s[6:7]
	s_and_saveexec_b64 s[6:7], s[4:5]
	s_cbranch_execnz .LBB17_1227
	s_branch .LBB17_1228
.LBB17_3277:
	s_movk_i32 s4, 0x80
	v_cmp_eq_u16_sdwa s[12:13], v3, s4 src0_sel:BYTE_0 src1_sel:DWORD
	s_mov_b64 s[4:5], -1
                                        ; implicit-def: $sgpr10
	s_and_saveexec_b64 s[8:9], s[12:13]
; %bb.3278:
	s_mov_b32 s10, 0x7f800001
	s_xor_b64 s[4:5], exec, -1
; %bb.3279:
	s_or_b64 exec, exec, s[8:9]
	s_and_b64 s[4:5], s[4:5], exec
	s_or_saveexec_b64 s[6:7], s[6:7]
	v_mov_b32_e32 v6, s10
	s_xor_b64 exec, exec, s[6:7]
	s_cbranch_execz .LBB17_1230
.LBB17_3280:
	v_mov_b32_e32 v6, 0
	v_cmp_ne_u16_sdwa s[8:9], v3, v6 src0_sel:BYTE_0 src1_sel:DWORD
	s_andn2_b64 s[4:5], s[4:5], exec
	s_and_b64 s[8:9], s[8:9], exec
	s_or_b64 s[4:5], s[4:5], s[8:9]
	s_or_b64 exec, exec, s[6:7]
	s_and_saveexec_b64 s[6:7], s[4:5]
	s_cbranch_execnz .LBB17_1231
	s_branch .LBB17_1232
.LBB17_3281:
	s_movk_i32 s4, 0x80
	v_cmp_eq_u16_e32 vcc, s4, v3
	s_mov_b64 s[4:5], -1
                                        ; implicit-def: $sgpr10
	s_and_saveexec_b64 s[8:9], vcc
; %bb.3282:
	s_mov_b32 s10, 0x7f800001
	s_xor_b64 s[4:5], exec, -1
; %bb.3283:
	s_or_b64 exec, exec, s[8:9]
	s_and_b64 s[4:5], s[4:5], exec
                                        ; implicit-def: $vgpr3
	s_or_saveexec_b64 s[6:7], s[6:7]
	v_mov_b32_e32 v2, s10
	s_xor_b64 exec, exec, s[6:7]
	s_cbranch_execz .LBB17_1234
.LBB17_3284:
	v_cmp_ne_u16_e32 vcc, 0, v3
	s_andn2_b64 s[4:5], s[4:5], exec
	s_and_b64 s[8:9], vcc, exec
	v_mov_b32_e32 v2, 0
	s_or_b64 s[4:5], s[4:5], s[8:9]
	s_or_b64 exec, exec, s[6:7]
	s_and_saveexec_b64 s[6:7], s[4:5]
	s_cbranch_execnz .LBB17_1235
	s_branch .LBB17_1236
.LBB17_3285:
	s_movk_i32 s4, 0x80
	v_cmp_eq_u16_e32 vcc, s4, v3
	s_mov_b64 s[4:5], -1
                                        ; implicit-def: $sgpr10
	s_and_saveexec_b64 s[8:9], vcc
; %bb.3286:
	s_mov_b32 s10, 0x7f800001
	s_xor_b64 s[4:5], exec, -1
; %bb.3287:
	s_or_b64 exec, exec, s[8:9]
	s_and_b64 s[4:5], s[4:5], exec
                                        ; implicit-def: $vgpr3
	s_or_saveexec_b64 s[6:7], s[6:7]
	v_mov_b32_e32 v6, s10
	s_xor_b64 exec, exec, s[6:7]
	s_cbranch_execz .LBB17_1238
.LBB17_3288:
	v_cmp_ne_u16_e32 vcc, 0, v3
	s_andn2_b64 s[4:5], s[4:5], exec
	s_and_b64 s[8:9], vcc, exec
	v_mov_b32_e32 v6, 0
	s_or_b64 s[4:5], s[4:5], s[8:9]
	s_or_b64 exec, exec, s[6:7]
	s_and_saveexec_b64 s[6:7], s[4:5]
	s_cbranch_execnz .LBB17_1239
	s_branch .LBB17_1240
.LBB17_3289:
	s_movk_i32 s4, 0x80
	v_cmp_eq_u16_sdwa s[12:13], v8, s4 src0_sel:BYTE_3 src1_sel:DWORD
	s_mov_b64 s[4:5], -1
                                        ; implicit-def: $sgpr10
	s_and_saveexec_b64 s[8:9], s[12:13]
; %bb.3290:
	s_mov_b32 s10, 0x7f800001
	s_xor_b64 s[4:5], exec, -1
; %bb.3291:
	s_or_b64 exec, exec, s[8:9]
	s_and_b64 s[4:5], s[4:5], exec
	s_or_saveexec_b64 s[6:7], s[6:7]
	v_mov_b32_e32 v2, s10
	s_xor_b64 exec, exec, s[6:7]
	s_cbranch_execz .LBB17_1242
.LBB17_3292:
	v_mov_b32_e32 v2, 0
	v_cmp_ne_u16_sdwa s[8:9], v8, v2 src0_sel:BYTE_3 src1_sel:DWORD
	s_andn2_b64 s[4:5], s[4:5], exec
	s_and_b64 s[8:9], s[8:9], exec
	s_or_b64 s[4:5], s[4:5], s[8:9]
	s_or_b64 exec, exec, s[6:7]
	s_and_saveexec_b64 s[6:7], s[4:5]
	s_cbranch_execnz .LBB17_1243
	s_branch .LBB17_1244
.LBB17_3293:
	s_movk_i32 s4, 0x80
	v_cmp_eq_u16_sdwa s[12:13], v4, s4 src0_sel:BYTE_3 src1_sel:DWORD
	s_mov_b64 s[4:5], -1
                                        ; implicit-def: $sgpr10
	s_and_saveexec_b64 s[8:9], s[12:13]
; %bb.3294:
	s_mov_b32 s10, 0x7f800001
	s_xor_b64 s[4:5], exec, -1
; %bb.3295:
	s_or_b64 exec, exec, s[8:9]
	s_and_b64 s[4:5], s[4:5], exec
	s_or_saveexec_b64 s[6:7], s[6:7]
	v_mov_b32_e32 v3, s10
	s_xor_b64 exec, exec, s[6:7]
	s_cbranch_execz .LBB17_1246
.LBB17_3296:
	v_mov_b32_e32 v3, 0
	v_cmp_ne_u16_sdwa s[8:9], v4, v3 src0_sel:BYTE_3 src1_sel:DWORD
	s_andn2_b64 s[4:5], s[4:5], exec
	s_and_b64 s[8:9], s[8:9], exec
	s_or_b64 s[4:5], s[4:5], s[8:9]
	s_or_b64 exec, exec, s[6:7]
	s_and_saveexec_b64 s[6:7], s[4:5]
	s_cbranch_execnz .LBB17_1247
	s_branch .LBB17_1248
.LBB17_3297:
	s_movk_i32 s4, 0x80
	v_cmp_eq_u16_sdwa s[12:13], v9, s4 src0_sel:BYTE_0 src1_sel:DWORD
	s_mov_b64 s[4:5], -1
                                        ; implicit-def: $sgpr10
	s_and_saveexec_b64 s[8:9], s[12:13]
; %bb.3298:
	s_mov_b32 s10, 0x7f800001
	s_xor_b64 s[4:5], exec, -1
; %bb.3299:
	s_or_b64 exec, exec, s[8:9]
	s_and_b64 s[4:5], s[4:5], exec
	s_or_saveexec_b64 s[6:7], s[6:7]
	v_mov_b32_e32 v2, s10
	s_xor_b64 exec, exec, s[6:7]
	s_cbranch_execz .LBB17_1250
.LBB17_3300:
	v_mov_b32_e32 v2, 0
	v_cmp_ne_u16_sdwa s[8:9], v9, v2 src0_sel:BYTE_0 src1_sel:DWORD
	s_andn2_b64 s[4:5], s[4:5], exec
	s_and_b64 s[8:9], s[8:9], exec
	s_or_b64 s[4:5], s[4:5], s[8:9]
	s_or_b64 exec, exec, s[6:7]
	s_and_saveexec_b64 s[6:7], s[4:5]
	s_cbranch_execnz .LBB17_1251
	s_branch .LBB17_1252
.LBB17_3301:
	s_movk_i32 s4, 0x80
	v_cmp_eq_u16_sdwa s[12:13], v5, s4 src0_sel:BYTE_0 src1_sel:DWORD
	s_mov_b64 s[4:5], -1
                                        ; implicit-def: $sgpr10
	s_and_saveexec_b64 s[8:9], s[12:13]
; %bb.3302:
	s_mov_b32 s10, 0x7f800001
	s_xor_b64 s[4:5], exec, -1
; %bb.3303:
	s_or_b64 exec, exec, s[8:9]
	s_and_b64 s[4:5], s[4:5], exec
	s_or_saveexec_b64 s[6:7], s[6:7]
	v_mov_b32_e32 v3, s10
	s_xor_b64 exec, exec, s[6:7]
	s_cbranch_execz .LBB17_1254
.LBB17_3304:
	v_mov_b32_e32 v3, 0
	v_cmp_ne_u16_sdwa s[8:9], v5, v3 src0_sel:BYTE_0 src1_sel:DWORD
	s_andn2_b64 s[4:5], s[4:5], exec
	s_and_b64 s[8:9], s[8:9], exec
	s_or_b64 s[4:5], s[4:5], s[8:9]
	s_or_b64 exec, exec, s[6:7]
	s_and_saveexec_b64 s[6:7], s[4:5]
	s_cbranch_execnz .LBB17_1255
	s_branch .LBB17_1256
.LBB17_3305:
	s_movk_i32 s4, 0x80
	v_cmp_eq_u16_sdwa s[12:13], v3, s4 src0_sel:BYTE_0 src1_sel:DWORD
	s_mov_b64 s[4:5], -1
                                        ; implicit-def: $sgpr10
	s_and_saveexec_b64 s[8:9], s[12:13]
; %bb.3306:
	s_mov_b32 s10, 0x7f800001
	s_xor_b64 s[4:5], exec, -1
; %bb.3307:
	s_or_b64 exec, exec, s[8:9]
	s_and_b64 s[4:5], s[4:5], exec
	s_or_saveexec_b64 s[6:7], s[6:7]
	v_mov_b32_e32 v2, s10
	s_xor_b64 exec, exec, s[6:7]
	s_cbranch_execz .LBB17_1258
.LBB17_3308:
	v_mov_b32_e32 v2, 0
	v_cmp_ne_u16_sdwa s[8:9], v3, v2 src0_sel:BYTE_0 src1_sel:DWORD
	s_andn2_b64 s[4:5], s[4:5], exec
	s_and_b64 s[8:9], s[8:9], exec
	s_or_b64 s[4:5], s[4:5], s[8:9]
	s_or_b64 exec, exec, s[6:7]
	s_and_saveexec_b64 s[6:7], s[4:5]
	s_cbranch_execnz .LBB17_1259
	s_branch .LBB17_1260
.LBB17_3309:
	s_movk_i32 s4, 0x80
	v_cmp_eq_u16_sdwa s[12:13], v3, s4 src0_sel:BYTE_0 src1_sel:DWORD
	s_mov_b64 s[4:5], -1
                                        ; implicit-def: $sgpr10
	s_and_saveexec_b64 s[8:9], s[12:13]
; %bb.3310:
	s_mov_b32 s10, 0x7f800001
	s_xor_b64 s[4:5], exec, -1
; %bb.3311:
	s_or_b64 exec, exec, s[8:9]
	s_and_b64 s[4:5], s[4:5], exec
	s_or_saveexec_b64 s[6:7], s[6:7]
	v_mov_b32_e32 v4, s10
	s_xor_b64 exec, exec, s[6:7]
	s_cbranch_execz .LBB17_1262
.LBB17_3312:
	v_mov_b32_e32 v4, 0
	v_cmp_ne_u16_sdwa s[8:9], v3, v4 src0_sel:BYTE_0 src1_sel:DWORD
	s_andn2_b64 s[4:5], s[4:5], exec
	s_and_b64 s[8:9], s[8:9], exec
	s_or_b64 s[4:5], s[4:5], s[8:9]
	s_or_b64 exec, exec, s[6:7]
	s_and_saveexec_b64 s[6:7], s[4:5]
	s_cbranch_execnz .LBB17_1263
	s_branch .LBB17_1264
.LBB17_3313:
	s_movk_i32 s4, 0x80
	v_cmp_eq_u16_e32 vcc, s4, v3
	s_mov_b64 s[4:5], -1
                                        ; implicit-def: $sgpr10
	s_and_saveexec_b64 s[8:9], vcc
; %bb.3314:
	s_mov_b32 s10, 0x7f800001
	s_xor_b64 s[4:5], exec, -1
; %bb.3315:
	s_or_b64 exec, exec, s[8:9]
	s_and_b64 s[4:5], s[4:5], exec
                                        ; implicit-def: $vgpr3
	s_or_saveexec_b64 s[6:7], s[6:7]
	v_mov_b32_e32 v2, s10
	s_xor_b64 exec, exec, s[6:7]
	s_cbranch_execz .LBB17_1266
.LBB17_3316:
	v_cmp_ne_u16_e32 vcc, 0, v3
	s_andn2_b64 s[4:5], s[4:5], exec
	s_and_b64 s[8:9], vcc, exec
	v_mov_b32_e32 v2, 0
	s_or_b64 s[4:5], s[4:5], s[8:9]
	s_or_b64 exec, exec, s[6:7]
	s_and_saveexec_b64 s[6:7], s[4:5]
	s_cbranch_execnz .LBB17_1267
	s_branch .LBB17_1268
.LBB17_3317:
	s_movk_i32 s4, 0x80
	v_cmp_eq_u16_e32 vcc, s4, v3
	s_mov_b64 s[4:5], -1
                                        ; implicit-def: $sgpr10
	s_and_saveexec_b64 s[8:9], vcc
; %bb.3318:
	s_mov_b32 s10, 0x7f800001
	s_xor_b64 s[4:5], exec, -1
; %bb.3319:
	s_or_b64 exec, exec, s[8:9]
	s_and_b64 s[4:5], s[4:5], exec
                                        ; implicit-def: $vgpr3
	s_or_saveexec_b64 s[6:7], s[6:7]
	v_mov_b32_e32 v4, s10
	s_xor_b64 exec, exec, s[6:7]
	s_cbranch_execz .LBB17_1270
.LBB17_3320:
	v_cmp_ne_u16_e32 vcc, 0, v3
	s_andn2_b64 s[4:5], s[4:5], exec
	s_and_b64 s[8:9], vcc, exec
	v_mov_b32_e32 v4, 0
	s_or_b64 s[4:5], s[4:5], s[8:9]
	s_or_b64 exec, exec, s[6:7]
	s_and_saveexec_b64 s[6:7], s[4:5]
	s_cbranch_execnz .LBB17_1271
	s_branch .LBB17_1272
.LBB17_3321:
	s_movk_i32 s4, 0x80
	v_cmp_eq_u16_sdwa s[12:13], v9, s4 src0_sel:BYTE_3 src1_sel:DWORD
	s_mov_b64 s[4:5], -1
                                        ; implicit-def: $sgpr10
	s_and_saveexec_b64 s[8:9], s[12:13]
; %bb.3322:
	s_mov_b32 s10, 0x7f800001
	s_xor_b64 s[4:5], exec, -1
; %bb.3323:
	s_or_b64 exec, exec, s[8:9]
	s_and_b64 s[4:5], s[4:5], exec
	s_or_saveexec_b64 s[6:7], s[6:7]
	v_mov_b32_e32 v2, s10
	s_xor_b64 exec, exec, s[6:7]
	s_cbranch_execz .LBB17_1274
.LBB17_3324:
	v_mov_b32_e32 v2, 0
	v_cmp_ne_u16_sdwa s[8:9], v9, v2 src0_sel:BYTE_3 src1_sel:DWORD
	s_andn2_b64 s[4:5], s[4:5], exec
	s_and_b64 s[8:9], s[8:9], exec
	s_or_b64 s[4:5], s[4:5], s[8:9]
	s_or_b64 exec, exec, s[6:7]
	s_and_saveexec_b64 s[6:7], s[4:5]
	s_cbranch_execnz .LBB17_1275
	s_branch .LBB17_1276
.LBB17_3325:
	s_movk_i32 s4, 0x80
	v_cmp_eq_u16_sdwa s[12:13], v5, s4 src0_sel:BYTE_3 src1_sel:DWORD
	s_mov_b64 s[4:5], -1
                                        ; implicit-def: $sgpr10
	s_and_saveexec_b64 s[8:9], s[12:13]
; %bb.3326:
	s_mov_b32 s10, 0x7f800001
	s_xor_b64 s[4:5], exec, -1
; %bb.3327:
	s_or_b64 exec, exec, s[8:9]
	s_and_b64 s[4:5], s[4:5], exec
	s_or_saveexec_b64 s[6:7], s[6:7]
	v_mov_b32_e32 v3, s10
	s_xor_b64 exec, exec, s[6:7]
	s_cbranch_execz .LBB17_1278
.LBB17_3328:
	v_mov_b32_e32 v3, 0
	v_cmp_ne_u16_sdwa s[8:9], v5, v3 src0_sel:BYTE_3 src1_sel:DWORD
	s_andn2_b64 s[4:5], s[4:5], exec
	s_and_b64 s[8:9], s[8:9], exec
	s_or_b64 s[4:5], s[4:5], s[8:9]
	s_or_b64 exec, exec, s[6:7]
	s_and_saveexec_b64 s[6:7], s[4:5]
	s_cbranch_execnz .LBB17_1279
	s_branch .LBB17_1280
.LBB17_3329:
	s_movk_i32 s4, 0x80
	v_cmp_eq_u16_sdwa s[12:13], v14, s4 src0_sel:BYTE_0 src1_sel:DWORD
	s_mov_b64 s[4:5], -1
                                        ; implicit-def: $sgpr10
	s_and_saveexec_b64 s[8:9], s[12:13]
; %bb.3330:
	s_mov_b32 s10, 0x7f800001
	s_xor_b64 s[4:5], exec, -1
; %bb.3331:
	s_or_b64 exec, exec, s[8:9]
	s_and_b64 s[4:5], s[4:5], exec
	s_or_saveexec_b64 s[6:7], s[6:7]
	v_mov_b32_e32 v20, s10
	s_xor_b64 exec, exec, s[6:7]
	s_cbranch_execz .LBB17_1282
.LBB17_3332:
	v_mov_b32_e32 v20, 0
	v_cmp_ne_u16_sdwa s[8:9], v14, v20 src0_sel:BYTE_0 src1_sel:DWORD
	s_andn2_b64 s[4:5], s[4:5], exec
	s_and_b64 s[8:9], s[8:9], exec
	s_or_b64 s[4:5], s[4:5], s[8:9]
	s_or_b64 exec, exec, s[6:7]
	s_and_saveexec_b64 s[6:7], s[4:5]
	s_cbranch_execnz .LBB17_1283
	s_branch .LBB17_1284
.LBB17_3333:
	s_movk_i32 s4, 0x80
	v_cmp_eq_u16_sdwa s[12:13], v10, s4 src0_sel:BYTE_0 src1_sel:DWORD
	s_mov_b64 s[4:5], -1
                                        ; implicit-def: $sgpr10
	s_and_saveexec_b64 s[8:9], s[12:13]
; %bb.3334:
	s_mov_b32 s10, 0x7f800001
	s_xor_b64 s[4:5], exec, -1
; %bb.3335:
	s_or_b64 exec, exec, s[8:9]
	s_and_b64 s[4:5], s[4:5], exec
	s_or_saveexec_b64 s[6:7], s[6:7]
	v_mov_b32_e32 v21, s10
	s_xor_b64 exec, exec, s[6:7]
	s_cbranch_execz .LBB17_1286
.LBB17_3336:
	v_mov_b32_e32 v21, 0
	v_cmp_ne_u16_sdwa s[8:9], v10, v21 src0_sel:BYTE_0 src1_sel:DWORD
	s_andn2_b64 s[4:5], s[4:5], exec
	s_and_b64 s[8:9], s[8:9], exec
	s_or_b64 s[4:5], s[4:5], s[8:9]
	s_or_b64 exec, exec, s[6:7]
	s_and_saveexec_b64 s[6:7], s[4:5]
	s_cbranch_execnz .LBB17_1287
	s_branch .LBB17_1288
.LBB17_3337:
	s_movk_i32 s4, 0x80
	v_cmp_eq_u16_sdwa s[12:13], v21, s4 src0_sel:BYTE_0 src1_sel:DWORD
	s_mov_b64 s[4:5], -1
                                        ; implicit-def: $sgpr10
	s_and_saveexec_b64 s[8:9], s[12:13]
; %bb.3338:
	s_mov_b32 s10, 0x7f800001
	s_xor_b64 s[4:5], exec, -1
; %bb.3339:
	s_or_b64 exec, exec, s[8:9]
	s_and_b64 s[4:5], s[4:5], exec
	s_or_saveexec_b64 s[6:7], s[6:7]
	v_mov_b32_e32 v20, s10
	s_xor_b64 exec, exec, s[6:7]
	s_cbranch_execz .LBB17_1290
.LBB17_3340:
	v_mov_b32_e32 v20, 0
	v_cmp_ne_u16_sdwa s[8:9], v21, v20 src0_sel:BYTE_0 src1_sel:DWORD
	s_andn2_b64 s[4:5], s[4:5], exec
	s_and_b64 s[8:9], s[8:9], exec
	s_or_b64 s[4:5], s[4:5], s[8:9]
	s_or_b64 exec, exec, s[6:7]
	s_and_saveexec_b64 s[6:7], s[4:5]
	s_cbranch_execnz .LBB17_1291
	s_branch .LBB17_1292
.LBB17_3341:
	s_movk_i32 s4, 0x80
	v_cmp_eq_u16_sdwa s[12:13], v21, s4 src0_sel:BYTE_0 src1_sel:DWORD
	s_mov_b64 s[4:5], -1
                                        ; implicit-def: $sgpr10
	s_and_saveexec_b64 s[8:9], s[12:13]
; %bb.3342:
	s_mov_b32 s10, 0x7f800001
	s_xor_b64 s[4:5], exec, -1
; %bb.3343:
	s_or_b64 exec, exec, s[8:9]
	s_and_b64 s[4:5], s[4:5], exec
	s_or_saveexec_b64 s[6:7], s[6:7]
	v_mov_b32_e32 v22, s10
	s_xor_b64 exec, exec, s[6:7]
	s_cbranch_execz .LBB17_1294
.LBB17_3344:
	v_mov_b32_e32 v22, 0
	v_cmp_ne_u16_sdwa s[8:9], v21, v22 src0_sel:BYTE_0 src1_sel:DWORD
	s_andn2_b64 s[4:5], s[4:5], exec
	s_and_b64 s[8:9], s[8:9], exec
	s_or_b64 s[4:5], s[4:5], s[8:9]
	s_or_b64 exec, exec, s[6:7]
	s_and_saveexec_b64 s[6:7], s[4:5]
	s_cbranch_execnz .LBB17_1295
	s_branch .LBB17_1296
.LBB17_3345:
	s_movk_i32 s4, 0x80
	v_cmp_eq_u16_e32 vcc, s4, v21
	s_mov_b64 s[4:5], -1
                                        ; implicit-def: $sgpr10
	s_and_saveexec_b64 s[8:9], vcc
; %bb.3346:
	s_mov_b32 s10, 0x7f800001
	s_xor_b64 s[4:5], exec, -1
; %bb.3347:
	s_or_b64 exec, exec, s[8:9]
	s_and_b64 s[4:5], s[4:5], exec
                                        ; implicit-def: $vgpr21
	s_or_saveexec_b64 s[6:7], s[6:7]
	v_mov_b32_e32 v20, s10
	s_xor_b64 exec, exec, s[6:7]
	s_cbranch_execz .LBB17_1298
.LBB17_3348:
	v_cmp_ne_u16_e32 vcc, 0, v21
	s_andn2_b64 s[4:5], s[4:5], exec
	s_and_b64 s[8:9], vcc, exec
	v_mov_b32_e32 v20, 0
	s_or_b64 s[4:5], s[4:5], s[8:9]
	s_or_b64 exec, exec, s[6:7]
	s_and_saveexec_b64 s[6:7], s[4:5]
	s_cbranch_execnz .LBB17_1299
	s_branch .LBB17_1300
.LBB17_3349:
	s_movk_i32 s4, 0x80
	v_cmp_eq_u16_e32 vcc, s4, v21
	s_mov_b64 s[4:5], -1
                                        ; implicit-def: $sgpr10
	s_and_saveexec_b64 s[8:9], vcc
; %bb.3350:
	s_mov_b32 s10, 0x7f800001
	s_xor_b64 s[4:5], exec, -1
; %bb.3351:
	s_or_b64 exec, exec, s[8:9]
	s_and_b64 s[4:5], s[4:5], exec
                                        ; implicit-def: $vgpr21
	s_or_saveexec_b64 s[6:7], s[6:7]
	v_mov_b32_e32 v22, s10
	s_xor_b64 exec, exec, s[6:7]
	s_cbranch_execz .LBB17_1302
.LBB17_3352:
	v_cmp_ne_u16_e32 vcc, 0, v21
	s_andn2_b64 s[4:5], s[4:5], exec
	s_and_b64 s[8:9], vcc, exec
	v_mov_b32_e32 v22, 0
	s_or_b64 s[4:5], s[4:5], s[8:9]
	s_or_b64 exec, exec, s[6:7]
	s_and_saveexec_b64 s[6:7], s[4:5]
	s_cbranch_execnz .LBB17_1303
	s_branch .LBB17_1304
.LBB17_3353:
	s_movk_i32 s4, 0x80
	v_cmp_eq_u16_sdwa s[12:13], v14, s4 src0_sel:BYTE_3 src1_sel:DWORD
	s_mov_b64 s[4:5], -1
                                        ; implicit-def: $sgpr10
	s_and_saveexec_b64 s[8:9], s[12:13]
; %bb.3354:
	s_mov_b32 s10, 0x7f800001
	s_xor_b64 s[4:5], exec, -1
; %bb.3355:
	s_or_b64 exec, exec, s[8:9]
	s_and_b64 s[4:5], s[4:5], exec
	s_or_saveexec_b64 s[6:7], s[6:7]
	v_mov_b32_e32 v20, s10
	s_xor_b64 exec, exec, s[6:7]
	s_cbranch_execz .LBB17_1306
.LBB17_3356:
	v_mov_b32_e32 v20, 0
	v_cmp_ne_u16_sdwa s[8:9], v14, v20 src0_sel:BYTE_3 src1_sel:DWORD
	s_andn2_b64 s[4:5], s[4:5], exec
	s_and_b64 s[8:9], s[8:9], exec
	s_or_b64 s[4:5], s[4:5], s[8:9]
	s_or_b64 exec, exec, s[6:7]
	s_and_saveexec_b64 s[6:7], s[4:5]
	s_cbranch_execnz .LBB17_1307
	s_branch .LBB17_1308
.LBB17_3357:
	s_movk_i32 s4, 0x80
	v_cmp_eq_u16_sdwa s[12:13], v10, s4 src0_sel:BYTE_3 src1_sel:DWORD
	s_mov_b64 s[4:5], -1
                                        ; implicit-def: $sgpr10
	s_and_saveexec_b64 s[8:9], s[12:13]
; %bb.3358:
	s_mov_b32 s10, 0x7f800001
	s_xor_b64 s[4:5], exec, -1
; %bb.3359:
	s_or_b64 exec, exec, s[8:9]
	s_and_b64 s[4:5], s[4:5], exec
	s_or_saveexec_b64 s[6:7], s[6:7]
	v_mov_b32_e32 v14, s10
	s_xor_b64 exec, exec, s[6:7]
	s_cbranch_execz .LBB17_1310
.LBB17_3360:
	v_mov_b32_e32 v14, 0
	v_cmp_ne_u16_sdwa s[8:9], v10, v14 src0_sel:BYTE_3 src1_sel:DWORD
	s_andn2_b64 s[4:5], s[4:5], exec
	s_and_b64 s[8:9], s[8:9], exec
	s_or_b64 s[4:5], s[4:5], s[8:9]
	s_or_b64 exec, exec, s[6:7]
	s_and_saveexec_b64 s[6:7], s[4:5]
	s_cbranch_execnz .LBB17_1311
	s_branch .LBB17_1312
.LBB17_3361:
	s_movk_i32 s4, 0x80
	v_cmp_eq_u16_sdwa s[12:13], v15, s4 src0_sel:BYTE_0 src1_sel:DWORD
	s_mov_b64 s[4:5], -1
                                        ; implicit-def: $sgpr10
	s_and_saveexec_b64 s[8:9], s[12:13]
; %bb.3362:
	s_mov_b32 s10, 0x7f800001
	s_xor_b64 s[4:5], exec, -1
; %bb.3363:
	s_or_b64 exec, exec, s[8:9]
	s_and_b64 s[4:5], s[4:5], exec
	s_or_saveexec_b64 s[6:7], s[6:7]
	v_mov_b32_e32 v10, s10
	s_xor_b64 exec, exec, s[6:7]
	s_cbranch_execz .LBB17_1314
.LBB17_3364:
	v_mov_b32_e32 v10, 0
	v_cmp_ne_u16_sdwa s[8:9], v15, v10 src0_sel:BYTE_0 src1_sel:DWORD
	s_andn2_b64 s[4:5], s[4:5], exec
	s_and_b64 s[8:9], s[8:9], exec
	s_or_b64 s[4:5], s[4:5], s[8:9]
	s_or_b64 exec, exec, s[6:7]
	s_and_saveexec_b64 s[6:7], s[4:5]
	s_cbranch_execnz .LBB17_1315
	s_branch .LBB17_1316
.LBB17_3365:
	s_movk_i32 s4, 0x80
	v_cmp_eq_u16_sdwa s[12:13], v11, s4 src0_sel:BYTE_0 src1_sel:DWORD
	s_mov_b64 s[4:5], -1
                                        ; implicit-def: $sgpr10
	s_and_saveexec_b64 s[8:9], s[12:13]
; %bb.3366:
	s_mov_b32 s10, 0x7f800001
	s_xor_b64 s[4:5], exec, -1
; %bb.3367:
	s_or_b64 exec, exec, s[8:9]
	s_and_b64 s[4:5], s[4:5], exec
	s_or_saveexec_b64 s[6:7], s[6:7]
	v_mov_b32_e32 v14, s10
	s_xor_b64 exec, exec, s[6:7]
	s_cbranch_execz .LBB17_1318
.LBB17_3368:
	v_mov_b32_e32 v14, 0
	v_cmp_ne_u16_sdwa s[8:9], v11, v14 src0_sel:BYTE_0 src1_sel:DWORD
	s_andn2_b64 s[4:5], s[4:5], exec
	s_and_b64 s[8:9], s[8:9], exec
	s_or_b64 s[4:5], s[4:5], s[8:9]
	s_or_b64 exec, exec, s[6:7]
	s_and_saveexec_b64 s[6:7], s[4:5]
	s_cbranch_execnz .LBB17_1319
	s_branch .LBB17_1320
.LBB17_3369:
	s_movk_i32 s4, 0x80
	v_cmp_eq_u16_sdwa s[12:13], v14, s4 src0_sel:BYTE_0 src1_sel:DWORD
	s_mov_b64 s[4:5], -1
                                        ; implicit-def: $sgpr10
	s_and_saveexec_b64 s[8:9], s[12:13]
; %bb.3370:
	s_mov_b32 s10, 0x7f800001
	s_xor_b64 s[4:5], exec, -1
; %bb.3371:
	s_or_b64 exec, exec, s[8:9]
	s_and_b64 s[4:5], s[4:5], exec
	s_or_saveexec_b64 s[6:7], s[6:7]
	v_mov_b32_e32 v10, s10
	s_xor_b64 exec, exec, s[6:7]
	s_cbranch_execz .LBB17_1322
.LBB17_3372:
	v_mov_b32_e32 v10, 0
	v_cmp_ne_u16_sdwa s[8:9], v14, v10 src0_sel:BYTE_0 src1_sel:DWORD
	s_andn2_b64 s[4:5], s[4:5], exec
	s_and_b64 s[8:9], s[8:9], exec
	s_or_b64 s[4:5], s[4:5], s[8:9]
	s_or_b64 exec, exec, s[6:7]
	s_and_saveexec_b64 s[6:7], s[4:5]
	s_cbranch_execnz .LBB17_1323
	s_branch .LBB17_1324
.LBB17_3373:
	s_movk_i32 s4, 0x80
	v_cmp_eq_u16_sdwa s[12:13], v14, s4 src0_sel:BYTE_0 src1_sel:DWORD
	s_mov_b64 s[4:5], -1
                                        ; implicit-def: $sgpr10
	s_and_saveexec_b64 s[8:9], s[12:13]
; %bb.3374:
	s_mov_b32 s10, 0x7f800001
	s_xor_b64 s[4:5], exec, -1
; %bb.3375:
	s_or_b64 exec, exec, s[8:9]
	s_and_b64 s[4:5], s[4:5], exec
	s_or_saveexec_b64 s[6:7], s[6:7]
	v_mov_b32_e32 v20, s10
	s_xor_b64 exec, exec, s[6:7]
	s_cbranch_execz .LBB17_1326
.LBB17_3376:
	v_mov_b32_e32 v20, 0
	v_cmp_ne_u16_sdwa s[8:9], v14, v20 src0_sel:BYTE_0 src1_sel:DWORD
	s_andn2_b64 s[4:5], s[4:5], exec
	s_and_b64 s[8:9], s[8:9], exec
	s_or_b64 s[4:5], s[4:5], s[8:9]
	s_or_b64 exec, exec, s[6:7]
	s_and_saveexec_b64 s[6:7], s[4:5]
	s_cbranch_execnz .LBB17_1327
	s_branch .LBB17_1328
.LBB17_3377:
	s_movk_i32 s4, 0x80
	v_cmp_eq_u16_e32 vcc, s4, v14
	s_mov_b64 s[4:5], -1
                                        ; implicit-def: $sgpr10
	s_and_saveexec_b64 s[8:9], vcc
; %bb.3378:
	s_mov_b32 s10, 0x7f800001
	s_xor_b64 s[4:5], exec, -1
; %bb.3379:
	s_or_b64 exec, exec, s[8:9]
	s_and_b64 s[4:5], s[4:5], exec
                                        ; implicit-def: $vgpr14
	s_or_saveexec_b64 s[6:7], s[6:7]
	v_mov_b32_e32 v10, s10
	s_xor_b64 exec, exec, s[6:7]
	s_cbranch_execz .LBB17_1330
.LBB17_3380:
	v_cmp_ne_u16_e32 vcc, 0, v14
	s_andn2_b64 s[4:5], s[4:5], exec
	s_and_b64 s[8:9], vcc, exec
	v_mov_b32_e32 v10, 0
	s_or_b64 s[4:5], s[4:5], s[8:9]
	s_or_b64 exec, exec, s[6:7]
	s_and_saveexec_b64 s[6:7], s[4:5]
	s_cbranch_execnz .LBB17_1331
	s_branch .LBB17_1332
.LBB17_3381:
	s_movk_i32 s4, 0x80
	v_cmp_eq_u16_e32 vcc, s4, v14
	s_mov_b64 s[4:5], -1
                                        ; implicit-def: $sgpr10
	s_and_saveexec_b64 s[8:9], vcc
; %bb.3382:
	s_mov_b32 s10, 0x7f800001
	s_xor_b64 s[4:5], exec, -1
; %bb.3383:
	s_or_b64 exec, exec, s[8:9]
	s_and_b64 s[4:5], s[4:5], exec
                                        ; implicit-def: $vgpr14
	s_or_saveexec_b64 s[6:7], s[6:7]
	v_mov_b32_e32 v20, s10
	s_xor_b64 exec, exec, s[6:7]
	s_cbranch_execz .LBB17_1334
.LBB17_3384:
	v_cmp_ne_u16_e32 vcc, 0, v14
	s_andn2_b64 s[4:5], s[4:5], exec
	s_and_b64 s[8:9], vcc, exec
	v_mov_b32_e32 v20, 0
	s_or_b64 s[4:5], s[4:5], s[8:9]
	s_or_b64 exec, exec, s[6:7]
	s_and_saveexec_b64 s[6:7], s[4:5]
	s_cbranch_execnz .LBB17_1335
	s_branch .LBB17_1336
.LBB17_3385:
	s_movk_i32 s4, 0x80
	v_cmp_eq_u16_sdwa s[12:13], v15, s4 src0_sel:BYTE_3 src1_sel:DWORD
	s_mov_b64 s[4:5], -1
                                        ; implicit-def: $sgpr10
	s_and_saveexec_b64 s[8:9], s[12:13]
; %bb.3386:
	s_mov_b32 s10, 0x7f800001
	s_xor_b64 s[4:5], exec, -1
; %bb.3387:
	s_or_b64 exec, exec, s[8:9]
	s_and_b64 s[4:5], s[4:5], exec
	s_or_saveexec_b64 s[6:7], s[6:7]
	v_mov_b32_e32 v10, s10
	s_xor_b64 exec, exec, s[6:7]
	s_cbranch_execz .LBB17_1338
.LBB17_3388:
	v_mov_b32_e32 v10, 0
	v_cmp_ne_u16_sdwa s[8:9], v15, v10 src0_sel:BYTE_3 src1_sel:DWORD
	s_andn2_b64 s[4:5], s[4:5], exec
	s_and_b64 s[8:9], s[8:9], exec
	s_or_b64 s[4:5], s[4:5], s[8:9]
	s_or_b64 exec, exec, s[6:7]
	s_and_saveexec_b64 s[6:7], s[4:5]
	s_cbranch_execnz .LBB17_1339
	s_branch .LBB17_1340
.LBB17_3389:
	s_movk_i32 s4, 0x80
	v_cmp_eq_u16_sdwa s[12:13], v11, s4 src0_sel:BYTE_3 src1_sel:DWORD
	s_mov_b64 s[4:5], -1
                                        ; implicit-def: $sgpr10
	s_and_saveexec_b64 s[8:9], s[12:13]
; %bb.3390:
	s_mov_b32 s10, 0x7f800001
	s_xor_b64 s[4:5], exec, -1
; %bb.3391:
	s_or_b64 exec, exec, s[8:9]
	s_and_b64 s[4:5], s[4:5], exec
	s_or_saveexec_b64 s[6:7], s[6:7]
	v_mov_b32_e32 v14, s10
	s_xor_b64 exec, exec, s[6:7]
	s_cbranch_execz .LBB17_1342
.LBB17_3392:
	v_mov_b32_e32 v14, 0
	v_cmp_ne_u16_sdwa s[8:9], v11, v14 src0_sel:BYTE_3 src1_sel:DWORD
	s_andn2_b64 s[4:5], s[4:5], exec
	s_and_b64 s[8:9], s[8:9], exec
	s_or_b64 s[4:5], s[4:5], s[8:9]
	s_or_b64 exec, exec, s[6:7]
	s_and_saveexec_b64 s[6:7], s[4:5]
	s_cbranch_execnz .LBB17_1343
	s_branch .LBB17_1344
.LBB17_3393:
	s_movk_i32 s4, 0x80
	v_cmp_eq_u16_sdwa s[12:13], v16, s4 src0_sel:BYTE_0 src1_sel:DWORD
	s_mov_b64 s[4:5], -1
                                        ; implicit-def: $sgpr10
	s_and_saveexec_b64 s[8:9], s[12:13]
; %bb.3394:
	s_mov_b32 s10, 0x7f800001
	s_xor_b64 s[4:5], exec, -1
; %bb.3395:
	s_or_b64 exec, exec, s[8:9]
	s_and_b64 s[4:5], s[4:5], exec
	s_or_saveexec_b64 s[6:7], s[6:7]
	v_mov_b32_e32 v10, s10
	s_xor_b64 exec, exec, s[6:7]
	s_cbranch_execz .LBB17_1346
.LBB17_3396:
	v_mov_b32_e32 v10, 0
	v_cmp_ne_u16_sdwa s[8:9], v16, v10 src0_sel:BYTE_0 src1_sel:DWORD
	s_andn2_b64 s[4:5], s[4:5], exec
	s_and_b64 s[8:9], s[8:9], exec
	s_or_b64 s[4:5], s[4:5], s[8:9]
	s_or_b64 exec, exec, s[6:7]
	s_and_saveexec_b64 s[6:7], s[4:5]
	s_cbranch_execnz .LBB17_1347
	s_branch .LBB17_1348
.LBB17_3397:
	s_movk_i32 s4, 0x80
	v_cmp_eq_u16_sdwa s[12:13], v12, s4 src0_sel:BYTE_0 src1_sel:DWORD
	s_mov_b64 s[4:5], -1
                                        ; implicit-def: $sgpr10
	s_and_saveexec_b64 s[8:9], s[12:13]
; %bb.3398:
	s_mov_b32 s10, 0x7f800001
	s_xor_b64 s[4:5], exec, -1
; %bb.3399:
	s_or_b64 exec, exec, s[8:9]
	s_and_b64 s[4:5], s[4:5], exec
	s_or_saveexec_b64 s[6:7], s[6:7]
	v_mov_b32_e32 v11, s10
	s_xor_b64 exec, exec, s[6:7]
	s_cbranch_execz .LBB17_1350
.LBB17_3400:
	v_mov_b32_e32 v11, 0
	v_cmp_ne_u16_sdwa s[8:9], v12, v11 src0_sel:BYTE_0 src1_sel:DWORD
	s_andn2_b64 s[4:5], s[4:5], exec
	s_and_b64 s[8:9], s[8:9], exec
	s_or_b64 s[4:5], s[4:5], s[8:9]
	s_or_b64 exec, exec, s[6:7]
	s_and_saveexec_b64 s[6:7], s[4:5]
	s_cbranch_execnz .LBB17_1351
	s_branch .LBB17_1352
.LBB17_3401:
	s_movk_i32 s4, 0x80
	v_cmp_eq_u16_sdwa s[12:13], v11, s4 src0_sel:BYTE_0 src1_sel:DWORD
	s_mov_b64 s[4:5], -1
                                        ; implicit-def: $sgpr10
	s_and_saveexec_b64 s[8:9], s[12:13]
; %bb.3402:
	s_mov_b32 s10, 0x7f800001
	s_xor_b64 s[4:5], exec, -1
; %bb.3403:
	s_or_b64 exec, exec, s[8:9]
	s_and_b64 s[4:5], s[4:5], exec
	s_or_saveexec_b64 s[6:7], s[6:7]
	v_mov_b32_e32 v10, s10
	s_xor_b64 exec, exec, s[6:7]
	s_cbranch_execz .LBB17_1354
.LBB17_3404:
	v_mov_b32_e32 v10, 0
	v_cmp_ne_u16_sdwa s[8:9], v11, v10 src0_sel:BYTE_0 src1_sel:DWORD
	s_andn2_b64 s[4:5], s[4:5], exec
	s_and_b64 s[8:9], s[8:9], exec
	s_or_b64 s[4:5], s[4:5], s[8:9]
	s_or_b64 exec, exec, s[6:7]
	s_and_saveexec_b64 s[6:7], s[4:5]
	s_cbranch_execnz .LBB17_1355
	s_branch .LBB17_1356
.LBB17_3405:
	s_movk_i32 s4, 0x80
	v_cmp_eq_u16_sdwa s[12:13], v11, s4 src0_sel:BYTE_0 src1_sel:DWORD
	s_mov_b64 s[4:5], -1
                                        ; implicit-def: $sgpr10
	s_and_saveexec_b64 s[8:9], s[12:13]
; %bb.3406:
	s_mov_b32 s10, 0x7f800001
	s_xor_b64 s[4:5], exec, -1
; %bb.3407:
	s_or_b64 exec, exec, s[8:9]
	s_and_b64 s[4:5], s[4:5], exec
	s_or_saveexec_b64 s[6:7], s[6:7]
	v_mov_b32_e32 v14, s10
	s_xor_b64 exec, exec, s[6:7]
	s_cbranch_execz .LBB17_1358
.LBB17_3408:
	v_mov_b32_e32 v14, 0
	v_cmp_ne_u16_sdwa s[8:9], v11, v14 src0_sel:BYTE_0 src1_sel:DWORD
	s_andn2_b64 s[4:5], s[4:5], exec
	s_and_b64 s[8:9], s[8:9], exec
	s_or_b64 s[4:5], s[4:5], s[8:9]
	s_or_b64 exec, exec, s[6:7]
	s_and_saveexec_b64 s[6:7], s[4:5]
	s_cbranch_execnz .LBB17_1359
	s_branch .LBB17_1360
.LBB17_3409:
	s_movk_i32 s4, 0x80
	v_cmp_eq_u16_e32 vcc, s4, v11
	s_mov_b64 s[4:5], -1
                                        ; implicit-def: $sgpr10
	s_and_saveexec_b64 s[8:9], vcc
; %bb.3410:
	s_mov_b32 s10, 0x7f800001
	s_xor_b64 s[4:5], exec, -1
; %bb.3411:
	s_or_b64 exec, exec, s[8:9]
	s_and_b64 s[4:5], s[4:5], exec
                                        ; implicit-def: $vgpr11
	s_or_saveexec_b64 s[6:7], s[6:7]
	v_mov_b32_e32 v10, s10
	s_xor_b64 exec, exec, s[6:7]
	s_cbranch_execz .LBB17_1362
.LBB17_3412:
	v_cmp_ne_u16_e32 vcc, 0, v11
	s_andn2_b64 s[4:5], s[4:5], exec
	s_and_b64 s[8:9], vcc, exec
	v_mov_b32_e32 v10, 0
	s_or_b64 s[4:5], s[4:5], s[8:9]
	s_or_b64 exec, exec, s[6:7]
	s_and_saveexec_b64 s[6:7], s[4:5]
	s_cbranch_execnz .LBB17_1363
	s_branch .LBB17_1364
.LBB17_3413:
	s_movk_i32 s4, 0x80
	v_cmp_eq_u16_e32 vcc, s4, v11
	s_mov_b64 s[4:5], -1
                                        ; implicit-def: $sgpr10
	s_and_saveexec_b64 s[8:9], vcc
; %bb.3414:
	s_mov_b32 s10, 0x7f800001
	s_xor_b64 s[4:5], exec, -1
; %bb.3415:
	s_or_b64 exec, exec, s[8:9]
	s_and_b64 s[4:5], s[4:5], exec
                                        ; implicit-def: $vgpr11
	s_or_saveexec_b64 s[6:7], s[6:7]
	v_mov_b32_e32 v14, s10
	s_xor_b64 exec, exec, s[6:7]
	s_cbranch_execz .LBB17_1366
.LBB17_3416:
	v_cmp_ne_u16_e32 vcc, 0, v11
	s_andn2_b64 s[4:5], s[4:5], exec
	s_and_b64 s[8:9], vcc, exec
	v_mov_b32_e32 v14, 0
	s_or_b64 s[4:5], s[4:5], s[8:9]
	s_or_b64 exec, exec, s[6:7]
	s_and_saveexec_b64 s[6:7], s[4:5]
	s_cbranch_execnz .LBB17_1367
	s_branch .LBB17_1368
.LBB17_3417:
	s_movk_i32 s4, 0x80
	v_cmp_eq_u16_sdwa s[12:13], v16, s4 src0_sel:BYTE_3 src1_sel:DWORD
	s_mov_b64 s[4:5], -1
                                        ; implicit-def: $sgpr10
	s_and_saveexec_b64 s[8:9], s[12:13]
; %bb.3418:
	s_mov_b32 s10, 0x7f800001
	s_xor_b64 s[4:5], exec, -1
; %bb.3419:
	s_or_b64 exec, exec, s[8:9]
	s_and_b64 s[4:5], s[4:5], exec
	s_or_saveexec_b64 s[6:7], s[6:7]
	v_mov_b32_e32 v10, s10
	s_xor_b64 exec, exec, s[6:7]
	s_cbranch_execz .LBB17_1370
.LBB17_3420:
	v_mov_b32_e32 v10, 0
	v_cmp_ne_u16_sdwa s[8:9], v16, v10 src0_sel:BYTE_3 src1_sel:DWORD
	s_andn2_b64 s[4:5], s[4:5], exec
	s_and_b64 s[8:9], s[8:9], exec
	s_or_b64 s[4:5], s[4:5], s[8:9]
	s_or_b64 exec, exec, s[6:7]
	s_and_saveexec_b64 s[6:7], s[4:5]
	s_cbranch_execnz .LBB17_1371
	s_branch .LBB17_1372
.LBB17_3421:
	s_movk_i32 s4, 0x80
	v_cmp_eq_u16_sdwa s[12:13], v12, s4 src0_sel:BYTE_3 src1_sel:DWORD
	s_mov_b64 s[4:5], -1
                                        ; implicit-def: $sgpr10
	s_and_saveexec_b64 s[8:9], s[12:13]
; %bb.3422:
	s_mov_b32 s10, 0x7f800001
	s_xor_b64 s[4:5], exec, -1
; %bb.3423:
	s_or_b64 exec, exec, s[8:9]
	s_and_b64 s[4:5], s[4:5], exec
	s_or_saveexec_b64 s[6:7], s[6:7]
	v_mov_b32_e32 v11, s10
	s_xor_b64 exec, exec, s[6:7]
	s_cbranch_execz .LBB17_1374
.LBB17_3424:
	v_mov_b32_e32 v11, 0
	v_cmp_ne_u16_sdwa s[8:9], v12, v11 src0_sel:BYTE_3 src1_sel:DWORD
	s_andn2_b64 s[4:5], s[4:5], exec
	s_and_b64 s[8:9], s[8:9], exec
	s_or_b64 s[4:5], s[4:5], s[8:9]
	s_or_b64 exec, exec, s[6:7]
	s_and_saveexec_b64 s[6:7], s[4:5]
	s_cbranch_execnz .LBB17_1375
	s_branch .LBB17_1376
.LBB17_3425:
	s_movk_i32 s4, 0x80
	v_cmp_eq_u16_sdwa s[12:13], v17, s4 src0_sel:BYTE_0 src1_sel:DWORD
	s_mov_b64 s[4:5], -1
                                        ; implicit-def: $sgpr10
	s_and_saveexec_b64 s[8:9], s[12:13]
; %bb.3426:
	s_mov_b32 s10, 0x7f800001
	s_xor_b64 s[4:5], exec, -1
; %bb.3427:
	s_or_b64 exec, exec, s[8:9]
	s_and_b64 s[4:5], s[4:5], exec
	s_or_saveexec_b64 s[6:7], s[6:7]
	v_mov_b32_e32 v10, s10
	s_xor_b64 exec, exec, s[6:7]
	s_cbranch_execz .LBB17_1378
.LBB17_3428:
	v_mov_b32_e32 v10, 0
	v_cmp_ne_u16_sdwa s[8:9], v17, v10 src0_sel:BYTE_0 src1_sel:DWORD
	s_andn2_b64 s[4:5], s[4:5], exec
	s_and_b64 s[8:9], s[8:9], exec
	s_or_b64 s[4:5], s[4:5], s[8:9]
	s_or_b64 exec, exec, s[6:7]
	s_and_saveexec_b64 s[6:7], s[4:5]
	s_cbranch_execnz .LBB17_1379
	s_branch .LBB17_1380
.LBB17_3429:
	s_movk_i32 s4, 0x80
	v_cmp_eq_u16_sdwa s[12:13], v13, s4 src0_sel:BYTE_0 src1_sel:DWORD
	s_mov_b64 s[4:5], -1
                                        ; implicit-def: $sgpr10
	s_and_saveexec_b64 s[8:9], s[12:13]
; %bb.3430:
	s_mov_b32 s10, 0x7f800001
	s_xor_b64 s[4:5], exec, -1
; %bb.3431:
	s_or_b64 exec, exec, s[8:9]
	s_and_b64 s[4:5], s[4:5], exec
	s_or_saveexec_b64 s[6:7], s[6:7]
	v_mov_b32_e32 v11, s10
	s_xor_b64 exec, exec, s[6:7]
	s_cbranch_execz .LBB17_1382
.LBB17_3432:
	v_mov_b32_e32 v11, 0
	v_cmp_ne_u16_sdwa s[8:9], v13, v11 src0_sel:BYTE_0 src1_sel:DWORD
	s_andn2_b64 s[4:5], s[4:5], exec
	s_and_b64 s[8:9], s[8:9], exec
	s_or_b64 s[4:5], s[4:5], s[8:9]
	s_or_b64 exec, exec, s[6:7]
	s_and_saveexec_b64 s[6:7], s[4:5]
	s_cbranch_execnz .LBB17_1383
	s_branch .LBB17_1384
.LBB17_3433:
	s_movk_i32 s4, 0x80
	v_cmp_eq_u16_sdwa s[12:13], v11, s4 src0_sel:BYTE_0 src1_sel:DWORD
	s_mov_b64 s[4:5], -1
                                        ; implicit-def: $sgpr10
	s_and_saveexec_b64 s[8:9], s[12:13]
; %bb.3434:
	s_mov_b32 s10, 0x7f800001
	s_xor_b64 s[4:5], exec, -1
; %bb.3435:
	s_or_b64 exec, exec, s[8:9]
	s_and_b64 s[4:5], s[4:5], exec
	s_or_saveexec_b64 s[6:7], s[6:7]
	v_mov_b32_e32 v10, s10
	s_xor_b64 exec, exec, s[6:7]
	s_cbranch_execz .LBB17_1386
.LBB17_3436:
	v_mov_b32_e32 v10, 0
	v_cmp_ne_u16_sdwa s[8:9], v11, v10 src0_sel:BYTE_0 src1_sel:DWORD
	s_andn2_b64 s[4:5], s[4:5], exec
	s_and_b64 s[8:9], s[8:9], exec
	s_or_b64 s[4:5], s[4:5], s[8:9]
	s_or_b64 exec, exec, s[6:7]
	s_and_saveexec_b64 s[6:7], s[4:5]
	s_cbranch_execnz .LBB17_1387
	s_branch .LBB17_1388
.LBB17_3437:
	s_movk_i32 s4, 0x80
	v_cmp_eq_u16_sdwa s[12:13], v11, s4 src0_sel:BYTE_0 src1_sel:DWORD
	s_mov_b64 s[4:5], -1
                                        ; implicit-def: $sgpr10
	s_and_saveexec_b64 s[8:9], s[12:13]
; %bb.3438:
	s_mov_b32 s10, 0x7f800001
	s_xor_b64 s[4:5], exec, -1
; %bb.3439:
	s_or_b64 exec, exec, s[8:9]
	s_and_b64 s[4:5], s[4:5], exec
	s_or_saveexec_b64 s[6:7], s[6:7]
	v_mov_b32_e32 v12, s10
	s_xor_b64 exec, exec, s[6:7]
	s_cbranch_execz .LBB17_1390
.LBB17_3440:
	v_mov_b32_e32 v12, 0
	v_cmp_ne_u16_sdwa s[8:9], v11, v12 src0_sel:BYTE_0 src1_sel:DWORD
	s_andn2_b64 s[4:5], s[4:5], exec
	s_and_b64 s[8:9], s[8:9], exec
	s_or_b64 s[4:5], s[4:5], s[8:9]
	s_or_b64 exec, exec, s[6:7]
	s_and_saveexec_b64 s[6:7], s[4:5]
	s_cbranch_execnz .LBB17_1391
	s_branch .LBB17_1392
.LBB17_3441:
	s_movk_i32 s4, 0x80
	v_cmp_eq_u16_e32 vcc, s4, v11
	s_mov_b64 s[4:5], -1
                                        ; implicit-def: $sgpr10
	s_and_saveexec_b64 s[8:9], vcc
; %bb.3442:
	s_mov_b32 s10, 0x7f800001
	s_xor_b64 s[4:5], exec, -1
; %bb.3443:
	s_or_b64 exec, exec, s[8:9]
	s_and_b64 s[4:5], s[4:5], exec
                                        ; implicit-def: $vgpr11
	s_or_saveexec_b64 s[6:7], s[6:7]
	v_mov_b32_e32 v10, s10
	s_xor_b64 exec, exec, s[6:7]
	s_cbranch_execz .LBB17_1394
.LBB17_3444:
	v_cmp_ne_u16_e32 vcc, 0, v11
	s_andn2_b64 s[4:5], s[4:5], exec
	s_and_b64 s[8:9], vcc, exec
	v_mov_b32_e32 v10, 0
	s_or_b64 s[4:5], s[4:5], s[8:9]
	s_or_b64 exec, exec, s[6:7]
	s_and_saveexec_b64 s[6:7], s[4:5]
	s_cbranch_execnz .LBB17_1395
	s_branch .LBB17_1396
.LBB17_3445:
	s_movk_i32 s4, 0x80
	v_cmp_eq_u16_e32 vcc, s4, v11
	s_mov_b64 s[4:5], -1
                                        ; implicit-def: $sgpr10
	s_and_saveexec_b64 s[8:9], vcc
; %bb.3446:
	s_mov_b32 s10, 0x7f800001
	s_xor_b64 s[4:5], exec, -1
; %bb.3447:
	s_or_b64 exec, exec, s[8:9]
	s_and_b64 s[4:5], s[4:5], exec
                                        ; implicit-def: $vgpr11
	s_or_saveexec_b64 s[6:7], s[6:7]
	v_mov_b32_e32 v12, s10
	s_xor_b64 exec, exec, s[6:7]
	s_cbranch_execz .LBB17_1398
.LBB17_3448:
	v_cmp_ne_u16_e32 vcc, 0, v11
	s_andn2_b64 s[4:5], s[4:5], exec
	s_and_b64 s[8:9], vcc, exec
	v_mov_b32_e32 v12, 0
	s_or_b64 s[4:5], s[4:5], s[8:9]
	s_or_b64 exec, exec, s[6:7]
	s_and_saveexec_b64 s[6:7], s[4:5]
	s_cbranch_execnz .LBB17_1399
	s_branch .LBB17_1400
.LBB17_3449:
	s_movk_i32 s4, 0x80
	v_cmp_eq_u16_sdwa s[12:13], v17, s4 src0_sel:BYTE_3 src1_sel:DWORD
	s_mov_b64 s[4:5], -1
                                        ; implicit-def: $sgpr10
	s_and_saveexec_b64 s[8:9], s[12:13]
; %bb.3450:
	s_mov_b32 s10, 0x7f800001
	s_xor_b64 s[4:5], exec, -1
; %bb.3451:
	s_or_b64 exec, exec, s[8:9]
	s_and_b64 s[4:5], s[4:5], exec
	s_or_saveexec_b64 s[6:7], s[6:7]
	v_mov_b32_e32 v10, s10
	s_xor_b64 exec, exec, s[6:7]
	s_cbranch_execz .LBB17_1402
.LBB17_3452:
	v_mov_b32_e32 v10, 0
	v_cmp_ne_u16_sdwa s[8:9], v17, v10 src0_sel:BYTE_3 src1_sel:DWORD
	s_andn2_b64 s[4:5], s[4:5], exec
	s_and_b64 s[8:9], s[8:9], exec
	s_or_b64 s[4:5], s[4:5], s[8:9]
	s_or_b64 exec, exec, s[6:7]
	s_and_saveexec_b64 s[6:7], s[4:5]
	s_cbranch_execnz .LBB17_1403
	s_branch .LBB17_1404
.LBB17_3453:
	s_movk_i32 s4, 0x80
	v_cmp_eq_u16_sdwa s[12:13], v13, s4 src0_sel:BYTE_3 src1_sel:DWORD
	s_mov_b64 s[4:5], -1
                                        ; implicit-def: $sgpr10
	s_and_saveexec_b64 s[8:9], s[12:13]
; %bb.3454:
	s_mov_b32 s10, 0x7f800001
	s_xor_b64 s[4:5], exec, -1
; %bb.3455:
	s_or_b64 exec, exec, s[8:9]
	s_and_b64 s[4:5], s[4:5], exec
	s_or_saveexec_b64 s[6:7], s[6:7]
	v_mov_b32_e32 v11, s10
	s_xor_b64 exec, exec, s[6:7]
	s_cbranch_execz .LBB17_1406
.LBB17_3456:
	v_mov_b32_e32 v11, 0
	v_cmp_ne_u16_sdwa s[8:9], v13, v11 src0_sel:BYTE_3 src1_sel:DWORD
	s_andn2_b64 s[4:5], s[4:5], exec
	s_and_b64 s[8:9], s[8:9], exec
	s_or_b64 s[4:5], s[4:5], s[8:9]
	s_or_b64 exec, exec, s[6:7]
	s_and_saveexec_b64 s[6:7], s[4:5]
	s_cbranch_execnz .LBB17_1407
	s_branch .LBB17_1408
.LBB17_3457:
	s_movk_i32 s4, 0x80
	v_cmp_eq_u16_sdwa s[12:13], v6, s4 src0_sel:BYTE_0 src1_sel:DWORD
	s_mov_b64 s[4:5], -1
                                        ; implicit-def: $sgpr10
	s_and_saveexec_b64 s[8:9], s[12:13]
; %bb.3458:
	s_mov_b32 s10, 0x7f800001
	s_xor_b64 s[4:5], exec, -1
; %bb.3459:
	s_or_b64 exec, exec, s[8:9]
	s_and_b64 s[4:5], s[4:5], exec
	s_or_saveexec_b64 s[6:7], s[6:7]
	v_mov_b32_e32 v10, s10
	s_xor_b64 exec, exec, s[6:7]
	s_cbranch_execz .LBB17_1410
.LBB17_3460:
	v_mov_b32_e32 v10, 0
	v_cmp_ne_u16_sdwa s[8:9], v6, v10 src0_sel:BYTE_0 src1_sel:DWORD
	s_andn2_b64 s[4:5], s[4:5], exec
	s_and_b64 s[8:9], s[8:9], exec
	s_or_b64 s[4:5], s[4:5], s[8:9]
	s_or_b64 exec, exec, s[6:7]
	s_and_saveexec_b64 s[6:7], s[4:5]
	s_cbranch_execnz .LBB17_1411
	s_branch .LBB17_1412
.LBB17_3461:
	s_movk_i32 s4, 0x80
	v_cmp_eq_u16_sdwa s[12:13], v2, s4 src0_sel:BYTE_0 src1_sel:DWORD
	s_mov_b64 s[4:5], -1
                                        ; implicit-def: $sgpr10
	s_and_saveexec_b64 s[8:9], s[12:13]
; %bb.3462:
	s_mov_b32 s10, 0x7f800001
	s_xor_b64 s[4:5], exec, -1
; %bb.3463:
	s_or_b64 exec, exec, s[8:9]
	s_and_b64 s[4:5], s[4:5], exec
	s_or_saveexec_b64 s[6:7], s[6:7]
	v_mov_b32_e32 v11, s10
	s_xor_b64 exec, exec, s[6:7]
	s_cbranch_execz .LBB17_1414
.LBB17_3464:
	v_mov_b32_e32 v11, 0
	v_cmp_ne_u16_sdwa s[8:9], v2, v11 src0_sel:BYTE_0 src1_sel:DWORD
	s_andn2_b64 s[4:5], s[4:5], exec
	s_and_b64 s[8:9], s[8:9], exec
	s_or_b64 s[4:5], s[4:5], s[8:9]
	s_or_b64 exec, exec, s[6:7]
	s_and_saveexec_b64 s[6:7], s[4:5]
	s_cbranch_execnz .LBB17_1415
	s_branch .LBB17_1416
.LBB17_3465:
	s_movk_i32 s4, 0x80
	v_cmp_eq_u16_sdwa s[12:13], v11, s4 src0_sel:BYTE_0 src1_sel:DWORD
	s_mov_b64 s[4:5], -1
                                        ; implicit-def: $sgpr10
	s_and_saveexec_b64 s[8:9], s[12:13]
; %bb.3466:
	s_mov_b32 s10, 0x7f800001
	s_xor_b64 s[4:5], exec, -1
; %bb.3467:
	s_or_b64 exec, exec, s[8:9]
	s_and_b64 s[4:5], s[4:5], exec
	s_or_saveexec_b64 s[6:7], s[6:7]
	v_mov_b32_e32 v10, s10
	s_xor_b64 exec, exec, s[6:7]
	s_cbranch_execz .LBB17_1418
.LBB17_3468:
	v_mov_b32_e32 v10, 0
	v_cmp_ne_u16_sdwa s[8:9], v11, v10 src0_sel:BYTE_0 src1_sel:DWORD
	s_andn2_b64 s[4:5], s[4:5], exec
	s_and_b64 s[8:9], s[8:9], exec
	s_or_b64 s[4:5], s[4:5], s[8:9]
	s_or_b64 exec, exec, s[6:7]
	s_and_saveexec_b64 s[6:7], s[4:5]
	s_cbranch_execnz .LBB17_1419
	s_branch .LBB17_1420
.LBB17_3469:
	s_movk_i32 s4, 0x80
	v_cmp_eq_u16_sdwa s[12:13], v11, s4 src0_sel:BYTE_0 src1_sel:DWORD
	s_mov_b64 s[4:5], -1
                                        ; implicit-def: $sgpr10
	s_and_saveexec_b64 s[8:9], s[12:13]
; %bb.3470:
	s_mov_b32 s10, 0x7f800001
	s_xor_b64 s[4:5], exec, -1
; %bb.3471:
	s_or_b64 exec, exec, s[8:9]
	s_and_b64 s[4:5], s[4:5], exec
	s_or_saveexec_b64 s[6:7], s[6:7]
	v_mov_b32_e32 v12, s10
	s_xor_b64 exec, exec, s[6:7]
	s_cbranch_execz .LBB17_1422
.LBB17_3472:
	v_mov_b32_e32 v12, 0
	v_cmp_ne_u16_sdwa s[8:9], v11, v12 src0_sel:BYTE_0 src1_sel:DWORD
	s_andn2_b64 s[4:5], s[4:5], exec
	s_and_b64 s[8:9], s[8:9], exec
	s_or_b64 s[4:5], s[4:5], s[8:9]
	s_or_b64 exec, exec, s[6:7]
	s_and_saveexec_b64 s[6:7], s[4:5]
	s_cbranch_execnz .LBB17_1423
	s_branch .LBB17_1424
.LBB17_3473:
	s_movk_i32 s4, 0x80
	v_cmp_eq_u16_e32 vcc, s4, v11
	s_mov_b64 s[4:5], -1
                                        ; implicit-def: $sgpr10
	s_and_saveexec_b64 s[8:9], vcc
; %bb.3474:
	s_mov_b32 s10, 0x7f800001
	s_xor_b64 s[4:5], exec, -1
; %bb.3475:
	s_or_b64 exec, exec, s[8:9]
	s_and_b64 s[4:5], s[4:5], exec
                                        ; implicit-def: $vgpr11
	s_or_saveexec_b64 s[6:7], s[6:7]
	v_mov_b32_e32 v10, s10
	s_xor_b64 exec, exec, s[6:7]
	s_cbranch_execz .LBB17_1426
.LBB17_3476:
	v_cmp_ne_u16_e32 vcc, 0, v11
	s_andn2_b64 s[4:5], s[4:5], exec
	s_and_b64 s[8:9], vcc, exec
	v_mov_b32_e32 v10, 0
	s_or_b64 s[4:5], s[4:5], s[8:9]
	s_or_b64 exec, exec, s[6:7]
	s_and_saveexec_b64 s[6:7], s[4:5]
	s_cbranch_execnz .LBB17_1427
	s_branch .LBB17_1428
.LBB17_3477:
	s_movk_i32 s4, 0x80
	v_cmp_eq_u16_e32 vcc, s4, v11
	s_mov_b64 s[4:5], -1
                                        ; implicit-def: $sgpr10
	s_and_saveexec_b64 s[8:9], vcc
; %bb.3478:
	s_mov_b32 s10, 0x7f800001
	s_xor_b64 s[4:5], exec, -1
; %bb.3479:
	s_or_b64 exec, exec, s[8:9]
	s_and_b64 s[4:5], s[4:5], exec
                                        ; implicit-def: $vgpr11
	s_or_saveexec_b64 s[6:7], s[6:7]
	v_mov_b32_e32 v12, s10
	s_xor_b64 exec, exec, s[6:7]
	s_cbranch_execz .LBB17_1430
.LBB17_3480:
	v_cmp_ne_u16_e32 vcc, 0, v11
	s_andn2_b64 s[4:5], s[4:5], exec
	s_and_b64 s[8:9], vcc, exec
	v_mov_b32_e32 v12, 0
	s_or_b64 s[4:5], s[4:5], s[8:9]
	s_or_b64 exec, exec, s[6:7]
	s_and_saveexec_b64 s[6:7], s[4:5]
	s_cbranch_execnz .LBB17_1431
	s_branch .LBB17_1432
.LBB17_3481:
	s_movk_i32 s4, 0x80
	v_cmp_eq_u16_sdwa s[12:13], v6, s4 src0_sel:BYTE_3 src1_sel:DWORD
	s_mov_b64 s[4:5], -1
                                        ; implicit-def: $sgpr10
	s_and_saveexec_b64 s[8:9], s[12:13]
; %bb.3482:
	s_mov_b32 s10, 0x7f800001
	s_xor_b64 s[4:5], exec, -1
; %bb.3483:
	s_or_b64 exec, exec, s[8:9]
	s_and_b64 s[4:5], s[4:5], exec
	s_or_saveexec_b64 s[6:7], s[6:7]
	v_mov_b32_e32 v10, s10
	s_xor_b64 exec, exec, s[6:7]
	s_cbranch_execz .LBB17_1434
.LBB17_3484:
	v_mov_b32_e32 v10, 0
	v_cmp_ne_u16_sdwa s[8:9], v6, v10 src0_sel:BYTE_3 src1_sel:DWORD
	s_andn2_b64 s[4:5], s[4:5], exec
	s_and_b64 s[8:9], s[8:9], exec
	s_or_b64 s[4:5], s[4:5], s[8:9]
	s_or_b64 exec, exec, s[6:7]
	s_and_saveexec_b64 s[6:7], s[4:5]
	s_cbranch_execnz .LBB17_1435
	s_branch .LBB17_1436
.LBB17_3485:
	s_movk_i32 s4, 0x80
	v_cmp_eq_u16_sdwa s[12:13], v2, s4 src0_sel:BYTE_3 src1_sel:DWORD
	s_mov_b64 s[4:5], -1
                                        ; implicit-def: $sgpr10
	s_and_saveexec_b64 s[8:9], s[12:13]
; %bb.3486:
	s_mov_b32 s10, 0x7f800001
	s_xor_b64 s[4:5], exec, -1
; %bb.3487:
	s_or_b64 exec, exec, s[8:9]
	s_and_b64 s[4:5], s[4:5], exec
	s_or_saveexec_b64 s[6:7], s[6:7]
	v_mov_b32_e32 v6, s10
	s_xor_b64 exec, exec, s[6:7]
	s_cbranch_execz .LBB17_1438
.LBB17_3488:
	v_mov_b32_e32 v6, 0
	v_cmp_ne_u16_sdwa s[8:9], v2, v6 src0_sel:BYTE_3 src1_sel:DWORD
	s_andn2_b64 s[4:5], s[4:5], exec
	s_and_b64 s[8:9], s[8:9], exec
	s_or_b64 s[4:5], s[4:5], s[8:9]
	s_or_b64 exec, exec, s[6:7]
	s_and_saveexec_b64 s[6:7], s[4:5]
	s_cbranch_execnz .LBB17_1439
	s_branch .LBB17_1440
.LBB17_3489:
	s_movk_i32 s4, 0x80
	v_cmp_eq_u16_sdwa s[12:13], v7, s4 src0_sel:BYTE_0 src1_sel:DWORD
	s_mov_b64 s[4:5], -1
                                        ; implicit-def: $sgpr10
	s_and_saveexec_b64 s[8:9], s[12:13]
; %bb.3490:
	s_mov_b32 s10, 0x7f800001
	s_xor_b64 s[4:5], exec, -1
; %bb.3491:
	s_or_b64 exec, exec, s[8:9]
	s_and_b64 s[4:5], s[4:5], exec
	s_or_saveexec_b64 s[6:7], s[6:7]
	v_mov_b32_e32 v2, s10
	s_xor_b64 exec, exec, s[6:7]
	s_cbranch_execz .LBB17_1442
.LBB17_3492:
	v_mov_b32_e32 v2, 0
	v_cmp_ne_u16_sdwa s[8:9], v7, v2 src0_sel:BYTE_0 src1_sel:DWORD
	s_andn2_b64 s[4:5], s[4:5], exec
	s_and_b64 s[8:9], s[8:9], exec
	s_or_b64 s[4:5], s[4:5], s[8:9]
	s_or_b64 exec, exec, s[6:7]
	s_and_saveexec_b64 s[6:7], s[4:5]
	s_cbranch_execnz .LBB17_1443
	s_branch .LBB17_1444
.LBB17_3493:
	s_movk_i32 s4, 0x80
	v_cmp_eq_u16_sdwa s[12:13], v3, s4 src0_sel:BYTE_0 src1_sel:DWORD
	s_mov_b64 s[4:5], -1
                                        ; implicit-def: $sgpr10
	s_and_saveexec_b64 s[8:9], s[12:13]
; %bb.3494:
	s_mov_b32 s10, 0x7f800001
	s_xor_b64 s[4:5], exec, -1
; %bb.3495:
	s_or_b64 exec, exec, s[8:9]
	s_and_b64 s[4:5], s[4:5], exec
	s_or_saveexec_b64 s[6:7], s[6:7]
	v_mov_b32_e32 v6, s10
	s_xor_b64 exec, exec, s[6:7]
	s_cbranch_execz .LBB17_1446
.LBB17_3496:
	v_mov_b32_e32 v6, 0
	v_cmp_ne_u16_sdwa s[8:9], v3, v6 src0_sel:BYTE_0 src1_sel:DWORD
	s_andn2_b64 s[4:5], s[4:5], exec
	s_and_b64 s[8:9], s[8:9], exec
	s_or_b64 s[4:5], s[4:5], s[8:9]
	s_or_b64 exec, exec, s[6:7]
	s_and_saveexec_b64 s[6:7], s[4:5]
	s_cbranch_execnz .LBB17_1447
	s_branch .LBB17_1448
.LBB17_3497:
	s_movk_i32 s4, 0x80
	v_cmp_eq_u16_sdwa s[12:13], v6, s4 src0_sel:BYTE_0 src1_sel:DWORD
	s_mov_b64 s[4:5], -1
                                        ; implicit-def: $sgpr10
	s_and_saveexec_b64 s[8:9], s[12:13]
; %bb.3498:
	s_mov_b32 s10, 0x7f800001
	s_xor_b64 s[4:5], exec, -1
; %bb.3499:
	s_or_b64 exec, exec, s[8:9]
	s_and_b64 s[4:5], s[4:5], exec
	s_or_saveexec_b64 s[6:7], s[6:7]
	v_mov_b32_e32 v2, s10
	s_xor_b64 exec, exec, s[6:7]
	s_cbranch_execz .LBB17_1450
.LBB17_3500:
	v_mov_b32_e32 v2, 0
	v_cmp_ne_u16_sdwa s[8:9], v6, v2 src0_sel:BYTE_0 src1_sel:DWORD
	s_andn2_b64 s[4:5], s[4:5], exec
	s_and_b64 s[8:9], s[8:9], exec
	s_or_b64 s[4:5], s[4:5], s[8:9]
	s_or_b64 exec, exec, s[6:7]
	s_and_saveexec_b64 s[6:7], s[4:5]
	s_cbranch_execnz .LBB17_1451
	s_branch .LBB17_1452
.LBB17_3501:
	s_movk_i32 s4, 0x80
	v_cmp_eq_u16_sdwa s[12:13], v6, s4 src0_sel:BYTE_0 src1_sel:DWORD
	s_mov_b64 s[4:5], -1
                                        ; implicit-def: $sgpr10
	s_and_saveexec_b64 s[8:9], s[12:13]
; %bb.3502:
	s_mov_b32 s10, 0x7f800001
	s_xor_b64 s[4:5], exec, -1
; %bb.3503:
	s_or_b64 exec, exec, s[8:9]
	s_and_b64 s[4:5], s[4:5], exec
	s_or_saveexec_b64 s[6:7], s[6:7]
	v_mov_b32_e32 v10, s10
	s_xor_b64 exec, exec, s[6:7]
	s_cbranch_execz .LBB17_1454
.LBB17_3504:
	v_mov_b32_e32 v10, 0
	v_cmp_ne_u16_sdwa s[8:9], v6, v10 src0_sel:BYTE_0 src1_sel:DWORD
	s_andn2_b64 s[4:5], s[4:5], exec
	s_and_b64 s[8:9], s[8:9], exec
	s_or_b64 s[4:5], s[4:5], s[8:9]
	s_or_b64 exec, exec, s[6:7]
	s_and_saveexec_b64 s[6:7], s[4:5]
	s_cbranch_execnz .LBB17_1455
	s_branch .LBB17_1456
.LBB17_3505:
	s_movk_i32 s4, 0x80
	v_cmp_eq_u16_e32 vcc, s4, v6
	s_mov_b64 s[4:5], -1
                                        ; implicit-def: $sgpr10
	s_and_saveexec_b64 s[8:9], vcc
; %bb.3506:
	s_mov_b32 s10, 0x7f800001
	s_xor_b64 s[4:5], exec, -1
; %bb.3507:
	s_or_b64 exec, exec, s[8:9]
	s_and_b64 s[4:5], s[4:5], exec
                                        ; implicit-def: $vgpr6
	s_or_saveexec_b64 s[6:7], s[6:7]
	v_mov_b32_e32 v2, s10
	s_xor_b64 exec, exec, s[6:7]
	s_cbranch_execz .LBB17_1458
.LBB17_3508:
	v_cmp_ne_u16_e32 vcc, 0, v6
	s_andn2_b64 s[4:5], s[4:5], exec
	s_and_b64 s[8:9], vcc, exec
	v_mov_b32_e32 v2, 0
	s_or_b64 s[4:5], s[4:5], s[8:9]
	s_or_b64 exec, exec, s[6:7]
	s_and_saveexec_b64 s[6:7], s[4:5]
	s_cbranch_execnz .LBB17_1459
	s_branch .LBB17_1460
.LBB17_3509:
	s_movk_i32 s4, 0x80
	v_cmp_eq_u16_e32 vcc, s4, v6
	s_mov_b64 s[4:5], -1
                                        ; implicit-def: $sgpr10
	s_and_saveexec_b64 s[8:9], vcc
; %bb.3510:
	s_mov_b32 s10, 0x7f800001
	s_xor_b64 s[4:5], exec, -1
; %bb.3511:
	s_or_b64 exec, exec, s[8:9]
	s_and_b64 s[4:5], s[4:5], exec
                                        ; implicit-def: $vgpr6
	s_or_saveexec_b64 s[6:7], s[6:7]
	v_mov_b32_e32 v10, s10
	s_xor_b64 exec, exec, s[6:7]
	s_cbranch_execz .LBB17_1462
.LBB17_3512:
	v_cmp_ne_u16_e32 vcc, 0, v6
	s_andn2_b64 s[4:5], s[4:5], exec
	s_and_b64 s[8:9], vcc, exec
	v_mov_b32_e32 v10, 0
	s_or_b64 s[4:5], s[4:5], s[8:9]
	s_or_b64 exec, exec, s[6:7]
	s_and_saveexec_b64 s[6:7], s[4:5]
	s_cbranch_execnz .LBB17_1463
	s_branch .LBB17_1464
.LBB17_3513:
	s_movk_i32 s4, 0x80
	v_cmp_eq_u16_sdwa s[12:13], v7, s4 src0_sel:BYTE_3 src1_sel:DWORD
	s_mov_b64 s[4:5], -1
                                        ; implicit-def: $sgpr10
	s_and_saveexec_b64 s[8:9], s[12:13]
; %bb.3514:
	s_mov_b32 s10, 0x7f800001
	s_xor_b64 s[4:5], exec, -1
; %bb.3515:
	s_or_b64 exec, exec, s[8:9]
	s_and_b64 s[4:5], s[4:5], exec
	s_or_saveexec_b64 s[6:7], s[6:7]
	v_mov_b32_e32 v2, s10
	s_xor_b64 exec, exec, s[6:7]
	s_cbranch_execz .LBB17_1466
.LBB17_3516:
	v_mov_b32_e32 v2, 0
	v_cmp_ne_u16_sdwa s[8:9], v7, v2 src0_sel:BYTE_3 src1_sel:DWORD
	s_andn2_b64 s[4:5], s[4:5], exec
	s_and_b64 s[8:9], s[8:9], exec
	s_or_b64 s[4:5], s[4:5], s[8:9]
	s_or_b64 exec, exec, s[6:7]
	s_and_saveexec_b64 s[6:7], s[4:5]
	s_cbranch_execnz .LBB17_1467
	s_branch .LBB17_1468
.LBB17_3517:
	s_movk_i32 s4, 0x80
	v_cmp_eq_u16_sdwa s[12:13], v3, s4 src0_sel:BYTE_3 src1_sel:DWORD
	s_mov_b64 s[4:5], -1
                                        ; implicit-def: $sgpr10
	s_and_saveexec_b64 s[8:9], s[12:13]
; %bb.3518:
	s_mov_b32 s10, 0x7f800001
	s_xor_b64 s[4:5], exec, -1
; %bb.3519:
	s_or_b64 exec, exec, s[8:9]
	s_and_b64 s[4:5], s[4:5], exec
	s_or_saveexec_b64 s[6:7], s[6:7]
	v_mov_b32_e32 v6, s10
	s_xor_b64 exec, exec, s[6:7]
	s_cbranch_execz .LBB17_1470
.LBB17_3520:
	v_mov_b32_e32 v6, 0
	v_cmp_ne_u16_sdwa s[8:9], v3, v6 src0_sel:BYTE_3 src1_sel:DWORD
	s_andn2_b64 s[4:5], s[4:5], exec
	s_and_b64 s[8:9], s[8:9], exec
	s_or_b64 s[4:5], s[4:5], s[8:9]
	s_or_b64 exec, exec, s[6:7]
	s_and_saveexec_b64 s[6:7], s[4:5]
	s_cbranch_execnz .LBB17_1471
	s_branch .LBB17_1472
.LBB17_3521:
	s_movk_i32 s4, 0x80
	v_cmp_eq_u16_sdwa s[12:13], v8, s4 src0_sel:BYTE_0 src1_sel:DWORD
	s_mov_b64 s[4:5], -1
                                        ; implicit-def: $sgpr10
	s_and_saveexec_b64 s[8:9], s[12:13]
; %bb.3522:
	s_mov_b32 s10, 0x7f800001
	s_xor_b64 s[4:5], exec, -1
; %bb.3523:
	s_or_b64 exec, exec, s[8:9]
	s_and_b64 s[4:5], s[4:5], exec
	s_or_saveexec_b64 s[6:7], s[6:7]
	v_mov_b32_e32 v2, s10
	s_xor_b64 exec, exec, s[6:7]
	s_cbranch_execz .LBB17_1474
.LBB17_3524:
	v_mov_b32_e32 v2, 0
	v_cmp_ne_u16_sdwa s[8:9], v8, v2 src0_sel:BYTE_0 src1_sel:DWORD
	s_andn2_b64 s[4:5], s[4:5], exec
	s_and_b64 s[8:9], s[8:9], exec
	s_or_b64 s[4:5], s[4:5], s[8:9]
	s_or_b64 exec, exec, s[6:7]
	s_and_saveexec_b64 s[6:7], s[4:5]
	s_cbranch_execnz .LBB17_1475
	s_branch .LBB17_1476
.LBB17_3525:
	s_movk_i32 s4, 0x80
	v_cmp_eq_u16_sdwa s[12:13], v4, s4 src0_sel:BYTE_0 src1_sel:DWORD
	s_mov_b64 s[4:5], -1
                                        ; implicit-def: $sgpr10
	s_and_saveexec_b64 s[8:9], s[12:13]
; %bb.3526:
	s_mov_b32 s10, 0x7f800001
	s_xor_b64 s[4:5], exec, -1
; %bb.3527:
	s_or_b64 exec, exec, s[8:9]
	s_and_b64 s[4:5], s[4:5], exec
	s_or_saveexec_b64 s[6:7], s[6:7]
	v_mov_b32_e32 v3, s10
	s_xor_b64 exec, exec, s[6:7]
	s_cbranch_execz .LBB17_1478
.LBB17_3528:
	v_mov_b32_e32 v3, 0
	v_cmp_ne_u16_sdwa s[8:9], v4, v3 src0_sel:BYTE_0 src1_sel:DWORD
	s_andn2_b64 s[4:5], s[4:5], exec
	s_and_b64 s[8:9], s[8:9], exec
	s_or_b64 s[4:5], s[4:5], s[8:9]
	s_or_b64 exec, exec, s[6:7]
	s_and_saveexec_b64 s[6:7], s[4:5]
	s_cbranch_execnz .LBB17_1479
	s_branch .LBB17_1480
.LBB17_3529:
	s_movk_i32 s4, 0x80
	v_cmp_eq_u16_sdwa s[12:13], v3, s4 src0_sel:BYTE_0 src1_sel:DWORD
	s_mov_b64 s[4:5], -1
                                        ; implicit-def: $sgpr10
	s_and_saveexec_b64 s[8:9], s[12:13]
; %bb.3530:
	s_mov_b32 s10, 0x7f800001
	s_xor_b64 s[4:5], exec, -1
; %bb.3531:
	s_or_b64 exec, exec, s[8:9]
	s_and_b64 s[4:5], s[4:5], exec
	s_or_saveexec_b64 s[6:7], s[6:7]
	v_mov_b32_e32 v2, s10
	s_xor_b64 exec, exec, s[6:7]
	s_cbranch_execz .LBB17_1482
.LBB17_3532:
	v_mov_b32_e32 v2, 0
	v_cmp_ne_u16_sdwa s[8:9], v3, v2 src0_sel:BYTE_0 src1_sel:DWORD
	s_andn2_b64 s[4:5], s[4:5], exec
	s_and_b64 s[8:9], s[8:9], exec
	s_or_b64 s[4:5], s[4:5], s[8:9]
	s_or_b64 exec, exec, s[6:7]
	s_and_saveexec_b64 s[6:7], s[4:5]
	s_cbranch_execnz .LBB17_1483
	s_branch .LBB17_1484
.LBB17_3533:
	s_movk_i32 s4, 0x80
	v_cmp_eq_u16_sdwa s[12:13], v3, s4 src0_sel:BYTE_0 src1_sel:DWORD
	s_mov_b64 s[4:5], -1
                                        ; implicit-def: $sgpr10
	s_and_saveexec_b64 s[8:9], s[12:13]
; %bb.3534:
	s_mov_b32 s10, 0x7f800001
	s_xor_b64 s[4:5], exec, -1
; %bb.3535:
	s_or_b64 exec, exec, s[8:9]
	s_and_b64 s[4:5], s[4:5], exec
	s_or_saveexec_b64 s[6:7], s[6:7]
	v_mov_b32_e32 v6, s10
	s_xor_b64 exec, exec, s[6:7]
	s_cbranch_execz .LBB17_1486
.LBB17_3536:
	v_mov_b32_e32 v6, 0
	v_cmp_ne_u16_sdwa s[8:9], v3, v6 src0_sel:BYTE_0 src1_sel:DWORD
	s_andn2_b64 s[4:5], s[4:5], exec
	s_and_b64 s[8:9], s[8:9], exec
	s_or_b64 s[4:5], s[4:5], s[8:9]
	s_or_b64 exec, exec, s[6:7]
	s_and_saveexec_b64 s[6:7], s[4:5]
	s_cbranch_execnz .LBB17_1487
	s_branch .LBB17_1488
.LBB17_3537:
	s_movk_i32 s4, 0x80
	v_cmp_eq_u16_e32 vcc, s4, v3
	s_mov_b64 s[4:5], -1
                                        ; implicit-def: $sgpr10
	s_and_saveexec_b64 s[8:9], vcc
; %bb.3538:
	s_mov_b32 s10, 0x7f800001
	s_xor_b64 s[4:5], exec, -1
; %bb.3539:
	s_or_b64 exec, exec, s[8:9]
	s_and_b64 s[4:5], s[4:5], exec
                                        ; implicit-def: $vgpr3
	s_or_saveexec_b64 s[6:7], s[6:7]
	v_mov_b32_e32 v2, s10
	s_xor_b64 exec, exec, s[6:7]
	s_cbranch_execz .LBB17_1490
.LBB17_3540:
	v_cmp_ne_u16_e32 vcc, 0, v3
	s_andn2_b64 s[4:5], s[4:5], exec
	s_and_b64 s[8:9], vcc, exec
	v_mov_b32_e32 v2, 0
	s_or_b64 s[4:5], s[4:5], s[8:9]
	s_or_b64 exec, exec, s[6:7]
	s_and_saveexec_b64 s[6:7], s[4:5]
	s_cbranch_execnz .LBB17_1491
	s_branch .LBB17_1492
.LBB17_3541:
	s_movk_i32 s4, 0x80
	v_cmp_eq_u16_e32 vcc, s4, v3
	s_mov_b64 s[4:5], -1
                                        ; implicit-def: $sgpr10
	s_and_saveexec_b64 s[8:9], vcc
; %bb.3542:
	s_mov_b32 s10, 0x7f800001
	s_xor_b64 s[4:5], exec, -1
; %bb.3543:
	s_or_b64 exec, exec, s[8:9]
	s_and_b64 s[4:5], s[4:5], exec
                                        ; implicit-def: $vgpr3
	s_or_saveexec_b64 s[6:7], s[6:7]
	v_mov_b32_e32 v6, s10
	s_xor_b64 exec, exec, s[6:7]
	s_cbranch_execz .LBB17_1494
.LBB17_3544:
	v_cmp_ne_u16_e32 vcc, 0, v3
	s_andn2_b64 s[4:5], s[4:5], exec
	s_and_b64 s[8:9], vcc, exec
	v_mov_b32_e32 v6, 0
	s_or_b64 s[4:5], s[4:5], s[8:9]
	s_or_b64 exec, exec, s[6:7]
	s_and_saveexec_b64 s[6:7], s[4:5]
	s_cbranch_execnz .LBB17_1495
	s_branch .LBB17_1496
.LBB17_3545:
	s_movk_i32 s4, 0x80
	v_cmp_eq_u16_sdwa s[12:13], v8, s4 src0_sel:BYTE_3 src1_sel:DWORD
	s_mov_b64 s[4:5], -1
                                        ; implicit-def: $sgpr10
	s_and_saveexec_b64 s[8:9], s[12:13]
; %bb.3546:
	s_mov_b32 s10, 0x7f800001
	s_xor_b64 s[4:5], exec, -1
; %bb.3547:
	s_or_b64 exec, exec, s[8:9]
	s_and_b64 s[4:5], s[4:5], exec
	s_or_saveexec_b64 s[6:7], s[6:7]
	v_mov_b32_e32 v2, s10
	s_xor_b64 exec, exec, s[6:7]
	s_cbranch_execz .LBB17_1498
.LBB17_3548:
	v_mov_b32_e32 v2, 0
	v_cmp_ne_u16_sdwa s[8:9], v8, v2 src0_sel:BYTE_3 src1_sel:DWORD
	s_andn2_b64 s[4:5], s[4:5], exec
	s_and_b64 s[8:9], s[8:9], exec
	s_or_b64 s[4:5], s[4:5], s[8:9]
	s_or_b64 exec, exec, s[6:7]
	s_and_saveexec_b64 s[6:7], s[4:5]
	s_cbranch_execnz .LBB17_1499
	s_branch .LBB17_1500
.LBB17_3549:
	s_movk_i32 s4, 0x80
	v_cmp_eq_u16_sdwa s[12:13], v4, s4 src0_sel:BYTE_3 src1_sel:DWORD
	s_mov_b64 s[4:5], -1
                                        ; implicit-def: $sgpr10
	s_and_saveexec_b64 s[8:9], s[12:13]
; %bb.3550:
	s_mov_b32 s10, 0x7f800001
	s_xor_b64 s[4:5], exec, -1
; %bb.3551:
	s_or_b64 exec, exec, s[8:9]
	s_and_b64 s[4:5], s[4:5], exec
	s_or_saveexec_b64 s[6:7], s[6:7]
	v_mov_b32_e32 v3, s10
	s_xor_b64 exec, exec, s[6:7]
	s_cbranch_execz .LBB17_1502
.LBB17_3552:
	v_mov_b32_e32 v3, 0
	v_cmp_ne_u16_sdwa s[8:9], v4, v3 src0_sel:BYTE_3 src1_sel:DWORD
	s_andn2_b64 s[4:5], s[4:5], exec
	s_and_b64 s[8:9], s[8:9], exec
	s_or_b64 s[4:5], s[4:5], s[8:9]
	s_or_b64 exec, exec, s[6:7]
	s_and_saveexec_b64 s[6:7], s[4:5]
	s_cbranch_execnz .LBB17_1503
	s_branch .LBB17_1504
.LBB17_3553:
	s_movk_i32 s4, 0x80
	v_cmp_eq_u16_sdwa s[12:13], v9, s4 src0_sel:BYTE_0 src1_sel:DWORD
	s_mov_b64 s[4:5], -1
                                        ; implicit-def: $sgpr10
	s_and_saveexec_b64 s[8:9], s[12:13]
; %bb.3554:
	s_mov_b32 s10, 0x7f800001
	s_xor_b64 s[4:5], exec, -1
; %bb.3555:
	s_or_b64 exec, exec, s[8:9]
	s_and_b64 s[4:5], s[4:5], exec
	s_or_saveexec_b64 s[6:7], s[6:7]
	v_mov_b32_e32 v2, s10
	s_xor_b64 exec, exec, s[6:7]
	s_cbranch_execz .LBB17_1506
.LBB17_3556:
	v_mov_b32_e32 v2, 0
	v_cmp_ne_u16_sdwa s[8:9], v9, v2 src0_sel:BYTE_0 src1_sel:DWORD
	s_andn2_b64 s[4:5], s[4:5], exec
	s_and_b64 s[8:9], s[8:9], exec
	s_or_b64 s[4:5], s[4:5], s[8:9]
	s_or_b64 exec, exec, s[6:7]
	s_and_saveexec_b64 s[6:7], s[4:5]
	s_cbranch_execnz .LBB17_1507
	s_branch .LBB17_1508
.LBB17_3557:
	s_movk_i32 s4, 0x80
	v_cmp_eq_u16_sdwa s[12:13], v5, s4 src0_sel:BYTE_0 src1_sel:DWORD
	s_mov_b64 s[4:5], -1
                                        ; implicit-def: $sgpr10
	s_and_saveexec_b64 s[8:9], s[12:13]
; %bb.3558:
	s_mov_b32 s10, 0x7f800001
	s_xor_b64 s[4:5], exec, -1
; %bb.3559:
	s_or_b64 exec, exec, s[8:9]
	s_and_b64 s[4:5], s[4:5], exec
	s_or_saveexec_b64 s[6:7], s[6:7]
	v_mov_b32_e32 v3, s10
	s_xor_b64 exec, exec, s[6:7]
	s_cbranch_execz .LBB17_1510
.LBB17_3560:
	v_mov_b32_e32 v3, 0
	v_cmp_ne_u16_sdwa s[8:9], v5, v3 src0_sel:BYTE_0 src1_sel:DWORD
	s_andn2_b64 s[4:5], s[4:5], exec
	s_and_b64 s[8:9], s[8:9], exec
	s_or_b64 s[4:5], s[4:5], s[8:9]
	s_or_b64 exec, exec, s[6:7]
	s_and_saveexec_b64 s[6:7], s[4:5]
	s_cbranch_execnz .LBB17_1511
	s_branch .LBB17_1512
.LBB17_3561:
	s_movk_i32 s4, 0x80
	v_cmp_eq_u16_sdwa s[12:13], v3, s4 src0_sel:BYTE_0 src1_sel:DWORD
	s_mov_b64 s[4:5], -1
                                        ; implicit-def: $sgpr10
	s_and_saveexec_b64 s[8:9], s[12:13]
; %bb.3562:
	s_mov_b32 s10, 0x7f800001
	s_xor_b64 s[4:5], exec, -1
; %bb.3563:
	s_or_b64 exec, exec, s[8:9]
	s_and_b64 s[4:5], s[4:5], exec
	s_or_saveexec_b64 s[6:7], s[6:7]
	v_mov_b32_e32 v2, s10
	s_xor_b64 exec, exec, s[6:7]
	s_cbranch_execz .LBB17_1514
.LBB17_3564:
	v_mov_b32_e32 v2, 0
	v_cmp_ne_u16_sdwa s[8:9], v3, v2 src0_sel:BYTE_0 src1_sel:DWORD
	s_andn2_b64 s[4:5], s[4:5], exec
	s_and_b64 s[8:9], s[8:9], exec
	s_or_b64 s[4:5], s[4:5], s[8:9]
	s_or_b64 exec, exec, s[6:7]
	s_and_saveexec_b64 s[6:7], s[4:5]
	s_cbranch_execnz .LBB17_1515
	s_branch .LBB17_1516
.LBB17_3565:
	s_movk_i32 s4, 0x80
	v_cmp_eq_u16_sdwa s[12:13], v3, s4 src0_sel:BYTE_0 src1_sel:DWORD
	s_mov_b64 s[4:5], -1
                                        ; implicit-def: $sgpr10
	s_and_saveexec_b64 s[8:9], s[12:13]
; %bb.3566:
	s_mov_b32 s10, 0x7f800001
	s_xor_b64 s[4:5], exec, -1
; %bb.3567:
	s_or_b64 exec, exec, s[8:9]
	s_and_b64 s[4:5], s[4:5], exec
	s_or_saveexec_b64 s[6:7], s[6:7]
	v_mov_b32_e32 v4, s10
	s_xor_b64 exec, exec, s[6:7]
	s_cbranch_execz .LBB17_1518
.LBB17_3568:
	v_mov_b32_e32 v4, 0
	v_cmp_ne_u16_sdwa s[8:9], v3, v4 src0_sel:BYTE_0 src1_sel:DWORD
	s_andn2_b64 s[4:5], s[4:5], exec
	s_and_b64 s[8:9], s[8:9], exec
	s_or_b64 s[4:5], s[4:5], s[8:9]
	s_or_b64 exec, exec, s[6:7]
	s_and_saveexec_b64 s[6:7], s[4:5]
	s_cbranch_execnz .LBB17_1519
	s_branch .LBB17_1520
.LBB17_3569:
	s_movk_i32 s4, 0x80
	v_cmp_eq_u16_e32 vcc, s4, v3
	s_mov_b64 s[4:5], -1
                                        ; implicit-def: $sgpr10
	s_and_saveexec_b64 s[8:9], vcc
; %bb.3570:
	s_mov_b32 s10, 0x7f800001
	s_xor_b64 s[4:5], exec, -1
; %bb.3571:
	s_or_b64 exec, exec, s[8:9]
	s_and_b64 s[4:5], s[4:5], exec
                                        ; implicit-def: $vgpr3
	s_or_saveexec_b64 s[6:7], s[6:7]
	v_mov_b32_e32 v2, s10
	s_xor_b64 exec, exec, s[6:7]
	s_cbranch_execz .LBB17_1522
.LBB17_3572:
	v_cmp_ne_u16_e32 vcc, 0, v3
	s_andn2_b64 s[4:5], s[4:5], exec
	s_and_b64 s[8:9], vcc, exec
	v_mov_b32_e32 v2, 0
	s_or_b64 s[4:5], s[4:5], s[8:9]
	s_or_b64 exec, exec, s[6:7]
	s_and_saveexec_b64 s[6:7], s[4:5]
	s_cbranch_execnz .LBB17_1523
	s_branch .LBB17_1524
.LBB17_3573:
	s_movk_i32 s4, 0x80
	v_cmp_eq_u16_e32 vcc, s4, v3
	s_mov_b64 s[4:5], -1
                                        ; implicit-def: $sgpr10
	s_and_saveexec_b64 s[8:9], vcc
; %bb.3574:
	s_mov_b32 s10, 0x7f800001
	s_xor_b64 s[4:5], exec, -1
; %bb.3575:
	s_or_b64 exec, exec, s[8:9]
	s_and_b64 s[4:5], s[4:5], exec
                                        ; implicit-def: $vgpr3
	s_or_saveexec_b64 s[6:7], s[6:7]
	v_mov_b32_e32 v4, s10
	s_xor_b64 exec, exec, s[6:7]
	s_cbranch_execz .LBB17_1526
.LBB17_3576:
	v_cmp_ne_u16_e32 vcc, 0, v3
	s_andn2_b64 s[4:5], s[4:5], exec
	s_and_b64 s[8:9], vcc, exec
	v_mov_b32_e32 v4, 0
	s_or_b64 s[4:5], s[4:5], s[8:9]
	s_or_b64 exec, exec, s[6:7]
	s_and_saveexec_b64 s[6:7], s[4:5]
	s_cbranch_execnz .LBB17_1527
	s_branch .LBB17_1528
.LBB17_3577:
	s_movk_i32 s4, 0x80
	v_cmp_eq_u16_sdwa s[12:13], v9, s4 src0_sel:BYTE_3 src1_sel:DWORD
	s_mov_b64 s[4:5], -1
                                        ; implicit-def: $sgpr10
	s_and_saveexec_b64 s[8:9], s[12:13]
; %bb.3578:
	s_mov_b32 s10, 0x7f800001
	s_xor_b64 s[4:5], exec, -1
; %bb.3579:
	s_or_b64 exec, exec, s[8:9]
	s_and_b64 s[4:5], s[4:5], exec
	s_or_saveexec_b64 s[6:7], s[6:7]
	v_mov_b32_e32 v2, s10
	s_xor_b64 exec, exec, s[6:7]
	s_cbranch_execz .LBB17_1530
.LBB17_3580:
	v_mov_b32_e32 v2, 0
	v_cmp_ne_u16_sdwa s[8:9], v9, v2 src0_sel:BYTE_3 src1_sel:DWORD
	s_andn2_b64 s[4:5], s[4:5], exec
	s_and_b64 s[8:9], s[8:9], exec
	s_or_b64 s[4:5], s[4:5], s[8:9]
	s_or_b64 exec, exec, s[6:7]
	s_and_saveexec_b64 s[6:7], s[4:5]
	s_cbranch_execnz .LBB17_1531
	s_branch .LBB17_1532
.LBB17_3581:
	s_movk_i32 s4, 0x80
	v_cmp_eq_u16_sdwa s[12:13], v5, s4 src0_sel:BYTE_3 src1_sel:DWORD
	s_mov_b64 s[4:5], -1
                                        ; implicit-def: $sgpr10
	s_and_saveexec_b64 s[8:9], s[12:13]
; %bb.3582:
	s_mov_b32 s10, 0x7f800001
	s_xor_b64 s[4:5], exec, -1
; %bb.3583:
	s_or_b64 exec, exec, s[8:9]
	s_and_b64 s[4:5], s[4:5], exec
	s_or_saveexec_b64 s[6:7], s[6:7]
	v_mov_b32_e32 v3, s10
	s_xor_b64 exec, exec, s[6:7]
	s_cbranch_execz .LBB17_1534
.LBB17_3584:
	v_mov_b32_e32 v3, 0
	v_cmp_ne_u16_sdwa s[8:9], v5, v3 src0_sel:BYTE_3 src1_sel:DWORD
	s_andn2_b64 s[4:5], s[4:5], exec
	s_and_b64 s[8:9], s[8:9], exec
	s_or_b64 s[4:5], s[4:5], s[8:9]
	s_or_b64 exec, exec, s[6:7]
	s_and_saveexec_b64 s[6:7], s[4:5]
	s_cbranch_execnz .LBB17_1535
	s_branch .LBB17_1536
.LBB17_3585:
	s_movk_i32 s4, 0x80
	v_cmp_eq_u16_sdwa s[12:13], v14, s4 src0_sel:BYTE_0 src1_sel:DWORD
	s_mov_b64 s[4:5], -1
                                        ; implicit-def: $sgpr10
	s_and_saveexec_b64 s[8:9], s[12:13]
; %bb.3586:
	s_mov_b32 s10, 0x7f800001
	s_xor_b64 s[4:5], exec, -1
; %bb.3587:
	s_or_b64 exec, exec, s[8:9]
	s_and_b64 s[4:5], s[4:5], exec
	s_or_saveexec_b64 s[6:7], s[6:7]
	v_mov_b32_e32 v20, s10
	s_xor_b64 exec, exec, s[6:7]
	s_cbranch_execz .LBB17_1538
.LBB17_3588:
	v_mov_b32_e32 v20, 0
	v_cmp_ne_u16_sdwa s[8:9], v14, v20 src0_sel:BYTE_0 src1_sel:DWORD
	s_andn2_b64 s[4:5], s[4:5], exec
	s_and_b64 s[8:9], s[8:9], exec
	s_or_b64 s[4:5], s[4:5], s[8:9]
	s_or_b64 exec, exec, s[6:7]
	s_and_saveexec_b64 s[6:7], s[4:5]
	s_cbranch_execnz .LBB17_1539
	s_branch .LBB17_1540
.LBB17_3589:
	s_movk_i32 s4, 0x80
	v_cmp_eq_u16_sdwa s[12:13], v10, s4 src0_sel:BYTE_0 src1_sel:DWORD
	s_mov_b64 s[4:5], -1
                                        ; implicit-def: $sgpr10
	s_and_saveexec_b64 s[8:9], s[12:13]
; %bb.3590:
	s_mov_b32 s10, 0x7f800001
	s_xor_b64 s[4:5], exec, -1
; %bb.3591:
	s_or_b64 exec, exec, s[8:9]
	s_and_b64 s[4:5], s[4:5], exec
	s_or_saveexec_b64 s[6:7], s[6:7]
	v_mov_b32_e32 v21, s10
	s_xor_b64 exec, exec, s[6:7]
	s_cbranch_execz .LBB17_1542
.LBB17_3592:
	v_mov_b32_e32 v21, 0
	v_cmp_ne_u16_sdwa s[8:9], v10, v21 src0_sel:BYTE_0 src1_sel:DWORD
	s_andn2_b64 s[4:5], s[4:5], exec
	s_and_b64 s[8:9], s[8:9], exec
	s_or_b64 s[4:5], s[4:5], s[8:9]
	s_or_b64 exec, exec, s[6:7]
	s_and_saveexec_b64 s[6:7], s[4:5]
	s_cbranch_execnz .LBB17_1543
	s_branch .LBB17_1544
.LBB17_3593:
	s_movk_i32 s4, 0x80
	v_cmp_eq_u16_sdwa s[12:13], v21, s4 src0_sel:BYTE_0 src1_sel:DWORD
	s_mov_b64 s[4:5], -1
                                        ; implicit-def: $sgpr10
	s_and_saveexec_b64 s[8:9], s[12:13]
; %bb.3594:
	s_mov_b32 s10, 0x7f800001
	s_xor_b64 s[4:5], exec, -1
; %bb.3595:
	s_or_b64 exec, exec, s[8:9]
	s_and_b64 s[4:5], s[4:5], exec
	s_or_saveexec_b64 s[6:7], s[6:7]
	v_mov_b32_e32 v20, s10
	s_xor_b64 exec, exec, s[6:7]
	s_cbranch_execz .LBB17_1546
.LBB17_3596:
	v_mov_b32_e32 v20, 0
	v_cmp_ne_u16_sdwa s[8:9], v21, v20 src0_sel:BYTE_0 src1_sel:DWORD
	s_andn2_b64 s[4:5], s[4:5], exec
	s_and_b64 s[8:9], s[8:9], exec
	s_or_b64 s[4:5], s[4:5], s[8:9]
	s_or_b64 exec, exec, s[6:7]
	s_and_saveexec_b64 s[6:7], s[4:5]
	s_cbranch_execnz .LBB17_1547
	s_branch .LBB17_1548
.LBB17_3597:
	s_movk_i32 s4, 0x80
	v_cmp_eq_u16_sdwa s[12:13], v21, s4 src0_sel:BYTE_0 src1_sel:DWORD
	s_mov_b64 s[4:5], -1
                                        ; implicit-def: $sgpr10
	s_and_saveexec_b64 s[8:9], s[12:13]
; %bb.3598:
	s_mov_b32 s10, 0x7f800001
	s_xor_b64 s[4:5], exec, -1
; %bb.3599:
	s_or_b64 exec, exec, s[8:9]
	s_and_b64 s[4:5], s[4:5], exec
	s_or_saveexec_b64 s[6:7], s[6:7]
	v_mov_b32_e32 v22, s10
	s_xor_b64 exec, exec, s[6:7]
	s_cbranch_execz .LBB17_1550
.LBB17_3600:
	v_mov_b32_e32 v22, 0
	v_cmp_ne_u16_sdwa s[8:9], v21, v22 src0_sel:BYTE_0 src1_sel:DWORD
	s_andn2_b64 s[4:5], s[4:5], exec
	s_and_b64 s[8:9], s[8:9], exec
	s_or_b64 s[4:5], s[4:5], s[8:9]
	s_or_b64 exec, exec, s[6:7]
	s_and_saveexec_b64 s[6:7], s[4:5]
	s_cbranch_execnz .LBB17_1551
	s_branch .LBB17_1552
.LBB17_3601:
	s_movk_i32 s4, 0x80
	v_cmp_eq_u16_e32 vcc, s4, v21
	s_mov_b64 s[4:5], -1
                                        ; implicit-def: $sgpr10
	s_and_saveexec_b64 s[8:9], vcc
; %bb.3602:
	s_mov_b32 s10, 0x7f800001
	s_xor_b64 s[4:5], exec, -1
; %bb.3603:
	s_or_b64 exec, exec, s[8:9]
	s_and_b64 s[4:5], s[4:5], exec
                                        ; implicit-def: $vgpr21
	s_or_saveexec_b64 s[6:7], s[6:7]
	v_mov_b32_e32 v20, s10
	s_xor_b64 exec, exec, s[6:7]
	s_cbranch_execz .LBB17_1554
.LBB17_3604:
	v_cmp_ne_u16_e32 vcc, 0, v21
	s_andn2_b64 s[4:5], s[4:5], exec
	s_and_b64 s[8:9], vcc, exec
	v_mov_b32_e32 v20, 0
	s_or_b64 s[4:5], s[4:5], s[8:9]
	s_or_b64 exec, exec, s[6:7]
	s_and_saveexec_b64 s[6:7], s[4:5]
	s_cbranch_execnz .LBB17_1555
	s_branch .LBB17_1556
.LBB17_3605:
	s_movk_i32 s4, 0x80
	v_cmp_eq_u16_e32 vcc, s4, v21
	s_mov_b64 s[4:5], -1
                                        ; implicit-def: $sgpr10
	s_and_saveexec_b64 s[8:9], vcc
; %bb.3606:
	s_mov_b32 s10, 0x7f800001
	s_xor_b64 s[4:5], exec, -1
; %bb.3607:
	s_or_b64 exec, exec, s[8:9]
	s_and_b64 s[4:5], s[4:5], exec
                                        ; implicit-def: $vgpr21
	s_or_saveexec_b64 s[6:7], s[6:7]
	v_mov_b32_e32 v22, s10
	s_xor_b64 exec, exec, s[6:7]
	s_cbranch_execz .LBB17_1558
.LBB17_3608:
	v_cmp_ne_u16_e32 vcc, 0, v21
	s_andn2_b64 s[4:5], s[4:5], exec
	s_and_b64 s[8:9], vcc, exec
	v_mov_b32_e32 v22, 0
	s_or_b64 s[4:5], s[4:5], s[8:9]
	s_or_b64 exec, exec, s[6:7]
	s_and_saveexec_b64 s[6:7], s[4:5]
	s_cbranch_execnz .LBB17_1559
	s_branch .LBB17_1560
.LBB17_3609:
	s_movk_i32 s4, 0x80
	v_cmp_eq_u16_sdwa s[12:13], v14, s4 src0_sel:BYTE_3 src1_sel:DWORD
	s_mov_b64 s[4:5], -1
                                        ; implicit-def: $sgpr10
	s_and_saveexec_b64 s[8:9], s[12:13]
; %bb.3610:
	s_mov_b32 s10, 0x7f800001
	s_xor_b64 s[4:5], exec, -1
; %bb.3611:
	s_or_b64 exec, exec, s[8:9]
	s_and_b64 s[4:5], s[4:5], exec
	s_or_saveexec_b64 s[6:7], s[6:7]
	v_mov_b32_e32 v20, s10
	s_xor_b64 exec, exec, s[6:7]
	s_cbranch_execz .LBB17_1562
.LBB17_3612:
	v_mov_b32_e32 v20, 0
	v_cmp_ne_u16_sdwa s[8:9], v14, v20 src0_sel:BYTE_3 src1_sel:DWORD
	s_andn2_b64 s[4:5], s[4:5], exec
	s_and_b64 s[8:9], s[8:9], exec
	s_or_b64 s[4:5], s[4:5], s[8:9]
	s_or_b64 exec, exec, s[6:7]
	s_and_saveexec_b64 s[6:7], s[4:5]
	s_cbranch_execnz .LBB17_1563
	s_branch .LBB17_1564
.LBB17_3613:
	s_movk_i32 s4, 0x80
	v_cmp_eq_u16_sdwa s[12:13], v10, s4 src0_sel:BYTE_3 src1_sel:DWORD
	s_mov_b64 s[4:5], -1
                                        ; implicit-def: $sgpr10
	s_and_saveexec_b64 s[8:9], s[12:13]
; %bb.3614:
	s_mov_b32 s10, 0x7f800001
	s_xor_b64 s[4:5], exec, -1
; %bb.3615:
	s_or_b64 exec, exec, s[8:9]
	s_and_b64 s[4:5], s[4:5], exec
	s_or_saveexec_b64 s[6:7], s[6:7]
	v_mov_b32_e32 v14, s10
	s_xor_b64 exec, exec, s[6:7]
	s_cbranch_execz .LBB17_1566
.LBB17_3616:
	v_mov_b32_e32 v14, 0
	v_cmp_ne_u16_sdwa s[8:9], v10, v14 src0_sel:BYTE_3 src1_sel:DWORD
	s_andn2_b64 s[4:5], s[4:5], exec
	s_and_b64 s[8:9], s[8:9], exec
	s_or_b64 s[4:5], s[4:5], s[8:9]
	s_or_b64 exec, exec, s[6:7]
	s_and_saveexec_b64 s[6:7], s[4:5]
	s_cbranch_execnz .LBB17_1567
	s_branch .LBB17_1568
.LBB17_3617:
	s_movk_i32 s4, 0x80
	v_cmp_eq_u16_sdwa s[12:13], v15, s4 src0_sel:BYTE_0 src1_sel:DWORD
	s_mov_b64 s[4:5], -1
                                        ; implicit-def: $sgpr10
	s_and_saveexec_b64 s[8:9], s[12:13]
; %bb.3618:
	s_mov_b32 s10, 0x7f800001
	s_xor_b64 s[4:5], exec, -1
; %bb.3619:
	s_or_b64 exec, exec, s[8:9]
	s_and_b64 s[4:5], s[4:5], exec
	s_or_saveexec_b64 s[6:7], s[6:7]
	v_mov_b32_e32 v10, s10
	s_xor_b64 exec, exec, s[6:7]
	s_cbranch_execz .LBB17_1570
.LBB17_3620:
	v_mov_b32_e32 v10, 0
	v_cmp_ne_u16_sdwa s[8:9], v15, v10 src0_sel:BYTE_0 src1_sel:DWORD
	s_andn2_b64 s[4:5], s[4:5], exec
	s_and_b64 s[8:9], s[8:9], exec
	s_or_b64 s[4:5], s[4:5], s[8:9]
	s_or_b64 exec, exec, s[6:7]
	s_and_saveexec_b64 s[6:7], s[4:5]
	s_cbranch_execnz .LBB17_1571
	s_branch .LBB17_1572
.LBB17_3621:
	s_movk_i32 s4, 0x80
	v_cmp_eq_u16_sdwa s[12:13], v11, s4 src0_sel:BYTE_0 src1_sel:DWORD
	s_mov_b64 s[4:5], -1
                                        ; implicit-def: $sgpr10
	s_and_saveexec_b64 s[8:9], s[12:13]
; %bb.3622:
	s_mov_b32 s10, 0x7f800001
	s_xor_b64 s[4:5], exec, -1
; %bb.3623:
	s_or_b64 exec, exec, s[8:9]
	s_and_b64 s[4:5], s[4:5], exec
	s_or_saveexec_b64 s[6:7], s[6:7]
	v_mov_b32_e32 v14, s10
	s_xor_b64 exec, exec, s[6:7]
	s_cbranch_execz .LBB17_1574
.LBB17_3624:
	v_mov_b32_e32 v14, 0
	v_cmp_ne_u16_sdwa s[8:9], v11, v14 src0_sel:BYTE_0 src1_sel:DWORD
	s_andn2_b64 s[4:5], s[4:5], exec
	s_and_b64 s[8:9], s[8:9], exec
	s_or_b64 s[4:5], s[4:5], s[8:9]
	s_or_b64 exec, exec, s[6:7]
	s_and_saveexec_b64 s[6:7], s[4:5]
	s_cbranch_execnz .LBB17_1575
	s_branch .LBB17_1576
.LBB17_3625:
	s_movk_i32 s4, 0x80
	v_cmp_eq_u16_sdwa s[12:13], v14, s4 src0_sel:BYTE_0 src1_sel:DWORD
	s_mov_b64 s[4:5], -1
                                        ; implicit-def: $sgpr10
	s_and_saveexec_b64 s[8:9], s[12:13]
; %bb.3626:
	s_mov_b32 s10, 0x7f800001
	s_xor_b64 s[4:5], exec, -1
; %bb.3627:
	s_or_b64 exec, exec, s[8:9]
	s_and_b64 s[4:5], s[4:5], exec
	s_or_saveexec_b64 s[6:7], s[6:7]
	v_mov_b32_e32 v10, s10
	s_xor_b64 exec, exec, s[6:7]
	s_cbranch_execz .LBB17_1578
.LBB17_3628:
	v_mov_b32_e32 v10, 0
	v_cmp_ne_u16_sdwa s[8:9], v14, v10 src0_sel:BYTE_0 src1_sel:DWORD
	s_andn2_b64 s[4:5], s[4:5], exec
	s_and_b64 s[8:9], s[8:9], exec
	s_or_b64 s[4:5], s[4:5], s[8:9]
	s_or_b64 exec, exec, s[6:7]
	s_and_saveexec_b64 s[6:7], s[4:5]
	s_cbranch_execnz .LBB17_1579
	s_branch .LBB17_1580
.LBB17_3629:
	s_movk_i32 s4, 0x80
	v_cmp_eq_u16_sdwa s[12:13], v14, s4 src0_sel:BYTE_0 src1_sel:DWORD
	s_mov_b64 s[4:5], -1
                                        ; implicit-def: $sgpr10
	s_and_saveexec_b64 s[8:9], s[12:13]
; %bb.3630:
	s_mov_b32 s10, 0x7f800001
	s_xor_b64 s[4:5], exec, -1
; %bb.3631:
	s_or_b64 exec, exec, s[8:9]
	s_and_b64 s[4:5], s[4:5], exec
	s_or_saveexec_b64 s[6:7], s[6:7]
	v_mov_b32_e32 v20, s10
	s_xor_b64 exec, exec, s[6:7]
	s_cbranch_execz .LBB17_1582
.LBB17_3632:
	v_mov_b32_e32 v20, 0
	v_cmp_ne_u16_sdwa s[8:9], v14, v20 src0_sel:BYTE_0 src1_sel:DWORD
	s_andn2_b64 s[4:5], s[4:5], exec
	s_and_b64 s[8:9], s[8:9], exec
	s_or_b64 s[4:5], s[4:5], s[8:9]
	s_or_b64 exec, exec, s[6:7]
	s_and_saveexec_b64 s[6:7], s[4:5]
	s_cbranch_execnz .LBB17_1583
	s_branch .LBB17_1584
.LBB17_3633:
	s_movk_i32 s4, 0x80
	v_cmp_eq_u16_e32 vcc, s4, v14
	s_mov_b64 s[4:5], -1
                                        ; implicit-def: $sgpr10
	s_and_saveexec_b64 s[8:9], vcc
; %bb.3634:
	s_mov_b32 s10, 0x7f800001
	s_xor_b64 s[4:5], exec, -1
; %bb.3635:
	s_or_b64 exec, exec, s[8:9]
	s_and_b64 s[4:5], s[4:5], exec
                                        ; implicit-def: $vgpr14
	s_or_saveexec_b64 s[6:7], s[6:7]
	v_mov_b32_e32 v10, s10
	s_xor_b64 exec, exec, s[6:7]
	s_cbranch_execz .LBB17_1586
.LBB17_3636:
	v_cmp_ne_u16_e32 vcc, 0, v14
	s_andn2_b64 s[4:5], s[4:5], exec
	s_and_b64 s[8:9], vcc, exec
	v_mov_b32_e32 v10, 0
	s_or_b64 s[4:5], s[4:5], s[8:9]
	s_or_b64 exec, exec, s[6:7]
	s_and_saveexec_b64 s[6:7], s[4:5]
	s_cbranch_execnz .LBB17_1587
	s_branch .LBB17_1588
.LBB17_3637:
	s_movk_i32 s4, 0x80
	v_cmp_eq_u16_e32 vcc, s4, v14
	s_mov_b64 s[4:5], -1
                                        ; implicit-def: $sgpr10
	s_and_saveexec_b64 s[8:9], vcc
; %bb.3638:
	s_mov_b32 s10, 0x7f800001
	s_xor_b64 s[4:5], exec, -1
; %bb.3639:
	s_or_b64 exec, exec, s[8:9]
	s_and_b64 s[4:5], s[4:5], exec
                                        ; implicit-def: $vgpr14
	s_or_saveexec_b64 s[6:7], s[6:7]
	v_mov_b32_e32 v20, s10
	s_xor_b64 exec, exec, s[6:7]
	s_cbranch_execz .LBB17_1590
.LBB17_3640:
	v_cmp_ne_u16_e32 vcc, 0, v14
	s_andn2_b64 s[4:5], s[4:5], exec
	s_and_b64 s[8:9], vcc, exec
	v_mov_b32_e32 v20, 0
	s_or_b64 s[4:5], s[4:5], s[8:9]
	s_or_b64 exec, exec, s[6:7]
	s_and_saveexec_b64 s[6:7], s[4:5]
	s_cbranch_execnz .LBB17_1591
	s_branch .LBB17_1592
.LBB17_3641:
	s_movk_i32 s4, 0x80
	v_cmp_eq_u16_sdwa s[12:13], v15, s4 src0_sel:BYTE_3 src1_sel:DWORD
	s_mov_b64 s[4:5], -1
                                        ; implicit-def: $sgpr10
	s_and_saveexec_b64 s[8:9], s[12:13]
; %bb.3642:
	s_mov_b32 s10, 0x7f800001
	s_xor_b64 s[4:5], exec, -1
; %bb.3643:
	s_or_b64 exec, exec, s[8:9]
	s_and_b64 s[4:5], s[4:5], exec
	s_or_saveexec_b64 s[6:7], s[6:7]
	v_mov_b32_e32 v10, s10
	s_xor_b64 exec, exec, s[6:7]
	s_cbranch_execz .LBB17_1594
.LBB17_3644:
	v_mov_b32_e32 v10, 0
	v_cmp_ne_u16_sdwa s[8:9], v15, v10 src0_sel:BYTE_3 src1_sel:DWORD
	s_andn2_b64 s[4:5], s[4:5], exec
	s_and_b64 s[8:9], s[8:9], exec
	s_or_b64 s[4:5], s[4:5], s[8:9]
	s_or_b64 exec, exec, s[6:7]
	s_and_saveexec_b64 s[6:7], s[4:5]
	s_cbranch_execnz .LBB17_1595
	s_branch .LBB17_1596
.LBB17_3645:
	s_movk_i32 s4, 0x80
	v_cmp_eq_u16_sdwa s[12:13], v11, s4 src0_sel:BYTE_3 src1_sel:DWORD
	s_mov_b64 s[4:5], -1
                                        ; implicit-def: $sgpr10
	s_and_saveexec_b64 s[8:9], s[12:13]
; %bb.3646:
	s_mov_b32 s10, 0x7f800001
	s_xor_b64 s[4:5], exec, -1
; %bb.3647:
	s_or_b64 exec, exec, s[8:9]
	s_and_b64 s[4:5], s[4:5], exec
	s_or_saveexec_b64 s[6:7], s[6:7]
	v_mov_b32_e32 v14, s10
	s_xor_b64 exec, exec, s[6:7]
	s_cbranch_execz .LBB17_1598
.LBB17_3648:
	v_mov_b32_e32 v14, 0
	v_cmp_ne_u16_sdwa s[8:9], v11, v14 src0_sel:BYTE_3 src1_sel:DWORD
	s_andn2_b64 s[4:5], s[4:5], exec
	s_and_b64 s[8:9], s[8:9], exec
	s_or_b64 s[4:5], s[4:5], s[8:9]
	s_or_b64 exec, exec, s[6:7]
	s_and_saveexec_b64 s[6:7], s[4:5]
	s_cbranch_execnz .LBB17_1599
	s_branch .LBB17_1600
.LBB17_3649:
	s_movk_i32 s4, 0x80
	v_cmp_eq_u16_sdwa s[12:13], v16, s4 src0_sel:BYTE_0 src1_sel:DWORD
	s_mov_b64 s[4:5], -1
                                        ; implicit-def: $sgpr10
	s_and_saveexec_b64 s[8:9], s[12:13]
; %bb.3650:
	s_mov_b32 s10, 0x7f800001
	s_xor_b64 s[4:5], exec, -1
; %bb.3651:
	s_or_b64 exec, exec, s[8:9]
	s_and_b64 s[4:5], s[4:5], exec
	s_or_saveexec_b64 s[6:7], s[6:7]
	v_mov_b32_e32 v10, s10
	s_xor_b64 exec, exec, s[6:7]
	s_cbranch_execz .LBB17_1602
.LBB17_3652:
	v_mov_b32_e32 v10, 0
	v_cmp_ne_u16_sdwa s[8:9], v16, v10 src0_sel:BYTE_0 src1_sel:DWORD
	s_andn2_b64 s[4:5], s[4:5], exec
	s_and_b64 s[8:9], s[8:9], exec
	s_or_b64 s[4:5], s[4:5], s[8:9]
	s_or_b64 exec, exec, s[6:7]
	s_and_saveexec_b64 s[6:7], s[4:5]
	s_cbranch_execnz .LBB17_1603
	s_branch .LBB17_1604
.LBB17_3653:
	s_movk_i32 s4, 0x80
	v_cmp_eq_u16_sdwa s[12:13], v12, s4 src0_sel:BYTE_0 src1_sel:DWORD
	s_mov_b64 s[4:5], -1
                                        ; implicit-def: $sgpr10
	s_and_saveexec_b64 s[8:9], s[12:13]
; %bb.3654:
	s_mov_b32 s10, 0x7f800001
	s_xor_b64 s[4:5], exec, -1
; %bb.3655:
	s_or_b64 exec, exec, s[8:9]
	s_and_b64 s[4:5], s[4:5], exec
	s_or_saveexec_b64 s[6:7], s[6:7]
	v_mov_b32_e32 v11, s10
	s_xor_b64 exec, exec, s[6:7]
	s_cbranch_execz .LBB17_1606
.LBB17_3656:
	v_mov_b32_e32 v11, 0
	v_cmp_ne_u16_sdwa s[8:9], v12, v11 src0_sel:BYTE_0 src1_sel:DWORD
	s_andn2_b64 s[4:5], s[4:5], exec
	s_and_b64 s[8:9], s[8:9], exec
	s_or_b64 s[4:5], s[4:5], s[8:9]
	s_or_b64 exec, exec, s[6:7]
	s_and_saveexec_b64 s[6:7], s[4:5]
	s_cbranch_execnz .LBB17_1607
	s_branch .LBB17_1608
.LBB17_3657:
	s_movk_i32 s4, 0x80
	v_cmp_eq_u16_sdwa s[12:13], v11, s4 src0_sel:BYTE_0 src1_sel:DWORD
	s_mov_b64 s[4:5], -1
                                        ; implicit-def: $sgpr10
	s_and_saveexec_b64 s[8:9], s[12:13]
; %bb.3658:
	s_mov_b32 s10, 0x7f800001
	s_xor_b64 s[4:5], exec, -1
; %bb.3659:
	s_or_b64 exec, exec, s[8:9]
	s_and_b64 s[4:5], s[4:5], exec
	s_or_saveexec_b64 s[6:7], s[6:7]
	v_mov_b32_e32 v10, s10
	s_xor_b64 exec, exec, s[6:7]
	s_cbranch_execz .LBB17_1610
.LBB17_3660:
	v_mov_b32_e32 v10, 0
	v_cmp_ne_u16_sdwa s[8:9], v11, v10 src0_sel:BYTE_0 src1_sel:DWORD
	s_andn2_b64 s[4:5], s[4:5], exec
	s_and_b64 s[8:9], s[8:9], exec
	s_or_b64 s[4:5], s[4:5], s[8:9]
	s_or_b64 exec, exec, s[6:7]
	s_and_saveexec_b64 s[6:7], s[4:5]
	s_cbranch_execnz .LBB17_1611
	s_branch .LBB17_1612
.LBB17_3661:
	s_movk_i32 s4, 0x80
	v_cmp_eq_u16_sdwa s[12:13], v11, s4 src0_sel:BYTE_0 src1_sel:DWORD
	s_mov_b64 s[4:5], -1
                                        ; implicit-def: $sgpr10
	s_and_saveexec_b64 s[8:9], s[12:13]
; %bb.3662:
	s_mov_b32 s10, 0x7f800001
	s_xor_b64 s[4:5], exec, -1
; %bb.3663:
	s_or_b64 exec, exec, s[8:9]
	s_and_b64 s[4:5], s[4:5], exec
	s_or_saveexec_b64 s[6:7], s[6:7]
	v_mov_b32_e32 v14, s10
	s_xor_b64 exec, exec, s[6:7]
	s_cbranch_execz .LBB17_1614
.LBB17_3664:
	v_mov_b32_e32 v14, 0
	v_cmp_ne_u16_sdwa s[8:9], v11, v14 src0_sel:BYTE_0 src1_sel:DWORD
	s_andn2_b64 s[4:5], s[4:5], exec
	s_and_b64 s[8:9], s[8:9], exec
	s_or_b64 s[4:5], s[4:5], s[8:9]
	s_or_b64 exec, exec, s[6:7]
	s_and_saveexec_b64 s[6:7], s[4:5]
	s_cbranch_execnz .LBB17_1615
	s_branch .LBB17_1616
.LBB17_3665:
	s_movk_i32 s4, 0x80
	v_cmp_eq_u16_e32 vcc, s4, v11
	s_mov_b64 s[4:5], -1
                                        ; implicit-def: $sgpr10
	s_and_saveexec_b64 s[8:9], vcc
; %bb.3666:
	s_mov_b32 s10, 0x7f800001
	s_xor_b64 s[4:5], exec, -1
; %bb.3667:
	s_or_b64 exec, exec, s[8:9]
	s_and_b64 s[4:5], s[4:5], exec
                                        ; implicit-def: $vgpr11
	s_or_saveexec_b64 s[6:7], s[6:7]
	v_mov_b32_e32 v10, s10
	s_xor_b64 exec, exec, s[6:7]
	s_cbranch_execz .LBB17_1618
.LBB17_3668:
	v_cmp_ne_u16_e32 vcc, 0, v11
	s_andn2_b64 s[4:5], s[4:5], exec
	s_and_b64 s[8:9], vcc, exec
	v_mov_b32_e32 v10, 0
	s_or_b64 s[4:5], s[4:5], s[8:9]
	s_or_b64 exec, exec, s[6:7]
	s_and_saveexec_b64 s[6:7], s[4:5]
	s_cbranch_execnz .LBB17_1619
	s_branch .LBB17_1620
.LBB17_3669:
	s_movk_i32 s4, 0x80
	v_cmp_eq_u16_e32 vcc, s4, v11
	s_mov_b64 s[4:5], -1
                                        ; implicit-def: $sgpr10
	s_and_saveexec_b64 s[8:9], vcc
; %bb.3670:
	s_mov_b32 s10, 0x7f800001
	s_xor_b64 s[4:5], exec, -1
; %bb.3671:
	s_or_b64 exec, exec, s[8:9]
	s_and_b64 s[4:5], s[4:5], exec
                                        ; implicit-def: $vgpr11
	s_or_saveexec_b64 s[6:7], s[6:7]
	v_mov_b32_e32 v14, s10
	s_xor_b64 exec, exec, s[6:7]
	s_cbranch_execz .LBB17_1622
.LBB17_3672:
	v_cmp_ne_u16_e32 vcc, 0, v11
	s_andn2_b64 s[4:5], s[4:5], exec
	s_and_b64 s[8:9], vcc, exec
	v_mov_b32_e32 v14, 0
	s_or_b64 s[4:5], s[4:5], s[8:9]
	s_or_b64 exec, exec, s[6:7]
	s_and_saveexec_b64 s[6:7], s[4:5]
	s_cbranch_execnz .LBB17_1623
	s_branch .LBB17_1624
.LBB17_3673:
	s_movk_i32 s4, 0x80
	v_cmp_eq_u16_sdwa s[12:13], v16, s4 src0_sel:BYTE_3 src1_sel:DWORD
	s_mov_b64 s[4:5], -1
                                        ; implicit-def: $sgpr10
	s_and_saveexec_b64 s[8:9], s[12:13]
; %bb.3674:
	s_mov_b32 s10, 0x7f800001
	s_xor_b64 s[4:5], exec, -1
; %bb.3675:
	s_or_b64 exec, exec, s[8:9]
	s_and_b64 s[4:5], s[4:5], exec
	s_or_saveexec_b64 s[6:7], s[6:7]
	v_mov_b32_e32 v10, s10
	s_xor_b64 exec, exec, s[6:7]
	s_cbranch_execz .LBB17_1626
.LBB17_3676:
	v_mov_b32_e32 v10, 0
	v_cmp_ne_u16_sdwa s[8:9], v16, v10 src0_sel:BYTE_3 src1_sel:DWORD
	s_andn2_b64 s[4:5], s[4:5], exec
	s_and_b64 s[8:9], s[8:9], exec
	s_or_b64 s[4:5], s[4:5], s[8:9]
	s_or_b64 exec, exec, s[6:7]
	s_and_saveexec_b64 s[6:7], s[4:5]
	s_cbranch_execnz .LBB17_1627
	s_branch .LBB17_1628
.LBB17_3677:
	s_movk_i32 s4, 0x80
	v_cmp_eq_u16_sdwa s[12:13], v12, s4 src0_sel:BYTE_3 src1_sel:DWORD
	s_mov_b64 s[4:5], -1
                                        ; implicit-def: $sgpr10
	s_and_saveexec_b64 s[8:9], s[12:13]
; %bb.3678:
	s_mov_b32 s10, 0x7f800001
	s_xor_b64 s[4:5], exec, -1
; %bb.3679:
	s_or_b64 exec, exec, s[8:9]
	s_and_b64 s[4:5], s[4:5], exec
	s_or_saveexec_b64 s[6:7], s[6:7]
	v_mov_b32_e32 v11, s10
	s_xor_b64 exec, exec, s[6:7]
	s_cbranch_execz .LBB17_1630
.LBB17_3680:
	v_mov_b32_e32 v11, 0
	v_cmp_ne_u16_sdwa s[8:9], v12, v11 src0_sel:BYTE_3 src1_sel:DWORD
	s_andn2_b64 s[4:5], s[4:5], exec
	s_and_b64 s[8:9], s[8:9], exec
	s_or_b64 s[4:5], s[4:5], s[8:9]
	s_or_b64 exec, exec, s[6:7]
	s_and_saveexec_b64 s[6:7], s[4:5]
	s_cbranch_execnz .LBB17_1631
	s_branch .LBB17_1632
.LBB17_3681:
	s_movk_i32 s4, 0x80
	v_cmp_eq_u16_sdwa s[12:13], v17, s4 src0_sel:BYTE_0 src1_sel:DWORD
	s_mov_b64 s[4:5], -1
                                        ; implicit-def: $sgpr10
	s_and_saveexec_b64 s[8:9], s[12:13]
; %bb.3682:
	s_mov_b32 s10, 0x7f800001
	s_xor_b64 s[4:5], exec, -1
; %bb.3683:
	s_or_b64 exec, exec, s[8:9]
	s_and_b64 s[4:5], s[4:5], exec
	s_or_saveexec_b64 s[6:7], s[6:7]
	v_mov_b32_e32 v10, s10
	s_xor_b64 exec, exec, s[6:7]
	s_cbranch_execz .LBB17_1634
.LBB17_3684:
	v_mov_b32_e32 v10, 0
	v_cmp_ne_u16_sdwa s[8:9], v17, v10 src0_sel:BYTE_0 src1_sel:DWORD
	s_andn2_b64 s[4:5], s[4:5], exec
	s_and_b64 s[8:9], s[8:9], exec
	s_or_b64 s[4:5], s[4:5], s[8:9]
	s_or_b64 exec, exec, s[6:7]
	s_and_saveexec_b64 s[6:7], s[4:5]
	s_cbranch_execnz .LBB17_1635
	s_branch .LBB17_1636
.LBB17_3685:
	s_movk_i32 s4, 0x80
	v_cmp_eq_u16_sdwa s[12:13], v13, s4 src0_sel:BYTE_0 src1_sel:DWORD
	s_mov_b64 s[4:5], -1
                                        ; implicit-def: $sgpr10
	s_and_saveexec_b64 s[8:9], s[12:13]
; %bb.3686:
	s_mov_b32 s10, 0x7f800001
	s_xor_b64 s[4:5], exec, -1
; %bb.3687:
	s_or_b64 exec, exec, s[8:9]
	s_and_b64 s[4:5], s[4:5], exec
	s_or_saveexec_b64 s[6:7], s[6:7]
	v_mov_b32_e32 v11, s10
	s_xor_b64 exec, exec, s[6:7]
	s_cbranch_execz .LBB17_1638
.LBB17_3688:
	v_mov_b32_e32 v11, 0
	v_cmp_ne_u16_sdwa s[8:9], v13, v11 src0_sel:BYTE_0 src1_sel:DWORD
	s_andn2_b64 s[4:5], s[4:5], exec
	s_and_b64 s[8:9], s[8:9], exec
	s_or_b64 s[4:5], s[4:5], s[8:9]
	s_or_b64 exec, exec, s[6:7]
	s_and_saveexec_b64 s[6:7], s[4:5]
	s_cbranch_execnz .LBB17_1639
	s_branch .LBB17_1640
.LBB17_3689:
	s_movk_i32 s4, 0x80
	v_cmp_eq_u16_sdwa s[12:13], v11, s4 src0_sel:BYTE_0 src1_sel:DWORD
	s_mov_b64 s[4:5], -1
                                        ; implicit-def: $sgpr10
	s_and_saveexec_b64 s[8:9], s[12:13]
; %bb.3690:
	s_mov_b32 s10, 0x7f800001
	s_xor_b64 s[4:5], exec, -1
; %bb.3691:
	s_or_b64 exec, exec, s[8:9]
	s_and_b64 s[4:5], s[4:5], exec
	s_or_saveexec_b64 s[6:7], s[6:7]
	v_mov_b32_e32 v10, s10
	s_xor_b64 exec, exec, s[6:7]
	s_cbranch_execz .LBB17_1642
.LBB17_3692:
	v_mov_b32_e32 v10, 0
	v_cmp_ne_u16_sdwa s[8:9], v11, v10 src0_sel:BYTE_0 src1_sel:DWORD
	s_andn2_b64 s[4:5], s[4:5], exec
	s_and_b64 s[8:9], s[8:9], exec
	s_or_b64 s[4:5], s[4:5], s[8:9]
	s_or_b64 exec, exec, s[6:7]
	s_and_saveexec_b64 s[6:7], s[4:5]
	s_cbranch_execnz .LBB17_1643
	s_branch .LBB17_1644
.LBB17_3693:
	s_movk_i32 s4, 0x80
	v_cmp_eq_u16_sdwa s[12:13], v11, s4 src0_sel:BYTE_0 src1_sel:DWORD
	s_mov_b64 s[4:5], -1
                                        ; implicit-def: $sgpr10
	s_and_saveexec_b64 s[8:9], s[12:13]
; %bb.3694:
	s_mov_b32 s10, 0x7f800001
	s_xor_b64 s[4:5], exec, -1
; %bb.3695:
	s_or_b64 exec, exec, s[8:9]
	s_and_b64 s[4:5], s[4:5], exec
	s_or_saveexec_b64 s[6:7], s[6:7]
	v_mov_b32_e32 v12, s10
	s_xor_b64 exec, exec, s[6:7]
	s_cbranch_execz .LBB17_1646
.LBB17_3696:
	v_mov_b32_e32 v12, 0
	v_cmp_ne_u16_sdwa s[8:9], v11, v12 src0_sel:BYTE_0 src1_sel:DWORD
	s_andn2_b64 s[4:5], s[4:5], exec
	s_and_b64 s[8:9], s[8:9], exec
	s_or_b64 s[4:5], s[4:5], s[8:9]
	s_or_b64 exec, exec, s[6:7]
	s_and_saveexec_b64 s[6:7], s[4:5]
	s_cbranch_execnz .LBB17_1647
	s_branch .LBB17_1648
.LBB17_3697:
	s_movk_i32 s4, 0x80
	v_cmp_eq_u16_e32 vcc, s4, v11
	s_mov_b64 s[4:5], -1
                                        ; implicit-def: $sgpr10
	s_and_saveexec_b64 s[8:9], vcc
; %bb.3698:
	s_mov_b32 s10, 0x7f800001
	s_xor_b64 s[4:5], exec, -1
; %bb.3699:
	s_or_b64 exec, exec, s[8:9]
	s_and_b64 s[4:5], s[4:5], exec
                                        ; implicit-def: $vgpr11
	s_or_saveexec_b64 s[6:7], s[6:7]
	v_mov_b32_e32 v10, s10
	s_xor_b64 exec, exec, s[6:7]
	s_cbranch_execz .LBB17_1650
.LBB17_3700:
	v_cmp_ne_u16_e32 vcc, 0, v11
	s_andn2_b64 s[4:5], s[4:5], exec
	s_and_b64 s[8:9], vcc, exec
	v_mov_b32_e32 v10, 0
	s_or_b64 s[4:5], s[4:5], s[8:9]
	s_or_b64 exec, exec, s[6:7]
	s_and_saveexec_b64 s[6:7], s[4:5]
	s_cbranch_execnz .LBB17_1651
	s_branch .LBB17_1652
.LBB17_3701:
	s_movk_i32 s4, 0x80
	v_cmp_eq_u16_e32 vcc, s4, v11
	s_mov_b64 s[4:5], -1
                                        ; implicit-def: $sgpr10
	s_and_saveexec_b64 s[8:9], vcc
; %bb.3702:
	s_mov_b32 s10, 0x7f800001
	s_xor_b64 s[4:5], exec, -1
; %bb.3703:
	s_or_b64 exec, exec, s[8:9]
	s_and_b64 s[4:5], s[4:5], exec
                                        ; implicit-def: $vgpr11
	s_or_saveexec_b64 s[6:7], s[6:7]
	v_mov_b32_e32 v12, s10
	s_xor_b64 exec, exec, s[6:7]
	s_cbranch_execz .LBB17_1654
.LBB17_3704:
	v_cmp_ne_u16_e32 vcc, 0, v11
	s_andn2_b64 s[4:5], s[4:5], exec
	s_and_b64 s[8:9], vcc, exec
	v_mov_b32_e32 v12, 0
	s_or_b64 s[4:5], s[4:5], s[8:9]
	s_or_b64 exec, exec, s[6:7]
	s_and_saveexec_b64 s[6:7], s[4:5]
	s_cbranch_execnz .LBB17_1655
	s_branch .LBB17_1656
.LBB17_3705:
	s_movk_i32 s4, 0x80
	v_cmp_eq_u16_sdwa s[12:13], v17, s4 src0_sel:BYTE_3 src1_sel:DWORD
	s_mov_b64 s[4:5], -1
                                        ; implicit-def: $sgpr10
	s_and_saveexec_b64 s[8:9], s[12:13]
; %bb.3706:
	s_mov_b32 s10, 0x7f800001
	s_xor_b64 s[4:5], exec, -1
; %bb.3707:
	s_or_b64 exec, exec, s[8:9]
	s_and_b64 s[4:5], s[4:5], exec
	s_or_saveexec_b64 s[6:7], s[6:7]
	v_mov_b32_e32 v10, s10
	s_xor_b64 exec, exec, s[6:7]
	s_cbranch_execz .LBB17_1658
.LBB17_3708:
	v_mov_b32_e32 v10, 0
	v_cmp_ne_u16_sdwa s[8:9], v17, v10 src0_sel:BYTE_3 src1_sel:DWORD
	s_andn2_b64 s[4:5], s[4:5], exec
	s_and_b64 s[8:9], s[8:9], exec
	s_or_b64 s[4:5], s[4:5], s[8:9]
	s_or_b64 exec, exec, s[6:7]
	s_and_saveexec_b64 s[6:7], s[4:5]
	s_cbranch_execnz .LBB17_1659
	s_branch .LBB17_1660
.LBB17_3709:
	s_movk_i32 s4, 0x80
	v_cmp_eq_u16_sdwa s[12:13], v13, s4 src0_sel:BYTE_3 src1_sel:DWORD
	s_mov_b64 s[4:5], -1
                                        ; implicit-def: $sgpr10
	s_and_saveexec_b64 s[8:9], s[12:13]
; %bb.3710:
	s_mov_b32 s10, 0x7f800001
	s_xor_b64 s[4:5], exec, -1
; %bb.3711:
	s_or_b64 exec, exec, s[8:9]
	s_and_b64 s[4:5], s[4:5], exec
	s_or_saveexec_b64 s[6:7], s[6:7]
	v_mov_b32_e32 v11, s10
	s_xor_b64 exec, exec, s[6:7]
	s_cbranch_execz .LBB17_1662
.LBB17_3712:
	v_mov_b32_e32 v11, 0
	v_cmp_ne_u16_sdwa s[8:9], v13, v11 src0_sel:BYTE_3 src1_sel:DWORD
	s_andn2_b64 s[4:5], s[4:5], exec
	s_and_b64 s[8:9], s[8:9], exec
	s_or_b64 s[4:5], s[4:5], s[8:9]
	s_or_b64 exec, exec, s[6:7]
	s_and_saveexec_b64 s[6:7], s[4:5]
	s_cbranch_execnz .LBB17_1663
	s_branch .LBB17_1664
.LBB17_3713:
	s_movk_i32 s4, 0x80
	v_cmp_eq_u16_sdwa s[12:13], v6, s4 src0_sel:BYTE_0 src1_sel:DWORD
	s_mov_b64 s[4:5], -1
                                        ; implicit-def: $sgpr10
	s_and_saveexec_b64 s[8:9], s[12:13]
; %bb.3714:
	s_mov_b32 s10, 0x7f800001
	s_xor_b64 s[4:5], exec, -1
; %bb.3715:
	s_or_b64 exec, exec, s[8:9]
	s_and_b64 s[4:5], s[4:5], exec
	s_or_saveexec_b64 s[6:7], s[6:7]
	v_mov_b32_e32 v10, s10
	s_xor_b64 exec, exec, s[6:7]
	s_cbranch_execz .LBB17_1666
.LBB17_3716:
	v_mov_b32_e32 v10, 0
	v_cmp_ne_u16_sdwa s[8:9], v6, v10 src0_sel:BYTE_0 src1_sel:DWORD
	s_andn2_b64 s[4:5], s[4:5], exec
	s_and_b64 s[8:9], s[8:9], exec
	s_or_b64 s[4:5], s[4:5], s[8:9]
	s_or_b64 exec, exec, s[6:7]
	s_and_saveexec_b64 s[6:7], s[4:5]
	s_cbranch_execnz .LBB17_1667
	s_branch .LBB17_1668
.LBB17_3717:
	s_movk_i32 s4, 0x80
	v_cmp_eq_u16_sdwa s[12:13], v2, s4 src0_sel:BYTE_0 src1_sel:DWORD
	s_mov_b64 s[4:5], -1
                                        ; implicit-def: $sgpr10
	s_and_saveexec_b64 s[8:9], s[12:13]
; %bb.3718:
	s_mov_b32 s10, 0x7f800001
	s_xor_b64 s[4:5], exec, -1
; %bb.3719:
	s_or_b64 exec, exec, s[8:9]
	s_and_b64 s[4:5], s[4:5], exec
	s_or_saveexec_b64 s[6:7], s[6:7]
	v_mov_b32_e32 v11, s10
	s_xor_b64 exec, exec, s[6:7]
	s_cbranch_execz .LBB17_1670
.LBB17_3720:
	v_mov_b32_e32 v11, 0
	v_cmp_ne_u16_sdwa s[8:9], v2, v11 src0_sel:BYTE_0 src1_sel:DWORD
	s_andn2_b64 s[4:5], s[4:5], exec
	s_and_b64 s[8:9], s[8:9], exec
	s_or_b64 s[4:5], s[4:5], s[8:9]
	s_or_b64 exec, exec, s[6:7]
	s_and_saveexec_b64 s[6:7], s[4:5]
	s_cbranch_execnz .LBB17_1671
	s_branch .LBB17_1672
.LBB17_3721:
	s_movk_i32 s4, 0x80
	v_cmp_eq_u16_sdwa s[12:13], v11, s4 src0_sel:BYTE_0 src1_sel:DWORD
	s_mov_b64 s[4:5], -1
                                        ; implicit-def: $sgpr10
	s_and_saveexec_b64 s[8:9], s[12:13]
; %bb.3722:
	s_mov_b32 s10, 0x7f800001
	s_xor_b64 s[4:5], exec, -1
; %bb.3723:
	s_or_b64 exec, exec, s[8:9]
	s_and_b64 s[4:5], s[4:5], exec
	s_or_saveexec_b64 s[6:7], s[6:7]
	v_mov_b32_e32 v10, s10
	s_xor_b64 exec, exec, s[6:7]
	s_cbranch_execz .LBB17_1674
.LBB17_3724:
	v_mov_b32_e32 v10, 0
	v_cmp_ne_u16_sdwa s[8:9], v11, v10 src0_sel:BYTE_0 src1_sel:DWORD
	s_andn2_b64 s[4:5], s[4:5], exec
	s_and_b64 s[8:9], s[8:9], exec
	s_or_b64 s[4:5], s[4:5], s[8:9]
	s_or_b64 exec, exec, s[6:7]
	s_and_saveexec_b64 s[6:7], s[4:5]
	s_cbranch_execnz .LBB17_1675
	s_branch .LBB17_1676
.LBB17_3725:
	s_movk_i32 s4, 0x80
	v_cmp_eq_u16_sdwa s[12:13], v11, s4 src0_sel:BYTE_0 src1_sel:DWORD
	s_mov_b64 s[4:5], -1
                                        ; implicit-def: $sgpr10
	s_and_saveexec_b64 s[8:9], s[12:13]
; %bb.3726:
	s_mov_b32 s10, 0x7f800001
	s_xor_b64 s[4:5], exec, -1
; %bb.3727:
	s_or_b64 exec, exec, s[8:9]
	s_and_b64 s[4:5], s[4:5], exec
	s_or_saveexec_b64 s[6:7], s[6:7]
	v_mov_b32_e32 v12, s10
	s_xor_b64 exec, exec, s[6:7]
	s_cbranch_execz .LBB17_1678
.LBB17_3728:
	v_mov_b32_e32 v12, 0
	v_cmp_ne_u16_sdwa s[8:9], v11, v12 src0_sel:BYTE_0 src1_sel:DWORD
	s_andn2_b64 s[4:5], s[4:5], exec
	s_and_b64 s[8:9], s[8:9], exec
	s_or_b64 s[4:5], s[4:5], s[8:9]
	s_or_b64 exec, exec, s[6:7]
	s_and_saveexec_b64 s[6:7], s[4:5]
	s_cbranch_execnz .LBB17_1679
	s_branch .LBB17_1680
.LBB17_3729:
	s_movk_i32 s4, 0x80
	v_cmp_eq_u16_e32 vcc, s4, v11
	s_mov_b64 s[4:5], -1
                                        ; implicit-def: $sgpr10
	s_and_saveexec_b64 s[8:9], vcc
; %bb.3730:
	s_mov_b32 s10, 0x7f800001
	s_xor_b64 s[4:5], exec, -1
; %bb.3731:
	s_or_b64 exec, exec, s[8:9]
	s_and_b64 s[4:5], s[4:5], exec
                                        ; implicit-def: $vgpr11
	s_or_saveexec_b64 s[6:7], s[6:7]
	v_mov_b32_e32 v10, s10
	s_xor_b64 exec, exec, s[6:7]
	s_cbranch_execz .LBB17_1682
.LBB17_3732:
	v_cmp_ne_u16_e32 vcc, 0, v11
	s_andn2_b64 s[4:5], s[4:5], exec
	s_and_b64 s[8:9], vcc, exec
	v_mov_b32_e32 v10, 0
	s_or_b64 s[4:5], s[4:5], s[8:9]
	s_or_b64 exec, exec, s[6:7]
	s_and_saveexec_b64 s[6:7], s[4:5]
	s_cbranch_execnz .LBB17_1683
	s_branch .LBB17_1684
.LBB17_3733:
	s_movk_i32 s4, 0x80
	v_cmp_eq_u16_e32 vcc, s4, v11
	s_mov_b64 s[4:5], -1
                                        ; implicit-def: $sgpr10
	s_and_saveexec_b64 s[8:9], vcc
; %bb.3734:
	s_mov_b32 s10, 0x7f800001
	s_xor_b64 s[4:5], exec, -1
; %bb.3735:
	s_or_b64 exec, exec, s[8:9]
	s_and_b64 s[4:5], s[4:5], exec
                                        ; implicit-def: $vgpr11
	s_or_saveexec_b64 s[6:7], s[6:7]
	v_mov_b32_e32 v12, s10
	s_xor_b64 exec, exec, s[6:7]
	s_cbranch_execz .LBB17_1686
.LBB17_3736:
	v_cmp_ne_u16_e32 vcc, 0, v11
	s_andn2_b64 s[4:5], s[4:5], exec
	s_and_b64 s[8:9], vcc, exec
	v_mov_b32_e32 v12, 0
	s_or_b64 s[4:5], s[4:5], s[8:9]
	s_or_b64 exec, exec, s[6:7]
	s_and_saveexec_b64 s[6:7], s[4:5]
	s_cbranch_execnz .LBB17_1687
	s_branch .LBB17_1688
.LBB17_3737:
	s_movk_i32 s4, 0x80
	v_cmp_eq_u16_sdwa s[12:13], v6, s4 src0_sel:BYTE_3 src1_sel:DWORD
	s_mov_b64 s[4:5], -1
                                        ; implicit-def: $sgpr10
	s_and_saveexec_b64 s[8:9], s[12:13]
; %bb.3738:
	s_mov_b32 s10, 0x7f800001
	s_xor_b64 s[4:5], exec, -1
; %bb.3739:
	s_or_b64 exec, exec, s[8:9]
	s_and_b64 s[4:5], s[4:5], exec
	s_or_saveexec_b64 s[6:7], s[6:7]
	v_mov_b32_e32 v10, s10
	s_xor_b64 exec, exec, s[6:7]
	s_cbranch_execz .LBB17_1690
.LBB17_3740:
	v_mov_b32_e32 v10, 0
	v_cmp_ne_u16_sdwa s[8:9], v6, v10 src0_sel:BYTE_3 src1_sel:DWORD
	s_andn2_b64 s[4:5], s[4:5], exec
	s_and_b64 s[8:9], s[8:9], exec
	s_or_b64 s[4:5], s[4:5], s[8:9]
	s_or_b64 exec, exec, s[6:7]
	s_and_saveexec_b64 s[6:7], s[4:5]
	s_cbranch_execnz .LBB17_1691
	s_branch .LBB17_1692
.LBB17_3741:
	s_movk_i32 s4, 0x80
	v_cmp_eq_u16_sdwa s[12:13], v2, s4 src0_sel:BYTE_3 src1_sel:DWORD
	s_mov_b64 s[4:5], -1
                                        ; implicit-def: $sgpr10
	s_and_saveexec_b64 s[8:9], s[12:13]
; %bb.3742:
	s_mov_b32 s10, 0x7f800001
	s_xor_b64 s[4:5], exec, -1
; %bb.3743:
	s_or_b64 exec, exec, s[8:9]
	s_and_b64 s[4:5], s[4:5], exec
	s_or_saveexec_b64 s[6:7], s[6:7]
	v_mov_b32_e32 v6, s10
	s_xor_b64 exec, exec, s[6:7]
	s_cbranch_execz .LBB17_1694
.LBB17_3744:
	v_mov_b32_e32 v6, 0
	v_cmp_ne_u16_sdwa s[8:9], v2, v6 src0_sel:BYTE_3 src1_sel:DWORD
	s_andn2_b64 s[4:5], s[4:5], exec
	s_and_b64 s[8:9], s[8:9], exec
	s_or_b64 s[4:5], s[4:5], s[8:9]
	s_or_b64 exec, exec, s[6:7]
	s_and_saveexec_b64 s[6:7], s[4:5]
	s_cbranch_execnz .LBB17_1695
	s_branch .LBB17_1696
.LBB17_3745:
	s_movk_i32 s4, 0x80
	v_cmp_eq_u16_sdwa s[12:13], v7, s4 src0_sel:BYTE_0 src1_sel:DWORD
	s_mov_b64 s[4:5], -1
                                        ; implicit-def: $sgpr10
	s_and_saveexec_b64 s[8:9], s[12:13]
; %bb.3746:
	s_mov_b32 s10, 0x7f800001
	s_xor_b64 s[4:5], exec, -1
; %bb.3747:
	s_or_b64 exec, exec, s[8:9]
	s_and_b64 s[4:5], s[4:5], exec
	s_or_saveexec_b64 s[6:7], s[6:7]
	v_mov_b32_e32 v2, s10
	s_xor_b64 exec, exec, s[6:7]
	s_cbranch_execz .LBB17_1698
.LBB17_3748:
	v_mov_b32_e32 v2, 0
	v_cmp_ne_u16_sdwa s[8:9], v7, v2 src0_sel:BYTE_0 src1_sel:DWORD
	s_andn2_b64 s[4:5], s[4:5], exec
	s_and_b64 s[8:9], s[8:9], exec
	s_or_b64 s[4:5], s[4:5], s[8:9]
	s_or_b64 exec, exec, s[6:7]
	s_and_saveexec_b64 s[6:7], s[4:5]
	s_cbranch_execnz .LBB17_1699
	s_branch .LBB17_1700
.LBB17_3749:
	s_movk_i32 s4, 0x80
	v_cmp_eq_u16_sdwa s[12:13], v3, s4 src0_sel:BYTE_0 src1_sel:DWORD
	s_mov_b64 s[4:5], -1
                                        ; implicit-def: $sgpr10
	s_and_saveexec_b64 s[8:9], s[12:13]
; %bb.3750:
	s_mov_b32 s10, 0x7f800001
	s_xor_b64 s[4:5], exec, -1
; %bb.3751:
	s_or_b64 exec, exec, s[8:9]
	s_and_b64 s[4:5], s[4:5], exec
	s_or_saveexec_b64 s[6:7], s[6:7]
	v_mov_b32_e32 v6, s10
	s_xor_b64 exec, exec, s[6:7]
	s_cbranch_execz .LBB17_1702
.LBB17_3752:
	v_mov_b32_e32 v6, 0
	v_cmp_ne_u16_sdwa s[8:9], v3, v6 src0_sel:BYTE_0 src1_sel:DWORD
	s_andn2_b64 s[4:5], s[4:5], exec
	s_and_b64 s[8:9], s[8:9], exec
	s_or_b64 s[4:5], s[4:5], s[8:9]
	s_or_b64 exec, exec, s[6:7]
	s_and_saveexec_b64 s[6:7], s[4:5]
	s_cbranch_execnz .LBB17_1703
	s_branch .LBB17_1704
.LBB17_3753:
	s_movk_i32 s4, 0x80
	v_cmp_eq_u16_sdwa s[12:13], v6, s4 src0_sel:BYTE_0 src1_sel:DWORD
	s_mov_b64 s[4:5], -1
                                        ; implicit-def: $sgpr10
	s_and_saveexec_b64 s[8:9], s[12:13]
; %bb.3754:
	s_mov_b32 s10, 0x7f800001
	s_xor_b64 s[4:5], exec, -1
; %bb.3755:
	s_or_b64 exec, exec, s[8:9]
	s_and_b64 s[4:5], s[4:5], exec
	s_or_saveexec_b64 s[6:7], s[6:7]
	v_mov_b32_e32 v2, s10
	s_xor_b64 exec, exec, s[6:7]
	s_cbranch_execz .LBB17_1706
.LBB17_3756:
	v_mov_b32_e32 v2, 0
	v_cmp_ne_u16_sdwa s[8:9], v6, v2 src0_sel:BYTE_0 src1_sel:DWORD
	s_andn2_b64 s[4:5], s[4:5], exec
	s_and_b64 s[8:9], s[8:9], exec
	s_or_b64 s[4:5], s[4:5], s[8:9]
	s_or_b64 exec, exec, s[6:7]
	s_and_saveexec_b64 s[6:7], s[4:5]
	s_cbranch_execnz .LBB17_1707
	s_branch .LBB17_1708
.LBB17_3757:
	s_movk_i32 s4, 0x80
	v_cmp_eq_u16_sdwa s[12:13], v6, s4 src0_sel:BYTE_0 src1_sel:DWORD
	s_mov_b64 s[4:5], -1
                                        ; implicit-def: $sgpr10
	s_and_saveexec_b64 s[8:9], s[12:13]
; %bb.3758:
	s_mov_b32 s10, 0x7f800001
	s_xor_b64 s[4:5], exec, -1
; %bb.3759:
	s_or_b64 exec, exec, s[8:9]
	s_and_b64 s[4:5], s[4:5], exec
	s_or_saveexec_b64 s[6:7], s[6:7]
	v_mov_b32_e32 v10, s10
	s_xor_b64 exec, exec, s[6:7]
	s_cbranch_execz .LBB17_1710
.LBB17_3760:
	v_mov_b32_e32 v10, 0
	v_cmp_ne_u16_sdwa s[8:9], v6, v10 src0_sel:BYTE_0 src1_sel:DWORD
	s_andn2_b64 s[4:5], s[4:5], exec
	s_and_b64 s[8:9], s[8:9], exec
	s_or_b64 s[4:5], s[4:5], s[8:9]
	s_or_b64 exec, exec, s[6:7]
	s_and_saveexec_b64 s[6:7], s[4:5]
	s_cbranch_execnz .LBB17_1711
	s_branch .LBB17_1712
.LBB17_3761:
	s_movk_i32 s4, 0x80
	v_cmp_eq_u16_e32 vcc, s4, v6
	s_mov_b64 s[4:5], -1
                                        ; implicit-def: $sgpr10
	s_and_saveexec_b64 s[8:9], vcc
; %bb.3762:
	s_mov_b32 s10, 0x7f800001
	s_xor_b64 s[4:5], exec, -1
; %bb.3763:
	s_or_b64 exec, exec, s[8:9]
	s_and_b64 s[4:5], s[4:5], exec
                                        ; implicit-def: $vgpr6
	s_or_saveexec_b64 s[6:7], s[6:7]
	v_mov_b32_e32 v2, s10
	s_xor_b64 exec, exec, s[6:7]
	s_cbranch_execz .LBB17_1714
.LBB17_3764:
	v_cmp_ne_u16_e32 vcc, 0, v6
	s_andn2_b64 s[4:5], s[4:5], exec
	s_and_b64 s[8:9], vcc, exec
	v_mov_b32_e32 v2, 0
	s_or_b64 s[4:5], s[4:5], s[8:9]
	s_or_b64 exec, exec, s[6:7]
	s_and_saveexec_b64 s[6:7], s[4:5]
	s_cbranch_execnz .LBB17_1715
	s_branch .LBB17_1716
.LBB17_3765:
	s_movk_i32 s4, 0x80
	v_cmp_eq_u16_e32 vcc, s4, v6
	s_mov_b64 s[4:5], -1
                                        ; implicit-def: $sgpr10
	s_and_saveexec_b64 s[8:9], vcc
; %bb.3766:
	s_mov_b32 s10, 0x7f800001
	s_xor_b64 s[4:5], exec, -1
; %bb.3767:
	s_or_b64 exec, exec, s[8:9]
	s_and_b64 s[4:5], s[4:5], exec
                                        ; implicit-def: $vgpr6
	s_or_saveexec_b64 s[6:7], s[6:7]
	v_mov_b32_e32 v10, s10
	s_xor_b64 exec, exec, s[6:7]
	s_cbranch_execz .LBB17_1718
.LBB17_3768:
	v_cmp_ne_u16_e32 vcc, 0, v6
	s_andn2_b64 s[4:5], s[4:5], exec
	s_and_b64 s[8:9], vcc, exec
	v_mov_b32_e32 v10, 0
	s_or_b64 s[4:5], s[4:5], s[8:9]
	s_or_b64 exec, exec, s[6:7]
	s_and_saveexec_b64 s[6:7], s[4:5]
	s_cbranch_execnz .LBB17_1719
	s_branch .LBB17_1720
.LBB17_3769:
	s_movk_i32 s4, 0x80
	v_cmp_eq_u16_sdwa s[12:13], v7, s4 src0_sel:BYTE_3 src1_sel:DWORD
	s_mov_b64 s[4:5], -1
                                        ; implicit-def: $sgpr10
	s_and_saveexec_b64 s[8:9], s[12:13]
; %bb.3770:
	s_mov_b32 s10, 0x7f800001
	s_xor_b64 s[4:5], exec, -1
; %bb.3771:
	s_or_b64 exec, exec, s[8:9]
	s_and_b64 s[4:5], s[4:5], exec
	s_or_saveexec_b64 s[6:7], s[6:7]
	v_mov_b32_e32 v2, s10
	s_xor_b64 exec, exec, s[6:7]
	s_cbranch_execz .LBB17_1722
.LBB17_3772:
	v_mov_b32_e32 v2, 0
	v_cmp_ne_u16_sdwa s[8:9], v7, v2 src0_sel:BYTE_3 src1_sel:DWORD
	s_andn2_b64 s[4:5], s[4:5], exec
	s_and_b64 s[8:9], s[8:9], exec
	s_or_b64 s[4:5], s[4:5], s[8:9]
	s_or_b64 exec, exec, s[6:7]
	s_and_saveexec_b64 s[6:7], s[4:5]
	s_cbranch_execnz .LBB17_1723
	s_branch .LBB17_1724
.LBB17_3773:
	s_movk_i32 s4, 0x80
	v_cmp_eq_u16_sdwa s[12:13], v3, s4 src0_sel:BYTE_3 src1_sel:DWORD
	s_mov_b64 s[4:5], -1
                                        ; implicit-def: $sgpr10
	s_and_saveexec_b64 s[8:9], s[12:13]
; %bb.3774:
	s_mov_b32 s10, 0x7f800001
	s_xor_b64 s[4:5], exec, -1
; %bb.3775:
	s_or_b64 exec, exec, s[8:9]
	s_and_b64 s[4:5], s[4:5], exec
	s_or_saveexec_b64 s[6:7], s[6:7]
	v_mov_b32_e32 v6, s10
	s_xor_b64 exec, exec, s[6:7]
	s_cbranch_execz .LBB17_1726
.LBB17_3776:
	v_mov_b32_e32 v6, 0
	v_cmp_ne_u16_sdwa s[8:9], v3, v6 src0_sel:BYTE_3 src1_sel:DWORD
	s_andn2_b64 s[4:5], s[4:5], exec
	s_and_b64 s[8:9], s[8:9], exec
	s_or_b64 s[4:5], s[4:5], s[8:9]
	s_or_b64 exec, exec, s[6:7]
	s_and_saveexec_b64 s[6:7], s[4:5]
	s_cbranch_execnz .LBB17_1727
	s_branch .LBB17_1728
.LBB17_3777:
	s_movk_i32 s4, 0x80
	v_cmp_eq_u16_sdwa s[12:13], v8, s4 src0_sel:BYTE_0 src1_sel:DWORD
	s_mov_b64 s[4:5], -1
                                        ; implicit-def: $sgpr10
	s_and_saveexec_b64 s[8:9], s[12:13]
; %bb.3778:
	s_mov_b32 s10, 0x7f800001
	s_xor_b64 s[4:5], exec, -1
; %bb.3779:
	s_or_b64 exec, exec, s[8:9]
	s_and_b64 s[4:5], s[4:5], exec
	s_or_saveexec_b64 s[6:7], s[6:7]
	v_mov_b32_e32 v2, s10
	s_xor_b64 exec, exec, s[6:7]
	s_cbranch_execz .LBB17_1730
.LBB17_3780:
	v_mov_b32_e32 v2, 0
	v_cmp_ne_u16_sdwa s[8:9], v8, v2 src0_sel:BYTE_0 src1_sel:DWORD
	s_andn2_b64 s[4:5], s[4:5], exec
	s_and_b64 s[8:9], s[8:9], exec
	s_or_b64 s[4:5], s[4:5], s[8:9]
	s_or_b64 exec, exec, s[6:7]
	s_and_saveexec_b64 s[6:7], s[4:5]
	s_cbranch_execnz .LBB17_1731
	s_branch .LBB17_1732
.LBB17_3781:
	s_movk_i32 s4, 0x80
	v_cmp_eq_u16_sdwa s[12:13], v4, s4 src0_sel:BYTE_0 src1_sel:DWORD
	s_mov_b64 s[4:5], -1
                                        ; implicit-def: $sgpr10
	s_and_saveexec_b64 s[8:9], s[12:13]
; %bb.3782:
	s_mov_b32 s10, 0x7f800001
	s_xor_b64 s[4:5], exec, -1
; %bb.3783:
	s_or_b64 exec, exec, s[8:9]
	s_and_b64 s[4:5], s[4:5], exec
	s_or_saveexec_b64 s[6:7], s[6:7]
	v_mov_b32_e32 v3, s10
	s_xor_b64 exec, exec, s[6:7]
	s_cbranch_execz .LBB17_1734
.LBB17_3784:
	v_mov_b32_e32 v3, 0
	v_cmp_ne_u16_sdwa s[8:9], v4, v3 src0_sel:BYTE_0 src1_sel:DWORD
	s_andn2_b64 s[4:5], s[4:5], exec
	s_and_b64 s[8:9], s[8:9], exec
	s_or_b64 s[4:5], s[4:5], s[8:9]
	s_or_b64 exec, exec, s[6:7]
	s_and_saveexec_b64 s[6:7], s[4:5]
	s_cbranch_execnz .LBB17_1735
	s_branch .LBB17_1736
.LBB17_3785:
	s_movk_i32 s4, 0x80
	v_cmp_eq_u16_sdwa s[12:13], v3, s4 src0_sel:BYTE_0 src1_sel:DWORD
	s_mov_b64 s[4:5], -1
                                        ; implicit-def: $sgpr10
	s_and_saveexec_b64 s[8:9], s[12:13]
; %bb.3786:
	s_mov_b32 s10, 0x7f800001
	s_xor_b64 s[4:5], exec, -1
; %bb.3787:
	s_or_b64 exec, exec, s[8:9]
	s_and_b64 s[4:5], s[4:5], exec
	s_or_saveexec_b64 s[6:7], s[6:7]
	v_mov_b32_e32 v2, s10
	s_xor_b64 exec, exec, s[6:7]
	s_cbranch_execz .LBB17_1738
.LBB17_3788:
	v_mov_b32_e32 v2, 0
	v_cmp_ne_u16_sdwa s[8:9], v3, v2 src0_sel:BYTE_0 src1_sel:DWORD
	s_andn2_b64 s[4:5], s[4:5], exec
	s_and_b64 s[8:9], s[8:9], exec
	s_or_b64 s[4:5], s[4:5], s[8:9]
	s_or_b64 exec, exec, s[6:7]
	s_and_saveexec_b64 s[6:7], s[4:5]
	s_cbranch_execnz .LBB17_1739
	s_branch .LBB17_1740
.LBB17_3789:
	s_movk_i32 s4, 0x80
	v_cmp_eq_u16_sdwa s[12:13], v3, s4 src0_sel:BYTE_0 src1_sel:DWORD
	s_mov_b64 s[4:5], -1
                                        ; implicit-def: $sgpr10
	s_and_saveexec_b64 s[8:9], s[12:13]
; %bb.3790:
	s_mov_b32 s10, 0x7f800001
	s_xor_b64 s[4:5], exec, -1
; %bb.3791:
	s_or_b64 exec, exec, s[8:9]
	s_and_b64 s[4:5], s[4:5], exec
	s_or_saveexec_b64 s[6:7], s[6:7]
	v_mov_b32_e32 v6, s10
	s_xor_b64 exec, exec, s[6:7]
	s_cbranch_execz .LBB17_1742
.LBB17_3792:
	v_mov_b32_e32 v6, 0
	v_cmp_ne_u16_sdwa s[8:9], v3, v6 src0_sel:BYTE_0 src1_sel:DWORD
	s_andn2_b64 s[4:5], s[4:5], exec
	s_and_b64 s[8:9], s[8:9], exec
	s_or_b64 s[4:5], s[4:5], s[8:9]
	s_or_b64 exec, exec, s[6:7]
	s_and_saveexec_b64 s[6:7], s[4:5]
	s_cbranch_execnz .LBB17_1743
	s_branch .LBB17_1744
.LBB17_3793:
	s_movk_i32 s4, 0x80
	v_cmp_eq_u16_e32 vcc, s4, v3
	s_mov_b64 s[4:5], -1
                                        ; implicit-def: $sgpr10
	s_and_saveexec_b64 s[8:9], vcc
; %bb.3794:
	s_mov_b32 s10, 0x7f800001
	s_xor_b64 s[4:5], exec, -1
; %bb.3795:
	s_or_b64 exec, exec, s[8:9]
	s_and_b64 s[4:5], s[4:5], exec
                                        ; implicit-def: $vgpr3
	s_or_saveexec_b64 s[6:7], s[6:7]
	v_mov_b32_e32 v2, s10
	s_xor_b64 exec, exec, s[6:7]
	s_cbranch_execz .LBB17_1746
.LBB17_3796:
	v_cmp_ne_u16_e32 vcc, 0, v3
	s_andn2_b64 s[4:5], s[4:5], exec
	s_and_b64 s[8:9], vcc, exec
	v_mov_b32_e32 v2, 0
	s_or_b64 s[4:5], s[4:5], s[8:9]
	s_or_b64 exec, exec, s[6:7]
	s_and_saveexec_b64 s[6:7], s[4:5]
	s_cbranch_execnz .LBB17_1747
	s_branch .LBB17_1748
.LBB17_3797:
	s_movk_i32 s4, 0x80
	v_cmp_eq_u16_e32 vcc, s4, v3
	s_mov_b64 s[4:5], -1
                                        ; implicit-def: $sgpr10
	s_and_saveexec_b64 s[8:9], vcc
; %bb.3798:
	s_mov_b32 s10, 0x7f800001
	s_xor_b64 s[4:5], exec, -1
; %bb.3799:
	s_or_b64 exec, exec, s[8:9]
	s_and_b64 s[4:5], s[4:5], exec
                                        ; implicit-def: $vgpr3
	s_or_saveexec_b64 s[6:7], s[6:7]
	v_mov_b32_e32 v6, s10
	s_xor_b64 exec, exec, s[6:7]
	s_cbranch_execz .LBB17_1750
.LBB17_3800:
	v_cmp_ne_u16_e32 vcc, 0, v3
	s_andn2_b64 s[4:5], s[4:5], exec
	s_and_b64 s[8:9], vcc, exec
	v_mov_b32_e32 v6, 0
	s_or_b64 s[4:5], s[4:5], s[8:9]
	s_or_b64 exec, exec, s[6:7]
	s_and_saveexec_b64 s[6:7], s[4:5]
	s_cbranch_execnz .LBB17_1751
	s_branch .LBB17_1752
.LBB17_3801:
	s_movk_i32 s4, 0x80
	v_cmp_eq_u16_sdwa s[12:13], v8, s4 src0_sel:BYTE_3 src1_sel:DWORD
	s_mov_b64 s[4:5], -1
                                        ; implicit-def: $sgpr10
	s_and_saveexec_b64 s[8:9], s[12:13]
; %bb.3802:
	s_mov_b32 s10, 0x7f800001
	s_xor_b64 s[4:5], exec, -1
; %bb.3803:
	s_or_b64 exec, exec, s[8:9]
	s_and_b64 s[4:5], s[4:5], exec
	s_or_saveexec_b64 s[6:7], s[6:7]
	v_mov_b32_e32 v2, s10
	s_xor_b64 exec, exec, s[6:7]
	s_cbranch_execz .LBB17_1754
.LBB17_3804:
	v_mov_b32_e32 v2, 0
	v_cmp_ne_u16_sdwa s[8:9], v8, v2 src0_sel:BYTE_3 src1_sel:DWORD
	s_andn2_b64 s[4:5], s[4:5], exec
	s_and_b64 s[8:9], s[8:9], exec
	s_or_b64 s[4:5], s[4:5], s[8:9]
	s_or_b64 exec, exec, s[6:7]
	s_and_saveexec_b64 s[6:7], s[4:5]
	s_cbranch_execnz .LBB17_1755
	s_branch .LBB17_1756
.LBB17_3805:
	s_movk_i32 s4, 0x80
	v_cmp_eq_u16_sdwa s[12:13], v4, s4 src0_sel:BYTE_3 src1_sel:DWORD
	s_mov_b64 s[4:5], -1
                                        ; implicit-def: $sgpr10
	s_and_saveexec_b64 s[8:9], s[12:13]
; %bb.3806:
	s_mov_b32 s10, 0x7f800001
	s_xor_b64 s[4:5], exec, -1
; %bb.3807:
	s_or_b64 exec, exec, s[8:9]
	s_and_b64 s[4:5], s[4:5], exec
	s_or_saveexec_b64 s[6:7], s[6:7]
	v_mov_b32_e32 v3, s10
	s_xor_b64 exec, exec, s[6:7]
	s_cbranch_execz .LBB17_1758
.LBB17_3808:
	v_mov_b32_e32 v3, 0
	v_cmp_ne_u16_sdwa s[8:9], v4, v3 src0_sel:BYTE_3 src1_sel:DWORD
	s_andn2_b64 s[4:5], s[4:5], exec
	s_and_b64 s[8:9], s[8:9], exec
	s_or_b64 s[4:5], s[4:5], s[8:9]
	s_or_b64 exec, exec, s[6:7]
	s_and_saveexec_b64 s[6:7], s[4:5]
	s_cbranch_execnz .LBB17_1759
	s_branch .LBB17_1760
.LBB17_3809:
	s_movk_i32 s4, 0x80
	v_cmp_eq_u16_sdwa s[12:13], v9, s4 src0_sel:BYTE_0 src1_sel:DWORD
	s_mov_b64 s[4:5], -1
                                        ; implicit-def: $sgpr10
	s_and_saveexec_b64 s[8:9], s[12:13]
; %bb.3810:
	s_mov_b32 s10, 0x7f800001
	s_xor_b64 s[4:5], exec, -1
; %bb.3811:
	s_or_b64 exec, exec, s[8:9]
	s_and_b64 s[4:5], s[4:5], exec
	s_or_saveexec_b64 s[6:7], s[6:7]
	v_mov_b32_e32 v2, s10
	s_xor_b64 exec, exec, s[6:7]
	s_cbranch_execz .LBB17_1762
.LBB17_3812:
	v_mov_b32_e32 v2, 0
	v_cmp_ne_u16_sdwa s[8:9], v9, v2 src0_sel:BYTE_0 src1_sel:DWORD
	s_andn2_b64 s[4:5], s[4:5], exec
	s_and_b64 s[8:9], s[8:9], exec
	s_or_b64 s[4:5], s[4:5], s[8:9]
	s_or_b64 exec, exec, s[6:7]
	s_and_saveexec_b64 s[6:7], s[4:5]
	s_cbranch_execnz .LBB17_1763
	s_branch .LBB17_1764
.LBB17_3813:
	s_movk_i32 s4, 0x80
	v_cmp_eq_u16_sdwa s[12:13], v5, s4 src0_sel:BYTE_0 src1_sel:DWORD
	s_mov_b64 s[4:5], -1
                                        ; implicit-def: $sgpr10
	s_and_saveexec_b64 s[8:9], s[12:13]
; %bb.3814:
	s_mov_b32 s10, 0x7f800001
	s_xor_b64 s[4:5], exec, -1
; %bb.3815:
	s_or_b64 exec, exec, s[8:9]
	s_and_b64 s[4:5], s[4:5], exec
	s_or_saveexec_b64 s[6:7], s[6:7]
	v_mov_b32_e32 v3, s10
	s_xor_b64 exec, exec, s[6:7]
	s_cbranch_execz .LBB17_1766
.LBB17_3816:
	v_mov_b32_e32 v3, 0
	v_cmp_ne_u16_sdwa s[8:9], v5, v3 src0_sel:BYTE_0 src1_sel:DWORD
	s_andn2_b64 s[4:5], s[4:5], exec
	s_and_b64 s[8:9], s[8:9], exec
	s_or_b64 s[4:5], s[4:5], s[8:9]
	s_or_b64 exec, exec, s[6:7]
	s_and_saveexec_b64 s[6:7], s[4:5]
	s_cbranch_execnz .LBB17_1767
	s_branch .LBB17_1768
.LBB17_3817:
	s_movk_i32 s4, 0x80
	v_cmp_eq_u16_sdwa s[12:13], v3, s4 src0_sel:BYTE_0 src1_sel:DWORD
	s_mov_b64 s[4:5], -1
                                        ; implicit-def: $sgpr10
	s_and_saveexec_b64 s[8:9], s[12:13]
; %bb.3818:
	s_mov_b32 s10, 0x7f800001
	s_xor_b64 s[4:5], exec, -1
; %bb.3819:
	s_or_b64 exec, exec, s[8:9]
	s_and_b64 s[4:5], s[4:5], exec
	s_or_saveexec_b64 s[6:7], s[6:7]
	v_mov_b32_e32 v2, s10
	s_xor_b64 exec, exec, s[6:7]
	s_cbranch_execz .LBB17_1770
.LBB17_3820:
	v_mov_b32_e32 v2, 0
	v_cmp_ne_u16_sdwa s[8:9], v3, v2 src0_sel:BYTE_0 src1_sel:DWORD
	s_andn2_b64 s[4:5], s[4:5], exec
	s_and_b64 s[8:9], s[8:9], exec
	s_or_b64 s[4:5], s[4:5], s[8:9]
	s_or_b64 exec, exec, s[6:7]
	s_and_saveexec_b64 s[6:7], s[4:5]
	s_cbranch_execnz .LBB17_1771
	s_branch .LBB17_1772
.LBB17_3821:
	s_movk_i32 s4, 0x80
	v_cmp_eq_u16_sdwa s[12:13], v3, s4 src0_sel:BYTE_0 src1_sel:DWORD
	s_mov_b64 s[4:5], -1
                                        ; implicit-def: $sgpr10
	s_and_saveexec_b64 s[8:9], s[12:13]
; %bb.3822:
	s_mov_b32 s10, 0x7f800001
	s_xor_b64 s[4:5], exec, -1
; %bb.3823:
	s_or_b64 exec, exec, s[8:9]
	s_and_b64 s[4:5], s[4:5], exec
	s_or_saveexec_b64 s[6:7], s[6:7]
	v_mov_b32_e32 v4, s10
	s_xor_b64 exec, exec, s[6:7]
	s_cbranch_execz .LBB17_1774
.LBB17_3824:
	v_mov_b32_e32 v4, 0
	v_cmp_ne_u16_sdwa s[8:9], v3, v4 src0_sel:BYTE_0 src1_sel:DWORD
	s_andn2_b64 s[4:5], s[4:5], exec
	s_and_b64 s[8:9], s[8:9], exec
	s_or_b64 s[4:5], s[4:5], s[8:9]
	s_or_b64 exec, exec, s[6:7]
	s_and_saveexec_b64 s[6:7], s[4:5]
	s_cbranch_execnz .LBB17_1775
	s_branch .LBB17_1776
.LBB17_3825:
	s_movk_i32 s4, 0x80
	v_cmp_eq_u16_e32 vcc, s4, v3
	s_mov_b64 s[4:5], -1
                                        ; implicit-def: $sgpr10
	s_and_saveexec_b64 s[8:9], vcc
; %bb.3826:
	s_mov_b32 s10, 0x7f800001
	s_xor_b64 s[4:5], exec, -1
; %bb.3827:
	s_or_b64 exec, exec, s[8:9]
	s_and_b64 s[4:5], s[4:5], exec
                                        ; implicit-def: $vgpr3
	s_or_saveexec_b64 s[6:7], s[6:7]
	v_mov_b32_e32 v2, s10
	s_xor_b64 exec, exec, s[6:7]
	s_cbranch_execz .LBB17_1778
.LBB17_3828:
	v_cmp_ne_u16_e32 vcc, 0, v3
	s_andn2_b64 s[4:5], s[4:5], exec
	s_and_b64 s[8:9], vcc, exec
	v_mov_b32_e32 v2, 0
	s_or_b64 s[4:5], s[4:5], s[8:9]
	s_or_b64 exec, exec, s[6:7]
	s_and_saveexec_b64 s[6:7], s[4:5]
	s_cbranch_execnz .LBB17_1779
	s_branch .LBB17_1780
.LBB17_3829:
	s_movk_i32 s4, 0x80
	v_cmp_eq_u16_e32 vcc, s4, v3
	s_mov_b64 s[4:5], -1
                                        ; implicit-def: $sgpr10
	s_and_saveexec_b64 s[8:9], vcc
; %bb.3830:
	s_mov_b32 s10, 0x7f800001
	s_xor_b64 s[4:5], exec, -1
; %bb.3831:
	s_or_b64 exec, exec, s[8:9]
	s_and_b64 s[4:5], s[4:5], exec
                                        ; implicit-def: $vgpr3
	s_or_saveexec_b64 s[6:7], s[6:7]
	v_mov_b32_e32 v4, s10
	s_xor_b64 exec, exec, s[6:7]
	s_cbranch_execz .LBB17_1782
.LBB17_3832:
	v_cmp_ne_u16_e32 vcc, 0, v3
	s_andn2_b64 s[4:5], s[4:5], exec
	s_and_b64 s[8:9], vcc, exec
	v_mov_b32_e32 v4, 0
	s_or_b64 s[4:5], s[4:5], s[8:9]
	s_or_b64 exec, exec, s[6:7]
	s_and_saveexec_b64 s[6:7], s[4:5]
	s_cbranch_execnz .LBB17_1783
	s_branch .LBB17_1784
.LBB17_3833:
	s_movk_i32 s4, 0x80
	v_cmp_eq_u16_sdwa s[12:13], v9, s4 src0_sel:BYTE_3 src1_sel:DWORD
	s_mov_b64 s[4:5], -1
                                        ; implicit-def: $sgpr10
	s_and_saveexec_b64 s[8:9], s[12:13]
; %bb.3834:
	s_mov_b32 s10, 0x7f800001
	s_xor_b64 s[4:5], exec, -1
; %bb.3835:
	s_or_b64 exec, exec, s[8:9]
	s_and_b64 s[4:5], s[4:5], exec
	s_or_saveexec_b64 s[6:7], s[6:7]
	v_mov_b32_e32 v2, s10
	s_xor_b64 exec, exec, s[6:7]
	s_cbranch_execz .LBB17_1786
.LBB17_3836:
	v_mov_b32_e32 v2, 0
	v_cmp_ne_u16_sdwa s[8:9], v9, v2 src0_sel:BYTE_3 src1_sel:DWORD
	s_andn2_b64 s[4:5], s[4:5], exec
	s_and_b64 s[8:9], s[8:9], exec
	s_or_b64 s[4:5], s[4:5], s[8:9]
	s_or_b64 exec, exec, s[6:7]
	s_and_saveexec_b64 s[6:7], s[4:5]
	s_cbranch_execnz .LBB17_1787
	s_branch .LBB17_1788
.LBB17_3837:
	s_movk_i32 s4, 0x80
	v_cmp_eq_u16_sdwa s[12:13], v5, s4 src0_sel:BYTE_3 src1_sel:DWORD
	s_mov_b64 s[4:5], -1
                                        ; implicit-def: $sgpr10
	s_and_saveexec_b64 s[8:9], s[12:13]
; %bb.3838:
	s_mov_b32 s10, 0x7f800001
	s_xor_b64 s[4:5], exec, -1
; %bb.3839:
	s_or_b64 exec, exec, s[8:9]
	s_and_b64 s[4:5], s[4:5], exec
	s_or_saveexec_b64 s[6:7], s[6:7]
	v_mov_b32_e32 v3, s10
	s_xor_b64 exec, exec, s[6:7]
	s_cbranch_execz .LBB17_1790
.LBB17_3840:
	v_mov_b32_e32 v3, 0
	v_cmp_ne_u16_sdwa s[8:9], v5, v3 src0_sel:BYTE_3 src1_sel:DWORD
	s_andn2_b64 s[4:5], s[4:5], exec
	s_and_b64 s[8:9], s[8:9], exec
	s_or_b64 s[4:5], s[4:5], s[8:9]
	s_or_b64 exec, exec, s[6:7]
	s_and_saveexec_b64 s[6:7], s[4:5]
	s_cbranch_execnz .LBB17_1791
	s_branch .LBB17_1792
.LBB17_3841:
	s_movk_i32 s4, 0x80
	v_cmp_eq_u16_sdwa s[12:13], v12, s4 src0_sel:BYTE_0 src1_sel:DWORD
	s_mov_b64 s[4:5], -1
                                        ; implicit-def: $sgpr10
	s_and_saveexec_b64 s[8:9], s[12:13]
; %bb.3842:
	s_mov_b32 s10, 0x7f800001
	s_xor_b64 s[4:5], exec, -1
; %bb.3843:
	s_or_b64 exec, exec, s[8:9]
	s_and_b64 s[4:5], s[4:5], exec
	s_or_saveexec_b64 s[6:7], s[6:7]
	v_mov_b32_e32 v18, s10
	s_xor_b64 exec, exec, s[6:7]
	s_cbranch_execz .LBB17_1794
.LBB17_3844:
	v_mov_b32_e32 v18, 0
	v_cmp_ne_u16_sdwa s[8:9], v12, v18 src0_sel:BYTE_0 src1_sel:DWORD
	s_andn2_b64 s[4:5], s[4:5], exec
	s_and_b64 s[8:9], s[8:9], exec
	s_or_b64 s[4:5], s[4:5], s[8:9]
	s_or_b64 exec, exec, s[6:7]
	s_and_saveexec_b64 s[6:7], s[4:5]
	s_cbranch_execnz .LBB17_1795
	s_branch .LBB17_1796
.LBB17_3845:
	s_movk_i32 s4, 0x80
	v_cmp_eq_u16_sdwa s[12:13], v8, s4 src0_sel:BYTE_0 src1_sel:DWORD
	s_mov_b64 s[4:5], -1
                                        ; implicit-def: $sgpr10
	s_and_saveexec_b64 s[8:9], s[12:13]
; %bb.3846:
	s_mov_b32 s10, 0x7f800001
	s_xor_b64 s[4:5], exec, -1
; %bb.3847:
	s_or_b64 exec, exec, s[8:9]
	s_and_b64 s[4:5], s[4:5], exec
	s_or_saveexec_b64 s[6:7], s[6:7]
	v_mov_b32_e32 v19, s10
	s_xor_b64 exec, exec, s[6:7]
	s_cbranch_execz .LBB17_1798
.LBB17_3848:
	v_mov_b32_e32 v19, 0
	v_cmp_ne_u16_sdwa s[8:9], v8, v19 src0_sel:BYTE_0 src1_sel:DWORD
	s_andn2_b64 s[4:5], s[4:5], exec
	s_and_b64 s[8:9], s[8:9], exec
	s_or_b64 s[4:5], s[4:5], s[8:9]
	s_or_b64 exec, exec, s[6:7]
	s_and_saveexec_b64 s[6:7], s[4:5]
	s_cbranch_execnz .LBB17_1799
	s_branch .LBB17_1800
.LBB17_3849:
	s_movk_i32 s4, 0x80
	v_cmp_eq_u16_sdwa s[12:13], v19, s4 src0_sel:BYTE_0 src1_sel:DWORD
	s_mov_b64 s[4:5], -1
                                        ; implicit-def: $sgpr10
	s_and_saveexec_b64 s[8:9], s[12:13]
; %bb.3850:
	s_mov_b32 s10, 0x7f800001
	s_xor_b64 s[4:5], exec, -1
; %bb.3851:
	s_or_b64 exec, exec, s[8:9]
	s_and_b64 s[4:5], s[4:5], exec
	s_or_saveexec_b64 s[6:7], s[6:7]
	v_mov_b32_e32 v18, s10
	s_xor_b64 exec, exec, s[6:7]
	s_cbranch_execz .LBB17_1802
.LBB17_3852:
	v_mov_b32_e32 v18, 0
	v_cmp_ne_u16_sdwa s[8:9], v19, v18 src0_sel:BYTE_0 src1_sel:DWORD
	s_andn2_b64 s[4:5], s[4:5], exec
	s_and_b64 s[8:9], s[8:9], exec
	s_or_b64 s[4:5], s[4:5], s[8:9]
	s_or_b64 exec, exec, s[6:7]
	s_and_saveexec_b64 s[6:7], s[4:5]
	s_cbranch_execnz .LBB17_1803
	s_branch .LBB17_1804
.LBB17_3853:
	s_movk_i32 s4, 0x80
	v_cmp_eq_u16_sdwa s[12:13], v19, s4 src0_sel:BYTE_0 src1_sel:DWORD
	s_mov_b64 s[4:5], -1
                                        ; implicit-def: $sgpr10
	s_and_saveexec_b64 s[8:9], s[12:13]
; %bb.3854:
	s_mov_b32 s10, 0x7f800001
	s_xor_b64 s[4:5], exec, -1
; %bb.3855:
	s_or_b64 exec, exec, s[8:9]
	s_and_b64 s[4:5], s[4:5], exec
	s_or_saveexec_b64 s[6:7], s[6:7]
	v_mov_b32_e32 v20, s10
	s_xor_b64 exec, exec, s[6:7]
	s_cbranch_execz .LBB17_1806
.LBB17_3856:
	v_mov_b32_e32 v20, 0
	v_cmp_ne_u16_sdwa s[8:9], v19, v20 src0_sel:BYTE_0 src1_sel:DWORD
	s_andn2_b64 s[4:5], s[4:5], exec
	s_and_b64 s[8:9], s[8:9], exec
	s_or_b64 s[4:5], s[4:5], s[8:9]
	s_or_b64 exec, exec, s[6:7]
	s_and_saveexec_b64 s[6:7], s[4:5]
	s_cbranch_execnz .LBB17_1807
	s_branch .LBB17_1808
.LBB17_3857:
	s_movk_i32 s4, 0x80
	v_cmp_eq_u16_e32 vcc, s4, v19
	s_mov_b64 s[4:5], -1
                                        ; implicit-def: $sgpr10
	s_and_saveexec_b64 s[8:9], vcc
; %bb.3858:
	s_mov_b32 s10, 0x7f800001
	s_xor_b64 s[4:5], exec, -1
; %bb.3859:
	s_or_b64 exec, exec, s[8:9]
	s_and_b64 s[4:5], s[4:5], exec
                                        ; implicit-def: $vgpr19
	s_or_saveexec_b64 s[6:7], s[6:7]
	v_mov_b32_e32 v18, s10
	s_xor_b64 exec, exec, s[6:7]
	s_cbranch_execz .LBB17_1810
.LBB17_3860:
	v_cmp_ne_u16_e32 vcc, 0, v19
	s_andn2_b64 s[4:5], s[4:5], exec
	s_and_b64 s[8:9], vcc, exec
	v_mov_b32_e32 v18, 0
	s_or_b64 s[4:5], s[4:5], s[8:9]
	s_or_b64 exec, exec, s[6:7]
	s_and_saveexec_b64 s[6:7], s[4:5]
	s_cbranch_execnz .LBB17_1811
	s_branch .LBB17_1812
.LBB17_3861:
	s_movk_i32 s4, 0x80
	v_cmp_eq_u16_e32 vcc, s4, v19
	s_mov_b64 s[4:5], -1
                                        ; implicit-def: $sgpr10
	s_and_saveexec_b64 s[8:9], vcc
; %bb.3862:
	s_mov_b32 s10, 0x7f800001
	s_xor_b64 s[4:5], exec, -1
; %bb.3863:
	s_or_b64 exec, exec, s[8:9]
	s_and_b64 s[4:5], s[4:5], exec
                                        ; implicit-def: $vgpr19
	s_or_saveexec_b64 s[6:7], s[6:7]
	v_mov_b32_e32 v20, s10
	s_xor_b64 exec, exec, s[6:7]
	s_cbranch_execz .LBB17_1814
.LBB17_3864:
	v_cmp_ne_u16_e32 vcc, 0, v19
	s_andn2_b64 s[4:5], s[4:5], exec
	s_and_b64 s[8:9], vcc, exec
	v_mov_b32_e32 v20, 0
	s_or_b64 s[4:5], s[4:5], s[8:9]
	s_or_b64 exec, exec, s[6:7]
	s_and_saveexec_b64 s[6:7], s[4:5]
	s_cbranch_execnz .LBB17_1815
	s_branch .LBB17_1816
.LBB17_3865:
	s_movk_i32 s4, 0x80
	v_cmp_eq_u16_sdwa s[12:13], v12, s4 src0_sel:BYTE_3 src1_sel:DWORD
	s_mov_b64 s[4:5], -1
                                        ; implicit-def: $sgpr10
	s_and_saveexec_b64 s[8:9], s[12:13]
; %bb.3866:
	s_mov_b32 s10, 0x7f800001
	s_xor_b64 s[4:5], exec, -1
; %bb.3867:
	s_or_b64 exec, exec, s[8:9]
	s_and_b64 s[4:5], s[4:5], exec
	s_or_saveexec_b64 s[6:7], s[6:7]
	v_mov_b32_e32 v18, s10
	s_xor_b64 exec, exec, s[6:7]
	s_cbranch_execz .LBB17_1818
.LBB17_3868:
	v_mov_b32_e32 v18, 0
	v_cmp_ne_u16_sdwa s[8:9], v12, v18 src0_sel:BYTE_3 src1_sel:DWORD
	s_andn2_b64 s[4:5], s[4:5], exec
	s_and_b64 s[8:9], s[8:9], exec
	s_or_b64 s[4:5], s[4:5], s[8:9]
	s_or_b64 exec, exec, s[6:7]
	s_and_saveexec_b64 s[6:7], s[4:5]
	s_cbranch_execnz .LBB17_1819
	s_branch .LBB17_1820
.LBB17_3869:
	s_movk_i32 s4, 0x80
	v_cmp_eq_u16_sdwa s[12:13], v8, s4 src0_sel:BYTE_3 src1_sel:DWORD
	s_mov_b64 s[4:5], -1
                                        ; implicit-def: $sgpr10
	s_and_saveexec_b64 s[8:9], s[12:13]
; %bb.3870:
	s_mov_b32 s10, 0x7f800001
	s_xor_b64 s[4:5], exec, -1
; %bb.3871:
	s_or_b64 exec, exec, s[8:9]
	s_and_b64 s[4:5], s[4:5], exec
	s_or_saveexec_b64 s[6:7], s[6:7]
	v_mov_b32_e32 v12, s10
	s_xor_b64 exec, exec, s[6:7]
	s_cbranch_execz .LBB17_1822
.LBB17_3872:
	v_mov_b32_e32 v12, 0
	v_cmp_ne_u16_sdwa s[8:9], v8, v12 src0_sel:BYTE_3 src1_sel:DWORD
	s_andn2_b64 s[4:5], s[4:5], exec
	s_and_b64 s[8:9], s[8:9], exec
	s_or_b64 s[4:5], s[4:5], s[8:9]
	s_or_b64 exec, exec, s[6:7]
	s_and_saveexec_b64 s[6:7], s[4:5]
	s_cbranch_execnz .LBB17_1823
	s_branch .LBB17_1824
.LBB17_3873:
	s_movk_i32 s4, 0x80
	v_cmp_eq_u16_sdwa s[12:13], v13, s4 src0_sel:BYTE_0 src1_sel:DWORD
	s_mov_b64 s[4:5], -1
                                        ; implicit-def: $sgpr10
	s_and_saveexec_b64 s[8:9], s[12:13]
; %bb.3874:
	s_mov_b32 s10, 0x7f800001
	s_xor_b64 s[4:5], exec, -1
; %bb.3875:
	s_or_b64 exec, exec, s[8:9]
	s_and_b64 s[4:5], s[4:5], exec
	s_or_saveexec_b64 s[6:7], s[6:7]
	v_mov_b32_e32 v8, s10
	s_xor_b64 exec, exec, s[6:7]
	s_cbranch_execz .LBB17_1826
.LBB17_3876:
	v_mov_b32_e32 v8, 0
	v_cmp_ne_u16_sdwa s[8:9], v13, v8 src0_sel:BYTE_0 src1_sel:DWORD
	s_andn2_b64 s[4:5], s[4:5], exec
	s_and_b64 s[8:9], s[8:9], exec
	s_or_b64 s[4:5], s[4:5], s[8:9]
	s_or_b64 exec, exec, s[6:7]
	s_and_saveexec_b64 s[6:7], s[4:5]
	s_cbranch_execnz .LBB17_1827
	s_branch .LBB17_1828
.LBB17_3877:
	s_movk_i32 s4, 0x80
	v_cmp_eq_u16_sdwa s[12:13], v9, s4 src0_sel:BYTE_0 src1_sel:DWORD
	s_mov_b64 s[4:5], -1
                                        ; implicit-def: $sgpr10
	s_and_saveexec_b64 s[8:9], s[12:13]
; %bb.3878:
	s_mov_b32 s10, 0x7f800001
	s_xor_b64 s[4:5], exec, -1
; %bb.3879:
	s_or_b64 exec, exec, s[8:9]
	s_and_b64 s[4:5], s[4:5], exec
	s_or_saveexec_b64 s[6:7], s[6:7]
	v_mov_b32_e32 v12, s10
	s_xor_b64 exec, exec, s[6:7]
	s_cbranch_execz .LBB17_1830
.LBB17_3880:
	v_mov_b32_e32 v12, 0
	v_cmp_ne_u16_sdwa s[8:9], v9, v12 src0_sel:BYTE_0 src1_sel:DWORD
	s_andn2_b64 s[4:5], s[4:5], exec
	s_and_b64 s[8:9], s[8:9], exec
	s_or_b64 s[4:5], s[4:5], s[8:9]
	s_or_b64 exec, exec, s[6:7]
	s_and_saveexec_b64 s[6:7], s[4:5]
	s_cbranch_execnz .LBB17_1831
	s_branch .LBB17_1832
.LBB17_3881:
	s_movk_i32 s4, 0x80
	v_cmp_eq_u16_sdwa s[12:13], v12, s4 src0_sel:BYTE_0 src1_sel:DWORD
	s_mov_b64 s[4:5], -1
                                        ; implicit-def: $sgpr10
	s_and_saveexec_b64 s[8:9], s[12:13]
; %bb.3882:
	s_mov_b32 s10, 0x7f800001
	s_xor_b64 s[4:5], exec, -1
; %bb.3883:
	s_or_b64 exec, exec, s[8:9]
	s_and_b64 s[4:5], s[4:5], exec
	s_or_saveexec_b64 s[6:7], s[6:7]
	v_mov_b32_e32 v8, s10
	s_xor_b64 exec, exec, s[6:7]
	s_cbranch_execz .LBB17_1834
.LBB17_3884:
	v_mov_b32_e32 v8, 0
	v_cmp_ne_u16_sdwa s[8:9], v12, v8 src0_sel:BYTE_0 src1_sel:DWORD
	s_andn2_b64 s[4:5], s[4:5], exec
	s_and_b64 s[8:9], s[8:9], exec
	s_or_b64 s[4:5], s[4:5], s[8:9]
	s_or_b64 exec, exec, s[6:7]
	s_and_saveexec_b64 s[6:7], s[4:5]
	s_cbranch_execnz .LBB17_1835
	s_branch .LBB17_1836
.LBB17_3885:
	s_movk_i32 s4, 0x80
	v_cmp_eq_u16_sdwa s[12:13], v12, s4 src0_sel:BYTE_0 src1_sel:DWORD
	s_mov_b64 s[4:5], -1
                                        ; implicit-def: $sgpr10
	s_and_saveexec_b64 s[8:9], s[12:13]
; %bb.3886:
	s_mov_b32 s10, 0x7f800001
	s_xor_b64 s[4:5], exec, -1
; %bb.3887:
	s_or_b64 exec, exec, s[8:9]
	s_and_b64 s[4:5], s[4:5], exec
	s_or_saveexec_b64 s[6:7], s[6:7]
	v_mov_b32_e32 v18, s10
	s_xor_b64 exec, exec, s[6:7]
	s_cbranch_execz .LBB17_1838
.LBB17_3888:
	v_mov_b32_e32 v18, 0
	v_cmp_ne_u16_sdwa s[8:9], v12, v18 src0_sel:BYTE_0 src1_sel:DWORD
	s_andn2_b64 s[4:5], s[4:5], exec
	s_and_b64 s[8:9], s[8:9], exec
	s_or_b64 s[4:5], s[4:5], s[8:9]
	s_or_b64 exec, exec, s[6:7]
	s_and_saveexec_b64 s[6:7], s[4:5]
	s_cbranch_execnz .LBB17_1839
	s_branch .LBB17_1840
.LBB17_3889:
	s_movk_i32 s4, 0x80
	v_cmp_eq_u16_e32 vcc, s4, v12
	s_mov_b64 s[4:5], -1
                                        ; implicit-def: $sgpr10
	s_and_saveexec_b64 s[8:9], vcc
; %bb.3890:
	s_mov_b32 s10, 0x7f800001
	s_xor_b64 s[4:5], exec, -1
; %bb.3891:
	s_or_b64 exec, exec, s[8:9]
	s_and_b64 s[4:5], s[4:5], exec
                                        ; implicit-def: $vgpr12
	s_or_saveexec_b64 s[6:7], s[6:7]
	v_mov_b32_e32 v8, s10
	s_xor_b64 exec, exec, s[6:7]
	s_cbranch_execz .LBB17_1842
.LBB17_3892:
	v_cmp_ne_u16_e32 vcc, 0, v12
	s_andn2_b64 s[4:5], s[4:5], exec
	s_and_b64 s[8:9], vcc, exec
	v_mov_b32_e32 v8, 0
	s_or_b64 s[4:5], s[4:5], s[8:9]
	s_or_b64 exec, exec, s[6:7]
	s_and_saveexec_b64 s[6:7], s[4:5]
	s_cbranch_execnz .LBB17_1843
	s_branch .LBB17_1844
.LBB17_3893:
	s_movk_i32 s4, 0x80
	v_cmp_eq_u16_e32 vcc, s4, v12
	s_mov_b64 s[4:5], -1
                                        ; implicit-def: $sgpr10
	s_and_saveexec_b64 s[8:9], vcc
; %bb.3894:
	s_mov_b32 s10, 0x7f800001
	s_xor_b64 s[4:5], exec, -1
; %bb.3895:
	s_or_b64 exec, exec, s[8:9]
	s_and_b64 s[4:5], s[4:5], exec
                                        ; implicit-def: $vgpr12
	s_or_saveexec_b64 s[6:7], s[6:7]
	v_mov_b32_e32 v18, s10
	s_xor_b64 exec, exec, s[6:7]
	s_cbranch_execz .LBB17_1846
.LBB17_3896:
	v_cmp_ne_u16_e32 vcc, 0, v12
	s_andn2_b64 s[4:5], s[4:5], exec
	s_and_b64 s[8:9], vcc, exec
	v_mov_b32_e32 v18, 0
	s_or_b64 s[4:5], s[4:5], s[8:9]
	s_or_b64 exec, exec, s[6:7]
	s_and_saveexec_b64 s[6:7], s[4:5]
	s_cbranch_execnz .LBB17_1847
	s_branch .LBB17_1848
.LBB17_3897:
	s_movk_i32 s4, 0x80
	v_cmp_eq_u16_sdwa s[12:13], v13, s4 src0_sel:BYTE_3 src1_sel:DWORD
	s_mov_b64 s[4:5], -1
                                        ; implicit-def: $sgpr10
	s_and_saveexec_b64 s[8:9], s[12:13]
; %bb.3898:
	s_mov_b32 s10, 0x7f800001
	s_xor_b64 s[4:5], exec, -1
; %bb.3899:
	s_or_b64 exec, exec, s[8:9]
	s_and_b64 s[4:5], s[4:5], exec
	s_or_saveexec_b64 s[6:7], s[6:7]
	v_mov_b32_e32 v8, s10
	s_xor_b64 exec, exec, s[6:7]
	s_cbranch_execz .LBB17_1850
.LBB17_3900:
	v_mov_b32_e32 v8, 0
	v_cmp_ne_u16_sdwa s[8:9], v13, v8 src0_sel:BYTE_3 src1_sel:DWORD
	s_andn2_b64 s[4:5], s[4:5], exec
	s_and_b64 s[8:9], s[8:9], exec
	s_or_b64 s[4:5], s[4:5], s[8:9]
	s_or_b64 exec, exec, s[6:7]
	s_and_saveexec_b64 s[6:7], s[4:5]
	s_cbranch_execnz .LBB17_1851
	s_branch .LBB17_1852
.LBB17_3901:
	s_movk_i32 s4, 0x80
	v_cmp_eq_u16_sdwa s[12:13], v9, s4 src0_sel:BYTE_3 src1_sel:DWORD
	s_mov_b64 s[4:5], -1
                                        ; implicit-def: $sgpr10
	s_and_saveexec_b64 s[8:9], s[12:13]
; %bb.3902:
	s_mov_b32 s10, 0x7f800001
	s_xor_b64 s[4:5], exec, -1
; %bb.3903:
	s_or_b64 exec, exec, s[8:9]
	s_and_b64 s[4:5], s[4:5], exec
	s_or_saveexec_b64 s[6:7], s[6:7]
	v_mov_b32_e32 v12, s10
	s_xor_b64 exec, exec, s[6:7]
	s_cbranch_execz .LBB17_1854
.LBB17_3904:
	v_mov_b32_e32 v12, 0
	v_cmp_ne_u16_sdwa s[8:9], v9, v12 src0_sel:BYTE_3 src1_sel:DWORD
	s_andn2_b64 s[4:5], s[4:5], exec
	s_and_b64 s[8:9], s[8:9], exec
	s_or_b64 s[4:5], s[4:5], s[8:9]
	s_or_b64 exec, exec, s[6:7]
	s_and_saveexec_b64 s[6:7], s[4:5]
	s_cbranch_execnz .LBB17_1855
	s_branch .LBB17_1856
.LBB17_3905:
	s_movk_i32 s4, 0x80
	v_cmp_eq_u16_sdwa s[12:13], v14, s4 src0_sel:BYTE_0 src1_sel:DWORD
	s_mov_b64 s[4:5], -1
                                        ; implicit-def: $sgpr10
	s_and_saveexec_b64 s[8:9], s[12:13]
; %bb.3906:
	s_mov_b32 s10, 0x7f800001
	s_xor_b64 s[4:5], exec, -1
; %bb.3907:
	s_or_b64 exec, exec, s[8:9]
	s_and_b64 s[4:5], s[4:5], exec
	s_or_saveexec_b64 s[6:7], s[6:7]
	v_mov_b32_e32 v8, s10
	s_xor_b64 exec, exec, s[6:7]
	s_cbranch_execz .LBB17_1858
.LBB17_3908:
	v_mov_b32_e32 v8, 0
	v_cmp_ne_u16_sdwa s[8:9], v14, v8 src0_sel:BYTE_0 src1_sel:DWORD
	s_andn2_b64 s[4:5], s[4:5], exec
	s_and_b64 s[8:9], s[8:9], exec
	s_or_b64 s[4:5], s[4:5], s[8:9]
	s_or_b64 exec, exec, s[6:7]
	s_and_saveexec_b64 s[6:7], s[4:5]
	s_cbranch_execnz .LBB17_1859
	s_branch .LBB17_1860
.LBB17_3909:
	s_movk_i32 s4, 0x80
	v_cmp_eq_u16_sdwa s[12:13], v10, s4 src0_sel:BYTE_0 src1_sel:DWORD
	s_mov_b64 s[4:5], -1
                                        ; implicit-def: $sgpr10
	s_and_saveexec_b64 s[8:9], s[12:13]
; %bb.3910:
	s_mov_b32 s10, 0x7f800001
	s_xor_b64 s[4:5], exec, -1
; %bb.3911:
	s_or_b64 exec, exec, s[8:9]
	s_and_b64 s[4:5], s[4:5], exec
	s_or_saveexec_b64 s[6:7], s[6:7]
	v_mov_b32_e32 v9, s10
	s_xor_b64 exec, exec, s[6:7]
	s_cbranch_execz .LBB17_1862
.LBB17_3912:
	v_mov_b32_e32 v9, 0
	v_cmp_ne_u16_sdwa s[8:9], v10, v9 src0_sel:BYTE_0 src1_sel:DWORD
	s_andn2_b64 s[4:5], s[4:5], exec
	s_and_b64 s[8:9], s[8:9], exec
	s_or_b64 s[4:5], s[4:5], s[8:9]
	s_or_b64 exec, exec, s[6:7]
	s_and_saveexec_b64 s[6:7], s[4:5]
	s_cbranch_execnz .LBB17_1863
	s_branch .LBB17_1864
.LBB17_3913:
	s_movk_i32 s4, 0x80
	v_cmp_eq_u16_sdwa s[12:13], v9, s4 src0_sel:BYTE_0 src1_sel:DWORD
	s_mov_b64 s[4:5], -1
                                        ; implicit-def: $sgpr10
	s_and_saveexec_b64 s[8:9], s[12:13]
; %bb.3914:
	s_mov_b32 s10, 0x7f800001
	s_xor_b64 s[4:5], exec, -1
; %bb.3915:
	s_or_b64 exec, exec, s[8:9]
	s_and_b64 s[4:5], s[4:5], exec
	s_or_saveexec_b64 s[6:7], s[6:7]
	v_mov_b32_e32 v8, s10
	s_xor_b64 exec, exec, s[6:7]
	s_cbranch_execz .LBB17_1866
.LBB17_3916:
	v_mov_b32_e32 v8, 0
	v_cmp_ne_u16_sdwa s[8:9], v9, v8 src0_sel:BYTE_0 src1_sel:DWORD
	s_andn2_b64 s[4:5], s[4:5], exec
	s_and_b64 s[8:9], s[8:9], exec
	s_or_b64 s[4:5], s[4:5], s[8:9]
	s_or_b64 exec, exec, s[6:7]
	s_and_saveexec_b64 s[6:7], s[4:5]
	s_cbranch_execnz .LBB17_1867
	s_branch .LBB17_1868
.LBB17_3917:
	s_movk_i32 s4, 0x80
	v_cmp_eq_u16_sdwa s[12:13], v9, s4 src0_sel:BYTE_0 src1_sel:DWORD
	s_mov_b64 s[4:5], -1
                                        ; implicit-def: $sgpr10
	s_and_saveexec_b64 s[8:9], s[12:13]
; %bb.3918:
	s_mov_b32 s10, 0x7f800001
	s_xor_b64 s[4:5], exec, -1
; %bb.3919:
	s_or_b64 exec, exec, s[8:9]
	s_and_b64 s[4:5], s[4:5], exec
	s_or_saveexec_b64 s[6:7], s[6:7]
	v_mov_b32_e32 v12, s10
	s_xor_b64 exec, exec, s[6:7]
	s_cbranch_execz .LBB17_1870
.LBB17_3920:
	v_mov_b32_e32 v12, 0
	v_cmp_ne_u16_sdwa s[8:9], v9, v12 src0_sel:BYTE_0 src1_sel:DWORD
	s_andn2_b64 s[4:5], s[4:5], exec
	s_and_b64 s[8:9], s[8:9], exec
	s_or_b64 s[4:5], s[4:5], s[8:9]
	s_or_b64 exec, exec, s[6:7]
	s_and_saveexec_b64 s[6:7], s[4:5]
	s_cbranch_execnz .LBB17_1871
	s_branch .LBB17_1872
.LBB17_3921:
	s_movk_i32 s4, 0x80
	v_cmp_eq_u16_e32 vcc, s4, v9
	s_mov_b64 s[4:5], -1
                                        ; implicit-def: $sgpr10
	s_and_saveexec_b64 s[8:9], vcc
; %bb.3922:
	s_mov_b32 s10, 0x7f800001
	s_xor_b64 s[4:5], exec, -1
; %bb.3923:
	s_or_b64 exec, exec, s[8:9]
	s_and_b64 s[4:5], s[4:5], exec
                                        ; implicit-def: $vgpr9
	s_or_saveexec_b64 s[6:7], s[6:7]
	v_mov_b32_e32 v8, s10
	s_xor_b64 exec, exec, s[6:7]
	s_cbranch_execz .LBB17_1874
.LBB17_3924:
	v_cmp_ne_u16_e32 vcc, 0, v9
	s_andn2_b64 s[4:5], s[4:5], exec
	s_and_b64 s[8:9], vcc, exec
	v_mov_b32_e32 v8, 0
	s_or_b64 s[4:5], s[4:5], s[8:9]
	s_or_b64 exec, exec, s[6:7]
	s_and_saveexec_b64 s[6:7], s[4:5]
	s_cbranch_execnz .LBB17_1875
	s_branch .LBB17_1876
.LBB17_3925:
	s_movk_i32 s4, 0x80
	v_cmp_eq_u16_e32 vcc, s4, v9
	s_mov_b64 s[4:5], -1
                                        ; implicit-def: $sgpr10
	s_and_saveexec_b64 s[8:9], vcc
; %bb.3926:
	s_mov_b32 s10, 0x7f800001
	s_xor_b64 s[4:5], exec, -1
; %bb.3927:
	s_or_b64 exec, exec, s[8:9]
	s_and_b64 s[4:5], s[4:5], exec
                                        ; implicit-def: $vgpr9
	s_or_saveexec_b64 s[6:7], s[6:7]
	v_mov_b32_e32 v12, s10
	s_xor_b64 exec, exec, s[6:7]
	s_cbranch_execz .LBB17_1878
.LBB17_3928:
	v_cmp_ne_u16_e32 vcc, 0, v9
	s_andn2_b64 s[4:5], s[4:5], exec
	s_and_b64 s[8:9], vcc, exec
	v_mov_b32_e32 v12, 0
	s_or_b64 s[4:5], s[4:5], s[8:9]
	s_or_b64 exec, exec, s[6:7]
	s_and_saveexec_b64 s[6:7], s[4:5]
	s_cbranch_execnz .LBB17_1879
	s_branch .LBB17_1880
.LBB17_3929:
	s_movk_i32 s4, 0x80
	v_cmp_eq_u16_sdwa s[12:13], v14, s4 src0_sel:BYTE_3 src1_sel:DWORD
	s_mov_b64 s[4:5], -1
                                        ; implicit-def: $sgpr10
	s_and_saveexec_b64 s[8:9], s[12:13]
; %bb.3930:
	s_mov_b32 s10, 0x7f800001
	s_xor_b64 s[4:5], exec, -1
; %bb.3931:
	s_or_b64 exec, exec, s[8:9]
	s_and_b64 s[4:5], s[4:5], exec
	s_or_saveexec_b64 s[6:7], s[6:7]
	v_mov_b32_e32 v8, s10
	s_xor_b64 exec, exec, s[6:7]
	s_cbranch_execz .LBB17_1882
.LBB17_3932:
	v_mov_b32_e32 v8, 0
	v_cmp_ne_u16_sdwa s[8:9], v14, v8 src0_sel:BYTE_3 src1_sel:DWORD
	s_andn2_b64 s[4:5], s[4:5], exec
	s_and_b64 s[8:9], s[8:9], exec
	s_or_b64 s[4:5], s[4:5], s[8:9]
	s_or_b64 exec, exec, s[6:7]
	s_and_saveexec_b64 s[6:7], s[4:5]
	s_cbranch_execnz .LBB17_1883
	s_branch .LBB17_1884
.LBB17_3933:
	s_movk_i32 s4, 0x80
	v_cmp_eq_u16_sdwa s[12:13], v10, s4 src0_sel:BYTE_3 src1_sel:DWORD
	s_mov_b64 s[4:5], -1
                                        ; implicit-def: $sgpr10
	s_and_saveexec_b64 s[8:9], s[12:13]
; %bb.3934:
	s_mov_b32 s10, 0x7f800001
	s_xor_b64 s[4:5], exec, -1
; %bb.3935:
	s_or_b64 exec, exec, s[8:9]
	s_and_b64 s[4:5], s[4:5], exec
	s_or_saveexec_b64 s[6:7], s[6:7]
	v_mov_b32_e32 v9, s10
	s_xor_b64 exec, exec, s[6:7]
	s_cbranch_execz .LBB17_1886
.LBB17_3936:
	v_mov_b32_e32 v9, 0
	v_cmp_ne_u16_sdwa s[8:9], v10, v9 src0_sel:BYTE_3 src1_sel:DWORD
	s_andn2_b64 s[4:5], s[4:5], exec
	s_and_b64 s[8:9], s[8:9], exec
	s_or_b64 s[4:5], s[4:5], s[8:9]
	s_or_b64 exec, exec, s[6:7]
	s_and_saveexec_b64 s[6:7], s[4:5]
	s_cbranch_execnz .LBB17_1887
	s_branch .LBB17_1888
.LBB17_3937:
	s_movk_i32 s4, 0x80
	v_cmp_eq_u16_sdwa s[12:13], v15, s4 src0_sel:BYTE_0 src1_sel:DWORD
	s_mov_b64 s[4:5], -1
                                        ; implicit-def: $sgpr10
	s_and_saveexec_b64 s[8:9], s[12:13]
; %bb.3938:
	s_mov_b32 s10, 0x7f800001
	s_xor_b64 s[4:5], exec, -1
; %bb.3939:
	s_or_b64 exec, exec, s[8:9]
	s_and_b64 s[4:5], s[4:5], exec
	s_or_saveexec_b64 s[6:7], s[6:7]
	v_mov_b32_e32 v8, s10
	s_xor_b64 exec, exec, s[6:7]
	s_cbranch_execz .LBB17_1890
.LBB17_3940:
	v_mov_b32_e32 v8, 0
	v_cmp_ne_u16_sdwa s[8:9], v15, v8 src0_sel:BYTE_0 src1_sel:DWORD
	s_andn2_b64 s[4:5], s[4:5], exec
	s_and_b64 s[8:9], s[8:9], exec
	s_or_b64 s[4:5], s[4:5], s[8:9]
	s_or_b64 exec, exec, s[6:7]
	s_and_saveexec_b64 s[6:7], s[4:5]
	s_cbranch_execnz .LBB17_1891
	s_branch .LBB17_1892
.LBB17_3941:
	s_movk_i32 s4, 0x80
	v_cmp_eq_u16_sdwa s[12:13], v11, s4 src0_sel:BYTE_0 src1_sel:DWORD
	s_mov_b64 s[4:5], -1
                                        ; implicit-def: $sgpr10
	s_and_saveexec_b64 s[8:9], s[12:13]
; %bb.3942:
	s_mov_b32 s10, 0x7f800001
	s_xor_b64 s[4:5], exec, -1
; %bb.3943:
	s_or_b64 exec, exec, s[8:9]
	s_and_b64 s[4:5], s[4:5], exec
	s_or_saveexec_b64 s[6:7], s[6:7]
	v_mov_b32_e32 v9, s10
	s_xor_b64 exec, exec, s[6:7]
	s_cbranch_execz .LBB17_1894
.LBB17_3944:
	v_mov_b32_e32 v9, 0
	v_cmp_ne_u16_sdwa s[8:9], v11, v9 src0_sel:BYTE_0 src1_sel:DWORD
	s_andn2_b64 s[4:5], s[4:5], exec
	s_and_b64 s[8:9], s[8:9], exec
	s_or_b64 s[4:5], s[4:5], s[8:9]
	s_or_b64 exec, exec, s[6:7]
	s_and_saveexec_b64 s[6:7], s[4:5]
	s_cbranch_execnz .LBB17_1895
	s_branch .LBB17_1896
.LBB17_3945:
	s_movk_i32 s4, 0x80
	v_cmp_eq_u16_sdwa s[12:13], v9, s4 src0_sel:BYTE_0 src1_sel:DWORD
	s_mov_b64 s[4:5], -1
                                        ; implicit-def: $sgpr10
	s_and_saveexec_b64 s[8:9], s[12:13]
; %bb.3946:
	s_mov_b32 s10, 0x7f800001
	s_xor_b64 s[4:5], exec, -1
; %bb.3947:
	s_or_b64 exec, exec, s[8:9]
	s_and_b64 s[4:5], s[4:5], exec
	s_or_saveexec_b64 s[6:7], s[6:7]
	v_mov_b32_e32 v8, s10
	s_xor_b64 exec, exec, s[6:7]
	s_cbranch_execz .LBB17_1898
.LBB17_3948:
	v_mov_b32_e32 v8, 0
	v_cmp_ne_u16_sdwa s[8:9], v9, v8 src0_sel:BYTE_0 src1_sel:DWORD
	s_andn2_b64 s[4:5], s[4:5], exec
	s_and_b64 s[8:9], s[8:9], exec
	s_or_b64 s[4:5], s[4:5], s[8:9]
	s_or_b64 exec, exec, s[6:7]
	s_and_saveexec_b64 s[6:7], s[4:5]
	s_cbranch_execnz .LBB17_1899
	s_branch .LBB17_1900
.LBB17_3949:
	s_movk_i32 s4, 0x80
	v_cmp_eq_u16_sdwa s[12:13], v9, s4 src0_sel:BYTE_0 src1_sel:DWORD
	s_mov_b64 s[4:5], -1
                                        ; implicit-def: $sgpr10
	s_and_saveexec_b64 s[8:9], s[12:13]
; %bb.3950:
	s_mov_b32 s10, 0x7f800001
	s_xor_b64 s[4:5], exec, -1
; %bb.3951:
	s_or_b64 exec, exec, s[8:9]
	s_and_b64 s[4:5], s[4:5], exec
	s_or_saveexec_b64 s[6:7], s[6:7]
	v_mov_b32_e32 v10, s10
	s_xor_b64 exec, exec, s[6:7]
	s_cbranch_execz .LBB17_1902
.LBB17_3952:
	v_mov_b32_e32 v10, 0
	v_cmp_ne_u16_sdwa s[8:9], v9, v10 src0_sel:BYTE_0 src1_sel:DWORD
	s_andn2_b64 s[4:5], s[4:5], exec
	s_and_b64 s[8:9], s[8:9], exec
	s_or_b64 s[4:5], s[4:5], s[8:9]
	s_or_b64 exec, exec, s[6:7]
	s_and_saveexec_b64 s[6:7], s[4:5]
	s_cbranch_execnz .LBB17_1903
	s_branch .LBB17_1904
.LBB17_3953:
	s_movk_i32 s4, 0x80
	v_cmp_eq_u16_e32 vcc, s4, v9
	s_mov_b64 s[4:5], -1
                                        ; implicit-def: $sgpr10
	s_and_saveexec_b64 s[8:9], vcc
; %bb.3954:
	s_mov_b32 s10, 0x7f800001
	s_xor_b64 s[4:5], exec, -1
; %bb.3955:
	s_or_b64 exec, exec, s[8:9]
	s_and_b64 s[4:5], s[4:5], exec
                                        ; implicit-def: $vgpr9
	s_or_saveexec_b64 s[6:7], s[6:7]
	v_mov_b32_e32 v8, s10
	s_xor_b64 exec, exec, s[6:7]
	s_cbranch_execz .LBB17_1906
.LBB17_3956:
	v_cmp_ne_u16_e32 vcc, 0, v9
	s_andn2_b64 s[4:5], s[4:5], exec
	s_and_b64 s[8:9], vcc, exec
	v_mov_b32_e32 v8, 0
	s_or_b64 s[4:5], s[4:5], s[8:9]
	s_or_b64 exec, exec, s[6:7]
	s_and_saveexec_b64 s[6:7], s[4:5]
	s_cbranch_execnz .LBB17_1907
	s_branch .LBB17_1908
.LBB17_3957:
	s_movk_i32 s4, 0x80
	v_cmp_eq_u16_e32 vcc, s4, v9
	s_mov_b64 s[4:5], -1
                                        ; implicit-def: $sgpr10
	s_and_saveexec_b64 s[8:9], vcc
; %bb.3958:
	s_mov_b32 s10, 0x7f800001
	s_xor_b64 s[4:5], exec, -1
; %bb.3959:
	s_or_b64 exec, exec, s[8:9]
	s_and_b64 s[4:5], s[4:5], exec
                                        ; implicit-def: $vgpr9
	s_or_saveexec_b64 s[6:7], s[6:7]
	v_mov_b32_e32 v10, s10
	s_xor_b64 exec, exec, s[6:7]
	s_cbranch_execz .LBB17_1910
.LBB17_3960:
	v_cmp_ne_u16_e32 vcc, 0, v9
	s_andn2_b64 s[4:5], s[4:5], exec
	s_and_b64 s[8:9], vcc, exec
	v_mov_b32_e32 v10, 0
	s_or_b64 s[4:5], s[4:5], s[8:9]
	s_or_b64 exec, exec, s[6:7]
	s_and_saveexec_b64 s[6:7], s[4:5]
	s_cbranch_execnz .LBB17_1911
	s_branch .LBB17_1912
.LBB17_3961:
	s_movk_i32 s4, 0x80
	v_cmp_eq_u16_sdwa s[12:13], v15, s4 src0_sel:BYTE_3 src1_sel:DWORD
	s_mov_b64 s[4:5], -1
                                        ; implicit-def: $sgpr10
	s_and_saveexec_b64 s[8:9], s[12:13]
; %bb.3962:
	s_mov_b32 s10, 0x7f800001
	s_xor_b64 s[4:5], exec, -1
; %bb.3963:
	s_or_b64 exec, exec, s[8:9]
	s_and_b64 s[4:5], s[4:5], exec
	s_or_saveexec_b64 s[6:7], s[6:7]
	v_mov_b32_e32 v8, s10
	s_xor_b64 exec, exec, s[6:7]
	s_cbranch_execz .LBB17_1914
.LBB17_3964:
	v_mov_b32_e32 v8, 0
	v_cmp_ne_u16_sdwa s[8:9], v15, v8 src0_sel:BYTE_3 src1_sel:DWORD
	s_andn2_b64 s[4:5], s[4:5], exec
	s_and_b64 s[8:9], s[8:9], exec
	s_or_b64 s[4:5], s[4:5], s[8:9]
	s_or_b64 exec, exec, s[6:7]
	s_and_saveexec_b64 s[6:7], s[4:5]
	s_cbranch_execnz .LBB17_1915
	s_branch .LBB17_1916
.LBB17_3965:
	s_movk_i32 s4, 0x80
	v_cmp_eq_u16_sdwa s[12:13], v11, s4 src0_sel:BYTE_3 src1_sel:DWORD
	s_mov_b64 s[4:5], -1
                                        ; implicit-def: $sgpr10
	s_and_saveexec_b64 s[8:9], s[12:13]
; %bb.3966:
	s_mov_b32 s10, 0x7f800001
	s_xor_b64 s[4:5], exec, -1
; %bb.3967:
	s_or_b64 exec, exec, s[8:9]
	s_and_b64 s[4:5], s[4:5], exec
	s_or_saveexec_b64 s[6:7], s[6:7]
	v_mov_b32_e32 v9, s10
	s_xor_b64 exec, exec, s[6:7]
	s_cbranch_execz .LBB17_1918
.LBB17_3968:
	v_mov_b32_e32 v9, 0
	v_cmp_ne_u16_sdwa s[8:9], v11, v9 src0_sel:BYTE_3 src1_sel:DWORD
	s_andn2_b64 s[4:5], s[4:5], exec
	s_and_b64 s[8:9], s[8:9], exec
	s_or_b64 s[4:5], s[4:5], s[8:9]
	s_or_b64 exec, exec, s[6:7]
	s_and_saveexec_b64 s[6:7], s[4:5]
	s_cbranch_execnz .LBB17_1919
	s_branch .LBB17_1920
.LBB17_3969:
	s_movk_i32 s4, 0x80
	v_cmp_eq_u16_sdwa s[12:13], v4, s4 src0_sel:BYTE_0 src1_sel:DWORD
	s_mov_b64 s[4:5], -1
                                        ; implicit-def: $sgpr10
	s_and_saveexec_b64 s[8:9], s[12:13]
; %bb.3970:
	s_mov_b32 s10, 0x7f800001
	s_xor_b64 s[4:5], exec, -1
; %bb.3971:
	s_or_b64 exec, exec, s[8:9]
	s_and_b64 s[4:5], s[4:5], exec
	s_or_saveexec_b64 s[6:7], s[6:7]
	v_mov_b32_e32 v8, s10
	s_xor_b64 exec, exec, s[6:7]
	s_cbranch_execz .LBB17_1922
.LBB17_3972:
	v_mov_b32_e32 v8, 0
	v_cmp_ne_u16_sdwa s[8:9], v4, v8 src0_sel:BYTE_0 src1_sel:DWORD
	s_andn2_b64 s[4:5], s[4:5], exec
	s_and_b64 s[8:9], s[8:9], exec
	s_or_b64 s[4:5], s[4:5], s[8:9]
	s_or_b64 exec, exec, s[6:7]
	s_and_saveexec_b64 s[6:7], s[4:5]
	s_cbranch_execnz .LBB17_1923
	s_branch .LBB17_1924
.LBB17_3973:
	s_movk_i32 s4, 0x80
	v_cmp_eq_u16_sdwa s[12:13], v0, s4 src0_sel:BYTE_0 src1_sel:DWORD
	s_mov_b64 s[4:5], -1
                                        ; implicit-def: $sgpr10
	s_and_saveexec_b64 s[8:9], s[12:13]
; %bb.3974:
	s_mov_b32 s10, 0x7f800001
	s_xor_b64 s[4:5], exec, -1
; %bb.3975:
	s_or_b64 exec, exec, s[8:9]
	s_and_b64 s[4:5], s[4:5], exec
	s_or_saveexec_b64 s[6:7], s[6:7]
	v_mov_b32_e32 v9, s10
	s_xor_b64 exec, exec, s[6:7]
	s_cbranch_execz .LBB17_1926
.LBB17_3976:
	v_mov_b32_e32 v9, 0
	v_cmp_ne_u16_sdwa s[8:9], v0, v9 src0_sel:BYTE_0 src1_sel:DWORD
	s_andn2_b64 s[4:5], s[4:5], exec
	s_and_b64 s[8:9], s[8:9], exec
	s_or_b64 s[4:5], s[4:5], s[8:9]
	s_or_b64 exec, exec, s[6:7]
	s_and_saveexec_b64 s[6:7], s[4:5]
	s_cbranch_execnz .LBB17_1927
	s_branch .LBB17_1928
.LBB17_3977:
	s_movk_i32 s4, 0x80
	v_cmp_eq_u16_sdwa s[12:13], v9, s4 src0_sel:BYTE_0 src1_sel:DWORD
	s_mov_b64 s[4:5], -1
                                        ; implicit-def: $sgpr10
	s_and_saveexec_b64 s[8:9], s[12:13]
; %bb.3978:
	s_mov_b32 s10, 0x7f800001
	s_xor_b64 s[4:5], exec, -1
; %bb.3979:
	s_or_b64 exec, exec, s[8:9]
	s_and_b64 s[4:5], s[4:5], exec
	s_or_saveexec_b64 s[6:7], s[6:7]
	v_mov_b32_e32 v8, s10
	s_xor_b64 exec, exec, s[6:7]
	s_cbranch_execz .LBB17_1930
.LBB17_3980:
	v_mov_b32_e32 v8, 0
	v_cmp_ne_u16_sdwa s[8:9], v9, v8 src0_sel:BYTE_0 src1_sel:DWORD
	s_andn2_b64 s[4:5], s[4:5], exec
	s_and_b64 s[8:9], s[8:9], exec
	s_or_b64 s[4:5], s[4:5], s[8:9]
	s_or_b64 exec, exec, s[6:7]
	s_and_saveexec_b64 s[6:7], s[4:5]
	s_cbranch_execnz .LBB17_1931
	s_branch .LBB17_1932
.LBB17_3981:
	s_movk_i32 s4, 0x80
	v_cmp_eq_u16_sdwa s[12:13], v9, s4 src0_sel:BYTE_0 src1_sel:DWORD
	s_mov_b64 s[4:5], -1
                                        ; implicit-def: $sgpr10
	s_and_saveexec_b64 s[8:9], s[12:13]
; %bb.3982:
	s_mov_b32 s10, 0x7f800001
	s_xor_b64 s[4:5], exec, -1
; %bb.3983:
	s_or_b64 exec, exec, s[8:9]
	s_and_b64 s[4:5], s[4:5], exec
	s_or_saveexec_b64 s[6:7], s[6:7]
	v_mov_b32_e32 v10, s10
	s_xor_b64 exec, exec, s[6:7]
	s_cbranch_execz .LBB17_1934
.LBB17_3984:
	v_mov_b32_e32 v10, 0
	v_cmp_ne_u16_sdwa s[8:9], v9, v10 src0_sel:BYTE_0 src1_sel:DWORD
	s_andn2_b64 s[4:5], s[4:5], exec
	s_and_b64 s[8:9], s[8:9], exec
	s_or_b64 s[4:5], s[4:5], s[8:9]
	s_or_b64 exec, exec, s[6:7]
	s_and_saveexec_b64 s[6:7], s[4:5]
	s_cbranch_execnz .LBB17_1935
	s_branch .LBB17_1936
.LBB17_3985:
	s_movk_i32 s4, 0x80
	v_cmp_eq_u16_e32 vcc, s4, v9
	s_mov_b64 s[4:5], -1
                                        ; implicit-def: $sgpr10
	s_and_saveexec_b64 s[8:9], vcc
; %bb.3986:
	s_mov_b32 s10, 0x7f800001
	s_xor_b64 s[4:5], exec, -1
; %bb.3987:
	s_or_b64 exec, exec, s[8:9]
	s_and_b64 s[4:5], s[4:5], exec
                                        ; implicit-def: $vgpr9
	s_or_saveexec_b64 s[6:7], s[6:7]
	v_mov_b32_e32 v8, s10
	s_xor_b64 exec, exec, s[6:7]
	s_cbranch_execz .LBB17_1938
.LBB17_3988:
	v_cmp_ne_u16_e32 vcc, 0, v9
	s_andn2_b64 s[4:5], s[4:5], exec
	s_and_b64 s[8:9], vcc, exec
	v_mov_b32_e32 v8, 0
	s_or_b64 s[4:5], s[4:5], s[8:9]
	s_or_b64 exec, exec, s[6:7]
	s_and_saveexec_b64 s[6:7], s[4:5]
	s_cbranch_execnz .LBB17_1939
	s_branch .LBB17_1940
.LBB17_3989:
	s_movk_i32 s4, 0x80
	v_cmp_eq_u16_e32 vcc, s4, v9
	s_mov_b64 s[4:5], -1
                                        ; implicit-def: $sgpr10
	s_and_saveexec_b64 s[8:9], vcc
; %bb.3990:
	s_mov_b32 s10, 0x7f800001
	s_xor_b64 s[4:5], exec, -1
; %bb.3991:
	s_or_b64 exec, exec, s[8:9]
	s_and_b64 s[4:5], s[4:5], exec
                                        ; implicit-def: $vgpr9
	s_or_saveexec_b64 s[6:7], s[6:7]
	v_mov_b32_e32 v10, s10
	s_xor_b64 exec, exec, s[6:7]
	s_cbranch_execz .LBB17_1942
.LBB17_3992:
	v_cmp_ne_u16_e32 vcc, 0, v9
	s_andn2_b64 s[4:5], s[4:5], exec
	s_and_b64 s[8:9], vcc, exec
	v_mov_b32_e32 v10, 0
	s_or_b64 s[4:5], s[4:5], s[8:9]
	s_or_b64 exec, exec, s[6:7]
	s_and_saveexec_b64 s[6:7], s[4:5]
	s_cbranch_execnz .LBB17_1943
	s_branch .LBB17_1944
.LBB17_3993:
	s_movk_i32 s4, 0x80
	v_cmp_eq_u16_sdwa s[12:13], v4, s4 src0_sel:BYTE_3 src1_sel:DWORD
	s_mov_b64 s[4:5], -1
                                        ; implicit-def: $sgpr10
	s_and_saveexec_b64 s[8:9], s[12:13]
; %bb.3994:
	s_mov_b32 s10, 0x7f800001
	s_xor_b64 s[4:5], exec, -1
; %bb.3995:
	s_or_b64 exec, exec, s[8:9]
	s_and_b64 s[4:5], s[4:5], exec
	s_or_saveexec_b64 s[6:7], s[6:7]
	v_mov_b32_e32 v8, s10
	s_xor_b64 exec, exec, s[6:7]
	s_cbranch_execz .LBB17_1946
.LBB17_3996:
	v_mov_b32_e32 v8, 0
	v_cmp_ne_u16_sdwa s[8:9], v4, v8 src0_sel:BYTE_3 src1_sel:DWORD
	s_andn2_b64 s[4:5], s[4:5], exec
	s_and_b64 s[8:9], s[8:9], exec
	s_or_b64 s[4:5], s[4:5], s[8:9]
	s_or_b64 exec, exec, s[6:7]
	s_and_saveexec_b64 s[6:7], s[4:5]
	s_cbranch_execnz .LBB17_1947
	s_branch .LBB17_1948
.LBB17_3997:
	s_movk_i32 s4, 0x80
	v_cmp_eq_u16_sdwa s[12:13], v0, s4 src0_sel:BYTE_3 src1_sel:DWORD
	s_mov_b64 s[4:5], -1
                                        ; implicit-def: $sgpr10
	s_and_saveexec_b64 s[8:9], s[12:13]
; %bb.3998:
	s_mov_b32 s10, 0x7f800001
	s_xor_b64 s[4:5], exec, -1
; %bb.3999:
	s_or_b64 exec, exec, s[8:9]
	s_and_b64 s[4:5], s[4:5], exec
	s_or_saveexec_b64 s[6:7], s[6:7]
	v_mov_b32_e32 v4, s10
	s_xor_b64 exec, exec, s[6:7]
	s_cbranch_execz .LBB17_1950
.LBB17_4000:
	v_mov_b32_e32 v4, 0
	v_cmp_ne_u16_sdwa s[8:9], v0, v4 src0_sel:BYTE_3 src1_sel:DWORD
	s_andn2_b64 s[4:5], s[4:5], exec
	s_and_b64 s[8:9], s[8:9], exec
	s_or_b64 s[4:5], s[4:5], s[8:9]
	s_or_b64 exec, exec, s[6:7]
	s_and_saveexec_b64 s[6:7], s[4:5]
	s_cbranch_execnz .LBB17_1951
	s_branch .LBB17_1952
.LBB17_4001:
	s_movk_i32 s4, 0x80
	v_cmp_eq_u16_sdwa s[12:13], v5, s4 src0_sel:BYTE_0 src1_sel:DWORD
	s_mov_b64 s[4:5], -1
                                        ; implicit-def: $sgpr10
	s_and_saveexec_b64 s[8:9], s[12:13]
; %bb.4002:
	s_mov_b32 s10, 0x7f800001
	s_xor_b64 s[4:5], exec, -1
; %bb.4003:
	s_or_b64 exec, exec, s[8:9]
	s_and_b64 s[4:5], s[4:5], exec
	s_or_saveexec_b64 s[6:7], s[6:7]
	v_mov_b32_e32 v0, s10
	s_xor_b64 exec, exec, s[6:7]
	s_cbranch_execz .LBB17_1954
.LBB17_4004:
	v_mov_b32_e32 v0, 0
	v_cmp_ne_u16_sdwa s[8:9], v5, v0 src0_sel:BYTE_0 src1_sel:DWORD
	s_andn2_b64 s[4:5], s[4:5], exec
	s_and_b64 s[8:9], s[8:9], exec
	s_or_b64 s[4:5], s[4:5], s[8:9]
	s_or_b64 exec, exec, s[6:7]
	s_and_saveexec_b64 s[6:7], s[4:5]
	s_cbranch_execnz .LBB17_1955
	s_branch .LBB17_1956
.LBB17_4005:
	s_movk_i32 s4, 0x80
	v_cmp_eq_u16_sdwa s[12:13], v1, s4 src0_sel:BYTE_0 src1_sel:DWORD
	s_mov_b64 s[4:5], -1
                                        ; implicit-def: $sgpr10
	s_and_saveexec_b64 s[8:9], s[12:13]
; %bb.4006:
	s_mov_b32 s10, 0x7f800001
	s_xor_b64 s[4:5], exec, -1
; %bb.4007:
	s_or_b64 exec, exec, s[8:9]
	s_and_b64 s[4:5], s[4:5], exec
	s_or_saveexec_b64 s[6:7], s[6:7]
	v_mov_b32_e32 v4, s10
	s_xor_b64 exec, exec, s[6:7]
	s_cbranch_execz .LBB17_1958
.LBB17_4008:
	v_mov_b32_e32 v4, 0
	v_cmp_ne_u16_sdwa s[8:9], v1, v4 src0_sel:BYTE_0 src1_sel:DWORD
	s_andn2_b64 s[4:5], s[4:5], exec
	s_and_b64 s[8:9], s[8:9], exec
	s_or_b64 s[4:5], s[4:5], s[8:9]
	s_or_b64 exec, exec, s[6:7]
	s_and_saveexec_b64 s[6:7], s[4:5]
	s_cbranch_execnz .LBB17_1959
	s_branch .LBB17_1960
.LBB17_4009:
	s_movk_i32 s4, 0x80
	v_cmp_eq_u16_sdwa s[12:13], v4, s4 src0_sel:BYTE_0 src1_sel:DWORD
	s_mov_b64 s[4:5], -1
                                        ; implicit-def: $sgpr10
	s_and_saveexec_b64 s[8:9], s[12:13]
; %bb.4010:
	s_mov_b32 s10, 0x7f800001
	s_xor_b64 s[4:5], exec, -1
; %bb.4011:
	s_or_b64 exec, exec, s[8:9]
	s_and_b64 s[4:5], s[4:5], exec
	s_or_saveexec_b64 s[6:7], s[6:7]
	v_mov_b32_e32 v0, s10
	s_xor_b64 exec, exec, s[6:7]
	s_cbranch_execz .LBB17_1962
.LBB17_4012:
	v_mov_b32_e32 v0, 0
	v_cmp_ne_u16_sdwa s[8:9], v4, v0 src0_sel:BYTE_0 src1_sel:DWORD
	s_andn2_b64 s[4:5], s[4:5], exec
	s_and_b64 s[8:9], s[8:9], exec
	s_or_b64 s[4:5], s[4:5], s[8:9]
	s_or_b64 exec, exec, s[6:7]
	s_and_saveexec_b64 s[6:7], s[4:5]
	s_cbranch_execnz .LBB17_1963
	s_branch .LBB17_1964
.LBB17_4013:
	s_movk_i32 s4, 0x80
	v_cmp_eq_u16_sdwa s[12:13], v4, s4 src0_sel:BYTE_0 src1_sel:DWORD
	s_mov_b64 s[4:5], -1
                                        ; implicit-def: $sgpr10
	s_and_saveexec_b64 s[8:9], s[12:13]
; %bb.4014:
	s_mov_b32 s10, 0x7f800001
	s_xor_b64 s[4:5], exec, -1
; %bb.4015:
	s_or_b64 exec, exec, s[8:9]
	s_and_b64 s[4:5], s[4:5], exec
	s_or_saveexec_b64 s[6:7], s[6:7]
	v_mov_b32_e32 v8, s10
	s_xor_b64 exec, exec, s[6:7]
	s_cbranch_execz .LBB17_1966
.LBB17_4016:
	v_mov_b32_e32 v8, 0
	v_cmp_ne_u16_sdwa s[8:9], v4, v8 src0_sel:BYTE_0 src1_sel:DWORD
	s_andn2_b64 s[4:5], s[4:5], exec
	s_and_b64 s[8:9], s[8:9], exec
	s_or_b64 s[4:5], s[4:5], s[8:9]
	s_or_b64 exec, exec, s[6:7]
	s_and_saveexec_b64 s[6:7], s[4:5]
	s_cbranch_execnz .LBB17_1967
	s_branch .LBB17_1968
.LBB17_4017:
	s_movk_i32 s4, 0x80
	v_cmp_eq_u16_e32 vcc, s4, v4
	s_mov_b64 s[4:5], -1
                                        ; implicit-def: $sgpr10
	s_and_saveexec_b64 s[8:9], vcc
; %bb.4018:
	s_mov_b32 s10, 0x7f800001
	s_xor_b64 s[4:5], exec, -1
; %bb.4019:
	s_or_b64 exec, exec, s[8:9]
	s_and_b64 s[4:5], s[4:5], exec
                                        ; implicit-def: $vgpr4
	s_or_saveexec_b64 s[6:7], s[6:7]
	v_mov_b32_e32 v0, s10
	s_xor_b64 exec, exec, s[6:7]
	s_cbranch_execz .LBB17_1970
.LBB17_4020:
	v_cmp_ne_u16_e32 vcc, 0, v4
	s_andn2_b64 s[4:5], s[4:5], exec
	s_and_b64 s[8:9], vcc, exec
	v_mov_b32_e32 v0, 0
	s_or_b64 s[4:5], s[4:5], s[8:9]
	s_or_b64 exec, exec, s[6:7]
	s_and_saveexec_b64 s[6:7], s[4:5]
	s_cbranch_execnz .LBB17_1971
	s_branch .LBB17_1972
.LBB17_4021:
	s_movk_i32 s4, 0x80
	v_cmp_eq_u16_e32 vcc, s4, v4
	s_mov_b64 s[4:5], -1
                                        ; implicit-def: $sgpr10
	s_and_saveexec_b64 s[8:9], vcc
; %bb.4022:
	s_mov_b32 s10, 0x7f800001
	s_xor_b64 s[4:5], exec, -1
; %bb.4023:
	s_or_b64 exec, exec, s[8:9]
	s_and_b64 s[4:5], s[4:5], exec
                                        ; implicit-def: $vgpr4
	s_or_saveexec_b64 s[6:7], s[6:7]
	v_mov_b32_e32 v8, s10
	s_xor_b64 exec, exec, s[6:7]
	s_cbranch_execz .LBB17_1974
.LBB17_4024:
	v_cmp_ne_u16_e32 vcc, 0, v4
	s_andn2_b64 s[4:5], s[4:5], exec
	s_and_b64 s[8:9], vcc, exec
	v_mov_b32_e32 v8, 0
	s_or_b64 s[4:5], s[4:5], s[8:9]
	s_or_b64 exec, exec, s[6:7]
	s_and_saveexec_b64 s[6:7], s[4:5]
	s_cbranch_execnz .LBB17_1975
	s_branch .LBB17_1976
.LBB17_4025:
	s_movk_i32 s4, 0x80
	v_cmp_eq_u16_sdwa s[12:13], v5, s4 src0_sel:BYTE_3 src1_sel:DWORD
	s_mov_b64 s[4:5], -1
                                        ; implicit-def: $sgpr10
	s_and_saveexec_b64 s[8:9], s[12:13]
; %bb.4026:
	s_mov_b32 s10, 0x7f800001
	s_xor_b64 s[4:5], exec, -1
; %bb.4027:
	s_or_b64 exec, exec, s[8:9]
	s_and_b64 s[4:5], s[4:5], exec
	s_or_saveexec_b64 s[6:7], s[6:7]
	v_mov_b32_e32 v0, s10
	s_xor_b64 exec, exec, s[6:7]
	s_cbranch_execz .LBB17_1978
.LBB17_4028:
	v_mov_b32_e32 v0, 0
	v_cmp_ne_u16_sdwa s[8:9], v5, v0 src0_sel:BYTE_3 src1_sel:DWORD
	s_andn2_b64 s[4:5], s[4:5], exec
	s_and_b64 s[8:9], s[8:9], exec
	s_or_b64 s[4:5], s[4:5], s[8:9]
	s_or_b64 exec, exec, s[6:7]
	s_and_saveexec_b64 s[6:7], s[4:5]
	s_cbranch_execnz .LBB17_1979
	s_branch .LBB17_1980
.LBB17_4029:
	s_movk_i32 s4, 0x80
	v_cmp_eq_u16_sdwa s[12:13], v1, s4 src0_sel:BYTE_3 src1_sel:DWORD
	s_mov_b64 s[4:5], -1
                                        ; implicit-def: $sgpr10
	s_and_saveexec_b64 s[8:9], s[12:13]
; %bb.4030:
	s_mov_b32 s10, 0x7f800001
	s_xor_b64 s[4:5], exec, -1
; %bb.4031:
	s_or_b64 exec, exec, s[8:9]
	s_and_b64 s[4:5], s[4:5], exec
	s_or_saveexec_b64 s[6:7], s[6:7]
	v_mov_b32_e32 v4, s10
	s_xor_b64 exec, exec, s[6:7]
	s_cbranch_execz .LBB17_1982
.LBB17_4032:
	v_mov_b32_e32 v4, 0
	v_cmp_ne_u16_sdwa s[8:9], v1, v4 src0_sel:BYTE_3 src1_sel:DWORD
	s_andn2_b64 s[4:5], s[4:5], exec
	s_and_b64 s[8:9], s[8:9], exec
	s_or_b64 s[4:5], s[4:5], s[8:9]
	s_or_b64 exec, exec, s[6:7]
	s_and_saveexec_b64 s[6:7], s[4:5]
	s_cbranch_execnz .LBB17_1983
	s_branch .LBB17_1984
.LBB17_4033:
	s_movk_i32 s4, 0x80
	v_cmp_eq_u16_sdwa s[12:13], v6, s4 src0_sel:BYTE_0 src1_sel:DWORD
	s_mov_b64 s[4:5], -1
                                        ; implicit-def: $sgpr10
	s_and_saveexec_b64 s[8:9], s[12:13]
; %bb.4034:
	s_mov_b32 s10, 0x7f800001
	s_xor_b64 s[4:5], exec, -1
; %bb.4035:
	s_or_b64 exec, exec, s[8:9]
	s_and_b64 s[4:5], s[4:5], exec
	s_or_saveexec_b64 s[6:7], s[6:7]
	v_mov_b32_e32 v0, s10
	s_xor_b64 exec, exec, s[6:7]
	s_cbranch_execz .LBB17_1986
.LBB17_4036:
	v_mov_b32_e32 v0, 0
	v_cmp_ne_u16_sdwa s[8:9], v6, v0 src0_sel:BYTE_0 src1_sel:DWORD
	s_andn2_b64 s[4:5], s[4:5], exec
	s_and_b64 s[8:9], s[8:9], exec
	s_or_b64 s[4:5], s[4:5], s[8:9]
	s_or_b64 exec, exec, s[6:7]
	s_and_saveexec_b64 s[6:7], s[4:5]
	s_cbranch_execnz .LBB17_1987
	s_branch .LBB17_1988
.LBB17_4037:
	s_movk_i32 s4, 0x80
	v_cmp_eq_u16_sdwa s[12:13], v2, s4 src0_sel:BYTE_0 src1_sel:DWORD
	s_mov_b64 s[4:5], -1
                                        ; implicit-def: $sgpr10
	s_and_saveexec_b64 s[8:9], s[12:13]
; %bb.4038:
	s_mov_b32 s10, 0x7f800001
	s_xor_b64 s[4:5], exec, -1
; %bb.4039:
	s_or_b64 exec, exec, s[8:9]
	s_and_b64 s[4:5], s[4:5], exec
	s_or_saveexec_b64 s[6:7], s[6:7]
	v_mov_b32_e32 v1, s10
	s_xor_b64 exec, exec, s[6:7]
	s_cbranch_execz .LBB17_1990
.LBB17_4040:
	v_mov_b32_e32 v1, 0
	v_cmp_ne_u16_sdwa s[8:9], v2, v1 src0_sel:BYTE_0 src1_sel:DWORD
	s_andn2_b64 s[4:5], s[4:5], exec
	s_and_b64 s[8:9], s[8:9], exec
	s_or_b64 s[4:5], s[4:5], s[8:9]
	s_or_b64 exec, exec, s[6:7]
	s_and_saveexec_b64 s[6:7], s[4:5]
	s_cbranch_execnz .LBB17_1991
	s_branch .LBB17_1992
.LBB17_4041:
	s_movk_i32 s4, 0x80
	v_cmp_eq_u16_sdwa s[12:13], v1, s4 src0_sel:BYTE_0 src1_sel:DWORD
	s_mov_b64 s[4:5], -1
                                        ; implicit-def: $sgpr10
	s_and_saveexec_b64 s[8:9], s[12:13]
; %bb.4042:
	s_mov_b32 s10, 0x7f800001
	s_xor_b64 s[4:5], exec, -1
; %bb.4043:
	s_or_b64 exec, exec, s[8:9]
	s_and_b64 s[4:5], s[4:5], exec
	s_or_saveexec_b64 s[6:7], s[6:7]
	v_mov_b32_e32 v0, s10
	s_xor_b64 exec, exec, s[6:7]
	s_cbranch_execz .LBB17_1994
.LBB17_4044:
	v_mov_b32_e32 v0, 0
	v_cmp_ne_u16_sdwa s[8:9], v1, v0 src0_sel:BYTE_0 src1_sel:DWORD
	s_andn2_b64 s[4:5], s[4:5], exec
	s_and_b64 s[8:9], s[8:9], exec
	s_or_b64 s[4:5], s[4:5], s[8:9]
	s_or_b64 exec, exec, s[6:7]
	s_and_saveexec_b64 s[6:7], s[4:5]
	s_cbranch_execnz .LBB17_1995
	s_branch .LBB17_1996
.LBB17_4045:
	s_movk_i32 s4, 0x80
	v_cmp_eq_u16_sdwa s[12:13], v1, s4 src0_sel:BYTE_0 src1_sel:DWORD
	s_mov_b64 s[4:5], -1
                                        ; implicit-def: $sgpr10
	s_and_saveexec_b64 s[8:9], s[12:13]
; %bb.4046:
	s_mov_b32 s10, 0x7f800001
	s_xor_b64 s[4:5], exec, -1
; %bb.4047:
	s_or_b64 exec, exec, s[8:9]
	s_and_b64 s[4:5], s[4:5], exec
	s_or_saveexec_b64 s[6:7], s[6:7]
	v_mov_b32_e32 v4, s10
	s_xor_b64 exec, exec, s[6:7]
	s_cbranch_execz .LBB17_1998
.LBB17_4048:
	v_mov_b32_e32 v4, 0
	v_cmp_ne_u16_sdwa s[8:9], v1, v4 src0_sel:BYTE_0 src1_sel:DWORD
	s_andn2_b64 s[4:5], s[4:5], exec
	s_and_b64 s[8:9], s[8:9], exec
	s_or_b64 s[4:5], s[4:5], s[8:9]
	s_or_b64 exec, exec, s[6:7]
	s_and_saveexec_b64 s[6:7], s[4:5]
	s_cbranch_execnz .LBB17_1999
	s_branch .LBB17_2000
.LBB17_4049:
	s_movk_i32 s4, 0x80
	v_cmp_eq_u16_e32 vcc, s4, v1
	s_mov_b64 s[4:5], -1
                                        ; implicit-def: $sgpr10
	s_and_saveexec_b64 s[8:9], vcc
; %bb.4050:
	s_mov_b32 s10, 0x7f800001
	s_xor_b64 s[4:5], exec, -1
; %bb.4051:
	s_or_b64 exec, exec, s[8:9]
	s_and_b64 s[4:5], s[4:5], exec
                                        ; implicit-def: $vgpr1
	s_or_saveexec_b64 s[6:7], s[6:7]
	v_mov_b32_e32 v0, s10
	s_xor_b64 exec, exec, s[6:7]
	s_cbranch_execz .LBB17_2002
.LBB17_4052:
	v_cmp_ne_u16_e32 vcc, 0, v1
	s_andn2_b64 s[4:5], s[4:5], exec
	s_and_b64 s[8:9], vcc, exec
	v_mov_b32_e32 v0, 0
	s_or_b64 s[4:5], s[4:5], s[8:9]
	s_or_b64 exec, exec, s[6:7]
	s_and_saveexec_b64 s[6:7], s[4:5]
	s_cbranch_execnz .LBB17_2003
	s_branch .LBB17_2004
.LBB17_4053:
	s_movk_i32 s4, 0x80
	v_cmp_eq_u16_e32 vcc, s4, v1
	s_mov_b64 s[4:5], -1
                                        ; implicit-def: $sgpr10
	s_and_saveexec_b64 s[8:9], vcc
; %bb.4054:
	s_mov_b32 s10, 0x7f800001
	s_xor_b64 s[4:5], exec, -1
; %bb.4055:
	s_or_b64 exec, exec, s[8:9]
	s_and_b64 s[4:5], s[4:5], exec
                                        ; implicit-def: $vgpr1
	s_or_saveexec_b64 s[6:7], s[6:7]
	v_mov_b32_e32 v4, s10
	s_xor_b64 exec, exec, s[6:7]
	s_cbranch_execz .LBB17_2006
.LBB17_4056:
	v_cmp_ne_u16_e32 vcc, 0, v1
	s_andn2_b64 s[4:5], s[4:5], exec
	s_and_b64 s[8:9], vcc, exec
	v_mov_b32_e32 v4, 0
	s_or_b64 s[4:5], s[4:5], s[8:9]
	s_or_b64 exec, exec, s[6:7]
	s_and_saveexec_b64 s[6:7], s[4:5]
	s_cbranch_execnz .LBB17_2007
	s_branch .LBB17_2008
.LBB17_4057:
	s_movk_i32 s4, 0x80
	v_cmp_eq_u16_sdwa s[12:13], v6, s4 src0_sel:BYTE_3 src1_sel:DWORD
	s_mov_b64 s[4:5], -1
                                        ; implicit-def: $sgpr10
	s_and_saveexec_b64 s[8:9], s[12:13]
; %bb.4058:
	s_mov_b32 s10, 0x7f800001
	s_xor_b64 s[4:5], exec, -1
; %bb.4059:
	s_or_b64 exec, exec, s[8:9]
	s_and_b64 s[4:5], s[4:5], exec
	s_or_saveexec_b64 s[6:7], s[6:7]
	v_mov_b32_e32 v0, s10
	s_xor_b64 exec, exec, s[6:7]
	s_cbranch_execz .LBB17_2010
.LBB17_4060:
	v_mov_b32_e32 v0, 0
	v_cmp_ne_u16_sdwa s[8:9], v6, v0 src0_sel:BYTE_3 src1_sel:DWORD
	s_andn2_b64 s[4:5], s[4:5], exec
	s_and_b64 s[8:9], s[8:9], exec
	s_or_b64 s[4:5], s[4:5], s[8:9]
	s_or_b64 exec, exec, s[6:7]
	s_and_saveexec_b64 s[6:7], s[4:5]
	s_cbranch_execnz .LBB17_2011
	s_branch .LBB17_2012
.LBB17_4061:
	s_movk_i32 s4, 0x80
	v_cmp_eq_u16_sdwa s[12:13], v2, s4 src0_sel:BYTE_3 src1_sel:DWORD
	s_mov_b64 s[4:5], -1
                                        ; implicit-def: $sgpr10
	s_and_saveexec_b64 s[8:9], s[12:13]
; %bb.4062:
	s_mov_b32 s10, 0x7f800001
	s_xor_b64 s[4:5], exec, -1
; %bb.4063:
	s_or_b64 exec, exec, s[8:9]
	s_and_b64 s[4:5], s[4:5], exec
	s_or_saveexec_b64 s[6:7], s[6:7]
	v_mov_b32_e32 v1, s10
	s_xor_b64 exec, exec, s[6:7]
	s_cbranch_execz .LBB17_2014
.LBB17_4064:
	v_mov_b32_e32 v1, 0
	v_cmp_ne_u16_sdwa s[8:9], v2, v1 src0_sel:BYTE_3 src1_sel:DWORD
	s_andn2_b64 s[4:5], s[4:5], exec
	s_and_b64 s[8:9], s[8:9], exec
	s_or_b64 s[4:5], s[4:5], s[8:9]
	s_or_b64 exec, exec, s[6:7]
	s_and_saveexec_b64 s[6:7], s[4:5]
	s_cbranch_execnz .LBB17_2015
	s_branch .LBB17_2016
.LBB17_4065:
	s_movk_i32 s4, 0x80
	v_cmp_eq_u16_sdwa s[12:13], v7, s4 src0_sel:BYTE_0 src1_sel:DWORD
	s_mov_b64 s[4:5], -1
                                        ; implicit-def: $sgpr10
	s_and_saveexec_b64 s[8:9], s[12:13]
; %bb.4066:
	s_mov_b32 s10, 0x7f800001
	s_xor_b64 s[4:5], exec, -1
; %bb.4067:
	s_or_b64 exec, exec, s[8:9]
	s_and_b64 s[4:5], s[4:5], exec
	s_or_saveexec_b64 s[6:7], s[6:7]
	v_mov_b32_e32 v0, s10
	s_xor_b64 exec, exec, s[6:7]
	s_cbranch_execz .LBB17_2018
.LBB17_4068:
	v_mov_b32_e32 v0, 0
	v_cmp_ne_u16_sdwa s[8:9], v7, v0 src0_sel:BYTE_0 src1_sel:DWORD
	s_andn2_b64 s[4:5], s[4:5], exec
	s_and_b64 s[8:9], s[8:9], exec
	s_or_b64 s[4:5], s[4:5], s[8:9]
	s_or_b64 exec, exec, s[6:7]
	s_and_saveexec_b64 s[6:7], s[4:5]
	s_cbranch_execnz .LBB17_2019
	s_branch .LBB17_2020
.LBB17_4069:
	s_movk_i32 s4, 0x80
	v_cmp_eq_u16_sdwa s[12:13], v3, s4 src0_sel:BYTE_0 src1_sel:DWORD
	s_mov_b64 s[4:5], -1
                                        ; implicit-def: $sgpr10
	s_and_saveexec_b64 s[8:9], s[12:13]
; %bb.4070:
	s_mov_b32 s10, 0x7f800001
	s_xor_b64 s[4:5], exec, -1
; %bb.4071:
	s_or_b64 exec, exec, s[8:9]
	s_and_b64 s[4:5], s[4:5], exec
	s_or_saveexec_b64 s[6:7], s[6:7]
	v_mov_b32_e32 v1, s10
	s_xor_b64 exec, exec, s[6:7]
	s_cbranch_execz .LBB17_2022
.LBB17_4072:
	v_mov_b32_e32 v1, 0
	v_cmp_ne_u16_sdwa s[8:9], v3, v1 src0_sel:BYTE_0 src1_sel:DWORD
	s_andn2_b64 s[4:5], s[4:5], exec
	s_and_b64 s[8:9], s[8:9], exec
	s_or_b64 s[4:5], s[4:5], s[8:9]
	s_or_b64 exec, exec, s[6:7]
	s_and_saveexec_b64 s[6:7], s[4:5]
	s_cbranch_execnz .LBB17_2023
	s_branch .LBB17_2024
.LBB17_4073:
	s_movk_i32 s4, 0x80
	v_cmp_eq_u16_sdwa s[12:13], v1, s4 src0_sel:BYTE_0 src1_sel:DWORD
	s_mov_b64 s[4:5], -1
                                        ; implicit-def: $sgpr10
	s_and_saveexec_b64 s[8:9], s[12:13]
; %bb.4074:
	s_mov_b32 s10, 0x7f800001
	s_xor_b64 s[4:5], exec, -1
; %bb.4075:
	s_or_b64 exec, exec, s[8:9]
	s_and_b64 s[4:5], s[4:5], exec
	s_or_saveexec_b64 s[6:7], s[6:7]
	v_mov_b32_e32 v0, s10
	s_xor_b64 exec, exec, s[6:7]
	s_cbranch_execz .LBB17_2026
.LBB17_4076:
	v_mov_b32_e32 v0, 0
	v_cmp_ne_u16_sdwa s[8:9], v1, v0 src0_sel:BYTE_0 src1_sel:DWORD
	s_andn2_b64 s[4:5], s[4:5], exec
	s_and_b64 s[8:9], s[8:9], exec
	s_or_b64 s[4:5], s[4:5], s[8:9]
	s_or_b64 exec, exec, s[6:7]
	s_and_saveexec_b64 s[6:7], s[4:5]
	s_cbranch_execnz .LBB17_2027
	s_branch .LBB17_2028
.LBB17_4077:
	s_movk_i32 s4, 0x80
	v_cmp_eq_u16_sdwa s[12:13], v1, s4 src0_sel:BYTE_0 src1_sel:DWORD
	s_mov_b64 s[4:5], -1
                                        ; implicit-def: $sgpr10
	s_and_saveexec_b64 s[8:9], s[12:13]
; %bb.4078:
	s_mov_b32 s10, 0x7f800001
	s_xor_b64 s[4:5], exec, -1
; %bb.4079:
	s_or_b64 exec, exec, s[8:9]
	s_and_b64 s[4:5], s[4:5], exec
	s_or_saveexec_b64 s[6:7], s[6:7]
	v_mov_b32_e32 v2, s10
	s_xor_b64 exec, exec, s[6:7]
	s_cbranch_execz .LBB17_2030
.LBB17_4080:
	v_mov_b32_e32 v2, 0
	v_cmp_ne_u16_sdwa s[8:9], v1, v2 src0_sel:BYTE_0 src1_sel:DWORD
	s_andn2_b64 s[4:5], s[4:5], exec
	s_and_b64 s[8:9], s[8:9], exec
	s_or_b64 s[4:5], s[4:5], s[8:9]
	s_or_b64 exec, exec, s[6:7]
	s_and_saveexec_b64 s[6:7], s[4:5]
	s_cbranch_execnz .LBB17_2031
	s_branch .LBB17_2032
.LBB17_4081:
	s_movk_i32 s4, 0x80
	v_cmp_eq_u16_e32 vcc, s4, v1
	s_mov_b64 s[4:5], -1
                                        ; implicit-def: $sgpr10
	s_and_saveexec_b64 s[8:9], vcc
; %bb.4082:
	s_mov_b32 s10, 0x7f800001
	s_xor_b64 s[4:5], exec, -1
; %bb.4083:
	s_or_b64 exec, exec, s[8:9]
	s_and_b64 s[4:5], s[4:5], exec
                                        ; implicit-def: $vgpr1
	s_or_saveexec_b64 s[6:7], s[6:7]
	v_mov_b32_e32 v0, s10
	s_xor_b64 exec, exec, s[6:7]
	s_cbranch_execz .LBB17_2034
.LBB17_4084:
	v_cmp_ne_u16_e32 vcc, 0, v1
	s_andn2_b64 s[4:5], s[4:5], exec
	s_and_b64 s[8:9], vcc, exec
	v_mov_b32_e32 v0, 0
	s_or_b64 s[4:5], s[4:5], s[8:9]
	s_or_b64 exec, exec, s[6:7]
	s_and_saveexec_b64 s[6:7], s[4:5]
	s_cbranch_execnz .LBB17_2035
	s_branch .LBB17_2036
.LBB17_4085:
	s_movk_i32 s4, 0x80
	v_cmp_eq_u16_e32 vcc, s4, v1
	s_mov_b64 s[4:5], -1
                                        ; implicit-def: $sgpr10
	s_and_saveexec_b64 s[8:9], vcc
; %bb.4086:
	s_mov_b32 s10, 0x7f800001
	s_xor_b64 s[4:5], exec, -1
; %bb.4087:
	s_or_b64 exec, exec, s[8:9]
	s_and_b64 s[4:5], s[4:5], exec
                                        ; implicit-def: $vgpr1
	s_or_saveexec_b64 s[6:7], s[6:7]
	v_mov_b32_e32 v2, s10
	s_xor_b64 exec, exec, s[6:7]
	s_cbranch_execz .LBB17_2038
.LBB17_4088:
	v_cmp_ne_u16_e32 vcc, 0, v1
	s_andn2_b64 s[4:5], s[4:5], exec
	s_and_b64 s[8:9], vcc, exec
	v_mov_b32_e32 v2, 0
	s_or_b64 s[4:5], s[4:5], s[8:9]
	s_or_b64 exec, exec, s[6:7]
	s_and_saveexec_b64 s[6:7], s[4:5]
	s_cbranch_execnz .LBB17_2039
	s_branch .LBB17_2040
.LBB17_4089:
	s_movk_i32 s4, 0x80
	v_cmp_eq_u16_sdwa s[12:13], v7, s4 src0_sel:BYTE_3 src1_sel:DWORD
	s_mov_b64 s[4:5], -1
                                        ; implicit-def: $sgpr10
	s_and_saveexec_b64 s[8:9], s[12:13]
; %bb.4090:
	s_mov_b32 s10, 0x7f800001
	s_xor_b64 s[4:5], exec, -1
; %bb.4091:
	s_or_b64 exec, exec, s[8:9]
	s_and_b64 s[4:5], s[4:5], exec
	s_or_saveexec_b64 s[6:7], s[6:7]
	v_mov_b32_e32 v0, s10
	s_xor_b64 exec, exec, s[6:7]
	s_cbranch_execz .LBB17_2042
.LBB17_4092:
	v_mov_b32_e32 v0, 0
	v_cmp_ne_u16_sdwa s[8:9], v7, v0 src0_sel:BYTE_3 src1_sel:DWORD
	s_andn2_b64 s[4:5], s[4:5], exec
	s_and_b64 s[8:9], s[8:9], exec
	s_or_b64 s[4:5], s[4:5], s[8:9]
	s_or_b64 exec, exec, s[6:7]
	s_and_saveexec_b64 s[6:7], s[4:5]
	s_cbranch_execnz .LBB17_2043
	s_branch .LBB17_2044
.LBB17_4093:
	s_movk_i32 s4, 0x80
	v_cmp_eq_u16_sdwa s[12:13], v3, s4 src0_sel:BYTE_3 src1_sel:DWORD
	s_mov_b64 s[4:5], -1
                                        ; implicit-def: $sgpr10
	s_and_saveexec_b64 s[8:9], s[12:13]
; %bb.4094:
	s_mov_b32 s10, 0x7f800001
	s_xor_b64 s[4:5], exec, -1
; %bb.4095:
	s_or_b64 exec, exec, s[8:9]
	s_and_b64 s[4:5], s[4:5], exec
	s_or_saveexec_b64 s[6:7], s[6:7]
	v_mov_b32_e32 v1, s10
	s_xor_b64 exec, exec, s[6:7]
	s_cbranch_execz .LBB17_2046
.LBB17_4096:
	v_mov_b32_e32 v1, 0
	v_cmp_ne_u16_sdwa s[8:9], v3, v1 src0_sel:BYTE_3 src1_sel:DWORD
	s_andn2_b64 s[4:5], s[4:5], exec
	s_and_b64 s[8:9], s[8:9], exec
	s_or_b64 s[4:5], s[4:5], s[8:9]
	s_or_b64 exec, exec, s[6:7]
	s_and_saveexec_b64 s[6:7], s[4:5]
	s_cbranch_execnz .LBB17_2047
	s_branch .LBB17_2048
.Lfunc_end17:
	.size	_ZNK2ck6detail7applierIiJLi0ELi1ELi2ELi3ELi4ELi5ELi6ELi7EEEclIZNKS_11static_fordINS_8SequenceIJLi1ELi8EEEENS5_IJLi0ELi1EEEEEclIZZZNKS_52BlockwiseGemmXdlops_pipeline_bpreshuffle_bdequant_v3ILNS_26BlockGemmPipelineSchedulerE0ELi256ENS_9f8_fnuz_tENS_7pk_i4_tESC_fNS_16TensorDescriptorINS_5TupleIJNS_5EmbedINSF_IJNS_17integral_constantIiLi8EEENSH_IiLi256EEENSH_IiLi16EEEEEENSF_IJSK_NSH_IiLi128EEENSH_IiLi1EEEEEELb0EEENS_3XorINSF_IJSJ_SI_EEELb1EEENS_11PassThroughISK_EENS_7UnMergeINSF_IJSI_SN_EEELb0EEENST_ISJ_EESU_NST_ISI_EENS_21Merge_v3_division_modINSF_IJSJ_SN_EEEEESU_EEENSF_IJNS5_IJLi0EEEENS5_IJLi2ELi1EEEENS5_IJLi3EEEENS5_IJLi5EEEENS5_IJLi4EEEENS5_IJLi6EEEENS5_IJLi7EEEENS5_IJLi9ELi8EEEENS5_IJLi10EEEEEEENSF_IJNS5_IJLi1ELi2ELi3EEEENS5_IJLi4ELi5EEEES19_NS5_IJLi7ELi8EEEENS5_IJLi9EEEES1C_NS5_IJLi11EEEENS5_IJLi12EEEENS5_IJLi13EEEEEEENS5_IJLi11ELi12ELi13EEEENSH_IlLl32768EEEEENSE_INSF_IJNSV_INSF_IJSI_SN_SN_NSH_IiLi32EEEEEELb0EEEEEENSF_IJS14_EEENSF_IJNS5_IJLi1ELi2ELi3ELi4EEEEEEES1U_NSH_IlLl256EEEEENSE_INSF_IJSP_SS_SU_SX_SY_SU_SZ_S12_SU_NS10_INSF_IJSI_SK_EEEEENSV_INSF_IJSI_NSH_IiLi2EEESK_EEELb0EEEEEENSF_IJS14_S15_S16_S17_S18_S19_S1A_S1B_S1C_NS5_IJLi11ELi13EEEES1J_EEENSF_IJS1E_S1F_S19_S1G_S1H_S1C_S1I_S1J_S1K_NS5_IJLi14EEEENS5_IJLi15ELi16ELi17EEEEEEENS5_IJLi15ELi16ELi17ELi14EEEES1N_EENSE_INSF_IJS1R_NS10_ISW_EES22_EEENSF_IJS14_NS5_IJLi1ELi3EEEENS5_IJLi2EEEEEEENSF_IJS1U_S17_NS5_IJLi6ELi7ELi8EEEEEEENS5_IJLi6ELi7ELi8ELi5EEEES1W_EELi16ELi32ELi256ELi256ELi128ELi16ELi16ELi8ELi8ELi32ELb0EE3RunILb1ELNS_10TailNumberE0ENSE_INSF_IJNSG_INSF_IJiiEEENSF_IJiSN_EEELb0EEENSV_IS2N_Lb0EEENST_IiEEEEENSF_IJS14_S2E_NS5_IJLi1EEEEEEENSF_IJNS5_IJLi1ELi2EEEENS5_IJLi3ELi4EEEES17_EEENS5_IJLi3ELi5ELi4EEEElEES1O_NS_35ThreadGroupTensorSliceTransfer_v4r1INS_15ThisThreadBlockILi256EEENS_16tensor_operation12element_wise11PassThroughES35_LNS_25InMemoryDataOperationEnumE0ENS5_IJLi8ELi256ELi16EEEENS5_IJLi8ELi32ELi1EEEENS5_IJLi1ELi0ELi2EEEESC_SC_RKS2Z_KS1O_S39_NS5_IJLi0ELi1ELi2EEEELi2ELi2ELi16ELi16ELi1ELi1ELb0ELb1ELi2EiEENS_13DynamicBufferILNS_16AddressSpaceEnumE1EKSC_lLb1ELNS_22AmdBufferCoherenceEnumE0EiEENSF_IJNS3F_ILS3G_2ESC_S1N_Lb1ELS3I_0EiEES3K_EEENSF_IJiiiEEENSE_INSF_IJNSG_INSF_IJiiiiEEENSF_IJiiiSN_EEELb0EEEEEES1T_S1V_S1U_lEENS_32ThreadwiseTensorSliceTransfer_v2ISD_SD_RKS3R_KS1X_NS5_IJLi8ELi1ELi1ELi32EEEENS5_IJLi1ELi2ELi0ELi3EEEELi3ELi32ELi0ELb1ELb0ELb0EEENS3F_ILS3G_1EKSD_lLb1ELS3I_0EiEENSF_IJNS_12StaticBufferILS3G_4ESD_Li256ELb1EEES42_EEES3N_NS_25StaticBufferTupleOfVectorILS3G_4EfLi64ELi4ELb1ELb0EEEEEvRKT1_RKT2_RT3_RKT4_RT5_RKT6_RKT7_RT8_RKT9_RT10_RKT11_RT12_iENKUlT_T0_E_clISN_NSH_IiLi0EEEEEDaS51_S52_ENKUlS51_E_clINSH_IiLi7EEEEEDaS51_EUlS51_E_EEvS51_EUlS51_E_EEvS51_, .Lfunc_end17-_ZNK2ck6detail7applierIiJLi0ELi1ELi2ELi3ELi4ELi5ELi6ELi7EEEclIZNKS_11static_fordINS_8SequenceIJLi1ELi8EEEENS5_IJLi0ELi1EEEEEclIZZZNKS_52BlockwiseGemmXdlops_pipeline_bpreshuffle_bdequant_v3ILNS_26BlockGemmPipelineSchedulerE0ELi256ENS_9f8_fnuz_tENS_7pk_i4_tESC_fNS_16TensorDescriptorINS_5TupleIJNS_5EmbedINSF_IJNS_17integral_constantIiLi8EEENSH_IiLi256EEENSH_IiLi16EEEEEENSF_IJSK_NSH_IiLi128EEENSH_IiLi1EEEEEELb0EEENS_3XorINSF_IJSJ_SI_EEELb1EEENS_11PassThroughISK_EENS_7UnMergeINSF_IJSI_SN_EEELb0EEENST_ISJ_EESU_NST_ISI_EENS_21Merge_v3_division_modINSF_IJSJ_SN_EEEEESU_EEENSF_IJNS5_IJLi0EEEENS5_IJLi2ELi1EEEENS5_IJLi3EEEENS5_IJLi5EEEENS5_IJLi4EEEENS5_IJLi6EEEENS5_IJLi7EEEENS5_IJLi9ELi8EEEENS5_IJLi10EEEEEEENSF_IJNS5_IJLi1ELi2ELi3EEEENS5_IJLi4ELi5EEEES19_NS5_IJLi7ELi8EEEENS5_IJLi9EEEES1C_NS5_IJLi11EEEENS5_IJLi12EEEENS5_IJLi13EEEEEEENS5_IJLi11ELi12ELi13EEEENSH_IlLl32768EEEEENSE_INSF_IJNSV_INSF_IJSI_SN_SN_NSH_IiLi32EEEEEELb0EEEEEENSF_IJS14_EEENSF_IJNS5_IJLi1ELi2ELi3ELi4EEEEEEES1U_NSH_IlLl256EEEEENSE_INSF_IJSP_SS_SU_SX_SY_SU_SZ_S12_SU_NS10_INSF_IJSI_SK_EEEEENSV_INSF_IJSI_NSH_IiLi2EEESK_EEELb0EEEEEENSF_IJS14_S15_S16_S17_S18_S19_S1A_S1B_S1C_NS5_IJLi11ELi13EEEES1J_EEENSF_IJS1E_S1F_S19_S1G_S1H_S1C_S1I_S1J_S1K_NS5_IJLi14EEEENS5_IJLi15ELi16ELi17EEEEEEENS5_IJLi15ELi16ELi17ELi14EEEES1N_EENSE_INSF_IJS1R_NS10_ISW_EES22_EEENSF_IJS14_NS5_IJLi1ELi3EEEENS5_IJLi2EEEEEEENSF_IJS1U_S17_NS5_IJLi6ELi7ELi8EEEEEEENS5_IJLi6ELi7ELi8ELi5EEEES1W_EELi16ELi32ELi256ELi256ELi128ELi16ELi16ELi8ELi8ELi32ELb0EE3RunILb1ELNS_10TailNumberE0ENSE_INSF_IJNSG_INSF_IJiiEEENSF_IJiSN_EEELb0EEENSV_IS2N_Lb0EEENST_IiEEEEENSF_IJS14_S2E_NS5_IJLi1EEEEEEENSF_IJNS5_IJLi1ELi2EEEENS5_IJLi3ELi4EEEES17_EEENS5_IJLi3ELi5ELi4EEEElEES1O_NS_35ThreadGroupTensorSliceTransfer_v4r1INS_15ThisThreadBlockILi256EEENS_16tensor_operation12element_wise11PassThroughES35_LNS_25InMemoryDataOperationEnumE0ENS5_IJLi8ELi256ELi16EEEENS5_IJLi8ELi32ELi1EEEENS5_IJLi1ELi0ELi2EEEESC_SC_RKS2Z_KS1O_S39_NS5_IJLi0ELi1ELi2EEEELi2ELi2ELi16ELi16ELi1ELi1ELb0ELb1ELi2EiEENS_13DynamicBufferILNS_16AddressSpaceEnumE1EKSC_lLb1ELNS_22AmdBufferCoherenceEnumE0EiEENSF_IJNS3F_ILS3G_2ESC_S1N_Lb1ELS3I_0EiEES3K_EEENSF_IJiiiEEENSE_INSF_IJNSG_INSF_IJiiiiEEENSF_IJiiiSN_EEELb0EEEEEES1T_S1V_S1U_lEENS_32ThreadwiseTensorSliceTransfer_v2ISD_SD_RKS3R_KS1X_NS5_IJLi8ELi1ELi1ELi32EEEENS5_IJLi1ELi2ELi0ELi3EEEELi3ELi32ELi0ELb1ELb0ELb0EEENS3F_ILS3G_1EKSD_lLb1ELS3I_0EiEENSF_IJNS_12StaticBufferILS3G_4ESD_Li256ELb1EEES42_EEES3N_NS_25StaticBufferTupleOfVectorILS3G_4EfLi64ELi4ELb1ELb0EEEEEvRKT1_RKT2_RT3_RKT4_RT5_RKT6_RKT7_RT8_RKT9_RT10_RKT11_RT12_iENKUlT_T0_E_clISN_NSH_IiLi0EEEEEDaS51_S52_ENKUlS51_E_clINSH_IiLi7EEEEEDaS51_EUlS51_E_EEvS51_EUlS51_E_EEvS51_
                                        ; -- End function
	.section	.AMDGPU.csdata,"",@progbits
; Function info:
; codeLenInByte = 133608
; NumSgprs: 36
; NumVgprs: 26
; NumAgprs: 4
; TotalNumVgprs: 32
; ScratchSize: 0
; MemoryBound: 1
	.text
	.p2align	2                               ; -- Begin function _ZNK2ck6detail7applierIiJLi0ELi1ELi2ELi3ELi4ELi5ELi6ELi7EEEclIZNKS_11static_fordINS_8SequenceIJLi1ELi8EEEENS5_IJLi0ELi1EEEEEclIZZNKS_52BlockwiseGemmXdlops_pipeline_bpreshuffle_bdequant_v3ILNS_26BlockGemmPipelineSchedulerE0ELi256ENS_9f8_fnuz_tENS_7pk_i4_tESC_fNS_16TensorDescriptorINS_5TupleIJNS_5EmbedINSF_IJNS_17integral_constantIiLi8EEENSH_IiLi256EEENSH_IiLi16EEEEEENSF_IJSK_NSH_IiLi128EEENSH_IiLi1EEEEEELb0EEENS_3XorINSF_IJSJ_SI_EEELb1EEENS_11PassThroughISK_EENS_7UnMergeINSF_IJSI_SN_EEELb0EEENST_ISJ_EESU_NST_ISI_EENS_21Merge_v3_division_modINSF_IJSJ_SN_EEEEESU_EEENSF_IJNS5_IJLi0EEEENS5_IJLi2ELi1EEEENS5_IJLi3EEEENS5_IJLi5EEEENS5_IJLi4EEEENS5_IJLi6EEEENS5_IJLi7EEEENS5_IJLi9ELi8EEEENS5_IJLi10EEEEEEENSF_IJNS5_IJLi1ELi2ELi3EEEENS5_IJLi4ELi5EEEES19_NS5_IJLi7ELi8EEEENS5_IJLi9EEEES1C_NS5_IJLi11EEEENS5_IJLi12EEEENS5_IJLi13EEEEEEENS5_IJLi11ELi12ELi13EEEENSH_IlLl32768EEEEENSE_INSF_IJNSV_INSF_IJSI_SN_SN_NSH_IiLi32EEEEEELb0EEEEEENSF_IJS14_EEENSF_IJNS5_IJLi1ELi2ELi3ELi4EEEEEEES1U_NSH_IlLl256EEEEENSE_INSF_IJSP_SS_SU_SX_SY_SU_SZ_S12_SU_NS10_INSF_IJSI_SK_EEEEENSV_INSF_IJSI_NSH_IiLi2EEESK_EEELb0EEEEEENSF_IJS14_S15_S16_S17_S18_S19_S1A_S1B_S1C_NS5_IJLi11ELi13EEEES1J_EEENSF_IJS1E_S1F_S19_S1G_S1H_S1C_S1I_S1J_S1K_NS5_IJLi14EEEENS5_IJLi15ELi16ELi17EEEEEEENS5_IJLi15ELi16ELi17ELi14EEEES1N_EENSE_INSF_IJS1R_NS10_ISW_EES22_EEENSF_IJS14_NS5_IJLi1ELi3EEEENS5_IJLi2EEEEEEENSF_IJS1U_S17_NS5_IJLi6ELi7ELi8EEEEEEENS5_IJLi6ELi7ELi8ELi5EEEES1W_EELi16ELi32ELi256ELi256ELi128ELi16ELi16ELi8ELi8ELi32ELb0EE3RunILb1ELNS_10TailNumberE0ENSE_INSF_IJNSG_INSF_IJiiEEENSF_IJiSN_EEELb0EEENSV_IS2N_Lb0EEENST_IiEEEEENSF_IJS14_S2E_NS5_IJLi1EEEEEEENSF_IJNS5_IJLi1ELi2EEEENS5_IJLi3ELi4EEEES17_EEENS5_IJLi3ELi5ELi4EEEElEES1O_NS_35ThreadGroupTensorSliceTransfer_v4r1INS_15ThisThreadBlockILi256EEENS_16tensor_operation12element_wise11PassThroughES35_LNS_25InMemoryDataOperationEnumE0ENS5_IJLi8ELi256ELi16EEEENS5_IJLi8ELi32ELi1EEEENS5_IJLi1ELi0ELi2EEEESC_SC_RKS2Z_KS1O_S39_NS5_IJLi0ELi1ELi2EEEELi2ELi2ELi16ELi16ELi1ELi1ELb0ELb1ELi2EiEENS_13DynamicBufferILNS_16AddressSpaceEnumE1EKSC_lLb1ELNS_22AmdBufferCoherenceEnumE0EiEENSF_IJNS3F_ILS3G_2ESC_S1N_Lb1ELS3I_0EiEES3K_EEENSF_IJiiiEEENSE_INSF_IJNSG_INSF_IJiiiiEEENSF_IJiiiSN_EEELb0EEEEEES1T_S1V_S1U_lEENS_32ThreadwiseTensorSliceTransfer_v2ISD_SD_RKS3R_KS1X_NS5_IJLi8ELi1ELi1ELi32EEEENS5_IJLi1ELi2ELi0ELi3EEEELi3ELi32ELi0ELb1ELb0ELb0EEENS3F_ILS3G_1EKSD_lLb1ELS3I_0EiEENSF_IJNS_12StaticBufferILS3G_4ESD_Li256ELb1EEES42_EEES3N_NS_25StaticBufferTupleOfVectorILS3G_4EfLi64ELi4ELb1ELb0EEEEEvRKT1_RKT2_RT3_RKT4_RT5_RKT6_RKT7_RT8_RKT9_RT10_RKT11_RT12_iENKUlT_E0_clINSH_IiLi0EEEEEDaS51_EUlS51_E_EEvS51_EUlS51_E_EEvS51_
	.type	_ZNK2ck6detail7applierIiJLi0ELi1ELi2ELi3ELi4ELi5ELi6ELi7EEEclIZNKS_11static_fordINS_8SequenceIJLi1ELi8EEEENS5_IJLi0ELi1EEEEEclIZZNKS_52BlockwiseGemmXdlops_pipeline_bpreshuffle_bdequant_v3ILNS_26BlockGemmPipelineSchedulerE0ELi256ENS_9f8_fnuz_tENS_7pk_i4_tESC_fNS_16TensorDescriptorINS_5TupleIJNS_5EmbedINSF_IJNS_17integral_constantIiLi8EEENSH_IiLi256EEENSH_IiLi16EEEEEENSF_IJSK_NSH_IiLi128EEENSH_IiLi1EEEEEELb0EEENS_3XorINSF_IJSJ_SI_EEELb1EEENS_11PassThroughISK_EENS_7UnMergeINSF_IJSI_SN_EEELb0EEENST_ISJ_EESU_NST_ISI_EENS_21Merge_v3_division_modINSF_IJSJ_SN_EEEEESU_EEENSF_IJNS5_IJLi0EEEENS5_IJLi2ELi1EEEENS5_IJLi3EEEENS5_IJLi5EEEENS5_IJLi4EEEENS5_IJLi6EEEENS5_IJLi7EEEENS5_IJLi9ELi8EEEENS5_IJLi10EEEEEEENSF_IJNS5_IJLi1ELi2ELi3EEEENS5_IJLi4ELi5EEEES19_NS5_IJLi7ELi8EEEENS5_IJLi9EEEES1C_NS5_IJLi11EEEENS5_IJLi12EEEENS5_IJLi13EEEEEEENS5_IJLi11ELi12ELi13EEEENSH_IlLl32768EEEEENSE_INSF_IJNSV_INSF_IJSI_SN_SN_NSH_IiLi32EEEEEELb0EEEEEENSF_IJS14_EEENSF_IJNS5_IJLi1ELi2ELi3ELi4EEEEEEES1U_NSH_IlLl256EEEEENSE_INSF_IJSP_SS_SU_SX_SY_SU_SZ_S12_SU_NS10_INSF_IJSI_SK_EEEEENSV_INSF_IJSI_NSH_IiLi2EEESK_EEELb0EEEEEENSF_IJS14_S15_S16_S17_S18_S19_S1A_S1B_S1C_NS5_IJLi11ELi13EEEES1J_EEENSF_IJS1E_S1F_S19_S1G_S1H_S1C_S1I_S1J_S1K_NS5_IJLi14EEEENS5_IJLi15ELi16ELi17EEEEEEENS5_IJLi15ELi16ELi17ELi14EEEES1N_EENSE_INSF_IJS1R_NS10_ISW_EES22_EEENSF_IJS14_NS5_IJLi1ELi3EEEENS5_IJLi2EEEEEEENSF_IJS1U_S17_NS5_IJLi6ELi7ELi8EEEEEEENS5_IJLi6ELi7ELi8ELi5EEEES1W_EELi16ELi32ELi256ELi256ELi128ELi16ELi16ELi8ELi8ELi32ELb0EE3RunILb1ELNS_10TailNumberE0ENSE_INSF_IJNSG_INSF_IJiiEEENSF_IJiSN_EEELb0EEENSV_IS2N_Lb0EEENST_IiEEEEENSF_IJS14_S2E_NS5_IJLi1EEEEEEENSF_IJNS5_IJLi1ELi2EEEENS5_IJLi3ELi4EEEES17_EEENS5_IJLi3ELi5ELi4EEEElEES1O_NS_35ThreadGroupTensorSliceTransfer_v4r1INS_15ThisThreadBlockILi256EEENS_16tensor_operation12element_wise11PassThroughES35_LNS_25InMemoryDataOperationEnumE0ENS5_IJLi8ELi256ELi16EEEENS5_IJLi8ELi32ELi1EEEENS5_IJLi1ELi0ELi2EEEESC_SC_RKS2Z_KS1O_S39_NS5_IJLi0ELi1ELi2EEEELi2ELi2ELi16ELi16ELi1ELi1ELb0ELb1ELi2EiEENS_13DynamicBufferILNS_16AddressSpaceEnumE1EKSC_lLb1ELNS_22AmdBufferCoherenceEnumE0EiEENSF_IJNS3F_ILS3G_2ESC_S1N_Lb1ELS3I_0EiEES3K_EEENSF_IJiiiEEENSE_INSF_IJNSG_INSF_IJiiiiEEENSF_IJiiiSN_EEELb0EEEEEES1T_S1V_S1U_lEENS_32ThreadwiseTensorSliceTransfer_v2ISD_SD_RKS3R_KS1X_NS5_IJLi8ELi1ELi1ELi32EEEENS5_IJLi1ELi2ELi0ELi3EEEELi3ELi32ELi0ELb1ELb0ELb0EEENS3F_ILS3G_1EKSD_lLb1ELS3I_0EiEENSF_IJNS_12StaticBufferILS3G_4ESD_Li256ELb1EEES42_EEES3N_NS_25StaticBufferTupleOfVectorILS3G_4EfLi64ELi4ELb1ELb0EEEEEvRKT1_RKT2_RT3_RKT4_RT5_RKT6_RKT7_RT8_RKT9_RT10_RKT11_RT12_iENKUlT_E0_clINSH_IiLi0EEEEEDaS51_EUlS51_E_EEvS51_EUlS51_E_EEvS51_,@function
_ZNK2ck6detail7applierIiJLi0ELi1ELi2ELi3ELi4ELi5ELi6ELi7EEEclIZNKS_11static_fordINS_8SequenceIJLi1ELi8EEEENS5_IJLi0ELi1EEEEEclIZZNKS_52BlockwiseGemmXdlops_pipeline_bpreshuffle_bdequant_v3ILNS_26BlockGemmPipelineSchedulerE0ELi256ENS_9f8_fnuz_tENS_7pk_i4_tESC_fNS_16TensorDescriptorINS_5TupleIJNS_5EmbedINSF_IJNS_17integral_constantIiLi8EEENSH_IiLi256EEENSH_IiLi16EEEEEENSF_IJSK_NSH_IiLi128EEENSH_IiLi1EEEEEELb0EEENS_3XorINSF_IJSJ_SI_EEELb1EEENS_11PassThroughISK_EENS_7UnMergeINSF_IJSI_SN_EEELb0EEENST_ISJ_EESU_NST_ISI_EENS_21Merge_v3_division_modINSF_IJSJ_SN_EEEEESU_EEENSF_IJNS5_IJLi0EEEENS5_IJLi2ELi1EEEENS5_IJLi3EEEENS5_IJLi5EEEENS5_IJLi4EEEENS5_IJLi6EEEENS5_IJLi7EEEENS5_IJLi9ELi8EEEENS5_IJLi10EEEEEEENSF_IJNS5_IJLi1ELi2ELi3EEEENS5_IJLi4ELi5EEEES19_NS5_IJLi7ELi8EEEENS5_IJLi9EEEES1C_NS5_IJLi11EEEENS5_IJLi12EEEENS5_IJLi13EEEEEEENS5_IJLi11ELi12ELi13EEEENSH_IlLl32768EEEEENSE_INSF_IJNSV_INSF_IJSI_SN_SN_NSH_IiLi32EEEEEELb0EEEEEENSF_IJS14_EEENSF_IJNS5_IJLi1ELi2ELi3ELi4EEEEEEES1U_NSH_IlLl256EEEEENSE_INSF_IJSP_SS_SU_SX_SY_SU_SZ_S12_SU_NS10_INSF_IJSI_SK_EEEEENSV_INSF_IJSI_NSH_IiLi2EEESK_EEELb0EEEEEENSF_IJS14_S15_S16_S17_S18_S19_S1A_S1B_S1C_NS5_IJLi11ELi13EEEES1J_EEENSF_IJS1E_S1F_S19_S1G_S1H_S1C_S1I_S1J_S1K_NS5_IJLi14EEEENS5_IJLi15ELi16ELi17EEEEEEENS5_IJLi15ELi16ELi17ELi14EEEES1N_EENSE_INSF_IJS1R_NS10_ISW_EES22_EEENSF_IJS14_NS5_IJLi1ELi3EEEENS5_IJLi2EEEEEEENSF_IJS1U_S17_NS5_IJLi6ELi7ELi8EEEEEEENS5_IJLi6ELi7ELi8ELi5EEEES1W_EELi16ELi32ELi256ELi256ELi128ELi16ELi16ELi8ELi8ELi32ELb0EE3RunILb1ELNS_10TailNumberE0ENSE_INSF_IJNSG_INSF_IJiiEEENSF_IJiSN_EEELb0EEENSV_IS2N_Lb0EEENST_IiEEEEENSF_IJS14_S2E_NS5_IJLi1EEEEEEENSF_IJNS5_IJLi1ELi2EEEENS5_IJLi3ELi4EEEES17_EEENS5_IJLi3ELi5ELi4EEEElEES1O_NS_35ThreadGroupTensorSliceTransfer_v4r1INS_15ThisThreadBlockILi256EEENS_16tensor_operation12element_wise11PassThroughES35_LNS_25InMemoryDataOperationEnumE0ENS5_IJLi8ELi256ELi16EEEENS5_IJLi8ELi32ELi1EEEENS5_IJLi1ELi0ELi2EEEESC_SC_RKS2Z_KS1O_S39_NS5_IJLi0ELi1ELi2EEEELi2ELi2ELi16ELi16ELi1ELi1ELb0ELb1ELi2EiEENS_13DynamicBufferILNS_16AddressSpaceEnumE1EKSC_lLb1ELNS_22AmdBufferCoherenceEnumE0EiEENSF_IJNS3F_ILS3G_2ESC_S1N_Lb1ELS3I_0EiEES3K_EEENSF_IJiiiEEENSE_INSF_IJNSG_INSF_IJiiiiEEENSF_IJiiiSN_EEELb0EEEEEES1T_S1V_S1U_lEENS_32ThreadwiseTensorSliceTransfer_v2ISD_SD_RKS3R_KS1X_NS5_IJLi8ELi1ELi1ELi32EEEENS5_IJLi1ELi2ELi0ELi3EEEELi3ELi32ELi0ELb1ELb0ELb0EEENS3F_ILS3G_1EKSD_lLb1ELS3I_0EiEENSF_IJNS_12StaticBufferILS3G_4ESD_Li256ELb1EEES42_EEES3N_NS_25StaticBufferTupleOfVectorILS3G_4EfLi64ELi4ELb1ELb0EEEEEvRKT1_RKT2_RT3_RKT4_RT5_RKT6_RKT7_RT8_RKT9_RT10_RKT11_RT12_iENKUlT_E0_clINSH_IiLi0EEEEEDaS51_EUlS51_E_EEvS51_EUlS51_E_EEvS51_: ; @_ZNK2ck6detail7applierIiJLi0ELi1ELi2ELi3ELi4ELi5ELi6ELi7EEEclIZNKS_11static_fordINS_8SequenceIJLi1ELi8EEEENS5_IJLi0ELi1EEEEEclIZZNKS_52BlockwiseGemmXdlops_pipeline_bpreshuffle_bdequant_v3ILNS_26BlockGemmPipelineSchedulerE0ELi256ENS_9f8_fnuz_tENS_7pk_i4_tESC_fNS_16TensorDescriptorINS_5TupleIJNS_5EmbedINSF_IJNS_17integral_constantIiLi8EEENSH_IiLi256EEENSH_IiLi16EEEEEENSF_IJSK_NSH_IiLi128EEENSH_IiLi1EEEEEELb0EEENS_3XorINSF_IJSJ_SI_EEELb1EEENS_11PassThroughISK_EENS_7UnMergeINSF_IJSI_SN_EEELb0EEENST_ISJ_EESU_NST_ISI_EENS_21Merge_v3_division_modINSF_IJSJ_SN_EEEEESU_EEENSF_IJNS5_IJLi0EEEENS5_IJLi2ELi1EEEENS5_IJLi3EEEENS5_IJLi5EEEENS5_IJLi4EEEENS5_IJLi6EEEENS5_IJLi7EEEENS5_IJLi9ELi8EEEENS5_IJLi10EEEEEEENSF_IJNS5_IJLi1ELi2ELi3EEEENS5_IJLi4ELi5EEEES19_NS5_IJLi7ELi8EEEENS5_IJLi9EEEES1C_NS5_IJLi11EEEENS5_IJLi12EEEENS5_IJLi13EEEEEEENS5_IJLi11ELi12ELi13EEEENSH_IlLl32768EEEEENSE_INSF_IJNSV_INSF_IJSI_SN_SN_NSH_IiLi32EEEEEELb0EEEEEENSF_IJS14_EEENSF_IJNS5_IJLi1ELi2ELi3ELi4EEEEEEES1U_NSH_IlLl256EEEEENSE_INSF_IJSP_SS_SU_SX_SY_SU_SZ_S12_SU_NS10_INSF_IJSI_SK_EEEEENSV_INSF_IJSI_NSH_IiLi2EEESK_EEELb0EEEEEENSF_IJS14_S15_S16_S17_S18_S19_S1A_S1B_S1C_NS5_IJLi11ELi13EEEES1J_EEENSF_IJS1E_S1F_S19_S1G_S1H_S1C_S1I_S1J_S1K_NS5_IJLi14EEEENS5_IJLi15ELi16ELi17EEEEEEENS5_IJLi15ELi16ELi17ELi14EEEES1N_EENSE_INSF_IJS1R_NS10_ISW_EES22_EEENSF_IJS14_NS5_IJLi1ELi3EEEENS5_IJLi2EEEEEEENSF_IJS1U_S17_NS5_IJLi6ELi7ELi8EEEEEEENS5_IJLi6ELi7ELi8ELi5EEEES1W_EELi16ELi32ELi256ELi256ELi128ELi16ELi16ELi8ELi8ELi32ELb0EE3RunILb1ELNS_10TailNumberE0ENSE_INSF_IJNSG_INSF_IJiiEEENSF_IJiSN_EEELb0EEENSV_IS2N_Lb0EEENST_IiEEEEENSF_IJS14_S2E_NS5_IJLi1EEEEEEENSF_IJNS5_IJLi1ELi2EEEENS5_IJLi3ELi4EEEES17_EEENS5_IJLi3ELi5ELi4EEEElEES1O_NS_35ThreadGroupTensorSliceTransfer_v4r1INS_15ThisThreadBlockILi256EEENS_16tensor_operation12element_wise11PassThroughES35_LNS_25InMemoryDataOperationEnumE0ENS5_IJLi8ELi256ELi16EEEENS5_IJLi8ELi32ELi1EEEENS5_IJLi1ELi0ELi2EEEESC_SC_RKS2Z_KS1O_S39_NS5_IJLi0ELi1ELi2EEEELi2ELi2ELi16ELi16ELi1ELi1ELb0ELb1ELi2EiEENS_13DynamicBufferILNS_16AddressSpaceEnumE1EKSC_lLb1ELNS_22AmdBufferCoherenceEnumE0EiEENSF_IJNS3F_ILS3G_2ESC_S1N_Lb1ELS3I_0EiEES3K_EEENSF_IJiiiEEENSE_INSF_IJNSG_INSF_IJiiiiEEENSF_IJiiiSN_EEELb0EEEEEES1T_S1V_S1U_lEENS_32ThreadwiseTensorSliceTransfer_v2ISD_SD_RKS3R_KS1X_NS5_IJLi8ELi1ELi1ELi32EEEENS5_IJLi1ELi2ELi0ELi3EEEELi3ELi32ELi0ELb1ELb0ELb0EEENS3F_ILS3G_1EKSD_lLb1ELS3I_0EiEENSF_IJNS_12StaticBufferILS3G_4ESD_Li256ELb1EEES42_EEES3N_NS_25StaticBufferTupleOfVectorILS3G_4EfLi64ELi4ELb1ELb0EEEEEvRKT1_RKT2_RT3_RKT4_RT5_RKT6_RKT7_RT8_RKT9_RT10_RKT11_RT12_iENKUlT_E0_clINSH_IiLi0EEEEEDaS51_EUlS51_E_EEvS51_EUlS51_E_EEvS51_
; %bb.0:
	s_waitcnt vmcnt(0) expcnt(0) lgkmcnt(0)
	flat_load_dwordx4 v[20:23], v[0:1] offset:8
	flat_load_dwordx2 v[18:19], v[0:1] offset:24
	s_movk_i32 s4, 0x7f
                                        ; implicit-def: $sgpr10
	s_waitcnt vmcnt(0) lgkmcnt(0)
	flat_load_dwordx4 v[14:17], v[20:21]
	flat_load_dwordx4 v[10:13], v[22:23]
	flat_load_dwordx4 v[6:9], v[20:21] offset:16
	flat_load_dwordx4 v[2:5], v[22:23] offset:16
	s_waitcnt vmcnt(0) lgkmcnt(0)
	v_cmp_gt_i16_sdwa s[6:7], v14, s4 src0_sel:BYTE_0 src1_sel:DWORD
	s_mov_b64 s[4:5], 0
	s_and_saveexec_b64 s[8:9], s[6:7]
	s_xor_b64 s[6:7], exec, s[8:9]
	s_cbranch_execnz .LBB18_2049
; %bb.1:
	s_or_saveexec_b64 s[6:7], s[6:7]
	v_mov_b32_e32 v20, s10
	s_xor_b64 exec, exec, s[6:7]
	s_cbranch_execnz .LBB18_2052
.LBB18_2:
	s_or_b64 exec, exec, s[6:7]
	s_and_saveexec_b64 s[6:7], s[4:5]
	s_cbranch_execz .LBB18_4
.LBB18_3:
	v_and_b32_e32 v20, 7, v14
	v_ffbh_u32_e32 v22, v20
	v_min_u32_e32 v22, 32, v22
	v_lshrrev_b16_e32 v21, 3, v14
	v_subrev_u32_e32 v23, 28, v22
	v_and_b32_e32 v21, 15, v21
	v_lshlrev_b32_e32 v23, v23, v14
	v_sub_u32_e32 v22, 29, v22
	v_and_b32_e32 v23, 7, v23
	v_cmp_eq_u16_e32 vcc, 0, v21
	v_cndmask_b32_e32 v20, v20, v23, vcc
	v_cndmask_b32_e32 v21, v21, v22, vcc
	v_lshlrev_b32_e32 v22, 24, v14
	v_mov_b32_e32 v23, 0x3b800000
	v_lshlrev_b32_e32 v20, 20, v20
	v_and_b32_e32 v22, 0x80000000, v22
	v_lshl_add_u32 v21, v21, 23, v23
	v_or3_b32 v20, v22, v21, v20
.LBB18_4:
	s_or_b64 exec, exec, s[6:7]
	s_movk_i32 s4, 0x7f
	v_cmp_gt_i16_sdwa s[6:7], v10, s4 src0_sel:BYTE_0 src1_sel:DWORD
	s_mov_b64 s[4:5], 0
                                        ; implicit-def: $sgpr10
	s_and_saveexec_b64 s[8:9], s[6:7]
	s_xor_b64 s[6:7], exec, s[8:9]
	s_cbranch_execnz .LBB18_2053
; %bb.5:
	s_or_saveexec_b64 s[6:7], s[6:7]
	v_mov_b32_e32 v21, s10
	s_xor_b64 exec, exec, s[6:7]
	s_cbranch_execnz .LBB18_2056
.LBB18_6:
	s_or_b64 exec, exec, s[6:7]
	s_and_saveexec_b64 s[6:7], s[4:5]
	s_cbranch_execz .LBB18_8
.LBB18_7:
	v_and_b32_e32 v21, 7, v10
	v_ffbh_u32_e32 v23, v21
	v_min_u32_e32 v23, 32, v23
	v_lshrrev_b16_e32 v22, 3, v10
	v_subrev_u32_e32 v24, 28, v23
	v_and_b32_e32 v22, 15, v22
	v_lshlrev_b32_e32 v24, v24, v10
	v_sub_u32_e32 v23, 29, v23
	v_and_b32_e32 v24, 7, v24
	v_cmp_eq_u16_e32 vcc, 0, v22
	v_cndmask_b32_e32 v21, v21, v24, vcc
	v_cndmask_b32_e32 v22, v22, v23, vcc
	v_lshlrev_b32_e32 v23, 24, v10
	v_mov_b32_e32 v24, 0x3b800000
	v_lshlrev_b32_e32 v21, 20, v21
	v_and_b32_e32 v23, 0x80000000, v23
	v_lshl_add_u32 v22, v22, 23, v24
	v_or3_b32 v21, v23, v22, v21
.LBB18_8:
	s_or_b64 exec, exec, s[6:7]
	flat_load_dwordx4 a[0:3], v[18:19]
	s_movk_i32 s4, 0x7f
                                        ; implicit-def: $sgpr10
	s_waitcnt vmcnt(0) lgkmcnt(0)
	v_mfma_f32_16x16x4f32 a[0:3], v20, v21, a[0:3]
	v_lshrrev_b32_e32 v21, 8, v14
	v_cmp_gt_i16_sdwa s[6:7], v21, s4 src0_sel:BYTE_0 src1_sel:DWORD
	s_mov_b64 s[4:5], 0
	s_and_saveexec_b64 s[8:9], s[6:7]
	s_xor_b64 s[6:7], exec, s[8:9]
	s_cbranch_execnz .LBB18_2057
; %bb.9:
	s_or_saveexec_b64 s[6:7], s[6:7]
	v_mov_b32_e32 v20, s10
	s_xor_b64 exec, exec, s[6:7]
	s_cbranch_execnz .LBB18_2060
.LBB18_10:
	s_or_b64 exec, exec, s[6:7]
	s_and_saveexec_b64 s[6:7], s[4:5]
	s_cbranch_execz .LBB18_12
.LBB18_11:
	v_bfe_u32 v20, v14, 8, 3
	v_ffbh_u32_e32 v23, v20
	v_min_u32_e32 v23, 32, v23
	v_lshrrev_b16_e32 v22, 3, v21
	v_subrev_u32_e32 v24, 28, v23
	v_and_b32_e32 v22, 15, v22
	v_lshlrev_b32_e32 v21, v24, v21
	v_sub_u32_e32 v23, 29, v23
	v_and_b32_e32 v21, 7, v21
	v_cmp_eq_u16_e32 vcc, 0, v22
	v_cndmask_b32_e32 v20, v20, v21, vcc
	v_cndmask_b32_e32 v21, v22, v23, vcc
	v_lshlrev_b32_e32 v22, 16, v14
	v_mov_b32_e32 v23, 0x3b800000
	v_lshlrev_b32_e32 v20, 20, v20
	v_and_b32_e32 v22, 0x80000000, v22
	v_lshl_add_u32 v21, v21, 23, v23
	v_or3_b32 v20, v22, v21, v20
.LBB18_12:
	s_or_b64 exec, exec, s[6:7]
	v_lshrrev_b32_e32 v21, 8, v10
	s_movk_i32 s4, 0x7f
	v_cmp_gt_i16_sdwa s[6:7], v21, s4 src0_sel:BYTE_0 src1_sel:DWORD
	s_mov_b64 s[4:5], 0
                                        ; implicit-def: $sgpr10
	s_and_saveexec_b64 s[8:9], s[6:7]
	s_xor_b64 s[6:7], exec, s[8:9]
	s_cbranch_execnz .LBB18_2061
; %bb.13:
	s_or_saveexec_b64 s[6:7], s[6:7]
	v_mov_b32_e32 v22, s10
	s_xor_b64 exec, exec, s[6:7]
	s_cbranch_execnz .LBB18_2064
.LBB18_14:
	s_or_b64 exec, exec, s[6:7]
	s_and_saveexec_b64 s[6:7], s[4:5]
	s_cbranch_execz .LBB18_16
.LBB18_15:
	v_bfe_u32 v22, v10, 8, 3
	v_ffbh_u32_e32 v24, v22
	v_min_u32_e32 v24, 32, v24
	v_lshrrev_b16_e32 v23, 3, v21
	v_subrev_u32_e32 v25, 28, v24
	v_and_b32_e32 v23, 15, v23
	v_lshlrev_b32_e32 v21, v25, v21
	v_sub_u32_e32 v24, 29, v24
	v_and_b32_e32 v21, 7, v21
	v_cmp_eq_u16_e32 vcc, 0, v23
	v_cndmask_b32_e32 v21, v22, v21, vcc
	v_cndmask_b32_e32 v22, v23, v24, vcc
	v_lshlrev_b32_e32 v23, 16, v10
	v_mov_b32_e32 v24, 0x3b800000
	v_lshlrev_b32_e32 v21, 20, v21
	v_and_b32_e32 v23, 0x80000000, v23
	v_lshl_add_u32 v22, v22, 23, v24
	v_or3_b32 v22, v23, v22, v21
.LBB18_16:
	s_or_b64 exec, exec, s[6:7]
	s_nop 0
	v_mfma_f32_16x16x4f32 a[0:3], v20, v22, a[0:3]
	s_movk_i32 s4, 0xff
	v_and_b32_sdwa v21, v14, s4 dst_sel:DWORD dst_unused:UNUSED_PAD src0_sel:WORD_1 src1_sel:DWORD
	s_movk_i32 s4, 0x7f
	v_cmp_lt_i16_e32 vcc, s4, v21
	s_mov_b64 s[4:5], 0
                                        ; implicit-def: $sgpr10
	s_and_saveexec_b64 s[6:7], vcc
	s_xor_b64 s[6:7], exec, s[6:7]
	s_cbranch_execnz .LBB18_2065
; %bb.17:
	s_or_saveexec_b64 s[6:7], s[6:7]
	v_mov_b32_e32 v20, s10
	s_xor_b64 exec, exec, s[6:7]
	s_cbranch_execnz .LBB18_2068
.LBB18_18:
	s_or_b64 exec, exec, s[6:7]
	s_and_saveexec_b64 s[6:7], s[4:5]
	s_cbranch_execz .LBB18_20
.LBB18_19:
	v_bfe_u32 v20, v14, 16, 3
	v_ffbh_u32_e32 v23, v20
	v_min_u32_e32 v23, 32, v23
	v_lshrrev_b32_e32 v21, 19, v14
	v_subrev_u32_e32 v24, 28, v23
	v_and_b32_e32 v21, 15, v21
	v_lshlrev_b32_sdwa v24, v24, v14 dst_sel:DWORD dst_unused:UNUSED_PAD src0_sel:DWORD src1_sel:WORD_1
	v_bfe_u32 v22, v14, 19, 4
	v_sub_u32_e32 v23, 29, v23
	v_and_b32_e32 v24, 7, v24
	v_cmp_eq_u16_e32 vcc, 0, v21
	v_cndmask_b32_e32 v20, v20, v24, vcc
	v_cndmask_b32_e32 v21, v22, v23, vcc
	v_lshlrev_b32_e32 v22, 8, v14
	v_mov_b32_e32 v23, 0x3b800000
	v_lshlrev_b32_e32 v20, 20, v20
	v_and_b32_e32 v22, 0x80000000, v22
	v_lshl_add_u32 v21, v21, 23, v23
	v_or3_b32 v20, v22, v21, v20
.LBB18_20:
	s_or_b64 exec, exec, s[6:7]
	s_movk_i32 s4, 0xff
	v_and_b32_sdwa v21, v10, s4 dst_sel:DWORD dst_unused:UNUSED_PAD src0_sel:WORD_1 src1_sel:DWORD
	s_movk_i32 s4, 0x7f
	v_cmp_lt_i16_e32 vcc, s4, v21
	s_mov_b64 s[4:5], 0
                                        ; implicit-def: $sgpr10
	s_and_saveexec_b64 s[6:7], vcc
	s_xor_b64 s[6:7], exec, s[6:7]
	s_cbranch_execnz .LBB18_2069
; %bb.21:
	s_or_saveexec_b64 s[6:7], s[6:7]
	v_mov_b32_e32 v22, s10
	s_xor_b64 exec, exec, s[6:7]
	s_cbranch_execnz .LBB18_2072
.LBB18_22:
	s_or_b64 exec, exec, s[6:7]
	s_and_saveexec_b64 s[6:7], s[4:5]
	s_cbranch_execz .LBB18_24
.LBB18_23:
	v_bfe_u32 v21, v10, 16, 3
	v_ffbh_u32_e32 v24, v21
	v_min_u32_e32 v24, 32, v24
	v_lshrrev_b32_e32 v22, 19, v10
	v_subrev_u32_e32 v25, 28, v24
	v_and_b32_e32 v22, 15, v22
	v_lshlrev_b32_sdwa v25, v25, v10 dst_sel:DWORD dst_unused:UNUSED_PAD src0_sel:DWORD src1_sel:WORD_1
	v_bfe_u32 v23, v10, 19, 4
	v_sub_u32_e32 v24, 29, v24
	v_and_b32_e32 v25, 7, v25
	v_cmp_eq_u16_e32 vcc, 0, v22
	v_cndmask_b32_e32 v21, v21, v25, vcc
	v_cndmask_b32_e32 v22, v23, v24, vcc
	v_lshlrev_b32_e32 v23, 8, v10
	v_mov_b32_e32 v24, 0x3b800000
	v_lshlrev_b32_e32 v21, 20, v21
	v_and_b32_e32 v23, 0x80000000, v23
	v_lshl_add_u32 v22, v22, 23, v24
	v_or3_b32 v22, v23, v22, v21
.LBB18_24:
	s_or_b64 exec, exec, s[6:7]
	s_nop 0
	v_mfma_f32_16x16x4f32 a[0:3], v20, v22, a[0:3]
	s_movk_i32 s4, 0x7f
	v_cmp_gt_i16_sdwa s[6:7], v14, s4 src0_sel:BYTE_3 src1_sel:DWORD
	s_mov_b64 s[4:5], 0
                                        ; implicit-def: $sgpr10
	s_and_saveexec_b64 s[8:9], s[6:7]
	s_xor_b64 s[6:7], exec, s[8:9]
	s_cbranch_execnz .LBB18_2073
; %bb.25:
	s_or_saveexec_b64 s[6:7], s[6:7]
	v_mov_b32_e32 v20, s10
	s_xor_b64 exec, exec, s[6:7]
	s_cbranch_execnz .LBB18_2076
.LBB18_26:
	s_or_b64 exec, exec, s[6:7]
	s_and_saveexec_b64 s[6:7], s[4:5]
	s_cbranch_execz .LBB18_28
.LBB18_27:
	v_bfe_u32 v20, v14, 24, 3
	v_ffbh_u32_e32 v24, v20
	v_min_u32_e32 v24, 32, v24
	v_lshrrev_b32_e32 v22, 27, v14
	v_subrev_u32_e32 v25, 28, v24
	v_and_b32_e32 v21, 0x80000000, v14
	v_and_b32_e32 v22, 15, v22
	v_bfe_u32 v23, v14, 27, 4
	v_lshlrev_b32_sdwa v14, v25, v14 dst_sel:DWORD dst_unused:UNUSED_PAD src0_sel:DWORD src1_sel:BYTE_3
	v_sub_u32_e32 v24, 29, v24
	v_and_b32_e32 v14, 7, v14
	v_cmp_eq_u16_e32 vcc, 0, v22
	v_cndmask_b32_e32 v14, v20, v14, vcc
	v_cndmask_b32_e32 v20, v23, v24, vcc
	v_mov_b32_e32 v22, 0x3b800000
	v_lshlrev_b32_e32 v14, 20, v14
	v_lshl_add_u32 v20, v20, 23, v22
	v_or3_b32 v20, v21, v20, v14
.LBB18_28:
	s_or_b64 exec, exec, s[6:7]
	s_movk_i32 s4, 0x7f
	v_cmp_gt_i16_sdwa s[6:7], v10, s4 src0_sel:BYTE_3 src1_sel:DWORD
	s_mov_b64 s[4:5], 0
                                        ; implicit-def: $sgpr10
	s_and_saveexec_b64 s[8:9], s[6:7]
	s_xor_b64 s[6:7], exec, s[8:9]
	s_cbranch_execnz .LBB18_2077
; %bb.29:
	s_or_saveexec_b64 s[6:7], s[6:7]
	v_mov_b32_e32 v14, s10
	s_xor_b64 exec, exec, s[6:7]
	s_cbranch_execnz .LBB18_2080
.LBB18_30:
	s_or_b64 exec, exec, s[6:7]
	s_and_saveexec_b64 s[6:7], s[4:5]
	s_cbranch_execz .LBB18_32
.LBB18_31:
	v_bfe_u32 v14, v10, 24, 3
	v_ffbh_u32_e32 v24, v14
	v_min_u32_e32 v24, 32, v24
	v_lshrrev_b32_e32 v22, 27, v10
	v_subrev_u32_e32 v25, 28, v24
	v_and_b32_e32 v21, 0x80000000, v10
	v_and_b32_e32 v22, 15, v22
	v_bfe_u32 v23, v10, 27, 4
	v_lshlrev_b32_sdwa v10, v25, v10 dst_sel:DWORD dst_unused:UNUSED_PAD src0_sel:DWORD src1_sel:BYTE_3
	v_sub_u32_e32 v24, 29, v24
	v_and_b32_e32 v10, 7, v10
	v_cmp_eq_u16_e32 vcc, 0, v22
	v_cndmask_b32_e32 v10, v14, v10, vcc
	v_cndmask_b32_e32 v14, v23, v24, vcc
	v_mov_b32_e32 v22, 0x3b800000
	v_lshlrev_b32_e32 v10, 20, v10
	v_lshl_add_u32 v14, v14, 23, v22
	v_or3_b32 v14, v21, v14, v10
.LBB18_32:
	s_or_b64 exec, exec, s[6:7]
	s_nop 0
	v_mfma_f32_16x16x4f32 a[0:3], v20, v14, a[0:3]
	s_movk_i32 s4, 0x7f
	v_cmp_gt_i16_sdwa s[6:7], v15, s4 src0_sel:BYTE_0 src1_sel:DWORD
	s_mov_b64 s[4:5], 0
                                        ; implicit-def: $sgpr10
	s_and_saveexec_b64 s[8:9], s[6:7]
	s_xor_b64 s[6:7], exec, s[8:9]
	s_cbranch_execnz .LBB18_2081
; %bb.33:
	s_or_saveexec_b64 s[6:7], s[6:7]
	v_mov_b32_e32 v10, s10
	s_xor_b64 exec, exec, s[6:7]
	s_cbranch_execnz .LBB18_2084
.LBB18_34:
	s_or_b64 exec, exec, s[6:7]
	s_and_saveexec_b64 s[6:7], s[4:5]
	s_cbranch_execz .LBB18_36
.LBB18_35:
	v_and_b32_e32 v10, 7, v15
	v_ffbh_u32_e32 v20, v10
	v_min_u32_e32 v20, 32, v20
	v_lshrrev_b16_e32 v14, 3, v15
	v_subrev_u32_e32 v21, 28, v20
	v_and_b32_e32 v14, 15, v14
	v_lshlrev_b32_e32 v21, v21, v15
	v_sub_u32_e32 v20, 29, v20
	v_and_b32_e32 v21, 7, v21
	v_cmp_eq_u16_e32 vcc, 0, v14
	v_cndmask_b32_e32 v10, v10, v21, vcc
	v_cndmask_b32_e32 v14, v14, v20, vcc
	v_lshlrev_b32_e32 v20, 24, v15
	v_mov_b32_e32 v21, 0x3b800000
	v_lshlrev_b32_e32 v10, 20, v10
	v_and_b32_e32 v20, 0x80000000, v20
	v_lshl_add_u32 v14, v14, 23, v21
	v_or3_b32 v10, v20, v14, v10
.LBB18_36:
	s_or_b64 exec, exec, s[6:7]
	s_movk_i32 s4, 0x7f
	v_cmp_gt_i16_sdwa s[6:7], v11, s4 src0_sel:BYTE_0 src1_sel:DWORD
	s_mov_b64 s[4:5], 0
                                        ; implicit-def: $sgpr10
	s_and_saveexec_b64 s[8:9], s[6:7]
	s_xor_b64 s[6:7], exec, s[8:9]
	s_cbranch_execnz .LBB18_2085
; %bb.37:
	s_or_saveexec_b64 s[6:7], s[6:7]
	v_mov_b32_e32 v14, s10
	s_xor_b64 exec, exec, s[6:7]
	s_cbranch_execnz .LBB18_2088
.LBB18_38:
	s_or_b64 exec, exec, s[6:7]
	s_and_saveexec_b64 s[6:7], s[4:5]
	s_cbranch_execz .LBB18_40
.LBB18_39:
	v_and_b32_e32 v14, 7, v11
	v_ffbh_u32_e32 v21, v14
	v_min_u32_e32 v21, 32, v21
	v_lshrrev_b16_e32 v20, 3, v11
	v_subrev_u32_e32 v22, 28, v21
	v_and_b32_e32 v20, 15, v20
	v_lshlrev_b32_e32 v22, v22, v11
	v_sub_u32_e32 v21, 29, v21
	v_and_b32_e32 v22, 7, v22
	v_cmp_eq_u16_e32 vcc, 0, v20
	v_cndmask_b32_e32 v14, v14, v22, vcc
	v_cndmask_b32_e32 v20, v20, v21, vcc
	v_lshlrev_b32_e32 v21, 24, v11
	v_mov_b32_e32 v22, 0x3b800000
	v_lshlrev_b32_e32 v14, 20, v14
	v_and_b32_e32 v21, 0x80000000, v21
	v_lshl_add_u32 v20, v20, 23, v22
	v_or3_b32 v14, v21, v20, v14
.LBB18_40:
	s_or_b64 exec, exec, s[6:7]
	s_nop 0
	v_mfma_f32_16x16x4f32 a[0:3], v10, v14, a[0:3]
	v_lshrrev_b32_e32 v14, 8, v15
	s_movk_i32 s4, 0x7f
	v_cmp_gt_i16_sdwa s[6:7], v14, s4 src0_sel:BYTE_0 src1_sel:DWORD
	s_mov_b64 s[4:5], 0
                                        ; implicit-def: $sgpr10
	s_and_saveexec_b64 s[8:9], s[6:7]
	s_xor_b64 s[6:7], exec, s[8:9]
	s_cbranch_execnz .LBB18_2089
; %bb.41:
	s_or_saveexec_b64 s[6:7], s[6:7]
	v_mov_b32_e32 v10, s10
	s_xor_b64 exec, exec, s[6:7]
	s_cbranch_execnz .LBB18_2092
.LBB18_42:
	s_or_b64 exec, exec, s[6:7]
	s_and_saveexec_b64 s[6:7], s[4:5]
	s_cbranch_execz .LBB18_44
.LBB18_43:
	v_bfe_u32 v10, v15, 8, 3
	v_ffbh_u32_e32 v21, v10
	v_min_u32_e32 v21, 32, v21
	v_lshrrev_b16_e32 v20, 3, v14
	v_subrev_u32_e32 v22, 28, v21
	v_and_b32_e32 v20, 15, v20
	v_lshlrev_b32_e32 v14, v22, v14
	v_sub_u32_e32 v21, 29, v21
	v_and_b32_e32 v14, 7, v14
	v_cmp_eq_u16_e32 vcc, 0, v20
	v_cndmask_b32_e32 v10, v10, v14, vcc
	v_cndmask_b32_e32 v14, v20, v21, vcc
	v_lshlrev_b32_e32 v20, 16, v15
	v_mov_b32_e32 v21, 0x3b800000
	v_lshlrev_b32_e32 v10, 20, v10
	v_and_b32_e32 v20, 0x80000000, v20
	v_lshl_add_u32 v14, v14, 23, v21
	v_or3_b32 v10, v20, v14, v10
.LBB18_44:
	s_or_b64 exec, exec, s[6:7]
	v_lshrrev_b32_e32 v14, 8, v11
	s_movk_i32 s4, 0x7f
	v_cmp_gt_i16_sdwa s[6:7], v14, s4 src0_sel:BYTE_0 src1_sel:DWORD
	s_mov_b64 s[4:5], 0
                                        ; implicit-def: $sgpr10
	s_and_saveexec_b64 s[8:9], s[6:7]
	s_xor_b64 s[6:7], exec, s[8:9]
	s_cbranch_execnz .LBB18_2093
; %bb.45:
	s_or_saveexec_b64 s[6:7], s[6:7]
	v_mov_b32_e32 v20, s10
	s_xor_b64 exec, exec, s[6:7]
	s_cbranch_execnz .LBB18_2096
.LBB18_46:
	s_or_b64 exec, exec, s[6:7]
	s_and_saveexec_b64 s[6:7], s[4:5]
	s_cbranch_execz .LBB18_48
.LBB18_47:
	v_bfe_u32 v20, v11, 8, 3
	v_ffbh_u32_e32 v22, v20
	v_min_u32_e32 v22, 32, v22
	v_lshrrev_b16_e32 v21, 3, v14
	v_subrev_u32_e32 v23, 28, v22
	v_and_b32_e32 v21, 15, v21
	v_lshlrev_b32_e32 v14, v23, v14
	v_sub_u32_e32 v22, 29, v22
	v_and_b32_e32 v14, 7, v14
	v_cmp_eq_u16_e32 vcc, 0, v21
	v_cndmask_b32_e32 v14, v20, v14, vcc
	v_cndmask_b32_e32 v20, v21, v22, vcc
	v_lshlrev_b32_e32 v21, 16, v11
	v_mov_b32_e32 v22, 0x3b800000
	v_lshlrev_b32_e32 v14, 20, v14
	v_and_b32_e32 v21, 0x80000000, v21
	v_lshl_add_u32 v20, v20, 23, v22
	v_or3_b32 v20, v21, v20, v14
.LBB18_48:
	s_or_b64 exec, exec, s[6:7]
	s_nop 0
	v_mfma_f32_16x16x4f32 a[0:3], v10, v20, a[0:3]
	s_movk_i32 s4, 0xff
	v_and_b32_sdwa v14, v15, s4 dst_sel:DWORD dst_unused:UNUSED_PAD src0_sel:WORD_1 src1_sel:DWORD
	s_movk_i32 s4, 0x7f
	v_cmp_lt_i16_e32 vcc, s4, v14
	s_mov_b64 s[4:5], 0
                                        ; implicit-def: $sgpr10
	s_and_saveexec_b64 s[6:7], vcc
	s_xor_b64 s[6:7], exec, s[6:7]
	s_cbranch_execnz .LBB18_2097
; %bb.49:
	s_or_saveexec_b64 s[6:7], s[6:7]
	v_mov_b32_e32 v10, s10
	s_xor_b64 exec, exec, s[6:7]
	s_cbranch_execnz .LBB18_2100
.LBB18_50:
	s_or_b64 exec, exec, s[6:7]
	s_and_saveexec_b64 s[6:7], s[4:5]
	s_cbranch_execz .LBB18_52
.LBB18_51:
	v_bfe_u32 v10, v15, 16, 3
	v_ffbh_u32_e32 v21, v10
	v_min_u32_e32 v21, 32, v21
	v_lshrrev_b32_e32 v14, 19, v15
	v_subrev_u32_e32 v22, 28, v21
	v_and_b32_e32 v14, 15, v14
	v_lshlrev_b32_sdwa v22, v22, v15 dst_sel:DWORD dst_unused:UNUSED_PAD src0_sel:DWORD src1_sel:WORD_1
	v_bfe_u32 v20, v15, 19, 4
	v_sub_u32_e32 v21, 29, v21
	v_and_b32_e32 v22, 7, v22
	v_cmp_eq_u16_e32 vcc, 0, v14
	v_cndmask_b32_e32 v10, v10, v22, vcc
	v_cndmask_b32_e32 v14, v20, v21, vcc
	v_lshlrev_b32_e32 v20, 8, v15
	v_mov_b32_e32 v21, 0x3b800000
	v_lshlrev_b32_e32 v10, 20, v10
	v_and_b32_e32 v20, 0x80000000, v20
	v_lshl_add_u32 v14, v14, 23, v21
	v_or3_b32 v10, v20, v14, v10
.LBB18_52:
	s_or_b64 exec, exec, s[6:7]
	s_movk_i32 s4, 0xff
	v_and_b32_sdwa v14, v11, s4 dst_sel:DWORD dst_unused:UNUSED_PAD src0_sel:WORD_1 src1_sel:DWORD
	s_movk_i32 s4, 0x7f
	v_cmp_lt_i16_e32 vcc, s4, v14
	s_mov_b64 s[4:5], 0
                                        ; implicit-def: $sgpr10
	s_and_saveexec_b64 s[6:7], vcc
	s_xor_b64 s[6:7], exec, s[6:7]
	s_cbranch_execnz .LBB18_2101
; %bb.53:
	s_or_saveexec_b64 s[6:7], s[6:7]
	v_mov_b32_e32 v20, s10
	s_xor_b64 exec, exec, s[6:7]
	s_cbranch_execnz .LBB18_2104
.LBB18_54:
	s_or_b64 exec, exec, s[6:7]
	s_and_saveexec_b64 s[6:7], s[4:5]
	s_cbranch_execz .LBB18_56
.LBB18_55:
	v_bfe_u32 v14, v11, 16, 3
	v_ffbh_u32_e32 v22, v14
	v_min_u32_e32 v22, 32, v22
	v_lshrrev_b32_e32 v20, 19, v11
	v_subrev_u32_e32 v23, 28, v22
	v_and_b32_e32 v20, 15, v20
	v_lshlrev_b32_sdwa v23, v23, v11 dst_sel:DWORD dst_unused:UNUSED_PAD src0_sel:DWORD src1_sel:WORD_1
	v_bfe_u32 v21, v11, 19, 4
	v_sub_u32_e32 v22, 29, v22
	v_and_b32_e32 v23, 7, v23
	v_cmp_eq_u16_e32 vcc, 0, v20
	v_cndmask_b32_e32 v14, v14, v23, vcc
	v_cndmask_b32_e32 v20, v21, v22, vcc
	v_lshlrev_b32_e32 v21, 8, v11
	v_mov_b32_e32 v22, 0x3b800000
	v_lshlrev_b32_e32 v14, 20, v14
	v_and_b32_e32 v21, 0x80000000, v21
	v_lshl_add_u32 v20, v20, 23, v22
	v_or3_b32 v20, v21, v20, v14
.LBB18_56:
	s_or_b64 exec, exec, s[6:7]
	s_nop 0
	v_mfma_f32_16x16x4f32 a[0:3], v10, v20, a[0:3]
	s_movk_i32 s4, 0x7f
	v_cmp_gt_i16_sdwa s[6:7], v15, s4 src0_sel:BYTE_3 src1_sel:DWORD
	s_mov_b64 s[4:5], 0
                                        ; implicit-def: $sgpr10
	s_and_saveexec_b64 s[8:9], s[6:7]
	s_xor_b64 s[6:7], exec, s[8:9]
	s_cbranch_execnz .LBB18_2105
; %bb.57:
	s_or_saveexec_b64 s[6:7], s[6:7]
	v_mov_b32_e32 v10, s10
	s_xor_b64 exec, exec, s[6:7]
	s_cbranch_execnz .LBB18_2108
.LBB18_58:
	s_or_b64 exec, exec, s[6:7]
	s_and_saveexec_b64 s[6:7], s[4:5]
	s_cbranch_execz .LBB18_60
.LBB18_59:
	v_bfe_u32 v10, v15, 24, 3
	v_ffbh_u32_e32 v22, v10
	v_min_u32_e32 v22, 32, v22
	v_lshrrev_b32_e32 v20, 27, v15
	v_subrev_u32_e32 v23, 28, v22
	v_and_b32_e32 v14, 0x80000000, v15
	v_and_b32_e32 v20, 15, v20
	v_bfe_u32 v21, v15, 27, 4
	v_lshlrev_b32_sdwa v15, v23, v15 dst_sel:DWORD dst_unused:UNUSED_PAD src0_sel:DWORD src1_sel:BYTE_3
	v_sub_u32_e32 v22, 29, v22
	v_and_b32_e32 v15, 7, v15
	v_cmp_eq_u16_e32 vcc, 0, v20
	v_cndmask_b32_e32 v10, v10, v15, vcc
	v_cndmask_b32_e32 v15, v21, v22, vcc
	v_mov_b32_e32 v20, 0x3b800000
	v_lshlrev_b32_e32 v10, 20, v10
	v_lshl_add_u32 v15, v15, 23, v20
	v_or3_b32 v10, v14, v15, v10
.LBB18_60:
	s_or_b64 exec, exec, s[6:7]
	s_movk_i32 s4, 0x7f
	v_cmp_gt_i16_sdwa s[6:7], v11, s4 src0_sel:BYTE_3 src1_sel:DWORD
	s_mov_b64 s[4:5], 0
                                        ; implicit-def: $sgpr10
	s_and_saveexec_b64 s[8:9], s[6:7]
	s_xor_b64 s[6:7], exec, s[8:9]
	s_cbranch_execnz .LBB18_2109
; %bb.61:
	s_or_saveexec_b64 s[6:7], s[6:7]
	v_mov_b32_e32 v14, s10
	s_xor_b64 exec, exec, s[6:7]
	s_cbranch_execnz .LBB18_2112
.LBB18_62:
	s_or_b64 exec, exec, s[6:7]
	s_and_saveexec_b64 s[6:7], s[4:5]
	s_cbranch_execz .LBB18_64
.LBB18_63:
	v_bfe_u32 v14, v11, 24, 3
	v_ffbh_u32_e32 v22, v14
	v_min_u32_e32 v22, 32, v22
	v_lshrrev_b32_e32 v20, 27, v11
	v_subrev_u32_e32 v23, 28, v22
	v_and_b32_e32 v15, 0x80000000, v11
	v_and_b32_e32 v20, 15, v20
	v_bfe_u32 v21, v11, 27, 4
	v_lshlrev_b32_sdwa v11, v23, v11 dst_sel:DWORD dst_unused:UNUSED_PAD src0_sel:DWORD src1_sel:BYTE_3
	v_sub_u32_e32 v22, 29, v22
	v_and_b32_e32 v11, 7, v11
	v_cmp_eq_u16_e32 vcc, 0, v20
	v_cndmask_b32_e32 v11, v14, v11, vcc
	v_cndmask_b32_e32 v14, v21, v22, vcc
	v_mov_b32_e32 v20, 0x3b800000
	v_lshlrev_b32_e32 v11, 20, v11
	v_lshl_add_u32 v14, v14, 23, v20
	v_or3_b32 v14, v15, v14, v11
.LBB18_64:
	s_or_b64 exec, exec, s[6:7]
	s_nop 0
	v_mfma_f32_16x16x4f32 a[0:3], v10, v14, a[0:3]
	s_movk_i32 s4, 0x7f
	v_cmp_gt_i16_sdwa s[6:7], v16, s4 src0_sel:BYTE_0 src1_sel:DWORD
	s_mov_b64 s[4:5], 0
                                        ; implicit-def: $sgpr10
	s_and_saveexec_b64 s[8:9], s[6:7]
	s_xor_b64 s[6:7], exec, s[8:9]
	s_cbranch_execnz .LBB18_2113
; %bb.65:
	s_or_saveexec_b64 s[6:7], s[6:7]
	v_mov_b32_e32 v10, s10
	s_xor_b64 exec, exec, s[6:7]
	s_cbranch_execnz .LBB18_2116
.LBB18_66:
	s_or_b64 exec, exec, s[6:7]
	s_and_saveexec_b64 s[6:7], s[4:5]
	s_cbranch_execz .LBB18_68
.LBB18_67:
	v_and_b32_e32 v10, 7, v16
	v_ffbh_u32_e32 v14, v10
	v_min_u32_e32 v14, 32, v14
	v_lshrrev_b16_e32 v11, 3, v16
	v_subrev_u32_e32 v15, 28, v14
	v_and_b32_e32 v11, 15, v11
	v_lshlrev_b32_e32 v15, v15, v16
	v_sub_u32_e32 v14, 29, v14
	v_and_b32_e32 v15, 7, v15
	v_cmp_eq_u16_e32 vcc, 0, v11
	v_cndmask_b32_e32 v10, v10, v15, vcc
	v_cndmask_b32_e32 v11, v11, v14, vcc
	v_lshlrev_b32_e32 v14, 24, v16
	v_mov_b32_e32 v15, 0x3b800000
	v_lshlrev_b32_e32 v10, 20, v10
	v_and_b32_e32 v14, 0x80000000, v14
	v_lshl_add_u32 v11, v11, 23, v15
	v_or3_b32 v10, v14, v11, v10
.LBB18_68:
	s_or_b64 exec, exec, s[6:7]
	s_movk_i32 s4, 0x7f
	v_cmp_gt_i16_sdwa s[6:7], v12, s4 src0_sel:BYTE_0 src1_sel:DWORD
	s_mov_b64 s[4:5], 0
                                        ; implicit-def: $sgpr10
	s_and_saveexec_b64 s[8:9], s[6:7]
	s_xor_b64 s[6:7], exec, s[8:9]
	s_cbranch_execnz .LBB18_2117
; %bb.69:
	s_or_saveexec_b64 s[6:7], s[6:7]
	v_mov_b32_e32 v11, s10
	s_xor_b64 exec, exec, s[6:7]
	s_cbranch_execnz .LBB18_2120
.LBB18_70:
	s_or_b64 exec, exec, s[6:7]
	s_and_saveexec_b64 s[6:7], s[4:5]
	s_cbranch_execz .LBB18_72
.LBB18_71:
	v_and_b32_e32 v11, 7, v12
	v_ffbh_u32_e32 v15, v11
	v_min_u32_e32 v15, 32, v15
	v_lshrrev_b16_e32 v14, 3, v12
	v_subrev_u32_e32 v20, 28, v15
	v_and_b32_e32 v14, 15, v14
	v_lshlrev_b32_e32 v20, v20, v12
	v_sub_u32_e32 v15, 29, v15
	v_and_b32_e32 v20, 7, v20
	v_cmp_eq_u16_e32 vcc, 0, v14
	v_cndmask_b32_e32 v11, v11, v20, vcc
	v_cndmask_b32_e32 v14, v14, v15, vcc
	v_lshlrev_b32_e32 v15, 24, v12
	v_mov_b32_e32 v20, 0x3b800000
	v_lshlrev_b32_e32 v11, 20, v11
	v_and_b32_e32 v15, 0x80000000, v15
	v_lshl_add_u32 v14, v14, 23, v20
	v_or3_b32 v11, v15, v14, v11
.LBB18_72:
	s_or_b64 exec, exec, s[6:7]
	s_nop 0
	v_mfma_f32_16x16x4f32 a[0:3], v10, v11, a[0:3]
	v_lshrrev_b32_e32 v11, 8, v16
	s_movk_i32 s4, 0x7f
	v_cmp_gt_i16_sdwa s[6:7], v11, s4 src0_sel:BYTE_0 src1_sel:DWORD
	s_mov_b64 s[4:5], 0
                                        ; implicit-def: $sgpr10
	s_and_saveexec_b64 s[8:9], s[6:7]
	s_xor_b64 s[6:7], exec, s[8:9]
	s_cbranch_execnz .LBB18_2121
; %bb.73:
	s_or_saveexec_b64 s[6:7], s[6:7]
	v_mov_b32_e32 v10, s10
	s_xor_b64 exec, exec, s[6:7]
	s_cbranch_execnz .LBB18_2124
.LBB18_74:
	s_or_b64 exec, exec, s[6:7]
	s_and_saveexec_b64 s[6:7], s[4:5]
	s_cbranch_execz .LBB18_76
.LBB18_75:
	v_bfe_u32 v10, v16, 8, 3
	v_ffbh_u32_e32 v15, v10
	v_min_u32_e32 v15, 32, v15
	v_lshrrev_b16_e32 v14, 3, v11
	v_subrev_u32_e32 v20, 28, v15
	v_and_b32_e32 v14, 15, v14
	v_lshlrev_b32_e32 v11, v20, v11
	v_sub_u32_e32 v15, 29, v15
	v_and_b32_e32 v11, 7, v11
	v_cmp_eq_u16_e32 vcc, 0, v14
	v_cndmask_b32_e32 v10, v10, v11, vcc
	v_cndmask_b32_e32 v11, v14, v15, vcc
	v_lshlrev_b32_e32 v14, 16, v16
	v_mov_b32_e32 v15, 0x3b800000
	v_lshlrev_b32_e32 v10, 20, v10
	v_and_b32_e32 v14, 0x80000000, v14
	v_lshl_add_u32 v11, v11, 23, v15
	v_or3_b32 v10, v14, v11, v10
.LBB18_76:
	s_or_b64 exec, exec, s[6:7]
	v_lshrrev_b32_e32 v11, 8, v12
	s_movk_i32 s4, 0x7f
	v_cmp_gt_i16_sdwa s[6:7], v11, s4 src0_sel:BYTE_0 src1_sel:DWORD
	s_mov_b64 s[4:5], 0
                                        ; implicit-def: $sgpr10
	s_and_saveexec_b64 s[8:9], s[6:7]
	s_xor_b64 s[6:7], exec, s[8:9]
	s_cbranch_execnz .LBB18_2125
; %bb.77:
	s_or_saveexec_b64 s[6:7], s[6:7]
	v_mov_b32_e32 v14, s10
	s_xor_b64 exec, exec, s[6:7]
	s_cbranch_execnz .LBB18_2128
.LBB18_78:
	s_or_b64 exec, exec, s[6:7]
	s_and_saveexec_b64 s[6:7], s[4:5]
	s_cbranch_execz .LBB18_80
.LBB18_79:
	v_bfe_u32 v14, v12, 8, 3
	v_ffbh_u32_e32 v20, v14
	v_min_u32_e32 v20, 32, v20
	v_lshrrev_b16_e32 v15, 3, v11
	v_subrev_u32_e32 v21, 28, v20
	v_and_b32_e32 v15, 15, v15
	v_lshlrev_b32_e32 v11, v21, v11
	v_sub_u32_e32 v20, 29, v20
	v_and_b32_e32 v11, 7, v11
	v_cmp_eq_u16_e32 vcc, 0, v15
	v_cndmask_b32_e32 v11, v14, v11, vcc
	v_cndmask_b32_e32 v14, v15, v20, vcc
	v_lshlrev_b32_e32 v15, 16, v12
	v_mov_b32_e32 v20, 0x3b800000
	v_lshlrev_b32_e32 v11, 20, v11
	v_and_b32_e32 v15, 0x80000000, v15
	v_lshl_add_u32 v14, v14, 23, v20
	v_or3_b32 v14, v15, v14, v11
.LBB18_80:
	s_or_b64 exec, exec, s[6:7]
	s_nop 0
	v_mfma_f32_16x16x4f32 a[0:3], v10, v14, a[0:3]
	s_movk_i32 s4, 0xff
	v_and_b32_sdwa v11, v16, s4 dst_sel:DWORD dst_unused:UNUSED_PAD src0_sel:WORD_1 src1_sel:DWORD
	s_movk_i32 s4, 0x7f
	v_cmp_lt_i16_e32 vcc, s4, v11
	s_mov_b64 s[4:5], 0
                                        ; implicit-def: $sgpr10
	s_and_saveexec_b64 s[6:7], vcc
	s_xor_b64 s[6:7], exec, s[6:7]
	s_cbranch_execnz .LBB18_2129
; %bb.81:
	s_or_saveexec_b64 s[6:7], s[6:7]
	v_mov_b32_e32 v10, s10
	s_xor_b64 exec, exec, s[6:7]
	s_cbranch_execnz .LBB18_2132
.LBB18_82:
	s_or_b64 exec, exec, s[6:7]
	s_and_saveexec_b64 s[6:7], s[4:5]
	s_cbranch_execz .LBB18_84
.LBB18_83:
	v_bfe_u32 v10, v16, 16, 3
	v_ffbh_u32_e32 v15, v10
	v_min_u32_e32 v15, 32, v15
	v_lshrrev_b32_e32 v11, 19, v16
	v_subrev_u32_e32 v20, 28, v15
	v_and_b32_e32 v11, 15, v11
	v_lshlrev_b32_sdwa v20, v20, v16 dst_sel:DWORD dst_unused:UNUSED_PAD src0_sel:DWORD src1_sel:WORD_1
	v_bfe_u32 v14, v16, 19, 4
	v_sub_u32_e32 v15, 29, v15
	v_and_b32_e32 v20, 7, v20
	v_cmp_eq_u16_e32 vcc, 0, v11
	v_cndmask_b32_e32 v10, v10, v20, vcc
	v_cndmask_b32_e32 v11, v14, v15, vcc
	v_lshlrev_b32_e32 v14, 8, v16
	v_mov_b32_e32 v15, 0x3b800000
	v_lshlrev_b32_e32 v10, 20, v10
	v_and_b32_e32 v14, 0x80000000, v14
	v_lshl_add_u32 v11, v11, 23, v15
	v_or3_b32 v10, v14, v11, v10
.LBB18_84:
	s_or_b64 exec, exec, s[6:7]
	s_movk_i32 s4, 0xff
	v_and_b32_sdwa v11, v12, s4 dst_sel:DWORD dst_unused:UNUSED_PAD src0_sel:WORD_1 src1_sel:DWORD
	s_movk_i32 s4, 0x7f
	v_cmp_lt_i16_e32 vcc, s4, v11
	s_mov_b64 s[4:5], 0
                                        ; implicit-def: $sgpr10
	s_and_saveexec_b64 s[6:7], vcc
	s_xor_b64 s[6:7], exec, s[6:7]
	s_cbranch_execnz .LBB18_2133
; %bb.85:
	s_or_saveexec_b64 s[6:7], s[6:7]
	v_mov_b32_e32 v14, s10
	s_xor_b64 exec, exec, s[6:7]
	s_cbranch_execnz .LBB18_2136
.LBB18_86:
	s_or_b64 exec, exec, s[6:7]
	s_and_saveexec_b64 s[6:7], s[4:5]
	s_cbranch_execz .LBB18_88
.LBB18_87:
	v_bfe_u32 v11, v12, 16, 3
	v_ffbh_u32_e32 v20, v11
	v_min_u32_e32 v20, 32, v20
	v_lshrrev_b32_e32 v14, 19, v12
	v_subrev_u32_e32 v21, 28, v20
	v_and_b32_e32 v14, 15, v14
	v_lshlrev_b32_sdwa v21, v21, v12 dst_sel:DWORD dst_unused:UNUSED_PAD src0_sel:DWORD src1_sel:WORD_1
	v_bfe_u32 v15, v12, 19, 4
	v_sub_u32_e32 v20, 29, v20
	v_and_b32_e32 v21, 7, v21
	v_cmp_eq_u16_e32 vcc, 0, v14
	v_cndmask_b32_e32 v11, v11, v21, vcc
	v_cndmask_b32_e32 v14, v15, v20, vcc
	v_lshlrev_b32_e32 v15, 8, v12
	v_mov_b32_e32 v20, 0x3b800000
	v_lshlrev_b32_e32 v11, 20, v11
	v_and_b32_e32 v15, 0x80000000, v15
	v_lshl_add_u32 v14, v14, 23, v20
	v_or3_b32 v14, v15, v14, v11
.LBB18_88:
	s_or_b64 exec, exec, s[6:7]
	s_nop 0
	v_mfma_f32_16x16x4f32 a[0:3], v10, v14, a[0:3]
	s_movk_i32 s4, 0x7f
	v_cmp_gt_i16_sdwa s[6:7], v16, s4 src0_sel:BYTE_3 src1_sel:DWORD
	s_mov_b64 s[4:5], 0
                                        ; implicit-def: $sgpr10
	s_and_saveexec_b64 s[8:9], s[6:7]
	s_xor_b64 s[6:7], exec, s[8:9]
	s_cbranch_execnz .LBB18_2137
; %bb.89:
	s_or_saveexec_b64 s[6:7], s[6:7]
	v_mov_b32_e32 v10, s10
	s_xor_b64 exec, exec, s[6:7]
	s_cbranch_execnz .LBB18_2140
.LBB18_90:
	s_or_b64 exec, exec, s[6:7]
	s_and_saveexec_b64 s[6:7], s[4:5]
	s_cbranch_execz .LBB18_92
.LBB18_91:
	v_bfe_u32 v10, v16, 24, 3
	v_ffbh_u32_e32 v20, v10
	v_min_u32_e32 v20, 32, v20
	v_lshrrev_b32_e32 v14, 27, v16
	v_subrev_u32_e32 v21, 28, v20
	v_and_b32_e32 v11, 0x80000000, v16
	v_and_b32_e32 v14, 15, v14
	v_bfe_u32 v15, v16, 27, 4
	v_lshlrev_b32_sdwa v16, v21, v16 dst_sel:DWORD dst_unused:UNUSED_PAD src0_sel:DWORD src1_sel:BYTE_3
	v_sub_u32_e32 v20, 29, v20
	v_and_b32_e32 v16, 7, v16
	v_cmp_eq_u16_e32 vcc, 0, v14
	v_cndmask_b32_e32 v10, v10, v16, vcc
	v_cndmask_b32_e32 v14, v15, v20, vcc
	v_mov_b32_e32 v15, 0x3b800000
	v_lshlrev_b32_e32 v10, 20, v10
	v_lshl_add_u32 v14, v14, 23, v15
	v_or3_b32 v10, v11, v14, v10
.LBB18_92:
	s_or_b64 exec, exec, s[6:7]
	s_movk_i32 s4, 0x7f
	v_cmp_gt_i16_sdwa s[6:7], v12, s4 src0_sel:BYTE_3 src1_sel:DWORD
	s_mov_b64 s[4:5], 0
                                        ; implicit-def: $sgpr10
	s_and_saveexec_b64 s[8:9], s[6:7]
	s_xor_b64 s[6:7], exec, s[8:9]
	s_cbranch_execnz .LBB18_2141
; %bb.93:
	s_or_saveexec_b64 s[6:7], s[6:7]
	v_mov_b32_e32 v11, s10
	s_xor_b64 exec, exec, s[6:7]
	s_cbranch_execnz .LBB18_2144
.LBB18_94:
	s_or_b64 exec, exec, s[6:7]
	s_and_saveexec_b64 s[6:7], s[4:5]
	s_cbranch_execz .LBB18_96
.LBB18_95:
	v_bfe_u32 v11, v12, 24, 3
	v_ffbh_u32_e32 v20, v11
	v_min_u32_e32 v20, 32, v20
	v_lshrrev_b32_e32 v15, 27, v12
	v_subrev_u32_e32 v21, 28, v20
	v_and_b32_e32 v14, 0x80000000, v12
	v_and_b32_e32 v15, 15, v15
	v_bfe_u32 v16, v12, 27, 4
	v_lshlrev_b32_sdwa v12, v21, v12 dst_sel:DWORD dst_unused:UNUSED_PAD src0_sel:DWORD src1_sel:BYTE_3
	v_sub_u32_e32 v20, 29, v20
	v_and_b32_e32 v12, 7, v12
	v_cmp_eq_u16_e32 vcc, 0, v15
	v_cndmask_b32_e32 v11, v11, v12, vcc
	v_cndmask_b32_e32 v12, v16, v20, vcc
	v_mov_b32_e32 v15, 0x3b800000
	v_lshlrev_b32_e32 v11, 20, v11
	v_lshl_add_u32 v12, v12, 23, v15
	v_or3_b32 v11, v14, v12, v11
.LBB18_96:
	s_or_b64 exec, exec, s[6:7]
	s_nop 0
	v_mfma_f32_16x16x4f32 a[0:3], v10, v11, a[0:3]
	s_movk_i32 s4, 0x7f
	v_cmp_gt_i16_sdwa s[6:7], v17, s4 src0_sel:BYTE_0 src1_sel:DWORD
	s_mov_b64 s[4:5], 0
                                        ; implicit-def: $sgpr10
	s_and_saveexec_b64 s[8:9], s[6:7]
	s_xor_b64 s[6:7], exec, s[8:9]
	s_cbranch_execnz .LBB18_2145
; %bb.97:
	s_or_saveexec_b64 s[6:7], s[6:7]
	v_mov_b32_e32 v10, s10
	s_xor_b64 exec, exec, s[6:7]
	s_cbranch_execnz .LBB18_2148
.LBB18_98:
	s_or_b64 exec, exec, s[6:7]
	s_and_saveexec_b64 s[6:7], s[4:5]
	s_cbranch_execz .LBB18_100
.LBB18_99:
	v_and_b32_e32 v10, 7, v17
	v_ffbh_u32_e32 v12, v10
	v_min_u32_e32 v12, 32, v12
	v_lshrrev_b16_e32 v11, 3, v17
	v_subrev_u32_e32 v14, 28, v12
	v_and_b32_e32 v11, 15, v11
	v_lshlrev_b32_e32 v14, v14, v17
	v_sub_u32_e32 v12, 29, v12
	v_and_b32_e32 v14, 7, v14
	v_cmp_eq_u16_e32 vcc, 0, v11
	v_cndmask_b32_e32 v10, v10, v14, vcc
	v_cndmask_b32_e32 v11, v11, v12, vcc
	v_lshlrev_b32_e32 v12, 24, v17
	v_mov_b32_e32 v14, 0x3b800000
	v_lshlrev_b32_e32 v10, 20, v10
	v_and_b32_e32 v12, 0x80000000, v12
	v_lshl_add_u32 v11, v11, 23, v14
	v_or3_b32 v10, v12, v11, v10
.LBB18_100:
	s_or_b64 exec, exec, s[6:7]
	s_movk_i32 s4, 0x7f
	v_cmp_gt_i16_sdwa s[6:7], v13, s4 src0_sel:BYTE_0 src1_sel:DWORD
	s_mov_b64 s[4:5], 0
                                        ; implicit-def: $sgpr10
	s_and_saveexec_b64 s[8:9], s[6:7]
	s_xor_b64 s[6:7], exec, s[8:9]
	s_cbranch_execnz .LBB18_2149
; %bb.101:
	s_or_saveexec_b64 s[6:7], s[6:7]
	v_mov_b32_e32 v11, s10
	s_xor_b64 exec, exec, s[6:7]
	s_cbranch_execnz .LBB18_2152
.LBB18_102:
	s_or_b64 exec, exec, s[6:7]
	s_and_saveexec_b64 s[6:7], s[4:5]
	s_cbranch_execz .LBB18_104
.LBB18_103:
	v_and_b32_e32 v11, 7, v13
	v_ffbh_u32_e32 v14, v11
	v_min_u32_e32 v14, 32, v14
	v_lshrrev_b16_e32 v12, 3, v13
	v_subrev_u32_e32 v15, 28, v14
	v_and_b32_e32 v12, 15, v12
	v_lshlrev_b32_e32 v15, v15, v13
	v_sub_u32_e32 v14, 29, v14
	v_and_b32_e32 v15, 7, v15
	v_cmp_eq_u16_e32 vcc, 0, v12
	v_cndmask_b32_e32 v11, v11, v15, vcc
	v_cndmask_b32_e32 v12, v12, v14, vcc
	v_lshlrev_b32_e32 v14, 24, v13
	v_mov_b32_e32 v15, 0x3b800000
	v_lshlrev_b32_e32 v11, 20, v11
	v_and_b32_e32 v14, 0x80000000, v14
	v_lshl_add_u32 v12, v12, 23, v15
	v_or3_b32 v11, v14, v12, v11
.LBB18_104:
	s_or_b64 exec, exec, s[6:7]
	s_nop 0
	v_mfma_f32_16x16x4f32 a[0:3], v10, v11, a[0:3]
	v_lshrrev_b32_e32 v11, 8, v17
	s_movk_i32 s4, 0x7f
	v_cmp_gt_i16_sdwa s[6:7], v11, s4 src0_sel:BYTE_0 src1_sel:DWORD
	s_mov_b64 s[4:5], 0
                                        ; implicit-def: $sgpr10
	s_and_saveexec_b64 s[8:9], s[6:7]
	s_xor_b64 s[6:7], exec, s[8:9]
	s_cbranch_execnz .LBB18_2153
; %bb.105:
	s_or_saveexec_b64 s[6:7], s[6:7]
	v_mov_b32_e32 v10, s10
	s_xor_b64 exec, exec, s[6:7]
	s_cbranch_execnz .LBB18_2156
.LBB18_106:
	s_or_b64 exec, exec, s[6:7]
	s_and_saveexec_b64 s[6:7], s[4:5]
	s_cbranch_execz .LBB18_108
.LBB18_107:
	v_bfe_u32 v10, v17, 8, 3
	v_ffbh_u32_e32 v14, v10
	v_min_u32_e32 v14, 32, v14
	v_lshrrev_b16_e32 v12, 3, v11
	v_subrev_u32_e32 v15, 28, v14
	v_and_b32_e32 v12, 15, v12
	v_lshlrev_b32_e32 v11, v15, v11
	v_sub_u32_e32 v14, 29, v14
	v_and_b32_e32 v11, 7, v11
	v_cmp_eq_u16_e32 vcc, 0, v12
	v_cndmask_b32_e32 v10, v10, v11, vcc
	v_cndmask_b32_e32 v11, v12, v14, vcc
	v_lshlrev_b32_e32 v12, 16, v17
	v_mov_b32_e32 v14, 0x3b800000
	v_lshlrev_b32_e32 v10, 20, v10
	v_and_b32_e32 v12, 0x80000000, v12
	v_lshl_add_u32 v11, v11, 23, v14
	v_or3_b32 v10, v12, v11, v10
.LBB18_108:
	s_or_b64 exec, exec, s[6:7]
	v_lshrrev_b32_e32 v11, 8, v13
	s_movk_i32 s4, 0x7f
	v_cmp_gt_i16_sdwa s[6:7], v11, s4 src0_sel:BYTE_0 src1_sel:DWORD
	s_mov_b64 s[4:5], 0
                                        ; implicit-def: $sgpr10
	s_and_saveexec_b64 s[8:9], s[6:7]
	s_xor_b64 s[6:7], exec, s[8:9]
	s_cbranch_execnz .LBB18_2157
; %bb.109:
	s_or_saveexec_b64 s[6:7], s[6:7]
	v_mov_b32_e32 v12, s10
	s_xor_b64 exec, exec, s[6:7]
	s_cbranch_execnz .LBB18_2160
.LBB18_110:
	s_or_b64 exec, exec, s[6:7]
	s_and_saveexec_b64 s[6:7], s[4:5]
	s_cbranch_execz .LBB18_112
.LBB18_111:
	v_bfe_u32 v12, v13, 8, 3
	v_ffbh_u32_e32 v15, v12
	v_min_u32_e32 v15, 32, v15
	v_lshrrev_b16_e32 v14, 3, v11
	v_subrev_u32_e32 v16, 28, v15
	v_and_b32_e32 v14, 15, v14
	v_lshlrev_b32_e32 v11, v16, v11
	v_sub_u32_e32 v15, 29, v15
	v_and_b32_e32 v11, 7, v11
	v_cmp_eq_u16_e32 vcc, 0, v14
	v_cndmask_b32_e32 v11, v12, v11, vcc
	v_cndmask_b32_e32 v12, v14, v15, vcc
	v_lshlrev_b32_e32 v14, 16, v13
	v_mov_b32_e32 v15, 0x3b800000
	v_lshlrev_b32_e32 v11, 20, v11
	v_and_b32_e32 v14, 0x80000000, v14
	v_lshl_add_u32 v12, v12, 23, v15
	v_or3_b32 v12, v14, v12, v11
.LBB18_112:
	s_or_b64 exec, exec, s[6:7]
	s_nop 0
	v_mfma_f32_16x16x4f32 a[0:3], v10, v12, a[0:3]
	s_movk_i32 s4, 0xff
	v_and_b32_sdwa v11, v17, s4 dst_sel:DWORD dst_unused:UNUSED_PAD src0_sel:WORD_1 src1_sel:DWORD
	s_movk_i32 s4, 0x7f
	v_cmp_lt_i16_e32 vcc, s4, v11
	s_mov_b64 s[4:5], 0
                                        ; implicit-def: $sgpr10
	s_and_saveexec_b64 s[6:7], vcc
	s_xor_b64 s[6:7], exec, s[6:7]
	s_cbranch_execnz .LBB18_2161
; %bb.113:
	s_or_saveexec_b64 s[6:7], s[6:7]
	v_mov_b32_e32 v10, s10
	s_xor_b64 exec, exec, s[6:7]
	s_cbranch_execnz .LBB18_2164
.LBB18_114:
	s_or_b64 exec, exec, s[6:7]
	s_and_saveexec_b64 s[6:7], s[4:5]
	s_cbranch_execz .LBB18_116
.LBB18_115:
	v_bfe_u32 v10, v17, 16, 3
	v_ffbh_u32_e32 v14, v10
	v_min_u32_e32 v14, 32, v14
	v_lshrrev_b32_e32 v11, 19, v17
	v_subrev_u32_e32 v15, 28, v14
	v_and_b32_e32 v11, 15, v11
	v_lshlrev_b32_sdwa v15, v15, v17 dst_sel:DWORD dst_unused:UNUSED_PAD src0_sel:DWORD src1_sel:WORD_1
	v_bfe_u32 v12, v17, 19, 4
	v_sub_u32_e32 v14, 29, v14
	v_and_b32_e32 v15, 7, v15
	v_cmp_eq_u16_e32 vcc, 0, v11
	v_cndmask_b32_e32 v10, v10, v15, vcc
	v_cndmask_b32_e32 v11, v12, v14, vcc
	v_lshlrev_b32_e32 v12, 8, v17
	v_mov_b32_e32 v14, 0x3b800000
	v_lshlrev_b32_e32 v10, 20, v10
	v_and_b32_e32 v12, 0x80000000, v12
	v_lshl_add_u32 v11, v11, 23, v14
	v_or3_b32 v10, v12, v11, v10
.LBB18_116:
	s_or_b64 exec, exec, s[6:7]
	s_movk_i32 s4, 0xff
	v_and_b32_sdwa v11, v13, s4 dst_sel:DWORD dst_unused:UNUSED_PAD src0_sel:WORD_1 src1_sel:DWORD
	s_movk_i32 s4, 0x7f
	v_cmp_lt_i16_e32 vcc, s4, v11
	s_mov_b64 s[4:5], 0
                                        ; implicit-def: $sgpr10
	s_and_saveexec_b64 s[6:7], vcc
	s_xor_b64 s[6:7], exec, s[6:7]
	s_cbranch_execnz .LBB18_2165
; %bb.117:
	s_or_saveexec_b64 s[6:7], s[6:7]
	v_mov_b32_e32 v12, s10
	s_xor_b64 exec, exec, s[6:7]
	s_cbranch_execnz .LBB18_2168
.LBB18_118:
	s_or_b64 exec, exec, s[6:7]
	s_and_saveexec_b64 s[6:7], s[4:5]
	s_cbranch_execz .LBB18_120
.LBB18_119:
	v_bfe_u32 v11, v13, 16, 3
	v_ffbh_u32_e32 v15, v11
	v_min_u32_e32 v15, 32, v15
	v_lshrrev_b32_e32 v12, 19, v13
	v_subrev_u32_e32 v16, 28, v15
	v_and_b32_e32 v12, 15, v12
	v_lshlrev_b32_sdwa v16, v16, v13 dst_sel:DWORD dst_unused:UNUSED_PAD src0_sel:DWORD src1_sel:WORD_1
	v_bfe_u32 v14, v13, 19, 4
	v_sub_u32_e32 v15, 29, v15
	v_and_b32_e32 v16, 7, v16
	v_cmp_eq_u16_e32 vcc, 0, v12
	v_cndmask_b32_e32 v11, v11, v16, vcc
	v_cndmask_b32_e32 v12, v14, v15, vcc
	v_lshlrev_b32_e32 v14, 8, v13
	v_mov_b32_e32 v15, 0x3b800000
	v_lshlrev_b32_e32 v11, 20, v11
	v_and_b32_e32 v14, 0x80000000, v14
	v_lshl_add_u32 v12, v12, 23, v15
	v_or3_b32 v12, v14, v12, v11
.LBB18_120:
	s_or_b64 exec, exec, s[6:7]
	s_nop 0
	v_mfma_f32_16x16x4f32 a[0:3], v10, v12, a[0:3]
	s_movk_i32 s4, 0x7f
	v_cmp_gt_i16_sdwa s[6:7], v17, s4 src0_sel:BYTE_3 src1_sel:DWORD
	s_mov_b64 s[4:5], 0
                                        ; implicit-def: $sgpr10
	s_and_saveexec_b64 s[8:9], s[6:7]
	s_xor_b64 s[6:7], exec, s[8:9]
	s_cbranch_execnz .LBB18_2169
; %bb.121:
	s_or_saveexec_b64 s[6:7], s[6:7]
	v_mov_b32_e32 v10, s10
	s_xor_b64 exec, exec, s[6:7]
	s_cbranch_execnz .LBB18_2172
.LBB18_122:
	s_or_b64 exec, exec, s[6:7]
	s_and_saveexec_b64 s[6:7], s[4:5]
	s_cbranch_execz .LBB18_124
.LBB18_123:
	v_bfe_u32 v10, v17, 24, 3
	v_ffbh_u32_e32 v15, v10
	v_min_u32_e32 v15, 32, v15
	v_lshrrev_b32_e32 v12, 27, v17
	v_subrev_u32_e32 v16, 28, v15
	v_and_b32_e32 v12, 15, v12
	v_lshlrev_b32_sdwa v16, v16, v17 dst_sel:DWORD dst_unused:UNUSED_PAD src0_sel:DWORD src1_sel:BYTE_3
	v_bfe_u32 v14, v17, 27, 4
	v_sub_u32_e32 v15, 29, v15
	v_and_b32_e32 v16, 7, v16
	v_cmp_eq_u16_e32 vcc, 0, v12
	v_cndmask_b32_e32 v10, v10, v16, vcc
	v_cndmask_b32_e32 v12, v14, v15, vcc
	v_mov_b32_e32 v14, 0x3b800000
	v_and_b32_e32 v11, 0x80000000, v17
	v_lshlrev_b32_e32 v10, 20, v10
	v_lshl_add_u32 v12, v12, 23, v14
	v_or3_b32 v10, v11, v12, v10
.LBB18_124:
	s_or_b64 exec, exec, s[6:7]
	s_movk_i32 s4, 0x7f
	v_cmp_gt_i16_sdwa s[6:7], v13, s4 src0_sel:BYTE_3 src1_sel:DWORD
	s_mov_b64 s[4:5], 0
                                        ; implicit-def: $sgpr10
	s_and_saveexec_b64 s[8:9], s[6:7]
	s_xor_b64 s[6:7], exec, s[8:9]
	s_cbranch_execnz .LBB18_2173
; %bb.125:
	s_or_saveexec_b64 s[6:7], s[6:7]
	v_mov_b32_e32 v11, s10
	s_xor_b64 exec, exec, s[6:7]
	s_cbranch_execnz .LBB18_2176
.LBB18_126:
	s_or_b64 exec, exec, s[6:7]
	s_and_saveexec_b64 s[6:7], s[4:5]
	s_cbranch_execz .LBB18_128
.LBB18_127:
	v_bfe_u32 v11, v13, 24, 3
	v_ffbh_u32_e32 v16, v11
	v_min_u32_e32 v16, 32, v16
	v_lshrrev_b32_e32 v14, 27, v13
	v_subrev_u32_e32 v17, 28, v16
	v_and_b32_e32 v12, 0x80000000, v13
	v_and_b32_e32 v14, 15, v14
	v_bfe_u32 v15, v13, 27, 4
	v_lshlrev_b32_sdwa v13, v17, v13 dst_sel:DWORD dst_unused:UNUSED_PAD src0_sel:DWORD src1_sel:BYTE_3
	v_sub_u32_e32 v16, 29, v16
	v_and_b32_e32 v13, 7, v13
	v_cmp_eq_u16_e32 vcc, 0, v14
	v_cndmask_b32_e32 v11, v11, v13, vcc
	v_cndmask_b32_e32 v13, v15, v16, vcc
	v_mov_b32_e32 v14, 0x3b800000
	v_lshlrev_b32_e32 v11, 20, v11
	v_lshl_add_u32 v13, v13, 23, v14
	v_or3_b32 v11, v12, v13, v11
.LBB18_128:
	s_or_b64 exec, exec, s[6:7]
	s_nop 0
	v_mfma_f32_16x16x4f32 a[0:3], v10, v11, a[0:3]
	s_movk_i32 s4, 0x7f
	v_cmp_gt_i16_sdwa s[6:7], v6, s4 src0_sel:BYTE_0 src1_sel:DWORD
	s_mov_b64 s[4:5], 0
                                        ; implicit-def: $sgpr10
	s_and_saveexec_b64 s[8:9], s[6:7]
	s_xor_b64 s[6:7], exec, s[8:9]
	s_cbranch_execnz .LBB18_2177
; %bb.129:
	s_or_saveexec_b64 s[6:7], s[6:7]
	v_mov_b32_e32 v10, s10
	s_xor_b64 exec, exec, s[6:7]
	s_cbranch_execnz .LBB18_2180
.LBB18_130:
	s_or_b64 exec, exec, s[6:7]
	s_and_saveexec_b64 s[6:7], s[4:5]
	s_cbranch_execz .LBB18_132
.LBB18_131:
	v_and_b32_e32 v10, 7, v6
	v_ffbh_u32_e32 v12, v10
	v_min_u32_e32 v12, 32, v12
	v_lshrrev_b16_e32 v11, 3, v6
	v_subrev_u32_e32 v13, 28, v12
	v_and_b32_e32 v11, 15, v11
	v_lshlrev_b32_e32 v13, v13, v6
	v_sub_u32_e32 v12, 29, v12
	v_and_b32_e32 v13, 7, v13
	v_cmp_eq_u16_e32 vcc, 0, v11
	v_cndmask_b32_e32 v10, v10, v13, vcc
	v_cndmask_b32_e32 v11, v11, v12, vcc
	v_lshlrev_b32_e32 v12, 24, v6
	v_mov_b32_e32 v13, 0x3b800000
	v_lshlrev_b32_e32 v10, 20, v10
	v_and_b32_e32 v12, 0x80000000, v12
	v_lshl_add_u32 v11, v11, 23, v13
	v_or3_b32 v10, v12, v11, v10
.LBB18_132:
	s_or_b64 exec, exec, s[6:7]
	s_movk_i32 s4, 0x7f
	v_cmp_gt_i16_sdwa s[6:7], v2, s4 src0_sel:BYTE_0 src1_sel:DWORD
	s_mov_b64 s[4:5], 0
                                        ; implicit-def: $sgpr10
	s_and_saveexec_b64 s[8:9], s[6:7]
	s_xor_b64 s[6:7], exec, s[8:9]
	s_cbranch_execnz .LBB18_2181
; %bb.133:
	s_or_saveexec_b64 s[6:7], s[6:7]
	v_mov_b32_e32 v11, s10
	s_xor_b64 exec, exec, s[6:7]
	s_cbranch_execnz .LBB18_2184
.LBB18_134:
	s_or_b64 exec, exec, s[6:7]
	s_and_saveexec_b64 s[6:7], s[4:5]
	s_cbranch_execz .LBB18_136
.LBB18_135:
	v_and_b32_e32 v11, 7, v2
	v_ffbh_u32_e32 v13, v11
	v_min_u32_e32 v13, 32, v13
	v_lshrrev_b16_e32 v12, 3, v2
	v_subrev_u32_e32 v14, 28, v13
	v_and_b32_e32 v12, 15, v12
	v_lshlrev_b32_e32 v14, v14, v2
	v_sub_u32_e32 v13, 29, v13
	v_and_b32_e32 v14, 7, v14
	v_cmp_eq_u16_e32 vcc, 0, v12
	v_cndmask_b32_e32 v11, v11, v14, vcc
	v_cndmask_b32_e32 v12, v12, v13, vcc
	v_lshlrev_b32_e32 v13, 24, v2
	v_mov_b32_e32 v14, 0x3b800000
	v_lshlrev_b32_e32 v11, 20, v11
	v_and_b32_e32 v13, 0x80000000, v13
	v_lshl_add_u32 v12, v12, 23, v14
	v_or3_b32 v11, v13, v12, v11
.LBB18_136:
	s_or_b64 exec, exec, s[6:7]
	s_nop 0
	v_mfma_f32_16x16x4f32 a[0:3], v10, v11, a[0:3]
	v_lshrrev_b32_e32 v11, 8, v6
	s_movk_i32 s4, 0x7f
	v_cmp_gt_i16_sdwa s[6:7], v11, s4 src0_sel:BYTE_0 src1_sel:DWORD
	s_mov_b64 s[4:5], 0
                                        ; implicit-def: $sgpr10
	s_and_saveexec_b64 s[8:9], s[6:7]
	s_xor_b64 s[6:7], exec, s[8:9]
	s_cbranch_execnz .LBB18_2185
; %bb.137:
	s_or_saveexec_b64 s[6:7], s[6:7]
	v_mov_b32_e32 v10, s10
	s_xor_b64 exec, exec, s[6:7]
	s_cbranch_execnz .LBB18_2188
.LBB18_138:
	s_or_b64 exec, exec, s[6:7]
	s_and_saveexec_b64 s[6:7], s[4:5]
	s_cbranch_execz .LBB18_140
.LBB18_139:
	v_bfe_u32 v10, v6, 8, 3
	v_ffbh_u32_e32 v13, v10
	v_min_u32_e32 v13, 32, v13
	v_lshrrev_b16_e32 v12, 3, v11
	v_subrev_u32_e32 v14, 28, v13
	v_and_b32_e32 v12, 15, v12
	v_lshlrev_b32_e32 v11, v14, v11
	v_sub_u32_e32 v13, 29, v13
	v_and_b32_e32 v11, 7, v11
	v_cmp_eq_u16_e32 vcc, 0, v12
	v_cndmask_b32_e32 v10, v10, v11, vcc
	v_cndmask_b32_e32 v11, v12, v13, vcc
	v_lshlrev_b32_e32 v12, 16, v6
	v_mov_b32_e32 v13, 0x3b800000
	v_lshlrev_b32_e32 v10, 20, v10
	v_and_b32_e32 v12, 0x80000000, v12
	v_lshl_add_u32 v11, v11, 23, v13
	v_or3_b32 v10, v12, v11, v10
.LBB18_140:
	s_or_b64 exec, exec, s[6:7]
	v_lshrrev_b32_e32 v11, 8, v2
	s_movk_i32 s4, 0x7f
	v_cmp_gt_i16_sdwa s[6:7], v11, s4 src0_sel:BYTE_0 src1_sel:DWORD
	s_mov_b64 s[4:5], 0
                                        ; implicit-def: $sgpr10
	s_and_saveexec_b64 s[8:9], s[6:7]
	s_xor_b64 s[6:7], exec, s[8:9]
	s_cbranch_execnz .LBB18_2189
; %bb.141:
	s_or_saveexec_b64 s[6:7], s[6:7]
	v_mov_b32_e32 v12, s10
	s_xor_b64 exec, exec, s[6:7]
	s_cbranch_execnz .LBB18_2192
.LBB18_142:
	s_or_b64 exec, exec, s[6:7]
	s_and_saveexec_b64 s[6:7], s[4:5]
	s_cbranch_execz .LBB18_144
.LBB18_143:
	v_bfe_u32 v12, v2, 8, 3
	v_ffbh_u32_e32 v14, v12
	v_min_u32_e32 v14, 32, v14
	v_lshrrev_b16_e32 v13, 3, v11
	v_subrev_u32_e32 v15, 28, v14
	v_and_b32_e32 v13, 15, v13
	v_lshlrev_b32_e32 v11, v15, v11
	v_sub_u32_e32 v14, 29, v14
	v_and_b32_e32 v11, 7, v11
	v_cmp_eq_u16_e32 vcc, 0, v13
	v_cndmask_b32_e32 v11, v12, v11, vcc
	v_cndmask_b32_e32 v12, v13, v14, vcc
	v_lshlrev_b32_e32 v13, 16, v2
	v_mov_b32_e32 v14, 0x3b800000
	v_lshlrev_b32_e32 v11, 20, v11
	v_and_b32_e32 v13, 0x80000000, v13
	v_lshl_add_u32 v12, v12, 23, v14
	v_or3_b32 v12, v13, v12, v11
.LBB18_144:
	s_or_b64 exec, exec, s[6:7]
	s_nop 0
	v_mfma_f32_16x16x4f32 a[0:3], v10, v12, a[0:3]
	s_movk_i32 s4, 0xff
	v_and_b32_sdwa v11, v6, s4 dst_sel:DWORD dst_unused:UNUSED_PAD src0_sel:WORD_1 src1_sel:DWORD
	s_movk_i32 s4, 0x7f
	v_cmp_lt_i16_e32 vcc, s4, v11
	s_mov_b64 s[4:5], 0
                                        ; implicit-def: $sgpr10
	s_and_saveexec_b64 s[6:7], vcc
	s_xor_b64 s[6:7], exec, s[6:7]
	s_cbranch_execnz .LBB18_2193
; %bb.145:
	s_or_saveexec_b64 s[6:7], s[6:7]
	v_mov_b32_e32 v10, s10
	s_xor_b64 exec, exec, s[6:7]
	s_cbranch_execnz .LBB18_2196
.LBB18_146:
	s_or_b64 exec, exec, s[6:7]
	s_and_saveexec_b64 s[6:7], s[4:5]
	s_cbranch_execz .LBB18_148
.LBB18_147:
	v_bfe_u32 v10, v6, 16, 3
	v_ffbh_u32_e32 v13, v10
	v_min_u32_e32 v13, 32, v13
	v_lshrrev_b32_e32 v11, 19, v6
	v_subrev_u32_e32 v14, 28, v13
	v_and_b32_e32 v11, 15, v11
	v_lshlrev_b32_sdwa v14, v14, v6 dst_sel:DWORD dst_unused:UNUSED_PAD src0_sel:DWORD src1_sel:WORD_1
	v_bfe_u32 v12, v6, 19, 4
	v_sub_u32_e32 v13, 29, v13
	v_and_b32_e32 v14, 7, v14
	v_cmp_eq_u16_e32 vcc, 0, v11
	v_cndmask_b32_e32 v10, v10, v14, vcc
	v_cndmask_b32_e32 v11, v12, v13, vcc
	v_lshlrev_b32_e32 v12, 8, v6
	v_mov_b32_e32 v13, 0x3b800000
	v_lshlrev_b32_e32 v10, 20, v10
	v_and_b32_e32 v12, 0x80000000, v12
	v_lshl_add_u32 v11, v11, 23, v13
	v_or3_b32 v10, v12, v11, v10
.LBB18_148:
	s_or_b64 exec, exec, s[6:7]
	s_movk_i32 s4, 0xff
	v_and_b32_sdwa v11, v2, s4 dst_sel:DWORD dst_unused:UNUSED_PAD src0_sel:WORD_1 src1_sel:DWORD
	s_movk_i32 s4, 0x7f
	v_cmp_lt_i16_e32 vcc, s4, v11
	s_mov_b64 s[4:5], 0
                                        ; implicit-def: $sgpr10
	s_and_saveexec_b64 s[6:7], vcc
	s_xor_b64 s[6:7], exec, s[6:7]
	s_cbranch_execnz .LBB18_2197
; %bb.149:
	s_or_saveexec_b64 s[6:7], s[6:7]
	v_mov_b32_e32 v12, s10
	s_xor_b64 exec, exec, s[6:7]
	s_cbranch_execnz .LBB18_2200
.LBB18_150:
	s_or_b64 exec, exec, s[6:7]
	s_and_saveexec_b64 s[6:7], s[4:5]
	s_cbranch_execz .LBB18_152
.LBB18_151:
	v_bfe_u32 v11, v2, 16, 3
	v_ffbh_u32_e32 v14, v11
	v_min_u32_e32 v14, 32, v14
	v_lshrrev_b32_e32 v12, 19, v2
	v_subrev_u32_e32 v15, 28, v14
	v_and_b32_e32 v12, 15, v12
	v_lshlrev_b32_sdwa v15, v15, v2 dst_sel:DWORD dst_unused:UNUSED_PAD src0_sel:DWORD src1_sel:WORD_1
	v_bfe_u32 v13, v2, 19, 4
	v_sub_u32_e32 v14, 29, v14
	v_and_b32_e32 v15, 7, v15
	v_cmp_eq_u16_e32 vcc, 0, v12
	v_cndmask_b32_e32 v11, v11, v15, vcc
	v_cndmask_b32_e32 v12, v13, v14, vcc
	v_lshlrev_b32_e32 v13, 8, v2
	v_mov_b32_e32 v14, 0x3b800000
	v_lshlrev_b32_e32 v11, 20, v11
	v_and_b32_e32 v13, 0x80000000, v13
	v_lshl_add_u32 v12, v12, 23, v14
	v_or3_b32 v12, v13, v12, v11
.LBB18_152:
	s_or_b64 exec, exec, s[6:7]
	s_nop 0
	v_mfma_f32_16x16x4f32 a[0:3], v10, v12, a[0:3]
	s_movk_i32 s4, 0x7f
	v_cmp_gt_i16_sdwa s[6:7], v6, s4 src0_sel:BYTE_3 src1_sel:DWORD
	s_mov_b64 s[4:5], 0
                                        ; implicit-def: $sgpr10
	s_and_saveexec_b64 s[8:9], s[6:7]
	s_xor_b64 s[6:7], exec, s[8:9]
	s_cbranch_execnz .LBB18_2201
; %bb.153:
	s_or_saveexec_b64 s[6:7], s[6:7]
	v_mov_b32_e32 v10, s10
	s_xor_b64 exec, exec, s[6:7]
	s_cbranch_execnz .LBB18_2204
.LBB18_154:
	s_or_b64 exec, exec, s[6:7]
	s_and_saveexec_b64 s[6:7], s[4:5]
	s_cbranch_execz .LBB18_156
.LBB18_155:
	v_bfe_u32 v10, v6, 24, 3
	v_ffbh_u32_e32 v14, v10
	v_min_u32_e32 v14, 32, v14
	v_lshrrev_b32_e32 v12, 27, v6
	v_subrev_u32_e32 v15, 28, v14
	v_and_b32_e32 v11, 0x80000000, v6
	v_and_b32_e32 v12, 15, v12
	v_bfe_u32 v13, v6, 27, 4
	v_lshlrev_b32_sdwa v6, v15, v6 dst_sel:DWORD dst_unused:UNUSED_PAD src0_sel:DWORD src1_sel:BYTE_3
	v_sub_u32_e32 v14, 29, v14
	v_and_b32_e32 v6, 7, v6
	v_cmp_eq_u16_e32 vcc, 0, v12
	v_cndmask_b32_e32 v6, v10, v6, vcc
	v_cndmask_b32_e32 v10, v13, v14, vcc
	v_mov_b32_e32 v12, 0x3b800000
	v_lshlrev_b32_e32 v6, 20, v6
	v_lshl_add_u32 v10, v10, 23, v12
	v_or3_b32 v10, v11, v10, v6
.LBB18_156:
	s_or_b64 exec, exec, s[6:7]
	s_movk_i32 s4, 0x7f
	v_cmp_gt_i16_sdwa s[6:7], v2, s4 src0_sel:BYTE_3 src1_sel:DWORD
	s_mov_b64 s[4:5], 0
                                        ; implicit-def: $sgpr10
	s_and_saveexec_b64 s[8:9], s[6:7]
	s_xor_b64 s[6:7], exec, s[8:9]
	s_cbranch_execnz .LBB18_2205
; %bb.157:
	s_or_saveexec_b64 s[6:7], s[6:7]
	v_mov_b32_e32 v6, s10
	s_xor_b64 exec, exec, s[6:7]
	s_cbranch_execnz .LBB18_2208
.LBB18_158:
	s_or_b64 exec, exec, s[6:7]
	s_and_saveexec_b64 s[6:7], s[4:5]
	s_cbranch_execz .LBB18_160
.LBB18_159:
	v_bfe_u32 v6, v2, 24, 3
	v_ffbh_u32_e32 v14, v6
	v_min_u32_e32 v14, 32, v14
	v_lshrrev_b32_e32 v12, 27, v2
	v_subrev_u32_e32 v15, 28, v14
	v_and_b32_e32 v11, 0x80000000, v2
	v_and_b32_e32 v12, 15, v12
	v_bfe_u32 v13, v2, 27, 4
	v_lshlrev_b32_sdwa v2, v15, v2 dst_sel:DWORD dst_unused:UNUSED_PAD src0_sel:DWORD src1_sel:BYTE_3
	v_sub_u32_e32 v14, 29, v14
	v_and_b32_e32 v2, 7, v2
	v_cmp_eq_u16_e32 vcc, 0, v12
	v_cndmask_b32_e32 v2, v6, v2, vcc
	v_cndmask_b32_e32 v6, v13, v14, vcc
	v_mov_b32_e32 v12, 0x3b800000
	v_lshlrev_b32_e32 v2, 20, v2
	v_lshl_add_u32 v6, v6, 23, v12
	v_or3_b32 v6, v11, v6, v2
.LBB18_160:
	s_or_b64 exec, exec, s[6:7]
	s_nop 0
	v_mfma_f32_16x16x4f32 a[0:3], v10, v6, a[0:3]
	s_movk_i32 s4, 0x7f
	v_cmp_gt_i16_sdwa s[6:7], v7, s4 src0_sel:BYTE_0 src1_sel:DWORD
	s_mov_b64 s[4:5], 0
                                        ; implicit-def: $sgpr10
	s_and_saveexec_b64 s[8:9], s[6:7]
	s_xor_b64 s[6:7], exec, s[8:9]
	s_cbranch_execnz .LBB18_2209
; %bb.161:
	s_or_saveexec_b64 s[6:7], s[6:7]
	v_mov_b32_e32 v2, s10
	s_xor_b64 exec, exec, s[6:7]
	s_cbranch_execnz .LBB18_2212
.LBB18_162:
	s_or_b64 exec, exec, s[6:7]
	s_and_saveexec_b64 s[6:7], s[4:5]
	s_cbranch_execz .LBB18_164
.LBB18_163:
	v_and_b32_e32 v2, 7, v7
	v_ffbh_u32_e32 v10, v2
	v_min_u32_e32 v10, 32, v10
	v_lshrrev_b16_e32 v6, 3, v7
	v_subrev_u32_e32 v11, 28, v10
	v_and_b32_e32 v6, 15, v6
	v_lshlrev_b32_e32 v11, v11, v7
	v_sub_u32_e32 v10, 29, v10
	v_and_b32_e32 v11, 7, v11
	v_cmp_eq_u16_e32 vcc, 0, v6
	v_cndmask_b32_e32 v2, v2, v11, vcc
	v_cndmask_b32_e32 v6, v6, v10, vcc
	v_lshlrev_b32_e32 v10, 24, v7
	v_mov_b32_e32 v11, 0x3b800000
	v_lshlrev_b32_e32 v2, 20, v2
	v_and_b32_e32 v10, 0x80000000, v10
	v_lshl_add_u32 v6, v6, 23, v11
	v_or3_b32 v2, v10, v6, v2
.LBB18_164:
	s_or_b64 exec, exec, s[6:7]
	s_movk_i32 s4, 0x7f
	v_cmp_gt_i16_sdwa s[6:7], v3, s4 src0_sel:BYTE_0 src1_sel:DWORD
	s_mov_b64 s[4:5], 0
                                        ; implicit-def: $sgpr10
	s_and_saveexec_b64 s[8:9], s[6:7]
	s_xor_b64 s[6:7], exec, s[8:9]
	s_cbranch_execnz .LBB18_2213
; %bb.165:
	s_or_saveexec_b64 s[6:7], s[6:7]
	v_mov_b32_e32 v6, s10
	s_xor_b64 exec, exec, s[6:7]
	s_cbranch_execnz .LBB18_2216
.LBB18_166:
	s_or_b64 exec, exec, s[6:7]
	s_and_saveexec_b64 s[6:7], s[4:5]
	s_cbranch_execz .LBB18_168
.LBB18_167:
	v_and_b32_e32 v6, 7, v3
	v_ffbh_u32_e32 v11, v6
	v_min_u32_e32 v11, 32, v11
	v_lshrrev_b16_e32 v10, 3, v3
	v_subrev_u32_e32 v12, 28, v11
	v_and_b32_e32 v10, 15, v10
	v_lshlrev_b32_e32 v12, v12, v3
	v_sub_u32_e32 v11, 29, v11
	v_and_b32_e32 v12, 7, v12
	v_cmp_eq_u16_e32 vcc, 0, v10
	v_cndmask_b32_e32 v6, v6, v12, vcc
	v_cndmask_b32_e32 v10, v10, v11, vcc
	v_lshlrev_b32_e32 v11, 24, v3
	v_mov_b32_e32 v12, 0x3b800000
	v_lshlrev_b32_e32 v6, 20, v6
	v_and_b32_e32 v11, 0x80000000, v11
	v_lshl_add_u32 v10, v10, 23, v12
	v_or3_b32 v6, v11, v10, v6
.LBB18_168:
	s_or_b64 exec, exec, s[6:7]
	s_nop 0
	v_mfma_f32_16x16x4f32 a[0:3], v2, v6, a[0:3]
	v_lshrrev_b32_e32 v6, 8, v7
	s_movk_i32 s4, 0x7f
	v_cmp_gt_i16_sdwa s[6:7], v6, s4 src0_sel:BYTE_0 src1_sel:DWORD
	s_mov_b64 s[4:5], 0
                                        ; implicit-def: $sgpr10
	s_and_saveexec_b64 s[8:9], s[6:7]
	s_xor_b64 s[6:7], exec, s[8:9]
	s_cbranch_execnz .LBB18_2217
; %bb.169:
	s_or_saveexec_b64 s[6:7], s[6:7]
	v_mov_b32_e32 v2, s10
	s_xor_b64 exec, exec, s[6:7]
	s_cbranch_execnz .LBB18_2220
.LBB18_170:
	s_or_b64 exec, exec, s[6:7]
	s_and_saveexec_b64 s[6:7], s[4:5]
	s_cbranch_execz .LBB18_172
.LBB18_171:
	v_bfe_u32 v2, v7, 8, 3
	v_ffbh_u32_e32 v11, v2
	v_min_u32_e32 v11, 32, v11
	v_lshrrev_b16_e32 v10, 3, v6
	v_subrev_u32_e32 v12, 28, v11
	v_and_b32_e32 v10, 15, v10
	v_lshlrev_b32_e32 v6, v12, v6
	v_sub_u32_e32 v11, 29, v11
	v_and_b32_e32 v6, 7, v6
	v_cmp_eq_u16_e32 vcc, 0, v10
	v_cndmask_b32_e32 v2, v2, v6, vcc
	v_cndmask_b32_e32 v6, v10, v11, vcc
	v_lshlrev_b32_e32 v10, 16, v7
	v_mov_b32_e32 v11, 0x3b800000
	v_lshlrev_b32_e32 v2, 20, v2
	v_and_b32_e32 v10, 0x80000000, v10
	v_lshl_add_u32 v6, v6, 23, v11
	v_or3_b32 v2, v10, v6, v2
.LBB18_172:
	s_or_b64 exec, exec, s[6:7]
	v_lshrrev_b32_e32 v6, 8, v3
	s_movk_i32 s4, 0x7f
	v_cmp_gt_i16_sdwa s[6:7], v6, s4 src0_sel:BYTE_0 src1_sel:DWORD
	s_mov_b64 s[4:5], 0
                                        ; implicit-def: $sgpr10
	s_and_saveexec_b64 s[8:9], s[6:7]
	s_xor_b64 s[6:7], exec, s[8:9]
	s_cbranch_execnz .LBB18_2221
; %bb.173:
	s_or_saveexec_b64 s[6:7], s[6:7]
	v_mov_b32_e32 v10, s10
	s_xor_b64 exec, exec, s[6:7]
	s_cbranch_execnz .LBB18_2224
.LBB18_174:
	s_or_b64 exec, exec, s[6:7]
	s_and_saveexec_b64 s[6:7], s[4:5]
	s_cbranch_execz .LBB18_176
.LBB18_175:
	v_bfe_u32 v10, v3, 8, 3
	v_ffbh_u32_e32 v12, v10
	v_min_u32_e32 v12, 32, v12
	v_lshrrev_b16_e32 v11, 3, v6
	v_subrev_u32_e32 v13, 28, v12
	v_and_b32_e32 v11, 15, v11
	v_lshlrev_b32_e32 v6, v13, v6
	v_sub_u32_e32 v12, 29, v12
	v_and_b32_e32 v6, 7, v6
	v_cmp_eq_u16_e32 vcc, 0, v11
	v_cndmask_b32_e32 v6, v10, v6, vcc
	v_cndmask_b32_e32 v10, v11, v12, vcc
	v_lshlrev_b32_e32 v11, 16, v3
	v_mov_b32_e32 v12, 0x3b800000
	v_lshlrev_b32_e32 v6, 20, v6
	v_and_b32_e32 v11, 0x80000000, v11
	v_lshl_add_u32 v10, v10, 23, v12
	v_or3_b32 v10, v11, v10, v6
.LBB18_176:
	s_or_b64 exec, exec, s[6:7]
	s_nop 0
	v_mfma_f32_16x16x4f32 a[0:3], v2, v10, a[0:3]
	s_movk_i32 s4, 0xff
	v_and_b32_sdwa v6, v7, s4 dst_sel:DWORD dst_unused:UNUSED_PAD src0_sel:WORD_1 src1_sel:DWORD
	s_movk_i32 s4, 0x7f
	v_cmp_lt_i16_e32 vcc, s4, v6
	s_mov_b64 s[4:5], 0
                                        ; implicit-def: $sgpr10
	s_and_saveexec_b64 s[6:7], vcc
	s_xor_b64 s[6:7], exec, s[6:7]
	s_cbranch_execnz .LBB18_2225
; %bb.177:
	s_or_saveexec_b64 s[6:7], s[6:7]
	v_mov_b32_e32 v2, s10
	s_xor_b64 exec, exec, s[6:7]
	s_cbranch_execnz .LBB18_2228
.LBB18_178:
	s_or_b64 exec, exec, s[6:7]
	s_and_saveexec_b64 s[6:7], s[4:5]
	s_cbranch_execz .LBB18_180
.LBB18_179:
	v_bfe_u32 v2, v7, 16, 3
	v_ffbh_u32_e32 v11, v2
	v_min_u32_e32 v11, 32, v11
	v_lshrrev_b32_e32 v6, 19, v7
	v_subrev_u32_e32 v12, 28, v11
	v_and_b32_e32 v6, 15, v6
	v_lshlrev_b32_sdwa v12, v12, v7 dst_sel:DWORD dst_unused:UNUSED_PAD src0_sel:DWORD src1_sel:WORD_1
	v_bfe_u32 v10, v7, 19, 4
	v_sub_u32_e32 v11, 29, v11
	v_and_b32_e32 v12, 7, v12
	v_cmp_eq_u16_e32 vcc, 0, v6
	v_cndmask_b32_e32 v2, v2, v12, vcc
	v_cndmask_b32_e32 v6, v10, v11, vcc
	v_lshlrev_b32_e32 v10, 8, v7
	v_mov_b32_e32 v11, 0x3b800000
	v_lshlrev_b32_e32 v2, 20, v2
	v_and_b32_e32 v10, 0x80000000, v10
	v_lshl_add_u32 v6, v6, 23, v11
	v_or3_b32 v2, v10, v6, v2
.LBB18_180:
	s_or_b64 exec, exec, s[6:7]
	s_movk_i32 s4, 0xff
	v_and_b32_sdwa v6, v3, s4 dst_sel:DWORD dst_unused:UNUSED_PAD src0_sel:WORD_1 src1_sel:DWORD
	s_movk_i32 s4, 0x7f
	v_cmp_lt_i16_e32 vcc, s4, v6
	s_mov_b64 s[4:5], 0
                                        ; implicit-def: $sgpr10
	s_and_saveexec_b64 s[6:7], vcc
	s_xor_b64 s[6:7], exec, s[6:7]
	s_cbranch_execnz .LBB18_2229
; %bb.181:
	s_or_saveexec_b64 s[6:7], s[6:7]
	v_mov_b32_e32 v10, s10
	s_xor_b64 exec, exec, s[6:7]
	s_cbranch_execnz .LBB18_2232
.LBB18_182:
	s_or_b64 exec, exec, s[6:7]
	s_and_saveexec_b64 s[6:7], s[4:5]
	s_cbranch_execz .LBB18_184
.LBB18_183:
	v_bfe_u32 v6, v3, 16, 3
	v_ffbh_u32_e32 v12, v6
	v_min_u32_e32 v12, 32, v12
	v_lshrrev_b32_e32 v10, 19, v3
	v_subrev_u32_e32 v13, 28, v12
	v_and_b32_e32 v10, 15, v10
	v_lshlrev_b32_sdwa v13, v13, v3 dst_sel:DWORD dst_unused:UNUSED_PAD src0_sel:DWORD src1_sel:WORD_1
	v_bfe_u32 v11, v3, 19, 4
	v_sub_u32_e32 v12, 29, v12
	v_and_b32_e32 v13, 7, v13
	v_cmp_eq_u16_e32 vcc, 0, v10
	v_cndmask_b32_e32 v6, v6, v13, vcc
	v_cndmask_b32_e32 v10, v11, v12, vcc
	v_lshlrev_b32_e32 v11, 8, v3
	v_mov_b32_e32 v12, 0x3b800000
	v_lshlrev_b32_e32 v6, 20, v6
	v_and_b32_e32 v11, 0x80000000, v11
	v_lshl_add_u32 v10, v10, 23, v12
	v_or3_b32 v10, v11, v10, v6
.LBB18_184:
	s_or_b64 exec, exec, s[6:7]
	s_nop 0
	v_mfma_f32_16x16x4f32 a[0:3], v2, v10, a[0:3]
	s_movk_i32 s4, 0x7f
	v_cmp_gt_i16_sdwa s[6:7], v7, s4 src0_sel:BYTE_3 src1_sel:DWORD
	s_mov_b64 s[4:5], 0
                                        ; implicit-def: $sgpr10
	s_and_saveexec_b64 s[8:9], s[6:7]
	s_xor_b64 s[6:7], exec, s[8:9]
	s_cbranch_execnz .LBB18_2233
; %bb.185:
	s_or_saveexec_b64 s[6:7], s[6:7]
	v_mov_b32_e32 v2, s10
	s_xor_b64 exec, exec, s[6:7]
	s_cbranch_execnz .LBB18_2236
.LBB18_186:
	s_or_b64 exec, exec, s[6:7]
	s_and_saveexec_b64 s[6:7], s[4:5]
	s_cbranch_execz .LBB18_188
.LBB18_187:
	v_bfe_u32 v2, v7, 24, 3
	v_ffbh_u32_e32 v12, v2
	v_min_u32_e32 v12, 32, v12
	v_lshrrev_b32_e32 v10, 27, v7
	v_subrev_u32_e32 v13, 28, v12
	v_and_b32_e32 v6, 0x80000000, v7
	v_and_b32_e32 v10, 15, v10
	v_bfe_u32 v11, v7, 27, 4
	v_lshlrev_b32_sdwa v7, v13, v7 dst_sel:DWORD dst_unused:UNUSED_PAD src0_sel:DWORD src1_sel:BYTE_3
	v_sub_u32_e32 v12, 29, v12
	v_and_b32_e32 v7, 7, v7
	v_cmp_eq_u16_e32 vcc, 0, v10
	v_cndmask_b32_e32 v2, v2, v7, vcc
	v_cndmask_b32_e32 v7, v11, v12, vcc
	v_mov_b32_e32 v10, 0x3b800000
	v_lshlrev_b32_e32 v2, 20, v2
	v_lshl_add_u32 v7, v7, 23, v10
	v_or3_b32 v2, v6, v7, v2
.LBB18_188:
	s_or_b64 exec, exec, s[6:7]
	s_movk_i32 s4, 0x7f
	v_cmp_gt_i16_sdwa s[6:7], v3, s4 src0_sel:BYTE_3 src1_sel:DWORD
	s_mov_b64 s[4:5], 0
                                        ; implicit-def: $sgpr10
	s_and_saveexec_b64 s[8:9], s[6:7]
	s_xor_b64 s[6:7], exec, s[8:9]
	s_cbranch_execnz .LBB18_2237
; %bb.189:
	s_or_saveexec_b64 s[6:7], s[6:7]
	v_mov_b32_e32 v6, s10
	s_xor_b64 exec, exec, s[6:7]
	s_cbranch_execnz .LBB18_2240
.LBB18_190:
	s_or_b64 exec, exec, s[6:7]
	s_and_saveexec_b64 s[6:7], s[4:5]
	s_cbranch_execz .LBB18_192
.LBB18_191:
	v_bfe_u32 v6, v3, 24, 3
	v_ffbh_u32_e32 v12, v6
	v_min_u32_e32 v12, 32, v12
	v_lshrrev_b32_e32 v10, 27, v3
	v_subrev_u32_e32 v13, 28, v12
	v_and_b32_e32 v7, 0x80000000, v3
	v_and_b32_e32 v10, 15, v10
	v_bfe_u32 v11, v3, 27, 4
	v_lshlrev_b32_sdwa v3, v13, v3 dst_sel:DWORD dst_unused:UNUSED_PAD src0_sel:DWORD src1_sel:BYTE_3
	v_sub_u32_e32 v12, 29, v12
	v_and_b32_e32 v3, 7, v3
	v_cmp_eq_u16_e32 vcc, 0, v10
	v_cndmask_b32_e32 v3, v6, v3, vcc
	v_cndmask_b32_e32 v6, v11, v12, vcc
	v_mov_b32_e32 v10, 0x3b800000
	v_lshlrev_b32_e32 v3, 20, v3
	v_lshl_add_u32 v6, v6, 23, v10
	v_or3_b32 v6, v7, v6, v3
.LBB18_192:
	s_or_b64 exec, exec, s[6:7]
	s_nop 0
	v_mfma_f32_16x16x4f32 a[0:3], v2, v6, a[0:3]
	s_movk_i32 s4, 0x7f
	v_cmp_gt_i16_sdwa s[6:7], v8, s4 src0_sel:BYTE_0 src1_sel:DWORD
	s_mov_b64 s[4:5], 0
                                        ; implicit-def: $sgpr10
	s_and_saveexec_b64 s[8:9], s[6:7]
	s_xor_b64 s[6:7], exec, s[8:9]
	s_cbranch_execnz .LBB18_2241
; %bb.193:
	s_or_saveexec_b64 s[6:7], s[6:7]
	v_mov_b32_e32 v2, s10
	s_xor_b64 exec, exec, s[6:7]
	s_cbranch_execnz .LBB18_2244
.LBB18_194:
	s_or_b64 exec, exec, s[6:7]
	s_and_saveexec_b64 s[6:7], s[4:5]
	s_cbranch_execz .LBB18_196
.LBB18_195:
	v_and_b32_e32 v2, 7, v8
	v_ffbh_u32_e32 v6, v2
	v_min_u32_e32 v6, 32, v6
	v_lshrrev_b16_e32 v3, 3, v8
	v_subrev_u32_e32 v7, 28, v6
	v_and_b32_e32 v3, 15, v3
	v_lshlrev_b32_e32 v7, v7, v8
	v_sub_u32_e32 v6, 29, v6
	v_and_b32_e32 v7, 7, v7
	v_cmp_eq_u16_e32 vcc, 0, v3
	v_cndmask_b32_e32 v2, v2, v7, vcc
	v_cndmask_b32_e32 v3, v3, v6, vcc
	v_lshlrev_b32_e32 v6, 24, v8
	v_mov_b32_e32 v7, 0x3b800000
	v_lshlrev_b32_e32 v2, 20, v2
	v_and_b32_e32 v6, 0x80000000, v6
	v_lshl_add_u32 v3, v3, 23, v7
	v_or3_b32 v2, v6, v3, v2
.LBB18_196:
	s_or_b64 exec, exec, s[6:7]
	s_movk_i32 s4, 0x7f
	v_cmp_gt_i16_sdwa s[6:7], v4, s4 src0_sel:BYTE_0 src1_sel:DWORD
	s_mov_b64 s[4:5], 0
                                        ; implicit-def: $sgpr10
	s_and_saveexec_b64 s[8:9], s[6:7]
	s_xor_b64 s[6:7], exec, s[8:9]
	s_cbranch_execnz .LBB18_2245
; %bb.197:
	s_or_saveexec_b64 s[6:7], s[6:7]
	v_mov_b32_e32 v3, s10
	s_xor_b64 exec, exec, s[6:7]
	s_cbranch_execnz .LBB18_2248
.LBB18_198:
	s_or_b64 exec, exec, s[6:7]
	s_and_saveexec_b64 s[6:7], s[4:5]
	s_cbranch_execz .LBB18_200
.LBB18_199:
	v_and_b32_e32 v3, 7, v4
	v_ffbh_u32_e32 v7, v3
	v_min_u32_e32 v7, 32, v7
	v_lshrrev_b16_e32 v6, 3, v4
	v_subrev_u32_e32 v10, 28, v7
	v_and_b32_e32 v6, 15, v6
	v_lshlrev_b32_e32 v10, v10, v4
	v_sub_u32_e32 v7, 29, v7
	v_and_b32_e32 v10, 7, v10
	v_cmp_eq_u16_e32 vcc, 0, v6
	v_cndmask_b32_e32 v3, v3, v10, vcc
	v_cndmask_b32_e32 v6, v6, v7, vcc
	v_lshlrev_b32_e32 v7, 24, v4
	v_mov_b32_e32 v10, 0x3b800000
	v_lshlrev_b32_e32 v3, 20, v3
	v_and_b32_e32 v7, 0x80000000, v7
	v_lshl_add_u32 v6, v6, 23, v10
	v_or3_b32 v3, v7, v6, v3
.LBB18_200:
	s_or_b64 exec, exec, s[6:7]
	s_nop 0
	v_mfma_f32_16x16x4f32 a[0:3], v2, v3, a[0:3]
	v_lshrrev_b32_e32 v3, 8, v8
	s_movk_i32 s4, 0x7f
	v_cmp_gt_i16_sdwa s[6:7], v3, s4 src0_sel:BYTE_0 src1_sel:DWORD
	s_mov_b64 s[4:5], 0
                                        ; implicit-def: $sgpr10
	s_and_saveexec_b64 s[8:9], s[6:7]
	s_xor_b64 s[6:7], exec, s[8:9]
	s_cbranch_execnz .LBB18_2249
; %bb.201:
	s_or_saveexec_b64 s[6:7], s[6:7]
	v_mov_b32_e32 v2, s10
	s_xor_b64 exec, exec, s[6:7]
	s_cbranch_execnz .LBB18_2252
.LBB18_202:
	s_or_b64 exec, exec, s[6:7]
	s_and_saveexec_b64 s[6:7], s[4:5]
	s_cbranch_execz .LBB18_204
.LBB18_203:
	v_bfe_u32 v2, v8, 8, 3
	v_ffbh_u32_e32 v7, v2
	v_min_u32_e32 v7, 32, v7
	v_lshrrev_b16_e32 v6, 3, v3
	v_subrev_u32_e32 v10, 28, v7
	v_and_b32_e32 v6, 15, v6
	v_lshlrev_b32_e32 v3, v10, v3
	v_sub_u32_e32 v7, 29, v7
	v_and_b32_e32 v3, 7, v3
	v_cmp_eq_u16_e32 vcc, 0, v6
	v_cndmask_b32_e32 v2, v2, v3, vcc
	v_cndmask_b32_e32 v3, v6, v7, vcc
	v_lshlrev_b32_e32 v6, 16, v8
	v_mov_b32_e32 v7, 0x3b800000
	v_lshlrev_b32_e32 v2, 20, v2
	v_and_b32_e32 v6, 0x80000000, v6
	v_lshl_add_u32 v3, v3, 23, v7
	v_or3_b32 v2, v6, v3, v2
.LBB18_204:
	s_or_b64 exec, exec, s[6:7]
	v_lshrrev_b32_e32 v3, 8, v4
	s_movk_i32 s4, 0x7f
	v_cmp_gt_i16_sdwa s[6:7], v3, s4 src0_sel:BYTE_0 src1_sel:DWORD
	s_mov_b64 s[4:5], 0
                                        ; implicit-def: $sgpr10
	s_and_saveexec_b64 s[8:9], s[6:7]
	s_xor_b64 s[6:7], exec, s[8:9]
	s_cbranch_execnz .LBB18_2253
; %bb.205:
	s_or_saveexec_b64 s[6:7], s[6:7]
	v_mov_b32_e32 v6, s10
	s_xor_b64 exec, exec, s[6:7]
	s_cbranch_execnz .LBB18_2256
.LBB18_206:
	s_or_b64 exec, exec, s[6:7]
	s_and_saveexec_b64 s[6:7], s[4:5]
	s_cbranch_execz .LBB18_208
.LBB18_207:
	v_bfe_u32 v6, v4, 8, 3
	v_ffbh_u32_e32 v10, v6
	v_min_u32_e32 v10, 32, v10
	v_lshrrev_b16_e32 v7, 3, v3
	v_subrev_u32_e32 v11, 28, v10
	v_and_b32_e32 v7, 15, v7
	v_lshlrev_b32_e32 v3, v11, v3
	v_sub_u32_e32 v10, 29, v10
	v_and_b32_e32 v3, 7, v3
	v_cmp_eq_u16_e32 vcc, 0, v7
	v_cndmask_b32_e32 v3, v6, v3, vcc
	v_cndmask_b32_e32 v6, v7, v10, vcc
	v_lshlrev_b32_e32 v7, 16, v4
	v_mov_b32_e32 v10, 0x3b800000
	v_lshlrev_b32_e32 v3, 20, v3
	v_and_b32_e32 v7, 0x80000000, v7
	v_lshl_add_u32 v6, v6, 23, v10
	v_or3_b32 v6, v7, v6, v3
.LBB18_208:
	s_or_b64 exec, exec, s[6:7]
	s_nop 0
	v_mfma_f32_16x16x4f32 a[0:3], v2, v6, a[0:3]
	s_movk_i32 s4, 0xff
	v_and_b32_sdwa v3, v8, s4 dst_sel:DWORD dst_unused:UNUSED_PAD src0_sel:WORD_1 src1_sel:DWORD
	s_movk_i32 s4, 0x7f
	v_cmp_lt_i16_e32 vcc, s4, v3
	s_mov_b64 s[4:5], 0
                                        ; implicit-def: $sgpr10
	s_and_saveexec_b64 s[6:7], vcc
	s_xor_b64 s[6:7], exec, s[6:7]
	s_cbranch_execnz .LBB18_2257
; %bb.209:
	s_or_saveexec_b64 s[6:7], s[6:7]
	v_mov_b32_e32 v2, s10
	s_xor_b64 exec, exec, s[6:7]
	s_cbranch_execnz .LBB18_2260
.LBB18_210:
	s_or_b64 exec, exec, s[6:7]
	s_and_saveexec_b64 s[6:7], s[4:5]
	s_cbranch_execz .LBB18_212
.LBB18_211:
	v_bfe_u32 v2, v8, 16, 3
	v_ffbh_u32_e32 v7, v2
	v_min_u32_e32 v7, 32, v7
	v_lshrrev_b32_e32 v3, 19, v8
	v_subrev_u32_e32 v10, 28, v7
	v_and_b32_e32 v3, 15, v3
	v_lshlrev_b32_sdwa v10, v10, v8 dst_sel:DWORD dst_unused:UNUSED_PAD src0_sel:DWORD src1_sel:WORD_1
	v_bfe_u32 v6, v8, 19, 4
	v_sub_u32_e32 v7, 29, v7
	v_and_b32_e32 v10, 7, v10
	v_cmp_eq_u16_e32 vcc, 0, v3
	v_cndmask_b32_e32 v2, v2, v10, vcc
	v_cndmask_b32_e32 v3, v6, v7, vcc
	v_lshlrev_b32_e32 v6, 8, v8
	v_mov_b32_e32 v7, 0x3b800000
	v_lshlrev_b32_e32 v2, 20, v2
	v_and_b32_e32 v6, 0x80000000, v6
	v_lshl_add_u32 v3, v3, 23, v7
	v_or3_b32 v2, v6, v3, v2
.LBB18_212:
	s_or_b64 exec, exec, s[6:7]
	s_movk_i32 s4, 0xff
	v_and_b32_sdwa v3, v4, s4 dst_sel:DWORD dst_unused:UNUSED_PAD src0_sel:WORD_1 src1_sel:DWORD
	s_movk_i32 s4, 0x7f
	v_cmp_lt_i16_e32 vcc, s4, v3
	s_mov_b64 s[4:5], 0
                                        ; implicit-def: $sgpr10
	s_and_saveexec_b64 s[6:7], vcc
	s_xor_b64 s[6:7], exec, s[6:7]
	s_cbranch_execnz .LBB18_2261
; %bb.213:
	s_or_saveexec_b64 s[6:7], s[6:7]
	v_mov_b32_e32 v6, s10
	s_xor_b64 exec, exec, s[6:7]
	s_cbranch_execnz .LBB18_2264
.LBB18_214:
	s_or_b64 exec, exec, s[6:7]
	s_and_saveexec_b64 s[6:7], s[4:5]
	s_cbranch_execz .LBB18_216
.LBB18_215:
	v_bfe_u32 v3, v4, 16, 3
	v_ffbh_u32_e32 v10, v3
	v_min_u32_e32 v10, 32, v10
	v_lshrrev_b32_e32 v6, 19, v4
	v_subrev_u32_e32 v11, 28, v10
	v_and_b32_e32 v6, 15, v6
	v_lshlrev_b32_sdwa v11, v11, v4 dst_sel:DWORD dst_unused:UNUSED_PAD src0_sel:DWORD src1_sel:WORD_1
	v_bfe_u32 v7, v4, 19, 4
	v_sub_u32_e32 v10, 29, v10
	v_and_b32_e32 v11, 7, v11
	v_cmp_eq_u16_e32 vcc, 0, v6
	v_cndmask_b32_e32 v3, v3, v11, vcc
	v_cndmask_b32_e32 v6, v7, v10, vcc
	v_lshlrev_b32_e32 v7, 8, v4
	v_mov_b32_e32 v10, 0x3b800000
	v_lshlrev_b32_e32 v3, 20, v3
	v_and_b32_e32 v7, 0x80000000, v7
	v_lshl_add_u32 v6, v6, 23, v10
	v_or3_b32 v6, v7, v6, v3
.LBB18_216:
	s_or_b64 exec, exec, s[6:7]
	s_nop 0
	v_mfma_f32_16x16x4f32 a[0:3], v2, v6, a[0:3]
	s_movk_i32 s4, 0x7f
	v_cmp_gt_i16_sdwa s[6:7], v8, s4 src0_sel:BYTE_3 src1_sel:DWORD
	s_mov_b64 s[4:5], 0
                                        ; implicit-def: $sgpr10
	s_and_saveexec_b64 s[8:9], s[6:7]
	s_xor_b64 s[6:7], exec, s[8:9]
	s_cbranch_execnz .LBB18_2265
; %bb.217:
	s_or_saveexec_b64 s[6:7], s[6:7]
	v_mov_b32_e32 v2, s10
	s_xor_b64 exec, exec, s[6:7]
	s_cbranch_execnz .LBB18_2268
.LBB18_218:
	s_or_b64 exec, exec, s[6:7]
	s_and_saveexec_b64 s[6:7], s[4:5]
	s_cbranch_execz .LBB18_220
.LBB18_219:
	v_bfe_u32 v2, v8, 24, 3
	v_ffbh_u32_e32 v10, v2
	v_min_u32_e32 v10, 32, v10
	v_lshrrev_b32_e32 v6, 27, v8
	v_subrev_u32_e32 v11, 28, v10
	v_and_b32_e32 v3, 0x80000000, v8
	v_and_b32_e32 v6, 15, v6
	v_bfe_u32 v7, v8, 27, 4
	v_lshlrev_b32_sdwa v8, v11, v8 dst_sel:DWORD dst_unused:UNUSED_PAD src0_sel:DWORD src1_sel:BYTE_3
	v_sub_u32_e32 v10, 29, v10
	v_and_b32_e32 v8, 7, v8
	v_cmp_eq_u16_e32 vcc, 0, v6
	v_cndmask_b32_e32 v2, v2, v8, vcc
	v_cndmask_b32_e32 v6, v7, v10, vcc
	v_mov_b32_e32 v7, 0x3b800000
	v_lshlrev_b32_e32 v2, 20, v2
	v_lshl_add_u32 v6, v6, 23, v7
	v_or3_b32 v2, v3, v6, v2
.LBB18_220:
	s_or_b64 exec, exec, s[6:7]
	s_movk_i32 s4, 0x7f
	v_cmp_gt_i16_sdwa s[6:7], v4, s4 src0_sel:BYTE_3 src1_sel:DWORD
	s_mov_b64 s[4:5], 0
                                        ; implicit-def: $sgpr10
	s_and_saveexec_b64 s[8:9], s[6:7]
	s_xor_b64 s[6:7], exec, s[8:9]
	s_cbranch_execnz .LBB18_2269
; %bb.221:
	s_or_saveexec_b64 s[6:7], s[6:7]
	v_mov_b32_e32 v3, s10
	s_xor_b64 exec, exec, s[6:7]
	s_cbranch_execnz .LBB18_2272
.LBB18_222:
	s_or_b64 exec, exec, s[6:7]
	s_and_saveexec_b64 s[6:7], s[4:5]
	s_cbranch_execz .LBB18_224
.LBB18_223:
	v_bfe_u32 v3, v4, 24, 3
	v_ffbh_u32_e32 v10, v3
	v_min_u32_e32 v10, 32, v10
	v_lshrrev_b32_e32 v7, 27, v4
	v_subrev_u32_e32 v11, 28, v10
	v_and_b32_e32 v6, 0x80000000, v4
	v_and_b32_e32 v7, 15, v7
	v_bfe_u32 v8, v4, 27, 4
	v_lshlrev_b32_sdwa v4, v11, v4 dst_sel:DWORD dst_unused:UNUSED_PAD src0_sel:DWORD src1_sel:BYTE_3
	v_sub_u32_e32 v10, 29, v10
	v_and_b32_e32 v4, 7, v4
	v_cmp_eq_u16_e32 vcc, 0, v7
	v_cndmask_b32_e32 v3, v3, v4, vcc
	v_cndmask_b32_e32 v4, v8, v10, vcc
	v_mov_b32_e32 v7, 0x3b800000
	v_lshlrev_b32_e32 v3, 20, v3
	v_lshl_add_u32 v4, v4, 23, v7
	v_or3_b32 v3, v6, v4, v3
.LBB18_224:
	s_or_b64 exec, exec, s[6:7]
	s_nop 0
	v_mfma_f32_16x16x4f32 a[0:3], v2, v3, a[0:3]
	s_movk_i32 s4, 0x7f
	v_cmp_gt_i16_sdwa s[6:7], v9, s4 src0_sel:BYTE_0 src1_sel:DWORD
	s_mov_b64 s[4:5], 0
                                        ; implicit-def: $sgpr10
	s_and_saveexec_b64 s[8:9], s[6:7]
	s_xor_b64 s[6:7], exec, s[8:9]
	s_cbranch_execnz .LBB18_2273
; %bb.225:
	s_or_saveexec_b64 s[6:7], s[6:7]
	v_mov_b32_e32 v2, s10
	s_xor_b64 exec, exec, s[6:7]
	s_cbranch_execnz .LBB18_2276
.LBB18_226:
	s_or_b64 exec, exec, s[6:7]
	s_and_saveexec_b64 s[6:7], s[4:5]
	s_cbranch_execz .LBB18_228
.LBB18_227:
	v_mov_b32_e32 v2, 8
	v_and_b32_e32 v3, 7, v9
	v_lshrrev_b32_sdwa v2, v2, v9 dst_sel:BYTE_1 dst_unused:UNUSED_PAD src0_sel:DWORD src1_sel:DWORD
	v_ffbh_u32_e32 v4, v3
	v_or_b32_sdwa v2, v9, v2 dst_sel:DWORD dst_unused:UNUSED_PAD src0_sel:BYTE_0 src1_sel:DWORD
	v_min_u32_e32 v4, 32, v4
	v_lshrrev_b16_e32 v2, 3, v2
	v_subrev_u32_e32 v6, 28, v4
	v_and_b32_e32 v2, 15, v2
	v_lshlrev_b32_e32 v6, v6, v9
	v_sub_u32_e32 v4, 29, v4
	v_and_b32_e32 v6, 7, v6
	v_cmp_eq_u16_e32 vcc, 0, v2
	v_cndmask_b32_e32 v3, v3, v6, vcc
	v_cndmask_b32_e32 v2, v2, v4, vcc
	v_lshlrev_b32_e32 v4, 24, v9
	v_mov_b32_e32 v6, 0x3b800000
	v_lshlrev_b32_e32 v3, 20, v3
	v_and_b32_e32 v4, 0x80000000, v4
	v_lshl_add_u32 v2, v2, 23, v6
	v_or3_b32 v2, v4, v2, v3
.LBB18_228:
	s_or_b64 exec, exec, s[6:7]
	s_movk_i32 s4, 0x7f
	v_cmp_gt_i16_sdwa s[6:7], v5, s4 src0_sel:BYTE_0 src1_sel:DWORD
	s_mov_b64 s[4:5], 0
                                        ; implicit-def: $sgpr10
	s_and_saveexec_b64 s[8:9], s[6:7]
	s_xor_b64 s[6:7], exec, s[8:9]
	s_cbranch_execnz .LBB18_2277
; %bb.229:
	s_or_saveexec_b64 s[6:7], s[6:7]
	v_mov_b32_e32 v3, s10
	s_xor_b64 exec, exec, s[6:7]
	s_cbranch_execnz .LBB18_2280
.LBB18_230:
	s_or_b64 exec, exec, s[6:7]
	s_and_saveexec_b64 s[6:7], s[4:5]
	s_cbranch_execz .LBB18_232
.LBB18_231:
	v_mov_b32_e32 v3, 8
	v_and_b32_e32 v4, 7, v5
	v_lshrrev_b32_sdwa v3, v3, v5 dst_sel:BYTE_1 dst_unused:UNUSED_PAD src0_sel:DWORD src1_sel:DWORD
	v_ffbh_u32_e32 v6, v4
	v_or_b32_sdwa v3, v5, v3 dst_sel:DWORD dst_unused:UNUSED_PAD src0_sel:BYTE_0 src1_sel:DWORD
	v_min_u32_e32 v6, 32, v6
	v_lshrrev_b16_e32 v3, 3, v3
	v_subrev_u32_e32 v7, 28, v6
	v_and_b32_e32 v3, 15, v3
	v_lshlrev_b32_e32 v7, v7, v5
	v_sub_u32_e32 v6, 29, v6
	v_and_b32_e32 v7, 7, v7
	v_cmp_eq_u16_e32 vcc, 0, v3
	v_cndmask_b32_e32 v4, v4, v7, vcc
	v_cndmask_b32_e32 v3, v3, v6, vcc
	v_lshlrev_b32_e32 v6, 24, v5
	v_mov_b32_e32 v7, 0x3b800000
	v_lshlrev_b32_e32 v4, 20, v4
	v_and_b32_e32 v6, 0x80000000, v6
	v_lshl_add_u32 v3, v3, 23, v7
	v_or3_b32 v3, v6, v3, v4
.LBB18_232:
	s_or_b64 exec, exec, s[6:7]
	s_nop 0
	v_mfma_f32_16x16x4f32 a[0:3], v2, v3, a[0:3]
	v_lshrrev_b32_e32 v3, 8, v9
	s_movk_i32 s4, 0x7f
	v_cmp_gt_i16_sdwa s[6:7], v3, s4 src0_sel:BYTE_0 src1_sel:DWORD
	s_mov_b64 s[4:5], 0
                                        ; implicit-def: $sgpr10
	s_and_saveexec_b64 s[8:9], s[6:7]
	s_xor_b64 s[6:7], exec, s[8:9]
	s_cbranch_execnz .LBB18_2281
; %bb.233:
	s_or_saveexec_b64 s[6:7], s[6:7]
	v_mov_b32_e32 v2, s10
	s_xor_b64 exec, exec, s[6:7]
	s_cbranch_execnz .LBB18_2284
.LBB18_234:
	s_or_b64 exec, exec, s[6:7]
	s_and_saveexec_b64 s[6:7], s[4:5]
	s_cbranch_execz .LBB18_236
.LBB18_235:
	v_bfe_u32 v2, v9, 8, 3
	v_ffbh_u32_e32 v6, v2
	v_min_u32_e32 v6, 32, v6
	v_lshrrev_b16_e32 v4, 3, v3
	v_subrev_u32_e32 v7, 28, v6
	v_and_b32_e32 v4, 15, v4
	v_lshlrev_b32_e32 v3, v7, v3
	v_sub_u32_e32 v6, 29, v6
	v_and_b32_e32 v3, 7, v3
	v_cmp_eq_u16_e32 vcc, 0, v4
	v_cndmask_b32_e32 v2, v2, v3, vcc
	v_cndmask_b32_e32 v3, v4, v6, vcc
	v_lshlrev_b32_e32 v4, 16, v9
	v_mov_b32_e32 v6, 0x3b800000
	v_lshlrev_b32_e32 v2, 20, v2
	v_and_b32_e32 v4, 0x80000000, v4
	v_lshl_add_u32 v3, v3, 23, v6
	v_or3_b32 v2, v4, v3, v2
.LBB18_236:
	s_or_b64 exec, exec, s[6:7]
	v_lshrrev_b32_e32 v3, 8, v5
	s_movk_i32 s4, 0x7f
	v_cmp_gt_i16_sdwa s[6:7], v3, s4 src0_sel:BYTE_0 src1_sel:DWORD
	s_mov_b64 s[4:5], 0
                                        ; implicit-def: $sgpr10
	s_and_saveexec_b64 s[8:9], s[6:7]
	s_xor_b64 s[6:7], exec, s[8:9]
	s_cbranch_execnz .LBB18_2285
; %bb.237:
	s_or_saveexec_b64 s[6:7], s[6:7]
	v_mov_b32_e32 v4, s10
	s_xor_b64 exec, exec, s[6:7]
	s_cbranch_execnz .LBB18_2288
.LBB18_238:
	s_or_b64 exec, exec, s[6:7]
	s_and_saveexec_b64 s[6:7], s[4:5]
	s_cbranch_execz .LBB18_240
.LBB18_239:
	v_bfe_u32 v4, v5, 8, 3
	v_ffbh_u32_e32 v7, v4
	v_min_u32_e32 v7, 32, v7
	v_lshrrev_b16_e32 v6, 3, v3
	v_subrev_u32_e32 v8, 28, v7
	v_and_b32_e32 v6, 15, v6
	v_lshlrev_b32_e32 v3, v8, v3
	v_sub_u32_e32 v7, 29, v7
	v_and_b32_e32 v3, 7, v3
	v_cmp_eq_u16_e32 vcc, 0, v6
	v_cndmask_b32_e32 v3, v4, v3, vcc
	v_cndmask_b32_e32 v4, v6, v7, vcc
	v_lshlrev_b32_e32 v6, 16, v5
	v_mov_b32_e32 v7, 0x3b800000
	v_lshlrev_b32_e32 v3, 20, v3
	v_and_b32_e32 v6, 0x80000000, v6
	v_lshl_add_u32 v4, v4, 23, v7
	v_or3_b32 v4, v6, v4, v3
.LBB18_240:
	s_or_b64 exec, exec, s[6:7]
	s_nop 0
	v_mfma_f32_16x16x4f32 a[0:3], v2, v4, a[0:3]
	s_movk_i32 s4, 0xff
	v_and_b32_sdwa v3, v9, s4 dst_sel:DWORD dst_unused:UNUSED_PAD src0_sel:WORD_1 src1_sel:DWORD
	s_movk_i32 s4, 0x7f
	v_cmp_lt_i16_e32 vcc, s4, v3
	s_mov_b64 s[4:5], 0
                                        ; implicit-def: $sgpr10
	s_and_saveexec_b64 s[6:7], vcc
	s_xor_b64 s[6:7], exec, s[6:7]
	s_cbranch_execnz .LBB18_2289
; %bb.241:
	s_or_saveexec_b64 s[6:7], s[6:7]
	v_mov_b32_e32 v2, s10
	s_xor_b64 exec, exec, s[6:7]
	s_cbranch_execnz .LBB18_2292
.LBB18_242:
	s_or_b64 exec, exec, s[6:7]
	s_and_saveexec_b64 s[6:7], s[4:5]
	s_cbranch_execz .LBB18_244
.LBB18_243:
	v_bfe_u32 v2, v9, 16, 3
	v_ffbh_u32_e32 v6, v2
	v_min_u32_e32 v6, 32, v6
	v_lshrrev_b32_e32 v3, 19, v9
	v_subrev_u32_e32 v7, 28, v6
	v_and_b32_e32 v3, 15, v3
	v_lshlrev_b32_sdwa v7, v7, v9 dst_sel:DWORD dst_unused:UNUSED_PAD src0_sel:DWORD src1_sel:WORD_1
	v_bfe_u32 v4, v9, 19, 4
	v_sub_u32_e32 v6, 29, v6
	v_and_b32_e32 v7, 7, v7
	v_cmp_eq_u16_e32 vcc, 0, v3
	v_cndmask_b32_e32 v2, v2, v7, vcc
	v_cndmask_b32_e32 v3, v4, v6, vcc
	v_lshlrev_b32_e32 v4, 8, v9
	v_mov_b32_e32 v6, 0x3b800000
	v_lshlrev_b32_e32 v2, 20, v2
	v_and_b32_e32 v4, 0x80000000, v4
	v_lshl_add_u32 v3, v3, 23, v6
	v_or3_b32 v2, v4, v3, v2
.LBB18_244:
	s_or_b64 exec, exec, s[6:7]
	s_movk_i32 s4, 0xff
	v_and_b32_sdwa v3, v5, s4 dst_sel:DWORD dst_unused:UNUSED_PAD src0_sel:WORD_1 src1_sel:DWORD
	s_movk_i32 s4, 0x7f
	v_cmp_lt_i16_e32 vcc, s4, v3
	s_mov_b64 s[4:5], 0
                                        ; implicit-def: $sgpr10
	s_and_saveexec_b64 s[6:7], vcc
	s_xor_b64 s[6:7], exec, s[6:7]
	s_cbranch_execnz .LBB18_2293
; %bb.245:
	s_or_saveexec_b64 s[6:7], s[6:7]
	v_mov_b32_e32 v4, s10
	s_xor_b64 exec, exec, s[6:7]
	s_cbranch_execnz .LBB18_2296
.LBB18_246:
	s_or_b64 exec, exec, s[6:7]
	s_and_saveexec_b64 s[6:7], s[4:5]
	s_cbranch_execz .LBB18_248
.LBB18_247:
	v_bfe_u32 v3, v5, 16, 3
	v_ffbh_u32_e32 v7, v3
	v_min_u32_e32 v7, 32, v7
	v_lshrrev_b32_e32 v4, 19, v5
	v_subrev_u32_e32 v8, 28, v7
	v_and_b32_e32 v4, 15, v4
	v_lshlrev_b32_sdwa v8, v8, v5 dst_sel:DWORD dst_unused:UNUSED_PAD src0_sel:DWORD src1_sel:WORD_1
	v_bfe_u32 v6, v5, 19, 4
	v_sub_u32_e32 v7, 29, v7
	v_and_b32_e32 v8, 7, v8
	v_cmp_eq_u16_e32 vcc, 0, v4
	v_cndmask_b32_e32 v3, v3, v8, vcc
	v_cndmask_b32_e32 v4, v6, v7, vcc
	v_lshlrev_b32_e32 v6, 8, v5
	v_mov_b32_e32 v7, 0x3b800000
	v_lshlrev_b32_e32 v3, 20, v3
	v_and_b32_e32 v6, 0x80000000, v6
	v_lshl_add_u32 v4, v4, 23, v7
	v_or3_b32 v4, v6, v4, v3
.LBB18_248:
	s_or_b64 exec, exec, s[6:7]
	s_nop 0
	v_mfma_f32_16x16x4f32 a[0:3], v2, v4, a[0:3]
	s_movk_i32 s4, 0x7f
	v_cmp_gt_i16_sdwa s[6:7], v9, s4 src0_sel:BYTE_3 src1_sel:DWORD
	s_mov_b64 s[4:5], 0
                                        ; implicit-def: $sgpr10
	s_and_saveexec_b64 s[8:9], s[6:7]
	s_xor_b64 s[6:7], exec, s[8:9]
	s_cbranch_execnz .LBB18_2297
; %bb.249:
	s_or_saveexec_b64 s[6:7], s[6:7]
	v_mov_b32_e32 v2, s10
	s_xor_b64 exec, exec, s[6:7]
	s_cbranch_execnz .LBB18_2300
.LBB18_250:
	s_or_b64 exec, exec, s[6:7]
	s_and_saveexec_b64 s[6:7], s[4:5]
	s_cbranch_execz .LBB18_252
.LBB18_251:
	v_bfe_u32 v2, v9, 24, 3
	v_ffbh_u32_e32 v7, v2
	v_min_u32_e32 v7, 32, v7
	v_lshrrev_b32_e32 v4, 27, v9
	v_subrev_u32_e32 v8, 28, v7
	v_and_b32_e32 v4, 15, v4
	v_lshlrev_b32_sdwa v8, v8, v9 dst_sel:DWORD dst_unused:UNUSED_PAD src0_sel:DWORD src1_sel:BYTE_3
	v_bfe_u32 v6, v9, 27, 4
	v_sub_u32_e32 v7, 29, v7
	v_and_b32_e32 v8, 7, v8
	v_cmp_eq_u16_e32 vcc, 0, v4
	v_cndmask_b32_e32 v2, v2, v8, vcc
	v_cndmask_b32_e32 v4, v6, v7, vcc
	v_mov_b32_e32 v6, 0x3b800000
	v_and_b32_e32 v3, 0x80000000, v9
	v_lshlrev_b32_e32 v2, 20, v2
	v_lshl_add_u32 v4, v4, 23, v6
	v_or3_b32 v2, v3, v4, v2
.LBB18_252:
	s_or_b64 exec, exec, s[6:7]
	s_movk_i32 s4, 0x7f
	v_cmp_gt_i16_sdwa s[6:7], v5, s4 src0_sel:BYTE_3 src1_sel:DWORD
	s_mov_b64 s[4:5], 0
                                        ; implicit-def: $sgpr10
	s_and_saveexec_b64 s[8:9], s[6:7]
	s_xor_b64 s[6:7], exec, s[8:9]
	s_cbranch_execnz .LBB18_2301
; %bb.253:
	s_or_saveexec_b64 s[6:7], s[6:7]
	v_mov_b32_e32 v3, s10
	s_xor_b64 exec, exec, s[6:7]
	s_cbranch_execnz .LBB18_2304
.LBB18_254:
	s_or_b64 exec, exec, s[6:7]
	s_and_saveexec_b64 s[6:7], s[4:5]
	s_cbranch_execz .LBB18_256
.LBB18_255:
	v_bfe_u32 v3, v5, 24, 3
	v_ffbh_u32_e32 v8, v3
	v_min_u32_e32 v8, 32, v8
	v_lshrrev_b32_e32 v6, 27, v5
	v_subrev_u32_e32 v9, 28, v8
	v_and_b32_e32 v4, 0x80000000, v5
	v_and_b32_e32 v6, 15, v6
	v_bfe_u32 v7, v5, 27, 4
	v_lshlrev_b32_sdwa v5, v9, v5 dst_sel:DWORD dst_unused:UNUSED_PAD src0_sel:DWORD src1_sel:BYTE_3
	v_sub_u32_e32 v8, 29, v8
	v_and_b32_e32 v5, 7, v5
	v_cmp_eq_u16_e32 vcc, 0, v6
	v_cndmask_b32_e32 v3, v3, v5, vcc
	v_cndmask_b32_e32 v5, v7, v8, vcc
	v_mov_b32_e32 v6, 0x3b800000
	v_lshlrev_b32_e32 v3, 20, v3
	v_lshl_add_u32 v5, v5, 23, v6
	v_or3_b32 v3, v4, v5, v3
.LBB18_256:
	s_or_b64 exec, exec, s[6:7]
	s_nop 0
	v_mfma_f32_16x16x4f32 a[0:3], v2, v3, a[0:3]
	s_movk_i32 s4, 0x7f
                                        ; implicit-def: $sgpr10
	s_nop 7
	s_nop 1
	flat_store_dwordx4 v[18:19], a[0:3]
	flat_load_dwordx4 v[20:23], v[0:1] offset:8
	s_nop 0
	flat_load_dwordx2 v[18:19], v[0:1] offset:24
	s_waitcnt vmcnt(0) lgkmcnt(0)
	flat_load_dwordx4 v[14:17], v[20:21]
	flat_load_dwordx4 v[6:9], v[20:21] offset:16
	flat_load_dwordx4 v[10:13], v[22:23] offset:32
	;; [unrolled: 1-line block ×3, first 2 shown]
	s_waitcnt vmcnt(0) lgkmcnt(0)
	v_cmp_gt_i16_sdwa s[6:7], v14, s4 src0_sel:BYTE_0 src1_sel:DWORD
	s_mov_b64 s[4:5], 0
	s_and_saveexec_b64 s[8:9], s[6:7]
	s_xor_b64 s[6:7], exec, s[8:9]
	s_cbranch_execnz .LBB18_2305
; %bb.257:
	s_or_saveexec_b64 s[6:7], s[6:7]
	v_mov_b32_e32 v20, s10
	s_xor_b64 exec, exec, s[6:7]
	s_cbranch_execnz .LBB18_2308
.LBB18_258:
	s_or_b64 exec, exec, s[6:7]
	s_and_saveexec_b64 s[6:7], s[4:5]
	s_cbranch_execz .LBB18_260
.LBB18_259:
	v_and_b32_e32 v20, 7, v14
	v_ffbh_u32_e32 v22, v20
	v_min_u32_e32 v22, 32, v22
	v_lshrrev_b16_e32 v21, 3, v14
	v_subrev_u32_e32 v23, 28, v22
	v_and_b32_e32 v21, 15, v21
	v_lshlrev_b32_e32 v23, v23, v14
	v_sub_u32_e32 v22, 29, v22
	v_and_b32_e32 v23, 7, v23
	v_cmp_eq_u16_e32 vcc, 0, v21
	v_cndmask_b32_e32 v20, v20, v23, vcc
	v_cndmask_b32_e32 v21, v21, v22, vcc
	v_lshlrev_b32_e32 v22, 24, v14
	v_mov_b32_e32 v23, 0x3b800000
	v_lshlrev_b32_e32 v20, 20, v20
	v_and_b32_e32 v22, 0x80000000, v22
	v_lshl_add_u32 v21, v21, 23, v23
	v_or3_b32 v20, v22, v21, v20
.LBB18_260:
	s_or_b64 exec, exec, s[6:7]
	s_movk_i32 s4, 0x7f
	v_cmp_gt_i16_sdwa s[6:7], v10, s4 src0_sel:BYTE_0 src1_sel:DWORD
	s_mov_b64 s[4:5], 0
                                        ; implicit-def: $sgpr10
	s_and_saveexec_b64 s[8:9], s[6:7]
	s_xor_b64 s[6:7], exec, s[8:9]
	s_cbranch_execnz .LBB18_2309
; %bb.261:
	s_or_saveexec_b64 s[6:7], s[6:7]
	v_mov_b32_e32 v21, s10
	s_xor_b64 exec, exec, s[6:7]
	s_cbranch_execnz .LBB18_2312
.LBB18_262:
	s_or_b64 exec, exec, s[6:7]
	s_and_saveexec_b64 s[6:7], s[4:5]
	s_cbranch_execz .LBB18_264
.LBB18_263:
	v_and_b32_e32 v21, 7, v10
	v_ffbh_u32_e32 v23, v21
	v_min_u32_e32 v23, 32, v23
	v_lshrrev_b16_e32 v22, 3, v10
	v_subrev_u32_e32 v24, 28, v23
	v_and_b32_e32 v22, 15, v22
	v_lshlrev_b32_e32 v24, v24, v10
	v_sub_u32_e32 v23, 29, v23
	v_and_b32_e32 v24, 7, v24
	v_cmp_eq_u16_e32 vcc, 0, v22
	v_cndmask_b32_e32 v21, v21, v24, vcc
	v_cndmask_b32_e32 v22, v22, v23, vcc
	v_lshlrev_b32_e32 v23, 24, v10
	v_mov_b32_e32 v24, 0x3b800000
	v_lshlrev_b32_e32 v21, 20, v21
	v_and_b32_e32 v23, 0x80000000, v23
	v_lshl_add_u32 v22, v22, 23, v24
	v_or3_b32 v21, v23, v22, v21
.LBB18_264:
	s_or_b64 exec, exec, s[6:7]
	flat_load_dwordx4 a[0:3], v[18:19] offset:16
	s_movk_i32 s4, 0x7f
                                        ; implicit-def: $sgpr10
	s_waitcnt vmcnt(0) lgkmcnt(0)
	v_mfma_f32_16x16x4f32 a[0:3], v20, v21, a[0:3]
	v_lshrrev_b32_e32 v21, 8, v14
	v_cmp_gt_i16_sdwa s[6:7], v21, s4 src0_sel:BYTE_0 src1_sel:DWORD
	s_mov_b64 s[4:5], 0
	s_and_saveexec_b64 s[8:9], s[6:7]
	s_xor_b64 s[6:7], exec, s[8:9]
	s_cbranch_execnz .LBB18_2313
; %bb.265:
	s_or_saveexec_b64 s[6:7], s[6:7]
	v_mov_b32_e32 v20, s10
	s_xor_b64 exec, exec, s[6:7]
	s_cbranch_execnz .LBB18_2316
.LBB18_266:
	s_or_b64 exec, exec, s[6:7]
	s_and_saveexec_b64 s[6:7], s[4:5]
	s_cbranch_execz .LBB18_268
.LBB18_267:
	v_bfe_u32 v20, v14, 8, 3
	v_ffbh_u32_e32 v23, v20
	v_min_u32_e32 v23, 32, v23
	v_lshrrev_b16_e32 v22, 3, v21
	v_subrev_u32_e32 v24, 28, v23
	v_and_b32_e32 v22, 15, v22
	v_lshlrev_b32_e32 v21, v24, v21
	v_sub_u32_e32 v23, 29, v23
	v_and_b32_e32 v21, 7, v21
	v_cmp_eq_u16_e32 vcc, 0, v22
	v_cndmask_b32_e32 v20, v20, v21, vcc
	v_cndmask_b32_e32 v21, v22, v23, vcc
	v_lshlrev_b32_e32 v22, 16, v14
	v_mov_b32_e32 v23, 0x3b800000
	v_lshlrev_b32_e32 v20, 20, v20
	v_and_b32_e32 v22, 0x80000000, v22
	v_lshl_add_u32 v21, v21, 23, v23
	v_or3_b32 v20, v22, v21, v20
.LBB18_268:
	s_or_b64 exec, exec, s[6:7]
	v_lshrrev_b32_e32 v21, 8, v10
	s_movk_i32 s4, 0x7f
	v_cmp_gt_i16_sdwa s[6:7], v21, s4 src0_sel:BYTE_0 src1_sel:DWORD
	s_mov_b64 s[4:5], 0
                                        ; implicit-def: $sgpr10
	s_and_saveexec_b64 s[8:9], s[6:7]
	s_xor_b64 s[6:7], exec, s[8:9]
	s_cbranch_execnz .LBB18_2317
; %bb.269:
	s_or_saveexec_b64 s[6:7], s[6:7]
	v_mov_b32_e32 v22, s10
	s_xor_b64 exec, exec, s[6:7]
	s_cbranch_execnz .LBB18_2320
.LBB18_270:
	s_or_b64 exec, exec, s[6:7]
	s_and_saveexec_b64 s[6:7], s[4:5]
	s_cbranch_execz .LBB18_272
.LBB18_271:
	v_bfe_u32 v22, v10, 8, 3
	v_ffbh_u32_e32 v24, v22
	v_min_u32_e32 v24, 32, v24
	v_lshrrev_b16_e32 v23, 3, v21
	v_subrev_u32_e32 v25, 28, v24
	v_and_b32_e32 v23, 15, v23
	v_lshlrev_b32_e32 v21, v25, v21
	v_sub_u32_e32 v24, 29, v24
	v_and_b32_e32 v21, 7, v21
	v_cmp_eq_u16_e32 vcc, 0, v23
	v_cndmask_b32_e32 v21, v22, v21, vcc
	v_cndmask_b32_e32 v22, v23, v24, vcc
	v_lshlrev_b32_e32 v23, 16, v10
	v_mov_b32_e32 v24, 0x3b800000
	v_lshlrev_b32_e32 v21, 20, v21
	v_and_b32_e32 v23, 0x80000000, v23
	v_lshl_add_u32 v22, v22, 23, v24
	v_or3_b32 v22, v23, v22, v21
.LBB18_272:
	s_or_b64 exec, exec, s[6:7]
	s_nop 0
	v_mfma_f32_16x16x4f32 a[0:3], v20, v22, a[0:3]
	s_movk_i32 s4, 0xff
	v_and_b32_sdwa v21, v14, s4 dst_sel:DWORD dst_unused:UNUSED_PAD src0_sel:WORD_1 src1_sel:DWORD
	s_movk_i32 s4, 0x7f
	v_cmp_lt_i16_e32 vcc, s4, v21
	s_mov_b64 s[4:5], 0
                                        ; implicit-def: $sgpr10
	s_and_saveexec_b64 s[6:7], vcc
	s_xor_b64 s[6:7], exec, s[6:7]
	s_cbranch_execnz .LBB18_2321
; %bb.273:
	s_or_saveexec_b64 s[6:7], s[6:7]
	v_mov_b32_e32 v20, s10
	s_xor_b64 exec, exec, s[6:7]
	s_cbranch_execnz .LBB18_2324
.LBB18_274:
	s_or_b64 exec, exec, s[6:7]
	s_and_saveexec_b64 s[6:7], s[4:5]
	s_cbranch_execz .LBB18_276
.LBB18_275:
	v_bfe_u32 v20, v14, 16, 3
	v_ffbh_u32_e32 v23, v20
	v_min_u32_e32 v23, 32, v23
	v_lshrrev_b32_e32 v21, 19, v14
	v_subrev_u32_e32 v24, 28, v23
	v_and_b32_e32 v21, 15, v21
	v_lshlrev_b32_sdwa v24, v24, v14 dst_sel:DWORD dst_unused:UNUSED_PAD src0_sel:DWORD src1_sel:WORD_1
	v_bfe_u32 v22, v14, 19, 4
	v_sub_u32_e32 v23, 29, v23
	v_and_b32_e32 v24, 7, v24
	v_cmp_eq_u16_e32 vcc, 0, v21
	v_cndmask_b32_e32 v20, v20, v24, vcc
	v_cndmask_b32_e32 v21, v22, v23, vcc
	v_lshlrev_b32_e32 v22, 8, v14
	v_mov_b32_e32 v23, 0x3b800000
	v_lshlrev_b32_e32 v20, 20, v20
	v_and_b32_e32 v22, 0x80000000, v22
	v_lshl_add_u32 v21, v21, 23, v23
	v_or3_b32 v20, v22, v21, v20
.LBB18_276:
	s_or_b64 exec, exec, s[6:7]
	s_movk_i32 s4, 0xff
	v_and_b32_sdwa v21, v10, s4 dst_sel:DWORD dst_unused:UNUSED_PAD src0_sel:WORD_1 src1_sel:DWORD
	s_movk_i32 s4, 0x7f
	v_cmp_lt_i16_e32 vcc, s4, v21
	s_mov_b64 s[4:5], 0
                                        ; implicit-def: $sgpr10
	s_and_saveexec_b64 s[6:7], vcc
	s_xor_b64 s[6:7], exec, s[6:7]
	s_cbranch_execnz .LBB18_2325
; %bb.277:
	s_or_saveexec_b64 s[6:7], s[6:7]
	v_mov_b32_e32 v22, s10
	s_xor_b64 exec, exec, s[6:7]
	s_cbranch_execnz .LBB18_2328
.LBB18_278:
	s_or_b64 exec, exec, s[6:7]
	s_and_saveexec_b64 s[6:7], s[4:5]
	s_cbranch_execz .LBB18_280
.LBB18_279:
	v_bfe_u32 v21, v10, 16, 3
	v_ffbh_u32_e32 v24, v21
	v_min_u32_e32 v24, 32, v24
	v_lshrrev_b32_e32 v22, 19, v10
	v_subrev_u32_e32 v25, 28, v24
	v_and_b32_e32 v22, 15, v22
	v_lshlrev_b32_sdwa v25, v25, v10 dst_sel:DWORD dst_unused:UNUSED_PAD src0_sel:DWORD src1_sel:WORD_1
	v_bfe_u32 v23, v10, 19, 4
	v_sub_u32_e32 v24, 29, v24
	v_and_b32_e32 v25, 7, v25
	v_cmp_eq_u16_e32 vcc, 0, v22
	v_cndmask_b32_e32 v21, v21, v25, vcc
	v_cndmask_b32_e32 v22, v23, v24, vcc
	v_lshlrev_b32_e32 v23, 8, v10
	v_mov_b32_e32 v24, 0x3b800000
	v_lshlrev_b32_e32 v21, 20, v21
	v_and_b32_e32 v23, 0x80000000, v23
	v_lshl_add_u32 v22, v22, 23, v24
	v_or3_b32 v22, v23, v22, v21
.LBB18_280:
	s_or_b64 exec, exec, s[6:7]
	s_nop 0
	v_mfma_f32_16x16x4f32 a[0:3], v20, v22, a[0:3]
	s_movk_i32 s4, 0x7f
	v_cmp_gt_i16_sdwa s[6:7], v14, s4 src0_sel:BYTE_3 src1_sel:DWORD
	s_mov_b64 s[4:5], 0
                                        ; implicit-def: $sgpr10
	s_and_saveexec_b64 s[8:9], s[6:7]
	s_xor_b64 s[6:7], exec, s[8:9]
	s_cbranch_execnz .LBB18_2329
; %bb.281:
	s_or_saveexec_b64 s[6:7], s[6:7]
	v_mov_b32_e32 v20, s10
	s_xor_b64 exec, exec, s[6:7]
	s_cbranch_execnz .LBB18_2332
.LBB18_282:
	s_or_b64 exec, exec, s[6:7]
	s_and_saveexec_b64 s[6:7], s[4:5]
	s_cbranch_execz .LBB18_284
.LBB18_283:
	v_bfe_u32 v20, v14, 24, 3
	v_ffbh_u32_e32 v24, v20
	v_min_u32_e32 v24, 32, v24
	v_lshrrev_b32_e32 v22, 27, v14
	v_subrev_u32_e32 v25, 28, v24
	v_and_b32_e32 v21, 0x80000000, v14
	v_and_b32_e32 v22, 15, v22
	v_bfe_u32 v23, v14, 27, 4
	v_lshlrev_b32_sdwa v14, v25, v14 dst_sel:DWORD dst_unused:UNUSED_PAD src0_sel:DWORD src1_sel:BYTE_3
	v_sub_u32_e32 v24, 29, v24
	v_and_b32_e32 v14, 7, v14
	v_cmp_eq_u16_e32 vcc, 0, v22
	v_cndmask_b32_e32 v14, v20, v14, vcc
	v_cndmask_b32_e32 v20, v23, v24, vcc
	v_mov_b32_e32 v22, 0x3b800000
	v_lshlrev_b32_e32 v14, 20, v14
	v_lshl_add_u32 v20, v20, 23, v22
	v_or3_b32 v20, v21, v20, v14
.LBB18_284:
	s_or_b64 exec, exec, s[6:7]
	s_movk_i32 s4, 0x7f
	v_cmp_gt_i16_sdwa s[6:7], v10, s4 src0_sel:BYTE_3 src1_sel:DWORD
	s_mov_b64 s[4:5], 0
                                        ; implicit-def: $sgpr10
	s_and_saveexec_b64 s[8:9], s[6:7]
	s_xor_b64 s[6:7], exec, s[8:9]
	s_cbranch_execnz .LBB18_2333
; %bb.285:
	s_or_saveexec_b64 s[6:7], s[6:7]
	v_mov_b32_e32 v14, s10
	s_xor_b64 exec, exec, s[6:7]
	s_cbranch_execnz .LBB18_2336
.LBB18_286:
	s_or_b64 exec, exec, s[6:7]
	s_and_saveexec_b64 s[6:7], s[4:5]
	s_cbranch_execz .LBB18_288
.LBB18_287:
	v_bfe_u32 v14, v10, 24, 3
	v_ffbh_u32_e32 v24, v14
	v_min_u32_e32 v24, 32, v24
	v_lshrrev_b32_e32 v22, 27, v10
	v_subrev_u32_e32 v25, 28, v24
	v_and_b32_e32 v21, 0x80000000, v10
	v_and_b32_e32 v22, 15, v22
	v_bfe_u32 v23, v10, 27, 4
	v_lshlrev_b32_sdwa v10, v25, v10 dst_sel:DWORD dst_unused:UNUSED_PAD src0_sel:DWORD src1_sel:BYTE_3
	v_sub_u32_e32 v24, 29, v24
	v_and_b32_e32 v10, 7, v10
	v_cmp_eq_u16_e32 vcc, 0, v22
	v_cndmask_b32_e32 v10, v14, v10, vcc
	v_cndmask_b32_e32 v14, v23, v24, vcc
	v_mov_b32_e32 v22, 0x3b800000
	v_lshlrev_b32_e32 v10, 20, v10
	v_lshl_add_u32 v14, v14, 23, v22
	v_or3_b32 v14, v21, v14, v10
.LBB18_288:
	s_or_b64 exec, exec, s[6:7]
	s_nop 0
	v_mfma_f32_16x16x4f32 a[0:3], v20, v14, a[0:3]
	s_movk_i32 s4, 0x7f
	v_cmp_gt_i16_sdwa s[6:7], v15, s4 src0_sel:BYTE_0 src1_sel:DWORD
	s_mov_b64 s[4:5], 0
                                        ; implicit-def: $sgpr10
	s_and_saveexec_b64 s[8:9], s[6:7]
	s_xor_b64 s[6:7], exec, s[8:9]
	s_cbranch_execnz .LBB18_2337
; %bb.289:
	s_or_saveexec_b64 s[6:7], s[6:7]
	v_mov_b32_e32 v10, s10
	s_xor_b64 exec, exec, s[6:7]
	s_cbranch_execnz .LBB18_2340
.LBB18_290:
	s_or_b64 exec, exec, s[6:7]
	s_and_saveexec_b64 s[6:7], s[4:5]
	s_cbranch_execz .LBB18_292
.LBB18_291:
	v_and_b32_e32 v10, 7, v15
	v_ffbh_u32_e32 v20, v10
	v_min_u32_e32 v20, 32, v20
	v_lshrrev_b16_e32 v14, 3, v15
	v_subrev_u32_e32 v21, 28, v20
	v_and_b32_e32 v14, 15, v14
	v_lshlrev_b32_e32 v21, v21, v15
	v_sub_u32_e32 v20, 29, v20
	v_and_b32_e32 v21, 7, v21
	v_cmp_eq_u16_e32 vcc, 0, v14
	v_cndmask_b32_e32 v10, v10, v21, vcc
	v_cndmask_b32_e32 v14, v14, v20, vcc
	v_lshlrev_b32_e32 v20, 24, v15
	v_mov_b32_e32 v21, 0x3b800000
	v_lshlrev_b32_e32 v10, 20, v10
	v_and_b32_e32 v20, 0x80000000, v20
	v_lshl_add_u32 v14, v14, 23, v21
	v_or3_b32 v10, v20, v14, v10
.LBB18_292:
	s_or_b64 exec, exec, s[6:7]
	s_movk_i32 s4, 0x7f
	v_cmp_gt_i16_sdwa s[6:7], v11, s4 src0_sel:BYTE_0 src1_sel:DWORD
	s_mov_b64 s[4:5], 0
                                        ; implicit-def: $sgpr10
	s_and_saveexec_b64 s[8:9], s[6:7]
	s_xor_b64 s[6:7], exec, s[8:9]
	s_cbranch_execnz .LBB18_2341
; %bb.293:
	s_or_saveexec_b64 s[6:7], s[6:7]
	v_mov_b32_e32 v14, s10
	s_xor_b64 exec, exec, s[6:7]
	s_cbranch_execnz .LBB18_2344
.LBB18_294:
	s_or_b64 exec, exec, s[6:7]
	s_and_saveexec_b64 s[6:7], s[4:5]
	s_cbranch_execz .LBB18_296
.LBB18_295:
	v_and_b32_e32 v14, 7, v11
	v_ffbh_u32_e32 v21, v14
	v_min_u32_e32 v21, 32, v21
	v_lshrrev_b16_e32 v20, 3, v11
	v_subrev_u32_e32 v22, 28, v21
	v_and_b32_e32 v20, 15, v20
	v_lshlrev_b32_e32 v22, v22, v11
	v_sub_u32_e32 v21, 29, v21
	v_and_b32_e32 v22, 7, v22
	v_cmp_eq_u16_e32 vcc, 0, v20
	v_cndmask_b32_e32 v14, v14, v22, vcc
	v_cndmask_b32_e32 v20, v20, v21, vcc
	v_lshlrev_b32_e32 v21, 24, v11
	v_mov_b32_e32 v22, 0x3b800000
	v_lshlrev_b32_e32 v14, 20, v14
	v_and_b32_e32 v21, 0x80000000, v21
	v_lshl_add_u32 v20, v20, 23, v22
	v_or3_b32 v14, v21, v20, v14
.LBB18_296:
	s_or_b64 exec, exec, s[6:7]
	s_nop 0
	v_mfma_f32_16x16x4f32 a[0:3], v10, v14, a[0:3]
	v_lshrrev_b32_e32 v14, 8, v15
	s_movk_i32 s4, 0x7f
	v_cmp_gt_i16_sdwa s[6:7], v14, s4 src0_sel:BYTE_0 src1_sel:DWORD
	s_mov_b64 s[4:5], 0
                                        ; implicit-def: $sgpr10
	s_and_saveexec_b64 s[8:9], s[6:7]
	s_xor_b64 s[6:7], exec, s[8:9]
	s_cbranch_execnz .LBB18_2345
; %bb.297:
	s_or_saveexec_b64 s[6:7], s[6:7]
	v_mov_b32_e32 v10, s10
	s_xor_b64 exec, exec, s[6:7]
	s_cbranch_execnz .LBB18_2348
.LBB18_298:
	s_or_b64 exec, exec, s[6:7]
	s_and_saveexec_b64 s[6:7], s[4:5]
	s_cbranch_execz .LBB18_300
.LBB18_299:
	v_bfe_u32 v10, v15, 8, 3
	v_ffbh_u32_e32 v21, v10
	v_min_u32_e32 v21, 32, v21
	v_lshrrev_b16_e32 v20, 3, v14
	v_subrev_u32_e32 v22, 28, v21
	v_and_b32_e32 v20, 15, v20
	v_lshlrev_b32_e32 v14, v22, v14
	v_sub_u32_e32 v21, 29, v21
	v_and_b32_e32 v14, 7, v14
	v_cmp_eq_u16_e32 vcc, 0, v20
	v_cndmask_b32_e32 v10, v10, v14, vcc
	v_cndmask_b32_e32 v14, v20, v21, vcc
	v_lshlrev_b32_e32 v20, 16, v15
	v_mov_b32_e32 v21, 0x3b800000
	v_lshlrev_b32_e32 v10, 20, v10
	v_and_b32_e32 v20, 0x80000000, v20
	v_lshl_add_u32 v14, v14, 23, v21
	v_or3_b32 v10, v20, v14, v10
.LBB18_300:
	s_or_b64 exec, exec, s[6:7]
	v_lshrrev_b32_e32 v14, 8, v11
	s_movk_i32 s4, 0x7f
	v_cmp_gt_i16_sdwa s[6:7], v14, s4 src0_sel:BYTE_0 src1_sel:DWORD
	s_mov_b64 s[4:5], 0
                                        ; implicit-def: $sgpr10
	s_and_saveexec_b64 s[8:9], s[6:7]
	s_xor_b64 s[6:7], exec, s[8:9]
	s_cbranch_execnz .LBB18_2349
; %bb.301:
	s_or_saveexec_b64 s[6:7], s[6:7]
	v_mov_b32_e32 v20, s10
	s_xor_b64 exec, exec, s[6:7]
	s_cbranch_execnz .LBB18_2352
.LBB18_302:
	s_or_b64 exec, exec, s[6:7]
	s_and_saveexec_b64 s[6:7], s[4:5]
	s_cbranch_execz .LBB18_304
.LBB18_303:
	v_bfe_u32 v20, v11, 8, 3
	v_ffbh_u32_e32 v22, v20
	v_min_u32_e32 v22, 32, v22
	v_lshrrev_b16_e32 v21, 3, v14
	v_subrev_u32_e32 v23, 28, v22
	v_and_b32_e32 v21, 15, v21
	v_lshlrev_b32_e32 v14, v23, v14
	v_sub_u32_e32 v22, 29, v22
	v_and_b32_e32 v14, 7, v14
	v_cmp_eq_u16_e32 vcc, 0, v21
	v_cndmask_b32_e32 v14, v20, v14, vcc
	v_cndmask_b32_e32 v20, v21, v22, vcc
	v_lshlrev_b32_e32 v21, 16, v11
	v_mov_b32_e32 v22, 0x3b800000
	v_lshlrev_b32_e32 v14, 20, v14
	v_and_b32_e32 v21, 0x80000000, v21
	v_lshl_add_u32 v20, v20, 23, v22
	v_or3_b32 v20, v21, v20, v14
.LBB18_304:
	s_or_b64 exec, exec, s[6:7]
	s_nop 0
	v_mfma_f32_16x16x4f32 a[0:3], v10, v20, a[0:3]
	s_movk_i32 s4, 0xff
	v_and_b32_sdwa v14, v15, s4 dst_sel:DWORD dst_unused:UNUSED_PAD src0_sel:WORD_1 src1_sel:DWORD
	s_movk_i32 s4, 0x7f
	v_cmp_lt_i16_e32 vcc, s4, v14
	s_mov_b64 s[4:5], 0
                                        ; implicit-def: $sgpr10
	s_and_saveexec_b64 s[6:7], vcc
	s_xor_b64 s[6:7], exec, s[6:7]
	s_cbranch_execnz .LBB18_2353
; %bb.305:
	s_or_saveexec_b64 s[6:7], s[6:7]
	v_mov_b32_e32 v10, s10
	s_xor_b64 exec, exec, s[6:7]
	s_cbranch_execnz .LBB18_2356
.LBB18_306:
	s_or_b64 exec, exec, s[6:7]
	s_and_saveexec_b64 s[6:7], s[4:5]
	s_cbranch_execz .LBB18_308
.LBB18_307:
	v_bfe_u32 v10, v15, 16, 3
	v_ffbh_u32_e32 v21, v10
	v_min_u32_e32 v21, 32, v21
	v_lshrrev_b32_e32 v14, 19, v15
	v_subrev_u32_e32 v22, 28, v21
	v_and_b32_e32 v14, 15, v14
	v_lshlrev_b32_sdwa v22, v22, v15 dst_sel:DWORD dst_unused:UNUSED_PAD src0_sel:DWORD src1_sel:WORD_1
	v_bfe_u32 v20, v15, 19, 4
	v_sub_u32_e32 v21, 29, v21
	v_and_b32_e32 v22, 7, v22
	v_cmp_eq_u16_e32 vcc, 0, v14
	v_cndmask_b32_e32 v10, v10, v22, vcc
	v_cndmask_b32_e32 v14, v20, v21, vcc
	v_lshlrev_b32_e32 v20, 8, v15
	v_mov_b32_e32 v21, 0x3b800000
	v_lshlrev_b32_e32 v10, 20, v10
	v_and_b32_e32 v20, 0x80000000, v20
	v_lshl_add_u32 v14, v14, 23, v21
	v_or3_b32 v10, v20, v14, v10
.LBB18_308:
	s_or_b64 exec, exec, s[6:7]
	s_movk_i32 s4, 0xff
	v_and_b32_sdwa v14, v11, s4 dst_sel:DWORD dst_unused:UNUSED_PAD src0_sel:WORD_1 src1_sel:DWORD
	s_movk_i32 s4, 0x7f
	v_cmp_lt_i16_e32 vcc, s4, v14
	s_mov_b64 s[4:5], 0
                                        ; implicit-def: $sgpr10
	s_and_saveexec_b64 s[6:7], vcc
	s_xor_b64 s[6:7], exec, s[6:7]
	s_cbranch_execnz .LBB18_2357
; %bb.309:
	s_or_saveexec_b64 s[6:7], s[6:7]
	v_mov_b32_e32 v20, s10
	s_xor_b64 exec, exec, s[6:7]
	s_cbranch_execnz .LBB18_2360
.LBB18_310:
	s_or_b64 exec, exec, s[6:7]
	s_and_saveexec_b64 s[6:7], s[4:5]
	s_cbranch_execz .LBB18_312
.LBB18_311:
	v_bfe_u32 v14, v11, 16, 3
	v_ffbh_u32_e32 v22, v14
	v_min_u32_e32 v22, 32, v22
	v_lshrrev_b32_e32 v20, 19, v11
	v_subrev_u32_e32 v23, 28, v22
	v_and_b32_e32 v20, 15, v20
	v_lshlrev_b32_sdwa v23, v23, v11 dst_sel:DWORD dst_unused:UNUSED_PAD src0_sel:DWORD src1_sel:WORD_1
	v_bfe_u32 v21, v11, 19, 4
	v_sub_u32_e32 v22, 29, v22
	v_and_b32_e32 v23, 7, v23
	v_cmp_eq_u16_e32 vcc, 0, v20
	v_cndmask_b32_e32 v14, v14, v23, vcc
	v_cndmask_b32_e32 v20, v21, v22, vcc
	v_lshlrev_b32_e32 v21, 8, v11
	v_mov_b32_e32 v22, 0x3b800000
	v_lshlrev_b32_e32 v14, 20, v14
	v_and_b32_e32 v21, 0x80000000, v21
	v_lshl_add_u32 v20, v20, 23, v22
	v_or3_b32 v20, v21, v20, v14
.LBB18_312:
	s_or_b64 exec, exec, s[6:7]
	s_nop 0
	v_mfma_f32_16x16x4f32 a[0:3], v10, v20, a[0:3]
	s_movk_i32 s4, 0x7f
	v_cmp_gt_i16_sdwa s[6:7], v15, s4 src0_sel:BYTE_3 src1_sel:DWORD
	s_mov_b64 s[4:5], 0
                                        ; implicit-def: $sgpr10
	s_and_saveexec_b64 s[8:9], s[6:7]
	s_xor_b64 s[6:7], exec, s[8:9]
	s_cbranch_execnz .LBB18_2361
; %bb.313:
	s_or_saveexec_b64 s[6:7], s[6:7]
	v_mov_b32_e32 v10, s10
	s_xor_b64 exec, exec, s[6:7]
	s_cbranch_execnz .LBB18_2364
.LBB18_314:
	s_or_b64 exec, exec, s[6:7]
	s_and_saveexec_b64 s[6:7], s[4:5]
	s_cbranch_execz .LBB18_316
.LBB18_315:
	v_bfe_u32 v10, v15, 24, 3
	v_ffbh_u32_e32 v22, v10
	v_min_u32_e32 v22, 32, v22
	v_lshrrev_b32_e32 v20, 27, v15
	v_subrev_u32_e32 v23, 28, v22
	v_and_b32_e32 v14, 0x80000000, v15
	v_and_b32_e32 v20, 15, v20
	v_bfe_u32 v21, v15, 27, 4
	v_lshlrev_b32_sdwa v15, v23, v15 dst_sel:DWORD dst_unused:UNUSED_PAD src0_sel:DWORD src1_sel:BYTE_3
	v_sub_u32_e32 v22, 29, v22
	v_and_b32_e32 v15, 7, v15
	v_cmp_eq_u16_e32 vcc, 0, v20
	v_cndmask_b32_e32 v10, v10, v15, vcc
	v_cndmask_b32_e32 v15, v21, v22, vcc
	v_mov_b32_e32 v20, 0x3b800000
	v_lshlrev_b32_e32 v10, 20, v10
	v_lshl_add_u32 v15, v15, 23, v20
	v_or3_b32 v10, v14, v15, v10
.LBB18_316:
	s_or_b64 exec, exec, s[6:7]
	s_movk_i32 s4, 0x7f
	v_cmp_gt_i16_sdwa s[6:7], v11, s4 src0_sel:BYTE_3 src1_sel:DWORD
	s_mov_b64 s[4:5], 0
                                        ; implicit-def: $sgpr10
	s_and_saveexec_b64 s[8:9], s[6:7]
	s_xor_b64 s[6:7], exec, s[8:9]
	s_cbranch_execnz .LBB18_2365
; %bb.317:
	s_or_saveexec_b64 s[6:7], s[6:7]
	v_mov_b32_e32 v14, s10
	s_xor_b64 exec, exec, s[6:7]
	s_cbranch_execnz .LBB18_2368
.LBB18_318:
	s_or_b64 exec, exec, s[6:7]
	s_and_saveexec_b64 s[6:7], s[4:5]
	s_cbranch_execz .LBB18_320
.LBB18_319:
	v_bfe_u32 v14, v11, 24, 3
	v_ffbh_u32_e32 v22, v14
	v_min_u32_e32 v22, 32, v22
	v_lshrrev_b32_e32 v20, 27, v11
	v_subrev_u32_e32 v23, 28, v22
	v_and_b32_e32 v15, 0x80000000, v11
	v_and_b32_e32 v20, 15, v20
	v_bfe_u32 v21, v11, 27, 4
	v_lshlrev_b32_sdwa v11, v23, v11 dst_sel:DWORD dst_unused:UNUSED_PAD src0_sel:DWORD src1_sel:BYTE_3
	v_sub_u32_e32 v22, 29, v22
	v_and_b32_e32 v11, 7, v11
	v_cmp_eq_u16_e32 vcc, 0, v20
	v_cndmask_b32_e32 v11, v14, v11, vcc
	v_cndmask_b32_e32 v14, v21, v22, vcc
	v_mov_b32_e32 v20, 0x3b800000
	v_lshlrev_b32_e32 v11, 20, v11
	v_lshl_add_u32 v14, v14, 23, v20
	v_or3_b32 v14, v15, v14, v11
.LBB18_320:
	s_or_b64 exec, exec, s[6:7]
	s_nop 0
	v_mfma_f32_16x16x4f32 a[0:3], v10, v14, a[0:3]
	s_movk_i32 s4, 0x7f
	v_cmp_gt_i16_sdwa s[6:7], v16, s4 src0_sel:BYTE_0 src1_sel:DWORD
	s_mov_b64 s[4:5], 0
                                        ; implicit-def: $sgpr10
	s_and_saveexec_b64 s[8:9], s[6:7]
	s_xor_b64 s[6:7], exec, s[8:9]
	s_cbranch_execnz .LBB18_2369
; %bb.321:
	s_or_saveexec_b64 s[6:7], s[6:7]
	v_mov_b32_e32 v10, s10
	s_xor_b64 exec, exec, s[6:7]
	s_cbranch_execnz .LBB18_2372
.LBB18_322:
	s_or_b64 exec, exec, s[6:7]
	s_and_saveexec_b64 s[6:7], s[4:5]
	s_cbranch_execz .LBB18_324
.LBB18_323:
	v_and_b32_e32 v10, 7, v16
	v_ffbh_u32_e32 v14, v10
	v_min_u32_e32 v14, 32, v14
	v_lshrrev_b16_e32 v11, 3, v16
	v_subrev_u32_e32 v15, 28, v14
	v_and_b32_e32 v11, 15, v11
	v_lshlrev_b32_e32 v15, v15, v16
	v_sub_u32_e32 v14, 29, v14
	v_and_b32_e32 v15, 7, v15
	v_cmp_eq_u16_e32 vcc, 0, v11
	v_cndmask_b32_e32 v10, v10, v15, vcc
	v_cndmask_b32_e32 v11, v11, v14, vcc
	v_lshlrev_b32_e32 v14, 24, v16
	v_mov_b32_e32 v15, 0x3b800000
	v_lshlrev_b32_e32 v10, 20, v10
	v_and_b32_e32 v14, 0x80000000, v14
	v_lshl_add_u32 v11, v11, 23, v15
	v_or3_b32 v10, v14, v11, v10
.LBB18_324:
	s_or_b64 exec, exec, s[6:7]
	s_movk_i32 s4, 0x7f
	v_cmp_gt_i16_sdwa s[6:7], v12, s4 src0_sel:BYTE_0 src1_sel:DWORD
	s_mov_b64 s[4:5], 0
                                        ; implicit-def: $sgpr10
	s_and_saveexec_b64 s[8:9], s[6:7]
	s_xor_b64 s[6:7], exec, s[8:9]
	s_cbranch_execnz .LBB18_2373
; %bb.325:
	s_or_saveexec_b64 s[6:7], s[6:7]
	v_mov_b32_e32 v11, s10
	s_xor_b64 exec, exec, s[6:7]
	s_cbranch_execnz .LBB18_2376
.LBB18_326:
	s_or_b64 exec, exec, s[6:7]
	s_and_saveexec_b64 s[6:7], s[4:5]
	s_cbranch_execz .LBB18_328
.LBB18_327:
	v_and_b32_e32 v11, 7, v12
	v_ffbh_u32_e32 v15, v11
	v_min_u32_e32 v15, 32, v15
	v_lshrrev_b16_e32 v14, 3, v12
	v_subrev_u32_e32 v20, 28, v15
	v_and_b32_e32 v14, 15, v14
	v_lshlrev_b32_e32 v20, v20, v12
	v_sub_u32_e32 v15, 29, v15
	v_and_b32_e32 v20, 7, v20
	v_cmp_eq_u16_e32 vcc, 0, v14
	v_cndmask_b32_e32 v11, v11, v20, vcc
	v_cndmask_b32_e32 v14, v14, v15, vcc
	v_lshlrev_b32_e32 v15, 24, v12
	v_mov_b32_e32 v20, 0x3b800000
	v_lshlrev_b32_e32 v11, 20, v11
	v_and_b32_e32 v15, 0x80000000, v15
	v_lshl_add_u32 v14, v14, 23, v20
	v_or3_b32 v11, v15, v14, v11
.LBB18_328:
	s_or_b64 exec, exec, s[6:7]
	s_nop 0
	v_mfma_f32_16x16x4f32 a[0:3], v10, v11, a[0:3]
	v_lshrrev_b32_e32 v11, 8, v16
	s_movk_i32 s4, 0x7f
	v_cmp_gt_i16_sdwa s[6:7], v11, s4 src0_sel:BYTE_0 src1_sel:DWORD
	s_mov_b64 s[4:5], 0
                                        ; implicit-def: $sgpr10
	s_and_saveexec_b64 s[8:9], s[6:7]
	s_xor_b64 s[6:7], exec, s[8:9]
	s_cbranch_execnz .LBB18_2377
; %bb.329:
	s_or_saveexec_b64 s[6:7], s[6:7]
	v_mov_b32_e32 v10, s10
	s_xor_b64 exec, exec, s[6:7]
	s_cbranch_execnz .LBB18_2380
.LBB18_330:
	s_or_b64 exec, exec, s[6:7]
	s_and_saveexec_b64 s[6:7], s[4:5]
	s_cbranch_execz .LBB18_332
.LBB18_331:
	v_bfe_u32 v10, v16, 8, 3
	v_ffbh_u32_e32 v15, v10
	v_min_u32_e32 v15, 32, v15
	v_lshrrev_b16_e32 v14, 3, v11
	v_subrev_u32_e32 v20, 28, v15
	v_and_b32_e32 v14, 15, v14
	v_lshlrev_b32_e32 v11, v20, v11
	v_sub_u32_e32 v15, 29, v15
	v_and_b32_e32 v11, 7, v11
	v_cmp_eq_u16_e32 vcc, 0, v14
	v_cndmask_b32_e32 v10, v10, v11, vcc
	v_cndmask_b32_e32 v11, v14, v15, vcc
	v_lshlrev_b32_e32 v14, 16, v16
	v_mov_b32_e32 v15, 0x3b800000
	v_lshlrev_b32_e32 v10, 20, v10
	v_and_b32_e32 v14, 0x80000000, v14
	v_lshl_add_u32 v11, v11, 23, v15
	v_or3_b32 v10, v14, v11, v10
.LBB18_332:
	s_or_b64 exec, exec, s[6:7]
	v_lshrrev_b32_e32 v11, 8, v12
	s_movk_i32 s4, 0x7f
	v_cmp_gt_i16_sdwa s[6:7], v11, s4 src0_sel:BYTE_0 src1_sel:DWORD
	s_mov_b64 s[4:5], 0
                                        ; implicit-def: $sgpr10
	s_and_saveexec_b64 s[8:9], s[6:7]
	s_xor_b64 s[6:7], exec, s[8:9]
	s_cbranch_execnz .LBB18_2381
; %bb.333:
	s_or_saveexec_b64 s[6:7], s[6:7]
	v_mov_b32_e32 v14, s10
	s_xor_b64 exec, exec, s[6:7]
	s_cbranch_execnz .LBB18_2384
.LBB18_334:
	s_or_b64 exec, exec, s[6:7]
	s_and_saveexec_b64 s[6:7], s[4:5]
	s_cbranch_execz .LBB18_336
.LBB18_335:
	v_bfe_u32 v14, v12, 8, 3
	v_ffbh_u32_e32 v20, v14
	v_min_u32_e32 v20, 32, v20
	v_lshrrev_b16_e32 v15, 3, v11
	v_subrev_u32_e32 v21, 28, v20
	v_and_b32_e32 v15, 15, v15
	v_lshlrev_b32_e32 v11, v21, v11
	v_sub_u32_e32 v20, 29, v20
	v_and_b32_e32 v11, 7, v11
	v_cmp_eq_u16_e32 vcc, 0, v15
	v_cndmask_b32_e32 v11, v14, v11, vcc
	v_cndmask_b32_e32 v14, v15, v20, vcc
	v_lshlrev_b32_e32 v15, 16, v12
	v_mov_b32_e32 v20, 0x3b800000
	v_lshlrev_b32_e32 v11, 20, v11
	v_and_b32_e32 v15, 0x80000000, v15
	v_lshl_add_u32 v14, v14, 23, v20
	v_or3_b32 v14, v15, v14, v11
.LBB18_336:
	s_or_b64 exec, exec, s[6:7]
	s_nop 0
	v_mfma_f32_16x16x4f32 a[0:3], v10, v14, a[0:3]
	s_movk_i32 s4, 0xff
	v_and_b32_sdwa v11, v16, s4 dst_sel:DWORD dst_unused:UNUSED_PAD src0_sel:WORD_1 src1_sel:DWORD
	s_movk_i32 s4, 0x7f
	v_cmp_lt_i16_e32 vcc, s4, v11
	s_mov_b64 s[4:5], 0
                                        ; implicit-def: $sgpr10
	s_and_saveexec_b64 s[6:7], vcc
	s_xor_b64 s[6:7], exec, s[6:7]
	s_cbranch_execnz .LBB18_2385
; %bb.337:
	s_or_saveexec_b64 s[6:7], s[6:7]
	v_mov_b32_e32 v10, s10
	s_xor_b64 exec, exec, s[6:7]
	s_cbranch_execnz .LBB18_2388
.LBB18_338:
	s_or_b64 exec, exec, s[6:7]
	s_and_saveexec_b64 s[6:7], s[4:5]
	s_cbranch_execz .LBB18_340
.LBB18_339:
	v_bfe_u32 v10, v16, 16, 3
	v_ffbh_u32_e32 v15, v10
	v_min_u32_e32 v15, 32, v15
	v_lshrrev_b32_e32 v11, 19, v16
	v_subrev_u32_e32 v20, 28, v15
	v_and_b32_e32 v11, 15, v11
	v_lshlrev_b32_sdwa v20, v20, v16 dst_sel:DWORD dst_unused:UNUSED_PAD src0_sel:DWORD src1_sel:WORD_1
	v_bfe_u32 v14, v16, 19, 4
	v_sub_u32_e32 v15, 29, v15
	v_and_b32_e32 v20, 7, v20
	v_cmp_eq_u16_e32 vcc, 0, v11
	v_cndmask_b32_e32 v10, v10, v20, vcc
	v_cndmask_b32_e32 v11, v14, v15, vcc
	v_lshlrev_b32_e32 v14, 8, v16
	v_mov_b32_e32 v15, 0x3b800000
	v_lshlrev_b32_e32 v10, 20, v10
	v_and_b32_e32 v14, 0x80000000, v14
	v_lshl_add_u32 v11, v11, 23, v15
	v_or3_b32 v10, v14, v11, v10
.LBB18_340:
	s_or_b64 exec, exec, s[6:7]
	s_movk_i32 s4, 0xff
	v_and_b32_sdwa v11, v12, s4 dst_sel:DWORD dst_unused:UNUSED_PAD src0_sel:WORD_1 src1_sel:DWORD
	s_movk_i32 s4, 0x7f
	v_cmp_lt_i16_e32 vcc, s4, v11
	s_mov_b64 s[4:5], 0
                                        ; implicit-def: $sgpr10
	s_and_saveexec_b64 s[6:7], vcc
	s_xor_b64 s[6:7], exec, s[6:7]
	s_cbranch_execnz .LBB18_2389
; %bb.341:
	s_or_saveexec_b64 s[6:7], s[6:7]
	v_mov_b32_e32 v14, s10
	s_xor_b64 exec, exec, s[6:7]
	s_cbranch_execnz .LBB18_2392
.LBB18_342:
	s_or_b64 exec, exec, s[6:7]
	s_and_saveexec_b64 s[6:7], s[4:5]
	s_cbranch_execz .LBB18_344
.LBB18_343:
	v_bfe_u32 v11, v12, 16, 3
	v_ffbh_u32_e32 v20, v11
	v_min_u32_e32 v20, 32, v20
	v_lshrrev_b32_e32 v14, 19, v12
	v_subrev_u32_e32 v21, 28, v20
	v_and_b32_e32 v14, 15, v14
	v_lshlrev_b32_sdwa v21, v21, v12 dst_sel:DWORD dst_unused:UNUSED_PAD src0_sel:DWORD src1_sel:WORD_1
	v_bfe_u32 v15, v12, 19, 4
	v_sub_u32_e32 v20, 29, v20
	v_and_b32_e32 v21, 7, v21
	v_cmp_eq_u16_e32 vcc, 0, v14
	v_cndmask_b32_e32 v11, v11, v21, vcc
	v_cndmask_b32_e32 v14, v15, v20, vcc
	v_lshlrev_b32_e32 v15, 8, v12
	v_mov_b32_e32 v20, 0x3b800000
	v_lshlrev_b32_e32 v11, 20, v11
	v_and_b32_e32 v15, 0x80000000, v15
	v_lshl_add_u32 v14, v14, 23, v20
	v_or3_b32 v14, v15, v14, v11
.LBB18_344:
	s_or_b64 exec, exec, s[6:7]
	s_nop 0
	v_mfma_f32_16x16x4f32 a[0:3], v10, v14, a[0:3]
	s_movk_i32 s4, 0x7f
	v_cmp_gt_i16_sdwa s[6:7], v16, s4 src0_sel:BYTE_3 src1_sel:DWORD
	s_mov_b64 s[4:5], 0
                                        ; implicit-def: $sgpr10
	s_and_saveexec_b64 s[8:9], s[6:7]
	s_xor_b64 s[6:7], exec, s[8:9]
	s_cbranch_execnz .LBB18_2393
; %bb.345:
	s_or_saveexec_b64 s[6:7], s[6:7]
	v_mov_b32_e32 v10, s10
	s_xor_b64 exec, exec, s[6:7]
	s_cbranch_execnz .LBB18_2396
.LBB18_346:
	s_or_b64 exec, exec, s[6:7]
	s_and_saveexec_b64 s[6:7], s[4:5]
	s_cbranch_execz .LBB18_348
.LBB18_347:
	v_bfe_u32 v10, v16, 24, 3
	v_ffbh_u32_e32 v20, v10
	v_min_u32_e32 v20, 32, v20
	v_lshrrev_b32_e32 v14, 27, v16
	v_subrev_u32_e32 v21, 28, v20
	v_and_b32_e32 v11, 0x80000000, v16
	v_and_b32_e32 v14, 15, v14
	v_bfe_u32 v15, v16, 27, 4
	v_lshlrev_b32_sdwa v16, v21, v16 dst_sel:DWORD dst_unused:UNUSED_PAD src0_sel:DWORD src1_sel:BYTE_3
	v_sub_u32_e32 v20, 29, v20
	v_and_b32_e32 v16, 7, v16
	v_cmp_eq_u16_e32 vcc, 0, v14
	v_cndmask_b32_e32 v10, v10, v16, vcc
	v_cndmask_b32_e32 v14, v15, v20, vcc
	v_mov_b32_e32 v15, 0x3b800000
	v_lshlrev_b32_e32 v10, 20, v10
	v_lshl_add_u32 v14, v14, 23, v15
	v_or3_b32 v10, v11, v14, v10
.LBB18_348:
	s_or_b64 exec, exec, s[6:7]
	s_movk_i32 s4, 0x7f
	v_cmp_gt_i16_sdwa s[6:7], v12, s4 src0_sel:BYTE_3 src1_sel:DWORD
	s_mov_b64 s[4:5], 0
                                        ; implicit-def: $sgpr10
	s_and_saveexec_b64 s[8:9], s[6:7]
	s_xor_b64 s[6:7], exec, s[8:9]
	s_cbranch_execnz .LBB18_2397
; %bb.349:
	s_or_saveexec_b64 s[6:7], s[6:7]
	v_mov_b32_e32 v11, s10
	s_xor_b64 exec, exec, s[6:7]
	s_cbranch_execnz .LBB18_2400
.LBB18_350:
	s_or_b64 exec, exec, s[6:7]
	s_and_saveexec_b64 s[6:7], s[4:5]
	s_cbranch_execz .LBB18_352
.LBB18_351:
	v_bfe_u32 v11, v12, 24, 3
	v_ffbh_u32_e32 v20, v11
	v_min_u32_e32 v20, 32, v20
	v_lshrrev_b32_e32 v15, 27, v12
	v_subrev_u32_e32 v21, 28, v20
	v_and_b32_e32 v14, 0x80000000, v12
	v_and_b32_e32 v15, 15, v15
	v_bfe_u32 v16, v12, 27, 4
	v_lshlrev_b32_sdwa v12, v21, v12 dst_sel:DWORD dst_unused:UNUSED_PAD src0_sel:DWORD src1_sel:BYTE_3
	v_sub_u32_e32 v20, 29, v20
	v_and_b32_e32 v12, 7, v12
	v_cmp_eq_u16_e32 vcc, 0, v15
	v_cndmask_b32_e32 v11, v11, v12, vcc
	v_cndmask_b32_e32 v12, v16, v20, vcc
	v_mov_b32_e32 v15, 0x3b800000
	v_lshlrev_b32_e32 v11, 20, v11
	v_lshl_add_u32 v12, v12, 23, v15
	v_or3_b32 v11, v14, v12, v11
.LBB18_352:
	s_or_b64 exec, exec, s[6:7]
	s_nop 0
	v_mfma_f32_16x16x4f32 a[0:3], v10, v11, a[0:3]
	s_movk_i32 s4, 0x7f
	v_cmp_gt_i16_sdwa s[6:7], v17, s4 src0_sel:BYTE_0 src1_sel:DWORD
	s_mov_b64 s[4:5], 0
                                        ; implicit-def: $sgpr10
	s_and_saveexec_b64 s[8:9], s[6:7]
	s_xor_b64 s[6:7], exec, s[8:9]
	s_cbranch_execnz .LBB18_2401
; %bb.353:
	s_or_saveexec_b64 s[6:7], s[6:7]
	v_mov_b32_e32 v10, s10
	s_xor_b64 exec, exec, s[6:7]
	s_cbranch_execnz .LBB18_2404
.LBB18_354:
	s_or_b64 exec, exec, s[6:7]
	s_and_saveexec_b64 s[6:7], s[4:5]
	s_cbranch_execz .LBB18_356
.LBB18_355:
	v_and_b32_e32 v10, 7, v17
	v_ffbh_u32_e32 v12, v10
	v_min_u32_e32 v12, 32, v12
	v_lshrrev_b16_e32 v11, 3, v17
	v_subrev_u32_e32 v14, 28, v12
	v_and_b32_e32 v11, 15, v11
	v_lshlrev_b32_e32 v14, v14, v17
	v_sub_u32_e32 v12, 29, v12
	v_and_b32_e32 v14, 7, v14
	v_cmp_eq_u16_e32 vcc, 0, v11
	v_cndmask_b32_e32 v10, v10, v14, vcc
	v_cndmask_b32_e32 v11, v11, v12, vcc
	v_lshlrev_b32_e32 v12, 24, v17
	v_mov_b32_e32 v14, 0x3b800000
	v_lshlrev_b32_e32 v10, 20, v10
	v_and_b32_e32 v12, 0x80000000, v12
	v_lshl_add_u32 v11, v11, 23, v14
	v_or3_b32 v10, v12, v11, v10
.LBB18_356:
	s_or_b64 exec, exec, s[6:7]
	s_movk_i32 s4, 0x7f
	v_cmp_gt_i16_sdwa s[6:7], v13, s4 src0_sel:BYTE_0 src1_sel:DWORD
	s_mov_b64 s[4:5], 0
                                        ; implicit-def: $sgpr10
	s_and_saveexec_b64 s[8:9], s[6:7]
	s_xor_b64 s[6:7], exec, s[8:9]
	s_cbranch_execnz .LBB18_2405
; %bb.357:
	s_or_saveexec_b64 s[6:7], s[6:7]
	v_mov_b32_e32 v11, s10
	s_xor_b64 exec, exec, s[6:7]
	s_cbranch_execnz .LBB18_2408
.LBB18_358:
	s_or_b64 exec, exec, s[6:7]
	s_and_saveexec_b64 s[6:7], s[4:5]
	s_cbranch_execz .LBB18_360
.LBB18_359:
	v_and_b32_e32 v11, 7, v13
	v_ffbh_u32_e32 v14, v11
	v_min_u32_e32 v14, 32, v14
	v_lshrrev_b16_e32 v12, 3, v13
	v_subrev_u32_e32 v15, 28, v14
	v_and_b32_e32 v12, 15, v12
	v_lshlrev_b32_e32 v15, v15, v13
	v_sub_u32_e32 v14, 29, v14
	v_and_b32_e32 v15, 7, v15
	v_cmp_eq_u16_e32 vcc, 0, v12
	v_cndmask_b32_e32 v11, v11, v15, vcc
	v_cndmask_b32_e32 v12, v12, v14, vcc
	v_lshlrev_b32_e32 v14, 24, v13
	v_mov_b32_e32 v15, 0x3b800000
	v_lshlrev_b32_e32 v11, 20, v11
	v_and_b32_e32 v14, 0x80000000, v14
	v_lshl_add_u32 v12, v12, 23, v15
	v_or3_b32 v11, v14, v12, v11
.LBB18_360:
	s_or_b64 exec, exec, s[6:7]
	s_nop 0
	v_mfma_f32_16x16x4f32 a[0:3], v10, v11, a[0:3]
	v_lshrrev_b32_e32 v11, 8, v17
	s_movk_i32 s4, 0x7f
	v_cmp_gt_i16_sdwa s[6:7], v11, s4 src0_sel:BYTE_0 src1_sel:DWORD
	s_mov_b64 s[4:5], 0
                                        ; implicit-def: $sgpr10
	s_and_saveexec_b64 s[8:9], s[6:7]
	s_xor_b64 s[6:7], exec, s[8:9]
	s_cbranch_execnz .LBB18_2409
; %bb.361:
	s_or_saveexec_b64 s[6:7], s[6:7]
	v_mov_b32_e32 v10, s10
	s_xor_b64 exec, exec, s[6:7]
	s_cbranch_execnz .LBB18_2412
.LBB18_362:
	s_or_b64 exec, exec, s[6:7]
	s_and_saveexec_b64 s[6:7], s[4:5]
	s_cbranch_execz .LBB18_364
.LBB18_363:
	v_bfe_u32 v10, v17, 8, 3
	v_ffbh_u32_e32 v14, v10
	v_min_u32_e32 v14, 32, v14
	v_lshrrev_b16_e32 v12, 3, v11
	v_subrev_u32_e32 v15, 28, v14
	v_and_b32_e32 v12, 15, v12
	v_lshlrev_b32_e32 v11, v15, v11
	v_sub_u32_e32 v14, 29, v14
	v_and_b32_e32 v11, 7, v11
	v_cmp_eq_u16_e32 vcc, 0, v12
	v_cndmask_b32_e32 v10, v10, v11, vcc
	v_cndmask_b32_e32 v11, v12, v14, vcc
	v_lshlrev_b32_e32 v12, 16, v17
	v_mov_b32_e32 v14, 0x3b800000
	v_lshlrev_b32_e32 v10, 20, v10
	v_and_b32_e32 v12, 0x80000000, v12
	v_lshl_add_u32 v11, v11, 23, v14
	v_or3_b32 v10, v12, v11, v10
.LBB18_364:
	s_or_b64 exec, exec, s[6:7]
	v_lshrrev_b32_e32 v11, 8, v13
	s_movk_i32 s4, 0x7f
	v_cmp_gt_i16_sdwa s[6:7], v11, s4 src0_sel:BYTE_0 src1_sel:DWORD
	s_mov_b64 s[4:5], 0
                                        ; implicit-def: $sgpr10
	s_and_saveexec_b64 s[8:9], s[6:7]
	s_xor_b64 s[6:7], exec, s[8:9]
	s_cbranch_execnz .LBB18_2413
; %bb.365:
	s_or_saveexec_b64 s[6:7], s[6:7]
	v_mov_b32_e32 v12, s10
	s_xor_b64 exec, exec, s[6:7]
	s_cbranch_execnz .LBB18_2416
.LBB18_366:
	s_or_b64 exec, exec, s[6:7]
	s_and_saveexec_b64 s[6:7], s[4:5]
	s_cbranch_execz .LBB18_368
.LBB18_367:
	v_bfe_u32 v12, v13, 8, 3
	v_ffbh_u32_e32 v15, v12
	v_min_u32_e32 v15, 32, v15
	v_lshrrev_b16_e32 v14, 3, v11
	v_subrev_u32_e32 v16, 28, v15
	v_and_b32_e32 v14, 15, v14
	v_lshlrev_b32_e32 v11, v16, v11
	v_sub_u32_e32 v15, 29, v15
	v_and_b32_e32 v11, 7, v11
	v_cmp_eq_u16_e32 vcc, 0, v14
	v_cndmask_b32_e32 v11, v12, v11, vcc
	v_cndmask_b32_e32 v12, v14, v15, vcc
	v_lshlrev_b32_e32 v14, 16, v13
	v_mov_b32_e32 v15, 0x3b800000
	v_lshlrev_b32_e32 v11, 20, v11
	v_and_b32_e32 v14, 0x80000000, v14
	v_lshl_add_u32 v12, v12, 23, v15
	v_or3_b32 v12, v14, v12, v11
.LBB18_368:
	s_or_b64 exec, exec, s[6:7]
	s_nop 0
	v_mfma_f32_16x16x4f32 a[0:3], v10, v12, a[0:3]
	s_movk_i32 s4, 0xff
	v_and_b32_sdwa v11, v17, s4 dst_sel:DWORD dst_unused:UNUSED_PAD src0_sel:WORD_1 src1_sel:DWORD
	s_movk_i32 s4, 0x7f
	v_cmp_lt_i16_e32 vcc, s4, v11
	s_mov_b64 s[4:5], 0
                                        ; implicit-def: $sgpr10
	s_and_saveexec_b64 s[6:7], vcc
	s_xor_b64 s[6:7], exec, s[6:7]
	s_cbranch_execnz .LBB18_2417
; %bb.369:
	s_or_saveexec_b64 s[6:7], s[6:7]
	v_mov_b32_e32 v10, s10
	s_xor_b64 exec, exec, s[6:7]
	s_cbranch_execnz .LBB18_2420
.LBB18_370:
	s_or_b64 exec, exec, s[6:7]
	s_and_saveexec_b64 s[6:7], s[4:5]
	s_cbranch_execz .LBB18_372
.LBB18_371:
	v_bfe_u32 v10, v17, 16, 3
	v_ffbh_u32_e32 v14, v10
	v_min_u32_e32 v14, 32, v14
	v_lshrrev_b32_e32 v11, 19, v17
	v_subrev_u32_e32 v15, 28, v14
	v_and_b32_e32 v11, 15, v11
	v_lshlrev_b32_sdwa v15, v15, v17 dst_sel:DWORD dst_unused:UNUSED_PAD src0_sel:DWORD src1_sel:WORD_1
	v_bfe_u32 v12, v17, 19, 4
	v_sub_u32_e32 v14, 29, v14
	v_and_b32_e32 v15, 7, v15
	v_cmp_eq_u16_e32 vcc, 0, v11
	v_cndmask_b32_e32 v10, v10, v15, vcc
	v_cndmask_b32_e32 v11, v12, v14, vcc
	v_lshlrev_b32_e32 v12, 8, v17
	v_mov_b32_e32 v14, 0x3b800000
	v_lshlrev_b32_e32 v10, 20, v10
	v_and_b32_e32 v12, 0x80000000, v12
	v_lshl_add_u32 v11, v11, 23, v14
	v_or3_b32 v10, v12, v11, v10
.LBB18_372:
	s_or_b64 exec, exec, s[6:7]
	s_movk_i32 s4, 0xff
	v_and_b32_sdwa v11, v13, s4 dst_sel:DWORD dst_unused:UNUSED_PAD src0_sel:WORD_1 src1_sel:DWORD
	s_movk_i32 s4, 0x7f
	v_cmp_lt_i16_e32 vcc, s4, v11
	s_mov_b64 s[4:5], 0
                                        ; implicit-def: $sgpr10
	s_and_saveexec_b64 s[6:7], vcc
	s_xor_b64 s[6:7], exec, s[6:7]
	s_cbranch_execnz .LBB18_2421
; %bb.373:
	s_or_saveexec_b64 s[6:7], s[6:7]
	v_mov_b32_e32 v12, s10
	s_xor_b64 exec, exec, s[6:7]
	s_cbranch_execnz .LBB18_2424
.LBB18_374:
	s_or_b64 exec, exec, s[6:7]
	s_and_saveexec_b64 s[6:7], s[4:5]
	s_cbranch_execz .LBB18_376
.LBB18_375:
	v_bfe_u32 v11, v13, 16, 3
	v_ffbh_u32_e32 v15, v11
	v_min_u32_e32 v15, 32, v15
	v_lshrrev_b32_e32 v12, 19, v13
	v_subrev_u32_e32 v16, 28, v15
	v_and_b32_e32 v12, 15, v12
	v_lshlrev_b32_sdwa v16, v16, v13 dst_sel:DWORD dst_unused:UNUSED_PAD src0_sel:DWORD src1_sel:WORD_1
	v_bfe_u32 v14, v13, 19, 4
	v_sub_u32_e32 v15, 29, v15
	v_and_b32_e32 v16, 7, v16
	v_cmp_eq_u16_e32 vcc, 0, v12
	v_cndmask_b32_e32 v11, v11, v16, vcc
	v_cndmask_b32_e32 v12, v14, v15, vcc
	v_lshlrev_b32_e32 v14, 8, v13
	v_mov_b32_e32 v15, 0x3b800000
	v_lshlrev_b32_e32 v11, 20, v11
	v_and_b32_e32 v14, 0x80000000, v14
	v_lshl_add_u32 v12, v12, 23, v15
	v_or3_b32 v12, v14, v12, v11
.LBB18_376:
	s_or_b64 exec, exec, s[6:7]
	s_nop 0
	v_mfma_f32_16x16x4f32 a[0:3], v10, v12, a[0:3]
	s_movk_i32 s4, 0x7f
	v_cmp_gt_i16_sdwa s[6:7], v17, s4 src0_sel:BYTE_3 src1_sel:DWORD
	s_mov_b64 s[4:5], 0
                                        ; implicit-def: $sgpr10
	s_and_saveexec_b64 s[8:9], s[6:7]
	s_xor_b64 s[6:7], exec, s[8:9]
	s_cbranch_execnz .LBB18_2425
; %bb.377:
	s_or_saveexec_b64 s[6:7], s[6:7]
	v_mov_b32_e32 v10, s10
	s_xor_b64 exec, exec, s[6:7]
	s_cbranch_execnz .LBB18_2428
.LBB18_378:
	s_or_b64 exec, exec, s[6:7]
	s_and_saveexec_b64 s[6:7], s[4:5]
	s_cbranch_execz .LBB18_380
.LBB18_379:
	v_bfe_u32 v10, v17, 24, 3
	v_ffbh_u32_e32 v15, v10
	v_min_u32_e32 v15, 32, v15
	v_lshrrev_b32_e32 v12, 27, v17
	v_subrev_u32_e32 v16, 28, v15
	v_and_b32_e32 v12, 15, v12
	v_lshlrev_b32_sdwa v16, v16, v17 dst_sel:DWORD dst_unused:UNUSED_PAD src0_sel:DWORD src1_sel:BYTE_3
	v_bfe_u32 v14, v17, 27, 4
	v_sub_u32_e32 v15, 29, v15
	v_and_b32_e32 v16, 7, v16
	v_cmp_eq_u16_e32 vcc, 0, v12
	v_cndmask_b32_e32 v10, v10, v16, vcc
	v_cndmask_b32_e32 v12, v14, v15, vcc
	v_mov_b32_e32 v14, 0x3b800000
	v_and_b32_e32 v11, 0x80000000, v17
	v_lshlrev_b32_e32 v10, 20, v10
	v_lshl_add_u32 v12, v12, 23, v14
	v_or3_b32 v10, v11, v12, v10
.LBB18_380:
	s_or_b64 exec, exec, s[6:7]
	s_movk_i32 s4, 0x7f
	v_cmp_gt_i16_sdwa s[6:7], v13, s4 src0_sel:BYTE_3 src1_sel:DWORD
	s_mov_b64 s[4:5], 0
                                        ; implicit-def: $sgpr10
	s_and_saveexec_b64 s[8:9], s[6:7]
	s_xor_b64 s[6:7], exec, s[8:9]
	s_cbranch_execnz .LBB18_2429
; %bb.381:
	s_or_saveexec_b64 s[6:7], s[6:7]
	v_mov_b32_e32 v11, s10
	s_xor_b64 exec, exec, s[6:7]
	s_cbranch_execnz .LBB18_2432
.LBB18_382:
	s_or_b64 exec, exec, s[6:7]
	s_and_saveexec_b64 s[6:7], s[4:5]
	s_cbranch_execz .LBB18_384
.LBB18_383:
	v_bfe_u32 v11, v13, 24, 3
	v_ffbh_u32_e32 v16, v11
	v_min_u32_e32 v16, 32, v16
	v_lshrrev_b32_e32 v14, 27, v13
	v_subrev_u32_e32 v17, 28, v16
	v_and_b32_e32 v12, 0x80000000, v13
	v_and_b32_e32 v14, 15, v14
	v_bfe_u32 v15, v13, 27, 4
	v_lshlrev_b32_sdwa v13, v17, v13 dst_sel:DWORD dst_unused:UNUSED_PAD src0_sel:DWORD src1_sel:BYTE_3
	v_sub_u32_e32 v16, 29, v16
	v_and_b32_e32 v13, 7, v13
	v_cmp_eq_u16_e32 vcc, 0, v14
	v_cndmask_b32_e32 v11, v11, v13, vcc
	v_cndmask_b32_e32 v13, v15, v16, vcc
	v_mov_b32_e32 v14, 0x3b800000
	v_lshlrev_b32_e32 v11, 20, v11
	v_lshl_add_u32 v13, v13, 23, v14
	v_or3_b32 v11, v12, v13, v11
.LBB18_384:
	s_or_b64 exec, exec, s[6:7]
	s_nop 0
	v_mfma_f32_16x16x4f32 a[0:3], v10, v11, a[0:3]
	s_movk_i32 s4, 0x7f
	v_cmp_gt_i16_sdwa s[6:7], v6, s4 src0_sel:BYTE_0 src1_sel:DWORD
	s_mov_b64 s[4:5], 0
                                        ; implicit-def: $sgpr10
	s_and_saveexec_b64 s[8:9], s[6:7]
	s_xor_b64 s[6:7], exec, s[8:9]
	s_cbranch_execnz .LBB18_2433
; %bb.385:
	s_or_saveexec_b64 s[6:7], s[6:7]
	v_mov_b32_e32 v10, s10
	s_xor_b64 exec, exec, s[6:7]
	s_cbranch_execnz .LBB18_2436
.LBB18_386:
	s_or_b64 exec, exec, s[6:7]
	s_and_saveexec_b64 s[6:7], s[4:5]
	s_cbranch_execz .LBB18_388
.LBB18_387:
	v_and_b32_e32 v10, 7, v6
	v_ffbh_u32_e32 v12, v10
	v_min_u32_e32 v12, 32, v12
	v_lshrrev_b16_e32 v11, 3, v6
	v_subrev_u32_e32 v13, 28, v12
	v_and_b32_e32 v11, 15, v11
	v_lshlrev_b32_e32 v13, v13, v6
	v_sub_u32_e32 v12, 29, v12
	v_and_b32_e32 v13, 7, v13
	v_cmp_eq_u16_e32 vcc, 0, v11
	v_cndmask_b32_e32 v10, v10, v13, vcc
	v_cndmask_b32_e32 v11, v11, v12, vcc
	v_lshlrev_b32_e32 v12, 24, v6
	v_mov_b32_e32 v13, 0x3b800000
	v_lshlrev_b32_e32 v10, 20, v10
	v_and_b32_e32 v12, 0x80000000, v12
	v_lshl_add_u32 v11, v11, 23, v13
	v_or3_b32 v10, v12, v11, v10
.LBB18_388:
	s_or_b64 exec, exec, s[6:7]
	s_movk_i32 s4, 0x7f
	v_cmp_gt_i16_sdwa s[6:7], v2, s4 src0_sel:BYTE_0 src1_sel:DWORD
	s_mov_b64 s[4:5], 0
                                        ; implicit-def: $sgpr10
	s_and_saveexec_b64 s[8:9], s[6:7]
	s_xor_b64 s[6:7], exec, s[8:9]
	s_cbranch_execnz .LBB18_2437
; %bb.389:
	s_or_saveexec_b64 s[6:7], s[6:7]
	v_mov_b32_e32 v11, s10
	s_xor_b64 exec, exec, s[6:7]
	s_cbranch_execnz .LBB18_2440
.LBB18_390:
	s_or_b64 exec, exec, s[6:7]
	s_and_saveexec_b64 s[6:7], s[4:5]
	s_cbranch_execz .LBB18_392
.LBB18_391:
	v_and_b32_e32 v11, 7, v2
	v_ffbh_u32_e32 v13, v11
	v_min_u32_e32 v13, 32, v13
	v_lshrrev_b16_e32 v12, 3, v2
	v_subrev_u32_e32 v14, 28, v13
	v_and_b32_e32 v12, 15, v12
	v_lshlrev_b32_e32 v14, v14, v2
	v_sub_u32_e32 v13, 29, v13
	v_and_b32_e32 v14, 7, v14
	v_cmp_eq_u16_e32 vcc, 0, v12
	v_cndmask_b32_e32 v11, v11, v14, vcc
	v_cndmask_b32_e32 v12, v12, v13, vcc
	v_lshlrev_b32_e32 v13, 24, v2
	v_mov_b32_e32 v14, 0x3b800000
	v_lshlrev_b32_e32 v11, 20, v11
	v_and_b32_e32 v13, 0x80000000, v13
	v_lshl_add_u32 v12, v12, 23, v14
	v_or3_b32 v11, v13, v12, v11
.LBB18_392:
	s_or_b64 exec, exec, s[6:7]
	s_nop 0
	v_mfma_f32_16x16x4f32 a[0:3], v10, v11, a[0:3]
	v_lshrrev_b32_e32 v11, 8, v6
	s_movk_i32 s4, 0x7f
	v_cmp_gt_i16_sdwa s[6:7], v11, s4 src0_sel:BYTE_0 src1_sel:DWORD
	s_mov_b64 s[4:5], 0
                                        ; implicit-def: $sgpr10
	s_and_saveexec_b64 s[8:9], s[6:7]
	s_xor_b64 s[6:7], exec, s[8:9]
	s_cbranch_execnz .LBB18_2441
; %bb.393:
	s_or_saveexec_b64 s[6:7], s[6:7]
	v_mov_b32_e32 v10, s10
	s_xor_b64 exec, exec, s[6:7]
	s_cbranch_execnz .LBB18_2444
.LBB18_394:
	s_or_b64 exec, exec, s[6:7]
	s_and_saveexec_b64 s[6:7], s[4:5]
	s_cbranch_execz .LBB18_396
.LBB18_395:
	v_bfe_u32 v10, v6, 8, 3
	v_ffbh_u32_e32 v13, v10
	v_min_u32_e32 v13, 32, v13
	v_lshrrev_b16_e32 v12, 3, v11
	v_subrev_u32_e32 v14, 28, v13
	v_and_b32_e32 v12, 15, v12
	v_lshlrev_b32_e32 v11, v14, v11
	v_sub_u32_e32 v13, 29, v13
	v_and_b32_e32 v11, 7, v11
	v_cmp_eq_u16_e32 vcc, 0, v12
	v_cndmask_b32_e32 v10, v10, v11, vcc
	v_cndmask_b32_e32 v11, v12, v13, vcc
	v_lshlrev_b32_e32 v12, 16, v6
	v_mov_b32_e32 v13, 0x3b800000
	v_lshlrev_b32_e32 v10, 20, v10
	v_and_b32_e32 v12, 0x80000000, v12
	v_lshl_add_u32 v11, v11, 23, v13
	v_or3_b32 v10, v12, v11, v10
.LBB18_396:
	s_or_b64 exec, exec, s[6:7]
	v_lshrrev_b32_e32 v11, 8, v2
	s_movk_i32 s4, 0x7f
	v_cmp_gt_i16_sdwa s[6:7], v11, s4 src0_sel:BYTE_0 src1_sel:DWORD
	s_mov_b64 s[4:5], 0
                                        ; implicit-def: $sgpr10
	s_and_saveexec_b64 s[8:9], s[6:7]
	s_xor_b64 s[6:7], exec, s[8:9]
	s_cbranch_execnz .LBB18_2445
; %bb.397:
	s_or_saveexec_b64 s[6:7], s[6:7]
	v_mov_b32_e32 v12, s10
	s_xor_b64 exec, exec, s[6:7]
	s_cbranch_execnz .LBB18_2448
.LBB18_398:
	s_or_b64 exec, exec, s[6:7]
	s_and_saveexec_b64 s[6:7], s[4:5]
	s_cbranch_execz .LBB18_400
.LBB18_399:
	v_bfe_u32 v12, v2, 8, 3
	v_ffbh_u32_e32 v14, v12
	v_min_u32_e32 v14, 32, v14
	v_lshrrev_b16_e32 v13, 3, v11
	v_subrev_u32_e32 v15, 28, v14
	v_and_b32_e32 v13, 15, v13
	v_lshlrev_b32_e32 v11, v15, v11
	v_sub_u32_e32 v14, 29, v14
	v_and_b32_e32 v11, 7, v11
	v_cmp_eq_u16_e32 vcc, 0, v13
	v_cndmask_b32_e32 v11, v12, v11, vcc
	v_cndmask_b32_e32 v12, v13, v14, vcc
	v_lshlrev_b32_e32 v13, 16, v2
	v_mov_b32_e32 v14, 0x3b800000
	v_lshlrev_b32_e32 v11, 20, v11
	v_and_b32_e32 v13, 0x80000000, v13
	v_lshl_add_u32 v12, v12, 23, v14
	v_or3_b32 v12, v13, v12, v11
.LBB18_400:
	s_or_b64 exec, exec, s[6:7]
	s_nop 0
	v_mfma_f32_16x16x4f32 a[0:3], v10, v12, a[0:3]
	s_movk_i32 s4, 0xff
	v_and_b32_sdwa v11, v6, s4 dst_sel:DWORD dst_unused:UNUSED_PAD src0_sel:WORD_1 src1_sel:DWORD
	s_movk_i32 s4, 0x7f
	v_cmp_lt_i16_e32 vcc, s4, v11
	s_mov_b64 s[4:5], 0
                                        ; implicit-def: $sgpr10
	s_and_saveexec_b64 s[6:7], vcc
	s_xor_b64 s[6:7], exec, s[6:7]
	s_cbranch_execnz .LBB18_2449
; %bb.401:
	s_or_saveexec_b64 s[6:7], s[6:7]
	v_mov_b32_e32 v10, s10
	s_xor_b64 exec, exec, s[6:7]
	s_cbranch_execnz .LBB18_2452
.LBB18_402:
	s_or_b64 exec, exec, s[6:7]
	s_and_saveexec_b64 s[6:7], s[4:5]
	s_cbranch_execz .LBB18_404
.LBB18_403:
	v_bfe_u32 v10, v6, 16, 3
	v_ffbh_u32_e32 v13, v10
	v_min_u32_e32 v13, 32, v13
	v_lshrrev_b32_e32 v11, 19, v6
	v_subrev_u32_e32 v14, 28, v13
	v_and_b32_e32 v11, 15, v11
	v_lshlrev_b32_sdwa v14, v14, v6 dst_sel:DWORD dst_unused:UNUSED_PAD src0_sel:DWORD src1_sel:WORD_1
	v_bfe_u32 v12, v6, 19, 4
	v_sub_u32_e32 v13, 29, v13
	v_and_b32_e32 v14, 7, v14
	v_cmp_eq_u16_e32 vcc, 0, v11
	v_cndmask_b32_e32 v10, v10, v14, vcc
	v_cndmask_b32_e32 v11, v12, v13, vcc
	v_lshlrev_b32_e32 v12, 8, v6
	v_mov_b32_e32 v13, 0x3b800000
	v_lshlrev_b32_e32 v10, 20, v10
	v_and_b32_e32 v12, 0x80000000, v12
	v_lshl_add_u32 v11, v11, 23, v13
	v_or3_b32 v10, v12, v11, v10
.LBB18_404:
	s_or_b64 exec, exec, s[6:7]
	s_movk_i32 s4, 0xff
	v_and_b32_sdwa v11, v2, s4 dst_sel:DWORD dst_unused:UNUSED_PAD src0_sel:WORD_1 src1_sel:DWORD
	s_movk_i32 s4, 0x7f
	v_cmp_lt_i16_e32 vcc, s4, v11
	s_mov_b64 s[4:5], 0
                                        ; implicit-def: $sgpr10
	s_and_saveexec_b64 s[6:7], vcc
	s_xor_b64 s[6:7], exec, s[6:7]
	s_cbranch_execnz .LBB18_2453
; %bb.405:
	s_or_saveexec_b64 s[6:7], s[6:7]
	v_mov_b32_e32 v12, s10
	s_xor_b64 exec, exec, s[6:7]
	s_cbranch_execnz .LBB18_2456
.LBB18_406:
	s_or_b64 exec, exec, s[6:7]
	s_and_saveexec_b64 s[6:7], s[4:5]
	s_cbranch_execz .LBB18_408
.LBB18_407:
	v_bfe_u32 v11, v2, 16, 3
	v_ffbh_u32_e32 v14, v11
	v_min_u32_e32 v14, 32, v14
	v_lshrrev_b32_e32 v12, 19, v2
	v_subrev_u32_e32 v15, 28, v14
	v_and_b32_e32 v12, 15, v12
	v_lshlrev_b32_sdwa v15, v15, v2 dst_sel:DWORD dst_unused:UNUSED_PAD src0_sel:DWORD src1_sel:WORD_1
	v_bfe_u32 v13, v2, 19, 4
	v_sub_u32_e32 v14, 29, v14
	v_and_b32_e32 v15, 7, v15
	v_cmp_eq_u16_e32 vcc, 0, v12
	v_cndmask_b32_e32 v11, v11, v15, vcc
	v_cndmask_b32_e32 v12, v13, v14, vcc
	v_lshlrev_b32_e32 v13, 8, v2
	v_mov_b32_e32 v14, 0x3b800000
	v_lshlrev_b32_e32 v11, 20, v11
	v_and_b32_e32 v13, 0x80000000, v13
	v_lshl_add_u32 v12, v12, 23, v14
	v_or3_b32 v12, v13, v12, v11
.LBB18_408:
	s_or_b64 exec, exec, s[6:7]
	s_nop 0
	v_mfma_f32_16x16x4f32 a[0:3], v10, v12, a[0:3]
	s_movk_i32 s4, 0x7f
	v_cmp_gt_i16_sdwa s[6:7], v6, s4 src0_sel:BYTE_3 src1_sel:DWORD
	s_mov_b64 s[4:5], 0
                                        ; implicit-def: $sgpr10
	s_and_saveexec_b64 s[8:9], s[6:7]
	s_xor_b64 s[6:7], exec, s[8:9]
	s_cbranch_execnz .LBB18_2457
; %bb.409:
	s_or_saveexec_b64 s[6:7], s[6:7]
	v_mov_b32_e32 v10, s10
	s_xor_b64 exec, exec, s[6:7]
	s_cbranch_execnz .LBB18_2460
.LBB18_410:
	s_or_b64 exec, exec, s[6:7]
	s_and_saveexec_b64 s[6:7], s[4:5]
	s_cbranch_execz .LBB18_412
.LBB18_411:
	v_bfe_u32 v10, v6, 24, 3
	v_ffbh_u32_e32 v14, v10
	v_min_u32_e32 v14, 32, v14
	v_lshrrev_b32_e32 v12, 27, v6
	v_subrev_u32_e32 v15, 28, v14
	v_and_b32_e32 v11, 0x80000000, v6
	v_and_b32_e32 v12, 15, v12
	v_bfe_u32 v13, v6, 27, 4
	v_lshlrev_b32_sdwa v6, v15, v6 dst_sel:DWORD dst_unused:UNUSED_PAD src0_sel:DWORD src1_sel:BYTE_3
	v_sub_u32_e32 v14, 29, v14
	v_and_b32_e32 v6, 7, v6
	v_cmp_eq_u16_e32 vcc, 0, v12
	v_cndmask_b32_e32 v6, v10, v6, vcc
	v_cndmask_b32_e32 v10, v13, v14, vcc
	v_mov_b32_e32 v12, 0x3b800000
	v_lshlrev_b32_e32 v6, 20, v6
	v_lshl_add_u32 v10, v10, 23, v12
	v_or3_b32 v10, v11, v10, v6
.LBB18_412:
	s_or_b64 exec, exec, s[6:7]
	s_movk_i32 s4, 0x7f
	v_cmp_gt_i16_sdwa s[6:7], v2, s4 src0_sel:BYTE_3 src1_sel:DWORD
	s_mov_b64 s[4:5], 0
                                        ; implicit-def: $sgpr10
	s_and_saveexec_b64 s[8:9], s[6:7]
	s_xor_b64 s[6:7], exec, s[8:9]
	s_cbranch_execnz .LBB18_2461
; %bb.413:
	s_or_saveexec_b64 s[6:7], s[6:7]
	v_mov_b32_e32 v6, s10
	s_xor_b64 exec, exec, s[6:7]
	s_cbranch_execnz .LBB18_2464
.LBB18_414:
	s_or_b64 exec, exec, s[6:7]
	s_and_saveexec_b64 s[6:7], s[4:5]
	s_cbranch_execz .LBB18_416
.LBB18_415:
	v_bfe_u32 v6, v2, 24, 3
	v_ffbh_u32_e32 v14, v6
	v_min_u32_e32 v14, 32, v14
	v_lshrrev_b32_e32 v12, 27, v2
	v_subrev_u32_e32 v15, 28, v14
	v_and_b32_e32 v11, 0x80000000, v2
	v_and_b32_e32 v12, 15, v12
	v_bfe_u32 v13, v2, 27, 4
	v_lshlrev_b32_sdwa v2, v15, v2 dst_sel:DWORD dst_unused:UNUSED_PAD src0_sel:DWORD src1_sel:BYTE_3
	v_sub_u32_e32 v14, 29, v14
	v_and_b32_e32 v2, 7, v2
	v_cmp_eq_u16_e32 vcc, 0, v12
	v_cndmask_b32_e32 v2, v6, v2, vcc
	v_cndmask_b32_e32 v6, v13, v14, vcc
	v_mov_b32_e32 v12, 0x3b800000
	v_lshlrev_b32_e32 v2, 20, v2
	v_lshl_add_u32 v6, v6, 23, v12
	v_or3_b32 v6, v11, v6, v2
.LBB18_416:
	s_or_b64 exec, exec, s[6:7]
	s_nop 0
	v_mfma_f32_16x16x4f32 a[0:3], v10, v6, a[0:3]
	s_movk_i32 s4, 0x7f
	v_cmp_gt_i16_sdwa s[6:7], v7, s4 src0_sel:BYTE_0 src1_sel:DWORD
	s_mov_b64 s[4:5], 0
                                        ; implicit-def: $sgpr10
	s_and_saveexec_b64 s[8:9], s[6:7]
	s_xor_b64 s[6:7], exec, s[8:9]
	s_cbranch_execnz .LBB18_2465
; %bb.417:
	s_or_saveexec_b64 s[6:7], s[6:7]
	v_mov_b32_e32 v2, s10
	s_xor_b64 exec, exec, s[6:7]
	s_cbranch_execnz .LBB18_2468
.LBB18_418:
	s_or_b64 exec, exec, s[6:7]
	s_and_saveexec_b64 s[6:7], s[4:5]
	s_cbranch_execz .LBB18_420
.LBB18_419:
	v_and_b32_e32 v2, 7, v7
	v_ffbh_u32_e32 v10, v2
	v_min_u32_e32 v10, 32, v10
	v_lshrrev_b16_e32 v6, 3, v7
	v_subrev_u32_e32 v11, 28, v10
	v_and_b32_e32 v6, 15, v6
	v_lshlrev_b32_e32 v11, v11, v7
	v_sub_u32_e32 v10, 29, v10
	v_and_b32_e32 v11, 7, v11
	v_cmp_eq_u16_e32 vcc, 0, v6
	v_cndmask_b32_e32 v2, v2, v11, vcc
	v_cndmask_b32_e32 v6, v6, v10, vcc
	v_lshlrev_b32_e32 v10, 24, v7
	v_mov_b32_e32 v11, 0x3b800000
	v_lshlrev_b32_e32 v2, 20, v2
	v_and_b32_e32 v10, 0x80000000, v10
	v_lshl_add_u32 v6, v6, 23, v11
	v_or3_b32 v2, v10, v6, v2
.LBB18_420:
	s_or_b64 exec, exec, s[6:7]
	s_movk_i32 s4, 0x7f
	v_cmp_gt_i16_sdwa s[6:7], v3, s4 src0_sel:BYTE_0 src1_sel:DWORD
	s_mov_b64 s[4:5], 0
                                        ; implicit-def: $sgpr10
	s_and_saveexec_b64 s[8:9], s[6:7]
	s_xor_b64 s[6:7], exec, s[8:9]
	s_cbranch_execnz .LBB18_2469
; %bb.421:
	s_or_saveexec_b64 s[6:7], s[6:7]
	v_mov_b32_e32 v6, s10
	s_xor_b64 exec, exec, s[6:7]
	s_cbranch_execnz .LBB18_2472
.LBB18_422:
	s_or_b64 exec, exec, s[6:7]
	s_and_saveexec_b64 s[6:7], s[4:5]
	s_cbranch_execz .LBB18_424
.LBB18_423:
	v_and_b32_e32 v6, 7, v3
	v_ffbh_u32_e32 v11, v6
	v_min_u32_e32 v11, 32, v11
	v_lshrrev_b16_e32 v10, 3, v3
	v_subrev_u32_e32 v12, 28, v11
	v_and_b32_e32 v10, 15, v10
	v_lshlrev_b32_e32 v12, v12, v3
	v_sub_u32_e32 v11, 29, v11
	v_and_b32_e32 v12, 7, v12
	v_cmp_eq_u16_e32 vcc, 0, v10
	v_cndmask_b32_e32 v6, v6, v12, vcc
	v_cndmask_b32_e32 v10, v10, v11, vcc
	v_lshlrev_b32_e32 v11, 24, v3
	v_mov_b32_e32 v12, 0x3b800000
	v_lshlrev_b32_e32 v6, 20, v6
	v_and_b32_e32 v11, 0x80000000, v11
	v_lshl_add_u32 v10, v10, 23, v12
	v_or3_b32 v6, v11, v10, v6
.LBB18_424:
	s_or_b64 exec, exec, s[6:7]
	s_nop 0
	v_mfma_f32_16x16x4f32 a[0:3], v2, v6, a[0:3]
	v_lshrrev_b32_e32 v6, 8, v7
	s_movk_i32 s4, 0x7f
	v_cmp_gt_i16_sdwa s[6:7], v6, s4 src0_sel:BYTE_0 src1_sel:DWORD
	s_mov_b64 s[4:5], 0
                                        ; implicit-def: $sgpr10
	s_and_saveexec_b64 s[8:9], s[6:7]
	s_xor_b64 s[6:7], exec, s[8:9]
	s_cbranch_execnz .LBB18_2473
; %bb.425:
	s_or_saveexec_b64 s[6:7], s[6:7]
	v_mov_b32_e32 v2, s10
	s_xor_b64 exec, exec, s[6:7]
	s_cbranch_execnz .LBB18_2476
.LBB18_426:
	s_or_b64 exec, exec, s[6:7]
	s_and_saveexec_b64 s[6:7], s[4:5]
	s_cbranch_execz .LBB18_428
.LBB18_427:
	v_bfe_u32 v2, v7, 8, 3
	v_ffbh_u32_e32 v11, v2
	v_min_u32_e32 v11, 32, v11
	v_lshrrev_b16_e32 v10, 3, v6
	v_subrev_u32_e32 v12, 28, v11
	v_and_b32_e32 v10, 15, v10
	v_lshlrev_b32_e32 v6, v12, v6
	v_sub_u32_e32 v11, 29, v11
	v_and_b32_e32 v6, 7, v6
	v_cmp_eq_u16_e32 vcc, 0, v10
	v_cndmask_b32_e32 v2, v2, v6, vcc
	v_cndmask_b32_e32 v6, v10, v11, vcc
	v_lshlrev_b32_e32 v10, 16, v7
	v_mov_b32_e32 v11, 0x3b800000
	v_lshlrev_b32_e32 v2, 20, v2
	v_and_b32_e32 v10, 0x80000000, v10
	v_lshl_add_u32 v6, v6, 23, v11
	v_or3_b32 v2, v10, v6, v2
.LBB18_428:
	s_or_b64 exec, exec, s[6:7]
	v_lshrrev_b32_e32 v6, 8, v3
	s_movk_i32 s4, 0x7f
	v_cmp_gt_i16_sdwa s[6:7], v6, s4 src0_sel:BYTE_0 src1_sel:DWORD
	s_mov_b64 s[4:5], 0
                                        ; implicit-def: $sgpr10
	s_and_saveexec_b64 s[8:9], s[6:7]
	s_xor_b64 s[6:7], exec, s[8:9]
	s_cbranch_execnz .LBB18_2477
; %bb.429:
	s_or_saveexec_b64 s[6:7], s[6:7]
	v_mov_b32_e32 v10, s10
	s_xor_b64 exec, exec, s[6:7]
	s_cbranch_execnz .LBB18_2480
.LBB18_430:
	s_or_b64 exec, exec, s[6:7]
	s_and_saveexec_b64 s[6:7], s[4:5]
	s_cbranch_execz .LBB18_432
.LBB18_431:
	v_bfe_u32 v10, v3, 8, 3
	v_ffbh_u32_e32 v12, v10
	v_min_u32_e32 v12, 32, v12
	v_lshrrev_b16_e32 v11, 3, v6
	v_subrev_u32_e32 v13, 28, v12
	v_and_b32_e32 v11, 15, v11
	v_lshlrev_b32_e32 v6, v13, v6
	v_sub_u32_e32 v12, 29, v12
	v_and_b32_e32 v6, 7, v6
	v_cmp_eq_u16_e32 vcc, 0, v11
	v_cndmask_b32_e32 v6, v10, v6, vcc
	v_cndmask_b32_e32 v10, v11, v12, vcc
	v_lshlrev_b32_e32 v11, 16, v3
	v_mov_b32_e32 v12, 0x3b800000
	v_lshlrev_b32_e32 v6, 20, v6
	v_and_b32_e32 v11, 0x80000000, v11
	v_lshl_add_u32 v10, v10, 23, v12
	v_or3_b32 v10, v11, v10, v6
.LBB18_432:
	s_or_b64 exec, exec, s[6:7]
	s_nop 0
	v_mfma_f32_16x16x4f32 a[0:3], v2, v10, a[0:3]
	s_movk_i32 s4, 0xff
	v_and_b32_sdwa v6, v7, s4 dst_sel:DWORD dst_unused:UNUSED_PAD src0_sel:WORD_1 src1_sel:DWORD
	s_movk_i32 s4, 0x7f
	v_cmp_lt_i16_e32 vcc, s4, v6
	s_mov_b64 s[4:5], 0
                                        ; implicit-def: $sgpr10
	s_and_saveexec_b64 s[6:7], vcc
	s_xor_b64 s[6:7], exec, s[6:7]
	s_cbranch_execnz .LBB18_2481
; %bb.433:
	s_or_saveexec_b64 s[6:7], s[6:7]
	v_mov_b32_e32 v2, s10
	s_xor_b64 exec, exec, s[6:7]
	s_cbranch_execnz .LBB18_2484
.LBB18_434:
	s_or_b64 exec, exec, s[6:7]
	s_and_saveexec_b64 s[6:7], s[4:5]
	s_cbranch_execz .LBB18_436
.LBB18_435:
	v_bfe_u32 v2, v7, 16, 3
	v_ffbh_u32_e32 v11, v2
	v_min_u32_e32 v11, 32, v11
	v_lshrrev_b32_e32 v6, 19, v7
	v_subrev_u32_e32 v12, 28, v11
	v_and_b32_e32 v6, 15, v6
	v_lshlrev_b32_sdwa v12, v12, v7 dst_sel:DWORD dst_unused:UNUSED_PAD src0_sel:DWORD src1_sel:WORD_1
	v_bfe_u32 v10, v7, 19, 4
	v_sub_u32_e32 v11, 29, v11
	v_and_b32_e32 v12, 7, v12
	v_cmp_eq_u16_e32 vcc, 0, v6
	v_cndmask_b32_e32 v2, v2, v12, vcc
	v_cndmask_b32_e32 v6, v10, v11, vcc
	v_lshlrev_b32_e32 v10, 8, v7
	v_mov_b32_e32 v11, 0x3b800000
	v_lshlrev_b32_e32 v2, 20, v2
	v_and_b32_e32 v10, 0x80000000, v10
	v_lshl_add_u32 v6, v6, 23, v11
	v_or3_b32 v2, v10, v6, v2
.LBB18_436:
	s_or_b64 exec, exec, s[6:7]
	s_movk_i32 s4, 0xff
	v_and_b32_sdwa v6, v3, s4 dst_sel:DWORD dst_unused:UNUSED_PAD src0_sel:WORD_1 src1_sel:DWORD
	s_movk_i32 s4, 0x7f
	v_cmp_lt_i16_e32 vcc, s4, v6
	s_mov_b64 s[4:5], 0
                                        ; implicit-def: $sgpr10
	s_and_saveexec_b64 s[6:7], vcc
	s_xor_b64 s[6:7], exec, s[6:7]
	s_cbranch_execnz .LBB18_2485
; %bb.437:
	s_or_saveexec_b64 s[6:7], s[6:7]
	v_mov_b32_e32 v10, s10
	s_xor_b64 exec, exec, s[6:7]
	s_cbranch_execnz .LBB18_2488
.LBB18_438:
	s_or_b64 exec, exec, s[6:7]
	s_and_saveexec_b64 s[6:7], s[4:5]
	s_cbranch_execz .LBB18_440
.LBB18_439:
	v_bfe_u32 v6, v3, 16, 3
	v_ffbh_u32_e32 v12, v6
	v_min_u32_e32 v12, 32, v12
	v_lshrrev_b32_e32 v10, 19, v3
	v_subrev_u32_e32 v13, 28, v12
	v_and_b32_e32 v10, 15, v10
	v_lshlrev_b32_sdwa v13, v13, v3 dst_sel:DWORD dst_unused:UNUSED_PAD src0_sel:DWORD src1_sel:WORD_1
	v_bfe_u32 v11, v3, 19, 4
	v_sub_u32_e32 v12, 29, v12
	v_and_b32_e32 v13, 7, v13
	v_cmp_eq_u16_e32 vcc, 0, v10
	v_cndmask_b32_e32 v6, v6, v13, vcc
	v_cndmask_b32_e32 v10, v11, v12, vcc
	v_lshlrev_b32_e32 v11, 8, v3
	v_mov_b32_e32 v12, 0x3b800000
	v_lshlrev_b32_e32 v6, 20, v6
	v_and_b32_e32 v11, 0x80000000, v11
	v_lshl_add_u32 v10, v10, 23, v12
	v_or3_b32 v10, v11, v10, v6
.LBB18_440:
	s_or_b64 exec, exec, s[6:7]
	s_nop 0
	v_mfma_f32_16x16x4f32 a[0:3], v2, v10, a[0:3]
	s_movk_i32 s4, 0x7f
	v_cmp_gt_i16_sdwa s[6:7], v7, s4 src0_sel:BYTE_3 src1_sel:DWORD
	s_mov_b64 s[4:5], 0
                                        ; implicit-def: $sgpr10
	s_and_saveexec_b64 s[8:9], s[6:7]
	s_xor_b64 s[6:7], exec, s[8:9]
	s_cbranch_execnz .LBB18_2489
; %bb.441:
	s_or_saveexec_b64 s[6:7], s[6:7]
	v_mov_b32_e32 v2, s10
	s_xor_b64 exec, exec, s[6:7]
	s_cbranch_execnz .LBB18_2492
.LBB18_442:
	s_or_b64 exec, exec, s[6:7]
	s_and_saveexec_b64 s[6:7], s[4:5]
	s_cbranch_execz .LBB18_444
.LBB18_443:
	v_bfe_u32 v2, v7, 24, 3
	v_ffbh_u32_e32 v12, v2
	v_min_u32_e32 v12, 32, v12
	v_lshrrev_b32_e32 v10, 27, v7
	v_subrev_u32_e32 v13, 28, v12
	v_and_b32_e32 v6, 0x80000000, v7
	v_and_b32_e32 v10, 15, v10
	v_bfe_u32 v11, v7, 27, 4
	v_lshlrev_b32_sdwa v7, v13, v7 dst_sel:DWORD dst_unused:UNUSED_PAD src0_sel:DWORD src1_sel:BYTE_3
	v_sub_u32_e32 v12, 29, v12
	v_and_b32_e32 v7, 7, v7
	v_cmp_eq_u16_e32 vcc, 0, v10
	v_cndmask_b32_e32 v2, v2, v7, vcc
	v_cndmask_b32_e32 v7, v11, v12, vcc
	v_mov_b32_e32 v10, 0x3b800000
	v_lshlrev_b32_e32 v2, 20, v2
	v_lshl_add_u32 v7, v7, 23, v10
	v_or3_b32 v2, v6, v7, v2
.LBB18_444:
	s_or_b64 exec, exec, s[6:7]
	s_movk_i32 s4, 0x7f
	v_cmp_gt_i16_sdwa s[6:7], v3, s4 src0_sel:BYTE_3 src1_sel:DWORD
	s_mov_b64 s[4:5], 0
                                        ; implicit-def: $sgpr10
	s_and_saveexec_b64 s[8:9], s[6:7]
	s_xor_b64 s[6:7], exec, s[8:9]
	s_cbranch_execnz .LBB18_2493
; %bb.445:
	s_or_saveexec_b64 s[6:7], s[6:7]
	v_mov_b32_e32 v6, s10
	s_xor_b64 exec, exec, s[6:7]
	s_cbranch_execnz .LBB18_2496
.LBB18_446:
	s_or_b64 exec, exec, s[6:7]
	s_and_saveexec_b64 s[6:7], s[4:5]
	s_cbranch_execz .LBB18_448
.LBB18_447:
	v_bfe_u32 v6, v3, 24, 3
	v_ffbh_u32_e32 v12, v6
	v_min_u32_e32 v12, 32, v12
	v_lshrrev_b32_e32 v10, 27, v3
	v_subrev_u32_e32 v13, 28, v12
	v_and_b32_e32 v7, 0x80000000, v3
	v_and_b32_e32 v10, 15, v10
	v_bfe_u32 v11, v3, 27, 4
	v_lshlrev_b32_sdwa v3, v13, v3 dst_sel:DWORD dst_unused:UNUSED_PAD src0_sel:DWORD src1_sel:BYTE_3
	v_sub_u32_e32 v12, 29, v12
	v_and_b32_e32 v3, 7, v3
	v_cmp_eq_u16_e32 vcc, 0, v10
	v_cndmask_b32_e32 v3, v6, v3, vcc
	v_cndmask_b32_e32 v6, v11, v12, vcc
	v_mov_b32_e32 v10, 0x3b800000
	v_lshlrev_b32_e32 v3, 20, v3
	v_lshl_add_u32 v6, v6, 23, v10
	v_or3_b32 v6, v7, v6, v3
.LBB18_448:
	s_or_b64 exec, exec, s[6:7]
	s_nop 0
	v_mfma_f32_16x16x4f32 a[0:3], v2, v6, a[0:3]
	s_movk_i32 s4, 0x7f
	v_cmp_gt_i16_sdwa s[6:7], v8, s4 src0_sel:BYTE_0 src1_sel:DWORD
	s_mov_b64 s[4:5], 0
                                        ; implicit-def: $sgpr10
	s_and_saveexec_b64 s[8:9], s[6:7]
	s_xor_b64 s[6:7], exec, s[8:9]
	s_cbranch_execnz .LBB18_2497
; %bb.449:
	s_or_saveexec_b64 s[6:7], s[6:7]
	v_mov_b32_e32 v2, s10
	s_xor_b64 exec, exec, s[6:7]
	s_cbranch_execnz .LBB18_2500
.LBB18_450:
	s_or_b64 exec, exec, s[6:7]
	s_and_saveexec_b64 s[6:7], s[4:5]
	s_cbranch_execz .LBB18_452
.LBB18_451:
	v_and_b32_e32 v2, 7, v8
	v_ffbh_u32_e32 v6, v2
	v_min_u32_e32 v6, 32, v6
	v_lshrrev_b16_e32 v3, 3, v8
	v_subrev_u32_e32 v7, 28, v6
	v_and_b32_e32 v3, 15, v3
	v_lshlrev_b32_e32 v7, v7, v8
	v_sub_u32_e32 v6, 29, v6
	v_and_b32_e32 v7, 7, v7
	v_cmp_eq_u16_e32 vcc, 0, v3
	v_cndmask_b32_e32 v2, v2, v7, vcc
	v_cndmask_b32_e32 v3, v3, v6, vcc
	v_lshlrev_b32_e32 v6, 24, v8
	v_mov_b32_e32 v7, 0x3b800000
	v_lshlrev_b32_e32 v2, 20, v2
	v_and_b32_e32 v6, 0x80000000, v6
	v_lshl_add_u32 v3, v3, 23, v7
	v_or3_b32 v2, v6, v3, v2
.LBB18_452:
	s_or_b64 exec, exec, s[6:7]
	s_movk_i32 s4, 0x7f
	v_cmp_gt_i16_sdwa s[6:7], v4, s4 src0_sel:BYTE_0 src1_sel:DWORD
	s_mov_b64 s[4:5], 0
                                        ; implicit-def: $sgpr10
	s_and_saveexec_b64 s[8:9], s[6:7]
	s_xor_b64 s[6:7], exec, s[8:9]
	s_cbranch_execnz .LBB18_2501
; %bb.453:
	s_or_saveexec_b64 s[6:7], s[6:7]
	v_mov_b32_e32 v3, s10
	s_xor_b64 exec, exec, s[6:7]
	s_cbranch_execnz .LBB18_2504
.LBB18_454:
	s_or_b64 exec, exec, s[6:7]
	s_and_saveexec_b64 s[6:7], s[4:5]
	s_cbranch_execz .LBB18_456
.LBB18_455:
	v_and_b32_e32 v3, 7, v4
	v_ffbh_u32_e32 v7, v3
	v_min_u32_e32 v7, 32, v7
	v_lshrrev_b16_e32 v6, 3, v4
	v_subrev_u32_e32 v10, 28, v7
	v_and_b32_e32 v6, 15, v6
	v_lshlrev_b32_e32 v10, v10, v4
	v_sub_u32_e32 v7, 29, v7
	v_and_b32_e32 v10, 7, v10
	v_cmp_eq_u16_e32 vcc, 0, v6
	v_cndmask_b32_e32 v3, v3, v10, vcc
	v_cndmask_b32_e32 v6, v6, v7, vcc
	v_lshlrev_b32_e32 v7, 24, v4
	v_mov_b32_e32 v10, 0x3b800000
	v_lshlrev_b32_e32 v3, 20, v3
	v_and_b32_e32 v7, 0x80000000, v7
	v_lshl_add_u32 v6, v6, 23, v10
	v_or3_b32 v3, v7, v6, v3
.LBB18_456:
	s_or_b64 exec, exec, s[6:7]
	s_nop 0
	v_mfma_f32_16x16x4f32 a[0:3], v2, v3, a[0:3]
	v_lshrrev_b32_e32 v3, 8, v8
	s_movk_i32 s4, 0x7f
	v_cmp_gt_i16_sdwa s[6:7], v3, s4 src0_sel:BYTE_0 src1_sel:DWORD
	s_mov_b64 s[4:5], 0
                                        ; implicit-def: $sgpr10
	s_and_saveexec_b64 s[8:9], s[6:7]
	s_xor_b64 s[6:7], exec, s[8:9]
	s_cbranch_execnz .LBB18_2505
; %bb.457:
	s_or_saveexec_b64 s[6:7], s[6:7]
	v_mov_b32_e32 v2, s10
	s_xor_b64 exec, exec, s[6:7]
	s_cbranch_execnz .LBB18_2508
.LBB18_458:
	s_or_b64 exec, exec, s[6:7]
	s_and_saveexec_b64 s[6:7], s[4:5]
	s_cbranch_execz .LBB18_460
.LBB18_459:
	v_bfe_u32 v2, v8, 8, 3
	v_ffbh_u32_e32 v7, v2
	v_min_u32_e32 v7, 32, v7
	v_lshrrev_b16_e32 v6, 3, v3
	v_subrev_u32_e32 v10, 28, v7
	v_and_b32_e32 v6, 15, v6
	v_lshlrev_b32_e32 v3, v10, v3
	v_sub_u32_e32 v7, 29, v7
	v_and_b32_e32 v3, 7, v3
	v_cmp_eq_u16_e32 vcc, 0, v6
	v_cndmask_b32_e32 v2, v2, v3, vcc
	v_cndmask_b32_e32 v3, v6, v7, vcc
	v_lshlrev_b32_e32 v6, 16, v8
	v_mov_b32_e32 v7, 0x3b800000
	v_lshlrev_b32_e32 v2, 20, v2
	v_and_b32_e32 v6, 0x80000000, v6
	v_lshl_add_u32 v3, v3, 23, v7
	v_or3_b32 v2, v6, v3, v2
.LBB18_460:
	s_or_b64 exec, exec, s[6:7]
	v_lshrrev_b32_e32 v3, 8, v4
	s_movk_i32 s4, 0x7f
	v_cmp_gt_i16_sdwa s[6:7], v3, s4 src0_sel:BYTE_0 src1_sel:DWORD
	s_mov_b64 s[4:5], 0
                                        ; implicit-def: $sgpr10
	s_and_saveexec_b64 s[8:9], s[6:7]
	s_xor_b64 s[6:7], exec, s[8:9]
	s_cbranch_execnz .LBB18_2509
; %bb.461:
	s_or_saveexec_b64 s[6:7], s[6:7]
	v_mov_b32_e32 v6, s10
	s_xor_b64 exec, exec, s[6:7]
	s_cbranch_execnz .LBB18_2512
.LBB18_462:
	s_or_b64 exec, exec, s[6:7]
	s_and_saveexec_b64 s[6:7], s[4:5]
	s_cbranch_execz .LBB18_464
.LBB18_463:
	v_bfe_u32 v6, v4, 8, 3
	v_ffbh_u32_e32 v10, v6
	v_min_u32_e32 v10, 32, v10
	v_lshrrev_b16_e32 v7, 3, v3
	v_subrev_u32_e32 v11, 28, v10
	v_and_b32_e32 v7, 15, v7
	v_lshlrev_b32_e32 v3, v11, v3
	v_sub_u32_e32 v10, 29, v10
	v_and_b32_e32 v3, 7, v3
	v_cmp_eq_u16_e32 vcc, 0, v7
	v_cndmask_b32_e32 v3, v6, v3, vcc
	v_cndmask_b32_e32 v6, v7, v10, vcc
	v_lshlrev_b32_e32 v7, 16, v4
	v_mov_b32_e32 v10, 0x3b800000
	v_lshlrev_b32_e32 v3, 20, v3
	v_and_b32_e32 v7, 0x80000000, v7
	v_lshl_add_u32 v6, v6, 23, v10
	v_or3_b32 v6, v7, v6, v3
.LBB18_464:
	s_or_b64 exec, exec, s[6:7]
	s_nop 0
	v_mfma_f32_16x16x4f32 a[0:3], v2, v6, a[0:3]
	s_movk_i32 s4, 0xff
	v_and_b32_sdwa v3, v8, s4 dst_sel:DWORD dst_unused:UNUSED_PAD src0_sel:WORD_1 src1_sel:DWORD
	s_movk_i32 s4, 0x7f
	v_cmp_lt_i16_e32 vcc, s4, v3
	s_mov_b64 s[4:5], 0
                                        ; implicit-def: $sgpr10
	s_and_saveexec_b64 s[6:7], vcc
	s_xor_b64 s[6:7], exec, s[6:7]
	s_cbranch_execnz .LBB18_2513
; %bb.465:
	s_or_saveexec_b64 s[6:7], s[6:7]
	v_mov_b32_e32 v2, s10
	s_xor_b64 exec, exec, s[6:7]
	s_cbranch_execnz .LBB18_2516
.LBB18_466:
	s_or_b64 exec, exec, s[6:7]
	s_and_saveexec_b64 s[6:7], s[4:5]
	s_cbranch_execz .LBB18_468
.LBB18_467:
	v_bfe_u32 v2, v8, 16, 3
	v_ffbh_u32_e32 v7, v2
	v_min_u32_e32 v7, 32, v7
	v_lshrrev_b32_e32 v3, 19, v8
	v_subrev_u32_e32 v10, 28, v7
	v_and_b32_e32 v3, 15, v3
	v_lshlrev_b32_sdwa v10, v10, v8 dst_sel:DWORD dst_unused:UNUSED_PAD src0_sel:DWORD src1_sel:WORD_1
	v_bfe_u32 v6, v8, 19, 4
	v_sub_u32_e32 v7, 29, v7
	v_and_b32_e32 v10, 7, v10
	v_cmp_eq_u16_e32 vcc, 0, v3
	v_cndmask_b32_e32 v2, v2, v10, vcc
	v_cndmask_b32_e32 v3, v6, v7, vcc
	v_lshlrev_b32_e32 v6, 8, v8
	v_mov_b32_e32 v7, 0x3b800000
	v_lshlrev_b32_e32 v2, 20, v2
	v_and_b32_e32 v6, 0x80000000, v6
	v_lshl_add_u32 v3, v3, 23, v7
	v_or3_b32 v2, v6, v3, v2
.LBB18_468:
	s_or_b64 exec, exec, s[6:7]
	s_movk_i32 s4, 0xff
	v_and_b32_sdwa v3, v4, s4 dst_sel:DWORD dst_unused:UNUSED_PAD src0_sel:WORD_1 src1_sel:DWORD
	s_movk_i32 s4, 0x7f
	v_cmp_lt_i16_e32 vcc, s4, v3
	s_mov_b64 s[4:5], 0
                                        ; implicit-def: $sgpr10
	s_and_saveexec_b64 s[6:7], vcc
	s_xor_b64 s[6:7], exec, s[6:7]
	s_cbranch_execnz .LBB18_2517
; %bb.469:
	s_or_saveexec_b64 s[6:7], s[6:7]
	v_mov_b32_e32 v6, s10
	s_xor_b64 exec, exec, s[6:7]
	s_cbranch_execnz .LBB18_2520
.LBB18_470:
	s_or_b64 exec, exec, s[6:7]
	s_and_saveexec_b64 s[6:7], s[4:5]
	s_cbranch_execz .LBB18_472
.LBB18_471:
	v_bfe_u32 v3, v4, 16, 3
	v_ffbh_u32_e32 v10, v3
	v_min_u32_e32 v10, 32, v10
	v_lshrrev_b32_e32 v6, 19, v4
	v_subrev_u32_e32 v11, 28, v10
	v_and_b32_e32 v6, 15, v6
	v_lshlrev_b32_sdwa v11, v11, v4 dst_sel:DWORD dst_unused:UNUSED_PAD src0_sel:DWORD src1_sel:WORD_1
	v_bfe_u32 v7, v4, 19, 4
	v_sub_u32_e32 v10, 29, v10
	v_and_b32_e32 v11, 7, v11
	v_cmp_eq_u16_e32 vcc, 0, v6
	v_cndmask_b32_e32 v3, v3, v11, vcc
	v_cndmask_b32_e32 v6, v7, v10, vcc
	v_lshlrev_b32_e32 v7, 8, v4
	v_mov_b32_e32 v10, 0x3b800000
	v_lshlrev_b32_e32 v3, 20, v3
	v_and_b32_e32 v7, 0x80000000, v7
	v_lshl_add_u32 v6, v6, 23, v10
	v_or3_b32 v6, v7, v6, v3
.LBB18_472:
	s_or_b64 exec, exec, s[6:7]
	s_nop 0
	v_mfma_f32_16x16x4f32 a[0:3], v2, v6, a[0:3]
	s_movk_i32 s4, 0x7f
	v_cmp_gt_i16_sdwa s[6:7], v8, s4 src0_sel:BYTE_3 src1_sel:DWORD
	s_mov_b64 s[4:5], 0
                                        ; implicit-def: $sgpr10
	s_and_saveexec_b64 s[8:9], s[6:7]
	s_xor_b64 s[6:7], exec, s[8:9]
	s_cbranch_execnz .LBB18_2521
; %bb.473:
	s_or_saveexec_b64 s[6:7], s[6:7]
	v_mov_b32_e32 v2, s10
	s_xor_b64 exec, exec, s[6:7]
	s_cbranch_execnz .LBB18_2524
.LBB18_474:
	s_or_b64 exec, exec, s[6:7]
	s_and_saveexec_b64 s[6:7], s[4:5]
	s_cbranch_execz .LBB18_476
.LBB18_475:
	v_bfe_u32 v2, v8, 24, 3
	v_ffbh_u32_e32 v10, v2
	v_min_u32_e32 v10, 32, v10
	v_lshrrev_b32_e32 v6, 27, v8
	v_subrev_u32_e32 v11, 28, v10
	v_and_b32_e32 v3, 0x80000000, v8
	v_and_b32_e32 v6, 15, v6
	v_bfe_u32 v7, v8, 27, 4
	v_lshlrev_b32_sdwa v8, v11, v8 dst_sel:DWORD dst_unused:UNUSED_PAD src0_sel:DWORD src1_sel:BYTE_3
	v_sub_u32_e32 v10, 29, v10
	v_and_b32_e32 v8, 7, v8
	v_cmp_eq_u16_e32 vcc, 0, v6
	v_cndmask_b32_e32 v2, v2, v8, vcc
	v_cndmask_b32_e32 v6, v7, v10, vcc
	v_mov_b32_e32 v7, 0x3b800000
	v_lshlrev_b32_e32 v2, 20, v2
	v_lshl_add_u32 v6, v6, 23, v7
	v_or3_b32 v2, v3, v6, v2
.LBB18_476:
	s_or_b64 exec, exec, s[6:7]
	s_movk_i32 s4, 0x7f
	v_cmp_gt_i16_sdwa s[6:7], v4, s4 src0_sel:BYTE_3 src1_sel:DWORD
	s_mov_b64 s[4:5], 0
                                        ; implicit-def: $sgpr10
	s_and_saveexec_b64 s[8:9], s[6:7]
	s_xor_b64 s[6:7], exec, s[8:9]
	s_cbranch_execnz .LBB18_2525
; %bb.477:
	s_or_saveexec_b64 s[6:7], s[6:7]
	v_mov_b32_e32 v3, s10
	s_xor_b64 exec, exec, s[6:7]
	s_cbranch_execnz .LBB18_2528
.LBB18_478:
	s_or_b64 exec, exec, s[6:7]
	s_and_saveexec_b64 s[6:7], s[4:5]
	s_cbranch_execz .LBB18_480
.LBB18_479:
	v_bfe_u32 v3, v4, 24, 3
	v_ffbh_u32_e32 v10, v3
	v_min_u32_e32 v10, 32, v10
	v_lshrrev_b32_e32 v7, 27, v4
	v_subrev_u32_e32 v11, 28, v10
	v_and_b32_e32 v6, 0x80000000, v4
	v_and_b32_e32 v7, 15, v7
	v_bfe_u32 v8, v4, 27, 4
	v_lshlrev_b32_sdwa v4, v11, v4 dst_sel:DWORD dst_unused:UNUSED_PAD src0_sel:DWORD src1_sel:BYTE_3
	v_sub_u32_e32 v10, 29, v10
	v_and_b32_e32 v4, 7, v4
	v_cmp_eq_u16_e32 vcc, 0, v7
	v_cndmask_b32_e32 v3, v3, v4, vcc
	v_cndmask_b32_e32 v4, v8, v10, vcc
	v_mov_b32_e32 v7, 0x3b800000
	v_lshlrev_b32_e32 v3, 20, v3
	v_lshl_add_u32 v4, v4, 23, v7
	v_or3_b32 v3, v6, v4, v3
.LBB18_480:
	s_or_b64 exec, exec, s[6:7]
	s_nop 0
	v_mfma_f32_16x16x4f32 a[0:3], v2, v3, a[0:3]
	s_movk_i32 s4, 0x7f
	v_cmp_gt_i16_sdwa s[6:7], v9, s4 src0_sel:BYTE_0 src1_sel:DWORD
	s_mov_b64 s[4:5], 0
                                        ; implicit-def: $sgpr10
	s_and_saveexec_b64 s[8:9], s[6:7]
	s_xor_b64 s[6:7], exec, s[8:9]
	s_cbranch_execnz .LBB18_2529
; %bb.481:
	s_or_saveexec_b64 s[6:7], s[6:7]
	v_mov_b32_e32 v2, s10
	s_xor_b64 exec, exec, s[6:7]
	s_cbranch_execnz .LBB18_2532
.LBB18_482:
	s_or_b64 exec, exec, s[6:7]
	s_and_saveexec_b64 s[6:7], s[4:5]
	s_cbranch_execz .LBB18_484
.LBB18_483:
	v_mov_b32_e32 v2, 8
	v_and_b32_e32 v3, 7, v9
	v_lshrrev_b32_sdwa v2, v2, v9 dst_sel:BYTE_1 dst_unused:UNUSED_PAD src0_sel:DWORD src1_sel:DWORD
	v_ffbh_u32_e32 v4, v3
	v_or_b32_sdwa v2, v9, v2 dst_sel:DWORD dst_unused:UNUSED_PAD src0_sel:BYTE_0 src1_sel:DWORD
	v_min_u32_e32 v4, 32, v4
	v_lshrrev_b16_e32 v2, 3, v2
	v_subrev_u32_e32 v6, 28, v4
	v_and_b32_e32 v2, 15, v2
	v_lshlrev_b32_e32 v6, v6, v9
	v_sub_u32_e32 v4, 29, v4
	v_and_b32_e32 v6, 7, v6
	v_cmp_eq_u16_e32 vcc, 0, v2
	v_cndmask_b32_e32 v3, v3, v6, vcc
	v_cndmask_b32_e32 v2, v2, v4, vcc
	v_lshlrev_b32_e32 v4, 24, v9
	v_mov_b32_e32 v6, 0x3b800000
	v_lshlrev_b32_e32 v3, 20, v3
	v_and_b32_e32 v4, 0x80000000, v4
	v_lshl_add_u32 v2, v2, 23, v6
	v_or3_b32 v2, v4, v2, v3
.LBB18_484:
	s_or_b64 exec, exec, s[6:7]
	s_movk_i32 s4, 0x7f
	v_cmp_gt_i16_sdwa s[6:7], v5, s4 src0_sel:BYTE_0 src1_sel:DWORD
	s_mov_b64 s[4:5], 0
                                        ; implicit-def: $sgpr10
	s_and_saveexec_b64 s[8:9], s[6:7]
	s_xor_b64 s[6:7], exec, s[8:9]
	s_cbranch_execnz .LBB18_2533
; %bb.485:
	s_or_saveexec_b64 s[6:7], s[6:7]
	v_mov_b32_e32 v3, s10
	s_xor_b64 exec, exec, s[6:7]
	s_cbranch_execnz .LBB18_2536
.LBB18_486:
	s_or_b64 exec, exec, s[6:7]
	s_and_saveexec_b64 s[6:7], s[4:5]
	s_cbranch_execz .LBB18_488
.LBB18_487:
	v_mov_b32_e32 v3, 8
	v_and_b32_e32 v4, 7, v5
	v_lshrrev_b32_sdwa v3, v3, v5 dst_sel:BYTE_1 dst_unused:UNUSED_PAD src0_sel:DWORD src1_sel:DWORD
	v_ffbh_u32_e32 v6, v4
	v_or_b32_sdwa v3, v5, v3 dst_sel:DWORD dst_unused:UNUSED_PAD src0_sel:BYTE_0 src1_sel:DWORD
	v_min_u32_e32 v6, 32, v6
	v_lshrrev_b16_e32 v3, 3, v3
	v_subrev_u32_e32 v7, 28, v6
	v_and_b32_e32 v3, 15, v3
	v_lshlrev_b32_e32 v7, v7, v5
	v_sub_u32_e32 v6, 29, v6
	v_and_b32_e32 v7, 7, v7
	v_cmp_eq_u16_e32 vcc, 0, v3
	v_cndmask_b32_e32 v4, v4, v7, vcc
	v_cndmask_b32_e32 v3, v3, v6, vcc
	v_lshlrev_b32_e32 v6, 24, v5
	v_mov_b32_e32 v7, 0x3b800000
	v_lshlrev_b32_e32 v4, 20, v4
	v_and_b32_e32 v6, 0x80000000, v6
	v_lshl_add_u32 v3, v3, 23, v7
	v_or3_b32 v3, v6, v3, v4
.LBB18_488:
	s_or_b64 exec, exec, s[6:7]
	s_nop 0
	v_mfma_f32_16x16x4f32 a[0:3], v2, v3, a[0:3]
	v_lshrrev_b32_e32 v3, 8, v9
	s_movk_i32 s4, 0x7f
	v_cmp_gt_i16_sdwa s[6:7], v3, s4 src0_sel:BYTE_0 src1_sel:DWORD
	s_mov_b64 s[4:5], 0
                                        ; implicit-def: $sgpr10
	s_and_saveexec_b64 s[8:9], s[6:7]
	s_xor_b64 s[6:7], exec, s[8:9]
	s_cbranch_execnz .LBB18_2537
; %bb.489:
	s_or_saveexec_b64 s[6:7], s[6:7]
	v_mov_b32_e32 v2, s10
	s_xor_b64 exec, exec, s[6:7]
	s_cbranch_execnz .LBB18_2540
.LBB18_490:
	s_or_b64 exec, exec, s[6:7]
	s_and_saveexec_b64 s[6:7], s[4:5]
	s_cbranch_execz .LBB18_492
.LBB18_491:
	v_bfe_u32 v2, v9, 8, 3
	v_ffbh_u32_e32 v6, v2
	v_min_u32_e32 v6, 32, v6
	v_lshrrev_b16_e32 v4, 3, v3
	v_subrev_u32_e32 v7, 28, v6
	v_and_b32_e32 v4, 15, v4
	v_lshlrev_b32_e32 v3, v7, v3
	v_sub_u32_e32 v6, 29, v6
	v_and_b32_e32 v3, 7, v3
	v_cmp_eq_u16_e32 vcc, 0, v4
	v_cndmask_b32_e32 v2, v2, v3, vcc
	v_cndmask_b32_e32 v3, v4, v6, vcc
	v_lshlrev_b32_e32 v4, 16, v9
	v_mov_b32_e32 v6, 0x3b800000
	v_lshlrev_b32_e32 v2, 20, v2
	v_and_b32_e32 v4, 0x80000000, v4
	v_lshl_add_u32 v3, v3, 23, v6
	v_or3_b32 v2, v4, v3, v2
.LBB18_492:
	s_or_b64 exec, exec, s[6:7]
	v_lshrrev_b32_e32 v3, 8, v5
	s_movk_i32 s4, 0x7f
	v_cmp_gt_i16_sdwa s[6:7], v3, s4 src0_sel:BYTE_0 src1_sel:DWORD
	s_mov_b64 s[4:5], 0
                                        ; implicit-def: $sgpr10
	s_and_saveexec_b64 s[8:9], s[6:7]
	s_xor_b64 s[6:7], exec, s[8:9]
	s_cbranch_execnz .LBB18_2541
; %bb.493:
	s_or_saveexec_b64 s[6:7], s[6:7]
	v_mov_b32_e32 v4, s10
	s_xor_b64 exec, exec, s[6:7]
	s_cbranch_execnz .LBB18_2544
.LBB18_494:
	s_or_b64 exec, exec, s[6:7]
	s_and_saveexec_b64 s[6:7], s[4:5]
	s_cbranch_execz .LBB18_496
.LBB18_495:
	v_bfe_u32 v4, v5, 8, 3
	v_ffbh_u32_e32 v7, v4
	v_min_u32_e32 v7, 32, v7
	v_lshrrev_b16_e32 v6, 3, v3
	v_subrev_u32_e32 v8, 28, v7
	v_and_b32_e32 v6, 15, v6
	v_lshlrev_b32_e32 v3, v8, v3
	v_sub_u32_e32 v7, 29, v7
	v_and_b32_e32 v3, 7, v3
	v_cmp_eq_u16_e32 vcc, 0, v6
	v_cndmask_b32_e32 v3, v4, v3, vcc
	v_cndmask_b32_e32 v4, v6, v7, vcc
	v_lshlrev_b32_e32 v6, 16, v5
	v_mov_b32_e32 v7, 0x3b800000
	v_lshlrev_b32_e32 v3, 20, v3
	v_and_b32_e32 v6, 0x80000000, v6
	v_lshl_add_u32 v4, v4, 23, v7
	v_or3_b32 v4, v6, v4, v3
.LBB18_496:
	s_or_b64 exec, exec, s[6:7]
	s_nop 0
	v_mfma_f32_16x16x4f32 a[0:3], v2, v4, a[0:3]
	s_movk_i32 s4, 0xff
	v_and_b32_sdwa v3, v9, s4 dst_sel:DWORD dst_unused:UNUSED_PAD src0_sel:WORD_1 src1_sel:DWORD
	s_movk_i32 s4, 0x7f
	v_cmp_lt_i16_e32 vcc, s4, v3
	s_mov_b64 s[4:5], 0
                                        ; implicit-def: $sgpr10
	s_and_saveexec_b64 s[6:7], vcc
	s_xor_b64 s[6:7], exec, s[6:7]
	s_cbranch_execnz .LBB18_2545
; %bb.497:
	s_or_saveexec_b64 s[6:7], s[6:7]
	v_mov_b32_e32 v2, s10
	s_xor_b64 exec, exec, s[6:7]
	s_cbranch_execnz .LBB18_2548
.LBB18_498:
	s_or_b64 exec, exec, s[6:7]
	s_and_saveexec_b64 s[6:7], s[4:5]
	s_cbranch_execz .LBB18_500
.LBB18_499:
	v_bfe_u32 v2, v9, 16, 3
	v_ffbh_u32_e32 v6, v2
	v_min_u32_e32 v6, 32, v6
	v_lshrrev_b32_e32 v3, 19, v9
	v_subrev_u32_e32 v7, 28, v6
	v_and_b32_e32 v3, 15, v3
	v_lshlrev_b32_sdwa v7, v7, v9 dst_sel:DWORD dst_unused:UNUSED_PAD src0_sel:DWORD src1_sel:WORD_1
	v_bfe_u32 v4, v9, 19, 4
	v_sub_u32_e32 v6, 29, v6
	v_and_b32_e32 v7, 7, v7
	v_cmp_eq_u16_e32 vcc, 0, v3
	v_cndmask_b32_e32 v2, v2, v7, vcc
	v_cndmask_b32_e32 v3, v4, v6, vcc
	v_lshlrev_b32_e32 v4, 8, v9
	v_mov_b32_e32 v6, 0x3b800000
	v_lshlrev_b32_e32 v2, 20, v2
	v_and_b32_e32 v4, 0x80000000, v4
	v_lshl_add_u32 v3, v3, 23, v6
	v_or3_b32 v2, v4, v3, v2
.LBB18_500:
	s_or_b64 exec, exec, s[6:7]
	s_movk_i32 s4, 0xff
	v_and_b32_sdwa v3, v5, s4 dst_sel:DWORD dst_unused:UNUSED_PAD src0_sel:WORD_1 src1_sel:DWORD
	s_movk_i32 s4, 0x7f
	v_cmp_lt_i16_e32 vcc, s4, v3
	s_mov_b64 s[4:5], 0
                                        ; implicit-def: $sgpr10
	s_and_saveexec_b64 s[6:7], vcc
	s_xor_b64 s[6:7], exec, s[6:7]
	s_cbranch_execnz .LBB18_2549
; %bb.501:
	s_or_saveexec_b64 s[6:7], s[6:7]
	v_mov_b32_e32 v4, s10
	s_xor_b64 exec, exec, s[6:7]
	s_cbranch_execnz .LBB18_2552
.LBB18_502:
	s_or_b64 exec, exec, s[6:7]
	s_and_saveexec_b64 s[6:7], s[4:5]
	s_cbranch_execz .LBB18_504
.LBB18_503:
	v_bfe_u32 v3, v5, 16, 3
	v_ffbh_u32_e32 v7, v3
	v_min_u32_e32 v7, 32, v7
	v_lshrrev_b32_e32 v4, 19, v5
	v_subrev_u32_e32 v8, 28, v7
	v_and_b32_e32 v4, 15, v4
	v_lshlrev_b32_sdwa v8, v8, v5 dst_sel:DWORD dst_unused:UNUSED_PAD src0_sel:DWORD src1_sel:WORD_1
	v_bfe_u32 v6, v5, 19, 4
	v_sub_u32_e32 v7, 29, v7
	v_and_b32_e32 v8, 7, v8
	v_cmp_eq_u16_e32 vcc, 0, v4
	v_cndmask_b32_e32 v3, v3, v8, vcc
	v_cndmask_b32_e32 v4, v6, v7, vcc
	v_lshlrev_b32_e32 v6, 8, v5
	v_mov_b32_e32 v7, 0x3b800000
	v_lshlrev_b32_e32 v3, 20, v3
	v_and_b32_e32 v6, 0x80000000, v6
	v_lshl_add_u32 v4, v4, 23, v7
	v_or3_b32 v4, v6, v4, v3
.LBB18_504:
	s_or_b64 exec, exec, s[6:7]
	s_nop 0
	v_mfma_f32_16x16x4f32 a[0:3], v2, v4, a[0:3]
	s_movk_i32 s4, 0x7f
	v_cmp_gt_i16_sdwa s[6:7], v9, s4 src0_sel:BYTE_3 src1_sel:DWORD
	s_mov_b64 s[4:5], 0
                                        ; implicit-def: $sgpr10
	s_and_saveexec_b64 s[8:9], s[6:7]
	s_xor_b64 s[6:7], exec, s[8:9]
	s_cbranch_execnz .LBB18_2553
; %bb.505:
	s_or_saveexec_b64 s[6:7], s[6:7]
	v_mov_b32_e32 v2, s10
	s_xor_b64 exec, exec, s[6:7]
	s_cbranch_execnz .LBB18_2556
.LBB18_506:
	s_or_b64 exec, exec, s[6:7]
	s_and_saveexec_b64 s[6:7], s[4:5]
	s_cbranch_execz .LBB18_508
.LBB18_507:
	v_bfe_u32 v2, v9, 24, 3
	v_ffbh_u32_e32 v7, v2
	v_min_u32_e32 v7, 32, v7
	v_lshrrev_b32_e32 v4, 27, v9
	v_subrev_u32_e32 v8, 28, v7
	v_and_b32_e32 v4, 15, v4
	v_lshlrev_b32_sdwa v8, v8, v9 dst_sel:DWORD dst_unused:UNUSED_PAD src0_sel:DWORD src1_sel:BYTE_3
	v_bfe_u32 v6, v9, 27, 4
	v_sub_u32_e32 v7, 29, v7
	v_and_b32_e32 v8, 7, v8
	v_cmp_eq_u16_e32 vcc, 0, v4
	v_cndmask_b32_e32 v2, v2, v8, vcc
	v_cndmask_b32_e32 v4, v6, v7, vcc
	v_mov_b32_e32 v6, 0x3b800000
	v_and_b32_e32 v3, 0x80000000, v9
	v_lshlrev_b32_e32 v2, 20, v2
	v_lshl_add_u32 v4, v4, 23, v6
	v_or3_b32 v2, v3, v4, v2
.LBB18_508:
	s_or_b64 exec, exec, s[6:7]
	s_movk_i32 s4, 0x7f
	v_cmp_gt_i16_sdwa s[6:7], v5, s4 src0_sel:BYTE_3 src1_sel:DWORD
	s_mov_b64 s[4:5], 0
                                        ; implicit-def: $sgpr10
	s_and_saveexec_b64 s[8:9], s[6:7]
	s_xor_b64 s[6:7], exec, s[8:9]
	s_cbranch_execnz .LBB18_2557
; %bb.509:
	s_or_saveexec_b64 s[6:7], s[6:7]
	v_mov_b32_e32 v3, s10
	s_xor_b64 exec, exec, s[6:7]
	s_cbranch_execnz .LBB18_2560
.LBB18_510:
	s_or_b64 exec, exec, s[6:7]
	s_and_saveexec_b64 s[6:7], s[4:5]
	s_cbranch_execz .LBB18_512
.LBB18_511:
	v_bfe_u32 v3, v5, 24, 3
	v_ffbh_u32_e32 v8, v3
	v_min_u32_e32 v8, 32, v8
	v_lshrrev_b32_e32 v6, 27, v5
	v_subrev_u32_e32 v9, 28, v8
	v_and_b32_e32 v4, 0x80000000, v5
	v_and_b32_e32 v6, 15, v6
	v_bfe_u32 v7, v5, 27, 4
	v_lshlrev_b32_sdwa v5, v9, v5 dst_sel:DWORD dst_unused:UNUSED_PAD src0_sel:DWORD src1_sel:BYTE_3
	v_sub_u32_e32 v8, 29, v8
	v_and_b32_e32 v5, 7, v5
	v_cmp_eq_u16_e32 vcc, 0, v6
	v_cndmask_b32_e32 v3, v3, v5, vcc
	v_cndmask_b32_e32 v5, v7, v8, vcc
	v_mov_b32_e32 v6, 0x3b800000
	v_lshlrev_b32_e32 v3, 20, v3
	v_lshl_add_u32 v5, v5, 23, v6
	v_or3_b32 v3, v4, v5, v3
.LBB18_512:
	s_or_b64 exec, exec, s[6:7]
	s_nop 0
	v_mfma_f32_16x16x4f32 a[0:3], v2, v3, a[0:3]
	s_movk_i32 s4, 0x7f
                                        ; implicit-def: $sgpr10
	s_nop 7
	s_nop 1
	flat_store_dwordx4 v[18:19], a[0:3] offset:16
	flat_load_dwordx4 v[20:23], v[0:1] offset:8
	s_nop 0
	flat_load_dwordx2 v[18:19], v[0:1] offset:24
	s_waitcnt vmcnt(0) lgkmcnt(0)
	flat_load_dwordx4 v[14:17], v[20:21]
	flat_load_dwordx4 v[6:9], v[20:21] offset:16
	flat_load_dwordx4 v[10:13], v[22:23] offset:64
	flat_load_dwordx4 v[2:5], v[22:23] offset:80
	s_waitcnt vmcnt(0) lgkmcnt(0)
	v_cmp_gt_i16_sdwa s[6:7], v14, s4 src0_sel:BYTE_0 src1_sel:DWORD
	s_mov_b64 s[4:5], 0
	s_and_saveexec_b64 s[8:9], s[6:7]
	s_xor_b64 s[6:7], exec, s[8:9]
	s_cbranch_execnz .LBB18_2561
; %bb.513:
	s_or_saveexec_b64 s[6:7], s[6:7]
	v_mov_b32_e32 v20, s10
	s_xor_b64 exec, exec, s[6:7]
	s_cbranch_execnz .LBB18_2564
.LBB18_514:
	s_or_b64 exec, exec, s[6:7]
	s_and_saveexec_b64 s[6:7], s[4:5]
	s_cbranch_execz .LBB18_516
.LBB18_515:
	v_and_b32_e32 v20, 7, v14
	v_ffbh_u32_e32 v22, v20
	v_min_u32_e32 v22, 32, v22
	v_lshrrev_b16_e32 v21, 3, v14
	v_subrev_u32_e32 v23, 28, v22
	v_and_b32_e32 v21, 15, v21
	v_lshlrev_b32_e32 v23, v23, v14
	v_sub_u32_e32 v22, 29, v22
	v_and_b32_e32 v23, 7, v23
	v_cmp_eq_u16_e32 vcc, 0, v21
	v_cndmask_b32_e32 v20, v20, v23, vcc
	v_cndmask_b32_e32 v21, v21, v22, vcc
	v_lshlrev_b32_e32 v22, 24, v14
	v_mov_b32_e32 v23, 0x3b800000
	v_lshlrev_b32_e32 v20, 20, v20
	v_and_b32_e32 v22, 0x80000000, v22
	v_lshl_add_u32 v21, v21, 23, v23
	v_or3_b32 v20, v22, v21, v20
.LBB18_516:
	s_or_b64 exec, exec, s[6:7]
	s_movk_i32 s4, 0x7f
	v_cmp_gt_i16_sdwa s[6:7], v10, s4 src0_sel:BYTE_0 src1_sel:DWORD
	s_mov_b64 s[4:5], 0
                                        ; implicit-def: $sgpr10
	s_and_saveexec_b64 s[8:9], s[6:7]
	s_xor_b64 s[6:7], exec, s[8:9]
	s_cbranch_execnz .LBB18_2565
; %bb.517:
	s_or_saveexec_b64 s[6:7], s[6:7]
	v_mov_b32_e32 v21, s10
	s_xor_b64 exec, exec, s[6:7]
	s_cbranch_execnz .LBB18_2568
.LBB18_518:
	s_or_b64 exec, exec, s[6:7]
	s_and_saveexec_b64 s[6:7], s[4:5]
	s_cbranch_execz .LBB18_520
.LBB18_519:
	v_and_b32_e32 v21, 7, v10
	v_ffbh_u32_e32 v23, v21
	v_min_u32_e32 v23, 32, v23
	v_lshrrev_b16_e32 v22, 3, v10
	v_subrev_u32_e32 v24, 28, v23
	v_and_b32_e32 v22, 15, v22
	v_lshlrev_b32_e32 v24, v24, v10
	v_sub_u32_e32 v23, 29, v23
	v_and_b32_e32 v24, 7, v24
	v_cmp_eq_u16_e32 vcc, 0, v22
	v_cndmask_b32_e32 v21, v21, v24, vcc
	v_cndmask_b32_e32 v22, v22, v23, vcc
	v_lshlrev_b32_e32 v23, 24, v10
	v_mov_b32_e32 v24, 0x3b800000
	v_lshlrev_b32_e32 v21, 20, v21
	v_and_b32_e32 v23, 0x80000000, v23
	v_lshl_add_u32 v22, v22, 23, v24
	v_or3_b32 v21, v23, v22, v21
.LBB18_520:
	s_or_b64 exec, exec, s[6:7]
	flat_load_dwordx4 a[0:3], v[18:19] offset:32
	s_movk_i32 s4, 0x7f
                                        ; implicit-def: $sgpr10
	s_waitcnt vmcnt(0) lgkmcnt(0)
	v_mfma_f32_16x16x4f32 a[0:3], v20, v21, a[0:3]
	v_lshrrev_b32_e32 v21, 8, v14
	v_cmp_gt_i16_sdwa s[6:7], v21, s4 src0_sel:BYTE_0 src1_sel:DWORD
	s_mov_b64 s[4:5], 0
	s_and_saveexec_b64 s[8:9], s[6:7]
	s_xor_b64 s[6:7], exec, s[8:9]
	s_cbranch_execnz .LBB18_2569
; %bb.521:
	s_or_saveexec_b64 s[6:7], s[6:7]
	v_mov_b32_e32 v20, s10
	s_xor_b64 exec, exec, s[6:7]
	s_cbranch_execnz .LBB18_2572
.LBB18_522:
	s_or_b64 exec, exec, s[6:7]
	s_and_saveexec_b64 s[6:7], s[4:5]
	s_cbranch_execz .LBB18_524
.LBB18_523:
	v_bfe_u32 v20, v14, 8, 3
	v_ffbh_u32_e32 v23, v20
	v_min_u32_e32 v23, 32, v23
	v_lshrrev_b16_e32 v22, 3, v21
	v_subrev_u32_e32 v24, 28, v23
	v_and_b32_e32 v22, 15, v22
	v_lshlrev_b32_e32 v21, v24, v21
	v_sub_u32_e32 v23, 29, v23
	v_and_b32_e32 v21, 7, v21
	v_cmp_eq_u16_e32 vcc, 0, v22
	v_cndmask_b32_e32 v20, v20, v21, vcc
	v_cndmask_b32_e32 v21, v22, v23, vcc
	v_lshlrev_b32_e32 v22, 16, v14
	v_mov_b32_e32 v23, 0x3b800000
	v_lshlrev_b32_e32 v20, 20, v20
	v_and_b32_e32 v22, 0x80000000, v22
	v_lshl_add_u32 v21, v21, 23, v23
	v_or3_b32 v20, v22, v21, v20
.LBB18_524:
	s_or_b64 exec, exec, s[6:7]
	v_lshrrev_b32_e32 v21, 8, v10
	s_movk_i32 s4, 0x7f
	v_cmp_gt_i16_sdwa s[6:7], v21, s4 src0_sel:BYTE_0 src1_sel:DWORD
	s_mov_b64 s[4:5], 0
                                        ; implicit-def: $sgpr10
	s_and_saveexec_b64 s[8:9], s[6:7]
	s_xor_b64 s[6:7], exec, s[8:9]
	s_cbranch_execnz .LBB18_2573
; %bb.525:
	s_or_saveexec_b64 s[6:7], s[6:7]
	v_mov_b32_e32 v22, s10
	s_xor_b64 exec, exec, s[6:7]
	s_cbranch_execnz .LBB18_2576
.LBB18_526:
	s_or_b64 exec, exec, s[6:7]
	s_and_saveexec_b64 s[6:7], s[4:5]
	s_cbranch_execz .LBB18_528
.LBB18_527:
	v_bfe_u32 v22, v10, 8, 3
	v_ffbh_u32_e32 v24, v22
	v_min_u32_e32 v24, 32, v24
	v_lshrrev_b16_e32 v23, 3, v21
	v_subrev_u32_e32 v25, 28, v24
	v_and_b32_e32 v23, 15, v23
	v_lshlrev_b32_e32 v21, v25, v21
	v_sub_u32_e32 v24, 29, v24
	v_and_b32_e32 v21, 7, v21
	v_cmp_eq_u16_e32 vcc, 0, v23
	v_cndmask_b32_e32 v21, v22, v21, vcc
	v_cndmask_b32_e32 v22, v23, v24, vcc
	v_lshlrev_b32_e32 v23, 16, v10
	v_mov_b32_e32 v24, 0x3b800000
	v_lshlrev_b32_e32 v21, 20, v21
	v_and_b32_e32 v23, 0x80000000, v23
	v_lshl_add_u32 v22, v22, 23, v24
	v_or3_b32 v22, v23, v22, v21
.LBB18_528:
	s_or_b64 exec, exec, s[6:7]
	s_nop 0
	v_mfma_f32_16x16x4f32 a[0:3], v20, v22, a[0:3]
	s_movk_i32 s4, 0xff
	v_and_b32_sdwa v21, v14, s4 dst_sel:DWORD dst_unused:UNUSED_PAD src0_sel:WORD_1 src1_sel:DWORD
	s_movk_i32 s4, 0x7f
	v_cmp_lt_i16_e32 vcc, s4, v21
	s_mov_b64 s[4:5], 0
                                        ; implicit-def: $sgpr10
	s_and_saveexec_b64 s[6:7], vcc
	s_xor_b64 s[6:7], exec, s[6:7]
	s_cbranch_execnz .LBB18_2577
; %bb.529:
	s_or_saveexec_b64 s[6:7], s[6:7]
	v_mov_b32_e32 v20, s10
	s_xor_b64 exec, exec, s[6:7]
	s_cbranch_execnz .LBB18_2580
.LBB18_530:
	s_or_b64 exec, exec, s[6:7]
	s_and_saveexec_b64 s[6:7], s[4:5]
	s_cbranch_execz .LBB18_532
.LBB18_531:
	v_bfe_u32 v20, v14, 16, 3
	v_ffbh_u32_e32 v23, v20
	v_min_u32_e32 v23, 32, v23
	v_lshrrev_b32_e32 v21, 19, v14
	v_subrev_u32_e32 v24, 28, v23
	v_and_b32_e32 v21, 15, v21
	v_lshlrev_b32_sdwa v24, v24, v14 dst_sel:DWORD dst_unused:UNUSED_PAD src0_sel:DWORD src1_sel:WORD_1
	v_bfe_u32 v22, v14, 19, 4
	v_sub_u32_e32 v23, 29, v23
	v_and_b32_e32 v24, 7, v24
	v_cmp_eq_u16_e32 vcc, 0, v21
	v_cndmask_b32_e32 v20, v20, v24, vcc
	v_cndmask_b32_e32 v21, v22, v23, vcc
	v_lshlrev_b32_e32 v22, 8, v14
	v_mov_b32_e32 v23, 0x3b800000
	v_lshlrev_b32_e32 v20, 20, v20
	v_and_b32_e32 v22, 0x80000000, v22
	v_lshl_add_u32 v21, v21, 23, v23
	v_or3_b32 v20, v22, v21, v20
.LBB18_532:
	s_or_b64 exec, exec, s[6:7]
	s_movk_i32 s4, 0xff
	v_and_b32_sdwa v21, v10, s4 dst_sel:DWORD dst_unused:UNUSED_PAD src0_sel:WORD_1 src1_sel:DWORD
	s_movk_i32 s4, 0x7f
	v_cmp_lt_i16_e32 vcc, s4, v21
	s_mov_b64 s[4:5], 0
                                        ; implicit-def: $sgpr10
	s_and_saveexec_b64 s[6:7], vcc
	s_xor_b64 s[6:7], exec, s[6:7]
	s_cbranch_execnz .LBB18_2581
; %bb.533:
	s_or_saveexec_b64 s[6:7], s[6:7]
	v_mov_b32_e32 v22, s10
	s_xor_b64 exec, exec, s[6:7]
	s_cbranch_execnz .LBB18_2584
.LBB18_534:
	s_or_b64 exec, exec, s[6:7]
	s_and_saveexec_b64 s[6:7], s[4:5]
	s_cbranch_execz .LBB18_536
.LBB18_535:
	v_bfe_u32 v21, v10, 16, 3
	v_ffbh_u32_e32 v24, v21
	v_min_u32_e32 v24, 32, v24
	v_lshrrev_b32_e32 v22, 19, v10
	v_subrev_u32_e32 v25, 28, v24
	v_and_b32_e32 v22, 15, v22
	v_lshlrev_b32_sdwa v25, v25, v10 dst_sel:DWORD dst_unused:UNUSED_PAD src0_sel:DWORD src1_sel:WORD_1
	v_bfe_u32 v23, v10, 19, 4
	v_sub_u32_e32 v24, 29, v24
	v_and_b32_e32 v25, 7, v25
	v_cmp_eq_u16_e32 vcc, 0, v22
	v_cndmask_b32_e32 v21, v21, v25, vcc
	v_cndmask_b32_e32 v22, v23, v24, vcc
	v_lshlrev_b32_e32 v23, 8, v10
	v_mov_b32_e32 v24, 0x3b800000
	v_lshlrev_b32_e32 v21, 20, v21
	v_and_b32_e32 v23, 0x80000000, v23
	v_lshl_add_u32 v22, v22, 23, v24
	v_or3_b32 v22, v23, v22, v21
.LBB18_536:
	s_or_b64 exec, exec, s[6:7]
	s_nop 0
	v_mfma_f32_16x16x4f32 a[0:3], v20, v22, a[0:3]
	s_movk_i32 s4, 0x7f
	v_cmp_gt_i16_sdwa s[6:7], v14, s4 src0_sel:BYTE_3 src1_sel:DWORD
	s_mov_b64 s[4:5], 0
                                        ; implicit-def: $sgpr10
	s_and_saveexec_b64 s[8:9], s[6:7]
	s_xor_b64 s[6:7], exec, s[8:9]
	s_cbranch_execnz .LBB18_2585
; %bb.537:
	s_or_saveexec_b64 s[6:7], s[6:7]
	v_mov_b32_e32 v20, s10
	s_xor_b64 exec, exec, s[6:7]
	s_cbranch_execnz .LBB18_2588
.LBB18_538:
	s_or_b64 exec, exec, s[6:7]
	s_and_saveexec_b64 s[6:7], s[4:5]
	s_cbranch_execz .LBB18_540
.LBB18_539:
	v_bfe_u32 v20, v14, 24, 3
	v_ffbh_u32_e32 v24, v20
	v_min_u32_e32 v24, 32, v24
	v_lshrrev_b32_e32 v22, 27, v14
	v_subrev_u32_e32 v25, 28, v24
	v_and_b32_e32 v21, 0x80000000, v14
	v_and_b32_e32 v22, 15, v22
	v_bfe_u32 v23, v14, 27, 4
	v_lshlrev_b32_sdwa v14, v25, v14 dst_sel:DWORD dst_unused:UNUSED_PAD src0_sel:DWORD src1_sel:BYTE_3
	v_sub_u32_e32 v24, 29, v24
	v_and_b32_e32 v14, 7, v14
	v_cmp_eq_u16_e32 vcc, 0, v22
	v_cndmask_b32_e32 v14, v20, v14, vcc
	v_cndmask_b32_e32 v20, v23, v24, vcc
	v_mov_b32_e32 v22, 0x3b800000
	v_lshlrev_b32_e32 v14, 20, v14
	v_lshl_add_u32 v20, v20, 23, v22
	v_or3_b32 v20, v21, v20, v14
.LBB18_540:
	s_or_b64 exec, exec, s[6:7]
	s_movk_i32 s4, 0x7f
	v_cmp_gt_i16_sdwa s[6:7], v10, s4 src0_sel:BYTE_3 src1_sel:DWORD
	s_mov_b64 s[4:5], 0
                                        ; implicit-def: $sgpr10
	s_and_saveexec_b64 s[8:9], s[6:7]
	s_xor_b64 s[6:7], exec, s[8:9]
	s_cbranch_execnz .LBB18_2589
; %bb.541:
	s_or_saveexec_b64 s[6:7], s[6:7]
	v_mov_b32_e32 v14, s10
	s_xor_b64 exec, exec, s[6:7]
	s_cbranch_execnz .LBB18_2592
.LBB18_542:
	s_or_b64 exec, exec, s[6:7]
	s_and_saveexec_b64 s[6:7], s[4:5]
	s_cbranch_execz .LBB18_544
.LBB18_543:
	v_bfe_u32 v14, v10, 24, 3
	v_ffbh_u32_e32 v24, v14
	v_min_u32_e32 v24, 32, v24
	v_lshrrev_b32_e32 v22, 27, v10
	v_subrev_u32_e32 v25, 28, v24
	v_and_b32_e32 v21, 0x80000000, v10
	v_and_b32_e32 v22, 15, v22
	v_bfe_u32 v23, v10, 27, 4
	v_lshlrev_b32_sdwa v10, v25, v10 dst_sel:DWORD dst_unused:UNUSED_PAD src0_sel:DWORD src1_sel:BYTE_3
	v_sub_u32_e32 v24, 29, v24
	v_and_b32_e32 v10, 7, v10
	v_cmp_eq_u16_e32 vcc, 0, v22
	v_cndmask_b32_e32 v10, v14, v10, vcc
	v_cndmask_b32_e32 v14, v23, v24, vcc
	v_mov_b32_e32 v22, 0x3b800000
	v_lshlrev_b32_e32 v10, 20, v10
	v_lshl_add_u32 v14, v14, 23, v22
	v_or3_b32 v14, v21, v14, v10
.LBB18_544:
	s_or_b64 exec, exec, s[6:7]
	s_nop 0
	v_mfma_f32_16x16x4f32 a[0:3], v20, v14, a[0:3]
	s_movk_i32 s4, 0x7f
	v_cmp_gt_i16_sdwa s[6:7], v15, s4 src0_sel:BYTE_0 src1_sel:DWORD
	s_mov_b64 s[4:5], 0
                                        ; implicit-def: $sgpr10
	s_and_saveexec_b64 s[8:9], s[6:7]
	s_xor_b64 s[6:7], exec, s[8:9]
	s_cbranch_execnz .LBB18_2593
; %bb.545:
	s_or_saveexec_b64 s[6:7], s[6:7]
	v_mov_b32_e32 v10, s10
	s_xor_b64 exec, exec, s[6:7]
	s_cbranch_execnz .LBB18_2596
.LBB18_546:
	s_or_b64 exec, exec, s[6:7]
	s_and_saveexec_b64 s[6:7], s[4:5]
	s_cbranch_execz .LBB18_548
.LBB18_547:
	v_and_b32_e32 v10, 7, v15
	v_ffbh_u32_e32 v20, v10
	v_min_u32_e32 v20, 32, v20
	v_lshrrev_b16_e32 v14, 3, v15
	v_subrev_u32_e32 v21, 28, v20
	v_and_b32_e32 v14, 15, v14
	v_lshlrev_b32_e32 v21, v21, v15
	v_sub_u32_e32 v20, 29, v20
	v_and_b32_e32 v21, 7, v21
	v_cmp_eq_u16_e32 vcc, 0, v14
	v_cndmask_b32_e32 v10, v10, v21, vcc
	v_cndmask_b32_e32 v14, v14, v20, vcc
	v_lshlrev_b32_e32 v20, 24, v15
	v_mov_b32_e32 v21, 0x3b800000
	v_lshlrev_b32_e32 v10, 20, v10
	v_and_b32_e32 v20, 0x80000000, v20
	v_lshl_add_u32 v14, v14, 23, v21
	v_or3_b32 v10, v20, v14, v10
.LBB18_548:
	s_or_b64 exec, exec, s[6:7]
	s_movk_i32 s4, 0x7f
	v_cmp_gt_i16_sdwa s[6:7], v11, s4 src0_sel:BYTE_0 src1_sel:DWORD
	s_mov_b64 s[4:5], 0
                                        ; implicit-def: $sgpr10
	s_and_saveexec_b64 s[8:9], s[6:7]
	s_xor_b64 s[6:7], exec, s[8:9]
	s_cbranch_execnz .LBB18_2597
; %bb.549:
	s_or_saveexec_b64 s[6:7], s[6:7]
	v_mov_b32_e32 v14, s10
	s_xor_b64 exec, exec, s[6:7]
	s_cbranch_execnz .LBB18_2600
.LBB18_550:
	s_or_b64 exec, exec, s[6:7]
	s_and_saveexec_b64 s[6:7], s[4:5]
	s_cbranch_execz .LBB18_552
.LBB18_551:
	v_and_b32_e32 v14, 7, v11
	v_ffbh_u32_e32 v21, v14
	v_min_u32_e32 v21, 32, v21
	v_lshrrev_b16_e32 v20, 3, v11
	v_subrev_u32_e32 v22, 28, v21
	v_and_b32_e32 v20, 15, v20
	v_lshlrev_b32_e32 v22, v22, v11
	v_sub_u32_e32 v21, 29, v21
	v_and_b32_e32 v22, 7, v22
	v_cmp_eq_u16_e32 vcc, 0, v20
	v_cndmask_b32_e32 v14, v14, v22, vcc
	v_cndmask_b32_e32 v20, v20, v21, vcc
	v_lshlrev_b32_e32 v21, 24, v11
	v_mov_b32_e32 v22, 0x3b800000
	v_lshlrev_b32_e32 v14, 20, v14
	v_and_b32_e32 v21, 0x80000000, v21
	v_lshl_add_u32 v20, v20, 23, v22
	v_or3_b32 v14, v21, v20, v14
.LBB18_552:
	s_or_b64 exec, exec, s[6:7]
	s_nop 0
	v_mfma_f32_16x16x4f32 a[0:3], v10, v14, a[0:3]
	v_lshrrev_b32_e32 v14, 8, v15
	s_movk_i32 s4, 0x7f
	v_cmp_gt_i16_sdwa s[6:7], v14, s4 src0_sel:BYTE_0 src1_sel:DWORD
	s_mov_b64 s[4:5], 0
                                        ; implicit-def: $sgpr10
	s_and_saveexec_b64 s[8:9], s[6:7]
	s_xor_b64 s[6:7], exec, s[8:9]
	s_cbranch_execnz .LBB18_2601
; %bb.553:
	s_or_saveexec_b64 s[6:7], s[6:7]
	v_mov_b32_e32 v10, s10
	s_xor_b64 exec, exec, s[6:7]
	s_cbranch_execnz .LBB18_2604
.LBB18_554:
	s_or_b64 exec, exec, s[6:7]
	s_and_saveexec_b64 s[6:7], s[4:5]
	s_cbranch_execz .LBB18_556
.LBB18_555:
	v_bfe_u32 v10, v15, 8, 3
	v_ffbh_u32_e32 v21, v10
	v_min_u32_e32 v21, 32, v21
	v_lshrrev_b16_e32 v20, 3, v14
	v_subrev_u32_e32 v22, 28, v21
	v_and_b32_e32 v20, 15, v20
	v_lshlrev_b32_e32 v14, v22, v14
	v_sub_u32_e32 v21, 29, v21
	v_and_b32_e32 v14, 7, v14
	v_cmp_eq_u16_e32 vcc, 0, v20
	v_cndmask_b32_e32 v10, v10, v14, vcc
	v_cndmask_b32_e32 v14, v20, v21, vcc
	v_lshlrev_b32_e32 v20, 16, v15
	v_mov_b32_e32 v21, 0x3b800000
	v_lshlrev_b32_e32 v10, 20, v10
	v_and_b32_e32 v20, 0x80000000, v20
	v_lshl_add_u32 v14, v14, 23, v21
	v_or3_b32 v10, v20, v14, v10
.LBB18_556:
	s_or_b64 exec, exec, s[6:7]
	v_lshrrev_b32_e32 v14, 8, v11
	s_movk_i32 s4, 0x7f
	v_cmp_gt_i16_sdwa s[6:7], v14, s4 src0_sel:BYTE_0 src1_sel:DWORD
	s_mov_b64 s[4:5], 0
                                        ; implicit-def: $sgpr10
	s_and_saveexec_b64 s[8:9], s[6:7]
	s_xor_b64 s[6:7], exec, s[8:9]
	s_cbranch_execnz .LBB18_2605
; %bb.557:
	s_or_saveexec_b64 s[6:7], s[6:7]
	v_mov_b32_e32 v20, s10
	s_xor_b64 exec, exec, s[6:7]
	s_cbranch_execnz .LBB18_2608
.LBB18_558:
	s_or_b64 exec, exec, s[6:7]
	s_and_saveexec_b64 s[6:7], s[4:5]
	s_cbranch_execz .LBB18_560
.LBB18_559:
	v_bfe_u32 v20, v11, 8, 3
	v_ffbh_u32_e32 v22, v20
	v_min_u32_e32 v22, 32, v22
	v_lshrrev_b16_e32 v21, 3, v14
	v_subrev_u32_e32 v23, 28, v22
	v_and_b32_e32 v21, 15, v21
	v_lshlrev_b32_e32 v14, v23, v14
	v_sub_u32_e32 v22, 29, v22
	v_and_b32_e32 v14, 7, v14
	v_cmp_eq_u16_e32 vcc, 0, v21
	v_cndmask_b32_e32 v14, v20, v14, vcc
	v_cndmask_b32_e32 v20, v21, v22, vcc
	v_lshlrev_b32_e32 v21, 16, v11
	v_mov_b32_e32 v22, 0x3b800000
	v_lshlrev_b32_e32 v14, 20, v14
	v_and_b32_e32 v21, 0x80000000, v21
	v_lshl_add_u32 v20, v20, 23, v22
	v_or3_b32 v20, v21, v20, v14
.LBB18_560:
	s_or_b64 exec, exec, s[6:7]
	s_nop 0
	v_mfma_f32_16x16x4f32 a[0:3], v10, v20, a[0:3]
	s_movk_i32 s4, 0xff
	v_and_b32_sdwa v14, v15, s4 dst_sel:DWORD dst_unused:UNUSED_PAD src0_sel:WORD_1 src1_sel:DWORD
	s_movk_i32 s4, 0x7f
	v_cmp_lt_i16_e32 vcc, s4, v14
	s_mov_b64 s[4:5], 0
                                        ; implicit-def: $sgpr10
	s_and_saveexec_b64 s[6:7], vcc
	s_xor_b64 s[6:7], exec, s[6:7]
	s_cbranch_execnz .LBB18_2609
; %bb.561:
	s_or_saveexec_b64 s[6:7], s[6:7]
	v_mov_b32_e32 v10, s10
	s_xor_b64 exec, exec, s[6:7]
	s_cbranch_execnz .LBB18_2612
.LBB18_562:
	s_or_b64 exec, exec, s[6:7]
	s_and_saveexec_b64 s[6:7], s[4:5]
	s_cbranch_execz .LBB18_564
.LBB18_563:
	v_bfe_u32 v10, v15, 16, 3
	v_ffbh_u32_e32 v21, v10
	v_min_u32_e32 v21, 32, v21
	v_lshrrev_b32_e32 v14, 19, v15
	v_subrev_u32_e32 v22, 28, v21
	v_and_b32_e32 v14, 15, v14
	v_lshlrev_b32_sdwa v22, v22, v15 dst_sel:DWORD dst_unused:UNUSED_PAD src0_sel:DWORD src1_sel:WORD_1
	v_bfe_u32 v20, v15, 19, 4
	v_sub_u32_e32 v21, 29, v21
	v_and_b32_e32 v22, 7, v22
	v_cmp_eq_u16_e32 vcc, 0, v14
	v_cndmask_b32_e32 v10, v10, v22, vcc
	v_cndmask_b32_e32 v14, v20, v21, vcc
	v_lshlrev_b32_e32 v20, 8, v15
	v_mov_b32_e32 v21, 0x3b800000
	v_lshlrev_b32_e32 v10, 20, v10
	v_and_b32_e32 v20, 0x80000000, v20
	v_lshl_add_u32 v14, v14, 23, v21
	v_or3_b32 v10, v20, v14, v10
.LBB18_564:
	s_or_b64 exec, exec, s[6:7]
	s_movk_i32 s4, 0xff
	v_and_b32_sdwa v14, v11, s4 dst_sel:DWORD dst_unused:UNUSED_PAD src0_sel:WORD_1 src1_sel:DWORD
	s_movk_i32 s4, 0x7f
	v_cmp_lt_i16_e32 vcc, s4, v14
	s_mov_b64 s[4:5], 0
                                        ; implicit-def: $sgpr10
	s_and_saveexec_b64 s[6:7], vcc
	s_xor_b64 s[6:7], exec, s[6:7]
	s_cbranch_execnz .LBB18_2613
; %bb.565:
	s_or_saveexec_b64 s[6:7], s[6:7]
	v_mov_b32_e32 v20, s10
	s_xor_b64 exec, exec, s[6:7]
	s_cbranch_execnz .LBB18_2616
.LBB18_566:
	s_or_b64 exec, exec, s[6:7]
	s_and_saveexec_b64 s[6:7], s[4:5]
	s_cbranch_execz .LBB18_568
.LBB18_567:
	v_bfe_u32 v14, v11, 16, 3
	v_ffbh_u32_e32 v22, v14
	v_min_u32_e32 v22, 32, v22
	v_lshrrev_b32_e32 v20, 19, v11
	v_subrev_u32_e32 v23, 28, v22
	v_and_b32_e32 v20, 15, v20
	v_lshlrev_b32_sdwa v23, v23, v11 dst_sel:DWORD dst_unused:UNUSED_PAD src0_sel:DWORD src1_sel:WORD_1
	v_bfe_u32 v21, v11, 19, 4
	v_sub_u32_e32 v22, 29, v22
	v_and_b32_e32 v23, 7, v23
	v_cmp_eq_u16_e32 vcc, 0, v20
	v_cndmask_b32_e32 v14, v14, v23, vcc
	v_cndmask_b32_e32 v20, v21, v22, vcc
	v_lshlrev_b32_e32 v21, 8, v11
	v_mov_b32_e32 v22, 0x3b800000
	v_lshlrev_b32_e32 v14, 20, v14
	v_and_b32_e32 v21, 0x80000000, v21
	v_lshl_add_u32 v20, v20, 23, v22
	v_or3_b32 v20, v21, v20, v14
.LBB18_568:
	s_or_b64 exec, exec, s[6:7]
	s_nop 0
	v_mfma_f32_16x16x4f32 a[0:3], v10, v20, a[0:3]
	s_movk_i32 s4, 0x7f
	v_cmp_gt_i16_sdwa s[6:7], v15, s4 src0_sel:BYTE_3 src1_sel:DWORD
	s_mov_b64 s[4:5], 0
                                        ; implicit-def: $sgpr10
	s_and_saveexec_b64 s[8:9], s[6:7]
	s_xor_b64 s[6:7], exec, s[8:9]
	s_cbranch_execnz .LBB18_2617
; %bb.569:
	s_or_saveexec_b64 s[6:7], s[6:7]
	v_mov_b32_e32 v10, s10
	s_xor_b64 exec, exec, s[6:7]
	s_cbranch_execnz .LBB18_2620
.LBB18_570:
	s_or_b64 exec, exec, s[6:7]
	s_and_saveexec_b64 s[6:7], s[4:5]
	s_cbranch_execz .LBB18_572
.LBB18_571:
	v_bfe_u32 v10, v15, 24, 3
	v_ffbh_u32_e32 v22, v10
	v_min_u32_e32 v22, 32, v22
	v_lshrrev_b32_e32 v20, 27, v15
	v_subrev_u32_e32 v23, 28, v22
	v_and_b32_e32 v14, 0x80000000, v15
	v_and_b32_e32 v20, 15, v20
	v_bfe_u32 v21, v15, 27, 4
	v_lshlrev_b32_sdwa v15, v23, v15 dst_sel:DWORD dst_unused:UNUSED_PAD src0_sel:DWORD src1_sel:BYTE_3
	v_sub_u32_e32 v22, 29, v22
	v_and_b32_e32 v15, 7, v15
	v_cmp_eq_u16_e32 vcc, 0, v20
	v_cndmask_b32_e32 v10, v10, v15, vcc
	v_cndmask_b32_e32 v15, v21, v22, vcc
	v_mov_b32_e32 v20, 0x3b800000
	v_lshlrev_b32_e32 v10, 20, v10
	v_lshl_add_u32 v15, v15, 23, v20
	v_or3_b32 v10, v14, v15, v10
.LBB18_572:
	s_or_b64 exec, exec, s[6:7]
	s_movk_i32 s4, 0x7f
	v_cmp_gt_i16_sdwa s[6:7], v11, s4 src0_sel:BYTE_3 src1_sel:DWORD
	s_mov_b64 s[4:5], 0
                                        ; implicit-def: $sgpr10
	s_and_saveexec_b64 s[8:9], s[6:7]
	s_xor_b64 s[6:7], exec, s[8:9]
	s_cbranch_execnz .LBB18_2621
; %bb.573:
	s_or_saveexec_b64 s[6:7], s[6:7]
	v_mov_b32_e32 v14, s10
	s_xor_b64 exec, exec, s[6:7]
	s_cbranch_execnz .LBB18_2624
.LBB18_574:
	s_or_b64 exec, exec, s[6:7]
	s_and_saveexec_b64 s[6:7], s[4:5]
	s_cbranch_execz .LBB18_576
.LBB18_575:
	v_bfe_u32 v14, v11, 24, 3
	v_ffbh_u32_e32 v22, v14
	v_min_u32_e32 v22, 32, v22
	v_lshrrev_b32_e32 v20, 27, v11
	v_subrev_u32_e32 v23, 28, v22
	v_and_b32_e32 v15, 0x80000000, v11
	v_and_b32_e32 v20, 15, v20
	v_bfe_u32 v21, v11, 27, 4
	v_lshlrev_b32_sdwa v11, v23, v11 dst_sel:DWORD dst_unused:UNUSED_PAD src0_sel:DWORD src1_sel:BYTE_3
	v_sub_u32_e32 v22, 29, v22
	v_and_b32_e32 v11, 7, v11
	v_cmp_eq_u16_e32 vcc, 0, v20
	v_cndmask_b32_e32 v11, v14, v11, vcc
	v_cndmask_b32_e32 v14, v21, v22, vcc
	v_mov_b32_e32 v20, 0x3b800000
	v_lshlrev_b32_e32 v11, 20, v11
	v_lshl_add_u32 v14, v14, 23, v20
	v_or3_b32 v14, v15, v14, v11
.LBB18_576:
	s_or_b64 exec, exec, s[6:7]
	s_nop 0
	v_mfma_f32_16x16x4f32 a[0:3], v10, v14, a[0:3]
	s_movk_i32 s4, 0x7f
	v_cmp_gt_i16_sdwa s[6:7], v16, s4 src0_sel:BYTE_0 src1_sel:DWORD
	s_mov_b64 s[4:5], 0
                                        ; implicit-def: $sgpr10
	s_and_saveexec_b64 s[8:9], s[6:7]
	s_xor_b64 s[6:7], exec, s[8:9]
	s_cbranch_execnz .LBB18_2625
; %bb.577:
	s_or_saveexec_b64 s[6:7], s[6:7]
	v_mov_b32_e32 v10, s10
	s_xor_b64 exec, exec, s[6:7]
	s_cbranch_execnz .LBB18_2628
.LBB18_578:
	s_or_b64 exec, exec, s[6:7]
	s_and_saveexec_b64 s[6:7], s[4:5]
	s_cbranch_execz .LBB18_580
.LBB18_579:
	v_and_b32_e32 v10, 7, v16
	v_ffbh_u32_e32 v14, v10
	v_min_u32_e32 v14, 32, v14
	v_lshrrev_b16_e32 v11, 3, v16
	v_subrev_u32_e32 v15, 28, v14
	v_and_b32_e32 v11, 15, v11
	v_lshlrev_b32_e32 v15, v15, v16
	v_sub_u32_e32 v14, 29, v14
	v_and_b32_e32 v15, 7, v15
	v_cmp_eq_u16_e32 vcc, 0, v11
	v_cndmask_b32_e32 v10, v10, v15, vcc
	v_cndmask_b32_e32 v11, v11, v14, vcc
	v_lshlrev_b32_e32 v14, 24, v16
	v_mov_b32_e32 v15, 0x3b800000
	v_lshlrev_b32_e32 v10, 20, v10
	v_and_b32_e32 v14, 0x80000000, v14
	v_lshl_add_u32 v11, v11, 23, v15
	v_or3_b32 v10, v14, v11, v10
.LBB18_580:
	s_or_b64 exec, exec, s[6:7]
	s_movk_i32 s4, 0x7f
	v_cmp_gt_i16_sdwa s[6:7], v12, s4 src0_sel:BYTE_0 src1_sel:DWORD
	s_mov_b64 s[4:5], 0
                                        ; implicit-def: $sgpr10
	s_and_saveexec_b64 s[8:9], s[6:7]
	s_xor_b64 s[6:7], exec, s[8:9]
	s_cbranch_execnz .LBB18_2629
; %bb.581:
	s_or_saveexec_b64 s[6:7], s[6:7]
	v_mov_b32_e32 v11, s10
	s_xor_b64 exec, exec, s[6:7]
	s_cbranch_execnz .LBB18_2632
.LBB18_582:
	s_or_b64 exec, exec, s[6:7]
	s_and_saveexec_b64 s[6:7], s[4:5]
	s_cbranch_execz .LBB18_584
.LBB18_583:
	v_and_b32_e32 v11, 7, v12
	v_ffbh_u32_e32 v15, v11
	v_min_u32_e32 v15, 32, v15
	v_lshrrev_b16_e32 v14, 3, v12
	v_subrev_u32_e32 v20, 28, v15
	v_and_b32_e32 v14, 15, v14
	v_lshlrev_b32_e32 v20, v20, v12
	v_sub_u32_e32 v15, 29, v15
	v_and_b32_e32 v20, 7, v20
	v_cmp_eq_u16_e32 vcc, 0, v14
	v_cndmask_b32_e32 v11, v11, v20, vcc
	v_cndmask_b32_e32 v14, v14, v15, vcc
	v_lshlrev_b32_e32 v15, 24, v12
	v_mov_b32_e32 v20, 0x3b800000
	v_lshlrev_b32_e32 v11, 20, v11
	v_and_b32_e32 v15, 0x80000000, v15
	v_lshl_add_u32 v14, v14, 23, v20
	v_or3_b32 v11, v15, v14, v11
.LBB18_584:
	s_or_b64 exec, exec, s[6:7]
	s_nop 0
	v_mfma_f32_16x16x4f32 a[0:3], v10, v11, a[0:3]
	v_lshrrev_b32_e32 v11, 8, v16
	s_movk_i32 s4, 0x7f
	v_cmp_gt_i16_sdwa s[6:7], v11, s4 src0_sel:BYTE_0 src1_sel:DWORD
	s_mov_b64 s[4:5], 0
                                        ; implicit-def: $sgpr10
	s_and_saveexec_b64 s[8:9], s[6:7]
	s_xor_b64 s[6:7], exec, s[8:9]
	s_cbranch_execnz .LBB18_2633
; %bb.585:
	s_or_saveexec_b64 s[6:7], s[6:7]
	v_mov_b32_e32 v10, s10
	s_xor_b64 exec, exec, s[6:7]
	s_cbranch_execnz .LBB18_2636
.LBB18_586:
	s_or_b64 exec, exec, s[6:7]
	s_and_saveexec_b64 s[6:7], s[4:5]
	s_cbranch_execz .LBB18_588
.LBB18_587:
	v_bfe_u32 v10, v16, 8, 3
	v_ffbh_u32_e32 v15, v10
	v_min_u32_e32 v15, 32, v15
	v_lshrrev_b16_e32 v14, 3, v11
	v_subrev_u32_e32 v20, 28, v15
	v_and_b32_e32 v14, 15, v14
	v_lshlrev_b32_e32 v11, v20, v11
	v_sub_u32_e32 v15, 29, v15
	v_and_b32_e32 v11, 7, v11
	v_cmp_eq_u16_e32 vcc, 0, v14
	v_cndmask_b32_e32 v10, v10, v11, vcc
	v_cndmask_b32_e32 v11, v14, v15, vcc
	v_lshlrev_b32_e32 v14, 16, v16
	v_mov_b32_e32 v15, 0x3b800000
	v_lshlrev_b32_e32 v10, 20, v10
	v_and_b32_e32 v14, 0x80000000, v14
	v_lshl_add_u32 v11, v11, 23, v15
	v_or3_b32 v10, v14, v11, v10
.LBB18_588:
	s_or_b64 exec, exec, s[6:7]
	v_lshrrev_b32_e32 v11, 8, v12
	s_movk_i32 s4, 0x7f
	v_cmp_gt_i16_sdwa s[6:7], v11, s4 src0_sel:BYTE_0 src1_sel:DWORD
	s_mov_b64 s[4:5], 0
                                        ; implicit-def: $sgpr10
	s_and_saveexec_b64 s[8:9], s[6:7]
	s_xor_b64 s[6:7], exec, s[8:9]
	s_cbranch_execnz .LBB18_2637
; %bb.589:
	s_or_saveexec_b64 s[6:7], s[6:7]
	v_mov_b32_e32 v14, s10
	s_xor_b64 exec, exec, s[6:7]
	s_cbranch_execnz .LBB18_2640
.LBB18_590:
	s_or_b64 exec, exec, s[6:7]
	s_and_saveexec_b64 s[6:7], s[4:5]
	s_cbranch_execz .LBB18_592
.LBB18_591:
	v_bfe_u32 v14, v12, 8, 3
	v_ffbh_u32_e32 v20, v14
	v_min_u32_e32 v20, 32, v20
	v_lshrrev_b16_e32 v15, 3, v11
	v_subrev_u32_e32 v21, 28, v20
	v_and_b32_e32 v15, 15, v15
	v_lshlrev_b32_e32 v11, v21, v11
	v_sub_u32_e32 v20, 29, v20
	v_and_b32_e32 v11, 7, v11
	v_cmp_eq_u16_e32 vcc, 0, v15
	v_cndmask_b32_e32 v11, v14, v11, vcc
	v_cndmask_b32_e32 v14, v15, v20, vcc
	v_lshlrev_b32_e32 v15, 16, v12
	v_mov_b32_e32 v20, 0x3b800000
	v_lshlrev_b32_e32 v11, 20, v11
	v_and_b32_e32 v15, 0x80000000, v15
	v_lshl_add_u32 v14, v14, 23, v20
	v_or3_b32 v14, v15, v14, v11
.LBB18_592:
	s_or_b64 exec, exec, s[6:7]
	s_nop 0
	v_mfma_f32_16x16x4f32 a[0:3], v10, v14, a[0:3]
	s_movk_i32 s4, 0xff
	v_and_b32_sdwa v11, v16, s4 dst_sel:DWORD dst_unused:UNUSED_PAD src0_sel:WORD_1 src1_sel:DWORD
	s_movk_i32 s4, 0x7f
	v_cmp_lt_i16_e32 vcc, s4, v11
	s_mov_b64 s[4:5], 0
                                        ; implicit-def: $sgpr10
	s_and_saveexec_b64 s[6:7], vcc
	s_xor_b64 s[6:7], exec, s[6:7]
	s_cbranch_execnz .LBB18_2641
; %bb.593:
	s_or_saveexec_b64 s[6:7], s[6:7]
	v_mov_b32_e32 v10, s10
	s_xor_b64 exec, exec, s[6:7]
	s_cbranch_execnz .LBB18_2644
.LBB18_594:
	s_or_b64 exec, exec, s[6:7]
	s_and_saveexec_b64 s[6:7], s[4:5]
	s_cbranch_execz .LBB18_596
.LBB18_595:
	v_bfe_u32 v10, v16, 16, 3
	v_ffbh_u32_e32 v15, v10
	v_min_u32_e32 v15, 32, v15
	v_lshrrev_b32_e32 v11, 19, v16
	v_subrev_u32_e32 v20, 28, v15
	v_and_b32_e32 v11, 15, v11
	v_lshlrev_b32_sdwa v20, v20, v16 dst_sel:DWORD dst_unused:UNUSED_PAD src0_sel:DWORD src1_sel:WORD_1
	v_bfe_u32 v14, v16, 19, 4
	v_sub_u32_e32 v15, 29, v15
	v_and_b32_e32 v20, 7, v20
	v_cmp_eq_u16_e32 vcc, 0, v11
	v_cndmask_b32_e32 v10, v10, v20, vcc
	v_cndmask_b32_e32 v11, v14, v15, vcc
	v_lshlrev_b32_e32 v14, 8, v16
	v_mov_b32_e32 v15, 0x3b800000
	v_lshlrev_b32_e32 v10, 20, v10
	v_and_b32_e32 v14, 0x80000000, v14
	v_lshl_add_u32 v11, v11, 23, v15
	v_or3_b32 v10, v14, v11, v10
.LBB18_596:
	s_or_b64 exec, exec, s[6:7]
	s_movk_i32 s4, 0xff
	v_and_b32_sdwa v11, v12, s4 dst_sel:DWORD dst_unused:UNUSED_PAD src0_sel:WORD_1 src1_sel:DWORD
	s_movk_i32 s4, 0x7f
	v_cmp_lt_i16_e32 vcc, s4, v11
	s_mov_b64 s[4:5], 0
                                        ; implicit-def: $sgpr10
	s_and_saveexec_b64 s[6:7], vcc
	s_xor_b64 s[6:7], exec, s[6:7]
	s_cbranch_execnz .LBB18_2645
; %bb.597:
	s_or_saveexec_b64 s[6:7], s[6:7]
	v_mov_b32_e32 v14, s10
	s_xor_b64 exec, exec, s[6:7]
	s_cbranch_execnz .LBB18_2648
.LBB18_598:
	s_or_b64 exec, exec, s[6:7]
	s_and_saveexec_b64 s[6:7], s[4:5]
	s_cbranch_execz .LBB18_600
.LBB18_599:
	v_bfe_u32 v11, v12, 16, 3
	v_ffbh_u32_e32 v20, v11
	v_min_u32_e32 v20, 32, v20
	v_lshrrev_b32_e32 v14, 19, v12
	v_subrev_u32_e32 v21, 28, v20
	v_and_b32_e32 v14, 15, v14
	v_lshlrev_b32_sdwa v21, v21, v12 dst_sel:DWORD dst_unused:UNUSED_PAD src0_sel:DWORD src1_sel:WORD_1
	v_bfe_u32 v15, v12, 19, 4
	v_sub_u32_e32 v20, 29, v20
	v_and_b32_e32 v21, 7, v21
	v_cmp_eq_u16_e32 vcc, 0, v14
	v_cndmask_b32_e32 v11, v11, v21, vcc
	v_cndmask_b32_e32 v14, v15, v20, vcc
	v_lshlrev_b32_e32 v15, 8, v12
	v_mov_b32_e32 v20, 0x3b800000
	v_lshlrev_b32_e32 v11, 20, v11
	v_and_b32_e32 v15, 0x80000000, v15
	v_lshl_add_u32 v14, v14, 23, v20
	v_or3_b32 v14, v15, v14, v11
.LBB18_600:
	s_or_b64 exec, exec, s[6:7]
	s_nop 0
	v_mfma_f32_16x16x4f32 a[0:3], v10, v14, a[0:3]
	s_movk_i32 s4, 0x7f
	v_cmp_gt_i16_sdwa s[6:7], v16, s4 src0_sel:BYTE_3 src1_sel:DWORD
	s_mov_b64 s[4:5], 0
                                        ; implicit-def: $sgpr10
	s_and_saveexec_b64 s[8:9], s[6:7]
	s_xor_b64 s[6:7], exec, s[8:9]
	s_cbranch_execnz .LBB18_2649
; %bb.601:
	s_or_saveexec_b64 s[6:7], s[6:7]
	v_mov_b32_e32 v10, s10
	s_xor_b64 exec, exec, s[6:7]
	s_cbranch_execnz .LBB18_2652
.LBB18_602:
	s_or_b64 exec, exec, s[6:7]
	s_and_saveexec_b64 s[6:7], s[4:5]
	s_cbranch_execz .LBB18_604
.LBB18_603:
	v_bfe_u32 v10, v16, 24, 3
	v_ffbh_u32_e32 v20, v10
	v_min_u32_e32 v20, 32, v20
	v_lshrrev_b32_e32 v14, 27, v16
	v_subrev_u32_e32 v21, 28, v20
	v_and_b32_e32 v11, 0x80000000, v16
	v_and_b32_e32 v14, 15, v14
	v_bfe_u32 v15, v16, 27, 4
	v_lshlrev_b32_sdwa v16, v21, v16 dst_sel:DWORD dst_unused:UNUSED_PAD src0_sel:DWORD src1_sel:BYTE_3
	v_sub_u32_e32 v20, 29, v20
	v_and_b32_e32 v16, 7, v16
	v_cmp_eq_u16_e32 vcc, 0, v14
	v_cndmask_b32_e32 v10, v10, v16, vcc
	v_cndmask_b32_e32 v14, v15, v20, vcc
	v_mov_b32_e32 v15, 0x3b800000
	v_lshlrev_b32_e32 v10, 20, v10
	v_lshl_add_u32 v14, v14, 23, v15
	v_or3_b32 v10, v11, v14, v10
.LBB18_604:
	s_or_b64 exec, exec, s[6:7]
	s_movk_i32 s4, 0x7f
	v_cmp_gt_i16_sdwa s[6:7], v12, s4 src0_sel:BYTE_3 src1_sel:DWORD
	s_mov_b64 s[4:5], 0
                                        ; implicit-def: $sgpr10
	s_and_saveexec_b64 s[8:9], s[6:7]
	s_xor_b64 s[6:7], exec, s[8:9]
	s_cbranch_execnz .LBB18_2653
; %bb.605:
	s_or_saveexec_b64 s[6:7], s[6:7]
	v_mov_b32_e32 v11, s10
	s_xor_b64 exec, exec, s[6:7]
	s_cbranch_execnz .LBB18_2656
.LBB18_606:
	s_or_b64 exec, exec, s[6:7]
	s_and_saveexec_b64 s[6:7], s[4:5]
	s_cbranch_execz .LBB18_608
.LBB18_607:
	v_bfe_u32 v11, v12, 24, 3
	v_ffbh_u32_e32 v20, v11
	v_min_u32_e32 v20, 32, v20
	v_lshrrev_b32_e32 v15, 27, v12
	v_subrev_u32_e32 v21, 28, v20
	v_and_b32_e32 v14, 0x80000000, v12
	v_and_b32_e32 v15, 15, v15
	v_bfe_u32 v16, v12, 27, 4
	v_lshlrev_b32_sdwa v12, v21, v12 dst_sel:DWORD dst_unused:UNUSED_PAD src0_sel:DWORD src1_sel:BYTE_3
	v_sub_u32_e32 v20, 29, v20
	v_and_b32_e32 v12, 7, v12
	v_cmp_eq_u16_e32 vcc, 0, v15
	v_cndmask_b32_e32 v11, v11, v12, vcc
	v_cndmask_b32_e32 v12, v16, v20, vcc
	v_mov_b32_e32 v15, 0x3b800000
	v_lshlrev_b32_e32 v11, 20, v11
	v_lshl_add_u32 v12, v12, 23, v15
	v_or3_b32 v11, v14, v12, v11
.LBB18_608:
	s_or_b64 exec, exec, s[6:7]
	s_nop 0
	v_mfma_f32_16x16x4f32 a[0:3], v10, v11, a[0:3]
	s_movk_i32 s4, 0x7f
	v_cmp_gt_i16_sdwa s[6:7], v17, s4 src0_sel:BYTE_0 src1_sel:DWORD
	s_mov_b64 s[4:5], 0
                                        ; implicit-def: $sgpr10
	s_and_saveexec_b64 s[8:9], s[6:7]
	s_xor_b64 s[6:7], exec, s[8:9]
	s_cbranch_execnz .LBB18_2657
; %bb.609:
	s_or_saveexec_b64 s[6:7], s[6:7]
	v_mov_b32_e32 v10, s10
	s_xor_b64 exec, exec, s[6:7]
	s_cbranch_execnz .LBB18_2660
.LBB18_610:
	s_or_b64 exec, exec, s[6:7]
	s_and_saveexec_b64 s[6:7], s[4:5]
	s_cbranch_execz .LBB18_612
.LBB18_611:
	v_and_b32_e32 v10, 7, v17
	v_ffbh_u32_e32 v12, v10
	v_min_u32_e32 v12, 32, v12
	v_lshrrev_b16_e32 v11, 3, v17
	v_subrev_u32_e32 v14, 28, v12
	v_and_b32_e32 v11, 15, v11
	v_lshlrev_b32_e32 v14, v14, v17
	v_sub_u32_e32 v12, 29, v12
	v_and_b32_e32 v14, 7, v14
	v_cmp_eq_u16_e32 vcc, 0, v11
	v_cndmask_b32_e32 v10, v10, v14, vcc
	v_cndmask_b32_e32 v11, v11, v12, vcc
	v_lshlrev_b32_e32 v12, 24, v17
	v_mov_b32_e32 v14, 0x3b800000
	v_lshlrev_b32_e32 v10, 20, v10
	v_and_b32_e32 v12, 0x80000000, v12
	v_lshl_add_u32 v11, v11, 23, v14
	v_or3_b32 v10, v12, v11, v10
.LBB18_612:
	s_or_b64 exec, exec, s[6:7]
	s_movk_i32 s4, 0x7f
	v_cmp_gt_i16_sdwa s[6:7], v13, s4 src0_sel:BYTE_0 src1_sel:DWORD
	s_mov_b64 s[4:5], 0
                                        ; implicit-def: $sgpr10
	s_and_saveexec_b64 s[8:9], s[6:7]
	s_xor_b64 s[6:7], exec, s[8:9]
	s_cbranch_execnz .LBB18_2661
; %bb.613:
	s_or_saveexec_b64 s[6:7], s[6:7]
	v_mov_b32_e32 v11, s10
	s_xor_b64 exec, exec, s[6:7]
	s_cbranch_execnz .LBB18_2664
.LBB18_614:
	s_or_b64 exec, exec, s[6:7]
	s_and_saveexec_b64 s[6:7], s[4:5]
	s_cbranch_execz .LBB18_616
.LBB18_615:
	v_and_b32_e32 v11, 7, v13
	v_ffbh_u32_e32 v14, v11
	v_min_u32_e32 v14, 32, v14
	v_lshrrev_b16_e32 v12, 3, v13
	v_subrev_u32_e32 v15, 28, v14
	v_and_b32_e32 v12, 15, v12
	v_lshlrev_b32_e32 v15, v15, v13
	v_sub_u32_e32 v14, 29, v14
	v_and_b32_e32 v15, 7, v15
	v_cmp_eq_u16_e32 vcc, 0, v12
	v_cndmask_b32_e32 v11, v11, v15, vcc
	v_cndmask_b32_e32 v12, v12, v14, vcc
	v_lshlrev_b32_e32 v14, 24, v13
	v_mov_b32_e32 v15, 0x3b800000
	v_lshlrev_b32_e32 v11, 20, v11
	v_and_b32_e32 v14, 0x80000000, v14
	v_lshl_add_u32 v12, v12, 23, v15
	v_or3_b32 v11, v14, v12, v11
.LBB18_616:
	s_or_b64 exec, exec, s[6:7]
	s_nop 0
	v_mfma_f32_16x16x4f32 a[0:3], v10, v11, a[0:3]
	v_lshrrev_b32_e32 v11, 8, v17
	s_movk_i32 s4, 0x7f
	v_cmp_gt_i16_sdwa s[6:7], v11, s4 src0_sel:BYTE_0 src1_sel:DWORD
	s_mov_b64 s[4:5], 0
                                        ; implicit-def: $sgpr10
	s_and_saveexec_b64 s[8:9], s[6:7]
	s_xor_b64 s[6:7], exec, s[8:9]
	s_cbranch_execnz .LBB18_2665
; %bb.617:
	s_or_saveexec_b64 s[6:7], s[6:7]
	v_mov_b32_e32 v10, s10
	s_xor_b64 exec, exec, s[6:7]
	s_cbranch_execnz .LBB18_2668
.LBB18_618:
	s_or_b64 exec, exec, s[6:7]
	s_and_saveexec_b64 s[6:7], s[4:5]
	s_cbranch_execz .LBB18_620
.LBB18_619:
	v_bfe_u32 v10, v17, 8, 3
	v_ffbh_u32_e32 v14, v10
	v_min_u32_e32 v14, 32, v14
	v_lshrrev_b16_e32 v12, 3, v11
	v_subrev_u32_e32 v15, 28, v14
	v_and_b32_e32 v12, 15, v12
	v_lshlrev_b32_e32 v11, v15, v11
	v_sub_u32_e32 v14, 29, v14
	v_and_b32_e32 v11, 7, v11
	v_cmp_eq_u16_e32 vcc, 0, v12
	v_cndmask_b32_e32 v10, v10, v11, vcc
	v_cndmask_b32_e32 v11, v12, v14, vcc
	v_lshlrev_b32_e32 v12, 16, v17
	v_mov_b32_e32 v14, 0x3b800000
	v_lshlrev_b32_e32 v10, 20, v10
	v_and_b32_e32 v12, 0x80000000, v12
	v_lshl_add_u32 v11, v11, 23, v14
	v_or3_b32 v10, v12, v11, v10
.LBB18_620:
	s_or_b64 exec, exec, s[6:7]
	v_lshrrev_b32_e32 v11, 8, v13
	s_movk_i32 s4, 0x7f
	v_cmp_gt_i16_sdwa s[6:7], v11, s4 src0_sel:BYTE_0 src1_sel:DWORD
	s_mov_b64 s[4:5], 0
                                        ; implicit-def: $sgpr10
	s_and_saveexec_b64 s[8:9], s[6:7]
	s_xor_b64 s[6:7], exec, s[8:9]
	s_cbranch_execnz .LBB18_2669
; %bb.621:
	s_or_saveexec_b64 s[6:7], s[6:7]
	v_mov_b32_e32 v12, s10
	s_xor_b64 exec, exec, s[6:7]
	s_cbranch_execnz .LBB18_2672
.LBB18_622:
	s_or_b64 exec, exec, s[6:7]
	s_and_saveexec_b64 s[6:7], s[4:5]
	s_cbranch_execz .LBB18_624
.LBB18_623:
	v_bfe_u32 v12, v13, 8, 3
	v_ffbh_u32_e32 v15, v12
	v_min_u32_e32 v15, 32, v15
	v_lshrrev_b16_e32 v14, 3, v11
	v_subrev_u32_e32 v16, 28, v15
	v_and_b32_e32 v14, 15, v14
	v_lshlrev_b32_e32 v11, v16, v11
	v_sub_u32_e32 v15, 29, v15
	v_and_b32_e32 v11, 7, v11
	v_cmp_eq_u16_e32 vcc, 0, v14
	v_cndmask_b32_e32 v11, v12, v11, vcc
	v_cndmask_b32_e32 v12, v14, v15, vcc
	v_lshlrev_b32_e32 v14, 16, v13
	v_mov_b32_e32 v15, 0x3b800000
	v_lshlrev_b32_e32 v11, 20, v11
	v_and_b32_e32 v14, 0x80000000, v14
	v_lshl_add_u32 v12, v12, 23, v15
	v_or3_b32 v12, v14, v12, v11
.LBB18_624:
	s_or_b64 exec, exec, s[6:7]
	s_nop 0
	v_mfma_f32_16x16x4f32 a[0:3], v10, v12, a[0:3]
	s_movk_i32 s4, 0xff
	v_and_b32_sdwa v11, v17, s4 dst_sel:DWORD dst_unused:UNUSED_PAD src0_sel:WORD_1 src1_sel:DWORD
	s_movk_i32 s4, 0x7f
	v_cmp_lt_i16_e32 vcc, s4, v11
	s_mov_b64 s[4:5], 0
                                        ; implicit-def: $sgpr10
	s_and_saveexec_b64 s[6:7], vcc
	s_xor_b64 s[6:7], exec, s[6:7]
	s_cbranch_execnz .LBB18_2673
; %bb.625:
	s_or_saveexec_b64 s[6:7], s[6:7]
	v_mov_b32_e32 v10, s10
	s_xor_b64 exec, exec, s[6:7]
	s_cbranch_execnz .LBB18_2676
.LBB18_626:
	s_or_b64 exec, exec, s[6:7]
	s_and_saveexec_b64 s[6:7], s[4:5]
	s_cbranch_execz .LBB18_628
.LBB18_627:
	v_bfe_u32 v10, v17, 16, 3
	v_ffbh_u32_e32 v14, v10
	v_min_u32_e32 v14, 32, v14
	v_lshrrev_b32_e32 v11, 19, v17
	v_subrev_u32_e32 v15, 28, v14
	v_and_b32_e32 v11, 15, v11
	v_lshlrev_b32_sdwa v15, v15, v17 dst_sel:DWORD dst_unused:UNUSED_PAD src0_sel:DWORD src1_sel:WORD_1
	v_bfe_u32 v12, v17, 19, 4
	v_sub_u32_e32 v14, 29, v14
	v_and_b32_e32 v15, 7, v15
	v_cmp_eq_u16_e32 vcc, 0, v11
	v_cndmask_b32_e32 v10, v10, v15, vcc
	v_cndmask_b32_e32 v11, v12, v14, vcc
	v_lshlrev_b32_e32 v12, 8, v17
	v_mov_b32_e32 v14, 0x3b800000
	v_lshlrev_b32_e32 v10, 20, v10
	v_and_b32_e32 v12, 0x80000000, v12
	v_lshl_add_u32 v11, v11, 23, v14
	v_or3_b32 v10, v12, v11, v10
.LBB18_628:
	s_or_b64 exec, exec, s[6:7]
	s_movk_i32 s4, 0xff
	v_and_b32_sdwa v11, v13, s4 dst_sel:DWORD dst_unused:UNUSED_PAD src0_sel:WORD_1 src1_sel:DWORD
	s_movk_i32 s4, 0x7f
	v_cmp_lt_i16_e32 vcc, s4, v11
	s_mov_b64 s[4:5], 0
                                        ; implicit-def: $sgpr10
	s_and_saveexec_b64 s[6:7], vcc
	s_xor_b64 s[6:7], exec, s[6:7]
	s_cbranch_execnz .LBB18_2677
; %bb.629:
	s_or_saveexec_b64 s[6:7], s[6:7]
	v_mov_b32_e32 v12, s10
	s_xor_b64 exec, exec, s[6:7]
	s_cbranch_execnz .LBB18_2680
.LBB18_630:
	s_or_b64 exec, exec, s[6:7]
	s_and_saveexec_b64 s[6:7], s[4:5]
	s_cbranch_execz .LBB18_632
.LBB18_631:
	v_bfe_u32 v11, v13, 16, 3
	v_ffbh_u32_e32 v15, v11
	v_min_u32_e32 v15, 32, v15
	v_lshrrev_b32_e32 v12, 19, v13
	v_subrev_u32_e32 v16, 28, v15
	v_and_b32_e32 v12, 15, v12
	v_lshlrev_b32_sdwa v16, v16, v13 dst_sel:DWORD dst_unused:UNUSED_PAD src0_sel:DWORD src1_sel:WORD_1
	v_bfe_u32 v14, v13, 19, 4
	v_sub_u32_e32 v15, 29, v15
	v_and_b32_e32 v16, 7, v16
	v_cmp_eq_u16_e32 vcc, 0, v12
	v_cndmask_b32_e32 v11, v11, v16, vcc
	v_cndmask_b32_e32 v12, v14, v15, vcc
	v_lshlrev_b32_e32 v14, 8, v13
	v_mov_b32_e32 v15, 0x3b800000
	v_lshlrev_b32_e32 v11, 20, v11
	v_and_b32_e32 v14, 0x80000000, v14
	v_lshl_add_u32 v12, v12, 23, v15
	v_or3_b32 v12, v14, v12, v11
.LBB18_632:
	s_or_b64 exec, exec, s[6:7]
	s_nop 0
	v_mfma_f32_16x16x4f32 a[0:3], v10, v12, a[0:3]
	s_movk_i32 s4, 0x7f
	v_cmp_gt_i16_sdwa s[6:7], v17, s4 src0_sel:BYTE_3 src1_sel:DWORD
	s_mov_b64 s[4:5], 0
                                        ; implicit-def: $sgpr10
	s_and_saveexec_b64 s[8:9], s[6:7]
	s_xor_b64 s[6:7], exec, s[8:9]
	s_cbranch_execnz .LBB18_2681
; %bb.633:
	s_or_saveexec_b64 s[6:7], s[6:7]
	v_mov_b32_e32 v10, s10
	s_xor_b64 exec, exec, s[6:7]
	s_cbranch_execnz .LBB18_2684
.LBB18_634:
	s_or_b64 exec, exec, s[6:7]
	s_and_saveexec_b64 s[6:7], s[4:5]
	s_cbranch_execz .LBB18_636
.LBB18_635:
	v_bfe_u32 v10, v17, 24, 3
	v_ffbh_u32_e32 v15, v10
	v_min_u32_e32 v15, 32, v15
	v_lshrrev_b32_e32 v12, 27, v17
	v_subrev_u32_e32 v16, 28, v15
	v_and_b32_e32 v12, 15, v12
	v_lshlrev_b32_sdwa v16, v16, v17 dst_sel:DWORD dst_unused:UNUSED_PAD src0_sel:DWORD src1_sel:BYTE_3
	v_bfe_u32 v14, v17, 27, 4
	v_sub_u32_e32 v15, 29, v15
	v_and_b32_e32 v16, 7, v16
	v_cmp_eq_u16_e32 vcc, 0, v12
	v_cndmask_b32_e32 v10, v10, v16, vcc
	v_cndmask_b32_e32 v12, v14, v15, vcc
	v_mov_b32_e32 v14, 0x3b800000
	v_and_b32_e32 v11, 0x80000000, v17
	v_lshlrev_b32_e32 v10, 20, v10
	v_lshl_add_u32 v12, v12, 23, v14
	v_or3_b32 v10, v11, v12, v10
.LBB18_636:
	s_or_b64 exec, exec, s[6:7]
	s_movk_i32 s4, 0x7f
	v_cmp_gt_i16_sdwa s[6:7], v13, s4 src0_sel:BYTE_3 src1_sel:DWORD
	s_mov_b64 s[4:5], 0
                                        ; implicit-def: $sgpr10
	s_and_saveexec_b64 s[8:9], s[6:7]
	s_xor_b64 s[6:7], exec, s[8:9]
	s_cbranch_execnz .LBB18_2685
; %bb.637:
	s_or_saveexec_b64 s[6:7], s[6:7]
	v_mov_b32_e32 v11, s10
	s_xor_b64 exec, exec, s[6:7]
	s_cbranch_execnz .LBB18_2688
.LBB18_638:
	s_or_b64 exec, exec, s[6:7]
	s_and_saveexec_b64 s[6:7], s[4:5]
	s_cbranch_execz .LBB18_640
.LBB18_639:
	v_bfe_u32 v11, v13, 24, 3
	v_ffbh_u32_e32 v16, v11
	v_min_u32_e32 v16, 32, v16
	v_lshrrev_b32_e32 v14, 27, v13
	v_subrev_u32_e32 v17, 28, v16
	v_and_b32_e32 v12, 0x80000000, v13
	v_and_b32_e32 v14, 15, v14
	v_bfe_u32 v15, v13, 27, 4
	v_lshlrev_b32_sdwa v13, v17, v13 dst_sel:DWORD dst_unused:UNUSED_PAD src0_sel:DWORD src1_sel:BYTE_3
	v_sub_u32_e32 v16, 29, v16
	v_and_b32_e32 v13, 7, v13
	v_cmp_eq_u16_e32 vcc, 0, v14
	v_cndmask_b32_e32 v11, v11, v13, vcc
	v_cndmask_b32_e32 v13, v15, v16, vcc
	v_mov_b32_e32 v14, 0x3b800000
	v_lshlrev_b32_e32 v11, 20, v11
	v_lshl_add_u32 v13, v13, 23, v14
	v_or3_b32 v11, v12, v13, v11
.LBB18_640:
	s_or_b64 exec, exec, s[6:7]
	s_nop 0
	v_mfma_f32_16x16x4f32 a[0:3], v10, v11, a[0:3]
	s_movk_i32 s4, 0x7f
	v_cmp_gt_i16_sdwa s[6:7], v6, s4 src0_sel:BYTE_0 src1_sel:DWORD
	s_mov_b64 s[4:5], 0
                                        ; implicit-def: $sgpr10
	s_and_saveexec_b64 s[8:9], s[6:7]
	s_xor_b64 s[6:7], exec, s[8:9]
	s_cbranch_execnz .LBB18_2689
; %bb.641:
	s_or_saveexec_b64 s[6:7], s[6:7]
	v_mov_b32_e32 v10, s10
	s_xor_b64 exec, exec, s[6:7]
	s_cbranch_execnz .LBB18_2692
.LBB18_642:
	s_or_b64 exec, exec, s[6:7]
	s_and_saveexec_b64 s[6:7], s[4:5]
	s_cbranch_execz .LBB18_644
.LBB18_643:
	v_and_b32_e32 v10, 7, v6
	v_ffbh_u32_e32 v12, v10
	v_min_u32_e32 v12, 32, v12
	v_lshrrev_b16_e32 v11, 3, v6
	v_subrev_u32_e32 v13, 28, v12
	v_and_b32_e32 v11, 15, v11
	v_lshlrev_b32_e32 v13, v13, v6
	v_sub_u32_e32 v12, 29, v12
	v_and_b32_e32 v13, 7, v13
	v_cmp_eq_u16_e32 vcc, 0, v11
	v_cndmask_b32_e32 v10, v10, v13, vcc
	v_cndmask_b32_e32 v11, v11, v12, vcc
	v_lshlrev_b32_e32 v12, 24, v6
	v_mov_b32_e32 v13, 0x3b800000
	v_lshlrev_b32_e32 v10, 20, v10
	v_and_b32_e32 v12, 0x80000000, v12
	v_lshl_add_u32 v11, v11, 23, v13
	v_or3_b32 v10, v12, v11, v10
.LBB18_644:
	s_or_b64 exec, exec, s[6:7]
	s_movk_i32 s4, 0x7f
	v_cmp_gt_i16_sdwa s[6:7], v2, s4 src0_sel:BYTE_0 src1_sel:DWORD
	s_mov_b64 s[4:5], 0
                                        ; implicit-def: $sgpr10
	s_and_saveexec_b64 s[8:9], s[6:7]
	s_xor_b64 s[6:7], exec, s[8:9]
	s_cbranch_execnz .LBB18_2693
; %bb.645:
	s_or_saveexec_b64 s[6:7], s[6:7]
	v_mov_b32_e32 v11, s10
	s_xor_b64 exec, exec, s[6:7]
	s_cbranch_execnz .LBB18_2696
.LBB18_646:
	s_or_b64 exec, exec, s[6:7]
	s_and_saveexec_b64 s[6:7], s[4:5]
	s_cbranch_execz .LBB18_648
.LBB18_647:
	v_and_b32_e32 v11, 7, v2
	v_ffbh_u32_e32 v13, v11
	v_min_u32_e32 v13, 32, v13
	v_lshrrev_b16_e32 v12, 3, v2
	v_subrev_u32_e32 v14, 28, v13
	v_and_b32_e32 v12, 15, v12
	v_lshlrev_b32_e32 v14, v14, v2
	v_sub_u32_e32 v13, 29, v13
	v_and_b32_e32 v14, 7, v14
	v_cmp_eq_u16_e32 vcc, 0, v12
	v_cndmask_b32_e32 v11, v11, v14, vcc
	v_cndmask_b32_e32 v12, v12, v13, vcc
	v_lshlrev_b32_e32 v13, 24, v2
	v_mov_b32_e32 v14, 0x3b800000
	v_lshlrev_b32_e32 v11, 20, v11
	v_and_b32_e32 v13, 0x80000000, v13
	v_lshl_add_u32 v12, v12, 23, v14
	v_or3_b32 v11, v13, v12, v11
.LBB18_648:
	s_or_b64 exec, exec, s[6:7]
	s_nop 0
	v_mfma_f32_16x16x4f32 a[0:3], v10, v11, a[0:3]
	v_lshrrev_b32_e32 v11, 8, v6
	s_movk_i32 s4, 0x7f
	v_cmp_gt_i16_sdwa s[6:7], v11, s4 src0_sel:BYTE_0 src1_sel:DWORD
	s_mov_b64 s[4:5], 0
                                        ; implicit-def: $sgpr10
	s_and_saveexec_b64 s[8:9], s[6:7]
	s_xor_b64 s[6:7], exec, s[8:9]
	s_cbranch_execnz .LBB18_2697
; %bb.649:
	s_or_saveexec_b64 s[6:7], s[6:7]
	v_mov_b32_e32 v10, s10
	s_xor_b64 exec, exec, s[6:7]
	s_cbranch_execnz .LBB18_2700
.LBB18_650:
	s_or_b64 exec, exec, s[6:7]
	s_and_saveexec_b64 s[6:7], s[4:5]
	s_cbranch_execz .LBB18_652
.LBB18_651:
	v_bfe_u32 v10, v6, 8, 3
	v_ffbh_u32_e32 v13, v10
	v_min_u32_e32 v13, 32, v13
	v_lshrrev_b16_e32 v12, 3, v11
	v_subrev_u32_e32 v14, 28, v13
	v_and_b32_e32 v12, 15, v12
	v_lshlrev_b32_e32 v11, v14, v11
	v_sub_u32_e32 v13, 29, v13
	v_and_b32_e32 v11, 7, v11
	v_cmp_eq_u16_e32 vcc, 0, v12
	v_cndmask_b32_e32 v10, v10, v11, vcc
	v_cndmask_b32_e32 v11, v12, v13, vcc
	v_lshlrev_b32_e32 v12, 16, v6
	v_mov_b32_e32 v13, 0x3b800000
	v_lshlrev_b32_e32 v10, 20, v10
	v_and_b32_e32 v12, 0x80000000, v12
	v_lshl_add_u32 v11, v11, 23, v13
	v_or3_b32 v10, v12, v11, v10
.LBB18_652:
	s_or_b64 exec, exec, s[6:7]
	v_lshrrev_b32_e32 v11, 8, v2
	s_movk_i32 s4, 0x7f
	v_cmp_gt_i16_sdwa s[6:7], v11, s4 src0_sel:BYTE_0 src1_sel:DWORD
	s_mov_b64 s[4:5], 0
                                        ; implicit-def: $sgpr10
	s_and_saveexec_b64 s[8:9], s[6:7]
	s_xor_b64 s[6:7], exec, s[8:9]
	s_cbranch_execnz .LBB18_2701
; %bb.653:
	s_or_saveexec_b64 s[6:7], s[6:7]
	v_mov_b32_e32 v12, s10
	s_xor_b64 exec, exec, s[6:7]
	s_cbranch_execnz .LBB18_2704
.LBB18_654:
	s_or_b64 exec, exec, s[6:7]
	s_and_saveexec_b64 s[6:7], s[4:5]
	s_cbranch_execz .LBB18_656
.LBB18_655:
	v_bfe_u32 v12, v2, 8, 3
	v_ffbh_u32_e32 v14, v12
	v_min_u32_e32 v14, 32, v14
	v_lshrrev_b16_e32 v13, 3, v11
	v_subrev_u32_e32 v15, 28, v14
	v_and_b32_e32 v13, 15, v13
	v_lshlrev_b32_e32 v11, v15, v11
	v_sub_u32_e32 v14, 29, v14
	v_and_b32_e32 v11, 7, v11
	v_cmp_eq_u16_e32 vcc, 0, v13
	v_cndmask_b32_e32 v11, v12, v11, vcc
	v_cndmask_b32_e32 v12, v13, v14, vcc
	v_lshlrev_b32_e32 v13, 16, v2
	v_mov_b32_e32 v14, 0x3b800000
	v_lshlrev_b32_e32 v11, 20, v11
	v_and_b32_e32 v13, 0x80000000, v13
	v_lshl_add_u32 v12, v12, 23, v14
	v_or3_b32 v12, v13, v12, v11
.LBB18_656:
	s_or_b64 exec, exec, s[6:7]
	s_nop 0
	v_mfma_f32_16x16x4f32 a[0:3], v10, v12, a[0:3]
	s_movk_i32 s4, 0xff
	v_and_b32_sdwa v11, v6, s4 dst_sel:DWORD dst_unused:UNUSED_PAD src0_sel:WORD_1 src1_sel:DWORD
	s_movk_i32 s4, 0x7f
	v_cmp_lt_i16_e32 vcc, s4, v11
	s_mov_b64 s[4:5], 0
                                        ; implicit-def: $sgpr10
	s_and_saveexec_b64 s[6:7], vcc
	s_xor_b64 s[6:7], exec, s[6:7]
	s_cbranch_execnz .LBB18_2705
; %bb.657:
	s_or_saveexec_b64 s[6:7], s[6:7]
	v_mov_b32_e32 v10, s10
	s_xor_b64 exec, exec, s[6:7]
	s_cbranch_execnz .LBB18_2708
.LBB18_658:
	s_or_b64 exec, exec, s[6:7]
	s_and_saveexec_b64 s[6:7], s[4:5]
	s_cbranch_execz .LBB18_660
.LBB18_659:
	v_bfe_u32 v10, v6, 16, 3
	v_ffbh_u32_e32 v13, v10
	v_min_u32_e32 v13, 32, v13
	v_lshrrev_b32_e32 v11, 19, v6
	v_subrev_u32_e32 v14, 28, v13
	v_and_b32_e32 v11, 15, v11
	v_lshlrev_b32_sdwa v14, v14, v6 dst_sel:DWORD dst_unused:UNUSED_PAD src0_sel:DWORD src1_sel:WORD_1
	v_bfe_u32 v12, v6, 19, 4
	v_sub_u32_e32 v13, 29, v13
	v_and_b32_e32 v14, 7, v14
	v_cmp_eq_u16_e32 vcc, 0, v11
	v_cndmask_b32_e32 v10, v10, v14, vcc
	v_cndmask_b32_e32 v11, v12, v13, vcc
	v_lshlrev_b32_e32 v12, 8, v6
	v_mov_b32_e32 v13, 0x3b800000
	v_lshlrev_b32_e32 v10, 20, v10
	v_and_b32_e32 v12, 0x80000000, v12
	v_lshl_add_u32 v11, v11, 23, v13
	v_or3_b32 v10, v12, v11, v10
.LBB18_660:
	s_or_b64 exec, exec, s[6:7]
	s_movk_i32 s4, 0xff
	v_and_b32_sdwa v11, v2, s4 dst_sel:DWORD dst_unused:UNUSED_PAD src0_sel:WORD_1 src1_sel:DWORD
	s_movk_i32 s4, 0x7f
	v_cmp_lt_i16_e32 vcc, s4, v11
	s_mov_b64 s[4:5], 0
                                        ; implicit-def: $sgpr10
	s_and_saveexec_b64 s[6:7], vcc
	s_xor_b64 s[6:7], exec, s[6:7]
	s_cbranch_execnz .LBB18_2709
; %bb.661:
	s_or_saveexec_b64 s[6:7], s[6:7]
	v_mov_b32_e32 v12, s10
	s_xor_b64 exec, exec, s[6:7]
	s_cbranch_execnz .LBB18_2712
.LBB18_662:
	s_or_b64 exec, exec, s[6:7]
	s_and_saveexec_b64 s[6:7], s[4:5]
	s_cbranch_execz .LBB18_664
.LBB18_663:
	v_bfe_u32 v11, v2, 16, 3
	v_ffbh_u32_e32 v14, v11
	v_min_u32_e32 v14, 32, v14
	v_lshrrev_b32_e32 v12, 19, v2
	v_subrev_u32_e32 v15, 28, v14
	v_and_b32_e32 v12, 15, v12
	v_lshlrev_b32_sdwa v15, v15, v2 dst_sel:DWORD dst_unused:UNUSED_PAD src0_sel:DWORD src1_sel:WORD_1
	v_bfe_u32 v13, v2, 19, 4
	v_sub_u32_e32 v14, 29, v14
	v_and_b32_e32 v15, 7, v15
	v_cmp_eq_u16_e32 vcc, 0, v12
	v_cndmask_b32_e32 v11, v11, v15, vcc
	v_cndmask_b32_e32 v12, v13, v14, vcc
	v_lshlrev_b32_e32 v13, 8, v2
	v_mov_b32_e32 v14, 0x3b800000
	v_lshlrev_b32_e32 v11, 20, v11
	v_and_b32_e32 v13, 0x80000000, v13
	v_lshl_add_u32 v12, v12, 23, v14
	v_or3_b32 v12, v13, v12, v11
.LBB18_664:
	s_or_b64 exec, exec, s[6:7]
	s_nop 0
	v_mfma_f32_16x16x4f32 a[0:3], v10, v12, a[0:3]
	s_movk_i32 s4, 0x7f
	v_cmp_gt_i16_sdwa s[6:7], v6, s4 src0_sel:BYTE_3 src1_sel:DWORD
	s_mov_b64 s[4:5], 0
                                        ; implicit-def: $sgpr10
	s_and_saveexec_b64 s[8:9], s[6:7]
	s_xor_b64 s[6:7], exec, s[8:9]
	s_cbranch_execnz .LBB18_2713
; %bb.665:
	s_or_saveexec_b64 s[6:7], s[6:7]
	v_mov_b32_e32 v10, s10
	s_xor_b64 exec, exec, s[6:7]
	s_cbranch_execnz .LBB18_2716
.LBB18_666:
	s_or_b64 exec, exec, s[6:7]
	s_and_saveexec_b64 s[6:7], s[4:5]
	s_cbranch_execz .LBB18_668
.LBB18_667:
	v_bfe_u32 v10, v6, 24, 3
	v_ffbh_u32_e32 v14, v10
	v_min_u32_e32 v14, 32, v14
	v_lshrrev_b32_e32 v12, 27, v6
	v_subrev_u32_e32 v15, 28, v14
	v_and_b32_e32 v11, 0x80000000, v6
	v_and_b32_e32 v12, 15, v12
	v_bfe_u32 v13, v6, 27, 4
	v_lshlrev_b32_sdwa v6, v15, v6 dst_sel:DWORD dst_unused:UNUSED_PAD src0_sel:DWORD src1_sel:BYTE_3
	v_sub_u32_e32 v14, 29, v14
	v_and_b32_e32 v6, 7, v6
	v_cmp_eq_u16_e32 vcc, 0, v12
	v_cndmask_b32_e32 v6, v10, v6, vcc
	v_cndmask_b32_e32 v10, v13, v14, vcc
	v_mov_b32_e32 v12, 0x3b800000
	v_lshlrev_b32_e32 v6, 20, v6
	v_lshl_add_u32 v10, v10, 23, v12
	v_or3_b32 v10, v11, v10, v6
.LBB18_668:
	s_or_b64 exec, exec, s[6:7]
	s_movk_i32 s4, 0x7f
	v_cmp_gt_i16_sdwa s[6:7], v2, s4 src0_sel:BYTE_3 src1_sel:DWORD
	s_mov_b64 s[4:5], 0
                                        ; implicit-def: $sgpr10
	s_and_saveexec_b64 s[8:9], s[6:7]
	s_xor_b64 s[6:7], exec, s[8:9]
	s_cbranch_execnz .LBB18_2717
; %bb.669:
	s_or_saveexec_b64 s[6:7], s[6:7]
	v_mov_b32_e32 v6, s10
	s_xor_b64 exec, exec, s[6:7]
	s_cbranch_execnz .LBB18_2720
.LBB18_670:
	s_or_b64 exec, exec, s[6:7]
	s_and_saveexec_b64 s[6:7], s[4:5]
	s_cbranch_execz .LBB18_672
.LBB18_671:
	v_bfe_u32 v6, v2, 24, 3
	v_ffbh_u32_e32 v14, v6
	v_min_u32_e32 v14, 32, v14
	v_lshrrev_b32_e32 v12, 27, v2
	v_subrev_u32_e32 v15, 28, v14
	v_and_b32_e32 v11, 0x80000000, v2
	v_and_b32_e32 v12, 15, v12
	v_bfe_u32 v13, v2, 27, 4
	v_lshlrev_b32_sdwa v2, v15, v2 dst_sel:DWORD dst_unused:UNUSED_PAD src0_sel:DWORD src1_sel:BYTE_3
	v_sub_u32_e32 v14, 29, v14
	v_and_b32_e32 v2, 7, v2
	v_cmp_eq_u16_e32 vcc, 0, v12
	v_cndmask_b32_e32 v2, v6, v2, vcc
	v_cndmask_b32_e32 v6, v13, v14, vcc
	v_mov_b32_e32 v12, 0x3b800000
	v_lshlrev_b32_e32 v2, 20, v2
	v_lshl_add_u32 v6, v6, 23, v12
	v_or3_b32 v6, v11, v6, v2
.LBB18_672:
	s_or_b64 exec, exec, s[6:7]
	s_nop 0
	v_mfma_f32_16x16x4f32 a[0:3], v10, v6, a[0:3]
	s_movk_i32 s4, 0x7f
	v_cmp_gt_i16_sdwa s[6:7], v7, s4 src0_sel:BYTE_0 src1_sel:DWORD
	s_mov_b64 s[4:5], 0
                                        ; implicit-def: $sgpr10
	s_and_saveexec_b64 s[8:9], s[6:7]
	s_xor_b64 s[6:7], exec, s[8:9]
	s_cbranch_execnz .LBB18_2721
; %bb.673:
	s_or_saveexec_b64 s[6:7], s[6:7]
	v_mov_b32_e32 v2, s10
	s_xor_b64 exec, exec, s[6:7]
	s_cbranch_execnz .LBB18_2724
.LBB18_674:
	s_or_b64 exec, exec, s[6:7]
	s_and_saveexec_b64 s[6:7], s[4:5]
	s_cbranch_execz .LBB18_676
.LBB18_675:
	v_and_b32_e32 v2, 7, v7
	v_ffbh_u32_e32 v10, v2
	v_min_u32_e32 v10, 32, v10
	v_lshrrev_b16_e32 v6, 3, v7
	v_subrev_u32_e32 v11, 28, v10
	v_and_b32_e32 v6, 15, v6
	v_lshlrev_b32_e32 v11, v11, v7
	v_sub_u32_e32 v10, 29, v10
	v_and_b32_e32 v11, 7, v11
	v_cmp_eq_u16_e32 vcc, 0, v6
	v_cndmask_b32_e32 v2, v2, v11, vcc
	v_cndmask_b32_e32 v6, v6, v10, vcc
	v_lshlrev_b32_e32 v10, 24, v7
	v_mov_b32_e32 v11, 0x3b800000
	v_lshlrev_b32_e32 v2, 20, v2
	v_and_b32_e32 v10, 0x80000000, v10
	v_lshl_add_u32 v6, v6, 23, v11
	v_or3_b32 v2, v10, v6, v2
.LBB18_676:
	s_or_b64 exec, exec, s[6:7]
	s_movk_i32 s4, 0x7f
	v_cmp_gt_i16_sdwa s[6:7], v3, s4 src0_sel:BYTE_0 src1_sel:DWORD
	s_mov_b64 s[4:5], 0
                                        ; implicit-def: $sgpr10
	s_and_saveexec_b64 s[8:9], s[6:7]
	s_xor_b64 s[6:7], exec, s[8:9]
	s_cbranch_execnz .LBB18_2725
; %bb.677:
	s_or_saveexec_b64 s[6:7], s[6:7]
	v_mov_b32_e32 v6, s10
	s_xor_b64 exec, exec, s[6:7]
	s_cbranch_execnz .LBB18_2728
.LBB18_678:
	s_or_b64 exec, exec, s[6:7]
	s_and_saveexec_b64 s[6:7], s[4:5]
	s_cbranch_execz .LBB18_680
.LBB18_679:
	v_and_b32_e32 v6, 7, v3
	v_ffbh_u32_e32 v11, v6
	v_min_u32_e32 v11, 32, v11
	v_lshrrev_b16_e32 v10, 3, v3
	v_subrev_u32_e32 v12, 28, v11
	v_and_b32_e32 v10, 15, v10
	v_lshlrev_b32_e32 v12, v12, v3
	v_sub_u32_e32 v11, 29, v11
	v_and_b32_e32 v12, 7, v12
	v_cmp_eq_u16_e32 vcc, 0, v10
	v_cndmask_b32_e32 v6, v6, v12, vcc
	v_cndmask_b32_e32 v10, v10, v11, vcc
	v_lshlrev_b32_e32 v11, 24, v3
	v_mov_b32_e32 v12, 0x3b800000
	v_lshlrev_b32_e32 v6, 20, v6
	v_and_b32_e32 v11, 0x80000000, v11
	v_lshl_add_u32 v10, v10, 23, v12
	v_or3_b32 v6, v11, v10, v6
.LBB18_680:
	s_or_b64 exec, exec, s[6:7]
	s_nop 0
	v_mfma_f32_16x16x4f32 a[0:3], v2, v6, a[0:3]
	v_lshrrev_b32_e32 v6, 8, v7
	s_movk_i32 s4, 0x7f
	v_cmp_gt_i16_sdwa s[6:7], v6, s4 src0_sel:BYTE_0 src1_sel:DWORD
	s_mov_b64 s[4:5], 0
                                        ; implicit-def: $sgpr10
	s_and_saveexec_b64 s[8:9], s[6:7]
	s_xor_b64 s[6:7], exec, s[8:9]
	s_cbranch_execnz .LBB18_2729
; %bb.681:
	s_or_saveexec_b64 s[6:7], s[6:7]
	v_mov_b32_e32 v2, s10
	s_xor_b64 exec, exec, s[6:7]
	s_cbranch_execnz .LBB18_2732
.LBB18_682:
	s_or_b64 exec, exec, s[6:7]
	s_and_saveexec_b64 s[6:7], s[4:5]
	s_cbranch_execz .LBB18_684
.LBB18_683:
	v_bfe_u32 v2, v7, 8, 3
	v_ffbh_u32_e32 v11, v2
	v_min_u32_e32 v11, 32, v11
	v_lshrrev_b16_e32 v10, 3, v6
	v_subrev_u32_e32 v12, 28, v11
	v_and_b32_e32 v10, 15, v10
	v_lshlrev_b32_e32 v6, v12, v6
	v_sub_u32_e32 v11, 29, v11
	v_and_b32_e32 v6, 7, v6
	v_cmp_eq_u16_e32 vcc, 0, v10
	v_cndmask_b32_e32 v2, v2, v6, vcc
	v_cndmask_b32_e32 v6, v10, v11, vcc
	v_lshlrev_b32_e32 v10, 16, v7
	v_mov_b32_e32 v11, 0x3b800000
	v_lshlrev_b32_e32 v2, 20, v2
	v_and_b32_e32 v10, 0x80000000, v10
	v_lshl_add_u32 v6, v6, 23, v11
	v_or3_b32 v2, v10, v6, v2
.LBB18_684:
	s_or_b64 exec, exec, s[6:7]
	v_lshrrev_b32_e32 v6, 8, v3
	s_movk_i32 s4, 0x7f
	v_cmp_gt_i16_sdwa s[6:7], v6, s4 src0_sel:BYTE_0 src1_sel:DWORD
	s_mov_b64 s[4:5], 0
                                        ; implicit-def: $sgpr10
	s_and_saveexec_b64 s[8:9], s[6:7]
	s_xor_b64 s[6:7], exec, s[8:9]
	s_cbranch_execnz .LBB18_2733
; %bb.685:
	s_or_saveexec_b64 s[6:7], s[6:7]
	v_mov_b32_e32 v10, s10
	s_xor_b64 exec, exec, s[6:7]
	s_cbranch_execnz .LBB18_2736
.LBB18_686:
	s_or_b64 exec, exec, s[6:7]
	s_and_saveexec_b64 s[6:7], s[4:5]
	s_cbranch_execz .LBB18_688
.LBB18_687:
	v_bfe_u32 v10, v3, 8, 3
	v_ffbh_u32_e32 v12, v10
	v_min_u32_e32 v12, 32, v12
	v_lshrrev_b16_e32 v11, 3, v6
	v_subrev_u32_e32 v13, 28, v12
	v_and_b32_e32 v11, 15, v11
	v_lshlrev_b32_e32 v6, v13, v6
	v_sub_u32_e32 v12, 29, v12
	v_and_b32_e32 v6, 7, v6
	v_cmp_eq_u16_e32 vcc, 0, v11
	v_cndmask_b32_e32 v6, v10, v6, vcc
	v_cndmask_b32_e32 v10, v11, v12, vcc
	v_lshlrev_b32_e32 v11, 16, v3
	v_mov_b32_e32 v12, 0x3b800000
	v_lshlrev_b32_e32 v6, 20, v6
	v_and_b32_e32 v11, 0x80000000, v11
	v_lshl_add_u32 v10, v10, 23, v12
	v_or3_b32 v10, v11, v10, v6
.LBB18_688:
	s_or_b64 exec, exec, s[6:7]
	s_nop 0
	v_mfma_f32_16x16x4f32 a[0:3], v2, v10, a[0:3]
	s_movk_i32 s4, 0xff
	v_and_b32_sdwa v6, v7, s4 dst_sel:DWORD dst_unused:UNUSED_PAD src0_sel:WORD_1 src1_sel:DWORD
	s_movk_i32 s4, 0x7f
	v_cmp_lt_i16_e32 vcc, s4, v6
	s_mov_b64 s[4:5], 0
                                        ; implicit-def: $sgpr10
	s_and_saveexec_b64 s[6:7], vcc
	s_xor_b64 s[6:7], exec, s[6:7]
	s_cbranch_execnz .LBB18_2737
; %bb.689:
	s_or_saveexec_b64 s[6:7], s[6:7]
	v_mov_b32_e32 v2, s10
	s_xor_b64 exec, exec, s[6:7]
	s_cbranch_execnz .LBB18_2740
.LBB18_690:
	s_or_b64 exec, exec, s[6:7]
	s_and_saveexec_b64 s[6:7], s[4:5]
	s_cbranch_execz .LBB18_692
.LBB18_691:
	v_bfe_u32 v2, v7, 16, 3
	v_ffbh_u32_e32 v11, v2
	v_min_u32_e32 v11, 32, v11
	v_lshrrev_b32_e32 v6, 19, v7
	v_subrev_u32_e32 v12, 28, v11
	v_and_b32_e32 v6, 15, v6
	v_lshlrev_b32_sdwa v12, v12, v7 dst_sel:DWORD dst_unused:UNUSED_PAD src0_sel:DWORD src1_sel:WORD_1
	v_bfe_u32 v10, v7, 19, 4
	v_sub_u32_e32 v11, 29, v11
	v_and_b32_e32 v12, 7, v12
	v_cmp_eq_u16_e32 vcc, 0, v6
	v_cndmask_b32_e32 v2, v2, v12, vcc
	v_cndmask_b32_e32 v6, v10, v11, vcc
	v_lshlrev_b32_e32 v10, 8, v7
	v_mov_b32_e32 v11, 0x3b800000
	v_lshlrev_b32_e32 v2, 20, v2
	v_and_b32_e32 v10, 0x80000000, v10
	v_lshl_add_u32 v6, v6, 23, v11
	v_or3_b32 v2, v10, v6, v2
.LBB18_692:
	s_or_b64 exec, exec, s[6:7]
	s_movk_i32 s4, 0xff
	v_and_b32_sdwa v6, v3, s4 dst_sel:DWORD dst_unused:UNUSED_PAD src0_sel:WORD_1 src1_sel:DWORD
	s_movk_i32 s4, 0x7f
	v_cmp_lt_i16_e32 vcc, s4, v6
	s_mov_b64 s[4:5], 0
                                        ; implicit-def: $sgpr10
	s_and_saveexec_b64 s[6:7], vcc
	s_xor_b64 s[6:7], exec, s[6:7]
	s_cbranch_execnz .LBB18_2741
; %bb.693:
	s_or_saveexec_b64 s[6:7], s[6:7]
	v_mov_b32_e32 v10, s10
	s_xor_b64 exec, exec, s[6:7]
	s_cbranch_execnz .LBB18_2744
.LBB18_694:
	s_or_b64 exec, exec, s[6:7]
	s_and_saveexec_b64 s[6:7], s[4:5]
	s_cbranch_execz .LBB18_696
.LBB18_695:
	v_bfe_u32 v6, v3, 16, 3
	v_ffbh_u32_e32 v12, v6
	v_min_u32_e32 v12, 32, v12
	v_lshrrev_b32_e32 v10, 19, v3
	v_subrev_u32_e32 v13, 28, v12
	v_and_b32_e32 v10, 15, v10
	v_lshlrev_b32_sdwa v13, v13, v3 dst_sel:DWORD dst_unused:UNUSED_PAD src0_sel:DWORD src1_sel:WORD_1
	v_bfe_u32 v11, v3, 19, 4
	v_sub_u32_e32 v12, 29, v12
	v_and_b32_e32 v13, 7, v13
	v_cmp_eq_u16_e32 vcc, 0, v10
	v_cndmask_b32_e32 v6, v6, v13, vcc
	v_cndmask_b32_e32 v10, v11, v12, vcc
	v_lshlrev_b32_e32 v11, 8, v3
	v_mov_b32_e32 v12, 0x3b800000
	v_lshlrev_b32_e32 v6, 20, v6
	v_and_b32_e32 v11, 0x80000000, v11
	v_lshl_add_u32 v10, v10, 23, v12
	v_or3_b32 v10, v11, v10, v6
.LBB18_696:
	s_or_b64 exec, exec, s[6:7]
	s_nop 0
	v_mfma_f32_16x16x4f32 a[0:3], v2, v10, a[0:3]
	s_movk_i32 s4, 0x7f
	v_cmp_gt_i16_sdwa s[6:7], v7, s4 src0_sel:BYTE_3 src1_sel:DWORD
	s_mov_b64 s[4:5], 0
                                        ; implicit-def: $sgpr10
	s_and_saveexec_b64 s[8:9], s[6:7]
	s_xor_b64 s[6:7], exec, s[8:9]
	s_cbranch_execnz .LBB18_2745
; %bb.697:
	s_or_saveexec_b64 s[6:7], s[6:7]
	v_mov_b32_e32 v2, s10
	s_xor_b64 exec, exec, s[6:7]
	s_cbranch_execnz .LBB18_2748
.LBB18_698:
	s_or_b64 exec, exec, s[6:7]
	s_and_saveexec_b64 s[6:7], s[4:5]
	s_cbranch_execz .LBB18_700
.LBB18_699:
	v_bfe_u32 v2, v7, 24, 3
	v_ffbh_u32_e32 v12, v2
	v_min_u32_e32 v12, 32, v12
	v_lshrrev_b32_e32 v10, 27, v7
	v_subrev_u32_e32 v13, 28, v12
	v_and_b32_e32 v6, 0x80000000, v7
	v_and_b32_e32 v10, 15, v10
	v_bfe_u32 v11, v7, 27, 4
	v_lshlrev_b32_sdwa v7, v13, v7 dst_sel:DWORD dst_unused:UNUSED_PAD src0_sel:DWORD src1_sel:BYTE_3
	v_sub_u32_e32 v12, 29, v12
	v_and_b32_e32 v7, 7, v7
	v_cmp_eq_u16_e32 vcc, 0, v10
	v_cndmask_b32_e32 v2, v2, v7, vcc
	v_cndmask_b32_e32 v7, v11, v12, vcc
	v_mov_b32_e32 v10, 0x3b800000
	v_lshlrev_b32_e32 v2, 20, v2
	v_lshl_add_u32 v7, v7, 23, v10
	v_or3_b32 v2, v6, v7, v2
.LBB18_700:
	s_or_b64 exec, exec, s[6:7]
	s_movk_i32 s4, 0x7f
	v_cmp_gt_i16_sdwa s[6:7], v3, s4 src0_sel:BYTE_3 src1_sel:DWORD
	s_mov_b64 s[4:5], 0
                                        ; implicit-def: $sgpr10
	s_and_saveexec_b64 s[8:9], s[6:7]
	s_xor_b64 s[6:7], exec, s[8:9]
	s_cbranch_execnz .LBB18_2749
; %bb.701:
	s_or_saveexec_b64 s[6:7], s[6:7]
	v_mov_b32_e32 v6, s10
	s_xor_b64 exec, exec, s[6:7]
	s_cbranch_execnz .LBB18_2752
.LBB18_702:
	s_or_b64 exec, exec, s[6:7]
	s_and_saveexec_b64 s[6:7], s[4:5]
	s_cbranch_execz .LBB18_704
.LBB18_703:
	v_bfe_u32 v6, v3, 24, 3
	v_ffbh_u32_e32 v12, v6
	v_min_u32_e32 v12, 32, v12
	v_lshrrev_b32_e32 v10, 27, v3
	v_subrev_u32_e32 v13, 28, v12
	v_and_b32_e32 v7, 0x80000000, v3
	v_and_b32_e32 v10, 15, v10
	v_bfe_u32 v11, v3, 27, 4
	v_lshlrev_b32_sdwa v3, v13, v3 dst_sel:DWORD dst_unused:UNUSED_PAD src0_sel:DWORD src1_sel:BYTE_3
	v_sub_u32_e32 v12, 29, v12
	v_and_b32_e32 v3, 7, v3
	v_cmp_eq_u16_e32 vcc, 0, v10
	v_cndmask_b32_e32 v3, v6, v3, vcc
	v_cndmask_b32_e32 v6, v11, v12, vcc
	v_mov_b32_e32 v10, 0x3b800000
	v_lshlrev_b32_e32 v3, 20, v3
	v_lshl_add_u32 v6, v6, 23, v10
	v_or3_b32 v6, v7, v6, v3
.LBB18_704:
	s_or_b64 exec, exec, s[6:7]
	s_nop 0
	v_mfma_f32_16x16x4f32 a[0:3], v2, v6, a[0:3]
	s_movk_i32 s4, 0x7f
	v_cmp_gt_i16_sdwa s[6:7], v8, s4 src0_sel:BYTE_0 src1_sel:DWORD
	s_mov_b64 s[4:5], 0
                                        ; implicit-def: $sgpr10
	s_and_saveexec_b64 s[8:9], s[6:7]
	s_xor_b64 s[6:7], exec, s[8:9]
	s_cbranch_execnz .LBB18_2753
; %bb.705:
	s_or_saveexec_b64 s[6:7], s[6:7]
	v_mov_b32_e32 v2, s10
	s_xor_b64 exec, exec, s[6:7]
	s_cbranch_execnz .LBB18_2756
.LBB18_706:
	s_or_b64 exec, exec, s[6:7]
	s_and_saveexec_b64 s[6:7], s[4:5]
	s_cbranch_execz .LBB18_708
.LBB18_707:
	v_and_b32_e32 v2, 7, v8
	v_ffbh_u32_e32 v6, v2
	v_min_u32_e32 v6, 32, v6
	v_lshrrev_b16_e32 v3, 3, v8
	v_subrev_u32_e32 v7, 28, v6
	v_and_b32_e32 v3, 15, v3
	v_lshlrev_b32_e32 v7, v7, v8
	v_sub_u32_e32 v6, 29, v6
	v_and_b32_e32 v7, 7, v7
	v_cmp_eq_u16_e32 vcc, 0, v3
	v_cndmask_b32_e32 v2, v2, v7, vcc
	v_cndmask_b32_e32 v3, v3, v6, vcc
	v_lshlrev_b32_e32 v6, 24, v8
	v_mov_b32_e32 v7, 0x3b800000
	v_lshlrev_b32_e32 v2, 20, v2
	v_and_b32_e32 v6, 0x80000000, v6
	v_lshl_add_u32 v3, v3, 23, v7
	v_or3_b32 v2, v6, v3, v2
.LBB18_708:
	s_or_b64 exec, exec, s[6:7]
	s_movk_i32 s4, 0x7f
	v_cmp_gt_i16_sdwa s[6:7], v4, s4 src0_sel:BYTE_0 src1_sel:DWORD
	s_mov_b64 s[4:5], 0
                                        ; implicit-def: $sgpr10
	s_and_saveexec_b64 s[8:9], s[6:7]
	s_xor_b64 s[6:7], exec, s[8:9]
	s_cbranch_execnz .LBB18_2757
; %bb.709:
	s_or_saveexec_b64 s[6:7], s[6:7]
	v_mov_b32_e32 v3, s10
	s_xor_b64 exec, exec, s[6:7]
	s_cbranch_execnz .LBB18_2760
.LBB18_710:
	s_or_b64 exec, exec, s[6:7]
	s_and_saveexec_b64 s[6:7], s[4:5]
	s_cbranch_execz .LBB18_712
.LBB18_711:
	v_and_b32_e32 v3, 7, v4
	v_ffbh_u32_e32 v7, v3
	v_min_u32_e32 v7, 32, v7
	v_lshrrev_b16_e32 v6, 3, v4
	v_subrev_u32_e32 v10, 28, v7
	v_and_b32_e32 v6, 15, v6
	v_lshlrev_b32_e32 v10, v10, v4
	v_sub_u32_e32 v7, 29, v7
	v_and_b32_e32 v10, 7, v10
	v_cmp_eq_u16_e32 vcc, 0, v6
	v_cndmask_b32_e32 v3, v3, v10, vcc
	v_cndmask_b32_e32 v6, v6, v7, vcc
	v_lshlrev_b32_e32 v7, 24, v4
	v_mov_b32_e32 v10, 0x3b800000
	v_lshlrev_b32_e32 v3, 20, v3
	v_and_b32_e32 v7, 0x80000000, v7
	v_lshl_add_u32 v6, v6, 23, v10
	v_or3_b32 v3, v7, v6, v3
.LBB18_712:
	s_or_b64 exec, exec, s[6:7]
	s_nop 0
	v_mfma_f32_16x16x4f32 a[0:3], v2, v3, a[0:3]
	v_lshrrev_b32_e32 v3, 8, v8
	s_movk_i32 s4, 0x7f
	v_cmp_gt_i16_sdwa s[6:7], v3, s4 src0_sel:BYTE_0 src1_sel:DWORD
	s_mov_b64 s[4:5], 0
                                        ; implicit-def: $sgpr10
	s_and_saveexec_b64 s[8:9], s[6:7]
	s_xor_b64 s[6:7], exec, s[8:9]
	s_cbranch_execnz .LBB18_2761
; %bb.713:
	s_or_saveexec_b64 s[6:7], s[6:7]
	v_mov_b32_e32 v2, s10
	s_xor_b64 exec, exec, s[6:7]
	s_cbranch_execnz .LBB18_2764
.LBB18_714:
	s_or_b64 exec, exec, s[6:7]
	s_and_saveexec_b64 s[6:7], s[4:5]
	s_cbranch_execz .LBB18_716
.LBB18_715:
	v_bfe_u32 v2, v8, 8, 3
	v_ffbh_u32_e32 v7, v2
	v_min_u32_e32 v7, 32, v7
	v_lshrrev_b16_e32 v6, 3, v3
	v_subrev_u32_e32 v10, 28, v7
	v_and_b32_e32 v6, 15, v6
	v_lshlrev_b32_e32 v3, v10, v3
	v_sub_u32_e32 v7, 29, v7
	v_and_b32_e32 v3, 7, v3
	v_cmp_eq_u16_e32 vcc, 0, v6
	v_cndmask_b32_e32 v2, v2, v3, vcc
	v_cndmask_b32_e32 v3, v6, v7, vcc
	v_lshlrev_b32_e32 v6, 16, v8
	v_mov_b32_e32 v7, 0x3b800000
	v_lshlrev_b32_e32 v2, 20, v2
	v_and_b32_e32 v6, 0x80000000, v6
	v_lshl_add_u32 v3, v3, 23, v7
	v_or3_b32 v2, v6, v3, v2
.LBB18_716:
	s_or_b64 exec, exec, s[6:7]
	v_lshrrev_b32_e32 v3, 8, v4
	s_movk_i32 s4, 0x7f
	v_cmp_gt_i16_sdwa s[6:7], v3, s4 src0_sel:BYTE_0 src1_sel:DWORD
	s_mov_b64 s[4:5], 0
                                        ; implicit-def: $sgpr10
	s_and_saveexec_b64 s[8:9], s[6:7]
	s_xor_b64 s[6:7], exec, s[8:9]
	s_cbranch_execnz .LBB18_2765
; %bb.717:
	s_or_saveexec_b64 s[6:7], s[6:7]
	v_mov_b32_e32 v6, s10
	s_xor_b64 exec, exec, s[6:7]
	s_cbranch_execnz .LBB18_2768
.LBB18_718:
	s_or_b64 exec, exec, s[6:7]
	s_and_saveexec_b64 s[6:7], s[4:5]
	s_cbranch_execz .LBB18_720
.LBB18_719:
	v_bfe_u32 v6, v4, 8, 3
	v_ffbh_u32_e32 v10, v6
	v_min_u32_e32 v10, 32, v10
	v_lshrrev_b16_e32 v7, 3, v3
	v_subrev_u32_e32 v11, 28, v10
	v_and_b32_e32 v7, 15, v7
	v_lshlrev_b32_e32 v3, v11, v3
	v_sub_u32_e32 v10, 29, v10
	v_and_b32_e32 v3, 7, v3
	v_cmp_eq_u16_e32 vcc, 0, v7
	v_cndmask_b32_e32 v3, v6, v3, vcc
	v_cndmask_b32_e32 v6, v7, v10, vcc
	v_lshlrev_b32_e32 v7, 16, v4
	v_mov_b32_e32 v10, 0x3b800000
	v_lshlrev_b32_e32 v3, 20, v3
	v_and_b32_e32 v7, 0x80000000, v7
	v_lshl_add_u32 v6, v6, 23, v10
	v_or3_b32 v6, v7, v6, v3
.LBB18_720:
	s_or_b64 exec, exec, s[6:7]
	s_nop 0
	v_mfma_f32_16x16x4f32 a[0:3], v2, v6, a[0:3]
	s_movk_i32 s4, 0xff
	v_and_b32_sdwa v3, v8, s4 dst_sel:DWORD dst_unused:UNUSED_PAD src0_sel:WORD_1 src1_sel:DWORD
	s_movk_i32 s4, 0x7f
	v_cmp_lt_i16_e32 vcc, s4, v3
	s_mov_b64 s[4:5], 0
                                        ; implicit-def: $sgpr10
	s_and_saveexec_b64 s[6:7], vcc
	s_xor_b64 s[6:7], exec, s[6:7]
	s_cbranch_execnz .LBB18_2769
; %bb.721:
	s_or_saveexec_b64 s[6:7], s[6:7]
	v_mov_b32_e32 v2, s10
	s_xor_b64 exec, exec, s[6:7]
	s_cbranch_execnz .LBB18_2772
.LBB18_722:
	s_or_b64 exec, exec, s[6:7]
	s_and_saveexec_b64 s[6:7], s[4:5]
	s_cbranch_execz .LBB18_724
.LBB18_723:
	v_bfe_u32 v2, v8, 16, 3
	v_ffbh_u32_e32 v7, v2
	v_min_u32_e32 v7, 32, v7
	v_lshrrev_b32_e32 v3, 19, v8
	v_subrev_u32_e32 v10, 28, v7
	v_and_b32_e32 v3, 15, v3
	v_lshlrev_b32_sdwa v10, v10, v8 dst_sel:DWORD dst_unused:UNUSED_PAD src0_sel:DWORD src1_sel:WORD_1
	v_bfe_u32 v6, v8, 19, 4
	v_sub_u32_e32 v7, 29, v7
	v_and_b32_e32 v10, 7, v10
	v_cmp_eq_u16_e32 vcc, 0, v3
	v_cndmask_b32_e32 v2, v2, v10, vcc
	v_cndmask_b32_e32 v3, v6, v7, vcc
	v_lshlrev_b32_e32 v6, 8, v8
	v_mov_b32_e32 v7, 0x3b800000
	v_lshlrev_b32_e32 v2, 20, v2
	v_and_b32_e32 v6, 0x80000000, v6
	v_lshl_add_u32 v3, v3, 23, v7
	v_or3_b32 v2, v6, v3, v2
.LBB18_724:
	s_or_b64 exec, exec, s[6:7]
	s_movk_i32 s4, 0xff
	v_and_b32_sdwa v3, v4, s4 dst_sel:DWORD dst_unused:UNUSED_PAD src0_sel:WORD_1 src1_sel:DWORD
	s_movk_i32 s4, 0x7f
	v_cmp_lt_i16_e32 vcc, s4, v3
	s_mov_b64 s[4:5], 0
                                        ; implicit-def: $sgpr10
	s_and_saveexec_b64 s[6:7], vcc
	s_xor_b64 s[6:7], exec, s[6:7]
	s_cbranch_execnz .LBB18_2773
; %bb.725:
	s_or_saveexec_b64 s[6:7], s[6:7]
	v_mov_b32_e32 v6, s10
	s_xor_b64 exec, exec, s[6:7]
	s_cbranch_execnz .LBB18_2776
.LBB18_726:
	s_or_b64 exec, exec, s[6:7]
	s_and_saveexec_b64 s[6:7], s[4:5]
	s_cbranch_execz .LBB18_728
.LBB18_727:
	v_bfe_u32 v3, v4, 16, 3
	v_ffbh_u32_e32 v10, v3
	v_min_u32_e32 v10, 32, v10
	v_lshrrev_b32_e32 v6, 19, v4
	v_subrev_u32_e32 v11, 28, v10
	v_and_b32_e32 v6, 15, v6
	v_lshlrev_b32_sdwa v11, v11, v4 dst_sel:DWORD dst_unused:UNUSED_PAD src0_sel:DWORD src1_sel:WORD_1
	v_bfe_u32 v7, v4, 19, 4
	v_sub_u32_e32 v10, 29, v10
	v_and_b32_e32 v11, 7, v11
	v_cmp_eq_u16_e32 vcc, 0, v6
	v_cndmask_b32_e32 v3, v3, v11, vcc
	v_cndmask_b32_e32 v6, v7, v10, vcc
	v_lshlrev_b32_e32 v7, 8, v4
	v_mov_b32_e32 v10, 0x3b800000
	v_lshlrev_b32_e32 v3, 20, v3
	v_and_b32_e32 v7, 0x80000000, v7
	v_lshl_add_u32 v6, v6, 23, v10
	v_or3_b32 v6, v7, v6, v3
.LBB18_728:
	s_or_b64 exec, exec, s[6:7]
	s_nop 0
	v_mfma_f32_16x16x4f32 a[0:3], v2, v6, a[0:3]
	s_movk_i32 s4, 0x7f
	v_cmp_gt_i16_sdwa s[6:7], v8, s4 src0_sel:BYTE_3 src1_sel:DWORD
	s_mov_b64 s[4:5], 0
                                        ; implicit-def: $sgpr10
	s_and_saveexec_b64 s[8:9], s[6:7]
	s_xor_b64 s[6:7], exec, s[8:9]
	s_cbranch_execnz .LBB18_2777
; %bb.729:
	s_or_saveexec_b64 s[6:7], s[6:7]
	v_mov_b32_e32 v2, s10
	s_xor_b64 exec, exec, s[6:7]
	s_cbranch_execnz .LBB18_2780
.LBB18_730:
	s_or_b64 exec, exec, s[6:7]
	s_and_saveexec_b64 s[6:7], s[4:5]
	s_cbranch_execz .LBB18_732
.LBB18_731:
	v_bfe_u32 v2, v8, 24, 3
	v_ffbh_u32_e32 v10, v2
	v_min_u32_e32 v10, 32, v10
	v_lshrrev_b32_e32 v6, 27, v8
	v_subrev_u32_e32 v11, 28, v10
	v_and_b32_e32 v3, 0x80000000, v8
	v_and_b32_e32 v6, 15, v6
	v_bfe_u32 v7, v8, 27, 4
	v_lshlrev_b32_sdwa v8, v11, v8 dst_sel:DWORD dst_unused:UNUSED_PAD src0_sel:DWORD src1_sel:BYTE_3
	v_sub_u32_e32 v10, 29, v10
	v_and_b32_e32 v8, 7, v8
	v_cmp_eq_u16_e32 vcc, 0, v6
	v_cndmask_b32_e32 v2, v2, v8, vcc
	v_cndmask_b32_e32 v6, v7, v10, vcc
	v_mov_b32_e32 v7, 0x3b800000
	v_lshlrev_b32_e32 v2, 20, v2
	v_lshl_add_u32 v6, v6, 23, v7
	v_or3_b32 v2, v3, v6, v2
.LBB18_732:
	s_or_b64 exec, exec, s[6:7]
	s_movk_i32 s4, 0x7f
	v_cmp_gt_i16_sdwa s[6:7], v4, s4 src0_sel:BYTE_3 src1_sel:DWORD
	s_mov_b64 s[4:5], 0
                                        ; implicit-def: $sgpr10
	s_and_saveexec_b64 s[8:9], s[6:7]
	s_xor_b64 s[6:7], exec, s[8:9]
	s_cbranch_execnz .LBB18_2781
; %bb.733:
	s_or_saveexec_b64 s[6:7], s[6:7]
	v_mov_b32_e32 v3, s10
	s_xor_b64 exec, exec, s[6:7]
	s_cbranch_execnz .LBB18_2784
.LBB18_734:
	s_or_b64 exec, exec, s[6:7]
	s_and_saveexec_b64 s[6:7], s[4:5]
	s_cbranch_execz .LBB18_736
.LBB18_735:
	v_bfe_u32 v3, v4, 24, 3
	v_ffbh_u32_e32 v10, v3
	v_min_u32_e32 v10, 32, v10
	v_lshrrev_b32_e32 v7, 27, v4
	v_subrev_u32_e32 v11, 28, v10
	v_and_b32_e32 v6, 0x80000000, v4
	v_and_b32_e32 v7, 15, v7
	v_bfe_u32 v8, v4, 27, 4
	v_lshlrev_b32_sdwa v4, v11, v4 dst_sel:DWORD dst_unused:UNUSED_PAD src0_sel:DWORD src1_sel:BYTE_3
	v_sub_u32_e32 v10, 29, v10
	v_and_b32_e32 v4, 7, v4
	v_cmp_eq_u16_e32 vcc, 0, v7
	v_cndmask_b32_e32 v3, v3, v4, vcc
	v_cndmask_b32_e32 v4, v8, v10, vcc
	v_mov_b32_e32 v7, 0x3b800000
	v_lshlrev_b32_e32 v3, 20, v3
	v_lshl_add_u32 v4, v4, 23, v7
	v_or3_b32 v3, v6, v4, v3
.LBB18_736:
	s_or_b64 exec, exec, s[6:7]
	s_nop 0
	v_mfma_f32_16x16x4f32 a[0:3], v2, v3, a[0:3]
	s_movk_i32 s4, 0x7f
	v_cmp_gt_i16_sdwa s[6:7], v9, s4 src0_sel:BYTE_0 src1_sel:DWORD
	s_mov_b64 s[4:5], 0
                                        ; implicit-def: $sgpr10
	s_and_saveexec_b64 s[8:9], s[6:7]
	s_xor_b64 s[6:7], exec, s[8:9]
	s_cbranch_execnz .LBB18_2785
; %bb.737:
	s_or_saveexec_b64 s[6:7], s[6:7]
	v_mov_b32_e32 v2, s10
	s_xor_b64 exec, exec, s[6:7]
	s_cbranch_execnz .LBB18_2788
.LBB18_738:
	s_or_b64 exec, exec, s[6:7]
	s_and_saveexec_b64 s[6:7], s[4:5]
	s_cbranch_execz .LBB18_740
.LBB18_739:
	v_mov_b32_e32 v2, 8
	v_and_b32_e32 v3, 7, v9
	v_lshrrev_b32_sdwa v2, v2, v9 dst_sel:BYTE_1 dst_unused:UNUSED_PAD src0_sel:DWORD src1_sel:DWORD
	v_ffbh_u32_e32 v4, v3
	v_or_b32_sdwa v2, v9, v2 dst_sel:DWORD dst_unused:UNUSED_PAD src0_sel:BYTE_0 src1_sel:DWORD
	v_min_u32_e32 v4, 32, v4
	v_lshrrev_b16_e32 v2, 3, v2
	v_subrev_u32_e32 v6, 28, v4
	v_and_b32_e32 v2, 15, v2
	v_lshlrev_b32_e32 v6, v6, v9
	v_sub_u32_e32 v4, 29, v4
	v_and_b32_e32 v6, 7, v6
	v_cmp_eq_u16_e32 vcc, 0, v2
	v_cndmask_b32_e32 v3, v3, v6, vcc
	v_cndmask_b32_e32 v2, v2, v4, vcc
	v_lshlrev_b32_e32 v4, 24, v9
	v_mov_b32_e32 v6, 0x3b800000
	v_lshlrev_b32_e32 v3, 20, v3
	v_and_b32_e32 v4, 0x80000000, v4
	v_lshl_add_u32 v2, v2, 23, v6
	v_or3_b32 v2, v4, v2, v3
.LBB18_740:
	s_or_b64 exec, exec, s[6:7]
	s_movk_i32 s4, 0x7f
	v_cmp_gt_i16_sdwa s[6:7], v5, s4 src0_sel:BYTE_0 src1_sel:DWORD
	s_mov_b64 s[4:5], 0
                                        ; implicit-def: $sgpr10
	s_and_saveexec_b64 s[8:9], s[6:7]
	s_xor_b64 s[6:7], exec, s[8:9]
	s_cbranch_execnz .LBB18_2789
; %bb.741:
	s_or_saveexec_b64 s[6:7], s[6:7]
	v_mov_b32_e32 v3, s10
	s_xor_b64 exec, exec, s[6:7]
	s_cbranch_execnz .LBB18_2792
.LBB18_742:
	s_or_b64 exec, exec, s[6:7]
	s_and_saveexec_b64 s[6:7], s[4:5]
	s_cbranch_execz .LBB18_744
.LBB18_743:
	v_mov_b32_e32 v3, 8
	v_and_b32_e32 v4, 7, v5
	v_lshrrev_b32_sdwa v3, v3, v5 dst_sel:BYTE_1 dst_unused:UNUSED_PAD src0_sel:DWORD src1_sel:DWORD
	v_ffbh_u32_e32 v6, v4
	v_or_b32_sdwa v3, v5, v3 dst_sel:DWORD dst_unused:UNUSED_PAD src0_sel:BYTE_0 src1_sel:DWORD
	v_min_u32_e32 v6, 32, v6
	v_lshrrev_b16_e32 v3, 3, v3
	v_subrev_u32_e32 v7, 28, v6
	v_and_b32_e32 v3, 15, v3
	v_lshlrev_b32_e32 v7, v7, v5
	v_sub_u32_e32 v6, 29, v6
	v_and_b32_e32 v7, 7, v7
	v_cmp_eq_u16_e32 vcc, 0, v3
	v_cndmask_b32_e32 v4, v4, v7, vcc
	v_cndmask_b32_e32 v3, v3, v6, vcc
	v_lshlrev_b32_e32 v6, 24, v5
	v_mov_b32_e32 v7, 0x3b800000
	v_lshlrev_b32_e32 v4, 20, v4
	v_and_b32_e32 v6, 0x80000000, v6
	v_lshl_add_u32 v3, v3, 23, v7
	v_or3_b32 v3, v6, v3, v4
.LBB18_744:
	s_or_b64 exec, exec, s[6:7]
	s_nop 0
	v_mfma_f32_16x16x4f32 a[0:3], v2, v3, a[0:3]
	v_lshrrev_b32_e32 v3, 8, v9
	s_movk_i32 s4, 0x7f
	v_cmp_gt_i16_sdwa s[6:7], v3, s4 src0_sel:BYTE_0 src1_sel:DWORD
	s_mov_b64 s[4:5], 0
                                        ; implicit-def: $sgpr10
	s_and_saveexec_b64 s[8:9], s[6:7]
	s_xor_b64 s[6:7], exec, s[8:9]
	s_cbranch_execnz .LBB18_2793
; %bb.745:
	s_or_saveexec_b64 s[6:7], s[6:7]
	v_mov_b32_e32 v2, s10
	s_xor_b64 exec, exec, s[6:7]
	s_cbranch_execnz .LBB18_2796
.LBB18_746:
	s_or_b64 exec, exec, s[6:7]
	s_and_saveexec_b64 s[6:7], s[4:5]
	s_cbranch_execz .LBB18_748
.LBB18_747:
	v_bfe_u32 v2, v9, 8, 3
	v_ffbh_u32_e32 v6, v2
	v_min_u32_e32 v6, 32, v6
	v_lshrrev_b16_e32 v4, 3, v3
	v_subrev_u32_e32 v7, 28, v6
	v_and_b32_e32 v4, 15, v4
	v_lshlrev_b32_e32 v3, v7, v3
	v_sub_u32_e32 v6, 29, v6
	v_and_b32_e32 v3, 7, v3
	v_cmp_eq_u16_e32 vcc, 0, v4
	v_cndmask_b32_e32 v2, v2, v3, vcc
	v_cndmask_b32_e32 v3, v4, v6, vcc
	v_lshlrev_b32_e32 v4, 16, v9
	v_mov_b32_e32 v6, 0x3b800000
	v_lshlrev_b32_e32 v2, 20, v2
	v_and_b32_e32 v4, 0x80000000, v4
	v_lshl_add_u32 v3, v3, 23, v6
	v_or3_b32 v2, v4, v3, v2
.LBB18_748:
	s_or_b64 exec, exec, s[6:7]
	v_lshrrev_b32_e32 v3, 8, v5
	s_movk_i32 s4, 0x7f
	v_cmp_gt_i16_sdwa s[6:7], v3, s4 src0_sel:BYTE_0 src1_sel:DWORD
	s_mov_b64 s[4:5], 0
                                        ; implicit-def: $sgpr10
	s_and_saveexec_b64 s[8:9], s[6:7]
	s_xor_b64 s[6:7], exec, s[8:9]
	s_cbranch_execnz .LBB18_2797
; %bb.749:
	s_or_saveexec_b64 s[6:7], s[6:7]
	v_mov_b32_e32 v4, s10
	s_xor_b64 exec, exec, s[6:7]
	s_cbranch_execnz .LBB18_2800
.LBB18_750:
	s_or_b64 exec, exec, s[6:7]
	s_and_saveexec_b64 s[6:7], s[4:5]
	s_cbranch_execz .LBB18_752
.LBB18_751:
	v_bfe_u32 v4, v5, 8, 3
	v_ffbh_u32_e32 v7, v4
	v_min_u32_e32 v7, 32, v7
	v_lshrrev_b16_e32 v6, 3, v3
	v_subrev_u32_e32 v8, 28, v7
	v_and_b32_e32 v6, 15, v6
	v_lshlrev_b32_e32 v3, v8, v3
	v_sub_u32_e32 v7, 29, v7
	v_and_b32_e32 v3, 7, v3
	v_cmp_eq_u16_e32 vcc, 0, v6
	v_cndmask_b32_e32 v3, v4, v3, vcc
	v_cndmask_b32_e32 v4, v6, v7, vcc
	v_lshlrev_b32_e32 v6, 16, v5
	v_mov_b32_e32 v7, 0x3b800000
	v_lshlrev_b32_e32 v3, 20, v3
	v_and_b32_e32 v6, 0x80000000, v6
	v_lshl_add_u32 v4, v4, 23, v7
	v_or3_b32 v4, v6, v4, v3
.LBB18_752:
	s_or_b64 exec, exec, s[6:7]
	s_nop 0
	v_mfma_f32_16x16x4f32 a[0:3], v2, v4, a[0:3]
	s_movk_i32 s4, 0xff
	v_and_b32_sdwa v3, v9, s4 dst_sel:DWORD dst_unused:UNUSED_PAD src0_sel:WORD_1 src1_sel:DWORD
	s_movk_i32 s4, 0x7f
	v_cmp_lt_i16_e32 vcc, s4, v3
	s_mov_b64 s[4:5], 0
                                        ; implicit-def: $sgpr10
	s_and_saveexec_b64 s[6:7], vcc
	s_xor_b64 s[6:7], exec, s[6:7]
	s_cbranch_execnz .LBB18_2801
; %bb.753:
	s_or_saveexec_b64 s[6:7], s[6:7]
	v_mov_b32_e32 v2, s10
	s_xor_b64 exec, exec, s[6:7]
	s_cbranch_execnz .LBB18_2804
.LBB18_754:
	s_or_b64 exec, exec, s[6:7]
	s_and_saveexec_b64 s[6:7], s[4:5]
	s_cbranch_execz .LBB18_756
.LBB18_755:
	v_bfe_u32 v2, v9, 16, 3
	v_ffbh_u32_e32 v6, v2
	v_min_u32_e32 v6, 32, v6
	v_lshrrev_b32_e32 v3, 19, v9
	v_subrev_u32_e32 v7, 28, v6
	v_and_b32_e32 v3, 15, v3
	v_lshlrev_b32_sdwa v7, v7, v9 dst_sel:DWORD dst_unused:UNUSED_PAD src0_sel:DWORD src1_sel:WORD_1
	v_bfe_u32 v4, v9, 19, 4
	v_sub_u32_e32 v6, 29, v6
	v_and_b32_e32 v7, 7, v7
	v_cmp_eq_u16_e32 vcc, 0, v3
	v_cndmask_b32_e32 v2, v2, v7, vcc
	v_cndmask_b32_e32 v3, v4, v6, vcc
	v_lshlrev_b32_e32 v4, 8, v9
	v_mov_b32_e32 v6, 0x3b800000
	v_lshlrev_b32_e32 v2, 20, v2
	v_and_b32_e32 v4, 0x80000000, v4
	v_lshl_add_u32 v3, v3, 23, v6
	v_or3_b32 v2, v4, v3, v2
.LBB18_756:
	s_or_b64 exec, exec, s[6:7]
	s_movk_i32 s4, 0xff
	v_and_b32_sdwa v3, v5, s4 dst_sel:DWORD dst_unused:UNUSED_PAD src0_sel:WORD_1 src1_sel:DWORD
	s_movk_i32 s4, 0x7f
	v_cmp_lt_i16_e32 vcc, s4, v3
	s_mov_b64 s[4:5], 0
                                        ; implicit-def: $sgpr10
	s_and_saveexec_b64 s[6:7], vcc
	s_xor_b64 s[6:7], exec, s[6:7]
	s_cbranch_execnz .LBB18_2805
; %bb.757:
	s_or_saveexec_b64 s[6:7], s[6:7]
	v_mov_b32_e32 v4, s10
	s_xor_b64 exec, exec, s[6:7]
	s_cbranch_execnz .LBB18_2808
.LBB18_758:
	s_or_b64 exec, exec, s[6:7]
	s_and_saveexec_b64 s[6:7], s[4:5]
	s_cbranch_execz .LBB18_760
.LBB18_759:
	v_bfe_u32 v3, v5, 16, 3
	v_ffbh_u32_e32 v7, v3
	v_min_u32_e32 v7, 32, v7
	v_lshrrev_b32_e32 v4, 19, v5
	v_subrev_u32_e32 v8, 28, v7
	v_and_b32_e32 v4, 15, v4
	v_lshlrev_b32_sdwa v8, v8, v5 dst_sel:DWORD dst_unused:UNUSED_PAD src0_sel:DWORD src1_sel:WORD_1
	v_bfe_u32 v6, v5, 19, 4
	v_sub_u32_e32 v7, 29, v7
	v_and_b32_e32 v8, 7, v8
	v_cmp_eq_u16_e32 vcc, 0, v4
	v_cndmask_b32_e32 v3, v3, v8, vcc
	v_cndmask_b32_e32 v4, v6, v7, vcc
	v_lshlrev_b32_e32 v6, 8, v5
	v_mov_b32_e32 v7, 0x3b800000
	v_lshlrev_b32_e32 v3, 20, v3
	v_and_b32_e32 v6, 0x80000000, v6
	v_lshl_add_u32 v4, v4, 23, v7
	v_or3_b32 v4, v6, v4, v3
.LBB18_760:
	s_or_b64 exec, exec, s[6:7]
	s_nop 0
	v_mfma_f32_16x16x4f32 a[0:3], v2, v4, a[0:3]
	s_movk_i32 s4, 0x7f
	v_cmp_gt_i16_sdwa s[6:7], v9, s4 src0_sel:BYTE_3 src1_sel:DWORD
	s_mov_b64 s[4:5], 0
                                        ; implicit-def: $sgpr10
	s_and_saveexec_b64 s[8:9], s[6:7]
	s_xor_b64 s[6:7], exec, s[8:9]
	s_cbranch_execnz .LBB18_2809
; %bb.761:
	s_or_saveexec_b64 s[6:7], s[6:7]
	v_mov_b32_e32 v2, s10
	s_xor_b64 exec, exec, s[6:7]
	s_cbranch_execnz .LBB18_2812
.LBB18_762:
	s_or_b64 exec, exec, s[6:7]
	s_and_saveexec_b64 s[6:7], s[4:5]
	s_cbranch_execz .LBB18_764
.LBB18_763:
	v_bfe_u32 v2, v9, 24, 3
	v_ffbh_u32_e32 v7, v2
	v_min_u32_e32 v7, 32, v7
	v_lshrrev_b32_e32 v4, 27, v9
	v_subrev_u32_e32 v8, 28, v7
	v_and_b32_e32 v4, 15, v4
	v_lshlrev_b32_sdwa v8, v8, v9 dst_sel:DWORD dst_unused:UNUSED_PAD src0_sel:DWORD src1_sel:BYTE_3
	v_bfe_u32 v6, v9, 27, 4
	v_sub_u32_e32 v7, 29, v7
	v_and_b32_e32 v8, 7, v8
	v_cmp_eq_u16_e32 vcc, 0, v4
	v_cndmask_b32_e32 v2, v2, v8, vcc
	v_cndmask_b32_e32 v4, v6, v7, vcc
	v_mov_b32_e32 v6, 0x3b800000
	v_and_b32_e32 v3, 0x80000000, v9
	v_lshlrev_b32_e32 v2, 20, v2
	v_lshl_add_u32 v4, v4, 23, v6
	v_or3_b32 v2, v3, v4, v2
.LBB18_764:
	s_or_b64 exec, exec, s[6:7]
	s_movk_i32 s4, 0x7f
	v_cmp_gt_i16_sdwa s[6:7], v5, s4 src0_sel:BYTE_3 src1_sel:DWORD
	s_mov_b64 s[4:5], 0
                                        ; implicit-def: $sgpr10
	s_and_saveexec_b64 s[8:9], s[6:7]
	s_xor_b64 s[6:7], exec, s[8:9]
	s_cbranch_execnz .LBB18_2813
; %bb.765:
	s_or_saveexec_b64 s[6:7], s[6:7]
	v_mov_b32_e32 v3, s10
	s_xor_b64 exec, exec, s[6:7]
	s_cbranch_execnz .LBB18_2816
.LBB18_766:
	s_or_b64 exec, exec, s[6:7]
	s_and_saveexec_b64 s[6:7], s[4:5]
	s_cbranch_execz .LBB18_768
.LBB18_767:
	v_bfe_u32 v3, v5, 24, 3
	v_ffbh_u32_e32 v8, v3
	v_min_u32_e32 v8, 32, v8
	v_lshrrev_b32_e32 v6, 27, v5
	v_subrev_u32_e32 v9, 28, v8
	v_and_b32_e32 v4, 0x80000000, v5
	v_and_b32_e32 v6, 15, v6
	v_bfe_u32 v7, v5, 27, 4
	v_lshlrev_b32_sdwa v5, v9, v5 dst_sel:DWORD dst_unused:UNUSED_PAD src0_sel:DWORD src1_sel:BYTE_3
	v_sub_u32_e32 v8, 29, v8
	v_and_b32_e32 v5, 7, v5
	v_cmp_eq_u16_e32 vcc, 0, v6
	v_cndmask_b32_e32 v3, v3, v5, vcc
	v_cndmask_b32_e32 v5, v7, v8, vcc
	v_mov_b32_e32 v6, 0x3b800000
	v_lshlrev_b32_e32 v3, 20, v3
	v_lshl_add_u32 v5, v5, 23, v6
	v_or3_b32 v3, v4, v5, v3
.LBB18_768:
	s_or_b64 exec, exec, s[6:7]
	s_nop 0
	v_mfma_f32_16x16x4f32 a[0:3], v2, v3, a[0:3]
	s_movk_i32 s4, 0x7f
                                        ; implicit-def: $sgpr10
	s_nop 7
	s_nop 1
	flat_store_dwordx4 v[18:19], a[0:3] offset:32
	flat_load_dwordx4 v[20:23], v[0:1] offset:8
	s_nop 0
	flat_load_dwordx2 v[18:19], v[0:1] offset:24
	s_waitcnt vmcnt(0) lgkmcnt(0)
	flat_load_dwordx4 v[14:17], v[20:21]
	flat_load_dwordx4 v[6:9], v[20:21] offset:16
	flat_load_dwordx4 v[10:13], v[22:23] offset:96
	;; [unrolled: 1-line block ×3, first 2 shown]
	s_waitcnt vmcnt(0) lgkmcnt(0)
	v_cmp_gt_i16_sdwa s[6:7], v14, s4 src0_sel:BYTE_0 src1_sel:DWORD
	s_mov_b64 s[4:5], 0
	s_and_saveexec_b64 s[8:9], s[6:7]
	s_xor_b64 s[6:7], exec, s[8:9]
	s_cbranch_execnz .LBB18_2817
; %bb.769:
	s_or_saveexec_b64 s[6:7], s[6:7]
	v_mov_b32_e32 v20, s10
	s_xor_b64 exec, exec, s[6:7]
	s_cbranch_execnz .LBB18_2820
.LBB18_770:
	s_or_b64 exec, exec, s[6:7]
	s_and_saveexec_b64 s[6:7], s[4:5]
	s_cbranch_execz .LBB18_772
.LBB18_771:
	v_and_b32_e32 v20, 7, v14
	v_ffbh_u32_e32 v22, v20
	v_min_u32_e32 v22, 32, v22
	v_lshrrev_b16_e32 v21, 3, v14
	v_subrev_u32_e32 v23, 28, v22
	v_and_b32_e32 v21, 15, v21
	v_lshlrev_b32_e32 v23, v23, v14
	v_sub_u32_e32 v22, 29, v22
	v_and_b32_e32 v23, 7, v23
	v_cmp_eq_u16_e32 vcc, 0, v21
	v_cndmask_b32_e32 v20, v20, v23, vcc
	v_cndmask_b32_e32 v21, v21, v22, vcc
	v_lshlrev_b32_e32 v22, 24, v14
	v_mov_b32_e32 v23, 0x3b800000
	v_lshlrev_b32_e32 v20, 20, v20
	v_and_b32_e32 v22, 0x80000000, v22
	v_lshl_add_u32 v21, v21, 23, v23
	v_or3_b32 v20, v22, v21, v20
.LBB18_772:
	s_or_b64 exec, exec, s[6:7]
	s_movk_i32 s4, 0x7f
	v_cmp_gt_i16_sdwa s[6:7], v10, s4 src0_sel:BYTE_0 src1_sel:DWORD
	s_mov_b64 s[4:5], 0
                                        ; implicit-def: $sgpr10
	s_and_saveexec_b64 s[8:9], s[6:7]
	s_xor_b64 s[6:7], exec, s[8:9]
	s_cbranch_execnz .LBB18_2821
; %bb.773:
	s_or_saveexec_b64 s[6:7], s[6:7]
	v_mov_b32_e32 v21, s10
	s_xor_b64 exec, exec, s[6:7]
	s_cbranch_execnz .LBB18_2824
.LBB18_774:
	s_or_b64 exec, exec, s[6:7]
	s_and_saveexec_b64 s[6:7], s[4:5]
	s_cbranch_execz .LBB18_776
.LBB18_775:
	v_and_b32_e32 v21, 7, v10
	v_ffbh_u32_e32 v23, v21
	v_min_u32_e32 v23, 32, v23
	v_lshrrev_b16_e32 v22, 3, v10
	v_subrev_u32_e32 v24, 28, v23
	v_and_b32_e32 v22, 15, v22
	v_lshlrev_b32_e32 v24, v24, v10
	v_sub_u32_e32 v23, 29, v23
	v_and_b32_e32 v24, 7, v24
	v_cmp_eq_u16_e32 vcc, 0, v22
	v_cndmask_b32_e32 v21, v21, v24, vcc
	v_cndmask_b32_e32 v22, v22, v23, vcc
	v_lshlrev_b32_e32 v23, 24, v10
	v_mov_b32_e32 v24, 0x3b800000
	v_lshlrev_b32_e32 v21, 20, v21
	v_and_b32_e32 v23, 0x80000000, v23
	v_lshl_add_u32 v22, v22, 23, v24
	v_or3_b32 v21, v23, v22, v21
.LBB18_776:
	s_or_b64 exec, exec, s[6:7]
	flat_load_dwordx4 a[0:3], v[18:19] offset:48
	s_movk_i32 s4, 0x7f
                                        ; implicit-def: $sgpr10
	s_waitcnt vmcnt(0) lgkmcnt(0)
	v_mfma_f32_16x16x4f32 a[0:3], v20, v21, a[0:3]
	v_lshrrev_b32_e32 v21, 8, v14
	v_cmp_gt_i16_sdwa s[6:7], v21, s4 src0_sel:BYTE_0 src1_sel:DWORD
	s_mov_b64 s[4:5], 0
	s_and_saveexec_b64 s[8:9], s[6:7]
	s_xor_b64 s[6:7], exec, s[8:9]
	s_cbranch_execnz .LBB18_2825
; %bb.777:
	s_or_saveexec_b64 s[6:7], s[6:7]
	v_mov_b32_e32 v20, s10
	s_xor_b64 exec, exec, s[6:7]
	s_cbranch_execnz .LBB18_2828
.LBB18_778:
	s_or_b64 exec, exec, s[6:7]
	s_and_saveexec_b64 s[6:7], s[4:5]
	s_cbranch_execz .LBB18_780
.LBB18_779:
	v_bfe_u32 v20, v14, 8, 3
	v_ffbh_u32_e32 v23, v20
	v_min_u32_e32 v23, 32, v23
	v_lshrrev_b16_e32 v22, 3, v21
	v_subrev_u32_e32 v24, 28, v23
	v_and_b32_e32 v22, 15, v22
	v_lshlrev_b32_e32 v21, v24, v21
	v_sub_u32_e32 v23, 29, v23
	v_and_b32_e32 v21, 7, v21
	v_cmp_eq_u16_e32 vcc, 0, v22
	v_cndmask_b32_e32 v20, v20, v21, vcc
	v_cndmask_b32_e32 v21, v22, v23, vcc
	v_lshlrev_b32_e32 v22, 16, v14
	v_mov_b32_e32 v23, 0x3b800000
	v_lshlrev_b32_e32 v20, 20, v20
	v_and_b32_e32 v22, 0x80000000, v22
	v_lshl_add_u32 v21, v21, 23, v23
	v_or3_b32 v20, v22, v21, v20
.LBB18_780:
	s_or_b64 exec, exec, s[6:7]
	v_lshrrev_b32_e32 v21, 8, v10
	s_movk_i32 s4, 0x7f
	v_cmp_gt_i16_sdwa s[6:7], v21, s4 src0_sel:BYTE_0 src1_sel:DWORD
	s_mov_b64 s[4:5], 0
                                        ; implicit-def: $sgpr10
	s_and_saveexec_b64 s[8:9], s[6:7]
	s_xor_b64 s[6:7], exec, s[8:9]
	s_cbranch_execnz .LBB18_2829
; %bb.781:
	s_or_saveexec_b64 s[6:7], s[6:7]
	v_mov_b32_e32 v22, s10
	s_xor_b64 exec, exec, s[6:7]
	s_cbranch_execnz .LBB18_2832
.LBB18_782:
	s_or_b64 exec, exec, s[6:7]
	s_and_saveexec_b64 s[6:7], s[4:5]
	s_cbranch_execz .LBB18_784
.LBB18_783:
	v_bfe_u32 v22, v10, 8, 3
	v_ffbh_u32_e32 v24, v22
	v_min_u32_e32 v24, 32, v24
	v_lshrrev_b16_e32 v23, 3, v21
	v_subrev_u32_e32 v25, 28, v24
	v_and_b32_e32 v23, 15, v23
	v_lshlrev_b32_e32 v21, v25, v21
	v_sub_u32_e32 v24, 29, v24
	v_and_b32_e32 v21, 7, v21
	v_cmp_eq_u16_e32 vcc, 0, v23
	v_cndmask_b32_e32 v21, v22, v21, vcc
	v_cndmask_b32_e32 v22, v23, v24, vcc
	v_lshlrev_b32_e32 v23, 16, v10
	v_mov_b32_e32 v24, 0x3b800000
	v_lshlrev_b32_e32 v21, 20, v21
	v_and_b32_e32 v23, 0x80000000, v23
	v_lshl_add_u32 v22, v22, 23, v24
	v_or3_b32 v22, v23, v22, v21
.LBB18_784:
	s_or_b64 exec, exec, s[6:7]
	s_nop 0
	v_mfma_f32_16x16x4f32 a[0:3], v20, v22, a[0:3]
	s_movk_i32 s4, 0xff
	v_and_b32_sdwa v21, v14, s4 dst_sel:DWORD dst_unused:UNUSED_PAD src0_sel:WORD_1 src1_sel:DWORD
	s_movk_i32 s4, 0x7f
	v_cmp_lt_i16_e32 vcc, s4, v21
	s_mov_b64 s[4:5], 0
                                        ; implicit-def: $sgpr10
	s_and_saveexec_b64 s[6:7], vcc
	s_xor_b64 s[6:7], exec, s[6:7]
	s_cbranch_execnz .LBB18_2833
; %bb.785:
	s_or_saveexec_b64 s[6:7], s[6:7]
	v_mov_b32_e32 v20, s10
	s_xor_b64 exec, exec, s[6:7]
	s_cbranch_execnz .LBB18_2836
.LBB18_786:
	s_or_b64 exec, exec, s[6:7]
	s_and_saveexec_b64 s[6:7], s[4:5]
	s_cbranch_execz .LBB18_788
.LBB18_787:
	v_bfe_u32 v20, v14, 16, 3
	v_ffbh_u32_e32 v23, v20
	v_min_u32_e32 v23, 32, v23
	v_lshrrev_b32_e32 v21, 19, v14
	v_subrev_u32_e32 v24, 28, v23
	v_and_b32_e32 v21, 15, v21
	v_lshlrev_b32_sdwa v24, v24, v14 dst_sel:DWORD dst_unused:UNUSED_PAD src0_sel:DWORD src1_sel:WORD_1
	v_bfe_u32 v22, v14, 19, 4
	v_sub_u32_e32 v23, 29, v23
	v_and_b32_e32 v24, 7, v24
	v_cmp_eq_u16_e32 vcc, 0, v21
	v_cndmask_b32_e32 v20, v20, v24, vcc
	v_cndmask_b32_e32 v21, v22, v23, vcc
	v_lshlrev_b32_e32 v22, 8, v14
	v_mov_b32_e32 v23, 0x3b800000
	v_lshlrev_b32_e32 v20, 20, v20
	v_and_b32_e32 v22, 0x80000000, v22
	v_lshl_add_u32 v21, v21, 23, v23
	v_or3_b32 v20, v22, v21, v20
.LBB18_788:
	s_or_b64 exec, exec, s[6:7]
	s_movk_i32 s4, 0xff
	v_and_b32_sdwa v21, v10, s4 dst_sel:DWORD dst_unused:UNUSED_PAD src0_sel:WORD_1 src1_sel:DWORD
	s_movk_i32 s4, 0x7f
	v_cmp_lt_i16_e32 vcc, s4, v21
	s_mov_b64 s[4:5], 0
                                        ; implicit-def: $sgpr10
	s_and_saveexec_b64 s[6:7], vcc
	s_xor_b64 s[6:7], exec, s[6:7]
	s_cbranch_execnz .LBB18_2837
; %bb.789:
	s_or_saveexec_b64 s[6:7], s[6:7]
	v_mov_b32_e32 v22, s10
	s_xor_b64 exec, exec, s[6:7]
	s_cbranch_execnz .LBB18_2840
.LBB18_790:
	s_or_b64 exec, exec, s[6:7]
	s_and_saveexec_b64 s[6:7], s[4:5]
	s_cbranch_execz .LBB18_792
.LBB18_791:
	v_bfe_u32 v21, v10, 16, 3
	v_ffbh_u32_e32 v24, v21
	v_min_u32_e32 v24, 32, v24
	v_lshrrev_b32_e32 v22, 19, v10
	v_subrev_u32_e32 v25, 28, v24
	v_and_b32_e32 v22, 15, v22
	v_lshlrev_b32_sdwa v25, v25, v10 dst_sel:DWORD dst_unused:UNUSED_PAD src0_sel:DWORD src1_sel:WORD_1
	v_bfe_u32 v23, v10, 19, 4
	v_sub_u32_e32 v24, 29, v24
	v_and_b32_e32 v25, 7, v25
	v_cmp_eq_u16_e32 vcc, 0, v22
	v_cndmask_b32_e32 v21, v21, v25, vcc
	v_cndmask_b32_e32 v22, v23, v24, vcc
	v_lshlrev_b32_e32 v23, 8, v10
	v_mov_b32_e32 v24, 0x3b800000
	v_lshlrev_b32_e32 v21, 20, v21
	v_and_b32_e32 v23, 0x80000000, v23
	v_lshl_add_u32 v22, v22, 23, v24
	v_or3_b32 v22, v23, v22, v21
.LBB18_792:
	s_or_b64 exec, exec, s[6:7]
	s_nop 0
	v_mfma_f32_16x16x4f32 a[0:3], v20, v22, a[0:3]
	s_movk_i32 s4, 0x7f
	v_cmp_gt_i16_sdwa s[6:7], v14, s4 src0_sel:BYTE_3 src1_sel:DWORD
	s_mov_b64 s[4:5], 0
                                        ; implicit-def: $sgpr10
	s_and_saveexec_b64 s[8:9], s[6:7]
	s_xor_b64 s[6:7], exec, s[8:9]
	s_cbranch_execnz .LBB18_2841
; %bb.793:
	s_or_saveexec_b64 s[6:7], s[6:7]
	v_mov_b32_e32 v20, s10
	s_xor_b64 exec, exec, s[6:7]
	s_cbranch_execnz .LBB18_2844
.LBB18_794:
	s_or_b64 exec, exec, s[6:7]
	s_and_saveexec_b64 s[6:7], s[4:5]
	s_cbranch_execz .LBB18_796
.LBB18_795:
	v_bfe_u32 v20, v14, 24, 3
	v_ffbh_u32_e32 v24, v20
	v_min_u32_e32 v24, 32, v24
	v_lshrrev_b32_e32 v22, 27, v14
	v_subrev_u32_e32 v25, 28, v24
	v_and_b32_e32 v21, 0x80000000, v14
	v_and_b32_e32 v22, 15, v22
	v_bfe_u32 v23, v14, 27, 4
	v_lshlrev_b32_sdwa v14, v25, v14 dst_sel:DWORD dst_unused:UNUSED_PAD src0_sel:DWORD src1_sel:BYTE_3
	v_sub_u32_e32 v24, 29, v24
	v_and_b32_e32 v14, 7, v14
	v_cmp_eq_u16_e32 vcc, 0, v22
	v_cndmask_b32_e32 v14, v20, v14, vcc
	v_cndmask_b32_e32 v20, v23, v24, vcc
	v_mov_b32_e32 v22, 0x3b800000
	v_lshlrev_b32_e32 v14, 20, v14
	v_lshl_add_u32 v20, v20, 23, v22
	v_or3_b32 v20, v21, v20, v14
.LBB18_796:
	s_or_b64 exec, exec, s[6:7]
	s_movk_i32 s4, 0x7f
	v_cmp_gt_i16_sdwa s[6:7], v10, s4 src0_sel:BYTE_3 src1_sel:DWORD
	s_mov_b64 s[4:5], 0
                                        ; implicit-def: $sgpr10
	s_and_saveexec_b64 s[8:9], s[6:7]
	s_xor_b64 s[6:7], exec, s[8:9]
	s_cbranch_execnz .LBB18_2845
; %bb.797:
	s_or_saveexec_b64 s[6:7], s[6:7]
	v_mov_b32_e32 v14, s10
	s_xor_b64 exec, exec, s[6:7]
	s_cbranch_execnz .LBB18_2848
.LBB18_798:
	s_or_b64 exec, exec, s[6:7]
	s_and_saveexec_b64 s[6:7], s[4:5]
	s_cbranch_execz .LBB18_800
.LBB18_799:
	v_bfe_u32 v14, v10, 24, 3
	v_ffbh_u32_e32 v24, v14
	v_min_u32_e32 v24, 32, v24
	v_lshrrev_b32_e32 v22, 27, v10
	v_subrev_u32_e32 v25, 28, v24
	v_and_b32_e32 v21, 0x80000000, v10
	v_and_b32_e32 v22, 15, v22
	v_bfe_u32 v23, v10, 27, 4
	v_lshlrev_b32_sdwa v10, v25, v10 dst_sel:DWORD dst_unused:UNUSED_PAD src0_sel:DWORD src1_sel:BYTE_3
	v_sub_u32_e32 v24, 29, v24
	v_and_b32_e32 v10, 7, v10
	v_cmp_eq_u16_e32 vcc, 0, v22
	v_cndmask_b32_e32 v10, v14, v10, vcc
	v_cndmask_b32_e32 v14, v23, v24, vcc
	v_mov_b32_e32 v22, 0x3b800000
	v_lshlrev_b32_e32 v10, 20, v10
	v_lshl_add_u32 v14, v14, 23, v22
	v_or3_b32 v14, v21, v14, v10
.LBB18_800:
	s_or_b64 exec, exec, s[6:7]
	s_nop 0
	v_mfma_f32_16x16x4f32 a[0:3], v20, v14, a[0:3]
	s_movk_i32 s4, 0x7f
	v_cmp_gt_i16_sdwa s[6:7], v15, s4 src0_sel:BYTE_0 src1_sel:DWORD
	s_mov_b64 s[4:5], 0
                                        ; implicit-def: $sgpr10
	s_and_saveexec_b64 s[8:9], s[6:7]
	s_xor_b64 s[6:7], exec, s[8:9]
	s_cbranch_execnz .LBB18_2849
; %bb.801:
	s_or_saveexec_b64 s[6:7], s[6:7]
	v_mov_b32_e32 v10, s10
	s_xor_b64 exec, exec, s[6:7]
	s_cbranch_execnz .LBB18_2852
.LBB18_802:
	s_or_b64 exec, exec, s[6:7]
	s_and_saveexec_b64 s[6:7], s[4:5]
	s_cbranch_execz .LBB18_804
.LBB18_803:
	v_and_b32_e32 v10, 7, v15
	v_ffbh_u32_e32 v20, v10
	v_min_u32_e32 v20, 32, v20
	v_lshrrev_b16_e32 v14, 3, v15
	v_subrev_u32_e32 v21, 28, v20
	v_and_b32_e32 v14, 15, v14
	v_lshlrev_b32_e32 v21, v21, v15
	v_sub_u32_e32 v20, 29, v20
	v_and_b32_e32 v21, 7, v21
	v_cmp_eq_u16_e32 vcc, 0, v14
	v_cndmask_b32_e32 v10, v10, v21, vcc
	v_cndmask_b32_e32 v14, v14, v20, vcc
	v_lshlrev_b32_e32 v20, 24, v15
	v_mov_b32_e32 v21, 0x3b800000
	v_lshlrev_b32_e32 v10, 20, v10
	v_and_b32_e32 v20, 0x80000000, v20
	v_lshl_add_u32 v14, v14, 23, v21
	v_or3_b32 v10, v20, v14, v10
.LBB18_804:
	s_or_b64 exec, exec, s[6:7]
	s_movk_i32 s4, 0x7f
	v_cmp_gt_i16_sdwa s[6:7], v11, s4 src0_sel:BYTE_0 src1_sel:DWORD
	s_mov_b64 s[4:5], 0
                                        ; implicit-def: $sgpr10
	s_and_saveexec_b64 s[8:9], s[6:7]
	s_xor_b64 s[6:7], exec, s[8:9]
	s_cbranch_execnz .LBB18_2853
; %bb.805:
	s_or_saveexec_b64 s[6:7], s[6:7]
	v_mov_b32_e32 v14, s10
	s_xor_b64 exec, exec, s[6:7]
	s_cbranch_execnz .LBB18_2856
.LBB18_806:
	s_or_b64 exec, exec, s[6:7]
	s_and_saveexec_b64 s[6:7], s[4:5]
	s_cbranch_execz .LBB18_808
.LBB18_807:
	v_and_b32_e32 v14, 7, v11
	v_ffbh_u32_e32 v21, v14
	v_min_u32_e32 v21, 32, v21
	v_lshrrev_b16_e32 v20, 3, v11
	v_subrev_u32_e32 v22, 28, v21
	v_and_b32_e32 v20, 15, v20
	v_lshlrev_b32_e32 v22, v22, v11
	v_sub_u32_e32 v21, 29, v21
	v_and_b32_e32 v22, 7, v22
	v_cmp_eq_u16_e32 vcc, 0, v20
	v_cndmask_b32_e32 v14, v14, v22, vcc
	v_cndmask_b32_e32 v20, v20, v21, vcc
	v_lshlrev_b32_e32 v21, 24, v11
	v_mov_b32_e32 v22, 0x3b800000
	v_lshlrev_b32_e32 v14, 20, v14
	v_and_b32_e32 v21, 0x80000000, v21
	v_lshl_add_u32 v20, v20, 23, v22
	v_or3_b32 v14, v21, v20, v14
.LBB18_808:
	s_or_b64 exec, exec, s[6:7]
	s_nop 0
	v_mfma_f32_16x16x4f32 a[0:3], v10, v14, a[0:3]
	v_lshrrev_b32_e32 v14, 8, v15
	s_movk_i32 s4, 0x7f
	v_cmp_gt_i16_sdwa s[6:7], v14, s4 src0_sel:BYTE_0 src1_sel:DWORD
	s_mov_b64 s[4:5], 0
                                        ; implicit-def: $sgpr10
	s_and_saveexec_b64 s[8:9], s[6:7]
	s_xor_b64 s[6:7], exec, s[8:9]
	s_cbranch_execnz .LBB18_2857
; %bb.809:
	s_or_saveexec_b64 s[6:7], s[6:7]
	v_mov_b32_e32 v10, s10
	s_xor_b64 exec, exec, s[6:7]
	s_cbranch_execnz .LBB18_2860
.LBB18_810:
	s_or_b64 exec, exec, s[6:7]
	s_and_saveexec_b64 s[6:7], s[4:5]
	s_cbranch_execz .LBB18_812
.LBB18_811:
	v_bfe_u32 v10, v15, 8, 3
	v_ffbh_u32_e32 v21, v10
	v_min_u32_e32 v21, 32, v21
	v_lshrrev_b16_e32 v20, 3, v14
	v_subrev_u32_e32 v22, 28, v21
	v_and_b32_e32 v20, 15, v20
	v_lshlrev_b32_e32 v14, v22, v14
	v_sub_u32_e32 v21, 29, v21
	v_and_b32_e32 v14, 7, v14
	v_cmp_eq_u16_e32 vcc, 0, v20
	v_cndmask_b32_e32 v10, v10, v14, vcc
	v_cndmask_b32_e32 v14, v20, v21, vcc
	v_lshlrev_b32_e32 v20, 16, v15
	v_mov_b32_e32 v21, 0x3b800000
	v_lshlrev_b32_e32 v10, 20, v10
	v_and_b32_e32 v20, 0x80000000, v20
	v_lshl_add_u32 v14, v14, 23, v21
	v_or3_b32 v10, v20, v14, v10
.LBB18_812:
	s_or_b64 exec, exec, s[6:7]
	v_lshrrev_b32_e32 v14, 8, v11
	s_movk_i32 s4, 0x7f
	v_cmp_gt_i16_sdwa s[6:7], v14, s4 src0_sel:BYTE_0 src1_sel:DWORD
	s_mov_b64 s[4:5], 0
                                        ; implicit-def: $sgpr10
	s_and_saveexec_b64 s[8:9], s[6:7]
	s_xor_b64 s[6:7], exec, s[8:9]
	s_cbranch_execnz .LBB18_2861
; %bb.813:
	s_or_saveexec_b64 s[6:7], s[6:7]
	v_mov_b32_e32 v20, s10
	s_xor_b64 exec, exec, s[6:7]
	s_cbranch_execnz .LBB18_2864
.LBB18_814:
	s_or_b64 exec, exec, s[6:7]
	s_and_saveexec_b64 s[6:7], s[4:5]
	s_cbranch_execz .LBB18_816
.LBB18_815:
	v_bfe_u32 v20, v11, 8, 3
	v_ffbh_u32_e32 v22, v20
	v_min_u32_e32 v22, 32, v22
	v_lshrrev_b16_e32 v21, 3, v14
	v_subrev_u32_e32 v23, 28, v22
	v_and_b32_e32 v21, 15, v21
	v_lshlrev_b32_e32 v14, v23, v14
	v_sub_u32_e32 v22, 29, v22
	v_and_b32_e32 v14, 7, v14
	v_cmp_eq_u16_e32 vcc, 0, v21
	v_cndmask_b32_e32 v14, v20, v14, vcc
	v_cndmask_b32_e32 v20, v21, v22, vcc
	v_lshlrev_b32_e32 v21, 16, v11
	v_mov_b32_e32 v22, 0x3b800000
	v_lshlrev_b32_e32 v14, 20, v14
	v_and_b32_e32 v21, 0x80000000, v21
	v_lshl_add_u32 v20, v20, 23, v22
	v_or3_b32 v20, v21, v20, v14
.LBB18_816:
	s_or_b64 exec, exec, s[6:7]
	s_nop 0
	v_mfma_f32_16x16x4f32 a[0:3], v10, v20, a[0:3]
	s_movk_i32 s4, 0xff
	v_and_b32_sdwa v14, v15, s4 dst_sel:DWORD dst_unused:UNUSED_PAD src0_sel:WORD_1 src1_sel:DWORD
	s_movk_i32 s4, 0x7f
	v_cmp_lt_i16_e32 vcc, s4, v14
	s_mov_b64 s[4:5], 0
                                        ; implicit-def: $sgpr10
	s_and_saveexec_b64 s[6:7], vcc
	s_xor_b64 s[6:7], exec, s[6:7]
	s_cbranch_execnz .LBB18_2865
; %bb.817:
	s_or_saveexec_b64 s[6:7], s[6:7]
	v_mov_b32_e32 v10, s10
	s_xor_b64 exec, exec, s[6:7]
	s_cbranch_execnz .LBB18_2868
.LBB18_818:
	s_or_b64 exec, exec, s[6:7]
	s_and_saveexec_b64 s[6:7], s[4:5]
	s_cbranch_execz .LBB18_820
.LBB18_819:
	v_bfe_u32 v10, v15, 16, 3
	v_ffbh_u32_e32 v21, v10
	v_min_u32_e32 v21, 32, v21
	v_lshrrev_b32_e32 v14, 19, v15
	v_subrev_u32_e32 v22, 28, v21
	v_and_b32_e32 v14, 15, v14
	v_lshlrev_b32_sdwa v22, v22, v15 dst_sel:DWORD dst_unused:UNUSED_PAD src0_sel:DWORD src1_sel:WORD_1
	v_bfe_u32 v20, v15, 19, 4
	v_sub_u32_e32 v21, 29, v21
	v_and_b32_e32 v22, 7, v22
	v_cmp_eq_u16_e32 vcc, 0, v14
	v_cndmask_b32_e32 v10, v10, v22, vcc
	v_cndmask_b32_e32 v14, v20, v21, vcc
	v_lshlrev_b32_e32 v20, 8, v15
	v_mov_b32_e32 v21, 0x3b800000
	v_lshlrev_b32_e32 v10, 20, v10
	v_and_b32_e32 v20, 0x80000000, v20
	v_lshl_add_u32 v14, v14, 23, v21
	v_or3_b32 v10, v20, v14, v10
.LBB18_820:
	s_or_b64 exec, exec, s[6:7]
	s_movk_i32 s4, 0xff
	v_and_b32_sdwa v14, v11, s4 dst_sel:DWORD dst_unused:UNUSED_PAD src0_sel:WORD_1 src1_sel:DWORD
	s_movk_i32 s4, 0x7f
	v_cmp_lt_i16_e32 vcc, s4, v14
	s_mov_b64 s[4:5], 0
                                        ; implicit-def: $sgpr10
	s_and_saveexec_b64 s[6:7], vcc
	s_xor_b64 s[6:7], exec, s[6:7]
	s_cbranch_execnz .LBB18_2869
; %bb.821:
	s_or_saveexec_b64 s[6:7], s[6:7]
	v_mov_b32_e32 v20, s10
	s_xor_b64 exec, exec, s[6:7]
	s_cbranch_execnz .LBB18_2872
.LBB18_822:
	s_or_b64 exec, exec, s[6:7]
	s_and_saveexec_b64 s[6:7], s[4:5]
	s_cbranch_execz .LBB18_824
.LBB18_823:
	v_bfe_u32 v14, v11, 16, 3
	v_ffbh_u32_e32 v22, v14
	v_min_u32_e32 v22, 32, v22
	v_lshrrev_b32_e32 v20, 19, v11
	v_subrev_u32_e32 v23, 28, v22
	v_and_b32_e32 v20, 15, v20
	v_lshlrev_b32_sdwa v23, v23, v11 dst_sel:DWORD dst_unused:UNUSED_PAD src0_sel:DWORD src1_sel:WORD_1
	v_bfe_u32 v21, v11, 19, 4
	v_sub_u32_e32 v22, 29, v22
	v_and_b32_e32 v23, 7, v23
	v_cmp_eq_u16_e32 vcc, 0, v20
	v_cndmask_b32_e32 v14, v14, v23, vcc
	v_cndmask_b32_e32 v20, v21, v22, vcc
	v_lshlrev_b32_e32 v21, 8, v11
	v_mov_b32_e32 v22, 0x3b800000
	v_lshlrev_b32_e32 v14, 20, v14
	v_and_b32_e32 v21, 0x80000000, v21
	v_lshl_add_u32 v20, v20, 23, v22
	v_or3_b32 v20, v21, v20, v14
.LBB18_824:
	s_or_b64 exec, exec, s[6:7]
	s_nop 0
	v_mfma_f32_16x16x4f32 a[0:3], v10, v20, a[0:3]
	s_movk_i32 s4, 0x7f
	v_cmp_gt_i16_sdwa s[6:7], v15, s4 src0_sel:BYTE_3 src1_sel:DWORD
	s_mov_b64 s[4:5], 0
                                        ; implicit-def: $sgpr10
	s_and_saveexec_b64 s[8:9], s[6:7]
	s_xor_b64 s[6:7], exec, s[8:9]
	s_cbranch_execnz .LBB18_2873
; %bb.825:
	s_or_saveexec_b64 s[6:7], s[6:7]
	v_mov_b32_e32 v10, s10
	s_xor_b64 exec, exec, s[6:7]
	s_cbranch_execnz .LBB18_2876
.LBB18_826:
	s_or_b64 exec, exec, s[6:7]
	s_and_saveexec_b64 s[6:7], s[4:5]
	s_cbranch_execz .LBB18_828
.LBB18_827:
	v_bfe_u32 v10, v15, 24, 3
	v_ffbh_u32_e32 v22, v10
	v_min_u32_e32 v22, 32, v22
	v_lshrrev_b32_e32 v20, 27, v15
	v_subrev_u32_e32 v23, 28, v22
	v_and_b32_e32 v14, 0x80000000, v15
	v_and_b32_e32 v20, 15, v20
	v_bfe_u32 v21, v15, 27, 4
	v_lshlrev_b32_sdwa v15, v23, v15 dst_sel:DWORD dst_unused:UNUSED_PAD src0_sel:DWORD src1_sel:BYTE_3
	v_sub_u32_e32 v22, 29, v22
	v_and_b32_e32 v15, 7, v15
	v_cmp_eq_u16_e32 vcc, 0, v20
	v_cndmask_b32_e32 v10, v10, v15, vcc
	v_cndmask_b32_e32 v15, v21, v22, vcc
	v_mov_b32_e32 v20, 0x3b800000
	v_lshlrev_b32_e32 v10, 20, v10
	v_lshl_add_u32 v15, v15, 23, v20
	v_or3_b32 v10, v14, v15, v10
.LBB18_828:
	s_or_b64 exec, exec, s[6:7]
	s_movk_i32 s4, 0x7f
	v_cmp_gt_i16_sdwa s[6:7], v11, s4 src0_sel:BYTE_3 src1_sel:DWORD
	s_mov_b64 s[4:5], 0
                                        ; implicit-def: $sgpr10
	s_and_saveexec_b64 s[8:9], s[6:7]
	s_xor_b64 s[6:7], exec, s[8:9]
	s_cbranch_execnz .LBB18_2877
; %bb.829:
	s_or_saveexec_b64 s[6:7], s[6:7]
	v_mov_b32_e32 v14, s10
	s_xor_b64 exec, exec, s[6:7]
	s_cbranch_execnz .LBB18_2880
.LBB18_830:
	s_or_b64 exec, exec, s[6:7]
	s_and_saveexec_b64 s[6:7], s[4:5]
	s_cbranch_execz .LBB18_832
.LBB18_831:
	v_bfe_u32 v14, v11, 24, 3
	v_ffbh_u32_e32 v22, v14
	v_min_u32_e32 v22, 32, v22
	v_lshrrev_b32_e32 v20, 27, v11
	v_subrev_u32_e32 v23, 28, v22
	v_and_b32_e32 v15, 0x80000000, v11
	v_and_b32_e32 v20, 15, v20
	v_bfe_u32 v21, v11, 27, 4
	v_lshlrev_b32_sdwa v11, v23, v11 dst_sel:DWORD dst_unused:UNUSED_PAD src0_sel:DWORD src1_sel:BYTE_3
	v_sub_u32_e32 v22, 29, v22
	v_and_b32_e32 v11, 7, v11
	v_cmp_eq_u16_e32 vcc, 0, v20
	v_cndmask_b32_e32 v11, v14, v11, vcc
	v_cndmask_b32_e32 v14, v21, v22, vcc
	v_mov_b32_e32 v20, 0x3b800000
	v_lshlrev_b32_e32 v11, 20, v11
	v_lshl_add_u32 v14, v14, 23, v20
	v_or3_b32 v14, v15, v14, v11
.LBB18_832:
	s_or_b64 exec, exec, s[6:7]
	s_nop 0
	v_mfma_f32_16x16x4f32 a[0:3], v10, v14, a[0:3]
	s_movk_i32 s4, 0x7f
	v_cmp_gt_i16_sdwa s[6:7], v16, s4 src0_sel:BYTE_0 src1_sel:DWORD
	s_mov_b64 s[4:5], 0
                                        ; implicit-def: $sgpr10
	s_and_saveexec_b64 s[8:9], s[6:7]
	s_xor_b64 s[6:7], exec, s[8:9]
	s_cbranch_execnz .LBB18_2881
; %bb.833:
	s_or_saveexec_b64 s[6:7], s[6:7]
	v_mov_b32_e32 v10, s10
	s_xor_b64 exec, exec, s[6:7]
	s_cbranch_execnz .LBB18_2884
.LBB18_834:
	s_or_b64 exec, exec, s[6:7]
	s_and_saveexec_b64 s[6:7], s[4:5]
	s_cbranch_execz .LBB18_836
.LBB18_835:
	v_and_b32_e32 v10, 7, v16
	v_ffbh_u32_e32 v14, v10
	v_min_u32_e32 v14, 32, v14
	v_lshrrev_b16_e32 v11, 3, v16
	v_subrev_u32_e32 v15, 28, v14
	v_and_b32_e32 v11, 15, v11
	v_lshlrev_b32_e32 v15, v15, v16
	v_sub_u32_e32 v14, 29, v14
	v_and_b32_e32 v15, 7, v15
	v_cmp_eq_u16_e32 vcc, 0, v11
	v_cndmask_b32_e32 v10, v10, v15, vcc
	v_cndmask_b32_e32 v11, v11, v14, vcc
	v_lshlrev_b32_e32 v14, 24, v16
	v_mov_b32_e32 v15, 0x3b800000
	v_lshlrev_b32_e32 v10, 20, v10
	v_and_b32_e32 v14, 0x80000000, v14
	v_lshl_add_u32 v11, v11, 23, v15
	v_or3_b32 v10, v14, v11, v10
.LBB18_836:
	s_or_b64 exec, exec, s[6:7]
	s_movk_i32 s4, 0x7f
	v_cmp_gt_i16_sdwa s[6:7], v12, s4 src0_sel:BYTE_0 src1_sel:DWORD
	s_mov_b64 s[4:5], 0
                                        ; implicit-def: $sgpr10
	s_and_saveexec_b64 s[8:9], s[6:7]
	s_xor_b64 s[6:7], exec, s[8:9]
	s_cbranch_execnz .LBB18_2885
; %bb.837:
	s_or_saveexec_b64 s[6:7], s[6:7]
	v_mov_b32_e32 v11, s10
	s_xor_b64 exec, exec, s[6:7]
	s_cbranch_execnz .LBB18_2888
.LBB18_838:
	s_or_b64 exec, exec, s[6:7]
	s_and_saveexec_b64 s[6:7], s[4:5]
	s_cbranch_execz .LBB18_840
.LBB18_839:
	v_and_b32_e32 v11, 7, v12
	v_ffbh_u32_e32 v15, v11
	v_min_u32_e32 v15, 32, v15
	v_lshrrev_b16_e32 v14, 3, v12
	v_subrev_u32_e32 v20, 28, v15
	v_and_b32_e32 v14, 15, v14
	v_lshlrev_b32_e32 v20, v20, v12
	v_sub_u32_e32 v15, 29, v15
	v_and_b32_e32 v20, 7, v20
	v_cmp_eq_u16_e32 vcc, 0, v14
	v_cndmask_b32_e32 v11, v11, v20, vcc
	v_cndmask_b32_e32 v14, v14, v15, vcc
	v_lshlrev_b32_e32 v15, 24, v12
	v_mov_b32_e32 v20, 0x3b800000
	v_lshlrev_b32_e32 v11, 20, v11
	v_and_b32_e32 v15, 0x80000000, v15
	v_lshl_add_u32 v14, v14, 23, v20
	v_or3_b32 v11, v15, v14, v11
.LBB18_840:
	s_or_b64 exec, exec, s[6:7]
	s_nop 0
	v_mfma_f32_16x16x4f32 a[0:3], v10, v11, a[0:3]
	v_lshrrev_b32_e32 v11, 8, v16
	s_movk_i32 s4, 0x7f
	v_cmp_gt_i16_sdwa s[6:7], v11, s4 src0_sel:BYTE_0 src1_sel:DWORD
	s_mov_b64 s[4:5], 0
                                        ; implicit-def: $sgpr10
	s_and_saveexec_b64 s[8:9], s[6:7]
	s_xor_b64 s[6:7], exec, s[8:9]
	s_cbranch_execnz .LBB18_2889
; %bb.841:
	s_or_saveexec_b64 s[6:7], s[6:7]
	v_mov_b32_e32 v10, s10
	s_xor_b64 exec, exec, s[6:7]
	s_cbranch_execnz .LBB18_2892
.LBB18_842:
	s_or_b64 exec, exec, s[6:7]
	s_and_saveexec_b64 s[6:7], s[4:5]
	s_cbranch_execz .LBB18_844
.LBB18_843:
	v_bfe_u32 v10, v16, 8, 3
	v_ffbh_u32_e32 v15, v10
	v_min_u32_e32 v15, 32, v15
	v_lshrrev_b16_e32 v14, 3, v11
	v_subrev_u32_e32 v20, 28, v15
	v_and_b32_e32 v14, 15, v14
	v_lshlrev_b32_e32 v11, v20, v11
	v_sub_u32_e32 v15, 29, v15
	v_and_b32_e32 v11, 7, v11
	v_cmp_eq_u16_e32 vcc, 0, v14
	v_cndmask_b32_e32 v10, v10, v11, vcc
	v_cndmask_b32_e32 v11, v14, v15, vcc
	v_lshlrev_b32_e32 v14, 16, v16
	v_mov_b32_e32 v15, 0x3b800000
	v_lshlrev_b32_e32 v10, 20, v10
	v_and_b32_e32 v14, 0x80000000, v14
	v_lshl_add_u32 v11, v11, 23, v15
	v_or3_b32 v10, v14, v11, v10
.LBB18_844:
	s_or_b64 exec, exec, s[6:7]
	v_lshrrev_b32_e32 v11, 8, v12
	s_movk_i32 s4, 0x7f
	v_cmp_gt_i16_sdwa s[6:7], v11, s4 src0_sel:BYTE_0 src1_sel:DWORD
	s_mov_b64 s[4:5], 0
                                        ; implicit-def: $sgpr10
	s_and_saveexec_b64 s[8:9], s[6:7]
	s_xor_b64 s[6:7], exec, s[8:9]
	s_cbranch_execnz .LBB18_2893
; %bb.845:
	s_or_saveexec_b64 s[6:7], s[6:7]
	v_mov_b32_e32 v14, s10
	s_xor_b64 exec, exec, s[6:7]
	s_cbranch_execnz .LBB18_2896
.LBB18_846:
	s_or_b64 exec, exec, s[6:7]
	s_and_saveexec_b64 s[6:7], s[4:5]
	s_cbranch_execz .LBB18_848
.LBB18_847:
	v_bfe_u32 v14, v12, 8, 3
	v_ffbh_u32_e32 v20, v14
	v_min_u32_e32 v20, 32, v20
	v_lshrrev_b16_e32 v15, 3, v11
	v_subrev_u32_e32 v21, 28, v20
	v_and_b32_e32 v15, 15, v15
	v_lshlrev_b32_e32 v11, v21, v11
	v_sub_u32_e32 v20, 29, v20
	v_and_b32_e32 v11, 7, v11
	v_cmp_eq_u16_e32 vcc, 0, v15
	v_cndmask_b32_e32 v11, v14, v11, vcc
	v_cndmask_b32_e32 v14, v15, v20, vcc
	v_lshlrev_b32_e32 v15, 16, v12
	v_mov_b32_e32 v20, 0x3b800000
	v_lshlrev_b32_e32 v11, 20, v11
	v_and_b32_e32 v15, 0x80000000, v15
	v_lshl_add_u32 v14, v14, 23, v20
	v_or3_b32 v14, v15, v14, v11
.LBB18_848:
	s_or_b64 exec, exec, s[6:7]
	s_nop 0
	v_mfma_f32_16x16x4f32 a[0:3], v10, v14, a[0:3]
	s_movk_i32 s4, 0xff
	v_and_b32_sdwa v11, v16, s4 dst_sel:DWORD dst_unused:UNUSED_PAD src0_sel:WORD_1 src1_sel:DWORD
	s_movk_i32 s4, 0x7f
	v_cmp_lt_i16_e32 vcc, s4, v11
	s_mov_b64 s[4:5], 0
                                        ; implicit-def: $sgpr10
	s_and_saveexec_b64 s[6:7], vcc
	s_xor_b64 s[6:7], exec, s[6:7]
	s_cbranch_execnz .LBB18_2897
; %bb.849:
	s_or_saveexec_b64 s[6:7], s[6:7]
	v_mov_b32_e32 v10, s10
	s_xor_b64 exec, exec, s[6:7]
	s_cbranch_execnz .LBB18_2900
.LBB18_850:
	s_or_b64 exec, exec, s[6:7]
	s_and_saveexec_b64 s[6:7], s[4:5]
	s_cbranch_execz .LBB18_852
.LBB18_851:
	v_bfe_u32 v10, v16, 16, 3
	v_ffbh_u32_e32 v15, v10
	v_min_u32_e32 v15, 32, v15
	v_lshrrev_b32_e32 v11, 19, v16
	v_subrev_u32_e32 v20, 28, v15
	v_and_b32_e32 v11, 15, v11
	v_lshlrev_b32_sdwa v20, v20, v16 dst_sel:DWORD dst_unused:UNUSED_PAD src0_sel:DWORD src1_sel:WORD_1
	v_bfe_u32 v14, v16, 19, 4
	v_sub_u32_e32 v15, 29, v15
	v_and_b32_e32 v20, 7, v20
	v_cmp_eq_u16_e32 vcc, 0, v11
	v_cndmask_b32_e32 v10, v10, v20, vcc
	v_cndmask_b32_e32 v11, v14, v15, vcc
	v_lshlrev_b32_e32 v14, 8, v16
	v_mov_b32_e32 v15, 0x3b800000
	v_lshlrev_b32_e32 v10, 20, v10
	v_and_b32_e32 v14, 0x80000000, v14
	v_lshl_add_u32 v11, v11, 23, v15
	v_or3_b32 v10, v14, v11, v10
.LBB18_852:
	s_or_b64 exec, exec, s[6:7]
	s_movk_i32 s4, 0xff
	v_and_b32_sdwa v11, v12, s4 dst_sel:DWORD dst_unused:UNUSED_PAD src0_sel:WORD_1 src1_sel:DWORD
	s_movk_i32 s4, 0x7f
	v_cmp_lt_i16_e32 vcc, s4, v11
	s_mov_b64 s[4:5], 0
                                        ; implicit-def: $sgpr10
	s_and_saveexec_b64 s[6:7], vcc
	s_xor_b64 s[6:7], exec, s[6:7]
	s_cbranch_execnz .LBB18_2901
; %bb.853:
	s_or_saveexec_b64 s[6:7], s[6:7]
	v_mov_b32_e32 v14, s10
	s_xor_b64 exec, exec, s[6:7]
	s_cbranch_execnz .LBB18_2904
.LBB18_854:
	s_or_b64 exec, exec, s[6:7]
	s_and_saveexec_b64 s[6:7], s[4:5]
	s_cbranch_execz .LBB18_856
.LBB18_855:
	v_bfe_u32 v11, v12, 16, 3
	v_ffbh_u32_e32 v20, v11
	v_min_u32_e32 v20, 32, v20
	v_lshrrev_b32_e32 v14, 19, v12
	v_subrev_u32_e32 v21, 28, v20
	v_and_b32_e32 v14, 15, v14
	v_lshlrev_b32_sdwa v21, v21, v12 dst_sel:DWORD dst_unused:UNUSED_PAD src0_sel:DWORD src1_sel:WORD_1
	v_bfe_u32 v15, v12, 19, 4
	v_sub_u32_e32 v20, 29, v20
	v_and_b32_e32 v21, 7, v21
	v_cmp_eq_u16_e32 vcc, 0, v14
	v_cndmask_b32_e32 v11, v11, v21, vcc
	v_cndmask_b32_e32 v14, v15, v20, vcc
	v_lshlrev_b32_e32 v15, 8, v12
	v_mov_b32_e32 v20, 0x3b800000
	v_lshlrev_b32_e32 v11, 20, v11
	v_and_b32_e32 v15, 0x80000000, v15
	v_lshl_add_u32 v14, v14, 23, v20
	v_or3_b32 v14, v15, v14, v11
.LBB18_856:
	s_or_b64 exec, exec, s[6:7]
	s_nop 0
	v_mfma_f32_16x16x4f32 a[0:3], v10, v14, a[0:3]
	s_movk_i32 s4, 0x7f
	v_cmp_gt_i16_sdwa s[6:7], v16, s4 src0_sel:BYTE_3 src1_sel:DWORD
	s_mov_b64 s[4:5], 0
                                        ; implicit-def: $sgpr10
	s_and_saveexec_b64 s[8:9], s[6:7]
	s_xor_b64 s[6:7], exec, s[8:9]
	s_cbranch_execnz .LBB18_2905
; %bb.857:
	s_or_saveexec_b64 s[6:7], s[6:7]
	v_mov_b32_e32 v10, s10
	s_xor_b64 exec, exec, s[6:7]
	s_cbranch_execnz .LBB18_2908
.LBB18_858:
	s_or_b64 exec, exec, s[6:7]
	s_and_saveexec_b64 s[6:7], s[4:5]
	s_cbranch_execz .LBB18_860
.LBB18_859:
	v_bfe_u32 v10, v16, 24, 3
	v_ffbh_u32_e32 v20, v10
	v_min_u32_e32 v20, 32, v20
	v_lshrrev_b32_e32 v14, 27, v16
	v_subrev_u32_e32 v21, 28, v20
	v_and_b32_e32 v11, 0x80000000, v16
	v_and_b32_e32 v14, 15, v14
	v_bfe_u32 v15, v16, 27, 4
	v_lshlrev_b32_sdwa v16, v21, v16 dst_sel:DWORD dst_unused:UNUSED_PAD src0_sel:DWORD src1_sel:BYTE_3
	v_sub_u32_e32 v20, 29, v20
	v_and_b32_e32 v16, 7, v16
	v_cmp_eq_u16_e32 vcc, 0, v14
	v_cndmask_b32_e32 v10, v10, v16, vcc
	v_cndmask_b32_e32 v14, v15, v20, vcc
	v_mov_b32_e32 v15, 0x3b800000
	v_lshlrev_b32_e32 v10, 20, v10
	v_lshl_add_u32 v14, v14, 23, v15
	v_or3_b32 v10, v11, v14, v10
.LBB18_860:
	s_or_b64 exec, exec, s[6:7]
	s_movk_i32 s4, 0x7f
	v_cmp_gt_i16_sdwa s[6:7], v12, s4 src0_sel:BYTE_3 src1_sel:DWORD
	s_mov_b64 s[4:5], 0
                                        ; implicit-def: $sgpr10
	s_and_saveexec_b64 s[8:9], s[6:7]
	s_xor_b64 s[6:7], exec, s[8:9]
	s_cbranch_execnz .LBB18_2909
; %bb.861:
	s_or_saveexec_b64 s[6:7], s[6:7]
	v_mov_b32_e32 v11, s10
	s_xor_b64 exec, exec, s[6:7]
	s_cbranch_execnz .LBB18_2912
.LBB18_862:
	s_or_b64 exec, exec, s[6:7]
	s_and_saveexec_b64 s[6:7], s[4:5]
	s_cbranch_execz .LBB18_864
.LBB18_863:
	v_bfe_u32 v11, v12, 24, 3
	v_ffbh_u32_e32 v20, v11
	v_min_u32_e32 v20, 32, v20
	v_lshrrev_b32_e32 v15, 27, v12
	v_subrev_u32_e32 v21, 28, v20
	v_and_b32_e32 v14, 0x80000000, v12
	v_and_b32_e32 v15, 15, v15
	v_bfe_u32 v16, v12, 27, 4
	v_lshlrev_b32_sdwa v12, v21, v12 dst_sel:DWORD dst_unused:UNUSED_PAD src0_sel:DWORD src1_sel:BYTE_3
	v_sub_u32_e32 v20, 29, v20
	v_and_b32_e32 v12, 7, v12
	v_cmp_eq_u16_e32 vcc, 0, v15
	v_cndmask_b32_e32 v11, v11, v12, vcc
	v_cndmask_b32_e32 v12, v16, v20, vcc
	v_mov_b32_e32 v15, 0x3b800000
	v_lshlrev_b32_e32 v11, 20, v11
	v_lshl_add_u32 v12, v12, 23, v15
	v_or3_b32 v11, v14, v12, v11
.LBB18_864:
	s_or_b64 exec, exec, s[6:7]
	s_nop 0
	v_mfma_f32_16x16x4f32 a[0:3], v10, v11, a[0:3]
	s_movk_i32 s4, 0x7f
	v_cmp_gt_i16_sdwa s[6:7], v17, s4 src0_sel:BYTE_0 src1_sel:DWORD
	s_mov_b64 s[4:5], 0
                                        ; implicit-def: $sgpr10
	s_and_saveexec_b64 s[8:9], s[6:7]
	s_xor_b64 s[6:7], exec, s[8:9]
	s_cbranch_execnz .LBB18_2913
; %bb.865:
	s_or_saveexec_b64 s[6:7], s[6:7]
	v_mov_b32_e32 v10, s10
	s_xor_b64 exec, exec, s[6:7]
	s_cbranch_execnz .LBB18_2916
.LBB18_866:
	s_or_b64 exec, exec, s[6:7]
	s_and_saveexec_b64 s[6:7], s[4:5]
	s_cbranch_execz .LBB18_868
.LBB18_867:
	v_and_b32_e32 v10, 7, v17
	v_ffbh_u32_e32 v12, v10
	v_min_u32_e32 v12, 32, v12
	v_lshrrev_b16_e32 v11, 3, v17
	v_subrev_u32_e32 v14, 28, v12
	v_and_b32_e32 v11, 15, v11
	v_lshlrev_b32_e32 v14, v14, v17
	v_sub_u32_e32 v12, 29, v12
	v_and_b32_e32 v14, 7, v14
	v_cmp_eq_u16_e32 vcc, 0, v11
	v_cndmask_b32_e32 v10, v10, v14, vcc
	v_cndmask_b32_e32 v11, v11, v12, vcc
	v_lshlrev_b32_e32 v12, 24, v17
	v_mov_b32_e32 v14, 0x3b800000
	v_lshlrev_b32_e32 v10, 20, v10
	v_and_b32_e32 v12, 0x80000000, v12
	v_lshl_add_u32 v11, v11, 23, v14
	v_or3_b32 v10, v12, v11, v10
.LBB18_868:
	s_or_b64 exec, exec, s[6:7]
	s_movk_i32 s4, 0x7f
	v_cmp_gt_i16_sdwa s[6:7], v13, s4 src0_sel:BYTE_0 src1_sel:DWORD
	s_mov_b64 s[4:5], 0
                                        ; implicit-def: $sgpr10
	s_and_saveexec_b64 s[8:9], s[6:7]
	s_xor_b64 s[6:7], exec, s[8:9]
	s_cbranch_execnz .LBB18_2917
; %bb.869:
	s_or_saveexec_b64 s[6:7], s[6:7]
	v_mov_b32_e32 v11, s10
	s_xor_b64 exec, exec, s[6:7]
	s_cbranch_execnz .LBB18_2920
.LBB18_870:
	s_or_b64 exec, exec, s[6:7]
	s_and_saveexec_b64 s[6:7], s[4:5]
	s_cbranch_execz .LBB18_872
.LBB18_871:
	v_and_b32_e32 v11, 7, v13
	v_ffbh_u32_e32 v14, v11
	v_min_u32_e32 v14, 32, v14
	v_lshrrev_b16_e32 v12, 3, v13
	v_subrev_u32_e32 v15, 28, v14
	v_and_b32_e32 v12, 15, v12
	v_lshlrev_b32_e32 v15, v15, v13
	v_sub_u32_e32 v14, 29, v14
	v_and_b32_e32 v15, 7, v15
	v_cmp_eq_u16_e32 vcc, 0, v12
	v_cndmask_b32_e32 v11, v11, v15, vcc
	v_cndmask_b32_e32 v12, v12, v14, vcc
	v_lshlrev_b32_e32 v14, 24, v13
	v_mov_b32_e32 v15, 0x3b800000
	v_lshlrev_b32_e32 v11, 20, v11
	v_and_b32_e32 v14, 0x80000000, v14
	v_lshl_add_u32 v12, v12, 23, v15
	v_or3_b32 v11, v14, v12, v11
.LBB18_872:
	s_or_b64 exec, exec, s[6:7]
	s_nop 0
	v_mfma_f32_16x16x4f32 a[0:3], v10, v11, a[0:3]
	v_lshrrev_b32_e32 v11, 8, v17
	s_movk_i32 s4, 0x7f
	v_cmp_gt_i16_sdwa s[6:7], v11, s4 src0_sel:BYTE_0 src1_sel:DWORD
	s_mov_b64 s[4:5], 0
                                        ; implicit-def: $sgpr10
	s_and_saveexec_b64 s[8:9], s[6:7]
	s_xor_b64 s[6:7], exec, s[8:9]
	s_cbranch_execnz .LBB18_2921
; %bb.873:
	s_or_saveexec_b64 s[6:7], s[6:7]
	v_mov_b32_e32 v10, s10
	s_xor_b64 exec, exec, s[6:7]
	s_cbranch_execnz .LBB18_2924
.LBB18_874:
	s_or_b64 exec, exec, s[6:7]
	s_and_saveexec_b64 s[6:7], s[4:5]
	s_cbranch_execz .LBB18_876
.LBB18_875:
	v_bfe_u32 v10, v17, 8, 3
	v_ffbh_u32_e32 v14, v10
	v_min_u32_e32 v14, 32, v14
	v_lshrrev_b16_e32 v12, 3, v11
	v_subrev_u32_e32 v15, 28, v14
	v_and_b32_e32 v12, 15, v12
	v_lshlrev_b32_e32 v11, v15, v11
	v_sub_u32_e32 v14, 29, v14
	v_and_b32_e32 v11, 7, v11
	v_cmp_eq_u16_e32 vcc, 0, v12
	v_cndmask_b32_e32 v10, v10, v11, vcc
	v_cndmask_b32_e32 v11, v12, v14, vcc
	v_lshlrev_b32_e32 v12, 16, v17
	v_mov_b32_e32 v14, 0x3b800000
	v_lshlrev_b32_e32 v10, 20, v10
	v_and_b32_e32 v12, 0x80000000, v12
	v_lshl_add_u32 v11, v11, 23, v14
	v_or3_b32 v10, v12, v11, v10
.LBB18_876:
	s_or_b64 exec, exec, s[6:7]
	v_lshrrev_b32_e32 v11, 8, v13
	s_movk_i32 s4, 0x7f
	v_cmp_gt_i16_sdwa s[6:7], v11, s4 src0_sel:BYTE_0 src1_sel:DWORD
	s_mov_b64 s[4:5], 0
                                        ; implicit-def: $sgpr10
	s_and_saveexec_b64 s[8:9], s[6:7]
	s_xor_b64 s[6:7], exec, s[8:9]
	s_cbranch_execnz .LBB18_2925
; %bb.877:
	s_or_saveexec_b64 s[6:7], s[6:7]
	v_mov_b32_e32 v12, s10
	s_xor_b64 exec, exec, s[6:7]
	s_cbranch_execnz .LBB18_2928
.LBB18_878:
	s_or_b64 exec, exec, s[6:7]
	s_and_saveexec_b64 s[6:7], s[4:5]
	s_cbranch_execz .LBB18_880
.LBB18_879:
	v_bfe_u32 v12, v13, 8, 3
	v_ffbh_u32_e32 v15, v12
	v_min_u32_e32 v15, 32, v15
	v_lshrrev_b16_e32 v14, 3, v11
	v_subrev_u32_e32 v16, 28, v15
	v_and_b32_e32 v14, 15, v14
	v_lshlrev_b32_e32 v11, v16, v11
	v_sub_u32_e32 v15, 29, v15
	v_and_b32_e32 v11, 7, v11
	v_cmp_eq_u16_e32 vcc, 0, v14
	v_cndmask_b32_e32 v11, v12, v11, vcc
	v_cndmask_b32_e32 v12, v14, v15, vcc
	v_lshlrev_b32_e32 v14, 16, v13
	v_mov_b32_e32 v15, 0x3b800000
	v_lshlrev_b32_e32 v11, 20, v11
	v_and_b32_e32 v14, 0x80000000, v14
	v_lshl_add_u32 v12, v12, 23, v15
	v_or3_b32 v12, v14, v12, v11
.LBB18_880:
	s_or_b64 exec, exec, s[6:7]
	s_nop 0
	v_mfma_f32_16x16x4f32 a[0:3], v10, v12, a[0:3]
	s_movk_i32 s4, 0xff
	v_and_b32_sdwa v11, v17, s4 dst_sel:DWORD dst_unused:UNUSED_PAD src0_sel:WORD_1 src1_sel:DWORD
	s_movk_i32 s4, 0x7f
	v_cmp_lt_i16_e32 vcc, s4, v11
	s_mov_b64 s[4:5], 0
                                        ; implicit-def: $sgpr10
	s_and_saveexec_b64 s[6:7], vcc
	s_xor_b64 s[6:7], exec, s[6:7]
	s_cbranch_execnz .LBB18_2929
; %bb.881:
	s_or_saveexec_b64 s[6:7], s[6:7]
	v_mov_b32_e32 v10, s10
	s_xor_b64 exec, exec, s[6:7]
	s_cbranch_execnz .LBB18_2932
.LBB18_882:
	s_or_b64 exec, exec, s[6:7]
	s_and_saveexec_b64 s[6:7], s[4:5]
	s_cbranch_execz .LBB18_884
.LBB18_883:
	v_bfe_u32 v10, v17, 16, 3
	v_ffbh_u32_e32 v14, v10
	v_min_u32_e32 v14, 32, v14
	v_lshrrev_b32_e32 v11, 19, v17
	v_subrev_u32_e32 v15, 28, v14
	v_and_b32_e32 v11, 15, v11
	v_lshlrev_b32_sdwa v15, v15, v17 dst_sel:DWORD dst_unused:UNUSED_PAD src0_sel:DWORD src1_sel:WORD_1
	v_bfe_u32 v12, v17, 19, 4
	v_sub_u32_e32 v14, 29, v14
	v_and_b32_e32 v15, 7, v15
	v_cmp_eq_u16_e32 vcc, 0, v11
	v_cndmask_b32_e32 v10, v10, v15, vcc
	v_cndmask_b32_e32 v11, v12, v14, vcc
	v_lshlrev_b32_e32 v12, 8, v17
	v_mov_b32_e32 v14, 0x3b800000
	v_lshlrev_b32_e32 v10, 20, v10
	v_and_b32_e32 v12, 0x80000000, v12
	v_lshl_add_u32 v11, v11, 23, v14
	v_or3_b32 v10, v12, v11, v10
.LBB18_884:
	s_or_b64 exec, exec, s[6:7]
	s_movk_i32 s4, 0xff
	v_and_b32_sdwa v11, v13, s4 dst_sel:DWORD dst_unused:UNUSED_PAD src0_sel:WORD_1 src1_sel:DWORD
	s_movk_i32 s4, 0x7f
	v_cmp_lt_i16_e32 vcc, s4, v11
	s_mov_b64 s[4:5], 0
                                        ; implicit-def: $sgpr10
	s_and_saveexec_b64 s[6:7], vcc
	s_xor_b64 s[6:7], exec, s[6:7]
	s_cbranch_execnz .LBB18_2933
; %bb.885:
	s_or_saveexec_b64 s[6:7], s[6:7]
	v_mov_b32_e32 v12, s10
	s_xor_b64 exec, exec, s[6:7]
	s_cbranch_execnz .LBB18_2936
.LBB18_886:
	s_or_b64 exec, exec, s[6:7]
	s_and_saveexec_b64 s[6:7], s[4:5]
	s_cbranch_execz .LBB18_888
.LBB18_887:
	v_bfe_u32 v11, v13, 16, 3
	v_ffbh_u32_e32 v15, v11
	v_min_u32_e32 v15, 32, v15
	v_lshrrev_b32_e32 v12, 19, v13
	v_subrev_u32_e32 v16, 28, v15
	v_and_b32_e32 v12, 15, v12
	v_lshlrev_b32_sdwa v16, v16, v13 dst_sel:DWORD dst_unused:UNUSED_PAD src0_sel:DWORD src1_sel:WORD_1
	v_bfe_u32 v14, v13, 19, 4
	v_sub_u32_e32 v15, 29, v15
	v_and_b32_e32 v16, 7, v16
	v_cmp_eq_u16_e32 vcc, 0, v12
	v_cndmask_b32_e32 v11, v11, v16, vcc
	v_cndmask_b32_e32 v12, v14, v15, vcc
	v_lshlrev_b32_e32 v14, 8, v13
	v_mov_b32_e32 v15, 0x3b800000
	v_lshlrev_b32_e32 v11, 20, v11
	v_and_b32_e32 v14, 0x80000000, v14
	v_lshl_add_u32 v12, v12, 23, v15
	v_or3_b32 v12, v14, v12, v11
.LBB18_888:
	s_or_b64 exec, exec, s[6:7]
	s_nop 0
	v_mfma_f32_16x16x4f32 a[0:3], v10, v12, a[0:3]
	s_movk_i32 s4, 0x7f
	v_cmp_gt_i16_sdwa s[6:7], v17, s4 src0_sel:BYTE_3 src1_sel:DWORD
	s_mov_b64 s[4:5], 0
                                        ; implicit-def: $sgpr10
	s_and_saveexec_b64 s[8:9], s[6:7]
	s_xor_b64 s[6:7], exec, s[8:9]
	s_cbranch_execnz .LBB18_2937
; %bb.889:
	s_or_saveexec_b64 s[6:7], s[6:7]
	v_mov_b32_e32 v10, s10
	s_xor_b64 exec, exec, s[6:7]
	s_cbranch_execnz .LBB18_2940
.LBB18_890:
	s_or_b64 exec, exec, s[6:7]
	s_and_saveexec_b64 s[6:7], s[4:5]
	s_cbranch_execz .LBB18_892
.LBB18_891:
	v_bfe_u32 v10, v17, 24, 3
	v_ffbh_u32_e32 v15, v10
	v_min_u32_e32 v15, 32, v15
	v_lshrrev_b32_e32 v12, 27, v17
	v_subrev_u32_e32 v16, 28, v15
	v_and_b32_e32 v12, 15, v12
	v_lshlrev_b32_sdwa v16, v16, v17 dst_sel:DWORD dst_unused:UNUSED_PAD src0_sel:DWORD src1_sel:BYTE_3
	v_bfe_u32 v14, v17, 27, 4
	v_sub_u32_e32 v15, 29, v15
	v_and_b32_e32 v16, 7, v16
	v_cmp_eq_u16_e32 vcc, 0, v12
	v_cndmask_b32_e32 v10, v10, v16, vcc
	v_cndmask_b32_e32 v12, v14, v15, vcc
	v_mov_b32_e32 v14, 0x3b800000
	v_and_b32_e32 v11, 0x80000000, v17
	v_lshlrev_b32_e32 v10, 20, v10
	v_lshl_add_u32 v12, v12, 23, v14
	v_or3_b32 v10, v11, v12, v10
.LBB18_892:
	s_or_b64 exec, exec, s[6:7]
	s_movk_i32 s4, 0x7f
	v_cmp_gt_i16_sdwa s[6:7], v13, s4 src0_sel:BYTE_3 src1_sel:DWORD
	s_mov_b64 s[4:5], 0
                                        ; implicit-def: $sgpr10
	s_and_saveexec_b64 s[8:9], s[6:7]
	s_xor_b64 s[6:7], exec, s[8:9]
	s_cbranch_execnz .LBB18_2941
; %bb.893:
	s_or_saveexec_b64 s[6:7], s[6:7]
	v_mov_b32_e32 v11, s10
	s_xor_b64 exec, exec, s[6:7]
	s_cbranch_execnz .LBB18_2944
.LBB18_894:
	s_or_b64 exec, exec, s[6:7]
	s_and_saveexec_b64 s[6:7], s[4:5]
	s_cbranch_execz .LBB18_896
.LBB18_895:
	v_bfe_u32 v11, v13, 24, 3
	v_ffbh_u32_e32 v16, v11
	v_min_u32_e32 v16, 32, v16
	v_lshrrev_b32_e32 v14, 27, v13
	v_subrev_u32_e32 v17, 28, v16
	v_and_b32_e32 v12, 0x80000000, v13
	v_and_b32_e32 v14, 15, v14
	v_bfe_u32 v15, v13, 27, 4
	v_lshlrev_b32_sdwa v13, v17, v13 dst_sel:DWORD dst_unused:UNUSED_PAD src0_sel:DWORD src1_sel:BYTE_3
	v_sub_u32_e32 v16, 29, v16
	v_and_b32_e32 v13, 7, v13
	v_cmp_eq_u16_e32 vcc, 0, v14
	v_cndmask_b32_e32 v11, v11, v13, vcc
	v_cndmask_b32_e32 v13, v15, v16, vcc
	v_mov_b32_e32 v14, 0x3b800000
	v_lshlrev_b32_e32 v11, 20, v11
	v_lshl_add_u32 v13, v13, 23, v14
	v_or3_b32 v11, v12, v13, v11
.LBB18_896:
	s_or_b64 exec, exec, s[6:7]
	s_nop 0
	v_mfma_f32_16x16x4f32 a[0:3], v10, v11, a[0:3]
	s_movk_i32 s4, 0x7f
	v_cmp_gt_i16_sdwa s[6:7], v6, s4 src0_sel:BYTE_0 src1_sel:DWORD
	s_mov_b64 s[4:5], 0
                                        ; implicit-def: $sgpr10
	s_and_saveexec_b64 s[8:9], s[6:7]
	s_xor_b64 s[6:7], exec, s[8:9]
	s_cbranch_execnz .LBB18_2945
; %bb.897:
	s_or_saveexec_b64 s[6:7], s[6:7]
	v_mov_b32_e32 v10, s10
	s_xor_b64 exec, exec, s[6:7]
	s_cbranch_execnz .LBB18_2948
.LBB18_898:
	s_or_b64 exec, exec, s[6:7]
	s_and_saveexec_b64 s[6:7], s[4:5]
	s_cbranch_execz .LBB18_900
.LBB18_899:
	v_and_b32_e32 v10, 7, v6
	v_ffbh_u32_e32 v12, v10
	v_min_u32_e32 v12, 32, v12
	v_lshrrev_b16_e32 v11, 3, v6
	v_subrev_u32_e32 v13, 28, v12
	v_and_b32_e32 v11, 15, v11
	v_lshlrev_b32_e32 v13, v13, v6
	v_sub_u32_e32 v12, 29, v12
	v_and_b32_e32 v13, 7, v13
	v_cmp_eq_u16_e32 vcc, 0, v11
	v_cndmask_b32_e32 v10, v10, v13, vcc
	v_cndmask_b32_e32 v11, v11, v12, vcc
	v_lshlrev_b32_e32 v12, 24, v6
	v_mov_b32_e32 v13, 0x3b800000
	v_lshlrev_b32_e32 v10, 20, v10
	v_and_b32_e32 v12, 0x80000000, v12
	v_lshl_add_u32 v11, v11, 23, v13
	v_or3_b32 v10, v12, v11, v10
.LBB18_900:
	s_or_b64 exec, exec, s[6:7]
	s_movk_i32 s4, 0x7f
	v_cmp_gt_i16_sdwa s[6:7], v2, s4 src0_sel:BYTE_0 src1_sel:DWORD
	s_mov_b64 s[4:5], 0
                                        ; implicit-def: $sgpr10
	s_and_saveexec_b64 s[8:9], s[6:7]
	s_xor_b64 s[6:7], exec, s[8:9]
	s_cbranch_execnz .LBB18_2949
; %bb.901:
	s_or_saveexec_b64 s[6:7], s[6:7]
	v_mov_b32_e32 v11, s10
	s_xor_b64 exec, exec, s[6:7]
	s_cbranch_execnz .LBB18_2952
.LBB18_902:
	s_or_b64 exec, exec, s[6:7]
	s_and_saveexec_b64 s[6:7], s[4:5]
	s_cbranch_execz .LBB18_904
.LBB18_903:
	v_and_b32_e32 v11, 7, v2
	v_ffbh_u32_e32 v13, v11
	v_min_u32_e32 v13, 32, v13
	v_lshrrev_b16_e32 v12, 3, v2
	v_subrev_u32_e32 v14, 28, v13
	v_and_b32_e32 v12, 15, v12
	v_lshlrev_b32_e32 v14, v14, v2
	v_sub_u32_e32 v13, 29, v13
	v_and_b32_e32 v14, 7, v14
	v_cmp_eq_u16_e32 vcc, 0, v12
	v_cndmask_b32_e32 v11, v11, v14, vcc
	v_cndmask_b32_e32 v12, v12, v13, vcc
	v_lshlrev_b32_e32 v13, 24, v2
	v_mov_b32_e32 v14, 0x3b800000
	v_lshlrev_b32_e32 v11, 20, v11
	v_and_b32_e32 v13, 0x80000000, v13
	v_lshl_add_u32 v12, v12, 23, v14
	v_or3_b32 v11, v13, v12, v11
.LBB18_904:
	s_or_b64 exec, exec, s[6:7]
	s_nop 0
	v_mfma_f32_16x16x4f32 a[0:3], v10, v11, a[0:3]
	v_lshrrev_b32_e32 v11, 8, v6
	s_movk_i32 s4, 0x7f
	v_cmp_gt_i16_sdwa s[6:7], v11, s4 src0_sel:BYTE_0 src1_sel:DWORD
	s_mov_b64 s[4:5], 0
                                        ; implicit-def: $sgpr10
	s_and_saveexec_b64 s[8:9], s[6:7]
	s_xor_b64 s[6:7], exec, s[8:9]
	s_cbranch_execnz .LBB18_2953
; %bb.905:
	s_or_saveexec_b64 s[6:7], s[6:7]
	v_mov_b32_e32 v10, s10
	s_xor_b64 exec, exec, s[6:7]
	s_cbranch_execnz .LBB18_2956
.LBB18_906:
	s_or_b64 exec, exec, s[6:7]
	s_and_saveexec_b64 s[6:7], s[4:5]
	s_cbranch_execz .LBB18_908
.LBB18_907:
	v_bfe_u32 v10, v6, 8, 3
	v_ffbh_u32_e32 v13, v10
	v_min_u32_e32 v13, 32, v13
	v_lshrrev_b16_e32 v12, 3, v11
	v_subrev_u32_e32 v14, 28, v13
	v_and_b32_e32 v12, 15, v12
	v_lshlrev_b32_e32 v11, v14, v11
	v_sub_u32_e32 v13, 29, v13
	v_and_b32_e32 v11, 7, v11
	v_cmp_eq_u16_e32 vcc, 0, v12
	v_cndmask_b32_e32 v10, v10, v11, vcc
	v_cndmask_b32_e32 v11, v12, v13, vcc
	v_lshlrev_b32_e32 v12, 16, v6
	v_mov_b32_e32 v13, 0x3b800000
	v_lshlrev_b32_e32 v10, 20, v10
	v_and_b32_e32 v12, 0x80000000, v12
	v_lshl_add_u32 v11, v11, 23, v13
	v_or3_b32 v10, v12, v11, v10
.LBB18_908:
	s_or_b64 exec, exec, s[6:7]
	v_lshrrev_b32_e32 v11, 8, v2
	s_movk_i32 s4, 0x7f
	v_cmp_gt_i16_sdwa s[6:7], v11, s4 src0_sel:BYTE_0 src1_sel:DWORD
	s_mov_b64 s[4:5], 0
                                        ; implicit-def: $sgpr10
	s_and_saveexec_b64 s[8:9], s[6:7]
	s_xor_b64 s[6:7], exec, s[8:9]
	s_cbranch_execnz .LBB18_2957
; %bb.909:
	s_or_saveexec_b64 s[6:7], s[6:7]
	v_mov_b32_e32 v12, s10
	s_xor_b64 exec, exec, s[6:7]
	s_cbranch_execnz .LBB18_2960
.LBB18_910:
	s_or_b64 exec, exec, s[6:7]
	s_and_saveexec_b64 s[6:7], s[4:5]
	s_cbranch_execz .LBB18_912
.LBB18_911:
	v_bfe_u32 v12, v2, 8, 3
	v_ffbh_u32_e32 v14, v12
	v_min_u32_e32 v14, 32, v14
	v_lshrrev_b16_e32 v13, 3, v11
	v_subrev_u32_e32 v15, 28, v14
	v_and_b32_e32 v13, 15, v13
	v_lshlrev_b32_e32 v11, v15, v11
	v_sub_u32_e32 v14, 29, v14
	v_and_b32_e32 v11, 7, v11
	v_cmp_eq_u16_e32 vcc, 0, v13
	v_cndmask_b32_e32 v11, v12, v11, vcc
	v_cndmask_b32_e32 v12, v13, v14, vcc
	v_lshlrev_b32_e32 v13, 16, v2
	v_mov_b32_e32 v14, 0x3b800000
	v_lshlrev_b32_e32 v11, 20, v11
	v_and_b32_e32 v13, 0x80000000, v13
	v_lshl_add_u32 v12, v12, 23, v14
	v_or3_b32 v12, v13, v12, v11
.LBB18_912:
	s_or_b64 exec, exec, s[6:7]
	s_nop 0
	v_mfma_f32_16x16x4f32 a[0:3], v10, v12, a[0:3]
	s_movk_i32 s4, 0xff
	v_and_b32_sdwa v11, v6, s4 dst_sel:DWORD dst_unused:UNUSED_PAD src0_sel:WORD_1 src1_sel:DWORD
	s_movk_i32 s4, 0x7f
	v_cmp_lt_i16_e32 vcc, s4, v11
	s_mov_b64 s[4:5], 0
                                        ; implicit-def: $sgpr10
	s_and_saveexec_b64 s[6:7], vcc
	s_xor_b64 s[6:7], exec, s[6:7]
	s_cbranch_execnz .LBB18_2961
; %bb.913:
	s_or_saveexec_b64 s[6:7], s[6:7]
	v_mov_b32_e32 v10, s10
	s_xor_b64 exec, exec, s[6:7]
	s_cbranch_execnz .LBB18_2964
.LBB18_914:
	s_or_b64 exec, exec, s[6:7]
	s_and_saveexec_b64 s[6:7], s[4:5]
	s_cbranch_execz .LBB18_916
.LBB18_915:
	v_bfe_u32 v10, v6, 16, 3
	v_ffbh_u32_e32 v13, v10
	v_min_u32_e32 v13, 32, v13
	v_lshrrev_b32_e32 v11, 19, v6
	v_subrev_u32_e32 v14, 28, v13
	v_and_b32_e32 v11, 15, v11
	v_lshlrev_b32_sdwa v14, v14, v6 dst_sel:DWORD dst_unused:UNUSED_PAD src0_sel:DWORD src1_sel:WORD_1
	v_bfe_u32 v12, v6, 19, 4
	v_sub_u32_e32 v13, 29, v13
	v_and_b32_e32 v14, 7, v14
	v_cmp_eq_u16_e32 vcc, 0, v11
	v_cndmask_b32_e32 v10, v10, v14, vcc
	v_cndmask_b32_e32 v11, v12, v13, vcc
	v_lshlrev_b32_e32 v12, 8, v6
	v_mov_b32_e32 v13, 0x3b800000
	v_lshlrev_b32_e32 v10, 20, v10
	v_and_b32_e32 v12, 0x80000000, v12
	v_lshl_add_u32 v11, v11, 23, v13
	v_or3_b32 v10, v12, v11, v10
.LBB18_916:
	s_or_b64 exec, exec, s[6:7]
	s_movk_i32 s4, 0xff
	v_and_b32_sdwa v11, v2, s4 dst_sel:DWORD dst_unused:UNUSED_PAD src0_sel:WORD_1 src1_sel:DWORD
	s_movk_i32 s4, 0x7f
	v_cmp_lt_i16_e32 vcc, s4, v11
	s_mov_b64 s[4:5], 0
                                        ; implicit-def: $sgpr10
	s_and_saveexec_b64 s[6:7], vcc
	s_xor_b64 s[6:7], exec, s[6:7]
	s_cbranch_execnz .LBB18_2965
; %bb.917:
	s_or_saveexec_b64 s[6:7], s[6:7]
	v_mov_b32_e32 v12, s10
	s_xor_b64 exec, exec, s[6:7]
	s_cbranch_execnz .LBB18_2968
.LBB18_918:
	s_or_b64 exec, exec, s[6:7]
	s_and_saveexec_b64 s[6:7], s[4:5]
	s_cbranch_execz .LBB18_920
.LBB18_919:
	v_bfe_u32 v11, v2, 16, 3
	v_ffbh_u32_e32 v14, v11
	v_min_u32_e32 v14, 32, v14
	v_lshrrev_b32_e32 v12, 19, v2
	v_subrev_u32_e32 v15, 28, v14
	v_and_b32_e32 v12, 15, v12
	v_lshlrev_b32_sdwa v15, v15, v2 dst_sel:DWORD dst_unused:UNUSED_PAD src0_sel:DWORD src1_sel:WORD_1
	v_bfe_u32 v13, v2, 19, 4
	v_sub_u32_e32 v14, 29, v14
	v_and_b32_e32 v15, 7, v15
	v_cmp_eq_u16_e32 vcc, 0, v12
	v_cndmask_b32_e32 v11, v11, v15, vcc
	v_cndmask_b32_e32 v12, v13, v14, vcc
	v_lshlrev_b32_e32 v13, 8, v2
	v_mov_b32_e32 v14, 0x3b800000
	v_lshlrev_b32_e32 v11, 20, v11
	v_and_b32_e32 v13, 0x80000000, v13
	v_lshl_add_u32 v12, v12, 23, v14
	v_or3_b32 v12, v13, v12, v11
.LBB18_920:
	s_or_b64 exec, exec, s[6:7]
	s_nop 0
	v_mfma_f32_16x16x4f32 a[0:3], v10, v12, a[0:3]
	s_movk_i32 s4, 0x7f
	v_cmp_gt_i16_sdwa s[6:7], v6, s4 src0_sel:BYTE_3 src1_sel:DWORD
	s_mov_b64 s[4:5], 0
                                        ; implicit-def: $sgpr10
	s_and_saveexec_b64 s[8:9], s[6:7]
	s_xor_b64 s[6:7], exec, s[8:9]
	s_cbranch_execnz .LBB18_2969
; %bb.921:
	s_or_saveexec_b64 s[6:7], s[6:7]
	v_mov_b32_e32 v10, s10
	s_xor_b64 exec, exec, s[6:7]
	s_cbranch_execnz .LBB18_2972
.LBB18_922:
	s_or_b64 exec, exec, s[6:7]
	s_and_saveexec_b64 s[6:7], s[4:5]
	s_cbranch_execz .LBB18_924
.LBB18_923:
	v_bfe_u32 v10, v6, 24, 3
	v_ffbh_u32_e32 v14, v10
	v_min_u32_e32 v14, 32, v14
	v_lshrrev_b32_e32 v12, 27, v6
	v_subrev_u32_e32 v15, 28, v14
	v_and_b32_e32 v11, 0x80000000, v6
	v_and_b32_e32 v12, 15, v12
	v_bfe_u32 v13, v6, 27, 4
	v_lshlrev_b32_sdwa v6, v15, v6 dst_sel:DWORD dst_unused:UNUSED_PAD src0_sel:DWORD src1_sel:BYTE_3
	v_sub_u32_e32 v14, 29, v14
	v_and_b32_e32 v6, 7, v6
	v_cmp_eq_u16_e32 vcc, 0, v12
	v_cndmask_b32_e32 v6, v10, v6, vcc
	v_cndmask_b32_e32 v10, v13, v14, vcc
	v_mov_b32_e32 v12, 0x3b800000
	v_lshlrev_b32_e32 v6, 20, v6
	v_lshl_add_u32 v10, v10, 23, v12
	v_or3_b32 v10, v11, v10, v6
.LBB18_924:
	s_or_b64 exec, exec, s[6:7]
	s_movk_i32 s4, 0x7f
	v_cmp_gt_i16_sdwa s[6:7], v2, s4 src0_sel:BYTE_3 src1_sel:DWORD
	s_mov_b64 s[4:5], 0
                                        ; implicit-def: $sgpr10
	s_and_saveexec_b64 s[8:9], s[6:7]
	s_xor_b64 s[6:7], exec, s[8:9]
	s_cbranch_execnz .LBB18_2973
; %bb.925:
	s_or_saveexec_b64 s[6:7], s[6:7]
	v_mov_b32_e32 v6, s10
	s_xor_b64 exec, exec, s[6:7]
	s_cbranch_execnz .LBB18_2976
.LBB18_926:
	s_or_b64 exec, exec, s[6:7]
	s_and_saveexec_b64 s[6:7], s[4:5]
	s_cbranch_execz .LBB18_928
.LBB18_927:
	v_bfe_u32 v6, v2, 24, 3
	v_ffbh_u32_e32 v14, v6
	v_min_u32_e32 v14, 32, v14
	v_lshrrev_b32_e32 v12, 27, v2
	v_subrev_u32_e32 v15, 28, v14
	v_and_b32_e32 v11, 0x80000000, v2
	v_and_b32_e32 v12, 15, v12
	v_bfe_u32 v13, v2, 27, 4
	v_lshlrev_b32_sdwa v2, v15, v2 dst_sel:DWORD dst_unused:UNUSED_PAD src0_sel:DWORD src1_sel:BYTE_3
	v_sub_u32_e32 v14, 29, v14
	v_and_b32_e32 v2, 7, v2
	v_cmp_eq_u16_e32 vcc, 0, v12
	v_cndmask_b32_e32 v2, v6, v2, vcc
	v_cndmask_b32_e32 v6, v13, v14, vcc
	v_mov_b32_e32 v12, 0x3b800000
	v_lshlrev_b32_e32 v2, 20, v2
	v_lshl_add_u32 v6, v6, 23, v12
	v_or3_b32 v6, v11, v6, v2
.LBB18_928:
	s_or_b64 exec, exec, s[6:7]
	s_nop 0
	v_mfma_f32_16x16x4f32 a[0:3], v10, v6, a[0:3]
	s_movk_i32 s4, 0x7f
	v_cmp_gt_i16_sdwa s[6:7], v7, s4 src0_sel:BYTE_0 src1_sel:DWORD
	s_mov_b64 s[4:5], 0
                                        ; implicit-def: $sgpr10
	s_and_saveexec_b64 s[8:9], s[6:7]
	s_xor_b64 s[6:7], exec, s[8:9]
	s_cbranch_execnz .LBB18_2977
; %bb.929:
	s_or_saveexec_b64 s[6:7], s[6:7]
	v_mov_b32_e32 v2, s10
	s_xor_b64 exec, exec, s[6:7]
	s_cbranch_execnz .LBB18_2980
.LBB18_930:
	s_or_b64 exec, exec, s[6:7]
	s_and_saveexec_b64 s[6:7], s[4:5]
	s_cbranch_execz .LBB18_932
.LBB18_931:
	v_and_b32_e32 v2, 7, v7
	v_ffbh_u32_e32 v10, v2
	v_min_u32_e32 v10, 32, v10
	v_lshrrev_b16_e32 v6, 3, v7
	v_subrev_u32_e32 v11, 28, v10
	v_and_b32_e32 v6, 15, v6
	v_lshlrev_b32_e32 v11, v11, v7
	v_sub_u32_e32 v10, 29, v10
	v_and_b32_e32 v11, 7, v11
	v_cmp_eq_u16_e32 vcc, 0, v6
	v_cndmask_b32_e32 v2, v2, v11, vcc
	v_cndmask_b32_e32 v6, v6, v10, vcc
	v_lshlrev_b32_e32 v10, 24, v7
	v_mov_b32_e32 v11, 0x3b800000
	v_lshlrev_b32_e32 v2, 20, v2
	v_and_b32_e32 v10, 0x80000000, v10
	v_lshl_add_u32 v6, v6, 23, v11
	v_or3_b32 v2, v10, v6, v2
.LBB18_932:
	s_or_b64 exec, exec, s[6:7]
	s_movk_i32 s4, 0x7f
	v_cmp_gt_i16_sdwa s[6:7], v3, s4 src0_sel:BYTE_0 src1_sel:DWORD
	s_mov_b64 s[4:5], 0
                                        ; implicit-def: $sgpr10
	s_and_saveexec_b64 s[8:9], s[6:7]
	s_xor_b64 s[6:7], exec, s[8:9]
	s_cbranch_execnz .LBB18_2981
; %bb.933:
	s_or_saveexec_b64 s[6:7], s[6:7]
	v_mov_b32_e32 v6, s10
	s_xor_b64 exec, exec, s[6:7]
	s_cbranch_execnz .LBB18_2984
.LBB18_934:
	s_or_b64 exec, exec, s[6:7]
	s_and_saveexec_b64 s[6:7], s[4:5]
	s_cbranch_execz .LBB18_936
.LBB18_935:
	v_and_b32_e32 v6, 7, v3
	v_ffbh_u32_e32 v11, v6
	v_min_u32_e32 v11, 32, v11
	v_lshrrev_b16_e32 v10, 3, v3
	v_subrev_u32_e32 v12, 28, v11
	v_and_b32_e32 v10, 15, v10
	v_lshlrev_b32_e32 v12, v12, v3
	v_sub_u32_e32 v11, 29, v11
	v_and_b32_e32 v12, 7, v12
	v_cmp_eq_u16_e32 vcc, 0, v10
	v_cndmask_b32_e32 v6, v6, v12, vcc
	v_cndmask_b32_e32 v10, v10, v11, vcc
	v_lshlrev_b32_e32 v11, 24, v3
	v_mov_b32_e32 v12, 0x3b800000
	v_lshlrev_b32_e32 v6, 20, v6
	v_and_b32_e32 v11, 0x80000000, v11
	v_lshl_add_u32 v10, v10, 23, v12
	v_or3_b32 v6, v11, v10, v6
.LBB18_936:
	s_or_b64 exec, exec, s[6:7]
	s_nop 0
	v_mfma_f32_16x16x4f32 a[0:3], v2, v6, a[0:3]
	v_lshrrev_b32_e32 v6, 8, v7
	s_movk_i32 s4, 0x7f
	v_cmp_gt_i16_sdwa s[6:7], v6, s4 src0_sel:BYTE_0 src1_sel:DWORD
	s_mov_b64 s[4:5], 0
                                        ; implicit-def: $sgpr10
	s_and_saveexec_b64 s[8:9], s[6:7]
	s_xor_b64 s[6:7], exec, s[8:9]
	s_cbranch_execnz .LBB18_2985
; %bb.937:
	s_or_saveexec_b64 s[6:7], s[6:7]
	v_mov_b32_e32 v2, s10
	s_xor_b64 exec, exec, s[6:7]
	s_cbranch_execnz .LBB18_2988
.LBB18_938:
	s_or_b64 exec, exec, s[6:7]
	s_and_saveexec_b64 s[6:7], s[4:5]
	s_cbranch_execz .LBB18_940
.LBB18_939:
	v_bfe_u32 v2, v7, 8, 3
	v_ffbh_u32_e32 v11, v2
	v_min_u32_e32 v11, 32, v11
	v_lshrrev_b16_e32 v10, 3, v6
	v_subrev_u32_e32 v12, 28, v11
	v_and_b32_e32 v10, 15, v10
	v_lshlrev_b32_e32 v6, v12, v6
	v_sub_u32_e32 v11, 29, v11
	v_and_b32_e32 v6, 7, v6
	v_cmp_eq_u16_e32 vcc, 0, v10
	v_cndmask_b32_e32 v2, v2, v6, vcc
	v_cndmask_b32_e32 v6, v10, v11, vcc
	v_lshlrev_b32_e32 v10, 16, v7
	v_mov_b32_e32 v11, 0x3b800000
	v_lshlrev_b32_e32 v2, 20, v2
	v_and_b32_e32 v10, 0x80000000, v10
	v_lshl_add_u32 v6, v6, 23, v11
	v_or3_b32 v2, v10, v6, v2
.LBB18_940:
	s_or_b64 exec, exec, s[6:7]
	v_lshrrev_b32_e32 v6, 8, v3
	s_movk_i32 s4, 0x7f
	v_cmp_gt_i16_sdwa s[6:7], v6, s4 src0_sel:BYTE_0 src1_sel:DWORD
	s_mov_b64 s[4:5], 0
                                        ; implicit-def: $sgpr10
	s_and_saveexec_b64 s[8:9], s[6:7]
	s_xor_b64 s[6:7], exec, s[8:9]
	s_cbranch_execnz .LBB18_2989
; %bb.941:
	s_or_saveexec_b64 s[6:7], s[6:7]
	v_mov_b32_e32 v10, s10
	s_xor_b64 exec, exec, s[6:7]
	s_cbranch_execnz .LBB18_2992
.LBB18_942:
	s_or_b64 exec, exec, s[6:7]
	s_and_saveexec_b64 s[6:7], s[4:5]
	s_cbranch_execz .LBB18_944
.LBB18_943:
	v_bfe_u32 v10, v3, 8, 3
	v_ffbh_u32_e32 v12, v10
	v_min_u32_e32 v12, 32, v12
	v_lshrrev_b16_e32 v11, 3, v6
	v_subrev_u32_e32 v13, 28, v12
	v_and_b32_e32 v11, 15, v11
	v_lshlrev_b32_e32 v6, v13, v6
	v_sub_u32_e32 v12, 29, v12
	v_and_b32_e32 v6, 7, v6
	v_cmp_eq_u16_e32 vcc, 0, v11
	v_cndmask_b32_e32 v6, v10, v6, vcc
	v_cndmask_b32_e32 v10, v11, v12, vcc
	v_lshlrev_b32_e32 v11, 16, v3
	v_mov_b32_e32 v12, 0x3b800000
	v_lshlrev_b32_e32 v6, 20, v6
	v_and_b32_e32 v11, 0x80000000, v11
	v_lshl_add_u32 v10, v10, 23, v12
	v_or3_b32 v10, v11, v10, v6
.LBB18_944:
	s_or_b64 exec, exec, s[6:7]
	s_nop 0
	v_mfma_f32_16x16x4f32 a[0:3], v2, v10, a[0:3]
	s_movk_i32 s4, 0xff
	v_and_b32_sdwa v6, v7, s4 dst_sel:DWORD dst_unused:UNUSED_PAD src0_sel:WORD_1 src1_sel:DWORD
	s_movk_i32 s4, 0x7f
	v_cmp_lt_i16_e32 vcc, s4, v6
	s_mov_b64 s[4:5], 0
                                        ; implicit-def: $sgpr10
	s_and_saveexec_b64 s[6:7], vcc
	s_xor_b64 s[6:7], exec, s[6:7]
	s_cbranch_execnz .LBB18_2993
; %bb.945:
	s_or_saveexec_b64 s[6:7], s[6:7]
	v_mov_b32_e32 v2, s10
	s_xor_b64 exec, exec, s[6:7]
	s_cbranch_execnz .LBB18_2996
.LBB18_946:
	s_or_b64 exec, exec, s[6:7]
	s_and_saveexec_b64 s[6:7], s[4:5]
	s_cbranch_execz .LBB18_948
.LBB18_947:
	v_bfe_u32 v2, v7, 16, 3
	v_ffbh_u32_e32 v11, v2
	v_min_u32_e32 v11, 32, v11
	v_lshrrev_b32_e32 v6, 19, v7
	v_subrev_u32_e32 v12, 28, v11
	v_and_b32_e32 v6, 15, v6
	v_lshlrev_b32_sdwa v12, v12, v7 dst_sel:DWORD dst_unused:UNUSED_PAD src0_sel:DWORD src1_sel:WORD_1
	v_bfe_u32 v10, v7, 19, 4
	v_sub_u32_e32 v11, 29, v11
	v_and_b32_e32 v12, 7, v12
	v_cmp_eq_u16_e32 vcc, 0, v6
	v_cndmask_b32_e32 v2, v2, v12, vcc
	v_cndmask_b32_e32 v6, v10, v11, vcc
	v_lshlrev_b32_e32 v10, 8, v7
	v_mov_b32_e32 v11, 0x3b800000
	v_lshlrev_b32_e32 v2, 20, v2
	v_and_b32_e32 v10, 0x80000000, v10
	v_lshl_add_u32 v6, v6, 23, v11
	v_or3_b32 v2, v10, v6, v2
.LBB18_948:
	s_or_b64 exec, exec, s[6:7]
	s_movk_i32 s4, 0xff
	v_and_b32_sdwa v6, v3, s4 dst_sel:DWORD dst_unused:UNUSED_PAD src0_sel:WORD_1 src1_sel:DWORD
	s_movk_i32 s4, 0x7f
	v_cmp_lt_i16_e32 vcc, s4, v6
	s_mov_b64 s[4:5], 0
                                        ; implicit-def: $sgpr10
	s_and_saveexec_b64 s[6:7], vcc
	s_xor_b64 s[6:7], exec, s[6:7]
	s_cbranch_execnz .LBB18_2997
; %bb.949:
	s_or_saveexec_b64 s[6:7], s[6:7]
	v_mov_b32_e32 v10, s10
	s_xor_b64 exec, exec, s[6:7]
	s_cbranch_execnz .LBB18_3000
.LBB18_950:
	s_or_b64 exec, exec, s[6:7]
	s_and_saveexec_b64 s[6:7], s[4:5]
	s_cbranch_execz .LBB18_952
.LBB18_951:
	v_bfe_u32 v6, v3, 16, 3
	v_ffbh_u32_e32 v12, v6
	v_min_u32_e32 v12, 32, v12
	v_lshrrev_b32_e32 v10, 19, v3
	v_subrev_u32_e32 v13, 28, v12
	v_and_b32_e32 v10, 15, v10
	v_lshlrev_b32_sdwa v13, v13, v3 dst_sel:DWORD dst_unused:UNUSED_PAD src0_sel:DWORD src1_sel:WORD_1
	v_bfe_u32 v11, v3, 19, 4
	v_sub_u32_e32 v12, 29, v12
	v_and_b32_e32 v13, 7, v13
	v_cmp_eq_u16_e32 vcc, 0, v10
	v_cndmask_b32_e32 v6, v6, v13, vcc
	v_cndmask_b32_e32 v10, v11, v12, vcc
	v_lshlrev_b32_e32 v11, 8, v3
	v_mov_b32_e32 v12, 0x3b800000
	v_lshlrev_b32_e32 v6, 20, v6
	v_and_b32_e32 v11, 0x80000000, v11
	v_lshl_add_u32 v10, v10, 23, v12
	v_or3_b32 v10, v11, v10, v6
.LBB18_952:
	s_or_b64 exec, exec, s[6:7]
	s_nop 0
	v_mfma_f32_16x16x4f32 a[0:3], v2, v10, a[0:3]
	s_movk_i32 s4, 0x7f
	v_cmp_gt_i16_sdwa s[6:7], v7, s4 src0_sel:BYTE_3 src1_sel:DWORD
	s_mov_b64 s[4:5], 0
                                        ; implicit-def: $sgpr10
	s_and_saveexec_b64 s[8:9], s[6:7]
	s_xor_b64 s[6:7], exec, s[8:9]
	s_cbranch_execnz .LBB18_3001
; %bb.953:
	s_or_saveexec_b64 s[6:7], s[6:7]
	v_mov_b32_e32 v2, s10
	s_xor_b64 exec, exec, s[6:7]
	s_cbranch_execnz .LBB18_3004
.LBB18_954:
	s_or_b64 exec, exec, s[6:7]
	s_and_saveexec_b64 s[6:7], s[4:5]
	s_cbranch_execz .LBB18_956
.LBB18_955:
	v_bfe_u32 v2, v7, 24, 3
	v_ffbh_u32_e32 v12, v2
	v_min_u32_e32 v12, 32, v12
	v_lshrrev_b32_e32 v10, 27, v7
	v_subrev_u32_e32 v13, 28, v12
	v_and_b32_e32 v6, 0x80000000, v7
	v_and_b32_e32 v10, 15, v10
	v_bfe_u32 v11, v7, 27, 4
	v_lshlrev_b32_sdwa v7, v13, v7 dst_sel:DWORD dst_unused:UNUSED_PAD src0_sel:DWORD src1_sel:BYTE_3
	v_sub_u32_e32 v12, 29, v12
	v_and_b32_e32 v7, 7, v7
	v_cmp_eq_u16_e32 vcc, 0, v10
	v_cndmask_b32_e32 v2, v2, v7, vcc
	v_cndmask_b32_e32 v7, v11, v12, vcc
	v_mov_b32_e32 v10, 0x3b800000
	v_lshlrev_b32_e32 v2, 20, v2
	v_lshl_add_u32 v7, v7, 23, v10
	v_or3_b32 v2, v6, v7, v2
.LBB18_956:
	s_or_b64 exec, exec, s[6:7]
	s_movk_i32 s4, 0x7f
	v_cmp_gt_i16_sdwa s[6:7], v3, s4 src0_sel:BYTE_3 src1_sel:DWORD
	s_mov_b64 s[4:5], 0
                                        ; implicit-def: $sgpr10
	s_and_saveexec_b64 s[8:9], s[6:7]
	s_xor_b64 s[6:7], exec, s[8:9]
	s_cbranch_execnz .LBB18_3005
; %bb.957:
	s_or_saveexec_b64 s[6:7], s[6:7]
	v_mov_b32_e32 v6, s10
	s_xor_b64 exec, exec, s[6:7]
	s_cbranch_execnz .LBB18_3008
.LBB18_958:
	s_or_b64 exec, exec, s[6:7]
	s_and_saveexec_b64 s[6:7], s[4:5]
	s_cbranch_execz .LBB18_960
.LBB18_959:
	v_bfe_u32 v6, v3, 24, 3
	v_ffbh_u32_e32 v12, v6
	v_min_u32_e32 v12, 32, v12
	v_lshrrev_b32_e32 v10, 27, v3
	v_subrev_u32_e32 v13, 28, v12
	v_and_b32_e32 v7, 0x80000000, v3
	v_and_b32_e32 v10, 15, v10
	v_bfe_u32 v11, v3, 27, 4
	v_lshlrev_b32_sdwa v3, v13, v3 dst_sel:DWORD dst_unused:UNUSED_PAD src0_sel:DWORD src1_sel:BYTE_3
	v_sub_u32_e32 v12, 29, v12
	v_and_b32_e32 v3, 7, v3
	v_cmp_eq_u16_e32 vcc, 0, v10
	v_cndmask_b32_e32 v3, v6, v3, vcc
	v_cndmask_b32_e32 v6, v11, v12, vcc
	v_mov_b32_e32 v10, 0x3b800000
	v_lshlrev_b32_e32 v3, 20, v3
	v_lshl_add_u32 v6, v6, 23, v10
	v_or3_b32 v6, v7, v6, v3
.LBB18_960:
	s_or_b64 exec, exec, s[6:7]
	s_nop 0
	v_mfma_f32_16x16x4f32 a[0:3], v2, v6, a[0:3]
	s_movk_i32 s4, 0x7f
	v_cmp_gt_i16_sdwa s[6:7], v8, s4 src0_sel:BYTE_0 src1_sel:DWORD
	s_mov_b64 s[4:5], 0
                                        ; implicit-def: $sgpr10
	s_and_saveexec_b64 s[8:9], s[6:7]
	s_xor_b64 s[6:7], exec, s[8:9]
	s_cbranch_execnz .LBB18_3009
; %bb.961:
	s_or_saveexec_b64 s[6:7], s[6:7]
	v_mov_b32_e32 v2, s10
	s_xor_b64 exec, exec, s[6:7]
	s_cbranch_execnz .LBB18_3012
.LBB18_962:
	s_or_b64 exec, exec, s[6:7]
	s_and_saveexec_b64 s[6:7], s[4:5]
	s_cbranch_execz .LBB18_964
.LBB18_963:
	v_and_b32_e32 v2, 7, v8
	v_ffbh_u32_e32 v6, v2
	v_min_u32_e32 v6, 32, v6
	v_lshrrev_b16_e32 v3, 3, v8
	v_subrev_u32_e32 v7, 28, v6
	v_and_b32_e32 v3, 15, v3
	v_lshlrev_b32_e32 v7, v7, v8
	v_sub_u32_e32 v6, 29, v6
	v_and_b32_e32 v7, 7, v7
	v_cmp_eq_u16_e32 vcc, 0, v3
	v_cndmask_b32_e32 v2, v2, v7, vcc
	v_cndmask_b32_e32 v3, v3, v6, vcc
	v_lshlrev_b32_e32 v6, 24, v8
	v_mov_b32_e32 v7, 0x3b800000
	v_lshlrev_b32_e32 v2, 20, v2
	v_and_b32_e32 v6, 0x80000000, v6
	v_lshl_add_u32 v3, v3, 23, v7
	v_or3_b32 v2, v6, v3, v2
.LBB18_964:
	s_or_b64 exec, exec, s[6:7]
	s_movk_i32 s4, 0x7f
	v_cmp_gt_i16_sdwa s[6:7], v4, s4 src0_sel:BYTE_0 src1_sel:DWORD
	s_mov_b64 s[4:5], 0
                                        ; implicit-def: $sgpr10
	s_and_saveexec_b64 s[8:9], s[6:7]
	s_xor_b64 s[6:7], exec, s[8:9]
	s_cbranch_execnz .LBB18_3013
; %bb.965:
	s_or_saveexec_b64 s[6:7], s[6:7]
	v_mov_b32_e32 v3, s10
	s_xor_b64 exec, exec, s[6:7]
	s_cbranch_execnz .LBB18_3016
.LBB18_966:
	s_or_b64 exec, exec, s[6:7]
	s_and_saveexec_b64 s[6:7], s[4:5]
	s_cbranch_execz .LBB18_968
.LBB18_967:
	v_and_b32_e32 v3, 7, v4
	v_ffbh_u32_e32 v7, v3
	v_min_u32_e32 v7, 32, v7
	v_lshrrev_b16_e32 v6, 3, v4
	v_subrev_u32_e32 v10, 28, v7
	v_and_b32_e32 v6, 15, v6
	v_lshlrev_b32_e32 v10, v10, v4
	v_sub_u32_e32 v7, 29, v7
	v_and_b32_e32 v10, 7, v10
	v_cmp_eq_u16_e32 vcc, 0, v6
	v_cndmask_b32_e32 v3, v3, v10, vcc
	v_cndmask_b32_e32 v6, v6, v7, vcc
	v_lshlrev_b32_e32 v7, 24, v4
	v_mov_b32_e32 v10, 0x3b800000
	v_lshlrev_b32_e32 v3, 20, v3
	v_and_b32_e32 v7, 0x80000000, v7
	v_lshl_add_u32 v6, v6, 23, v10
	v_or3_b32 v3, v7, v6, v3
.LBB18_968:
	s_or_b64 exec, exec, s[6:7]
	s_nop 0
	v_mfma_f32_16x16x4f32 a[0:3], v2, v3, a[0:3]
	v_lshrrev_b32_e32 v3, 8, v8
	s_movk_i32 s4, 0x7f
	v_cmp_gt_i16_sdwa s[6:7], v3, s4 src0_sel:BYTE_0 src1_sel:DWORD
	s_mov_b64 s[4:5], 0
                                        ; implicit-def: $sgpr10
	s_and_saveexec_b64 s[8:9], s[6:7]
	s_xor_b64 s[6:7], exec, s[8:9]
	s_cbranch_execnz .LBB18_3017
; %bb.969:
	s_or_saveexec_b64 s[6:7], s[6:7]
	v_mov_b32_e32 v2, s10
	s_xor_b64 exec, exec, s[6:7]
	s_cbranch_execnz .LBB18_3020
.LBB18_970:
	s_or_b64 exec, exec, s[6:7]
	s_and_saveexec_b64 s[6:7], s[4:5]
	s_cbranch_execz .LBB18_972
.LBB18_971:
	v_bfe_u32 v2, v8, 8, 3
	v_ffbh_u32_e32 v7, v2
	v_min_u32_e32 v7, 32, v7
	v_lshrrev_b16_e32 v6, 3, v3
	v_subrev_u32_e32 v10, 28, v7
	v_and_b32_e32 v6, 15, v6
	v_lshlrev_b32_e32 v3, v10, v3
	v_sub_u32_e32 v7, 29, v7
	v_and_b32_e32 v3, 7, v3
	v_cmp_eq_u16_e32 vcc, 0, v6
	v_cndmask_b32_e32 v2, v2, v3, vcc
	v_cndmask_b32_e32 v3, v6, v7, vcc
	v_lshlrev_b32_e32 v6, 16, v8
	v_mov_b32_e32 v7, 0x3b800000
	v_lshlrev_b32_e32 v2, 20, v2
	v_and_b32_e32 v6, 0x80000000, v6
	v_lshl_add_u32 v3, v3, 23, v7
	v_or3_b32 v2, v6, v3, v2
.LBB18_972:
	s_or_b64 exec, exec, s[6:7]
	v_lshrrev_b32_e32 v3, 8, v4
	s_movk_i32 s4, 0x7f
	v_cmp_gt_i16_sdwa s[6:7], v3, s4 src0_sel:BYTE_0 src1_sel:DWORD
	s_mov_b64 s[4:5], 0
                                        ; implicit-def: $sgpr10
	s_and_saveexec_b64 s[8:9], s[6:7]
	s_xor_b64 s[6:7], exec, s[8:9]
	s_cbranch_execnz .LBB18_3021
; %bb.973:
	s_or_saveexec_b64 s[6:7], s[6:7]
	v_mov_b32_e32 v6, s10
	s_xor_b64 exec, exec, s[6:7]
	s_cbranch_execnz .LBB18_3024
.LBB18_974:
	s_or_b64 exec, exec, s[6:7]
	s_and_saveexec_b64 s[6:7], s[4:5]
	s_cbranch_execz .LBB18_976
.LBB18_975:
	v_bfe_u32 v6, v4, 8, 3
	v_ffbh_u32_e32 v10, v6
	v_min_u32_e32 v10, 32, v10
	v_lshrrev_b16_e32 v7, 3, v3
	v_subrev_u32_e32 v11, 28, v10
	v_and_b32_e32 v7, 15, v7
	v_lshlrev_b32_e32 v3, v11, v3
	v_sub_u32_e32 v10, 29, v10
	v_and_b32_e32 v3, 7, v3
	v_cmp_eq_u16_e32 vcc, 0, v7
	v_cndmask_b32_e32 v3, v6, v3, vcc
	v_cndmask_b32_e32 v6, v7, v10, vcc
	v_lshlrev_b32_e32 v7, 16, v4
	v_mov_b32_e32 v10, 0x3b800000
	v_lshlrev_b32_e32 v3, 20, v3
	v_and_b32_e32 v7, 0x80000000, v7
	v_lshl_add_u32 v6, v6, 23, v10
	v_or3_b32 v6, v7, v6, v3
.LBB18_976:
	s_or_b64 exec, exec, s[6:7]
	s_nop 0
	v_mfma_f32_16x16x4f32 a[0:3], v2, v6, a[0:3]
	s_movk_i32 s4, 0xff
	v_and_b32_sdwa v3, v8, s4 dst_sel:DWORD dst_unused:UNUSED_PAD src0_sel:WORD_1 src1_sel:DWORD
	s_movk_i32 s4, 0x7f
	v_cmp_lt_i16_e32 vcc, s4, v3
	s_mov_b64 s[4:5], 0
                                        ; implicit-def: $sgpr10
	s_and_saveexec_b64 s[6:7], vcc
	s_xor_b64 s[6:7], exec, s[6:7]
	s_cbranch_execnz .LBB18_3025
; %bb.977:
	s_or_saveexec_b64 s[6:7], s[6:7]
	v_mov_b32_e32 v2, s10
	s_xor_b64 exec, exec, s[6:7]
	s_cbranch_execnz .LBB18_3028
.LBB18_978:
	s_or_b64 exec, exec, s[6:7]
	s_and_saveexec_b64 s[6:7], s[4:5]
	s_cbranch_execz .LBB18_980
.LBB18_979:
	v_bfe_u32 v2, v8, 16, 3
	v_ffbh_u32_e32 v7, v2
	v_min_u32_e32 v7, 32, v7
	v_lshrrev_b32_e32 v3, 19, v8
	v_subrev_u32_e32 v10, 28, v7
	v_and_b32_e32 v3, 15, v3
	v_lshlrev_b32_sdwa v10, v10, v8 dst_sel:DWORD dst_unused:UNUSED_PAD src0_sel:DWORD src1_sel:WORD_1
	v_bfe_u32 v6, v8, 19, 4
	v_sub_u32_e32 v7, 29, v7
	v_and_b32_e32 v10, 7, v10
	v_cmp_eq_u16_e32 vcc, 0, v3
	v_cndmask_b32_e32 v2, v2, v10, vcc
	v_cndmask_b32_e32 v3, v6, v7, vcc
	v_lshlrev_b32_e32 v6, 8, v8
	v_mov_b32_e32 v7, 0x3b800000
	v_lshlrev_b32_e32 v2, 20, v2
	v_and_b32_e32 v6, 0x80000000, v6
	v_lshl_add_u32 v3, v3, 23, v7
	v_or3_b32 v2, v6, v3, v2
.LBB18_980:
	s_or_b64 exec, exec, s[6:7]
	s_movk_i32 s4, 0xff
	v_and_b32_sdwa v3, v4, s4 dst_sel:DWORD dst_unused:UNUSED_PAD src0_sel:WORD_1 src1_sel:DWORD
	s_movk_i32 s4, 0x7f
	v_cmp_lt_i16_e32 vcc, s4, v3
	s_mov_b64 s[4:5], 0
                                        ; implicit-def: $sgpr10
	s_and_saveexec_b64 s[6:7], vcc
	s_xor_b64 s[6:7], exec, s[6:7]
	s_cbranch_execnz .LBB18_3029
; %bb.981:
	s_or_saveexec_b64 s[6:7], s[6:7]
	v_mov_b32_e32 v6, s10
	s_xor_b64 exec, exec, s[6:7]
	s_cbranch_execnz .LBB18_3032
.LBB18_982:
	s_or_b64 exec, exec, s[6:7]
	s_and_saveexec_b64 s[6:7], s[4:5]
	s_cbranch_execz .LBB18_984
.LBB18_983:
	v_bfe_u32 v3, v4, 16, 3
	v_ffbh_u32_e32 v10, v3
	v_min_u32_e32 v10, 32, v10
	v_lshrrev_b32_e32 v6, 19, v4
	v_subrev_u32_e32 v11, 28, v10
	v_and_b32_e32 v6, 15, v6
	v_lshlrev_b32_sdwa v11, v11, v4 dst_sel:DWORD dst_unused:UNUSED_PAD src0_sel:DWORD src1_sel:WORD_1
	v_bfe_u32 v7, v4, 19, 4
	v_sub_u32_e32 v10, 29, v10
	v_and_b32_e32 v11, 7, v11
	v_cmp_eq_u16_e32 vcc, 0, v6
	v_cndmask_b32_e32 v3, v3, v11, vcc
	v_cndmask_b32_e32 v6, v7, v10, vcc
	v_lshlrev_b32_e32 v7, 8, v4
	v_mov_b32_e32 v10, 0x3b800000
	v_lshlrev_b32_e32 v3, 20, v3
	v_and_b32_e32 v7, 0x80000000, v7
	v_lshl_add_u32 v6, v6, 23, v10
	v_or3_b32 v6, v7, v6, v3
.LBB18_984:
	s_or_b64 exec, exec, s[6:7]
	s_nop 0
	v_mfma_f32_16x16x4f32 a[0:3], v2, v6, a[0:3]
	s_movk_i32 s4, 0x7f
	v_cmp_gt_i16_sdwa s[6:7], v8, s4 src0_sel:BYTE_3 src1_sel:DWORD
	s_mov_b64 s[4:5], 0
                                        ; implicit-def: $sgpr10
	s_and_saveexec_b64 s[8:9], s[6:7]
	s_xor_b64 s[6:7], exec, s[8:9]
	s_cbranch_execnz .LBB18_3033
; %bb.985:
	s_or_saveexec_b64 s[6:7], s[6:7]
	v_mov_b32_e32 v2, s10
	s_xor_b64 exec, exec, s[6:7]
	s_cbranch_execnz .LBB18_3036
.LBB18_986:
	s_or_b64 exec, exec, s[6:7]
	s_and_saveexec_b64 s[6:7], s[4:5]
	s_cbranch_execz .LBB18_988
.LBB18_987:
	v_bfe_u32 v2, v8, 24, 3
	v_ffbh_u32_e32 v10, v2
	v_min_u32_e32 v10, 32, v10
	v_lshrrev_b32_e32 v6, 27, v8
	v_subrev_u32_e32 v11, 28, v10
	v_and_b32_e32 v3, 0x80000000, v8
	v_and_b32_e32 v6, 15, v6
	v_bfe_u32 v7, v8, 27, 4
	v_lshlrev_b32_sdwa v8, v11, v8 dst_sel:DWORD dst_unused:UNUSED_PAD src0_sel:DWORD src1_sel:BYTE_3
	v_sub_u32_e32 v10, 29, v10
	v_and_b32_e32 v8, 7, v8
	v_cmp_eq_u16_e32 vcc, 0, v6
	v_cndmask_b32_e32 v2, v2, v8, vcc
	v_cndmask_b32_e32 v6, v7, v10, vcc
	v_mov_b32_e32 v7, 0x3b800000
	v_lshlrev_b32_e32 v2, 20, v2
	v_lshl_add_u32 v6, v6, 23, v7
	v_or3_b32 v2, v3, v6, v2
.LBB18_988:
	s_or_b64 exec, exec, s[6:7]
	s_movk_i32 s4, 0x7f
	v_cmp_gt_i16_sdwa s[6:7], v4, s4 src0_sel:BYTE_3 src1_sel:DWORD
	s_mov_b64 s[4:5], 0
                                        ; implicit-def: $sgpr10
	s_and_saveexec_b64 s[8:9], s[6:7]
	s_xor_b64 s[6:7], exec, s[8:9]
	s_cbranch_execnz .LBB18_3037
; %bb.989:
	s_or_saveexec_b64 s[6:7], s[6:7]
	v_mov_b32_e32 v3, s10
	s_xor_b64 exec, exec, s[6:7]
	s_cbranch_execnz .LBB18_3040
.LBB18_990:
	s_or_b64 exec, exec, s[6:7]
	s_and_saveexec_b64 s[6:7], s[4:5]
	s_cbranch_execz .LBB18_992
.LBB18_991:
	v_bfe_u32 v3, v4, 24, 3
	v_ffbh_u32_e32 v10, v3
	v_min_u32_e32 v10, 32, v10
	v_lshrrev_b32_e32 v7, 27, v4
	v_subrev_u32_e32 v11, 28, v10
	v_and_b32_e32 v6, 0x80000000, v4
	v_and_b32_e32 v7, 15, v7
	v_bfe_u32 v8, v4, 27, 4
	v_lshlrev_b32_sdwa v4, v11, v4 dst_sel:DWORD dst_unused:UNUSED_PAD src0_sel:DWORD src1_sel:BYTE_3
	v_sub_u32_e32 v10, 29, v10
	v_and_b32_e32 v4, 7, v4
	v_cmp_eq_u16_e32 vcc, 0, v7
	v_cndmask_b32_e32 v3, v3, v4, vcc
	v_cndmask_b32_e32 v4, v8, v10, vcc
	v_mov_b32_e32 v7, 0x3b800000
	v_lshlrev_b32_e32 v3, 20, v3
	v_lshl_add_u32 v4, v4, 23, v7
	v_or3_b32 v3, v6, v4, v3
.LBB18_992:
	s_or_b64 exec, exec, s[6:7]
	s_nop 0
	v_mfma_f32_16x16x4f32 a[0:3], v2, v3, a[0:3]
	s_movk_i32 s4, 0x7f
	v_cmp_gt_i16_sdwa s[6:7], v9, s4 src0_sel:BYTE_0 src1_sel:DWORD
	s_mov_b64 s[4:5], 0
                                        ; implicit-def: $sgpr10
	s_and_saveexec_b64 s[8:9], s[6:7]
	s_xor_b64 s[6:7], exec, s[8:9]
	s_cbranch_execnz .LBB18_3041
; %bb.993:
	s_or_saveexec_b64 s[6:7], s[6:7]
	v_mov_b32_e32 v2, s10
	s_xor_b64 exec, exec, s[6:7]
	s_cbranch_execnz .LBB18_3044
.LBB18_994:
	s_or_b64 exec, exec, s[6:7]
	s_and_saveexec_b64 s[6:7], s[4:5]
	s_cbranch_execz .LBB18_996
.LBB18_995:
	v_mov_b32_e32 v2, 8
	v_and_b32_e32 v3, 7, v9
	v_lshrrev_b32_sdwa v2, v2, v9 dst_sel:BYTE_1 dst_unused:UNUSED_PAD src0_sel:DWORD src1_sel:DWORD
	v_ffbh_u32_e32 v4, v3
	v_or_b32_sdwa v2, v9, v2 dst_sel:DWORD dst_unused:UNUSED_PAD src0_sel:BYTE_0 src1_sel:DWORD
	v_min_u32_e32 v4, 32, v4
	v_lshrrev_b16_e32 v2, 3, v2
	v_subrev_u32_e32 v6, 28, v4
	v_and_b32_e32 v2, 15, v2
	v_lshlrev_b32_e32 v6, v6, v9
	v_sub_u32_e32 v4, 29, v4
	v_and_b32_e32 v6, 7, v6
	v_cmp_eq_u16_e32 vcc, 0, v2
	v_cndmask_b32_e32 v3, v3, v6, vcc
	v_cndmask_b32_e32 v2, v2, v4, vcc
	v_lshlrev_b32_e32 v4, 24, v9
	v_mov_b32_e32 v6, 0x3b800000
	v_lshlrev_b32_e32 v3, 20, v3
	v_and_b32_e32 v4, 0x80000000, v4
	v_lshl_add_u32 v2, v2, 23, v6
	v_or3_b32 v2, v4, v2, v3
.LBB18_996:
	s_or_b64 exec, exec, s[6:7]
	s_movk_i32 s4, 0x7f
	v_cmp_gt_i16_sdwa s[6:7], v5, s4 src0_sel:BYTE_0 src1_sel:DWORD
	s_mov_b64 s[4:5], 0
                                        ; implicit-def: $sgpr10
	s_and_saveexec_b64 s[8:9], s[6:7]
	s_xor_b64 s[6:7], exec, s[8:9]
	s_cbranch_execnz .LBB18_3045
; %bb.997:
	s_or_saveexec_b64 s[6:7], s[6:7]
	v_mov_b32_e32 v3, s10
	s_xor_b64 exec, exec, s[6:7]
	s_cbranch_execnz .LBB18_3048
.LBB18_998:
	s_or_b64 exec, exec, s[6:7]
	s_and_saveexec_b64 s[6:7], s[4:5]
	s_cbranch_execz .LBB18_1000
.LBB18_999:
	v_mov_b32_e32 v3, 8
	v_and_b32_e32 v4, 7, v5
	v_lshrrev_b32_sdwa v3, v3, v5 dst_sel:BYTE_1 dst_unused:UNUSED_PAD src0_sel:DWORD src1_sel:DWORD
	v_ffbh_u32_e32 v6, v4
	v_or_b32_sdwa v3, v5, v3 dst_sel:DWORD dst_unused:UNUSED_PAD src0_sel:BYTE_0 src1_sel:DWORD
	v_min_u32_e32 v6, 32, v6
	v_lshrrev_b16_e32 v3, 3, v3
	v_subrev_u32_e32 v7, 28, v6
	v_and_b32_e32 v3, 15, v3
	v_lshlrev_b32_e32 v7, v7, v5
	v_sub_u32_e32 v6, 29, v6
	v_and_b32_e32 v7, 7, v7
	v_cmp_eq_u16_e32 vcc, 0, v3
	v_cndmask_b32_e32 v4, v4, v7, vcc
	v_cndmask_b32_e32 v3, v3, v6, vcc
	v_lshlrev_b32_e32 v6, 24, v5
	v_mov_b32_e32 v7, 0x3b800000
	v_lshlrev_b32_e32 v4, 20, v4
	v_and_b32_e32 v6, 0x80000000, v6
	v_lshl_add_u32 v3, v3, 23, v7
	v_or3_b32 v3, v6, v3, v4
.LBB18_1000:
	s_or_b64 exec, exec, s[6:7]
	s_nop 0
	v_mfma_f32_16x16x4f32 a[0:3], v2, v3, a[0:3]
	v_lshrrev_b32_e32 v3, 8, v9
	s_movk_i32 s4, 0x7f
	v_cmp_gt_i16_sdwa s[6:7], v3, s4 src0_sel:BYTE_0 src1_sel:DWORD
	s_mov_b64 s[4:5], 0
                                        ; implicit-def: $sgpr10
	s_and_saveexec_b64 s[8:9], s[6:7]
	s_xor_b64 s[6:7], exec, s[8:9]
	s_cbranch_execnz .LBB18_3049
; %bb.1001:
	s_or_saveexec_b64 s[6:7], s[6:7]
	v_mov_b32_e32 v2, s10
	s_xor_b64 exec, exec, s[6:7]
	s_cbranch_execnz .LBB18_3052
.LBB18_1002:
	s_or_b64 exec, exec, s[6:7]
	s_and_saveexec_b64 s[6:7], s[4:5]
	s_cbranch_execz .LBB18_1004
.LBB18_1003:
	v_bfe_u32 v2, v9, 8, 3
	v_ffbh_u32_e32 v6, v2
	v_min_u32_e32 v6, 32, v6
	v_lshrrev_b16_e32 v4, 3, v3
	v_subrev_u32_e32 v7, 28, v6
	v_and_b32_e32 v4, 15, v4
	v_lshlrev_b32_e32 v3, v7, v3
	v_sub_u32_e32 v6, 29, v6
	v_and_b32_e32 v3, 7, v3
	v_cmp_eq_u16_e32 vcc, 0, v4
	v_cndmask_b32_e32 v2, v2, v3, vcc
	v_cndmask_b32_e32 v3, v4, v6, vcc
	v_lshlrev_b32_e32 v4, 16, v9
	v_mov_b32_e32 v6, 0x3b800000
	v_lshlrev_b32_e32 v2, 20, v2
	v_and_b32_e32 v4, 0x80000000, v4
	v_lshl_add_u32 v3, v3, 23, v6
	v_or3_b32 v2, v4, v3, v2
.LBB18_1004:
	s_or_b64 exec, exec, s[6:7]
	v_lshrrev_b32_e32 v3, 8, v5
	s_movk_i32 s4, 0x7f
	v_cmp_gt_i16_sdwa s[6:7], v3, s4 src0_sel:BYTE_0 src1_sel:DWORD
	s_mov_b64 s[4:5], 0
                                        ; implicit-def: $sgpr10
	s_and_saveexec_b64 s[8:9], s[6:7]
	s_xor_b64 s[6:7], exec, s[8:9]
	s_cbranch_execnz .LBB18_3053
; %bb.1005:
	s_or_saveexec_b64 s[6:7], s[6:7]
	v_mov_b32_e32 v4, s10
	s_xor_b64 exec, exec, s[6:7]
	s_cbranch_execnz .LBB18_3056
.LBB18_1006:
	s_or_b64 exec, exec, s[6:7]
	s_and_saveexec_b64 s[6:7], s[4:5]
	s_cbranch_execz .LBB18_1008
.LBB18_1007:
	v_bfe_u32 v4, v5, 8, 3
	v_ffbh_u32_e32 v7, v4
	v_min_u32_e32 v7, 32, v7
	v_lshrrev_b16_e32 v6, 3, v3
	v_subrev_u32_e32 v8, 28, v7
	v_and_b32_e32 v6, 15, v6
	v_lshlrev_b32_e32 v3, v8, v3
	v_sub_u32_e32 v7, 29, v7
	v_and_b32_e32 v3, 7, v3
	v_cmp_eq_u16_e32 vcc, 0, v6
	v_cndmask_b32_e32 v3, v4, v3, vcc
	v_cndmask_b32_e32 v4, v6, v7, vcc
	v_lshlrev_b32_e32 v6, 16, v5
	v_mov_b32_e32 v7, 0x3b800000
	v_lshlrev_b32_e32 v3, 20, v3
	v_and_b32_e32 v6, 0x80000000, v6
	v_lshl_add_u32 v4, v4, 23, v7
	v_or3_b32 v4, v6, v4, v3
.LBB18_1008:
	s_or_b64 exec, exec, s[6:7]
	s_nop 0
	v_mfma_f32_16x16x4f32 a[0:3], v2, v4, a[0:3]
	s_movk_i32 s4, 0xff
	v_and_b32_sdwa v3, v9, s4 dst_sel:DWORD dst_unused:UNUSED_PAD src0_sel:WORD_1 src1_sel:DWORD
	s_movk_i32 s4, 0x7f
	v_cmp_lt_i16_e32 vcc, s4, v3
	s_mov_b64 s[4:5], 0
                                        ; implicit-def: $sgpr10
	s_and_saveexec_b64 s[6:7], vcc
	s_xor_b64 s[6:7], exec, s[6:7]
	s_cbranch_execnz .LBB18_3057
; %bb.1009:
	s_or_saveexec_b64 s[6:7], s[6:7]
	v_mov_b32_e32 v2, s10
	s_xor_b64 exec, exec, s[6:7]
	s_cbranch_execnz .LBB18_3060
.LBB18_1010:
	s_or_b64 exec, exec, s[6:7]
	s_and_saveexec_b64 s[6:7], s[4:5]
	s_cbranch_execz .LBB18_1012
.LBB18_1011:
	v_bfe_u32 v2, v9, 16, 3
	v_ffbh_u32_e32 v6, v2
	v_min_u32_e32 v6, 32, v6
	v_lshrrev_b32_e32 v3, 19, v9
	v_subrev_u32_e32 v7, 28, v6
	v_and_b32_e32 v3, 15, v3
	v_lshlrev_b32_sdwa v7, v7, v9 dst_sel:DWORD dst_unused:UNUSED_PAD src0_sel:DWORD src1_sel:WORD_1
	v_bfe_u32 v4, v9, 19, 4
	v_sub_u32_e32 v6, 29, v6
	v_and_b32_e32 v7, 7, v7
	v_cmp_eq_u16_e32 vcc, 0, v3
	v_cndmask_b32_e32 v2, v2, v7, vcc
	v_cndmask_b32_e32 v3, v4, v6, vcc
	v_lshlrev_b32_e32 v4, 8, v9
	v_mov_b32_e32 v6, 0x3b800000
	v_lshlrev_b32_e32 v2, 20, v2
	v_and_b32_e32 v4, 0x80000000, v4
	v_lshl_add_u32 v3, v3, 23, v6
	v_or3_b32 v2, v4, v3, v2
.LBB18_1012:
	s_or_b64 exec, exec, s[6:7]
	s_movk_i32 s4, 0xff
	v_and_b32_sdwa v3, v5, s4 dst_sel:DWORD dst_unused:UNUSED_PAD src0_sel:WORD_1 src1_sel:DWORD
	s_movk_i32 s4, 0x7f
	v_cmp_lt_i16_e32 vcc, s4, v3
	s_mov_b64 s[4:5], 0
                                        ; implicit-def: $sgpr10
	s_and_saveexec_b64 s[6:7], vcc
	s_xor_b64 s[6:7], exec, s[6:7]
	s_cbranch_execnz .LBB18_3061
; %bb.1013:
	s_or_saveexec_b64 s[6:7], s[6:7]
	v_mov_b32_e32 v4, s10
	s_xor_b64 exec, exec, s[6:7]
	s_cbranch_execnz .LBB18_3064
.LBB18_1014:
	s_or_b64 exec, exec, s[6:7]
	s_and_saveexec_b64 s[6:7], s[4:5]
	s_cbranch_execz .LBB18_1016
.LBB18_1015:
	v_bfe_u32 v3, v5, 16, 3
	v_ffbh_u32_e32 v7, v3
	v_min_u32_e32 v7, 32, v7
	v_lshrrev_b32_e32 v4, 19, v5
	v_subrev_u32_e32 v8, 28, v7
	v_and_b32_e32 v4, 15, v4
	v_lshlrev_b32_sdwa v8, v8, v5 dst_sel:DWORD dst_unused:UNUSED_PAD src0_sel:DWORD src1_sel:WORD_1
	v_bfe_u32 v6, v5, 19, 4
	v_sub_u32_e32 v7, 29, v7
	v_and_b32_e32 v8, 7, v8
	v_cmp_eq_u16_e32 vcc, 0, v4
	v_cndmask_b32_e32 v3, v3, v8, vcc
	v_cndmask_b32_e32 v4, v6, v7, vcc
	v_lshlrev_b32_e32 v6, 8, v5
	v_mov_b32_e32 v7, 0x3b800000
	v_lshlrev_b32_e32 v3, 20, v3
	v_and_b32_e32 v6, 0x80000000, v6
	v_lshl_add_u32 v4, v4, 23, v7
	v_or3_b32 v4, v6, v4, v3
.LBB18_1016:
	s_or_b64 exec, exec, s[6:7]
	s_nop 0
	v_mfma_f32_16x16x4f32 a[0:3], v2, v4, a[0:3]
	s_movk_i32 s4, 0x7f
	v_cmp_gt_i16_sdwa s[6:7], v9, s4 src0_sel:BYTE_3 src1_sel:DWORD
	s_mov_b64 s[4:5], 0
                                        ; implicit-def: $sgpr10
	s_and_saveexec_b64 s[8:9], s[6:7]
	s_xor_b64 s[6:7], exec, s[8:9]
	s_cbranch_execnz .LBB18_3065
; %bb.1017:
	s_or_saveexec_b64 s[6:7], s[6:7]
	v_mov_b32_e32 v2, s10
	s_xor_b64 exec, exec, s[6:7]
	s_cbranch_execnz .LBB18_3068
.LBB18_1018:
	s_or_b64 exec, exec, s[6:7]
	s_and_saveexec_b64 s[6:7], s[4:5]
	s_cbranch_execz .LBB18_1020
.LBB18_1019:
	v_bfe_u32 v2, v9, 24, 3
	v_ffbh_u32_e32 v7, v2
	v_min_u32_e32 v7, 32, v7
	v_lshrrev_b32_e32 v4, 27, v9
	v_subrev_u32_e32 v8, 28, v7
	v_and_b32_e32 v4, 15, v4
	v_lshlrev_b32_sdwa v8, v8, v9 dst_sel:DWORD dst_unused:UNUSED_PAD src0_sel:DWORD src1_sel:BYTE_3
	v_bfe_u32 v6, v9, 27, 4
	v_sub_u32_e32 v7, 29, v7
	v_and_b32_e32 v8, 7, v8
	v_cmp_eq_u16_e32 vcc, 0, v4
	v_cndmask_b32_e32 v2, v2, v8, vcc
	v_cndmask_b32_e32 v4, v6, v7, vcc
	v_mov_b32_e32 v6, 0x3b800000
	v_and_b32_e32 v3, 0x80000000, v9
	v_lshlrev_b32_e32 v2, 20, v2
	v_lshl_add_u32 v4, v4, 23, v6
	v_or3_b32 v2, v3, v4, v2
.LBB18_1020:
	s_or_b64 exec, exec, s[6:7]
	s_movk_i32 s4, 0x7f
	v_cmp_gt_i16_sdwa s[6:7], v5, s4 src0_sel:BYTE_3 src1_sel:DWORD
	s_mov_b64 s[4:5], 0
                                        ; implicit-def: $sgpr10
	s_and_saveexec_b64 s[8:9], s[6:7]
	s_xor_b64 s[6:7], exec, s[8:9]
	s_cbranch_execnz .LBB18_3069
; %bb.1021:
	s_or_saveexec_b64 s[6:7], s[6:7]
	v_mov_b32_e32 v3, s10
	s_xor_b64 exec, exec, s[6:7]
	s_cbranch_execnz .LBB18_3072
.LBB18_1022:
	s_or_b64 exec, exec, s[6:7]
	s_and_saveexec_b64 s[6:7], s[4:5]
	s_cbranch_execz .LBB18_1024
.LBB18_1023:
	v_bfe_u32 v3, v5, 24, 3
	v_ffbh_u32_e32 v8, v3
	v_min_u32_e32 v8, 32, v8
	v_lshrrev_b32_e32 v6, 27, v5
	v_subrev_u32_e32 v9, 28, v8
	v_and_b32_e32 v4, 0x80000000, v5
	v_and_b32_e32 v6, 15, v6
	v_bfe_u32 v7, v5, 27, 4
	v_lshlrev_b32_sdwa v5, v9, v5 dst_sel:DWORD dst_unused:UNUSED_PAD src0_sel:DWORD src1_sel:BYTE_3
	v_sub_u32_e32 v8, 29, v8
	v_and_b32_e32 v5, 7, v5
	v_cmp_eq_u16_e32 vcc, 0, v6
	v_cndmask_b32_e32 v3, v3, v5, vcc
	v_cndmask_b32_e32 v5, v7, v8, vcc
	v_mov_b32_e32 v6, 0x3b800000
	v_lshlrev_b32_e32 v3, 20, v3
	v_lshl_add_u32 v5, v5, 23, v6
	v_or3_b32 v3, v4, v5, v3
.LBB18_1024:
	s_or_b64 exec, exec, s[6:7]
	s_nop 0
	v_mfma_f32_16x16x4f32 a[0:3], v2, v3, a[0:3]
	s_movk_i32 s4, 0x7f
                                        ; implicit-def: $sgpr10
	s_nop 7
	s_nop 1
	flat_store_dwordx4 v[18:19], a[0:3] offset:48
	flat_load_dwordx4 v[20:23], v[0:1] offset:8
	s_nop 0
	flat_load_dwordx2 v[18:19], v[0:1] offset:24
	s_waitcnt vmcnt(0) lgkmcnt(0)
	flat_load_dwordx4 v[14:17], v[20:21]
	flat_load_dwordx4 v[6:9], v[20:21] offset:16
	flat_load_dwordx4 v[10:13], v[22:23] offset:128
	;; [unrolled: 1-line block ×3, first 2 shown]
	s_waitcnt vmcnt(0) lgkmcnt(0)
	v_cmp_gt_i16_sdwa s[6:7], v14, s4 src0_sel:BYTE_0 src1_sel:DWORD
	s_mov_b64 s[4:5], 0
	s_and_saveexec_b64 s[8:9], s[6:7]
	s_xor_b64 s[6:7], exec, s[8:9]
	s_cbranch_execnz .LBB18_3073
; %bb.1025:
	s_or_saveexec_b64 s[6:7], s[6:7]
	v_mov_b32_e32 v20, s10
	s_xor_b64 exec, exec, s[6:7]
	s_cbranch_execnz .LBB18_3076
.LBB18_1026:
	s_or_b64 exec, exec, s[6:7]
	s_and_saveexec_b64 s[6:7], s[4:5]
	s_cbranch_execz .LBB18_1028
.LBB18_1027:
	v_and_b32_e32 v20, 7, v14
	v_ffbh_u32_e32 v22, v20
	v_min_u32_e32 v22, 32, v22
	v_lshrrev_b16_e32 v21, 3, v14
	v_subrev_u32_e32 v23, 28, v22
	v_and_b32_e32 v21, 15, v21
	v_lshlrev_b32_e32 v23, v23, v14
	v_sub_u32_e32 v22, 29, v22
	v_and_b32_e32 v23, 7, v23
	v_cmp_eq_u16_e32 vcc, 0, v21
	v_cndmask_b32_e32 v20, v20, v23, vcc
	v_cndmask_b32_e32 v21, v21, v22, vcc
	v_lshlrev_b32_e32 v22, 24, v14
	v_mov_b32_e32 v23, 0x3b800000
	v_lshlrev_b32_e32 v20, 20, v20
	v_and_b32_e32 v22, 0x80000000, v22
	v_lshl_add_u32 v21, v21, 23, v23
	v_or3_b32 v20, v22, v21, v20
.LBB18_1028:
	s_or_b64 exec, exec, s[6:7]
	s_movk_i32 s4, 0x7f
	v_cmp_gt_i16_sdwa s[6:7], v10, s4 src0_sel:BYTE_0 src1_sel:DWORD
	s_mov_b64 s[4:5], 0
                                        ; implicit-def: $sgpr10
	s_and_saveexec_b64 s[8:9], s[6:7]
	s_xor_b64 s[6:7], exec, s[8:9]
	s_cbranch_execnz .LBB18_3077
; %bb.1029:
	s_or_saveexec_b64 s[6:7], s[6:7]
	v_mov_b32_e32 v21, s10
	s_xor_b64 exec, exec, s[6:7]
	s_cbranch_execnz .LBB18_3080
.LBB18_1030:
	s_or_b64 exec, exec, s[6:7]
	s_and_saveexec_b64 s[6:7], s[4:5]
	s_cbranch_execz .LBB18_1032
.LBB18_1031:
	v_and_b32_e32 v21, 7, v10
	v_ffbh_u32_e32 v23, v21
	v_min_u32_e32 v23, 32, v23
	v_lshrrev_b16_e32 v22, 3, v10
	v_subrev_u32_e32 v24, 28, v23
	v_and_b32_e32 v22, 15, v22
	v_lshlrev_b32_e32 v24, v24, v10
	v_sub_u32_e32 v23, 29, v23
	v_and_b32_e32 v24, 7, v24
	v_cmp_eq_u16_e32 vcc, 0, v22
	v_cndmask_b32_e32 v21, v21, v24, vcc
	v_cndmask_b32_e32 v22, v22, v23, vcc
	v_lshlrev_b32_e32 v23, 24, v10
	v_mov_b32_e32 v24, 0x3b800000
	v_lshlrev_b32_e32 v21, 20, v21
	v_and_b32_e32 v23, 0x80000000, v23
	v_lshl_add_u32 v22, v22, 23, v24
	v_or3_b32 v21, v23, v22, v21
.LBB18_1032:
	s_or_b64 exec, exec, s[6:7]
	flat_load_dwordx4 a[0:3], v[18:19] offset:64
	s_movk_i32 s4, 0x7f
                                        ; implicit-def: $sgpr10
	s_waitcnt vmcnt(0) lgkmcnt(0)
	v_mfma_f32_16x16x4f32 a[0:3], v20, v21, a[0:3]
	v_lshrrev_b32_e32 v21, 8, v14
	v_cmp_gt_i16_sdwa s[6:7], v21, s4 src0_sel:BYTE_0 src1_sel:DWORD
	s_mov_b64 s[4:5], 0
	s_and_saveexec_b64 s[8:9], s[6:7]
	s_xor_b64 s[6:7], exec, s[8:9]
	s_cbranch_execnz .LBB18_3081
; %bb.1033:
	s_or_saveexec_b64 s[6:7], s[6:7]
	v_mov_b32_e32 v20, s10
	s_xor_b64 exec, exec, s[6:7]
	s_cbranch_execnz .LBB18_3084
.LBB18_1034:
	s_or_b64 exec, exec, s[6:7]
	s_and_saveexec_b64 s[6:7], s[4:5]
	s_cbranch_execz .LBB18_1036
.LBB18_1035:
	v_bfe_u32 v20, v14, 8, 3
	v_ffbh_u32_e32 v23, v20
	v_min_u32_e32 v23, 32, v23
	v_lshrrev_b16_e32 v22, 3, v21
	v_subrev_u32_e32 v24, 28, v23
	v_and_b32_e32 v22, 15, v22
	v_lshlrev_b32_e32 v21, v24, v21
	v_sub_u32_e32 v23, 29, v23
	v_and_b32_e32 v21, 7, v21
	v_cmp_eq_u16_e32 vcc, 0, v22
	v_cndmask_b32_e32 v20, v20, v21, vcc
	v_cndmask_b32_e32 v21, v22, v23, vcc
	v_lshlrev_b32_e32 v22, 16, v14
	v_mov_b32_e32 v23, 0x3b800000
	v_lshlrev_b32_e32 v20, 20, v20
	v_and_b32_e32 v22, 0x80000000, v22
	v_lshl_add_u32 v21, v21, 23, v23
	v_or3_b32 v20, v22, v21, v20
.LBB18_1036:
	s_or_b64 exec, exec, s[6:7]
	v_lshrrev_b32_e32 v21, 8, v10
	s_movk_i32 s4, 0x7f
	v_cmp_gt_i16_sdwa s[6:7], v21, s4 src0_sel:BYTE_0 src1_sel:DWORD
	s_mov_b64 s[4:5], 0
                                        ; implicit-def: $sgpr10
	s_and_saveexec_b64 s[8:9], s[6:7]
	s_xor_b64 s[6:7], exec, s[8:9]
	s_cbranch_execnz .LBB18_3085
; %bb.1037:
	s_or_saveexec_b64 s[6:7], s[6:7]
	v_mov_b32_e32 v22, s10
	s_xor_b64 exec, exec, s[6:7]
	s_cbranch_execnz .LBB18_3088
.LBB18_1038:
	s_or_b64 exec, exec, s[6:7]
	s_and_saveexec_b64 s[6:7], s[4:5]
	s_cbranch_execz .LBB18_1040
.LBB18_1039:
	v_bfe_u32 v22, v10, 8, 3
	v_ffbh_u32_e32 v24, v22
	v_min_u32_e32 v24, 32, v24
	v_lshrrev_b16_e32 v23, 3, v21
	v_subrev_u32_e32 v25, 28, v24
	v_and_b32_e32 v23, 15, v23
	v_lshlrev_b32_e32 v21, v25, v21
	v_sub_u32_e32 v24, 29, v24
	v_and_b32_e32 v21, 7, v21
	v_cmp_eq_u16_e32 vcc, 0, v23
	v_cndmask_b32_e32 v21, v22, v21, vcc
	v_cndmask_b32_e32 v22, v23, v24, vcc
	v_lshlrev_b32_e32 v23, 16, v10
	v_mov_b32_e32 v24, 0x3b800000
	v_lshlrev_b32_e32 v21, 20, v21
	v_and_b32_e32 v23, 0x80000000, v23
	v_lshl_add_u32 v22, v22, 23, v24
	v_or3_b32 v22, v23, v22, v21
.LBB18_1040:
	s_or_b64 exec, exec, s[6:7]
	s_nop 0
	v_mfma_f32_16x16x4f32 a[0:3], v20, v22, a[0:3]
	s_movk_i32 s4, 0xff
	v_and_b32_sdwa v21, v14, s4 dst_sel:DWORD dst_unused:UNUSED_PAD src0_sel:WORD_1 src1_sel:DWORD
	s_movk_i32 s4, 0x7f
	v_cmp_lt_i16_e32 vcc, s4, v21
	s_mov_b64 s[4:5], 0
                                        ; implicit-def: $sgpr10
	s_and_saveexec_b64 s[6:7], vcc
	s_xor_b64 s[6:7], exec, s[6:7]
	s_cbranch_execnz .LBB18_3089
; %bb.1041:
	s_or_saveexec_b64 s[6:7], s[6:7]
	v_mov_b32_e32 v20, s10
	s_xor_b64 exec, exec, s[6:7]
	s_cbranch_execnz .LBB18_3092
.LBB18_1042:
	s_or_b64 exec, exec, s[6:7]
	s_and_saveexec_b64 s[6:7], s[4:5]
	s_cbranch_execz .LBB18_1044
.LBB18_1043:
	v_bfe_u32 v20, v14, 16, 3
	v_ffbh_u32_e32 v23, v20
	v_min_u32_e32 v23, 32, v23
	v_lshrrev_b32_e32 v21, 19, v14
	v_subrev_u32_e32 v24, 28, v23
	v_and_b32_e32 v21, 15, v21
	v_lshlrev_b32_sdwa v24, v24, v14 dst_sel:DWORD dst_unused:UNUSED_PAD src0_sel:DWORD src1_sel:WORD_1
	v_bfe_u32 v22, v14, 19, 4
	v_sub_u32_e32 v23, 29, v23
	v_and_b32_e32 v24, 7, v24
	v_cmp_eq_u16_e32 vcc, 0, v21
	v_cndmask_b32_e32 v20, v20, v24, vcc
	v_cndmask_b32_e32 v21, v22, v23, vcc
	v_lshlrev_b32_e32 v22, 8, v14
	v_mov_b32_e32 v23, 0x3b800000
	v_lshlrev_b32_e32 v20, 20, v20
	v_and_b32_e32 v22, 0x80000000, v22
	v_lshl_add_u32 v21, v21, 23, v23
	v_or3_b32 v20, v22, v21, v20
.LBB18_1044:
	s_or_b64 exec, exec, s[6:7]
	s_movk_i32 s4, 0xff
	v_and_b32_sdwa v21, v10, s4 dst_sel:DWORD dst_unused:UNUSED_PAD src0_sel:WORD_1 src1_sel:DWORD
	s_movk_i32 s4, 0x7f
	v_cmp_lt_i16_e32 vcc, s4, v21
	s_mov_b64 s[4:5], 0
                                        ; implicit-def: $sgpr10
	s_and_saveexec_b64 s[6:7], vcc
	s_xor_b64 s[6:7], exec, s[6:7]
	s_cbranch_execnz .LBB18_3093
; %bb.1045:
	s_or_saveexec_b64 s[6:7], s[6:7]
	v_mov_b32_e32 v22, s10
	s_xor_b64 exec, exec, s[6:7]
	s_cbranch_execnz .LBB18_3096
.LBB18_1046:
	s_or_b64 exec, exec, s[6:7]
	s_and_saveexec_b64 s[6:7], s[4:5]
	s_cbranch_execz .LBB18_1048
.LBB18_1047:
	v_bfe_u32 v21, v10, 16, 3
	v_ffbh_u32_e32 v24, v21
	v_min_u32_e32 v24, 32, v24
	v_lshrrev_b32_e32 v22, 19, v10
	v_subrev_u32_e32 v25, 28, v24
	v_and_b32_e32 v22, 15, v22
	v_lshlrev_b32_sdwa v25, v25, v10 dst_sel:DWORD dst_unused:UNUSED_PAD src0_sel:DWORD src1_sel:WORD_1
	v_bfe_u32 v23, v10, 19, 4
	v_sub_u32_e32 v24, 29, v24
	v_and_b32_e32 v25, 7, v25
	v_cmp_eq_u16_e32 vcc, 0, v22
	v_cndmask_b32_e32 v21, v21, v25, vcc
	v_cndmask_b32_e32 v22, v23, v24, vcc
	v_lshlrev_b32_e32 v23, 8, v10
	v_mov_b32_e32 v24, 0x3b800000
	v_lshlrev_b32_e32 v21, 20, v21
	v_and_b32_e32 v23, 0x80000000, v23
	v_lshl_add_u32 v22, v22, 23, v24
	v_or3_b32 v22, v23, v22, v21
.LBB18_1048:
	s_or_b64 exec, exec, s[6:7]
	s_nop 0
	v_mfma_f32_16x16x4f32 a[0:3], v20, v22, a[0:3]
	s_movk_i32 s4, 0x7f
	v_cmp_gt_i16_sdwa s[6:7], v14, s4 src0_sel:BYTE_3 src1_sel:DWORD
	s_mov_b64 s[4:5], 0
                                        ; implicit-def: $sgpr10
	s_and_saveexec_b64 s[8:9], s[6:7]
	s_xor_b64 s[6:7], exec, s[8:9]
	s_cbranch_execnz .LBB18_3097
; %bb.1049:
	s_or_saveexec_b64 s[6:7], s[6:7]
	v_mov_b32_e32 v20, s10
	s_xor_b64 exec, exec, s[6:7]
	s_cbranch_execnz .LBB18_3100
.LBB18_1050:
	s_or_b64 exec, exec, s[6:7]
	s_and_saveexec_b64 s[6:7], s[4:5]
	s_cbranch_execz .LBB18_1052
.LBB18_1051:
	v_bfe_u32 v20, v14, 24, 3
	v_ffbh_u32_e32 v24, v20
	v_min_u32_e32 v24, 32, v24
	v_lshrrev_b32_e32 v22, 27, v14
	v_subrev_u32_e32 v25, 28, v24
	v_and_b32_e32 v21, 0x80000000, v14
	v_and_b32_e32 v22, 15, v22
	v_bfe_u32 v23, v14, 27, 4
	v_lshlrev_b32_sdwa v14, v25, v14 dst_sel:DWORD dst_unused:UNUSED_PAD src0_sel:DWORD src1_sel:BYTE_3
	v_sub_u32_e32 v24, 29, v24
	v_and_b32_e32 v14, 7, v14
	v_cmp_eq_u16_e32 vcc, 0, v22
	v_cndmask_b32_e32 v14, v20, v14, vcc
	v_cndmask_b32_e32 v20, v23, v24, vcc
	v_mov_b32_e32 v22, 0x3b800000
	v_lshlrev_b32_e32 v14, 20, v14
	v_lshl_add_u32 v20, v20, 23, v22
	v_or3_b32 v20, v21, v20, v14
.LBB18_1052:
	s_or_b64 exec, exec, s[6:7]
	s_movk_i32 s4, 0x7f
	v_cmp_gt_i16_sdwa s[6:7], v10, s4 src0_sel:BYTE_3 src1_sel:DWORD
	s_mov_b64 s[4:5], 0
                                        ; implicit-def: $sgpr10
	s_and_saveexec_b64 s[8:9], s[6:7]
	s_xor_b64 s[6:7], exec, s[8:9]
	s_cbranch_execnz .LBB18_3101
; %bb.1053:
	s_or_saveexec_b64 s[6:7], s[6:7]
	v_mov_b32_e32 v14, s10
	s_xor_b64 exec, exec, s[6:7]
	s_cbranch_execnz .LBB18_3104
.LBB18_1054:
	s_or_b64 exec, exec, s[6:7]
	s_and_saveexec_b64 s[6:7], s[4:5]
	s_cbranch_execz .LBB18_1056
.LBB18_1055:
	v_bfe_u32 v14, v10, 24, 3
	v_ffbh_u32_e32 v24, v14
	v_min_u32_e32 v24, 32, v24
	v_lshrrev_b32_e32 v22, 27, v10
	v_subrev_u32_e32 v25, 28, v24
	v_and_b32_e32 v21, 0x80000000, v10
	v_and_b32_e32 v22, 15, v22
	v_bfe_u32 v23, v10, 27, 4
	v_lshlrev_b32_sdwa v10, v25, v10 dst_sel:DWORD dst_unused:UNUSED_PAD src0_sel:DWORD src1_sel:BYTE_3
	v_sub_u32_e32 v24, 29, v24
	v_and_b32_e32 v10, 7, v10
	v_cmp_eq_u16_e32 vcc, 0, v22
	v_cndmask_b32_e32 v10, v14, v10, vcc
	v_cndmask_b32_e32 v14, v23, v24, vcc
	v_mov_b32_e32 v22, 0x3b800000
	v_lshlrev_b32_e32 v10, 20, v10
	v_lshl_add_u32 v14, v14, 23, v22
	v_or3_b32 v14, v21, v14, v10
.LBB18_1056:
	s_or_b64 exec, exec, s[6:7]
	s_nop 0
	v_mfma_f32_16x16x4f32 a[0:3], v20, v14, a[0:3]
	s_movk_i32 s4, 0x7f
	v_cmp_gt_i16_sdwa s[6:7], v15, s4 src0_sel:BYTE_0 src1_sel:DWORD
	s_mov_b64 s[4:5], 0
                                        ; implicit-def: $sgpr10
	s_and_saveexec_b64 s[8:9], s[6:7]
	s_xor_b64 s[6:7], exec, s[8:9]
	s_cbranch_execnz .LBB18_3105
; %bb.1057:
	s_or_saveexec_b64 s[6:7], s[6:7]
	v_mov_b32_e32 v10, s10
	s_xor_b64 exec, exec, s[6:7]
	s_cbranch_execnz .LBB18_3108
.LBB18_1058:
	s_or_b64 exec, exec, s[6:7]
	s_and_saveexec_b64 s[6:7], s[4:5]
	s_cbranch_execz .LBB18_1060
.LBB18_1059:
	v_and_b32_e32 v10, 7, v15
	v_ffbh_u32_e32 v20, v10
	v_min_u32_e32 v20, 32, v20
	v_lshrrev_b16_e32 v14, 3, v15
	v_subrev_u32_e32 v21, 28, v20
	v_and_b32_e32 v14, 15, v14
	v_lshlrev_b32_e32 v21, v21, v15
	v_sub_u32_e32 v20, 29, v20
	v_and_b32_e32 v21, 7, v21
	v_cmp_eq_u16_e32 vcc, 0, v14
	v_cndmask_b32_e32 v10, v10, v21, vcc
	v_cndmask_b32_e32 v14, v14, v20, vcc
	v_lshlrev_b32_e32 v20, 24, v15
	v_mov_b32_e32 v21, 0x3b800000
	v_lshlrev_b32_e32 v10, 20, v10
	v_and_b32_e32 v20, 0x80000000, v20
	v_lshl_add_u32 v14, v14, 23, v21
	v_or3_b32 v10, v20, v14, v10
.LBB18_1060:
	s_or_b64 exec, exec, s[6:7]
	s_movk_i32 s4, 0x7f
	v_cmp_gt_i16_sdwa s[6:7], v11, s4 src0_sel:BYTE_0 src1_sel:DWORD
	s_mov_b64 s[4:5], 0
                                        ; implicit-def: $sgpr10
	s_and_saveexec_b64 s[8:9], s[6:7]
	s_xor_b64 s[6:7], exec, s[8:9]
	s_cbranch_execnz .LBB18_3109
; %bb.1061:
	s_or_saveexec_b64 s[6:7], s[6:7]
	v_mov_b32_e32 v14, s10
	s_xor_b64 exec, exec, s[6:7]
	s_cbranch_execnz .LBB18_3112
.LBB18_1062:
	s_or_b64 exec, exec, s[6:7]
	s_and_saveexec_b64 s[6:7], s[4:5]
	s_cbranch_execz .LBB18_1064
.LBB18_1063:
	v_and_b32_e32 v14, 7, v11
	v_ffbh_u32_e32 v21, v14
	v_min_u32_e32 v21, 32, v21
	v_lshrrev_b16_e32 v20, 3, v11
	v_subrev_u32_e32 v22, 28, v21
	v_and_b32_e32 v20, 15, v20
	v_lshlrev_b32_e32 v22, v22, v11
	v_sub_u32_e32 v21, 29, v21
	v_and_b32_e32 v22, 7, v22
	v_cmp_eq_u16_e32 vcc, 0, v20
	v_cndmask_b32_e32 v14, v14, v22, vcc
	v_cndmask_b32_e32 v20, v20, v21, vcc
	v_lshlrev_b32_e32 v21, 24, v11
	v_mov_b32_e32 v22, 0x3b800000
	v_lshlrev_b32_e32 v14, 20, v14
	v_and_b32_e32 v21, 0x80000000, v21
	v_lshl_add_u32 v20, v20, 23, v22
	v_or3_b32 v14, v21, v20, v14
.LBB18_1064:
	s_or_b64 exec, exec, s[6:7]
	s_nop 0
	v_mfma_f32_16x16x4f32 a[0:3], v10, v14, a[0:3]
	v_lshrrev_b32_e32 v14, 8, v15
	s_movk_i32 s4, 0x7f
	v_cmp_gt_i16_sdwa s[6:7], v14, s4 src0_sel:BYTE_0 src1_sel:DWORD
	s_mov_b64 s[4:5], 0
                                        ; implicit-def: $sgpr10
	s_and_saveexec_b64 s[8:9], s[6:7]
	s_xor_b64 s[6:7], exec, s[8:9]
	s_cbranch_execnz .LBB18_3113
; %bb.1065:
	s_or_saveexec_b64 s[6:7], s[6:7]
	v_mov_b32_e32 v10, s10
	s_xor_b64 exec, exec, s[6:7]
	s_cbranch_execnz .LBB18_3116
.LBB18_1066:
	s_or_b64 exec, exec, s[6:7]
	s_and_saveexec_b64 s[6:7], s[4:5]
	s_cbranch_execz .LBB18_1068
.LBB18_1067:
	v_bfe_u32 v10, v15, 8, 3
	v_ffbh_u32_e32 v21, v10
	v_min_u32_e32 v21, 32, v21
	v_lshrrev_b16_e32 v20, 3, v14
	v_subrev_u32_e32 v22, 28, v21
	v_and_b32_e32 v20, 15, v20
	v_lshlrev_b32_e32 v14, v22, v14
	v_sub_u32_e32 v21, 29, v21
	v_and_b32_e32 v14, 7, v14
	v_cmp_eq_u16_e32 vcc, 0, v20
	v_cndmask_b32_e32 v10, v10, v14, vcc
	v_cndmask_b32_e32 v14, v20, v21, vcc
	v_lshlrev_b32_e32 v20, 16, v15
	v_mov_b32_e32 v21, 0x3b800000
	v_lshlrev_b32_e32 v10, 20, v10
	v_and_b32_e32 v20, 0x80000000, v20
	v_lshl_add_u32 v14, v14, 23, v21
	v_or3_b32 v10, v20, v14, v10
.LBB18_1068:
	s_or_b64 exec, exec, s[6:7]
	v_lshrrev_b32_e32 v14, 8, v11
	s_movk_i32 s4, 0x7f
	v_cmp_gt_i16_sdwa s[6:7], v14, s4 src0_sel:BYTE_0 src1_sel:DWORD
	s_mov_b64 s[4:5], 0
                                        ; implicit-def: $sgpr10
	s_and_saveexec_b64 s[8:9], s[6:7]
	s_xor_b64 s[6:7], exec, s[8:9]
	s_cbranch_execnz .LBB18_3117
; %bb.1069:
	s_or_saveexec_b64 s[6:7], s[6:7]
	v_mov_b32_e32 v20, s10
	s_xor_b64 exec, exec, s[6:7]
	s_cbranch_execnz .LBB18_3120
.LBB18_1070:
	s_or_b64 exec, exec, s[6:7]
	s_and_saveexec_b64 s[6:7], s[4:5]
	s_cbranch_execz .LBB18_1072
.LBB18_1071:
	v_bfe_u32 v20, v11, 8, 3
	v_ffbh_u32_e32 v22, v20
	v_min_u32_e32 v22, 32, v22
	v_lshrrev_b16_e32 v21, 3, v14
	v_subrev_u32_e32 v23, 28, v22
	v_and_b32_e32 v21, 15, v21
	v_lshlrev_b32_e32 v14, v23, v14
	v_sub_u32_e32 v22, 29, v22
	v_and_b32_e32 v14, 7, v14
	v_cmp_eq_u16_e32 vcc, 0, v21
	v_cndmask_b32_e32 v14, v20, v14, vcc
	v_cndmask_b32_e32 v20, v21, v22, vcc
	v_lshlrev_b32_e32 v21, 16, v11
	v_mov_b32_e32 v22, 0x3b800000
	v_lshlrev_b32_e32 v14, 20, v14
	v_and_b32_e32 v21, 0x80000000, v21
	v_lshl_add_u32 v20, v20, 23, v22
	v_or3_b32 v20, v21, v20, v14
.LBB18_1072:
	s_or_b64 exec, exec, s[6:7]
	s_nop 0
	v_mfma_f32_16x16x4f32 a[0:3], v10, v20, a[0:3]
	s_movk_i32 s4, 0xff
	v_and_b32_sdwa v14, v15, s4 dst_sel:DWORD dst_unused:UNUSED_PAD src0_sel:WORD_1 src1_sel:DWORD
	s_movk_i32 s4, 0x7f
	v_cmp_lt_i16_e32 vcc, s4, v14
	s_mov_b64 s[4:5], 0
                                        ; implicit-def: $sgpr10
	s_and_saveexec_b64 s[6:7], vcc
	s_xor_b64 s[6:7], exec, s[6:7]
	s_cbranch_execnz .LBB18_3121
; %bb.1073:
	s_or_saveexec_b64 s[6:7], s[6:7]
	v_mov_b32_e32 v10, s10
	s_xor_b64 exec, exec, s[6:7]
	s_cbranch_execnz .LBB18_3124
.LBB18_1074:
	s_or_b64 exec, exec, s[6:7]
	s_and_saveexec_b64 s[6:7], s[4:5]
	s_cbranch_execz .LBB18_1076
.LBB18_1075:
	v_bfe_u32 v10, v15, 16, 3
	v_ffbh_u32_e32 v21, v10
	v_min_u32_e32 v21, 32, v21
	v_lshrrev_b32_e32 v14, 19, v15
	v_subrev_u32_e32 v22, 28, v21
	v_and_b32_e32 v14, 15, v14
	v_lshlrev_b32_sdwa v22, v22, v15 dst_sel:DWORD dst_unused:UNUSED_PAD src0_sel:DWORD src1_sel:WORD_1
	v_bfe_u32 v20, v15, 19, 4
	v_sub_u32_e32 v21, 29, v21
	v_and_b32_e32 v22, 7, v22
	v_cmp_eq_u16_e32 vcc, 0, v14
	v_cndmask_b32_e32 v10, v10, v22, vcc
	v_cndmask_b32_e32 v14, v20, v21, vcc
	v_lshlrev_b32_e32 v20, 8, v15
	v_mov_b32_e32 v21, 0x3b800000
	v_lshlrev_b32_e32 v10, 20, v10
	v_and_b32_e32 v20, 0x80000000, v20
	v_lshl_add_u32 v14, v14, 23, v21
	v_or3_b32 v10, v20, v14, v10
.LBB18_1076:
	s_or_b64 exec, exec, s[6:7]
	s_movk_i32 s4, 0xff
	v_and_b32_sdwa v14, v11, s4 dst_sel:DWORD dst_unused:UNUSED_PAD src0_sel:WORD_1 src1_sel:DWORD
	s_movk_i32 s4, 0x7f
	v_cmp_lt_i16_e32 vcc, s4, v14
	s_mov_b64 s[4:5], 0
                                        ; implicit-def: $sgpr10
	s_and_saveexec_b64 s[6:7], vcc
	s_xor_b64 s[6:7], exec, s[6:7]
	s_cbranch_execnz .LBB18_3125
; %bb.1077:
	s_or_saveexec_b64 s[6:7], s[6:7]
	v_mov_b32_e32 v20, s10
	s_xor_b64 exec, exec, s[6:7]
	s_cbranch_execnz .LBB18_3128
.LBB18_1078:
	s_or_b64 exec, exec, s[6:7]
	s_and_saveexec_b64 s[6:7], s[4:5]
	s_cbranch_execz .LBB18_1080
.LBB18_1079:
	v_bfe_u32 v14, v11, 16, 3
	v_ffbh_u32_e32 v22, v14
	v_min_u32_e32 v22, 32, v22
	v_lshrrev_b32_e32 v20, 19, v11
	v_subrev_u32_e32 v23, 28, v22
	v_and_b32_e32 v20, 15, v20
	v_lshlrev_b32_sdwa v23, v23, v11 dst_sel:DWORD dst_unused:UNUSED_PAD src0_sel:DWORD src1_sel:WORD_1
	v_bfe_u32 v21, v11, 19, 4
	v_sub_u32_e32 v22, 29, v22
	v_and_b32_e32 v23, 7, v23
	v_cmp_eq_u16_e32 vcc, 0, v20
	v_cndmask_b32_e32 v14, v14, v23, vcc
	v_cndmask_b32_e32 v20, v21, v22, vcc
	v_lshlrev_b32_e32 v21, 8, v11
	v_mov_b32_e32 v22, 0x3b800000
	v_lshlrev_b32_e32 v14, 20, v14
	v_and_b32_e32 v21, 0x80000000, v21
	v_lshl_add_u32 v20, v20, 23, v22
	v_or3_b32 v20, v21, v20, v14
.LBB18_1080:
	s_or_b64 exec, exec, s[6:7]
	s_nop 0
	v_mfma_f32_16x16x4f32 a[0:3], v10, v20, a[0:3]
	s_movk_i32 s4, 0x7f
	v_cmp_gt_i16_sdwa s[6:7], v15, s4 src0_sel:BYTE_3 src1_sel:DWORD
	s_mov_b64 s[4:5], 0
                                        ; implicit-def: $sgpr10
	s_and_saveexec_b64 s[8:9], s[6:7]
	s_xor_b64 s[6:7], exec, s[8:9]
	s_cbranch_execnz .LBB18_3129
; %bb.1081:
	s_or_saveexec_b64 s[6:7], s[6:7]
	v_mov_b32_e32 v10, s10
	s_xor_b64 exec, exec, s[6:7]
	s_cbranch_execnz .LBB18_3132
.LBB18_1082:
	s_or_b64 exec, exec, s[6:7]
	s_and_saveexec_b64 s[6:7], s[4:5]
	s_cbranch_execz .LBB18_1084
.LBB18_1083:
	v_bfe_u32 v10, v15, 24, 3
	v_ffbh_u32_e32 v22, v10
	v_min_u32_e32 v22, 32, v22
	v_lshrrev_b32_e32 v20, 27, v15
	v_subrev_u32_e32 v23, 28, v22
	v_and_b32_e32 v14, 0x80000000, v15
	v_and_b32_e32 v20, 15, v20
	v_bfe_u32 v21, v15, 27, 4
	v_lshlrev_b32_sdwa v15, v23, v15 dst_sel:DWORD dst_unused:UNUSED_PAD src0_sel:DWORD src1_sel:BYTE_3
	v_sub_u32_e32 v22, 29, v22
	v_and_b32_e32 v15, 7, v15
	v_cmp_eq_u16_e32 vcc, 0, v20
	v_cndmask_b32_e32 v10, v10, v15, vcc
	v_cndmask_b32_e32 v15, v21, v22, vcc
	v_mov_b32_e32 v20, 0x3b800000
	v_lshlrev_b32_e32 v10, 20, v10
	v_lshl_add_u32 v15, v15, 23, v20
	v_or3_b32 v10, v14, v15, v10
.LBB18_1084:
	s_or_b64 exec, exec, s[6:7]
	s_movk_i32 s4, 0x7f
	v_cmp_gt_i16_sdwa s[6:7], v11, s4 src0_sel:BYTE_3 src1_sel:DWORD
	s_mov_b64 s[4:5], 0
                                        ; implicit-def: $sgpr10
	s_and_saveexec_b64 s[8:9], s[6:7]
	s_xor_b64 s[6:7], exec, s[8:9]
	s_cbranch_execnz .LBB18_3133
; %bb.1085:
	s_or_saveexec_b64 s[6:7], s[6:7]
	v_mov_b32_e32 v14, s10
	s_xor_b64 exec, exec, s[6:7]
	s_cbranch_execnz .LBB18_3136
.LBB18_1086:
	s_or_b64 exec, exec, s[6:7]
	s_and_saveexec_b64 s[6:7], s[4:5]
	s_cbranch_execz .LBB18_1088
.LBB18_1087:
	v_bfe_u32 v14, v11, 24, 3
	v_ffbh_u32_e32 v22, v14
	v_min_u32_e32 v22, 32, v22
	v_lshrrev_b32_e32 v20, 27, v11
	v_subrev_u32_e32 v23, 28, v22
	v_and_b32_e32 v15, 0x80000000, v11
	v_and_b32_e32 v20, 15, v20
	v_bfe_u32 v21, v11, 27, 4
	v_lshlrev_b32_sdwa v11, v23, v11 dst_sel:DWORD dst_unused:UNUSED_PAD src0_sel:DWORD src1_sel:BYTE_3
	v_sub_u32_e32 v22, 29, v22
	v_and_b32_e32 v11, 7, v11
	v_cmp_eq_u16_e32 vcc, 0, v20
	v_cndmask_b32_e32 v11, v14, v11, vcc
	v_cndmask_b32_e32 v14, v21, v22, vcc
	v_mov_b32_e32 v20, 0x3b800000
	v_lshlrev_b32_e32 v11, 20, v11
	v_lshl_add_u32 v14, v14, 23, v20
	v_or3_b32 v14, v15, v14, v11
.LBB18_1088:
	s_or_b64 exec, exec, s[6:7]
	s_nop 0
	v_mfma_f32_16x16x4f32 a[0:3], v10, v14, a[0:3]
	s_movk_i32 s4, 0x7f
	v_cmp_gt_i16_sdwa s[6:7], v16, s4 src0_sel:BYTE_0 src1_sel:DWORD
	s_mov_b64 s[4:5], 0
                                        ; implicit-def: $sgpr10
	s_and_saveexec_b64 s[8:9], s[6:7]
	s_xor_b64 s[6:7], exec, s[8:9]
	s_cbranch_execnz .LBB18_3137
; %bb.1089:
	s_or_saveexec_b64 s[6:7], s[6:7]
	v_mov_b32_e32 v10, s10
	s_xor_b64 exec, exec, s[6:7]
	s_cbranch_execnz .LBB18_3140
.LBB18_1090:
	s_or_b64 exec, exec, s[6:7]
	s_and_saveexec_b64 s[6:7], s[4:5]
	s_cbranch_execz .LBB18_1092
.LBB18_1091:
	v_and_b32_e32 v10, 7, v16
	v_ffbh_u32_e32 v14, v10
	v_min_u32_e32 v14, 32, v14
	v_lshrrev_b16_e32 v11, 3, v16
	v_subrev_u32_e32 v15, 28, v14
	v_and_b32_e32 v11, 15, v11
	v_lshlrev_b32_e32 v15, v15, v16
	v_sub_u32_e32 v14, 29, v14
	v_and_b32_e32 v15, 7, v15
	v_cmp_eq_u16_e32 vcc, 0, v11
	v_cndmask_b32_e32 v10, v10, v15, vcc
	v_cndmask_b32_e32 v11, v11, v14, vcc
	v_lshlrev_b32_e32 v14, 24, v16
	v_mov_b32_e32 v15, 0x3b800000
	v_lshlrev_b32_e32 v10, 20, v10
	v_and_b32_e32 v14, 0x80000000, v14
	v_lshl_add_u32 v11, v11, 23, v15
	v_or3_b32 v10, v14, v11, v10
.LBB18_1092:
	s_or_b64 exec, exec, s[6:7]
	s_movk_i32 s4, 0x7f
	v_cmp_gt_i16_sdwa s[6:7], v12, s4 src0_sel:BYTE_0 src1_sel:DWORD
	s_mov_b64 s[4:5], 0
                                        ; implicit-def: $sgpr10
	s_and_saveexec_b64 s[8:9], s[6:7]
	s_xor_b64 s[6:7], exec, s[8:9]
	s_cbranch_execnz .LBB18_3141
; %bb.1093:
	s_or_saveexec_b64 s[6:7], s[6:7]
	v_mov_b32_e32 v11, s10
	s_xor_b64 exec, exec, s[6:7]
	s_cbranch_execnz .LBB18_3144
.LBB18_1094:
	s_or_b64 exec, exec, s[6:7]
	s_and_saveexec_b64 s[6:7], s[4:5]
	s_cbranch_execz .LBB18_1096
.LBB18_1095:
	v_and_b32_e32 v11, 7, v12
	v_ffbh_u32_e32 v15, v11
	v_min_u32_e32 v15, 32, v15
	v_lshrrev_b16_e32 v14, 3, v12
	v_subrev_u32_e32 v20, 28, v15
	v_and_b32_e32 v14, 15, v14
	v_lshlrev_b32_e32 v20, v20, v12
	v_sub_u32_e32 v15, 29, v15
	v_and_b32_e32 v20, 7, v20
	v_cmp_eq_u16_e32 vcc, 0, v14
	v_cndmask_b32_e32 v11, v11, v20, vcc
	v_cndmask_b32_e32 v14, v14, v15, vcc
	v_lshlrev_b32_e32 v15, 24, v12
	v_mov_b32_e32 v20, 0x3b800000
	v_lshlrev_b32_e32 v11, 20, v11
	v_and_b32_e32 v15, 0x80000000, v15
	v_lshl_add_u32 v14, v14, 23, v20
	v_or3_b32 v11, v15, v14, v11
.LBB18_1096:
	s_or_b64 exec, exec, s[6:7]
	s_nop 0
	v_mfma_f32_16x16x4f32 a[0:3], v10, v11, a[0:3]
	v_lshrrev_b32_e32 v11, 8, v16
	s_movk_i32 s4, 0x7f
	v_cmp_gt_i16_sdwa s[6:7], v11, s4 src0_sel:BYTE_0 src1_sel:DWORD
	s_mov_b64 s[4:5], 0
                                        ; implicit-def: $sgpr10
	s_and_saveexec_b64 s[8:9], s[6:7]
	s_xor_b64 s[6:7], exec, s[8:9]
	s_cbranch_execnz .LBB18_3145
; %bb.1097:
	s_or_saveexec_b64 s[6:7], s[6:7]
	v_mov_b32_e32 v10, s10
	s_xor_b64 exec, exec, s[6:7]
	s_cbranch_execnz .LBB18_3148
.LBB18_1098:
	s_or_b64 exec, exec, s[6:7]
	s_and_saveexec_b64 s[6:7], s[4:5]
	s_cbranch_execz .LBB18_1100
.LBB18_1099:
	v_bfe_u32 v10, v16, 8, 3
	v_ffbh_u32_e32 v15, v10
	v_min_u32_e32 v15, 32, v15
	v_lshrrev_b16_e32 v14, 3, v11
	v_subrev_u32_e32 v20, 28, v15
	v_and_b32_e32 v14, 15, v14
	v_lshlrev_b32_e32 v11, v20, v11
	v_sub_u32_e32 v15, 29, v15
	v_and_b32_e32 v11, 7, v11
	v_cmp_eq_u16_e32 vcc, 0, v14
	v_cndmask_b32_e32 v10, v10, v11, vcc
	v_cndmask_b32_e32 v11, v14, v15, vcc
	v_lshlrev_b32_e32 v14, 16, v16
	v_mov_b32_e32 v15, 0x3b800000
	v_lshlrev_b32_e32 v10, 20, v10
	v_and_b32_e32 v14, 0x80000000, v14
	v_lshl_add_u32 v11, v11, 23, v15
	v_or3_b32 v10, v14, v11, v10
.LBB18_1100:
	s_or_b64 exec, exec, s[6:7]
	v_lshrrev_b32_e32 v11, 8, v12
	s_movk_i32 s4, 0x7f
	v_cmp_gt_i16_sdwa s[6:7], v11, s4 src0_sel:BYTE_0 src1_sel:DWORD
	s_mov_b64 s[4:5], 0
                                        ; implicit-def: $sgpr10
	s_and_saveexec_b64 s[8:9], s[6:7]
	s_xor_b64 s[6:7], exec, s[8:9]
	s_cbranch_execnz .LBB18_3149
; %bb.1101:
	s_or_saveexec_b64 s[6:7], s[6:7]
	v_mov_b32_e32 v14, s10
	s_xor_b64 exec, exec, s[6:7]
	s_cbranch_execnz .LBB18_3152
.LBB18_1102:
	s_or_b64 exec, exec, s[6:7]
	s_and_saveexec_b64 s[6:7], s[4:5]
	s_cbranch_execz .LBB18_1104
.LBB18_1103:
	v_bfe_u32 v14, v12, 8, 3
	v_ffbh_u32_e32 v20, v14
	v_min_u32_e32 v20, 32, v20
	v_lshrrev_b16_e32 v15, 3, v11
	v_subrev_u32_e32 v21, 28, v20
	v_and_b32_e32 v15, 15, v15
	v_lshlrev_b32_e32 v11, v21, v11
	v_sub_u32_e32 v20, 29, v20
	v_and_b32_e32 v11, 7, v11
	v_cmp_eq_u16_e32 vcc, 0, v15
	v_cndmask_b32_e32 v11, v14, v11, vcc
	v_cndmask_b32_e32 v14, v15, v20, vcc
	v_lshlrev_b32_e32 v15, 16, v12
	v_mov_b32_e32 v20, 0x3b800000
	v_lshlrev_b32_e32 v11, 20, v11
	v_and_b32_e32 v15, 0x80000000, v15
	v_lshl_add_u32 v14, v14, 23, v20
	v_or3_b32 v14, v15, v14, v11
.LBB18_1104:
	s_or_b64 exec, exec, s[6:7]
	s_nop 0
	v_mfma_f32_16x16x4f32 a[0:3], v10, v14, a[0:3]
	s_movk_i32 s4, 0xff
	v_and_b32_sdwa v11, v16, s4 dst_sel:DWORD dst_unused:UNUSED_PAD src0_sel:WORD_1 src1_sel:DWORD
	s_movk_i32 s4, 0x7f
	v_cmp_lt_i16_e32 vcc, s4, v11
	s_mov_b64 s[4:5], 0
                                        ; implicit-def: $sgpr10
	s_and_saveexec_b64 s[6:7], vcc
	s_xor_b64 s[6:7], exec, s[6:7]
	s_cbranch_execnz .LBB18_3153
; %bb.1105:
	s_or_saveexec_b64 s[6:7], s[6:7]
	v_mov_b32_e32 v10, s10
	s_xor_b64 exec, exec, s[6:7]
	s_cbranch_execnz .LBB18_3156
.LBB18_1106:
	s_or_b64 exec, exec, s[6:7]
	s_and_saveexec_b64 s[6:7], s[4:5]
	s_cbranch_execz .LBB18_1108
.LBB18_1107:
	v_bfe_u32 v10, v16, 16, 3
	v_ffbh_u32_e32 v15, v10
	v_min_u32_e32 v15, 32, v15
	v_lshrrev_b32_e32 v11, 19, v16
	v_subrev_u32_e32 v20, 28, v15
	v_and_b32_e32 v11, 15, v11
	v_lshlrev_b32_sdwa v20, v20, v16 dst_sel:DWORD dst_unused:UNUSED_PAD src0_sel:DWORD src1_sel:WORD_1
	v_bfe_u32 v14, v16, 19, 4
	v_sub_u32_e32 v15, 29, v15
	v_and_b32_e32 v20, 7, v20
	v_cmp_eq_u16_e32 vcc, 0, v11
	v_cndmask_b32_e32 v10, v10, v20, vcc
	v_cndmask_b32_e32 v11, v14, v15, vcc
	v_lshlrev_b32_e32 v14, 8, v16
	v_mov_b32_e32 v15, 0x3b800000
	v_lshlrev_b32_e32 v10, 20, v10
	v_and_b32_e32 v14, 0x80000000, v14
	v_lshl_add_u32 v11, v11, 23, v15
	v_or3_b32 v10, v14, v11, v10
.LBB18_1108:
	s_or_b64 exec, exec, s[6:7]
	s_movk_i32 s4, 0xff
	v_and_b32_sdwa v11, v12, s4 dst_sel:DWORD dst_unused:UNUSED_PAD src0_sel:WORD_1 src1_sel:DWORD
	s_movk_i32 s4, 0x7f
	v_cmp_lt_i16_e32 vcc, s4, v11
	s_mov_b64 s[4:5], 0
                                        ; implicit-def: $sgpr10
	s_and_saveexec_b64 s[6:7], vcc
	s_xor_b64 s[6:7], exec, s[6:7]
	s_cbranch_execnz .LBB18_3157
; %bb.1109:
	s_or_saveexec_b64 s[6:7], s[6:7]
	v_mov_b32_e32 v14, s10
	s_xor_b64 exec, exec, s[6:7]
	s_cbranch_execnz .LBB18_3160
.LBB18_1110:
	s_or_b64 exec, exec, s[6:7]
	s_and_saveexec_b64 s[6:7], s[4:5]
	s_cbranch_execz .LBB18_1112
.LBB18_1111:
	v_bfe_u32 v11, v12, 16, 3
	v_ffbh_u32_e32 v20, v11
	v_min_u32_e32 v20, 32, v20
	v_lshrrev_b32_e32 v14, 19, v12
	v_subrev_u32_e32 v21, 28, v20
	v_and_b32_e32 v14, 15, v14
	v_lshlrev_b32_sdwa v21, v21, v12 dst_sel:DWORD dst_unused:UNUSED_PAD src0_sel:DWORD src1_sel:WORD_1
	v_bfe_u32 v15, v12, 19, 4
	v_sub_u32_e32 v20, 29, v20
	v_and_b32_e32 v21, 7, v21
	v_cmp_eq_u16_e32 vcc, 0, v14
	v_cndmask_b32_e32 v11, v11, v21, vcc
	v_cndmask_b32_e32 v14, v15, v20, vcc
	v_lshlrev_b32_e32 v15, 8, v12
	v_mov_b32_e32 v20, 0x3b800000
	v_lshlrev_b32_e32 v11, 20, v11
	v_and_b32_e32 v15, 0x80000000, v15
	v_lshl_add_u32 v14, v14, 23, v20
	v_or3_b32 v14, v15, v14, v11
.LBB18_1112:
	s_or_b64 exec, exec, s[6:7]
	s_nop 0
	v_mfma_f32_16x16x4f32 a[0:3], v10, v14, a[0:3]
	s_movk_i32 s4, 0x7f
	v_cmp_gt_i16_sdwa s[6:7], v16, s4 src0_sel:BYTE_3 src1_sel:DWORD
	s_mov_b64 s[4:5], 0
                                        ; implicit-def: $sgpr10
	s_and_saveexec_b64 s[8:9], s[6:7]
	s_xor_b64 s[6:7], exec, s[8:9]
	s_cbranch_execnz .LBB18_3161
; %bb.1113:
	s_or_saveexec_b64 s[6:7], s[6:7]
	v_mov_b32_e32 v10, s10
	s_xor_b64 exec, exec, s[6:7]
	s_cbranch_execnz .LBB18_3164
.LBB18_1114:
	s_or_b64 exec, exec, s[6:7]
	s_and_saveexec_b64 s[6:7], s[4:5]
	s_cbranch_execz .LBB18_1116
.LBB18_1115:
	v_bfe_u32 v10, v16, 24, 3
	v_ffbh_u32_e32 v20, v10
	v_min_u32_e32 v20, 32, v20
	v_lshrrev_b32_e32 v14, 27, v16
	v_subrev_u32_e32 v21, 28, v20
	v_and_b32_e32 v11, 0x80000000, v16
	v_and_b32_e32 v14, 15, v14
	v_bfe_u32 v15, v16, 27, 4
	v_lshlrev_b32_sdwa v16, v21, v16 dst_sel:DWORD dst_unused:UNUSED_PAD src0_sel:DWORD src1_sel:BYTE_3
	v_sub_u32_e32 v20, 29, v20
	v_and_b32_e32 v16, 7, v16
	v_cmp_eq_u16_e32 vcc, 0, v14
	v_cndmask_b32_e32 v10, v10, v16, vcc
	v_cndmask_b32_e32 v14, v15, v20, vcc
	v_mov_b32_e32 v15, 0x3b800000
	v_lshlrev_b32_e32 v10, 20, v10
	v_lshl_add_u32 v14, v14, 23, v15
	v_or3_b32 v10, v11, v14, v10
.LBB18_1116:
	s_or_b64 exec, exec, s[6:7]
	s_movk_i32 s4, 0x7f
	v_cmp_gt_i16_sdwa s[6:7], v12, s4 src0_sel:BYTE_3 src1_sel:DWORD
	s_mov_b64 s[4:5], 0
                                        ; implicit-def: $sgpr10
	s_and_saveexec_b64 s[8:9], s[6:7]
	s_xor_b64 s[6:7], exec, s[8:9]
	s_cbranch_execnz .LBB18_3165
; %bb.1117:
	s_or_saveexec_b64 s[6:7], s[6:7]
	v_mov_b32_e32 v11, s10
	s_xor_b64 exec, exec, s[6:7]
	s_cbranch_execnz .LBB18_3168
.LBB18_1118:
	s_or_b64 exec, exec, s[6:7]
	s_and_saveexec_b64 s[6:7], s[4:5]
	s_cbranch_execz .LBB18_1120
.LBB18_1119:
	v_bfe_u32 v11, v12, 24, 3
	v_ffbh_u32_e32 v20, v11
	v_min_u32_e32 v20, 32, v20
	v_lshrrev_b32_e32 v15, 27, v12
	v_subrev_u32_e32 v21, 28, v20
	v_and_b32_e32 v14, 0x80000000, v12
	v_and_b32_e32 v15, 15, v15
	v_bfe_u32 v16, v12, 27, 4
	v_lshlrev_b32_sdwa v12, v21, v12 dst_sel:DWORD dst_unused:UNUSED_PAD src0_sel:DWORD src1_sel:BYTE_3
	v_sub_u32_e32 v20, 29, v20
	v_and_b32_e32 v12, 7, v12
	v_cmp_eq_u16_e32 vcc, 0, v15
	v_cndmask_b32_e32 v11, v11, v12, vcc
	v_cndmask_b32_e32 v12, v16, v20, vcc
	v_mov_b32_e32 v15, 0x3b800000
	v_lshlrev_b32_e32 v11, 20, v11
	v_lshl_add_u32 v12, v12, 23, v15
	v_or3_b32 v11, v14, v12, v11
.LBB18_1120:
	s_or_b64 exec, exec, s[6:7]
	s_nop 0
	v_mfma_f32_16x16x4f32 a[0:3], v10, v11, a[0:3]
	s_movk_i32 s4, 0x7f
	v_cmp_gt_i16_sdwa s[6:7], v17, s4 src0_sel:BYTE_0 src1_sel:DWORD
	s_mov_b64 s[4:5], 0
                                        ; implicit-def: $sgpr10
	s_and_saveexec_b64 s[8:9], s[6:7]
	s_xor_b64 s[6:7], exec, s[8:9]
	s_cbranch_execnz .LBB18_3169
; %bb.1121:
	s_or_saveexec_b64 s[6:7], s[6:7]
	v_mov_b32_e32 v10, s10
	s_xor_b64 exec, exec, s[6:7]
	s_cbranch_execnz .LBB18_3172
.LBB18_1122:
	s_or_b64 exec, exec, s[6:7]
	s_and_saveexec_b64 s[6:7], s[4:5]
	s_cbranch_execz .LBB18_1124
.LBB18_1123:
	v_and_b32_e32 v10, 7, v17
	v_ffbh_u32_e32 v12, v10
	v_min_u32_e32 v12, 32, v12
	v_lshrrev_b16_e32 v11, 3, v17
	v_subrev_u32_e32 v14, 28, v12
	v_and_b32_e32 v11, 15, v11
	v_lshlrev_b32_e32 v14, v14, v17
	v_sub_u32_e32 v12, 29, v12
	v_and_b32_e32 v14, 7, v14
	v_cmp_eq_u16_e32 vcc, 0, v11
	v_cndmask_b32_e32 v10, v10, v14, vcc
	v_cndmask_b32_e32 v11, v11, v12, vcc
	v_lshlrev_b32_e32 v12, 24, v17
	v_mov_b32_e32 v14, 0x3b800000
	v_lshlrev_b32_e32 v10, 20, v10
	v_and_b32_e32 v12, 0x80000000, v12
	v_lshl_add_u32 v11, v11, 23, v14
	v_or3_b32 v10, v12, v11, v10
.LBB18_1124:
	s_or_b64 exec, exec, s[6:7]
	s_movk_i32 s4, 0x7f
	v_cmp_gt_i16_sdwa s[6:7], v13, s4 src0_sel:BYTE_0 src1_sel:DWORD
	s_mov_b64 s[4:5], 0
                                        ; implicit-def: $sgpr10
	s_and_saveexec_b64 s[8:9], s[6:7]
	s_xor_b64 s[6:7], exec, s[8:9]
	s_cbranch_execnz .LBB18_3173
; %bb.1125:
	s_or_saveexec_b64 s[6:7], s[6:7]
	v_mov_b32_e32 v11, s10
	s_xor_b64 exec, exec, s[6:7]
	s_cbranch_execnz .LBB18_3176
.LBB18_1126:
	s_or_b64 exec, exec, s[6:7]
	s_and_saveexec_b64 s[6:7], s[4:5]
	s_cbranch_execz .LBB18_1128
.LBB18_1127:
	v_and_b32_e32 v11, 7, v13
	v_ffbh_u32_e32 v14, v11
	v_min_u32_e32 v14, 32, v14
	v_lshrrev_b16_e32 v12, 3, v13
	v_subrev_u32_e32 v15, 28, v14
	v_and_b32_e32 v12, 15, v12
	v_lshlrev_b32_e32 v15, v15, v13
	v_sub_u32_e32 v14, 29, v14
	v_and_b32_e32 v15, 7, v15
	v_cmp_eq_u16_e32 vcc, 0, v12
	v_cndmask_b32_e32 v11, v11, v15, vcc
	v_cndmask_b32_e32 v12, v12, v14, vcc
	v_lshlrev_b32_e32 v14, 24, v13
	v_mov_b32_e32 v15, 0x3b800000
	v_lshlrev_b32_e32 v11, 20, v11
	v_and_b32_e32 v14, 0x80000000, v14
	v_lshl_add_u32 v12, v12, 23, v15
	v_or3_b32 v11, v14, v12, v11
.LBB18_1128:
	s_or_b64 exec, exec, s[6:7]
	s_nop 0
	v_mfma_f32_16x16x4f32 a[0:3], v10, v11, a[0:3]
	v_lshrrev_b32_e32 v11, 8, v17
	s_movk_i32 s4, 0x7f
	v_cmp_gt_i16_sdwa s[6:7], v11, s4 src0_sel:BYTE_0 src1_sel:DWORD
	s_mov_b64 s[4:5], 0
                                        ; implicit-def: $sgpr10
	s_and_saveexec_b64 s[8:9], s[6:7]
	s_xor_b64 s[6:7], exec, s[8:9]
	s_cbranch_execnz .LBB18_3177
; %bb.1129:
	s_or_saveexec_b64 s[6:7], s[6:7]
	v_mov_b32_e32 v10, s10
	s_xor_b64 exec, exec, s[6:7]
	s_cbranch_execnz .LBB18_3180
.LBB18_1130:
	s_or_b64 exec, exec, s[6:7]
	s_and_saveexec_b64 s[6:7], s[4:5]
	s_cbranch_execz .LBB18_1132
.LBB18_1131:
	v_bfe_u32 v10, v17, 8, 3
	v_ffbh_u32_e32 v14, v10
	v_min_u32_e32 v14, 32, v14
	v_lshrrev_b16_e32 v12, 3, v11
	v_subrev_u32_e32 v15, 28, v14
	v_and_b32_e32 v12, 15, v12
	v_lshlrev_b32_e32 v11, v15, v11
	v_sub_u32_e32 v14, 29, v14
	v_and_b32_e32 v11, 7, v11
	v_cmp_eq_u16_e32 vcc, 0, v12
	v_cndmask_b32_e32 v10, v10, v11, vcc
	v_cndmask_b32_e32 v11, v12, v14, vcc
	v_lshlrev_b32_e32 v12, 16, v17
	v_mov_b32_e32 v14, 0x3b800000
	v_lshlrev_b32_e32 v10, 20, v10
	v_and_b32_e32 v12, 0x80000000, v12
	v_lshl_add_u32 v11, v11, 23, v14
	v_or3_b32 v10, v12, v11, v10
.LBB18_1132:
	s_or_b64 exec, exec, s[6:7]
	v_lshrrev_b32_e32 v11, 8, v13
	s_movk_i32 s4, 0x7f
	v_cmp_gt_i16_sdwa s[6:7], v11, s4 src0_sel:BYTE_0 src1_sel:DWORD
	s_mov_b64 s[4:5], 0
                                        ; implicit-def: $sgpr10
	s_and_saveexec_b64 s[8:9], s[6:7]
	s_xor_b64 s[6:7], exec, s[8:9]
	s_cbranch_execnz .LBB18_3181
; %bb.1133:
	s_or_saveexec_b64 s[6:7], s[6:7]
	v_mov_b32_e32 v12, s10
	s_xor_b64 exec, exec, s[6:7]
	s_cbranch_execnz .LBB18_3184
.LBB18_1134:
	s_or_b64 exec, exec, s[6:7]
	s_and_saveexec_b64 s[6:7], s[4:5]
	s_cbranch_execz .LBB18_1136
.LBB18_1135:
	v_bfe_u32 v12, v13, 8, 3
	v_ffbh_u32_e32 v15, v12
	v_min_u32_e32 v15, 32, v15
	v_lshrrev_b16_e32 v14, 3, v11
	v_subrev_u32_e32 v16, 28, v15
	v_and_b32_e32 v14, 15, v14
	v_lshlrev_b32_e32 v11, v16, v11
	v_sub_u32_e32 v15, 29, v15
	v_and_b32_e32 v11, 7, v11
	v_cmp_eq_u16_e32 vcc, 0, v14
	v_cndmask_b32_e32 v11, v12, v11, vcc
	v_cndmask_b32_e32 v12, v14, v15, vcc
	v_lshlrev_b32_e32 v14, 16, v13
	v_mov_b32_e32 v15, 0x3b800000
	v_lshlrev_b32_e32 v11, 20, v11
	v_and_b32_e32 v14, 0x80000000, v14
	v_lshl_add_u32 v12, v12, 23, v15
	v_or3_b32 v12, v14, v12, v11
.LBB18_1136:
	s_or_b64 exec, exec, s[6:7]
	s_nop 0
	v_mfma_f32_16x16x4f32 a[0:3], v10, v12, a[0:3]
	s_movk_i32 s4, 0xff
	v_and_b32_sdwa v11, v17, s4 dst_sel:DWORD dst_unused:UNUSED_PAD src0_sel:WORD_1 src1_sel:DWORD
	s_movk_i32 s4, 0x7f
	v_cmp_lt_i16_e32 vcc, s4, v11
	s_mov_b64 s[4:5], 0
                                        ; implicit-def: $sgpr10
	s_and_saveexec_b64 s[6:7], vcc
	s_xor_b64 s[6:7], exec, s[6:7]
	s_cbranch_execnz .LBB18_3185
; %bb.1137:
	s_or_saveexec_b64 s[6:7], s[6:7]
	v_mov_b32_e32 v10, s10
	s_xor_b64 exec, exec, s[6:7]
	s_cbranch_execnz .LBB18_3188
.LBB18_1138:
	s_or_b64 exec, exec, s[6:7]
	s_and_saveexec_b64 s[6:7], s[4:5]
	s_cbranch_execz .LBB18_1140
.LBB18_1139:
	v_bfe_u32 v10, v17, 16, 3
	v_ffbh_u32_e32 v14, v10
	v_min_u32_e32 v14, 32, v14
	v_lshrrev_b32_e32 v11, 19, v17
	v_subrev_u32_e32 v15, 28, v14
	v_and_b32_e32 v11, 15, v11
	v_lshlrev_b32_sdwa v15, v15, v17 dst_sel:DWORD dst_unused:UNUSED_PAD src0_sel:DWORD src1_sel:WORD_1
	v_bfe_u32 v12, v17, 19, 4
	v_sub_u32_e32 v14, 29, v14
	v_and_b32_e32 v15, 7, v15
	v_cmp_eq_u16_e32 vcc, 0, v11
	v_cndmask_b32_e32 v10, v10, v15, vcc
	v_cndmask_b32_e32 v11, v12, v14, vcc
	v_lshlrev_b32_e32 v12, 8, v17
	v_mov_b32_e32 v14, 0x3b800000
	v_lshlrev_b32_e32 v10, 20, v10
	v_and_b32_e32 v12, 0x80000000, v12
	v_lshl_add_u32 v11, v11, 23, v14
	v_or3_b32 v10, v12, v11, v10
.LBB18_1140:
	s_or_b64 exec, exec, s[6:7]
	s_movk_i32 s4, 0xff
	v_and_b32_sdwa v11, v13, s4 dst_sel:DWORD dst_unused:UNUSED_PAD src0_sel:WORD_1 src1_sel:DWORD
	s_movk_i32 s4, 0x7f
	v_cmp_lt_i16_e32 vcc, s4, v11
	s_mov_b64 s[4:5], 0
                                        ; implicit-def: $sgpr10
	s_and_saveexec_b64 s[6:7], vcc
	s_xor_b64 s[6:7], exec, s[6:7]
	s_cbranch_execnz .LBB18_3189
; %bb.1141:
	s_or_saveexec_b64 s[6:7], s[6:7]
	v_mov_b32_e32 v12, s10
	s_xor_b64 exec, exec, s[6:7]
	s_cbranch_execnz .LBB18_3192
.LBB18_1142:
	s_or_b64 exec, exec, s[6:7]
	s_and_saveexec_b64 s[6:7], s[4:5]
	s_cbranch_execz .LBB18_1144
.LBB18_1143:
	v_bfe_u32 v11, v13, 16, 3
	v_ffbh_u32_e32 v15, v11
	v_min_u32_e32 v15, 32, v15
	v_lshrrev_b32_e32 v12, 19, v13
	v_subrev_u32_e32 v16, 28, v15
	v_and_b32_e32 v12, 15, v12
	v_lshlrev_b32_sdwa v16, v16, v13 dst_sel:DWORD dst_unused:UNUSED_PAD src0_sel:DWORD src1_sel:WORD_1
	v_bfe_u32 v14, v13, 19, 4
	v_sub_u32_e32 v15, 29, v15
	v_and_b32_e32 v16, 7, v16
	v_cmp_eq_u16_e32 vcc, 0, v12
	v_cndmask_b32_e32 v11, v11, v16, vcc
	v_cndmask_b32_e32 v12, v14, v15, vcc
	v_lshlrev_b32_e32 v14, 8, v13
	v_mov_b32_e32 v15, 0x3b800000
	v_lshlrev_b32_e32 v11, 20, v11
	v_and_b32_e32 v14, 0x80000000, v14
	v_lshl_add_u32 v12, v12, 23, v15
	v_or3_b32 v12, v14, v12, v11
.LBB18_1144:
	s_or_b64 exec, exec, s[6:7]
	s_nop 0
	v_mfma_f32_16x16x4f32 a[0:3], v10, v12, a[0:3]
	s_movk_i32 s4, 0x7f
	v_cmp_gt_i16_sdwa s[6:7], v17, s4 src0_sel:BYTE_3 src1_sel:DWORD
	s_mov_b64 s[4:5], 0
                                        ; implicit-def: $sgpr10
	s_and_saveexec_b64 s[8:9], s[6:7]
	s_xor_b64 s[6:7], exec, s[8:9]
	s_cbranch_execnz .LBB18_3193
; %bb.1145:
	s_or_saveexec_b64 s[6:7], s[6:7]
	v_mov_b32_e32 v10, s10
	s_xor_b64 exec, exec, s[6:7]
	s_cbranch_execnz .LBB18_3196
.LBB18_1146:
	s_or_b64 exec, exec, s[6:7]
	s_and_saveexec_b64 s[6:7], s[4:5]
	s_cbranch_execz .LBB18_1148
.LBB18_1147:
	v_bfe_u32 v10, v17, 24, 3
	v_ffbh_u32_e32 v15, v10
	v_min_u32_e32 v15, 32, v15
	v_lshrrev_b32_e32 v12, 27, v17
	v_subrev_u32_e32 v16, 28, v15
	v_and_b32_e32 v12, 15, v12
	v_lshlrev_b32_sdwa v16, v16, v17 dst_sel:DWORD dst_unused:UNUSED_PAD src0_sel:DWORD src1_sel:BYTE_3
	v_bfe_u32 v14, v17, 27, 4
	v_sub_u32_e32 v15, 29, v15
	v_and_b32_e32 v16, 7, v16
	v_cmp_eq_u16_e32 vcc, 0, v12
	v_cndmask_b32_e32 v10, v10, v16, vcc
	v_cndmask_b32_e32 v12, v14, v15, vcc
	v_mov_b32_e32 v14, 0x3b800000
	v_and_b32_e32 v11, 0x80000000, v17
	v_lshlrev_b32_e32 v10, 20, v10
	v_lshl_add_u32 v12, v12, 23, v14
	v_or3_b32 v10, v11, v12, v10
.LBB18_1148:
	s_or_b64 exec, exec, s[6:7]
	s_movk_i32 s4, 0x7f
	v_cmp_gt_i16_sdwa s[6:7], v13, s4 src0_sel:BYTE_3 src1_sel:DWORD
	s_mov_b64 s[4:5], 0
                                        ; implicit-def: $sgpr10
	s_and_saveexec_b64 s[8:9], s[6:7]
	s_xor_b64 s[6:7], exec, s[8:9]
	s_cbranch_execnz .LBB18_3197
; %bb.1149:
	s_or_saveexec_b64 s[6:7], s[6:7]
	v_mov_b32_e32 v11, s10
	s_xor_b64 exec, exec, s[6:7]
	s_cbranch_execnz .LBB18_3200
.LBB18_1150:
	s_or_b64 exec, exec, s[6:7]
	s_and_saveexec_b64 s[6:7], s[4:5]
	s_cbranch_execz .LBB18_1152
.LBB18_1151:
	v_bfe_u32 v11, v13, 24, 3
	v_ffbh_u32_e32 v16, v11
	v_min_u32_e32 v16, 32, v16
	v_lshrrev_b32_e32 v14, 27, v13
	v_subrev_u32_e32 v17, 28, v16
	v_and_b32_e32 v12, 0x80000000, v13
	v_and_b32_e32 v14, 15, v14
	v_bfe_u32 v15, v13, 27, 4
	v_lshlrev_b32_sdwa v13, v17, v13 dst_sel:DWORD dst_unused:UNUSED_PAD src0_sel:DWORD src1_sel:BYTE_3
	v_sub_u32_e32 v16, 29, v16
	v_and_b32_e32 v13, 7, v13
	v_cmp_eq_u16_e32 vcc, 0, v14
	v_cndmask_b32_e32 v11, v11, v13, vcc
	v_cndmask_b32_e32 v13, v15, v16, vcc
	v_mov_b32_e32 v14, 0x3b800000
	v_lshlrev_b32_e32 v11, 20, v11
	v_lshl_add_u32 v13, v13, 23, v14
	v_or3_b32 v11, v12, v13, v11
.LBB18_1152:
	s_or_b64 exec, exec, s[6:7]
	s_nop 0
	v_mfma_f32_16x16x4f32 a[0:3], v10, v11, a[0:3]
	s_movk_i32 s4, 0x7f
	v_cmp_gt_i16_sdwa s[6:7], v6, s4 src0_sel:BYTE_0 src1_sel:DWORD
	s_mov_b64 s[4:5], 0
                                        ; implicit-def: $sgpr10
	s_and_saveexec_b64 s[8:9], s[6:7]
	s_xor_b64 s[6:7], exec, s[8:9]
	s_cbranch_execnz .LBB18_3201
; %bb.1153:
	s_or_saveexec_b64 s[6:7], s[6:7]
	v_mov_b32_e32 v10, s10
	s_xor_b64 exec, exec, s[6:7]
	s_cbranch_execnz .LBB18_3204
.LBB18_1154:
	s_or_b64 exec, exec, s[6:7]
	s_and_saveexec_b64 s[6:7], s[4:5]
	s_cbranch_execz .LBB18_1156
.LBB18_1155:
	v_and_b32_e32 v10, 7, v6
	v_ffbh_u32_e32 v12, v10
	v_min_u32_e32 v12, 32, v12
	v_lshrrev_b16_e32 v11, 3, v6
	v_subrev_u32_e32 v13, 28, v12
	v_and_b32_e32 v11, 15, v11
	v_lshlrev_b32_e32 v13, v13, v6
	v_sub_u32_e32 v12, 29, v12
	v_and_b32_e32 v13, 7, v13
	v_cmp_eq_u16_e32 vcc, 0, v11
	v_cndmask_b32_e32 v10, v10, v13, vcc
	v_cndmask_b32_e32 v11, v11, v12, vcc
	v_lshlrev_b32_e32 v12, 24, v6
	v_mov_b32_e32 v13, 0x3b800000
	v_lshlrev_b32_e32 v10, 20, v10
	v_and_b32_e32 v12, 0x80000000, v12
	v_lshl_add_u32 v11, v11, 23, v13
	v_or3_b32 v10, v12, v11, v10
.LBB18_1156:
	s_or_b64 exec, exec, s[6:7]
	s_movk_i32 s4, 0x7f
	v_cmp_gt_i16_sdwa s[6:7], v2, s4 src0_sel:BYTE_0 src1_sel:DWORD
	s_mov_b64 s[4:5], 0
                                        ; implicit-def: $sgpr10
	s_and_saveexec_b64 s[8:9], s[6:7]
	s_xor_b64 s[6:7], exec, s[8:9]
	s_cbranch_execnz .LBB18_3205
; %bb.1157:
	s_or_saveexec_b64 s[6:7], s[6:7]
	v_mov_b32_e32 v11, s10
	s_xor_b64 exec, exec, s[6:7]
	s_cbranch_execnz .LBB18_3208
.LBB18_1158:
	s_or_b64 exec, exec, s[6:7]
	s_and_saveexec_b64 s[6:7], s[4:5]
	s_cbranch_execz .LBB18_1160
.LBB18_1159:
	v_and_b32_e32 v11, 7, v2
	v_ffbh_u32_e32 v13, v11
	v_min_u32_e32 v13, 32, v13
	v_lshrrev_b16_e32 v12, 3, v2
	v_subrev_u32_e32 v14, 28, v13
	v_and_b32_e32 v12, 15, v12
	v_lshlrev_b32_e32 v14, v14, v2
	v_sub_u32_e32 v13, 29, v13
	v_and_b32_e32 v14, 7, v14
	v_cmp_eq_u16_e32 vcc, 0, v12
	v_cndmask_b32_e32 v11, v11, v14, vcc
	v_cndmask_b32_e32 v12, v12, v13, vcc
	v_lshlrev_b32_e32 v13, 24, v2
	v_mov_b32_e32 v14, 0x3b800000
	v_lshlrev_b32_e32 v11, 20, v11
	v_and_b32_e32 v13, 0x80000000, v13
	v_lshl_add_u32 v12, v12, 23, v14
	v_or3_b32 v11, v13, v12, v11
.LBB18_1160:
	s_or_b64 exec, exec, s[6:7]
	s_nop 0
	v_mfma_f32_16x16x4f32 a[0:3], v10, v11, a[0:3]
	v_lshrrev_b32_e32 v11, 8, v6
	s_movk_i32 s4, 0x7f
	v_cmp_gt_i16_sdwa s[6:7], v11, s4 src0_sel:BYTE_0 src1_sel:DWORD
	s_mov_b64 s[4:5], 0
                                        ; implicit-def: $sgpr10
	s_and_saveexec_b64 s[8:9], s[6:7]
	s_xor_b64 s[6:7], exec, s[8:9]
	s_cbranch_execnz .LBB18_3209
; %bb.1161:
	s_or_saveexec_b64 s[6:7], s[6:7]
	v_mov_b32_e32 v10, s10
	s_xor_b64 exec, exec, s[6:7]
	s_cbranch_execnz .LBB18_3212
.LBB18_1162:
	s_or_b64 exec, exec, s[6:7]
	s_and_saveexec_b64 s[6:7], s[4:5]
	s_cbranch_execz .LBB18_1164
.LBB18_1163:
	v_bfe_u32 v10, v6, 8, 3
	v_ffbh_u32_e32 v13, v10
	v_min_u32_e32 v13, 32, v13
	v_lshrrev_b16_e32 v12, 3, v11
	v_subrev_u32_e32 v14, 28, v13
	v_and_b32_e32 v12, 15, v12
	v_lshlrev_b32_e32 v11, v14, v11
	v_sub_u32_e32 v13, 29, v13
	v_and_b32_e32 v11, 7, v11
	v_cmp_eq_u16_e32 vcc, 0, v12
	v_cndmask_b32_e32 v10, v10, v11, vcc
	v_cndmask_b32_e32 v11, v12, v13, vcc
	v_lshlrev_b32_e32 v12, 16, v6
	v_mov_b32_e32 v13, 0x3b800000
	v_lshlrev_b32_e32 v10, 20, v10
	v_and_b32_e32 v12, 0x80000000, v12
	v_lshl_add_u32 v11, v11, 23, v13
	v_or3_b32 v10, v12, v11, v10
.LBB18_1164:
	s_or_b64 exec, exec, s[6:7]
	v_lshrrev_b32_e32 v11, 8, v2
	s_movk_i32 s4, 0x7f
	v_cmp_gt_i16_sdwa s[6:7], v11, s4 src0_sel:BYTE_0 src1_sel:DWORD
	s_mov_b64 s[4:5], 0
                                        ; implicit-def: $sgpr10
	s_and_saveexec_b64 s[8:9], s[6:7]
	s_xor_b64 s[6:7], exec, s[8:9]
	s_cbranch_execnz .LBB18_3213
; %bb.1165:
	s_or_saveexec_b64 s[6:7], s[6:7]
	v_mov_b32_e32 v12, s10
	s_xor_b64 exec, exec, s[6:7]
	s_cbranch_execnz .LBB18_3216
.LBB18_1166:
	s_or_b64 exec, exec, s[6:7]
	s_and_saveexec_b64 s[6:7], s[4:5]
	s_cbranch_execz .LBB18_1168
.LBB18_1167:
	v_bfe_u32 v12, v2, 8, 3
	v_ffbh_u32_e32 v14, v12
	v_min_u32_e32 v14, 32, v14
	v_lshrrev_b16_e32 v13, 3, v11
	v_subrev_u32_e32 v15, 28, v14
	v_and_b32_e32 v13, 15, v13
	v_lshlrev_b32_e32 v11, v15, v11
	v_sub_u32_e32 v14, 29, v14
	v_and_b32_e32 v11, 7, v11
	v_cmp_eq_u16_e32 vcc, 0, v13
	v_cndmask_b32_e32 v11, v12, v11, vcc
	v_cndmask_b32_e32 v12, v13, v14, vcc
	v_lshlrev_b32_e32 v13, 16, v2
	v_mov_b32_e32 v14, 0x3b800000
	v_lshlrev_b32_e32 v11, 20, v11
	v_and_b32_e32 v13, 0x80000000, v13
	v_lshl_add_u32 v12, v12, 23, v14
	v_or3_b32 v12, v13, v12, v11
.LBB18_1168:
	s_or_b64 exec, exec, s[6:7]
	s_nop 0
	v_mfma_f32_16x16x4f32 a[0:3], v10, v12, a[0:3]
	s_movk_i32 s4, 0xff
	v_and_b32_sdwa v11, v6, s4 dst_sel:DWORD dst_unused:UNUSED_PAD src0_sel:WORD_1 src1_sel:DWORD
	s_movk_i32 s4, 0x7f
	v_cmp_lt_i16_e32 vcc, s4, v11
	s_mov_b64 s[4:5], 0
                                        ; implicit-def: $sgpr10
	s_and_saveexec_b64 s[6:7], vcc
	s_xor_b64 s[6:7], exec, s[6:7]
	s_cbranch_execnz .LBB18_3217
; %bb.1169:
	s_or_saveexec_b64 s[6:7], s[6:7]
	v_mov_b32_e32 v10, s10
	s_xor_b64 exec, exec, s[6:7]
	s_cbranch_execnz .LBB18_3220
.LBB18_1170:
	s_or_b64 exec, exec, s[6:7]
	s_and_saveexec_b64 s[6:7], s[4:5]
	s_cbranch_execz .LBB18_1172
.LBB18_1171:
	v_bfe_u32 v10, v6, 16, 3
	v_ffbh_u32_e32 v13, v10
	v_min_u32_e32 v13, 32, v13
	v_lshrrev_b32_e32 v11, 19, v6
	v_subrev_u32_e32 v14, 28, v13
	v_and_b32_e32 v11, 15, v11
	v_lshlrev_b32_sdwa v14, v14, v6 dst_sel:DWORD dst_unused:UNUSED_PAD src0_sel:DWORD src1_sel:WORD_1
	v_bfe_u32 v12, v6, 19, 4
	v_sub_u32_e32 v13, 29, v13
	v_and_b32_e32 v14, 7, v14
	v_cmp_eq_u16_e32 vcc, 0, v11
	v_cndmask_b32_e32 v10, v10, v14, vcc
	v_cndmask_b32_e32 v11, v12, v13, vcc
	v_lshlrev_b32_e32 v12, 8, v6
	v_mov_b32_e32 v13, 0x3b800000
	v_lshlrev_b32_e32 v10, 20, v10
	v_and_b32_e32 v12, 0x80000000, v12
	v_lshl_add_u32 v11, v11, 23, v13
	v_or3_b32 v10, v12, v11, v10
.LBB18_1172:
	s_or_b64 exec, exec, s[6:7]
	s_movk_i32 s4, 0xff
	v_and_b32_sdwa v11, v2, s4 dst_sel:DWORD dst_unused:UNUSED_PAD src0_sel:WORD_1 src1_sel:DWORD
	s_movk_i32 s4, 0x7f
	v_cmp_lt_i16_e32 vcc, s4, v11
	s_mov_b64 s[4:5], 0
                                        ; implicit-def: $sgpr10
	s_and_saveexec_b64 s[6:7], vcc
	s_xor_b64 s[6:7], exec, s[6:7]
	s_cbranch_execnz .LBB18_3221
; %bb.1173:
	s_or_saveexec_b64 s[6:7], s[6:7]
	v_mov_b32_e32 v12, s10
	s_xor_b64 exec, exec, s[6:7]
	s_cbranch_execnz .LBB18_3224
.LBB18_1174:
	s_or_b64 exec, exec, s[6:7]
	s_and_saveexec_b64 s[6:7], s[4:5]
	s_cbranch_execz .LBB18_1176
.LBB18_1175:
	v_bfe_u32 v11, v2, 16, 3
	v_ffbh_u32_e32 v14, v11
	v_min_u32_e32 v14, 32, v14
	v_lshrrev_b32_e32 v12, 19, v2
	v_subrev_u32_e32 v15, 28, v14
	v_and_b32_e32 v12, 15, v12
	v_lshlrev_b32_sdwa v15, v15, v2 dst_sel:DWORD dst_unused:UNUSED_PAD src0_sel:DWORD src1_sel:WORD_1
	v_bfe_u32 v13, v2, 19, 4
	v_sub_u32_e32 v14, 29, v14
	v_and_b32_e32 v15, 7, v15
	v_cmp_eq_u16_e32 vcc, 0, v12
	v_cndmask_b32_e32 v11, v11, v15, vcc
	v_cndmask_b32_e32 v12, v13, v14, vcc
	v_lshlrev_b32_e32 v13, 8, v2
	v_mov_b32_e32 v14, 0x3b800000
	v_lshlrev_b32_e32 v11, 20, v11
	v_and_b32_e32 v13, 0x80000000, v13
	v_lshl_add_u32 v12, v12, 23, v14
	v_or3_b32 v12, v13, v12, v11
.LBB18_1176:
	s_or_b64 exec, exec, s[6:7]
	s_nop 0
	v_mfma_f32_16x16x4f32 a[0:3], v10, v12, a[0:3]
	s_movk_i32 s4, 0x7f
	v_cmp_gt_i16_sdwa s[6:7], v6, s4 src0_sel:BYTE_3 src1_sel:DWORD
	s_mov_b64 s[4:5], 0
                                        ; implicit-def: $sgpr10
	s_and_saveexec_b64 s[8:9], s[6:7]
	s_xor_b64 s[6:7], exec, s[8:9]
	s_cbranch_execnz .LBB18_3225
; %bb.1177:
	s_or_saveexec_b64 s[6:7], s[6:7]
	v_mov_b32_e32 v10, s10
	s_xor_b64 exec, exec, s[6:7]
	s_cbranch_execnz .LBB18_3228
.LBB18_1178:
	s_or_b64 exec, exec, s[6:7]
	s_and_saveexec_b64 s[6:7], s[4:5]
	s_cbranch_execz .LBB18_1180
.LBB18_1179:
	v_bfe_u32 v10, v6, 24, 3
	v_ffbh_u32_e32 v14, v10
	v_min_u32_e32 v14, 32, v14
	v_lshrrev_b32_e32 v12, 27, v6
	v_subrev_u32_e32 v15, 28, v14
	v_and_b32_e32 v11, 0x80000000, v6
	v_and_b32_e32 v12, 15, v12
	v_bfe_u32 v13, v6, 27, 4
	v_lshlrev_b32_sdwa v6, v15, v6 dst_sel:DWORD dst_unused:UNUSED_PAD src0_sel:DWORD src1_sel:BYTE_3
	v_sub_u32_e32 v14, 29, v14
	v_and_b32_e32 v6, 7, v6
	v_cmp_eq_u16_e32 vcc, 0, v12
	v_cndmask_b32_e32 v6, v10, v6, vcc
	v_cndmask_b32_e32 v10, v13, v14, vcc
	v_mov_b32_e32 v12, 0x3b800000
	v_lshlrev_b32_e32 v6, 20, v6
	v_lshl_add_u32 v10, v10, 23, v12
	v_or3_b32 v10, v11, v10, v6
.LBB18_1180:
	s_or_b64 exec, exec, s[6:7]
	s_movk_i32 s4, 0x7f
	v_cmp_gt_i16_sdwa s[6:7], v2, s4 src0_sel:BYTE_3 src1_sel:DWORD
	s_mov_b64 s[4:5], 0
                                        ; implicit-def: $sgpr10
	s_and_saveexec_b64 s[8:9], s[6:7]
	s_xor_b64 s[6:7], exec, s[8:9]
	s_cbranch_execnz .LBB18_3229
; %bb.1181:
	s_or_saveexec_b64 s[6:7], s[6:7]
	v_mov_b32_e32 v6, s10
	s_xor_b64 exec, exec, s[6:7]
	s_cbranch_execnz .LBB18_3232
.LBB18_1182:
	s_or_b64 exec, exec, s[6:7]
	s_and_saveexec_b64 s[6:7], s[4:5]
	s_cbranch_execz .LBB18_1184
.LBB18_1183:
	v_bfe_u32 v6, v2, 24, 3
	v_ffbh_u32_e32 v14, v6
	v_min_u32_e32 v14, 32, v14
	v_lshrrev_b32_e32 v12, 27, v2
	v_subrev_u32_e32 v15, 28, v14
	v_and_b32_e32 v11, 0x80000000, v2
	v_and_b32_e32 v12, 15, v12
	v_bfe_u32 v13, v2, 27, 4
	v_lshlrev_b32_sdwa v2, v15, v2 dst_sel:DWORD dst_unused:UNUSED_PAD src0_sel:DWORD src1_sel:BYTE_3
	v_sub_u32_e32 v14, 29, v14
	v_and_b32_e32 v2, 7, v2
	v_cmp_eq_u16_e32 vcc, 0, v12
	v_cndmask_b32_e32 v2, v6, v2, vcc
	v_cndmask_b32_e32 v6, v13, v14, vcc
	v_mov_b32_e32 v12, 0x3b800000
	v_lshlrev_b32_e32 v2, 20, v2
	v_lshl_add_u32 v6, v6, 23, v12
	v_or3_b32 v6, v11, v6, v2
.LBB18_1184:
	s_or_b64 exec, exec, s[6:7]
	s_nop 0
	v_mfma_f32_16x16x4f32 a[0:3], v10, v6, a[0:3]
	s_movk_i32 s4, 0x7f
	v_cmp_gt_i16_sdwa s[6:7], v7, s4 src0_sel:BYTE_0 src1_sel:DWORD
	s_mov_b64 s[4:5], 0
                                        ; implicit-def: $sgpr10
	s_and_saveexec_b64 s[8:9], s[6:7]
	s_xor_b64 s[6:7], exec, s[8:9]
	s_cbranch_execnz .LBB18_3233
; %bb.1185:
	s_or_saveexec_b64 s[6:7], s[6:7]
	v_mov_b32_e32 v2, s10
	s_xor_b64 exec, exec, s[6:7]
	s_cbranch_execnz .LBB18_3236
.LBB18_1186:
	s_or_b64 exec, exec, s[6:7]
	s_and_saveexec_b64 s[6:7], s[4:5]
	s_cbranch_execz .LBB18_1188
.LBB18_1187:
	v_and_b32_e32 v2, 7, v7
	v_ffbh_u32_e32 v10, v2
	v_min_u32_e32 v10, 32, v10
	v_lshrrev_b16_e32 v6, 3, v7
	v_subrev_u32_e32 v11, 28, v10
	v_and_b32_e32 v6, 15, v6
	v_lshlrev_b32_e32 v11, v11, v7
	v_sub_u32_e32 v10, 29, v10
	v_and_b32_e32 v11, 7, v11
	v_cmp_eq_u16_e32 vcc, 0, v6
	v_cndmask_b32_e32 v2, v2, v11, vcc
	v_cndmask_b32_e32 v6, v6, v10, vcc
	v_lshlrev_b32_e32 v10, 24, v7
	v_mov_b32_e32 v11, 0x3b800000
	v_lshlrev_b32_e32 v2, 20, v2
	v_and_b32_e32 v10, 0x80000000, v10
	v_lshl_add_u32 v6, v6, 23, v11
	v_or3_b32 v2, v10, v6, v2
.LBB18_1188:
	s_or_b64 exec, exec, s[6:7]
	s_movk_i32 s4, 0x7f
	v_cmp_gt_i16_sdwa s[6:7], v3, s4 src0_sel:BYTE_0 src1_sel:DWORD
	s_mov_b64 s[4:5], 0
                                        ; implicit-def: $sgpr10
	s_and_saveexec_b64 s[8:9], s[6:7]
	s_xor_b64 s[6:7], exec, s[8:9]
	s_cbranch_execnz .LBB18_3237
; %bb.1189:
	s_or_saveexec_b64 s[6:7], s[6:7]
	v_mov_b32_e32 v6, s10
	s_xor_b64 exec, exec, s[6:7]
	s_cbranch_execnz .LBB18_3240
.LBB18_1190:
	s_or_b64 exec, exec, s[6:7]
	s_and_saveexec_b64 s[6:7], s[4:5]
	s_cbranch_execz .LBB18_1192
.LBB18_1191:
	v_and_b32_e32 v6, 7, v3
	v_ffbh_u32_e32 v11, v6
	v_min_u32_e32 v11, 32, v11
	v_lshrrev_b16_e32 v10, 3, v3
	v_subrev_u32_e32 v12, 28, v11
	v_and_b32_e32 v10, 15, v10
	v_lshlrev_b32_e32 v12, v12, v3
	v_sub_u32_e32 v11, 29, v11
	v_and_b32_e32 v12, 7, v12
	v_cmp_eq_u16_e32 vcc, 0, v10
	v_cndmask_b32_e32 v6, v6, v12, vcc
	v_cndmask_b32_e32 v10, v10, v11, vcc
	v_lshlrev_b32_e32 v11, 24, v3
	v_mov_b32_e32 v12, 0x3b800000
	v_lshlrev_b32_e32 v6, 20, v6
	v_and_b32_e32 v11, 0x80000000, v11
	v_lshl_add_u32 v10, v10, 23, v12
	v_or3_b32 v6, v11, v10, v6
.LBB18_1192:
	s_or_b64 exec, exec, s[6:7]
	s_nop 0
	v_mfma_f32_16x16x4f32 a[0:3], v2, v6, a[0:3]
	v_lshrrev_b32_e32 v6, 8, v7
	s_movk_i32 s4, 0x7f
	v_cmp_gt_i16_sdwa s[6:7], v6, s4 src0_sel:BYTE_0 src1_sel:DWORD
	s_mov_b64 s[4:5], 0
                                        ; implicit-def: $sgpr10
	s_and_saveexec_b64 s[8:9], s[6:7]
	s_xor_b64 s[6:7], exec, s[8:9]
	s_cbranch_execnz .LBB18_3241
; %bb.1193:
	s_or_saveexec_b64 s[6:7], s[6:7]
	v_mov_b32_e32 v2, s10
	s_xor_b64 exec, exec, s[6:7]
	s_cbranch_execnz .LBB18_3244
.LBB18_1194:
	s_or_b64 exec, exec, s[6:7]
	s_and_saveexec_b64 s[6:7], s[4:5]
	s_cbranch_execz .LBB18_1196
.LBB18_1195:
	v_bfe_u32 v2, v7, 8, 3
	v_ffbh_u32_e32 v11, v2
	v_min_u32_e32 v11, 32, v11
	v_lshrrev_b16_e32 v10, 3, v6
	v_subrev_u32_e32 v12, 28, v11
	v_and_b32_e32 v10, 15, v10
	v_lshlrev_b32_e32 v6, v12, v6
	v_sub_u32_e32 v11, 29, v11
	v_and_b32_e32 v6, 7, v6
	v_cmp_eq_u16_e32 vcc, 0, v10
	v_cndmask_b32_e32 v2, v2, v6, vcc
	v_cndmask_b32_e32 v6, v10, v11, vcc
	v_lshlrev_b32_e32 v10, 16, v7
	v_mov_b32_e32 v11, 0x3b800000
	v_lshlrev_b32_e32 v2, 20, v2
	v_and_b32_e32 v10, 0x80000000, v10
	v_lshl_add_u32 v6, v6, 23, v11
	v_or3_b32 v2, v10, v6, v2
.LBB18_1196:
	s_or_b64 exec, exec, s[6:7]
	v_lshrrev_b32_e32 v6, 8, v3
	s_movk_i32 s4, 0x7f
	v_cmp_gt_i16_sdwa s[6:7], v6, s4 src0_sel:BYTE_0 src1_sel:DWORD
	s_mov_b64 s[4:5], 0
                                        ; implicit-def: $sgpr10
	s_and_saveexec_b64 s[8:9], s[6:7]
	s_xor_b64 s[6:7], exec, s[8:9]
	s_cbranch_execnz .LBB18_3245
; %bb.1197:
	s_or_saveexec_b64 s[6:7], s[6:7]
	v_mov_b32_e32 v10, s10
	s_xor_b64 exec, exec, s[6:7]
	s_cbranch_execnz .LBB18_3248
.LBB18_1198:
	s_or_b64 exec, exec, s[6:7]
	s_and_saveexec_b64 s[6:7], s[4:5]
	s_cbranch_execz .LBB18_1200
.LBB18_1199:
	v_bfe_u32 v10, v3, 8, 3
	v_ffbh_u32_e32 v12, v10
	v_min_u32_e32 v12, 32, v12
	v_lshrrev_b16_e32 v11, 3, v6
	v_subrev_u32_e32 v13, 28, v12
	v_and_b32_e32 v11, 15, v11
	v_lshlrev_b32_e32 v6, v13, v6
	v_sub_u32_e32 v12, 29, v12
	v_and_b32_e32 v6, 7, v6
	v_cmp_eq_u16_e32 vcc, 0, v11
	v_cndmask_b32_e32 v6, v10, v6, vcc
	v_cndmask_b32_e32 v10, v11, v12, vcc
	v_lshlrev_b32_e32 v11, 16, v3
	v_mov_b32_e32 v12, 0x3b800000
	v_lshlrev_b32_e32 v6, 20, v6
	v_and_b32_e32 v11, 0x80000000, v11
	v_lshl_add_u32 v10, v10, 23, v12
	v_or3_b32 v10, v11, v10, v6
.LBB18_1200:
	s_or_b64 exec, exec, s[6:7]
	s_nop 0
	v_mfma_f32_16x16x4f32 a[0:3], v2, v10, a[0:3]
	s_movk_i32 s4, 0xff
	v_and_b32_sdwa v6, v7, s4 dst_sel:DWORD dst_unused:UNUSED_PAD src0_sel:WORD_1 src1_sel:DWORD
	s_movk_i32 s4, 0x7f
	v_cmp_lt_i16_e32 vcc, s4, v6
	s_mov_b64 s[4:5], 0
                                        ; implicit-def: $sgpr10
	s_and_saveexec_b64 s[6:7], vcc
	s_xor_b64 s[6:7], exec, s[6:7]
	s_cbranch_execnz .LBB18_3249
; %bb.1201:
	s_or_saveexec_b64 s[6:7], s[6:7]
	v_mov_b32_e32 v2, s10
	s_xor_b64 exec, exec, s[6:7]
	s_cbranch_execnz .LBB18_3252
.LBB18_1202:
	s_or_b64 exec, exec, s[6:7]
	s_and_saveexec_b64 s[6:7], s[4:5]
	s_cbranch_execz .LBB18_1204
.LBB18_1203:
	v_bfe_u32 v2, v7, 16, 3
	v_ffbh_u32_e32 v11, v2
	v_min_u32_e32 v11, 32, v11
	v_lshrrev_b32_e32 v6, 19, v7
	v_subrev_u32_e32 v12, 28, v11
	v_and_b32_e32 v6, 15, v6
	v_lshlrev_b32_sdwa v12, v12, v7 dst_sel:DWORD dst_unused:UNUSED_PAD src0_sel:DWORD src1_sel:WORD_1
	v_bfe_u32 v10, v7, 19, 4
	v_sub_u32_e32 v11, 29, v11
	v_and_b32_e32 v12, 7, v12
	v_cmp_eq_u16_e32 vcc, 0, v6
	v_cndmask_b32_e32 v2, v2, v12, vcc
	v_cndmask_b32_e32 v6, v10, v11, vcc
	v_lshlrev_b32_e32 v10, 8, v7
	v_mov_b32_e32 v11, 0x3b800000
	v_lshlrev_b32_e32 v2, 20, v2
	v_and_b32_e32 v10, 0x80000000, v10
	v_lshl_add_u32 v6, v6, 23, v11
	v_or3_b32 v2, v10, v6, v2
.LBB18_1204:
	s_or_b64 exec, exec, s[6:7]
	s_movk_i32 s4, 0xff
	v_and_b32_sdwa v6, v3, s4 dst_sel:DWORD dst_unused:UNUSED_PAD src0_sel:WORD_1 src1_sel:DWORD
	s_movk_i32 s4, 0x7f
	v_cmp_lt_i16_e32 vcc, s4, v6
	s_mov_b64 s[4:5], 0
                                        ; implicit-def: $sgpr10
	s_and_saveexec_b64 s[6:7], vcc
	s_xor_b64 s[6:7], exec, s[6:7]
	s_cbranch_execnz .LBB18_3253
; %bb.1205:
	s_or_saveexec_b64 s[6:7], s[6:7]
	v_mov_b32_e32 v10, s10
	s_xor_b64 exec, exec, s[6:7]
	s_cbranch_execnz .LBB18_3256
.LBB18_1206:
	s_or_b64 exec, exec, s[6:7]
	s_and_saveexec_b64 s[6:7], s[4:5]
	s_cbranch_execz .LBB18_1208
.LBB18_1207:
	v_bfe_u32 v6, v3, 16, 3
	v_ffbh_u32_e32 v12, v6
	v_min_u32_e32 v12, 32, v12
	v_lshrrev_b32_e32 v10, 19, v3
	v_subrev_u32_e32 v13, 28, v12
	v_and_b32_e32 v10, 15, v10
	v_lshlrev_b32_sdwa v13, v13, v3 dst_sel:DWORD dst_unused:UNUSED_PAD src0_sel:DWORD src1_sel:WORD_1
	v_bfe_u32 v11, v3, 19, 4
	v_sub_u32_e32 v12, 29, v12
	v_and_b32_e32 v13, 7, v13
	v_cmp_eq_u16_e32 vcc, 0, v10
	v_cndmask_b32_e32 v6, v6, v13, vcc
	v_cndmask_b32_e32 v10, v11, v12, vcc
	v_lshlrev_b32_e32 v11, 8, v3
	v_mov_b32_e32 v12, 0x3b800000
	v_lshlrev_b32_e32 v6, 20, v6
	v_and_b32_e32 v11, 0x80000000, v11
	v_lshl_add_u32 v10, v10, 23, v12
	v_or3_b32 v10, v11, v10, v6
.LBB18_1208:
	s_or_b64 exec, exec, s[6:7]
	s_nop 0
	v_mfma_f32_16x16x4f32 a[0:3], v2, v10, a[0:3]
	s_movk_i32 s4, 0x7f
	v_cmp_gt_i16_sdwa s[6:7], v7, s4 src0_sel:BYTE_3 src1_sel:DWORD
	s_mov_b64 s[4:5], 0
                                        ; implicit-def: $sgpr10
	s_and_saveexec_b64 s[8:9], s[6:7]
	s_xor_b64 s[6:7], exec, s[8:9]
	s_cbranch_execnz .LBB18_3257
; %bb.1209:
	s_or_saveexec_b64 s[6:7], s[6:7]
	v_mov_b32_e32 v2, s10
	s_xor_b64 exec, exec, s[6:7]
	s_cbranch_execnz .LBB18_3260
.LBB18_1210:
	s_or_b64 exec, exec, s[6:7]
	s_and_saveexec_b64 s[6:7], s[4:5]
	s_cbranch_execz .LBB18_1212
.LBB18_1211:
	v_bfe_u32 v2, v7, 24, 3
	v_ffbh_u32_e32 v12, v2
	v_min_u32_e32 v12, 32, v12
	v_lshrrev_b32_e32 v10, 27, v7
	v_subrev_u32_e32 v13, 28, v12
	v_and_b32_e32 v6, 0x80000000, v7
	v_and_b32_e32 v10, 15, v10
	v_bfe_u32 v11, v7, 27, 4
	v_lshlrev_b32_sdwa v7, v13, v7 dst_sel:DWORD dst_unused:UNUSED_PAD src0_sel:DWORD src1_sel:BYTE_3
	v_sub_u32_e32 v12, 29, v12
	v_and_b32_e32 v7, 7, v7
	v_cmp_eq_u16_e32 vcc, 0, v10
	v_cndmask_b32_e32 v2, v2, v7, vcc
	v_cndmask_b32_e32 v7, v11, v12, vcc
	v_mov_b32_e32 v10, 0x3b800000
	v_lshlrev_b32_e32 v2, 20, v2
	v_lshl_add_u32 v7, v7, 23, v10
	v_or3_b32 v2, v6, v7, v2
.LBB18_1212:
	s_or_b64 exec, exec, s[6:7]
	s_movk_i32 s4, 0x7f
	v_cmp_gt_i16_sdwa s[6:7], v3, s4 src0_sel:BYTE_3 src1_sel:DWORD
	s_mov_b64 s[4:5], 0
                                        ; implicit-def: $sgpr10
	s_and_saveexec_b64 s[8:9], s[6:7]
	s_xor_b64 s[6:7], exec, s[8:9]
	s_cbranch_execnz .LBB18_3261
; %bb.1213:
	s_or_saveexec_b64 s[6:7], s[6:7]
	v_mov_b32_e32 v6, s10
	s_xor_b64 exec, exec, s[6:7]
	s_cbranch_execnz .LBB18_3264
.LBB18_1214:
	s_or_b64 exec, exec, s[6:7]
	s_and_saveexec_b64 s[6:7], s[4:5]
	s_cbranch_execz .LBB18_1216
.LBB18_1215:
	v_bfe_u32 v6, v3, 24, 3
	v_ffbh_u32_e32 v12, v6
	v_min_u32_e32 v12, 32, v12
	v_lshrrev_b32_e32 v10, 27, v3
	v_subrev_u32_e32 v13, 28, v12
	v_and_b32_e32 v7, 0x80000000, v3
	v_and_b32_e32 v10, 15, v10
	v_bfe_u32 v11, v3, 27, 4
	v_lshlrev_b32_sdwa v3, v13, v3 dst_sel:DWORD dst_unused:UNUSED_PAD src0_sel:DWORD src1_sel:BYTE_3
	v_sub_u32_e32 v12, 29, v12
	v_and_b32_e32 v3, 7, v3
	v_cmp_eq_u16_e32 vcc, 0, v10
	v_cndmask_b32_e32 v3, v6, v3, vcc
	v_cndmask_b32_e32 v6, v11, v12, vcc
	v_mov_b32_e32 v10, 0x3b800000
	v_lshlrev_b32_e32 v3, 20, v3
	v_lshl_add_u32 v6, v6, 23, v10
	v_or3_b32 v6, v7, v6, v3
.LBB18_1216:
	s_or_b64 exec, exec, s[6:7]
	s_nop 0
	v_mfma_f32_16x16x4f32 a[0:3], v2, v6, a[0:3]
	s_movk_i32 s4, 0x7f
	v_cmp_gt_i16_sdwa s[6:7], v8, s4 src0_sel:BYTE_0 src1_sel:DWORD
	s_mov_b64 s[4:5], 0
                                        ; implicit-def: $sgpr10
	s_and_saveexec_b64 s[8:9], s[6:7]
	s_xor_b64 s[6:7], exec, s[8:9]
	s_cbranch_execnz .LBB18_3265
; %bb.1217:
	s_or_saveexec_b64 s[6:7], s[6:7]
	v_mov_b32_e32 v2, s10
	s_xor_b64 exec, exec, s[6:7]
	s_cbranch_execnz .LBB18_3268
.LBB18_1218:
	s_or_b64 exec, exec, s[6:7]
	s_and_saveexec_b64 s[6:7], s[4:5]
	s_cbranch_execz .LBB18_1220
.LBB18_1219:
	v_and_b32_e32 v2, 7, v8
	v_ffbh_u32_e32 v6, v2
	v_min_u32_e32 v6, 32, v6
	v_lshrrev_b16_e32 v3, 3, v8
	v_subrev_u32_e32 v7, 28, v6
	v_and_b32_e32 v3, 15, v3
	v_lshlrev_b32_e32 v7, v7, v8
	v_sub_u32_e32 v6, 29, v6
	v_and_b32_e32 v7, 7, v7
	v_cmp_eq_u16_e32 vcc, 0, v3
	v_cndmask_b32_e32 v2, v2, v7, vcc
	v_cndmask_b32_e32 v3, v3, v6, vcc
	v_lshlrev_b32_e32 v6, 24, v8
	v_mov_b32_e32 v7, 0x3b800000
	v_lshlrev_b32_e32 v2, 20, v2
	v_and_b32_e32 v6, 0x80000000, v6
	v_lshl_add_u32 v3, v3, 23, v7
	v_or3_b32 v2, v6, v3, v2
.LBB18_1220:
	s_or_b64 exec, exec, s[6:7]
	s_movk_i32 s4, 0x7f
	v_cmp_gt_i16_sdwa s[6:7], v4, s4 src0_sel:BYTE_0 src1_sel:DWORD
	s_mov_b64 s[4:5], 0
                                        ; implicit-def: $sgpr10
	s_and_saveexec_b64 s[8:9], s[6:7]
	s_xor_b64 s[6:7], exec, s[8:9]
	s_cbranch_execnz .LBB18_3269
; %bb.1221:
	s_or_saveexec_b64 s[6:7], s[6:7]
	v_mov_b32_e32 v3, s10
	s_xor_b64 exec, exec, s[6:7]
	s_cbranch_execnz .LBB18_3272
.LBB18_1222:
	s_or_b64 exec, exec, s[6:7]
	s_and_saveexec_b64 s[6:7], s[4:5]
	s_cbranch_execz .LBB18_1224
.LBB18_1223:
	v_and_b32_e32 v3, 7, v4
	v_ffbh_u32_e32 v7, v3
	v_min_u32_e32 v7, 32, v7
	v_lshrrev_b16_e32 v6, 3, v4
	v_subrev_u32_e32 v10, 28, v7
	v_and_b32_e32 v6, 15, v6
	v_lshlrev_b32_e32 v10, v10, v4
	v_sub_u32_e32 v7, 29, v7
	v_and_b32_e32 v10, 7, v10
	v_cmp_eq_u16_e32 vcc, 0, v6
	v_cndmask_b32_e32 v3, v3, v10, vcc
	v_cndmask_b32_e32 v6, v6, v7, vcc
	v_lshlrev_b32_e32 v7, 24, v4
	v_mov_b32_e32 v10, 0x3b800000
	v_lshlrev_b32_e32 v3, 20, v3
	v_and_b32_e32 v7, 0x80000000, v7
	v_lshl_add_u32 v6, v6, 23, v10
	v_or3_b32 v3, v7, v6, v3
.LBB18_1224:
	s_or_b64 exec, exec, s[6:7]
	s_nop 0
	v_mfma_f32_16x16x4f32 a[0:3], v2, v3, a[0:3]
	v_lshrrev_b32_e32 v3, 8, v8
	s_movk_i32 s4, 0x7f
	v_cmp_gt_i16_sdwa s[6:7], v3, s4 src0_sel:BYTE_0 src1_sel:DWORD
	s_mov_b64 s[4:5], 0
                                        ; implicit-def: $sgpr10
	s_and_saveexec_b64 s[8:9], s[6:7]
	s_xor_b64 s[6:7], exec, s[8:9]
	s_cbranch_execnz .LBB18_3273
; %bb.1225:
	s_or_saveexec_b64 s[6:7], s[6:7]
	v_mov_b32_e32 v2, s10
	s_xor_b64 exec, exec, s[6:7]
	s_cbranch_execnz .LBB18_3276
.LBB18_1226:
	s_or_b64 exec, exec, s[6:7]
	s_and_saveexec_b64 s[6:7], s[4:5]
	s_cbranch_execz .LBB18_1228
.LBB18_1227:
	v_bfe_u32 v2, v8, 8, 3
	v_ffbh_u32_e32 v7, v2
	v_min_u32_e32 v7, 32, v7
	v_lshrrev_b16_e32 v6, 3, v3
	v_subrev_u32_e32 v10, 28, v7
	v_and_b32_e32 v6, 15, v6
	v_lshlrev_b32_e32 v3, v10, v3
	v_sub_u32_e32 v7, 29, v7
	v_and_b32_e32 v3, 7, v3
	v_cmp_eq_u16_e32 vcc, 0, v6
	v_cndmask_b32_e32 v2, v2, v3, vcc
	v_cndmask_b32_e32 v3, v6, v7, vcc
	v_lshlrev_b32_e32 v6, 16, v8
	v_mov_b32_e32 v7, 0x3b800000
	v_lshlrev_b32_e32 v2, 20, v2
	v_and_b32_e32 v6, 0x80000000, v6
	v_lshl_add_u32 v3, v3, 23, v7
	v_or3_b32 v2, v6, v3, v2
.LBB18_1228:
	s_or_b64 exec, exec, s[6:7]
	v_lshrrev_b32_e32 v3, 8, v4
	s_movk_i32 s4, 0x7f
	v_cmp_gt_i16_sdwa s[6:7], v3, s4 src0_sel:BYTE_0 src1_sel:DWORD
	s_mov_b64 s[4:5], 0
                                        ; implicit-def: $sgpr10
	s_and_saveexec_b64 s[8:9], s[6:7]
	s_xor_b64 s[6:7], exec, s[8:9]
	s_cbranch_execnz .LBB18_3277
; %bb.1229:
	s_or_saveexec_b64 s[6:7], s[6:7]
	v_mov_b32_e32 v6, s10
	s_xor_b64 exec, exec, s[6:7]
	s_cbranch_execnz .LBB18_3280
.LBB18_1230:
	s_or_b64 exec, exec, s[6:7]
	s_and_saveexec_b64 s[6:7], s[4:5]
	s_cbranch_execz .LBB18_1232
.LBB18_1231:
	v_bfe_u32 v6, v4, 8, 3
	v_ffbh_u32_e32 v10, v6
	v_min_u32_e32 v10, 32, v10
	v_lshrrev_b16_e32 v7, 3, v3
	v_subrev_u32_e32 v11, 28, v10
	v_and_b32_e32 v7, 15, v7
	v_lshlrev_b32_e32 v3, v11, v3
	v_sub_u32_e32 v10, 29, v10
	v_and_b32_e32 v3, 7, v3
	v_cmp_eq_u16_e32 vcc, 0, v7
	v_cndmask_b32_e32 v3, v6, v3, vcc
	v_cndmask_b32_e32 v6, v7, v10, vcc
	v_lshlrev_b32_e32 v7, 16, v4
	v_mov_b32_e32 v10, 0x3b800000
	v_lshlrev_b32_e32 v3, 20, v3
	v_and_b32_e32 v7, 0x80000000, v7
	v_lshl_add_u32 v6, v6, 23, v10
	v_or3_b32 v6, v7, v6, v3
.LBB18_1232:
	s_or_b64 exec, exec, s[6:7]
	s_nop 0
	v_mfma_f32_16x16x4f32 a[0:3], v2, v6, a[0:3]
	s_movk_i32 s4, 0xff
	v_and_b32_sdwa v3, v8, s4 dst_sel:DWORD dst_unused:UNUSED_PAD src0_sel:WORD_1 src1_sel:DWORD
	s_movk_i32 s4, 0x7f
	v_cmp_lt_i16_e32 vcc, s4, v3
	s_mov_b64 s[4:5], 0
                                        ; implicit-def: $sgpr10
	s_and_saveexec_b64 s[6:7], vcc
	s_xor_b64 s[6:7], exec, s[6:7]
	s_cbranch_execnz .LBB18_3281
; %bb.1233:
	s_or_saveexec_b64 s[6:7], s[6:7]
	v_mov_b32_e32 v2, s10
	s_xor_b64 exec, exec, s[6:7]
	s_cbranch_execnz .LBB18_3284
.LBB18_1234:
	s_or_b64 exec, exec, s[6:7]
	s_and_saveexec_b64 s[6:7], s[4:5]
	s_cbranch_execz .LBB18_1236
.LBB18_1235:
	v_bfe_u32 v2, v8, 16, 3
	v_ffbh_u32_e32 v7, v2
	v_min_u32_e32 v7, 32, v7
	v_lshrrev_b32_e32 v3, 19, v8
	v_subrev_u32_e32 v10, 28, v7
	v_and_b32_e32 v3, 15, v3
	v_lshlrev_b32_sdwa v10, v10, v8 dst_sel:DWORD dst_unused:UNUSED_PAD src0_sel:DWORD src1_sel:WORD_1
	v_bfe_u32 v6, v8, 19, 4
	v_sub_u32_e32 v7, 29, v7
	v_and_b32_e32 v10, 7, v10
	v_cmp_eq_u16_e32 vcc, 0, v3
	v_cndmask_b32_e32 v2, v2, v10, vcc
	v_cndmask_b32_e32 v3, v6, v7, vcc
	v_lshlrev_b32_e32 v6, 8, v8
	v_mov_b32_e32 v7, 0x3b800000
	v_lshlrev_b32_e32 v2, 20, v2
	v_and_b32_e32 v6, 0x80000000, v6
	v_lshl_add_u32 v3, v3, 23, v7
	v_or3_b32 v2, v6, v3, v2
.LBB18_1236:
	s_or_b64 exec, exec, s[6:7]
	s_movk_i32 s4, 0xff
	v_and_b32_sdwa v3, v4, s4 dst_sel:DWORD dst_unused:UNUSED_PAD src0_sel:WORD_1 src1_sel:DWORD
	s_movk_i32 s4, 0x7f
	v_cmp_lt_i16_e32 vcc, s4, v3
	s_mov_b64 s[4:5], 0
                                        ; implicit-def: $sgpr10
	s_and_saveexec_b64 s[6:7], vcc
	s_xor_b64 s[6:7], exec, s[6:7]
	s_cbranch_execnz .LBB18_3285
; %bb.1237:
	s_or_saveexec_b64 s[6:7], s[6:7]
	v_mov_b32_e32 v6, s10
	s_xor_b64 exec, exec, s[6:7]
	s_cbranch_execnz .LBB18_3288
.LBB18_1238:
	s_or_b64 exec, exec, s[6:7]
	s_and_saveexec_b64 s[6:7], s[4:5]
	s_cbranch_execz .LBB18_1240
.LBB18_1239:
	v_bfe_u32 v3, v4, 16, 3
	v_ffbh_u32_e32 v10, v3
	v_min_u32_e32 v10, 32, v10
	v_lshrrev_b32_e32 v6, 19, v4
	v_subrev_u32_e32 v11, 28, v10
	v_and_b32_e32 v6, 15, v6
	v_lshlrev_b32_sdwa v11, v11, v4 dst_sel:DWORD dst_unused:UNUSED_PAD src0_sel:DWORD src1_sel:WORD_1
	v_bfe_u32 v7, v4, 19, 4
	v_sub_u32_e32 v10, 29, v10
	v_and_b32_e32 v11, 7, v11
	v_cmp_eq_u16_e32 vcc, 0, v6
	v_cndmask_b32_e32 v3, v3, v11, vcc
	v_cndmask_b32_e32 v6, v7, v10, vcc
	v_lshlrev_b32_e32 v7, 8, v4
	v_mov_b32_e32 v10, 0x3b800000
	v_lshlrev_b32_e32 v3, 20, v3
	v_and_b32_e32 v7, 0x80000000, v7
	v_lshl_add_u32 v6, v6, 23, v10
	v_or3_b32 v6, v7, v6, v3
.LBB18_1240:
	s_or_b64 exec, exec, s[6:7]
	s_nop 0
	v_mfma_f32_16x16x4f32 a[0:3], v2, v6, a[0:3]
	s_movk_i32 s4, 0x7f
	v_cmp_gt_i16_sdwa s[6:7], v8, s4 src0_sel:BYTE_3 src1_sel:DWORD
	s_mov_b64 s[4:5], 0
                                        ; implicit-def: $sgpr10
	s_and_saveexec_b64 s[8:9], s[6:7]
	s_xor_b64 s[6:7], exec, s[8:9]
	s_cbranch_execnz .LBB18_3289
; %bb.1241:
	s_or_saveexec_b64 s[6:7], s[6:7]
	v_mov_b32_e32 v2, s10
	s_xor_b64 exec, exec, s[6:7]
	s_cbranch_execnz .LBB18_3292
.LBB18_1242:
	s_or_b64 exec, exec, s[6:7]
	s_and_saveexec_b64 s[6:7], s[4:5]
	s_cbranch_execz .LBB18_1244
.LBB18_1243:
	v_bfe_u32 v2, v8, 24, 3
	v_ffbh_u32_e32 v10, v2
	v_min_u32_e32 v10, 32, v10
	v_lshrrev_b32_e32 v6, 27, v8
	v_subrev_u32_e32 v11, 28, v10
	v_and_b32_e32 v3, 0x80000000, v8
	v_and_b32_e32 v6, 15, v6
	v_bfe_u32 v7, v8, 27, 4
	v_lshlrev_b32_sdwa v8, v11, v8 dst_sel:DWORD dst_unused:UNUSED_PAD src0_sel:DWORD src1_sel:BYTE_3
	v_sub_u32_e32 v10, 29, v10
	v_and_b32_e32 v8, 7, v8
	v_cmp_eq_u16_e32 vcc, 0, v6
	v_cndmask_b32_e32 v2, v2, v8, vcc
	v_cndmask_b32_e32 v6, v7, v10, vcc
	v_mov_b32_e32 v7, 0x3b800000
	v_lshlrev_b32_e32 v2, 20, v2
	v_lshl_add_u32 v6, v6, 23, v7
	v_or3_b32 v2, v3, v6, v2
.LBB18_1244:
	s_or_b64 exec, exec, s[6:7]
	s_movk_i32 s4, 0x7f
	v_cmp_gt_i16_sdwa s[6:7], v4, s4 src0_sel:BYTE_3 src1_sel:DWORD
	s_mov_b64 s[4:5], 0
                                        ; implicit-def: $sgpr10
	s_and_saveexec_b64 s[8:9], s[6:7]
	s_xor_b64 s[6:7], exec, s[8:9]
	s_cbranch_execnz .LBB18_3293
; %bb.1245:
	s_or_saveexec_b64 s[6:7], s[6:7]
	v_mov_b32_e32 v3, s10
	s_xor_b64 exec, exec, s[6:7]
	s_cbranch_execnz .LBB18_3296
.LBB18_1246:
	s_or_b64 exec, exec, s[6:7]
	s_and_saveexec_b64 s[6:7], s[4:5]
	s_cbranch_execz .LBB18_1248
.LBB18_1247:
	v_bfe_u32 v3, v4, 24, 3
	v_ffbh_u32_e32 v10, v3
	v_min_u32_e32 v10, 32, v10
	v_lshrrev_b32_e32 v7, 27, v4
	v_subrev_u32_e32 v11, 28, v10
	v_and_b32_e32 v6, 0x80000000, v4
	v_and_b32_e32 v7, 15, v7
	v_bfe_u32 v8, v4, 27, 4
	v_lshlrev_b32_sdwa v4, v11, v4 dst_sel:DWORD dst_unused:UNUSED_PAD src0_sel:DWORD src1_sel:BYTE_3
	v_sub_u32_e32 v10, 29, v10
	v_and_b32_e32 v4, 7, v4
	v_cmp_eq_u16_e32 vcc, 0, v7
	v_cndmask_b32_e32 v3, v3, v4, vcc
	v_cndmask_b32_e32 v4, v8, v10, vcc
	v_mov_b32_e32 v7, 0x3b800000
	v_lshlrev_b32_e32 v3, 20, v3
	v_lshl_add_u32 v4, v4, 23, v7
	v_or3_b32 v3, v6, v4, v3
.LBB18_1248:
	s_or_b64 exec, exec, s[6:7]
	s_nop 0
	v_mfma_f32_16x16x4f32 a[0:3], v2, v3, a[0:3]
	s_movk_i32 s4, 0x7f
	v_cmp_gt_i16_sdwa s[6:7], v9, s4 src0_sel:BYTE_0 src1_sel:DWORD
	s_mov_b64 s[4:5], 0
                                        ; implicit-def: $sgpr10
	s_and_saveexec_b64 s[8:9], s[6:7]
	s_xor_b64 s[6:7], exec, s[8:9]
	s_cbranch_execnz .LBB18_3297
; %bb.1249:
	s_or_saveexec_b64 s[6:7], s[6:7]
	v_mov_b32_e32 v2, s10
	s_xor_b64 exec, exec, s[6:7]
	s_cbranch_execnz .LBB18_3300
.LBB18_1250:
	s_or_b64 exec, exec, s[6:7]
	s_and_saveexec_b64 s[6:7], s[4:5]
	s_cbranch_execz .LBB18_1252
.LBB18_1251:
	v_mov_b32_e32 v2, 8
	v_and_b32_e32 v3, 7, v9
	v_lshrrev_b32_sdwa v2, v2, v9 dst_sel:BYTE_1 dst_unused:UNUSED_PAD src0_sel:DWORD src1_sel:DWORD
	v_ffbh_u32_e32 v4, v3
	v_or_b32_sdwa v2, v9, v2 dst_sel:DWORD dst_unused:UNUSED_PAD src0_sel:BYTE_0 src1_sel:DWORD
	v_min_u32_e32 v4, 32, v4
	v_lshrrev_b16_e32 v2, 3, v2
	v_subrev_u32_e32 v6, 28, v4
	v_and_b32_e32 v2, 15, v2
	v_lshlrev_b32_e32 v6, v6, v9
	v_sub_u32_e32 v4, 29, v4
	v_and_b32_e32 v6, 7, v6
	v_cmp_eq_u16_e32 vcc, 0, v2
	v_cndmask_b32_e32 v3, v3, v6, vcc
	v_cndmask_b32_e32 v2, v2, v4, vcc
	v_lshlrev_b32_e32 v4, 24, v9
	v_mov_b32_e32 v6, 0x3b800000
	v_lshlrev_b32_e32 v3, 20, v3
	v_and_b32_e32 v4, 0x80000000, v4
	v_lshl_add_u32 v2, v2, 23, v6
	v_or3_b32 v2, v4, v2, v3
.LBB18_1252:
	s_or_b64 exec, exec, s[6:7]
	s_movk_i32 s4, 0x7f
	v_cmp_gt_i16_sdwa s[6:7], v5, s4 src0_sel:BYTE_0 src1_sel:DWORD
	s_mov_b64 s[4:5], 0
                                        ; implicit-def: $sgpr10
	s_and_saveexec_b64 s[8:9], s[6:7]
	s_xor_b64 s[6:7], exec, s[8:9]
	s_cbranch_execnz .LBB18_3301
; %bb.1253:
	s_or_saveexec_b64 s[6:7], s[6:7]
	v_mov_b32_e32 v3, s10
	s_xor_b64 exec, exec, s[6:7]
	s_cbranch_execnz .LBB18_3304
.LBB18_1254:
	s_or_b64 exec, exec, s[6:7]
	s_and_saveexec_b64 s[6:7], s[4:5]
	s_cbranch_execz .LBB18_1256
.LBB18_1255:
	v_mov_b32_e32 v3, 8
	v_and_b32_e32 v4, 7, v5
	v_lshrrev_b32_sdwa v3, v3, v5 dst_sel:BYTE_1 dst_unused:UNUSED_PAD src0_sel:DWORD src1_sel:DWORD
	v_ffbh_u32_e32 v6, v4
	v_or_b32_sdwa v3, v5, v3 dst_sel:DWORD dst_unused:UNUSED_PAD src0_sel:BYTE_0 src1_sel:DWORD
	v_min_u32_e32 v6, 32, v6
	v_lshrrev_b16_e32 v3, 3, v3
	v_subrev_u32_e32 v7, 28, v6
	v_and_b32_e32 v3, 15, v3
	v_lshlrev_b32_e32 v7, v7, v5
	v_sub_u32_e32 v6, 29, v6
	v_and_b32_e32 v7, 7, v7
	v_cmp_eq_u16_e32 vcc, 0, v3
	v_cndmask_b32_e32 v4, v4, v7, vcc
	v_cndmask_b32_e32 v3, v3, v6, vcc
	v_lshlrev_b32_e32 v6, 24, v5
	v_mov_b32_e32 v7, 0x3b800000
	v_lshlrev_b32_e32 v4, 20, v4
	v_and_b32_e32 v6, 0x80000000, v6
	v_lshl_add_u32 v3, v3, 23, v7
	v_or3_b32 v3, v6, v3, v4
.LBB18_1256:
	s_or_b64 exec, exec, s[6:7]
	s_nop 0
	v_mfma_f32_16x16x4f32 a[0:3], v2, v3, a[0:3]
	v_lshrrev_b32_e32 v3, 8, v9
	s_movk_i32 s4, 0x7f
	v_cmp_gt_i16_sdwa s[6:7], v3, s4 src0_sel:BYTE_0 src1_sel:DWORD
	s_mov_b64 s[4:5], 0
                                        ; implicit-def: $sgpr10
	s_and_saveexec_b64 s[8:9], s[6:7]
	s_xor_b64 s[6:7], exec, s[8:9]
	s_cbranch_execnz .LBB18_3305
; %bb.1257:
	s_or_saveexec_b64 s[6:7], s[6:7]
	v_mov_b32_e32 v2, s10
	s_xor_b64 exec, exec, s[6:7]
	s_cbranch_execnz .LBB18_3308
.LBB18_1258:
	s_or_b64 exec, exec, s[6:7]
	s_and_saveexec_b64 s[6:7], s[4:5]
	s_cbranch_execz .LBB18_1260
.LBB18_1259:
	v_bfe_u32 v2, v9, 8, 3
	v_ffbh_u32_e32 v6, v2
	v_min_u32_e32 v6, 32, v6
	v_lshrrev_b16_e32 v4, 3, v3
	v_subrev_u32_e32 v7, 28, v6
	v_and_b32_e32 v4, 15, v4
	v_lshlrev_b32_e32 v3, v7, v3
	v_sub_u32_e32 v6, 29, v6
	v_and_b32_e32 v3, 7, v3
	v_cmp_eq_u16_e32 vcc, 0, v4
	v_cndmask_b32_e32 v2, v2, v3, vcc
	v_cndmask_b32_e32 v3, v4, v6, vcc
	v_lshlrev_b32_e32 v4, 16, v9
	v_mov_b32_e32 v6, 0x3b800000
	v_lshlrev_b32_e32 v2, 20, v2
	v_and_b32_e32 v4, 0x80000000, v4
	v_lshl_add_u32 v3, v3, 23, v6
	v_or3_b32 v2, v4, v3, v2
.LBB18_1260:
	s_or_b64 exec, exec, s[6:7]
	v_lshrrev_b32_e32 v3, 8, v5
	s_movk_i32 s4, 0x7f
	v_cmp_gt_i16_sdwa s[6:7], v3, s4 src0_sel:BYTE_0 src1_sel:DWORD
	s_mov_b64 s[4:5], 0
                                        ; implicit-def: $sgpr10
	s_and_saveexec_b64 s[8:9], s[6:7]
	s_xor_b64 s[6:7], exec, s[8:9]
	s_cbranch_execnz .LBB18_3309
; %bb.1261:
	s_or_saveexec_b64 s[6:7], s[6:7]
	v_mov_b32_e32 v4, s10
	s_xor_b64 exec, exec, s[6:7]
	s_cbranch_execnz .LBB18_3312
.LBB18_1262:
	s_or_b64 exec, exec, s[6:7]
	s_and_saveexec_b64 s[6:7], s[4:5]
	s_cbranch_execz .LBB18_1264
.LBB18_1263:
	v_bfe_u32 v4, v5, 8, 3
	v_ffbh_u32_e32 v7, v4
	v_min_u32_e32 v7, 32, v7
	v_lshrrev_b16_e32 v6, 3, v3
	v_subrev_u32_e32 v8, 28, v7
	v_and_b32_e32 v6, 15, v6
	v_lshlrev_b32_e32 v3, v8, v3
	v_sub_u32_e32 v7, 29, v7
	v_and_b32_e32 v3, 7, v3
	v_cmp_eq_u16_e32 vcc, 0, v6
	v_cndmask_b32_e32 v3, v4, v3, vcc
	v_cndmask_b32_e32 v4, v6, v7, vcc
	v_lshlrev_b32_e32 v6, 16, v5
	v_mov_b32_e32 v7, 0x3b800000
	v_lshlrev_b32_e32 v3, 20, v3
	v_and_b32_e32 v6, 0x80000000, v6
	v_lshl_add_u32 v4, v4, 23, v7
	v_or3_b32 v4, v6, v4, v3
.LBB18_1264:
	s_or_b64 exec, exec, s[6:7]
	s_nop 0
	v_mfma_f32_16x16x4f32 a[0:3], v2, v4, a[0:3]
	s_movk_i32 s4, 0xff
	v_and_b32_sdwa v3, v9, s4 dst_sel:DWORD dst_unused:UNUSED_PAD src0_sel:WORD_1 src1_sel:DWORD
	s_movk_i32 s4, 0x7f
	v_cmp_lt_i16_e32 vcc, s4, v3
	s_mov_b64 s[4:5], 0
                                        ; implicit-def: $sgpr10
	s_and_saveexec_b64 s[6:7], vcc
	s_xor_b64 s[6:7], exec, s[6:7]
	s_cbranch_execnz .LBB18_3313
; %bb.1265:
	s_or_saveexec_b64 s[6:7], s[6:7]
	v_mov_b32_e32 v2, s10
	s_xor_b64 exec, exec, s[6:7]
	s_cbranch_execnz .LBB18_3316
.LBB18_1266:
	s_or_b64 exec, exec, s[6:7]
	s_and_saveexec_b64 s[6:7], s[4:5]
	s_cbranch_execz .LBB18_1268
.LBB18_1267:
	v_bfe_u32 v2, v9, 16, 3
	v_ffbh_u32_e32 v6, v2
	v_min_u32_e32 v6, 32, v6
	v_lshrrev_b32_e32 v3, 19, v9
	v_subrev_u32_e32 v7, 28, v6
	v_and_b32_e32 v3, 15, v3
	v_lshlrev_b32_sdwa v7, v7, v9 dst_sel:DWORD dst_unused:UNUSED_PAD src0_sel:DWORD src1_sel:WORD_1
	v_bfe_u32 v4, v9, 19, 4
	v_sub_u32_e32 v6, 29, v6
	v_and_b32_e32 v7, 7, v7
	v_cmp_eq_u16_e32 vcc, 0, v3
	v_cndmask_b32_e32 v2, v2, v7, vcc
	v_cndmask_b32_e32 v3, v4, v6, vcc
	v_lshlrev_b32_e32 v4, 8, v9
	v_mov_b32_e32 v6, 0x3b800000
	v_lshlrev_b32_e32 v2, 20, v2
	v_and_b32_e32 v4, 0x80000000, v4
	v_lshl_add_u32 v3, v3, 23, v6
	v_or3_b32 v2, v4, v3, v2
.LBB18_1268:
	s_or_b64 exec, exec, s[6:7]
	s_movk_i32 s4, 0xff
	v_and_b32_sdwa v3, v5, s4 dst_sel:DWORD dst_unused:UNUSED_PAD src0_sel:WORD_1 src1_sel:DWORD
	s_movk_i32 s4, 0x7f
	v_cmp_lt_i16_e32 vcc, s4, v3
	s_mov_b64 s[4:5], 0
                                        ; implicit-def: $sgpr10
	s_and_saveexec_b64 s[6:7], vcc
	s_xor_b64 s[6:7], exec, s[6:7]
	s_cbranch_execnz .LBB18_3317
; %bb.1269:
	s_or_saveexec_b64 s[6:7], s[6:7]
	v_mov_b32_e32 v4, s10
	s_xor_b64 exec, exec, s[6:7]
	s_cbranch_execnz .LBB18_3320
.LBB18_1270:
	s_or_b64 exec, exec, s[6:7]
	s_and_saveexec_b64 s[6:7], s[4:5]
	s_cbranch_execz .LBB18_1272
.LBB18_1271:
	v_bfe_u32 v3, v5, 16, 3
	v_ffbh_u32_e32 v7, v3
	v_min_u32_e32 v7, 32, v7
	v_lshrrev_b32_e32 v4, 19, v5
	v_subrev_u32_e32 v8, 28, v7
	v_and_b32_e32 v4, 15, v4
	v_lshlrev_b32_sdwa v8, v8, v5 dst_sel:DWORD dst_unused:UNUSED_PAD src0_sel:DWORD src1_sel:WORD_1
	v_bfe_u32 v6, v5, 19, 4
	v_sub_u32_e32 v7, 29, v7
	v_and_b32_e32 v8, 7, v8
	v_cmp_eq_u16_e32 vcc, 0, v4
	v_cndmask_b32_e32 v3, v3, v8, vcc
	v_cndmask_b32_e32 v4, v6, v7, vcc
	v_lshlrev_b32_e32 v6, 8, v5
	v_mov_b32_e32 v7, 0x3b800000
	v_lshlrev_b32_e32 v3, 20, v3
	v_and_b32_e32 v6, 0x80000000, v6
	v_lshl_add_u32 v4, v4, 23, v7
	v_or3_b32 v4, v6, v4, v3
.LBB18_1272:
	s_or_b64 exec, exec, s[6:7]
	s_nop 0
	v_mfma_f32_16x16x4f32 a[0:3], v2, v4, a[0:3]
	s_movk_i32 s4, 0x7f
	v_cmp_gt_i16_sdwa s[6:7], v9, s4 src0_sel:BYTE_3 src1_sel:DWORD
	s_mov_b64 s[4:5], 0
                                        ; implicit-def: $sgpr10
	s_and_saveexec_b64 s[8:9], s[6:7]
	s_xor_b64 s[6:7], exec, s[8:9]
	s_cbranch_execnz .LBB18_3321
; %bb.1273:
	s_or_saveexec_b64 s[6:7], s[6:7]
	v_mov_b32_e32 v2, s10
	s_xor_b64 exec, exec, s[6:7]
	s_cbranch_execnz .LBB18_3324
.LBB18_1274:
	s_or_b64 exec, exec, s[6:7]
	s_and_saveexec_b64 s[6:7], s[4:5]
	s_cbranch_execz .LBB18_1276
.LBB18_1275:
	v_bfe_u32 v2, v9, 24, 3
	v_ffbh_u32_e32 v7, v2
	v_min_u32_e32 v7, 32, v7
	v_lshrrev_b32_e32 v4, 27, v9
	v_subrev_u32_e32 v8, 28, v7
	v_and_b32_e32 v4, 15, v4
	v_lshlrev_b32_sdwa v8, v8, v9 dst_sel:DWORD dst_unused:UNUSED_PAD src0_sel:DWORD src1_sel:BYTE_3
	v_bfe_u32 v6, v9, 27, 4
	v_sub_u32_e32 v7, 29, v7
	v_and_b32_e32 v8, 7, v8
	v_cmp_eq_u16_e32 vcc, 0, v4
	v_cndmask_b32_e32 v2, v2, v8, vcc
	v_cndmask_b32_e32 v4, v6, v7, vcc
	v_mov_b32_e32 v6, 0x3b800000
	v_and_b32_e32 v3, 0x80000000, v9
	v_lshlrev_b32_e32 v2, 20, v2
	v_lshl_add_u32 v4, v4, 23, v6
	v_or3_b32 v2, v3, v4, v2
.LBB18_1276:
	s_or_b64 exec, exec, s[6:7]
	s_movk_i32 s4, 0x7f
	v_cmp_gt_i16_sdwa s[6:7], v5, s4 src0_sel:BYTE_3 src1_sel:DWORD
	s_mov_b64 s[4:5], 0
                                        ; implicit-def: $sgpr10
	s_and_saveexec_b64 s[8:9], s[6:7]
	s_xor_b64 s[6:7], exec, s[8:9]
	s_cbranch_execnz .LBB18_3325
; %bb.1277:
	s_or_saveexec_b64 s[6:7], s[6:7]
	v_mov_b32_e32 v3, s10
	s_xor_b64 exec, exec, s[6:7]
	s_cbranch_execnz .LBB18_3328
.LBB18_1278:
	s_or_b64 exec, exec, s[6:7]
	s_and_saveexec_b64 s[6:7], s[4:5]
	s_cbranch_execz .LBB18_1280
.LBB18_1279:
	v_bfe_u32 v3, v5, 24, 3
	v_ffbh_u32_e32 v8, v3
	v_min_u32_e32 v8, 32, v8
	v_lshrrev_b32_e32 v6, 27, v5
	v_subrev_u32_e32 v9, 28, v8
	v_and_b32_e32 v4, 0x80000000, v5
	v_and_b32_e32 v6, 15, v6
	v_bfe_u32 v7, v5, 27, 4
	v_lshlrev_b32_sdwa v5, v9, v5 dst_sel:DWORD dst_unused:UNUSED_PAD src0_sel:DWORD src1_sel:BYTE_3
	v_sub_u32_e32 v8, 29, v8
	v_and_b32_e32 v5, 7, v5
	v_cmp_eq_u16_e32 vcc, 0, v6
	v_cndmask_b32_e32 v3, v3, v5, vcc
	v_cndmask_b32_e32 v5, v7, v8, vcc
	v_mov_b32_e32 v6, 0x3b800000
	v_lshlrev_b32_e32 v3, 20, v3
	v_lshl_add_u32 v5, v5, 23, v6
	v_or3_b32 v3, v4, v5, v3
.LBB18_1280:
	s_or_b64 exec, exec, s[6:7]
	s_nop 0
	v_mfma_f32_16x16x4f32 a[0:3], v2, v3, a[0:3]
	s_movk_i32 s4, 0x7f
                                        ; implicit-def: $sgpr10
	s_nop 7
	s_nop 1
	flat_store_dwordx4 v[18:19], a[0:3] offset:64
	flat_load_dwordx4 v[20:23], v[0:1] offset:8
	s_nop 0
	flat_load_dwordx2 v[18:19], v[0:1] offset:24
	s_waitcnt vmcnt(0) lgkmcnt(0)
	flat_load_dwordx4 v[14:17], v[20:21]
	flat_load_dwordx4 v[6:9], v[20:21] offset:16
	flat_load_dwordx4 v[10:13], v[22:23] offset:160
	;; [unrolled: 1-line block ×3, first 2 shown]
	s_waitcnt vmcnt(0) lgkmcnt(0)
	v_cmp_gt_i16_sdwa s[6:7], v14, s4 src0_sel:BYTE_0 src1_sel:DWORD
	s_mov_b64 s[4:5], 0
	s_and_saveexec_b64 s[8:9], s[6:7]
	s_xor_b64 s[6:7], exec, s[8:9]
	s_cbranch_execnz .LBB18_3329
; %bb.1281:
	s_or_saveexec_b64 s[6:7], s[6:7]
	v_mov_b32_e32 v20, s10
	s_xor_b64 exec, exec, s[6:7]
	s_cbranch_execnz .LBB18_3332
.LBB18_1282:
	s_or_b64 exec, exec, s[6:7]
	s_and_saveexec_b64 s[6:7], s[4:5]
	s_cbranch_execz .LBB18_1284
.LBB18_1283:
	v_and_b32_e32 v20, 7, v14
	v_ffbh_u32_e32 v22, v20
	v_min_u32_e32 v22, 32, v22
	v_lshrrev_b16_e32 v21, 3, v14
	v_subrev_u32_e32 v23, 28, v22
	v_and_b32_e32 v21, 15, v21
	v_lshlrev_b32_e32 v23, v23, v14
	v_sub_u32_e32 v22, 29, v22
	v_and_b32_e32 v23, 7, v23
	v_cmp_eq_u16_e32 vcc, 0, v21
	v_cndmask_b32_e32 v20, v20, v23, vcc
	v_cndmask_b32_e32 v21, v21, v22, vcc
	v_lshlrev_b32_e32 v22, 24, v14
	v_mov_b32_e32 v23, 0x3b800000
	v_lshlrev_b32_e32 v20, 20, v20
	v_and_b32_e32 v22, 0x80000000, v22
	v_lshl_add_u32 v21, v21, 23, v23
	v_or3_b32 v20, v22, v21, v20
.LBB18_1284:
	s_or_b64 exec, exec, s[6:7]
	s_movk_i32 s4, 0x7f
	v_cmp_gt_i16_sdwa s[6:7], v10, s4 src0_sel:BYTE_0 src1_sel:DWORD
	s_mov_b64 s[4:5], 0
                                        ; implicit-def: $sgpr10
	s_and_saveexec_b64 s[8:9], s[6:7]
	s_xor_b64 s[6:7], exec, s[8:9]
	s_cbranch_execnz .LBB18_3333
; %bb.1285:
	s_or_saveexec_b64 s[6:7], s[6:7]
	v_mov_b32_e32 v21, s10
	s_xor_b64 exec, exec, s[6:7]
	s_cbranch_execnz .LBB18_3336
.LBB18_1286:
	s_or_b64 exec, exec, s[6:7]
	s_and_saveexec_b64 s[6:7], s[4:5]
	s_cbranch_execz .LBB18_1288
.LBB18_1287:
	v_and_b32_e32 v21, 7, v10
	v_ffbh_u32_e32 v23, v21
	v_min_u32_e32 v23, 32, v23
	v_lshrrev_b16_e32 v22, 3, v10
	v_subrev_u32_e32 v24, 28, v23
	v_and_b32_e32 v22, 15, v22
	v_lshlrev_b32_e32 v24, v24, v10
	v_sub_u32_e32 v23, 29, v23
	v_and_b32_e32 v24, 7, v24
	v_cmp_eq_u16_e32 vcc, 0, v22
	v_cndmask_b32_e32 v21, v21, v24, vcc
	v_cndmask_b32_e32 v22, v22, v23, vcc
	v_lshlrev_b32_e32 v23, 24, v10
	v_mov_b32_e32 v24, 0x3b800000
	v_lshlrev_b32_e32 v21, 20, v21
	v_and_b32_e32 v23, 0x80000000, v23
	v_lshl_add_u32 v22, v22, 23, v24
	v_or3_b32 v21, v23, v22, v21
.LBB18_1288:
	s_or_b64 exec, exec, s[6:7]
	flat_load_dwordx4 a[0:3], v[18:19] offset:80
	s_movk_i32 s4, 0x7f
                                        ; implicit-def: $sgpr10
	s_waitcnt vmcnt(0) lgkmcnt(0)
	v_mfma_f32_16x16x4f32 a[0:3], v20, v21, a[0:3]
	v_lshrrev_b32_e32 v21, 8, v14
	v_cmp_gt_i16_sdwa s[6:7], v21, s4 src0_sel:BYTE_0 src1_sel:DWORD
	s_mov_b64 s[4:5], 0
	s_and_saveexec_b64 s[8:9], s[6:7]
	s_xor_b64 s[6:7], exec, s[8:9]
	s_cbranch_execnz .LBB18_3337
; %bb.1289:
	s_or_saveexec_b64 s[6:7], s[6:7]
	v_mov_b32_e32 v20, s10
	s_xor_b64 exec, exec, s[6:7]
	s_cbranch_execnz .LBB18_3340
.LBB18_1290:
	s_or_b64 exec, exec, s[6:7]
	s_and_saveexec_b64 s[6:7], s[4:5]
	s_cbranch_execz .LBB18_1292
.LBB18_1291:
	v_bfe_u32 v20, v14, 8, 3
	v_ffbh_u32_e32 v23, v20
	v_min_u32_e32 v23, 32, v23
	v_lshrrev_b16_e32 v22, 3, v21
	v_subrev_u32_e32 v24, 28, v23
	v_and_b32_e32 v22, 15, v22
	v_lshlrev_b32_e32 v21, v24, v21
	v_sub_u32_e32 v23, 29, v23
	v_and_b32_e32 v21, 7, v21
	v_cmp_eq_u16_e32 vcc, 0, v22
	v_cndmask_b32_e32 v20, v20, v21, vcc
	v_cndmask_b32_e32 v21, v22, v23, vcc
	v_lshlrev_b32_e32 v22, 16, v14
	v_mov_b32_e32 v23, 0x3b800000
	v_lshlrev_b32_e32 v20, 20, v20
	v_and_b32_e32 v22, 0x80000000, v22
	v_lshl_add_u32 v21, v21, 23, v23
	v_or3_b32 v20, v22, v21, v20
.LBB18_1292:
	s_or_b64 exec, exec, s[6:7]
	v_lshrrev_b32_e32 v21, 8, v10
	s_movk_i32 s4, 0x7f
	v_cmp_gt_i16_sdwa s[6:7], v21, s4 src0_sel:BYTE_0 src1_sel:DWORD
	s_mov_b64 s[4:5], 0
                                        ; implicit-def: $sgpr10
	s_and_saveexec_b64 s[8:9], s[6:7]
	s_xor_b64 s[6:7], exec, s[8:9]
	s_cbranch_execnz .LBB18_3341
; %bb.1293:
	s_or_saveexec_b64 s[6:7], s[6:7]
	v_mov_b32_e32 v22, s10
	s_xor_b64 exec, exec, s[6:7]
	s_cbranch_execnz .LBB18_3344
.LBB18_1294:
	s_or_b64 exec, exec, s[6:7]
	s_and_saveexec_b64 s[6:7], s[4:5]
	s_cbranch_execz .LBB18_1296
.LBB18_1295:
	v_bfe_u32 v22, v10, 8, 3
	v_ffbh_u32_e32 v24, v22
	v_min_u32_e32 v24, 32, v24
	v_lshrrev_b16_e32 v23, 3, v21
	v_subrev_u32_e32 v25, 28, v24
	v_and_b32_e32 v23, 15, v23
	v_lshlrev_b32_e32 v21, v25, v21
	v_sub_u32_e32 v24, 29, v24
	v_and_b32_e32 v21, 7, v21
	v_cmp_eq_u16_e32 vcc, 0, v23
	v_cndmask_b32_e32 v21, v22, v21, vcc
	v_cndmask_b32_e32 v22, v23, v24, vcc
	v_lshlrev_b32_e32 v23, 16, v10
	v_mov_b32_e32 v24, 0x3b800000
	v_lshlrev_b32_e32 v21, 20, v21
	v_and_b32_e32 v23, 0x80000000, v23
	v_lshl_add_u32 v22, v22, 23, v24
	v_or3_b32 v22, v23, v22, v21
.LBB18_1296:
	s_or_b64 exec, exec, s[6:7]
	s_nop 0
	v_mfma_f32_16x16x4f32 a[0:3], v20, v22, a[0:3]
	s_movk_i32 s4, 0xff
	v_and_b32_sdwa v21, v14, s4 dst_sel:DWORD dst_unused:UNUSED_PAD src0_sel:WORD_1 src1_sel:DWORD
	s_movk_i32 s4, 0x7f
	v_cmp_lt_i16_e32 vcc, s4, v21
	s_mov_b64 s[4:5], 0
                                        ; implicit-def: $sgpr10
	s_and_saveexec_b64 s[6:7], vcc
	s_xor_b64 s[6:7], exec, s[6:7]
	s_cbranch_execnz .LBB18_3345
; %bb.1297:
	s_or_saveexec_b64 s[6:7], s[6:7]
	v_mov_b32_e32 v20, s10
	s_xor_b64 exec, exec, s[6:7]
	s_cbranch_execnz .LBB18_3348
.LBB18_1298:
	s_or_b64 exec, exec, s[6:7]
	s_and_saveexec_b64 s[6:7], s[4:5]
	s_cbranch_execz .LBB18_1300
.LBB18_1299:
	v_bfe_u32 v20, v14, 16, 3
	v_ffbh_u32_e32 v23, v20
	v_min_u32_e32 v23, 32, v23
	v_lshrrev_b32_e32 v21, 19, v14
	v_subrev_u32_e32 v24, 28, v23
	v_and_b32_e32 v21, 15, v21
	v_lshlrev_b32_sdwa v24, v24, v14 dst_sel:DWORD dst_unused:UNUSED_PAD src0_sel:DWORD src1_sel:WORD_1
	v_bfe_u32 v22, v14, 19, 4
	v_sub_u32_e32 v23, 29, v23
	v_and_b32_e32 v24, 7, v24
	v_cmp_eq_u16_e32 vcc, 0, v21
	v_cndmask_b32_e32 v20, v20, v24, vcc
	v_cndmask_b32_e32 v21, v22, v23, vcc
	v_lshlrev_b32_e32 v22, 8, v14
	v_mov_b32_e32 v23, 0x3b800000
	v_lshlrev_b32_e32 v20, 20, v20
	v_and_b32_e32 v22, 0x80000000, v22
	v_lshl_add_u32 v21, v21, 23, v23
	v_or3_b32 v20, v22, v21, v20
.LBB18_1300:
	s_or_b64 exec, exec, s[6:7]
	s_movk_i32 s4, 0xff
	v_and_b32_sdwa v21, v10, s4 dst_sel:DWORD dst_unused:UNUSED_PAD src0_sel:WORD_1 src1_sel:DWORD
	s_movk_i32 s4, 0x7f
	v_cmp_lt_i16_e32 vcc, s4, v21
	s_mov_b64 s[4:5], 0
                                        ; implicit-def: $sgpr10
	s_and_saveexec_b64 s[6:7], vcc
	s_xor_b64 s[6:7], exec, s[6:7]
	s_cbranch_execnz .LBB18_3349
; %bb.1301:
	s_or_saveexec_b64 s[6:7], s[6:7]
	v_mov_b32_e32 v22, s10
	s_xor_b64 exec, exec, s[6:7]
	s_cbranch_execnz .LBB18_3352
.LBB18_1302:
	s_or_b64 exec, exec, s[6:7]
	s_and_saveexec_b64 s[6:7], s[4:5]
	s_cbranch_execz .LBB18_1304
.LBB18_1303:
	v_bfe_u32 v21, v10, 16, 3
	v_ffbh_u32_e32 v24, v21
	v_min_u32_e32 v24, 32, v24
	v_lshrrev_b32_e32 v22, 19, v10
	v_subrev_u32_e32 v25, 28, v24
	v_and_b32_e32 v22, 15, v22
	v_lshlrev_b32_sdwa v25, v25, v10 dst_sel:DWORD dst_unused:UNUSED_PAD src0_sel:DWORD src1_sel:WORD_1
	v_bfe_u32 v23, v10, 19, 4
	v_sub_u32_e32 v24, 29, v24
	v_and_b32_e32 v25, 7, v25
	v_cmp_eq_u16_e32 vcc, 0, v22
	v_cndmask_b32_e32 v21, v21, v25, vcc
	v_cndmask_b32_e32 v22, v23, v24, vcc
	v_lshlrev_b32_e32 v23, 8, v10
	v_mov_b32_e32 v24, 0x3b800000
	v_lshlrev_b32_e32 v21, 20, v21
	v_and_b32_e32 v23, 0x80000000, v23
	v_lshl_add_u32 v22, v22, 23, v24
	v_or3_b32 v22, v23, v22, v21
.LBB18_1304:
	s_or_b64 exec, exec, s[6:7]
	s_nop 0
	v_mfma_f32_16x16x4f32 a[0:3], v20, v22, a[0:3]
	s_movk_i32 s4, 0x7f
	v_cmp_gt_i16_sdwa s[6:7], v14, s4 src0_sel:BYTE_3 src1_sel:DWORD
	s_mov_b64 s[4:5], 0
                                        ; implicit-def: $sgpr10
	s_and_saveexec_b64 s[8:9], s[6:7]
	s_xor_b64 s[6:7], exec, s[8:9]
	s_cbranch_execnz .LBB18_3353
; %bb.1305:
	s_or_saveexec_b64 s[6:7], s[6:7]
	v_mov_b32_e32 v20, s10
	s_xor_b64 exec, exec, s[6:7]
	s_cbranch_execnz .LBB18_3356
.LBB18_1306:
	s_or_b64 exec, exec, s[6:7]
	s_and_saveexec_b64 s[6:7], s[4:5]
	s_cbranch_execz .LBB18_1308
.LBB18_1307:
	v_bfe_u32 v20, v14, 24, 3
	v_ffbh_u32_e32 v24, v20
	v_min_u32_e32 v24, 32, v24
	v_lshrrev_b32_e32 v22, 27, v14
	v_subrev_u32_e32 v25, 28, v24
	v_and_b32_e32 v21, 0x80000000, v14
	v_and_b32_e32 v22, 15, v22
	v_bfe_u32 v23, v14, 27, 4
	v_lshlrev_b32_sdwa v14, v25, v14 dst_sel:DWORD dst_unused:UNUSED_PAD src0_sel:DWORD src1_sel:BYTE_3
	v_sub_u32_e32 v24, 29, v24
	v_and_b32_e32 v14, 7, v14
	v_cmp_eq_u16_e32 vcc, 0, v22
	v_cndmask_b32_e32 v14, v20, v14, vcc
	v_cndmask_b32_e32 v20, v23, v24, vcc
	v_mov_b32_e32 v22, 0x3b800000
	v_lshlrev_b32_e32 v14, 20, v14
	v_lshl_add_u32 v20, v20, 23, v22
	v_or3_b32 v20, v21, v20, v14
.LBB18_1308:
	s_or_b64 exec, exec, s[6:7]
	s_movk_i32 s4, 0x7f
	v_cmp_gt_i16_sdwa s[6:7], v10, s4 src0_sel:BYTE_3 src1_sel:DWORD
	s_mov_b64 s[4:5], 0
                                        ; implicit-def: $sgpr10
	s_and_saveexec_b64 s[8:9], s[6:7]
	s_xor_b64 s[6:7], exec, s[8:9]
	s_cbranch_execnz .LBB18_3357
; %bb.1309:
	s_or_saveexec_b64 s[6:7], s[6:7]
	v_mov_b32_e32 v14, s10
	s_xor_b64 exec, exec, s[6:7]
	s_cbranch_execnz .LBB18_3360
.LBB18_1310:
	s_or_b64 exec, exec, s[6:7]
	s_and_saveexec_b64 s[6:7], s[4:5]
	s_cbranch_execz .LBB18_1312
.LBB18_1311:
	v_bfe_u32 v14, v10, 24, 3
	v_ffbh_u32_e32 v24, v14
	v_min_u32_e32 v24, 32, v24
	v_lshrrev_b32_e32 v22, 27, v10
	v_subrev_u32_e32 v25, 28, v24
	v_and_b32_e32 v21, 0x80000000, v10
	v_and_b32_e32 v22, 15, v22
	v_bfe_u32 v23, v10, 27, 4
	v_lshlrev_b32_sdwa v10, v25, v10 dst_sel:DWORD dst_unused:UNUSED_PAD src0_sel:DWORD src1_sel:BYTE_3
	v_sub_u32_e32 v24, 29, v24
	v_and_b32_e32 v10, 7, v10
	v_cmp_eq_u16_e32 vcc, 0, v22
	v_cndmask_b32_e32 v10, v14, v10, vcc
	v_cndmask_b32_e32 v14, v23, v24, vcc
	v_mov_b32_e32 v22, 0x3b800000
	v_lshlrev_b32_e32 v10, 20, v10
	v_lshl_add_u32 v14, v14, 23, v22
	v_or3_b32 v14, v21, v14, v10
.LBB18_1312:
	s_or_b64 exec, exec, s[6:7]
	s_nop 0
	v_mfma_f32_16x16x4f32 a[0:3], v20, v14, a[0:3]
	s_movk_i32 s4, 0x7f
	v_cmp_gt_i16_sdwa s[6:7], v15, s4 src0_sel:BYTE_0 src1_sel:DWORD
	s_mov_b64 s[4:5], 0
                                        ; implicit-def: $sgpr10
	s_and_saveexec_b64 s[8:9], s[6:7]
	s_xor_b64 s[6:7], exec, s[8:9]
	s_cbranch_execnz .LBB18_3361
; %bb.1313:
	s_or_saveexec_b64 s[6:7], s[6:7]
	v_mov_b32_e32 v10, s10
	s_xor_b64 exec, exec, s[6:7]
	s_cbranch_execnz .LBB18_3364
.LBB18_1314:
	s_or_b64 exec, exec, s[6:7]
	s_and_saveexec_b64 s[6:7], s[4:5]
	s_cbranch_execz .LBB18_1316
.LBB18_1315:
	v_and_b32_e32 v10, 7, v15
	v_ffbh_u32_e32 v20, v10
	v_min_u32_e32 v20, 32, v20
	v_lshrrev_b16_e32 v14, 3, v15
	v_subrev_u32_e32 v21, 28, v20
	v_and_b32_e32 v14, 15, v14
	v_lshlrev_b32_e32 v21, v21, v15
	v_sub_u32_e32 v20, 29, v20
	v_and_b32_e32 v21, 7, v21
	v_cmp_eq_u16_e32 vcc, 0, v14
	v_cndmask_b32_e32 v10, v10, v21, vcc
	v_cndmask_b32_e32 v14, v14, v20, vcc
	v_lshlrev_b32_e32 v20, 24, v15
	v_mov_b32_e32 v21, 0x3b800000
	v_lshlrev_b32_e32 v10, 20, v10
	v_and_b32_e32 v20, 0x80000000, v20
	v_lshl_add_u32 v14, v14, 23, v21
	v_or3_b32 v10, v20, v14, v10
.LBB18_1316:
	s_or_b64 exec, exec, s[6:7]
	s_movk_i32 s4, 0x7f
	v_cmp_gt_i16_sdwa s[6:7], v11, s4 src0_sel:BYTE_0 src1_sel:DWORD
	s_mov_b64 s[4:5], 0
                                        ; implicit-def: $sgpr10
	s_and_saveexec_b64 s[8:9], s[6:7]
	s_xor_b64 s[6:7], exec, s[8:9]
	s_cbranch_execnz .LBB18_3365
; %bb.1317:
	s_or_saveexec_b64 s[6:7], s[6:7]
	v_mov_b32_e32 v14, s10
	s_xor_b64 exec, exec, s[6:7]
	s_cbranch_execnz .LBB18_3368
.LBB18_1318:
	s_or_b64 exec, exec, s[6:7]
	s_and_saveexec_b64 s[6:7], s[4:5]
	s_cbranch_execz .LBB18_1320
.LBB18_1319:
	v_and_b32_e32 v14, 7, v11
	v_ffbh_u32_e32 v21, v14
	v_min_u32_e32 v21, 32, v21
	v_lshrrev_b16_e32 v20, 3, v11
	v_subrev_u32_e32 v22, 28, v21
	v_and_b32_e32 v20, 15, v20
	v_lshlrev_b32_e32 v22, v22, v11
	v_sub_u32_e32 v21, 29, v21
	v_and_b32_e32 v22, 7, v22
	v_cmp_eq_u16_e32 vcc, 0, v20
	v_cndmask_b32_e32 v14, v14, v22, vcc
	v_cndmask_b32_e32 v20, v20, v21, vcc
	v_lshlrev_b32_e32 v21, 24, v11
	v_mov_b32_e32 v22, 0x3b800000
	v_lshlrev_b32_e32 v14, 20, v14
	v_and_b32_e32 v21, 0x80000000, v21
	v_lshl_add_u32 v20, v20, 23, v22
	v_or3_b32 v14, v21, v20, v14
.LBB18_1320:
	s_or_b64 exec, exec, s[6:7]
	s_nop 0
	v_mfma_f32_16x16x4f32 a[0:3], v10, v14, a[0:3]
	v_lshrrev_b32_e32 v14, 8, v15
	s_movk_i32 s4, 0x7f
	v_cmp_gt_i16_sdwa s[6:7], v14, s4 src0_sel:BYTE_0 src1_sel:DWORD
	s_mov_b64 s[4:5], 0
                                        ; implicit-def: $sgpr10
	s_and_saveexec_b64 s[8:9], s[6:7]
	s_xor_b64 s[6:7], exec, s[8:9]
	s_cbranch_execnz .LBB18_3369
; %bb.1321:
	s_or_saveexec_b64 s[6:7], s[6:7]
	v_mov_b32_e32 v10, s10
	s_xor_b64 exec, exec, s[6:7]
	s_cbranch_execnz .LBB18_3372
.LBB18_1322:
	s_or_b64 exec, exec, s[6:7]
	s_and_saveexec_b64 s[6:7], s[4:5]
	s_cbranch_execz .LBB18_1324
.LBB18_1323:
	v_bfe_u32 v10, v15, 8, 3
	v_ffbh_u32_e32 v21, v10
	v_min_u32_e32 v21, 32, v21
	v_lshrrev_b16_e32 v20, 3, v14
	v_subrev_u32_e32 v22, 28, v21
	v_and_b32_e32 v20, 15, v20
	v_lshlrev_b32_e32 v14, v22, v14
	v_sub_u32_e32 v21, 29, v21
	v_and_b32_e32 v14, 7, v14
	v_cmp_eq_u16_e32 vcc, 0, v20
	v_cndmask_b32_e32 v10, v10, v14, vcc
	v_cndmask_b32_e32 v14, v20, v21, vcc
	v_lshlrev_b32_e32 v20, 16, v15
	v_mov_b32_e32 v21, 0x3b800000
	v_lshlrev_b32_e32 v10, 20, v10
	v_and_b32_e32 v20, 0x80000000, v20
	v_lshl_add_u32 v14, v14, 23, v21
	v_or3_b32 v10, v20, v14, v10
.LBB18_1324:
	s_or_b64 exec, exec, s[6:7]
	v_lshrrev_b32_e32 v14, 8, v11
	s_movk_i32 s4, 0x7f
	v_cmp_gt_i16_sdwa s[6:7], v14, s4 src0_sel:BYTE_0 src1_sel:DWORD
	s_mov_b64 s[4:5], 0
                                        ; implicit-def: $sgpr10
	s_and_saveexec_b64 s[8:9], s[6:7]
	s_xor_b64 s[6:7], exec, s[8:9]
	s_cbranch_execnz .LBB18_3373
; %bb.1325:
	s_or_saveexec_b64 s[6:7], s[6:7]
	v_mov_b32_e32 v20, s10
	s_xor_b64 exec, exec, s[6:7]
	s_cbranch_execnz .LBB18_3376
.LBB18_1326:
	s_or_b64 exec, exec, s[6:7]
	s_and_saveexec_b64 s[6:7], s[4:5]
	s_cbranch_execz .LBB18_1328
.LBB18_1327:
	v_bfe_u32 v20, v11, 8, 3
	v_ffbh_u32_e32 v22, v20
	v_min_u32_e32 v22, 32, v22
	v_lshrrev_b16_e32 v21, 3, v14
	v_subrev_u32_e32 v23, 28, v22
	v_and_b32_e32 v21, 15, v21
	v_lshlrev_b32_e32 v14, v23, v14
	v_sub_u32_e32 v22, 29, v22
	v_and_b32_e32 v14, 7, v14
	v_cmp_eq_u16_e32 vcc, 0, v21
	v_cndmask_b32_e32 v14, v20, v14, vcc
	v_cndmask_b32_e32 v20, v21, v22, vcc
	v_lshlrev_b32_e32 v21, 16, v11
	v_mov_b32_e32 v22, 0x3b800000
	v_lshlrev_b32_e32 v14, 20, v14
	v_and_b32_e32 v21, 0x80000000, v21
	v_lshl_add_u32 v20, v20, 23, v22
	v_or3_b32 v20, v21, v20, v14
.LBB18_1328:
	s_or_b64 exec, exec, s[6:7]
	s_nop 0
	v_mfma_f32_16x16x4f32 a[0:3], v10, v20, a[0:3]
	s_movk_i32 s4, 0xff
	v_and_b32_sdwa v14, v15, s4 dst_sel:DWORD dst_unused:UNUSED_PAD src0_sel:WORD_1 src1_sel:DWORD
	s_movk_i32 s4, 0x7f
	v_cmp_lt_i16_e32 vcc, s4, v14
	s_mov_b64 s[4:5], 0
                                        ; implicit-def: $sgpr10
	s_and_saveexec_b64 s[6:7], vcc
	s_xor_b64 s[6:7], exec, s[6:7]
	s_cbranch_execnz .LBB18_3377
; %bb.1329:
	s_or_saveexec_b64 s[6:7], s[6:7]
	v_mov_b32_e32 v10, s10
	s_xor_b64 exec, exec, s[6:7]
	s_cbranch_execnz .LBB18_3380
.LBB18_1330:
	s_or_b64 exec, exec, s[6:7]
	s_and_saveexec_b64 s[6:7], s[4:5]
	s_cbranch_execz .LBB18_1332
.LBB18_1331:
	v_bfe_u32 v10, v15, 16, 3
	v_ffbh_u32_e32 v21, v10
	v_min_u32_e32 v21, 32, v21
	v_lshrrev_b32_e32 v14, 19, v15
	v_subrev_u32_e32 v22, 28, v21
	v_and_b32_e32 v14, 15, v14
	v_lshlrev_b32_sdwa v22, v22, v15 dst_sel:DWORD dst_unused:UNUSED_PAD src0_sel:DWORD src1_sel:WORD_1
	v_bfe_u32 v20, v15, 19, 4
	v_sub_u32_e32 v21, 29, v21
	v_and_b32_e32 v22, 7, v22
	v_cmp_eq_u16_e32 vcc, 0, v14
	v_cndmask_b32_e32 v10, v10, v22, vcc
	v_cndmask_b32_e32 v14, v20, v21, vcc
	v_lshlrev_b32_e32 v20, 8, v15
	v_mov_b32_e32 v21, 0x3b800000
	v_lshlrev_b32_e32 v10, 20, v10
	v_and_b32_e32 v20, 0x80000000, v20
	v_lshl_add_u32 v14, v14, 23, v21
	v_or3_b32 v10, v20, v14, v10
.LBB18_1332:
	s_or_b64 exec, exec, s[6:7]
	s_movk_i32 s4, 0xff
	v_and_b32_sdwa v14, v11, s4 dst_sel:DWORD dst_unused:UNUSED_PAD src0_sel:WORD_1 src1_sel:DWORD
	s_movk_i32 s4, 0x7f
	v_cmp_lt_i16_e32 vcc, s4, v14
	s_mov_b64 s[4:5], 0
                                        ; implicit-def: $sgpr10
	s_and_saveexec_b64 s[6:7], vcc
	s_xor_b64 s[6:7], exec, s[6:7]
	s_cbranch_execnz .LBB18_3381
; %bb.1333:
	s_or_saveexec_b64 s[6:7], s[6:7]
	v_mov_b32_e32 v20, s10
	s_xor_b64 exec, exec, s[6:7]
	s_cbranch_execnz .LBB18_3384
.LBB18_1334:
	s_or_b64 exec, exec, s[6:7]
	s_and_saveexec_b64 s[6:7], s[4:5]
	s_cbranch_execz .LBB18_1336
.LBB18_1335:
	v_bfe_u32 v14, v11, 16, 3
	v_ffbh_u32_e32 v22, v14
	v_min_u32_e32 v22, 32, v22
	v_lshrrev_b32_e32 v20, 19, v11
	v_subrev_u32_e32 v23, 28, v22
	v_and_b32_e32 v20, 15, v20
	v_lshlrev_b32_sdwa v23, v23, v11 dst_sel:DWORD dst_unused:UNUSED_PAD src0_sel:DWORD src1_sel:WORD_1
	v_bfe_u32 v21, v11, 19, 4
	v_sub_u32_e32 v22, 29, v22
	v_and_b32_e32 v23, 7, v23
	v_cmp_eq_u16_e32 vcc, 0, v20
	v_cndmask_b32_e32 v14, v14, v23, vcc
	v_cndmask_b32_e32 v20, v21, v22, vcc
	v_lshlrev_b32_e32 v21, 8, v11
	v_mov_b32_e32 v22, 0x3b800000
	v_lshlrev_b32_e32 v14, 20, v14
	v_and_b32_e32 v21, 0x80000000, v21
	v_lshl_add_u32 v20, v20, 23, v22
	v_or3_b32 v20, v21, v20, v14
.LBB18_1336:
	s_or_b64 exec, exec, s[6:7]
	s_nop 0
	v_mfma_f32_16x16x4f32 a[0:3], v10, v20, a[0:3]
	s_movk_i32 s4, 0x7f
	v_cmp_gt_i16_sdwa s[6:7], v15, s4 src0_sel:BYTE_3 src1_sel:DWORD
	s_mov_b64 s[4:5], 0
                                        ; implicit-def: $sgpr10
	s_and_saveexec_b64 s[8:9], s[6:7]
	s_xor_b64 s[6:7], exec, s[8:9]
	s_cbranch_execnz .LBB18_3385
; %bb.1337:
	s_or_saveexec_b64 s[6:7], s[6:7]
	v_mov_b32_e32 v10, s10
	s_xor_b64 exec, exec, s[6:7]
	s_cbranch_execnz .LBB18_3388
.LBB18_1338:
	s_or_b64 exec, exec, s[6:7]
	s_and_saveexec_b64 s[6:7], s[4:5]
	s_cbranch_execz .LBB18_1340
.LBB18_1339:
	v_bfe_u32 v10, v15, 24, 3
	v_ffbh_u32_e32 v22, v10
	v_min_u32_e32 v22, 32, v22
	v_lshrrev_b32_e32 v20, 27, v15
	v_subrev_u32_e32 v23, 28, v22
	v_and_b32_e32 v14, 0x80000000, v15
	v_and_b32_e32 v20, 15, v20
	v_bfe_u32 v21, v15, 27, 4
	v_lshlrev_b32_sdwa v15, v23, v15 dst_sel:DWORD dst_unused:UNUSED_PAD src0_sel:DWORD src1_sel:BYTE_3
	v_sub_u32_e32 v22, 29, v22
	v_and_b32_e32 v15, 7, v15
	v_cmp_eq_u16_e32 vcc, 0, v20
	v_cndmask_b32_e32 v10, v10, v15, vcc
	v_cndmask_b32_e32 v15, v21, v22, vcc
	v_mov_b32_e32 v20, 0x3b800000
	v_lshlrev_b32_e32 v10, 20, v10
	v_lshl_add_u32 v15, v15, 23, v20
	v_or3_b32 v10, v14, v15, v10
.LBB18_1340:
	s_or_b64 exec, exec, s[6:7]
	s_movk_i32 s4, 0x7f
	v_cmp_gt_i16_sdwa s[6:7], v11, s4 src0_sel:BYTE_3 src1_sel:DWORD
	s_mov_b64 s[4:5], 0
                                        ; implicit-def: $sgpr10
	s_and_saveexec_b64 s[8:9], s[6:7]
	s_xor_b64 s[6:7], exec, s[8:9]
	s_cbranch_execnz .LBB18_3389
; %bb.1341:
	s_or_saveexec_b64 s[6:7], s[6:7]
	v_mov_b32_e32 v14, s10
	s_xor_b64 exec, exec, s[6:7]
	s_cbranch_execnz .LBB18_3392
.LBB18_1342:
	s_or_b64 exec, exec, s[6:7]
	s_and_saveexec_b64 s[6:7], s[4:5]
	s_cbranch_execz .LBB18_1344
.LBB18_1343:
	v_bfe_u32 v14, v11, 24, 3
	v_ffbh_u32_e32 v22, v14
	v_min_u32_e32 v22, 32, v22
	v_lshrrev_b32_e32 v20, 27, v11
	v_subrev_u32_e32 v23, 28, v22
	v_and_b32_e32 v15, 0x80000000, v11
	v_and_b32_e32 v20, 15, v20
	v_bfe_u32 v21, v11, 27, 4
	v_lshlrev_b32_sdwa v11, v23, v11 dst_sel:DWORD dst_unused:UNUSED_PAD src0_sel:DWORD src1_sel:BYTE_3
	v_sub_u32_e32 v22, 29, v22
	v_and_b32_e32 v11, 7, v11
	v_cmp_eq_u16_e32 vcc, 0, v20
	v_cndmask_b32_e32 v11, v14, v11, vcc
	v_cndmask_b32_e32 v14, v21, v22, vcc
	v_mov_b32_e32 v20, 0x3b800000
	v_lshlrev_b32_e32 v11, 20, v11
	v_lshl_add_u32 v14, v14, 23, v20
	v_or3_b32 v14, v15, v14, v11
.LBB18_1344:
	s_or_b64 exec, exec, s[6:7]
	s_nop 0
	v_mfma_f32_16x16x4f32 a[0:3], v10, v14, a[0:3]
	s_movk_i32 s4, 0x7f
	v_cmp_gt_i16_sdwa s[6:7], v16, s4 src0_sel:BYTE_0 src1_sel:DWORD
	s_mov_b64 s[4:5], 0
                                        ; implicit-def: $sgpr10
	s_and_saveexec_b64 s[8:9], s[6:7]
	s_xor_b64 s[6:7], exec, s[8:9]
	s_cbranch_execnz .LBB18_3393
; %bb.1345:
	s_or_saveexec_b64 s[6:7], s[6:7]
	v_mov_b32_e32 v10, s10
	s_xor_b64 exec, exec, s[6:7]
	s_cbranch_execnz .LBB18_3396
.LBB18_1346:
	s_or_b64 exec, exec, s[6:7]
	s_and_saveexec_b64 s[6:7], s[4:5]
	s_cbranch_execz .LBB18_1348
.LBB18_1347:
	v_and_b32_e32 v10, 7, v16
	v_ffbh_u32_e32 v14, v10
	v_min_u32_e32 v14, 32, v14
	v_lshrrev_b16_e32 v11, 3, v16
	v_subrev_u32_e32 v15, 28, v14
	v_and_b32_e32 v11, 15, v11
	v_lshlrev_b32_e32 v15, v15, v16
	v_sub_u32_e32 v14, 29, v14
	v_and_b32_e32 v15, 7, v15
	v_cmp_eq_u16_e32 vcc, 0, v11
	v_cndmask_b32_e32 v10, v10, v15, vcc
	v_cndmask_b32_e32 v11, v11, v14, vcc
	v_lshlrev_b32_e32 v14, 24, v16
	v_mov_b32_e32 v15, 0x3b800000
	v_lshlrev_b32_e32 v10, 20, v10
	v_and_b32_e32 v14, 0x80000000, v14
	v_lshl_add_u32 v11, v11, 23, v15
	v_or3_b32 v10, v14, v11, v10
.LBB18_1348:
	s_or_b64 exec, exec, s[6:7]
	s_movk_i32 s4, 0x7f
	v_cmp_gt_i16_sdwa s[6:7], v12, s4 src0_sel:BYTE_0 src1_sel:DWORD
	s_mov_b64 s[4:5], 0
                                        ; implicit-def: $sgpr10
	s_and_saveexec_b64 s[8:9], s[6:7]
	s_xor_b64 s[6:7], exec, s[8:9]
	s_cbranch_execnz .LBB18_3397
; %bb.1349:
	s_or_saveexec_b64 s[6:7], s[6:7]
	v_mov_b32_e32 v11, s10
	s_xor_b64 exec, exec, s[6:7]
	s_cbranch_execnz .LBB18_3400
.LBB18_1350:
	s_or_b64 exec, exec, s[6:7]
	s_and_saveexec_b64 s[6:7], s[4:5]
	s_cbranch_execz .LBB18_1352
.LBB18_1351:
	v_and_b32_e32 v11, 7, v12
	v_ffbh_u32_e32 v15, v11
	v_min_u32_e32 v15, 32, v15
	v_lshrrev_b16_e32 v14, 3, v12
	v_subrev_u32_e32 v20, 28, v15
	v_and_b32_e32 v14, 15, v14
	v_lshlrev_b32_e32 v20, v20, v12
	v_sub_u32_e32 v15, 29, v15
	v_and_b32_e32 v20, 7, v20
	v_cmp_eq_u16_e32 vcc, 0, v14
	v_cndmask_b32_e32 v11, v11, v20, vcc
	v_cndmask_b32_e32 v14, v14, v15, vcc
	v_lshlrev_b32_e32 v15, 24, v12
	v_mov_b32_e32 v20, 0x3b800000
	v_lshlrev_b32_e32 v11, 20, v11
	v_and_b32_e32 v15, 0x80000000, v15
	v_lshl_add_u32 v14, v14, 23, v20
	v_or3_b32 v11, v15, v14, v11
.LBB18_1352:
	s_or_b64 exec, exec, s[6:7]
	s_nop 0
	v_mfma_f32_16x16x4f32 a[0:3], v10, v11, a[0:3]
	v_lshrrev_b32_e32 v11, 8, v16
	s_movk_i32 s4, 0x7f
	v_cmp_gt_i16_sdwa s[6:7], v11, s4 src0_sel:BYTE_0 src1_sel:DWORD
	s_mov_b64 s[4:5], 0
                                        ; implicit-def: $sgpr10
	s_and_saveexec_b64 s[8:9], s[6:7]
	s_xor_b64 s[6:7], exec, s[8:9]
	s_cbranch_execnz .LBB18_3401
; %bb.1353:
	s_or_saveexec_b64 s[6:7], s[6:7]
	v_mov_b32_e32 v10, s10
	s_xor_b64 exec, exec, s[6:7]
	s_cbranch_execnz .LBB18_3404
.LBB18_1354:
	s_or_b64 exec, exec, s[6:7]
	s_and_saveexec_b64 s[6:7], s[4:5]
	s_cbranch_execz .LBB18_1356
.LBB18_1355:
	v_bfe_u32 v10, v16, 8, 3
	v_ffbh_u32_e32 v15, v10
	v_min_u32_e32 v15, 32, v15
	v_lshrrev_b16_e32 v14, 3, v11
	v_subrev_u32_e32 v20, 28, v15
	v_and_b32_e32 v14, 15, v14
	v_lshlrev_b32_e32 v11, v20, v11
	v_sub_u32_e32 v15, 29, v15
	v_and_b32_e32 v11, 7, v11
	v_cmp_eq_u16_e32 vcc, 0, v14
	v_cndmask_b32_e32 v10, v10, v11, vcc
	v_cndmask_b32_e32 v11, v14, v15, vcc
	v_lshlrev_b32_e32 v14, 16, v16
	v_mov_b32_e32 v15, 0x3b800000
	v_lshlrev_b32_e32 v10, 20, v10
	v_and_b32_e32 v14, 0x80000000, v14
	v_lshl_add_u32 v11, v11, 23, v15
	v_or3_b32 v10, v14, v11, v10
.LBB18_1356:
	s_or_b64 exec, exec, s[6:7]
	v_lshrrev_b32_e32 v11, 8, v12
	s_movk_i32 s4, 0x7f
	v_cmp_gt_i16_sdwa s[6:7], v11, s4 src0_sel:BYTE_0 src1_sel:DWORD
	s_mov_b64 s[4:5], 0
                                        ; implicit-def: $sgpr10
	s_and_saveexec_b64 s[8:9], s[6:7]
	s_xor_b64 s[6:7], exec, s[8:9]
	s_cbranch_execnz .LBB18_3405
; %bb.1357:
	s_or_saveexec_b64 s[6:7], s[6:7]
	v_mov_b32_e32 v14, s10
	s_xor_b64 exec, exec, s[6:7]
	s_cbranch_execnz .LBB18_3408
.LBB18_1358:
	s_or_b64 exec, exec, s[6:7]
	s_and_saveexec_b64 s[6:7], s[4:5]
	s_cbranch_execz .LBB18_1360
.LBB18_1359:
	v_bfe_u32 v14, v12, 8, 3
	v_ffbh_u32_e32 v20, v14
	v_min_u32_e32 v20, 32, v20
	v_lshrrev_b16_e32 v15, 3, v11
	v_subrev_u32_e32 v21, 28, v20
	v_and_b32_e32 v15, 15, v15
	v_lshlrev_b32_e32 v11, v21, v11
	v_sub_u32_e32 v20, 29, v20
	v_and_b32_e32 v11, 7, v11
	v_cmp_eq_u16_e32 vcc, 0, v15
	v_cndmask_b32_e32 v11, v14, v11, vcc
	v_cndmask_b32_e32 v14, v15, v20, vcc
	v_lshlrev_b32_e32 v15, 16, v12
	v_mov_b32_e32 v20, 0x3b800000
	v_lshlrev_b32_e32 v11, 20, v11
	v_and_b32_e32 v15, 0x80000000, v15
	v_lshl_add_u32 v14, v14, 23, v20
	v_or3_b32 v14, v15, v14, v11
.LBB18_1360:
	s_or_b64 exec, exec, s[6:7]
	s_nop 0
	v_mfma_f32_16x16x4f32 a[0:3], v10, v14, a[0:3]
	s_movk_i32 s4, 0xff
	v_and_b32_sdwa v11, v16, s4 dst_sel:DWORD dst_unused:UNUSED_PAD src0_sel:WORD_1 src1_sel:DWORD
	s_movk_i32 s4, 0x7f
	v_cmp_lt_i16_e32 vcc, s4, v11
	s_mov_b64 s[4:5], 0
                                        ; implicit-def: $sgpr10
	s_and_saveexec_b64 s[6:7], vcc
	s_xor_b64 s[6:7], exec, s[6:7]
	s_cbranch_execnz .LBB18_3409
; %bb.1361:
	s_or_saveexec_b64 s[6:7], s[6:7]
	v_mov_b32_e32 v10, s10
	s_xor_b64 exec, exec, s[6:7]
	s_cbranch_execnz .LBB18_3412
.LBB18_1362:
	s_or_b64 exec, exec, s[6:7]
	s_and_saveexec_b64 s[6:7], s[4:5]
	s_cbranch_execz .LBB18_1364
.LBB18_1363:
	v_bfe_u32 v10, v16, 16, 3
	v_ffbh_u32_e32 v15, v10
	v_min_u32_e32 v15, 32, v15
	v_lshrrev_b32_e32 v11, 19, v16
	v_subrev_u32_e32 v20, 28, v15
	v_and_b32_e32 v11, 15, v11
	v_lshlrev_b32_sdwa v20, v20, v16 dst_sel:DWORD dst_unused:UNUSED_PAD src0_sel:DWORD src1_sel:WORD_1
	v_bfe_u32 v14, v16, 19, 4
	v_sub_u32_e32 v15, 29, v15
	v_and_b32_e32 v20, 7, v20
	v_cmp_eq_u16_e32 vcc, 0, v11
	v_cndmask_b32_e32 v10, v10, v20, vcc
	v_cndmask_b32_e32 v11, v14, v15, vcc
	v_lshlrev_b32_e32 v14, 8, v16
	v_mov_b32_e32 v15, 0x3b800000
	v_lshlrev_b32_e32 v10, 20, v10
	v_and_b32_e32 v14, 0x80000000, v14
	v_lshl_add_u32 v11, v11, 23, v15
	v_or3_b32 v10, v14, v11, v10
.LBB18_1364:
	s_or_b64 exec, exec, s[6:7]
	s_movk_i32 s4, 0xff
	v_and_b32_sdwa v11, v12, s4 dst_sel:DWORD dst_unused:UNUSED_PAD src0_sel:WORD_1 src1_sel:DWORD
	s_movk_i32 s4, 0x7f
	v_cmp_lt_i16_e32 vcc, s4, v11
	s_mov_b64 s[4:5], 0
                                        ; implicit-def: $sgpr10
	s_and_saveexec_b64 s[6:7], vcc
	s_xor_b64 s[6:7], exec, s[6:7]
	s_cbranch_execnz .LBB18_3413
; %bb.1365:
	s_or_saveexec_b64 s[6:7], s[6:7]
	v_mov_b32_e32 v14, s10
	s_xor_b64 exec, exec, s[6:7]
	s_cbranch_execnz .LBB18_3416
.LBB18_1366:
	s_or_b64 exec, exec, s[6:7]
	s_and_saveexec_b64 s[6:7], s[4:5]
	s_cbranch_execz .LBB18_1368
.LBB18_1367:
	v_bfe_u32 v11, v12, 16, 3
	v_ffbh_u32_e32 v20, v11
	v_min_u32_e32 v20, 32, v20
	v_lshrrev_b32_e32 v14, 19, v12
	v_subrev_u32_e32 v21, 28, v20
	v_and_b32_e32 v14, 15, v14
	v_lshlrev_b32_sdwa v21, v21, v12 dst_sel:DWORD dst_unused:UNUSED_PAD src0_sel:DWORD src1_sel:WORD_1
	v_bfe_u32 v15, v12, 19, 4
	v_sub_u32_e32 v20, 29, v20
	v_and_b32_e32 v21, 7, v21
	v_cmp_eq_u16_e32 vcc, 0, v14
	v_cndmask_b32_e32 v11, v11, v21, vcc
	v_cndmask_b32_e32 v14, v15, v20, vcc
	v_lshlrev_b32_e32 v15, 8, v12
	v_mov_b32_e32 v20, 0x3b800000
	v_lshlrev_b32_e32 v11, 20, v11
	v_and_b32_e32 v15, 0x80000000, v15
	v_lshl_add_u32 v14, v14, 23, v20
	v_or3_b32 v14, v15, v14, v11
.LBB18_1368:
	s_or_b64 exec, exec, s[6:7]
	s_nop 0
	v_mfma_f32_16x16x4f32 a[0:3], v10, v14, a[0:3]
	s_movk_i32 s4, 0x7f
	v_cmp_gt_i16_sdwa s[6:7], v16, s4 src0_sel:BYTE_3 src1_sel:DWORD
	s_mov_b64 s[4:5], 0
                                        ; implicit-def: $sgpr10
	s_and_saveexec_b64 s[8:9], s[6:7]
	s_xor_b64 s[6:7], exec, s[8:9]
	s_cbranch_execnz .LBB18_3417
; %bb.1369:
	s_or_saveexec_b64 s[6:7], s[6:7]
	v_mov_b32_e32 v10, s10
	s_xor_b64 exec, exec, s[6:7]
	s_cbranch_execnz .LBB18_3420
.LBB18_1370:
	s_or_b64 exec, exec, s[6:7]
	s_and_saveexec_b64 s[6:7], s[4:5]
	s_cbranch_execz .LBB18_1372
.LBB18_1371:
	v_bfe_u32 v10, v16, 24, 3
	v_ffbh_u32_e32 v20, v10
	v_min_u32_e32 v20, 32, v20
	v_lshrrev_b32_e32 v14, 27, v16
	v_subrev_u32_e32 v21, 28, v20
	v_and_b32_e32 v11, 0x80000000, v16
	v_and_b32_e32 v14, 15, v14
	v_bfe_u32 v15, v16, 27, 4
	v_lshlrev_b32_sdwa v16, v21, v16 dst_sel:DWORD dst_unused:UNUSED_PAD src0_sel:DWORD src1_sel:BYTE_3
	v_sub_u32_e32 v20, 29, v20
	v_and_b32_e32 v16, 7, v16
	v_cmp_eq_u16_e32 vcc, 0, v14
	v_cndmask_b32_e32 v10, v10, v16, vcc
	v_cndmask_b32_e32 v14, v15, v20, vcc
	v_mov_b32_e32 v15, 0x3b800000
	v_lshlrev_b32_e32 v10, 20, v10
	v_lshl_add_u32 v14, v14, 23, v15
	v_or3_b32 v10, v11, v14, v10
.LBB18_1372:
	s_or_b64 exec, exec, s[6:7]
	s_movk_i32 s4, 0x7f
	v_cmp_gt_i16_sdwa s[6:7], v12, s4 src0_sel:BYTE_3 src1_sel:DWORD
	s_mov_b64 s[4:5], 0
                                        ; implicit-def: $sgpr10
	s_and_saveexec_b64 s[8:9], s[6:7]
	s_xor_b64 s[6:7], exec, s[8:9]
	s_cbranch_execnz .LBB18_3421
; %bb.1373:
	s_or_saveexec_b64 s[6:7], s[6:7]
	v_mov_b32_e32 v11, s10
	s_xor_b64 exec, exec, s[6:7]
	s_cbranch_execnz .LBB18_3424
.LBB18_1374:
	s_or_b64 exec, exec, s[6:7]
	s_and_saveexec_b64 s[6:7], s[4:5]
	s_cbranch_execz .LBB18_1376
.LBB18_1375:
	v_bfe_u32 v11, v12, 24, 3
	v_ffbh_u32_e32 v20, v11
	v_min_u32_e32 v20, 32, v20
	v_lshrrev_b32_e32 v15, 27, v12
	v_subrev_u32_e32 v21, 28, v20
	v_and_b32_e32 v14, 0x80000000, v12
	v_and_b32_e32 v15, 15, v15
	v_bfe_u32 v16, v12, 27, 4
	v_lshlrev_b32_sdwa v12, v21, v12 dst_sel:DWORD dst_unused:UNUSED_PAD src0_sel:DWORD src1_sel:BYTE_3
	v_sub_u32_e32 v20, 29, v20
	v_and_b32_e32 v12, 7, v12
	v_cmp_eq_u16_e32 vcc, 0, v15
	v_cndmask_b32_e32 v11, v11, v12, vcc
	v_cndmask_b32_e32 v12, v16, v20, vcc
	v_mov_b32_e32 v15, 0x3b800000
	v_lshlrev_b32_e32 v11, 20, v11
	v_lshl_add_u32 v12, v12, 23, v15
	v_or3_b32 v11, v14, v12, v11
.LBB18_1376:
	s_or_b64 exec, exec, s[6:7]
	s_nop 0
	v_mfma_f32_16x16x4f32 a[0:3], v10, v11, a[0:3]
	s_movk_i32 s4, 0x7f
	v_cmp_gt_i16_sdwa s[6:7], v17, s4 src0_sel:BYTE_0 src1_sel:DWORD
	s_mov_b64 s[4:5], 0
                                        ; implicit-def: $sgpr10
	s_and_saveexec_b64 s[8:9], s[6:7]
	s_xor_b64 s[6:7], exec, s[8:9]
	s_cbranch_execnz .LBB18_3425
; %bb.1377:
	s_or_saveexec_b64 s[6:7], s[6:7]
	v_mov_b32_e32 v10, s10
	s_xor_b64 exec, exec, s[6:7]
	s_cbranch_execnz .LBB18_3428
.LBB18_1378:
	s_or_b64 exec, exec, s[6:7]
	s_and_saveexec_b64 s[6:7], s[4:5]
	s_cbranch_execz .LBB18_1380
.LBB18_1379:
	v_and_b32_e32 v10, 7, v17
	v_ffbh_u32_e32 v12, v10
	v_min_u32_e32 v12, 32, v12
	v_lshrrev_b16_e32 v11, 3, v17
	v_subrev_u32_e32 v14, 28, v12
	v_and_b32_e32 v11, 15, v11
	v_lshlrev_b32_e32 v14, v14, v17
	v_sub_u32_e32 v12, 29, v12
	v_and_b32_e32 v14, 7, v14
	v_cmp_eq_u16_e32 vcc, 0, v11
	v_cndmask_b32_e32 v10, v10, v14, vcc
	v_cndmask_b32_e32 v11, v11, v12, vcc
	v_lshlrev_b32_e32 v12, 24, v17
	v_mov_b32_e32 v14, 0x3b800000
	v_lshlrev_b32_e32 v10, 20, v10
	v_and_b32_e32 v12, 0x80000000, v12
	v_lshl_add_u32 v11, v11, 23, v14
	v_or3_b32 v10, v12, v11, v10
.LBB18_1380:
	s_or_b64 exec, exec, s[6:7]
	s_movk_i32 s4, 0x7f
	v_cmp_gt_i16_sdwa s[6:7], v13, s4 src0_sel:BYTE_0 src1_sel:DWORD
	s_mov_b64 s[4:5], 0
                                        ; implicit-def: $sgpr10
	s_and_saveexec_b64 s[8:9], s[6:7]
	s_xor_b64 s[6:7], exec, s[8:9]
	s_cbranch_execnz .LBB18_3429
; %bb.1381:
	s_or_saveexec_b64 s[6:7], s[6:7]
	v_mov_b32_e32 v11, s10
	s_xor_b64 exec, exec, s[6:7]
	s_cbranch_execnz .LBB18_3432
.LBB18_1382:
	s_or_b64 exec, exec, s[6:7]
	s_and_saveexec_b64 s[6:7], s[4:5]
	s_cbranch_execz .LBB18_1384
.LBB18_1383:
	v_and_b32_e32 v11, 7, v13
	v_ffbh_u32_e32 v14, v11
	v_min_u32_e32 v14, 32, v14
	v_lshrrev_b16_e32 v12, 3, v13
	v_subrev_u32_e32 v15, 28, v14
	v_and_b32_e32 v12, 15, v12
	v_lshlrev_b32_e32 v15, v15, v13
	v_sub_u32_e32 v14, 29, v14
	v_and_b32_e32 v15, 7, v15
	v_cmp_eq_u16_e32 vcc, 0, v12
	v_cndmask_b32_e32 v11, v11, v15, vcc
	v_cndmask_b32_e32 v12, v12, v14, vcc
	v_lshlrev_b32_e32 v14, 24, v13
	v_mov_b32_e32 v15, 0x3b800000
	v_lshlrev_b32_e32 v11, 20, v11
	v_and_b32_e32 v14, 0x80000000, v14
	v_lshl_add_u32 v12, v12, 23, v15
	v_or3_b32 v11, v14, v12, v11
.LBB18_1384:
	s_or_b64 exec, exec, s[6:7]
	s_nop 0
	v_mfma_f32_16x16x4f32 a[0:3], v10, v11, a[0:3]
	v_lshrrev_b32_e32 v11, 8, v17
	s_movk_i32 s4, 0x7f
	v_cmp_gt_i16_sdwa s[6:7], v11, s4 src0_sel:BYTE_0 src1_sel:DWORD
	s_mov_b64 s[4:5], 0
                                        ; implicit-def: $sgpr10
	s_and_saveexec_b64 s[8:9], s[6:7]
	s_xor_b64 s[6:7], exec, s[8:9]
	s_cbranch_execnz .LBB18_3433
; %bb.1385:
	s_or_saveexec_b64 s[6:7], s[6:7]
	v_mov_b32_e32 v10, s10
	s_xor_b64 exec, exec, s[6:7]
	s_cbranch_execnz .LBB18_3436
.LBB18_1386:
	s_or_b64 exec, exec, s[6:7]
	s_and_saveexec_b64 s[6:7], s[4:5]
	s_cbranch_execz .LBB18_1388
.LBB18_1387:
	v_bfe_u32 v10, v17, 8, 3
	v_ffbh_u32_e32 v14, v10
	v_min_u32_e32 v14, 32, v14
	v_lshrrev_b16_e32 v12, 3, v11
	v_subrev_u32_e32 v15, 28, v14
	v_and_b32_e32 v12, 15, v12
	v_lshlrev_b32_e32 v11, v15, v11
	v_sub_u32_e32 v14, 29, v14
	v_and_b32_e32 v11, 7, v11
	v_cmp_eq_u16_e32 vcc, 0, v12
	v_cndmask_b32_e32 v10, v10, v11, vcc
	v_cndmask_b32_e32 v11, v12, v14, vcc
	v_lshlrev_b32_e32 v12, 16, v17
	v_mov_b32_e32 v14, 0x3b800000
	v_lshlrev_b32_e32 v10, 20, v10
	v_and_b32_e32 v12, 0x80000000, v12
	v_lshl_add_u32 v11, v11, 23, v14
	v_or3_b32 v10, v12, v11, v10
.LBB18_1388:
	s_or_b64 exec, exec, s[6:7]
	v_lshrrev_b32_e32 v11, 8, v13
	s_movk_i32 s4, 0x7f
	v_cmp_gt_i16_sdwa s[6:7], v11, s4 src0_sel:BYTE_0 src1_sel:DWORD
	s_mov_b64 s[4:5], 0
                                        ; implicit-def: $sgpr10
	s_and_saveexec_b64 s[8:9], s[6:7]
	s_xor_b64 s[6:7], exec, s[8:9]
	s_cbranch_execnz .LBB18_3437
; %bb.1389:
	s_or_saveexec_b64 s[6:7], s[6:7]
	v_mov_b32_e32 v12, s10
	s_xor_b64 exec, exec, s[6:7]
	s_cbranch_execnz .LBB18_3440
.LBB18_1390:
	s_or_b64 exec, exec, s[6:7]
	s_and_saveexec_b64 s[6:7], s[4:5]
	s_cbranch_execz .LBB18_1392
.LBB18_1391:
	v_bfe_u32 v12, v13, 8, 3
	v_ffbh_u32_e32 v15, v12
	v_min_u32_e32 v15, 32, v15
	v_lshrrev_b16_e32 v14, 3, v11
	v_subrev_u32_e32 v16, 28, v15
	v_and_b32_e32 v14, 15, v14
	v_lshlrev_b32_e32 v11, v16, v11
	v_sub_u32_e32 v15, 29, v15
	v_and_b32_e32 v11, 7, v11
	v_cmp_eq_u16_e32 vcc, 0, v14
	v_cndmask_b32_e32 v11, v12, v11, vcc
	v_cndmask_b32_e32 v12, v14, v15, vcc
	v_lshlrev_b32_e32 v14, 16, v13
	v_mov_b32_e32 v15, 0x3b800000
	v_lshlrev_b32_e32 v11, 20, v11
	v_and_b32_e32 v14, 0x80000000, v14
	v_lshl_add_u32 v12, v12, 23, v15
	v_or3_b32 v12, v14, v12, v11
.LBB18_1392:
	s_or_b64 exec, exec, s[6:7]
	s_nop 0
	v_mfma_f32_16x16x4f32 a[0:3], v10, v12, a[0:3]
	s_movk_i32 s4, 0xff
	v_and_b32_sdwa v11, v17, s4 dst_sel:DWORD dst_unused:UNUSED_PAD src0_sel:WORD_1 src1_sel:DWORD
	s_movk_i32 s4, 0x7f
	v_cmp_lt_i16_e32 vcc, s4, v11
	s_mov_b64 s[4:5], 0
                                        ; implicit-def: $sgpr10
	s_and_saveexec_b64 s[6:7], vcc
	s_xor_b64 s[6:7], exec, s[6:7]
	s_cbranch_execnz .LBB18_3441
; %bb.1393:
	s_or_saveexec_b64 s[6:7], s[6:7]
	v_mov_b32_e32 v10, s10
	s_xor_b64 exec, exec, s[6:7]
	s_cbranch_execnz .LBB18_3444
.LBB18_1394:
	s_or_b64 exec, exec, s[6:7]
	s_and_saveexec_b64 s[6:7], s[4:5]
	s_cbranch_execz .LBB18_1396
.LBB18_1395:
	v_bfe_u32 v10, v17, 16, 3
	v_ffbh_u32_e32 v14, v10
	v_min_u32_e32 v14, 32, v14
	v_lshrrev_b32_e32 v11, 19, v17
	v_subrev_u32_e32 v15, 28, v14
	v_and_b32_e32 v11, 15, v11
	v_lshlrev_b32_sdwa v15, v15, v17 dst_sel:DWORD dst_unused:UNUSED_PAD src0_sel:DWORD src1_sel:WORD_1
	v_bfe_u32 v12, v17, 19, 4
	v_sub_u32_e32 v14, 29, v14
	v_and_b32_e32 v15, 7, v15
	v_cmp_eq_u16_e32 vcc, 0, v11
	v_cndmask_b32_e32 v10, v10, v15, vcc
	v_cndmask_b32_e32 v11, v12, v14, vcc
	v_lshlrev_b32_e32 v12, 8, v17
	v_mov_b32_e32 v14, 0x3b800000
	v_lshlrev_b32_e32 v10, 20, v10
	v_and_b32_e32 v12, 0x80000000, v12
	v_lshl_add_u32 v11, v11, 23, v14
	v_or3_b32 v10, v12, v11, v10
.LBB18_1396:
	s_or_b64 exec, exec, s[6:7]
	s_movk_i32 s4, 0xff
	v_and_b32_sdwa v11, v13, s4 dst_sel:DWORD dst_unused:UNUSED_PAD src0_sel:WORD_1 src1_sel:DWORD
	s_movk_i32 s4, 0x7f
	v_cmp_lt_i16_e32 vcc, s4, v11
	s_mov_b64 s[4:5], 0
                                        ; implicit-def: $sgpr10
	s_and_saveexec_b64 s[6:7], vcc
	s_xor_b64 s[6:7], exec, s[6:7]
	s_cbranch_execnz .LBB18_3445
; %bb.1397:
	s_or_saveexec_b64 s[6:7], s[6:7]
	v_mov_b32_e32 v12, s10
	s_xor_b64 exec, exec, s[6:7]
	s_cbranch_execnz .LBB18_3448
.LBB18_1398:
	s_or_b64 exec, exec, s[6:7]
	s_and_saveexec_b64 s[6:7], s[4:5]
	s_cbranch_execz .LBB18_1400
.LBB18_1399:
	v_bfe_u32 v11, v13, 16, 3
	v_ffbh_u32_e32 v15, v11
	v_min_u32_e32 v15, 32, v15
	v_lshrrev_b32_e32 v12, 19, v13
	v_subrev_u32_e32 v16, 28, v15
	v_and_b32_e32 v12, 15, v12
	v_lshlrev_b32_sdwa v16, v16, v13 dst_sel:DWORD dst_unused:UNUSED_PAD src0_sel:DWORD src1_sel:WORD_1
	v_bfe_u32 v14, v13, 19, 4
	v_sub_u32_e32 v15, 29, v15
	v_and_b32_e32 v16, 7, v16
	v_cmp_eq_u16_e32 vcc, 0, v12
	v_cndmask_b32_e32 v11, v11, v16, vcc
	v_cndmask_b32_e32 v12, v14, v15, vcc
	v_lshlrev_b32_e32 v14, 8, v13
	v_mov_b32_e32 v15, 0x3b800000
	v_lshlrev_b32_e32 v11, 20, v11
	v_and_b32_e32 v14, 0x80000000, v14
	v_lshl_add_u32 v12, v12, 23, v15
	v_or3_b32 v12, v14, v12, v11
.LBB18_1400:
	s_or_b64 exec, exec, s[6:7]
	s_nop 0
	v_mfma_f32_16x16x4f32 a[0:3], v10, v12, a[0:3]
	s_movk_i32 s4, 0x7f
	v_cmp_gt_i16_sdwa s[6:7], v17, s4 src0_sel:BYTE_3 src1_sel:DWORD
	s_mov_b64 s[4:5], 0
                                        ; implicit-def: $sgpr10
	s_and_saveexec_b64 s[8:9], s[6:7]
	s_xor_b64 s[6:7], exec, s[8:9]
	s_cbranch_execnz .LBB18_3449
; %bb.1401:
	s_or_saveexec_b64 s[6:7], s[6:7]
	v_mov_b32_e32 v10, s10
	s_xor_b64 exec, exec, s[6:7]
	s_cbranch_execnz .LBB18_3452
.LBB18_1402:
	s_or_b64 exec, exec, s[6:7]
	s_and_saveexec_b64 s[6:7], s[4:5]
	s_cbranch_execz .LBB18_1404
.LBB18_1403:
	v_bfe_u32 v10, v17, 24, 3
	v_ffbh_u32_e32 v15, v10
	v_min_u32_e32 v15, 32, v15
	v_lshrrev_b32_e32 v12, 27, v17
	v_subrev_u32_e32 v16, 28, v15
	v_and_b32_e32 v12, 15, v12
	v_lshlrev_b32_sdwa v16, v16, v17 dst_sel:DWORD dst_unused:UNUSED_PAD src0_sel:DWORD src1_sel:BYTE_3
	v_bfe_u32 v14, v17, 27, 4
	v_sub_u32_e32 v15, 29, v15
	v_and_b32_e32 v16, 7, v16
	v_cmp_eq_u16_e32 vcc, 0, v12
	v_cndmask_b32_e32 v10, v10, v16, vcc
	v_cndmask_b32_e32 v12, v14, v15, vcc
	v_mov_b32_e32 v14, 0x3b800000
	v_and_b32_e32 v11, 0x80000000, v17
	v_lshlrev_b32_e32 v10, 20, v10
	v_lshl_add_u32 v12, v12, 23, v14
	v_or3_b32 v10, v11, v12, v10
.LBB18_1404:
	s_or_b64 exec, exec, s[6:7]
	s_movk_i32 s4, 0x7f
	v_cmp_gt_i16_sdwa s[6:7], v13, s4 src0_sel:BYTE_3 src1_sel:DWORD
	s_mov_b64 s[4:5], 0
                                        ; implicit-def: $sgpr10
	s_and_saveexec_b64 s[8:9], s[6:7]
	s_xor_b64 s[6:7], exec, s[8:9]
	s_cbranch_execnz .LBB18_3453
; %bb.1405:
	s_or_saveexec_b64 s[6:7], s[6:7]
	v_mov_b32_e32 v11, s10
	s_xor_b64 exec, exec, s[6:7]
	s_cbranch_execnz .LBB18_3456
.LBB18_1406:
	s_or_b64 exec, exec, s[6:7]
	s_and_saveexec_b64 s[6:7], s[4:5]
	s_cbranch_execz .LBB18_1408
.LBB18_1407:
	v_bfe_u32 v11, v13, 24, 3
	v_ffbh_u32_e32 v16, v11
	v_min_u32_e32 v16, 32, v16
	v_lshrrev_b32_e32 v14, 27, v13
	v_subrev_u32_e32 v17, 28, v16
	v_and_b32_e32 v12, 0x80000000, v13
	v_and_b32_e32 v14, 15, v14
	v_bfe_u32 v15, v13, 27, 4
	v_lshlrev_b32_sdwa v13, v17, v13 dst_sel:DWORD dst_unused:UNUSED_PAD src0_sel:DWORD src1_sel:BYTE_3
	v_sub_u32_e32 v16, 29, v16
	v_and_b32_e32 v13, 7, v13
	v_cmp_eq_u16_e32 vcc, 0, v14
	v_cndmask_b32_e32 v11, v11, v13, vcc
	v_cndmask_b32_e32 v13, v15, v16, vcc
	v_mov_b32_e32 v14, 0x3b800000
	v_lshlrev_b32_e32 v11, 20, v11
	v_lshl_add_u32 v13, v13, 23, v14
	v_or3_b32 v11, v12, v13, v11
.LBB18_1408:
	s_or_b64 exec, exec, s[6:7]
	s_nop 0
	v_mfma_f32_16x16x4f32 a[0:3], v10, v11, a[0:3]
	s_movk_i32 s4, 0x7f
	v_cmp_gt_i16_sdwa s[6:7], v6, s4 src0_sel:BYTE_0 src1_sel:DWORD
	s_mov_b64 s[4:5], 0
                                        ; implicit-def: $sgpr10
	s_and_saveexec_b64 s[8:9], s[6:7]
	s_xor_b64 s[6:7], exec, s[8:9]
	s_cbranch_execnz .LBB18_3457
; %bb.1409:
	s_or_saveexec_b64 s[6:7], s[6:7]
	v_mov_b32_e32 v10, s10
	s_xor_b64 exec, exec, s[6:7]
	s_cbranch_execnz .LBB18_3460
.LBB18_1410:
	s_or_b64 exec, exec, s[6:7]
	s_and_saveexec_b64 s[6:7], s[4:5]
	s_cbranch_execz .LBB18_1412
.LBB18_1411:
	v_and_b32_e32 v10, 7, v6
	v_ffbh_u32_e32 v12, v10
	v_min_u32_e32 v12, 32, v12
	v_lshrrev_b16_e32 v11, 3, v6
	v_subrev_u32_e32 v13, 28, v12
	v_and_b32_e32 v11, 15, v11
	v_lshlrev_b32_e32 v13, v13, v6
	v_sub_u32_e32 v12, 29, v12
	v_and_b32_e32 v13, 7, v13
	v_cmp_eq_u16_e32 vcc, 0, v11
	v_cndmask_b32_e32 v10, v10, v13, vcc
	v_cndmask_b32_e32 v11, v11, v12, vcc
	v_lshlrev_b32_e32 v12, 24, v6
	v_mov_b32_e32 v13, 0x3b800000
	v_lshlrev_b32_e32 v10, 20, v10
	v_and_b32_e32 v12, 0x80000000, v12
	v_lshl_add_u32 v11, v11, 23, v13
	v_or3_b32 v10, v12, v11, v10
.LBB18_1412:
	s_or_b64 exec, exec, s[6:7]
	s_movk_i32 s4, 0x7f
	v_cmp_gt_i16_sdwa s[6:7], v2, s4 src0_sel:BYTE_0 src1_sel:DWORD
	s_mov_b64 s[4:5], 0
                                        ; implicit-def: $sgpr10
	s_and_saveexec_b64 s[8:9], s[6:7]
	s_xor_b64 s[6:7], exec, s[8:9]
	s_cbranch_execnz .LBB18_3461
; %bb.1413:
	s_or_saveexec_b64 s[6:7], s[6:7]
	v_mov_b32_e32 v11, s10
	s_xor_b64 exec, exec, s[6:7]
	s_cbranch_execnz .LBB18_3464
.LBB18_1414:
	s_or_b64 exec, exec, s[6:7]
	s_and_saveexec_b64 s[6:7], s[4:5]
	s_cbranch_execz .LBB18_1416
.LBB18_1415:
	v_and_b32_e32 v11, 7, v2
	v_ffbh_u32_e32 v13, v11
	v_min_u32_e32 v13, 32, v13
	v_lshrrev_b16_e32 v12, 3, v2
	v_subrev_u32_e32 v14, 28, v13
	v_and_b32_e32 v12, 15, v12
	v_lshlrev_b32_e32 v14, v14, v2
	v_sub_u32_e32 v13, 29, v13
	v_and_b32_e32 v14, 7, v14
	v_cmp_eq_u16_e32 vcc, 0, v12
	v_cndmask_b32_e32 v11, v11, v14, vcc
	v_cndmask_b32_e32 v12, v12, v13, vcc
	v_lshlrev_b32_e32 v13, 24, v2
	v_mov_b32_e32 v14, 0x3b800000
	v_lshlrev_b32_e32 v11, 20, v11
	v_and_b32_e32 v13, 0x80000000, v13
	v_lshl_add_u32 v12, v12, 23, v14
	v_or3_b32 v11, v13, v12, v11
.LBB18_1416:
	s_or_b64 exec, exec, s[6:7]
	s_nop 0
	v_mfma_f32_16x16x4f32 a[0:3], v10, v11, a[0:3]
	v_lshrrev_b32_e32 v11, 8, v6
	s_movk_i32 s4, 0x7f
	v_cmp_gt_i16_sdwa s[6:7], v11, s4 src0_sel:BYTE_0 src1_sel:DWORD
	s_mov_b64 s[4:5], 0
                                        ; implicit-def: $sgpr10
	s_and_saveexec_b64 s[8:9], s[6:7]
	s_xor_b64 s[6:7], exec, s[8:9]
	s_cbranch_execnz .LBB18_3465
; %bb.1417:
	s_or_saveexec_b64 s[6:7], s[6:7]
	v_mov_b32_e32 v10, s10
	s_xor_b64 exec, exec, s[6:7]
	s_cbranch_execnz .LBB18_3468
.LBB18_1418:
	s_or_b64 exec, exec, s[6:7]
	s_and_saveexec_b64 s[6:7], s[4:5]
	s_cbranch_execz .LBB18_1420
.LBB18_1419:
	v_bfe_u32 v10, v6, 8, 3
	v_ffbh_u32_e32 v13, v10
	v_min_u32_e32 v13, 32, v13
	v_lshrrev_b16_e32 v12, 3, v11
	v_subrev_u32_e32 v14, 28, v13
	v_and_b32_e32 v12, 15, v12
	v_lshlrev_b32_e32 v11, v14, v11
	v_sub_u32_e32 v13, 29, v13
	v_and_b32_e32 v11, 7, v11
	v_cmp_eq_u16_e32 vcc, 0, v12
	v_cndmask_b32_e32 v10, v10, v11, vcc
	v_cndmask_b32_e32 v11, v12, v13, vcc
	v_lshlrev_b32_e32 v12, 16, v6
	v_mov_b32_e32 v13, 0x3b800000
	v_lshlrev_b32_e32 v10, 20, v10
	v_and_b32_e32 v12, 0x80000000, v12
	v_lshl_add_u32 v11, v11, 23, v13
	v_or3_b32 v10, v12, v11, v10
.LBB18_1420:
	s_or_b64 exec, exec, s[6:7]
	v_lshrrev_b32_e32 v11, 8, v2
	s_movk_i32 s4, 0x7f
	v_cmp_gt_i16_sdwa s[6:7], v11, s4 src0_sel:BYTE_0 src1_sel:DWORD
	s_mov_b64 s[4:5], 0
                                        ; implicit-def: $sgpr10
	s_and_saveexec_b64 s[8:9], s[6:7]
	s_xor_b64 s[6:7], exec, s[8:9]
	s_cbranch_execnz .LBB18_3469
; %bb.1421:
	s_or_saveexec_b64 s[6:7], s[6:7]
	v_mov_b32_e32 v12, s10
	s_xor_b64 exec, exec, s[6:7]
	s_cbranch_execnz .LBB18_3472
.LBB18_1422:
	s_or_b64 exec, exec, s[6:7]
	s_and_saveexec_b64 s[6:7], s[4:5]
	s_cbranch_execz .LBB18_1424
.LBB18_1423:
	v_bfe_u32 v12, v2, 8, 3
	v_ffbh_u32_e32 v14, v12
	v_min_u32_e32 v14, 32, v14
	v_lshrrev_b16_e32 v13, 3, v11
	v_subrev_u32_e32 v15, 28, v14
	v_and_b32_e32 v13, 15, v13
	v_lshlrev_b32_e32 v11, v15, v11
	v_sub_u32_e32 v14, 29, v14
	v_and_b32_e32 v11, 7, v11
	v_cmp_eq_u16_e32 vcc, 0, v13
	v_cndmask_b32_e32 v11, v12, v11, vcc
	v_cndmask_b32_e32 v12, v13, v14, vcc
	v_lshlrev_b32_e32 v13, 16, v2
	v_mov_b32_e32 v14, 0x3b800000
	v_lshlrev_b32_e32 v11, 20, v11
	v_and_b32_e32 v13, 0x80000000, v13
	v_lshl_add_u32 v12, v12, 23, v14
	v_or3_b32 v12, v13, v12, v11
.LBB18_1424:
	s_or_b64 exec, exec, s[6:7]
	s_nop 0
	v_mfma_f32_16x16x4f32 a[0:3], v10, v12, a[0:3]
	s_movk_i32 s4, 0xff
	v_and_b32_sdwa v11, v6, s4 dst_sel:DWORD dst_unused:UNUSED_PAD src0_sel:WORD_1 src1_sel:DWORD
	s_movk_i32 s4, 0x7f
	v_cmp_lt_i16_e32 vcc, s4, v11
	s_mov_b64 s[4:5], 0
                                        ; implicit-def: $sgpr10
	s_and_saveexec_b64 s[6:7], vcc
	s_xor_b64 s[6:7], exec, s[6:7]
	s_cbranch_execnz .LBB18_3473
; %bb.1425:
	s_or_saveexec_b64 s[6:7], s[6:7]
	v_mov_b32_e32 v10, s10
	s_xor_b64 exec, exec, s[6:7]
	s_cbranch_execnz .LBB18_3476
.LBB18_1426:
	s_or_b64 exec, exec, s[6:7]
	s_and_saveexec_b64 s[6:7], s[4:5]
	s_cbranch_execz .LBB18_1428
.LBB18_1427:
	v_bfe_u32 v10, v6, 16, 3
	v_ffbh_u32_e32 v13, v10
	v_min_u32_e32 v13, 32, v13
	v_lshrrev_b32_e32 v11, 19, v6
	v_subrev_u32_e32 v14, 28, v13
	v_and_b32_e32 v11, 15, v11
	v_lshlrev_b32_sdwa v14, v14, v6 dst_sel:DWORD dst_unused:UNUSED_PAD src0_sel:DWORD src1_sel:WORD_1
	v_bfe_u32 v12, v6, 19, 4
	v_sub_u32_e32 v13, 29, v13
	v_and_b32_e32 v14, 7, v14
	v_cmp_eq_u16_e32 vcc, 0, v11
	v_cndmask_b32_e32 v10, v10, v14, vcc
	v_cndmask_b32_e32 v11, v12, v13, vcc
	v_lshlrev_b32_e32 v12, 8, v6
	v_mov_b32_e32 v13, 0x3b800000
	v_lshlrev_b32_e32 v10, 20, v10
	v_and_b32_e32 v12, 0x80000000, v12
	v_lshl_add_u32 v11, v11, 23, v13
	v_or3_b32 v10, v12, v11, v10
.LBB18_1428:
	s_or_b64 exec, exec, s[6:7]
	s_movk_i32 s4, 0xff
	v_and_b32_sdwa v11, v2, s4 dst_sel:DWORD dst_unused:UNUSED_PAD src0_sel:WORD_1 src1_sel:DWORD
	s_movk_i32 s4, 0x7f
	v_cmp_lt_i16_e32 vcc, s4, v11
	s_mov_b64 s[4:5], 0
                                        ; implicit-def: $sgpr10
	s_and_saveexec_b64 s[6:7], vcc
	s_xor_b64 s[6:7], exec, s[6:7]
	s_cbranch_execnz .LBB18_3477
; %bb.1429:
	s_or_saveexec_b64 s[6:7], s[6:7]
	v_mov_b32_e32 v12, s10
	s_xor_b64 exec, exec, s[6:7]
	s_cbranch_execnz .LBB18_3480
.LBB18_1430:
	s_or_b64 exec, exec, s[6:7]
	s_and_saveexec_b64 s[6:7], s[4:5]
	s_cbranch_execz .LBB18_1432
.LBB18_1431:
	v_bfe_u32 v11, v2, 16, 3
	v_ffbh_u32_e32 v14, v11
	v_min_u32_e32 v14, 32, v14
	v_lshrrev_b32_e32 v12, 19, v2
	v_subrev_u32_e32 v15, 28, v14
	v_and_b32_e32 v12, 15, v12
	v_lshlrev_b32_sdwa v15, v15, v2 dst_sel:DWORD dst_unused:UNUSED_PAD src0_sel:DWORD src1_sel:WORD_1
	v_bfe_u32 v13, v2, 19, 4
	v_sub_u32_e32 v14, 29, v14
	v_and_b32_e32 v15, 7, v15
	v_cmp_eq_u16_e32 vcc, 0, v12
	v_cndmask_b32_e32 v11, v11, v15, vcc
	v_cndmask_b32_e32 v12, v13, v14, vcc
	v_lshlrev_b32_e32 v13, 8, v2
	v_mov_b32_e32 v14, 0x3b800000
	v_lshlrev_b32_e32 v11, 20, v11
	v_and_b32_e32 v13, 0x80000000, v13
	v_lshl_add_u32 v12, v12, 23, v14
	v_or3_b32 v12, v13, v12, v11
.LBB18_1432:
	s_or_b64 exec, exec, s[6:7]
	s_nop 0
	v_mfma_f32_16x16x4f32 a[0:3], v10, v12, a[0:3]
	s_movk_i32 s4, 0x7f
	v_cmp_gt_i16_sdwa s[6:7], v6, s4 src0_sel:BYTE_3 src1_sel:DWORD
	s_mov_b64 s[4:5], 0
                                        ; implicit-def: $sgpr10
	s_and_saveexec_b64 s[8:9], s[6:7]
	s_xor_b64 s[6:7], exec, s[8:9]
	s_cbranch_execnz .LBB18_3481
; %bb.1433:
	s_or_saveexec_b64 s[6:7], s[6:7]
	v_mov_b32_e32 v10, s10
	s_xor_b64 exec, exec, s[6:7]
	s_cbranch_execnz .LBB18_3484
.LBB18_1434:
	s_or_b64 exec, exec, s[6:7]
	s_and_saveexec_b64 s[6:7], s[4:5]
	s_cbranch_execz .LBB18_1436
.LBB18_1435:
	v_bfe_u32 v10, v6, 24, 3
	v_ffbh_u32_e32 v14, v10
	v_min_u32_e32 v14, 32, v14
	v_lshrrev_b32_e32 v12, 27, v6
	v_subrev_u32_e32 v15, 28, v14
	v_and_b32_e32 v11, 0x80000000, v6
	v_and_b32_e32 v12, 15, v12
	v_bfe_u32 v13, v6, 27, 4
	v_lshlrev_b32_sdwa v6, v15, v6 dst_sel:DWORD dst_unused:UNUSED_PAD src0_sel:DWORD src1_sel:BYTE_3
	v_sub_u32_e32 v14, 29, v14
	v_and_b32_e32 v6, 7, v6
	v_cmp_eq_u16_e32 vcc, 0, v12
	v_cndmask_b32_e32 v6, v10, v6, vcc
	v_cndmask_b32_e32 v10, v13, v14, vcc
	v_mov_b32_e32 v12, 0x3b800000
	v_lshlrev_b32_e32 v6, 20, v6
	v_lshl_add_u32 v10, v10, 23, v12
	v_or3_b32 v10, v11, v10, v6
.LBB18_1436:
	s_or_b64 exec, exec, s[6:7]
	s_movk_i32 s4, 0x7f
	v_cmp_gt_i16_sdwa s[6:7], v2, s4 src0_sel:BYTE_3 src1_sel:DWORD
	s_mov_b64 s[4:5], 0
                                        ; implicit-def: $sgpr10
	s_and_saveexec_b64 s[8:9], s[6:7]
	s_xor_b64 s[6:7], exec, s[8:9]
	s_cbranch_execnz .LBB18_3485
; %bb.1437:
	s_or_saveexec_b64 s[6:7], s[6:7]
	v_mov_b32_e32 v6, s10
	s_xor_b64 exec, exec, s[6:7]
	s_cbranch_execnz .LBB18_3488
.LBB18_1438:
	s_or_b64 exec, exec, s[6:7]
	s_and_saveexec_b64 s[6:7], s[4:5]
	s_cbranch_execz .LBB18_1440
.LBB18_1439:
	v_bfe_u32 v6, v2, 24, 3
	v_ffbh_u32_e32 v14, v6
	v_min_u32_e32 v14, 32, v14
	v_lshrrev_b32_e32 v12, 27, v2
	v_subrev_u32_e32 v15, 28, v14
	v_and_b32_e32 v11, 0x80000000, v2
	v_and_b32_e32 v12, 15, v12
	v_bfe_u32 v13, v2, 27, 4
	v_lshlrev_b32_sdwa v2, v15, v2 dst_sel:DWORD dst_unused:UNUSED_PAD src0_sel:DWORD src1_sel:BYTE_3
	v_sub_u32_e32 v14, 29, v14
	v_and_b32_e32 v2, 7, v2
	v_cmp_eq_u16_e32 vcc, 0, v12
	v_cndmask_b32_e32 v2, v6, v2, vcc
	v_cndmask_b32_e32 v6, v13, v14, vcc
	v_mov_b32_e32 v12, 0x3b800000
	v_lshlrev_b32_e32 v2, 20, v2
	v_lshl_add_u32 v6, v6, 23, v12
	v_or3_b32 v6, v11, v6, v2
.LBB18_1440:
	s_or_b64 exec, exec, s[6:7]
	s_nop 0
	v_mfma_f32_16x16x4f32 a[0:3], v10, v6, a[0:3]
	s_movk_i32 s4, 0x7f
	v_cmp_gt_i16_sdwa s[6:7], v7, s4 src0_sel:BYTE_0 src1_sel:DWORD
	s_mov_b64 s[4:5], 0
                                        ; implicit-def: $sgpr10
	s_and_saveexec_b64 s[8:9], s[6:7]
	s_xor_b64 s[6:7], exec, s[8:9]
	s_cbranch_execnz .LBB18_3489
; %bb.1441:
	s_or_saveexec_b64 s[6:7], s[6:7]
	v_mov_b32_e32 v2, s10
	s_xor_b64 exec, exec, s[6:7]
	s_cbranch_execnz .LBB18_3492
.LBB18_1442:
	s_or_b64 exec, exec, s[6:7]
	s_and_saveexec_b64 s[6:7], s[4:5]
	s_cbranch_execz .LBB18_1444
.LBB18_1443:
	v_and_b32_e32 v2, 7, v7
	v_ffbh_u32_e32 v10, v2
	v_min_u32_e32 v10, 32, v10
	v_lshrrev_b16_e32 v6, 3, v7
	v_subrev_u32_e32 v11, 28, v10
	v_and_b32_e32 v6, 15, v6
	v_lshlrev_b32_e32 v11, v11, v7
	v_sub_u32_e32 v10, 29, v10
	v_and_b32_e32 v11, 7, v11
	v_cmp_eq_u16_e32 vcc, 0, v6
	v_cndmask_b32_e32 v2, v2, v11, vcc
	v_cndmask_b32_e32 v6, v6, v10, vcc
	v_lshlrev_b32_e32 v10, 24, v7
	v_mov_b32_e32 v11, 0x3b800000
	v_lshlrev_b32_e32 v2, 20, v2
	v_and_b32_e32 v10, 0x80000000, v10
	v_lshl_add_u32 v6, v6, 23, v11
	v_or3_b32 v2, v10, v6, v2
.LBB18_1444:
	s_or_b64 exec, exec, s[6:7]
	s_movk_i32 s4, 0x7f
	v_cmp_gt_i16_sdwa s[6:7], v3, s4 src0_sel:BYTE_0 src1_sel:DWORD
	s_mov_b64 s[4:5], 0
                                        ; implicit-def: $sgpr10
	s_and_saveexec_b64 s[8:9], s[6:7]
	s_xor_b64 s[6:7], exec, s[8:9]
	s_cbranch_execnz .LBB18_3493
; %bb.1445:
	s_or_saveexec_b64 s[6:7], s[6:7]
	v_mov_b32_e32 v6, s10
	s_xor_b64 exec, exec, s[6:7]
	s_cbranch_execnz .LBB18_3496
.LBB18_1446:
	s_or_b64 exec, exec, s[6:7]
	s_and_saveexec_b64 s[6:7], s[4:5]
	s_cbranch_execz .LBB18_1448
.LBB18_1447:
	v_and_b32_e32 v6, 7, v3
	v_ffbh_u32_e32 v11, v6
	v_min_u32_e32 v11, 32, v11
	v_lshrrev_b16_e32 v10, 3, v3
	v_subrev_u32_e32 v12, 28, v11
	v_and_b32_e32 v10, 15, v10
	v_lshlrev_b32_e32 v12, v12, v3
	v_sub_u32_e32 v11, 29, v11
	v_and_b32_e32 v12, 7, v12
	v_cmp_eq_u16_e32 vcc, 0, v10
	v_cndmask_b32_e32 v6, v6, v12, vcc
	v_cndmask_b32_e32 v10, v10, v11, vcc
	v_lshlrev_b32_e32 v11, 24, v3
	v_mov_b32_e32 v12, 0x3b800000
	v_lshlrev_b32_e32 v6, 20, v6
	v_and_b32_e32 v11, 0x80000000, v11
	v_lshl_add_u32 v10, v10, 23, v12
	v_or3_b32 v6, v11, v10, v6
.LBB18_1448:
	s_or_b64 exec, exec, s[6:7]
	s_nop 0
	v_mfma_f32_16x16x4f32 a[0:3], v2, v6, a[0:3]
	v_lshrrev_b32_e32 v6, 8, v7
	s_movk_i32 s4, 0x7f
	v_cmp_gt_i16_sdwa s[6:7], v6, s4 src0_sel:BYTE_0 src1_sel:DWORD
	s_mov_b64 s[4:5], 0
                                        ; implicit-def: $sgpr10
	s_and_saveexec_b64 s[8:9], s[6:7]
	s_xor_b64 s[6:7], exec, s[8:9]
	s_cbranch_execnz .LBB18_3497
; %bb.1449:
	s_or_saveexec_b64 s[6:7], s[6:7]
	v_mov_b32_e32 v2, s10
	s_xor_b64 exec, exec, s[6:7]
	s_cbranch_execnz .LBB18_3500
.LBB18_1450:
	s_or_b64 exec, exec, s[6:7]
	s_and_saveexec_b64 s[6:7], s[4:5]
	s_cbranch_execz .LBB18_1452
.LBB18_1451:
	v_bfe_u32 v2, v7, 8, 3
	v_ffbh_u32_e32 v11, v2
	v_min_u32_e32 v11, 32, v11
	v_lshrrev_b16_e32 v10, 3, v6
	v_subrev_u32_e32 v12, 28, v11
	v_and_b32_e32 v10, 15, v10
	v_lshlrev_b32_e32 v6, v12, v6
	v_sub_u32_e32 v11, 29, v11
	v_and_b32_e32 v6, 7, v6
	v_cmp_eq_u16_e32 vcc, 0, v10
	v_cndmask_b32_e32 v2, v2, v6, vcc
	v_cndmask_b32_e32 v6, v10, v11, vcc
	v_lshlrev_b32_e32 v10, 16, v7
	v_mov_b32_e32 v11, 0x3b800000
	v_lshlrev_b32_e32 v2, 20, v2
	v_and_b32_e32 v10, 0x80000000, v10
	v_lshl_add_u32 v6, v6, 23, v11
	v_or3_b32 v2, v10, v6, v2
.LBB18_1452:
	s_or_b64 exec, exec, s[6:7]
	v_lshrrev_b32_e32 v6, 8, v3
	s_movk_i32 s4, 0x7f
	v_cmp_gt_i16_sdwa s[6:7], v6, s4 src0_sel:BYTE_0 src1_sel:DWORD
	s_mov_b64 s[4:5], 0
                                        ; implicit-def: $sgpr10
	s_and_saveexec_b64 s[8:9], s[6:7]
	s_xor_b64 s[6:7], exec, s[8:9]
	s_cbranch_execnz .LBB18_3501
; %bb.1453:
	s_or_saveexec_b64 s[6:7], s[6:7]
	v_mov_b32_e32 v10, s10
	s_xor_b64 exec, exec, s[6:7]
	s_cbranch_execnz .LBB18_3504
.LBB18_1454:
	s_or_b64 exec, exec, s[6:7]
	s_and_saveexec_b64 s[6:7], s[4:5]
	s_cbranch_execz .LBB18_1456
.LBB18_1455:
	v_bfe_u32 v10, v3, 8, 3
	v_ffbh_u32_e32 v12, v10
	v_min_u32_e32 v12, 32, v12
	v_lshrrev_b16_e32 v11, 3, v6
	v_subrev_u32_e32 v13, 28, v12
	v_and_b32_e32 v11, 15, v11
	v_lshlrev_b32_e32 v6, v13, v6
	v_sub_u32_e32 v12, 29, v12
	v_and_b32_e32 v6, 7, v6
	v_cmp_eq_u16_e32 vcc, 0, v11
	v_cndmask_b32_e32 v6, v10, v6, vcc
	v_cndmask_b32_e32 v10, v11, v12, vcc
	v_lshlrev_b32_e32 v11, 16, v3
	v_mov_b32_e32 v12, 0x3b800000
	v_lshlrev_b32_e32 v6, 20, v6
	v_and_b32_e32 v11, 0x80000000, v11
	v_lshl_add_u32 v10, v10, 23, v12
	v_or3_b32 v10, v11, v10, v6
.LBB18_1456:
	s_or_b64 exec, exec, s[6:7]
	s_nop 0
	v_mfma_f32_16x16x4f32 a[0:3], v2, v10, a[0:3]
	s_movk_i32 s4, 0xff
	v_and_b32_sdwa v6, v7, s4 dst_sel:DWORD dst_unused:UNUSED_PAD src0_sel:WORD_1 src1_sel:DWORD
	s_movk_i32 s4, 0x7f
	v_cmp_lt_i16_e32 vcc, s4, v6
	s_mov_b64 s[4:5], 0
                                        ; implicit-def: $sgpr10
	s_and_saveexec_b64 s[6:7], vcc
	s_xor_b64 s[6:7], exec, s[6:7]
	s_cbranch_execnz .LBB18_3505
; %bb.1457:
	s_or_saveexec_b64 s[6:7], s[6:7]
	v_mov_b32_e32 v2, s10
	s_xor_b64 exec, exec, s[6:7]
	s_cbranch_execnz .LBB18_3508
.LBB18_1458:
	s_or_b64 exec, exec, s[6:7]
	s_and_saveexec_b64 s[6:7], s[4:5]
	s_cbranch_execz .LBB18_1460
.LBB18_1459:
	v_bfe_u32 v2, v7, 16, 3
	v_ffbh_u32_e32 v11, v2
	v_min_u32_e32 v11, 32, v11
	v_lshrrev_b32_e32 v6, 19, v7
	v_subrev_u32_e32 v12, 28, v11
	v_and_b32_e32 v6, 15, v6
	v_lshlrev_b32_sdwa v12, v12, v7 dst_sel:DWORD dst_unused:UNUSED_PAD src0_sel:DWORD src1_sel:WORD_1
	v_bfe_u32 v10, v7, 19, 4
	v_sub_u32_e32 v11, 29, v11
	v_and_b32_e32 v12, 7, v12
	v_cmp_eq_u16_e32 vcc, 0, v6
	v_cndmask_b32_e32 v2, v2, v12, vcc
	v_cndmask_b32_e32 v6, v10, v11, vcc
	v_lshlrev_b32_e32 v10, 8, v7
	v_mov_b32_e32 v11, 0x3b800000
	v_lshlrev_b32_e32 v2, 20, v2
	v_and_b32_e32 v10, 0x80000000, v10
	v_lshl_add_u32 v6, v6, 23, v11
	v_or3_b32 v2, v10, v6, v2
.LBB18_1460:
	s_or_b64 exec, exec, s[6:7]
	s_movk_i32 s4, 0xff
	v_and_b32_sdwa v6, v3, s4 dst_sel:DWORD dst_unused:UNUSED_PAD src0_sel:WORD_1 src1_sel:DWORD
	s_movk_i32 s4, 0x7f
	v_cmp_lt_i16_e32 vcc, s4, v6
	s_mov_b64 s[4:5], 0
                                        ; implicit-def: $sgpr10
	s_and_saveexec_b64 s[6:7], vcc
	s_xor_b64 s[6:7], exec, s[6:7]
	s_cbranch_execnz .LBB18_3509
; %bb.1461:
	s_or_saveexec_b64 s[6:7], s[6:7]
	v_mov_b32_e32 v10, s10
	s_xor_b64 exec, exec, s[6:7]
	s_cbranch_execnz .LBB18_3512
.LBB18_1462:
	s_or_b64 exec, exec, s[6:7]
	s_and_saveexec_b64 s[6:7], s[4:5]
	s_cbranch_execz .LBB18_1464
.LBB18_1463:
	v_bfe_u32 v6, v3, 16, 3
	v_ffbh_u32_e32 v12, v6
	v_min_u32_e32 v12, 32, v12
	v_lshrrev_b32_e32 v10, 19, v3
	v_subrev_u32_e32 v13, 28, v12
	v_and_b32_e32 v10, 15, v10
	v_lshlrev_b32_sdwa v13, v13, v3 dst_sel:DWORD dst_unused:UNUSED_PAD src0_sel:DWORD src1_sel:WORD_1
	v_bfe_u32 v11, v3, 19, 4
	v_sub_u32_e32 v12, 29, v12
	v_and_b32_e32 v13, 7, v13
	v_cmp_eq_u16_e32 vcc, 0, v10
	v_cndmask_b32_e32 v6, v6, v13, vcc
	v_cndmask_b32_e32 v10, v11, v12, vcc
	v_lshlrev_b32_e32 v11, 8, v3
	v_mov_b32_e32 v12, 0x3b800000
	v_lshlrev_b32_e32 v6, 20, v6
	v_and_b32_e32 v11, 0x80000000, v11
	v_lshl_add_u32 v10, v10, 23, v12
	v_or3_b32 v10, v11, v10, v6
.LBB18_1464:
	s_or_b64 exec, exec, s[6:7]
	s_nop 0
	v_mfma_f32_16x16x4f32 a[0:3], v2, v10, a[0:3]
	s_movk_i32 s4, 0x7f
	v_cmp_gt_i16_sdwa s[6:7], v7, s4 src0_sel:BYTE_3 src1_sel:DWORD
	s_mov_b64 s[4:5], 0
                                        ; implicit-def: $sgpr10
	s_and_saveexec_b64 s[8:9], s[6:7]
	s_xor_b64 s[6:7], exec, s[8:9]
	s_cbranch_execnz .LBB18_3513
; %bb.1465:
	s_or_saveexec_b64 s[6:7], s[6:7]
	v_mov_b32_e32 v2, s10
	s_xor_b64 exec, exec, s[6:7]
	s_cbranch_execnz .LBB18_3516
.LBB18_1466:
	s_or_b64 exec, exec, s[6:7]
	s_and_saveexec_b64 s[6:7], s[4:5]
	s_cbranch_execz .LBB18_1468
.LBB18_1467:
	v_bfe_u32 v2, v7, 24, 3
	v_ffbh_u32_e32 v12, v2
	v_min_u32_e32 v12, 32, v12
	v_lshrrev_b32_e32 v10, 27, v7
	v_subrev_u32_e32 v13, 28, v12
	v_and_b32_e32 v6, 0x80000000, v7
	v_and_b32_e32 v10, 15, v10
	v_bfe_u32 v11, v7, 27, 4
	v_lshlrev_b32_sdwa v7, v13, v7 dst_sel:DWORD dst_unused:UNUSED_PAD src0_sel:DWORD src1_sel:BYTE_3
	v_sub_u32_e32 v12, 29, v12
	v_and_b32_e32 v7, 7, v7
	v_cmp_eq_u16_e32 vcc, 0, v10
	v_cndmask_b32_e32 v2, v2, v7, vcc
	v_cndmask_b32_e32 v7, v11, v12, vcc
	v_mov_b32_e32 v10, 0x3b800000
	v_lshlrev_b32_e32 v2, 20, v2
	v_lshl_add_u32 v7, v7, 23, v10
	v_or3_b32 v2, v6, v7, v2
.LBB18_1468:
	s_or_b64 exec, exec, s[6:7]
	s_movk_i32 s4, 0x7f
	v_cmp_gt_i16_sdwa s[6:7], v3, s4 src0_sel:BYTE_3 src1_sel:DWORD
	s_mov_b64 s[4:5], 0
                                        ; implicit-def: $sgpr10
	s_and_saveexec_b64 s[8:9], s[6:7]
	s_xor_b64 s[6:7], exec, s[8:9]
	s_cbranch_execnz .LBB18_3517
; %bb.1469:
	s_or_saveexec_b64 s[6:7], s[6:7]
	v_mov_b32_e32 v6, s10
	s_xor_b64 exec, exec, s[6:7]
	s_cbranch_execnz .LBB18_3520
.LBB18_1470:
	s_or_b64 exec, exec, s[6:7]
	s_and_saveexec_b64 s[6:7], s[4:5]
	s_cbranch_execz .LBB18_1472
.LBB18_1471:
	v_bfe_u32 v6, v3, 24, 3
	v_ffbh_u32_e32 v12, v6
	v_min_u32_e32 v12, 32, v12
	v_lshrrev_b32_e32 v10, 27, v3
	v_subrev_u32_e32 v13, 28, v12
	v_and_b32_e32 v7, 0x80000000, v3
	v_and_b32_e32 v10, 15, v10
	v_bfe_u32 v11, v3, 27, 4
	v_lshlrev_b32_sdwa v3, v13, v3 dst_sel:DWORD dst_unused:UNUSED_PAD src0_sel:DWORD src1_sel:BYTE_3
	v_sub_u32_e32 v12, 29, v12
	v_and_b32_e32 v3, 7, v3
	v_cmp_eq_u16_e32 vcc, 0, v10
	v_cndmask_b32_e32 v3, v6, v3, vcc
	v_cndmask_b32_e32 v6, v11, v12, vcc
	v_mov_b32_e32 v10, 0x3b800000
	v_lshlrev_b32_e32 v3, 20, v3
	v_lshl_add_u32 v6, v6, 23, v10
	v_or3_b32 v6, v7, v6, v3
.LBB18_1472:
	s_or_b64 exec, exec, s[6:7]
	s_nop 0
	v_mfma_f32_16x16x4f32 a[0:3], v2, v6, a[0:3]
	s_movk_i32 s4, 0x7f
	v_cmp_gt_i16_sdwa s[6:7], v8, s4 src0_sel:BYTE_0 src1_sel:DWORD
	s_mov_b64 s[4:5], 0
                                        ; implicit-def: $sgpr10
	s_and_saveexec_b64 s[8:9], s[6:7]
	s_xor_b64 s[6:7], exec, s[8:9]
	s_cbranch_execnz .LBB18_3521
; %bb.1473:
	s_or_saveexec_b64 s[6:7], s[6:7]
	v_mov_b32_e32 v2, s10
	s_xor_b64 exec, exec, s[6:7]
	s_cbranch_execnz .LBB18_3524
.LBB18_1474:
	s_or_b64 exec, exec, s[6:7]
	s_and_saveexec_b64 s[6:7], s[4:5]
	s_cbranch_execz .LBB18_1476
.LBB18_1475:
	v_and_b32_e32 v2, 7, v8
	v_ffbh_u32_e32 v6, v2
	v_min_u32_e32 v6, 32, v6
	v_lshrrev_b16_e32 v3, 3, v8
	v_subrev_u32_e32 v7, 28, v6
	v_and_b32_e32 v3, 15, v3
	v_lshlrev_b32_e32 v7, v7, v8
	v_sub_u32_e32 v6, 29, v6
	v_and_b32_e32 v7, 7, v7
	v_cmp_eq_u16_e32 vcc, 0, v3
	v_cndmask_b32_e32 v2, v2, v7, vcc
	v_cndmask_b32_e32 v3, v3, v6, vcc
	v_lshlrev_b32_e32 v6, 24, v8
	v_mov_b32_e32 v7, 0x3b800000
	v_lshlrev_b32_e32 v2, 20, v2
	v_and_b32_e32 v6, 0x80000000, v6
	v_lshl_add_u32 v3, v3, 23, v7
	v_or3_b32 v2, v6, v3, v2
.LBB18_1476:
	s_or_b64 exec, exec, s[6:7]
	s_movk_i32 s4, 0x7f
	v_cmp_gt_i16_sdwa s[6:7], v4, s4 src0_sel:BYTE_0 src1_sel:DWORD
	s_mov_b64 s[4:5], 0
                                        ; implicit-def: $sgpr10
	s_and_saveexec_b64 s[8:9], s[6:7]
	s_xor_b64 s[6:7], exec, s[8:9]
	s_cbranch_execnz .LBB18_3525
; %bb.1477:
	s_or_saveexec_b64 s[6:7], s[6:7]
	v_mov_b32_e32 v3, s10
	s_xor_b64 exec, exec, s[6:7]
	s_cbranch_execnz .LBB18_3528
.LBB18_1478:
	s_or_b64 exec, exec, s[6:7]
	s_and_saveexec_b64 s[6:7], s[4:5]
	s_cbranch_execz .LBB18_1480
.LBB18_1479:
	v_and_b32_e32 v3, 7, v4
	v_ffbh_u32_e32 v7, v3
	v_min_u32_e32 v7, 32, v7
	v_lshrrev_b16_e32 v6, 3, v4
	v_subrev_u32_e32 v10, 28, v7
	v_and_b32_e32 v6, 15, v6
	v_lshlrev_b32_e32 v10, v10, v4
	v_sub_u32_e32 v7, 29, v7
	v_and_b32_e32 v10, 7, v10
	v_cmp_eq_u16_e32 vcc, 0, v6
	v_cndmask_b32_e32 v3, v3, v10, vcc
	v_cndmask_b32_e32 v6, v6, v7, vcc
	v_lshlrev_b32_e32 v7, 24, v4
	v_mov_b32_e32 v10, 0x3b800000
	v_lshlrev_b32_e32 v3, 20, v3
	v_and_b32_e32 v7, 0x80000000, v7
	v_lshl_add_u32 v6, v6, 23, v10
	v_or3_b32 v3, v7, v6, v3
.LBB18_1480:
	s_or_b64 exec, exec, s[6:7]
	s_nop 0
	v_mfma_f32_16x16x4f32 a[0:3], v2, v3, a[0:3]
	v_lshrrev_b32_e32 v3, 8, v8
	s_movk_i32 s4, 0x7f
	v_cmp_gt_i16_sdwa s[6:7], v3, s4 src0_sel:BYTE_0 src1_sel:DWORD
	s_mov_b64 s[4:5], 0
                                        ; implicit-def: $sgpr10
	s_and_saveexec_b64 s[8:9], s[6:7]
	s_xor_b64 s[6:7], exec, s[8:9]
	s_cbranch_execnz .LBB18_3529
; %bb.1481:
	s_or_saveexec_b64 s[6:7], s[6:7]
	v_mov_b32_e32 v2, s10
	s_xor_b64 exec, exec, s[6:7]
	s_cbranch_execnz .LBB18_3532
.LBB18_1482:
	s_or_b64 exec, exec, s[6:7]
	s_and_saveexec_b64 s[6:7], s[4:5]
	s_cbranch_execz .LBB18_1484
.LBB18_1483:
	v_bfe_u32 v2, v8, 8, 3
	v_ffbh_u32_e32 v7, v2
	v_min_u32_e32 v7, 32, v7
	v_lshrrev_b16_e32 v6, 3, v3
	v_subrev_u32_e32 v10, 28, v7
	v_and_b32_e32 v6, 15, v6
	v_lshlrev_b32_e32 v3, v10, v3
	v_sub_u32_e32 v7, 29, v7
	v_and_b32_e32 v3, 7, v3
	v_cmp_eq_u16_e32 vcc, 0, v6
	v_cndmask_b32_e32 v2, v2, v3, vcc
	v_cndmask_b32_e32 v3, v6, v7, vcc
	v_lshlrev_b32_e32 v6, 16, v8
	v_mov_b32_e32 v7, 0x3b800000
	v_lshlrev_b32_e32 v2, 20, v2
	v_and_b32_e32 v6, 0x80000000, v6
	v_lshl_add_u32 v3, v3, 23, v7
	v_or3_b32 v2, v6, v3, v2
.LBB18_1484:
	s_or_b64 exec, exec, s[6:7]
	v_lshrrev_b32_e32 v3, 8, v4
	s_movk_i32 s4, 0x7f
	v_cmp_gt_i16_sdwa s[6:7], v3, s4 src0_sel:BYTE_0 src1_sel:DWORD
	s_mov_b64 s[4:5], 0
                                        ; implicit-def: $sgpr10
	s_and_saveexec_b64 s[8:9], s[6:7]
	s_xor_b64 s[6:7], exec, s[8:9]
	s_cbranch_execnz .LBB18_3533
; %bb.1485:
	s_or_saveexec_b64 s[6:7], s[6:7]
	v_mov_b32_e32 v6, s10
	s_xor_b64 exec, exec, s[6:7]
	s_cbranch_execnz .LBB18_3536
.LBB18_1486:
	s_or_b64 exec, exec, s[6:7]
	s_and_saveexec_b64 s[6:7], s[4:5]
	s_cbranch_execz .LBB18_1488
.LBB18_1487:
	v_bfe_u32 v6, v4, 8, 3
	v_ffbh_u32_e32 v10, v6
	v_min_u32_e32 v10, 32, v10
	v_lshrrev_b16_e32 v7, 3, v3
	v_subrev_u32_e32 v11, 28, v10
	v_and_b32_e32 v7, 15, v7
	v_lshlrev_b32_e32 v3, v11, v3
	v_sub_u32_e32 v10, 29, v10
	v_and_b32_e32 v3, 7, v3
	v_cmp_eq_u16_e32 vcc, 0, v7
	v_cndmask_b32_e32 v3, v6, v3, vcc
	v_cndmask_b32_e32 v6, v7, v10, vcc
	v_lshlrev_b32_e32 v7, 16, v4
	v_mov_b32_e32 v10, 0x3b800000
	v_lshlrev_b32_e32 v3, 20, v3
	v_and_b32_e32 v7, 0x80000000, v7
	v_lshl_add_u32 v6, v6, 23, v10
	v_or3_b32 v6, v7, v6, v3
.LBB18_1488:
	s_or_b64 exec, exec, s[6:7]
	s_nop 0
	v_mfma_f32_16x16x4f32 a[0:3], v2, v6, a[0:3]
	s_movk_i32 s4, 0xff
	v_and_b32_sdwa v3, v8, s4 dst_sel:DWORD dst_unused:UNUSED_PAD src0_sel:WORD_1 src1_sel:DWORD
	s_movk_i32 s4, 0x7f
	v_cmp_lt_i16_e32 vcc, s4, v3
	s_mov_b64 s[4:5], 0
                                        ; implicit-def: $sgpr10
	s_and_saveexec_b64 s[6:7], vcc
	s_xor_b64 s[6:7], exec, s[6:7]
	s_cbranch_execnz .LBB18_3537
; %bb.1489:
	s_or_saveexec_b64 s[6:7], s[6:7]
	v_mov_b32_e32 v2, s10
	s_xor_b64 exec, exec, s[6:7]
	s_cbranch_execnz .LBB18_3540
.LBB18_1490:
	s_or_b64 exec, exec, s[6:7]
	s_and_saveexec_b64 s[6:7], s[4:5]
	s_cbranch_execz .LBB18_1492
.LBB18_1491:
	v_bfe_u32 v2, v8, 16, 3
	v_ffbh_u32_e32 v7, v2
	v_min_u32_e32 v7, 32, v7
	v_lshrrev_b32_e32 v3, 19, v8
	v_subrev_u32_e32 v10, 28, v7
	v_and_b32_e32 v3, 15, v3
	v_lshlrev_b32_sdwa v10, v10, v8 dst_sel:DWORD dst_unused:UNUSED_PAD src0_sel:DWORD src1_sel:WORD_1
	v_bfe_u32 v6, v8, 19, 4
	v_sub_u32_e32 v7, 29, v7
	v_and_b32_e32 v10, 7, v10
	v_cmp_eq_u16_e32 vcc, 0, v3
	v_cndmask_b32_e32 v2, v2, v10, vcc
	v_cndmask_b32_e32 v3, v6, v7, vcc
	v_lshlrev_b32_e32 v6, 8, v8
	v_mov_b32_e32 v7, 0x3b800000
	v_lshlrev_b32_e32 v2, 20, v2
	v_and_b32_e32 v6, 0x80000000, v6
	v_lshl_add_u32 v3, v3, 23, v7
	v_or3_b32 v2, v6, v3, v2
.LBB18_1492:
	s_or_b64 exec, exec, s[6:7]
	s_movk_i32 s4, 0xff
	v_and_b32_sdwa v3, v4, s4 dst_sel:DWORD dst_unused:UNUSED_PAD src0_sel:WORD_1 src1_sel:DWORD
	s_movk_i32 s4, 0x7f
	v_cmp_lt_i16_e32 vcc, s4, v3
	s_mov_b64 s[4:5], 0
                                        ; implicit-def: $sgpr10
	s_and_saveexec_b64 s[6:7], vcc
	s_xor_b64 s[6:7], exec, s[6:7]
	s_cbranch_execnz .LBB18_3541
; %bb.1493:
	s_or_saveexec_b64 s[6:7], s[6:7]
	v_mov_b32_e32 v6, s10
	s_xor_b64 exec, exec, s[6:7]
	s_cbranch_execnz .LBB18_3544
.LBB18_1494:
	s_or_b64 exec, exec, s[6:7]
	s_and_saveexec_b64 s[6:7], s[4:5]
	s_cbranch_execz .LBB18_1496
.LBB18_1495:
	v_bfe_u32 v3, v4, 16, 3
	v_ffbh_u32_e32 v10, v3
	v_min_u32_e32 v10, 32, v10
	v_lshrrev_b32_e32 v6, 19, v4
	v_subrev_u32_e32 v11, 28, v10
	v_and_b32_e32 v6, 15, v6
	v_lshlrev_b32_sdwa v11, v11, v4 dst_sel:DWORD dst_unused:UNUSED_PAD src0_sel:DWORD src1_sel:WORD_1
	v_bfe_u32 v7, v4, 19, 4
	v_sub_u32_e32 v10, 29, v10
	v_and_b32_e32 v11, 7, v11
	v_cmp_eq_u16_e32 vcc, 0, v6
	v_cndmask_b32_e32 v3, v3, v11, vcc
	v_cndmask_b32_e32 v6, v7, v10, vcc
	v_lshlrev_b32_e32 v7, 8, v4
	v_mov_b32_e32 v10, 0x3b800000
	v_lshlrev_b32_e32 v3, 20, v3
	v_and_b32_e32 v7, 0x80000000, v7
	v_lshl_add_u32 v6, v6, 23, v10
	v_or3_b32 v6, v7, v6, v3
.LBB18_1496:
	s_or_b64 exec, exec, s[6:7]
	s_nop 0
	v_mfma_f32_16x16x4f32 a[0:3], v2, v6, a[0:3]
	s_movk_i32 s4, 0x7f
	v_cmp_gt_i16_sdwa s[6:7], v8, s4 src0_sel:BYTE_3 src1_sel:DWORD
	s_mov_b64 s[4:5], 0
                                        ; implicit-def: $sgpr10
	s_and_saveexec_b64 s[8:9], s[6:7]
	s_xor_b64 s[6:7], exec, s[8:9]
	s_cbranch_execnz .LBB18_3545
; %bb.1497:
	s_or_saveexec_b64 s[6:7], s[6:7]
	v_mov_b32_e32 v2, s10
	s_xor_b64 exec, exec, s[6:7]
	s_cbranch_execnz .LBB18_3548
.LBB18_1498:
	s_or_b64 exec, exec, s[6:7]
	s_and_saveexec_b64 s[6:7], s[4:5]
	s_cbranch_execz .LBB18_1500
.LBB18_1499:
	v_bfe_u32 v2, v8, 24, 3
	v_ffbh_u32_e32 v10, v2
	v_min_u32_e32 v10, 32, v10
	v_lshrrev_b32_e32 v6, 27, v8
	v_subrev_u32_e32 v11, 28, v10
	v_and_b32_e32 v3, 0x80000000, v8
	v_and_b32_e32 v6, 15, v6
	v_bfe_u32 v7, v8, 27, 4
	v_lshlrev_b32_sdwa v8, v11, v8 dst_sel:DWORD dst_unused:UNUSED_PAD src0_sel:DWORD src1_sel:BYTE_3
	v_sub_u32_e32 v10, 29, v10
	v_and_b32_e32 v8, 7, v8
	v_cmp_eq_u16_e32 vcc, 0, v6
	v_cndmask_b32_e32 v2, v2, v8, vcc
	v_cndmask_b32_e32 v6, v7, v10, vcc
	v_mov_b32_e32 v7, 0x3b800000
	v_lshlrev_b32_e32 v2, 20, v2
	v_lshl_add_u32 v6, v6, 23, v7
	v_or3_b32 v2, v3, v6, v2
.LBB18_1500:
	s_or_b64 exec, exec, s[6:7]
	s_movk_i32 s4, 0x7f
	v_cmp_gt_i16_sdwa s[6:7], v4, s4 src0_sel:BYTE_3 src1_sel:DWORD
	s_mov_b64 s[4:5], 0
                                        ; implicit-def: $sgpr10
	s_and_saveexec_b64 s[8:9], s[6:7]
	s_xor_b64 s[6:7], exec, s[8:9]
	s_cbranch_execnz .LBB18_3549
; %bb.1501:
	s_or_saveexec_b64 s[6:7], s[6:7]
	v_mov_b32_e32 v3, s10
	s_xor_b64 exec, exec, s[6:7]
	s_cbranch_execnz .LBB18_3552
.LBB18_1502:
	s_or_b64 exec, exec, s[6:7]
	s_and_saveexec_b64 s[6:7], s[4:5]
	s_cbranch_execz .LBB18_1504
.LBB18_1503:
	v_bfe_u32 v3, v4, 24, 3
	v_ffbh_u32_e32 v10, v3
	v_min_u32_e32 v10, 32, v10
	v_lshrrev_b32_e32 v7, 27, v4
	v_subrev_u32_e32 v11, 28, v10
	v_and_b32_e32 v6, 0x80000000, v4
	v_and_b32_e32 v7, 15, v7
	v_bfe_u32 v8, v4, 27, 4
	v_lshlrev_b32_sdwa v4, v11, v4 dst_sel:DWORD dst_unused:UNUSED_PAD src0_sel:DWORD src1_sel:BYTE_3
	v_sub_u32_e32 v10, 29, v10
	v_and_b32_e32 v4, 7, v4
	v_cmp_eq_u16_e32 vcc, 0, v7
	v_cndmask_b32_e32 v3, v3, v4, vcc
	v_cndmask_b32_e32 v4, v8, v10, vcc
	v_mov_b32_e32 v7, 0x3b800000
	v_lshlrev_b32_e32 v3, 20, v3
	v_lshl_add_u32 v4, v4, 23, v7
	v_or3_b32 v3, v6, v4, v3
.LBB18_1504:
	s_or_b64 exec, exec, s[6:7]
	s_nop 0
	v_mfma_f32_16x16x4f32 a[0:3], v2, v3, a[0:3]
	s_movk_i32 s4, 0x7f
	v_cmp_gt_i16_sdwa s[6:7], v9, s4 src0_sel:BYTE_0 src1_sel:DWORD
	s_mov_b64 s[4:5], 0
                                        ; implicit-def: $sgpr10
	s_and_saveexec_b64 s[8:9], s[6:7]
	s_xor_b64 s[6:7], exec, s[8:9]
	s_cbranch_execnz .LBB18_3553
; %bb.1505:
	s_or_saveexec_b64 s[6:7], s[6:7]
	v_mov_b32_e32 v2, s10
	s_xor_b64 exec, exec, s[6:7]
	s_cbranch_execnz .LBB18_3556
.LBB18_1506:
	s_or_b64 exec, exec, s[6:7]
	s_and_saveexec_b64 s[6:7], s[4:5]
	s_cbranch_execz .LBB18_1508
.LBB18_1507:
	v_mov_b32_e32 v2, 8
	v_and_b32_e32 v3, 7, v9
	v_lshrrev_b32_sdwa v2, v2, v9 dst_sel:BYTE_1 dst_unused:UNUSED_PAD src0_sel:DWORD src1_sel:DWORD
	v_ffbh_u32_e32 v4, v3
	v_or_b32_sdwa v2, v9, v2 dst_sel:DWORD dst_unused:UNUSED_PAD src0_sel:BYTE_0 src1_sel:DWORD
	v_min_u32_e32 v4, 32, v4
	v_lshrrev_b16_e32 v2, 3, v2
	v_subrev_u32_e32 v6, 28, v4
	v_and_b32_e32 v2, 15, v2
	v_lshlrev_b32_e32 v6, v6, v9
	v_sub_u32_e32 v4, 29, v4
	v_and_b32_e32 v6, 7, v6
	v_cmp_eq_u16_e32 vcc, 0, v2
	v_cndmask_b32_e32 v3, v3, v6, vcc
	v_cndmask_b32_e32 v2, v2, v4, vcc
	v_lshlrev_b32_e32 v4, 24, v9
	v_mov_b32_e32 v6, 0x3b800000
	v_lshlrev_b32_e32 v3, 20, v3
	v_and_b32_e32 v4, 0x80000000, v4
	v_lshl_add_u32 v2, v2, 23, v6
	v_or3_b32 v2, v4, v2, v3
.LBB18_1508:
	s_or_b64 exec, exec, s[6:7]
	s_movk_i32 s4, 0x7f
	v_cmp_gt_i16_sdwa s[6:7], v5, s4 src0_sel:BYTE_0 src1_sel:DWORD
	s_mov_b64 s[4:5], 0
                                        ; implicit-def: $sgpr10
	s_and_saveexec_b64 s[8:9], s[6:7]
	s_xor_b64 s[6:7], exec, s[8:9]
	s_cbranch_execnz .LBB18_3557
; %bb.1509:
	s_or_saveexec_b64 s[6:7], s[6:7]
	v_mov_b32_e32 v3, s10
	s_xor_b64 exec, exec, s[6:7]
	s_cbranch_execnz .LBB18_3560
.LBB18_1510:
	s_or_b64 exec, exec, s[6:7]
	s_and_saveexec_b64 s[6:7], s[4:5]
	s_cbranch_execz .LBB18_1512
.LBB18_1511:
	v_mov_b32_e32 v3, 8
	v_and_b32_e32 v4, 7, v5
	v_lshrrev_b32_sdwa v3, v3, v5 dst_sel:BYTE_1 dst_unused:UNUSED_PAD src0_sel:DWORD src1_sel:DWORD
	v_ffbh_u32_e32 v6, v4
	v_or_b32_sdwa v3, v5, v3 dst_sel:DWORD dst_unused:UNUSED_PAD src0_sel:BYTE_0 src1_sel:DWORD
	v_min_u32_e32 v6, 32, v6
	v_lshrrev_b16_e32 v3, 3, v3
	v_subrev_u32_e32 v7, 28, v6
	v_and_b32_e32 v3, 15, v3
	v_lshlrev_b32_e32 v7, v7, v5
	v_sub_u32_e32 v6, 29, v6
	v_and_b32_e32 v7, 7, v7
	v_cmp_eq_u16_e32 vcc, 0, v3
	v_cndmask_b32_e32 v4, v4, v7, vcc
	v_cndmask_b32_e32 v3, v3, v6, vcc
	v_lshlrev_b32_e32 v6, 24, v5
	v_mov_b32_e32 v7, 0x3b800000
	v_lshlrev_b32_e32 v4, 20, v4
	v_and_b32_e32 v6, 0x80000000, v6
	v_lshl_add_u32 v3, v3, 23, v7
	v_or3_b32 v3, v6, v3, v4
.LBB18_1512:
	s_or_b64 exec, exec, s[6:7]
	s_nop 0
	v_mfma_f32_16x16x4f32 a[0:3], v2, v3, a[0:3]
	v_lshrrev_b32_e32 v3, 8, v9
	s_movk_i32 s4, 0x7f
	v_cmp_gt_i16_sdwa s[6:7], v3, s4 src0_sel:BYTE_0 src1_sel:DWORD
	s_mov_b64 s[4:5], 0
                                        ; implicit-def: $sgpr10
	s_and_saveexec_b64 s[8:9], s[6:7]
	s_xor_b64 s[6:7], exec, s[8:9]
	s_cbranch_execnz .LBB18_3561
; %bb.1513:
	s_or_saveexec_b64 s[6:7], s[6:7]
	v_mov_b32_e32 v2, s10
	s_xor_b64 exec, exec, s[6:7]
	s_cbranch_execnz .LBB18_3564
.LBB18_1514:
	s_or_b64 exec, exec, s[6:7]
	s_and_saveexec_b64 s[6:7], s[4:5]
	s_cbranch_execz .LBB18_1516
.LBB18_1515:
	v_bfe_u32 v2, v9, 8, 3
	v_ffbh_u32_e32 v6, v2
	v_min_u32_e32 v6, 32, v6
	v_lshrrev_b16_e32 v4, 3, v3
	v_subrev_u32_e32 v7, 28, v6
	v_and_b32_e32 v4, 15, v4
	v_lshlrev_b32_e32 v3, v7, v3
	v_sub_u32_e32 v6, 29, v6
	v_and_b32_e32 v3, 7, v3
	v_cmp_eq_u16_e32 vcc, 0, v4
	v_cndmask_b32_e32 v2, v2, v3, vcc
	v_cndmask_b32_e32 v3, v4, v6, vcc
	v_lshlrev_b32_e32 v4, 16, v9
	v_mov_b32_e32 v6, 0x3b800000
	v_lshlrev_b32_e32 v2, 20, v2
	v_and_b32_e32 v4, 0x80000000, v4
	v_lshl_add_u32 v3, v3, 23, v6
	v_or3_b32 v2, v4, v3, v2
.LBB18_1516:
	s_or_b64 exec, exec, s[6:7]
	v_lshrrev_b32_e32 v3, 8, v5
	s_movk_i32 s4, 0x7f
	v_cmp_gt_i16_sdwa s[6:7], v3, s4 src0_sel:BYTE_0 src1_sel:DWORD
	s_mov_b64 s[4:5], 0
                                        ; implicit-def: $sgpr10
	s_and_saveexec_b64 s[8:9], s[6:7]
	s_xor_b64 s[6:7], exec, s[8:9]
	s_cbranch_execnz .LBB18_3565
; %bb.1517:
	s_or_saveexec_b64 s[6:7], s[6:7]
	v_mov_b32_e32 v4, s10
	s_xor_b64 exec, exec, s[6:7]
	s_cbranch_execnz .LBB18_3568
.LBB18_1518:
	s_or_b64 exec, exec, s[6:7]
	s_and_saveexec_b64 s[6:7], s[4:5]
	s_cbranch_execz .LBB18_1520
.LBB18_1519:
	v_bfe_u32 v4, v5, 8, 3
	v_ffbh_u32_e32 v7, v4
	v_min_u32_e32 v7, 32, v7
	v_lshrrev_b16_e32 v6, 3, v3
	v_subrev_u32_e32 v8, 28, v7
	v_and_b32_e32 v6, 15, v6
	v_lshlrev_b32_e32 v3, v8, v3
	v_sub_u32_e32 v7, 29, v7
	v_and_b32_e32 v3, 7, v3
	v_cmp_eq_u16_e32 vcc, 0, v6
	v_cndmask_b32_e32 v3, v4, v3, vcc
	v_cndmask_b32_e32 v4, v6, v7, vcc
	v_lshlrev_b32_e32 v6, 16, v5
	v_mov_b32_e32 v7, 0x3b800000
	v_lshlrev_b32_e32 v3, 20, v3
	v_and_b32_e32 v6, 0x80000000, v6
	v_lshl_add_u32 v4, v4, 23, v7
	v_or3_b32 v4, v6, v4, v3
.LBB18_1520:
	s_or_b64 exec, exec, s[6:7]
	s_nop 0
	v_mfma_f32_16x16x4f32 a[0:3], v2, v4, a[0:3]
	s_movk_i32 s4, 0xff
	v_and_b32_sdwa v3, v9, s4 dst_sel:DWORD dst_unused:UNUSED_PAD src0_sel:WORD_1 src1_sel:DWORD
	s_movk_i32 s4, 0x7f
	v_cmp_lt_i16_e32 vcc, s4, v3
	s_mov_b64 s[4:5], 0
                                        ; implicit-def: $sgpr10
	s_and_saveexec_b64 s[6:7], vcc
	s_xor_b64 s[6:7], exec, s[6:7]
	s_cbranch_execnz .LBB18_3569
; %bb.1521:
	s_or_saveexec_b64 s[6:7], s[6:7]
	v_mov_b32_e32 v2, s10
	s_xor_b64 exec, exec, s[6:7]
	s_cbranch_execnz .LBB18_3572
.LBB18_1522:
	s_or_b64 exec, exec, s[6:7]
	s_and_saveexec_b64 s[6:7], s[4:5]
	s_cbranch_execz .LBB18_1524
.LBB18_1523:
	v_bfe_u32 v2, v9, 16, 3
	v_ffbh_u32_e32 v6, v2
	v_min_u32_e32 v6, 32, v6
	v_lshrrev_b32_e32 v3, 19, v9
	v_subrev_u32_e32 v7, 28, v6
	v_and_b32_e32 v3, 15, v3
	v_lshlrev_b32_sdwa v7, v7, v9 dst_sel:DWORD dst_unused:UNUSED_PAD src0_sel:DWORD src1_sel:WORD_1
	v_bfe_u32 v4, v9, 19, 4
	v_sub_u32_e32 v6, 29, v6
	v_and_b32_e32 v7, 7, v7
	v_cmp_eq_u16_e32 vcc, 0, v3
	v_cndmask_b32_e32 v2, v2, v7, vcc
	v_cndmask_b32_e32 v3, v4, v6, vcc
	v_lshlrev_b32_e32 v4, 8, v9
	v_mov_b32_e32 v6, 0x3b800000
	v_lshlrev_b32_e32 v2, 20, v2
	v_and_b32_e32 v4, 0x80000000, v4
	v_lshl_add_u32 v3, v3, 23, v6
	v_or3_b32 v2, v4, v3, v2
.LBB18_1524:
	s_or_b64 exec, exec, s[6:7]
	s_movk_i32 s4, 0xff
	v_and_b32_sdwa v3, v5, s4 dst_sel:DWORD dst_unused:UNUSED_PAD src0_sel:WORD_1 src1_sel:DWORD
	s_movk_i32 s4, 0x7f
	v_cmp_lt_i16_e32 vcc, s4, v3
	s_mov_b64 s[4:5], 0
                                        ; implicit-def: $sgpr10
	s_and_saveexec_b64 s[6:7], vcc
	s_xor_b64 s[6:7], exec, s[6:7]
	s_cbranch_execnz .LBB18_3573
; %bb.1525:
	s_or_saveexec_b64 s[6:7], s[6:7]
	v_mov_b32_e32 v4, s10
	s_xor_b64 exec, exec, s[6:7]
	s_cbranch_execnz .LBB18_3576
.LBB18_1526:
	s_or_b64 exec, exec, s[6:7]
	s_and_saveexec_b64 s[6:7], s[4:5]
	s_cbranch_execz .LBB18_1528
.LBB18_1527:
	v_bfe_u32 v3, v5, 16, 3
	v_ffbh_u32_e32 v7, v3
	v_min_u32_e32 v7, 32, v7
	v_lshrrev_b32_e32 v4, 19, v5
	v_subrev_u32_e32 v8, 28, v7
	v_and_b32_e32 v4, 15, v4
	v_lshlrev_b32_sdwa v8, v8, v5 dst_sel:DWORD dst_unused:UNUSED_PAD src0_sel:DWORD src1_sel:WORD_1
	v_bfe_u32 v6, v5, 19, 4
	v_sub_u32_e32 v7, 29, v7
	v_and_b32_e32 v8, 7, v8
	v_cmp_eq_u16_e32 vcc, 0, v4
	v_cndmask_b32_e32 v3, v3, v8, vcc
	v_cndmask_b32_e32 v4, v6, v7, vcc
	v_lshlrev_b32_e32 v6, 8, v5
	v_mov_b32_e32 v7, 0x3b800000
	v_lshlrev_b32_e32 v3, 20, v3
	v_and_b32_e32 v6, 0x80000000, v6
	v_lshl_add_u32 v4, v4, 23, v7
	v_or3_b32 v4, v6, v4, v3
.LBB18_1528:
	s_or_b64 exec, exec, s[6:7]
	s_nop 0
	v_mfma_f32_16x16x4f32 a[0:3], v2, v4, a[0:3]
	s_movk_i32 s4, 0x7f
	v_cmp_gt_i16_sdwa s[6:7], v9, s4 src0_sel:BYTE_3 src1_sel:DWORD
	s_mov_b64 s[4:5], 0
                                        ; implicit-def: $sgpr10
	s_and_saveexec_b64 s[8:9], s[6:7]
	s_xor_b64 s[6:7], exec, s[8:9]
	s_cbranch_execnz .LBB18_3577
; %bb.1529:
	s_or_saveexec_b64 s[6:7], s[6:7]
	v_mov_b32_e32 v2, s10
	s_xor_b64 exec, exec, s[6:7]
	s_cbranch_execnz .LBB18_3580
.LBB18_1530:
	s_or_b64 exec, exec, s[6:7]
	s_and_saveexec_b64 s[6:7], s[4:5]
	s_cbranch_execz .LBB18_1532
.LBB18_1531:
	v_bfe_u32 v2, v9, 24, 3
	v_ffbh_u32_e32 v7, v2
	v_min_u32_e32 v7, 32, v7
	v_lshrrev_b32_e32 v4, 27, v9
	v_subrev_u32_e32 v8, 28, v7
	v_and_b32_e32 v4, 15, v4
	v_lshlrev_b32_sdwa v8, v8, v9 dst_sel:DWORD dst_unused:UNUSED_PAD src0_sel:DWORD src1_sel:BYTE_3
	v_bfe_u32 v6, v9, 27, 4
	v_sub_u32_e32 v7, 29, v7
	v_and_b32_e32 v8, 7, v8
	v_cmp_eq_u16_e32 vcc, 0, v4
	v_cndmask_b32_e32 v2, v2, v8, vcc
	v_cndmask_b32_e32 v4, v6, v7, vcc
	v_mov_b32_e32 v6, 0x3b800000
	v_and_b32_e32 v3, 0x80000000, v9
	v_lshlrev_b32_e32 v2, 20, v2
	v_lshl_add_u32 v4, v4, 23, v6
	v_or3_b32 v2, v3, v4, v2
.LBB18_1532:
	s_or_b64 exec, exec, s[6:7]
	s_movk_i32 s4, 0x7f
	v_cmp_gt_i16_sdwa s[6:7], v5, s4 src0_sel:BYTE_3 src1_sel:DWORD
	s_mov_b64 s[4:5], 0
                                        ; implicit-def: $sgpr10
	s_and_saveexec_b64 s[8:9], s[6:7]
	s_xor_b64 s[6:7], exec, s[8:9]
	s_cbranch_execnz .LBB18_3581
; %bb.1533:
	s_or_saveexec_b64 s[6:7], s[6:7]
	v_mov_b32_e32 v3, s10
	s_xor_b64 exec, exec, s[6:7]
	s_cbranch_execnz .LBB18_3584
.LBB18_1534:
	s_or_b64 exec, exec, s[6:7]
	s_and_saveexec_b64 s[6:7], s[4:5]
	s_cbranch_execz .LBB18_1536
.LBB18_1535:
	v_bfe_u32 v3, v5, 24, 3
	v_ffbh_u32_e32 v8, v3
	v_min_u32_e32 v8, 32, v8
	v_lshrrev_b32_e32 v6, 27, v5
	v_subrev_u32_e32 v9, 28, v8
	v_and_b32_e32 v4, 0x80000000, v5
	v_and_b32_e32 v6, 15, v6
	v_bfe_u32 v7, v5, 27, 4
	v_lshlrev_b32_sdwa v5, v9, v5 dst_sel:DWORD dst_unused:UNUSED_PAD src0_sel:DWORD src1_sel:BYTE_3
	v_sub_u32_e32 v8, 29, v8
	v_and_b32_e32 v5, 7, v5
	v_cmp_eq_u16_e32 vcc, 0, v6
	v_cndmask_b32_e32 v3, v3, v5, vcc
	v_cndmask_b32_e32 v5, v7, v8, vcc
	v_mov_b32_e32 v6, 0x3b800000
	v_lshlrev_b32_e32 v3, 20, v3
	v_lshl_add_u32 v5, v5, 23, v6
	v_or3_b32 v3, v4, v5, v3
.LBB18_1536:
	s_or_b64 exec, exec, s[6:7]
	s_nop 0
	v_mfma_f32_16x16x4f32 a[0:3], v2, v3, a[0:3]
	s_movk_i32 s4, 0x7f
                                        ; implicit-def: $sgpr10
	s_nop 7
	s_nop 1
	flat_store_dwordx4 v[18:19], a[0:3] offset:80
	flat_load_dwordx4 v[20:23], v[0:1] offset:8
	s_nop 0
	flat_load_dwordx2 v[18:19], v[0:1] offset:24
	s_waitcnt vmcnt(0) lgkmcnt(0)
	flat_load_dwordx4 v[14:17], v[20:21]
	flat_load_dwordx4 v[6:9], v[20:21] offset:16
	flat_load_dwordx4 v[10:13], v[22:23] offset:192
	;; [unrolled: 1-line block ×3, first 2 shown]
	s_waitcnt vmcnt(0) lgkmcnt(0)
	v_cmp_gt_i16_sdwa s[6:7], v14, s4 src0_sel:BYTE_0 src1_sel:DWORD
	s_mov_b64 s[4:5], 0
	s_and_saveexec_b64 s[8:9], s[6:7]
	s_xor_b64 s[6:7], exec, s[8:9]
	s_cbranch_execnz .LBB18_3585
; %bb.1537:
	s_or_saveexec_b64 s[6:7], s[6:7]
	v_mov_b32_e32 v20, s10
	s_xor_b64 exec, exec, s[6:7]
	s_cbranch_execnz .LBB18_3588
.LBB18_1538:
	s_or_b64 exec, exec, s[6:7]
	s_and_saveexec_b64 s[6:7], s[4:5]
	s_cbranch_execz .LBB18_1540
.LBB18_1539:
	v_and_b32_e32 v20, 7, v14
	v_ffbh_u32_e32 v22, v20
	v_min_u32_e32 v22, 32, v22
	v_lshrrev_b16_e32 v21, 3, v14
	v_subrev_u32_e32 v23, 28, v22
	v_and_b32_e32 v21, 15, v21
	v_lshlrev_b32_e32 v23, v23, v14
	v_sub_u32_e32 v22, 29, v22
	v_and_b32_e32 v23, 7, v23
	v_cmp_eq_u16_e32 vcc, 0, v21
	v_cndmask_b32_e32 v20, v20, v23, vcc
	v_cndmask_b32_e32 v21, v21, v22, vcc
	v_lshlrev_b32_e32 v22, 24, v14
	v_mov_b32_e32 v23, 0x3b800000
	v_lshlrev_b32_e32 v20, 20, v20
	v_and_b32_e32 v22, 0x80000000, v22
	v_lshl_add_u32 v21, v21, 23, v23
	v_or3_b32 v20, v22, v21, v20
.LBB18_1540:
	s_or_b64 exec, exec, s[6:7]
	s_movk_i32 s4, 0x7f
	v_cmp_gt_i16_sdwa s[6:7], v10, s4 src0_sel:BYTE_0 src1_sel:DWORD
	s_mov_b64 s[4:5], 0
                                        ; implicit-def: $sgpr10
	s_and_saveexec_b64 s[8:9], s[6:7]
	s_xor_b64 s[6:7], exec, s[8:9]
	s_cbranch_execnz .LBB18_3589
; %bb.1541:
	s_or_saveexec_b64 s[6:7], s[6:7]
	v_mov_b32_e32 v21, s10
	s_xor_b64 exec, exec, s[6:7]
	s_cbranch_execnz .LBB18_3592
.LBB18_1542:
	s_or_b64 exec, exec, s[6:7]
	s_and_saveexec_b64 s[6:7], s[4:5]
	s_cbranch_execz .LBB18_1544
.LBB18_1543:
	v_and_b32_e32 v21, 7, v10
	v_ffbh_u32_e32 v23, v21
	v_min_u32_e32 v23, 32, v23
	v_lshrrev_b16_e32 v22, 3, v10
	v_subrev_u32_e32 v24, 28, v23
	v_and_b32_e32 v22, 15, v22
	v_lshlrev_b32_e32 v24, v24, v10
	v_sub_u32_e32 v23, 29, v23
	v_and_b32_e32 v24, 7, v24
	v_cmp_eq_u16_e32 vcc, 0, v22
	v_cndmask_b32_e32 v21, v21, v24, vcc
	v_cndmask_b32_e32 v22, v22, v23, vcc
	v_lshlrev_b32_e32 v23, 24, v10
	v_mov_b32_e32 v24, 0x3b800000
	v_lshlrev_b32_e32 v21, 20, v21
	v_and_b32_e32 v23, 0x80000000, v23
	v_lshl_add_u32 v22, v22, 23, v24
	v_or3_b32 v21, v23, v22, v21
.LBB18_1544:
	s_or_b64 exec, exec, s[6:7]
	flat_load_dwordx4 a[0:3], v[18:19] offset:96
	s_movk_i32 s4, 0x7f
                                        ; implicit-def: $sgpr10
	s_waitcnt vmcnt(0) lgkmcnt(0)
	v_mfma_f32_16x16x4f32 a[0:3], v20, v21, a[0:3]
	v_lshrrev_b32_e32 v21, 8, v14
	v_cmp_gt_i16_sdwa s[6:7], v21, s4 src0_sel:BYTE_0 src1_sel:DWORD
	s_mov_b64 s[4:5], 0
	s_and_saveexec_b64 s[8:9], s[6:7]
	s_xor_b64 s[6:7], exec, s[8:9]
	s_cbranch_execnz .LBB18_3593
; %bb.1545:
	s_or_saveexec_b64 s[6:7], s[6:7]
	v_mov_b32_e32 v20, s10
	s_xor_b64 exec, exec, s[6:7]
	s_cbranch_execnz .LBB18_3596
.LBB18_1546:
	s_or_b64 exec, exec, s[6:7]
	s_and_saveexec_b64 s[6:7], s[4:5]
	s_cbranch_execz .LBB18_1548
.LBB18_1547:
	v_bfe_u32 v20, v14, 8, 3
	v_ffbh_u32_e32 v23, v20
	v_min_u32_e32 v23, 32, v23
	v_lshrrev_b16_e32 v22, 3, v21
	v_subrev_u32_e32 v24, 28, v23
	v_and_b32_e32 v22, 15, v22
	v_lshlrev_b32_e32 v21, v24, v21
	v_sub_u32_e32 v23, 29, v23
	v_and_b32_e32 v21, 7, v21
	v_cmp_eq_u16_e32 vcc, 0, v22
	v_cndmask_b32_e32 v20, v20, v21, vcc
	v_cndmask_b32_e32 v21, v22, v23, vcc
	v_lshlrev_b32_e32 v22, 16, v14
	v_mov_b32_e32 v23, 0x3b800000
	v_lshlrev_b32_e32 v20, 20, v20
	v_and_b32_e32 v22, 0x80000000, v22
	v_lshl_add_u32 v21, v21, 23, v23
	v_or3_b32 v20, v22, v21, v20
.LBB18_1548:
	s_or_b64 exec, exec, s[6:7]
	v_lshrrev_b32_e32 v21, 8, v10
	s_movk_i32 s4, 0x7f
	v_cmp_gt_i16_sdwa s[6:7], v21, s4 src0_sel:BYTE_0 src1_sel:DWORD
	s_mov_b64 s[4:5], 0
                                        ; implicit-def: $sgpr10
	s_and_saveexec_b64 s[8:9], s[6:7]
	s_xor_b64 s[6:7], exec, s[8:9]
	s_cbranch_execnz .LBB18_3597
; %bb.1549:
	s_or_saveexec_b64 s[6:7], s[6:7]
	v_mov_b32_e32 v22, s10
	s_xor_b64 exec, exec, s[6:7]
	s_cbranch_execnz .LBB18_3600
.LBB18_1550:
	s_or_b64 exec, exec, s[6:7]
	s_and_saveexec_b64 s[6:7], s[4:5]
	s_cbranch_execz .LBB18_1552
.LBB18_1551:
	v_bfe_u32 v22, v10, 8, 3
	v_ffbh_u32_e32 v24, v22
	v_min_u32_e32 v24, 32, v24
	v_lshrrev_b16_e32 v23, 3, v21
	v_subrev_u32_e32 v25, 28, v24
	v_and_b32_e32 v23, 15, v23
	v_lshlrev_b32_e32 v21, v25, v21
	v_sub_u32_e32 v24, 29, v24
	v_and_b32_e32 v21, 7, v21
	v_cmp_eq_u16_e32 vcc, 0, v23
	v_cndmask_b32_e32 v21, v22, v21, vcc
	v_cndmask_b32_e32 v22, v23, v24, vcc
	v_lshlrev_b32_e32 v23, 16, v10
	v_mov_b32_e32 v24, 0x3b800000
	v_lshlrev_b32_e32 v21, 20, v21
	v_and_b32_e32 v23, 0x80000000, v23
	v_lshl_add_u32 v22, v22, 23, v24
	v_or3_b32 v22, v23, v22, v21
.LBB18_1552:
	s_or_b64 exec, exec, s[6:7]
	s_nop 0
	v_mfma_f32_16x16x4f32 a[0:3], v20, v22, a[0:3]
	s_movk_i32 s4, 0xff
	v_and_b32_sdwa v21, v14, s4 dst_sel:DWORD dst_unused:UNUSED_PAD src0_sel:WORD_1 src1_sel:DWORD
	s_movk_i32 s4, 0x7f
	v_cmp_lt_i16_e32 vcc, s4, v21
	s_mov_b64 s[4:5], 0
                                        ; implicit-def: $sgpr10
	s_and_saveexec_b64 s[6:7], vcc
	s_xor_b64 s[6:7], exec, s[6:7]
	s_cbranch_execnz .LBB18_3601
; %bb.1553:
	s_or_saveexec_b64 s[6:7], s[6:7]
	v_mov_b32_e32 v20, s10
	s_xor_b64 exec, exec, s[6:7]
	s_cbranch_execnz .LBB18_3604
.LBB18_1554:
	s_or_b64 exec, exec, s[6:7]
	s_and_saveexec_b64 s[6:7], s[4:5]
	s_cbranch_execz .LBB18_1556
.LBB18_1555:
	v_bfe_u32 v20, v14, 16, 3
	v_ffbh_u32_e32 v23, v20
	v_min_u32_e32 v23, 32, v23
	v_lshrrev_b32_e32 v21, 19, v14
	v_subrev_u32_e32 v24, 28, v23
	v_and_b32_e32 v21, 15, v21
	v_lshlrev_b32_sdwa v24, v24, v14 dst_sel:DWORD dst_unused:UNUSED_PAD src0_sel:DWORD src1_sel:WORD_1
	v_bfe_u32 v22, v14, 19, 4
	v_sub_u32_e32 v23, 29, v23
	v_and_b32_e32 v24, 7, v24
	v_cmp_eq_u16_e32 vcc, 0, v21
	v_cndmask_b32_e32 v20, v20, v24, vcc
	v_cndmask_b32_e32 v21, v22, v23, vcc
	v_lshlrev_b32_e32 v22, 8, v14
	v_mov_b32_e32 v23, 0x3b800000
	v_lshlrev_b32_e32 v20, 20, v20
	v_and_b32_e32 v22, 0x80000000, v22
	v_lshl_add_u32 v21, v21, 23, v23
	v_or3_b32 v20, v22, v21, v20
.LBB18_1556:
	s_or_b64 exec, exec, s[6:7]
	s_movk_i32 s4, 0xff
	v_and_b32_sdwa v21, v10, s4 dst_sel:DWORD dst_unused:UNUSED_PAD src0_sel:WORD_1 src1_sel:DWORD
	s_movk_i32 s4, 0x7f
	v_cmp_lt_i16_e32 vcc, s4, v21
	s_mov_b64 s[4:5], 0
                                        ; implicit-def: $sgpr10
	s_and_saveexec_b64 s[6:7], vcc
	s_xor_b64 s[6:7], exec, s[6:7]
	s_cbranch_execnz .LBB18_3605
; %bb.1557:
	s_or_saveexec_b64 s[6:7], s[6:7]
	v_mov_b32_e32 v22, s10
	s_xor_b64 exec, exec, s[6:7]
	s_cbranch_execnz .LBB18_3608
.LBB18_1558:
	s_or_b64 exec, exec, s[6:7]
	s_and_saveexec_b64 s[6:7], s[4:5]
	s_cbranch_execz .LBB18_1560
.LBB18_1559:
	v_bfe_u32 v21, v10, 16, 3
	v_ffbh_u32_e32 v24, v21
	v_min_u32_e32 v24, 32, v24
	v_lshrrev_b32_e32 v22, 19, v10
	v_subrev_u32_e32 v25, 28, v24
	v_and_b32_e32 v22, 15, v22
	v_lshlrev_b32_sdwa v25, v25, v10 dst_sel:DWORD dst_unused:UNUSED_PAD src0_sel:DWORD src1_sel:WORD_1
	v_bfe_u32 v23, v10, 19, 4
	v_sub_u32_e32 v24, 29, v24
	v_and_b32_e32 v25, 7, v25
	v_cmp_eq_u16_e32 vcc, 0, v22
	v_cndmask_b32_e32 v21, v21, v25, vcc
	v_cndmask_b32_e32 v22, v23, v24, vcc
	v_lshlrev_b32_e32 v23, 8, v10
	v_mov_b32_e32 v24, 0x3b800000
	v_lshlrev_b32_e32 v21, 20, v21
	v_and_b32_e32 v23, 0x80000000, v23
	v_lshl_add_u32 v22, v22, 23, v24
	v_or3_b32 v22, v23, v22, v21
.LBB18_1560:
	s_or_b64 exec, exec, s[6:7]
	s_nop 0
	v_mfma_f32_16x16x4f32 a[0:3], v20, v22, a[0:3]
	s_movk_i32 s4, 0x7f
	v_cmp_gt_i16_sdwa s[6:7], v14, s4 src0_sel:BYTE_3 src1_sel:DWORD
	s_mov_b64 s[4:5], 0
                                        ; implicit-def: $sgpr10
	s_and_saveexec_b64 s[8:9], s[6:7]
	s_xor_b64 s[6:7], exec, s[8:9]
	s_cbranch_execnz .LBB18_3609
; %bb.1561:
	s_or_saveexec_b64 s[6:7], s[6:7]
	v_mov_b32_e32 v20, s10
	s_xor_b64 exec, exec, s[6:7]
	s_cbranch_execnz .LBB18_3612
.LBB18_1562:
	s_or_b64 exec, exec, s[6:7]
	s_and_saveexec_b64 s[6:7], s[4:5]
	s_cbranch_execz .LBB18_1564
.LBB18_1563:
	v_bfe_u32 v20, v14, 24, 3
	v_ffbh_u32_e32 v24, v20
	v_min_u32_e32 v24, 32, v24
	v_lshrrev_b32_e32 v22, 27, v14
	v_subrev_u32_e32 v25, 28, v24
	v_and_b32_e32 v21, 0x80000000, v14
	v_and_b32_e32 v22, 15, v22
	v_bfe_u32 v23, v14, 27, 4
	v_lshlrev_b32_sdwa v14, v25, v14 dst_sel:DWORD dst_unused:UNUSED_PAD src0_sel:DWORD src1_sel:BYTE_3
	v_sub_u32_e32 v24, 29, v24
	v_and_b32_e32 v14, 7, v14
	v_cmp_eq_u16_e32 vcc, 0, v22
	v_cndmask_b32_e32 v14, v20, v14, vcc
	v_cndmask_b32_e32 v20, v23, v24, vcc
	v_mov_b32_e32 v22, 0x3b800000
	v_lshlrev_b32_e32 v14, 20, v14
	v_lshl_add_u32 v20, v20, 23, v22
	v_or3_b32 v20, v21, v20, v14
.LBB18_1564:
	s_or_b64 exec, exec, s[6:7]
	s_movk_i32 s4, 0x7f
	v_cmp_gt_i16_sdwa s[6:7], v10, s4 src0_sel:BYTE_3 src1_sel:DWORD
	s_mov_b64 s[4:5], 0
                                        ; implicit-def: $sgpr10
	s_and_saveexec_b64 s[8:9], s[6:7]
	s_xor_b64 s[6:7], exec, s[8:9]
	s_cbranch_execnz .LBB18_3613
; %bb.1565:
	s_or_saveexec_b64 s[6:7], s[6:7]
	v_mov_b32_e32 v14, s10
	s_xor_b64 exec, exec, s[6:7]
	s_cbranch_execnz .LBB18_3616
.LBB18_1566:
	s_or_b64 exec, exec, s[6:7]
	s_and_saveexec_b64 s[6:7], s[4:5]
	s_cbranch_execz .LBB18_1568
.LBB18_1567:
	v_bfe_u32 v14, v10, 24, 3
	v_ffbh_u32_e32 v24, v14
	v_min_u32_e32 v24, 32, v24
	v_lshrrev_b32_e32 v22, 27, v10
	v_subrev_u32_e32 v25, 28, v24
	v_and_b32_e32 v21, 0x80000000, v10
	v_and_b32_e32 v22, 15, v22
	v_bfe_u32 v23, v10, 27, 4
	v_lshlrev_b32_sdwa v10, v25, v10 dst_sel:DWORD dst_unused:UNUSED_PAD src0_sel:DWORD src1_sel:BYTE_3
	v_sub_u32_e32 v24, 29, v24
	v_and_b32_e32 v10, 7, v10
	v_cmp_eq_u16_e32 vcc, 0, v22
	v_cndmask_b32_e32 v10, v14, v10, vcc
	v_cndmask_b32_e32 v14, v23, v24, vcc
	v_mov_b32_e32 v22, 0x3b800000
	v_lshlrev_b32_e32 v10, 20, v10
	v_lshl_add_u32 v14, v14, 23, v22
	v_or3_b32 v14, v21, v14, v10
.LBB18_1568:
	s_or_b64 exec, exec, s[6:7]
	s_nop 0
	v_mfma_f32_16x16x4f32 a[0:3], v20, v14, a[0:3]
	s_movk_i32 s4, 0x7f
	v_cmp_gt_i16_sdwa s[6:7], v15, s4 src0_sel:BYTE_0 src1_sel:DWORD
	s_mov_b64 s[4:5], 0
                                        ; implicit-def: $sgpr10
	s_and_saveexec_b64 s[8:9], s[6:7]
	s_xor_b64 s[6:7], exec, s[8:9]
	s_cbranch_execnz .LBB18_3617
; %bb.1569:
	s_or_saveexec_b64 s[6:7], s[6:7]
	v_mov_b32_e32 v10, s10
	s_xor_b64 exec, exec, s[6:7]
	s_cbranch_execnz .LBB18_3620
.LBB18_1570:
	s_or_b64 exec, exec, s[6:7]
	s_and_saveexec_b64 s[6:7], s[4:5]
	s_cbranch_execz .LBB18_1572
.LBB18_1571:
	v_and_b32_e32 v10, 7, v15
	v_ffbh_u32_e32 v20, v10
	v_min_u32_e32 v20, 32, v20
	v_lshrrev_b16_e32 v14, 3, v15
	v_subrev_u32_e32 v21, 28, v20
	v_and_b32_e32 v14, 15, v14
	v_lshlrev_b32_e32 v21, v21, v15
	v_sub_u32_e32 v20, 29, v20
	v_and_b32_e32 v21, 7, v21
	v_cmp_eq_u16_e32 vcc, 0, v14
	v_cndmask_b32_e32 v10, v10, v21, vcc
	v_cndmask_b32_e32 v14, v14, v20, vcc
	v_lshlrev_b32_e32 v20, 24, v15
	v_mov_b32_e32 v21, 0x3b800000
	v_lshlrev_b32_e32 v10, 20, v10
	v_and_b32_e32 v20, 0x80000000, v20
	v_lshl_add_u32 v14, v14, 23, v21
	v_or3_b32 v10, v20, v14, v10
.LBB18_1572:
	s_or_b64 exec, exec, s[6:7]
	s_movk_i32 s4, 0x7f
	v_cmp_gt_i16_sdwa s[6:7], v11, s4 src0_sel:BYTE_0 src1_sel:DWORD
	s_mov_b64 s[4:5], 0
                                        ; implicit-def: $sgpr10
	s_and_saveexec_b64 s[8:9], s[6:7]
	s_xor_b64 s[6:7], exec, s[8:9]
	s_cbranch_execnz .LBB18_3621
; %bb.1573:
	s_or_saveexec_b64 s[6:7], s[6:7]
	v_mov_b32_e32 v14, s10
	s_xor_b64 exec, exec, s[6:7]
	s_cbranch_execnz .LBB18_3624
.LBB18_1574:
	s_or_b64 exec, exec, s[6:7]
	s_and_saveexec_b64 s[6:7], s[4:5]
	s_cbranch_execz .LBB18_1576
.LBB18_1575:
	v_and_b32_e32 v14, 7, v11
	v_ffbh_u32_e32 v21, v14
	v_min_u32_e32 v21, 32, v21
	v_lshrrev_b16_e32 v20, 3, v11
	v_subrev_u32_e32 v22, 28, v21
	v_and_b32_e32 v20, 15, v20
	v_lshlrev_b32_e32 v22, v22, v11
	v_sub_u32_e32 v21, 29, v21
	v_and_b32_e32 v22, 7, v22
	v_cmp_eq_u16_e32 vcc, 0, v20
	v_cndmask_b32_e32 v14, v14, v22, vcc
	v_cndmask_b32_e32 v20, v20, v21, vcc
	v_lshlrev_b32_e32 v21, 24, v11
	v_mov_b32_e32 v22, 0x3b800000
	v_lshlrev_b32_e32 v14, 20, v14
	v_and_b32_e32 v21, 0x80000000, v21
	v_lshl_add_u32 v20, v20, 23, v22
	v_or3_b32 v14, v21, v20, v14
.LBB18_1576:
	s_or_b64 exec, exec, s[6:7]
	s_nop 0
	v_mfma_f32_16x16x4f32 a[0:3], v10, v14, a[0:3]
	v_lshrrev_b32_e32 v14, 8, v15
	s_movk_i32 s4, 0x7f
	v_cmp_gt_i16_sdwa s[6:7], v14, s4 src0_sel:BYTE_0 src1_sel:DWORD
	s_mov_b64 s[4:5], 0
                                        ; implicit-def: $sgpr10
	s_and_saveexec_b64 s[8:9], s[6:7]
	s_xor_b64 s[6:7], exec, s[8:9]
	s_cbranch_execnz .LBB18_3625
; %bb.1577:
	s_or_saveexec_b64 s[6:7], s[6:7]
	v_mov_b32_e32 v10, s10
	s_xor_b64 exec, exec, s[6:7]
	s_cbranch_execnz .LBB18_3628
.LBB18_1578:
	s_or_b64 exec, exec, s[6:7]
	s_and_saveexec_b64 s[6:7], s[4:5]
	s_cbranch_execz .LBB18_1580
.LBB18_1579:
	v_bfe_u32 v10, v15, 8, 3
	v_ffbh_u32_e32 v21, v10
	v_min_u32_e32 v21, 32, v21
	v_lshrrev_b16_e32 v20, 3, v14
	v_subrev_u32_e32 v22, 28, v21
	v_and_b32_e32 v20, 15, v20
	v_lshlrev_b32_e32 v14, v22, v14
	v_sub_u32_e32 v21, 29, v21
	v_and_b32_e32 v14, 7, v14
	v_cmp_eq_u16_e32 vcc, 0, v20
	v_cndmask_b32_e32 v10, v10, v14, vcc
	v_cndmask_b32_e32 v14, v20, v21, vcc
	v_lshlrev_b32_e32 v20, 16, v15
	v_mov_b32_e32 v21, 0x3b800000
	v_lshlrev_b32_e32 v10, 20, v10
	v_and_b32_e32 v20, 0x80000000, v20
	v_lshl_add_u32 v14, v14, 23, v21
	v_or3_b32 v10, v20, v14, v10
.LBB18_1580:
	s_or_b64 exec, exec, s[6:7]
	v_lshrrev_b32_e32 v14, 8, v11
	s_movk_i32 s4, 0x7f
	v_cmp_gt_i16_sdwa s[6:7], v14, s4 src0_sel:BYTE_0 src1_sel:DWORD
	s_mov_b64 s[4:5], 0
                                        ; implicit-def: $sgpr10
	s_and_saveexec_b64 s[8:9], s[6:7]
	s_xor_b64 s[6:7], exec, s[8:9]
	s_cbranch_execnz .LBB18_3629
; %bb.1581:
	s_or_saveexec_b64 s[6:7], s[6:7]
	v_mov_b32_e32 v20, s10
	s_xor_b64 exec, exec, s[6:7]
	s_cbranch_execnz .LBB18_3632
.LBB18_1582:
	s_or_b64 exec, exec, s[6:7]
	s_and_saveexec_b64 s[6:7], s[4:5]
	s_cbranch_execz .LBB18_1584
.LBB18_1583:
	v_bfe_u32 v20, v11, 8, 3
	v_ffbh_u32_e32 v22, v20
	v_min_u32_e32 v22, 32, v22
	v_lshrrev_b16_e32 v21, 3, v14
	v_subrev_u32_e32 v23, 28, v22
	v_and_b32_e32 v21, 15, v21
	v_lshlrev_b32_e32 v14, v23, v14
	v_sub_u32_e32 v22, 29, v22
	v_and_b32_e32 v14, 7, v14
	v_cmp_eq_u16_e32 vcc, 0, v21
	v_cndmask_b32_e32 v14, v20, v14, vcc
	v_cndmask_b32_e32 v20, v21, v22, vcc
	v_lshlrev_b32_e32 v21, 16, v11
	v_mov_b32_e32 v22, 0x3b800000
	v_lshlrev_b32_e32 v14, 20, v14
	v_and_b32_e32 v21, 0x80000000, v21
	v_lshl_add_u32 v20, v20, 23, v22
	v_or3_b32 v20, v21, v20, v14
.LBB18_1584:
	s_or_b64 exec, exec, s[6:7]
	s_nop 0
	v_mfma_f32_16x16x4f32 a[0:3], v10, v20, a[0:3]
	s_movk_i32 s4, 0xff
	v_and_b32_sdwa v14, v15, s4 dst_sel:DWORD dst_unused:UNUSED_PAD src0_sel:WORD_1 src1_sel:DWORD
	s_movk_i32 s4, 0x7f
	v_cmp_lt_i16_e32 vcc, s4, v14
	s_mov_b64 s[4:5], 0
                                        ; implicit-def: $sgpr10
	s_and_saveexec_b64 s[6:7], vcc
	s_xor_b64 s[6:7], exec, s[6:7]
	s_cbranch_execnz .LBB18_3633
; %bb.1585:
	s_or_saveexec_b64 s[6:7], s[6:7]
	v_mov_b32_e32 v10, s10
	s_xor_b64 exec, exec, s[6:7]
	s_cbranch_execnz .LBB18_3636
.LBB18_1586:
	s_or_b64 exec, exec, s[6:7]
	s_and_saveexec_b64 s[6:7], s[4:5]
	s_cbranch_execz .LBB18_1588
.LBB18_1587:
	v_bfe_u32 v10, v15, 16, 3
	v_ffbh_u32_e32 v21, v10
	v_min_u32_e32 v21, 32, v21
	v_lshrrev_b32_e32 v14, 19, v15
	v_subrev_u32_e32 v22, 28, v21
	v_and_b32_e32 v14, 15, v14
	v_lshlrev_b32_sdwa v22, v22, v15 dst_sel:DWORD dst_unused:UNUSED_PAD src0_sel:DWORD src1_sel:WORD_1
	v_bfe_u32 v20, v15, 19, 4
	v_sub_u32_e32 v21, 29, v21
	v_and_b32_e32 v22, 7, v22
	v_cmp_eq_u16_e32 vcc, 0, v14
	v_cndmask_b32_e32 v10, v10, v22, vcc
	v_cndmask_b32_e32 v14, v20, v21, vcc
	v_lshlrev_b32_e32 v20, 8, v15
	v_mov_b32_e32 v21, 0x3b800000
	v_lshlrev_b32_e32 v10, 20, v10
	v_and_b32_e32 v20, 0x80000000, v20
	v_lshl_add_u32 v14, v14, 23, v21
	v_or3_b32 v10, v20, v14, v10
.LBB18_1588:
	s_or_b64 exec, exec, s[6:7]
	s_movk_i32 s4, 0xff
	v_and_b32_sdwa v14, v11, s4 dst_sel:DWORD dst_unused:UNUSED_PAD src0_sel:WORD_1 src1_sel:DWORD
	s_movk_i32 s4, 0x7f
	v_cmp_lt_i16_e32 vcc, s4, v14
	s_mov_b64 s[4:5], 0
                                        ; implicit-def: $sgpr10
	s_and_saveexec_b64 s[6:7], vcc
	s_xor_b64 s[6:7], exec, s[6:7]
	s_cbranch_execnz .LBB18_3637
; %bb.1589:
	s_or_saveexec_b64 s[6:7], s[6:7]
	v_mov_b32_e32 v20, s10
	s_xor_b64 exec, exec, s[6:7]
	s_cbranch_execnz .LBB18_3640
.LBB18_1590:
	s_or_b64 exec, exec, s[6:7]
	s_and_saveexec_b64 s[6:7], s[4:5]
	s_cbranch_execz .LBB18_1592
.LBB18_1591:
	v_bfe_u32 v14, v11, 16, 3
	v_ffbh_u32_e32 v22, v14
	v_min_u32_e32 v22, 32, v22
	v_lshrrev_b32_e32 v20, 19, v11
	v_subrev_u32_e32 v23, 28, v22
	v_and_b32_e32 v20, 15, v20
	v_lshlrev_b32_sdwa v23, v23, v11 dst_sel:DWORD dst_unused:UNUSED_PAD src0_sel:DWORD src1_sel:WORD_1
	v_bfe_u32 v21, v11, 19, 4
	v_sub_u32_e32 v22, 29, v22
	v_and_b32_e32 v23, 7, v23
	v_cmp_eq_u16_e32 vcc, 0, v20
	v_cndmask_b32_e32 v14, v14, v23, vcc
	v_cndmask_b32_e32 v20, v21, v22, vcc
	v_lshlrev_b32_e32 v21, 8, v11
	v_mov_b32_e32 v22, 0x3b800000
	v_lshlrev_b32_e32 v14, 20, v14
	v_and_b32_e32 v21, 0x80000000, v21
	v_lshl_add_u32 v20, v20, 23, v22
	v_or3_b32 v20, v21, v20, v14
.LBB18_1592:
	s_or_b64 exec, exec, s[6:7]
	s_nop 0
	v_mfma_f32_16x16x4f32 a[0:3], v10, v20, a[0:3]
	s_movk_i32 s4, 0x7f
	v_cmp_gt_i16_sdwa s[6:7], v15, s4 src0_sel:BYTE_3 src1_sel:DWORD
	s_mov_b64 s[4:5], 0
                                        ; implicit-def: $sgpr10
	s_and_saveexec_b64 s[8:9], s[6:7]
	s_xor_b64 s[6:7], exec, s[8:9]
	s_cbranch_execnz .LBB18_3641
; %bb.1593:
	s_or_saveexec_b64 s[6:7], s[6:7]
	v_mov_b32_e32 v10, s10
	s_xor_b64 exec, exec, s[6:7]
	s_cbranch_execnz .LBB18_3644
.LBB18_1594:
	s_or_b64 exec, exec, s[6:7]
	s_and_saveexec_b64 s[6:7], s[4:5]
	s_cbranch_execz .LBB18_1596
.LBB18_1595:
	v_bfe_u32 v10, v15, 24, 3
	v_ffbh_u32_e32 v22, v10
	v_min_u32_e32 v22, 32, v22
	v_lshrrev_b32_e32 v20, 27, v15
	v_subrev_u32_e32 v23, 28, v22
	v_and_b32_e32 v14, 0x80000000, v15
	v_and_b32_e32 v20, 15, v20
	v_bfe_u32 v21, v15, 27, 4
	v_lshlrev_b32_sdwa v15, v23, v15 dst_sel:DWORD dst_unused:UNUSED_PAD src0_sel:DWORD src1_sel:BYTE_3
	v_sub_u32_e32 v22, 29, v22
	v_and_b32_e32 v15, 7, v15
	v_cmp_eq_u16_e32 vcc, 0, v20
	v_cndmask_b32_e32 v10, v10, v15, vcc
	v_cndmask_b32_e32 v15, v21, v22, vcc
	v_mov_b32_e32 v20, 0x3b800000
	v_lshlrev_b32_e32 v10, 20, v10
	v_lshl_add_u32 v15, v15, 23, v20
	v_or3_b32 v10, v14, v15, v10
.LBB18_1596:
	s_or_b64 exec, exec, s[6:7]
	s_movk_i32 s4, 0x7f
	v_cmp_gt_i16_sdwa s[6:7], v11, s4 src0_sel:BYTE_3 src1_sel:DWORD
	s_mov_b64 s[4:5], 0
                                        ; implicit-def: $sgpr10
	s_and_saveexec_b64 s[8:9], s[6:7]
	s_xor_b64 s[6:7], exec, s[8:9]
	s_cbranch_execnz .LBB18_3645
; %bb.1597:
	s_or_saveexec_b64 s[6:7], s[6:7]
	v_mov_b32_e32 v14, s10
	s_xor_b64 exec, exec, s[6:7]
	s_cbranch_execnz .LBB18_3648
.LBB18_1598:
	s_or_b64 exec, exec, s[6:7]
	s_and_saveexec_b64 s[6:7], s[4:5]
	s_cbranch_execz .LBB18_1600
.LBB18_1599:
	v_bfe_u32 v14, v11, 24, 3
	v_ffbh_u32_e32 v22, v14
	v_min_u32_e32 v22, 32, v22
	v_lshrrev_b32_e32 v20, 27, v11
	v_subrev_u32_e32 v23, 28, v22
	v_and_b32_e32 v15, 0x80000000, v11
	v_and_b32_e32 v20, 15, v20
	v_bfe_u32 v21, v11, 27, 4
	v_lshlrev_b32_sdwa v11, v23, v11 dst_sel:DWORD dst_unused:UNUSED_PAD src0_sel:DWORD src1_sel:BYTE_3
	v_sub_u32_e32 v22, 29, v22
	v_and_b32_e32 v11, 7, v11
	v_cmp_eq_u16_e32 vcc, 0, v20
	v_cndmask_b32_e32 v11, v14, v11, vcc
	v_cndmask_b32_e32 v14, v21, v22, vcc
	v_mov_b32_e32 v20, 0x3b800000
	v_lshlrev_b32_e32 v11, 20, v11
	v_lshl_add_u32 v14, v14, 23, v20
	v_or3_b32 v14, v15, v14, v11
.LBB18_1600:
	s_or_b64 exec, exec, s[6:7]
	s_nop 0
	v_mfma_f32_16x16x4f32 a[0:3], v10, v14, a[0:3]
	s_movk_i32 s4, 0x7f
	v_cmp_gt_i16_sdwa s[6:7], v16, s4 src0_sel:BYTE_0 src1_sel:DWORD
	s_mov_b64 s[4:5], 0
                                        ; implicit-def: $sgpr10
	s_and_saveexec_b64 s[8:9], s[6:7]
	s_xor_b64 s[6:7], exec, s[8:9]
	s_cbranch_execnz .LBB18_3649
; %bb.1601:
	s_or_saveexec_b64 s[6:7], s[6:7]
	v_mov_b32_e32 v10, s10
	s_xor_b64 exec, exec, s[6:7]
	s_cbranch_execnz .LBB18_3652
.LBB18_1602:
	s_or_b64 exec, exec, s[6:7]
	s_and_saveexec_b64 s[6:7], s[4:5]
	s_cbranch_execz .LBB18_1604
.LBB18_1603:
	v_and_b32_e32 v10, 7, v16
	v_ffbh_u32_e32 v14, v10
	v_min_u32_e32 v14, 32, v14
	v_lshrrev_b16_e32 v11, 3, v16
	v_subrev_u32_e32 v15, 28, v14
	v_and_b32_e32 v11, 15, v11
	v_lshlrev_b32_e32 v15, v15, v16
	v_sub_u32_e32 v14, 29, v14
	v_and_b32_e32 v15, 7, v15
	v_cmp_eq_u16_e32 vcc, 0, v11
	v_cndmask_b32_e32 v10, v10, v15, vcc
	v_cndmask_b32_e32 v11, v11, v14, vcc
	v_lshlrev_b32_e32 v14, 24, v16
	v_mov_b32_e32 v15, 0x3b800000
	v_lshlrev_b32_e32 v10, 20, v10
	v_and_b32_e32 v14, 0x80000000, v14
	v_lshl_add_u32 v11, v11, 23, v15
	v_or3_b32 v10, v14, v11, v10
.LBB18_1604:
	s_or_b64 exec, exec, s[6:7]
	s_movk_i32 s4, 0x7f
	v_cmp_gt_i16_sdwa s[6:7], v12, s4 src0_sel:BYTE_0 src1_sel:DWORD
	s_mov_b64 s[4:5], 0
                                        ; implicit-def: $sgpr10
	s_and_saveexec_b64 s[8:9], s[6:7]
	s_xor_b64 s[6:7], exec, s[8:9]
	s_cbranch_execnz .LBB18_3653
; %bb.1605:
	s_or_saveexec_b64 s[6:7], s[6:7]
	v_mov_b32_e32 v11, s10
	s_xor_b64 exec, exec, s[6:7]
	s_cbranch_execnz .LBB18_3656
.LBB18_1606:
	s_or_b64 exec, exec, s[6:7]
	s_and_saveexec_b64 s[6:7], s[4:5]
	s_cbranch_execz .LBB18_1608
.LBB18_1607:
	v_and_b32_e32 v11, 7, v12
	v_ffbh_u32_e32 v15, v11
	v_min_u32_e32 v15, 32, v15
	v_lshrrev_b16_e32 v14, 3, v12
	v_subrev_u32_e32 v20, 28, v15
	v_and_b32_e32 v14, 15, v14
	v_lshlrev_b32_e32 v20, v20, v12
	v_sub_u32_e32 v15, 29, v15
	v_and_b32_e32 v20, 7, v20
	v_cmp_eq_u16_e32 vcc, 0, v14
	v_cndmask_b32_e32 v11, v11, v20, vcc
	v_cndmask_b32_e32 v14, v14, v15, vcc
	v_lshlrev_b32_e32 v15, 24, v12
	v_mov_b32_e32 v20, 0x3b800000
	v_lshlrev_b32_e32 v11, 20, v11
	v_and_b32_e32 v15, 0x80000000, v15
	v_lshl_add_u32 v14, v14, 23, v20
	v_or3_b32 v11, v15, v14, v11
.LBB18_1608:
	s_or_b64 exec, exec, s[6:7]
	s_nop 0
	v_mfma_f32_16x16x4f32 a[0:3], v10, v11, a[0:3]
	v_lshrrev_b32_e32 v11, 8, v16
	s_movk_i32 s4, 0x7f
	v_cmp_gt_i16_sdwa s[6:7], v11, s4 src0_sel:BYTE_0 src1_sel:DWORD
	s_mov_b64 s[4:5], 0
                                        ; implicit-def: $sgpr10
	s_and_saveexec_b64 s[8:9], s[6:7]
	s_xor_b64 s[6:7], exec, s[8:9]
	s_cbranch_execnz .LBB18_3657
; %bb.1609:
	s_or_saveexec_b64 s[6:7], s[6:7]
	v_mov_b32_e32 v10, s10
	s_xor_b64 exec, exec, s[6:7]
	s_cbranch_execnz .LBB18_3660
.LBB18_1610:
	s_or_b64 exec, exec, s[6:7]
	s_and_saveexec_b64 s[6:7], s[4:5]
	s_cbranch_execz .LBB18_1612
.LBB18_1611:
	v_bfe_u32 v10, v16, 8, 3
	v_ffbh_u32_e32 v15, v10
	v_min_u32_e32 v15, 32, v15
	v_lshrrev_b16_e32 v14, 3, v11
	v_subrev_u32_e32 v20, 28, v15
	v_and_b32_e32 v14, 15, v14
	v_lshlrev_b32_e32 v11, v20, v11
	v_sub_u32_e32 v15, 29, v15
	v_and_b32_e32 v11, 7, v11
	v_cmp_eq_u16_e32 vcc, 0, v14
	v_cndmask_b32_e32 v10, v10, v11, vcc
	v_cndmask_b32_e32 v11, v14, v15, vcc
	v_lshlrev_b32_e32 v14, 16, v16
	v_mov_b32_e32 v15, 0x3b800000
	v_lshlrev_b32_e32 v10, 20, v10
	v_and_b32_e32 v14, 0x80000000, v14
	v_lshl_add_u32 v11, v11, 23, v15
	v_or3_b32 v10, v14, v11, v10
.LBB18_1612:
	s_or_b64 exec, exec, s[6:7]
	v_lshrrev_b32_e32 v11, 8, v12
	s_movk_i32 s4, 0x7f
	v_cmp_gt_i16_sdwa s[6:7], v11, s4 src0_sel:BYTE_0 src1_sel:DWORD
	s_mov_b64 s[4:5], 0
                                        ; implicit-def: $sgpr10
	s_and_saveexec_b64 s[8:9], s[6:7]
	s_xor_b64 s[6:7], exec, s[8:9]
	s_cbranch_execnz .LBB18_3661
; %bb.1613:
	s_or_saveexec_b64 s[6:7], s[6:7]
	v_mov_b32_e32 v14, s10
	s_xor_b64 exec, exec, s[6:7]
	s_cbranch_execnz .LBB18_3664
.LBB18_1614:
	s_or_b64 exec, exec, s[6:7]
	s_and_saveexec_b64 s[6:7], s[4:5]
	s_cbranch_execz .LBB18_1616
.LBB18_1615:
	v_bfe_u32 v14, v12, 8, 3
	v_ffbh_u32_e32 v20, v14
	v_min_u32_e32 v20, 32, v20
	v_lshrrev_b16_e32 v15, 3, v11
	v_subrev_u32_e32 v21, 28, v20
	v_and_b32_e32 v15, 15, v15
	v_lshlrev_b32_e32 v11, v21, v11
	v_sub_u32_e32 v20, 29, v20
	v_and_b32_e32 v11, 7, v11
	v_cmp_eq_u16_e32 vcc, 0, v15
	v_cndmask_b32_e32 v11, v14, v11, vcc
	v_cndmask_b32_e32 v14, v15, v20, vcc
	v_lshlrev_b32_e32 v15, 16, v12
	v_mov_b32_e32 v20, 0x3b800000
	v_lshlrev_b32_e32 v11, 20, v11
	v_and_b32_e32 v15, 0x80000000, v15
	v_lshl_add_u32 v14, v14, 23, v20
	v_or3_b32 v14, v15, v14, v11
.LBB18_1616:
	s_or_b64 exec, exec, s[6:7]
	s_nop 0
	v_mfma_f32_16x16x4f32 a[0:3], v10, v14, a[0:3]
	s_movk_i32 s4, 0xff
	v_and_b32_sdwa v11, v16, s4 dst_sel:DWORD dst_unused:UNUSED_PAD src0_sel:WORD_1 src1_sel:DWORD
	s_movk_i32 s4, 0x7f
	v_cmp_lt_i16_e32 vcc, s4, v11
	s_mov_b64 s[4:5], 0
                                        ; implicit-def: $sgpr10
	s_and_saveexec_b64 s[6:7], vcc
	s_xor_b64 s[6:7], exec, s[6:7]
	s_cbranch_execnz .LBB18_3665
; %bb.1617:
	s_or_saveexec_b64 s[6:7], s[6:7]
	v_mov_b32_e32 v10, s10
	s_xor_b64 exec, exec, s[6:7]
	s_cbranch_execnz .LBB18_3668
.LBB18_1618:
	s_or_b64 exec, exec, s[6:7]
	s_and_saveexec_b64 s[6:7], s[4:5]
	s_cbranch_execz .LBB18_1620
.LBB18_1619:
	v_bfe_u32 v10, v16, 16, 3
	v_ffbh_u32_e32 v15, v10
	v_min_u32_e32 v15, 32, v15
	v_lshrrev_b32_e32 v11, 19, v16
	v_subrev_u32_e32 v20, 28, v15
	v_and_b32_e32 v11, 15, v11
	v_lshlrev_b32_sdwa v20, v20, v16 dst_sel:DWORD dst_unused:UNUSED_PAD src0_sel:DWORD src1_sel:WORD_1
	v_bfe_u32 v14, v16, 19, 4
	v_sub_u32_e32 v15, 29, v15
	v_and_b32_e32 v20, 7, v20
	v_cmp_eq_u16_e32 vcc, 0, v11
	v_cndmask_b32_e32 v10, v10, v20, vcc
	v_cndmask_b32_e32 v11, v14, v15, vcc
	v_lshlrev_b32_e32 v14, 8, v16
	v_mov_b32_e32 v15, 0x3b800000
	v_lshlrev_b32_e32 v10, 20, v10
	v_and_b32_e32 v14, 0x80000000, v14
	v_lshl_add_u32 v11, v11, 23, v15
	v_or3_b32 v10, v14, v11, v10
.LBB18_1620:
	s_or_b64 exec, exec, s[6:7]
	s_movk_i32 s4, 0xff
	v_and_b32_sdwa v11, v12, s4 dst_sel:DWORD dst_unused:UNUSED_PAD src0_sel:WORD_1 src1_sel:DWORD
	s_movk_i32 s4, 0x7f
	v_cmp_lt_i16_e32 vcc, s4, v11
	s_mov_b64 s[4:5], 0
                                        ; implicit-def: $sgpr10
	s_and_saveexec_b64 s[6:7], vcc
	s_xor_b64 s[6:7], exec, s[6:7]
	s_cbranch_execnz .LBB18_3669
; %bb.1621:
	s_or_saveexec_b64 s[6:7], s[6:7]
	v_mov_b32_e32 v14, s10
	s_xor_b64 exec, exec, s[6:7]
	s_cbranch_execnz .LBB18_3672
.LBB18_1622:
	s_or_b64 exec, exec, s[6:7]
	s_and_saveexec_b64 s[6:7], s[4:5]
	s_cbranch_execz .LBB18_1624
.LBB18_1623:
	v_bfe_u32 v11, v12, 16, 3
	v_ffbh_u32_e32 v20, v11
	v_min_u32_e32 v20, 32, v20
	v_lshrrev_b32_e32 v14, 19, v12
	v_subrev_u32_e32 v21, 28, v20
	v_and_b32_e32 v14, 15, v14
	v_lshlrev_b32_sdwa v21, v21, v12 dst_sel:DWORD dst_unused:UNUSED_PAD src0_sel:DWORD src1_sel:WORD_1
	v_bfe_u32 v15, v12, 19, 4
	v_sub_u32_e32 v20, 29, v20
	v_and_b32_e32 v21, 7, v21
	v_cmp_eq_u16_e32 vcc, 0, v14
	v_cndmask_b32_e32 v11, v11, v21, vcc
	v_cndmask_b32_e32 v14, v15, v20, vcc
	v_lshlrev_b32_e32 v15, 8, v12
	v_mov_b32_e32 v20, 0x3b800000
	v_lshlrev_b32_e32 v11, 20, v11
	v_and_b32_e32 v15, 0x80000000, v15
	v_lshl_add_u32 v14, v14, 23, v20
	v_or3_b32 v14, v15, v14, v11
.LBB18_1624:
	s_or_b64 exec, exec, s[6:7]
	s_nop 0
	v_mfma_f32_16x16x4f32 a[0:3], v10, v14, a[0:3]
	s_movk_i32 s4, 0x7f
	v_cmp_gt_i16_sdwa s[6:7], v16, s4 src0_sel:BYTE_3 src1_sel:DWORD
	s_mov_b64 s[4:5], 0
                                        ; implicit-def: $sgpr10
	s_and_saveexec_b64 s[8:9], s[6:7]
	s_xor_b64 s[6:7], exec, s[8:9]
	s_cbranch_execnz .LBB18_3673
; %bb.1625:
	s_or_saveexec_b64 s[6:7], s[6:7]
	v_mov_b32_e32 v10, s10
	s_xor_b64 exec, exec, s[6:7]
	s_cbranch_execnz .LBB18_3676
.LBB18_1626:
	s_or_b64 exec, exec, s[6:7]
	s_and_saveexec_b64 s[6:7], s[4:5]
	s_cbranch_execz .LBB18_1628
.LBB18_1627:
	v_bfe_u32 v10, v16, 24, 3
	v_ffbh_u32_e32 v20, v10
	v_min_u32_e32 v20, 32, v20
	v_lshrrev_b32_e32 v14, 27, v16
	v_subrev_u32_e32 v21, 28, v20
	v_and_b32_e32 v11, 0x80000000, v16
	v_and_b32_e32 v14, 15, v14
	v_bfe_u32 v15, v16, 27, 4
	v_lshlrev_b32_sdwa v16, v21, v16 dst_sel:DWORD dst_unused:UNUSED_PAD src0_sel:DWORD src1_sel:BYTE_3
	v_sub_u32_e32 v20, 29, v20
	v_and_b32_e32 v16, 7, v16
	v_cmp_eq_u16_e32 vcc, 0, v14
	v_cndmask_b32_e32 v10, v10, v16, vcc
	v_cndmask_b32_e32 v14, v15, v20, vcc
	v_mov_b32_e32 v15, 0x3b800000
	v_lshlrev_b32_e32 v10, 20, v10
	v_lshl_add_u32 v14, v14, 23, v15
	v_or3_b32 v10, v11, v14, v10
.LBB18_1628:
	s_or_b64 exec, exec, s[6:7]
	s_movk_i32 s4, 0x7f
	v_cmp_gt_i16_sdwa s[6:7], v12, s4 src0_sel:BYTE_3 src1_sel:DWORD
	s_mov_b64 s[4:5], 0
                                        ; implicit-def: $sgpr10
	s_and_saveexec_b64 s[8:9], s[6:7]
	s_xor_b64 s[6:7], exec, s[8:9]
	s_cbranch_execnz .LBB18_3677
; %bb.1629:
	s_or_saveexec_b64 s[6:7], s[6:7]
	v_mov_b32_e32 v11, s10
	s_xor_b64 exec, exec, s[6:7]
	s_cbranch_execnz .LBB18_3680
.LBB18_1630:
	s_or_b64 exec, exec, s[6:7]
	s_and_saveexec_b64 s[6:7], s[4:5]
	s_cbranch_execz .LBB18_1632
.LBB18_1631:
	v_bfe_u32 v11, v12, 24, 3
	v_ffbh_u32_e32 v20, v11
	v_min_u32_e32 v20, 32, v20
	v_lshrrev_b32_e32 v15, 27, v12
	v_subrev_u32_e32 v21, 28, v20
	v_and_b32_e32 v14, 0x80000000, v12
	v_and_b32_e32 v15, 15, v15
	v_bfe_u32 v16, v12, 27, 4
	v_lshlrev_b32_sdwa v12, v21, v12 dst_sel:DWORD dst_unused:UNUSED_PAD src0_sel:DWORD src1_sel:BYTE_3
	v_sub_u32_e32 v20, 29, v20
	v_and_b32_e32 v12, 7, v12
	v_cmp_eq_u16_e32 vcc, 0, v15
	v_cndmask_b32_e32 v11, v11, v12, vcc
	v_cndmask_b32_e32 v12, v16, v20, vcc
	v_mov_b32_e32 v15, 0x3b800000
	v_lshlrev_b32_e32 v11, 20, v11
	v_lshl_add_u32 v12, v12, 23, v15
	v_or3_b32 v11, v14, v12, v11
.LBB18_1632:
	s_or_b64 exec, exec, s[6:7]
	s_nop 0
	v_mfma_f32_16x16x4f32 a[0:3], v10, v11, a[0:3]
	s_movk_i32 s4, 0x7f
	v_cmp_gt_i16_sdwa s[6:7], v17, s4 src0_sel:BYTE_0 src1_sel:DWORD
	s_mov_b64 s[4:5], 0
                                        ; implicit-def: $sgpr10
	s_and_saveexec_b64 s[8:9], s[6:7]
	s_xor_b64 s[6:7], exec, s[8:9]
	s_cbranch_execnz .LBB18_3681
; %bb.1633:
	s_or_saveexec_b64 s[6:7], s[6:7]
	v_mov_b32_e32 v10, s10
	s_xor_b64 exec, exec, s[6:7]
	s_cbranch_execnz .LBB18_3684
.LBB18_1634:
	s_or_b64 exec, exec, s[6:7]
	s_and_saveexec_b64 s[6:7], s[4:5]
	s_cbranch_execz .LBB18_1636
.LBB18_1635:
	v_and_b32_e32 v10, 7, v17
	v_ffbh_u32_e32 v12, v10
	v_min_u32_e32 v12, 32, v12
	v_lshrrev_b16_e32 v11, 3, v17
	v_subrev_u32_e32 v14, 28, v12
	v_and_b32_e32 v11, 15, v11
	v_lshlrev_b32_e32 v14, v14, v17
	v_sub_u32_e32 v12, 29, v12
	v_and_b32_e32 v14, 7, v14
	v_cmp_eq_u16_e32 vcc, 0, v11
	v_cndmask_b32_e32 v10, v10, v14, vcc
	v_cndmask_b32_e32 v11, v11, v12, vcc
	v_lshlrev_b32_e32 v12, 24, v17
	v_mov_b32_e32 v14, 0x3b800000
	v_lshlrev_b32_e32 v10, 20, v10
	v_and_b32_e32 v12, 0x80000000, v12
	v_lshl_add_u32 v11, v11, 23, v14
	v_or3_b32 v10, v12, v11, v10
.LBB18_1636:
	s_or_b64 exec, exec, s[6:7]
	s_movk_i32 s4, 0x7f
	v_cmp_gt_i16_sdwa s[6:7], v13, s4 src0_sel:BYTE_0 src1_sel:DWORD
	s_mov_b64 s[4:5], 0
                                        ; implicit-def: $sgpr10
	s_and_saveexec_b64 s[8:9], s[6:7]
	s_xor_b64 s[6:7], exec, s[8:9]
	s_cbranch_execnz .LBB18_3685
; %bb.1637:
	s_or_saveexec_b64 s[6:7], s[6:7]
	v_mov_b32_e32 v11, s10
	s_xor_b64 exec, exec, s[6:7]
	s_cbranch_execnz .LBB18_3688
.LBB18_1638:
	s_or_b64 exec, exec, s[6:7]
	s_and_saveexec_b64 s[6:7], s[4:5]
	s_cbranch_execz .LBB18_1640
.LBB18_1639:
	v_and_b32_e32 v11, 7, v13
	v_ffbh_u32_e32 v14, v11
	v_min_u32_e32 v14, 32, v14
	v_lshrrev_b16_e32 v12, 3, v13
	v_subrev_u32_e32 v15, 28, v14
	v_and_b32_e32 v12, 15, v12
	v_lshlrev_b32_e32 v15, v15, v13
	v_sub_u32_e32 v14, 29, v14
	v_and_b32_e32 v15, 7, v15
	v_cmp_eq_u16_e32 vcc, 0, v12
	v_cndmask_b32_e32 v11, v11, v15, vcc
	v_cndmask_b32_e32 v12, v12, v14, vcc
	v_lshlrev_b32_e32 v14, 24, v13
	v_mov_b32_e32 v15, 0x3b800000
	v_lshlrev_b32_e32 v11, 20, v11
	v_and_b32_e32 v14, 0x80000000, v14
	v_lshl_add_u32 v12, v12, 23, v15
	v_or3_b32 v11, v14, v12, v11
.LBB18_1640:
	s_or_b64 exec, exec, s[6:7]
	s_nop 0
	v_mfma_f32_16x16x4f32 a[0:3], v10, v11, a[0:3]
	v_lshrrev_b32_e32 v11, 8, v17
	s_movk_i32 s4, 0x7f
	v_cmp_gt_i16_sdwa s[6:7], v11, s4 src0_sel:BYTE_0 src1_sel:DWORD
	s_mov_b64 s[4:5], 0
                                        ; implicit-def: $sgpr10
	s_and_saveexec_b64 s[8:9], s[6:7]
	s_xor_b64 s[6:7], exec, s[8:9]
	s_cbranch_execnz .LBB18_3689
; %bb.1641:
	s_or_saveexec_b64 s[6:7], s[6:7]
	v_mov_b32_e32 v10, s10
	s_xor_b64 exec, exec, s[6:7]
	s_cbranch_execnz .LBB18_3692
.LBB18_1642:
	s_or_b64 exec, exec, s[6:7]
	s_and_saveexec_b64 s[6:7], s[4:5]
	s_cbranch_execz .LBB18_1644
.LBB18_1643:
	v_bfe_u32 v10, v17, 8, 3
	v_ffbh_u32_e32 v14, v10
	v_min_u32_e32 v14, 32, v14
	v_lshrrev_b16_e32 v12, 3, v11
	v_subrev_u32_e32 v15, 28, v14
	v_and_b32_e32 v12, 15, v12
	v_lshlrev_b32_e32 v11, v15, v11
	v_sub_u32_e32 v14, 29, v14
	v_and_b32_e32 v11, 7, v11
	v_cmp_eq_u16_e32 vcc, 0, v12
	v_cndmask_b32_e32 v10, v10, v11, vcc
	v_cndmask_b32_e32 v11, v12, v14, vcc
	v_lshlrev_b32_e32 v12, 16, v17
	v_mov_b32_e32 v14, 0x3b800000
	v_lshlrev_b32_e32 v10, 20, v10
	v_and_b32_e32 v12, 0x80000000, v12
	v_lshl_add_u32 v11, v11, 23, v14
	v_or3_b32 v10, v12, v11, v10
.LBB18_1644:
	s_or_b64 exec, exec, s[6:7]
	v_lshrrev_b32_e32 v11, 8, v13
	s_movk_i32 s4, 0x7f
	v_cmp_gt_i16_sdwa s[6:7], v11, s4 src0_sel:BYTE_0 src1_sel:DWORD
	s_mov_b64 s[4:5], 0
                                        ; implicit-def: $sgpr10
	s_and_saveexec_b64 s[8:9], s[6:7]
	s_xor_b64 s[6:7], exec, s[8:9]
	s_cbranch_execnz .LBB18_3693
; %bb.1645:
	s_or_saveexec_b64 s[6:7], s[6:7]
	v_mov_b32_e32 v12, s10
	s_xor_b64 exec, exec, s[6:7]
	s_cbranch_execnz .LBB18_3696
.LBB18_1646:
	s_or_b64 exec, exec, s[6:7]
	s_and_saveexec_b64 s[6:7], s[4:5]
	s_cbranch_execz .LBB18_1648
.LBB18_1647:
	v_bfe_u32 v12, v13, 8, 3
	v_ffbh_u32_e32 v15, v12
	v_min_u32_e32 v15, 32, v15
	v_lshrrev_b16_e32 v14, 3, v11
	v_subrev_u32_e32 v16, 28, v15
	v_and_b32_e32 v14, 15, v14
	v_lshlrev_b32_e32 v11, v16, v11
	v_sub_u32_e32 v15, 29, v15
	v_and_b32_e32 v11, 7, v11
	v_cmp_eq_u16_e32 vcc, 0, v14
	v_cndmask_b32_e32 v11, v12, v11, vcc
	v_cndmask_b32_e32 v12, v14, v15, vcc
	v_lshlrev_b32_e32 v14, 16, v13
	v_mov_b32_e32 v15, 0x3b800000
	v_lshlrev_b32_e32 v11, 20, v11
	v_and_b32_e32 v14, 0x80000000, v14
	v_lshl_add_u32 v12, v12, 23, v15
	v_or3_b32 v12, v14, v12, v11
.LBB18_1648:
	s_or_b64 exec, exec, s[6:7]
	s_nop 0
	v_mfma_f32_16x16x4f32 a[0:3], v10, v12, a[0:3]
	s_movk_i32 s4, 0xff
	v_and_b32_sdwa v11, v17, s4 dst_sel:DWORD dst_unused:UNUSED_PAD src0_sel:WORD_1 src1_sel:DWORD
	s_movk_i32 s4, 0x7f
	v_cmp_lt_i16_e32 vcc, s4, v11
	s_mov_b64 s[4:5], 0
                                        ; implicit-def: $sgpr10
	s_and_saveexec_b64 s[6:7], vcc
	s_xor_b64 s[6:7], exec, s[6:7]
	s_cbranch_execnz .LBB18_3697
; %bb.1649:
	s_or_saveexec_b64 s[6:7], s[6:7]
	v_mov_b32_e32 v10, s10
	s_xor_b64 exec, exec, s[6:7]
	s_cbranch_execnz .LBB18_3700
.LBB18_1650:
	s_or_b64 exec, exec, s[6:7]
	s_and_saveexec_b64 s[6:7], s[4:5]
	s_cbranch_execz .LBB18_1652
.LBB18_1651:
	v_bfe_u32 v10, v17, 16, 3
	v_ffbh_u32_e32 v14, v10
	v_min_u32_e32 v14, 32, v14
	v_lshrrev_b32_e32 v11, 19, v17
	v_subrev_u32_e32 v15, 28, v14
	v_and_b32_e32 v11, 15, v11
	v_lshlrev_b32_sdwa v15, v15, v17 dst_sel:DWORD dst_unused:UNUSED_PAD src0_sel:DWORD src1_sel:WORD_1
	v_bfe_u32 v12, v17, 19, 4
	v_sub_u32_e32 v14, 29, v14
	v_and_b32_e32 v15, 7, v15
	v_cmp_eq_u16_e32 vcc, 0, v11
	v_cndmask_b32_e32 v10, v10, v15, vcc
	v_cndmask_b32_e32 v11, v12, v14, vcc
	v_lshlrev_b32_e32 v12, 8, v17
	v_mov_b32_e32 v14, 0x3b800000
	v_lshlrev_b32_e32 v10, 20, v10
	v_and_b32_e32 v12, 0x80000000, v12
	v_lshl_add_u32 v11, v11, 23, v14
	v_or3_b32 v10, v12, v11, v10
.LBB18_1652:
	s_or_b64 exec, exec, s[6:7]
	s_movk_i32 s4, 0xff
	v_and_b32_sdwa v11, v13, s4 dst_sel:DWORD dst_unused:UNUSED_PAD src0_sel:WORD_1 src1_sel:DWORD
	s_movk_i32 s4, 0x7f
	v_cmp_lt_i16_e32 vcc, s4, v11
	s_mov_b64 s[4:5], 0
                                        ; implicit-def: $sgpr10
	s_and_saveexec_b64 s[6:7], vcc
	s_xor_b64 s[6:7], exec, s[6:7]
	s_cbranch_execnz .LBB18_3701
; %bb.1653:
	s_or_saveexec_b64 s[6:7], s[6:7]
	v_mov_b32_e32 v12, s10
	s_xor_b64 exec, exec, s[6:7]
	s_cbranch_execnz .LBB18_3704
.LBB18_1654:
	s_or_b64 exec, exec, s[6:7]
	s_and_saveexec_b64 s[6:7], s[4:5]
	s_cbranch_execz .LBB18_1656
.LBB18_1655:
	v_bfe_u32 v11, v13, 16, 3
	v_ffbh_u32_e32 v15, v11
	v_min_u32_e32 v15, 32, v15
	v_lshrrev_b32_e32 v12, 19, v13
	v_subrev_u32_e32 v16, 28, v15
	v_and_b32_e32 v12, 15, v12
	v_lshlrev_b32_sdwa v16, v16, v13 dst_sel:DWORD dst_unused:UNUSED_PAD src0_sel:DWORD src1_sel:WORD_1
	v_bfe_u32 v14, v13, 19, 4
	v_sub_u32_e32 v15, 29, v15
	v_and_b32_e32 v16, 7, v16
	v_cmp_eq_u16_e32 vcc, 0, v12
	v_cndmask_b32_e32 v11, v11, v16, vcc
	v_cndmask_b32_e32 v12, v14, v15, vcc
	v_lshlrev_b32_e32 v14, 8, v13
	v_mov_b32_e32 v15, 0x3b800000
	v_lshlrev_b32_e32 v11, 20, v11
	v_and_b32_e32 v14, 0x80000000, v14
	v_lshl_add_u32 v12, v12, 23, v15
	v_or3_b32 v12, v14, v12, v11
.LBB18_1656:
	s_or_b64 exec, exec, s[6:7]
	s_nop 0
	v_mfma_f32_16x16x4f32 a[0:3], v10, v12, a[0:3]
	s_movk_i32 s4, 0x7f
	v_cmp_gt_i16_sdwa s[6:7], v17, s4 src0_sel:BYTE_3 src1_sel:DWORD
	s_mov_b64 s[4:5], 0
                                        ; implicit-def: $sgpr10
	s_and_saveexec_b64 s[8:9], s[6:7]
	s_xor_b64 s[6:7], exec, s[8:9]
	s_cbranch_execnz .LBB18_3705
; %bb.1657:
	s_or_saveexec_b64 s[6:7], s[6:7]
	v_mov_b32_e32 v10, s10
	s_xor_b64 exec, exec, s[6:7]
	s_cbranch_execnz .LBB18_3708
.LBB18_1658:
	s_or_b64 exec, exec, s[6:7]
	s_and_saveexec_b64 s[6:7], s[4:5]
	s_cbranch_execz .LBB18_1660
.LBB18_1659:
	v_bfe_u32 v10, v17, 24, 3
	v_ffbh_u32_e32 v15, v10
	v_min_u32_e32 v15, 32, v15
	v_lshrrev_b32_e32 v12, 27, v17
	v_subrev_u32_e32 v16, 28, v15
	v_and_b32_e32 v12, 15, v12
	v_lshlrev_b32_sdwa v16, v16, v17 dst_sel:DWORD dst_unused:UNUSED_PAD src0_sel:DWORD src1_sel:BYTE_3
	v_bfe_u32 v14, v17, 27, 4
	v_sub_u32_e32 v15, 29, v15
	v_and_b32_e32 v16, 7, v16
	v_cmp_eq_u16_e32 vcc, 0, v12
	v_cndmask_b32_e32 v10, v10, v16, vcc
	v_cndmask_b32_e32 v12, v14, v15, vcc
	v_mov_b32_e32 v14, 0x3b800000
	v_and_b32_e32 v11, 0x80000000, v17
	v_lshlrev_b32_e32 v10, 20, v10
	v_lshl_add_u32 v12, v12, 23, v14
	v_or3_b32 v10, v11, v12, v10
.LBB18_1660:
	s_or_b64 exec, exec, s[6:7]
	s_movk_i32 s4, 0x7f
	v_cmp_gt_i16_sdwa s[6:7], v13, s4 src0_sel:BYTE_3 src1_sel:DWORD
	s_mov_b64 s[4:5], 0
                                        ; implicit-def: $sgpr10
	s_and_saveexec_b64 s[8:9], s[6:7]
	s_xor_b64 s[6:7], exec, s[8:9]
	s_cbranch_execnz .LBB18_3709
; %bb.1661:
	s_or_saveexec_b64 s[6:7], s[6:7]
	v_mov_b32_e32 v11, s10
	s_xor_b64 exec, exec, s[6:7]
	s_cbranch_execnz .LBB18_3712
.LBB18_1662:
	s_or_b64 exec, exec, s[6:7]
	s_and_saveexec_b64 s[6:7], s[4:5]
	s_cbranch_execz .LBB18_1664
.LBB18_1663:
	v_bfe_u32 v11, v13, 24, 3
	v_ffbh_u32_e32 v16, v11
	v_min_u32_e32 v16, 32, v16
	v_lshrrev_b32_e32 v14, 27, v13
	v_subrev_u32_e32 v17, 28, v16
	v_and_b32_e32 v12, 0x80000000, v13
	v_and_b32_e32 v14, 15, v14
	v_bfe_u32 v15, v13, 27, 4
	v_lshlrev_b32_sdwa v13, v17, v13 dst_sel:DWORD dst_unused:UNUSED_PAD src0_sel:DWORD src1_sel:BYTE_3
	v_sub_u32_e32 v16, 29, v16
	v_and_b32_e32 v13, 7, v13
	v_cmp_eq_u16_e32 vcc, 0, v14
	v_cndmask_b32_e32 v11, v11, v13, vcc
	v_cndmask_b32_e32 v13, v15, v16, vcc
	v_mov_b32_e32 v14, 0x3b800000
	v_lshlrev_b32_e32 v11, 20, v11
	v_lshl_add_u32 v13, v13, 23, v14
	v_or3_b32 v11, v12, v13, v11
.LBB18_1664:
	s_or_b64 exec, exec, s[6:7]
	s_nop 0
	v_mfma_f32_16x16x4f32 a[0:3], v10, v11, a[0:3]
	s_movk_i32 s4, 0x7f
	v_cmp_gt_i16_sdwa s[6:7], v6, s4 src0_sel:BYTE_0 src1_sel:DWORD
	s_mov_b64 s[4:5], 0
                                        ; implicit-def: $sgpr10
	s_and_saveexec_b64 s[8:9], s[6:7]
	s_xor_b64 s[6:7], exec, s[8:9]
	s_cbranch_execnz .LBB18_3713
; %bb.1665:
	s_or_saveexec_b64 s[6:7], s[6:7]
	v_mov_b32_e32 v10, s10
	s_xor_b64 exec, exec, s[6:7]
	s_cbranch_execnz .LBB18_3716
.LBB18_1666:
	s_or_b64 exec, exec, s[6:7]
	s_and_saveexec_b64 s[6:7], s[4:5]
	s_cbranch_execz .LBB18_1668
.LBB18_1667:
	v_and_b32_e32 v10, 7, v6
	v_ffbh_u32_e32 v12, v10
	v_min_u32_e32 v12, 32, v12
	v_lshrrev_b16_e32 v11, 3, v6
	v_subrev_u32_e32 v13, 28, v12
	v_and_b32_e32 v11, 15, v11
	v_lshlrev_b32_e32 v13, v13, v6
	v_sub_u32_e32 v12, 29, v12
	v_and_b32_e32 v13, 7, v13
	v_cmp_eq_u16_e32 vcc, 0, v11
	v_cndmask_b32_e32 v10, v10, v13, vcc
	v_cndmask_b32_e32 v11, v11, v12, vcc
	v_lshlrev_b32_e32 v12, 24, v6
	v_mov_b32_e32 v13, 0x3b800000
	v_lshlrev_b32_e32 v10, 20, v10
	v_and_b32_e32 v12, 0x80000000, v12
	v_lshl_add_u32 v11, v11, 23, v13
	v_or3_b32 v10, v12, v11, v10
.LBB18_1668:
	s_or_b64 exec, exec, s[6:7]
	s_movk_i32 s4, 0x7f
	v_cmp_gt_i16_sdwa s[6:7], v2, s4 src0_sel:BYTE_0 src1_sel:DWORD
	s_mov_b64 s[4:5], 0
                                        ; implicit-def: $sgpr10
	s_and_saveexec_b64 s[8:9], s[6:7]
	s_xor_b64 s[6:7], exec, s[8:9]
	s_cbranch_execnz .LBB18_3717
; %bb.1669:
	s_or_saveexec_b64 s[6:7], s[6:7]
	v_mov_b32_e32 v11, s10
	s_xor_b64 exec, exec, s[6:7]
	s_cbranch_execnz .LBB18_3720
.LBB18_1670:
	s_or_b64 exec, exec, s[6:7]
	s_and_saveexec_b64 s[6:7], s[4:5]
	s_cbranch_execz .LBB18_1672
.LBB18_1671:
	v_and_b32_e32 v11, 7, v2
	v_ffbh_u32_e32 v13, v11
	v_min_u32_e32 v13, 32, v13
	v_lshrrev_b16_e32 v12, 3, v2
	v_subrev_u32_e32 v14, 28, v13
	v_and_b32_e32 v12, 15, v12
	v_lshlrev_b32_e32 v14, v14, v2
	v_sub_u32_e32 v13, 29, v13
	v_and_b32_e32 v14, 7, v14
	v_cmp_eq_u16_e32 vcc, 0, v12
	v_cndmask_b32_e32 v11, v11, v14, vcc
	v_cndmask_b32_e32 v12, v12, v13, vcc
	v_lshlrev_b32_e32 v13, 24, v2
	v_mov_b32_e32 v14, 0x3b800000
	v_lshlrev_b32_e32 v11, 20, v11
	v_and_b32_e32 v13, 0x80000000, v13
	v_lshl_add_u32 v12, v12, 23, v14
	v_or3_b32 v11, v13, v12, v11
.LBB18_1672:
	s_or_b64 exec, exec, s[6:7]
	s_nop 0
	v_mfma_f32_16x16x4f32 a[0:3], v10, v11, a[0:3]
	v_lshrrev_b32_e32 v11, 8, v6
	s_movk_i32 s4, 0x7f
	v_cmp_gt_i16_sdwa s[6:7], v11, s4 src0_sel:BYTE_0 src1_sel:DWORD
	s_mov_b64 s[4:5], 0
                                        ; implicit-def: $sgpr10
	s_and_saveexec_b64 s[8:9], s[6:7]
	s_xor_b64 s[6:7], exec, s[8:9]
	s_cbranch_execnz .LBB18_3721
; %bb.1673:
	s_or_saveexec_b64 s[6:7], s[6:7]
	v_mov_b32_e32 v10, s10
	s_xor_b64 exec, exec, s[6:7]
	s_cbranch_execnz .LBB18_3724
.LBB18_1674:
	s_or_b64 exec, exec, s[6:7]
	s_and_saveexec_b64 s[6:7], s[4:5]
	s_cbranch_execz .LBB18_1676
.LBB18_1675:
	v_bfe_u32 v10, v6, 8, 3
	v_ffbh_u32_e32 v13, v10
	v_min_u32_e32 v13, 32, v13
	v_lshrrev_b16_e32 v12, 3, v11
	v_subrev_u32_e32 v14, 28, v13
	v_and_b32_e32 v12, 15, v12
	v_lshlrev_b32_e32 v11, v14, v11
	v_sub_u32_e32 v13, 29, v13
	v_and_b32_e32 v11, 7, v11
	v_cmp_eq_u16_e32 vcc, 0, v12
	v_cndmask_b32_e32 v10, v10, v11, vcc
	v_cndmask_b32_e32 v11, v12, v13, vcc
	v_lshlrev_b32_e32 v12, 16, v6
	v_mov_b32_e32 v13, 0x3b800000
	v_lshlrev_b32_e32 v10, 20, v10
	v_and_b32_e32 v12, 0x80000000, v12
	v_lshl_add_u32 v11, v11, 23, v13
	v_or3_b32 v10, v12, v11, v10
.LBB18_1676:
	s_or_b64 exec, exec, s[6:7]
	v_lshrrev_b32_e32 v11, 8, v2
	s_movk_i32 s4, 0x7f
	v_cmp_gt_i16_sdwa s[6:7], v11, s4 src0_sel:BYTE_0 src1_sel:DWORD
	s_mov_b64 s[4:5], 0
                                        ; implicit-def: $sgpr10
	s_and_saveexec_b64 s[8:9], s[6:7]
	s_xor_b64 s[6:7], exec, s[8:9]
	s_cbranch_execnz .LBB18_3725
; %bb.1677:
	s_or_saveexec_b64 s[6:7], s[6:7]
	v_mov_b32_e32 v12, s10
	s_xor_b64 exec, exec, s[6:7]
	s_cbranch_execnz .LBB18_3728
.LBB18_1678:
	s_or_b64 exec, exec, s[6:7]
	s_and_saveexec_b64 s[6:7], s[4:5]
	s_cbranch_execz .LBB18_1680
.LBB18_1679:
	v_bfe_u32 v12, v2, 8, 3
	v_ffbh_u32_e32 v14, v12
	v_min_u32_e32 v14, 32, v14
	v_lshrrev_b16_e32 v13, 3, v11
	v_subrev_u32_e32 v15, 28, v14
	v_and_b32_e32 v13, 15, v13
	v_lshlrev_b32_e32 v11, v15, v11
	v_sub_u32_e32 v14, 29, v14
	v_and_b32_e32 v11, 7, v11
	v_cmp_eq_u16_e32 vcc, 0, v13
	v_cndmask_b32_e32 v11, v12, v11, vcc
	v_cndmask_b32_e32 v12, v13, v14, vcc
	v_lshlrev_b32_e32 v13, 16, v2
	v_mov_b32_e32 v14, 0x3b800000
	v_lshlrev_b32_e32 v11, 20, v11
	v_and_b32_e32 v13, 0x80000000, v13
	v_lshl_add_u32 v12, v12, 23, v14
	v_or3_b32 v12, v13, v12, v11
.LBB18_1680:
	s_or_b64 exec, exec, s[6:7]
	s_nop 0
	v_mfma_f32_16x16x4f32 a[0:3], v10, v12, a[0:3]
	s_movk_i32 s4, 0xff
	v_and_b32_sdwa v11, v6, s4 dst_sel:DWORD dst_unused:UNUSED_PAD src0_sel:WORD_1 src1_sel:DWORD
	s_movk_i32 s4, 0x7f
	v_cmp_lt_i16_e32 vcc, s4, v11
	s_mov_b64 s[4:5], 0
                                        ; implicit-def: $sgpr10
	s_and_saveexec_b64 s[6:7], vcc
	s_xor_b64 s[6:7], exec, s[6:7]
	s_cbranch_execnz .LBB18_3729
; %bb.1681:
	s_or_saveexec_b64 s[6:7], s[6:7]
	v_mov_b32_e32 v10, s10
	s_xor_b64 exec, exec, s[6:7]
	s_cbranch_execnz .LBB18_3732
.LBB18_1682:
	s_or_b64 exec, exec, s[6:7]
	s_and_saveexec_b64 s[6:7], s[4:5]
	s_cbranch_execz .LBB18_1684
.LBB18_1683:
	v_bfe_u32 v10, v6, 16, 3
	v_ffbh_u32_e32 v13, v10
	v_min_u32_e32 v13, 32, v13
	v_lshrrev_b32_e32 v11, 19, v6
	v_subrev_u32_e32 v14, 28, v13
	v_and_b32_e32 v11, 15, v11
	v_lshlrev_b32_sdwa v14, v14, v6 dst_sel:DWORD dst_unused:UNUSED_PAD src0_sel:DWORD src1_sel:WORD_1
	v_bfe_u32 v12, v6, 19, 4
	v_sub_u32_e32 v13, 29, v13
	v_and_b32_e32 v14, 7, v14
	v_cmp_eq_u16_e32 vcc, 0, v11
	v_cndmask_b32_e32 v10, v10, v14, vcc
	v_cndmask_b32_e32 v11, v12, v13, vcc
	v_lshlrev_b32_e32 v12, 8, v6
	v_mov_b32_e32 v13, 0x3b800000
	v_lshlrev_b32_e32 v10, 20, v10
	v_and_b32_e32 v12, 0x80000000, v12
	v_lshl_add_u32 v11, v11, 23, v13
	v_or3_b32 v10, v12, v11, v10
.LBB18_1684:
	s_or_b64 exec, exec, s[6:7]
	s_movk_i32 s4, 0xff
	v_and_b32_sdwa v11, v2, s4 dst_sel:DWORD dst_unused:UNUSED_PAD src0_sel:WORD_1 src1_sel:DWORD
	s_movk_i32 s4, 0x7f
	v_cmp_lt_i16_e32 vcc, s4, v11
	s_mov_b64 s[4:5], 0
                                        ; implicit-def: $sgpr10
	s_and_saveexec_b64 s[6:7], vcc
	s_xor_b64 s[6:7], exec, s[6:7]
	s_cbranch_execnz .LBB18_3733
; %bb.1685:
	s_or_saveexec_b64 s[6:7], s[6:7]
	v_mov_b32_e32 v12, s10
	s_xor_b64 exec, exec, s[6:7]
	s_cbranch_execnz .LBB18_3736
.LBB18_1686:
	s_or_b64 exec, exec, s[6:7]
	s_and_saveexec_b64 s[6:7], s[4:5]
	s_cbranch_execz .LBB18_1688
.LBB18_1687:
	v_bfe_u32 v11, v2, 16, 3
	v_ffbh_u32_e32 v14, v11
	v_min_u32_e32 v14, 32, v14
	v_lshrrev_b32_e32 v12, 19, v2
	v_subrev_u32_e32 v15, 28, v14
	v_and_b32_e32 v12, 15, v12
	v_lshlrev_b32_sdwa v15, v15, v2 dst_sel:DWORD dst_unused:UNUSED_PAD src0_sel:DWORD src1_sel:WORD_1
	v_bfe_u32 v13, v2, 19, 4
	v_sub_u32_e32 v14, 29, v14
	v_and_b32_e32 v15, 7, v15
	v_cmp_eq_u16_e32 vcc, 0, v12
	v_cndmask_b32_e32 v11, v11, v15, vcc
	v_cndmask_b32_e32 v12, v13, v14, vcc
	v_lshlrev_b32_e32 v13, 8, v2
	v_mov_b32_e32 v14, 0x3b800000
	v_lshlrev_b32_e32 v11, 20, v11
	v_and_b32_e32 v13, 0x80000000, v13
	v_lshl_add_u32 v12, v12, 23, v14
	v_or3_b32 v12, v13, v12, v11
.LBB18_1688:
	s_or_b64 exec, exec, s[6:7]
	s_nop 0
	v_mfma_f32_16x16x4f32 a[0:3], v10, v12, a[0:3]
	s_movk_i32 s4, 0x7f
	v_cmp_gt_i16_sdwa s[6:7], v6, s4 src0_sel:BYTE_3 src1_sel:DWORD
	s_mov_b64 s[4:5], 0
                                        ; implicit-def: $sgpr10
	s_and_saveexec_b64 s[8:9], s[6:7]
	s_xor_b64 s[6:7], exec, s[8:9]
	s_cbranch_execnz .LBB18_3737
; %bb.1689:
	s_or_saveexec_b64 s[6:7], s[6:7]
	v_mov_b32_e32 v10, s10
	s_xor_b64 exec, exec, s[6:7]
	s_cbranch_execnz .LBB18_3740
.LBB18_1690:
	s_or_b64 exec, exec, s[6:7]
	s_and_saveexec_b64 s[6:7], s[4:5]
	s_cbranch_execz .LBB18_1692
.LBB18_1691:
	v_bfe_u32 v10, v6, 24, 3
	v_ffbh_u32_e32 v14, v10
	v_min_u32_e32 v14, 32, v14
	v_lshrrev_b32_e32 v12, 27, v6
	v_subrev_u32_e32 v15, 28, v14
	v_and_b32_e32 v11, 0x80000000, v6
	v_and_b32_e32 v12, 15, v12
	v_bfe_u32 v13, v6, 27, 4
	v_lshlrev_b32_sdwa v6, v15, v6 dst_sel:DWORD dst_unused:UNUSED_PAD src0_sel:DWORD src1_sel:BYTE_3
	v_sub_u32_e32 v14, 29, v14
	v_and_b32_e32 v6, 7, v6
	v_cmp_eq_u16_e32 vcc, 0, v12
	v_cndmask_b32_e32 v6, v10, v6, vcc
	v_cndmask_b32_e32 v10, v13, v14, vcc
	v_mov_b32_e32 v12, 0x3b800000
	v_lshlrev_b32_e32 v6, 20, v6
	v_lshl_add_u32 v10, v10, 23, v12
	v_or3_b32 v10, v11, v10, v6
.LBB18_1692:
	s_or_b64 exec, exec, s[6:7]
	s_movk_i32 s4, 0x7f
	v_cmp_gt_i16_sdwa s[6:7], v2, s4 src0_sel:BYTE_3 src1_sel:DWORD
	s_mov_b64 s[4:5], 0
                                        ; implicit-def: $sgpr10
	s_and_saveexec_b64 s[8:9], s[6:7]
	s_xor_b64 s[6:7], exec, s[8:9]
	s_cbranch_execnz .LBB18_3741
; %bb.1693:
	s_or_saveexec_b64 s[6:7], s[6:7]
	v_mov_b32_e32 v6, s10
	s_xor_b64 exec, exec, s[6:7]
	s_cbranch_execnz .LBB18_3744
.LBB18_1694:
	s_or_b64 exec, exec, s[6:7]
	s_and_saveexec_b64 s[6:7], s[4:5]
	s_cbranch_execz .LBB18_1696
.LBB18_1695:
	v_bfe_u32 v6, v2, 24, 3
	v_ffbh_u32_e32 v14, v6
	v_min_u32_e32 v14, 32, v14
	v_lshrrev_b32_e32 v12, 27, v2
	v_subrev_u32_e32 v15, 28, v14
	v_and_b32_e32 v11, 0x80000000, v2
	v_and_b32_e32 v12, 15, v12
	v_bfe_u32 v13, v2, 27, 4
	v_lshlrev_b32_sdwa v2, v15, v2 dst_sel:DWORD dst_unused:UNUSED_PAD src0_sel:DWORD src1_sel:BYTE_3
	v_sub_u32_e32 v14, 29, v14
	v_and_b32_e32 v2, 7, v2
	v_cmp_eq_u16_e32 vcc, 0, v12
	v_cndmask_b32_e32 v2, v6, v2, vcc
	v_cndmask_b32_e32 v6, v13, v14, vcc
	v_mov_b32_e32 v12, 0x3b800000
	v_lshlrev_b32_e32 v2, 20, v2
	v_lshl_add_u32 v6, v6, 23, v12
	v_or3_b32 v6, v11, v6, v2
.LBB18_1696:
	s_or_b64 exec, exec, s[6:7]
	s_nop 0
	v_mfma_f32_16x16x4f32 a[0:3], v10, v6, a[0:3]
	s_movk_i32 s4, 0x7f
	v_cmp_gt_i16_sdwa s[6:7], v7, s4 src0_sel:BYTE_0 src1_sel:DWORD
	s_mov_b64 s[4:5], 0
                                        ; implicit-def: $sgpr10
	s_and_saveexec_b64 s[8:9], s[6:7]
	s_xor_b64 s[6:7], exec, s[8:9]
	s_cbranch_execnz .LBB18_3745
; %bb.1697:
	s_or_saveexec_b64 s[6:7], s[6:7]
	v_mov_b32_e32 v2, s10
	s_xor_b64 exec, exec, s[6:7]
	s_cbranch_execnz .LBB18_3748
.LBB18_1698:
	s_or_b64 exec, exec, s[6:7]
	s_and_saveexec_b64 s[6:7], s[4:5]
	s_cbranch_execz .LBB18_1700
.LBB18_1699:
	v_and_b32_e32 v2, 7, v7
	v_ffbh_u32_e32 v10, v2
	v_min_u32_e32 v10, 32, v10
	v_lshrrev_b16_e32 v6, 3, v7
	v_subrev_u32_e32 v11, 28, v10
	v_and_b32_e32 v6, 15, v6
	v_lshlrev_b32_e32 v11, v11, v7
	v_sub_u32_e32 v10, 29, v10
	v_and_b32_e32 v11, 7, v11
	v_cmp_eq_u16_e32 vcc, 0, v6
	v_cndmask_b32_e32 v2, v2, v11, vcc
	v_cndmask_b32_e32 v6, v6, v10, vcc
	v_lshlrev_b32_e32 v10, 24, v7
	v_mov_b32_e32 v11, 0x3b800000
	v_lshlrev_b32_e32 v2, 20, v2
	v_and_b32_e32 v10, 0x80000000, v10
	v_lshl_add_u32 v6, v6, 23, v11
	v_or3_b32 v2, v10, v6, v2
.LBB18_1700:
	s_or_b64 exec, exec, s[6:7]
	s_movk_i32 s4, 0x7f
	v_cmp_gt_i16_sdwa s[6:7], v3, s4 src0_sel:BYTE_0 src1_sel:DWORD
	s_mov_b64 s[4:5], 0
                                        ; implicit-def: $sgpr10
	s_and_saveexec_b64 s[8:9], s[6:7]
	s_xor_b64 s[6:7], exec, s[8:9]
	s_cbranch_execnz .LBB18_3749
; %bb.1701:
	s_or_saveexec_b64 s[6:7], s[6:7]
	v_mov_b32_e32 v6, s10
	s_xor_b64 exec, exec, s[6:7]
	s_cbranch_execnz .LBB18_3752
.LBB18_1702:
	s_or_b64 exec, exec, s[6:7]
	s_and_saveexec_b64 s[6:7], s[4:5]
	s_cbranch_execz .LBB18_1704
.LBB18_1703:
	v_and_b32_e32 v6, 7, v3
	v_ffbh_u32_e32 v11, v6
	v_min_u32_e32 v11, 32, v11
	v_lshrrev_b16_e32 v10, 3, v3
	v_subrev_u32_e32 v12, 28, v11
	v_and_b32_e32 v10, 15, v10
	v_lshlrev_b32_e32 v12, v12, v3
	v_sub_u32_e32 v11, 29, v11
	v_and_b32_e32 v12, 7, v12
	v_cmp_eq_u16_e32 vcc, 0, v10
	v_cndmask_b32_e32 v6, v6, v12, vcc
	v_cndmask_b32_e32 v10, v10, v11, vcc
	v_lshlrev_b32_e32 v11, 24, v3
	v_mov_b32_e32 v12, 0x3b800000
	v_lshlrev_b32_e32 v6, 20, v6
	v_and_b32_e32 v11, 0x80000000, v11
	v_lshl_add_u32 v10, v10, 23, v12
	v_or3_b32 v6, v11, v10, v6
.LBB18_1704:
	s_or_b64 exec, exec, s[6:7]
	s_nop 0
	v_mfma_f32_16x16x4f32 a[0:3], v2, v6, a[0:3]
	v_lshrrev_b32_e32 v6, 8, v7
	s_movk_i32 s4, 0x7f
	v_cmp_gt_i16_sdwa s[6:7], v6, s4 src0_sel:BYTE_0 src1_sel:DWORD
	s_mov_b64 s[4:5], 0
                                        ; implicit-def: $sgpr10
	s_and_saveexec_b64 s[8:9], s[6:7]
	s_xor_b64 s[6:7], exec, s[8:9]
	s_cbranch_execnz .LBB18_3753
; %bb.1705:
	s_or_saveexec_b64 s[6:7], s[6:7]
	v_mov_b32_e32 v2, s10
	s_xor_b64 exec, exec, s[6:7]
	s_cbranch_execnz .LBB18_3756
.LBB18_1706:
	s_or_b64 exec, exec, s[6:7]
	s_and_saveexec_b64 s[6:7], s[4:5]
	s_cbranch_execz .LBB18_1708
.LBB18_1707:
	v_bfe_u32 v2, v7, 8, 3
	v_ffbh_u32_e32 v11, v2
	v_min_u32_e32 v11, 32, v11
	v_lshrrev_b16_e32 v10, 3, v6
	v_subrev_u32_e32 v12, 28, v11
	v_and_b32_e32 v10, 15, v10
	v_lshlrev_b32_e32 v6, v12, v6
	v_sub_u32_e32 v11, 29, v11
	v_and_b32_e32 v6, 7, v6
	v_cmp_eq_u16_e32 vcc, 0, v10
	v_cndmask_b32_e32 v2, v2, v6, vcc
	v_cndmask_b32_e32 v6, v10, v11, vcc
	v_lshlrev_b32_e32 v10, 16, v7
	v_mov_b32_e32 v11, 0x3b800000
	v_lshlrev_b32_e32 v2, 20, v2
	v_and_b32_e32 v10, 0x80000000, v10
	v_lshl_add_u32 v6, v6, 23, v11
	v_or3_b32 v2, v10, v6, v2
.LBB18_1708:
	s_or_b64 exec, exec, s[6:7]
	v_lshrrev_b32_e32 v6, 8, v3
	s_movk_i32 s4, 0x7f
	v_cmp_gt_i16_sdwa s[6:7], v6, s4 src0_sel:BYTE_0 src1_sel:DWORD
	s_mov_b64 s[4:5], 0
                                        ; implicit-def: $sgpr10
	s_and_saveexec_b64 s[8:9], s[6:7]
	s_xor_b64 s[6:7], exec, s[8:9]
	s_cbranch_execnz .LBB18_3757
; %bb.1709:
	s_or_saveexec_b64 s[6:7], s[6:7]
	v_mov_b32_e32 v10, s10
	s_xor_b64 exec, exec, s[6:7]
	s_cbranch_execnz .LBB18_3760
.LBB18_1710:
	s_or_b64 exec, exec, s[6:7]
	s_and_saveexec_b64 s[6:7], s[4:5]
	s_cbranch_execz .LBB18_1712
.LBB18_1711:
	v_bfe_u32 v10, v3, 8, 3
	v_ffbh_u32_e32 v12, v10
	v_min_u32_e32 v12, 32, v12
	v_lshrrev_b16_e32 v11, 3, v6
	v_subrev_u32_e32 v13, 28, v12
	v_and_b32_e32 v11, 15, v11
	v_lshlrev_b32_e32 v6, v13, v6
	v_sub_u32_e32 v12, 29, v12
	v_and_b32_e32 v6, 7, v6
	v_cmp_eq_u16_e32 vcc, 0, v11
	v_cndmask_b32_e32 v6, v10, v6, vcc
	v_cndmask_b32_e32 v10, v11, v12, vcc
	v_lshlrev_b32_e32 v11, 16, v3
	v_mov_b32_e32 v12, 0x3b800000
	v_lshlrev_b32_e32 v6, 20, v6
	v_and_b32_e32 v11, 0x80000000, v11
	v_lshl_add_u32 v10, v10, 23, v12
	v_or3_b32 v10, v11, v10, v6
.LBB18_1712:
	s_or_b64 exec, exec, s[6:7]
	s_nop 0
	v_mfma_f32_16x16x4f32 a[0:3], v2, v10, a[0:3]
	s_movk_i32 s4, 0xff
	v_and_b32_sdwa v6, v7, s4 dst_sel:DWORD dst_unused:UNUSED_PAD src0_sel:WORD_1 src1_sel:DWORD
	s_movk_i32 s4, 0x7f
	v_cmp_lt_i16_e32 vcc, s4, v6
	s_mov_b64 s[4:5], 0
                                        ; implicit-def: $sgpr10
	s_and_saveexec_b64 s[6:7], vcc
	s_xor_b64 s[6:7], exec, s[6:7]
	s_cbranch_execnz .LBB18_3761
; %bb.1713:
	s_or_saveexec_b64 s[6:7], s[6:7]
	v_mov_b32_e32 v2, s10
	s_xor_b64 exec, exec, s[6:7]
	s_cbranch_execnz .LBB18_3764
.LBB18_1714:
	s_or_b64 exec, exec, s[6:7]
	s_and_saveexec_b64 s[6:7], s[4:5]
	s_cbranch_execz .LBB18_1716
.LBB18_1715:
	v_bfe_u32 v2, v7, 16, 3
	v_ffbh_u32_e32 v11, v2
	v_min_u32_e32 v11, 32, v11
	v_lshrrev_b32_e32 v6, 19, v7
	v_subrev_u32_e32 v12, 28, v11
	v_and_b32_e32 v6, 15, v6
	v_lshlrev_b32_sdwa v12, v12, v7 dst_sel:DWORD dst_unused:UNUSED_PAD src0_sel:DWORD src1_sel:WORD_1
	v_bfe_u32 v10, v7, 19, 4
	v_sub_u32_e32 v11, 29, v11
	v_and_b32_e32 v12, 7, v12
	v_cmp_eq_u16_e32 vcc, 0, v6
	v_cndmask_b32_e32 v2, v2, v12, vcc
	v_cndmask_b32_e32 v6, v10, v11, vcc
	v_lshlrev_b32_e32 v10, 8, v7
	v_mov_b32_e32 v11, 0x3b800000
	v_lshlrev_b32_e32 v2, 20, v2
	v_and_b32_e32 v10, 0x80000000, v10
	v_lshl_add_u32 v6, v6, 23, v11
	v_or3_b32 v2, v10, v6, v2
.LBB18_1716:
	s_or_b64 exec, exec, s[6:7]
	s_movk_i32 s4, 0xff
	v_and_b32_sdwa v6, v3, s4 dst_sel:DWORD dst_unused:UNUSED_PAD src0_sel:WORD_1 src1_sel:DWORD
	s_movk_i32 s4, 0x7f
	v_cmp_lt_i16_e32 vcc, s4, v6
	s_mov_b64 s[4:5], 0
                                        ; implicit-def: $sgpr10
	s_and_saveexec_b64 s[6:7], vcc
	s_xor_b64 s[6:7], exec, s[6:7]
	s_cbranch_execnz .LBB18_3765
; %bb.1717:
	s_or_saveexec_b64 s[6:7], s[6:7]
	v_mov_b32_e32 v10, s10
	s_xor_b64 exec, exec, s[6:7]
	s_cbranch_execnz .LBB18_3768
.LBB18_1718:
	s_or_b64 exec, exec, s[6:7]
	s_and_saveexec_b64 s[6:7], s[4:5]
	s_cbranch_execz .LBB18_1720
.LBB18_1719:
	v_bfe_u32 v6, v3, 16, 3
	v_ffbh_u32_e32 v12, v6
	v_min_u32_e32 v12, 32, v12
	v_lshrrev_b32_e32 v10, 19, v3
	v_subrev_u32_e32 v13, 28, v12
	v_and_b32_e32 v10, 15, v10
	v_lshlrev_b32_sdwa v13, v13, v3 dst_sel:DWORD dst_unused:UNUSED_PAD src0_sel:DWORD src1_sel:WORD_1
	v_bfe_u32 v11, v3, 19, 4
	v_sub_u32_e32 v12, 29, v12
	v_and_b32_e32 v13, 7, v13
	v_cmp_eq_u16_e32 vcc, 0, v10
	v_cndmask_b32_e32 v6, v6, v13, vcc
	v_cndmask_b32_e32 v10, v11, v12, vcc
	v_lshlrev_b32_e32 v11, 8, v3
	v_mov_b32_e32 v12, 0x3b800000
	v_lshlrev_b32_e32 v6, 20, v6
	v_and_b32_e32 v11, 0x80000000, v11
	v_lshl_add_u32 v10, v10, 23, v12
	v_or3_b32 v10, v11, v10, v6
.LBB18_1720:
	s_or_b64 exec, exec, s[6:7]
	s_nop 0
	v_mfma_f32_16x16x4f32 a[0:3], v2, v10, a[0:3]
	s_movk_i32 s4, 0x7f
	v_cmp_gt_i16_sdwa s[6:7], v7, s4 src0_sel:BYTE_3 src1_sel:DWORD
	s_mov_b64 s[4:5], 0
                                        ; implicit-def: $sgpr10
	s_and_saveexec_b64 s[8:9], s[6:7]
	s_xor_b64 s[6:7], exec, s[8:9]
	s_cbranch_execnz .LBB18_3769
; %bb.1721:
	s_or_saveexec_b64 s[6:7], s[6:7]
	v_mov_b32_e32 v2, s10
	s_xor_b64 exec, exec, s[6:7]
	s_cbranch_execnz .LBB18_3772
.LBB18_1722:
	s_or_b64 exec, exec, s[6:7]
	s_and_saveexec_b64 s[6:7], s[4:5]
	s_cbranch_execz .LBB18_1724
.LBB18_1723:
	v_bfe_u32 v2, v7, 24, 3
	v_ffbh_u32_e32 v12, v2
	v_min_u32_e32 v12, 32, v12
	v_lshrrev_b32_e32 v10, 27, v7
	v_subrev_u32_e32 v13, 28, v12
	v_and_b32_e32 v6, 0x80000000, v7
	v_and_b32_e32 v10, 15, v10
	v_bfe_u32 v11, v7, 27, 4
	v_lshlrev_b32_sdwa v7, v13, v7 dst_sel:DWORD dst_unused:UNUSED_PAD src0_sel:DWORD src1_sel:BYTE_3
	v_sub_u32_e32 v12, 29, v12
	v_and_b32_e32 v7, 7, v7
	v_cmp_eq_u16_e32 vcc, 0, v10
	v_cndmask_b32_e32 v2, v2, v7, vcc
	v_cndmask_b32_e32 v7, v11, v12, vcc
	v_mov_b32_e32 v10, 0x3b800000
	v_lshlrev_b32_e32 v2, 20, v2
	v_lshl_add_u32 v7, v7, 23, v10
	v_or3_b32 v2, v6, v7, v2
.LBB18_1724:
	s_or_b64 exec, exec, s[6:7]
	s_movk_i32 s4, 0x7f
	v_cmp_gt_i16_sdwa s[6:7], v3, s4 src0_sel:BYTE_3 src1_sel:DWORD
	s_mov_b64 s[4:5], 0
                                        ; implicit-def: $sgpr10
	s_and_saveexec_b64 s[8:9], s[6:7]
	s_xor_b64 s[6:7], exec, s[8:9]
	s_cbranch_execnz .LBB18_3773
; %bb.1725:
	s_or_saveexec_b64 s[6:7], s[6:7]
	v_mov_b32_e32 v6, s10
	s_xor_b64 exec, exec, s[6:7]
	s_cbranch_execnz .LBB18_3776
.LBB18_1726:
	s_or_b64 exec, exec, s[6:7]
	s_and_saveexec_b64 s[6:7], s[4:5]
	s_cbranch_execz .LBB18_1728
.LBB18_1727:
	v_bfe_u32 v6, v3, 24, 3
	v_ffbh_u32_e32 v12, v6
	v_min_u32_e32 v12, 32, v12
	v_lshrrev_b32_e32 v10, 27, v3
	v_subrev_u32_e32 v13, 28, v12
	v_and_b32_e32 v7, 0x80000000, v3
	v_and_b32_e32 v10, 15, v10
	v_bfe_u32 v11, v3, 27, 4
	v_lshlrev_b32_sdwa v3, v13, v3 dst_sel:DWORD dst_unused:UNUSED_PAD src0_sel:DWORD src1_sel:BYTE_3
	v_sub_u32_e32 v12, 29, v12
	v_and_b32_e32 v3, 7, v3
	v_cmp_eq_u16_e32 vcc, 0, v10
	v_cndmask_b32_e32 v3, v6, v3, vcc
	v_cndmask_b32_e32 v6, v11, v12, vcc
	v_mov_b32_e32 v10, 0x3b800000
	v_lshlrev_b32_e32 v3, 20, v3
	v_lshl_add_u32 v6, v6, 23, v10
	v_or3_b32 v6, v7, v6, v3
.LBB18_1728:
	s_or_b64 exec, exec, s[6:7]
	s_nop 0
	v_mfma_f32_16x16x4f32 a[0:3], v2, v6, a[0:3]
	s_movk_i32 s4, 0x7f
	v_cmp_gt_i16_sdwa s[6:7], v8, s4 src0_sel:BYTE_0 src1_sel:DWORD
	s_mov_b64 s[4:5], 0
                                        ; implicit-def: $sgpr10
	s_and_saveexec_b64 s[8:9], s[6:7]
	s_xor_b64 s[6:7], exec, s[8:9]
	s_cbranch_execnz .LBB18_3777
; %bb.1729:
	s_or_saveexec_b64 s[6:7], s[6:7]
	v_mov_b32_e32 v2, s10
	s_xor_b64 exec, exec, s[6:7]
	s_cbranch_execnz .LBB18_3780
.LBB18_1730:
	s_or_b64 exec, exec, s[6:7]
	s_and_saveexec_b64 s[6:7], s[4:5]
	s_cbranch_execz .LBB18_1732
.LBB18_1731:
	v_and_b32_e32 v2, 7, v8
	v_ffbh_u32_e32 v6, v2
	v_min_u32_e32 v6, 32, v6
	v_lshrrev_b16_e32 v3, 3, v8
	v_subrev_u32_e32 v7, 28, v6
	v_and_b32_e32 v3, 15, v3
	v_lshlrev_b32_e32 v7, v7, v8
	v_sub_u32_e32 v6, 29, v6
	v_and_b32_e32 v7, 7, v7
	v_cmp_eq_u16_e32 vcc, 0, v3
	v_cndmask_b32_e32 v2, v2, v7, vcc
	v_cndmask_b32_e32 v3, v3, v6, vcc
	v_lshlrev_b32_e32 v6, 24, v8
	v_mov_b32_e32 v7, 0x3b800000
	v_lshlrev_b32_e32 v2, 20, v2
	v_and_b32_e32 v6, 0x80000000, v6
	v_lshl_add_u32 v3, v3, 23, v7
	v_or3_b32 v2, v6, v3, v2
.LBB18_1732:
	s_or_b64 exec, exec, s[6:7]
	s_movk_i32 s4, 0x7f
	v_cmp_gt_i16_sdwa s[6:7], v4, s4 src0_sel:BYTE_0 src1_sel:DWORD
	s_mov_b64 s[4:5], 0
                                        ; implicit-def: $sgpr10
	s_and_saveexec_b64 s[8:9], s[6:7]
	s_xor_b64 s[6:7], exec, s[8:9]
	s_cbranch_execnz .LBB18_3781
; %bb.1733:
	s_or_saveexec_b64 s[6:7], s[6:7]
	v_mov_b32_e32 v3, s10
	s_xor_b64 exec, exec, s[6:7]
	s_cbranch_execnz .LBB18_3784
.LBB18_1734:
	s_or_b64 exec, exec, s[6:7]
	s_and_saveexec_b64 s[6:7], s[4:5]
	s_cbranch_execz .LBB18_1736
.LBB18_1735:
	v_and_b32_e32 v3, 7, v4
	v_ffbh_u32_e32 v7, v3
	v_min_u32_e32 v7, 32, v7
	v_lshrrev_b16_e32 v6, 3, v4
	v_subrev_u32_e32 v10, 28, v7
	v_and_b32_e32 v6, 15, v6
	v_lshlrev_b32_e32 v10, v10, v4
	v_sub_u32_e32 v7, 29, v7
	v_and_b32_e32 v10, 7, v10
	v_cmp_eq_u16_e32 vcc, 0, v6
	v_cndmask_b32_e32 v3, v3, v10, vcc
	v_cndmask_b32_e32 v6, v6, v7, vcc
	v_lshlrev_b32_e32 v7, 24, v4
	v_mov_b32_e32 v10, 0x3b800000
	v_lshlrev_b32_e32 v3, 20, v3
	v_and_b32_e32 v7, 0x80000000, v7
	v_lshl_add_u32 v6, v6, 23, v10
	v_or3_b32 v3, v7, v6, v3
.LBB18_1736:
	s_or_b64 exec, exec, s[6:7]
	s_nop 0
	v_mfma_f32_16x16x4f32 a[0:3], v2, v3, a[0:3]
	v_lshrrev_b32_e32 v3, 8, v8
	s_movk_i32 s4, 0x7f
	v_cmp_gt_i16_sdwa s[6:7], v3, s4 src0_sel:BYTE_0 src1_sel:DWORD
	s_mov_b64 s[4:5], 0
                                        ; implicit-def: $sgpr10
	s_and_saveexec_b64 s[8:9], s[6:7]
	s_xor_b64 s[6:7], exec, s[8:9]
	s_cbranch_execnz .LBB18_3785
; %bb.1737:
	s_or_saveexec_b64 s[6:7], s[6:7]
	v_mov_b32_e32 v2, s10
	s_xor_b64 exec, exec, s[6:7]
	s_cbranch_execnz .LBB18_3788
.LBB18_1738:
	s_or_b64 exec, exec, s[6:7]
	s_and_saveexec_b64 s[6:7], s[4:5]
	s_cbranch_execz .LBB18_1740
.LBB18_1739:
	v_bfe_u32 v2, v8, 8, 3
	v_ffbh_u32_e32 v7, v2
	v_min_u32_e32 v7, 32, v7
	v_lshrrev_b16_e32 v6, 3, v3
	v_subrev_u32_e32 v10, 28, v7
	v_and_b32_e32 v6, 15, v6
	v_lshlrev_b32_e32 v3, v10, v3
	v_sub_u32_e32 v7, 29, v7
	v_and_b32_e32 v3, 7, v3
	v_cmp_eq_u16_e32 vcc, 0, v6
	v_cndmask_b32_e32 v2, v2, v3, vcc
	v_cndmask_b32_e32 v3, v6, v7, vcc
	v_lshlrev_b32_e32 v6, 16, v8
	v_mov_b32_e32 v7, 0x3b800000
	v_lshlrev_b32_e32 v2, 20, v2
	v_and_b32_e32 v6, 0x80000000, v6
	v_lshl_add_u32 v3, v3, 23, v7
	v_or3_b32 v2, v6, v3, v2
.LBB18_1740:
	s_or_b64 exec, exec, s[6:7]
	v_lshrrev_b32_e32 v3, 8, v4
	s_movk_i32 s4, 0x7f
	v_cmp_gt_i16_sdwa s[6:7], v3, s4 src0_sel:BYTE_0 src1_sel:DWORD
	s_mov_b64 s[4:5], 0
                                        ; implicit-def: $sgpr10
	s_and_saveexec_b64 s[8:9], s[6:7]
	s_xor_b64 s[6:7], exec, s[8:9]
	s_cbranch_execnz .LBB18_3789
; %bb.1741:
	s_or_saveexec_b64 s[6:7], s[6:7]
	v_mov_b32_e32 v6, s10
	s_xor_b64 exec, exec, s[6:7]
	s_cbranch_execnz .LBB18_3792
.LBB18_1742:
	s_or_b64 exec, exec, s[6:7]
	s_and_saveexec_b64 s[6:7], s[4:5]
	s_cbranch_execz .LBB18_1744
.LBB18_1743:
	v_bfe_u32 v6, v4, 8, 3
	v_ffbh_u32_e32 v10, v6
	v_min_u32_e32 v10, 32, v10
	v_lshrrev_b16_e32 v7, 3, v3
	v_subrev_u32_e32 v11, 28, v10
	v_and_b32_e32 v7, 15, v7
	v_lshlrev_b32_e32 v3, v11, v3
	v_sub_u32_e32 v10, 29, v10
	v_and_b32_e32 v3, 7, v3
	v_cmp_eq_u16_e32 vcc, 0, v7
	v_cndmask_b32_e32 v3, v6, v3, vcc
	v_cndmask_b32_e32 v6, v7, v10, vcc
	v_lshlrev_b32_e32 v7, 16, v4
	v_mov_b32_e32 v10, 0x3b800000
	v_lshlrev_b32_e32 v3, 20, v3
	v_and_b32_e32 v7, 0x80000000, v7
	v_lshl_add_u32 v6, v6, 23, v10
	v_or3_b32 v6, v7, v6, v3
.LBB18_1744:
	s_or_b64 exec, exec, s[6:7]
	s_nop 0
	v_mfma_f32_16x16x4f32 a[0:3], v2, v6, a[0:3]
	s_movk_i32 s4, 0xff
	v_and_b32_sdwa v3, v8, s4 dst_sel:DWORD dst_unused:UNUSED_PAD src0_sel:WORD_1 src1_sel:DWORD
	s_movk_i32 s4, 0x7f
	v_cmp_lt_i16_e32 vcc, s4, v3
	s_mov_b64 s[4:5], 0
                                        ; implicit-def: $sgpr10
	s_and_saveexec_b64 s[6:7], vcc
	s_xor_b64 s[6:7], exec, s[6:7]
	s_cbranch_execnz .LBB18_3793
; %bb.1745:
	s_or_saveexec_b64 s[6:7], s[6:7]
	v_mov_b32_e32 v2, s10
	s_xor_b64 exec, exec, s[6:7]
	s_cbranch_execnz .LBB18_3796
.LBB18_1746:
	s_or_b64 exec, exec, s[6:7]
	s_and_saveexec_b64 s[6:7], s[4:5]
	s_cbranch_execz .LBB18_1748
.LBB18_1747:
	v_bfe_u32 v2, v8, 16, 3
	v_ffbh_u32_e32 v7, v2
	v_min_u32_e32 v7, 32, v7
	v_lshrrev_b32_e32 v3, 19, v8
	v_subrev_u32_e32 v10, 28, v7
	v_and_b32_e32 v3, 15, v3
	v_lshlrev_b32_sdwa v10, v10, v8 dst_sel:DWORD dst_unused:UNUSED_PAD src0_sel:DWORD src1_sel:WORD_1
	v_bfe_u32 v6, v8, 19, 4
	v_sub_u32_e32 v7, 29, v7
	v_and_b32_e32 v10, 7, v10
	v_cmp_eq_u16_e32 vcc, 0, v3
	v_cndmask_b32_e32 v2, v2, v10, vcc
	v_cndmask_b32_e32 v3, v6, v7, vcc
	v_lshlrev_b32_e32 v6, 8, v8
	v_mov_b32_e32 v7, 0x3b800000
	v_lshlrev_b32_e32 v2, 20, v2
	v_and_b32_e32 v6, 0x80000000, v6
	v_lshl_add_u32 v3, v3, 23, v7
	v_or3_b32 v2, v6, v3, v2
.LBB18_1748:
	s_or_b64 exec, exec, s[6:7]
	s_movk_i32 s4, 0xff
	v_and_b32_sdwa v3, v4, s4 dst_sel:DWORD dst_unused:UNUSED_PAD src0_sel:WORD_1 src1_sel:DWORD
	s_movk_i32 s4, 0x7f
	v_cmp_lt_i16_e32 vcc, s4, v3
	s_mov_b64 s[4:5], 0
                                        ; implicit-def: $sgpr10
	s_and_saveexec_b64 s[6:7], vcc
	s_xor_b64 s[6:7], exec, s[6:7]
	s_cbranch_execnz .LBB18_3797
; %bb.1749:
	s_or_saveexec_b64 s[6:7], s[6:7]
	v_mov_b32_e32 v6, s10
	s_xor_b64 exec, exec, s[6:7]
	s_cbranch_execnz .LBB18_3800
.LBB18_1750:
	s_or_b64 exec, exec, s[6:7]
	s_and_saveexec_b64 s[6:7], s[4:5]
	s_cbranch_execz .LBB18_1752
.LBB18_1751:
	v_bfe_u32 v3, v4, 16, 3
	v_ffbh_u32_e32 v10, v3
	v_min_u32_e32 v10, 32, v10
	v_lshrrev_b32_e32 v6, 19, v4
	v_subrev_u32_e32 v11, 28, v10
	v_and_b32_e32 v6, 15, v6
	v_lshlrev_b32_sdwa v11, v11, v4 dst_sel:DWORD dst_unused:UNUSED_PAD src0_sel:DWORD src1_sel:WORD_1
	v_bfe_u32 v7, v4, 19, 4
	v_sub_u32_e32 v10, 29, v10
	v_and_b32_e32 v11, 7, v11
	v_cmp_eq_u16_e32 vcc, 0, v6
	v_cndmask_b32_e32 v3, v3, v11, vcc
	v_cndmask_b32_e32 v6, v7, v10, vcc
	v_lshlrev_b32_e32 v7, 8, v4
	v_mov_b32_e32 v10, 0x3b800000
	v_lshlrev_b32_e32 v3, 20, v3
	v_and_b32_e32 v7, 0x80000000, v7
	v_lshl_add_u32 v6, v6, 23, v10
	v_or3_b32 v6, v7, v6, v3
.LBB18_1752:
	s_or_b64 exec, exec, s[6:7]
	s_nop 0
	v_mfma_f32_16x16x4f32 a[0:3], v2, v6, a[0:3]
	s_movk_i32 s4, 0x7f
	v_cmp_gt_i16_sdwa s[6:7], v8, s4 src0_sel:BYTE_3 src1_sel:DWORD
	s_mov_b64 s[4:5], 0
                                        ; implicit-def: $sgpr10
	s_and_saveexec_b64 s[8:9], s[6:7]
	s_xor_b64 s[6:7], exec, s[8:9]
	s_cbranch_execnz .LBB18_3801
; %bb.1753:
	s_or_saveexec_b64 s[6:7], s[6:7]
	v_mov_b32_e32 v2, s10
	s_xor_b64 exec, exec, s[6:7]
	s_cbranch_execnz .LBB18_3804
.LBB18_1754:
	s_or_b64 exec, exec, s[6:7]
	s_and_saveexec_b64 s[6:7], s[4:5]
	s_cbranch_execz .LBB18_1756
.LBB18_1755:
	v_bfe_u32 v2, v8, 24, 3
	v_ffbh_u32_e32 v10, v2
	v_min_u32_e32 v10, 32, v10
	v_lshrrev_b32_e32 v6, 27, v8
	v_subrev_u32_e32 v11, 28, v10
	v_and_b32_e32 v3, 0x80000000, v8
	v_and_b32_e32 v6, 15, v6
	v_bfe_u32 v7, v8, 27, 4
	v_lshlrev_b32_sdwa v8, v11, v8 dst_sel:DWORD dst_unused:UNUSED_PAD src0_sel:DWORD src1_sel:BYTE_3
	v_sub_u32_e32 v10, 29, v10
	v_and_b32_e32 v8, 7, v8
	v_cmp_eq_u16_e32 vcc, 0, v6
	v_cndmask_b32_e32 v2, v2, v8, vcc
	v_cndmask_b32_e32 v6, v7, v10, vcc
	v_mov_b32_e32 v7, 0x3b800000
	v_lshlrev_b32_e32 v2, 20, v2
	v_lshl_add_u32 v6, v6, 23, v7
	v_or3_b32 v2, v3, v6, v2
.LBB18_1756:
	s_or_b64 exec, exec, s[6:7]
	s_movk_i32 s4, 0x7f
	v_cmp_gt_i16_sdwa s[6:7], v4, s4 src0_sel:BYTE_3 src1_sel:DWORD
	s_mov_b64 s[4:5], 0
                                        ; implicit-def: $sgpr10
	s_and_saveexec_b64 s[8:9], s[6:7]
	s_xor_b64 s[6:7], exec, s[8:9]
	s_cbranch_execnz .LBB18_3805
; %bb.1757:
	s_or_saveexec_b64 s[6:7], s[6:7]
	v_mov_b32_e32 v3, s10
	s_xor_b64 exec, exec, s[6:7]
	s_cbranch_execnz .LBB18_3808
.LBB18_1758:
	s_or_b64 exec, exec, s[6:7]
	s_and_saveexec_b64 s[6:7], s[4:5]
	s_cbranch_execz .LBB18_1760
.LBB18_1759:
	v_bfe_u32 v3, v4, 24, 3
	v_ffbh_u32_e32 v10, v3
	v_min_u32_e32 v10, 32, v10
	v_lshrrev_b32_e32 v7, 27, v4
	v_subrev_u32_e32 v11, 28, v10
	v_and_b32_e32 v6, 0x80000000, v4
	v_and_b32_e32 v7, 15, v7
	v_bfe_u32 v8, v4, 27, 4
	v_lshlrev_b32_sdwa v4, v11, v4 dst_sel:DWORD dst_unused:UNUSED_PAD src0_sel:DWORD src1_sel:BYTE_3
	v_sub_u32_e32 v10, 29, v10
	v_and_b32_e32 v4, 7, v4
	v_cmp_eq_u16_e32 vcc, 0, v7
	v_cndmask_b32_e32 v3, v3, v4, vcc
	v_cndmask_b32_e32 v4, v8, v10, vcc
	v_mov_b32_e32 v7, 0x3b800000
	v_lshlrev_b32_e32 v3, 20, v3
	v_lshl_add_u32 v4, v4, 23, v7
	v_or3_b32 v3, v6, v4, v3
.LBB18_1760:
	s_or_b64 exec, exec, s[6:7]
	s_nop 0
	v_mfma_f32_16x16x4f32 a[0:3], v2, v3, a[0:3]
	s_movk_i32 s4, 0x7f
	v_cmp_gt_i16_sdwa s[6:7], v9, s4 src0_sel:BYTE_0 src1_sel:DWORD
	s_mov_b64 s[4:5], 0
                                        ; implicit-def: $sgpr10
	s_and_saveexec_b64 s[8:9], s[6:7]
	s_xor_b64 s[6:7], exec, s[8:9]
	s_cbranch_execnz .LBB18_3809
; %bb.1761:
	s_or_saveexec_b64 s[6:7], s[6:7]
	v_mov_b32_e32 v2, s10
	s_xor_b64 exec, exec, s[6:7]
	s_cbranch_execnz .LBB18_3812
.LBB18_1762:
	s_or_b64 exec, exec, s[6:7]
	s_and_saveexec_b64 s[6:7], s[4:5]
	s_cbranch_execz .LBB18_1764
.LBB18_1763:
	v_mov_b32_e32 v2, 8
	v_and_b32_e32 v3, 7, v9
	v_lshrrev_b32_sdwa v2, v2, v9 dst_sel:BYTE_1 dst_unused:UNUSED_PAD src0_sel:DWORD src1_sel:DWORD
	v_ffbh_u32_e32 v4, v3
	v_or_b32_sdwa v2, v9, v2 dst_sel:DWORD dst_unused:UNUSED_PAD src0_sel:BYTE_0 src1_sel:DWORD
	v_min_u32_e32 v4, 32, v4
	v_lshrrev_b16_e32 v2, 3, v2
	v_subrev_u32_e32 v6, 28, v4
	v_and_b32_e32 v2, 15, v2
	v_lshlrev_b32_e32 v6, v6, v9
	v_sub_u32_e32 v4, 29, v4
	v_and_b32_e32 v6, 7, v6
	v_cmp_eq_u16_e32 vcc, 0, v2
	v_cndmask_b32_e32 v3, v3, v6, vcc
	v_cndmask_b32_e32 v2, v2, v4, vcc
	v_lshlrev_b32_e32 v4, 24, v9
	v_mov_b32_e32 v6, 0x3b800000
	v_lshlrev_b32_e32 v3, 20, v3
	v_and_b32_e32 v4, 0x80000000, v4
	v_lshl_add_u32 v2, v2, 23, v6
	v_or3_b32 v2, v4, v2, v3
.LBB18_1764:
	s_or_b64 exec, exec, s[6:7]
	s_movk_i32 s4, 0x7f
	v_cmp_gt_i16_sdwa s[6:7], v5, s4 src0_sel:BYTE_0 src1_sel:DWORD
	s_mov_b64 s[4:5], 0
                                        ; implicit-def: $sgpr10
	s_and_saveexec_b64 s[8:9], s[6:7]
	s_xor_b64 s[6:7], exec, s[8:9]
	s_cbranch_execnz .LBB18_3813
; %bb.1765:
	s_or_saveexec_b64 s[6:7], s[6:7]
	v_mov_b32_e32 v3, s10
	s_xor_b64 exec, exec, s[6:7]
	s_cbranch_execnz .LBB18_3816
.LBB18_1766:
	s_or_b64 exec, exec, s[6:7]
	s_and_saveexec_b64 s[6:7], s[4:5]
	s_cbranch_execz .LBB18_1768
.LBB18_1767:
	v_mov_b32_e32 v3, 8
	v_and_b32_e32 v4, 7, v5
	v_lshrrev_b32_sdwa v3, v3, v5 dst_sel:BYTE_1 dst_unused:UNUSED_PAD src0_sel:DWORD src1_sel:DWORD
	v_ffbh_u32_e32 v6, v4
	v_or_b32_sdwa v3, v5, v3 dst_sel:DWORD dst_unused:UNUSED_PAD src0_sel:BYTE_0 src1_sel:DWORD
	v_min_u32_e32 v6, 32, v6
	v_lshrrev_b16_e32 v3, 3, v3
	v_subrev_u32_e32 v7, 28, v6
	v_and_b32_e32 v3, 15, v3
	v_lshlrev_b32_e32 v7, v7, v5
	v_sub_u32_e32 v6, 29, v6
	v_and_b32_e32 v7, 7, v7
	v_cmp_eq_u16_e32 vcc, 0, v3
	v_cndmask_b32_e32 v4, v4, v7, vcc
	v_cndmask_b32_e32 v3, v3, v6, vcc
	v_lshlrev_b32_e32 v6, 24, v5
	v_mov_b32_e32 v7, 0x3b800000
	v_lshlrev_b32_e32 v4, 20, v4
	v_and_b32_e32 v6, 0x80000000, v6
	v_lshl_add_u32 v3, v3, 23, v7
	v_or3_b32 v3, v6, v3, v4
.LBB18_1768:
	s_or_b64 exec, exec, s[6:7]
	s_nop 0
	v_mfma_f32_16x16x4f32 a[0:3], v2, v3, a[0:3]
	v_lshrrev_b32_e32 v3, 8, v9
	s_movk_i32 s4, 0x7f
	v_cmp_gt_i16_sdwa s[6:7], v3, s4 src0_sel:BYTE_0 src1_sel:DWORD
	s_mov_b64 s[4:5], 0
                                        ; implicit-def: $sgpr10
	s_and_saveexec_b64 s[8:9], s[6:7]
	s_xor_b64 s[6:7], exec, s[8:9]
	s_cbranch_execnz .LBB18_3817
; %bb.1769:
	s_or_saveexec_b64 s[6:7], s[6:7]
	v_mov_b32_e32 v2, s10
	s_xor_b64 exec, exec, s[6:7]
	s_cbranch_execnz .LBB18_3820
.LBB18_1770:
	s_or_b64 exec, exec, s[6:7]
	s_and_saveexec_b64 s[6:7], s[4:5]
	s_cbranch_execz .LBB18_1772
.LBB18_1771:
	v_bfe_u32 v2, v9, 8, 3
	v_ffbh_u32_e32 v6, v2
	v_min_u32_e32 v6, 32, v6
	v_lshrrev_b16_e32 v4, 3, v3
	v_subrev_u32_e32 v7, 28, v6
	v_and_b32_e32 v4, 15, v4
	v_lshlrev_b32_e32 v3, v7, v3
	v_sub_u32_e32 v6, 29, v6
	v_and_b32_e32 v3, 7, v3
	v_cmp_eq_u16_e32 vcc, 0, v4
	v_cndmask_b32_e32 v2, v2, v3, vcc
	v_cndmask_b32_e32 v3, v4, v6, vcc
	v_lshlrev_b32_e32 v4, 16, v9
	v_mov_b32_e32 v6, 0x3b800000
	v_lshlrev_b32_e32 v2, 20, v2
	v_and_b32_e32 v4, 0x80000000, v4
	v_lshl_add_u32 v3, v3, 23, v6
	v_or3_b32 v2, v4, v3, v2
.LBB18_1772:
	s_or_b64 exec, exec, s[6:7]
	v_lshrrev_b32_e32 v3, 8, v5
	s_movk_i32 s4, 0x7f
	v_cmp_gt_i16_sdwa s[6:7], v3, s4 src0_sel:BYTE_0 src1_sel:DWORD
	s_mov_b64 s[4:5], 0
                                        ; implicit-def: $sgpr10
	s_and_saveexec_b64 s[8:9], s[6:7]
	s_xor_b64 s[6:7], exec, s[8:9]
	s_cbranch_execnz .LBB18_3821
; %bb.1773:
	s_or_saveexec_b64 s[6:7], s[6:7]
	v_mov_b32_e32 v4, s10
	s_xor_b64 exec, exec, s[6:7]
	s_cbranch_execnz .LBB18_3824
.LBB18_1774:
	s_or_b64 exec, exec, s[6:7]
	s_and_saveexec_b64 s[6:7], s[4:5]
	s_cbranch_execz .LBB18_1776
.LBB18_1775:
	v_bfe_u32 v4, v5, 8, 3
	v_ffbh_u32_e32 v7, v4
	v_min_u32_e32 v7, 32, v7
	v_lshrrev_b16_e32 v6, 3, v3
	v_subrev_u32_e32 v8, 28, v7
	v_and_b32_e32 v6, 15, v6
	v_lshlrev_b32_e32 v3, v8, v3
	v_sub_u32_e32 v7, 29, v7
	v_and_b32_e32 v3, 7, v3
	v_cmp_eq_u16_e32 vcc, 0, v6
	v_cndmask_b32_e32 v3, v4, v3, vcc
	v_cndmask_b32_e32 v4, v6, v7, vcc
	v_lshlrev_b32_e32 v6, 16, v5
	v_mov_b32_e32 v7, 0x3b800000
	v_lshlrev_b32_e32 v3, 20, v3
	v_and_b32_e32 v6, 0x80000000, v6
	v_lshl_add_u32 v4, v4, 23, v7
	v_or3_b32 v4, v6, v4, v3
.LBB18_1776:
	s_or_b64 exec, exec, s[6:7]
	s_nop 0
	v_mfma_f32_16x16x4f32 a[0:3], v2, v4, a[0:3]
	s_movk_i32 s4, 0xff
	v_and_b32_sdwa v3, v9, s4 dst_sel:DWORD dst_unused:UNUSED_PAD src0_sel:WORD_1 src1_sel:DWORD
	s_movk_i32 s4, 0x7f
	v_cmp_lt_i16_e32 vcc, s4, v3
	s_mov_b64 s[4:5], 0
                                        ; implicit-def: $sgpr10
	s_and_saveexec_b64 s[6:7], vcc
	s_xor_b64 s[6:7], exec, s[6:7]
	s_cbranch_execnz .LBB18_3825
; %bb.1777:
	s_or_saveexec_b64 s[6:7], s[6:7]
	v_mov_b32_e32 v2, s10
	s_xor_b64 exec, exec, s[6:7]
	s_cbranch_execnz .LBB18_3828
.LBB18_1778:
	s_or_b64 exec, exec, s[6:7]
	s_and_saveexec_b64 s[6:7], s[4:5]
	s_cbranch_execz .LBB18_1780
.LBB18_1779:
	v_bfe_u32 v2, v9, 16, 3
	v_ffbh_u32_e32 v6, v2
	v_min_u32_e32 v6, 32, v6
	v_lshrrev_b32_e32 v3, 19, v9
	v_subrev_u32_e32 v7, 28, v6
	v_and_b32_e32 v3, 15, v3
	v_lshlrev_b32_sdwa v7, v7, v9 dst_sel:DWORD dst_unused:UNUSED_PAD src0_sel:DWORD src1_sel:WORD_1
	v_bfe_u32 v4, v9, 19, 4
	v_sub_u32_e32 v6, 29, v6
	v_and_b32_e32 v7, 7, v7
	v_cmp_eq_u16_e32 vcc, 0, v3
	v_cndmask_b32_e32 v2, v2, v7, vcc
	v_cndmask_b32_e32 v3, v4, v6, vcc
	v_lshlrev_b32_e32 v4, 8, v9
	v_mov_b32_e32 v6, 0x3b800000
	v_lshlrev_b32_e32 v2, 20, v2
	v_and_b32_e32 v4, 0x80000000, v4
	v_lshl_add_u32 v3, v3, 23, v6
	v_or3_b32 v2, v4, v3, v2
.LBB18_1780:
	s_or_b64 exec, exec, s[6:7]
	s_movk_i32 s4, 0xff
	v_and_b32_sdwa v3, v5, s4 dst_sel:DWORD dst_unused:UNUSED_PAD src0_sel:WORD_1 src1_sel:DWORD
	s_movk_i32 s4, 0x7f
	v_cmp_lt_i16_e32 vcc, s4, v3
	s_mov_b64 s[4:5], 0
                                        ; implicit-def: $sgpr10
	s_and_saveexec_b64 s[6:7], vcc
	s_xor_b64 s[6:7], exec, s[6:7]
	s_cbranch_execnz .LBB18_3829
; %bb.1781:
	s_or_saveexec_b64 s[6:7], s[6:7]
	v_mov_b32_e32 v4, s10
	s_xor_b64 exec, exec, s[6:7]
	s_cbranch_execnz .LBB18_3832
.LBB18_1782:
	s_or_b64 exec, exec, s[6:7]
	s_and_saveexec_b64 s[6:7], s[4:5]
	s_cbranch_execz .LBB18_1784
.LBB18_1783:
	v_bfe_u32 v3, v5, 16, 3
	v_ffbh_u32_e32 v7, v3
	v_min_u32_e32 v7, 32, v7
	v_lshrrev_b32_e32 v4, 19, v5
	v_subrev_u32_e32 v8, 28, v7
	v_and_b32_e32 v4, 15, v4
	v_lshlrev_b32_sdwa v8, v8, v5 dst_sel:DWORD dst_unused:UNUSED_PAD src0_sel:DWORD src1_sel:WORD_1
	v_bfe_u32 v6, v5, 19, 4
	v_sub_u32_e32 v7, 29, v7
	v_and_b32_e32 v8, 7, v8
	v_cmp_eq_u16_e32 vcc, 0, v4
	v_cndmask_b32_e32 v3, v3, v8, vcc
	v_cndmask_b32_e32 v4, v6, v7, vcc
	v_lshlrev_b32_e32 v6, 8, v5
	v_mov_b32_e32 v7, 0x3b800000
	v_lshlrev_b32_e32 v3, 20, v3
	v_and_b32_e32 v6, 0x80000000, v6
	v_lshl_add_u32 v4, v4, 23, v7
	v_or3_b32 v4, v6, v4, v3
.LBB18_1784:
	s_or_b64 exec, exec, s[6:7]
	s_nop 0
	v_mfma_f32_16x16x4f32 a[0:3], v2, v4, a[0:3]
	s_movk_i32 s4, 0x7f
	v_cmp_gt_i16_sdwa s[6:7], v9, s4 src0_sel:BYTE_3 src1_sel:DWORD
	s_mov_b64 s[4:5], 0
                                        ; implicit-def: $sgpr10
	s_and_saveexec_b64 s[8:9], s[6:7]
	s_xor_b64 s[6:7], exec, s[8:9]
	s_cbranch_execnz .LBB18_3833
; %bb.1785:
	s_or_saveexec_b64 s[6:7], s[6:7]
	v_mov_b32_e32 v2, s10
	s_xor_b64 exec, exec, s[6:7]
	s_cbranch_execnz .LBB18_3836
.LBB18_1786:
	s_or_b64 exec, exec, s[6:7]
	s_and_saveexec_b64 s[6:7], s[4:5]
	s_cbranch_execz .LBB18_1788
.LBB18_1787:
	v_bfe_u32 v2, v9, 24, 3
	v_ffbh_u32_e32 v7, v2
	v_min_u32_e32 v7, 32, v7
	v_lshrrev_b32_e32 v4, 27, v9
	v_subrev_u32_e32 v8, 28, v7
	v_and_b32_e32 v4, 15, v4
	v_lshlrev_b32_sdwa v8, v8, v9 dst_sel:DWORD dst_unused:UNUSED_PAD src0_sel:DWORD src1_sel:BYTE_3
	v_bfe_u32 v6, v9, 27, 4
	v_sub_u32_e32 v7, 29, v7
	v_and_b32_e32 v8, 7, v8
	v_cmp_eq_u16_e32 vcc, 0, v4
	v_cndmask_b32_e32 v2, v2, v8, vcc
	v_cndmask_b32_e32 v4, v6, v7, vcc
	v_mov_b32_e32 v6, 0x3b800000
	v_and_b32_e32 v3, 0x80000000, v9
	v_lshlrev_b32_e32 v2, 20, v2
	v_lshl_add_u32 v4, v4, 23, v6
	v_or3_b32 v2, v3, v4, v2
.LBB18_1788:
	s_or_b64 exec, exec, s[6:7]
	s_movk_i32 s4, 0x7f
	v_cmp_gt_i16_sdwa s[6:7], v5, s4 src0_sel:BYTE_3 src1_sel:DWORD
	s_mov_b64 s[4:5], 0
                                        ; implicit-def: $sgpr10
	s_and_saveexec_b64 s[8:9], s[6:7]
	s_xor_b64 s[6:7], exec, s[8:9]
	s_cbranch_execnz .LBB18_3837
; %bb.1789:
	s_or_saveexec_b64 s[6:7], s[6:7]
	v_mov_b32_e32 v3, s10
	s_xor_b64 exec, exec, s[6:7]
	s_cbranch_execnz .LBB18_3840
.LBB18_1790:
	s_or_b64 exec, exec, s[6:7]
	s_and_saveexec_b64 s[6:7], s[4:5]
	s_cbranch_execz .LBB18_1792
.LBB18_1791:
	v_bfe_u32 v3, v5, 24, 3
	v_ffbh_u32_e32 v8, v3
	v_min_u32_e32 v8, 32, v8
	v_lshrrev_b32_e32 v6, 27, v5
	v_subrev_u32_e32 v9, 28, v8
	v_and_b32_e32 v4, 0x80000000, v5
	v_and_b32_e32 v6, 15, v6
	v_bfe_u32 v7, v5, 27, 4
	v_lshlrev_b32_sdwa v5, v9, v5 dst_sel:DWORD dst_unused:UNUSED_PAD src0_sel:DWORD src1_sel:BYTE_3
	v_sub_u32_e32 v8, 29, v8
	v_and_b32_e32 v5, 7, v5
	v_cmp_eq_u16_e32 vcc, 0, v6
	v_cndmask_b32_e32 v3, v3, v5, vcc
	v_cndmask_b32_e32 v5, v7, v8, vcc
	v_mov_b32_e32 v6, 0x3b800000
	v_lshlrev_b32_e32 v3, 20, v3
	v_lshl_add_u32 v5, v5, 23, v6
	v_or3_b32 v3, v4, v5, v3
.LBB18_1792:
	s_or_b64 exec, exec, s[6:7]
	s_nop 0
	v_mfma_f32_16x16x4f32 a[0:3], v2, v3, a[0:3]
	s_movk_i32 s4, 0x7f
                                        ; implicit-def: $sgpr10
	s_nop 7
	s_nop 1
	flat_store_dwordx4 v[18:19], a[0:3] offset:96
	flat_load_dwordx4 v[18:21], v[0:1] offset:8
	s_nop 0
	flat_load_dwordx2 v[16:17], v[0:1] offset:24
	s_waitcnt vmcnt(0) lgkmcnt(0)
	flat_load_dwordx4 v[12:15], v[18:19]
	flat_load_dwordx4 v[4:7], v[18:19] offset:16
	flat_load_dwordx4 v[8:11], v[20:21] offset:224
	;; [unrolled: 1-line block ×3, first 2 shown]
	s_waitcnt vmcnt(0) lgkmcnt(0)
	v_cmp_gt_i16_sdwa s[6:7], v12, s4 src0_sel:BYTE_0 src1_sel:DWORD
	s_mov_b64 s[4:5], 0
	s_and_saveexec_b64 s[8:9], s[6:7]
	s_xor_b64 s[6:7], exec, s[8:9]
	s_cbranch_execnz .LBB18_3841
; %bb.1793:
	s_or_saveexec_b64 s[6:7], s[6:7]
	v_mov_b32_e32 v18, s10
	s_xor_b64 exec, exec, s[6:7]
	s_cbranch_execnz .LBB18_3844
.LBB18_1794:
	s_or_b64 exec, exec, s[6:7]
	s_and_saveexec_b64 s[6:7], s[4:5]
	s_cbranch_execz .LBB18_1796
.LBB18_1795:
	v_and_b32_e32 v18, 7, v12
	v_ffbh_u32_e32 v20, v18
	v_min_u32_e32 v20, 32, v20
	v_lshrrev_b16_e32 v19, 3, v12
	v_subrev_u32_e32 v21, 28, v20
	v_and_b32_e32 v19, 15, v19
	v_lshlrev_b32_e32 v21, v21, v12
	v_sub_u32_e32 v20, 29, v20
	v_and_b32_e32 v21, 7, v21
	v_cmp_eq_u16_e32 vcc, 0, v19
	v_cndmask_b32_e32 v18, v18, v21, vcc
	v_cndmask_b32_e32 v19, v19, v20, vcc
	v_lshlrev_b32_e32 v20, 24, v12
	v_mov_b32_e32 v21, 0x3b800000
	v_lshlrev_b32_e32 v18, 20, v18
	v_and_b32_e32 v20, 0x80000000, v20
	v_lshl_add_u32 v19, v19, 23, v21
	v_or3_b32 v18, v20, v19, v18
.LBB18_1796:
	s_or_b64 exec, exec, s[6:7]
	s_movk_i32 s4, 0x7f
	v_cmp_gt_i16_sdwa s[6:7], v8, s4 src0_sel:BYTE_0 src1_sel:DWORD
	s_mov_b64 s[4:5], 0
                                        ; implicit-def: $sgpr10
	s_and_saveexec_b64 s[8:9], s[6:7]
	s_xor_b64 s[6:7], exec, s[8:9]
	s_cbranch_execnz .LBB18_3845
; %bb.1797:
	s_or_saveexec_b64 s[6:7], s[6:7]
	v_mov_b32_e32 v19, s10
	s_xor_b64 exec, exec, s[6:7]
	s_cbranch_execnz .LBB18_3848
.LBB18_1798:
	s_or_b64 exec, exec, s[6:7]
	s_and_saveexec_b64 s[6:7], s[4:5]
	s_cbranch_execz .LBB18_1800
.LBB18_1799:
	v_and_b32_e32 v19, 7, v8
	v_ffbh_u32_e32 v21, v19
	v_min_u32_e32 v21, 32, v21
	v_lshrrev_b16_e32 v20, 3, v8
	v_subrev_u32_e32 v22, 28, v21
	v_and_b32_e32 v20, 15, v20
	v_lshlrev_b32_e32 v22, v22, v8
	v_sub_u32_e32 v21, 29, v21
	v_and_b32_e32 v22, 7, v22
	v_cmp_eq_u16_e32 vcc, 0, v20
	v_cndmask_b32_e32 v19, v19, v22, vcc
	v_cndmask_b32_e32 v20, v20, v21, vcc
	v_lshlrev_b32_e32 v21, 24, v8
	v_mov_b32_e32 v22, 0x3b800000
	v_lshlrev_b32_e32 v19, 20, v19
	v_and_b32_e32 v21, 0x80000000, v21
	v_lshl_add_u32 v20, v20, 23, v22
	v_or3_b32 v19, v21, v20, v19
.LBB18_1800:
	s_or_b64 exec, exec, s[6:7]
	flat_load_dwordx4 a[0:3], v[16:17] offset:112
	s_movk_i32 s4, 0x7f
                                        ; implicit-def: $sgpr10
	s_waitcnt vmcnt(0) lgkmcnt(0)
	v_mfma_f32_16x16x4f32 a[0:3], v18, v19, a[0:3]
	v_lshrrev_b32_e32 v19, 8, v12
	v_cmp_gt_i16_sdwa s[6:7], v19, s4 src0_sel:BYTE_0 src1_sel:DWORD
	s_mov_b64 s[4:5], 0
	s_and_saveexec_b64 s[8:9], s[6:7]
	s_xor_b64 s[6:7], exec, s[8:9]
	s_cbranch_execnz .LBB18_3849
; %bb.1801:
	s_or_saveexec_b64 s[6:7], s[6:7]
	v_mov_b32_e32 v18, s10
	s_xor_b64 exec, exec, s[6:7]
	s_cbranch_execnz .LBB18_3852
.LBB18_1802:
	s_or_b64 exec, exec, s[6:7]
	s_and_saveexec_b64 s[6:7], s[4:5]
	s_cbranch_execz .LBB18_1804
.LBB18_1803:
	v_bfe_u32 v18, v12, 8, 3
	v_ffbh_u32_e32 v21, v18
	v_min_u32_e32 v21, 32, v21
	v_lshrrev_b16_e32 v20, 3, v19
	v_subrev_u32_e32 v22, 28, v21
	v_and_b32_e32 v20, 15, v20
	v_lshlrev_b32_e32 v19, v22, v19
	v_sub_u32_e32 v21, 29, v21
	v_and_b32_e32 v19, 7, v19
	v_cmp_eq_u16_e32 vcc, 0, v20
	v_cndmask_b32_e32 v18, v18, v19, vcc
	v_cndmask_b32_e32 v19, v20, v21, vcc
	v_lshlrev_b32_e32 v20, 16, v12
	v_mov_b32_e32 v21, 0x3b800000
	v_lshlrev_b32_e32 v18, 20, v18
	v_and_b32_e32 v20, 0x80000000, v20
	v_lshl_add_u32 v19, v19, 23, v21
	v_or3_b32 v18, v20, v19, v18
.LBB18_1804:
	s_or_b64 exec, exec, s[6:7]
	v_lshrrev_b32_e32 v19, 8, v8
	s_movk_i32 s4, 0x7f
	v_cmp_gt_i16_sdwa s[6:7], v19, s4 src0_sel:BYTE_0 src1_sel:DWORD
	s_mov_b64 s[4:5], 0
                                        ; implicit-def: $sgpr10
	s_and_saveexec_b64 s[8:9], s[6:7]
	s_xor_b64 s[6:7], exec, s[8:9]
	s_cbranch_execnz .LBB18_3853
; %bb.1805:
	s_or_saveexec_b64 s[6:7], s[6:7]
	v_mov_b32_e32 v20, s10
	s_xor_b64 exec, exec, s[6:7]
	s_cbranch_execnz .LBB18_3856
.LBB18_1806:
	s_or_b64 exec, exec, s[6:7]
	s_and_saveexec_b64 s[6:7], s[4:5]
	s_cbranch_execz .LBB18_1808
.LBB18_1807:
	v_bfe_u32 v20, v8, 8, 3
	v_ffbh_u32_e32 v22, v20
	v_min_u32_e32 v22, 32, v22
	v_lshrrev_b16_e32 v21, 3, v19
	v_subrev_u32_e32 v23, 28, v22
	v_and_b32_e32 v21, 15, v21
	v_lshlrev_b32_e32 v19, v23, v19
	v_sub_u32_e32 v22, 29, v22
	v_and_b32_e32 v19, 7, v19
	v_cmp_eq_u16_e32 vcc, 0, v21
	v_cndmask_b32_e32 v19, v20, v19, vcc
	v_cndmask_b32_e32 v20, v21, v22, vcc
	v_lshlrev_b32_e32 v21, 16, v8
	v_mov_b32_e32 v22, 0x3b800000
	v_lshlrev_b32_e32 v19, 20, v19
	v_and_b32_e32 v21, 0x80000000, v21
	v_lshl_add_u32 v20, v20, 23, v22
	v_or3_b32 v20, v21, v20, v19
.LBB18_1808:
	s_or_b64 exec, exec, s[6:7]
	s_nop 0
	v_mfma_f32_16x16x4f32 a[0:3], v18, v20, a[0:3]
	s_movk_i32 s4, 0xff
	v_and_b32_sdwa v19, v12, s4 dst_sel:DWORD dst_unused:UNUSED_PAD src0_sel:WORD_1 src1_sel:DWORD
	s_movk_i32 s4, 0x7f
	v_cmp_lt_i16_e32 vcc, s4, v19
	s_mov_b64 s[4:5], 0
                                        ; implicit-def: $sgpr10
	s_and_saveexec_b64 s[6:7], vcc
	s_xor_b64 s[6:7], exec, s[6:7]
	s_cbranch_execnz .LBB18_3857
; %bb.1809:
	s_or_saveexec_b64 s[6:7], s[6:7]
	v_mov_b32_e32 v18, s10
	s_xor_b64 exec, exec, s[6:7]
	s_cbranch_execnz .LBB18_3860
.LBB18_1810:
	s_or_b64 exec, exec, s[6:7]
	s_and_saveexec_b64 s[6:7], s[4:5]
	s_cbranch_execz .LBB18_1812
.LBB18_1811:
	v_bfe_u32 v18, v12, 16, 3
	v_ffbh_u32_e32 v21, v18
	v_min_u32_e32 v21, 32, v21
	v_lshrrev_b32_e32 v19, 19, v12
	v_subrev_u32_e32 v22, 28, v21
	v_and_b32_e32 v19, 15, v19
	v_lshlrev_b32_sdwa v22, v22, v12 dst_sel:DWORD dst_unused:UNUSED_PAD src0_sel:DWORD src1_sel:WORD_1
	v_bfe_u32 v20, v12, 19, 4
	v_sub_u32_e32 v21, 29, v21
	v_and_b32_e32 v22, 7, v22
	v_cmp_eq_u16_e32 vcc, 0, v19
	v_cndmask_b32_e32 v18, v18, v22, vcc
	v_cndmask_b32_e32 v19, v20, v21, vcc
	v_lshlrev_b32_e32 v20, 8, v12
	v_mov_b32_e32 v21, 0x3b800000
	v_lshlrev_b32_e32 v18, 20, v18
	v_and_b32_e32 v20, 0x80000000, v20
	v_lshl_add_u32 v19, v19, 23, v21
	v_or3_b32 v18, v20, v19, v18
.LBB18_1812:
	s_or_b64 exec, exec, s[6:7]
	s_movk_i32 s4, 0xff
	v_and_b32_sdwa v19, v8, s4 dst_sel:DWORD dst_unused:UNUSED_PAD src0_sel:WORD_1 src1_sel:DWORD
	s_movk_i32 s4, 0x7f
	v_cmp_lt_i16_e32 vcc, s4, v19
	s_mov_b64 s[4:5], 0
                                        ; implicit-def: $sgpr10
	s_and_saveexec_b64 s[6:7], vcc
	s_xor_b64 s[6:7], exec, s[6:7]
	s_cbranch_execnz .LBB18_3861
; %bb.1813:
	s_or_saveexec_b64 s[6:7], s[6:7]
	v_mov_b32_e32 v20, s10
	s_xor_b64 exec, exec, s[6:7]
	s_cbranch_execnz .LBB18_3864
.LBB18_1814:
	s_or_b64 exec, exec, s[6:7]
	s_and_saveexec_b64 s[6:7], s[4:5]
	s_cbranch_execz .LBB18_1816
.LBB18_1815:
	v_bfe_u32 v19, v8, 16, 3
	v_ffbh_u32_e32 v22, v19
	v_min_u32_e32 v22, 32, v22
	v_lshrrev_b32_e32 v20, 19, v8
	v_subrev_u32_e32 v23, 28, v22
	v_and_b32_e32 v20, 15, v20
	v_lshlrev_b32_sdwa v23, v23, v8 dst_sel:DWORD dst_unused:UNUSED_PAD src0_sel:DWORD src1_sel:WORD_1
	v_bfe_u32 v21, v8, 19, 4
	v_sub_u32_e32 v22, 29, v22
	v_and_b32_e32 v23, 7, v23
	v_cmp_eq_u16_e32 vcc, 0, v20
	v_cndmask_b32_e32 v19, v19, v23, vcc
	v_cndmask_b32_e32 v20, v21, v22, vcc
	v_lshlrev_b32_e32 v21, 8, v8
	v_mov_b32_e32 v22, 0x3b800000
	v_lshlrev_b32_e32 v19, 20, v19
	v_and_b32_e32 v21, 0x80000000, v21
	v_lshl_add_u32 v20, v20, 23, v22
	v_or3_b32 v20, v21, v20, v19
.LBB18_1816:
	s_or_b64 exec, exec, s[6:7]
	s_nop 0
	v_mfma_f32_16x16x4f32 a[0:3], v18, v20, a[0:3]
	s_movk_i32 s4, 0x7f
	v_cmp_gt_i16_sdwa s[6:7], v12, s4 src0_sel:BYTE_3 src1_sel:DWORD
	s_mov_b64 s[4:5], 0
                                        ; implicit-def: $sgpr10
	s_and_saveexec_b64 s[8:9], s[6:7]
	s_xor_b64 s[6:7], exec, s[8:9]
	s_cbranch_execnz .LBB18_3865
; %bb.1817:
	s_or_saveexec_b64 s[6:7], s[6:7]
	v_mov_b32_e32 v18, s10
	s_xor_b64 exec, exec, s[6:7]
	s_cbranch_execnz .LBB18_3868
.LBB18_1818:
	s_or_b64 exec, exec, s[6:7]
	s_and_saveexec_b64 s[6:7], s[4:5]
	s_cbranch_execz .LBB18_1820
.LBB18_1819:
	v_bfe_u32 v18, v12, 24, 3
	v_ffbh_u32_e32 v22, v18
	v_min_u32_e32 v22, 32, v22
	v_lshrrev_b32_e32 v20, 27, v12
	v_subrev_u32_e32 v23, 28, v22
	v_and_b32_e32 v19, 0x80000000, v12
	v_and_b32_e32 v20, 15, v20
	v_bfe_u32 v21, v12, 27, 4
	v_lshlrev_b32_sdwa v12, v23, v12 dst_sel:DWORD dst_unused:UNUSED_PAD src0_sel:DWORD src1_sel:BYTE_3
	v_sub_u32_e32 v22, 29, v22
	v_and_b32_e32 v12, 7, v12
	v_cmp_eq_u16_e32 vcc, 0, v20
	v_cndmask_b32_e32 v12, v18, v12, vcc
	v_cndmask_b32_e32 v18, v21, v22, vcc
	v_mov_b32_e32 v20, 0x3b800000
	v_lshlrev_b32_e32 v12, 20, v12
	v_lshl_add_u32 v18, v18, 23, v20
	v_or3_b32 v18, v19, v18, v12
.LBB18_1820:
	s_or_b64 exec, exec, s[6:7]
	s_movk_i32 s4, 0x7f
	v_cmp_gt_i16_sdwa s[6:7], v8, s4 src0_sel:BYTE_3 src1_sel:DWORD
	s_mov_b64 s[4:5], 0
                                        ; implicit-def: $sgpr10
	s_and_saveexec_b64 s[8:9], s[6:7]
	s_xor_b64 s[6:7], exec, s[8:9]
	s_cbranch_execnz .LBB18_3869
; %bb.1821:
	s_or_saveexec_b64 s[6:7], s[6:7]
	v_mov_b32_e32 v12, s10
	s_xor_b64 exec, exec, s[6:7]
	s_cbranch_execnz .LBB18_3872
.LBB18_1822:
	s_or_b64 exec, exec, s[6:7]
	s_and_saveexec_b64 s[6:7], s[4:5]
	s_cbranch_execz .LBB18_1824
.LBB18_1823:
	v_bfe_u32 v12, v8, 24, 3
	v_ffbh_u32_e32 v22, v12
	v_min_u32_e32 v22, 32, v22
	v_lshrrev_b32_e32 v20, 27, v8
	v_subrev_u32_e32 v23, 28, v22
	v_and_b32_e32 v19, 0x80000000, v8
	v_and_b32_e32 v20, 15, v20
	v_bfe_u32 v21, v8, 27, 4
	v_lshlrev_b32_sdwa v8, v23, v8 dst_sel:DWORD dst_unused:UNUSED_PAD src0_sel:DWORD src1_sel:BYTE_3
	v_sub_u32_e32 v22, 29, v22
	v_and_b32_e32 v8, 7, v8
	v_cmp_eq_u16_e32 vcc, 0, v20
	v_cndmask_b32_e32 v8, v12, v8, vcc
	v_cndmask_b32_e32 v12, v21, v22, vcc
	v_mov_b32_e32 v20, 0x3b800000
	v_lshlrev_b32_e32 v8, 20, v8
	v_lshl_add_u32 v12, v12, 23, v20
	v_or3_b32 v12, v19, v12, v8
.LBB18_1824:
	s_or_b64 exec, exec, s[6:7]
	s_nop 0
	v_mfma_f32_16x16x4f32 a[0:3], v18, v12, a[0:3]
	s_movk_i32 s4, 0x7f
	v_cmp_gt_i16_sdwa s[6:7], v13, s4 src0_sel:BYTE_0 src1_sel:DWORD
	s_mov_b64 s[4:5], 0
                                        ; implicit-def: $sgpr10
	s_and_saveexec_b64 s[8:9], s[6:7]
	s_xor_b64 s[6:7], exec, s[8:9]
	s_cbranch_execnz .LBB18_3873
; %bb.1825:
	s_or_saveexec_b64 s[6:7], s[6:7]
	v_mov_b32_e32 v8, s10
	s_xor_b64 exec, exec, s[6:7]
	s_cbranch_execnz .LBB18_3876
.LBB18_1826:
	s_or_b64 exec, exec, s[6:7]
	s_and_saveexec_b64 s[6:7], s[4:5]
	s_cbranch_execz .LBB18_1828
.LBB18_1827:
	v_and_b32_e32 v8, 7, v13
	v_ffbh_u32_e32 v18, v8
	v_min_u32_e32 v18, 32, v18
	v_lshrrev_b16_e32 v12, 3, v13
	v_subrev_u32_e32 v19, 28, v18
	v_and_b32_e32 v12, 15, v12
	v_lshlrev_b32_e32 v19, v19, v13
	v_sub_u32_e32 v18, 29, v18
	v_and_b32_e32 v19, 7, v19
	v_cmp_eq_u16_e32 vcc, 0, v12
	v_cndmask_b32_e32 v8, v8, v19, vcc
	v_cndmask_b32_e32 v12, v12, v18, vcc
	v_lshlrev_b32_e32 v18, 24, v13
	v_mov_b32_e32 v19, 0x3b800000
	v_lshlrev_b32_e32 v8, 20, v8
	v_and_b32_e32 v18, 0x80000000, v18
	v_lshl_add_u32 v12, v12, 23, v19
	v_or3_b32 v8, v18, v12, v8
.LBB18_1828:
	s_or_b64 exec, exec, s[6:7]
	s_movk_i32 s4, 0x7f
	v_cmp_gt_i16_sdwa s[6:7], v9, s4 src0_sel:BYTE_0 src1_sel:DWORD
	s_mov_b64 s[4:5], 0
                                        ; implicit-def: $sgpr10
	s_and_saveexec_b64 s[8:9], s[6:7]
	s_xor_b64 s[6:7], exec, s[8:9]
	s_cbranch_execnz .LBB18_3877
; %bb.1829:
	s_or_saveexec_b64 s[6:7], s[6:7]
	v_mov_b32_e32 v12, s10
	s_xor_b64 exec, exec, s[6:7]
	s_cbranch_execnz .LBB18_3880
.LBB18_1830:
	s_or_b64 exec, exec, s[6:7]
	s_and_saveexec_b64 s[6:7], s[4:5]
	s_cbranch_execz .LBB18_1832
.LBB18_1831:
	v_and_b32_e32 v12, 7, v9
	v_ffbh_u32_e32 v19, v12
	v_min_u32_e32 v19, 32, v19
	v_lshrrev_b16_e32 v18, 3, v9
	v_subrev_u32_e32 v20, 28, v19
	v_and_b32_e32 v18, 15, v18
	v_lshlrev_b32_e32 v20, v20, v9
	v_sub_u32_e32 v19, 29, v19
	v_and_b32_e32 v20, 7, v20
	v_cmp_eq_u16_e32 vcc, 0, v18
	v_cndmask_b32_e32 v12, v12, v20, vcc
	v_cndmask_b32_e32 v18, v18, v19, vcc
	v_lshlrev_b32_e32 v19, 24, v9
	v_mov_b32_e32 v20, 0x3b800000
	v_lshlrev_b32_e32 v12, 20, v12
	v_and_b32_e32 v19, 0x80000000, v19
	v_lshl_add_u32 v18, v18, 23, v20
	v_or3_b32 v12, v19, v18, v12
.LBB18_1832:
	s_or_b64 exec, exec, s[6:7]
	s_nop 0
	v_mfma_f32_16x16x4f32 a[0:3], v8, v12, a[0:3]
	v_lshrrev_b32_e32 v12, 8, v13
	s_movk_i32 s4, 0x7f
	v_cmp_gt_i16_sdwa s[6:7], v12, s4 src0_sel:BYTE_0 src1_sel:DWORD
	s_mov_b64 s[4:5], 0
                                        ; implicit-def: $sgpr10
	s_and_saveexec_b64 s[8:9], s[6:7]
	s_xor_b64 s[6:7], exec, s[8:9]
	s_cbranch_execnz .LBB18_3881
; %bb.1833:
	s_or_saveexec_b64 s[6:7], s[6:7]
	v_mov_b32_e32 v8, s10
	s_xor_b64 exec, exec, s[6:7]
	s_cbranch_execnz .LBB18_3884
.LBB18_1834:
	s_or_b64 exec, exec, s[6:7]
	s_and_saveexec_b64 s[6:7], s[4:5]
	s_cbranch_execz .LBB18_1836
.LBB18_1835:
	v_bfe_u32 v8, v13, 8, 3
	v_ffbh_u32_e32 v19, v8
	v_min_u32_e32 v19, 32, v19
	v_lshrrev_b16_e32 v18, 3, v12
	v_subrev_u32_e32 v20, 28, v19
	v_and_b32_e32 v18, 15, v18
	v_lshlrev_b32_e32 v12, v20, v12
	v_sub_u32_e32 v19, 29, v19
	v_and_b32_e32 v12, 7, v12
	v_cmp_eq_u16_e32 vcc, 0, v18
	v_cndmask_b32_e32 v8, v8, v12, vcc
	v_cndmask_b32_e32 v12, v18, v19, vcc
	v_lshlrev_b32_e32 v18, 16, v13
	v_mov_b32_e32 v19, 0x3b800000
	v_lshlrev_b32_e32 v8, 20, v8
	v_and_b32_e32 v18, 0x80000000, v18
	v_lshl_add_u32 v12, v12, 23, v19
	v_or3_b32 v8, v18, v12, v8
.LBB18_1836:
	s_or_b64 exec, exec, s[6:7]
	v_lshrrev_b32_e32 v12, 8, v9
	s_movk_i32 s4, 0x7f
	v_cmp_gt_i16_sdwa s[6:7], v12, s4 src0_sel:BYTE_0 src1_sel:DWORD
	s_mov_b64 s[4:5], 0
                                        ; implicit-def: $sgpr10
	s_and_saveexec_b64 s[8:9], s[6:7]
	s_xor_b64 s[6:7], exec, s[8:9]
	s_cbranch_execnz .LBB18_3885
; %bb.1837:
	s_or_saveexec_b64 s[6:7], s[6:7]
	v_mov_b32_e32 v18, s10
	s_xor_b64 exec, exec, s[6:7]
	s_cbranch_execnz .LBB18_3888
.LBB18_1838:
	s_or_b64 exec, exec, s[6:7]
	s_and_saveexec_b64 s[6:7], s[4:5]
	s_cbranch_execz .LBB18_1840
.LBB18_1839:
	v_bfe_u32 v18, v9, 8, 3
	v_ffbh_u32_e32 v20, v18
	v_min_u32_e32 v20, 32, v20
	v_lshrrev_b16_e32 v19, 3, v12
	v_subrev_u32_e32 v21, 28, v20
	v_and_b32_e32 v19, 15, v19
	v_lshlrev_b32_e32 v12, v21, v12
	v_sub_u32_e32 v20, 29, v20
	v_and_b32_e32 v12, 7, v12
	v_cmp_eq_u16_e32 vcc, 0, v19
	v_cndmask_b32_e32 v12, v18, v12, vcc
	v_cndmask_b32_e32 v18, v19, v20, vcc
	v_lshlrev_b32_e32 v19, 16, v9
	v_mov_b32_e32 v20, 0x3b800000
	v_lshlrev_b32_e32 v12, 20, v12
	v_and_b32_e32 v19, 0x80000000, v19
	v_lshl_add_u32 v18, v18, 23, v20
	v_or3_b32 v18, v19, v18, v12
.LBB18_1840:
	s_or_b64 exec, exec, s[6:7]
	s_nop 0
	v_mfma_f32_16x16x4f32 a[0:3], v8, v18, a[0:3]
	s_movk_i32 s4, 0xff
	v_and_b32_sdwa v12, v13, s4 dst_sel:DWORD dst_unused:UNUSED_PAD src0_sel:WORD_1 src1_sel:DWORD
	s_movk_i32 s4, 0x7f
	v_cmp_lt_i16_e32 vcc, s4, v12
	s_mov_b64 s[4:5], 0
                                        ; implicit-def: $sgpr10
	s_and_saveexec_b64 s[6:7], vcc
	s_xor_b64 s[6:7], exec, s[6:7]
	s_cbranch_execnz .LBB18_3889
; %bb.1841:
	s_or_saveexec_b64 s[6:7], s[6:7]
	v_mov_b32_e32 v8, s10
	s_xor_b64 exec, exec, s[6:7]
	s_cbranch_execnz .LBB18_3892
.LBB18_1842:
	s_or_b64 exec, exec, s[6:7]
	s_and_saveexec_b64 s[6:7], s[4:5]
	s_cbranch_execz .LBB18_1844
.LBB18_1843:
	v_bfe_u32 v8, v13, 16, 3
	v_ffbh_u32_e32 v19, v8
	v_min_u32_e32 v19, 32, v19
	v_lshrrev_b32_e32 v12, 19, v13
	v_subrev_u32_e32 v20, 28, v19
	v_and_b32_e32 v12, 15, v12
	v_lshlrev_b32_sdwa v20, v20, v13 dst_sel:DWORD dst_unused:UNUSED_PAD src0_sel:DWORD src1_sel:WORD_1
	v_bfe_u32 v18, v13, 19, 4
	v_sub_u32_e32 v19, 29, v19
	v_and_b32_e32 v20, 7, v20
	v_cmp_eq_u16_e32 vcc, 0, v12
	v_cndmask_b32_e32 v8, v8, v20, vcc
	v_cndmask_b32_e32 v12, v18, v19, vcc
	v_lshlrev_b32_e32 v18, 8, v13
	v_mov_b32_e32 v19, 0x3b800000
	v_lshlrev_b32_e32 v8, 20, v8
	v_and_b32_e32 v18, 0x80000000, v18
	v_lshl_add_u32 v12, v12, 23, v19
	v_or3_b32 v8, v18, v12, v8
.LBB18_1844:
	s_or_b64 exec, exec, s[6:7]
	s_movk_i32 s4, 0xff
	v_and_b32_sdwa v12, v9, s4 dst_sel:DWORD dst_unused:UNUSED_PAD src0_sel:WORD_1 src1_sel:DWORD
	s_movk_i32 s4, 0x7f
	v_cmp_lt_i16_e32 vcc, s4, v12
	s_mov_b64 s[4:5], 0
                                        ; implicit-def: $sgpr10
	s_and_saveexec_b64 s[6:7], vcc
	s_xor_b64 s[6:7], exec, s[6:7]
	s_cbranch_execnz .LBB18_3893
; %bb.1845:
	s_or_saveexec_b64 s[6:7], s[6:7]
	v_mov_b32_e32 v18, s10
	s_xor_b64 exec, exec, s[6:7]
	s_cbranch_execnz .LBB18_3896
.LBB18_1846:
	s_or_b64 exec, exec, s[6:7]
	s_and_saveexec_b64 s[6:7], s[4:5]
	s_cbranch_execz .LBB18_1848
.LBB18_1847:
	v_bfe_u32 v12, v9, 16, 3
	v_ffbh_u32_e32 v20, v12
	v_min_u32_e32 v20, 32, v20
	v_lshrrev_b32_e32 v18, 19, v9
	v_subrev_u32_e32 v21, 28, v20
	v_and_b32_e32 v18, 15, v18
	v_lshlrev_b32_sdwa v21, v21, v9 dst_sel:DWORD dst_unused:UNUSED_PAD src0_sel:DWORD src1_sel:WORD_1
	v_bfe_u32 v19, v9, 19, 4
	v_sub_u32_e32 v20, 29, v20
	v_and_b32_e32 v21, 7, v21
	v_cmp_eq_u16_e32 vcc, 0, v18
	v_cndmask_b32_e32 v12, v12, v21, vcc
	v_cndmask_b32_e32 v18, v19, v20, vcc
	v_lshlrev_b32_e32 v19, 8, v9
	v_mov_b32_e32 v20, 0x3b800000
	v_lshlrev_b32_e32 v12, 20, v12
	v_and_b32_e32 v19, 0x80000000, v19
	v_lshl_add_u32 v18, v18, 23, v20
	v_or3_b32 v18, v19, v18, v12
.LBB18_1848:
	s_or_b64 exec, exec, s[6:7]
	s_nop 0
	v_mfma_f32_16x16x4f32 a[0:3], v8, v18, a[0:3]
	s_movk_i32 s4, 0x7f
	v_cmp_gt_i16_sdwa s[6:7], v13, s4 src0_sel:BYTE_3 src1_sel:DWORD
	s_mov_b64 s[4:5], 0
                                        ; implicit-def: $sgpr10
	s_and_saveexec_b64 s[8:9], s[6:7]
	s_xor_b64 s[6:7], exec, s[8:9]
	s_cbranch_execnz .LBB18_3897
; %bb.1849:
	s_or_saveexec_b64 s[6:7], s[6:7]
	v_mov_b32_e32 v8, s10
	s_xor_b64 exec, exec, s[6:7]
	s_cbranch_execnz .LBB18_3900
.LBB18_1850:
	s_or_b64 exec, exec, s[6:7]
	s_and_saveexec_b64 s[6:7], s[4:5]
	s_cbranch_execz .LBB18_1852
.LBB18_1851:
	v_bfe_u32 v8, v13, 24, 3
	v_ffbh_u32_e32 v20, v8
	v_min_u32_e32 v20, 32, v20
	v_lshrrev_b32_e32 v18, 27, v13
	v_subrev_u32_e32 v21, 28, v20
	v_and_b32_e32 v12, 0x80000000, v13
	v_and_b32_e32 v18, 15, v18
	v_bfe_u32 v19, v13, 27, 4
	v_lshlrev_b32_sdwa v13, v21, v13 dst_sel:DWORD dst_unused:UNUSED_PAD src0_sel:DWORD src1_sel:BYTE_3
	v_sub_u32_e32 v20, 29, v20
	v_and_b32_e32 v13, 7, v13
	v_cmp_eq_u16_e32 vcc, 0, v18
	v_cndmask_b32_e32 v8, v8, v13, vcc
	v_cndmask_b32_e32 v13, v19, v20, vcc
	v_mov_b32_e32 v18, 0x3b800000
	v_lshlrev_b32_e32 v8, 20, v8
	v_lshl_add_u32 v13, v13, 23, v18
	v_or3_b32 v8, v12, v13, v8
.LBB18_1852:
	s_or_b64 exec, exec, s[6:7]
	s_movk_i32 s4, 0x7f
	v_cmp_gt_i16_sdwa s[6:7], v9, s4 src0_sel:BYTE_3 src1_sel:DWORD
	s_mov_b64 s[4:5], 0
                                        ; implicit-def: $sgpr10
	s_and_saveexec_b64 s[8:9], s[6:7]
	s_xor_b64 s[6:7], exec, s[8:9]
	s_cbranch_execnz .LBB18_3901
; %bb.1853:
	s_or_saveexec_b64 s[6:7], s[6:7]
	v_mov_b32_e32 v12, s10
	s_xor_b64 exec, exec, s[6:7]
	s_cbranch_execnz .LBB18_3904
.LBB18_1854:
	s_or_b64 exec, exec, s[6:7]
	s_and_saveexec_b64 s[6:7], s[4:5]
	s_cbranch_execz .LBB18_1856
.LBB18_1855:
	v_bfe_u32 v12, v9, 24, 3
	v_ffbh_u32_e32 v20, v12
	v_min_u32_e32 v20, 32, v20
	v_lshrrev_b32_e32 v18, 27, v9
	v_subrev_u32_e32 v21, 28, v20
	v_and_b32_e32 v13, 0x80000000, v9
	v_and_b32_e32 v18, 15, v18
	v_bfe_u32 v19, v9, 27, 4
	v_lshlrev_b32_sdwa v9, v21, v9 dst_sel:DWORD dst_unused:UNUSED_PAD src0_sel:DWORD src1_sel:BYTE_3
	v_sub_u32_e32 v20, 29, v20
	v_and_b32_e32 v9, 7, v9
	v_cmp_eq_u16_e32 vcc, 0, v18
	v_cndmask_b32_e32 v9, v12, v9, vcc
	v_cndmask_b32_e32 v12, v19, v20, vcc
	v_mov_b32_e32 v18, 0x3b800000
	v_lshlrev_b32_e32 v9, 20, v9
	v_lshl_add_u32 v12, v12, 23, v18
	v_or3_b32 v12, v13, v12, v9
.LBB18_1856:
	s_or_b64 exec, exec, s[6:7]
	s_nop 0
	v_mfma_f32_16x16x4f32 a[0:3], v8, v12, a[0:3]
	s_movk_i32 s4, 0x7f
	v_cmp_gt_i16_sdwa s[6:7], v14, s4 src0_sel:BYTE_0 src1_sel:DWORD
	s_mov_b64 s[4:5], 0
                                        ; implicit-def: $sgpr10
	s_and_saveexec_b64 s[8:9], s[6:7]
	s_xor_b64 s[6:7], exec, s[8:9]
	s_cbranch_execnz .LBB18_3905
; %bb.1857:
	s_or_saveexec_b64 s[6:7], s[6:7]
	v_mov_b32_e32 v8, s10
	s_xor_b64 exec, exec, s[6:7]
	s_cbranch_execnz .LBB18_3908
.LBB18_1858:
	s_or_b64 exec, exec, s[6:7]
	s_and_saveexec_b64 s[6:7], s[4:5]
	s_cbranch_execz .LBB18_1860
.LBB18_1859:
	v_and_b32_e32 v8, 7, v14
	v_ffbh_u32_e32 v12, v8
	v_min_u32_e32 v12, 32, v12
	v_lshrrev_b16_e32 v9, 3, v14
	v_subrev_u32_e32 v13, 28, v12
	v_and_b32_e32 v9, 15, v9
	v_lshlrev_b32_e32 v13, v13, v14
	v_sub_u32_e32 v12, 29, v12
	v_and_b32_e32 v13, 7, v13
	v_cmp_eq_u16_e32 vcc, 0, v9
	v_cndmask_b32_e32 v8, v8, v13, vcc
	v_cndmask_b32_e32 v9, v9, v12, vcc
	v_lshlrev_b32_e32 v12, 24, v14
	v_mov_b32_e32 v13, 0x3b800000
	v_lshlrev_b32_e32 v8, 20, v8
	v_and_b32_e32 v12, 0x80000000, v12
	v_lshl_add_u32 v9, v9, 23, v13
	v_or3_b32 v8, v12, v9, v8
.LBB18_1860:
	s_or_b64 exec, exec, s[6:7]
	s_movk_i32 s4, 0x7f
	v_cmp_gt_i16_sdwa s[6:7], v10, s4 src0_sel:BYTE_0 src1_sel:DWORD
	s_mov_b64 s[4:5], 0
                                        ; implicit-def: $sgpr10
	s_and_saveexec_b64 s[8:9], s[6:7]
	s_xor_b64 s[6:7], exec, s[8:9]
	s_cbranch_execnz .LBB18_3909
; %bb.1861:
	s_or_saveexec_b64 s[6:7], s[6:7]
	v_mov_b32_e32 v9, s10
	s_xor_b64 exec, exec, s[6:7]
	s_cbranch_execnz .LBB18_3912
.LBB18_1862:
	s_or_b64 exec, exec, s[6:7]
	s_and_saveexec_b64 s[6:7], s[4:5]
	s_cbranch_execz .LBB18_1864
.LBB18_1863:
	v_and_b32_e32 v9, 7, v10
	v_ffbh_u32_e32 v13, v9
	v_min_u32_e32 v13, 32, v13
	v_lshrrev_b16_e32 v12, 3, v10
	v_subrev_u32_e32 v18, 28, v13
	v_and_b32_e32 v12, 15, v12
	v_lshlrev_b32_e32 v18, v18, v10
	v_sub_u32_e32 v13, 29, v13
	v_and_b32_e32 v18, 7, v18
	v_cmp_eq_u16_e32 vcc, 0, v12
	v_cndmask_b32_e32 v9, v9, v18, vcc
	v_cndmask_b32_e32 v12, v12, v13, vcc
	v_lshlrev_b32_e32 v13, 24, v10
	v_mov_b32_e32 v18, 0x3b800000
	v_lshlrev_b32_e32 v9, 20, v9
	v_and_b32_e32 v13, 0x80000000, v13
	v_lshl_add_u32 v12, v12, 23, v18
	v_or3_b32 v9, v13, v12, v9
.LBB18_1864:
	s_or_b64 exec, exec, s[6:7]
	s_nop 0
	v_mfma_f32_16x16x4f32 a[0:3], v8, v9, a[0:3]
	v_lshrrev_b32_e32 v9, 8, v14
	s_movk_i32 s4, 0x7f
	v_cmp_gt_i16_sdwa s[6:7], v9, s4 src0_sel:BYTE_0 src1_sel:DWORD
	s_mov_b64 s[4:5], 0
                                        ; implicit-def: $sgpr10
	s_and_saveexec_b64 s[8:9], s[6:7]
	s_xor_b64 s[6:7], exec, s[8:9]
	s_cbranch_execnz .LBB18_3913
; %bb.1865:
	s_or_saveexec_b64 s[6:7], s[6:7]
	v_mov_b32_e32 v8, s10
	s_xor_b64 exec, exec, s[6:7]
	s_cbranch_execnz .LBB18_3916
.LBB18_1866:
	s_or_b64 exec, exec, s[6:7]
	s_and_saveexec_b64 s[6:7], s[4:5]
	s_cbranch_execz .LBB18_1868
.LBB18_1867:
	v_bfe_u32 v8, v14, 8, 3
	v_ffbh_u32_e32 v13, v8
	v_min_u32_e32 v13, 32, v13
	v_lshrrev_b16_e32 v12, 3, v9
	v_subrev_u32_e32 v18, 28, v13
	v_and_b32_e32 v12, 15, v12
	v_lshlrev_b32_e32 v9, v18, v9
	v_sub_u32_e32 v13, 29, v13
	v_and_b32_e32 v9, 7, v9
	v_cmp_eq_u16_e32 vcc, 0, v12
	v_cndmask_b32_e32 v8, v8, v9, vcc
	v_cndmask_b32_e32 v9, v12, v13, vcc
	v_lshlrev_b32_e32 v12, 16, v14
	v_mov_b32_e32 v13, 0x3b800000
	v_lshlrev_b32_e32 v8, 20, v8
	v_and_b32_e32 v12, 0x80000000, v12
	v_lshl_add_u32 v9, v9, 23, v13
	v_or3_b32 v8, v12, v9, v8
.LBB18_1868:
	s_or_b64 exec, exec, s[6:7]
	v_lshrrev_b32_e32 v9, 8, v10
	s_movk_i32 s4, 0x7f
	v_cmp_gt_i16_sdwa s[6:7], v9, s4 src0_sel:BYTE_0 src1_sel:DWORD
	s_mov_b64 s[4:5], 0
                                        ; implicit-def: $sgpr10
	s_and_saveexec_b64 s[8:9], s[6:7]
	s_xor_b64 s[6:7], exec, s[8:9]
	s_cbranch_execnz .LBB18_3917
; %bb.1869:
	s_or_saveexec_b64 s[6:7], s[6:7]
	v_mov_b32_e32 v12, s10
	s_xor_b64 exec, exec, s[6:7]
	s_cbranch_execnz .LBB18_3920
.LBB18_1870:
	s_or_b64 exec, exec, s[6:7]
	s_and_saveexec_b64 s[6:7], s[4:5]
	s_cbranch_execz .LBB18_1872
.LBB18_1871:
	v_bfe_u32 v12, v10, 8, 3
	v_ffbh_u32_e32 v18, v12
	v_min_u32_e32 v18, 32, v18
	v_lshrrev_b16_e32 v13, 3, v9
	v_subrev_u32_e32 v19, 28, v18
	v_and_b32_e32 v13, 15, v13
	v_lshlrev_b32_e32 v9, v19, v9
	v_sub_u32_e32 v18, 29, v18
	v_and_b32_e32 v9, 7, v9
	v_cmp_eq_u16_e32 vcc, 0, v13
	v_cndmask_b32_e32 v9, v12, v9, vcc
	v_cndmask_b32_e32 v12, v13, v18, vcc
	v_lshlrev_b32_e32 v13, 16, v10
	v_mov_b32_e32 v18, 0x3b800000
	v_lshlrev_b32_e32 v9, 20, v9
	v_and_b32_e32 v13, 0x80000000, v13
	v_lshl_add_u32 v12, v12, 23, v18
	v_or3_b32 v12, v13, v12, v9
.LBB18_1872:
	s_or_b64 exec, exec, s[6:7]
	s_nop 0
	v_mfma_f32_16x16x4f32 a[0:3], v8, v12, a[0:3]
	s_movk_i32 s4, 0xff
	v_and_b32_sdwa v9, v14, s4 dst_sel:DWORD dst_unused:UNUSED_PAD src0_sel:WORD_1 src1_sel:DWORD
	s_movk_i32 s4, 0x7f
	v_cmp_lt_i16_e32 vcc, s4, v9
	s_mov_b64 s[4:5], 0
                                        ; implicit-def: $sgpr10
	s_and_saveexec_b64 s[6:7], vcc
	s_xor_b64 s[6:7], exec, s[6:7]
	s_cbranch_execnz .LBB18_3921
; %bb.1873:
	s_or_saveexec_b64 s[6:7], s[6:7]
	v_mov_b32_e32 v8, s10
	s_xor_b64 exec, exec, s[6:7]
	s_cbranch_execnz .LBB18_3924
.LBB18_1874:
	s_or_b64 exec, exec, s[6:7]
	s_and_saveexec_b64 s[6:7], s[4:5]
	s_cbranch_execz .LBB18_1876
.LBB18_1875:
	v_bfe_u32 v8, v14, 16, 3
	v_ffbh_u32_e32 v13, v8
	v_min_u32_e32 v13, 32, v13
	v_lshrrev_b32_e32 v9, 19, v14
	v_subrev_u32_e32 v18, 28, v13
	v_and_b32_e32 v9, 15, v9
	v_lshlrev_b32_sdwa v18, v18, v14 dst_sel:DWORD dst_unused:UNUSED_PAD src0_sel:DWORD src1_sel:WORD_1
	v_bfe_u32 v12, v14, 19, 4
	v_sub_u32_e32 v13, 29, v13
	v_and_b32_e32 v18, 7, v18
	v_cmp_eq_u16_e32 vcc, 0, v9
	v_cndmask_b32_e32 v8, v8, v18, vcc
	v_cndmask_b32_e32 v9, v12, v13, vcc
	v_lshlrev_b32_e32 v12, 8, v14
	v_mov_b32_e32 v13, 0x3b800000
	v_lshlrev_b32_e32 v8, 20, v8
	v_and_b32_e32 v12, 0x80000000, v12
	v_lshl_add_u32 v9, v9, 23, v13
	v_or3_b32 v8, v12, v9, v8
.LBB18_1876:
	s_or_b64 exec, exec, s[6:7]
	s_movk_i32 s4, 0xff
	v_and_b32_sdwa v9, v10, s4 dst_sel:DWORD dst_unused:UNUSED_PAD src0_sel:WORD_1 src1_sel:DWORD
	s_movk_i32 s4, 0x7f
	v_cmp_lt_i16_e32 vcc, s4, v9
	s_mov_b64 s[4:5], 0
                                        ; implicit-def: $sgpr10
	s_and_saveexec_b64 s[6:7], vcc
	s_xor_b64 s[6:7], exec, s[6:7]
	s_cbranch_execnz .LBB18_3925
; %bb.1877:
	s_or_saveexec_b64 s[6:7], s[6:7]
	v_mov_b32_e32 v12, s10
	s_xor_b64 exec, exec, s[6:7]
	s_cbranch_execnz .LBB18_3928
.LBB18_1878:
	s_or_b64 exec, exec, s[6:7]
	s_and_saveexec_b64 s[6:7], s[4:5]
	s_cbranch_execz .LBB18_1880
.LBB18_1879:
	v_bfe_u32 v9, v10, 16, 3
	v_ffbh_u32_e32 v18, v9
	v_min_u32_e32 v18, 32, v18
	v_lshrrev_b32_e32 v12, 19, v10
	v_subrev_u32_e32 v19, 28, v18
	v_and_b32_e32 v12, 15, v12
	v_lshlrev_b32_sdwa v19, v19, v10 dst_sel:DWORD dst_unused:UNUSED_PAD src0_sel:DWORD src1_sel:WORD_1
	v_bfe_u32 v13, v10, 19, 4
	v_sub_u32_e32 v18, 29, v18
	v_and_b32_e32 v19, 7, v19
	v_cmp_eq_u16_e32 vcc, 0, v12
	v_cndmask_b32_e32 v9, v9, v19, vcc
	v_cndmask_b32_e32 v12, v13, v18, vcc
	v_lshlrev_b32_e32 v13, 8, v10
	v_mov_b32_e32 v18, 0x3b800000
	v_lshlrev_b32_e32 v9, 20, v9
	v_and_b32_e32 v13, 0x80000000, v13
	v_lshl_add_u32 v12, v12, 23, v18
	v_or3_b32 v12, v13, v12, v9
.LBB18_1880:
	s_or_b64 exec, exec, s[6:7]
	s_nop 0
	v_mfma_f32_16x16x4f32 a[0:3], v8, v12, a[0:3]
	s_movk_i32 s4, 0x7f
	v_cmp_gt_i16_sdwa s[6:7], v14, s4 src0_sel:BYTE_3 src1_sel:DWORD
	s_mov_b64 s[4:5], 0
                                        ; implicit-def: $sgpr10
	s_and_saveexec_b64 s[8:9], s[6:7]
	s_xor_b64 s[6:7], exec, s[8:9]
	s_cbranch_execnz .LBB18_3929
; %bb.1881:
	s_or_saveexec_b64 s[6:7], s[6:7]
	v_mov_b32_e32 v8, s10
	s_xor_b64 exec, exec, s[6:7]
	s_cbranch_execnz .LBB18_3932
.LBB18_1882:
	s_or_b64 exec, exec, s[6:7]
	s_and_saveexec_b64 s[6:7], s[4:5]
	s_cbranch_execz .LBB18_1884
.LBB18_1883:
	v_bfe_u32 v8, v14, 24, 3
	v_ffbh_u32_e32 v18, v8
	v_min_u32_e32 v18, 32, v18
	v_lshrrev_b32_e32 v12, 27, v14
	v_subrev_u32_e32 v19, 28, v18
	v_and_b32_e32 v9, 0x80000000, v14
	v_and_b32_e32 v12, 15, v12
	v_bfe_u32 v13, v14, 27, 4
	v_lshlrev_b32_sdwa v14, v19, v14 dst_sel:DWORD dst_unused:UNUSED_PAD src0_sel:DWORD src1_sel:BYTE_3
	v_sub_u32_e32 v18, 29, v18
	v_and_b32_e32 v14, 7, v14
	v_cmp_eq_u16_e32 vcc, 0, v12
	v_cndmask_b32_e32 v8, v8, v14, vcc
	v_cndmask_b32_e32 v12, v13, v18, vcc
	v_mov_b32_e32 v13, 0x3b800000
	v_lshlrev_b32_e32 v8, 20, v8
	v_lshl_add_u32 v12, v12, 23, v13
	v_or3_b32 v8, v9, v12, v8
.LBB18_1884:
	s_or_b64 exec, exec, s[6:7]
	s_movk_i32 s4, 0x7f
	v_cmp_gt_i16_sdwa s[6:7], v10, s4 src0_sel:BYTE_3 src1_sel:DWORD
	s_mov_b64 s[4:5], 0
                                        ; implicit-def: $sgpr10
	s_and_saveexec_b64 s[8:9], s[6:7]
	s_xor_b64 s[6:7], exec, s[8:9]
	s_cbranch_execnz .LBB18_3933
; %bb.1885:
	s_or_saveexec_b64 s[6:7], s[6:7]
	v_mov_b32_e32 v9, s10
	s_xor_b64 exec, exec, s[6:7]
	s_cbranch_execnz .LBB18_3936
.LBB18_1886:
	s_or_b64 exec, exec, s[6:7]
	s_and_saveexec_b64 s[6:7], s[4:5]
	s_cbranch_execz .LBB18_1888
.LBB18_1887:
	v_bfe_u32 v9, v10, 24, 3
	v_ffbh_u32_e32 v18, v9
	v_min_u32_e32 v18, 32, v18
	v_lshrrev_b32_e32 v13, 27, v10
	v_subrev_u32_e32 v19, 28, v18
	v_and_b32_e32 v12, 0x80000000, v10
	v_and_b32_e32 v13, 15, v13
	v_bfe_u32 v14, v10, 27, 4
	v_lshlrev_b32_sdwa v10, v19, v10 dst_sel:DWORD dst_unused:UNUSED_PAD src0_sel:DWORD src1_sel:BYTE_3
	v_sub_u32_e32 v18, 29, v18
	v_and_b32_e32 v10, 7, v10
	v_cmp_eq_u16_e32 vcc, 0, v13
	v_cndmask_b32_e32 v9, v9, v10, vcc
	v_cndmask_b32_e32 v10, v14, v18, vcc
	v_mov_b32_e32 v13, 0x3b800000
	v_lshlrev_b32_e32 v9, 20, v9
	v_lshl_add_u32 v10, v10, 23, v13
	v_or3_b32 v9, v12, v10, v9
.LBB18_1888:
	s_or_b64 exec, exec, s[6:7]
	s_nop 0
	v_mfma_f32_16x16x4f32 a[0:3], v8, v9, a[0:3]
	s_movk_i32 s4, 0x7f
	v_cmp_gt_i16_sdwa s[6:7], v15, s4 src0_sel:BYTE_0 src1_sel:DWORD
	s_mov_b64 s[4:5], 0
                                        ; implicit-def: $sgpr10
	s_and_saveexec_b64 s[8:9], s[6:7]
	s_xor_b64 s[6:7], exec, s[8:9]
	s_cbranch_execnz .LBB18_3937
; %bb.1889:
	s_or_saveexec_b64 s[6:7], s[6:7]
	v_mov_b32_e32 v8, s10
	s_xor_b64 exec, exec, s[6:7]
	s_cbranch_execnz .LBB18_3940
.LBB18_1890:
	s_or_b64 exec, exec, s[6:7]
	s_and_saveexec_b64 s[6:7], s[4:5]
	s_cbranch_execz .LBB18_1892
.LBB18_1891:
	v_and_b32_e32 v8, 7, v15
	v_ffbh_u32_e32 v10, v8
	v_min_u32_e32 v10, 32, v10
	v_lshrrev_b16_e32 v9, 3, v15
	v_subrev_u32_e32 v12, 28, v10
	v_and_b32_e32 v9, 15, v9
	v_lshlrev_b32_e32 v12, v12, v15
	v_sub_u32_e32 v10, 29, v10
	v_and_b32_e32 v12, 7, v12
	v_cmp_eq_u16_e32 vcc, 0, v9
	v_cndmask_b32_e32 v8, v8, v12, vcc
	v_cndmask_b32_e32 v9, v9, v10, vcc
	v_lshlrev_b32_e32 v10, 24, v15
	v_mov_b32_e32 v12, 0x3b800000
	v_lshlrev_b32_e32 v8, 20, v8
	v_and_b32_e32 v10, 0x80000000, v10
	v_lshl_add_u32 v9, v9, 23, v12
	v_or3_b32 v8, v10, v9, v8
.LBB18_1892:
	s_or_b64 exec, exec, s[6:7]
	s_movk_i32 s4, 0x7f
	v_cmp_gt_i16_sdwa s[6:7], v11, s4 src0_sel:BYTE_0 src1_sel:DWORD
	s_mov_b64 s[4:5], 0
                                        ; implicit-def: $sgpr10
	s_and_saveexec_b64 s[8:9], s[6:7]
	s_xor_b64 s[6:7], exec, s[8:9]
	s_cbranch_execnz .LBB18_3941
; %bb.1893:
	s_or_saveexec_b64 s[6:7], s[6:7]
	v_mov_b32_e32 v9, s10
	s_xor_b64 exec, exec, s[6:7]
	s_cbranch_execnz .LBB18_3944
.LBB18_1894:
	s_or_b64 exec, exec, s[6:7]
	s_and_saveexec_b64 s[6:7], s[4:5]
	s_cbranch_execz .LBB18_1896
.LBB18_1895:
	v_and_b32_e32 v9, 7, v11
	v_ffbh_u32_e32 v12, v9
	v_min_u32_e32 v12, 32, v12
	v_lshrrev_b16_e32 v10, 3, v11
	v_subrev_u32_e32 v13, 28, v12
	v_and_b32_e32 v10, 15, v10
	v_lshlrev_b32_e32 v13, v13, v11
	v_sub_u32_e32 v12, 29, v12
	v_and_b32_e32 v13, 7, v13
	v_cmp_eq_u16_e32 vcc, 0, v10
	v_cndmask_b32_e32 v9, v9, v13, vcc
	v_cndmask_b32_e32 v10, v10, v12, vcc
	v_lshlrev_b32_e32 v12, 24, v11
	v_mov_b32_e32 v13, 0x3b800000
	v_lshlrev_b32_e32 v9, 20, v9
	v_and_b32_e32 v12, 0x80000000, v12
	v_lshl_add_u32 v10, v10, 23, v13
	v_or3_b32 v9, v12, v10, v9
.LBB18_1896:
	s_or_b64 exec, exec, s[6:7]
	s_nop 0
	v_mfma_f32_16x16x4f32 a[0:3], v8, v9, a[0:3]
	v_lshrrev_b32_e32 v9, 8, v15
	s_movk_i32 s4, 0x7f
	v_cmp_gt_i16_sdwa s[6:7], v9, s4 src0_sel:BYTE_0 src1_sel:DWORD
	s_mov_b64 s[4:5], 0
                                        ; implicit-def: $sgpr10
	s_and_saveexec_b64 s[8:9], s[6:7]
	s_xor_b64 s[6:7], exec, s[8:9]
	s_cbranch_execnz .LBB18_3945
; %bb.1897:
	s_or_saveexec_b64 s[6:7], s[6:7]
	v_mov_b32_e32 v8, s10
	s_xor_b64 exec, exec, s[6:7]
	s_cbranch_execnz .LBB18_3948
.LBB18_1898:
	s_or_b64 exec, exec, s[6:7]
	s_and_saveexec_b64 s[6:7], s[4:5]
	s_cbranch_execz .LBB18_1900
.LBB18_1899:
	v_bfe_u32 v8, v15, 8, 3
	v_ffbh_u32_e32 v12, v8
	v_min_u32_e32 v12, 32, v12
	v_lshrrev_b16_e32 v10, 3, v9
	v_subrev_u32_e32 v13, 28, v12
	v_and_b32_e32 v10, 15, v10
	v_lshlrev_b32_e32 v9, v13, v9
	v_sub_u32_e32 v12, 29, v12
	v_and_b32_e32 v9, 7, v9
	v_cmp_eq_u16_e32 vcc, 0, v10
	v_cndmask_b32_e32 v8, v8, v9, vcc
	v_cndmask_b32_e32 v9, v10, v12, vcc
	v_lshlrev_b32_e32 v10, 16, v15
	v_mov_b32_e32 v12, 0x3b800000
	v_lshlrev_b32_e32 v8, 20, v8
	v_and_b32_e32 v10, 0x80000000, v10
	v_lshl_add_u32 v9, v9, 23, v12
	v_or3_b32 v8, v10, v9, v8
.LBB18_1900:
	s_or_b64 exec, exec, s[6:7]
	v_lshrrev_b32_e32 v9, 8, v11
	s_movk_i32 s4, 0x7f
	v_cmp_gt_i16_sdwa s[6:7], v9, s4 src0_sel:BYTE_0 src1_sel:DWORD
	s_mov_b64 s[4:5], 0
                                        ; implicit-def: $sgpr10
	s_and_saveexec_b64 s[8:9], s[6:7]
	s_xor_b64 s[6:7], exec, s[8:9]
	s_cbranch_execnz .LBB18_3949
; %bb.1901:
	s_or_saveexec_b64 s[6:7], s[6:7]
	v_mov_b32_e32 v10, s10
	s_xor_b64 exec, exec, s[6:7]
	s_cbranch_execnz .LBB18_3952
.LBB18_1902:
	s_or_b64 exec, exec, s[6:7]
	s_and_saveexec_b64 s[6:7], s[4:5]
	s_cbranch_execz .LBB18_1904
.LBB18_1903:
	v_bfe_u32 v10, v11, 8, 3
	v_ffbh_u32_e32 v13, v10
	v_min_u32_e32 v13, 32, v13
	v_lshrrev_b16_e32 v12, 3, v9
	v_subrev_u32_e32 v14, 28, v13
	v_and_b32_e32 v12, 15, v12
	v_lshlrev_b32_e32 v9, v14, v9
	v_sub_u32_e32 v13, 29, v13
	v_and_b32_e32 v9, 7, v9
	v_cmp_eq_u16_e32 vcc, 0, v12
	v_cndmask_b32_e32 v9, v10, v9, vcc
	v_cndmask_b32_e32 v10, v12, v13, vcc
	v_lshlrev_b32_e32 v12, 16, v11
	v_mov_b32_e32 v13, 0x3b800000
	v_lshlrev_b32_e32 v9, 20, v9
	v_and_b32_e32 v12, 0x80000000, v12
	v_lshl_add_u32 v10, v10, 23, v13
	v_or3_b32 v10, v12, v10, v9
.LBB18_1904:
	s_or_b64 exec, exec, s[6:7]
	s_nop 0
	v_mfma_f32_16x16x4f32 a[0:3], v8, v10, a[0:3]
	s_movk_i32 s4, 0xff
	v_and_b32_sdwa v9, v15, s4 dst_sel:DWORD dst_unused:UNUSED_PAD src0_sel:WORD_1 src1_sel:DWORD
	s_movk_i32 s4, 0x7f
	v_cmp_lt_i16_e32 vcc, s4, v9
	s_mov_b64 s[4:5], 0
                                        ; implicit-def: $sgpr10
	s_and_saveexec_b64 s[6:7], vcc
	s_xor_b64 s[6:7], exec, s[6:7]
	s_cbranch_execnz .LBB18_3953
; %bb.1905:
	s_or_saveexec_b64 s[6:7], s[6:7]
	v_mov_b32_e32 v8, s10
	s_xor_b64 exec, exec, s[6:7]
	s_cbranch_execnz .LBB18_3956
.LBB18_1906:
	s_or_b64 exec, exec, s[6:7]
	s_and_saveexec_b64 s[6:7], s[4:5]
	s_cbranch_execz .LBB18_1908
.LBB18_1907:
	v_bfe_u32 v8, v15, 16, 3
	v_ffbh_u32_e32 v12, v8
	v_min_u32_e32 v12, 32, v12
	v_lshrrev_b32_e32 v9, 19, v15
	v_subrev_u32_e32 v13, 28, v12
	v_and_b32_e32 v9, 15, v9
	v_lshlrev_b32_sdwa v13, v13, v15 dst_sel:DWORD dst_unused:UNUSED_PAD src0_sel:DWORD src1_sel:WORD_1
	v_bfe_u32 v10, v15, 19, 4
	v_sub_u32_e32 v12, 29, v12
	v_and_b32_e32 v13, 7, v13
	v_cmp_eq_u16_e32 vcc, 0, v9
	v_cndmask_b32_e32 v8, v8, v13, vcc
	v_cndmask_b32_e32 v9, v10, v12, vcc
	v_lshlrev_b32_e32 v10, 8, v15
	v_mov_b32_e32 v12, 0x3b800000
	v_lshlrev_b32_e32 v8, 20, v8
	v_and_b32_e32 v10, 0x80000000, v10
	v_lshl_add_u32 v9, v9, 23, v12
	v_or3_b32 v8, v10, v9, v8
.LBB18_1908:
	s_or_b64 exec, exec, s[6:7]
	s_movk_i32 s4, 0xff
	v_and_b32_sdwa v9, v11, s4 dst_sel:DWORD dst_unused:UNUSED_PAD src0_sel:WORD_1 src1_sel:DWORD
	s_movk_i32 s4, 0x7f
	v_cmp_lt_i16_e32 vcc, s4, v9
	s_mov_b64 s[4:5], 0
                                        ; implicit-def: $sgpr10
	s_and_saveexec_b64 s[6:7], vcc
	s_xor_b64 s[6:7], exec, s[6:7]
	s_cbranch_execnz .LBB18_3957
; %bb.1909:
	s_or_saveexec_b64 s[6:7], s[6:7]
	v_mov_b32_e32 v10, s10
	s_xor_b64 exec, exec, s[6:7]
	s_cbranch_execnz .LBB18_3960
.LBB18_1910:
	s_or_b64 exec, exec, s[6:7]
	s_and_saveexec_b64 s[6:7], s[4:5]
	s_cbranch_execz .LBB18_1912
.LBB18_1911:
	v_bfe_u32 v9, v11, 16, 3
	v_ffbh_u32_e32 v13, v9
	v_min_u32_e32 v13, 32, v13
	v_lshrrev_b32_e32 v10, 19, v11
	v_subrev_u32_e32 v14, 28, v13
	v_and_b32_e32 v10, 15, v10
	v_lshlrev_b32_sdwa v14, v14, v11 dst_sel:DWORD dst_unused:UNUSED_PAD src0_sel:DWORD src1_sel:WORD_1
	v_bfe_u32 v12, v11, 19, 4
	v_sub_u32_e32 v13, 29, v13
	v_and_b32_e32 v14, 7, v14
	v_cmp_eq_u16_e32 vcc, 0, v10
	v_cndmask_b32_e32 v9, v9, v14, vcc
	v_cndmask_b32_e32 v10, v12, v13, vcc
	v_lshlrev_b32_e32 v12, 8, v11
	v_mov_b32_e32 v13, 0x3b800000
	v_lshlrev_b32_e32 v9, 20, v9
	v_and_b32_e32 v12, 0x80000000, v12
	v_lshl_add_u32 v10, v10, 23, v13
	v_or3_b32 v10, v12, v10, v9
.LBB18_1912:
	s_or_b64 exec, exec, s[6:7]
	s_nop 0
	v_mfma_f32_16x16x4f32 a[0:3], v8, v10, a[0:3]
	s_movk_i32 s4, 0x7f
	v_cmp_gt_i16_sdwa s[6:7], v15, s4 src0_sel:BYTE_3 src1_sel:DWORD
	s_mov_b64 s[4:5], 0
                                        ; implicit-def: $sgpr10
	s_and_saveexec_b64 s[8:9], s[6:7]
	s_xor_b64 s[6:7], exec, s[8:9]
	s_cbranch_execnz .LBB18_3961
; %bb.1913:
	s_or_saveexec_b64 s[6:7], s[6:7]
	v_mov_b32_e32 v8, s10
	s_xor_b64 exec, exec, s[6:7]
	s_cbranch_execnz .LBB18_3964
.LBB18_1914:
	s_or_b64 exec, exec, s[6:7]
	s_and_saveexec_b64 s[6:7], s[4:5]
	s_cbranch_execz .LBB18_1916
.LBB18_1915:
	v_bfe_u32 v8, v15, 24, 3
	v_ffbh_u32_e32 v13, v8
	v_min_u32_e32 v13, 32, v13
	v_lshrrev_b32_e32 v10, 27, v15
	v_subrev_u32_e32 v14, 28, v13
	v_and_b32_e32 v10, 15, v10
	v_lshlrev_b32_sdwa v14, v14, v15 dst_sel:DWORD dst_unused:UNUSED_PAD src0_sel:DWORD src1_sel:BYTE_3
	v_bfe_u32 v12, v15, 27, 4
	v_sub_u32_e32 v13, 29, v13
	v_and_b32_e32 v14, 7, v14
	v_cmp_eq_u16_e32 vcc, 0, v10
	v_cndmask_b32_e32 v8, v8, v14, vcc
	v_cndmask_b32_e32 v10, v12, v13, vcc
	v_mov_b32_e32 v12, 0x3b800000
	v_and_b32_e32 v9, 0x80000000, v15
	v_lshlrev_b32_e32 v8, 20, v8
	v_lshl_add_u32 v10, v10, 23, v12
	v_or3_b32 v8, v9, v10, v8
.LBB18_1916:
	s_or_b64 exec, exec, s[6:7]
	s_movk_i32 s4, 0x7f
	v_cmp_gt_i16_sdwa s[6:7], v11, s4 src0_sel:BYTE_3 src1_sel:DWORD
	s_mov_b64 s[4:5], 0
                                        ; implicit-def: $sgpr10
	s_and_saveexec_b64 s[8:9], s[6:7]
	s_xor_b64 s[6:7], exec, s[8:9]
	s_cbranch_execnz .LBB18_3965
; %bb.1917:
	s_or_saveexec_b64 s[6:7], s[6:7]
	v_mov_b32_e32 v9, s10
	s_xor_b64 exec, exec, s[6:7]
	s_cbranch_execnz .LBB18_3968
.LBB18_1918:
	s_or_b64 exec, exec, s[6:7]
	s_and_saveexec_b64 s[6:7], s[4:5]
	s_cbranch_execz .LBB18_1920
.LBB18_1919:
	v_bfe_u32 v9, v11, 24, 3
	v_ffbh_u32_e32 v14, v9
	v_min_u32_e32 v14, 32, v14
	v_lshrrev_b32_e32 v12, 27, v11
	v_subrev_u32_e32 v15, 28, v14
	v_and_b32_e32 v10, 0x80000000, v11
	v_and_b32_e32 v12, 15, v12
	v_bfe_u32 v13, v11, 27, 4
	v_lshlrev_b32_sdwa v11, v15, v11 dst_sel:DWORD dst_unused:UNUSED_PAD src0_sel:DWORD src1_sel:BYTE_3
	v_sub_u32_e32 v14, 29, v14
	v_and_b32_e32 v11, 7, v11
	v_cmp_eq_u16_e32 vcc, 0, v12
	v_cndmask_b32_e32 v9, v9, v11, vcc
	v_cndmask_b32_e32 v11, v13, v14, vcc
	v_mov_b32_e32 v12, 0x3b800000
	v_lshlrev_b32_e32 v9, 20, v9
	v_lshl_add_u32 v11, v11, 23, v12
	v_or3_b32 v9, v10, v11, v9
.LBB18_1920:
	s_or_b64 exec, exec, s[6:7]
	s_nop 0
	v_mfma_f32_16x16x4f32 a[0:3], v8, v9, a[0:3]
	s_movk_i32 s4, 0x7f
	v_cmp_gt_i16_sdwa s[6:7], v4, s4 src0_sel:BYTE_0 src1_sel:DWORD
	s_mov_b64 s[4:5], 0
                                        ; implicit-def: $sgpr10
	s_and_saveexec_b64 s[8:9], s[6:7]
	s_xor_b64 s[6:7], exec, s[8:9]
	s_cbranch_execnz .LBB18_3969
; %bb.1921:
	s_or_saveexec_b64 s[6:7], s[6:7]
	v_mov_b32_e32 v8, s10
	s_xor_b64 exec, exec, s[6:7]
	s_cbranch_execnz .LBB18_3972
.LBB18_1922:
	s_or_b64 exec, exec, s[6:7]
	s_and_saveexec_b64 s[6:7], s[4:5]
	s_cbranch_execz .LBB18_1924
.LBB18_1923:
	v_and_b32_e32 v8, 7, v4
	v_ffbh_u32_e32 v10, v8
	v_min_u32_e32 v10, 32, v10
	v_lshrrev_b16_e32 v9, 3, v4
	v_subrev_u32_e32 v11, 28, v10
	v_and_b32_e32 v9, 15, v9
	v_lshlrev_b32_e32 v11, v11, v4
	v_sub_u32_e32 v10, 29, v10
	v_and_b32_e32 v11, 7, v11
	v_cmp_eq_u16_e32 vcc, 0, v9
	v_cndmask_b32_e32 v8, v8, v11, vcc
	v_cndmask_b32_e32 v9, v9, v10, vcc
	v_lshlrev_b32_e32 v10, 24, v4
	v_mov_b32_e32 v11, 0x3b800000
	v_lshlrev_b32_e32 v8, 20, v8
	v_and_b32_e32 v10, 0x80000000, v10
	v_lshl_add_u32 v9, v9, 23, v11
	v_or3_b32 v8, v10, v9, v8
.LBB18_1924:
	s_or_b64 exec, exec, s[6:7]
	s_movk_i32 s4, 0x7f
	v_cmp_gt_i16_sdwa s[6:7], v0, s4 src0_sel:BYTE_0 src1_sel:DWORD
	s_mov_b64 s[4:5], 0
                                        ; implicit-def: $sgpr10
	s_and_saveexec_b64 s[8:9], s[6:7]
	s_xor_b64 s[6:7], exec, s[8:9]
	s_cbranch_execnz .LBB18_3973
; %bb.1925:
	s_or_saveexec_b64 s[6:7], s[6:7]
	v_mov_b32_e32 v9, s10
	s_xor_b64 exec, exec, s[6:7]
	s_cbranch_execnz .LBB18_3976
.LBB18_1926:
	s_or_b64 exec, exec, s[6:7]
	s_and_saveexec_b64 s[6:7], s[4:5]
	s_cbranch_execz .LBB18_1928
.LBB18_1927:
	v_and_b32_e32 v9, 7, v0
	v_ffbh_u32_e32 v11, v9
	v_min_u32_e32 v11, 32, v11
	v_lshrrev_b16_e32 v10, 3, v0
	v_subrev_u32_e32 v12, 28, v11
	v_and_b32_e32 v10, 15, v10
	v_lshlrev_b32_e32 v12, v12, v0
	v_sub_u32_e32 v11, 29, v11
	v_and_b32_e32 v12, 7, v12
	v_cmp_eq_u16_e32 vcc, 0, v10
	v_cndmask_b32_e32 v9, v9, v12, vcc
	v_cndmask_b32_e32 v10, v10, v11, vcc
	v_lshlrev_b32_e32 v11, 24, v0
	v_mov_b32_e32 v12, 0x3b800000
	v_lshlrev_b32_e32 v9, 20, v9
	v_and_b32_e32 v11, 0x80000000, v11
	v_lshl_add_u32 v10, v10, 23, v12
	v_or3_b32 v9, v11, v10, v9
.LBB18_1928:
	s_or_b64 exec, exec, s[6:7]
	s_nop 0
	v_mfma_f32_16x16x4f32 a[0:3], v8, v9, a[0:3]
	v_lshrrev_b32_e32 v9, 8, v4
	s_movk_i32 s4, 0x7f
	v_cmp_gt_i16_sdwa s[6:7], v9, s4 src0_sel:BYTE_0 src1_sel:DWORD
	s_mov_b64 s[4:5], 0
                                        ; implicit-def: $sgpr10
	s_and_saveexec_b64 s[8:9], s[6:7]
	s_xor_b64 s[6:7], exec, s[8:9]
	s_cbranch_execnz .LBB18_3977
; %bb.1929:
	s_or_saveexec_b64 s[6:7], s[6:7]
	v_mov_b32_e32 v8, s10
	s_xor_b64 exec, exec, s[6:7]
	s_cbranch_execnz .LBB18_3980
.LBB18_1930:
	s_or_b64 exec, exec, s[6:7]
	s_and_saveexec_b64 s[6:7], s[4:5]
	s_cbranch_execz .LBB18_1932
.LBB18_1931:
	v_bfe_u32 v8, v4, 8, 3
	v_ffbh_u32_e32 v11, v8
	v_min_u32_e32 v11, 32, v11
	v_lshrrev_b16_e32 v10, 3, v9
	v_subrev_u32_e32 v12, 28, v11
	v_and_b32_e32 v10, 15, v10
	v_lshlrev_b32_e32 v9, v12, v9
	v_sub_u32_e32 v11, 29, v11
	v_and_b32_e32 v9, 7, v9
	v_cmp_eq_u16_e32 vcc, 0, v10
	v_cndmask_b32_e32 v8, v8, v9, vcc
	v_cndmask_b32_e32 v9, v10, v11, vcc
	v_lshlrev_b32_e32 v10, 16, v4
	v_mov_b32_e32 v11, 0x3b800000
	v_lshlrev_b32_e32 v8, 20, v8
	v_and_b32_e32 v10, 0x80000000, v10
	v_lshl_add_u32 v9, v9, 23, v11
	v_or3_b32 v8, v10, v9, v8
.LBB18_1932:
	s_or_b64 exec, exec, s[6:7]
	v_lshrrev_b32_e32 v9, 8, v0
	s_movk_i32 s4, 0x7f
	v_cmp_gt_i16_sdwa s[6:7], v9, s4 src0_sel:BYTE_0 src1_sel:DWORD
	s_mov_b64 s[4:5], 0
                                        ; implicit-def: $sgpr10
	s_and_saveexec_b64 s[8:9], s[6:7]
	s_xor_b64 s[6:7], exec, s[8:9]
	s_cbranch_execnz .LBB18_3981
; %bb.1933:
	s_or_saveexec_b64 s[6:7], s[6:7]
	v_mov_b32_e32 v10, s10
	s_xor_b64 exec, exec, s[6:7]
	s_cbranch_execnz .LBB18_3984
.LBB18_1934:
	s_or_b64 exec, exec, s[6:7]
	s_and_saveexec_b64 s[6:7], s[4:5]
	s_cbranch_execz .LBB18_1936
.LBB18_1935:
	v_bfe_u32 v10, v0, 8, 3
	v_ffbh_u32_e32 v12, v10
	v_min_u32_e32 v12, 32, v12
	v_lshrrev_b16_e32 v11, 3, v9
	v_subrev_u32_e32 v13, 28, v12
	v_and_b32_e32 v11, 15, v11
	v_lshlrev_b32_e32 v9, v13, v9
	v_sub_u32_e32 v12, 29, v12
	v_and_b32_e32 v9, 7, v9
	v_cmp_eq_u16_e32 vcc, 0, v11
	v_cndmask_b32_e32 v9, v10, v9, vcc
	v_cndmask_b32_e32 v10, v11, v12, vcc
	v_lshlrev_b32_e32 v11, 16, v0
	v_mov_b32_e32 v12, 0x3b800000
	v_lshlrev_b32_e32 v9, 20, v9
	v_and_b32_e32 v11, 0x80000000, v11
	v_lshl_add_u32 v10, v10, 23, v12
	v_or3_b32 v10, v11, v10, v9
.LBB18_1936:
	s_or_b64 exec, exec, s[6:7]
	s_nop 0
	v_mfma_f32_16x16x4f32 a[0:3], v8, v10, a[0:3]
	s_movk_i32 s4, 0xff
	v_and_b32_sdwa v9, v4, s4 dst_sel:DWORD dst_unused:UNUSED_PAD src0_sel:WORD_1 src1_sel:DWORD
	s_movk_i32 s4, 0x7f
	v_cmp_lt_i16_e32 vcc, s4, v9
	s_mov_b64 s[4:5], 0
                                        ; implicit-def: $sgpr10
	s_and_saveexec_b64 s[6:7], vcc
	s_xor_b64 s[6:7], exec, s[6:7]
	s_cbranch_execnz .LBB18_3985
; %bb.1937:
	s_or_saveexec_b64 s[6:7], s[6:7]
	v_mov_b32_e32 v8, s10
	s_xor_b64 exec, exec, s[6:7]
	s_cbranch_execnz .LBB18_3988
.LBB18_1938:
	s_or_b64 exec, exec, s[6:7]
	s_and_saveexec_b64 s[6:7], s[4:5]
	s_cbranch_execz .LBB18_1940
.LBB18_1939:
	v_bfe_u32 v8, v4, 16, 3
	v_ffbh_u32_e32 v11, v8
	v_min_u32_e32 v11, 32, v11
	v_lshrrev_b32_e32 v9, 19, v4
	v_subrev_u32_e32 v12, 28, v11
	v_and_b32_e32 v9, 15, v9
	v_lshlrev_b32_sdwa v12, v12, v4 dst_sel:DWORD dst_unused:UNUSED_PAD src0_sel:DWORD src1_sel:WORD_1
	v_bfe_u32 v10, v4, 19, 4
	v_sub_u32_e32 v11, 29, v11
	v_and_b32_e32 v12, 7, v12
	v_cmp_eq_u16_e32 vcc, 0, v9
	v_cndmask_b32_e32 v8, v8, v12, vcc
	v_cndmask_b32_e32 v9, v10, v11, vcc
	v_lshlrev_b32_e32 v10, 8, v4
	v_mov_b32_e32 v11, 0x3b800000
	v_lshlrev_b32_e32 v8, 20, v8
	v_and_b32_e32 v10, 0x80000000, v10
	v_lshl_add_u32 v9, v9, 23, v11
	v_or3_b32 v8, v10, v9, v8
.LBB18_1940:
	s_or_b64 exec, exec, s[6:7]
	s_movk_i32 s4, 0xff
	v_and_b32_sdwa v9, v0, s4 dst_sel:DWORD dst_unused:UNUSED_PAD src0_sel:WORD_1 src1_sel:DWORD
	s_movk_i32 s4, 0x7f
	v_cmp_lt_i16_e32 vcc, s4, v9
	s_mov_b64 s[4:5], 0
                                        ; implicit-def: $sgpr10
	s_and_saveexec_b64 s[6:7], vcc
	s_xor_b64 s[6:7], exec, s[6:7]
	s_cbranch_execnz .LBB18_3989
; %bb.1941:
	s_or_saveexec_b64 s[6:7], s[6:7]
	v_mov_b32_e32 v10, s10
	s_xor_b64 exec, exec, s[6:7]
	s_cbranch_execnz .LBB18_3992
.LBB18_1942:
	s_or_b64 exec, exec, s[6:7]
	s_and_saveexec_b64 s[6:7], s[4:5]
	s_cbranch_execz .LBB18_1944
.LBB18_1943:
	v_bfe_u32 v9, v0, 16, 3
	v_ffbh_u32_e32 v12, v9
	v_min_u32_e32 v12, 32, v12
	v_lshrrev_b32_e32 v10, 19, v0
	v_subrev_u32_e32 v13, 28, v12
	v_and_b32_e32 v10, 15, v10
	v_lshlrev_b32_sdwa v13, v13, v0 dst_sel:DWORD dst_unused:UNUSED_PAD src0_sel:DWORD src1_sel:WORD_1
	v_bfe_u32 v11, v0, 19, 4
	v_sub_u32_e32 v12, 29, v12
	v_and_b32_e32 v13, 7, v13
	v_cmp_eq_u16_e32 vcc, 0, v10
	v_cndmask_b32_e32 v9, v9, v13, vcc
	v_cndmask_b32_e32 v10, v11, v12, vcc
	v_lshlrev_b32_e32 v11, 8, v0
	v_mov_b32_e32 v12, 0x3b800000
	v_lshlrev_b32_e32 v9, 20, v9
	v_and_b32_e32 v11, 0x80000000, v11
	v_lshl_add_u32 v10, v10, 23, v12
	v_or3_b32 v10, v11, v10, v9
.LBB18_1944:
	s_or_b64 exec, exec, s[6:7]
	s_nop 0
	v_mfma_f32_16x16x4f32 a[0:3], v8, v10, a[0:3]
	s_movk_i32 s4, 0x7f
	v_cmp_gt_i16_sdwa s[6:7], v4, s4 src0_sel:BYTE_3 src1_sel:DWORD
	s_mov_b64 s[4:5], 0
                                        ; implicit-def: $sgpr10
	s_and_saveexec_b64 s[8:9], s[6:7]
	s_xor_b64 s[6:7], exec, s[8:9]
	s_cbranch_execnz .LBB18_3993
; %bb.1945:
	s_or_saveexec_b64 s[6:7], s[6:7]
	v_mov_b32_e32 v8, s10
	s_xor_b64 exec, exec, s[6:7]
	s_cbranch_execnz .LBB18_3996
.LBB18_1946:
	s_or_b64 exec, exec, s[6:7]
	s_and_saveexec_b64 s[6:7], s[4:5]
	s_cbranch_execz .LBB18_1948
.LBB18_1947:
	v_bfe_u32 v8, v4, 24, 3
	v_ffbh_u32_e32 v12, v8
	v_min_u32_e32 v12, 32, v12
	v_lshrrev_b32_e32 v10, 27, v4
	v_subrev_u32_e32 v13, 28, v12
	v_and_b32_e32 v9, 0x80000000, v4
	v_and_b32_e32 v10, 15, v10
	v_bfe_u32 v11, v4, 27, 4
	v_lshlrev_b32_sdwa v4, v13, v4 dst_sel:DWORD dst_unused:UNUSED_PAD src0_sel:DWORD src1_sel:BYTE_3
	v_sub_u32_e32 v12, 29, v12
	v_and_b32_e32 v4, 7, v4
	v_cmp_eq_u16_e32 vcc, 0, v10
	v_cndmask_b32_e32 v4, v8, v4, vcc
	v_cndmask_b32_e32 v8, v11, v12, vcc
	v_mov_b32_e32 v10, 0x3b800000
	v_lshlrev_b32_e32 v4, 20, v4
	v_lshl_add_u32 v8, v8, 23, v10
	v_or3_b32 v8, v9, v8, v4
.LBB18_1948:
	s_or_b64 exec, exec, s[6:7]
	s_movk_i32 s4, 0x7f
	v_cmp_gt_i16_sdwa s[6:7], v0, s4 src0_sel:BYTE_3 src1_sel:DWORD
	s_mov_b64 s[4:5], 0
                                        ; implicit-def: $sgpr10
	s_and_saveexec_b64 s[8:9], s[6:7]
	s_xor_b64 s[6:7], exec, s[8:9]
	s_cbranch_execnz .LBB18_3997
; %bb.1949:
	s_or_saveexec_b64 s[6:7], s[6:7]
	v_mov_b32_e32 v4, s10
	s_xor_b64 exec, exec, s[6:7]
	s_cbranch_execnz .LBB18_4000
.LBB18_1950:
	s_or_b64 exec, exec, s[6:7]
	s_and_saveexec_b64 s[6:7], s[4:5]
	s_cbranch_execz .LBB18_1952
.LBB18_1951:
	v_bfe_u32 v4, v0, 24, 3
	v_ffbh_u32_e32 v12, v4
	v_min_u32_e32 v12, 32, v12
	v_lshrrev_b32_e32 v10, 27, v0
	v_subrev_u32_e32 v13, 28, v12
	v_and_b32_e32 v9, 0x80000000, v0
	v_and_b32_e32 v10, 15, v10
	v_bfe_u32 v11, v0, 27, 4
	v_lshlrev_b32_sdwa v0, v13, v0 dst_sel:DWORD dst_unused:UNUSED_PAD src0_sel:DWORD src1_sel:BYTE_3
	v_sub_u32_e32 v12, 29, v12
	v_and_b32_e32 v0, 7, v0
	v_cmp_eq_u16_e32 vcc, 0, v10
	v_cndmask_b32_e32 v0, v4, v0, vcc
	v_cndmask_b32_e32 v4, v11, v12, vcc
	v_mov_b32_e32 v10, 0x3b800000
	v_lshlrev_b32_e32 v0, 20, v0
	v_lshl_add_u32 v4, v4, 23, v10
	v_or3_b32 v4, v9, v4, v0
.LBB18_1952:
	s_or_b64 exec, exec, s[6:7]
	s_nop 0
	v_mfma_f32_16x16x4f32 a[0:3], v8, v4, a[0:3]
	s_movk_i32 s4, 0x7f
	v_cmp_gt_i16_sdwa s[6:7], v5, s4 src0_sel:BYTE_0 src1_sel:DWORD
	s_mov_b64 s[4:5], 0
                                        ; implicit-def: $sgpr10
	s_and_saveexec_b64 s[8:9], s[6:7]
	s_xor_b64 s[6:7], exec, s[8:9]
	s_cbranch_execnz .LBB18_4001
; %bb.1953:
	s_or_saveexec_b64 s[6:7], s[6:7]
	v_mov_b32_e32 v0, s10
	s_xor_b64 exec, exec, s[6:7]
	s_cbranch_execnz .LBB18_4004
.LBB18_1954:
	s_or_b64 exec, exec, s[6:7]
	s_and_saveexec_b64 s[6:7], s[4:5]
	s_cbranch_execz .LBB18_1956
.LBB18_1955:
	v_and_b32_e32 v0, 7, v5
	v_ffbh_u32_e32 v8, v0
	v_min_u32_e32 v8, 32, v8
	v_lshrrev_b16_e32 v4, 3, v5
	v_subrev_u32_e32 v9, 28, v8
	v_and_b32_e32 v4, 15, v4
	v_lshlrev_b32_e32 v9, v9, v5
	v_sub_u32_e32 v8, 29, v8
	v_and_b32_e32 v9, 7, v9
	v_cmp_eq_u16_e32 vcc, 0, v4
	v_cndmask_b32_e32 v0, v0, v9, vcc
	v_cndmask_b32_e32 v4, v4, v8, vcc
	v_lshlrev_b32_e32 v8, 24, v5
	v_mov_b32_e32 v9, 0x3b800000
	v_lshlrev_b32_e32 v0, 20, v0
	v_and_b32_e32 v8, 0x80000000, v8
	v_lshl_add_u32 v4, v4, 23, v9
	v_or3_b32 v0, v8, v4, v0
.LBB18_1956:
	s_or_b64 exec, exec, s[6:7]
	s_movk_i32 s4, 0x7f
	v_cmp_gt_i16_sdwa s[6:7], v1, s4 src0_sel:BYTE_0 src1_sel:DWORD
	s_mov_b64 s[4:5], 0
                                        ; implicit-def: $sgpr10
	s_and_saveexec_b64 s[8:9], s[6:7]
	s_xor_b64 s[6:7], exec, s[8:9]
	s_cbranch_execnz .LBB18_4005
; %bb.1957:
	s_or_saveexec_b64 s[6:7], s[6:7]
	v_mov_b32_e32 v4, s10
	s_xor_b64 exec, exec, s[6:7]
	s_cbranch_execnz .LBB18_4008
.LBB18_1958:
	s_or_b64 exec, exec, s[6:7]
	s_and_saveexec_b64 s[6:7], s[4:5]
	s_cbranch_execz .LBB18_1960
.LBB18_1959:
	v_and_b32_e32 v4, 7, v1
	v_ffbh_u32_e32 v9, v4
	v_min_u32_e32 v9, 32, v9
	v_lshrrev_b16_e32 v8, 3, v1
	v_subrev_u32_e32 v10, 28, v9
	v_and_b32_e32 v8, 15, v8
	v_lshlrev_b32_e32 v10, v10, v1
	v_sub_u32_e32 v9, 29, v9
	v_and_b32_e32 v10, 7, v10
	v_cmp_eq_u16_e32 vcc, 0, v8
	v_cndmask_b32_e32 v4, v4, v10, vcc
	v_cndmask_b32_e32 v8, v8, v9, vcc
	v_lshlrev_b32_e32 v9, 24, v1
	v_mov_b32_e32 v10, 0x3b800000
	v_lshlrev_b32_e32 v4, 20, v4
	v_and_b32_e32 v9, 0x80000000, v9
	v_lshl_add_u32 v8, v8, 23, v10
	v_or3_b32 v4, v9, v8, v4
.LBB18_1960:
	s_or_b64 exec, exec, s[6:7]
	s_nop 0
	v_mfma_f32_16x16x4f32 a[0:3], v0, v4, a[0:3]
	v_lshrrev_b32_e32 v4, 8, v5
	s_movk_i32 s4, 0x7f
	v_cmp_gt_i16_sdwa s[6:7], v4, s4 src0_sel:BYTE_0 src1_sel:DWORD
	s_mov_b64 s[4:5], 0
                                        ; implicit-def: $sgpr10
	s_and_saveexec_b64 s[8:9], s[6:7]
	s_xor_b64 s[6:7], exec, s[8:9]
	s_cbranch_execnz .LBB18_4009
; %bb.1961:
	s_or_saveexec_b64 s[6:7], s[6:7]
	v_mov_b32_e32 v0, s10
	s_xor_b64 exec, exec, s[6:7]
	s_cbranch_execnz .LBB18_4012
.LBB18_1962:
	s_or_b64 exec, exec, s[6:7]
	s_and_saveexec_b64 s[6:7], s[4:5]
	s_cbranch_execz .LBB18_1964
.LBB18_1963:
	v_bfe_u32 v0, v5, 8, 3
	v_ffbh_u32_e32 v9, v0
	v_min_u32_e32 v9, 32, v9
	v_lshrrev_b16_e32 v8, 3, v4
	v_subrev_u32_e32 v10, 28, v9
	v_and_b32_e32 v8, 15, v8
	v_lshlrev_b32_e32 v4, v10, v4
	v_sub_u32_e32 v9, 29, v9
	v_and_b32_e32 v4, 7, v4
	v_cmp_eq_u16_e32 vcc, 0, v8
	v_cndmask_b32_e32 v0, v0, v4, vcc
	v_cndmask_b32_e32 v4, v8, v9, vcc
	v_lshlrev_b32_e32 v8, 16, v5
	v_mov_b32_e32 v9, 0x3b800000
	v_lshlrev_b32_e32 v0, 20, v0
	v_and_b32_e32 v8, 0x80000000, v8
	v_lshl_add_u32 v4, v4, 23, v9
	v_or3_b32 v0, v8, v4, v0
.LBB18_1964:
	s_or_b64 exec, exec, s[6:7]
	v_lshrrev_b32_e32 v4, 8, v1
	s_movk_i32 s4, 0x7f
	v_cmp_gt_i16_sdwa s[6:7], v4, s4 src0_sel:BYTE_0 src1_sel:DWORD
	s_mov_b64 s[4:5], 0
                                        ; implicit-def: $sgpr10
	s_and_saveexec_b64 s[8:9], s[6:7]
	s_xor_b64 s[6:7], exec, s[8:9]
	s_cbranch_execnz .LBB18_4013
; %bb.1965:
	s_or_saveexec_b64 s[6:7], s[6:7]
	v_mov_b32_e32 v8, s10
	s_xor_b64 exec, exec, s[6:7]
	s_cbranch_execnz .LBB18_4016
.LBB18_1966:
	s_or_b64 exec, exec, s[6:7]
	s_and_saveexec_b64 s[6:7], s[4:5]
	s_cbranch_execz .LBB18_1968
.LBB18_1967:
	v_bfe_u32 v8, v1, 8, 3
	v_ffbh_u32_e32 v10, v8
	v_min_u32_e32 v10, 32, v10
	v_lshrrev_b16_e32 v9, 3, v4
	v_subrev_u32_e32 v11, 28, v10
	v_and_b32_e32 v9, 15, v9
	v_lshlrev_b32_e32 v4, v11, v4
	v_sub_u32_e32 v10, 29, v10
	v_and_b32_e32 v4, 7, v4
	v_cmp_eq_u16_e32 vcc, 0, v9
	v_cndmask_b32_e32 v4, v8, v4, vcc
	v_cndmask_b32_e32 v8, v9, v10, vcc
	v_lshlrev_b32_e32 v9, 16, v1
	v_mov_b32_e32 v10, 0x3b800000
	v_lshlrev_b32_e32 v4, 20, v4
	v_and_b32_e32 v9, 0x80000000, v9
	v_lshl_add_u32 v8, v8, 23, v10
	v_or3_b32 v8, v9, v8, v4
.LBB18_1968:
	s_or_b64 exec, exec, s[6:7]
	s_nop 0
	v_mfma_f32_16x16x4f32 a[0:3], v0, v8, a[0:3]
	s_movk_i32 s4, 0xff
	v_and_b32_sdwa v4, v5, s4 dst_sel:DWORD dst_unused:UNUSED_PAD src0_sel:WORD_1 src1_sel:DWORD
	s_movk_i32 s4, 0x7f
	v_cmp_lt_i16_e32 vcc, s4, v4
	s_mov_b64 s[4:5], 0
                                        ; implicit-def: $sgpr10
	s_and_saveexec_b64 s[6:7], vcc
	s_xor_b64 s[6:7], exec, s[6:7]
	s_cbranch_execnz .LBB18_4017
; %bb.1969:
	s_or_saveexec_b64 s[6:7], s[6:7]
	v_mov_b32_e32 v0, s10
	s_xor_b64 exec, exec, s[6:7]
	s_cbranch_execnz .LBB18_4020
.LBB18_1970:
	s_or_b64 exec, exec, s[6:7]
	s_and_saveexec_b64 s[6:7], s[4:5]
	s_cbranch_execz .LBB18_1972
.LBB18_1971:
	v_bfe_u32 v0, v5, 16, 3
	v_ffbh_u32_e32 v9, v0
	v_min_u32_e32 v9, 32, v9
	v_lshrrev_b32_e32 v4, 19, v5
	v_subrev_u32_e32 v10, 28, v9
	v_and_b32_e32 v4, 15, v4
	v_lshlrev_b32_sdwa v10, v10, v5 dst_sel:DWORD dst_unused:UNUSED_PAD src0_sel:DWORD src1_sel:WORD_1
	v_bfe_u32 v8, v5, 19, 4
	v_sub_u32_e32 v9, 29, v9
	v_and_b32_e32 v10, 7, v10
	v_cmp_eq_u16_e32 vcc, 0, v4
	v_cndmask_b32_e32 v0, v0, v10, vcc
	v_cndmask_b32_e32 v4, v8, v9, vcc
	v_lshlrev_b32_e32 v8, 8, v5
	v_mov_b32_e32 v9, 0x3b800000
	v_lshlrev_b32_e32 v0, 20, v0
	v_and_b32_e32 v8, 0x80000000, v8
	v_lshl_add_u32 v4, v4, 23, v9
	v_or3_b32 v0, v8, v4, v0
.LBB18_1972:
	s_or_b64 exec, exec, s[6:7]
	s_movk_i32 s4, 0xff
	v_and_b32_sdwa v4, v1, s4 dst_sel:DWORD dst_unused:UNUSED_PAD src0_sel:WORD_1 src1_sel:DWORD
	s_movk_i32 s4, 0x7f
	v_cmp_lt_i16_e32 vcc, s4, v4
	s_mov_b64 s[4:5], 0
                                        ; implicit-def: $sgpr10
	s_and_saveexec_b64 s[6:7], vcc
	s_xor_b64 s[6:7], exec, s[6:7]
	s_cbranch_execnz .LBB18_4021
; %bb.1973:
	s_or_saveexec_b64 s[6:7], s[6:7]
	v_mov_b32_e32 v8, s10
	s_xor_b64 exec, exec, s[6:7]
	s_cbranch_execnz .LBB18_4024
.LBB18_1974:
	s_or_b64 exec, exec, s[6:7]
	s_and_saveexec_b64 s[6:7], s[4:5]
	s_cbranch_execz .LBB18_1976
.LBB18_1975:
	v_bfe_u32 v4, v1, 16, 3
	v_ffbh_u32_e32 v10, v4
	v_min_u32_e32 v10, 32, v10
	v_lshrrev_b32_e32 v8, 19, v1
	v_subrev_u32_e32 v11, 28, v10
	v_and_b32_e32 v8, 15, v8
	v_lshlrev_b32_sdwa v11, v11, v1 dst_sel:DWORD dst_unused:UNUSED_PAD src0_sel:DWORD src1_sel:WORD_1
	v_bfe_u32 v9, v1, 19, 4
	v_sub_u32_e32 v10, 29, v10
	v_and_b32_e32 v11, 7, v11
	v_cmp_eq_u16_e32 vcc, 0, v8
	v_cndmask_b32_e32 v4, v4, v11, vcc
	v_cndmask_b32_e32 v8, v9, v10, vcc
	v_lshlrev_b32_e32 v9, 8, v1
	v_mov_b32_e32 v10, 0x3b800000
	v_lshlrev_b32_e32 v4, 20, v4
	v_and_b32_e32 v9, 0x80000000, v9
	v_lshl_add_u32 v8, v8, 23, v10
	v_or3_b32 v8, v9, v8, v4
.LBB18_1976:
	s_or_b64 exec, exec, s[6:7]
	s_nop 0
	v_mfma_f32_16x16x4f32 a[0:3], v0, v8, a[0:3]
	s_movk_i32 s4, 0x7f
	v_cmp_gt_i16_sdwa s[6:7], v5, s4 src0_sel:BYTE_3 src1_sel:DWORD
	s_mov_b64 s[4:5], 0
                                        ; implicit-def: $sgpr10
	s_and_saveexec_b64 s[8:9], s[6:7]
	s_xor_b64 s[6:7], exec, s[8:9]
	s_cbranch_execnz .LBB18_4025
; %bb.1977:
	s_or_saveexec_b64 s[6:7], s[6:7]
	v_mov_b32_e32 v0, s10
	s_xor_b64 exec, exec, s[6:7]
	s_cbranch_execnz .LBB18_4028
.LBB18_1978:
	s_or_b64 exec, exec, s[6:7]
	s_and_saveexec_b64 s[6:7], s[4:5]
	s_cbranch_execz .LBB18_1980
.LBB18_1979:
	v_bfe_u32 v0, v5, 24, 3
	v_ffbh_u32_e32 v10, v0
	v_min_u32_e32 v10, 32, v10
	v_lshrrev_b32_e32 v8, 27, v5
	v_subrev_u32_e32 v11, 28, v10
	v_and_b32_e32 v4, 0x80000000, v5
	v_and_b32_e32 v8, 15, v8
	v_bfe_u32 v9, v5, 27, 4
	v_lshlrev_b32_sdwa v5, v11, v5 dst_sel:DWORD dst_unused:UNUSED_PAD src0_sel:DWORD src1_sel:BYTE_3
	v_sub_u32_e32 v10, 29, v10
	v_and_b32_e32 v5, 7, v5
	v_cmp_eq_u16_e32 vcc, 0, v8
	v_cndmask_b32_e32 v0, v0, v5, vcc
	v_cndmask_b32_e32 v5, v9, v10, vcc
	v_mov_b32_e32 v8, 0x3b800000
	v_lshlrev_b32_e32 v0, 20, v0
	v_lshl_add_u32 v5, v5, 23, v8
	v_or3_b32 v0, v4, v5, v0
.LBB18_1980:
	s_or_b64 exec, exec, s[6:7]
	s_movk_i32 s4, 0x7f
	v_cmp_gt_i16_sdwa s[6:7], v1, s4 src0_sel:BYTE_3 src1_sel:DWORD
	s_mov_b64 s[4:5], 0
                                        ; implicit-def: $sgpr10
	s_and_saveexec_b64 s[8:9], s[6:7]
	s_xor_b64 s[6:7], exec, s[8:9]
	s_cbranch_execnz .LBB18_4029
; %bb.1981:
	s_or_saveexec_b64 s[6:7], s[6:7]
	v_mov_b32_e32 v4, s10
	s_xor_b64 exec, exec, s[6:7]
	s_cbranch_execnz .LBB18_4032
.LBB18_1982:
	s_or_b64 exec, exec, s[6:7]
	s_and_saveexec_b64 s[6:7], s[4:5]
	s_cbranch_execz .LBB18_1984
.LBB18_1983:
	v_bfe_u32 v4, v1, 24, 3
	v_ffbh_u32_e32 v10, v4
	v_min_u32_e32 v10, 32, v10
	v_lshrrev_b32_e32 v8, 27, v1
	v_subrev_u32_e32 v11, 28, v10
	v_and_b32_e32 v5, 0x80000000, v1
	v_and_b32_e32 v8, 15, v8
	v_bfe_u32 v9, v1, 27, 4
	v_lshlrev_b32_sdwa v1, v11, v1 dst_sel:DWORD dst_unused:UNUSED_PAD src0_sel:DWORD src1_sel:BYTE_3
	v_sub_u32_e32 v10, 29, v10
	v_and_b32_e32 v1, 7, v1
	v_cmp_eq_u16_e32 vcc, 0, v8
	v_cndmask_b32_e32 v1, v4, v1, vcc
	v_cndmask_b32_e32 v4, v9, v10, vcc
	v_mov_b32_e32 v8, 0x3b800000
	v_lshlrev_b32_e32 v1, 20, v1
	v_lshl_add_u32 v4, v4, 23, v8
	v_or3_b32 v4, v5, v4, v1
.LBB18_1984:
	s_or_b64 exec, exec, s[6:7]
	s_nop 0
	v_mfma_f32_16x16x4f32 a[0:3], v0, v4, a[0:3]
	s_movk_i32 s4, 0x7f
	v_cmp_gt_i16_sdwa s[6:7], v6, s4 src0_sel:BYTE_0 src1_sel:DWORD
	s_mov_b64 s[4:5], 0
                                        ; implicit-def: $sgpr10
	s_and_saveexec_b64 s[8:9], s[6:7]
	s_xor_b64 s[6:7], exec, s[8:9]
	s_cbranch_execnz .LBB18_4033
; %bb.1985:
	s_or_saveexec_b64 s[6:7], s[6:7]
	v_mov_b32_e32 v0, s10
	s_xor_b64 exec, exec, s[6:7]
	s_cbranch_execnz .LBB18_4036
.LBB18_1986:
	s_or_b64 exec, exec, s[6:7]
	s_and_saveexec_b64 s[6:7], s[4:5]
	s_cbranch_execz .LBB18_1988
.LBB18_1987:
	v_and_b32_e32 v0, 7, v6
	v_ffbh_u32_e32 v4, v0
	v_min_u32_e32 v4, 32, v4
	v_lshrrev_b16_e32 v1, 3, v6
	v_subrev_u32_e32 v5, 28, v4
	v_and_b32_e32 v1, 15, v1
	v_lshlrev_b32_e32 v5, v5, v6
	v_sub_u32_e32 v4, 29, v4
	v_and_b32_e32 v5, 7, v5
	v_cmp_eq_u16_e32 vcc, 0, v1
	v_cndmask_b32_e32 v0, v0, v5, vcc
	v_cndmask_b32_e32 v1, v1, v4, vcc
	v_lshlrev_b32_e32 v4, 24, v6
	v_mov_b32_e32 v5, 0x3b800000
	v_lshlrev_b32_e32 v0, 20, v0
	v_and_b32_e32 v4, 0x80000000, v4
	v_lshl_add_u32 v1, v1, 23, v5
	v_or3_b32 v0, v4, v1, v0
.LBB18_1988:
	s_or_b64 exec, exec, s[6:7]
	s_movk_i32 s4, 0x7f
	v_cmp_gt_i16_sdwa s[6:7], v2, s4 src0_sel:BYTE_0 src1_sel:DWORD
	s_mov_b64 s[4:5], 0
                                        ; implicit-def: $sgpr10
	s_and_saveexec_b64 s[8:9], s[6:7]
	s_xor_b64 s[6:7], exec, s[8:9]
	s_cbranch_execnz .LBB18_4037
; %bb.1989:
	s_or_saveexec_b64 s[6:7], s[6:7]
	v_mov_b32_e32 v1, s10
	s_xor_b64 exec, exec, s[6:7]
	s_cbranch_execnz .LBB18_4040
.LBB18_1990:
	s_or_b64 exec, exec, s[6:7]
	s_and_saveexec_b64 s[6:7], s[4:5]
	s_cbranch_execz .LBB18_1992
.LBB18_1991:
	v_and_b32_e32 v1, 7, v2
	v_ffbh_u32_e32 v5, v1
	v_min_u32_e32 v5, 32, v5
	v_lshrrev_b16_e32 v4, 3, v2
	v_subrev_u32_e32 v8, 28, v5
	v_and_b32_e32 v4, 15, v4
	v_lshlrev_b32_e32 v8, v8, v2
	v_sub_u32_e32 v5, 29, v5
	v_and_b32_e32 v8, 7, v8
	v_cmp_eq_u16_e32 vcc, 0, v4
	v_cndmask_b32_e32 v1, v1, v8, vcc
	v_cndmask_b32_e32 v4, v4, v5, vcc
	v_lshlrev_b32_e32 v5, 24, v2
	v_mov_b32_e32 v8, 0x3b800000
	v_lshlrev_b32_e32 v1, 20, v1
	v_and_b32_e32 v5, 0x80000000, v5
	v_lshl_add_u32 v4, v4, 23, v8
	v_or3_b32 v1, v5, v4, v1
.LBB18_1992:
	s_or_b64 exec, exec, s[6:7]
	s_nop 0
	v_mfma_f32_16x16x4f32 a[0:3], v0, v1, a[0:3]
	v_lshrrev_b32_e32 v1, 8, v6
	s_movk_i32 s4, 0x7f
	v_cmp_gt_i16_sdwa s[6:7], v1, s4 src0_sel:BYTE_0 src1_sel:DWORD
	s_mov_b64 s[4:5], 0
                                        ; implicit-def: $sgpr10
	s_and_saveexec_b64 s[8:9], s[6:7]
	s_xor_b64 s[6:7], exec, s[8:9]
	s_cbranch_execnz .LBB18_4041
; %bb.1993:
	s_or_saveexec_b64 s[6:7], s[6:7]
	v_mov_b32_e32 v0, s10
	s_xor_b64 exec, exec, s[6:7]
	s_cbranch_execnz .LBB18_4044
.LBB18_1994:
	s_or_b64 exec, exec, s[6:7]
	s_and_saveexec_b64 s[6:7], s[4:5]
	s_cbranch_execz .LBB18_1996
.LBB18_1995:
	v_bfe_u32 v0, v6, 8, 3
	v_ffbh_u32_e32 v5, v0
	v_min_u32_e32 v5, 32, v5
	v_lshrrev_b16_e32 v4, 3, v1
	v_subrev_u32_e32 v8, 28, v5
	v_and_b32_e32 v4, 15, v4
	v_lshlrev_b32_e32 v1, v8, v1
	v_sub_u32_e32 v5, 29, v5
	v_and_b32_e32 v1, 7, v1
	v_cmp_eq_u16_e32 vcc, 0, v4
	v_cndmask_b32_e32 v0, v0, v1, vcc
	v_cndmask_b32_e32 v1, v4, v5, vcc
	v_lshlrev_b32_e32 v4, 16, v6
	v_mov_b32_e32 v5, 0x3b800000
	v_lshlrev_b32_e32 v0, 20, v0
	v_and_b32_e32 v4, 0x80000000, v4
	v_lshl_add_u32 v1, v1, 23, v5
	v_or3_b32 v0, v4, v1, v0
.LBB18_1996:
	s_or_b64 exec, exec, s[6:7]
	v_lshrrev_b32_e32 v1, 8, v2
	s_movk_i32 s4, 0x7f
	v_cmp_gt_i16_sdwa s[6:7], v1, s4 src0_sel:BYTE_0 src1_sel:DWORD
	s_mov_b64 s[4:5], 0
                                        ; implicit-def: $sgpr10
	s_and_saveexec_b64 s[8:9], s[6:7]
	s_xor_b64 s[6:7], exec, s[8:9]
	s_cbranch_execnz .LBB18_4045
; %bb.1997:
	s_or_saveexec_b64 s[6:7], s[6:7]
	v_mov_b32_e32 v4, s10
	s_xor_b64 exec, exec, s[6:7]
	s_cbranch_execnz .LBB18_4048
.LBB18_1998:
	s_or_b64 exec, exec, s[6:7]
	s_and_saveexec_b64 s[6:7], s[4:5]
	s_cbranch_execz .LBB18_2000
.LBB18_1999:
	v_bfe_u32 v4, v2, 8, 3
	v_ffbh_u32_e32 v8, v4
	v_min_u32_e32 v8, 32, v8
	v_lshrrev_b16_e32 v5, 3, v1
	v_subrev_u32_e32 v9, 28, v8
	v_and_b32_e32 v5, 15, v5
	v_lshlrev_b32_e32 v1, v9, v1
	v_sub_u32_e32 v8, 29, v8
	v_and_b32_e32 v1, 7, v1
	v_cmp_eq_u16_e32 vcc, 0, v5
	v_cndmask_b32_e32 v1, v4, v1, vcc
	v_cndmask_b32_e32 v4, v5, v8, vcc
	v_lshlrev_b32_e32 v5, 16, v2
	v_mov_b32_e32 v8, 0x3b800000
	v_lshlrev_b32_e32 v1, 20, v1
	v_and_b32_e32 v5, 0x80000000, v5
	v_lshl_add_u32 v4, v4, 23, v8
	v_or3_b32 v4, v5, v4, v1
.LBB18_2000:
	s_or_b64 exec, exec, s[6:7]
	s_nop 0
	v_mfma_f32_16x16x4f32 a[0:3], v0, v4, a[0:3]
	s_movk_i32 s4, 0xff
	v_and_b32_sdwa v1, v6, s4 dst_sel:DWORD dst_unused:UNUSED_PAD src0_sel:WORD_1 src1_sel:DWORD
	s_movk_i32 s4, 0x7f
	v_cmp_lt_i16_e32 vcc, s4, v1
	s_mov_b64 s[4:5], 0
                                        ; implicit-def: $sgpr10
	s_and_saveexec_b64 s[6:7], vcc
	s_xor_b64 s[6:7], exec, s[6:7]
	s_cbranch_execnz .LBB18_4049
; %bb.2001:
	s_or_saveexec_b64 s[6:7], s[6:7]
	v_mov_b32_e32 v0, s10
	s_xor_b64 exec, exec, s[6:7]
	s_cbranch_execnz .LBB18_4052
.LBB18_2002:
	s_or_b64 exec, exec, s[6:7]
	s_and_saveexec_b64 s[6:7], s[4:5]
	s_cbranch_execz .LBB18_2004
.LBB18_2003:
	v_bfe_u32 v0, v6, 16, 3
	v_ffbh_u32_e32 v5, v0
	v_min_u32_e32 v5, 32, v5
	v_lshrrev_b32_e32 v1, 19, v6
	v_subrev_u32_e32 v8, 28, v5
	v_and_b32_e32 v1, 15, v1
	v_lshlrev_b32_sdwa v8, v8, v6 dst_sel:DWORD dst_unused:UNUSED_PAD src0_sel:DWORD src1_sel:WORD_1
	v_bfe_u32 v4, v6, 19, 4
	v_sub_u32_e32 v5, 29, v5
	v_and_b32_e32 v8, 7, v8
	v_cmp_eq_u16_e32 vcc, 0, v1
	v_cndmask_b32_e32 v0, v0, v8, vcc
	v_cndmask_b32_e32 v1, v4, v5, vcc
	v_lshlrev_b32_e32 v4, 8, v6
	v_mov_b32_e32 v5, 0x3b800000
	v_lshlrev_b32_e32 v0, 20, v0
	v_and_b32_e32 v4, 0x80000000, v4
	v_lshl_add_u32 v1, v1, 23, v5
	v_or3_b32 v0, v4, v1, v0
.LBB18_2004:
	s_or_b64 exec, exec, s[6:7]
	s_movk_i32 s4, 0xff
	v_and_b32_sdwa v1, v2, s4 dst_sel:DWORD dst_unused:UNUSED_PAD src0_sel:WORD_1 src1_sel:DWORD
	s_movk_i32 s4, 0x7f
	v_cmp_lt_i16_e32 vcc, s4, v1
	s_mov_b64 s[4:5], 0
                                        ; implicit-def: $sgpr10
	s_and_saveexec_b64 s[6:7], vcc
	s_xor_b64 s[6:7], exec, s[6:7]
	s_cbranch_execnz .LBB18_4053
; %bb.2005:
	s_or_saveexec_b64 s[6:7], s[6:7]
	v_mov_b32_e32 v4, s10
	s_xor_b64 exec, exec, s[6:7]
	s_cbranch_execnz .LBB18_4056
.LBB18_2006:
	s_or_b64 exec, exec, s[6:7]
	s_and_saveexec_b64 s[6:7], s[4:5]
	s_cbranch_execz .LBB18_2008
.LBB18_2007:
	v_bfe_u32 v1, v2, 16, 3
	v_ffbh_u32_e32 v8, v1
	v_min_u32_e32 v8, 32, v8
	v_lshrrev_b32_e32 v4, 19, v2
	v_subrev_u32_e32 v9, 28, v8
	v_and_b32_e32 v4, 15, v4
	v_lshlrev_b32_sdwa v9, v9, v2 dst_sel:DWORD dst_unused:UNUSED_PAD src0_sel:DWORD src1_sel:WORD_1
	v_bfe_u32 v5, v2, 19, 4
	v_sub_u32_e32 v8, 29, v8
	v_and_b32_e32 v9, 7, v9
	v_cmp_eq_u16_e32 vcc, 0, v4
	v_cndmask_b32_e32 v1, v1, v9, vcc
	v_cndmask_b32_e32 v4, v5, v8, vcc
	v_lshlrev_b32_e32 v5, 8, v2
	v_mov_b32_e32 v8, 0x3b800000
	v_lshlrev_b32_e32 v1, 20, v1
	v_and_b32_e32 v5, 0x80000000, v5
	v_lshl_add_u32 v4, v4, 23, v8
	v_or3_b32 v4, v5, v4, v1
.LBB18_2008:
	s_or_b64 exec, exec, s[6:7]
	s_nop 0
	v_mfma_f32_16x16x4f32 a[0:3], v0, v4, a[0:3]
	s_movk_i32 s4, 0x7f
	v_cmp_gt_i16_sdwa s[6:7], v6, s4 src0_sel:BYTE_3 src1_sel:DWORD
	s_mov_b64 s[4:5], 0
                                        ; implicit-def: $sgpr10
	s_and_saveexec_b64 s[8:9], s[6:7]
	s_xor_b64 s[6:7], exec, s[8:9]
	s_cbranch_execnz .LBB18_4057
; %bb.2009:
	s_or_saveexec_b64 s[6:7], s[6:7]
	v_mov_b32_e32 v0, s10
	s_xor_b64 exec, exec, s[6:7]
	s_cbranch_execnz .LBB18_4060
.LBB18_2010:
	s_or_b64 exec, exec, s[6:7]
	s_and_saveexec_b64 s[6:7], s[4:5]
	s_cbranch_execz .LBB18_2012
.LBB18_2011:
	v_bfe_u32 v0, v6, 24, 3
	v_ffbh_u32_e32 v8, v0
	v_min_u32_e32 v8, 32, v8
	v_lshrrev_b32_e32 v4, 27, v6
	v_subrev_u32_e32 v9, 28, v8
	v_and_b32_e32 v1, 0x80000000, v6
	v_and_b32_e32 v4, 15, v4
	v_bfe_u32 v5, v6, 27, 4
	v_lshlrev_b32_sdwa v6, v9, v6 dst_sel:DWORD dst_unused:UNUSED_PAD src0_sel:DWORD src1_sel:BYTE_3
	v_sub_u32_e32 v8, 29, v8
	v_and_b32_e32 v6, 7, v6
	v_cmp_eq_u16_e32 vcc, 0, v4
	v_cndmask_b32_e32 v0, v0, v6, vcc
	v_cndmask_b32_e32 v4, v5, v8, vcc
	v_mov_b32_e32 v5, 0x3b800000
	v_lshlrev_b32_e32 v0, 20, v0
	v_lshl_add_u32 v4, v4, 23, v5
	v_or3_b32 v0, v1, v4, v0
.LBB18_2012:
	s_or_b64 exec, exec, s[6:7]
	s_movk_i32 s4, 0x7f
	v_cmp_gt_i16_sdwa s[6:7], v2, s4 src0_sel:BYTE_3 src1_sel:DWORD
	s_mov_b64 s[4:5], 0
                                        ; implicit-def: $sgpr10
	s_and_saveexec_b64 s[8:9], s[6:7]
	s_xor_b64 s[6:7], exec, s[8:9]
	s_cbranch_execnz .LBB18_4061
; %bb.2013:
	s_or_saveexec_b64 s[6:7], s[6:7]
	v_mov_b32_e32 v1, s10
	s_xor_b64 exec, exec, s[6:7]
	s_cbranch_execnz .LBB18_4064
.LBB18_2014:
	s_or_b64 exec, exec, s[6:7]
	s_and_saveexec_b64 s[6:7], s[4:5]
	s_cbranch_execz .LBB18_2016
.LBB18_2015:
	v_bfe_u32 v1, v2, 24, 3
	v_ffbh_u32_e32 v8, v1
	v_min_u32_e32 v8, 32, v8
	v_lshrrev_b32_e32 v5, 27, v2
	v_subrev_u32_e32 v9, 28, v8
	v_and_b32_e32 v4, 0x80000000, v2
	v_and_b32_e32 v5, 15, v5
	v_bfe_u32 v6, v2, 27, 4
	v_lshlrev_b32_sdwa v2, v9, v2 dst_sel:DWORD dst_unused:UNUSED_PAD src0_sel:DWORD src1_sel:BYTE_3
	v_sub_u32_e32 v8, 29, v8
	v_and_b32_e32 v2, 7, v2
	v_cmp_eq_u16_e32 vcc, 0, v5
	v_cndmask_b32_e32 v1, v1, v2, vcc
	v_cndmask_b32_e32 v2, v6, v8, vcc
	v_mov_b32_e32 v5, 0x3b800000
	v_lshlrev_b32_e32 v1, 20, v1
	v_lshl_add_u32 v2, v2, 23, v5
	v_or3_b32 v1, v4, v2, v1
.LBB18_2016:
	s_or_b64 exec, exec, s[6:7]
	s_nop 0
	v_mfma_f32_16x16x4f32 a[0:3], v0, v1, a[0:3]
	s_movk_i32 s4, 0x7f
	v_cmp_gt_i16_sdwa s[6:7], v7, s4 src0_sel:BYTE_0 src1_sel:DWORD
	s_mov_b64 s[4:5], 0
                                        ; implicit-def: $sgpr10
	s_and_saveexec_b64 s[8:9], s[6:7]
	s_xor_b64 s[6:7], exec, s[8:9]
	s_cbranch_execnz .LBB18_4065
; %bb.2017:
	s_or_saveexec_b64 s[6:7], s[6:7]
	v_mov_b32_e32 v0, s10
	s_xor_b64 exec, exec, s[6:7]
	s_cbranch_execnz .LBB18_4068
.LBB18_2018:
	s_or_b64 exec, exec, s[6:7]
	s_and_saveexec_b64 s[6:7], s[4:5]
	s_cbranch_execz .LBB18_2020
.LBB18_2019:
	v_mov_b32_e32 v0, 8
	v_and_b32_e32 v1, 7, v7
	v_lshrrev_b32_sdwa v0, v0, v7 dst_sel:BYTE_1 dst_unused:UNUSED_PAD src0_sel:DWORD src1_sel:DWORD
	v_ffbh_u32_e32 v2, v1
	v_or_b32_sdwa v0, v7, v0 dst_sel:DWORD dst_unused:UNUSED_PAD src0_sel:BYTE_0 src1_sel:DWORD
	v_min_u32_e32 v2, 32, v2
	v_lshrrev_b16_e32 v0, 3, v0
	v_subrev_u32_e32 v4, 28, v2
	v_and_b32_e32 v0, 15, v0
	v_lshlrev_b32_e32 v4, v4, v7
	v_sub_u32_e32 v2, 29, v2
	v_and_b32_e32 v4, 7, v4
	v_cmp_eq_u16_e32 vcc, 0, v0
	v_cndmask_b32_e32 v1, v1, v4, vcc
	v_cndmask_b32_e32 v0, v0, v2, vcc
	v_lshlrev_b32_e32 v2, 24, v7
	v_mov_b32_e32 v4, 0x3b800000
	v_lshlrev_b32_e32 v1, 20, v1
	v_and_b32_e32 v2, 0x80000000, v2
	v_lshl_add_u32 v0, v0, 23, v4
	v_or3_b32 v0, v2, v0, v1
.LBB18_2020:
	s_or_b64 exec, exec, s[6:7]
	s_movk_i32 s4, 0x7f
	v_cmp_gt_i16_sdwa s[6:7], v3, s4 src0_sel:BYTE_0 src1_sel:DWORD
	s_mov_b64 s[4:5], 0
                                        ; implicit-def: $sgpr10
	s_and_saveexec_b64 s[8:9], s[6:7]
	s_xor_b64 s[6:7], exec, s[8:9]
	s_cbranch_execnz .LBB18_4069
; %bb.2021:
	s_or_saveexec_b64 s[6:7], s[6:7]
	v_mov_b32_e32 v1, s10
	s_xor_b64 exec, exec, s[6:7]
	s_cbranch_execnz .LBB18_4072
.LBB18_2022:
	s_or_b64 exec, exec, s[6:7]
	s_and_saveexec_b64 s[6:7], s[4:5]
	s_cbranch_execz .LBB18_2024
.LBB18_2023:
	v_mov_b32_e32 v1, 8
	v_and_b32_e32 v2, 7, v3
	v_lshrrev_b32_sdwa v1, v1, v3 dst_sel:BYTE_1 dst_unused:UNUSED_PAD src0_sel:DWORD src1_sel:DWORD
	v_ffbh_u32_e32 v4, v2
	v_or_b32_sdwa v1, v3, v1 dst_sel:DWORD dst_unused:UNUSED_PAD src0_sel:BYTE_0 src1_sel:DWORD
	v_min_u32_e32 v4, 32, v4
	v_lshrrev_b16_e32 v1, 3, v1
	v_subrev_u32_e32 v5, 28, v4
	v_and_b32_e32 v1, 15, v1
	v_lshlrev_b32_e32 v5, v5, v3
	v_sub_u32_e32 v4, 29, v4
	v_and_b32_e32 v5, 7, v5
	v_cmp_eq_u16_e32 vcc, 0, v1
	v_cndmask_b32_e32 v2, v2, v5, vcc
	v_cndmask_b32_e32 v1, v1, v4, vcc
	v_lshlrev_b32_e32 v4, 24, v3
	v_mov_b32_e32 v5, 0x3b800000
	v_lshlrev_b32_e32 v2, 20, v2
	v_and_b32_e32 v4, 0x80000000, v4
	v_lshl_add_u32 v1, v1, 23, v5
	v_or3_b32 v1, v4, v1, v2
.LBB18_2024:
	s_or_b64 exec, exec, s[6:7]
	s_nop 0
	v_mfma_f32_16x16x4f32 a[0:3], v0, v1, a[0:3]
	v_lshrrev_b32_e32 v1, 8, v7
	s_movk_i32 s4, 0x7f
	v_cmp_gt_i16_sdwa s[6:7], v1, s4 src0_sel:BYTE_0 src1_sel:DWORD
	s_mov_b64 s[4:5], 0
                                        ; implicit-def: $sgpr10
	s_and_saveexec_b64 s[8:9], s[6:7]
	s_xor_b64 s[6:7], exec, s[8:9]
	s_cbranch_execnz .LBB18_4073
; %bb.2025:
	s_or_saveexec_b64 s[6:7], s[6:7]
	v_mov_b32_e32 v0, s10
	s_xor_b64 exec, exec, s[6:7]
	s_cbranch_execnz .LBB18_4076
.LBB18_2026:
	s_or_b64 exec, exec, s[6:7]
	s_and_saveexec_b64 s[6:7], s[4:5]
	s_cbranch_execz .LBB18_2028
.LBB18_2027:
	v_bfe_u32 v0, v7, 8, 3
	v_ffbh_u32_e32 v4, v0
	v_min_u32_e32 v4, 32, v4
	v_lshrrev_b16_e32 v2, 3, v1
	v_subrev_u32_e32 v5, 28, v4
	v_and_b32_e32 v2, 15, v2
	v_lshlrev_b32_e32 v1, v5, v1
	v_sub_u32_e32 v4, 29, v4
	v_and_b32_e32 v1, 7, v1
	v_cmp_eq_u16_e32 vcc, 0, v2
	v_cndmask_b32_e32 v0, v0, v1, vcc
	v_cndmask_b32_e32 v1, v2, v4, vcc
	v_lshlrev_b32_e32 v2, 16, v7
	v_mov_b32_e32 v4, 0x3b800000
	v_lshlrev_b32_e32 v0, 20, v0
	v_and_b32_e32 v2, 0x80000000, v2
	v_lshl_add_u32 v1, v1, 23, v4
	v_or3_b32 v0, v2, v1, v0
.LBB18_2028:
	s_or_b64 exec, exec, s[6:7]
	v_lshrrev_b32_e32 v1, 8, v3
	s_movk_i32 s4, 0x7f
	v_cmp_gt_i16_sdwa s[6:7], v1, s4 src0_sel:BYTE_0 src1_sel:DWORD
	s_mov_b64 s[4:5], 0
                                        ; implicit-def: $sgpr10
	s_and_saveexec_b64 s[8:9], s[6:7]
	s_xor_b64 s[6:7], exec, s[8:9]
	s_cbranch_execnz .LBB18_4077
; %bb.2029:
	s_or_saveexec_b64 s[6:7], s[6:7]
	v_mov_b32_e32 v2, s10
	s_xor_b64 exec, exec, s[6:7]
	s_cbranch_execnz .LBB18_4080
.LBB18_2030:
	s_or_b64 exec, exec, s[6:7]
	s_and_saveexec_b64 s[6:7], s[4:5]
	s_cbranch_execz .LBB18_2032
.LBB18_2031:
	v_bfe_u32 v2, v3, 8, 3
	v_ffbh_u32_e32 v5, v2
	v_min_u32_e32 v5, 32, v5
	v_lshrrev_b16_e32 v4, 3, v1
	v_subrev_u32_e32 v6, 28, v5
	v_and_b32_e32 v4, 15, v4
	v_lshlrev_b32_e32 v1, v6, v1
	v_sub_u32_e32 v5, 29, v5
	v_and_b32_e32 v1, 7, v1
	v_cmp_eq_u16_e32 vcc, 0, v4
	v_cndmask_b32_e32 v1, v2, v1, vcc
	v_cndmask_b32_e32 v2, v4, v5, vcc
	v_lshlrev_b32_e32 v4, 16, v3
	v_mov_b32_e32 v5, 0x3b800000
	v_lshlrev_b32_e32 v1, 20, v1
	v_and_b32_e32 v4, 0x80000000, v4
	v_lshl_add_u32 v2, v2, 23, v5
	v_or3_b32 v2, v4, v2, v1
.LBB18_2032:
	s_or_b64 exec, exec, s[6:7]
	s_nop 0
	v_mfma_f32_16x16x4f32 a[0:3], v0, v2, a[0:3]
	s_movk_i32 s4, 0xff
	v_and_b32_sdwa v1, v7, s4 dst_sel:DWORD dst_unused:UNUSED_PAD src0_sel:WORD_1 src1_sel:DWORD
	s_movk_i32 s4, 0x7f
	v_cmp_lt_i16_e32 vcc, s4, v1
	s_mov_b64 s[4:5], 0
                                        ; implicit-def: $sgpr10
	s_and_saveexec_b64 s[6:7], vcc
	s_xor_b64 s[6:7], exec, s[6:7]
	s_cbranch_execnz .LBB18_4081
; %bb.2033:
	s_or_saveexec_b64 s[6:7], s[6:7]
	v_mov_b32_e32 v0, s10
	s_xor_b64 exec, exec, s[6:7]
	s_cbranch_execnz .LBB18_4084
.LBB18_2034:
	s_or_b64 exec, exec, s[6:7]
	s_and_saveexec_b64 s[6:7], s[4:5]
	s_cbranch_execz .LBB18_2036
.LBB18_2035:
	v_bfe_u32 v0, v7, 16, 3
	v_ffbh_u32_e32 v4, v0
	v_min_u32_e32 v4, 32, v4
	v_lshrrev_b32_e32 v1, 19, v7
	v_subrev_u32_e32 v5, 28, v4
	v_and_b32_e32 v1, 15, v1
	v_lshlrev_b32_sdwa v5, v5, v7 dst_sel:DWORD dst_unused:UNUSED_PAD src0_sel:DWORD src1_sel:WORD_1
	v_bfe_u32 v2, v7, 19, 4
	v_sub_u32_e32 v4, 29, v4
	v_and_b32_e32 v5, 7, v5
	v_cmp_eq_u16_e32 vcc, 0, v1
	v_cndmask_b32_e32 v0, v0, v5, vcc
	v_cndmask_b32_e32 v1, v2, v4, vcc
	v_lshlrev_b32_e32 v2, 8, v7
	v_mov_b32_e32 v4, 0x3b800000
	v_lshlrev_b32_e32 v0, 20, v0
	v_and_b32_e32 v2, 0x80000000, v2
	v_lshl_add_u32 v1, v1, 23, v4
	v_or3_b32 v0, v2, v1, v0
.LBB18_2036:
	s_or_b64 exec, exec, s[6:7]
	s_movk_i32 s4, 0xff
	v_and_b32_sdwa v1, v3, s4 dst_sel:DWORD dst_unused:UNUSED_PAD src0_sel:WORD_1 src1_sel:DWORD
	s_movk_i32 s4, 0x7f
	v_cmp_lt_i16_e32 vcc, s4, v1
	s_mov_b64 s[4:5], 0
                                        ; implicit-def: $sgpr10
	s_and_saveexec_b64 s[6:7], vcc
	s_xor_b64 s[6:7], exec, s[6:7]
	s_cbranch_execnz .LBB18_4085
; %bb.2037:
	s_or_saveexec_b64 s[6:7], s[6:7]
	v_mov_b32_e32 v2, s10
	s_xor_b64 exec, exec, s[6:7]
	s_cbranch_execnz .LBB18_4088
.LBB18_2038:
	s_or_b64 exec, exec, s[6:7]
	s_and_saveexec_b64 s[6:7], s[4:5]
	s_cbranch_execz .LBB18_2040
.LBB18_2039:
	v_bfe_u32 v1, v3, 16, 3
	v_ffbh_u32_e32 v5, v1
	v_min_u32_e32 v5, 32, v5
	v_lshrrev_b32_e32 v2, 19, v3
	v_subrev_u32_e32 v6, 28, v5
	v_and_b32_e32 v2, 15, v2
	v_lshlrev_b32_sdwa v6, v6, v3 dst_sel:DWORD dst_unused:UNUSED_PAD src0_sel:DWORD src1_sel:WORD_1
	v_bfe_u32 v4, v3, 19, 4
	v_sub_u32_e32 v5, 29, v5
	v_and_b32_e32 v6, 7, v6
	v_cmp_eq_u16_e32 vcc, 0, v2
	v_cndmask_b32_e32 v1, v1, v6, vcc
	v_cndmask_b32_e32 v2, v4, v5, vcc
	v_lshlrev_b32_e32 v4, 8, v3
	v_mov_b32_e32 v5, 0x3b800000
	v_lshlrev_b32_e32 v1, 20, v1
	v_and_b32_e32 v4, 0x80000000, v4
	v_lshl_add_u32 v2, v2, 23, v5
	v_or3_b32 v2, v4, v2, v1
.LBB18_2040:
	s_or_b64 exec, exec, s[6:7]
	s_nop 0
	v_mfma_f32_16x16x4f32 a[0:3], v0, v2, a[0:3]
	s_movk_i32 s4, 0x7f
	v_cmp_gt_i16_sdwa s[6:7], v7, s4 src0_sel:BYTE_3 src1_sel:DWORD
	s_mov_b64 s[4:5], 0
                                        ; implicit-def: $sgpr10
	s_and_saveexec_b64 s[8:9], s[6:7]
	s_xor_b64 s[6:7], exec, s[8:9]
	s_cbranch_execnz .LBB18_4089
; %bb.2041:
	s_or_saveexec_b64 s[6:7], s[6:7]
	v_mov_b32_e32 v0, s10
	s_xor_b64 exec, exec, s[6:7]
	s_cbranch_execnz .LBB18_4092
.LBB18_2042:
	s_or_b64 exec, exec, s[6:7]
	s_and_saveexec_b64 s[6:7], s[4:5]
	s_cbranch_execz .LBB18_2044
.LBB18_2043:
	v_bfe_u32 v0, v7, 24, 3
	v_ffbh_u32_e32 v5, v0
	v_min_u32_e32 v5, 32, v5
	v_lshrrev_b32_e32 v2, 27, v7
	v_subrev_u32_e32 v6, 28, v5
	v_and_b32_e32 v2, 15, v2
	v_lshlrev_b32_sdwa v6, v6, v7 dst_sel:DWORD dst_unused:UNUSED_PAD src0_sel:DWORD src1_sel:BYTE_3
	v_bfe_u32 v4, v7, 27, 4
	v_sub_u32_e32 v5, 29, v5
	v_and_b32_e32 v6, 7, v6
	v_cmp_eq_u16_e32 vcc, 0, v2
	v_cndmask_b32_e32 v0, v0, v6, vcc
	v_cndmask_b32_e32 v2, v4, v5, vcc
	v_mov_b32_e32 v4, 0x3b800000
	v_and_b32_e32 v1, 0x80000000, v7
	v_lshlrev_b32_e32 v0, 20, v0
	v_lshl_add_u32 v2, v2, 23, v4
	v_or3_b32 v0, v1, v2, v0
.LBB18_2044:
	s_or_b64 exec, exec, s[6:7]
	s_movk_i32 s4, 0x7f
	v_cmp_gt_i16_sdwa s[6:7], v3, s4 src0_sel:BYTE_3 src1_sel:DWORD
	s_mov_b64 s[4:5], 0
                                        ; implicit-def: $sgpr10
	s_and_saveexec_b64 s[8:9], s[6:7]
	s_xor_b64 s[6:7], exec, s[8:9]
	s_cbranch_execnz .LBB18_4093
; %bb.2045:
	s_or_saveexec_b64 s[6:7], s[6:7]
	v_mov_b32_e32 v1, s10
	s_xor_b64 exec, exec, s[6:7]
	s_cbranch_execnz .LBB18_4096
.LBB18_2046:
	s_or_b64 exec, exec, s[6:7]
	s_and_saveexec_b64 s[6:7], s[4:5]
	s_cbranch_execz .LBB18_2048
.LBB18_2047:
	v_bfe_u32 v1, v3, 24, 3
	v_ffbh_u32_e32 v6, v1
	v_min_u32_e32 v6, 32, v6
	v_lshrrev_b32_e32 v4, 27, v3
	v_subrev_u32_e32 v7, 28, v6
	v_and_b32_e32 v2, 0x80000000, v3
	v_and_b32_e32 v4, 15, v4
	v_bfe_u32 v5, v3, 27, 4
	v_lshlrev_b32_sdwa v3, v7, v3 dst_sel:DWORD dst_unused:UNUSED_PAD src0_sel:DWORD src1_sel:BYTE_3
	v_sub_u32_e32 v6, 29, v6
	v_and_b32_e32 v3, 7, v3
	v_cmp_eq_u16_e32 vcc, 0, v4
	v_cndmask_b32_e32 v1, v1, v3, vcc
	v_cndmask_b32_e32 v3, v5, v6, vcc
	v_mov_b32_e32 v4, 0x3b800000
	v_lshlrev_b32_e32 v1, 20, v1
	v_lshl_add_u32 v3, v3, 23, v4
	v_or3_b32 v1, v2, v3, v1
.LBB18_2048:
	s_or_b64 exec, exec, s[6:7]
	s_nop 0
	v_mfma_f32_16x16x4f32 a[0:3], v0, v1, a[0:3]
	s_nop 7
	s_nop 2
	flat_store_dwordx4 v[16:17], a[0:3] offset:112
	s_waitcnt vmcnt(0) lgkmcnt(0)
	s_setpc_b64 s[30:31]
.LBB18_2049:
	s_movk_i32 s4, 0x80
	v_cmp_eq_u16_sdwa s[12:13], v14, s4 src0_sel:BYTE_0 src1_sel:DWORD
	s_mov_b64 s[4:5], -1
                                        ; implicit-def: $sgpr10
	s_and_saveexec_b64 s[8:9], s[12:13]
; %bb.2050:
	s_mov_b32 s10, 0x7f800001
	s_xor_b64 s[4:5], exec, -1
; %bb.2051:
	s_or_b64 exec, exec, s[8:9]
	s_and_b64 s[4:5], s[4:5], exec
	s_or_saveexec_b64 s[6:7], s[6:7]
	v_mov_b32_e32 v20, s10
	s_xor_b64 exec, exec, s[6:7]
	s_cbranch_execz .LBB18_2
.LBB18_2052:
	v_mov_b32_e32 v20, 0
	v_cmp_ne_u16_sdwa s[8:9], v14, v20 src0_sel:BYTE_0 src1_sel:DWORD
	s_andn2_b64 s[4:5], s[4:5], exec
	s_and_b64 s[8:9], s[8:9], exec
	s_or_b64 s[4:5], s[4:5], s[8:9]
	s_or_b64 exec, exec, s[6:7]
	s_and_saveexec_b64 s[6:7], s[4:5]
	s_cbranch_execnz .LBB18_3
	s_branch .LBB18_4
.LBB18_2053:
	s_movk_i32 s4, 0x80
	v_cmp_eq_u16_sdwa s[12:13], v10, s4 src0_sel:BYTE_0 src1_sel:DWORD
	s_mov_b64 s[4:5], -1
                                        ; implicit-def: $sgpr10
	s_and_saveexec_b64 s[8:9], s[12:13]
; %bb.2054:
	s_mov_b32 s10, 0x7f800001
	s_xor_b64 s[4:5], exec, -1
; %bb.2055:
	s_or_b64 exec, exec, s[8:9]
	s_and_b64 s[4:5], s[4:5], exec
	s_or_saveexec_b64 s[6:7], s[6:7]
	v_mov_b32_e32 v21, s10
	s_xor_b64 exec, exec, s[6:7]
	s_cbranch_execz .LBB18_6
.LBB18_2056:
	v_mov_b32_e32 v21, 0
	v_cmp_ne_u16_sdwa s[8:9], v10, v21 src0_sel:BYTE_0 src1_sel:DWORD
	s_andn2_b64 s[4:5], s[4:5], exec
	s_and_b64 s[8:9], s[8:9], exec
	s_or_b64 s[4:5], s[4:5], s[8:9]
	s_or_b64 exec, exec, s[6:7]
	s_and_saveexec_b64 s[6:7], s[4:5]
	s_cbranch_execnz .LBB18_7
	s_branch .LBB18_8
.LBB18_2057:
	s_movk_i32 s4, 0x80
	v_cmp_eq_u16_sdwa s[12:13], v21, s4 src0_sel:BYTE_0 src1_sel:DWORD
	s_mov_b64 s[4:5], -1
                                        ; implicit-def: $sgpr10
	s_and_saveexec_b64 s[8:9], s[12:13]
; %bb.2058:
	s_mov_b32 s10, 0x7f800001
	s_xor_b64 s[4:5], exec, -1
; %bb.2059:
	s_or_b64 exec, exec, s[8:9]
	s_and_b64 s[4:5], s[4:5], exec
	s_or_saveexec_b64 s[6:7], s[6:7]
	v_mov_b32_e32 v20, s10
	s_xor_b64 exec, exec, s[6:7]
	s_cbranch_execz .LBB18_10
.LBB18_2060:
	v_mov_b32_e32 v20, 0
	v_cmp_ne_u16_sdwa s[8:9], v21, v20 src0_sel:BYTE_0 src1_sel:DWORD
	s_andn2_b64 s[4:5], s[4:5], exec
	s_and_b64 s[8:9], s[8:9], exec
	s_or_b64 s[4:5], s[4:5], s[8:9]
	s_or_b64 exec, exec, s[6:7]
	s_and_saveexec_b64 s[6:7], s[4:5]
	s_cbranch_execnz .LBB18_11
	s_branch .LBB18_12
.LBB18_2061:
	s_movk_i32 s4, 0x80
	v_cmp_eq_u16_sdwa s[12:13], v21, s4 src0_sel:BYTE_0 src1_sel:DWORD
	s_mov_b64 s[4:5], -1
                                        ; implicit-def: $sgpr10
	s_and_saveexec_b64 s[8:9], s[12:13]
; %bb.2062:
	s_mov_b32 s10, 0x7f800001
	s_xor_b64 s[4:5], exec, -1
; %bb.2063:
	s_or_b64 exec, exec, s[8:9]
	s_and_b64 s[4:5], s[4:5], exec
	s_or_saveexec_b64 s[6:7], s[6:7]
	v_mov_b32_e32 v22, s10
	s_xor_b64 exec, exec, s[6:7]
	s_cbranch_execz .LBB18_14
.LBB18_2064:
	v_mov_b32_e32 v22, 0
	v_cmp_ne_u16_sdwa s[8:9], v21, v22 src0_sel:BYTE_0 src1_sel:DWORD
	s_andn2_b64 s[4:5], s[4:5], exec
	s_and_b64 s[8:9], s[8:9], exec
	s_or_b64 s[4:5], s[4:5], s[8:9]
	s_or_b64 exec, exec, s[6:7]
	s_and_saveexec_b64 s[6:7], s[4:5]
	s_cbranch_execnz .LBB18_15
	s_branch .LBB18_16
.LBB18_2065:
	s_movk_i32 s4, 0x80
	v_cmp_eq_u16_e32 vcc, s4, v21
	s_mov_b64 s[4:5], -1
                                        ; implicit-def: $sgpr10
	s_and_saveexec_b64 s[8:9], vcc
; %bb.2066:
	s_mov_b32 s10, 0x7f800001
	s_xor_b64 s[4:5], exec, -1
; %bb.2067:
	s_or_b64 exec, exec, s[8:9]
	s_and_b64 s[4:5], s[4:5], exec
                                        ; implicit-def: $vgpr21
	s_or_saveexec_b64 s[6:7], s[6:7]
	v_mov_b32_e32 v20, s10
	s_xor_b64 exec, exec, s[6:7]
	s_cbranch_execz .LBB18_18
.LBB18_2068:
	v_cmp_ne_u16_e32 vcc, 0, v21
	s_andn2_b64 s[4:5], s[4:5], exec
	s_and_b64 s[8:9], vcc, exec
	v_mov_b32_e32 v20, 0
	s_or_b64 s[4:5], s[4:5], s[8:9]
	s_or_b64 exec, exec, s[6:7]
	s_and_saveexec_b64 s[6:7], s[4:5]
	s_cbranch_execnz .LBB18_19
	s_branch .LBB18_20
.LBB18_2069:
	s_movk_i32 s4, 0x80
	v_cmp_eq_u16_e32 vcc, s4, v21
	s_mov_b64 s[4:5], -1
                                        ; implicit-def: $sgpr10
	s_and_saveexec_b64 s[8:9], vcc
; %bb.2070:
	s_mov_b32 s10, 0x7f800001
	s_xor_b64 s[4:5], exec, -1
; %bb.2071:
	s_or_b64 exec, exec, s[8:9]
	s_and_b64 s[4:5], s[4:5], exec
                                        ; implicit-def: $vgpr21
	s_or_saveexec_b64 s[6:7], s[6:7]
	v_mov_b32_e32 v22, s10
	s_xor_b64 exec, exec, s[6:7]
	s_cbranch_execz .LBB18_22
.LBB18_2072:
	v_cmp_ne_u16_e32 vcc, 0, v21
	s_andn2_b64 s[4:5], s[4:5], exec
	s_and_b64 s[8:9], vcc, exec
	v_mov_b32_e32 v22, 0
	s_or_b64 s[4:5], s[4:5], s[8:9]
	s_or_b64 exec, exec, s[6:7]
	s_and_saveexec_b64 s[6:7], s[4:5]
	s_cbranch_execnz .LBB18_23
	s_branch .LBB18_24
.LBB18_2073:
	s_movk_i32 s4, 0x80
	v_cmp_eq_u16_sdwa s[12:13], v14, s4 src0_sel:BYTE_3 src1_sel:DWORD
	s_mov_b64 s[4:5], -1
                                        ; implicit-def: $sgpr10
	s_and_saveexec_b64 s[8:9], s[12:13]
; %bb.2074:
	s_mov_b32 s10, 0x7f800001
	s_xor_b64 s[4:5], exec, -1
; %bb.2075:
	s_or_b64 exec, exec, s[8:9]
	s_and_b64 s[4:5], s[4:5], exec
	s_or_saveexec_b64 s[6:7], s[6:7]
	v_mov_b32_e32 v20, s10
	s_xor_b64 exec, exec, s[6:7]
	s_cbranch_execz .LBB18_26
.LBB18_2076:
	v_mov_b32_e32 v20, 0
	v_cmp_ne_u16_sdwa s[8:9], v14, v20 src0_sel:BYTE_3 src1_sel:DWORD
	s_andn2_b64 s[4:5], s[4:5], exec
	s_and_b64 s[8:9], s[8:9], exec
	s_or_b64 s[4:5], s[4:5], s[8:9]
	s_or_b64 exec, exec, s[6:7]
	s_and_saveexec_b64 s[6:7], s[4:5]
	s_cbranch_execnz .LBB18_27
	s_branch .LBB18_28
.LBB18_2077:
	s_movk_i32 s4, 0x80
	v_cmp_eq_u16_sdwa s[12:13], v10, s4 src0_sel:BYTE_3 src1_sel:DWORD
	s_mov_b64 s[4:5], -1
                                        ; implicit-def: $sgpr10
	s_and_saveexec_b64 s[8:9], s[12:13]
; %bb.2078:
	s_mov_b32 s10, 0x7f800001
	s_xor_b64 s[4:5], exec, -1
; %bb.2079:
	s_or_b64 exec, exec, s[8:9]
	s_and_b64 s[4:5], s[4:5], exec
	s_or_saveexec_b64 s[6:7], s[6:7]
	v_mov_b32_e32 v14, s10
	s_xor_b64 exec, exec, s[6:7]
	s_cbranch_execz .LBB18_30
.LBB18_2080:
	v_mov_b32_e32 v14, 0
	v_cmp_ne_u16_sdwa s[8:9], v10, v14 src0_sel:BYTE_3 src1_sel:DWORD
	s_andn2_b64 s[4:5], s[4:5], exec
	s_and_b64 s[8:9], s[8:9], exec
	s_or_b64 s[4:5], s[4:5], s[8:9]
	s_or_b64 exec, exec, s[6:7]
	s_and_saveexec_b64 s[6:7], s[4:5]
	s_cbranch_execnz .LBB18_31
	s_branch .LBB18_32
.LBB18_2081:
	s_movk_i32 s4, 0x80
	v_cmp_eq_u16_sdwa s[12:13], v15, s4 src0_sel:BYTE_0 src1_sel:DWORD
	s_mov_b64 s[4:5], -1
                                        ; implicit-def: $sgpr10
	s_and_saveexec_b64 s[8:9], s[12:13]
; %bb.2082:
	s_mov_b32 s10, 0x7f800001
	s_xor_b64 s[4:5], exec, -1
; %bb.2083:
	s_or_b64 exec, exec, s[8:9]
	s_and_b64 s[4:5], s[4:5], exec
	s_or_saveexec_b64 s[6:7], s[6:7]
	v_mov_b32_e32 v10, s10
	s_xor_b64 exec, exec, s[6:7]
	s_cbranch_execz .LBB18_34
.LBB18_2084:
	v_mov_b32_e32 v10, 0
	v_cmp_ne_u16_sdwa s[8:9], v15, v10 src0_sel:BYTE_0 src1_sel:DWORD
	s_andn2_b64 s[4:5], s[4:5], exec
	s_and_b64 s[8:9], s[8:9], exec
	s_or_b64 s[4:5], s[4:5], s[8:9]
	s_or_b64 exec, exec, s[6:7]
	s_and_saveexec_b64 s[6:7], s[4:5]
	s_cbranch_execnz .LBB18_35
	s_branch .LBB18_36
.LBB18_2085:
	s_movk_i32 s4, 0x80
	v_cmp_eq_u16_sdwa s[12:13], v11, s4 src0_sel:BYTE_0 src1_sel:DWORD
	s_mov_b64 s[4:5], -1
                                        ; implicit-def: $sgpr10
	s_and_saveexec_b64 s[8:9], s[12:13]
; %bb.2086:
	s_mov_b32 s10, 0x7f800001
	s_xor_b64 s[4:5], exec, -1
; %bb.2087:
	s_or_b64 exec, exec, s[8:9]
	s_and_b64 s[4:5], s[4:5], exec
	s_or_saveexec_b64 s[6:7], s[6:7]
	v_mov_b32_e32 v14, s10
	s_xor_b64 exec, exec, s[6:7]
	s_cbranch_execz .LBB18_38
.LBB18_2088:
	v_mov_b32_e32 v14, 0
	v_cmp_ne_u16_sdwa s[8:9], v11, v14 src0_sel:BYTE_0 src1_sel:DWORD
	s_andn2_b64 s[4:5], s[4:5], exec
	s_and_b64 s[8:9], s[8:9], exec
	s_or_b64 s[4:5], s[4:5], s[8:9]
	s_or_b64 exec, exec, s[6:7]
	s_and_saveexec_b64 s[6:7], s[4:5]
	s_cbranch_execnz .LBB18_39
	s_branch .LBB18_40
.LBB18_2089:
	s_movk_i32 s4, 0x80
	v_cmp_eq_u16_sdwa s[12:13], v14, s4 src0_sel:BYTE_0 src1_sel:DWORD
	s_mov_b64 s[4:5], -1
                                        ; implicit-def: $sgpr10
	s_and_saveexec_b64 s[8:9], s[12:13]
; %bb.2090:
	s_mov_b32 s10, 0x7f800001
	s_xor_b64 s[4:5], exec, -1
; %bb.2091:
	s_or_b64 exec, exec, s[8:9]
	s_and_b64 s[4:5], s[4:5], exec
	s_or_saveexec_b64 s[6:7], s[6:7]
	v_mov_b32_e32 v10, s10
	s_xor_b64 exec, exec, s[6:7]
	s_cbranch_execz .LBB18_42
.LBB18_2092:
	v_mov_b32_e32 v10, 0
	v_cmp_ne_u16_sdwa s[8:9], v14, v10 src0_sel:BYTE_0 src1_sel:DWORD
	s_andn2_b64 s[4:5], s[4:5], exec
	s_and_b64 s[8:9], s[8:9], exec
	s_or_b64 s[4:5], s[4:5], s[8:9]
	s_or_b64 exec, exec, s[6:7]
	s_and_saveexec_b64 s[6:7], s[4:5]
	s_cbranch_execnz .LBB18_43
	s_branch .LBB18_44
.LBB18_2093:
	s_movk_i32 s4, 0x80
	v_cmp_eq_u16_sdwa s[12:13], v14, s4 src0_sel:BYTE_0 src1_sel:DWORD
	s_mov_b64 s[4:5], -1
                                        ; implicit-def: $sgpr10
	s_and_saveexec_b64 s[8:9], s[12:13]
; %bb.2094:
	s_mov_b32 s10, 0x7f800001
	s_xor_b64 s[4:5], exec, -1
; %bb.2095:
	s_or_b64 exec, exec, s[8:9]
	s_and_b64 s[4:5], s[4:5], exec
	s_or_saveexec_b64 s[6:7], s[6:7]
	v_mov_b32_e32 v20, s10
	s_xor_b64 exec, exec, s[6:7]
	s_cbranch_execz .LBB18_46
.LBB18_2096:
	v_mov_b32_e32 v20, 0
	v_cmp_ne_u16_sdwa s[8:9], v14, v20 src0_sel:BYTE_0 src1_sel:DWORD
	s_andn2_b64 s[4:5], s[4:5], exec
	s_and_b64 s[8:9], s[8:9], exec
	s_or_b64 s[4:5], s[4:5], s[8:9]
	s_or_b64 exec, exec, s[6:7]
	s_and_saveexec_b64 s[6:7], s[4:5]
	s_cbranch_execnz .LBB18_47
	s_branch .LBB18_48
.LBB18_2097:
	s_movk_i32 s4, 0x80
	v_cmp_eq_u16_e32 vcc, s4, v14
	s_mov_b64 s[4:5], -1
                                        ; implicit-def: $sgpr10
	s_and_saveexec_b64 s[8:9], vcc
; %bb.2098:
	s_mov_b32 s10, 0x7f800001
	s_xor_b64 s[4:5], exec, -1
; %bb.2099:
	s_or_b64 exec, exec, s[8:9]
	s_and_b64 s[4:5], s[4:5], exec
                                        ; implicit-def: $vgpr14
	s_or_saveexec_b64 s[6:7], s[6:7]
	v_mov_b32_e32 v10, s10
	s_xor_b64 exec, exec, s[6:7]
	s_cbranch_execz .LBB18_50
.LBB18_2100:
	v_cmp_ne_u16_e32 vcc, 0, v14
	s_andn2_b64 s[4:5], s[4:5], exec
	s_and_b64 s[8:9], vcc, exec
	v_mov_b32_e32 v10, 0
	s_or_b64 s[4:5], s[4:5], s[8:9]
	s_or_b64 exec, exec, s[6:7]
	s_and_saveexec_b64 s[6:7], s[4:5]
	s_cbranch_execnz .LBB18_51
	s_branch .LBB18_52
.LBB18_2101:
	s_movk_i32 s4, 0x80
	v_cmp_eq_u16_e32 vcc, s4, v14
	s_mov_b64 s[4:5], -1
                                        ; implicit-def: $sgpr10
	s_and_saveexec_b64 s[8:9], vcc
; %bb.2102:
	s_mov_b32 s10, 0x7f800001
	s_xor_b64 s[4:5], exec, -1
; %bb.2103:
	s_or_b64 exec, exec, s[8:9]
	s_and_b64 s[4:5], s[4:5], exec
                                        ; implicit-def: $vgpr14
	s_or_saveexec_b64 s[6:7], s[6:7]
	v_mov_b32_e32 v20, s10
	s_xor_b64 exec, exec, s[6:7]
	s_cbranch_execz .LBB18_54
.LBB18_2104:
	v_cmp_ne_u16_e32 vcc, 0, v14
	s_andn2_b64 s[4:5], s[4:5], exec
	s_and_b64 s[8:9], vcc, exec
	v_mov_b32_e32 v20, 0
	s_or_b64 s[4:5], s[4:5], s[8:9]
	s_or_b64 exec, exec, s[6:7]
	s_and_saveexec_b64 s[6:7], s[4:5]
	s_cbranch_execnz .LBB18_55
	s_branch .LBB18_56
.LBB18_2105:
	s_movk_i32 s4, 0x80
	v_cmp_eq_u16_sdwa s[12:13], v15, s4 src0_sel:BYTE_3 src1_sel:DWORD
	s_mov_b64 s[4:5], -1
                                        ; implicit-def: $sgpr10
	s_and_saveexec_b64 s[8:9], s[12:13]
; %bb.2106:
	s_mov_b32 s10, 0x7f800001
	s_xor_b64 s[4:5], exec, -1
; %bb.2107:
	s_or_b64 exec, exec, s[8:9]
	s_and_b64 s[4:5], s[4:5], exec
	s_or_saveexec_b64 s[6:7], s[6:7]
	v_mov_b32_e32 v10, s10
	s_xor_b64 exec, exec, s[6:7]
	s_cbranch_execz .LBB18_58
.LBB18_2108:
	v_mov_b32_e32 v10, 0
	v_cmp_ne_u16_sdwa s[8:9], v15, v10 src0_sel:BYTE_3 src1_sel:DWORD
	s_andn2_b64 s[4:5], s[4:5], exec
	s_and_b64 s[8:9], s[8:9], exec
	s_or_b64 s[4:5], s[4:5], s[8:9]
	s_or_b64 exec, exec, s[6:7]
	s_and_saveexec_b64 s[6:7], s[4:5]
	s_cbranch_execnz .LBB18_59
	s_branch .LBB18_60
.LBB18_2109:
	s_movk_i32 s4, 0x80
	v_cmp_eq_u16_sdwa s[12:13], v11, s4 src0_sel:BYTE_3 src1_sel:DWORD
	s_mov_b64 s[4:5], -1
                                        ; implicit-def: $sgpr10
	s_and_saveexec_b64 s[8:9], s[12:13]
; %bb.2110:
	s_mov_b32 s10, 0x7f800001
	s_xor_b64 s[4:5], exec, -1
; %bb.2111:
	s_or_b64 exec, exec, s[8:9]
	s_and_b64 s[4:5], s[4:5], exec
	s_or_saveexec_b64 s[6:7], s[6:7]
	v_mov_b32_e32 v14, s10
	s_xor_b64 exec, exec, s[6:7]
	s_cbranch_execz .LBB18_62
.LBB18_2112:
	v_mov_b32_e32 v14, 0
	v_cmp_ne_u16_sdwa s[8:9], v11, v14 src0_sel:BYTE_3 src1_sel:DWORD
	s_andn2_b64 s[4:5], s[4:5], exec
	s_and_b64 s[8:9], s[8:9], exec
	s_or_b64 s[4:5], s[4:5], s[8:9]
	s_or_b64 exec, exec, s[6:7]
	s_and_saveexec_b64 s[6:7], s[4:5]
	s_cbranch_execnz .LBB18_63
	s_branch .LBB18_64
.LBB18_2113:
	s_movk_i32 s4, 0x80
	v_cmp_eq_u16_sdwa s[12:13], v16, s4 src0_sel:BYTE_0 src1_sel:DWORD
	s_mov_b64 s[4:5], -1
                                        ; implicit-def: $sgpr10
	s_and_saveexec_b64 s[8:9], s[12:13]
; %bb.2114:
	s_mov_b32 s10, 0x7f800001
	s_xor_b64 s[4:5], exec, -1
; %bb.2115:
	s_or_b64 exec, exec, s[8:9]
	s_and_b64 s[4:5], s[4:5], exec
	s_or_saveexec_b64 s[6:7], s[6:7]
	v_mov_b32_e32 v10, s10
	s_xor_b64 exec, exec, s[6:7]
	s_cbranch_execz .LBB18_66
.LBB18_2116:
	v_mov_b32_e32 v10, 0
	v_cmp_ne_u16_sdwa s[8:9], v16, v10 src0_sel:BYTE_0 src1_sel:DWORD
	s_andn2_b64 s[4:5], s[4:5], exec
	s_and_b64 s[8:9], s[8:9], exec
	s_or_b64 s[4:5], s[4:5], s[8:9]
	s_or_b64 exec, exec, s[6:7]
	s_and_saveexec_b64 s[6:7], s[4:5]
	s_cbranch_execnz .LBB18_67
	s_branch .LBB18_68
.LBB18_2117:
	s_movk_i32 s4, 0x80
	v_cmp_eq_u16_sdwa s[12:13], v12, s4 src0_sel:BYTE_0 src1_sel:DWORD
	s_mov_b64 s[4:5], -1
                                        ; implicit-def: $sgpr10
	s_and_saveexec_b64 s[8:9], s[12:13]
; %bb.2118:
	s_mov_b32 s10, 0x7f800001
	s_xor_b64 s[4:5], exec, -1
; %bb.2119:
	s_or_b64 exec, exec, s[8:9]
	s_and_b64 s[4:5], s[4:5], exec
	s_or_saveexec_b64 s[6:7], s[6:7]
	v_mov_b32_e32 v11, s10
	s_xor_b64 exec, exec, s[6:7]
	s_cbranch_execz .LBB18_70
.LBB18_2120:
	v_mov_b32_e32 v11, 0
	v_cmp_ne_u16_sdwa s[8:9], v12, v11 src0_sel:BYTE_0 src1_sel:DWORD
	s_andn2_b64 s[4:5], s[4:5], exec
	s_and_b64 s[8:9], s[8:9], exec
	s_or_b64 s[4:5], s[4:5], s[8:9]
	s_or_b64 exec, exec, s[6:7]
	s_and_saveexec_b64 s[6:7], s[4:5]
	s_cbranch_execnz .LBB18_71
	s_branch .LBB18_72
.LBB18_2121:
	s_movk_i32 s4, 0x80
	v_cmp_eq_u16_sdwa s[12:13], v11, s4 src0_sel:BYTE_0 src1_sel:DWORD
	s_mov_b64 s[4:5], -1
                                        ; implicit-def: $sgpr10
	s_and_saveexec_b64 s[8:9], s[12:13]
; %bb.2122:
	s_mov_b32 s10, 0x7f800001
	s_xor_b64 s[4:5], exec, -1
; %bb.2123:
	s_or_b64 exec, exec, s[8:9]
	s_and_b64 s[4:5], s[4:5], exec
	s_or_saveexec_b64 s[6:7], s[6:7]
	v_mov_b32_e32 v10, s10
	s_xor_b64 exec, exec, s[6:7]
	s_cbranch_execz .LBB18_74
.LBB18_2124:
	v_mov_b32_e32 v10, 0
	v_cmp_ne_u16_sdwa s[8:9], v11, v10 src0_sel:BYTE_0 src1_sel:DWORD
	s_andn2_b64 s[4:5], s[4:5], exec
	s_and_b64 s[8:9], s[8:9], exec
	s_or_b64 s[4:5], s[4:5], s[8:9]
	s_or_b64 exec, exec, s[6:7]
	s_and_saveexec_b64 s[6:7], s[4:5]
	s_cbranch_execnz .LBB18_75
	s_branch .LBB18_76
.LBB18_2125:
	s_movk_i32 s4, 0x80
	v_cmp_eq_u16_sdwa s[12:13], v11, s4 src0_sel:BYTE_0 src1_sel:DWORD
	s_mov_b64 s[4:5], -1
                                        ; implicit-def: $sgpr10
	s_and_saveexec_b64 s[8:9], s[12:13]
; %bb.2126:
	s_mov_b32 s10, 0x7f800001
	s_xor_b64 s[4:5], exec, -1
; %bb.2127:
	s_or_b64 exec, exec, s[8:9]
	s_and_b64 s[4:5], s[4:5], exec
	s_or_saveexec_b64 s[6:7], s[6:7]
	v_mov_b32_e32 v14, s10
	s_xor_b64 exec, exec, s[6:7]
	s_cbranch_execz .LBB18_78
.LBB18_2128:
	v_mov_b32_e32 v14, 0
	v_cmp_ne_u16_sdwa s[8:9], v11, v14 src0_sel:BYTE_0 src1_sel:DWORD
	s_andn2_b64 s[4:5], s[4:5], exec
	s_and_b64 s[8:9], s[8:9], exec
	s_or_b64 s[4:5], s[4:5], s[8:9]
	s_or_b64 exec, exec, s[6:7]
	s_and_saveexec_b64 s[6:7], s[4:5]
	s_cbranch_execnz .LBB18_79
	s_branch .LBB18_80
.LBB18_2129:
	s_movk_i32 s4, 0x80
	v_cmp_eq_u16_e32 vcc, s4, v11
	s_mov_b64 s[4:5], -1
                                        ; implicit-def: $sgpr10
	s_and_saveexec_b64 s[8:9], vcc
; %bb.2130:
	s_mov_b32 s10, 0x7f800001
	s_xor_b64 s[4:5], exec, -1
; %bb.2131:
	s_or_b64 exec, exec, s[8:9]
	s_and_b64 s[4:5], s[4:5], exec
                                        ; implicit-def: $vgpr11
	s_or_saveexec_b64 s[6:7], s[6:7]
	v_mov_b32_e32 v10, s10
	s_xor_b64 exec, exec, s[6:7]
	s_cbranch_execz .LBB18_82
.LBB18_2132:
	v_cmp_ne_u16_e32 vcc, 0, v11
	s_andn2_b64 s[4:5], s[4:5], exec
	s_and_b64 s[8:9], vcc, exec
	v_mov_b32_e32 v10, 0
	s_or_b64 s[4:5], s[4:5], s[8:9]
	s_or_b64 exec, exec, s[6:7]
	s_and_saveexec_b64 s[6:7], s[4:5]
	s_cbranch_execnz .LBB18_83
	s_branch .LBB18_84
.LBB18_2133:
	s_movk_i32 s4, 0x80
	v_cmp_eq_u16_e32 vcc, s4, v11
	s_mov_b64 s[4:5], -1
                                        ; implicit-def: $sgpr10
	s_and_saveexec_b64 s[8:9], vcc
; %bb.2134:
	s_mov_b32 s10, 0x7f800001
	s_xor_b64 s[4:5], exec, -1
; %bb.2135:
	s_or_b64 exec, exec, s[8:9]
	s_and_b64 s[4:5], s[4:5], exec
                                        ; implicit-def: $vgpr11
	s_or_saveexec_b64 s[6:7], s[6:7]
	v_mov_b32_e32 v14, s10
	s_xor_b64 exec, exec, s[6:7]
	s_cbranch_execz .LBB18_86
.LBB18_2136:
	v_cmp_ne_u16_e32 vcc, 0, v11
	s_andn2_b64 s[4:5], s[4:5], exec
	s_and_b64 s[8:9], vcc, exec
	v_mov_b32_e32 v14, 0
	s_or_b64 s[4:5], s[4:5], s[8:9]
	s_or_b64 exec, exec, s[6:7]
	s_and_saveexec_b64 s[6:7], s[4:5]
	s_cbranch_execnz .LBB18_87
	s_branch .LBB18_88
.LBB18_2137:
	s_movk_i32 s4, 0x80
	v_cmp_eq_u16_sdwa s[12:13], v16, s4 src0_sel:BYTE_3 src1_sel:DWORD
	s_mov_b64 s[4:5], -1
                                        ; implicit-def: $sgpr10
	s_and_saveexec_b64 s[8:9], s[12:13]
; %bb.2138:
	s_mov_b32 s10, 0x7f800001
	s_xor_b64 s[4:5], exec, -1
; %bb.2139:
	s_or_b64 exec, exec, s[8:9]
	s_and_b64 s[4:5], s[4:5], exec
	s_or_saveexec_b64 s[6:7], s[6:7]
	v_mov_b32_e32 v10, s10
	s_xor_b64 exec, exec, s[6:7]
	s_cbranch_execz .LBB18_90
.LBB18_2140:
	v_mov_b32_e32 v10, 0
	v_cmp_ne_u16_sdwa s[8:9], v16, v10 src0_sel:BYTE_3 src1_sel:DWORD
	s_andn2_b64 s[4:5], s[4:5], exec
	s_and_b64 s[8:9], s[8:9], exec
	s_or_b64 s[4:5], s[4:5], s[8:9]
	s_or_b64 exec, exec, s[6:7]
	s_and_saveexec_b64 s[6:7], s[4:5]
	s_cbranch_execnz .LBB18_91
	s_branch .LBB18_92
.LBB18_2141:
	s_movk_i32 s4, 0x80
	v_cmp_eq_u16_sdwa s[12:13], v12, s4 src0_sel:BYTE_3 src1_sel:DWORD
	s_mov_b64 s[4:5], -1
                                        ; implicit-def: $sgpr10
	s_and_saveexec_b64 s[8:9], s[12:13]
; %bb.2142:
	s_mov_b32 s10, 0x7f800001
	s_xor_b64 s[4:5], exec, -1
; %bb.2143:
	s_or_b64 exec, exec, s[8:9]
	s_and_b64 s[4:5], s[4:5], exec
	s_or_saveexec_b64 s[6:7], s[6:7]
	v_mov_b32_e32 v11, s10
	s_xor_b64 exec, exec, s[6:7]
	s_cbranch_execz .LBB18_94
.LBB18_2144:
	v_mov_b32_e32 v11, 0
	v_cmp_ne_u16_sdwa s[8:9], v12, v11 src0_sel:BYTE_3 src1_sel:DWORD
	s_andn2_b64 s[4:5], s[4:5], exec
	s_and_b64 s[8:9], s[8:9], exec
	s_or_b64 s[4:5], s[4:5], s[8:9]
	s_or_b64 exec, exec, s[6:7]
	s_and_saveexec_b64 s[6:7], s[4:5]
	s_cbranch_execnz .LBB18_95
	s_branch .LBB18_96
.LBB18_2145:
	s_movk_i32 s4, 0x80
	v_cmp_eq_u16_sdwa s[12:13], v17, s4 src0_sel:BYTE_0 src1_sel:DWORD
	s_mov_b64 s[4:5], -1
                                        ; implicit-def: $sgpr10
	s_and_saveexec_b64 s[8:9], s[12:13]
; %bb.2146:
	s_mov_b32 s10, 0x7f800001
	s_xor_b64 s[4:5], exec, -1
; %bb.2147:
	s_or_b64 exec, exec, s[8:9]
	s_and_b64 s[4:5], s[4:5], exec
	s_or_saveexec_b64 s[6:7], s[6:7]
	v_mov_b32_e32 v10, s10
	s_xor_b64 exec, exec, s[6:7]
	s_cbranch_execz .LBB18_98
.LBB18_2148:
	v_mov_b32_e32 v10, 0
	v_cmp_ne_u16_sdwa s[8:9], v17, v10 src0_sel:BYTE_0 src1_sel:DWORD
	s_andn2_b64 s[4:5], s[4:5], exec
	s_and_b64 s[8:9], s[8:9], exec
	s_or_b64 s[4:5], s[4:5], s[8:9]
	s_or_b64 exec, exec, s[6:7]
	s_and_saveexec_b64 s[6:7], s[4:5]
	s_cbranch_execnz .LBB18_99
	s_branch .LBB18_100
.LBB18_2149:
	s_movk_i32 s4, 0x80
	v_cmp_eq_u16_sdwa s[12:13], v13, s4 src0_sel:BYTE_0 src1_sel:DWORD
	s_mov_b64 s[4:5], -1
                                        ; implicit-def: $sgpr10
	s_and_saveexec_b64 s[8:9], s[12:13]
; %bb.2150:
	s_mov_b32 s10, 0x7f800001
	s_xor_b64 s[4:5], exec, -1
; %bb.2151:
	s_or_b64 exec, exec, s[8:9]
	s_and_b64 s[4:5], s[4:5], exec
	s_or_saveexec_b64 s[6:7], s[6:7]
	v_mov_b32_e32 v11, s10
	s_xor_b64 exec, exec, s[6:7]
	s_cbranch_execz .LBB18_102
.LBB18_2152:
	v_mov_b32_e32 v11, 0
	v_cmp_ne_u16_sdwa s[8:9], v13, v11 src0_sel:BYTE_0 src1_sel:DWORD
	s_andn2_b64 s[4:5], s[4:5], exec
	s_and_b64 s[8:9], s[8:9], exec
	s_or_b64 s[4:5], s[4:5], s[8:9]
	s_or_b64 exec, exec, s[6:7]
	s_and_saveexec_b64 s[6:7], s[4:5]
	s_cbranch_execnz .LBB18_103
	s_branch .LBB18_104
.LBB18_2153:
	s_movk_i32 s4, 0x80
	v_cmp_eq_u16_sdwa s[12:13], v11, s4 src0_sel:BYTE_0 src1_sel:DWORD
	s_mov_b64 s[4:5], -1
                                        ; implicit-def: $sgpr10
	s_and_saveexec_b64 s[8:9], s[12:13]
; %bb.2154:
	s_mov_b32 s10, 0x7f800001
	s_xor_b64 s[4:5], exec, -1
; %bb.2155:
	s_or_b64 exec, exec, s[8:9]
	s_and_b64 s[4:5], s[4:5], exec
	s_or_saveexec_b64 s[6:7], s[6:7]
	v_mov_b32_e32 v10, s10
	s_xor_b64 exec, exec, s[6:7]
	s_cbranch_execz .LBB18_106
.LBB18_2156:
	v_mov_b32_e32 v10, 0
	v_cmp_ne_u16_sdwa s[8:9], v11, v10 src0_sel:BYTE_0 src1_sel:DWORD
	s_andn2_b64 s[4:5], s[4:5], exec
	s_and_b64 s[8:9], s[8:9], exec
	s_or_b64 s[4:5], s[4:5], s[8:9]
	s_or_b64 exec, exec, s[6:7]
	s_and_saveexec_b64 s[6:7], s[4:5]
	s_cbranch_execnz .LBB18_107
	s_branch .LBB18_108
.LBB18_2157:
	s_movk_i32 s4, 0x80
	v_cmp_eq_u16_sdwa s[12:13], v11, s4 src0_sel:BYTE_0 src1_sel:DWORD
	s_mov_b64 s[4:5], -1
                                        ; implicit-def: $sgpr10
	s_and_saveexec_b64 s[8:9], s[12:13]
; %bb.2158:
	s_mov_b32 s10, 0x7f800001
	s_xor_b64 s[4:5], exec, -1
; %bb.2159:
	s_or_b64 exec, exec, s[8:9]
	s_and_b64 s[4:5], s[4:5], exec
	s_or_saveexec_b64 s[6:7], s[6:7]
	v_mov_b32_e32 v12, s10
	s_xor_b64 exec, exec, s[6:7]
	s_cbranch_execz .LBB18_110
.LBB18_2160:
	v_mov_b32_e32 v12, 0
	v_cmp_ne_u16_sdwa s[8:9], v11, v12 src0_sel:BYTE_0 src1_sel:DWORD
	s_andn2_b64 s[4:5], s[4:5], exec
	s_and_b64 s[8:9], s[8:9], exec
	s_or_b64 s[4:5], s[4:5], s[8:9]
	s_or_b64 exec, exec, s[6:7]
	s_and_saveexec_b64 s[6:7], s[4:5]
	s_cbranch_execnz .LBB18_111
	s_branch .LBB18_112
.LBB18_2161:
	s_movk_i32 s4, 0x80
	v_cmp_eq_u16_e32 vcc, s4, v11
	s_mov_b64 s[4:5], -1
                                        ; implicit-def: $sgpr10
	s_and_saveexec_b64 s[8:9], vcc
; %bb.2162:
	s_mov_b32 s10, 0x7f800001
	s_xor_b64 s[4:5], exec, -1
; %bb.2163:
	s_or_b64 exec, exec, s[8:9]
	s_and_b64 s[4:5], s[4:5], exec
                                        ; implicit-def: $vgpr11
	s_or_saveexec_b64 s[6:7], s[6:7]
	v_mov_b32_e32 v10, s10
	s_xor_b64 exec, exec, s[6:7]
	s_cbranch_execz .LBB18_114
.LBB18_2164:
	v_cmp_ne_u16_e32 vcc, 0, v11
	s_andn2_b64 s[4:5], s[4:5], exec
	s_and_b64 s[8:9], vcc, exec
	v_mov_b32_e32 v10, 0
	s_or_b64 s[4:5], s[4:5], s[8:9]
	s_or_b64 exec, exec, s[6:7]
	s_and_saveexec_b64 s[6:7], s[4:5]
	s_cbranch_execnz .LBB18_115
	s_branch .LBB18_116
.LBB18_2165:
	s_movk_i32 s4, 0x80
	v_cmp_eq_u16_e32 vcc, s4, v11
	s_mov_b64 s[4:5], -1
                                        ; implicit-def: $sgpr10
	s_and_saveexec_b64 s[8:9], vcc
; %bb.2166:
	s_mov_b32 s10, 0x7f800001
	s_xor_b64 s[4:5], exec, -1
; %bb.2167:
	s_or_b64 exec, exec, s[8:9]
	s_and_b64 s[4:5], s[4:5], exec
                                        ; implicit-def: $vgpr11
	s_or_saveexec_b64 s[6:7], s[6:7]
	v_mov_b32_e32 v12, s10
	s_xor_b64 exec, exec, s[6:7]
	s_cbranch_execz .LBB18_118
.LBB18_2168:
	v_cmp_ne_u16_e32 vcc, 0, v11
	s_andn2_b64 s[4:5], s[4:5], exec
	s_and_b64 s[8:9], vcc, exec
	v_mov_b32_e32 v12, 0
	s_or_b64 s[4:5], s[4:5], s[8:9]
	s_or_b64 exec, exec, s[6:7]
	s_and_saveexec_b64 s[6:7], s[4:5]
	s_cbranch_execnz .LBB18_119
	s_branch .LBB18_120
.LBB18_2169:
	s_movk_i32 s4, 0x80
	v_cmp_eq_u16_sdwa s[12:13], v17, s4 src0_sel:BYTE_3 src1_sel:DWORD
	s_mov_b64 s[4:5], -1
                                        ; implicit-def: $sgpr10
	s_and_saveexec_b64 s[8:9], s[12:13]
; %bb.2170:
	s_mov_b32 s10, 0x7f800001
	s_xor_b64 s[4:5], exec, -1
; %bb.2171:
	s_or_b64 exec, exec, s[8:9]
	s_and_b64 s[4:5], s[4:5], exec
	s_or_saveexec_b64 s[6:7], s[6:7]
	v_mov_b32_e32 v10, s10
	s_xor_b64 exec, exec, s[6:7]
	s_cbranch_execz .LBB18_122
.LBB18_2172:
	v_mov_b32_e32 v10, 0
	v_cmp_ne_u16_sdwa s[8:9], v17, v10 src0_sel:BYTE_3 src1_sel:DWORD
	s_andn2_b64 s[4:5], s[4:5], exec
	s_and_b64 s[8:9], s[8:9], exec
	s_or_b64 s[4:5], s[4:5], s[8:9]
	s_or_b64 exec, exec, s[6:7]
	s_and_saveexec_b64 s[6:7], s[4:5]
	s_cbranch_execnz .LBB18_123
	s_branch .LBB18_124
.LBB18_2173:
	s_movk_i32 s4, 0x80
	v_cmp_eq_u16_sdwa s[12:13], v13, s4 src0_sel:BYTE_3 src1_sel:DWORD
	s_mov_b64 s[4:5], -1
                                        ; implicit-def: $sgpr10
	s_and_saveexec_b64 s[8:9], s[12:13]
; %bb.2174:
	s_mov_b32 s10, 0x7f800001
	s_xor_b64 s[4:5], exec, -1
; %bb.2175:
	s_or_b64 exec, exec, s[8:9]
	s_and_b64 s[4:5], s[4:5], exec
	s_or_saveexec_b64 s[6:7], s[6:7]
	v_mov_b32_e32 v11, s10
	s_xor_b64 exec, exec, s[6:7]
	s_cbranch_execz .LBB18_126
.LBB18_2176:
	v_mov_b32_e32 v11, 0
	v_cmp_ne_u16_sdwa s[8:9], v13, v11 src0_sel:BYTE_3 src1_sel:DWORD
	s_andn2_b64 s[4:5], s[4:5], exec
	s_and_b64 s[8:9], s[8:9], exec
	s_or_b64 s[4:5], s[4:5], s[8:9]
	s_or_b64 exec, exec, s[6:7]
	s_and_saveexec_b64 s[6:7], s[4:5]
	s_cbranch_execnz .LBB18_127
	s_branch .LBB18_128
.LBB18_2177:
	s_movk_i32 s4, 0x80
	v_cmp_eq_u16_sdwa s[12:13], v6, s4 src0_sel:BYTE_0 src1_sel:DWORD
	s_mov_b64 s[4:5], -1
                                        ; implicit-def: $sgpr10
	s_and_saveexec_b64 s[8:9], s[12:13]
; %bb.2178:
	s_mov_b32 s10, 0x7f800001
	s_xor_b64 s[4:5], exec, -1
; %bb.2179:
	s_or_b64 exec, exec, s[8:9]
	s_and_b64 s[4:5], s[4:5], exec
	s_or_saveexec_b64 s[6:7], s[6:7]
	v_mov_b32_e32 v10, s10
	s_xor_b64 exec, exec, s[6:7]
	s_cbranch_execz .LBB18_130
.LBB18_2180:
	v_mov_b32_e32 v10, 0
	v_cmp_ne_u16_sdwa s[8:9], v6, v10 src0_sel:BYTE_0 src1_sel:DWORD
	s_andn2_b64 s[4:5], s[4:5], exec
	s_and_b64 s[8:9], s[8:9], exec
	s_or_b64 s[4:5], s[4:5], s[8:9]
	s_or_b64 exec, exec, s[6:7]
	s_and_saveexec_b64 s[6:7], s[4:5]
	s_cbranch_execnz .LBB18_131
	s_branch .LBB18_132
.LBB18_2181:
	s_movk_i32 s4, 0x80
	v_cmp_eq_u16_sdwa s[12:13], v2, s4 src0_sel:BYTE_0 src1_sel:DWORD
	s_mov_b64 s[4:5], -1
                                        ; implicit-def: $sgpr10
	s_and_saveexec_b64 s[8:9], s[12:13]
; %bb.2182:
	s_mov_b32 s10, 0x7f800001
	s_xor_b64 s[4:5], exec, -1
; %bb.2183:
	s_or_b64 exec, exec, s[8:9]
	s_and_b64 s[4:5], s[4:5], exec
	s_or_saveexec_b64 s[6:7], s[6:7]
	v_mov_b32_e32 v11, s10
	s_xor_b64 exec, exec, s[6:7]
	s_cbranch_execz .LBB18_134
.LBB18_2184:
	v_mov_b32_e32 v11, 0
	v_cmp_ne_u16_sdwa s[8:9], v2, v11 src0_sel:BYTE_0 src1_sel:DWORD
	s_andn2_b64 s[4:5], s[4:5], exec
	s_and_b64 s[8:9], s[8:9], exec
	s_or_b64 s[4:5], s[4:5], s[8:9]
	s_or_b64 exec, exec, s[6:7]
	s_and_saveexec_b64 s[6:7], s[4:5]
	s_cbranch_execnz .LBB18_135
	s_branch .LBB18_136
.LBB18_2185:
	s_movk_i32 s4, 0x80
	v_cmp_eq_u16_sdwa s[12:13], v11, s4 src0_sel:BYTE_0 src1_sel:DWORD
	s_mov_b64 s[4:5], -1
                                        ; implicit-def: $sgpr10
	s_and_saveexec_b64 s[8:9], s[12:13]
; %bb.2186:
	s_mov_b32 s10, 0x7f800001
	s_xor_b64 s[4:5], exec, -1
; %bb.2187:
	s_or_b64 exec, exec, s[8:9]
	s_and_b64 s[4:5], s[4:5], exec
	s_or_saveexec_b64 s[6:7], s[6:7]
	v_mov_b32_e32 v10, s10
	s_xor_b64 exec, exec, s[6:7]
	s_cbranch_execz .LBB18_138
.LBB18_2188:
	v_mov_b32_e32 v10, 0
	v_cmp_ne_u16_sdwa s[8:9], v11, v10 src0_sel:BYTE_0 src1_sel:DWORD
	s_andn2_b64 s[4:5], s[4:5], exec
	s_and_b64 s[8:9], s[8:9], exec
	s_or_b64 s[4:5], s[4:5], s[8:9]
	s_or_b64 exec, exec, s[6:7]
	s_and_saveexec_b64 s[6:7], s[4:5]
	s_cbranch_execnz .LBB18_139
	s_branch .LBB18_140
.LBB18_2189:
	s_movk_i32 s4, 0x80
	v_cmp_eq_u16_sdwa s[12:13], v11, s4 src0_sel:BYTE_0 src1_sel:DWORD
	s_mov_b64 s[4:5], -1
                                        ; implicit-def: $sgpr10
	s_and_saveexec_b64 s[8:9], s[12:13]
; %bb.2190:
	s_mov_b32 s10, 0x7f800001
	s_xor_b64 s[4:5], exec, -1
; %bb.2191:
	s_or_b64 exec, exec, s[8:9]
	s_and_b64 s[4:5], s[4:5], exec
	s_or_saveexec_b64 s[6:7], s[6:7]
	v_mov_b32_e32 v12, s10
	s_xor_b64 exec, exec, s[6:7]
	s_cbranch_execz .LBB18_142
.LBB18_2192:
	v_mov_b32_e32 v12, 0
	v_cmp_ne_u16_sdwa s[8:9], v11, v12 src0_sel:BYTE_0 src1_sel:DWORD
	s_andn2_b64 s[4:5], s[4:5], exec
	s_and_b64 s[8:9], s[8:9], exec
	s_or_b64 s[4:5], s[4:5], s[8:9]
	s_or_b64 exec, exec, s[6:7]
	s_and_saveexec_b64 s[6:7], s[4:5]
	s_cbranch_execnz .LBB18_143
	s_branch .LBB18_144
.LBB18_2193:
	s_movk_i32 s4, 0x80
	v_cmp_eq_u16_e32 vcc, s4, v11
	s_mov_b64 s[4:5], -1
                                        ; implicit-def: $sgpr10
	s_and_saveexec_b64 s[8:9], vcc
; %bb.2194:
	s_mov_b32 s10, 0x7f800001
	s_xor_b64 s[4:5], exec, -1
; %bb.2195:
	s_or_b64 exec, exec, s[8:9]
	s_and_b64 s[4:5], s[4:5], exec
                                        ; implicit-def: $vgpr11
	s_or_saveexec_b64 s[6:7], s[6:7]
	v_mov_b32_e32 v10, s10
	s_xor_b64 exec, exec, s[6:7]
	s_cbranch_execz .LBB18_146
.LBB18_2196:
	v_cmp_ne_u16_e32 vcc, 0, v11
	s_andn2_b64 s[4:5], s[4:5], exec
	s_and_b64 s[8:9], vcc, exec
	v_mov_b32_e32 v10, 0
	s_or_b64 s[4:5], s[4:5], s[8:9]
	s_or_b64 exec, exec, s[6:7]
	s_and_saveexec_b64 s[6:7], s[4:5]
	s_cbranch_execnz .LBB18_147
	s_branch .LBB18_148
.LBB18_2197:
	s_movk_i32 s4, 0x80
	v_cmp_eq_u16_e32 vcc, s4, v11
	s_mov_b64 s[4:5], -1
                                        ; implicit-def: $sgpr10
	s_and_saveexec_b64 s[8:9], vcc
; %bb.2198:
	s_mov_b32 s10, 0x7f800001
	s_xor_b64 s[4:5], exec, -1
; %bb.2199:
	s_or_b64 exec, exec, s[8:9]
	s_and_b64 s[4:5], s[4:5], exec
                                        ; implicit-def: $vgpr11
	s_or_saveexec_b64 s[6:7], s[6:7]
	v_mov_b32_e32 v12, s10
	s_xor_b64 exec, exec, s[6:7]
	s_cbranch_execz .LBB18_150
.LBB18_2200:
	v_cmp_ne_u16_e32 vcc, 0, v11
	s_andn2_b64 s[4:5], s[4:5], exec
	s_and_b64 s[8:9], vcc, exec
	v_mov_b32_e32 v12, 0
	s_or_b64 s[4:5], s[4:5], s[8:9]
	s_or_b64 exec, exec, s[6:7]
	s_and_saveexec_b64 s[6:7], s[4:5]
	s_cbranch_execnz .LBB18_151
	s_branch .LBB18_152
.LBB18_2201:
	s_movk_i32 s4, 0x80
	v_cmp_eq_u16_sdwa s[12:13], v6, s4 src0_sel:BYTE_3 src1_sel:DWORD
	s_mov_b64 s[4:5], -1
                                        ; implicit-def: $sgpr10
	s_and_saveexec_b64 s[8:9], s[12:13]
; %bb.2202:
	s_mov_b32 s10, 0x7f800001
	s_xor_b64 s[4:5], exec, -1
; %bb.2203:
	s_or_b64 exec, exec, s[8:9]
	s_and_b64 s[4:5], s[4:5], exec
	s_or_saveexec_b64 s[6:7], s[6:7]
	v_mov_b32_e32 v10, s10
	s_xor_b64 exec, exec, s[6:7]
	s_cbranch_execz .LBB18_154
.LBB18_2204:
	v_mov_b32_e32 v10, 0
	v_cmp_ne_u16_sdwa s[8:9], v6, v10 src0_sel:BYTE_3 src1_sel:DWORD
	s_andn2_b64 s[4:5], s[4:5], exec
	s_and_b64 s[8:9], s[8:9], exec
	s_or_b64 s[4:5], s[4:5], s[8:9]
	s_or_b64 exec, exec, s[6:7]
	s_and_saveexec_b64 s[6:7], s[4:5]
	s_cbranch_execnz .LBB18_155
	s_branch .LBB18_156
.LBB18_2205:
	s_movk_i32 s4, 0x80
	v_cmp_eq_u16_sdwa s[12:13], v2, s4 src0_sel:BYTE_3 src1_sel:DWORD
	s_mov_b64 s[4:5], -1
                                        ; implicit-def: $sgpr10
	s_and_saveexec_b64 s[8:9], s[12:13]
; %bb.2206:
	s_mov_b32 s10, 0x7f800001
	s_xor_b64 s[4:5], exec, -1
; %bb.2207:
	s_or_b64 exec, exec, s[8:9]
	s_and_b64 s[4:5], s[4:5], exec
	s_or_saveexec_b64 s[6:7], s[6:7]
	v_mov_b32_e32 v6, s10
	s_xor_b64 exec, exec, s[6:7]
	s_cbranch_execz .LBB18_158
.LBB18_2208:
	v_mov_b32_e32 v6, 0
	v_cmp_ne_u16_sdwa s[8:9], v2, v6 src0_sel:BYTE_3 src1_sel:DWORD
	s_andn2_b64 s[4:5], s[4:5], exec
	s_and_b64 s[8:9], s[8:9], exec
	s_or_b64 s[4:5], s[4:5], s[8:9]
	s_or_b64 exec, exec, s[6:7]
	s_and_saveexec_b64 s[6:7], s[4:5]
	s_cbranch_execnz .LBB18_159
	s_branch .LBB18_160
.LBB18_2209:
	s_movk_i32 s4, 0x80
	v_cmp_eq_u16_sdwa s[12:13], v7, s4 src0_sel:BYTE_0 src1_sel:DWORD
	s_mov_b64 s[4:5], -1
                                        ; implicit-def: $sgpr10
	s_and_saveexec_b64 s[8:9], s[12:13]
; %bb.2210:
	s_mov_b32 s10, 0x7f800001
	s_xor_b64 s[4:5], exec, -1
; %bb.2211:
	s_or_b64 exec, exec, s[8:9]
	s_and_b64 s[4:5], s[4:5], exec
	s_or_saveexec_b64 s[6:7], s[6:7]
	v_mov_b32_e32 v2, s10
	s_xor_b64 exec, exec, s[6:7]
	s_cbranch_execz .LBB18_162
.LBB18_2212:
	v_mov_b32_e32 v2, 0
	v_cmp_ne_u16_sdwa s[8:9], v7, v2 src0_sel:BYTE_0 src1_sel:DWORD
	s_andn2_b64 s[4:5], s[4:5], exec
	s_and_b64 s[8:9], s[8:9], exec
	s_or_b64 s[4:5], s[4:5], s[8:9]
	s_or_b64 exec, exec, s[6:7]
	s_and_saveexec_b64 s[6:7], s[4:5]
	s_cbranch_execnz .LBB18_163
	s_branch .LBB18_164
.LBB18_2213:
	s_movk_i32 s4, 0x80
	v_cmp_eq_u16_sdwa s[12:13], v3, s4 src0_sel:BYTE_0 src1_sel:DWORD
	s_mov_b64 s[4:5], -1
                                        ; implicit-def: $sgpr10
	s_and_saveexec_b64 s[8:9], s[12:13]
; %bb.2214:
	s_mov_b32 s10, 0x7f800001
	s_xor_b64 s[4:5], exec, -1
; %bb.2215:
	s_or_b64 exec, exec, s[8:9]
	s_and_b64 s[4:5], s[4:5], exec
	s_or_saveexec_b64 s[6:7], s[6:7]
	v_mov_b32_e32 v6, s10
	s_xor_b64 exec, exec, s[6:7]
	s_cbranch_execz .LBB18_166
.LBB18_2216:
	v_mov_b32_e32 v6, 0
	v_cmp_ne_u16_sdwa s[8:9], v3, v6 src0_sel:BYTE_0 src1_sel:DWORD
	s_andn2_b64 s[4:5], s[4:5], exec
	s_and_b64 s[8:9], s[8:9], exec
	s_or_b64 s[4:5], s[4:5], s[8:9]
	s_or_b64 exec, exec, s[6:7]
	s_and_saveexec_b64 s[6:7], s[4:5]
	s_cbranch_execnz .LBB18_167
	s_branch .LBB18_168
.LBB18_2217:
	s_movk_i32 s4, 0x80
	v_cmp_eq_u16_sdwa s[12:13], v6, s4 src0_sel:BYTE_0 src1_sel:DWORD
	s_mov_b64 s[4:5], -1
                                        ; implicit-def: $sgpr10
	s_and_saveexec_b64 s[8:9], s[12:13]
; %bb.2218:
	s_mov_b32 s10, 0x7f800001
	s_xor_b64 s[4:5], exec, -1
; %bb.2219:
	s_or_b64 exec, exec, s[8:9]
	s_and_b64 s[4:5], s[4:5], exec
	s_or_saveexec_b64 s[6:7], s[6:7]
	v_mov_b32_e32 v2, s10
	s_xor_b64 exec, exec, s[6:7]
	s_cbranch_execz .LBB18_170
.LBB18_2220:
	v_mov_b32_e32 v2, 0
	v_cmp_ne_u16_sdwa s[8:9], v6, v2 src0_sel:BYTE_0 src1_sel:DWORD
	s_andn2_b64 s[4:5], s[4:5], exec
	s_and_b64 s[8:9], s[8:9], exec
	s_or_b64 s[4:5], s[4:5], s[8:9]
	s_or_b64 exec, exec, s[6:7]
	s_and_saveexec_b64 s[6:7], s[4:5]
	s_cbranch_execnz .LBB18_171
	s_branch .LBB18_172
.LBB18_2221:
	s_movk_i32 s4, 0x80
	v_cmp_eq_u16_sdwa s[12:13], v6, s4 src0_sel:BYTE_0 src1_sel:DWORD
	s_mov_b64 s[4:5], -1
                                        ; implicit-def: $sgpr10
	s_and_saveexec_b64 s[8:9], s[12:13]
; %bb.2222:
	s_mov_b32 s10, 0x7f800001
	s_xor_b64 s[4:5], exec, -1
; %bb.2223:
	s_or_b64 exec, exec, s[8:9]
	s_and_b64 s[4:5], s[4:5], exec
	s_or_saveexec_b64 s[6:7], s[6:7]
	v_mov_b32_e32 v10, s10
	s_xor_b64 exec, exec, s[6:7]
	s_cbranch_execz .LBB18_174
.LBB18_2224:
	v_mov_b32_e32 v10, 0
	v_cmp_ne_u16_sdwa s[8:9], v6, v10 src0_sel:BYTE_0 src1_sel:DWORD
	s_andn2_b64 s[4:5], s[4:5], exec
	s_and_b64 s[8:9], s[8:9], exec
	s_or_b64 s[4:5], s[4:5], s[8:9]
	s_or_b64 exec, exec, s[6:7]
	s_and_saveexec_b64 s[6:7], s[4:5]
	s_cbranch_execnz .LBB18_175
	s_branch .LBB18_176
.LBB18_2225:
	s_movk_i32 s4, 0x80
	v_cmp_eq_u16_e32 vcc, s4, v6
	s_mov_b64 s[4:5], -1
                                        ; implicit-def: $sgpr10
	s_and_saveexec_b64 s[8:9], vcc
; %bb.2226:
	s_mov_b32 s10, 0x7f800001
	s_xor_b64 s[4:5], exec, -1
; %bb.2227:
	s_or_b64 exec, exec, s[8:9]
	s_and_b64 s[4:5], s[4:5], exec
                                        ; implicit-def: $vgpr6
	s_or_saveexec_b64 s[6:7], s[6:7]
	v_mov_b32_e32 v2, s10
	s_xor_b64 exec, exec, s[6:7]
	s_cbranch_execz .LBB18_178
.LBB18_2228:
	v_cmp_ne_u16_e32 vcc, 0, v6
	s_andn2_b64 s[4:5], s[4:5], exec
	s_and_b64 s[8:9], vcc, exec
	v_mov_b32_e32 v2, 0
	s_or_b64 s[4:5], s[4:5], s[8:9]
	s_or_b64 exec, exec, s[6:7]
	s_and_saveexec_b64 s[6:7], s[4:5]
	s_cbranch_execnz .LBB18_179
	s_branch .LBB18_180
.LBB18_2229:
	s_movk_i32 s4, 0x80
	v_cmp_eq_u16_e32 vcc, s4, v6
	s_mov_b64 s[4:5], -1
                                        ; implicit-def: $sgpr10
	s_and_saveexec_b64 s[8:9], vcc
; %bb.2230:
	s_mov_b32 s10, 0x7f800001
	s_xor_b64 s[4:5], exec, -1
; %bb.2231:
	s_or_b64 exec, exec, s[8:9]
	s_and_b64 s[4:5], s[4:5], exec
                                        ; implicit-def: $vgpr6
	s_or_saveexec_b64 s[6:7], s[6:7]
	v_mov_b32_e32 v10, s10
	s_xor_b64 exec, exec, s[6:7]
	s_cbranch_execz .LBB18_182
.LBB18_2232:
	v_cmp_ne_u16_e32 vcc, 0, v6
	s_andn2_b64 s[4:5], s[4:5], exec
	s_and_b64 s[8:9], vcc, exec
	v_mov_b32_e32 v10, 0
	s_or_b64 s[4:5], s[4:5], s[8:9]
	s_or_b64 exec, exec, s[6:7]
	s_and_saveexec_b64 s[6:7], s[4:5]
	s_cbranch_execnz .LBB18_183
	s_branch .LBB18_184
.LBB18_2233:
	s_movk_i32 s4, 0x80
	v_cmp_eq_u16_sdwa s[12:13], v7, s4 src0_sel:BYTE_3 src1_sel:DWORD
	s_mov_b64 s[4:5], -1
                                        ; implicit-def: $sgpr10
	s_and_saveexec_b64 s[8:9], s[12:13]
; %bb.2234:
	s_mov_b32 s10, 0x7f800001
	s_xor_b64 s[4:5], exec, -1
; %bb.2235:
	s_or_b64 exec, exec, s[8:9]
	s_and_b64 s[4:5], s[4:5], exec
	s_or_saveexec_b64 s[6:7], s[6:7]
	v_mov_b32_e32 v2, s10
	s_xor_b64 exec, exec, s[6:7]
	s_cbranch_execz .LBB18_186
.LBB18_2236:
	v_mov_b32_e32 v2, 0
	v_cmp_ne_u16_sdwa s[8:9], v7, v2 src0_sel:BYTE_3 src1_sel:DWORD
	s_andn2_b64 s[4:5], s[4:5], exec
	s_and_b64 s[8:9], s[8:9], exec
	s_or_b64 s[4:5], s[4:5], s[8:9]
	s_or_b64 exec, exec, s[6:7]
	s_and_saveexec_b64 s[6:7], s[4:5]
	s_cbranch_execnz .LBB18_187
	s_branch .LBB18_188
.LBB18_2237:
	s_movk_i32 s4, 0x80
	v_cmp_eq_u16_sdwa s[12:13], v3, s4 src0_sel:BYTE_3 src1_sel:DWORD
	s_mov_b64 s[4:5], -1
                                        ; implicit-def: $sgpr10
	s_and_saveexec_b64 s[8:9], s[12:13]
; %bb.2238:
	s_mov_b32 s10, 0x7f800001
	s_xor_b64 s[4:5], exec, -1
; %bb.2239:
	s_or_b64 exec, exec, s[8:9]
	s_and_b64 s[4:5], s[4:5], exec
	s_or_saveexec_b64 s[6:7], s[6:7]
	v_mov_b32_e32 v6, s10
	s_xor_b64 exec, exec, s[6:7]
	s_cbranch_execz .LBB18_190
.LBB18_2240:
	v_mov_b32_e32 v6, 0
	v_cmp_ne_u16_sdwa s[8:9], v3, v6 src0_sel:BYTE_3 src1_sel:DWORD
	s_andn2_b64 s[4:5], s[4:5], exec
	s_and_b64 s[8:9], s[8:9], exec
	s_or_b64 s[4:5], s[4:5], s[8:9]
	s_or_b64 exec, exec, s[6:7]
	s_and_saveexec_b64 s[6:7], s[4:5]
	s_cbranch_execnz .LBB18_191
	s_branch .LBB18_192
.LBB18_2241:
	s_movk_i32 s4, 0x80
	v_cmp_eq_u16_sdwa s[12:13], v8, s4 src0_sel:BYTE_0 src1_sel:DWORD
	s_mov_b64 s[4:5], -1
                                        ; implicit-def: $sgpr10
	s_and_saveexec_b64 s[8:9], s[12:13]
; %bb.2242:
	s_mov_b32 s10, 0x7f800001
	s_xor_b64 s[4:5], exec, -1
; %bb.2243:
	s_or_b64 exec, exec, s[8:9]
	s_and_b64 s[4:5], s[4:5], exec
	s_or_saveexec_b64 s[6:7], s[6:7]
	v_mov_b32_e32 v2, s10
	s_xor_b64 exec, exec, s[6:7]
	s_cbranch_execz .LBB18_194
.LBB18_2244:
	v_mov_b32_e32 v2, 0
	v_cmp_ne_u16_sdwa s[8:9], v8, v2 src0_sel:BYTE_0 src1_sel:DWORD
	s_andn2_b64 s[4:5], s[4:5], exec
	s_and_b64 s[8:9], s[8:9], exec
	s_or_b64 s[4:5], s[4:5], s[8:9]
	s_or_b64 exec, exec, s[6:7]
	s_and_saveexec_b64 s[6:7], s[4:5]
	s_cbranch_execnz .LBB18_195
	s_branch .LBB18_196
.LBB18_2245:
	s_movk_i32 s4, 0x80
	v_cmp_eq_u16_sdwa s[12:13], v4, s4 src0_sel:BYTE_0 src1_sel:DWORD
	s_mov_b64 s[4:5], -1
                                        ; implicit-def: $sgpr10
	s_and_saveexec_b64 s[8:9], s[12:13]
; %bb.2246:
	s_mov_b32 s10, 0x7f800001
	s_xor_b64 s[4:5], exec, -1
; %bb.2247:
	s_or_b64 exec, exec, s[8:9]
	s_and_b64 s[4:5], s[4:5], exec
	s_or_saveexec_b64 s[6:7], s[6:7]
	v_mov_b32_e32 v3, s10
	s_xor_b64 exec, exec, s[6:7]
	s_cbranch_execz .LBB18_198
.LBB18_2248:
	v_mov_b32_e32 v3, 0
	v_cmp_ne_u16_sdwa s[8:9], v4, v3 src0_sel:BYTE_0 src1_sel:DWORD
	s_andn2_b64 s[4:5], s[4:5], exec
	s_and_b64 s[8:9], s[8:9], exec
	s_or_b64 s[4:5], s[4:5], s[8:9]
	s_or_b64 exec, exec, s[6:7]
	s_and_saveexec_b64 s[6:7], s[4:5]
	s_cbranch_execnz .LBB18_199
	s_branch .LBB18_200
.LBB18_2249:
	s_movk_i32 s4, 0x80
	v_cmp_eq_u16_sdwa s[12:13], v3, s4 src0_sel:BYTE_0 src1_sel:DWORD
	s_mov_b64 s[4:5], -1
                                        ; implicit-def: $sgpr10
	s_and_saveexec_b64 s[8:9], s[12:13]
; %bb.2250:
	s_mov_b32 s10, 0x7f800001
	s_xor_b64 s[4:5], exec, -1
; %bb.2251:
	s_or_b64 exec, exec, s[8:9]
	s_and_b64 s[4:5], s[4:5], exec
	s_or_saveexec_b64 s[6:7], s[6:7]
	v_mov_b32_e32 v2, s10
	s_xor_b64 exec, exec, s[6:7]
	s_cbranch_execz .LBB18_202
.LBB18_2252:
	v_mov_b32_e32 v2, 0
	v_cmp_ne_u16_sdwa s[8:9], v3, v2 src0_sel:BYTE_0 src1_sel:DWORD
	s_andn2_b64 s[4:5], s[4:5], exec
	s_and_b64 s[8:9], s[8:9], exec
	s_or_b64 s[4:5], s[4:5], s[8:9]
	s_or_b64 exec, exec, s[6:7]
	s_and_saveexec_b64 s[6:7], s[4:5]
	s_cbranch_execnz .LBB18_203
	s_branch .LBB18_204
.LBB18_2253:
	s_movk_i32 s4, 0x80
	v_cmp_eq_u16_sdwa s[12:13], v3, s4 src0_sel:BYTE_0 src1_sel:DWORD
	s_mov_b64 s[4:5], -1
                                        ; implicit-def: $sgpr10
	s_and_saveexec_b64 s[8:9], s[12:13]
; %bb.2254:
	s_mov_b32 s10, 0x7f800001
	s_xor_b64 s[4:5], exec, -1
; %bb.2255:
	s_or_b64 exec, exec, s[8:9]
	s_and_b64 s[4:5], s[4:5], exec
	s_or_saveexec_b64 s[6:7], s[6:7]
	v_mov_b32_e32 v6, s10
	s_xor_b64 exec, exec, s[6:7]
	s_cbranch_execz .LBB18_206
.LBB18_2256:
	v_mov_b32_e32 v6, 0
	v_cmp_ne_u16_sdwa s[8:9], v3, v6 src0_sel:BYTE_0 src1_sel:DWORD
	s_andn2_b64 s[4:5], s[4:5], exec
	s_and_b64 s[8:9], s[8:9], exec
	s_or_b64 s[4:5], s[4:5], s[8:9]
	s_or_b64 exec, exec, s[6:7]
	s_and_saveexec_b64 s[6:7], s[4:5]
	s_cbranch_execnz .LBB18_207
	s_branch .LBB18_208
.LBB18_2257:
	s_movk_i32 s4, 0x80
	v_cmp_eq_u16_e32 vcc, s4, v3
	s_mov_b64 s[4:5], -1
                                        ; implicit-def: $sgpr10
	s_and_saveexec_b64 s[8:9], vcc
; %bb.2258:
	s_mov_b32 s10, 0x7f800001
	s_xor_b64 s[4:5], exec, -1
; %bb.2259:
	s_or_b64 exec, exec, s[8:9]
	s_and_b64 s[4:5], s[4:5], exec
                                        ; implicit-def: $vgpr3
	s_or_saveexec_b64 s[6:7], s[6:7]
	v_mov_b32_e32 v2, s10
	s_xor_b64 exec, exec, s[6:7]
	s_cbranch_execz .LBB18_210
.LBB18_2260:
	v_cmp_ne_u16_e32 vcc, 0, v3
	s_andn2_b64 s[4:5], s[4:5], exec
	s_and_b64 s[8:9], vcc, exec
	v_mov_b32_e32 v2, 0
	s_or_b64 s[4:5], s[4:5], s[8:9]
	s_or_b64 exec, exec, s[6:7]
	s_and_saveexec_b64 s[6:7], s[4:5]
	s_cbranch_execnz .LBB18_211
	s_branch .LBB18_212
.LBB18_2261:
	s_movk_i32 s4, 0x80
	v_cmp_eq_u16_e32 vcc, s4, v3
	s_mov_b64 s[4:5], -1
                                        ; implicit-def: $sgpr10
	s_and_saveexec_b64 s[8:9], vcc
; %bb.2262:
	s_mov_b32 s10, 0x7f800001
	s_xor_b64 s[4:5], exec, -1
; %bb.2263:
	s_or_b64 exec, exec, s[8:9]
	s_and_b64 s[4:5], s[4:5], exec
                                        ; implicit-def: $vgpr3
	s_or_saveexec_b64 s[6:7], s[6:7]
	v_mov_b32_e32 v6, s10
	s_xor_b64 exec, exec, s[6:7]
	s_cbranch_execz .LBB18_214
.LBB18_2264:
	v_cmp_ne_u16_e32 vcc, 0, v3
	s_andn2_b64 s[4:5], s[4:5], exec
	s_and_b64 s[8:9], vcc, exec
	v_mov_b32_e32 v6, 0
	s_or_b64 s[4:5], s[4:5], s[8:9]
	s_or_b64 exec, exec, s[6:7]
	s_and_saveexec_b64 s[6:7], s[4:5]
	s_cbranch_execnz .LBB18_215
	s_branch .LBB18_216
.LBB18_2265:
	s_movk_i32 s4, 0x80
	v_cmp_eq_u16_sdwa s[12:13], v8, s4 src0_sel:BYTE_3 src1_sel:DWORD
	s_mov_b64 s[4:5], -1
                                        ; implicit-def: $sgpr10
	s_and_saveexec_b64 s[8:9], s[12:13]
; %bb.2266:
	s_mov_b32 s10, 0x7f800001
	s_xor_b64 s[4:5], exec, -1
; %bb.2267:
	s_or_b64 exec, exec, s[8:9]
	s_and_b64 s[4:5], s[4:5], exec
	s_or_saveexec_b64 s[6:7], s[6:7]
	v_mov_b32_e32 v2, s10
	s_xor_b64 exec, exec, s[6:7]
	s_cbranch_execz .LBB18_218
.LBB18_2268:
	v_mov_b32_e32 v2, 0
	v_cmp_ne_u16_sdwa s[8:9], v8, v2 src0_sel:BYTE_3 src1_sel:DWORD
	s_andn2_b64 s[4:5], s[4:5], exec
	s_and_b64 s[8:9], s[8:9], exec
	s_or_b64 s[4:5], s[4:5], s[8:9]
	s_or_b64 exec, exec, s[6:7]
	s_and_saveexec_b64 s[6:7], s[4:5]
	s_cbranch_execnz .LBB18_219
	s_branch .LBB18_220
.LBB18_2269:
	s_movk_i32 s4, 0x80
	v_cmp_eq_u16_sdwa s[12:13], v4, s4 src0_sel:BYTE_3 src1_sel:DWORD
	s_mov_b64 s[4:5], -1
                                        ; implicit-def: $sgpr10
	s_and_saveexec_b64 s[8:9], s[12:13]
; %bb.2270:
	s_mov_b32 s10, 0x7f800001
	s_xor_b64 s[4:5], exec, -1
; %bb.2271:
	s_or_b64 exec, exec, s[8:9]
	s_and_b64 s[4:5], s[4:5], exec
	s_or_saveexec_b64 s[6:7], s[6:7]
	v_mov_b32_e32 v3, s10
	s_xor_b64 exec, exec, s[6:7]
	s_cbranch_execz .LBB18_222
.LBB18_2272:
	v_mov_b32_e32 v3, 0
	v_cmp_ne_u16_sdwa s[8:9], v4, v3 src0_sel:BYTE_3 src1_sel:DWORD
	s_andn2_b64 s[4:5], s[4:5], exec
	s_and_b64 s[8:9], s[8:9], exec
	s_or_b64 s[4:5], s[4:5], s[8:9]
	s_or_b64 exec, exec, s[6:7]
	s_and_saveexec_b64 s[6:7], s[4:5]
	s_cbranch_execnz .LBB18_223
	s_branch .LBB18_224
.LBB18_2273:
	s_movk_i32 s4, 0x80
	v_cmp_eq_u16_sdwa s[12:13], v9, s4 src0_sel:BYTE_0 src1_sel:DWORD
	s_mov_b64 s[4:5], -1
                                        ; implicit-def: $sgpr10
	s_and_saveexec_b64 s[8:9], s[12:13]
; %bb.2274:
	s_mov_b32 s10, 0x7f800001
	s_xor_b64 s[4:5], exec, -1
; %bb.2275:
	s_or_b64 exec, exec, s[8:9]
	s_and_b64 s[4:5], s[4:5], exec
	s_or_saveexec_b64 s[6:7], s[6:7]
	v_mov_b32_e32 v2, s10
	s_xor_b64 exec, exec, s[6:7]
	s_cbranch_execz .LBB18_226
.LBB18_2276:
	v_mov_b32_e32 v2, 0
	v_cmp_ne_u16_sdwa s[8:9], v9, v2 src0_sel:BYTE_0 src1_sel:DWORD
	s_andn2_b64 s[4:5], s[4:5], exec
	s_and_b64 s[8:9], s[8:9], exec
	s_or_b64 s[4:5], s[4:5], s[8:9]
	s_or_b64 exec, exec, s[6:7]
	s_and_saveexec_b64 s[6:7], s[4:5]
	s_cbranch_execnz .LBB18_227
	s_branch .LBB18_228
.LBB18_2277:
	s_movk_i32 s4, 0x80
	v_cmp_eq_u16_sdwa s[12:13], v5, s4 src0_sel:BYTE_0 src1_sel:DWORD
	s_mov_b64 s[4:5], -1
                                        ; implicit-def: $sgpr10
	s_and_saveexec_b64 s[8:9], s[12:13]
; %bb.2278:
	s_mov_b32 s10, 0x7f800001
	s_xor_b64 s[4:5], exec, -1
; %bb.2279:
	s_or_b64 exec, exec, s[8:9]
	s_and_b64 s[4:5], s[4:5], exec
	s_or_saveexec_b64 s[6:7], s[6:7]
	v_mov_b32_e32 v3, s10
	s_xor_b64 exec, exec, s[6:7]
	s_cbranch_execz .LBB18_230
.LBB18_2280:
	v_mov_b32_e32 v3, 0
	v_cmp_ne_u16_sdwa s[8:9], v5, v3 src0_sel:BYTE_0 src1_sel:DWORD
	s_andn2_b64 s[4:5], s[4:5], exec
	s_and_b64 s[8:9], s[8:9], exec
	s_or_b64 s[4:5], s[4:5], s[8:9]
	s_or_b64 exec, exec, s[6:7]
	s_and_saveexec_b64 s[6:7], s[4:5]
	s_cbranch_execnz .LBB18_231
	s_branch .LBB18_232
.LBB18_2281:
	s_movk_i32 s4, 0x80
	v_cmp_eq_u16_sdwa s[12:13], v3, s4 src0_sel:BYTE_0 src1_sel:DWORD
	s_mov_b64 s[4:5], -1
                                        ; implicit-def: $sgpr10
	s_and_saveexec_b64 s[8:9], s[12:13]
; %bb.2282:
	s_mov_b32 s10, 0x7f800001
	s_xor_b64 s[4:5], exec, -1
; %bb.2283:
	s_or_b64 exec, exec, s[8:9]
	s_and_b64 s[4:5], s[4:5], exec
	s_or_saveexec_b64 s[6:7], s[6:7]
	v_mov_b32_e32 v2, s10
	s_xor_b64 exec, exec, s[6:7]
	s_cbranch_execz .LBB18_234
.LBB18_2284:
	v_mov_b32_e32 v2, 0
	v_cmp_ne_u16_sdwa s[8:9], v3, v2 src0_sel:BYTE_0 src1_sel:DWORD
	s_andn2_b64 s[4:5], s[4:5], exec
	s_and_b64 s[8:9], s[8:9], exec
	s_or_b64 s[4:5], s[4:5], s[8:9]
	s_or_b64 exec, exec, s[6:7]
	s_and_saveexec_b64 s[6:7], s[4:5]
	s_cbranch_execnz .LBB18_235
	s_branch .LBB18_236
.LBB18_2285:
	s_movk_i32 s4, 0x80
	v_cmp_eq_u16_sdwa s[12:13], v3, s4 src0_sel:BYTE_0 src1_sel:DWORD
	s_mov_b64 s[4:5], -1
                                        ; implicit-def: $sgpr10
	s_and_saveexec_b64 s[8:9], s[12:13]
; %bb.2286:
	s_mov_b32 s10, 0x7f800001
	s_xor_b64 s[4:5], exec, -1
; %bb.2287:
	s_or_b64 exec, exec, s[8:9]
	s_and_b64 s[4:5], s[4:5], exec
	s_or_saveexec_b64 s[6:7], s[6:7]
	v_mov_b32_e32 v4, s10
	s_xor_b64 exec, exec, s[6:7]
	s_cbranch_execz .LBB18_238
.LBB18_2288:
	v_mov_b32_e32 v4, 0
	v_cmp_ne_u16_sdwa s[8:9], v3, v4 src0_sel:BYTE_0 src1_sel:DWORD
	s_andn2_b64 s[4:5], s[4:5], exec
	s_and_b64 s[8:9], s[8:9], exec
	s_or_b64 s[4:5], s[4:5], s[8:9]
	s_or_b64 exec, exec, s[6:7]
	s_and_saveexec_b64 s[6:7], s[4:5]
	s_cbranch_execnz .LBB18_239
	s_branch .LBB18_240
.LBB18_2289:
	s_movk_i32 s4, 0x80
	v_cmp_eq_u16_e32 vcc, s4, v3
	s_mov_b64 s[4:5], -1
                                        ; implicit-def: $sgpr10
	s_and_saveexec_b64 s[8:9], vcc
; %bb.2290:
	s_mov_b32 s10, 0x7f800001
	s_xor_b64 s[4:5], exec, -1
; %bb.2291:
	s_or_b64 exec, exec, s[8:9]
	s_and_b64 s[4:5], s[4:5], exec
                                        ; implicit-def: $vgpr3
	s_or_saveexec_b64 s[6:7], s[6:7]
	v_mov_b32_e32 v2, s10
	s_xor_b64 exec, exec, s[6:7]
	s_cbranch_execz .LBB18_242
.LBB18_2292:
	v_cmp_ne_u16_e32 vcc, 0, v3
	s_andn2_b64 s[4:5], s[4:5], exec
	s_and_b64 s[8:9], vcc, exec
	v_mov_b32_e32 v2, 0
	s_or_b64 s[4:5], s[4:5], s[8:9]
	s_or_b64 exec, exec, s[6:7]
	s_and_saveexec_b64 s[6:7], s[4:5]
	s_cbranch_execnz .LBB18_243
	s_branch .LBB18_244
.LBB18_2293:
	s_movk_i32 s4, 0x80
	v_cmp_eq_u16_e32 vcc, s4, v3
	s_mov_b64 s[4:5], -1
                                        ; implicit-def: $sgpr10
	s_and_saveexec_b64 s[8:9], vcc
; %bb.2294:
	s_mov_b32 s10, 0x7f800001
	s_xor_b64 s[4:5], exec, -1
; %bb.2295:
	s_or_b64 exec, exec, s[8:9]
	s_and_b64 s[4:5], s[4:5], exec
                                        ; implicit-def: $vgpr3
	s_or_saveexec_b64 s[6:7], s[6:7]
	v_mov_b32_e32 v4, s10
	s_xor_b64 exec, exec, s[6:7]
	s_cbranch_execz .LBB18_246
.LBB18_2296:
	v_cmp_ne_u16_e32 vcc, 0, v3
	s_andn2_b64 s[4:5], s[4:5], exec
	s_and_b64 s[8:9], vcc, exec
	v_mov_b32_e32 v4, 0
	s_or_b64 s[4:5], s[4:5], s[8:9]
	s_or_b64 exec, exec, s[6:7]
	s_and_saveexec_b64 s[6:7], s[4:5]
	s_cbranch_execnz .LBB18_247
	s_branch .LBB18_248
.LBB18_2297:
	s_movk_i32 s4, 0x80
	v_cmp_eq_u16_sdwa s[12:13], v9, s4 src0_sel:BYTE_3 src1_sel:DWORD
	s_mov_b64 s[4:5], -1
                                        ; implicit-def: $sgpr10
	s_and_saveexec_b64 s[8:9], s[12:13]
; %bb.2298:
	s_mov_b32 s10, 0x7f800001
	s_xor_b64 s[4:5], exec, -1
; %bb.2299:
	s_or_b64 exec, exec, s[8:9]
	s_and_b64 s[4:5], s[4:5], exec
	s_or_saveexec_b64 s[6:7], s[6:7]
	v_mov_b32_e32 v2, s10
	s_xor_b64 exec, exec, s[6:7]
	s_cbranch_execz .LBB18_250
.LBB18_2300:
	v_mov_b32_e32 v2, 0
	v_cmp_ne_u16_sdwa s[8:9], v9, v2 src0_sel:BYTE_3 src1_sel:DWORD
	s_andn2_b64 s[4:5], s[4:5], exec
	s_and_b64 s[8:9], s[8:9], exec
	s_or_b64 s[4:5], s[4:5], s[8:9]
	s_or_b64 exec, exec, s[6:7]
	s_and_saveexec_b64 s[6:7], s[4:5]
	s_cbranch_execnz .LBB18_251
	s_branch .LBB18_252
.LBB18_2301:
	s_movk_i32 s4, 0x80
	v_cmp_eq_u16_sdwa s[12:13], v5, s4 src0_sel:BYTE_3 src1_sel:DWORD
	s_mov_b64 s[4:5], -1
                                        ; implicit-def: $sgpr10
	s_and_saveexec_b64 s[8:9], s[12:13]
; %bb.2302:
	s_mov_b32 s10, 0x7f800001
	s_xor_b64 s[4:5], exec, -1
; %bb.2303:
	s_or_b64 exec, exec, s[8:9]
	s_and_b64 s[4:5], s[4:5], exec
	s_or_saveexec_b64 s[6:7], s[6:7]
	v_mov_b32_e32 v3, s10
	s_xor_b64 exec, exec, s[6:7]
	s_cbranch_execz .LBB18_254
.LBB18_2304:
	v_mov_b32_e32 v3, 0
	v_cmp_ne_u16_sdwa s[8:9], v5, v3 src0_sel:BYTE_3 src1_sel:DWORD
	s_andn2_b64 s[4:5], s[4:5], exec
	s_and_b64 s[8:9], s[8:9], exec
	s_or_b64 s[4:5], s[4:5], s[8:9]
	s_or_b64 exec, exec, s[6:7]
	s_and_saveexec_b64 s[6:7], s[4:5]
	s_cbranch_execnz .LBB18_255
	s_branch .LBB18_256
.LBB18_2305:
	s_movk_i32 s4, 0x80
	v_cmp_eq_u16_sdwa s[12:13], v14, s4 src0_sel:BYTE_0 src1_sel:DWORD
	s_mov_b64 s[4:5], -1
                                        ; implicit-def: $sgpr10
	s_and_saveexec_b64 s[8:9], s[12:13]
; %bb.2306:
	s_mov_b32 s10, 0x7f800001
	s_xor_b64 s[4:5], exec, -1
; %bb.2307:
	s_or_b64 exec, exec, s[8:9]
	s_and_b64 s[4:5], s[4:5], exec
	s_or_saveexec_b64 s[6:7], s[6:7]
	v_mov_b32_e32 v20, s10
	s_xor_b64 exec, exec, s[6:7]
	s_cbranch_execz .LBB18_258
.LBB18_2308:
	v_mov_b32_e32 v20, 0
	v_cmp_ne_u16_sdwa s[8:9], v14, v20 src0_sel:BYTE_0 src1_sel:DWORD
	s_andn2_b64 s[4:5], s[4:5], exec
	s_and_b64 s[8:9], s[8:9], exec
	s_or_b64 s[4:5], s[4:5], s[8:9]
	s_or_b64 exec, exec, s[6:7]
	s_and_saveexec_b64 s[6:7], s[4:5]
	s_cbranch_execnz .LBB18_259
	s_branch .LBB18_260
.LBB18_2309:
	s_movk_i32 s4, 0x80
	v_cmp_eq_u16_sdwa s[12:13], v10, s4 src0_sel:BYTE_0 src1_sel:DWORD
	s_mov_b64 s[4:5], -1
                                        ; implicit-def: $sgpr10
	s_and_saveexec_b64 s[8:9], s[12:13]
; %bb.2310:
	s_mov_b32 s10, 0x7f800001
	s_xor_b64 s[4:5], exec, -1
; %bb.2311:
	s_or_b64 exec, exec, s[8:9]
	s_and_b64 s[4:5], s[4:5], exec
	s_or_saveexec_b64 s[6:7], s[6:7]
	v_mov_b32_e32 v21, s10
	s_xor_b64 exec, exec, s[6:7]
	s_cbranch_execz .LBB18_262
.LBB18_2312:
	v_mov_b32_e32 v21, 0
	v_cmp_ne_u16_sdwa s[8:9], v10, v21 src0_sel:BYTE_0 src1_sel:DWORD
	s_andn2_b64 s[4:5], s[4:5], exec
	s_and_b64 s[8:9], s[8:9], exec
	s_or_b64 s[4:5], s[4:5], s[8:9]
	s_or_b64 exec, exec, s[6:7]
	s_and_saveexec_b64 s[6:7], s[4:5]
	s_cbranch_execnz .LBB18_263
	s_branch .LBB18_264
.LBB18_2313:
	s_movk_i32 s4, 0x80
	v_cmp_eq_u16_sdwa s[12:13], v21, s4 src0_sel:BYTE_0 src1_sel:DWORD
	s_mov_b64 s[4:5], -1
                                        ; implicit-def: $sgpr10
	s_and_saveexec_b64 s[8:9], s[12:13]
; %bb.2314:
	s_mov_b32 s10, 0x7f800001
	s_xor_b64 s[4:5], exec, -1
; %bb.2315:
	s_or_b64 exec, exec, s[8:9]
	s_and_b64 s[4:5], s[4:5], exec
	s_or_saveexec_b64 s[6:7], s[6:7]
	v_mov_b32_e32 v20, s10
	s_xor_b64 exec, exec, s[6:7]
	s_cbranch_execz .LBB18_266
.LBB18_2316:
	v_mov_b32_e32 v20, 0
	v_cmp_ne_u16_sdwa s[8:9], v21, v20 src0_sel:BYTE_0 src1_sel:DWORD
	s_andn2_b64 s[4:5], s[4:5], exec
	s_and_b64 s[8:9], s[8:9], exec
	s_or_b64 s[4:5], s[4:5], s[8:9]
	s_or_b64 exec, exec, s[6:7]
	s_and_saveexec_b64 s[6:7], s[4:5]
	s_cbranch_execnz .LBB18_267
	s_branch .LBB18_268
.LBB18_2317:
	s_movk_i32 s4, 0x80
	v_cmp_eq_u16_sdwa s[12:13], v21, s4 src0_sel:BYTE_0 src1_sel:DWORD
	s_mov_b64 s[4:5], -1
                                        ; implicit-def: $sgpr10
	s_and_saveexec_b64 s[8:9], s[12:13]
; %bb.2318:
	s_mov_b32 s10, 0x7f800001
	s_xor_b64 s[4:5], exec, -1
; %bb.2319:
	s_or_b64 exec, exec, s[8:9]
	s_and_b64 s[4:5], s[4:5], exec
	s_or_saveexec_b64 s[6:7], s[6:7]
	v_mov_b32_e32 v22, s10
	s_xor_b64 exec, exec, s[6:7]
	s_cbranch_execz .LBB18_270
.LBB18_2320:
	v_mov_b32_e32 v22, 0
	v_cmp_ne_u16_sdwa s[8:9], v21, v22 src0_sel:BYTE_0 src1_sel:DWORD
	s_andn2_b64 s[4:5], s[4:5], exec
	s_and_b64 s[8:9], s[8:9], exec
	s_or_b64 s[4:5], s[4:5], s[8:9]
	s_or_b64 exec, exec, s[6:7]
	s_and_saveexec_b64 s[6:7], s[4:5]
	s_cbranch_execnz .LBB18_271
	s_branch .LBB18_272
.LBB18_2321:
	s_movk_i32 s4, 0x80
	v_cmp_eq_u16_e32 vcc, s4, v21
	s_mov_b64 s[4:5], -1
                                        ; implicit-def: $sgpr10
	s_and_saveexec_b64 s[8:9], vcc
; %bb.2322:
	s_mov_b32 s10, 0x7f800001
	s_xor_b64 s[4:5], exec, -1
; %bb.2323:
	s_or_b64 exec, exec, s[8:9]
	s_and_b64 s[4:5], s[4:5], exec
                                        ; implicit-def: $vgpr21
	s_or_saveexec_b64 s[6:7], s[6:7]
	v_mov_b32_e32 v20, s10
	s_xor_b64 exec, exec, s[6:7]
	s_cbranch_execz .LBB18_274
.LBB18_2324:
	v_cmp_ne_u16_e32 vcc, 0, v21
	s_andn2_b64 s[4:5], s[4:5], exec
	s_and_b64 s[8:9], vcc, exec
	v_mov_b32_e32 v20, 0
	s_or_b64 s[4:5], s[4:5], s[8:9]
	s_or_b64 exec, exec, s[6:7]
	s_and_saveexec_b64 s[6:7], s[4:5]
	s_cbranch_execnz .LBB18_275
	s_branch .LBB18_276
.LBB18_2325:
	s_movk_i32 s4, 0x80
	v_cmp_eq_u16_e32 vcc, s4, v21
	s_mov_b64 s[4:5], -1
                                        ; implicit-def: $sgpr10
	s_and_saveexec_b64 s[8:9], vcc
; %bb.2326:
	s_mov_b32 s10, 0x7f800001
	s_xor_b64 s[4:5], exec, -1
; %bb.2327:
	s_or_b64 exec, exec, s[8:9]
	s_and_b64 s[4:5], s[4:5], exec
                                        ; implicit-def: $vgpr21
	s_or_saveexec_b64 s[6:7], s[6:7]
	v_mov_b32_e32 v22, s10
	s_xor_b64 exec, exec, s[6:7]
	s_cbranch_execz .LBB18_278
.LBB18_2328:
	v_cmp_ne_u16_e32 vcc, 0, v21
	s_andn2_b64 s[4:5], s[4:5], exec
	s_and_b64 s[8:9], vcc, exec
	v_mov_b32_e32 v22, 0
	s_or_b64 s[4:5], s[4:5], s[8:9]
	s_or_b64 exec, exec, s[6:7]
	s_and_saveexec_b64 s[6:7], s[4:5]
	s_cbranch_execnz .LBB18_279
	s_branch .LBB18_280
.LBB18_2329:
	s_movk_i32 s4, 0x80
	v_cmp_eq_u16_sdwa s[12:13], v14, s4 src0_sel:BYTE_3 src1_sel:DWORD
	s_mov_b64 s[4:5], -1
                                        ; implicit-def: $sgpr10
	s_and_saveexec_b64 s[8:9], s[12:13]
; %bb.2330:
	s_mov_b32 s10, 0x7f800001
	s_xor_b64 s[4:5], exec, -1
; %bb.2331:
	s_or_b64 exec, exec, s[8:9]
	s_and_b64 s[4:5], s[4:5], exec
	s_or_saveexec_b64 s[6:7], s[6:7]
	v_mov_b32_e32 v20, s10
	s_xor_b64 exec, exec, s[6:7]
	s_cbranch_execz .LBB18_282
.LBB18_2332:
	v_mov_b32_e32 v20, 0
	v_cmp_ne_u16_sdwa s[8:9], v14, v20 src0_sel:BYTE_3 src1_sel:DWORD
	s_andn2_b64 s[4:5], s[4:5], exec
	s_and_b64 s[8:9], s[8:9], exec
	s_or_b64 s[4:5], s[4:5], s[8:9]
	s_or_b64 exec, exec, s[6:7]
	s_and_saveexec_b64 s[6:7], s[4:5]
	s_cbranch_execnz .LBB18_283
	s_branch .LBB18_284
.LBB18_2333:
	s_movk_i32 s4, 0x80
	v_cmp_eq_u16_sdwa s[12:13], v10, s4 src0_sel:BYTE_3 src1_sel:DWORD
	s_mov_b64 s[4:5], -1
                                        ; implicit-def: $sgpr10
	s_and_saveexec_b64 s[8:9], s[12:13]
; %bb.2334:
	s_mov_b32 s10, 0x7f800001
	s_xor_b64 s[4:5], exec, -1
; %bb.2335:
	s_or_b64 exec, exec, s[8:9]
	s_and_b64 s[4:5], s[4:5], exec
	s_or_saveexec_b64 s[6:7], s[6:7]
	v_mov_b32_e32 v14, s10
	s_xor_b64 exec, exec, s[6:7]
	s_cbranch_execz .LBB18_286
.LBB18_2336:
	v_mov_b32_e32 v14, 0
	v_cmp_ne_u16_sdwa s[8:9], v10, v14 src0_sel:BYTE_3 src1_sel:DWORD
	s_andn2_b64 s[4:5], s[4:5], exec
	s_and_b64 s[8:9], s[8:9], exec
	s_or_b64 s[4:5], s[4:5], s[8:9]
	s_or_b64 exec, exec, s[6:7]
	s_and_saveexec_b64 s[6:7], s[4:5]
	s_cbranch_execnz .LBB18_287
	s_branch .LBB18_288
.LBB18_2337:
	s_movk_i32 s4, 0x80
	v_cmp_eq_u16_sdwa s[12:13], v15, s4 src0_sel:BYTE_0 src1_sel:DWORD
	s_mov_b64 s[4:5], -1
                                        ; implicit-def: $sgpr10
	s_and_saveexec_b64 s[8:9], s[12:13]
; %bb.2338:
	s_mov_b32 s10, 0x7f800001
	s_xor_b64 s[4:5], exec, -1
; %bb.2339:
	s_or_b64 exec, exec, s[8:9]
	s_and_b64 s[4:5], s[4:5], exec
	s_or_saveexec_b64 s[6:7], s[6:7]
	v_mov_b32_e32 v10, s10
	s_xor_b64 exec, exec, s[6:7]
	s_cbranch_execz .LBB18_290
.LBB18_2340:
	v_mov_b32_e32 v10, 0
	v_cmp_ne_u16_sdwa s[8:9], v15, v10 src0_sel:BYTE_0 src1_sel:DWORD
	s_andn2_b64 s[4:5], s[4:5], exec
	s_and_b64 s[8:9], s[8:9], exec
	s_or_b64 s[4:5], s[4:5], s[8:9]
	s_or_b64 exec, exec, s[6:7]
	s_and_saveexec_b64 s[6:7], s[4:5]
	s_cbranch_execnz .LBB18_291
	s_branch .LBB18_292
.LBB18_2341:
	s_movk_i32 s4, 0x80
	v_cmp_eq_u16_sdwa s[12:13], v11, s4 src0_sel:BYTE_0 src1_sel:DWORD
	s_mov_b64 s[4:5], -1
                                        ; implicit-def: $sgpr10
	s_and_saveexec_b64 s[8:9], s[12:13]
; %bb.2342:
	s_mov_b32 s10, 0x7f800001
	s_xor_b64 s[4:5], exec, -1
; %bb.2343:
	s_or_b64 exec, exec, s[8:9]
	s_and_b64 s[4:5], s[4:5], exec
	s_or_saveexec_b64 s[6:7], s[6:7]
	v_mov_b32_e32 v14, s10
	s_xor_b64 exec, exec, s[6:7]
	s_cbranch_execz .LBB18_294
.LBB18_2344:
	v_mov_b32_e32 v14, 0
	v_cmp_ne_u16_sdwa s[8:9], v11, v14 src0_sel:BYTE_0 src1_sel:DWORD
	s_andn2_b64 s[4:5], s[4:5], exec
	s_and_b64 s[8:9], s[8:9], exec
	s_or_b64 s[4:5], s[4:5], s[8:9]
	s_or_b64 exec, exec, s[6:7]
	s_and_saveexec_b64 s[6:7], s[4:5]
	s_cbranch_execnz .LBB18_295
	s_branch .LBB18_296
.LBB18_2345:
	s_movk_i32 s4, 0x80
	v_cmp_eq_u16_sdwa s[12:13], v14, s4 src0_sel:BYTE_0 src1_sel:DWORD
	s_mov_b64 s[4:5], -1
                                        ; implicit-def: $sgpr10
	s_and_saveexec_b64 s[8:9], s[12:13]
; %bb.2346:
	s_mov_b32 s10, 0x7f800001
	s_xor_b64 s[4:5], exec, -1
; %bb.2347:
	s_or_b64 exec, exec, s[8:9]
	s_and_b64 s[4:5], s[4:5], exec
	s_or_saveexec_b64 s[6:7], s[6:7]
	v_mov_b32_e32 v10, s10
	s_xor_b64 exec, exec, s[6:7]
	s_cbranch_execz .LBB18_298
.LBB18_2348:
	v_mov_b32_e32 v10, 0
	v_cmp_ne_u16_sdwa s[8:9], v14, v10 src0_sel:BYTE_0 src1_sel:DWORD
	s_andn2_b64 s[4:5], s[4:5], exec
	s_and_b64 s[8:9], s[8:9], exec
	s_or_b64 s[4:5], s[4:5], s[8:9]
	s_or_b64 exec, exec, s[6:7]
	s_and_saveexec_b64 s[6:7], s[4:5]
	s_cbranch_execnz .LBB18_299
	s_branch .LBB18_300
.LBB18_2349:
	s_movk_i32 s4, 0x80
	v_cmp_eq_u16_sdwa s[12:13], v14, s4 src0_sel:BYTE_0 src1_sel:DWORD
	s_mov_b64 s[4:5], -1
                                        ; implicit-def: $sgpr10
	s_and_saveexec_b64 s[8:9], s[12:13]
; %bb.2350:
	s_mov_b32 s10, 0x7f800001
	s_xor_b64 s[4:5], exec, -1
; %bb.2351:
	s_or_b64 exec, exec, s[8:9]
	s_and_b64 s[4:5], s[4:5], exec
	s_or_saveexec_b64 s[6:7], s[6:7]
	v_mov_b32_e32 v20, s10
	s_xor_b64 exec, exec, s[6:7]
	s_cbranch_execz .LBB18_302
.LBB18_2352:
	v_mov_b32_e32 v20, 0
	v_cmp_ne_u16_sdwa s[8:9], v14, v20 src0_sel:BYTE_0 src1_sel:DWORD
	s_andn2_b64 s[4:5], s[4:5], exec
	s_and_b64 s[8:9], s[8:9], exec
	s_or_b64 s[4:5], s[4:5], s[8:9]
	s_or_b64 exec, exec, s[6:7]
	s_and_saveexec_b64 s[6:7], s[4:5]
	s_cbranch_execnz .LBB18_303
	s_branch .LBB18_304
.LBB18_2353:
	s_movk_i32 s4, 0x80
	v_cmp_eq_u16_e32 vcc, s4, v14
	s_mov_b64 s[4:5], -1
                                        ; implicit-def: $sgpr10
	s_and_saveexec_b64 s[8:9], vcc
; %bb.2354:
	s_mov_b32 s10, 0x7f800001
	s_xor_b64 s[4:5], exec, -1
; %bb.2355:
	s_or_b64 exec, exec, s[8:9]
	s_and_b64 s[4:5], s[4:5], exec
                                        ; implicit-def: $vgpr14
	s_or_saveexec_b64 s[6:7], s[6:7]
	v_mov_b32_e32 v10, s10
	s_xor_b64 exec, exec, s[6:7]
	s_cbranch_execz .LBB18_306
.LBB18_2356:
	v_cmp_ne_u16_e32 vcc, 0, v14
	s_andn2_b64 s[4:5], s[4:5], exec
	s_and_b64 s[8:9], vcc, exec
	v_mov_b32_e32 v10, 0
	s_or_b64 s[4:5], s[4:5], s[8:9]
	s_or_b64 exec, exec, s[6:7]
	s_and_saveexec_b64 s[6:7], s[4:5]
	s_cbranch_execnz .LBB18_307
	s_branch .LBB18_308
.LBB18_2357:
	s_movk_i32 s4, 0x80
	v_cmp_eq_u16_e32 vcc, s4, v14
	s_mov_b64 s[4:5], -1
                                        ; implicit-def: $sgpr10
	s_and_saveexec_b64 s[8:9], vcc
; %bb.2358:
	s_mov_b32 s10, 0x7f800001
	s_xor_b64 s[4:5], exec, -1
; %bb.2359:
	s_or_b64 exec, exec, s[8:9]
	s_and_b64 s[4:5], s[4:5], exec
                                        ; implicit-def: $vgpr14
	s_or_saveexec_b64 s[6:7], s[6:7]
	v_mov_b32_e32 v20, s10
	s_xor_b64 exec, exec, s[6:7]
	s_cbranch_execz .LBB18_310
.LBB18_2360:
	v_cmp_ne_u16_e32 vcc, 0, v14
	s_andn2_b64 s[4:5], s[4:5], exec
	s_and_b64 s[8:9], vcc, exec
	v_mov_b32_e32 v20, 0
	s_or_b64 s[4:5], s[4:5], s[8:9]
	s_or_b64 exec, exec, s[6:7]
	s_and_saveexec_b64 s[6:7], s[4:5]
	s_cbranch_execnz .LBB18_311
	s_branch .LBB18_312
.LBB18_2361:
	s_movk_i32 s4, 0x80
	v_cmp_eq_u16_sdwa s[12:13], v15, s4 src0_sel:BYTE_3 src1_sel:DWORD
	s_mov_b64 s[4:5], -1
                                        ; implicit-def: $sgpr10
	s_and_saveexec_b64 s[8:9], s[12:13]
; %bb.2362:
	s_mov_b32 s10, 0x7f800001
	s_xor_b64 s[4:5], exec, -1
; %bb.2363:
	s_or_b64 exec, exec, s[8:9]
	s_and_b64 s[4:5], s[4:5], exec
	s_or_saveexec_b64 s[6:7], s[6:7]
	v_mov_b32_e32 v10, s10
	s_xor_b64 exec, exec, s[6:7]
	s_cbranch_execz .LBB18_314
.LBB18_2364:
	v_mov_b32_e32 v10, 0
	v_cmp_ne_u16_sdwa s[8:9], v15, v10 src0_sel:BYTE_3 src1_sel:DWORD
	s_andn2_b64 s[4:5], s[4:5], exec
	s_and_b64 s[8:9], s[8:9], exec
	s_or_b64 s[4:5], s[4:5], s[8:9]
	s_or_b64 exec, exec, s[6:7]
	s_and_saveexec_b64 s[6:7], s[4:5]
	s_cbranch_execnz .LBB18_315
	s_branch .LBB18_316
.LBB18_2365:
	s_movk_i32 s4, 0x80
	v_cmp_eq_u16_sdwa s[12:13], v11, s4 src0_sel:BYTE_3 src1_sel:DWORD
	s_mov_b64 s[4:5], -1
                                        ; implicit-def: $sgpr10
	s_and_saveexec_b64 s[8:9], s[12:13]
; %bb.2366:
	s_mov_b32 s10, 0x7f800001
	s_xor_b64 s[4:5], exec, -1
; %bb.2367:
	s_or_b64 exec, exec, s[8:9]
	s_and_b64 s[4:5], s[4:5], exec
	s_or_saveexec_b64 s[6:7], s[6:7]
	v_mov_b32_e32 v14, s10
	s_xor_b64 exec, exec, s[6:7]
	s_cbranch_execz .LBB18_318
.LBB18_2368:
	v_mov_b32_e32 v14, 0
	v_cmp_ne_u16_sdwa s[8:9], v11, v14 src0_sel:BYTE_3 src1_sel:DWORD
	s_andn2_b64 s[4:5], s[4:5], exec
	s_and_b64 s[8:9], s[8:9], exec
	s_or_b64 s[4:5], s[4:5], s[8:9]
	s_or_b64 exec, exec, s[6:7]
	s_and_saveexec_b64 s[6:7], s[4:5]
	s_cbranch_execnz .LBB18_319
	s_branch .LBB18_320
.LBB18_2369:
	s_movk_i32 s4, 0x80
	v_cmp_eq_u16_sdwa s[12:13], v16, s4 src0_sel:BYTE_0 src1_sel:DWORD
	s_mov_b64 s[4:5], -1
                                        ; implicit-def: $sgpr10
	s_and_saveexec_b64 s[8:9], s[12:13]
; %bb.2370:
	s_mov_b32 s10, 0x7f800001
	s_xor_b64 s[4:5], exec, -1
; %bb.2371:
	s_or_b64 exec, exec, s[8:9]
	s_and_b64 s[4:5], s[4:5], exec
	s_or_saveexec_b64 s[6:7], s[6:7]
	v_mov_b32_e32 v10, s10
	s_xor_b64 exec, exec, s[6:7]
	s_cbranch_execz .LBB18_322
.LBB18_2372:
	v_mov_b32_e32 v10, 0
	v_cmp_ne_u16_sdwa s[8:9], v16, v10 src0_sel:BYTE_0 src1_sel:DWORD
	s_andn2_b64 s[4:5], s[4:5], exec
	s_and_b64 s[8:9], s[8:9], exec
	s_or_b64 s[4:5], s[4:5], s[8:9]
	s_or_b64 exec, exec, s[6:7]
	s_and_saveexec_b64 s[6:7], s[4:5]
	s_cbranch_execnz .LBB18_323
	s_branch .LBB18_324
.LBB18_2373:
	s_movk_i32 s4, 0x80
	v_cmp_eq_u16_sdwa s[12:13], v12, s4 src0_sel:BYTE_0 src1_sel:DWORD
	s_mov_b64 s[4:5], -1
                                        ; implicit-def: $sgpr10
	s_and_saveexec_b64 s[8:9], s[12:13]
; %bb.2374:
	s_mov_b32 s10, 0x7f800001
	s_xor_b64 s[4:5], exec, -1
; %bb.2375:
	s_or_b64 exec, exec, s[8:9]
	s_and_b64 s[4:5], s[4:5], exec
	s_or_saveexec_b64 s[6:7], s[6:7]
	v_mov_b32_e32 v11, s10
	s_xor_b64 exec, exec, s[6:7]
	s_cbranch_execz .LBB18_326
.LBB18_2376:
	v_mov_b32_e32 v11, 0
	v_cmp_ne_u16_sdwa s[8:9], v12, v11 src0_sel:BYTE_0 src1_sel:DWORD
	s_andn2_b64 s[4:5], s[4:5], exec
	s_and_b64 s[8:9], s[8:9], exec
	s_or_b64 s[4:5], s[4:5], s[8:9]
	s_or_b64 exec, exec, s[6:7]
	s_and_saveexec_b64 s[6:7], s[4:5]
	s_cbranch_execnz .LBB18_327
	s_branch .LBB18_328
.LBB18_2377:
	s_movk_i32 s4, 0x80
	v_cmp_eq_u16_sdwa s[12:13], v11, s4 src0_sel:BYTE_0 src1_sel:DWORD
	s_mov_b64 s[4:5], -1
                                        ; implicit-def: $sgpr10
	s_and_saveexec_b64 s[8:9], s[12:13]
; %bb.2378:
	s_mov_b32 s10, 0x7f800001
	s_xor_b64 s[4:5], exec, -1
; %bb.2379:
	s_or_b64 exec, exec, s[8:9]
	s_and_b64 s[4:5], s[4:5], exec
	s_or_saveexec_b64 s[6:7], s[6:7]
	v_mov_b32_e32 v10, s10
	s_xor_b64 exec, exec, s[6:7]
	s_cbranch_execz .LBB18_330
.LBB18_2380:
	v_mov_b32_e32 v10, 0
	v_cmp_ne_u16_sdwa s[8:9], v11, v10 src0_sel:BYTE_0 src1_sel:DWORD
	s_andn2_b64 s[4:5], s[4:5], exec
	s_and_b64 s[8:9], s[8:9], exec
	s_or_b64 s[4:5], s[4:5], s[8:9]
	s_or_b64 exec, exec, s[6:7]
	s_and_saveexec_b64 s[6:7], s[4:5]
	s_cbranch_execnz .LBB18_331
	s_branch .LBB18_332
.LBB18_2381:
	s_movk_i32 s4, 0x80
	v_cmp_eq_u16_sdwa s[12:13], v11, s4 src0_sel:BYTE_0 src1_sel:DWORD
	s_mov_b64 s[4:5], -1
                                        ; implicit-def: $sgpr10
	s_and_saveexec_b64 s[8:9], s[12:13]
; %bb.2382:
	s_mov_b32 s10, 0x7f800001
	s_xor_b64 s[4:5], exec, -1
; %bb.2383:
	s_or_b64 exec, exec, s[8:9]
	s_and_b64 s[4:5], s[4:5], exec
	s_or_saveexec_b64 s[6:7], s[6:7]
	v_mov_b32_e32 v14, s10
	s_xor_b64 exec, exec, s[6:7]
	s_cbranch_execz .LBB18_334
.LBB18_2384:
	v_mov_b32_e32 v14, 0
	v_cmp_ne_u16_sdwa s[8:9], v11, v14 src0_sel:BYTE_0 src1_sel:DWORD
	s_andn2_b64 s[4:5], s[4:5], exec
	s_and_b64 s[8:9], s[8:9], exec
	s_or_b64 s[4:5], s[4:5], s[8:9]
	s_or_b64 exec, exec, s[6:7]
	s_and_saveexec_b64 s[6:7], s[4:5]
	s_cbranch_execnz .LBB18_335
	s_branch .LBB18_336
.LBB18_2385:
	s_movk_i32 s4, 0x80
	v_cmp_eq_u16_e32 vcc, s4, v11
	s_mov_b64 s[4:5], -1
                                        ; implicit-def: $sgpr10
	s_and_saveexec_b64 s[8:9], vcc
; %bb.2386:
	s_mov_b32 s10, 0x7f800001
	s_xor_b64 s[4:5], exec, -1
; %bb.2387:
	s_or_b64 exec, exec, s[8:9]
	s_and_b64 s[4:5], s[4:5], exec
                                        ; implicit-def: $vgpr11
	s_or_saveexec_b64 s[6:7], s[6:7]
	v_mov_b32_e32 v10, s10
	s_xor_b64 exec, exec, s[6:7]
	s_cbranch_execz .LBB18_338
.LBB18_2388:
	v_cmp_ne_u16_e32 vcc, 0, v11
	s_andn2_b64 s[4:5], s[4:5], exec
	s_and_b64 s[8:9], vcc, exec
	v_mov_b32_e32 v10, 0
	s_or_b64 s[4:5], s[4:5], s[8:9]
	s_or_b64 exec, exec, s[6:7]
	s_and_saveexec_b64 s[6:7], s[4:5]
	s_cbranch_execnz .LBB18_339
	s_branch .LBB18_340
.LBB18_2389:
	s_movk_i32 s4, 0x80
	v_cmp_eq_u16_e32 vcc, s4, v11
	s_mov_b64 s[4:5], -1
                                        ; implicit-def: $sgpr10
	s_and_saveexec_b64 s[8:9], vcc
; %bb.2390:
	s_mov_b32 s10, 0x7f800001
	s_xor_b64 s[4:5], exec, -1
; %bb.2391:
	s_or_b64 exec, exec, s[8:9]
	s_and_b64 s[4:5], s[4:5], exec
                                        ; implicit-def: $vgpr11
	s_or_saveexec_b64 s[6:7], s[6:7]
	v_mov_b32_e32 v14, s10
	s_xor_b64 exec, exec, s[6:7]
	s_cbranch_execz .LBB18_342
.LBB18_2392:
	v_cmp_ne_u16_e32 vcc, 0, v11
	s_andn2_b64 s[4:5], s[4:5], exec
	s_and_b64 s[8:9], vcc, exec
	v_mov_b32_e32 v14, 0
	s_or_b64 s[4:5], s[4:5], s[8:9]
	s_or_b64 exec, exec, s[6:7]
	s_and_saveexec_b64 s[6:7], s[4:5]
	s_cbranch_execnz .LBB18_343
	s_branch .LBB18_344
.LBB18_2393:
	s_movk_i32 s4, 0x80
	v_cmp_eq_u16_sdwa s[12:13], v16, s4 src0_sel:BYTE_3 src1_sel:DWORD
	s_mov_b64 s[4:5], -1
                                        ; implicit-def: $sgpr10
	s_and_saveexec_b64 s[8:9], s[12:13]
; %bb.2394:
	s_mov_b32 s10, 0x7f800001
	s_xor_b64 s[4:5], exec, -1
; %bb.2395:
	s_or_b64 exec, exec, s[8:9]
	s_and_b64 s[4:5], s[4:5], exec
	s_or_saveexec_b64 s[6:7], s[6:7]
	v_mov_b32_e32 v10, s10
	s_xor_b64 exec, exec, s[6:7]
	s_cbranch_execz .LBB18_346
.LBB18_2396:
	v_mov_b32_e32 v10, 0
	v_cmp_ne_u16_sdwa s[8:9], v16, v10 src0_sel:BYTE_3 src1_sel:DWORD
	s_andn2_b64 s[4:5], s[4:5], exec
	s_and_b64 s[8:9], s[8:9], exec
	s_or_b64 s[4:5], s[4:5], s[8:9]
	s_or_b64 exec, exec, s[6:7]
	s_and_saveexec_b64 s[6:7], s[4:5]
	s_cbranch_execnz .LBB18_347
	s_branch .LBB18_348
.LBB18_2397:
	s_movk_i32 s4, 0x80
	v_cmp_eq_u16_sdwa s[12:13], v12, s4 src0_sel:BYTE_3 src1_sel:DWORD
	s_mov_b64 s[4:5], -1
                                        ; implicit-def: $sgpr10
	s_and_saveexec_b64 s[8:9], s[12:13]
; %bb.2398:
	s_mov_b32 s10, 0x7f800001
	s_xor_b64 s[4:5], exec, -1
; %bb.2399:
	s_or_b64 exec, exec, s[8:9]
	s_and_b64 s[4:5], s[4:5], exec
	s_or_saveexec_b64 s[6:7], s[6:7]
	v_mov_b32_e32 v11, s10
	s_xor_b64 exec, exec, s[6:7]
	s_cbranch_execz .LBB18_350
.LBB18_2400:
	v_mov_b32_e32 v11, 0
	v_cmp_ne_u16_sdwa s[8:9], v12, v11 src0_sel:BYTE_3 src1_sel:DWORD
	s_andn2_b64 s[4:5], s[4:5], exec
	s_and_b64 s[8:9], s[8:9], exec
	s_or_b64 s[4:5], s[4:5], s[8:9]
	s_or_b64 exec, exec, s[6:7]
	s_and_saveexec_b64 s[6:7], s[4:5]
	s_cbranch_execnz .LBB18_351
	s_branch .LBB18_352
.LBB18_2401:
	s_movk_i32 s4, 0x80
	v_cmp_eq_u16_sdwa s[12:13], v17, s4 src0_sel:BYTE_0 src1_sel:DWORD
	s_mov_b64 s[4:5], -1
                                        ; implicit-def: $sgpr10
	s_and_saveexec_b64 s[8:9], s[12:13]
; %bb.2402:
	s_mov_b32 s10, 0x7f800001
	s_xor_b64 s[4:5], exec, -1
; %bb.2403:
	s_or_b64 exec, exec, s[8:9]
	s_and_b64 s[4:5], s[4:5], exec
	s_or_saveexec_b64 s[6:7], s[6:7]
	v_mov_b32_e32 v10, s10
	s_xor_b64 exec, exec, s[6:7]
	s_cbranch_execz .LBB18_354
.LBB18_2404:
	v_mov_b32_e32 v10, 0
	v_cmp_ne_u16_sdwa s[8:9], v17, v10 src0_sel:BYTE_0 src1_sel:DWORD
	s_andn2_b64 s[4:5], s[4:5], exec
	s_and_b64 s[8:9], s[8:9], exec
	s_or_b64 s[4:5], s[4:5], s[8:9]
	s_or_b64 exec, exec, s[6:7]
	s_and_saveexec_b64 s[6:7], s[4:5]
	s_cbranch_execnz .LBB18_355
	s_branch .LBB18_356
.LBB18_2405:
	s_movk_i32 s4, 0x80
	v_cmp_eq_u16_sdwa s[12:13], v13, s4 src0_sel:BYTE_0 src1_sel:DWORD
	s_mov_b64 s[4:5], -1
                                        ; implicit-def: $sgpr10
	s_and_saveexec_b64 s[8:9], s[12:13]
; %bb.2406:
	s_mov_b32 s10, 0x7f800001
	s_xor_b64 s[4:5], exec, -1
; %bb.2407:
	s_or_b64 exec, exec, s[8:9]
	s_and_b64 s[4:5], s[4:5], exec
	s_or_saveexec_b64 s[6:7], s[6:7]
	v_mov_b32_e32 v11, s10
	s_xor_b64 exec, exec, s[6:7]
	s_cbranch_execz .LBB18_358
.LBB18_2408:
	v_mov_b32_e32 v11, 0
	v_cmp_ne_u16_sdwa s[8:9], v13, v11 src0_sel:BYTE_0 src1_sel:DWORD
	s_andn2_b64 s[4:5], s[4:5], exec
	s_and_b64 s[8:9], s[8:9], exec
	s_or_b64 s[4:5], s[4:5], s[8:9]
	s_or_b64 exec, exec, s[6:7]
	s_and_saveexec_b64 s[6:7], s[4:5]
	s_cbranch_execnz .LBB18_359
	s_branch .LBB18_360
.LBB18_2409:
	s_movk_i32 s4, 0x80
	v_cmp_eq_u16_sdwa s[12:13], v11, s4 src0_sel:BYTE_0 src1_sel:DWORD
	s_mov_b64 s[4:5], -1
                                        ; implicit-def: $sgpr10
	s_and_saveexec_b64 s[8:9], s[12:13]
; %bb.2410:
	s_mov_b32 s10, 0x7f800001
	s_xor_b64 s[4:5], exec, -1
; %bb.2411:
	s_or_b64 exec, exec, s[8:9]
	s_and_b64 s[4:5], s[4:5], exec
	s_or_saveexec_b64 s[6:7], s[6:7]
	v_mov_b32_e32 v10, s10
	s_xor_b64 exec, exec, s[6:7]
	s_cbranch_execz .LBB18_362
.LBB18_2412:
	v_mov_b32_e32 v10, 0
	v_cmp_ne_u16_sdwa s[8:9], v11, v10 src0_sel:BYTE_0 src1_sel:DWORD
	s_andn2_b64 s[4:5], s[4:5], exec
	s_and_b64 s[8:9], s[8:9], exec
	s_or_b64 s[4:5], s[4:5], s[8:9]
	s_or_b64 exec, exec, s[6:7]
	s_and_saveexec_b64 s[6:7], s[4:5]
	s_cbranch_execnz .LBB18_363
	s_branch .LBB18_364
.LBB18_2413:
	s_movk_i32 s4, 0x80
	v_cmp_eq_u16_sdwa s[12:13], v11, s4 src0_sel:BYTE_0 src1_sel:DWORD
	s_mov_b64 s[4:5], -1
                                        ; implicit-def: $sgpr10
	s_and_saveexec_b64 s[8:9], s[12:13]
; %bb.2414:
	s_mov_b32 s10, 0x7f800001
	s_xor_b64 s[4:5], exec, -1
; %bb.2415:
	s_or_b64 exec, exec, s[8:9]
	s_and_b64 s[4:5], s[4:5], exec
	s_or_saveexec_b64 s[6:7], s[6:7]
	v_mov_b32_e32 v12, s10
	s_xor_b64 exec, exec, s[6:7]
	s_cbranch_execz .LBB18_366
.LBB18_2416:
	v_mov_b32_e32 v12, 0
	v_cmp_ne_u16_sdwa s[8:9], v11, v12 src0_sel:BYTE_0 src1_sel:DWORD
	s_andn2_b64 s[4:5], s[4:5], exec
	s_and_b64 s[8:9], s[8:9], exec
	s_or_b64 s[4:5], s[4:5], s[8:9]
	s_or_b64 exec, exec, s[6:7]
	s_and_saveexec_b64 s[6:7], s[4:5]
	s_cbranch_execnz .LBB18_367
	s_branch .LBB18_368
.LBB18_2417:
	s_movk_i32 s4, 0x80
	v_cmp_eq_u16_e32 vcc, s4, v11
	s_mov_b64 s[4:5], -1
                                        ; implicit-def: $sgpr10
	s_and_saveexec_b64 s[8:9], vcc
; %bb.2418:
	s_mov_b32 s10, 0x7f800001
	s_xor_b64 s[4:5], exec, -1
; %bb.2419:
	s_or_b64 exec, exec, s[8:9]
	s_and_b64 s[4:5], s[4:5], exec
                                        ; implicit-def: $vgpr11
	s_or_saveexec_b64 s[6:7], s[6:7]
	v_mov_b32_e32 v10, s10
	s_xor_b64 exec, exec, s[6:7]
	s_cbranch_execz .LBB18_370
.LBB18_2420:
	v_cmp_ne_u16_e32 vcc, 0, v11
	s_andn2_b64 s[4:5], s[4:5], exec
	s_and_b64 s[8:9], vcc, exec
	v_mov_b32_e32 v10, 0
	s_or_b64 s[4:5], s[4:5], s[8:9]
	s_or_b64 exec, exec, s[6:7]
	s_and_saveexec_b64 s[6:7], s[4:5]
	s_cbranch_execnz .LBB18_371
	s_branch .LBB18_372
.LBB18_2421:
	s_movk_i32 s4, 0x80
	v_cmp_eq_u16_e32 vcc, s4, v11
	s_mov_b64 s[4:5], -1
                                        ; implicit-def: $sgpr10
	s_and_saveexec_b64 s[8:9], vcc
; %bb.2422:
	s_mov_b32 s10, 0x7f800001
	s_xor_b64 s[4:5], exec, -1
; %bb.2423:
	s_or_b64 exec, exec, s[8:9]
	s_and_b64 s[4:5], s[4:5], exec
                                        ; implicit-def: $vgpr11
	s_or_saveexec_b64 s[6:7], s[6:7]
	v_mov_b32_e32 v12, s10
	s_xor_b64 exec, exec, s[6:7]
	s_cbranch_execz .LBB18_374
.LBB18_2424:
	v_cmp_ne_u16_e32 vcc, 0, v11
	s_andn2_b64 s[4:5], s[4:5], exec
	s_and_b64 s[8:9], vcc, exec
	v_mov_b32_e32 v12, 0
	s_or_b64 s[4:5], s[4:5], s[8:9]
	s_or_b64 exec, exec, s[6:7]
	s_and_saveexec_b64 s[6:7], s[4:5]
	s_cbranch_execnz .LBB18_375
	s_branch .LBB18_376
.LBB18_2425:
	s_movk_i32 s4, 0x80
	v_cmp_eq_u16_sdwa s[12:13], v17, s4 src0_sel:BYTE_3 src1_sel:DWORD
	s_mov_b64 s[4:5], -1
                                        ; implicit-def: $sgpr10
	s_and_saveexec_b64 s[8:9], s[12:13]
; %bb.2426:
	s_mov_b32 s10, 0x7f800001
	s_xor_b64 s[4:5], exec, -1
; %bb.2427:
	s_or_b64 exec, exec, s[8:9]
	s_and_b64 s[4:5], s[4:5], exec
	s_or_saveexec_b64 s[6:7], s[6:7]
	v_mov_b32_e32 v10, s10
	s_xor_b64 exec, exec, s[6:7]
	s_cbranch_execz .LBB18_378
.LBB18_2428:
	v_mov_b32_e32 v10, 0
	v_cmp_ne_u16_sdwa s[8:9], v17, v10 src0_sel:BYTE_3 src1_sel:DWORD
	s_andn2_b64 s[4:5], s[4:5], exec
	s_and_b64 s[8:9], s[8:9], exec
	s_or_b64 s[4:5], s[4:5], s[8:9]
	s_or_b64 exec, exec, s[6:7]
	s_and_saveexec_b64 s[6:7], s[4:5]
	s_cbranch_execnz .LBB18_379
	s_branch .LBB18_380
.LBB18_2429:
	s_movk_i32 s4, 0x80
	v_cmp_eq_u16_sdwa s[12:13], v13, s4 src0_sel:BYTE_3 src1_sel:DWORD
	s_mov_b64 s[4:5], -1
                                        ; implicit-def: $sgpr10
	s_and_saveexec_b64 s[8:9], s[12:13]
; %bb.2430:
	s_mov_b32 s10, 0x7f800001
	s_xor_b64 s[4:5], exec, -1
; %bb.2431:
	s_or_b64 exec, exec, s[8:9]
	s_and_b64 s[4:5], s[4:5], exec
	s_or_saveexec_b64 s[6:7], s[6:7]
	v_mov_b32_e32 v11, s10
	s_xor_b64 exec, exec, s[6:7]
	s_cbranch_execz .LBB18_382
.LBB18_2432:
	v_mov_b32_e32 v11, 0
	v_cmp_ne_u16_sdwa s[8:9], v13, v11 src0_sel:BYTE_3 src1_sel:DWORD
	s_andn2_b64 s[4:5], s[4:5], exec
	s_and_b64 s[8:9], s[8:9], exec
	s_or_b64 s[4:5], s[4:5], s[8:9]
	s_or_b64 exec, exec, s[6:7]
	s_and_saveexec_b64 s[6:7], s[4:5]
	s_cbranch_execnz .LBB18_383
	s_branch .LBB18_384
.LBB18_2433:
	s_movk_i32 s4, 0x80
	v_cmp_eq_u16_sdwa s[12:13], v6, s4 src0_sel:BYTE_0 src1_sel:DWORD
	s_mov_b64 s[4:5], -1
                                        ; implicit-def: $sgpr10
	s_and_saveexec_b64 s[8:9], s[12:13]
; %bb.2434:
	s_mov_b32 s10, 0x7f800001
	s_xor_b64 s[4:5], exec, -1
; %bb.2435:
	s_or_b64 exec, exec, s[8:9]
	s_and_b64 s[4:5], s[4:5], exec
	s_or_saveexec_b64 s[6:7], s[6:7]
	v_mov_b32_e32 v10, s10
	s_xor_b64 exec, exec, s[6:7]
	s_cbranch_execz .LBB18_386
.LBB18_2436:
	v_mov_b32_e32 v10, 0
	v_cmp_ne_u16_sdwa s[8:9], v6, v10 src0_sel:BYTE_0 src1_sel:DWORD
	s_andn2_b64 s[4:5], s[4:5], exec
	s_and_b64 s[8:9], s[8:9], exec
	s_or_b64 s[4:5], s[4:5], s[8:9]
	s_or_b64 exec, exec, s[6:7]
	s_and_saveexec_b64 s[6:7], s[4:5]
	s_cbranch_execnz .LBB18_387
	s_branch .LBB18_388
.LBB18_2437:
	s_movk_i32 s4, 0x80
	v_cmp_eq_u16_sdwa s[12:13], v2, s4 src0_sel:BYTE_0 src1_sel:DWORD
	s_mov_b64 s[4:5], -1
                                        ; implicit-def: $sgpr10
	s_and_saveexec_b64 s[8:9], s[12:13]
; %bb.2438:
	s_mov_b32 s10, 0x7f800001
	s_xor_b64 s[4:5], exec, -1
; %bb.2439:
	s_or_b64 exec, exec, s[8:9]
	s_and_b64 s[4:5], s[4:5], exec
	s_or_saveexec_b64 s[6:7], s[6:7]
	v_mov_b32_e32 v11, s10
	s_xor_b64 exec, exec, s[6:7]
	s_cbranch_execz .LBB18_390
.LBB18_2440:
	v_mov_b32_e32 v11, 0
	v_cmp_ne_u16_sdwa s[8:9], v2, v11 src0_sel:BYTE_0 src1_sel:DWORD
	s_andn2_b64 s[4:5], s[4:5], exec
	s_and_b64 s[8:9], s[8:9], exec
	s_or_b64 s[4:5], s[4:5], s[8:9]
	s_or_b64 exec, exec, s[6:7]
	s_and_saveexec_b64 s[6:7], s[4:5]
	s_cbranch_execnz .LBB18_391
	s_branch .LBB18_392
.LBB18_2441:
	s_movk_i32 s4, 0x80
	v_cmp_eq_u16_sdwa s[12:13], v11, s4 src0_sel:BYTE_0 src1_sel:DWORD
	s_mov_b64 s[4:5], -1
                                        ; implicit-def: $sgpr10
	s_and_saveexec_b64 s[8:9], s[12:13]
; %bb.2442:
	s_mov_b32 s10, 0x7f800001
	s_xor_b64 s[4:5], exec, -1
; %bb.2443:
	s_or_b64 exec, exec, s[8:9]
	s_and_b64 s[4:5], s[4:5], exec
	s_or_saveexec_b64 s[6:7], s[6:7]
	v_mov_b32_e32 v10, s10
	s_xor_b64 exec, exec, s[6:7]
	s_cbranch_execz .LBB18_394
.LBB18_2444:
	v_mov_b32_e32 v10, 0
	v_cmp_ne_u16_sdwa s[8:9], v11, v10 src0_sel:BYTE_0 src1_sel:DWORD
	s_andn2_b64 s[4:5], s[4:5], exec
	s_and_b64 s[8:9], s[8:9], exec
	s_or_b64 s[4:5], s[4:5], s[8:9]
	s_or_b64 exec, exec, s[6:7]
	s_and_saveexec_b64 s[6:7], s[4:5]
	s_cbranch_execnz .LBB18_395
	s_branch .LBB18_396
.LBB18_2445:
	s_movk_i32 s4, 0x80
	v_cmp_eq_u16_sdwa s[12:13], v11, s4 src0_sel:BYTE_0 src1_sel:DWORD
	s_mov_b64 s[4:5], -1
                                        ; implicit-def: $sgpr10
	s_and_saveexec_b64 s[8:9], s[12:13]
; %bb.2446:
	s_mov_b32 s10, 0x7f800001
	s_xor_b64 s[4:5], exec, -1
; %bb.2447:
	s_or_b64 exec, exec, s[8:9]
	s_and_b64 s[4:5], s[4:5], exec
	s_or_saveexec_b64 s[6:7], s[6:7]
	v_mov_b32_e32 v12, s10
	s_xor_b64 exec, exec, s[6:7]
	s_cbranch_execz .LBB18_398
.LBB18_2448:
	v_mov_b32_e32 v12, 0
	v_cmp_ne_u16_sdwa s[8:9], v11, v12 src0_sel:BYTE_0 src1_sel:DWORD
	s_andn2_b64 s[4:5], s[4:5], exec
	s_and_b64 s[8:9], s[8:9], exec
	s_or_b64 s[4:5], s[4:5], s[8:9]
	s_or_b64 exec, exec, s[6:7]
	s_and_saveexec_b64 s[6:7], s[4:5]
	s_cbranch_execnz .LBB18_399
	s_branch .LBB18_400
.LBB18_2449:
	s_movk_i32 s4, 0x80
	v_cmp_eq_u16_e32 vcc, s4, v11
	s_mov_b64 s[4:5], -1
                                        ; implicit-def: $sgpr10
	s_and_saveexec_b64 s[8:9], vcc
; %bb.2450:
	s_mov_b32 s10, 0x7f800001
	s_xor_b64 s[4:5], exec, -1
; %bb.2451:
	s_or_b64 exec, exec, s[8:9]
	s_and_b64 s[4:5], s[4:5], exec
                                        ; implicit-def: $vgpr11
	s_or_saveexec_b64 s[6:7], s[6:7]
	v_mov_b32_e32 v10, s10
	s_xor_b64 exec, exec, s[6:7]
	s_cbranch_execz .LBB18_402
.LBB18_2452:
	v_cmp_ne_u16_e32 vcc, 0, v11
	s_andn2_b64 s[4:5], s[4:5], exec
	s_and_b64 s[8:9], vcc, exec
	v_mov_b32_e32 v10, 0
	s_or_b64 s[4:5], s[4:5], s[8:9]
	s_or_b64 exec, exec, s[6:7]
	s_and_saveexec_b64 s[6:7], s[4:5]
	s_cbranch_execnz .LBB18_403
	s_branch .LBB18_404
.LBB18_2453:
	s_movk_i32 s4, 0x80
	v_cmp_eq_u16_e32 vcc, s4, v11
	s_mov_b64 s[4:5], -1
                                        ; implicit-def: $sgpr10
	s_and_saveexec_b64 s[8:9], vcc
; %bb.2454:
	s_mov_b32 s10, 0x7f800001
	s_xor_b64 s[4:5], exec, -1
; %bb.2455:
	s_or_b64 exec, exec, s[8:9]
	s_and_b64 s[4:5], s[4:5], exec
                                        ; implicit-def: $vgpr11
	s_or_saveexec_b64 s[6:7], s[6:7]
	v_mov_b32_e32 v12, s10
	s_xor_b64 exec, exec, s[6:7]
	s_cbranch_execz .LBB18_406
.LBB18_2456:
	v_cmp_ne_u16_e32 vcc, 0, v11
	s_andn2_b64 s[4:5], s[4:5], exec
	s_and_b64 s[8:9], vcc, exec
	v_mov_b32_e32 v12, 0
	s_or_b64 s[4:5], s[4:5], s[8:9]
	s_or_b64 exec, exec, s[6:7]
	s_and_saveexec_b64 s[6:7], s[4:5]
	s_cbranch_execnz .LBB18_407
	s_branch .LBB18_408
.LBB18_2457:
	s_movk_i32 s4, 0x80
	v_cmp_eq_u16_sdwa s[12:13], v6, s4 src0_sel:BYTE_3 src1_sel:DWORD
	s_mov_b64 s[4:5], -1
                                        ; implicit-def: $sgpr10
	s_and_saveexec_b64 s[8:9], s[12:13]
; %bb.2458:
	s_mov_b32 s10, 0x7f800001
	s_xor_b64 s[4:5], exec, -1
; %bb.2459:
	s_or_b64 exec, exec, s[8:9]
	s_and_b64 s[4:5], s[4:5], exec
	s_or_saveexec_b64 s[6:7], s[6:7]
	v_mov_b32_e32 v10, s10
	s_xor_b64 exec, exec, s[6:7]
	s_cbranch_execz .LBB18_410
.LBB18_2460:
	v_mov_b32_e32 v10, 0
	v_cmp_ne_u16_sdwa s[8:9], v6, v10 src0_sel:BYTE_3 src1_sel:DWORD
	s_andn2_b64 s[4:5], s[4:5], exec
	s_and_b64 s[8:9], s[8:9], exec
	s_or_b64 s[4:5], s[4:5], s[8:9]
	s_or_b64 exec, exec, s[6:7]
	s_and_saveexec_b64 s[6:7], s[4:5]
	s_cbranch_execnz .LBB18_411
	s_branch .LBB18_412
.LBB18_2461:
	s_movk_i32 s4, 0x80
	v_cmp_eq_u16_sdwa s[12:13], v2, s4 src0_sel:BYTE_3 src1_sel:DWORD
	s_mov_b64 s[4:5], -1
                                        ; implicit-def: $sgpr10
	s_and_saveexec_b64 s[8:9], s[12:13]
; %bb.2462:
	s_mov_b32 s10, 0x7f800001
	s_xor_b64 s[4:5], exec, -1
; %bb.2463:
	s_or_b64 exec, exec, s[8:9]
	s_and_b64 s[4:5], s[4:5], exec
	s_or_saveexec_b64 s[6:7], s[6:7]
	v_mov_b32_e32 v6, s10
	s_xor_b64 exec, exec, s[6:7]
	s_cbranch_execz .LBB18_414
.LBB18_2464:
	v_mov_b32_e32 v6, 0
	v_cmp_ne_u16_sdwa s[8:9], v2, v6 src0_sel:BYTE_3 src1_sel:DWORD
	s_andn2_b64 s[4:5], s[4:5], exec
	s_and_b64 s[8:9], s[8:9], exec
	s_or_b64 s[4:5], s[4:5], s[8:9]
	s_or_b64 exec, exec, s[6:7]
	s_and_saveexec_b64 s[6:7], s[4:5]
	s_cbranch_execnz .LBB18_415
	s_branch .LBB18_416
.LBB18_2465:
	s_movk_i32 s4, 0x80
	v_cmp_eq_u16_sdwa s[12:13], v7, s4 src0_sel:BYTE_0 src1_sel:DWORD
	s_mov_b64 s[4:5], -1
                                        ; implicit-def: $sgpr10
	s_and_saveexec_b64 s[8:9], s[12:13]
; %bb.2466:
	s_mov_b32 s10, 0x7f800001
	s_xor_b64 s[4:5], exec, -1
; %bb.2467:
	s_or_b64 exec, exec, s[8:9]
	s_and_b64 s[4:5], s[4:5], exec
	s_or_saveexec_b64 s[6:7], s[6:7]
	v_mov_b32_e32 v2, s10
	s_xor_b64 exec, exec, s[6:7]
	s_cbranch_execz .LBB18_418
.LBB18_2468:
	v_mov_b32_e32 v2, 0
	v_cmp_ne_u16_sdwa s[8:9], v7, v2 src0_sel:BYTE_0 src1_sel:DWORD
	s_andn2_b64 s[4:5], s[4:5], exec
	s_and_b64 s[8:9], s[8:9], exec
	s_or_b64 s[4:5], s[4:5], s[8:9]
	s_or_b64 exec, exec, s[6:7]
	s_and_saveexec_b64 s[6:7], s[4:5]
	s_cbranch_execnz .LBB18_419
	s_branch .LBB18_420
.LBB18_2469:
	s_movk_i32 s4, 0x80
	v_cmp_eq_u16_sdwa s[12:13], v3, s4 src0_sel:BYTE_0 src1_sel:DWORD
	s_mov_b64 s[4:5], -1
                                        ; implicit-def: $sgpr10
	s_and_saveexec_b64 s[8:9], s[12:13]
; %bb.2470:
	s_mov_b32 s10, 0x7f800001
	s_xor_b64 s[4:5], exec, -1
; %bb.2471:
	s_or_b64 exec, exec, s[8:9]
	s_and_b64 s[4:5], s[4:5], exec
	s_or_saveexec_b64 s[6:7], s[6:7]
	v_mov_b32_e32 v6, s10
	s_xor_b64 exec, exec, s[6:7]
	s_cbranch_execz .LBB18_422
.LBB18_2472:
	v_mov_b32_e32 v6, 0
	v_cmp_ne_u16_sdwa s[8:9], v3, v6 src0_sel:BYTE_0 src1_sel:DWORD
	s_andn2_b64 s[4:5], s[4:5], exec
	s_and_b64 s[8:9], s[8:9], exec
	s_or_b64 s[4:5], s[4:5], s[8:9]
	s_or_b64 exec, exec, s[6:7]
	s_and_saveexec_b64 s[6:7], s[4:5]
	s_cbranch_execnz .LBB18_423
	s_branch .LBB18_424
.LBB18_2473:
	s_movk_i32 s4, 0x80
	v_cmp_eq_u16_sdwa s[12:13], v6, s4 src0_sel:BYTE_0 src1_sel:DWORD
	s_mov_b64 s[4:5], -1
                                        ; implicit-def: $sgpr10
	s_and_saveexec_b64 s[8:9], s[12:13]
; %bb.2474:
	s_mov_b32 s10, 0x7f800001
	s_xor_b64 s[4:5], exec, -1
; %bb.2475:
	s_or_b64 exec, exec, s[8:9]
	s_and_b64 s[4:5], s[4:5], exec
	s_or_saveexec_b64 s[6:7], s[6:7]
	v_mov_b32_e32 v2, s10
	s_xor_b64 exec, exec, s[6:7]
	s_cbranch_execz .LBB18_426
.LBB18_2476:
	v_mov_b32_e32 v2, 0
	v_cmp_ne_u16_sdwa s[8:9], v6, v2 src0_sel:BYTE_0 src1_sel:DWORD
	s_andn2_b64 s[4:5], s[4:5], exec
	s_and_b64 s[8:9], s[8:9], exec
	s_or_b64 s[4:5], s[4:5], s[8:9]
	s_or_b64 exec, exec, s[6:7]
	s_and_saveexec_b64 s[6:7], s[4:5]
	s_cbranch_execnz .LBB18_427
	s_branch .LBB18_428
.LBB18_2477:
	s_movk_i32 s4, 0x80
	v_cmp_eq_u16_sdwa s[12:13], v6, s4 src0_sel:BYTE_0 src1_sel:DWORD
	s_mov_b64 s[4:5], -1
                                        ; implicit-def: $sgpr10
	s_and_saveexec_b64 s[8:9], s[12:13]
; %bb.2478:
	s_mov_b32 s10, 0x7f800001
	s_xor_b64 s[4:5], exec, -1
; %bb.2479:
	s_or_b64 exec, exec, s[8:9]
	s_and_b64 s[4:5], s[4:5], exec
	s_or_saveexec_b64 s[6:7], s[6:7]
	v_mov_b32_e32 v10, s10
	s_xor_b64 exec, exec, s[6:7]
	s_cbranch_execz .LBB18_430
.LBB18_2480:
	v_mov_b32_e32 v10, 0
	v_cmp_ne_u16_sdwa s[8:9], v6, v10 src0_sel:BYTE_0 src1_sel:DWORD
	s_andn2_b64 s[4:5], s[4:5], exec
	s_and_b64 s[8:9], s[8:9], exec
	s_or_b64 s[4:5], s[4:5], s[8:9]
	s_or_b64 exec, exec, s[6:7]
	s_and_saveexec_b64 s[6:7], s[4:5]
	s_cbranch_execnz .LBB18_431
	s_branch .LBB18_432
.LBB18_2481:
	s_movk_i32 s4, 0x80
	v_cmp_eq_u16_e32 vcc, s4, v6
	s_mov_b64 s[4:5], -1
                                        ; implicit-def: $sgpr10
	s_and_saveexec_b64 s[8:9], vcc
; %bb.2482:
	s_mov_b32 s10, 0x7f800001
	s_xor_b64 s[4:5], exec, -1
; %bb.2483:
	s_or_b64 exec, exec, s[8:9]
	s_and_b64 s[4:5], s[4:5], exec
                                        ; implicit-def: $vgpr6
	s_or_saveexec_b64 s[6:7], s[6:7]
	v_mov_b32_e32 v2, s10
	s_xor_b64 exec, exec, s[6:7]
	s_cbranch_execz .LBB18_434
.LBB18_2484:
	v_cmp_ne_u16_e32 vcc, 0, v6
	s_andn2_b64 s[4:5], s[4:5], exec
	s_and_b64 s[8:9], vcc, exec
	v_mov_b32_e32 v2, 0
	s_or_b64 s[4:5], s[4:5], s[8:9]
	s_or_b64 exec, exec, s[6:7]
	s_and_saveexec_b64 s[6:7], s[4:5]
	s_cbranch_execnz .LBB18_435
	s_branch .LBB18_436
.LBB18_2485:
	s_movk_i32 s4, 0x80
	v_cmp_eq_u16_e32 vcc, s4, v6
	s_mov_b64 s[4:5], -1
                                        ; implicit-def: $sgpr10
	s_and_saveexec_b64 s[8:9], vcc
; %bb.2486:
	s_mov_b32 s10, 0x7f800001
	s_xor_b64 s[4:5], exec, -1
; %bb.2487:
	s_or_b64 exec, exec, s[8:9]
	s_and_b64 s[4:5], s[4:5], exec
                                        ; implicit-def: $vgpr6
	s_or_saveexec_b64 s[6:7], s[6:7]
	v_mov_b32_e32 v10, s10
	s_xor_b64 exec, exec, s[6:7]
	s_cbranch_execz .LBB18_438
.LBB18_2488:
	v_cmp_ne_u16_e32 vcc, 0, v6
	s_andn2_b64 s[4:5], s[4:5], exec
	s_and_b64 s[8:9], vcc, exec
	v_mov_b32_e32 v10, 0
	s_or_b64 s[4:5], s[4:5], s[8:9]
	s_or_b64 exec, exec, s[6:7]
	s_and_saveexec_b64 s[6:7], s[4:5]
	s_cbranch_execnz .LBB18_439
	s_branch .LBB18_440
.LBB18_2489:
	s_movk_i32 s4, 0x80
	v_cmp_eq_u16_sdwa s[12:13], v7, s4 src0_sel:BYTE_3 src1_sel:DWORD
	s_mov_b64 s[4:5], -1
                                        ; implicit-def: $sgpr10
	s_and_saveexec_b64 s[8:9], s[12:13]
; %bb.2490:
	s_mov_b32 s10, 0x7f800001
	s_xor_b64 s[4:5], exec, -1
; %bb.2491:
	s_or_b64 exec, exec, s[8:9]
	s_and_b64 s[4:5], s[4:5], exec
	s_or_saveexec_b64 s[6:7], s[6:7]
	v_mov_b32_e32 v2, s10
	s_xor_b64 exec, exec, s[6:7]
	s_cbranch_execz .LBB18_442
.LBB18_2492:
	v_mov_b32_e32 v2, 0
	v_cmp_ne_u16_sdwa s[8:9], v7, v2 src0_sel:BYTE_3 src1_sel:DWORD
	s_andn2_b64 s[4:5], s[4:5], exec
	s_and_b64 s[8:9], s[8:9], exec
	s_or_b64 s[4:5], s[4:5], s[8:9]
	s_or_b64 exec, exec, s[6:7]
	s_and_saveexec_b64 s[6:7], s[4:5]
	s_cbranch_execnz .LBB18_443
	s_branch .LBB18_444
.LBB18_2493:
	s_movk_i32 s4, 0x80
	v_cmp_eq_u16_sdwa s[12:13], v3, s4 src0_sel:BYTE_3 src1_sel:DWORD
	s_mov_b64 s[4:5], -1
                                        ; implicit-def: $sgpr10
	s_and_saveexec_b64 s[8:9], s[12:13]
; %bb.2494:
	s_mov_b32 s10, 0x7f800001
	s_xor_b64 s[4:5], exec, -1
; %bb.2495:
	s_or_b64 exec, exec, s[8:9]
	s_and_b64 s[4:5], s[4:5], exec
	s_or_saveexec_b64 s[6:7], s[6:7]
	v_mov_b32_e32 v6, s10
	s_xor_b64 exec, exec, s[6:7]
	s_cbranch_execz .LBB18_446
.LBB18_2496:
	v_mov_b32_e32 v6, 0
	v_cmp_ne_u16_sdwa s[8:9], v3, v6 src0_sel:BYTE_3 src1_sel:DWORD
	s_andn2_b64 s[4:5], s[4:5], exec
	s_and_b64 s[8:9], s[8:9], exec
	s_or_b64 s[4:5], s[4:5], s[8:9]
	s_or_b64 exec, exec, s[6:7]
	s_and_saveexec_b64 s[6:7], s[4:5]
	s_cbranch_execnz .LBB18_447
	s_branch .LBB18_448
.LBB18_2497:
	s_movk_i32 s4, 0x80
	v_cmp_eq_u16_sdwa s[12:13], v8, s4 src0_sel:BYTE_0 src1_sel:DWORD
	s_mov_b64 s[4:5], -1
                                        ; implicit-def: $sgpr10
	s_and_saveexec_b64 s[8:9], s[12:13]
; %bb.2498:
	s_mov_b32 s10, 0x7f800001
	s_xor_b64 s[4:5], exec, -1
; %bb.2499:
	s_or_b64 exec, exec, s[8:9]
	s_and_b64 s[4:5], s[4:5], exec
	s_or_saveexec_b64 s[6:7], s[6:7]
	v_mov_b32_e32 v2, s10
	s_xor_b64 exec, exec, s[6:7]
	s_cbranch_execz .LBB18_450
.LBB18_2500:
	v_mov_b32_e32 v2, 0
	v_cmp_ne_u16_sdwa s[8:9], v8, v2 src0_sel:BYTE_0 src1_sel:DWORD
	s_andn2_b64 s[4:5], s[4:5], exec
	s_and_b64 s[8:9], s[8:9], exec
	s_or_b64 s[4:5], s[4:5], s[8:9]
	s_or_b64 exec, exec, s[6:7]
	s_and_saveexec_b64 s[6:7], s[4:5]
	s_cbranch_execnz .LBB18_451
	s_branch .LBB18_452
.LBB18_2501:
	s_movk_i32 s4, 0x80
	v_cmp_eq_u16_sdwa s[12:13], v4, s4 src0_sel:BYTE_0 src1_sel:DWORD
	s_mov_b64 s[4:5], -1
                                        ; implicit-def: $sgpr10
	s_and_saveexec_b64 s[8:9], s[12:13]
; %bb.2502:
	s_mov_b32 s10, 0x7f800001
	s_xor_b64 s[4:5], exec, -1
; %bb.2503:
	s_or_b64 exec, exec, s[8:9]
	s_and_b64 s[4:5], s[4:5], exec
	s_or_saveexec_b64 s[6:7], s[6:7]
	v_mov_b32_e32 v3, s10
	s_xor_b64 exec, exec, s[6:7]
	s_cbranch_execz .LBB18_454
.LBB18_2504:
	v_mov_b32_e32 v3, 0
	v_cmp_ne_u16_sdwa s[8:9], v4, v3 src0_sel:BYTE_0 src1_sel:DWORD
	s_andn2_b64 s[4:5], s[4:5], exec
	s_and_b64 s[8:9], s[8:9], exec
	s_or_b64 s[4:5], s[4:5], s[8:9]
	s_or_b64 exec, exec, s[6:7]
	s_and_saveexec_b64 s[6:7], s[4:5]
	s_cbranch_execnz .LBB18_455
	s_branch .LBB18_456
.LBB18_2505:
	s_movk_i32 s4, 0x80
	v_cmp_eq_u16_sdwa s[12:13], v3, s4 src0_sel:BYTE_0 src1_sel:DWORD
	s_mov_b64 s[4:5], -1
                                        ; implicit-def: $sgpr10
	s_and_saveexec_b64 s[8:9], s[12:13]
; %bb.2506:
	s_mov_b32 s10, 0x7f800001
	s_xor_b64 s[4:5], exec, -1
; %bb.2507:
	s_or_b64 exec, exec, s[8:9]
	s_and_b64 s[4:5], s[4:5], exec
	s_or_saveexec_b64 s[6:7], s[6:7]
	v_mov_b32_e32 v2, s10
	s_xor_b64 exec, exec, s[6:7]
	s_cbranch_execz .LBB18_458
.LBB18_2508:
	v_mov_b32_e32 v2, 0
	v_cmp_ne_u16_sdwa s[8:9], v3, v2 src0_sel:BYTE_0 src1_sel:DWORD
	s_andn2_b64 s[4:5], s[4:5], exec
	s_and_b64 s[8:9], s[8:9], exec
	s_or_b64 s[4:5], s[4:5], s[8:9]
	s_or_b64 exec, exec, s[6:7]
	s_and_saveexec_b64 s[6:7], s[4:5]
	s_cbranch_execnz .LBB18_459
	s_branch .LBB18_460
.LBB18_2509:
	s_movk_i32 s4, 0x80
	v_cmp_eq_u16_sdwa s[12:13], v3, s4 src0_sel:BYTE_0 src1_sel:DWORD
	s_mov_b64 s[4:5], -1
                                        ; implicit-def: $sgpr10
	s_and_saveexec_b64 s[8:9], s[12:13]
; %bb.2510:
	s_mov_b32 s10, 0x7f800001
	s_xor_b64 s[4:5], exec, -1
; %bb.2511:
	s_or_b64 exec, exec, s[8:9]
	s_and_b64 s[4:5], s[4:5], exec
	s_or_saveexec_b64 s[6:7], s[6:7]
	v_mov_b32_e32 v6, s10
	s_xor_b64 exec, exec, s[6:7]
	s_cbranch_execz .LBB18_462
.LBB18_2512:
	v_mov_b32_e32 v6, 0
	v_cmp_ne_u16_sdwa s[8:9], v3, v6 src0_sel:BYTE_0 src1_sel:DWORD
	s_andn2_b64 s[4:5], s[4:5], exec
	s_and_b64 s[8:9], s[8:9], exec
	s_or_b64 s[4:5], s[4:5], s[8:9]
	s_or_b64 exec, exec, s[6:7]
	s_and_saveexec_b64 s[6:7], s[4:5]
	s_cbranch_execnz .LBB18_463
	s_branch .LBB18_464
.LBB18_2513:
	s_movk_i32 s4, 0x80
	v_cmp_eq_u16_e32 vcc, s4, v3
	s_mov_b64 s[4:5], -1
                                        ; implicit-def: $sgpr10
	s_and_saveexec_b64 s[8:9], vcc
; %bb.2514:
	s_mov_b32 s10, 0x7f800001
	s_xor_b64 s[4:5], exec, -1
; %bb.2515:
	s_or_b64 exec, exec, s[8:9]
	s_and_b64 s[4:5], s[4:5], exec
                                        ; implicit-def: $vgpr3
	s_or_saveexec_b64 s[6:7], s[6:7]
	v_mov_b32_e32 v2, s10
	s_xor_b64 exec, exec, s[6:7]
	s_cbranch_execz .LBB18_466
.LBB18_2516:
	v_cmp_ne_u16_e32 vcc, 0, v3
	s_andn2_b64 s[4:5], s[4:5], exec
	s_and_b64 s[8:9], vcc, exec
	v_mov_b32_e32 v2, 0
	s_or_b64 s[4:5], s[4:5], s[8:9]
	s_or_b64 exec, exec, s[6:7]
	s_and_saveexec_b64 s[6:7], s[4:5]
	s_cbranch_execnz .LBB18_467
	s_branch .LBB18_468
.LBB18_2517:
	s_movk_i32 s4, 0x80
	v_cmp_eq_u16_e32 vcc, s4, v3
	s_mov_b64 s[4:5], -1
                                        ; implicit-def: $sgpr10
	s_and_saveexec_b64 s[8:9], vcc
; %bb.2518:
	s_mov_b32 s10, 0x7f800001
	s_xor_b64 s[4:5], exec, -1
; %bb.2519:
	s_or_b64 exec, exec, s[8:9]
	s_and_b64 s[4:5], s[4:5], exec
                                        ; implicit-def: $vgpr3
	s_or_saveexec_b64 s[6:7], s[6:7]
	v_mov_b32_e32 v6, s10
	s_xor_b64 exec, exec, s[6:7]
	s_cbranch_execz .LBB18_470
.LBB18_2520:
	v_cmp_ne_u16_e32 vcc, 0, v3
	s_andn2_b64 s[4:5], s[4:5], exec
	s_and_b64 s[8:9], vcc, exec
	v_mov_b32_e32 v6, 0
	s_or_b64 s[4:5], s[4:5], s[8:9]
	s_or_b64 exec, exec, s[6:7]
	s_and_saveexec_b64 s[6:7], s[4:5]
	s_cbranch_execnz .LBB18_471
	s_branch .LBB18_472
.LBB18_2521:
	s_movk_i32 s4, 0x80
	v_cmp_eq_u16_sdwa s[12:13], v8, s4 src0_sel:BYTE_3 src1_sel:DWORD
	s_mov_b64 s[4:5], -1
                                        ; implicit-def: $sgpr10
	s_and_saveexec_b64 s[8:9], s[12:13]
; %bb.2522:
	s_mov_b32 s10, 0x7f800001
	s_xor_b64 s[4:5], exec, -1
; %bb.2523:
	s_or_b64 exec, exec, s[8:9]
	s_and_b64 s[4:5], s[4:5], exec
	s_or_saveexec_b64 s[6:7], s[6:7]
	v_mov_b32_e32 v2, s10
	s_xor_b64 exec, exec, s[6:7]
	s_cbranch_execz .LBB18_474
.LBB18_2524:
	v_mov_b32_e32 v2, 0
	v_cmp_ne_u16_sdwa s[8:9], v8, v2 src0_sel:BYTE_3 src1_sel:DWORD
	s_andn2_b64 s[4:5], s[4:5], exec
	s_and_b64 s[8:9], s[8:9], exec
	s_or_b64 s[4:5], s[4:5], s[8:9]
	s_or_b64 exec, exec, s[6:7]
	s_and_saveexec_b64 s[6:7], s[4:5]
	s_cbranch_execnz .LBB18_475
	s_branch .LBB18_476
.LBB18_2525:
	s_movk_i32 s4, 0x80
	v_cmp_eq_u16_sdwa s[12:13], v4, s4 src0_sel:BYTE_3 src1_sel:DWORD
	s_mov_b64 s[4:5], -1
                                        ; implicit-def: $sgpr10
	s_and_saveexec_b64 s[8:9], s[12:13]
; %bb.2526:
	s_mov_b32 s10, 0x7f800001
	s_xor_b64 s[4:5], exec, -1
; %bb.2527:
	s_or_b64 exec, exec, s[8:9]
	s_and_b64 s[4:5], s[4:5], exec
	s_or_saveexec_b64 s[6:7], s[6:7]
	v_mov_b32_e32 v3, s10
	s_xor_b64 exec, exec, s[6:7]
	s_cbranch_execz .LBB18_478
.LBB18_2528:
	v_mov_b32_e32 v3, 0
	v_cmp_ne_u16_sdwa s[8:9], v4, v3 src0_sel:BYTE_3 src1_sel:DWORD
	s_andn2_b64 s[4:5], s[4:5], exec
	s_and_b64 s[8:9], s[8:9], exec
	s_or_b64 s[4:5], s[4:5], s[8:9]
	s_or_b64 exec, exec, s[6:7]
	s_and_saveexec_b64 s[6:7], s[4:5]
	s_cbranch_execnz .LBB18_479
	s_branch .LBB18_480
.LBB18_2529:
	s_movk_i32 s4, 0x80
	v_cmp_eq_u16_sdwa s[12:13], v9, s4 src0_sel:BYTE_0 src1_sel:DWORD
	s_mov_b64 s[4:5], -1
                                        ; implicit-def: $sgpr10
	s_and_saveexec_b64 s[8:9], s[12:13]
; %bb.2530:
	s_mov_b32 s10, 0x7f800001
	s_xor_b64 s[4:5], exec, -1
; %bb.2531:
	s_or_b64 exec, exec, s[8:9]
	s_and_b64 s[4:5], s[4:5], exec
	s_or_saveexec_b64 s[6:7], s[6:7]
	v_mov_b32_e32 v2, s10
	s_xor_b64 exec, exec, s[6:7]
	s_cbranch_execz .LBB18_482
.LBB18_2532:
	v_mov_b32_e32 v2, 0
	v_cmp_ne_u16_sdwa s[8:9], v9, v2 src0_sel:BYTE_0 src1_sel:DWORD
	s_andn2_b64 s[4:5], s[4:5], exec
	s_and_b64 s[8:9], s[8:9], exec
	s_or_b64 s[4:5], s[4:5], s[8:9]
	s_or_b64 exec, exec, s[6:7]
	s_and_saveexec_b64 s[6:7], s[4:5]
	s_cbranch_execnz .LBB18_483
	s_branch .LBB18_484
.LBB18_2533:
	s_movk_i32 s4, 0x80
	v_cmp_eq_u16_sdwa s[12:13], v5, s4 src0_sel:BYTE_0 src1_sel:DWORD
	s_mov_b64 s[4:5], -1
                                        ; implicit-def: $sgpr10
	s_and_saveexec_b64 s[8:9], s[12:13]
; %bb.2534:
	s_mov_b32 s10, 0x7f800001
	s_xor_b64 s[4:5], exec, -1
; %bb.2535:
	s_or_b64 exec, exec, s[8:9]
	s_and_b64 s[4:5], s[4:5], exec
	s_or_saveexec_b64 s[6:7], s[6:7]
	v_mov_b32_e32 v3, s10
	s_xor_b64 exec, exec, s[6:7]
	s_cbranch_execz .LBB18_486
.LBB18_2536:
	v_mov_b32_e32 v3, 0
	v_cmp_ne_u16_sdwa s[8:9], v5, v3 src0_sel:BYTE_0 src1_sel:DWORD
	s_andn2_b64 s[4:5], s[4:5], exec
	s_and_b64 s[8:9], s[8:9], exec
	s_or_b64 s[4:5], s[4:5], s[8:9]
	s_or_b64 exec, exec, s[6:7]
	s_and_saveexec_b64 s[6:7], s[4:5]
	s_cbranch_execnz .LBB18_487
	s_branch .LBB18_488
.LBB18_2537:
	s_movk_i32 s4, 0x80
	v_cmp_eq_u16_sdwa s[12:13], v3, s4 src0_sel:BYTE_0 src1_sel:DWORD
	s_mov_b64 s[4:5], -1
                                        ; implicit-def: $sgpr10
	s_and_saveexec_b64 s[8:9], s[12:13]
; %bb.2538:
	s_mov_b32 s10, 0x7f800001
	s_xor_b64 s[4:5], exec, -1
; %bb.2539:
	s_or_b64 exec, exec, s[8:9]
	s_and_b64 s[4:5], s[4:5], exec
	s_or_saveexec_b64 s[6:7], s[6:7]
	v_mov_b32_e32 v2, s10
	s_xor_b64 exec, exec, s[6:7]
	s_cbranch_execz .LBB18_490
.LBB18_2540:
	v_mov_b32_e32 v2, 0
	v_cmp_ne_u16_sdwa s[8:9], v3, v2 src0_sel:BYTE_0 src1_sel:DWORD
	s_andn2_b64 s[4:5], s[4:5], exec
	s_and_b64 s[8:9], s[8:9], exec
	s_or_b64 s[4:5], s[4:5], s[8:9]
	s_or_b64 exec, exec, s[6:7]
	s_and_saveexec_b64 s[6:7], s[4:5]
	s_cbranch_execnz .LBB18_491
	s_branch .LBB18_492
.LBB18_2541:
	s_movk_i32 s4, 0x80
	v_cmp_eq_u16_sdwa s[12:13], v3, s4 src0_sel:BYTE_0 src1_sel:DWORD
	s_mov_b64 s[4:5], -1
                                        ; implicit-def: $sgpr10
	s_and_saveexec_b64 s[8:9], s[12:13]
; %bb.2542:
	s_mov_b32 s10, 0x7f800001
	s_xor_b64 s[4:5], exec, -1
; %bb.2543:
	s_or_b64 exec, exec, s[8:9]
	s_and_b64 s[4:5], s[4:5], exec
	s_or_saveexec_b64 s[6:7], s[6:7]
	v_mov_b32_e32 v4, s10
	s_xor_b64 exec, exec, s[6:7]
	s_cbranch_execz .LBB18_494
.LBB18_2544:
	v_mov_b32_e32 v4, 0
	v_cmp_ne_u16_sdwa s[8:9], v3, v4 src0_sel:BYTE_0 src1_sel:DWORD
	s_andn2_b64 s[4:5], s[4:5], exec
	s_and_b64 s[8:9], s[8:9], exec
	s_or_b64 s[4:5], s[4:5], s[8:9]
	s_or_b64 exec, exec, s[6:7]
	s_and_saveexec_b64 s[6:7], s[4:5]
	s_cbranch_execnz .LBB18_495
	s_branch .LBB18_496
.LBB18_2545:
	s_movk_i32 s4, 0x80
	v_cmp_eq_u16_e32 vcc, s4, v3
	s_mov_b64 s[4:5], -1
                                        ; implicit-def: $sgpr10
	s_and_saveexec_b64 s[8:9], vcc
; %bb.2546:
	s_mov_b32 s10, 0x7f800001
	s_xor_b64 s[4:5], exec, -1
; %bb.2547:
	s_or_b64 exec, exec, s[8:9]
	s_and_b64 s[4:5], s[4:5], exec
                                        ; implicit-def: $vgpr3
	s_or_saveexec_b64 s[6:7], s[6:7]
	v_mov_b32_e32 v2, s10
	s_xor_b64 exec, exec, s[6:7]
	s_cbranch_execz .LBB18_498
.LBB18_2548:
	v_cmp_ne_u16_e32 vcc, 0, v3
	s_andn2_b64 s[4:5], s[4:5], exec
	s_and_b64 s[8:9], vcc, exec
	v_mov_b32_e32 v2, 0
	s_or_b64 s[4:5], s[4:5], s[8:9]
	s_or_b64 exec, exec, s[6:7]
	s_and_saveexec_b64 s[6:7], s[4:5]
	s_cbranch_execnz .LBB18_499
	s_branch .LBB18_500
.LBB18_2549:
	s_movk_i32 s4, 0x80
	v_cmp_eq_u16_e32 vcc, s4, v3
	s_mov_b64 s[4:5], -1
                                        ; implicit-def: $sgpr10
	s_and_saveexec_b64 s[8:9], vcc
; %bb.2550:
	s_mov_b32 s10, 0x7f800001
	s_xor_b64 s[4:5], exec, -1
; %bb.2551:
	s_or_b64 exec, exec, s[8:9]
	s_and_b64 s[4:5], s[4:5], exec
                                        ; implicit-def: $vgpr3
	s_or_saveexec_b64 s[6:7], s[6:7]
	v_mov_b32_e32 v4, s10
	s_xor_b64 exec, exec, s[6:7]
	s_cbranch_execz .LBB18_502
.LBB18_2552:
	v_cmp_ne_u16_e32 vcc, 0, v3
	s_andn2_b64 s[4:5], s[4:5], exec
	s_and_b64 s[8:9], vcc, exec
	v_mov_b32_e32 v4, 0
	s_or_b64 s[4:5], s[4:5], s[8:9]
	s_or_b64 exec, exec, s[6:7]
	s_and_saveexec_b64 s[6:7], s[4:5]
	s_cbranch_execnz .LBB18_503
	s_branch .LBB18_504
.LBB18_2553:
	s_movk_i32 s4, 0x80
	v_cmp_eq_u16_sdwa s[12:13], v9, s4 src0_sel:BYTE_3 src1_sel:DWORD
	s_mov_b64 s[4:5], -1
                                        ; implicit-def: $sgpr10
	s_and_saveexec_b64 s[8:9], s[12:13]
; %bb.2554:
	s_mov_b32 s10, 0x7f800001
	s_xor_b64 s[4:5], exec, -1
; %bb.2555:
	s_or_b64 exec, exec, s[8:9]
	s_and_b64 s[4:5], s[4:5], exec
	s_or_saveexec_b64 s[6:7], s[6:7]
	v_mov_b32_e32 v2, s10
	s_xor_b64 exec, exec, s[6:7]
	s_cbranch_execz .LBB18_506
.LBB18_2556:
	v_mov_b32_e32 v2, 0
	v_cmp_ne_u16_sdwa s[8:9], v9, v2 src0_sel:BYTE_3 src1_sel:DWORD
	s_andn2_b64 s[4:5], s[4:5], exec
	s_and_b64 s[8:9], s[8:9], exec
	s_or_b64 s[4:5], s[4:5], s[8:9]
	s_or_b64 exec, exec, s[6:7]
	s_and_saveexec_b64 s[6:7], s[4:5]
	s_cbranch_execnz .LBB18_507
	s_branch .LBB18_508
.LBB18_2557:
	s_movk_i32 s4, 0x80
	v_cmp_eq_u16_sdwa s[12:13], v5, s4 src0_sel:BYTE_3 src1_sel:DWORD
	s_mov_b64 s[4:5], -1
                                        ; implicit-def: $sgpr10
	s_and_saveexec_b64 s[8:9], s[12:13]
; %bb.2558:
	s_mov_b32 s10, 0x7f800001
	s_xor_b64 s[4:5], exec, -1
; %bb.2559:
	s_or_b64 exec, exec, s[8:9]
	s_and_b64 s[4:5], s[4:5], exec
	s_or_saveexec_b64 s[6:7], s[6:7]
	v_mov_b32_e32 v3, s10
	s_xor_b64 exec, exec, s[6:7]
	s_cbranch_execz .LBB18_510
.LBB18_2560:
	v_mov_b32_e32 v3, 0
	v_cmp_ne_u16_sdwa s[8:9], v5, v3 src0_sel:BYTE_3 src1_sel:DWORD
	s_andn2_b64 s[4:5], s[4:5], exec
	s_and_b64 s[8:9], s[8:9], exec
	s_or_b64 s[4:5], s[4:5], s[8:9]
	s_or_b64 exec, exec, s[6:7]
	s_and_saveexec_b64 s[6:7], s[4:5]
	s_cbranch_execnz .LBB18_511
	s_branch .LBB18_512
.LBB18_2561:
	s_movk_i32 s4, 0x80
	v_cmp_eq_u16_sdwa s[12:13], v14, s4 src0_sel:BYTE_0 src1_sel:DWORD
	s_mov_b64 s[4:5], -1
                                        ; implicit-def: $sgpr10
	s_and_saveexec_b64 s[8:9], s[12:13]
; %bb.2562:
	s_mov_b32 s10, 0x7f800001
	s_xor_b64 s[4:5], exec, -1
; %bb.2563:
	s_or_b64 exec, exec, s[8:9]
	s_and_b64 s[4:5], s[4:5], exec
	s_or_saveexec_b64 s[6:7], s[6:7]
	v_mov_b32_e32 v20, s10
	s_xor_b64 exec, exec, s[6:7]
	s_cbranch_execz .LBB18_514
.LBB18_2564:
	v_mov_b32_e32 v20, 0
	v_cmp_ne_u16_sdwa s[8:9], v14, v20 src0_sel:BYTE_0 src1_sel:DWORD
	s_andn2_b64 s[4:5], s[4:5], exec
	s_and_b64 s[8:9], s[8:9], exec
	s_or_b64 s[4:5], s[4:5], s[8:9]
	s_or_b64 exec, exec, s[6:7]
	s_and_saveexec_b64 s[6:7], s[4:5]
	s_cbranch_execnz .LBB18_515
	s_branch .LBB18_516
.LBB18_2565:
	s_movk_i32 s4, 0x80
	v_cmp_eq_u16_sdwa s[12:13], v10, s4 src0_sel:BYTE_0 src1_sel:DWORD
	s_mov_b64 s[4:5], -1
                                        ; implicit-def: $sgpr10
	s_and_saveexec_b64 s[8:9], s[12:13]
; %bb.2566:
	s_mov_b32 s10, 0x7f800001
	s_xor_b64 s[4:5], exec, -1
; %bb.2567:
	s_or_b64 exec, exec, s[8:9]
	s_and_b64 s[4:5], s[4:5], exec
	s_or_saveexec_b64 s[6:7], s[6:7]
	v_mov_b32_e32 v21, s10
	s_xor_b64 exec, exec, s[6:7]
	s_cbranch_execz .LBB18_518
.LBB18_2568:
	v_mov_b32_e32 v21, 0
	v_cmp_ne_u16_sdwa s[8:9], v10, v21 src0_sel:BYTE_0 src1_sel:DWORD
	s_andn2_b64 s[4:5], s[4:5], exec
	s_and_b64 s[8:9], s[8:9], exec
	s_or_b64 s[4:5], s[4:5], s[8:9]
	s_or_b64 exec, exec, s[6:7]
	s_and_saveexec_b64 s[6:7], s[4:5]
	s_cbranch_execnz .LBB18_519
	s_branch .LBB18_520
.LBB18_2569:
	s_movk_i32 s4, 0x80
	v_cmp_eq_u16_sdwa s[12:13], v21, s4 src0_sel:BYTE_0 src1_sel:DWORD
	s_mov_b64 s[4:5], -1
                                        ; implicit-def: $sgpr10
	s_and_saveexec_b64 s[8:9], s[12:13]
; %bb.2570:
	s_mov_b32 s10, 0x7f800001
	s_xor_b64 s[4:5], exec, -1
; %bb.2571:
	s_or_b64 exec, exec, s[8:9]
	s_and_b64 s[4:5], s[4:5], exec
	s_or_saveexec_b64 s[6:7], s[6:7]
	v_mov_b32_e32 v20, s10
	s_xor_b64 exec, exec, s[6:7]
	s_cbranch_execz .LBB18_522
.LBB18_2572:
	v_mov_b32_e32 v20, 0
	v_cmp_ne_u16_sdwa s[8:9], v21, v20 src0_sel:BYTE_0 src1_sel:DWORD
	s_andn2_b64 s[4:5], s[4:5], exec
	s_and_b64 s[8:9], s[8:9], exec
	s_or_b64 s[4:5], s[4:5], s[8:9]
	s_or_b64 exec, exec, s[6:7]
	s_and_saveexec_b64 s[6:7], s[4:5]
	s_cbranch_execnz .LBB18_523
	s_branch .LBB18_524
.LBB18_2573:
	s_movk_i32 s4, 0x80
	v_cmp_eq_u16_sdwa s[12:13], v21, s4 src0_sel:BYTE_0 src1_sel:DWORD
	s_mov_b64 s[4:5], -1
                                        ; implicit-def: $sgpr10
	s_and_saveexec_b64 s[8:9], s[12:13]
; %bb.2574:
	s_mov_b32 s10, 0x7f800001
	s_xor_b64 s[4:5], exec, -1
; %bb.2575:
	s_or_b64 exec, exec, s[8:9]
	s_and_b64 s[4:5], s[4:5], exec
	s_or_saveexec_b64 s[6:7], s[6:7]
	v_mov_b32_e32 v22, s10
	s_xor_b64 exec, exec, s[6:7]
	s_cbranch_execz .LBB18_526
.LBB18_2576:
	v_mov_b32_e32 v22, 0
	v_cmp_ne_u16_sdwa s[8:9], v21, v22 src0_sel:BYTE_0 src1_sel:DWORD
	s_andn2_b64 s[4:5], s[4:5], exec
	s_and_b64 s[8:9], s[8:9], exec
	s_or_b64 s[4:5], s[4:5], s[8:9]
	s_or_b64 exec, exec, s[6:7]
	s_and_saveexec_b64 s[6:7], s[4:5]
	s_cbranch_execnz .LBB18_527
	s_branch .LBB18_528
.LBB18_2577:
	s_movk_i32 s4, 0x80
	v_cmp_eq_u16_e32 vcc, s4, v21
	s_mov_b64 s[4:5], -1
                                        ; implicit-def: $sgpr10
	s_and_saveexec_b64 s[8:9], vcc
; %bb.2578:
	s_mov_b32 s10, 0x7f800001
	s_xor_b64 s[4:5], exec, -1
; %bb.2579:
	s_or_b64 exec, exec, s[8:9]
	s_and_b64 s[4:5], s[4:5], exec
                                        ; implicit-def: $vgpr21
	s_or_saveexec_b64 s[6:7], s[6:7]
	v_mov_b32_e32 v20, s10
	s_xor_b64 exec, exec, s[6:7]
	s_cbranch_execz .LBB18_530
.LBB18_2580:
	v_cmp_ne_u16_e32 vcc, 0, v21
	s_andn2_b64 s[4:5], s[4:5], exec
	s_and_b64 s[8:9], vcc, exec
	v_mov_b32_e32 v20, 0
	s_or_b64 s[4:5], s[4:5], s[8:9]
	s_or_b64 exec, exec, s[6:7]
	s_and_saveexec_b64 s[6:7], s[4:5]
	s_cbranch_execnz .LBB18_531
	s_branch .LBB18_532
.LBB18_2581:
	s_movk_i32 s4, 0x80
	v_cmp_eq_u16_e32 vcc, s4, v21
	s_mov_b64 s[4:5], -1
                                        ; implicit-def: $sgpr10
	s_and_saveexec_b64 s[8:9], vcc
; %bb.2582:
	s_mov_b32 s10, 0x7f800001
	s_xor_b64 s[4:5], exec, -1
; %bb.2583:
	s_or_b64 exec, exec, s[8:9]
	s_and_b64 s[4:5], s[4:5], exec
                                        ; implicit-def: $vgpr21
	s_or_saveexec_b64 s[6:7], s[6:7]
	v_mov_b32_e32 v22, s10
	s_xor_b64 exec, exec, s[6:7]
	s_cbranch_execz .LBB18_534
.LBB18_2584:
	v_cmp_ne_u16_e32 vcc, 0, v21
	s_andn2_b64 s[4:5], s[4:5], exec
	s_and_b64 s[8:9], vcc, exec
	v_mov_b32_e32 v22, 0
	s_or_b64 s[4:5], s[4:5], s[8:9]
	s_or_b64 exec, exec, s[6:7]
	s_and_saveexec_b64 s[6:7], s[4:5]
	s_cbranch_execnz .LBB18_535
	s_branch .LBB18_536
.LBB18_2585:
	s_movk_i32 s4, 0x80
	v_cmp_eq_u16_sdwa s[12:13], v14, s4 src0_sel:BYTE_3 src1_sel:DWORD
	s_mov_b64 s[4:5], -1
                                        ; implicit-def: $sgpr10
	s_and_saveexec_b64 s[8:9], s[12:13]
; %bb.2586:
	s_mov_b32 s10, 0x7f800001
	s_xor_b64 s[4:5], exec, -1
; %bb.2587:
	s_or_b64 exec, exec, s[8:9]
	s_and_b64 s[4:5], s[4:5], exec
	s_or_saveexec_b64 s[6:7], s[6:7]
	v_mov_b32_e32 v20, s10
	s_xor_b64 exec, exec, s[6:7]
	s_cbranch_execz .LBB18_538
.LBB18_2588:
	v_mov_b32_e32 v20, 0
	v_cmp_ne_u16_sdwa s[8:9], v14, v20 src0_sel:BYTE_3 src1_sel:DWORD
	s_andn2_b64 s[4:5], s[4:5], exec
	s_and_b64 s[8:9], s[8:9], exec
	s_or_b64 s[4:5], s[4:5], s[8:9]
	s_or_b64 exec, exec, s[6:7]
	s_and_saveexec_b64 s[6:7], s[4:5]
	s_cbranch_execnz .LBB18_539
	s_branch .LBB18_540
.LBB18_2589:
	s_movk_i32 s4, 0x80
	v_cmp_eq_u16_sdwa s[12:13], v10, s4 src0_sel:BYTE_3 src1_sel:DWORD
	s_mov_b64 s[4:5], -1
                                        ; implicit-def: $sgpr10
	s_and_saveexec_b64 s[8:9], s[12:13]
; %bb.2590:
	s_mov_b32 s10, 0x7f800001
	s_xor_b64 s[4:5], exec, -1
; %bb.2591:
	s_or_b64 exec, exec, s[8:9]
	s_and_b64 s[4:5], s[4:5], exec
	s_or_saveexec_b64 s[6:7], s[6:7]
	v_mov_b32_e32 v14, s10
	s_xor_b64 exec, exec, s[6:7]
	s_cbranch_execz .LBB18_542
.LBB18_2592:
	v_mov_b32_e32 v14, 0
	v_cmp_ne_u16_sdwa s[8:9], v10, v14 src0_sel:BYTE_3 src1_sel:DWORD
	s_andn2_b64 s[4:5], s[4:5], exec
	s_and_b64 s[8:9], s[8:9], exec
	s_or_b64 s[4:5], s[4:5], s[8:9]
	s_or_b64 exec, exec, s[6:7]
	s_and_saveexec_b64 s[6:7], s[4:5]
	s_cbranch_execnz .LBB18_543
	s_branch .LBB18_544
.LBB18_2593:
	s_movk_i32 s4, 0x80
	v_cmp_eq_u16_sdwa s[12:13], v15, s4 src0_sel:BYTE_0 src1_sel:DWORD
	s_mov_b64 s[4:5], -1
                                        ; implicit-def: $sgpr10
	s_and_saveexec_b64 s[8:9], s[12:13]
; %bb.2594:
	s_mov_b32 s10, 0x7f800001
	s_xor_b64 s[4:5], exec, -1
; %bb.2595:
	s_or_b64 exec, exec, s[8:9]
	s_and_b64 s[4:5], s[4:5], exec
	s_or_saveexec_b64 s[6:7], s[6:7]
	v_mov_b32_e32 v10, s10
	s_xor_b64 exec, exec, s[6:7]
	s_cbranch_execz .LBB18_546
.LBB18_2596:
	v_mov_b32_e32 v10, 0
	v_cmp_ne_u16_sdwa s[8:9], v15, v10 src0_sel:BYTE_0 src1_sel:DWORD
	s_andn2_b64 s[4:5], s[4:5], exec
	s_and_b64 s[8:9], s[8:9], exec
	s_or_b64 s[4:5], s[4:5], s[8:9]
	s_or_b64 exec, exec, s[6:7]
	s_and_saveexec_b64 s[6:7], s[4:5]
	s_cbranch_execnz .LBB18_547
	s_branch .LBB18_548
.LBB18_2597:
	s_movk_i32 s4, 0x80
	v_cmp_eq_u16_sdwa s[12:13], v11, s4 src0_sel:BYTE_0 src1_sel:DWORD
	s_mov_b64 s[4:5], -1
                                        ; implicit-def: $sgpr10
	s_and_saveexec_b64 s[8:9], s[12:13]
; %bb.2598:
	s_mov_b32 s10, 0x7f800001
	s_xor_b64 s[4:5], exec, -1
; %bb.2599:
	s_or_b64 exec, exec, s[8:9]
	s_and_b64 s[4:5], s[4:5], exec
	s_or_saveexec_b64 s[6:7], s[6:7]
	v_mov_b32_e32 v14, s10
	s_xor_b64 exec, exec, s[6:7]
	s_cbranch_execz .LBB18_550
.LBB18_2600:
	v_mov_b32_e32 v14, 0
	v_cmp_ne_u16_sdwa s[8:9], v11, v14 src0_sel:BYTE_0 src1_sel:DWORD
	s_andn2_b64 s[4:5], s[4:5], exec
	s_and_b64 s[8:9], s[8:9], exec
	s_or_b64 s[4:5], s[4:5], s[8:9]
	s_or_b64 exec, exec, s[6:7]
	s_and_saveexec_b64 s[6:7], s[4:5]
	s_cbranch_execnz .LBB18_551
	s_branch .LBB18_552
.LBB18_2601:
	s_movk_i32 s4, 0x80
	v_cmp_eq_u16_sdwa s[12:13], v14, s4 src0_sel:BYTE_0 src1_sel:DWORD
	s_mov_b64 s[4:5], -1
                                        ; implicit-def: $sgpr10
	s_and_saveexec_b64 s[8:9], s[12:13]
; %bb.2602:
	s_mov_b32 s10, 0x7f800001
	s_xor_b64 s[4:5], exec, -1
; %bb.2603:
	s_or_b64 exec, exec, s[8:9]
	s_and_b64 s[4:5], s[4:5], exec
	s_or_saveexec_b64 s[6:7], s[6:7]
	v_mov_b32_e32 v10, s10
	s_xor_b64 exec, exec, s[6:7]
	s_cbranch_execz .LBB18_554
.LBB18_2604:
	v_mov_b32_e32 v10, 0
	v_cmp_ne_u16_sdwa s[8:9], v14, v10 src0_sel:BYTE_0 src1_sel:DWORD
	s_andn2_b64 s[4:5], s[4:5], exec
	s_and_b64 s[8:9], s[8:9], exec
	s_or_b64 s[4:5], s[4:5], s[8:9]
	s_or_b64 exec, exec, s[6:7]
	s_and_saveexec_b64 s[6:7], s[4:5]
	s_cbranch_execnz .LBB18_555
	s_branch .LBB18_556
.LBB18_2605:
	s_movk_i32 s4, 0x80
	v_cmp_eq_u16_sdwa s[12:13], v14, s4 src0_sel:BYTE_0 src1_sel:DWORD
	s_mov_b64 s[4:5], -1
                                        ; implicit-def: $sgpr10
	s_and_saveexec_b64 s[8:9], s[12:13]
; %bb.2606:
	s_mov_b32 s10, 0x7f800001
	s_xor_b64 s[4:5], exec, -1
; %bb.2607:
	s_or_b64 exec, exec, s[8:9]
	s_and_b64 s[4:5], s[4:5], exec
	s_or_saveexec_b64 s[6:7], s[6:7]
	v_mov_b32_e32 v20, s10
	s_xor_b64 exec, exec, s[6:7]
	s_cbranch_execz .LBB18_558
.LBB18_2608:
	v_mov_b32_e32 v20, 0
	v_cmp_ne_u16_sdwa s[8:9], v14, v20 src0_sel:BYTE_0 src1_sel:DWORD
	s_andn2_b64 s[4:5], s[4:5], exec
	s_and_b64 s[8:9], s[8:9], exec
	s_or_b64 s[4:5], s[4:5], s[8:9]
	s_or_b64 exec, exec, s[6:7]
	s_and_saveexec_b64 s[6:7], s[4:5]
	s_cbranch_execnz .LBB18_559
	s_branch .LBB18_560
.LBB18_2609:
	s_movk_i32 s4, 0x80
	v_cmp_eq_u16_e32 vcc, s4, v14
	s_mov_b64 s[4:5], -1
                                        ; implicit-def: $sgpr10
	s_and_saveexec_b64 s[8:9], vcc
; %bb.2610:
	s_mov_b32 s10, 0x7f800001
	s_xor_b64 s[4:5], exec, -1
; %bb.2611:
	s_or_b64 exec, exec, s[8:9]
	s_and_b64 s[4:5], s[4:5], exec
                                        ; implicit-def: $vgpr14
	s_or_saveexec_b64 s[6:7], s[6:7]
	v_mov_b32_e32 v10, s10
	s_xor_b64 exec, exec, s[6:7]
	s_cbranch_execz .LBB18_562
.LBB18_2612:
	v_cmp_ne_u16_e32 vcc, 0, v14
	s_andn2_b64 s[4:5], s[4:5], exec
	s_and_b64 s[8:9], vcc, exec
	v_mov_b32_e32 v10, 0
	s_or_b64 s[4:5], s[4:5], s[8:9]
	s_or_b64 exec, exec, s[6:7]
	s_and_saveexec_b64 s[6:7], s[4:5]
	s_cbranch_execnz .LBB18_563
	s_branch .LBB18_564
.LBB18_2613:
	s_movk_i32 s4, 0x80
	v_cmp_eq_u16_e32 vcc, s4, v14
	s_mov_b64 s[4:5], -1
                                        ; implicit-def: $sgpr10
	s_and_saveexec_b64 s[8:9], vcc
; %bb.2614:
	s_mov_b32 s10, 0x7f800001
	s_xor_b64 s[4:5], exec, -1
; %bb.2615:
	s_or_b64 exec, exec, s[8:9]
	s_and_b64 s[4:5], s[4:5], exec
                                        ; implicit-def: $vgpr14
	s_or_saveexec_b64 s[6:7], s[6:7]
	v_mov_b32_e32 v20, s10
	s_xor_b64 exec, exec, s[6:7]
	s_cbranch_execz .LBB18_566
.LBB18_2616:
	v_cmp_ne_u16_e32 vcc, 0, v14
	s_andn2_b64 s[4:5], s[4:5], exec
	s_and_b64 s[8:9], vcc, exec
	v_mov_b32_e32 v20, 0
	s_or_b64 s[4:5], s[4:5], s[8:9]
	s_or_b64 exec, exec, s[6:7]
	s_and_saveexec_b64 s[6:7], s[4:5]
	s_cbranch_execnz .LBB18_567
	s_branch .LBB18_568
.LBB18_2617:
	s_movk_i32 s4, 0x80
	v_cmp_eq_u16_sdwa s[12:13], v15, s4 src0_sel:BYTE_3 src1_sel:DWORD
	s_mov_b64 s[4:5], -1
                                        ; implicit-def: $sgpr10
	s_and_saveexec_b64 s[8:9], s[12:13]
; %bb.2618:
	s_mov_b32 s10, 0x7f800001
	s_xor_b64 s[4:5], exec, -1
; %bb.2619:
	s_or_b64 exec, exec, s[8:9]
	s_and_b64 s[4:5], s[4:5], exec
	s_or_saveexec_b64 s[6:7], s[6:7]
	v_mov_b32_e32 v10, s10
	s_xor_b64 exec, exec, s[6:7]
	s_cbranch_execz .LBB18_570
.LBB18_2620:
	v_mov_b32_e32 v10, 0
	v_cmp_ne_u16_sdwa s[8:9], v15, v10 src0_sel:BYTE_3 src1_sel:DWORD
	s_andn2_b64 s[4:5], s[4:5], exec
	s_and_b64 s[8:9], s[8:9], exec
	s_or_b64 s[4:5], s[4:5], s[8:9]
	s_or_b64 exec, exec, s[6:7]
	s_and_saveexec_b64 s[6:7], s[4:5]
	s_cbranch_execnz .LBB18_571
	s_branch .LBB18_572
.LBB18_2621:
	s_movk_i32 s4, 0x80
	v_cmp_eq_u16_sdwa s[12:13], v11, s4 src0_sel:BYTE_3 src1_sel:DWORD
	s_mov_b64 s[4:5], -1
                                        ; implicit-def: $sgpr10
	s_and_saveexec_b64 s[8:9], s[12:13]
; %bb.2622:
	s_mov_b32 s10, 0x7f800001
	s_xor_b64 s[4:5], exec, -1
; %bb.2623:
	s_or_b64 exec, exec, s[8:9]
	s_and_b64 s[4:5], s[4:5], exec
	s_or_saveexec_b64 s[6:7], s[6:7]
	v_mov_b32_e32 v14, s10
	s_xor_b64 exec, exec, s[6:7]
	s_cbranch_execz .LBB18_574
.LBB18_2624:
	v_mov_b32_e32 v14, 0
	v_cmp_ne_u16_sdwa s[8:9], v11, v14 src0_sel:BYTE_3 src1_sel:DWORD
	s_andn2_b64 s[4:5], s[4:5], exec
	s_and_b64 s[8:9], s[8:9], exec
	s_or_b64 s[4:5], s[4:5], s[8:9]
	s_or_b64 exec, exec, s[6:7]
	s_and_saveexec_b64 s[6:7], s[4:5]
	s_cbranch_execnz .LBB18_575
	s_branch .LBB18_576
.LBB18_2625:
	s_movk_i32 s4, 0x80
	v_cmp_eq_u16_sdwa s[12:13], v16, s4 src0_sel:BYTE_0 src1_sel:DWORD
	s_mov_b64 s[4:5], -1
                                        ; implicit-def: $sgpr10
	s_and_saveexec_b64 s[8:9], s[12:13]
; %bb.2626:
	s_mov_b32 s10, 0x7f800001
	s_xor_b64 s[4:5], exec, -1
; %bb.2627:
	s_or_b64 exec, exec, s[8:9]
	s_and_b64 s[4:5], s[4:5], exec
	s_or_saveexec_b64 s[6:7], s[6:7]
	v_mov_b32_e32 v10, s10
	s_xor_b64 exec, exec, s[6:7]
	s_cbranch_execz .LBB18_578
.LBB18_2628:
	v_mov_b32_e32 v10, 0
	v_cmp_ne_u16_sdwa s[8:9], v16, v10 src0_sel:BYTE_0 src1_sel:DWORD
	s_andn2_b64 s[4:5], s[4:5], exec
	s_and_b64 s[8:9], s[8:9], exec
	s_or_b64 s[4:5], s[4:5], s[8:9]
	s_or_b64 exec, exec, s[6:7]
	s_and_saveexec_b64 s[6:7], s[4:5]
	s_cbranch_execnz .LBB18_579
	s_branch .LBB18_580
.LBB18_2629:
	s_movk_i32 s4, 0x80
	v_cmp_eq_u16_sdwa s[12:13], v12, s4 src0_sel:BYTE_0 src1_sel:DWORD
	s_mov_b64 s[4:5], -1
                                        ; implicit-def: $sgpr10
	s_and_saveexec_b64 s[8:9], s[12:13]
; %bb.2630:
	s_mov_b32 s10, 0x7f800001
	s_xor_b64 s[4:5], exec, -1
; %bb.2631:
	s_or_b64 exec, exec, s[8:9]
	s_and_b64 s[4:5], s[4:5], exec
	s_or_saveexec_b64 s[6:7], s[6:7]
	v_mov_b32_e32 v11, s10
	s_xor_b64 exec, exec, s[6:7]
	s_cbranch_execz .LBB18_582
.LBB18_2632:
	v_mov_b32_e32 v11, 0
	v_cmp_ne_u16_sdwa s[8:9], v12, v11 src0_sel:BYTE_0 src1_sel:DWORD
	s_andn2_b64 s[4:5], s[4:5], exec
	s_and_b64 s[8:9], s[8:9], exec
	s_or_b64 s[4:5], s[4:5], s[8:9]
	s_or_b64 exec, exec, s[6:7]
	s_and_saveexec_b64 s[6:7], s[4:5]
	s_cbranch_execnz .LBB18_583
	s_branch .LBB18_584
.LBB18_2633:
	s_movk_i32 s4, 0x80
	v_cmp_eq_u16_sdwa s[12:13], v11, s4 src0_sel:BYTE_0 src1_sel:DWORD
	s_mov_b64 s[4:5], -1
                                        ; implicit-def: $sgpr10
	s_and_saveexec_b64 s[8:9], s[12:13]
; %bb.2634:
	s_mov_b32 s10, 0x7f800001
	s_xor_b64 s[4:5], exec, -1
; %bb.2635:
	s_or_b64 exec, exec, s[8:9]
	s_and_b64 s[4:5], s[4:5], exec
	s_or_saveexec_b64 s[6:7], s[6:7]
	v_mov_b32_e32 v10, s10
	s_xor_b64 exec, exec, s[6:7]
	s_cbranch_execz .LBB18_586
.LBB18_2636:
	v_mov_b32_e32 v10, 0
	v_cmp_ne_u16_sdwa s[8:9], v11, v10 src0_sel:BYTE_0 src1_sel:DWORD
	s_andn2_b64 s[4:5], s[4:5], exec
	s_and_b64 s[8:9], s[8:9], exec
	s_or_b64 s[4:5], s[4:5], s[8:9]
	s_or_b64 exec, exec, s[6:7]
	s_and_saveexec_b64 s[6:7], s[4:5]
	s_cbranch_execnz .LBB18_587
	s_branch .LBB18_588
.LBB18_2637:
	s_movk_i32 s4, 0x80
	v_cmp_eq_u16_sdwa s[12:13], v11, s4 src0_sel:BYTE_0 src1_sel:DWORD
	s_mov_b64 s[4:5], -1
                                        ; implicit-def: $sgpr10
	s_and_saveexec_b64 s[8:9], s[12:13]
; %bb.2638:
	s_mov_b32 s10, 0x7f800001
	s_xor_b64 s[4:5], exec, -1
; %bb.2639:
	s_or_b64 exec, exec, s[8:9]
	s_and_b64 s[4:5], s[4:5], exec
	s_or_saveexec_b64 s[6:7], s[6:7]
	v_mov_b32_e32 v14, s10
	s_xor_b64 exec, exec, s[6:7]
	s_cbranch_execz .LBB18_590
.LBB18_2640:
	v_mov_b32_e32 v14, 0
	v_cmp_ne_u16_sdwa s[8:9], v11, v14 src0_sel:BYTE_0 src1_sel:DWORD
	s_andn2_b64 s[4:5], s[4:5], exec
	s_and_b64 s[8:9], s[8:9], exec
	s_or_b64 s[4:5], s[4:5], s[8:9]
	s_or_b64 exec, exec, s[6:7]
	s_and_saveexec_b64 s[6:7], s[4:5]
	s_cbranch_execnz .LBB18_591
	s_branch .LBB18_592
.LBB18_2641:
	s_movk_i32 s4, 0x80
	v_cmp_eq_u16_e32 vcc, s4, v11
	s_mov_b64 s[4:5], -1
                                        ; implicit-def: $sgpr10
	s_and_saveexec_b64 s[8:9], vcc
; %bb.2642:
	s_mov_b32 s10, 0x7f800001
	s_xor_b64 s[4:5], exec, -1
; %bb.2643:
	s_or_b64 exec, exec, s[8:9]
	s_and_b64 s[4:5], s[4:5], exec
                                        ; implicit-def: $vgpr11
	s_or_saveexec_b64 s[6:7], s[6:7]
	v_mov_b32_e32 v10, s10
	s_xor_b64 exec, exec, s[6:7]
	s_cbranch_execz .LBB18_594
.LBB18_2644:
	v_cmp_ne_u16_e32 vcc, 0, v11
	s_andn2_b64 s[4:5], s[4:5], exec
	s_and_b64 s[8:9], vcc, exec
	v_mov_b32_e32 v10, 0
	s_or_b64 s[4:5], s[4:5], s[8:9]
	s_or_b64 exec, exec, s[6:7]
	s_and_saveexec_b64 s[6:7], s[4:5]
	s_cbranch_execnz .LBB18_595
	s_branch .LBB18_596
.LBB18_2645:
	s_movk_i32 s4, 0x80
	v_cmp_eq_u16_e32 vcc, s4, v11
	s_mov_b64 s[4:5], -1
                                        ; implicit-def: $sgpr10
	s_and_saveexec_b64 s[8:9], vcc
; %bb.2646:
	s_mov_b32 s10, 0x7f800001
	s_xor_b64 s[4:5], exec, -1
; %bb.2647:
	s_or_b64 exec, exec, s[8:9]
	s_and_b64 s[4:5], s[4:5], exec
                                        ; implicit-def: $vgpr11
	s_or_saveexec_b64 s[6:7], s[6:7]
	v_mov_b32_e32 v14, s10
	s_xor_b64 exec, exec, s[6:7]
	s_cbranch_execz .LBB18_598
.LBB18_2648:
	v_cmp_ne_u16_e32 vcc, 0, v11
	s_andn2_b64 s[4:5], s[4:5], exec
	s_and_b64 s[8:9], vcc, exec
	v_mov_b32_e32 v14, 0
	s_or_b64 s[4:5], s[4:5], s[8:9]
	s_or_b64 exec, exec, s[6:7]
	s_and_saveexec_b64 s[6:7], s[4:5]
	s_cbranch_execnz .LBB18_599
	s_branch .LBB18_600
.LBB18_2649:
	s_movk_i32 s4, 0x80
	v_cmp_eq_u16_sdwa s[12:13], v16, s4 src0_sel:BYTE_3 src1_sel:DWORD
	s_mov_b64 s[4:5], -1
                                        ; implicit-def: $sgpr10
	s_and_saveexec_b64 s[8:9], s[12:13]
; %bb.2650:
	s_mov_b32 s10, 0x7f800001
	s_xor_b64 s[4:5], exec, -1
; %bb.2651:
	s_or_b64 exec, exec, s[8:9]
	s_and_b64 s[4:5], s[4:5], exec
	s_or_saveexec_b64 s[6:7], s[6:7]
	v_mov_b32_e32 v10, s10
	s_xor_b64 exec, exec, s[6:7]
	s_cbranch_execz .LBB18_602
.LBB18_2652:
	v_mov_b32_e32 v10, 0
	v_cmp_ne_u16_sdwa s[8:9], v16, v10 src0_sel:BYTE_3 src1_sel:DWORD
	s_andn2_b64 s[4:5], s[4:5], exec
	s_and_b64 s[8:9], s[8:9], exec
	s_or_b64 s[4:5], s[4:5], s[8:9]
	s_or_b64 exec, exec, s[6:7]
	s_and_saveexec_b64 s[6:7], s[4:5]
	s_cbranch_execnz .LBB18_603
	s_branch .LBB18_604
.LBB18_2653:
	s_movk_i32 s4, 0x80
	v_cmp_eq_u16_sdwa s[12:13], v12, s4 src0_sel:BYTE_3 src1_sel:DWORD
	s_mov_b64 s[4:5], -1
                                        ; implicit-def: $sgpr10
	s_and_saveexec_b64 s[8:9], s[12:13]
; %bb.2654:
	s_mov_b32 s10, 0x7f800001
	s_xor_b64 s[4:5], exec, -1
; %bb.2655:
	s_or_b64 exec, exec, s[8:9]
	s_and_b64 s[4:5], s[4:5], exec
	s_or_saveexec_b64 s[6:7], s[6:7]
	v_mov_b32_e32 v11, s10
	s_xor_b64 exec, exec, s[6:7]
	s_cbranch_execz .LBB18_606
.LBB18_2656:
	v_mov_b32_e32 v11, 0
	v_cmp_ne_u16_sdwa s[8:9], v12, v11 src0_sel:BYTE_3 src1_sel:DWORD
	s_andn2_b64 s[4:5], s[4:5], exec
	s_and_b64 s[8:9], s[8:9], exec
	s_or_b64 s[4:5], s[4:5], s[8:9]
	s_or_b64 exec, exec, s[6:7]
	s_and_saveexec_b64 s[6:7], s[4:5]
	s_cbranch_execnz .LBB18_607
	s_branch .LBB18_608
.LBB18_2657:
	s_movk_i32 s4, 0x80
	v_cmp_eq_u16_sdwa s[12:13], v17, s4 src0_sel:BYTE_0 src1_sel:DWORD
	s_mov_b64 s[4:5], -1
                                        ; implicit-def: $sgpr10
	s_and_saveexec_b64 s[8:9], s[12:13]
; %bb.2658:
	s_mov_b32 s10, 0x7f800001
	s_xor_b64 s[4:5], exec, -1
; %bb.2659:
	s_or_b64 exec, exec, s[8:9]
	s_and_b64 s[4:5], s[4:5], exec
	s_or_saveexec_b64 s[6:7], s[6:7]
	v_mov_b32_e32 v10, s10
	s_xor_b64 exec, exec, s[6:7]
	s_cbranch_execz .LBB18_610
.LBB18_2660:
	v_mov_b32_e32 v10, 0
	v_cmp_ne_u16_sdwa s[8:9], v17, v10 src0_sel:BYTE_0 src1_sel:DWORD
	s_andn2_b64 s[4:5], s[4:5], exec
	s_and_b64 s[8:9], s[8:9], exec
	s_or_b64 s[4:5], s[4:5], s[8:9]
	s_or_b64 exec, exec, s[6:7]
	s_and_saveexec_b64 s[6:7], s[4:5]
	s_cbranch_execnz .LBB18_611
	s_branch .LBB18_612
.LBB18_2661:
	s_movk_i32 s4, 0x80
	v_cmp_eq_u16_sdwa s[12:13], v13, s4 src0_sel:BYTE_0 src1_sel:DWORD
	s_mov_b64 s[4:5], -1
                                        ; implicit-def: $sgpr10
	s_and_saveexec_b64 s[8:9], s[12:13]
; %bb.2662:
	s_mov_b32 s10, 0x7f800001
	s_xor_b64 s[4:5], exec, -1
; %bb.2663:
	s_or_b64 exec, exec, s[8:9]
	s_and_b64 s[4:5], s[4:5], exec
	s_or_saveexec_b64 s[6:7], s[6:7]
	v_mov_b32_e32 v11, s10
	s_xor_b64 exec, exec, s[6:7]
	s_cbranch_execz .LBB18_614
.LBB18_2664:
	v_mov_b32_e32 v11, 0
	v_cmp_ne_u16_sdwa s[8:9], v13, v11 src0_sel:BYTE_0 src1_sel:DWORD
	s_andn2_b64 s[4:5], s[4:5], exec
	s_and_b64 s[8:9], s[8:9], exec
	s_or_b64 s[4:5], s[4:5], s[8:9]
	s_or_b64 exec, exec, s[6:7]
	s_and_saveexec_b64 s[6:7], s[4:5]
	s_cbranch_execnz .LBB18_615
	s_branch .LBB18_616
.LBB18_2665:
	s_movk_i32 s4, 0x80
	v_cmp_eq_u16_sdwa s[12:13], v11, s4 src0_sel:BYTE_0 src1_sel:DWORD
	s_mov_b64 s[4:5], -1
                                        ; implicit-def: $sgpr10
	s_and_saveexec_b64 s[8:9], s[12:13]
; %bb.2666:
	s_mov_b32 s10, 0x7f800001
	s_xor_b64 s[4:5], exec, -1
; %bb.2667:
	s_or_b64 exec, exec, s[8:9]
	s_and_b64 s[4:5], s[4:5], exec
	s_or_saveexec_b64 s[6:7], s[6:7]
	v_mov_b32_e32 v10, s10
	s_xor_b64 exec, exec, s[6:7]
	s_cbranch_execz .LBB18_618
.LBB18_2668:
	v_mov_b32_e32 v10, 0
	v_cmp_ne_u16_sdwa s[8:9], v11, v10 src0_sel:BYTE_0 src1_sel:DWORD
	s_andn2_b64 s[4:5], s[4:5], exec
	s_and_b64 s[8:9], s[8:9], exec
	s_or_b64 s[4:5], s[4:5], s[8:9]
	s_or_b64 exec, exec, s[6:7]
	s_and_saveexec_b64 s[6:7], s[4:5]
	s_cbranch_execnz .LBB18_619
	s_branch .LBB18_620
.LBB18_2669:
	s_movk_i32 s4, 0x80
	v_cmp_eq_u16_sdwa s[12:13], v11, s4 src0_sel:BYTE_0 src1_sel:DWORD
	s_mov_b64 s[4:5], -1
                                        ; implicit-def: $sgpr10
	s_and_saveexec_b64 s[8:9], s[12:13]
; %bb.2670:
	s_mov_b32 s10, 0x7f800001
	s_xor_b64 s[4:5], exec, -1
; %bb.2671:
	s_or_b64 exec, exec, s[8:9]
	s_and_b64 s[4:5], s[4:5], exec
	s_or_saveexec_b64 s[6:7], s[6:7]
	v_mov_b32_e32 v12, s10
	s_xor_b64 exec, exec, s[6:7]
	s_cbranch_execz .LBB18_622
.LBB18_2672:
	v_mov_b32_e32 v12, 0
	v_cmp_ne_u16_sdwa s[8:9], v11, v12 src0_sel:BYTE_0 src1_sel:DWORD
	s_andn2_b64 s[4:5], s[4:5], exec
	s_and_b64 s[8:9], s[8:9], exec
	s_or_b64 s[4:5], s[4:5], s[8:9]
	s_or_b64 exec, exec, s[6:7]
	s_and_saveexec_b64 s[6:7], s[4:5]
	s_cbranch_execnz .LBB18_623
	s_branch .LBB18_624
.LBB18_2673:
	s_movk_i32 s4, 0x80
	v_cmp_eq_u16_e32 vcc, s4, v11
	s_mov_b64 s[4:5], -1
                                        ; implicit-def: $sgpr10
	s_and_saveexec_b64 s[8:9], vcc
; %bb.2674:
	s_mov_b32 s10, 0x7f800001
	s_xor_b64 s[4:5], exec, -1
; %bb.2675:
	s_or_b64 exec, exec, s[8:9]
	s_and_b64 s[4:5], s[4:5], exec
                                        ; implicit-def: $vgpr11
	s_or_saveexec_b64 s[6:7], s[6:7]
	v_mov_b32_e32 v10, s10
	s_xor_b64 exec, exec, s[6:7]
	s_cbranch_execz .LBB18_626
.LBB18_2676:
	v_cmp_ne_u16_e32 vcc, 0, v11
	s_andn2_b64 s[4:5], s[4:5], exec
	s_and_b64 s[8:9], vcc, exec
	v_mov_b32_e32 v10, 0
	s_or_b64 s[4:5], s[4:5], s[8:9]
	s_or_b64 exec, exec, s[6:7]
	s_and_saveexec_b64 s[6:7], s[4:5]
	s_cbranch_execnz .LBB18_627
	s_branch .LBB18_628
.LBB18_2677:
	s_movk_i32 s4, 0x80
	v_cmp_eq_u16_e32 vcc, s4, v11
	s_mov_b64 s[4:5], -1
                                        ; implicit-def: $sgpr10
	s_and_saveexec_b64 s[8:9], vcc
; %bb.2678:
	s_mov_b32 s10, 0x7f800001
	s_xor_b64 s[4:5], exec, -1
; %bb.2679:
	s_or_b64 exec, exec, s[8:9]
	s_and_b64 s[4:5], s[4:5], exec
                                        ; implicit-def: $vgpr11
	s_or_saveexec_b64 s[6:7], s[6:7]
	v_mov_b32_e32 v12, s10
	s_xor_b64 exec, exec, s[6:7]
	s_cbranch_execz .LBB18_630
.LBB18_2680:
	v_cmp_ne_u16_e32 vcc, 0, v11
	s_andn2_b64 s[4:5], s[4:5], exec
	s_and_b64 s[8:9], vcc, exec
	v_mov_b32_e32 v12, 0
	s_or_b64 s[4:5], s[4:5], s[8:9]
	s_or_b64 exec, exec, s[6:7]
	s_and_saveexec_b64 s[6:7], s[4:5]
	s_cbranch_execnz .LBB18_631
	s_branch .LBB18_632
.LBB18_2681:
	s_movk_i32 s4, 0x80
	v_cmp_eq_u16_sdwa s[12:13], v17, s4 src0_sel:BYTE_3 src1_sel:DWORD
	s_mov_b64 s[4:5], -1
                                        ; implicit-def: $sgpr10
	s_and_saveexec_b64 s[8:9], s[12:13]
; %bb.2682:
	s_mov_b32 s10, 0x7f800001
	s_xor_b64 s[4:5], exec, -1
; %bb.2683:
	s_or_b64 exec, exec, s[8:9]
	s_and_b64 s[4:5], s[4:5], exec
	s_or_saveexec_b64 s[6:7], s[6:7]
	v_mov_b32_e32 v10, s10
	s_xor_b64 exec, exec, s[6:7]
	s_cbranch_execz .LBB18_634
.LBB18_2684:
	v_mov_b32_e32 v10, 0
	v_cmp_ne_u16_sdwa s[8:9], v17, v10 src0_sel:BYTE_3 src1_sel:DWORD
	s_andn2_b64 s[4:5], s[4:5], exec
	s_and_b64 s[8:9], s[8:9], exec
	s_or_b64 s[4:5], s[4:5], s[8:9]
	s_or_b64 exec, exec, s[6:7]
	s_and_saveexec_b64 s[6:7], s[4:5]
	s_cbranch_execnz .LBB18_635
	s_branch .LBB18_636
.LBB18_2685:
	s_movk_i32 s4, 0x80
	v_cmp_eq_u16_sdwa s[12:13], v13, s4 src0_sel:BYTE_3 src1_sel:DWORD
	s_mov_b64 s[4:5], -1
                                        ; implicit-def: $sgpr10
	s_and_saveexec_b64 s[8:9], s[12:13]
; %bb.2686:
	s_mov_b32 s10, 0x7f800001
	s_xor_b64 s[4:5], exec, -1
; %bb.2687:
	s_or_b64 exec, exec, s[8:9]
	s_and_b64 s[4:5], s[4:5], exec
	s_or_saveexec_b64 s[6:7], s[6:7]
	v_mov_b32_e32 v11, s10
	s_xor_b64 exec, exec, s[6:7]
	s_cbranch_execz .LBB18_638
.LBB18_2688:
	v_mov_b32_e32 v11, 0
	v_cmp_ne_u16_sdwa s[8:9], v13, v11 src0_sel:BYTE_3 src1_sel:DWORD
	s_andn2_b64 s[4:5], s[4:5], exec
	s_and_b64 s[8:9], s[8:9], exec
	s_or_b64 s[4:5], s[4:5], s[8:9]
	s_or_b64 exec, exec, s[6:7]
	s_and_saveexec_b64 s[6:7], s[4:5]
	s_cbranch_execnz .LBB18_639
	s_branch .LBB18_640
.LBB18_2689:
	s_movk_i32 s4, 0x80
	v_cmp_eq_u16_sdwa s[12:13], v6, s4 src0_sel:BYTE_0 src1_sel:DWORD
	s_mov_b64 s[4:5], -1
                                        ; implicit-def: $sgpr10
	s_and_saveexec_b64 s[8:9], s[12:13]
; %bb.2690:
	s_mov_b32 s10, 0x7f800001
	s_xor_b64 s[4:5], exec, -1
; %bb.2691:
	s_or_b64 exec, exec, s[8:9]
	s_and_b64 s[4:5], s[4:5], exec
	s_or_saveexec_b64 s[6:7], s[6:7]
	v_mov_b32_e32 v10, s10
	s_xor_b64 exec, exec, s[6:7]
	s_cbranch_execz .LBB18_642
.LBB18_2692:
	v_mov_b32_e32 v10, 0
	v_cmp_ne_u16_sdwa s[8:9], v6, v10 src0_sel:BYTE_0 src1_sel:DWORD
	s_andn2_b64 s[4:5], s[4:5], exec
	s_and_b64 s[8:9], s[8:9], exec
	s_or_b64 s[4:5], s[4:5], s[8:9]
	s_or_b64 exec, exec, s[6:7]
	s_and_saveexec_b64 s[6:7], s[4:5]
	s_cbranch_execnz .LBB18_643
	s_branch .LBB18_644
.LBB18_2693:
	s_movk_i32 s4, 0x80
	v_cmp_eq_u16_sdwa s[12:13], v2, s4 src0_sel:BYTE_0 src1_sel:DWORD
	s_mov_b64 s[4:5], -1
                                        ; implicit-def: $sgpr10
	s_and_saveexec_b64 s[8:9], s[12:13]
; %bb.2694:
	s_mov_b32 s10, 0x7f800001
	s_xor_b64 s[4:5], exec, -1
; %bb.2695:
	s_or_b64 exec, exec, s[8:9]
	s_and_b64 s[4:5], s[4:5], exec
	s_or_saveexec_b64 s[6:7], s[6:7]
	v_mov_b32_e32 v11, s10
	s_xor_b64 exec, exec, s[6:7]
	s_cbranch_execz .LBB18_646
.LBB18_2696:
	v_mov_b32_e32 v11, 0
	v_cmp_ne_u16_sdwa s[8:9], v2, v11 src0_sel:BYTE_0 src1_sel:DWORD
	s_andn2_b64 s[4:5], s[4:5], exec
	s_and_b64 s[8:9], s[8:9], exec
	s_or_b64 s[4:5], s[4:5], s[8:9]
	s_or_b64 exec, exec, s[6:7]
	s_and_saveexec_b64 s[6:7], s[4:5]
	s_cbranch_execnz .LBB18_647
	s_branch .LBB18_648
.LBB18_2697:
	s_movk_i32 s4, 0x80
	v_cmp_eq_u16_sdwa s[12:13], v11, s4 src0_sel:BYTE_0 src1_sel:DWORD
	s_mov_b64 s[4:5], -1
                                        ; implicit-def: $sgpr10
	s_and_saveexec_b64 s[8:9], s[12:13]
; %bb.2698:
	s_mov_b32 s10, 0x7f800001
	s_xor_b64 s[4:5], exec, -1
; %bb.2699:
	s_or_b64 exec, exec, s[8:9]
	s_and_b64 s[4:5], s[4:5], exec
	s_or_saveexec_b64 s[6:7], s[6:7]
	v_mov_b32_e32 v10, s10
	s_xor_b64 exec, exec, s[6:7]
	s_cbranch_execz .LBB18_650
.LBB18_2700:
	v_mov_b32_e32 v10, 0
	v_cmp_ne_u16_sdwa s[8:9], v11, v10 src0_sel:BYTE_0 src1_sel:DWORD
	s_andn2_b64 s[4:5], s[4:5], exec
	s_and_b64 s[8:9], s[8:9], exec
	s_or_b64 s[4:5], s[4:5], s[8:9]
	s_or_b64 exec, exec, s[6:7]
	s_and_saveexec_b64 s[6:7], s[4:5]
	s_cbranch_execnz .LBB18_651
	s_branch .LBB18_652
.LBB18_2701:
	s_movk_i32 s4, 0x80
	v_cmp_eq_u16_sdwa s[12:13], v11, s4 src0_sel:BYTE_0 src1_sel:DWORD
	s_mov_b64 s[4:5], -1
                                        ; implicit-def: $sgpr10
	s_and_saveexec_b64 s[8:9], s[12:13]
; %bb.2702:
	s_mov_b32 s10, 0x7f800001
	s_xor_b64 s[4:5], exec, -1
; %bb.2703:
	s_or_b64 exec, exec, s[8:9]
	s_and_b64 s[4:5], s[4:5], exec
	s_or_saveexec_b64 s[6:7], s[6:7]
	v_mov_b32_e32 v12, s10
	s_xor_b64 exec, exec, s[6:7]
	s_cbranch_execz .LBB18_654
.LBB18_2704:
	v_mov_b32_e32 v12, 0
	v_cmp_ne_u16_sdwa s[8:9], v11, v12 src0_sel:BYTE_0 src1_sel:DWORD
	s_andn2_b64 s[4:5], s[4:5], exec
	s_and_b64 s[8:9], s[8:9], exec
	s_or_b64 s[4:5], s[4:5], s[8:9]
	s_or_b64 exec, exec, s[6:7]
	s_and_saveexec_b64 s[6:7], s[4:5]
	s_cbranch_execnz .LBB18_655
	s_branch .LBB18_656
.LBB18_2705:
	s_movk_i32 s4, 0x80
	v_cmp_eq_u16_e32 vcc, s4, v11
	s_mov_b64 s[4:5], -1
                                        ; implicit-def: $sgpr10
	s_and_saveexec_b64 s[8:9], vcc
; %bb.2706:
	s_mov_b32 s10, 0x7f800001
	s_xor_b64 s[4:5], exec, -1
; %bb.2707:
	s_or_b64 exec, exec, s[8:9]
	s_and_b64 s[4:5], s[4:5], exec
                                        ; implicit-def: $vgpr11
	s_or_saveexec_b64 s[6:7], s[6:7]
	v_mov_b32_e32 v10, s10
	s_xor_b64 exec, exec, s[6:7]
	s_cbranch_execz .LBB18_658
.LBB18_2708:
	v_cmp_ne_u16_e32 vcc, 0, v11
	s_andn2_b64 s[4:5], s[4:5], exec
	s_and_b64 s[8:9], vcc, exec
	v_mov_b32_e32 v10, 0
	s_or_b64 s[4:5], s[4:5], s[8:9]
	s_or_b64 exec, exec, s[6:7]
	s_and_saveexec_b64 s[6:7], s[4:5]
	s_cbranch_execnz .LBB18_659
	s_branch .LBB18_660
.LBB18_2709:
	s_movk_i32 s4, 0x80
	v_cmp_eq_u16_e32 vcc, s4, v11
	s_mov_b64 s[4:5], -1
                                        ; implicit-def: $sgpr10
	s_and_saveexec_b64 s[8:9], vcc
; %bb.2710:
	s_mov_b32 s10, 0x7f800001
	s_xor_b64 s[4:5], exec, -1
; %bb.2711:
	s_or_b64 exec, exec, s[8:9]
	s_and_b64 s[4:5], s[4:5], exec
                                        ; implicit-def: $vgpr11
	s_or_saveexec_b64 s[6:7], s[6:7]
	v_mov_b32_e32 v12, s10
	s_xor_b64 exec, exec, s[6:7]
	s_cbranch_execz .LBB18_662
.LBB18_2712:
	v_cmp_ne_u16_e32 vcc, 0, v11
	s_andn2_b64 s[4:5], s[4:5], exec
	s_and_b64 s[8:9], vcc, exec
	v_mov_b32_e32 v12, 0
	s_or_b64 s[4:5], s[4:5], s[8:9]
	s_or_b64 exec, exec, s[6:7]
	s_and_saveexec_b64 s[6:7], s[4:5]
	s_cbranch_execnz .LBB18_663
	s_branch .LBB18_664
.LBB18_2713:
	s_movk_i32 s4, 0x80
	v_cmp_eq_u16_sdwa s[12:13], v6, s4 src0_sel:BYTE_3 src1_sel:DWORD
	s_mov_b64 s[4:5], -1
                                        ; implicit-def: $sgpr10
	s_and_saveexec_b64 s[8:9], s[12:13]
; %bb.2714:
	s_mov_b32 s10, 0x7f800001
	s_xor_b64 s[4:5], exec, -1
; %bb.2715:
	s_or_b64 exec, exec, s[8:9]
	s_and_b64 s[4:5], s[4:5], exec
	s_or_saveexec_b64 s[6:7], s[6:7]
	v_mov_b32_e32 v10, s10
	s_xor_b64 exec, exec, s[6:7]
	s_cbranch_execz .LBB18_666
.LBB18_2716:
	v_mov_b32_e32 v10, 0
	v_cmp_ne_u16_sdwa s[8:9], v6, v10 src0_sel:BYTE_3 src1_sel:DWORD
	s_andn2_b64 s[4:5], s[4:5], exec
	s_and_b64 s[8:9], s[8:9], exec
	s_or_b64 s[4:5], s[4:5], s[8:9]
	s_or_b64 exec, exec, s[6:7]
	s_and_saveexec_b64 s[6:7], s[4:5]
	s_cbranch_execnz .LBB18_667
	s_branch .LBB18_668
.LBB18_2717:
	s_movk_i32 s4, 0x80
	v_cmp_eq_u16_sdwa s[12:13], v2, s4 src0_sel:BYTE_3 src1_sel:DWORD
	s_mov_b64 s[4:5], -1
                                        ; implicit-def: $sgpr10
	s_and_saveexec_b64 s[8:9], s[12:13]
; %bb.2718:
	s_mov_b32 s10, 0x7f800001
	s_xor_b64 s[4:5], exec, -1
; %bb.2719:
	s_or_b64 exec, exec, s[8:9]
	s_and_b64 s[4:5], s[4:5], exec
	s_or_saveexec_b64 s[6:7], s[6:7]
	v_mov_b32_e32 v6, s10
	s_xor_b64 exec, exec, s[6:7]
	s_cbranch_execz .LBB18_670
.LBB18_2720:
	v_mov_b32_e32 v6, 0
	v_cmp_ne_u16_sdwa s[8:9], v2, v6 src0_sel:BYTE_3 src1_sel:DWORD
	s_andn2_b64 s[4:5], s[4:5], exec
	s_and_b64 s[8:9], s[8:9], exec
	s_or_b64 s[4:5], s[4:5], s[8:9]
	s_or_b64 exec, exec, s[6:7]
	s_and_saveexec_b64 s[6:7], s[4:5]
	s_cbranch_execnz .LBB18_671
	s_branch .LBB18_672
.LBB18_2721:
	s_movk_i32 s4, 0x80
	v_cmp_eq_u16_sdwa s[12:13], v7, s4 src0_sel:BYTE_0 src1_sel:DWORD
	s_mov_b64 s[4:5], -1
                                        ; implicit-def: $sgpr10
	s_and_saveexec_b64 s[8:9], s[12:13]
; %bb.2722:
	s_mov_b32 s10, 0x7f800001
	s_xor_b64 s[4:5], exec, -1
; %bb.2723:
	s_or_b64 exec, exec, s[8:9]
	s_and_b64 s[4:5], s[4:5], exec
	s_or_saveexec_b64 s[6:7], s[6:7]
	v_mov_b32_e32 v2, s10
	s_xor_b64 exec, exec, s[6:7]
	s_cbranch_execz .LBB18_674
.LBB18_2724:
	v_mov_b32_e32 v2, 0
	v_cmp_ne_u16_sdwa s[8:9], v7, v2 src0_sel:BYTE_0 src1_sel:DWORD
	s_andn2_b64 s[4:5], s[4:5], exec
	s_and_b64 s[8:9], s[8:9], exec
	s_or_b64 s[4:5], s[4:5], s[8:9]
	s_or_b64 exec, exec, s[6:7]
	s_and_saveexec_b64 s[6:7], s[4:5]
	s_cbranch_execnz .LBB18_675
	s_branch .LBB18_676
.LBB18_2725:
	s_movk_i32 s4, 0x80
	v_cmp_eq_u16_sdwa s[12:13], v3, s4 src0_sel:BYTE_0 src1_sel:DWORD
	s_mov_b64 s[4:5], -1
                                        ; implicit-def: $sgpr10
	s_and_saveexec_b64 s[8:9], s[12:13]
; %bb.2726:
	s_mov_b32 s10, 0x7f800001
	s_xor_b64 s[4:5], exec, -1
; %bb.2727:
	s_or_b64 exec, exec, s[8:9]
	s_and_b64 s[4:5], s[4:5], exec
	s_or_saveexec_b64 s[6:7], s[6:7]
	v_mov_b32_e32 v6, s10
	s_xor_b64 exec, exec, s[6:7]
	s_cbranch_execz .LBB18_678
.LBB18_2728:
	v_mov_b32_e32 v6, 0
	v_cmp_ne_u16_sdwa s[8:9], v3, v6 src0_sel:BYTE_0 src1_sel:DWORD
	s_andn2_b64 s[4:5], s[4:5], exec
	s_and_b64 s[8:9], s[8:9], exec
	s_or_b64 s[4:5], s[4:5], s[8:9]
	s_or_b64 exec, exec, s[6:7]
	s_and_saveexec_b64 s[6:7], s[4:5]
	s_cbranch_execnz .LBB18_679
	s_branch .LBB18_680
.LBB18_2729:
	s_movk_i32 s4, 0x80
	v_cmp_eq_u16_sdwa s[12:13], v6, s4 src0_sel:BYTE_0 src1_sel:DWORD
	s_mov_b64 s[4:5], -1
                                        ; implicit-def: $sgpr10
	s_and_saveexec_b64 s[8:9], s[12:13]
; %bb.2730:
	s_mov_b32 s10, 0x7f800001
	s_xor_b64 s[4:5], exec, -1
; %bb.2731:
	s_or_b64 exec, exec, s[8:9]
	s_and_b64 s[4:5], s[4:5], exec
	s_or_saveexec_b64 s[6:7], s[6:7]
	v_mov_b32_e32 v2, s10
	s_xor_b64 exec, exec, s[6:7]
	s_cbranch_execz .LBB18_682
.LBB18_2732:
	v_mov_b32_e32 v2, 0
	v_cmp_ne_u16_sdwa s[8:9], v6, v2 src0_sel:BYTE_0 src1_sel:DWORD
	s_andn2_b64 s[4:5], s[4:5], exec
	s_and_b64 s[8:9], s[8:9], exec
	s_or_b64 s[4:5], s[4:5], s[8:9]
	s_or_b64 exec, exec, s[6:7]
	s_and_saveexec_b64 s[6:7], s[4:5]
	s_cbranch_execnz .LBB18_683
	s_branch .LBB18_684
.LBB18_2733:
	s_movk_i32 s4, 0x80
	v_cmp_eq_u16_sdwa s[12:13], v6, s4 src0_sel:BYTE_0 src1_sel:DWORD
	s_mov_b64 s[4:5], -1
                                        ; implicit-def: $sgpr10
	s_and_saveexec_b64 s[8:9], s[12:13]
; %bb.2734:
	s_mov_b32 s10, 0x7f800001
	s_xor_b64 s[4:5], exec, -1
; %bb.2735:
	s_or_b64 exec, exec, s[8:9]
	s_and_b64 s[4:5], s[4:5], exec
	s_or_saveexec_b64 s[6:7], s[6:7]
	v_mov_b32_e32 v10, s10
	s_xor_b64 exec, exec, s[6:7]
	s_cbranch_execz .LBB18_686
.LBB18_2736:
	v_mov_b32_e32 v10, 0
	v_cmp_ne_u16_sdwa s[8:9], v6, v10 src0_sel:BYTE_0 src1_sel:DWORD
	s_andn2_b64 s[4:5], s[4:5], exec
	s_and_b64 s[8:9], s[8:9], exec
	s_or_b64 s[4:5], s[4:5], s[8:9]
	s_or_b64 exec, exec, s[6:7]
	s_and_saveexec_b64 s[6:7], s[4:5]
	s_cbranch_execnz .LBB18_687
	s_branch .LBB18_688
.LBB18_2737:
	s_movk_i32 s4, 0x80
	v_cmp_eq_u16_e32 vcc, s4, v6
	s_mov_b64 s[4:5], -1
                                        ; implicit-def: $sgpr10
	s_and_saveexec_b64 s[8:9], vcc
; %bb.2738:
	s_mov_b32 s10, 0x7f800001
	s_xor_b64 s[4:5], exec, -1
; %bb.2739:
	s_or_b64 exec, exec, s[8:9]
	s_and_b64 s[4:5], s[4:5], exec
                                        ; implicit-def: $vgpr6
	s_or_saveexec_b64 s[6:7], s[6:7]
	v_mov_b32_e32 v2, s10
	s_xor_b64 exec, exec, s[6:7]
	s_cbranch_execz .LBB18_690
.LBB18_2740:
	v_cmp_ne_u16_e32 vcc, 0, v6
	s_andn2_b64 s[4:5], s[4:5], exec
	s_and_b64 s[8:9], vcc, exec
	v_mov_b32_e32 v2, 0
	s_or_b64 s[4:5], s[4:5], s[8:9]
	s_or_b64 exec, exec, s[6:7]
	s_and_saveexec_b64 s[6:7], s[4:5]
	s_cbranch_execnz .LBB18_691
	s_branch .LBB18_692
.LBB18_2741:
	s_movk_i32 s4, 0x80
	v_cmp_eq_u16_e32 vcc, s4, v6
	s_mov_b64 s[4:5], -1
                                        ; implicit-def: $sgpr10
	s_and_saveexec_b64 s[8:9], vcc
; %bb.2742:
	s_mov_b32 s10, 0x7f800001
	s_xor_b64 s[4:5], exec, -1
; %bb.2743:
	s_or_b64 exec, exec, s[8:9]
	s_and_b64 s[4:5], s[4:5], exec
                                        ; implicit-def: $vgpr6
	s_or_saveexec_b64 s[6:7], s[6:7]
	v_mov_b32_e32 v10, s10
	s_xor_b64 exec, exec, s[6:7]
	s_cbranch_execz .LBB18_694
.LBB18_2744:
	v_cmp_ne_u16_e32 vcc, 0, v6
	s_andn2_b64 s[4:5], s[4:5], exec
	s_and_b64 s[8:9], vcc, exec
	v_mov_b32_e32 v10, 0
	s_or_b64 s[4:5], s[4:5], s[8:9]
	s_or_b64 exec, exec, s[6:7]
	s_and_saveexec_b64 s[6:7], s[4:5]
	s_cbranch_execnz .LBB18_695
	s_branch .LBB18_696
.LBB18_2745:
	s_movk_i32 s4, 0x80
	v_cmp_eq_u16_sdwa s[12:13], v7, s4 src0_sel:BYTE_3 src1_sel:DWORD
	s_mov_b64 s[4:5], -1
                                        ; implicit-def: $sgpr10
	s_and_saveexec_b64 s[8:9], s[12:13]
; %bb.2746:
	s_mov_b32 s10, 0x7f800001
	s_xor_b64 s[4:5], exec, -1
; %bb.2747:
	s_or_b64 exec, exec, s[8:9]
	s_and_b64 s[4:5], s[4:5], exec
	s_or_saveexec_b64 s[6:7], s[6:7]
	v_mov_b32_e32 v2, s10
	s_xor_b64 exec, exec, s[6:7]
	s_cbranch_execz .LBB18_698
.LBB18_2748:
	v_mov_b32_e32 v2, 0
	v_cmp_ne_u16_sdwa s[8:9], v7, v2 src0_sel:BYTE_3 src1_sel:DWORD
	s_andn2_b64 s[4:5], s[4:5], exec
	s_and_b64 s[8:9], s[8:9], exec
	s_or_b64 s[4:5], s[4:5], s[8:9]
	s_or_b64 exec, exec, s[6:7]
	s_and_saveexec_b64 s[6:7], s[4:5]
	s_cbranch_execnz .LBB18_699
	s_branch .LBB18_700
.LBB18_2749:
	s_movk_i32 s4, 0x80
	v_cmp_eq_u16_sdwa s[12:13], v3, s4 src0_sel:BYTE_3 src1_sel:DWORD
	s_mov_b64 s[4:5], -1
                                        ; implicit-def: $sgpr10
	s_and_saveexec_b64 s[8:9], s[12:13]
; %bb.2750:
	s_mov_b32 s10, 0x7f800001
	s_xor_b64 s[4:5], exec, -1
; %bb.2751:
	s_or_b64 exec, exec, s[8:9]
	s_and_b64 s[4:5], s[4:5], exec
	s_or_saveexec_b64 s[6:7], s[6:7]
	v_mov_b32_e32 v6, s10
	s_xor_b64 exec, exec, s[6:7]
	s_cbranch_execz .LBB18_702
.LBB18_2752:
	v_mov_b32_e32 v6, 0
	v_cmp_ne_u16_sdwa s[8:9], v3, v6 src0_sel:BYTE_3 src1_sel:DWORD
	s_andn2_b64 s[4:5], s[4:5], exec
	s_and_b64 s[8:9], s[8:9], exec
	s_or_b64 s[4:5], s[4:5], s[8:9]
	s_or_b64 exec, exec, s[6:7]
	s_and_saveexec_b64 s[6:7], s[4:5]
	s_cbranch_execnz .LBB18_703
	s_branch .LBB18_704
.LBB18_2753:
	s_movk_i32 s4, 0x80
	v_cmp_eq_u16_sdwa s[12:13], v8, s4 src0_sel:BYTE_0 src1_sel:DWORD
	s_mov_b64 s[4:5], -1
                                        ; implicit-def: $sgpr10
	s_and_saveexec_b64 s[8:9], s[12:13]
; %bb.2754:
	s_mov_b32 s10, 0x7f800001
	s_xor_b64 s[4:5], exec, -1
; %bb.2755:
	s_or_b64 exec, exec, s[8:9]
	s_and_b64 s[4:5], s[4:5], exec
	s_or_saveexec_b64 s[6:7], s[6:7]
	v_mov_b32_e32 v2, s10
	s_xor_b64 exec, exec, s[6:7]
	s_cbranch_execz .LBB18_706
.LBB18_2756:
	v_mov_b32_e32 v2, 0
	v_cmp_ne_u16_sdwa s[8:9], v8, v2 src0_sel:BYTE_0 src1_sel:DWORD
	s_andn2_b64 s[4:5], s[4:5], exec
	s_and_b64 s[8:9], s[8:9], exec
	s_or_b64 s[4:5], s[4:5], s[8:9]
	s_or_b64 exec, exec, s[6:7]
	s_and_saveexec_b64 s[6:7], s[4:5]
	s_cbranch_execnz .LBB18_707
	s_branch .LBB18_708
.LBB18_2757:
	s_movk_i32 s4, 0x80
	v_cmp_eq_u16_sdwa s[12:13], v4, s4 src0_sel:BYTE_0 src1_sel:DWORD
	s_mov_b64 s[4:5], -1
                                        ; implicit-def: $sgpr10
	s_and_saveexec_b64 s[8:9], s[12:13]
; %bb.2758:
	s_mov_b32 s10, 0x7f800001
	s_xor_b64 s[4:5], exec, -1
; %bb.2759:
	s_or_b64 exec, exec, s[8:9]
	s_and_b64 s[4:5], s[4:5], exec
	s_or_saveexec_b64 s[6:7], s[6:7]
	v_mov_b32_e32 v3, s10
	s_xor_b64 exec, exec, s[6:7]
	s_cbranch_execz .LBB18_710
.LBB18_2760:
	v_mov_b32_e32 v3, 0
	v_cmp_ne_u16_sdwa s[8:9], v4, v3 src0_sel:BYTE_0 src1_sel:DWORD
	s_andn2_b64 s[4:5], s[4:5], exec
	s_and_b64 s[8:9], s[8:9], exec
	s_or_b64 s[4:5], s[4:5], s[8:9]
	s_or_b64 exec, exec, s[6:7]
	s_and_saveexec_b64 s[6:7], s[4:5]
	s_cbranch_execnz .LBB18_711
	s_branch .LBB18_712
.LBB18_2761:
	s_movk_i32 s4, 0x80
	v_cmp_eq_u16_sdwa s[12:13], v3, s4 src0_sel:BYTE_0 src1_sel:DWORD
	s_mov_b64 s[4:5], -1
                                        ; implicit-def: $sgpr10
	s_and_saveexec_b64 s[8:9], s[12:13]
; %bb.2762:
	s_mov_b32 s10, 0x7f800001
	s_xor_b64 s[4:5], exec, -1
; %bb.2763:
	s_or_b64 exec, exec, s[8:9]
	s_and_b64 s[4:5], s[4:5], exec
	s_or_saveexec_b64 s[6:7], s[6:7]
	v_mov_b32_e32 v2, s10
	s_xor_b64 exec, exec, s[6:7]
	s_cbranch_execz .LBB18_714
.LBB18_2764:
	v_mov_b32_e32 v2, 0
	v_cmp_ne_u16_sdwa s[8:9], v3, v2 src0_sel:BYTE_0 src1_sel:DWORD
	s_andn2_b64 s[4:5], s[4:5], exec
	s_and_b64 s[8:9], s[8:9], exec
	s_or_b64 s[4:5], s[4:5], s[8:9]
	s_or_b64 exec, exec, s[6:7]
	s_and_saveexec_b64 s[6:7], s[4:5]
	s_cbranch_execnz .LBB18_715
	s_branch .LBB18_716
.LBB18_2765:
	s_movk_i32 s4, 0x80
	v_cmp_eq_u16_sdwa s[12:13], v3, s4 src0_sel:BYTE_0 src1_sel:DWORD
	s_mov_b64 s[4:5], -1
                                        ; implicit-def: $sgpr10
	s_and_saveexec_b64 s[8:9], s[12:13]
; %bb.2766:
	s_mov_b32 s10, 0x7f800001
	s_xor_b64 s[4:5], exec, -1
; %bb.2767:
	s_or_b64 exec, exec, s[8:9]
	s_and_b64 s[4:5], s[4:5], exec
	s_or_saveexec_b64 s[6:7], s[6:7]
	v_mov_b32_e32 v6, s10
	s_xor_b64 exec, exec, s[6:7]
	s_cbranch_execz .LBB18_718
.LBB18_2768:
	v_mov_b32_e32 v6, 0
	v_cmp_ne_u16_sdwa s[8:9], v3, v6 src0_sel:BYTE_0 src1_sel:DWORD
	s_andn2_b64 s[4:5], s[4:5], exec
	s_and_b64 s[8:9], s[8:9], exec
	s_or_b64 s[4:5], s[4:5], s[8:9]
	s_or_b64 exec, exec, s[6:7]
	s_and_saveexec_b64 s[6:7], s[4:5]
	s_cbranch_execnz .LBB18_719
	s_branch .LBB18_720
.LBB18_2769:
	s_movk_i32 s4, 0x80
	v_cmp_eq_u16_e32 vcc, s4, v3
	s_mov_b64 s[4:5], -1
                                        ; implicit-def: $sgpr10
	s_and_saveexec_b64 s[8:9], vcc
; %bb.2770:
	s_mov_b32 s10, 0x7f800001
	s_xor_b64 s[4:5], exec, -1
; %bb.2771:
	s_or_b64 exec, exec, s[8:9]
	s_and_b64 s[4:5], s[4:5], exec
                                        ; implicit-def: $vgpr3
	s_or_saveexec_b64 s[6:7], s[6:7]
	v_mov_b32_e32 v2, s10
	s_xor_b64 exec, exec, s[6:7]
	s_cbranch_execz .LBB18_722
.LBB18_2772:
	v_cmp_ne_u16_e32 vcc, 0, v3
	s_andn2_b64 s[4:5], s[4:5], exec
	s_and_b64 s[8:9], vcc, exec
	v_mov_b32_e32 v2, 0
	s_or_b64 s[4:5], s[4:5], s[8:9]
	s_or_b64 exec, exec, s[6:7]
	s_and_saveexec_b64 s[6:7], s[4:5]
	s_cbranch_execnz .LBB18_723
	s_branch .LBB18_724
.LBB18_2773:
	s_movk_i32 s4, 0x80
	v_cmp_eq_u16_e32 vcc, s4, v3
	s_mov_b64 s[4:5], -1
                                        ; implicit-def: $sgpr10
	s_and_saveexec_b64 s[8:9], vcc
; %bb.2774:
	s_mov_b32 s10, 0x7f800001
	s_xor_b64 s[4:5], exec, -1
; %bb.2775:
	s_or_b64 exec, exec, s[8:9]
	s_and_b64 s[4:5], s[4:5], exec
                                        ; implicit-def: $vgpr3
	s_or_saveexec_b64 s[6:7], s[6:7]
	v_mov_b32_e32 v6, s10
	s_xor_b64 exec, exec, s[6:7]
	s_cbranch_execz .LBB18_726
.LBB18_2776:
	v_cmp_ne_u16_e32 vcc, 0, v3
	s_andn2_b64 s[4:5], s[4:5], exec
	s_and_b64 s[8:9], vcc, exec
	v_mov_b32_e32 v6, 0
	s_or_b64 s[4:5], s[4:5], s[8:9]
	s_or_b64 exec, exec, s[6:7]
	s_and_saveexec_b64 s[6:7], s[4:5]
	s_cbranch_execnz .LBB18_727
	s_branch .LBB18_728
.LBB18_2777:
	s_movk_i32 s4, 0x80
	v_cmp_eq_u16_sdwa s[12:13], v8, s4 src0_sel:BYTE_3 src1_sel:DWORD
	s_mov_b64 s[4:5], -1
                                        ; implicit-def: $sgpr10
	s_and_saveexec_b64 s[8:9], s[12:13]
; %bb.2778:
	s_mov_b32 s10, 0x7f800001
	s_xor_b64 s[4:5], exec, -1
; %bb.2779:
	s_or_b64 exec, exec, s[8:9]
	s_and_b64 s[4:5], s[4:5], exec
	s_or_saveexec_b64 s[6:7], s[6:7]
	v_mov_b32_e32 v2, s10
	s_xor_b64 exec, exec, s[6:7]
	s_cbranch_execz .LBB18_730
.LBB18_2780:
	v_mov_b32_e32 v2, 0
	v_cmp_ne_u16_sdwa s[8:9], v8, v2 src0_sel:BYTE_3 src1_sel:DWORD
	s_andn2_b64 s[4:5], s[4:5], exec
	s_and_b64 s[8:9], s[8:9], exec
	s_or_b64 s[4:5], s[4:5], s[8:9]
	s_or_b64 exec, exec, s[6:7]
	s_and_saveexec_b64 s[6:7], s[4:5]
	s_cbranch_execnz .LBB18_731
	s_branch .LBB18_732
.LBB18_2781:
	s_movk_i32 s4, 0x80
	v_cmp_eq_u16_sdwa s[12:13], v4, s4 src0_sel:BYTE_3 src1_sel:DWORD
	s_mov_b64 s[4:5], -1
                                        ; implicit-def: $sgpr10
	s_and_saveexec_b64 s[8:9], s[12:13]
; %bb.2782:
	s_mov_b32 s10, 0x7f800001
	s_xor_b64 s[4:5], exec, -1
; %bb.2783:
	s_or_b64 exec, exec, s[8:9]
	s_and_b64 s[4:5], s[4:5], exec
	s_or_saveexec_b64 s[6:7], s[6:7]
	v_mov_b32_e32 v3, s10
	s_xor_b64 exec, exec, s[6:7]
	s_cbranch_execz .LBB18_734
.LBB18_2784:
	v_mov_b32_e32 v3, 0
	v_cmp_ne_u16_sdwa s[8:9], v4, v3 src0_sel:BYTE_3 src1_sel:DWORD
	s_andn2_b64 s[4:5], s[4:5], exec
	s_and_b64 s[8:9], s[8:9], exec
	s_or_b64 s[4:5], s[4:5], s[8:9]
	s_or_b64 exec, exec, s[6:7]
	s_and_saveexec_b64 s[6:7], s[4:5]
	s_cbranch_execnz .LBB18_735
	s_branch .LBB18_736
.LBB18_2785:
	s_movk_i32 s4, 0x80
	v_cmp_eq_u16_sdwa s[12:13], v9, s4 src0_sel:BYTE_0 src1_sel:DWORD
	s_mov_b64 s[4:5], -1
                                        ; implicit-def: $sgpr10
	s_and_saveexec_b64 s[8:9], s[12:13]
; %bb.2786:
	s_mov_b32 s10, 0x7f800001
	s_xor_b64 s[4:5], exec, -1
; %bb.2787:
	s_or_b64 exec, exec, s[8:9]
	s_and_b64 s[4:5], s[4:5], exec
	s_or_saveexec_b64 s[6:7], s[6:7]
	v_mov_b32_e32 v2, s10
	s_xor_b64 exec, exec, s[6:7]
	s_cbranch_execz .LBB18_738
.LBB18_2788:
	v_mov_b32_e32 v2, 0
	v_cmp_ne_u16_sdwa s[8:9], v9, v2 src0_sel:BYTE_0 src1_sel:DWORD
	s_andn2_b64 s[4:5], s[4:5], exec
	s_and_b64 s[8:9], s[8:9], exec
	s_or_b64 s[4:5], s[4:5], s[8:9]
	s_or_b64 exec, exec, s[6:7]
	s_and_saveexec_b64 s[6:7], s[4:5]
	s_cbranch_execnz .LBB18_739
	s_branch .LBB18_740
.LBB18_2789:
	s_movk_i32 s4, 0x80
	v_cmp_eq_u16_sdwa s[12:13], v5, s4 src0_sel:BYTE_0 src1_sel:DWORD
	s_mov_b64 s[4:5], -1
                                        ; implicit-def: $sgpr10
	s_and_saveexec_b64 s[8:9], s[12:13]
; %bb.2790:
	s_mov_b32 s10, 0x7f800001
	s_xor_b64 s[4:5], exec, -1
; %bb.2791:
	s_or_b64 exec, exec, s[8:9]
	s_and_b64 s[4:5], s[4:5], exec
	s_or_saveexec_b64 s[6:7], s[6:7]
	v_mov_b32_e32 v3, s10
	s_xor_b64 exec, exec, s[6:7]
	s_cbranch_execz .LBB18_742
.LBB18_2792:
	v_mov_b32_e32 v3, 0
	v_cmp_ne_u16_sdwa s[8:9], v5, v3 src0_sel:BYTE_0 src1_sel:DWORD
	s_andn2_b64 s[4:5], s[4:5], exec
	s_and_b64 s[8:9], s[8:9], exec
	s_or_b64 s[4:5], s[4:5], s[8:9]
	s_or_b64 exec, exec, s[6:7]
	s_and_saveexec_b64 s[6:7], s[4:5]
	s_cbranch_execnz .LBB18_743
	s_branch .LBB18_744
.LBB18_2793:
	s_movk_i32 s4, 0x80
	v_cmp_eq_u16_sdwa s[12:13], v3, s4 src0_sel:BYTE_0 src1_sel:DWORD
	s_mov_b64 s[4:5], -1
                                        ; implicit-def: $sgpr10
	s_and_saveexec_b64 s[8:9], s[12:13]
; %bb.2794:
	s_mov_b32 s10, 0x7f800001
	s_xor_b64 s[4:5], exec, -1
; %bb.2795:
	s_or_b64 exec, exec, s[8:9]
	s_and_b64 s[4:5], s[4:5], exec
	s_or_saveexec_b64 s[6:7], s[6:7]
	v_mov_b32_e32 v2, s10
	s_xor_b64 exec, exec, s[6:7]
	s_cbranch_execz .LBB18_746
.LBB18_2796:
	v_mov_b32_e32 v2, 0
	v_cmp_ne_u16_sdwa s[8:9], v3, v2 src0_sel:BYTE_0 src1_sel:DWORD
	s_andn2_b64 s[4:5], s[4:5], exec
	s_and_b64 s[8:9], s[8:9], exec
	s_or_b64 s[4:5], s[4:5], s[8:9]
	s_or_b64 exec, exec, s[6:7]
	s_and_saveexec_b64 s[6:7], s[4:5]
	s_cbranch_execnz .LBB18_747
	s_branch .LBB18_748
.LBB18_2797:
	s_movk_i32 s4, 0x80
	v_cmp_eq_u16_sdwa s[12:13], v3, s4 src0_sel:BYTE_0 src1_sel:DWORD
	s_mov_b64 s[4:5], -1
                                        ; implicit-def: $sgpr10
	s_and_saveexec_b64 s[8:9], s[12:13]
; %bb.2798:
	s_mov_b32 s10, 0x7f800001
	s_xor_b64 s[4:5], exec, -1
; %bb.2799:
	s_or_b64 exec, exec, s[8:9]
	s_and_b64 s[4:5], s[4:5], exec
	s_or_saveexec_b64 s[6:7], s[6:7]
	v_mov_b32_e32 v4, s10
	s_xor_b64 exec, exec, s[6:7]
	s_cbranch_execz .LBB18_750
.LBB18_2800:
	v_mov_b32_e32 v4, 0
	v_cmp_ne_u16_sdwa s[8:9], v3, v4 src0_sel:BYTE_0 src1_sel:DWORD
	s_andn2_b64 s[4:5], s[4:5], exec
	s_and_b64 s[8:9], s[8:9], exec
	s_or_b64 s[4:5], s[4:5], s[8:9]
	s_or_b64 exec, exec, s[6:7]
	s_and_saveexec_b64 s[6:7], s[4:5]
	s_cbranch_execnz .LBB18_751
	s_branch .LBB18_752
.LBB18_2801:
	s_movk_i32 s4, 0x80
	v_cmp_eq_u16_e32 vcc, s4, v3
	s_mov_b64 s[4:5], -1
                                        ; implicit-def: $sgpr10
	s_and_saveexec_b64 s[8:9], vcc
; %bb.2802:
	s_mov_b32 s10, 0x7f800001
	s_xor_b64 s[4:5], exec, -1
; %bb.2803:
	s_or_b64 exec, exec, s[8:9]
	s_and_b64 s[4:5], s[4:5], exec
                                        ; implicit-def: $vgpr3
	s_or_saveexec_b64 s[6:7], s[6:7]
	v_mov_b32_e32 v2, s10
	s_xor_b64 exec, exec, s[6:7]
	s_cbranch_execz .LBB18_754
.LBB18_2804:
	v_cmp_ne_u16_e32 vcc, 0, v3
	s_andn2_b64 s[4:5], s[4:5], exec
	s_and_b64 s[8:9], vcc, exec
	v_mov_b32_e32 v2, 0
	s_or_b64 s[4:5], s[4:5], s[8:9]
	s_or_b64 exec, exec, s[6:7]
	s_and_saveexec_b64 s[6:7], s[4:5]
	s_cbranch_execnz .LBB18_755
	s_branch .LBB18_756
.LBB18_2805:
	s_movk_i32 s4, 0x80
	v_cmp_eq_u16_e32 vcc, s4, v3
	s_mov_b64 s[4:5], -1
                                        ; implicit-def: $sgpr10
	s_and_saveexec_b64 s[8:9], vcc
; %bb.2806:
	s_mov_b32 s10, 0x7f800001
	s_xor_b64 s[4:5], exec, -1
; %bb.2807:
	s_or_b64 exec, exec, s[8:9]
	s_and_b64 s[4:5], s[4:5], exec
                                        ; implicit-def: $vgpr3
	s_or_saveexec_b64 s[6:7], s[6:7]
	v_mov_b32_e32 v4, s10
	s_xor_b64 exec, exec, s[6:7]
	s_cbranch_execz .LBB18_758
.LBB18_2808:
	v_cmp_ne_u16_e32 vcc, 0, v3
	s_andn2_b64 s[4:5], s[4:5], exec
	s_and_b64 s[8:9], vcc, exec
	v_mov_b32_e32 v4, 0
	s_or_b64 s[4:5], s[4:5], s[8:9]
	s_or_b64 exec, exec, s[6:7]
	s_and_saveexec_b64 s[6:7], s[4:5]
	s_cbranch_execnz .LBB18_759
	s_branch .LBB18_760
.LBB18_2809:
	s_movk_i32 s4, 0x80
	v_cmp_eq_u16_sdwa s[12:13], v9, s4 src0_sel:BYTE_3 src1_sel:DWORD
	s_mov_b64 s[4:5], -1
                                        ; implicit-def: $sgpr10
	s_and_saveexec_b64 s[8:9], s[12:13]
; %bb.2810:
	s_mov_b32 s10, 0x7f800001
	s_xor_b64 s[4:5], exec, -1
; %bb.2811:
	s_or_b64 exec, exec, s[8:9]
	s_and_b64 s[4:5], s[4:5], exec
	s_or_saveexec_b64 s[6:7], s[6:7]
	v_mov_b32_e32 v2, s10
	s_xor_b64 exec, exec, s[6:7]
	s_cbranch_execz .LBB18_762
.LBB18_2812:
	v_mov_b32_e32 v2, 0
	v_cmp_ne_u16_sdwa s[8:9], v9, v2 src0_sel:BYTE_3 src1_sel:DWORD
	s_andn2_b64 s[4:5], s[4:5], exec
	s_and_b64 s[8:9], s[8:9], exec
	s_or_b64 s[4:5], s[4:5], s[8:9]
	s_or_b64 exec, exec, s[6:7]
	s_and_saveexec_b64 s[6:7], s[4:5]
	s_cbranch_execnz .LBB18_763
	s_branch .LBB18_764
.LBB18_2813:
	s_movk_i32 s4, 0x80
	v_cmp_eq_u16_sdwa s[12:13], v5, s4 src0_sel:BYTE_3 src1_sel:DWORD
	s_mov_b64 s[4:5], -1
                                        ; implicit-def: $sgpr10
	s_and_saveexec_b64 s[8:9], s[12:13]
; %bb.2814:
	s_mov_b32 s10, 0x7f800001
	s_xor_b64 s[4:5], exec, -1
; %bb.2815:
	s_or_b64 exec, exec, s[8:9]
	s_and_b64 s[4:5], s[4:5], exec
	s_or_saveexec_b64 s[6:7], s[6:7]
	v_mov_b32_e32 v3, s10
	s_xor_b64 exec, exec, s[6:7]
	s_cbranch_execz .LBB18_766
.LBB18_2816:
	v_mov_b32_e32 v3, 0
	v_cmp_ne_u16_sdwa s[8:9], v5, v3 src0_sel:BYTE_3 src1_sel:DWORD
	s_andn2_b64 s[4:5], s[4:5], exec
	s_and_b64 s[8:9], s[8:9], exec
	s_or_b64 s[4:5], s[4:5], s[8:9]
	s_or_b64 exec, exec, s[6:7]
	s_and_saveexec_b64 s[6:7], s[4:5]
	s_cbranch_execnz .LBB18_767
	s_branch .LBB18_768
.LBB18_2817:
	s_movk_i32 s4, 0x80
	v_cmp_eq_u16_sdwa s[12:13], v14, s4 src0_sel:BYTE_0 src1_sel:DWORD
	s_mov_b64 s[4:5], -1
                                        ; implicit-def: $sgpr10
	s_and_saveexec_b64 s[8:9], s[12:13]
; %bb.2818:
	s_mov_b32 s10, 0x7f800001
	s_xor_b64 s[4:5], exec, -1
; %bb.2819:
	s_or_b64 exec, exec, s[8:9]
	s_and_b64 s[4:5], s[4:5], exec
	s_or_saveexec_b64 s[6:7], s[6:7]
	v_mov_b32_e32 v20, s10
	s_xor_b64 exec, exec, s[6:7]
	s_cbranch_execz .LBB18_770
.LBB18_2820:
	v_mov_b32_e32 v20, 0
	v_cmp_ne_u16_sdwa s[8:9], v14, v20 src0_sel:BYTE_0 src1_sel:DWORD
	s_andn2_b64 s[4:5], s[4:5], exec
	s_and_b64 s[8:9], s[8:9], exec
	s_or_b64 s[4:5], s[4:5], s[8:9]
	s_or_b64 exec, exec, s[6:7]
	s_and_saveexec_b64 s[6:7], s[4:5]
	s_cbranch_execnz .LBB18_771
	s_branch .LBB18_772
.LBB18_2821:
	s_movk_i32 s4, 0x80
	v_cmp_eq_u16_sdwa s[12:13], v10, s4 src0_sel:BYTE_0 src1_sel:DWORD
	s_mov_b64 s[4:5], -1
                                        ; implicit-def: $sgpr10
	s_and_saveexec_b64 s[8:9], s[12:13]
; %bb.2822:
	s_mov_b32 s10, 0x7f800001
	s_xor_b64 s[4:5], exec, -1
; %bb.2823:
	s_or_b64 exec, exec, s[8:9]
	s_and_b64 s[4:5], s[4:5], exec
	s_or_saveexec_b64 s[6:7], s[6:7]
	v_mov_b32_e32 v21, s10
	s_xor_b64 exec, exec, s[6:7]
	s_cbranch_execz .LBB18_774
.LBB18_2824:
	v_mov_b32_e32 v21, 0
	v_cmp_ne_u16_sdwa s[8:9], v10, v21 src0_sel:BYTE_0 src1_sel:DWORD
	s_andn2_b64 s[4:5], s[4:5], exec
	s_and_b64 s[8:9], s[8:9], exec
	s_or_b64 s[4:5], s[4:5], s[8:9]
	s_or_b64 exec, exec, s[6:7]
	s_and_saveexec_b64 s[6:7], s[4:5]
	s_cbranch_execnz .LBB18_775
	s_branch .LBB18_776
.LBB18_2825:
	s_movk_i32 s4, 0x80
	v_cmp_eq_u16_sdwa s[12:13], v21, s4 src0_sel:BYTE_0 src1_sel:DWORD
	s_mov_b64 s[4:5], -1
                                        ; implicit-def: $sgpr10
	s_and_saveexec_b64 s[8:9], s[12:13]
; %bb.2826:
	s_mov_b32 s10, 0x7f800001
	s_xor_b64 s[4:5], exec, -1
; %bb.2827:
	s_or_b64 exec, exec, s[8:9]
	s_and_b64 s[4:5], s[4:5], exec
	s_or_saveexec_b64 s[6:7], s[6:7]
	v_mov_b32_e32 v20, s10
	s_xor_b64 exec, exec, s[6:7]
	s_cbranch_execz .LBB18_778
.LBB18_2828:
	v_mov_b32_e32 v20, 0
	v_cmp_ne_u16_sdwa s[8:9], v21, v20 src0_sel:BYTE_0 src1_sel:DWORD
	s_andn2_b64 s[4:5], s[4:5], exec
	s_and_b64 s[8:9], s[8:9], exec
	s_or_b64 s[4:5], s[4:5], s[8:9]
	s_or_b64 exec, exec, s[6:7]
	s_and_saveexec_b64 s[6:7], s[4:5]
	s_cbranch_execnz .LBB18_779
	s_branch .LBB18_780
.LBB18_2829:
	s_movk_i32 s4, 0x80
	v_cmp_eq_u16_sdwa s[12:13], v21, s4 src0_sel:BYTE_0 src1_sel:DWORD
	s_mov_b64 s[4:5], -1
                                        ; implicit-def: $sgpr10
	s_and_saveexec_b64 s[8:9], s[12:13]
; %bb.2830:
	s_mov_b32 s10, 0x7f800001
	s_xor_b64 s[4:5], exec, -1
; %bb.2831:
	s_or_b64 exec, exec, s[8:9]
	s_and_b64 s[4:5], s[4:5], exec
	s_or_saveexec_b64 s[6:7], s[6:7]
	v_mov_b32_e32 v22, s10
	s_xor_b64 exec, exec, s[6:7]
	s_cbranch_execz .LBB18_782
.LBB18_2832:
	v_mov_b32_e32 v22, 0
	v_cmp_ne_u16_sdwa s[8:9], v21, v22 src0_sel:BYTE_0 src1_sel:DWORD
	s_andn2_b64 s[4:5], s[4:5], exec
	s_and_b64 s[8:9], s[8:9], exec
	s_or_b64 s[4:5], s[4:5], s[8:9]
	s_or_b64 exec, exec, s[6:7]
	s_and_saveexec_b64 s[6:7], s[4:5]
	s_cbranch_execnz .LBB18_783
	s_branch .LBB18_784
.LBB18_2833:
	s_movk_i32 s4, 0x80
	v_cmp_eq_u16_e32 vcc, s4, v21
	s_mov_b64 s[4:5], -1
                                        ; implicit-def: $sgpr10
	s_and_saveexec_b64 s[8:9], vcc
; %bb.2834:
	s_mov_b32 s10, 0x7f800001
	s_xor_b64 s[4:5], exec, -1
; %bb.2835:
	s_or_b64 exec, exec, s[8:9]
	s_and_b64 s[4:5], s[4:5], exec
                                        ; implicit-def: $vgpr21
	s_or_saveexec_b64 s[6:7], s[6:7]
	v_mov_b32_e32 v20, s10
	s_xor_b64 exec, exec, s[6:7]
	s_cbranch_execz .LBB18_786
.LBB18_2836:
	v_cmp_ne_u16_e32 vcc, 0, v21
	s_andn2_b64 s[4:5], s[4:5], exec
	s_and_b64 s[8:9], vcc, exec
	v_mov_b32_e32 v20, 0
	s_or_b64 s[4:5], s[4:5], s[8:9]
	s_or_b64 exec, exec, s[6:7]
	s_and_saveexec_b64 s[6:7], s[4:5]
	s_cbranch_execnz .LBB18_787
	s_branch .LBB18_788
.LBB18_2837:
	s_movk_i32 s4, 0x80
	v_cmp_eq_u16_e32 vcc, s4, v21
	s_mov_b64 s[4:5], -1
                                        ; implicit-def: $sgpr10
	s_and_saveexec_b64 s[8:9], vcc
; %bb.2838:
	s_mov_b32 s10, 0x7f800001
	s_xor_b64 s[4:5], exec, -1
; %bb.2839:
	s_or_b64 exec, exec, s[8:9]
	s_and_b64 s[4:5], s[4:5], exec
                                        ; implicit-def: $vgpr21
	s_or_saveexec_b64 s[6:7], s[6:7]
	v_mov_b32_e32 v22, s10
	s_xor_b64 exec, exec, s[6:7]
	s_cbranch_execz .LBB18_790
.LBB18_2840:
	v_cmp_ne_u16_e32 vcc, 0, v21
	s_andn2_b64 s[4:5], s[4:5], exec
	s_and_b64 s[8:9], vcc, exec
	v_mov_b32_e32 v22, 0
	s_or_b64 s[4:5], s[4:5], s[8:9]
	s_or_b64 exec, exec, s[6:7]
	s_and_saveexec_b64 s[6:7], s[4:5]
	s_cbranch_execnz .LBB18_791
	s_branch .LBB18_792
.LBB18_2841:
	s_movk_i32 s4, 0x80
	v_cmp_eq_u16_sdwa s[12:13], v14, s4 src0_sel:BYTE_3 src1_sel:DWORD
	s_mov_b64 s[4:5], -1
                                        ; implicit-def: $sgpr10
	s_and_saveexec_b64 s[8:9], s[12:13]
; %bb.2842:
	s_mov_b32 s10, 0x7f800001
	s_xor_b64 s[4:5], exec, -1
; %bb.2843:
	s_or_b64 exec, exec, s[8:9]
	s_and_b64 s[4:5], s[4:5], exec
	s_or_saveexec_b64 s[6:7], s[6:7]
	v_mov_b32_e32 v20, s10
	s_xor_b64 exec, exec, s[6:7]
	s_cbranch_execz .LBB18_794
.LBB18_2844:
	v_mov_b32_e32 v20, 0
	v_cmp_ne_u16_sdwa s[8:9], v14, v20 src0_sel:BYTE_3 src1_sel:DWORD
	s_andn2_b64 s[4:5], s[4:5], exec
	s_and_b64 s[8:9], s[8:9], exec
	s_or_b64 s[4:5], s[4:5], s[8:9]
	s_or_b64 exec, exec, s[6:7]
	s_and_saveexec_b64 s[6:7], s[4:5]
	s_cbranch_execnz .LBB18_795
	s_branch .LBB18_796
.LBB18_2845:
	s_movk_i32 s4, 0x80
	v_cmp_eq_u16_sdwa s[12:13], v10, s4 src0_sel:BYTE_3 src1_sel:DWORD
	s_mov_b64 s[4:5], -1
                                        ; implicit-def: $sgpr10
	s_and_saveexec_b64 s[8:9], s[12:13]
; %bb.2846:
	s_mov_b32 s10, 0x7f800001
	s_xor_b64 s[4:5], exec, -1
; %bb.2847:
	s_or_b64 exec, exec, s[8:9]
	s_and_b64 s[4:5], s[4:5], exec
	s_or_saveexec_b64 s[6:7], s[6:7]
	v_mov_b32_e32 v14, s10
	s_xor_b64 exec, exec, s[6:7]
	s_cbranch_execz .LBB18_798
.LBB18_2848:
	v_mov_b32_e32 v14, 0
	v_cmp_ne_u16_sdwa s[8:9], v10, v14 src0_sel:BYTE_3 src1_sel:DWORD
	s_andn2_b64 s[4:5], s[4:5], exec
	s_and_b64 s[8:9], s[8:9], exec
	s_or_b64 s[4:5], s[4:5], s[8:9]
	s_or_b64 exec, exec, s[6:7]
	s_and_saveexec_b64 s[6:7], s[4:5]
	s_cbranch_execnz .LBB18_799
	s_branch .LBB18_800
.LBB18_2849:
	s_movk_i32 s4, 0x80
	v_cmp_eq_u16_sdwa s[12:13], v15, s4 src0_sel:BYTE_0 src1_sel:DWORD
	s_mov_b64 s[4:5], -1
                                        ; implicit-def: $sgpr10
	s_and_saveexec_b64 s[8:9], s[12:13]
; %bb.2850:
	s_mov_b32 s10, 0x7f800001
	s_xor_b64 s[4:5], exec, -1
; %bb.2851:
	s_or_b64 exec, exec, s[8:9]
	s_and_b64 s[4:5], s[4:5], exec
	s_or_saveexec_b64 s[6:7], s[6:7]
	v_mov_b32_e32 v10, s10
	s_xor_b64 exec, exec, s[6:7]
	s_cbranch_execz .LBB18_802
.LBB18_2852:
	v_mov_b32_e32 v10, 0
	v_cmp_ne_u16_sdwa s[8:9], v15, v10 src0_sel:BYTE_0 src1_sel:DWORD
	s_andn2_b64 s[4:5], s[4:5], exec
	s_and_b64 s[8:9], s[8:9], exec
	s_or_b64 s[4:5], s[4:5], s[8:9]
	s_or_b64 exec, exec, s[6:7]
	s_and_saveexec_b64 s[6:7], s[4:5]
	s_cbranch_execnz .LBB18_803
	s_branch .LBB18_804
.LBB18_2853:
	s_movk_i32 s4, 0x80
	v_cmp_eq_u16_sdwa s[12:13], v11, s4 src0_sel:BYTE_0 src1_sel:DWORD
	s_mov_b64 s[4:5], -1
                                        ; implicit-def: $sgpr10
	s_and_saveexec_b64 s[8:9], s[12:13]
; %bb.2854:
	s_mov_b32 s10, 0x7f800001
	s_xor_b64 s[4:5], exec, -1
; %bb.2855:
	s_or_b64 exec, exec, s[8:9]
	s_and_b64 s[4:5], s[4:5], exec
	s_or_saveexec_b64 s[6:7], s[6:7]
	v_mov_b32_e32 v14, s10
	s_xor_b64 exec, exec, s[6:7]
	s_cbranch_execz .LBB18_806
.LBB18_2856:
	v_mov_b32_e32 v14, 0
	v_cmp_ne_u16_sdwa s[8:9], v11, v14 src0_sel:BYTE_0 src1_sel:DWORD
	s_andn2_b64 s[4:5], s[4:5], exec
	s_and_b64 s[8:9], s[8:9], exec
	s_or_b64 s[4:5], s[4:5], s[8:9]
	s_or_b64 exec, exec, s[6:7]
	s_and_saveexec_b64 s[6:7], s[4:5]
	s_cbranch_execnz .LBB18_807
	s_branch .LBB18_808
.LBB18_2857:
	s_movk_i32 s4, 0x80
	v_cmp_eq_u16_sdwa s[12:13], v14, s4 src0_sel:BYTE_0 src1_sel:DWORD
	s_mov_b64 s[4:5], -1
                                        ; implicit-def: $sgpr10
	s_and_saveexec_b64 s[8:9], s[12:13]
; %bb.2858:
	s_mov_b32 s10, 0x7f800001
	s_xor_b64 s[4:5], exec, -1
; %bb.2859:
	s_or_b64 exec, exec, s[8:9]
	s_and_b64 s[4:5], s[4:5], exec
	s_or_saveexec_b64 s[6:7], s[6:7]
	v_mov_b32_e32 v10, s10
	s_xor_b64 exec, exec, s[6:7]
	s_cbranch_execz .LBB18_810
.LBB18_2860:
	v_mov_b32_e32 v10, 0
	v_cmp_ne_u16_sdwa s[8:9], v14, v10 src0_sel:BYTE_0 src1_sel:DWORD
	s_andn2_b64 s[4:5], s[4:5], exec
	s_and_b64 s[8:9], s[8:9], exec
	s_or_b64 s[4:5], s[4:5], s[8:9]
	s_or_b64 exec, exec, s[6:7]
	s_and_saveexec_b64 s[6:7], s[4:5]
	s_cbranch_execnz .LBB18_811
	s_branch .LBB18_812
.LBB18_2861:
	s_movk_i32 s4, 0x80
	v_cmp_eq_u16_sdwa s[12:13], v14, s4 src0_sel:BYTE_0 src1_sel:DWORD
	s_mov_b64 s[4:5], -1
                                        ; implicit-def: $sgpr10
	s_and_saveexec_b64 s[8:9], s[12:13]
; %bb.2862:
	s_mov_b32 s10, 0x7f800001
	s_xor_b64 s[4:5], exec, -1
; %bb.2863:
	s_or_b64 exec, exec, s[8:9]
	s_and_b64 s[4:5], s[4:5], exec
	s_or_saveexec_b64 s[6:7], s[6:7]
	v_mov_b32_e32 v20, s10
	s_xor_b64 exec, exec, s[6:7]
	s_cbranch_execz .LBB18_814
.LBB18_2864:
	v_mov_b32_e32 v20, 0
	v_cmp_ne_u16_sdwa s[8:9], v14, v20 src0_sel:BYTE_0 src1_sel:DWORD
	s_andn2_b64 s[4:5], s[4:5], exec
	s_and_b64 s[8:9], s[8:9], exec
	s_or_b64 s[4:5], s[4:5], s[8:9]
	s_or_b64 exec, exec, s[6:7]
	s_and_saveexec_b64 s[6:7], s[4:5]
	s_cbranch_execnz .LBB18_815
	s_branch .LBB18_816
.LBB18_2865:
	s_movk_i32 s4, 0x80
	v_cmp_eq_u16_e32 vcc, s4, v14
	s_mov_b64 s[4:5], -1
                                        ; implicit-def: $sgpr10
	s_and_saveexec_b64 s[8:9], vcc
; %bb.2866:
	s_mov_b32 s10, 0x7f800001
	s_xor_b64 s[4:5], exec, -1
; %bb.2867:
	s_or_b64 exec, exec, s[8:9]
	s_and_b64 s[4:5], s[4:5], exec
                                        ; implicit-def: $vgpr14
	s_or_saveexec_b64 s[6:7], s[6:7]
	v_mov_b32_e32 v10, s10
	s_xor_b64 exec, exec, s[6:7]
	s_cbranch_execz .LBB18_818
.LBB18_2868:
	v_cmp_ne_u16_e32 vcc, 0, v14
	s_andn2_b64 s[4:5], s[4:5], exec
	s_and_b64 s[8:9], vcc, exec
	v_mov_b32_e32 v10, 0
	s_or_b64 s[4:5], s[4:5], s[8:9]
	s_or_b64 exec, exec, s[6:7]
	s_and_saveexec_b64 s[6:7], s[4:5]
	s_cbranch_execnz .LBB18_819
	s_branch .LBB18_820
.LBB18_2869:
	s_movk_i32 s4, 0x80
	v_cmp_eq_u16_e32 vcc, s4, v14
	s_mov_b64 s[4:5], -1
                                        ; implicit-def: $sgpr10
	s_and_saveexec_b64 s[8:9], vcc
; %bb.2870:
	s_mov_b32 s10, 0x7f800001
	s_xor_b64 s[4:5], exec, -1
; %bb.2871:
	s_or_b64 exec, exec, s[8:9]
	s_and_b64 s[4:5], s[4:5], exec
                                        ; implicit-def: $vgpr14
	s_or_saveexec_b64 s[6:7], s[6:7]
	v_mov_b32_e32 v20, s10
	s_xor_b64 exec, exec, s[6:7]
	s_cbranch_execz .LBB18_822
.LBB18_2872:
	v_cmp_ne_u16_e32 vcc, 0, v14
	s_andn2_b64 s[4:5], s[4:5], exec
	s_and_b64 s[8:9], vcc, exec
	v_mov_b32_e32 v20, 0
	s_or_b64 s[4:5], s[4:5], s[8:9]
	s_or_b64 exec, exec, s[6:7]
	s_and_saveexec_b64 s[6:7], s[4:5]
	s_cbranch_execnz .LBB18_823
	s_branch .LBB18_824
.LBB18_2873:
	s_movk_i32 s4, 0x80
	v_cmp_eq_u16_sdwa s[12:13], v15, s4 src0_sel:BYTE_3 src1_sel:DWORD
	s_mov_b64 s[4:5], -1
                                        ; implicit-def: $sgpr10
	s_and_saveexec_b64 s[8:9], s[12:13]
; %bb.2874:
	s_mov_b32 s10, 0x7f800001
	s_xor_b64 s[4:5], exec, -1
; %bb.2875:
	s_or_b64 exec, exec, s[8:9]
	s_and_b64 s[4:5], s[4:5], exec
	s_or_saveexec_b64 s[6:7], s[6:7]
	v_mov_b32_e32 v10, s10
	s_xor_b64 exec, exec, s[6:7]
	s_cbranch_execz .LBB18_826
.LBB18_2876:
	v_mov_b32_e32 v10, 0
	v_cmp_ne_u16_sdwa s[8:9], v15, v10 src0_sel:BYTE_3 src1_sel:DWORD
	s_andn2_b64 s[4:5], s[4:5], exec
	s_and_b64 s[8:9], s[8:9], exec
	s_or_b64 s[4:5], s[4:5], s[8:9]
	s_or_b64 exec, exec, s[6:7]
	s_and_saveexec_b64 s[6:7], s[4:5]
	s_cbranch_execnz .LBB18_827
	s_branch .LBB18_828
.LBB18_2877:
	s_movk_i32 s4, 0x80
	v_cmp_eq_u16_sdwa s[12:13], v11, s4 src0_sel:BYTE_3 src1_sel:DWORD
	s_mov_b64 s[4:5], -1
                                        ; implicit-def: $sgpr10
	s_and_saveexec_b64 s[8:9], s[12:13]
; %bb.2878:
	s_mov_b32 s10, 0x7f800001
	s_xor_b64 s[4:5], exec, -1
; %bb.2879:
	s_or_b64 exec, exec, s[8:9]
	s_and_b64 s[4:5], s[4:5], exec
	s_or_saveexec_b64 s[6:7], s[6:7]
	v_mov_b32_e32 v14, s10
	s_xor_b64 exec, exec, s[6:7]
	s_cbranch_execz .LBB18_830
.LBB18_2880:
	v_mov_b32_e32 v14, 0
	v_cmp_ne_u16_sdwa s[8:9], v11, v14 src0_sel:BYTE_3 src1_sel:DWORD
	s_andn2_b64 s[4:5], s[4:5], exec
	s_and_b64 s[8:9], s[8:9], exec
	s_or_b64 s[4:5], s[4:5], s[8:9]
	s_or_b64 exec, exec, s[6:7]
	s_and_saveexec_b64 s[6:7], s[4:5]
	s_cbranch_execnz .LBB18_831
	s_branch .LBB18_832
.LBB18_2881:
	s_movk_i32 s4, 0x80
	v_cmp_eq_u16_sdwa s[12:13], v16, s4 src0_sel:BYTE_0 src1_sel:DWORD
	s_mov_b64 s[4:5], -1
                                        ; implicit-def: $sgpr10
	s_and_saveexec_b64 s[8:9], s[12:13]
; %bb.2882:
	s_mov_b32 s10, 0x7f800001
	s_xor_b64 s[4:5], exec, -1
; %bb.2883:
	s_or_b64 exec, exec, s[8:9]
	s_and_b64 s[4:5], s[4:5], exec
	s_or_saveexec_b64 s[6:7], s[6:7]
	v_mov_b32_e32 v10, s10
	s_xor_b64 exec, exec, s[6:7]
	s_cbranch_execz .LBB18_834
.LBB18_2884:
	v_mov_b32_e32 v10, 0
	v_cmp_ne_u16_sdwa s[8:9], v16, v10 src0_sel:BYTE_0 src1_sel:DWORD
	s_andn2_b64 s[4:5], s[4:5], exec
	s_and_b64 s[8:9], s[8:9], exec
	s_or_b64 s[4:5], s[4:5], s[8:9]
	s_or_b64 exec, exec, s[6:7]
	s_and_saveexec_b64 s[6:7], s[4:5]
	s_cbranch_execnz .LBB18_835
	s_branch .LBB18_836
.LBB18_2885:
	s_movk_i32 s4, 0x80
	v_cmp_eq_u16_sdwa s[12:13], v12, s4 src0_sel:BYTE_0 src1_sel:DWORD
	s_mov_b64 s[4:5], -1
                                        ; implicit-def: $sgpr10
	s_and_saveexec_b64 s[8:9], s[12:13]
; %bb.2886:
	s_mov_b32 s10, 0x7f800001
	s_xor_b64 s[4:5], exec, -1
; %bb.2887:
	s_or_b64 exec, exec, s[8:9]
	s_and_b64 s[4:5], s[4:5], exec
	s_or_saveexec_b64 s[6:7], s[6:7]
	v_mov_b32_e32 v11, s10
	s_xor_b64 exec, exec, s[6:7]
	s_cbranch_execz .LBB18_838
.LBB18_2888:
	v_mov_b32_e32 v11, 0
	v_cmp_ne_u16_sdwa s[8:9], v12, v11 src0_sel:BYTE_0 src1_sel:DWORD
	s_andn2_b64 s[4:5], s[4:5], exec
	s_and_b64 s[8:9], s[8:9], exec
	s_or_b64 s[4:5], s[4:5], s[8:9]
	s_or_b64 exec, exec, s[6:7]
	s_and_saveexec_b64 s[6:7], s[4:5]
	s_cbranch_execnz .LBB18_839
	s_branch .LBB18_840
.LBB18_2889:
	s_movk_i32 s4, 0x80
	v_cmp_eq_u16_sdwa s[12:13], v11, s4 src0_sel:BYTE_0 src1_sel:DWORD
	s_mov_b64 s[4:5], -1
                                        ; implicit-def: $sgpr10
	s_and_saveexec_b64 s[8:9], s[12:13]
; %bb.2890:
	s_mov_b32 s10, 0x7f800001
	s_xor_b64 s[4:5], exec, -1
; %bb.2891:
	s_or_b64 exec, exec, s[8:9]
	s_and_b64 s[4:5], s[4:5], exec
	s_or_saveexec_b64 s[6:7], s[6:7]
	v_mov_b32_e32 v10, s10
	s_xor_b64 exec, exec, s[6:7]
	s_cbranch_execz .LBB18_842
.LBB18_2892:
	v_mov_b32_e32 v10, 0
	v_cmp_ne_u16_sdwa s[8:9], v11, v10 src0_sel:BYTE_0 src1_sel:DWORD
	s_andn2_b64 s[4:5], s[4:5], exec
	s_and_b64 s[8:9], s[8:9], exec
	s_or_b64 s[4:5], s[4:5], s[8:9]
	s_or_b64 exec, exec, s[6:7]
	s_and_saveexec_b64 s[6:7], s[4:5]
	s_cbranch_execnz .LBB18_843
	s_branch .LBB18_844
.LBB18_2893:
	s_movk_i32 s4, 0x80
	v_cmp_eq_u16_sdwa s[12:13], v11, s4 src0_sel:BYTE_0 src1_sel:DWORD
	s_mov_b64 s[4:5], -1
                                        ; implicit-def: $sgpr10
	s_and_saveexec_b64 s[8:9], s[12:13]
; %bb.2894:
	s_mov_b32 s10, 0x7f800001
	s_xor_b64 s[4:5], exec, -1
; %bb.2895:
	s_or_b64 exec, exec, s[8:9]
	s_and_b64 s[4:5], s[4:5], exec
	s_or_saveexec_b64 s[6:7], s[6:7]
	v_mov_b32_e32 v14, s10
	s_xor_b64 exec, exec, s[6:7]
	s_cbranch_execz .LBB18_846
.LBB18_2896:
	v_mov_b32_e32 v14, 0
	v_cmp_ne_u16_sdwa s[8:9], v11, v14 src0_sel:BYTE_0 src1_sel:DWORD
	s_andn2_b64 s[4:5], s[4:5], exec
	s_and_b64 s[8:9], s[8:9], exec
	s_or_b64 s[4:5], s[4:5], s[8:9]
	s_or_b64 exec, exec, s[6:7]
	s_and_saveexec_b64 s[6:7], s[4:5]
	s_cbranch_execnz .LBB18_847
	s_branch .LBB18_848
.LBB18_2897:
	s_movk_i32 s4, 0x80
	v_cmp_eq_u16_e32 vcc, s4, v11
	s_mov_b64 s[4:5], -1
                                        ; implicit-def: $sgpr10
	s_and_saveexec_b64 s[8:9], vcc
; %bb.2898:
	s_mov_b32 s10, 0x7f800001
	s_xor_b64 s[4:5], exec, -1
; %bb.2899:
	s_or_b64 exec, exec, s[8:9]
	s_and_b64 s[4:5], s[4:5], exec
                                        ; implicit-def: $vgpr11
	s_or_saveexec_b64 s[6:7], s[6:7]
	v_mov_b32_e32 v10, s10
	s_xor_b64 exec, exec, s[6:7]
	s_cbranch_execz .LBB18_850
.LBB18_2900:
	v_cmp_ne_u16_e32 vcc, 0, v11
	s_andn2_b64 s[4:5], s[4:5], exec
	s_and_b64 s[8:9], vcc, exec
	v_mov_b32_e32 v10, 0
	s_or_b64 s[4:5], s[4:5], s[8:9]
	s_or_b64 exec, exec, s[6:7]
	s_and_saveexec_b64 s[6:7], s[4:5]
	s_cbranch_execnz .LBB18_851
	s_branch .LBB18_852
.LBB18_2901:
	s_movk_i32 s4, 0x80
	v_cmp_eq_u16_e32 vcc, s4, v11
	s_mov_b64 s[4:5], -1
                                        ; implicit-def: $sgpr10
	s_and_saveexec_b64 s[8:9], vcc
; %bb.2902:
	s_mov_b32 s10, 0x7f800001
	s_xor_b64 s[4:5], exec, -1
; %bb.2903:
	s_or_b64 exec, exec, s[8:9]
	s_and_b64 s[4:5], s[4:5], exec
                                        ; implicit-def: $vgpr11
	s_or_saveexec_b64 s[6:7], s[6:7]
	v_mov_b32_e32 v14, s10
	s_xor_b64 exec, exec, s[6:7]
	s_cbranch_execz .LBB18_854
.LBB18_2904:
	v_cmp_ne_u16_e32 vcc, 0, v11
	s_andn2_b64 s[4:5], s[4:5], exec
	s_and_b64 s[8:9], vcc, exec
	v_mov_b32_e32 v14, 0
	s_or_b64 s[4:5], s[4:5], s[8:9]
	s_or_b64 exec, exec, s[6:7]
	s_and_saveexec_b64 s[6:7], s[4:5]
	s_cbranch_execnz .LBB18_855
	s_branch .LBB18_856
.LBB18_2905:
	s_movk_i32 s4, 0x80
	v_cmp_eq_u16_sdwa s[12:13], v16, s4 src0_sel:BYTE_3 src1_sel:DWORD
	s_mov_b64 s[4:5], -1
                                        ; implicit-def: $sgpr10
	s_and_saveexec_b64 s[8:9], s[12:13]
; %bb.2906:
	s_mov_b32 s10, 0x7f800001
	s_xor_b64 s[4:5], exec, -1
; %bb.2907:
	s_or_b64 exec, exec, s[8:9]
	s_and_b64 s[4:5], s[4:5], exec
	s_or_saveexec_b64 s[6:7], s[6:7]
	v_mov_b32_e32 v10, s10
	s_xor_b64 exec, exec, s[6:7]
	s_cbranch_execz .LBB18_858
.LBB18_2908:
	v_mov_b32_e32 v10, 0
	v_cmp_ne_u16_sdwa s[8:9], v16, v10 src0_sel:BYTE_3 src1_sel:DWORD
	s_andn2_b64 s[4:5], s[4:5], exec
	s_and_b64 s[8:9], s[8:9], exec
	s_or_b64 s[4:5], s[4:5], s[8:9]
	s_or_b64 exec, exec, s[6:7]
	s_and_saveexec_b64 s[6:7], s[4:5]
	s_cbranch_execnz .LBB18_859
	s_branch .LBB18_860
.LBB18_2909:
	s_movk_i32 s4, 0x80
	v_cmp_eq_u16_sdwa s[12:13], v12, s4 src0_sel:BYTE_3 src1_sel:DWORD
	s_mov_b64 s[4:5], -1
                                        ; implicit-def: $sgpr10
	s_and_saveexec_b64 s[8:9], s[12:13]
; %bb.2910:
	s_mov_b32 s10, 0x7f800001
	s_xor_b64 s[4:5], exec, -1
; %bb.2911:
	s_or_b64 exec, exec, s[8:9]
	s_and_b64 s[4:5], s[4:5], exec
	s_or_saveexec_b64 s[6:7], s[6:7]
	v_mov_b32_e32 v11, s10
	s_xor_b64 exec, exec, s[6:7]
	s_cbranch_execz .LBB18_862
.LBB18_2912:
	v_mov_b32_e32 v11, 0
	v_cmp_ne_u16_sdwa s[8:9], v12, v11 src0_sel:BYTE_3 src1_sel:DWORD
	s_andn2_b64 s[4:5], s[4:5], exec
	s_and_b64 s[8:9], s[8:9], exec
	s_or_b64 s[4:5], s[4:5], s[8:9]
	s_or_b64 exec, exec, s[6:7]
	s_and_saveexec_b64 s[6:7], s[4:5]
	s_cbranch_execnz .LBB18_863
	s_branch .LBB18_864
.LBB18_2913:
	s_movk_i32 s4, 0x80
	v_cmp_eq_u16_sdwa s[12:13], v17, s4 src0_sel:BYTE_0 src1_sel:DWORD
	s_mov_b64 s[4:5], -1
                                        ; implicit-def: $sgpr10
	s_and_saveexec_b64 s[8:9], s[12:13]
; %bb.2914:
	s_mov_b32 s10, 0x7f800001
	s_xor_b64 s[4:5], exec, -1
; %bb.2915:
	s_or_b64 exec, exec, s[8:9]
	s_and_b64 s[4:5], s[4:5], exec
	s_or_saveexec_b64 s[6:7], s[6:7]
	v_mov_b32_e32 v10, s10
	s_xor_b64 exec, exec, s[6:7]
	s_cbranch_execz .LBB18_866
.LBB18_2916:
	v_mov_b32_e32 v10, 0
	v_cmp_ne_u16_sdwa s[8:9], v17, v10 src0_sel:BYTE_0 src1_sel:DWORD
	s_andn2_b64 s[4:5], s[4:5], exec
	s_and_b64 s[8:9], s[8:9], exec
	s_or_b64 s[4:5], s[4:5], s[8:9]
	s_or_b64 exec, exec, s[6:7]
	s_and_saveexec_b64 s[6:7], s[4:5]
	s_cbranch_execnz .LBB18_867
	s_branch .LBB18_868
.LBB18_2917:
	s_movk_i32 s4, 0x80
	v_cmp_eq_u16_sdwa s[12:13], v13, s4 src0_sel:BYTE_0 src1_sel:DWORD
	s_mov_b64 s[4:5], -1
                                        ; implicit-def: $sgpr10
	s_and_saveexec_b64 s[8:9], s[12:13]
; %bb.2918:
	s_mov_b32 s10, 0x7f800001
	s_xor_b64 s[4:5], exec, -1
; %bb.2919:
	s_or_b64 exec, exec, s[8:9]
	s_and_b64 s[4:5], s[4:5], exec
	s_or_saveexec_b64 s[6:7], s[6:7]
	v_mov_b32_e32 v11, s10
	s_xor_b64 exec, exec, s[6:7]
	s_cbranch_execz .LBB18_870
.LBB18_2920:
	v_mov_b32_e32 v11, 0
	v_cmp_ne_u16_sdwa s[8:9], v13, v11 src0_sel:BYTE_0 src1_sel:DWORD
	s_andn2_b64 s[4:5], s[4:5], exec
	s_and_b64 s[8:9], s[8:9], exec
	s_or_b64 s[4:5], s[4:5], s[8:9]
	s_or_b64 exec, exec, s[6:7]
	s_and_saveexec_b64 s[6:7], s[4:5]
	s_cbranch_execnz .LBB18_871
	s_branch .LBB18_872
.LBB18_2921:
	s_movk_i32 s4, 0x80
	v_cmp_eq_u16_sdwa s[12:13], v11, s4 src0_sel:BYTE_0 src1_sel:DWORD
	s_mov_b64 s[4:5], -1
                                        ; implicit-def: $sgpr10
	s_and_saveexec_b64 s[8:9], s[12:13]
; %bb.2922:
	s_mov_b32 s10, 0x7f800001
	s_xor_b64 s[4:5], exec, -1
; %bb.2923:
	s_or_b64 exec, exec, s[8:9]
	s_and_b64 s[4:5], s[4:5], exec
	s_or_saveexec_b64 s[6:7], s[6:7]
	v_mov_b32_e32 v10, s10
	s_xor_b64 exec, exec, s[6:7]
	s_cbranch_execz .LBB18_874
.LBB18_2924:
	v_mov_b32_e32 v10, 0
	v_cmp_ne_u16_sdwa s[8:9], v11, v10 src0_sel:BYTE_0 src1_sel:DWORD
	s_andn2_b64 s[4:5], s[4:5], exec
	s_and_b64 s[8:9], s[8:9], exec
	s_or_b64 s[4:5], s[4:5], s[8:9]
	s_or_b64 exec, exec, s[6:7]
	s_and_saveexec_b64 s[6:7], s[4:5]
	s_cbranch_execnz .LBB18_875
	s_branch .LBB18_876
.LBB18_2925:
	s_movk_i32 s4, 0x80
	v_cmp_eq_u16_sdwa s[12:13], v11, s4 src0_sel:BYTE_0 src1_sel:DWORD
	s_mov_b64 s[4:5], -1
                                        ; implicit-def: $sgpr10
	s_and_saveexec_b64 s[8:9], s[12:13]
; %bb.2926:
	s_mov_b32 s10, 0x7f800001
	s_xor_b64 s[4:5], exec, -1
; %bb.2927:
	s_or_b64 exec, exec, s[8:9]
	s_and_b64 s[4:5], s[4:5], exec
	s_or_saveexec_b64 s[6:7], s[6:7]
	v_mov_b32_e32 v12, s10
	s_xor_b64 exec, exec, s[6:7]
	s_cbranch_execz .LBB18_878
.LBB18_2928:
	v_mov_b32_e32 v12, 0
	v_cmp_ne_u16_sdwa s[8:9], v11, v12 src0_sel:BYTE_0 src1_sel:DWORD
	s_andn2_b64 s[4:5], s[4:5], exec
	s_and_b64 s[8:9], s[8:9], exec
	s_or_b64 s[4:5], s[4:5], s[8:9]
	s_or_b64 exec, exec, s[6:7]
	s_and_saveexec_b64 s[6:7], s[4:5]
	s_cbranch_execnz .LBB18_879
	s_branch .LBB18_880
.LBB18_2929:
	s_movk_i32 s4, 0x80
	v_cmp_eq_u16_e32 vcc, s4, v11
	s_mov_b64 s[4:5], -1
                                        ; implicit-def: $sgpr10
	s_and_saveexec_b64 s[8:9], vcc
; %bb.2930:
	s_mov_b32 s10, 0x7f800001
	s_xor_b64 s[4:5], exec, -1
; %bb.2931:
	s_or_b64 exec, exec, s[8:9]
	s_and_b64 s[4:5], s[4:5], exec
                                        ; implicit-def: $vgpr11
	s_or_saveexec_b64 s[6:7], s[6:7]
	v_mov_b32_e32 v10, s10
	s_xor_b64 exec, exec, s[6:7]
	s_cbranch_execz .LBB18_882
.LBB18_2932:
	v_cmp_ne_u16_e32 vcc, 0, v11
	s_andn2_b64 s[4:5], s[4:5], exec
	s_and_b64 s[8:9], vcc, exec
	v_mov_b32_e32 v10, 0
	s_or_b64 s[4:5], s[4:5], s[8:9]
	s_or_b64 exec, exec, s[6:7]
	s_and_saveexec_b64 s[6:7], s[4:5]
	s_cbranch_execnz .LBB18_883
	s_branch .LBB18_884
.LBB18_2933:
	s_movk_i32 s4, 0x80
	v_cmp_eq_u16_e32 vcc, s4, v11
	s_mov_b64 s[4:5], -1
                                        ; implicit-def: $sgpr10
	s_and_saveexec_b64 s[8:9], vcc
; %bb.2934:
	s_mov_b32 s10, 0x7f800001
	s_xor_b64 s[4:5], exec, -1
; %bb.2935:
	s_or_b64 exec, exec, s[8:9]
	s_and_b64 s[4:5], s[4:5], exec
                                        ; implicit-def: $vgpr11
	s_or_saveexec_b64 s[6:7], s[6:7]
	v_mov_b32_e32 v12, s10
	s_xor_b64 exec, exec, s[6:7]
	s_cbranch_execz .LBB18_886
.LBB18_2936:
	v_cmp_ne_u16_e32 vcc, 0, v11
	s_andn2_b64 s[4:5], s[4:5], exec
	s_and_b64 s[8:9], vcc, exec
	v_mov_b32_e32 v12, 0
	s_or_b64 s[4:5], s[4:5], s[8:9]
	s_or_b64 exec, exec, s[6:7]
	s_and_saveexec_b64 s[6:7], s[4:5]
	s_cbranch_execnz .LBB18_887
	s_branch .LBB18_888
.LBB18_2937:
	s_movk_i32 s4, 0x80
	v_cmp_eq_u16_sdwa s[12:13], v17, s4 src0_sel:BYTE_3 src1_sel:DWORD
	s_mov_b64 s[4:5], -1
                                        ; implicit-def: $sgpr10
	s_and_saveexec_b64 s[8:9], s[12:13]
; %bb.2938:
	s_mov_b32 s10, 0x7f800001
	s_xor_b64 s[4:5], exec, -1
; %bb.2939:
	s_or_b64 exec, exec, s[8:9]
	s_and_b64 s[4:5], s[4:5], exec
	s_or_saveexec_b64 s[6:7], s[6:7]
	v_mov_b32_e32 v10, s10
	s_xor_b64 exec, exec, s[6:7]
	s_cbranch_execz .LBB18_890
.LBB18_2940:
	v_mov_b32_e32 v10, 0
	v_cmp_ne_u16_sdwa s[8:9], v17, v10 src0_sel:BYTE_3 src1_sel:DWORD
	s_andn2_b64 s[4:5], s[4:5], exec
	s_and_b64 s[8:9], s[8:9], exec
	s_or_b64 s[4:5], s[4:5], s[8:9]
	s_or_b64 exec, exec, s[6:7]
	s_and_saveexec_b64 s[6:7], s[4:5]
	s_cbranch_execnz .LBB18_891
	s_branch .LBB18_892
.LBB18_2941:
	s_movk_i32 s4, 0x80
	v_cmp_eq_u16_sdwa s[12:13], v13, s4 src0_sel:BYTE_3 src1_sel:DWORD
	s_mov_b64 s[4:5], -1
                                        ; implicit-def: $sgpr10
	s_and_saveexec_b64 s[8:9], s[12:13]
; %bb.2942:
	s_mov_b32 s10, 0x7f800001
	s_xor_b64 s[4:5], exec, -1
; %bb.2943:
	s_or_b64 exec, exec, s[8:9]
	s_and_b64 s[4:5], s[4:5], exec
	s_or_saveexec_b64 s[6:7], s[6:7]
	v_mov_b32_e32 v11, s10
	s_xor_b64 exec, exec, s[6:7]
	s_cbranch_execz .LBB18_894
.LBB18_2944:
	v_mov_b32_e32 v11, 0
	v_cmp_ne_u16_sdwa s[8:9], v13, v11 src0_sel:BYTE_3 src1_sel:DWORD
	s_andn2_b64 s[4:5], s[4:5], exec
	s_and_b64 s[8:9], s[8:9], exec
	s_or_b64 s[4:5], s[4:5], s[8:9]
	s_or_b64 exec, exec, s[6:7]
	s_and_saveexec_b64 s[6:7], s[4:5]
	s_cbranch_execnz .LBB18_895
	s_branch .LBB18_896
.LBB18_2945:
	s_movk_i32 s4, 0x80
	v_cmp_eq_u16_sdwa s[12:13], v6, s4 src0_sel:BYTE_0 src1_sel:DWORD
	s_mov_b64 s[4:5], -1
                                        ; implicit-def: $sgpr10
	s_and_saveexec_b64 s[8:9], s[12:13]
; %bb.2946:
	s_mov_b32 s10, 0x7f800001
	s_xor_b64 s[4:5], exec, -1
; %bb.2947:
	s_or_b64 exec, exec, s[8:9]
	s_and_b64 s[4:5], s[4:5], exec
	s_or_saveexec_b64 s[6:7], s[6:7]
	v_mov_b32_e32 v10, s10
	s_xor_b64 exec, exec, s[6:7]
	s_cbranch_execz .LBB18_898
.LBB18_2948:
	v_mov_b32_e32 v10, 0
	v_cmp_ne_u16_sdwa s[8:9], v6, v10 src0_sel:BYTE_0 src1_sel:DWORD
	s_andn2_b64 s[4:5], s[4:5], exec
	s_and_b64 s[8:9], s[8:9], exec
	s_or_b64 s[4:5], s[4:5], s[8:9]
	s_or_b64 exec, exec, s[6:7]
	s_and_saveexec_b64 s[6:7], s[4:5]
	s_cbranch_execnz .LBB18_899
	s_branch .LBB18_900
.LBB18_2949:
	s_movk_i32 s4, 0x80
	v_cmp_eq_u16_sdwa s[12:13], v2, s4 src0_sel:BYTE_0 src1_sel:DWORD
	s_mov_b64 s[4:5], -1
                                        ; implicit-def: $sgpr10
	s_and_saveexec_b64 s[8:9], s[12:13]
; %bb.2950:
	s_mov_b32 s10, 0x7f800001
	s_xor_b64 s[4:5], exec, -1
; %bb.2951:
	s_or_b64 exec, exec, s[8:9]
	s_and_b64 s[4:5], s[4:5], exec
	s_or_saveexec_b64 s[6:7], s[6:7]
	v_mov_b32_e32 v11, s10
	s_xor_b64 exec, exec, s[6:7]
	s_cbranch_execz .LBB18_902
.LBB18_2952:
	v_mov_b32_e32 v11, 0
	v_cmp_ne_u16_sdwa s[8:9], v2, v11 src0_sel:BYTE_0 src1_sel:DWORD
	s_andn2_b64 s[4:5], s[4:5], exec
	s_and_b64 s[8:9], s[8:9], exec
	s_or_b64 s[4:5], s[4:5], s[8:9]
	s_or_b64 exec, exec, s[6:7]
	s_and_saveexec_b64 s[6:7], s[4:5]
	s_cbranch_execnz .LBB18_903
	s_branch .LBB18_904
.LBB18_2953:
	s_movk_i32 s4, 0x80
	v_cmp_eq_u16_sdwa s[12:13], v11, s4 src0_sel:BYTE_0 src1_sel:DWORD
	s_mov_b64 s[4:5], -1
                                        ; implicit-def: $sgpr10
	s_and_saveexec_b64 s[8:9], s[12:13]
; %bb.2954:
	s_mov_b32 s10, 0x7f800001
	s_xor_b64 s[4:5], exec, -1
; %bb.2955:
	s_or_b64 exec, exec, s[8:9]
	s_and_b64 s[4:5], s[4:5], exec
	s_or_saveexec_b64 s[6:7], s[6:7]
	v_mov_b32_e32 v10, s10
	s_xor_b64 exec, exec, s[6:7]
	s_cbranch_execz .LBB18_906
.LBB18_2956:
	v_mov_b32_e32 v10, 0
	v_cmp_ne_u16_sdwa s[8:9], v11, v10 src0_sel:BYTE_0 src1_sel:DWORD
	s_andn2_b64 s[4:5], s[4:5], exec
	s_and_b64 s[8:9], s[8:9], exec
	s_or_b64 s[4:5], s[4:5], s[8:9]
	s_or_b64 exec, exec, s[6:7]
	s_and_saveexec_b64 s[6:7], s[4:5]
	s_cbranch_execnz .LBB18_907
	s_branch .LBB18_908
.LBB18_2957:
	s_movk_i32 s4, 0x80
	v_cmp_eq_u16_sdwa s[12:13], v11, s4 src0_sel:BYTE_0 src1_sel:DWORD
	s_mov_b64 s[4:5], -1
                                        ; implicit-def: $sgpr10
	s_and_saveexec_b64 s[8:9], s[12:13]
; %bb.2958:
	s_mov_b32 s10, 0x7f800001
	s_xor_b64 s[4:5], exec, -1
; %bb.2959:
	s_or_b64 exec, exec, s[8:9]
	s_and_b64 s[4:5], s[4:5], exec
	s_or_saveexec_b64 s[6:7], s[6:7]
	v_mov_b32_e32 v12, s10
	s_xor_b64 exec, exec, s[6:7]
	s_cbranch_execz .LBB18_910
.LBB18_2960:
	v_mov_b32_e32 v12, 0
	v_cmp_ne_u16_sdwa s[8:9], v11, v12 src0_sel:BYTE_0 src1_sel:DWORD
	s_andn2_b64 s[4:5], s[4:5], exec
	s_and_b64 s[8:9], s[8:9], exec
	s_or_b64 s[4:5], s[4:5], s[8:9]
	s_or_b64 exec, exec, s[6:7]
	s_and_saveexec_b64 s[6:7], s[4:5]
	s_cbranch_execnz .LBB18_911
	s_branch .LBB18_912
.LBB18_2961:
	s_movk_i32 s4, 0x80
	v_cmp_eq_u16_e32 vcc, s4, v11
	s_mov_b64 s[4:5], -1
                                        ; implicit-def: $sgpr10
	s_and_saveexec_b64 s[8:9], vcc
; %bb.2962:
	s_mov_b32 s10, 0x7f800001
	s_xor_b64 s[4:5], exec, -1
; %bb.2963:
	s_or_b64 exec, exec, s[8:9]
	s_and_b64 s[4:5], s[4:5], exec
                                        ; implicit-def: $vgpr11
	s_or_saveexec_b64 s[6:7], s[6:7]
	v_mov_b32_e32 v10, s10
	s_xor_b64 exec, exec, s[6:7]
	s_cbranch_execz .LBB18_914
.LBB18_2964:
	v_cmp_ne_u16_e32 vcc, 0, v11
	s_andn2_b64 s[4:5], s[4:5], exec
	s_and_b64 s[8:9], vcc, exec
	v_mov_b32_e32 v10, 0
	s_or_b64 s[4:5], s[4:5], s[8:9]
	s_or_b64 exec, exec, s[6:7]
	s_and_saveexec_b64 s[6:7], s[4:5]
	s_cbranch_execnz .LBB18_915
	s_branch .LBB18_916
.LBB18_2965:
	s_movk_i32 s4, 0x80
	v_cmp_eq_u16_e32 vcc, s4, v11
	s_mov_b64 s[4:5], -1
                                        ; implicit-def: $sgpr10
	s_and_saveexec_b64 s[8:9], vcc
; %bb.2966:
	s_mov_b32 s10, 0x7f800001
	s_xor_b64 s[4:5], exec, -1
; %bb.2967:
	s_or_b64 exec, exec, s[8:9]
	s_and_b64 s[4:5], s[4:5], exec
                                        ; implicit-def: $vgpr11
	s_or_saveexec_b64 s[6:7], s[6:7]
	v_mov_b32_e32 v12, s10
	s_xor_b64 exec, exec, s[6:7]
	s_cbranch_execz .LBB18_918
.LBB18_2968:
	v_cmp_ne_u16_e32 vcc, 0, v11
	s_andn2_b64 s[4:5], s[4:5], exec
	s_and_b64 s[8:9], vcc, exec
	v_mov_b32_e32 v12, 0
	s_or_b64 s[4:5], s[4:5], s[8:9]
	s_or_b64 exec, exec, s[6:7]
	s_and_saveexec_b64 s[6:7], s[4:5]
	s_cbranch_execnz .LBB18_919
	s_branch .LBB18_920
.LBB18_2969:
	s_movk_i32 s4, 0x80
	v_cmp_eq_u16_sdwa s[12:13], v6, s4 src0_sel:BYTE_3 src1_sel:DWORD
	s_mov_b64 s[4:5], -1
                                        ; implicit-def: $sgpr10
	s_and_saveexec_b64 s[8:9], s[12:13]
; %bb.2970:
	s_mov_b32 s10, 0x7f800001
	s_xor_b64 s[4:5], exec, -1
; %bb.2971:
	s_or_b64 exec, exec, s[8:9]
	s_and_b64 s[4:5], s[4:5], exec
	s_or_saveexec_b64 s[6:7], s[6:7]
	v_mov_b32_e32 v10, s10
	s_xor_b64 exec, exec, s[6:7]
	s_cbranch_execz .LBB18_922
.LBB18_2972:
	v_mov_b32_e32 v10, 0
	v_cmp_ne_u16_sdwa s[8:9], v6, v10 src0_sel:BYTE_3 src1_sel:DWORD
	s_andn2_b64 s[4:5], s[4:5], exec
	s_and_b64 s[8:9], s[8:9], exec
	s_or_b64 s[4:5], s[4:5], s[8:9]
	s_or_b64 exec, exec, s[6:7]
	s_and_saveexec_b64 s[6:7], s[4:5]
	s_cbranch_execnz .LBB18_923
	s_branch .LBB18_924
.LBB18_2973:
	s_movk_i32 s4, 0x80
	v_cmp_eq_u16_sdwa s[12:13], v2, s4 src0_sel:BYTE_3 src1_sel:DWORD
	s_mov_b64 s[4:5], -1
                                        ; implicit-def: $sgpr10
	s_and_saveexec_b64 s[8:9], s[12:13]
; %bb.2974:
	s_mov_b32 s10, 0x7f800001
	s_xor_b64 s[4:5], exec, -1
; %bb.2975:
	s_or_b64 exec, exec, s[8:9]
	s_and_b64 s[4:5], s[4:5], exec
	s_or_saveexec_b64 s[6:7], s[6:7]
	v_mov_b32_e32 v6, s10
	s_xor_b64 exec, exec, s[6:7]
	s_cbranch_execz .LBB18_926
.LBB18_2976:
	v_mov_b32_e32 v6, 0
	v_cmp_ne_u16_sdwa s[8:9], v2, v6 src0_sel:BYTE_3 src1_sel:DWORD
	s_andn2_b64 s[4:5], s[4:5], exec
	s_and_b64 s[8:9], s[8:9], exec
	s_or_b64 s[4:5], s[4:5], s[8:9]
	s_or_b64 exec, exec, s[6:7]
	s_and_saveexec_b64 s[6:7], s[4:5]
	s_cbranch_execnz .LBB18_927
	s_branch .LBB18_928
.LBB18_2977:
	s_movk_i32 s4, 0x80
	v_cmp_eq_u16_sdwa s[12:13], v7, s4 src0_sel:BYTE_0 src1_sel:DWORD
	s_mov_b64 s[4:5], -1
                                        ; implicit-def: $sgpr10
	s_and_saveexec_b64 s[8:9], s[12:13]
; %bb.2978:
	s_mov_b32 s10, 0x7f800001
	s_xor_b64 s[4:5], exec, -1
; %bb.2979:
	s_or_b64 exec, exec, s[8:9]
	s_and_b64 s[4:5], s[4:5], exec
	s_or_saveexec_b64 s[6:7], s[6:7]
	v_mov_b32_e32 v2, s10
	s_xor_b64 exec, exec, s[6:7]
	s_cbranch_execz .LBB18_930
.LBB18_2980:
	v_mov_b32_e32 v2, 0
	v_cmp_ne_u16_sdwa s[8:9], v7, v2 src0_sel:BYTE_0 src1_sel:DWORD
	s_andn2_b64 s[4:5], s[4:5], exec
	s_and_b64 s[8:9], s[8:9], exec
	s_or_b64 s[4:5], s[4:5], s[8:9]
	s_or_b64 exec, exec, s[6:7]
	s_and_saveexec_b64 s[6:7], s[4:5]
	s_cbranch_execnz .LBB18_931
	s_branch .LBB18_932
.LBB18_2981:
	s_movk_i32 s4, 0x80
	v_cmp_eq_u16_sdwa s[12:13], v3, s4 src0_sel:BYTE_0 src1_sel:DWORD
	s_mov_b64 s[4:5], -1
                                        ; implicit-def: $sgpr10
	s_and_saveexec_b64 s[8:9], s[12:13]
; %bb.2982:
	s_mov_b32 s10, 0x7f800001
	s_xor_b64 s[4:5], exec, -1
; %bb.2983:
	s_or_b64 exec, exec, s[8:9]
	s_and_b64 s[4:5], s[4:5], exec
	s_or_saveexec_b64 s[6:7], s[6:7]
	v_mov_b32_e32 v6, s10
	s_xor_b64 exec, exec, s[6:7]
	s_cbranch_execz .LBB18_934
.LBB18_2984:
	v_mov_b32_e32 v6, 0
	v_cmp_ne_u16_sdwa s[8:9], v3, v6 src0_sel:BYTE_0 src1_sel:DWORD
	s_andn2_b64 s[4:5], s[4:5], exec
	s_and_b64 s[8:9], s[8:9], exec
	s_or_b64 s[4:5], s[4:5], s[8:9]
	s_or_b64 exec, exec, s[6:7]
	s_and_saveexec_b64 s[6:7], s[4:5]
	s_cbranch_execnz .LBB18_935
	s_branch .LBB18_936
.LBB18_2985:
	s_movk_i32 s4, 0x80
	v_cmp_eq_u16_sdwa s[12:13], v6, s4 src0_sel:BYTE_0 src1_sel:DWORD
	s_mov_b64 s[4:5], -1
                                        ; implicit-def: $sgpr10
	s_and_saveexec_b64 s[8:9], s[12:13]
; %bb.2986:
	s_mov_b32 s10, 0x7f800001
	s_xor_b64 s[4:5], exec, -1
; %bb.2987:
	s_or_b64 exec, exec, s[8:9]
	s_and_b64 s[4:5], s[4:5], exec
	s_or_saveexec_b64 s[6:7], s[6:7]
	v_mov_b32_e32 v2, s10
	s_xor_b64 exec, exec, s[6:7]
	s_cbranch_execz .LBB18_938
.LBB18_2988:
	v_mov_b32_e32 v2, 0
	v_cmp_ne_u16_sdwa s[8:9], v6, v2 src0_sel:BYTE_0 src1_sel:DWORD
	s_andn2_b64 s[4:5], s[4:5], exec
	s_and_b64 s[8:9], s[8:9], exec
	s_or_b64 s[4:5], s[4:5], s[8:9]
	s_or_b64 exec, exec, s[6:7]
	s_and_saveexec_b64 s[6:7], s[4:5]
	s_cbranch_execnz .LBB18_939
	s_branch .LBB18_940
.LBB18_2989:
	s_movk_i32 s4, 0x80
	v_cmp_eq_u16_sdwa s[12:13], v6, s4 src0_sel:BYTE_0 src1_sel:DWORD
	s_mov_b64 s[4:5], -1
                                        ; implicit-def: $sgpr10
	s_and_saveexec_b64 s[8:9], s[12:13]
; %bb.2990:
	s_mov_b32 s10, 0x7f800001
	s_xor_b64 s[4:5], exec, -1
; %bb.2991:
	s_or_b64 exec, exec, s[8:9]
	s_and_b64 s[4:5], s[4:5], exec
	s_or_saveexec_b64 s[6:7], s[6:7]
	v_mov_b32_e32 v10, s10
	s_xor_b64 exec, exec, s[6:7]
	s_cbranch_execz .LBB18_942
.LBB18_2992:
	v_mov_b32_e32 v10, 0
	v_cmp_ne_u16_sdwa s[8:9], v6, v10 src0_sel:BYTE_0 src1_sel:DWORD
	s_andn2_b64 s[4:5], s[4:5], exec
	s_and_b64 s[8:9], s[8:9], exec
	s_or_b64 s[4:5], s[4:5], s[8:9]
	s_or_b64 exec, exec, s[6:7]
	s_and_saveexec_b64 s[6:7], s[4:5]
	s_cbranch_execnz .LBB18_943
	s_branch .LBB18_944
.LBB18_2993:
	s_movk_i32 s4, 0x80
	v_cmp_eq_u16_e32 vcc, s4, v6
	s_mov_b64 s[4:5], -1
                                        ; implicit-def: $sgpr10
	s_and_saveexec_b64 s[8:9], vcc
; %bb.2994:
	s_mov_b32 s10, 0x7f800001
	s_xor_b64 s[4:5], exec, -1
; %bb.2995:
	s_or_b64 exec, exec, s[8:9]
	s_and_b64 s[4:5], s[4:5], exec
                                        ; implicit-def: $vgpr6
	s_or_saveexec_b64 s[6:7], s[6:7]
	v_mov_b32_e32 v2, s10
	s_xor_b64 exec, exec, s[6:7]
	s_cbranch_execz .LBB18_946
.LBB18_2996:
	v_cmp_ne_u16_e32 vcc, 0, v6
	s_andn2_b64 s[4:5], s[4:5], exec
	s_and_b64 s[8:9], vcc, exec
	v_mov_b32_e32 v2, 0
	s_or_b64 s[4:5], s[4:5], s[8:9]
	s_or_b64 exec, exec, s[6:7]
	s_and_saveexec_b64 s[6:7], s[4:5]
	s_cbranch_execnz .LBB18_947
	s_branch .LBB18_948
.LBB18_2997:
	s_movk_i32 s4, 0x80
	v_cmp_eq_u16_e32 vcc, s4, v6
	s_mov_b64 s[4:5], -1
                                        ; implicit-def: $sgpr10
	s_and_saveexec_b64 s[8:9], vcc
; %bb.2998:
	s_mov_b32 s10, 0x7f800001
	s_xor_b64 s[4:5], exec, -1
; %bb.2999:
	s_or_b64 exec, exec, s[8:9]
	s_and_b64 s[4:5], s[4:5], exec
                                        ; implicit-def: $vgpr6
	s_or_saveexec_b64 s[6:7], s[6:7]
	v_mov_b32_e32 v10, s10
	s_xor_b64 exec, exec, s[6:7]
	s_cbranch_execz .LBB18_950
.LBB18_3000:
	v_cmp_ne_u16_e32 vcc, 0, v6
	s_andn2_b64 s[4:5], s[4:5], exec
	s_and_b64 s[8:9], vcc, exec
	v_mov_b32_e32 v10, 0
	s_or_b64 s[4:5], s[4:5], s[8:9]
	s_or_b64 exec, exec, s[6:7]
	s_and_saveexec_b64 s[6:7], s[4:5]
	s_cbranch_execnz .LBB18_951
	s_branch .LBB18_952
.LBB18_3001:
	s_movk_i32 s4, 0x80
	v_cmp_eq_u16_sdwa s[12:13], v7, s4 src0_sel:BYTE_3 src1_sel:DWORD
	s_mov_b64 s[4:5], -1
                                        ; implicit-def: $sgpr10
	s_and_saveexec_b64 s[8:9], s[12:13]
; %bb.3002:
	s_mov_b32 s10, 0x7f800001
	s_xor_b64 s[4:5], exec, -1
; %bb.3003:
	s_or_b64 exec, exec, s[8:9]
	s_and_b64 s[4:5], s[4:5], exec
	s_or_saveexec_b64 s[6:7], s[6:7]
	v_mov_b32_e32 v2, s10
	s_xor_b64 exec, exec, s[6:7]
	s_cbranch_execz .LBB18_954
.LBB18_3004:
	v_mov_b32_e32 v2, 0
	v_cmp_ne_u16_sdwa s[8:9], v7, v2 src0_sel:BYTE_3 src1_sel:DWORD
	s_andn2_b64 s[4:5], s[4:5], exec
	s_and_b64 s[8:9], s[8:9], exec
	s_or_b64 s[4:5], s[4:5], s[8:9]
	s_or_b64 exec, exec, s[6:7]
	s_and_saveexec_b64 s[6:7], s[4:5]
	s_cbranch_execnz .LBB18_955
	s_branch .LBB18_956
.LBB18_3005:
	s_movk_i32 s4, 0x80
	v_cmp_eq_u16_sdwa s[12:13], v3, s4 src0_sel:BYTE_3 src1_sel:DWORD
	s_mov_b64 s[4:5], -1
                                        ; implicit-def: $sgpr10
	s_and_saveexec_b64 s[8:9], s[12:13]
; %bb.3006:
	s_mov_b32 s10, 0x7f800001
	s_xor_b64 s[4:5], exec, -1
; %bb.3007:
	s_or_b64 exec, exec, s[8:9]
	s_and_b64 s[4:5], s[4:5], exec
	s_or_saveexec_b64 s[6:7], s[6:7]
	v_mov_b32_e32 v6, s10
	s_xor_b64 exec, exec, s[6:7]
	s_cbranch_execz .LBB18_958
.LBB18_3008:
	v_mov_b32_e32 v6, 0
	v_cmp_ne_u16_sdwa s[8:9], v3, v6 src0_sel:BYTE_3 src1_sel:DWORD
	s_andn2_b64 s[4:5], s[4:5], exec
	s_and_b64 s[8:9], s[8:9], exec
	s_or_b64 s[4:5], s[4:5], s[8:9]
	s_or_b64 exec, exec, s[6:7]
	s_and_saveexec_b64 s[6:7], s[4:5]
	s_cbranch_execnz .LBB18_959
	s_branch .LBB18_960
.LBB18_3009:
	s_movk_i32 s4, 0x80
	v_cmp_eq_u16_sdwa s[12:13], v8, s4 src0_sel:BYTE_0 src1_sel:DWORD
	s_mov_b64 s[4:5], -1
                                        ; implicit-def: $sgpr10
	s_and_saveexec_b64 s[8:9], s[12:13]
; %bb.3010:
	s_mov_b32 s10, 0x7f800001
	s_xor_b64 s[4:5], exec, -1
; %bb.3011:
	s_or_b64 exec, exec, s[8:9]
	s_and_b64 s[4:5], s[4:5], exec
	s_or_saveexec_b64 s[6:7], s[6:7]
	v_mov_b32_e32 v2, s10
	s_xor_b64 exec, exec, s[6:7]
	s_cbranch_execz .LBB18_962
.LBB18_3012:
	v_mov_b32_e32 v2, 0
	v_cmp_ne_u16_sdwa s[8:9], v8, v2 src0_sel:BYTE_0 src1_sel:DWORD
	s_andn2_b64 s[4:5], s[4:5], exec
	s_and_b64 s[8:9], s[8:9], exec
	s_or_b64 s[4:5], s[4:5], s[8:9]
	s_or_b64 exec, exec, s[6:7]
	s_and_saveexec_b64 s[6:7], s[4:5]
	s_cbranch_execnz .LBB18_963
	s_branch .LBB18_964
.LBB18_3013:
	s_movk_i32 s4, 0x80
	v_cmp_eq_u16_sdwa s[12:13], v4, s4 src0_sel:BYTE_0 src1_sel:DWORD
	s_mov_b64 s[4:5], -1
                                        ; implicit-def: $sgpr10
	s_and_saveexec_b64 s[8:9], s[12:13]
; %bb.3014:
	s_mov_b32 s10, 0x7f800001
	s_xor_b64 s[4:5], exec, -1
; %bb.3015:
	s_or_b64 exec, exec, s[8:9]
	s_and_b64 s[4:5], s[4:5], exec
	s_or_saveexec_b64 s[6:7], s[6:7]
	v_mov_b32_e32 v3, s10
	s_xor_b64 exec, exec, s[6:7]
	s_cbranch_execz .LBB18_966
.LBB18_3016:
	v_mov_b32_e32 v3, 0
	v_cmp_ne_u16_sdwa s[8:9], v4, v3 src0_sel:BYTE_0 src1_sel:DWORD
	s_andn2_b64 s[4:5], s[4:5], exec
	s_and_b64 s[8:9], s[8:9], exec
	s_or_b64 s[4:5], s[4:5], s[8:9]
	s_or_b64 exec, exec, s[6:7]
	s_and_saveexec_b64 s[6:7], s[4:5]
	s_cbranch_execnz .LBB18_967
	s_branch .LBB18_968
.LBB18_3017:
	s_movk_i32 s4, 0x80
	v_cmp_eq_u16_sdwa s[12:13], v3, s4 src0_sel:BYTE_0 src1_sel:DWORD
	s_mov_b64 s[4:5], -1
                                        ; implicit-def: $sgpr10
	s_and_saveexec_b64 s[8:9], s[12:13]
; %bb.3018:
	s_mov_b32 s10, 0x7f800001
	s_xor_b64 s[4:5], exec, -1
; %bb.3019:
	s_or_b64 exec, exec, s[8:9]
	s_and_b64 s[4:5], s[4:5], exec
	s_or_saveexec_b64 s[6:7], s[6:7]
	v_mov_b32_e32 v2, s10
	s_xor_b64 exec, exec, s[6:7]
	s_cbranch_execz .LBB18_970
.LBB18_3020:
	v_mov_b32_e32 v2, 0
	v_cmp_ne_u16_sdwa s[8:9], v3, v2 src0_sel:BYTE_0 src1_sel:DWORD
	s_andn2_b64 s[4:5], s[4:5], exec
	s_and_b64 s[8:9], s[8:9], exec
	s_or_b64 s[4:5], s[4:5], s[8:9]
	s_or_b64 exec, exec, s[6:7]
	s_and_saveexec_b64 s[6:7], s[4:5]
	s_cbranch_execnz .LBB18_971
	s_branch .LBB18_972
.LBB18_3021:
	s_movk_i32 s4, 0x80
	v_cmp_eq_u16_sdwa s[12:13], v3, s4 src0_sel:BYTE_0 src1_sel:DWORD
	s_mov_b64 s[4:5], -1
                                        ; implicit-def: $sgpr10
	s_and_saveexec_b64 s[8:9], s[12:13]
; %bb.3022:
	s_mov_b32 s10, 0x7f800001
	s_xor_b64 s[4:5], exec, -1
; %bb.3023:
	s_or_b64 exec, exec, s[8:9]
	s_and_b64 s[4:5], s[4:5], exec
	s_or_saveexec_b64 s[6:7], s[6:7]
	v_mov_b32_e32 v6, s10
	s_xor_b64 exec, exec, s[6:7]
	s_cbranch_execz .LBB18_974
.LBB18_3024:
	v_mov_b32_e32 v6, 0
	v_cmp_ne_u16_sdwa s[8:9], v3, v6 src0_sel:BYTE_0 src1_sel:DWORD
	s_andn2_b64 s[4:5], s[4:5], exec
	s_and_b64 s[8:9], s[8:9], exec
	s_or_b64 s[4:5], s[4:5], s[8:9]
	s_or_b64 exec, exec, s[6:7]
	s_and_saveexec_b64 s[6:7], s[4:5]
	s_cbranch_execnz .LBB18_975
	s_branch .LBB18_976
.LBB18_3025:
	s_movk_i32 s4, 0x80
	v_cmp_eq_u16_e32 vcc, s4, v3
	s_mov_b64 s[4:5], -1
                                        ; implicit-def: $sgpr10
	s_and_saveexec_b64 s[8:9], vcc
; %bb.3026:
	s_mov_b32 s10, 0x7f800001
	s_xor_b64 s[4:5], exec, -1
; %bb.3027:
	s_or_b64 exec, exec, s[8:9]
	s_and_b64 s[4:5], s[4:5], exec
                                        ; implicit-def: $vgpr3
	s_or_saveexec_b64 s[6:7], s[6:7]
	v_mov_b32_e32 v2, s10
	s_xor_b64 exec, exec, s[6:7]
	s_cbranch_execz .LBB18_978
.LBB18_3028:
	v_cmp_ne_u16_e32 vcc, 0, v3
	s_andn2_b64 s[4:5], s[4:5], exec
	s_and_b64 s[8:9], vcc, exec
	v_mov_b32_e32 v2, 0
	s_or_b64 s[4:5], s[4:5], s[8:9]
	s_or_b64 exec, exec, s[6:7]
	s_and_saveexec_b64 s[6:7], s[4:5]
	s_cbranch_execnz .LBB18_979
	s_branch .LBB18_980
.LBB18_3029:
	s_movk_i32 s4, 0x80
	v_cmp_eq_u16_e32 vcc, s4, v3
	s_mov_b64 s[4:5], -1
                                        ; implicit-def: $sgpr10
	s_and_saveexec_b64 s[8:9], vcc
; %bb.3030:
	s_mov_b32 s10, 0x7f800001
	s_xor_b64 s[4:5], exec, -1
; %bb.3031:
	s_or_b64 exec, exec, s[8:9]
	s_and_b64 s[4:5], s[4:5], exec
                                        ; implicit-def: $vgpr3
	s_or_saveexec_b64 s[6:7], s[6:7]
	v_mov_b32_e32 v6, s10
	s_xor_b64 exec, exec, s[6:7]
	s_cbranch_execz .LBB18_982
.LBB18_3032:
	v_cmp_ne_u16_e32 vcc, 0, v3
	s_andn2_b64 s[4:5], s[4:5], exec
	s_and_b64 s[8:9], vcc, exec
	v_mov_b32_e32 v6, 0
	s_or_b64 s[4:5], s[4:5], s[8:9]
	s_or_b64 exec, exec, s[6:7]
	s_and_saveexec_b64 s[6:7], s[4:5]
	s_cbranch_execnz .LBB18_983
	s_branch .LBB18_984
.LBB18_3033:
	s_movk_i32 s4, 0x80
	v_cmp_eq_u16_sdwa s[12:13], v8, s4 src0_sel:BYTE_3 src1_sel:DWORD
	s_mov_b64 s[4:5], -1
                                        ; implicit-def: $sgpr10
	s_and_saveexec_b64 s[8:9], s[12:13]
; %bb.3034:
	s_mov_b32 s10, 0x7f800001
	s_xor_b64 s[4:5], exec, -1
; %bb.3035:
	s_or_b64 exec, exec, s[8:9]
	s_and_b64 s[4:5], s[4:5], exec
	s_or_saveexec_b64 s[6:7], s[6:7]
	v_mov_b32_e32 v2, s10
	s_xor_b64 exec, exec, s[6:7]
	s_cbranch_execz .LBB18_986
.LBB18_3036:
	v_mov_b32_e32 v2, 0
	v_cmp_ne_u16_sdwa s[8:9], v8, v2 src0_sel:BYTE_3 src1_sel:DWORD
	s_andn2_b64 s[4:5], s[4:5], exec
	s_and_b64 s[8:9], s[8:9], exec
	s_or_b64 s[4:5], s[4:5], s[8:9]
	s_or_b64 exec, exec, s[6:7]
	s_and_saveexec_b64 s[6:7], s[4:5]
	s_cbranch_execnz .LBB18_987
	s_branch .LBB18_988
.LBB18_3037:
	s_movk_i32 s4, 0x80
	v_cmp_eq_u16_sdwa s[12:13], v4, s4 src0_sel:BYTE_3 src1_sel:DWORD
	s_mov_b64 s[4:5], -1
                                        ; implicit-def: $sgpr10
	s_and_saveexec_b64 s[8:9], s[12:13]
; %bb.3038:
	s_mov_b32 s10, 0x7f800001
	s_xor_b64 s[4:5], exec, -1
; %bb.3039:
	s_or_b64 exec, exec, s[8:9]
	s_and_b64 s[4:5], s[4:5], exec
	s_or_saveexec_b64 s[6:7], s[6:7]
	v_mov_b32_e32 v3, s10
	s_xor_b64 exec, exec, s[6:7]
	s_cbranch_execz .LBB18_990
.LBB18_3040:
	v_mov_b32_e32 v3, 0
	v_cmp_ne_u16_sdwa s[8:9], v4, v3 src0_sel:BYTE_3 src1_sel:DWORD
	s_andn2_b64 s[4:5], s[4:5], exec
	s_and_b64 s[8:9], s[8:9], exec
	s_or_b64 s[4:5], s[4:5], s[8:9]
	s_or_b64 exec, exec, s[6:7]
	s_and_saveexec_b64 s[6:7], s[4:5]
	s_cbranch_execnz .LBB18_991
	s_branch .LBB18_992
.LBB18_3041:
	s_movk_i32 s4, 0x80
	v_cmp_eq_u16_sdwa s[12:13], v9, s4 src0_sel:BYTE_0 src1_sel:DWORD
	s_mov_b64 s[4:5], -1
                                        ; implicit-def: $sgpr10
	s_and_saveexec_b64 s[8:9], s[12:13]
; %bb.3042:
	s_mov_b32 s10, 0x7f800001
	s_xor_b64 s[4:5], exec, -1
; %bb.3043:
	s_or_b64 exec, exec, s[8:9]
	s_and_b64 s[4:5], s[4:5], exec
	s_or_saveexec_b64 s[6:7], s[6:7]
	v_mov_b32_e32 v2, s10
	s_xor_b64 exec, exec, s[6:7]
	s_cbranch_execz .LBB18_994
.LBB18_3044:
	v_mov_b32_e32 v2, 0
	v_cmp_ne_u16_sdwa s[8:9], v9, v2 src0_sel:BYTE_0 src1_sel:DWORD
	s_andn2_b64 s[4:5], s[4:5], exec
	s_and_b64 s[8:9], s[8:9], exec
	s_or_b64 s[4:5], s[4:5], s[8:9]
	s_or_b64 exec, exec, s[6:7]
	s_and_saveexec_b64 s[6:7], s[4:5]
	s_cbranch_execnz .LBB18_995
	s_branch .LBB18_996
.LBB18_3045:
	s_movk_i32 s4, 0x80
	v_cmp_eq_u16_sdwa s[12:13], v5, s4 src0_sel:BYTE_0 src1_sel:DWORD
	s_mov_b64 s[4:5], -1
                                        ; implicit-def: $sgpr10
	s_and_saveexec_b64 s[8:9], s[12:13]
; %bb.3046:
	s_mov_b32 s10, 0x7f800001
	s_xor_b64 s[4:5], exec, -1
; %bb.3047:
	s_or_b64 exec, exec, s[8:9]
	s_and_b64 s[4:5], s[4:5], exec
	s_or_saveexec_b64 s[6:7], s[6:7]
	v_mov_b32_e32 v3, s10
	s_xor_b64 exec, exec, s[6:7]
	s_cbranch_execz .LBB18_998
.LBB18_3048:
	v_mov_b32_e32 v3, 0
	v_cmp_ne_u16_sdwa s[8:9], v5, v3 src0_sel:BYTE_0 src1_sel:DWORD
	s_andn2_b64 s[4:5], s[4:5], exec
	s_and_b64 s[8:9], s[8:9], exec
	s_or_b64 s[4:5], s[4:5], s[8:9]
	s_or_b64 exec, exec, s[6:7]
	s_and_saveexec_b64 s[6:7], s[4:5]
	s_cbranch_execnz .LBB18_999
	s_branch .LBB18_1000
.LBB18_3049:
	s_movk_i32 s4, 0x80
	v_cmp_eq_u16_sdwa s[12:13], v3, s4 src0_sel:BYTE_0 src1_sel:DWORD
	s_mov_b64 s[4:5], -1
                                        ; implicit-def: $sgpr10
	s_and_saveexec_b64 s[8:9], s[12:13]
; %bb.3050:
	s_mov_b32 s10, 0x7f800001
	s_xor_b64 s[4:5], exec, -1
; %bb.3051:
	s_or_b64 exec, exec, s[8:9]
	s_and_b64 s[4:5], s[4:5], exec
	s_or_saveexec_b64 s[6:7], s[6:7]
	v_mov_b32_e32 v2, s10
	s_xor_b64 exec, exec, s[6:7]
	s_cbranch_execz .LBB18_1002
.LBB18_3052:
	v_mov_b32_e32 v2, 0
	v_cmp_ne_u16_sdwa s[8:9], v3, v2 src0_sel:BYTE_0 src1_sel:DWORD
	s_andn2_b64 s[4:5], s[4:5], exec
	s_and_b64 s[8:9], s[8:9], exec
	s_or_b64 s[4:5], s[4:5], s[8:9]
	s_or_b64 exec, exec, s[6:7]
	s_and_saveexec_b64 s[6:7], s[4:5]
	s_cbranch_execnz .LBB18_1003
	s_branch .LBB18_1004
.LBB18_3053:
	s_movk_i32 s4, 0x80
	v_cmp_eq_u16_sdwa s[12:13], v3, s4 src0_sel:BYTE_0 src1_sel:DWORD
	s_mov_b64 s[4:5], -1
                                        ; implicit-def: $sgpr10
	s_and_saveexec_b64 s[8:9], s[12:13]
; %bb.3054:
	s_mov_b32 s10, 0x7f800001
	s_xor_b64 s[4:5], exec, -1
; %bb.3055:
	s_or_b64 exec, exec, s[8:9]
	s_and_b64 s[4:5], s[4:5], exec
	s_or_saveexec_b64 s[6:7], s[6:7]
	v_mov_b32_e32 v4, s10
	s_xor_b64 exec, exec, s[6:7]
	s_cbranch_execz .LBB18_1006
.LBB18_3056:
	v_mov_b32_e32 v4, 0
	v_cmp_ne_u16_sdwa s[8:9], v3, v4 src0_sel:BYTE_0 src1_sel:DWORD
	s_andn2_b64 s[4:5], s[4:5], exec
	s_and_b64 s[8:9], s[8:9], exec
	s_or_b64 s[4:5], s[4:5], s[8:9]
	s_or_b64 exec, exec, s[6:7]
	s_and_saveexec_b64 s[6:7], s[4:5]
	s_cbranch_execnz .LBB18_1007
	s_branch .LBB18_1008
.LBB18_3057:
	s_movk_i32 s4, 0x80
	v_cmp_eq_u16_e32 vcc, s4, v3
	s_mov_b64 s[4:5], -1
                                        ; implicit-def: $sgpr10
	s_and_saveexec_b64 s[8:9], vcc
; %bb.3058:
	s_mov_b32 s10, 0x7f800001
	s_xor_b64 s[4:5], exec, -1
; %bb.3059:
	s_or_b64 exec, exec, s[8:9]
	s_and_b64 s[4:5], s[4:5], exec
                                        ; implicit-def: $vgpr3
	s_or_saveexec_b64 s[6:7], s[6:7]
	v_mov_b32_e32 v2, s10
	s_xor_b64 exec, exec, s[6:7]
	s_cbranch_execz .LBB18_1010
.LBB18_3060:
	v_cmp_ne_u16_e32 vcc, 0, v3
	s_andn2_b64 s[4:5], s[4:5], exec
	s_and_b64 s[8:9], vcc, exec
	v_mov_b32_e32 v2, 0
	s_or_b64 s[4:5], s[4:5], s[8:9]
	s_or_b64 exec, exec, s[6:7]
	s_and_saveexec_b64 s[6:7], s[4:5]
	s_cbranch_execnz .LBB18_1011
	s_branch .LBB18_1012
.LBB18_3061:
	s_movk_i32 s4, 0x80
	v_cmp_eq_u16_e32 vcc, s4, v3
	s_mov_b64 s[4:5], -1
                                        ; implicit-def: $sgpr10
	s_and_saveexec_b64 s[8:9], vcc
; %bb.3062:
	s_mov_b32 s10, 0x7f800001
	s_xor_b64 s[4:5], exec, -1
; %bb.3063:
	s_or_b64 exec, exec, s[8:9]
	s_and_b64 s[4:5], s[4:5], exec
                                        ; implicit-def: $vgpr3
	s_or_saveexec_b64 s[6:7], s[6:7]
	v_mov_b32_e32 v4, s10
	s_xor_b64 exec, exec, s[6:7]
	s_cbranch_execz .LBB18_1014
.LBB18_3064:
	v_cmp_ne_u16_e32 vcc, 0, v3
	s_andn2_b64 s[4:5], s[4:5], exec
	s_and_b64 s[8:9], vcc, exec
	v_mov_b32_e32 v4, 0
	s_or_b64 s[4:5], s[4:5], s[8:9]
	s_or_b64 exec, exec, s[6:7]
	s_and_saveexec_b64 s[6:7], s[4:5]
	s_cbranch_execnz .LBB18_1015
	s_branch .LBB18_1016
.LBB18_3065:
	s_movk_i32 s4, 0x80
	v_cmp_eq_u16_sdwa s[12:13], v9, s4 src0_sel:BYTE_3 src1_sel:DWORD
	s_mov_b64 s[4:5], -1
                                        ; implicit-def: $sgpr10
	s_and_saveexec_b64 s[8:9], s[12:13]
; %bb.3066:
	s_mov_b32 s10, 0x7f800001
	s_xor_b64 s[4:5], exec, -1
; %bb.3067:
	s_or_b64 exec, exec, s[8:9]
	s_and_b64 s[4:5], s[4:5], exec
	s_or_saveexec_b64 s[6:7], s[6:7]
	v_mov_b32_e32 v2, s10
	s_xor_b64 exec, exec, s[6:7]
	s_cbranch_execz .LBB18_1018
.LBB18_3068:
	v_mov_b32_e32 v2, 0
	v_cmp_ne_u16_sdwa s[8:9], v9, v2 src0_sel:BYTE_3 src1_sel:DWORD
	s_andn2_b64 s[4:5], s[4:5], exec
	s_and_b64 s[8:9], s[8:9], exec
	s_or_b64 s[4:5], s[4:5], s[8:9]
	s_or_b64 exec, exec, s[6:7]
	s_and_saveexec_b64 s[6:7], s[4:5]
	s_cbranch_execnz .LBB18_1019
	s_branch .LBB18_1020
.LBB18_3069:
	s_movk_i32 s4, 0x80
	v_cmp_eq_u16_sdwa s[12:13], v5, s4 src0_sel:BYTE_3 src1_sel:DWORD
	s_mov_b64 s[4:5], -1
                                        ; implicit-def: $sgpr10
	s_and_saveexec_b64 s[8:9], s[12:13]
; %bb.3070:
	s_mov_b32 s10, 0x7f800001
	s_xor_b64 s[4:5], exec, -1
; %bb.3071:
	s_or_b64 exec, exec, s[8:9]
	s_and_b64 s[4:5], s[4:5], exec
	s_or_saveexec_b64 s[6:7], s[6:7]
	v_mov_b32_e32 v3, s10
	s_xor_b64 exec, exec, s[6:7]
	s_cbranch_execz .LBB18_1022
.LBB18_3072:
	v_mov_b32_e32 v3, 0
	v_cmp_ne_u16_sdwa s[8:9], v5, v3 src0_sel:BYTE_3 src1_sel:DWORD
	s_andn2_b64 s[4:5], s[4:5], exec
	s_and_b64 s[8:9], s[8:9], exec
	s_or_b64 s[4:5], s[4:5], s[8:9]
	s_or_b64 exec, exec, s[6:7]
	s_and_saveexec_b64 s[6:7], s[4:5]
	s_cbranch_execnz .LBB18_1023
	s_branch .LBB18_1024
.LBB18_3073:
	s_movk_i32 s4, 0x80
	v_cmp_eq_u16_sdwa s[12:13], v14, s4 src0_sel:BYTE_0 src1_sel:DWORD
	s_mov_b64 s[4:5], -1
                                        ; implicit-def: $sgpr10
	s_and_saveexec_b64 s[8:9], s[12:13]
; %bb.3074:
	s_mov_b32 s10, 0x7f800001
	s_xor_b64 s[4:5], exec, -1
; %bb.3075:
	s_or_b64 exec, exec, s[8:9]
	s_and_b64 s[4:5], s[4:5], exec
	s_or_saveexec_b64 s[6:7], s[6:7]
	v_mov_b32_e32 v20, s10
	s_xor_b64 exec, exec, s[6:7]
	s_cbranch_execz .LBB18_1026
.LBB18_3076:
	v_mov_b32_e32 v20, 0
	v_cmp_ne_u16_sdwa s[8:9], v14, v20 src0_sel:BYTE_0 src1_sel:DWORD
	s_andn2_b64 s[4:5], s[4:5], exec
	s_and_b64 s[8:9], s[8:9], exec
	s_or_b64 s[4:5], s[4:5], s[8:9]
	s_or_b64 exec, exec, s[6:7]
	s_and_saveexec_b64 s[6:7], s[4:5]
	s_cbranch_execnz .LBB18_1027
	s_branch .LBB18_1028
.LBB18_3077:
	s_movk_i32 s4, 0x80
	v_cmp_eq_u16_sdwa s[12:13], v10, s4 src0_sel:BYTE_0 src1_sel:DWORD
	s_mov_b64 s[4:5], -1
                                        ; implicit-def: $sgpr10
	s_and_saveexec_b64 s[8:9], s[12:13]
; %bb.3078:
	s_mov_b32 s10, 0x7f800001
	s_xor_b64 s[4:5], exec, -1
; %bb.3079:
	s_or_b64 exec, exec, s[8:9]
	s_and_b64 s[4:5], s[4:5], exec
	s_or_saveexec_b64 s[6:7], s[6:7]
	v_mov_b32_e32 v21, s10
	s_xor_b64 exec, exec, s[6:7]
	s_cbranch_execz .LBB18_1030
.LBB18_3080:
	v_mov_b32_e32 v21, 0
	v_cmp_ne_u16_sdwa s[8:9], v10, v21 src0_sel:BYTE_0 src1_sel:DWORD
	s_andn2_b64 s[4:5], s[4:5], exec
	s_and_b64 s[8:9], s[8:9], exec
	s_or_b64 s[4:5], s[4:5], s[8:9]
	s_or_b64 exec, exec, s[6:7]
	s_and_saveexec_b64 s[6:7], s[4:5]
	s_cbranch_execnz .LBB18_1031
	s_branch .LBB18_1032
.LBB18_3081:
	s_movk_i32 s4, 0x80
	v_cmp_eq_u16_sdwa s[12:13], v21, s4 src0_sel:BYTE_0 src1_sel:DWORD
	s_mov_b64 s[4:5], -1
                                        ; implicit-def: $sgpr10
	s_and_saveexec_b64 s[8:9], s[12:13]
; %bb.3082:
	s_mov_b32 s10, 0x7f800001
	s_xor_b64 s[4:5], exec, -1
; %bb.3083:
	s_or_b64 exec, exec, s[8:9]
	s_and_b64 s[4:5], s[4:5], exec
	s_or_saveexec_b64 s[6:7], s[6:7]
	v_mov_b32_e32 v20, s10
	s_xor_b64 exec, exec, s[6:7]
	s_cbranch_execz .LBB18_1034
.LBB18_3084:
	v_mov_b32_e32 v20, 0
	v_cmp_ne_u16_sdwa s[8:9], v21, v20 src0_sel:BYTE_0 src1_sel:DWORD
	s_andn2_b64 s[4:5], s[4:5], exec
	s_and_b64 s[8:9], s[8:9], exec
	s_or_b64 s[4:5], s[4:5], s[8:9]
	s_or_b64 exec, exec, s[6:7]
	s_and_saveexec_b64 s[6:7], s[4:5]
	s_cbranch_execnz .LBB18_1035
	s_branch .LBB18_1036
.LBB18_3085:
	s_movk_i32 s4, 0x80
	v_cmp_eq_u16_sdwa s[12:13], v21, s4 src0_sel:BYTE_0 src1_sel:DWORD
	s_mov_b64 s[4:5], -1
                                        ; implicit-def: $sgpr10
	s_and_saveexec_b64 s[8:9], s[12:13]
; %bb.3086:
	s_mov_b32 s10, 0x7f800001
	s_xor_b64 s[4:5], exec, -1
; %bb.3087:
	s_or_b64 exec, exec, s[8:9]
	s_and_b64 s[4:5], s[4:5], exec
	s_or_saveexec_b64 s[6:7], s[6:7]
	v_mov_b32_e32 v22, s10
	s_xor_b64 exec, exec, s[6:7]
	s_cbranch_execz .LBB18_1038
.LBB18_3088:
	v_mov_b32_e32 v22, 0
	v_cmp_ne_u16_sdwa s[8:9], v21, v22 src0_sel:BYTE_0 src1_sel:DWORD
	s_andn2_b64 s[4:5], s[4:5], exec
	s_and_b64 s[8:9], s[8:9], exec
	s_or_b64 s[4:5], s[4:5], s[8:9]
	s_or_b64 exec, exec, s[6:7]
	s_and_saveexec_b64 s[6:7], s[4:5]
	s_cbranch_execnz .LBB18_1039
	s_branch .LBB18_1040
.LBB18_3089:
	s_movk_i32 s4, 0x80
	v_cmp_eq_u16_e32 vcc, s4, v21
	s_mov_b64 s[4:5], -1
                                        ; implicit-def: $sgpr10
	s_and_saveexec_b64 s[8:9], vcc
; %bb.3090:
	s_mov_b32 s10, 0x7f800001
	s_xor_b64 s[4:5], exec, -1
; %bb.3091:
	s_or_b64 exec, exec, s[8:9]
	s_and_b64 s[4:5], s[4:5], exec
                                        ; implicit-def: $vgpr21
	s_or_saveexec_b64 s[6:7], s[6:7]
	v_mov_b32_e32 v20, s10
	s_xor_b64 exec, exec, s[6:7]
	s_cbranch_execz .LBB18_1042
.LBB18_3092:
	v_cmp_ne_u16_e32 vcc, 0, v21
	s_andn2_b64 s[4:5], s[4:5], exec
	s_and_b64 s[8:9], vcc, exec
	v_mov_b32_e32 v20, 0
	s_or_b64 s[4:5], s[4:5], s[8:9]
	s_or_b64 exec, exec, s[6:7]
	s_and_saveexec_b64 s[6:7], s[4:5]
	s_cbranch_execnz .LBB18_1043
	s_branch .LBB18_1044
.LBB18_3093:
	s_movk_i32 s4, 0x80
	v_cmp_eq_u16_e32 vcc, s4, v21
	s_mov_b64 s[4:5], -1
                                        ; implicit-def: $sgpr10
	s_and_saveexec_b64 s[8:9], vcc
; %bb.3094:
	s_mov_b32 s10, 0x7f800001
	s_xor_b64 s[4:5], exec, -1
; %bb.3095:
	s_or_b64 exec, exec, s[8:9]
	s_and_b64 s[4:5], s[4:5], exec
                                        ; implicit-def: $vgpr21
	s_or_saveexec_b64 s[6:7], s[6:7]
	v_mov_b32_e32 v22, s10
	s_xor_b64 exec, exec, s[6:7]
	s_cbranch_execz .LBB18_1046
.LBB18_3096:
	v_cmp_ne_u16_e32 vcc, 0, v21
	s_andn2_b64 s[4:5], s[4:5], exec
	s_and_b64 s[8:9], vcc, exec
	v_mov_b32_e32 v22, 0
	s_or_b64 s[4:5], s[4:5], s[8:9]
	s_or_b64 exec, exec, s[6:7]
	s_and_saveexec_b64 s[6:7], s[4:5]
	s_cbranch_execnz .LBB18_1047
	s_branch .LBB18_1048
.LBB18_3097:
	s_movk_i32 s4, 0x80
	v_cmp_eq_u16_sdwa s[12:13], v14, s4 src0_sel:BYTE_3 src1_sel:DWORD
	s_mov_b64 s[4:5], -1
                                        ; implicit-def: $sgpr10
	s_and_saveexec_b64 s[8:9], s[12:13]
; %bb.3098:
	s_mov_b32 s10, 0x7f800001
	s_xor_b64 s[4:5], exec, -1
; %bb.3099:
	s_or_b64 exec, exec, s[8:9]
	s_and_b64 s[4:5], s[4:5], exec
	s_or_saveexec_b64 s[6:7], s[6:7]
	v_mov_b32_e32 v20, s10
	s_xor_b64 exec, exec, s[6:7]
	s_cbranch_execz .LBB18_1050
.LBB18_3100:
	v_mov_b32_e32 v20, 0
	v_cmp_ne_u16_sdwa s[8:9], v14, v20 src0_sel:BYTE_3 src1_sel:DWORD
	s_andn2_b64 s[4:5], s[4:5], exec
	s_and_b64 s[8:9], s[8:9], exec
	s_or_b64 s[4:5], s[4:5], s[8:9]
	s_or_b64 exec, exec, s[6:7]
	s_and_saveexec_b64 s[6:7], s[4:5]
	s_cbranch_execnz .LBB18_1051
	s_branch .LBB18_1052
.LBB18_3101:
	s_movk_i32 s4, 0x80
	v_cmp_eq_u16_sdwa s[12:13], v10, s4 src0_sel:BYTE_3 src1_sel:DWORD
	s_mov_b64 s[4:5], -1
                                        ; implicit-def: $sgpr10
	s_and_saveexec_b64 s[8:9], s[12:13]
; %bb.3102:
	s_mov_b32 s10, 0x7f800001
	s_xor_b64 s[4:5], exec, -1
; %bb.3103:
	s_or_b64 exec, exec, s[8:9]
	s_and_b64 s[4:5], s[4:5], exec
	s_or_saveexec_b64 s[6:7], s[6:7]
	v_mov_b32_e32 v14, s10
	s_xor_b64 exec, exec, s[6:7]
	s_cbranch_execz .LBB18_1054
.LBB18_3104:
	v_mov_b32_e32 v14, 0
	v_cmp_ne_u16_sdwa s[8:9], v10, v14 src0_sel:BYTE_3 src1_sel:DWORD
	s_andn2_b64 s[4:5], s[4:5], exec
	s_and_b64 s[8:9], s[8:9], exec
	s_or_b64 s[4:5], s[4:5], s[8:9]
	s_or_b64 exec, exec, s[6:7]
	s_and_saveexec_b64 s[6:7], s[4:5]
	s_cbranch_execnz .LBB18_1055
	s_branch .LBB18_1056
.LBB18_3105:
	s_movk_i32 s4, 0x80
	v_cmp_eq_u16_sdwa s[12:13], v15, s4 src0_sel:BYTE_0 src1_sel:DWORD
	s_mov_b64 s[4:5], -1
                                        ; implicit-def: $sgpr10
	s_and_saveexec_b64 s[8:9], s[12:13]
; %bb.3106:
	s_mov_b32 s10, 0x7f800001
	s_xor_b64 s[4:5], exec, -1
; %bb.3107:
	s_or_b64 exec, exec, s[8:9]
	s_and_b64 s[4:5], s[4:5], exec
	s_or_saveexec_b64 s[6:7], s[6:7]
	v_mov_b32_e32 v10, s10
	s_xor_b64 exec, exec, s[6:7]
	s_cbranch_execz .LBB18_1058
.LBB18_3108:
	v_mov_b32_e32 v10, 0
	v_cmp_ne_u16_sdwa s[8:9], v15, v10 src0_sel:BYTE_0 src1_sel:DWORD
	s_andn2_b64 s[4:5], s[4:5], exec
	s_and_b64 s[8:9], s[8:9], exec
	s_or_b64 s[4:5], s[4:5], s[8:9]
	s_or_b64 exec, exec, s[6:7]
	s_and_saveexec_b64 s[6:7], s[4:5]
	s_cbranch_execnz .LBB18_1059
	s_branch .LBB18_1060
.LBB18_3109:
	s_movk_i32 s4, 0x80
	v_cmp_eq_u16_sdwa s[12:13], v11, s4 src0_sel:BYTE_0 src1_sel:DWORD
	s_mov_b64 s[4:5], -1
                                        ; implicit-def: $sgpr10
	s_and_saveexec_b64 s[8:9], s[12:13]
; %bb.3110:
	s_mov_b32 s10, 0x7f800001
	s_xor_b64 s[4:5], exec, -1
; %bb.3111:
	s_or_b64 exec, exec, s[8:9]
	s_and_b64 s[4:5], s[4:5], exec
	s_or_saveexec_b64 s[6:7], s[6:7]
	v_mov_b32_e32 v14, s10
	s_xor_b64 exec, exec, s[6:7]
	s_cbranch_execz .LBB18_1062
.LBB18_3112:
	v_mov_b32_e32 v14, 0
	v_cmp_ne_u16_sdwa s[8:9], v11, v14 src0_sel:BYTE_0 src1_sel:DWORD
	s_andn2_b64 s[4:5], s[4:5], exec
	s_and_b64 s[8:9], s[8:9], exec
	s_or_b64 s[4:5], s[4:5], s[8:9]
	s_or_b64 exec, exec, s[6:7]
	s_and_saveexec_b64 s[6:7], s[4:5]
	s_cbranch_execnz .LBB18_1063
	s_branch .LBB18_1064
.LBB18_3113:
	s_movk_i32 s4, 0x80
	v_cmp_eq_u16_sdwa s[12:13], v14, s4 src0_sel:BYTE_0 src1_sel:DWORD
	s_mov_b64 s[4:5], -1
                                        ; implicit-def: $sgpr10
	s_and_saveexec_b64 s[8:9], s[12:13]
; %bb.3114:
	s_mov_b32 s10, 0x7f800001
	s_xor_b64 s[4:5], exec, -1
; %bb.3115:
	s_or_b64 exec, exec, s[8:9]
	s_and_b64 s[4:5], s[4:5], exec
	s_or_saveexec_b64 s[6:7], s[6:7]
	v_mov_b32_e32 v10, s10
	s_xor_b64 exec, exec, s[6:7]
	s_cbranch_execz .LBB18_1066
.LBB18_3116:
	v_mov_b32_e32 v10, 0
	v_cmp_ne_u16_sdwa s[8:9], v14, v10 src0_sel:BYTE_0 src1_sel:DWORD
	s_andn2_b64 s[4:5], s[4:5], exec
	s_and_b64 s[8:9], s[8:9], exec
	s_or_b64 s[4:5], s[4:5], s[8:9]
	s_or_b64 exec, exec, s[6:7]
	s_and_saveexec_b64 s[6:7], s[4:5]
	s_cbranch_execnz .LBB18_1067
	s_branch .LBB18_1068
.LBB18_3117:
	s_movk_i32 s4, 0x80
	v_cmp_eq_u16_sdwa s[12:13], v14, s4 src0_sel:BYTE_0 src1_sel:DWORD
	s_mov_b64 s[4:5], -1
                                        ; implicit-def: $sgpr10
	s_and_saveexec_b64 s[8:9], s[12:13]
; %bb.3118:
	s_mov_b32 s10, 0x7f800001
	s_xor_b64 s[4:5], exec, -1
; %bb.3119:
	s_or_b64 exec, exec, s[8:9]
	s_and_b64 s[4:5], s[4:5], exec
	s_or_saveexec_b64 s[6:7], s[6:7]
	v_mov_b32_e32 v20, s10
	s_xor_b64 exec, exec, s[6:7]
	s_cbranch_execz .LBB18_1070
.LBB18_3120:
	v_mov_b32_e32 v20, 0
	v_cmp_ne_u16_sdwa s[8:9], v14, v20 src0_sel:BYTE_0 src1_sel:DWORD
	s_andn2_b64 s[4:5], s[4:5], exec
	s_and_b64 s[8:9], s[8:9], exec
	s_or_b64 s[4:5], s[4:5], s[8:9]
	s_or_b64 exec, exec, s[6:7]
	s_and_saveexec_b64 s[6:7], s[4:5]
	s_cbranch_execnz .LBB18_1071
	s_branch .LBB18_1072
.LBB18_3121:
	s_movk_i32 s4, 0x80
	v_cmp_eq_u16_e32 vcc, s4, v14
	s_mov_b64 s[4:5], -1
                                        ; implicit-def: $sgpr10
	s_and_saveexec_b64 s[8:9], vcc
; %bb.3122:
	s_mov_b32 s10, 0x7f800001
	s_xor_b64 s[4:5], exec, -1
; %bb.3123:
	s_or_b64 exec, exec, s[8:9]
	s_and_b64 s[4:5], s[4:5], exec
                                        ; implicit-def: $vgpr14
	s_or_saveexec_b64 s[6:7], s[6:7]
	v_mov_b32_e32 v10, s10
	s_xor_b64 exec, exec, s[6:7]
	s_cbranch_execz .LBB18_1074
.LBB18_3124:
	v_cmp_ne_u16_e32 vcc, 0, v14
	s_andn2_b64 s[4:5], s[4:5], exec
	s_and_b64 s[8:9], vcc, exec
	v_mov_b32_e32 v10, 0
	s_or_b64 s[4:5], s[4:5], s[8:9]
	s_or_b64 exec, exec, s[6:7]
	s_and_saveexec_b64 s[6:7], s[4:5]
	s_cbranch_execnz .LBB18_1075
	s_branch .LBB18_1076
.LBB18_3125:
	s_movk_i32 s4, 0x80
	v_cmp_eq_u16_e32 vcc, s4, v14
	s_mov_b64 s[4:5], -1
                                        ; implicit-def: $sgpr10
	s_and_saveexec_b64 s[8:9], vcc
; %bb.3126:
	s_mov_b32 s10, 0x7f800001
	s_xor_b64 s[4:5], exec, -1
; %bb.3127:
	s_or_b64 exec, exec, s[8:9]
	s_and_b64 s[4:5], s[4:5], exec
                                        ; implicit-def: $vgpr14
	s_or_saveexec_b64 s[6:7], s[6:7]
	v_mov_b32_e32 v20, s10
	s_xor_b64 exec, exec, s[6:7]
	s_cbranch_execz .LBB18_1078
.LBB18_3128:
	v_cmp_ne_u16_e32 vcc, 0, v14
	s_andn2_b64 s[4:5], s[4:5], exec
	s_and_b64 s[8:9], vcc, exec
	v_mov_b32_e32 v20, 0
	s_or_b64 s[4:5], s[4:5], s[8:9]
	s_or_b64 exec, exec, s[6:7]
	s_and_saveexec_b64 s[6:7], s[4:5]
	s_cbranch_execnz .LBB18_1079
	s_branch .LBB18_1080
.LBB18_3129:
	s_movk_i32 s4, 0x80
	v_cmp_eq_u16_sdwa s[12:13], v15, s4 src0_sel:BYTE_3 src1_sel:DWORD
	s_mov_b64 s[4:5], -1
                                        ; implicit-def: $sgpr10
	s_and_saveexec_b64 s[8:9], s[12:13]
; %bb.3130:
	s_mov_b32 s10, 0x7f800001
	s_xor_b64 s[4:5], exec, -1
; %bb.3131:
	s_or_b64 exec, exec, s[8:9]
	s_and_b64 s[4:5], s[4:5], exec
	s_or_saveexec_b64 s[6:7], s[6:7]
	v_mov_b32_e32 v10, s10
	s_xor_b64 exec, exec, s[6:7]
	s_cbranch_execz .LBB18_1082
.LBB18_3132:
	v_mov_b32_e32 v10, 0
	v_cmp_ne_u16_sdwa s[8:9], v15, v10 src0_sel:BYTE_3 src1_sel:DWORD
	s_andn2_b64 s[4:5], s[4:5], exec
	s_and_b64 s[8:9], s[8:9], exec
	s_or_b64 s[4:5], s[4:5], s[8:9]
	s_or_b64 exec, exec, s[6:7]
	s_and_saveexec_b64 s[6:7], s[4:5]
	s_cbranch_execnz .LBB18_1083
	s_branch .LBB18_1084
.LBB18_3133:
	s_movk_i32 s4, 0x80
	v_cmp_eq_u16_sdwa s[12:13], v11, s4 src0_sel:BYTE_3 src1_sel:DWORD
	s_mov_b64 s[4:5], -1
                                        ; implicit-def: $sgpr10
	s_and_saveexec_b64 s[8:9], s[12:13]
; %bb.3134:
	s_mov_b32 s10, 0x7f800001
	s_xor_b64 s[4:5], exec, -1
; %bb.3135:
	s_or_b64 exec, exec, s[8:9]
	s_and_b64 s[4:5], s[4:5], exec
	s_or_saveexec_b64 s[6:7], s[6:7]
	v_mov_b32_e32 v14, s10
	s_xor_b64 exec, exec, s[6:7]
	s_cbranch_execz .LBB18_1086
.LBB18_3136:
	v_mov_b32_e32 v14, 0
	v_cmp_ne_u16_sdwa s[8:9], v11, v14 src0_sel:BYTE_3 src1_sel:DWORD
	s_andn2_b64 s[4:5], s[4:5], exec
	s_and_b64 s[8:9], s[8:9], exec
	s_or_b64 s[4:5], s[4:5], s[8:9]
	s_or_b64 exec, exec, s[6:7]
	s_and_saveexec_b64 s[6:7], s[4:5]
	s_cbranch_execnz .LBB18_1087
	s_branch .LBB18_1088
.LBB18_3137:
	s_movk_i32 s4, 0x80
	v_cmp_eq_u16_sdwa s[12:13], v16, s4 src0_sel:BYTE_0 src1_sel:DWORD
	s_mov_b64 s[4:5], -1
                                        ; implicit-def: $sgpr10
	s_and_saveexec_b64 s[8:9], s[12:13]
; %bb.3138:
	s_mov_b32 s10, 0x7f800001
	s_xor_b64 s[4:5], exec, -1
; %bb.3139:
	s_or_b64 exec, exec, s[8:9]
	s_and_b64 s[4:5], s[4:5], exec
	s_or_saveexec_b64 s[6:7], s[6:7]
	v_mov_b32_e32 v10, s10
	s_xor_b64 exec, exec, s[6:7]
	s_cbranch_execz .LBB18_1090
.LBB18_3140:
	v_mov_b32_e32 v10, 0
	v_cmp_ne_u16_sdwa s[8:9], v16, v10 src0_sel:BYTE_0 src1_sel:DWORD
	s_andn2_b64 s[4:5], s[4:5], exec
	s_and_b64 s[8:9], s[8:9], exec
	s_or_b64 s[4:5], s[4:5], s[8:9]
	s_or_b64 exec, exec, s[6:7]
	s_and_saveexec_b64 s[6:7], s[4:5]
	s_cbranch_execnz .LBB18_1091
	s_branch .LBB18_1092
.LBB18_3141:
	s_movk_i32 s4, 0x80
	v_cmp_eq_u16_sdwa s[12:13], v12, s4 src0_sel:BYTE_0 src1_sel:DWORD
	s_mov_b64 s[4:5], -1
                                        ; implicit-def: $sgpr10
	s_and_saveexec_b64 s[8:9], s[12:13]
; %bb.3142:
	s_mov_b32 s10, 0x7f800001
	s_xor_b64 s[4:5], exec, -1
; %bb.3143:
	s_or_b64 exec, exec, s[8:9]
	s_and_b64 s[4:5], s[4:5], exec
	s_or_saveexec_b64 s[6:7], s[6:7]
	v_mov_b32_e32 v11, s10
	s_xor_b64 exec, exec, s[6:7]
	s_cbranch_execz .LBB18_1094
.LBB18_3144:
	v_mov_b32_e32 v11, 0
	v_cmp_ne_u16_sdwa s[8:9], v12, v11 src0_sel:BYTE_0 src1_sel:DWORD
	s_andn2_b64 s[4:5], s[4:5], exec
	s_and_b64 s[8:9], s[8:9], exec
	s_or_b64 s[4:5], s[4:5], s[8:9]
	s_or_b64 exec, exec, s[6:7]
	s_and_saveexec_b64 s[6:7], s[4:5]
	s_cbranch_execnz .LBB18_1095
	s_branch .LBB18_1096
.LBB18_3145:
	s_movk_i32 s4, 0x80
	v_cmp_eq_u16_sdwa s[12:13], v11, s4 src0_sel:BYTE_0 src1_sel:DWORD
	s_mov_b64 s[4:5], -1
                                        ; implicit-def: $sgpr10
	s_and_saveexec_b64 s[8:9], s[12:13]
; %bb.3146:
	s_mov_b32 s10, 0x7f800001
	s_xor_b64 s[4:5], exec, -1
; %bb.3147:
	s_or_b64 exec, exec, s[8:9]
	s_and_b64 s[4:5], s[4:5], exec
	s_or_saveexec_b64 s[6:7], s[6:7]
	v_mov_b32_e32 v10, s10
	s_xor_b64 exec, exec, s[6:7]
	s_cbranch_execz .LBB18_1098
.LBB18_3148:
	v_mov_b32_e32 v10, 0
	v_cmp_ne_u16_sdwa s[8:9], v11, v10 src0_sel:BYTE_0 src1_sel:DWORD
	s_andn2_b64 s[4:5], s[4:5], exec
	s_and_b64 s[8:9], s[8:9], exec
	s_or_b64 s[4:5], s[4:5], s[8:9]
	s_or_b64 exec, exec, s[6:7]
	s_and_saveexec_b64 s[6:7], s[4:5]
	s_cbranch_execnz .LBB18_1099
	s_branch .LBB18_1100
.LBB18_3149:
	s_movk_i32 s4, 0x80
	v_cmp_eq_u16_sdwa s[12:13], v11, s4 src0_sel:BYTE_0 src1_sel:DWORD
	s_mov_b64 s[4:5], -1
                                        ; implicit-def: $sgpr10
	s_and_saveexec_b64 s[8:9], s[12:13]
; %bb.3150:
	s_mov_b32 s10, 0x7f800001
	s_xor_b64 s[4:5], exec, -1
; %bb.3151:
	s_or_b64 exec, exec, s[8:9]
	s_and_b64 s[4:5], s[4:5], exec
	s_or_saveexec_b64 s[6:7], s[6:7]
	v_mov_b32_e32 v14, s10
	s_xor_b64 exec, exec, s[6:7]
	s_cbranch_execz .LBB18_1102
.LBB18_3152:
	v_mov_b32_e32 v14, 0
	v_cmp_ne_u16_sdwa s[8:9], v11, v14 src0_sel:BYTE_0 src1_sel:DWORD
	s_andn2_b64 s[4:5], s[4:5], exec
	s_and_b64 s[8:9], s[8:9], exec
	s_or_b64 s[4:5], s[4:5], s[8:9]
	s_or_b64 exec, exec, s[6:7]
	s_and_saveexec_b64 s[6:7], s[4:5]
	s_cbranch_execnz .LBB18_1103
	s_branch .LBB18_1104
.LBB18_3153:
	s_movk_i32 s4, 0x80
	v_cmp_eq_u16_e32 vcc, s4, v11
	s_mov_b64 s[4:5], -1
                                        ; implicit-def: $sgpr10
	s_and_saveexec_b64 s[8:9], vcc
; %bb.3154:
	s_mov_b32 s10, 0x7f800001
	s_xor_b64 s[4:5], exec, -1
; %bb.3155:
	s_or_b64 exec, exec, s[8:9]
	s_and_b64 s[4:5], s[4:5], exec
                                        ; implicit-def: $vgpr11
	s_or_saveexec_b64 s[6:7], s[6:7]
	v_mov_b32_e32 v10, s10
	s_xor_b64 exec, exec, s[6:7]
	s_cbranch_execz .LBB18_1106
.LBB18_3156:
	v_cmp_ne_u16_e32 vcc, 0, v11
	s_andn2_b64 s[4:5], s[4:5], exec
	s_and_b64 s[8:9], vcc, exec
	v_mov_b32_e32 v10, 0
	s_or_b64 s[4:5], s[4:5], s[8:9]
	s_or_b64 exec, exec, s[6:7]
	s_and_saveexec_b64 s[6:7], s[4:5]
	s_cbranch_execnz .LBB18_1107
	s_branch .LBB18_1108
.LBB18_3157:
	s_movk_i32 s4, 0x80
	v_cmp_eq_u16_e32 vcc, s4, v11
	s_mov_b64 s[4:5], -1
                                        ; implicit-def: $sgpr10
	s_and_saveexec_b64 s[8:9], vcc
; %bb.3158:
	s_mov_b32 s10, 0x7f800001
	s_xor_b64 s[4:5], exec, -1
; %bb.3159:
	s_or_b64 exec, exec, s[8:9]
	s_and_b64 s[4:5], s[4:5], exec
                                        ; implicit-def: $vgpr11
	s_or_saveexec_b64 s[6:7], s[6:7]
	v_mov_b32_e32 v14, s10
	s_xor_b64 exec, exec, s[6:7]
	s_cbranch_execz .LBB18_1110
.LBB18_3160:
	v_cmp_ne_u16_e32 vcc, 0, v11
	s_andn2_b64 s[4:5], s[4:5], exec
	s_and_b64 s[8:9], vcc, exec
	v_mov_b32_e32 v14, 0
	s_or_b64 s[4:5], s[4:5], s[8:9]
	s_or_b64 exec, exec, s[6:7]
	s_and_saveexec_b64 s[6:7], s[4:5]
	s_cbranch_execnz .LBB18_1111
	s_branch .LBB18_1112
.LBB18_3161:
	s_movk_i32 s4, 0x80
	v_cmp_eq_u16_sdwa s[12:13], v16, s4 src0_sel:BYTE_3 src1_sel:DWORD
	s_mov_b64 s[4:5], -1
                                        ; implicit-def: $sgpr10
	s_and_saveexec_b64 s[8:9], s[12:13]
; %bb.3162:
	s_mov_b32 s10, 0x7f800001
	s_xor_b64 s[4:5], exec, -1
; %bb.3163:
	s_or_b64 exec, exec, s[8:9]
	s_and_b64 s[4:5], s[4:5], exec
	s_or_saveexec_b64 s[6:7], s[6:7]
	v_mov_b32_e32 v10, s10
	s_xor_b64 exec, exec, s[6:7]
	s_cbranch_execz .LBB18_1114
.LBB18_3164:
	v_mov_b32_e32 v10, 0
	v_cmp_ne_u16_sdwa s[8:9], v16, v10 src0_sel:BYTE_3 src1_sel:DWORD
	s_andn2_b64 s[4:5], s[4:5], exec
	s_and_b64 s[8:9], s[8:9], exec
	s_or_b64 s[4:5], s[4:5], s[8:9]
	s_or_b64 exec, exec, s[6:7]
	s_and_saveexec_b64 s[6:7], s[4:5]
	s_cbranch_execnz .LBB18_1115
	s_branch .LBB18_1116
.LBB18_3165:
	s_movk_i32 s4, 0x80
	v_cmp_eq_u16_sdwa s[12:13], v12, s4 src0_sel:BYTE_3 src1_sel:DWORD
	s_mov_b64 s[4:5], -1
                                        ; implicit-def: $sgpr10
	s_and_saveexec_b64 s[8:9], s[12:13]
; %bb.3166:
	s_mov_b32 s10, 0x7f800001
	s_xor_b64 s[4:5], exec, -1
; %bb.3167:
	s_or_b64 exec, exec, s[8:9]
	s_and_b64 s[4:5], s[4:5], exec
	s_or_saveexec_b64 s[6:7], s[6:7]
	v_mov_b32_e32 v11, s10
	s_xor_b64 exec, exec, s[6:7]
	s_cbranch_execz .LBB18_1118
.LBB18_3168:
	v_mov_b32_e32 v11, 0
	v_cmp_ne_u16_sdwa s[8:9], v12, v11 src0_sel:BYTE_3 src1_sel:DWORD
	s_andn2_b64 s[4:5], s[4:5], exec
	s_and_b64 s[8:9], s[8:9], exec
	s_or_b64 s[4:5], s[4:5], s[8:9]
	s_or_b64 exec, exec, s[6:7]
	s_and_saveexec_b64 s[6:7], s[4:5]
	s_cbranch_execnz .LBB18_1119
	s_branch .LBB18_1120
.LBB18_3169:
	s_movk_i32 s4, 0x80
	v_cmp_eq_u16_sdwa s[12:13], v17, s4 src0_sel:BYTE_0 src1_sel:DWORD
	s_mov_b64 s[4:5], -1
                                        ; implicit-def: $sgpr10
	s_and_saveexec_b64 s[8:9], s[12:13]
; %bb.3170:
	s_mov_b32 s10, 0x7f800001
	s_xor_b64 s[4:5], exec, -1
; %bb.3171:
	s_or_b64 exec, exec, s[8:9]
	s_and_b64 s[4:5], s[4:5], exec
	s_or_saveexec_b64 s[6:7], s[6:7]
	v_mov_b32_e32 v10, s10
	s_xor_b64 exec, exec, s[6:7]
	s_cbranch_execz .LBB18_1122
.LBB18_3172:
	v_mov_b32_e32 v10, 0
	v_cmp_ne_u16_sdwa s[8:9], v17, v10 src0_sel:BYTE_0 src1_sel:DWORD
	s_andn2_b64 s[4:5], s[4:5], exec
	s_and_b64 s[8:9], s[8:9], exec
	s_or_b64 s[4:5], s[4:5], s[8:9]
	s_or_b64 exec, exec, s[6:7]
	s_and_saveexec_b64 s[6:7], s[4:5]
	s_cbranch_execnz .LBB18_1123
	s_branch .LBB18_1124
.LBB18_3173:
	s_movk_i32 s4, 0x80
	v_cmp_eq_u16_sdwa s[12:13], v13, s4 src0_sel:BYTE_0 src1_sel:DWORD
	s_mov_b64 s[4:5], -1
                                        ; implicit-def: $sgpr10
	s_and_saveexec_b64 s[8:9], s[12:13]
; %bb.3174:
	s_mov_b32 s10, 0x7f800001
	s_xor_b64 s[4:5], exec, -1
; %bb.3175:
	s_or_b64 exec, exec, s[8:9]
	s_and_b64 s[4:5], s[4:5], exec
	s_or_saveexec_b64 s[6:7], s[6:7]
	v_mov_b32_e32 v11, s10
	s_xor_b64 exec, exec, s[6:7]
	s_cbranch_execz .LBB18_1126
.LBB18_3176:
	v_mov_b32_e32 v11, 0
	v_cmp_ne_u16_sdwa s[8:9], v13, v11 src0_sel:BYTE_0 src1_sel:DWORD
	s_andn2_b64 s[4:5], s[4:5], exec
	s_and_b64 s[8:9], s[8:9], exec
	s_or_b64 s[4:5], s[4:5], s[8:9]
	s_or_b64 exec, exec, s[6:7]
	s_and_saveexec_b64 s[6:7], s[4:5]
	s_cbranch_execnz .LBB18_1127
	s_branch .LBB18_1128
.LBB18_3177:
	s_movk_i32 s4, 0x80
	v_cmp_eq_u16_sdwa s[12:13], v11, s4 src0_sel:BYTE_0 src1_sel:DWORD
	s_mov_b64 s[4:5], -1
                                        ; implicit-def: $sgpr10
	s_and_saveexec_b64 s[8:9], s[12:13]
; %bb.3178:
	s_mov_b32 s10, 0x7f800001
	s_xor_b64 s[4:5], exec, -1
; %bb.3179:
	s_or_b64 exec, exec, s[8:9]
	s_and_b64 s[4:5], s[4:5], exec
	s_or_saveexec_b64 s[6:7], s[6:7]
	v_mov_b32_e32 v10, s10
	s_xor_b64 exec, exec, s[6:7]
	s_cbranch_execz .LBB18_1130
.LBB18_3180:
	v_mov_b32_e32 v10, 0
	v_cmp_ne_u16_sdwa s[8:9], v11, v10 src0_sel:BYTE_0 src1_sel:DWORD
	s_andn2_b64 s[4:5], s[4:5], exec
	s_and_b64 s[8:9], s[8:9], exec
	s_or_b64 s[4:5], s[4:5], s[8:9]
	s_or_b64 exec, exec, s[6:7]
	s_and_saveexec_b64 s[6:7], s[4:5]
	s_cbranch_execnz .LBB18_1131
	s_branch .LBB18_1132
.LBB18_3181:
	s_movk_i32 s4, 0x80
	v_cmp_eq_u16_sdwa s[12:13], v11, s4 src0_sel:BYTE_0 src1_sel:DWORD
	s_mov_b64 s[4:5], -1
                                        ; implicit-def: $sgpr10
	s_and_saveexec_b64 s[8:9], s[12:13]
; %bb.3182:
	s_mov_b32 s10, 0x7f800001
	s_xor_b64 s[4:5], exec, -1
; %bb.3183:
	s_or_b64 exec, exec, s[8:9]
	s_and_b64 s[4:5], s[4:5], exec
	s_or_saveexec_b64 s[6:7], s[6:7]
	v_mov_b32_e32 v12, s10
	s_xor_b64 exec, exec, s[6:7]
	s_cbranch_execz .LBB18_1134
.LBB18_3184:
	v_mov_b32_e32 v12, 0
	v_cmp_ne_u16_sdwa s[8:9], v11, v12 src0_sel:BYTE_0 src1_sel:DWORD
	s_andn2_b64 s[4:5], s[4:5], exec
	s_and_b64 s[8:9], s[8:9], exec
	s_or_b64 s[4:5], s[4:5], s[8:9]
	s_or_b64 exec, exec, s[6:7]
	s_and_saveexec_b64 s[6:7], s[4:5]
	s_cbranch_execnz .LBB18_1135
	s_branch .LBB18_1136
.LBB18_3185:
	s_movk_i32 s4, 0x80
	v_cmp_eq_u16_e32 vcc, s4, v11
	s_mov_b64 s[4:5], -1
                                        ; implicit-def: $sgpr10
	s_and_saveexec_b64 s[8:9], vcc
; %bb.3186:
	s_mov_b32 s10, 0x7f800001
	s_xor_b64 s[4:5], exec, -1
; %bb.3187:
	s_or_b64 exec, exec, s[8:9]
	s_and_b64 s[4:5], s[4:5], exec
                                        ; implicit-def: $vgpr11
	s_or_saveexec_b64 s[6:7], s[6:7]
	v_mov_b32_e32 v10, s10
	s_xor_b64 exec, exec, s[6:7]
	s_cbranch_execz .LBB18_1138
.LBB18_3188:
	v_cmp_ne_u16_e32 vcc, 0, v11
	s_andn2_b64 s[4:5], s[4:5], exec
	s_and_b64 s[8:9], vcc, exec
	v_mov_b32_e32 v10, 0
	s_or_b64 s[4:5], s[4:5], s[8:9]
	s_or_b64 exec, exec, s[6:7]
	s_and_saveexec_b64 s[6:7], s[4:5]
	s_cbranch_execnz .LBB18_1139
	s_branch .LBB18_1140
.LBB18_3189:
	s_movk_i32 s4, 0x80
	v_cmp_eq_u16_e32 vcc, s4, v11
	s_mov_b64 s[4:5], -1
                                        ; implicit-def: $sgpr10
	s_and_saveexec_b64 s[8:9], vcc
; %bb.3190:
	s_mov_b32 s10, 0x7f800001
	s_xor_b64 s[4:5], exec, -1
; %bb.3191:
	s_or_b64 exec, exec, s[8:9]
	s_and_b64 s[4:5], s[4:5], exec
                                        ; implicit-def: $vgpr11
	s_or_saveexec_b64 s[6:7], s[6:7]
	v_mov_b32_e32 v12, s10
	s_xor_b64 exec, exec, s[6:7]
	s_cbranch_execz .LBB18_1142
.LBB18_3192:
	v_cmp_ne_u16_e32 vcc, 0, v11
	s_andn2_b64 s[4:5], s[4:5], exec
	s_and_b64 s[8:9], vcc, exec
	v_mov_b32_e32 v12, 0
	s_or_b64 s[4:5], s[4:5], s[8:9]
	s_or_b64 exec, exec, s[6:7]
	s_and_saveexec_b64 s[6:7], s[4:5]
	s_cbranch_execnz .LBB18_1143
	s_branch .LBB18_1144
.LBB18_3193:
	s_movk_i32 s4, 0x80
	v_cmp_eq_u16_sdwa s[12:13], v17, s4 src0_sel:BYTE_3 src1_sel:DWORD
	s_mov_b64 s[4:5], -1
                                        ; implicit-def: $sgpr10
	s_and_saveexec_b64 s[8:9], s[12:13]
; %bb.3194:
	s_mov_b32 s10, 0x7f800001
	s_xor_b64 s[4:5], exec, -1
; %bb.3195:
	s_or_b64 exec, exec, s[8:9]
	s_and_b64 s[4:5], s[4:5], exec
	s_or_saveexec_b64 s[6:7], s[6:7]
	v_mov_b32_e32 v10, s10
	s_xor_b64 exec, exec, s[6:7]
	s_cbranch_execz .LBB18_1146
.LBB18_3196:
	v_mov_b32_e32 v10, 0
	v_cmp_ne_u16_sdwa s[8:9], v17, v10 src0_sel:BYTE_3 src1_sel:DWORD
	s_andn2_b64 s[4:5], s[4:5], exec
	s_and_b64 s[8:9], s[8:9], exec
	s_or_b64 s[4:5], s[4:5], s[8:9]
	s_or_b64 exec, exec, s[6:7]
	s_and_saveexec_b64 s[6:7], s[4:5]
	s_cbranch_execnz .LBB18_1147
	s_branch .LBB18_1148
.LBB18_3197:
	s_movk_i32 s4, 0x80
	v_cmp_eq_u16_sdwa s[12:13], v13, s4 src0_sel:BYTE_3 src1_sel:DWORD
	s_mov_b64 s[4:5], -1
                                        ; implicit-def: $sgpr10
	s_and_saveexec_b64 s[8:9], s[12:13]
; %bb.3198:
	s_mov_b32 s10, 0x7f800001
	s_xor_b64 s[4:5], exec, -1
; %bb.3199:
	s_or_b64 exec, exec, s[8:9]
	s_and_b64 s[4:5], s[4:5], exec
	s_or_saveexec_b64 s[6:7], s[6:7]
	v_mov_b32_e32 v11, s10
	s_xor_b64 exec, exec, s[6:7]
	s_cbranch_execz .LBB18_1150
.LBB18_3200:
	v_mov_b32_e32 v11, 0
	v_cmp_ne_u16_sdwa s[8:9], v13, v11 src0_sel:BYTE_3 src1_sel:DWORD
	s_andn2_b64 s[4:5], s[4:5], exec
	s_and_b64 s[8:9], s[8:9], exec
	s_or_b64 s[4:5], s[4:5], s[8:9]
	s_or_b64 exec, exec, s[6:7]
	s_and_saveexec_b64 s[6:7], s[4:5]
	s_cbranch_execnz .LBB18_1151
	s_branch .LBB18_1152
.LBB18_3201:
	s_movk_i32 s4, 0x80
	v_cmp_eq_u16_sdwa s[12:13], v6, s4 src0_sel:BYTE_0 src1_sel:DWORD
	s_mov_b64 s[4:5], -1
                                        ; implicit-def: $sgpr10
	s_and_saveexec_b64 s[8:9], s[12:13]
; %bb.3202:
	s_mov_b32 s10, 0x7f800001
	s_xor_b64 s[4:5], exec, -1
; %bb.3203:
	s_or_b64 exec, exec, s[8:9]
	s_and_b64 s[4:5], s[4:5], exec
	s_or_saveexec_b64 s[6:7], s[6:7]
	v_mov_b32_e32 v10, s10
	s_xor_b64 exec, exec, s[6:7]
	s_cbranch_execz .LBB18_1154
.LBB18_3204:
	v_mov_b32_e32 v10, 0
	v_cmp_ne_u16_sdwa s[8:9], v6, v10 src0_sel:BYTE_0 src1_sel:DWORD
	s_andn2_b64 s[4:5], s[4:5], exec
	s_and_b64 s[8:9], s[8:9], exec
	s_or_b64 s[4:5], s[4:5], s[8:9]
	s_or_b64 exec, exec, s[6:7]
	s_and_saveexec_b64 s[6:7], s[4:5]
	s_cbranch_execnz .LBB18_1155
	s_branch .LBB18_1156
.LBB18_3205:
	s_movk_i32 s4, 0x80
	v_cmp_eq_u16_sdwa s[12:13], v2, s4 src0_sel:BYTE_0 src1_sel:DWORD
	s_mov_b64 s[4:5], -1
                                        ; implicit-def: $sgpr10
	s_and_saveexec_b64 s[8:9], s[12:13]
; %bb.3206:
	s_mov_b32 s10, 0x7f800001
	s_xor_b64 s[4:5], exec, -1
; %bb.3207:
	s_or_b64 exec, exec, s[8:9]
	s_and_b64 s[4:5], s[4:5], exec
	s_or_saveexec_b64 s[6:7], s[6:7]
	v_mov_b32_e32 v11, s10
	s_xor_b64 exec, exec, s[6:7]
	s_cbranch_execz .LBB18_1158
.LBB18_3208:
	v_mov_b32_e32 v11, 0
	v_cmp_ne_u16_sdwa s[8:9], v2, v11 src0_sel:BYTE_0 src1_sel:DWORD
	s_andn2_b64 s[4:5], s[4:5], exec
	s_and_b64 s[8:9], s[8:9], exec
	s_or_b64 s[4:5], s[4:5], s[8:9]
	s_or_b64 exec, exec, s[6:7]
	s_and_saveexec_b64 s[6:7], s[4:5]
	s_cbranch_execnz .LBB18_1159
	s_branch .LBB18_1160
.LBB18_3209:
	s_movk_i32 s4, 0x80
	v_cmp_eq_u16_sdwa s[12:13], v11, s4 src0_sel:BYTE_0 src1_sel:DWORD
	s_mov_b64 s[4:5], -1
                                        ; implicit-def: $sgpr10
	s_and_saveexec_b64 s[8:9], s[12:13]
; %bb.3210:
	s_mov_b32 s10, 0x7f800001
	s_xor_b64 s[4:5], exec, -1
; %bb.3211:
	s_or_b64 exec, exec, s[8:9]
	s_and_b64 s[4:5], s[4:5], exec
	s_or_saveexec_b64 s[6:7], s[6:7]
	v_mov_b32_e32 v10, s10
	s_xor_b64 exec, exec, s[6:7]
	s_cbranch_execz .LBB18_1162
.LBB18_3212:
	v_mov_b32_e32 v10, 0
	v_cmp_ne_u16_sdwa s[8:9], v11, v10 src0_sel:BYTE_0 src1_sel:DWORD
	s_andn2_b64 s[4:5], s[4:5], exec
	s_and_b64 s[8:9], s[8:9], exec
	s_or_b64 s[4:5], s[4:5], s[8:9]
	s_or_b64 exec, exec, s[6:7]
	s_and_saveexec_b64 s[6:7], s[4:5]
	s_cbranch_execnz .LBB18_1163
	s_branch .LBB18_1164
.LBB18_3213:
	s_movk_i32 s4, 0x80
	v_cmp_eq_u16_sdwa s[12:13], v11, s4 src0_sel:BYTE_0 src1_sel:DWORD
	s_mov_b64 s[4:5], -1
                                        ; implicit-def: $sgpr10
	s_and_saveexec_b64 s[8:9], s[12:13]
; %bb.3214:
	s_mov_b32 s10, 0x7f800001
	s_xor_b64 s[4:5], exec, -1
; %bb.3215:
	s_or_b64 exec, exec, s[8:9]
	s_and_b64 s[4:5], s[4:5], exec
	s_or_saveexec_b64 s[6:7], s[6:7]
	v_mov_b32_e32 v12, s10
	s_xor_b64 exec, exec, s[6:7]
	s_cbranch_execz .LBB18_1166
.LBB18_3216:
	v_mov_b32_e32 v12, 0
	v_cmp_ne_u16_sdwa s[8:9], v11, v12 src0_sel:BYTE_0 src1_sel:DWORD
	s_andn2_b64 s[4:5], s[4:5], exec
	s_and_b64 s[8:9], s[8:9], exec
	s_or_b64 s[4:5], s[4:5], s[8:9]
	s_or_b64 exec, exec, s[6:7]
	s_and_saveexec_b64 s[6:7], s[4:5]
	s_cbranch_execnz .LBB18_1167
	s_branch .LBB18_1168
.LBB18_3217:
	s_movk_i32 s4, 0x80
	v_cmp_eq_u16_e32 vcc, s4, v11
	s_mov_b64 s[4:5], -1
                                        ; implicit-def: $sgpr10
	s_and_saveexec_b64 s[8:9], vcc
; %bb.3218:
	s_mov_b32 s10, 0x7f800001
	s_xor_b64 s[4:5], exec, -1
; %bb.3219:
	s_or_b64 exec, exec, s[8:9]
	s_and_b64 s[4:5], s[4:5], exec
                                        ; implicit-def: $vgpr11
	s_or_saveexec_b64 s[6:7], s[6:7]
	v_mov_b32_e32 v10, s10
	s_xor_b64 exec, exec, s[6:7]
	s_cbranch_execz .LBB18_1170
.LBB18_3220:
	v_cmp_ne_u16_e32 vcc, 0, v11
	s_andn2_b64 s[4:5], s[4:5], exec
	s_and_b64 s[8:9], vcc, exec
	v_mov_b32_e32 v10, 0
	s_or_b64 s[4:5], s[4:5], s[8:9]
	s_or_b64 exec, exec, s[6:7]
	s_and_saveexec_b64 s[6:7], s[4:5]
	s_cbranch_execnz .LBB18_1171
	s_branch .LBB18_1172
.LBB18_3221:
	s_movk_i32 s4, 0x80
	v_cmp_eq_u16_e32 vcc, s4, v11
	s_mov_b64 s[4:5], -1
                                        ; implicit-def: $sgpr10
	s_and_saveexec_b64 s[8:9], vcc
; %bb.3222:
	s_mov_b32 s10, 0x7f800001
	s_xor_b64 s[4:5], exec, -1
; %bb.3223:
	s_or_b64 exec, exec, s[8:9]
	s_and_b64 s[4:5], s[4:5], exec
                                        ; implicit-def: $vgpr11
	s_or_saveexec_b64 s[6:7], s[6:7]
	v_mov_b32_e32 v12, s10
	s_xor_b64 exec, exec, s[6:7]
	s_cbranch_execz .LBB18_1174
.LBB18_3224:
	v_cmp_ne_u16_e32 vcc, 0, v11
	s_andn2_b64 s[4:5], s[4:5], exec
	s_and_b64 s[8:9], vcc, exec
	v_mov_b32_e32 v12, 0
	s_or_b64 s[4:5], s[4:5], s[8:9]
	s_or_b64 exec, exec, s[6:7]
	s_and_saveexec_b64 s[6:7], s[4:5]
	s_cbranch_execnz .LBB18_1175
	s_branch .LBB18_1176
.LBB18_3225:
	s_movk_i32 s4, 0x80
	v_cmp_eq_u16_sdwa s[12:13], v6, s4 src0_sel:BYTE_3 src1_sel:DWORD
	s_mov_b64 s[4:5], -1
                                        ; implicit-def: $sgpr10
	s_and_saveexec_b64 s[8:9], s[12:13]
; %bb.3226:
	s_mov_b32 s10, 0x7f800001
	s_xor_b64 s[4:5], exec, -1
; %bb.3227:
	s_or_b64 exec, exec, s[8:9]
	s_and_b64 s[4:5], s[4:5], exec
	s_or_saveexec_b64 s[6:7], s[6:7]
	v_mov_b32_e32 v10, s10
	s_xor_b64 exec, exec, s[6:7]
	s_cbranch_execz .LBB18_1178
.LBB18_3228:
	v_mov_b32_e32 v10, 0
	v_cmp_ne_u16_sdwa s[8:9], v6, v10 src0_sel:BYTE_3 src1_sel:DWORD
	s_andn2_b64 s[4:5], s[4:5], exec
	s_and_b64 s[8:9], s[8:9], exec
	s_or_b64 s[4:5], s[4:5], s[8:9]
	s_or_b64 exec, exec, s[6:7]
	s_and_saveexec_b64 s[6:7], s[4:5]
	s_cbranch_execnz .LBB18_1179
	s_branch .LBB18_1180
.LBB18_3229:
	s_movk_i32 s4, 0x80
	v_cmp_eq_u16_sdwa s[12:13], v2, s4 src0_sel:BYTE_3 src1_sel:DWORD
	s_mov_b64 s[4:5], -1
                                        ; implicit-def: $sgpr10
	s_and_saveexec_b64 s[8:9], s[12:13]
; %bb.3230:
	s_mov_b32 s10, 0x7f800001
	s_xor_b64 s[4:5], exec, -1
; %bb.3231:
	s_or_b64 exec, exec, s[8:9]
	s_and_b64 s[4:5], s[4:5], exec
	s_or_saveexec_b64 s[6:7], s[6:7]
	v_mov_b32_e32 v6, s10
	s_xor_b64 exec, exec, s[6:7]
	s_cbranch_execz .LBB18_1182
.LBB18_3232:
	v_mov_b32_e32 v6, 0
	v_cmp_ne_u16_sdwa s[8:9], v2, v6 src0_sel:BYTE_3 src1_sel:DWORD
	s_andn2_b64 s[4:5], s[4:5], exec
	s_and_b64 s[8:9], s[8:9], exec
	s_or_b64 s[4:5], s[4:5], s[8:9]
	s_or_b64 exec, exec, s[6:7]
	s_and_saveexec_b64 s[6:7], s[4:5]
	s_cbranch_execnz .LBB18_1183
	s_branch .LBB18_1184
.LBB18_3233:
	s_movk_i32 s4, 0x80
	v_cmp_eq_u16_sdwa s[12:13], v7, s4 src0_sel:BYTE_0 src1_sel:DWORD
	s_mov_b64 s[4:5], -1
                                        ; implicit-def: $sgpr10
	s_and_saveexec_b64 s[8:9], s[12:13]
; %bb.3234:
	s_mov_b32 s10, 0x7f800001
	s_xor_b64 s[4:5], exec, -1
; %bb.3235:
	s_or_b64 exec, exec, s[8:9]
	s_and_b64 s[4:5], s[4:5], exec
	s_or_saveexec_b64 s[6:7], s[6:7]
	v_mov_b32_e32 v2, s10
	s_xor_b64 exec, exec, s[6:7]
	s_cbranch_execz .LBB18_1186
.LBB18_3236:
	v_mov_b32_e32 v2, 0
	v_cmp_ne_u16_sdwa s[8:9], v7, v2 src0_sel:BYTE_0 src1_sel:DWORD
	s_andn2_b64 s[4:5], s[4:5], exec
	s_and_b64 s[8:9], s[8:9], exec
	s_or_b64 s[4:5], s[4:5], s[8:9]
	s_or_b64 exec, exec, s[6:7]
	s_and_saveexec_b64 s[6:7], s[4:5]
	s_cbranch_execnz .LBB18_1187
	s_branch .LBB18_1188
.LBB18_3237:
	s_movk_i32 s4, 0x80
	v_cmp_eq_u16_sdwa s[12:13], v3, s4 src0_sel:BYTE_0 src1_sel:DWORD
	s_mov_b64 s[4:5], -1
                                        ; implicit-def: $sgpr10
	s_and_saveexec_b64 s[8:9], s[12:13]
; %bb.3238:
	s_mov_b32 s10, 0x7f800001
	s_xor_b64 s[4:5], exec, -1
; %bb.3239:
	s_or_b64 exec, exec, s[8:9]
	s_and_b64 s[4:5], s[4:5], exec
	s_or_saveexec_b64 s[6:7], s[6:7]
	v_mov_b32_e32 v6, s10
	s_xor_b64 exec, exec, s[6:7]
	s_cbranch_execz .LBB18_1190
.LBB18_3240:
	v_mov_b32_e32 v6, 0
	v_cmp_ne_u16_sdwa s[8:9], v3, v6 src0_sel:BYTE_0 src1_sel:DWORD
	s_andn2_b64 s[4:5], s[4:5], exec
	s_and_b64 s[8:9], s[8:9], exec
	s_or_b64 s[4:5], s[4:5], s[8:9]
	s_or_b64 exec, exec, s[6:7]
	s_and_saveexec_b64 s[6:7], s[4:5]
	s_cbranch_execnz .LBB18_1191
	s_branch .LBB18_1192
.LBB18_3241:
	s_movk_i32 s4, 0x80
	v_cmp_eq_u16_sdwa s[12:13], v6, s4 src0_sel:BYTE_0 src1_sel:DWORD
	s_mov_b64 s[4:5], -1
                                        ; implicit-def: $sgpr10
	s_and_saveexec_b64 s[8:9], s[12:13]
; %bb.3242:
	s_mov_b32 s10, 0x7f800001
	s_xor_b64 s[4:5], exec, -1
; %bb.3243:
	s_or_b64 exec, exec, s[8:9]
	s_and_b64 s[4:5], s[4:5], exec
	s_or_saveexec_b64 s[6:7], s[6:7]
	v_mov_b32_e32 v2, s10
	s_xor_b64 exec, exec, s[6:7]
	s_cbranch_execz .LBB18_1194
.LBB18_3244:
	v_mov_b32_e32 v2, 0
	v_cmp_ne_u16_sdwa s[8:9], v6, v2 src0_sel:BYTE_0 src1_sel:DWORD
	s_andn2_b64 s[4:5], s[4:5], exec
	s_and_b64 s[8:9], s[8:9], exec
	s_or_b64 s[4:5], s[4:5], s[8:9]
	s_or_b64 exec, exec, s[6:7]
	s_and_saveexec_b64 s[6:7], s[4:5]
	s_cbranch_execnz .LBB18_1195
	s_branch .LBB18_1196
.LBB18_3245:
	s_movk_i32 s4, 0x80
	v_cmp_eq_u16_sdwa s[12:13], v6, s4 src0_sel:BYTE_0 src1_sel:DWORD
	s_mov_b64 s[4:5], -1
                                        ; implicit-def: $sgpr10
	s_and_saveexec_b64 s[8:9], s[12:13]
; %bb.3246:
	s_mov_b32 s10, 0x7f800001
	s_xor_b64 s[4:5], exec, -1
; %bb.3247:
	s_or_b64 exec, exec, s[8:9]
	s_and_b64 s[4:5], s[4:5], exec
	s_or_saveexec_b64 s[6:7], s[6:7]
	v_mov_b32_e32 v10, s10
	s_xor_b64 exec, exec, s[6:7]
	s_cbranch_execz .LBB18_1198
.LBB18_3248:
	v_mov_b32_e32 v10, 0
	v_cmp_ne_u16_sdwa s[8:9], v6, v10 src0_sel:BYTE_0 src1_sel:DWORD
	s_andn2_b64 s[4:5], s[4:5], exec
	s_and_b64 s[8:9], s[8:9], exec
	s_or_b64 s[4:5], s[4:5], s[8:9]
	s_or_b64 exec, exec, s[6:7]
	s_and_saveexec_b64 s[6:7], s[4:5]
	s_cbranch_execnz .LBB18_1199
	s_branch .LBB18_1200
.LBB18_3249:
	s_movk_i32 s4, 0x80
	v_cmp_eq_u16_e32 vcc, s4, v6
	s_mov_b64 s[4:5], -1
                                        ; implicit-def: $sgpr10
	s_and_saveexec_b64 s[8:9], vcc
; %bb.3250:
	s_mov_b32 s10, 0x7f800001
	s_xor_b64 s[4:5], exec, -1
; %bb.3251:
	s_or_b64 exec, exec, s[8:9]
	s_and_b64 s[4:5], s[4:5], exec
                                        ; implicit-def: $vgpr6
	s_or_saveexec_b64 s[6:7], s[6:7]
	v_mov_b32_e32 v2, s10
	s_xor_b64 exec, exec, s[6:7]
	s_cbranch_execz .LBB18_1202
.LBB18_3252:
	v_cmp_ne_u16_e32 vcc, 0, v6
	s_andn2_b64 s[4:5], s[4:5], exec
	s_and_b64 s[8:9], vcc, exec
	v_mov_b32_e32 v2, 0
	s_or_b64 s[4:5], s[4:5], s[8:9]
	s_or_b64 exec, exec, s[6:7]
	s_and_saveexec_b64 s[6:7], s[4:5]
	s_cbranch_execnz .LBB18_1203
	s_branch .LBB18_1204
.LBB18_3253:
	s_movk_i32 s4, 0x80
	v_cmp_eq_u16_e32 vcc, s4, v6
	s_mov_b64 s[4:5], -1
                                        ; implicit-def: $sgpr10
	s_and_saveexec_b64 s[8:9], vcc
; %bb.3254:
	s_mov_b32 s10, 0x7f800001
	s_xor_b64 s[4:5], exec, -1
; %bb.3255:
	s_or_b64 exec, exec, s[8:9]
	s_and_b64 s[4:5], s[4:5], exec
                                        ; implicit-def: $vgpr6
	s_or_saveexec_b64 s[6:7], s[6:7]
	v_mov_b32_e32 v10, s10
	s_xor_b64 exec, exec, s[6:7]
	s_cbranch_execz .LBB18_1206
.LBB18_3256:
	v_cmp_ne_u16_e32 vcc, 0, v6
	s_andn2_b64 s[4:5], s[4:5], exec
	s_and_b64 s[8:9], vcc, exec
	v_mov_b32_e32 v10, 0
	s_or_b64 s[4:5], s[4:5], s[8:9]
	s_or_b64 exec, exec, s[6:7]
	s_and_saveexec_b64 s[6:7], s[4:5]
	s_cbranch_execnz .LBB18_1207
	s_branch .LBB18_1208
.LBB18_3257:
	s_movk_i32 s4, 0x80
	v_cmp_eq_u16_sdwa s[12:13], v7, s4 src0_sel:BYTE_3 src1_sel:DWORD
	s_mov_b64 s[4:5], -1
                                        ; implicit-def: $sgpr10
	s_and_saveexec_b64 s[8:9], s[12:13]
; %bb.3258:
	s_mov_b32 s10, 0x7f800001
	s_xor_b64 s[4:5], exec, -1
; %bb.3259:
	s_or_b64 exec, exec, s[8:9]
	s_and_b64 s[4:5], s[4:5], exec
	s_or_saveexec_b64 s[6:7], s[6:7]
	v_mov_b32_e32 v2, s10
	s_xor_b64 exec, exec, s[6:7]
	s_cbranch_execz .LBB18_1210
.LBB18_3260:
	v_mov_b32_e32 v2, 0
	v_cmp_ne_u16_sdwa s[8:9], v7, v2 src0_sel:BYTE_3 src1_sel:DWORD
	s_andn2_b64 s[4:5], s[4:5], exec
	s_and_b64 s[8:9], s[8:9], exec
	s_or_b64 s[4:5], s[4:5], s[8:9]
	s_or_b64 exec, exec, s[6:7]
	s_and_saveexec_b64 s[6:7], s[4:5]
	s_cbranch_execnz .LBB18_1211
	s_branch .LBB18_1212
.LBB18_3261:
	s_movk_i32 s4, 0x80
	v_cmp_eq_u16_sdwa s[12:13], v3, s4 src0_sel:BYTE_3 src1_sel:DWORD
	s_mov_b64 s[4:5], -1
                                        ; implicit-def: $sgpr10
	s_and_saveexec_b64 s[8:9], s[12:13]
; %bb.3262:
	s_mov_b32 s10, 0x7f800001
	s_xor_b64 s[4:5], exec, -1
; %bb.3263:
	s_or_b64 exec, exec, s[8:9]
	s_and_b64 s[4:5], s[4:5], exec
	s_or_saveexec_b64 s[6:7], s[6:7]
	v_mov_b32_e32 v6, s10
	s_xor_b64 exec, exec, s[6:7]
	s_cbranch_execz .LBB18_1214
.LBB18_3264:
	v_mov_b32_e32 v6, 0
	v_cmp_ne_u16_sdwa s[8:9], v3, v6 src0_sel:BYTE_3 src1_sel:DWORD
	s_andn2_b64 s[4:5], s[4:5], exec
	s_and_b64 s[8:9], s[8:9], exec
	s_or_b64 s[4:5], s[4:5], s[8:9]
	s_or_b64 exec, exec, s[6:7]
	s_and_saveexec_b64 s[6:7], s[4:5]
	s_cbranch_execnz .LBB18_1215
	s_branch .LBB18_1216
.LBB18_3265:
	s_movk_i32 s4, 0x80
	v_cmp_eq_u16_sdwa s[12:13], v8, s4 src0_sel:BYTE_0 src1_sel:DWORD
	s_mov_b64 s[4:5], -1
                                        ; implicit-def: $sgpr10
	s_and_saveexec_b64 s[8:9], s[12:13]
; %bb.3266:
	s_mov_b32 s10, 0x7f800001
	s_xor_b64 s[4:5], exec, -1
; %bb.3267:
	s_or_b64 exec, exec, s[8:9]
	s_and_b64 s[4:5], s[4:5], exec
	s_or_saveexec_b64 s[6:7], s[6:7]
	v_mov_b32_e32 v2, s10
	s_xor_b64 exec, exec, s[6:7]
	s_cbranch_execz .LBB18_1218
.LBB18_3268:
	v_mov_b32_e32 v2, 0
	v_cmp_ne_u16_sdwa s[8:9], v8, v2 src0_sel:BYTE_0 src1_sel:DWORD
	s_andn2_b64 s[4:5], s[4:5], exec
	s_and_b64 s[8:9], s[8:9], exec
	s_or_b64 s[4:5], s[4:5], s[8:9]
	s_or_b64 exec, exec, s[6:7]
	s_and_saveexec_b64 s[6:7], s[4:5]
	s_cbranch_execnz .LBB18_1219
	s_branch .LBB18_1220
.LBB18_3269:
	s_movk_i32 s4, 0x80
	v_cmp_eq_u16_sdwa s[12:13], v4, s4 src0_sel:BYTE_0 src1_sel:DWORD
	s_mov_b64 s[4:5], -1
                                        ; implicit-def: $sgpr10
	s_and_saveexec_b64 s[8:9], s[12:13]
; %bb.3270:
	s_mov_b32 s10, 0x7f800001
	s_xor_b64 s[4:5], exec, -1
; %bb.3271:
	s_or_b64 exec, exec, s[8:9]
	s_and_b64 s[4:5], s[4:5], exec
	s_or_saveexec_b64 s[6:7], s[6:7]
	v_mov_b32_e32 v3, s10
	s_xor_b64 exec, exec, s[6:7]
	s_cbranch_execz .LBB18_1222
.LBB18_3272:
	v_mov_b32_e32 v3, 0
	v_cmp_ne_u16_sdwa s[8:9], v4, v3 src0_sel:BYTE_0 src1_sel:DWORD
	s_andn2_b64 s[4:5], s[4:5], exec
	s_and_b64 s[8:9], s[8:9], exec
	s_or_b64 s[4:5], s[4:5], s[8:9]
	s_or_b64 exec, exec, s[6:7]
	s_and_saveexec_b64 s[6:7], s[4:5]
	s_cbranch_execnz .LBB18_1223
	s_branch .LBB18_1224
.LBB18_3273:
	s_movk_i32 s4, 0x80
	v_cmp_eq_u16_sdwa s[12:13], v3, s4 src0_sel:BYTE_0 src1_sel:DWORD
	s_mov_b64 s[4:5], -1
                                        ; implicit-def: $sgpr10
	s_and_saveexec_b64 s[8:9], s[12:13]
; %bb.3274:
	s_mov_b32 s10, 0x7f800001
	s_xor_b64 s[4:5], exec, -1
; %bb.3275:
	s_or_b64 exec, exec, s[8:9]
	s_and_b64 s[4:5], s[4:5], exec
	s_or_saveexec_b64 s[6:7], s[6:7]
	v_mov_b32_e32 v2, s10
	s_xor_b64 exec, exec, s[6:7]
	s_cbranch_execz .LBB18_1226
.LBB18_3276:
	v_mov_b32_e32 v2, 0
	v_cmp_ne_u16_sdwa s[8:9], v3, v2 src0_sel:BYTE_0 src1_sel:DWORD
	s_andn2_b64 s[4:5], s[4:5], exec
	s_and_b64 s[8:9], s[8:9], exec
	s_or_b64 s[4:5], s[4:5], s[8:9]
	s_or_b64 exec, exec, s[6:7]
	s_and_saveexec_b64 s[6:7], s[4:5]
	s_cbranch_execnz .LBB18_1227
	s_branch .LBB18_1228
.LBB18_3277:
	s_movk_i32 s4, 0x80
	v_cmp_eq_u16_sdwa s[12:13], v3, s4 src0_sel:BYTE_0 src1_sel:DWORD
	s_mov_b64 s[4:5], -1
                                        ; implicit-def: $sgpr10
	s_and_saveexec_b64 s[8:9], s[12:13]
; %bb.3278:
	s_mov_b32 s10, 0x7f800001
	s_xor_b64 s[4:5], exec, -1
; %bb.3279:
	s_or_b64 exec, exec, s[8:9]
	s_and_b64 s[4:5], s[4:5], exec
	s_or_saveexec_b64 s[6:7], s[6:7]
	v_mov_b32_e32 v6, s10
	s_xor_b64 exec, exec, s[6:7]
	s_cbranch_execz .LBB18_1230
.LBB18_3280:
	v_mov_b32_e32 v6, 0
	v_cmp_ne_u16_sdwa s[8:9], v3, v6 src0_sel:BYTE_0 src1_sel:DWORD
	s_andn2_b64 s[4:5], s[4:5], exec
	s_and_b64 s[8:9], s[8:9], exec
	s_or_b64 s[4:5], s[4:5], s[8:9]
	s_or_b64 exec, exec, s[6:7]
	s_and_saveexec_b64 s[6:7], s[4:5]
	s_cbranch_execnz .LBB18_1231
	s_branch .LBB18_1232
.LBB18_3281:
	s_movk_i32 s4, 0x80
	v_cmp_eq_u16_e32 vcc, s4, v3
	s_mov_b64 s[4:5], -1
                                        ; implicit-def: $sgpr10
	s_and_saveexec_b64 s[8:9], vcc
; %bb.3282:
	s_mov_b32 s10, 0x7f800001
	s_xor_b64 s[4:5], exec, -1
; %bb.3283:
	s_or_b64 exec, exec, s[8:9]
	s_and_b64 s[4:5], s[4:5], exec
                                        ; implicit-def: $vgpr3
	s_or_saveexec_b64 s[6:7], s[6:7]
	v_mov_b32_e32 v2, s10
	s_xor_b64 exec, exec, s[6:7]
	s_cbranch_execz .LBB18_1234
.LBB18_3284:
	v_cmp_ne_u16_e32 vcc, 0, v3
	s_andn2_b64 s[4:5], s[4:5], exec
	s_and_b64 s[8:9], vcc, exec
	v_mov_b32_e32 v2, 0
	s_or_b64 s[4:5], s[4:5], s[8:9]
	s_or_b64 exec, exec, s[6:7]
	s_and_saveexec_b64 s[6:7], s[4:5]
	s_cbranch_execnz .LBB18_1235
	s_branch .LBB18_1236
.LBB18_3285:
	s_movk_i32 s4, 0x80
	v_cmp_eq_u16_e32 vcc, s4, v3
	s_mov_b64 s[4:5], -1
                                        ; implicit-def: $sgpr10
	s_and_saveexec_b64 s[8:9], vcc
; %bb.3286:
	s_mov_b32 s10, 0x7f800001
	s_xor_b64 s[4:5], exec, -1
; %bb.3287:
	s_or_b64 exec, exec, s[8:9]
	s_and_b64 s[4:5], s[4:5], exec
                                        ; implicit-def: $vgpr3
	s_or_saveexec_b64 s[6:7], s[6:7]
	v_mov_b32_e32 v6, s10
	s_xor_b64 exec, exec, s[6:7]
	s_cbranch_execz .LBB18_1238
.LBB18_3288:
	v_cmp_ne_u16_e32 vcc, 0, v3
	s_andn2_b64 s[4:5], s[4:5], exec
	s_and_b64 s[8:9], vcc, exec
	v_mov_b32_e32 v6, 0
	s_or_b64 s[4:5], s[4:5], s[8:9]
	s_or_b64 exec, exec, s[6:7]
	s_and_saveexec_b64 s[6:7], s[4:5]
	s_cbranch_execnz .LBB18_1239
	s_branch .LBB18_1240
.LBB18_3289:
	s_movk_i32 s4, 0x80
	v_cmp_eq_u16_sdwa s[12:13], v8, s4 src0_sel:BYTE_3 src1_sel:DWORD
	s_mov_b64 s[4:5], -1
                                        ; implicit-def: $sgpr10
	s_and_saveexec_b64 s[8:9], s[12:13]
; %bb.3290:
	s_mov_b32 s10, 0x7f800001
	s_xor_b64 s[4:5], exec, -1
; %bb.3291:
	s_or_b64 exec, exec, s[8:9]
	s_and_b64 s[4:5], s[4:5], exec
	s_or_saveexec_b64 s[6:7], s[6:7]
	v_mov_b32_e32 v2, s10
	s_xor_b64 exec, exec, s[6:7]
	s_cbranch_execz .LBB18_1242
.LBB18_3292:
	v_mov_b32_e32 v2, 0
	v_cmp_ne_u16_sdwa s[8:9], v8, v2 src0_sel:BYTE_3 src1_sel:DWORD
	s_andn2_b64 s[4:5], s[4:5], exec
	s_and_b64 s[8:9], s[8:9], exec
	s_or_b64 s[4:5], s[4:5], s[8:9]
	s_or_b64 exec, exec, s[6:7]
	s_and_saveexec_b64 s[6:7], s[4:5]
	s_cbranch_execnz .LBB18_1243
	s_branch .LBB18_1244
.LBB18_3293:
	s_movk_i32 s4, 0x80
	v_cmp_eq_u16_sdwa s[12:13], v4, s4 src0_sel:BYTE_3 src1_sel:DWORD
	s_mov_b64 s[4:5], -1
                                        ; implicit-def: $sgpr10
	s_and_saveexec_b64 s[8:9], s[12:13]
; %bb.3294:
	s_mov_b32 s10, 0x7f800001
	s_xor_b64 s[4:5], exec, -1
; %bb.3295:
	s_or_b64 exec, exec, s[8:9]
	s_and_b64 s[4:5], s[4:5], exec
	s_or_saveexec_b64 s[6:7], s[6:7]
	v_mov_b32_e32 v3, s10
	s_xor_b64 exec, exec, s[6:7]
	s_cbranch_execz .LBB18_1246
.LBB18_3296:
	v_mov_b32_e32 v3, 0
	v_cmp_ne_u16_sdwa s[8:9], v4, v3 src0_sel:BYTE_3 src1_sel:DWORD
	s_andn2_b64 s[4:5], s[4:5], exec
	s_and_b64 s[8:9], s[8:9], exec
	s_or_b64 s[4:5], s[4:5], s[8:9]
	s_or_b64 exec, exec, s[6:7]
	s_and_saveexec_b64 s[6:7], s[4:5]
	s_cbranch_execnz .LBB18_1247
	s_branch .LBB18_1248
.LBB18_3297:
	s_movk_i32 s4, 0x80
	v_cmp_eq_u16_sdwa s[12:13], v9, s4 src0_sel:BYTE_0 src1_sel:DWORD
	s_mov_b64 s[4:5], -1
                                        ; implicit-def: $sgpr10
	s_and_saveexec_b64 s[8:9], s[12:13]
; %bb.3298:
	s_mov_b32 s10, 0x7f800001
	s_xor_b64 s[4:5], exec, -1
; %bb.3299:
	s_or_b64 exec, exec, s[8:9]
	s_and_b64 s[4:5], s[4:5], exec
	s_or_saveexec_b64 s[6:7], s[6:7]
	v_mov_b32_e32 v2, s10
	s_xor_b64 exec, exec, s[6:7]
	s_cbranch_execz .LBB18_1250
.LBB18_3300:
	v_mov_b32_e32 v2, 0
	v_cmp_ne_u16_sdwa s[8:9], v9, v2 src0_sel:BYTE_0 src1_sel:DWORD
	s_andn2_b64 s[4:5], s[4:5], exec
	s_and_b64 s[8:9], s[8:9], exec
	s_or_b64 s[4:5], s[4:5], s[8:9]
	s_or_b64 exec, exec, s[6:7]
	s_and_saveexec_b64 s[6:7], s[4:5]
	s_cbranch_execnz .LBB18_1251
	s_branch .LBB18_1252
.LBB18_3301:
	s_movk_i32 s4, 0x80
	v_cmp_eq_u16_sdwa s[12:13], v5, s4 src0_sel:BYTE_0 src1_sel:DWORD
	s_mov_b64 s[4:5], -1
                                        ; implicit-def: $sgpr10
	s_and_saveexec_b64 s[8:9], s[12:13]
; %bb.3302:
	s_mov_b32 s10, 0x7f800001
	s_xor_b64 s[4:5], exec, -1
; %bb.3303:
	s_or_b64 exec, exec, s[8:9]
	s_and_b64 s[4:5], s[4:5], exec
	s_or_saveexec_b64 s[6:7], s[6:7]
	v_mov_b32_e32 v3, s10
	s_xor_b64 exec, exec, s[6:7]
	s_cbranch_execz .LBB18_1254
.LBB18_3304:
	v_mov_b32_e32 v3, 0
	v_cmp_ne_u16_sdwa s[8:9], v5, v3 src0_sel:BYTE_0 src1_sel:DWORD
	s_andn2_b64 s[4:5], s[4:5], exec
	s_and_b64 s[8:9], s[8:9], exec
	s_or_b64 s[4:5], s[4:5], s[8:9]
	s_or_b64 exec, exec, s[6:7]
	s_and_saveexec_b64 s[6:7], s[4:5]
	s_cbranch_execnz .LBB18_1255
	s_branch .LBB18_1256
.LBB18_3305:
	s_movk_i32 s4, 0x80
	v_cmp_eq_u16_sdwa s[12:13], v3, s4 src0_sel:BYTE_0 src1_sel:DWORD
	s_mov_b64 s[4:5], -1
                                        ; implicit-def: $sgpr10
	s_and_saveexec_b64 s[8:9], s[12:13]
; %bb.3306:
	s_mov_b32 s10, 0x7f800001
	s_xor_b64 s[4:5], exec, -1
; %bb.3307:
	s_or_b64 exec, exec, s[8:9]
	s_and_b64 s[4:5], s[4:5], exec
	s_or_saveexec_b64 s[6:7], s[6:7]
	v_mov_b32_e32 v2, s10
	s_xor_b64 exec, exec, s[6:7]
	s_cbranch_execz .LBB18_1258
.LBB18_3308:
	v_mov_b32_e32 v2, 0
	v_cmp_ne_u16_sdwa s[8:9], v3, v2 src0_sel:BYTE_0 src1_sel:DWORD
	s_andn2_b64 s[4:5], s[4:5], exec
	s_and_b64 s[8:9], s[8:9], exec
	s_or_b64 s[4:5], s[4:5], s[8:9]
	s_or_b64 exec, exec, s[6:7]
	s_and_saveexec_b64 s[6:7], s[4:5]
	s_cbranch_execnz .LBB18_1259
	s_branch .LBB18_1260
.LBB18_3309:
	s_movk_i32 s4, 0x80
	v_cmp_eq_u16_sdwa s[12:13], v3, s4 src0_sel:BYTE_0 src1_sel:DWORD
	s_mov_b64 s[4:5], -1
                                        ; implicit-def: $sgpr10
	s_and_saveexec_b64 s[8:9], s[12:13]
; %bb.3310:
	s_mov_b32 s10, 0x7f800001
	s_xor_b64 s[4:5], exec, -1
; %bb.3311:
	s_or_b64 exec, exec, s[8:9]
	s_and_b64 s[4:5], s[4:5], exec
	s_or_saveexec_b64 s[6:7], s[6:7]
	v_mov_b32_e32 v4, s10
	s_xor_b64 exec, exec, s[6:7]
	s_cbranch_execz .LBB18_1262
.LBB18_3312:
	v_mov_b32_e32 v4, 0
	v_cmp_ne_u16_sdwa s[8:9], v3, v4 src0_sel:BYTE_0 src1_sel:DWORD
	s_andn2_b64 s[4:5], s[4:5], exec
	s_and_b64 s[8:9], s[8:9], exec
	s_or_b64 s[4:5], s[4:5], s[8:9]
	s_or_b64 exec, exec, s[6:7]
	s_and_saveexec_b64 s[6:7], s[4:5]
	s_cbranch_execnz .LBB18_1263
	s_branch .LBB18_1264
.LBB18_3313:
	s_movk_i32 s4, 0x80
	v_cmp_eq_u16_e32 vcc, s4, v3
	s_mov_b64 s[4:5], -1
                                        ; implicit-def: $sgpr10
	s_and_saveexec_b64 s[8:9], vcc
; %bb.3314:
	s_mov_b32 s10, 0x7f800001
	s_xor_b64 s[4:5], exec, -1
; %bb.3315:
	s_or_b64 exec, exec, s[8:9]
	s_and_b64 s[4:5], s[4:5], exec
                                        ; implicit-def: $vgpr3
	s_or_saveexec_b64 s[6:7], s[6:7]
	v_mov_b32_e32 v2, s10
	s_xor_b64 exec, exec, s[6:7]
	s_cbranch_execz .LBB18_1266
.LBB18_3316:
	v_cmp_ne_u16_e32 vcc, 0, v3
	s_andn2_b64 s[4:5], s[4:5], exec
	s_and_b64 s[8:9], vcc, exec
	v_mov_b32_e32 v2, 0
	s_or_b64 s[4:5], s[4:5], s[8:9]
	s_or_b64 exec, exec, s[6:7]
	s_and_saveexec_b64 s[6:7], s[4:5]
	s_cbranch_execnz .LBB18_1267
	s_branch .LBB18_1268
.LBB18_3317:
	s_movk_i32 s4, 0x80
	v_cmp_eq_u16_e32 vcc, s4, v3
	s_mov_b64 s[4:5], -1
                                        ; implicit-def: $sgpr10
	s_and_saveexec_b64 s[8:9], vcc
; %bb.3318:
	s_mov_b32 s10, 0x7f800001
	s_xor_b64 s[4:5], exec, -1
; %bb.3319:
	s_or_b64 exec, exec, s[8:9]
	s_and_b64 s[4:5], s[4:5], exec
                                        ; implicit-def: $vgpr3
	s_or_saveexec_b64 s[6:7], s[6:7]
	v_mov_b32_e32 v4, s10
	s_xor_b64 exec, exec, s[6:7]
	s_cbranch_execz .LBB18_1270
.LBB18_3320:
	v_cmp_ne_u16_e32 vcc, 0, v3
	s_andn2_b64 s[4:5], s[4:5], exec
	s_and_b64 s[8:9], vcc, exec
	v_mov_b32_e32 v4, 0
	s_or_b64 s[4:5], s[4:5], s[8:9]
	s_or_b64 exec, exec, s[6:7]
	s_and_saveexec_b64 s[6:7], s[4:5]
	s_cbranch_execnz .LBB18_1271
	s_branch .LBB18_1272
.LBB18_3321:
	s_movk_i32 s4, 0x80
	v_cmp_eq_u16_sdwa s[12:13], v9, s4 src0_sel:BYTE_3 src1_sel:DWORD
	s_mov_b64 s[4:5], -1
                                        ; implicit-def: $sgpr10
	s_and_saveexec_b64 s[8:9], s[12:13]
; %bb.3322:
	s_mov_b32 s10, 0x7f800001
	s_xor_b64 s[4:5], exec, -1
; %bb.3323:
	s_or_b64 exec, exec, s[8:9]
	s_and_b64 s[4:5], s[4:5], exec
	s_or_saveexec_b64 s[6:7], s[6:7]
	v_mov_b32_e32 v2, s10
	s_xor_b64 exec, exec, s[6:7]
	s_cbranch_execz .LBB18_1274
.LBB18_3324:
	v_mov_b32_e32 v2, 0
	v_cmp_ne_u16_sdwa s[8:9], v9, v2 src0_sel:BYTE_3 src1_sel:DWORD
	s_andn2_b64 s[4:5], s[4:5], exec
	s_and_b64 s[8:9], s[8:9], exec
	s_or_b64 s[4:5], s[4:5], s[8:9]
	s_or_b64 exec, exec, s[6:7]
	s_and_saveexec_b64 s[6:7], s[4:5]
	s_cbranch_execnz .LBB18_1275
	s_branch .LBB18_1276
.LBB18_3325:
	s_movk_i32 s4, 0x80
	v_cmp_eq_u16_sdwa s[12:13], v5, s4 src0_sel:BYTE_3 src1_sel:DWORD
	s_mov_b64 s[4:5], -1
                                        ; implicit-def: $sgpr10
	s_and_saveexec_b64 s[8:9], s[12:13]
; %bb.3326:
	s_mov_b32 s10, 0x7f800001
	s_xor_b64 s[4:5], exec, -1
; %bb.3327:
	s_or_b64 exec, exec, s[8:9]
	s_and_b64 s[4:5], s[4:5], exec
	s_or_saveexec_b64 s[6:7], s[6:7]
	v_mov_b32_e32 v3, s10
	s_xor_b64 exec, exec, s[6:7]
	s_cbranch_execz .LBB18_1278
.LBB18_3328:
	v_mov_b32_e32 v3, 0
	v_cmp_ne_u16_sdwa s[8:9], v5, v3 src0_sel:BYTE_3 src1_sel:DWORD
	s_andn2_b64 s[4:5], s[4:5], exec
	s_and_b64 s[8:9], s[8:9], exec
	s_or_b64 s[4:5], s[4:5], s[8:9]
	s_or_b64 exec, exec, s[6:7]
	s_and_saveexec_b64 s[6:7], s[4:5]
	s_cbranch_execnz .LBB18_1279
	s_branch .LBB18_1280
.LBB18_3329:
	s_movk_i32 s4, 0x80
	v_cmp_eq_u16_sdwa s[12:13], v14, s4 src0_sel:BYTE_0 src1_sel:DWORD
	s_mov_b64 s[4:5], -1
                                        ; implicit-def: $sgpr10
	s_and_saveexec_b64 s[8:9], s[12:13]
; %bb.3330:
	s_mov_b32 s10, 0x7f800001
	s_xor_b64 s[4:5], exec, -1
; %bb.3331:
	s_or_b64 exec, exec, s[8:9]
	s_and_b64 s[4:5], s[4:5], exec
	s_or_saveexec_b64 s[6:7], s[6:7]
	v_mov_b32_e32 v20, s10
	s_xor_b64 exec, exec, s[6:7]
	s_cbranch_execz .LBB18_1282
.LBB18_3332:
	v_mov_b32_e32 v20, 0
	v_cmp_ne_u16_sdwa s[8:9], v14, v20 src0_sel:BYTE_0 src1_sel:DWORD
	s_andn2_b64 s[4:5], s[4:5], exec
	s_and_b64 s[8:9], s[8:9], exec
	s_or_b64 s[4:5], s[4:5], s[8:9]
	s_or_b64 exec, exec, s[6:7]
	s_and_saveexec_b64 s[6:7], s[4:5]
	s_cbranch_execnz .LBB18_1283
	s_branch .LBB18_1284
.LBB18_3333:
	s_movk_i32 s4, 0x80
	v_cmp_eq_u16_sdwa s[12:13], v10, s4 src0_sel:BYTE_0 src1_sel:DWORD
	s_mov_b64 s[4:5], -1
                                        ; implicit-def: $sgpr10
	s_and_saveexec_b64 s[8:9], s[12:13]
; %bb.3334:
	s_mov_b32 s10, 0x7f800001
	s_xor_b64 s[4:5], exec, -1
; %bb.3335:
	s_or_b64 exec, exec, s[8:9]
	s_and_b64 s[4:5], s[4:5], exec
	s_or_saveexec_b64 s[6:7], s[6:7]
	v_mov_b32_e32 v21, s10
	s_xor_b64 exec, exec, s[6:7]
	s_cbranch_execz .LBB18_1286
.LBB18_3336:
	v_mov_b32_e32 v21, 0
	v_cmp_ne_u16_sdwa s[8:9], v10, v21 src0_sel:BYTE_0 src1_sel:DWORD
	s_andn2_b64 s[4:5], s[4:5], exec
	s_and_b64 s[8:9], s[8:9], exec
	s_or_b64 s[4:5], s[4:5], s[8:9]
	s_or_b64 exec, exec, s[6:7]
	s_and_saveexec_b64 s[6:7], s[4:5]
	s_cbranch_execnz .LBB18_1287
	s_branch .LBB18_1288
.LBB18_3337:
	s_movk_i32 s4, 0x80
	v_cmp_eq_u16_sdwa s[12:13], v21, s4 src0_sel:BYTE_0 src1_sel:DWORD
	s_mov_b64 s[4:5], -1
                                        ; implicit-def: $sgpr10
	s_and_saveexec_b64 s[8:9], s[12:13]
; %bb.3338:
	s_mov_b32 s10, 0x7f800001
	s_xor_b64 s[4:5], exec, -1
; %bb.3339:
	s_or_b64 exec, exec, s[8:9]
	s_and_b64 s[4:5], s[4:5], exec
	s_or_saveexec_b64 s[6:7], s[6:7]
	v_mov_b32_e32 v20, s10
	s_xor_b64 exec, exec, s[6:7]
	s_cbranch_execz .LBB18_1290
.LBB18_3340:
	v_mov_b32_e32 v20, 0
	v_cmp_ne_u16_sdwa s[8:9], v21, v20 src0_sel:BYTE_0 src1_sel:DWORD
	s_andn2_b64 s[4:5], s[4:5], exec
	s_and_b64 s[8:9], s[8:9], exec
	s_or_b64 s[4:5], s[4:5], s[8:9]
	s_or_b64 exec, exec, s[6:7]
	s_and_saveexec_b64 s[6:7], s[4:5]
	s_cbranch_execnz .LBB18_1291
	s_branch .LBB18_1292
.LBB18_3341:
	s_movk_i32 s4, 0x80
	v_cmp_eq_u16_sdwa s[12:13], v21, s4 src0_sel:BYTE_0 src1_sel:DWORD
	s_mov_b64 s[4:5], -1
                                        ; implicit-def: $sgpr10
	s_and_saveexec_b64 s[8:9], s[12:13]
; %bb.3342:
	s_mov_b32 s10, 0x7f800001
	s_xor_b64 s[4:5], exec, -1
; %bb.3343:
	s_or_b64 exec, exec, s[8:9]
	s_and_b64 s[4:5], s[4:5], exec
	s_or_saveexec_b64 s[6:7], s[6:7]
	v_mov_b32_e32 v22, s10
	s_xor_b64 exec, exec, s[6:7]
	s_cbranch_execz .LBB18_1294
.LBB18_3344:
	v_mov_b32_e32 v22, 0
	v_cmp_ne_u16_sdwa s[8:9], v21, v22 src0_sel:BYTE_0 src1_sel:DWORD
	s_andn2_b64 s[4:5], s[4:5], exec
	s_and_b64 s[8:9], s[8:9], exec
	s_or_b64 s[4:5], s[4:5], s[8:9]
	s_or_b64 exec, exec, s[6:7]
	s_and_saveexec_b64 s[6:7], s[4:5]
	s_cbranch_execnz .LBB18_1295
	s_branch .LBB18_1296
.LBB18_3345:
	s_movk_i32 s4, 0x80
	v_cmp_eq_u16_e32 vcc, s4, v21
	s_mov_b64 s[4:5], -1
                                        ; implicit-def: $sgpr10
	s_and_saveexec_b64 s[8:9], vcc
; %bb.3346:
	s_mov_b32 s10, 0x7f800001
	s_xor_b64 s[4:5], exec, -1
; %bb.3347:
	s_or_b64 exec, exec, s[8:9]
	s_and_b64 s[4:5], s[4:5], exec
                                        ; implicit-def: $vgpr21
	s_or_saveexec_b64 s[6:7], s[6:7]
	v_mov_b32_e32 v20, s10
	s_xor_b64 exec, exec, s[6:7]
	s_cbranch_execz .LBB18_1298
.LBB18_3348:
	v_cmp_ne_u16_e32 vcc, 0, v21
	s_andn2_b64 s[4:5], s[4:5], exec
	s_and_b64 s[8:9], vcc, exec
	v_mov_b32_e32 v20, 0
	s_or_b64 s[4:5], s[4:5], s[8:9]
	s_or_b64 exec, exec, s[6:7]
	s_and_saveexec_b64 s[6:7], s[4:5]
	s_cbranch_execnz .LBB18_1299
	s_branch .LBB18_1300
.LBB18_3349:
	s_movk_i32 s4, 0x80
	v_cmp_eq_u16_e32 vcc, s4, v21
	s_mov_b64 s[4:5], -1
                                        ; implicit-def: $sgpr10
	s_and_saveexec_b64 s[8:9], vcc
; %bb.3350:
	s_mov_b32 s10, 0x7f800001
	s_xor_b64 s[4:5], exec, -1
; %bb.3351:
	s_or_b64 exec, exec, s[8:9]
	s_and_b64 s[4:5], s[4:5], exec
                                        ; implicit-def: $vgpr21
	s_or_saveexec_b64 s[6:7], s[6:7]
	v_mov_b32_e32 v22, s10
	s_xor_b64 exec, exec, s[6:7]
	s_cbranch_execz .LBB18_1302
.LBB18_3352:
	v_cmp_ne_u16_e32 vcc, 0, v21
	s_andn2_b64 s[4:5], s[4:5], exec
	s_and_b64 s[8:9], vcc, exec
	v_mov_b32_e32 v22, 0
	s_or_b64 s[4:5], s[4:5], s[8:9]
	s_or_b64 exec, exec, s[6:7]
	s_and_saveexec_b64 s[6:7], s[4:5]
	s_cbranch_execnz .LBB18_1303
	s_branch .LBB18_1304
.LBB18_3353:
	s_movk_i32 s4, 0x80
	v_cmp_eq_u16_sdwa s[12:13], v14, s4 src0_sel:BYTE_3 src1_sel:DWORD
	s_mov_b64 s[4:5], -1
                                        ; implicit-def: $sgpr10
	s_and_saveexec_b64 s[8:9], s[12:13]
; %bb.3354:
	s_mov_b32 s10, 0x7f800001
	s_xor_b64 s[4:5], exec, -1
; %bb.3355:
	s_or_b64 exec, exec, s[8:9]
	s_and_b64 s[4:5], s[4:5], exec
	s_or_saveexec_b64 s[6:7], s[6:7]
	v_mov_b32_e32 v20, s10
	s_xor_b64 exec, exec, s[6:7]
	s_cbranch_execz .LBB18_1306
.LBB18_3356:
	v_mov_b32_e32 v20, 0
	v_cmp_ne_u16_sdwa s[8:9], v14, v20 src0_sel:BYTE_3 src1_sel:DWORD
	s_andn2_b64 s[4:5], s[4:5], exec
	s_and_b64 s[8:9], s[8:9], exec
	s_or_b64 s[4:5], s[4:5], s[8:9]
	s_or_b64 exec, exec, s[6:7]
	s_and_saveexec_b64 s[6:7], s[4:5]
	s_cbranch_execnz .LBB18_1307
	s_branch .LBB18_1308
.LBB18_3357:
	s_movk_i32 s4, 0x80
	v_cmp_eq_u16_sdwa s[12:13], v10, s4 src0_sel:BYTE_3 src1_sel:DWORD
	s_mov_b64 s[4:5], -1
                                        ; implicit-def: $sgpr10
	s_and_saveexec_b64 s[8:9], s[12:13]
; %bb.3358:
	s_mov_b32 s10, 0x7f800001
	s_xor_b64 s[4:5], exec, -1
; %bb.3359:
	s_or_b64 exec, exec, s[8:9]
	s_and_b64 s[4:5], s[4:5], exec
	s_or_saveexec_b64 s[6:7], s[6:7]
	v_mov_b32_e32 v14, s10
	s_xor_b64 exec, exec, s[6:7]
	s_cbranch_execz .LBB18_1310
.LBB18_3360:
	v_mov_b32_e32 v14, 0
	v_cmp_ne_u16_sdwa s[8:9], v10, v14 src0_sel:BYTE_3 src1_sel:DWORD
	s_andn2_b64 s[4:5], s[4:5], exec
	s_and_b64 s[8:9], s[8:9], exec
	s_or_b64 s[4:5], s[4:5], s[8:9]
	s_or_b64 exec, exec, s[6:7]
	s_and_saveexec_b64 s[6:7], s[4:5]
	s_cbranch_execnz .LBB18_1311
	s_branch .LBB18_1312
.LBB18_3361:
	s_movk_i32 s4, 0x80
	v_cmp_eq_u16_sdwa s[12:13], v15, s4 src0_sel:BYTE_0 src1_sel:DWORD
	s_mov_b64 s[4:5], -1
                                        ; implicit-def: $sgpr10
	s_and_saveexec_b64 s[8:9], s[12:13]
; %bb.3362:
	s_mov_b32 s10, 0x7f800001
	s_xor_b64 s[4:5], exec, -1
; %bb.3363:
	s_or_b64 exec, exec, s[8:9]
	s_and_b64 s[4:5], s[4:5], exec
	s_or_saveexec_b64 s[6:7], s[6:7]
	v_mov_b32_e32 v10, s10
	s_xor_b64 exec, exec, s[6:7]
	s_cbranch_execz .LBB18_1314
.LBB18_3364:
	v_mov_b32_e32 v10, 0
	v_cmp_ne_u16_sdwa s[8:9], v15, v10 src0_sel:BYTE_0 src1_sel:DWORD
	s_andn2_b64 s[4:5], s[4:5], exec
	s_and_b64 s[8:9], s[8:9], exec
	s_or_b64 s[4:5], s[4:5], s[8:9]
	s_or_b64 exec, exec, s[6:7]
	s_and_saveexec_b64 s[6:7], s[4:5]
	s_cbranch_execnz .LBB18_1315
	s_branch .LBB18_1316
.LBB18_3365:
	s_movk_i32 s4, 0x80
	v_cmp_eq_u16_sdwa s[12:13], v11, s4 src0_sel:BYTE_0 src1_sel:DWORD
	s_mov_b64 s[4:5], -1
                                        ; implicit-def: $sgpr10
	s_and_saveexec_b64 s[8:9], s[12:13]
; %bb.3366:
	s_mov_b32 s10, 0x7f800001
	s_xor_b64 s[4:5], exec, -1
; %bb.3367:
	s_or_b64 exec, exec, s[8:9]
	s_and_b64 s[4:5], s[4:5], exec
	s_or_saveexec_b64 s[6:7], s[6:7]
	v_mov_b32_e32 v14, s10
	s_xor_b64 exec, exec, s[6:7]
	s_cbranch_execz .LBB18_1318
.LBB18_3368:
	v_mov_b32_e32 v14, 0
	v_cmp_ne_u16_sdwa s[8:9], v11, v14 src0_sel:BYTE_0 src1_sel:DWORD
	s_andn2_b64 s[4:5], s[4:5], exec
	s_and_b64 s[8:9], s[8:9], exec
	s_or_b64 s[4:5], s[4:5], s[8:9]
	s_or_b64 exec, exec, s[6:7]
	s_and_saveexec_b64 s[6:7], s[4:5]
	s_cbranch_execnz .LBB18_1319
	s_branch .LBB18_1320
.LBB18_3369:
	s_movk_i32 s4, 0x80
	v_cmp_eq_u16_sdwa s[12:13], v14, s4 src0_sel:BYTE_0 src1_sel:DWORD
	s_mov_b64 s[4:5], -1
                                        ; implicit-def: $sgpr10
	s_and_saveexec_b64 s[8:9], s[12:13]
; %bb.3370:
	s_mov_b32 s10, 0x7f800001
	s_xor_b64 s[4:5], exec, -1
; %bb.3371:
	s_or_b64 exec, exec, s[8:9]
	s_and_b64 s[4:5], s[4:5], exec
	s_or_saveexec_b64 s[6:7], s[6:7]
	v_mov_b32_e32 v10, s10
	s_xor_b64 exec, exec, s[6:7]
	s_cbranch_execz .LBB18_1322
.LBB18_3372:
	v_mov_b32_e32 v10, 0
	v_cmp_ne_u16_sdwa s[8:9], v14, v10 src0_sel:BYTE_0 src1_sel:DWORD
	s_andn2_b64 s[4:5], s[4:5], exec
	s_and_b64 s[8:9], s[8:9], exec
	s_or_b64 s[4:5], s[4:5], s[8:9]
	s_or_b64 exec, exec, s[6:7]
	s_and_saveexec_b64 s[6:7], s[4:5]
	s_cbranch_execnz .LBB18_1323
	s_branch .LBB18_1324
.LBB18_3373:
	s_movk_i32 s4, 0x80
	v_cmp_eq_u16_sdwa s[12:13], v14, s4 src0_sel:BYTE_0 src1_sel:DWORD
	s_mov_b64 s[4:5], -1
                                        ; implicit-def: $sgpr10
	s_and_saveexec_b64 s[8:9], s[12:13]
; %bb.3374:
	s_mov_b32 s10, 0x7f800001
	s_xor_b64 s[4:5], exec, -1
; %bb.3375:
	s_or_b64 exec, exec, s[8:9]
	s_and_b64 s[4:5], s[4:5], exec
	s_or_saveexec_b64 s[6:7], s[6:7]
	v_mov_b32_e32 v20, s10
	s_xor_b64 exec, exec, s[6:7]
	s_cbranch_execz .LBB18_1326
.LBB18_3376:
	v_mov_b32_e32 v20, 0
	v_cmp_ne_u16_sdwa s[8:9], v14, v20 src0_sel:BYTE_0 src1_sel:DWORD
	s_andn2_b64 s[4:5], s[4:5], exec
	s_and_b64 s[8:9], s[8:9], exec
	s_or_b64 s[4:5], s[4:5], s[8:9]
	s_or_b64 exec, exec, s[6:7]
	s_and_saveexec_b64 s[6:7], s[4:5]
	s_cbranch_execnz .LBB18_1327
	s_branch .LBB18_1328
.LBB18_3377:
	s_movk_i32 s4, 0x80
	v_cmp_eq_u16_e32 vcc, s4, v14
	s_mov_b64 s[4:5], -1
                                        ; implicit-def: $sgpr10
	s_and_saveexec_b64 s[8:9], vcc
; %bb.3378:
	s_mov_b32 s10, 0x7f800001
	s_xor_b64 s[4:5], exec, -1
; %bb.3379:
	s_or_b64 exec, exec, s[8:9]
	s_and_b64 s[4:5], s[4:5], exec
                                        ; implicit-def: $vgpr14
	s_or_saveexec_b64 s[6:7], s[6:7]
	v_mov_b32_e32 v10, s10
	s_xor_b64 exec, exec, s[6:7]
	s_cbranch_execz .LBB18_1330
.LBB18_3380:
	v_cmp_ne_u16_e32 vcc, 0, v14
	s_andn2_b64 s[4:5], s[4:5], exec
	s_and_b64 s[8:9], vcc, exec
	v_mov_b32_e32 v10, 0
	s_or_b64 s[4:5], s[4:5], s[8:9]
	s_or_b64 exec, exec, s[6:7]
	s_and_saveexec_b64 s[6:7], s[4:5]
	s_cbranch_execnz .LBB18_1331
	s_branch .LBB18_1332
.LBB18_3381:
	s_movk_i32 s4, 0x80
	v_cmp_eq_u16_e32 vcc, s4, v14
	s_mov_b64 s[4:5], -1
                                        ; implicit-def: $sgpr10
	s_and_saveexec_b64 s[8:9], vcc
; %bb.3382:
	s_mov_b32 s10, 0x7f800001
	s_xor_b64 s[4:5], exec, -1
; %bb.3383:
	s_or_b64 exec, exec, s[8:9]
	s_and_b64 s[4:5], s[4:5], exec
                                        ; implicit-def: $vgpr14
	s_or_saveexec_b64 s[6:7], s[6:7]
	v_mov_b32_e32 v20, s10
	s_xor_b64 exec, exec, s[6:7]
	s_cbranch_execz .LBB18_1334
.LBB18_3384:
	v_cmp_ne_u16_e32 vcc, 0, v14
	s_andn2_b64 s[4:5], s[4:5], exec
	s_and_b64 s[8:9], vcc, exec
	v_mov_b32_e32 v20, 0
	s_or_b64 s[4:5], s[4:5], s[8:9]
	s_or_b64 exec, exec, s[6:7]
	s_and_saveexec_b64 s[6:7], s[4:5]
	s_cbranch_execnz .LBB18_1335
	s_branch .LBB18_1336
.LBB18_3385:
	s_movk_i32 s4, 0x80
	v_cmp_eq_u16_sdwa s[12:13], v15, s4 src0_sel:BYTE_3 src1_sel:DWORD
	s_mov_b64 s[4:5], -1
                                        ; implicit-def: $sgpr10
	s_and_saveexec_b64 s[8:9], s[12:13]
; %bb.3386:
	s_mov_b32 s10, 0x7f800001
	s_xor_b64 s[4:5], exec, -1
; %bb.3387:
	s_or_b64 exec, exec, s[8:9]
	s_and_b64 s[4:5], s[4:5], exec
	s_or_saveexec_b64 s[6:7], s[6:7]
	v_mov_b32_e32 v10, s10
	s_xor_b64 exec, exec, s[6:7]
	s_cbranch_execz .LBB18_1338
.LBB18_3388:
	v_mov_b32_e32 v10, 0
	v_cmp_ne_u16_sdwa s[8:9], v15, v10 src0_sel:BYTE_3 src1_sel:DWORD
	s_andn2_b64 s[4:5], s[4:5], exec
	s_and_b64 s[8:9], s[8:9], exec
	s_or_b64 s[4:5], s[4:5], s[8:9]
	s_or_b64 exec, exec, s[6:7]
	s_and_saveexec_b64 s[6:7], s[4:5]
	s_cbranch_execnz .LBB18_1339
	s_branch .LBB18_1340
.LBB18_3389:
	s_movk_i32 s4, 0x80
	v_cmp_eq_u16_sdwa s[12:13], v11, s4 src0_sel:BYTE_3 src1_sel:DWORD
	s_mov_b64 s[4:5], -1
                                        ; implicit-def: $sgpr10
	s_and_saveexec_b64 s[8:9], s[12:13]
; %bb.3390:
	s_mov_b32 s10, 0x7f800001
	s_xor_b64 s[4:5], exec, -1
; %bb.3391:
	s_or_b64 exec, exec, s[8:9]
	s_and_b64 s[4:5], s[4:5], exec
	s_or_saveexec_b64 s[6:7], s[6:7]
	v_mov_b32_e32 v14, s10
	s_xor_b64 exec, exec, s[6:7]
	s_cbranch_execz .LBB18_1342
.LBB18_3392:
	v_mov_b32_e32 v14, 0
	v_cmp_ne_u16_sdwa s[8:9], v11, v14 src0_sel:BYTE_3 src1_sel:DWORD
	s_andn2_b64 s[4:5], s[4:5], exec
	s_and_b64 s[8:9], s[8:9], exec
	s_or_b64 s[4:5], s[4:5], s[8:9]
	s_or_b64 exec, exec, s[6:7]
	s_and_saveexec_b64 s[6:7], s[4:5]
	s_cbranch_execnz .LBB18_1343
	s_branch .LBB18_1344
.LBB18_3393:
	s_movk_i32 s4, 0x80
	v_cmp_eq_u16_sdwa s[12:13], v16, s4 src0_sel:BYTE_0 src1_sel:DWORD
	s_mov_b64 s[4:5], -1
                                        ; implicit-def: $sgpr10
	s_and_saveexec_b64 s[8:9], s[12:13]
; %bb.3394:
	s_mov_b32 s10, 0x7f800001
	s_xor_b64 s[4:5], exec, -1
; %bb.3395:
	s_or_b64 exec, exec, s[8:9]
	s_and_b64 s[4:5], s[4:5], exec
	s_or_saveexec_b64 s[6:7], s[6:7]
	v_mov_b32_e32 v10, s10
	s_xor_b64 exec, exec, s[6:7]
	s_cbranch_execz .LBB18_1346
.LBB18_3396:
	v_mov_b32_e32 v10, 0
	v_cmp_ne_u16_sdwa s[8:9], v16, v10 src0_sel:BYTE_0 src1_sel:DWORD
	s_andn2_b64 s[4:5], s[4:5], exec
	s_and_b64 s[8:9], s[8:9], exec
	s_or_b64 s[4:5], s[4:5], s[8:9]
	s_or_b64 exec, exec, s[6:7]
	s_and_saveexec_b64 s[6:7], s[4:5]
	s_cbranch_execnz .LBB18_1347
	s_branch .LBB18_1348
.LBB18_3397:
	s_movk_i32 s4, 0x80
	v_cmp_eq_u16_sdwa s[12:13], v12, s4 src0_sel:BYTE_0 src1_sel:DWORD
	s_mov_b64 s[4:5], -1
                                        ; implicit-def: $sgpr10
	s_and_saveexec_b64 s[8:9], s[12:13]
; %bb.3398:
	s_mov_b32 s10, 0x7f800001
	s_xor_b64 s[4:5], exec, -1
; %bb.3399:
	s_or_b64 exec, exec, s[8:9]
	s_and_b64 s[4:5], s[4:5], exec
	s_or_saveexec_b64 s[6:7], s[6:7]
	v_mov_b32_e32 v11, s10
	s_xor_b64 exec, exec, s[6:7]
	s_cbranch_execz .LBB18_1350
.LBB18_3400:
	v_mov_b32_e32 v11, 0
	v_cmp_ne_u16_sdwa s[8:9], v12, v11 src0_sel:BYTE_0 src1_sel:DWORD
	s_andn2_b64 s[4:5], s[4:5], exec
	s_and_b64 s[8:9], s[8:9], exec
	s_or_b64 s[4:5], s[4:5], s[8:9]
	s_or_b64 exec, exec, s[6:7]
	s_and_saveexec_b64 s[6:7], s[4:5]
	s_cbranch_execnz .LBB18_1351
	s_branch .LBB18_1352
.LBB18_3401:
	s_movk_i32 s4, 0x80
	v_cmp_eq_u16_sdwa s[12:13], v11, s4 src0_sel:BYTE_0 src1_sel:DWORD
	s_mov_b64 s[4:5], -1
                                        ; implicit-def: $sgpr10
	s_and_saveexec_b64 s[8:9], s[12:13]
; %bb.3402:
	s_mov_b32 s10, 0x7f800001
	s_xor_b64 s[4:5], exec, -1
; %bb.3403:
	s_or_b64 exec, exec, s[8:9]
	s_and_b64 s[4:5], s[4:5], exec
	s_or_saveexec_b64 s[6:7], s[6:7]
	v_mov_b32_e32 v10, s10
	s_xor_b64 exec, exec, s[6:7]
	s_cbranch_execz .LBB18_1354
.LBB18_3404:
	v_mov_b32_e32 v10, 0
	v_cmp_ne_u16_sdwa s[8:9], v11, v10 src0_sel:BYTE_0 src1_sel:DWORD
	s_andn2_b64 s[4:5], s[4:5], exec
	s_and_b64 s[8:9], s[8:9], exec
	s_or_b64 s[4:5], s[4:5], s[8:9]
	s_or_b64 exec, exec, s[6:7]
	s_and_saveexec_b64 s[6:7], s[4:5]
	s_cbranch_execnz .LBB18_1355
	s_branch .LBB18_1356
.LBB18_3405:
	s_movk_i32 s4, 0x80
	v_cmp_eq_u16_sdwa s[12:13], v11, s4 src0_sel:BYTE_0 src1_sel:DWORD
	s_mov_b64 s[4:5], -1
                                        ; implicit-def: $sgpr10
	s_and_saveexec_b64 s[8:9], s[12:13]
; %bb.3406:
	s_mov_b32 s10, 0x7f800001
	s_xor_b64 s[4:5], exec, -1
; %bb.3407:
	s_or_b64 exec, exec, s[8:9]
	s_and_b64 s[4:5], s[4:5], exec
	s_or_saveexec_b64 s[6:7], s[6:7]
	v_mov_b32_e32 v14, s10
	s_xor_b64 exec, exec, s[6:7]
	s_cbranch_execz .LBB18_1358
.LBB18_3408:
	v_mov_b32_e32 v14, 0
	v_cmp_ne_u16_sdwa s[8:9], v11, v14 src0_sel:BYTE_0 src1_sel:DWORD
	s_andn2_b64 s[4:5], s[4:5], exec
	s_and_b64 s[8:9], s[8:9], exec
	s_or_b64 s[4:5], s[4:5], s[8:9]
	s_or_b64 exec, exec, s[6:7]
	s_and_saveexec_b64 s[6:7], s[4:5]
	s_cbranch_execnz .LBB18_1359
	s_branch .LBB18_1360
.LBB18_3409:
	s_movk_i32 s4, 0x80
	v_cmp_eq_u16_e32 vcc, s4, v11
	s_mov_b64 s[4:5], -1
                                        ; implicit-def: $sgpr10
	s_and_saveexec_b64 s[8:9], vcc
; %bb.3410:
	s_mov_b32 s10, 0x7f800001
	s_xor_b64 s[4:5], exec, -1
; %bb.3411:
	s_or_b64 exec, exec, s[8:9]
	s_and_b64 s[4:5], s[4:5], exec
                                        ; implicit-def: $vgpr11
	s_or_saveexec_b64 s[6:7], s[6:7]
	v_mov_b32_e32 v10, s10
	s_xor_b64 exec, exec, s[6:7]
	s_cbranch_execz .LBB18_1362
.LBB18_3412:
	v_cmp_ne_u16_e32 vcc, 0, v11
	s_andn2_b64 s[4:5], s[4:5], exec
	s_and_b64 s[8:9], vcc, exec
	v_mov_b32_e32 v10, 0
	s_or_b64 s[4:5], s[4:5], s[8:9]
	s_or_b64 exec, exec, s[6:7]
	s_and_saveexec_b64 s[6:7], s[4:5]
	s_cbranch_execnz .LBB18_1363
	s_branch .LBB18_1364
.LBB18_3413:
	s_movk_i32 s4, 0x80
	v_cmp_eq_u16_e32 vcc, s4, v11
	s_mov_b64 s[4:5], -1
                                        ; implicit-def: $sgpr10
	s_and_saveexec_b64 s[8:9], vcc
; %bb.3414:
	s_mov_b32 s10, 0x7f800001
	s_xor_b64 s[4:5], exec, -1
; %bb.3415:
	s_or_b64 exec, exec, s[8:9]
	s_and_b64 s[4:5], s[4:5], exec
                                        ; implicit-def: $vgpr11
	s_or_saveexec_b64 s[6:7], s[6:7]
	v_mov_b32_e32 v14, s10
	s_xor_b64 exec, exec, s[6:7]
	s_cbranch_execz .LBB18_1366
.LBB18_3416:
	v_cmp_ne_u16_e32 vcc, 0, v11
	s_andn2_b64 s[4:5], s[4:5], exec
	s_and_b64 s[8:9], vcc, exec
	v_mov_b32_e32 v14, 0
	s_or_b64 s[4:5], s[4:5], s[8:9]
	s_or_b64 exec, exec, s[6:7]
	s_and_saveexec_b64 s[6:7], s[4:5]
	s_cbranch_execnz .LBB18_1367
	s_branch .LBB18_1368
.LBB18_3417:
	s_movk_i32 s4, 0x80
	v_cmp_eq_u16_sdwa s[12:13], v16, s4 src0_sel:BYTE_3 src1_sel:DWORD
	s_mov_b64 s[4:5], -1
                                        ; implicit-def: $sgpr10
	s_and_saveexec_b64 s[8:9], s[12:13]
; %bb.3418:
	s_mov_b32 s10, 0x7f800001
	s_xor_b64 s[4:5], exec, -1
; %bb.3419:
	s_or_b64 exec, exec, s[8:9]
	s_and_b64 s[4:5], s[4:5], exec
	s_or_saveexec_b64 s[6:7], s[6:7]
	v_mov_b32_e32 v10, s10
	s_xor_b64 exec, exec, s[6:7]
	s_cbranch_execz .LBB18_1370
.LBB18_3420:
	v_mov_b32_e32 v10, 0
	v_cmp_ne_u16_sdwa s[8:9], v16, v10 src0_sel:BYTE_3 src1_sel:DWORD
	s_andn2_b64 s[4:5], s[4:5], exec
	s_and_b64 s[8:9], s[8:9], exec
	s_or_b64 s[4:5], s[4:5], s[8:9]
	s_or_b64 exec, exec, s[6:7]
	s_and_saveexec_b64 s[6:7], s[4:5]
	s_cbranch_execnz .LBB18_1371
	s_branch .LBB18_1372
.LBB18_3421:
	s_movk_i32 s4, 0x80
	v_cmp_eq_u16_sdwa s[12:13], v12, s4 src0_sel:BYTE_3 src1_sel:DWORD
	s_mov_b64 s[4:5], -1
                                        ; implicit-def: $sgpr10
	s_and_saveexec_b64 s[8:9], s[12:13]
; %bb.3422:
	s_mov_b32 s10, 0x7f800001
	s_xor_b64 s[4:5], exec, -1
; %bb.3423:
	s_or_b64 exec, exec, s[8:9]
	s_and_b64 s[4:5], s[4:5], exec
	s_or_saveexec_b64 s[6:7], s[6:7]
	v_mov_b32_e32 v11, s10
	s_xor_b64 exec, exec, s[6:7]
	s_cbranch_execz .LBB18_1374
.LBB18_3424:
	v_mov_b32_e32 v11, 0
	v_cmp_ne_u16_sdwa s[8:9], v12, v11 src0_sel:BYTE_3 src1_sel:DWORD
	s_andn2_b64 s[4:5], s[4:5], exec
	s_and_b64 s[8:9], s[8:9], exec
	s_or_b64 s[4:5], s[4:5], s[8:9]
	s_or_b64 exec, exec, s[6:7]
	s_and_saveexec_b64 s[6:7], s[4:5]
	s_cbranch_execnz .LBB18_1375
	s_branch .LBB18_1376
.LBB18_3425:
	s_movk_i32 s4, 0x80
	v_cmp_eq_u16_sdwa s[12:13], v17, s4 src0_sel:BYTE_0 src1_sel:DWORD
	s_mov_b64 s[4:5], -1
                                        ; implicit-def: $sgpr10
	s_and_saveexec_b64 s[8:9], s[12:13]
; %bb.3426:
	s_mov_b32 s10, 0x7f800001
	s_xor_b64 s[4:5], exec, -1
; %bb.3427:
	s_or_b64 exec, exec, s[8:9]
	s_and_b64 s[4:5], s[4:5], exec
	s_or_saveexec_b64 s[6:7], s[6:7]
	v_mov_b32_e32 v10, s10
	s_xor_b64 exec, exec, s[6:7]
	s_cbranch_execz .LBB18_1378
.LBB18_3428:
	v_mov_b32_e32 v10, 0
	v_cmp_ne_u16_sdwa s[8:9], v17, v10 src0_sel:BYTE_0 src1_sel:DWORD
	s_andn2_b64 s[4:5], s[4:5], exec
	s_and_b64 s[8:9], s[8:9], exec
	s_or_b64 s[4:5], s[4:5], s[8:9]
	s_or_b64 exec, exec, s[6:7]
	s_and_saveexec_b64 s[6:7], s[4:5]
	s_cbranch_execnz .LBB18_1379
	s_branch .LBB18_1380
.LBB18_3429:
	s_movk_i32 s4, 0x80
	v_cmp_eq_u16_sdwa s[12:13], v13, s4 src0_sel:BYTE_0 src1_sel:DWORD
	s_mov_b64 s[4:5], -1
                                        ; implicit-def: $sgpr10
	s_and_saveexec_b64 s[8:9], s[12:13]
; %bb.3430:
	s_mov_b32 s10, 0x7f800001
	s_xor_b64 s[4:5], exec, -1
; %bb.3431:
	s_or_b64 exec, exec, s[8:9]
	s_and_b64 s[4:5], s[4:5], exec
	s_or_saveexec_b64 s[6:7], s[6:7]
	v_mov_b32_e32 v11, s10
	s_xor_b64 exec, exec, s[6:7]
	s_cbranch_execz .LBB18_1382
.LBB18_3432:
	v_mov_b32_e32 v11, 0
	v_cmp_ne_u16_sdwa s[8:9], v13, v11 src0_sel:BYTE_0 src1_sel:DWORD
	s_andn2_b64 s[4:5], s[4:5], exec
	s_and_b64 s[8:9], s[8:9], exec
	s_or_b64 s[4:5], s[4:5], s[8:9]
	s_or_b64 exec, exec, s[6:7]
	s_and_saveexec_b64 s[6:7], s[4:5]
	s_cbranch_execnz .LBB18_1383
	s_branch .LBB18_1384
.LBB18_3433:
	s_movk_i32 s4, 0x80
	v_cmp_eq_u16_sdwa s[12:13], v11, s4 src0_sel:BYTE_0 src1_sel:DWORD
	s_mov_b64 s[4:5], -1
                                        ; implicit-def: $sgpr10
	s_and_saveexec_b64 s[8:9], s[12:13]
; %bb.3434:
	s_mov_b32 s10, 0x7f800001
	s_xor_b64 s[4:5], exec, -1
; %bb.3435:
	s_or_b64 exec, exec, s[8:9]
	s_and_b64 s[4:5], s[4:5], exec
	s_or_saveexec_b64 s[6:7], s[6:7]
	v_mov_b32_e32 v10, s10
	s_xor_b64 exec, exec, s[6:7]
	s_cbranch_execz .LBB18_1386
.LBB18_3436:
	v_mov_b32_e32 v10, 0
	v_cmp_ne_u16_sdwa s[8:9], v11, v10 src0_sel:BYTE_0 src1_sel:DWORD
	s_andn2_b64 s[4:5], s[4:5], exec
	s_and_b64 s[8:9], s[8:9], exec
	s_or_b64 s[4:5], s[4:5], s[8:9]
	s_or_b64 exec, exec, s[6:7]
	s_and_saveexec_b64 s[6:7], s[4:5]
	s_cbranch_execnz .LBB18_1387
	s_branch .LBB18_1388
.LBB18_3437:
	s_movk_i32 s4, 0x80
	v_cmp_eq_u16_sdwa s[12:13], v11, s4 src0_sel:BYTE_0 src1_sel:DWORD
	s_mov_b64 s[4:5], -1
                                        ; implicit-def: $sgpr10
	s_and_saveexec_b64 s[8:9], s[12:13]
; %bb.3438:
	s_mov_b32 s10, 0x7f800001
	s_xor_b64 s[4:5], exec, -1
; %bb.3439:
	s_or_b64 exec, exec, s[8:9]
	s_and_b64 s[4:5], s[4:5], exec
	s_or_saveexec_b64 s[6:7], s[6:7]
	v_mov_b32_e32 v12, s10
	s_xor_b64 exec, exec, s[6:7]
	s_cbranch_execz .LBB18_1390
.LBB18_3440:
	v_mov_b32_e32 v12, 0
	v_cmp_ne_u16_sdwa s[8:9], v11, v12 src0_sel:BYTE_0 src1_sel:DWORD
	s_andn2_b64 s[4:5], s[4:5], exec
	s_and_b64 s[8:9], s[8:9], exec
	s_or_b64 s[4:5], s[4:5], s[8:9]
	s_or_b64 exec, exec, s[6:7]
	s_and_saveexec_b64 s[6:7], s[4:5]
	s_cbranch_execnz .LBB18_1391
	s_branch .LBB18_1392
.LBB18_3441:
	s_movk_i32 s4, 0x80
	v_cmp_eq_u16_e32 vcc, s4, v11
	s_mov_b64 s[4:5], -1
                                        ; implicit-def: $sgpr10
	s_and_saveexec_b64 s[8:9], vcc
; %bb.3442:
	s_mov_b32 s10, 0x7f800001
	s_xor_b64 s[4:5], exec, -1
; %bb.3443:
	s_or_b64 exec, exec, s[8:9]
	s_and_b64 s[4:5], s[4:5], exec
                                        ; implicit-def: $vgpr11
	s_or_saveexec_b64 s[6:7], s[6:7]
	v_mov_b32_e32 v10, s10
	s_xor_b64 exec, exec, s[6:7]
	s_cbranch_execz .LBB18_1394
.LBB18_3444:
	v_cmp_ne_u16_e32 vcc, 0, v11
	s_andn2_b64 s[4:5], s[4:5], exec
	s_and_b64 s[8:9], vcc, exec
	v_mov_b32_e32 v10, 0
	s_or_b64 s[4:5], s[4:5], s[8:9]
	s_or_b64 exec, exec, s[6:7]
	s_and_saveexec_b64 s[6:7], s[4:5]
	s_cbranch_execnz .LBB18_1395
	s_branch .LBB18_1396
.LBB18_3445:
	s_movk_i32 s4, 0x80
	v_cmp_eq_u16_e32 vcc, s4, v11
	s_mov_b64 s[4:5], -1
                                        ; implicit-def: $sgpr10
	s_and_saveexec_b64 s[8:9], vcc
; %bb.3446:
	s_mov_b32 s10, 0x7f800001
	s_xor_b64 s[4:5], exec, -1
; %bb.3447:
	s_or_b64 exec, exec, s[8:9]
	s_and_b64 s[4:5], s[4:5], exec
                                        ; implicit-def: $vgpr11
	s_or_saveexec_b64 s[6:7], s[6:7]
	v_mov_b32_e32 v12, s10
	s_xor_b64 exec, exec, s[6:7]
	s_cbranch_execz .LBB18_1398
.LBB18_3448:
	v_cmp_ne_u16_e32 vcc, 0, v11
	s_andn2_b64 s[4:5], s[4:5], exec
	s_and_b64 s[8:9], vcc, exec
	v_mov_b32_e32 v12, 0
	s_or_b64 s[4:5], s[4:5], s[8:9]
	s_or_b64 exec, exec, s[6:7]
	s_and_saveexec_b64 s[6:7], s[4:5]
	s_cbranch_execnz .LBB18_1399
	s_branch .LBB18_1400
.LBB18_3449:
	s_movk_i32 s4, 0x80
	v_cmp_eq_u16_sdwa s[12:13], v17, s4 src0_sel:BYTE_3 src1_sel:DWORD
	s_mov_b64 s[4:5], -1
                                        ; implicit-def: $sgpr10
	s_and_saveexec_b64 s[8:9], s[12:13]
; %bb.3450:
	s_mov_b32 s10, 0x7f800001
	s_xor_b64 s[4:5], exec, -1
; %bb.3451:
	s_or_b64 exec, exec, s[8:9]
	s_and_b64 s[4:5], s[4:5], exec
	s_or_saveexec_b64 s[6:7], s[6:7]
	v_mov_b32_e32 v10, s10
	s_xor_b64 exec, exec, s[6:7]
	s_cbranch_execz .LBB18_1402
.LBB18_3452:
	v_mov_b32_e32 v10, 0
	v_cmp_ne_u16_sdwa s[8:9], v17, v10 src0_sel:BYTE_3 src1_sel:DWORD
	s_andn2_b64 s[4:5], s[4:5], exec
	s_and_b64 s[8:9], s[8:9], exec
	s_or_b64 s[4:5], s[4:5], s[8:9]
	s_or_b64 exec, exec, s[6:7]
	s_and_saveexec_b64 s[6:7], s[4:5]
	s_cbranch_execnz .LBB18_1403
	s_branch .LBB18_1404
.LBB18_3453:
	s_movk_i32 s4, 0x80
	v_cmp_eq_u16_sdwa s[12:13], v13, s4 src0_sel:BYTE_3 src1_sel:DWORD
	s_mov_b64 s[4:5], -1
                                        ; implicit-def: $sgpr10
	s_and_saveexec_b64 s[8:9], s[12:13]
; %bb.3454:
	s_mov_b32 s10, 0x7f800001
	s_xor_b64 s[4:5], exec, -1
; %bb.3455:
	s_or_b64 exec, exec, s[8:9]
	s_and_b64 s[4:5], s[4:5], exec
	s_or_saveexec_b64 s[6:7], s[6:7]
	v_mov_b32_e32 v11, s10
	s_xor_b64 exec, exec, s[6:7]
	s_cbranch_execz .LBB18_1406
.LBB18_3456:
	v_mov_b32_e32 v11, 0
	v_cmp_ne_u16_sdwa s[8:9], v13, v11 src0_sel:BYTE_3 src1_sel:DWORD
	s_andn2_b64 s[4:5], s[4:5], exec
	s_and_b64 s[8:9], s[8:9], exec
	s_or_b64 s[4:5], s[4:5], s[8:9]
	s_or_b64 exec, exec, s[6:7]
	s_and_saveexec_b64 s[6:7], s[4:5]
	s_cbranch_execnz .LBB18_1407
	s_branch .LBB18_1408
.LBB18_3457:
	s_movk_i32 s4, 0x80
	v_cmp_eq_u16_sdwa s[12:13], v6, s4 src0_sel:BYTE_0 src1_sel:DWORD
	s_mov_b64 s[4:5], -1
                                        ; implicit-def: $sgpr10
	s_and_saveexec_b64 s[8:9], s[12:13]
; %bb.3458:
	s_mov_b32 s10, 0x7f800001
	s_xor_b64 s[4:5], exec, -1
; %bb.3459:
	s_or_b64 exec, exec, s[8:9]
	s_and_b64 s[4:5], s[4:5], exec
	s_or_saveexec_b64 s[6:7], s[6:7]
	v_mov_b32_e32 v10, s10
	s_xor_b64 exec, exec, s[6:7]
	s_cbranch_execz .LBB18_1410
.LBB18_3460:
	v_mov_b32_e32 v10, 0
	v_cmp_ne_u16_sdwa s[8:9], v6, v10 src0_sel:BYTE_0 src1_sel:DWORD
	s_andn2_b64 s[4:5], s[4:5], exec
	s_and_b64 s[8:9], s[8:9], exec
	s_or_b64 s[4:5], s[4:5], s[8:9]
	s_or_b64 exec, exec, s[6:7]
	s_and_saveexec_b64 s[6:7], s[4:5]
	s_cbranch_execnz .LBB18_1411
	s_branch .LBB18_1412
.LBB18_3461:
	s_movk_i32 s4, 0x80
	v_cmp_eq_u16_sdwa s[12:13], v2, s4 src0_sel:BYTE_0 src1_sel:DWORD
	s_mov_b64 s[4:5], -1
                                        ; implicit-def: $sgpr10
	s_and_saveexec_b64 s[8:9], s[12:13]
; %bb.3462:
	s_mov_b32 s10, 0x7f800001
	s_xor_b64 s[4:5], exec, -1
; %bb.3463:
	s_or_b64 exec, exec, s[8:9]
	s_and_b64 s[4:5], s[4:5], exec
	s_or_saveexec_b64 s[6:7], s[6:7]
	v_mov_b32_e32 v11, s10
	s_xor_b64 exec, exec, s[6:7]
	s_cbranch_execz .LBB18_1414
.LBB18_3464:
	v_mov_b32_e32 v11, 0
	v_cmp_ne_u16_sdwa s[8:9], v2, v11 src0_sel:BYTE_0 src1_sel:DWORD
	s_andn2_b64 s[4:5], s[4:5], exec
	s_and_b64 s[8:9], s[8:9], exec
	s_or_b64 s[4:5], s[4:5], s[8:9]
	s_or_b64 exec, exec, s[6:7]
	s_and_saveexec_b64 s[6:7], s[4:5]
	s_cbranch_execnz .LBB18_1415
	s_branch .LBB18_1416
.LBB18_3465:
	s_movk_i32 s4, 0x80
	v_cmp_eq_u16_sdwa s[12:13], v11, s4 src0_sel:BYTE_0 src1_sel:DWORD
	s_mov_b64 s[4:5], -1
                                        ; implicit-def: $sgpr10
	s_and_saveexec_b64 s[8:9], s[12:13]
; %bb.3466:
	s_mov_b32 s10, 0x7f800001
	s_xor_b64 s[4:5], exec, -1
; %bb.3467:
	s_or_b64 exec, exec, s[8:9]
	s_and_b64 s[4:5], s[4:5], exec
	s_or_saveexec_b64 s[6:7], s[6:7]
	v_mov_b32_e32 v10, s10
	s_xor_b64 exec, exec, s[6:7]
	s_cbranch_execz .LBB18_1418
.LBB18_3468:
	v_mov_b32_e32 v10, 0
	v_cmp_ne_u16_sdwa s[8:9], v11, v10 src0_sel:BYTE_0 src1_sel:DWORD
	s_andn2_b64 s[4:5], s[4:5], exec
	s_and_b64 s[8:9], s[8:9], exec
	s_or_b64 s[4:5], s[4:5], s[8:9]
	s_or_b64 exec, exec, s[6:7]
	s_and_saveexec_b64 s[6:7], s[4:5]
	s_cbranch_execnz .LBB18_1419
	s_branch .LBB18_1420
.LBB18_3469:
	s_movk_i32 s4, 0x80
	v_cmp_eq_u16_sdwa s[12:13], v11, s4 src0_sel:BYTE_0 src1_sel:DWORD
	s_mov_b64 s[4:5], -1
                                        ; implicit-def: $sgpr10
	s_and_saveexec_b64 s[8:9], s[12:13]
; %bb.3470:
	s_mov_b32 s10, 0x7f800001
	s_xor_b64 s[4:5], exec, -1
; %bb.3471:
	s_or_b64 exec, exec, s[8:9]
	s_and_b64 s[4:5], s[4:5], exec
	s_or_saveexec_b64 s[6:7], s[6:7]
	v_mov_b32_e32 v12, s10
	s_xor_b64 exec, exec, s[6:7]
	s_cbranch_execz .LBB18_1422
.LBB18_3472:
	v_mov_b32_e32 v12, 0
	v_cmp_ne_u16_sdwa s[8:9], v11, v12 src0_sel:BYTE_0 src1_sel:DWORD
	s_andn2_b64 s[4:5], s[4:5], exec
	s_and_b64 s[8:9], s[8:9], exec
	s_or_b64 s[4:5], s[4:5], s[8:9]
	s_or_b64 exec, exec, s[6:7]
	s_and_saveexec_b64 s[6:7], s[4:5]
	s_cbranch_execnz .LBB18_1423
	s_branch .LBB18_1424
.LBB18_3473:
	s_movk_i32 s4, 0x80
	v_cmp_eq_u16_e32 vcc, s4, v11
	s_mov_b64 s[4:5], -1
                                        ; implicit-def: $sgpr10
	s_and_saveexec_b64 s[8:9], vcc
; %bb.3474:
	s_mov_b32 s10, 0x7f800001
	s_xor_b64 s[4:5], exec, -1
; %bb.3475:
	s_or_b64 exec, exec, s[8:9]
	s_and_b64 s[4:5], s[4:5], exec
                                        ; implicit-def: $vgpr11
	s_or_saveexec_b64 s[6:7], s[6:7]
	v_mov_b32_e32 v10, s10
	s_xor_b64 exec, exec, s[6:7]
	s_cbranch_execz .LBB18_1426
.LBB18_3476:
	v_cmp_ne_u16_e32 vcc, 0, v11
	s_andn2_b64 s[4:5], s[4:5], exec
	s_and_b64 s[8:9], vcc, exec
	v_mov_b32_e32 v10, 0
	s_or_b64 s[4:5], s[4:5], s[8:9]
	s_or_b64 exec, exec, s[6:7]
	s_and_saveexec_b64 s[6:7], s[4:5]
	s_cbranch_execnz .LBB18_1427
	s_branch .LBB18_1428
.LBB18_3477:
	s_movk_i32 s4, 0x80
	v_cmp_eq_u16_e32 vcc, s4, v11
	s_mov_b64 s[4:5], -1
                                        ; implicit-def: $sgpr10
	s_and_saveexec_b64 s[8:9], vcc
; %bb.3478:
	s_mov_b32 s10, 0x7f800001
	s_xor_b64 s[4:5], exec, -1
; %bb.3479:
	s_or_b64 exec, exec, s[8:9]
	s_and_b64 s[4:5], s[4:5], exec
                                        ; implicit-def: $vgpr11
	s_or_saveexec_b64 s[6:7], s[6:7]
	v_mov_b32_e32 v12, s10
	s_xor_b64 exec, exec, s[6:7]
	s_cbranch_execz .LBB18_1430
.LBB18_3480:
	v_cmp_ne_u16_e32 vcc, 0, v11
	s_andn2_b64 s[4:5], s[4:5], exec
	s_and_b64 s[8:9], vcc, exec
	v_mov_b32_e32 v12, 0
	s_or_b64 s[4:5], s[4:5], s[8:9]
	s_or_b64 exec, exec, s[6:7]
	s_and_saveexec_b64 s[6:7], s[4:5]
	s_cbranch_execnz .LBB18_1431
	s_branch .LBB18_1432
.LBB18_3481:
	s_movk_i32 s4, 0x80
	v_cmp_eq_u16_sdwa s[12:13], v6, s4 src0_sel:BYTE_3 src1_sel:DWORD
	s_mov_b64 s[4:5], -1
                                        ; implicit-def: $sgpr10
	s_and_saveexec_b64 s[8:9], s[12:13]
; %bb.3482:
	s_mov_b32 s10, 0x7f800001
	s_xor_b64 s[4:5], exec, -1
; %bb.3483:
	s_or_b64 exec, exec, s[8:9]
	s_and_b64 s[4:5], s[4:5], exec
	s_or_saveexec_b64 s[6:7], s[6:7]
	v_mov_b32_e32 v10, s10
	s_xor_b64 exec, exec, s[6:7]
	s_cbranch_execz .LBB18_1434
.LBB18_3484:
	v_mov_b32_e32 v10, 0
	v_cmp_ne_u16_sdwa s[8:9], v6, v10 src0_sel:BYTE_3 src1_sel:DWORD
	s_andn2_b64 s[4:5], s[4:5], exec
	s_and_b64 s[8:9], s[8:9], exec
	s_or_b64 s[4:5], s[4:5], s[8:9]
	s_or_b64 exec, exec, s[6:7]
	s_and_saveexec_b64 s[6:7], s[4:5]
	s_cbranch_execnz .LBB18_1435
	s_branch .LBB18_1436
.LBB18_3485:
	s_movk_i32 s4, 0x80
	v_cmp_eq_u16_sdwa s[12:13], v2, s4 src0_sel:BYTE_3 src1_sel:DWORD
	s_mov_b64 s[4:5], -1
                                        ; implicit-def: $sgpr10
	s_and_saveexec_b64 s[8:9], s[12:13]
; %bb.3486:
	s_mov_b32 s10, 0x7f800001
	s_xor_b64 s[4:5], exec, -1
; %bb.3487:
	s_or_b64 exec, exec, s[8:9]
	s_and_b64 s[4:5], s[4:5], exec
	s_or_saveexec_b64 s[6:7], s[6:7]
	v_mov_b32_e32 v6, s10
	s_xor_b64 exec, exec, s[6:7]
	s_cbranch_execz .LBB18_1438
.LBB18_3488:
	v_mov_b32_e32 v6, 0
	v_cmp_ne_u16_sdwa s[8:9], v2, v6 src0_sel:BYTE_3 src1_sel:DWORD
	s_andn2_b64 s[4:5], s[4:5], exec
	s_and_b64 s[8:9], s[8:9], exec
	s_or_b64 s[4:5], s[4:5], s[8:9]
	s_or_b64 exec, exec, s[6:7]
	s_and_saveexec_b64 s[6:7], s[4:5]
	s_cbranch_execnz .LBB18_1439
	s_branch .LBB18_1440
.LBB18_3489:
	s_movk_i32 s4, 0x80
	v_cmp_eq_u16_sdwa s[12:13], v7, s4 src0_sel:BYTE_0 src1_sel:DWORD
	s_mov_b64 s[4:5], -1
                                        ; implicit-def: $sgpr10
	s_and_saveexec_b64 s[8:9], s[12:13]
; %bb.3490:
	s_mov_b32 s10, 0x7f800001
	s_xor_b64 s[4:5], exec, -1
; %bb.3491:
	s_or_b64 exec, exec, s[8:9]
	s_and_b64 s[4:5], s[4:5], exec
	s_or_saveexec_b64 s[6:7], s[6:7]
	v_mov_b32_e32 v2, s10
	s_xor_b64 exec, exec, s[6:7]
	s_cbranch_execz .LBB18_1442
.LBB18_3492:
	v_mov_b32_e32 v2, 0
	v_cmp_ne_u16_sdwa s[8:9], v7, v2 src0_sel:BYTE_0 src1_sel:DWORD
	s_andn2_b64 s[4:5], s[4:5], exec
	s_and_b64 s[8:9], s[8:9], exec
	s_or_b64 s[4:5], s[4:5], s[8:9]
	s_or_b64 exec, exec, s[6:7]
	s_and_saveexec_b64 s[6:7], s[4:5]
	s_cbranch_execnz .LBB18_1443
	s_branch .LBB18_1444
.LBB18_3493:
	s_movk_i32 s4, 0x80
	v_cmp_eq_u16_sdwa s[12:13], v3, s4 src0_sel:BYTE_0 src1_sel:DWORD
	s_mov_b64 s[4:5], -1
                                        ; implicit-def: $sgpr10
	s_and_saveexec_b64 s[8:9], s[12:13]
; %bb.3494:
	s_mov_b32 s10, 0x7f800001
	s_xor_b64 s[4:5], exec, -1
; %bb.3495:
	s_or_b64 exec, exec, s[8:9]
	s_and_b64 s[4:5], s[4:5], exec
	s_or_saveexec_b64 s[6:7], s[6:7]
	v_mov_b32_e32 v6, s10
	s_xor_b64 exec, exec, s[6:7]
	s_cbranch_execz .LBB18_1446
.LBB18_3496:
	v_mov_b32_e32 v6, 0
	v_cmp_ne_u16_sdwa s[8:9], v3, v6 src0_sel:BYTE_0 src1_sel:DWORD
	s_andn2_b64 s[4:5], s[4:5], exec
	s_and_b64 s[8:9], s[8:9], exec
	s_or_b64 s[4:5], s[4:5], s[8:9]
	s_or_b64 exec, exec, s[6:7]
	s_and_saveexec_b64 s[6:7], s[4:5]
	s_cbranch_execnz .LBB18_1447
	s_branch .LBB18_1448
.LBB18_3497:
	s_movk_i32 s4, 0x80
	v_cmp_eq_u16_sdwa s[12:13], v6, s4 src0_sel:BYTE_0 src1_sel:DWORD
	s_mov_b64 s[4:5], -1
                                        ; implicit-def: $sgpr10
	s_and_saveexec_b64 s[8:9], s[12:13]
; %bb.3498:
	s_mov_b32 s10, 0x7f800001
	s_xor_b64 s[4:5], exec, -1
; %bb.3499:
	s_or_b64 exec, exec, s[8:9]
	s_and_b64 s[4:5], s[4:5], exec
	s_or_saveexec_b64 s[6:7], s[6:7]
	v_mov_b32_e32 v2, s10
	s_xor_b64 exec, exec, s[6:7]
	s_cbranch_execz .LBB18_1450
.LBB18_3500:
	v_mov_b32_e32 v2, 0
	v_cmp_ne_u16_sdwa s[8:9], v6, v2 src0_sel:BYTE_0 src1_sel:DWORD
	s_andn2_b64 s[4:5], s[4:5], exec
	s_and_b64 s[8:9], s[8:9], exec
	s_or_b64 s[4:5], s[4:5], s[8:9]
	s_or_b64 exec, exec, s[6:7]
	s_and_saveexec_b64 s[6:7], s[4:5]
	s_cbranch_execnz .LBB18_1451
	s_branch .LBB18_1452
.LBB18_3501:
	s_movk_i32 s4, 0x80
	v_cmp_eq_u16_sdwa s[12:13], v6, s4 src0_sel:BYTE_0 src1_sel:DWORD
	s_mov_b64 s[4:5], -1
                                        ; implicit-def: $sgpr10
	s_and_saveexec_b64 s[8:9], s[12:13]
; %bb.3502:
	s_mov_b32 s10, 0x7f800001
	s_xor_b64 s[4:5], exec, -1
; %bb.3503:
	s_or_b64 exec, exec, s[8:9]
	s_and_b64 s[4:5], s[4:5], exec
	s_or_saveexec_b64 s[6:7], s[6:7]
	v_mov_b32_e32 v10, s10
	s_xor_b64 exec, exec, s[6:7]
	s_cbranch_execz .LBB18_1454
.LBB18_3504:
	v_mov_b32_e32 v10, 0
	v_cmp_ne_u16_sdwa s[8:9], v6, v10 src0_sel:BYTE_0 src1_sel:DWORD
	s_andn2_b64 s[4:5], s[4:5], exec
	s_and_b64 s[8:9], s[8:9], exec
	s_or_b64 s[4:5], s[4:5], s[8:9]
	s_or_b64 exec, exec, s[6:7]
	s_and_saveexec_b64 s[6:7], s[4:5]
	s_cbranch_execnz .LBB18_1455
	s_branch .LBB18_1456
.LBB18_3505:
	s_movk_i32 s4, 0x80
	v_cmp_eq_u16_e32 vcc, s4, v6
	s_mov_b64 s[4:5], -1
                                        ; implicit-def: $sgpr10
	s_and_saveexec_b64 s[8:9], vcc
; %bb.3506:
	s_mov_b32 s10, 0x7f800001
	s_xor_b64 s[4:5], exec, -1
; %bb.3507:
	s_or_b64 exec, exec, s[8:9]
	s_and_b64 s[4:5], s[4:5], exec
                                        ; implicit-def: $vgpr6
	s_or_saveexec_b64 s[6:7], s[6:7]
	v_mov_b32_e32 v2, s10
	s_xor_b64 exec, exec, s[6:7]
	s_cbranch_execz .LBB18_1458
.LBB18_3508:
	v_cmp_ne_u16_e32 vcc, 0, v6
	s_andn2_b64 s[4:5], s[4:5], exec
	s_and_b64 s[8:9], vcc, exec
	v_mov_b32_e32 v2, 0
	s_or_b64 s[4:5], s[4:5], s[8:9]
	s_or_b64 exec, exec, s[6:7]
	s_and_saveexec_b64 s[6:7], s[4:5]
	s_cbranch_execnz .LBB18_1459
	s_branch .LBB18_1460
.LBB18_3509:
	s_movk_i32 s4, 0x80
	v_cmp_eq_u16_e32 vcc, s4, v6
	s_mov_b64 s[4:5], -1
                                        ; implicit-def: $sgpr10
	s_and_saveexec_b64 s[8:9], vcc
; %bb.3510:
	s_mov_b32 s10, 0x7f800001
	s_xor_b64 s[4:5], exec, -1
; %bb.3511:
	s_or_b64 exec, exec, s[8:9]
	s_and_b64 s[4:5], s[4:5], exec
                                        ; implicit-def: $vgpr6
	s_or_saveexec_b64 s[6:7], s[6:7]
	v_mov_b32_e32 v10, s10
	s_xor_b64 exec, exec, s[6:7]
	s_cbranch_execz .LBB18_1462
.LBB18_3512:
	v_cmp_ne_u16_e32 vcc, 0, v6
	s_andn2_b64 s[4:5], s[4:5], exec
	s_and_b64 s[8:9], vcc, exec
	v_mov_b32_e32 v10, 0
	s_or_b64 s[4:5], s[4:5], s[8:9]
	s_or_b64 exec, exec, s[6:7]
	s_and_saveexec_b64 s[6:7], s[4:5]
	s_cbranch_execnz .LBB18_1463
	s_branch .LBB18_1464
.LBB18_3513:
	s_movk_i32 s4, 0x80
	v_cmp_eq_u16_sdwa s[12:13], v7, s4 src0_sel:BYTE_3 src1_sel:DWORD
	s_mov_b64 s[4:5], -1
                                        ; implicit-def: $sgpr10
	s_and_saveexec_b64 s[8:9], s[12:13]
; %bb.3514:
	s_mov_b32 s10, 0x7f800001
	s_xor_b64 s[4:5], exec, -1
; %bb.3515:
	s_or_b64 exec, exec, s[8:9]
	s_and_b64 s[4:5], s[4:5], exec
	s_or_saveexec_b64 s[6:7], s[6:7]
	v_mov_b32_e32 v2, s10
	s_xor_b64 exec, exec, s[6:7]
	s_cbranch_execz .LBB18_1466
.LBB18_3516:
	v_mov_b32_e32 v2, 0
	v_cmp_ne_u16_sdwa s[8:9], v7, v2 src0_sel:BYTE_3 src1_sel:DWORD
	s_andn2_b64 s[4:5], s[4:5], exec
	s_and_b64 s[8:9], s[8:9], exec
	s_or_b64 s[4:5], s[4:5], s[8:9]
	s_or_b64 exec, exec, s[6:7]
	s_and_saveexec_b64 s[6:7], s[4:5]
	s_cbranch_execnz .LBB18_1467
	s_branch .LBB18_1468
.LBB18_3517:
	s_movk_i32 s4, 0x80
	v_cmp_eq_u16_sdwa s[12:13], v3, s4 src0_sel:BYTE_3 src1_sel:DWORD
	s_mov_b64 s[4:5], -1
                                        ; implicit-def: $sgpr10
	s_and_saveexec_b64 s[8:9], s[12:13]
; %bb.3518:
	s_mov_b32 s10, 0x7f800001
	s_xor_b64 s[4:5], exec, -1
; %bb.3519:
	s_or_b64 exec, exec, s[8:9]
	s_and_b64 s[4:5], s[4:5], exec
	s_or_saveexec_b64 s[6:7], s[6:7]
	v_mov_b32_e32 v6, s10
	s_xor_b64 exec, exec, s[6:7]
	s_cbranch_execz .LBB18_1470
.LBB18_3520:
	v_mov_b32_e32 v6, 0
	v_cmp_ne_u16_sdwa s[8:9], v3, v6 src0_sel:BYTE_3 src1_sel:DWORD
	s_andn2_b64 s[4:5], s[4:5], exec
	s_and_b64 s[8:9], s[8:9], exec
	s_or_b64 s[4:5], s[4:5], s[8:9]
	s_or_b64 exec, exec, s[6:7]
	s_and_saveexec_b64 s[6:7], s[4:5]
	s_cbranch_execnz .LBB18_1471
	s_branch .LBB18_1472
.LBB18_3521:
	s_movk_i32 s4, 0x80
	v_cmp_eq_u16_sdwa s[12:13], v8, s4 src0_sel:BYTE_0 src1_sel:DWORD
	s_mov_b64 s[4:5], -1
                                        ; implicit-def: $sgpr10
	s_and_saveexec_b64 s[8:9], s[12:13]
; %bb.3522:
	s_mov_b32 s10, 0x7f800001
	s_xor_b64 s[4:5], exec, -1
; %bb.3523:
	s_or_b64 exec, exec, s[8:9]
	s_and_b64 s[4:5], s[4:5], exec
	s_or_saveexec_b64 s[6:7], s[6:7]
	v_mov_b32_e32 v2, s10
	s_xor_b64 exec, exec, s[6:7]
	s_cbranch_execz .LBB18_1474
.LBB18_3524:
	v_mov_b32_e32 v2, 0
	v_cmp_ne_u16_sdwa s[8:9], v8, v2 src0_sel:BYTE_0 src1_sel:DWORD
	s_andn2_b64 s[4:5], s[4:5], exec
	s_and_b64 s[8:9], s[8:9], exec
	s_or_b64 s[4:5], s[4:5], s[8:9]
	s_or_b64 exec, exec, s[6:7]
	s_and_saveexec_b64 s[6:7], s[4:5]
	s_cbranch_execnz .LBB18_1475
	s_branch .LBB18_1476
.LBB18_3525:
	s_movk_i32 s4, 0x80
	v_cmp_eq_u16_sdwa s[12:13], v4, s4 src0_sel:BYTE_0 src1_sel:DWORD
	s_mov_b64 s[4:5], -1
                                        ; implicit-def: $sgpr10
	s_and_saveexec_b64 s[8:9], s[12:13]
; %bb.3526:
	s_mov_b32 s10, 0x7f800001
	s_xor_b64 s[4:5], exec, -1
; %bb.3527:
	s_or_b64 exec, exec, s[8:9]
	s_and_b64 s[4:5], s[4:5], exec
	s_or_saveexec_b64 s[6:7], s[6:7]
	v_mov_b32_e32 v3, s10
	s_xor_b64 exec, exec, s[6:7]
	s_cbranch_execz .LBB18_1478
.LBB18_3528:
	v_mov_b32_e32 v3, 0
	v_cmp_ne_u16_sdwa s[8:9], v4, v3 src0_sel:BYTE_0 src1_sel:DWORD
	s_andn2_b64 s[4:5], s[4:5], exec
	s_and_b64 s[8:9], s[8:9], exec
	s_or_b64 s[4:5], s[4:5], s[8:9]
	s_or_b64 exec, exec, s[6:7]
	s_and_saveexec_b64 s[6:7], s[4:5]
	s_cbranch_execnz .LBB18_1479
	s_branch .LBB18_1480
.LBB18_3529:
	s_movk_i32 s4, 0x80
	v_cmp_eq_u16_sdwa s[12:13], v3, s4 src0_sel:BYTE_0 src1_sel:DWORD
	s_mov_b64 s[4:5], -1
                                        ; implicit-def: $sgpr10
	s_and_saveexec_b64 s[8:9], s[12:13]
; %bb.3530:
	s_mov_b32 s10, 0x7f800001
	s_xor_b64 s[4:5], exec, -1
; %bb.3531:
	s_or_b64 exec, exec, s[8:9]
	s_and_b64 s[4:5], s[4:5], exec
	s_or_saveexec_b64 s[6:7], s[6:7]
	v_mov_b32_e32 v2, s10
	s_xor_b64 exec, exec, s[6:7]
	s_cbranch_execz .LBB18_1482
.LBB18_3532:
	v_mov_b32_e32 v2, 0
	v_cmp_ne_u16_sdwa s[8:9], v3, v2 src0_sel:BYTE_0 src1_sel:DWORD
	s_andn2_b64 s[4:5], s[4:5], exec
	s_and_b64 s[8:9], s[8:9], exec
	s_or_b64 s[4:5], s[4:5], s[8:9]
	s_or_b64 exec, exec, s[6:7]
	s_and_saveexec_b64 s[6:7], s[4:5]
	s_cbranch_execnz .LBB18_1483
	s_branch .LBB18_1484
.LBB18_3533:
	s_movk_i32 s4, 0x80
	v_cmp_eq_u16_sdwa s[12:13], v3, s4 src0_sel:BYTE_0 src1_sel:DWORD
	s_mov_b64 s[4:5], -1
                                        ; implicit-def: $sgpr10
	s_and_saveexec_b64 s[8:9], s[12:13]
; %bb.3534:
	s_mov_b32 s10, 0x7f800001
	s_xor_b64 s[4:5], exec, -1
; %bb.3535:
	s_or_b64 exec, exec, s[8:9]
	s_and_b64 s[4:5], s[4:5], exec
	s_or_saveexec_b64 s[6:7], s[6:7]
	v_mov_b32_e32 v6, s10
	s_xor_b64 exec, exec, s[6:7]
	s_cbranch_execz .LBB18_1486
.LBB18_3536:
	v_mov_b32_e32 v6, 0
	v_cmp_ne_u16_sdwa s[8:9], v3, v6 src0_sel:BYTE_0 src1_sel:DWORD
	s_andn2_b64 s[4:5], s[4:5], exec
	s_and_b64 s[8:9], s[8:9], exec
	s_or_b64 s[4:5], s[4:5], s[8:9]
	s_or_b64 exec, exec, s[6:7]
	s_and_saveexec_b64 s[6:7], s[4:5]
	s_cbranch_execnz .LBB18_1487
	s_branch .LBB18_1488
.LBB18_3537:
	s_movk_i32 s4, 0x80
	v_cmp_eq_u16_e32 vcc, s4, v3
	s_mov_b64 s[4:5], -1
                                        ; implicit-def: $sgpr10
	s_and_saveexec_b64 s[8:9], vcc
; %bb.3538:
	s_mov_b32 s10, 0x7f800001
	s_xor_b64 s[4:5], exec, -1
; %bb.3539:
	s_or_b64 exec, exec, s[8:9]
	s_and_b64 s[4:5], s[4:5], exec
                                        ; implicit-def: $vgpr3
	s_or_saveexec_b64 s[6:7], s[6:7]
	v_mov_b32_e32 v2, s10
	s_xor_b64 exec, exec, s[6:7]
	s_cbranch_execz .LBB18_1490
.LBB18_3540:
	v_cmp_ne_u16_e32 vcc, 0, v3
	s_andn2_b64 s[4:5], s[4:5], exec
	s_and_b64 s[8:9], vcc, exec
	v_mov_b32_e32 v2, 0
	s_or_b64 s[4:5], s[4:5], s[8:9]
	s_or_b64 exec, exec, s[6:7]
	s_and_saveexec_b64 s[6:7], s[4:5]
	s_cbranch_execnz .LBB18_1491
	s_branch .LBB18_1492
.LBB18_3541:
	s_movk_i32 s4, 0x80
	v_cmp_eq_u16_e32 vcc, s4, v3
	s_mov_b64 s[4:5], -1
                                        ; implicit-def: $sgpr10
	s_and_saveexec_b64 s[8:9], vcc
; %bb.3542:
	s_mov_b32 s10, 0x7f800001
	s_xor_b64 s[4:5], exec, -1
; %bb.3543:
	s_or_b64 exec, exec, s[8:9]
	s_and_b64 s[4:5], s[4:5], exec
                                        ; implicit-def: $vgpr3
	s_or_saveexec_b64 s[6:7], s[6:7]
	v_mov_b32_e32 v6, s10
	s_xor_b64 exec, exec, s[6:7]
	s_cbranch_execz .LBB18_1494
.LBB18_3544:
	v_cmp_ne_u16_e32 vcc, 0, v3
	s_andn2_b64 s[4:5], s[4:5], exec
	s_and_b64 s[8:9], vcc, exec
	v_mov_b32_e32 v6, 0
	s_or_b64 s[4:5], s[4:5], s[8:9]
	s_or_b64 exec, exec, s[6:7]
	s_and_saveexec_b64 s[6:7], s[4:5]
	s_cbranch_execnz .LBB18_1495
	s_branch .LBB18_1496
.LBB18_3545:
	s_movk_i32 s4, 0x80
	v_cmp_eq_u16_sdwa s[12:13], v8, s4 src0_sel:BYTE_3 src1_sel:DWORD
	s_mov_b64 s[4:5], -1
                                        ; implicit-def: $sgpr10
	s_and_saveexec_b64 s[8:9], s[12:13]
; %bb.3546:
	s_mov_b32 s10, 0x7f800001
	s_xor_b64 s[4:5], exec, -1
; %bb.3547:
	s_or_b64 exec, exec, s[8:9]
	s_and_b64 s[4:5], s[4:5], exec
	s_or_saveexec_b64 s[6:7], s[6:7]
	v_mov_b32_e32 v2, s10
	s_xor_b64 exec, exec, s[6:7]
	s_cbranch_execz .LBB18_1498
.LBB18_3548:
	v_mov_b32_e32 v2, 0
	v_cmp_ne_u16_sdwa s[8:9], v8, v2 src0_sel:BYTE_3 src1_sel:DWORD
	s_andn2_b64 s[4:5], s[4:5], exec
	s_and_b64 s[8:9], s[8:9], exec
	s_or_b64 s[4:5], s[4:5], s[8:9]
	s_or_b64 exec, exec, s[6:7]
	s_and_saveexec_b64 s[6:7], s[4:5]
	s_cbranch_execnz .LBB18_1499
	s_branch .LBB18_1500
.LBB18_3549:
	s_movk_i32 s4, 0x80
	v_cmp_eq_u16_sdwa s[12:13], v4, s4 src0_sel:BYTE_3 src1_sel:DWORD
	s_mov_b64 s[4:5], -1
                                        ; implicit-def: $sgpr10
	s_and_saveexec_b64 s[8:9], s[12:13]
; %bb.3550:
	s_mov_b32 s10, 0x7f800001
	s_xor_b64 s[4:5], exec, -1
; %bb.3551:
	s_or_b64 exec, exec, s[8:9]
	s_and_b64 s[4:5], s[4:5], exec
	s_or_saveexec_b64 s[6:7], s[6:7]
	v_mov_b32_e32 v3, s10
	s_xor_b64 exec, exec, s[6:7]
	s_cbranch_execz .LBB18_1502
.LBB18_3552:
	v_mov_b32_e32 v3, 0
	v_cmp_ne_u16_sdwa s[8:9], v4, v3 src0_sel:BYTE_3 src1_sel:DWORD
	s_andn2_b64 s[4:5], s[4:5], exec
	s_and_b64 s[8:9], s[8:9], exec
	s_or_b64 s[4:5], s[4:5], s[8:9]
	s_or_b64 exec, exec, s[6:7]
	s_and_saveexec_b64 s[6:7], s[4:5]
	s_cbranch_execnz .LBB18_1503
	s_branch .LBB18_1504
.LBB18_3553:
	s_movk_i32 s4, 0x80
	v_cmp_eq_u16_sdwa s[12:13], v9, s4 src0_sel:BYTE_0 src1_sel:DWORD
	s_mov_b64 s[4:5], -1
                                        ; implicit-def: $sgpr10
	s_and_saveexec_b64 s[8:9], s[12:13]
; %bb.3554:
	s_mov_b32 s10, 0x7f800001
	s_xor_b64 s[4:5], exec, -1
; %bb.3555:
	s_or_b64 exec, exec, s[8:9]
	s_and_b64 s[4:5], s[4:5], exec
	s_or_saveexec_b64 s[6:7], s[6:7]
	v_mov_b32_e32 v2, s10
	s_xor_b64 exec, exec, s[6:7]
	s_cbranch_execz .LBB18_1506
.LBB18_3556:
	v_mov_b32_e32 v2, 0
	v_cmp_ne_u16_sdwa s[8:9], v9, v2 src0_sel:BYTE_0 src1_sel:DWORD
	s_andn2_b64 s[4:5], s[4:5], exec
	s_and_b64 s[8:9], s[8:9], exec
	s_or_b64 s[4:5], s[4:5], s[8:9]
	s_or_b64 exec, exec, s[6:7]
	s_and_saveexec_b64 s[6:7], s[4:5]
	s_cbranch_execnz .LBB18_1507
	s_branch .LBB18_1508
.LBB18_3557:
	s_movk_i32 s4, 0x80
	v_cmp_eq_u16_sdwa s[12:13], v5, s4 src0_sel:BYTE_0 src1_sel:DWORD
	s_mov_b64 s[4:5], -1
                                        ; implicit-def: $sgpr10
	s_and_saveexec_b64 s[8:9], s[12:13]
; %bb.3558:
	s_mov_b32 s10, 0x7f800001
	s_xor_b64 s[4:5], exec, -1
; %bb.3559:
	s_or_b64 exec, exec, s[8:9]
	s_and_b64 s[4:5], s[4:5], exec
	s_or_saveexec_b64 s[6:7], s[6:7]
	v_mov_b32_e32 v3, s10
	s_xor_b64 exec, exec, s[6:7]
	s_cbranch_execz .LBB18_1510
.LBB18_3560:
	v_mov_b32_e32 v3, 0
	v_cmp_ne_u16_sdwa s[8:9], v5, v3 src0_sel:BYTE_0 src1_sel:DWORD
	s_andn2_b64 s[4:5], s[4:5], exec
	s_and_b64 s[8:9], s[8:9], exec
	s_or_b64 s[4:5], s[4:5], s[8:9]
	s_or_b64 exec, exec, s[6:7]
	s_and_saveexec_b64 s[6:7], s[4:5]
	s_cbranch_execnz .LBB18_1511
	s_branch .LBB18_1512
.LBB18_3561:
	s_movk_i32 s4, 0x80
	v_cmp_eq_u16_sdwa s[12:13], v3, s4 src0_sel:BYTE_0 src1_sel:DWORD
	s_mov_b64 s[4:5], -1
                                        ; implicit-def: $sgpr10
	s_and_saveexec_b64 s[8:9], s[12:13]
; %bb.3562:
	s_mov_b32 s10, 0x7f800001
	s_xor_b64 s[4:5], exec, -1
; %bb.3563:
	s_or_b64 exec, exec, s[8:9]
	s_and_b64 s[4:5], s[4:5], exec
	s_or_saveexec_b64 s[6:7], s[6:7]
	v_mov_b32_e32 v2, s10
	s_xor_b64 exec, exec, s[6:7]
	s_cbranch_execz .LBB18_1514
.LBB18_3564:
	v_mov_b32_e32 v2, 0
	v_cmp_ne_u16_sdwa s[8:9], v3, v2 src0_sel:BYTE_0 src1_sel:DWORD
	s_andn2_b64 s[4:5], s[4:5], exec
	s_and_b64 s[8:9], s[8:9], exec
	s_or_b64 s[4:5], s[4:5], s[8:9]
	s_or_b64 exec, exec, s[6:7]
	s_and_saveexec_b64 s[6:7], s[4:5]
	s_cbranch_execnz .LBB18_1515
	s_branch .LBB18_1516
.LBB18_3565:
	s_movk_i32 s4, 0x80
	v_cmp_eq_u16_sdwa s[12:13], v3, s4 src0_sel:BYTE_0 src1_sel:DWORD
	s_mov_b64 s[4:5], -1
                                        ; implicit-def: $sgpr10
	s_and_saveexec_b64 s[8:9], s[12:13]
; %bb.3566:
	s_mov_b32 s10, 0x7f800001
	s_xor_b64 s[4:5], exec, -1
; %bb.3567:
	s_or_b64 exec, exec, s[8:9]
	s_and_b64 s[4:5], s[4:5], exec
	s_or_saveexec_b64 s[6:7], s[6:7]
	v_mov_b32_e32 v4, s10
	s_xor_b64 exec, exec, s[6:7]
	s_cbranch_execz .LBB18_1518
.LBB18_3568:
	v_mov_b32_e32 v4, 0
	v_cmp_ne_u16_sdwa s[8:9], v3, v4 src0_sel:BYTE_0 src1_sel:DWORD
	s_andn2_b64 s[4:5], s[4:5], exec
	s_and_b64 s[8:9], s[8:9], exec
	s_or_b64 s[4:5], s[4:5], s[8:9]
	s_or_b64 exec, exec, s[6:7]
	s_and_saveexec_b64 s[6:7], s[4:5]
	s_cbranch_execnz .LBB18_1519
	s_branch .LBB18_1520
.LBB18_3569:
	s_movk_i32 s4, 0x80
	v_cmp_eq_u16_e32 vcc, s4, v3
	s_mov_b64 s[4:5], -1
                                        ; implicit-def: $sgpr10
	s_and_saveexec_b64 s[8:9], vcc
; %bb.3570:
	s_mov_b32 s10, 0x7f800001
	s_xor_b64 s[4:5], exec, -1
; %bb.3571:
	s_or_b64 exec, exec, s[8:9]
	s_and_b64 s[4:5], s[4:5], exec
                                        ; implicit-def: $vgpr3
	s_or_saveexec_b64 s[6:7], s[6:7]
	v_mov_b32_e32 v2, s10
	s_xor_b64 exec, exec, s[6:7]
	s_cbranch_execz .LBB18_1522
.LBB18_3572:
	v_cmp_ne_u16_e32 vcc, 0, v3
	s_andn2_b64 s[4:5], s[4:5], exec
	s_and_b64 s[8:9], vcc, exec
	v_mov_b32_e32 v2, 0
	s_or_b64 s[4:5], s[4:5], s[8:9]
	s_or_b64 exec, exec, s[6:7]
	s_and_saveexec_b64 s[6:7], s[4:5]
	s_cbranch_execnz .LBB18_1523
	s_branch .LBB18_1524
.LBB18_3573:
	s_movk_i32 s4, 0x80
	v_cmp_eq_u16_e32 vcc, s4, v3
	s_mov_b64 s[4:5], -1
                                        ; implicit-def: $sgpr10
	s_and_saveexec_b64 s[8:9], vcc
; %bb.3574:
	s_mov_b32 s10, 0x7f800001
	s_xor_b64 s[4:5], exec, -1
; %bb.3575:
	s_or_b64 exec, exec, s[8:9]
	s_and_b64 s[4:5], s[4:5], exec
                                        ; implicit-def: $vgpr3
	s_or_saveexec_b64 s[6:7], s[6:7]
	v_mov_b32_e32 v4, s10
	s_xor_b64 exec, exec, s[6:7]
	s_cbranch_execz .LBB18_1526
.LBB18_3576:
	v_cmp_ne_u16_e32 vcc, 0, v3
	s_andn2_b64 s[4:5], s[4:5], exec
	s_and_b64 s[8:9], vcc, exec
	v_mov_b32_e32 v4, 0
	s_or_b64 s[4:5], s[4:5], s[8:9]
	s_or_b64 exec, exec, s[6:7]
	s_and_saveexec_b64 s[6:7], s[4:5]
	s_cbranch_execnz .LBB18_1527
	s_branch .LBB18_1528
.LBB18_3577:
	s_movk_i32 s4, 0x80
	v_cmp_eq_u16_sdwa s[12:13], v9, s4 src0_sel:BYTE_3 src1_sel:DWORD
	s_mov_b64 s[4:5], -1
                                        ; implicit-def: $sgpr10
	s_and_saveexec_b64 s[8:9], s[12:13]
; %bb.3578:
	s_mov_b32 s10, 0x7f800001
	s_xor_b64 s[4:5], exec, -1
; %bb.3579:
	s_or_b64 exec, exec, s[8:9]
	s_and_b64 s[4:5], s[4:5], exec
	s_or_saveexec_b64 s[6:7], s[6:7]
	v_mov_b32_e32 v2, s10
	s_xor_b64 exec, exec, s[6:7]
	s_cbranch_execz .LBB18_1530
.LBB18_3580:
	v_mov_b32_e32 v2, 0
	v_cmp_ne_u16_sdwa s[8:9], v9, v2 src0_sel:BYTE_3 src1_sel:DWORD
	s_andn2_b64 s[4:5], s[4:5], exec
	s_and_b64 s[8:9], s[8:9], exec
	s_or_b64 s[4:5], s[4:5], s[8:9]
	s_or_b64 exec, exec, s[6:7]
	s_and_saveexec_b64 s[6:7], s[4:5]
	s_cbranch_execnz .LBB18_1531
	s_branch .LBB18_1532
.LBB18_3581:
	s_movk_i32 s4, 0x80
	v_cmp_eq_u16_sdwa s[12:13], v5, s4 src0_sel:BYTE_3 src1_sel:DWORD
	s_mov_b64 s[4:5], -1
                                        ; implicit-def: $sgpr10
	s_and_saveexec_b64 s[8:9], s[12:13]
; %bb.3582:
	s_mov_b32 s10, 0x7f800001
	s_xor_b64 s[4:5], exec, -1
; %bb.3583:
	s_or_b64 exec, exec, s[8:9]
	s_and_b64 s[4:5], s[4:5], exec
	s_or_saveexec_b64 s[6:7], s[6:7]
	v_mov_b32_e32 v3, s10
	s_xor_b64 exec, exec, s[6:7]
	s_cbranch_execz .LBB18_1534
.LBB18_3584:
	v_mov_b32_e32 v3, 0
	v_cmp_ne_u16_sdwa s[8:9], v5, v3 src0_sel:BYTE_3 src1_sel:DWORD
	s_andn2_b64 s[4:5], s[4:5], exec
	s_and_b64 s[8:9], s[8:9], exec
	s_or_b64 s[4:5], s[4:5], s[8:9]
	s_or_b64 exec, exec, s[6:7]
	s_and_saveexec_b64 s[6:7], s[4:5]
	s_cbranch_execnz .LBB18_1535
	s_branch .LBB18_1536
.LBB18_3585:
	s_movk_i32 s4, 0x80
	v_cmp_eq_u16_sdwa s[12:13], v14, s4 src0_sel:BYTE_0 src1_sel:DWORD
	s_mov_b64 s[4:5], -1
                                        ; implicit-def: $sgpr10
	s_and_saveexec_b64 s[8:9], s[12:13]
; %bb.3586:
	s_mov_b32 s10, 0x7f800001
	s_xor_b64 s[4:5], exec, -1
; %bb.3587:
	s_or_b64 exec, exec, s[8:9]
	s_and_b64 s[4:5], s[4:5], exec
	s_or_saveexec_b64 s[6:7], s[6:7]
	v_mov_b32_e32 v20, s10
	s_xor_b64 exec, exec, s[6:7]
	s_cbranch_execz .LBB18_1538
.LBB18_3588:
	v_mov_b32_e32 v20, 0
	v_cmp_ne_u16_sdwa s[8:9], v14, v20 src0_sel:BYTE_0 src1_sel:DWORD
	s_andn2_b64 s[4:5], s[4:5], exec
	s_and_b64 s[8:9], s[8:9], exec
	s_or_b64 s[4:5], s[4:5], s[8:9]
	s_or_b64 exec, exec, s[6:7]
	s_and_saveexec_b64 s[6:7], s[4:5]
	s_cbranch_execnz .LBB18_1539
	s_branch .LBB18_1540
.LBB18_3589:
	s_movk_i32 s4, 0x80
	v_cmp_eq_u16_sdwa s[12:13], v10, s4 src0_sel:BYTE_0 src1_sel:DWORD
	s_mov_b64 s[4:5], -1
                                        ; implicit-def: $sgpr10
	s_and_saveexec_b64 s[8:9], s[12:13]
; %bb.3590:
	s_mov_b32 s10, 0x7f800001
	s_xor_b64 s[4:5], exec, -1
; %bb.3591:
	s_or_b64 exec, exec, s[8:9]
	s_and_b64 s[4:5], s[4:5], exec
	s_or_saveexec_b64 s[6:7], s[6:7]
	v_mov_b32_e32 v21, s10
	s_xor_b64 exec, exec, s[6:7]
	s_cbranch_execz .LBB18_1542
.LBB18_3592:
	v_mov_b32_e32 v21, 0
	v_cmp_ne_u16_sdwa s[8:9], v10, v21 src0_sel:BYTE_0 src1_sel:DWORD
	s_andn2_b64 s[4:5], s[4:5], exec
	s_and_b64 s[8:9], s[8:9], exec
	s_or_b64 s[4:5], s[4:5], s[8:9]
	s_or_b64 exec, exec, s[6:7]
	s_and_saveexec_b64 s[6:7], s[4:5]
	s_cbranch_execnz .LBB18_1543
	s_branch .LBB18_1544
.LBB18_3593:
	s_movk_i32 s4, 0x80
	v_cmp_eq_u16_sdwa s[12:13], v21, s4 src0_sel:BYTE_0 src1_sel:DWORD
	s_mov_b64 s[4:5], -1
                                        ; implicit-def: $sgpr10
	s_and_saveexec_b64 s[8:9], s[12:13]
; %bb.3594:
	s_mov_b32 s10, 0x7f800001
	s_xor_b64 s[4:5], exec, -1
; %bb.3595:
	s_or_b64 exec, exec, s[8:9]
	s_and_b64 s[4:5], s[4:5], exec
	s_or_saveexec_b64 s[6:7], s[6:7]
	v_mov_b32_e32 v20, s10
	s_xor_b64 exec, exec, s[6:7]
	s_cbranch_execz .LBB18_1546
.LBB18_3596:
	v_mov_b32_e32 v20, 0
	v_cmp_ne_u16_sdwa s[8:9], v21, v20 src0_sel:BYTE_0 src1_sel:DWORD
	s_andn2_b64 s[4:5], s[4:5], exec
	s_and_b64 s[8:9], s[8:9], exec
	s_or_b64 s[4:5], s[4:5], s[8:9]
	s_or_b64 exec, exec, s[6:7]
	s_and_saveexec_b64 s[6:7], s[4:5]
	s_cbranch_execnz .LBB18_1547
	s_branch .LBB18_1548
.LBB18_3597:
	s_movk_i32 s4, 0x80
	v_cmp_eq_u16_sdwa s[12:13], v21, s4 src0_sel:BYTE_0 src1_sel:DWORD
	s_mov_b64 s[4:5], -1
                                        ; implicit-def: $sgpr10
	s_and_saveexec_b64 s[8:9], s[12:13]
; %bb.3598:
	s_mov_b32 s10, 0x7f800001
	s_xor_b64 s[4:5], exec, -1
; %bb.3599:
	s_or_b64 exec, exec, s[8:9]
	s_and_b64 s[4:5], s[4:5], exec
	s_or_saveexec_b64 s[6:7], s[6:7]
	v_mov_b32_e32 v22, s10
	s_xor_b64 exec, exec, s[6:7]
	s_cbranch_execz .LBB18_1550
.LBB18_3600:
	v_mov_b32_e32 v22, 0
	v_cmp_ne_u16_sdwa s[8:9], v21, v22 src0_sel:BYTE_0 src1_sel:DWORD
	s_andn2_b64 s[4:5], s[4:5], exec
	s_and_b64 s[8:9], s[8:9], exec
	s_or_b64 s[4:5], s[4:5], s[8:9]
	s_or_b64 exec, exec, s[6:7]
	s_and_saveexec_b64 s[6:7], s[4:5]
	s_cbranch_execnz .LBB18_1551
	s_branch .LBB18_1552
.LBB18_3601:
	s_movk_i32 s4, 0x80
	v_cmp_eq_u16_e32 vcc, s4, v21
	s_mov_b64 s[4:5], -1
                                        ; implicit-def: $sgpr10
	s_and_saveexec_b64 s[8:9], vcc
; %bb.3602:
	s_mov_b32 s10, 0x7f800001
	s_xor_b64 s[4:5], exec, -1
; %bb.3603:
	s_or_b64 exec, exec, s[8:9]
	s_and_b64 s[4:5], s[4:5], exec
                                        ; implicit-def: $vgpr21
	s_or_saveexec_b64 s[6:7], s[6:7]
	v_mov_b32_e32 v20, s10
	s_xor_b64 exec, exec, s[6:7]
	s_cbranch_execz .LBB18_1554
.LBB18_3604:
	v_cmp_ne_u16_e32 vcc, 0, v21
	s_andn2_b64 s[4:5], s[4:5], exec
	s_and_b64 s[8:9], vcc, exec
	v_mov_b32_e32 v20, 0
	s_or_b64 s[4:5], s[4:5], s[8:9]
	s_or_b64 exec, exec, s[6:7]
	s_and_saveexec_b64 s[6:7], s[4:5]
	s_cbranch_execnz .LBB18_1555
	s_branch .LBB18_1556
.LBB18_3605:
	s_movk_i32 s4, 0x80
	v_cmp_eq_u16_e32 vcc, s4, v21
	s_mov_b64 s[4:5], -1
                                        ; implicit-def: $sgpr10
	s_and_saveexec_b64 s[8:9], vcc
; %bb.3606:
	s_mov_b32 s10, 0x7f800001
	s_xor_b64 s[4:5], exec, -1
; %bb.3607:
	s_or_b64 exec, exec, s[8:9]
	s_and_b64 s[4:5], s[4:5], exec
                                        ; implicit-def: $vgpr21
	s_or_saveexec_b64 s[6:7], s[6:7]
	v_mov_b32_e32 v22, s10
	s_xor_b64 exec, exec, s[6:7]
	s_cbranch_execz .LBB18_1558
.LBB18_3608:
	v_cmp_ne_u16_e32 vcc, 0, v21
	s_andn2_b64 s[4:5], s[4:5], exec
	s_and_b64 s[8:9], vcc, exec
	v_mov_b32_e32 v22, 0
	s_or_b64 s[4:5], s[4:5], s[8:9]
	s_or_b64 exec, exec, s[6:7]
	s_and_saveexec_b64 s[6:7], s[4:5]
	s_cbranch_execnz .LBB18_1559
	s_branch .LBB18_1560
.LBB18_3609:
	s_movk_i32 s4, 0x80
	v_cmp_eq_u16_sdwa s[12:13], v14, s4 src0_sel:BYTE_3 src1_sel:DWORD
	s_mov_b64 s[4:5], -1
                                        ; implicit-def: $sgpr10
	s_and_saveexec_b64 s[8:9], s[12:13]
; %bb.3610:
	s_mov_b32 s10, 0x7f800001
	s_xor_b64 s[4:5], exec, -1
; %bb.3611:
	s_or_b64 exec, exec, s[8:9]
	s_and_b64 s[4:5], s[4:5], exec
	s_or_saveexec_b64 s[6:7], s[6:7]
	v_mov_b32_e32 v20, s10
	s_xor_b64 exec, exec, s[6:7]
	s_cbranch_execz .LBB18_1562
.LBB18_3612:
	v_mov_b32_e32 v20, 0
	v_cmp_ne_u16_sdwa s[8:9], v14, v20 src0_sel:BYTE_3 src1_sel:DWORD
	s_andn2_b64 s[4:5], s[4:5], exec
	s_and_b64 s[8:9], s[8:9], exec
	s_or_b64 s[4:5], s[4:5], s[8:9]
	s_or_b64 exec, exec, s[6:7]
	s_and_saveexec_b64 s[6:7], s[4:5]
	s_cbranch_execnz .LBB18_1563
	s_branch .LBB18_1564
.LBB18_3613:
	s_movk_i32 s4, 0x80
	v_cmp_eq_u16_sdwa s[12:13], v10, s4 src0_sel:BYTE_3 src1_sel:DWORD
	s_mov_b64 s[4:5], -1
                                        ; implicit-def: $sgpr10
	s_and_saveexec_b64 s[8:9], s[12:13]
; %bb.3614:
	s_mov_b32 s10, 0x7f800001
	s_xor_b64 s[4:5], exec, -1
; %bb.3615:
	s_or_b64 exec, exec, s[8:9]
	s_and_b64 s[4:5], s[4:5], exec
	s_or_saveexec_b64 s[6:7], s[6:7]
	v_mov_b32_e32 v14, s10
	s_xor_b64 exec, exec, s[6:7]
	s_cbranch_execz .LBB18_1566
.LBB18_3616:
	v_mov_b32_e32 v14, 0
	v_cmp_ne_u16_sdwa s[8:9], v10, v14 src0_sel:BYTE_3 src1_sel:DWORD
	s_andn2_b64 s[4:5], s[4:5], exec
	s_and_b64 s[8:9], s[8:9], exec
	s_or_b64 s[4:5], s[4:5], s[8:9]
	s_or_b64 exec, exec, s[6:7]
	s_and_saveexec_b64 s[6:7], s[4:5]
	s_cbranch_execnz .LBB18_1567
	s_branch .LBB18_1568
.LBB18_3617:
	s_movk_i32 s4, 0x80
	v_cmp_eq_u16_sdwa s[12:13], v15, s4 src0_sel:BYTE_0 src1_sel:DWORD
	s_mov_b64 s[4:5], -1
                                        ; implicit-def: $sgpr10
	s_and_saveexec_b64 s[8:9], s[12:13]
; %bb.3618:
	s_mov_b32 s10, 0x7f800001
	s_xor_b64 s[4:5], exec, -1
; %bb.3619:
	s_or_b64 exec, exec, s[8:9]
	s_and_b64 s[4:5], s[4:5], exec
	s_or_saveexec_b64 s[6:7], s[6:7]
	v_mov_b32_e32 v10, s10
	s_xor_b64 exec, exec, s[6:7]
	s_cbranch_execz .LBB18_1570
.LBB18_3620:
	v_mov_b32_e32 v10, 0
	v_cmp_ne_u16_sdwa s[8:9], v15, v10 src0_sel:BYTE_0 src1_sel:DWORD
	s_andn2_b64 s[4:5], s[4:5], exec
	s_and_b64 s[8:9], s[8:9], exec
	s_or_b64 s[4:5], s[4:5], s[8:9]
	s_or_b64 exec, exec, s[6:7]
	s_and_saveexec_b64 s[6:7], s[4:5]
	s_cbranch_execnz .LBB18_1571
	s_branch .LBB18_1572
.LBB18_3621:
	s_movk_i32 s4, 0x80
	v_cmp_eq_u16_sdwa s[12:13], v11, s4 src0_sel:BYTE_0 src1_sel:DWORD
	s_mov_b64 s[4:5], -1
                                        ; implicit-def: $sgpr10
	s_and_saveexec_b64 s[8:9], s[12:13]
; %bb.3622:
	s_mov_b32 s10, 0x7f800001
	s_xor_b64 s[4:5], exec, -1
; %bb.3623:
	s_or_b64 exec, exec, s[8:9]
	s_and_b64 s[4:5], s[4:5], exec
	s_or_saveexec_b64 s[6:7], s[6:7]
	v_mov_b32_e32 v14, s10
	s_xor_b64 exec, exec, s[6:7]
	s_cbranch_execz .LBB18_1574
.LBB18_3624:
	v_mov_b32_e32 v14, 0
	v_cmp_ne_u16_sdwa s[8:9], v11, v14 src0_sel:BYTE_0 src1_sel:DWORD
	s_andn2_b64 s[4:5], s[4:5], exec
	s_and_b64 s[8:9], s[8:9], exec
	s_or_b64 s[4:5], s[4:5], s[8:9]
	s_or_b64 exec, exec, s[6:7]
	s_and_saveexec_b64 s[6:7], s[4:5]
	s_cbranch_execnz .LBB18_1575
	s_branch .LBB18_1576
.LBB18_3625:
	s_movk_i32 s4, 0x80
	v_cmp_eq_u16_sdwa s[12:13], v14, s4 src0_sel:BYTE_0 src1_sel:DWORD
	s_mov_b64 s[4:5], -1
                                        ; implicit-def: $sgpr10
	s_and_saveexec_b64 s[8:9], s[12:13]
; %bb.3626:
	s_mov_b32 s10, 0x7f800001
	s_xor_b64 s[4:5], exec, -1
; %bb.3627:
	s_or_b64 exec, exec, s[8:9]
	s_and_b64 s[4:5], s[4:5], exec
	s_or_saveexec_b64 s[6:7], s[6:7]
	v_mov_b32_e32 v10, s10
	s_xor_b64 exec, exec, s[6:7]
	s_cbranch_execz .LBB18_1578
.LBB18_3628:
	v_mov_b32_e32 v10, 0
	v_cmp_ne_u16_sdwa s[8:9], v14, v10 src0_sel:BYTE_0 src1_sel:DWORD
	s_andn2_b64 s[4:5], s[4:5], exec
	s_and_b64 s[8:9], s[8:9], exec
	s_or_b64 s[4:5], s[4:5], s[8:9]
	s_or_b64 exec, exec, s[6:7]
	s_and_saveexec_b64 s[6:7], s[4:5]
	s_cbranch_execnz .LBB18_1579
	s_branch .LBB18_1580
.LBB18_3629:
	s_movk_i32 s4, 0x80
	v_cmp_eq_u16_sdwa s[12:13], v14, s4 src0_sel:BYTE_0 src1_sel:DWORD
	s_mov_b64 s[4:5], -1
                                        ; implicit-def: $sgpr10
	s_and_saveexec_b64 s[8:9], s[12:13]
; %bb.3630:
	s_mov_b32 s10, 0x7f800001
	s_xor_b64 s[4:5], exec, -1
; %bb.3631:
	s_or_b64 exec, exec, s[8:9]
	s_and_b64 s[4:5], s[4:5], exec
	s_or_saveexec_b64 s[6:7], s[6:7]
	v_mov_b32_e32 v20, s10
	s_xor_b64 exec, exec, s[6:7]
	s_cbranch_execz .LBB18_1582
.LBB18_3632:
	v_mov_b32_e32 v20, 0
	v_cmp_ne_u16_sdwa s[8:9], v14, v20 src0_sel:BYTE_0 src1_sel:DWORD
	s_andn2_b64 s[4:5], s[4:5], exec
	s_and_b64 s[8:9], s[8:9], exec
	s_or_b64 s[4:5], s[4:5], s[8:9]
	s_or_b64 exec, exec, s[6:7]
	s_and_saveexec_b64 s[6:7], s[4:5]
	s_cbranch_execnz .LBB18_1583
	s_branch .LBB18_1584
.LBB18_3633:
	s_movk_i32 s4, 0x80
	v_cmp_eq_u16_e32 vcc, s4, v14
	s_mov_b64 s[4:5], -1
                                        ; implicit-def: $sgpr10
	s_and_saveexec_b64 s[8:9], vcc
; %bb.3634:
	s_mov_b32 s10, 0x7f800001
	s_xor_b64 s[4:5], exec, -1
; %bb.3635:
	s_or_b64 exec, exec, s[8:9]
	s_and_b64 s[4:5], s[4:5], exec
                                        ; implicit-def: $vgpr14
	s_or_saveexec_b64 s[6:7], s[6:7]
	v_mov_b32_e32 v10, s10
	s_xor_b64 exec, exec, s[6:7]
	s_cbranch_execz .LBB18_1586
.LBB18_3636:
	v_cmp_ne_u16_e32 vcc, 0, v14
	s_andn2_b64 s[4:5], s[4:5], exec
	s_and_b64 s[8:9], vcc, exec
	v_mov_b32_e32 v10, 0
	s_or_b64 s[4:5], s[4:5], s[8:9]
	s_or_b64 exec, exec, s[6:7]
	s_and_saveexec_b64 s[6:7], s[4:5]
	s_cbranch_execnz .LBB18_1587
	s_branch .LBB18_1588
.LBB18_3637:
	s_movk_i32 s4, 0x80
	v_cmp_eq_u16_e32 vcc, s4, v14
	s_mov_b64 s[4:5], -1
                                        ; implicit-def: $sgpr10
	s_and_saveexec_b64 s[8:9], vcc
; %bb.3638:
	s_mov_b32 s10, 0x7f800001
	s_xor_b64 s[4:5], exec, -1
; %bb.3639:
	s_or_b64 exec, exec, s[8:9]
	s_and_b64 s[4:5], s[4:5], exec
                                        ; implicit-def: $vgpr14
	s_or_saveexec_b64 s[6:7], s[6:7]
	v_mov_b32_e32 v20, s10
	s_xor_b64 exec, exec, s[6:7]
	s_cbranch_execz .LBB18_1590
.LBB18_3640:
	v_cmp_ne_u16_e32 vcc, 0, v14
	s_andn2_b64 s[4:5], s[4:5], exec
	s_and_b64 s[8:9], vcc, exec
	v_mov_b32_e32 v20, 0
	s_or_b64 s[4:5], s[4:5], s[8:9]
	s_or_b64 exec, exec, s[6:7]
	s_and_saveexec_b64 s[6:7], s[4:5]
	s_cbranch_execnz .LBB18_1591
	s_branch .LBB18_1592
.LBB18_3641:
	s_movk_i32 s4, 0x80
	v_cmp_eq_u16_sdwa s[12:13], v15, s4 src0_sel:BYTE_3 src1_sel:DWORD
	s_mov_b64 s[4:5], -1
                                        ; implicit-def: $sgpr10
	s_and_saveexec_b64 s[8:9], s[12:13]
; %bb.3642:
	s_mov_b32 s10, 0x7f800001
	s_xor_b64 s[4:5], exec, -1
; %bb.3643:
	s_or_b64 exec, exec, s[8:9]
	s_and_b64 s[4:5], s[4:5], exec
	s_or_saveexec_b64 s[6:7], s[6:7]
	v_mov_b32_e32 v10, s10
	s_xor_b64 exec, exec, s[6:7]
	s_cbranch_execz .LBB18_1594
.LBB18_3644:
	v_mov_b32_e32 v10, 0
	v_cmp_ne_u16_sdwa s[8:9], v15, v10 src0_sel:BYTE_3 src1_sel:DWORD
	s_andn2_b64 s[4:5], s[4:5], exec
	s_and_b64 s[8:9], s[8:9], exec
	s_or_b64 s[4:5], s[4:5], s[8:9]
	s_or_b64 exec, exec, s[6:7]
	s_and_saveexec_b64 s[6:7], s[4:5]
	s_cbranch_execnz .LBB18_1595
	s_branch .LBB18_1596
.LBB18_3645:
	s_movk_i32 s4, 0x80
	v_cmp_eq_u16_sdwa s[12:13], v11, s4 src0_sel:BYTE_3 src1_sel:DWORD
	s_mov_b64 s[4:5], -1
                                        ; implicit-def: $sgpr10
	s_and_saveexec_b64 s[8:9], s[12:13]
; %bb.3646:
	s_mov_b32 s10, 0x7f800001
	s_xor_b64 s[4:5], exec, -1
; %bb.3647:
	s_or_b64 exec, exec, s[8:9]
	s_and_b64 s[4:5], s[4:5], exec
	s_or_saveexec_b64 s[6:7], s[6:7]
	v_mov_b32_e32 v14, s10
	s_xor_b64 exec, exec, s[6:7]
	s_cbranch_execz .LBB18_1598
.LBB18_3648:
	v_mov_b32_e32 v14, 0
	v_cmp_ne_u16_sdwa s[8:9], v11, v14 src0_sel:BYTE_3 src1_sel:DWORD
	s_andn2_b64 s[4:5], s[4:5], exec
	s_and_b64 s[8:9], s[8:9], exec
	s_or_b64 s[4:5], s[4:5], s[8:9]
	s_or_b64 exec, exec, s[6:7]
	s_and_saveexec_b64 s[6:7], s[4:5]
	s_cbranch_execnz .LBB18_1599
	s_branch .LBB18_1600
.LBB18_3649:
	s_movk_i32 s4, 0x80
	v_cmp_eq_u16_sdwa s[12:13], v16, s4 src0_sel:BYTE_0 src1_sel:DWORD
	s_mov_b64 s[4:5], -1
                                        ; implicit-def: $sgpr10
	s_and_saveexec_b64 s[8:9], s[12:13]
; %bb.3650:
	s_mov_b32 s10, 0x7f800001
	s_xor_b64 s[4:5], exec, -1
; %bb.3651:
	s_or_b64 exec, exec, s[8:9]
	s_and_b64 s[4:5], s[4:5], exec
	s_or_saveexec_b64 s[6:7], s[6:7]
	v_mov_b32_e32 v10, s10
	s_xor_b64 exec, exec, s[6:7]
	s_cbranch_execz .LBB18_1602
.LBB18_3652:
	v_mov_b32_e32 v10, 0
	v_cmp_ne_u16_sdwa s[8:9], v16, v10 src0_sel:BYTE_0 src1_sel:DWORD
	s_andn2_b64 s[4:5], s[4:5], exec
	s_and_b64 s[8:9], s[8:9], exec
	s_or_b64 s[4:5], s[4:5], s[8:9]
	s_or_b64 exec, exec, s[6:7]
	s_and_saveexec_b64 s[6:7], s[4:5]
	s_cbranch_execnz .LBB18_1603
	s_branch .LBB18_1604
.LBB18_3653:
	s_movk_i32 s4, 0x80
	v_cmp_eq_u16_sdwa s[12:13], v12, s4 src0_sel:BYTE_0 src1_sel:DWORD
	s_mov_b64 s[4:5], -1
                                        ; implicit-def: $sgpr10
	s_and_saveexec_b64 s[8:9], s[12:13]
; %bb.3654:
	s_mov_b32 s10, 0x7f800001
	s_xor_b64 s[4:5], exec, -1
; %bb.3655:
	s_or_b64 exec, exec, s[8:9]
	s_and_b64 s[4:5], s[4:5], exec
	s_or_saveexec_b64 s[6:7], s[6:7]
	v_mov_b32_e32 v11, s10
	s_xor_b64 exec, exec, s[6:7]
	s_cbranch_execz .LBB18_1606
.LBB18_3656:
	v_mov_b32_e32 v11, 0
	v_cmp_ne_u16_sdwa s[8:9], v12, v11 src0_sel:BYTE_0 src1_sel:DWORD
	s_andn2_b64 s[4:5], s[4:5], exec
	s_and_b64 s[8:9], s[8:9], exec
	s_or_b64 s[4:5], s[4:5], s[8:9]
	s_or_b64 exec, exec, s[6:7]
	s_and_saveexec_b64 s[6:7], s[4:5]
	s_cbranch_execnz .LBB18_1607
	s_branch .LBB18_1608
.LBB18_3657:
	s_movk_i32 s4, 0x80
	v_cmp_eq_u16_sdwa s[12:13], v11, s4 src0_sel:BYTE_0 src1_sel:DWORD
	s_mov_b64 s[4:5], -1
                                        ; implicit-def: $sgpr10
	s_and_saveexec_b64 s[8:9], s[12:13]
; %bb.3658:
	s_mov_b32 s10, 0x7f800001
	s_xor_b64 s[4:5], exec, -1
; %bb.3659:
	s_or_b64 exec, exec, s[8:9]
	s_and_b64 s[4:5], s[4:5], exec
	s_or_saveexec_b64 s[6:7], s[6:7]
	v_mov_b32_e32 v10, s10
	s_xor_b64 exec, exec, s[6:7]
	s_cbranch_execz .LBB18_1610
.LBB18_3660:
	v_mov_b32_e32 v10, 0
	v_cmp_ne_u16_sdwa s[8:9], v11, v10 src0_sel:BYTE_0 src1_sel:DWORD
	s_andn2_b64 s[4:5], s[4:5], exec
	s_and_b64 s[8:9], s[8:9], exec
	s_or_b64 s[4:5], s[4:5], s[8:9]
	s_or_b64 exec, exec, s[6:7]
	s_and_saveexec_b64 s[6:7], s[4:5]
	s_cbranch_execnz .LBB18_1611
	s_branch .LBB18_1612
.LBB18_3661:
	s_movk_i32 s4, 0x80
	v_cmp_eq_u16_sdwa s[12:13], v11, s4 src0_sel:BYTE_0 src1_sel:DWORD
	s_mov_b64 s[4:5], -1
                                        ; implicit-def: $sgpr10
	s_and_saveexec_b64 s[8:9], s[12:13]
; %bb.3662:
	s_mov_b32 s10, 0x7f800001
	s_xor_b64 s[4:5], exec, -1
; %bb.3663:
	s_or_b64 exec, exec, s[8:9]
	s_and_b64 s[4:5], s[4:5], exec
	s_or_saveexec_b64 s[6:7], s[6:7]
	v_mov_b32_e32 v14, s10
	s_xor_b64 exec, exec, s[6:7]
	s_cbranch_execz .LBB18_1614
.LBB18_3664:
	v_mov_b32_e32 v14, 0
	v_cmp_ne_u16_sdwa s[8:9], v11, v14 src0_sel:BYTE_0 src1_sel:DWORD
	s_andn2_b64 s[4:5], s[4:5], exec
	s_and_b64 s[8:9], s[8:9], exec
	s_or_b64 s[4:5], s[4:5], s[8:9]
	s_or_b64 exec, exec, s[6:7]
	s_and_saveexec_b64 s[6:7], s[4:5]
	s_cbranch_execnz .LBB18_1615
	s_branch .LBB18_1616
.LBB18_3665:
	s_movk_i32 s4, 0x80
	v_cmp_eq_u16_e32 vcc, s4, v11
	s_mov_b64 s[4:5], -1
                                        ; implicit-def: $sgpr10
	s_and_saveexec_b64 s[8:9], vcc
; %bb.3666:
	s_mov_b32 s10, 0x7f800001
	s_xor_b64 s[4:5], exec, -1
; %bb.3667:
	s_or_b64 exec, exec, s[8:9]
	s_and_b64 s[4:5], s[4:5], exec
                                        ; implicit-def: $vgpr11
	s_or_saveexec_b64 s[6:7], s[6:7]
	v_mov_b32_e32 v10, s10
	s_xor_b64 exec, exec, s[6:7]
	s_cbranch_execz .LBB18_1618
.LBB18_3668:
	v_cmp_ne_u16_e32 vcc, 0, v11
	s_andn2_b64 s[4:5], s[4:5], exec
	s_and_b64 s[8:9], vcc, exec
	v_mov_b32_e32 v10, 0
	s_or_b64 s[4:5], s[4:5], s[8:9]
	s_or_b64 exec, exec, s[6:7]
	s_and_saveexec_b64 s[6:7], s[4:5]
	s_cbranch_execnz .LBB18_1619
	s_branch .LBB18_1620
.LBB18_3669:
	s_movk_i32 s4, 0x80
	v_cmp_eq_u16_e32 vcc, s4, v11
	s_mov_b64 s[4:5], -1
                                        ; implicit-def: $sgpr10
	s_and_saveexec_b64 s[8:9], vcc
; %bb.3670:
	s_mov_b32 s10, 0x7f800001
	s_xor_b64 s[4:5], exec, -1
; %bb.3671:
	s_or_b64 exec, exec, s[8:9]
	s_and_b64 s[4:5], s[4:5], exec
                                        ; implicit-def: $vgpr11
	s_or_saveexec_b64 s[6:7], s[6:7]
	v_mov_b32_e32 v14, s10
	s_xor_b64 exec, exec, s[6:7]
	s_cbranch_execz .LBB18_1622
.LBB18_3672:
	v_cmp_ne_u16_e32 vcc, 0, v11
	s_andn2_b64 s[4:5], s[4:5], exec
	s_and_b64 s[8:9], vcc, exec
	v_mov_b32_e32 v14, 0
	s_or_b64 s[4:5], s[4:5], s[8:9]
	s_or_b64 exec, exec, s[6:7]
	s_and_saveexec_b64 s[6:7], s[4:5]
	s_cbranch_execnz .LBB18_1623
	s_branch .LBB18_1624
.LBB18_3673:
	s_movk_i32 s4, 0x80
	v_cmp_eq_u16_sdwa s[12:13], v16, s4 src0_sel:BYTE_3 src1_sel:DWORD
	s_mov_b64 s[4:5], -1
                                        ; implicit-def: $sgpr10
	s_and_saveexec_b64 s[8:9], s[12:13]
; %bb.3674:
	s_mov_b32 s10, 0x7f800001
	s_xor_b64 s[4:5], exec, -1
; %bb.3675:
	s_or_b64 exec, exec, s[8:9]
	s_and_b64 s[4:5], s[4:5], exec
	s_or_saveexec_b64 s[6:7], s[6:7]
	v_mov_b32_e32 v10, s10
	s_xor_b64 exec, exec, s[6:7]
	s_cbranch_execz .LBB18_1626
.LBB18_3676:
	v_mov_b32_e32 v10, 0
	v_cmp_ne_u16_sdwa s[8:9], v16, v10 src0_sel:BYTE_3 src1_sel:DWORD
	s_andn2_b64 s[4:5], s[4:5], exec
	s_and_b64 s[8:9], s[8:9], exec
	s_or_b64 s[4:5], s[4:5], s[8:9]
	s_or_b64 exec, exec, s[6:7]
	s_and_saveexec_b64 s[6:7], s[4:5]
	s_cbranch_execnz .LBB18_1627
	s_branch .LBB18_1628
.LBB18_3677:
	s_movk_i32 s4, 0x80
	v_cmp_eq_u16_sdwa s[12:13], v12, s4 src0_sel:BYTE_3 src1_sel:DWORD
	s_mov_b64 s[4:5], -1
                                        ; implicit-def: $sgpr10
	s_and_saveexec_b64 s[8:9], s[12:13]
; %bb.3678:
	s_mov_b32 s10, 0x7f800001
	s_xor_b64 s[4:5], exec, -1
; %bb.3679:
	s_or_b64 exec, exec, s[8:9]
	s_and_b64 s[4:5], s[4:5], exec
	s_or_saveexec_b64 s[6:7], s[6:7]
	v_mov_b32_e32 v11, s10
	s_xor_b64 exec, exec, s[6:7]
	s_cbranch_execz .LBB18_1630
.LBB18_3680:
	v_mov_b32_e32 v11, 0
	v_cmp_ne_u16_sdwa s[8:9], v12, v11 src0_sel:BYTE_3 src1_sel:DWORD
	s_andn2_b64 s[4:5], s[4:5], exec
	s_and_b64 s[8:9], s[8:9], exec
	s_or_b64 s[4:5], s[4:5], s[8:9]
	s_or_b64 exec, exec, s[6:7]
	s_and_saveexec_b64 s[6:7], s[4:5]
	s_cbranch_execnz .LBB18_1631
	s_branch .LBB18_1632
.LBB18_3681:
	s_movk_i32 s4, 0x80
	v_cmp_eq_u16_sdwa s[12:13], v17, s4 src0_sel:BYTE_0 src1_sel:DWORD
	s_mov_b64 s[4:5], -1
                                        ; implicit-def: $sgpr10
	s_and_saveexec_b64 s[8:9], s[12:13]
; %bb.3682:
	s_mov_b32 s10, 0x7f800001
	s_xor_b64 s[4:5], exec, -1
; %bb.3683:
	s_or_b64 exec, exec, s[8:9]
	s_and_b64 s[4:5], s[4:5], exec
	s_or_saveexec_b64 s[6:7], s[6:7]
	v_mov_b32_e32 v10, s10
	s_xor_b64 exec, exec, s[6:7]
	s_cbranch_execz .LBB18_1634
.LBB18_3684:
	v_mov_b32_e32 v10, 0
	v_cmp_ne_u16_sdwa s[8:9], v17, v10 src0_sel:BYTE_0 src1_sel:DWORD
	s_andn2_b64 s[4:5], s[4:5], exec
	s_and_b64 s[8:9], s[8:9], exec
	s_or_b64 s[4:5], s[4:5], s[8:9]
	s_or_b64 exec, exec, s[6:7]
	s_and_saveexec_b64 s[6:7], s[4:5]
	s_cbranch_execnz .LBB18_1635
	s_branch .LBB18_1636
.LBB18_3685:
	s_movk_i32 s4, 0x80
	v_cmp_eq_u16_sdwa s[12:13], v13, s4 src0_sel:BYTE_0 src1_sel:DWORD
	s_mov_b64 s[4:5], -1
                                        ; implicit-def: $sgpr10
	s_and_saveexec_b64 s[8:9], s[12:13]
; %bb.3686:
	s_mov_b32 s10, 0x7f800001
	s_xor_b64 s[4:5], exec, -1
; %bb.3687:
	s_or_b64 exec, exec, s[8:9]
	s_and_b64 s[4:5], s[4:5], exec
	s_or_saveexec_b64 s[6:7], s[6:7]
	v_mov_b32_e32 v11, s10
	s_xor_b64 exec, exec, s[6:7]
	s_cbranch_execz .LBB18_1638
.LBB18_3688:
	v_mov_b32_e32 v11, 0
	v_cmp_ne_u16_sdwa s[8:9], v13, v11 src0_sel:BYTE_0 src1_sel:DWORD
	s_andn2_b64 s[4:5], s[4:5], exec
	s_and_b64 s[8:9], s[8:9], exec
	s_or_b64 s[4:5], s[4:5], s[8:9]
	s_or_b64 exec, exec, s[6:7]
	s_and_saveexec_b64 s[6:7], s[4:5]
	s_cbranch_execnz .LBB18_1639
	s_branch .LBB18_1640
.LBB18_3689:
	s_movk_i32 s4, 0x80
	v_cmp_eq_u16_sdwa s[12:13], v11, s4 src0_sel:BYTE_0 src1_sel:DWORD
	s_mov_b64 s[4:5], -1
                                        ; implicit-def: $sgpr10
	s_and_saveexec_b64 s[8:9], s[12:13]
; %bb.3690:
	s_mov_b32 s10, 0x7f800001
	s_xor_b64 s[4:5], exec, -1
; %bb.3691:
	s_or_b64 exec, exec, s[8:9]
	s_and_b64 s[4:5], s[4:5], exec
	s_or_saveexec_b64 s[6:7], s[6:7]
	v_mov_b32_e32 v10, s10
	s_xor_b64 exec, exec, s[6:7]
	s_cbranch_execz .LBB18_1642
.LBB18_3692:
	v_mov_b32_e32 v10, 0
	v_cmp_ne_u16_sdwa s[8:9], v11, v10 src0_sel:BYTE_0 src1_sel:DWORD
	s_andn2_b64 s[4:5], s[4:5], exec
	s_and_b64 s[8:9], s[8:9], exec
	s_or_b64 s[4:5], s[4:5], s[8:9]
	s_or_b64 exec, exec, s[6:7]
	s_and_saveexec_b64 s[6:7], s[4:5]
	s_cbranch_execnz .LBB18_1643
	s_branch .LBB18_1644
.LBB18_3693:
	s_movk_i32 s4, 0x80
	v_cmp_eq_u16_sdwa s[12:13], v11, s4 src0_sel:BYTE_0 src1_sel:DWORD
	s_mov_b64 s[4:5], -1
                                        ; implicit-def: $sgpr10
	s_and_saveexec_b64 s[8:9], s[12:13]
; %bb.3694:
	s_mov_b32 s10, 0x7f800001
	s_xor_b64 s[4:5], exec, -1
; %bb.3695:
	s_or_b64 exec, exec, s[8:9]
	s_and_b64 s[4:5], s[4:5], exec
	s_or_saveexec_b64 s[6:7], s[6:7]
	v_mov_b32_e32 v12, s10
	s_xor_b64 exec, exec, s[6:7]
	s_cbranch_execz .LBB18_1646
.LBB18_3696:
	v_mov_b32_e32 v12, 0
	v_cmp_ne_u16_sdwa s[8:9], v11, v12 src0_sel:BYTE_0 src1_sel:DWORD
	s_andn2_b64 s[4:5], s[4:5], exec
	s_and_b64 s[8:9], s[8:9], exec
	s_or_b64 s[4:5], s[4:5], s[8:9]
	s_or_b64 exec, exec, s[6:7]
	s_and_saveexec_b64 s[6:7], s[4:5]
	s_cbranch_execnz .LBB18_1647
	s_branch .LBB18_1648
.LBB18_3697:
	s_movk_i32 s4, 0x80
	v_cmp_eq_u16_e32 vcc, s4, v11
	s_mov_b64 s[4:5], -1
                                        ; implicit-def: $sgpr10
	s_and_saveexec_b64 s[8:9], vcc
; %bb.3698:
	s_mov_b32 s10, 0x7f800001
	s_xor_b64 s[4:5], exec, -1
; %bb.3699:
	s_or_b64 exec, exec, s[8:9]
	s_and_b64 s[4:5], s[4:5], exec
                                        ; implicit-def: $vgpr11
	s_or_saveexec_b64 s[6:7], s[6:7]
	v_mov_b32_e32 v10, s10
	s_xor_b64 exec, exec, s[6:7]
	s_cbranch_execz .LBB18_1650
.LBB18_3700:
	v_cmp_ne_u16_e32 vcc, 0, v11
	s_andn2_b64 s[4:5], s[4:5], exec
	s_and_b64 s[8:9], vcc, exec
	v_mov_b32_e32 v10, 0
	s_or_b64 s[4:5], s[4:5], s[8:9]
	s_or_b64 exec, exec, s[6:7]
	s_and_saveexec_b64 s[6:7], s[4:5]
	s_cbranch_execnz .LBB18_1651
	s_branch .LBB18_1652
.LBB18_3701:
	s_movk_i32 s4, 0x80
	v_cmp_eq_u16_e32 vcc, s4, v11
	s_mov_b64 s[4:5], -1
                                        ; implicit-def: $sgpr10
	s_and_saveexec_b64 s[8:9], vcc
; %bb.3702:
	s_mov_b32 s10, 0x7f800001
	s_xor_b64 s[4:5], exec, -1
; %bb.3703:
	s_or_b64 exec, exec, s[8:9]
	s_and_b64 s[4:5], s[4:5], exec
                                        ; implicit-def: $vgpr11
	s_or_saveexec_b64 s[6:7], s[6:7]
	v_mov_b32_e32 v12, s10
	s_xor_b64 exec, exec, s[6:7]
	s_cbranch_execz .LBB18_1654
.LBB18_3704:
	v_cmp_ne_u16_e32 vcc, 0, v11
	s_andn2_b64 s[4:5], s[4:5], exec
	s_and_b64 s[8:9], vcc, exec
	v_mov_b32_e32 v12, 0
	s_or_b64 s[4:5], s[4:5], s[8:9]
	s_or_b64 exec, exec, s[6:7]
	s_and_saveexec_b64 s[6:7], s[4:5]
	s_cbranch_execnz .LBB18_1655
	s_branch .LBB18_1656
.LBB18_3705:
	s_movk_i32 s4, 0x80
	v_cmp_eq_u16_sdwa s[12:13], v17, s4 src0_sel:BYTE_3 src1_sel:DWORD
	s_mov_b64 s[4:5], -1
                                        ; implicit-def: $sgpr10
	s_and_saveexec_b64 s[8:9], s[12:13]
; %bb.3706:
	s_mov_b32 s10, 0x7f800001
	s_xor_b64 s[4:5], exec, -1
; %bb.3707:
	s_or_b64 exec, exec, s[8:9]
	s_and_b64 s[4:5], s[4:5], exec
	s_or_saveexec_b64 s[6:7], s[6:7]
	v_mov_b32_e32 v10, s10
	s_xor_b64 exec, exec, s[6:7]
	s_cbranch_execz .LBB18_1658
.LBB18_3708:
	v_mov_b32_e32 v10, 0
	v_cmp_ne_u16_sdwa s[8:9], v17, v10 src0_sel:BYTE_3 src1_sel:DWORD
	s_andn2_b64 s[4:5], s[4:5], exec
	s_and_b64 s[8:9], s[8:9], exec
	s_or_b64 s[4:5], s[4:5], s[8:9]
	s_or_b64 exec, exec, s[6:7]
	s_and_saveexec_b64 s[6:7], s[4:5]
	s_cbranch_execnz .LBB18_1659
	s_branch .LBB18_1660
.LBB18_3709:
	s_movk_i32 s4, 0x80
	v_cmp_eq_u16_sdwa s[12:13], v13, s4 src0_sel:BYTE_3 src1_sel:DWORD
	s_mov_b64 s[4:5], -1
                                        ; implicit-def: $sgpr10
	s_and_saveexec_b64 s[8:9], s[12:13]
; %bb.3710:
	s_mov_b32 s10, 0x7f800001
	s_xor_b64 s[4:5], exec, -1
; %bb.3711:
	s_or_b64 exec, exec, s[8:9]
	s_and_b64 s[4:5], s[4:5], exec
	s_or_saveexec_b64 s[6:7], s[6:7]
	v_mov_b32_e32 v11, s10
	s_xor_b64 exec, exec, s[6:7]
	s_cbranch_execz .LBB18_1662
.LBB18_3712:
	v_mov_b32_e32 v11, 0
	v_cmp_ne_u16_sdwa s[8:9], v13, v11 src0_sel:BYTE_3 src1_sel:DWORD
	s_andn2_b64 s[4:5], s[4:5], exec
	s_and_b64 s[8:9], s[8:9], exec
	s_or_b64 s[4:5], s[4:5], s[8:9]
	s_or_b64 exec, exec, s[6:7]
	s_and_saveexec_b64 s[6:7], s[4:5]
	s_cbranch_execnz .LBB18_1663
	s_branch .LBB18_1664
.LBB18_3713:
	s_movk_i32 s4, 0x80
	v_cmp_eq_u16_sdwa s[12:13], v6, s4 src0_sel:BYTE_0 src1_sel:DWORD
	s_mov_b64 s[4:5], -1
                                        ; implicit-def: $sgpr10
	s_and_saveexec_b64 s[8:9], s[12:13]
; %bb.3714:
	s_mov_b32 s10, 0x7f800001
	s_xor_b64 s[4:5], exec, -1
; %bb.3715:
	s_or_b64 exec, exec, s[8:9]
	s_and_b64 s[4:5], s[4:5], exec
	s_or_saveexec_b64 s[6:7], s[6:7]
	v_mov_b32_e32 v10, s10
	s_xor_b64 exec, exec, s[6:7]
	s_cbranch_execz .LBB18_1666
.LBB18_3716:
	v_mov_b32_e32 v10, 0
	v_cmp_ne_u16_sdwa s[8:9], v6, v10 src0_sel:BYTE_0 src1_sel:DWORD
	s_andn2_b64 s[4:5], s[4:5], exec
	s_and_b64 s[8:9], s[8:9], exec
	s_or_b64 s[4:5], s[4:5], s[8:9]
	s_or_b64 exec, exec, s[6:7]
	s_and_saveexec_b64 s[6:7], s[4:5]
	s_cbranch_execnz .LBB18_1667
	s_branch .LBB18_1668
.LBB18_3717:
	s_movk_i32 s4, 0x80
	v_cmp_eq_u16_sdwa s[12:13], v2, s4 src0_sel:BYTE_0 src1_sel:DWORD
	s_mov_b64 s[4:5], -1
                                        ; implicit-def: $sgpr10
	s_and_saveexec_b64 s[8:9], s[12:13]
; %bb.3718:
	s_mov_b32 s10, 0x7f800001
	s_xor_b64 s[4:5], exec, -1
; %bb.3719:
	s_or_b64 exec, exec, s[8:9]
	s_and_b64 s[4:5], s[4:5], exec
	s_or_saveexec_b64 s[6:7], s[6:7]
	v_mov_b32_e32 v11, s10
	s_xor_b64 exec, exec, s[6:7]
	s_cbranch_execz .LBB18_1670
.LBB18_3720:
	v_mov_b32_e32 v11, 0
	v_cmp_ne_u16_sdwa s[8:9], v2, v11 src0_sel:BYTE_0 src1_sel:DWORD
	s_andn2_b64 s[4:5], s[4:5], exec
	s_and_b64 s[8:9], s[8:9], exec
	s_or_b64 s[4:5], s[4:5], s[8:9]
	s_or_b64 exec, exec, s[6:7]
	s_and_saveexec_b64 s[6:7], s[4:5]
	s_cbranch_execnz .LBB18_1671
	s_branch .LBB18_1672
.LBB18_3721:
	s_movk_i32 s4, 0x80
	v_cmp_eq_u16_sdwa s[12:13], v11, s4 src0_sel:BYTE_0 src1_sel:DWORD
	s_mov_b64 s[4:5], -1
                                        ; implicit-def: $sgpr10
	s_and_saveexec_b64 s[8:9], s[12:13]
; %bb.3722:
	s_mov_b32 s10, 0x7f800001
	s_xor_b64 s[4:5], exec, -1
; %bb.3723:
	s_or_b64 exec, exec, s[8:9]
	s_and_b64 s[4:5], s[4:5], exec
	s_or_saveexec_b64 s[6:7], s[6:7]
	v_mov_b32_e32 v10, s10
	s_xor_b64 exec, exec, s[6:7]
	s_cbranch_execz .LBB18_1674
.LBB18_3724:
	v_mov_b32_e32 v10, 0
	v_cmp_ne_u16_sdwa s[8:9], v11, v10 src0_sel:BYTE_0 src1_sel:DWORD
	s_andn2_b64 s[4:5], s[4:5], exec
	s_and_b64 s[8:9], s[8:9], exec
	s_or_b64 s[4:5], s[4:5], s[8:9]
	s_or_b64 exec, exec, s[6:7]
	s_and_saveexec_b64 s[6:7], s[4:5]
	s_cbranch_execnz .LBB18_1675
	s_branch .LBB18_1676
.LBB18_3725:
	s_movk_i32 s4, 0x80
	v_cmp_eq_u16_sdwa s[12:13], v11, s4 src0_sel:BYTE_0 src1_sel:DWORD
	s_mov_b64 s[4:5], -1
                                        ; implicit-def: $sgpr10
	s_and_saveexec_b64 s[8:9], s[12:13]
; %bb.3726:
	s_mov_b32 s10, 0x7f800001
	s_xor_b64 s[4:5], exec, -1
; %bb.3727:
	s_or_b64 exec, exec, s[8:9]
	s_and_b64 s[4:5], s[4:5], exec
	s_or_saveexec_b64 s[6:7], s[6:7]
	v_mov_b32_e32 v12, s10
	s_xor_b64 exec, exec, s[6:7]
	s_cbranch_execz .LBB18_1678
.LBB18_3728:
	v_mov_b32_e32 v12, 0
	v_cmp_ne_u16_sdwa s[8:9], v11, v12 src0_sel:BYTE_0 src1_sel:DWORD
	s_andn2_b64 s[4:5], s[4:5], exec
	s_and_b64 s[8:9], s[8:9], exec
	s_or_b64 s[4:5], s[4:5], s[8:9]
	s_or_b64 exec, exec, s[6:7]
	s_and_saveexec_b64 s[6:7], s[4:5]
	s_cbranch_execnz .LBB18_1679
	s_branch .LBB18_1680
.LBB18_3729:
	s_movk_i32 s4, 0x80
	v_cmp_eq_u16_e32 vcc, s4, v11
	s_mov_b64 s[4:5], -1
                                        ; implicit-def: $sgpr10
	s_and_saveexec_b64 s[8:9], vcc
; %bb.3730:
	s_mov_b32 s10, 0x7f800001
	s_xor_b64 s[4:5], exec, -1
; %bb.3731:
	s_or_b64 exec, exec, s[8:9]
	s_and_b64 s[4:5], s[4:5], exec
                                        ; implicit-def: $vgpr11
	s_or_saveexec_b64 s[6:7], s[6:7]
	v_mov_b32_e32 v10, s10
	s_xor_b64 exec, exec, s[6:7]
	s_cbranch_execz .LBB18_1682
.LBB18_3732:
	v_cmp_ne_u16_e32 vcc, 0, v11
	s_andn2_b64 s[4:5], s[4:5], exec
	s_and_b64 s[8:9], vcc, exec
	v_mov_b32_e32 v10, 0
	s_or_b64 s[4:5], s[4:5], s[8:9]
	s_or_b64 exec, exec, s[6:7]
	s_and_saveexec_b64 s[6:7], s[4:5]
	s_cbranch_execnz .LBB18_1683
	s_branch .LBB18_1684
.LBB18_3733:
	s_movk_i32 s4, 0x80
	v_cmp_eq_u16_e32 vcc, s4, v11
	s_mov_b64 s[4:5], -1
                                        ; implicit-def: $sgpr10
	s_and_saveexec_b64 s[8:9], vcc
; %bb.3734:
	s_mov_b32 s10, 0x7f800001
	s_xor_b64 s[4:5], exec, -1
; %bb.3735:
	s_or_b64 exec, exec, s[8:9]
	s_and_b64 s[4:5], s[4:5], exec
                                        ; implicit-def: $vgpr11
	s_or_saveexec_b64 s[6:7], s[6:7]
	v_mov_b32_e32 v12, s10
	s_xor_b64 exec, exec, s[6:7]
	s_cbranch_execz .LBB18_1686
.LBB18_3736:
	v_cmp_ne_u16_e32 vcc, 0, v11
	s_andn2_b64 s[4:5], s[4:5], exec
	s_and_b64 s[8:9], vcc, exec
	v_mov_b32_e32 v12, 0
	s_or_b64 s[4:5], s[4:5], s[8:9]
	s_or_b64 exec, exec, s[6:7]
	s_and_saveexec_b64 s[6:7], s[4:5]
	s_cbranch_execnz .LBB18_1687
	s_branch .LBB18_1688
.LBB18_3737:
	s_movk_i32 s4, 0x80
	v_cmp_eq_u16_sdwa s[12:13], v6, s4 src0_sel:BYTE_3 src1_sel:DWORD
	s_mov_b64 s[4:5], -1
                                        ; implicit-def: $sgpr10
	s_and_saveexec_b64 s[8:9], s[12:13]
; %bb.3738:
	s_mov_b32 s10, 0x7f800001
	s_xor_b64 s[4:5], exec, -1
; %bb.3739:
	s_or_b64 exec, exec, s[8:9]
	s_and_b64 s[4:5], s[4:5], exec
	s_or_saveexec_b64 s[6:7], s[6:7]
	v_mov_b32_e32 v10, s10
	s_xor_b64 exec, exec, s[6:7]
	s_cbranch_execz .LBB18_1690
.LBB18_3740:
	v_mov_b32_e32 v10, 0
	v_cmp_ne_u16_sdwa s[8:9], v6, v10 src0_sel:BYTE_3 src1_sel:DWORD
	s_andn2_b64 s[4:5], s[4:5], exec
	s_and_b64 s[8:9], s[8:9], exec
	s_or_b64 s[4:5], s[4:5], s[8:9]
	s_or_b64 exec, exec, s[6:7]
	s_and_saveexec_b64 s[6:7], s[4:5]
	s_cbranch_execnz .LBB18_1691
	s_branch .LBB18_1692
.LBB18_3741:
	s_movk_i32 s4, 0x80
	v_cmp_eq_u16_sdwa s[12:13], v2, s4 src0_sel:BYTE_3 src1_sel:DWORD
	s_mov_b64 s[4:5], -1
                                        ; implicit-def: $sgpr10
	s_and_saveexec_b64 s[8:9], s[12:13]
; %bb.3742:
	s_mov_b32 s10, 0x7f800001
	s_xor_b64 s[4:5], exec, -1
; %bb.3743:
	s_or_b64 exec, exec, s[8:9]
	s_and_b64 s[4:5], s[4:5], exec
	s_or_saveexec_b64 s[6:7], s[6:7]
	v_mov_b32_e32 v6, s10
	s_xor_b64 exec, exec, s[6:7]
	s_cbranch_execz .LBB18_1694
.LBB18_3744:
	v_mov_b32_e32 v6, 0
	v_cmp_ne_u16_sdwa s[8:9], v2, v6 src0_sel:BYTE_3 src1_sel:DWORD
	s_andn2_b64 s[4:5], s[4:5], exec
	s_and_b64 s[8:9], s[8:9], exec
	s_or_b64 s[4:5], s[4:5], s[8:9]
	s_or_b64 exec, exec, s[6:7]
	s_and_saveexec_b64 s[6:7], s[4:5]
	s_cbranch_execnz .LBB18_1695
	s_branch .LBB18_1696
.LBB18_3745:
	s_movk_i32 s4, 0x80
	v_cmp_eq_u16_sdwa s[12:13], v7, s4 src0_sel:BYTE_0 src1_sel:DWORD
	s_mov_b64 s[4:5], -1
                                        ; implicit-def: $sgpr10
	s_and_saveexec_b64 s[8:9], s[12:13]
; %bb.3746:
	s_mov_b32 s10, 0x7f800001
	s_xor_b64 s[4:5], exec, -1
; %bb.3747:
	s_or_b64 exec, exec, s[8:9]
	s_and_b64 s[4:5], s[4:5], exec
	s_or_saveexec_b64 s[6:7], s[6:7]
	v_mov_b32_e32 v2, s10
	s_xor_b64 exec, exec, s[6:7]
	s_cbranch_execz .LBB18_1698
.LBB18_3748:
	v_mov_b32_e32 v2, 0
	v_cmp_ne_u16_sdwa s[8:9], v7, v2 src0_sel:BYTE_0 src1_sel:DWORD
	s_andn2_b64 s[4:5], s[4:5], exec
	s_and_b64 s[8:9], s[8:9], exec
	s_or_b64 s[4:5], s[4:5], s[8:9]
	s_or_b64 exec, exec, s[6:7]
	s_and_saveexec_b64 s[6:7], s[4:5]
	s_cbranch_execnz .LBB18_1699
	s_branch .LBB18_1700
.LBB18_3749:
	s_movk_i32 s4, 0x80
	v_cmp_eq_u16_sdwa s[12:13], v3, s4 src0_sel:BYTE_0 src1_sel:DWORD
	s_mov_b64 s[4:5], -1
                                        ; implicit-def: $sgpr10
	s_and_saveexec_b64 s[8:9], s[12:13]
; %bb.3750:
	s_mov_b32 s10, 0x7f800001
	s_xor_b64 s[4:5], exec, -1
; %bb.3751:
	s_or_b64 exec, exec, s[8:9]
	s_and_b64 s[4:5], s[4:5], exec
	s_or_saveexec_b64 s[6:7], s[6:7]
	v_mov_b32_e32 v6, s10
	s_xor_b64 exec, exec, s[6:7]
	s_cbranch_execz .LBB18_1702
.LBB18_3752:
	v_mov_b32_e32 v6, 0
	v_cmp_ne_u16_sdwa s[8:9], v3, v6 src0_sel:BYTE_0 src1_sel:DWORD
	s_andn2_b64 s[4:5], s[4:5], exec
	s_and_b64 s[8:9], s[8:9], exec
	s_or_b64 s[4:5], s[4:5], s[8:9]
	s_or_b64 exec, exec, s[6:7]
	s_and_saveexec_b64 s[6:7], s[4:5]
	s_cbranch_execnz .LBB18_1703
	s_branch .LBB18_1704
.LBB18_3753:
	s_movk_i32 s4, 0x80
	v_cmp_eq_u16_sdwa s[12:13], v6, s4 src0_sel:BYTE_0 src1_sel:DWORD
	s_mov_b64 s[4:5], -1
                                        ; implicit-def: $sgpr10
	s_and_saveexec_b64 s[8:9], s[12:13]
; %bb.3754:
	s_mov_b32 s10, 0x7f800001
	s_xor_b64 s[4:5], exec, -1
; %bb.3755:
	s_or_b64 exec, exec, s[8:9]
	s_and_b64 s[4:5], s[4:5], exec
	s_or_saveexec_b64 s[6:7], s[6:7]
	v_mov_b32_e32 v2, s10
	s_xor_b64 exec, exec, s[6:7]
	s_cbranch_execz .LBB18_1706
.LBB18_3756:
	v_mov_b32_e32 v2, 0
	v_cmp_ne_u16_sdwa s[8:9], v6, v2 src0_sel:BYTE_0 src1_sel:DWORD
	s_andn2_b64 s[4:5], s[4:5], exec
	s_and_b64 s[8:9], s[8:9], exec
	s_or_b64 s[4:5], s[4:5], s[8:9]
	s_or_b64 exec, exec, s[6:7]
	s_and_saveexec_b64 s[6:7], s[4:5]
	s_cbranch_execnz .LBB18_1707
	s_branch .LBB18_1708
.LBB18_3757:
	s_movk_i32 s4, 0x80
	v_cmp_eq_u16_sdwa s[12:13], v6, s4 src0_sel:BYTE_0 src1_sel:DWORD
	s_mov_b64 s[4:5], -1
                                        ; implicit-def: $sgpr10
	s_and_saveexec_b64 s[8:9], s[12:13]
; %bb.3758:
	s_mov_b32 s10, 0x7f800001
	s_xor_b64 s[4:5], exec, -1
; %bb.3759:
	s_or_b64 exec, exec, s[8:9]
	s_and_b64 s[4:5], s[4:5], exec
	s_or_saveexec_b64 s[6:7], s[6:7]
	v_mov_b32_e32 v10, s10
	s_xor_b64 exec, exec, s[6:7]
	s_cbranch_execz .LBB18_1710
.LBB18_3760:
	v_mov_b32_e32 v10, 0
	v_cmp_ne_u16_sdwa s[8:9], v6, v10 src0_sel:BYTE_0 src1_sel:DWORD
	s_andn2_b64 s[4:5], s[4:5], exec
	s_and_b64 s[8:9], s[8:9], exec
	s_or_b64 s[4:5], s[4:5], s[8:9]
	s_or_b64 exec, exec, s[6:7]
	s_and_saveexec_b64 s[6:7], s[4:5]
	s_cbranch_execnz .LBB18_1711
	s_branch .LBB18_1712
.LBB18_3761:
	s_movk_i32 s4, 0x80
	v_cmp_eq_u16_e32 vcc, s4, v6
	s_mov_b64 s[4:5], -1
                                        ; implicit-def: $sgpr10
	s_and_saveexec_b64 s[8:9], vcc
; %bb.3762:
	s_mov_b32 s10, 0x7f800001
	s_xor_b64 s[4:5], exec, -1
; %bb.3763:
	s_or_b64 exec, exec, s[8:9]
	s_and_b64 s[4:5], s[4:5], exec
                                        ; implicit-def: $vgpr6
	s_or_saveexec_b64 s[6:7], s[6:7]
	v_mov_b32_e32 v2, s10
	s_xor_b64 exec, exec, s[6:7]
	s_cbranch_execz .LBB18_1714
.LBB18_3764:
	v_cmp_ne_u16_e32 vcc, 0, v6
	s_andn2_b64 s[4:5], s[4:5], exec
	s_and_b64 s[8:9], vcc, exec
	v_mov_b32_e32 v2, 0
	s_or_b64 s[4:5], s[4:5], s[8:9]
	s_or_b64 exec, exec, s[6:7]
	s_and_saveexec_b64 s[6:7], s[4:5]
	s_cbranch_execnz .LBB18_1715
	s_branch .LBB18_1716
.LBB18_3765:
	s_movk_i32 s4, 0x80
	v_cmp_eq_u16_e32 vcc, s4, v6
	s_mov_b64 s[4:5], -1
                                        ; implicit-def: $sgpr10
	s_and_saveexec_b64 s[8:9], vcc
; %bb.3766:
	s_mov_b32 s10, 0x7f800001
	s_xor_b64 s[4:5], exec, -1
; %bb.3767:
	s_or_b64 exec, exec, s[8:9]
	s_and_b64 s[4:5], s[4:5], exec
                                        ; implicit-def: $vgpr6
	s_or_saveexec_b64 s[6:7], s[6:7]
	v_mov_b32_e32 v10, s10
	s_xor_b64 exec, exec, s[6:7]
	s_cbranch_execz .LBB18_1718
.LBB18_3768:
	v_cmp_ne_u16_e32 vcc, 0, v6
	s_andn2_b64 s[4:5], s[4:5], exec
	s_and_b64 s[8:9], vcc, exec
	v_mov_b32_e32 v10, 0
	s_or_b64 s[4:5], s[4:5], s[8:9]
	s_or_b64 exec, exec, s[6:7]
	s_and_saveexec_b64 s[6:7], s[4:5]
	s_cbranch_execnz .LBB18_1719
	s_branch .LBB18_1720
.LBB18_3769:
	s_movk_i32 s4, 0x80
	v_cmp_eq_u16_sdwa s[12:13], v7, s4 src0_sel:BYTE_3 src1_sel:DWORD
	s_mov_b64 s[4:5], -1
                                        ; implicit-def: $sgpr10
	s_and_saveexec_b64 s[8:9], s[12:13]
; %bb.3770:
	s_mov_b32 s10, 0x7f800001
	s_xor_b64 s[4:5], exec, -1
; %bb.3771:
	s_or_b64 exec, exec, s[8:9]
	s_and_b64 s[4:5], s[4:5], exec
	s_or_saveexec_b64 s[6:7], s[6:7]
	v_mov_b32_e32 v2, s10
	s_xor_b64 exec, exec, s[6:7]
	s_cbranch_execz .LBB18_1722
.LBB18_3772:
	v_mov_b32_e32 v2, 0
	v_cmp_ne_u16_sdwa s[8:9], v7, v2 src0_sel:BYTE_3 src1_sel:DWORD
	s_andn2_b64 s[4:5], s[4:5], exec
	s_and_b64 s[8:9], s[8:9], exec
	s_or_b64 s[4:5], s[4:5], s[8:9]
	s_or_b64 exec, exec, s[6:7]
	s_and_saveexec_b64 s[6:7], s[4:5]
	s_cbranch_execnz .LBB18_1723
	s_branch .LBB18_1724
.LBB18_3773:
	s_movk_i32 s4, 0x80
	v_cmp_eq_u16_sdwa s[12:13], v3, s4 src0_sel:BYTE_3 src1_sel:DWORD
	s_mov_b64 s[4:5], -1
                                        ; implicit-def: $sgpr10
	s_and_saveexec_b64 s[8:9], s[12:13]
; %bb.3774:
	s_mov_b32 s10, 0x7f800001
	s_xor_b64 s[4:5], exec, -1
; %bb.3775:
	s_or_b64 exec, exec, s[8:9]
	s_and_b64 s[4:5], s[4:5], exec
	s_or_saveexec_b64 s[6:7], s[6:7]
	v_mov_b32_e32 v6, s10
	s_xor_b64 exec, exec, s[6:7]
	s_cbranch_execz .LBB18_1726
.LBB18_3776:
	v_mov_b32_e32 v6, 0
	v_cmp_ne_u16_sdwa s[8:9], v3, v6 src0_sel:BYTE_3 src1_sel:DWORD
	s_andn2_b64 s[4:5], s[4:5], exec
	s_and_b64 s[8:9], s[8:9], exec
	s_or_b64 s[4:5], s[4:5], s[8:9]
	s_or_b64 exec, exec, s[6:7]
	s_and_saveexec_b64 s[6:7], s[4:5]
	s_cbranch_execnz .LBB18_1727
	s_branch .LBB18_1728
.LBB18_3777:
	s_movk_i32 s4, 0x80
	v_cmp_eq_u16_sdwa s[12:13], v8, s4 src0_sel:BYTE_0 src1_sel:DWORD
	s_mov_b64 s[4:5], -1
                                        ; implicit-def: $sgpr10
	s_and_saveexec_b64 s[8:9], s[12:13]
; %bb.3778:
	s_mov_b32 s10, 0x7f800001
	s_xor_b64 s[4:5], exec, -1
; %bb.3779:
	s_or_b64 exec, exec, s[8:9]
	s_and_b64 s[4:5], s[4:5], exec
	s_or_saveexec_b64 s[6:7], s[6:7]
	v_mov_b32_e32 v2, s10
	s_xor_b64 exec, exec, s[6:7]
	s_cbranch_execz .LBB18_1730
.LBB18_3780:
	v_mov_b32_e32 v2, 0
	v_cmp_ne_u16_sdwa s[8:9], v8, v2 src0_sel:BYTE_0 src1_sel:DWORD
	s_andn2_b64 s[4:5], s[4:5], exec
	s_and_b64 s[8:9], s[8:9], exec
	s_or_b64 s[4:5], s[4:5], s[8:9]
	s_or_b64 exec, exec, s[6:7]
	s_and_saveexec_b64 s[6:7], s[4:5]
	s_cbranch_execnz .LBB18_1731
	s_branch .LBB18_1732
.LBB18_3781:
	s_movk_i32 s4, 0x80
	v_cmp_eq_u16_sdwa s[12:13], v4, s4 src0_sel:BYTE_0 src1_sel:DWORD
	s_mov_b64 s[4:5], -1
                                        ; implicit-def: $sgpr10
	s_and_saveexec_b64 s[8:9], s[12:13]
; %bb.3782:
	s_mov_b32 s10, 0x7f800001
	s_xor_b64 s[4:5], exec, -1
; %bb.3783:
	s_or_b64 exec, exec, s[8:9]
	s_and_b64 s[4:5], s[4:5], exec
	s_or_saveexec_b64 s[6:7], s[6:7]
	v_mov_b32_e32 v3, s10
	s_xor_b64 exec, exec, s[6:7]
	s_cbranch_execz .LBB18_1734
.LBB18_3784:
	v_mov_b32_e32 v3, 0
	v_cmp_ne_u16_sdwa s[8:9], v4, v3 src0_sel:BYTE_0 src1_sel:DWORD
	s_andn2_b64 s[4:5], s[4:5], exec
	s_and_b64 s[8:9], s[8:9], exec
	s_or_b64 s[4:5], s[4:5], s[8:9]
	s_or_b64 exec, exec, s[6:7]
	s_and_saveexec_b64 s[6:7], s[4:5]
	s_cbranch_execnz .LBB18_1735
	s_branch .LBB18_1736
.LBB18_3785:
	s_movk_i32 s4, 0x80
	v_cmp_eq_u16_sdwa s[12:13], v3, s4 src0_sel:BYTE_0 src1_sel:DWORD
	s_mov_b64 s[4:5], -1
                                        ; implicit-def: $sgpr10
	s_and_saveexec_b64 s[8:9], s[12:13]
; %bb.3786:
	s_mov_b32 s10, 0x7f800001
	s_xor_b64 s[4:5], exec, -1
; %bb.3787:
	s_or_b64 exec, exec, s[8:9]
	s_and_b64 s[4:5], s[4:5], exec
	s_or_saveexec_b64 s[6:7], s[6:7]
	v_mov_b32_e32 v2, s10
	s_xor_b64 exec, exec, s[6:7]
	s_cbranch_execz .LBB18_1738
.LBB18_3788:
	v_mov_b32_e32 v2, 0
	v_cmp_ne_u16_sdwa s[8:9], v3, v2 src0_sel:BYTE_0 src1_sel:DWORD
	s_andn2_b64 s[4:5], s[4:5], exec
	s_and_b64 s[8:9], s[8:9], exec
	s_or_b64 s[4:5], s[4:5], s[8:9]
	s_or_b64 exec, exec, s[6:7]
	s_and_saveexec_b64 s[6:7], s[4:5]
	s_cbranch_execnz .LBB18_1739
	s_branch .LBB18_1740
.LBB18_3789:
	s_movk_i32 s4, 0x80
	v_cmp_eq_u16_sdwa s[12:13], v3, s4 src0_sel:BYTE_0 src1_sel:DWORD
	s_mov_b64 s[4:5], -1
                                        ; implicit-def: $sgpr10
	s_and_saveexec_b64 s[8:9], s[12:13]
; %bb.3790:
	s_mov_b32 s10, 0x7f800001
	s_xor_b64 s[4:5], exec, -1
; %bb.3791:
	s_or_b64 exec, exec, s[8:9]
	s_and_b64 s[4:5], s[4:5], exec
	s_or_saveexec_b64 s[6:7], s[6:7]
	v_mov_b32_e32 v6, s10
	s_xor_b64 exec, exec, s[6:7]
	s_cbranch_execz .LBB18_1742
.LBB18_3792:
	v_mov_b32_e32 v6, 0
	v_cmp_ne_u16_sdwa s[8:9], v3, v6 src0_sel:BYTE_0 src1_sel:DWORD
	s_andn2_b64 s[4:5], s[4:5], exec
	s_and_b64 s[8:9], s[8:9], exec
	s_or_b64 s[4:5], s[4:5], s[8:9]
	s_or_b64 exec, exec, s[6:7]
	s_and_saveexec_b64 s[6:7], s[4:5]
	s_cbranch_execnz .LBB18_1743
	s_branch .LBB18_1744
.LBB18_3793:
	s_movk_i32 s4, 0x80
	v_cmp_eq_u16_e32 vcc, s4, v3
	s_mov_b64 s[4:5], -1
                                        ; implicit-def: $sgpr10
	s_and_saveexec_b64 s[8:9], vcc
; %bb.3794:
	s_mov_b32 s10, 0x7f800001
	s_xor_b64 s[4:5], exec, -1
; %bb.3795:
	s_or_b64 exec, exec, s[8:9]
	s_and_b64 s[4:5], s[4:5], exec
                                        ; implicit-def: $vgpr3
	s_or_saveexec_b64 s[6:7], s[6:7]
	v_mov_b32_e32 v2, s10
	s_xor_b64 exec, exec, s[6:7]
	s_cbranch_execz .LBB18_1746
.LBB18_3796:
	v_cmp_ne_u16_e32 vcc, 0, v3
	s_andn2_b64 s[4:5], s[4:5], exec
	s_and_b64 s[8:9], vcc, exec
	v_mov_b32_e32 v2, 0
	s_or_b64 s[4:5], s[4:5], s[8:9]
	s_or_b64 exec, exec, s[6:7]
	s_and_saveexec_b64 s[6:7], s[4:5]
	s_cbranch_execnz .LBB18_1747
	s_branch .LBB18_1748
.LBB18_3797:
	s_movk_i32 s4, 0x80
	v_cmp_eq_u16_e32 vcc, s4, v3
	s_mov_b64 s[4:5], -1
                                        ; implicit-def: $sgpr10
	s_and_saveexec_b64 s[8:9], vcc
; %bb.3798:
	s_mov_b32 s10, 0x7f800001
	s_xor_b64 s[4:5], exec, -1
; %bb.3799:
	s_or_b64 exec, exec, s[8:9]
	s_and_b64 s[4:5], s[4:5], exec
                                        ; implicit-def: $vgpr3
	s_or_saveexec_b64 s[6:7], s[6:7]
	v_mov_b32_e32 v6, s10
	s_xor_b64 exec, exec, s[6:7]
	s_cbranch_execz .LBB18_1750
.LBB18_3800:
	v_cmp_ne_u16_e32 vcc, 0, v3
	s_andn2_b64 s[4:5], s[4:5], exec
	s_and_b64 s[8:9], vcc, exec
	v_mov_b32_e32 v6, 0
	s_or_b64 s[4:5], s[4:5], s[8:9]
	s_or_b64 exec, exec, s[6:7]
	s_and_saveexec_b64 s[6:7], s[4:5]
	s_cbranch_execnz .LBB18_1751
	s_branch .LBB18_1752
.LBB18_3801:
	s_movk_i32 s4, 0x80
	v_cmp_eq_u16_sdwa s[12:13], v8, s4 src0_sel:BYTE_3 src1_sel:DWORD
	s_mov_b64 s[4:5], -1
                                        ; implicit-def: $sgpr10
	s_and_saveexec_b64 s[8:9], s[12:13]
; %bb.3802:
	s_mov_b32 s10, 0x7f800001
	s_xor_b64 s[4:5], exec, -1
; %bb.3803:
	s_or_b64 exec, exec, s[8:9]
	s_and_b64 s[4:5], s[4:5], exec
	s_or_saveexec_b64 s[6:7], s[6:7]
	v_mov_b32_e32 v2, s10
	s_xor_b64 exec, exec, s[6:7]
	s_cbranch_execz .LBB18_1754
.LBB18_3804:
	v_mov_b32_e32 v2, 0
	v_cmp_ne_u16_sdwa s[8:9], v8, v2 src0_sel:BYTE_3 src1_sel:DWORD
	s_andn2_b64 s[4:5], s[4:5], exec
	s_and_b64 s[8:9], s[8:9], exec
	s_or_b64 s[4:5], s[4:5], s[8:9]
	s_or_b64 exec, exec, s[6:7]
	s_and_saveexec_b64 s[6:7], s[4:5]
	s_cbranch_execnz .LBB18_1755
	s_branch .LBB18_1756
.LBB18_3805:
	s_movk_i32 s4, 0x80
	v_cmp_eq_u16_sdwa s[12:13], v4, s4 src0_sel:BYTE_3 src1_sel:DWORD
	s_mov_b64 s[4:5], -1
                                        ; implicit-def: $sgpr10
	s_and_saveexec_b64 s[8:9], s[12:13]
; %bb.3806:
	s_mov_b32 s10, 0x7f800001
	s_xor_b64 s[4:5], exec, -1
; %bb.3807:
	s_or_b64 exec, exec, s[8:9]
	s_and_b64 s[4:5], s[4:5], exec
	s_or_saveexec_b64 s[6:7], s[6:7]
	v_mov_b32_e32 v3, s10
	s_xor_b64 exec, exec, s[6:7]
	s_cbranch_execz .LBB18_1758
.LBB18_3808:
	v_mov_b32_e32 v3, 0
	v_cmp_ne_u16_sdwa s[8:9], v4, v3 src0_sel:BYTE_3 src1_sel:DWORD
	s_andn2_b64 s[4:5], s[4:5], exec
	s_and_b64 s[8:9], s[8:9], exec
	s_or_b64 s[4:5], s[4:5], s[8:9]
	s_or_b64 exec, exec, s[6:7]
	s_and_saveexec_b64 s[6:7], s[4:5]
	s_cbranch_execnz .LBB18_1759
	s_branch .LBB18_1760
.LBB18_3809:
	s_movk_i32 s4, 0x80
	v_cmp_eq_u16_sdwa s[12:13], v9, s4 src0_sel:BYTE_0 src1_sel:DWORD
	s_mov_b64 s[4:5], -1
                                        ; implicit-def: $sgpr10
	s_and_saveexec_b64 s[8:9], s[12:13]
; %bb.3810:
	s_mov_b32 s10, 0x7f800001
	s_xor_b64 s[4:5], exec, -1
; %bb.3811:
	s_or_b64 exec, exec, s[8:9]
	s_and_b64 s[4:5], s[4:5], exec
	s_or_saveexec_b64 s[6:7], s[6:7]
	v_mov_b32_e32 v2, s10
	s_xor_b64 exec, exec, s[6:7]
	s_cbranch_execz .LBB18_1762
.LBB18_3812:
	v_mov_b32_e32 v2, 0
	v_cmp_ne_u16_sdwa s[8:9], v9, v2 src0_sel:BYTE_0 src1_sel:DWORD
	s_andn2_b64 s[4:5], s[4:5], exec
	s_and_b64 s[8:9], s[8:9], exec
	s_or_b64 s[4:5], s[4:5], s[8:9]
	s_or_b64 exec, exec, s[6:7]
	s_and_saveexec_b64 s[6:7], s[4:5]
	s_cbranch_execnz .LBB18_1763
	s_branch .LBB18_1764
.LBB18_3813:
	s_movk_i32 s4, 0x80
	v_cmp_eq_u16_sdwa s[12:13], v5, s4 src0_sel:BYTE_0 src1_sel:DWORD
	s_mov_b64 s[4:5], -1
                                        ; implicit-def: $sgpr10
	s_and_saveexec_b64 s[8:9], s[12:13]
; %bb.3814:
	s_mov_b32 s10, 0x7f800001
	s_xor_b64 s[4:5], exec, -1
; %bb.3815:
	s_or_b64 exec, exec, s[8:9]
	s_and_b64 s[4:5], s[4:5], exec
	s_or_saveexec_b64 s[6:7], s[6:7]
	v_mov_b32_e32 v3, s10
	s_xor_b64 exec, exec, s[6:7]
	s_cbranch_execz .LBB18_1766
.LBB18_3816:
	v_mov_b32_e32 v3, 0
	v_cmp_ne_u16_sdwa s[8:9], v5, v3 src0_sel:BYTE_0 src1_sel:DWORD
	s_andn2_b64 s[4:5], s[4:5], exec
	s_and_b64 s[8:9], s[8:9], exec
	s_or_b64 s[4:5], s[4:5], s[8:9]
	s_or_b64 exec, exec, s[6:7]
	s_and_saveexec_b64 s[6:7], s[4:5]
	s_cbranch_execnz .LBB18_1767
	s_branch .LBB18_1768
.LBB18_3817:
	s_movk_i32 s4, 0x80
	v_cmp_eq_u16_sdwa s[12:13], v3, s4 src0_sel:BYTE_0 src1_sel:DWORD
	s_mov_b64 s[4:5], -1
                                        ; implicit-def: $sgpr10
	s_and_saveexec_b64 s[8:9], s[12:13]
; %bb.3818:
	s_mov_b32 s10, 0x7f800001
	s_xor_b64 s[4:5], exec, -1
; %bb.3819:
	s_or_b64 exec, exec, s[8:9]
	s_and_b64 s[4:5], s[4:5], exec
	s_or_saveexec_b64 s[6:7], s[6:7]
	v_mov_b32_e32 v2, s10
	s_xor_b64 exec, exec, s[6:7]
	s_cbranch_execz .LBB18_1770
.LBB18_3820:
	v_mov_b32_e32 v2, 0
	v_cmp_ne_u16_sdwa s[8:9], v3, v2 src0_sel:BYTE_0 src1_sel:DWORD
	s_andn2_b64 s[4:5], s[4:5], exec
	s_and_b64 s[8:9], s[8:9], exec
	s_or_b64 s[4:5], s[4:5], s[8:9]
	s_or_b64 exec, exec, s[6:7]
	s_and_saveexec_b64 s[6:7], s[4:5]
	s_cbranch_execnz .LBB18_1771
	s_branch .LBB18_1772
.LBB18_3821:
	s_movk_i32 s4, 0x80
	v_cmp_eq_u16_sdwa s[12:13], v3, s4 src0_sel:BYTE_0 src1_sel:DWORD
	s_mov_b64 s[4:5], -1
                                        ; implicit-def: $sgpr10
	s_and_saveexec_b64 s[8:9], s[12:13]
; %bb.3822:
	s_mov_b32 s10, 0x7f800001
	s_xor_b64 s[4:5], exec, -1
; %bb.3823:
	s_or_b64 exec, exec, s[8:9]
	s_and_b64 s[4:5], s[4:5], exec
	s_or_saveexec_b64 s[6:7], s[6:7]
	v_mov_b32_e32 v4, s10
	s_xor_b64 exec, exec, s[6:7]
	s_cbranch_execz .LBB18_1774
.LBB18_3824:
	v_mov_b32_e32 v4, 0
	v_cmp_ne_u16_sdwa s[8:9], v3, v4 src0_sel:BYTE_0 src1_sel:DWORD
	s_andn2_b64 s[4:5], s[4:5], exec
	s_and_b64 s[8:9], s[8:9], exec
	s_or_b64 s[4:5], s[4:5], s[8:9]
	s_or_b64 exec, exec, s[6:7]
	s_and_saveexec_b64 s[6:7], s[4:5]
	s_cbranch_execnz .LBB18_1775
	s_branch .LBB18_1776
.LBB18_3825:
	s_movk_i32 s4, 0x80
	v_cmp_eq_u16_e32 vcc, s4, v3
	s_mov_b64 s[4:5], -1
                                        ; implicit-def: $sgpr10
	s_and_saveexec_b64 s[8:9], vcc
; %bb.3826:
	s_mov_b32 s10, 0x7f800001
	s_xor_b64 s[4:5], exec, -1
; %bb.3827:
	s_or_b64 exec, exec, s[8:9]
	s_and_b64 s[4:5], s[4:5], exec
                                        ; implicit-def: $vgpr3
	s_or_saveexec_b64 s[6:7], s[6:7]
	v_mov_b32_e32 v2, s10
	s_xor_b64 exec, exec, s[6:7]
	s_cbranch_execz .LBB18_1778
.LBB18_3828:
	v_cmp_ne_u16_e32 vcc, 0, v3
	s_andn2_b64 s[4:5], s[4:5], exec
	s_and_b64 s[8:9], vcc, exec
	v_mov_b32_e32 v2, 0
	s_or_b64 s[4:5], s[4:5], s[8:9]
	s_or_b64 exec, exec, s[6:7]
	s_and_saveexec_b64 s[6:7], s[4:5]
	s_cbranch_execnz .LBB18_1779
	s_branch .LBB18_1780
.LBB18_3829:
	s_movk_i32 s4, 0x80
	v_cmp_eq_u16_e32 vcc, s4, v3
	s_mov_b64 s[4:5], -1
                                        ; implicit-def: $sgpr10
	s_and_saveexec_b64 s[8:9], vcc
; %bb.3830:
	s_mov_b32 s10, 0x7f800001
	s_xor_b64 s[4:5], exec, -1
; %bb.3831:
	s_or_b64 exec, exec, s[8:9]
	s_and_b64 s[4:5], s[4:5], exec
                                        ; implicit-def: $vgpr3
	s_or_saveexec_b64 s[6:7], s[6:7]
	v_mov_b32_e32 v4, s10
	s_xor_b64 exec, exec, s[6:7]
	s_cbranch_execz .LBB18_1782
.LBB18_3832:
	v_cmp_ne_u16_e32 vcc, 0, v3
	s_andn2_b64 s[4:5], s[4:5], exec
	s_and_b64 s[8:9], vcc, exec
	v_mov_b32_e32 v4, 0
	s_or_b64 s[4:5], s[4:5], s[8:9]
	s_or_b64 exec, exec, s[6:7]
	s_and_saveexec_b64 s[6:7], s[4:5]
	s_cbranch_execnz .LBB18_1783
	s_branch .LBB18_1784
.LBB18_3833:
	s_movk_i32 s4, 0x80
	v_cmp_eq_u16_sdwa s[12:13], v9, s4 src0_sel:BYTE_3 src1_sel:DWORD
	s_mov_b64 s[4:5], -1
                                        ; implicit-def: $sgpr10
	s_and_saveexec_b64 s[8:9], s[12:13]
; %bb.3834:
	s_mov_b32 s10, 0x7f800001
	s_xor_b64 s[4:5], exec, -1
; %bb.3835:
	s_or_b64 exec, exec, s[8:9]
	s_and_b64 s[4:5], s[4:5], exec
	s_or_saveexec_b64 s[6:7], s[6:7]
	v_mov_b32_e32 v2, s10
	s_xor_b64 exec, exec, s[6:7]
	s_cbranch_execz .LBB18_1786
.LBB18_3836:
	v_mov_b32_e32 v2, 0
	v_cmp_ne_u16_sdwa s[8:9], v9, v2 src0_sel:BYTE_3 src1_sel:DWORD
	s_andn2_b64 s[4:5], s[4:5], exec
	s_and_b64 s[8:9], s[8:9], exec
	s_or_b64 s[4:5], s[4:5], s[8:9]
	s_or_b64 exec, exec, s[6:7]
	s_and_saveexec_b64 s[6:7], s[4:5]
	s_cbranch_execnz .LBB18_1787
	s_branch .LBB18_1788
.LBB18_3837:
	s_movk_i32 s4, 0x80
	v_cmp_eq_u16_sdwa s[12:13], v5, s4 src0_sel:BYTE_3 src1_sel:DWORD
	s_mov_b64 s[4:5], -1
                                        ; implicit-def: $sgpr10
	s_and_saveexec_b64 s[8:9], s[12:13]
; %bb.3838:
	s_mov_b32 s10, 0x7f800001
	s_xor_b64 s[4:5], exec, -1
; %bb.3839:
	s_or_b64 exec, exec, s[8:9]
	s_and_b64 s[4:5], s[4:5], exec
	s_or_saveexec_b64 s[6:7], s[6:7]
	v_mov_b32_e32 v3, s10
	s_xor_b64 exec, exec, s[6:7]
	s_cbranch_execz .LBB18_1790
.LBB18_3840:
	v_mov_b32_e32 v3, 0
	v_cmp_ne_u16_sdwa s[8:9], v5, v3 src0_sel:BYTE_3 src1_sel:DWORD
	s_andn2_b64 s[4:5], s[4:5], exec
	s_and_b64 s[8:9], s[8:9], exec
	s_or_b64 s[4:5], s[4:5], s[8:9]
	s_or_b64 exec, exec, s[6:7]
	s_and_saveexec_b64 s[6:7], s[4:5]
	s_cbranch_execnz .LBB18_1791
	s_branch .LBB18_1792
.LBB18_3841:
	s_movk_i32 s4, 0x80
	v_cmp_eq_u16_sdwa s[12:13], v12, s4 src0_sel:BYTE_0 src1_sel:DWORD
	s_mov_b64 s[4:5], -1
                                        ; implicit-def: $sgpr10
	s_and_saveexec_b64 s[8:9], s[12:13]
; %bb.3842:
	s_mov_b32 s10, 0x7f800001
	s_xor_b64 s[4:5], exec, -1
; %bb.3843:
	s_or_b64 exec, exec, s[8:9]
	s_and_b64 s[4:5], s[4:5], exec
	s_or_saveexec_b64 s[6:7], s[6:7]
	v_mov_b32_e32 v18, s10
	s_xor_b64 exec, exec, s[6:7]
	s_cbranch_execz .LBB18_1794
.LBB18_3844:
	v_mov_b32_e32 v18, 0
	v_cmp_ne_u16_sdwa s[8:9], v12, v18 src0_sel:BYTE_0 src1_sel:DWORD
	s_andn2_b64 s[4:5], s[4:5], exec
	s_and_b64 s[8:9], s[8:9], exec
	s_or_b64 s[4:5], s[4:5], s[8:9]
	s_or_b64 exec, exec, s[6:7]
	s_and_saveexec_b64 s[6:7], s[4:5]
	s_cbranch_execnz .LBB18_1795
	s_branch .LBB18_1796
.LBB18_3845:
	s_movk_i32 s4, 0x80
	v_cmp_eq_u16_sdwa s[12:13], v8, s4 src0_sel:BYTE_0 src1_sel:DWORD
	s_mov_b64 s[4:5], -1
                                        ; implicit-def: $sgpr10
	s_and_saveexec_b64 s[8:9], s[12:13]
; %bb.3846:
	s_mov_b32 s10, 0x7f800001
	s_xor_b64 s[4:5], exec, -1
; %bb.3847:
	s_or_b64 exec, exec, s[8:9]
	s_and_b64 s[4:5], s[4:5], exec
	s_or_saveexec_b64 s[6:7], s[6:7]
	v_mov_b32_e32 v19, s10
	s_xor_b64 exec, exec, s[6:7]
	s_cbranch_execz .LBB18_1798
.LBB18_3848:
	v_mov_b32_e32 v19, 0
	v_cmp_ne_u16_sdwa s[8:9], v8, v19 src0_sel:BYTE_0 src1_sel:DWORD
	s_andn2_b64 s[4:5], s[4:5], exec
	s_and_b64 s[8:9], s[8:9], exec
	s_or_b64 s[4:5], s[4:5], s[8:9]
	s_or_b64 exec, exec, s[6:7]
	s_and_saveexec_b64 s[6:7], s[4:5]
	s_cbranch_execnz .LBB18_1799
	s_branch .LBB18_1800
.LBB18_3849:
	s_movk_i32 s4, 0x80
	v_cmp_eq_u16_sdwa s[12:13], v19, s4 src0_sel:BYTE_0 src1_sel:DWORD
	s_mov_b64 s[4:5], -1
                                        ; implicit-def: $sgpr10
	s_and_saveexec_b64 s[8:9], s[12:13]
; %bb.3850:
	s_mov_b32 s10, 0x7f800001
	s_xor_b64 s[4:5], exec, -1
; %bb.3851:
	s_or_b64 exec, exec, s[8:9]
	s_and_b64 s[4:5], s[4:5], exec
	s_or_saveexec_b64 s[6:7], s[6:7]
	v_mov_b32_e32 v18, s10
	s_xor_b64 exec, exec, s[6:7]
	s_cbranch_execz .LBB18_1802
.LBB18_3852:
	v_mov_b32_e32 v18, 0
	v_cmp_ne_u16_sdwa s[8:9], v19, v18 src0_sel:BYTE_0 src1_sel:DWORD
	s_andn2_b64 s[4:5], s[4:5], exec
	s_and_b64 s[8:9], s[8:9], exec
	s_or_b64 s[4:5], s[4:5], s[8:9]
	s_or_b64 exec, exec, s[6:7]
	s_and_saveexec_b64 s[6:7], s[4:5]
	s_cbranch_execnz .LBB18_1803
	s_branch .LBB18_1804
.LBB18_3853:
	s_movk_i32 s4, 0x80
	v_cmp_eq_u16_sdwa s[12:13], v19, s4 src0_sel:BYTE_0 src1_sel:DWORD
	s_mov_b64 s[4:5], -1
                                        ; implicit-def: $sgpr10
	s_and_saveexec_b64 s[8:9], s[12:13]
; %bb.3854:
	s_mov_b32 s10, 0x7f800001
	s_xor_b64 s[4:5], exec, -1
; %bb.3855:
	s_or_b64 exec, exec, s[8:9]
	s_and_b64 s[4:5], s[4:5], exec
	s_or_saveexec_b64 s[6:7], s[6:7]
	v_mov_b32_e32 v20, s10
	s_xor_b64 exec, exec, s[6:7]
	s_cbranch_execz .LBB18_1806
.LBB18_3856:
	v_mov_b32_e32 v20, 0
	v_cmp_ne_u16_sdwa s[8:9], v19, v20 src0_sel:BYTE_0 src1_sel:DWORD
	s_andn2_b64 s[4:5], s[4:5], exec
	s_and_b64 s[8:9], s[8:9], exec
	s_or_b64 s[4:5], s[4:5], s[8:9]
	s_or_b64 exec, exec, s[6:7]
	s_and_saveexec_b64 s[6:7], s[4:5]
	s_cbranch_execnz .LBB18_1807
	s_branch .LBB18_1808
.LBB18_3857:
	s_movk_i32 s4, 0x80
	v_cmp_eq_u16_e32 vcc, s4, v19
	s_mov_b64 s[4:5], -1
                                        ; implicit-def: $sgpr10
	s_and_saveexec_b64 s[8:9], vcc
; %bb.3858:
	s_mov_b32 s10, 0x7f800001
	s_xor_b64 s[4:5], exec, -1
; %bb.3859:
	s_or_b64 exec, exec, s[8:9]
	s_and_b64 s[4:5], s[4:5], exec
                                        ; implicit-def: $vgpr19
	s_or_saveexec_b64 s[6:7], s[6:7]
	v_mov_b32_e32 v18, s10
	s_xor_b64 exec, exec, s[6:7]
	s_cbranch_execz .LBB18_1810
.LBB18_3860:
	v_cmp_ne_u16_e32 vcc, 0, v19
	s_andn2_b64 s[4:5], s[4:5], exec
	s_and_b64 s[8:9], vcc, exec
	v_mov_b32_e32 v18, 0
	s_or_b64 s[4:5], s[4:5], s[8:9]
	s_or_b64 exec, exec, s[6:7]
	s_and_saveexec_b64 s[6:7], s[4:5]
	s_cbranch_execnz .LBB18_1811
	s_branch .LBB18_1812
.LBB18_3861:
	s_movk_i32 s4, 0x80
	v_cmp_eq_u16_e32 vcc, s4, v19
	s_mov_b64 s[4:5], -1
                                        ; implicit-def: $sgpr10
	s_and_saveexec_b64 s[8:9], vcc
; %bb.3862:
	s_mov_b32 s10, 0x7f800001
	s_xor_b64 s[4:5], exec, -1
; %bb.3863:
	s_or_b64 exec, exec, s[8:9]
	s_and_b64 s[4:5], s[4:5], exec
                                        ; implicit-def: $vgpr19
	s_or_saveexec_b64 s[6:7], s[6:7]
	v_mov_b32_e32 v20, s10
	s_xor_b64 exec, exec, s[6:7]
	s_cbranch_execz .LBB18_1814
.LBB18_3864:
	v_cmp_ne_u16_e32 vcc, 0, v19
	s_andn2_b64 s[4:5], s[4:5], exec
	s_and_b64 s[8:9], vcc, exec
	v_mov_b32_e32 v20, 0
	s_or_b64 s[4:5], s[4:5], s[8:9]
	s_or_b64 exec, exec, s[6:7]
	s_and_saveexec_b64 s[6:7], s[4:5]
	s_cbranch_execnz .LBB18_1815
	s_branch .LBB18_1816
.LBB18_3865:
	s_movk_i32 s4, 0x80
	v_cmp_eq_u16_sdwa s[12:13], v12, s4 src0_sel:BYTE_3 src1_sel:DWORD
	s_mov_b64 s[4:5], -1
                                        ; implicit-def: $sgpr10
	s_and_saveexec_b64 s[8:9], s[12:13]
; %bb.3866:
	s_mov_b32 s10, 0x7f800001
	s_xor_b64 s[4:5], exec, -1
; %bb.3867:
	s_or_b64 exec, exec, s[8:9]
	s_and_b64 s[4:5], s[4:5], exec
	s_or_saveexec_b64 s[6:7], s[6:7]
	v_mov_b32_e32 v18, s10
	s_xor_b64 exec, exec, s[6:7]
	s_cbranch_execz .LBB18_1818
.LBB18_3868:
	v_mov_b32_e32 v18, 0
	v_cmp_ne_u16_sdwa s[8:9], v12, v18 src0_sel:BYTE_3 src1_sel:DWORD
	s_andn2_b64 s[4:5], s[4:5], exec
	s_and_b64 s[8:9], s[8:9], exec
	s_or_b64 s[4:5], s[4:5], s[8:9]
	s_or_b64 exec, exec, s[6:7]
	s_and_saveexec_b64 s[6:7], s[4:5]
	s_cbranch_execnz .LBB18_1819
	s_branch .LBB18_1820
.LBB18_3869:
	s_movk_i32 s4, 0x80
	v_cmp_eq_u16_sdwa s[12:13], v8, s4 src0_sel:BYTE_3 src1_sel:DWORD
	s_mov_b64 s[4:5], -1
                                        ; implicit-def: $sgpr10
	s_and_saveexec_b64 s[8:9], s[12:13]
; %bb.3870:
	s_mov_b32 s10, 0x7f800001
	s_xor_b64 s[4:5], exec, -1
; %bb.3871:
	s_or_b64 exec, exec, s[8:9]
	s_and_b64 s[4:5], s[4:5], exec
	s_or_saveexec_b64 s[6:7], s[6:7]
	v_mov_b32_e32 v12, s10
	s_xor_b64 exec, exec, s[6:7]
	s_cbranch_execz .LBB18_1822
.LBB18_3872:
	v_mov_b32_e32 v12, 0
	v_cmp_ne_u16_sdwa s[8:9], v8, v12 src0_sel:BYTE_3 src1_sel:DWORD
	s_andn2_b64 s[4:5], s[4:5], exec
	s_and_b64 s[8:9], s[8:9], exec
	s_or_b64 s[4:5], s[4:5], s[8:9]
	s_or_b64 exec, exec, s[6:7]
	s_and_saveexec_b64 s[6:7], s[4:5]
	s_cbranch_execnz .LBB18_1823
	s_branch .LBB18_1824
.LBB18_3873:
	s_movk_i32 s4, 0x80
	v_cmp_eq_u16_sdwa s[12:13], v13, s4 src0_sel:BYTE_0 src1_sel:DWORD
	s_mov_b64 s[4:5], -1
                                        ; implicit-def: $sgpr10
	s_and_saveexec_b64 s[8:9], s[12:13]
; %bb.3874:
	s_mov_b32 s10, 0x7f800001
	s_xor_b64 s[4:5], exec, -1
; %bb.3875:
	s_or_b64 exec, exec, s[8:9]
	s_and_b64 s[4:5], s[4:5], exec
	s_or_saveexec_b64 s[6:7], s[6:7]
	v_mov_b32_e32 v8, s10
	s_xor_b64 exec, exec, s[6:7]
	s_cbranch_execz .LBB18_1826
.LBB18_3876:
	v_mov_b32_e32 v8, 0
	v_cmp_ne_u16_sdwa s[8:9], v13, v8 src0_sel:BYTE_0 src1_sel:DWORD
	s_andn2_b64 s[4:5], s[4:5], exec
	s_and_b64 s[8:9], s[8:9], exec
	s_or_b64 s[4:5], s[4:5], s[8:9]
	s_or_b64 exec, exec, s[6:7]
	s_and_saveexec_b64 s[6:7], s[4:5]
	s_cbranch_execnz .LBB18_1827
	s_branch .LBB18_1828
.LBB18_3877:
	s_movk_i32 s4, 0x80
	v_cmp_eq_u16_sdwa s[12:13], v9, s4 src0_sel:BYTE_0 src1_sel:DWORD
	s_mov_b64 s[4:5], -1
                                        ; implicit-def: $sgpr10
	s_and_saveexec_b64 s[8:9], s[12:13]
; %bb.3878:
	s_mov_b32 s10, 0x7f800001
	s_xor_b64 s[4:5], exec, -1
; %bb.3879:
	s_or_b64 exec, exec, s[8:9]
	s_and_b64 s[4:5], s[4:5], exec
	s_or_saveexec_b64 s[6:7], s[6:7]
	v_mov_b32_e32 v12, s10
	s_xor_b64 exec, exec, s[6:7]
	s_cbranch_execz .LBB18_1830
.LBB18_3880:
	v_mov_b32_e32 v12, 0
	v_cmp_ne_u16_sdwa s[8:9], v9, v12 src0_sel:BYTE_0 src1_sel:DWORD
	s_andn2_b64 s[4:5], s[4:5], exec
	s_and_b64 s[8:9], s[8:9], exec
	s_or_b64 s[4:5], s[4:5], s[8:9]
	s_or_b64 exec, exec, s[6:7]
	s_and_saveexec_b64 s[6:7], s[4:5]
	s_cbranch_execnz .LBB18_1831
	s_branch .LBB18_1832
.LBB18_3881:
	s_movk_i32 s4, 0x80
	v_cmp_eq_u16_sdwa s[12:13], v12, s4 src0_sel:BYTE_0 src1_sel:DWORD
	s_mov_b64 s[4:5], -1
                                        ; implicit-def: $sgpr10
	s_and_saveexec_b64 s[8:9], s[12:13]
; %bb.3882:
	s_mov_b32 s10, 0x7f800001
	s_xor_b64 s[4:5], exec, -1
; %bb.3883:
	s_or_b64 exec, exec, s[8:9]
	s_and_b64 s[4:5], s[4:5], exec
	s_or_saveexec_b64 s[6:7], s[6:7]
	v_mov_b32_e32 v8, s10
	s_xor_b64 exec, exec, s[6:7]
	s_cbranch_execz .LBB18_1834
.LBB18_3884:
	v_mov_b32_e32 v8, 0
	v_cmp_ne_u16_sdwa s[8:9], v12, v8 src0_sel:BYTE_0 src1_sel:DWORD
	s_andn2_b64 s[4:5], s[4:5], exec
	s_and_b64 s[8:9], s[8:9], exec
	s_or_b64 s[4:5], s[4:5], s[8:9]
	s_or_b64 exec, exec, s[6:7]
	s_and_saveexec_b64 s[6:7], s[4:5]
	s_cbranch_execnz .LBB18_1835
	s_branch .LBB18_1836
.LBB18_3885:
	s_movk_i32 s4, 0x80
	v_cmp_eq_u16_sdwa s[12:13], v12, s4 src0_sel:BYTE_0 src1_sel:DWORD
	s_mov_b64 s[4:5], -1
                                        ; implicit-def: $sgpr10
	s_and_saveexec_b64 s[8:9], s[12:13]
; %bb.3886:
	s_mov_b32 s10, 0x7f800001
	s_xor_b64 s[4:5], exec, -1
; %bb.3887:
	s_or_b64 exec, exec, s[8:9]
	s_and_b64 s[4:5], s[4:5], exec
	s_or_saveexec_b64 s[6:7], s[6:7]
	v_mov_b32_e32 v18, s10
	s_xor_b64 exec, exec, s[6:7]
	s_cbranch_execz .LBB18_1838
.LBB18_3888:
	v_mov_b32_e32 v18, 0
	v_cmp_ne_u16_sdwa s[8:9], v12, v18 src0_sel:BYTE_0 src1_sel:DWORD
	s_andn2_b64 s[4:5], s[4:5], exec
	s_and_b64 s[8:9], s[8:9], exec
	s_or_b64 s[4:5], s[4:5], s[8:9]
	s_or_b64 exec, exec, s[6:7]
	s_and_saveexec_b64 s[6:7], s[4:5]
	s_cbranch_execnz .LBB18_1839
	s_branch .LBB18_1840
.LBB18_3889:
	s_movk_i32 s4, 0x80
	v_cmp_eq_u16_e32 vcc, s4, v12
	s_mov_b64 s[4:5], -1
                                        ; implicit-def: $sgpr10
	s_and_saveexec_b64 s[8:9], vcc
; %bb.3890:
	s_mov_b32 s10, 0x7f800001
	s_xor_b64 s[4:5], exec, -1
; %bb.3891:
	s_or_b64 exec, exec, s[8:9]
	s_and_b64 s[4:5], s[4:5], exec
                                        ; implicit-def: $vgpr12
	s_or_saveexec_b64 s[6:7], s[6:7]
	v_mov_b32_e32 v8, s10
	s_xor_b64 exec, exec, s[6:7]
	s_cbranch_execz .LBB18_1842
.LBB18_3892:
	v_cmp_ne_u16_e32 vcc, 0, v12
	s_andn2_b64 s[4:5], s[4:5], exec
	s_and_b64 s[8:9], vcc, exec
	v_mov_b32_e32 v8, 0
	s_or_b64 s[4:5], s[4:5], s[8:9]
	s_or_b64 exec, exec, s[6:7]
	s_and_saveexec_b64 s[6:7], s[4:5]
	s_cbranch_execnz .LBB18_1843
	s_branch .LBB18_1844
.LBB18_3893:
	s_movk_i32 s4, 0x80
	v_cmp_eq_u16_e32 vcc, s4, v12
	s_mov_b64 s[4:5], -1
                                        ; implicit-def: $sgpr10
	s_and_saveexec_b64 s[8:9], vcc
; %bb.3894:
	s_mov_b32 s10, 0x7f800001
	s_xor_b64 s[4:5], exec, -1
; %bb.3895:
	s_or_b64 exec, exec, s[8:9]
	s_and_b64 s[4:5], s[4:5], exec
                                        ; implicit-def: $vgpr12
	s_or_saveexec_b64 s[6:7], s[6:7]
	v_mov_b32_e32 v18, s10
	s_xor_b64 exec, exec, s[6:7]
	s_cbranch_execz .LBB18_1846
.LBB18_3896:
	v_cmp_ne_u16_e32 vcc, 0, v12
	s_andn2_b64 s[4:5], s[4:5], exec
	s_and_b64 s[8:9], vcc, exec
	v_mov_b32_e32 v18, 0
	s_or_b64 s[4:5], s[4:5], s[8:9]
	s_or_b64 exec, exec, s[6:7]
	s_and_saveexec_b64 s[6:7], s[4:5]
	s_cbranch_execnz .LBB18_1847
	s_branch .LBB18_1848
.LBB18_3897:
	s_movk_i32 s4, 0x80
	v_cmp_eq_u16_sdwa s[12:13], v13, s4 src0_sel:BYTE_3 src1_sel:DWORD
	s_mov_b64 s[4:5], -1
                                        ; implicit-def: $sgpr10
	s_and_saveexec_b64 s[8:9], s[12:13]
; %bb.3898:
	s_mov_b32 s10, 0x7f800001
	s_xor_b64 s[4:5], exec, -1
; %bb.3899:
	s_or_b64 exec, exec, s[8:9]
	s_and_b64 s[4:5], s[4:5], exec
	s_or_saveexec_b64 s[6:7], s[6:7]
	v_mov_b32_e32 v8, s10
	s_xor_b64 exec, exec, s[6:7]
	s_cbranch_execz .LBB18_1850
.LBB18_3900:
	v_mov_b32_e32 v8, 0
	v_cmp_ne_u16_sdwa s[8:9], v13, v8 src0_sel:BYTE_3 src1_sel:DWORD
	s_andn2_b64 s[4:5], s[4:5], exec
	s_and_b64 s[8:9], s[8:9], exec
	s_or_b64 s[4:5], s[4:5], s[8:9]
	s_or_b64 exec, exec, s[6:7]
	s_and_saveexec_b64 s[6:7], s[4:5]
	s_cbranch_execnz .LBB18_1851
	s_branch .LBB18_1852
.LBB18_3901:
	s_movk_i32 s4, 0x80
	v_cmp_eq_u16_sdwa s[12:13], v9, s4 src0_sel:BYTE_3 src1_sel:DWORD
	s_mov_b64 s[4:5], -1
                                        ; implicit-def: $sgpr10
	s_and_saveexec_b64 s[8:9], s[12:13]
; %bb.3902:
	s_mov_b32 s10, 0x7f800001
	s_xor_b64 s[4:5], exec, -1
; %bb.3903:
	s_or_b64 exec, exec, s[8:9]
	s_and_b64 s[4:5], s[4:5], exec
	s_or_saveexec_b64 s[6:7], s[6:7]
	v_mov_b32_e32 v12, s10
	s_xor_b64 exec, exec, s[6:7]
	s_cbranch_execz .LBB18_1854
.LBB18_3904:
	v_mov_b32_e32 v12, 0
	v_cmp_ne_u16_sdwa s[8:9], v9, v12 src0_sel:BYTE_3 src1_sel:DWORD
	s_andn2_b64 s[4:5], s[4:5], exec
	s_and_b64 s[8:9], s[8:9], exec
	s_or_b64 s[4:5], s[4:5], s[8:9]
	s_or_b64 exec, exec, s[6:7]
	s_and_saveexec_b64 s[6:7], s[4:5]
	s_cbranch_execnz .LBB18_1855
	s_branch .LBB18_1856
.LBB18_3905:
	s_movk_i32 s4, 0x80
	v_cmp_eq_u16_sdwa s[12:13], v14, s4 src0_sel:BYTE_0 src1_sel:DWORD
	s_mov_b64 s[4:5], -1
                                        ; implicit-def: $sgpr10
	s_and_saveexec_b64 s[8:9], s[12:13]
; %bb.3906:
	s_mov_b32 s10, 0x7f800001
	s_xor_b64 s[4:5], exec, -1
; %bb.3907:
	s_or_b64 exec, exec, s[8:9]
	s_and_b64 s[4:5], s[4:5], exec
	s_or_saveexec_b64 s[6:7], s[6:7]
	v_mov_b32_e32 v8, s10
	s_xor_b64 exec, exec, s[6:7]
	s_cbranch_execz .LBB18_1858
.LBB18_3908:
	v_mov_b32_e32 v8, 0
	v_cmp_ne_u16_sdwa s[8:9], v14, v8 src0_sel:BYTE_0 src1_sel:DWORD
	s_andn2_b64 s[4:5], s[4:5], exec
	s_and_b64 s[8:9], s[8:9], exec
	s_or_b64 s[4:5], s[4:5], s[8:9]
	s_or_b64 exec, exec, s[6:7]
	s_and_saveexec_b64 s[6:7], s[4:5]
	s_cbranch_execnz .LBB18_1859
	s_branch .LBB18_1860
.LBB18_3909:
	s_movk_i32 s4, 0x80
	v_cmp_eq_u16_sdwa s[12:13], v10, s4 src0_sel:BYTE_0 src1_sel:DWORD
	s_mov_b64 s[4:5], -1
                                        ; implicit-def: $sgpr10
	s_and_saveexec_b64 s[8:9], s[12:13]
; %bb.3910:
	s_mov_b32 s10, 0x7f800001
	s_xor_b64 s[4:5], exec, -1
; %bb.3911:
	s_or_b64 exec, exec, s[8:9]
	s_and_b64 s[4:5], s[4:5], exec
	s_or_saveexec_b64 s[6:7], s[6:7]
	v_mov_b32_e32 v9, s10
	s_xor_b64 exec, exec, s[6:7]
	s_cbranch_execz .LBB18_1862
.LBB18_3912:
	v_mov_b32_e32 v9, 0
	v_cmp_ne_u16_sdwa s[8:9], v10, v9 src0_sel:BYTE_0 src1_sel:DWORD
	s_andn2_b64 s[4:5], s[4:5], exec
	s_and_b64 s[8:9], s[8:9], exec
	s_or_b64 s[4:5], s[4:5], s[8:9]
	s_or_b64 exec, exec, s[6:7]
	s_and_saveexec_b64 s[6:7], s[4:5]
	s_cbranch_execnz .LBB18_1863
	s_branch .LBB18_1864
.LBB18_3913:
	s_movk_i32 s4, 0x80
	v_cmp_eq_u16_sdwa s[12:13], v9, s4 src0_sel:BYTE_0 src1_sel:DWORD
	s_mov_b64 s[4:5], -1
                                        ; implicit-def: $sgpr10
	s_and_saveexec_b64 s[8:9], s[12:13]
; %bb.3914:
	s_mov_b32 s10, 0x7f800001
	s_xor_b64 s[4:5], exec, -1
; %bb.3915:
	s_or_b64 exec, exec, s[8:9]
	s_and_b64 s[4:5], s[4:5], exec
	s_or_saveexec_b64 s[6:7], s[6:7]
	v_mov_b32_e32 v8, s10
	s_xor_b64 exec, exec, s[6:7]
	s_cbranch_execz .LBB18_1866
.LBB18_3916:
	v_mov_b32_e32 v8, 0
	v_cmp_ne_u16_sdwa s[8:9], v9, v8 src0_sel:BYTE_0 src1_sel:DWORD
	s_andn2_b64 s[4:5], s[4:5], exec
	s_and_b64 s[8:9], s[8:9], exec
	s_or_b64 s[4:5], s[4:5], s[8:9]
	s_or_b64 exec, exec, s[6:7]
	s_and_saveexec_b64 s[6:7], s[4:5]
	s_cbranch_execnz .LBB18_1867
	s_branch .LBB18_1868
.LBB18_3917:
	s_movk_i32 s4, 0x80
	v_cmp_eq_u16_sdwa s[12:13], v9, s4 src0_sel:BYTE_0 src1_sel:DWORD
	s_mov_b64 s[4:5], -1
                                        ; implicit-def: $sgpr10
	s_and_saveexec_b64 s[8:9], s[12:13]
; %bb.3918:
	s_mov_b32 s10, 0x7f800001
	s_xor_b64 s[4:5], exec, -1
; %bb.3919:
	s_or_b64 exec, exec, s[8:9]
	s_and_b64 s[4:5], s[4:5], exec
	s_or_saveexec_b64 s[6:7], s[6:7]
	v_mov_b32_e32 v12, s10
	s_xor_b64 exec, exec, s[6:7]
	s_cbranch_execz .LBB18_1870
.LBB18_3920:
	v_mov_b32_e32 v12, 0
	v_cmp_ne_u16_sdwa s[8:9], v9, v12 src0_sel:BYTE_0 src1_sel:DWORD
	s_andn2_b64 s[4:5], s[4:5], exec
	s_and_b64 s[8:9], s[8:9], exec
	s_or_b64 s[4:5], s[4:5], s[8:9]
	s_or_b64 exec, exec, s[6:7]
	s_and_saveexec_b64 s[6:7], s[4:5]
	s_cbranch_execnz .LBB18_1871
	s_branch .LBB18_1872
.LBB18_3921:
	s_movk_i32 s4, 0x80
	v_cmp_eq_u16_e32 vcc, s4, v9
	s_mov_b64 s[4:5], -1
                                        ; implicit-def: $sgpr10
	s_and_saveexec_b64 s[8:9], vcc
; %bb.3922:
	s_mov_b32 s10, 0x7f800001
	s_xor_b64 s[4:5], exec, -1
; %bb.3923:
	s_or_b64 exec, exec, s[8:9]
	s_and_b64 s[4:5], s[4:5], exec
                                        ; implicit-def: $vgpr9
	s_or_saveexec_b64 s[6:7], s[6:7]
	v_mov_b32_e32 v8, s10
	s_xor_b64 exec, exec, s[6:7]
	s_cbranch_execz .LBB18_1874
.LBB18_3924:
	v_cmp_ne_u16_e32 vcc, 0, v9
	s_andn2_b64 s[4:5], s[4:5], exec
	s_and_b64 s[8:9], vcc, exec
	v_mov_b32_e32 v8, 0
	s_or_b64 s[4:5], s[4:5], s[8:9]
	s_or_b64 exec, exec, s[6:7]
	s_and_saveexec_b64 s[6:7], s[4:5]
	s_cbranch_execnz .LBB18_1875
	s_branch .LBB18_1876
.LBB18_3925:
	s_movk_i32 s4, 0x80
	v_cmp_eq_u16_e32 vcc, s4, v9
	s_mov_b64 s[4:5], -1
                                        ; implicit-def: $sgpr10
	s_and_saveexec_b64 s[8:9], vcc
; %bb.3926:
	s_mov_b32 s10, 0x7f800001
	s_xor_b64 s[4:5], exec, -1
; %bb.3927:
	s_or_b64 exec, exec, s[8:9]
	s_and_b64 s[4:5], s[4:5], exec
                                        ; implicit-def: $vgpr9
	s_or_saveexec_b64 s[6:7], s[6:7]
	v_mov_b32_e32 v12, s10
	s_xor_b64 exec, exec, s[6:7]
	s_cbranch_execz .LBB18_1878
.LBB18_3928:
	v_cmp_ne_u16_e32 vcc, 0, v9
	s_andn2_b64 s[4:5], s[4:5], exec
	s_and_b64 s[8:9], vcc, exec
	v_mov_b32_e32 v12, 0
	s_or_b64 s[4:5], s[4:5], s[8:9]
	s_or_b64 exec, exec, s[6:7]
	s_and_saveexec_b64 s[6:7], s[4:5]
	s_cbranch_execnz .LBB18_1879
	s_branch .LBB18_1880
.LBB18_3929:
	s_movk_i32 s4, 0x80
	v_cmp_eq_u16_sdwa s[12:13], v14, s4 src0_sel:BYTE_3 src1_sel:DWORD
	s_mov_b64 s[4:5], -1
                                        ; implicit-def: $sgpr10
	s_and_saveexec_b64 s[8:9], s[12:13]
; %bb.3930:
	s_mov_b32 s10, 0x7f800001
	s_xor_b64 s[4:5], exec, -1
; %bb.3931:
	s_or_b64 exec, exec, s[8:9]
	s_and_b64 s[4:5], s[4:5], exec
	s_or_saveexec_b64 s[6:7], s[6:7]
	v_mov_b32_e32 v8, s10
	s_xor_b64 exec, exec, s[6:7]
	s_cbranch_execz .LBB18_1882
.LBB18_3932:
	v_mov_b32_e32 v8, 0
	v_cmp_ne_u16_sdwa s[8:9], v14, v8 src0_sel:BYTE_3 src1_sel:DWORD
	s_andn2_b64 s[4:5], s[4:5], exec
	s_and_b64 s[8:9], s[8:9], exec
	s_or_b64 s[4:5], s[4:5], s[8:9]
	s_or_b64 exec, exec, s[6:7]
	s_and_saveexec_b64 s[6:7], s[4:5]
	s_cbranch_execnz .LBB18_1883
	s_branch .LBB18_1884
.LBB18_3933:
	s_movk_i32 s4, 0x80
	v_cmp_eq_u16_sdwa s[12:13], v10, s4 src0_sel:BYTE_3 src1_sel:DWORD
	s_mov_b64 s[4:5], -1
                                        ; implicit-def: $sgpr10
	s_and_saveexec_b64 s[8:9], s[12:13]
; %bb.3934:
	s_mov_b32 s10, 0x7f800001
	s_xor_b64 s[4:5], exec, -1
; %bb.3935:
	s_or_b64 exec, exec, s[8:9]
	s_and_b64 s[4:5], s[4:5], exec
	s_or_saveexec_b64 s[6:7], s[6:7]
	v_mov_b32_e32 v9, s10
	s_xor_b64 exec, exec, s[6:7]
	s_cbranch_execz .LBB18_1886
.LBB18_3936:
	v_mov_b32_e32 v9, 0
	v_cmp_ne_u16_sdwa s[8:9], v10, v9 src0_sel:BYTE_3 src1_sel:DWORD
	s_andn2_b64 s[4:5], s[4:5], exec
	s_and_b64 s[8:9], s[8:9], exec
	s_or_b64 s[4:5], s[4:5], s[8:9]
	s_or_b64 exec, exec, s[6:7]
	s_and_saveexec_b64 s[6:7], s[4:5]
	s_cbranch_execnz .LBB18_1887
	s_branch .LBB18_1888
.LBB18_3937:
	s_movk_i32 s4, 0x80
	v_cmp_eq_u16_sdwa s[12:13], v15, s4 src0_sel:BYTE_0 src1_sel:DWORD
	s_mov_b64 s[4:5], -1
                                        ; implicit-def: $sgpr10
	s_and_saveexec_b64 s[8:9], s[12:13]
; %bb.3938:
	s_mov_b32 s10, 0x7f800001
	s_xor_b64 s[4:5], exec, -1
; %bb.3939:
	s_or_b64 exec, exec, s[8:9]
	s_and_b64 s[4:5], s[4:5], exec
	s_or_saveexec_b64 s[6:7], s[6:7]
	v_mov_b32_e32 v8, s10
	s_xor_b64 exec, exec, s[6:7]
	s_cbranch_execz .LBB18_1890
.LBB18_3940:
	v_mov_b32_e32 v8, 0
	v_cmp_ne_u16_sdwa s[8:9], v15, v8 src0_sel:BYTE_0 src1_sel:DWORD
	s_andn2_b64 s[4:5], s[4:5], exec
	s_and_b64 s[8:9], s[8:9], exec
	s_or_b64 s[4:5], s[4:5], s[8:9]
	s_or_b64 exec, exec, s[6:7]
	s_and_saveexec_b64 s[6:7], s[4:5]
	s_cbranch_execnz .LBB18_1891
	s_branch .LBB18_1892
.LBB18_3941:
	s_movk_i32 s4, 0x80
	v_cmp_eq_u16_sdwa s[12:13], v11, s4 src0_sel:BYTE_0 src1_sel:DWORD
	s_mov_b64 s[4:5], -1
                                        ; implicit-def: $sgpr10
	s_and_saveexec_b64 s[8:9], s[12:13]
; %bb.3942:
	s_mov_b32 s10, 0x7f800001
	s_xor_b64 s[4:5], exec, -1
; %bb.3943:
	s_or_b64 exec, exec, s[8:9]
	s_and_b64 s[4:5], s[4:5], exec
	s_or_saveexec_b64 s[6:7], s[6:7]
	v_mov_b32_e32 v9, s10
	s_xor_b64 exec, exec, s[6:7]
	s_cbranch_execz .LBB18_1894
.LBB18_3944:
	v_mov_b32_e32 v9, 0
	v_cmp_ne_u16_sdwa s[8:9], v11, v9 src0_sel:BYTE_0 src1_sel:DWORD
	s_andn2_b64 s[4:5], s[4:5], exec
	s_and_b64 s[8:9], s[8:9], exec
	s_or_b64 s[4:5], s[4:5], s[8:9]
	s_or_b64 exec, exec, s[6:7]
	s_and_saveexec_b64 s[6:7], s[4:5]
	s_cbranch_execnz .LBB18_1895
	s_branch .LBB18_1896
.LBB18_3945:
	s_movk_i32 s4, 0x80
	v_cmp_eq_u16_sdwa s[12:13], v9, s4 src0_sel:BYTE_0 src1_sel:DWORD
	s_mov_b64 s[4:5], -1
                                        ; implicit-def: $sgpr10
	s_and_saveexec_b64 s[8:9], s[12:13]
; %bb.3946:
	s_mov_b32 s10, 0x7f800001
	s_xor_b64 s[4:5], exec, -1
; %bb.3947:
	s_or_b64 exec, exec, s[8:9]
	s_and_b64 s[4:5], s[4:5], exec
	s_or_saveexec_b64 s[6:7], s[6:7]
	v_mov_b32_e32 v8, s10
	s_xor_b64 exec, exec, s[6:7]
	s_cbranch_execz .LBB18_1898
.LBB18_3948:
	v_mov_b32_e32 v8, 0
	v_cmp_ne_u16_sdwa s[8:9], v9, v8 src0_sel:BYTE_0 src1_sel:DWORD
	s_andn2_b64 s[4:5], s[4:5], exec
	s_and_b64 s[8:9], s[8:9], exec
	s_or_b64 s[4:5], s[4:5], s[8:9]
	s_or_b64 exec, exec, s[6:7]
	s_and_saveexec_b64 s[6:7], s[4:5]
	s_cbranch_execnz .LBB18_1899
	s_branch .LBB18_1900
.LBB18_3949:
	s_movk_i32 s4, 0x80
	v_cmp_eq_u16_sdwa s[12:13], v9, s4 src0_sel:BYTE_0 src1_sel:DWORD
	s_mov_b64 s[4:5], -1
                                        ; implicit-def: $sgpr10
	s_and_saveexec_b64 s[8:9], s[12:13]
; %bb.3950:
	s_mov_b32 s10, 0x7f800001
	s_xor_b64 s[4:5], exec, -1
; %bb.3951:
	s_or_b64 exec, exec, s[8:9]
	s_and_b64 s[4:5], s[4:5], exec
	s_or_saveexec_b64 s[6:7], s[6:7]
	v_mov_b32_e32 v10, s10
	s_xor_b64 exec, exec, s[6:7]
	s_cbranch_execz .LBB18_1902
.LBB18_3952:
	v_mov_b32_e32 v10, 0
	v_cmp_ne_u16_sdwa s[8:9], v9, v10 src0_sel:BYTE_0 src1_sel:DWORD
	s_andn2_b64 s[4:5], s[4:5], exec
	s_and_b64 s[8:9], s[8:9], exec
	s_or_b64 s[4:5], s[4:5], s[8:9]
	s_or_b64 exec, exec, s[6:7]
	s_and_saveexec_b64 s[6:7], s[4:5]
	s_cbranch_execnz .LBB18_1903
	s_branch .LBB18_1904
.LBB18_3953:
	s_movk_i32 s4, 0x80
	v_cmp_eq_u16_e32 vcc, s4, v9
	s_mov_b64 s[4:5], -1
                                        ; implicit-def: $sgpr10
	s_and_saveexec_b64 s[8:9], vcc
; %bb.3954:
	s_mov_b32 s10, 0x7f800001
	s_xor_b64 s[4:5], exec, -1
; %bb.3955:
	s_or_b64 exec, exec, s[8:9]
	s_and_b64 s[4:5], s[4:5], exec
                                        ; implicit-def: $vgpr9
	s_or_saveexec_b64 s[6:7], s[6:7]
	v_mov_b32_e32 v8, s10
	s_xor_b64 exec, exec, s[6:7]
	s_cbranch_execz .LBB18_1906
.LBB18_3956:
	v_cmp_ne_u16_e32 vcc, 0, v9
	s_andn2_b64 s[4:5], s[4:5], exec
	s_and_b64 s[8:9], vcc, exec
	v_mov_b32_e32 v8, 0
	s_or_b64 s[4:5], s[4:5], s[8:9]
	s_or_b64 exec, exec, s[6:7]
	s_and_saveexec_b64 s[6:7], s[4:5]
	s_cbranch_execnz .LBB18_1907
	s_branch .LBB18_1908
.LBB18_3957:
	s_movk_i32 s4, 0x80
	v_cmp_eq_u16_e32 vcc, s4, v9
	s_mov_b64 s[4:5], -1
                                        ; implicit-def: $sgpr10
	s_and_saveexec_b64 s[8:9], vcc
; %bb.3958:
	s_mov_b32 s10, 0x7f800001
	s_xor_b64 s[4:5], exec, -1
; %bb.3959:
	s_or_b64 exec, exec, s[8:9]
	s_and_b64 s[4:5], s[4:5], exec
                                        ; implicit-def: $vgpr9
	s_or_saveexec_b64 s[6:7], s[6:7]
	v_mov_b32_e32 v10, s10
	s_xor_b64 exec, exec, s[6:7]
	s_cbranch_execz .LBB18_1910
.LBB18_3960:
	v_cmp_ne_u16_e32 vcc, 0, v9
	s_andn2_b64 s[4:5], s[4:5], exec
	s_and_b64 s[8:9], vcc, exec
	v_mov_b32_e32 v10, 0
	s_or_b64 s[4:5], s[4:5], s[8:9]
	s_or_b64 exec, exec, s[6:7]
	s_and_saveexec_b64 s[6:7], s[4:5]
	s_cbranch_execnz .LBB18_1911
	s_branch .LBB18_1912
.LBB18_3961:
	s_movk_i32 s4, 0x80
	v_cmp_eq_u16_sdwa s[12:13], v15, s4 src0_sel:BYTE_3 src1_sel:DWORD
	s_mov_b64 s[4:5], -1
                                        ; implicit-def: $sgpr10
	s_and_saveexec_b64 s[8:9], s[12:13]
; %bb.3962:
	s_mov_b32 s10, 0x7f800001
	s_xor_b64 s[4:5], exec, -1
; %bb.3963:
	s_or_b64 exec, exec, s[8:9]
	s_and_b64 s[4:5], s[4:5], exec
	s_or_saveexec_b64 s[6:7], s[6:7]
	v_mov_b32_e32 v8, s10
	s_xor_b64 exec, exec, s[6:7]
	s_cbranch_execz .LBB18_1914
.LBB18_3964:
	v_mov_b32_e32 v8, 0
	v_cmp_ne_u16_sdwa s[8:9], v15, v8 src0_sel:BYTE_3 src1_sel:DWORD
	s_andn2_b64 s[4:5], s[4:5], exec
	s_and_b64 s[8:9], s[8:9], exec
	s_or_b64 s[4:5], s[4:5], s[8:9]
	s_or_b64 exec, exec, s[6:7]
	s_and_saveexec_b64 s[6:7], s[4:5]
	s_cbranch_execnz .LBB18_1915
	s_branch .LBB18_1916
.LBB18_3965:
	s_movk_i32 s4, 0x80
	v_cmp_eq_u16_sdwa s[12:13], v11, s4 src0_sel:BYTE_3 src1_sel:DWORD
	s_mov_b64 s[4:5], -1
                                        ; implicit-def: $sgpr10
	s_and_saveexec_b64 s[8:9], s[12:13]
; %bb.3966:
	s_mov_b32 s10, 0x7f800001
	s_xor_b64 s[4:5], exec, -1
; %bb.3967:
	s_or_b64 exec, exec, s[8:9]
	s_and_b64 s[4:5], s[4:5], exec
	s_or_saveexec_b64 s[6:7], s[6:7]
	v_mov_b32_e32 v9, s10
	s_xor_b64 exec, exec, s[6:7]
	s_cbranch_execz .LBB18_1918
.LBB18_3968:
	v_mov_b32_e32 v9, 0
	v_cmp_ne_u16_sdwa s[8:9], v11, v9 src0_sel:BYTE_3 src1_sel:DWORD
	s_andn2_b64 s[4:5], s[4:5], exec
	s_and_b64 s[8:9], s[8:9], exec
	s_or_b64 s[4:5], s[4:5], s[8:9]
	s_or_b64 exec, exec, s[6:7]
	s_and_saveexec_b64 s[6:7], s[4:5]
	s_cbranch_execnz .LBB18_1919
	s_branch .LBB18_1920
.LBB18_3969:
	s_movk_i32 s4, 0x80
	v_cmp_eq_u16_sdwa s[12:13], v4, s4 src0_sel:BYTE_0 src1_sel:DWORD
	s_mov_b64 s[4:5], -1
                                        ; implicit-def: $sgpr10
	s_and_saveexec_b64 s[8:9], s[12:13]
; %bb.3970:
	s_mov_b32 s10, 0x7f800001
	s_xor_b64 s[4:5], exec, -1
; %bb.3971:
	s_or_b64 exec, exec, s[8:9]
	s_and_b64 s[4:5], s[4:5], exec
	s_or_saveexec_b64 s[6:7], s[6:7]
	v_mov_b32_e32 v8, s10
	s_xor_b64 exec, exec, s[6:7]
	s_cbranch_execz .LBB18_1922
.LBB18_3972:
	v_mov_b32_e32 v8, 0
	v_cmp_ne_u16_sdwa s[8:9], v4, v8 src0_sel:BYTE_0 src1_sel:DWORD
	s_andn2_b64 s[4:5], s[4:5], exec
	s_and_b64 s[8:9], s[8:9], exec
	s_or_b64 s[4:5], s[4:5], s[8:9]
	s_or_b64 exec, exec, s[6:7]
	s_and_saveexec_b64 s[6:7], s[4:5]
	s_cbranch_execnz .LBB18_1923
	s_branch .LBB18_1924
.LBB18_3973:
	s_movk_i32 s4, 0x80
	v_cmp_eq_u16_sdwa s[12:13], v0, s4 src0_sel:BYTE_0 src1_sel:DWORD
	s_mov_b64 s[4:5], -1
                                        ; implicit-def: $sgpr10
	s_and_saveexec_b64 s[8:9], s[12:13]
; %bb.3974:
	s_mov_b32 s10, 0x7f800001
	s_xor_b64 s[4:5], exec, -1
; %bb.3975:
	s_or_b64 exec, exec, s[8:9]
	s_and_b64 s[4:5], s[4:5], exec
	s_or_saveexec_b64 s[6:7], s[6:7]
	v_mov_b32_e32 v9, s10
	s_xor_b64 exec, exec, s[6:7]
	s_cbranch_execz .LBB18_1926
.LBB18_3976:
	v_mov_b32_e32 v9, 0
	v_cmp_ne_u16_sdwa s[8:9], v0, v9 src0_sel:BYTE_0 src1_sel:DWORD
	s_andn2_b64 s[4:5], s[4:5], exec
	s_and_b64 s[8:9], s[8:9], exec
	s_or_b64 s[4:5], s[4:5], s[8:9]
	s_or_b64 exec, exec, s[6:7]
	s_and_saveexec_b64 s[6:7], s[4:5]
	s_cbranch_execnz .LBB18_1927
	s_branch .LBB18_1928
.LBB18_3977:
	s_movk_i32 s4, 0x80
	v_cmp_eq_u16_sdwa s[12:13], v9, s4 src0_sel:BYTE_0 src1_sel:DWORD
	s_mov_b64 s[4:5], -1
                                        ; implicit-def: $sgpr10
	s_and_saveexec_b64 s[8:9], s[12:13]
; %bb.3978:
	s_mov_b32 s10, 0x7f800001
	s_xor_b64 s[4:5], exec, -1
; %bb.3979:
	s_or_b64 exec, exec, s[8:9]
	s_and_b64 s[4:5], s[4:5], exec
	s_or_saveexec_b64 s[6:7], s[6:7]
	v_mov_b32_e32 v8, s10
	s_xor_b64 exec, exec, s[6:7]
	s_cbranch_execz .LBB18_1930
.LBB18_3980:
	v_mov_b32_e32 v8, 0
	v_cmp_ne_u16_sdwa s[8:9], v9, v8 src0_sel:BYTE_0 src1_sel:DWORD
	s_andn2_b64 s[4:5], s[4:5], exec
	s_and_b64 s[8:9], s[8:9], exec
	s_or_b64 s[4:5], s[4:5], s[8:9]
	s_or_b64 exec, exec, s[6:7]
	s_and_saveexec_b64 s[6:7], s[4:5]
	s_cbranch_execnz .LBB18_1931
	s_branch .LBB18_1932
.LBB18_3981:
	s_movk_i32 s4, 0x80
	v_cmp_eq_u16_sdwa s[12:13], v9, s4 src0_sel:BYTE_0 src1_sel:DWORD
	s_mov_b64 s[4:5], -1
                                        ; implicit-def: $sgpr10
	s_and_saveexec_b64 s[8:9], s[12:13]
; %bb.3982:
	s_mov_b32 s10, 0x7f800001
	s_xor_b64 s[4:5], exec, -1
; %bb.3983:
	s_or_b64 exec, exec, s[8:9]
	s_and_b64 s[4:5], s[4:5], exec
	s_or_saveexec_b64 s[6:7], s[6:7]
	v_mov_b32_e32 v10, s10
	s_xor_b64 exec, exec, s[6:7]
	s_cbranch_execz .LBB18_1934
.LBB18_3984:
	v_mov_b32_e32 v10, 0
	v_cmp_ne_u16_sdwa s[8:9], v9, v10 src0_sel:BYTE_0 src1_sel:DWORD
	s_andn2_b64 s[4:5], s[4:5], exec
	s_and_b64 s[8:9], s[8:9], exec
	s_or_b64 s[4:5], s[4:5], s[8:9]
	s_or_b64 exec, exec, s[6:7]
	s_and_saveexec_b64 s[6:7], s[4:5]
	s_cbranch_execnz .LBB18_1935
	s_branch .LBB18_1936
.LBB18_3985:
	s_movk_i32 s4, 0x80
	v_cmp_eq_u16_e32 vcc, s4, v9
	s_mov_b64 s[4:5], -1
                                        ; implicit-def: $sgpr10
	s_and_saveexec_b64 s[8:9], vcc
; %bb.3986:
	s_mov_b32 s10, 0x7f800001
	s_xor_b64 s[4:5], exec, -1
; %bb.3987:
	s_or_b64 exec, exec, s[8:9]
	s_and_b64 s[4:5], s[4:5], exec
                                        ; implicit-def: $vgpr9
	s_or_saveexec_b64 s[6:7], s[6:7]
	v_mov_b32_e32 v8, s10
	s_xor_b64 exec, exec, s[6:7]
	s_cbranch_execz .LBB18_1938
.LBB18_3988:
	v_cmp_ne_u16_e32 vcc, 0, v9
	s_andn2_b64 s[4:5], s[4:5], exec
	s_and_b64 s[8:9], vcc, exec
	v_mov_b32_e32 v8, 0
	s_or_b64 s[4:5], s[4:5], s[8:9]
	s_or_b64 exec, exec, s[6:7]
	s_and_saveexec_b64 s[6:7], s[4:5]
	s_cbranch_execnz .LBB18_1939
	s_branch .LBB18_1940
.LBB18_3989:
	s_movk_i32 s4, 0x80
	v_cmp_eq_u16_e32 vcc, s4, v9
	s_mov_b64 s[4:5], -1
                                        ; implicit-def: $sgpr10
	s_and_saveexec_b64 s[8:9], vcc
; %bb.3990:
	s_mov_b32 s10, 0x7f800001
	s_xor_b64 s[4:5], exec, -1
; %bb.3991:
	s_or_b64 exec, exec, s[8:9]
	s_and_b64 s[4:5], s[4:5], exec
                                        ; implicit-def: $vgpr9
	s_or_saveexec_b64 s[6:7], s[6:7]
	v_mov_b32_e32 v10, s10
	s_xor_b64 exec, exec, s[6:7]
	s_cbranch_execz .LBB18_1942
.LBB18_3992:
	v_cmp_ne_u16_e32 vcc, 0, v9
	s_andn2_b64 s[4:5], s[4:5], exec
	s_and_b64 s[8:9], vcc, exec
	v_mov_b32_e32 v10, 0
	s_or_b64 s[4:5], s[4:5], s[8:9]
	s_or_b64 exec, exec, s[6:7]
	s_and_saveexec_b64 s[6:7], s[4:5]
	s_cbranch_execnz .LBB18_1943
	s_branch .LBB18_1944
.LBB18_3993:
	s_movk_i32 s4, 0x80
	v_cmp_eq_u16_sdwa s[12:13], v4, s4 src0_sel:BYTE_3 src1_sel:DWORD
	s_mov_b64 s[4:5], -1
                                        ; implicit-def: $sgpr10
	s_and_saveexec_b64 s[8:9], s[12:13]
; %bb.3994:
	s_mov_b32 s10, 0x7f800001
	s_xor_b64 s[4:5], exec, -1
; %bb.3995:
	s_or_b64 exec, exec, s[8:9]
	s_and_b64 s[4:5], s[4:5], exec
	s_or_saveexec_b64 s[6:7], s[6:7]
	v_mov_b32_e32 v8, s10
	s_xor_b64 exec, exec, s[6:7]
	s_cbranch_execz .LBB18_1946
.LBB18_3996:
	v_mov_b32_e32 v8, 0
	v_cmp_ne_u16_sdwa s[8:9], v4, v8 src0_sel:BYTE_3 src1_sel:DWORD
	s_andn2_b64 s[4:5], s[4:5], exec
	s_and_b64 s[8:9], s[8:9], exec
	s_or_b64 s[4:5], s[4:5], s[8:9]
	s_or_b64 exec, exec, s[6:7]
	s_and_saveexec_b64 s[6:7], s[4:5]
	s_cbranch_execnz .LBB18_1947
	s_branch .LBB18_1948
.LBB18_3997:
	s_movk_i32 s4, 0x80
	v_cmp_eq_u16_sdwa s[12:13], v0, s4 src0_sel:BYTE_3 src1_sel:DWORD
	s_mov_b64 s[4:5], -1
                                        ; implicit-def: $sgpr10
	s_and_saveexec_b64 s[8:9], s[12:13]
; %bb.3998:
	s_mov_b32 s10, 0x7f800001
	s_xor_b64 s[4:5], exec, -1
; %bb.3999:
	s_or_b64 exec, exec, s[8:9]
	s_and_b64 s[4:5], s[4:5], exec
	s_or_saveexec_b64 s[6:7], s[6:7]
	v_mov_b32_e32 v4, s10
	s_xor_b64 exec, exec, s[6:7]
	s_cbranch_execz .LBB18_1950
.LBB18_4000:
	v_mov_b32_e32 v4, 0
	v_cmp_ne_u16_sdwa s[8:9], v0, v4 src0_sel:BYTE_3 src1_sel:DWORD
	s_andn2_b64 s[4:5], s[4:5], exec
	s_and_b64 s[8:9], s[8:9], exec
	s_or_b64 s[4:5], s[4:5], s[8:9]
	s_or_b64 exec, exec, s[6:7]
	s_and_saveexec_b64 s[6:7], s[4:5]
	s_cbranch_execnz .LBB18_1951
	s_branch .LBB18_1952
.LBB18_4001:
	s_movk_i32 s4, 0x80
	v_cmp_eq_u16_sdwa s[12:13], v5, s4 src0_sel:BYTE_0 src1_sel:DWORD
	s_mov_b64 s[4:5], -1
                                        ; implicit-def: $sgpr10
	s_and_saveexec_b64 s[8:9], s[12:13]
; %bb.4002:
	s_mov_b32 s10, 0x7f800001
	s_xor_b64 s[4:5], exec, -1
; %bb.4003:
	s_or_b64 exec, exec, s[8:9]
	s_and_b64 s[4:5], s[4:5], exec
	s_or_saveexec_b64 s[6:7], s[6:7]
	v_mov_b32_e32 v0, s10
	s_xor_b64 exec, exec, s[6:7]
	s_cbranch_execz .LBB18_1954
.LBB18_4004:
	v_mov_b32_e32 v0, 0
	v_cmp_ne_u16_sdwa s[8:9], v5, v0 src0_sel:BYTE_0 src1_sel:DWORD
	s_andn2_b64 s[4:5], s[4:5], exec
	s_and_b64 s[8:9], s[8:9], exec
	s_or_b64 s[4:5], s[4:5], s[8:9]
	s_or_b64 exec, exec, s[6:7]
	s_and_saveexec_b64 s[6:7], s[4:5]
	s_cbranch_execnz .LBB18_1955
	s_branch .LBB18_1956
.LBB18_4005:
	s_movk_i32 s4, 0x80
	v_cmp_eq_u16_sdwa s[12:13], v1, s4 src0_sel:BYTE_0 src1_sel:DWORD
	s_mov_b64 s[4:5], -1
                                        ; implicit-def: $sgpr10
	s_and_saveexec_b64 s[8:9], s[12:13]
; %bb.4006:
	s_mov_b32 s10, 0x7f800001
	s_xor_b64 s[4:5], exec, -1
; %bb.4007:
	s_or_b64 exec, exec, s[8:9]
	s_and_b64 s[4:5], s[4:5], exec
	s_or_saveexec_b64 s[6:7], s[6:7]
	v_mov_b32_e32 v4, s10
	s_xor_b64 exec, exec, s[6:7]
	s_cbranch_execz .LBB18_1958
.LBB18_4008:
	v_mov_b32_e32 v4, 0
	v_cmp_ne_u16_sdwa s[8:9], v1, v4 src0_sel:BYTE_0 src1_sel:DWORD
	s_andn2_b64 s[4:5], s[4:5], exec
	s_and_b64 s[8:9], s[8:9], exec
	s_or_b64 s[4:5], s[4:5], s[8:9]
	s_or_b64 exec, exec, s[6:7]
	s_and_saveexec_b64 s[6:7], s[4:5]
	s_cbranch_execnz .LBB18_1959
	s_branch .LBB18_1960
.LBB18_4009:
	s_movk_i32 s4, 0x80
	v_cmp_eq_u16_sdwa s[12:13], v4, s4 src0_sel:BYTE_0 src1_sel:DWORD
	s_mov_b64 s[4:5], -1
                                        ; implicit-def: $sgpr10
	s_and_saveexec_b64 s[8:9], s[12:13]
; %bb.4010:
	s_mov_b32 s10, 0x7f800001
	s_xor_b64 s[4:5], exec, -1
; %bb.4011:
	s_or_b64 exec, exec, s[8:9]
	s_and_b64 s[4:5], s[4:5], exec
	s_or_saveexec_b64 s[6:7], s[6:7]
	v_mov_b32_e32 v0, s10
	s_xor_b64 exec, exec, s[6:7]
	s_cbranch_execz .LBB18_1962
.LBB18_4012:
	v_mov_b32_e32 v0, 0
	v_cmp_ne_u16_sdwa s[8:9], v4, v0 src0_sel:BYTE_0 src1_sel:DWORD
	s_andn2_b64 s[4:5], s[4:5], exec
	s_and_b64 s[8:9], s[8:9], exec
	s_or_b64 s[4:5], s[4:5], s[8:9]
	s_or_b64 exec, exec, s[6:7]
	s_and_saveexec_b64 s[6:7], s[4:5]
	s_cbranch_execnz .LBB18_1963
	s_branch .LBB18_1964
.LBB18_4013:
	s_movk_i32 s4, 0x80
	v_cmp_eq_u16_sdwa s[12:13], v4, s4 src0_sel:BYTE_0 src1_sel:DWORD
	s_mov_b64 s[4:5], -1
                                        ; implicit-def: $sgpr10
	s_and_saveexec_b64 s[8:9], s[12:13]
; %bb.4014:
	s_mov_b32 s10, 0x7f800001
	s_xor_b64 s[4:5], exec, -1
; %bb.4015:
	s_or_b64 exec, exec, s[8:9]
	s_and_b64 s[4:5], s[4:5], exec
	s_or_saveexec_b64 s[6:7], s[6:7]
	v_mov_b32_e32 v8, s10
	s_xor_b64 exec, exec, s[6:7]
	s_cbranch_execz .LBB18_1966
.LBB18_4016:
	v_mov_b32_e32 v8, 0
	v_cmp_ne_u16_sdwa s[8:9], v4, v8 src0_sel:BYTE_0 src1_sel:DWORD
	s_andn2_b64 s[4:5], s[4:5], exec
	s_and_b64 s[8:9], s[8:9], exec
	s_or_b64 s[4:5], s[4:5], s[8:9]
	s_or_b64 exec, exec, s[6:7]
	s_and_saveexec_b64 s[6:7], s[4:5]
	s_cbranch_execnz .LBB18_1967
	s_branch .LBB18_1968
.LBB18_4017:
	s_movk_i32 s4, 0x80
	v_cmp_eq_u16_e32 vcc, s4, v4
	s_mov_b64 s[4:5], -1
                                        ; implicit-def: $sgpr10
	s_and_saveexec_b64 s[8:9], vcc
; %bb.4018:
	s_mov_b32 s10, 0x7f800001
	s_xor_b64 s[4:5], exec, -1
; %bb.4019:
	s_or_b64 exec, exec, s[8:9]
	s_and_b64 s[4:5], s[4:5], exec
                                        ; implicit-def: $vgpr4
	s_or_saveexec_b64 s[6:7], s[6:7]
	v_mov_b32_e32 v0, s10
	s_xor_b64 exec, exec, s[6:7]
	s_cbranch_execz .LBB18_1970
.LBB18_4020:
	v_cmp_ne_u16_e32 vcc, 0, v4
	s_andn2_b64 s[4:5], s[4:5], exec
	s_and_b64 s[8:9], vcc, exec
	v_mov_b32_e32 v0, 0
	s_or_b64 s[4:5], s[4:5], s[8:9]
	s_or_b64 exec, exec, s[6:7]
	s_and_saveexec_b64 s[6:7], s[4:5]
	s_cbranch_execnz .LBB18_1971
	s_branch .LBB18_1972
.LBB18_4021:
	s_movk_i32 s4, 0x80
	v_cmp_eq_u16_e32 vcc, s4, v4
	s_mov_b64 s[4:5], -1
                                        ; implicit-def: $sgpr10
	s_and_saveexec_b64 s[8:9], vcc
; %bb.4022:
	s_mov_b32 s10, 0x7f800001
	s_xor_b64 s[4:5], exec, -1
; %bb.4023:
	s_or_b64 exec, exec, s[8:9]
	s_and_b64 s[4:5], s[4:5], exec
                                        ; implicit-def: $vgpr4
	s_or_saveexec_b64 s[6:7], s[6:7]
	v_mov_b32_e32 v8, s10
	s_xor_b64 exec, exec, s[6:7]
	s_cbranch_execz .LBB18_1974
.LBB18_4024:
	v_cmp_ne_u16_e32 vcc, 0, v4
	s_andn2_b64 s[4:5], s[4:5], exec
	s_and_b64 s[8:9], vcc, exec
	v_mov_b32_e32 v8, 0
	s_or_b64 s[4:5], s[4:5], s[8:9]
	s_or_b64 exec, exec, s[6:7]
	s_and_saveexec_b64 s[6:7], s[4:5]
	s_cbranch_execnz .LBB18_1975
	s_branch .LBB18_1976
.LBB18_4025:
	s_movk_i32 s4, 0x80
	v_cmp_eq_u16_sdwa s[12:13], v5, s4 src0_sel:BYTE_3 src1_sel:DWORD
	s_mov_b64 s[4:5], -1
                                        ; implicit-def: $sgpr10
	s_and_saveexec_b64 s[8:9], s[12:13]
; %bb.4026:
	s_mov_b32 s10, 0x7f800001
	s_xor_b64 s[4:5], exec, -1
; %bb.4027:
	s_or_b64 exec, exec, s[8:9]
	s_and_b64 s[4:5], s[4:5], exec
	s_or_saveexec_b64 s[6:7], s[6:7]
	v_mov_b32_e32 v0, s10
	s_xor_b64 exec, exec, s[6:7]
	s_cbranch_execz .LBB18_1978
.LBB18_4028:
	v_mov_b32_e32 v0, 0
	v_cmp_ne_u16_sdwa s[8:9], v5, v0 src0_sel:BYTE_3 src1_sel:DWORD
	s_andn2_b64 s[4:5], s[4:5], exec
	s_and_b64 s[8:9], s[8:9], exec
	s_or_b64 s[4:5], s[4:5], s[8:9]
	s_or_b64 exec, exec, s[6:7]
	s_and_saveexec_b64 s[6:7], s[4:5]
	s_cbranch_execnz .LBB18_1979
	s_branch .LBB18_1980
.LBB18_4029:
	s_movk_i32 s4, 0x80
	v_cmp_eq_u16_sdwa s[12:13], v1, s4 src0_sel:BYTE_3 src1_sel:DWORD
	s_mov_b64 s[4:5], -1
                                        ; implicit-def: $sgpr10
	s_and_saveexec_b64 s[8:9], s[12:13]
; %bb.4030:
	s_mov_b32 s10, 0x7f800001
	s_xor_b64 s[4:5], exec, -1
; %bb.4031:
	s_or_b64 exec, exec, s[8:9]
	s_and_b64 s[4:5], s[4:5], exec
	s_or_saveexec_b64 s[6:7], s[6:7]
	v_mov_b32_e32 v4, s10
	s_xor_b64 exec, exec, s[6:7]
	s_cbranch_execz .LBB18_1982
.LBB18_4032:
	v_mov_b32_e32 v4, 0
	v_cmp_ne_u16_sdwa s[8:9], v1, v4 src0_sel:BYTE_3 src1_sel:DWORD
	s_andn2_b64 s[4:5], s[4:5], exec
	s_and_b64 s[8:9], s[8:9], exec
	s_or_b64 s[4:5], s[4:5], s[8:9]
	s_or_b64 exec, exec, s[6:7]
	s_and_saveexec_b64 s[6:7], s[4:5]
	s_cbranch_execnz .LBB18_1983
	s_branch .LBB18_1984
.LBB18_4033:
	s_movk_i32 s4, 0x80
	v_cmp_eq_u16_sdwa s[12:13], v6, s4 src0_sel:BYTE_0 src1_sel:DWORD
	s_mov_b64 s[4:5], -1
                                        ; implicit-def: $sgpr10
	s_and_saveexec_b64 s[8:9], s[12:13]
; %bb.4034:
	s_mov_b32 s10, 0x7f800001
	s_xor_b64 s[4:5], exec, -1
; %bb.4035:
	s_or_b64 exec, exec, s[8:9]
	s_and_b64 s[4:5], s[4:5], exec
	s_or_saveexec_b64 s[6:7], s[6:7]
	v_mov_b32_e32 v0, s10
	s_xor_b64 exec, exec, s[6:7]
	s_cbranch_execz .LBB18_1986
.LBB18_4036:
	v_mov_b32_e32 v0, 0
	v_cmp_ne_u16_sdwa s[8:9], v6, v0 src0_sel:BYTE_0 src1_sel:DWORD
	s_andn2_b64 s[4:5], s[4:5], exec
	s_and_b64 s[8:9], s[8:9], exec
	s_or_b64 s[4:5], s[4:5], s[8:9]
	s_or_b64 exec, exec, s[6:7]
	s_and_saveexec_b64 s[6:7], s[4:5]
	s_cbranch_execnz .LBB18_1987
	s_branch .LBB18_1988
.LBB18_4037:
	s_movk_i32 s4, 0x80
	v_cmp_eq_u16_sdwa s[12:13], v2, s4 src0_sel:BYTE_0 src1_sel:DWORD
	s_mov_b64 s[4:5], -1
                                        ; implicit-def: $sgpr10
	s_and_saveexec_b64 s[8:9], s[12:13]
; %bb.4038:
	s_mov_b32 s10, 0x7f800001
	s_xor_b64 s[4:5], exec, -1
; %bb.4039:
	s_or_b64 exec, exec, s[8:9]
	s_and_b64 s[4:5], s[4:5], exec
	s_or_saveexec_b64 s[6:7], s[6:7]
	v_mov_b32_e32 v1, s10
	s_xor_b64 exec, exec, s[6:7]
	s_cbranch_execz .LBB18_1990
.LBB18_4040:
	v_mov_b32_e32 v1, 0
	v_cmp_ne_u16_sdwa s[8:9], v2, v1 src0_sel:BYTE_0 src1_sel:DWORD
	s_andn2_b64 s[4:5], s[4:5], exec
	s_and_b64 s[8:9], s[8:9], exec
	s_or_b64 s[4:5], s[4:5], s[8:9]
	s_or_b64 exec, exec, s[6:7]
	s_and_saveexec_b64 s[6:7], s[4:5]
	s_cbranch_execnz .LBB18_1991
	s_branch .LBB18_1992
.LBB18_4041:
	s_movk_i32 s4, 0x80
	v_cmp_eq_u16_sdwa s[12:13], v1, s4 src0_sel:BYTE_0 src1_sel:DWORD
	s_mov_b64 s[4:5], -1
                                        ; implicit-def: $sgpr10
	s_and_saveexec_b64 s[8:9], s[12:13]
; %bb.4042:
	s_mov_b32 s10, 0x7f800001
	s_xor_b64 s[4:5], exec, -1
; %bb.4043:
	s_or_b64 exec, exec, s[8:9]
	s_and_b64 s[4:5], s[4:5], exec
	s_or_saveexec_b64 s[6:7], s[6:7]
	v_mov_b32_e32 v0, s10
	s_xor_b64 exec, exec, s[6:7]
	s_cbranch_execz .LBB18_1994
.LBB18_4044:
	v_mov_b32_e32 v0, 0
	v_cmp_ne_u16_sdwa s[8:9], v1, v0 src0_sel:BYTE_0 src1_sel:DWORD
	s_andn2_b64 s[4:5], s[4:5], exec
	s_and_b64 s[8:9], s[8:9], exec
	s_or_b64 s[4:5], s[4:5], s[8:9]
	s_or_b64 exec, exec, s[6:7]
	s_and_saveexec_b64 s[6:7], s[4:5]
	s_cbranch_execnz .LBB18_1995
	s_branch .LBB18_1996
.LBB18_4045:
	s_movk_i32 s4, 0x80
	v_cmp_eq_u16_sdwa s[12:13], v1, s4 src0_sel:BYTE_0 src1_sel:DWORD
	s_mov_b64 s[4:5], -1
                                        ; implicit-def: $sgpr10
	s_and_saveexec_b64 s[8:9], s[12:13]
; %bb.4046:
	s_mov_b32 s10, 0x7f800001
	s_xor_b64 s[4:5], exec, -1
; %bb.4047:
	s_or_b64 exec, exec, s[8:9]
	s_and_b64 s[4:5], s[4:5], exec
	s_or_saveexec_b64 s[6:7], s[6:7]
	v_mov_b32_e32 v4, s10
	s_xor_b64 exec, exec, s[6:7]
	s_cbranch_execz .LBB18_1998
.LBB18_4048:
	v_mov_b32_e32 v4, 0
	v_cmp_ne_u16_sdwa s[8:9], v1, v4 src0_sel:BYTE_0 src1_sel:DWORD
	s_andn2_b64 s[4:5], s[4:5], exec
	s_and_b64 s[8:9], s[8:9], exec
	s_or_b64 s[4:5], s[4:5], s[8:9]
	s_or_b64 exec, exec, s[6:7]
	s_and_saveexec_b64 s[6:7], s[4:5]
	s_cbranch_execnz .LBB18_1999
	s_branch .LBB18_2000
.LBB18_4049:
	s_movk_i32 s4, 0x80
	v_cmp_eq_u16_e32 vcc, s4, v1
	s_mov_b64 s[4:5], -1
                                        ; implicit-def: $sgpr10
	s_and_saveexec_b64 s[8:9], vcc
; %bb.4050:
	s_mov_b32 s10, 0x7f800001
	s_xor_b64 s[4:5], exec, -1
; %bb.4051:
	s_or_b64 exec, exec, s[8:9]
	s_and_b64 s[4:5], s[4:5], exec
                                        ; implicit-def: $vgpr1
	s_or_saveexec_b64 s[6:7], s[6:7]
	v_mov_b32_e32 v0, s10
	s_xor_b64 exec, exec, s[6:7]
	s_cbranch_execz .LBB18_2002
.LBB18_4052:
	v_cmp_ne_u16_e32 vcc, 0, v1
	s_andn2_b64 s[4:5], s[4:5], exec
	s_and_b64 s[8:9], vcc, exec
	v_mov_b32_e32 v0, 0
	s_or_b64 s[4:5], s[4:5], s[8:9]
	s_or_b64 exec, exec, s[6:7]
	s_and_saveexec_b64 s[6:7], s[4:5]
	s_cbranch_execnz .LBB18_2003
	s_branch .LBB18_2004
.LBB18_4053:
	s_movk_i32 s4, 0x80
	v_cmp_eq_u16_e32 vcc, s4, v1
	s_mov_b64 s[4:5], -1
                                        ; implicit-def: $sgpr10
	s_and_saveexec_b64 s[8:9], vcc
; %bb.4054:
	s_mov_b32 s10, 0x7f800001
	s_xor_b64 s[4:5], exec, -1
; %bb.4055:
	s_or_b64 exec, exec, s[8:9]
	s_and_b64 s[4:5], s[4:5], exec
                                        ; implicit-def: $vgpr1
	s_or_saveexec_b64 s[6:7], s[6:7]
	v_mov_b32_e32 v4, s10
	s_xor_b64 exec, exec, s[6:7]
	s_cbranch_execz .LBB18_2006
.LBB18_4056:
	v_cmp_ne_u16_e32 vcc, 0, v1
	s_andn2_b64 s[4:5], s[4:5], exec
	s_and_b64 s[8:9], vcc, exec
	v_mov_b32_e32 v4, 0
	s_or_b64 s[4:5], s[4:5], s[8:9]
	s_or_b64 exec, exec, s[6:7]
	s_and_saveexec_b64 s[6:7], s[4:5]
	s_cbranch_execnz .LBB18_2007
	s_branch .LBB18_2008
.LBB18_4057:
	s_movk_i32 s4, 0x80
	v_cmp_eq_u16_sdwa s[12:13], v6, s4 src0_sel:BYTE_3 src1_sel:DWORD
	s_mov_b64 s[4:5], -1
                                        ; implicit-def: $sgpr10
	s_and_saveexec_b64 s[8:9], s[12:13]
; %bb.4058:
	s_mov_b32 s10, 0x7f800001
	s_xor_b64 s[4:5], exec, -1
; %bb.4059:
	s_or_b64 exec, exec, s[8:9]
	s_and_b64 s[4:5], s[4:5], exec
	s_or_saveexec_b64 s[6:7], s[6:7]
	v_mov_b32_e32 v0, s10
	s_xor_b64 exec, exec, s[6:7]
	s_cbranch_execz .LBB18_2010
.LBB18_4060:
	v_mov_b32_e32 v0, 0
	v_cmp_ne_u16_sdwa s[8:9], v6, v0 src0_sel:BYTE_3 src1_sel:DWORD
	s_andn2_b64 s[4:5], s[4:5], exec
	s_and_b64 s[8:9], s[8:9], exec
	s_or_b64 s[4:5], s[4:5], s[8:9]
	s_or_b64 exec, exec, s[6:7]
	s_and_saveexec_b64 s[6:7], s[4:5]
	s_cbranch_execnz .LBB18_2011
	s_branch .LBB18_2012
.LBB18_4061:
	s_movk_i32 s4, 0x80
	v_cmp_eq_u16_sdwa s[12:13], v2, s4 src0_sel:BYTE_3 src1_sel:DWORD
	s_mov_b64 s[4:5], -1
                                        ; implicit-def: $sgpr10
	s_and_saveexec_b64 s[8:9], s[12:13]
; %bb.4062:
	s_mov_b32 s10, 0x7f800001
	s_xor_b64 s[4:5], exec, -1
; %bb.4063:
	s_or_b64 exec, exec, s[8:9]
	s_and_b64 s[4:5], s[4:5], exec
	s_or_saveexec_b64 s[6:7], s[6:7]
	v_mov_b32_e32 v1, s10
	s_xor_b64 exec, exec, s[6:7]
	s_cbranch_execz .LBB18_2014
.LBB18_4064:
	v_mov_b32_e32 v1, 0
	v_cmp_ne_u16_sdwa s[8:9], v2, v1 src0_sel:BYTE_3 src1_sel:DWORD
	s_andn2_b64 s[4:5], s[4:5], exec
	s_and_b64 s[8:9], s[8:9], exec
	s_or_b64 s[4:5], s[4:5], s[8:9]
	s_or_b64 exec, exec, s[6:7]
	s_and_saveexec_b64 s[6:7], s[4:5]
	s_cbranch_execnz .LBB18_2015
	s_branch .LBB18_2016
.LBB18_4065:
	s_movk_i32 s4, 0x80
	v_cmp_eq_u16_sdwa s[12:13], v7, s4 src0_sel:BYTE_0 src1_sel:DWORD
	s_mov_b64 s[4:5], -1
                                        ; implicit-def: $sgpr10
	s_and_saveexec_b64 s[8:9], s[12:13]
; %bb.4066:
	s_mov_b32 s10, 0x7f800001
	s_xor_b64 s[4:5], exec, -1
; %bb.4067:
	s_or_b64 exec, exec, s[8:9]
	s_and_b64 s[4:5], s[4:5], exec
	s_or_saveexec_b64 s[6:7], s[6:7]
	v_mov_b32_e32 v0, s10
	s_xor_b64 exec, exec, s[6:7]
	s_cbranch_execz .LBB18_2018
.LBB18_4068:
	v_mov_b32_e32 v0, 0
	v_cmp_ne_u16_sdwa s[8:9], v7, v0 src0_sel:BYTE_0 src1_sel:DWORD
	s_andn2_b64 s[4:5], s[4:5], exec
	s_and_b64 s[8:9], s[8:9], exec
	s_or_b64 s[4:5], s[4:5], s[8:9]
	s_or_b64 exec, exec, s[6:7]
	s_and_saveexec_b64 s[6:7], s[4:5]
	s_cbranch_execnz .LBB18_2019
	s_branch .LBB18_2020
.LBB18_4069:
	s_movk_i32 s4, 0x80
	v_cmp_eq_u16_sdwa s[12:13], v3, s4 src0_sel:BYTE_0 src1_sel:DWORD
	s_mov_b64 s[4:5], -1
                                        ; implicit-def: $sgpr10
	s_and_saveexec_b64 s[8:9], s[12:13]
; %bb.4070:
	s_mov_b32 s10, 0x7f800001
	s_xor_b64 s[4:5], exec, -1
; %bb.4071:
	s_or_b64 exec, exec, s[8:9]
	s_and_b64 s[4:5], s[4:5], exec
	s_or_saveexec_b64 s[6:7], s[6:7]
	v_mov_b32_e32 v1, s10
	s_xor_b64 exec, exec, s[6:7]
	s_cbranch_execz .LBB18_2022
.LBB18_4072:
	v_mov_b32_e32 v1, 0
	v_cmp_ne_u16_sdwa s[8:9], v3, v1 src0_sel:BYTE_0 src1_sel:DWORD
	s_andn2_b64 s[4:5], s[4:5], exec
	s_and_b64 s[8:9], s[8:9], exec
	s_or_b64 s[4:5], s[4:5], s[8:9]
	s_or_b64 exec, exec, s[6:7]
	s_and_saveexec_b64 s[6:7], s[4:5]
	s_cbranch_execnz .LBB18_2023
	s_branch .LBB18_2024
.LBB18_4073:
	s_movk_i32 s4, 0x80
	v_cmp_eq_u16_sdwa s[12:13], v1, s4 src0_sel:BYTE_0 src1_sel:DWORD
	s_mov_b64 s[4:5], -1
                                        ; implicit-def: $sgpr10
	s_and_saveexec_b64 s[8:9], s[12:13]
; %bb.4074:
	s_mov_b32 s10, 0x7f800001
	s_xor_b64 s[4:5], exec, -1
; %bb.4075:
	s_or_b64 exec, exec, s[8:9]
	s_and_b64 s[4:5], s[4:5], exec
	s_or_saveexec_b64 s[6:7], s[6:7]
	v_mov_b32_e32 v0, s10
	s_xor_b64 exec, exec, s[6:7]
	s_cbranch_execz .LBB18_2026
.LBB18_4076:
	v_mov_b32_e32 v0, 0
	v_cmp_ne_u16_sdwa s[8:9], v1, v0 src0_sel:BYTE_0 src1_sel:DWORD
	s_andn2_b64 s[4:5], s[4:5], exec
	s_and_b64 s[8:9], s[8:9], exec
	s_or_b64 s[4:5], s[4:5], s[8:9]
	s_or_b64 exec, exec, s[6:7]
	s_and_saveexec_b64 s[6:7], s[4:5]
	s_cbranch_execnz .LBB18_2027
	s_branch .LBB18_2028
.LBB18_4077:
	s_movk_i32 s4, 0x80
	v_cmp_eq_u16_sdwa s[12:13], v1, s4 src0_sel:BYTE_0 src1_sel:DWORD
	s_mov_b64 s[4:5], -1
                                        ; implicit-def: $sgpr10
	s_and_saveexec_b64 s[8:9], s[12:13]
; %bb.4078:
	s_mov_b32 s10, 0x7f800001
	s_xor_b64 s[4:5], exec, -1
; %bb.4079:
	s_or_b64 exec, exec, s[8:9]
	s_and_b64 s[4:5], s[4:5], exec
	s_or_saveexec_b64 s[6:7], s[6:7]
	v_mov_b32_e32 v2, s10
	s_xor_b64 exec, exec, s[6:7]
	s_cbranch_execz .LBB18_2030
.LBB18_4080:
	v_mov_b32_e32 v2, 0
	v_cmp_ne_u16_sdwa s[8:9], v1, v2 src0_sel:BYTE_0 src1_sel:DWORD
	s_andn2_b64 s[4:5], s[4:5], exec
	s_and_b64 s[8:9], s[8:9], exec
	s_or_b64 s[4:5], s[4:5], s[8:9]
	s_or_b64 exec, exec, s[6:7]
	s_and_saveexec_b64 s[6:7], s[4:5]
	s_cbranch_execnz .LBB18_2031
	s_branch .LBB18_2032
.LBB18_4081:
	s_movk_i32 s4, 0x80
	v_cmp_eq_u16_e32 vcc, s4, v1
	s_mov_b64 s[4:5], -1
                                        ; implicit-def: $sgpr10
	s_and_saveexec_b64 s[8:9], vcc
; %bb.4082:
	s_mov_b32 s10, 0x7f800001
	s_xor_b64 s[4:5], exec, -1
; %bb.4083:
	s_or_b64 exec, exec, s[8:9]
	s_and_b64 s[4:5], s[4:5], exec
                                        ; implicit-def: $vgpr1
	s_or_saveexec_b64 s[6:7], s[6:7]
	v_mov_b32_e32 v0, s10
	s_xor_b64 exec, exec, s[6:7]
	s_cbranch_execz .LBB18_2034
.LBB18_4084:
	v_cmp_ne_u16_e32 vcc, 0, v1
	s_andn2_b64 s[4:5], s[4:5], exec
	s_and_b64 s[8:9], vcc, exec
	v_mov_b32_e32 v0, 0
	s_or_b64 s[4:5], s[4:5], s[8:9]
	s_or_b64 exec, exec, s[6:7]
	s_and_saveexec_b64 s[6:7], s[4:5]
	s_cbranch_execnz .LBB18_2035
	s_branch .LBB18_2036
.LBB18_4085:
	s_movk_i32 s4, 0x80
	v_cmp_eq_u16_e32 vcc, s4, v1
	s_mov_b64 s[4:5], -1
                                        ; implicit-def: $sgpr10
	s_and_saveexec_b64 s[8:9], vcc
; %bb.4086:
	s_mov_b32 s10, 0x7f800001
	s_xor_b64 s[4:5], exec, -1
; %bb.4087:
	s_or_b64 exec, exec, s[8:9]
	s_and_b64 s[4:5], s[4:5], exec
                                        ; implicit-def: $vgpr1
	s_or_saveexec_b64 s[6:7], s[6:7]
	v_mov_b32_e32 v2, s10
	s_xor_b64 exec, exec, s[6:7]
	s_cbranch_execz .LBB18_2038
.LBB18_4088:
	v_cmp_ne_u16_e32 vcc, 0, v1
	s_andn2_b64 s[4:5], s[4:5], exec
	s_and_b64 s[8:9], vcc, exec
	v_mov_b32_e32 v2, 0
	s_or_b64 s[4:5], s[4:5], s[8:9]
	s_or_b64 exec, exec, s[6:7]
	s_and_saveexec_b64 s[6:7], s[4:5]
	s_cbranch_execnz .LBB18_2039
	s_branch .LBB18_2040
.LBB18_4089:
	s_movk_i32 s4, 0x80
	v_cmp_eq_u16_sdwa s[12:13], v7, s4 src0_sel:BYTE_3 src1_sel:DWORD
	s_mov_b64 s[4:5], -1
                                        ; implicit-def: $sgpr10
	s_and_saveexec_b64 s[8:9], s[12:13]
; %bb.4090:
	s_mov_b32 s10, 0x7f800001
	s_xor_b64 s[4:5], exec, -1
; %bb.4091:
	s_or_b64 exec, exec, s[8:9]
	s_and_b64 s[4:5], s[4:5], exec
	s_or_saveexec_b64 s[6:7], s[6:7]
	v_mov_b32_e32 v0, s10
	s_xor_b64 exec, exec, s[6:7]
	s_cbranch_execz .LBB18_2042
.LBB18_4092:
	v_mov_b32_e32 v0, 0
	v_cmp_ne_u16_sdwa s[8:9], v7, v0 src0_sel:BYTE_3 src1_sel:DWORD
	s_andn2_b64 s[4:5], s[4:5], exec
	s_and_b64 s[8:9], s[8:9], exec
	s_or_b64 s[4:5], s[4:5], s[8:9]
	s_or_b64 exec, exec, s[6:7]
	s_and_saveexec_b64 s[6:7], s[4:5]
	s_cbranch_execnz .LBB18_2043
	s_branch .LBB18_2044
.LBB18_4093:
	s_movk_i32 s4, 0x80
	v_cmp_eq_u16_sdwa s[12:13], v3, s4 src0_sel:BYTE_3 src1_sel:DWORD
	s_mov_b64 s[4:5], -1
                                        ; implicit-def: $sgpr10
	s_and_saveexec_b64 s[8:9], s[12:13]
; %bb.4094:
	s_mov_b32 s10, 0x7f800001
	s_xor_b64 s[4:5], exec, -1
; %bb.4095:
	s_or_b64 exec, exec, s[8:9]
	s_and_b64 s[4:5], s[4:5], exec
	s_or_saveexec_b64 s[6:7], s[6:7]
	v_mov_b32_e32 v1, s10
	s_xor_b64 exec, exec, s[6:7]
	s_cbranch_execz .LBB18_2046
.LBB18_4096:
	v_mov_b32_e32 v1, 0
	v_cmp_ne_u16_sdwa s[8:9], v3, v1 src0_sel:BYTE_3 src1_sel:DWORD
	s_andn2_b64 s[4:5], s[4:5], exec
	s_and_b64 s[8:9], s[8:9], exec
	s_or_b64 s[4:5], s[4:5], s[8:9]
	s_or_b64 exec, exec, s[6:7]
	s_and_saveexec_b64 s[6:7], s[4:5]
	s_cbranch_execnz .LBB18_2047
	s_branch .LBB18_2048
.Lfunc_end18:
	.size	_ZNK2ck6detail7applierIiJLi0ELi1ELi2ELi3ELi4ELi5ELi6ELi7EEEclIZNKS_11static_fordINS_8SequenceIJLi1ELi8EEEENS5_IJLi0ELi1EEEEEclIZZNKS_52BlockwiseGemmXdlops_pipeline_bpreshuffle_bdequant_v3ILNS_26BlockGemmPipelineSchedulerE0ELi256ENS_9f8_fnuz_tENS_7pk_i4_tESC_fNS_16TensorDescriptorINS_5TupleIJNS_5EmbedINSF_IJNS_17integral_constantIiLi8EEENSH_IiLi256EEENSH_IiLi16EEEEEENSF_IJSK_NSH_IiLi128EEENSH_IiLi1EEEEEELb0EEENS_3XorINSF_IJSJ_SI_EEELb1EEENS_11PassThroughISK_EENS_7UnMergeINSF_IJSI_SN_EEELb0EEENST_ISJ_EESU_NST_ISI_EENS_21Merge_v3_division_modINSF_IJSJ_SN_EEEEESU_EEENSF_IJNS5_IJLi0EEEENS5_IJLi2ELi1EEEENS5_IJLi3EEEENS5_IJLi5EEEENS5_IJLi4EEEENS5_IJLi6EEEENS5_IJLi7EEEENS5_IJLi9ELi8EEEENS5_IJLi10EEEEEEENSF_IJNS5_IJLi1ELi2ELi3EEEENS5_IJLi4ELi5EEEES19_NS5_IJLi7ELi8EEEENS5_IJLi9EEEES1C_NS5_IJLi11EEEENS5_IJLi12EEEENS5_IJLi13EEEEEEENS5_IJLi11ELi12ELi13EEEENSH_IlLl32768EEEEENSE_INSF_IJNSV_INSF_IJSI_SN_SN_NSH_IiLi32EEEEEELb0EEEEEENSF_IJS14_EEENSF_IJNS5_IJLi1ELi2ELi3ELi4EEEEEEES1U_NSH_IlLl256EEEEENSE_INSF_IJSP_SS_SU_SX_SY_SU_SZ_S12_SU_NS10_INSF_IJSI_SK_EEEEENSV_INSF_IJSI_NSH_IiLi2EEESK_EEELb0EEEEEENSF_IJS14_S15_S16_S17_S18_S19_S1A_S1B_S1C_NS5_IJLi11ELi13EEEES1J_EEENSF_IJS1E_S1F_S19_S1G_S1H_S1C_S1I_S1J_S1K_NS5_IJLi14EEEENS5_IJLi15ELi16ELi17EEEEEEENS5_IJLi15ELi16ELi17ELi14EEEES1N_EENSE_INSF_IJS1R_NS10_ISW_EES22_EEENSF_IJS14_NS5_IJLi1ELi3EEEENS5_IJLi2EEEEEEENSF_IJS1U_S17_NS5_IJLi6ELi7ELi8EEEEEEENS5_IJLi6ELi7ELi8ELi5EEEES1W_EELi16ELi32ELi256ELi256ELi128ELi16ELi16ELi8ELi8ELi32ELb0EE3RunILb1ELNS_10TailNumberE0ENSE_INSF_IJNSG_INSF_IJiiEEENSF_IJiSN_EEELb0EEENSV_IS2N_Lb0EEENST_IiEEEEENSF_IJS14_S2E_NS5_IJLi1EEEEEEENSF_IJNS5_IJLi1ELi2EEEENS5_IJLi3ELi4EEEES17_EEENS5_IJLi3ELi5ELi4EEEElEES1O_NS_35ThreadGroupTensorSliceTransfer_v4r1INS_15ThisThreadBlockILi256EEENS_16tensor_operation12element_wise11PassThroughES35_LNS_25InMemoryDataOperationEnumE0ENS5_IJLi8ELi256ELi16EEEENS5_IJLi8ELi32ELi1EEEENS5_IJLi1ELi0ELi2EEEESC_SC_RKS2Z_KS1O_S39_NS5_IJLi0ELi1ELi2EEEELi2ELi2ELi16ELi16ELi1ELi1ELb0ELb1ELi2EiEENS_13DynamicBufferILNS_16AddressSpaceEnumE1EKSC_lLb1ELNS_22AmdBufferCoherenceEnumE0EiEENSF_IJNS3F_ILS3G_2ESC_S1N_Lb1ELS3I_0EiEES3K_EEENSF_IJiiiEEENSE_INSF_IJNSG_INSF_IJiiiiEEENSF_IJiiiSN_EEELb0EEEEEES1T_S1V_S1U_lEENS_32ThreadwiseTensorSliceTransfer_v2ISD_SD_RKS3R_KS1X_NS5_IJLi8ELi1ELi1ELi32EEEENS5_IJLi1ELi2ELi0ELi3EEEELi3ELi32ELi0ELb1ELb0ELb0EEENS3F_ILS3G_1EKSD_lLb1ELS3I_0EiEENSF_IJNS_12StaticBufferILS3G_4ESD_Li256ELb1EEES42_EEES3N_NS_25StaticBufferTupleOfVectorILS3G_4EfLi64ELi4ELb1ELb0EEEEEvRKT1_RKT2_RT3_RKT4_RT5_RKT6_RKT7_RT8_RKT9_RT10_RKT11_RT12_iENKUlT_E0_clINSH_IiLi0EEEEEDaS51_EUlS51_E_EEvS51_EUlS51_E_EEvS51_, .Lfunc_end18-_ZNK2ck6detail7applierIiJLi0ELi1ELi2ELi3ELi4ELi5ELi6ELi7EEEclIZNKS_11static_fordINS_8SequenceIJLi1ELi8EEEENS5_IJLi0ELi1EEEEEclIZZNKS_52BlockwiseGemmXdlops_pipeline_bpreshuffle_bdequant_v3ILNS_26BlockGemmPipelineSchedulerE0ELi256ENS_9f8_fnuz_tENS_7pk_i4_tESC_fNS_16TensorDescriptorINS_5TupleIJNS_5EmbedINSF_IJNS_17integral_constantIiLi8EEENSH_IiLi256EEENSH_IiLi16EEEEEENSF_IJSK_NSH_IiLi128EEENSH_IiLi1EEEEEELb0EEENS_3XorINSF_IJSJ_SI_EEELb1EEENS_11PassThroughISK_EENS_7UnMergeINSF_IJSI_SN_EEELb0EEENST_ISJ_EESU_NST_ISI_EENS_21Merge_v3_division_modINSF_IJSJ_SN_EEEEESU_EEENSF_IJNS5_IJLi0EEEENS5_IJLi2ELi1EEEENS5_IJLi3EEEENS5_IJLi5EEEENS5_IJLi4EEEENS5_IJLi6EEEENS5_IJLi7EEEENS5_IJLi9ELi8EEEENS5_IJLi10EEEEEEENSF_IJNS5_IJLi1ELi2ELi3EEEENS5_IJLi4ELi5EEEES19_NS5_IJLi7ELi8EEEENS5_IJLi9EEEES1C_NS5_IJLi11EEEENS5_IJLi12EEEENS5_IJLi13EEEEEEENS5_IJLi11ELi12ELi13EEEENSH_IlLl32768EEEEENSE_INSF_IJNSV_INSF_IJSI_SN_SN_NSH_IiLi32EEEEEELb0EEEEEENSF_IJS14_EEENSF_IJNS5_IJLi1ELi2ELi3ELi4EEEEEEES1U_NSH_IlLl256EEEEENSE_INSF_IJSP_SS_SU_SX_SY_SU_SZ_S12_SU_NS10_INSF_IJSI_SK_EEEEENSV_INSF_IJSI_NSH_IiLi2EEESK_EEELb0EEEEEENSF_IJS14_S15_S16_S17_S18_S19_S1A_S1B_S1C_NS5_IJLi11ELi13EEEES1J_EEENSF_IJS1E_S1F_S19_S1G_S1H_S1C_S1I_S1J_S1K_NS5_IJLi14EEEENS5_IJLi15ELi16ELi17EEEEEEENS5_IJLi15ELi16ELi17ELi14EEEES1N_EENSE_INSF_IJS1R_NS10_ISW_EES22_EEENSF_IJS14_NS5_IJLi1ELi3EEEENS5_IJLi2EEEEEEENSF_IJS1U_S17_NS5_IJLi6ELi7ELi8EEEEEEENS5_IJLi6ELi7ELi8ELi5EEEES1W_EELi16ELi32ELi256ELi256ELi128ELi16ELi16ELi8ELi8ELi32ELb0EE3RunILb1ELNS_10TailNumberE0ENSE_INSF_IJNSG_INSF_IJiiEEENSF_IJiSN_EEELb0EEENSV_IS2N_Lb0EEENST_IiEEEEENSF_IJS14_S2E_NS5_IJLi1EEEEEEENSF_IJNS5_IJLi1ELi2EEEENS5_IJLi3ELi4EEEES17_EEENS5_IJLi3ELi5ELi4EEEElEES1O_NS_35ThreadGroupTensorSliceTransfer_v4r1INS_15ThisThreadBlockILi256EEENS_16tensor_operation12element_wise11PassThroughES35_LNS_25InMemoryDataOperationEnumE0ENS5_IJLi8ELi256ELi16EEEENS5_IJLi8ELi32ELi1EEEENS5_IJLi1ELi0ELi2EEEESC_SC_RKS2Z_KS1O_S39_NS5_IJLi0ELi1ELi2EEEELi2ELi2ELi16ELi16ELi1ELi1ELb0ELb1ELi2EiEENS_13DynamicBufferILNS_16AddressSpaceEnumE1EKSC_lLb1ELNS_22AmdBufferCoherenceEnumE0EiEENSF_IJNS3F_ILS3G_2ESC_S1N_Lb1ELS3I_0EiEES3K_EEENSF_IJiiiEEENSE_INSF_IJNSG_INSF_IJiiiiEEENSF_IJiiiSN_EEELb0EEEEEES1T_S1V_S1U_lEENS_32ThreadwiseTensorSliceTransfer_v2ISD_SD_RKS3R_KS1X_NS5_IJLi8ELi1ELi1ELi32EEEENS5_IJLi1ELi2ELi0ELi3EEEELi3ELi32ELi0ELb1ELb0ELb0EEENS3F_ILS3G_1EKSD_lLb1ELS3I_0EiEENSF_IJNS_12StaticBufferILS3G_4ESD_Li256ELb1EEES42_EEES3N_NS_25StaticBufferTupleOfVectorILS3G_4EfLi64ELi4ELb1ELb0EEEEEvRKT1_RKT2_RT3_RKT4_RT5_RKT6_RKT7_RT8_RKT9_RT10_RKT11_RT12_iENKUlT_E0_clINSH_IiLi0EEEEEDaS51_EUlS51_E_EEvS51_EUlS51_E_EEvS51_
                                        ; -- End function
	.section	.AMDGPU.csdata,"",@progbits
; Function info:
; codeLenInByte = 133608
; NumSgprs: 36
; NumVgprs: 26
; NumAgprs: 4
; TotalNumVgprs: 32
; ScratchSize: 0
; MemoryBound: 1
	.text
	.p2align	2                               ; -- Begin function _ZNK2ck6detail7applierIiJLi0ELi1ELi2ELi3ELi4ELi5ELi6ELi7EEEclIZNKS_11static_fordINS_8SequenceIJLi1ELi8EEEENS5_IJLi0ELi1EEEEEclIZZNKS_52BlockwiseGemmXdlops_pipeline_bpreshuffle_bdequant_v3ILNS_26BlockGemmPipelineSchedulerE0ELi256ENS_9f8_fnuz_tENS_7pk_i4_tESC_fNS_16TensorDescriptorINS_5TupleIJNS_5EmbedINSF_IJNS_17integral_constantIiLi8EEENSH_IiLi256EEENSH_IiLi16EEEEEENSF_IJSK_NSH_IiLi128EEENSH_IiLi1EEEEEELb0EEENS_3XorINSF_IJSJ_SI_EEELb1EEENS_11PassThroughISK_EENS_7UnMergeINSF_IJSI_SN_EEELb0EEENST_ISJ_EESU_NST_ISI_EENS_21Merge_v3_division_modINSF_IJSJ_SN_EEEEESU_EEENSF_IJNS5_IJLi0EEEENS5_IJLi2ELi1EEEENS5_IJLi3EEEENS5_IJLi5EEEENS5_IJLi4EEEENS5_IJLi6EEEENS5_IJLi7EEEENS5_IJLi9ELi8EEEENS5_IJLi10EEEEEEENSF_IJNS5_IJLi1ELi2ELi3EEEENS5_IJLi4ELi5EEEES19_NS5_IJLi7ELi8EEEENS5_IJLi9EEEES1C_NS5_IJLi11EEEENS5_IJLi12EEEENS5_IJLi13EEEEEEENS5_IJLi11ELi12ELi13EEEENSH_IlLl32768EEEEENSE_INSF_IJNSV_INSF_IJSI_SN_SN_NSH_IiLi32EEEEEELb0EEEEEENSF_IJS14_EEENSF_IJNS5_IJLi1ELi2ELi3ELi4EEEEEEES1U_NSH_IlLl256EEEEENSE_INSF_IJSP_SS_SU_SX_SY_SU_SZ_S12_SU_NS10_INSF_IJSI_SK_EEEEENSV_INSF_IJSI_NSH_IiLi2EEESK_EEELb0EEEEEENSF_IJS14_S15_S16_S17_S18_S19_S1A_S1B_S1C_NS5_IJLi11ELi13EEEES1J_EEENSF_IJS1E_S1F_S19_S1G_S1H_S1C_S1I_S1J_S1K_NS5_IJLi14EEEENS5_IJLi15ELi16ELi17EEEEEEENS5_IJLi15ELi16ELi17ELi14EEEES1N_EENSE_INSF_IJS1R_NS10_ISW_EES22_EEENSF_IJS14_NS5_IJLi1ELi3EEEENS5_IJLi2EEEEEEENSF_IJS1U_S17_NS5_IJLi6ELi7ELi8EEEEEEENS5_IJLi6ELi7ELi8ELi5EEEES1W_EELi16ELi32ELi256ELi256ELi128ELi16ELi16ELi8ELi8ELi32ELb0EE3RunILb1ELNS_10TailNumberE0ENSE_INSF_IJNSG_INSF_IJiiEEENSF_IJiSN_EEELb0EEENSV_IS2N_Lb0EEENST_IiEEEEENSF_IJS14_S2E_NS5_IJLi1EEEEEEENSF_IJNS5_IJLi1ELi2EEEENS5_IJLi3ELi4EEEES17_EEENS5_IJLi3ELi5ELi4EEEElEES1O_NS_35ThreadGroupTensorSliceTransfer_v4r1INS_15ThisThreadBlockILi256EEENS_16tensor_operation12element_wise11PassThroughES35_LNS_25InMemoryDataOperationEnumE0ENS5_IJLi8ELi256ELi16EEEENS5_IJLi8ELi32ELi1EEEENS5_IJLi1ELi0ELi2EEEESC_SC_RKS2Z_KS1O_S39_NS5_IJLi0ELi1ELi2EEEELi2ELi2ELi16ELi16ELi1ELi1ELb0ELb1ELi2EiEENS_13DynamicBufferILNS_16AddressSpaceEnumE1EKSC_lLb1ELNS_22AmdBufferCoherenceEnumE0EiEENSF_IJNS3F_ILS3G_2ESC_S1N_Lb1ELS3I_0EiEES3K_EEENSF_IJiiiEEENSE_INSF_IJNSG_INSF_IJiiiiEEENSF_IJiiiSN_EEELb0EEEEEES1T_S1V_S1U_lEENS_32ThreadwiseTensorSliceTransfer_v2ISD_SD_RKS3R_KS1X_NS5_IJLi8ELi1ELi1ELi32EEEENS5_IJLi1ELi2ELi0ELi3EEEELi3ELi32ELi0ELb1ELb0ELb0EEENS3F_ILS3G_1EKSD_lLb1ELS3I_0EiEENSF_IJNS_12StaticBufferILS3G_4ESD_Li256ELb1EEES42_EEES3N_NS_25StaticBufferTupleOfVectorILS3G_4EfLi64ELi4ELb1ELb0EEEEEvRKT1_RKT2_RT3_RKT4_RT5_RKT6_RKT7_RT8_RKT9_RT10_RKT11_RT12_iENKUlT_E0_clISN_EEDaS51_EUlS51_E_EEvS51_EUlS51_E_EEvS51_
	.type	_ZNK2ck6detail7applierIiJLi0ELi1ELi2ELi3ELi4ELi5ELi6ELi7EEEclIZNKS_11static_fordINS_8SequenceIJLi1ELi8EEEENS5_IJLi0ELi1EEEEEclIZZNKS_52BlockwiseGemmXdlops_pipeline_bpreshuffle_bdequant_v3ILNS_26BlockGemmPipelineSchedulerE0ELi256ENS_9f8_fnuz_tENS_7pk_i4_tESC_fNS_16TensorDescriptorINS_5TupleIJNS_5EmbedINSF_IJNS_17integral_constantIiLi8EEENSH_IiLi256EEENSH_IiLi16EEEEEENSF_IJSK_NSH_IiLi128EEENSH_IiLi1EEEEEELb0EEENS_3XorINSF_IJSJ_SI_EEELb1EEENS_11PassThroughISK_EENS_7UnMergeINSF_IJSI_SN_EEELb0EEENST_ISJ_EESU_NST_ISI_EENS_21Merge_v3_division_modINSF_IJSJ_SN_EEEEESU_EEENSF_IJNS5_IJLi0EEEENS5_IJLi2ELi1EEEENS5_IJLi3EEEENS5_IJLi5EEEENS5_IJLi4EEEENS5_IJLi6EEEENS5_IJLi7EEEENS5_IJLi9ELi8EEEENS5_IJLi10EEEEEEENSF_IJNS5_IJLi1ELi2ELi3EEEENS5_IJLi4ELi5EEEES19_NS5_IJLi7ELi8EEEENS5_IJLi9EEEES1C_NS5_IJLi11EEEENS5_IJLi12EEEENS5_IJLi13EEEEEEENS5_IJLi11ELi12ELi13EEEENSH_IlLl32768EEEEENSE_INSF_IJNSV_INSF_IJSI_SN_SN_NSH_IiLi32EEEEEELb0EEEEEENSF_IJS14_EEENSF_IJNS5_IJLi1ELi2ELi3ELi4EEEEEEES1U_NSH_IlLl256EEEEENSE_INSF_IJSP_SS_SU_SX_SY_SU_SZ_S12_SU_NS10_INSF_IJSI_SK_EEEEENSV_INSF_IJSI_NSH_IiLi2EEESK_EEELb0EEEEEENSF_IJS14_S15_S16_S17_S18_S19_S1A_S1B_S1C_NS5_IJLi11ELi13EEEES1J_EEENSF_IJS1E_S1F_S19_S1G_S1H_S1C_S1I_S1J_S1K_NS5_IJLi14EEEENS5_IJLi15ELi16ELi17EEEEEEENS5_IJLi15ELi16ELi17ELi14EEEES1N_EENSE_INSF_IJS1R_NS10_ISW_EES22_EEENSF_IJS14_NS5_IJLi1ELi3EEEENS5_IJLi2EEEEEEENSF_IJS1U_S17_NS5_IJLi6ELi7ELi8EEEEEEENS5_IJLi6ELi7ELi8ELi5EEEES1W_EELi16ELi32ELi256ELi256ELi128ELi16ELi16ELi8ELi8ELi32ELb0EE3RunILb1ELNS_10TailNumberE0ENSE_INSF_IJNSG_INSF_IJiiEEENSF_IJiSN_EEELb0EEENSV_IS2N_Lb0EEENST_IiEEEEENSF_IJS14_S2E_NS5_IJLi1EEEEEEENSF_IJNS5_IJLi1ELi2EEEENS5_IJLi3ELi4EEEES17_EEENS5_IJLi3ELi5ELi4EEEElEES1O_NS_35ThreadGroupTensorSliceTransfer_v4r1INS_15ThisThreadBlockILi256EEENS_16tensor_operation12element_wise11PassThroughES35_LNS_25InMemoryDataOperationEnumE0ENS5_IJLi8ELi256ELi16EEEENS5_IJLi8ELi32ELi1EEEENS5_IJLi1ELi0ELi2EEEESC_SC_RKS2Z_KS1O_S39_NS5_IJLi0ELi1ELi2EEEELi2ELi2ELi16ELi16ELi1ELi1ELb0ELb1ELi2EiEENS_13DynamicBufferILNS_16AddressSpaceEnumE1EKSC_lLb1ELNS_22AmdBufferCoherenceEnumE0EiEENSF_IJNS3F_ILS3G_2ESC_S1N_Lb1ELS3I_0EiEES3K_EEENSF_IJiiiEEENSE_INSF_IJNSG_INSF_IJiiiiEEENSF_IJiiiSN_EEELb0EEEEEES1T_S1V_S1U_lEENS_32ThreadwiseTensorSliceTransfer_v2ISD_SD_RKS3R_KS1X_NS5_IJLi8ELi1ELi1ELi32EEEENS5_IJLi1ELi2ELi0ELi3EEEELi3ELi32ELi0ELb1ELb0ELb0EEENS3F_ILS3G_1EKSD_lLb1ELS3I_0EiEENSF_IJNS_12StaticBufferILS3G_4ESD_Li256ELb1EEES42_EEES3N_NS_25StaticBufferTupleOfVectorILS3G_4EfLi64ELi4ELb1ELb0EEEEEvRKT1_RKT2_RT3_RKT4_RT5_RKT6_RKT7_RT8_RKT9_RT10_RKT11_RT12_iENKUlT_E0_clISN_EEDaS51_EUlS51_E_EEvS51_EUlS51_E_EEvS51_,@function
_ZNK2ck6detail7applierIiJLi0ELi1ELi2ELi3ELi4ELi5ELi6ELi7EEEclIZNKS_11static_fordINS_8SequenceIJLi1ELi8EEEENS5_IJLi0ELi1EEEEEclIZZNKS_52BlockwiseGemmXdlops_pipeline_bpreshuffle_bdequant_v3ILNS_26BlockGemmPipelineSchedulerE0ELi256ENS_9f8_fnuz_tENS_7pk_i4_tESC_fNS_16TensorDescriptorINS_5TupleIJNS_5EmbedINSF_IJNS_17integral_constantIiLi8EEENSH_IiLi256EEENSH_IiLi16EEEEEENSF_IJSK_NSH_IiLi128EEENSH_IiLi1EEEEEELb0EEENS_3XorINSF_IJSJ_SI_EEELb1EEENS_11PassThroughISK_EENS_7UnMergeINSF_IJSI_SN_EEELb0EEENST_ISJ_EESU_NST_ISI_EENS_21Merge_v3_division_modINSF_IJSJ_SN_EEEEESU_EEENSF_IJNS5_IJLi0EEEENS5_IJLi2ELi1EEEENS5_IJLi3EEEENS5_IJLi5EEEENS5_IJLi4EEEENS5_IJLi6EEEENS5_IJLi7EEEENS5_IJLi9ELi8EEEENS5_IJLi10EEEEEEENSF_IJNS5_IJLi1ELi2ELi3EEEENS5_IJLi4ELi5EEEES19_NS5_IJLi7ELi8EEEENS5_IJLi9EEEES1C_NS5_IJLi11EEEENS5_IJLi12EEEENS5_IJLi13EEEEEEENS5_IJLi11ELi12ELi13EEEENSH_IlLl32768EEEEENSE_INSF_IJNSV_INSF_IJSI_SN_SN_NSH_IiLi32EEEEEELb0EEEEEENSF_IJS14_EEENSF_IJNS5_IJLi1ELi2ELi3ELi4EEEEEEES1U_NSH_IlLl256EEEEENSE_INSF_IJSP_SS_SU_SX_SY_SU_SZ_S12_SU_NS10_INSF_IJSI_SK_EEEEENSV_INSF_IJSI_NSH_IiLi2EEESK_EEELb0EEEEEENSF_IJS14_S15_S16_S17_S18_S19_S1A_S1B_S1C_NS5_IJLi11ELi13EEEES1J_EEENSF_IJS1E_S1F_S19_S1G_S1H_S1C_S1I_S1J_S1K_NS5_IJLi14EEEENS5_IJLi15ELi16ELi17EEEEEEENS5_IJLi15ELi16ELi17ELi14EEEES1N_EENSE_INSF_IJS1R_NS10_ISW_EES22_EEENSF_IJS14_NS5_IJLi1ELi3EEEENS5_IJLi2EEEEEEENSF_IJS1U_S17_NS5_IJLi6ELi7ELi8EEEEEEENS5_IJLi6ELi7ELi8ELi5EEEES1W_EELi16ELi32ELi256ELi256ELi128ELi16ELi16ELi8ELi8ELi32ELb0EE3RunILb1ELNS_10TailNumberE0ENSE_INSF_IJNSG_INSF_IJiiEEENSF_IJiSN_EEELb0EEENSV_IS2N_Lb0EEENST_IiEEEEENSF_IJS14_S2E_NS5_IJLi1EEEEEEENSF_IJNS5_IJLi1ELi2EEEENS5_IJLi3ELi4EEEES17_EEENS5_IJLi3ELi5ELi4EEEElEES1O_NS_35ThreadGroupTensorSliceTransfer_v4r1INS_15ThisThreadBlockILi256EEENS_16tensor_operation12element_wise11PassThroughES35_LNS_25InMemoryDataOperationEnumE0ENS5_IJLi8ELi256ELi16EEEENS5_IJLi8ELi32ELi1EEEENS5_IJLi1ELi0ELi2EEEESC_SC_RKS2Z_KS1O_S39_NS5_IJLi0ELi1ELi2EEEELi2ELi2ELi16ELi16ELi1ELi1ELb0ELb1ELi2EiEENS_13DynamicBufferILNS_16AddressSpaceEnumE1EKSC_lLb1ELNS_22AmdBufferCoherenceEnumE0EiEENSF_IJNS3F_ILS3G_2ESC_S1N_Lb1ELS3I_0EiEES3K_EEENSF_IJiiiEEENSE_INSF_IJNSG_INSF_IJiiiiEEENSF_IJiiiSN_EEELb0EEEEEES1T_S1V_S1U_lEENS_32ThreadwiseTensorSliceTransfer_v2ISD_SD_RKS3R_KS1X_NS5_IJLi8ELi1ELi1ELi32EEEENS5_IJLi1ELi2ELi0ELi3EEEELi3ELi32ELi0ELb1ELb0ELb0EEENS3F_ILS3G_1EKSD_lLb1ELS3I_0EiEENSF_IJNS_12StaticBufferILS3G_4ESD_Li256ELb1EEES42_EEES3N_NS_25StaticBufferTupleOfVectorILS3G_4EfLi64ELi4ELb1ELb0EEEEEvRKT1_RKT2_RT3_RKT4_RT5_RKT6_RKT7_RT8_RKT9_RT10_RKT11_RT12_iENKUlT_E0_clISN_EEDaS51_EUlS51_E_EEvS51_EUlS51_E_EEvS51_: ; @_ZNK2ck6detail7applierIiJLi0ELi1ELi2ELi3ELi4ELi5ELi6ELi7EEEclIZNKS_11static_fordINS_8SequenceIJLi1ELi8EEEENS5_IJLi0ELi1EEEEEclIZZNKS_52BlockwiseGemmXdlops_pipeline_bpreshuffle_bdequant_v3ILNS_26BlockGemmPipelineSchedulerE0ELi256ENS_9f8_fnuz_tENS_7pk_i4_tESC_fNS_16TensorDescriptorINS_5TupleIJNS_5EmbedINSF_IJNS_17integral_constantIiLi8EEENSH_IiLi256EEENSH_IiLi16EEEEEENSF_IJSK_NSH_IiLi128EEENSH_IiLi1EEEEEELb0EEENS_3XorINSF_IJSJ_SI_EEELb1EEENS_11PassThroughISK_EENS_7UnMergeINSF_IJSI_SN_EEELb0EEENST_ISJ_EESU_NST_ISI_EENS_21Merge_v3_division_modINSF_IJSJ_SN_EEEEESU_EEENSF_IJNS5_IJLi0EEEENS5_IJLi2ELi1EEEENS5_IJLi3EEEENS5_IJLi5EEEENS5_IJLi4EEEENS5_IJLi6EEEENS5_IJLi7EEEENS5_IJLi9ELi8EEEENS5_IJLi10EEEEEEENSF_IJNS5_IJLi1ELi2ELi3EEEENS5_IJLi4ELi5EEEES19_NS5_IJLi7ELi8EEEENS5_IJLi9EEEES1C_NS5_IJLi11EEEENS5_IJLi12EEEENS5_IJLi13EEEEEEENS5_IJLi11ELi12ELi13EEEENSH_IlLl32768EEEEENSE_INSF_IJNSV_INSF_IJSI_SN_SN_NSH_IiLi32EEEEEELb0EEEEEENSF_IJS14_EEENSF_IJNS5_IJLi1ELi2ELi3ELi4EEEEEEES1U_NSH_IlLl256EEEEENSE_INSF_IJSP_SS_SU_SX_SY_SU_SZ_S12_SU_NS10_INSF_IJSI_SK_EEEEENSV_INSF_IJSI_NSH_IiLi2EEESK_EEELb0EEEEEENSF_IJS14_S15_S16_S17_S18_S19_S1A_S1B_S1C_NS5_IJLi11ELi13EEEES1J_EEENSF_IJS1E_S1F_S19_S1G_S1H_S1C_S1I_S1J_S1K_NS5_IJLi14EEEENS5_IJLi15ELi16ELi17EEEEEEENS5_IJLi15ELi16ELi17ELi14EEEES1N_EENSE_INSF_IJS1R_NS10_ISW_EES22_EEENSF_IJS14_NS5_IJLi1ELi3EEEENS5_IJLi2EEEEEEENSF_IJS1U_S17_NS5_IJLi6ELi7ELi8EEEEEEENS5_IJLi6ELi7ELi8ELi5EEEES1W_EELi16ELi32ELi256ELi256ELi128ELi16ELi16ELi8ELi8ELi32ELb0EE3RunILb1ELNS_10TailNumberE0ENSE_INSF_IJNSG_INSF_IJiiEEENSF_IJiSN_EEELb0EEENSV_IS2N_Lb0EEENST_IiEEEEENSF_IJS14_S2E_NS5_IJLi1EEEEEEENSF_IJNS5_IJLi1ELi2EEEENS5_IJLi3ELi4EEEES17_EEENS5_IJLi3ELi5ELi4EEEElEES1O_NS_35ThreadGroupTensorSliceTransfer_v4r1INS_15ThisThreadBlockILi256EEENS_16tensor_operation12element_wise11PassThroughES35_LNS_25InMemoryDataOperationEnumE0ENS5_IJLi8ELi256ELi16EEEENS5_IJLi8ELi32ELi1EEEENS5_IJLi1ELi0ELi2EEEESC_SC_RKS2Z_KS1O_S39_NS5_IJLi0ELi1ELi2EEEELi2ELi2ELi16ELi16ELi1ELi1ELb0ELb1ELi2EiEENS_13DynamicBufferILNS_16AddressSpaceEnumE1EKSC_lLb1ELNS_22AmdBufferCoherenceEnumE0EiEENSF_IJNS3F_ILS3G_2ESC_S1N_Lb1ELS3I_0EiEES3K_EEENSF_IJiiiEEENSE_INSF_IJNSG_INSF_IJiiiiEEENSF_IJiiiSN_EEELb0EEEEEES1T_S1V_S1U_lEENS_32ThreadwiseTensorSliceTransfer_v2ISD_SD_RKS3R_KS1X_NS5_IJLi8ELi1ELi1ELi32EEEENS5_IJLi1ELi2ELi0ELi3EEEELi3ELi32ELi0ELb1ELb0ELb0EEENS3F_ILS3G_1EKSD_lLb1ELS3I_0EiEENSF_IJNS_12StaticBufferILS3G_4ESD_Li256ELb1EEES42_EEES3N_NS_25StaticBufferTupleOfVectorILS3G_4EfLi64ELi4ELb1ELb0EEEEEvRKT1_RKT2_RT3_RKT4_RT5_RKT6_RKT7_RT8_RKT9_RT10_RKT11_RT12_iENKUlT_E0_clISN_EEDaS51_EUlS51_E_EEvS51_EUlS51_E_EEvS51_
; %bb.0:
	s_waitcnt vmcnt(0) expcnt(0) lgkmcnt(0)
	flat_load_dwordx4 v[20:23], v[0:1] offset:8
	flat_load_dwordx2 v[18:19], v[0:1] offset:24
	s_movk_i32 s4, 0x7f
                                        ; implicit-def: $sgpr10
	s_waitcnt vmcnt(0) lgkmcnt(0)
	flat_load_dwordx4 v[14:17], v[20:21] offset:32
	flat_load_dwordx4 v[6:9], v[20:21] offset:48
	flat_load_dwordx4 v[10:13], v[22:23]
	flat_load_dwordx4 v[2:5], v[22:23] offset:16
	s_waitcnt vmcnt(0) lgkmcnt(0)
	v_cmp_gt_i16_sdwa s[6:7], v14, s4 src0_sel:BYTE_0 src1_sel:DWORD
	s_mov_b64 s[4:5], 0
	s_and_saveexec_b64 s[8:9], s[6:7]
	s_xor_b64 s[6:7], exec, s[8:9]
	s_cbranch_execnz .LBB19_2049
; %bb.1:
	s_or_saveexec_b64 s[6:7], s[6:7]
	v_mov_b32_e32 v20, s10
	s_xor_b64 exec, exec, s[6:7]
	s_cbranch_execnz .LBB19_2052
.LBB19_2:
	s_or_b64 exec, exec, s[6:7]
	s_and_saveexec_b64 s[6:7], s[4:5]
	s_cbranch_execz .LBB19_4
.LBB19_3:
	v_and_b32_e32 v20, 7, v14
	v_ffbh_u32_e32 v22, v20
	v_min_u32_e32 v22, 32, v22
	v_lshrrev_b16_e32 v21, 3, v14
	v_subrev_u32_e32 v23, 28, v22
	v_and_b32_e32 v21, 15, v21
	v_lshlrev_b32_e32 v23, v23, v14
	v_sub_u32_e32 v22, 29, v22
	v_and_b32_e32 v23, 7, v23
	v_cmp_eq_u16_e32 vcc, 0, v21
	v_cndmask_b32_e32 v20, v20, v23, vcc
	v_cndmask_b32_e32 v21, v21, v22, vcc
	v_lshlrev_b32_e32 v22, 24, v14
	v_mov_b32_e32 v23, 0x3b800000
	v_lshlrev_b32_e32 v20, 20, v20
	v_and_b32_e32 v22, 0x80000000, v22
	v_lshl_add_u32 v21, v21, 23, v23
	v_or3_b32 v20, v22, v21, v20
.LBB19_4:
	s_or_b64 exec, exec, s[6:7]
	s_movk_i32 s4, 0x7f
	v_cmp_gt_i16_sdwa s[6:7], v10, s4 src0_sel:BYTE_0 src1_sel:DWORD
	s_mov_b64 s[4:5], 0
                                        ; implicit-def: $sgpr10
	s_and_saveexec_b64 s[8:9], s[6:7]
	s_xor_b64 s[6:7], exec, s[8:9]
	s_cbranch_execnz .LBB19_2053
; %bb.5:
	s_or_saveexec_b64 s[6:7], s[6:7]
	v_mov_b32_e32 v21, s10
	s_xor_b64 exec, exec, s[6:7]
	s_cbranch_execnz .LBB19_2056
.LBB19_6:
	s_or_b64 exec, exec, s[6:7]
	s_and_saveexec_b64 s[6:7], s[4:5]
	s_cbranch_execz .LBB19_8
.LBB19_7:
	v_and_b32_e32 v21, 7, v10
	v_ffbh_u32_e32 v23, v21
	v_min_u32_e32 v23, 32, v23
	v_lshrrev_b16_e32 v22, 3, v10
	v_subrev_u32_e32 v24, 28, v23
	v_and_b32_e32 v22, 15, v22
	v_lshlrev_b32_e32 v24, v24, v10
	v_sub_u32_e32 v23, 29, v23
	v_and_b32_e32 v24, 7, v24
	v_cmp_eq_u16_e32 vcc, 0, v22
	v_cndmask_b32_e32 v21, v21, v24, vcc
	v_cndmask_b32_e32 v22, v22, v23, vcc
	v_lshlrev_b32_e32 v23, 24, v10
	v_mov_b32_e32 v24, 0x3b800000
	v_lshlrev_b32_e32 v21, 20, v21
	v_and_b32_e32 v23, 0x80000000, v23
	v_lshl_add_u32 v22, v22, 23, v24
	v_or3_b32 v21, v23, v22, v21
.LBB19_8:
	s_or_b64 exec, exec, s[6:7]
	flat_load_dwordx4 a[0:3], v[18:19] offset:128
	s_movk_i32 s4, 0x7f
                                        ; implicit-def: $sgpr10
	s_waitcnt vmcnt(0) lgkmcnt(0)
	v_mfma_f32_16x16x4f32 a[0:3], v20, v21, a[0:3]
	v_lshrrev_b32_e32 v21, 8, v14
	v_cmp_gt_i16_sdwa s[6:7], v21, s4 src0_sel:BYTE_0 src1_sel:DWORD
	s_mov_b64 s[4:5], 0
	s_and_saveexec_b64 s[8:9], s[6:7]
	s_xor_b64 s[6:7], exec, s[8:9]
	s_cbranch_execnz .LBB19_2057
; %bb.9:
	s_or_saveexec_b64 s[6:7], s[6:7]
	v_mov_b32_e32 v20, s10
	s_xor_b64 exec, exec, s[6:7]
	s_cbranch_execnz .LBB19_2060
.LBB19_10:
	s_or_b64 exec, exec, s[6:7]
	s_and_saveexec_b64 s[6:7], s[4:5]
	s_cbranch_execz .LBB19_12
.LBB19_11:
	v_bfe_u32 v20, v14, 8, 3
	v_ffbh_u32_e32 v23, v20
	v_min_u32_e32 v23, 32, v23
	v_lshrrev_b16_e32 v22, 3, v21
	v_subrev_u32_e32 v24, 28, v23
	v_and_b32_e32 v22, 15, v22
	v_lshlrev_b32_e32 v21, v24, v21
	v_sub_u32_e32 v23, 29, v23
	v_and_b32_e32 v21, 7, v21
	v_cmp_eq_u16_e32 vcc, 0, v22
	v_cndmask_b32_e32 v20, v20, v21, vcc
	v_cndmask_b32_e32 v21, v22, v23, vcc
	v_lshlrev_b32_e32 v22, 16, v14
	v_mov_b32_e32 v23, 0x3b800000
	v_lshlrev_b32_e32 v20, 20, v20
	v_and_b32_e32 v22, 0x80000000, v22
	v_lshl_add_u32 v21, v21, 23, v23
	v_or3_b32 v20, v22, v21, v20
.LBB19_12:
	s_or_b64 exec, exec, s[6:7]
	v_lshrrev_b32_e32 v21, 8, v10
	s_movk_i32 s4, 0x7f
	v_cmp_gt_i16_sdwa s[6:7], v21, s4 src0_sel:BYTE_0 src1_sel:DWORD
	s_mov_b64 s[4:5], 0
                                        ; implicit-def: $sgpr10
	s_and_saveexec_b64 s[8:9], s[6:7]
	s_xor_b64 s[6:7], exec, s[8:9]
	s_cbranch_execnz .LBB19_2061
; %bb.13:
	s_or_saveexec_b64 s[6:7], s[6:7]
	v_mov_b32_e32 v22, s10
	s_xor_b64 exec, exec, s[6:7]
	s_cbranch_execnz .LBB19_2064
.LBB19_14:
	s_or_b64 exec, exec, s[6:7]
	s_and_saveexec_b64 s[6:7], s[4:5]
	s_cbranch_execz .LBB19_16
.LBB19_15:
	v_bfe_u32 v22, v10, 8, 3
	v_ffbh_u32_e32 v24, v22
	v_min_u32_e32 v24, 32, v24
	v_lshrrev_b16_e32 v23, 3, v21
	v_subrev_u32_e32 v25, 28, v24
	v_and_b32_e32 v23, 15, v23
	v_lshlrev_b32_e32 v21, v25, v21
	v_sub_u32_e32 v24, 29, v24
	v_and_b32_e32 v21, 7, v21
	v_cmp_eq_u16_e32 vcc, 0, v23
	v_cndmask_b32_e32 v21, v22, v21, vcc
	v_cndmask_b32_e32 v22, v23, v24, vcc
	v_lshlrev_b32_e32 v23, 16, v10
	v_mov_b32_e32 v24, 0x3b800000
	v_lshlrev_b32_e32 v21, 20, v21
	v_and_b32_e32 v23, 0x80000000, v23
	v_lshl_add_u32 v22, v22, 23, v24
	v_or3_b32 v22, v23, v22, v21
.LBB19_16:
	s_or_b64 exec, exec, s[6:7]
	s_nop 0
	v_mfma_f32_16x16x4f32 a[0:3], v20, v22, a[0:3]
	s_movk_i32 s4, 0xff
	v_and_b32_sdwa v21, v14, s4 dst_sel:DWORD dst_unused:UNUSED_PAD src0_sel:WORD_1 src1_sel:DWORD
	s_movk_i32 s4, 0x7f
	v_cmp_lt_i16_e32 vcc, s4, v21
	s_mov_b64 s[4:5], 0
                                        ; implicit-def: $sgpr10
	s_and_saveexec_b64 s[6:7], vcc
	s_xor_b64 s[6:7], exec, s[6:7]
	s_cbranch_execnz .LBB19_2065
; %bb.17:
	s_or_saveexec_b64 s[6:7], s[6:7]
	v_mov_b32_e32 v20, s10
	s_xor_b64 exec, exec, s[6:7]
	s_cbranch_execnz .LBB19_2068
.LBB19_18:
	s_or_b64 exec, exec, s[6:7]
	s_and_saveexec_b64 s[6:7], s[4:5]
	s_cbranch_execz .LBB19_20
.LBB19_19:
	v_bfe_u32 v20, v14, 16, 3
	v_ffbh_u32_e32 v23, v20
	v_min_u32_e32 v23, 32, v23
	v_lshrrev_b32_e32 v21, 19, v14
	v_subrev_u32_e32 v24, 28, v23
	v_and_b32_e32 v21, 15, v21
	v_lshlrev_b32_sdwa v24, v24, v14 dst_sel:DWORD dst_unused:UNUSED_PAD src0_sel:DWORD src1_sel:WORD_1
	v_bfe_u32 v22, v14, 19, 4
	v_sub_u32_e32 v23, 29, v23
	v_and_b32_e32 v24, 7, v24
	v_cmp_eq_u16_e32 vcc, 0, v21
	v_cndmask_b32_e32 v20, v20, v24, vcc
	v_cndmask_b32_e32 v21, v22, v23, vcc
	v_lshlrev_b32_e32 v22, 8, v14
	v_mov_b32_e32 v23, 0x3b800000
	v_lshlrev_b32_e32 v20, 20, v20
	v_and_b32_e32 v22, 0x80000000, v22
	v_lshl_add_u32 v21, v21, 23, v23
	v_or3_b32 v20, v22, v21, v20
.LBB19_20:
	s_or_b64 exec, exec, s[6:7]
	s_movk_i32 s4, 0xff
	v_and_b32_sdwa v21, v10, s4 dst_sel:DWORD dst_unused:UNUSED_PAD src0_sel:WORD_1 src1_sel:DWORD
	s_movk_i32 s4, 0x7f
	v_cmp_lt_i16_e32 vcc, s4, v21
	s_mov_b64 s[4:5], 0
                                        ; implicit-def: $sgpr10
	s_and_saveexec_b64 s[6:7], vcc
	s_xor_b64 s[6:7], exec, s[6:7]
	s_cbranch_execnz .LBB19_2069
; %bb.21:
	s_or_saveexec_b64 s[6:7], s[6:7]
	v_mov_b32_e32 v22, s10
	s_xor_b64 exec, exec, s[6:7]
	s_cbranch_execnz .LBB19_2072
.LBB19_22:
	s_or_b64 exec, exec, s[6:7]
	s_and_saveexec_b64 s[6:7], s[4:5]
	s_cbranch_execz .LBB19_24
.LBB19_23:
	v_bfe_u32 v21, v10, 16, 3
	v_ffbh_u32_e32 v24, v21
	v_min_u32_e32 v24, 32, v24
	v_lshrrev_b32_e32 v22, 19, v10
	v_subrev_u32_e32 v25, 28, v24
	v_and_b32_e32 v22, 15, v22
	v_lshlrev_b32_sdwa v25, v25, v10 dst_sel:DWORD dst_unused:UNUSED_PAD src0_sel:DWORD src1_sel:WORD_1
	v_bfe_u32 v23, v10, 19, 4
	v_sub_u32_e32 v24, 29, v24
	v_and_b32_e32 v25, 7, v25
	v_cmp_eq_u16_e32 vcc, 0, v22
	v_cndmask_b32_e32 v21, v21, v25, vcc
	v_cndmask_b32_e32 v22, v23, v24, vcc
	v_lshlrev_b32_e32 v23, 8, v10
	v_mov_b32_e32 v24, 0x3b800000
	v_lshlrev_b32_e32 v21, 20, v21
	v_and_b32_e32 v23, 0x80000000, v23
	v_lshl_add_u32 v22, v22, 23, v24
	v_or3_b32 v22, v23, v22, v21
.LBB19_24:
	s_or_b64 exec, exec, s[6:7]
	s_nop 0
	v_mfma_f32_16x16x4f32 a[0:3], v20, v22, a[0:3]
	s_movk_i32 s4, 0x7f
	v_cmp_gt_i16_sdwa s[6:7], v14, s4 src0_sel:BYTE_3 src1_sel:DWORD
	s_mov_b64 s[4:5], 0
                                        ; implicit-def: $sgpr10
	s_and_saveexec_b64 s[8:9], s[6:7]
	s_xor_b64 s[6:7], exec, s[8:9]
	s_cbranch_execnz .LBB19_2073
; %bb.25:
	s_or_saveexec_b64 s[6:7], s[6:7]
	v_mov_b32_e32 v20, s10
	s_xor_b64 exec, exec, s[6:7]
	s_cbranch_execnz .LBB19_2076
.LBB19_26:
	s_or_b64 exec, exec, s[6:7]
	s_and_saveexec_b64 s[6:7], s[4:5]
	s_cbranch_execz .LBB19_28
.LBB19_27:
	v_bfe_u32 v20, v14, 24, 3
	v_ffbh_u32_e32 v24, v20
	v_min_u32_e32 v24, 32, v24
	v_lshrrev_b32_e32 v22, 27, v14
	v_subrev_u32_e32 v25, 28, v24
	v_and_b32_e32 v21, 0x80000000, v14
	v_and_b32_e32 v22, 15, v22
	v_bfe_u32 v23, v14, 27, 4
	v_lshlrev_b32_sdwa v14, v25, v14 dst_sel:DWORD dst_unused:UNUSED_PAD src0_sel:DWORD src1_sel:BYTE_3
	v_sub_u32_e32 v24, 29, v24
	v_and_b32_e32 v14, 7, v14
	v_cmp_eq_u16_e32 vcc, 0, v22
	v_cndmask_b32_e32 v14, v20, v14, vcc
	v_cndmask_b32_e32 v20, v23, v24, vcc
	v_mov_b32_e32 v22, 0x3b800000
	v_lshlrev_b32_e32 v14, 20, v14
	v_lshl_add_u32 v20, v20, 23, v22
	v_or3_b32 v20, v21, v20, v14
.LBB19_28:
	s_or_b64 exec, exec, s[6:7]
	s_movk_i32 s4, 0x7f
	v_cmp_gt_i16_sdwa s[6:7], v10, s4 src0_sel:BYTE_3 src1_sel:DWORD
	s_mov_b64 s[4:5], 0
                                        ; implicit-def: $sgpr10
	s_and_saveexec_b64 s[8:9], s[6:7]
	s_xor_b64 s[6:7], exec, s[8:9]
	s_cbranch_execnz .LBB19_2077
; %bb.29:
	s_or_saveexec_b64 s[6:7], s[6:7]
	v_mov_b32_e32 v14, s10
	s_xor_b64 exec, exec, s[6:7]
	s_cbranch_execnz .LBB19_2080
.LBB19_30:
	s_or_b64 exec, exec, s[6:7]
	s_and_saveexec_b64 s[6:7], s[4:5]
	s_cbranch_execz .LBB19_32
.LBB19_31:
	v_bfe_u32 v14, v10, 24, 3
	v_ffbh_u32_e32 v24, v14
	v_min_u32_e32 v24, 32, v24
	v_lshrrev_b32_e32 v22, 27, v10
	v_subrev_u32_e32 v25, 28, v24
	v_and_b32_e32 v21, 0x80000000, v10
	v_and_b32_e32 v22, 15, v22
	v_bfe_u32 v23, v10, 27, 4
	v_lshlrev_b32_sdwa v10, v25, v10 dst_sel:DWORD dst_unused:UNUSED_PAD src0_sel:DWORD src1_sel:BYTE_3
	v_sub_u32_e32 v24, 29, v24
	v_and_b32_e32 v10, 7, v10
	v_cmp_eq_u16_e32 vcc, 0, v22
	v_cndmask_b32_e32 v10, v14, v10, vcc
	v_cndmask_b32_e32 v14, v23, v24, vcc
	v_mov_b32_e32 v22, 0x3b800000
	v_lshlrev_b32_e32 v10, 20, v10
	v_lshl_add_u32 v14, v14, 23, v22
	v_or3_b32 v14, v21, v14, v10
.LBB19_32:
	s_or_b64 exec, exec, s[6:7]
	s_nop 0
	v_mfma_f32_16x16x4f32 a[0:3], v20, v14, a[0:3]
	s_movk_i32 s4, 0x7f
	v_cmp_gt_i16_sdwa s[6:7], v15, s4 src0_sel:BYTE_0 src1_sel:DWORD
	s_mov_b64 s[4:5], 0
                                        ; implicit-def: $sgpr10
	s_and_saveexec_b64 s[8:9], s[6:7]
	s_xor_b64 s[6:7], exec, s[8:9]
	s_cbranch_execnz .LBB19_2081
; %bb.33:
	s_or_saveexec_b64 s[6:7], s[6:7]
	v_mov_b32_e32 v10, s10
	s_xor_b64 exec, exec, s[6:7]
	s_cbranch_execnz .LBB19_2084
.LBB19_34:
	s_or_b64 exec, exec, s[6:7]
	s_and_saveexec_b64 s[6:7], s[4:5]
	s_cbranch_execz .LBB19_36
.LBB19_35:
	v_and_b32_e32 v10, 7, v15
	v_ffbh_u32_e32 v20, v10
	v_min_u32_e32 v20, 32, v20
	v_lshrrev_b16_e32 v14, 3, v15
	v_subrev_u32_e32 v21, 28, v20
	v_and_b32_e32 v14, 15, v14
	v_lshlrev_b32_e32 v21, v21, v15
	v_sub_u32_e32 v20, 29, v20
	v_and_b32_e32 v21, 7, v21
	v_cmp_eq_u16_e32 vcc, 0, v14
	v_cndmask_b32_e32 v10, v10, v21, vcc
	v_cndmask_b32_e32 v14, v14, v20, vcc
	v_lshlrev_b32_e32 v20, 24, v15
	v_mov_b32_e32 v21, 0x3b800000
	v_lshlrev_b32_e32 v10, 20, v10
	v_and_b32_e32 v20, 0x80000000, v20
	v_lshl_add_u32 v14, v14, 23, v21
	v_or3_b32 v10, v20, v14, v10
.LBB19_36:
	s_or_b64 exec, exec, s[6:7]
	s_movk_i32 s4, 0x7f
	v_cmp_gt_i16_sdwa s[6:7], v11, s4 src0_sel:BYTE_0 src1_sel:DWORD
	s_mov_b64 s[4:5], 0
                                        ; implicit-def: $sgpr10
	s_and_saveexec_b64 s[8:9], s[6:7]
	s_xor_b64 s[6:7], exec, s[8:9]
	s_cbranch_execnz .LBB19_2085
; %bb.37:
	s_or_saveexec_b64 s[6:7], s[6:7]
	v_mov_b32_e32 v14, s10
	s_xor_b64 exec, exec, s[6:7]
	s_cbranch_execnz .LBB19_2088
.LBB19_38:
	s_or_b64 exec, exec, s[6:7]
	s_and_saveexec_b64 s[6:7], s[4:5]
	s_cbranch_execz .LBB19_40
.LBB19_39:
	v_and_b32_e32 v14, 7, v11
	v_ffbh_u32_e32 v21, v14
	v_min_u32_e32 v21, 32, v21
	v_lshrrev_b16_e32 v20, 3, v11
	v_subrev_u32_e32 v22, 28, v21
	v_and_b32_e32 v20, 15, v20
	v_lshlrev_b32_e32 v22, v22, v11
	v_sub_u32_e32 v21, 29, v21
	v_and_b32_e32 v22, 7, v22
	v_cmp_eq_u16_e32 vcc, 0, v20
	v_cndmask_b32_e32 v14, v14, v22, vcc
	v_cndmask_b32_e32 v20, v20, v21, vcc
	v_lshlrev_b32_e32 v21, 24, v11
	v_mov_b32_e32 v22, 0x3b800000
	v_lshlrev_b32_e32 v14, 20, v14
	v_and_b32_e32 v21, 0x80000000, v21
	v_lshl_add_u32 v20, v20, 23, v22
	v_or3_b32 v14, v21, v20, v14
.LBB19_40:
	s_or_b64 exec, exec, s[6:7]
	s_nop 0
	v_mfma_f32_16x16x4f32 a[0:3], v10, v14, a[0:3]
	v_lshrrev_b32_e32 v14, 8, v15
	s_movk_i32 s4, 0x7f
	v_cmp_gt_i16_sdwa s[6:7], v14, s4 src0_sel:BYTE_0 src1_sel:DWORD
	s_mov_b64 s[4:5], 0
                                        ; implicit-def: $sgpr10
	s_and_saveexec_b64 s[8:9], s[6:7]
	s_xor_b64 s[6:7], exec, s[8:9]
	s_cbranch_execnz .LBB19_2089
; %bb.41:
	s_or_saveexec_b64 s[6:7], s[6:7]
	v_mov_b32_e32 v10, s10
	s_xor_b64 exec, exec, s[6:7]
	s_cbranch_execnz .LBB19_2092
.LBB19_42:
	s_or_b64 exec, exec, s[6:7]
	s_and_saveexec_b64 s[6:7], s[4:5]
	s_cbranch_execz .LBB19_44
.LBB19_43:
	v_bfe_u32 v10, v15, 8, 3
	v_ffbh_u32_e32 v21, v10
	v_min_u32_e32 v21, 32, v21
	v_lshrrev_b16_e32 v20, 3, v14
	v_subrev_u32_e32 v22, 28, v21
	v_and_b32_e32 v20, 15, v20
	v_lshlrev_b32_e32 v14, v22, v14
	v_sub_u32_e32 v21, 29, v21
	v_and_b32_e32 v14, 7, v14
	v_cmp_eq_u16_e32 vcc, 0, v20
	v_cndmask_b32_e32 v10, v10, v14, vcc
	v_cndmask_b32_e32 v14, v20, v21, vcc
	v_lshlrev_b32_e32 v20, 16, v15
	v_mov_b32_e32 v21, 0x3b800000
	v_lshlrev_b32_e32 v10, 20, v10
	v_and_b32_e32 v20, 0x80000000, v20
	v_lshl_add_u32 v14, v14, 23, v21
	v_or3_b32 v10, v20, v14, v10
.LBB19_44:
	s_or_b64 exec, exec, s[6:7]
	v_lshrrev_b32_e32 v14, 8, v11
	s_movk_i32 s4, 0x7f
	v_cmp_gt_i16_sdwa s[6:7], v14, s4 src0_sel:BYTE_0 src1_sel:DWORD
	s_mov_b64 s[4:5], 0
                                        ; implicit-def: $sgpr10
	s_and_saveexec_b64 s[8:9], s[6:7]
	s_xor_b64 s[6:7], exec, s[8:9]
	s_cbranch_execnz .LBB19_2093
; %bb.45:
	s_or_saveexec_b64 s[6:7], s[6:7]
	v_mov_b32_e32 v20, s10
	s_xor_b64 exec, exec, s[6:7]
	s_cbranch_execnz .LBB19_2096
.LBB19_46:
	s_or_b64 exec, exec, s[6:7]
	s_and_saveexec_b64 s[6:7], s[4:5]
	s_cbranch_execz .LBB19_48
.LBB19_47:
	v_bfe_u32 v20, v11, 8, 3
	v_ffbh_u32_e32 v22, v20
	v_min_u32_e32 v22, 32, v22
	v_lshrrev_b16_e32 v21, 3, v14
	v_subrev_u32_e32 v23, 28, v22
	v_and_b32_e32 v21, 15, v21
	v_lshlrev_b32_e32 v14, v23, v14
	v_sub_u32_e32 v22, 29, v22
	v_and_b32_e32 v14, 7, v14
	v_cmp_eq_u16_e32 vcc, 0, v21
	v_cndmask_b32_e32 v14, v20, v14, vcc
	v_cndmask_b32_e32 v20, v21, v22, vcc
	v_lshlrev_b32_e32 v21, 16, v11
	v_mov_b32_e32 v22, 0x3b800000
	v_lshlrev_b32_e32 v14, 20, v14
	v_and_b32_e32 v21, 0x80000000, v21
	v_lshl_add_u32 v20, v20, 23, v22
	v_or3_b32 v20, v21, v20, v14
.LBB19_48:
	s_or_b64 exec, exec, s[6:7]
	s_nop 0
	v_mfma_f32_16x16x4f32 a[0:3], v10, v20, a[0:3]
	s_movk_i32 s4, 0xff
	v_and_b32_sdwa v14, v15, s4 dst_sel:DWORD dst_unused:UNUSED_PAD src0_sel:WORD_1 src1_sel:DWORD
	s_movk_i32 s4, 0x7f
	v_cmp_lt_i16_e32 vcc, s4, v14
	s_mov_b64 s[4:5], 0
                                        ; implicit-def: $sgpr10
	s_and_saveexec_b64 s[6:7], vcc
	s_xor_b64 s[6:7], exec, s[6:7]
	s_cbranch_execnz .LBB19_2097
; %bb.49:
	s_or_saveexec_b64 s[6:7], s[6:7]
	v_mov_b32_e32 v10, s10
	s_xor_b64 exec, exec, s[6:7]
	s_cbranch_execnz .LBB19_2100
.LBB19_50:
	s_or_b64 exec, exec, s[6:7]
	s_and_saveexec_b64 s[6:7], s[4:5]
	s_cbranch_execz .LBB19_52
.LBB19_51:
	v_bfe_u32 v10, v15, 16, 3
	v_ffbh_u32_e32 v21, v10
	v_min_u32_e32 v21, 32, v21
	v_lshrrev_b32_e32 v14, 19, v15
	v_subrev_u32_e32 v22, 28, v21
	v_and_b32_e32 v14, 15, v14
	v_lshlrev_b32_sdwa v22, v22, v15 dst_sel:DWORD dst_unused:UNUSED_PAD src0_sel:DWORD src1_sel:WORD_1
	v_bfe_u32 v20, v15, 19, 4
	v_sub_u32_e32 v21, 29, v21
	v_and_b32_e32 v22, 7, v22
	v_cmp_eq_u16_e32 vcc, 0, v14
	v_cndmask_b32_e32 v10, v10, v22, vcc
	v_cndmask_b32_e32 v14, v20, v21, vcc
	v_lshlrev_b32_e32 v20, 8, v15
	v_mov_b32_e32 v21, 0x3b800000
	v_lshlrev_b32_e32 v10, 20, v10
	v_and_b32_e32 v20, 0x80000000, v20
	v_lshl_add_u32 v14, v14, 23, v21
	v_or3_b32 v10, v20, v14, v10
.LBB19_52:
	s_or_b64 exec, exec, s[6:7]
	s_movk_i32 s4, 0xff
	v_and_b32_sdwa v14, v11, s4 dst_sel:DWORD dst_unused:UNUSED_PAD src0_sel:WORD_1 src1_sel:DWORD
	s_movk_i32 s4, 0x7f
	v_cmp_lt_i16_e32 vcc, s4, v14
	s_mov_b64 s[4:5], 0
                                        ; implicit-def: $sgpr10
	s_and_saveexec_b64 s[6:7], vcc
	s_xor_b64 s[6:7], exec, s[6:7]
	s_cbranch_execnz .LBB19_2101
; %bb.53:
	s_or_saveexec_b64 s[6:7], s[6:7]
	v_mov_b32_e32 v20, s10
	s_xor_b64 exec, exec, s[6:7]
	s_cbranch_execnz .LBB19_2104
.LBB19_54:
	s_or_b64 exec, exec, s[6:7]
	s_and_saveexec_b64 s[6:7], s[4:5]
	s_cbranch_execz .LBB19_56
.LBB19_55:
	v_bfe_u32 v14, v11, 16, 3
	v_ffbh_u32_e32 v22, v14
	v_min_u32_e32 v22, 32, v22
	v_lshrrev_b32_e32 v20, 19, v11
	v_subrev_u32_e32 v23, 28, v22
	v_and_b32_e32 v20, 15, v20
	v_lshlrev_b32_sdwa v23, v23, v11 dst_sel:DWORD dst_unused:UNUSED_PAD src0_sel:DWORD src1_sel:WORD_1
	v_bfe_u32 v21, v11, 19, 4
	v_sub_u32_e32 v22, 29, v22
	v_and_b32_e32 v23, 7, v23
	v_cmp_eq_u16_e32 vcc, 0, v20
	v_cndmask_b32_e32 v14, v14, v23, vcc
	v_cndmask_b32_e32 v20, v21, v22, vcc
	v_lshlrev_b32_e32 v21, 8, v11
	v_mov_b32_e32 v22, 0x3b800000
	v_lshlrev_b32_e32 v14, 20, v14
	v_and_b32_e32 v21, 0x80000000, v21
	v_lshl_add_u32 v20, v20, 23, v22
	v_or3_b32 v20, v21, v20, v14
.LBB19_56:
	s_or_b64 exec, exec, s[6:7]
	s_nop 0
	v_mfma_f32_16x16x4f32 a[0:3], v10, v20, a[0:3]
	s_movk_i32 s4, 0x7f
	v_cmp_gt_i16_sdwa s[6:7], v15, s4 src0_sel:BYTE_3 src1_sel:DWORD
	s_mov_b64 s[4:5], 0
                                        ; implicit-def: $sgpr10
	s_and_saveexec_b64 s[8:9], s[6:7]
	s_xor_b64 s[6:7], exec, s[8:9]
	s_cbranch_execnz .LBB19_2105
; %bb.57:
	s_or_saveexec_b64 s[6:7], s[6:7]
	v_mov_b32_e32 v10, s10
	s_xor_b64 exec, exec, s[6:7]
	s_cbranch_execnz .LBB19_2108
.LBB19_58:
	s_or_b64 exec, exec, s[6:7]
	s_and_saveexec_b64 s[6:7], s[4:5]
	s_cbranch_execz .LBB19_60
.LBB19_59:
	v_bfe_u32 v10, v15, 24, 3
	v_ffbh_u32_e32 v22, v10
	v_min_u32_e32 v22, 32, v22
	v_lshrrev_b32_e32 v20, 27, v15
	v_subrev_u32_e32 v23, 28, v22
	v_and_b32_e32 v14, 0x80000000, v15
	v_and_b32_e32 v20, 15, v20
	v_bfe_u32 v21, v15, 27, 4
	v_lshlrev_b32_sdwa v15, v23, v15 dst_sel:DWORD dst_unused:UNUSED_PAD src0_sel:DWORD src1_sel:BYTE_3
	v_sub_u32_e32 v22, 29, v22
	v_and_b32_e32 v15, 7, v15
	v_cmp_eq_u16_e32 vcc, 0, v20
	v_cndmask_b32_e32 v10, v10, v15, vcc
	v_cndmask_b32_e32 v15, v21, v22, vcc
	v_mov_b32_e32 v20, 0x3b800000
	v_lshlrev_b32_e32 v10, 20, v10
	v_lshl_add_u32 v15, v15, 23, v20
	v_or3_b32 v10, v14, v15, v10
.LBB19_60:
	s_or_b64 exec, exec, s[6:7]
	s_movk_i32 s4, 0x7f
	v_cmp_gt_i16_sdwa s[6:7], v11, s4 src0_sel:BYTE_3 src1_sel:DWORD
	s_mov_b64 s[4:5], 0
                                        ; implicit-def: $sgpr10
	s_and_saveexec_b64 s[8:9], s[6:7]
	s_xor_b64 s[6:7], exec, s[8:9]
	s_cbranch_execnz .LBB19_2109
; %bb.61:
	s_or_saveexec_b64 s[6:7], s[6:7]
	v_mov_b32_e32 v14, s10
	s_xor_b64 exec, exec, s[6:7]
	s_cbranch_execnz .LBB19_2112
.LBB19_62:
	s_or_b64 exec, exec, s[6:7]
	s_and_saveexec_b64 s[6:7], s[4:5]
	s_cbranch_execz .LBB19_64
.LBB19_63:
	v_bfe_u32 v14, v11, 24, 3
	v_ffbh_u32_e32 v22, v14
	v_min_u32_e32 v22, 32, v22
	v_lshrrev_b32_e32 v20, 27, v11
	v_subrev_u32_e32 v23, 28, v22
	v_and_b32_e32 v15, 0x80000000, v11
	v_and_b32_e32 v20, 15, v20
	v_bfe_u32 v21, v11, 27, 4
	v_lshlrev_b32_sdwa v11, v23, v11 dst_sel:DWORD dst_unused:UNUSED_PAD src0_sel:DWORD src1_sel:BYTE_3
	v_sub_u32_e32 v22, 29, v22
	v_and_b32_e32 v11, 7, v11
	v_cmp_eq_u16_e32 vcc, 0, v20
	v_cndmask_b32_e32 v11, v14, v11, vcc
	v_cndmask_b32_e32 v14, v21, v22, vcc
	v_mov_b32_e32 v20, 0x3b800000
	v_lshlrev_b32_e32 v11, 20, v11
	v_lshl_add_u32 v14, v14, 23, v20
	v_or3_b32 v14, v15, v14, v11
.LBB19_64:
	s_or_b64 exec, exec, s[6:7]
	s_nop 0
	v_mfma_f32_16x16x4f32 a[0:3], v10, v14, a[0:3]
	s_movk_i32 s4, 0x7f
	v_cmp_gt_i16_sdwa s[6:7], v16, s4 src0_sel:BYTE_0 src1_sel:DWORD
	s_mov_b64 s[4:5], 0
                                        ; implicit-def: $sgpr10
	s_and_saveexec_b64 s[8:9], s[6:7]
	s_xor_b64 s[6:7], exec, s[8:9]
	s_cbranch_execnz .LBB19_2113
; %bb.65:
	s_or_saveexec_b64 s[6:7], s[6:7]
	v_mov_b32_e32 v10, s10
	s_xor_b64 exec, exec, s[6:7]
	s_cbranch_execnz .LBB19_2116
.LBB19_66:
	s_or_b64 exec, exec, s[6:7]
	s_and_saveexec_b64 s[6:7], s[4:5]
	s_cbranch_execz .LBB19_68
.LBB19_67:
	v_and_b32_e32 v10, 7, v16
	v_ffbh_u32_e32 v14, v10
	v_min_u32_e32 v14, 32, v14
	v_lshrrev_b16_e32 v11, 3, v16
	v_subrev_u32_e32 v15, 28, v14
	v_and_b32_e32 v11, 15, v11
	v_lshlrev_b32_e32 v15, v15, v16
	v_sub_u32_e32 v14, 29, v14
	v_and_b32_e32 v15, 7, v15
	v_cmp_eq_u16_e32 vcc, 0, v11
	v_cndmask_b32_e32 v10, v10, v15, vcc
	v_cndmask_b32_e32 v11, v11, v14, vcc
	v_lshlrev_b32_e32 v14, 24, v16
	v_mov_b32_e32 v15, 0x3b800000
	v_lshlrev_b32_e32 v10, 20, v10
	v_and_b32_e32 v14, 0x80000000, v14
	v_lshl_add_u32 v11, v11, 23, v15
	v_or3_b32 v10, v14, v11, v10
.LBB19_68:
	s_or_b64 exec, exec, s[6:7]
	s_movk_i32 s4, 0x7f
	v_cmp_gt_i16_sdwa s[6:7], v12, s4 src0_sel:BYTE_0 src1_sel:DWORD
	s_mov_b64 s[4:5], 0
                                        ; implicit-def: $sgpr10
	s_and_saveexec_b64 s[8:9], s[6:7]
	s_xor_b64 s[6:7], exec, s[8:9]
	s_cbranch_execnz .LBB19_2117
; %bb.69:
	s_or_saveexec_b64 s[6:7], s[6:7]
	v_mov_b32_e32 v11, s10
	s_xor_b64 exec, exec, s[6:7]
	s_cbranch_execnz .LBB19_2120
.LBB19_70:
	s_or_b64 exec, exec, s[6:7]
	s_and_saveexec_b64 s[6:7], s[4:5]
	s_cbranch_execz .LBB19_72
.LBB19_71:
	v_and_b32_e32 v11, 7, v12
	v_ffbh_u32_e32 v15, v11
	v_min_u32_e32 v15, 32, v15
	v_lshrrev_b16_e32 v14, 3, v12
	v_subrev_u32_e32 v20, 28, v15
	v_and_b32_e32 v14, 15, v14
	v_lshlrev_b32_e32 v20, v20, v12
	v_sub_u32_e32 v15, 29, v15
	v_and_b32_e32 v20, 7, v20
	v_cmp_eq_u16_e32 vcc, 0, v14
	v_cndmask_b32_e32 v11, v11, v20, vcc
	v_cndmask_b32_e32 v14, v14, v15, vcc
	v_lshlrev_b32_e32 v15, 24, v12
	v_mov_b32_e32 v20, 0x3b800000
	v_lshlrev_b32_e32 v11, 20, v11
	v_and_b32_e32 v15, 0x80000000, v15
	v_lshl_add_u32 v14, v14, 23, v20
	v_or3_b32 v11, v15, v14, v11
.LBB19_72:
	s_or_b64 exec, exec, s[6:7]
	s_nop 0
	v_mfma_f32_16x16x4f32 a[0:3], v10, v11, a[0:3]
	v_lshrrev_b32_e32 v11, 8, v16
	s_movk_i32 s4, 0x7f
	v_cmp_gt_i16_sdwa s[6:7], v11, s4 src0_sel:BYTE_0 src1_sel:DWORD
	s_mov_b64 s[4:5], 0
                                        ; implicit-def: $sgpr10
	s_and_saveexec_b64 s[8:9], s[6:7]
	s_xor_b64 s[6:7], exec, s[8:9]
	s_cbranch_execnz .LBB19_2121
; %bb.73:
	s_or_saveexec_b64 s[6:7], s[6:7]
	v_mov_b32_e32 v10, s10
	s_xor_b64 exec, exec, s[6:7]
	s_cbranch_execnz .LBB19_2124
.LBB19_74:
	s_or_b64 exec, exec, s[6:7]
	s_and_saveexec_b64 s[6:7], s[4:5]
	s_cbranch_execz .LBB19_76
.LBB19_75:
	v_bfe_u32 v10, v16, 8, 3
	v_ffbh_u32_e32 v15, v10
	v_min_u32_e32 v15, 32, v15
	v_lshrrev_b16_e32 v14, 3, v11
	v_subrev_u32_e32 v20, 28, v15
	v_and_b32_e32 v14, 15, v14
	v_lshlrev_b32_e32 v11, v20, v11
	v_sub_u32_e32 v15, 29, v15
	v_and_b32_e32 v11, 7, v11
	v_cmp_eq_u16_e32 vcc, 0, v14
	v_cndmask_b32_e32 v10, v10, v11, vcc
	v_cndmask_b32_e32 v11, v14, v15, vcc
	v_lshlrev_b32_e32 v14, 16, v16
	v_mov_b32_e32 v15, 0x3b800000
	v_lshlrev_b32_e32 v10, 20, v10
	v_and_b32_e32 v14, 0x80000000, v14
	v_lshl_add_u32 v11, v11, 23, v15
	v_or3_b32 v10, v14, v11, v10
.LBB19_76:
	s_or_b64 exec, exec, s[6:7]
	v_lshrrev_b32_e32 v11, 8, v12
	s_movk_i32 s4, 0x7f
	v_cmp_gt_i16_sdwa s[6:7], v11, s4 src0_sel:BYTE_0 src1_sel:DWORD
	s_mov_b64 s[4:5], 0
                                        ; implicit-def: $sgpr10
	s_and_saveexec_b64 s[8:9], s[6:7]
	s_xor_b64 s[6:7], exec, s[8:9]
	s_cbranch_execnz .LBB19_2125
; %bb.77:
	s_or_saveexec_b64 s[6:7], s[6:7]
	v_mov_b32_e32 v14, s10
	s_xor_b64 exec, exec, s[6:7]
	s_cbranch_execnz .LBB19_2128
.LBB19_78:
	s_or_b64 exec, exec, s[6:7]
	s_and_saveexec_b64 s[6:7], s[4:5]
	s_cbranch_execz .LBB19_80
.LBB19_79:
	v_bfe_u32 v14, v12, 8, 3
	v_ffbh_u32_e32 v20, v14
	v_min_u32_e32 v20, 32, v20
	v_lshrrev_b16_e32 v15, 3, v11
	v_subrev_u32_e32 v21, 28, v20
	v_and_b32_e32 v15, 15, v15
	v_lshlrev_b32_e32 v11, v21, v11
	v_sub_u32_e32 v20, 29, v20
	v_and_b32_e32 v11, 7, v11
	v_cmp_eq_u16_e32 vcc, 0, v15
	v_cndmask_b32_e32 v11, v14, v11, vcc
	v_cndmask_b32_e32 v14, v15, v20, vcc
	v_lshlrev_b32_e32 v15, 16, v12
	v_mov_b32_e32 v20, 0x3b800000
	v_lshlrev_b32_e32 v11, 20, v11
	v_and_b32_e32 v15, 0x80000000, v15
	v_lshl_add_u32 v14, v14, 23, v20
	v_or3_b32 v14, v15, v14, v11
.LBB19_80:
	s_or_b64 exec, exec, s[6:7]
	s_nop 0
	v_mfma_f32_16x16x4f32 a[0:3], v10, v14, a[0:3]
	s_movk_i32 s4, 0xff
	v_and_b32_sdwa v11, v16, s4 dst_sel:DWORD dst_unused:UNUSED_PAD src0_sel:WORD_1 src1_sel:DWORD
	s_movk_i32 s4, 0x7f
	v_cmp_lt_i16_e32 vcc, s4, v11
	s_mov_b64 s[4:5], 0
                                        ; implicit-def: $sgpr10
	s_and_saveexec_b64 s[6:7], vcc
	s_xor_b64 s[6:7], exec, s[6:7]
	s_cbranch_execnz .LBB19_2129
; %bb.81:
	s_or_saveexec_b64 s[6:7], s[6:7]
	v_mov_b32_e32 v10, s10
	s_xor_b64 exec, exec, s[6:7]
	s_cbranch_execnz .LBB19_2132
.LBB19_82:
	s_or_b64 exec, exec, s[6:7]
	s_and_saveexec_b64 s[6:7], s[4:5]
	s_cbranch_execz .LBB19_84
.LBB19_83:
	v_bfe_u32 v10, v16, 16, 3
	v_ffbh_u32_e32 v15, v10
	v_min_u32_e32 v15, 32, v15
	v_lshrrev_b32_e32 v11, 19, v16
	v_subrev_u32_e32 v20, 28, v15
	v_and_b32_e32 v11, 15, v11
	v_lshlrev_b32_sdwa v20, v20, v16 dst_sel:DWORD dst_unused:UNUSED_PAD src0_sel:DWORD src1_sel:WORD_1
	v_bfe_u32 v14, v16, 19, 4
	v_sub_u32_e32 v15, 29, v15
	v_and_b32_e32 v20, 7, v20
	v_cmp_eq_u16_e32 vcc, 0, v11
	v_cndmask_b32_e32 v10, v10, v20, vcc
	v_cndmask_b32_e32 v11, v14, v15, vcc
	v_lshlrev_b32_e32 v14, 8, v16
	v_mov_b32_e32 v15, 0x3b800000
	v_lshlrev_b32_e32 v10, 20, v10
	v_and_b32_e32 v14, 0x80000000, v14
	v_lshl_add_u32 v11, v11, 23, v15
	v_or3_b32 v10, v14, v11, v10
.LBB19_84:
	s_or_b64 exec, exec, s[6:7]
	s_movk_i32 s4, 0xff
	v_and_b32_sdwa v11, v12, s4 dst_sel:DWORD dst_unused:UNUSED_PAD src0_sel:WORD_1 src1_sel:DWORD
	s_movk_i32 s4, 0x7f
	v_cmp_lt_i16_e32 vcc, s4, v11
	s_mov_b64 s[4:5], 0
                                        ; implicit-def: $sgpr10
	s_and_saveexec_b64 s[6:7], vcc
	s_xor_b64 s[6:7], exec, s[6:7]
	s_cbranch_execnz .LBB19_2133
; %bb.85:
	s_or_saveexec_b64 s[6:7], s[6:7]
	v_mov_b32_e32 v14, s10
	s_xor_b64 exec, exec, s[6:7]
	s_cbranch_execnz .LBB19_2136
.LBB19_86:
	s_or_b64 exec, exec, s[6:7]
	s_and_saveexec_b64 s[6:7], s[4:5]
	s_cbranch_execz .LBB19_88
.LBB19_87:
	v_bfe_u32 v11, v12, 16, 3
	v_ffbh_u32_e32 v20, v11
	v_min_u32_e32 v20, 32, v20
	v_lshrrev_b32_e32 v14, 19, v12
	v_subrev_u32_e32 v21, 28, v20
	v_and_b32_e32 v14, 15, v14
	v_lshlrev_b32_sdwa v21, v21, v12 dst_sel:DWORD dst_unused:UNUSED_PAD src0_sel:DWORD src1_sel:WORD_1
	v_bfe_u32 v15, v12, 19, 4
	v_sub_u32_e32 v20, 29, v20
	v_and_b32_e32 v21, 7, v21
	v_cmp_eq_u16_e32 vcc, 0, v14
	v_cndmask_b32_e32 v11, v11, v21, vcc
	v_cndmask_b32_e32 v14, v15, v20, vcc
	v_lshlrev_b32_e32 v15, 8, v12
	v_mov_b32_e32 v20, 0x3b800000
	v_lshlrev_b32_e32 v11, 20, v11
	v_and_b32_e32 v15, 0x80000000, v15
	v_lshl_add_u32 v14, v14, 23, v20
	v_or3_b32 v14, v15, v14, v11
.LBB19_88:
	s_or_b64 exec, exec, s[6:7]
	s_nop 0
	v_mfma_f32_16x16x4f32 a[0:3], v10, v14, a[0:3]
	s_movk_i32 s4, 0x7f
	v_cmp_gt_i16_sdwa s[6:7], v16, s4 src0_sel:BYTE_3 src1_sel:DWORD
	s_mov_b64 s[4:5], 0
                                        ; implicit-def: $sgpr10
	s_and_saveexec_b64 s[8:9], s[6:7]
	s_xor_b64 s[6:7], exec, s[8:9]
	s_cbranch_execnz .LBB19_2137
; %bb.89:
	s_or_saveexec_b64 s[6:7], s[6:7]
	v_mov_b32_e32 v10, s10
	s_xor_b64 exec, exec, s[6:7]
	s_cbranch_execnz .LBB19_2140
.LBB19_90:
	s_or_b64 exec, exec, s[6:7]
	s_and_saveexec_b64 s[6:7], s[4:5]
	s_cbranch_execz .LBB19_92
.LBB19_91:
	v_bfe_u32 v10, v16, 24, 3
	v_ffbh_u32_e32 v20, v10
	v_min_u32_e32 v20, 32, v20
	v_lshrrev_b32_e32 v14, 27, v16
	v_subrev_u32_e32 v21, 28, v20
	v_and_b32_e32 v11, 0x80000000, v16
	v_and_b32_e32 v14, 15, v14
	v_bfe_u32 v15, v16, 27, 4
	v_lshlrev_b32_sdwa v16, v21, v16 dst_sel:DWORD dst_unused:UNUSED_PAD src0_sel:DWORD src1_sel:BYTE_3
	v_sub_u32_e32 v20, 29, v20
	v_and_b32_e32 v16, 7, v16
	v_cmp_eq_u16_e32 vcc, 0, v14
	v_cndmask_b32_e32 v10, v10, v16, vcc
	v_cndmask_b32_e32 v14, v15, v20, vcc
	v_mov_b32_e32 v15, 0x3b800000
	v_lshlrev_b32_e32 v10, 20, v10
	v_lshl_add_u32 v14, v14, 23, v15
	v_or3_b32 v10, v11, v14, v10
.LBB19_92:
	s_or_b64 exec, exec, s[6:7]
	s_movk_i32 s4, 0x7f
	v_cmp_gt_i16_sdwa s[6:7], v12, s4 src0_sel:BYTE_3 src1_sel:DWORD
	s_mov_b64 s[4:5], 0
                                        ; implicit-def: $sgpr10
	s_and_saveexec_b64 s[8:9], s[6:7]
	s_xor_b64 s[6:7], exec, s[8:9]
	s_cbranch_execnz .LBB19_2141
; %bb.93:
	s_or_saveexec_b64 s[6:7], s[6:7]
	v_mov_b32_e32 v11, s10
	s_xor_b64 exec, exec, s[6:7]
	s_cbranch_execnz .LBB19_2144
.LBB19_94:
	s_or_b64 exec, exec, s[6:7]
	s_and_saveexec_b64 s[6:7], s[4:5]
	s_cbranch_execz .LBB19_96
.LBB19_95:
	v_bfe_u32 v11, v12, 24, 3
	v_ffbh_u32_e32 v20, v11
	v_min_u32_e32 v20, 32, v20
	v_lshrrev_b32_e32 v15, 27, v12
	v_subrev_u32_e32 v21, 28, v20
	v_and_b32_e32 v14, 0x80000000, v12
	v_and_b32_e32 v15, 15, v15
	v_bfe_u32 v16, v12, 27, 4
	v_lshlrev_b32_sdwa v12, v21, v12 dst_sel:DWORD dst_unused:UNUSED_PAD src0_sel:DWORD src1_sel:BYTE_3
	v_sub_u32_e32 v20, 29, v20
	v_and_b32_e32 v12, 7, v12
	v_cmp_eq_u16_e32 vcc, 0, v15
	v_cndmask_b32_e32 v11, v11, v12, vcc
	v_cndmask_b32_e32 v12, v16, v20, vcc
	v_mov_b32_e32 v15, 0x3b800000
	v_lshlrev_b32_e32 v11, 20, v11
	v_lshl_add_u32 v12, v12, 23, v15
	v_or3_b32 v11, v14, v12, v11
.LBB19_96:
	s_or_b64 exec, exec, s[6:7]
	s_nop 0
	v_mfma_f32_16x16x4f32 a[0:3], v10, v11, a[0:3]
	s_movk_i32 s4, 0x7f
	v_cmp_gt_i16_sdwa s[6:7], v17, s4 src0_sel:BYTE_0 src1_sel:DWORD
	s_mov_b64 s[4:5], 0
                                        ; implicit-def: $sgpr10
	s_and_saveexec_b64 s[8:9], s[6:7]
	s_xor_b64 s[6:7], exec, s[8:9]
	s_cbranch_execnz .LBB19_2145
; %bb.97:
	s_or_saveexec_b64 s[6:7], s[6:7]
	v_mov_b32_e32 v10, s10
	s_xor_b64 exec, exec, s[6:7]
	s_cbranch_execnz .LBB19_2148
.LBB19_98:
	s_or_b64 exec, exec, s[6:7]
	s_and_saveexec_b64 s[6:7], s[4:5]
	s_cbranch_execz .LBB19_100
.LBB19_99:
	v_and_b32_e32 v10, 7, v17
	v_ffbh_u32_e32 v12, v10
	v_min_u32_e32 v12, 32, v12
	v_lshrrev_b16_e32 v11, 3, v17
	v_subrev_u32_e32 v14, 28, v12
	v_and_b32_e32 v11, 15, v11
	v_lshlrev_b32_e32 v14, v14, v17
	v_sub_u32_e32 v12, 29, v12
	v_and_b32_e32 v14, 7, v14
	v_cmp_eq_u16_e32 vcc, 0, v11
	v_cndmask_b32_e32 v10, v10, v14, vcc
	v_cndmask_b32_e32 v11, v11, v12, vcc
	v_lshlrev_b32_e32 v12, 24, v17
	v_mov_b32_e32 v14, 0x3b800000
	v_lshlrev_b32_e32 v10, 20, v10
	v_and_b32_e32 v12, 0x80000000, v12
	v_lshl_add_u32 v11, v11, 23, v14
	v_or3_b32 v10, v12, v11, v10
.LBB19_100:
	s_or_b64 exec, exec, s[6:7]
	s_movk_i32 s4, 0x7f
	v_cmp_gt_i16_sdwa s[6:7], v13, s4 src0_sel:BYTE_0 src1_sel:DWORD
	s_mov_b64 s[4:5], 0
                                        ; implicit-def: $sgpr10
	s_and_saveexec_b64 s[8:9], s[6:7]
	s_xor_b64 s[6:7], exec, s[8:9]
	s_cbranch_execnz .LBB19_2149
; %bb.101:
	s_or_saveexec_b64 s[6:7], s[6:7]
	v_mov_b32_e32 v11, s10
	s_xor_b64 exec, exec, s[6:7]
	s_cbranch_execnz .LBB19_2152
.LBB19_102:
	s_or_b64 exec, exec, s[6:7]
	s_and_saveexec_b64 s[6:7], s[4:5]
	s_cbranch_execz .LBB19_104
.LBB19_103:
	v_and_b32_e32 v11, 7, v13
	v_ffbh_u32_e32 v14, v11
	v_min_u32_e32 v14, 32, v14
	v_lshrrev_b16_e32 v12, 3, v13
	v_subrev_u32_e32 v15, 28, v14
	v_and_b32_e32 v12, 15, v12
	v_lshlrev_b32_e32 v15, v15, v13
	v_sub_u32_e32 v14, 29, v14
	v_and_b32_e32 v15, 7, v15
	v_cmp_eq_u16_e32 vcc, 0, v12
	v_cndmask_b32_e32 v11, v11, v15, vcc
	v_cndmask_b32_e32 v12, v12, v14, vcc
	v_lshlrev_b32_e32 v14, 24, v13
	v_mov_b32_e32 v15, 0x3b800000
	v_lshlrev_b32_e32 v11, 20, v11
	v_and_b32_e32 v14, 0x80000000, v14
	v_lshl_add_u32 v12, v12, 23, v15
	v_or3_b32 v11, v14, v12, v11
.LBB19_104:
	s_or_b64 exec, exec, s[6:7]
	s_nop 0
	v_mfma_f32_16x16x4f32 a[0:3], v10, v11, a[0:3]
	v_lshrrev_b32_e32 v11, 8, v17
	s_movk_i32 s4, 0x7f
	v_cmp_gt_i16_sdwa s[6:7], v11, s4 src0_sel:BYTE_0 src1_sel:DWORD
	s_mov_b64 s[4:5], 0
                                        ; implicit-def: $sgpr10
	s_and_saveexec_b64 s[8:9], s[6:7]
	s_xor_b64 s[6:7], exec, s[8:9]
	s_cbranch_execnz .LBB19_2153
; %bb.105:
	s_or_saveexec_b64 s[6:7], s[6:7]
	v_mov_b32_e32 v10, s10
	s_xor_b64 exec, exec, s[6:7]
	s_cbranch_execnz .LBB19_2156
.LBB19_106:
	s_or_b64 exec, exec, s[6:7]
	s_and_saveexec_b64 s[6:7], s[4:5]
	s_cbranch_execz .LBB19_108
.LBB19_107:
	v_bfe_u32 v10, v17, 8, 3
	v_ffbh_u32_e32 v14, v10
	v_min_u32_e32 v14, 32, v14
	v_lshrrev_b16_e32 v12, 3, v11
	v_subrev_u32_e32 v15, 28, v14
	v_and_b32_e32 v12, 15, v12
	v_lshlrev_b32_e32 v11, v15, v11
	v_sub_u32_e32 v14, 29, v14
	v_and_b32_e32 v11, 7, v11
	v_cmp_eq_u16_e32 vcc, 0, v12
	v_cndmask_b32_e32 v10, v10, v11, vcc
	v_cndmask_b32_e32 v11, v12, v14, vcc
	v_lshlrev_b32_e32 v12, 16, v17
	v_mov_b32_e32 v14, 0x3b800000
	v_lshlrev_b32_e32 v10, 20, v10
	v_and_b32_e32 v12, 0x80000000, v12
	v_lshl_add_u32 v11, v11, 23, v14
	v_or3_b32 v10, v12, v11, v10
.LBB19_108:
	s_or_b64 exec, exec, s[6:7]
	v_lshrrev_b32_e32 v11, 8, v13
	s_movk_i32 s4, 0x7f
	v_cmp_gt_i16_sdwa s[6:7], v11, s4 src0_sel:BYTE_0 src1_sel:DWORD
	s_mov_b64 s[4:5], 0
                                        ; implicit-def: $sgpr10
	s_and_saveexec_b64 s[8:9], s[6:7]
	s_xor_b64 s[6:7], exec, s[8:9]
	s_cbranch_execnz .LBB19_2157
; %bb.109:
	s_or_saveexec_b64 s[6:7], s[6:7]
	v_mov_b32_e32 v12, s10
	s_xor_b64 exec, exec, s[6:7]
	s_cbranch_execnz .LBB19_2160
.LBB19_110:
	s_or_b64 exec, exec, s[6:7]
	s_and_saveexec_b64 s[6:7], s[4:5]
	s_cbranch_execz .LBB19_112
.LBB19_111:
	v_bfe_u32 v12, v13, 8, 3
	v_ffbh_u32_e32 v15, v12
	v_min_u32_e32 v15, 32, v15
	v_lshrrev_b16_e32 v14, 3, v11
	v_subrev_u32_e32 v16, 28, v15
	v_and_b32_e32 v14, 15, v14
	v_lshlrev_b32_e32 v11, v16, v11
	v_sub_u32_e32 v15, 29, v15
	v_and_b32_e32 v11, 7, v11
	v_cmp_eq_u16_e32 vcc, 0, v14
	v_cndmask_b32_e32 v11, v12, v11, vcc
	v_cndmask_b32_e32 v12, v14, v15, vcc
	v_lshlrev_b32_e32 v14, 16, v13
	v_mov_b32_e32 v15, 0x3b800000
	v_lshlrev_b32_e32 v11, 20, v11
	v_and_b32_e32 v14, 0x80000000, v14
	v_lshl_add_u32 v12, v12, 23, v15
	v_or3_b32 v12, v14, v12, v11
.LBB19_112:
	s_or_b64 exec, exec, s[6:7]
	s_nop 0
	v_mfma_f32_16x16x4f32 a[0:3], v10, v12, a[0:3]
	s_movk_i32 s4, 0xff
	v_and_b32_sdwa v11, v17, s4 dst_sel:DWORD dst_unused:UNUSED_PAD src0_sel:WORD_1 src1_sel:DWORD
	s_movk_i32 s4, 0x7f
	v_cmp_lt_i16_e32 vcc, s4, v11
	s_mov_b64 s[4:5], 0
                                        ; implicit-def: $sgpr10
	s_and_saveexec_b64 s[6:7], vcc
	s_xor_b64 s[6:7], exec, s[6:7]
	s_cbranch_execnz .LBB19_2161
; %bb.113:
	s_or_saveexec_b64 s[6:7], s[6:7]
	v_mov_b32_e32 v10, s10
	s_xor_b64 exec, exec, s[6:7]
	s_cbranch_execnz .LBB19_2164
.LBB19_114:
	s_or_b64 exec, exec, s[6:7]
	s_and_saveexec_b64 s[6:7], s[4:5]
	s_cbranch_execz .LBB19_116
.LBB19_115:
	v_bfe_u32 v10, v17, 16, 3
	v_ffbh_u32_e32 v14, v10
	v_min_u32_e32 v14, 32, v14
	v_lshrrev_b32_e32 v11, 19, v17
	v_subrev_u32_e32 v15, 28, v14
	v_and_b32_e32 v11, 15, v11
	v_lshlrev_b32_sdwa v15, v15, v17 dst_sel:DWORD dst_unused:UNUSED_PAD src0_sel:DWORD src1_sel:WORD_1
	v_bfe_u32 v12, v17, 19, 4
	v_sub_u32_e32 v14, 29, v14
	v_and_b32_e32 v15, 7, v15
	v_cmp_eq_u16_e32 vcc, 0, v11
	v_cndmask_b32_e32 v10, v10, v15, vcc
	v_cndmask_b32_e32 v11, v12, v14, vcc
	v_lshlrev_b32_e32 v12, 8, v17
	v_mov_b32_e32 v14, 0x3b800000
	v_lshlrev_b32_e32 v10, 20, v10
	v_and_b32_e32 v12, 0x80000000, v12
	v_lshl_add_u32 v11, v11, 23, v14
	v_or3_b32 v10, v12, v11, v10
.LBB19_116:
	s_or_b64 exec, exec, s[6:7]
	s_movk_i32 s4, 0xff
	v_and_b32_sdwa v11, v13, s4 dst_sel:DWORD dst_unused:UNUSED_PAD src0_sel:WORD_1 src1_sel:DWORD
	s_movk_i32 s4, 0x7f
	v_cmp_lt_i16_e32 vcc, s4, v11
	s_mov_b64 s[4:5], 0
                                        ; implicit-def: $sgpr10
	s_and_saveexec_b64 s[6:7], vcc
	s_xor_b64 s[6:7], exec, s[6:7]
	s_cbranch_execnz .LBB19_2165
; %bb.117:
	s_or_saveexec_b64 s[6:7], s[6:7]
	v_mov_b32_e32 v12, s10
	s_xor_b64 exec, exec, s[6:7]
	s_cbranch_execnz .LBB19_2168
.LBB19_118:
	s_or_b64 exec, exec, s[6:7]
	s_and_saveexec_b64 s[6:7], s[4:5]
	s_cbranch_execz .LBB19_120
.LBB19_119:
	v_bfe_u32 v11, v13, 16, 3
	v_ffbh_u32_e32 v15, v11
	v_min_u32_e32 v15, 32, v15
	v_lshrrev_b32_e32 v12, 19, v13
	v_subrev_u32_e32 v16, 28, v15
	v_and_b32_e32 v12, 15, v12
	v_lshlrev_b32_sdwa v16, v16, v13 dst_sel:DWORD dst_unused:UNUSED_PAD src0_sel:DWORD src1_sel:WORD_1
	v_bfe_u32 v14, v13, 19, 4
	v_sub_u32_e32 v15, 29, v15
	v_and_b32_e32 v16, 7, v16
	v_cmp_eq_u16_e32 vcc, 0, v12
	v_cndmask_b32_e32 v11, v11, v16, vcc
	v_cndmask_b32_e32 v12, v14, v15, vcc
	v_lshlrev_b32_e32 v14, 8, v13
	v_mov_b32_e32 v15, 0x3b800000
	v_lshlrev_b32_e32 v11, 20, v11
	v_and_b32_e32 v14, 0x80000000, v14
	v_lshl_add_u32 v12, v12, 23, v15
	v_or3_b32 v12, v14, v12, v11
.LBB19_120:
	s_or_b64 exec, exec, s[6:7]
	s_nop 0
	v_mfma_f32_16x16x4f32 a[0:3], v10, v12, a[0:3]
	s_movk_i32 s4, 0x7f
	v_cmp_gt_i16_sdwa s[6:7], v17, s4 src0_sel:BYTE_3 src1_sel:DWORD
	s_mov_b64 s[4:5], 0
                                        ; implicit-def: $sgpr10
	s_and_saveexec_b64 s[8:9], s[6:7]
	s_xor_b64 s[6:7], exec, s[8:9]
	s_cbranch_execnz .LBB19_2169
; %bb.121:
	s_or_saveexec_b64 s[6:7], s[6:7]
	v_mov_b32_e32 v10, s10
	s_xor_b64 exec, exec, s[6:7]
	s_cbranch_execnz .LBB19_2172
.LBB19_122:
	s_or_b64 exec, exec, s[6:7]
	s_and_saveexec_b64 s[6:7], s[4:5]
	s_cbranch_execz .LBB19_124
.LBB19_123:
	v_bfe_u32 v10, v17, 24, 3
	v_ffbh_u32_e32 v15, v10
	v_min_u32_e32 v15, 32, v15
	v_lshrrev_b32_e32 v12, 27, v17
	v_subrev_u32_e32 v16, 28, v15
	v_and_b32_e32 v12, 15, v12
	v_lshlrev_b32_sdwa v16, v16, v17 dst_sel:DWORD dst_unused:UNUSED_PAD src0_sel:DWORD src1_sel:BYTE_3
	v_bfe_u32 v14, v17, 27, 4
	v_sub_u32_e32 v15, 29, v15
	v_and_b32_e32 v16, 7, v16
	v_cmp_eq_u16_e32 vcc, 0, v12
	v_cndmask_b32_e32 v10, v10, v16, vcc
	v_cndmask_b32_e32 v12, v14, v15, vcc
	v_mov_b32_e32 v14, 0x3b800000
	v_and_b32_e32 v11, 0x80000000, v17
	v_lshlrev_b32_e32 v10, 20, v10
	v_lshl_add_u32 v12, v12, 23, v14
	v_or3_b32 v10, v11, v12, v10
.LBB19_124:
	s_or_b64 exec, exec, s[6:7]
	s_movk_i32 s4, 0x7f
	v_cmp_gt_i16_sdwa s[6:7], v13, s4 src0_sel:BYTE_3 src1_sel:DWORD
	s_mov_b64 s[4:5], 0
                                        ; implicit-def: $sgpr10
	s_and_saveexec_b64 s[8:9], s[6:7]
	s_xor_b64 s[6:7], exec, s[8:9]
	s_cbranch_execnz .LBB19_2173
; %bb.125:
	s_or_saveexec_b64 s[6:7], s[6:7]
	v_mov_b32_e32 v11, s10
	s_xor_b64 exec, exec, s[6:7]
	s_cbranch_execnz .LBB19_2176
.LBB19_126:
	s_or_b64 exec, exec, s[6:7]
	s_and_saveexec_b64 s[6:7], s[4:5]
	s_cbranch_execz .LBB19_128
.LBB19_127:
	v_bfe_u32 v11, v13, 24, 3
	v_ffbh_u32_e32 v16, v11
	v_min_u32_e32 v16, 32, v16
	v_lshrrev_b32_e32 v14, 27, v13
	v_subrev_u32_e32 v17, 28, v16
	v_and_b32_e32 v12, 0x80000000, v13
	v_and_b32_e32 v14, 15, v14
	v_bfe_u32 v15, v13, 27, 4
	v_lshlrev_b32_sdwa v13, v17, v13 dst_sel:DWORD dst_unused:UNUSED_PAD src0_sel:DWORD src1_sel:BYTE_3
	v_sub_u32_e32 v16, 29, v16
	v_and_b32_e32 v13, 7, v13
	v_cmp_eq_u16_e32 vcc, 0, v14
	v_cndmask_b32_e32 v11, v11, v13, vcc
	v_cndmask_b32_e32 v13, v15, v16, vcc
	v_mov_b32_e32 v14, 0x3b800000
	v_lshlrev_b32_e32 v11, 20, v11
	v_lshl_add_u32 v13, v13, 23, v14
	v_or3_b32 v11, v12, v13, v11
.LBB19_128:
	s_or_b64 exec, exec, s[6:7]
	s_nop 0
	v_mfma_f32_16x16x4f32 a[0:3], v10, v11, a[0:3]
	s_movk_i32 s4, 0x7f
	v_cmp_gt_i16_sdwa s[6:7], v6, s4 src0_sel:BYTE_0 src1_sel:DWORD
	s_mov_b64 s[4:5], 0
                                        ; implicit-def: $sgpr10
	s_and_saveexec_b64 s[8:9], s[6:7]
	s_xor_b64 s[6:7], exec, s[8:9]
	s_cbranch_execnz .LBB19_2177
; %bb.129:
	s_or_saveexec_b64 s[6:7], s[6:7]
	v_mov_b32_e32 v10, s10
	s_xor_b64 exec, exec, s[6:7]
	s_cbranch_execnz .LBB19_2180
.LBB19_130:
	s_or_b64 exec, exec, s[6:7]
	s_and_saveexec_b64 s[6:7], s[4:5]
	s_cbranch_execz .LBB19_132
.LBB19_131:
	v_and_b32_e32 v10, 7, v6
	v_ffbh_u32_e32 v12, v10
	v_min_u32_e32 v12, 32, v12
	v_lshrrev_b16_e32 v11, 3, v6
	v_subrev_u32_e32 v13, 28, v12
	v_and_b32_e32 v11, 15, v11
	v_lshlrev_b32_e32 v13, v13, v6
	v_sub_u32_e32 v12, 29, v12
	v_and_b32_e32 v13, 7, v13
	v_cmp_eq_u16_e32 vcc, 0, v11
	v_cndmask_b32_e32 v10, v10, v13, vcc
	v_cndmask_b32_e32 v11, v11, v12, vcc
	v_lshlrev_b32_e32 v12, 24, v6
	v_mov_b32_e32 v13, 0x3b800000
	v_lshlrev_b32_e32 v10, 20, v10
	v_and_b32_e32 v12, 0x80000000, v12
	v_lshl_add_u32 v11, v11, 23, v13
	v_or3_b32 v10, v12, v11, v10
.LBB19_132:
	s_or_b64 exec, exec, s[6:7]
	s_movk_i32 s4, 0x7f
	v_cmp_gt_i16_sdwa s[6:7], v2, s4 src0_sel:BYTE_0 src1_sel:DWORD
	s_mov_b64 s[4:5], 0
                                        ; implicit-def: $sgpr10
	s_and_saveexec_b64 s[8:9], s[6:7]
	s_xor_b64 s[6:7], exec, s[8:9]
	s_cbranch_execnz .LBB19_2181
; %bb.133:
	s_or_saveexec_b64 s[6:7], s[6:7]
	v_mov_b32_e32 v11, s10
	s_xor_b64 exec, exec, s[6:7]
	s_cbranch_execnz .LBB19_2184
.LBB19_134:
	s_or_b64 exec, exec, s[6:7]
	s_and_saveexec_b64 s[6:7], s[4:5]
	s_cbranch_execz .LBB19_136
.LBB19_135:
	v_and_b32_e32 v11, 7, v2
	v_ffbh_u32_e32 v13, v11
	v_min_u32_e32 v13, 32, v13
	v_lshrrev_b16_e32 v12, 3, v2
	v_subrev_u32_e32 v14, 28, v13
	v_and_b32_e32 v12, 15, v12
	v_lshlrev_b32_e32 v14, v14, v2
	v_sub_u32_e32 v13, 29, v13
	v_and_b32_e32 v14, 7, v14
	v_cmp_eq_u16_e32 vcc, 0, v12
	v_cndmask_b32_e32 v11, v11, v14, vcc
	v_cndmask_b32_e32 v12, v12, v13, vcc
	v_lshlrev_b32_e32 v13, 24, v2
	v_mov_b32_e32 v14, 0x3b800000
	v_lshlrev_b32_e32 v11, 20, v11
	v_and_b32_e32 v13, 0x80000000, v13
	v_lshl_add_u32 v12, v12, 23, v14
	v_or3_b32 v11, v13, v12, v11
.LBB19_136:
	s_or_b64 exec, exec, s[6:7]
	s_nop 0
	v_mfma_f32_16x16x4f32 a[0:3], v10, v11, a[0:3]
	v_lshrrev_b32_e32 v11, 8, v6
	s_movk_i32 s4, 0x7f
	v_cmp_gt_i16_sdwa s[6:7], v11, s4 src0_sel:BYTE_0 src1_sel:DWORD
	s_mov_b64 s[4:5], 0
                                        ; implicit-def: $sgpr10
	s_and_saveexec_b64 s[8:9], s[6:7]
	s_xor_b64 s[6:7], exec, s[8:9]
	s_cbranch_execnz .LBB19_2185
; %bb.137:
	s_or_saveexec_b64 s[6:7], s[6:7]
	v_mov_b32_e32 v10, s10
	s_xor_b64 exec, exec, s[6:7]
	s_cbranch_execnz .LBB19_2188
.LBB19_138:
	s_or_b64 exec, exec, s[6:7]
	s_and_saveexec_b64 s[6:7], s[4:5]
	s_cbranch_execz .LBB19_140
.LBB19_139:
	v_bfe_u32 v10, v6, 8, 3
	v_ffbh_u32_e32 v13, v10
	v_min_u32_e32 v13, 32, v13
	v_lshrrev_b16_e32 v12, 3, v11
	v_subrev_u32_e32 v14, 28, v13
	v_and_b32_e32 v12, 15, v12
	v_lshlrev_b32_e32 v11, v14, v11
	v_sub_u32_e32 v13, 29, v13
	v_and_b32_e32 v11, 7, v11
	v_cmp_eq_u16_e32 vcc, 0, v12
	v_cndmask_b32_e32 v10, v10, v11, vcc
	v_cndmask_b32_e32 v11, v12, v13, vcc
	v_lshlrev_b32_e32 v12, 16, v6
	v_mov_b32_e32 v13, 0x3b800000
	v_lshlrev_b32_e32 v10, 20, v10
	v_and_b32_e32 v12, 0x80000000, v12
	v_lshl_add_u32 v11, v11, 23, v13
	v_or3_b32 v10, v12, v11, v10
.LBB19_140:
	s_or_b64 exec, exec, s[6:7]
	v_lshrrev_b32_e32 v11, 8, v2
	s_movk_i32 s4, 0x7f
	v_cmp_gt_i16_sdwa s[6:7], v11, s4 src0_sel:BYTE_0 src1_sel:DWORD
	s_mov_b64 s[4:5], 0
                                        ; implicit-def: $sgpr10
	s_and_saveexec_b64 s[8:9], s[6:7]
	s_xor_b64 s[6:7], exec, s[8:9]
	s_cbranch_execnz .LBB19_2189
; %bb.141:
	s_or_saveexec_b64 s[6:7], s[6:7]
	v_mov_b32_e32 v12, s10
	s_xor_b64 exec, exec, s[6:7]
	s_cbranch_execnz .LBB19_2192
.LBB19_142:
	s_or_b64 exec, exec, s[6:7]
	s_and_saveexec_b64 s[6:7], s[4:5]
	s_cbranch_execz .LBB19_144
.LBB19_143:
	v_bfe_u32 v12, v2, 8, 3
	v_ffbh_u32_e32 v14, v12
	v_min_u32_e32 v14, 32, v14
	v_lshrrev_b16_e32 v13, 3, v11
	v_subrev_u32_e32 v15, 28, v14
	v_and_b32_e32 v13, 15, v13
	v_lshlrev_b32_e32 v11, v15, v11
	v_sub_u32_e32 v14, 29, v14
	v_and_b32_e32 v11, 7, v11
	v_cmp_eq_u16_e32 vcc, 0, v13
	v_cndmask_b32_e32 v11, v12, v11, vcc
	v_cndmask_b32_e32 v12, v13, v14, vcc
	v_lshlrev_b32_e32 v13, 16, v2
	v_mov_b32_e32 v14, 0x3b800000
	v_lshlrev_b32_e32 v11, 20, v11
	v_and_b32_e32 v13, 0x80000000, v13
	v_lshl_add_u32 v12, v12, 23, v14
	v_or3_b32 v12, v13, v12, v11
.LBB19_144:
	s_or_b64 exec, exec, s[6:7]
	s_nop 0
	v_mfma_f32_16x16x4f32 a[0:3], v10, v12, a[0:3]
	s_movk_i32 s4, 0xff
	v_and_b32_sdwa v11, v6, s4 dst_sel:DWORD dst_unused:UNUSED_PAD src0_sel:WORD_1 src1_sel:DWORD
	s_movk_i32 s4, 0x7f
	v_cmp_lt_i16_e32 vcc, s4, v11
	s_mov_b64 s[4:5], 0
                                        ; implicit-def: $sgpr10
	s_and_saveexec_b64 s[6:7], vcc
	s_xor_b64 s[6:7], exec, s[6:7]
	s_cbranch_execnz .LBB19_2193
; %bb.145:
	s_or_saveexec_b64 s[6:7], s[6:7]
	v_mov_b32_e32 v10, s10
	s_xor_b64 exec, exec, s[6:7]
	s_cbranch_execnz .LBB19_2196
.LBB19_146:
	s_or_b64 exec, exec, s[6:7]
	s_and_saveexec_b64 s[6:7], s[4:5]
	s_cbranch_execz .LBB19_148
.LBB19_147:
	v_bfe_u32 v10, v6, 16, 3
	v_ffbh_u32_e32 v13, v10
	v_min_u32_e32 v13, 32, v13
	v_lshrrev_b32_e32 v11, 19, v6
	v_subrev_u32_e32 v14, 28, v13
	v_and_b32_e32 v11, 15, v11
	v_lshlrev_b32_sdwa v14, v14, v6 dst_sel:DWORD dst_unused:UNUSED_PAD src0_sel:DWORD src1_sel:WORD_1
	v_bfe_u32 v12, v6, 19, 4
	v_sub_u32_e32 v13, 29, v13
	v_and_b32_e32 v14, 7, v14
	v_cmp_eq_u16_e32 vcc, 0, v11
	v_cndmask_b32_e32 v10, v10, v14, vcc
	v_cndmask_b32_e32 v11, v12, v13, vcc
	v_lshlrev_b32_e32 v12, 8, v6
	v_mov_b32_e32 v13, 0x3b800000
	v_lshlrev_b32_e32 v10, 20, v10
	v_and_b32_e32 v12, 0x80000000, v12
	v_lshl_add_u32 v11, v11, 23, v13
	v_or3_b32 v10, v12, v11, v10
.LBB19_148:
	s_or_b64 exec, exec, s[6:7]
	s_movk_i32 s4, 0xff
	v_and_b32_sdwa v11, v2, s4 dst_sel:DWORD dst_unused:UNUSED_PAD src0_sel:WORD_1 src1_sel:DWORD
	s_movk_i32 s4, 0x7f
	v_cmp_lt_i16_e32 vcc, s4, v11
	s_mov_b64 s[4:5], 0
                                        ; implicit-def: $sgpr10
	s_and_saveexec_b64 s[6:7], vcc
	s_xor_b64 s[6:7], exec, s[6:7]
	s_cbranch_execnz .LBB19_2197
; %bb.149:
	s_or_saveexec_b64 s[6:7], s[6:7]
	v_mov_b32_e32 v12, s10
	s_xor_b64 exec, exec, s[6:7]
	s_cbranch_execnz .LBB19_2200
.LBB19_150:
	s_or_b64 exec, exec, s[6:7]
	s_and_saveexec_b64 s[6:7], s[4:5]
	s_cbranch_execz .LBB19_152
.LBB19_151:
	v_bfe_u32 v11, v2, 16, 3
	v_ffbh_u32_e32 v14, v11
	v_min_u32_e32 v14, 32, v14
	v_lshrrev_b32_e32 v12, 19, v2
	v_subrev_u32_e32 v15, 28, v14
	v_and_b32_e32 v12, 15, v12
	v_lshlrev_b32_sdwa v15, v15, v2 dst_sel:DWORD dst_unused:UNUSED_PAD src0_sel:DWORD src1_sel:WORD_1
	v_bfe_u32 v13, v2, 19, 4
	v_sub_u32_e32 v14, 29, v14
	v_and_b32_e32 v15, 7, v15
	v_cmp_eq_u16_e32 vcc, 0, v12
	v_cndmask_b32_e32 v11, v11, v15, vcc
	v_cndmask_b32_e32 v12, v13, v14, vcc
	v_lshlrev_b32_e32 v13, 8, v2
	v_mov_b32_e32 v14, 0x3b800000
	v_lshlrev_b32_e32 v11, 20, v11
	v_and_b32_e32 v13, 0x80000000, v13
	v_lshl_add_u32 v12, v12, 23, v14
	v_or3_b32 v12, v13, v12, v11
.LBB19_152:
	s_or_b64 exec, exec, s[6:7]
	s_nop 0
	v_mfma_f32_16x16x4f32 a[0:3], v10, v12, a[0:3]
	s_movk_i32 s4, 0x7f
	v_cmp_gt_i16_sdwa s[6:7], v6, s4 src0_sel:BYTE_3 src1_sel:DWORD
	s_mov_b64 s[4:5], 0
                                        ; implicit-def: $sgpr10
	s_and_saveexec_b64 s[8:9], s[6:7]
	s_xor_b64 s[6:7], exec, s[8:9]
	s_cbranch_execnz .LBB19_2201
; %bb.153:
	s_or_saveexec_b64 s[6:7], s[6:7]
	v_mov_b32_e32 v10, s10
	s_xor_b64 exec, exec, s[6:7]
	s_cbranch_execnz .LBB19_2204
.LBB19_154:
	s_or_b64 exec, exec, s[6:7]
	s_and_saveexec_b64 s[6:7], s[4:5]
	s_cbranch_execz .LBB19_156
.LBB19_155:
	v_bfe_u32 v10, v6, 24, 3
	v_ffbh_u32_e32 v14, v10
	v_min_u32_e32 v14, 32, v14
	v_lshrrev_b32_e32 v12, 27, v6
	v_subrev_u32_e32 v15, 28, v14
	v_and_b32_e32 v11, 0x80000000, v6
	v_and_b32_e32 v12, 15, v12
	v_bfe_u32 v13, v6, 27, 4
	v_lshlrev_b32_sdwa v6, v15, v6 dst_sel:DWORD dst_unused:UNUSED_PAD src0_sel:DWORD src1_sel:BYTE_3
	v_sub_u32_e32 v14, 29, v14
	v_and_b32_e32 v6, 7, v6
	v_cmp_eq_u16_e32 vcc, 0, v12
	v_cndmask_b32_e32 v6, v10, v6, vcc
	v_cndmask_b32_e32 v10, v13, v14, vcc
	v_mov_b32_e32 v12, 0x3b800000
	v_lshlrev_b32_e32 v6, 20, v6
	v_lshl_add_u32 v10, v10, 23, v12
	v_or3_b32 v10, v11, v10, v6
.LBB19_156:
	s_or_b64 exec, exec, s[6:7]
	s_movk_i32 s4, 0x7f
	v_cmp_gt_i16_sdwa s[6:7], v2, s4 src0_sel:BYTE_3 src1_sel:DWORD
	s_mov_b64 s[4:5], 0
                                        ; implicit-def: $sgpr10
	s_and_saveexec_b64 s[8:9], s[6:7]
	s_xor_b64 s[6:7], exec, s[8:9]
	s_cbranch_execnz .LBB19_2205
; %bb.157:
	s_or_saveexec_b64 s[6:7], s[6:7]
	v_mov_b32_e32 v6, s10
	s_xor_b64 exec, exec, s[6:7]
	s_cbranch_execnz .LBB19_2208
.LBB19_158:
	s_or_b64 exec, exec, s[6:7]
	s_and_saveexec_b64 s[6:7], s[4:5]
	s_cbranch_execz .LBB19_160
.LBB19_159:
	v_bfe_u32 v6, v2, 24, 3
	v_ffbh_u32_e32 v14, v6
	v_min_u32_e32 v14, 32, v14
	v_lshrrev_b32_e32 v12, 27, v2
	v_subrev_u32_e32 v15, 28, v14
	v_and_b32_e32 v11, 0x80000000, v2
	v_and_b32_e32 v12, 15, v12
	v_bfe_u32 v13, v2, 27, 4
	v_lshlrev_b32_sdwa v2, v15, v2 dst_sel:DWORD dst_unused:UNUSED_PAD src0_sel:DWORD src1_sel:BYTE_3
	v_sub_u32_e32 v14, 29, v14
	v_and_b32_e32 v2, 7, v2
	v_cmp_eq_u16_e32 vcc, 0, v12
	v_cndmask_b32_e32 v2, v6, v2, vcc
	v_cndmask_b32_e32 v6, v13, v14, vcc
	v_mov_b32_e32 v12, 0x3b800000
	v_lshlrev_b32_e32 v2, 20, v2
	v_lshl_add_u32 v6, v6, 23, v12
	v_or3_b32 v6, v11, v6, v2
.LBB19_160:
	s_or_b64 exec, exec, s[6:7]
	s_nop 0
	v_mfma_f32_16x16x4f32 a[0:3], v10, v6, a[0:3]
	s_movk_i32 s4, 0x7f
	v_cmp_gt_i16_sdwa s[6:7], v7, s4 src0_sel:BYTE_0 src1_sel:DWORD
	s_mov_b64 s[4:5], 0
                                        ; implicit-def: $sgpr10
	s_and_saveexec_b64 s[8:9], s[6:7]
	s_xor_b64 s[6:7], exec, s[8:9]
	s_cbranch_execnz .LBB19_2209
; %bb.161:
	s_or_saveexec_b64 s[6:7], s[6:7]
	v_mov_b32_e32 v2, s10
	s_xor_b64 exec, exec, s[6:7]
	s_cbranch_execnz .LBB19_2212
.LBB19_162:
	s_or_b64 exec, exec, s[6:7]
	s_and_saveexec_b64 s[6:7], s[4:5]
	s_cbranch_execz .LBB19_164
.LBB19_163:
	v_and_b32_e32 v2, 7, v7
	v_ffbh_u32_e32 v10, v2
	v_min_u32_e32 v10, 32, v10
	v_lshrrev_b16_e32 v6, 3, v7
	v_subrev_u32_e32 v11, 28, v10
	v_and_b32_e32 v6, 15, v6
	v_lshlrev_b32_e32 v11, v11, v7
	v_sub_u32_e32 v10, 29, v10
	v_and_b32_e32 v11, 7, v11
	v_cmp_eq_u16_e32 vcc, 0, v6
	v_cndmask_b32_e32 v2, v2, v11, vcc
	v_cndmask_b32_e32 v6, v6, v10, vcc
	v_lshlrev_b32_e32 v10, 24, v7
	v_mov_b32_e32 v11, 0x3b800000
	v_lshlrev_b32_e32 v2, 20, v2
	v_and_b32_e32 v10, 0x80000000, v10
	v_lshl_add_u32 v6, v6, 23, v11
	v_or3_b32 v2, v10, v6, v2
.LBB19_164:
	s_or_b64 exec, exec, s[6:7]
	s_movk_i32 s4, 0x7f
	v_cmp_gt_i16_sdwa s[6:7], v3, s4 src0_sel:BYTE_0 src1_sel:DWORD
	s_mov_b64 s[4:5], 0
                                        ; implicit-def: $sgpr10
	s_and_saveexec_b64 s[8:9], s[6:7]
	s_xor_b64 s[6:7], exec, s[8:9]
	s_cbranch_execnz .LBB19_2213
; %bb.165:
	s_or_saveexec_b64 s[6:7], s[6:7]
	v_mov_b32_e32 v6, s10
	s_xor_b64 exec, exec, s[6:7]
	s_cbranch_execnz .LBB19_2216
.LBB19_166:
	s_or_b64 exec, exec, s[6:7]
	s_and_saveexec_b64 s[6:7], s[4:5]
	s_cbranch_execz .LBB19_168
.LBB19_167:
	v_and_b32_e32 v6, 7, v3
	v_ffbh_u32_e32 v11, v6
	v_min_u32_e32 v11, 32, v11
	v_lshrrev_b16_e32 v10, 3, v3
	v_subrev_u32_e32 v12, 28, v11
	v_and_b32_e32 v10, 15, v10
	v_lshlrev_b32_e32 v12, v12, v3
	v_sub_u32_e32 v11, 29, v11
	v_and_b32_e32 v12, 7, v12
	v_cmp_eq_u16_e32 vcc, 0, v10
	v_cndmask_b32_e32 v6, v6, v12, vcc
	v_cndmask_b32_e32 v10, v10, v11, vcc
	v_lshlrev_b32_e32 v11, 24, v3
	v_mov_b32_e32 v12, 0x3b800000
	v_lshlrev_b32_e32 v6, 20, v6
	v_and_b32_e32 v11, 0x80000000, v11
	v_lshl_add_u32 v10, v10, 23, v12
	v_or3_b32 v6, v11, v10, v6
.LBB19_168:
	s_or_b64 exec, exec, s[6:7]
	s_nop 0
	v_mfma_f32_16x16x4f32 a[0:3], v2, v6, a[0:3]
	v_lshrrev_b32_e32 v6, 8, v7
	s_movk_i32 s4, 0x7f
	v_cmp_gt_i16_sdwa s[6:7], v6, s4 src0_sel:BYTE_0 src1_sel:DWORD
	s_mov_b64 s[4:5], 0
                                        ; implicit-def: $sgpr10
	s_and_saveexec_b64 s[8:9], s[6:7]
	s_xor_b64 s[6:7], exec, s[8:9]
	s_cbranch_execnz .LBB19_2217
; %bb.169:
	s_or_saveexec_b64 s[6:7], s[6:7]
	v_mov_b32_e32 v2, s10
	s_xor_b64 exec, exec, s[6:7]
	s_cbranch_execnz .LBB19_2220
.LBB19_170:
	s_or_b64 exec, exec, s[6:7]
	s_and_saveexec_b64 s[6:7], s[4:5]
	s_cbranch_execz .LBB19_172
.LBB19_171:
	v_bfe_u32 v2, v7, 8, 3
	v_ffbh_u32_e32 v11, v2
	v_min_u32_e32 v11, 32, v11
	v_lshrrev_b16_e32 v10, 3, v6
	v_subrev_u32_e32 v12, 28, v11
	v_and_b32_e32 v10, 15, v10
	v_lshlrev_b32_e32 v6, v12, v6
	v_sub_u32_e32 v11, 29, v11
	v_and_b32_e32 v6, 7, v6
	v_cmp_eq_u16_e32 vcc, 0, v10
	v_cndmask_b32_e32 v2, v2, v6, vcc
	v_cndmask_b32_e32 v6, v10, v11, vcc
	v_lshlrev_b32_e32 v10, 16, v7
	v_mov_b32_e32 v11, 0x3b800000
	v_lshlrev_b32_e32 v2, 20, v2
	v_and_b32_e32 v10, 0x80000000, v10
	v_lshl_add_u32 v6, v6, 23, v11
	v_or3_b32 v2, v10, v6, v2
.LBB19_172:
	s_or_b64 exec, exec, s[6:7]
	v_lshrrev_b32_e32 v6, 8, v3
	s_movk_i32 s4, 0x7f
	v_cmp_gt_i16_sdwa s[6:7], v6, s4 src0_sel:BYTE_0 src1_sel:DWORD
	s_mov_b64 s[4:5], 0
                                        ; implicit-def: $sgpr10
	s_and_saveexec_b64 s[8:9], s[6:7]
	s_xor_b64 s[6:7], exec, s[8:9]
	s_cbranch_execnz .LBB19_2221
; %bb.173:
	s_or_saveexec_b64 s[6:7], s[6:7]
	v_mov_b32_e32 v10, s10
	s_xor_b64 exec, exec, s[6:7]
	s_cbranch_execnz .LBB19_2224
.LBB19_174:
	s_or_b64 exec, exec, s[6:7]
	s_and_saveexec_b64 s[6:7], s[4:5]
	s_cbranch_execz .LBB19_176
.LBB19_175:
	v_bfe_u32 v10, v3, 8, 3
	v_ffbh_u32_e32 v12, v10
	v_min_u32_e32 v12, 32, v12
	v_lshrrev_b16_e32 v11, 3, v6
	v_subrev_u32_e32 v13, 28, v12
	v_and_b32_e32 v11, 15, v11
	v_lshlrev_b32_e32 v6, v13, v6
	v_sub_u32_e32 v12, 29, v12
	v_and_b32_e32 v6, 7, v6
	v_cmp_eq_u16_e32 vcc, 0, v11
	v_cndmask_b32_e32 v6, v10, v6, vcc
	v_cndmask_b32_e32 v10, v11, v12, vcc
	v_lshlrev_b32_e32 v11, 16, v3
	v_mov_b32_e32 v12, 0x3b800000
	v_lshlrev_b32_e32 v6, 20, v6
	v_and_b32_e32 v11, 0x80000000, v11
	v_lshl_add_u32 v10, v10, 23, v12
	v_or3_b32 v10, v11, v10, v6
.LBB19_176:
	s_or_b64 exec, exec, s[6:7]
	s_nop 0
	v_mfma_f32_16x16x4f32 a[0:3], v2, v10, a[0:3]
	s_movk_i32 s4, 0xff
	v_and_b32_sdwa v6, v7, s4 dst_sel:DWORD dst_unused:UNUSED_PAD src0_sel:WORD_1 src1_sel:DWORD
	s_movk_i32 s4, 0x7f
	v_cmp_lt_i16_e32 vcc, s4, v6
	s_mov_b64 s[4:5], 0
                                        ; implicit-def: $sgpr10
	s_and_saveexec_b64 s[6:7], vcc
	s_xor_b64 s[6:7], exec, s[6:7]
	s_cbranch_execnz .LBB19_2225
; %bb.177:
	s_or_saveexec_b64 s[6:7], s[6:7]
	v_mov_b32_e32 v2, s10
	s_xor_b64 exec, exec, s[6:7]
	s_cbranch_execnz .LBB19_2228
.LBB19_178:
	s_or_b64 exec, exec, s[6:7]
	s_and_saveexec_b64 s[6:7], s[4:5]
	s_cbranch_execz .LBB19_180
.LBB19_179:
	v_bfe_u32 v2, v7, 16, 3
	v_ffbh_u32_e32 v11, v2
	v_min_u32_e32 v11, 32, v11
	v_lshrrev_b32_e32 v6, 19, v7
	v_subrev_u32_e32 v12, 28, v11
	v_and_b32_e32 v6, 15, v6
	v_lshlrev_b32_sdwa v12, v12, v7 dst_sel:DWORD dst_unused:UNUSED_PAD src0_sel:DWORD src1_sel:WORD_1
	v_bfe_u32 v10, v7, 19, 4
	v_sub_u32_e32 v11, 29, v11
	v_and_b32_e32 v12, 7, v12
	v_cmp_eq_u16_e32 vcc, 0, v6
	v_cndmask_b32_e32 v2, v2, v12, vcc
	v_cndmask_b32_e32 v6, v10, v11, vcc
	v_lshlrev_b32_e32 v10, 8, v7
	v_mov_b32_e32 v11, 0x3b800000
	v_lshlrev_b32_e32 v2, 20, v2
	v_and_b32_e32 v10, 0x80000000, v10
	v_lshl_add_u32 v6, v6, 23, v11
	v_or3_b32 v2, v10, v6, v2
.LBB19_180:
	s_or_b64 exec, exec, s[6:7]
	s_movk_i32 s4, 0xff
	v_and_b32_sdwa v6, v3, s4 dst_sel:DWORD dst_unused:UNUSED_PAD src0_sel:WORD_1 src1_sel:DWORD
	s_movk_i32 s4, 0x7f
	v_cmp_lt_i16_e32 vcc, s4, v6
	s_mov_b64 s[4:5], 0
                                        ; implicit-def: $sgpr10
	s_and_saveexec_b64 s[6:7], vcc
	s_xor_b64 s[6:7], exec, s[6:7]
	s_cbranch_execnz .LBB19_2229
; %bb.181:
	s_or_saveexec_b64 s[6:7], s[6:7]
	v_mov_b32_e32 v10, s10
	s_xor_b64 exec, exec, s[6:7]
	s_cbranch_execnz .LBB19_2232
.LBB19_182:
	s_or_b64 exec, exec, s[6:7]
	s_and_saveexec_b64 s[6:7], s[4:5]
	s_cbranch_execz .LBB19_184
.LBB19_183:
	v_bfe_u32 v6, v3, 16, 3
	v_ffbh_u32_e32 v12, v6
	v_min_u32_e32 v12, 32, v12
	v_lshrrev_b32_e32 v10, 19, v3
	v_subrev_u32_e32 v13, 28, v12
	v_and_b32_e32 v10, 15, v10
	v_lshlrev_b32_sdwa v13, v13, v3 dst_sel:DWORD dst_unused:UNUSED_PAD src0_sel:DWORD src1_sel:WORD_1
	v_bfe_u32 v11, v3, 19, 4
	v_sub_u32_e32 v12, 29, v12
	v_and_b32_e32 v13, 7, v13
	v_cmp_eq_u16_e32 vcc, 0, v10
	v_cndmask_b32_e32 v6, v6, v13, vcc
	v_cndmask_b32_e32 v10, v11, v12, vcc
	v_lshlrev_b32_e32 v11, 8, v3
	v_mov_b32_e32 v12, 0x3b800000
	v_lshlrev_b32_e32 v6, 20, v6
	v_and_b32_e32 v11, 0x80000000, v11
	v_lshl_add_u32 v10, v10, 23, v12
	v_or3_b32 v10, v11, v10, v6
.LBB19_184:
	s_or_b64 exec, exec, s[6:7]
	s_nop 0
	v_mfma_f32_16x16x4f32 a[0:3], v2, v10, a[0:3]
	s_movk_i32 s4, 0x7f
	v_cmp_gt_i16_sdwa s[6:7], v7, s4 src0_sel:BYTE_3 src1_sel:DWORD
	s_mov_b64 s[4:5], 0
                                        ; implicit-def: $sgpr10
	s_and_saveexec_b64 s[8:9], s[6:7]
	s_xor_b64 s[6:7], exec, s[8:9]
	s_cbranch_execnz .LBB19_2233
; %bb.185:
	s_or_saveexec_b64 s[6:7], s[6:7]
	v_mov_b32_e32 v2, s10
	s_xor_b64 exec, exec, s[6:7]
	s_cbranch_execnz .LBB19_2236
.LBB19_186:
	s_or_b64 exec, exec, s[6:7]
	s_and_saveexec_b64 s[6:7], s[4:5]
	s_cbranch_execz .LBB19_188
.LBB19_187:
	v_bfe_u32 v2, v7, 24, 3
	v_ffbh_u32_e32 v12, v2
	v_min_u32_e32 v12, 32, v12
	v_lshrrev_b32_e32 v10, 27, v7
	v_subrev_u32_e32 v13, 28, v12
	v_and_b32_e32 v6, 0x80000000, v7
	v_and_b32_e32 v10, 15, v10
	v_bfe_u32 v11, v7, 27, 4
	v_lshlrev_b32_sdwa v7, v13, v7 dst_sel:DWORD dst_unused:UNUSED_PAD src0_sel:DWORD src1_sel:BYTE_3
	v_sub_u32_e32 v12, 29, v12
	v_and_b32_e32 v7, 7, v7
	v_cmp_eq_u16_e32 vcc, 0, v10
	v_cndmask_b32_e32 v2, v2, v7, vcc
	v_cndmask_b32_e32 v7, v11, v12, vcc
	v_mov_b32_e32 v10, 0x3b800000
	v_lshlrev_b32_e32 v2, 20, v2
	v_lshl_add_u32 v7, v7, 23, v10
	v_or3_b32 v2, v6, v7, v2
.LBB19_188:
	s_or_b64 exec, exec, s[6:7]
	s_movk_i32 s4, 0x7f
	v_cmp_gt_i16_sdwa s[6:7], v3, s4 src0_sel:BYTE_3 src1_sel:DWORD
	s_mov_b64 s[4:5], 0
                                        ; implicit-def: $sgpr10
	s_and_saveexec_b64 s[8:9], s[6:7]
	s_xor_b64 s[6:7], exec, s[8:9]
	s_cbranch_execnz .LBB19_2237
; %bb.189:
	s_or_saveexec_b64 s[6:7], s[6:7]
	v_mov_b32_e32 v6, s10
	s_xor_b64 exec, exec, s[6:7]
	s_cbranch_execnz .LBB19_2240
.LBB19_190:
	s_or_b64 exec, exec, s[6:7]
	s_and_saveexec_b64 s[6:7], s[4:5]
	s_cbranch_execz .LBB19_192
.LBB19_191:
	v_bfe_u32 v6, v3, 24, 3
	v_ffbh_u32_e32 v12, v6
	v_min_u32_e32 v12, 32, v12
	v_lshrrev_b32_e32 v10, 27, v3
	v_subrev_u32_e32 v13, 28, v12
	v_and_b32_e32 v7, 0x80000000, v3
	v_and_b32_e32 v10, 15, v10
	v_bfe_u32 v11, v3, 27, 4
	v_lshlrev_b32_sdwa v3, v13, v3 dst_sel:DWORD dst_unused:UNUSED_PAD src0_sel:DWORD src1_sel:BYTE_3
	v_sub_u32_e32 v12, 29, v12
	v_and_b32_e32 v3, 7, v3
	v_cmp_eq_u16_e32 vcc, 0, v10
	v_cndmask_b32_e32 v3, v6, v3, vcc
	v_cndmask_b32_e32 v6, v11, v12, vcc
	v_mov_b32_e32 v10, 0x3b800000
	v_lshlrev_b32_e32 v3, 20, v3
	v_lshl_add_u32 v6, v6, 23, v10
	v_or3_b32 v6, v7, v6, v3
.LBB19_192:
	s_or_b64 exec, exec, s[6:7]
	s_nop 0
	v_mfma_f32_16x16x4f32 a[0:3], v2, v6, a[0:3]
	s_movk_i32 s4, 0x7f
	v_cmp_gt_i16_sdwa s[6:7], v8, s4 src0_sel:BYTE_0 src1_sel:DWORD
	s_mov_b64 s[4:5], 0
                                        ; implicit-def: $sgpr10
	s_and_saveexec_b64 s[8:9], s[6:7]
	s_xor_b64 s[6:7], exec, s[8:9]
	s_cbranch_execnz .LBB19_2241
; %bb.193:
	s_or_saveexec_b64 s[6:7], s[6:7]
	v_mov_b32_e32 v2, s10
	s_xor_b64 exec, exec, s[6:7]
	s_cbranch_execnz .LBB19_2244
.LBB19_194:
	s_or_b64 exec, exec, s[6:7]
	s_and_saveexec_b64 s[6:7], s[4:5]
	s_cbranch_execz .LBB19_196
.LBB19_195:
	v_and_b32_e32 v2, 7, v8
	v_ffbh_u32_e32 v6, v2
	v_min_u32_e32 v6, 32, v6
	v_lshrrev_b16_e32 v3, 3, v8
	v_subrev_u32_e32 v7, 28, v6
	v_and_b32_e32 v3, 15, v3
	v_lshlrev_b32_e32 v7, v7, v8
	v_sub_u32_e32 v6, 29, v6
	v_and_b32_e32 v7, 7, v7
	v_cmp_eq_u16_e32 vcc, 0, v3
	v_cndmask_b32_e32 v2, v2, v7, vcc
	v_cndmask_b32_e32 v3, v3, v6, vcc
	v_lshlrev_b32_e32 v6, 24, v8
	v_mov_b32_e32 v7, 0x3b800000
	v_lshlrev_b32_e32 v2, 20, v2
	v_and_b32_e32 v6, 0x80000000, v6
	v_lshl_add_u32 v3, v3, 23, v7
	v_or3_b32 v2, v6, v3, v2
.LBB19_196:
	s_or_b64 exec, exec, s[6:7]
	s_movk_i32 s4, 0x7f
	v_cmp_gt_i16_sdwa s[6:7], v4, s4 src0_sel:BYTE_0 src1_sel:DWORD
	s_mov_b64 s[4:5], 0
                                        ; implicit-def: $sgpr10
	s_and_saveexec_b64 s[8:9], s[6:7]
	s_xor_b64 s[6:7], exec, s[8:9]
	s_cbranch_execnz .LBB19_2245
; %bb.197:
	s_or_saveexec_b64 s[6:7], s[6:7]
	v_mov_b32_e32 v3, s10
	s_xor_b64 exec, exec, s[6:7]
	s_cbranch_execnz .LBB19_2248
.LBB19_198:
	s_or_b64 exec, exec, s[6:7]
	s_and_saveexec_b64 s[6:7], s[4:5]
	s_cbranch_execz .LBB19_200
.LBB19_199:
	v_and_b32_e32 v3, 7, v4
	v_ffbh_u32_e32 v7, v3
	v_min_u32_e32 v7, 32, v7
	v_lshrrev_b16_e32 v6, 3, v4
	v_subrev_u32_e32 v10, 28, v7
	v_and_b32_e32 v6, 15, v6
	v_lshlrev_b32_e32 v10, v10, v4
	v_sub_u32_e32 v7, 29, v7
	v_and_b32_e32 v10, 7, v10
	v_cmp_eq_u16_e32 vcc, 0, v6
	v_cndmask_b32_e32 v3, v3, v10, vcc
	v_cndmask_b32_e32 v6, v6, v7, vcc
	v_lshlrev_b32_e32 v7, 24, v4
	v_mov_b32_e32 v10, 0x3b800000
	v_lshlrev_b32_e32 v3, 20, v3
	v_and_b32_e32 v7, 0x80000000, v7
	v_lshl_add_u32 v6, v6, 23, v10
	v_or3_b32 v3, v7, v6, v3
.LBB19_200:
	s_or_b64 exec, exec, s[6:7]
	s_nop 0
	v_mfma_f32_16x16x4f32 a[0:3], v2, v3, a[0:3]
	v_lshrrev_b32_e32 v3, 8, v8
	s_movk_i32 s4, 0x7f
	v_cmp_gt_i16_sdwa s[6:7], v3, s4 src0_sel:BYTE_0 src1_sel:DWORD
	s_mov_b64 s[4:5], 0
                                        ; implicit-def: $sgpr10
	s_and_saveexec_b64 s[8:9], s[6:7]
	s_xor_b64 s[6:7], exec, s[8:9]
	s_cbranch_execnz .LBB19_2249
; %bb.201:
	s_or_saveexec_b64 s[6:7], s[6:7]
	v_mov_b32_e32 v2, s10
	s_xor_b64 exec, exec, s[6:7]
	s_cbranch_execnz .LBB19_2252
.LBB19_202:
	s_or_b64 exec, exec, s[6:7]
	s_and_saveexec_b64 s[6:7], s[4:5]
	s_cbranch_execz .LBB19_204
.LBB19_203:
	v_bfe_u32 v2, v8, 8, 3
	v_ffbh_u32_e32 v7, v2
	v_min_u32_e32 v7, 32, v7
	v_lshrrev_b16_e32 v6, 3, v3
	v_subrev_u32_e32 v10, 28, v7
	v_and_b32_e32 v6, 15, v6
	v_lshlrev_b32_e32 v3, v10, v3
	v_sub_u32_e32 v7, 29, v7
	v_and_b32_e32 v3, 7, v3
	v_cmp_eq_u16_e32 vcc, 0, v6
	v_cndmask_b32_e32 v2, v2, v3, vcc
	v_cndmask_b32_e32 v3, v6, v7, vcc
	v_lshlrev_b32_e32 v6, 16, v8
	v_mov_b32_e32 v7, 0x3b800000
	v_lshlrev_b32_e32 v2, 20, v2
	v_and_b32_e32 v6, 0x80000000, v6
	v_lshl_add_u32 v3, v3, 23, v7
	v_or3_b32 v2, v6, v3, v2
.LBB19_204:
	s_or_b64 exec, exec, s[6:7]
	v_lshrrev_b32_e32 v3, 8, v4
	s_movk_i32 s4, 0x7f
	v_cmp_gt_i16_sdwa s[6:7], v3, s4 src0_sel:BYTE_0 src1_sel:DWORD
	s_mov_b64 s[4:5], 0
                                        ; implicit-def: $sgpr10
	s_and_saveexec_b64 s[8:9], s[6:7]
	s_xor_b64 s[6:7], exec, s[8:9]
	s_cbranch_execnz .LBB19_2253
; %bb.205:
	s_or_saveexec_b64 s[6:7], s[6:7]
	v_mov_b32_e32 v6, s10
	s_xor_b64 exec, exec, s[6:7]
	s_cbranch_execnz .LBB19_2256
.LBB19_206:
	s_or_b64 exec, exec, s[6:7]
	s_and_saveexec_b64 s[6:7], s[4:5]
	s_cbranch_execz .LBB19_208
.LBB19_207:
	v_bfe_u32 v6, v4, 8, 3
	v_ffbh_u32_e32 v10, v6
	v_min_u32_e32 v10, 32, v10
	v_lshrrev_b16_e32 v7, 3, v3
	v_subrev_u32_e32 v11, 28, v10
	v_and_b32_e32 v7, 15, v7
	v_lshlrev_b32_e32 v3, v11, v3
	v_sub_u32_e32 v10, 29, v10
	v_and_b32_e32 v3, 7, v3
	v_cmp_eq_u16_e32 vcc, 0, v7
	v_cndmask_b32_e32 v3, v6, v3, vcc
	v_cndmask_b32_e32 v6, v7, v10, vcc
	v_lshlrev_b32_e32 v7, 16, v4
	v_mov_b32_e32 v10, 0x3b800000
	v_lshlrev_b32_e32 v3, 20, v3
	v_and_b32_e32 v7, 0x80000000, v7
	v_lshl_add_u32 v6, v6, 23, v10
	v_or3_b32 v6, v7, v6, v3
.LBB19_208:
	s_or_b64 exec, exec, s[6:7]
	s_nop 0
	v_mfma_f32_16x16x4f32 a[0:3], v2, v6, a[0:3]
	s_movk_i32 s4, 0xff
	v_and_b32_sdwa v3, v8, s4 dst_sel:DWORD dst_unused:UNUSED_PAD src0_sel:WORD_1 src1_sel:DWORD
	s_movk_i32 s4, 0x7f
	v_cmp_lt_i16_e32 vcc, s4, v3
	s_mov_b64 s[4:5], 0
                                        ; implicit-def: $sgpr10
	s_and_saveexec_b64 s[6:7], vcc
	s_xor_b64 s[6:7], exec, s[6:7]
	s_cbranch_execnz .LBB19_2257
; %bb.209:
	s_or_saveexec_b64 s[6:7], s[6:7]
	v_mov_b32_e32 v2, s10
	s_xor_b64 exec, exec, s[6:7]
	s_cbranch_execnz .LBB19_2260
.LBB19_210:
	s_or_b64 exec, exec, s[6:7]
	s_and_saveexec_b64 s[6:7], s[4:5]
	s_cbranch_execz .LBB19_212
.LBB19_211:
	v_bfe_u32 v2, v8, 16, 3
	v_ffbh_u32_e32 v7, v2
	v_min_u32_e32 v7, 32, v7
	v_lshrrev_b32_e32 v3, 19, v8
	v_subrev_u32_e32 v10, 28, v7
	v_and_b32_e32 v3, 15, v3
	v_lshlrev_b32_sdwa v10, v10, v8 dst_sel:DWORD dst_unused:UNUSED_PAD src0_sel:DWORD src1_sel:WORD_1
	v_bfe_u32 v6, v8, 19, 4
	v_sub_u32_e32 v7, 29, v7
	v_and_b32_e32 v10, 7, v10
	v_cmp_eq_u16_e32 vcc, 0, v3
	v_cndmask_b32_e32 v2, v2, v10, vcc
	v_cndmask_b32_e32 v3, v6, v7, vcc
	v_lshlrev_b32_e32 v6, 8, v8
	v_mov_b32_e32 v7, 0x3b800000
	v_lshlrev_b32_e32 v2, 20, v2
	v_and_b32_e32 v6, 0x80000000, v6
	v_lshl_add_u32 v3, v3, 23, v7
	v_or3_b32 v2, v6, v3, v2
.LBB19_212:
	s_or_b64 exec, exec, s[6:7]
	s_movk_i32 s4, 0xff
	v_and_b32_sdwa v3, v4, s4 dst_sel:DWORD dst_unused:UNUSED_PAD src0_sel:WORD_1 src1_sel:DWORD
	s_movk_i32 s4, 0x7f
	v_cmp_lt_i16_e32 vcc, s4, v3
	s_mov_b64 s[4:5], 0
                                        ; implicit-def: $sgpr10
	s_and_saveexec_b64 s[6:7], vcc
	s_xor_b64 s[6:7], exec, s[6:7]
	s_cbranch_execnz .LBB19_2261
; %bb.213:
	s_or_saveexec_b64 s[6:7], s[6:7]
	v_mov_b32_e32 v6, s10
	s_xor_b64 exec, exec, s[6:7]
	s_cbranch_execnz .LBB19_2264
.LBB19_214:
	s_or_b64 exec, exec, s[6:7]
	s_and_saveexec_b64 s[6:7], s[4:5]
	s_cbranch_execz .LBB19_216
.LBB19_215:
	v_bfe_u32 v3, v4, 16, 3
	v_ffbh_u32_e32 v10, v3
	v_min_u32_e32 v10, 32, v10
	v_lshrrev_b32_e32 v6, 19, v4
	v_subrev_u32_e32 v11, 28, v10
	v_and_b32_e32 v6, 15, v6
	v_lshlrev_b32_sdwa v11, v11, v4 dst_sel:DWORD dst_unused:UNUSED_PAD src0_sel:DWORD src1_sel:WORD_1
	v_bfe_u32 v7, v4, 19, 4
	v_sub_u32_e32 v10, 29, v10
	v_and_b32_e32 v11, 7, v11
	v_cmp_eq_u16_e32 vcc, 0, v6
	v_cndmask_b32_e32 v3, v3, v11, vcc
	v_cndmask_b32_e32 v6, v7, v10, vcc
	v_lshlrev_b32_e32 v7, 8, v4
	v_mov_b32_e32 v10, 0x3b800000
	v_lshlrev_b32_e32 v3, 20, v3
	v_and_b32_e32 v7, 0x80000000, v7
	v_lshl_add_u32 v6, v6, 23, v10
	v_or3_b32 v6, v7, v6, v3
.LBB19_216:
	s_or_b64 exec, exec, s[6:7]
	s_nop 0
	v_mfma_f32_16x16x4f32 a[0:3], v2, v6, a[0:3]
	s_movk_i32 s4, 0x7f
	v_cmp_gt_i16_sdwa s[6:7], v8, s4 src0_sel:BYTE_3 src1_sel:DWORD
	s_mov_b64 s[4:5], 0
                                        ; implicit-def: $sgpr10
	s_and_saveexec_b64 s[8:9], s[6:7]
	s_xor_b64 s[6:7], exec, s[8:9]
	s_cbranch_execnz .LBB19_2265
; %bb.217:
	s_or_saveexec_b64 s[6:7], s[6:7]
	v_mov_b32_e32 v2, s10
	s_xor_b64 exec, exec, s[6:7]
	s_cbranch_execnz .LBB19_2268
.LBB19_218:
	s_or_b64 exec, exec, s[6:7]
	s_and_saveexec_b64 s[6:7], s[4:5]
	s_cbranch_execz .LBB19_220
.LBB19_219:
	v_bfe_u32 v2, v8, 24, 3
	v_ffbh_u32_e32 v10, v2
	v_min_u32_e32 v10, 32, v10
	v_lshrrev_b32_e32 v6, 27, v8
	v_subrev_u32_e32 v11, 28, v10
	v_and_b32_e32 v3, 0x80000000, v8
	v_and_b32_e32 v6, 15, v6
	v_bfe_u32 v7, v8, 27, 4
	v_lshlrev_b32_sdwa v8, v11, v8 dst_sel:DWORD dst_unused:UNUSED_PAD src0_sel:DWORD src1_sel:BYTE_3
	v_sub_u32_e32 v10, 29, v10
	v_and_b32_e32 v8, 7, v8
	v_cmp_eq_u16_e32 vcc, 0, v6
	v_cndmask_b32_e32 v2, v2, v8, vcc
	v_cndmask_b32_e32 v6, v7, v10, vcc
	v_mov_b32_e32 v7, 0x3b800000
	v_lshlrev_b32_e32 v2, 20, v2
	v_lshl_add_u32 v6, v6, 23, v7
	v_or3_b32 v2, v3, v6, v2
.LBB19_220:
	s_or_b64 exec, exec, s[6:7]
	s_movk_i32 s4, 0x7f
	v_cmp_gt_i16_sdwa s[6:7], v4, s4 src0_sel:BYTE_3 src1_sel:DWORD
	s_mov_b64 s[4:5], 0
                                        ; implicit-def: $sgpr10
	s_and_saveexec_b64 s[8:9], s[6:7]
	s_xor_b64 s[6:7], exec, s[8:9]
	s_cbranch_execnz .LBB19_2269
; %bb.221:
	s_or_saveexec_b64 s[6:7], s[6:7]
	v_mov_b32_e32 v3, s10
	s_xor_b64 exec, exec, s[6:7]
	s_cbranch_execnz .LBB19_2272
.LBB19_222:
	s_or_b64 exec, exec, s[6:7]
	s_and_saveexec_b64 s[6:7], s[4:5]
	s_cbranch_execz .LBB19_224
.LBB19_223:
	v_bfe_u32 v3, v4, 24, 3
	v_ffbh_u32_e32 v10, v3
	v_min_u32_e32 v10, 32, v10
	v_lshrrev_b32_e32 v7, 27, v4
	v_subrev_u32_e32 v11, 28, v10
	v_and_b32_e32 v6, 0x80000000, v4
	v_and_b32_e32 v7, 15, v7
	v_bfe_u32 v8, v4, 27, 4
	v_lshlrev_b32_sdwa v4, v11, v4 dst_sel:DWORD dst_unused:UNUSED_PAD src0_sel:DWORD src1_sel:BYTE_3
	v_sub_u32_e32 v10, 29, v10
	v_and_b32_e32 v4, 7, v4
	v_cmp_eq_u16_e32 vcc, 0, v7
	v_cndmask_b32_e32 v3, v3, v4, vcc
	v_cndmask_b32_e32 v4, v8, v10, vcc
	v_mov_b32_e32 v7, 0x3b800000
	v_lshlrev_b32_e32 v3, 20, v3
	v_lshl_add_u32 v4, v4, 23, v7
	v_or3_b32 v3, v6, v4, v3
.LBB19_224:
	s_or_b64 exec, exec, s[6:7]
	s_nop 0
	v_mfma_f32_16x16x4f32 a[0:3], v2, v3, a[0:3]
	s_movk_i32 s4, 0x7f
	v_cmp_gt_i16_sdwa s[6:7], v9, s4 src0_sel:BYTE_0 src1_sel:DWORD
	s_mov_b64 s[4:5], 0
                                        ; implicit-def: $sgpr10
	s_and_saveexec_b64 s[8:9], s[6:7]
	s_xor_b64 s[6:7], exec, s[8:9]
	s_cbranch_execnz .LBB19_2273
; %bb.225:
	s_or_saveexec_b64 s[6:7], s[6:7]
	v_mov_b32_e32 v2, s10
	s_xor_b64 exec, exec, s[6:7]
	s_cbranch_execnz .LBB19_2276
.LBB19_226:
	s_or_b64 exec, exec, s[6:7]
	s_and_saveexec_b64 s[6:7], s[4:5]
	s_cbranch_execz .LBB19_228
.LBB19_227:
	v_mov_b32_e32 v2, 8
	v_and_b32_e32 v3, 7, v9
	v_lshrrev_b32_sdwa v2, v2, v9 dst_sel:BYTE_1 dst_unused:UNUSED_PAD src0_sel:DWORD src1_sel:DWORD
	v_ffbh_u32_e32 v4, v3
	v_or_b32_sdwa v2, v9, v2 dst_sel:DWORD dst_unused:UNUSED_PAD src0_sel:BYTE_0 src1_sel:DWORD
	v_min_u32_e32 v4, 32, v4
	v_lshrrev_b16_e32 v2, 3, v2
	v_subrev_u32_e32 v6, 28, v4
	v_and_b32_e32 v2, 15, v2
	v_lshlrev_b32_e32 v6, v6, v9
	v_sub_u32_e32 v4, 29, v4
	v_and_b32_e32 v6, 7, v6
	v_cmp_eq_u16_e32 vcc, 0, v2
	v_cndmask_b32_e32 v3, v3, v6, vcc
	v_cndmask_b32_e32 v2, v2, v4, vcc
	v_lshlrev_b32_e32 v4, 24, v9
	v_mov_b32_e32 v6, 0x3b800000
	v_lshlrev_b32_e32 v3, 20, v3
	v_and_b32_e32 v4, 0x80000000, v4
	v_lshl_add_u32 v2, v2, 23, v6
	v_or3_b32 v2, v4, v2, v3
.LBB19_228:
	s_or_b64 exec, exec, s[6:7]
	s_movk_i32 s4, 0x7f
	v_cmp_gt_i16_sdwa s[6:7], v5, s4 src0_sel:BYTE_0 src1_sel:DWORD
	s_mov_b64 s[4:5], 0
                                        ; implicit-def: $sgpr10
	s_and_saveexec_b64 s[8:9], s[6:7]
	s_xor_b64 s[6:7], exec, s[8:9]
	s_cbranch_execnz .LBB19_2277
; %bb.229:
	s_or_saveexec_b64 s[6:7], s[6:7]
	v_mov_b32_e32 v3, s10
	s_xor_b64 exec, exec, s[6:7]
	s_cbranch_execnz .LBB19_2280
.LBB19_230:
	s_or_b64 exec, exec, s[6:7]
	s_and_saveexec_b64 s[6:7], s[4:5]
	s_cbranch_execz .LBB19_232
.LBB19_231:
	v_mov_b32_e32 v3, 8
	v_and_b32_e32 v4, 7, v5
	v_lshrrev_b32_sdwa v3, v3, v5 dst_sel:BYTE_1 dst_unused:UNUSED_PAD src0_sel:DWORD src1_sel:DWORD
	v_ffbh_u32_e32 v6, v4
	v_or_b32_sdwa v3, v5, v3 dst_sel:DWORD dst_unused:UNUSED_PAD src0_sel:BYTE_0 src1_sel:DWORD
	v_min_u32_e32 v6, 32, v6
	v_lshrrev_b16_e32 v3, 3, v3
	v_subrev_u32_e32 v7, 28, v6
	v_and_b32_e32 v3, 15, v3
	v_lshlrev_b32_e32 v7, v7, v5
	v_sub_u32_e32 v6, 29, v6
	v_and_b32_e32 v7, 7, v7
	v_cmp_eq_u16_e32 vcc, 0, v3
	v_cndmask_b32_e32 v4, v4, v7, vcc
	v_cndmask_b32_e32 v3, v3, v6, vcc
	v_lshlrev_b32_e32 v6, 24, v5
	v_mov_b32_e32 v7, 0x3b800000
	v_lshlrev_b32_e32 v4, 20, v4
	v_and_b32_e32 v6, 0x80000000, v6
	v_lshl_add_u32 v3, v3, 23, v7
	v_or3_b32 v3, v6, v3, v4
.LBB19_232:
	s_or_b64 exec, exec, s[6:7]
	s_nop 0
	v_mfma_f32_16x16x4f32 a[0:3], v2, v3, a[0:3]
	v_lshrrev_b32_e32 v3, 8, v9
	s_movk_i32 s4, 0x7f
	v_cmp_gt_i16_sdwa s[6:7], v3, s4 src0_sel:BYTE_0 src1_sel:DWORD
	s_mov_b64 s[4:5], 0
                                        ; implicit-def: $sgpr10
	s_and_saveexec_b64 s[8:9], s[6:7]
	s_xor_b64 s[6:7], exec, s[8:9]
	s_cbranch_execnz .LBB19_2281
; %bb.233:
	s_or_saveexec_b64 s[6:7], s[6:7]
	v_mov_b32_e32 v2, s10
	s_xor_b64 exec, exec, s[6:7]
	s_cbranch_execnz .LBB19_2284
.LBB19_234:
	s_or_b64 exec, exec, s[6:7]
	s_and_saveexec_b64 s[6:7], s[4:5]
	s_cbranch_execz .LBB19_236
.LBB19_235:
	v_bfe_u32 v2, v9, 8, 3
	v_ffbh_u32_e32 v6, v2
	v_min_u32_e32 v6, 32, v6
	v_lshrrev_b16_e32 v4, 3, v3
	v_subrev_u32_e32 v7, 28, v6
	v_and_b32_e32 v4, 15, v4
	v_lshlrev_b32_e32 v3, v7, v3
	v_sub_u32_e32 v6, 29, v6
	v_and_b32_e32 v3, 7, v3
	v_cmp_eq_u16_e32 vcc, 0, v4
	v_cndmask_b32_e32 v2, v2, v3, vcc
	v_cndmask_b32_e32 v3, v4, v6, vcc
	v_lshlrev_b32_e32 v4, 16, v9
	v_mov_b32_e32 v6, 0x3b800000
	v_lshlrev_b32_e32 v2, 20, v2
	v_and_b32_e32 v4, 0x80000000, v4
	v_lshl_add_u32 v3, v3, 23, v6
	v_or3_b32 v2, v4, v3, v2
.LBB19_236:
	s_or_b64 exec, exec, s[6:7]
	v_lshrrev_b32_e32 v3, 8, v5
	s_movk_i32 s4, 0x7f
	v_cmp_gt_i16_sdwa s[6:7], v3, s4 src0_sel:BYTE_0 src1_sel:DWORD
	s_mov_b64 s[4:5], 0
                                        ; implicit-def: $sgpr10
	s_and_saveexec_b64 s[8:9], s[6:7]
	s_xor_b64 s[6:7], exec, s[8:9]
	s_cbranch_execnz .LBB19_2285
; %bb.237:
	s_or_saveexec_b64 s[6:7], s[6:7]
	v_mov_b32_e32 v4, s10
	s_xor_b64 exec, exec, s[6:7]
	s_cbranch_execnz .LBB19_2288
.LBB19_238:
	s_or_b64 exec, exec, s[6:7]
	s_and_saveexec_b64 s[6:7], s[4:5]
	s_cbranch_execz .LBB19_240
.LBB19_239:
	v_bfe_u32 v4, v5, 8, 3
	v_ffbh_u32_e32 v7, v4
	v_min_u32_e32 v7, 32, v7
	v_lshrrev_b16_e32 v6, 3, v3
	v_subrev_u32_e32 v8, 28, v7
	v_and_b32_e32 v6, 15, v6
	v_lshlrev_b32_e32 v3, v8, v3
	v_sub_u32_e32 v7, 29, v7
	v_and_b32_e32 v3, 7, v3
	v_cmp_eq_u16_e32 vcc, 0, v6
	v_cndmask_b32_e32 v3, v4, v3, vcc
	v_cndmask_b32_e32 v4, v6, v7, vcc
	v_lshlrev_b32_e32 v6, 16, v5
	v_mov_b32_e32 v7, 0x3b800000
	v_lshlrev_b32_e32 v3, 20, v3
	v_and_b32_e32 v6, 0x80000000, v6
	v_lshl_add_u32 v4, v4, 23, v7
	v_or3_b32 v4, v6, v4, v3
.LBB19_240:
	s_or_b64 exec, exec, s[6:7]
	s_nop 0
	v_mfma_f32_16x16x4f32 a[0:3], v2, v4, a[0:3]
	s_movk_i32 s4, 0xff
	v_and_b32_sdwa v3, v9, s4 dst_sel:DWORD dst_unused:UNUSED_PAD src0_sel:WORD_1 src1_sel:DWORD
	s_movk_i32 s4, 0x7f
	v_cmp_lt_i16_e32 vcc, s4, v3
	s_mov_b64 s[4:5], 0
                                        ; implicit-def: $sgpr10
	s_and_saveexec_b64 s[6:7], vcc
	s_xor_b64 s[6:7], exec, s[6:7]
	s_cbranch_execnz .LBB19_2289
; %bb.241:
	s_or_saveexec_b64 s[6:7], s[6:7]
	v_mov_b32_e32 v2, s10
	s_xor_b64 exec, exec, s[6:7]
	s_cbranch_execnz .LBB19_2292
.LBB19_242:
	s_or_b64 exec, exec, s[6:7]
	s_and_saveexec_b64 s[6:7], s[4:5]
	s_cbranch_execz .LBB19_244
.LBB19_243:
	v_bfe_u32 v2, v9, 16, 3
	v_ffbh_u32_e32 v6, v2
	v_min_u32_e32 v6, 32, v6
	v_lshrrev_b32_e32 v3, 19, v9
	v_subrev_u32_e32 v7, 28, v6
	v_and_b32_e32 v3, 15, v3
	v_lshlrev_b32_sdwa v7, v7, v9 dst_sel:DWORD dst_unused:UNUSED_PAD src0_sel:DWORD src1_sel:WORD_1
	v_bfe_u32 v4, v9, 19, 4
	v_sub_u32_e32 v6, 29, v6
	v_and_b32_e32 v7, 7, v7
	v_cmp_eq_u16_e32 vcc, 0, v3
	v_cndmask_b32_e32 v2, v2, v7, vcc
	v_cndmask_b32_e32 v3, v4, v6, vcc
	v_lshlrev_b32_e32 v4, 8, v9
	v_mov_b32_e32 v6, 0x3b800000
	v_lshlrev_b32_e32 v2, 20, v2
	v_and_b32_e32 v4, 0x80000000, v4
	v_lshl_add_u32 v3, v3, 23, v6
	v_or3_b32 v2, v4, v3, v2
.LBB19_244:
	s_or_b64 exec, exec, s[6:7]
	s_movk_i32 s4, 0xff
	v_and_b32_sdwa v3, v5, s4 dst_sel:DWORD dst_unused:UNUSED_PAD src0_sel:WORD_1 src1_sel:DWORD
	s_movk_i32 s4, 0x7f
	v_cmp_lt_i16_e32 vcc, s4, v3
	s_mov_b64 s[4:5], 0
                                        ; implicit-def: $sgpr10
	s_and_saveexec_b64 s[6:7], vcc
	s_xor_b64 s[6:7], exec, s[6:7]
	s_cbranch_execnz .LBB19_2293
; %bb.245:
	s_or_saveexec_b64 s[6:7], s[6:7]
	v_mov_b32_e32 v4, s10
	s_xor_b64 exec, exec, s[6:7]
	s_cbranch_execnz .LBB19_2296
.LBB19_246:
	s_or_b64 exec, exec, s[6:7]
	s_and_saveexec_b64 s[6:7], s[4:5]
	s_cbranch_execz .LBB19_248
.LBB19_247:
	v_bfe_u32 v3, v5, 16, 3
	v_ffbh_u32_e32 v7, v3
	v_min_u32_e32 v7, 32, v7
	v_lshrrev_b32_e32 v4, 19, v5
	v_subrev_u32_e32 v8, 28, v7
	v_and_b32_e32 v4, 15, v4
	v_lshlrev_b32_sdwa v8, v8, v5 dst_sel:DWORD dst_unused:UNUSED_PAD src0_sel:DWORD src1_sel:WORD_1
	v_bfe_u32 v6, v5, 19, 4
	v_sub_u32_e32 v7, 29, v7
	v_and_b32_e32 v8, 7, v8
	v_cmp_eq_u16_e32 vcc, 0, v4
	v_cndmask_b32_e32 v3, v3, v8, vcc
	v_cndmask_b32_e32 v4, v6, v7, vcc
	v_lshlrev_b32_e32 v6, 8, v5
	v_mov_b32_e32 v7, 0x3b800000
	v_lshlrev_b32_e32 v3, 20, v3
	v_and_b32_e32 v6, 0x80000000, v6
	v_lshl_add_u32 v4, v4, 23, v7
	v_or3_b32 v4, v6, v4, v3
.LBB19_248:
	s_or_b64 exec, exec, s[6:7]
	s_nop 0
	v_mfma_f32_16x16x4f32 a[0:3], v2, v4, a[0:3]
	s_movk_i32 s4, 0x7f
	v_cmp_gt_i16_sdwa s[6:7], v9, s4 src0_sel:BYTE_3 src1_sel:DWORD
	s_mov_b64 s[4:5], 0
                                        ; implicit-def: $sgpr10
	s_and_saveexec_b64 s[8:9], s[6:7]
	s_xor_b64 s[6:7], exec, s[8:9]
	s_cbranch_execnz .LBB19_2297
; %bb.249:
	s_or_saveexec_b64 s[6:7], s[6:7]
	v_mov_b32_e32 v2, s10
	s_xor_b64 exec, exec, s[6:7]
	s_cbranch_execnz .LBB19_2300
.LBB19_250:
	s_or_b64 exec, exec, s[6:7]
	s_and_saveexec_b64 s[6:7], s[4:5]
	s_cbranch_execz .LBB19_252
.LBB19_251:
	v_bfe_u32 v2, v9, 24, 3
	v_ffbh_u32_e32 v7, v2
	v_min_u32_e32 v7, 32, v7
	v_lshrrev_b32_e32 v4, 27, v9
	v_subrev_u32_e32 v8, 28, v7
	v_and_b32_e32 v4, 15, v4
	v_lshlrev_b32_sdwa v8, v8, v9 dst_sel:DWORD dst_unused:UNUSED_PAD src0_sel:DWORD src1_sel:BYTE_3
	v_bfe_u32 v6, v9, 27, 4
	v_sub_u32_e32 v7, 29, v7
	v_and_b32_e32 v8, 7, v8
	v_cmp_eq_u16_e32 vcc, 0, v4
	v_cndmask_b32_e32 v2, v2, v8, vcc
	v_cndmask_b32_e32 v4, v6, v7, vcc
	v_mov_b32_e32 v6, 0x3b800000
	v_and_b32_e32 v3, 0x80000000, v9
	v_lshlrev_b32_e32 v2, 20, v2
	v_lshl_add_u32 v4, v4, 23, v6
	v_or3_b32 v2, v3, v4, v2
.LBB19_252:
	s_or_b64 exec, exec, s[6:7]
	s_movk_i32 s4, 0x7f
	v_cmp_gt_i16_sdwa s[6:7], v5, s4 src0_sel:BYTE_3 src1_sel:DWORD
	s_mov_b64 s[4:5], 0
                                        ; implicit-def: $sgpr10
	s_and_saveexec_b64 s[8:9], s[6:7]
	s_xor_b64 s[6:7], exec, s[8:9]
	s_cbranch_execnz .LBB19_2301
; %bb.253:
	s_or_saveexec_b64 s[6:7], s[6:7]
	v_mov_b32_e32 v3, s10
	s_xor_b64 exec, exec, s[6:7]
	s_cbranch_execnz .LBB19_2304
.LBB19_254:
	s_or_b64 exec, exec, s[6:7]
	s_and_saveexec_b64 s[6:7], s[4:5]
	s_cbranch_execz .LBB19_256
.LBB19_255:
	v_bfe_u32 v3, v5, 24, 3
	v_ffbh_u32_e32 v8, v3
	v_min_u32_e32 v8, 32, v8
	v_lshrrev_b32_e32 v6, 27, v5
	v_subrev_u32_e32 v9, 28, v8
	v_and_b32_e32 v4, 0x80000000, v5
	v_and_b32_e32 v6, 15, v6
	v_bfe_u32 v7, v5, 27, 4
	v_lshlrev_b32_sdwa v5, v9, v5 dst_sel:DWORD dst_unused:UNUSED_PAD src0_sel:DWORD src1_sel:BYTE_3
	v_sub_u32_e32 v8, 29, v8
	v_and_b32_e32 v5, 7, v5
	v_cmp_eq_u16_e32 vcc, 0, v6
	v_cndmask_b32_e32 v3, v3, v5, vcc
	v_cndmask_b32_e32 v5, v7, v8, vcc
	v_mov_b32_e32 v6, 0x3b800000
	v_lshlrev_b32_e32 v3, 20, v3
	v_lshl_add_u32 v5, v5, 23, v6
	v_or3_b32 v3, v4, v5, v3
.LBB19_256:
	s_or_b64 exec, exec, s[6:7]
	s_nop 0
	v_mfma_f32_16x16x4f32 a[0:3], v2, v3, a[0:3]
	s_movk_i32 s4, 0x7f
                                        ; implicit-def: $sgpr10
	s_nop 7
	s_nop 1
	flat_store_dwordx4 v[18:19], a[0:3] offset:128
	flat_load_dwordx4 v[20:23], v[0:1] offset:8
	s_nop 0
	flat_load_dwordx2 v[18:19], v[0:1] offset:24
	s_waitcnt vmcnt(0) lgkmcnt(0)
	flat_load_dwordx4 v[14:17], v[20:21] offset:32
	flat_load_dwordx4 v[10:13], v[22:23] offset:32
	;; [unrolled: 1-line block ×4, first 2 shown]
	s_waitcnt vmcnt(0) lgkmcnt(0)
	v_cmp_gt_i16_sdwa s[6:7], v14, s4 src0_sel:BYTE_0 src1_sel:DWORD
	s_mov_b64 s[4:5], 0
	s_and_saveexec_b64 s[8:9], s[6:7]
	s_xor_b64 s[6:7], exec, s[8:9]
	s_cbranch_execnz .LBB19_2305
; %bb.257:
	s_or_saveexec_b64 s[6:7], s[6:7]
	v_mov_b32_e32 v20, s10
	s_xor_b64 exec, exec, s[6:7]
	s_cbranch_execnz .LBB19_2308
.LBB19_258:
	s_or_b64 exec, exec, s[6:7]
	s_and_saveexec_b64 s[6:7], s[4:5]
	s_cbranch_execz .LBB19_260
.LBB19_259:
	v_and_b32_e32 v20, 7, v14
	v_ffbh_u32_e32 v22, v20
	v_min_u32_e32 v22, 32, v22
	v_lshrrev_b16_e32 v21, 3, v14
	v_subrev_u32_e32 v23, 28, v22
	v_and_b32_e32 v21, 15, v21
	v_lshlrev_b32_e32 v23, v23, v14
	v_sub_u32_e32 v22, 29, v22
	v_and_b32_e32 v23, 7, v23
	v_cmp_eq_u16_e32 vcc, 0, v21
	v_cndmask_b32_e32 v20, v20, v23, vcc
	v_cndmask_b32_e32 v21, v21, v22, vcc
	v_lshlrev_b32_e32 v22, 24, v14
	v_mov_b32_e32 v23, 0x3b800000
	v_lshlrev_b32_e32 v20, 20, v20
	v_and_b32_e32 v22, 0x80000000, v22
	v_lshl_add_u32 v21, v21, 23, v23
	v_or3_b32 v20, v22, v21, v20
.LBB19_260:
	s_or_b64 exec, exec, s[6:7]
	s_movk_i32 s4, 0x7f
	v_cmp_gt_i16_sdwa s[6:7], v10, s4 src0_sel:BYTE_0 src1_sel:DWORD
	s_mov_b64 s[4:5], 0
                                        ; implicit-def: $sgpr10
	s_and_saveexec_b64 s[8:9], s[6:7]
	s_xor_b64 s[6:7], exec, s[8:9]
	s_cbranch_execnz .LBB19_2309
; %bb.261:
	s_or_saveexec_b64 s[6:7], s[6:7]
	v_mov_b32_e32 v21, s10
	s_xor_b64 exec, exec, s[6:7]
	s_cbranch_execnz .LBB19_2312
.LBB19_262:
	s_or_b64 exec, exec, s[6:7]
	s_and_saveexec_b64 s[6:7], s[4:5]
	s_cbranch_execz .LBB19_264
.LBB19_263:
	v_and_b32_e32 v21, 7, v10
	v_ffbh_u32_e32 v23, v21
	v_min_u32_e32 v23, 32, v23
	v_lshrrev_b16_e32 v22, 3, v10
	v_subrev_u32_e32 v24, 28, v23
	v_and_b32_e32 v22, 15, v22
	v_lshlrev_b32_e32 v24, v24, v10
	v_sub_u32_e32 v23, 29, v23
	v_and_b32_e32 v24, 7, v24
	v_cmp_eq_u16_e32 vcc, 0, v22
	v_cndmask_b32_e32 v21, v21, v24, vcc
	v_cndmask_b32_e32 v22, v22, v23, vcc
	v_lshlrev_b32_e32 v23, 24, v10
	v_mov_b32_e32 v24, 0x3b800000
	v_lshlrev_b32_e32 v21, 20, v21
	v_and_b32_e32 v23, 0x80000000, v23
	v_lshl_add_u32 v22, v22, 23, v24
	v_or3_b32 v21, v23, v22, v21
.LBB19_264:
	s_or_b64 exec, exec, s[6:7]
	flat_load_dwordx4 a[0:3], v[18:19] offset:144
	s_movk_i32 s4, 0x7f
                                        ; implicit-def: $sgpr10
	s_waitcnt vmcnt(0) lgkmcnt(0)
	v_mfma_f32_16x16x4f32 a[0:3], v20, v21, a[0:3]
	v_lshrrev_b32_e32 v21, 8, v14
	v_cmp_gt_i16_sdwa s[6:7], v21, s4 src0_sel:BYTE_0 src1_sel:DWORD
	s_mov_b64 s[4:5], 0
	s_and_saveexec_b64 s[8:9], s[6:7]
	s_xor_b64 s[6:7], exec, s[8:9]
	s_cbranch_execnz .LBB19_2313
; %bb.265:
	s_or_saveexec_b64 s[6:7], s[6:7]
	v_mov_b32_e32 v20, s10
	s_xor_b64 exec, exec, s[6:7]
	s_cbranch_execnz .LBB19_2316
.LBB19_266:
	s_or_b64 exec, exec, s[6:7]
	s_and_saveexec_b64 s[6:7], s[4:5]
	s_cbranch_execz .LBB19_268
.LBB19_267:
	v_bfe_u32 v20, v14, 8, 3
	v_ffbh_u32_e32 v23, v20
	v_min_u32_e32 v23, 32, v23
	v_lshrrev_b16_e32 v22, 3, v21
	v_subrev_u32_e32 v24, 28, v23
	v_and_b32_e32 v22, 15, v22
	v_lshlrev_b32_e32 v21, v24, v21
	v_sub_u32_e32 v23, 29, v23
	v_and_b32_e32 v21, 7, v21
	v_cmp_eq_u16_e32 vcc, 0, v22
	v_cndmask_b32_e32 v20, v20, v21, vcc
	v_cndmask_b32_e32 v21, v22, v23, vcc
	v_lshlrev_b32_e32 v22, 16, v14
	v_mov_b32_e32 v23, 0x3b800000
	v_lshlrev_b32_e32 v20, 20, v20
	v_and_b32_e32 v22, 0x80000000, v22
	v_lshl_add_u32 v21, v21, 23, v23
	v_or3_b32 v20, v22, v21, v20
.LBB19_268:
	s_or_b64 exec, exec, s[6:7]
	v_lshrrev_b32_e32 v21, 8, v10
	s_movk_i32 s4, 0x7f
	v_cmp_gt_i16_sdwa s[6:7], v21, s4 src0_sel:BYTE_0 src1_sel:DWORD
	s_mov_b64 s[4:5], 0
                                        ; implicit-def: $sgpr10
	s_and_saveexec_b64 s[8:9], s[6:7]
	s_xor_b64 s[6:7], exec, s[8:9]
	s_cbranch_execnz .LBB19_2317
; %bb.269:
	s_or_saveexec_b64 s[6:7], s[6:7]
	v_mov_b32_e32 v22, s10
	s_xor_b64 exec, exec, s[6:7]
	s_cbranch_execnz .LBB19_2320
.LBB19_270:
	s_or_b64 exec, exec, s[6:7]
	s_and_saveexec_b64 s[6:7], s[4:5]
	s_cbranch_execz .LBB19_272
.LBB19_271:
	v_bfe_u32 v22, v10, 8, 3
	v_ffbh_u32_e32 v24, v22
	v_min_u32_e32 v24, 32, v24
	v_lshrrev_b16_e32 v23, 3, v21
	v_subrev_u32_e32 v25, 28, v24
	v_and_b32_e32 v23, 15, v23
	v_lshlrev_b32_e32 v21, v25, v21
	v_sub_u32_e32 v24, 29, v24
	v_and_b32_e32 v21, 7, v21
	v_cmp_eq_u16_e32 vcc, 0, v23
	v_cndmask_b32_e32 v21, v22, v21, vcc
	v_cndmask_b32_e32 v22, v23, v24, vcc
	v_lshlrev_b32_e32 v23, 16, v10
	v_mov_b32_e32 v24, 0x3b800000
	v_lshlrev_b32_e32 v21, 20, v21
	v_and_b32_e32 v23, 0x80000000, v23
	v_lshl_add_u32 v22, v22, 23, v24
	v_or3_b32 v22, v23, v22, v21
.LBB19_272:
	s_or_b64 exec, exec, s[6:7]
	s_nop 0
	v_mfma_f32_16x16x4f32 a[0:3], v20, v22, a[0:3]
	s_movk_i32 s4, 0xff
	v_and_b32_sdwa v21, v14, s4 dst_sel:DWORD dst_unused:UNUSED_PAD src0_sel:WORD_1 src1_sel:DWORD
	s_movk_i32 s4, 0x7f
	v_cmp_lt_i16_e32 vcc, s4, v21
	s_mov_b64 s[4:5], 0
                                        ; implicit-def: $sgpr10
	s_and_saveexec_b64 s[6:7], vcc
	s_xor_b64 s[6:7], exec, s[6:7]
	s_cbranch_execnz .LBB19_2321
; %bb.273:
	s_or_saveexec_b64 s[6:7], s[6:7]
	v_mov_b32_e32 v20, s10
	s_xor_b64 exec, exec, s[6:7]
	s_cbranch_execnz .LBB19_2324
.LBB19_274:
	s_or_b64 exec, exec, s[6:7]
	s_and_saveexec_b64 s[6:7], s[4:5]
	s_cbranch_execz .LBB19_276
.LBB19_275:
	v_bfe_u32 v20, v14, 16, 3
	v_ffbh_u32_e32 v23, v20
	v_min_u32_e32 v23, 32, v23
	v_lshrrev_b32_e32 v21, 19, v14
	v_subrev_u32_e32 v24, 28, v23
	v_and_b32_e32 v21, 15, v21
	v_lshlrev_b32_sdwa v24, v24, v14 dst_sel:DWORD dst_unused:UNUSED_PAD src0_sel:DWORD src1_sel:WORD_1
	v_bfe_u32 v22, v14, 19, 4
	v_sub_u32_e32 v23, 29, v23
	v_and_b32_e32 v24, 7, v24
	v_cmp_eq_u16_e32 vcc, 0, v21
	v_cndmask_b32_e32 v20, v20, v24, vcc
	v_cndmask_b32_e32 v21, v22, v23, vcc
	v_lshlrev_b32_e32 v22, 8, v14
	v_mov_b32_e32 v23, 0x3b800000
	v_lshlrev_b32_e32 v20, 20, v20
	v_and_b32_e32 v22, 0x80000000, v22
	v_lshl_add_u32 v21, v21, 23, v23
	v_or3_b32 v20, v22, v21, v20
.LBB19_276:
	s_or_b64 exec, exec, s[6:7]
	s_movk_i32 s4, 0xff
	v_and_b32_sdwa v21, v10, s4 dst_sel:DWORD dst_unused:UNUSED_PAD src0_sel:WORD_1 src1_sel:DWORD
	s_movk_i32 s4, 0x7f
	v_cmp_lt_i16_e32 vcc, s4, v21
	s_mov_b64 s[4:5], 0
                                        ; implicit-def: $sgpr10
	s_and_saveexec_b64 s[6:7], vcc
	s_xor_b64 s[6:7], exec, s[6:7]
	s_cbranch_execnz .LBB19_2325
; %bb.277:
	s_or_saveexec_b64 s[6:7], s[6:7]
	v_mov_b32_e32 v22, s10
	s_xor_b64 exec, exec, s[6:7]
	s_cbranch_execnz .LBB19_2328
.LBB19_278:
	s_or_b64 exec, exec, s[6:7]
	s_and_saveexec_b64 s[6:7], s[4:5]
	s_cbranch_execz .LBB19_280
.LBB19_279:
	v_bfe_u32 v21, v10, 16, 3
	v_ffbh_u32_e32 v24, v21
	v_min_u32_e32 v24, 32, v24
	v_lshrrev_b32_e32 v22, 19, v10
	v_subrev_u32_e32 v25, 28, v24
	v_and_b32_e32 v22, 15, v22
	v_lshlrev_b32_sdwa v25, v25, v10 dst_sel:DWORD dst_unused:UNUSED_PAD src0_sel:DWORD src1_sel:WORD_1
	v_bfe_u32 v23, v10, 19, 4
	v_sub_u32_e32 v24, 29, v24
	v_and_b32_e32 v25, 7, v25
	v_cmp_eq_u16_e32 vcc, 0, v22
	v_cndmask_b32_e32 v21, v21, v25, vcc
	v_cndmask_b32_e32 v22, v23, v24, vcc
	v_lshlrev_b32_e32 v23, 8, v10
	v_mov_b32_e32 v24, 0x3b800000
	v_lshlrev_b32_e32 v21, 20, v21
	v_and_b32_e32 v23, 0x80000000, v23
	v_lshl_add_u32 v22, v22, 23, v24
	v_or3_b32 v22, v23, v22, v21
.LBB19_280:
	s_or_b64 exec, exec, s[6:7]
	s_nop 0
	v_mfma_f32_16x16x4f32 a[0:3], v20, v22, a[0:3]
	s_movk_i32 s4, 0x7f
	v_cmp_gt_i16_sdwa s[6:7], v14, s4 src0_sel:BYTE_3 src1_sel:DWORD
	s_mov_b64 s[4:5], 0
                                        ; implicit-def: $sgpr10
	s_and_saveexec_b64 s[8:9], s[6:7]
	s_xor_b64 s[6:7], exec, s[8:9]
	s_cbranch_execnz .LBB19_2329
; %bb.281:
	s_or_saveexec_b64 s[6:7], s[6:7]
	v_mov_b32_e32 v20, s10
	s_xor_b64 exec, exec, s[6:7]
	s_cbranch_execnz .LBB19_2332
.LBB19_282:
	s_or_b64 exec, exec, s[6:7]
	s_and_saveexec_b64 s[6:7], s[4:5]
	s_cbranch_execz .LBB19_284
.LBB19_283:
	v_bfe_u32 v20, v14, 24, 3
	v_ffbh_u32_e32 v24, v20
	v_min_u32_e32 v24, 32, v24
	v_lshrrev_b32_e32 v22, 27, v14
	v_subrev_u32_e32 v25, 28, v24
	v_and_b32_e32 v21, 0x80000000, v14
	v_and_b32_e32 v22, 15, v22
	v_bfe_u32 v23, v14, 27, 4
	v_lshlrev_b32_sdwa v14, v25, v14 dst_sel:DWORD dst_unused:UNUSED_PAD src0_sel:DWORD src1_sel:BYTE_3
	v_sub_u32_e32 v24, 29, v24
	v_and_b32_e32 v14, 7, v14
	v_cmp_eq_u16_e32 vcc, 0, v22
	v_cndmask_b32_e32 v14, v20, v14, vcc
	v_cndmask_b32_e32 v20, v23, v24, vcc
	v_mov_b32_e32 v22, 0x3b800000
	v_lshlrev_b32_e32 v14, 20, v14
	v_lshl_add_u32 v20, v20, 23, v22
	v_or3_b32 v20, v21, v20, v14
.LBB19_284:
	s_or_b64 exec, exec, s[6:7]
	s_movk_i32 s4, 0x7f
	v_cmp_gt_i16_sdwa s[6:7], v10, s4 src0_sel:BYTE_3 src1_sel:DWORD
	s_mov_b64 s[4:5], 0
                                        ; implicit-def: $sgpr10
	s_and_saveexec_b64 s[8:9], s[6:7]
	s_xor_b64 s[6:7], exec, s[8:9]
	s_cbranch_execnz .LBB19_2333
; %bb.285:
	s_or_saveexec_b64 s[6:7], s[6:7]
	v_mov_b32_e32 v14, s10
	s_xor_b64 exec, exec, s[6:7]
	s_cbranch_execnz .LBB19_2336
.LBB19_286:
	s_or_b64 exec, exec, s[6:7]
	s_and_saveexec_b64 s[6:7], s[4:5]
	s_cbranch_execz .LBB19_288
.LBB19_287:
	v_bfe_u32 v14, v10, 24, 3
	v_ffbh_u32_e32 v24, v14
	v_min_u32_e32 v24, 32, v24
	v_lshrrev_b32_e32 v22, 27, v10
	v_subrev_u32_e32 v25, 28, v24
	v_and_b32_e32 v21, 0x80000000, v10
	v_and_b32_e32 v22, 15, v22
	v_bfe_u32 v23, v10, 27, 4
	v_lshlrev_b32_sdwa v10, v25, v10 dst_sel:DWORD dst_unused:UNUSED_PAD src0_sel:DWORD src1_sel:BYTE_3
	v_sub_u32_e32 v24, 29, v24
	v_and_b32_e32 v10, 7, v10
	v_cmp_eq_u16_e32 vcc, 0, v22
	v_cndmask_b32_e32 v10, v14, v10, vcc
	v_cndmask_b32_e32 v14, v23, v24, vcc
	v_mov_b32_e32 v22, 0x3b800000
	v_lshlrev_b32_e32 v10, 20, v10
	v_lshl_add_u32 v14, v14, 23, v22
	v_or3_b32 v14, v21, v14, v10
.LBB19_288:
	s_or_b64 exec, exec, s[6:7]
	s_nop 0
	v_mfma_f32_16x16x4f32 a[0:3], v20, v14, a[0:3]
	s_movk_i32 s4, 0x7f
	v_cmp_gt_i16_sdwa s[6:7], v15, s4 src0_sel:BYTE_0 src1_sel:DWORD
	s_mov_b64 s[4:5], 0
                                        ; implicit-def: $sgpr10
	s_and_saveexec_b64 s[8:9], s[6:7]
	s_xor_b64 s[6:7], exec, s[8:9]
	s_cbranch_execnz .LBB19_2337
; %bb.289:
	s_or_saveexec_b64 s[6:7], s[6:7]
	v_mov_b32_e32 v10, s10
	s_xor_b64 exec, exec, s[6:7]
	s_cbranch_execnz .LBB19_2340
.LBB19_290:
	s_or_b64 exec, exec, s[6:7]
	s_and_saveexec_b64 s[6:7], s[4:5]
	s_cbranch_execz .LBB19_292
.LBB19_291:
	v_and_b32_e32 v10, 7, v15
	v_ffbh_u32_e32 v20, v10
	v_min_u32_e32 v20, 32, v20
	v_lshrrev_b16_e32 v14, 3, v15
	v_subrev_u32_e32 v21, 28, v20
	v_and_b32_e32 v14, 15, v14
	v_lshlrev_b32_e32 v21, v21, v15
	v_sub_u32_e32 v20, 29, v20
	v_and_b32_e32 v21, 7, v21
	v_cmp_eq_u16_e32 vcc, 0, v14
	v_cndmask_b32_e32 v10, v10, v21, vcc
	v_cndmask_b32_e32 v14, v14, v20, vcc
	v_lshlrev_b32_e32 v20, 24, v15
	v_mov_b32_e32 v21, 0x3b800000
	v_lshlrev_b32_e32 v10, 20, v10
	v_and_b32_e32 v20, 0x80000000, v20
	v_lshl_add_u32 v14, v14, 23, v21
	v_or3_b32 v10, v20, v14, v10
.LBB19_292:
	s_or_b64 exec, exec, s[6:7]
	s_movk_i32 s4, 0x7f
	v_cmp_gt_i16_sdwa s[6:7], v11, s4 src0_sel:BYTE_0 src1_sel:DWORD
	s_mov_b64 s[4:5], 0
                                        ; implicit-def: $sgpr10
	s_and_saveexec_b64 s[8:9], s[6:7]
	s_xor_b64 s[6:7], exec, s[8:9]
	s_cbranch_execnz .LBB19_2341
; %bb.293:
	s_or_saveexec_b64 s[6:7], s[6:7]
	v_mov_b32_e32 v14, s10
	s_xor_b64 exec, exec, s[6:7]
	s_cbranch_execnz .LBB19_2344
.LBB19_294:
	s_or_b64 exec, exec, s[6:7]
	s_and_saveexec_b64 s[6:7], s[4:5]
	s_cbranch_execz .LBB19_296
.LBB19_295:
	v_and_b32_e32 v14, 7, v11
	v_ffbh_u32_e32 v21, v14
	v_min_u32_e32 v21, 32, v21
	v_lshrrev_b16_e32 v20, 3, v11
	v_subrev_u32_e32 v22, 28, v21
	v_and_b32_e32 v20, 15, v20
	v_lshlrev_b32_e32 v22, v22, v11
	v_sub_u32_e32 v21, 29, v21
	v_and_b32_e32 v22, 7, v22
	v_cmp_eq_u16_e32 vcc, 0, v20
	v_cndmask_b32_e32 v14, v14, v22, vcc
	v_cndmask_b32_e32 v20, v20, v21, vcc
	v_lshlrev_b32_e32 v21, 24, v11
	v_mov_b32_e32 v22, 0x3b800000
	v_lshlrev_b32_e32 v14, 20, v14
	v_and_b32_e32 v21, 0x80000000, v21
	v_lshl_add_u32 v20, v20, 23, v22
	v_or3_b32 v14, v21, v20, v14
.LBB19_296:
	s_or_b64 exec, exec, s[6:7]
	s_nop 0
	v_mfma_f32_16x16x4f32 a[0:3], v10, v14, a[0:3]
	v_lshrrev_b32_e32 v14, 8, v15
	s_movk_i32 s4, 0x7f
	v_cmp_gt_i16_sdwa s[6:7], v14, s4 src0_sel:BYTE_0 src1_sel:DWORD
	s_mov_b64 s[4:5], 0
                                        ; implicit-def: $sgpr10
	s_and_saveexec_b64 s[8:9], s[6:7]
	s_xor_b64 s[6:7], exec, s[8:9]
	s_cbranch_execnz .LBB19_2345
; %bb.297:
	s_or_saveexec_b64 s[6:7], s[6:7]
	v_mov_b32_e32 v10, s10
	s_xor_b64 exec, exec, s[6:7]
	s_cbranch_execnz .LBB19_2348
.LBB19_298:
	s_or_b64 exec, exec, s[6:7]
	s_and_saveexec_b64 s[6:7], s[4:5]
	s_cbranch_execz .LBB19_300
.LBB19_299:
	v_bfe_u32 v10, v15, 8, 3
	v_ffbh_u32_e32 v21, v10
	v_min_u32_e32 v21, 32, v21
	v_lshrrev_b16_e32 v20, 3, v14
	v_subrev_u32_e32 v22, 28, v21
	v_and_b32_e32 v20, 15, v20
	v_lshlrev_b32_e32 v14, v22, v14
	v_sub_u32_e32 v21, 29, v21
	v_and_b32_e32 v14, 7, v14
	v_cmp_eq_u16_e32 vcc, 0, v20
	v_cndmask_b32_e32 v10, v10, v14, vcc
	v_cndmask_b32_e32 v14, v20, v21, vcc
	v_lshlrev_b32_e32 v20, 16, v15
	v_mov_b32_e32 v21, 0x3b800000
	v_lshlrev_b32_e32 v10, 20, v10
	v_and_b32_e32 v20, 0x80000000, v20
	v_lshl_add_u32 v14, v14, 23, v21
	v_or3_b32 v10, v20, v14, v10
.LBB19_300:
	s_or_b64 exec, exec, s[6:7]
	v_lshrrev_b32_e32 v14, 8, v11
	s_movk_i32 s4, 0x7f
	v_cmp_gt_i16_sdwa s[6:7], v14, s4 src0_sel:BYTE_0 src1_sel:DWORD
	s_mov_b64 s[4:5], 0
                                        ; implicit-def: $sgpr10
	s_and_saveexec_b64 s[8:9], s[6:7]
	s_xor_b64 s[6:7], exec, s[8:9]
	s_cbranch_execnz .LBB19_2349
; %bb.301:
	s_or_saveexec_b64 s[6:7], s[6:7]
	v_mov_b32_e32 v20, s10
	s_xor_b64 exec, exec, s[6:7]
	s_cbranch_execnz .LBB19_2352
.LBB19_302:
	s_or_b64 exec, exec, s[6:7]
	s_and_saveexec_b64 s[6:7], s[4:5]
	s_cbranch_execz .LBB19_304
.LBB19_303:
	v_bfe_u32 v20, v11, 8, 3
	v_ffbh_u32_e32 v22, v20
	v_min_u32_e32 v22, 32, v22
	v_lshrrev_b16_e32 v21, 3, v14
	v_subrev_u32_e32 v23, 28, v22
	v_and_b32_e32 v21, 15, v21
	v_lshlrev_b32_e32 v14, v23, v14
	v_sub_u32_e32 v22, 29, v22
	v_and_b32_e32 v14, 7, v14
	v_cmp_eq_u16_e32 vcc, 0, v21
	v_cndmask_b32_e32 v14, v20, v14, vcc
	v_cndmask_b32_e32 v20, v21, v22, vcc
	v_lshlrev_b32_e32 v21, 16, v11
	v_mov_b32_e32 v22, 0x3b800000
	v_lshlrev_b32_e32 v14, 20, v14
	v_and_b32_e32 v21, 0x80000000, v21
	v_lshl_add_u32 v20, v20, 23, v22
	v_or3_b32 v20, v21, v20, v14
.LBB19_304:
	s_or_b64 exec, exec, s[6:7]
	s_nop 0
	v_mfma_f32_16x16x4f32 a[0:3], v10, v20, a[0:3]
	s_movk_i32 s4, 0xff
	v_and_b32_sdwa v14, v15, s4 dst_sel:DWORD dst_unused:UNUSED_PAD src0_sel:WORD_1 src1_sel:DWORD
	s_movk_i32 s4, 0x7f
	v_cmp_lt_i16_e32 vcc, s4, v14
	s_mov_b64 s[4:5], 0
                                        ; implicit-def: $sgpr10
	s_and_saveexec_b64 s[6:7], vcc
	s_xor_b64 s[6:7], exec, s[6:7]
	s_cbranch_execnz .LBB19_2353
; %bb.305:
	s_or_saveexec_b64 s[6:7], s[6:7]
	v_mov_b32_e32 v10, s10
	s_xor_b64 exec, exec, s[6:7]
	s_cbranch_execnz .LBB19_2356
.LBB19_306:
	s_or_b64 exec, exec, s[6:7]
	s_and_saveexec_b64 s[6:7], s[4:5]
	s_cbranch_execz .LBB19_308
.LBB19_307:
	v_bfe_u32 v10, v15, 16, 3
	v_ffbh_u32_e32 v21, v10
	v_min_u32_e32 v21, 32, v21
	v_lshrrev_b32_e32 v14, 19, v15
	v_subrev_u32_e32 v22, 28, v21
	v_and_b32_e32 v14, 15, v14
	v_lshlrev_b32_sdwa v22, v22, v15 dst_sel:DWORD dst_unused:UNUSED_PAD src0_sel:DWORD src1_sel:WORD_1
	v_bfe_u32 v20, v15, 19, 4
	v_sub_u32_e32 v21, 29, v21
	v_and_b32_e32 v22, 7, v22
	v_cmp_eq_u16_e32 vcc, 0, v14
	v_cndmask_b32_e32 v10, v10, v22, vcc
	v_cndmask_b32_e32 v14, v20, v21, vcc
	v_lshlrev_b32_e32 v20, 8, v15
	v_mov_b32_e32 v21, 0x3b800000
	v_lshlrev_b32_e32 v10, 20, v10
	v_and_b32_e32 v20, 0x80000000, v20
	v_lshl_add_u32 v14, v14, 23, v21
	v_or3_b32 v10, v20, v14, v10
.LBB19_308:
	s_or_b64 exec, exec, s[6:7]
	s_movk_i32 s4, 0xff
	v_and_b32_sdwa v14, v11, s4 dst_sel:DWORD dst_unused:UNUSED_PAD src0_sel:WORD_1 src1_sel:DWORD
	s_movk_i32 s4, 0x7f
	v_cmp_lt_i16_e32 vcc, s4, v14
	s_mov_b64 s[4:5], 0
                                        ; implicit-def: $sgpr10
	s_and_saveexec_b64 s[6:7], vcc
	s_xor_b64 s[6:7], exec, s[6:7]
	s_cbranch_execnz .LBB19_2357
; %bb.309:
	s_or_saveexec_b64 s[6:7], s[6:7]
	v_mov_b32_e32 v20, s10
	s_xor_b64 exec, exec, s[6:7]
	s_cbranch_execnz .LBB19_2360
.LBB19_310:
	s_or_b64 exec, exec, s[6:7]
	s_and_saveexec_b64 s[6:7], s[4:5]
	s_cbranch_execz .LBB19_312
.LBB19_311:
	v_bfe_u32 v14, v11, 16, 3
	v_ffbh_u32_e32 v22, v14
	v_min_u32_e32 v22, 32, v22
	v_lshrrev_b32_e32 v20, 19, v11
	v_subrev_u32_e32 v23, 28, v22
	v_and_b32_e32 v20, 15, v20
	v_lshlrev_b32_sdwa v23, v23, v11 dst_sel:DWORD dst_unused:UNUSED_PAD src0_sel:DWORD src1_sel:WORD_1
	v_bfe_u32 v21, v11, 19, 4
	v_sub_u32_e32 v22, 29, v22
	v_and_b32_e32 v23, 7, v23
	v_cmp_eq_u16_e32 vcc, 0, v20
	v_cndmask_b32_e32 v14, v14, v23, vcc
	v_cndmask_b32_e32 v20, v21, v22, vcc
	v_lshlrev_b32_e32 v21, 8, v11
	v_mov_b32_e32 v22, 0x3b800000
	v_lshlrev_b32_e32 v14, 20, v14
	v_and_b32_e32 v21, 0x80000000, v21
	v_lshl_add_u32 v20, v20, 23, v22
	v_or3_b32 v20, v21, v20, v14
.LBB19_312:
	s_or_b64 exec, exec, s[6:7]
	s_nop 0
	v_mfma_f32_16x16x4f32 a[0:3], v10, v20, a[0:3]
	s_movk_i32 s4, 0x7f
	v_cmp_gt_i16_sdwa s[6:7], v15, s4 src0_sel:BYTE_3 src1_sel:DWORD
	s_mov_b64 s[4:5], 0
                                        ; implicit-def: $sgpr10
	s_and_saveexec_b64 s[8:9], s[6:7]
	s_xor_b64 s[6:7], exec, s[8:9]
	s_cbranch_execnz .LBB19_2361
; %bb.313:
	s_or_saveexec_b64 s[6:7], s[6:7]
	v_mov_b32_e32 v10, s10
	s_xor_b64 exec, exec, s[6:7]
	s_cbranch_execnz .LBB19_2364
.LBB19_314:
	s_or_b64 exec, exec, s[6:7]
	s_and_saveexec_b64 s[6:7], s[4:5]
	s_cbranch_execz .LBB19_316
.LBB19_315:
	v_bfe_u32 v10, v15, 24, 3
	v_ffbh_u32_e32 v22, v10
	v_min_u32_e32 v22, 32, v22
	v_lshrrev_b32_e32 v20, 27, v15
	v_subrev_u32_e32 v23, 28, v22
	v_and_b32_e32 v14, 0x80000000, v15
	v_and_b32_e32 v20, 15, v20
	v_bfe_u32 v21, v15, 27, 4
	v_lshlrev_b32_sdwa v15, v23, v15 dst_sel:DWORD dst_unused:UNUSED_PAD src0_sel:DWORD src1_sel:BYTE_3
	v_sub_u32_e32 v22, 29, v22
	v_and_b32_e32 v15, 7, v15
	v_cmp_eq_u16_e32 vcc, 0, v20
	v_cndmask_b32_e32 v10, v10, v15, vcc
	v_cndmask_b32_e32 v15, v21, v22, vcc
	v_mov_b32_e32 v20, 0x3b800000
	v_lshlrev_b32_e32 v10, 20, v10
	v_lshl_add_u32 v15, v15, 23, v20
	v_or3_b32 v10, v14, v15, v10
.LBB19_316:
	s_or_b64 exec, exec, s[6:7]
	s_movk_i32 s4, 0x7f
	v_cmp_gt_i16_sdwa s[6:7], v11, s4 src0_sel:BYTE_3 src1_sel:DWORD
	s_mov_b64 s[4:5], 0
                                        ; implicit-def: $sgpr10
	s_and_saveexec_b64 s[8:9], s[6:7]
	s_xor_b64 s[6:7], exec, s[8:9]
	s_cbranch_execnz .LBB19_2365
; %bb.317:
	s_or_saveexec_b64 s[6:7], s[6:7]
	v_mov_b32_e32 v14, s10
	s_xor_b64 exec, exec, s[6:7]
	s_cbranch_execnz .LBB19_2368
.LBB19_318:
	s_or_b64 exec, exec, s[6:7]
	s_and_saveexec_b64 s[6:7], s[4:5]
	s_cbranch_execz .LBB19_320
.LBB19_319:
	v_bfe_u32 v14, v11, 24, 3
	v_ffbh_u32_e32 v22, v14
	v_min_u32_e32 v22, 32, v22
	v_lshrrev_b32_e32 v20, 27, v11
	v_subrev_u32_e32 v23, 28, v22
	v_and_b32_e32 v15, 0x80000000, v11
	v_and_b32_e32 v20, 15, v20
	v_bfe_u32 v21, v11, 27, 4
	v_lshlrev_b32_sdwa v11, v23, v11 dst_sel:DWORD dst_unused:UNUSED_PAD src0_sel:DWORD src1_sel:BYTE_3
	v_sub_u32_e32 v22, 29, v22
	v_and_b32_e32 v11, 7, v11
	v_cmp_eq_u16_e32 vcc, 0, v20
	v_cndmask_b32_e32 v11, v14, v11, vcc
	v_cndmask_b32_e32 v14, v21, v22, vcc
	v_mov_b32_e32 v20, 0x3b800000
	v_lshlrev_b32_e32 v11, 20, v11
	v_lshl_add_u32 v14, v14, 23, v20
	v_or3_b32 v14, v15, v14, v11
.LBB19_320:
	s_or_b64 exec, exec, s[6:7]
	s_nop 0
	v_mfma_f32_16x16x4f32 a[0:3], v10, v14, a[0:3]
	s_movk_i32 s4, 0x7f
	v_cmp_gt_i16_sdwa s[6:7], v16, s4 src0_sel:BYTE_0 src1_sel:DWORD
	s_mov_b64 s[4:5], 0
                                        ; implicit-def: $sgpr10
	s_and_saveexec_b64 s[8:9], s[6:7]
	s_xor_b64 s[6:7], exec, s[8:9]
	s_cbranch_execnz .LBB19_2369
; %bb.321:
	s_or_saveexec_b64 s[6:7], s[6:7]
	v_mov_b32_e32 v10, s10
	s_xor_b64 exec, exec, s[6:7]
	s_cbranch_execnz .LBB19_2372
.LBB19_322:
	s_or_b64 exec, exec, s[6:7]
	s_and_saveexec_b64 s[6:7], s[4:5]
	s_cbranch_execz .LBB19_324
.LBB19_323:
	v_and_b32_e32 v10, 7, v16
	v_ffbh_u32_e32 v14, v10
	v_min_u32_e32 v14, 32, v14
	v_lshrrev_b16_e32 v11, 3, v16
	v_subrev_u32_e32 v15, 28, v14
	v_and_b32_e32 v11, 15, v11
	v_lshlrev_b32_e32 v15, v15, v16
	v_sub_u32_e32 v14, 29, v14
	v_and_b32_e32 v15, 7, v15
	v_cmp_eq_u16_e32 vcc, 0, v11
	v_cndmask_b32_e32 v10, v10, v15, vcc
	v_cndmask_b32_e32 v11, v11, v14, vcc
	v_lshlrev_b32_e32 v14, 24, v16
	v_mov_b32_e32 v15, 0x3b800000
	v_lshlrev_b32_e32 v10, 20, v10
	v_and_b32_e32 v14, 0x80000000, v14
	v_lshl_add_u32 v11, v11, 23, v15
	v_or3_b32 v10, v14, v11, v10
.LBB19_324:
	s_or_b64 exec, exec, s[6:7]
	s_movk_i32 s4, 0x7f
	v_cmp_gt_i16_sdwa s[6:7], v12, s4 src0_sel:BYTE_0 src1_sel:DWORD
	s_mov_b64 s[4:5], 0
                                        ; implicit-def: $sgpr10
	s_and_saveexec_b64 s[8:9], s[6:7]
	s_xor_b64 s[6:7], exec, s[8:9]
	s_cbranch_execnz .LBB19_2373
; %bb.325:
	s_or_saveexec_b64 s[6:7], s[6:7]
	v_mov_b32_e32 v11, s10
	s_xor_b64 exec, exec, s[6:7]
	s_cbranch_execnz .LBB19_2376
.LBB19_326:
	s_or_b64 exec, exec, s[6:7]
	s_and_saveexec_b64 s[6:7], s[4:5]
	s_cbranch_execz .LBB19_328
.LBB19_327:
	v_and_b32_e32 v11, 7, v12
	v_ffbh_u32_e32 v15, v11
	v_min_u32_e32 v15, 32, v15
	v_lshrrev_b16_e32 v14, 3, v12
	v_subrev_u32_e32 v20, 28, v15
	v_and_b32_e32 v14, 15, v14
	v_lshlrev_b32_e32 v20, v20, v12
	v_sub_u32_e32 v15, 29, v15
	v_and_b32_e32 v20, 7, v20
	v_cmp_eq_u16_e32 vcc, 0, v14
	v_cndmask_b32_e32 v11, v11, v20, vcc
	v_cndmask_b32_e32 v14, v14, v15, vcc
	v_lshlrev_b32_e32 v15, 24, v12
	v_mov_b32_e32 v20, 0x3b800000
	v_lshlrev_b32_e32 v11, 20, v11
	v_and_b32_e32 v15, 0x80000000, v15
	v_lshl_add_u32 v14, v14, 23, v20
	v_or3_b32 v11, v15, v14, v11
.LBB19_328:
	s_or_b64 exec, exec, s[6:7]
	s_nop 0
	v_mfma_f32_16x16x4f32 a[0:3], v10, v11, a[0:3]
	v_lshrrev_b32_e32 v11, 8, v16
	s_movk_i32 s4, 0x7f
	v_cmp_gt_i16_sdwa s[6:7], v11, s4 src0_sel:BYTE_0 src1_sel:DWORD
	s_mov_b64 s[4:5], 0
                                        ; implicit-def: $sgpr10
	s_and_saveexec_b64 s[8:9], s[6:7]
	s_xor_b64 s[6:7], exec, s[8:9]
	s_cbranch_execnz .LBB19_2377
; %bb.329:
	s_or_saveexec_b64 s[6:7], s[6:7]
	v_mov_b32_e32 v10, s10
	s_xor_b64 exec, exec, s[6:7]
	s_cbranch_execnz .LBB19_2380
.LBB19_330:
	s_or_b64 exec, exec, s[6:7]
	s_and_saveexec_b64 s[6:7], s[4:5]
	s_cbranch_execz .LBB19_332
.LBB19_331:
	v_bfe_u32 v10, v16, 8, 3
	v_ffbh_u32_e32 v15, v10
	v_min_u32_e32 v15, 32, v15
	v_lshrrev_b16_e32 v14, 3, v11
	v_subrev_u32_e32 v20, 28, v15
	v_and_b32_e32 v14, 15, v14
	v_lshlrev_b32_e32 v11, v20, v11
	v_sub_u32_e32 v15, 29, v15
	v_and_b32_e32 v11, 7, v11
	v_cmp_eq_u16_e32 vcc, 0, v14
	v_cndmask_b32_e32 v10, v10, v11, vcc
	v_cndmask_b32_e32 v11, v14, v15, vcc
	v_lshlrev_b32_e32 v14, 16, v16
	v_mov_b32_e32 v15, 0x3b800000
	v_lshlrev_b32_e32 v10, 20, v10
	v_and_b32_e32 v14, 0x80000000, v14
	v_lshl_add_u32 v11, v11, 23, v15
	v_or3_b32 v10, v14, v11, v10
.LBB19_332:
	s_or_b64 exec, exec, s[6:7]
	v_lshrrev_b32_e32 v11, 8, v12
	s_movk_i32 s4, 0x7f
	v_cmp_gt_i16_sdwa s[6:7], v11, s4 src0_sel:BYTE_0 src1_sel:DWORD
	s_mov_b64 s[4:5], 0
                                        ; implicit-def: $sgpr10
	s_and_saveexec_b64 s[8:9], s[6:7]
	s_xor_b64 s[6:7], exec, s[8:9]
	s_cbranch_execnz .LBB19_2381
; %bb.333:
	s_or_saveexec_b64 s[6:7], s[6:7]
	v_mov_b32_e32 v14, s10
	s_xor_b64 exec, exec, s[6:7]
	s_cbranch_execnz .LBB19_2384
.LBB19_334:
	s_or_b64 exec, exec, s[6:7]
	s_and_saveexec_b64 s[6:7], s[4:5]
	s_cbranch_execz .LBB19_336
.LBB19_335:
	v_bfe_u32 v14, v12, 8, 3
	v_ffbh_u32_e32 v20, v14
	v_min_u32_e32 v20, 32, v20
	v_lshrrev_b16_e32 v15, 3, v11
	v_subrev_u32_e32 v21, 28, v20
	v_and_b32_e32 v15, 15, v15
	v_lshlrev_b32_e32 v11, v21, v11
	v_sub_u32_e32 v20, 29, v20
	v_and_b32_e32 v11, 7, v11
	v_cmp_eq_u16_e32 vcc, 0, v15
	v_cndmask_b32_e32 v11, v14, v11, vcc
	v_cndmask_b32_e32 v14, v15, v20, vcc
	v_lshlrev_b32_e32 v15, 16, v12
	v_mov_b32_e32 v20, 0x3b800000
	v_lshlrev_b32_e32 v11, 20, v11
	v_and_b32_e32 v15, 0x80000000, v15
	v_lshl_add_u32 v14, v14, 23, v20
	v_or3_b32 v14, v15, v14, v11
.LBB19_336:
	s_or_b64 exec, exec, s[6:7]
	s_nop 0
	v_mfma_f32_16x16x4f32 a[0:3], v10, v14, a[0:3]
	s_movk_i32 s4, 0xff
	v_and_b32_sdwa v11, v16, s4 dst_sel:DWORD dst_unused:UNUSED_PAD src0_sel:WORD_1 src1_sel:DWORD
	s_movk_i32 s4, 0x7f
	v_cmp_lt_i16_e32 vcc, s4, v11
	s_mov_b64 s[4:5], 0
                                        ; implicit-def: $sgpr10
	s_and_saveexec_b64 s[6:7], vcc
	s_xor_b64 s[6:7], exec, s[6:7]
	s_cbranch_execnz .LBB19_2385
; %bb.337:
	s_or_saveexec_b64 s[6:7], s[6:7]
	v_mov_b32_e32 v10, s10
	s_xor_b64 exec, exec, s[6:7]
	s_cbranch_execnz .LBB19_2388
.LBB19_338:
	s_or_b64 exec, exec, s[6:7]
	s_and_saveexec_b64 s[6:7], s[4:5]
	s_cbranch_execz .LBB19_340
.LBB19_339:
	v_bfe_u32 v10, v16, 16, 3
	v_ffbh_u32_e32 v15, v10
	v_min_u32_e32 v15, 32, v15
	v_lshrrev_b32_e32 v11, 19, v16
	v_subrev_u32_e32 v20, 28, v15
	v_and_b32_e32 v11, 15, v11
	v_lshlrev_b32_sdwa v20, v20, v16 dst_sel:DWORD dst_unused:UNUSED_PAD src0_sel:DWORD src1_sel:WORD_1
	v_bfe_u32 v14, v16, 19, 4
	v_sub_u32_e32 v15, 29, v15
	v_and_b32_e32 v20, 7, v20
	v_cmp_eq_u16_e32 vcc, 0, v11
	v_cndmask_b32_e32 v10, v10, v20, vcc
	v_cndmask_b32_e32 v11, v14, v15, vcc
	v_lshlrev_b32_e32 v14, 8, v16
	v_mov_b32_e32 v15, 0x3b800000
	v_lshlrev_b32_e32 v10, 20, v10
	v_and_b32_e32 v14, 0x80000000, v14
	v_lshl_add_u32 v11, v11, 23, v15
	v_or3_b32 v10, v14, v11, v10
.LBB19_340:
	s_or_b64 exec, exec, s[6:7]
	s_movk_i32 s4, 0xff
	v_and_b32_sdwa v11, v12, s4 dst_sel:DWORD dst_unused:UNUSED_PAD src0_sel:WORD_1 src1_sel:DWORD
	s_movk_i32 s4, 0x7f
	v_cmp_lt_i16_e32 vcc, s4, v11
	s_mov_b64 s[4:5], 0
                                        ; implicit-def: $sgpr10
	s_and_saveexec_b64 s[6:7], vcc
	s_xor_b64 s[6:7], exec, s[6:7]
	s_cbranch_execnz .LBB19_2389
; %bb.341:
	s_or_saveexec_b64 s[6:7], s[6:7]
	v_mov_b32_e32 v14, s10
	s_xor_b64 exec, exec, s[6:7]
	s_cbranch_execnz .LBB19_2392
.LBB19_342:
	s_or_b64 exec, exec, s[6:7]
	s_and_saveexec_b64 s[6:7], s[4:5]
	s_cbranch_execz .LBB19_344
.LBB19_343:
	v_bfe_u32 v11, v12, 16, 3
	v_ffbh_u32_e32 v20, v11
	v_min_u32_e32 v20, 32, v20
	v_lshrrev_b32_e32 v14, 19, v12
	v_subrev_u32_e32 v21, 28, v20
	v_and_b32_e32 v14, 15, v14
	v_lshlrev_b32_sdwa v21, v21, v12 dst_sel:DWORD dst_unused:UNUSED_PAD src0_sel:DWORD src1_sel:WORD_1
	v_bfe_u32 v15, v12, 19, 4
	v_sub_u32_e32 v20, 29, v20
	v_and_b32_e32 v21, 7, v21
	v_cmp_eq_u16_e32 vcc, 0, v14
	v_cndmask_b32_e32 v11, v11, v21, vcc
	v_cndmask_b32_e32 v14, v15, v20, vcc
	v_lshlrev_b32_e32 v15, 8, v12
	v_mov_b32_e32 v20, 0x3b800000
	v_lshlrev_b32_e32 v11, 20, v11
	v_and_b32_e32 v15, 0x80000000, v15
	v_lshl_add_u32 v14, v14, 23, v20
	v_or3_b32 v14, v15, v14, v11
.LBB19_344:
	s_or_b64 exec, exec, s[6:7]
	s_nop 0
	v_mfma_f32_16x16x4f32 a[0:3], v10, v14, a[0:3]
	s_movk_i32 s4, 0x7f
	v_cmp_gt_i16_sdwa s[6:7], v16, s4 src0_sel:BYTE_3 src1_sel:DWORD
	s_mov_b64 s[4:5], 0
                                        ; implicit-def: $sgpr10
	s_and_saveexec_b64 s[8:9], s[6:7]
	s_xor_b64 s[6:7], exec, s[8:9]
	s_cbranch_execnz .LBB19_2393
; %bb.345:
	s_or_saveexec_b64 s[6:7], s[6:7]
	v_mov_b32_e32 v10, s10
	s_xor_b64 exec, exec, s[6:7]
	s_cbranch_execnz .LBB19_2396
.LBB19_346:
	s_or_b64 exec, exec, s[6:7]
	s_and_saveexec_b64 s[6:7], s[4:5]
	s_cbranch_execz .LBB19_348
.LBB19_347:
	v_bfe_u32 v10, v16, 24, 3
	v_ffbh_u32_e32 v20, v10
	v_min_u32_e32 v20, 32, v20
	v_lshrrev_b32_e32 v14, 27, v16
	v_subrev_u32_e32 v21, 28, v20
	v_and_b32_e32 v11, 0x80000000, v16
	v_and_b32_e32 v14, 15, v14
	v_bfe_u32 v15, v16, 27, 4
	v_lshlrev_b32_sdwa v16, v21, v16 dst_sel:DWORD dst_unused:UNUSED_PAD src0_sel:DWORD src1_sel:BYTE_3
	v_sub_u32_e32 v20, 29, v20
	v_and_b32_e32 v16, 7, v16
	v_cmp_eq_u16_e32 vcc, 0, v14
	v_cndmask_b32_e32 v10, v10, v16, vcc
	v_cndmask_b32_e32 v14, v15, v20, vcc
	v_mov_b32_e32 v15, 0x3b800000
	v_lshlrev_b32_e32 v10, 20, v10
	v_lshl_add_u32 v14, v14, 23, v15
	v_or3_b32 v10, v11, v14, v10
.LBB19_348:
	s_or_b64 exec, exec, s[6:7]
	s_movk_i32 s4, 0x7f
	v_cmp_gt_i16_sdwa s[6:7], v12, s4 src0_sel:BYTE_3 src1_sel:DWORD
	s_mov_b64 s[4:5], 0
                                        ; implicit-def: $sgpr10
	s_and_saveexec_b64 s[8:9], s[6:7]
	s_xor_b64 s[6:7], exec, s[8:9]
	s_cbranch_execnz .LBB19_2397
; %bb.349:
	s_or_saveexec_b64 s[6:7], s[6:7]
	v_mov_b32_e32 v11, s10
	s_xor_b64 exec, exec, s[6:7]
	s_cbranch_execnz .LBB19_2400
.LBB19_350:
	s_or_b64 exec, exec, s[6:7]
	s_and_saveexec_b64 s[6:7], s[4:5]
	s_cbranch_execz .LBB19_352
.LBB19_351:
	v_bfe_u32 v11, v12, 24, 3
	v_ffbh_u32_e32 v20, v11
	v_min_u32_e32 v20, 32, v20
	v_lshrrev_b32_e32 v15, 27, v12
	v_subrev_u32_e32 v21, 28, v20
	v_and_b32_e32 v14, 0x80000000, v12
	v_and_b32_e32 v15, 15, v15
	v_bfe_u32 v16, v12, 27, 4
	v_lshlrev_b32_sdwa v12, v21, v12 dst_sel:DWORD dst_unused:UNUSED_PAD src0_sel:DWORD src1_sel:BYTE_3
	v_sub_u32_e32 v20, 29, v20
	v_and_b32_e32 v12, 7, v12
	v_cmp_eq_u16_e32 vcc, 0, v15
	v_cndmask_b32_e32 v11, v11, v12, vcc
	v_cndmask_b32_e32 v12, v16, v20, vcc
	v_mov_b32_e32 v15, 0x3b800000
	v_lshlrev_b32_e32 v11, 20, v11
	v_lshl_add_u32 v12, v12, 23, v15
	v_or3_b32 v11, v14, v12, v11
.LBB19_352:
	s_or_b64 exec, exec, s[6:7]
	s_nop 0
	v_mfma_f32_16x16x4f32 a[0:3], v10, v11, a[0:3]
	s_movk_i32 s4, 0x7f
	v_cmp_gt_i16_sdwa s[6:7], v17, s4 src0_sel:BYTE_0 src1_sel:DWORD
	s_mov_b64 s[4:5], 0
                                        ; implicit-def: $sgpr10
	s_and_saveexec_b64 s[8:9], s[6:7]
	s_xor_b64 s[6:7], exec, s[8:9]
	s_cbranch_execnz .LBB19_2401
; %bb.353:
	s_or_saveexec_b64 s[6:7], s[6:7]
	v_mov_b32_e32 v10, s10
	s_xor_b64 exec, exec, s[6:7]
	s_cbranch_execnz .LBB19_2404
.LBB19_354:
	s_or_b64 exec, exec, s[6:7]
	s_and_saveexec_b64 s[6:7], s[4:5]
	s_cbranch_execz .LBB19_356
.LBB19_355:
	v_and_b32_e32 v10, 7, v17
	v_ffbh_u32_e32 v12, v10
	v_min_u32_e32 v12, 32, v12
	v_lshrrev_b16_e32 v11, 3, v17
	v_subrev_u32_e32 v14, 28, v12
	v_and_b32_e32 v11, 15, v11
	v_lshlrev_b32_e32 v14, v14, v17
	v_sub_u32_e32 v12, 29, v12
	v_and_b32_e32 v14, 7, v14
	v_cmp_eq_u16_e32 vcc, 0, v11
	v_cndmask_b32_e32 v10, v10, v14, vcc
	v_cndmask_b32_e32 v11, v11, v12, vcc
	v_lshlrev_b32_e32 v12, 24, v17
	v_mov_b32_e32 v14, 0x3b800000
	v_lshlrev_b32_e32 v10, 20, v10
	v_and_b32_e32 v12, 0x80000000, v12
	v_lshl_add_u32 v11, v11, 23, v14
	v_or3_b32 v10, v12, v11, v10
.LBB19_356:
	s_or_b64 exec, exec, s[6:7]
	s_movk_i32 s4, 0x7f
	v_cmp_gt_i16_sdwa s[6:7], v13, s4 src0_sel:BYTE_0 src1_sel:DWORD
	s_mov_b64 s[4:5], 0
                                        ; implicit-def: $sgpr10
	s_and_saveexec_b64 s[8:9], s[6:7]
	s_xor_b64 s[6:7], exec, s[8:9]
	s_cbranch_execnz .LBB19_2405
; %bb.357:
	s_or_saveexec_b64 s[6:7], s[6:7]
	v_mov_b32_e32 v11, s10
	s_xor_b64 exec, exec, s[6:7]
	s_cbranch_execnz .LBB19_2408
.LBB19_358:
	s_or_b64 exec, exec, s[6:7]
	s_and_saveexec_b64 s[6:7], s[4:5]
	s_cbranch_execz .LBB19_360
.LBB19_359:
	v_and_b32_e32 v11, 7, v13
	v_ffbh_u32_e32 v14, v11
	v_min_u32_e32 v14, 32, v14
	v_lshrrev_b16_e32 v12, 3, v13
	v_subrev_u32_e32 v15, 28, v14
	v_and_b32_e32 v12, 15, v12
	v_lshlrev_b32_e32 v15, v15, v13
	v_sub_u32_e32 v14, 29, v14
	v_and_b32_e32 v15, 7, v15
	v_cmp_eq_u16_e32 vcc, 0, v12
	v_cndmask_b32_e32 v11, v11, v15, vcc
	v_cndmask_b32_e32 v12, v12, v14, vcc
	v_lshlrev_b32_e32 v14, 24, v13
	v_mov_b32_e32 v15, 0x3b800000
	v_lshlrev_b32_e32 v11, 20, v11
	v_and_b32_e32 v14, 0x80000000, v14
	v_lshl_add_u32 v12, v12, 23, v15
	v_or3_b32 v11, v14, v12, v11
.LBB19_360:
	s_or_b64 exec, exec, s[6:7]
	s_nop 0
	v_mfma_f32_16x16x4f32 a[0:3], v10, v11, a[0:3]
	v_lshrrev_b32_e32 v11, 8, v17
	s_movk_i32 s4, 0x7f
	v_cmp_gt_i16_sdwa s[6:7], v11, s4 src0_sel:BYTE_0 src1_sel:DWORD
	s_mov_b64 s[4:5], 0
                                        ; implicit-def: $sgpr10
	s_and_saveexec_b64 s[8:9], s[6:7]
	s_xor_b64 s[6:7], exec, s[8:9]
	s_cbranch_execnz .LBB19_2409
; %bb.361:
	s_or_saveexec_b64 s[6:7], s[6:7]
	v_mov_b32_e32 v10, s10
	s_xor_b64 exec, exec, s[6:7]
	s_cbranch_execnz .LBB19_2412
.LBB19_362:
	s_or_b64 exec, exec, s[6:7]
	s_and_saveexec_b64 s[6:7], s[4:5]
	s_cbranch_execz .LBB19_364
.LBB19_363:
	v_bfe_u32 v10, v17, 8, 3
	v_ffbh_u32_e32 v14, v10
	v_min_u32_e32 v14, 32, v14
	v_lshrrev_b16_e32 v12, 3, v11
	v_subrev_u32_e32 v15, 28, v14
	v_and_b32_e32 v12, 15, v12
	v_lshlrev_b32_e32 v11, v15, v11
	v_sub_u32_e32 v14, 29, v14
	v_and_b32_e32 v11, 7, v11
	v_cmp_eq_u16_e32 vcc, 0, v12
	v_cndmask_b32_e32 v10, v10, v11, vcc
	v_cndmask_b32_e32 v11, v12, v14, vcc
	v_lshlrev_b32_e32 v12, 16, v17
	v_mov_b32_e32 v14, 0x3b800000
	v_lshlrev_b32_e32 v10, 20, v10
	v_and_b32_e32 v12, 0x80000000, v12
	v_lshl_add_u32 v11, v11, 23, v14
	v_or3_b32 v10, v12, v11, v10
.LBB19_364:
	s_or_b64 exec, exec, s[6:7]
	v_lshrrev_b32_e32 v11, 8, v13
	s_movk_i32 s4, 0x7f
	v_cmp_gt_i16_sdwa s[6:7], v11, s4 src0_sel:BYTE_0 src1_sel:DWORD
	s_mov_b64 s[4:5], 0
                                        ; implicit-def: $sgpr10
	s_and_saveexec_b64 s[8:9], s[6:7]
	s_xor_b64 s[6:7], exec, s[8:9]
	s_cbranch_execnz .LBB19_2413
; %bb.365:
	s_or_saveexec_b64 s[6:7], s[6:7]
	v_mov_b32_e32 v12, s10
	s_xor_b64 exec, exec, s[6:7]
	s_cbranch_execnz .LBB19_2416
.LBB19_366:
	s_or_b64 exec, exec, s[6:7]
	s_and_saveexec_b64 s[6:7], s[4:5]
	s_cbranch_execz .LBB19_368
.LBB19_367:
	v_bfe_u32 v12, v13, 8, 3
	v_ffbh_u32_e32 v15, v12
	v_min_u32_e32 v15, 32, v15
	v_lshrrev_b16_e32 v14, 3, v11
	v_subrev_u32_e32 v16, 28, v15
	v_and_b32_e32 v14, 15, v14
	v_lshlrev_b32_e32 v11, v16, v11
	v_sub_u32_e32 v15, 29, v15
	v_and_b32_e32 v11, 7, v11
	v_cmp_eq_u16_e32 vcc, 0, v14
	v_cndmask_b32_e32 v11, v12, v11, vcc
	v_cndmask_b32_e32 v12, v14, v15, vcc
	v_lshlrev_b32_e32 v14, 16, v13
	v_mov_b32_e32 v15, 0x3b800000
	v_lshlrev_b32_e32 v11, 20, v11
	v_and_b32_e32 v14, 0x80000000, v14
	v_lshl_add_u32 v12, v12, 23, v15
	v_or3_b32 v12, v14, v12, v11
.LBB19_368:
	s_or_b64 exec, exec, s[6:7]
	s_nop 0
	v_mfma_f32_16x16x4f32 a[0:3], v10, v12, a[0:3]
	s_movk_i32 s4, 0xff
	v_and_b32_sdwa v11, v17, s4 dst_sel:DWORD dst_unused:UNUSED_PAD src0_sel:WORD_1 src1_sel:DWORD
	s_movk_i32 s4, 0x7f
	v_cmp_lt_i16_e32 vcc, s4, v11
	s_mov_b64 s[4:5], 0
                                        ; implicit-def: $sgpr10
	s_and_saveexec_b64 s[6:7], vcc
	s_xor_b64 s[6:7], exec, s[6:7]
	s_cbranch_execnz .LBB19_2417
; %bb.369:
	s_or_saveexec_b64 s[6:7], s[6:7]
	v_mov_b32_e32 v10, s10
	s_xor_b64 exec, exec, s[6:7]
	s_cbranch_execnz .LBB19_2420
.LBB19_370:
	s_or_b64 exec, exec, s[6:7]
	s_and_saveexec_b64 s[6:7], s[4:5]
	s_cbranch_execz .LBB19_372
.LBB19_371:
	v_bfe_u32 v10, v17, 16, 3
	v_ffbh_u32_e32 v14, v10
	v_min_u32_e32 v14, 32, v14
	v_lshrrev_b32_e32 v11, 19, v17
	v_subrev_u32_e32 v15, 28, v14
	v_and_b32_e32 v11, 15, v11
	v_lshlrev_b32_sdwa v15, v15, v17 dst_sel:DWORD dst_unused:UNUSED_PAD src0_sel:DWORD src1_sel:WORD_1
	v_bfe_u32 v12, v17, 19, 4
	v_sub_u32_e32 v14, 29, v14
	v_and_b32_e32 v15, 7, v15
	v_cmp_eq_u16_e32 vcc, 0, v11
	v_cndmask_b32_e32 v10, v10, v15, vcc
	v_cndmask_b32_e32 v11, v12, v14, vcc
	v_lshlrev_b32_e32 v12, 8, v17
	v_mov_b32_e32 v14, 0x3b800000
	v_lshlrev_b32_e32 v10, 20, v10
	v_and_b32_e32 v12, 0x80000000, v12
	v_lshl_add_u32 v11, v11, 23, v14
	v_or3_b32 v10, v12, v11, v10
.LBB19_372:
	s_or_b64 exec, exec, s[6:7]
	s_movk_i32 s4, 0xff
	v_and_b32_sdwa v11, v13, s4 dst_sel:DWORD dst_unused:UNUSED_PAD src0_sel:WORD_1 src1_sel:DWORD
	s_movk_i32 s4, 0x7f
	v_cmp_lt_i16_e32 vcc, s4, v11
	s_mov_b64 s[4:5], 0
                                        ; implicit-def: $sgpr10
	s_and_saveexec_b64 s[6:7], vcc
	s_xor_b64 s[6:7], exec, s[6:7]
	s_cbranch_execnz .LBB19_2421
; %bb.373:
	s_or_saveexec_b64 s[6:7], s[6:7]
	v_mov_b32_e32 v12, s10
	s_xor_b64 exec, exec, s[6:7]
	s_cbranch_execnz .LBB19_2424
.LBB19_374:
	s_or_b64 exec, exec, s[6:7]
	s_and_saveexec_b64 s[6:7], s[4:5]
	s_cbranch_execz .LBB19_376
.LBB19_375:
	v_bfe_u32 v11, v13, 16, 3
	v_ffbh_u32_e32 v15, v11
	v_min_u32_e32 v15, 32, v15
	v_lshrrev_b32_e32 v12, 19, v13
	v_subrev_u32_e32 v16, 28, v15
	v_and_b32_e32 v12, 15, v12
	v_lshlrev_b32_sdwa v16, v16, v13 dst_sel:DWORD dst_unused:UNUSED_PAD src0_sel:DWORD src1_sel:WORD_1
	v_bfe_u32 v14, v13, 19, 4
	v_sub_u32_e32 v15, 29, v15
	v_and_b32_e32 v16, 7, v16
	v_cmp_eq_u16_e32 vcc, 0, v12
	v_cndmask_b32_e32 v11, v11, v16, vcc
	v_cndmask_b32_e32 v12, v14, v15, vcc
	v_lshlrev_b32_e32 v14, 8, v13
	v_mov_b32_e32 v15, 0x3b800000
	v_lshlrev_b32_e32 v11, 20, v11
	v_and_b32_e32 v14, 0x80000000, v14
	v_lshl_add_u32 v12, v12, 23, v15
	v_or3_b32 v12, v14, v12, v11
.LBB19_376:
	s_or_b64 exec, exec, s[6:7]
	s_nop 0
	v_mfma_f32_16x16x4f32 a[0:3], v10, v12, a[0:3]
	s_movk_i32 s4, 0x7f
	v_cmp_gt_i16_sdwa s[6:7], v17, s4 src0_sel:BYTE_3 src1_sel:DWORD
	s_mov_b64 s[4:5], 0
                                        ; implicit-def: $sgpr10
	s_and_saveexec_b64 s[8:9], s[6:7]
	s_xor_b64 s[6:7], exec, s[8:9]
	s_cbranch_execnz .LBB19_2425
; %bb.377:
	s_or_saveexec_b64 s[6:7], s[6:7]
	v_mov_b32_e32 v10, s10
	s_xor_b64 exec, exec, s[6:7]
	s_cbranch_execnz .LBB19_2428
.LBB19_378:
	s_or_b64 exec, exec, s[6:7]
	s_and_saveexec_b64 s[6:7], s[4:5]
	s_cbranch_execz .LBB19_380
.LBB19_379:
	v_bfe_u32 v10, v17, 24, 3
	v_ffbh_u32_e32 v15, v10
	v_min_u32_e32 v15, 32, v15
	v_lshrrev_b32_e32 v12, 27, v17
	v_subrev_u32_e32 v16, 28, v15
	v_and_b32_e32 v12, 15, v12
	v_lshlrev_b32_sdwa v16, v16, v17 dst_sel:DWORD dst_unused:UNUSED_PAD src0_sel:DWORD src1_sel:BYTE_3
	v_bfe_u32 v14, v17, 27, 4
	v_sub_u32_e32 v15, 29, v15
	v_and_b32_e32 v16, 7, v16
	v_cmp_eq_u16_e32 vcc, 0, v12
	v_cndmask_b32_e32 v10, v10, v16, vcc
	v_cndmask_b32_e32 v12, v14, v15, vcc
	v_mov_b32_e32 v14, 0x3b800000
	v_and_b32_e32 v11, 0x80000000, v17
	v_lshlrev_b32_e32 v10, 20, v10
	v_lshl_add_u32 v12, v12, 23, v14
	v_or3_b32 v10, v11, v12, v10
.LBB19_380:
	s_or_b64 exec, exec, s[6:7]
	s_movk_i32 s4, 0x7f
	v_cmp_gt_i16_sdwa s[6:7], v13, s4 src0_sel:BYTE_3 src1_sel:DWORD
	s_mov_b64 s[4:5], 0
                                        ; implicit-def: $sgpr10
	s_and_saveexec_b64 s[8:9], s[6:7]
	s_xor_b64 s[6:7], exec, s[8:9]
	s_cbranch_execnz .LBB19_2429
; %bb.381:
	s_or_saveexec_b64 s[6:7], s[6:7]
	v_mov_b32_e32 v11, s10
	s_xor_b64 exec, exec, s[6:7]
	s_cbranch_execnz .LBB19_2432
.LBB19_382:
	s_or_b64 exec, exec, s[6:7]
	s_and_saveexec_b64 s[6:7], s[4:5]
	s_cbranch_execz .LBB19_384
.LBB19_383:
	v_bfe_u32 v11, v13, 24, 3
	v_ffbh_u32_e32 v16, v11
	v_min_u32_e32 v16, 32, v16
	v_lshrrev_b32_e32 v14, 27, v13
	v_subrev_u32_e32 v17, 28, v16
	v_and_b32_e32 v12, 0x80000000, v13
	v_and_b32_e32 v14, 15, v14
	v_bfe_u32 v15, v13, 27, 4
	v_lshlrev_b32_sdwa v13, v17, v13 dst_sel:DWORD dst_unused:UNUSED_PAD src0_sel:DWORD src1_sel:BYTE_3
	v_sub_u32_e32 v16, 29, v16
	v_and_b32_e32 v13, 7, v13
	v_cmp_eq_u16_e32 vcc, 0, v14
	v_cndmask_b32_e32 v11, v11, v13, vcc
	v_cndmask_b32_e32 v13, v15, v16, vcc
	v_mov_b32_e32 v14, 0x3b800000
	v_lshlrev_b32_e32 v11, 20, v11
	v_lshl_add_u32 v13, v13, 23, v14
	v_or3_b32 v11, v12, v13, v11
.LBB19_384:
	s_or_b64 exec, exec, s[6:7]
	s_nop 0
	v_mfma_f32_16x16x4f32 a[0:3], v10, v11, a[0:3]
	s_movk_i32 s4, 0x7f
	v_cmp_gt_i16_sdwa s[6:7], v6, s4 src0_sel:BYTE_0 src1_sel:DWORD
	s_mov_b64 s[4:5], 0
                                        ; implicit-def: $sgpr10
	s_and_saveexec_b64 s[8:9], s[6:7]
	s_xor_b64 s[6:7], exec, s[8:9]
	s_cbranch_execnz .LBB19_2433
; %bb.385:
	s_or_saveexec_b64 s[6:7], s[6:7]
	v_mov_b32_e32 v10, s10
	s_xor_b64 exec, exec, s[6:7]
	s_cbranch_execnz .LBB19_2436
.LBB19_386:
	s_or_b64 exec, exec, s[6:7]
	s_and_saveexec_b64 s[6:7], s[4:5]
	s_cbranch_execz .LBB19_388
.LBB19_387:
	v_and_b32_e32 v10, 7, v6
	v_ffbh_u32_e32 v12, v10
	v_min_u32_e32 v12, 32, v12
	v_lshrrev_b16_e32 v11, 3, v6
	v_subrev_u32_e32 v13, 28, v12
	v_and_b32_e32 v11, 15, v11
	v_lshlrev_b32_e32 v13, v13, v6
	v_sub_u32_e32 v12, 29, v12
	v_and_b32_e32 v13, 7, v13
	v_cmp_eq_u16_e32 vcc, 0, v11
	v_cndmask_b32_e32 v10, v10, v13, vcc
	v_cndmask_b32_e32 v11, v11, v12, vcc
	v_lshlrev_b32_e32 v12, 24, v6
	v_mov_b32_e32 v13, 0x3b800000
	v_lshlrev_b32_e32 v10, 20, v10
	v_and_b32_e32 v12, 0x80000000, v12
	v_lshl_add_u32 v11, v11, 23, v13
	v_or3_b32 v10, v12, v11, v10
.LBB19_388:
	s_or_b64 exec, exec, s[6:7]
	s_movk_i32 s4, 0x7f
	v_cmp_gt_i16_sdwa s[6:7], v2, s4 src0_sel:BYTE_0 src1_sel:DWORD
	s_mov_b64 s[4:5], 0
                                        ; implicit-def: $sgpr10
	s_and_saveexec_b64 s[8:9], s[6:7]
	s_xor_b64 s[6:7], exec, s[8:9]
	s_cbranch_execnz .LBB19_2437
; %bb.389:
	s_or_saveexec_b64 s[6:7], s[6:7]
	v_mov_b32_e32 v11, s10
	s_xor_b64 exec, exec, s[6:7]
	s_cbranch_execnz .LBB19_2440
.LBB19_390:
	s_or_b64 exec, exec, s[6:7]
	s_and_saveexec_b64 s[6:7], s[4:5]
	s_cbranch_execz .LBB19_392
.LBB19_391:
	v_and_b32_e32 v11, 7, v2
	v_ffbh_u32_e32 v13, v11
	v_min_u32_e32 v13, 32, v13
	v_lshrrev_b16_e32 v12, 3, v2
	v_subrev_u32_e32 v14, 28, v13
	v_and_b32_e32 v12, 15, v12
	v_lshlrev_b32_e32 v14, v14, v2
	v_sub_u32_e32 v13, 29, v13
	v_and_b32_e32 v14, 7, v14
	v_cmp_eq_u16_e32 vcc, 0, v12
	v_cndmask_b32_e32 v11, v11, v14, vcc
	v_cndmask_b32_e32 v12, v12, v13, vcc
	v_lshlrev_b32_e32 v13, 24, v2
	v_mov_b32_e32 v14, 0x3b800000
	v_lshlrev_b32_e32 v11, 20, v11
	v_and_b32_e32 v13, 0x80000000, v13
	v_lshl_add_u32 v12, v12, 23, v14
	v_or3_b32 v11, v13, v12, v11
.LBB19_392:
	s_or_b64 exec, exec, s[6:7]
	s_nop 0
	v_mfma_f32_16x16x4f32 a[0:3], v10, v11, a[0:3]
	v_lshrrev_b32_e32 v11, 8, v6
	s_movk_i32 s4, 0x7f
	v_cmp_gt_i16_sdwa s[6:7], v11, s4 src0_sel:BYTE_0 src1_sel:DWORD
	s_mov_b64 s[4:5], 0
                                        ; implicit-def: $sgpr10
	s_and_saveexec_b64 s[8:9], s[6:7]
	s_xor_b64 s[6:7], exec, s[8:9]
	s_cbranch_execnz .LBB19_2441
; %bb.393:
	s_or_saveexec_b64 s[6:7], s[6:7]
	v_mov_b32_e32 v10, s10
	s_xor_b64 exec, exec, s[6:7]
	s_cbranch_execnz .LBB19_2444
.LBB19_394:
	s_or_b64 exec, exec, s[6:7]
	s_and_saveexec_b64 s[6:7], s[4:5]
	s_cbranch_execz .LBB19_396
.LBB19_395:
	v_bfe_u32 v10, v6, 8, 3
	v_ffbh_u32_e32 v13, v10
	v_min_u32_e32 v13, 32, v13
	v_lshrrev_b16_e32 v12, 3, v11
	v_subrev_u32_e32 v14, 28, v13
	v_and_b32_e32 v12, 15, v12
	v_lshlrev_b32_e32 v11, v14, v11
	v_sub_u32_e32 v13, 29, v13
	v_and_b32_e32 v11, 7, v11
	v_cmp_eq_u16_e32 vcc, 0, v12
	v_cndmask_b32_e32 v10, v10, v11, vcc
	v_cndmask_b32_e32 v11, v12, v13, vcc
	v_lshlrev_b32_e32 v12, 16, v6
	v_mov_b32_e32 v13, 0x3b800000
	v_lshlrev_b32_e32 v10, 20, v10
	v_and_b32_e32 v12, 0x80000000, v12
	v_lshl_add_u32 v11, v11, 23, v13
	v_or3_b32 v10, v12, v11, v10
.LBB19_396:
	s_or_b64 exec, exec, s[6:7]
	v_lshrrev_b32_e32 v11, 8, v2
	s_movk_i32 s4, 0x7f
	v_cmp_gt_i16_sdwa s[6:7], v11, s4 src0_sel:BYTE_0 src1_sel:DWORD
	s_mov_b64 s[4:5], 0
                                        ; implicit-def: $sgpr10
	s_and_saveexec_b64 s[8:9], s[6:7]
	s_xor_b64 s[6:7], exec, s[8:9]
	s_cbranch_execnz .LBB19_2445
; %bb.397:
	s_or_saveexec_b64 s[6:7], s[6:7]
	v_mov_b32_e32 v12, s10
	s_xor_b64 exec, exec, s[6:7]
	s_cbranch_execnz .LBB19_2448
.LBB19_398:
	s_or_b64 exec, exec, s[6:7]
	s_and_saveexec_b64 s[6:7], s[4:5]
	s_cbranch_execz .LBB19_400
.LBB19_399:
	v_bfe_u32 v12, v2, 8, 3
	v_ffbh_u32_e32 v14, v12
	v_min_u32_e32 v14, 32, v14
	v_lshrrev_b16_e32 v13, 3, v11
	v_subrev_u32_e32 v15, 28, v14
	v_and_b32_e32 v13, 15, v13
	v_lshlrev_b32_e32 v11, v15, v11
	v_sub_u32_e32 v14, 29, v14
	v_and_b32_e32 v11, 7, v11
	v_cmp_eq_u16_e32 vcc, 0, v13
	v_cndmask_b32_e32 v11, v12, v11, vcc
	v_cndmask_b32_e32 v12, v13, v14, vcc
	v_lshlrev_b32_e32 v13, 16, v2
	v_mov_b32_e32 v14, 0x3b800000
	v_lshlrev_b32_e32 v11, 20, v11
	v_and_b32_e32 v13, 0x80000000, v13
	v_lshl_add_u32 v12, v12, 23, v14
	v_or3_b32 v12, v13, v12, v11
.LBB19_400:
	s_or_b64 exec, exec, s[6:7]
	s_nop 0
	v_mfma_f32_16x16x4f32 a[0:3], v10, v12, a[0:3]
	s_movk_i32 s4, 0xff
	v_and_b32_sdwa v11, v6, s4 dst_sel:DWORD dst_unused:UNUSED_PAD src0_sel:WORD_1 src1_sel:DWORD
	s_movk_i32 s4, 0x7f
	v_cmp_lt_i16_e32 vcc, s4, v11
	s_mov_b64 s[4:5], 0
                                        ; implicit-def: $sgpr10
	s_and_saveexec_b64 s[6:7], vcc
	s_xor_b64 s[6:7], exec, s[6:7]
	s_cbranch_execnz .LBB19_2449
; %bb.401:
	s_or_saveexec_b64 s[6:7], s[6:7]
	v_mov_b32_e32 v10, s10
	s_xor_b64 exec, exec, s[6:7]
	s_cbranch_execnz .LBB19_2452
.LBB19_402:
	s_or_b64 exec, exec, s[6:7]
	s_and_saveexec_b64 s[6:7], s[4:5]
	s_cbranch_execz .LBB19_404
.LBB19_403:
	v_bfe_u32 v10, v6, 16, 3
	v_ffbh_u32_e32 v13, v10
	v_min_u32_e32 v13, 32, v13
	v_lshrrev_b32_e32 v11, 19, v6
	v_subrev_u32_e32 v14, 28, v13
	v_and_b32_e32 v11, 15, v11
	v_lshlrev_b32_sdwa v14, v14, v6 dst_sel:DWORD dst_unused:UNUSED_PAD src0_sel:DWORD src1_sel:WORD_1
	v_bfe_u32 v12, v6, 19, 4
	v_sub_u32_e32 v13, 29, v13
	v_and_b32_e32 v14, 7, v14
	v_cmp_eq_u16_e32 vcc, 0, v11
	v_cndmask_b32_e32 v10, v10, v14, vcc
	v_cndmask_b32_e32 v11, v12, v13, vcc
	v_lshlrev_b32_e32 v12, 8, v6
	v_mov_b32_e32 v13, 0x3b800000
	v_lshlrev_b32_e32 v10, 20, v10
	v_and_b32_e32 v12, 0x80000000, v12
	v_lshl_add_u32 v11, v11, 23, v13
	v_or3_b32 v10, v12, v11, v10
.LBB19_404:
	s_or_b64 exec, exec, s[6:7]
	s_movk_i32 s4, 0xff
	v_and_b32_sdwa v11, v2, s4 dst_sel:DWORD dst_unused:UNUSED_PAD src0_sel:WORD_1 src1_sel:DWORD
	s_movk_i32 s4, 0x7f
	v_cmp_lt_i16_e32 vcc, s4, v11
	s_mov_b64 s[4:5], 0
                                        ; implicit-def: $sgpr10
	s_and_saveexec_b64 s[6:7], vcc
	s_xor_b64 s[6:7], exec, s[6:7]
	s_cbranch_execnz .LBB19_2453
; %bb.405:
	s_or_saveexec_b64 s[6:7], s[6:7]
	v_mov_b32_e32 v12, s10
	s_xor_b64 exec, exec, s[6:7]
	s_cbranch_execnz .LBB19_2456
.LBB19_406:
	s_or_b64 exec, exec, s[6:7]
	s_and_saveexec_b64 s[6:7], s[4:5]
	s_cbranch_execz .LBB19_408
.LBB19_407:
	v_bfe_u32 v11, v2, 16, 3
	v_ffbh_u32_e32 v14, v11
	v_min_u32_e32 v14, 32, v14
	v_lshrrev_b32_e32 v12, 19, v2
	v_subrev_u32_e32 v15, 28, v14
	v_and_b32_e32 v12, 15, v12
	v_lshlrev_b32_sdwa v15, v15, v2 dst_sel:DWORD dst_unused:UNUSED_PAD src0_sel:DWORD src1_sel:WORD_1
	v_bfe_u32 v13, v2, 19, 4
	v_sub_u32_e32 v14, 29, v14
	v_and_b32_e32 v15, 7, v15
	v_cmp_eq_u16_e32 vcc, 0, v12
	v_cndmask_b32_e32 v11, v11, v15, vcc
	v_cndmask_b32_e32 v12, v13, v14, vcc
	v_lshlrev_b32_e32 v13, 8, v2
	v_mov_b32_e32 v14, 0x3b800000
	v_lshlrev_b32_e32 v11, 20, v11
	v_and_b32_e32 v13, 0x80000000, v13
	v_lshl_add_u32 v12, v12, 23, v14
	v_or3_b32 v12, v13, v12, v11
.LBB19_408:
	s_or_b64 exec, exec, s[6:7]
	s_nop 0
	v_mfma_f32_16x16x4f32 a[0:3], v10, v12, a[0:3]
	s_movk_i32 s4, 0x7f
	v_cmp_gt_i16_sdwa s[6:7], v6, s4 src0_sel:BYTE_3 src1_sel:DWORD
	s_mov_b64 s[4:5], 0
                                        ; implicit-def: $sgpr10
	s_and_saveexec_b64 s[8:9], s[6:7]
	s_xor_b64 s[6:7], exec, s[8:9]
	s_cbranch_execnz .LBB19_2457
; %bb.409:
	s_or_saveexec_b64 s[6:7], s[6:7]
	v_mov_b32_e32 v10, s10
	s_xor_b64 exec, exec, s[6:7]
	s_cbranch_execnz .LBB19_2460
.LBB19_410:
	s_or_b64 exec, exec, s[6:7]
	s_and_saveexec_b64 s[6:7], s[4:5]
	s_cbranch_execz .LBB19_412
.LBB19_411:
	v_bfe_u32 v10, v6, 24, 3
	v_ffbh_u32_e32 v14, v10
	v_min_u32_e32 v14, 32, v14
	v_lshrrev_b32_e32 v12, 27, v6
	v_subrev_u32_e32 v15, 28, v14
	v_and_b32_e32 v11, 0x80000000, v6
	v_and_b32_e32 v12, 15, v12
	v_bfe_u32 v13, v6, 27, 4
	v_lshlrev_b32_sdwa v6, v15, v6 dst_sel:DWORD dst_unused:UNUSED_PAD src0_sel:DWORD src1_sel:BYTE_3
	v_sub_u32_e32 v14, 29, v14
	v_and_b32_e32 v6, 7, v6
	v_cmp_eq_u16_e32 vcc, 0, v12
	v_cndmask_b32_e32 v6, v10, v6, vcc
	v_cndmask_b32_e32 v10, v13, v14, vcc
	v_mov_b32_e32 v12, 0x3b800000
	v_lshlrev_b32_e32 v6, 20, v6
	v_lshl_add_u32 v10, v10, 23, v12
	v_or3_b32 v10, v11, v10, v6
.LBB19_412:
	s_or_b64 exec, exec, s[6:7]
	s_movk_i32 s4, 0x7f
	v_cmp_gt_i16_sdwa s[6:7], v2, s4 src0_sel:BYTE_3 src1_sel:DWORD
	s_mov_b64 s[4:5], 0
                                        ; implicit-def: $sgpr10
	s_and_saveexec_b64 s[8:9], s[6:7]
	s_xor_b64 s[6:7], exec, s[8:9]
	s_cbranch_execnz .LBB19_2461
; %bb.413:
	s_or_saveexec_b64 s[6:7], s[6:7]
	v_mov_b32_e32 v6, s10
	s_xor_b64 exec, exec, s[6:7]
	s_cbranch_execnz .LBB19_2464
.LBB19_414:
	s_or_b64 exec, exec, s[6:7]
	s_and_saveexec_b64 s[6:7], s[4:5]
	s_cbranch_execz .LBB19_416
.LBB19_415:
	v_bfe_u32 v6, v2, 24, 3
	v_ffbh_u32_e32 v14, v6
	v_min_u32_e32 v14, 32, v14
	v_lshrrev_b32_e32 v12, 27, v2
	v_subrev_u32_e32 v15, 28, v14
	v_and_b32_e32 v11, 0x80000000, v2
	v_and_b32_e32 v12, 15, v12
	v_bfe_u32 v13, v2, 27, 4
	v_lshlrev_b32_sdwa v2, v15, v2 dst_sel:DWORD dst_unused:UNUSED_PAD src0_sel:DWORD src1_sel:BYTE_3
	v_sub_u32_e32 v14, 29, v14
	v_and_b32_e32 v2, 7, v2
	v_cmp_eq_u16_e32 vcc, 0, v12
	v_cndmask_b32_e32 v2, v6, v2, vcc
	v_cndmask_b32_e32 v6, v13, v14, vcc
	v_mov_b32_e32 v12, 0x3b800000
	v_lshlrev_b32_e32 v2, 20, v2
	v_lshl_add_u32 v6, v6, 23, v12
	v_or3_b32 v6, v11, v6, v2
.LBB19_416:
	s_or_b64 exec, exec, s[6:7]
	s_nop 0
	v_mfma_f32_16x16x4f32 a[0:3], v10, v6, a[0:3]
	s_movk_i32 s4, 0x7f
	v_cmp_gt_i16_sdwa s[6:7], v7, s4 src0_sel:BYTE_0 src1_sel:DWORD
	s_mov_b64 s[4:5], 0
                                        ; implicit-def: $sgpr10
	s_and_saveexec_b64 s[8:9], s[6:7]
	s_xor_b64 s[6:7], exec, s[8:9]
	s_cbranch_execnz .LBB19_2465
; %bb.417:
	s_or_saveexec_b64 s[6:7], s[6:7]
	v_mov_b32_e32 v2, s10
	s_xor_b64 exec, exec, s[6:7]
	s_cbranch_execnz .LBB19_2468
.LBB19_418:
	s_or_b64 exec, exec, s[6:7]
	s_and_saveexec_b64 s[6:7], s[4:5]
	s_cbranch_execz .LBB19_420
.LBB19_419:
	v_and_b32_e32 v2, 7, v7
	v_ffbh_u32_e32 v10, v2
	v_min_u32_e32 v10, 32, v10
	v_lshrrev_b16_e32 v6, 3, v7
	v_subrev_u32_e32 v11, 28, v10
	v_and_b32_e32 v6, 15, v6
	v_lshlrev_b32_e32 v11, v11, v7
	v_sub_u32_e32 v10, 29, v10
	v_and_b32_e32 v11, 7, v11
	v_cmp_eq_u16_e32 vcc, 0, v6
	v_cndmask_b32_e32 v2, v2, v11, vcc
	v_cndmask_b32_e32 v6, v6, v10, vcc
	v_lshlrev_b32_e32 v10, 24, v7
	v_mov_b32_e32 v11, 0x3b800000
	v_lshlrev_b32_e32 v2, 20, v2
	v_and_b32_e32 v10, 0x80000000, v10
	v_lshl_add_u32 v6, v6, 23, v11
	v_or3_b32 v2, v10, v6, v2
.LBB19_420:
	s_or_b64 exec, exec, s[6:7]
	s_movk_i32 s4, 0x7f
	v_cmp_gt_i16_sdwa s[6:7], v3, s4 src0_sel:BYTE_0 src1_sel:DWORD
	s_mov_b64 s[4:5], 0
                                        ; implicit-def: $sgpr10
	s_and_saveexec_b64 s[8:9], s[6:7]
	s_xor_b64 s[6:7], exec, s[8:9]
	s_cbranch_execnz .LBB19_2469
; %bb.421:
	s_or_saveexec_b64 s[6:7], s[6:7]
	v_mov_b32_e32 v6, s10
	s_xor_b64 exec, exec, s[6:7]
	s_cbranch_execnz .LBB19_2472
.LBB19_422:
	s_or_b64 exec, exec, s[6:7]
	s_and_saveexec_b64 s[6:7], s[4:5]
	s_cbranch_execz .LBB19_424
.LBB19_423:
	v_and_b32_e32 v6, 7, v3
	v_ffbh_u32_e32 v11, v6
	v_min_u32_e32 v11, 32, v11
	v_lshrrev_b16_e32 v10, 3, v3
	v_subrev_u32_e32 v12, 28, v11
	v_and_b32_e32 v10, 15, v10
	v_lshlrev_b32_e32 v12, v12, v3
	v_sub_u32_e32 v11, 29, v11
	v_and_b32_e32 v12, 7, v12
	v_cmp_eq_u16_e32 vcc, 0, v10
	v_cndmask_b32_e32 v6, v6, v12, vcc
	v_cndmask_b32_e32 v10, v10, v11, vcc
	v_lshlrev_b32_e32 v11, 24, v3
	v_mov_b32_e32 v12, 0x3b800000
	v_lshlrev_b32_e32 v6, 20, v6
	v_and_b32_e32 v11, 0x80000000, v11
	v_lshl_add_u32 v10, v10, 23, v12
	v_or3_b32 v6, v11, v10, v6
.LBB19_424:
	s_or_b64 exec, exec, s[6:7]
	s_nop 0
	v_mfma_f32_16x16x4f32 a[0:3], v2, v6, a[0:3]
	v_lshrrev_b32_e32 v6, 8, v7
	s_movk_i32 s4, 0x7f
	v_cmp_gt_i16_sdwa s[6:7], v6, s4 src0_sel:BYTE_0 src1_sel:DWORD
	s_mov_b64 s[4:5], 0
                                        ; implicit-def: $sgpr10
	s_and_saveexec_b64 s[8:9], s[6:7]
	s_xor_b64 s[6:7], exec, s[8:9]
	s_cbranch_execnz .LBB19_2473
; %bb.425:
	s_or_saveexec_b64 s[6:7], s[6:7]
	v_mov_b32_e32 v2, s10
	s_xor_b64 exec, exec, s[6:7]
	s_cbranch_execnz .LBB19_2476
.LBB19_426:
	s_or_b64 exec, exec, s[6:7]
	s_and_saveexec_b64 s[6:7], s[4:5]
	s_cbranch_execz .LBB19_428
.LBB19_427:
	v_bfe_u32 v2, v7, 8, 3
	v_ffbh_u32_e32 v11, v2
	v_min_u32_e32 v11, 32, v11
	v_lshrrev_b16_e32 v10, 3, v6
	v_subrev_u32_e32 v12, 28, v11
	v_and_b32_e32 v10, 15, v10
	v_lshlrev_b32_e32 v6, v12, v6
	v_sub_u32_e32 v11, 29, v11
	v_and_b32_e32 v6, 7, v6
	v_cmp_eq_u16_e32 vcc, 0, v10
	v_cndmask_b32_e32 v2, v2, v6, vcc
	v_cndmask_b32_e32 v6, v10, v11, vcc
	v_lshlrev_b32_e32 v10, 16, v7
	v_mov_b32_e32 v11, 0x3b800000
	v_lshlrev_b32_e32 v2, 20, v2
	v_and_b32_e32 v10, 0x80000000, v10
	v_lshl_add_u32 v6, v6, 23, v11
	v_or3_b32 v2, v10, v6, v2
.LBB19_428:
	s_or_b64 exec, exec, s[6:7]
	v_lshrrev_b32_e32 v6, 8, v3
	s_movk_i32 s4, 0x7f
	v_cmp_gt_i16_sdwa s[6:7], v6, s4 src0_sel:BYTE_0 src1_sel:DWORD
	s_mov_b64 s[4:5], 0
                                        ; implicit-def: $sgpr10
	s_and_saveexec_b64 s[8:9], s[6:7]
	s_xor_b64 s[6:7], exec, s[8:9]
	s_cbranch_execnz .LBB19_2477
; %bb.429:
	s_or_saveexec_b64 s[6:7], s[6:7]
	v_mov_b32_e32 v10, s10
	s_xor_b64 exec, exec, s[6:7]
	s_cbranch_execnz .LBB19_2480
.LBB19_430:
	s_or_b64 exec, exec, s[6:7]
	s_and_saveexec_b64 s[6:7], s[4:5]
	s_cbranch_execz .LBB19_432
.LBB19_431:
	v_bfe_u32 v10, v3, 8, 3
	v_ffbh_u32_e32 v12, v10
	v_min_u32_e32 v12, 32, v12
	v_lshrrev_b16_e32 v11, 3, v6
	v_subrev_u32_e32 v13, 28, v12
	v_and_b32_e32 v11, 15, v11
	v_lshlrev_b32_e32 v6, v13, v6
	v_sub_u32_e32 v12, 29, v12
	v_and_b32_e32 v6, 7, v6
	v_cmp_eq_u16_e32 vcc, 0, v11
	v_cndmask_b32_e32 v6, v10, v6, vcc
	v_cndmask_b32_e32 v10, v11, v12, vcc
	v_lshlrev_b32_e32 v11, 16, v3
	v_mov_b32_e32 v12, 0x3b800000
	v_lshlrev_b32_e32 v6, 20, v6
	v_and_b32_e32 v11, 0x80000000, v11
	v_lshl_add_u32 v10, v10, 23, v12
	v_or3_b32 v10, v11, v10, v6
.LBB19_432:
	s_or_b64 exec, exec, s[6:7]
	s_nop 0
	v_mfma_f32_16x16x4f32 a[0:3], v2, v10, a[0:3]
	s_movk_i32 s4, 0xff
	v_and_b32_sdwa v6, v7, s4 dst_sel:DWORD dst_unused:UNUSED_PAD src0_sel:WORD_1 src1_sel:DWORD
	s_movk_i32 s4, 0x7f
	v_cmp_lt_i16_e32 vcc, s4, v6
	s_mov_b64 s[4:5], 0
                                        ; implicit-def: $sgpr10
	s_and_saveexec_b64 s[6:7], vcc
	s_xor_b64 s[6:7], exec, s[6:7]
	s_cbranch_execnz .LBB19_2481
; %bb.433:
	s_or_saveexec_b64 s[6:7], s[6:7]
	v_mov_b32_e32 v2, s10
	s_xor_b64 exec, exec, s[6:7]
	s_cbranch_execnz .LBB19_2484
.LBB19_434:
	s_or_b64 exec, exec, s[6:7]
	s_and_saveexec_b64 s[6:7], s[4:5]
	s_cbranch_execz .LBB19_436
.LBB19_435:
	v_bfe_u32 v2, v7, 16, 3
	v_ffbh_u32_e32 v11, v2
	v_min_u32_e32 v11, 32, v11
	v_lshrrev_b32_e32 v6, 19, v7
	v_subrev_u32_e32 v12, 28, v11
	v_and_b32_e32 v6, 15, v6
	v_lshlrev_b32_sdwa v12, v12, v7 dst_sel:DWORD dst_unused:UNUSED_PAD src0_sel:DWORD src1_sel:WORD_1
	v_bfe_u32 v10, v7, 19, 4
	v_sub_u32_e32 v11, 29, v11
	v_and_b32_e32 v12, 7, v12
	v_cmp_eq_u16_e32 vcc, 0, v6
	v_cndmask_b32_e32 v2, v2, v12, vcc
	v_cndmask_b32_e32 v6, v10, v11, vcc
	v_lshlrev_b32_e32 v10, 8, v7
	v_mov_b32_e32 v11, 0x3b800000
	v_lshlrev_b32_e32 v2, 20, v2
	v_and_b32_e32 v10, 0x80000000, v10
	v_lshl_add_u32 v6, v6, 23, v11
	v_or3_b32 v2, v10, v6, v2
.LBB19_436:
	s_or_b64 exec, exec, s[6:7]
	s_movk_i32 s4, 0xff
	v_and_b32_sdwa v6, v3, s4 dst_sel:DWORD dst_unused:UNUSED_PAD src0_sel:WORD_1 src1_sel:DWORD
	s_movk_i32 s4, 0x7f
	v_cmp_lt_i16_e32 vcc, s4, v6
	s_mov_b64 s[4:5], 0
                                        ; implicit-def: $sgpr10
	s_and_saveexec_b64 s[6:7], vcc
	s_xor_b64 s[6:7], exec, s[6:7]
	s_cbranch_execnz .LBB19_2485
; %bb.437:
	s_or_saveexec_b64 s[6:7], s[6:7]
	v_mov_b32_e32 v10, s10
	s_xor_b64 exec, exec, s[6:7]
	s_cbranch_execnz .LBB19_2488
.LBB19_438:
	s_or_b64 exec, exec, s[6:7]
	s_and_saveexec_b64 s[6:7], s[4:5]
	s_cbranch_execz .LBB19_440
.LBB19_439:
	v_bfe_u32 v6, v3, 16, 3
	v_ffbh_u32_e32 v12, v6
	v_min_u32_e32 v12, 32, v12
	v_lshrrev_b32_e32 v10, 19, v3
	v_subrev_u32_e32 v13, 28, v12
	v_and_b32_e32 v10, 15, v10
	v_lshlrev_b32_sdwa v13, v13, v3 dst_sel:DWORD dst_unused:UNUSED_PAD src0_sel:DWORD src1_sel:WORD_1
	v_bfe_u32 v11, v3, 19, 4
	v_sub_u32_e32 v12, 29, v12
	v_and_b32_e32 v13, 7, v13
	v_cmp_eq_u16_e32 vcc, 0, v10
	v_cndmask_b32_e32 v6, v6, v13, vcc
	v_cndmask_b32_e32 v10, v11, v12, vcc
	v_lshlrev_b32_e32 v11, 8, v3
	v_mov_b32_e32 v12, 0x3b800000
	v_lshlrev_b32_e32 v6, 20, v6
	v_and_b32_e32 v11, 0x80000000, v11
	v_lshl_add_u32 v10, v10, 23, v12
	v_or3_b32 v10, v11, v10, v6
.LBB19_440:
	s_or_b64 exec, exec, s[6:7]
	s_nop 0
	v_mfma_f32_16x16x4f32 a[0:3], v2, v10, a[0:3]
	s_movk_i32 s4, 0x7f
	v_cmp_gt_i16_sdwa s[6:7], v7, s4 src0_sel:BYTE_3 src1_sel:DWORD
	s_mov_b64 s[4:5], 0
                                        ; implicit-def: $sgpr10
	s_and_saveexec_b64 s[8:9], s[6:7]
	s_xor_b64 s[6:7], exec, s[8:9]
	s_cbranch_execnz .LBB19_2489
; %bb.441:
	s_or_saveexec_b64 s[6:7], s[6:7]
	v_mov_b32_e32 v2, s10
	s_xor_b64 exec, exec, s[6:7]
	s_cbranch_execnz .LBB19_2492
.LBB19_442:
	s_or_b64 exec, exec, s[6:7]
	s_and_saveexec_b64 s[6:7], s[4:5]
	s_cbranch_execz .LBB19_444
.LBB19_443:
	v_bfe_u32 v2, v7, 24, 3
	v_ffbh_u32_e32 v12, v2
	v_min_u32_e32 v12, 32, v12
	v_lshrrev_b32_e32 v10, 27, v7
	v_subrev_u32_e32 v13, 28, v12
	v_and_b32_e32 v6, 0x80000000, v7
	v_and_b32_e32 v10, 15, v10
	v_bfe_u32 v11, v7, 27, 4
	v_lshlrev_b32_sdwa v7, v13, v7 dst_sel:DWORD dst_unused:UNUSED_PAD src0_sel:DWORD src1_sel:BYTE_3
	v_sub_u32_e32 v12, 29, v12
	v_and_b32_e32 v7, 7, v7
	v_cmp_eq_u16_e32 vcc, 0, v10
	v_cndmask_b32_e32 v2, v2, v7, vcc
	v_cndmask_b32_e32 v7, v11, v12, vcc
	v_mov_b32_e32 v10, 0x3b800000
	v_lshlrev_b32_e32 v2, 20, v2
	v_lshl_add_u32 v7, v7, 23, v10
	v_or3_b32 v2, v6, v7, v2
.LBB19_444:
	s_or_b64 exec, exec, s[6:7]
	s_movk_i32 s4, 0x7f
	v_cmp_gt_i16_sdwa s[6:7], v3, s4 src0_sel:BYTE_3 src1_sel:DWORD
	s_mov_b64 s[4:5], 0
                                        ; implicit-def: $sgpr10
	s_and_saveexec_b64 s[8:9], s[6:7]
	s_xor_b64 s[6:7], exec, s[8:9]
	s_cbranch_execnz .LBB19_2493
; %bb.445:
	s_or_saveexec_b64 s[6:7], s[6:7]
	v_mov_b32_e32 v6, s10
	s_xor_b64 exec, exec, s[6:7]
	s_cbranch_execnz .LBB19_2496
.LBB19_446:
	s_or_b64 exec, exec, s[6:7]
	s_and_saveexec_b64 s[6:7], s[4:5]
	s_cbranch_execz .LBB19_448
.LBB19_447:
	v_bfe_u32 v6, v3, 24, 3
	v_ffbh_u32_e32 v12, v6
	v_min_u32_e32 v12, 32, v12
	v_lshrrev_b32_e32 v10, 27, v3
	v_subrev_u32_e32 v13, 28, v12
	v_and_b32_e32 v7, 0x80000000, v3
	v_and_b32_e32 v10, 15, v10
	v_bfe_u32 v11, v3, 27, 4
	v_lshlrev_b32_sdwa v3, v13, v3 dst_sel:DWORD dst_unused:UNUSED_PAD src0_sel:DWORD src1_sel:BYTE_3
	v_sub_u32_e32 v12, 29, v12
	v_and_b32_e32 v3, 7, v3
	v_cmp_eq_u16_e32 vcc, 0, v10
	v_cndmask_b32_e32 v3, v6, v3, vcc
	v_cndmask_b32_e32 v6, v11, v12, vcc
	v_mov_b32_e32 v10, 0x3b800000
	v_lshlrev_b32_e32 v3, 20, v3
	v_lshl_add_u32 v6, v6, 23, v10
	v_or3_b32 v6, v7, v6, v3
.LBB19_448:
	s_or_b64 exec, exec, s[6:7]
	s_nop 0
	v_mfma_f32_16x16x4f32 a[0:3], v2, v6, a[0:3]
	s_movk_i32 s4, 0x7f
	v_cmp_gt_i16_sdwa s[6:7], v8, s4 src0_sel:BYTE_0 src1_sel:DWORD
	s_mov_b64 s[4:5], 0
                                        ; implicit-def: $sgpr10
	s_and_saveexec_b64 s[8:9], s[6:7]
	s_xor_b64 s[6:7], exec, s[8:9]
	s_cbranch_execnz .LBB19_2497
; %bb.449:
	s_or_saveexec_b64 s[6:7], s[6:7]
	v_mov_b32_e32 v2, s10
	s_xor_b64 exec, exec, s[6:7]
	s_cbranch_execnz .LBB19_2500
.LBB19_450:
	s_or_b64 exec, exec, s[6:7]
	s_and_saveexec_b64 s[6:7], s[4:5]
	s_cbranch_execz .LBB19_452
.LBB19_451:
	v_and_b32_e32 v2, 7, v8
	v_ffbh_u32_e32 v6, v2
	v_min_u32_e32 v6, 32, v6
	v_lshrrev_b16_e32 v3, 3, v8
	v_subrev_u32_e32 v7, 28, v6
	v_and_b32_e32 v3, 15, v3
	v_lshlrev_b32_e32 v7, v7, v8
	v_sub_u32_e32 v6, 29, v6
	v_and_b32_e32 v7, 7, v7
	v_cmp_eq_u16_e32 vcc, 0, v3
	v_cndmask_b32_e32 v2, v2, v7, vcc
	v_cndmask_b32_e32 v3, v3, v6, vcc
	v_lshlrev_b32_e32 v6, 24, v8
	v_mov_b32_e32 v7, 0x3b800000
	v_lshlrev_b32_e32 v2, 20, v2
	v_and_b32_e32 v6, 0x80000000, v6
	v_lshl_add_u32 v3, v3, 23, v7
	v_or3_b32 v2, v6, v3, v2
.LBB19_452:
	s_or_b64 exec, exec, s[6:7]
	s_movk_i32 s4, 0x7f
	v_cmp_gt_i16_sdwa s[6:7], v4, s4 src0_sel:BYTE_0 src1_sel:DWORD
	s_mov_b64 s[4:5], 0
                                        ; implicit-def: $sgpr10
	s_and_saveexec_b64 s[8:9], s[6:7]
	s_xor_b64 s[6:7], exec, s[8:9]
	s_cbranch_execnz .LBB19_2501
; %bb.453:
	s_or_saveexec_b64 s[6:7], s[6:7]
	v_mov_b32_e32 v3, s10
	s_xor_b64 exec, exec, s[6:7]
	s_cbranch_execnz .LBB19_2504
.LBB19_454:
	s_or_b64 exec, exec, s[6:7]
	s_and_saveexec_b64 s[6:7], s[4:5]
	s_cbranch_execz .LBB19_456
.LBB19_455:
	v_and_b32_e32 v3, 7, v4
	v_ffbh_u32_e32 v7, v3
	v_min_u32_e32 v7, 32, v7
	v_lshrrev_b16_e32 v6, 3, v4
	v_subrev_u32_e32 v10, 28, v7
	v_and_b32_e32 v6, 15, v6
	v_lshlrev_b32_e32 v10, v10, v4
	v_sub_u32_e32 v7, 29, v7
	v_and_b32_e32 v10, 7, v10
	v_cmp_eq_u16_e32 vcc, 0, v6
	v_cndmask_b32_e32 v3, v3, v10, vcc
	v_cndmask_b32_e32 v6, v6, v7, vcc
	v_lshlrev_b32_e32 v7, 24, v4
	v_mov_b32_e32 v10, 0x3b800000
	v_lshlrev_b32_e32 v3, 20, v3
	v_and_b32_e32 v7, 0x80000000, v7
	v_lshl_add_u32 v6, v6, 23, v10
	v_or3_b32 v3, v7, v6, v3
.LBB19_456:
	s_or_b64 exec, exec, s[6:7]
	s_nop 0
	v_mfma_f32_16x16x4f32 a[0:3], v2, v3, a[0:3]
	v_lshrrev_b32_e32 v3, 8, v8
	s_movk_i32 s4, 0x7f
	v_cmp_gt_i16_sdwa s[6:7], v3, s4 src0_sel:BYTE_0 src1_sel:DWORD
	s_mov_b64 s[4:5], 0
                                        ; implicit-def: $sgpr10
	s_and_saveexec_b64 s[8:9], s[6:7]
	s_xor_b64 s[6:7], exec, s[8:9]
	s_cbranch_execnz .LBB19_2505
; %bb.457:
	s_or_saveexec_b64 s[6:7], s[6:7]
	v_mov_b32_e32 v2, s10
	s_xor_b64 exec, exec, s[6:7]
	s_cbranch_execnz .LBB19_2508
.LBB19_458:
	s_or_b64 exec, exec, s[6:7]
	s_and_saveexec_b64 s[6:7], s[4:5]
	s_cbranch_execz .LBB19_460
.LBB19_459:
	v_bfe_u32 v2, v8, 8, 3
	v_ffbh_u32_e32 v7, v2
	v_min_u32_e32 v7, 32, v7
	v_lshrrev_b16_e32 v6, 3, v3
	v_subrev_u32_e32 v10, 28, v7
	v_and_b32_e32 v6, 15, v6
	v_lshlrev_b32_e32 v3, v10, v3
	v_sub_u32_e32 v7, 29, v7
	v_and_b32_e32 v3, 7, v3
	v_cmp_eq_u16_e32 vcc, 0, v6
	v_cndmask_b32_e32 v2, v2, v3, vcc
	v_cndmask_b32_e32 v3, v6, v7, vcc
	v_lshlrev_b32_e32 v6, 16, v8
	v_mov_b32_e32 v7, 0x3b800000
	v_lshlrev_b32_e32 v2, 20, v2
	v_and_b32_e32 v6, 0x80000000, v6
	v_lshl_add_u32 v3, v3, 23, v7
	v_or3_b32 v2, v6, v3, v2
.LBB19_460:
	s_or_b64 exec, exec, s[6:7]
	v_lshrrev_b32_e32 v3, 8, v4
	s_movk_i32 s4, 0x7f
	v_cmp_gt_i16_sdwa s[6:7], v3, s4 src0_sel:BYTE_0 src1_sel:DWORD
	s_mov_b64 s[4:5], 0
                                        ; implicit-def: $sgpr10
	s_and_saveexec_b64 s[8:9], s[6:7]
	s_xor_b64 s[6:7], exec, s[8:9]
	s_cbranch_execnz .LBB19_2509
; %bb.461:
	s_or_saveexec_b64 s[6:7], s[6:7]
	v_mov_b32_e32 v6, s10
	s_xor_b64 exec, exec, s[6:7]
	s_cbranch_execnz .LBB19_2512
.LBB19_462:
	s_or_b64 exec, exec, s[6:7]
	s_and_saveexec_b64 s[6:7], s[4:5]
	s_cbranch_execz .LBB19_464
.LBB19_463:
	v_bfe_u32 v6, v4, 8, 3
	v_ffbh_u32_e32 v10, v6
	v_min_u32_e32 v10, 32, v10
	v_lshrrev_b16_e32 v7, 3, v3
	v_subrev_u32_e32 v11, 28, v10
	v_and_b32_e32 v7, 15, v7
	v_lshlrev_b32_e32 v3, v11, v3
	v_sub_u32_e32 v10, 29, v10
	v_and_b32_e32 v3, 7, v3
	v_cmp_eq_u16_e32 vcc, 0, v7
	v_cndmask_b32_e32 v3, v6, v3, vcc
	v_cndmask_b32_e32 v6, v7, v10, vcc
	v_lshlrev_b32_e32 v7, 16, v4
	v_mov_b32_e32 v10, 0x3b800000
	v_lshlrev_b32_e32 v3, 20, v3
	v_and_b32_e32 v7, 0x80000000, v7
	v_lshl_add_u32 v6, v6, 23, v10
	v_or3_b32 v6, v7, v6, v3
.LBB19_464:
	s_or_b64 exec, exec, s[6:7]
	s_nop 0
	v_mfma_f32_16x16x4f32 a[0:3], v2, v6, a[0:3]
	s_movk_i32 s4, 0xff
	v_and_b32_sdwa v3, v8, s4 dst_sel:DWORD dst_unused:UNUSED_PAD src0_sel:WORD_1 src1_sel:DWORD
	s_movk_i32 s4, 0x7f
	v_cmp_lt_i16_e32 vcc, s4, v3
	s_mov_b64 s[4:5], 0
                                        ; implicit-def: $sgpr10
	s_and_saveexec_b64 s[6:7], vcc
	s_xor_b64 s[6:7], exec, s[6:7]
	s_cbranch_execnz .LBB19_2513
; %bb.465:
	s_or_saveexec_b64 s[6:7], s[6:7]
	v_mov_b32_e32 v2, s10
	s_xor_b64 exec, exec, s[6:7]
	s_cbranch_execnz .LBB19_2516
.LBB19_466:
	s_or_b64 exec, exec, s[6:7]
	s_and_saveexec_b64 s[6:7], s[4:5]
	s_cbranch_execz .LBB19_468
.LBB19_467:
	v_bfe_u32 v2, v8, 16, 3
	v_ffbh_u32_e32 v7, v2
	v_min_u32_e32 v7, 32, v7
	v_lshrrev_b32_e32 v3, 19, v8
	v_subrev_u32_e32 v10, 28, v7
	v_and_b32_e32 v3, 15, v3
	v_lshlrev_b32_sdwa v10, v10, v8 dst_sel:DWORD dst_unused:UNUSED_PAD src0_sel:DWORD src1_sel:WORD_1
	v_bfe_u32 v6, v8, 19, 4
	v_sub_u32_e32 v7, 29, v7
	v_and_b32_e32 v10, 7, v10
	v_cmp_eq_u16_e32 vcc, 0, v3
	v_cndmask_b32_e32 v2, v2, v10, vcc
	v_cndmask_b32_e32 v3, v6, v7, vcc
	v_lshlrev_b32_e32 v6, 8, v8
	v_mov_b32_e32 v7, 0x3b800000
	v_lshlrev_b32_e32 v2, 20, v2
	v_and_b32_e32 v6, 0x80000000, v6
	v_lshl_add_u32 v3, v3, 23, v7
	v_or3_b32 v2, v6, v3, v2
.LBB19_468:
	s_or_b64 exec, exec, s[6:7]
	s_movk_i32 s4, 0xff
	v_and_b32_sdwa v3, v4, s4 dst_sel:DWORD dst_unused:UNUSED_PAD src0_sel:WORD_1 src1_sel:DWORD
	s_movk_i32 s4, 0x7f
	v_cmp_lt_i16_e32 vcc, s4, v3
	s_mov_b64 s[4:5], 0
                                        ; implicit-def: $sgpr10
	s_and_saveexec_b64 s[6:7], vcc
	s_xor_b64 s[6:7], exec, s[6:7]
	s_cbranch_execnz .LBB19_2517
; %bb.469:
	s_or_saveexec_b64 s[6:7], s[6:7]
	v_mov_b32_e32 v6, s10
	s_xor_b64 exec, exec, s[6:7]
	s_cbranch_execnz .LBB19_2520
.LBB19_470:
	s_or_b64 exec, exec, s[6:7]
	s_and_saveexec_b64 s[6:7], s[4:5]
	s_cbranch_execz .LBB19_472
.LBB19_471:
	v_bfe_u32 v3, v4, 16, 3
	v_ffbh_u32_e32 v10, v3
	v_min_u32_e32 v10, 32, v10
	v_lshrrev_b32_e32 v6, 19, v4
	v_subrev_u32_e32 v11, 28, v10
	v_and_b32_e32 v6, 15, v6
	v_lshlrev_b32_sdwa v11, v11, v4 dst_sel:DWORD dst_unused:UNUSED_PAD src0_sel:DWORD src1_sel:WORD_1
	v_bfe_u32 v7, v4, 19, 4
	v_sub_u32_e32 v10, 29, v10
	v_and_b32_e32 v11, 7, v11
	v_cmp_eq_u16_e32 vcc, 0, v6
	v_cndmask_b32_e32 v3, v3, v11, vcc
	v_cndmask_b32_e32 v6, v7, v10, vcc
	v_lshlrev_b32_e32 v7, 8, v4
	v_mov_b32_e32 v10, 0x3b800000
	v_lshlrev_b32_e32 v3, 20, v3
	v_and_b32_e32 v7, 0x80000000, v7
	v_lshl_add_u32 v6, v6, 23, v10
	v_or3_b32 v6, v7, v6, v3
.LBB19_472:
	s_or_b64 exec, exec, s[6:7]
	s_nop 0
	v_mfma_f32_16x16x4f32 a[0:3], v2, v6, a[0:3]
	s_movk_i32 s4, 0x7f
	v_cmp_gt_i16_sdwa s[6:7], v8, s4 src0_sel:BYTE_3 src1_sel:DWORD
	s_mov_b64 s[4:5], 0
                                        ; implicit-def: $sgpr10
	s_and_saveexec_b64 s[8:9], s[6:7]
	s_xor_b64 s[6:7], exec, s[8:9]
	s_cbranch_execnz .LBB19_2521
; %bb.473:
	s_or_saveexec_b64 s[6:7], s[6:7]
	v_mov_b32_e32 v2, s10
	s_xor_b64 exec, exec, s[6:7]
	s_cbranch_execnz .LBB19_2524
.LBB19_474:
	s_or_b64 exec, exec, s[6:7]
	s_and_saveexec_b64 s[6:7], s[4:5]
	s_cbranch_execz .LBB19_476
.LBB19_475:
	v_bfe_u32 v2, v8, 24, 3
	v_ffbh_u32_e32 v10, v2
	v_min_u32_e32 v10, 32, v10
	v_lshrrev_b32_e32 v6, 27, v8
	v_subrev_u32_e32 v11, 28, v10
	v_and_b32_e32 v3, 0x80000000, v8
	v_and_b32_e32 v6, 15, v6
	v_bfe_u32 v7, v8, 27, 4
	v_lshlrev_b32_sdwa v8, v11, v8 dst_sel:DWORD dst_unused:UNUSED_PAD src0_sel:DWORD src1_sel:BYTE_3
	v_sub_u32_e32 v10, 29, v10
	v_and_b32_e32 v8, 7, v8
	v_cmp_eq_u16_e32 vcc, 0, v6
	v_cndmask_b32_e32 v2, v2, v8, vcc
	v_cndmask_b32_e32 v6, v7, v10, vcc
	v_mov_b32_e32 v7, 0x3b800000
	v_lshlrev_b32_e32 v2, 20, v2
	v_lshl_add_u32 v6, v6, 23, v7
	v_or3_b32 v2, v3, v6, v2
.LBB19_476:
	s_or_b64 exec, exec, s[6:7]
	s_movk_i32 s4, 0x7f
	v_cmp_gt_i16_sdwa s[6:7], v4, s4 src0_sel:BYTE_3 src1_sel:DWORD
	s_mov_b64 s[4:5], 0
                                        ; implicit-def: $sgpr10
	s_and_saveexec_b64 s[8:9], s[6:7]
	s_xor_b64 s[6:7], exec, s[8:9]
	s_cbranch_execnz .LBB19_2525
; %bb.477:
	s_or_saveexec_b64 s[6:7], s[6:7]
	v_mov_b32_e32 v3, s10
	s_xor_b64 exec, exec, s[6:7]
	s_cbranch_execnz .LBB19_2528
.LBB19_478:
	s_or_b64 exec, exec, s[6:7]
	s_and_saveexec_b64 s[6:7], s[4:5]
	s_cbranch_execz .LBB19_480
.LBB19_479:
	v_bfe_u32 v3, v4, 24, 3
	v_ffbh_u32_e32 v10, v3
	v_min_u32_e32 v10, 32, v10
	v_lshrrev_b32_e32 v7, 27, v4
	v_subrev_u32_e32 v11, 28, v10
	v_and_b32_e32 v6, 0x80000000, v4
	v_and_b32_e32 v7, 15, v7
	v_bfe_u32 v8, v4, 27, 4
	v_lshlrev_b32_sdwa v4, v11, v4 dst_sel:DWORD dst_unused:UNUSED_PAD src0_sel:DWORD src1_sel:BYTE_3
	v_sub_u32_e32 v10, 29, v10
	v_and_b32_e32 v4, 7, v4
	v_cmp_eq_u16_e32 vcc, 0, v7
	v_cndmask_b32_e32 v3, v3, v4, vcc
	v_cndmask_b32_e32 v4, v8, v10, vcc
	v_mov_b32_e32 v7, 0x3b800000
	v_lshlrev_b32_e32 v3, 20, v3
	v_lshl_add_u32 v4, v4, 23, v7
	v_or3_b32 v3, v6, v4, v3
.LBB19_480:
	s_or_b64 exec, exec, s[6:7]
	s_nop 0
	v_mfma_f32_16x16x4f32 a[0:3], v2, v3, a[0:3]
	s_movk_i32 s4, 0x7f
	v_cmp_gt_i16_sdwa s[6:7], v9, s4 src0_sel:BYTE_0 src1_sel:DWORD
	s_mov_b64 s[4:5], 0
                                        ; implicit-def: $sgpr10
	s_and_saveexec_b64 s[8:9], s[6:7]
	s_xor_b64 s[6:7], exec, s[8:9]
	s_cbranch_execnz .LBB19_2529
; %bb.481:
	s_or_saveexec_b64 s[6:7], s[6:7]
	v_mov_b32_e32 v2, s10
	s_xor_b64 exec, exec, s[6:7]
	s_cbranch_execnz .LBB19_2532
.LBB19_482:
	s_or_b64 exec, exec, s[6:7]
	s_and_saveexec_b64 s[6:7], s[4:5]
	s_cbranch_execz .LBB19_484
.LBB19_483:
	v_mov_b32_e32 v2, 8
	v_and_b32_e32 v3, 7, v9
	v_lshrrev_b32_sdwa v2, v2, v9 dst_sel:BYTE_1 dst_unused:UNUSED_PAD src0_sel:DWORD src1_sel:DWORD
	v_ffbh_u32_e32 v4, v3
	v_or_b32_sdwa v2, v9, v2 dst_sel:DWORD dst_unused:UNUSED_PAD src0_sel:BYTE_0 src1_sel:DWORD
	v_min_u32_e32 v4, 32, v4
	v_lshrrev_b16_e32 v2, 3, v2
	v_subrev_u32_e32 v6, 28, v4
	v_and_b32_e32 v2, 15, v2
	v_lshlrev_b32_e32 v6, v6, v9
	v_sub_u32_e32 v4, 29, v4
	v_and_b32_e32 v6, 7, v6
	v_cmp_eq_u16_e32 vcc, 0, v2
	v_cndmask_b32_e32 v3, v3, v6, vcc
	v_cndmask_b32_e32 v2, v2, v4, vcc
	v_lshlrev_b32_e32 v4, 24, v9
	v_mov_b32_e32 v6, 0x3b800000
	v_lshlrev_b32_e32 v3, 20, v3
	v_and_b32_e32 v4, 0x80000000, v4
	v_lshl_add_u32 v2, v2, 23, v6
	v_or3_b32 v2, v4, v2, v3
.LBB19_484:
	s_or_b64 exec, exec, s[6:7]
	s_movk_i32 s4, 0x7f
	v_cmp_gt_i16_sdwa s[6:7], v5, s4 src0_sel:BYTE_0 src1_sel:DWORD
	s_mov_b64 s[4:5], 0
                                        ; implicit-def: $sgpr10
	s_and_saveexec_b64 s[8:9], s[6:7]
	s_xor_b64 s[6:7], exec, s[8:9]
	s_cbranch_execnz .LBB19_2533
; %bb.485:
	s_or_saveexec_b64 s[6:7], s[6:7]
	v_mov_b32_e32 v3, s10
	s_xor_b64 exec, exec, s[6:7]
	s_cbranch_execnz .LBB19_2536
.LBB19_486:
	s_or_b64 exec, exec, s[6:7]
	s_and_saveexec_b64 s[6:7], s[4:5]
	s_cbranch_execz .LBB19_488
.LBB19_487:
	v_mov_b32_e32 v3, 8
	v_and_b32_e32 v4, 7, v5
	v_lshrrev_b32_sdwa v3, v3, v5 dst_sel:BYTE_1 dst_unused:UNUSED_PAD src0_sel:DWORD src1_sel:DWORD
	v_ffbh_u32_e32 v6, v4
	v_or_b32_sdwa v3, v5, v3 dst_sel:DWORD dst_unused:UNUSED_PAD src0_sel:BYTE_0 src1_sel:DWORD
	v_min_u32_e32 v6, 32, v6
	v_lshrrev_b16_e32 v3, 3, v3
	v_subrev_u32_e32 v7, 28, v6
	v_and_b32_e32 v3, 15, v3
	v_lshlrev_b32_e32 v7, v7, v5
	v_sub_u32_e32 v6, 29, v6
	v_and_b32_e32 v7, 7, v7
	v_cmp_eq_u16_e32 vcc, 0, v3
	v_cndmask_b32_e32 v4, v4, v7, vcc
	v_cndmask_b32_e32 v3, v3, v6, vcc
	v_lshlrev_b32_e32 v6, 24, v5
	v_mov_b32_e32 v7, 0x3b800000
	v_lshlrev_b32_e32 v4, 20, v4
	v_and_b32_e32 v6, 0x80000000, v6
	v_lshl_add_u32 v3, v3, 23, v7
	v_or3_b32 v3, v6, v3, v4
.LBB19_488:
	s_or_b64 exec, exec, s[6:7]
	s_nop 0
	v_mfma_f32_16x16x4f32 a[0:3], v2, v3, a[0:3]
	v_lshrrev_b32_e32 v3, 8, v9
	s_movk_i32 s4, 0x7f
	v_cmp_gt_i16_sdwa s[6:7], v3, s4 src0_sel:BYTE_0 src1_sel:DWORD
	s_mov_b64 s[4:5], 0
                                        ; implicit-def: $sgpr10
	s_and_saveexec_b64 s[8:9], s[6:7]
	s_xor_b64 s[6:7], exec, s[8:9]
	s_cbranch_execnz .LBB19_2537
; %bb.489:
	s_or_saveexec_b64 s[6:7], s[6:7]
	v_mov_b32_e32 v2, s10
	s_xor_b64 exec, exec, s[6:7]
	s_cbranch_execnz .LBB19_2540
.LBB19_490:
	s_or_b64 exec, exec, s[6:7]
	s_and_saveexec_b64 s[6:7], s[4:5]
	s_cbranch_execz .LBB19_492
.LBB19_491:
	v_bfe_u32 v2, v9, 8, 3
	v_ffbh_u32_e32 v6, v2
	v_min_u32_e32 v6, 32, v6
	v_lshrrev_b16_e32 v4, 3, v3
	v_subrev_u32_e32 v7, 28, v6
	v_and_b32_e32 v4, 15, v4
	v_lshlrev_b32_e32 v3, v7, v3
	v_sub_u32_e32 v6, 29, v6
	v_and_b32_e32 v3, 7, v3
	v_cmp_eq_u16_e32 vcc, 0, v4
	v_cndmask_b32_e32 v2, v2, v3, vcc
	v_cndmask_b32_e32 v3, v4, v6, vcc
	v_lshlrev_b32_e32 v4, 16, v9
	v_mov_b32_e32 v6, 0x3b800000
	v_lshlrev_b32_e32 v2, 20, v2
	v_and_b32_e32 v4, 0x80000000, v4
	v_lshl_add_u32 v3, v3, 23, v6
	v_or3_b32 v2, v4, v3, v2
.LBB19_492:
	s_or_b64 exec, exec, s[6:7]
	v_lshrrev_b32_e32 v3, 8, v5
	s_movk_i32 s4, 0x7f
	v_cmp_gt_i16_sdwa s[6:7], v3, s4 src0_sel:BYTE_0 src1_sel:DWORD
	s_mov_b64 s[4:5], 0
                                        ; implicit-def: $sgpr10
	s_and_saveexec_b64 s[8:9], s[6:7]
	s_xor_b64 s[6:7], exec, s[8:9]
	s_cbranch_execnz .LBB19_2541
; %bb.493:
	s_or_saveexec_b64 s[6:7], s[6:7]
	v_mov_b32_e32 v4, s10
	s_xor_b64 exec, exec, s[6:7]
	s_cbranch_execnz .LBB19_2544
.LBB19_494:
	s_or_b64 exec, exec, s[6:7]
	s_and_saveexec_b64 s[6:7], s[4:5]
	s_cbranch_execz .LBB19_496
.LBB19_495:
	v_bfe_u32 v4, v5, 8, 3
	v_ffbh_u32_e32 v7, v4
	v_min_u32_e32 v7, 32, v7
	v_lshrrev_b16_e32 v6, 3, v3
	v_subrev_u32_e32 v8, 28, v7
	v_and_b32_e32 v6, 15, v6
	v_lshlrev_b32_e32 v3, v8, v3
	v_sub_u32_e32 v7, 29, v7
	v_and_b32_e32 v3, 7, v3
	v_cmp_eq_u16_e32 vcc, 0, v6
	v_cndmask_b32_e32 v3, v4, v3, vcc
	v_cndmask_b32_e32 v4, v6, v7, vcc
	v_lshlrev_b32_e32 v6, 16, v5
	v_mov_b32_e32 v7, 0x3b800000
	v_lshlrev_b32_e32 v3, 20, v3
	v_and_b32_e32 v6, 0x80000000, v6
	v_lshl_add_u32 v4, v4, 23, v7
	v_or3_b32 v4, v6, v4, v3
.LBB19_496:
	s_or_b64 exec, exec, s[6:7]
	s_nop 0
	v_mfma_f32_16x16x4f32 a[0:3], v2, v4, a[0:3]
	s_movk_i32 s4, 0xff
	v_and_b32_sdwa v3, v9, s4 dst_sel:DWORD dst_unused:UNUSED_PAD src0_sel:WORD_1 src1_sel:DWORD
	s_movk_i32 s4, 0x7f
	v_cmp_lt_i16_e32 vcc, s4, v3
	s_mov_b64 s[4:5], 0
                                        ; implicit-def: $sgpr10
	s_and_saveexec_b64 s[6:7], vcc
	s_xor_b64 s[6:7], exec, s[6:7]
	s_cbranch_execnz .LBB19_2545
; %bb.497:
	s_or_saveexec_b64 s[6:7], s[6:7]
	v_mov_b32_e32 v2, s10
	s_xor_b64 exec, exec, s[6:7]
	s_cbranch_execnz .LBB19_2548
.LBB19_498:
	s_or_b64 exec, exec, s[6:7]
	s_and_saveexec_b64 s[6:7], s[4:5]
	s_cbranch_execz .LBB19_500
.LBB19_499:
	v_bfe_u32 v2, v9, 16, 3
	v_ffbh_u32_e32 v6, v2
	v_min_u32_e32 v6, 32, v6
	v_lshrrev_b32_e32 v3, 19, v9
	v_subrev_u32_e32 v7, 28, v6
	v_and_b32_e32 v3, 15, v3
	v_lshlrev_b32_sdwa v7, v7, v9 dst_sel:DWORD dst_unused:UNUSED_PAD src0_sel:DWORD src1_sel:WORD_1
	v_bfe_u32 v4, v9, 19, 4
	v_sub_u32_e32 v6, 29, v6
	v_and_b32_e32 v7, 7, v7
	v_cmp_eq_u16_e32 vcc, 0, v3
	v_cndmask_b32_e32 v2, v2, v7, vcc
	v_cndmask_b32_e32 v3, v4, v6, vcc
	v_lshlrev_b32_e32 v4, 8, v9
	v_mov_b32_e32 v6, 0x3b800000
	v_lshlrev_b32_e32 v2, 20, v2
	v_and_b32_e32 v4, 0x80000000, v4
	v_lshl_add_u32 v3, v3, 23, v6
	v_or3_b32 v2, v4, v3, v2
.LBB19_500:
	s_or_b64 exec, exec, s[6:7]
	s_movk_i32 s4, 0xff
	v_and_b32_sdwa v3, v5, s4 dst_sel:DWORD dst_unused:UNUSED_PAD src0_sel:WORD_1 src1_sel:DWORD
	s_movk_i32 s4, 0x7f
	v_cmp_lt_i16_e32 vcc, s4, v3
	s_mov_b64 s[4:5], 0
                                        ; implicit-def: $sgpr10
	s_and_saveexec_b64 s[6:7], vcc
	s_xor_b64 s[6:7], exec, s[6:7]
	s_cbranch_execnz .LBB19_2549
; %bb.501:
	s_or_saveexec_b64 s[6:7], s[6:7]
	v_mov_b32_e32 v4, s10
	s_xor_b64 exec, exec, s[6:7]
	s_cbranch_execnz .LBB19_2552
.LBB19_502:
	s_or_b64 exec, exec, s[6:7]
	s_and_saveexec_b64 s[6:7], s[4:5]
	s_cbranch_execz .LBB19_504
.LBB19_503:
	v_bfe_u32 v3, v5, 16, 3
	v_ffbh_u32_e32 v7, v3
	v_min_u32_e32 v7, 32, v7
	v_lshrrev_b32_e32 v4, 19, v5
	v_subrev_u32_e32 v8, 28, v7
	v_and_b32_e32 v4, 15, v4
	v_lshlrev_b32_sdwa v8, v8, v5 dst_sel:DWORD dst_unused:UNUSED_PAD src0_sel:DWORD src1_sel:WORD_1
	v_bfe_u32 v6, v5, 19, 4
	v_sub_u32_e32 v7, 29, v7
	v_and_b32_e32 v8, 7, v8
	v_cmp_eq_u16_e32 vcc, 0, v4
	v_cndmask_b32_e32 v3, v3, v8, vcc
	v_cndmask_b32_e32 v4, v6, v7, vcc
	v_lshlrev_b32_e32 v6, 8, v5
	v_mov_b32_e32 v7, 0x3b800000
	v_lshlrev_b32_e32 v3, 20, v3
	v_and_b32_e32 v6, 0x80000000, v6
	v_lshl_add_u32 v4, v4, 23, v7
	v_or3_b32 v4, v6, v4, v3
.LBB19_504:
	s_or_b64 exec, exec, s[6:7]
	s_nop 0
	v_mfma_f32_16x16x4f32 a[0:3], v2, v4, a[0:3]
	s_movk_i32 s4, 0x7f
	v_cmp_gt_i16_sdwa s[6:7], v9, s4 src0_sel:BYTE_3 src1_sel:DWORD
	s_mov_b64 s[4:5], 0
                                        ; implicit-def: $sgpr10
	s_and_saveexec_b64 s[8:9], s[6:7]
	s_xor_b64 s[6:7], exec, s[8:9]
	s_cbranch_execnz .LBB19_2553
; %bb.505:
	s_or_saveexec_b64 s[6:7], s[6:7]
	v_mov_b32_e32 v2, s10
	s_xor_b64 exec, exec, s[6:7]
	s_cbranch_execnz .LBB19_2556
.LBB19_506:
	s_or_b64 exec, exec, s[6:7]
	s_and_saveexec_b64 s[6:7], s[4:5]
	s_cbranch_execz .LBB19_508
.LBB19_507:
	v_bfe_u32 v2, v9, 24, 3
	v_ffbh_u32_e32 v7, v2
	v_min_u32_e32 v7, 32, v7
	v_lshrrev_b32_e32 v4, 27, v9
	v_subrev_u32_e32 v8, 28, v7
	v_and_b32_e32 v4, 15, v4
	v_lshlrev_b32_sdwa v8, v8, v9 dst_sel:DWORD dst_unused:UNUSED_PAD src0_sel:DWORD src1_sel:BYTE_3
	v_bfe_u32 v6, v9, 27, 4
	v_sub_u32_e32 v7, 29, v7
	v_and_b32_e32 v8, 7, v8
	v_cmp_eq_u16_e32 vcc, 0, v4
	v_cndmask_b32_e32 v2, v2, v8, vcc
	v_cndmask_b32_e32 v4, v6, v7, vcc
	v_mov_b32_e32 v6, 0x3b800000
	v_and_b32_e32 v3, 0x80000000, v9
	v_lshlrev_b32_e32 v2, 20, v2
	v_lshl_add_u32 v4, v4, 23, v6
	v_or3_b32 v2, v3, v4, v2
.LBB19_508:
	s_or_b64 exec, exec, s[6:7]
	s_movk_i32 s4, 0x7f
	v_cmp_gt_i16_sdwa s[6:7], v5, s4 src0_sel:BYTE_3 src1_sel:DWORD
	s_mov_b64 s[4:5], 0
                                        ; implicit-def: $sgpr10
	s_and_saveexec_b64 s[8:9], s[6:7]
	s_xor_b64 s[6:7], exec, s[8:9]
	s_cbranch_execnz .LBB19_2557
; %bb.509:
	s_or_saveexec_b64 s[6:7], s[6:7]
	v_mov_b32_e32 v3, s10
	s_xor_b64 exec, exec, s[6:7]
	s_cbranch_execnz .LBB19_2560
.LBB19_510:
	s_or_b64 exec, exec, s[6:7]
	s_and_saveexec_b64 s[6:7], s[4:5]
	s_cbranch_execz .LBB19_512
.LBB19_511:
	v_bfe_u32 v3, v5, 24, 3
	v_ffbh_u32_e32 v8, v3
	v_min_u32_e32 v8, 32, v8
	v_lshrrev_b32_e32 v6, 27, v5
	v_subrev_u32_e32 v9, 28, v8
	v_and_b32_e32 v4, 0x80000000, v5
	v_and_b32_e32 v6, 15, v6
	v_bfe_u32 v7, v5, 27, 4
	v_lshlrev_b32_sdwa v5, v9, v5 dst_sel:DWORD dst_unused:UNUSED_PAD src0_sel:DWORD src1_sel:BYTE_3
	v_sub_u32_e32 v8, 29, v8
	v_and_b32_e32 v5, 7, v5
	v_cmp_eq_u16_e32 vcc, 0, v6
	v_cndmask_b32_e32 v3, v3, v5, vcc
	v_cndmask_b32_e32 v5, v7, v8, vcc
	v_mov_b32_e32 v6, 0x3b800000
	v_lshlrev_b32_e32 v3, 20, v3
	v_lshl_add_u32 v5, v5, 23, v6
	v_or3_b32 v3, v4, v5, v3
.LBB19_512:
	s_or_b64 exec, exec, s[6:7]
	s_nop 0
	v_mfma_f32_16x16x4f32 a[0:3], v2, v3, a[0:3]
	s_movk_i32 s4, 0x7f
                                        ; implicit-def: $sgpr10
	s_nop 7
	s_nop 1
	flat_store_dwordx4 v[18:19], a[0:3] offset:144
	flat_load_dwordx4 v[20:23], v[0:1] offset:8
	s_nop 0
	flat_load_dwordx2 v[18:19], v[0:1] offset:24
	s_waitcnt vmcnt(0) lgkmcnt(0)
	flat_load_dwordx4 v[14:17], v[20:21] offset:32
	flat_load_dwordx4 v[6:9], v[20:21] offset:48
	;; [unrolled: 1-line block ×4, first 2 shown]
	s_waitcnt vmcnt(0) lgkmcnt(0)
	v_cmp_gt_i16_sdwa s[6:7], v14, s4 src0_sel:BYTE_0 src1_sel:DWORD
	s_mov_b64 s[4:5], 0
	s_and_saveexec_b64 s[8:9], s[6:7]
	s_xor_b64 s[6:7], exec, s[8:9]
	s_cbranch_execnz .LBB19_2561
; %bb.513:
	s_or_saveexec_b64 s[6:7], s[6:7]
	v_mov_b32_e32 v20, s10
	s_xor_b64 exec, exec, s[6:7]
	s_cbranch_execnz .LBB19_2564
.LBB19_514:
	s_or_b64 exec, exec, s[6:7]
	s_and_saveexec_b64 s[6:7], s[4:5]
	s_cbranch_execz .LBB19_516
.LBB19_515:
	v_and_b32_e32 v20, 7, v14
	v_ffbh_u32_e32 v22, v20
	v_min_u32_e32 v22, 32, v22
	v_lshrrev_b16_e32 v21, 3, v14
	v_subrev_u32_e32 v23, 28, v22
	v_and_b32_e32 v21, 15, v21
	v_lshlrev_b32_e32 v23, v23, v14
	v_sub_u32_e32 v22, 29, v22
	v_and_b32_e32 v23, 7, v23
	v_cmp_eq_u16_e32 vcc, 0, v21
	v_cndmask_b32_e32 v20, v20, v23, vcc
	v_cndmask_b32_e32 v21, v21, v22, vcc
	v_lshlrev_b32_e32 v22, 24, v14
	v_mov_b32_e32 v23, 0x3b800000
	v_lshlrev_b32_e32 v20, 20, v20
	v_and_b32_e32 v22, 0x80000000, v22
	v_lshl_add_u32 v21, v21, 23, v23
	v_or3_b32 v20, v22, v21, v20
.LBB19_516:
	s_or_b64 exec, exec, s[6:7]
	s_movk_i32 s4, 0x7f
	v_cmp_gt_i16_sdwa s[6:7], v10, s4 src0_sel:BYTE_0 src1_sel:DWORD
	s_mov_b64 s[4:5], 0
                                        ; implicit-def: $sgpr10
	s_and_saveexec_b64 s[8:9], s[6:7]
	s_xor_b64 s[6:7], exec, s[8:9]
	s_cbranch_execnz .LBB19_2565
; %bb.517:
	s_or_saveexec_b64 s[6:7], s[6:7]
	v_mov_b32_e32 v21, s10
	s_xor_b64 exec, exec, s[6:7]
	s_cbranch_execnz .LBB19_2568
.LBB19_518:
	s_or_b64 exec, exec, s[6:7]
	s_and_saveexec_b64 s[6:7], s[4:5]
	s_cbranch_execz .LBB19_520
.LBB19_519:
	v_and_b32_e32 v21, 7, v10
	v_ffbh_u32_e32 v23, v21
	v_min_u32_e32 v23, 32, v23
	v_lshrrev_b16_e32 v22, 3, v10
	v_subrev_u32_e32 v24, 28, v23
	v_and_b32_e32 v22, 15, v22
	v_lshlrev_b32_e32 v24, v24, v10
	v_sub_u32_e32 v23, 29, v23
	v_and_b32_e32 v24, 7, v24
	v_cmp_eq_u16_e32 vcc, 0, v22
	v_cndmask_b32_e32 v21, v21, v24, vcc
	v_cndmask_b32_e32 v22, v22, v23, vcc
	v_lshlrev_b32_e32 v23, 24, v10
	v_mov_b32_e32 v24, 0x3b800000
	v_lshlrev_b32_e32 v21, 20, v21
	v_and_b32_e32 v23, 0x80000000, v23
	v_lshl_add_u32 v22, v22, 23, v24
	v_or3_b32 v21, v23, v22, v21
.LBB19_520:
	s_or_b64 exec, exec, s[6:7]
	flat_load_dwordx4 a[0:3], v[18:19] offset:160
	s_movk_i32 s4, 0x7f
                                        ; implicit-def: $sgpr10
	s_waitcnt vmcnt(0) lgkmcnt(0)
	v_mfma_f32_16x16x4f32 a[0:3], v20, v21, a[0:3]
	v_lshrrev_b32_e32 v21, 8, v14
	v_cmp_gt_i16_sdwa s[6:7], v21, s4 src0_sel:BYTE_0 src1_sel:DWORD
	s_mov_b64 s[4:5], 0
	s_and_saveexec_b64 s[8:9], s[6:7]
	s_xor_b64 s[6:7], exec, s[8:9]
	s_cbranch_execnz .LBB19_2569
; %bb.521:
	s_or_saveexec_b64 s[6:7], s[6:7]
	v_mov_b32_e32 v20, s10
	s_xor_b64 exec, exec, s[6:7]
	s_cbranch_execnz .LBB19_2572
.LBB19_522:
	s_or_b64 exec, exec, s[6:7]
	s_and_saveexec_b64 s[6:7], s[4:5]
	s_cbranch_execz .LBB19_524
.LBB19_523:
	v_bfe_u32 v20, v14, 8, 3
	v_ffbh_u32_e32 v23, v20
	v_min_u32_e32 v23, 32, v23
	v_lshrrev_b16_e32 v22, 3, v21
	v_subrev_u32_e32 v24, 28, v23
	v_and_b32_e32 v22, 15, v22
	v_lshlrev_b32_e32 v21, v24, v21
	v_sub_u32_e32 v23, 29, v23
	v_and_b32_e32 v21, 7, v21
	v_cmp_eq_u16_e32 vcc, 0, v22
	v_cndmask_b32_e32 v20, v20, v21, vcc
	v_cndmask_b32_e32 v21, v22, v23, vcc
	v_lshlrev_b32_e32 v22, 16, v14
	v_mov_b32_e32 v23, 0x3b800000
	v_lshlrev_b32_e32 v20, 20, v20
	v_and_b32_e32 v22, 0x80000000, v22
	v_lshl_add_u32 v21, v21, 23, v23
	v_or3_b32 v20, v22, v21, v20
.LBB19_524:
	s_or_b64 exec, exec, s[6:7]
	v_lshrrev_b32_e32 v21, 8, v10
	s_movk_i32 s4, 0x7f
	v_cmp_gt_i16_sdwa s[6:7], v21, s4 src0_sel:BYTE_0 src1_sel:DWORD
	s_mov_b64 s[4:5], 0
                                        ; implicit-def: $sgpr10
	s_and_saveexec_b64 s[8:9], s[6:7]
	s_xor_b64 s[6:7], exec, s[8:9]
	s_cbranch_execnz .LBB19_2573
; %bb.525:
	s_or_saveexec_b64 s[6:7], s[6:7]
	v_mov_b32_e32 v22, s10
	s_xor_b64 exec, exec, s[6:7]
	s_cbranch_execnz .LBB19_2576
.LBB19_526:
	s_or_b64 exec, exec, s[6:7]
	s_and_saveexec_b64 s[6:7], s[4:5]
	s_cbranch_execz .LBB19_528
.LBB19_527:
	v_bfe_u32 v22, v10, 8, 3
	v_ffbh_u32_e32 v24, v22
	v_min_u32_e32 v24, 32, v24
	v_lshrrev_b16_e32 v23, 3, v21
	v_subrev_u32_e32 v25, 28, v24
	v_and_b32_e32 v23, 15, v23
	v_lshlrev_b32_e32 v21, v25, v21
	v_sub_u32_e32 v24, 29, v24
	v_and_b32_e32 v21, 7, v21
	v_cmp_eq_u16_e32 vcc, 0, v23
	v_cndmask_b32_e32 v21, v22, v21, vcc
	v_cndmask_b32_e32 v22, v23, v24, vcc
	v_lshlrev_b32_e32 v23, 16, v10
	v_mov_b32_e32 v24, 0x3b800000
	v_lshlrev_b32_e32 v21, 20, v21
	v_and_b32_e32 v23, 0x80000000, v23
	v_lshl_add_u32 v22, v22, 23, v24
	v_or3_b32 v22, v23, v22, v21
.LBB19_528:
	s_or_b64 exec, exec, s[6:7]
	s_nop 0
	v_mfma_f32_16x16x4f32 a[0:3], v20, v22, a[0:3]
	s_movk_i32 s4, 0xff
	v_and_b32_sdwa v21, v14, s4 dst_sel:DWORD dst_unused:UNUSED_PAD src0_sel:WORD_1 src1_sel:DWORD
	s_movk_i32 s4, 0x7f
	v_cmp_lt_i16_e32 vcc, s4, v21
	s_mov_b64 s[4:5], 0
                                        ; implicit-def: $sgpr10
	s_and_saveexec_b64 s[6:7], vcc
	s_xor_b64 s[6:7], exec, s[6:7]
	s_cbranch_execnz .LBB19_2577
; %bb.529:
	s_or_saveexec_b64 s[6:7], s[6:7]
	v_mov_b32_e32 v20, s10
	s_xor_b64 exec, exec, s[6:7]
	s_cbranch_execnz .LBB19_2580
.LBB19_530:
	s_or_b64 exec, exec, s[6:7]
	s_and_saveexec_b64 s[6:7], s[4:5]
	s_cbranch_execz .LBB19_532
.LBB19_531:
	v_bfe_u32 v20, v14, 16, 3
	v_ffbh_u32_e32 v23, v20
	v_min_u32_e32 v23, 32, v23
	v_lshrrev_b32_e32 v21, 19, v14
	v_subrev_u32_e32 v24, 28, v23
	v_and_b32_e32 v21, 15, v21
	v_lshlrev_b32_sdwa v24, v24, v14 dst_sel:DWORD dst_unused:UNUSED_PAD src0_sel:DWORD src1_sel:WORD_1
	v_bfe_u32 v22, v14, 19, 4
	v_sub_u32_e32 v23, 29, v23
	v_and_b32_e32 v24, 7, v24
	v_cmp_eq_u16_e32 vcc, 0, v21
	v_cndmask_b32_e32 v20, v20, v24, vcc
	v_cndmask_b32_e32 v21, v22, v23, vcc
	v_lshlrev_b32_e32 v22, 8, v14
	v_mov_b32_e32 v23, 0x3b800000
	v_lshlrev_b32_e32 v20, 20, v20
	v_and_b32_e32 v22, 0x80000000, v22
	v_lshl_add_u32 v21, v21, 23, v23
	v_or3_b32 v20, v22, v21, v20
.LBB19_532:
	s_or_b64 exec, exec, s[6:7]
	s_movk_i32 s4, 0xff
	v_and_b32_sdwa v21, v10, s4 dst_sel:DWORD dst_unused:UNUSED_PAD src0_sel:WORD_1 src1_sel:DWORD
	s_movk_i32 s4, 0x7f
	v_cmp_lt_i16_e32 vcc, s4, v21
	s_mov_b64 s[4:5], 0
                                        ; implicit-def: $sgpr10
	s_and_saveexec_b64 s[6:7], vcc
	s_xor_b64 s[6:7], exec, s[6:7]
	s_cbranch_execnz .LBB19_2581
; %bb.533:
	s_or_saveexec_b64 s[6:7], s[6:7]
	v_mov_b32_e32 v22, s10
	s_xor_b64 exec, exec, s[6:7]
	s_cbranch_execnz .LBB19_2584
.LBB19_534:
	s_or_b64 exec, exec, s[6:7]
	s_and_saveexec_b64 s[6:7], s[4:5]
	s_cbranch_execz .LBB19_536
.LBB19_535:
	v_bfe_u32 v21, v10, 16, 3
	v_ffbh_u32_e32 v24, v21
	v_min_u32_e32 v24, 32, v24
	v_lshrrev_b32_e32 v22, 19, v10
	v_subrev_u32_e32 v25, 28, v24
	v_and_b32_e32 v22, 15, v22
	v_lshlrev_b32_sdwa v25, v25, v10 dst_sel:DWORD dst_unused:UNUSED_PAD src0_sel:DWORD src1_sel:WORD_1
	v_bfe_u32 v23, v10, 19, 4
	v_sub_u32_e32 v24, 29, v24
	v_and_b32_e32 v25, 7, v25
	v_cmp_eq_u16_e32 vcc, 0, v22
	v_cndmask_b32_e32 v21, v21, v25, vcc
	v_cndmask_b32_e32 v22, v23, v24, vcc
	v_lshlrev_b32_e32 v23, 8, v10
	v_mov_b32_e32 v24, 0x3b800000
	v_lshlrev_b32_e32 v21, 20, v21
	v_and_b32_e32 v23, 0x80000000, v23
	v_lshl_add_u32 v22, v22, 23, v24
	v_or3_b32 v22, v23, v22, v21
.LBB19_536:
	s_or_b64 exec, exec, s[6:7]
	s_nop 0
	v_mfma_f32_16x16x4f32 a[0:3], v20, v22, a[0:3]
	s_movk_i32 s4, 0x7f
	v_cmp_gt_i16_sdwa s[6:7], v14, s4 src0_sel:BYTE_3 src1_sel:DWORD
	s_mov_b64 s[4:5], 0
                                        ; implicit-def: $sgpr10
	s_and_saveexec_b64 s[8:9], s[6:7]
	s_xor_b64 s[6:7], exec, s[8:9]
	s_cbranch_execnz .LBB19_2585
; %bb.537:
	s_or_saveexec_b64 s[6:7], s[6:7]
	v_mov_b32_e32 v20, s10
	s_xor_b64 exec, exec, s[6:7]
	s_cbranch_execnz .LBB19_2588
.LBB19_538:
	s_or_b64 exec, exec, s[6:7]
	s_and_saveexec_b64 s[6:7], s[4:5]
	s_cbranch_execz .LBB19_540
.LBB19_539:
	v_bfe_u32 v20, v14, 24, 3
	v_ffbh_u32_e32 v24, v20
	v_min_u32_e32 v24, 32, v24
	v_lshrrev_b32_e32 v22, 27, v14
	v_subrev_u32_e32 v25, 28, v24
	v_and_b32_e32 v21, 0x80000000, v14
	v_and_b32_e32 v22, 15, v22
	v_bfe_u32 v23, v14, 27, 4
	v_lshlrev_b32_sdwa v14, v25, v14 dst_sel:DWORD dst_unused:UNUSED_PAD src0_sel:DWORD src1_sel:BYTE_3
	v_sub_u32_e32 v24, 29, v24
	v_and_b32_e32 v14, 7, v14
	v_cmp_eq_u16_e32 vcc, 0, v22
	v_cndmask_b32_e32 v14, v20, v14, vcc
	v_cndmask_b32_e32 v20, v23, v24, vcc
	v_mov_b32_e32 v22, 0x3b800000
	v_lshlrev_b32_e32 v14, 20, v14
	v_lshl_add_u32 v20, v20, 23, v22
	v_or3_b32 v20, v21, v20, v14
.LBB19_540:
	s_or_b64 exec, exec, s[6:7]
	s_movk_i32 s4, 0x7f
	v_cmp_gt_i16_sdwa s[6:7], v10, s4 src0_sel:BYTE_3 src1_sel:DWORD
	s_mov_b64 s[4:5], 0
                                        ; implicit-def: $sgpr10
	s_and_saveexec_b64 s[8:9], s[6:7]
	s_xor_b64 s[6:7], exec, s[8:9]
	s_cbranch_execnz .LBB19_2589
; %bb.541:
	s_or_saveexec_b64 s[6:7], s[6:7]
	v_mov_b32_e32 v14, s10
	s_xor_b64 exec, exec, s[6:7]
	s_cbranch_execnz .LBB19_2592
.LBB19_542:
	s_or_b64 exec, exec, s[6:7]
	s_and_saveexec_b64 s[6:7], s[4:5]
	s_cbranch_execz .LBB19_544
.LBB19_543:
	v_bfe_u32 v14, v10, 24, 3
	v_ffbh_u32_e32 v24, v14
	v_min_u32_e32 v24, 32, v24
	v_lshrrev_b32_e32 v22, 27, v10
	v_subrev_u32_e32 v25, 28, v24
	v_and_b32_e32 v21, 0x80000000, v10
	v_and_b32_e32 v22, 15, v22
	v_bfe_u32 v23, v10, 27, 4
	v_lshlrev_b32_sdwa v10, v25, v10 dst_sel:DWORD dst_unused:UNUSED_PAD src0_sel:DWORD src1_sel:BYTE_3
	v_sub_u32_e32 v24, 29, v24
	v_and_b32_e32 v10, 7, v10
	v_cmp_eq_u16_e32 vcc, 0, v22
	v_cndmask_b32_e32 v10, v14, v10, vcc
	v_cndmask_b32_e32 v14, v23, v24, vcc
	v_mov_b32_e32 v22, 0x3b800000
	v_lshlrev_b32_e32 v10, 20, v10
	v_lshl_add_u32 v14, v14, 23, v22
	v_or3_b32 v14, v21, v14, v10
.LBB19_544:
	s_or_b64 exec, exec, s[6:7]
	s_nop 0
	v_mfma_f32_16x16x4f32 a[0:3], v20, v14, a[0:3]
	s_movk_i32 s4, 0x7f
	v_cmp_gt_i16_sdwa s[6:7], v15, s4 src0_sel:BYTE_0 src1_sel:DWORD
	s_mov_b64 s[4:5], 0
                                        ; implicit-def: $sgpr10
	s_and_saveexec_b64 s[8:9], s[6:7]
	s_xor_b64 s[6:7], exec, s[8:9]
	s_cbranch_execnz .LBB19_2593
; %bb.545:
	s_or_saveexec_b64 s[6:7], s[6:7]
	v_mov_b32_e32 v10, s10
	s_xor_b64 exec, exec, s[6:7]
	s_cbranch_execnz .LBB19_2596
.LBB19_546:
	s_or_b64 exec, exec, s[6:7]
	s_and_saveexec_b64 s[6:7], s[4:5]
	s_cbranch_execz .LBB19_548
.LBB19_547:
	v_and_b32_e32 v10, 7, v15
	v_ffbh_u32_e32 v20, v10
	v_min_u32_e32 v20, 32, v20
	v_lshrrev_b16_e32 v14, 3, v15
	v_subrev_u32_e32 v21, 28, v20
	v_and_b32_e32 v14, 15, v14
	v_lshlrev_b32_e32 v21, v21, v15
	v_sub_u32_e32 v20, 29, v20
	v_and_b32_e32 v21, 7, v21
	v_cmp_eq_u16_e32 vcc, 0, v14
	v_cndmask_b32_e32 v10, v10, v21, vcc
	v_cndmask_b32_e32 v14, v14, v20, vcc
	v_lshlrev_b32_e32 v20, 24, v15
	v_mov_b32_e32 v21, 0x3b800000
	v_lshlrev_b32_e32 v10, 20, v10
	v_and_b32_e32 v20, 0x80000000, v20
	v_lshl_add_u32 v14, v14, 23, v21
	v_or3_b32 v10, v20, v14, v10
.LBB19_548:
	s_or_b64 exec, exec, s[6:7]
	s_movk_i32 s4, 0x7f
	v_cmp_gt_i16_sdwa s[6:7], v11, s4 src0_sel:BYTE_0 src1_sel:DWORD
	s_mov_b64 s[4:5], 0
                                        ; implicit-def: $sgpr10
	s_and_saveexec_b64 s[8:9], s[6:7]
	s_xor_b64 s[6:7], exec, s[8:9]
	s_cbranch_execnz .LBB19_2597
; %bb.549:
	s_or_saveexec_b64 s[6:7], s[6:7]
	v_mov_b32_e32 v14, s10
	s_xor_b64 exec, exec, s[6:7]
	s_cbranch_execnz .LBB19_2600
.LBB19_550:
	s_or_b64 exec, exec, s[6:7]
	s_and_saveexec_b64 s[6:7], s[4:5]
	s_cbranch_execz .LBB19_552
.LBB19_551:
	v_and_b32_e32 v14, 7, v11
	v_ffbh_u32_e32 v21, v14
	v_min_u32_e32 v21, 32, v21
	v_lshrrev_b16_e32 v20, 3, v11
	v_subrev_u32_e32 v22, 28, v21
	v_and_b32_e32 v20, 15, v20
	v_lshlrev_b32_e32 v22, v22, v11
	v_sub_u32_e32 v21, 29, v21
	v_and_b32_e32 v22, 7, v22
	v_cmp_eq_u16_e32 vcc, 0, v20
	v_cndmask_b32_e32 v14, v14, v22, vcc
	v_cndmask_b32_e32 v20, v20, v21, vcc
	v_lshlrev_b32_e32 v21, 24, v11
	v_mov_b32_e32 v22, 0x3b800000
	v_lshlrev_b32_e32 v14, 20, v14
	v_and_b32_e32 v21, 0x80000000, v21
	v_lshl_add_u32 v20, v20, 23, v22
	v_or3_b32 v14, v21, v20, v14
.LBB19_552:
	s_or_b64 exec, exec, s[6:7]
	s_nop 0
	v_mfma_f32_16x16x4f32 a[0:3], v10, v14, a[0:3]
	v_lshrrev_b32_e32 v14, 8, v15
	s_movk_i32 s4, 0x7f
	v_cmp_gt_i16_sdwa s[6:7], v14, s4 src0_sel:BYTE_0 src1_sel:DWORD
	s_mov_b64 s[4:5], 0
                                        ; implicit-def: $sgpr10
	s_and_saveexec_b64 s[8:9], s[6:7]
	s_xor_b64 s[6:7], exec, s[8:9]
	s_cbranch_execnz .LBB19_2601
; %bb.553:
	s_or_saveexec_b64 s[6:7], s[6:7]
	v_mov_b32_e32 v10, s10
	s_xor_b64 exec, exec, s[6:7]
	s_cbranch_execnz .LBB19_2604
.LBB19_554:
	s_or_b64 exec, exec, s[6:7]
	s_and_saveexec_b64 s[6:7], s[4:5]
	s_cbranch_execz .LBB19_556
.LBB19_555:
	v_bfe_u32 v10, v15, 8, 3
	v_ffbh_u32_e32 v21, v10
	v_min_u32_e32 v21, 32, v21
	v_lshrrev_b16_e32 v20, 3, v14
	v_subrev_u32_e32 v22, 28, v21
	v_and_b32_e32 v20, 15, v20
	v_lshlrev_b32_e32 v14, v22, v14
	v_sub_u32_e32 v21, 29, v21
	v_and_b32_e32 v14, 7, v14
	v_cmp_eq_u16_e32 vcc, 0, v20
	v_cndmask_b32_e32 v10, v10, v14, vcc
	v_cndmask_b32_e32 v14, v20, v21, vcc
	v_lshlrev_b32_e32 v20, 16, v15
	v_mov_b32_e32 v21, 0x3b800000
	v_lshlrev_b32_e32 v10, 20, v10
	v_and_b32_e32 v20, 0x80000000, v20
	v_lshl_add_u32 v14, v14, 23, v21
	v_or3_b32 v10, v20, v14, v10
.LBB19_556:
	s_or_b64 exec, exec, s[6:7]
	v_lshrrev_b32_e32 v14, 8, v11
	s_movk_i32 s4, 0x7f
	v_cmp_gt_i16_sdwa s[6:7], v14, s4 src0_sel:BYTE_0 src1_sel:DWORD
	s_mov_b64 s[4:5], 0
                                        ; implicit-def: $sgpr10
	s_and_saveexec_b64 s[8:9], s[6:7]
	s_xor_b64 s[6:7], exec, s[8:9]
	s_cbranch_execnz .LBB19_2605
; %bb.557:
	s_or_saveexec_b64 s[6:7], s[6:7]
	v_mov_b32_e32 v20, s10
	s_xor_b64 exec, exec, s[6:7]
	s_cbranch_execnz .LBB19_2608
.LBB19_558:
	s_or_b64 exec, exec, s[6:7]
	s_and_saveexec_b64 s[6:7], s[4:5]
	s_cbranch_execz .LBB19_560
.LBB19_559:
	v_bfe_u32 v20, v11, 8, 3
	v_ffbh_u32_e32 v22, v20
	v_min_u32_e32 v22, 32, v22
	v_lshrrev_b16_e32 v21, 3, v14
	v_subrev_u32_e32 v23, 28, v22
	v_and_b32_e32 v21, 15, v21
	v_lshlrev_b32_e32 v14, v23, v14
	v_sub_u32_e32 v22, 29, v22
	v_and_b32_e32 v14, 7, v14
	v_cmp_eq_u16_e32 vcc, 0, v21
	v_cndmask_b32_e32 v14, v20, v14, vcc
	v_cndmask_b32_e32 v20, v21, v22, vcc
	v_lshlrev_b32_e32 v21, 16, v11
	v_mov_b32_e32 v22, 0x3b800000
	v_lshlrev_b32_e32 v14, 20, v14
	v_and_b32_e32 v21, 0x80000000, v21
	v_lshl_add_u32 v20, v20, 23, v22
	v_or3_b32 v20, v21, v20, v14
.LBB19_560:
	s_or_b64 exec, exec, s[6:7]
	s_nop 0
	v_mfma_f32_16x16x4f32 a[0:3], v10, v20, a[0:3]
	s_movk_i32 s4, 0xff
	v_and_b32_sdwa v14, v15, s4 dst_sel:DWORD dst_unused:UNUSED_PAD src0_sel:WORD_1 src1_sel:DWORD
	s_movk_i32 s4, 0x7f
	v_cmp_lt_i16_e32 vcc, s4, v14
	s_mov_b64 s[4:5], 0
                                        ; implicit-def: $sgpr10
	s_and_saveexec_b64 s[6:7], vcc
	s_xor_b64 s[6:7], exec, s[6:7]
	s_cbranch_execnz .LBB19_2609
; %bb.561:
	s_or_saveexec_b64 s[6:7], s[6:7]
	v_mov_b32_e32 v10, s10
	s_xor_b64 exec, exec, s[6:7]
	s_cbranch_execnz .LBB19_2612
.LBB19_562:
	s_or_b64 exec, exec, s[6:7]
	s_and_saveexec_b64 s[6:7], s[4:5]
	s_cbranch_execz .LBB19_564
.LBB19_563:
	v_bfe_u32 v10, v15, 16, 3
	v_ffbh_u32_e32 v21, v10
	v_min_u32_e32 v21, 32, v21
	v_lshrrev_b32_e32 v14, 19, v15
	v_subrev_u32_e32 v22, 28, v21
	v_and_b32_e32 v14, 15, v14
	v_lshlrev_b32_sdwa v22, v22, v15 dst_sel:DWORD dst_unused:UNUSED_PAD src0_sel:DWORD src1_sel:WORD_1
	v_bfe_u32 v20, v15, 19, 4
	v_sub_u32_e32 v21, 29, v21
	v_and_b32_e32 v22, 7, v22
	v_cmp_eq_u16_e32 vcc, 0, v14
	v_cndmask_b32_e32 v10, v10, v22, vcc
	v_cndmask_b32_e32 v14, v20, v21, vcc
	v_lshlrev_b32_e32 v20, 8, v15
	v_mov_b32_e32 v21, 0x3b800000
	v_lshlrev_b32_e32 v10, 20, v10
	v_and_b32_e32 v20, 0x80000000, v20
	v_lshl_add_u32 v14, v14, 23, v21
	v_or3_b32 v10, v20, v14, v10
.LBB19_564:
	s_or_b64 exec, exec, s[6:7]
	s_movk_i32 s4, 0xff
	v_and_b32_sdwa v14, v11, s4 dst_sel:DWORD dst_unused:UNUSED_PAD src0_sel:WORD_1 src1_sel:DWORD
	s_movk_i32 s4, 0x7f
	v_cmp_lt_i16_e32 vcc, s4, v14
	s_mov_b64 s[4:5], 0
                                        ; implicit-def: $sgpr10
	s_and_saveexec_b64 s[6:7], vcc
	s_xor_b64 s[6:7], exec, s[6:7]
	s_cbranch_execnz .LBB19_2613
; %bb.565:
	s_or_saveexec_b64 s[6:7], s[6:7]
	v_mov_b32_e32 v20, s10
	s_xor_b64 exec, exec, s[6:7]
	s_cbranch_execnz .LBB19_2616
.LBB19_566:
	s_or_b64 exec, exec, s[6:7]
	s_and_saveexec_b64 s[6:7], s[4:5]
	s_cbranch_execz .LBB19_568
.LBB19_567:
	v_bfe_u32 v14, v11, 16, 3
	v_ffbh_u32_e32 v22, v14
	v_min_u32_e32 v22, 32, v22
	v_lshrrev_b32_e32 v20, 19, v11
	v_subrev_u32_e32 v23, 28, v22
	v_and_b32_e32 v20, 15, v20
	v_lshlrev_b32_sdwa v23, v23, v11 dst_sel:DWORD dst_unused:UNUSED_PAD src0_sel:DWORD src1_sel:WORD_1
	v_bfe_u32 v21, v11, 19, 4
	v_sub_u32_e32 v22, 29, v22
	v_and_b32_e32 v23, 7, v23
	v_cmp_eq_u16_e32 vcc, 0, v20
	v_cndmask_b32_e32 v14, v14, v23, vcc
	v_cndmask_b32_e32 v20, v21, v22, vcc
	v_lshlrev_b32_e32 v21, 8, v11
	v_mov_b32_e32 v22, 0x3b800000
	v_lshlrev_b32_e32 v14, 20, v14
	v_and_b32_e32 v21, 0x80000000, v21
	v_lshl_add_u32 v20, v20, 23, v22
	v_or3_b32 v20, v21, v20, v14
.LBB19_568:
	s_or_b64 exec, exec, s[6:7]
	s_nop 0
	v_mfma_f32_16x16x4f32 a[0:3], v10, v20, a[0:3]
	s_movk_i32 s4, 0x7f
	v_cmp_gt_i16_sdwa s[6:7], v15, s4 src0_sel:BYTE_3 src1_sel:DWORD
	s_mov_b64 s[4:5], 0
                                        ; implicit-def: $sgpr10
	s_and_saveexec_b64 s[8:9], s[6:7]
	s_xor_b64 s[6:7], exec, s[8:9]
	s_cbranch_execnz .LBB19_2617
; %bb.569:
	s_or_saveexec_b64 s[6:7], s[6:7]
	v_mov_b32_e32 v10, s10
	s_xor_b64 exec, exec, s[6:7]
	s_cbranch_execnz .LBB19_2620
.LBB19_570:
	s_or_b64 exec, exec, s[6:7]
	s_and_saveexec_b64 s[6:7], s[4:5]
	s_cbranch_execz .LBB19_572
.LBB19_571:
	v_bfe_u32 v10, v15, 24, 3
	v_ffbh_u32_e32 v22, v10
	v_min_u32_e32 v22, 32, v22
	v_lshrrev_b32_e32 v20, 27, v15
	v_subrev_u32_e32 v23, 28, v22
	v_and_b32_e32 v14, 0x80000000, v15
	v_and_b32_e32 v20, 15, v20
	v_bfe_u32 v21, v15, 27, 4
	v_lshlrev_b32_sdwa v15, v23, v15 dst_sel:DWORD dst_unused:UNUSED_PAD src0_sel:DWORD src1_sel:BYTE_3
	v_sub_u32_e32 v22, 29, v22
	v_and_b32_e32 v15, 7, v15
	v_cmp_eq_u16_e32 vcc, 0, v20
	v_cndmask_b32_e32 v10, v10, v15, vcc
	v_cndmask_b32_e32 v15, v21, v22, vcc
	v_mov_b32_e32 v20, 0x3b800000
	v_lshlrev_b32_e32 v10, 20, v10
	v_lshl_add_u32 v15, v15, 23, v20
	v_or3_b32 v10, v14, v15, v10
.LBB19_572:
	s_or_b64 exec, exec, s[6:7]
	s_movk_i32 s4, 0x7f
	v_cmp_gt_i16_sdwa s[6:7], v11, s4 src0_sel:BYTE_3 src1_sel:DWORD
	s_mov_b64 s[4:5], 0
                                        ; implicit-def: $sgpr10
	s_and_saveexec_b64 s[8:9], s[6:7]
	s_xor_b64 s[6:7], exec, s[8:9]
	s_cbranch_execnz .LBB19_2621
; %bb.573:
	s_or_saveexec_b64 s[6:7], s[6:7]
	v_mov_b32_e32 v14, s10
	s_xor_b64 exec, exec, s[6:7]
	s_cbranch_execnz .LBB19_2624
.LBB19_574:
	s_or_b64 exec, exec, s[6:7]
	s_and_saveexec_b64 s[6:7], s[4:5]
	s_cbranch_execz .LBB19_576
.LBB19_575:
	v_bfe_u32 v14, v11, 24, 3
	v_ffbh_u32_e32 v22, v14
	v_min_u32_e32 v22, 32, v22
	v_lshrrev_b32_e32 v20, 27, v11
	v_subrev_u32_e32 v23, 28, v22
	v_and_b32_e32 v15, 0x80000000, v11
	v_and_b32_e32 v20, 15, v20
	v_bfe_u32 v21, v11, 27, 4
	v_lshlrev_b32_sdwa v11, v23, v11 dst_sel:DWORD dst_unused:UNUSED_PAD src0_sel:DWORD src1_sel:BYTE_3
	v_sub_u32_e32 v22, 29, v22
	v_and_b32_e32 v11, 7, v11
	v_cmp_eq_u16_e32 vcc, 0, v20
	v_cndmask_b32_e32 v11, v14, v11, vcc
	v_cndmask_b32_e32 v14, v21, v22, vcc
	v_mov_b32_e32 v20, 0x3b800000
	v_lshlrev_b32_e32 v11, 20, v11
	v_lshl_add_u32 v14, v14, 23, v20
	v_or3_b32 v14, v15, v14, v11
.LBB19_576:
	s_or_b64 exec, exec, s[6:7]
	s_nop 0
	v_mfma_f32_16x16x4f32 a[0:3], v10, v14, a[0:3]
	s_movk_i32 s4, 0x7f
	v_cmp_gt_i16_sdwa s[6:7], v16, s4 src0_sel:BYTE_0 src1_sel:DWORD
	s_mov_b64 s[4:5], 0
                                        ; implicit-def: $sgpr10
	s_and_saveexec_b64 s[8:9], s[6:7]
	s_xor_b64 s[6:7], exec, s[8:9]
	s_cbranch_execnz .LBB19_2625
; %bb.577:
	s_or_saveexec_b64 s[6:7], s[6:7]
	v_mov_b32_e32 v10, s10
	s_xor_b64 exec, exec, s[6:7]
	s_cbranch_execnz .LBB19_2628
.LBB19_578:
	s_or_b64 exec, exec, s[6:7]
	s_and_saveexec_b64 s[6:7], s[4:5]
	s_cbranch_execz .LBB19_580
.LBB19_579:
	v_and_b32_e32 v10, 7, v16
	v_ffbh_u32_e32 v14, v10
	v_min_u32_e32 v14, 32, v14
	v_lshrrev_b16_e32 v11, 3, v16
	v_subrev_u32_e32 v15, 28, v14
	v_and_b32_e32 v11, 15, v11
	v_lshlrev_b32_e32 v15, v15, v16
	v_sub_u32_e32 v14, 29, v14
	v_and_b32_e32 v15, 7, v15
	v_cmp_eq_u16_e32 vcc, 0, v11
	v_cndmask_b32_e32 v10, v10, v15, vcc
	v_cndmask_b32_e32 v11, v11, v14, vcc
	v_lshlrev_b32_e32 v14, 24, v16
	v_mov_b32_e32 v15, 0x3b800000
	v_lshlrev_b32_e32 v10, 20, v10
	v_and_b32_e32 v14, 0x80000000, v14
	v_lshl_add_u32 v11, v11, 23, v15
	v_or3_b32 v10, v14, v11, v10
.LBB19_580:
	s_or_b64 exec, exec, s[6:7]
	s_movk_i32 s4, 0x7f
	v_cmp_gt_i16_sdwa s[6:7], v12, s4 src0_sel:BYTE_0 src1_sel:DWORD
	s_mov_b64 s[4:5], 0
                                        ; implicit-def: $sgpr10
	s_and_saveexec_b64 s[8:9], s[6:7]
	s_xor_b64 s[6:7], exec, s[8:9]
	s_cbranch_execnz .LBB19_2629
; %bb.581:
	s_or_saveexec_b64 s[6:7], s[6:7]
	v_mov_b32_e32 v11, s10
	s_xor_b64 exec, exec, s[6:7]
	s_cbranch_execnz .LBB19_2632
.LBB19_582:
	s_or_b64 exec, exec, s[6:7]
	s_and_saveexec_b64 s[6:7], s[4:5]
	s_cbranch_execz .LBB19_584
.LBB19_583:
	v_and_b32_e32 v11, 7, v12
	v_ffbh_u32_e32 v15, v11
	v_min_u32_e32 v15, 32, v15
	v_lshrrev_b16_e32 v14, 3, v12
	v_subrev_u32_e32 v20, 28, v15
	v_and_b32_e32 v14, 15, v14
	v_lshlrev_b32_e32 v20, v20, v12
	v_sub_u32_e32 v15, 29, v15
	v_and_b32_e32 v20, 7, v20
	v_cmp_eq_u16_e32 vcc, 0, v14
	v_cndmask_b32_e32 v11, v11, v20, vcc
	v_cndmask_b32_e32 v14, v14, v15, vcc
	v_lshlrev_b32_e32 v15, 24, v12
	v_mov_b32_e32 v20, 0x3b800000
	v_lshlrev_b32_e32 v11, 20, v11
	v_and_b32_e32 v15, 0x80000000, v15
	v_lshl_add_u32 v14, v14, 23, v20
	v_or3_b32 v11, v15, v14, v11
.LBB19_584:
	s_or_b64 exec, exec, s[6:7]
	s_nop 0
	v_mfma_f32_16x16x4f32 a[0:3], v10, v11, a[0:3]
	v_lshrrev_b32_e32 v11, 8, v16
	s_movk_i32 s4, 0x7f
	v_cmp_gt_i16_sdwa s[6:7], v11, s4 src0_sel:BYTE_0 src1_sel:DWORD
	s_mov_b64 s[4:5], 0
                                        ; implicit-def: $sgpr10
	s_and_saveexec_b64 s[8:9], s[6:7]
	s_xor_b64 s[6:7], exec, s[8:9]
	s_cbranch_execnz .LBB19_2633
; %bb.585:
	s_or_saveexec_b64 s[6:7], s[6:7]
	v_mov_b32_e32 v10, s10
	s_xor_b64 exec, exec, s[6:7]
	s_cbranch_execnz .LBB19_2636
.LBB19_586:
	s_or_b64 exec, exec, s[6:7]
	s_and_saveexec_b64 s[6:7], s[4:5]
	s_cbranch_execz .LBB19_588
.LBB19_587:
	v_bfe_u32 v10, v16, 8, 3
	v_ffbh_u32_e32 v15, v10
	v_min_u32_e32 v15, 32, v15
	v_lshrrev_b16_e32 v14, 3, v11
	v_subrev_u32_e32 v20, 28, v15
	v_and_b32_e32 v14, 15, v14
	v_lshlrev_b32_e32 v11, v20, v11
	v_sub_u32_e32 v15, 29, v15
	v_and_b32_e32 v11, 7, v11
	v_cmp_eq_u16_e32 vcc, 0, v14
	v_cndmask_b32_e32 v10, v10, v11, vcc
	v_cndmask_b32_e32 v11, v14, v15, vcc
	v_lshlrev_b32_e32 v14, 16, v16
	v_mov_b32_e32 v15, 0x3b800000
	v_lshlrev_b32_e32 v10, 20, v10
	v_and_b32_e32 v14, 0x80000000, v14
	v_lshl_add_u32 v11, v11, 23, v15
	v_or3_b32 v10, v14, v11, v10
.LBB19_588:
	s_or_b64 exec, exec, s[6:7]
	v_lshrrev_b32_e32 v11, 8, v12
	s_movk_i32 s4, 0x7f
	v_cmp_gt_i16_sdwa s[6:7], v11, s4 src0_sel:BYTE_0 src1_sel:DWORD
	s_mov_b64 s[4:5], 0
                                        ; implicit-def: $sgpr10
	s_and_saveexec_b64 s[8:9], s[6:7]
	s_xor_b64 s[6:7], exec, s[8:9]
	s_cbranch_execnz .LBB19_2637
; %bb.589:
	s_or_saveexec_b64 s[6:7], s[6:7]
	v_mov_b32_e32 v14, s10
	s_xor_b64 exec, exec, s[6:7]
	s_cbranch_execnz .LBB19_2640
.LBB19_590:
	s_or_b64 exec, exec, s[6:7]
	s_and_saveexec_b64 s[6:7], s[4:5]
	s_cbranch_execz .LBB19_592
.LBB19_591:
	v_bfe_u32 v14, v12, 8, 3
	v_ffbh_u32_e32 v20, v14
	v_min_u32_e32 v20, 32, v20
	v_lshrrev_b16_e32 v15, 3, v11
	v_subrev_u32_e32 v21, 28, v20
	v_and_b32_e32 v15, 15, v15
	v_lshlrev_b32_e32 v11, v21, v11
	v_sub_u32_e32 v20, 29, v20
	v_and_b32_e32 v11, 7, v11
	v_cmp_eq_u16_e32 vcc, 0, v15
	v_cndmask_b32_e32 v11, v14, v11, vcc
	v_cndmask_b32_e32 v14, v15, v20, vcc
	v_lshlrev_b32_e32 v15, 16, v12
	v_mov_b32_e32 v20, 0x3b800000
	v_lshlrev_b32_e32 v11, 20, v11
	v_and_b32_e32 v15, 0x80000000, v15
	v_lshl_add_u32 v14, v14, 23, v20
	v_or3_b32 v14, v15, v14, v11
.LBB19_592:
	s_or_b64 exec, exec, s[6:7]
	s_nop 0
	v_mfma_f32_16x16x4f32 a[0:3], v10, v14, a[0:3]
	s_movk_i32 s4, 0xff
	v_and_b32_sdwa v11, v16, s4 dst_sel:DWORD dst_unused:UNUSED_PAD src0_sel:WORD_1 src1_sel:DWORD
	s_movk_i32 s4, 0x7f
	v_cmp_lt_i16_e32 vcc, s4, v11
	s_mov_b64 s[4:5], 0
                                        ; implicit-def: $sgpr10
	s_and_saveexec_b64 s[6:7], vcc
	s_xor_b64 s[6:7], exec, s[6:7]
	s_cbranch_execnz .LBB19_2641
; %bb.593:
	s_or_saveexec_b64 s[6:7], s[6:7]
	v_mov_b32_e32 v10, s10
	s_xor_b64 exec, exec, s[6:7]
	s_cbranch_execnz .LBB19_2644
.LBB19_594:
	s_or_b64 exec, exec, s[6:7]
	s_and_saveexec_b64 s[6:7], s[4:5]
	s_cbranch_execz .LBB19_596
.LBB19_595:
	v_bfe_u32 v10, v16, 16, 3
	v_ffbh_u32_e32 v15, v10
	v_min_u32_e32 v15, 32, v15
	v_lshrrev_b32_e32 v11, 19, v16
	v_subrev_u32_e32 v20, 28, v15
	v_and_b32_e32 v11, 15, v11
	v_lshlrev_b32_sdwa v20, v20, v16 dst_sel:DWORD dst_unused:UNUSED_PAD src0_sel:DWORD src1_sel:WORD_1
	v_bfe_u32 v14, v16, 19, 4
	v_sub_u32_e32 v15, 29, v15
	v_and_b32_e32 v20, 7, v20
	v_cmp_eq_u16_e32 vcc, 0, v11
	v_cndmask_b32_e32 v10, v10, v20, vcc
	v_cndmask_b32_e32 v11, v14, v15, vcc
	v_lshlrev_b32_e32 v14, 8, v16
	v_mov_b32_e32 v15, 0x3b800000
	v_lshlrev_b32_e32 v10, 20, v10
	v_and_b32_e32 v14, 0x80000000, v14
	v_lshl_add_u32 v11, v11, 23, v15
	v_or3_b32 v10, v14, v11, v10
.LBB19_596:
	s_or_b64 exec, exec, s[6:7]
	s_movk_i32 s4, 0xff
	v_and_b32_sdwa v11, v12, s4 dst_sel:DWORD dst_unused:UNUSED_PAD src0_sel:WORD_1 src1_sel:DWORD
	s_movk_i32 s4, 0x7f
	v_cmp_lt_i16_e32 vcc, s4, v11
	s_mov_b64 s[4:5], 0
                                        ; implicit-def: $sgpr10
	s_and_saveexec_b64 s[6:7], vcc
	s_xor_b64 s[6:7], exec, s[6:7]
	s_cbranch_execnz .LBB19_2645
; %bb.597:
	s_or_saveexec_b64 s[6:7], s[6:7]
	v_mov_b32_e32 v14, s10
	s_xor_b64 exec, exec, s[6:7]
	s_cbranch_execnz .LBB19_2648
.LBB19_598:
	s_or_b64 exec, exec, s[6:7]
	s_and_saveexec_b64 s[6:7], s[4:5]
	s_cbranch_execz .LBB19_600
.LBB19_599:
	v_bfe_u32 v11, v12, 16, 3
	v_ffbh_u32_e32 v20, v11
	v_min_u32_e32 v20, 32, v20
	v_lshrrev_b32_e32 v14, 19, v12
	v_subrev_u32_e32 v21, 28, v20
	v_and_b32_e32 v14, 15, v14
	v_lshlrev_b32_sdwa v21, v21, v12 dst_sel:DWORD dst_unused:UNUSED_PAD src0_sel:DWORD src1_sel:WORD_1
	v_bfe_u32 v15, v12, 19, 4
	v_sub_u32_e32 v20, 29, v20
	v_and_b32_e32 v21, 7, v21
	v_cmp_eq_u16_e32 vcc, 0, v14
	v_cndmask_b32_e32 v11, v11, v21, vcc
	v_cndmask_b32_e32 v14, v15, v20, vcc
	v_lshlrev_b32_e32 v15, 8, v12
	v_mov_b32_e32 v20, 0x3b800000
	v_lshlrev_b32_e32 v11, 20, v11
	v_and_b32_e32 v15, 0x80000000, v15
	v_lshl_add_u32 v14, v14, 23, v20
	v_or3_b32 v14, v15, v14, v11
.LBB19_600:
	s_or_b64 exec, exec, s[6:7]
	s_nop 0
	v_mfma_f32_16x16x4f32 a[0:3], v10, v14, a[0:3]
	s_movk_i32 s4, 0x7f
	v_cmp_gt_i16_sdwa s[6:7], v16, s4 src0_sel:BYTE_3 src1_sel:DWORD
	s_mov_b64 s[4:5], 0
                                        ; implicit-def: $sgpr10
	s_and_saveexec_b64 s[8:9], s[6:7]
	s_xor_b64 s[6:7], exec, s[8:9]
	s_cbranch_execnz .LBB19_2649
; %bb.601:
	s_or_saveexec_b64 s[6:7], s[6:7]
	v_mov_b32_e32 v10, s10
	s_xor_b64 exec, exec, s[6:7]
	s_cbranch_execnz .LBB19_2652
.LBB19_602:
	s_or_b64 exec, exec, s[6:7]
	s_and_saveexec_b64 s[6:7], s[4:5]
	s_cbranch_execz .LBB19_604
.LBB19_603:
	v_bfe_u32 v10, v16, 24, 3
	v_ffbh_u32_e32 v20, v10
	v_min_u32_e32 v20, 32, v20
	v_lshrrev_b32_e32 v14, 27, v16
	v_subrev_u32_e32 v21, 28, v20
	v_and_b32_e32 v11, 0x80000000, v16
	v_and_b32_e32 v14, 15, v14
	v_bfe_u32 v15, v16, 27, 4
	v_lshlrev_b32_sdwa v16, v21, v16 dst_sel:DWORD dst_unused:UNUSED_PAD src0_sel:DWORD src1_sel:BYTE_3
	v_sub_u32_e32 v20, 29, v20
	v_and_b32_e32 v16, 7, v16
	v_cmp_eq_u16_e32 vcc, 0, v14
	v_cndmask_b32_e32 v10, v10, v16, vcc
	v_cndmask_b32_e32 v14, v15, v20, vcc
	v_mov_b32_e32 v15, 0x3b800000
	v_lshlrev_b32_e32 v10, 20, v10
	v_lshl_add_u32 v14, v14, 23, v15
	v_or3_b32 v10, v11, v14, v10
.LBB19_604:
	s_or_b64 exec, exec, s[6:7]
	s_movk_i32 s4, 0x7f
	v_cmp_gt_i16_sdwa s[6:7], v12, s4 src0_sel:BYTE_3 src1_sel:DWORD
	s_mov_b64 s[4:5], 0
                                        ; implicit-def: $sgpr10
	s_and_saveexec_b64 s[8:9], s[6:7]
	s_xor_b64 s[6:7], exec, s[8:9]
	s_cbranch_execnz .LBB19_2653
; %bb.605:
	s_or_saveexec_b64 s[6:7], s[6:7]
	v_mov_b32_e32 v11, s10
	s_xor_b64 exec, exec, s[6:7]
	s_cbranch_execnz .LBB19_2656
.LBB19_606:
	s_or_b64 exec, exec, s[6:7]
	s_and_saveexec_b64 s[6:7], s[4:5]
	s_cbranch_execz .LBB19_608
.LBB19_607:
	v_bfe_u32 v11, v12, 24, 3
	v_ffbh_u32_e32 v20, v11
	v_min_u32_e32 v20, 32, v20
	v_lshrrev_b32_e32 v15, 27, v12
	v_subrev_u32_e32 v21, 28, v20
	v_and_b32_e32 v14, 0x80000000, v12
	v_and_b32_e32 v15, 15, v15
	v_bfe_u32 v16, v12, 27, 4
	v_lshlrev_b32_sdwa v12, v21, v12 dst_sel:DWORD dst_unused:UNUSED_PAD src0_sel:DWORD src1_sel:BYTE_3
	v_sub_u32_e32 v20, 29, v20
	v_and_b32_e32 v12, 7, v12
	v_cmp_eq_u16_e32 vcc, 0, v15
	v_cndmask_b32_e32 v11, v11, v12, vcc
	v_cndmask_b32_e32 v12, v16, v20, vcc
	v_mov_b32_e32 v15, 0x3b800000
	v_lshlrev_b32_e32 v11, 20, v11
	v_lshl_add_u32 v12, v12, 23, v15
	v_or3_b32 v11, v14, v12, v11
.LBB19_608:
	s_or_b64 exec, exec, s[6:7]
	s_nop 0
	v_mfma_f32_16x16x4f32 a[0:3], v10, v11, a[0:3]
	s_movk_i32 s4, 0x7f
	v_cmp_gt_i16_sdwa s[6:7], v17, s4 src0_sel:BYTE_0 src1_sel:DWORD
	s_mov_b64 s[4:5], 0
                                        ; implicit-def: $sgpr10
	s_and_saveexec_b64 s[8:9], s[6:7]
	s_xor_b64 s[6:7], exec, s[8:9]
	s_cbranch_execnz .LBB19_2657
; %bb.609:
	s_or_saveexec_b64 s[6:7], s[6:7]
	v_mov_b32_e32 v10, s10
	s_xor_b64 exec, exec, s[6:7]
	s_cbranch_execnz .LBB19_2660
.LBB19_610:
	s_or_b64 exec, exec, s[6:7]
	s_and_saveexec_b64 s[6:7], s[4:5]
	s_cbranch_execz .LBB19_612
.LBB19_611:
	v_and_b32_e32 v10, 7, v17
	v_ffbh_u32_e32 v12, v10
	v_min_u32_e32 v12, 32, v12
	v_lshrrev_b16_e32 v11, 3, v17
	v_subrev_u32_e32 v14, 28, v12
	v_and_b32_e32 v11, 15, v11
	v_lshlrev_b32_e32 v14, v14, v17
	v_sub_u32_e32 v12, 29, v12
	v_and_b32_e32 v14, 7, v14
	v_cmp_eq_u16_e32 vcc, 0, v11
	v_cndmask_b32_e32 v10, v10, v14, vcc
	v_cndmask_b32_e32 v11, v11, v12, vcc
	v_lshlrev_b32_e32 v12, 24, v17
	v_mov_b32_e32 v14, 0x3b800000
	v_lshlrev_b32_e32 v10, 20, v10
	v_and_b32_e32 v12, 0x80000000, v12
	v_lshl_add_u32 v11, v11, 23, v14
	v_or3_b32 v10, v12, v11, v10
.LBB19_612:
	s_or_b64 exec, exec, s[6:7]
	s_movk_i32 s4, 0x7f
	v_cmp_gt_i16_sdwa s[6:7], v13, s4 src0_sel:BYTE_0 src1_sel:DWORD
	s_mov_b64 s[4:5], 0
                                        ; implicit-def: $sgpr10
	s_and_saveexec_b64 s[8:9], s[6:7]
	s_xor_b64 s[6:7], exec, s[8:9]
	s_cbranch_execnz .LBB19_2661
; %bb.613:
	s_or_saveexec_b64 s[6:7], s[6:7]
	v_mov_b32_e32 v11, s10
	s_xor_b64 exec, exec, s[6:7]
	s_cbranch_execnz .LBB19_2664
.LBB19_614:
	s_or_b64 exec, exec, s[6:7]
	s_and_saveexec_b64 s[6:7], s[4:5]
	s_cbranch_execz .LBB19_616
.LBB19_615:
	v_and_b32_e32 v11, 7, v13
	v_ffbh_u32_e32 v14, v11
	v_min_u32_e32 v14, 32, v14
	v_lshrrev_b16_e32 v12, 3, v13
	v_subrev_u32_e32 v15, 28, v14
	v_and_b32_e32 v12, 15, v12
	v_lshlrev_b32_e32 v15, v15, v13
	v_sub_u32_e32 v14, 29, v14
	v_and_b32_e32 v15, 7, v15
	v_cmp_eq_u16_e32 vcc, 0, v12
	v_cndmask_b32_e32 v11, v11, v15, vcc
	v_cndmask_b32_e32 v12, v12, v14, vcc
	v_lshlrev_b32_e32 v14, 24, v13
	v_mov_b32_e32 v15, 0x3b800000
	v_lshlrev_b32_e32 v11, 20, v11
	v_and_b32_e32 v14, 0x80000000, v14
	v_lshl_add_u32 v12, v12, 23, v15
	v_or3_b32 v11, v14, v12, v11
.LBB19_616:
	s_or_b64 exec, exec, s[6:7]
	s_nop 0
	v_mfma_f32_16x16x4f32 a[0:3], v10, v11, a[0:3]
	v_lshrrev_b32_e32 v11, 8, v17
	s_movk_i32 s4, 0x7f
	v_cmp_gt_i16_sdwa s[6:7], v11, s4 src0_sel:BYTE_0 src1_sel:DWORD
	s_mov_b64 s[4:5], 0
                                        ; implicit-def: $sgpr10
	s_and_saveexec_b64 s[8:9], s[6:7]
	s_xor_b64 s[6:7], exec, s[8:9]
	s_cbranch_execnz .LBB19_2665
; %bb.617:
	s_or_saveexec_b64 s[6:7], s[6:7]
	v_mov_b32_e32 v10, s10
	s_xor_b64 exec, exec, s[6:7]
	s_cbranch_execnz .LBB19_2668
.LBB19_618:
	s_or_b64 exec, exec, s[6:7]
	s_and_saveexec_b64 s[6:7], s[4:5]
	s_cbranch_execz .LBB19_620
.LBB19_619:
	v_bfe_u32 v10, v17, 8, 3
	v_ffbh_u32_e32 v14, v10
	v_min_u32_e32 v14, 32, v14
	v_lshrrev_b16_e32 v12, 3, v11
	v_subrev_u32_e32 v15, 28, v14
	v_and_b32_e32 v12, 15, v12
	v_lshlrev_b32_e32 v11, v15, v11
	v_sub_u32_e32 v14, 29, v14
	v_and_b32_e32 v11, 7, v11
	v_cmp_eq_u16_e32 vcc, 0, v12
	v_cndmask_b32_e32 v10, v10, v11, vcc
	v_cndmask_b32_e32 v11, v12, v14, vcc
	v_lshlrev_b32_e32 v12, 16, v17
	v_mov_b32_e32 v14, 0x3b800000
	v_lshlrev_b32_e32 v10, 20, v10
	v_and_b32_e32 v12, 0x80000000, v12
	v_lshl_add_u32 v11, v11, 23, v14
	v_or3_b32 v10, v12, v11, v10
.LBB19_620:
	s_or_b64 exec, exec, s[6:7]
	v_lshrrev_b32_e32 v11, 8, v13
	s_movk_i32 s4, 0x7f
	v_cmp_gt_i16_sdwa s[6:7], v11, s4 src0_sel:BYTE_0 src1_sel:DWORD
	s_mov_b64 s[4:5], 0
                                        ; implicit-def: $sgpr10
	s_and_saveexec_b64 s[8:9], s[6:7]
	s_xor_b64 s[6:7], exec, s[8:9]
	s_cbranch_execnz .LBB19_2669
; %bb.621:
	s_or_saveexec_b64 s[6:7], s[6:7]
	v_mov_b32_e32 v12, s10
	s_xor_b64 exec, exec, s[6:7]
	s_cbranch_execnz .LBB19_2672
.LBB19_622:
	s_or_b64 exec, exec, s[6:7]
	s_and_saveexec_b64 s[6:7], s[4:5]
	s_cbranch_execz .LBB19_624
.LBB19_623:
	v_bfe_u32 v12, v13, 8, 3
	v_ffbh_u32_e32 v15, v12
	v_min_u32_e32 v15, 32, v15
	v_lshrrev_b16_e32 v14, 3, v11
	v_subrev_u32_e32 v16, 28, v15
	v_and_b32_e32 v14, 15, v14
	v_lshlrev_b32_e32 v11, v16, v11
	v_sub_u32_e32 v15, 29, v15
	v_and_b32_e32 v11, 7, v11
	v_cmp_eq_u16_e32 vcc, 0, v14
	v_cndmask_b32_e32 v11, v12, v11, vcc
	v_cndmask_b32_e32 v12, v14, v15, vcc
	v_lshlrev_b32_e32 v14, 16, v13
	v_mov_b32_e32 v15, 0x3b800000
	v_lshlrev_b32_e32 v11, 20, v11
	v_and_b32_e32 v14, 0x80000000, v14
	v_lshl_add_u32 v12, v12, 23, v15
	v_or3_b32 v12, v14, v12, v11
.LBB19_624:
	s_or_b64 exec, exec, s[6:7]
	s_nop 0
	v_mfma_f32_16x16x4f32 a[0:3], v10, v12, a[0:3]
	s_movk_i32 s4, 0xff
	v_and_b32_sdwa v11, v17, s4 dst_sel:DWORD dst_unused:UNUSED_PAD src0_sel:WORD_1 src1_sel:DWORD
	s_movk_i32 s4, 0x7f
	v_cmp_lt_i16_e32 vcc, s4, v11
	s_mov_b64 s[4:5], 0
                                        ; implicit-def: $sgpr10
	s_and_saveexec_b64 s[6:7], vcc
	s_xor_b64 s[6:7], exec, s[6:7]
	s_cbranch_execnz .LBB19_2673
; %bb.625:
	s_or_saveexec_b64 s[6:7], s[6:7]
	v_mov_b32_e32 v10, s10
	s_xor_b64 exec, exec, s[6:7]
	s_cbranch_execnz .LBB19_2676
.LBB19_626:
	s_or_b64 exec, exec, s[6:7]
	s_and_saveexec_b64 s[6:7], s[4:5]
	s_cbranch_execz .LBB19_628
.LBB19_627:
	v_bfe_u32 v10, v17, 16, 3
	v_ffbh_u32_e32 v14, v10
	v_min_u32_e32 v14, 32, v14
	v_lshrrev_b32_e32 v11, 19, v17
	v_subrev_u32_e32 v15, 28, v14
	v_and_b32_e32 v11, 15, v11
	v_lshlrev_b32_sdwa v15, v15, v17 dst_sel:DWORD dst_unused:UNUSED_PAD src0_sel:DWORD src1_sel:WORD_1
	v_bfe_u32 v12, v17, 19, 4
	v_sub_u32_e32 v14, 29, v14
	v_and_b32_e32 v15, 7, v15
	v_cmp_eq_u16_e32 vcc, 0, v11
	v_cndmask_b32_e32 v10, v10, v15, vcc
	v_cndmask_b32_e32 v11, v12, v14, vcc
	v_lshlrev_b32_e32 v12, 8, v17
	v_mov_b32_e32 v14, 0x3b800000
	v_lshlrev_b32_e32 v10, 20, v10
	v_and_b32_e32 v12, 0x80000000, v12
	v_lshl_add_u32 v11, v11, 23, v14
	v_or3_b32 v10, v12, v11, v10
.LBB19_628:
	s_or_b64 exec, exec, s[6:7]
	s_movk_i32 s4, 0xff
	v_and_b32_sdwa v11, v13, s4 dst_sel:DWORD dst_unused:UNUSED_PAD src0_sel:WORD_1 src1_sel:DWORD
	s_movk_i32 s4, 0x7f
	v_cmp_lt_i16_e32 vcc, s4, v11
	s_mov_b64 s[4:5], 0
                                        ; implicit-def: $sgpr10
	s_and_saveexec_b64 s[6:7], vcc
	s_xor_b64 s[6:7], exec, s[6:7]
	s_cbranch_execnz .LBB19_2677
; %bb.629:
	s_or_saveexec_b64 s[6:7], s[6:7]
	v_mov_b32_e32 v12, s10
	s_xor_b64 exec, exec, s[6:7]
	s_cbranch_execnz .LBB19_2680
.LBB19_630:
	s_or_b64 exec, exec, s[6:7]
	s_and_saveexec_b64 s[6:7], s[4:5]
	s_cbranch_execz .LBB19_632
.LBB19_631:
	v_bfe_u32 v11, v13, 16, 3
	v_ffbh_u32_e32 v15, v11
	v_min_u32_e32 v15, 32, v15
	v_lshrrev_b32_e32 v12, 19, v13
	v_subrev_u32_e32 v16, 28, v15
	v_and_b32_e32 v12, 15, v12
	v_lshlrev_b32_sdwa v16, v16, v13 dst_sel:DWORD dst_unused:UNUSED_PAD src0_sel:DWORD src1_sel:WORD_1
	v_bfe_u32 v14, v13, 19, 4
	v_sub_u32_e32 v15, 29, v15
	v_and_b32_e32 v16, 7, v16
	v_cmp_eq_u16_e32 vcc, 0, v12
	v_cndmask_b32_e32 v11, v11, v16, vcc
	v_cndmask_b32_e32 v12, v14, v15, vcc
	v_lshlrev_b32_e32 v14, 8, v13
	v_mov_b32_e32 v15, 0x3b800000
	v_lshlrev_b32_e32 v11, 20, v11
	v_and_b32_e32 v14, 0x80000000, v14
	v_lshl_add_u32 v12, v12, 23, v15
	v_or3_b32 v12, v14, v12, v11
.LBB19_632:
	s_or_b64 exec, exec, s[6:7]
	s_nop 0
	v_mfma_f32_16x16x4f32 a[0:3], v10, v12, a[0:3]
	s_movk_i32 s4, 0x7f
	v_cmp_gt_i16_sdwa s[6:7], v17, s4 src0_sel:BYTE_3 src1_sel:DWORD
	s_mov_b64 s[4:5], 0
                                        ; implicit-def: $sgpr10
	s_and_saveexec_b64 s[8:9], s[6:7]
	s_xor_b64 s[6:7], exec, s[8:9]
	s_cbranch_execnz .LBB19_2681
; %bb.633:
	s_or_saveexec_b64 s[6:7], s[6:7]
	v_mov_b32_e32 v10, s10
	s_xor_b64 exec, exec, s[6:7]
	s_cbranch_execnz .LBB19_2684
.LBB19_634:
	s_or_b64 exec, exec, s[6:7]
	s_and_saveexec_b64 s[6:7], s[4:5]
	s_cbranch_execz .LBB19_636
.LBB19_635:
	v_bfe_u32 v10, v17, 24, 3
	v_ffbh_u32_e32 v15, v10
	v_min_u32_e32 v15, 32, v15
	v_lshrrev_b32_e32 v12, 27, v17
	v_subrev_u32_e32 v16, 28, v15
	v_and_b32_e32 v12, 15, v12
	v_lshlrev_b32_sdwa v16, v16, v17 dst_sel:DWORD dst_unused:UNUSED_PAD src0_sel:DWORD src1_sel:BYTE_3
	v_bfe_u32 v14, v17, 27, 4
	v_sub_u32_e32 v15, 29, v15
	v_and_b32_e32 v16, 7, v16
	v_cmp_eq_u16_e32 vcc, 0, v12
	v_cndmask_b32_e32 v10, v10, v16, vcc
	v_cndmask_b32_e32 v12, v14, v15, vcc
	v_mov_b32_e32 v14, 0x3b800000
	v_and_b32_e32 v11, 0x80000000, v17
	v_lshlrev_b32_e32 v10, 20, v10
	v_lshl_add_u32 v12, v12, 23, v14
	v_or3_b32 v10, v11, v12, v10
.LBB19_636:
	s_or_b64 exec, exec, s[6:7]
	s_movk_i32 s4, 0x7f
	v_cmp_gt_i16_sdwa s[6:7], v13, s4 src0_sel:BYTE_3 src1_sel:DWORD
	s_mov_b64 s[4:5], 0
                                        ; implicit-def: $sgpr10
	s_and_saveexec_b64 s[8:9], s[6:7]
	s_xor_b64 s[6:7], exec, s[8:9]
	s_cbranch_execnz .LBB19_2685
; %bb.637:
	s_or_saveexec_b64 s[6:7], s[6:7]
	v_mov_b32_e32 v11, s10
	s_xor_b64 exec, exec, s[6:7]
	s_cbranch_execnz .LBB19_2688
.LBB19_638:
	s_or_b64 exec, exec, s[6:7]
	s_and_saveexec_b64 s[6:7], s[4:5]
	s_cbranch_execz .LBB19_640
.LBB19_639:
	v_bfe_u32 v11, v13, 24, 3
	v_ffbh_u32_e32 v16, v11
	v_min_u32_e32 v16, 32, v16
	v_lshrrev_b32_e32 v14, 27, v13
	v_subrev_u32_e32 v17, 28, v16
	v_and_b32_e32 v12, 0x80000000, v13
	v_and_b32_e32 v14, 15, v14
	v_bfe_u32 v15, v13, 27, 4
	v_lshlrev_b32_sdwa v13, v17, v13 dst_sel:DWORD dst_unused:UNUSED_PAD src0_sel:DWORD src1_sel:BYTE_3
	v_sub_u32_e32 v16, 29, v16
	v_and_b32_e32 v13, 7, v13
	v_cmp_eq_u16_e32 vcc, 0, v14
	v_cndmask_b32_e32 v11, v11, v13, vcc
	v_cndmask_b32_e32 v13, v15, v16, vcc
	v_mov_b32_e32 v14, 0x3b800000
	v_lshlrev_b32_e32 v11, 20, v11
	v_lshl_add_u32 v13, v13, 23, v14
	v_or3_b32 v11, v12, v13, v11
.LBB19_640:
	s_or_b64 exec, exec, s[6:7]
	s_nop 0
	v_mfma_f32_16x16x4f32 a[0:3], v10, v11, a[0:3]
	s_movk_i32 s4, 0x7f
	v_cmp_gt_i16_sdwa s[6:7], v6, s4 src0_sel:BYTE_0 src1_sel:DWORD
	s_mov_b64 s[4:5], 0
                                        ; implicit-def: $sgpr10
	s_and_saveexec_b64 s[8:9], s[6:7]
	s_xor_b64 s[6:7], exec, s[8:9]
	s_cbranch_execnz .LBB19_2689
; %bb.641:
	s_or_saveexec_b64 s[6:7], s[6:7]
	v_mov_b32_e32 v10, s10
	s_xor_b64 exec, exec, s[6:7]
	s_cbranch_execnz .LBB19_2692
.LBB19_642:
	s_or_b64 exec, exec, s[6:7]
	s_and_saveexec_b64 s[6:7], s[4:5]
	s_cbranch_execz .LBB19_644
.LBB19_643:
	v_and_b32_e32 v10, 7, v6
	v_ffbh_u32_e32 v12, v10
	v_min_u32_e32 v12, 32, v12
	v_lshrrev_b16_e32 v11, 3, v6
	v_subrev_u32_e32 v13, 28, v12
	v_and_b32_e32 v11, 15, v11
	v_lshlrev_b32_e32 v13, v13, v6
	v_sub_u32_e32 v12, 29, v12
	v_and_b32_e32 v13, 7, v13
	v_cmp_eq_u16_e32 vcc, 0, v11
	v_cndmask_b32_e32 v10, v10, v13, vcc
	v_cndmask_b32_e32 v11, v11, v12, vcc
	v_lshlrev_b32_e32 v12, 24, v6
	v_mov_b32_e32 v13, 0x3b800000
	v_lshlrev_b32_e32 v10, 20, v10
	v_and_b32_e32 v12, 0x80000000, v12
	v_lshl_add_u32 v11, v11, 23, v13
	v_or3_b32 v10, v12, v11, v10
.LBB19_644:
	s_or_b64 exec, exec, s[6:7]
	s_movk_i32 s4, 0x7f
	v_cmp_gt_i16_sdwa s[6:7], v2, s4 src0_sel:BYTE_0 src1_sel:DWORD
	s_mov_b64 s[4:5], 0
                                        ; implicit-def: $sgpr10
	s_and_saveexec_b64 s[8:9], s[6:7]
	s_xor_b64 s[6:7], exec, s[8:9]
	s_cbranch_execnz .LBB19_2693
; %bb.645:
	s_or_saveexec_b64 s[6:7], s[6:7]
	v_mov_b32_e32 v11, s10
	s_xor_b64 exec, exec, s[6:7]
	s_cbranch_execnz .LBB19_2696
.LBB19_646:
	s_or_b64 exec, exec, s[6:7]
	s_and_saveexec_b64 s[6:7], s[4:5]
	s_cbranch_execz .LBB19_648
.LBB19_647:
	v_and_b32_e32 v11, 7, v2
	v_ffbh_u32_e32 v13, v11
	v_min_u32_e32 v13, 32, v13
	v_lshrrev_b16_e32 v12, 3, v2
	v_subrev_u32_e32 v14, 28, v13
	v_and_b32_e32 v12, 15, v12
	v_lshlrev_b32_e32 v14, v14, v2
	v_sub_u32_e32 v13, 29, v13
	v_and_b32_e32 v14, 7, v14
	v_cmp_eq_u16_e32 vcc, 0, v12
	v_cndmask_b32_e32 v11, v11, v14, vcc
	v_cndmask_b32_e32 v12, v12, v13, vcc
	v_lshlrev_b32_e32 v13, 24, v2
	v_mov_b32_e32 v14, 0x3b800000
	v_lshlrev_b32_e32 v11, 20, v11
	v_and_b32_e32 v13, 0x80000000, v13
	v_lshl_add_u32 v12, v12, 23, v14
	v_or3_b32 v11, v13, v12, v11
.LBB19_648:
	s_or_b64 exec, exec, s[6:7]
	s_nop 0
	v_mfma_f32_16x16x4f32 a[0:3], v10, v11, a[0:3]
	v_lshrrev_b32_e32 v11, 8, v6
	s_movk_i32 s4, 0x7f
	v_cmp_gt_i16_sdwa s[6:7], v11, s4 src0_sel:BYTE_0 src1_sel:DWORD
	s_mov_b64 s[4:5], 0
                                        ; implicit-def: $sgpr10
	s_and_saveexec_b64 s[8:9], s[6:7]
	s_xor_b64 s[6:7], exec, s[8:9]
	s_cbranch_execnz .LBB19_2697
; %bb.649:
	s_or_saveexec_b64 s[6:7], s[6:7]
	v_mov_b32_e32 v10, s10
	s_xor_b64 exec, exec, s[6:7]
	s_cbranch_execnz .LBB19_2700
.LBB19_650:
	s_or_b64 exec, exec, s[6:7]
	s_and_saveexec_b64 s[6:7], s[4:5]
	s_cbranch_execz .LBB19_652
.LBB19_651:
	v_bfe_u32 v10, v6, 8, 3
	v_ffbh_u32_e32 v13, v10
	v_min_u32_e32 v13, 32, v13
	v_lshrrev_b16_e32 v12, 3, v11
	v_subrev_u32_e32 v14, 28, v13
	v_and_b32_e32 v12, 15, v12
	v_lshlrev_b32_e32 v11, v14, v11
	v_sub_u32_e32 v13, 29, v13
	v_and_b32_e32 v11, 7, v11
	v_cmp_eq_u16_e32 vcc, 0, v12
	v_cndmask_b32_e32 v10, v10, v11, vcc
	v_cndmask_b32_e32 v11, v12, v13, vcc
	v_lshlrev_b32_e32 v12, 16, v6
	v_mov_b32_e32 v13, 0x3b800000
	v_lshlrev_b32_e32 v10, 20, v10
	v_and_b32_e32 v12, 0x80000000, v12
	v_lshl_add_u32 v11, v11, 23, v13
	v_or3_b32 v10, v12, v11, v10
.LBB19_652:
	s_or_b64 exec, exec, s[6:7]
	v_lshrrev_b32_e32 v11, 8, v2
	s_movk_i32 s4, 0x7f
	v_cmp_gt_i16_sdwa s[6:7], v11, s4 src0_sel:BYTE_0 src1_sel:DWORD
	s_mov_b64 s[4:5], 0
                                        ; implicit-def: $sgpr10
	s_and_saveexec_b64 s[8:9], s[6:7]
	s_xor_b64 s[6:7], exec, s[8:9]
	s_cbranch_execnz .LBB19_2701
; %bb.653:
	s_or_saveexec_b64 s[6:7], s[6:7]
	v_mov_b32_e32 v12, s10
	s_xor_b64 exec, exec, s[6:7]
	s_cbranch_execnz .LBB19_2704
.LBB19_654:
	s_or_b64 exec, exec, s[6:7]
	s_and_saveexec_b64 s[6:7], s[4:5]
	s_cbranch_execz .LBB19_656
.LBB19_655:
	v_bfe_u32 v12, v2, 8, 3
	v_ffbh_u32_e32 v14, v12
	v_min_u32_e32 v14, 32, v14
	v_lshrrev_b16_e32 v13, 3, v11
	v_subrev_u32_e32 v15, 28, v14
	v_and_b32_e32 v13, 15, v13
	v_lshlrev_b32_e32 v11, v15, v11
	v_sub_u32_e32 v14, 29, v14
	v_and_b32_e32 v11, 7, v11
	v_cmp_eq_u16_e32 vcc, 0, v13
	v_cndmask_b32_e32 v11, v12, v11, vcc
	v_cndmask_b32_e32 v12, v13, v14, vcc
	v_lshlrev_b32_e32 v13, 16, v2
	v_mov_b32_e32 v14, 0x3b800000
	v_lshlrev_b32_e32 v11, 20, v11
	v_and_b32_e32 v13, 0x80000000, v13
	v_lshl_add_u32 v12, v12, 23, v14
	v_or3_b32 v12, v13, v12, v11
.LBB19_656:
	s_or_b64 exec, exec, s[6:7]
	s_nop 0
	v_mfma_f32_16x16x4f32 a[0:3], v10, v12, a[0:3]
	s_movk_i32 s4, 0xff
	v_and_b32_sdwa v11, v6, s4 dst_sel:DWORD dst_unused:UNUSED_PAD src0_sel:WORD_1 src1_sel:DWORD
	s_movk_i32 s4, 0x7f
	v_cmp_lt_i16_e32 vcc, s4, v11
	s_mov_b64 s[4:5], 0
                                        ; implicit-def: $sgpr10
	s_and_saveexec_b64 s[6:7], vcc
	s_xor_b64 s[6:7], exec, s[6:7]
	s_cbranch_execnz .LBB19_2705
; %bb.657:
	s_or_saveexec_b64 s[6:7], s[6:7]
	v_mov_b32_e32 v10, s10
	s_xor_b64 exec, exec, s[6:7]
	s_cbranch_execnz .LBB19_2708
.LBB19_658:
	s_or_b64 exec, exec, s[6:7]
	s_and_saveexec_b64 s[6:7], s[4:5]
	s_cbranch_execz .LBB19_660
.LBB19_659:
	v_bfe_u32 v10, v6, 16, 3
	v_ffbh_u32_e32 v13, v10
	v_min_u32_e32 v13, 32, v13
	v_lshrrev_b32_e32 v11, 19, v6
	v_subrev_u32_e32 v14, 28, v13
	v_and_b32_e32 v11, 15, v11
	v_lshlrev_b32_sdwa v14, v14, v6 dst_sel:DWORD dst_unused:UNUSED_PAD src0_sel:DWORD src1_sel:WORD_1
	v_bfe_u32 v12, v6, 19, 4
	v_sub_u32_e32 v13, 29, v13
	v_and_b32_e32 v14, 7, v14
	v_cmp_eq_u16_e32 vcc, 0, v11
	v_cndmask_b32_e32 v10, v10, v14, vcc
	v_cndmask_b32_e32 v11, v12, v13, vcc
	v_lshlrev_b32_e32 v12, 8, v6
	v_mov_b32_e32 v13, 0x3b800000
	v_lshlrev_b32_e32 v10, 20, v10
	v_and_b32_e32 v12, 0x80000000, v12
	v_lshl_add_u32 v11, v11, 23, v13
	v_or3_b32 v10, v12, v11, v10
.LBB19_660:
	s_or_b64 exec, exec, s[6:7]
	s_movk_i32 s4, 0xff
	v_and_b32_sdwa v11, v2, s4 dst_sel:DWORD dst_unused:UNUSED_PAD src0_sel:WORD_1 src1_sel:DWORD
	s_movk_i32 s4, 0x7f
	v_cmp_lt_i16_e32 vcc, s4, v11
	s_mov_b64 s[4:5], 0
                                        ; implicit-def: $sgpr10
	s_and_saveexec_b64 s[6:7], vcc
	s_xor_b64 s[6:7], exec, s[6:7]
	s_cbranch_execnz .LBB19_2709
; %bb.661:
	s_or_saveexec_b64 s[6:7], s[6:7]
	v_mov_b32_e32 v12, s10
	s_xor_b64 exec, exec, s[6:7]
	s_cbranch_execnz .LBB19_2712
.LBB19_662:
	s_or_b64 exec, exec, s[6:7]
	s_and_saveexec_b64 s[6:7], s[4:5]
	s_cbranch_execz .LBB19_664
.LBB19_663:
	v_bfe_u32 v11, v2, 16, 3
	v_ffbh_u32_e32 v14, v11
	v_min_u32_e32 v14, 32, v14
	v_lshrrev_b32_e32 v12, 19, v2
	v_subrev_u32_e32 v15, 28, v14
	v_and_b32_e32 v12, 15, v12
	v_lshlrev_b32_sdwa v15, v15, v2 dst_sel:DWORD dst_unused:UNUSED_PAD src0_sel:DWORD src1_sel:WORD_1
	v_bfe_u32 v13, v2, 19, 4
	v_sub_u32_e32 v14, 29, v14
	v_and_b32_e32 v15, 7, v15
	v_cmp_eq_u16_e32 vcc, 0, v12
	v_cndmask_b32_e32 v11, v11, v15, vcc
	v_cndmask_b32_e32 v12, v13, v14, vcc
	v_lshlrev_b32_e32 v13, 8, v2
	v_mov_b32_e32 v14, 0x3b800000
	v_lshlrev_b32_e32 v11, 20, v11
	v_and_b32_e32 v13, 0x80000000, v13
	v_lshl_add_u32 v12, v12, 23, v14
	v_or3_b32 v12, v13, v12, v11
.LBB19_664:
	s_or_b64 exec, exec, s[6:7]
	s_nop 0
	v_mfma_f32_16x16x4f32 a[0:3], v10, v12, a[0:3]
	s_movk_i32 s4, 0x7f
	v_cmp_gt_i16_sdwa s[6:7], v6, s4 src0_sel:BYTE_3 src1_sel:DWORD
	s_mov_b64 s[4:5], 0
                                        ; implicit-def: $sgpr10
	s_and_saveexec_b64 s[8:9], s[6:7]
	s_xor_b64 s[6:7], exec, s[8:9]
	s_cbranch_execnz .LBB19_2713
; %bb.665:
	s_or_saveexec_b64 s[6:7], s[6:7]
	v_mov_b32_e32 v10, s10
	s_xor_b64 exec, exec, s[6:7]
	s_cbranch_execnz .LBB19_2716
.LBB19_666:
	s_or_b64 exec, exec, s[6:7]
	s_and_saveexec_b64 s[6:7], s[4:5]
	s_cbranch_execz .LBB19_668
.LBB19_667:
	v_bfe_u32 v10, v6, 24, 3
	v_ffbh_u32_e32 v14, v10
	v_min_u32_e32 v14, 32, v14
	v_lshrrev_b32_e32 v12, 27, v6
	v_subrev_u32_e32 v15, 28, v14
	v_and_b32_e32 v11, 0x80000000, v6
	v_and_b32_e32 v12, 15, v12
	v_bfe_u32 v13, v6, 27, 4
	v_lshlrev_b32_sdwa v6, v15, v6 dst_sel:DWORD dst_unused:UNUSED_PAD src0_sel:DWORD src1_sel:BYTE_3
	v_sub_u32_e32 v14, 29, v14
	v_and_b32_e32 v6, 7, v6
	v_cmp_eq_u16_e32 vcc, 0, v12
	v_cndmask_b32_e32 v6, v10, v6, vcc
	v_cndmask_b32_e32 v10, v13, v14, vcc
	v_mov_b32_e32 v12, 0x3b800000
	v_lshlrev_b32_e32 v6, 20, v6
	v_lshl_add_u32 v10, v10, 23, v12
	v_or3_b32 v10, v11, v10, v6
.LBB19_668:
	s_or_b64 exec, exec, s[6:7]
	s_movk_i32 s4, 0x7f
	v_cmp_gt_i16_sdwa s[6:7], v2, s4 src0_sel:BYTE_3 src1_sel:DWORD
	s_mov_b64 s[4:5], 0
                                        ; implicit-def: $sgpr10
	s_and_saveexec_b64 s[8:9], s[6:7]
	s_xor_b64 s[6:7], exec, s[8:9]
	s_cbranch_execnz .LBB19_2717
; %bb.669:
	s_or_saveexec_b64 s[6:7], s[6:7]
	v_mov_b32_e32 v6, s10
	s_xor_b64 exec, exec, s[6:7]
	s_cbranch_execnz .LBB19_2720
.LBB19_670:
	s_or_b64 exec, exec, s[6:7]
	s_and_saveexec_b64 s[6:7], s[4:5]
	s_cbranch_execz .LBB19_672
.LBB19_671:
	v_bfe_u32 v6, v2, 24, 3
	v_ffbh_u32_e32 v14, v6
	v_min_u32_e32 v14, 32, v14
	v_lshrrev_b32_e32 v12, 27, v2
	v_subrev_u32_e32 v15, 28, v14
	v_and_b32_e32 v11, 0x80000000, v2
	v_and_b32_e32 v12, 15, v12
	v_bfe_u32 v13, v2, 27, 4
	v_lshlrev_b32_sdwa v2, v15, v2 dst_sel:DWORD dst_unused:UNUSED_PAD src0_sel:DWORD src1_sel:BYTE_3
	v_sub_u32_e32 v14, 29, v14
	v_and_b32_e32 v2, 7, v2
	v_cmp_eq_u16_e32 vcc, 0, v12
	v_cndmask_b32_e32 v2, v6, v2, vcc
	v_cndmask_b32_e32 v6, v13, v14, vcc
	v_mov_b32_e32 v12, 0x3b800000
	v_lshlrev_b32_e32 v2, 20, v2
	v_lshl_add_u32 v6, v6, 23, v12
	v_or3_b32 v6, v11, v6, v2
.LBB19_672:
	s_or_b64 exec, exec, s[6:7]
	s_nop 0
	v_mfma_f32_16x16x4f32 a[0:3], v10, v6, a[0:3]
	s_movk_i32 s4, 0x7f
	v_cmp_gt_i16_sdwa s[6:7], v7, s4 src0_sel:BYTE_0 src1_sel:DWORD
	s_mov_b64 s[4:5], 0
                                        ; implicit-def: $sgpr10
	s_and_saveexec_b64 s[8:9], s[6:7]
	s_xor_b64 s[6:7], exec, s[8:9]
	s_cbranch_execnz .LBB19_2721
; %bb.673:
	s_or_saveexec_b64 s[6:7], s[6:7]
	v_mov_b32_e32 v2, s10
	s_xor_b64 exec, exec, s[6:7]
	s_cbranch_execnz .LBB19_2724
.LBB19_674:
	s_or_b64 exec, exec, s[6:7]
	s_and_saveexec_b64 s[6:7], s[4:5]
	s_cbranch_execz .LBB19_676
.LBB19_675:
	v_and_b32_e32 v2, 7, v7
	v_ffbh_u32_e32 v10, v2
	v_min_u32_e32 v10, 32, v10
	v_lshrrev_b16_e32 v6, 3, v7
	v_subrev_u32_e32 v11, 28, v10
	v_and_b32_e32 v6, 15, v6
	v_lshlrev_b32_e32 v11, v11, v7
	v_sub_u32_e32 v10, 29, v10
	v_and_b32_e32 v11, 7, v11
	v_cmp_eq_u16_e32 vcc, 0, v6
	v_cndmask_b32_e32 v2, v2, v11, vcc
	v_cndmask_b32_e32 v6, v6, v10, vcc
	v_lshlrev_b32_e32 v10, 24, v7
	v_mov_b32_e32 v11, 0x3b800000
	v_lshlrev_b32_e32 v2, 20, v2
	v_and_b32_e32 v10, 0x80000000, v10
	v_lshl_add_u32 v6, v6, 23, v11
	v_or3_b32 v2, v10, v6, v2
.LBB19_676:
	s_or_b64 exec, exec, s[6:7]
	s_movk_i32 s4, 0x7f
	v_cmp_gt_i16_sdwa s[6:7], v3, s4 src0_sel:BYTE_0 src1_sel:DWORD
	s_mov_b64 s[4:5], 0
                                        ; implicit-def: $sgpr10
	s_and_saveexec_b64 s[8:9], s[6:7]
	s_xor_b64 s[6:7], exec, s[8:9]
	s_cbranch_execnz .LBB19_2725
; %bb.677:
	s_or_saveexec_b64 s[6:7], s[6:7]
	v_mov_b32_e32 v6, s10
	s_xor_b64 exec, exec, s[6:7]
	s_cbranch_execnz .LBB19_2728
.LBB19_678:
	s_or_b64 exec, exec, s[6:7]
	s_and_saveexec_b64 s[6:7], s[4:5]
	s_cbranch_execz .LBB19_680
.LBB19_679:
	v_and_b32_e32 v6, 7, v3
	v_ffbh_u32_e32 v11, v6
	v_min_u32_e32 v11, 32, v11
	v_lshrrev_b16_e32 v10, 3, v3
	v_subrev_u32_e32 v12, 28, v11
	v_and_b32_e32 v10, 15, v10
	v_lshlrev_b32_e32 v12, v12, v3
	v_sub_u32_e32 v11, 29, v11
	v_and_b32_e32 v12, 7, v12
	v_cmp_eq_u16_e32 vcc, 0, v10
	v_cndmask_b32_e32 v6, v6, v12, vcc
	v_cndmask_b32_e32 v10, v10, v11, vcc
	v_lshlrev_b32_e32 v11, 24, v3
	v_mov_b32_e32 v12, 0x3b800000
	v_lshlrev_b32_e32 v6, 20, v6
	v_and_b32_e32 v11, 0x80000000, v11
	v_lshl_add_u32 v10, v10, 23, v12
	v_or3_b32 v6, v11, v10, v6
.LBB19_680:
	s_or_b64 exec, exec, s[6:7]
	s_nop 0
	v_mfma_f32_16x16x4f32 a[0:3], v2, v6, a[0:3]
	v_lshrrev_b32_e32 v6, 8, v7
	s_movk_i32 s4, 0x7f
	v_cmp_gt_i16_sdwa s[6:7], v6, s4 src0_sel:BYTE_0 src1_sel:DWORD
	s_mov_b64 s[4:5], 0
                                        ; implicit-def: $sgpr10
	s_and_saveexec_b64 s[8:9], s[6:7]
	s_xor_b64 s[6:7], exec, s[8:9]
	s_cbranch_execnz .LBB19_2729
; %bb.681:
	s_or_saveexec_b64 s[6:7], s[6:7]
	v_mov_b32_e32 v2, s10
	s_xor_b64 exec, exec, s[6:7]
	s_cbranch_execnz .LBB19_2732
.LBB19_682:
	s_or_b64 exec, exec, s[6:7]
	s_and_saveexec_b64 s[6:7], s[4:5]
	s_cbranch_execz .LBB19_684
.LBB19_683:
	v_bfe_u32 v2, v7, 8, 3
	v_ffbh_u32_e32 v11, v2
	v_min_u32_e32 v11, 32, v11
	v_lshrrev_b16_e32 v10, 3, v6
	v_subrev_u32_e32 v12, 28, v11
	v_and_b32_e32 v10, 15, v10
	v_lshlrev_b32_e32 v6, v12, v6
	v_sub_u32_e32 v11, 29, v11
	v_and_b32_e32 v6, 7, v6
	v_cmp_eq_u16_e32 vcc, 0, v10
	v_cndmask_b32_e32 v2, v2, v6, vcc
	v_cndmask_b32_e32 v6, v10, v11, vcc
	v_lshlrev_b32_e32 v10, 16, v7
	v_mov_b32_e32 v11, 0x3b800000
	v_lshlrev_b32_e32 v2, 20, v2
	v_and_b32_e32 v10, 0x80000000, v10
	v_lshl_add_u32 v6, v6, 23, v11
	v_or3_b32 v2, v10, v6, v2
.LBB19_684:
	s_or_b64 exec, exec, s[6:7]
	v_lshrrev_b32_e32 v6, 8, v3
	s_movk_i32 s4, 0x7f
	v_cmp_gt_i16_sdwa s[6:7], v6, s4 src0_sel:BYTE_0 src1_sel:DWORD
	s_mov_b64 s[4:5], 0
                                        ; implicit-def: $sgpr10
	s_and_saveexec_b64 s[8:9], s[6:7]
	s_xor_b64 s[6:7], exec, s[8:9]
	s_cbranch_execnz .LBB19_2733
; %bb.685:
	s_or_saveexec_b64 s[6:7], s[6:7]
	v_mov_b32_e32 v10, s10
	s_xor_b64 exec, exec, s[6:7]
	s_cbranch_execnz .LBB19_2736
.LBB19_686:
	s_or_b64 exec, exec, s[6:7]
	s_and_saveexec_b64 s[6:7], s[4:5]
	s_cbranch_execz .LBB19_688
.LBB19_687:
	v_bfe_u32 v10, v3, 8, 3
	v_ffbh_u32_e32 v12, v10
	v_min_u32_e32 v12, 32, v12
	v_lshrrev_b16_e32 v11, 3, v6
	v_subrev_u32_e32 v13, 28, v12
	v_and_b32_e32 v11, 15, v11
	v_lshlrev_b32_e32 v6, v13, v6
	v_sub_u32_e32 v12, 29, v12
	v_and_b32_e32 v6, 7, v6
	v_cmp_eq_u16_e32 vcc, 0, v11
	v_cndmask_b32_e32 v6, v10, v6, vcc
	v_cndmask_b32_e32 v10, v11, v12, vcc
	v_lshlrev_b32_e32 v11, 16, v3
	v_mov_b32_e32 v12, 0x3b800000
	v_lshlrev_b32_e32 v6, 20, v6
	v_and_b32_e32 v11, 0x80000000, v11
	v_lshl_add_u32 v10, v10, 23, v12
	v_or3_b32 v10, v11, v10, v6
.LBB19_688:
	s_or_b64 exec, exec, s[6:7]
	s_nop 0
	v_mfma_f32_16x16x4f32 a[0:3], v2, v10, a[0:3]
	s_movk_i32 s4, 0xff
	v_and_b32_sdwa v6, v7, s4 dst_sel:DWORD dst_unused:UNUSED_PAD src0_sel:WORD_1 src1_sel:DWORD
	s_movk_i32 s4, 0x7f
	v_cmp_lt_i16_e32 vcc, s4, v6
	s_mov_b64 s[4:5], 0
                                        ; implicit-def: $sgpr10
	s_and_saveexec_b64 s[6:7], vcc
	s_xor_b64 s[6:7], exec, s[6:7]
	s_cbranch_execnz .LBB19_2737
; %bb.689:
	s_or_saveexec_b64 s[6:7], s[6:7]
	v_mov_b32_e32 v2, s10
	s_xor_b64 exec, exec, s[6:7]
	s_cbranch_execnz .LBB19_2740
.LBB19_690:
	s_or_b64 exec, exec, s[6:7]
	s_and_saveexec_b64 s[6:7], s[4:5]
	s_cbranch_execz .LBB19_692
.LBB19_691:
	v_bfe_u32 v2, v7, 16, 3
	v_ffbh_u32_e32 v11, v2
	v_min_u32_e32 v11, 32, v11
	v_lshrrev_b32_e32 v6, 19, v7
	v_subrev_u32_e32 v12, 28, v11
	v_and_b32_e32 v6, 15, v6
	v_lshlrev_b32_sdwa v12, v12, v7 dst_sel:DWORD dst_unused:UNUSED_PAD src0_sel:DWORD src1_sel:WORD_1
	v_bfe_u32 v10, v7, 19, 4
	v_sub_u32_e32 v11, 29, v11
	v_and_b32_e32 v12, 7, v12
	v_cmp_eq_u16_e32 vcc, 0, v6
	v_cndmask_b32_e32 v2, v2, v12, vcc
	v_cndmask_b32_e32 v6, v10, v11, vcc
	v_lshlrev_b32_e32 v10, 8, v7
	v_mov_b32_e32 v11, 0x3b800000
	v_lshlrev_b32_e32 v2, 20, v2
	v_and_b32_e32 v10, 0x80000000, v10
	v_lshl_add_u32 v6, v6, 23, v11
	v_or3_b32 v2, v10, v6, v2
.LBB19_692:
	s_or_b64 exec, exec, s[6:7]
	s_movk_i32 s4, 0xff
	v_and_b32_sdwa v6, v3, s4 dst_sel:DWORD dst_unused:UNUSED_PAD src0_sel:WORD_1 src1_sel:DWORD
	s_movk_i32 s4, 0x7f
	v_cmp_lt_i16_e32 vcc, s4, v6
	s_mov_b64 s[4:5], 0
                                        ; implicit-def: $sgpr10
	s_and_saveexec_b64 s[6:7], vcc
	s_xor_b64 s[6:7], exec, s[6:7]
	s_cbranch_execnz .LBB19_2741
; %bb.693:
	s_or_saveexec_b64 s[6:7], s[6:7]
	v_mov_b32_e32 v10, s10
	s_xor_b64 exec, exec, s[6:7]
	s_cbranch_execnz .LBB19_2744
.LBB19_694:
	s_or_b64 exec, exec, s[6:7]
	s_and_saveexec_b64 s[6:7], s[4:5]
	s_cbranch_execz .LBB19_696
.LBB19_695:
	v_bfe_u32 v6, v3, 16, 3
	v_ffbh_u32_e32 v12, v6
	v_min_u32_e32 v12, 32, v12
	v_lshrrev_b32_e32 v10, 19, v3
	v_subrev_u32_e32 v13, 28, v12
	v_and_b32_e32 v10, 15, v10
	v_lshlrev_b32_sdwa v13, v13, v3 dst_sel:DWORD dst_unused:UNUSED_PAD src0_sel:DWORD src1_sel:WORD_1
	v_bfe_u32 v11, v3, 19, 4
	v_sub_u32_e32 v12, 29, v12
	v_and_b32_e32 v13, 7, v13
	v_cmp_eq_u16_e32 vcc, 0, v10
	v_cndmask_b32_e32 v6, v6, v13, vcc
	v_cndmask_b32_e32 v10, v11, v12, vcc
	v_lshlrev_b32_e32 v11, 8, v3
	v_mov_b32_e32 v12, 0x3b800000
	v_lshlrev_b32_e32 v6, 20, v6
	v_and_b32_e32 v11, 0x80000000, v11
	v_lshl_add_u32 v10, v10, 23, v12
	v_or3_b32 v10, v11, v10, v6
.LBB19_696:
	s_or_b64 exec, exec, s[6:7]
	s_nop 0
	v_mfma_f32_16x16x4f32 a[0:3], v2, v10, a[0:3]
	s_movk_i32 s4, 0x7f
	v_cmp_gt_i16_sdwa s[6:7], v7, s4 src0_sel:BYTE_3 src1_sel:DWORD
	s_mov_b64 s[4:5], 0
                                        ; implicit-def: $sgpr10
	s_and_saveexec_b64 s[8:9], s[6:7]
	s_xor_b64 s[6:7], exec, s[8:9]
	s_cbranch_execnz .LBB19_2745
; %bb.697:
	s_or_saveexec_b64 s[6:7], s[6:7]
	v_mov_b32_e32 v2, s10
	s_xor_b64 exec, exec, s[6:7]
	s_cbranch_execnz .LBB19_2748
.LBB19_698:
	s_or_b64 exec, exec, s[6:7]
	s_and_saveexec_b64 s[6:7], s[4:5]
	s_cbranch_execz .LBB19_700
.LBB19_699:
	v_bfe_u32 v2, v7, 24, 3
	v_ffbh_u32_e32 v12, v2
	v_min_u32_e32 v12, 32, v12
	v_lshrrev_b32_e32 v10, 27, v7
	v_subrev_u32_e32 v13, 28, v12
	v_and_b32_e32 v6, 0x80000000, v7
	v_and_b32_e32 v10, 15, v10
	v_bfe_u32 v11, v7, 27, 4
	v_lshlrev_b32_sdwa v7, v13, v7 dst_sel:DWORD dst_unused:UNUSED_PAD src0_sel:DWORD src1_sel:BYTE_3
	v_sub_u32_e32 v12, 29, v12
	v_and_b32_e32 v7, 7, v7
	v_cmp_eq_u16_e32 vcc, 0, v10
	v_cndmask_b32_e32 v2, v2, v7, vcc
	v_cndmask_b32_e32 v7, v11, v12, vcc
	v_mov_b32_e32 v10, 0x3b800000
	v_lshlrev_b32_e32 v2, 20, v2
	v_lshl_add_u32 v7, v7, 23, v10
	v_or3_b32 v2, v6, v7, v2
.LBB19_700:
	s_or_b64 exec, exec, s[6:7]
	s_movk_i32 s4, 0x7f
	v_cmp_gt_i16_sdwa s[6:7], v3, s4 src0_sel:BYTE_3 src1_sel:DWORD
	s_mov_b64 s[4:5], 0
                                        ; implicit-def: $sgpr10
	s_and_saveexec_b64 s[8:9], s[6:7]
	s_xor_b64 s[6:7], exec, s[8:9]
	s_cbranch_execnz .LBB19_2749
; %bb.701:
	s_or_saveexec_b64 s[6:7], s[6:7]
	v_mov_b32_e32 v6, s10
	s_xor_b64 exec, exec, s[6:7]
	s_cbranch_execnz .LBB19_2752
.LBB19_702:
	s_or_b64 exec, exec, s[6:7]
	s_and_saveexec_b64 s[6:7], s[4:5]
	s_cbranch_execz .LBB19_704
.LBB19_703:
	v_bfe_u32 v6, v3, 24, 3
	v_ffbh_u32_e32 v12, v6
	v_min_u32_e32 v12, 32, v12
	v_lshrrev_b32_e32 v10, 27, v3
	v_subrev_u32_e32 v13, 28, v12
	v_and_b32_e32 v7, 0x80000000, v3
	v_and_b32_e32 v10, 15, v10
	v_bfe_u32 v11, v3, 27, 4
	v_lshlrev_b32_sdwa v3, v13, v3 dst_sel:DWORD dst_unused:UNUSED_PAD src0_sel:DWORD src1_sel:BYTE_3
	v_sub_u32_e32 v12, 29, v12
	v_and_b32_e32 v3, 7, v3
	v_cmp_eq_u16_e32 vcc, 0, v10
	v_cndmask_b32_e32 v3, v6, v3, vcc
	v_cndmask_b32_e32 v6, v11, v12, vcc
	v_mov_b32_e32 v10, 0x3b800000
	v_lshlrev_b32_e32 v3, 20, v3
	v_lshl_add_u32 v6, v6, 23, v10
	v_or3_b32 v6, v7, v6, v3
.LBB19_704:
	s_or_b64 exec, exec, s[6:7]
	s_nop 0
	v_mfma_f32_16x16x4f32 a[0:3], v2, v6, a[0:3]
	s_movk_i32 s4, 0x7f
	v_cmp_gt_i16_sdwa s[6:7], v8, s4 src0_sel:BYTE_0 src1_sel:DWORD
	s_mov_b64 s[4:5], 0
                                        ; implicit-def: $sgpr10
	s_and_saveexec_b64 s[8:9], s[6:7]
	s_xor_b64 s[6:7], exec, s[8:9]
	s_cbranch_execnz .LBB19_2753
; %bb.705:
	s_or_saveexec_b64 s[6:7], s[6:7]
	v_mov_b32_e32 v2, s10
	s_xor_b64 exec, exec, s[6:7]
	s_cbranch_execnz .LBB19_2756
.LBB19_706:
	s_or_b64 exec, exec, s[6:7]
	s_and_saveexec_b64 s[6:7], s[4:5]
	s_cbranch_execz .LBB19_708
.LBB19_707:
	v_and_b32_e32 v2, 7, v8
	v_ffbh_u32_e32 v6, v2
	v_min_u32_e32 v6, 32, v6
	v_lshrrev_b16_e32 v3, 3, v8
	v_subrev_u32_e32 v7, 28, v6
	v_and_b32_e32 v3, 15, v3
	v_lshlrev_b32_e32 v7, v7, v8
	v_sub_u32_e32 v6, 29, v6
	v_and_b32_e32 v7, 7, v7
	v_cmp_eq_u16_e32 vcc, 0, v3
	v_cndmask_b32_e32 v2, v2, v7, vcc
	v_cndmask_b32_e32 v3, v3, v6, vcc
	v_lshlrev_b32_e32 v6, 24, v8
	v_mov_b32_e32 v7, 0x3b800000
	v_lshlrev_b32_e32 v2, 20, v2
	v_and_b32_e32 v6, 0x80000000, v6
	v_lshl_add_u32 v3, v3, 23, v7
	v_or3_b32 v2, v6, v3, v2
.LBB19_708:
	s_or_b64 exec, exec, s[6:7]
	s_movk_i32 s4, 0x7f
	v_cmp_gt_i16_sdwa s[6:7], v4, s4 src0_sel:BYTE_0 src1_sel:DWORD
	s_mov_b64 s[4:5], 0
                                        ; implicit-def: $sgpr10
	s_and_saveexec_b64 s[8:9], s[6:7]
	s_xor_b64 s[6:7], exec, s[8:9]
	s_cbranch_execnz .LBB19_2757
; %bb.709:
	s_or_saveexec_b64 s[6:7], s[6:7]
	v_mov_b32_e32 v3, s10
	s_xor_b64 exec, exec, s[6:7]
	s_cbranch_execnz .LBB19_2760
.LBB19_710:
	s_or_b64 exec, exec, s[6:7]
	s_and_saveexec_b64 s[6:7], s[4:5]
	s_cbranch_execz .LBB19_712
.LBB19_711:
	v_and_b32_e32 v3, 7, v4
	v_ffbh_u32_e32 v7, v3
	v_min_u32_e32 v7, 32, v7
	v_lshrrev_b16_e32 v6, 3, v4
	v_subrev_u32_e32 v10, 28, v7
	v_and_b32_e32 v6, 15, v6
	v_lshlrev_b32_e32 v10, v10, v4
	v_sub_u32_e32 v7, 29, v7
	v_and_b32_e32 v10, 7, v10
	v_cmp_eq_u16_e32 vcc, 0, v6
	v_cndmask_b32_e32 v3, v3, v10, vcc
	v_cndmask_b32_e32 v6, v6, v7, vcc
	v_lshlrev_b32_e32 v7, 24, v4
	v_mov_b32_e32 v10, 0x3b800000
	v_lshlrev_b32_e32 v3, 20, v3
	v_and_b32_e32 v7, 0x80000000, v7
	v_lshl_add_u32 v6, v6, 23, v10
	v_or3_b32 v3, v7, v6, v3
.LBB19_712:
	s_or_b64 exec, exec, s[6:7]
	s_nop 0
	v_mfma_f32_16x16x4f32 a[0:3], v2, v3, a[0:3]
	v_lshrrev_b32_e32 v3, 8, v8
	s_movk_i32 s4, 0x7f
	v_cmp_gt_i16_sdwa s[6:7], v3, s4 src0_sel:BYTE_0 src1_sel:DWORD
	s_mov_b64 s[4:5], 0
                                        ; implicit-def: $sgpr10
	s_and_saveexec_b64 s[8:9], s[6:7]
	s_xor_b64 s[6:7], exec, s[8:9]
	s_cbranch_execnz .LBB19_2761
; %bb.713:
	s_or_saveexec_b64 s[6:7], s[6:7]
	v_mov_b32_e32 v2, s10
	s_xor_b64 exec, exec, s[6:7]
	s_cbranch_execnz .LBB19_2764
.LBB19_714:
	s_or_b64 exec, exec, s[6:7]
	s_and_saveexec_b64 s[6:7], s[4:5]
	s_cbranch_execz .LBB19_716
.LBB19_715:
	v_bfe_u32 v2, v8, 8, 3
	v_ffbh_u32_e32 v7, v2
	v_min_u32_e32 v7, 32, v7
	v_lshrrev_b16_e32 v6, 3, v3
	v_subrev_u32_e32 v10, 28, v7
	v_and_b32_e32 v6, 15, v6
	v_lshlrev_b32_e32 v3, v10, v3
	v_sub_u32_e32 v7, 29, v7
	v_and_b32_e32 v3, 7, v3
	v_cmp_eq_u16_e32 vcc, 0, v6
	v_cndmask_b32_e32 v2, v2, v3, vcc
	v_cndmask_b32_e32 v3, v6, v7, vcc
	v_lshlrev_b32_e32 v6, 16, v8
	v_mov_b32_e32 v7, 0x3b800000
	v_lshlrev_b32_e32 v2, 20, v2
	v_and_b32_e32 v6, 0x80000000, v6
	v_lshl_add_u32 v3, v3, 23, v7
	v_or3_b32 v2, v6, v3, v2
.LBB19_716:
	s_or_b64 exec, exec, s[6:7]
	v_lshrrev_b32_e32 v3, 8, v4
	s_movk_i32 s4, 0x7f
	v_cmp_gt_i16_sdwa s[6:7], v3, s4 src0_sel:BYTE_0 src1_sel:DWORD
	s_mov_b64 s[4:5], 0
                                        ; implicit-def: $sgpr10
	s_and_saveexec_b64 s[8:9], s[6:7]
	s_xor_b64 s[6:7], exec, s[8:9]
	s_cbranch_execnz .LBB19_2765
; %bb.717:
	s_or_saveexec_b64 s[6:7], s[6:7]
	v_mov_b32_e32 v6, s10
	s_xor_b64 exec, exec, s[6:7]
	s_cbranch_execnz .LBB19_2768
.LBB19_718:
	s_or_b64 exec, exec, s[6:7]
	s_and_saveexec_b64 s[6:7], s[4:5]
	s_cbranch_execz .LBB19_720
.LBB19_719:
	v_bfe_u32 v6, v4, 8, 3
	v_ffbh_u32_e32 v10, v6
	v_min_u32_e32 v10, 32, v10
	v_lshrrev_b16_e32 v7, 3, v3
	v_subrev_u32_e32 v11, 28, v10
	v_and_b32_e32 v7, 15, v7
	v_lshlrev_b32_e32 v3, v11, v3
	v_sub_u32_e32 v10, 29, v10
	v_and_b32_e32 v3, 7, v3
	v_cmp_eq_u16_e32 vcc, 0, v7
	v_cndmask_b32_e32 v3, v6, v3, vcc
	v_cndmask_b32_e32 v6, v7, v10, vcc
	v_lshlrev_b32_e32 v7, 16, v4
	v_mov_b32_e32 v10, 0x3b800000
	v_lshlrev_b32_e32 v3, 20, v3
	v_and_b32_e32 v7, 0x80000000, v7
	v_lshl_add_u32 v6, v6, 23, v10
	v_or3_b32 v6, v7, v6, v3
.LBB19_720:
	s_or_b64 exec, exec, s[6:7]
	s_nop 0
	v_mfma_f32_16x16x4f32 a[0:3], v2, v6, a[0:3]
	s_movk_i32 s4, 0xff
	v_and_b32_sdwa v3, v8, s4 dst_sel:DWORD dst_unused:UNUSED_PAD src0_sel:WORD_1 src1_sel:DWORD
	s_movk_i32 s4, 0x7f
	v_cmp_lt_i16_e32 vcc, s4, v3
	s_mov_b64 s[4:5], 0
                                        ; implicit-def: $sgpr10
	s_and_saveexec_b64 s[6:7], vcc
	s_xor_b64 s[6:7], exec, s[6:7]
	s_cbranch_execnz .LBB19_2769
; %bb.721:
	s_or_saveexec_b64 s[6:7], s[6:7]
	v_mov_b32_e32 v2, s10
	s_xor_b64 exec, exec, s[6:7]
	s_cbranch_execnz .LBB19_2772
.LBB19_722:
	s_or_b64 exec, exec, s[6:7]
	s_and_saveexec_b64 s[6:7], s[4:5]
	s_cbranch_execz .LBB19_724
.LBB19_723:
	v_bfe_u32 v2, v8, 16, 3
	v_ffbh_u32_e32 v7, v2
	v_min_u32_e32 v7, 32, v7
	v_lshrrev_b32_e32 v3, 19, v8
	v_subrev_u32_e32 v10, 28, v7
	v_and_b32_e32 v3, 15, v3
	v_lshlrev_b32_sdwa v10, v10, v8 dst_sel:DWORD dst_unused:UNUSED_PAD src0_sel:DWORD src1_sel:WORD_1
	v_bfe_u32 v6, v8, 19, 4
	v_sub_u32_e32 v7, 29, v7
	v_and_b32_e32 v10, 7, v10
	v_cmp_eq_u16_e32 vcc, 0, v3
	v_cndmask_b32_e32 v2, v2, v10, vcc
	v_cndmask_b32_e32 v3, v6, v7, vcc
	v_lshlrev_b32_e32 v6, 8, v8
	v_mov_b32_e32 v7, 0x3b800000
	v_lshlrev_b32_e32 v2, 20, v2
	v_and_b32_e32 v6, 0x80000000, v6
	v_lshl_add_u32 v3, v3, 23, v7
	v_or3_b32 v2, v6, v3, v2
.LBB19_724:
	s_or_b64 exec, exec, s[6:7]
	s_movk_i32 s4, 0xff
	v_and_b32_sdwa v3, v4, s4 dst_sel:DWORD dst_unused:UNUSED_PAD src0_sel:WORD_1 src1_sel:DWORD
	s_movk_i32 s4, 0x7f
	v_cmp_lt_i16_e32 vcc, s4, v3
	s_mov_b64 s[4:5], 0
                                        ; implicit-def: $sgpr10
	s_and_saveexec_b64 s[6:7], vcc
	s_xor_b64 s[6:7], exec, s[6:7]
	s_cbranch_execnz .LBB19_2773
; %bb.725:
	s_or_saveexec_b64 s[6:7], s[6:7]
	v_mov_b32_e32 v6, s10
	s_xor_b64 exec, exec, s[6:7]
	s_cbranch_execnz .LBB19_2776
.LBB19_726:
	s_or_b64 exec, exec, s[6:7]
	s_and_saveexec_b64 s[6:7], s[4:5]
	s_cbranch_execz .LBB19_728
.LBB19_727:
	v_bfe_u32 v3, v4, 16, 3
	v_ffbh_u32_e32 v10, v3
	v_min_u32_e32 v10, 32, v10
	v_lshrrev_b32_e32 v6, 19, v4
	v_subrev_u32_e32 v11, 28, v10
	v_and_b32_e32 v6, 15, v6
	v_lshlrev_b32_sdwa v11, v11, v4 dst_sel:DWORD dst_unused:UNUSED_PAD src0_sel:DWORD src1_sel:WORD_1
	v_bfe_u32 v7, v4, 19, 4
	v_sub_u32_e32 v10, 29, v10
	v_and_b32_e32 v11, 7, v11
	v_cmp_eq_u16_e32 vcc, 0, v6
	v_cndmask_b32_e32 v3, v3, v11, vcc
	v_cndmask_b32_e32 v6, v7, v10, vcc
	v_lshlrev_b32_e32 v7, 8, v4
	v_mov_b32_e32 v10, 0x3b800000
	v_lshlrev_b32_e32 v3, 20, v3
	v_and_b32_e32 v7, 0x80000000, v7
	v_lshl_add_u32 v6, v6, 23, v10
	v_or3_b32 v6, v7, v6, v3
.LBB19_728:
	s_or_b64 exec, exec, s[6:7]
	s_nop 0
	v_mfma_f32_16x16x4f32 a[0:3], v2, v6, a[0:3]
	s_movk_i32 s4, 0x7f
	v_cmp_gt_i16_sdwa s[6:7], v8, s4 src0_sel:BYTE_3 src1_sel:DWORD
	s_mov_b64 s[4:5], 0
                                        ; implicit-def: $sgpr10
	s_and_saveexec_b64 s[8:9], s[6:7]
	s_xor_b64 s[6:7], exec, s[8:9]
	s_cbranch_execnz .LBB19_2777
; %bb.729:
	s_or_saveexec_b64 s[6:7], s[6:7]
	v_mov_b32_e32 v2, s10
	s_xor_b64 exec, exec, s[6:7]
	s_cbranch_execnz .LBB19_2780
.LBB19_730:
	s_or_b64 exec, exec, s[6:7]
	s_and_saveexec_b64 s[6:7], s[4:5]
	s_cbranch_execz .LBB19_732
.LBB19_731:
	v_bfe_u32 v2, v8, 24, 3
	v_ffbh_u32_e32 v10, v2
	v_min_u32_e32 v10, 32, v10
	v_lshrrev_b32_e32 v6, 27, v8
	v_subrev_u32_e32 v11, 28, v10
	v_and_b32_e32 v3, 0x80000000, v8
	v_and_b32_e32 v6, 15, v6
	v_bfe_u32 v7, v8, 27, 4
	v_lshlrev_b32_sdwa v8, v11, v8 dst_sel:DWORD dst_unused:UNUSED_PAD src0_sel:DWORD src1_sel:BYTE_3
	v_sub_u32_e32 v10, 29, v10
	v_and_b32_e32 v8, 7, v8
	v_cmp_eq_u16_e32 vcc, 0, v6
	v_cndmask_b32_e32 v2, v2, v8, vcc
	v_cndmask_b32_e32 v6, v7, v10, vcc
	v_mov_b32_e32 v7, 0x3b800000
	v_lshlrev_b32_e32 v2, 20, v2
	v_lshl_add_u32 v6, v6, 23, v7
	v_or3_b32 v2, v3, v6, v2
.LBB19_732:
	s_or_b64 exec, exec, s[6:7]
	s_movk_i32 s4, 0x7f
	v_cmp_gt_i16_sdwa s[6:7], v4, s4 src0_sel:BYTE_3 src1_sel:DWORD
	s_mov_b64 s[4:5], 0
                                        ; implicit-def: $sgpr10
	s_and_saveexec_b64 s[8:9], s[6:7]
	s_xor_b64 s[6:7], exec, s[8:9]
	s_cbranch_execnz .LBB19_2781
; %bb.733:
	s_or_saveexec_b64 s[6:7], s[6:7]
	v_mov_b32_e32 v3, s10
	s_xor_b64 exec, exec, s[6:7]
	s_cbranch_execnz .LBB19_2784
.LBB19_734:
	s_or_b64 exec, exec, s[6:7]
	s_and_saveexec_b64 s[6:7], s[4:5]
	s_cbranch_execz .LBB19_736
.LBB19_735:
	v_bfe_u32 v3, v4, 24, 3
	v_ffbh_u32_e32 v10, v3
	v_min_u32_e32 v10, 32, v10
	v_lshrrev_b32_e32 v7, 27, v4
	v_subrev_u32_e32 v11, 28, v10
	v_and_b32_e32 v6, 0x80000000, v4
	v_and_b32_e32 v7, 15, v7
	v_bfe_u32 v8, v4, 27, 4
	v_lshlrev_b32_sdwa v4, v11, v4 dst_sel:DWORD dst_unused:UNUSED_PAD src0_sel:DWORD src1_sel:BYTE_3
	v_sub_u32_e32 v10, 29, v10
	v_and_b32_e32 v4, 7, v4
	v_cmp_eq_u16_e32 vcc, 0, v7
	v_cndmask_b32_e32 v3, v3, v4, vcc
	v_cndmask_b32_e32 v4, v8, v10, vcc
	v_mov_b32_e32 v7, 0x3b800000
	v_lshlrev_b32_e32 v3, 20, v3
	v_lshl_add_u32 v4, v4, 23, v7
	v_or3_b32 v3, v6, v4, v3
.LBB19_736:
	s_or_b64 exec, exec, s[6:7]
	s_nop 0
	v_mfma_f32_16x16x4f32 a[0:3], v2, v3, a[0:3]
	s_movk_i32 s4, 0x7f
	v_cmp_gt_i16_sdwa s[6:7], v9, s4 src0_sel:BYTE_0 src1_sel:DWORD
	s_mov_b64 s[4:5], 0
                                        ; implicit-def: $sgpr10
	s_and_saveexec_b64 s[8:9], s[6:7]
	s_xor_b64 s[6:7], exec, s[8:9]
	s_cbranch_execnz .LBB19_2785
; %bb.737:
	s_or_saveexec_b64 s[6:7], s[6:7]
	v_mov_b32_e32 v2, s10
	s_xor_b64 exec, exec, s[6:7]
	s_cbranch_execnz .LBB19_2788
.LBB19_738:
	s_or_b64 exec, exec, s[6:7]
	s_and_saveexec_b64 s[6:7], s[4:5]
	s_cbranch_execz .LBB19_740
.LBB19_739:
	v_mov_b32_e32 v2, 8
	v_and_b32_e32 v3, 7, v9
	v_lshrrev_b32_sdwa v2, v2, v9 dst_sel:BYTE_1 dst_unused:UNUSED_PAD src0_sel:DWORD src1_sel:DWORD
	v_ffbh_u32_e32 v4, v3
	v_or_b32_sdwa v2, v9, v2 dst_sel:DWORD dst_unused:UNUSED_PAD src0_sel:BYTE_0 src1_sel:DWORD
	v_min_u32_e32 v4, 32, v4
	v_lshrrev_b16_e32 v2, 3, v2
	v_subrev_u32_e32 v6, 28, v4
	v_and_b32_e32 v2, 15, v2
	v_lshlrev_b32_e32 v6, v6, v9
	v_sub_u32_e32 v4, 29, v4
	v_and_b32_e32 v6, 7, v6
	v_cmp_eq_u16_e32 vcc, 0, v2
	v_cndmask_b32_e32 v3, v3, v6, vcc
	v_cndmask_b32_e32 v2, v2, v4, vcc
	v_lshlrev_b32_e32 v4, 24, v9
	v_mov_b32_e32 v6, 0x3b800000
	v_lshlrev_b32_e32 v3, 20, v3
	v_and_b32_e32 v4, 0x80000000, v4
	v_lshl_add_u32 v2, v2, 23, v6
	v_or3_b32 v2, v4, v2, v3
.LBB19_740:
	s_or_b64 exec, exec, s[6:7]
	s_movk_i32 s4, 0x7f
	v_cmp_gt_i16_sdwa s[6:7], v5, s4 src0_sel:BYTE_0 src1_sel:DWORD
	s_mov_b64 s[4:5], 0
                                        ; implicit-def: $sgpr10
	s_and_saveexec_b64 s[8:9], s[6:7]
	s_xor_b64 s[6:7], exec, s[8:9]
	s_cbranch_execnz .LBB19_2789
; %bb.741:
	s_or_saveexec_b64 s[6:7], s[6:7]
	v_mov_b32_e32 v3, s10
	s_xor_b64 exec, exec, s[6:7]
	s_cbranch_execnz .LBB19_2792
.LBB19_742:
	s_or_b64 exec, exec, s[6:7]
	s_and_saveexec_b64 s[6:7], s[4:5]
	s_cbranch_execz .LBB19_744
.LBB19_743:
	v_mov_b32_e32 v3, 8
	v_and_b32_e32 v4, 7, v5
	v_lshrrev_b32_sdwa v3, v3, v5 dst_sel:BYTE_1 dst_unused:UNUSED_PAD src0_sel:DWORD src1_sel:DWORD
	v_ffbh_u32_e32 v6, v4
	v_or_b32_sdwa v3, v5, v3 dst_sel:DWORD dst_unused:UNUSED_PAD src0_sel:BYTE_0 src1_sel:DWORD
	v_min_u32_e32 v6, 32, v6
	v_lshrrev_b16_e32 v3, 3, v3
	v_subrev_u32_e32 v7, 28, v6
	v_and_b32_e32 v3, 15, v3
	v_lshlrev_b32_e32 v7, v7, v5
	v_sub_u32_e32 v6, 29, v6
	v_and_b32_e32 v7, 7, v7
	v_cmp_eq_u16_e32 vcc, 0, v3
	v_cndmask_b32_e32 v4, v4, v7, vcc
	v_cndmask_b32_e32 v3, v3, v6, vcc
	v_lshlrev_b32_e32 v6, 24, v5
	v_mov_b32_e32 v7, 0x3b800000
	v_lshlrev_b32_e32 v4, 20, v4
	v_and_b32_e32 v6, 0x80000000, v6
	v_lshl_add_u32 v3, v3, 23, v7
	v_or3_b32 v3, v6, v3, v4
.LBB19_744:
	s_or_b64 exec, exec, s[6:7]
	s_nop 0
	v_mfma_f32_16x16x4f32 a[0:3], v2, v3, a[0:3]
	v_lshrrev_b32_e32 v3, 8, v9
	s_movk_i32 s4, 0x7f
	v_cmp_gt_i16_sdwa s[6:7], v3, s4 src0_sel:BYTE_0 src1_sel:DWORD
	s_mov_b64 s[4:5], 0
                                        ; implicit-def: $sgpr10
	s_and_saveexec_b64 s[8:9], s[6:7]
	s_xor_b64 s[6:7], exec, s[8:9]
	s_cbranch_execnz .LBB19_2793
; %bb.745:
	s_or_saveexec_b64 s[6:7], s[6:7]
	v_mov_b32_e32 v2, s10
	s_xor_b64 exec, exec, s[6:7]
	s_cbranch_execnz .LBB19_2796
.LBB19_746:
	s_or_b64 exec, exec, s[6:7]
	s_and_saveexec_b64 s[6:7], s[4:5]
	s_cbranch_execz .LBB19_748
.LBB19_747:
	v_bfe_u32 v2, v9, 8, 3
	v_ffbh_u32_e32 v6, v2
	v_min_u32_e32 v6, 32, v6
	v_lshrrev_b16_e32 v4, 3, v3
	v_subrev_u32_e32 v7, 28, v6
	v_and_b32_e32 v4, 15, v4
	v_lshlrev_b32_e32 v3, v7, v3
	v_sub_u32_e32 v6, 29, v6
	v_and_b32_e32 v3, 7, v3
	v_cmp_eq_u16_e32 vcc, 0, v4
	v_cndmask_b32_e32 v2, v2, v3, vcc
	v_cndmask_b32_e32 v3, v4, v6, vcc
	v_lshlrev_b32_e32 v4, 16, v9
	v_mov_b32_e32 v6, 0x3b800000
	v_lshlrev_b32_e32 v2, 20, v2
	v_and_b32_e32 v4, 0x80000000, v4
	v_lshl_add_u32 v3, v3, 23, v6
	v_or3_b32 v2, v4, v3, v2
.LBB19_748:
	s_or_b64 exec, exec, s[6:7]
	v_lshrrev_b32_e32 v3, 8, v5
	s_movk_i32 s4, 0x7f
	v_cmp_gt_i16_sdwa s[6:7], v3, s4 src0_sel:BYTE_0 src1_sel:DWORD
	s_mov_b64 s[4:5], 0
                                        ; implicit-def: $sgpr10
	s_and_saveexec_b64 s[8:9], s[6:7]
	s_xor_b64 s[6:7], exec, s[8:9]
	s_cbranch_execnz .LBB19_2797
; %bb.749:
	s_or_saveexec_b64 s[6:7], s[6:7]
	v_mov_b32_e32 v4, s10
	s_xor_b64 exec, exec, s[6:7]
	s_cbranch_execnz .LBB19_2800
.LBB19_750:
	s_or_b64 exec, exec, s[6:7]
	s_and_saveexec_b64 s[6:7], s[4:5]
	s_cbranch_execz .LBB19_752
.LBB19_751:
	v_bfe_u32 v4, v5, 8, 3
	v_ffbh_u32_e32 v7, v4
	v_min_u32_e32 v7, 32, v7
	v_lshrrev_b16_e32 v6, 3, v3
	v_subrev_u32_e32 v8, 28, v7
	v_and_b32_e32 v6, 15, v6
	v_lshlrev_b32_e32 v3, v8, v3
	v_sub_u32_e32 v7, 29, v7
	v_and_b32_e32 v3, 7, v3
	v_cmp_eq_u16_e32 vcc, 0, v6
	v_cndmask_b32_e32 v3, v4, v3, vcc
	v_cndmask_b32_e32 v4, v6, v7, vcc
	v_lshlrev_b32_e32 v6, 16, v5
	v_mov_b32_e32 v7, 0x3b800000
	v_lshlrev_b32_e32 v3, 20, v3
	v_and_b32_e32 v6, 0x80000000, v6
	v_lshl_add_u32 v4, v4, 23, v7
	v_or3_b32 v4, v6, v4, v3
.LBB19_752:
	s_or_b64 exec, exec, s[6:7]
	s_nop 0
	v_mfma_f32_16x16x4f32 a[0:3], v2, v4, a[0:3]
	s_movk_i32 s4, 0xff
	v_and_b32_sdwa v3, v9, s4 dst_sel:DWORD dst_unused:UNUSED_PAD src0_sel:WORD_1 src1_sel:DWORD
	s_movk_i32 s4, 0x7f
	v_cmp_lt_i16_e32 vcc, s4, v3
	s_mov_b64 s[4:5], 0
                                        ; implicit-def: $sgpr10
	s_and_saveexec_b64 s[6:7], vcc
	s_xor_b64 s[6:7], exec, s[6:7]
	s_cbranch_execnz .LBB19_2801
; %bb.753:
	s_or_saveexec_b64 s[6:7], s[6:7]
	v_mov_b32_e32 v2, s10
	s_xor_b64 exec, exec, s[6:7]
	s_cbranch_execnz .LBB19_2804
.LBB19_754:
	s_or_b64 exec, exec, s[6:7]
	s_and_saveexec_b64 s[6:7], s[4:5]
	s_cbranch_execz .LBB19_756
.LBB19_755:
	v_bfe_u32 v2, v9, 16, 3
	v_ffbh_u32_e32 v6, v2
	v_min_u32_e32 v6, 32, v6
	v_lshrrev_b32_e32 v3, 19, v9
	v_subrev_u32_e32 v7, 28, v6
	v_and_b32_e32 v3, 15, v3
	v_lshlrev_b32_sdwa v7, v7, v9 dst_sel:DWORD dst_unused:UNUSED_PAD src0_sel:DWORD src1_sel:WORD_1
	v_bfe_u32 v4, v9, 19, 4
	v_sub_u32_e32 v6, 29, v6
	v_and_b32_e32 v7, 7, v7
	v_cmp_eq_u16_e32 vcc, 0, v3
	v_cndmask_b32_e32 v2, v2, v7, vcc
	v_cndmask_b32_e32 v3, v4, v6, vcc
	v_lshlrev_b32_e32 v4, 8, v9
	v_mov_b32_e32 v6, 0x3b800000
	v_lshlrev_b32_e32 v2, 20, v2
	v_and_b32_e32 v4, 0x80000000, v4
	v_lshl_add_u32 v3, v3, 23, v6
	v_or3_b32 v2, v4, v3, v2
.LBB19_756:
	s_or_b64 exec, exec, s[6:7]
	s_movk_i32 s4, 0xff
	v_and_b32_sdwa v3, v5, s4 dst_sel:DWORD dst_unused:UNUSED_PAD src0_sel:WORD_1 src1_sel:DWORD
	s_movk_i32 s4, 0x7f
	v_cmp_lt_i16_e32 vcc, s4, v3
	s_mov_b64 s[4:5], 0
                                        ; implicit-def: $sgpr10
	s_and_saveexec_b64 s[6:7], vcc
	s_xor_b64 s[6:7], exec, s[6:7]
	s_cbranch_execnz .LBB19_2805
; %bb.757:
	s_or_saveexec_b64 s[6:7], s[6:7]
	v_mov_b32_e32 v4, s10
	s_xor_b64 exec, exec, s[6:7]
	s_cbranch_execnz .LBB19_2808
.LBB19_758:
	s_or_b64 exec, exec, s[6:7]
	s_and_saveexec_b64 s[6:7], s[4:5]
	s_cbranch_execz .LBB19_760
.LBB19_759:
	v_bfe_u32 v3, v5, 16, 3
	v_ffbh_u32_e32 v7, v3
	v_min_u32_e32 v7, 32, v7
	v_lshrrev_b32_e32 v4, 19, v5
	v_subrev_u32_e32 v8, 28, v7
	v_and_b32_e32 v4, 15, v4
	v_lshlrev_b32_sdwa v8, v8, v5 dst_sel:DWORD dst_unused:UNUSED_PAD src0_sel:DWORD src1_sel:WORD_1
	v_bfe_u32 v6, v5, 19, 4
	v_sub_u32_e32 v7, 29, v7
	v_and_b32_e32 v8, 7, v8
	v_cmp_eq_u16_e32 vcc, 0, v4
	v_cndmask_b32_e32 v3, v3, v8, vcc
	v_cndmask_b32_e32 v4, v6, v7, vcc
	v_lshlrev_b32_e32 v6, 8, v5
	v_mov_b32_e32 v7, 0x3b800000
	v_lshlrev_b32_e32 v3, 20, v3
	v_and_b32_e32 v6, 0x80000000, v6
	v_lshl_add_u32 v4, v4, 23, v7
	v_or3_b32 v4, v6, v4, v3
.LBB19_760:
	s_or_b64 exec, exec, s[6:7]
	s_nop 0
	v_mfma_f32_16x16x4f32 a[0:3], v2, v4, a[0:3]
	s_movk_i32 s4, 0x7f
	v_cmp_gt_i16_sdwa s[6:7], v9, s4 src0_sel:BYTE_3 src1_sel:DWORD
	s_mov_b64 s[4:5], 0
                                        ; implicit-def: $sgpr10
	s_and_saveexec_b64 s[8:9], s[6:7]
	s_xor_b64 s[6:7], exec, s[8:9]
	s_cbranch_execnz .LBB19_2809
; %bb.761:
	s_or_saveexec_b64 s[6:7], s[6:7]
	v_mov_b32_e32 v2, s10
	s_xor_b64 exec, exec, s[6:7]
	s_cbranch_execnz .LBB19_2812
.LBB19_762:
	s_or_b64 exec, exec, s[6:7]
	s_and_saveexec_b64 s[6:7], s[4:5]
	s_cbranch_execz .LBB19_764
.LBB19_763:
	v_bfe_u32 v2, v9, 24, 3
	v_ffbh_u32_e32 v7, v2
	v_min_u32_e32 v7, 32, v7
	v_lshrrev_b32_e32 v4, 27, v9
	v_subrev_u32_e32 v8, 28, v7
	v_and_b32_e32 v4, 15, v4
	v_lshlrev_b32_sdwa v8, v8, v9 dst_sel:DWORD dst_unused:UNUSED_PAD src0_sel:DWORD src1_sel:BYTE_3
	v_bfe_u32 v6, v9, 27, 4
	v_sub_u32_e32 v7, 29, v7
	v_and_b32_e32 v8, 7, v8
	v_cmp_eq_u16_e32 vcc, 0, v4
	v_cndmask_b32_e32 v2, v2, v8, vcc
	v_cndmask_b32_e32 v4, v6, v7, vcc
	v_mov_b32_e32 v6, 0x3b800000
	v_and_b32_e32 v3, 0x80000000, v9
	v_lshlrev_b32_e32 v2, 20, v2
	v_lshl_add_u32 v4, v4, 23, v6
	v_or3_b32 v2, v3, v4, v2
.LBB19_764:
	s_or_b64 exec, exec, s[6:7]
	s_movk_i32 s4, 0x7f
	v_cmp_gt_i16_sdwa s[6:7], v5, s4 src0_sel:BYTE_3 src1_sel:DWORD
	s_mov_b64 s[4:5], 0
                                        ; implicit-def: $sgpr10
	s_and_saveexec_b64 s[8:9], s[6:7]
	s_xor_b64 s[6:7], exec, s[8:9]
	s_cbranch_execnz .LBB19_2813
; %bb.765:
	s_or_saveexec_b64 s[6:7], s[6:7]
	v_mov_b32_e32 v3, s10
	s_xor_b64 exec, exec, s[6:7]
	s_cbranch_execnz .LBB19_2816
.LBB19_766:
	s_or_b64 exec, exec, s[6:7]
	s_and_saveexec_b64 s[6:7], s[4:5]
	s_cbranch_execz .LBB19_768
.LBB19_767:
	v_bfe_u32 v3, v5, 24, 3
	v_ffbh_u32_e32 v8, v3
	v_min_u32_e32 v8, 32, v8
	v_lshrrev_b32_e32 v6, 27, v5
	v_subrev_u32_e32 v9, 28, v8
	v_and_b32_e32 v4, 0x80000000, v5
	v_and_b32_e32 v6, 15, v6
	v_bfe_u32 v7, v5, 27, 4
	v_lshlrev_b32_sdwa v5, v9, v5 dst_sel:DWORD dst_unused:UNUSED_PAD src0_sel:DWORD src1_sel:BYTE_3
	v_sub_u32_e32 v8, 29, v8
	v_and_b32_e32 v5, 7, v5
	v_cmp_eq_u16_e32 vcc, 0, v6
	v_cndmask_b32_e32 v3, v3, v5, vcc
	v_cndmask_b32_e32 v5, v7, v8, vcc
	v_mov_b32_e32 v6, 0x3b800000
	v_lshlrev_b32_e32 v3, 20, v3
	v_lshl_add_u32 v5, v5, 23, v6
	v_or3_b32 v3, v4, v5, v3
.LBB19_768:
	s_or_b64 exec, exec, s[6:7]
	s_nop 0
	v_mfma_f32_16x16x4f32 a[0:3], v2, v3, a[0:3]
	s_movk_i32 s4, 0x7f
                                        ; implicit-def: $sgpr10
	s_nop 7
	s_nop 1
	flat_store_dwordx4 v[18:19], a[0:3] offset:160
	flat_load_dwordx4 v[20:23], v[0:1] offset:8
	s_nop 0
	flat_load_dwordx2 v[18:19], v[0:1] offset:24
	s_waitcnt vmcnt(0) lgkmcnt(0)
	flat_load_dwordx4 v[14:17], v[20:21] offset:32
	flat_load_dwordx4 v[6:9], v[20:21] offset:48
	;; [unrolled: 1-line block ×4, first 2 shown]
	s_waitcnt vmcnt(0) lgkmcnt(0)
	v_cmp_gt_i16_sdwa s[6:7], v14, s4 src0_sel:BYTE_0 src1_sel:DWORD
	s_mov_b64 s[4:5], 0
	s_and_saveexec_b64 s[8:9], s[6:7]
	s_xor_b64 s[6:7], exec, s[8:9]
	s_cbranch_execnz .LBB19_2817
; %bb.769:
	s_or_saveexec_b64 s[6:7], s[6:7]
	v_mov_b32_e32 v20, s10
	s_xor_b64 exec, exec, s[6:7]
	s_cbranch_execnz .LBB19_2820
.LBB19_770:
	s_or_b64 exec, exec, s[6:7]
	s_and_saveexec_b64 s[6:7], s[4:5]
	s_cbranch_execz .LBB19_772
.LBB19_771:
	v_and_b32_e32 v20, 7, v14
	v_ffbh_u32_e32 v22, v20
	v_min_u32_e32 v22, 32, v22
	v_lshrrev_b16_e32 v21, 3, v14
	v_subrev_u32_e32 v23, 28, v22
	v_and_b32_e32 v21, 15, v21
	v_lshlrev_b32_e32 v23, v23, v14
	v_sub_u32_e32 v22, 29, v22
	v_and_b32_e32 v23, 7, v23
	v_cmp_eq_u16_e32 vcc, 0, v21
	v_cndmask_b32_e32 v20, v20, v23, vcc
	v_cndmask_b32_e32 v21, v21, v22, vcc
	v_lshlrev_b32_e32 v22, 24, v14
	v_mov_b32_e32 v23, 0x3b800000
	v_lshlrev_b32_e32 v20, 20, v20
	v_and_b32_e32 v22, 0x80000000, v22
	v_lshl_add_u32 v21, v21, 23, v23
	v_or3_b32 v20, v22, v21, v20
.LBB19_772:
	s_or_b64 exec, exec, s[6:7]
	s_movk_i32 s4, 0x7f
	v_cmp_gt_i16_sdwa s[6:7], v10, s4 src0_sel:BYTE_0 src1_sel:DWORD
	s_mov_b64 s[4:5], 0
                                        ; implicit-def: $sgpr10
	s_and_saveexec_b64 s[8:9], s[6:7]
	s_xor_b64 s[6:7], exec, s[8:9]
	s_cbranch_execnz .LBB19_2821
; %bb.773:
	s_or_saveexec_b64 s[6:7], s[6:7]
	v_mov_b32_e32 v21, s10
	s_xor_b64 exec, exec, s[6:7]
	s_cbranch_execnz .LBB19_2824
.LBB19_774:
	s_or_b64 exec, exec, s[6:7]
	s_and_saveexec_b64 s[6:7], s[4:5]
	s_cbranch_execz .LBB19_776
.LBB19_775:
	v_and_b32_e32 v21, 7, v10
	v_ffbh_u32_e32 v23, v21
	v_min_u32_e32 v23, 32, v23
	v_lshrrev_b16_e32 v22, 3, v10
	v_subrev_u32_e32 v24, 28, v23
	v_and_b32_e32 v22, 15, v22
	v_lshlrev_b32_e32 v24, v24, v10
	v_sub_u32_e32 v23, 29, v23
	v_and_b32_e32 v24, 7, v24
	v_cmp_eq_u16_e32 vcc, 0, v22
	v_cndmask_b32_e32 v21, v21, v24, vcc
	v_cndmask_b32_e32 v22, v22, v23, vcc
	v_lshlrev_b32_e32 v23, 24, v10
	v_mov_b32_e32 v24, 0x3b800000
	v_lshlrev_b32_e32 v21, 20, v21
	v_and_b32_e32 v23, 0x80000000, v23
	v_lshl_add_u32 v22, v22, 23, v24
	v_or3_b32 v21, v23, v22, v21
.LBB19_776:
	s_or_b64 exec, exec, s[6:7]
	flat_load_dwordx4 a[0:3], v[18:19] offset:176
	s_movk_i32 s4, 0x7f
                                        ; implicit-def: $sgpr10
	s_waitcnt vmcnt(0) lgkmcnt(0)
	v_mfma_f32_16x16x4f32 a[0:3], v20, v21, a[0:3]
	v_lshrrev_b32_e32 v21, 8, v14
	v_cmp_gt_i16_sdwa s[6:7], v21, s4 src0_sel:BYTE_0 src1_sel:DWORD
	s_mov_b64 s[4:5], 0
	s_and_saveexec_b64 s[8:9], s[6:7]
	s_xor_b64 s[6:7], exec, s[8:9]
	s_cbranch_execnz .LBB19_2825
; %bb.777:
	s_or_saveexec_b64 s[6:7], s[6:7]
	v_mov_b32_e32 v20, s10
	s_xor_b64 exec, exec, s[6:7]
	s_cbranch_execnz .LBB19_2828
.LBB19_778:
	s_or_b64 exec, exec, s[6:7]
	s_and_saveexec_b64 s[6:7], s[4:5]
	s_cbranch_execz .LBB19_780
.LBB19_779:
	v_bfe_u32 v20, v14, 8, 3
	v_ffbh_u32_e32 v23, v20
	v_min_u32_e32 v23, 32, v23
	v_lshrrev_b16_e32 v22, 3, v21
	v_subrev_u32_e32 v24, 28, v23
	v_and_b32_e32 v22, 15, v22
	v_lshlrev_b32_e32 v21, v24, v21
	v_sub_u32_e32 v23, 29, v23
	v_and_b32_e32 v21, 7, v21
	v_cmp_eq_u16_e32 vcc, 0, v22
	v_cndmask_b32_e32 v20, v20, v21, vcc
	v_cndmask_b32_e32 v21, v22, v23, vcc
	v_lshlrev_b32_e32 v22, 16, v14
	v_mov_b32_e32 v23, 0x3b800000
	v_lshlrev_b32_e32 v20, 20, v20
	v_and_b32_e32 v22, 0x80000000, v22
	v_lshl_add_u32 v21, v21, 23, v23
	v_or3_b32 v20, v22, v21, v20
.LBB19_780:
	s_or_b64 exec, exec, s[6:7]
	v_lshrrev_b32_e32 v21, 8, v10
	s_movk_i32 s4, 0x7f
	v_cmp_gt_i16_sdwa s[6:7], v21, s4 src0_sel:BYTE_0 src1_sel:DWORD
	s_mov_b64 s[4:5], 0
                                        ; implicit-def: $sgpr10
	s_and_saveexec_b64 s[8:9], s[6:7]
	s_xor_b64 s[6:7], exec, s[8:9]
	s_cbranch_execnz .LBB19_2829
; %bb.781:
	s_or_saveexec_b64 s[6:7], s[6:7]
	v_mov_b32_e32 v22, s10
	s_xor_b64 exec, exec, s[6:7]
	s_cbranch_execnz .LBB19_2832
.LBB19_782:
	s_or_b64 exec, exec, s[6:7]
	s_and_saveexec_b64 s[6:7], s[4:5]
	s_cbranch_execz .LBB19_784
.LBB19_783:
	v_bfe_u32 v22, v10, 8, 3
	v_ffbh_u32_e32 v24, v22
	v_min_u32_e32 v24, 32, v24
	v_lshrrev_b16_e32 v23, 3, v21
	v_subrev_u32_e32 v25, 28, v24
	v_and_b32_e32 v23, 15, v23
	v_lshlrev_b32_e32 v21, v25, v21
	v_sub_u32_e32 v24, 29, v24
	v_and_b32_e32 v21, 7, v21
	v_cmp_eq_u16_e32 vcc, 0, v23
	v_cndmask_b32_e32 v21, v22, v21, vcc
	v_cndmask_b32_e32 v22, v23, v24, vcc
	v_lshlrev_b32_e32 v23, 16, v10
	v_mov_b32_e32 v24, 0x3b800000
	v_lshlrev_b32_e32 v21, 20, v21
	v_and_b32_e32 v23, 0x80000000, v23
	v_lshl_add_u32 v22, v22, 23, v24
	v_or3_b32 v22, v23, v22, v21
.LBB19_784:
	s_or_b64 exec, exec, s[6:7]
	s_nop 0
	v_mfma_f32_16x16x4f32 a[0:3], v20, v22, a[0:3]
	s_movk_i32 s4, 0xff
	v_and_b32_sdwa v21, v14, s4 dst_sel:DWORD dst_unused:UNUSED_PAD src0_sel:WORD_1 src1_sel:DWORD
	s_movk_i32 s4, 0x7f
	v_cmp_lt_i16_e32 vcc, s4, v21
	s_mov_b64 s[4:5], 0
                                        ; implicit-def: $sgpr10
	s_and_saveexec_b64 s[6:7], vcc
	s_xor_b64 s[6:7], exec, s[6:7]
	s_cbranch_execnz .LBB19_2833
; %bb.785:
	s_or_saveexec_b64 s[6:7], s[6:7]
	v_mov_b32_e32 v20, s10
	s_xor_b64 exec, exec, s[6:7]
	s_cbranch_execnz .LBB19_2836
.LBB19_786:
	s_or_b64 exec, exec, s[6:7]
	s_and_saveexec_b64 s[6:7], s[4:5]
	s_cbranch_execz .LBB19_788
.LBB19_787:
	v_bfe_u32 v20, v14, 16, 3
	v_ffbh_u32_e32 v23, v20
	v_min_u32_e32 v23, 32, v23
	v_lshrrev_b32_e32 v21, 19, v14
	v_subrev_u32_e32 v24, 28, v23
	v_and_b32_e32 v21, 15, v21
	v_lshlrev_b32_sdwa v24, v24, v14 dst_sel:DWORD dst_unused:UNUSED_PAD src0_sel:DWORD src1_sel:WORD_1
	v_bfe_u32 v22, v14, 19, 4
	v_sub_u32_e32 v23, 29, v23
	v_and_b32_e32 v24, 7, v24
	v_cmp_eq_u16_e32 vcc, 0, v21
	v_cndmask_b32_e32 v20, v20, v24, vcc
	v_cndmask_b32_e32 v21, v22, v23, vcc
	v_lshlrev_b32_e32 v22, 8, v14
	v_mov_b32_e32 v23, 0x3b800000
	v_lshlrev_b32_e32 v20, 20, v20
	v_and_b32_e32 v22, 0x80000000, v22
	v_lshl_add_u32 v21, v21, 23, v23
	v_or3_b32 v20, v22, v21, v20
.LBB19_788:
	s_or_b64 exec, exec, s[6:7]
	s_movk_i32 s4, 0xff
	v_and_b32_sdwa v21, v10, s4 dst_sel:DWORD dst_unused:UNUSED_PAD src0_sel:WORD_1 src1_sel:DWORD
	s_movk_i32 s4, 0x7f
	v_cmp_lt_i16_e32 vcc, s4, v21
	s_mov_b64 s[4:5], 0
                                        ; implicit-def: $sgpr10
	s_and_saveexec_b64 s[6:7], vcc
	s_xor_b64 s[6:7], exec, s[6:7]
	s_cbranch_execnz .LBB19_2837
; %bb.789:
	s_or_saveexec_b64 s[6:7], s[6:7]
	v_mov_b32_e32 v22, s10
	s_xor_b64 exec, exec, s[6:7]
	s_cbranch_execnz .LBB19_2840
.LBB19_790:
	s_or_b64 exec, exec, s[6:7]
	s_and_saveexec_b64 s[6:7], s[4:5]
	s_cbranch_execz .LBB19_792
.LBB19_791:
	v_bfe_u32 v21, v10, 16, 3
	v_ffbh_u32_e32 v24, v21
	v_min_u32_e32 v24, 32, v24
	v_lshrrev_b32_e32 v22, 19, v10
	v_subrev_u32_e32 v25, 28, v24
	v_and_b32_e32 v22, 15, v22
	v_lshlrev_b32_sdwa v25, v25, v10 dst_sel:DWORD dst_unused:UNUSED_PAD src0_sel:DWORD src1_sel:WORD_1
	v_bfe_u32 v23, v10, 19, 4
	v_sub_u32_e32 v24, 29, v24
	v_and_b32_e32 v25, 7, v25
	v_cmp_eq_u16_e32 vcc, 0, v22
	v_cndmask_b32_e32 v21, v21, v25, vcc
	v_cndmask_b32_e32 v22, v23, v24, vcc
	v_lshlrev_b32_e32 v23, 8, v10
	v_mov_b32_e32 v24, 0x3b800000
	v_lshlrev_b32_e32 v21, 20, v21
	v_and_b32_e32 v23, 0x80000000, v23
	v_lshl_add_u32 v22, v22, 23, v24
	v_or3_b32 v22, v23, v22, v21
.LBB19_792:
	s_or_b64 exec, exec, s[6:7]
	s_nop 0
	v_mfma_f32_16x16x4f32 a[0:3], v20, v22, a[0:3]
	s_movk_i32 s4, 0x7f
	v_cmp_gt_i16_sdwa s[6:7], v14, s4 src0_sel:BYTE_3 src1_sel:DWORD
	s_mov_b64 s[4:5], 0
                                        ; implicit-def: $sgpr10
	s_and_saveexec_b64 s[8:9], s[6:7]
	s_xor_b64 s[6:7], exec, s[8:9]
	s_cbranch_execnz .LBB19_2841
; %bb.793:
	s_or_saveexec_b64 s[6:7], s[6:7]
	v_mov_b32_e32 v20, s10
	s_xor_b64 exec, exec, s[6:7]
	s_cbranch_execnz .LBB19_2844
.LBB19_794:
	s_or_b64 exec, exec, s[6:7]
	s_and_saveexec_b64 s[6:7], s[4:5]
	s_cbranch_execz .LBB19_796
.LBB19_795:
	v_bfe_u32 v20, v14, 24, 3
	v_ffbh_u32_e32 v24, v20
	v_min_u32_e32 v24, 32, v24
	v_lshrrev_b32_e32 v22, 27, v14
	v_subrev_u32_e32 v25, 28, v24
	v_and_b32_e32 v21, 0x80000000, v14
	v_and_b32_e32 v22, 15, v22
	v_bfe_u32 v23, v14, 27, 4
	v_lshlrev_b32_sdwa v14, v25, v14 dst_sel:DWORD dst_unused:UNUSED_PAD src0_sel:DWORD src1_sel:BYTE_3
	v_sub_u32_e32 v24, 29, v24
	v_and_b32_e32 v14, 7, v14
	v_cmp_eq_u16_e32 vcc, 0, v22
	v_cndmask_b32_e32 v14, v20, v14, vcc
	v_cndmask_b32_e32 v20, v23, v24, vcc
	v_mov_b32_e32 v22, 0x3b800000
	v_lshlrev_b32_e32 v14, 20, v14
	v_lshl_add_u32 v20, v20, 23, v22
	v_or3_b32 v20, v21, v20, v14
.LBB19_796:
	s_or_b64 exec, exec, s[6:7]
	s_movk_i32 s4, 0x7f
	v_cmp_gt_i16_sdwa s[6:7], v10, s4 src0_sel:BYTE_3 src1_sel:DWORD
	s_mov_b64 s[4:5], 0
                                        ; implicit-def: $sgpr10
	s_and_saveexec_b64 s[8:9], s[6:7]
	s_xor_b64 s[6:7], exec, s[8:9]
	s_cbranch_execnz .LBB19_2845
; %bb.797:
	s_or_saveexec_b64 s[6:7], s[6:7]
	v_mov_b32_e32 v14, s10
	s_xor_b64 exec, exec, s[6:7]
	s_cbranch_execnz .LBB19_2848
.LBB19_798:
	s_or_b64 exec, exec, s[6:7]
	s_and_saveexec_b64 s[6:7], s[4:5]
	s_cbranch_execz .LBB19_800
.LBB19_799:
	v_bfe_u32 v14, v10, 24, 3
	v_ffbh_u32_e32 v24, v14
	v_min_u32_e32 v24, 32, v24
	v_lshrrev_b32_e32 v22, 27, v10
	v_subrev_u32_e32 v25, 28, v24
	v_and_b32_e32 v21, 0x80000000, v10
	v_and_b32_e32 v22, 15, v22
	v_bfe_u32 v23, v10, 27, 4
	v_lshlrev_b32_sdwa v10, v25, v10 dst_sel:DWORD dst_unused:UNUSED_PAD src0_sel:DWORD src1_sel:BYTE_3
	v_sub_u32_e32 v24, 29, v24
	v_and_b32_e32 v10, 7, v10
	v_cmp_eq_u16_e32 vcc, 0, v22
	v_cndmask_b32_e32 v10, v14, v10, vcc
	v_cndmask_b32_e32 v14, v23, v24, vcc
	v_mov_b32_e32 v22, 0x3b800000
	v_lshlrev_b32_e32 v10, 20, v10
	v_lshl_add_u32 v14, v14, 23, v22
	v_or3_b32 v14, v21, v14, v10
.LBB19_800:
	s_or_b64 exec, exec, s[6:7]
	s_nop 0
	v_mfma_f32_16x16x4f32 a[0:3], v20, v14, a[0:3]
	s_movk_i32 s4, 0x7f
	v_cmp_gt_i16_sdwa s[6:7], v15, s4 src0_sel:BYTE_0 src1_sel:DWORD
	s_mov_b64 s[4:5], 0
                                        ; implicit-def: $sgpr10
	s_and_saveexec_b64 s[8:9], s[6:7]
	s_xor_b64 s[6:7], exec, s[8:9]
	s_cbranch_execnz .LBB19_2849
; %bb.801:
	s_or_saveexec_b64 s[6:7], s[6:7]
	v_mov_b32_e32 v10, s10
	s_xor_b64 exec, exec, s[6:7]
	s_cbranch_execnz .LBB19_2852
.LBB19_802:
	s_or_b64 exec, exec, s[6:7]
	s_and_saveexec_b64 s[6:7], s[4:5]
	s_cbranch_execz .LBB19_804
.LBB19_803:
	v_and_b32_e32 v10, 7, v15
	v_ffbh_u32_e32 v20, v10
	v_min_u32_e32 v20, 32, v20
	v_lshrrev_b16_e32 v14, 3, v15
	v_subrev_u32_e32 v21, 28, v20
	v_and_b32_e32 v14, 15, v14
	v_lshlrev_b32_e32 v21, v21, v15
	v_sub_u32_e32 v20, 29, v20
	v_and_b32_e32 v21, 7, v21
	v_cmp_eq_u16_e32 vcc, 0, v14
	v_cndmask_b32_e32 v10, v10, v21, vcc
	v_cndmask_b32_e32 v14, v14, v20, vcc
	v_lshlrev_b32_e32 v20, 24, v15
	v_mov_b32_e32 v21, 0x3b800000
	v_lshlrev_b32_e32 v10, 20, v10
	v_and_b32_e32 v20, 0x80000000, v20
	v_lshl_add_u32 v14, v14, 23, v21
	v_or3_b32 v10, v20, v14, v10
.LBB19_804:
	s_or_b64 exec, exec, s[6:7]
	s_movk_i32 s4, 0x7f
	v_cmp_gt_i16_sdwa s[6:7], v11, s4 src0_sel:BYTE_0 src1_sel:DWORD
	s_mov_b64 s[4:5], 0
                                        ; implicit-def: $sgpr10
	s_and_saveexec_b64 s[8:9], s[6:7]
	s_xor_b64 s[6:7], exec, s[8:9]
	s_cbranch_execnz .LBB19_2853
; %bb.805:
	s_or_saveexec_b64 s[6:7], s[6:7]
	v_mov_b32_e32 v14, s10
	s_xor_b64 exec, exec, s[6:7]
	s_cbranch_execnz .LBB19_2856
.LBB19_806:
	s_or_b64 exec, exec, s[6:7]
	s_and_saveexec_b64 s[6:7], s[4:5]
	s_cbranch_execz .LBB19_808
.LBB19_807:
	v_and_b32_e32 v14, 7, v11
	v_ffbh_u32_e32 v21, v14
	v_min_u32_e32 v21, 32, v21
	v_lshrrev_b16_e32 v20, 3, v11
	v_subrev_u32_e32 v22, 28, v21
	v_and_b32_e32 v20, 15, v20
	v_lshlrev_b32_e32 v22, v22, v11
	v_sub_u32_e32 v21, 29, v21
	v_and_b32_e32 v22, 7, v22
	v_cmp_eq_u16_e32 vcc, 0, v20
	v_cndmask_b32_e32 v14, v14, v22, vcc
	v_cndmask_b32_e32 v20, v20, v21, vcc
	v_lshlrev_b32_e32 v21, 24, v11
	v_mov_b32_e32 v22, 0x3b800000
	v_lshlrev_b32_e32 v14, 20, v14
	v_and_b32_e32 v21, 0x80000000, v21
	v_lshl_add_u32 v20, v20, 23, v22
	v_or3_b32 v14, v21, v20, v14
.LBB19_808:
	s_or_b64 exec, exec, s[6:7]
	s_nop 0
	v_mfma_f32_16x16x4f32 a[0:3], v10, v14, a[0:3]
	v_lshrrev_b32_e32 v14, 8, v15
	s_movk_i32 s4, 0x7f
	v_cmp_gt_i16_sdwa s[6:7], v14, s4 src0_sel:BYTE_0 src1_sel:DWORD
	s_mov_b64 s[4:5], 0
                                        ; implicit-def: $sgpr10
	s_and_saveexec_b64 s[8:9], s[6:7]
	s_xor_b64 s[6:7], exec, s[8:9]
	s_cbranch_execnz .LBB19_2857
; %bb.809:
	s_or_saveexec_b64 s[6:7], s[6:7]
	v_mov_b32_e32 v10, s10
	s_xor_b64 exec, exec, s[6:7]
	s_cbranch_execnz .LBB19_2860
.LBB19_810:
	s_or_b64 exec, exec, s[6:7]
	s_and_saveexec_b64 s[6:7], s[4:5]
	s_cbranch_execz .LBB19_812
.LBB19_811:
	v_bfe_u32 v10, v15, 8, 3
	v_ffbh_u32_e32 v21, v10
	v_min_u32_e32 v21, 32, v21
	v_lshrrev_b16_e32 v20, 3, v14
	v_subrev_u32_e32 v22, 28, v21
	v_and_b32_e32 v20, 15, v20
	v_lshlrev_b32_e32 v14, v22, v14
	v_sub_u32_e32 v21, 29, v21
	v_and_b32_e32 v14, 7, v14
	v_cmp_eq_u16_e32 vcc, 0, v20
	v_cndmask_b32_e32 v10, v10, v14, vcc
	v_cndmask_b32_e32 v14, v20, v21, vcc
	v_lshlrev_b32_e32 v20, 16, v15
	v_mov_b32_e32 v21, 0x3b800000
	v_lshlrev_b32_e32 v10, 20, v10
	v_and_b32_e32 v20, 0x80000000, v20
	v_lshl_add_u32 v14, v14, 23, v21
	v_or3_b32 v10, v20, v14, v10
.LBB19_812:
	s_or_b64 exec, exec, s[6:7]
	v_lshrrev_b32_e32 v14, 8, v11
	s_movk_i32 s4, 0x7f
	v_cmp_gt_i16_sdwa s[6:7], v14, s4 src0_sel:BYTE_0 src1_sel:DWORD
	s_mov_b64 s[4:5], 0
                                        ; implicit-def: $sgpr10
	s_and_saveexec_b64 s[8:9], s[6:7]
	s_xor_b64 s[6:7], exec, s[8:9]
	s_cbranch_execnz .LBB19_2861
; %bb.813:
	s_or_saveexec_b64 s[6:7], s[6:7]
	v_mov_b32_e32 v20, s10
	s_xor_b64 exec, exec, s[6:7]
	s_cbranch_execnz .LBB19_2864
.LBB19_814:
	s_or_b64 exec, exec, s[6:7]
	s_and_saveexec_b64 s[6:7], s[4:5]
	s_cbranch_execz .LBB19_816
.LBB19_815:
	v_bfe_u32 v20, v11, 8, 3
	v_ffbh_u32_e32 v22, v20
	v_min_u32_e32 v22, 32, v22
	v_lshrrev_b16_e32 v21, 3, v14
	v_subrev_u32_e32 v23, 28, v22
	v_and_b32_e32 v21, 15, v21
	v_lshlrev_b32_e32 v14, v23, v14
	v_sub_u32_e32 v22, 29, v22
	v_and_b32_e32 v14, 7, v14
	v_cmp_eq_u16_e32 vcc, 0, v21
	v_cndmask_b32_e32 v14, v20, v14, vcc
	v_cndmask_b32_e32 v20, v21, v22, vcc
	v_lshlrev_b32_e32 v21, 16, v11
	v_mov_b32_e32 v22, 0x3b800000
	v_lshlrev_b32_e32 v14, 20, v14
	v_and_b32_e32 v21, 0x80000000, v21
	v_lshl_add_u32 v20, v20, 23, v22
	v_or3_b32 v20, v21, v20, v14
.LBB19_816:
	s_or_b64 exec, exec, s[6:7]
	s_nop 0
	v_mfma_f32_16x16x4f32 a[0:3], v10, v20, a[0:3]
	s_movk_i32 s4, 0xff
	v_and_b32_sdwa v14, v15, s4 dst_sel:DWORD dst_unused:UNUSED_PAD src0_sel:WORD_1 src1_sel:DWORD
	s_movk_i32 s4, 0x7f
	v_cmp_lt_i16_e32 vcc, s4, v14
	s_mov_b64 s[4:5], 0
                                        ; implicit-def: $sgpr10
	s_and_saveexec_b64 s[6:7], vcc
	s_xor_b64 s[6:7], exec, s[6:7]
	s_cbranch_execnz .LBB19_2865
; %bb.817:
	s_or_saveexec_b64 s[6:7], s[6:7]
	v_mov_b32_e32 v10, s10
	s_xor_b64 exec, exec, s[6:7]
	s_cbranch_execnz .LBB19_2868
.LBB19_818:
	s_or_b64 exec, exec, s[6:7]
	s_and_saveexec_b64 s[6:7], s[4:5]
	s_cbranch_execz .LBB19_820
.LBB19_819:
	v_bfe_u32 v10, v15, 16, 3
	v_ffbh_u32_e32 v21, v10
	v_min_u32_e32 v21, 32, v21
	v_lshrrev_b32_e32 v14, 19, v15
	v_subrev_u32_e32 v22, 28, v21
	v_and_b32_e32 v14, 15, v14
	v_lshlrev_b32_sdwa v22, v22, v15 dst_sel:DWORD dst_unused:UNUSED_PAD src0_sel:DWORD src1_sel:WORD_1
	v_bfe_u32 v20, v15, 19, 4
	v_sub_u32_e32 v21, 29, v21
	v_and_b32_e32 v22, 7, v22
	v_cmp_eq_u16_e32 vcc, 0, v14
	v_cndmask_b32_e32 v10, v10, v22, vcc
	v_cndmask_b32_e32 v14, v20, v21, vcc
	v_lshlrev_b32_e32 v20, 8, v15
	v_mov_b32_e32 v21, 0x3b800000
	v_lshlrev_b32_e32 v10, 20, v10
	v_and_b32_e32 v20, 0x80000000, v20
	v_lshl_add_u32 v14, v14, 23, v21
	v_or3_b32 v10, v20, v14, v10
.LBB19_820:
	s_or_b64 exec, exec, s[6:7]
	s_movk_i32 s4, 0xff
	v_and_b32_sdwa v14, v11, s4 dst_sel:DWORD dst_unused:UNUSED_PAD src0_sel:WORD_1 src1_sel:DWORD
	s_movk_i32 s4, 0x7f
	v_cmp_lt_i16_e32 vcc, s4, v14
	s_mov_b64 s[4:5], 0
                                        ; implicit-def: $sgpr10
	s_and_saveexec_b64 s[6:7], vcc
	s_xor_b64 s[6:7], exec, s[6:7]
	s_cbranch_execnz .LBB19_2869
; %bb.821:
	s_or_saveexec_b64 s[6:7], s[6:7]
	v_mov_b32_e32 v20, s10
	s_xor_b64 exec, exec, s[6:7]
	s_cbranch_execnz .LBB19_2872
.LBB19_822:
	s_or_b64 exec, exec, s[6:7]
	s_and_saveexec_b64 s[6:7], s[4:5]
	s_cbranch_execz .LBB19_824
.LBB19_823:
	v_bfe_u32 v14, v11, 16, 3
	v_ffbh_u32_e32 v22, v14
	v_min_u32_e32 v22, 32, v22
	v_lshrrev_b32_e32 v20, 19, v11
	v_subrev_u32_e32 v23, 28, v22
	v_and_b32_e32 v20, 15, v20
	v_lshlrev_b32_sdwa v23, v23, v11 dst_sel:DWORD dst_unused:UNUSED_PAD src0_sel:DWORD src1_sel:WORD_1
	v_bfe_u32 v21, v11, 19, 4
	v_sub_u32_e32 v22, 29, v22
	v_and_b32_e32 v23, 7, v23
	v_cmp_eq_u16_e32 vcc, 0, v20
	v_cndmask_b32_e32 v14, v14, v23, vcc
	v_cndmask_b32_e32 v20, v21, v22, vcc
	v_lshlrev_b32_e32 v21, 8, v11
	v_mov_b32_e32 v22, 0x3b800000
	v_lshlrev_b32_e32 v14, 20, v14
	v_and_b32_e32 v21, 0x80000000, v21
	v_lshl_add_u32 v20, v20, 23, v22
	v_or3_b32 v20, v21, v20, v14
.LBB19_824:
	s_or_b64 exec, exec, s[6:7]
	s_nop 0
	v_mfma_f32_16x16x4f32 a[0:3], v10, v20, a[0:3]
	s_movk_i32 s4, 0x7f
	v_cmp_gt_i16_sdwa s[6:7], v15, s4 src0_sel:BYTE_3 src1_sel:DWORD
	s_mov_b64 s[4:5], 0
                                        ; implicit-def: $sgpr10
	s_and_saveexec_b64 s[8:9], s[6:7]
	s_xor_b64 s[6:7], exec, s[8:9]
	s_cbranch_execnz .LBB19_2873
; %bb.825:
	s_or_saveexec_b64 s[6:7], s[6:7]
	v_mov_b32_e32 v10, s10
	s_xor_b64 exec, exec, s[6:7]
	s_cbranch_execnz .LBB19_2876
.LBB19_826:
	s_or_b64 exec, exec, s[6:7]
	s_and_saveexec_b64 s[6:7], s[4:5]
	s_cbranch_execz .LBB19_828
.LBB19_827:
	v_bfe_u32 v10, v15, 24, 3
	v_ffbh_u32_e32 v22, v10
	v_min_u32_e32 v22, 32, v22
	v_lshrrev_b32_e32 v20, 27, v15
	v_subrev_u32_e32 v23, 28, v22
	v_and_b32_e32 v14, 0x80000000, v15
	v_and_b32_e32 v20, 15, v20
	v_bfe_u32 v21, v15, 27, 4
	v_lshlrev_b32_sdwa v15, v23, v15 dst_sel:DWORD dst_unused:UNUSED_PAD src0_sel:DWORD src1_sel:BYTE_3
	v_sub_u32_e32 v22, 29, v22
	v_and_b32_e32 v15, 7, v15
	v_cmp_eq_u16_e32 vcc, 0, v20
	v_cndmask_b32_e32 v10, v10, v15, vcc
	v_cndmask_b32_e32 v15, v21, v22, vcc
	v_mov_b32_e32 v20, 0x3b800000
	v_lshlrev_b32_e32 v10, 20, v10
	v_lshl_add_u32 v15, v15, 23, v20
	v_or3_b32 v10, v14, v15, v10
.LBB19_828:
	s_or_b64 exec, exec, s[6:7]
	s_movk_i32 s4, 0x7f
	v_cmp_gt_i16_sdwa s[6:7], v11, s4 src0_sel:BYTE_3 src1_sel:DWORD
	s_mov_b64 s[4:5], 0
                                        ; implicit-def: $sgpr10
	s_and_saveexec_b64 s[8:9], s[6:7]
	s_xor_b64 s[6:7], exec, s[8:9]
	s_cbranch_execnz .LBB19_2877
; %bb.829:
	s_or_saveexec_b64 s[6:7], s[6:7]
	v_mov_b32_e32 v14, s10
	s_xor_b64 exec, exec, s[6:7]
	s_cbranch_execnz .LBB19_2880
.LBB19_830:
	s_or_b64 exec, exec, s[6:7]
	s_and_saveexec_b64 s[6:7], s[4:5]
	s_cbranch_execz .LBB19_832
.LBB19_831:
	v_bfe_u32 v14, v11, 24, 3
	v_ffbh_u32_e32 v22, v14
	v_min_u32_e32 v22, 32, v22
	v_lshrrev_b32_e32 v20, 27, v11
	v_subrev_u32_e32 v23, 28, v22
	v_and_b32_e32 v15, 0x80000000, v11
	v_and_b32_e32 v20, 15, v20
	v_bfe_u32 v21, v11, 27, 4
	v_lshlrev_b32_sdwa v11, v23, v11 dst_sel:DWORD dst_unused:UNUSED_PAD src0_sel:DWORD src1_sel:BYTE_3
	v_sub_u32_e32 v22, 29, v22
	v_and_b32_e32 v11, 7, v11
	v_cmp_eq_u16_e32 vcc, 0, v20
	v_cndmask_b32_e32 v11, v14, v11, vcc
	v_cndmask_b32_e32 v14, v21, v22, vcc
	v_mov_b32_e32 v20, 0x3b800000
	v_lshlrev_b32_e32 v11, 20, v11
	v_lshl_add_u32 v14, v14, 23, v20
	v_or3_b32 v14, v15, v14, v11
.LBB19_832:
	s_or_b64 exec, exec, s[6:7]
	s_nop 0
	v_mfma_f32_16x16x4f32 a[0:3], v10, v14, a[0:3]
	s_movk_i32 s4, 0x7f
	v_cmp_gt_i16_sdwa s[6:7], v16, s4 src0_sel:BYTE_0 src1_sel:DWORD
	s_mov_b64 s[4:5], 0
                                        ; implicit-def: $sgpr10
	s_and_saveexec_b64 s[8:9], s[6:7]
	s_xor_b64 s[6:7], exec, s[8:9]
	s_cbranch_execnz .LBB19_2881
; %bb.833:
	s_or_saveexec_b64 s[6:7], s[6:7]
	v_mov_b32_e32 v10, s10
	s_xor_b64 exec, exec, s[6:7]
	s_cbranch_execnz .LBB19_2884
.LBB19_834:
	s_or_b64 exec, exec, s[6:7]
	s_and_saveexec_b64 s[6:7], s[4:5]
	s_cbranch_execz .LBB19_836
.LBB19_835:
	v_and_b32_e32 v10, 7, v16
	v_ffbh_u32_e32 v14, v10
	v_min_u32_e32 v14, 32, v14
	v_lshrrev_b16_e32 v11, 3, v16
	v_subrev_u32_e32 v15, 28, v14
	v_and_b32_e32 v11, 15, v11
	v_lshlrev_b32_e32 v15, v15, v16
	v_sub_u32_e32 v14, 29, v14
	v_and_b32_e32 v15, 7, v15
	v_cmp_eq_u16_e32 vcc, 0, v11
	v_cndmask_b32_e32 v10, v10, v15, vcc
	v_cndmask_b32_e32 v11, v11, v14, vcc
	v_lshlrev_b32_e32 v14, 24, v16
	v_mov_b32_e32 v15, 0x3b800000
	v_lshlrev_b32_e32 v10, 20, v10
	v_and_b32_e32 v14, 0x80000000, v14
	v_lshl_add_u32 v11, v11, 23, v15
	v_or3_b32 v10, v14, v11, v10
.LBB19_836:
	s_or_b64 exec, exec, s[6:7]
	s_movk_i32 s4, 0x7f
	v_cmp_gt_i16_sdwa s[6:7], v12, s4 src0_sel:BYTE_0 src1_sel:DWORD
	s_mov_b64 s[4:5], 0
                                        ; implicit-def: $sgpr10
	s_and_saveexec_b64 s[8:9], s[6:7]
	s_xor_b64 s[6:7], exec, s[8:9]
	s_cbranch_execnz .LBB19_2885
; %bb.837:
	s_or_saveexec_b64 s[6:7], s[6:7]
	v_mov_b32_e32 v11, s10
	s_xor_b64 exec, exec, s[6:7]
	s_cbranch_execnz .LBB19_2888
.LBB19_838:
	s_or_b64 exec, exec, s[6:7]
	s_and_saveexec_b64 s[6:7], s[4:5]
	s_cbranch_execz .LBB19_840
.LBB19_839:
	v_and_b32_e32 v11, 7, v12
	v_ffbh_u32_e32 v15, v11
	v_min_u32_e32 v15, 32, v15
	v_lshrrev_b16_e32 v14, 3, v12
	v_subrev_u32_e32 v20, 28, v15
	v_and_b32_e32 v14, 15, v14
	v_lshlrev_b32_e32 v20, v20, v12
	v_sub_u32_e32 v15, 29, v15
	v_and_b32_e32 v20, 7, v20
	v_cmp_eq_u16_e32 vcc, 0, v14
	v_cndmask_b32_e32 v11, v11, v20, vcc
	v_cndmask_b32_e32 v14, v14, v15, vcc
	v_lshlrev_b32_e32 v15, 24, v12
	v_mov_b32_e32 v20, 0x3b800000
	v_lshlrev_b32_e32 v11, 20, v11
	v_and_b32_e32 v15, 0x80000000, v15
	v_lshl_add_u32 v14, v14, 23, v20
	v_or3_b32 v11, v15, v14, v11
.LBB19_840:
	s_or_b64 exec, exec, s[6:7]
	s_nop 0
	v_mfma_f32_16x16x4f32 a[0:3], v10, v11, a[0:3]
	v_lshrrev_b32_e32 v11, 8, v16
	s_movk_i32 s4, 0x7f
	v_cmp_gt_i16_sdwa s[6:7], v11, s4 src0_sel:BYTE_0 src1_sel:DWORD
	s_mov_b64 s[4:5], 0
                                        ; implicit-def: $sgpr10
	s_and_saveexec_b64 s[8:9], s[6:7]
	s_xor_b64 s[6:7], exec, s[8:9]
	s_cbranch_execnz .LBB19_2889
; %bb.841:
	s_or_saveexec_b64 s[6:7], s[6:7]
	v_mov_b32_e32 v10, s10
	s_xor_b64 exec, exec, s[6:7]
	s_cbranch_execnz .LBB19_2892
.LBB19_842:
	s_or_b64 exec, exec, s[6:7]
	s_and_saveexec_b64 s[6:7], s[4:5]
	s_cbranch_execz .LBB19_844
.LBB19_843:
	v_bfe_u32 v10, v16, 8, 3
	v_ffbh_u32_e32 v15, v10
	v_min_u32_e32 v15, 32, v15
	v_lshrrev_b16_e32 v14, 3, v11
	v_subrev_u32_e32 v20, 28, v15
	v_and_b32_e32 v14, 15, v14
	v_lshlrev_b32_e32 v11, v20, v11
	v_sub_u32_e32 v15, 29, v15
	v_and_b32_e32 v11, 7, v11
	v_cmp_eq_u16_e32 vcc, 0, v14
	v_cndmask_b32_e32 v10, v10, v11, vcc
	v_cndmask_b32_e32 v11, v14, v15, vcc
	v_lshlrev_b32_e32 v14, 16, v16
	v_mov_b32_e32 v15, 0x3b800000
	v_lshlrev_b32_e32 v10, 20, v10
	v_and_b32_e32 v14, 0x80000000, v14
	v_lshl_add_u32 v11, v11, 23, v15
	v_or3_b32 v10, v14, v11, v10
.LBB19_844:
	s_or_b64 exec, exec, s[6:7]
	v_lshrrev_b32_e32 v11, 8, v12
	s_movk_i32 s4, 0x7f
	v_cmp_gt_i16_sdwa s[6:7], v11, s4 src0_sel:BYTE_0 src1_sel:DWORD
	s_mov_b64 s[4:5], 0
                                        ; implicit-def: $sgpr10
	s_and_saveexec_b64 s[8:9], s[6:7]
	s_xor_b64 s[6:7], exec, s[8:9]
	s_cbranch_execnz .LBB19_2893
; %bb.845:
	s_or_saveexec_b64 s[6:7], s[6:7]
	v_mov_b32_e32 v14, s10
	s_xor_b64 exec, exec, s[6:7]
	s_cbranch_execnz .LBB19_2896
.LBB19_846:
	s_or_b64 exec, exec, s[6:7]
	s_and_saveexec_b64 s[6:7], s[4:5]
	s_cbranch_execz .LBB19_848
.LBB19_847:
	v_bfe_u32 v14, v12, 8, 3
	v_ffbh_u32_e32 v20, v14
	v_min_u32_e32 v20, 32, v20
	v_lshrrev_b16_e32 v15, 3, v11
	v_subrev_u32_e32 v21, 28, v20
	v_and_b32_e32 v15, 15, v15
	v_lshlrev_b32_e32 v11, v21, v11
	v_sub_u32_e32 v20, 29, v20
	v_and_b32_e32 v11, 7, v11
	v_cmp_eq_u16_e32 vcc, 0, v15
	v_cndmask_b32_e32 v11, v14, v11, vcc
	v_cndmask_b32_e32 v14, v15, v20, vcc
	v_lshlrev_b32_e32 v15, 16, v12
	v_mov_b32_e32 v20, 0x3b800000
	v_lshlrev_b32_e32 v11, 20, v11
	v_and_b32_e32 v15, 0x80000000, v15
	v_lshl_add_u32 v14, v14, 23, v20
	v_or3_b32 v14, v15, v14, v11
.LBB19_848:
	s_or_b64 exec, exec, s[6:7]
	s_nop 0
	v_mfma_f32_16x16x4f32 a[0:3], v10, v14, a[0:3]
	s_movk_i32 s4, 0xff
	v_and_b32_sdwa v11, v16, s4 dst_sel:DWORD dst_unused:UNUSED_PAD src0_sel:WORD_1 src1_sel:DWORD
	s_movk_i32 s4, 0x7f
	v_cmp_lt_i16_e32 vcc, s4, v11
	s_mov_b64 s[4:5], 0
                                        ; implicit-def: $sgpr10
	s_and_saveexec_b64 s[6:7], vcc
	s_xor_b64 s[6:7], exec, s[6:7]
	s_cbranch_execnz .LBB19_2897
; %bb.849:
	s_or_saveexec_b64 s[6:7], s[6:7]
	v_mov_b32_e32 v10, s10
	s_xor_b64 exec, exec, s[6:7]
	s_cbranch_execnz .LBB19_2900
.LBB19_850:
	s_or_b64 exec, exec, s[6:7]
	s_and_saveexec_b64 s[6:7], s[4:5]
	s_cbranch_execz .LBB19_852
.LBB19_851:
	v_bfe_u32 v10, v16, 16, 3
	v_ffbh_u32_e32 v15, v10
	v_min_u32_e32 v15, 32, v15
	v_lshrrev_b32_e32 v11, 19, v16
	v_subrev_u32_e32 v20, 28, v15
	v_and_b32_e32 v11, 15, v11
	v_lshlrev_b32_sdwa v20, v20, v16 dst_sel:DWORD dst_unused:UNUSED_PAD src0_sel:DWORD src1_sel:WORD_1
	v_bfe_u32 v14, v16, 19, 4
	v_sub_u32_e32 v15, 29, v15
	v_and_b32_e32 v20, 7, v20
	v_cmp_eq_u16_e32 vcc, 0, v11
	v_cndmask_b32_e32 v10, v10, v20, vcc
	v_cndmask_b32_e32 v11, v14, v15, vcc
	v_lshlrev_b32_e32 v14, 8, v16
	v_mov_b32_e32 v15, 0x3b800000
	v_lshlrev_b32_e32 v10, 20, v10
	v_and_b32_e32 v14, 0x80000000, v14
	v_lshl_add_u32 v11, v11, 23, v15
	v_or3_b32 v10, v14, v11, v10
.LBB19_852:
	s_or_b64 exec, exec, s[6:7]
	s_movk_i32 s4, 0xff
	v_and_b32_sdwa v11, v12, s4 dst_sel:DWORD dst_unused:UNUSED_PAD src0_sel:WORD_1 src1_sel:DWORD
	s_movk_i32 s4, 0x7f
	v_cmp_lt_i16_e32 vcc, s4, v11
	s_mov_b64 s[4:5], 0
                                        ; implicit-def: $sgpr10
	s_and_saveexec_b64 s[6:7], vcc
	s_xor_b64 s[6:7], exec, s[6:7]
	s_cbranch_execnz .LBB19_2901
; %bb.853:
	s_or_saveexec_b64 s[6:7], s[6:7]
	v_mov_b32_e32 v14, s10
	s_xor_b64 exec, exec, s[6:7]
	s_cbranch_execnz .LBB19_2904
.LBB19_854:
	s_or_b64 exec, exec, s[6:7]
	s_and_saveexec_b64 s[6:7], s[4:5]
	s_cbranch_execz .LBB19_856
.LBB19_855:
	v_bfe_u32 v11, v12, 16, 3
	v_ffbh_u32_e32 v20, v11
	v_min_u32_e32 v20, 32, v20
	v_lshrrev_b32_e32 v14, 19, v12
	v_subrev_u32_e32 v21, 28, v20
	v_and_b32_e32 v14, 15, v14
	v_lshlrev_b32_sdwa v21, v21, v12 dst_sel:DWORD dst_unused:UNUSED_PAD src0_sel:DWORD src1_sel:WORD_1
	v_bfe_u32 v15, v12, 19, 4
	v_sub_u32_e32 v20, 29, v20
	v_and_b32_e32 v21, 7, v21
	v_cmp_eq_u16_e32 vcc, 0, v14
	v_cndmask_b32_e32 v11, v11, v21, vcc
	v_cndmask_b32_e32 v14, v15, v20, vcc
	v_lshlrev_b32_e32 v15, 8, v12
	v_mov_b32_e32 v20, 0x3b800000
	v_lshlrev_b32_e32 v11, 20, v11
	v_and_b32_e32 v15, 0x80000000, v15
	v_lshl_add_u32 v14, v14, 23, v20
	v_or3_b32 v14, v15, v14, v11
.LBB19_856:
	s_or_b64 exec, exec, s[6:7]
	s_nop 0
	v_mfma_f32_16x16x4f32 a[0:3], v10, v14, a[0:3]
	s_movk_i32 s4, 0x7f
	v_cmp_gt_i16_sdwa s[6:7], v16, s4 src0_sel:BYTE_3 src1_sel:DWORD
	s_mov_b64 s[4:5], 0
                                        ; implicit-def: $sgpr10
	s_and_saveexec_b64 s[8:9], s[6:7]
	s_xor_b64 s[6:7], exec, s[8:9]
	s_cbranch_execnz .LBB19_2905
; %bb.857:
	s_or_saveexec_b64 s[6:7], s[6:7]
	v_mov_b32_e32 v10, s10
	s_xor_b64 exec, exec, s[6:7]
	s_cbranch_execnz .LBB19_2908
.LBB19_858:
	s_or_b64 exec, exec, s[6:7]
	s_and_saveexec_b64 s[6:7], s[4:5]
	s_cbranch_execz .LBB19_860
.LBB19_859:
	v_bfe_u32 v10, v16, 24, 3
	v_ffbh_u32_e32 v20, v10
	v_min_u32_e32 v20, 32, v20
	v_lshrrev_b32_e32 v14, 27, v16
	v_subrev_u32_e32 v21, 28, v20
	v_and_b32_e32 v11, 0x80000000, v16
	v_and_b32_e32 v14, 15, v14
	v_bfe_u32 v15, v16, 27, 4
	v_lshlrev_b32_sdwa v16, v21, v16 dst_sel:DWORD dst_unused:UNUSED_PAD src0_sel:DWORD src1_sel:BYTE_3
	v_sub_u32_e32 v20, 29, v20
	v_and_b32_e32 v16, 7, v16
	v_cmp_eq_u16_e32 vcc, 0, v14
	v_cndmask_b32_e32 v10, v10, v16, vcc
	v_cndmask_b32_e32 v14, v15, v20, vcc
	v_mov_b32_e32 v15, 0x3b800000
	v_lshlrev_b32_e32 v10, 20, v10
	v_lshl_add_u32 v14, v14, 23, v15
	v_or3_b32 v10, v11, v14, v10
.LBB19_860:
	s_or_b64 exec, exec, s[6:7]
	s_movk_i32 s4, 0x7f
	v_cmp_gt_i16_sdwa s[6:7], v12, s4 src0_sel:BYTE_3 src1_sel:DWORD
	s_mov_b64 s[4:5], 0
                                        ; implicit-def: $sgpr10
	s_and_saveexec_b64 s[8:9], s[6:7]
	s_xor_b64 s[6:7], exec, s[8:9]
	s_cbranch_execnz .LBB19_2909
; %bb.861:
	s_or_saveexec_b64 s[6:7], s[6:7]
	v_mov_b32_e32 v11, s10
	s_xor_b64 exec, exec, s[6:7]
	s_cbranch_execnz .LBB19_2912
.LBB19_862:
	s_or_b64 exec, exec, s[6:7]
	s_and_saveexec_b64 s[6:7], s[4:5]
	s_cbranch_execz .LBB19_864
.LBB19_863:
	v_bfe_u32 v11, v12, 24, 3
	v_ffbh_u32_e32 v20, v11
	v_min_u32_e32 v20, 32, v20
	v_lshrrev_b32_e32 v15, 27, v12
	v_subrev_u32_e32 v21, 28, v20
	v_and_b32_e32 v14, 0x80000000, v12
	v_and_b32_e32 v15, 15, v15
	v_bfe_u32 v16, v12, 27, 4
	v_lshlrev_b32_sdwa v12, v21, v12 dst_sel:DWORD dst_unused:UNUSED_PAD src0_sel:DWORD src1_sel:BYTE_3
	v_sub_u32_e32 v20, 29, v20
	v_and_b32_e32 v12, 7, v12
	v_cmp_eq_u16_e32 vcc, 0, v15
	v_cndmask_b32_e32 v11, v11, v12, vcc
	v_cndmask_b32_e32 v12, v16, v20, vcc
	v_mov_b32_e32 v15, 0x3b800000
	v_lshlrev_b32_e32 v11, 20, v11
	v_lshl_add_u32 v12, v12, 23, v15
	v_or3_b32 v11, v14, v12, v11
.LBB19_864:
	s_or_b64 exec, exec, s[6:7]
	s_nop 0
	v_mfma_f32_16x16x4f32 a[0:3], v10, v11, a[0:3]
	s_movk_i32 s4, 0x7f
	v_cmp_gt_i16_sdwa s[6:7], v17, s4 src0_sel:BYTE_0 src1_sel:DWORD
	s_mov_b64 s[4:5], 0
                                        ; implicit-def: $sgpr10
	s_and_saveexec_b64 s[8:9], s[6:7]
	s_xor_b64 s[6:7], exec, s[8:9]
	s_cbranch_execnz .LBB19_2913
; %bb.865:
	s_or_saveexec_b64 s[6:7], s[6:7]
	v_mov_b32_e32 v10, s10
	s_xor_b64 exec, exec, s[6:7]
	s_cbranch_execnz .LBB19_2916
.LBB19_866:
	s_or_b64 exec, exec, s[6:7]
	s_and_saveexec_b64 s[6:7], s[4:5]
	s_cbranch_execz .LBB19_868
.LBB19_867:
	v_and_b32_e32 v10, 7, v17
	v_ffbh_u32_e32 v12, v10
	v_min_u32_e32 v12, 32, v12
	v_lshrrev_b16_e32 v11, 3, v17
	v_subrev_u32_e32 v14, 28, v12
	v_and_b32_e32 v11, 15, v11
	v_lshlrev_b32_e32 v14, v14, v17
	v_sub_u32_e32 v12, 29, v12
	v_and_b32_e32 v14, 7, v14
	v_cmp_eq_u16_e32 vcc, 0, v11
	v_cndmask_b32_e32 v10, v10, v14, vcc
	v_cndmask_b32_e32 v11, v11, v12, vcc
	v_lshlrev_b32_e32 v12, 24, v17
	v_mov_b32_e32 v14, 0x3b800000
	v_lshlrev_b32_e32 v10, 20, v10
	v_and_b32_e32 v12, 0x80000000, v12
	v_lshl_add_u32 v11, v11, 23, v14
	v_or3_b32 v10, v12, v11, v10
.LBB19_868:
	s_or_b64 exec, exec, s[6:7]
	s_movk_i32 s4, 0x7f
	v_cmp_gt_i16_sdwa s[6:7], v13, s4 src0_sel:BYTE_0 src1_sel:DWORD
	s_mov_b64 s[4:5], 0
                                        ; implicit-def: $sgpr10
	s_and_saveexec_b64 s[8:9], s[6:7]
	s_xor_b64 s[6:7], exec, s[8:9]
	s_cbranch_execnz .LBB19_2917
; %bb.869:
	s_or_saveexec_b64 s[6:7], s[6:7]
	v_mov_b32_e32 v11, s10
	s_xor_b64 exec, exec, s[6:7]
	s_cbranch_execnz .LBB19_2920
.LBB19_870:
	s_or_b64 exec, exec, s[6:7]
	s_and_saveexec_b64 s[6:7], s[4:5]
	s_cbranch_execz .LBB19_872
.LBB19_871:
	v_and_b32_e32 v11, 7, v13
	v_ffbh_u32_e32 v14, v11
	v_min_u32_e32 v14, 32, v14
	v_lshrrev_b16_e32 v12, 3, v13
	v_subrev_u32_e32 v15, 28, v14
	v_and_b32_e32 v12, 15, v12
	v_lshlrev_b32_e32 v15, v15, v13
	v_sub_u32_e32 v14, 29, v14
	v_and_b32_e32 v15, 7, v15
	v_cmp_eq_u16_e32 vcc, 0, v12
	v_cndmask_b32_e32 v11, v11, v15, vcc
	v_cndmask_b32_e32 v12, v12, v14, vcc
	v_lshlrev_b32_e32 v14, 24, v13
	v_mov_b32_e32 v15, 0x3b800000
	v_lshlrev_b32_e32 v11, 20, v11
	v_and_b32_e32 v14, 0x80000000, v14
	v_lshl_add_u32 v12, v12, 23, v15
	v_or3_b32 v11, v14, v12, v11
.LBB19_872:
	s_or_b64 exec, exec, s[6:7]
	s_nop 0
	v_mfma_f32_16x16x4f32 a[0:3], v10, v11, a[0:3]
	v_lshrrev_b32_e32 v11, 8, v17
	s_movk_i32 s4, 0x7f
	v_cmp_gt_i16_sdwa s[6:7], v11, s4 src0_sel:BYTE_0 src1_sel:DWORD
	s_mov_b64 s[4:5], 0
                                        ; implicit-def: $sgpr10
	s_and_saveexec_b64 s[8:9], s[6:7]
	s_xor_b64 s[6:7], exec, s[8:9]
	s_cbranch_execnz .LBB19_2921
; %bb.873:
	s_or_saveexec_b64 s[6:7], s[6:7]
	v_mov_b32_e32 v10, s10
	s_xor_b64 exec, exec, s[6:7]
	s_cbranch_execnz .LBB19_2924
.LBB19_874:
	s_or_b64 exec, exec, s[6:7]
	s_and_saveexec_b64 s[6:7], s[4:5]
	s_cbranch_execz .LBB19_876
.LBB19_875:
	v_bfe_u32 v10, v17, 8, 3
	v_ffbh_u32_e32 v14, v10
	v_min_u32_e32 v14, 32, v14
	v_lshrrev_b16_e32 v12, 3, v11
	v_subrev_u32_e32 v15, 28, v14
	v_and_b32_e32 v12, 15, v12
	v_lshlrev_b32_e32 v11, v15, v11
	v_sub_u32_e32 v14, 29, v14
	v_and_b32_e32 v11, 7, v11
	v_cmp_eq_u16_e32 vcc, 0, v12
	v_cndmask_b32_e32 v10, v10, v11, vcc
	v_cndmask_b32_e32 v11, v12, v14, vcc
	v_lshlrev_b32_e32 v12, 16, v17
	v_mov_b32_e32 v14, 0x3b800000
	v_lshlrev_b32_e32 v10, 20, v10
	v_and_b32_e32 v12, 0x80000000, v12
	v_lshl_add_u32 v11, v11, 23, v14
	v_or3_b32 v10, v12, v11, v10
.LBB19_876:
	s_or_b64 exec, exec, s[6:7]
	v_lshrrev_b32_e32 v11, 8, v13
	s_movk_i32 s4, 0x7f
	v_cmp_gt_i16_sdwa s[6:7], v11, s4 src0_sel:BYTE_0 src1_sel:DWORD
	s_mov_b64 s[4:5], 0
                                        ; implicit-def: $sgpr10
	s_and_saveexec_b64 s[8:9], s[6:7]
	s_xor_b64 s[6:7], exec, s[8:9]
	s_cbranch_execnz .LBB19_2925
; %bb.877:
	s_or_saveexec_b64 s[6:7], s[6:7]
	v_mov_b32_e32 v12, s10
	s_xor_b64 exec, exec, s[6:7]
	s_cbranch_execnz .LBB19_2928
.LBB19_878:
	s_or_b64 exec, exec, s[6:7]
	s_and_saveexec_b64 s[6:7], s[4:5]
	s_cbranch_execz .LBB19_880
.LBB19_879:
	v_bfe_u32 v12, v13, 8, 3
	v_ffbh_u32_e32 v15, v12
	v_min_u32_e32 v15, 32, v15
	v_lshrrev_b16_e32 v14, 3, v11
	v_subrev_u32_e32 v16, 28, v15
	v_and_b32_e32 v14, 15, v14
	v_lshlrev_b32_e32 v11, v16, v11
	v_sub_u32_e32 v15, 29, v15
	v_and_b32_e32 v11, 7, v11
	v_cmp_eq_u16_e32 vcc, 0, v14
	v_cndmask_b32_e32 v11, v12, v11, vcc
	v_cndmask_b32_e32 v12, v14, v15, vcc
	v_lshlrev_b32_e32 v14, 16, v13
	v_mov_b32_e32 v15, 0x3b800000
	v_lshlrev_b32_e32 v11, 20, v11
	v_and_b32_e32 v14, 0x80000000, v14
	v_lshl_add_u32 v12, v12, 23, v15
	v_or3_b32 v12, v14, v12, v11
.LBB19_880:
	s_or_b64 exec, exec, s[6:7]
	s_nop 0
	v_mfma_f32_16x16x4f32 a[0:3], v10, v12, a[0:3]
	s_movk_i32 s4, 0xff
	v_and_b32_sdwa v11, v17, s4 dst_sel:DWORD dst_unused:UNUSED_PAD src0_sel:WORD_1 src1_sel:DWORD
	s_movk_i32 s4, 0x7f
	v_cmp_lt_i16_e32 vcc, s4, v11
	s_mov_b64 s[4:5], 0
                                        ; implicit-def: $sgpr10
	s_and_saveexec_b64 s[6:7], vcc
	s_xor_b64 s[6:7], exec, s[6:7]
	s_cbranch_execnz .LBB19_2929
; %bb.881:
	s_or_saveexec_b64 s[6:7], s[6:7]
	v_mov_b32_e32 v10, s10
	s_xor_b64 exec, exec, s[6:7]
	s_cbranch_execnz .LBB19_2932
.LBB19_882:
	s_or_b64 exec, exec, s[6:7]
	s_and_saveexec_b64 s[6:7], s[4:5]
	s_cbranch_execz .LBB19_884
.LBB19_883:
	v_bfe_u32 v10, v17, 16, 3
	v_ffbh_u32_e32 v14, v10
	v_min_u32_e32 v14, 32, v14
	v_lshrrev_b32_e32 v11, 19, v17
	v_subrev_u32_e32 v15, 28, v14
	v_and_b32_e32 v11, 15, v11
	v_lshlrev_b32_sdwa v15, v15, v17 dst_sel:DWORD dst_unused:UNUSED_PAD src0_sel:DWORD src1_sel:WORD_1
	v_bfe_u32 v12, v17, 19, 4
	v_sub_u32_e32 v14, 29, v14
	v_and_b32_e32 v15, 7, v15
	v_cmp_eq_u16_e32 vcc, 0, v11
	v_cndmask_b32_e32 v10, v10, v15, vcc
	v_cndmask_b32_e32 v11, v12, v14, vcc
	v_lshlrev_b32_e32 v12, 8, v17
	v_mov_b32_e32 v14, 0x3b800000
	v_lshlrev_b32_e32 v10, 20, v10
	v_and_b32_e32 v12, 0x80000000, v12
	v_lshl_add_u32 v11, v11, 23, v14
	v_or3_b32 v10, v12, v11, v10
.LBB19_884:
	s_or_b64 exec, exec, s[6:7]
	s_movk_i32 s4, 0xff
	v_and_b32_sdwa v11, v13, s4 dst_sel:DWORD dst_unused:UNUSED_PAD src0_sel:WORD_1 src1_sel:DWORD
	s_movk_i32 s4, 0x7f
	v_cmp_lt_i16_e32 vcc, s4, v11
	s_mov_b64 s[4:5], 0
                                        ; implicit-def: $sgpr10
	s_and_saveexec_b64 s[6:7], vcc
	s_xor_b64 s[6:7], exec, s[6:7]
	s_cbranch_execnz .LBB19_2933
; %bb.885:
	s_or_saveexec_b64 s[6:7], s[6:7]
	v_mov_b32_e32 v12, s10
	s_xor_b64 exec, exec, s[6:7]
	s_cbranch_execnz .LBB19_2936
.LBB19_886:
	s_or_b64 exec, exec, s[6:7]
	s_and_saveexec_b64 s[6:7], s[4:5]
	s_cbranch_execz .LBB19_888
.LBB19_887:
	v_bfe_u32 v11, v13, 16, 3
	v_ffbh_u32_e32 v15, v11
	v_min_u32_e32 v15, 32, v15
	v_lshrrev_b32_e32 v12, 19, v13
	v_subrev_u32_e32 v16, 28, v15
	v_and_b32_e32 v12, 15, v12
	v_lshlrev_b32_sdwa v16, v16, v13 dst_sel:DWORD dst_unused:UNUSED_PAD src0_sel:DWORD src1_sel:WORD_1
	v_bfe_u32 v14, v13, 19, 4
	v_sub_u32_e32 v15, 29, v15
	v_and_b32_e32 v16, 7, v16
	v_cmp_eq_u16_e32 vcc, 0, v12
	v_cndmask_b32_e32 v11, v11, v16, vcc
	v_cndmask_b32_e32 v12, v14, v15, vcc
	v_lshlrev_b32_e32 v14, 8, v13
	v_mov_b32_e32 v15, 0x3b800000
	v_lshlrev_b32_e32 v11, 20, v11
	v_and_b32_e32 v14, 0x80000000, v14
	v_lshl_add_u32 v12, v12, 23, v15
	v_or3_b32 v12, v14, v12, v11
.LBB19_888:
	s_or_b64 exec, exec, s[6:7]
	s_nop 0
	v_mfma_f32_16x16x4f32 a[0:3], v10, v12, a[0:3]
	s_movk_i32 s4, 0x7f
	v_cmp_gt_i16_sdwa s[6:7], v17, s4 src0_sel:BYTE_3 src1_sel:DWORD
	s_mov_b64 s[4:5], 0
                                        ; implicit-def: $sgpr10
	s_and_saveexec_b64 s[8:9], s[6:7]
	s_xor_b64 s[6:7], exec, s[8:9]
	s_cbranch_execnz .LBB19_2937
; %bb.889:
	s_or_saveexec_b64 s[6:7], s[6:7]
	v_mov_b32_e32 v10, s10
	s_xor_b64 exec, exec, s[6:7]
	s_cbranch_execnz .LBB19_2940
.LBB19_890:
	s_or_b64 exec, exec, s[6:7]
	s_and_saveexec_b64 s[6:7], s[4:5]
	s_cbranch_execz .LBB19_892
.LBB19_891:
	v_bfe_u32 v10, v17, 24, 3
	v_ffbh_u32_e32 v15, v10
	v_min_u32_e32 v15, 32, v15
	v_lshrrev_b32_e32 v12, 27, v17
	v_subrev_u32_e32 v16, 28, v15
	v_and_b32_e32 v12, 15, v12
	v_lshlrev_b32_sdwa v16, v16, v17 dst_sel:DWORD dst_unused:UNUSED_PAD src0_sel:DWORD src1_sel:BYTE_3
	v_bfe_u32 v14, v17, 27, 4
	v_sub_u32_e32 v15, 29, v15
	v_and_b32_e32 v16, 7, v16
	v_cmp_eq_u16_e32 vcc, 0, v12
	v_cndmask_b32_e32 v10, v10, v16, vcc
	v_cndmask_b32_e32 v12, v14, v15, vcc
	v_mov_b32_e32 v14, 0x3b800000
	v_and_b32_e32 v11, 0x80000000, v17
	v_lshlrev_b32_e32 v10, 20, v10
	v_lshl_add_u32 v12, v12, 23, v14
	v_or3_b32 v10, v11, v12, v10
.LBB19_892:
	s_or_b64 exec, exec, s[6:7]
	s_movk_i32 s4, 0x7f
	v_cmp_gt_i16_sdwa s[6:7], v13, s4 src0_sel:BYTE_3 src1_sel:DWORD
	s_mov_b64 s[4:5], 0
                                        ; implicit-def: $sgpr10
	s_and_saveexec_b64 s[8:9], s[6:7]
	s_xor_b64 s[6:7], exec, s[8:9]
	s_cbranch_execnz .LBB19_2941
; %bb.893:
	s_or_saveexec_b64 s[6:7], s[6:7]
	v_mov_b32_e32 v11, s10
	s_xor_b64 exec, exec, s[6:7]
	s_cbranch_execnz .LBB19_2944
.LBB19_894:
	s_or_b64 exec, exec, s[6:7]
	s_and_saveexec_b64 s[6:7], s[4:5]
	s_cbranch_execz .LBB19_896
.LBB19_895:
	v_bfe_u32 v11, v13, 24, 3
	v_ffbh_u32_e32 v16, v11
	v_min_u32_e32 v16, 32, v16
	v_lshrrev_b32_e32 v14, 27, v13
	v_subrev_u32_e32 v17, 28, v16
	v_and_b32_e32 v12, 0x80000000, v13
	v_and_b32_e32 v14, 15, v14
	v_bfe_u32 v15, v13, 27, 4
	v_lshlrev_b32_sdwa v13, v17, v13 dst_sel:DWORD dst_unused:UNUSED_PAD src0_sel:DWORD src1_sel:BYTE_3
	v_sub_u32_e32 v16, 29, v16
	v_and_b32_e32 v13, 7, v13
	v_cmp_eq_u16_e32 vcc, 0, v14
	v_cndmask_b32_e32 v11, v11, v13, vcc
	v_cndmask_b32_e32 v13, v15, v16, vcc
	v_mov_b32_e32 v14, 0x3b800000
	v_lshlrev_b32_e32 v11, 20, v11
	v_lshl_add_u32 v13, v13, 23, v14
	v_or3_b32 v11, v12, v13, v11
.LBB19_896:
	s_or_b64 exec, exec, s[6:7]
	s_nop 0
	v_mfma_f32_16x16x4f32 a[0:3], v10, v11, a[0:3]
	s_movk_i32 s4, 0x7f
	v_cmp_gt_i16_sdwa s[6:7], v6, s4 src0_sel:BYTE_0 src1_sel:DWORD
	s_mov_b64 s[4:5], 0
                                        ; implicit-def: $sgpr10
	s_and_saveexec_b64 s[8:9], s[6:7]
	s_xor_b64 s[6:7], exec, s[8:9]
	s_cbranch_execnz .LBB19_2945
; %bb.897:
	s_or_saveexec_b64 s[6:7], s[6:7]
	v_mov_b32_e32 v10, s10
	s_xor_b64 exec, exec, s[6:7]
	s_cbranch_execnz .LBB19_2948
.LBB19_898:
	s_or_b64 exec, exec, s[6:7]
	s_and_saveexec_b64 s[6:7], s[4:5]
	s_cbranch_execz .LBB19_900
.LBB19_899:
	v_and_b32_e32 v10, 7, v6
	v_ffbh_u32_e32 v12, v10
	v_min_u32_e32 v12, 32, v12
	v_lshrrev_b16_e32 v11, 3, v6
	v_subrev_u32_e32 v13, 28, v12
	v_and_b32_e32 v11, 15, v11
	v_lshlrev_b32_e32 v13, v13, v6
	v_sub_u32_e32 v12, 29, v12
	v_and_b32_e32 v13, 7, v13
	v_cmp_eq_u16_e32 vcc, 0, v11
	v_cndmask_b32_e32 v10, v10, v13, vcc
	v_cndmask_b32_e32 v11, v11, v12, vcc
	v_lshlrev_b32_e32 v12, 24, v6
	v_mov_b32_e32 v13, 0x3b800000
	v_lshlrev_b32_e32 v10, 20, v10
	v_and_b32_e32 v12, 0x80000000, v12
	v_lshl_add_u32 v11, v11, 23, v13
	v_or3_b32 v10, v12, v11, v10
.LBB19_900:
	s_or_b64 exec, exec, s[6:7]
	s_movk_i32 s4, 0x7f
	v_cmp_gt_i16_sdwa s[6:7], v2, s4 src0_sel:BYTE_0 src1_sel:DWORD
	s_mov_b64 s[4:5], 0
                                        ; implicit-def: $sgpr10
	s_and_saveexec_b64 s[8:9], s[6:7]
	s_xor_b64 s[6:7], exec, s[8:9]
	s_cbranch_execnz .LBB19_2949
; %bb.901:
	s_or_saveexec_b64 s[6:7], s[6:7]
	v_mov_b32_e32 v11, s10
	s_xor_b64 exec, exec, s[6:7]
	s_cbranch_execnz .LBB19_2952
.LBB19_902:
	s_or_b64 exec, exec, s[6:7]
	s_and_saveexec_b64 s[6:7], s[4:5]
	s_cbranch_execz .LBB19_904
.LBB19_903:
	v_and_b32_e32 v11, 7, v2
	v_ffbh_u32_e32 v13, v11
	v_min_u32_e32 v13, 32, v13
	v_lshrrev_b16_e32 v12, 3, v2
	v_subrev_u32_e32 v14, 28, v13
	v_and_b32_e32 v12, 15, v12
	v_lshlrev_b32_e32 v14, v14, v2
	v_sub_u32_e32 v13, 29, v13
	v_and_b32_e32 v14, 7, v14
	v_cmp_eq_u16_e32 vcc, 0, v12
	v_cndmask_b32_e32 v11, v11, v14, vcc
	v_cndmask_b32_e32 v12, v12, v13, vcc
	v_lshlrev_b32_e32 v13, 24, v2
	v_mov_b32_e32 v14, 0x3b800000
	v_lshlrev_b32_e32 v11, 20, v11
	v_and_b32_e32 v13, 0x80000000, v13
	v_lshl_add_u32 v12, v12, 23, v14
	v_or3_b32 v11, v13, v12, v11
.LBB19_904:
	s_or_b64 exec, exec, s[6:7]
	s_nop 0
	v_mfma_f32_16x16x4f32 a[0:3], v10, v11, a[0:3]
	v_lshrrev_b32_e32 v11, 8, v6
	s_movk_i32 s4, 0x7f
	v_cmp_gt_i16_sdwa s[6:7], v11, s4 src0_sel:BYTE_0 src1_sel:DWORD
	s_mov_b64 s[4:5], 0
                                        ; implicit-def: $sgpr10
	s_and_saveexec_b64 s[8:9], s[6:7]
	s_xor_b64 s[6:7], exec, s[8:9]
	s_cbranch_execnz .LBB19_2953
; %bb.905:
	s_or_saveexec_b64 s[6:7], s[6:7]
	v_mov_b32_e32 v10, s10
	s_xor_b64 exec, exec, s[6:7]
	s_cbranch_execnz .LBB19_2956
.LBB19_906:
	s_or_b64 exec, exec, s[6:7]
	s_and_saveexec_b64 s[6:7], s[4:5]
	s_cbranch_execz .LBB19_908
.LBB19_907:
	v_bfe_u32 v10, v6, 8, 3
	v_ffbh_u32_e32 v13, v10
	v_min_u32_e32 v13, 32, v13
	v_lshrrev_b16_e32 v12, 3, v11
	v_subrev_u32_e32 v14, 28, v13
	v_and_b32_e32 v12, 15, v12
	v_lshlrev_b32_e32 v11, v14, v11
	v_sub_u32_e32 v13, 29, v13
	v_and_b32_e32 v11, 7, v11
	v_cmp_eq_u16_e32 vcc, 0, v12
	v_cndmask_b32_e32 v10, v10, v11, vcc
	v_cndmask_b32_e32 v11, v12, v13, vcc
	v_lshlrev_b32_e32 v12, 16, v6
	v_mov_b32_e32 v13, 0x3b800000
	v_lshlrev_b32_e32 v10, 20, v10
	v_and_b32_e32 v12, 0x80000000, v12
	v_lshl_add_u32 v11, v11, 23, v13
	v_or3_b32 v10, v12, v11, v10
.LBB19_908:
	s_or_b64 exec, exec, s[6:7]
	v_lshrrev_b32_e32 v11, 8, v2
	s_movk_i32 s4, 0x7f
	v_cmp_gt_i16_sdwa s[6:7], v11, s4 src0_sel:BYTE_0 src1_sel:DWORD
	s_mov_b64 s[4:5], 0
                                        ; implicit-def: $sgpr10
	s_and_saveexec_b64 s[8:9], s[6:7]
	s_xor_b64 s[6:7], exec, s[8:9]
	s_cbranch_execnz .LBB19_2957
; %bb.909:
	s_or_saveexec_b64 s[6:7], s[6:7]
	v_mov_b32_e32 v12, s10
	s_xor_b64 exec, exec, s[6:7]
	s_cbranch_execnz .LBB19_2960
.LBB19_910:
	s_or_b64 exec, exec, s[6:7]
	s_and_saveexec_b64 s[6:7], s[4:5]
	s_cbranch_execz .LBB19_912
.LBB19_911:
	v_bfe_u32 v12, v2, 8, 3
	v_ffbh_u32_e32 v14, v12
	v_min_u32_e32 v14, 32, v14
	v_lshrrev_b16_e32 v13, 3, v11
	v_subrev_u32_e32 v15, 28, v14
	v_and_b32_e32 v13, 15, v13
	v_lshlrev_b32_e32 v11, v15, v11
	v_sub_u32_e32 v14, 29, v14
	v_and_b32_e32 v11, 7, v11
	v_cmp_eq_u16_e32 vcc, 0, v13
	v_cndmask_b32_e32 v11, v12, v11, vcc
	v_cndmask_b32_e32 v12, v13, v14, vcc
	v_lshlrev_b32_e32 v13, 16, v2
	v_mov_b32_e32 v14, 0x3b800000
	v_lshlrev_b32_e32 v11, 20, v11
	v_and_b32_e32 v13, 0x80000000, v13
	v_lshl_add_u32 v12, v12, 23, v14
	v_or3_b32 v12, v13, v12, v11
.LBB19_912:
	s_or_b64 exec, exec, s[6:7]
	s_nop 0
	v_mfma_f32_16x16x4f32 a[0:3], v10, v12, a[0:3]
	s_movk_i32 s4, 0xff
	v_and_b32_sdwa v11, v6, s4 dst_sel:DWORD dst_unused:UNUSED_PAD src0_sel:WORD_1 src1_sel:DWORD
	s_movk_i32 s4, 0x7f
	v_cmp_lt_i16_e32 vcc, s4, v11
	s_mov_b64 s[4:5], 0
                                        ; implicit-def: $sgpr10
	s_and_saveexec_b64 s[6:7], vcc
	s_xor_b64 s[6:7], exec, s[6:7]
	s_cbranch_execnz .LBB19_2961
; %bb.913:
	s_or_saveexec_b64 s[6:7], s[6:7]
	v_mov_b32_e32 v10, s10
	s_xor_b64 exec, exec, s[6:7]
	s_cbranch_execnz .LBB19_2964
.LBB19_914:
	s_or_b64 exec, exec, s[6:7]
	s_and_saveexec_b64 s[6:7], s[4:5]
	s_cbranch_execz .LBB19_916
.LBB19_915:
	v_bfe_u32 v10, v6, 16, 3
	v_ffbh_u32_e32 v13, v10
	v_min_u32_e32 v13, 32, v13
	v_lshrrev_b32_e32 v11, 19, v6
	v_subrev_u32_e32 v14, 28, v13
	v_and_b32_e32 v11, 15, v11
	v_lshlrev_b32_sdwa v14, v14, v6 dst_sel:DWORD dst_unused:UNUSED_PAD src0_sel:DWORD src1_sel:WORD_1
	v_bfe_u32 v12, v6, 19, 4
	v_sub_u32_e32 v13, 29, v13
	v_and_b32_e32 v14, 7, v14
	v_cmp_eq_u16_e32 vcc, 0, v11
	v_cndmask_b32_e32 v10, v10, v14, vcc
	v_cndmask_b32_e32 v11, v12, v13, vcc
	v_lshlrev_b32_e32 v12, 8, v6
	v_mov_b32_e32 v13, 0x3b800000
	v_lshlrev_b32_e32 v10, 20, v10
	v_and_b32_e32 v12, 0x80000000, v12
	v_lshl_add_u32 v11, v11, 23, v13
	v_or3_b32 v10, v12, v11, v10
.LBB19_916:
	s_or_b64 exec, exec, s[6:7]
	s_movk_i32 s4, 0xff
	v_and_b32_sdwa v11, v2, s4 dst_sel:DWORD dst_unused:UNUSED_PAD src0_sel:WORD_1 src1_sel:DWORD
	s_movk_i32 s4, 0x7f
	v_cmp_lt_i16_e32 vcc, s4, v11
	s_mov_b64 s[4:5], 0
                                        ; implicit-def: $sgpr10
	s_and_saveexec_b64 s[6:7], vcc
	s_xor_b64 s[6:7], exec, s[6:7]
	s_cbranch_execnz .LBB19_2965
; %bb.917:
	s_or_saveexec_b64 s[6:7], s[6:7]
	v_mov_b32_e32 v12, s10
	s_xor_b64 exec, exec, s[6:7]
	s_cbranch_execnz .LBB19_2968
.LBB19_918:
	s_or_b64 exec, exec, s[6:7]
	s_and_saveexec_b64 s[6:7], s[4:5]
	s_cbranch_execz .LBB19_920
.LBB19_919:
	v_bfe_u32 v11, v2, 16, 3
	v_ffbh_u32_e32 v14, v11
	v_min_u32_e32 v14, 32, v14
	v_lshrrev_b32_e32 v12, 19, v2
	v_subrev_u32_e32 v15, 28, v14
	v_and_b32_e32 v12, 15, v12
	v_lshlrev_b32_sdwa v15, v15, v2 dst_sel:DWORD dst_unused:UNUSED_PAD src0_sel:DWORD src1_sel:WORD_1
	v_bfe_u32 v13, v2, 19, 4
	v_sub_u32_e32 v14, 29, v14
	v_and_b32_e32 v15, 7, v15
	v_cmp_eq_u16_e32 vcc, 0, v12
	v_cndmask_b32_e32 v11, v11, v15, vcc
	v_cndmask_b32_e32 v12, v13, v14, vcc
	v_lshlrev_b32_e32 v13, 8, v2
	v_mov_b32_e32 v14, 0x3b800000
	v_lshlrev_b32_e32 v11, 20, v11
	v_and_b32_e32 v13, 0x80000000, v13
	v_lshl_add_u32 v12, v12, 23, v14
	v_or3_b32 v12, v13, v12, v11
.LBB19_920:
	s_or_b64 exec, exec, s[6:7]
	s_nop 0
	v_mfma_f32_16x16x4f32 a[0:3], v10, v12, a[0:3]
	s_movk_i32 s4, 0x7f
	v_cmp_gt_i16_sdwa s[6:7], v6, s4 src0_sel:BYTE_3 src1_sel:DWORD
	s_mov_b64 s[4:5], 0
                                        ; implicit-def: $sgpr10
	s_and_saveexec_b64 s[8:9], s[6:7]
	s_xor_b64 s[6:7], exec, s[8:9]
	s_cbranch_execnz .LBB19_2969
; %bb.921:
	s_or_saveexec_b64 s[6:7], s[6:7]
	v_mov_b32_e32 v10, s10
	s_xor_b64 exec, exec, s[6:7]
	s_cbranch_execnz .LBB19_2972
.LBB19_922:
	s_or_b64 exec, exec, s[6:7]
	s_and_saveexec_b64 s[6:7], s[4:5]
	s_cbranch_execz .LBB19_924
.LBB19_923:
	v_bfe_u32 v10, v6, 24, 3
	v_ffbh_u32_e32 v14, v10
	v_min_u32_e32 v14, 32, v14
	v_lshrrev_b32_e32 v12, 27, v6
	v_subrev_u32_e32 v15, 28, v14
	v_and_b32_e32 v11, 0x80000000, v6
	v_and_b32_e32 v12, 15, v12
	v_bfe_u32 v13, v6, 27, 4
	v_lshlrev_b32_sdwa v6, v15, v6 dst_sel:DWORD dst_unused:UNUSED_PAD src0_sel:DWORD src1_sel:BYTE_3
	v_sub_u32_e32 v14, 29, v14
	v_and_b32_e32 v6, 7, v6
	v_cmp_eq_u16_e32 vcc, 0, v12
	v_cndmask_b32_e32 v6, v10, v6, vcc
	v_cndmask_b32_e32 v10, v13, v14, vcc
	v_mov_b32_e32 v12, 0x3b800000
	v_lshlrev_b32_e32 v6, 20, v6
	v_lshl_add_u32 v10, v10, 23, v12
	v_or3_b32 v10, v11, v10, v6
.LBB19_924:
	s_or_b64 exec, exec, s[6:7]
	s_movk_i32 s4, 0x7f
	v_cmp_gt_i16_sdwa s[6:7], v2, s4 src0_sel:BYTE_3 src1_sel:DWORD
	s_mov_b64 s[4:5], 0
                                        ; implicit-def: $sgpr10
	s_and_saveexec_b64 s[8:9], s[6:7]
	s_xor_b64 s[6:7], exec, s[8:9]
	s_cbranch_execnz .LBB19_2973
; %bb.925:
	s_or_saveexec_b64 s[6:7], s[6:7]
	v_mov_b32_e32 v6, s10
	s_xor_b64 exec, exec, s[6:7]
	s_cbranch_execnz .LBB19_2976
.LBB19_926:
	s_or_b64 exec, exec, s[6:7]
	s_and_saveexec_b64 s[6:7], s[4:5]
	s_cbranch_execz .LBB19_928
.LBB19_927:
	v_bfe_u32 v6, v2, 24, 3
	v_ffbh_u32_e32 v14, v6
	v_min_u32_e32 v14, 32, v14
	v_lshrrev_b32_e32 v12, 27, v2
	v_subrev_u32_e32 v15, 28, v14
	v_and_b32_e32 v11, 0x80000000, v2
	v_and_b32_e32 v12, 15, v12
	v_bfe_u32 v13, v2, 27, 4
	v_lshlrev_b32_sdwa v2, v15, v2 dst_sel:DWORD dst_unused:UNUSED_PAD src0_sel:DWORD src1_sel:BYTE_3
	v_sub_u32_e32 v14, 29, v14
	v_and_b32_e32 v2, 7, v2
	v_cmp_eq_u16_e32 vcc, 0, v12
	v_cndmask_b32_e32 v2, v6, v2, vcc
	v_cndmask_b32_e32 v6, v13, v14, vcc
	v_mov_b32_e32 v12, 0x3b800000
	v_lshlrev_b32_e32 v2, 20, v2
	v_lshl_add_u32 v6, v6, 23, v12
	v_or3_b32 v6, v11, v6, v2
.LBB19_928:
	s_or_b64 exec, exec, s[6:7]
	s_nop 0
	v_mfma_f32_16x16x4f32 a[0:3], v10, v6, a[0:3]
	s_movk_i32 s4, 0x7f
	v_cmp_gt_i16_sdwa s[6:7], v7, s4 src0_sel:BYTE_0 src1_sel:DWORD
	s_mov_b64 s[4:5], 0
                                        ; implicit-def: $sgpr10
	s_and_saveexec_b64 s[8:9], s[6:7]
	s_xor_b64 s[6:7], exec, s[8:9]
	s_cbranch_execnz .LBB19_2977
; %bb.929:
	s_or_saveexec_b64 s[6:7], s[6:7]
	v_mov_b32_e32 v2, s10
	s_xor_b64 exec, exec, s[6:7]
	s_cbranch_execnz .LBB19_2980
.LBB19_930:
	s_or_b64 exec, exec, s[6:7]
	s_and_saveexec_b64 s[6:7], s[4:5]
	s_cbranch_execz .LBB19_932
.LBB19_931:
	v_and_b32_e32 v2, 7, v7
	v_ffbh_u32_e32 v10, v2
	v_min_u32_e32 v10, 32, v10
	v_lshrrev_b16_e32 v6, 3, v7
	v_subrev_u32_e32 v11, 28, v10
	v_and_b32_e32 v6, 15, v6
	v_lshlrev_b32_e32 v11, v11, v7
	v_sub_u32_e32 v10, 29, v10
	v_and_b32_e32 v11, 7, v11
	v_cmp_eq_u16_e32 vcc, 0, v6
	v_cndmask_b32_e32 v2, v2, v11, vcc
	v_cndmask_b32_e32 v6, v6, v10, vcc
	v_lshlrev_b32_e32 v10, 24, v7
	v_mov_b32_e32 v11, 0x3b800000
	v_lshlrev_b32_e32 v2, 20, v2
	v_and_b32_e32 v10, 0x80000000, v10
	v_lshl_add_u32 v6, v6, 23, v11
	v_or3_b32 v2, v10, v6, v2
.LBB19_932:
	s_or_b64 exec, exec, s[6:7]
	s_movk_i32 s4, 0x7f
	v_cmp_gt_i16_sdwa s[6:7], v3, s4 src0_sel:BYTE_0 src1_sel:DWORD
	s_mov_b64 s[4:5], 0
                                        ; implicit-def: $sgpr10
	s_and_saveexec_b64 s[8:9], s[6:7]
	s_xor_b64 s[6:7], exec, s[8:9]
	s_cbranch_execnz .LBB19_2981
; %bb.933:
	s_or_saveexec_b64 s[6:7], s[6:7]
	v_mov_b32_e32 v6, s10
	s_xor_b64 exec, exec, s[6:7]
	s_cbranch_execnz .LBB19_2984
.LBB19_934:
	s_or_b64 exec, exec, s[6:7]
	s_and_saveexec_b64 s[6:7], s[4:5]
	s_cbranch_execz .LBB19_936
.LBB19_935:
	v_and_b32_e32 v6, 7, v3
	v_ffbh_u32_e32 v11, v6
	v_min_u32_e32 v11, 32, v11
	v_lshrrev_b16_e32 v10, 3, v3
	v_subrev_u32_e32 v12, 28, v11
	v_and_b32_e32 v10, 15, v10
	v_lshlrev_b32_e32 v12, v12, v3
	v_sub_u32_e32 v11, 29, v11
	v_and_b32_e32 v12, 7, v12
	v_cmp_eq_u16_e32 vcc, 0, v10
	v_cndmask_b32_e32 v6, v6, v12, vcc
	v_cndmask_b32_e32 v10, v10, v11, vcc
	v_lshlrev_b32_e32 v11, 24, v3
	v_mov_b32_e32 v12, 0x3b800000
	v_lshlrev_b32_e32 v6, 20, v6
	v_and_b32_e32 v11, 0x80000000, v11
	v_lshl_add_u32 v10, v10, 23, v12
	v_or3_b32 v6, v11, v10, v6
.LBB19_936:
	s_or_b64 exec, exec, s[6:7]
	s_nop 0
	v_mfma_f32_16x16x4f32 a[0:3], v2, v6, a[0:3]
	v_lshrrev_b32_e32 v6, 8, v7
	s_movk_i32 s4, 0x7f
	v_cmp_gt_i16_sdwa s[6:7], v6, s4 src0_sel:BYTE_0 src1_sel:DWORD
	s_mov_b64 s[4:5], 0
                                        ; implicit-def: $sgpr10
	s_and_saveexec_b64 s[8:9], s[6:7]
	s_xor_b64 s[6:7], exec, s[8:9]
	s_cbranch_execnz .LBB19_2985
; %bb.937:
	s_or_saveexec_b64 s[6:7], s[6:7]
	v_mov_b32_e32 v2, s10
	s_xor_b64 exec, exec, s[6:7]
	s_cbranch_execnz .LBB19_2988
.LBB19_938:
	s_or_b64 exec, exec, s[6:7]
	s_and_saveexec_b64 s[6:7], s[4:5]
	s_cbranch_execz .LBB19_940
.LBB19_939:
	v_bfe_u32 v2, v7, 8, 3
	v_ffbh_u32_e32 v11, v2
	v_min_u32_e32 v11, 32, v11
	v_lshrrev_b16_e32 v10, 3, v6
	v_subrev_u32_e32 v12, 28, v11
	v_and_b32_e32 v10, 15, v10
	v_lshlrev_b32_e32 v6, v12, v6
	v_sub_u32_e32 v11, 29, v11
	v_and_b32_e32 v6, 7, v6
	v_cmp_eq_u16_e32 vcc, 0, v10
	v_cndmask_b32_e32 v2, v2, v6, vcc
	v_cndmask_b32_e32 v6, v10, v11, vcc
	v_lshlrev_b32_e32 v10, 16, v7
	v_mov_b32_e32 v11, 0x3b800000
	v_lshlrev_b32_e32 v2, 20, v2
	v_and_b32_e32 v10, 0x80000000, v10
	v_lshl_add_u32 v6, v6, 23, v11
	v_or3_b32 v2, v10, v6, v2
.LBB19_940:
	s_or_b64 exec, exec, s[6:7]
	v_lshrrev_b32_e32 v6, 8, v3
	s_movk_i32 s4, 0x7f
	v_cmp_gt_i16_sdwa s[6:7], v6, s4 src0_sel:BYTE_0 src1_sel:DWORD
	s_mov_b64 s[4:5], 0
                                        ; implicit-def: $sgpr10
	s_and_saveexec_b64 s[8:9], s[6:7]
	s_xor_b64 s[6:7], exec, s[8:9]
	s_cbranch_execnz .LBB19_2989
; %bb.941:
	s_or_saveexec_b64 s[6:7], s[6:7]
	v_mov_b32_e32 v10, s10
	s_xor_b64 exec, exec, s[6:7]
	s_cbranch_execnz .LBB19_2992
.LBB19_942:
	s_or_b64 exec, exec, s[6:7]
	s_and_saveexec_b64 s[6:7], s[4:5]
	s_cbranch_execz .LBB19_944
.LBB19_943:
	v_bfe_u32 v10, v3, 8, 3
	v_ffbh_u32_e32 v12, v10
	v_min_u32_e32 v12, 32, v12
	v_lshrrev_b16_e32 v11, 3, v6
	v_subrev_u32_e32 v13, 28, v12
	v_and_b32_e32 v11, 15, v11
	v_lshlrev_b32_e32 v6, v13, v6
	v_sub_u32_e32 v12, 29, v12
	v_and_b32_e32 v6, 7, v6
	v_cmp_eq_u16_e32 vcc, 0, v11
	v_cndmask_b32_e32 v6, v10, v6, vcc
	v_cndmask_b32_e32 v10, v11, v12, vcc
	v_lshlrev_b32_e32 v11, 16, v3
	v_mov_b32_e32 v12, 0x3b800000
	v_lshlrev_b32_e32 v6, 20, v6
	v_and_b32_e32 v11, 0x80000000, v11
	v_lshl_add_u32 v10, v10, 23, v12
	v_or3_b32 v10, v11, v10, v6
.LBB19_944:
	s_or_b64 exec, exec, s[6:7]
	s_nop 0
	v_mfma_f32_16x16x4f32 a[0:3], v2, v10, a[0:3]
	s_movk_i32 s4, 0xff
	v_and_b32_sdwa v6, v7, s4 dst_sel:DWORD dst_unused:UNUSED_PAD src0_sel:WORD_1 src1_sel:DWORD
	s_movk_i32 s4, 0x7f
	v_cmp_lt_i16_e32 vcc, s4, v6
	s_mov_b64 s[4:5], 0
                                        ; implicit-def: $sgpr10
	s_and_saveexec_b64 s[6:7], vcc
	s_xor_b64 s[6:7], exec, s[6:7]
	s_cbranch_execnz .LBB19_2993
; %bb.945:
	s_or_saveexec_b64 s[6:7], s[6:7]
	v_mov_b32_e32 v2, s10
	s_xor_b64 exec, exec, s[6:7]
	s_cbranch_execnz .LBB19_2996
.LBB19_946:
	s_or_b64 exec, exec, s[6:7]
	s_and_saveexec_b64 s[6:7], s[4:5]
	s_cbranch_execz .LBB19_948
.LBB19_947:
	v_bfe_u32 v2, v7, 16, 3
	v_ffbh_u32_e32 v11, v2
	v_min_u32_e32 v11, 32, v11
	v_lshrrev_b32_e32 v6, 19, v7
	v_subrev_u32_e32 v12, 28, v11
	v_and_b32_e32 v6, 15, v6
	v_lshlrev_b32_sdwa v12, v12, v7 dst_sel:DWORD dst_unused:UNUSED_PAD src0_sel:DWORD src1_sel:WORD_1
	v_bfe_u32 v10, v7, 19, 4
	v_sub_u32_e32 v11, 29, v11
	v_and_b32_e32 v12, 7, v12
	v_cmp_eq_u16_e32 vcc, 0, v6
	v_cndmask_b32_e32 v2, v2, v12, vcc
	v_cndmask_b32_e32 v6, v10, v11, vcc
	v_lshlrev_b32_e32 v10, 8, v7
	v_mov_b32_e32 v11, 0x3b800000
	v_lshlrev_b32_e32 v2, 20, v2
	v_and_b32_e32 v10, 0x80000000, v10
	v_lshl_add_u32 v6, v6, 23, v11
	v_or3_b32 v2, v10, v6, v2
.LBB19_948:
	s_or_b64 exec, exec, s[6:7]
	s_movk_i32 s4, 0xff
	v_and_b32_sdwa v6, v3, s4 dst_sel:DWORD dst_unused:UNUSED_PAD src0_sel:WORD_1 src1_sel:DWORD
	s_movk_i32 s4, 0x7f
	v_cmp_lt_i16_e32 vcc, s4, v6
	s_mov_b64 s[4:5], 0
                                        ; implicit-def: $sgpr10
	s_and_saveexec_b64 s[6:7], vcc
	s_xor_b64 s[6:7], exec, s[6:7]
	s_cbranch_execnz .LBB19_2997
; %bb.949:
	s_or_saveexec_b64 s[6:7], s[6:7]
	v_mov_b32_e32 v10, s10
	s_xor_b64 exec, exec, s[6:7]
	s_cbranch_execnz .LBB19_3000
.LBB19_950:
	s_or_b64 exec, exec, s[6:7]
	s_and_saveexec_b64 s[6:7], s[4:5]
	s_cbranch_execz .LBB19_952
.LBB19_951:
	v_bfe_u32 v6, v3, 16, 3
	v_ffbh_u32_e32 v12, v6
	v_min_u32_e32 v12, 32, v12
	v_lshrrev_b32_e32 v10, 19, v3
	v_subrev_u32_e32 v13, 28, v12
	v_and_b32_e32 v10, 15, v10
	v_lshlrev_b32_sdwa v13, v13, v3 dst_sel:DWORD dst_unused:UNUSED_PAD src0_sel:DWORD src1_sel:WORD_1
	v_bfe_u32 v11, v3, 19, 4
	v_sub_u32_e32 v12, 29, v12
	v_and_b32_e32 v13, 7, v13
	v_cmp_eq_u16_e32 vcc, 0, v10
	v_cndmask_b32_e32 v6, v6, v13, vcc
	v_cndmask_b32_e32 v10, v11, v12, vcc
	v_lshlrev_b32_e32 v11, 8, v3
	v_mov_b32_e32 v12, 0x3b800000
	v_lshlrev_b32_e32 v6, 20, v6
	v_and_b32_e32 v11, 0x80000000, v11
	v_lshl_add_u32 v10, v10, 23, v12
	v_or3_b32 v10, v11, v10, v6
.LBB19_952:
	s_or_b64 exec, exec, s[6:7]
	s_nop 0
	v_mfma_f32_16x16x4f32 a[0:3], v2, v10, a[0:3]
	s_movk_i32 s4, 0x7f
	v_cmp_gt_i16_sdwa s[6:7], v7, s4 src0_sel:BYTE_3 src1_sel:DWORD
	s_mov_b64 s[4:5], 0
                                        ; implicit-def: $sgpr10
	s_and_saveexec_b64 s[8:9], s[6:7]
	s_xor_b64 s[6:7], exec, s[8:9]
	s_cbranch_execnz .LBB19_3001
; %bb.953:
	s_or_saveexec_b64 s[6:7], s[6:7]
	v_mov_b32_e32 v2, s10
	s_xor_b64 exec, exec, s[6:7]
	s_cbranch_execnz .LBB19_3004
.LBB19_954:
	s_or_b64 exec, exec, s[6:7]
	s_and_saveexec_b64 s[6:7], s[4:5]
	s_cbranch_execz .LBB19_956
.LBB19_955:
	v_bfe_u32 v2, v7, 24, 3
	v_ffbh_u32_e32 v12, v2
	v_min_u32_e32 v12, 32, v12
	v_lshrrev_b32_e32 v10, 27, v7
	v_subrev_u32_e32 v13, 28, v12
	v_and_b32_e32 v6, 0x80000000, v7
	v_and_b32_e32 v10, 15, v10
	v_bfe_u32 v11, v7, 27, 4
	v_lshlrev_b32_sdwa v7, v13, v7 dst_sel:DWORD dst_unused:UNUSED_PAD src0_sel:DWORD src1_sel:BYTE_3
	v_sub_u32_e32 v12, 29, v12
	v_and_b32_e32 v7, 7, v7
	v_cmp_eq_u16_e32 vcc, 0, v10
	v_cndmask_b32_e32 v2, v2, v7, vcc
	v_cndmask_b32_e32 v7, v11, v12, vcc
	v_mov_b32_e32 v10, 0x3b800000
	v_lshlrev_b32_e32 v2, 20, v2
	v_lshl_add_u32 v7, v7, 23, v10
	v_or3_b32 v2, v6, v7, v2
.LBB19_956:
	s_or_b64 exec, exec, s[6:7]
	s_movk_i32 s4, 0x7f
	v_cmp_gt_i16_sdwa s[6:7], v3, s4 src0_sel:BYTE_3 src1_sel:DWORD
	s_mov_b64 s[4:5], 0
                                        ; implicit-def: $sgpr10
	s_and_saveexec_b64 s[8:9], s[6:7]
	s_xor_b64 s[6:7], exec, s[8:9]
	s_cbranch_execnz .LBB19_3005
; %bb.957:
	s_or_saveexec_b64 s[6:7], s[6:7]
	v_mov_b32_e32 v6, s10
	s_xor_b64 exec, exec, s[6:7]
	s_cbranch_execnz .LBB19_3008
.LBB19_958:
	s_or_b64 exec, exec, s[6:7]
	s_and_saveexec_b64 s[6:7], s[4:5]
	s_cbranch_execz .LBB19_960
.LBB19_959:
	v_bfe_u32 v6, v3, 24, 3
	v_ffbh_u32_e32 v12, v6
	v_min_u32_e32 v12, 32, v12
	v_lshrrev_b32_e32 v10, 27, v3
	v_subrev_u32_e32 v13, 28, v12
	v_and_b32_e32 v7, 0x80000000, v3
	v_and_b32_e32 v10, 15, v10
	v_bfe_u32 v11, v3, 27, 4
	v_lshlrev_b32_sdwa v3, v13, v3 dst_sel:DWORD dst_unused:UNUSED_PAD src0_sel:DWORD src1_sel:BYTE_3
	v_sub_u32_e32 v12, 29, v12
	v_and_b32_e32 v3, 7, v3
	v_cmp_eq_u16_e32 vcc, 0, v10
	v_cndmask_b32_e32 v3, v6, v3, vcc
	v_cndmask_b32_e32 v6, v11, v12, vcc
	v_mov_b32_e32 v10, 0x3b800000
	v_lshlrev_b32_e32 v3, 20, v3
	v_lshl_add_u32 v6, v6, 23, v10
	v_or3_b32 v6, v7, v6, v3
.LBB19_960:
	s_or_b64 exec, exec, s[6:7]
	s_nop 0
	v_mfma_f32_16x16x4f32 a[0:3], v2, v6, a[0:3]
	s_movk_i32 s4, 0x7f
	v_cmp_gt_i16_sdwa s[6:7], v8, s4 src0_sel:BYTE_0 src1_sel:DWORD
	s_mov_b64 s[4:5], 0
                                        ; implicit-def: $sgpr10
	s_and_saveexec_b64 s[8:9], s[6:7]
	s_xor_b64 s[6:7], exec, s[8:9]
	s_cbranch_execnz .LBB19_3009
; %bb.961:
	s_or_saveexec_b64 s[6:7], s[6:7]
	v_mov_b32_e32 v2, s10
	s_xor_b64 exec, exec, s[6:7]
	s_cbranch_execnz .LBB19_3012
.LBB19_962:
	s_or_b64 exec, exec, s[6:7]
	s_and_saveexec_b64 s[6:7], s[4:5]
	s_cbranch_execz .LBB19_964
.LBB19_963:
	v_and_b32_e32 v2, 7, v8
	v_ffbh_u32_e32 v6, v2
	v_min_u32_e32 v6, 32, v6
	v_lshrrev_b16_e32 v3, 3, v8
	v_subrev_u32_e32 v7, 28, v6
	v_and_b32_e32 v3, 15, v3
	v_lshlrev_b32_e32 v7, v7, v8
	v_sub_u32_e32 v6, 29, v6
	v_and_b32_e32 v7, 7, v7
	v_cmp_eq_u16_e32 vcc, 0, v3
	v_cndmask_b32_e32 v2, v2, v7, vcc
	v_cndmask_b32_e32 v3, v3, v6, vcc
	v_lshlrev_b32_e32 v6, 24, v8
	v_mov_b32_e32 v7, 0x3b800000
	v_lshlrev_b32_e32 v2, 20, v2
	v_and_b32_e32 v6, 0x80000000, v6
	v_lshl_add_u32 v3, v3, 23, v7
	v_or3_b32 v2, v6, v3, v2
.LBB19_964:
	s_or_b64 exec, exec, s[6:7]
	s_movk_i32 s4, 0x7f
	v_cmp_gt_i16_sdwa s[6:7], v4, s4 src0_sel:BYTE_0 src1_sel:DWORD
	s_mov_b64 s[4:5], 0
                                        ; implicit-def: $sgpr10
	s_and_saveexec_b64 s[8:9], s[6:7]
	s_xor_b64 s[6:7], exec, s[8:9]
	s_cbranch_execnz .LBB19_3013
; %bb.965:
	s_or_saveexec_b64 s[6:7], s[6:7]
	v_mov_b32_e32 v3, s10
	s_xor_b64 exec, exec, s[6:7]
	s_cbranch_execnz .LBB19_3016
.LBB19_966:
	s_or_b64 exec, exec, s[6:7]
	s_and_saveexec_b64 s[6:7], s[4:5]
	s_cbranch_execz .LBB19_968
.LBB19_967:
	v_and_b32_e32 v3, 7, v4
	v_ffbh_u32_e32 v7, v3
	v_min_u32_e32 v7, 32, v7
	v_lshrrev_b16_e32 v6, 3, v4
	v_subrev_u32_e32 v10, 28, v7
	v_and_b32_e32 v6, 15, v6
	v_lshlrev_b32_e32 v10, v10, v4
	v_sub_u32_e32 v7, 29, v7
	v_and_b32_e32 v10, 7, v10
	v_cmp_eq_u16_e32 vcc, 0, v6
	v_cndmask_b32_e32 v3, v3, v10, vcc
	v_cndmask_b32_e32 v6, v6, v7, vcc
	v_lshlrev_b32_e32 v7, 24, v4
	v_mov_b32_e32 v10, 0x3b800000
	v_lshlrev_b32_e32 v3, 20, v3
	v_and_b32_e32 v7, 0x80000000, v7
	v_lshl_add_u32 v6, v6, 23, v10
	v_or3_b32 v3, v7, v6, v3
.LBB19_968:
	s_or_b64 exec, exec, s[6:7]
	s_nop 0
	v_mfma_f32_16x16x4f32 a[0:3], v2, v3, a[0:3]
	v_lshrrev_b32_e32 v3, 8, v8
	s_movk_i32 s4, 0x7f
	v_cmp_gt_i16_sdwa s[6:7], v3, s4 src0_sel:BYTE_0 src1_sel:DWORD
	s_mov_b64 s[4:5], 0
                                        ; implicit-def: $sgpr10
	s_and_saveexec_b64 s[8:9], s[6:7]
	s_xor_b64 s[6:7], exec, s[8:9]
	s_cbranch_execnz .LBB19_3017
; %bb.969:
	s_or_saveexec_b64 s[6:7], s[6:7]
	v_mov_b32_e32 v2, s10
	s_xor_b64 exec, exec, s[6:7]
	s_cbranch_execnz .LBB19_3020
.LBB19_970:
	s_or_b64 exec, exec, s[6:7]
	s_and_saveexec_b64 s[6:7], s[4:5]
	s_cbranch_execz .LBB19_972
.LBB19_971:
	v_bfe_u32 v2, v8, 8, 3
	v_ffbh_u32_e32 v7, v2
	v_min_u32_e32 v7, 32, v7
	v_lshrrev_b16_e32 v6, 3, v3
	v_subrev_u32_e32 v10, 28, v7
	v_and_b32_e32 v6, 15, v6
	v_lshlrev_b32_e32 v3, v10, v3
	v_sub_u32_e32 v7, 29, v7
	v_and_b32_e32 v3, 7, v3
	v_cmp_eq_u16_e32 vcc, 0, v6
	v_cndmask_b32_e32 v2, v2, v3, vcc
	v_cndmask_b32_e32 v3, v6, v7, vcc
	v_lshlrev_b32_e32 v6, 16, v8
	v_mov_b32_e32 v7, 0x3b800000
	v_lshlrev_b32_e32 v2, 20, v2
	v_and_b32_e32 v6, 0x80000000, v6
	v_lshl_add_u32 v3, v3, 23, v7
	v_or3_b32 v2, v6, v3, v2
.LBB19_972:
	s_or_b64 exec, exec, s[6:7]
	v_lshrrev_b32_e32 v3, 8, v4
	s_movk_i32 s4, 0x7f
	v_cmp_gt_i16_sdwa s[6:7], v3, s4 src0_sel:BYTE_0 src1_sel:DWORD
	s_mov_b64 s[4:5], 0
                                        ; implicit-def: $sgpr10
	s_and_saveexec_b64 s[8:9], s[6:7]
	s_xor_b64 s[6:7], exec, s[8:9]
	s_cbranch_execnz .LBB19_3021
; %bb.973:
	s_or_saveexec_b64 s[6:7], s[6:7]
	v_mov_b32_e32 v6, s10
	s_xor_b64 exec, exec, s[6:7]
	s_cbranch_execnz .LBB19_3024
.LBB19_974:
	s_or_b64 exec, exec, s[6:7]
	s_and_saveexec_b64 s[6:7], s[4:5]
	s_cbranch_execz .LBB19_976
.LBB19_975:
	v_bfe_u32 v6, v4, 8, 3
	v_ffbh_u32_e32 v10, v6
	v_min_u32_e32 v10, 32, v10
	v_lshrrev_b16_e32 v7, 3, v3
	v_subrev_u32_e32 v11, 28, v10
	v_and_b32_e32 v7, 15, v7
	v_lshlrev_b32_e32 v3, v11, v3
	v_sub_u32_e32 v10, 29, v10
	v_and_b32_e32 v3, 7, v3
	v_cmp_eq_u16_e32 vcc, 0, v7
	v_cndmask_b32_e32 v3, v6, v3, vcc
	v_cndmask_b32_e32 v6, v7, v10, vcc
	v_lshlrev_b32_e32 v7, 16, v4
	v_mov_b32_e32 v10, 0x3b800000
	v_lshlrev_b32_e32 v3, 20, v3
	v_and_b32_e32 v7, 0x80000000, v7
	v_lshl_add_u32 v6, v6, 23, v10
	v_or3_b32 v6, v7, v6, v3
.LBB19_976:
	s_or_b64 exec, exec, s[6:7]
	s_nop 0
	v_mfma_f32_16x16x4f32 a[0:3], v2, v6, a[0:3]
	s_movk_i32 s4, 0xff
	v_and_b32_sdwa v3, v8, s4 dst_sel:DWORD dst_unused:UNUSED_PAD src0_sel:WORD_1 src1_sel:DWORD
	s_movk_i32 s4, 0x7f
	v_cmp_lt_i16_e32 vcc, s4, v3
	s_mov_b64 s[4:5], 0
                                        ; implicit-def: $sgpr10
	s_and_saveexec_b64 s[6:7], vcc
	s_xor_b64 s[6:7], exec, s[6:7]
	s_cbranch_execnz .LBB19_3025
; %bb.977:
	s_or_saveexec_b64 s[6:7], s[6:7]
	v_mov_b32_e32 v2, s10
	s_xor_b64 exec, exec, s[6:7]
	s_cbranch_execnz .LBB19_3028
.LBB19_978:
	s_or_b64 exec, exec, s[6:7]
	s_and_saveexec_b64 s[6:7], s[4:5]
	s_cbranch_execz .LBB19_980
.LBB19_979:
	v_bfe_u32 v2, v8, 16, 3
	v_ffbh_u32_e32 v7, v2
	v_min_u32_e32 v7, 32, v7
	v_lshrrev_b32_e32 v3, 19, v8
	v_subrev_u32_e32 v10, 28, v7
	v_and_b32_e32 v3, 15, v3
	v_lshlrev_b32_sdwa v10, v10, v8 dst_sel:DWORD dst_unused:UNUSED_PAD src0_sel:DWORD src1_sel:WORD_1
	v_bfe_u32 v6, v8, 19, 4
	v_sub_u32_e32 v7, 29, v7
	v_and_b32_e32 v10, 7, v10
	v_cmp_eq_u16_e32 vcc, 0, v3
	v_cndmask_b32_e32 v2, v2, v10, vcc
	v_cndmask_b32_e32 v3, v6, v7, vcc
	v_lshlrev_b32_e32 v6, 8, v8
	v_mov_b32_e32 v7, 0x3b800000
	v_lshlrev_b32_e32 v2, 20, v2
	v_and_b32_e32 v6, 0x80000000, v6
	v_lshl_add_u32 v3, v3, 23, v7
	v_or3_b32 v2, v6, v3, v2
.LBB19_980:
	s_or_b64 exec, exec, s[6:7]
	s_movk_i32 s4, 0xff
	v_and_b32_sdwa v3, v4, s4 dst_sel:DWORD dst_unused:UNUSED_PAD src0_sel:WORD_1 src1_sel:DWORD
	s_movk_i32 s4, 0x7f
	v_cmp_lt_i16_e32 vcc, s4, v3
	s_mov_b64 s[4:5], 0
                                        ; implicit-def: $sgpr10
	s_and_saveexec_b64 s[6:7], vcc
	s_xor_b64 s[6:7], exec, s[6:7]
	s_cbranch_execnz .LBB19_3029
; %bb.981:
	s_or_saveexec_b64 s[6:7], s[6:7]
	v_mov_b32_e32 v6, s10
	s_xor_b64 exec, exec, s[6:7]
	s_cbranch_execnz .LBB19_3032
.LBB19_982:
	s_or_b64 exec, exec, s[6:7]
	s_and_saveexec_b64 s[6:7], s[4:5]
	s_cbranch_execz .LBB19_984
.LBB19_983:
	v_bfe_u32 v3, v4, 16, 3
	v_ffbh_u32_e32 v10, v3
	v_min_u32_e32 v10, 32, v10
	v_lshrrev_b32_e32 v6, 19, v4
	v_subrev_u32_e32 v11, 28, v10
	v_and_b32_e32 v6, 15, v6
	v_lshlrev_b32_sdwa v11, v11, v4 dst_sel:DWORD dst_unused:UNUSED_PAD src0_sel:DWORD src1_sel:WORD_1
	v_bfe_u32 v7, v4, 19, 4
	v_sub_u32_e32 v10, 29, v10
	v_and_b32_e32 v11, 7, v11
	v_cmp_eq_u16_e32 vcc, 0, v6
	v_cndmask_b32_e32 v3, v3, v11, vcc
	v_cndmask_b32_e32 v6, v7, v10, vcc
	v_lshlrev_b32_e32 v7, 8, v4
	v_mov_b32_e32 v10, 0x3b800000
	v_lshlrev_b32_e32 v3, 20, v3
	v_and_b32_e32 v7, 0x80000000, v7
	v_lshl_add_u32 v6, v6, 23, v10
	v_or3_b32 v6, v7, v6, v3
.LBB19_984:
	s_or_b64 exec, exec, s[6:7]
	s_nop 0
	v_mfma_f32_16x16x4f32 a[0:3], v2, v6, a[0:3]
	s_movk_i32 s4, 0x7f
	v_cmp_gt_i16_sdwa s[6:7], v8, s4 src0_sel:BYTE_3 src1_sel:DWORD
	s_mov_b64 s[4:5], 0
                                        ; implicit-def: $sgpr10
	s_and_saveexec_b64 s[8:9], s[6:7]
	s_xor_b64 s[6:7], exec, s[8:9]
	s_cbranch_execnz .LBB19_3033
; %bb.985:
	s_or_saveexec_b64 s[6:7], s[6:7]
	v_mov_b32_e32 v2, s10
	s_xor_b64 exec, exec, s[6:7]
	s_cbranch_execnz .LBB19_3036
.LBB19_986:
	s_or_b64 exec, exec, s[6:7]
	s_and_saveexec_b64 s[6:7], s[4:5]
	s_cbranch_execz .LBB19_988
.LBB19_987:
	v_bfe_u32 v2, v8, 24, 3
	v_ffbh_u32_e32 v10, v2
	v_min_u32_e32 v10, 32, v10
	v_lshrrev_b32_e32 v6, 27, v8
	v_subrev_u32_e32 v11, 28, v10
	v_and_b32_e32 v3, 0x80000000, v8
	v_and_b32_e32 v6, 15, v6
	v_bfe_u32 v7, v8, 27, 4
	v_lshlrev_b32_sdwa v8, v11, v8 dst_sel:DWORD dst_unused:UNUSED_PAD src0_sel:DWORD src1_sel:BYTE_3
	v_sub_u32_e32 v10, 29, v10
	v_and_b32_e32 v8, 7, v8
	v_cmp_eq_u16_e32 vcc, 0, v6
	v_cndmask_b32_e32 v2, v2, v8, vcc
	v_cndmask_b32_e32 v6, v7, v10, vcc
	v_mov_b32_e32 v7, 0x3b800000
	v_lshlrev_b32_e32 v2, 20, v2
	v_lshl_add_u32 v6, v6, 23, v7
	v_or3_b32 v2, v3, v6, v2
.LBB19_988:
	s_or_b64 exec, exec, s[6:7]
	s_movk_i32 s4, 0x7f
	v_cmp_gt_i16_sdwa s[6:7], v4, s4 src0_sel:BYTE_3 src1_sel:DWORD
	s_mov_b64 s[4:5], 0
                                        ; implicit-def: $sgpr10
	s_and_saveexec_b64 s[8:9], s[6:7]
	s_xor_b64 s[6:7], exec, s[8:9]
	s_cbranch_execnz .LBB19_3037
; %bb.989:
	s_or_saveexec_b64 s[6:7], s[6:7]
	v_mov_b32_e32 v3, s10
	s_xor_b64 exec, exec, s[6:7]
	s_cbranch_execnz .LBB19_3040
.LBB19_990:
	s_or_b64 exec, exec, s[6:7]
	s_and_saveexec_b64 s[6:7], s[4:5]
	s_cbranch_execz .LBB19_992
.LBB19_991:
	v_bfe_u32 v3, v4, 24, 3
	v_ffbh_u32_e32 v10, v3
	v_min_u32_e32 v10, 32, v10
	v_lshrrev_b32_e32 v7, 27, v4
	v_subrev_u32_e32 v11, 28, v10
	v_and_b32_e32 v6, 0x80000000, v4
	v_and_b32_e32 v7, 15, v7
	v_bfe_u32 v8, v4, 27, 4
	v_lshlrev_b32_sdwa v4, v11, v4 dst_sel:DWORD dst_unused:UNUSED_PAD src0_sel:DWORD src1_sel:BYTE_3
	v_sub_u32_e32 v10, 29, v10
	v_and_b32_e32 v4, 7, v4
	v_cmp_eq_u16_e32 vcc, 0, v7
	v_cndmask_b32_e32 v3, v3, v4, vcc
	v_cndmask_b32_e32 v4, v8, v10, vcc
	v_mov_b32_e32 v7, 0x3b800000
	v_lshlrev_b32_e32 v3, 20, v3
	v_lshl_add_u32 v4, v4, 23, v7
	v_or3_b32 v3, v6, v4, v3
.LBB19_992:
	s_or_b64 exec, exec, s[6:7]
	s_nop 0
	v_mfma_f32_16x16x4f32 a[0:3], v2, v3, a[0:3]
	s_movk_i32 s4, 0x7f
	v_cmp_gt_i16_sdwa s[6:7], v9, s4 src0_sel:BYTE_0 src1_sel:DWORD
	s_mov_b64 s[4:5], 0
                                        ; implicit-def: $sgpr10
	s_and_saveexec_b64 s[8:9], s[6:7]
	s_xor_b64 s[6:7], exec, s[8:9]
	s_cbranch_execnz .LBB19_3041
; %bb.993:
	s_or_saveexec_b64 s[6:7], s[6:7]
	v_mov_b32_e32 v2, s10
	s_xor_b64 exec, exec, s[6:7]
	s_cbranch_execnz .LBB19_3044
.LBB19_994:
	s_or_b64 exec, exec, s[6:7]
	s_and_saveexec_b64 s[6:7], s[4:5]
	s_cbranch_execz .LBB19_996
.LBB19_995:
	v_mov_b32_e32 v2, 8
	v_and_b32_e32 v3, 7, v9
	v_lshrrev_b32_sdwa v2, v2, v9 dst_sel:BYTE_1 dst_unused:UNUSED_PAD src0_sel:DWORD src1_sel:DWORD
	v_ffbh_u32_e32 v4, v3
	v_or_b32_sdwa v2, v9, v2 dst_sel:DWORD dst_unused:UNUSED_PAD src0_sel:BYTE_0 src1_sel:DWORD
	v_min_u32_e32 v4, 32, v4
	v_lshrrev_b16_e32 v2, 3, v2
	v_subrev_u32_e32 v6, 28, v4
	v_and_b32_e32 v2, 15, v2
	v_lshlrev_b32_e32 v6, v6, v9
	v_sub_u32_e32 v4, 29, v4
	v_and_b32_e32 v6, 7, v6
	v_cmp_eq_u16_e32 vcc, 0, v2
	v_cndmask_b32_e32 v3, v3, v6, vcc
	v_cndmask_b32_e32 v2, v2, v4, vcc
	v_lshlrev_b32_e32 v4, 24, v9
	v_mov_b32_e32 v6, 0x3b800000
	v_lshlrev_b32_e32 v3, 20, v3
	v_and_b32_e32 v4, 0x80000000, v4
	v_lshl_add_u32 v2, v2, 23, v6
	v_or3_b32 v2, v4, v2, v3
.LBB19_996:
	s_or_b64 exec, exec, s[6:7]
	s_movk_i32 s4, 0x7f
	v_cmp_gt_i16_sdwa s[6:7], v5, s4 src0_sel:BYTE_0 src1_sel:DWORD
	s_mov_b64 s[4:5], 0
                                        ; implicit-def: $sgpr10
	s_and_saveexec_b64 s[8:9], s[6:7]
	s_xor_b64 s[6:7], exec, s[8:9]
	s_cbranch_execnz .LBB19_3045
; %bb.997:
	s_or_saveexec_b64 s[6:7], s[6:7]
	v_mov_b32_e32 v3, s10
	s_xor_b64 exec, exec, s[6:7]
	s_cbranch_execnz .LBB19_3048
.LBB19_998:
	s_or_b64 exec, exec, s[6:7]
	s_and_saveexec_b64 s[6:7], s[4:5]
	s_cbranch_execz .LBB19_1000
.LBB19_999:
	v_mov_b32_e32 v3, 8
	v_and_b32_e32 v4, 7, v5
	v_lshrrev_b32_sdwa v3, v3, v5 dst_sel:BYTE_1 dst_unused:UNUSED_PAD src0_sel:DWORD src1_sel:DWORD
	v_ffbh_u32_e32 v6, v4
	v_or_b32_sdwa v3, v5, v3 dst_sel:DWORD dst_unused:UNUSED_PAD src0_sel:BYTE_0 src1_sel:DWORD
	v_min_u32_e32 v6, 32, v6
	v_lshrrev_b16_e32 v3, 3, v3
	v_subrev_u32_e32 v7, 28, v6
	v_and_b32_e32 v3, 15, v3
	v_lshlrev_b32_e32 v7, v7, v5
	v_sub_u32_e32 v6, 29, v6
	v_and_b32_e32 v7, 7, v7
	v_cmp_eq_u16_e32 vcc, 0, v3
	v_cndmask_b32_e32 v4, v4, v7, vcc
	v_cndmask_b32_e32 v3, v3, v6, vcc
	v_lshlrev_b32_e32 v6, 24, v5
	v_mov_b32_e32 v7, 0x3b800000
	v_lshlrev_b32_e32 v4, 20, v4
	v_and_b32_e32 v6, 0x80000000, v6
	v_lshl_add_u32 v3, v3, 23, v7
	v_or3_b32 v3, v6, v3, v4
.LBB19_1000:
	s_or_b64 exec, exec, s[6:7]
	s_nop 0
	v_mfma_f32_16x16x4f32 a[0:3], v2, v3, a[0:3]
	v_lshrrev_b32_e32 v3, 8, v9
	s_movk_i32 s4, 0x7f
	v_cmp_gt_i16_sdwa s[6:7], v3, s4 src0_sel:BYTE_0 src1_sel:DWORD
	s_mov_b64 s[4:5], 0
                                        ; implicit-def: $sgpr10
	s_and_saveexec_b64 s[8:9], s[6:7]
	s_xor_b64 s[6:7], exec, s[8:9]
	s_cbranch_execnz .LBB19_3049
; %bb.1001:
	s_or_saveexec_b64 s[6:7], s[6:7]
	v_mov_b32_e32 v2, s10
	s_xor_b64 exec, exec, s[6:7]
	s_cbranch_execnz .LBB19_3052
.LBB19_1002:
	s_or_b64 exec, exec, s[6:7]
	s_and_saveexec_b64 s[6:7], s[4:5]
	s_cbranch_execz .LBB19_1004
.LBB19_1003:
	v_bfe_u32 v2, v9, 8, 3
	v_ffbh_u32_e32 v6, v2
	v_min_u32_e32 v6, 32, v6
	v_lshrrev_b16_e32 v4, 3, v3
	v_subrev_u32_e32 v7, 28, v6
	v_and_b32_e32 v4, 15, v4
	v_lshlrev_b32_e32 v3, v7, v3
	v_sub_u32_e32 v6, 29, v6
	v_and_b32_e32 v3, 7, v3
	v_cmp_eq_u16_e32 vcc, 0, v4
	v_cndmask_b32_e32 v2, v2, v3, vcc
	v_cndmask_b32_e32 v3, v4, v6, vcc
	v_lshlrev_b32_e32 v4, 16, v9
	v_mov_b32_e32 v6, 0x3b800000
	v_lshlrev_b32_e32 v2, 20, v2
	v_and_b32_e32 v4, 0x80000000, v4
	v_lshl_add_u32 v3, v3, 23, v6
	v_or3_b32 v2, v4, v3, v2
.LBB19_1004:
	s_or_b64 exec, exec, s[6:7]
	v_lshrrev_b32_e32 v3, 8, v5
	s_movk_i32 s4, 0x7f
	v_cmp_gt_i16_sdwa s[6:7], v3, s4 src0_sel:BYTE_0 src1_sel:DWORD
	s_mov_b64 s[4:5], 0
                                        ; implicit-def: $sgpr10
	s_and_saveexec_b64 s[8:9], s[6:7]
	s_xor_b64 s[6:7], exec, s[8:9]
	s_cbranch_execnz .LBB19_3053
; %bb.1005:
	s_or_saveexec_b64 s[6:7], s[6:7]
	v_mov_b32_e32 v4, s10
	s_xor_b64 exec, exec, s[6:7]
	s_cbranch_execnz .LBB19_3056
.LBB19_1006:
	s_or_b64 exec, exec, s[6:7]
	s_and_saveexec_b64 s[6:7], s[4:5]
	s_cbranch_execz .LBB19_1008
.LBB19_1007:
	v_bfe_u32 v4, v5, 8, 3
	v_ffbh_u32_e32 v7, v4
	v_min_u32_e32 v7, 32, v7
	v_lshrrev_b16_e32 v6, 3, v3
	v_subrev_u32_e32 v8, 28, v7
	v_and_b32_e32 v6, 15, v6
	v_lshlrev_b32_e32 v3, v8, v3
	v_sub_u32_e32 v7, 29, v7
	v_and_b32_e32 v3, 7, v3
	v_cmp_eq_u16_e32 vcc, 0, v6
	v_cndmask_b32_e32 v3, v4, v3, vcc
	v_cndmask_b32_e32 v4, v6, v7, vcc
	v_lshlrev_b32_e32 v6, 16, v5
	v_mov_b32_e32 v7, 0x3b800000
	v_lshlrev_b32_e32 v3, 20, v3
	v_and_b32_e32 v6, 0x80000000, v6
	v_lshl_add_u32 v4, v4, 23, v7
	v_or3_b32 v4, v6, v4, v3
.LBB19_1008:
	s_or_b64 exec, exec, s[6:7]
	s_nop 0
	v_mfma_f32_16x16x4f32 a[0:3], v2, v4, a[0:3]
	s_movk_i32 s4, 0xff
	v_and_b32_sdwa v3, v9, s4 dst_sel:DWORD dst_unused:UNUSED_PAD src0_sel:WORD_1 src1_sel:DWORD
	s_movk_i32 s4, 0x7f
	v_cmp_lt_i16_e32 vcc, s4, v3
	s_mov_b64 s[4:5], 0
                                        ; implicit-def: $sgpr10
	s_and_saveexec_b64 s[6:7], vcc
	s_xor_b64 s[6:7], exec, s[6:7]
	s_cbranch_execnz .LBB19_3057
; %bb.1009:
	s_or_saveexec_b64 s[6:7], s[6:7]
	v_mov_b32_e32 v2, s10
	s_xor_b64 exec, exec, s[6:7]
	s_cbranch_execnz .LBB19_3060
.LBB19_1010:
	s_or_b64 exec, exec, s[6:7]
	s_and_saveexec_b64 s[6:7], s[4:5]
	s_cbranch_execz .LBB19_1012
.LBB19_1011:
	v_bfe_u32 v2, v9, 16, 3
	v_ffbh_u32_e32 v6, v2
	v_min_u32_e32 v6, 32, v6
	v_lshrrev_b32_e32 v3, 19, v9
	v_subrev_u32_e32 v7, 28, v6
	v_and_b32_e32 v3, 15, v3
	v_lshlrev_b32_sdwa v7, v7, v9 dst_sel:DWORD dst_unused:UNUSED_PAD src0_sel:DWORD src1_sel:WORD_1
	v_bfe_u32 v4, v9, 19, 4
	v_sub_u32_e32 v6, 29, v6
	v_and_b32_e32 v7, 7, v7
	v_cmp_eq_u16_e32 vcc, 0, v3
	v_cndmask_b32_e32 v2, v2, v7, vcc
	v_cndmask_b32_e32 v3, v4, v6, vcc
	v_lshlrev_b32_e32 v4, 8, v9
	v_mov_b32_e32 v6, 0x3b800000
	v_lshlrev_b32_e32 v2, 20, v2
	v_and_b32_e32 v4, 0x80000000, v4
	v_lshl_add_u32 v3, v3, 23, v6
	v_or3_b32 v2, v4, v3, v2
.LBB19_1012:
	s_or_b64 exec, exec, s[6:7]
	s_movk_i32 s4, 0xff
	v_and_b32_sdwa v3, v5, s4 dst_sel:DWORD dst_unused:UNUSED_PAD src0_sel:WORD_1 src1_sel:DWORD
	s_movk_i32 s4, 0x7f
	v_cmp_lt_i16_e32 vcc, s4, v3
	s_mov_b64 s[4:5], 0
                                        ; implicit-def: $sgpr10
	s_and_saveexec_b64 s[6:7], vcc
	s_xor_b64 s[6:7], exec, s[6:7]
	s_cbranch_execnz .LBB19_3061
; %bb.1013:
	s_or_saveexec_b64 s[6:7], s[6:7]
	v_mov_b32_e32 v4, s10
	s_xor_b64 exec, exec, s[6:7]
	s_cbranch_execnz .LBB19_3064
.LBB19_1014:
	s_or_b64 exec, exec, s[6:7]
	s_and_saveexec_b64 s[6:7], s[4:5]
	s_cbranch_execz .LBB19_1016
.LBB19_1015:
	v_bfe_u32 v3, v5, 16, 3
	v_ffbh_u32_e32 v7, v3
	v_min_u32_e32 v7, 32, v7
	v_lshrrev_b32_e32 v4, 19, v5
	v_subrev_u32_e32 v8, 28, v7
	v_and_b32_e32 v4, 15, v4
	v_lshlrev_b32_sdwa v8, v8, v5 dst_sel:DWORD dst_unused:UNUSED_PAD src0_sel:DWORD src1_sel:WORD_1
	v_bfe_u32 v6, v5, 19, 4
	v_sub_u32_e32 v7, 29, v7
	v_and_b32_e32 v8, 7, v8
	v_cmp_eq_u16_e32 vcc, 0, v4
	v_cndmask_b32_e32 v3, v3, v8, vcc
	v_cndmask_b32_e32 v4, v6, v7, vcc
	v_lshlrev_b32_e32 v6, 8, v5
	v_mov_b32_e32 v7, 0x3b800000
	v_lshlrev_b32_e32 v3, 20, v3
	v_and_b32_e32 v6, 0x80000000, v6
	v_lshl_add_u32 v4, v4, 23, v7
	v_or3_b32 v4, v6, v4, v3
.LBB19_1016:
	s_or_b64 exec, exec, s[6:7]
	s_nop 0
	v_mfma_f32_16x16x4f32 a[0:3], v2, v4, a[0:3]
	s_movk_i32 s4, 0x7f
	v_cmp_gt_i16_sdwa s[6:7], v9, s4 src0_sel:BYTE_3 src1_sel:DWORD
	s_mov_b64 s[4:5], 0
                                        ; implicit-def: $sgpr10
	s_and_saveexec_b64 s[8:9], s[6:7]
	s_xor_b64 s[6:7], exec, s[8:9]
	s_cbranch_execnz .LBB19_3065
; %bb.1017:
	s_or_saveexec_b64 s[6:7], s[6:7]
	v_mov_b32_e32 v2, s10
	s_xor_b64 exec, exec, s[6:7]
	s_cbranch_execnz .LBB19_3068
.LBB19_1018:
	s_or_b64 exec, exec, s[6:7]
	s_and_saveexec_b64 s[6:7], s[4:5]
	s_cbranch_execz .LBB19_1020
.LBB19_1019:
	v_bfe_u32 v2, v9, 24, 3
	v_ffbh_u32_e32 v7, v2
	v_min_u32_e32 v7, 32, v7
	v_lshrrev_b32_e32 v4, 27, v9
	v_subrev_u32_e32 v8, 28, v7
	v_and_b32_e32 v4, 15, v4
	v_lshlrev_b32_sdwa v8, v8, v9 dst_sel:DWORD dst_unused:UNUSED_PAD src0_sel:DWORD src1_sel:BYTE_3
	v_bfe_u32 v6, v9, 27, 4
	v_sub_u32_e32 v7, 29, v7
	v_and_b32_e32 v8, 7, v8
	v_cmp_eq_u16_e32 vcc, 0, v4
	v_cndmask_b32_e32 v2, v2, v8, vcc
	v_cndmask_b32_e32 v4, v6, v7, vcc
	v_mov_b32_e32 v6, 0x3b800000
	v_and_b32_e32 v3, 0x80000000, v9
	v_lshlrev_b32_e32 v2, 20, v2
	v_lshl_add_u32 v4, v4, 23, v6
	v_or3_b32 v2, v3, v4, v2
.LBB19_1020:
	s_or_b64 exec, exec, s[6:7]
	s_movk_i32 s4, 0x7f
	v_cmp_gt_i16_sdwa s[6:7], v5, s4 src0_sel:BYTE_3 src1_sel:DWORD
	s_mov_b64 s[4:5], 0
                                        ; implicit-def: $sgpr10
	s_and_saveexec_b64 s[8:9], s[6:7]
	s_xor_b64 s[6:7], exec, s[8:9]
	s_cbranch_execnz .LBB19_3069
; %bb.1021:
	s_or_saveexec_b64 s[6:7], s[6:7]
	v_mov_b32_e32 v3, s10
	s_xor_b64 exec, exec, s[6:7]
	s_cbranch_execnz .LBB19_3072
.LBB19_1022:
	s_or_b64 exec, exec, s[6:7]
	s_and_saveexec_b64 s[6:7], s[4:5]
	s_cbranch_execz .LBB19_1024
.LBB19_1023:
	v_bfe_u32 v3, v5, 24, 3
	v_ffbh_u32_e32 v8, v3
	v_min_u32_e32 v8, 32, v8
	v_lshrrev_b32_e32 v6, 27, v5
	v_subrev_u32_e32 v9, 28, v8
	v_and_b32_e32 v4, 0x80000000, v5
	v_and_b32_e32 v6, 15, v6
	v_bfe_u32 v7, v5, 27, 4
	v_lshlrev_b32_sdwa v5, v9, v5 dst_sel:DWORD dst_unused:UNUSED_PAD src0_sel:DWORD src1_sel:BYTE_3
	v_sub_u32_e32 v8, 29, v8
	v_and_b32_e32 v5, 7, v5
	v_cmp_eq_u16_e32 vcc, 0, v6
	v_cndmask_b32_e32 v3, v3, v5, vcc
	v_cndmask_b32_e32 v5, v7, v8, vcc
	v_mov_b32_e32 v6, 0x3b800000
	v_lshlrev_b32_e32 v3, 20, v3
	v_lshl_add_u32 v5, v5, 23, v6
	v_or3_b32 v3, v4, v5, v3
.LBB19_1024:
	s_or_b64 exec, exec, s[6:7]
	s_nop 0
	v_mfma_f32_16x16x4f32 a[0:3], v2, v3, a[0:3]
	s_movk_i32 s4, 0x7f
                                        ; implicit-def: $sgpr10
	s_nop 7
	s_nop 1
	flat_store_dwordx4 v[18:19], a[0:3] offset:176
	flat_load_dwordx4 v[20:23], v[0:1] offset:8
	s_nop 0
	flat_load_dwordx2 v[18:19], v[0:1] offset:24
	s_waitcnt vmcnt(0) lgkmcnt(0)
	flat_load_dwordx4 v[14:17], v[20:21] offset:32
	flat_load_dwordx4 v[6:9], v[20:21] offset:48
	;; [unrolled: 1-line block ×4, first 2 shown]
	s_waitcnt vmcnt(0) lgkmcnt(0)
	v_cmp_gt_i16_sdwa s[6:7], v14, s4 src0_sel:BYTE_0 src1_sel:DWORD
	s_mov_b64 s[4:5], 0
	s_and_saveexec_b64 s[8:9], s[6:7]
	s_xor_b64 s[6:7], exec, s[8:9]
	s_cbranch_execnz .LBB19_3073
; %bb.1025:
	s_or_saveexec_b64 s[6:7], s[6:7]
	v_mov_b32_e32 v20, s10
	s_xor_b64 exec, exec, s[6:7]
	s_cbranch_execnz .LBB19_3076
.LBB19_1026:
	s_or_b64 exec, exec, s[6:7]
	s_and_saveexec_b64 s[6:7], s[4:5]
	s_cbranch_execz .LBB19_1028
.LBB19_1027:
	v_and_b32_e32 v20, 7, v14
	v_ffbh_u32_e32 v22, v20
	v_min_u32_e32 v22, 32, v22
	v_lshrrev_b16_e32 v21, 3, v14
	v_subrev_u32_e32 v23, 28, v22
	v_and_b32_e32 v21, 15, v21
	v_lshlrev_b32_e32 v23, v23, v14
	v_sub_u32_e32 v22, 29, v22
	v_and_b32_e32 v23, 7, v23
	v_cmp_eq_u16_e32 vcc, 0, v21
	v_cndmask_b32_e32 v20, v20, v23, vcc
	v_cndmask_b32_e32 v21, v21, v22, vcc
	v_lshlrev_b32_e32 v22, 24, v14
	v_mov_b32_e32 v23, 0x3b800000
	v_lshlrev_b32_e32 v20, 20, v20
	v_and_b32_e32 v22, 0x80000000, v22
	v_lshl_add_u32 v21, v21, 23, v23
	v_or3_b32 v20, v22, v21, v20
.LBB19_1028:
	s_or_b64 exec, exec, s[6:7]
	s_movk_i32 s4, 0x7f
	v_cmp_gt_i16_sdwa s[6:7], v10, s4 src0_sel:BYTE_0 src1_sel:DWORD
	s_mov_b64 s[4:5], 0
                                        ; implicit-def: $sgpr10
	s_and_saveexec_b64 s[8:9], s[6:7]
	s_xor_b64 s[6:7], exec, s[8:9]
	s_cbranch_execnz .LBB19_3077
; %bb.1029:
	s_or_saveexec_b64 s[6:7], s[6:7]
	v_mov_b32_e32 v21, s10
	s_xor_b64 exec, exec, s[6:7]
	s_cbranch_execnz .LBB19_3080
.LBB19_1030:
	s_or_b64 exec, exec, s[6:7]
	s_and_saveexec_b64 s[6:7], s[4:5]
	s_cbranch_execz .LBB19_1032
.LBB19_1031:
	v_and_b32_e32 v21, 7, v10
	v_ffbh_u32_e32 v23, v21
	v_min_u32_e32 v23, 32, v23
	v_lshrrev_b16_e32 v22, 3, v10
	v_subrev_u32_e32 v24, 28, v23
	v_and_b32_e32 v22, 15, v22
	v_lshlrev_b32_e32 v24, v24, v10
	v_sub_u32_e32 v23, 29, v23
	v_and_b32_e32 v24, 7, v24
	v_cmp_eq_u16_e32 vcc, 0, v22
	v_cndmask_b32_e32 v21, v21, v24, vcc
	v_cndmask_b32_e32 v22, v22, v23, vcc
	v_lshlrev_b32_e32 v23, 24, v10
	v_mov_b32_e32 v24, 0x3b800000
	v_lshlrev_b32_e32 v21, 20, v21
	v_and_b32_e32 v23, 0x80000000, v23
	v_lshl_add_u32 v22, v22, 23, v24
	v_or3_b32 v21, v23, v22, v21
.LBB19_1032:
	s_or_b64 exec, exec, s[6:7]
	flat_load_dwordx4 a[0:3], v[18:19] offset:192
	s_movk_i32 s4, 0x7f
                                        ; implicit-def: $sgpr10
	s_waitcnt vmcnt(0) lgkmcnt(0)
	v_mfma_f32_16x16x4f32 a[0:3], v20, v21, a[0:3]
	v_lshrrev_b32_e32 v21, 8, v14
	v_cmp_gt_i16_sdwa s[6:7], v21, s4 src0_sel:BYTE_0 src1_sel:DWORD
	s_mov_b64 s[4:5], 0
	s_and_saveexec_b64 s[8:9], s[6:7]
	s_xor_b64 s[6:7], exec, s[8:9]
	s_cbranch_execnz .LBB19_3081
; %bb.1033:
	s_or_saveexec_b64 s[6:7], s[6:7]
	v_mov_b32_e32 v20, s10
	s_xor_b64 exec, exec, s[6:7]
	s_cbranch_execnz .LBB19_3084
.LBB19_1034:
	s_or_b64 exec, exec, s[6:7]
	s_and_saveexec_b64 s[6:7], s[4:5]
	s_cbranch_execz .LBB19_1036
.LBB19_1035:
	v_bfe_u32 v20, v14, 8, 3
	v_ffbh_u32_e32 v23, v20
	v_min_u32_e32 v23, 32, v23
	v_lshrrev_b16_e32 v22, 3, v21
	v_subrev_u32_e32 v24, 28, v23
	v_and_b32_e32 v22, 15, v22
	v_lshlrev_b32_e32 v21, v24, v21
	v_sub_u32_e32 v23, 29, v23
	v_and_b32_e32 v21, 7, v21
	v_cmp_eq_u16_e32 vcc, 0, v22
	v_cndmask_b32_e32 v20, v20, v21, vcc
	v_cndmask_b32_e32 v21, v22, v23, vcc
	v_lshlrev_b32_e32 v22, 16, v14
	v_mov_b32_e32 v23, 0x3b800000
	v_lshlrev_b32_e32 v20, 20, v20
	v_and_b32_e32 v22, 0x80000000, v22
	v_lshl_add_u32 v21, v21, 23, v23
	v_or3_b32 v20, v22, v21, v20
.LBB19_1036:
	s_or_b64 exec, exec, s[6:7]
	v_lshrrev_b32_e32 v21, 8, v10
	s_movk_i32 s4, 0x7f
	v_cmp_gt_i16_sdwa s[6:7], v21, s4 src0_sel:BYTE_0 src1_sel:DWORD
	s_mov_b64 s[4:5], 0
                                        ; implicit-def: $sgpr10
	s_and_saveexec_b64 s[8:9], s[6:7]
	s_xor_b64 s[6:7], exec, s[8:9]
	s_cbranch_execnz .LBB19_3085
; %bb.1037:
	s_or_saveexec_b64 s[6:7], s[6:7]
	v_mov_b32_e32 v22, s10
	s_xor_b64 exec, exec, s[6:7]
	s_cbranch_execnz .LBB19_3088
.LBB19_1038:
	s_or_b64 exec, exec, s[6:7]
	s_and_saveexec_b64 s[6:7], s[4:5]
	s_cbranch_execz .LBB19_1040
.LBB19_1039:
	v_bfe_u32 v22, v10, 8, 3
	v_ffbh_u32_e32 v24, v22
	v_min_u32_e32 v24, 32, v24
	v_lshrrev_b16_e32 v23, 3, v21
	v_subrev_u32_e32 v25, 28, v24
	v_and_b32_e32 v23, 15, v23
	v_lshlrev_b32_e32 v21, v25, v21
	v_sub_u32_e32 v24, 29, v24
	v_and_b32_e32 v21, 7, v21
	v_cmp_eq_u16_e32 vcc, 0, v23
	v_cndmask_b32_e32 v21, v22, v21, vcc
	v_cndmask_b32_e32 v22, v23, v24, vcc
	v_lshlrev_b32_e32 v23, 16, v10
	v_mov_b32_e32 v24, 0x3b800000
	v_lshlrev_b32_e32 v21, 20, v21
	v_and_b32_e32 v23, 0x80000000, v23
	v_lshl_add_u32 v22, v22, 23, v24
	v_or3_b32 v22, v23, v22, v21
.LBB19_1040:
	s_or_b64 exec, exec, s[6:7]
	s_nop 0
	v_mfma_f32_16x16x4f32 a[0:3], v20, v22, a[0:3]
	s_movk_i32 s4, 0xff
	v_and_b32_sdwa v21, v14, s4 dst_sel:DWORD dst_unused:UNUSED_PAD src0_sel:WORD_1 src1_sel:DWORD
	s_movk_i32 s4, 0x7f
	v_cmp_lt_i16_e32 vcc, s4, v21
	s_mov_b64 s[4:5], 0
                                        ; implicit-def: $sgpr10
	s_and_saveexec_b64 s[6:7], vcc
	s_xor_b64 s[6:7], exec, s[6:7]
	s_cbranch_execnz .LBB19_3089
; %bb.1041:
	s_or_saveexec_b64 s[6:7], s[6:7]
	v_mov_b32_e32 v20, s10
	s_xor_b64 exec, exec, s[6:7]
	s_cbranch_execnz .LBB19_3092
.LBB19_1042:
	s_or_b64 exec, exec, s[6:7]
	s_and_saveexec_b64 s[6:7], s[4:5]
	s_cbranch_execz .LBB19_1044
.LBB19_1043:
	v_bfe_u32 v20, v14, 16, 3
	v_ffbh_u32_e32 v23, v20
	v_min_u32_e32 v23, 32, v23
	v_lshrrev_b32_e32 v21, 19, v14
	v_subrev_u32_e32 v24, 28, v23
	v_and_b32_e32 v21, 15, v21
	v_lshlrev_b32_sdwa v24, v24, v14 dst_sel:DWORD dst_unused:UNUSED_PAD src0_sel:DWORD src1_sel:WORD_1
	v_bfe_u32 v22, v14, 19, 4
	v_sub_u32_e32 v23, 29, v23
	v_and_b32_e32 v24, 7, v24
	v_cmp_eq_u16_e32 vcc, 0, v21
	v_cndmask_b32_e32 v20, v20, v24, vcc
	v_cndmask_b32_e32 v21, v22, v23, vcc
	v_lshlrev_b32_e32 v22, 8, v14
	v_mov_b32_e32 v23, 0x3b800000
	v_lshlrev_b32_e32 v20, 20, v20
	v_and_b32_e32 v22, 0x80000000, v22
	v_lshl_add_u32 v21, v21, 23, v23
	v_or3_b32 v20, v22, v21, v20
.LBB19_1044:
	s_or_b64 exec, exec, s[6:7]
	s_movk_i32 s4, 0xff
	v_and_b32_sdwa v21, v10, s4 dst_sel:DWORD dst_unused:UNUSED_PAD src0_sel:WORD_1 src1_sel:DWORD
	s_movk_i32 s4, 0x7f
	v_cmp_lt_i16_e32 vcc, s4, v21
	s_mov_b64 s[4:5], 0
                                        ; implicit-def: $sgpr10
	s_and_saveexec_b64 s[6:7], vcc
	s_xor_b64 s[6:7], exec, s[6:7]
	s_cbranch_execnz .LBB19_3093
; %bb.1045:
	s_or_saveexec_b64 s[6:7], s[6:7]
	v_mov_b32_e32 v22, s10
	s_xor_b64 exec, exec, s[6:7]
	s_cbranch_execnz .LBB19_3096
.LBB19_1046:
	s_or_b64 exec, exec, s[6:7]
	s_and_saveexec_b64 s[6:7], s[4:5]
	s_cbranch_execz .LBB19_1048
.LBB19_1047:
	v_bfe_u32 v21, v10, 16, 3
	v_ffbh_u32_e32 v24, v21
	v_min_u32_e32 v24, 32, v24
	v_lshrrev_b32_e32 v22, 19, v10
	v_subrev_u32_e32 v25, 28, v24
	v_and_b32_e32 v22, 15, v22
	v_lshlrev_b32_sdwa v25, v25, v10 dst_sel:DWORD dst_unused:UNUSED_PAD src0_sel:DWORD src1_sel:WORD_1
	v_bfe_u32 v23, v10, 19, 4
	v_sub_u32_e32 v24, 29, v24
	v_and_b32_e32 v25, 7, v25
	v_cmp_eq_u16_e32 vcc, 0, v22
	v_cndmask_b32_e32 v21, v21, v25, vcc
	v_cndmask_b32_e32 v22, v23, v24, vcc
	v_lshlrev_b32_e32 v23, 8, v10
	v_mov_b32_e32 v24, 0x3b800000
	v_lshlrev_b32_e32 v21, 20, v21
	v_and_b32_e32 v23, 0x80000000, v23
	v_lshl_add_u32 v22, v22, 23, v24
	v_or3_b32 v22, v23, v22, v21
.LBB19_1048:
	s_or_b64 exec, exec, s[6:7]
	s_nop 0
	v_mfma_f32_16x16x4f32 a[0:3], v20, v22, a[0:3]
	s_movk_i32 s4, 0x7f
	v_cmp_gt_i16_sdwa s[6:7], v14, s4 src0_sel:BYTE_3 src1_sel:DWORD
	s_mov_b64 s[4:5], 0
                                        ; implicit-def: $sgpr10
	s_and_saveexec_b64 s[8:9], s[6:7]
	s_xor_b64 s[6:7], exec, s[8:9]
	s_cbranch_execnz .LBB19_3097
; %bb.1049:
	s_or_saveexec_b64 s[6:7], s[6:7]
	v_mov_b32_e32 v20, s10
	s_xor_b64 exec, exec, s[6:7]
	s_cbranch_execnz .LBB19_3100
.LBB19_1050:
	s_or_b64 exec, exec, s[6:7]
	s_and_saveexec_b64 s[6:7], s[4:5]
	s_cbranch_execz .LBB19_1052
.LBB19_1051:
	v_bfe_u32 v20, v14, 24, 3
	v_ffbh_u32_e32 v24, v20
	v_min_u32_e32 v24, 32, v24
	v_lshrrev_b32_e32 v22, 27, v14
	v_subrev_u32_e32 v25, 28, v24
	v_and_b32_e32 v21, 0x80000000, v14
	v_and_b32_e32 v22, 15, v22
	v_bfe_u32 v23, v14, 27, 4
	v_lshlrev_b32_sdwa v14, v25, v14 dst_sel:DWORD dst_unused:UNUSED_PAD src0_sel:DWORD src1_sel:BYTE_3
	v_sub_u32_e32 v24, 29, v24
	v_and_b32_e32 v14, 7, v14
	v_cmp_eq_u16_e32 vcc, 0, v22
	v_cndmask_b32_e32 v14, v20, v14, vcc
	v_cndmask_b32_e32 v20, v23, v24, vcc
	v_mov_b32_e32 v22, 0x3b800000
	v_lshlrev_b32_e32 v14, 20, v14
	v_lshl_add_u32 v20, v20, 23, v22
	v_or3_b32 v20, v21, v20, v14
.LBB19_1052:
	s_or_b64 exec, exec, s[6:7]
	s_movk_i32 s4, 0x7f
	v_cmp_gt_i16_sdwa s[6:7], v10, s4 src0_sel:BYTE_3 src1_sel:DWORD
	s_mov_b64 s[4:5], 0
                                        ; implicit-def: $sgpr10
	s_and_saveexec_b64 s[8:9], s[6:7]
	s_xor_b64 s[6:7], exec, s[8:9]
	s_cbranch_execnz .LBB19_3101
; %bb.1053:
	s_or_saveexec_b64 s[6:7], s[6:7]
	v_mov_b32_e32 v14, s10
	s_xor_b64 exec, exec, s[6:7]
	s_cbranch_execnz .LBB19_3104
.LBB19_1054:
	s_or_b64 exec, exec, s[6:7]
	s_and_saveexec_b64 s[6:7], s[4:5]
	s_cbranch_execz .LBB19_1056
.LBB19_1055:
	v_bfe_u32 v14, v10, 24, 3
	v_ffbh_u32_e32 v24, v14
	v_min_u32_e32 v24, 32, v24
	v_lshrrev_b32_e32 v22, 27, v10
	v_subrev_u32_e32 v25, 28, v24
	v_and_b32_e32 v21, 0x80000000, v10
	v_and_b32_e32 v22, 15, v22
	v_bfe_u32 v23, v10, 27, 4
	v_lshlrev_b32_sdwa v10, v25, v10 dst_sel:DWORD dst_unused:UNUSED_PAD src0_sel:DWORD src1_sel:BYTE_3
	v_sub_u32_e32 v24, 29, v24
	v_and_b32_e32 v10, 7, v10
	v_cmp_eq_u16_e32 vcc, 0, v22
	v_cndmask_b32_e32 v10, v14, v10, vcc
	v_cndmask_b32_e32 v14, v23, v24, vcc
	v_mov_b32_e32 v22, 0x3b800000
	v_lshlrev_b32_e32 v10, 20, v10
	v_lshl_add_u32 v14, v14, 23, v22
	v_or3_b32 v14, v21, v14, v10
.LBB19_1056:
	s_or_b64 exec, exec, s[6:7]
	s_nop 0
	v_mfma_f32_16x16x4f32 a[0:3], v20, v14, a[0:3]
	s_movk_i32 s4, 0x7f
	v_cmp_gt_i16_sdwa s[6:7], v15, s4 src0_sel:BYTE_0 src1_sel:DWORD
	s_mov_b64 s[4:5], 0
                                        ; implicit-def: $sgpr10
	s_and_saveexec_b64 s[8:9], s[6:7]
	s_xor_b64 s[6:7], exec, s[8:9]
	s_cbranch_execnz .LBB19_3105
; %bb.1057:
	s_or_saveexec_b64 s[6:7], s[6:7]
	v_mov_b32_e32 v10, s10
	s_xor_b64 exec, exec, s[6:7]
	s_cbranch_execnz .LBB19_3108
.LBB19_1058:
	s_or_b64 exec, exec, s[6:7]
	s_and_saveexec_b64 s[6:7], s[4:5]
	s_cbranch_execz .LBB19_1060
.LBB19_1059:
	v_and_b32_e32 v10, 7, v15
	v_ffbh_u32_e32 v20, v10
	v_min_u32_e32 v20, 32, v20
	v_lshrrev_b16_e32 v14, 3, v15
	v_subrev_u32_e32 v21, 28, v20
	v_and_b32_e32 v14, 15, v14
	v_lshlrev_b32_e32 v21, v21, v15
	v_sub_u32_e32 v20, 29, v20
	v_and_b32_e32 v21, 7, v21
	v_cmp_eq_u16_e32 vcc, 0, v14
	v_cndmask_b32_e32 v10, v10, v21, vcc
	v_cndmask_b32_e32 v14, v14, v20, vcc
	v_lshlrev_b32_e32 v20, 24, v15
	v_mov_b32_e32 v21, 0x3b800000
	v_lshlrev_b32_e32 v10, 20, v10
	v_and_b32_e32 v20, 0x80000000, v20
	v_lshl_add_u32 v14, v14, 23, v21
	v_or3_b32 v10, v20, v14, v10
.LBB19_1060:
	s_or_b64 exec, exec, s[6:7]
	s_movk_i32 s4, 0x7f
	v_cmp_gt_i16_sdwa s[6:7], v11, s4 src0_sel:BYTE_0 src1_sel:DWORD
	s_mov_b64 s[4:5], 0
                                        ; implicit-def: $sgpr10
	s_and_saveexec_b64 s[8:9], s[6:7]
	s_xor_b64 s[6:7], exec, s[8:9]
	s_cbranch_execnz .LBB19_3109
; %bb.1061:
	s_or_saveexec_b64 s[6:7], s[6:7]
	v_mov_b32_e32 v14, s10
	s_xor_b64 exec, exec, s[6:7]
	s_cbranch_execnz .LBB19_3112
.LBB19_1062:
	s_or_b64 exec, exec, s[6:7]
	s_and_saveexec_b64 s[6:7], s[4:5]
	s_cbranch_execz .LBB19_1064
.LBB19_1063:
	v_and_b32_e32 v14, 7, v11
	v_ffbh_u32_e32 v21, v14
	v_min_u32_e32 v21, 32, v21
	v_lshrrev_b16_e32 v20, 3, v11
	v_subrev_u32_e32 v22, 28, v21
	v_and_b32_e32 v20, 15, v20
	v_lshlrev_b32_e32 v22, v22, v11
	v_sub_u32_e32 v21, 29, v21
	v_and_b32_e32 v22, 7, v22
	v_cmp_eq_u16_e32 vcc, 0, v20
	v_cndmask_b32_e32 v14, v14, v22, vcc
	v_cndmask_b32_e32 v20, v20, v21, vcc
	v_lshlrev_b32_e32 v21, 24, v11
	v_mov_b32_e32 v22, 0x3b800000
	v_lshlrev_b32_e32 v14, 20, v14
	v_and_b32_e32 v21, 0x80000000, v21
	v_lshl_add_u32 v20, v20, 23, v22
	v_or3_b32 v14, v21, v20, v14
.LBB19_1064:
	s_or_b64 exec, exec, s[6:7]
	s_nop 0
	v_mfma_f32_16x16x4f32 a[0:3], v10, v14, a[0:3]
	v_lshrrev_b32_e32 v14, 8, v15
	s_movk_i32 s4, 0x7f
	v_cmp_gt_i16_sdwa s[6:7], v14, s4 src0_sel:BYTE_0 src1_sel:DWORD
	s_mov_b64 s[4:5], 0
                                        ; implicit-def: $sgpr10
	s_and_saveexec_b64 s[8:9], s[6:7]
	s_xor_b64 s[6:7], exec, s[8:9]
	s_cbranch_execnz .LBB19_3113
; %bb.1065:
	s_or_saveexec_b64 s[6:7], s[6:7]
	v_mov_b32_e32 v10, s10
	s_xor_b64 exec, exec, s[6:7]
	s_cbranch_execnz .LBB19_3116
.LBB19_1066:
	s_or_b64 exec, exec, s[6:7]
	s_and_saveexec_b64 s[6:7], s[4:5]
	s_cbranch_execz .LBB19_1068
.LBB19_1067:
	v_bfe_u32 v10, v15, 8, 3
	v_ffbh_u32_e32 v21, v10
	v_min_u32_e32 v21, 32, v21
	v_lshrrev_b16_e32 v20, 3, v14
	v_subrev_u32_e32 v22, 28, v21
	v_and_b32_e32 v20, 15, v20
	v_lshlrev_b32_e32 v14, v22, v14
	v_sub_u32_e32 v21, 29, v21
	v_and_b32_e32 v14, 7, v14
	v_cmp_eq_u16_e32 vcc, 0, v20
	v_cndmask_b32_e32 v10, v10, v14, vcc
	v_cndmask_b32_e32 v14, v20, v21, vcc
	v_lshlrev_b32_e32 v20, 16, v15
	v_mov_b32_e32 v21, 0x3b800000
	v_lshlrev_b32_e32 v10, 20, v10
	v_and_b32_e32 v20, 0x80000000, v20
	v_lshl_add_u32 v14, v14, 23, v21
	v_or3_b32 v10, v20, v14, v10
.LBB19_1068:
	s_or_b64 exec, exec, s[6:7]
	v_lshrrev_b32_e32 v14, 8, v11
	s_movk_i32 s4, 0x7f
	v_cmp_gt_i16_sdwa s[6:7], v14, s4 src0_sel:BYTE_0 src1_sel:DWORD
	s_mov_b64 s[4:5], 0
                                        ; implicit-def: $sgpr10
	s_and_saveexec_b64 s[8:9], s[6:7]
	s_xor_b64 s[6:7], exec, s[8:9]
	s_cbranch_execnz .LBB19_3117
; %bb.1069:
	s_or_saveexec_b64 s[6:7], s[6:7]
	v_mov_b32_e32 v20, s10
	s_xor_b64 exec, exec, s[6:7]
	s_cbranch_execnz .LBB19_3120
.LBB19_1070:
	s_or_b64 exec, exec, s[6:7]
	s_and_saveexec_b64 s[6:7], s[4:5]
	s_cbranch_execz .LBB19_1072
.LBB19_1071:
	v_bfe_u32 v20, v11, 8, 3
	v_ffbh_u32_e32 v22, v20
	v_min_u32_e32 v22, 32, v22
	v_lshrrev_b16_e32 v21, 3, v14
	v_subrev_u32_e32 v23, 28, v22
	v_and_b32_e32 v21, 15, v21
	v_lshlrev_b32_e32 v14, v23, v14
	v_sub_u32_e32 v22, 29, v22
	v_and_b32_e32 v14, 7, v14
	v_cmp_eq_u16_e32 vcc, 0, v21
	v_cndmask_b32_e32 v14, v20, v14, vcc
	v_cndmask_b32_e32 v20, v21, v22, vcc
	v_lshlrev_b32_e32 v21, 16, v11
	v_mov_b32_e32 v22, 0x3b800000
	v_lshlrev_b32_e32 v14, 20, v14
	v_and_b32_e32 v21, 0x80000000, v21
	v_lshl_add_u32 v20, v20, 23, v22
	v_or3_b32 v20, v21, v20, v14
.LBB19_1072:
	s_or_b64 exec, exec, s[6:7]
	s_nop 0
	v_mfma_f32_16x16x4f32 a[0:3], v10, v20, a[0:3]
	s_movk_i32 s4, 0xff
	v_and_b32_sdwa v14, v15, s4 dst_sel:DWORD dst_unused:UNUSED_PAD src0_sel:WORD_1 src1_sel:DWORD
	s_movk_i32 s4, 0x7f
	v_cmp_lt_i16_e32 vcc, s4, v14
	s_mov_b64 s[4:5], 0
                                        ; implicit-def: $sgpr10
	s_and_saveexec_b64 s[6:7], vcc
	s_xor_b64 s[6:7], exec, s[6:7]
	s_cbranch_execnz .LBB19_3121
; %bb.1073:
	s_or_saveexec_b64 s[6:7], s[6:7]
	v_mov_b32_e32 v10, s10
	s_xor_b64 exec, exec, s[6:7]
	s_cbranch_execnz .LBB19_3124
.LBB19_1074:
	s_or_b64 exec, exec, s[6:7]
	s_and_saveexec_b64 s[6:7], s[4:5]
	s_cbranch_execz .LBB19_1076
.LBB19_1075:
	v_bfe_u32 v10, v15, 16, 3
	v_ffbh_u32_e32 v21, v10
	v_min_u32_e32 v21, 32, v21
	v_lshrrev_b32_e32 v14, 19, v15
	v_subrev_u32_e32 v22, 28, v21
	v_and_b32_e32 v14, 15, v14
	v_lshlrev_b32_sdwa v22, v22, v15 dst_sel:DWORD dst_unused:UNUSED_PAD src0_sel:DWORD src1_sel:WORD_1
	v_bfe_u32 v20, v15, 19, 4
	v_sub_u32_e32 v21, 29, v21
	v_and_b32_e32 v22, 7, v22
	v_cmp_eq_u16_e32 vcc, 0, v14
	v_cndmask_b32_e32 v10, v10, v22, vcc
	v_cndmask_b32_e32 v14, v20, v21, vcc
	v_lshlrev_b32_e32 v20, 8, v15
	v_mov_b32_e32 v21, 0x3b800000
	v_lshlrev_b32_e32 v10, 20, v10
	v_and_b32_e32 v20, 0x80000000, v20
	v_lshl_add_u32 v14, v14, 23, v21
	v_or3_b32 v10, v20, v14, v10
.LBB19_1076:
	s_or_b64 exec, exec, s[6:7]
	s_movk_i32 s4, 0xff
	v_and_b32_sdwa v14, v11, s4 dst_sel:DWORD dst_unused:UNUSED_PAD src0_sel:WORD_1 src1_sel:DWORD
	s_movk_i32 s4, 0x7f
	v_cmp_lt_i16_e32 vcc, s4, v14
	s_mov_b64 s[4:5], 0
                                        ; implicit-def: $sgpr10
	s_and_saveexec_b64 s[6:7], vcc
	s_xor_b64 s[6:7], exec, s[6:7]
	s_cbranch_execnz .LBB19_3125
; %bb.1077:
	s_or_saveexec_b64 s[6:7], s[6:7]
	v_mov_b32_e32 v20, s10
	s_xor_b64 exec, exec, s[6:7]
	s_cbranch_execnz .LBB19_3128
.LBB19_1078:
	s_or_b64 exec, exec, s[6:7]
	s_and_saveexec_b64 s[6:7], s[4:5]
	s_cbranch_execz .LBB19_1080
.LBB19_1079:
	v_bfe_u32 v14, v11, 16, 3
	v_ffbh_u32_e32 v22, v14
	v_min_u32_e32 v22, 32, v22
	v_lshrrev_b32_e32 v20, 19, v11
	v_subrev_u32_e32 v23, 28, v22
	v_and_b32_e32 v20, 15, v20
	v_lshlrev_b32_sdwa v23, v23, v11 dst_sel:DWORD dst_unused:UNUSED_PAD src0_sel:DWORD src1_sel:WORD_1
	v_bfe_u32 v21, v11, 19, 4
	v_sub_u32_e32 v22, 29, v22
	v_and_b32_e32 v23, 7, v23
	v_cmp_eq_u16_e32 vcc, 0, v20
	v_cndmask_b32_e32 v14, v14, v23, vcc
	v_cndmask_b32_e32 v20, v21, v22, vcc
	v_lshlrev_b32_e32 v21, 8, v11
	v_mov_b32_e32 v22, 0x3b800000
	v_lshlrev_b32_e32 v14, 20, v14
	v_and_b32_e32 v21, 0x80000000, v21
	v_lshl_add_u32 v20, v20, 23, v22
	v_or3_b32 v20, v21, v20, v14
.LBB19_1080:
	s_or_b64 exec, exec, s[6:7]
	s_nop 0
	v_mfma_f32_16x16x4f32 a[0:3], v10, v20, a[0:3]
	s_movk_i32 s4, 0x7f
	v_cmp_gt_i16_sdwa s[6:7], v15, s4 src0_sel:BYTE_3 src1_sel:DWORD
	s_mov_b64 s[4:5], 0
                                        ; implicit-def: $sgpr10
	s_and_saveexec_b64 s[8:9], s[6:7]
	s_xor_b64 s[6:7], exec, s[8:9]
	s_cbranch_execnz .LBB19_3129
; %bb.1081:
	s_or_saveexec_b64 s[6:7], s[6:7]
	v_mov_b32_e32 v10, s10
	s_xor_b64 exec, exec, s[6:7]
	s_cbranch_execnz .LBB19_3132
.LBB19_1082:
	s_or_b64 exec, exec, s[6:7]
	s_and_saveexec_b64 s[6:7], s[4:5]
	s_cbranch_execz .LBB19_1084
.LBB19_1083:
	v_bfe_u32 v10, v15, 24, 3
	v_ffbh_u32_e32 v22, v10
	v_min_u32_e32 v22, 32, v22
	v_lshrrev_b32_e32 v20, 27, v15
	v_subrev_u32_e32 v23, 28, v22
	v_and_b32_e32 v14, 0x80000000, v15
	v_and_b32_e32 v20, 15, v20
	v_bfe_u32 v21, v15, 27, 4
	v_lshlrev_b32_sdwa v15, v23, v15 dst_sel:DWORD dst_unused:UNUSED_PAD src0_sel:DWORD src1_sel:BYTE_3
	v_sub_u32_e32 v22, 29, v22
	v_and_b32_e32 v15, 7, v15
	v_cmp_eq_u16_e32 vcc, 0, v20
	v_cndmask_b32_e32 v10, v10, v15, vcc
	v_cndmask_b32_e32 v15, v21, v22, vcc
	v_mov_b32_e32 v20, 0x3b800000
	v_lshlrev_b32_e32 v10, 20, v10
	v_lshl_add_u32 v15, v15, 23, v20
	v_or3_b32 v10, v14, v15, v10
.LBB19_1084:
	s_or_b64 exec, exec, s[6:7]
	s_movk_i32 s4, 0x7f
	v_cmp_gt_i16_sdwa s[6:7], v11, s4 src0_sel:BYTE_3 src1_sel:DWORD
	s_mov_b64 s[4:5], 0
                                        ; implicit-def: $sgpr10
	s_and_saveexec_b64 s[8:9], s[6:7]
	s_xor_b64 s[6:7], exec, s[8:9]
	s_cbranch_execnz .LBB19_3133
; %bb.1085:
	s_or_saveexec_b64 s[6:7], s[6:7]
	v_mov_b32_e32 v14, s10
	s_xor_b64 exec, exec, s[6:7]
	s_cbranch_execnz .LBB19_3136
.LBB19_1086:
	s_or_b64 exec, exec, s[6:7]
	s_and_saveexec_b64 s[6:7], s[4:5]
	s_cbranch_execz .LBB19_1088
.LBB19_1087:
	v_bfe_u32 v14, v11, 24, 3
	v_ffbh_u32_e32 v22, v14
	v_min_u32_e32 v22, 32, v22
	v_lshrrev_b32_e32 v20, 27, v11
	v_subrev_u32_e32 v23, 28, v22
	v_and_b32_e32 v15, 0x80000000, v11
	v_and_b32_e32 v20, 15, v20
	v_bfe_u32 v21, v11, 27, 4
	v_lshlrev_b32_sdwa v11, v23, v11 dst_sel:DWORD dst_unused:UNUSED_PAD src0_sel:DWORD src1_sel:BYTE_3
	v_sub_u32_e32 v22, 29, v22
	v_and_b32_e32 v11, 7, v11
	v_cmp_eq_u16_e32 vcc, 0, v20
	v_cndmask_b32_e32 v11, v14, v11, vcc
	v_cndmask_b32_e32 v14, v21, v22, vcc
	v_mov_b32_e32 v20, 0x3b800000
	v_lshlrev_b32_e32 v11, 20, v11
	v_lshl_add_u32 v14, v14, 23, v20
	v_or3_b32 v14, v15, v14, v11
.LBB19_1088:
	s_or_b64 exec, exec, s[6:7]
	s_nop 0
	v_mfma_f32_16x16x4f32 a[0:3], v10, v14, a[0:3]
	s_movk_i32 s4, 0x7f
	v_cmp_gt_i16_sdwa s[6:7], v16, s4 src0_sel:BYTE_0 src1_sel:DWORD
	s_mov_b64 s[4:5], 0
                                        ; implicit-def: $sgpr10
	s_and_saveexec_b64 s[8:9], s[6:7]
	s_xor_b64 s[6:7], exec, s[8:9]
	s_cbranch_execnz .LBB19_3137
; %bb.1089:
	s_or_saveexec_b64 s[6:7], s[6:7]
	v_mov_b32_e32 v10, s10
	s_xor_b64 exec, exec, s[6:7]
	s_cbranch_execnz .LBB19_3140
.LBB19_1090:
	s_or_b64 exec, exec, s[6:7]
	s_and_saveexec_b64 s[6:7], s[4:5]
	s_cbranch_execz .LBB19_1092
.LBB19_1091:
	v_and_b32_e32 v10, 7, v16
	v_ffbh_u32_e32 v14, v10
	v_min_u32_e32 v14, 32, v14
	v_lshrrev_b16_e32 v11, 3, v16
	v_subrev_u32_e32 v15, 28, v14
	v_and_b32_e32 v11, 15, v11
	v_lshlrev_b32_e32 v15, v15, v16
	v_sub_u32_e32 v14, 29, v14
	v_and_b32_e32 v15, 7, v15
	v_cmp_eq_u16_e32 vcc, 0, v11
	v_cndmask_b32_e32 v10, v10, v15, vcc
	v_cndmask_b32_e32 v11, v11, v14, vcc
	v_lshlrev_b32_e32 v14, 24, v16
	v_mov_b32_e32 v15, 0x3b800000
	v_lshlrev_b32_e32 v10, 20, v10
	v_and_b32_e32 v14, 0x80000000, v14
	v_lshl_add_u32 v11, v11, 23, v15
	v_or3_b32 v10, v14, v11, v10
.LBB19_1092:
	s_or_b64 exec, exec, s[6:7]
	s_movk_i32 s4, 0x7f
	v_cmp_gt_i16_sdwa s[6:7], v12, s4 src0_sel:BYTE_0 src1_sel:DWORD
	s_mov_b64 s[4:5], 0
                                        ; implicit-def: $sgpr10
	s_and_saveexec_b64 s[8:9], s[6:7]
	s_xor_b64 s[6:7], exec, s[8:9]
	s_cbranch_execnz .LBB19_3141
; %bb.1093:
	s_or_saveexec_b64 s[6:7], s[6:7]
	v_mov_b32_e32 v11, s10
	s_xor_b64 exec, exec, s[6:7]
	s_cbranch_execnz .LBB19_3144
.LBB19_1094:
	s_or_b64 exec, exec, s[6:7]
	s_and_saveexec_b64 s[6:7], s[4:5]
	s_cbranch_execz .LBB19_1096
.LBB19_1095:
	v_and_b32_e32 v11, 7, v12
	v_ffbh_u32_e32 v15, v11
	v_min_u32_e32 v15, 32, v15
	v_lshrrev_b16_e32 v14, 3, v12
	v_subrev_u32_e32 v20, 28, v15
	v_and_b32_e32 v14, 15, v14
	v_lshlrev_b32_e32 v20, v20, v12
	v_sub_u32_e32 v15, 29, v15
	v_and_b32_e32 v20, 7, v20
	v_cmp_eq_u16_e32 vcc, 0, v14
	v_cndmask_b32_e32 v11, v11, v20, vcc
	v_cndmask_b32_e32 v14, v14, v15, vcc
	v_lshlrev_b32_e32 v15, 24, v12
	v_mov_b32_e32 v20, 0x3b800000
	v_lshlrev_b32_e32 v11, 20, v11
	v_and_b32_e32 v15, 0x80000000, v15
	v_lshl_add_u32 v14, v14, 23, v20
	v_or3_b32 v11, v15, v14, v11
.LBB19_1096:
	s_or_b64 exec, exec, s[6:7]
	s_nop 0
	v_mfma_f32_16x16x4f32 a[0:3], v10, v11, a[0:3]
	v_lshrrev_b32_e32 v11, 8, v16
	s_movk_i32 s4, 0x7f
	v_cmp_gt_i16_sdwa s[6:7], v11, s4 src0_sel:BYTE_0 src1_sel:DWORD
	s_mov_b64 s[4:5], 0
                                        ; implicit-def: $sgpr10
	s_and_saveexec_b64 s[8:9], s[6:7]
	s_xor_b64 s[6:7], exec, s[8:9]
	s_cbranch_execnz .LBB19_3145
; %bb.1097:
	s_or_saveexec_b64 s[6:7], s[6:7]
	v_mov_b32_e32 v10, s10
	s_xor_b64 exec, exec, s[6:7]
	s_cbranch_execnz .LBB19_3148
.LBB19_1098:
	s_or_b64 exec, exec, s[6:7]
	s_and_saveexec_b64 s[6:7], s[4:5]
	s_cbranch_execz .LBB19_1100
.LBB19_1099:
	v_bfe_u32 v10, v16, 8, 3
	v_ffbh_u32_e32 v15, v10
	v_min_u32_e32 v15, 32, v15
	v_lshrrev_b16_e32 v14, 3, v11
	v_subrev_u32_e32 v20, 28, v15
	v_and_b32_e32 v14, 15, v14
	v_lshlrev_b32_e32 v11, v20, v11
	v_sub_u32_e32 v15, 29, v15
	v_and_b32_e32 v11, 7, v11
	v_cmp_eq_u16_e32 vcc, 0, v14
	v_cndmask_b32_e32 v10, v10, v11, vcc
	v_cndmask_b32_e32 v11, v14, v15, vcc
	v_lshlrev_b32_e32 v14, 16, v16
	v_mov_b32_e32 v15, 0x3b800000
	v_lshlrev_b32_e32 v10, 20, v10
	v_and_b32_e32 v14, 0x80000000, v14
	v_lshl_add_u32 v11, v11, 23, v15
	v_or3_b32 v10, v14, v11, v10
.LBB19_1100:
	s_or_b64 exec, exec, s[6:7]
	v_lshrrev_b32_e32 v11, 8, v12
	s_movk_i32 s4, 0x7f
	v_cmp_gt_i16_sdwa s[6:7], v11, s4 src0_sel:BYTE_0 src1_sel:DWORD
	s_mov_b64 s[4:5], 0
                                        ; implicit-def: $sgpr10
	s_and_saveexec_b64 s[8:9], s[6:7]
	s_xor_b64 s[6:7], exec, s[8:9]
	s_cbranch_execnz .LBB19_3149
; %bb.1101:
	s_or_saveexec_b64 s[6:7], s[6:7]
	v_mov_b32_e32 v14, s10
	s_xor_b64 exec, exec, s[6:7]
	s_cbranch_execnz .LBB19_3152
.LBB19_1102:
	s_or_b64 exec, exec, s[6:7]
	s_and_saveexec_b64 s[6:7], s[4:5]
	s_cbranch_execz .LBB19_1104
.LBB19_1103:
	v_bfe_u32 v14, v12, 8, 3
	v_ffbh_u32_e32 v20, v14
	v_min_u32_e32 v20, 32, v20
	v_lshrrev_b16_e32 v15, 3, v11
	v_subrev_u32_e32 v21, 28, v20
	v_and_b32_e32 v15, 15, v15
	v_lshlrev_b32_e32 v11, v21, v11
	v_sub_u32_e32 v20, 29, v20
	v_and_b32_e32 v11, 7, v11
	v_cmp_eq_u16_e32 vcc, 0, v15
	v_cndmask_b32_e32 v11, v14, v11, vcc
	v_cndmask_b32_e32 v14, v15, v20, vcc
	v_lshlrev_b32_e32 v15, 16, v12
	v_mov_b32_e32 v20, 0x3b800000
	v_lshlrev_b32_e32 v11, 20, v11
	v_and_b32_e32 v15, 0x80000000, v15
	v_lshl_add_u32 v14, v14, 23, v20
	v_or3_b32 v14, v15, v14, v11
.LBB19_1104:
	s_or_b64 exec, exec, s[6:7]
	s_nop 0
	v_mfma_f32_16x16x4f32 a[0:3], v10, v14, a[0:3]
	s_movk_i32 s4, 0xff
	v_and_b32_sdwa v11, v16, s4 dst_sel:DWORD dst_unused:UNUSED_PAD src0_sel:WORD_1 src1_sel:DWORD
	s_movk_i32 s4, 0x7f
	v_cmp_lt_i16_e32 vcc, s4, v11
	s_mov_b64 s[4:5], 0
                                        ; implicit-def: $sgpr10
	s_and_saveexec_b64 s[6:7], vcc
	s_xor_b64 s[6:7], exec, s[6:7]
	s_cbranch_execnz .LBB19_3153
; %bb.1105:
	s_or_saveexec_b64 s[6:7], s[6:7]
	v_mov_b32_e32 v10, s10
	s_xor_b64 exec, exec, s[6:7]
	s_cbranch_execnz .LBB19_3156
.LBB19_1106:
	s_or_b64 exec, exec, s[6:7]
	s_and_saveexec_b64 s[6:7], s[4:5]
	s_cbranch_execz .LBB19_1108
.LBB19_1107:
	v_bfe_u32 v10, v16, 16, 3
	v_ffbh_u32_e32 v15, v10
	v_min_u32_e32 v15, 32, v15
	v_lshrrev_b32_e32 v11, 19, v16
	v_subrev_u32_e32 v20, 28, v15
	v_and_b32_e32 v11, 15, v11
	v_lshlrev_b32_sdwa v20, v20, v16 dst_sel:DWORD dst_unused:UNUSED_PAD src0_sel:DWORD src1_sel:WORD_1
	v_bfe_u32 v14, v16, 19, 4
	v_sub_u32_e32 v15, 29, v15
	v_and_b32_e32 v20, 7, v20
	v_cmp_eq_u16_e32 vcc, 0, v11
	v_cndmask_b32_e32 v10, v10, v20, vcc
	v_cndmask_b32_e32 v11, v14, v15, vcc
	v_lshlrev_b32_e32 v14, 8, v16
	v_mov_b32_e32 v15, 0x3b800000
	v_lshlrev_b32_e32 v10, 20, v10
	v_and_b32_e32 v14, 0x80000000, v14
	v_lshl_add_u32 v11, v11, 23, v15
	v_or3_b32 v10, v14, v11, v10
.LBB19_1108:
	s_or_b64 exec, exec, s[6:7]
	s_movk_i32 s4, 0xff
	v_and_b32_sdwa v11, v12, s4 dst_sel:DWORD dst_unused:UNUSED_PAD src0_sel:WORD_1 src1_sel:DWORD
	s_movk_i32 s4, 0x7f
	v_cmp_lt_i16_e32 vcc, s4, v11
	s_mov_b64 s[4:5], 0
                                        ; implicit-def: $sgpr10
	s_and_saveexec_b64 s[6:7], vcc
	s_xor_b64 s[6:7], exec, s[6:7]
	s_cbranch_execnz .LBB19_3157
; %bb.1109:
	s_or_saveexec_b64 s[6:7], s[6:7]
	v_mov_b32_e32 v14, s10
	s_xor_b64 exec, exec, s[6:7]
	s_cbranch_execnz .LBB19_3160
.LBB19_1110:
	s_or_b64 exec, exec, s[6:7]
	s_and_saveexec_b64 s[6:7], s[4:5]
	s_cbranch_execz .LBB19_1112
.LBB19_1111:
	v_bfe_u32 v11, v12, 16, 3
	v_ffbh_u32_e32 v20, v11
	v_min_u32_e32 v20, 32, v20
	v_lshrrev_b32_e32 v14, 19, v12
	v_subrev_u32_e32 v21, 28, v20
	v_and_b32_e32 v14, 15, v14
	v_lshlrev_b32_sdwa v21, v21, v12 dst_sel:DWORD dst_unused:UNUSED_PAD src0_sel:DWORD src1_sel:WORD_1
	v_bfe_u32 v15, v12, 19, 4
	v_sub_u32_e32 v20, 29, v20
	v_and_b32_e32 v21, 7, v21
	v_cmp_eq_u16_e32 vcc, 0, v14
	v_cndmask_b32_e32 v11, v11, v21, vcc
	v_cndmask_b32_e32 v14, v15, v20, vcc
	v_lshlrev_b32_e32 v15, 8, v12
	v_mov_b32_e32 v20, 0x3b800000
	v_lshlrev_b32_e32 v11, 20, v11
	v_and_b32_e32 v15, 0x80000000, v15
	v_lshl_add_u32 v14, v14, 23, v20
	v_or3_b32 v14, v15, v14, v11
.LBB19_1112:
	s_or_b64 exec, exec, s[6:7]
	s_nop 0
	v_mfma_f32_16x16x4f32 a[0:3], v10, v14, a[0:3]
	s_movk_i32 s4, 0x7f
	v_cmp_gt_i16_sdwa s[6:7], v16, s4 src0_sel:BYTE_3 src1_sel:DWORD
	s_mov_b64 s[4:5], 0
                                        ; implicit-def: $sgpr10
	s_and_saveexec_b64 s[8:9], s[6:7]
	s_xor_b64 s[6:7], exec, s[8:9]
	s_cbranch_execnz .LBB19_3161
; %bb.1113:
	s_or_saveexec_b64 s[6:7], s[6:7]
	v_mov_b32_e32 v10, s10
	s_xor_b64 exec, exec, s[6:7]
	s_cbranch_execnz .LBB19_3164
.LBB19_1114:
	s_or_b64 exec, exec, s[6:7]
	s_and_saveexec_b64 s[6:7], s[4:5]
	s_cbranch_execz .LBB19_1116
.LBB19_1115:
	v_bfe_u32 v10, v16, 24, 3
	v_ffbh_u32_e32 v20, v10
	v_min_u32_e32 v20, 32, v20
	v_lshrrev_b32_e32 v14, 27, v16
	v_subrev_u32_e32 v21, 28, v20
	v_and_b32_e32 v11, 0x80000000, v16
	v_and_b32_e32 v14, 15, v14
	v_bfe_u32 v15, v16, 27, 4
	v_lshlrev_b32_sdwa v16, v21, v16 dst_sel:DWORD dst_unused:UNUSED_PAD src0_sel:DWORD src1_sel:BYTE_3
	v_sub_u32_e32 v20, 29, v20
	v_and_b32_e32 v16, 7, v16
	v_cmp_eq_u16_e32 vcc, 0, v14
	v_cndmask_b32_e32 v10, v10, v16, vcc
	v_cndmask_b32_e32 v14, v15, v20, vcc
	v_mov_b32_e32 v15, 0x3b800000
	v_lshlrev_b32_e32 v10, 20, v10
	v_lshl_add_u32 v14, v14, 23, v15
	v_or3_b32 v10, v11, v14, v10
.LBB19_1116:
	s_or_b64 exec, exec, s[6:7]
	s_movk_i32 s4, 0x7f
	v_cmp_gt_i16_sdwa s[6:7], v12, s4 src0_sel:BYTE_3 src1_sel:DWORD
	s_mov_b64 s[4:5], 0
                                        ; implicit-def: $sgpr10
	s_and_saveexec_b64 s[8:9], s[6:7]
	s_xor_b64 s[6:7], exec, s[8:9]
	s_cbranch_execnz .LBB19_3165
; %bb.1117:
	s_or_saveexec_b64 s[6:7], s[6:7]
	v_mov_b32_e32 v11, s10
	s_xor_b64 exec, exec, s[6:7]
	s_cbranch_execnz .LBB19_3168
.LBB19_1118:
	s_or_b64 exec, exec, s[6:7]
	s_and_saveexec_b64 s[6:7], s[4:5]
	s_cbranch_execz .LBB19_1120
.LBB19_1119:
	v_bfe_u32 v11, v12, 24, 3
	v_ffbh_u32_e32 v20, v11
	v_min_u32_e32 v20, 32, v20
	v_lshrrev_b32_e32 v15, 27, v12
	v_subrev_u32_e32 v21, 28, v20
	v_and_b32_e32 v14, 0x80000000, v12
	v_and_b32_e32 v15, 15, v15
	v_bfe_u32 v16, v12, 27, 4
	v_lshlrev_b32_sdwa v12, v21, v12 dst_sel:DWORD dst_unused:UNUSED_PAD src0_sel:DWORD src1_sel:BYTE_3
	v_sub_u32_e32 v20, 29, v20
	v_and_b32_e32 v12, 7, v12
	v_cmp_eq_u16_e32 vcc, 0, v15
	v_cndmask_b32_e32 v11, v11, v12, vcc
	v_cndmask_b32_e32 v12, v16, v20, vcc
	v_mov_b32_e32 v15, 0x3b800000
	v_lshlrev_b32_e32 v11, 20, v11
	v_lshl_add_u32 v12, v12, 23, v15
	v_or3_b32 v11, v14, v12, v11
.LBB19_1120:
	s_or_b64 exec, exec, s[6:7]
	s_nop 0
	v_mfma_f32_16x16x4f32 a[0:3], v10, v11, a[0:3]
	s_movk_i32 s4, 0x7f
	v_cmp_gt_i16_sdwa s[6:7], v17, s4 src0_sel:BYTE_0 src1_sel:DWORD
	s_mov_b64 s[4:5], 0
                                        ; implicit-def: $sgpr10
	s_and_saveexec_b64 s[8:9], s[6:7]
	s_xor_b64 s[6:7], exec, s[8:9]
	s_cbranch_execnz .LBB19_3169
; %bb.1121:
	s_or_saveexec_b64 s[6:7], s[6:7]
	v_mov_b32_e32 v10, s10
	s_xor_b64 exec, exec, s[6:7]
	s_cbranch_execnz .LBB19_3172
.LBB19_1122:
	s_or_b64 exec, exec, s[6:7]
	s_and_saveexec_b64 s[6:7], s[4:5]
	s_cbranch_execz .LBB19_1124
.LBB19_1123:
	v_and_b32_e32 v10, 7, v17
	v_ffbh_u32_e32 v12, v10
	v_min_u32_e32 v12, 32, v12
	v_lshrrev_b16_e32 v11, 3, v17
	v_subrev_u32_e32 v14, 28, v12
	v_and_b32_e32 v11, 15, v11
	v_lshlrev_b32_e32 v14, v14, v17
	v_sub_u32_e32 v12, 29, v12
	v_and_b32_e32 v14, 7, v14
	v_cmp_eq_u16_e32 vcc, 0, v11
	v_cndmask_b32_e32 v10, v10, v14, vcc
	v_cndmask_b32_e32 v11, v11, v12, vcc
	v_lshlrev_b32_e32 v12, 24, v17
	v_mov_b32_e32 v14, 0x3b800000
	v_lshlrev_b32_e32 v10, 20, v10
	v_and_b32_e32 v12, 0x80000000, v12
	v_lshl_add_u32 v11, v11, 23, v14
	v_or3_b32 v10, v12, v11, v10
.LBB19_1124:
	s_or_b64 exec, exec, s[6:7]
	s_movk_i32 s4, 0x7f
	v_cmp_gt_i16_sdwa s[6:7], v13, s4 src0_sel:BYTE_0 src1_sel:DWORD
	s_mov_b64 s[4:5], 0
                                        ; implicit-def: $sgpr10
	s_and_saveexec_b64 s[8:9], s[6:7]
	s_xor_b64 s[6:7], exec, s[8:9]
	s_cbranch_execnz .LBB19_3173
; %bb.1125:
	s_or_saveexec_b64 s[6:7], s[6:7]
	v_mov_b32_e32 v11, s10
	s_xor_b64 exec, exec, s[6:7]
	s_cbranch_execnz .LBB19_3176
.LBB19_1126:
	s_or_b64 exec, exec, s[6:7]
	s_and_saveexec_b64 s[6:7], s[4:5]
	s_cbranch_execz .LBB19_1128
.LBB19_1127:
	v_and_b32_e32 v11, 7, v13
	v_ffbh_u32_e32 v14, v11
	v_min_u32_e32 v14, 32, v14
	v_lshrrev_b16_e32 v12, 3, v13
	v_subrev_u32_e32 v15, 28, v14
	v_and_b32_e32 v12, 15, v12
	v_lshlrev_b32_e32 v15, v15, v13
	v_sub_u32_e32 v14, 29, v14
	v_and_b32_e32 v15, 7, v15
	v_cmp_eq_u16_e32 vcc, 0, v12
	v_cndmask_b32_e32 v11, v11, v15, vcc
	v_cndmask_b32_e32 v12, v12, v14, vcc
	v_lshlrev_b32_e32 v14, 24, v13
	v_mov_b32_e32 v15, 0x3b800000
	v_lshlrev_b32_e32 v11, 20, v11
	v_and_b32_e32 v14, 0x80000000, v14
	v_lshl_add_u32 v12, v12, 23, v15
	v_or3_b32 v11, v14, v12, v11
.LBB19_1128:
	s_or_b64 exec, exec, s[6:7]
	s_nop 0
	v_mfma_f32_16x16x4f32 a[0:3], v10, v11, a[0:3]
	v_lshrrev_b32_e32 v11, 8, v17
	s_movk_i32 s4, 0x7f
	v_cmp_gt_i16_sdwa s[6:7], v11, s4 src0_sel:BYTE_0 src1_sel:DWORD
	s_mov_b64 s[4:5], 0
                                        ; implicit-def: $sgpr10
	s_and_saveexec_b64 s[8:9], s[6:7]
	s_xor_b64 s[6:7], exec, s[8:9]
	s_cbranch_execnz .LBB19_3177
; %bb.1129:
	s_or_saveexec_b64 s[6:7], s[6:7]
	v_mov_b32_e32 v10, s10
	s_xor_b64 exec, exec, s[6:7]
	s_cbranch_execnz .LBB19_3180
.LBB19_1130:
	s_or_b64 exec, exec, s[6:7]
	s_and_saveexec_b64 s[6:7], s[4:5]
	s_cbranch_execz .LBB19_1132
.LBB19_1131:
	v_bfe_u32 v10, v17, 8, 3
	v_ffbh_u32_e32 v14, v10
	v_min_u32_e32 v14, 32, v14
	v_lshrrev_b16_e32 v12, 3, v11
	v_subrev_u32_e32 v15, 28, v14
	v_and_b32_e32 v12, 15, v12
	v_lshlrev_b32_e32 v11, v15, v11
	v_sub_u32_e32 v14, 29, v14
	v_and_b32_e32 v11, 7, v11
	v_cmp_eq_u16_e32 vcc, 0, v12
	v_cndmask_b32_e32 v10, v10, v11, vcc
	v_cndmask_b32_e32 v11, v12, v14, vcc
	v_lshlrev_b32_e32 v12, 16, v17
	v_mov_b32_e32 v14, 0x3b800000
	v_lshlrev_b32_e32 v10, 20, v10
	v_and_b32_e32 v12, 0x80000000, v12
	v_lshl_add_u32 v11, v11, 23, v14
	v_or3_b32 v10, v12, v11, v10
.LBB19_1132:
	s_or_b64 exec, exec, s[6:7]
	v_lshrrev_b32_e32 v11, 8, v13
	s_movk_i32 s4, 0x7f
	v_cmp_gt_i16_sdwa s[6:7], v11, s4 src0_sel:BYTE_0 src1_sel:DWORD
	s_mov_b64 s[4:5], 0
                                        ; implicit-def: $sgpr10
	s_and_saveexec_b64 s[8:9], s[6:7]
	s_xor_b64 s[6:7], exec, s[8:9]
	s_cbranch_execnz .LBB19_3181
; %bb.1133:
	s_or_saveexec_b64 s[6:7], s[6:7]
	v_mov_b32_e32 v12, s10
	s_xor_b64 exec, exec, s[6:7]
	s_cbranch_execnz .LBB19_3184
.LBB19_1134:
	s_or_b64 exec, exec, s[6:7]
	s_and_saveexec_b64 s[6:7], s[4:5]
	s_cbranch_execz .LBB19_1136
.LBB19_1135:
	v_bfe_u32 v12, v13, 8, 3
	v_ffbh_u32_e32 v15, v12
	v_min_u32_e32 v15, 32, v15
	v_lshrrev_b16_e32 v14, 3, v11
	v_subrev_u32_e32 v16, 28, v15
	v_and_b32_e32 v14, 15, v14
	v_lshlrev_b32_e32 v11, v16, v11
	v_sub_u32_e32 v15, 29, v15
	v_and_b32_e32 v11, 7, v11
	v_cmp_eq_u16_e32 vcc, 0, v14
	v_cndmask_b32_e32 v11, v12, v11, vcc
	v_cndmask_b32_e32 v12, v14, v15, vcc
	v_lshlrev_b32_e32 v14, 16, v13
	v_mov_b32_e32 v15, 0x3b800000
	v_lshlrev_b32_e32 v11, 20, v11
	v_and_b32_e32 v14, 0x80000000, v14
	v_lshl_add_u32 v12, v12, 23, v15
	v_or3_b32 v12, v14, v12, v11
.LBB19_1136:
	s_or_b64 exec, exec, s[6:7]
	s_nop 0
	v_mfma_f32_16x16x4f32 a[0:3], v10, v12, a[0:3]
	s_movk_i32 s4, 0xff
	v_and_b32_sdwa v11, v17, s4 dst_sel:DWORD dst_unused:UNUSED_PAD src0_sel:WORD_1 src1_sel:DWORD
	s_movk_i32 s4, 0x7f
	v_cmp_lt_i16_e32 vcc, s4, v11
	s_mov_b64 s[4:5], 0
                                        ; implicit-def: $sgpr10
	s_and_saveexec_b64 s[6:7], vcc
	s_xor_b64 s[6:7], exec, s[6:7]
	s_cbranch_execnz .LBB19_3185
; %bb.1137:
	s_or_saveexec_b64 s[6:7], s[6:7]
	v_mov_b32_e32 v10, s10
	s_xor_b64 exec, exec, s[6:7]
	s_cbranch_execnz .LBB19_3188
.LBB19_1138:
	s_or_b64 exec, exec, s[6:7]
	s_and_saveexec_b64 s[6:7], s[4:5]
	s_cbranch_execz .LBB19_1140
.LBB19_1139:
	v_bfe_u32 v10, v17, 16, 3
	v_ffbh_u32_e32 v14, v10
	v_min_u32_e32 v14, 32, v14
	v_lshrrev_b32_e32 v11, 19, v17
	v_subrev_u32_e32 v15, 28, v14
	v_and_b32_e32 v11, 15, v11
	v_lshlrev_b32_sdwa v15, v15, v17 dst_sel:DWORD dst_unused:UNUSED_PAD src0_sel:DWORD src1_sel:WORD_1
	v_bfe_u32 v12, v17, 19, 4
	v_sub_u32_e32 v14, 29, v14
	v_and_b32_e32 v15, 7, v15
	v_cmp_eq_u16_e32 vcc, 0, v11
	v_cndmask_b32_e32 v10, v10, v15, vcc
	v_cndmask_b32_e32 v11, v12, v14, vcc
	v_lshlrev_b32_e32 v12, 8, v17
	v_mov_b32_e32 v14, 0x3b800000
	v_lshlrev_b32_e32 v10, 20, v10
	v_and_b32_e32 v12, 0x80000000, v12
	v_lshl_add_u32 v11, v11, 23, v14
	v_or3_b32 v10, v12, v11, v10
.LBB19_1140:
	s_or_b64 exec, exec, s[6:7]
	s_movk_i32 s4, 0xff
	v_and_b32_sdwa v11, v13, s4 dst_sel:DWORD dst_unused:UNUSED_PAD src0_sel:WORD_1 src1_sel:DWORD
	s_movk_i32 s4, 0x7f
	v_cmp_lt_i16_e32 vcc, s4, v11
	s_mov_b64 s[4:5], 0
                                        ; implicit-def: $sgpr10
	s_and_saveexec_b64 s[6:7], vcc
	s_xor_b64 s[6:7], exec, s[6:7]
	s_cbranch_execnz .LBB19_3189
; %bb.1141:
	s_or_saveexec_b64 s[6:7], s[6:7]
	v_mov_b32_e32 v12, s10
	s_xor_b64 exec, exec, s[6:7]
	s_cbranch_execnz .LBB19_3192
.LBB19_1142:
	s_or_b64 exec, exec, s[6:7]
	s_and_saveexec_b64 s[6:7], s[4:5]
	s_cbranch_execz .LBB19_1144
.LBB19_1143:
	v_bfe_u32 v11, v13, 16, 3
	v_ffbh_u32_e32 v15, v11
	v_min_u32_e32 v15, 32, v15
	v_lshrrev_b32_e32 v12, 19, v13
	v_subrev_u32_e32 v16, 28, v15
	v_and_b32_e32 v12, 15, v12
	v_lshlrev_b32_sdwa v16, v16, v13 dst_sel:DWORD dst_unused:UNUSED_PAD src0_sel:DWORD src1_sel:WORD_1
	v_bfe_u32 v14, v13, 19, 4
	v_sub_u32_e32 v15, 29, v15
	v_and_b32_e32 v16, 7, v16
	v_cmp_eq_u16_e32 vcc, 0, v12
	v_cndmask_b32_e32 v11, v11, v16, vcc
	v_cndmask_b32_e32 v12, v14, v15, vcc
	v_lshlrev_b32_e32 v14, 8, v13
	v_mov_b32_e32 v15, 0x3b800000
	v_lshlrev_b32_e32 v11, 20, v11
	v_and_b32_e32 v14, 0x80000000, v14
	v_lshl_add_u32 v12, v12, 23, v15
	v_or3_b32 v12, v14, v12, v11
.LBB19_1144:
	s_or_b64 exec, exec, s[6:7]
	s_nop 0
	v_mfma_f32_16x16x4f32 a[0:3], v10, v12, a[0:3]
	s_movk_i32 s4, 0x7f
	v_cmp_gt_i16_sdwa s[6:7], v17, s4 src0_sel:BYTE_3 src1_sel:DWORD
	s_mov_b64 s[4:5], 0
                                        ; implicit-def: $sgpr10
	s_and_saveexec_b64 s[8:9], s[6:7]
	s_xor_b64 s[6:7], exec, s[8:9]
	s_cbranch_execnz .LBB19_3193
; %bb.1145:
	s_or_saveexec_b64 s[6:7], s[6:7]
	v_mov_b32_e32 v10, s10
	s_xor_b64 exec, exec, s[6:7]
	s_cbranch_execnz .LBB19_3196
.LBB19_1146:
	s_or_b64 exec, exec, s[6:7]
	s_and_saveexec_b64 s[6:7], s[4:5]
	s_cbranch_execz .LBB19_1148
.LBB19_1147:
	v_bfe_u32 v10, v17, 24, 3
	v_ffbh_u32_e32 v15, v10
	v_min_u32_e32 v15, 32, v15
	v_lshrrev_b32_e32 v12, 27, v17
	v_subrev_u32_e32 v16, 28, v15
	v_and_b32_e32 v12, 15, v12
	v_lshlrev_b32_sdwa v16, v16, v17 dst_sel:DWORD dst_unused:UNUSED_PAD src0_sel:DWORD src1_sel:BYTE_3
	v_bfe_u32 v14, v17, 27, 4
	v_sub_u32_e32 v15, 29, v15
	v_and_b32_e32 v16, 7, v16
	v_cmp_eq_u16_e32 vcc, 0, v12
	v_cndmask_b32_e32 v10, v10, v16, vcc
	v_cndmask_b32_e32 v12, v14, v15, vcc
	v_mov_b32_e32 v14, 0x3b800000
	v_and_b32_e32 v11, 0x80000000, v17
	v_lshlrev_b32_e32 v10, 20, v10
	v_lshl_add_u32 v12, v12, 23, v14
	v_or3_b32 v10, v11, v12, v10
.LBB19_1148:
	s_or_b64 exec, exec, s[6:7]
	s_movk_i32 s4, 0x7f
	v_cmp_gt_i16_sdwa s[6:7], v13, s4 src0_sel:BYTE_3 src1_sel:DWORD
	s_mov_b64 s[4:5], 0
                                        ; implicit-def: $sgpr10
	s_and_saveexec_b64 s[8:9], s[6:7]
	s_xor_b64 s[6:7], exec, s[8:9]
	s_cbranch_execnz .LBB19_3197
; %bb.1149:
	s_or_saveexec_b64 s[6:7], s[6:7]
	v_mov_b32_e32 v11, s10
	s_xor_b64 exec, exec, s[6:7]
	s_cbranch_execnz .LBB19_3200
.LBB19_1150:
	s_or_b64 exec, exec, s[6:7]
	s_and_saveexec_b64 s[6:7], s[4:5]
	s_cbranch_execz .LBB19_1152
.LBB19_1151:
	v_bfe_u32 v11, v13, 24, 3
	v_ffbh_u32_e32 v16, v11
	v_min_u32_e32 v16, 32, v16
	v_lshrrev_b32_e32 v14, 27, v13
	v_subrev_u32_e32 v17, 28, v16
	v_and_b32_e32 v12, 0x80000000, v13
	v_and_b32_e32 v14, 15, v14
	v_bfe_u32 v15, v13, 27, 4
	v_lshlrev_b32_sdwa v13, v17, v13 dst_sel:DWORD dst_unused:UNUSED_PAD src0_sel:DWORD src1_sel:BYTE_3
	v_sub_u32_e32 v16, 29, v16
	v_and_b32_e32 v13, 7, v13
	v_cmp_eq_u16_e32 vcc, 0, v14
	v_cndmask_b32_e32 v11, v11, v13, vcc
	v_cndmask_b32_e32 v13, v15, v16, vcc
	v_mov_b32_e32 v14, 0x3b800000
	v_lshlrev_b32_e32 v11, 20, v11
	v_lshl_add_u32 v13, v13, 23, v14
	v_or3_b32 v11, v12, v13, v11
.LBB19_1152:
	s_or_b64 exec, exec, s[6:7]
	s_nop 0
	v_mfma_f32_16x16x4f32 a[0:3], v10, v11, a[0:3]
	s_movk_i32 s4, 0x7f
	v_cmp_gt_i16_sdwa s[6:7], v6, s4 src0_sel:BYTE_0 src1_sel:DWORD
	s_mov_b64 s[4:5], 0
                                        ; implicit-def: $sgpr10
	s_and_saveexec_b64 s[8:9], s[6:7]
	s_xor_b64 s[6:7], exec, s[8:9]
	s_cbranch_execnz .LBB19_3201
; %bb.1153:
	s_or_saveexec_b64 s[6:7], s[6:7]
	v_mov_b32_e32 v10, s10
	s_xor_b64 exec, exec, s[6:7]
	s_cbranch_execnz .LBB19_3204
.LBB19_1154:
	s_or_b64 exec, exec, s[6:7]
	s_and_saveexec_b64 s[6:7], s[4:5]
	s_cbranch_execz .LBB19_1156
.LBB19_1155:
	v_and_b32_e32 v10, 7, v6
	v_ffbh_u32_e32 v12, v10
	v_min_u32_e32 v12, 32, v12
	v_lshrrev_b16_e32 v11, 3, v6
	v_subrev_u32_e32 v13, 28, v12
	v_and_b32_e32 v11, 15, v11
	v_lshlrev_b32_e32 v13, v13, v6
	v_sub_u32_e32 v12, 29, v12
	v_and_b32_e32 v13, 7, v13
	v_cmp_eq_u16_e32 vcc, 0, v11
	v_cndmask_b32_e32 v10, v10, v13, vcc
	v_cndmask_b32_e32 v11, v11, v12, vcc
	v_lshlrev_b32_e32 v12, 24, v6
	v_mov_b32_e32 v13, 0x3b800000
	v_lshlrev_b32_e32 v10, 20, v10
	v_and_b32_e32 v12, 0x80000000, v12
	v_lshl_add_u32 v11, v11, 23, v13
	v_or3_b32 v10, v12, v11, v10
.LBB19_1156:
	s_or_b64 exec, exec, s[6:7]
	s_movk_i32 s4, 0x7f
	v_cmp_gt_i16_sdwa s[6:7], v2, s4 src0_sel:BYTE_0 src1_sel:DWORD
	s_mov_b64 s[4:5], 0
                                        ; implicit-def: $sgpr10
	s_and_saveexec_b64 s[8:9], s[6:7]
	s_xor_b64 s[6:7], exec, s[8:9]
	s_cbranch_execnz .LBB19_3205
; %bb.1157:
	s_or_saveexec_b64 s[6:7], s[6:7]
	v_mov_b32_e32 v11, s10
	s_xor_b64 exec, exec, s[6:7]
	s_cbranch_execnz .LBB19_3208
.LBB19_1158:
	s_or_b64 exec, exec, s[6:7]
	s_and_saveexec_b64 s[6:7], s[4:5]
	s_cbranch_execz .LBB19_1160
.LBB19_1159:
	v_and_b32_e32 v11, 7, v2
	v_ffbh_u32_e32 v13, v11
	v_min_u32_e32 v13, 32, v13
	v_lshrrev_b16_e32 v12, 3, v2
	v_subrev_u32_e32 v14, 28, v13
	v_and_b32_e32 v12, 15, v12
	v_lshlrev_b32_e32 v14, v14, v2
	v_sub_u32_e32 v13, 29, v13
	v_and_b32_e32 v14, 7, v14
	v_cmp_eq_u16_e32 vcc, 0, v12
	v_cndmask_b32_e32 v11, v11, v14, vcc
	v_cndmask_b32_e32 v12, v12, v13, vcc
	v_lshlrev_b32_e32 v13, 24, v2
	v_mov_b32_e32 v14, 0x3b800000
	v_lshlrev_b32_e32 v11, 20, v11
	v_and_b32_e32 v13, 0x80000000, v13
	v_lshl_add_u32 v12, v12, 23, v14
	v_or3_b32 v11, v13, v12, v11
.LBB19_1160:
	s_or_b64 exec, exec, s[6:7]
	s_nop 0
	v_mfma_f32_16x16x4f32 a[0:3], v10, v11, a[0:3]
	v_lshrrev_b32_e32 v11, 8, v6
	s_movk_i32 s4, 0x7f
	v_cmp_gt_i16_sdwa s[6:7], v11, s4 src0_sel:BYTE_0 src1_sel:DWORD
	s_mov_b64 s[4:5], 0
                                        ; implicit-def: $sgpr10
	s_and_saveexec_b64 s[8:9], s[6:7]
	s_xor_b64 s[6:7], exec, s[8:9]
	s_cbranch_execnz .LBB19_3209
; %bb.1161:
	s_or_saveexec_b64 s[6:7], s[6:7]
	v_mov_b32_e32 v10, s10
	s_xor_b64 exec, exec, s[6:7]
	s_cbranch_execnz .LBB19_3212
.LBB19_1162:
	s_or_b64 exec, exec, s[6:7]
	s_and_saveexec_b64 s[6:7], s[4:5]
	s_cbranch_execz .LBB19_1164
.LBB19_1163:
	v_bfe_u32 v10, v6, 8, 3
	v_ffbh_u32_e32 v13, v10
	v_min_u32_e32 v13, 32, v13
	v_lshrrev_b16_e32 v12, 3, v11
	v_subrev_u32_e32 v14, 28, v13
	v_and_b32_e32 v12, 15, v12
	v_lshlrev_b32_e32 v11, v14, v11
	v_sub_u32_e32 v13, 29, v13
	v_and_b32_e32 v11, 7, v11
	v_cmp_eq_u16_e32 vcc, 0, v12
	v_cndmask_b32_e32 v10, v10, v11, vcc
	v_cndmask_b32_e32 v11, v12, v13, vcc
	v_lshlrev_b32_e32 v12, 16, v6
	v_mov_b32_e32 v13, 0x3b800000
	v_lshlrev_b32_e32 v10, 20, v10
	v_and_b32_e32 v12, 0x80000000, v12
	v_lshl_add_u32 v11, v11, 23, v13
	v_or3_b32 v10, v12, v11, v10
.LBB19_1164:
	s_or_b64 exec, exec, s[6:7]
	v_lshrrev_b32_e32 v11, 8, v2
	s_movk_i32 s4, 0x7f
	v_cmp_gt_i16_sdwa s[6:7], v11, s4 src0_sel:BYTE_0 src1_sel:DWORD
	s_mov_b64 s[4:5], 0
                                        ; implicit-def: $sgpr10
	s_and_saveexec_b64 s[8:9], s[6:7]
	s_xor_b64 s[6:7], exec, s[8:9]
	s_cbranch_execnz .LBB19_3213
; %bb.1165:
	s_or_saveexec_b64 s[6:7], s[6:7]
	v_mov_b32_e32 v12, s10
	s_xor_b64 exec, exec, s[6:7]
	s_cbranch_execnz .LBB19_3216
.LBB19_1166:
	s_or_b64 exec, exec, s[6:7]
	s_and_saveexec_b64 s[6:7], s[4:5]
	s_cbranch_execz .LBB19_1168
.LBB19_1167:
	v_bfe_u32 v12, v2, 8, 3
	v_ffbh_u32_e32 v14, v12
	v_min_u32_e32 v14, 32, v14
	v_lshrrev_b16_e32 v13, 3, v11
	v_subrev_u32_e32 v15, 28, v14
	v_and_b32_e32 v13, 15, v13
	v_lshlrev_b32_e32 v11, v15, v11
	v_sub_u32_e32 v14, 29, v14
	v_and_b32_e32 v11, 7, v11
	v_cmp_eq_u16_e32 vcc, 0, v13
	v_cndmask_b32_e32 v11, v12, v11, vcc
	v_cndmask_b32_e32 v12, v13, v14, vcc
	v_lshlrev_b32_e32 v13, 16, v2
	v_mov_b32_e32 v14, 0x3b800000
	v_lshlrev_b32_e32 v11, 20, v11
	v_and_b32_e32 v13, 0x80000000, v13
	v_lshl_add_u32 v12, v12, 23, v14
	v_or3_b32 v12, v13, v12, v11
.LBB19_1168:
	s_or_b64 exec, exec, s[6:7]
	s_nop 0
	v_mfma_f32_16x16x4f32 a[0:3], v10, v12, a[0:3]
	s_movk_i32 s4, 0xff
	v_and_b32_sdwa v11, v6, s4 dst_sel:DWORD dst_unused:UNUSED_PAD src0_sel:WORD_1 src1_sel:DWORD
	s_movk_i32 s4, 0x7f
	v_cmp_lt_i16_e32 vcc, s4, v11
	s_mov_b64 s[4:5], 0
                                        ; implicit-def: $sgpr10
	s_and_saveexec_b64 s[6:7], vcc
	s_xor_b64 s[6:7], exec, s[6:7]
	s_cbranch_execnz .LBB19_3217
; %bb.1169:
	s_or_saveexec_b64 s[6:7], s[6:7]
	v_mov_b32_e32 v10, s10
	s_xor_b64 exec, exec, s[6:7]
	s_cbranch_execnz .LBB19_3220
.LBB19_1170:
	s_or_b64 exec, exec, s[6:7]
	s_and_saveexec_b64 s[6:7], s[4:5]
	s_cbranch_execz .LBB19_1172
.LBB19_1171:
	v_bfe_u32 v10, v6, 16, 3
	v_ffbh_u32_e32 v13, v10
	v_min_u32_e32 v13, 32, v13
	v_lshrrev_b32_e32 v11, 19, v6
	v_subrev_u32_e32 v14, 28, v13
	v_and_b32_e32 v11, 15, v11
	v_lshlrev_b32_sdwa v14, v14, v6 dst_sel:DWORD dst_unused:UNUSED_PAD src0_sel:DWORD src1_sel:WORD_1
	v_bfe_u32 v12, v6, 19, 4
	v_sub_u32_e32 v13, 29, v13
	v_and_b32_e32 v14, 7, v14
	v_cmp_eq_u16_e32 vcc, 0, v11
	v_cndmask_b32_e32 v10, v10, v14, vcc
	v_cndmask_b32_e32 v11, v12, v13, vcc
	v_lshlrev_b32_e32 v12, 8, v6
	v_mov_b32_e32 v13, 0x3b800000
	v_lshlrev_b32_e32 v10, 20, v10
	v_and_b32_e32 v12, 0x80000000, v12
	v_lshl_add_u32 v11, v11, 23, v13
	v_or3_b32 v10, v12, v11, v10
.LBB19_1172:
	s_or_b64 exec, exec, s[6:7]
	s_movk_i32 s4, 0xff
	v_and_b32_sdwa v11, v2, s4 dst_sel:DWORD dst_unused:UNUSED_PAD src0_sel:WORD_1 src1_sel:DWORD
	s_movk_i32 s4, 0x7f
	v_cmp_lt_i16_e32 vcc, s4, v11
	s_mov_b64 s[4:5], 0
                                        ; implicit-def: $sgpr10
	s_and_saveexec_b64 s[6:7], vcc
	s_xor_b64 s[6:7], exec, s[6:7]
	s_cbranch_execnz .LBB19_3221
; %bb.1173:
	s_or_saveexec_b64 s[6:7], s[6:7]
	v_mov_b32_e32 v12, s10
	s_xor_b64 exec, exec, s[6:7]
	s_cbranch_execnz .LBB19_3224
.LBB19_1174:
	s_or_b64 exec, exec, s[6:7]
	s_and_saveexec_b64 s[6:7], s[4:5]
	s_cbranch_execz .LBB19_1176
.LBB19_1175:
	v_bfe_u32 v11, v2, 16, 3
	v_ffbh_u32_e32 v14, v11
	v_min_u32_e32 v14, 32, v14
	v_lshrrev_b32_e32 v12, 19, v2
	v_subrev_u32_e32 v15, 28, v14
	v_and_b32_e32 v12, 15, v12
	v_lshlrev_b32_sdwa v15, v15, v2 dst_sel:DWORD dst_unused:UNUSED_PAD src0_sel:DWORD src1_sel:WORD_1
	v_bfe_u32 v13, v2, 19, 4
	v_sub_u32_e32 v14, 29, v14
	v_and_b32_e32 v15, 7, v15
	v_cmp_eq_u16_e32 vcc, 0, v12
	v_cndmask_b32_e32 v11, v11, v15, vcc
	v_cndmask_b32_e32 v12, v13, v14, vcc
	v_lshlrev_b32_e32 v13, 8, v2
	v_mov_b32_e32 v14, 0x3b800000
	v_lshlrev_b32_e32 v11, 20, v11
	v_and_b32_e32 v13, 0x80000000, v13
	v_lshl_add_u32 v12, v12, 23, v14
	v_or3_b32 v12, v13, v12, v11
.LBB19_1176:
	s_or_b64 exec, exec, s[6:7]
	s_nop 0
	v_mfma_f32_16x16x4f32 a[0:3], v10, v12, a[0:3]
	s_movk_i32 s4, 0x7f
	v_cmp_gt_i16_sdwa s[6:7], v6, s4 src0_sel:BYTE_3 src1_sel:DWORD
	s_mov_b64 s[4:5], 0
                                        ; implicit-def: $sgpr10
	s_and_saveexec_b64 s[8:9], s[6:7]
	s_xor_b64 s[6:7], exec, s[8:9]
	s_cbranch_execnz .LBB19_3225
; %bb.1177:
	s_or_saveexec_b64 s[6:7], s[6:7]
	v_mov_b32_e32 v10, s10
	s_xor_b64 exec, exec, s[6:7]
	s_cbranch_execnz .LBB19_3228
.LBB19_1178:
	s_or_b64 exec, exec, s[6:7]
	s_and_saveexec_b64 s[6:7], s[4:5]
	s_cbranch_execz .LBB19_1180
.LBB19_1179:
	v_bfe_u32 v10, v6, 24, 3
	v_ffbh_u32_e32 v14, v10
	v_min_u32_e32 v14, 32, v14
	v_lshrrev_b32_e32 v12, 27, v6
	v_subrev_u32_e32 v15, 28, v14
	v_and_b32_e32 v11, 0x80000000, v6
	v_and_b32_e32 v12, 15, v12
	v_bfe_u32 v13, v6, 27, 4
	v_lshlrev_b32_sdwa v6, v15, v6 dst_sel:DWORD dst_unused:UNUSED_PAD src0_sel:DWORD src1_sel:BYTE_3
	v_sub_u32_e32 v14, 29, v14
	v_and_b32_e32 v6, 7, v6
	v_cmp_eq_u16_e32 vcc, 0, v12
	v_cndmask_b32_e32 v6, v10, v6, vcc
	v_cndmask_b32_e32 v10, v13, v14, vcc
	v_mov_b32_e32 v12, 0x3b800000
	v_lshlrev_b32_e32 v6, 20, v6
	v_lshl_add_u32 v10, v10, 23, v12
	v_or3_b32 v10, v11, v10, v6
.LBB19_1180:
	s_or_b64 exec, exec, s[6:7]
	s_movk_i32 s4, 0x7f
	v_cmp_gt_i16_sdwa s[6:7], v2, s4 src0_sel:BYTE_3 src1_sel:DWORD
	s_mov_b64 s[4:5], 0
                                        ; implicit-def: $sgpr10
	s_and_saveexec_b64 s[8:9], s[6:7]
	s_xor_b64 s[6:7], exec, s[8:9]
	s_cbranch_execnz .LBB19_3229
; %bb.1181:
	s_or_saveexec_b64 s[6:7], s[6:7]
	v_mov_b32_e32 v6, s10
	s_xor_b64 exec, exec, s[6:7]
	s_cbranch_execnz .LBB19_3232
.LBB19_1182:
	s_or_b64 exec, exec, s[6:7]
	s_and_saveexec_b64 s[6:7], s[4:5]
	s_cbranch_execz .LBB19_1184
.LBB19_1183:
	v_bfe_u32 v6, v2, 24, 3
	v_ffbh_u32_e32 v14, v6
	v_min_u32_e32 v14, 32, v14
	v_lshrrev_b32_e32 v12, 27, v2
	v_subrev_u32_e32 v15, 28, v14
	v_and_b32_e32 v11, 0x80000000, v2
	v_and_b32_e32 v12, 15, v12
	v_bfe_u32 v13, v2, 27, 4
	v_lshlrev_b32_sdwa v2, v15, v2 dst_sel:DWORD dst_unused:UNUSED_PAD src0_sel:DWORD src1_sel:BYTE_3
	v_sub_u32_e32 v14, 29, v14
	v_and_b32_e32 v2, 7, v2
	v_cmp_eq_u16_e32 vcc, 0, v12
	v_cndmask_b32_e32 v2, v6, v2, vcc
	v_cndmask_b32_e32 v6, v13, v14, vcc
	v_mov_b32_e32 v12, 0x3b800000
	v_lshlrev_b32_e32 v2, 20, v2
	v_lshl_add_u32 v6, v6, 23, v12
	v_or3_b32 v6, v11, v6, v2
.LBB19_1184:
	s_or_b64 exec, exec, s[6:7]
	s_nop 0
	v_mfma_f32_16x16x4f32 a[0:3], v10, v6, a[0:3]
	s_movk_i32 s4, 0x7f
	v_cmp_gt_i16_sdwa s[6:7], v7, s4 src0_sel:BYTE_0 src1_sel:DWORD
	s_mov_b64 s[4:5], 0
                                        ; implicit-def: $sgpr10
	s_and_saveexec_b64 s[8:9], s[6:7]
	s_xor_b64 s[6:7], exec, s[8:9]
	s_cbranch_execnz .LBB19_3233
; %bb.1185:
	s_or_saveexec_b64 s[6:7], s[6:7]
	v_mov_b32_e32 v2, s10
	s_xor_b64 exec, exec, s[6:7]
	s_cbranch_execnz .LBB19_3236
.LBB19_1186:
	s_or_b64 exec, exec, s[6:7]
	s_and_saveexec_b64 s[6:7], s[4:5]
	s_cbranch_execz .LBB19_1188
.LBB19_1187:
	v_and_b32_e32 v2, 7, v7
	v_ffbh_u32_e32 v10, v2
	v_min_u32_e32 v10, 32, v10
	v_lshrrev_b16_e32 v6, 3, v7
	v_subrev_u32_e32 v11, 28, v10
	v_and_b32_e32 v6, 15, v6
	v_lshlrev_b32_e32 v11, v11, v7
	v_sub_u32_e32 v10, 29, v10
	v_and_b32_e32 v11, 7, v11
	v_cmp_eq_u16_e32 vcc, 0, v6
	v_cndmask_b32_e32 v2, v2, v11, vcc
	v_cndmask_b32_e32 v6, v6, v10, vcc
	v_lshlrev_b32_e32 v10, 24, v7
	v_mov_b32_e32 v11, 0x3b800000
	v_lshlrev_b32_e32 v2, 20, v2
	v_and_b32_e32 v10, 0x80000000, v10
	v_lshl_add_u32 v6, v6, 23, v11
	v_or3_b32 v2, v10, v6, v2
.LBB19_1188:
	s_or_b64 exec, exec, s[6:7]
	s_movk_i32 s4, 0x7f
	v_cmp_gt_i16_sdwa s[6:7], v3, s4 src0_sel:BYTE_0 src1_sel:DWORD
	s_mov_b64 s[4:5], 0
                                        ; implicit-def: $sgpr10
	s_and_saveexec_b64 s[8:9], s[6:7]
	s_xor_b64 s[6:7], exec, s[8:9]
	s_cbranch_execnz .LBB19_3237
; %bb.1189:
	s_or_saveexec_b64 s[6:7], s[6:7]
	v_mov_b32_e32 v6, s10
	s_xor_b64 exec, exec, s[6:7]
	s_cbranch_execnz .LBB19_3240
.LBB19_1190:
	s_or_b64 exec, exec, s[6:7]
	s_and_saveexec_b64 s[6:7], s[4:5]
	s_cbranch_execz .LBB19_1192
.LBB19_1191:
	v_and_b32_e32 v6, 7, v3
	v_ffbh_u32_e32 v11, v6
	v_min_u32_e32 v11, 32, v11
	v_lshrrev_b16_e32 v10, 3, v3
	v_subrev_u32_e32 v12, 28, v11
	v_and_b32_e32 v10, 15, v10
	v_lshlrev_b32_e32 v12, v12, v3
	v_sub_u32_e32 v11, 29, v11
	v_and_b32_e32 v12, 7, v12
	v_cmp_eq_u16_e32 vcc, 0, v10
	v_cndmask_b32_e32 v6, v6, v12, vcc
	v_cndmask_b32_e32 v10, v10, v11, vcc
	v_lshlrev_b32_e32 v11, 24, v3
	v_mov_b32_e32 v12, 0x3b800000
	v_lshlrev_b32_e32 v6, 20, v6
	v_and_b32_e32 v11, 0x80000000, v11
	v_lshl_add_u32 v10, v10, 23, v12
	v_or3_b32 v6, v11, v10, v6
.LBB19_1192:
	s_or_b64 exec, exec, s[6:7]
	s_nop 0
	v_mfma_f32_16x16x4f32 a[0:3], v2, v6, a[0:3]
	v_lshrrev_b32_e32 v6, 8, v7
	s_movk_i32 s4, 0x7f
	v_cmp_gt_i16_sdwa s[6:7], v6, s4 src0_sel:BYTE_0 src1_sel:DWORD
	s_mov_b64 s[4:5], 0
                                        ; implicit-def: $sgpr10
	s_and_saveexec_b64 s[8:9], s[6:7]
	s_xor_b64 s[6:7], exec, s[8:9]
	s_cbranch_execnz .LBB19_3241
; %bb.1193:
	s_or_saveexec_b64 s[6:7], s[6:7]
	v_mov_b32_e32 v2, s10
	s_xor_b64 exec, exec, s[6:7]
	s_cbranch_execnz .LBB19_3244
.LBB19_1194:
	s_or_b64 exec, exec, s[6:7]
	s_and_saveexec_b64 s[6:7], s[4:5]
	s_cbranch_execz .LBB19_1196
.LBB19_1195:
	v_bfe_u32 v2, v7, 8, 3
	v_ffbh_u32_e32 v11, v2
	v_min_u32_e32 v11, 32, v11
	v_lshrrev_b16_e32 v10, 3, v6
	v_subrev_u32_e32 v12, 28, v11
	v_and_b32_e32 v10, 15, v10
	v_lshlrev_b32_e32 v6, v12, v6
	v_sub_u32_e32 v11, 29, v11
	v_and_b32_e32 v6, 7, v6
	v_cmp_eq_u16_e32 vcc, 0, v10
	v_cndmask_b32_e32 v2, v2, v6, vcc
	v_cndmask_b32_e32 v6, v10, v11, vcc
	v_lshlrev_b32_e32 v10, 16, v7
	v_mov_b32_e32 v11, 0x3b800000
	v_lshlrev_b32_e32 v2, 20, v2
	v_and_b32_e32 v10, 0x80000000, v10
	v_lshl_add_u32 v6, v6, 23, v11
	v_or3_b32 v2, v10, v6, v2
.LBB19_1196:
	s_or_b64 exec, exec, s[6:7]
	v_lshrrev_b32_e32 v6, 8, v3
	s_movk_i32 s4, 0x7f
	v_cmp_gt_i16_sdwa s[6:7], v6, s4 src0_sel:BYTE_0 src1_sel:DWORD
	s_mov_b64 s[4:5], 0
                                        ; implicit-def: $sgpr10
	s_and_saveexec_b64 s[8:9], s[6:7]
	s_xor_b64 s[6:7], exec, s[8:9]
	s_cbranch_execnz .LBB19_3245
; %bb.1197:
	s_or_saveexec_b64 s[6:7], s[6:7]
	v_mov_b32_e32 v10, s10
	s_xor_b64 exec, exec, s[6:7]
	s_cbranch_execnz .LBB19_3248
.LBB19_1198:
	s_or_b64 exec, exec, s[6:7]
	s_and_saveexec_b64 s[6:7], s[4:5]
	s_cbranch_execz .LBB19_1200
.LBB19_1199:
	v_bfe_u32 v10, v3, 8, 3
	v_ffbh_u32_e32 v12, v10
	v_min_u32_e32 v12, 32, v12
	v_lshrrev_b16_e32 v11, 3, v6
	v_subrev_u32_e32 v13, 28, v12
	v_and_b32_e32 v11, 15, v11
	v_lshlrev_b32_e32 v6, v13, v6
	v_sub_u32_e32 v12, 29, v12
	v_and_b32_e32 v6, 7, v6
	v_cmp_eq_u16_e32 vcc, 0, v11
	v_cndmask_b32_e32 v6, v10, v6, vcc
	v_cndmask_b32_e32 v10, v11, v12, vcc
	v_lshlrev_b32_e32 v11, 16, v3
	v_mov_b32_e32 v12, 0x3b800000
	v_lshlrev_b32_e32 v6, 20, v6
	v_and_b32_e32 v11, 0x80000000, v11
	v_lshl_add_u32 v10, v10, 23, v12
	v_or3_b32 v10, v11, v10, v6
.LBB19_1200:
	s_or_b64 exec, exec, s[6:7]
	s_nop 0
	v_mfma_f32_16x16x4f32 a[0:3], v2, v10, a[0:3]
	s_movk_i32 s4, 0xff
	v_and_b32_sdwa v6, v7, s4 dst_sel:DWORD dst_unused:UNUSED_PAD src0_sel:WORD_1 src1_sel:DWORD
	s_movk_i32 s4, 0x7f
	v_cmp_lt_i16_e32 vcc, s4, v6
	s_mov_b64 s[4:5], 0
                                        ; implicit-def: $sgpr10
	s_and_saveexec_b64 s[6:7], vcc
	s_xor_b64 s[6:7], exec, s[6:7]
	s_cbranch_execnz .LBB19_3249
; %bb.1201:
	s_or_saveexec_b64 s[6:7], s[6:7]
	v_mov_b32_e32 v2, s10
	s_xor_b64 exec, exec, s[6:7]
	s_cbranch_execnz .LBB19_3252
.LBB19_1202:
	s_or_b64 exec, exec, s[6:7]
	s_and_saveexec_b64 s[6:7], s[4:5]
	s_cbranch_execz .LBB19_1204
.LBB19_1203:
	v_bfe_u32 v2, v7, 16, 3
	v_ffbh_u32_e32 v11, v2
	v_min_u32_e32 v11, 32, v11
	v_lshrrev_b32_e32 v6, 19, v7
	v_subrev_u32_e32 v12, 28, v11
	v_and_b32_e32 v6, 15, v6
	v_lshlrev_b32_sdwa v12, v12, v7 dst_sel:DWORD dst_unused:UNUSED_PAD src0_sel:DWORD src1_sel:WORD_1
	v_bfe_u32 v10, v7, 19, 4
	v_sub_u32_e32 v11, 29, v11
	v_and_b32_e32 v12, 7, v12
	v_cmp_eq_u16_e32 vcc, 0, v6
	v_cndmask_b32_e32 v2, v2, v12, vcc
	v_cndmask_b32_e32 v6, v10, v11, vcc
	v_lshlrev_b32_e32 v10, 8, v7
	v_mov_b32_e32 v11, 0x3b800000
	v_lshlrev_b32_e32 v2, 20, v2
	v_and_b32_e32 v10, 0x80000000, v10
	v_lshl_add_u32 v6, v6, 23, v11
	v_or3_b32 v2, v10, v6, v2
.LBB19_1204:
	s_or_b64 exec, exec, s[6:7]
	s_movk_i32 s4, 0xff
	v_and_b32_sdwa v6, v3, s4 dst_sel:DWORD dst_unused:UNUSED_PAD src0_sel:WORD_1 src1_sel:DWORD
	s_movk_i32 s4, 0x7f
	v_cmp_lt_i16_e32 vcc, s4, v6
	s_mov_b64 s[4:5], 0
                                        ; implicit-def: $sgpr10
	s_and_saveexec_b64 s[6:7], vcc
	s_xor_b64 s[6:7], exec, s[6:7]
	s_cbranch_execnz .LBB19_3253
; %bb.1205:
	s_or_saveexec_b64 s[6:7], s[6:7]
	v_mov_b32_e32 v10, s10
	s_xor_b64 exec, exec, s[6:7]
	s_cbranch_execnz .LBB19_3256
.LBB19_1206:
	s_or_b64 exec, exec, s[6:7]
	s_and_saveexec_b64 s[6:7], s[4:5]
	s_cbranch_execz .LBB19_1208
.LBB19_1207:
	v_bfe_u32 v6, v3, 16, 3
	v_ffbh_u32_e32 v12, v6
	v_min_u32_e32 v12, 32, v12
	v_lshrrev_b32_e32 v10, 19, v3
	v_subrev_u32_e32 v13, 28, v12
	v_and_b32_e32 v10, 15, v10
	v_lshlrev_b32_sdwa v13, v13, v3 dst_sel:DWORD dst_unused:UNUSED_PAD src0_sel:DWORD src1_sel:WORD_1
	v_bfe_u32 v11, v3, 19, 4
	v_sub_u32_e32 v12, 29, v12
	v_and_b32_e32 v13, 7, v13
	v_cmp_eq_u16_e32 vcc, 0, v10
	v_cndmask_b32_e32 v6, v6, v13, vcc
	v_cndmask_b32_e32 v10, v11, v12, vcc
	v_lshlrev_b32_e32 v11, 8, v3
	v_mov_b32_e32 v12, 0x3b800000
	v_lshlrev_b32_e32 v6, 20, v6
	v_and_b32_e32 v11, 0x80000000, v11
	v_lshl_add_u32 v10, v10, 23, v12
	v_or3_b32 v10, v11, v10, v6
.LBB19_1208:
	s_or_b64 exec, exec, s[6:7]
	s_nop 0
	v_mfma_f32_16x16x4f32 a[0:3], v2, v10, a[0:3]
	s_movk_i32 s4, 0x7f
	v_cmp_gt_i16_sdwa s[6:7], v7, s4 src0_sel:BYTE_3 src1_sel:DWORD
	s_mov_b64 s[4:5], 0
                                        ; implicit-def: $sgpr10
	s_and_saveexec_b64 s[8:9], s[6:7]
	s_xor_b64 s[6:7], exec, s[8:9]
	s_cbranch_execnz .LBB19_3257
; %bb.1209:
	s_or_saveexec_b64 s[6:7], s[6:7]
	v_mov_b32_e32 v2, s10
	s_xor_b64 exec, exec, s[6:7]
	s_cbranch_execnz .LBB19_3260
.LBB19_1210:
	s_or_b64 exec, exec, s[6:7]
	s_and_saveexec_b64 s[6:7], s[4:5]
	s_cbranch_execz .LBB19_1212
.LBB19_1211:
	v_bfe_u32 v2, v7, 24, 3
	v_ffbh_u32_e32 v12, v2
	v_min_u32_e32 v12, 32, v12
	v_lshrrev_b32_e32 v10, 27, v7
	v_subrev_u32_e32 v13, 28, v12
	v_and_b32_e32 v6, 0x80000000, v7
	v_and_b32_e32 v10, 15, v10
	v_bfe_u32 v11, v7, 27, 4
	v_lshlrev_b32_sdwa v7, v13, v7 dst_sel:DWORD dst_unused:UNUSED_PAD src0_sel:DWORD src1_sel:BYTE_3
	v_sub_u32_e32 v12, 29, v12
	v_and_b32_e32 v7, 7, v7
	v_cmp_eq_u16_e32 vcc, 0, v10
	v_cndmask_b32_e32 v2, v2, v7, vcc
	v_cndmask_b32_e32 v7, v11, v12, vcc
	v_mov_b32_e32 v10, 0x3b800000
	v_lshlrev_b32_e32 v2, 20, v2
	v_lshl_add_u32 v7, v7, 23, v10
	v_or3_b32 v2, v6, v7, v2
.LBB19_1212:
	s_or_b64 exec, exec, s[6:7]
	s_movk_i32 s4, 0x7f
	v_cmp_gt_i16_sdwa s[6:7], v3, s4 src0_sel:BYTE_3 src1_sel:DWORD
	s_mov_b64 s[4:5], 0
                                        ; implicit-def: $sgpr10
	s_and_saveexec_b64 s[8:9], s[6:7]
	s_xor_b64 s[6:7], exec, s[8:9]
	s_cbranch_execnz .LBB19_3261
; %bb.1213:
	s_or_saveexec_b64 s[6:7], s[6:7]
	v_mov_b32_e32 v6, s10
	s_xor_b64 exec, exec, s[6:7]
	s_cbranch_execnz .LBB19_3264
.LBB19_1214:
	s_or_b64 exec, exec, s[6:7]
	s_and_saveexec_b64 s[6:7], s[4:5]
	s_cbranch_execz .LBB19_1216
.LBB19_1215:
	v_bfe_u32 v6, v3, 24, 3
	v_ffbh_u32_e32 v12, v6
	v_min_u32_e32 v12, 32, v12
	v_lshrrev_b32_e32 v10, 27, v3
	v_subrev_u32_e32 v13, 28, v12
	v_and_b32_e32 v7, 0x80000000, v3
	v_and_b32_e32 v10, 15, v10
	v_bfe_u32 v11, v3, 27, 4
	v_lshlrev_b32_sdwa v3, v13, v3 dst_sel:DWORD dst_unused:UNUSED_PAD src0_sel:DWORD src1_sel:BYTE_3
	v_sub_u32_e32 v12, 29, v12
	v_and_b32_e32 v3, 7, v3
	v_cmp_eq_u16_e32 vcc, 0, v10
	v_cndmask_b32_e32 v3, v6, v3, vcc
	v_cndmask_b32_e32 v6, v11, v12, vcc
	v_mov_b32_e32 v10, 0x3b800000
	v_lshlrev_b32_e32 v3, 20, v3
	v_lshl_add_u32 v6, v6, 23, v10
	v_or3_b32 v6, v7, v6, v3
.LBB19_1216:
	s_or_b64 exec, exec, s[6:7]
	s_nop 0
	v_mfma_f32_16x16x4f32 a[0:3], v2, v6, a[0:3]
	s_movk_i32 s4, 0x7f
	v_cmp_gt_i16_sdwa s[6:7], v8, s4 src0_sel:BYTE_0 src1_sel:DWORD
	s_mov_b64 s[4:5], 0
                                        ; implicit-def: $sgpr10
	s_and_saveexec_b64 s[8:9], s[6:7]
	s_xor_b64 s[6:7], exec, s[8:9]
	s_cbranch_execnz .LBB19_3265
; %bb.1217:
	s_or_saveexec_b64 s[6:7], s[6:7]
	v_mov_b32_e32 v2, s10
	s_xor_b64 exec, exec, s[6:7]
	s_cbranch_execnz .LBB19_3268
.LBB19_1218:
	s_or_b64 exec, exec, s[6:7]
	s_and_saveexec_b64 s[6:7], s[4:5]
	s_cbranch_execz .LBB19_1220
.LBB19_1219:
	v_and_b32_e32 v2, 7, v8
	v_ffbh_u32_e32 v6, v2
	v_min_u32_e32 v6, 32, v6
	v_lshrrev_b16_e32 v3, 3, v8
	v_subrev_u32_e32 v7, 28, v6
	v_and_b32_e32 v3, 15, v3
	v_lshlrev_b32_e32 v7, v7, v8
	v_sub_u32_e32 v6, 29, v6
	v_and_b32_e32 v7, 7, v7
	v_cmp_eq_u16_e32 vcc, 0, v3
	v_cndmask_b32_e32 v2, v2, v7, vcc
	v_cndmask_b32_e32 v3, v3, v6, vcc
	v_lshlrev_b32_e32 v6, 24, v8
	v_mov_b32_e32 v7, 0x3b800000
	v_lshlrev_b32_e32 v2, 20, v2
	v_and_b32_e32 v6, 0x80000000, v6
	v_lshl_add_u32 v3, v3, 23, v7
	v_or3_b32 v2, v6, v3, v2
.LBB19_1220:
	s_or_b64 exec, exec, s[6:7]
	s_movk_i32 s4, 0x7f
	v_cmp_gt_i16_sdwa s[6:7], v4, s4 src0_sel:BYTE_0 src1_sel:DWORD
	s_mov_b64 s[4:5], 0
                                        ; implicit-def: $sgpr10
	s_and_saveexec_b64 s[8:9], s[6:7]
	s_xor_b64 s[6:7], exec, s[8:9]
	s_cbranch_execnz .LBB19_3269
; %bb.1221:
	s_or_saveexec_b64 s[6:7], s[6:7]
	v_mov_b32_e32 v3, s10
	s_xor_b64 exec, exec, s[6:7]
	s_cbranch_execnz .LBB19_3272
.LBB19_1222:
	s_or_b64 exec, exec, s[6:7]
	s_and_saveexec_b64 s[6:7], s[4:5]
	s_cbranch_execz .LBB19_1224
.LBB19_1223:
	v_and_b32_e32 v3, 7, v4
	v_ffbh_u32_e32 v7, v3
	v_min_u32_e32 v7, 32, v7
	v_lshrrev_b16_e32 v6, 3, v4
	v_subrev_u32_e32 v10, 28, v7
	v_and_b32_e32 v6, 15, v6
	v_lshlrev_b32_e32 v10, v10, v4
	v_sub_u32_e32 v7, 29, v7
	v_and_b32_e32 v10, 7, v10
	v_cmp_eq_u16_e32 vcc, 0, v6
	v_cndmask_b32_e32 v3, v3, v10, vcc
	v_cndmask_b32_e32 v6, v6, v7, vcc
	v_lshlrev_b32_e32 v7, 24, v4
	v_mov_b32_e32 v10, 0x3b800000
	v_lshlrev_b32_e32 v3, 20, v3
	v_and_b32_e32 v7, 0x80000000, v7
	v_lshl_add_u32 v6, v6, 23, v10
	v_or3_b32 v3, v7, v6, v3
.LBB19_1224:
	s_or_b64 exec, exec, s[6:7]
	s_nop 0
	v_mfma_f32_16x16x4f32 a[0:3], v2, v3, a[0:3]
	v_lshrrev_b32_e32 v3, 8, v8
	s_movk_i32 s4, 0x7f
	v_cmp_gt_i16_sdwa s[6:7], v3, s4 src0_sel:BYTE_0 src1_sel:DWORD
	s_mov_b64 s[4:5], 0
                                        ; implicit-def: $sgpr10
	s_and_saveexec_b64 s[8:9], s[6:7]
	s_xor_b64 s[6:7], exec, s[8:9]
	s_cbranch_execnz .LBB19_3273
; %bb.1225:
	s_or_saveexec_b64 s[6:7], s[6:7]
	v_mov_b32_e32 v2, s10
	s_xor_b64 exec, exec, s[6:7]
	s_cbranch_execnz .LBB19_3276
.LBB19_1226:
	s_or_b64 exec, exec, s[6:7]
	s_and_saveexec_b64 s[6:7], s[4:5]
	s_cbranch_execz .LBB19_1228
.LBB19_1227:
	v_bfe_u32 v2, v8, 8, 3
	v_ffbh_u32_e32 v7, v2
	v_min_u32_e32 v7, 32, v7
	v_lshrrev_b16_e32 v6, 3, v3
	v_subrev_u32_e32 v10, 28, v7
	v_and_b32_e32 v6, 15, v6
	v_lshlrev_b32_e32 v3, v10, v3
	v_sub_u32_e32 v7, 29, v7
	v_and_b32_e32 v3, 7, v3
	v_cmp_eq_u16_e32 vcc, 0, v6
	v_cndmask_b32_e32 v2, v2, v3, vcc
	v_cndmask_b32_e32 v3, v6, v7, vcc
	v_lshlrev_b32_e32 v6, 16, v8
	v_mov_b32_e32 v7, 0x3b800000
	v_lshlrev_b32_e32 v2, 20, v2
	v_and_b32_e32 v6, 0x80000000, v6
	v_lshl_add_u32 v3, v3, 23, v7
	v_or3_b32 v2, v6, v3, v2
.LBB19_1228:
	s_or_b64 exec, exec, s[6:7]
	v_lshrrev_b32_e32 v3, 8, v4
	s_movk_i32 s4, 0x7f
	v_cmp_gt_i16_sdwa s[6:7], v3, s4 src0_sel:BYTE_0 src1_sel:DWORD
	s_mov_b64 s[4:5], 0
                                        ; implicit-def: $sgpr10
	s_and_saveexec_b64 s[8:9], s[6:7]
	s_xor_b64 s[6:7], exec, s[8:9]
	s_cbranch_execnz .LBB19_3277
; %bb.1229:
	s_or_saveexec_b64 s[6:7], s[6:7]
	v_mov_b32_e32 v6, s10
	s_xor_b64 exec, exec, s[6:7]
	s_cbranch_execnz .LBB19_3280
.LBB19_1230:
	s_or_b64 exec, exec, s[6:7]
	s_and_saveexec_b64 s[6:7], s[4:5]
	s_cbranch_execz .LBB19_1232
.LBB19_1231:
	v_bfe_u32 v6, v4, 8, 3
	v_ffbh_u32_e32 v10, v6
	v_min_u32_e32 v10, 32, v10
	v_lshrrev_b16_e32 v7, 3, v3
	v_subrev_u32_e32 v11, 28, v10
	v_and_b32_e32 v7, 15, v7
	v_lshlrev_b32_e32 v3, v11, v3
	v_sub_u32_e32 v10, 29, v10
	v_and_b32_e32 v3, 7, v3
	v_cmp_eq_u16_e32 vcc, 0, v7
	v_cndmask_b32_e32 v3, v6, v3, vcc
	v_cndmask_b32_e32 v6, v7, v10, vcc
	v_lshlrev_b32_e32 v7, 16, v4
	v_mov_b32_e32 v10, 0x3b800000
	v_lshlrev_b32_e32 v3, 20, v3
	v_and_b32_e32 v7, 0x80000000, v7
	v_lshl_add_u32 v6, v6, 23, v10
	v_or3_b32 v6, v7, v6, v3
.LBB19_1232:
	s_or_b64 exec, exec, s[6:7]
	s_nop 0
	v_mfma_f32_16x16x4f32 a[0:3], v2, v6, a[0:3]
	s_movk_i32 s4, 0xff
	v_and_b32_sdwa v3, v8, s4 dst_sel:DWORD dst_unused:UNUSED_PAD src0_sel:WORD_1 src1_sel:DWORD
	s_movk_i32 s4, 0x7f
	v_cmp_lt_i16_e32 vcc, s4, v3
	s_mov_b64 s[4:5], 0
                                        ; implicit-def: $sgpr10
	s_and_saveexec_b64 s[6:7], vcc
	s_xor_b64 s[6:7], exec, s[6:7]
	s_cbranch_execnz .LBB19_3281
; %bb.1233:
	s_or_saveexec_b64 s[6:7], s[6:7]
	v_mov_b32_e32 v2, s10
	s_xor_b64 exec, exec, s[6:7]
	s_cbranch_execnz .LBB19_3284
.LBB19_1234:
	s_or_b64 exec, exec, s[6:7]
	s_and_saveexec_b64 s[6:7], s[4:5]
	s_cbranch_execz .LBB19_1236
.LBB19_1235:
	v_bfe_u32 v2, v8, 16, 3
	v_ffbh_u32_e32 v7, v2
	v_min_u32_e32 v7, 32, v7
	v_lshrrev_b32_e32 v3, 19, v8
	v_subrev_u32_e32 v10, 28, v7
	v_and_b32_e32 v3, 15, v3
	v_lshlrev_b32_sdwa v10, v10, v8 dst_sel:DWORD dst_unused:UNUSED_PAD src0_sel:DWORD src1_sel:WORD_1
	v_bfe_u32 v6, v8, 19, 4
	v_sub_u32_e32 v7, 29, v7
	v_and_b32_e32 v10, 7, v10
	v_cmp_eq_u16_e32 vcc, 0, v3
	v_cndmask_b32_e32 v2, v2, v10, vcc
	v_cndmask_b32_e32 v3, v6, v7, vcc
	v_lshlrev_b32_e32 v6, 8, v8
	v_mov_b32_e32 v7, 0x3b800000
	v_lshlrev_b32_e32 v2, 20, v2
	v_and_b32_e32 v6, 0x80000000, v6
	v_lshl_add_u32 v3, v3, 23, v7
	v_or3_b32 v2, v6, v3, v2
.LBB19_1236:
	s_or_b64 exec, exec, s[6:7]
	s_movk_i32 s4, 0xff
	v_and_b32_sdwa v3, v4, s4 dst_sel:DWORD dst_unused:UNUSED_PAD src0_sel:WORD_1 src1_sel:DWORD
	s_movk_i32 s4, 0x7f
	v_cmp_lt_i16_e32 vcc, s4, v3
	s_mov_b64 s[4:5], 0
                                        ; implicit-def: $sgpr10
	s_and_saveexec_b64 s[6:7], vcc
	s_xor_b64 s[6:7], exec, s[6:7]
	s_cbranch_execnz .LBB19_3285
; %bb.1237:
	s_or_saveexec_b64 s[6:7], s[6:7]
	v_mov_b32_e32 v6, s10
	s_xor_b64 exec, exec, s[6:7]
	s_cbranch_execnz .LBB19_3288
.LBB19_1238:
	s_or_b64 exec, exec, s[6:7]
	s_and_saveexec_b64 s[6:7], s[4:5]
	s_cbranch_execz .LBB19_1240
.LBB19_1239:
	v_bfe_u32 v3, v4, 16, 3
	v_ffbh_u32_e32 v10, v3
	v_min_u32_e32 v10, 32, v10
	v_lshrrev_b32_e32 v6, 19, v4
	v_subrev_u32_e32 v11, 28, v10
	v_and_b32_e32 v6, 15, v6
	v_lshlrev_b32_sdwa v11, v11, v4 dst_sel:DWORD dst_unused:UNUSED_PAD src0_sel:DWORD src1_sel:WORD_1
	v_bfe_u32 v7, v4, 19, 4
	v_sub_u32_e32 v10, 29, v10
	v_and_b32_e32 v11, 7, v11
	v_cmp_eq_u16_e32 vcc, 0, v6
	v_cndmask_b32_e32 v3, v3, v11, vcc
	v_cndmask_b32_e32 v6, v7, v10, vcc
	v_lshlrev_b32_e32 v7, 8, v4
	v_mov_b32_e32 v10, 0x3b800000
	v_lshlrev_b32_e32 v3, 20, v3
	v_and_b32_e32 v7, 0x80000000, v7
	v_lshl_add_u32 v6, v6, 23, v10
	v_or3_b32 v6, v7, v6, v3
.LBB19_1240:
	s_or_b64 exec, exec, s[6:7]
	s_nop 0
	v_mfma_f32_16x16x4f32 a[0:3], v2, v6, a[0:3]
	s_movk_i32 s4, 0x7f
	v_cmp_gt_i16_sdwa s[6:7], v8, s4 src0_sel:BYTE_3 src1_sel:DWORD
	s_mov_b64 s[4:5], 0
                                        ; implicit-def: $sgpr10
	s_and_saveexec_b64 s[8:9], s[6:7]
	s_xor_b64 s[6:7], exec, s[8:9]
	s_cbranch_execnz .LBB19_3289
; %bb.1241:
	s_or_saveexec_b64 s[6:7], s[6:7]
	v_mov_b32_e32 v2, s10
	s_xor_b64 exec, exec, s[6:7]
	s_cbranch_execnz .LBB19_3292
.LBB19_1242:
	s_or_b64 exec, exec, s[6:7]
	s_and_saveexec_b64 s[6:7], s[4:5]
	s_cbranch_execz .LBB19_1244
.LBB19_1243:
	v_bfe_u32 v2, v8, 24, 3
	v_ffbh_u32_e32 v10, v2
	v_min_u32_e32 v10, 32, v10
	v_lshrrev_b32_e32 v6, 27, v8
	v_subrev_u32_e32 v11, 28, v10
	v_and_b32_e32 v3, 0x80000000, v8
	v_and_b32_e32 v6, 15, v6
	v_bfe_u32 v7, v8, 27, 4
	v_lshlrev_b32_sdwa v8, v11, v8 dst_sel:DWORD dst_unused:UNUSED_PAD src0_sel:DWORD src1_sel:BYTE_3
	v_sub_u32_e32 v10, 29, v10
	v_and_b32_e32 v8, 7, v8
	v_cmp_eq_u16_e32 vcc, 0, v6
	v_cndmask_b32_e32 v2, v2, v8, vcc
	v_cndmask_b32_e32 v6, v7, v10, vcc
	v_mov_b32_e32 v7, 0x3b800000
	v_lshlrev_b32_e32 v2, 20, v2
	v_lshl_add_u32 v6, v6, 23, v7
	v_or3_b32 v2, v3, v6, v2
.LBB19_1244:
	s_or_b64 exec, exec, s[6:7]
	s_movk_i32 s4, 0x7f
	v_cmp_gt_i16_sdwa s[6:7], v4, s4 src0_sel:BYTE_3 src1_sel:DWORD
	s_mov_b64 s[4:5], 0
                                        ; implicit-def: $sgpr10
	s_and_saveexec_b64 s[8:9], s[6:7]
	s_xor_b64 s[6:7], exec, s[8:9]
	s_cbranch_execnz .LBB19_3293
; %bb.1245:
	s_or_saveexec_b64 s[6:7], s[6:7]
	v_mov_b32_e32 v3, s10
	s_xor_b64 exec, exec, s[6:7]
	s_cbranch_execnz .LBB19_3296
.LBB19_1246:
	s_or_b64 exec, exec, s[6:7]
	s_and_saveexec_b64 s[6:7], s[4:5]
	s_cbranch_execz .LBB19_1248
.LBB19_1247:
	v_bfe_u32 v3, v4, 24, 3
	v_ffbh_u32_e32 v10, v3
	v_min_u32_e32 v10, 32, v10
	v_lshrrev_b32_e32 v7, 27, v4
	v_subrev_u32_e32 v11, 28, v10
	v_and_b32_e32 v6, 0x80000000, v4
	v_and_b32_e32 v7, 15, v7
	v_bfe_u32 v8, v4, 27, 4
	v_lshlrev_b32_sdwa v4, v11, v4 dst_sel:DWORD dst_unused:UNUSED_PAD src0_sel:DWORD src1_sel:BYTE_3
	v_sub_u32_e32 v10, 29, v10
	v_and_b32_e32 v4, 7, v4
	v_cmp_eq_u16_e32 vcc, 0, v7
	v_cndmask_b32_e32 v3, v3, v4, vcc
	v_cndmask_b32_e32 v4, v8, v10, vcc
	v_mov_b32_e32 v7, 0x3b800000
	v_lshlrev_b32_e32 v3, 20, v3
	v_lshl_add_u32 v4, v4, 23, v7
	v_or3_b32 v3, v6, v4, v3
.LBB19_1248:
	s_or_b64 exec, exec, s[6:7]
	s_nop 0
	v_mfma_f32_16x16x4f32 a[0:3], v2, v3, a[0:3]
	s_movk_i32 s4, 0x7f
	v_cmp_gt_i16_sdwa s[6:7], v9, s4 src0_sel:BYTE_0 src1_sel:DWORD
	s_mov_b64 s[4:5], 0
                                        ; implicit-def: $sgpr10
	s_and_saveexec_b64 s[8:9], s[6:7]
	s_xor_b64 s[6:7], exec, s[8:9]
	s_cbranch_execnz .LBB19_3297
; %bb.1249:
	s_or_saveexec_b64 s[6:7], s[6:7]
	v_mov_b32_e32 v2, s10
	s_xor_b64 exec, exec, s[6:7]
	s_cbranch_execnz .LBB19_3300
.LBB19_1250:
	s_or_b64 exec, exec, s[6:7]
	s_and_saveexec_b64 s[6:7], s[4:5]
	s_cbranch_execz .LBB19_1252
.LBB19_1251:
	v_mov_b32_e32 v2, 8
	v_and_b32_e32 v3, 7, v9
	v_lshrrev_b32_sdwa v2, v2, v9 dst_sel:BYTE_1 dst_unused:UNUSED_PAD src0_sel:DWORD src1_sel:DWORD
	v_ffbh_u32_e32 v4, v3
	v_or_b32_sdwa v2, v9, v2 dst_sel:DWORD dst_unused:UNUSED_PAD src0_sel:BYTE_0 src1_sel:DWORD
	v_min_u32_e32 v4, 32, v4
	v_lshrrev_b16_e32 v2, 3, v2
	v_subrev_u32_e32 v6, 28, v4
	v_and_b32_e32 v2, 15, v2
	v_lshlrev_b32_e32 v6, v6, v9
	v_sub_u32_e32 v4, 29, v4
	v_and_b32_e32 v6, 7, v6
	v_cmp_eq_u16_e32 vcc, 0, v2
	v_cndmask_b32_e32 v3, v3, v6, vcc
	v_cndmask_b32_e32 v2, v2, v4, vcc
	v_lshlrev_b32_e32 v4, 24, v9
	v_mov_b32_e32 v6, 0x3b800000
	v_lshlrev_b32_e32 v3, 20, v3
	v_and_b32_e32 v4, 0x80000000, v4
	v_lshl_add_u32 v2, v2, 23, v6
	v_or3_b32 v2, v4, v2, v3
.LBB19_1252:
	s_or_b64 exec, exec, s[6:7]
	s_movk_i32 s4, 0x7f
	v_cmp_gt_i16_sdwa s[6:7], v5, s4 src0_sel:BYTE_0 src1_sel:DWORD
	s_mov_b64 s[4:5], 0
                                        ; implicit-def: $sgpr10
	s_and_saveexec_b64 s[8:9], s[6:7]
	s_xor_b64 s[6:7], exec, s[8:9]
	s_cbranch_execnz .LBB19_3301
; %bb.1253:
	s_or_saveexec_b64 s[6:7], s[6:7]
	v_mov_b32_e32 v3, s10
	s_xor_b64 exec, exec, s[6:7]
	s_cbranch_execnz .LBB19_3304
.LBB19_1254:
	s_or_b64 exec, exec, s[6:7]
	s_and_saveexec_b64 s[6:7], s[4:5]
	s_cbranch_execz .LBB19_1256
.LBB19_1255:
	v_mov_b32_e32 v3, 8
	v_and_b32_e32 v4, 7, v5
	v_lshrrev_b32_sdwa v3, v3, v5 dst_sel:BYTE_1 dst_unused:UNUSED_PAD src0_sel:DWORD src1_sel:DWORD
	v_ffbh_u32_e32 v6, v4
	v_or_b32_sdwa v3, v5, v3 dst_sel:DWORD dst_unused:UNUSED_PAD src0_sel:BYTE_0 src1_sel:DWORD
	v_min_u32_e32 v6, 32, v6
	v_lshrrev_b16_e32 v3, 3, v3
	v_subrev_u32_e32 v7, 28, v6
	v_and_b32_e32 v3, 15, v3
	v_lshlrev_b32_e32 v7, v7, v5
	v_sub_u32_e32 v6, 29, v6
	v_and_b32_e32 v7, 7, v7
	v_cmp_eq_u16_e32 vcc, 0, v3
	v_cndmask_b32_e32 v4, v4, v7, vcc
	v_cndmask_b32_e32 v3, v3, v6, vcc
	v_lshlrev_b32_e32 v6, 24, v5
	v_mov_b32_e32 v7, 0x3b800000
	v_lshlrev_b32_e32 v4, 20, v4
	v_and_b32_e32 v6, 0x80000000, v6
	v_lshl_add_u32 v3, v3, 23, v7
	v_or3_b32 v3, v6, v3, v4
.LBB19_1256:
	s_or_b64 exec, exec, s[6:7]
	s_nop 0
	v_mfma_f32_16x16x4f32 a[0:3], v2, v3, a[0:3]
	v_lshrrev_b32_e32 v3, 8, v9
	s_movk_i32 s4, 0x7f
	v_cmp_gt_i16_sdwa s[6:7], v3, s4 src0_sel:BYTE_0 src1_sel:DWORD
	s_mov_b64 s[4:5], 0
                                        ; implicit-def: $sgpr10
	s_and_saveexec_b64 s[8:9], s[6:7]
	s_xor_b64 s[6:7], exec, s[8:9]
	s_cbranch_execnz .LBB19_3305
; %bb.1257:
	s_or_saveexec_b64 s[6:7], s[6:7]
	v_mov_b32_e32 v2, s10
	s_xor_b64 exec, exec, s[6:7]
	s_cbranch_execnz .LBB19_3308
.LBB19_1258:
	s_or_b64 exec, exec, s[6:7]
	s_and_saveexec_b64 s[6:7], s[4:5]
	s_cbranch_execz .LBB19_1260
.LBB19_1259:
	v_bfe_u32 v2, v9, 8, 3
	v_ffbh_u32_e32 v6, v2
	v_min_u32_e32 v6, 32, v6
	v_lshrrev_b16_e32 v4, 3, v3
	v_subrev_u32_e32 v7, 28, v6
	v_and_b32_e32 v4, 15, v4
	v_lshlrev_b32_e32 v3, v7, v3
	v_sub_u32_e32 v6, 29, v6
	v_and_b32_e32 v3, 7, v3
	v_cmp_eq_u16_e32 vcc, 0, v4
	v_cndmask_b32_e32 v2, v2, v3, vcc
	v_cndmask_b32_e32 v3, v4, v6, vcc
	v_lshlrev_b32_e32 v4, 16, v9
	v_mov_b32_e32 v6, 0x3b800000
	v_lshlrev_b32_e32 v2, 20, v2
	v_and_b32_e32 v4, 0x80000000, v4
	v_lshl_add_u32 v3, v3, 23, v6
	v_or3_b32 v2, v4, v3, v2
.LBB19_1260:
	s_or_b64 exec, exec, s[6:7]
	v_lshrrev_b32_e32 v3, 8, v5
	s_movk_i32 s4, 0x7f
	v_cmp_gt_i16_sdwa s[6:7], v3, s4 src0_sel:BYTE_0 src1_sel:DWORD
	s_mov_b64 s[4:5], 0
                                        ; implicit-def: $sgpr10
	s_and_saveexec_b64 s[8:9], s[6:7]
	s_xor_b64 s[6:7], exec, s[8:9]
	s_cbranch_execnz .LBB19_3309
; %bb.1261:
	s_or_saveexec_b64 s[6:7], s[6:7]
	v_mov_b32_e32 v4, s10
	s_xor_b64 exec, exec, s[6:7]
	s_cbranch_execnz .LBB19_3312
.LBB19_1262:
	s_or_b64 exec, exec, s[6:7]
	s_and_saveexec_b64 s[6:7], s[4:5]
	s_cbranch_execz .LBB19_1264
.LBB19_1263:
	v_bfe_u32 v4, v5, 8, 3
	v_ffbh_u32_e32 v7, v4
	v_min_u32_e32 v7, 32, v7
	v_lshrrev_b16_e32 v6, 3, v3
	v_subrev_u32_e32 v8, 28, v7
	v_and_b32_e32 v6, 15, v6
	v_lshlrev_b32_e32 v3, v8, v3
	v_sub_u32_e32 v7, 29, v7
	v_and_b32_e32 v3, 7, v3
	v_cmp_eq_u16_e32 vcc, 0, v6
	v_cndmask_b32_e32 v3, v4, v3, vcc
	v_cndmask_b32_e32 v4, v6, v7, vcc
	v_lshlrev_b32_e32 v6, 16, v5
	v_mov_b32_e32 v7, 0x3b800000
	v_lshlrev_b32_e32 v3, 20, v3
	v_and_b32_e32 v6, 0x80000000, v6
	v_lshl_add_u32 v4, v4, 23, v7
	v_or3_b32 v4, v6, v4, v3
.LBB19_1264:
	s_or_b64 exec, exec, s[6:7]
	s_nop 0
	v_mfma_f32_16x16x4f32 a[0:3], v2, v4, a[0:3]
	s_movk_i32 s4, 0xff
	v_and_b32_sdwa v3, v9, s4 dst_sel:DWORD dst_unused:UNUSED_PAD src0_sel:WORD_1 src1_sel:DWORD
	s_movk_i32 s4, 0x7f
	v_cmp_lt_i16_e32 vcc, s4, v3
	s_mov_b64 s[4:5], 0
                                        ; implicit-def: $sgpr10
	s_and_saveexec_b64 s[6:7], vcc
	s_xor_b64 s[6:7], exec, s[6:7]
	s_cbranch_execnz .LBB19_3313
; %bb.1265:
	s_or_saveexec_b64 s[6:7], s[6:7]
	v_mov_b32_e32 v2, s10
	s_xor_b64 exec, exec, s[6:7]
	s_cbranch_execnz .LBB19_3316
.LBB19_1266:
	s_or_b64 exec, exec, s[6:7]
	s_and_saveexec_b64 s[6:7], s[4:5]
	s_cbranch_execz .LBB19_1268
.LBB19_1267:
	v_bfe_u32 v2, v9, 16, 3
	v_ffbh_u32_e32 v6, v2
	v_min_u32_e32 v6, 32, v6
	v_lshrrev_b32_e32 v3, 19, v9
	v_subrev_u32_e32 v7, 28, v6
	v_and_b32_e32 v3, 15, v3
	v_lshlrev_b32_sdwa v7, v7, v9 dst_sel:DWORD dst_unused:UNUSED_PAD src0_sel:DWORD src1_sel:WORD_1
	v_bfe_u32 v4, v9, 19, 4
	v_sub_u32_e32 v6, 29, v6
	v_and_b32_e32 v7, 7, v7
	v_cmp_eq_u16_e32 vcc, 0, v3
	v_cndmask_b32_e32 v2, v2, v7, vcc
	v_cndmask_b32_e32 v3, v4, v6, vcc
	v_lshlrev_b32_e32 v4, 8, v9
	v_mov_b32_e32 v6, 0x3b800000
	v_lshlrev_b32_e32 v2, 20, v2
	v_and_b32_e32 v4, 0x80000000, v4
	v_lshl_add_u32 v3, v3, 23, v6
	v_or3_b32 v2, v4, v3, v2
.LBB19_1268:
	s_or_b64 exec, exec, s[6:7]
	s_movk_i32 s4, 0xff
	v_and_b32_sdwa v3, v5, s4 dst_sel:DWORD dst_unused:UNUSED_PAD src0_sel:WORD_1 src1_sel:DWORD
	s_movk_i32 s4, 0x7f
	v_cmp_lt_i16_e32 vcc, s4, v3
	s_mov_b64 s[4:5], 0
                                        ; implicit-def: $sgpr10
	s_and_saveexec_b64 s[6:7], vcc
	s_xor_b64 s[6:7], exec, s[6:7]
	s_cbranch_execnz .LBB19_3317
; %bb.1269:
	s_or_saveexec_b64 s[6:7], s[6:7]
	v_mov_b32_e32 v4, s10
	s_xor_b64 exec, exec, s[6:7]
	s_cbranch_execnz .LBB19_3320
.LBB19_1270:
	s_or_b64 exec, exec, s[6:7]
	s_and_saveexec_b64 s[6:7], s[4:5]
	s_cbranch_execz .LBB19_1272
.LBB19_1271:
	v_bfe_u32 v3, v5, 16, 3
	v_ffbh_u32_e32 v7, v3
	v_min_u32_e32 v7, 32, v7
	v_lshrrev_b32_e32 v4, 19, v5
	v_subrev_u32_e32 v8, 28, v7
	v_and_b32_e32 v4, 15, v4
	v_lshlrev_b32_sdwa v8, v8, v5 dst_sel:DWORD dst_unused:UNUSED_PAD src0_sel:DWORD src1_sel:WORD_1
	v_bfe_u32 v6, v5, 19, 4
	v_sub_u32_e32 v7, 29, v7
	v_and_b32_e32 v8, 7, v8
	v_cmp_eq_u16_e32 vcc, 0, v4
	v_cndmask_b32_e32 v3, v3, v8, vcc
	v_cndmask_b32_e32 v4, v6, v7, vcc
	v_lshlrev_b32_e32 v6, 8, v5
	v_mov_b32_e32 v7, 0x3b800000
	v_lshlrev_b32_e32 v3, 20, v3
	v_and_b32_e32 v6, 0x80000000, v6
	v_lshl_add_u32 v4, v4, 23, v7
	v_or3_b32 v4, v6, v4, v3
.LBB19_1272:
	s_or_b64 exec, exec, s[6:7]
	s_nop 0
	v_mfma_f32_16x16x4f32 a[0:3], v2, v4, a[0:3]
	s_movk_i32 s4, 0x7f
	v_cmp_gt_i16_sdwa s[6:7], v9, s4 src0_sel:BYTE_3 src1_sel:DWORD
	s_mov_b64 s[4:5], 0
                                        ; implicit-def: $sgpr10
	s_and_saveexec_b64 s[8:9], s[6:7]
	s_xor_b64 s[6:7], exec, s[8:9]
	s_cbranch_execnz .LBB19_3321
; %bb.1273:
	s_or_saveexec_b64 s[6:7], s[6:7]
	v_mov_b32_e32 v2, s10
	s_xor_b64 exec, exec, s[6:7]
	s_cbranch_execnz .LBB19_3324
.LBB19_1274:
	s_or_b64 exec, exec, s[6:7]
	s_and_saveexec_b64 s[6:7], s[4:5]
	s_cbranch_execz .LBB19_1276
.LBB19_1275:
	v_bfe_u32 v2, v9, 24, 3
	v_ffbh_u32_e32 v7, v2
	v_min_u32_e32 v7, 32, v7
	v_lshrrev_b32_e32 v4, 27, v9
	v_subrev_u32_e32 v8, 28, v7
	v_and_b32_e32 v4, 15, v4
	v_lshlrev_b32_sdwa v8, v8, v9 dst_sel:DWORD dst_unused:UNUSED_PAD src0_sel:DWORD src1_sel:BYTE_3
	v_bfe_u32 v6, v9, 27, 4
	v_sub_u32_e32 v7, 29, v7
	v_and_b32_e32 v8, 7, v8
	v_cmp_eq_u16_e32 vcc, 0, v4
	v_cndmask_b32_e32 v2, v2, v8, vcc
	v_cndmask_b32_e32 v4, v6, v7, vcc
	v_mov_b32_e32 v6, 0x3b800000
	v_and_b32_e32 v3, 0x80000000, v9
	v_lshlrev_b32_e32 v2, 20, v2
	v_lshl_add_u32 v4, v4, 23, v6
	v_or3_b32 v2, v3, v4, v2
.LBB19_1276:
	s_or_b64 exec, exec, s[6:7]
	s_movk_i32 s4, 0x7f
	v_cmp_gt_i16_sdwa s[6:7], v5, s4 src0_sel:BYTE_3 src1_sel:DWORD
	s_mov_b64 s[4:5], 0
                                        ; implicit-def: $sgpr10
	s_and_saveexec_b64 s[8:9], s[6:7]
	s_xor_b64 s[6:7], exec, s[8:9]
	s_cbranch_execnz .LBB19_3325
; %bb.1277:
	s_or_saveexec_b64 s[6:7], s[6:7]
	v_mov_b32_e32 v3, s10
	s_xor_b64 exec, exec, s[6:7]
	s_cbranch_execnz .LBB19_3328
.LBB19_1278:
	s_or_b64 exec, exec, s[6:7]
	s_and_saveexec_b64 s[6:7], s[4:5]
	s_cbranch_execz .LBB19_1280
.LBB19_1279:
	v_bfe_u32 v3, v5, 24, 3
	v_ffbh_u32_e32 v8, v3
	v_min_u32_e32 v8, 32, v8
	v_lshrrev_b32_e32 v6, 27, v5
	v_subrev_u32_e32 v9, 28, v8
	v_and_b32_e32 v4, 0x80000000, v5
	v_and_b32_e32 v6, 15, v6
	v_bfe_u32 v7, v5, 27, 4
	v_lshlrev_b32_sdwa v5, v9, v5 dst_sel:DWORD dst_unused:UNUSED_PAD src0_sel:DWORD src1_sel:BYTE_3
	v_sub_u32_e32 v8, 29, v8
	v_and_b32_e32 v5, 7, v5
	v_cmp_eq_u16_e32 vcc, 0, v6
	v_cndmask_b32_e32 v3, v3, v5, vcc
	v_cndmask_b32_e32 v5, v7, v8, vcc
	v_mov_b32_e32 v6, 0x3b800000
	v_lshlrev_b32_e32 v3, 20, v3
	v_lshl_add_u32 v5, v5, 23, v6
	v_or3_b32 v3, v4, v5, v3
.LBB19_1280:
	s_or_b64 exec, exec, s[6:7]
	s_nop 0
	v_mfma_f32_16x16x4f32 a[0:3], v2, v3, a[0:3]
	s_movk_i32 s4, 0x7f
                                        ; implicit-def: $sgpr10
	s_nop 7
	s_nop 1
	flat_store_dwordx4 v[18:19], a[0:3] offset:192
	flat_load_dwordx4 v[20:23], v[0:1] offset:8
	s_nop 0
	flat_load_dwordx2 v[18:19], v[0:1] offset:24
	s_waitcnt vmcnt(0) lgkmcnt(0)
	flat_load_dwordx4 v[14:17], v[20:21] offset:32
	flat_load_dwordx4 v[6:9], v[20:21] offset:48
	;; [unrolled: 1-line block ×4, first 2 shown]
	s_waitcnt vmcnt(0) lgkmcnt(0)
	v_cmp_gt_i16_sdwa s[6:7], v14, s4 src0_sel:BYTE_0 src1_sel:DWORD
	s_mov_b64 s[4:5], 0
	s_and_saveexec_b64 s[8:9], s[6:7]
	s_xor_b64 s[6:7], exec, s[8:9]
	s_cbranch_execnz .LBB19_3329
; %bb.1281:
	s_or_saveexec_b64 s[6:7], s[6:7]
	v_mov_b32_e32 v20, s10
	s_xor_b64 exec, exec, s[6:7]
	s_cbranch_execnz .LBB19_3332
.LBB19_1282:
	s_or_b64 exec, exec, s[6:7]
	s_and_saveexec_b64 s[6:7], s[4:5]
	s_cbranch_execz .LBB19_1284
.LBB19_1283:
	v_and_b32_e32 v20, 7, v14
	v_ffbh_u32_e32 v22, v20
	v_min_u32_e32 v22, 32, v22
	v_lshrrev_b16_e32 v21, 3, v14
	v_subrev_u32_e32 v23, 28, v22
	v_and_b32_e32 v21, 15, v21
	v_lshlrev_b32_e32 v23, v23, v14
	v_sub_u32_e32 v22, 29, v22
	v_and_b32_e32 v23, 7, v23
	v_cmp_eq_u16_e32 vcc, 0, v21
	v_cndmask_b32_e32 v20, v20, v23, vcc
	v_cndmask_b32_e32 v21, v21, v22, vcc
	v_lshlrev_b32_e32 v22, 24, v14
	v_mov_b32_e32 v23, 0x3b800000
	v_lshlrev_b32_e32 v20, 20, v20
	v_and_b32_e32 v22, 0x80000000, v22
	v_lshl_add_u32 v21, v21, 23, v23
	v_or3_b32 v20, v22, v21, v20
.LBB19_1284:
	s_or_b64 exec, exec, s[6:7]
	s_movk_i32 s4, 0x7f
	v_cmp_gt_i16_sdwa s[6:7], v10, s4 src0_sel:BYTE_0 src1_sel:DWORD
	s_mov_b64 s[4:5], 0
                                        ; implicit-def: $sgpr10
	s_and_saveexec_b64 s[8:9], s[6:7]
	s_xor_b64 s[6:7], exec, s[8:9]
	s_cbranch_execnz .LBB19_3333
; %bb.1285:
	s_or_saveexec_b64 s[6:7], s[6:7]
	v_mov_b32_e32 v21, s10
	s_xor_b64 exec, exec, s[6:7]
	s_cbranch_execnz .LBB19_3336
.LBB19_1286:
	s_or_b64 exec, exec, s[6:7]
	s_and_saveexec_b64 s[6:7], s[4:5]
	s_cbranch_execz .LBB19_1288
.LBB19_1287:
	v_and_b32_e32 v21, 7, v10
	v_ffbh_u32_e32 v23, v21
	v_min_u32_e32 v23, 32, v23
	v_lshrrev_b16_e32 v22, 3, v10
	v_subrev_u32_e32 v24, 28, v23
	v_and_b32_e32 v22, 15, v22
	v_lshlrev_b32_e32 v24, v24, v10
	v_sub_u32_e32 v23, 29, v23
	v_and_b32_e32 v24, 7, v24
	v_cmp_eq_u16_e32 vcc, 0, v22
	v_cndmask_b32_e32 v21, v21, v24, vcc
	v_cndmask_b32_e32 v22, v22, v23, vcc
	v_lshlrev_b32_e32 v23, 24, v10
	v_mov_b32_e32 v24, 0x3b800000
	v_lshlrev_b32_e32 v21, 20, v21
	v_and_b32_e32 v23, 0x80000000, v23
	v_lshl_add_u32 v22, v22, 23, v24
	v_or3_b32 v21, v23, v22, v21
.LBB19_1288:
	s_or_b64 exec, exec, s[6:7]
	flat_load_dwordx4 a[0:3], v[18:19] offset:208
	s_movk_i32 s4, 0x7f
                                        ; implicit-def: $sgpr10
	s_waitcnt vmcnt(0) lgkmcnt(0)
	v_mfma_f32_16x16x4f32 a[0:3], v20, v21, a[0:3]
	v_lshrrev_b32_e32 v21, 8, v14
	v_cmp_gt_i16_sdwa s[6:7], v21, s4 src0_sel:BYTE_0 src1_sel:DWORD
	s_mov_b64 s[4:5], 0
	s_and_saveexec_b64 s[8:9], s[6:7]
	s_xor_b64 s[6:7], exec, s[8:9]
	s_cbranch_execnz .LBB19_3337
; %bb.1289:
	s_or_saveexec_b64 s[6:7], s[6:7]
	v_mov_b32_e32 v20, s10
	s_xor_b64 exec, exec, s[6:7]
	s_cbranch_execnz .LBB19_3340
.LBB19_1290:
	s_or_b64 exec, exec, s[6:7]
	s_and_saveexec_b64 s[6:7], s[4:5]
	s_cbranch_execz .LBB19_1292
.LBB19_1291:
	v_bfe_u32 v20, v14, 8, 3
	v_ffbh_u32_e32 v23, v20
	v_min_u32_e32 v23, 32, v23
	v_lshrrev_b16_e32 v22, 3, v21
	v_subrev_u32_e32 v24, 28, v23
	v_and_b32_e32 v22, 15, v22
	v_lshlrev_b32_e32 v21, v24, v21
	v_sub_u32_e32 v23, 29, v23
	v_and_b32_e32 v21, 7, v21
	v_cmp_eq_u16_e32 vcc, 0, v22
	v_cndmask_b32_e32 v20, v20, v21, vcc
	v_cndmask_b32_e32 v21, v22, v23, vcc
	v_lshlrev_b32_e32 v22, 16, v14
	v_mov_b32_e32 v23, 0x3b800000
	v_lshlrev_b32_e32 v20, 20, v20
	v_and_b32_e32 v22, 0x80000000, v22
	v_lshl_add_u32 v21, v21, 23, v23
	v_or3_b32 v20, v22, v21, v20
.LBB19_1292:
	s_or_b64 exec, exec, s[6:7]
	v_lshrrev_b32_e32 v21, 8, v10
	s_movk_i32 s4, 0x7f
	v_cmp_gt_i16_sdwa s[6:7], v21, s4 src0_sel:BYTE_0 src1_sel:DWORD
	s_mov_b64 s[4:5], 0
                                        ; implicit-def: $sgpr10
	s_and_saveexec_b64 s[8:9], s[6:7]
	s_xor_b64 s[6:7], exec, s[8:9]
	s_cbranch_execnz .LBB19_3341
; %bb.1293:
	s_or_saveexec_b64 s[6:7], s[6:7]
	v_mov_b32_e32 v22, s10
	s_xor_b64 exec, exec, s[6:7]
	s_cbranch_execnz .LBB19_3344
.LBB19_1294:
	s_or_b64 exec, exec, s[6:7]
	s_and_saveexec_b64 s[6:7], s[4:5]
	s_cbranch_execz .LBB19_1296
.LBB19_1295:
	v_bfe_u32 v22, v10, 8, 3
	v_ffbh_u32_e32 v24, v22
	v_min_u32_e32 v24, 32, v24
	v_lshrrev_b16_e32 v23, 3, v21
	v_subrev_u32_e32 v25, 28, v24
	v_and_b32_e32 v23, 15, v23
	v_lshlrev_b32_e32 v21, v25, v21
	v_sub_u32_e32 v24, 29, v24
	v_and_b32_e32 v21, 7, v21
	v_cmp_eq_u16_e32 vcc, 0, v23
	v_cndmask_b32_e32 v21, v22, v21, vcc
	v_cndmask_b32_e32 v22, v23, v24, vcc
	v_lshlrev_b32_e32 v23, 16, v10
	v_mov_b32_e32 v24, 0x3b800000
	v_lshlrev_b32_e32 v21, 20, v21
	v_and_b32_e32 v23, 0x80000000, v23
	v_lshl_add_u32 v22, v22, 23, v24
	v_or3_b32 v22, v23, v22, v21
.LBB19_1296:
	s_or_b64 exec, exec, s[6:7]
	s_nop 0
	v_mfma_f32_16x16x4f32 a[0:3], v20, v22, a[0:3]
	s_movk_i32 s4, 0xff
	v_and_b32_sdwa v21, v14, s4 dst_sel:DWORD dst_unused:UNUSED_PAD src0_sel:WORD_1 src1_sel:DWORD
	s_movk_i32 s4, 0x7f
	v_cmp_lt_i16_e32 vcc, s4, v21
	s_mov_b64 s[4:5], 0
                                        ; implicit-def: $sgpr10
	s_and_saveexec_b64 s[6:7], vcc
	s_xor_b64 s[6:7], exec, s[6:7]
	s_cbranch_execnz .LBB19_3345
; %bb.1297:
	s_or_saveexec_b64 s[6:7], s[6:7]
	v_mov_b32_e32 v20, s10
	s_xor_b64 exec, exec, s[6:7]
	s_cbranch_execnz .LBB19_3348
.LBB19_1298:
	s_or_b64 exec, exec, s[6:7]
	s_and_saveexec_b64 s[6:7], s[4:5]
	s_cbranch_execz .LBB19_1300
.LBB19_1299:
	v_bfe_u32 v20, v14, 16, 3
	v_ffbh_u32_e32 v23, v20
	v_min_u32_e32 v23, 32, v23
	v_lshrrev_b32_e32 v21, 19, v14
	v_subrev_u32_e32 v24, 28, v23
	v_and_b32_e32 v21, 15, v21
	v_lshlrev_b32_sdwa v24, v24, v14 dst_sel:DWORD dst_unused:UNUSED_PAD src0_sel:DWORD src1_sel:WORD_1
	v_bfe_u32 v22, v14, 19, 4
	v_sub_u32_e32 v23, 29, v23
	v_and_b32_e32 v24, 7, v24
	v_cmp_eq_u16_e32 vcc, 0, v21
	v_cndmask_b32_e32 v20, v20, v24, vcc
	v_cndmask_b32_e32 v21, v22, v23, vcc
	v_lshlrev_b32_e32 v22, 8, v14
	v_mov_b32_e32 v23, 0x3b800000
	v_lshlrev_b32_e32 v20, 20, v20
	v_and_b32_e32 v22, 0x80000000, v22
	v_lshl_add_u32 v21, v21, 23, v23
	v_or3_b32 v20, v22, v21, v20
.LBB19_1300:
	s_or_b64 exec, exec, s[6:7]
	s_movk_i32 s4, 0xff
	v_and_b32_sdwa v21, v10, s4 dst_sel:DWORD dst_unused:UNUSED_PAD src0_sel:WORD_1 src1_sel:DWORD
	s_movk_i32 s4, 0x7f
	v_cmp_lt_i16_e32 vcc, s4, v21
	s_mov_b64 s[4:5], 0
                                        ; implicit-def: $sgpr10
	s_and_saveexec_b64 s[6:7], vcc
	s_xor_b64 s[6:7], exec, s[6:7]
	s_cbranch_execnz .LBB19_3349
; %bb.1301:
	s_or_saveexec_b64 s[6:7], s[6:7]
	v_mov_b32_e32 v22, s10
	s_xor_b64 exec, exec, s[6:7]
	s_cbranch_execnz .LBB19_3352
.LBB19_1302:
	s_or_b64 exec, exec, s[6:7]
	s_and_saveexec_b64 s[6:7], s[4:5]
	s_cbranch_execz .LBB19_1304
.LBB19_1303:
	v_bfe_u32 v21, v10, 16, 3
	v_ffbh_u32_e32 v24, v21
	v_min_u32_e32 v24, 32, v24
	v_lshrrev_b32_e32 v22, 19, v10
	v_subrev_u32_e32 v25, 28, v24
	v_and_b32_e32 v22, 15, v22
	v_lshlrev_b32_sdwa v25, v25, v10 dst_sel:DWORD dst_unused:UNUSED_PAD src0_sel:DWORD src1_sel:WORD_1
	v_bfe_u32 v23, v10, 19, 4
	v_sub_u32_e32 v24, 29, v24
	v_and_b32_e32 v25, 7, v25
	v_cmp_eq_u16_e32 vcc, 0, v22
	v_cndmask_b32_e32 v21, v21, v25, vcc
	v_cndmask_b32_e32 v22, v23, v24, vcc
	v_lshlrev_b32_e32 v23, 8, v10
	v_mov_b32_e32 v24, 0x3b800000
	v_lshlrev_b32_e32 v21, 20, v21
	v_and_b32_e32 v23, 0x80000000, v23
	v_lshl_add_u32 v22, v22, 23, v24
	v_or3_b32 v22, v23, v22, v21
.LBB19_1304:
	s_or_b64 exec, exec, s[6:7]
	s_nop 0
	v_mfma_f32_16x16x4f32 a[0:3], v20, v22, a[0:3]
	s_movk_i32 s4, 0x7f
	v_cmp_gt_i16_sdwa s[6:7], v14, s4 src0_sel:BYTE_3 src1_sel:DWORD
	s_mov_b64 s[4:5], 0
                                        ; implicit-def: $sgpr10
	s_and_saveexec_b64 s[8:9], s[6:7]
	s_xor_b64 s[6:7], exec, s[8:9]
	s_cbranch_execnz .LBB19_3353
; %bb.1305:
	s_or_saveexec_b64 s[6:7], s[6:7]
	v_mov_b32_e32 v20, s10
	s_xor_b64 exec, exec, s[6:7]
	s_cbranch_execnz .LBB19_3356
.LBB19_1306:
	s_or_b64 exec, exec, s[6:7]
	s_and_saveexec_b64 s[6:7], s[4:5]
	s_cbranch_execz .LBB19_1308
.LBB19_1307:
	v_bfe_u32 v20, v14, 24, 3
	v_ffbh_u32_e32 v24, v20
	v_min_u32_e32 v24, 32, v24
	v_lshrrev_b32_e32 v22, 27, v14
	v_subrev_u32_e32 v25, 28, v24
	v_and_b32_e32 v21, 0x80000000, v14
	v_and_b32_e32 v22, 15, v22
	v_bfe_u32 v23, v14, 27, 4
	v_lshlrev_b32_sdwa v14, v25, v14 dst_sel:DWORD dst_unused:UNUSED_PAD src0_sel:DWORD src1_sel:BYTE_3
	v_sub_u32_e32 v24, 29, v24
	v_and_b32_e32 v14, 7, v14
	v_cmp_eq_u16_e32 vcc, 0, v22
	v_cndmask_b32_e32 v14, v20, v14, vcc
	v_cndmask_b32_e32 v20, v23, v24, vcc
	v_mov_b32_e32 v22, 0x3b800000
	v_lshlrev_b32_e32 v14, 20, v14
	v_lshl_add_u32 v20, v20, 23, v22
	v_or3_b32 v20, v21, v20, v14
.LBB19_1308:
	s_or_b64 exec, exec, s[6:7]
	s_movk_i32 s4, 0x7f
	v_cmp_gt_i16_sdwa s[6:7], v10, s4 src0_sel:BYTE_3 src1_sel:DWORD
	s_mov_b64 s[4:5], 0
                                        ; implicit-def: $sgpr10
	s_and_saveexec_b64 s[8:9], s[6:7]
	s_xor_b64 s[6:7], exec, s[8:9]
	s_cbranch_execnz .LBB19_3357
; %bb.1309:
	s_or_saveexec_b64 s[6:7], s[6:7]
	v_mov_b32_e32 v14, s10
	s_xor_b64 exec, exec, s[6:7]
	s_cbranch_execnz .LBB19_3360
.LBB19_1310:
	s_or_b64 exec, exec, s[6:7]
	s_and_saveexec_b64 s[6:7], s[4:5]
	s_cbranch_execz .LBB19_1312
.LBB19_1311:
	v_bfe_u32 v14, v10, 24, 3
	v_ffbh_u32_e32 v24, v14
	v_min_u32_e32 v24, 32, v24
	v_lshrrev_b32_e32 v22, 27, v10
	v_subrev_u32_e32 v25, 28, v24
	v_and_b32_e32 v21, 0x80000000, v10
	v_and_b32_e32 v22, 15, v22
	v_bfe_u32 v23, v10, 27, 4
	v_lshlrev_b32_sdwa v10, v25, v10 dst_sel:DWORD dst_unused:UNUSED_PAD src0_sel:DWORD src1_sel:BYTE_3
	v_sub_u32_e32 v24, 29, v24
	v_and_b32_e32 v10, 7, v10
	v_cmp_eq_u16_e32 vcc, 0, v22
	v_cndmask_b32_e32 v10, v14, v10, vcc
	v_cndmask_b32_e32 v14, v23, v24, vcc
	v_mov_b32_e32 v22, 0x3b800000
	v_lshlrev_b32_e32 v10, 20, v10
	v_lshl_add_u32 v14, v14, 23, v22
	v_or3_b32 v14, v21, v14, v10
.LBB19_1312:
	s_or_b64 exec, exec, s[6:7]
	s_nop 0
	v_mfma_f32_16x16x4f32 a[0:3], v20, v14, a[0:3]
	s_movk_i32 s4, 0x7f
	v_cmp_gt_i16_sdwa s[6:7], v15, s4 src0_sel:BYTE_0 src1_sel:DWORD
	s_mov_b64 s[4:5], 0
                                        ; implicit-def: $sgpr10
	s_and_saveexec_b64 s[8:9], s[6:7]
	s_xor_b64 s[6:7], exec, s[8:9]
	s_cbranch_execnz .LBB19_3361
; %bb.1313:
	s_or_saveexec_b64 s[6:7], s[6:7]
	v_mov_b32_e32 v10, s10
	s_xor_b64 exec, exec, s[6:7]
	s_cbranch_execnz .LBB19_3364
.LBB19_1314:
	s_or_b64 exec, exec, s[6:7]
	s_and_saveexec_b64 s[6:7], s[4:5]
	s_cbranch_execz .LBB19_1316
.LBB19_1315:
	v_and_b32_e32 v10, 7, v15
	v_ffbh_u32_e32 v20, v10
	v_min_u32_e32 v20, 32, v20
	v_lshrrev_b16_e32 v14, 3, v15
	v_subrev_u32_e32 v21, 28, v20
	v_and_b32_e32 v14, 15, v14
	v_lshlrev_b32_e32 v21, v21, v15
	v_sub_u32_e32 v20, 29, v20
	v_and_b32_e32 v21, 7, v21
	v_cmp_eq_u16_e32 vcc, 0, v14
	v_cndmask_b32_e32 v10, v10, v21, vcc
	v_cndmask_b32_e32 v14, v14, v20, vcc
	v_lshlrev_b32_e32 v20, 24, v15
	v_mov_b32_e32 v21, 0x3b800000
	v_lshlrev_b32_e32 v10, 20, v10
	v_and_b32_e32 v20, 0x80000000, v20
	v_lshl_add_u32 v14, v14, 23, v21
	v_or3_b32 v10, v20, v14, v10
.LBB19_1316:
	s_or_b64 exec, exec, s[6:7]
	s_movk_i32 s4, 0x7f
	v_cmp_gt_i16_sdwa s[6:7], v11, s4 src0_sel:BYTE_0 src1_sel:DWORD
	s_mov_b64 s[4:5], 0
                                        ; implicit-def: $sgpr10
	s_and_saveexec_b64 s[8:9], s[6:7]
	s_xor_b64 s[6:7], exec, s[8:9]
	s_cbranch_execnz .LBB19_3365
; %bb.1317:
	s_or_saveexec_b64 s[6:7], s[6:7]
	v_mov_b32_e32 v14, s10
	s_xor_b64 exec, exec, s[6:7]
	s_cbranch_execnz .LBB19_3368
.LBB19_1318:
	s_or_b64 exec, exec, s[6:7]
	s_and_saveexec_b64 s[6:7], s[4:5]
	s_cbranch_execz .LBB19_1320
.LBB19_1319:
	v_and_b32_e32 v14, 7, v11
	v_ffbh_u32_e32 v21, v14
	v_min_u32_e32 v21, 32, v21
	v_lshrrev_b16_e32 v20, 3, v11
	v_subrev_u32_e32 v22, 28, v21
	v_and_b32_e32 v20, 15, v20
	v_lshlrev_b32_e32 v22, v22, v11
	v_sub_u32_e32 v21, 29, v21
	v_and_b32_e32 v22, 7, v22
	v_cmp_eq_u16_e32 vcc, 0, v20
	v_cndmask_b32_e32 v14, v14, v22, vcc
	v_cndmask_b32_e32 v20, v20, v21, vcc
	v_lshlrev_b32_e32 v21, 24, v11
	v_mov_b32_e32 v22, 0x3b800000
	v_lshlrev_b32_e32 v14, 20, v14
	v_and_b32_e32 v21, 0x80000000, v21
	v_lshl_add_u32 v20, v20, 23, v22
	v_or3_b32 v14, v21, v20, v14
.LBB19_1320:
	s_or_b64 exec, exec, s[6:7]
	s_nop 0
	v_mfma_f32_16x16x4f32 a[0:3], v10, v14, a[0:3]
	v_lshrrev_b32_e32 v14, 8, v15
	s_movk_i32 s4, 0x7f
	v_cmp_gt_i16_sdwa s[6:7], v14, s4 src0_sel:BYTE_0 src1_sel:DWORD
	s_mov_b64 s[4:5], 0
                                        ; implicit-def: $sgpr10
	s_and_saveexec_b64 s[8:9], s[6:7]
	s_xor_b64 s[6:7], exec, s[8:9]
	s_cbranch_execnz .LBB19_3369
; %bb.1321:
	s_or_saveexec_b64 s[6:7], s[6:7]
	v_mov_b32_e32 v10, s10
	s_xor_b64 exec, exec, s[6:7]
	s_cbranch_execnz .LBB19_3372
.LBB19_1322:
	s_or_b64 exec, exec, s[6:7]
	s_and_saveexec_b64 s[6:7], s[4:5]
	s_cbranch_execz .LBB19_1324
.LBB19_1323:
	v_bfe_u32 v10, v15, 8, 3
	v_ffbh_u32_e32 v21, v10
	v_min_u32_e32 v21, 32, v21
	v_lshrrev_b16_e32 v20, 3, v14
	v_subrev_u32_e32 v22, 28, v21
	v_and_b32_e32 v20, 15, v20
	v_lshlrev_b32_e32 v14, v22, v14
	v_sub_u32_e32 v21, 29, v21
	v_and_b32_e32 v14, 7, v14
	v_cmp_eq_u16_e32 vcc, 0, v20
	v_cndmask_b32_e32 v10, v10, v14, vcc
	v_cndmask_b32_e32 v14, v20, v21, vcc
	v_lshlrev_b32_e32 v20, 16, v15
	v_mov_b32_e32 v21, 0x3b800000
	v_lshlrev_b32_e32 v10, 20, v10
	v_and_b32_e32 v20, 0x80000000, v20
	v_lshl_add_u32 v14, v14, 23, v21
	v_or3_b32 v10, v20, v14, v10
.LBB19_1324:
	s_or_b64 exec, exec, s[6:7]
	v_lshrrev_b32_e32 v14, 8, v11
	s_movk_i32 s4, 0x7f
	v_cmp_gt_i16_sdwa s[6:7], v14, s4 src0_sel:BYTE_0 src1_sel:DWORD
	s_mov_b64 s[4:5], 0
                                        ; implicit-def: $sgpr10
	s_and_saveexec_b64 s[8:9], s[6:7]
	s_xor_b64 s[6:7], exec, s[8:9]
	s_cbranch_execnz .LBB19_3373
; %bb.1325:
	s_or_saveexec_b64 s[6:7], s[6:7]
	v_mov_b32_e32 v20, s10
	s_xor_b64 exec, exec, s[6:7]
	s_cbranch_execnz .LBB19_3376
.LBB19_1326:
	s_or_b64 exec, exec, s[6:7]
	s_and_saveexec_b64 s[6:7], s[4:5]
	s_cbranch_execz .LBB19_1328
.LBB19_1327:
	v_bfe_u32 v20, v11, 8, 3
	v_ffbh_u32_e32 v22, v20
	v_min_u32_e32 v22, 32, v22
	v_lshrrev_b16_e32 v21, 3, v14
	v_subrev_u32_e32 v23, 28, v22
	v_and_b32_e32 v21, 15, v21
	v_lshlrev_b32_e32 v14, v23, v14
	v_sub_u32_e32 v22, 29, v22
	v_and_b32_e32 v14, 7, v14
	v_cmp_eq_u16_e32 vcc, 0, v21
	v_cndmask_b32_e32 v14, v20, v14, vcc
	v_cndmask_b32_e32 v20, v21, v22, vcc
	v_lshlrev_b32_e32 v21, 16, v11
	v_mov_b32_e32 v22, 0x3b800000
	v_lshlrev_b32_e32 v14, 20, v14
	v_and_b32_e32 v21, 0x80000000, v21
	v_lshl_add_u32 v20, v20, 23, v22
	v_or3_b32 v20, v21, v20, v14
.LBB19_1328:
	s_or_b64 exec, exec, s[6:7]
	s_nop 0
	v_mfma_f32_16x16x4f32 a[0:3], v10, v20, a[0:3]
	s_movk_i32 s4, 0xff
	v_and_b32_sdwa v14, v15, s4 dst_sel:DWORD dst_unused:UNUSED_PAD src0_sel:WORD_1 src1_sel:DWORD
	s_movk_i32 s4, 0x7f
	v_cmp_lt_i16_e32 vcc, s4, v14
	s_mov_b64 s[4:5], 0
                                        ; implicit-def: $sgpr10
	s_and_saveexec_b64 s[6:7], vcc
	s_xor_b64 s[6:7], exec, s[6:7]
	s_cbranch_execnz .LBB19_3377
; %bb.1329:
	s_or_saveexec_b64 s[6:7], s[6:7]
	v_mov_b32_e32 v10, s10
	s_xor_b64 exec, exec, s[6:7]
	s_cbranch_execnz .LBB19_3380
.LBB19_1330:
	s_or_b64 exec, exec, s[6:7]
	s_and_saveexec_b64 s[6:7], s[4:5]
	s_cbranch_execz .LBB19_1332
.LBB19_1331:
	v_bfe_u32 v10, v15, 16, 3
	v_ffbh_u32_e32 v21, v10
	v_min_u32_e32 v21, 32, v21
	v_lshrrev_b32_e32 v14, 19, v15
	v_subrev_u32_e32 v22, 28, v21
	v_and_b32_e32 v14, 15, v14
	v_lshlrev_b32_sdwa v22, v22, v15 dst_sel:DWORD dst_unused:UNUSED_PAD src0_sel:DWORD src1_sel:WORD_1
	v_bfe_u32 v20, v15, 19, 4
	v_sub_u32_e32 v21, 29, v21
	v_and_b32_e32 v22, 7, v22
	v_cmp_eq_u16_e32 vcc, 0, v14
	v_cndmask_b32_e32 v10, v10, v22, vcc
	v_cndmask_b32_e32 v14, v20, v21, vcc
	v_lshlrev_b32_e32 v20, 8, v15
	v_mov_b32_e32 v21, 0x3b800000
	v_lshlrev_b32_e32 v10, 20, v10
	v_and_b32_e32 v20, 0x80000000, v20
	v_lshl_add_u32 v14, v14, 23, v21
	v_or3_b32 v10, v20, v14, v10
.LBB19_1332:
	s_or_b64 exec, exec, s[6:7]
	s_movk_i32 s4, 0xff
	v_and_b32_sdwa v14, v11, s4 dst_sel:DWORD dst_unused:UNUSED_PAD src0_sel:WORD_1 src1_sel:DWORD
	s_movk_i32 s4, 0x7f
	v_cmp_lt_i16_e32 vcc, s4, v14
	s_mov_b64 s[4:5], 0
                                        ; implicit-def: $sgpr10
	s_and_saveexec_b64 s[6:7], vcc
	s_xor_b64 s[6:7], exec, s[6:7]
	s_cbranch_execnz .LBB19_3381
; %bb.1333:
	s_or_saveexec_b64 s[6:7], s[6:7]
	v_mov_b32_e32 v20, s10
	s_xor_b64 exec, exec, s[6:7]
	s_cbranch_execnz .LBB19_3384
.LBB19_1334:
	s_or_b64 exec, exec, s[6:7]
	s_and_saveexec_b64 s[6:7], s[4:5]
	s_cbranch_execz .LBB19_1336
.LBB19_1335:
	v_bfe_u32 v14, v11, 16, 3
	v_ffbh_u32_e32 v22, v14
	v_min_u32_e32 v22, 32, v22
	v_lshrrev_b32_e32 v20, 19, v11
	v_subrev_u32_e32 v23, 28, v22
	v_and_b32_e32 v20, 15, v20
	v_lshlrev_b32_sdwa v23, v23, v11 dst_sel:DWORD dst_unused:UNUSED_PAD src0_sel:DWORD src1_sel:WORD_1
	v_bfe_u32 v21, v11, 19, 4
	v_sub_u32_e32 v22, 29, v22
	v_and_b32_e32 v23, 7, v23
	v_cmp_eq_u16_e32 vcc, 0, v20
	v_cndmask_b32_e32 v14, v14, v23, vcc
	v_cndmask_b32_e32 v20, v21, v22, vcc
	v_lshlrev_b32_e32 v21, 8, v11
	v_mov_b32_e32 v22, 0x3b800000
	v_lshlrev_b32_e32 v14, 20, v14
	v_and_b32_e32 v21, 0x80000000, v21
	v_lshl_add_u32 v20, v20, 23, v22
	v_or3_b32 v20, v21, v20, v14
.LBB19_1336:
	s_or_b64 exec, exec, s[6:7]
	s_nop 0
	v_mfma_f32_16x16x4f32 a[0:3], v10, v20, a[0:3]
	s_movk_i32 s4, 0x7f
	v_cmp_gt_i16_sdwa s[6:7], v15, s4 src0_sel:BYTE_3 src1_sel:DWORD
	s_mov_b64 s[4:5], 0
                                        ; implicit-def: $sgpr10
	s_and_saveexec_b64 s[8:9], s[6:7]
	s_xor_b64 s[6:7], exec, s[8:9]
	s_cbranch_execnz .LBB19_3385
; %bb.1337:
	s_or_saveexec_b64 s[6:7], s[6:7]
	v_mov_b32_e32 v10, s10
	s_xor_b64 exec, exec, s[6:7]
	s_cbranch_execnz .LBB19_3388
.LBB19_1338:
	s_or_b64 exec, exec, s[6:7]
	s_and_saveexec_b64 s[6:7], s[4:5]
	s_cbranch_execz .LBB19_1340
.LBB19_1339:
	v_bfe_u32 v10, v15, 24, 3
	v_ffbh_u32_e32 v22, v10
	v_min_u32_e32 v22, 32, v22
	v_lshrrev_b32_e32 v20, 27, v15
	v_subrev_u32_e32 v23, 28, v22
	v_and_b32_e32 v14, 0x80000000, v15
	v_and_b32_e32 v20, 15, v20
	v_bfe_u32 v21, v15, 27, 4
	v_lshlrev_b32_sdwa v15, v23, v15 dst_sel:DWORD dst_unused:UNUSED_PAD src0_sel:DWORD src1_sel:BYTE_3
	v_sub_u32_e32 v22, 29, v22
	v_and_b32_e32 v15, 7, v15
	v_cmp_eq_u16_e32 vcc, 0, v20
	v_cndmask_b32_e32 v10, v10, v15, vcc
	v_cndmask_b32_e32 v15, v21, v22, vcc
	v_mov_b32_e32 v20, 0x3b800000
	v_lshlrev_b32_e32 v10, 20, v10
	v_lshl_add_u32 v15, v15, 23, v20
	v_or3_b32 v10, v14, v15, v10
.LBB19_1340:
	s_or_b64 exec, exec, s[6:7]
	s_movk_i32 s4, 0x7f
	v_cmp_gt_i16_sdwa s[6:7], v11, s4 src0_sel:BYTE_3 src1_sel:DWORD
	s_mov_b64 s[4:5], 0
                                        ; implicit-def: $sgpr10
	s_and_saveexec_b64 s[8:9], s[6:7]
	s_xor_b64 s[6:7], exec, s[8:9]
	s_cbranch_execnz .LBB19_3389
; %bb.1341:
	s_or_saveexec_b64 s[6:7], s[6:7]
	v_mov_b32_e32 v14, s10
	s_xor_b64 exec, exec, s[6:7]
	s_cbranch_execnz .LBB19_3392
.LBB19_1342:
	s_or_b64 exec, exec, s[6:7]
	s_and_saveexec_b64 s[6:7], s[4:5]
	s_cbranch_execz .LBB19_1344
.LBB19_1343:
	v_bfe_u32 v14, v11, 24, 3
	v_ffbh_u32_e32 v22, v14
	v_min_u32_e32 v22, 32, v22
	v_lshrrev_b32_e32 v20, 27, v11
	v_subrev_u32_e32 v23, 28, v22
	v_and_b32_e32 v15, 0x80000000, v11
	v_and_b32_e32 v20, 15, v20
	v_bfe_u32 v21, v11, 27, 4
	v_lshlrev_b32_sdwa v11, v23, v11 dst_sel:DWORD dst_unused:UNUSED_PAD src0_sel:DWORD src1_sel:BYTE_3
	v_sub_u32_e32 v22, 29, v22
	v_and_b32_e32 v11, 7, v11
	v_cmp_eq_u16_e32 vcc, 0, v20
	v_cndmask_b32_e32 v11, v14, v11, vcc
	v_cndmask_b32_e32 v14, v21, v22, vcc
	v_mov_b32_e32 v20, 0x3b800000
	v_lshlrev_b32_e32 v11, 20, v11
	v_lshl_add_u32 v14, v14, 23, v20
	v_or3_b32 v14, v15, v14, v11
.LBB19_1344:
	s_or_b64 exec, exec, s[6:7]
	s_nop 0
	v_mfma_f32_16x16x4f32 a[0:3], v10, v14, a[0:3]
	s_movk_i32 s4, 0x7f
	v_cmp_gt_i16_sdwa s[6:7], v16, s4 src0_sel:BYTE_0 src1_sel:DWORD
	s_mov_b64 s[4:5], 0
                                        ; implicit-def: $sgpr10
	s_and_saveexec_b64 s[8:9], s[6:7]
	s_xor_b64 s[6:7], exec, s[8:9]
	s_cbranch_execnz .LBB19_3393
; %bb.1345:
	s_or_saveexec_b64 s[6:7], s[6:7]
	v_mov_b32_e32 v10, s10
	s_xor_b64 exec, exec, s[6:7]
	s_cbranch_execnz .LBB19_3396
.LBB19_1346:
	s_or_b64 exec, exec, s[6:7]
	s_and_saveexec_b64 s[6:7], s[4:5]
	s_cbranch_execz .LBB19_1348
.LBB19_1347:
	v_and_b32_e32 v10, 7, v16
	v_ffbh_u32_e32 v14, v10
	v_min_u32_e32 v14, 32, v14
	v_lshrrev_b16_e32 v11, 3, v16
	v_subrev_u32_e32 v15, 28, v14
	v_and_b32_e32 v11, 15, v11
	v_lshlrev_b32_e32 v15, v15, v16
	v_sub_u32_e32 v14, 29, v14
	v_and_b32_e32 v15, 7, v15
	v_cmp_eq_u16_e32 vcc, 0, v11
	v_cndmask_b32_e32 v10, v10, v15, vcc
	v_cndmask_b32_e32 v11, v11, v14, vcc
	v_lshlrev_b32_e32 v14, 24, v16
	v_mov_b32_e32 v15, 0x3b800000
	v_lshlrev_b32_e32 v10, 20, v10
	v_and_b32_e32 v14, 0x80000000, v14
	v_lshl_add_u32 v11, v11, 23, v15
	v_or3_b32 v10, v14, v11, v10
.LBB19_1348:
	s_or_b64 exec, exec, s[6:7]
	s_movk_i32 s4, 0x7f
	v_cmp_gt_i16_sdwa s[6:7], v12, s4 src0_sel:BYTE_0 src1_sel:DWORD
	s_mov_b64 s[4:5], 0
                                        ; implicit-def: $sgpr10
	s_and_saveexec_b64 s[8:9], s[6:7]
	s_xor_b64 s[6:7], exec, s[8:9]
	s_cbranch_execnz .LBB19_3397
; %bb.1349:
	s_or_saveexec_b64 s[6:7], s[6:7]
	v_mov_b32_e32 v11, s10
	s_xor_b64 exec, exec, s[6:7]
	s_cbranch_execnz .LBB19_3400
.LBB19_1350:
	s_or_b64 exec, exec, s[6:7]
	s_and_saveexec_b64 s[6:7], s[4:5]
	s_cbranch_execz .LBB19_1352
.LBB19_1351:
	v_and_b32_e32 v11, 7, v12
	v_ffbh_u32_e32 v15, v11
	v_min_u32_e32 v15, 32, v15
	v_lshrrev_b16_e32 v14, 3, v12
	v_subrev_u32_e32 v20, 28, v15
	v_and_b32_e32 v14, 15, v14
	v_lshlrev_b32_e32 v20, v20, v12
	v_sub_u32_e32 v15, 29, v15
	v_and_b32_e32 v20, 7, v20
	v_cmp_eq_u16_e32 vcc, 0, v14
	v_cndmask_b32_e32 v11, v11, v20, vcc
	v_cndmask_b32_e32 v14, v14, v15, vcc
	v_lshlrev_b32_e32 v15, 24, v12
	v_mov_b32_e32 v20, 0x3b800000
	v_lshlrev_b32_e32 v11, 20, v11
	v_and_b32_e32 v15, 0x80000000, v15
	v_lshl_add_u32 v14, v14, 23, v20
	v_or3_b32 v11, v15, v14, v11
.LBB19_1352:
	s_or_b64 exec, exec, s[6:7]
	s_nop 0
	v_mfma_f32_16x16x4f32 a[0:3], v10, v11, a[0:3]
	v_lshrrev_b32_e32 v11, 8, v16
	s_movk_i32 s4, 0x7f
	v_cmp_gt_i16_sdwa s[6:7], v11, s4 src0_sel:BYTE_0 src1_sel:DWORD
	s_mov_b64 s[4:5], 0
                                        ; implicit-def: $sgpr10
	s_and_saveexec_b64 s[8:9], s[6:7]
	s_xor_b64 s[6:7], exec, s[8:9]
	s_cbranch_execnz .LBB19_3401
; %bb.1353:
	s_or_saveexec_b64 s[6:7], s[6:7]
	v_mov_b32_e32 v10, s10
	s_xor_b64 exec, exec, s[6:7]
	s_cbranch_execnz .LBB19_3404
.LBB19_1354:
	s_or_b64 exec, exec, s[6:7]
	s_and_saveexec_b64 s[6:7], s[4:5]
	s_cbranch_execz .LBB19_1356
.LBB19_1355:
	v_bfe_u32 v10, v16, 8, 3
	v_ffbh_u32_e32 v15, v10
	v_min_u32_e32 v15, 32, v15
	v_lshrrev_b16_e32 v14, 3, v11
	v_subrev_u32_e32 v20, 28, v15
	v_and_b32_e32 v14, 15, v14
	v_lshlrev_b32_e32 v11, v20, v11
	v_sub_u32_e32 v15, 29, v15
	v_and_b32_e32 v11, 7, v11
	v_cmp_eq_u16_e32 vcc, 0, v14
	v_cndmask_b32_e32 v10, v10, v11, vcc
	v_cndmask_b32_e32 v11, v14, v15, vcc
	v_lshlrev_b32_e32 v14, 16, v16
	v_mov_b32_e32 v15, 0x3b800000
	v_lshlrev_b32_e32 v10, 20, v10
	v_and_b32_e32 v14, 0x80000000, v14
	v_lshl_add_u32 v11, v11, 23, v15
	v_or3_b32 v10, v14, v11, v10
.LBB19_1356:
	s_or_b64 exec, exec, s[6:7]
	v_lshrrev_b32_e32 v11, 8, v12
	s_movk_i32 s4, 0x7f
	v_cmp_gt_i16_sdwa s[6:7], v11, s4 src0_sel:BYTE_0 src1_sel:DWORD
	s_mov_b64 s[4:5], 0
                                        ; implicit-def: $sgpr10
	s_and_saveexec_b64 s[8:9], s[6:7]
	s_xor_b64 s[6:7], exec, s[8:9]
	s_cbranch_execnz .LBB19_3405
; %bb.1357:
	s_or_saveexec_b64 s[6:7], s[6:7]
	v_mov_b32_e32 v14, s10
	s_xor_b64 exec, exec, s[6:7]
	s_cbranch_execnz .LBB19_3408
.LBB19_1358:
	s_or_b64 exec, exec, s[6:7]
	s_and_saveexec_b64 s[6:7], s[4:5]
	s_cbranch_execz .LBB19_1360
.LBB19_1359:
	v_bfe_u32 v14, v12, 8, 3
	v_ffbh_u32_e32 v20, v14
	v_min_u32_e32 v20, 32, v20
	v_lshrrev_b16_e32 v15, 3, v11
	v_subrev_u32_e32 v21, 28, v20
	v_and_b32_e32 v15, 15, v15
	v_lshlrev_b32_e32 v11, v21, v11
	v_sub_u32_e32 v20, 29, v20
	v_and_b32_e32 v11, 7, v11
	v_cmp_eq_u16_e32 vcc, 0, v15
	v_cndmask_b32_e32 v11, v14, v11, vcc
	v_cndmask_b32_e32 v14, v15, v20, vcc
	v_lshlrev_b32_e32 v15, 16, v12
	v_mov_b32_e32 v20, 0x3b800000
	v_lshlrev_b32_e32 v11, 20, v11
	v_and_b32_e32 v15, 0x80000000, v15
	v_lshl_add_u32 v14, v14, 23, v20
	v_or3_b32 v14, v15, v14, v11
.LBB19_1360:
	s_or_b64 exec, exec, s[6:7]
	s_nop 0
	v_mfma_f32_16x16x4f32 a[0:3], v10, v14, a[0:3]
	s_movk_i32 s4, 0xff
	v_and_b32_sdwa v11, v16, s4 dst_sel:DWORD dst_unused:UNUSED_PAD src0_sel:WORD_1 src1_sel:DWORD
	s_movk_i32 s4, 0x7f
	v_cmp_lt_i16_e32 vcc, s4, v11
	s_mov_b64 s[4:5], 0
                                        ; implicit-def: $sgpr10
	s_and_saveexec_b64 s[6:7], vcc
	s_xor_b64 s[6:7], exec, s[6:7]
	s_cbranch_execnz .LBB19_3409
; %bb.1361:
	s_or_saveexec_b64 s[6:7], s[6:7]
	v_mov_b32_e32 v10, s10
	s_xor_b64 exec, exec, s[6:7]
	s_cbranch_execnz .LBB19_3412
.LBB19_1362:
	s_or_b64 exec, exec, s[6:7]
	s_and_saveexec_b64 s[6:7], s[4:5]
	s_cbranch_execz .LBB19_1364
.LBB19_1363:
	v_bfe_u32 v10, v16, 16, 3
	v_ffbh_u32_e32 v15, v10
	v_min_u32_e32 v15, 32, v15
	v_lshrrev_b32_e32 v11, 19, v16
	v_subrev_u32_e32 v20, 28, v15
	v_and_b32_e32 v11, 15, v11
	v_lshlrev_b32_sdwa v20, v20, v16 dst_sel:DWORD dst_unused:UNUSED_PAD src0_sel:DWORD src1_sel:WORD_1
	v_bfe_u32 v14, v16, 19, 4
	v_sub_u32_e32 v15, 29, v15
	v_and_b32_e32 v20, 7, v20
	v_cmp_eq_u16_e32 vcc, 0, v11
	v_cndmask_b32_e32 v10, v10, v20, vcc
	v_cndmask_b32_e32 v11, v14, v15, vcc
	v_lshlrev_b32_e32 v14, 8, v16
	v_mov_b32_e32 v15, 0x3b800000
	v_lshlrev_b32_e32 v10, 20, v10
	v_and_b32_e32 v14, 0x80000000, v14
	v_lshl_add_u32 v11, v11, 23, v15
	v_or3_b32 v10, v14, v11, v10
.LBB19_1364:
	s_or_b64 exec, exec, s[6:7]
	s_movk_i32 s4, 0xff
	v_and_b32_sdwa v11, v12, s4 dst_sel:DWORD dst_unused:UNUSED_PAD src0_sel:WORD_1 src1_sel:DWORD
	s_movk_i32 s4, 0x7f
	v_cmp_lt_i16_e32 vcc, s4, v11
	s_mov_b64 s[4:5], 0
                                        ; implicit-def: $sgpr10
	s_and_saveexec_b64 s[6:7], vcc
	s_xor_b64 s[6:7], exec, s[6:7]
	s_cbranch_execnz .LBB19_3413
; %bb.1365:
	s_or_saveexec_b64 s[6:7], s[6:7]
	v_mov_b32_e32 v14, s10
	s_xor_b64 exec, exec, s[6:7]
	s_cbranch_execnz .LBB19_3416
.LBB19_1366:
	s_or_b64 exec, exec, s[6:7]
	s_and_saveexec_b64 s[6:7], s[4:5]
	s_cbranch_execz .LBB19_1368
.LBB19_1367:
	v_bfe_u32 v11, v12, 16, 3
	v_ffbh_u32_e32 v20, v11
	v_min_u32_e32 v20, 32, v20
	v_lshrrev_b32_e32 v14, 19, v12
	v_subrev_u32_e32 v21, 28, v20
	v_and_b32_e32 v14, 15, v14
	v_lshlrev_b32_sdwa v21, v21, v12 dst_sel:DWORD dst_unused:UNUSED_PAD src0_sel:DWORD src1_sel:WORD_1
	v_bfe_u32 v15, v12, 19, 4
	v_sub_u32_e32 v20, 29, v20
	v_and_b32_e32 v21, 7, v21
	v_cmp_eq_u16_e32 vcc, 0, v14
	v_cndmask_b32_e32 v11, v11, v21, vcc
	v_cndmask_b32_e32 v14, v15, v20, vcc
	v_lshlrev_b32_e32 v15, 8, v12
	v_mov_b32_e32 v20, 0x3b800000
	v_lshlrev_b32_e32 v11, 20, v11
	v_and_b32_e32 v15, 0x80000000, v15
	v_lshl_add_u32 v14, v14, 23, v20
	v_or3_b32 v14, v15, v14, v11
.LBB19_1368:
	s_or_b64 exec, exec, s[6:7]
	s_nop 0
	v_mfma_f32_16x16x4f32 a[0:3], v10, v14, a[0:3]
	s_movk_i32 s4, 0x7f
	v_cmp_gt_i16_sdwa s[6:7], v16, s4 src0_sel:BYTE_3 src1_sel:DWORD
	s_mov_b64 s[4:5], 0
                                        ; implicit-def: $sgpr10
	s_and_saveexec_b64 s[8:9], s[6:7]
	s_xor_b64 s[6:7], exec, s[8:9]
	s_cbranch_execnz .LBB19_3417
; %bb.1369:
	s_or_saveexec_b64 s[6:7], s[6:7]
	v_mov_b32_e32 v10, s10
	s_xor_b64 exec, exec, s[6:7]
	s_cbranch_execnz .LBB19_3420
.LBB19_1370:
	s_or_b64 exec, exec, s[6:7]
	s_and_saveexec_b64 s[6:7], s[4:5]
	s_cbranch_execz .LBB19_1372
.LBB19_1371:
	v_bfe_u32 v10, v16, 24, 3
	v_ffbh_u32_e32 v20, v10
	v_min_u32_e32 v20, 32, v20
	v_lshrrev_b32_e32 v14, 27, v16
	v_subrev_u32_e32 v21, 28, v20
	v_and_b32_e32 v11, 0x80000000, v16
	v_and_b32_e32 v14, 15, v14
	v_bfe_u32 v15, v16, 27, 4
	v_lshlrev_b32_sdwa v16, v21, v16 dst_sel:DWORD dst_unused:UNUSED_PAD src0_sel:DWORD src1_sel:BYTE_3
	v_sub_u32_e32 v20, 29, v20
	v_and_b32_e32 v16, 7, v16
	v_cmp_eq_u16_e32 vcc, 0, v14
	v_cndmask_b32_e32 v10, v10, v16, vcc
	v_cndmask_b32_e32 v14, v15, v20, vcc
	v_mov_b32_e32 v15, 0x3b800000
	v_lshlrev_b32_e32 v10, 20, v10
	v_lshl_add_u32 v14, v14, 23, v15
	v_or3_b32 v10, v11, v14, v10
.LBB19_1372:
	s_or_b64 exec, exec, s[6:7]
	s_movk_i32 s4, 0x7f
	v_cmp_gt_i16_sdwa s[6:7], v12, s4 src0_sel:BYTE_3 src1_sel:DWORD
	s_mov_b64 s[4:5], 0
                                        ; implicit-def: $sgpr10
	s_and_saveexec_b64 s[8:9], s[6:7]
	s_xor_b64 s[6:7], exec, s[8:9]
	s_cbranch_execnz .LBB19_3421
; %bb.1373:
	s_or_saveexec_b64 s[6:7], s[6:7]
	v_mov_b32_e32 v11, s10
	s_xor_b64 exec, exec, s[6:7]
	s_cbranch_execnz .LBB19_3424
.LBB19_1374:
	s_or_b64 exec, exec, s[6:7]
	s_and_saveexec_b64 s[6:7], s[4:5]
	s_cbranch_execz .LBB19_1376
.LBB19_1375:
	v_bfe_u32 v11, v12, 24, 3
	v_ffbh_u32_e32 v20, v11
	v_min_u32_e32 v20, 32, v20
	v_lshrrev_b32_e32 v15, 27, v12
	v_subrev_u32_e32 v21, 28, v20
	v_and_b32_e32 v14, 0x80000000, v12
	v_and_b32_e32 v15, 15, v15
	v_bfe_u32 v16, v12, 27, 4
	v_lshlrev_b32_sdwa v12, v21, v12 dst_sel:DWORD dst_unused:UNUSED_PAD src0_sel:DWORD src1_sel:BYTE_3
	v_sub_u32_e32 v20, 29, v20
	v_and_b32_e32 v12, 7, v12
	v_cmp_eq_u16_e32 vcc, 0, v15
	v_cndmask_b32_e32 v11, v11, v12, vcc
	v_cndmask_b32_e32 v12, v16, v20, vcc
	v_mov_b32_e32 v15, 0x3b800000
	v_lshlrev_b32_e32 v11, 20, v11
	v_lshl_add_u32 v12, v12, 23, v15
	v_or3_b32 v11, v14, v12, v11
.LBB19_1376:
	s_or_b64 exec, exec, s[6:7]
	s_nop 0
	v_mfma_f32_16x16x4f32 a[0:3], v10, v11, a[0:3]
	s_movk_i32 s4, 0x7f
	v_cmp_gt_i16_sdwa s[6:7], v17, s4 src0_sel:BYTE_0 src1_sel:DWORD
	s_mov_b64 s[4:5], 0
                                        ; implicit-def: $sgpr10
	s_and_saveexec_b64 s[8:9], s[6:7]
	s_xor_b64 s[6:7], exec, s[8:9]
	s_cbranch_execnz .LBB19_3425
; %bb.1377:
	s_or_saveexec_b64 s[6:7], s[6:7]
	v_mov_b32_e32 v10, s10
	s_xor_b64 exec, exec, s[6:7]
	s_cbranch_execnz .LBB19_3428
.LBB19_1378:
	s_or_b64 exec, exec, s[6:7]
	s_and_saveexec_b64 s[6:7], s[4:5]
	s_cbranch_execz .LBB19_1380
.LBB19_1379:
	v_and_b32_e32 v10, 7, v17
	v_ffbh_u32_e32 v12, v10
	v_min_u32_e32 v12, 32, v12
	v_lshrrev_b16_e32 v11, 3, v17
	v_subrev_u32_e32 v14, 28, v12
	v_and_b32_e32 v11, 15, v11
	v_lshlrev_b32_e32 v14, v14, v17
	v_sub_u32_e32 v12, 29, v12
	v_and_b32_e32 v14, 7, v14
	v_cmp_eq_u16_e32 vcc, 0, v11
	v_cndmask_b32_e32 v10, v10, v14, vcc
	v_cndmask_b32_e32 v11, v11, v12, vcc
	v_lshlrev_b32_e32 v12, 24, v17
	v_mov_b32_e32 v14, 0x3b800000
	v_lshlrev_b32_e32 v10, 20, v10
	v_and_b32_e32 v12, 0x80000000, v12
	v_lshl_add_u32 v11, v11, 23, v14
	v_or3_b32 v10, v12, v11, v10
.LBB19_1380:
	s_or_b64 exec, exec, s[6:7]
	s_movk_i32 s4, 0x7f
	v_cmp_gt_i16_sdwa s[6:7], v13, s4 src0_sel:BYTE_0 src1_sel:DWORD
	s_mov_b64 s[4:5], 0
                                        ; implicit-def: $sgpr10
	s_and_saveexec_b64 s[8:9], s[6:7]
	s_xor_b64 s[6:7], exec, s[8:9]
	s_cbranch_execnz .LBB19_3429
; %bb.1381:
	s_or_saveexec_b64 s[6:7], s[6:7]
	v_mov_b32_e32 v11, s10
	s_xor_b64 exec, exec, s[6:7]
	s_cbranch_execnz .LBB19_3432
.LBB19_1382:
	s_or_b64 exec, exec, s[6:7]
	s_and_saveexec_b64 s[6:7], s[4:5]
	s_cbranch_execz .LBB19_1384
.LBB19_1383:
	v_and_b32_e32 v11, 7, v13
	v_ffbh_u32_e32 v14, v11
	v_min_u32_e32 v14, 32, v14
	v_lshrrev_b16_e32 v12, 3, v13
	v_subrev_u32_e32 v15, 28, v14
	v_and_b32_e32 v12, 15, v12
	v_lshlrev_b32_e32 v15, v15, v13
	v_sub_u32_e32 v14, 29, v14
	v_and_b32_e32 v15, 7, v15
	v_cmp_eq_u16_e32 vcc, 0, v12
	v_cndmask_b32_e32 v11, v11, v15, vcc
	v_cndmask_b32_e32 v12, v12, v14, vcc
	v_lshlrev_b32_e32 v14, 24, v13
	v_mov_b32_e32 v15, 0x3b800000
	v_lshlrev_b32_e32 v11, 20, v11
	v_and_b32_e32 v14, 0x80000000, v14
	v_lshl_add_u32 v12, v12, 23, v15
	v_or3_b32 v11, v14, v12, v11
.LBB19_1384:
	s_or_b64 exec, exec, s[6:7]
	s_nop 0
	v_mfma_f32_16x16x4f32 a[0:3], v10, v11, a[0:3]
	v_lshrrev_b32_e32 v11, 8, v17
	s_movk_i32 s4, 0x7f
	v_cmp_gt_i16_sdwa s[6:7], v11, s4 src0_sel:BYTE_0 src1_sel:DWORD
	s_mov_b64 s[4:5], 0
                                        ; implicit-def: $sgpr10
	s_and_saveexec_b64 s[8:9], s[6:7]
	s_xor_b64 s[6:7], exec, s[8:9]
	s_cbranch_execnz .LBB19_3433
; %bb.1385:
	s_or_saveexec_b64 s[6:7], s[6:7]
	v_mov_b32_e32 v10, s10
	s_xor_b64 exec, exec, s[6:7]
	s_cbranch_execnz .LBB19_3436
.LBB19_1386:
	s_or_b64 exec, exec, s[6:7]
	s_and_saveexec_b64 s[6:7], s[4:5]
	s_cbranch_execz .LBB19_1388
.LBB19_1387:
	v_bfe_u32 v10, v17, 8, 3
	v_ffbh_u32_e32 v14, v10
	v_min_u32_e32 v14, 32, v14
	v_lshrrev_b16_e32 v12, 3, v11
	v_subrev_u32_e32 v15, 28, v14
	v_and_b32_e32 v12, 15, v12
	v_lshlrev_b32_e32 v11, v15, v11
	v_sub_u32_e32 v14, 29, v14
	v_and_b32_e32 v11, 7, v11
	v_cmp_eq_u16_e32 vcc, 0, v12
	v_cndmask_b32_e32 v10, v10, v11, vcc
	v_cndmask_b32_e32 v11, v12, v14, vcc
	v_lshlrev_b32_e32 v12, 16, v17
	v_mov_b32_e32 v14, 0x3b800000
	v_lshlrev_b32_e32 v10, 20, v10
	v_and_b32_e32 v12, 0x80000000, v12
	v_lshl_add_u32 v11, v11, 23, v14
	v_or3_b32 v10, v12, v11, v10
.LBB19_1388:
	s_or_b64 exec, exec, s[6:7]
	v_lshrrev_b32_e32 v11, 8, v13
	s_movk_i32 s4, 0x7f
	v_cmp_gt_i16_sdwa s[6:7], v11, s4 src0_sel:BYTE_0 src1_sel:DWORD
	s_mov_b64 s[4:5], 0
                                        ; implicit-def: $sgpr10
	s_and_saveexec_b64 s[8:9], s[6:7]
	s_xor_b64 s[6:7], exec, s[8:9]
	s_cbranch_execnz .LBB19_3437
; %bb.1389:
	s_or_saveexec_b64 s[6:7], s[6:7]
	v_mov_b32_e32 v12, s10
	s_xor_b64 exec, exec, s[6:7]
	s_cbranch_execnz .LBB19_3440
.LBB19_1390:
	s_or_b64 exec, exec, s[6:7]
	s_and_saveexec_b64 s[6:7], s[4:5]
	s_cbranch_execz .LBB19_1392
.LBB19_1391:
	v_bfe_u32 v12, v13, 8, 3
	v_ffbh_u32_e32 v15, v12
	v_min_u32_e32 v15, 32, v15
	v_lshrrev_b16_e32 v14, 3, v11
	v_subrev_u32_e32 v16, 28, v15
	v_and_b32_e32 v14, 15, v14
	v_lshlrev_b32_e32 v11, v16, v11
	v_sub_u32_e32 v15, 29, v15
	v_and_b32_e32 v11, 7, v11
	v_cmp_eq_u16_e32 vcc, 0, v14
	v_cndmask_b32_e32 v11, v12, v11, vcc
	v_cndmask_b32_e32 v12, v14, v15, vcc
	v_lshlrev_b32_e32 v14, 16, v13
	v_mov_b32_e32 v15, 0x3b800000
	v_lshlrev_b32_e32 v11, 20, v11
	v_and_b32_e32 v14, 0x80000000, v14
	v_lshl_add_u32 v12, v12, 23, v15
	v_or3_b32 v12, v14, v12, v11
.LBB19_1392:
	s_or_b64 exec, exec, s[6:7]
	s_nop 0
	v_mfma_f32_16x16x4f32 a[0:3], v10, v12, a[0:3]
	s_movk_i32 s4, 0xff
	v_and_b32_sdwa v11, v17, s4 dst_sel:DWORD dst_unused:UNUSED_PAD src0_sel:WORD_1 src1_sel:DWORD
	s_movk_i32 s4, 0x7f
	v_cmp_lt_i16_e32 vcc, s4, v11
	s_mov_b64 s[4:5], 0
                                        ; implicit-def: $sgpr10
	s_and_saveexec_b64 s[6:7], vcc
	s_xor_b64 s[6:7], exec, s[6:7]
	s_cbranch_execnz .LBB19_3441
; %bb.1393:
	s_or_saveexec_b64 s[6:7], s[6:7]
	v_mov_b32_e32 v10, s10
	s_xor_b64 exec, exec, s[6:7]
	s_cbranch_execnz .LBB19_3444
.LBB19_1394:
	s_or_b64 exec, exec, s[6:7]
	s_and_saveexec_b64 s[6:7], s[4:5]
	s_cbranch_execz .LBB19_1396
.LBB19_1395:
	v_bfe_u32 v10, v17, 16, 3
	v_ffbh_u32_e32 v14, v10
	v_min_u32_e32 v14, 32, v14
	v_lshrrev_b32_e32 v11, 19, v17
	v_subrev_u32_e32 v15, 28, v14
	v_and_b32_e32 v11, 15, v11
	v_lshlrev_b32_sdwa v15, v15, v17 dst_sel:DWORD dst_unused:UNUSED_PAD src0_sel:DWORD src1_sel:WORD_1
	v_bfe_u32 v12, v17, 19, 4
	v_sub_u32_e32 v14, 29, v14
	v_and_b32_e32 v15, 7, v15
	v_cmp_eq_u16_e32 vcc, 0, v11
	v_cndmask_b32_e32 v10, v10, v15, vcc
	v_cndmask_b32_e32 v11, v12, v14, vcc
	v_lshlrev_b32_e32 v12, 8, v17
	v_mov_b32_e32 v14, 0x3b800000
	v_lshlrev_b32_e32 v10, 20, v10
	v_and_b32_e32 v12, 0x80000000, v12
	v_lshl_add_u32 v11, v11, 23, v14
	v_or3_b32 v10, v12, v11, v10
.LBB19_1396:
	s_or_b64 exec, exec, s[6:7]
	s_movk_i32 s4, 0xff
	v_and_b32_sdwa v11, v13, s4 dst_sel:DWORD dst_unused:UNUSED_PAD src0_sel:WORD_1 src1_sel:DWORD
	s_movk_i32 s4, 0x7f
	v_cmp_lt_i16_e32 vcc, s4, v11
	s_mov_b64 s[4:5], 0
                                        ; implicit-def: $sgpr10
	s_and_saveexec_b64 s[6:7], vcc
	s_xor_b64 s[6:7], exec, s[6:7]
	s_cbranch_execnz .LBB19_3445
; %bb.1397:
	s_or_saveexec_b64 s[6:7], s[6:7]
	v_mov_b32_e32 v12, s10
	s_xor_b64 exec, exec, s[6:7]
	s_cbranch_execnz .LBB19_3448
.LBB19_1398:
	s_or_b64 exec, exec, s[6:7]
	s_and_saveexec_b64 s[6:7], s[4:5]
	s_cbranch_execz .LBB19_1400
.LBB19_1399:
	v_bfe_u32 v11, v13, 16, 3
	v_ffbh_u32_e32 v15, v11
	v_min_u32_e32 v15, 32, v15
	v_lshrrev_b32_e32 v12, 19, v13
	v_subrev_u32_e32 v16, 28, v15
	v_and_b32_e32 v12, 15, v12
	v_lshlrev_b32_sdwa v16, v16, v13 dst_sel:DWORD dst_unused:UNUSED_PAD src0_sel:DWORD src1_sel:WORD_1
	v_bfe_u32 v14, v13, 19, 4
	v_sub_u32_e32 v15, 29, v15
	v_and_b32_e32 v16, 7, v16
	v_cmp_eq_u16_e32 vcc, 0, v12
	v_cndmask_b32_e32 v11, v11, v16, vcc
	v_cndmask_b32_e32 v12, v14, v15, vcc
	v_lshlrev_b32_e32 v14, 8, v13
	v_mov_b32_e32 v15, 0x3b800000
	v_lshlrev_b32_e32 v11, 20, v11
	v_and_b32_e32 v14, 0x80000000, v14
	v_lshl_add_u32 v12, v12, 23, v15
	v_or3_b32 v12, v14, v12, v11
.LBB19_1400:
	s_or_b64 exec, exec, s[6:7]
	s_nop 0
	v_mfma_f32_16x16x4f32 a[0:3], v10, v12, a[0:3]
	s_movk_i32 s4, 0x7f
	v_cmp_gt_i16_sdwa s[6:7], v17, s4 src0_sel:BYTE_3 src1_sel:DWORD
	s_mov_b64 s[4:5], 0
                                        ; implicit-def: $sgpr10
	s_and_saveexec_b64 s[8:9], s[6:7]
	s_xor_b64 s[6:7], exec, s[8:9]
	s_cbranch_execnz .LBB19_3449
; %bb.1401:
	s_or_saveexec_b64 s[6:7], s[6:7]
	v_mov_b32_e32 v10, s10
	s_xor_b64 exec, exec, s[6:7]
	s_cbranch_execnz .LBB19_3452
.LBB19_1402:
	s_or_b64 exec, exec, s[6:7]
	s_and_saveexec_b64 s[6:7], s[4:5]
	s_cbranch_execz .LBB19_1404
.LBB19_1403:
	v_bfe_u32 v10, v17, 24, 3
	v_ffbh_u32_e32 v15, v10
	v_min_u32_e32 v15, 32, v15
	v_lshrrev_b32_e32 v12, 27, v17
	v_subrev_u32_e32 v16, 28, v15
	v_and_b32_e32 v12, 15, v12
	v_lshlrev_b32_sdwa v16, v16, v17 dst_sel:DWORD dst_unused:UNUSED_PAD src0_sel:DWORD src1_sel:BYTE_3
	v_bfe_u32 v14, v17, 27, 4
	v_sub_u32_e32 v15, 29, v15
	v_and_b32_e32 v16, 7, v16
	v_cmp_eq_u16_e32 vcc, 0, v12
	v_cndmask_b32_e32 v10, v10, v16, vcc
	v_cndmask_b32_e32 v12, v14, v15, vcc
	v_mov_b32_e32 v14, 0x3b800000
	v_and_b32_e32 v11, 0x80000000, v17
	v_lshlrev_b32_e32 v10, 20, v10
	v_lshl_add_u32 v12, v12, 23, v14
	v_or3_b32 v10, v11, v12, v10
.LBB19_1404:
	s_or_b64 exec, exec, s[6:7]
	s_movk_i32 s4, 0x7f
	v_cmp_gt_i16_sdwa s[6:7], v13, s4 src0_sel:BYTE_3 src1_sel:DWORD
	s_mov_b64 s[4:5], 0
                                        ; implicit-def: $sgpr10
	s_and_saveexec_b64 s[8:9], s[6:7]
	s_xor_b64 s[6:7], exec, s[8:9]
	s_cbranch_execnz .LBB19_3453
; %bb.1405:
	s_or_saveexec_b64 s[6:7], s[6:7]
	v_mov_b32_e32 v11, s10
	s_xor_b64 exec, exec, s[6:7]
	s_cbranch_execnz .LBB19_3456
.LBB19_1406:
	s_or_b64 exec, exec, s[6:7]
	s_and_saveexec_b64 s[6:7], s[4:5]
	s_cbranch_execz .LBB19_1408
.LBB19_1407:
	v_bfe_u32 v11, v13, 24, 3
	v_ffbh_u32_e32 v16, v11
	v_min_u32_e32 v16, 32, v16
	v_lshrrev_b32_e32 v14, 27, v13
	v_subrev_u32_e32 v17, 28, v16
	v_and_b32_e32 v12, 0x80000000, v13
	v_and_b32_e32 v14, 15, v14
	v_bfe_u32 v15, v13, 27, 4
	v_lshlrev_b32_sdwa v13, v17, v13 dst_sel:DWORD dst_unused:UNUSED_PAD src0_sel:DWORD src1_sel:BYTE_3
	v_sub_u32_e32 v16, 29, v16
	v_and_b32_e32 v13, 7, v13
	v_cmp_eq_u16_e32 vcc, 0, v14
	v_cndmask_b32_e32 v11, v11, v13, vcc
	v_cndmask_b32_e32 v13, v15, v16, vcc
	v_mov_b32_e32 v14, 0x3b800000
	v_lshlrev_b32_e32 v11, 20, v11
	v_lshl_add_u32 v13, v13, 23, v14
	v_or3_b32 v11, v12, v13, v11
.LBB19_1408:
	s_or_b64 exec, exec, s[6:7]
	s_nop 0
	v_mfma_f32_16x16x4f32 a[0:3], v10, v11, a[0:3]
	s_movk_i32 s4, 0x7f
	v_cmp_gt_i16_sdwa s[6:7], v6, s4 src0_sel:BYTE_0 src1_sel:DWORD
	s_mov_b64 s[4:5], 0
                                        ; implicit-def: $sgpr10
	s_and_saveexec_b64 s[8:9], s[6:7]
	s_xor_b64 s[6:7], exec, s[8:9]
	s_cbranch_execnz .LBB19_3457
; %bb.1409:
	s_or_saveexec_b64 s[6:7], s[6:7]
	v_mov_b32_e32 v10, s10
	s_xor_b64 exec, exec, s[6:7]
	s_cbranch_execnz .LBB19_3460
.LBB19_1410:
	s_or_b64 exec, exec, s[6:7]
	s_and_saveexec_b64 s[6:7], s[4:5]
	s_cbranch_execz .LBB19_1412
.LBB19_1411:
	v_and_b32_e32 v10, 7, v6
	v_ffbh_u32_e32 v12, v10
	v_min_u32_e32 v12, 32, v12
	v_lshrrev_b16_e32 v11, 3, v6
	v_subrev_u32_e32 v13, 28, v12
	v_and_b32_e32 v11, 15, v11
	v_lshlrev_b32_e32 v13, v13, v6
	v_sub_u32_e32 v12, 29, v12
	v_and_b32_e32 v13, 7, v13
	v_cmp_eq_u16_e32 vcc, 0, v11
	v_cndmask_b32_e32 v10, v10, v13, vcc
	v_cndmask_b32_e32 v11, v11, v12, vcc
	v_lshlrev_b32_e32 v12, 24, v6
	v_mov_b32_e32 v13, 0x3b800000
	v_lshlrev_b32_e32 v10, 20, v10
	v_and_b32_e32 v12, 0x80000000, v12
	v_lshl_add_u32 v11, v11, 23, v13
	v_or3_b32 v10, v12, v11, v10
.LBB19_1412:
	s_or_b64 exec, exec, s[6:7]
	s_movk_i32 s4, 0x7f
	v_cmp_gt_i16_sdwa s[6:7], v2, s4 src0_sel:BYTE_0 src1_sel:DWORD
	s_mov_b64 s[4:5], 0
                                        ; implicit-def: $sgpr10
	s_and_saveexec_b64 s[8:9], s[6:7]
	s_xor_b64 s[6:7], exec, s[8:9]
	s_cbranch_execnz .LBB19_3461
; %bb.1413:
	s_or_saveexec_b64 s[6:7], s[6:7]
	v_mov_b32_e32 v11, s10
	s_xor_b64 exec, exec, s[6:7]
	s_cbranch_execnz .LBB19_3464
.LBB19_1414:
	s_or_b64 exec, exec, s[6:7]
	s_and_saveexec_b64 s[6:7], s[4:5]
	s_cbranch_execz .LBB19_1416
.LBB19_1415:
	v_and_b32_e32 v11, 7, v2
	v_ffbh_u32_e32 v13, v11
	v_min_u32_e32 v13, 32, v13
	v_lshrrev_b16_e32 v12, 3, v2
	v_subrev_u32_e32 v14, 28, v13
	v_and_b32_e32 v12, 15, v12
	v_lshlrev_b32_e32 v14, v14, v2
	v_sub_u32_e32 v13, 29, v13
	v_and_b32_e32 v14, 7, v14
	v_cmp_eq_u16_e32 vcc, 0, v12
	v_cndmask_b32_e32 v11, v11, v14, vcc
	v_cndmask_b32_e32 v12, v12, v13, vcc
	v_lshlrev_b32_e32 v13, 24, v2
	v_mov_b32_e32 v14, 0x3b800000
	v_lshlrev_b32_e32 v11, 20, v11
	v_and_b32_e32 v13, 0x80000000, v13
	v_lshl_add_u32 v12, v12, 23, v14
	v_or3_b32 v11, v13, v12, v11
.LBB19_1416:
	s_or_b64 exec, exec, s[6:7]
	s_nop 0
	v_mfma_f32_16x16x4f32 a[0:3], v10, v11, a[0:3]
	v_lshrrev_b32_e32 v11, 8, v6
	s_movk_i32 s4, 0x7f
	v_cmp_gt_i16_sdwa s[6:7], v11, s4 src0_sel:BYTE_0 src1_sel:DWORD
	s_mov_b64 s[4:5], 0
                                        ; implicit-def: $sgpr10
	s_and_saveexec_b64 s[8:9], s[6:7]
	s_xor_b64 s[6:7], exec, s[8:9]
	s_cbranch_execnz .LBB19_3465
; %bb.1417:
	s_or_saveexec_b64 s[6:7], s[6:7]
	v_mov_b32_e32 v10, s10
	s_xor_b64 exec, exec, s[6:7]
	s_cbranch_execnz .LBB19_3468
.LBB19_1418:
	s_or_b64 exec, exec, s[6:7]
	s_and_saveexec_b64 s[6:7], s[4:5]
	s_cbranch_execz .LBB19_1420
.LBB19_1419:
	v_bfe_u32 v10, v6, 8, 3
	v_ffbh_u32_e32 v13, v10
	v_min_u32_e32 v13, 32, v13
	v_lshrrev_b16_e32 v12, 3, v11
	v_subrev_u32_e32 v14, 28, v13
	v_and_b32_e32 v12, 15, v12
	v_lshlrev_b32_e32 v11, v14, v11
	v_sub_u32_e32 v13, 29, v13
	v_and_b32_e32 v11, 7, v11
	v_cmp_eq_u16_e32 vcc, 0, v12
	v_cndmask_b32_e32 v10, v10, v11, vcc
	v_cndmask_b32_e32 v11, v12, v13, vcc
	v_lshlrev_b32_e32 v12, 16, v6
	v_mov_b32_e32 v13, 0x3b800000
	v_lshlrev_b32_e32 v10, 20, v10
	v_and_b32_e32 v12, 0x80000000, v12
	v_lshl_add_u32 v11, v11, 23, v13
	v_or3_b32 v10, v12, v11, v10
.LBB19_1420:
	s_or_b64 exec, exec, s[6:7]
	v_lshrrev_b32_e32 v11, 8, v2
	s_movk_i32 s4, 0x7f
	v_cmp_gt_i16_sdwa s[6:7], v11, s4 src0_sel:BYTE_0 src1_sel:DWORD
	s_mov_b64 s[4:5], 0
                                        ; implicit-def: $sgpr10
	s_and_saveexec_b64 s[8:9], s[6:7]
	s_xor_b64 s[6:7], exec, s[8:9]
	s_cbranch_execnz .LBB19_3469
; %bb.1421:
	s_or_saveexec_b64 s[6:7], s[6:7]
	v_mov_b32_e32 v12, s10
	s_xor_b64 exec, exec, s[6:7]
	s_cbranch_execnz .LBB19_3472
.LBB19_1422:
	s_or_b64 exec, exec, s[6:7]
	s_and_saveexec_b64 s[6:7], s[4:5]
	s_cbranch_execz .LBB19_1424
.LBB19_1423:
	v_bfe_u32 v12, v2, 8, 3
	v_ffbh_u32_e32 v14, v12
	v_min_u32_e32 v14, 32, v14
	v_lshrrev_b16_e32 v13, 3, v11
	v_subrev_u32_e32 v15, 28, v14
	v_and_b32_e32 v13, 15, v13
	v_lshlrev_b32_e32 v11, v15, v11
	v_sub_u32_e32 v14, 29, v14
	v_and_b32_e32 v11, 7, v11
	v_cmp_eq_u16_e32 vcc, 0, v13
	v_cndmask_b32_e32 v11, v12, v11, vcc
	v_cndmask_b32_e32 v12, v13, v14, vcc
	v_lshlrev_b32_e32 v13, 16, v2
	v_mov_b32_e32 v14, 0x3b800000
	v_lshlrev_b32_e32 v11, 20, v11
	v_and_b32_e32 v13, 0x80000000, v13
	v_lshl_add_u32 v12, v12, 23, v14
	v_or3_b32 v12, v13, v12, v11
.LBB19_1424:
	s_or_b64 exec, exec, s[6:7]
	s_nop 0
	v_mfma_f32_16x16x4f32 a[0:3], v10, v12, a[0:3]
	s_movk_i32 s4, 0xff
	v_and_b32_sdwa v11, v6, s4 dst_sel:DWORD dst_unused:UNUSED_PAD src0_sel:WORD_1 src1_sel:DWORD
	s_movk_i32 s4, 0x7f
	v_cmp_lt_i16_e32 vcc, s4, v11
	s_mov_b64 s[4:5], 0
                                        ; implicit-def: $sgpr10
	s_and_saveexec_b64 s[6:7], vcc
	s_xor_b64 s[6:7], exec, s[6:7]
	s_cbranch_execnz .LBB19_3473
; %bb.1425:
	s_or_saveexec_b64 s[6:7], s[6:7]
	v_mov_b32_e32 v10, s10
	s_xor_b64 exec, exec, s[6:7]
	s_cbranch_execnz .LBB19_3476
.LBB19_1426:
	s_or_b64 exec, exec, s[6:7]
	s_and_saveexec_b64 s[6:7], s[4:5]
	s_cbranch_execz .LBB19_1428
.LBB19_1427:
	v_bfe_u32 v10, v6, 16, 3
	v_ffbh_u32_e32 v13, v10
	v_min_u32_e32 v13, 32, v13
	v_lshrrev_b32_e32 v11, 19, v6
	v_subrev_u32_e32 v14, 28, v13
	v_and_b32_e32 v11, 15, v11
	v_lshlrev_b32_sdwa v14, v14, v6 dst_sel:DWORD dst_unused:UNUSED_PAD src0_sel:DWORD src1_sel:WORD_1
	v_bfe_u32 v12, v6, 19, 4
	v_sub_u32_e32 v13, 29, v13
	v_and_b32_e32 v14, 7, v14
	v_cmp_eq_u16_e32 vcc, 0, v11
	v_cndmask_b32_e32 v10, v10, v14, vcc
	v_cndmask_b32_e32 v11, v12, v13, vcc
	v_lshlrev_b32_e32 v12, 8, v6
	v_mov_b32_e32 v13, 0x3b800000
	v_lshlrev_b32_e32 v10, 20, v10
	v_and_b32_e32 v12, 0x80000000, v12
	v_lshl_add_u32 v11, v11, 23, v13
	v_or3_b32 v10, v12, v11, v10
.LBB19_1428:
	s_or_b64 exec, exec, s[6:7]
	s_movk_i32 s4, 0xff
	v_and_b32_sdwa v11, v2, s4 dst_sel:DWORD dst_unused:UNUSED_PAD src0_sel:WORD_1 src1_sel:DWORD
	s_movk_i32 s4, 0x7f
	v_cmp_lt_i16_e32 vcc, s4, v11
	s_mov_b64 s[4:5], 0
                                        ; implicit-def: $sgpr10
	s_and_saveexec_b64 s[6:7], vcc
	s_xor_b64 s[6:7], exec, s[6:7]
	s_cbranch_execnz .LBB19_3477
; %bb.1429:
	s_or_saveexec_b64 s[6:7], s[6:7]
	v_mov_b32_e32 v12, s10
	s_xor_b64 exec, exec, s[6:7]
	s_cbranch_execnz .LBB19_3480
.LBB19_1430:
	s_or_b64 exec, exec, s[6:7]
	s_and_saveexec_b64 s[6:7], s[4:5]
	s_cbranch_execz .LBB19_1432
.LBB19_1431:
	v_bfe_u32 v11, v2, 16, 3
	v_ffbh_u32_e32 v14, v11
	v_min_u32_e32 v14, 32, v14
	v_lshrrev_b32_e32 v12, 19, v2
	v_subrev_u32_e32 v15, 28, v14
	v_and_b32_e32 v12, 15, v12
	v_lshlrev_b32_sdwa v15, v15, v2 dst_sel:DWORD dst_unused:UNUSED_PAD src0_sel:DWORD src1_sel:WORD_1
	v_bfe_u32 v13, v2, 19, 4
	v_sub_u32_e32 v14, 29, v14
	v_and_b32_e32 v15, 7, v15
	v_cmp_eq_u16_e32 vcc, 0, v12
	v_cndmask_b32_e32 v11, v11, v15, vcc
	v_cndmask_b32_e32 v12, v13, v14, vcc
	v_lshlrev_b32_e32 v13, 8, v2
	v_mov_b32_e32 v14, 0x3b800000
	v_lshlrev_b32_e32 v11, 20, v11
	v_and_b32_e32 v13, 0x80000000, v13
	v_lshl_add_u32 v12, v12, 23, v14
	v_or3_b32 v12, v13, v12, v11
.LBB19_1432:
	s_or_b64 exec, exec, s[6:7]
	s_nop 0
	v_mfma_f32_16x16x4f32 a[0:3], v10, v12, a[0:3]
	s_movk_i32 s4, 0x7f
	v_cmp_gt_i16_sdwa s[6:7], v6, s4 src0_sel:BYTE_3 src1_sel:DWORD
	s_mov_b64 s[4:5], 0
                                        ; implicit-def: $sgpr10
	s_and_saveexec_b64 s[8:9], s[6:7]
	s_xor_b64 s[6:7], exec, s[8:9]
	s_cbranch_execnz .LBB19_3481
; %bb.1433:
	s_or_saveexec_b64 s[6:7], s[6:7]
	v_mov_b32_e32 v10, s10
	s_xor_b64 exec, exec, s[6:7]
	s_cbranch_execnz .LBB19_3484
.LBB19_1434:
	s_or_b64 exec, exec, s[6:7]
	s_and_saveexec_b64 s[6:7], s[4:5]
	s_cbranch_execz .LBB19_1436
.LBB19_1435:
	v_bfe_u32 v10, v6, 24, 3
	v_ffbh_u32_e32 v14, v10
	v_min_u32_e32 v14, 32, v14
	v_lshrrev_b32_e32 v12, 27, v6
	v_subrev_u32_e32 v15, 28, v14
	v_and_b32_e32 v11, 0x80000000, v6
	v_and_b32_e32 v12, 15, v12
	v_bfe_u32 v13, v6, 27, 4
	v_lshlrev_b32_sdwa v6, v15, v6 dst_sel:DWORD dst_unused:UNUSED_PAD src0_sel:DWORD src1_sel:BYTE_3
	v_sub_u32_e32 v14, 29, v14
	v_and_b32_e32 v6, 7, v6
	v_cmp_eq_u16_e32 vcc, 0, v12
	v_cndmask_b32_e32 v6, v10, v6, vcc
	v_cndmask_b32_e32 v10, v13, v14, vcc
	v_mov_b32_e32 v12, 0x3b800000
	v_lshlrev_b32_e32 v6, 20, v6
	v_lshl_add_u32 v10, v10, 23, v12
	v_or3_b32 v10, v11, v10, v6
.LBB19_1436:
	s_or_b64 exec, exec, s[6:7]
	s_movk_i32 s4, 0x7f
	v_cmp_gt_i16_sdwa s[6:7], v2, s4 src0_sel:BYTE_3 src1_sel:DWORD
	s_mov_b64 s[4:5], 0
                                        ; implicit-def: $sgpr10
	s_and_saveexec_b64 s[8:9], s[6:7]
	s_xor_b64 s[6:7], exec, s[8:9]
	s_cbranch_execnz .LBB19_3485
; %bb.1437:
	s_or_saveexec_b64 s[6:7], s[6:7]
	v_mov_b32_e32 v6, s10
	s_xor_b64 exec, exec, s[6:7]
	s_cbranch_execnz .LBB19_3488
.LBB19_1438:
	s_or_b64 exec, exec, s[6:7]
	s_and_saveexec_b64 s[6:7], s[4:5]
	s_cbranch_execz .LBB19_1440
.LBB19_1439:
	v_bfe_u32 v6, v2, 24, 3
	v_ffbh_u32_e32 v14, v6
	v_min_u32_e32 v14, 32, v14
	v_lshrrev_b32_e32 v12, 27, v2
	v_subrev_u32_e32 v15, 28, v14
	v_and_b32_e32 v11, 0x80000000, v2
	v_and_b32_e32 v12, 15, v12
	v_bfe_u32 v13, v2, 27, 4
	v_lshlrev_b32_sdwa v2, v15, v2 dst_sel:DWORD dst_unused:UNUSED_PAD src0_sel:DWORD src1_sel:BYTE_3
	v_sub_u32_e32 v14, 29, v14
	v_and_b32_e32 v2, 7, v2
	v_cmp_eq_u16_e32 vcc, 0, v12
	v_cndmask_b32_e32 v2, v6, v2, vcc
	v_cndmask_b32_e32 v6, v13, v14, vcc
	v_mov_b32_e32 v12, 0x3b800000
	v_lshlrev_b32_e32 v2, 20, v2
	v_lshl_add_u32 v6, v6, 23, v12
	v_or3_b32 v6, v11, v6, v2
.LBB19_1440:
	s_or_b64 exec, exec, s[6:7]
	s_nop 0
	v_mfma_f32_16x16x4f32 a[0:3], v10, v6, a[0:3]
	s_movk_i32 s4, 0x7f
	v_cmp_gt_i16_sdwa s[6:7], v7, s4 src0_sel:BYTE_0 src1_sel:DWORD
	s_mov_b64 s[4:5], 0
                                        ; implicit-def: $sgpr10
	s_and_saveexec_b64 s[8:9], s[6:7]
	s_xor_b64 s[6:7], exec, s[8:9]
	s_cbranch_execnz .LBB19_3489
; %bb.1441:
	s_or_saveexec_b64 s[6:7], s[6:7]
	v_mov_b32_e32 v2, s10
	s_xor_b64 exec, exec, s[6:7]
	s_cbranch_execnz .LBB19_3492
.LBB19_1442:
	s_or_b64 exec, exec, s[6:7]
	s_and_saveexec_b64 s[6:7], s[4:5]
	s_cbranch_execz .LBB19_1444
.LBB19_1443:
	v_and_b32_e32 v2, 7, v7
	v_ffbh_u32_e32 v10, v2
	v_min_u32_e32 v10, 32, v10
	v_lshrrev_b16_e32 v6, 3, v7
	v_subrev_u32_e32 v11, 28, v10
	v_and_b32_e32 v6, 15, v6
	v_lshlrev_b32_e32 v11, v11, v7
	v_sub_u32_e32 v10, 29, v10
	v_and_b32_e32 v11, 7, v11
	v_cmp_eq_u16_e32 vcc, 0, v6
	v_cndmask_b32_e32 v2, v2, v11, vcc
	v_cndmask_b32_e32 v6, v6, v10, vcc
	v_lshlrev_b32_e32 v10, 24, v7
	v_mov_b32_e32 v11, 0x3b800000
	v_lshlrev_b32_e32 v2, 20, v2
	v_and_b32_e32 v10, 0x80000000, v10
	v_lshl_add_u32 v6, v6, 23, v11
	v_or3_b32 v2, v10, v6, v2
.LBB19_1444:
	s_or_b64 exec, exec, s[6:7]
	s_movk_i32 s4, 0x7f
	v_cmp_gt_i16_sdwa s[6:7], v3, s4 src0_sel:BYTE_0 src1_sel:DWORD
	s_mov_b64 s[4:5], 0
                                        ; implicit-def: $sgpr10
	s_and_saveexec_b64 s[8:9], s[6:7]
	s_xor_b64 s[6:7], exec, s[8:9]
	s_cbranch_execnz .LBB19_3493
; %bb.1445:
	s_or_saveexec_b64 s[6:7], s[6:7]
	v_mov_b32_e32 v6, s10
	s_xor_b64 exec, exec, s[6:7]
	s_cbranch_execnz .LBB19_3496
.LBB19_1446:
	s_or_b64 exec, exec, s[6:7]
	s_and_saveexec_b64 s[6:7], s[4:5]
	s_cbranch_execz .LBB19_1448
.LBB19_1447:
	v_and_b32_e32 v6, 7, v3
	v_ffbh_u32_e32 v11, v6
	v_min_u32_e32 v11, 32, v11
	v_lshrrev_b16_e32 v10, 3, v3
	v_subrev_u32_e32 v12, 28, v11
	v_and_b32_e32 v10, 15, v10
	v_lshlrev_b32_e32 v12, v12, v3
	v_sub_u32_e32 v11, 29, v11
	v_and_b32_e32 v12, 7, v12
	v_cmp_eq_u16_e32 vcc, 0, v10
	v_cndmask_b32_e32 v6, v6, v12, vcc
	v_cndmask_b32_e32 v10, v10, v11, vcc
	v_lshlrev_b32_e32 v11, 24, v3
	v_mov_b32_e32 v12, 0x3b800000
	v_lshlrev_b32_e32 v6, 20, v6
	v_and_b32_e32 v11, 0x80000000, v11
	v_lshl_add_u32 v10, v10, 23, v12
	v_or3_b32 v6, v11, v10, v6
.LBB19_1448:
	s_or_b64 exec, exec, s[6:7]
	s_nop 0
	v_mfma_f32_16x16x4f32 a[0:3], v2, v6, a[0:3]
	v_lshrrev_b32_e32 v6, 8, v7
	s_movk_i32 s4, 0x7f
	v_cmp_gt_i16_sdwa s[6:7], v6, s4 src0_sel:BYTE_0 src1_sel:DWORD
	s_mov_b64 s[4:5], 0
                                        ; implicit-def: $sgpr10
	s_and_saveexec_b64 s[8:9], s[6:7]
	s_xor_b64 s[6:7], exec, s[8:9]
	s_cbranch_execnz .LBB19_3497
; %bb.1449:
	s_or_saveexec_b64 s[6:7], s[6:7]
	v_mov_b32_e32 v2, s10
	s_xor_b64 exec, exec, s[6:7]
	s_cbranch_execnz .LBB19_3500
.LBB19_1450:
	s_or_b64 exec, exec, s[6:7]
	s_and_saveexec_b64 s[6:7], s[4:5]
	s_cbranch_execz .LBB19_1452
.LBB19_1451:
	v_bfe_u32 v2, v7, 8, 3
	v_ffbh_u32_e32 v11, v2
	v_min_u32_e32 v11, 32, v11
	v_lshrrev_b16_e32 v10, 3, v6
	v_subrev_u32_e32 v12, 28, v11
	v_and_b32_e32 v10, 15, v10
	v_lshlrev_b32_e32 v6, v12, v6
	v_sub_u32_e32 v11, 29, v11
	v_and_b32_e32 v6, 7, v6
	v_cmp_eq_u16_e32 vcc, 0, v10
	v_cndmask_b32_e32 v2, v2, v6, vcc
	v_cndmask_b32_e32 v6, v10, v11, vcc
	v_lshlrev_b32_e32 v10, 16, v7
	v_mov_b32_e32 v11, 0x3b800000
	v_lshlrev_b32_e32 v2, 20, v2
	v_and_b32_e32 v10, 0x80000000, v10
	v_lshl_add_u32 v6, v6, 23, v11
	v_or3_b32 v2, v10, v6, v2
.LBB19_1452:
	s_or_b64 exec, exec, s[6:7]
	v_lshrrev_b32_e32 v6, 8, v3
	s_movk_i32 s4, 0x7f
	v_cmp_gt_i16_sdwa s[6:7], v6, s4 src0_sel:BYTE_0 src1_sel:DWORD
	s_mov_b64 s[4:5], 0
                                        ; implicit-def: $sgpr10
	s_and_saveexec_b64 s[8:9], s[6:7]
	s_xor_b64 s[6:7], exec, s[8:9]
	s_cbranch_execnz .LBB19_3501
; %bb.1453:
	s_or_saveexec_b64 s[6:7], s[6:7]
	v_mov_b32_e32 v10, s10
	s_xor_b64 exec, exec, s[6:7]
	s_cbranch_execnz .LBB19_3504
.LBB19_1454:
	s_or_b64 exec, exec, s[6:7]
	s_and_saveexec_b64 s[6:7], s[4:5]
	s_cbranch_execz .LBB19_1456
.LBB19_1455:
	v_bfe_u32 v10, v3, 8, 3
	v_ffbh_u32_e32 v12, v10
	v_min_u32_e32 v12, 32, v12
	v_lshrrev_b16_e32 v11, 3, v6
	v_subrev_u32_e32 v13, 28, v12
	v_and_b32_e32 v11, 15, v11
	v_lshlrev_b32_e32 v6, v13, v6
	v_sub_u32_e32 v12, 29, v12
	v_and_b32_e32 v6, 7, v6
	v_cmp_eq_u16_e32 vcc, 0, v11
	v_cndmask_b32_e32 v6, v10, v6, vcc
	v_cndmask_b32_e32 v10, v11, v12, vcc
	v_lshlrev_b32_e32 v11, 16, v3
	v_mov_b32_e32 v12, 0x3b800000
	v_lshlrev_b32_e32 v6, 20, v6
	v_and_b32_e32 v11, 0x80000000, v11
	v_lshl_add_u32 v10, v10, 23, v12
	v_or3_b32 v10, v11, v10, v6
.LBB19_1456:
	s_or_b64 exec, exec, s[6:7]
	s_nop 0
	v_mfma_f32_16x16x4f32 a[0:3], v2, v10, a[0:3]
	s_movk_i32 s4, 0xff
	v_and_b32_sdwa v6, v7, s4 dst_sel:DWORD dst_unused:UNUSED_PAD src0_sel:WORD_1 src1_sel:DWORD
	s_movk_i32 s4, 0x7f
	v_cmp_lt_i16_e32 vcc, s4, v6
	s_mov_b64 s[4:5], 0
                                        ; implicit-def: $sgpr10
	s_and_saveexec_b64 s[6:7], vcc
	s_xor_b64 s[6:7], exec, s[6:7]
	s_cbranch_execnz .LBB19_3505
; %bb.1457:
	s_or_saveexec_b64 s[6:7], s[6:7]
	v_mov_b32_e32 v2, s10
	s_xor_b64 exec, exec, s[6:7]
	s_cbranch_execnz .LBB19_3508
.LBB19_1458:
	s_or_b64 exec, exec, s[6:7]
	s_and_saveexec_b64 s[6:7], s[4:5]
	s_cbranch_execz .LBB19_1460
.LBB19_1459:
	v_bfe_u32 v2, v7, 16, 3
	v_ffbh_u32_e32 v11, v2
	v_min_u32_e32 v11, 32, v11
	v_lshrrev_b32_e32 v6, 19, v7
	v_subrev_u32_e32 v12, 28, v11
	v_and_b32_e32 v6, 15, v6
	v_lshlrev_b32_sdwa v12, v12, v7 dst_sel:DWORD dst_unused:UNUSED_PAD src0_sel:DWORD src1_sel:WORD_1
	v_bfe_u32 v10, v7, 19, 4
	v_sub_u32_e32 v11, 29, v11
	v_and_b32_e32 v12, 7, v12
	v_cmp_eq_u16_e32 vcc, 0, v6
	v_cndmask_b32_e32 v2, v2, v12, vcc
	v_cndmask_b32_e32 v6, v10, v11, vcc
	v_lshlrev_b32_e32 v10, 8, v7
	v_mov_b32_e32 v11, 0x3b800000
	v_lshlrev_b32_e32 v2, 20, v2
	v_and_b32_e32 v10, 0x80000000, v10
	v_lshl_add_u32 v6, v6, 23, v11
	v_or3_b32 v2, v10, v6, v2
.LBB19_1460:
	s_or_b64 exec, exec, s[6:7]
	s_movk_i32 s4, 0xff
	v_and_b32_sdwa v6, v3, s4 dst_sel:DWORD dst_unused:UNUSED_PAD src0_sel:WORD_1 src1_sel:DWORD
	s_movk_i32 s4, 0x7f
	v_cmp_lt_i16_e32 vcc, s4, v6
	s_mov_b64 s[4:5], 0
                                        ; implicit-def: $sgpr10
	s_and_saveexec_b64 s[6:7], vcc
	s_xor_b64 s[6:7], exec, s[6:7]
	s_cbranch_execnz .LBB19_3509
; %bb.1461:
	s_or_saveexec_b64 s[6:7], s[6:7]
	v_mov_b32_e32 v10, s10
	s_xor_b64 exec, exec, s[6:7]
	s_cbranch_execnz .LBB19_3512
.LBB19_1462:
	s_or_b64 exec, exec, s[6:7]
	s_and_saveexec_b64 s[6:7], s[4:5]
	s_cbranch_execz .LBB19_1464
.LBB19_1463:
	v_bfe_u32 v6, v3, 16, 3
	v_ffbh_u32_e32 v12, v6
	v_min_u32_e32 v12, 32, v12
	v_lshrrev_b32_e32 v10, 19, v3
	v_subrev_u32_e32 v13, 28, v12
	v_and_b32_e32 v10, 15, v10
	v_lshlrev_b32_sdwa v13, v13, v3 dst_sel:DWORD dst_unused:UNUSED_PAD src0_sel:DWORD src1_sel:WORD_1
	v_bfe_u32 v11, v3, 19, 4
	v_sub_u32_e32 v12, 29, v12
	v_and_b32_e32 v13, 7, v13
	v_cmp_eq_u16_e32 vcc, 0, v10
	v_cndmask_b32_e32 v6, v6, v13, vcc
	v_cndmask_b32_e32 v10, v11, v12, vcc
	v_lshlrev_b32_e32 v11, 8, v3
	v_mov_b32_e32 v12, 0x3b800000
	v_lshlrev_b32_e32 v6, 20, v6
	v_and_b32_e32 v11, 0x80000000, v11
	v_lshl_add_u32 v10, v10, 23, v12
	v_or3_b32 v10, v11, v10, v6
.LBB19_1464:
	s_or_b64 exec, exec, s[6:7]
	s_nop 0
	v_mfma_f32_16x16x4f32 a[0:3], v2, v10, a[0:3]
	s_movk_i32 s4, 0x7f
	v_cmp_gt_i16_sdwa s[6:7], v7, s4 src0_sel:BYTE_3 src1_sel:DWORD
	s_mov_b64 s[4:5], 0
                                        ; implicit-def: $sgpr10
	s_and_saveexec_b64 s[8:9], s[6:7]
	s_xor_b64 s[6:7], exec, s[8:9]
	s_cbranch_execnz .LBB19_3513
; %bb.1465:
	s_or_saveexec_b64 s[6:7], s[6:7]
	v_mov_b32_e32 v2, s10
	s_xor_b64 exec, exec, s[6:7]
	s_cbranch_execnz .LBB19_3516
.LBB19_1466:
	s_or_b64 exec, exec, s[6:7]
	s_and_saveexec_b64 s[6:7], s[4:5]
	s_cbranch_execz .LBB19_1468
.LBB19_1467:
	v_bfe_u32 v2, v7, 24, 3
	v_ffbh_u32_e32 v12, v2
	v_min_u32_e32 v12, 32, v12
	v_lshrrev_b32_e32 v10, 27, v7
	v_subrev_u32_e32 v13, 28, v12
	v_and_b32_e32 v6, 0x80000000, v7
	v_and_b32_e32 v10, 15, v10
	v_bfe_u32 v11, v7, 27, 4
	v_lshlrev_b32_sdwa v7, v13, v7 dst_sel:DWORD dst_unused:UNUSED_PAD src0_sel:DWORD src1_sel:BYTE_3
	v_sub_u32_e32 v12, 29, v12
	v_and_b32_e32 v7, 7, v7
	v_cmp_eq_u16_e32 vcc, 0, v10
	v_cndmask_b32_e32 v2, v2, v7, vcc
	v_cndmask_b32_e32 v7, v11, v12, vcc
	v_mov_b32_e32 v10, 0x3b800000
	v_lshlrev_b32_e32 v2, 20, v2
	v_lshl_add_u32 v7, v7, 23, v10
	v_or3_b32 v2, v6, v7, v2
.LBB19_1468:
	s_or_b64 exec, exec, s[6:7]
	s_movk_i32 s4, 0x7f
	v_cmp_gt_i16_sdwa s[6:7], v3, s4 src0_sel:BYTE_3 src1_sel:DWORD
	s_mov_b64 s[4:5], 0
                                        ; implicit-def: $sgpr10
	s_and_saveexec_b64 s[8:9], s[6:7]
	s_xor_b64 s[6:7], exec, s[8:9]
	s_cbranch_execnz .LBB19_3517
; %bb.1469:
	s_or_saveexec_b64 s[6:7], s[6:7]
	v_mov_b32_e32 v6, s10
	s_xor_b64 exec, exec, s[6:7]
	s_cbranch_execnz .LBB19_3520
.LBB19_1470:
	s_or_b64 exec, exec, s[6:7]
	s_and_saveexec_b64 s[6:7], s[4:5]
	s_cbranch_execz .LBB19_1472
.LBB19_1471:
	v_bfe_u32 v6, v3, 24, 3
	v_ffbh_u32_e32 v12, v6
	v_min_u32_e32 v12, 32, v12
	v_lshrrev_b32_e32 v10, 27, v3
	v_subrev_u32_e32 v13, 28, v12
	v_and_b32_e32 v7, 0x80000000, v3
	v_and_b32_e32 v10, 15, v10
	v_bfe_u32 v11, v3, 27, 4
	v_lshlrev_b32_sdwa v3, v13, v3 dst_sel:DWORD dst_unused:UNUSED_PAD src0_sel:DWORD src1_sel:BYTE_3
	v_sub_u32_e32 v12, 29, v12
	v_and_b32_e32 v3, 7, v3
	v_cmp_eq_u16_e32 vcc, 0, v10
	v_cndmask_b32_e32 v3, v6, v3, vcc
	v_cndmask_b32_e32 v6, v11, v12, vcc
	v_mov_b32_e32 v10, 0x3b800000
	v_lshlrev_b32_e32 v3, 20, v3
	v_lshl_add_u32 v6, v6, 23, v10
	v_or3_b32 v6, v7, v6, v3
.LBB19_1472:
	s_or_b64 exec, exec, s[6:7]
	s_nop 0
	v_mfma_f32_16x16x4f32 a[0:3], v2, v6, a[0:3]
	s_movk_i32 s4, 0x7f
	v_cmp_gt_i16_sdwa s[6:7], v8, s4 src0_sel:BYTE_0 src1_sel:DWORD
	s_mov_b64 s[4:5], 0
                                        ; implicit-def: $sgpr10
	s_and_saveexec_b64 s[8:9], s[6:7]
	s_xor_b64 s[6:7], exec, s[8:9]
	s_cbranch_execnz .LBB19_3521
; %bb.1473:
	s_or_saveexec_b64 s[6:7], s[6:7]
	v_mov_b32_e32 v2, s10
	s_xor_b64 exec, exec, s[6:7]
	s_cbranch_execnz .LBB19_3524
.LBB19_1474:
	s_or_b64 exec, exec, s[6:7]
	s_and_saveexec_b64 s[6:7], s[4:5]
	s_cbranch_execz .LBB19_1476
.LBB19_1475:
	v_and_b32_e32 v2, 7, v8
	v_ffbh_u32_e32 v6, v2
	v_min_u32_e32 v6, 32, v6
	v_lshrrev_b16_e32 v3, 3, v8
	v_subrev_u32_e32 v7, 28, v6
	v_and_b32_e32 v3, 15, v3
	v_lshlrev_b32_e32 v7, v7, v8
	v_sub_u32_e32 v6, 29, v6
	v_and_b32_e32 v7, 7, v7
	v_cmp_eq_u16_e32 vcc, 0, v3
	v_cndmask_b32_e32 v2, v2, v7, vcc
	v_cndmask_b32_e32 v3, v3, v6, vcc
	v_lshlrev_b32_e32 v6, 24, v8
	v_mov_b32_e32 v7, 0x3b800000
	v_lshlrev_b32_e32 v2, 20, v2
	v_and_b32_e32 v6, 0x80000000, v6
	v_lshl_add_u32 v3, v3, 23, v7
	v_or3_b32 v2, v6, v3, v2
.LBB19_1476:
	s_or_b64 exec, exec, s[6:7]
	s_movk_i32 s4, 0x7f
	v_cmp_gt_i16_sdwa s[6:7], v4, s4 src0_sel:BYTE_0 src1_sel:DWORD
	s_mov_b64 s[4:5], 0
                                        ; implicit-def: $sgpr10
	s_and_saveexec_b64 s[8:9], s[6:7]
	s_xor_b64 s[6:7], exec, s[8:9]
	s_cbranch_execnz .LBB19_3525
; %bb.1477:
	s_or_saveexec_b64 s[6:7], s[6:7]
	v_mov_b32_e32 v3, s10
	s_xor_b64 exec, exec, s[6:7]
	s_cbranch_execnz .LBB19_3528
.LBB19_1478:
	s_or_b64 exec, exec, s[6:7]
	s_and_saveexec_b64 s[6:7], s[4:5]
	s_cbranch_execz .LBB19_1480
.LBB19_1479:
	v_and_b32_e32 v3, 7, v4
	v_ffbh_u32_e32 v7, v3
	v_min_u32_e32 v7, 32, v7
	v_lshrrev_b16_e32 v6, 3, v4
	v_subrev_u32_e32 v10, 28, v7
	v_and_b32_e32 v6, 15, v6
	v_lshlrev_b32_e32 v10, v10, v4
	v_sub_u32_e32 v7, 29, v7
	v_and_b32_e32 v10, 7, v10
	v_cmp_eq_u16_e32 vcc, 0, v6
	v_cndmask_b32_e32 v3, v3, v10, vcc
	v_cndmask_b32_e32 v6, v6, v7, vcc
	v_lshlrev_b32_e32 v7, 24, v4
	v_mov_b32_e32 v10, 0x3b800000
	v_lshlrev_b32_e32 v3, 20, v3
	v_and_b32_e32 v7, 0x80000000, v7
	v_lshl_add_u32 v6, v6, 23, v10
	v_or3_b32 v3, v7, v6, v3
.LBB19_1480:
	s_or_b64 exec, exec, s[6:7]
	s_nop 0
	v_mfma_f32_16x16x4f32 a[0:3], v2, v3, a[0:3]
	v_lshrrev_b32_e32 v3, 8, v8
	s_movk_i32 s4, 0x7f
	v_cmp_gt_i16_sdwa s[6:7], v3, s4 src0_sel:BYTE_0 src1_sel:DWORD
	s_mov_b64 s[4:5], 0
                                        ; implicit-def: $sgpr10
	s_and_saveexec_b64 s[8:9], s[6:7]
	s_xor_b64 s[6:7], exec, s[8:9]
	s_cbranch_execnz .LBB19_3529
; %bb.1481:
	s_or_saveexec_b64 s[6:7], s[6:7]
	v_mov_b32_e32 v2, s10
	s_xor_b64 exec, exec, s[6:7]
	s_cbranch_execnz .LBB19_3532
.LBB19_1482:
	s_or_b64 exec, exec, s[6:7]
	s_and_saveexec_b64 s[6:7], s[4:5]
	s_cbranch_execz .LBB19_1484
.LBB19_1483:
	v_bfe_u32 v2, v8, 8, 3
	v_ffbh_u32_e32 v7, v2
	v_min_u32_e32 v7, 32, v7
	v_lshrrev_b16_e32 v6, 3, v3
	v_subrev_u32_e32 v10, 28, v7
	v_and_b32_e32 v6, 15, v6
	v_lshlrev_b32_e32 v3, v10, v3
	v_sub_u32_e32 v7, 29, v7
	v_and_b32_e32 v3, 7, v3
	v_cmp_eq_u16_e32 vcc, 0, v6
	v_cndmask_b32_e32 v2, v2, v3, vcc
	v_cndmask_b32_e32 v3, v6, v7, vcc
	v_lshlrev_b32_e32 v6, 16, v8
	v_mov_b32_e32 v7, 0x3b800000
	v_lshlrev_b32_e32 v2, 20, v2
	v_and_b32_e32 v6, 0x80000000, v6
	v_lshl_add_u32 v3, v3, 23, v7
	v_or3_b32 v2, v6, v3, v2
.LBB19_1484:
	s_or_b64 exec, exec, s[6:7]
	v_lshrrev_b32_e32 v3, 8, v4
	s_movk_i32 s4, 0x7f
	v_cmp_gt_i16_sdwa s[6:7], v3, s4 src0_sel:BYTE_0 src1_sel:DWORD
	s_mov_b64 s[4:5], 0
                                        ; implicit-def: $sgpr10
	s_and_saveexec_b64 s[8:9], s[6:7]
	s_xor_b64 s[6:7], exec, s[8:9]
	s_cbranch_execnz .LBB19_3533
; %bb.1485:
	s_or_saveexec_b64 s[6:7], s[6:7]
	v_mov_b32_e32 v6, s10
	s_xor_b64 exec, exec, s[6:7]
	s_cbranch_execnz .LBB19_3536
.LBB19_1486:
	s_or_b64 exec, exec, s[6:7]
	s_and_saveexec_b64 s[6:7], s[4:5]
	s_cbranch_execz .LBB19_1488
.LBB19_1487:
	v_bfe_u32 v6, v4, 8, 3
	v_ffbh_u32_e32 v10, v6
	v_min_u32_e32 v10, 32, v10
	v_lshrrev_b16_e32 v7, 3, v3
	v_subrev_u32_e32 v11, 28, v10
	v_and_b32_e32 v7, 15, v7
	v_lshlrev_b32_e32 v3, v11, v3
	v_sub_u32_e32 v10, 29, v10
	v_and_b32_e32 v3, 7, v3
	v_cmp_eq_u16_e32 vcc, 0, v7
	v_cndmask_b32_e32 v3, v6, v3, vcc
	v_cndmask_b32_e32 v6, v7, v10, vcc
	v_lshlrev_b32_e32 v7, 16, v4
	v_mov_b32_e32 v10, 0x3b800000
	v_lshlrev_b32_e32 v3, 20, v3
	v_and_b32_e32 v7, 0x80000000, v7
	v_lshl_add_u32 v6, v6, 23, v10
	v_or3_b32 v6, v7, v6, v3
.LBB19_1488:
	s_or_b64 exec, exec, s[6:7]
	s_nop 0
	v_mfma_f32_16x16x4f32 a[0:3], v2, v6, a[0:3]
	s_movk_i32 s4, 0xff
	v_and_b32_sdwa v3, v8, s4 dst_sel:DWORD dst_unused:UNUSED_PAD src0_sel:WORD_1 src1_sel:DWORD
	s_movk_i32 s4, 0x7f
	v_cmp_lt_i16_e32 vcc, s4, v3
	s_mov_b64 s[4:5], 0
                                        ; implicit-def: $sgpr10
	s_and_saveexec_b64 s[6:7], vcc
	s_xor_b64 s[6:7], exec, s[6:7]
	s_cbranch_execnz .LBB19_3537
; %bb.1489:
	s_or_saveexec_b64 s[6:7], s[6:7]
	v_mov_b32_e32 v2, s10
	s_xor_b64 exec, exec, s[6:7]
	s_cbranch_execnz .LBB19_3540
.LBB19_1490:
	s_or_b64 exec, exec, s[6:7]
	s_and_saveexec_b64 s[6:7], s[4:5]
	s_cbranch_execz .LBB19_1492
.LBB19_1491:
	v_bfe_u32 v2, v8, 16, 3
	v_ffbh_u32_e32 v7, v2
	v_min_u32_e32 v7, 32, v7
	v_lshrrev_b32_e32 v3, 19, v8
	v_subrev_u32_e32 v10, 28, v7
	v_and_b32_e32 v3, 15, v3
	v_lshlrev_b32_sdwa v10, v10, v8 dst_sel:DWORD dst_unused:UNUSED_PAD src0_sel:DWORD src1_sel:WORD_1
	v_bfe_u32 v6, v8, 19, 4
	v_sub_u32_e32 v7, 29, v7
	v_and_b32_e32 v10, 7, v10
	v_cmp_eq_u16_e32 vcc, 0, v3
	v_cndmask_b32_e32 v2, v2, v10, vcc
	v_cndmask_b32_e32 v3, v6, v7, vcc
	v_lshlrev_b32_e32 v6, 8, v8
	v_mov_b32_e32 v7, 0x3b800000
	v_lshlrev_b32_e32 v2, 20, v2
	v_and_b32_e32 v6, 0x80000000, v6
	v_lshl_add_u32 v3, v3, 23, v7
	v_or3_b32 v2, v6, v3, v2
.LBB19_1492:
	s_or_b64 exec, exec, s[6:7]
	s_movk_i32 s4, 0xff
	v_and_b32_sdwa v3, v4, s4 dst_sel:DWORD dst_unused:UNUSED_PAD src0_sel:WORD_1 src1_sel:DWORD
	s_movk_i32 s4, 0x7f
	v_cmp_lt_i16_e32 vcc, s4, v3
	s_mov_b64 s[4:5], 0
                                        ; implicit-def: $sgpr10
	s_and_saveexec_b64 s[6:7], vcc
	s_xor_b64 s[6:7], exec, s[6:7]
	s_cbranch_execnz .LBB19_3541
; %bb.1493:
	s_or_saveexec_b64 s[6:7], s[6:7]
	v_mov_b32_e32 v6, s10
	s_xor_b64 exec, exec, s[6:7]
	s_cbranch_execnz .LBB19_3544
.LBB19_1494:
	s_or_b64 exec, exec, s[6:7]
	s_and_saveexec_b64 s[6:7], s[4:5]
	s_cbranch_execz .LBB19_1496
.LBB19_1495:
	v_bfe_u32 v3, v4, 16, 3
	v_ffbh_u32_e32 v10, v3
	v_min_u32_e32 v10, 32, v10
	v_lshrrev_b32_e32 v6, 19, v4
	v_subrev_u32_e32 v11, 28, v10
	v_and_b32_e32 v6, 15, v6
	v_lshlrev_b32_sdwa v11, v11, v4 dst_sel:DWORD dst_unused:UNUSED_PAD src0_sel:DWORD src1_sel:WORD_1
	v_bfe_u32 v7, v4, 19, 4
	v_sub_u32_e32 v10, 29, v10
	v_and_b32_e32 v11, 7, v11
	v_cmp_eq_u16_e32 vcc, 0, v6
	v_cndmask_b32_e32 v3, v3, v11, vcc
	v_cndmask_b32_e32 v6, v7, v10, vcc
	v_lshlrev_b32_e32 v7, 8, v4
	v_mov_b32_e32 v10, 0x3b800000
	v_lshlrev_b32_e32 v3, 20, v3
	v_and_b32_e32 v7, 0x80000000, v7
	v_lshl_add_u32 v6, v6, 23, v10
	v_or3_b32 v6, v7, v6, v3
.LBB19_1496:
	s_or_b64 exec, exec, s[6:7]
	s_nop 0
	v_mfma_f32_16x16x4f32 a[0:3], v2, v6, a[0:3]
	s_movk_i32 s4, 0x7f
	v_cmp_gt_i16_sdwa s[6:7], v8, s4 src0_sel:BYTE_3 src1_sel:DWORD
	s_mov_b64 s[4:5], 0
                                        ; implicit-def: $sgpr10
	s_and_saveexec_b64 s[8:9], s[6:7]
	s_xor_b64 s[6:7], exec, s[8:9]
	s_cbranch_execnz .LBB19_3545
; %bb.1497:
	s_or_saveexec_b64 s[6:7], s[6:7]
	v_mov_b32_e32 v2, s10
	s_xor_b64 exec, exec, s[6:7]
	s_cbranch_execnz .LBB19_3548
.LBB19_1498:
	s_or_b64 exec, exec, s[6:7]
	s_and_saveexec_b64 s[6:7], s[4:5]
	s_cbranch_execz .LBB19_1500
.LBB19_1499:
	v_bfe_u32 v2, v8, 24, 3
	v_ffbh_u32_e32 v10, v2
	v_min_u32_e32 v10, 32, v10
	v_lshrrev_b32_e32 v6, 27, v8
	v_subrev_u32_e32 v11, 28, v10
	v_and_b32_e32 v3, 0x80000000, v8
	v_and_b32_e32 v6, 15, v6
	v_bfe_u32 v7, v8, 27, 4
	v_lshlrev_b32_sdwa v8, v11, v8 dst_sel:DWORD dst_unused:UNUSED_PAD src0_sel:DWORD src1_sel:BYTE_3
	v_sub_u32_e32 v10, 29, v10
	v_and_b32_e32 v8, 7, v8
	v_cmp_eq_u16_e32 vcc, 0, v6
	v_cndmask_b32_e32 v2, v2, v8, vcc
	v_cndmask_b32_e32 v6, v7, v10, vcc
	v_mov_b32_e32 v7, 0x3b800000
	v_lshlrev_b32_e32 v2, 20, v2
	v_lshl_add_u32 v6, v6, 23, v7
	v_or3_b32 v2, v3, v6, v2
.LBB19_1500:
	s_or_b64 exec, exec, s[6:7]
	s_movk_i32 s4, 0x7f
	v_cmp_gt_i16_sdwa s[6:7], v4, s4 src0_sel:BYTE_3 src1_sel:DWORD
	s_mov_b64 s[4:5], 0
                                        ; implicit-def: $sgpr10
	s_and_saveexec_b64 s[8:9], s[6:7]
	s_xor_b64 s[6:7], exec, s[8:9]
	s_cbranch_execnz .LBB19_3549
; %bb.1501:
	s_or_saveexec_b64 s[6:7], s[6:7]
	v_mov_b32_e32 v3, s10
	s_xor_b64 exec, exec, s[6:7]
	s_cbranch_execnz .LBB19_3552
.LBB19_1502:
	s_or_b64 exec, exec, s[6:7]
	s_and_saveexec_b64 s[6:7], s[4:5]
	s_cbranch_execz .LBB19_1504
.LBB19_1503:
	v_bfe_u32 v3, v4, 24, 3
	v_ffbh_u32_e32 v10, v3
	v_min_u32_e32 v10, 32, v10
	v_lshrrev_b32_e32 v7, 27, v4
	v_subrev_u32_e32 v11, 28, v10
	v_and_b32_e32 v6, 0x80000000, v4
	v_and_b32_e32 v7, 15, v7
	v_bfe_u32 v8, v4, 27, 4
	v_lshlrev_b32_sdwa v4, v11, v4 dst_sel:DWORD dst_unused:UNUSED_PAD src0_sel:DWORD src1_sel:BYTE_3
	v_sub_u32_e32 v10, 29, v10
	v_and_b32_e32 v4, 7, v4
	v_cmp_eq_u16_e32 vcc, 0, v7
	v_cndmask_b32_e32 v3, v3, v4, vcc
	v_cndmask_b32_e32 v4, v8, v10, vcc
	v_mov_b32_e32 v7, 0x3b800000
	v_lshlrev_b32_e32 v3, 20, v3
	v_lshl_add_u32 v4, v4, 23, v7
	v_or3_b32 v3, v6, v4, v3
.LBB19_1504:
	s_or_b64 exec, exec, s[6:7]
	s_nop 0
	v_mfma_f32_16x16x4f32 a[0:3], v2, v3, a[0:3]
	s_movk_i32 s4, 0x7f
	v_cmp_gt_i16_sdwa s[6:7], v9, s4 src0_sel:BYTE_0 src1_sel:DWORD
	s_mov_b64 s[4:5], 0
                                        ; implicit-def: $sgpr10
	s_and_saveexec_b64 s[8:9], s[6:7]
	s_xor_b64 s[6:7], exec, s[8:9]
	s_cbranch_execnz .LBB19_3553
; %bb.1505:
	s_or_saveexec_b64 s[6:7], s[6:7]
	v_mov_b32_e32 v2, s10
	s_xor_b64 exec, exec, s[6:7]
	s_cbranch_execnz .LBB19_3556
.LBB19_1506:
	s_or_b64 exec, exec, s[6:7]
	s_and_saveexec_b64 s[6:7], s[4:5]
	s_cbranch_execz .LBB19_1508
.LBB19_1507:
	v_mov_b32_e32 v2, 8
	v_and_b32_e32 v3, 7, v9
	v_lshrrev_b32_sdwa v2, v2, v9 dst_sel:BYTE_1 dst_unused:UNUSED_PAD src0_sel:DWORD src1_sel:DWORD
	v_ffbh_u32_e32 v4, v3
	v_or_b32_sdwa v2, v9, v2 dst_sel:DWORD dst_unused:UNUSED_PAD src0_sel:BYTE_0 src1_sel:DWORD
	v_min_u32_e32 v4, 32, v4
	v_lshrrev_b16_e32 v2, 3, v2
	v_subrev_u32_e32 v6, 28, v4
	v_and_b32_e32 v2, 15, v2
	v_lshlrev_b32_e32 v6, v6, v9
	v_sub_u32_e32 v4, 29, v4
	v_and_b32_e32 v6, 7, v6
	v_cmp_eq_u16_e32 vcc, 0, v2
	v_cndmask_b32_e32 v3, v3, v6, vcc
	v_cndmask_b32_e32 v2, v2, v4, vcc
	v_lshlrev_b32_e32 v4, 24, v9
	v_mov_b32_e32 v6, 0x3b800000
	v_lshlrev_b32_e32 v3, 20, v3
	v_and_b32_e32 v4, 0x80000000, v4
	v_lshl_add_u32 v2, v2, 23, v6
	v_or3_b32 v2, v4, v2, v3
.LBB19_1508:
	s_or_b64 exec, exec, s[6:7]
	s_movk_i32 s4, 0x7f
	v_cmp_gt_i16_sdwa s[6:7], v5, s4 src0_sel:BYTE_0 src1_sel:DWORD
	s_mov_b64 s[4:5], 0
                                        ; implicit-def: $sgpr10
	s_and_saveexec_b64 s[8:9], s[6:7]
	s_xor_b64 s[6:7], exec, s[8:9]
	s_cbranch_execnz .LBB19_3557
; %bb.1509:
	s_or_saveexec_b64 s[6:7], s[6:7]
	v_mov_b32_e32 v3, s10
	s_xor_b64 exec, exec, s[6:7]
	s_cbranch_execnz .LBB19_3560
.LBB19_1510:
	s_or_b64 exec, exec, s[6:7]
	s_and_saveexec_b64 s[6:7], s[4:5]
	s_cbranch_execz .LBB19_1512
.LBB19_1511:
	v_mov_b32_e32 v3, 8
	v_and_b32_e32 v4, 7, v5
	v_lshrrev_b32_sdwa v3, v3, v5 dst_sel:BYTE_1 dst_unused:UNUSED_PAD src0_sel:DWORD src1_sel:DWORD
	v_ffbh_u32_e32 v6, v4
	v_or_b32_sdwa v3, v5, v3 dst_sel:DWORD dst_unused:UNUSED_PAD src0_sel:BYTE_0 src1_sel:DWORD
	v_min_u32_e32 v6, 32, v6
	v_lshrrev_b16_e32 v3, 3, v3
	v_subrev_u32_e32 v7, 28, v6
	v_and_b32_e32 v3, 15, v3
	v_lshlrev_b32_e32 v7, v7, v5
	v_sub_u32_e32 v6, 29, v6
	v_and_b32_e32 v7, 7, v7
	v_cmp_eq_u16_e32 vcc, 0, v3
	v_cndmask_b32_e32 v4, v4, v7, vcc
	v_cndmask_b32_e32 v3, v3, v6, vcc
	v_lshlrev_b32_e32 v6, 24, v5
	v_mov_b32_e32 v7, 0x3b800000
	v_lshlrev_b32_e32 v4, 20, v4
	v_and_b32_e32 v6, 0x80000000, v6
	v_lshl_add_u32 v3, v3, 23, v7
	v_or3_b32 v3, v6, v3, v4
.LBB19_1512:
	s_or_b64 exec, exec, s[6:7]
	s_nop 0
	v_mfma_f32_16x16x4f32 a[0:3], v2, v3, a[0:3]
	v_lshrrev_b32_e32 v3, 8, v9
	s_movk_i32 s4, 0x7f
	v_cmp_gt_i16_sdwa s[6:7], v3, s4 src0_sel:BYTE_0 src1_sel:DWORD
	s_mov_b64 s[4:5], 0
                                        ; implicit-def: $sgpr10
	s_and_saveexec_b64 s[8:9], s[6:7]
	s_xor_b64 s[6:7], exec, s[8:9]
	s_cbranch_execnz .LBB19_3561
; %bb.1513:
	s_or_saveexec_b64 s[6:7], s[6:7]
	v_mov_b32_e32 v2, s10
	s_xor_b64 exec, exec, s[6:7]
	s_cbranch_execnz .LBB19_3564
.LBB19_1514:
	s_or_b64 exec, exec, s[6:7]
	s_and_saveexec_b64 s[6:7], s[4:5]
	s_cbranch_execz .LBB19_1516
.LBB19_1515:
	v_bfe_u32 v2, v9, 8, 3
	v_ffbh_u32_e32 v6, v2
	v_min_u32_e32 v6, 32, v6
	v_lshrrev_b16_e32 v4, 3, v3
	v_subrev_u32_e32 v7, 28, v6
	v_and_b32_e32 v4, 15, v4
	v_lshlrev_b32_e32 v3, v7, v3
	v_sub_u32_e32 v6, 29, v6
	v_and_b32_e32 v3, 7, v3
	v_cmp_eq_u16_e32 vcc, 0, v4
	v_cndmask_b32_e32 v2, v2, v3, vcc
	v_cndmask_b32_e32 v3, v4, v6, vcc
	v_lshlrev_b32_e32 v4, 16, v9
	v_mov_b32_e32 v6, 0x3b800000
	v_lshlrev_b32_e32 v2, 20, v2
	v_and_b32_e32 v4, 0x80000000, v4
	v_lshl_add_u32 v3, v3, 23, v6
	v_or3_b32 v2, v4, v3, v2
.LBB19_1516:
	s_or_b64 exec, exec, s[6:7]
	v_lshrrev_b32_e32 v3, 8, v5
	s_movk_i32 s4, 0x7f
	v_cmp_gt_i16_sdwa s[6:7], v3, s4 src0_sel:BYTE_0 src1_sel:DWORD
	s_mov_b64 s[4:5], 0
                                        ; implicit-def: $sgpr10
	s_and_saveexec_b64 s[8:9], s[6:7]
	s_xor_b64 s[6:7], exec, s[8:9]
	s_cbranch_execnz .LBB19_3565
; %bb.1517:
	s_or_saveexec_b64 s[6:7], s[6:7]
	v_mov_b32_e32 v4, s10
	s_xor_b64 exec, exec, s[6:7]
	s_cbranch_execnz .LBB19_3568
.LBB19_1518:
	s_or_b64 exec, exec, s[6:7]
	s_and_saveexec_b64 s[6:7], s[4:5]
	s_cbranch_execz .LBB19_1520
.LBB19_1519:
	v_bfe_u32 v4, v5, 8, 3
	v_ffbh_u32_e32 v7, v4
	v_min_u32_e32 v7, 32, v7
	v_lshrrev_b16_e32 v6, 3, v3
	v_subrev_u32_e32 v8, 28, v7
	v_and_b32_e32 v6, 15, v6
	v_lshlrev_b32_e32 v3, v8, v3
	v_sub_u32_e32 v7, 29, v7
	v_and_b32_e32 v3, 7, v3
	v_cmp_eq_u16_e32 vcc, 0, v6
	v_cndmask_b32_e32 v3, v4, v3, vcc
	v_cndmask_b32_e32 v4, v6, v7, vcc
	v_lshlrev_b32_e32 v6, 16, v5
	v_mov_b32_e32 v7, 0x3b800000
	v_lshlrev_b32_e32 v3, 20, v3
	v_and_b32_e32 v6, 0x80000000, v6
	v_lshl_add_u32 v4, v4, 23, v7
	v_or3_b32 v4, v6, v4, v3
.LBB19_1520:
	s_or_b64 exec, exec, s[6:7]
	s_nop 0
	v_mfma_f32_16x16x4f32 a[0:3], v2, v4, a[0:3]
	s_movk_i32 s4, 0xff
	v_and_b32_sdwa v3, v9, s4 dst_sel:DWORD dst_unused:UNUSED_PAD src0_sel:WORD_1 src1_sel:DWORD
	s_movk_i32 s4, 0x7f
	v_cmp_lt_i16_e32 vcc, s4, v3
	s_mov_b64 s[4:5], 0
                                        ; implicit-def: $sgpr10
	s_and_saveexec_b64 s[6:7], vcc
	s_xor_b64 s[6:7], exec, s[6:7]
	s_cbranch_execnz .LBB19_3569
; %bb.1521:
	s_or_saveexec_b64 s[6:7], s[6:7]
	v_mov_b32_e32 v2, s10
	s_xor_b64 exec, exec, s[6:7]
	s_cbranch_execnz .LBB19_3572
.LBB19_1522:
	s_or_b64 exec, exec, s[6:7]
	s_and_saveexec_b64 s[6:7], s[4:5]
	s_cbranch_execz .LBB19_1524
.LBB19_1523:
	v_bfe_u32 v2, v9, 16, 3
	v_ffbh_u32_e32 v6, v2
	v_min_u32_e32 v6, 32, v6
	v_lshrrev_b32_e32 v3, 19, v9
	v_subrev_u32_e32 v7, 28, v6
	v_and_b32_e32 v3, 15, v3
	v_lshlrev_b32_sdwa v7, v7, v9 dst_sel:DWORD dst_unused:UNUSED_PAD src0_sel:DWORD src1_sel:WORD_1
	v_bfe_u32 v4, v9, 19, 4
	v_sub_u32_e32 v6, 29, v6
	v_and_b32_e32 v7, 7, v7
	v_cmp_eq_u16_e32 vcc, 0, v3
	v_cndmask_b32_e32 v2, v2, v7, vcc
	v_cndmask_b32_e32 v3, v4, v6, vcc
	v_lshlrev_b32_e32 v4, 8, v9
	v_mov_b32_e32 v6, 0x3b800000
	v_lshlrev_b32_e32 v2, 20, v2
	v_and_b32_e32 v4, 0x80000000, v4
	v_lshl_add_u32 v3, v3, 23, v6
	v_or3_b32 v2, v4, v3, v2
.LBB19_1524:
	s_or_b64 exec, exec, s[6:7]
	s_movk_i32 s4, 0xff
	v_and_b32_sdwa v3, v5, s4 dst_sel:DWORD dst_unused:UNUSED_PAD src0_sel:WORD_1 src1_sel:DWORD
	s_movk_i32 s4, 0x7f
	v_cmp_lt_i16_e32 vcc, s4, v3
	s_mov_b64 s[4:5], 0
                                        ; implicit-def: $sgpr10
	s_and_saveexec_b64 s[6:7], vcc
	s_xor_b64 s[6:7], exec, s[6:7]
	s_cbranch_execnz .LBB19_3573
; %bb.1525:
	s_or_saveexec_b64 s[6:7], s[6:7]
	v_mov_b32_e32 v4, s10
	s_xor_b64 exec, exec, s[6:7]
	s_cbranch_execnz .LBB19_3576
.LBB19_1526:
	s_or_b64 exec, exec, s[6:7]
	s_and_saveexec_b64 s[6:7], s[4:5]
	s_cbranch_execz .LBB19_1528
.LBB19_1527:
	v_bfe_u32 v3, v5, 16, 3
	v_ffbh_u32_e32 v7, v3
	v_min_u32_e32 v7, 32, v7
	v_lshrrev_b32_e32 v4, 19, v5
	v_subrev_u32_e32 v8, 28, v7
	v_and_b32_e32 v4, 15, v4
	v_lshlrev_b32_sdwa v8, v8, v5 dst_sel:DWORD dst_unused:UNUSED_PAD src0_sel:DWORD src1_sel:WORD_1
	v_bfe_u32 v6, v5, 19, 4
	v_sub_u32_e32 v7, 29, v7
	v_and_b32_e32 v8, 7, v8
	v_cmp_eq_u16_e32 vcc, 0, v4
	v_cndmask_b32_e32 v3, v3, v8, vcc
	v_cndmask_b32_e32 v4, v6, v7, vcc
	v_lshlrev_b32_e32 v6, 8, v5
	v_mov_b32_e32 v7, 0x3b800000
	v_lshlrev_b32_e32 v3, 20, v3
	v_and_b32_e32 v6, 0x80000000, v6
	v_lshl_add_u32 v4, v4, 23, v7
	v_or3_b32 v4, v6, v4, v3
.LBB19_1528:
	s_or_b64 exec, exec, s[6:7]
	s_nop 0
	v_mfma_f32_16x16x4f32 a[0:3], v2, v4, a[0:3]
	s_movk_i32 s4, 0x7f
	v_cmp_gt_i16_sdwa s[6:7], v9, s4 src0_sel:BYTE_3 src1_sel:DWORD
	s_mov_b64 s[4:5], 0
                                        ; implicit-def: $sgpr10
	s_and_saveexec_b64 s[8:9], s[6:7]
	s_xor_b64 s[6:7], exec, s[8:9]
	s_cbranch_execnz .LBB19_3577
; %bb.1529:
	s_or_saveexec_b64 s[6:7], s[6:7]
	v_mov_b32_e32 v2, s10
	s_xor_b64 exec, exec, s[6:7]
	s_cbranch_execnz .LBB19_3580
.LBB19_1530:
	s_or_b64 exec, exec, s[6:7]
	s_and_saveexec_b64 s[6:7], s[4:5]
	s_cbranch_execz .LBB19_1532
.LBB19_1531:
	v_bfe_u32 v2, v9, 24, 3
	v_ffbh_u32_e32 v7, v2
	v_min_u32_e32 v7, 32, v7
	v_lshrrev_b32_e32 v4, 27, v9
	v_subrev_u32_e32 v8, 28, v7
	v_and_b32_e32 v4, 15, v4
	v_lshlrev_b32_sdwa v8, v8, v9 dst_sel:DWORD dst_unused:UNUSED_PAD src0_sel:DWORD src1_sel:BYTE_3
	v_bfe_u32 v6, v9, 27, 4
	v_sub_u32_e32 v7, 29, v7
	v_and_b32_e32 v8, 7, v8
	v_cmp_eq_u16_e32 vcc, 0, v4
	v_cndmask_b32_e32 v2, v2, v8, vcc
	v_cndmask_b32_e32 v4, v6, v7, vcc
	v_mov_b32_e32 v6, 0x3b800000
	v_and_b32_e32 v3, 0x80000000, v9
	v_lshlrev_b32_e32 v2, 20, v2
	v_lshl_add_u32 v4, v4, 23, v6
	v_or3_b32 v2, v3, v4, v2
.LBB19_1532:
	s_or_b64 exec, exec, s[6:7]
	s_movk_i32 s4, 0x7f
	v_cmp_gt_i16_sdwa s[6:7], v5, s4 src0_sel:BYTE_3 src1_sel:DWORD
	s_mov_b64 s[4:5], 0
                                        ; implicit-def: $sgpr10
	s_and_saveexec_b64 s[8:9], s[6:7]
	s_xor_b64 s[6:7], exec, s[8:9]
	s_cbranch_execnz .LBB19_3581
; %bb.1533:
	s_or_saveexec_b64 s[6:7], s[6:7]
	v_mov_b32_e32 v3, s10
	s_xor_b64 exec, exec, s[6:7]
	s_cbranch_execnz .LBB19_3584
.LBB19_1534:
	s_or_b64 exec, exec, s[6:7]
	s_and_saveexec_b64 s[6:7], s[4:5]
	s_cbranch_execz .LBB19_1536
.LBB19_1535:
	v_bfe_u32 v3, v5, 24, 3
	v_ffbh_u32_e32 v8, v3
	v_min_u32_e32 v8, 32, v8
	v_lshrrev_b32_e32 v6, 27, v5
	v_subrev_u32_e32 v9, 28, v8
	v_and_b32_e32 v4, 0x80000000, v5
	v_and_b32_e32 v6, 15, v6
	v_bfe_u32 v7, v5, 27, 4
	v_lshlrev_b32_sdwa v5, v9, v5 dst_sel:DWORD dst_unused:UNUSED_PAD src0_sel:DWORD src1_sel:BYTE_3
	v_sub_u32_e32 v8, 29, v8
	v_and_b32_e32 v5, 7, v5
	v_cmp_eq_u16_e32 vcc, 0, v6
	v_cndmask_b32_e32 v3, v3, v5, vcc
	v_cndmask_b32_e32 v5, v7, v8, vcc
	v_mov_b32_e32 v6, 0x3b800000
	v_lshlrev_b32_e32 v3, 20, v3
	v_lshl_add_u32 v5, v5, 23, v6
	v_or3_b32 v3, v4, v5, v3
.LBB19_1536:
	s_or_b64 exec, exec, s[6:7]
	s_nop 0
	v_mfma_f32_16x16x4f32 a[0:3], v2, v3, a[0:3]
	s_movk_i32 s4, 0x7f
                                        ; implicit-def: $sgpr10
	s_nop 7
	s_nop 1
	flat_store_dwordx4 v[18:19], a[0:3] offset:208
	flat_load_dwordx4 v[20:23], v[0:1] offset:8
	s_nop 0
	flat_load_dwordx2 v[18:19], v[0:1] offset:24
	s_waitcnt vmcnt(0) lgkmcnt(0)
	flat_load_dwordx4 v[14:17], v[20:21] offset:32
	flat_load_dwordx4 v[6:9], v[20:21] offset:48
	;; [unrolled: 1-line block ×4, first 2 shown]
	s_waitcnt vmcnt(0) lgkmcnt(0)
	v_cmp_gt_i16_sdwa s[6:7], v14, s4 src0_sel:BYTE_0 src1_sel:DWORD
	s_mov_b64 s[4:5], 0
	s_and_saveexec_b64 s[8:9], s[6:7]
	s_xor_b64 s[6:7], exec, s[8:9]
	s_cbranch_execnz .LBB19_3585
; %bb.1537:
	s_or_saveexec_b64 s[6:7], s[6:7]
	v_mov_b32_e32 v20, s10
	s_xor_b64 exec, exec, s[6:7]
	s_cbranch_execnz .LBB19_3588
.LBB19_1538:
	s_or_b64 exec, exec, s[6:7]
	s_and_saveexec_b64 s[6:7], s[4:5]
	s_cbranch_execz .LBB19_1540
.LBB19_1539:
	v_and_b32_e32 v20, 7, v14
	v_ffbh_u32_e32 v22, v20
	v_min_u32_e32 v22, 32, v22
	v_lshrrev_b16_e32 v21, 3, v14
	v_subrev_u32_e32 v23, 28, v22
	v_and_b32_e32 v21, 15, v21
	v_lshlrev_b32_e32 v23, v23, v14
	v_sub_u32_e32 v22, 29, v22
	v_and_b32_e32 v23, 7, v23
	v_cmp_eq_u16_e32 vcc, 0, v21
	v_cndmask_b32_e32 v20, v20, v23, vcc
	v_cndmask_b32_e32 v21, v21, v22, vcc
	v_lshlrev_b32_e32 v22, 24, v14
	v_mov_b32_e32 v23, 0x3b800000
	v_lshlrev_b32_e32 v20, 20, v20
	v_and_b32_e32 v22, 0x80000000, v22
	v_lshl_add_u32 v21, v21, 23, v23
	v_or3_b32 v20, v22, v21, v20
.LBB19_1540:
	s_or_b64 exec, exec, s[6:7]
	s_movk_i32 s4, 0x7f
	v_cmp_gt_i16_sdwa s[6:7], v10, s4 src0_sel:BYTE_0 src1_sel:DWORD
	s_mov_b64 s[4:5], 0
                                        ; implicit-def: $sgpr10
	s_and_saveexec_b64 s[8:9], s[6:7]
	s_xor_b64 s[6:7], exec, s[8:9]
	s_cbranch_execnz .LBB19_3589
; %bb.1541:
	s_or_saveexec_b64 s[6:7], s[6:7]
	v_mov_b32_e32 v21, s10
	s_xor_b64 exec, exec, s[6:7]
	s_cbranch_execnz .LBB19_3592
.LBB19_1542:
	s_or_b64 exec, exec, s[6:7]
	s_and_saveexec_b64 s[6:7], s[4:5]
	s_cbranch_execz .LBB19_1544
.LBB19_1543:
	v_and_b32_e32 v21, 7, v10
	v_ffbh_u32_e32 v23, v21
	v_min_u32_e32 v23, 32, v23
	v_lshrrev_b16_e32 v22, 3, v10
	v_subrev_u32_e32 v24, 28, v23
	v_and_b32_e32 v22, 15, v22
	v_lshlrev_b32_e32 v24, v24, v10
	v_sub_u32_e32 v23, 29, v23
	v_and_b32_e32 v24, 7, v24
	v_cmp_eq_u16_e32 vcc, 0, v22
	v_cndmask_b32_e32 v21, v21, v24, vcc
	v_cndmask_b32_e32 v22, v22, v23, vcc
	v_lshlrev_b32_e32 v23, 24, v10
	v_mov_b32_e32 v24, 0x3b800000
	v_lshlrev_b32_e32 v21, 20, v21
	v_and_b32_e32 v23, 0x80000000, v23
	v_lshl_add_u32 v22, v22, 23, v24
	v_or3_b32 v21, v23, v22, v21
.LBB19_1544:
	s_or_b64 exec, exec, s[6:7]
	flat_load_dwordx4 a[0:3], v[18:19] offset:224
	s_movk_i32 s4, 0x7f
                                        ; implicit-def: $sgpr10
	s_waitcnt vmcnt(0) lgkmcnt(0)
	v_mfma_f32_16x16x4f32 a[0:3], v20, v21, a[0:3]
	v_lshrrev_b32_e32 v21, 8, v14
	v_cmp_gt_i16_sdwa s[6:7], v21, s4 src0_sel:BYTE_0 src1_sel:DWORD
	s_mov_b64 s[4:5], 0
	s_and_saveexec_b64 s[8:9], s[6:7]
	s_xor_b64 s[6:7], exec, s[8:9]
	s_cbranch_execnz .LBB19_3593
; %bb.1545:
	s_or_saveexec_b64 s[6:7], s[6:7]
	v_mov_b32_e32 v20, s10
	s_xor_b64 exec, exec, s[6:7]
	s_cbranch_execnz .LBB19_3596
.LBB19_1546:
	s_or_b64 exec, exec, s[6:7]
	s_and_saveexec_b64 s[6:7], s[4:5]
	s_cbranch_execz .LBB19_1548
.LBB19_1547:
	v_bfe_u32 v20, v14, 8, 3
	v_ffbh_u32_e32 v23, v20
	v_min_u32_e32 v23, 32, v23
	v_lshrrev_b16_e32 v22, 3, v21
	v_subrev_u32_e32 v24, 28, v23
	v_and_b32_e32 v22, 15, v22
	v_lshlrev_b32_e32 v21, v24, v21
	v_sub_u32_e32 v23, 29, v23
	v_and_b32_e32 v21, 7, v21
	v_cmp_eq_u16_e32 vcc, 0, v22
	v_cndmask_b32_e32 v20, v20, v21, vcc
	v_cndmask_b32_e32 v21, v22, v23, vcc
	v_lshlrev_b32_e32 v22, 16, v14
	v_mov_b32_e32 v23, 0x3b800000
	v_lshlrev_b32_e32 v20, 20, v20
	v_and_b32_e32 v22, 0x80000000, v22
	v_lshl_add_u32 v21, v21, 23, v23
	v_or3_b32 v20, v22, v21, v20
.LBB19_1548:
	s_or_b64 exec, exec, s[6:7]
	v_lshrrev_b32_e32 v21, 8, v10
	s_movk_i32 s4, 0x7f
	v_cmp_gt_i16_sdwa s[6:7], v21, s4 src0_sel:BYTE_0 src1_sel:DWORD
	s_mov_b64 s[4:5], 0
                                        ; implicit-def: $sgpr10
	s_and_saveexec_b64 s[8:9], s[6:7]
	s_xor_b64 s[6:7], exec, s[8:9]
	s_cbranch_execnz .LBB19_3597
; %bb.1549:
	s_or_saveexec_b64 s[6:7], s[6:7]
	v_mov_b32_e32 v22, s10
	s_xor_b64 exec, exec, s[6:7]
	s_cbranch_execnz .LBB19_3600
.LBB19_1550:
	s_or_b64 exec, exec, s[6:7]
	s_and_saveexec_b64 s[6:7], s[4:5]
	s_cbranch_execz .LBB19_1552
.LBB19_1551:
	v_bfe_u32 v22, v10, 8, 3
	v_ffbh_u32_e32 v24, v22
	v_min_u32_e32 v24, 32, v24
	v_lshrrev_b16_e32 v23, 3, v21
	v_subrev_u32_e32 v25, 28, v24
	v_and_b32_e32 v23, 15, v23
	v_lshlrev_b32_e32 v21, v25, v21
	v_sub_u32_e32 v24, 29, v24
	v_and_b32_e32 v21, 7, v21
	v_cmp_eq_u16_e32 vcc, 0, v23
	v_cndmask_b32_e32 v21, v22, v21, vcc
	v_cndmask_b32_e32 v22, v23, v24, vcc
	v_lshlrev_b32_e32 v23, 16, v10
	v_mov_b32_e32 v24, 0x3b800000
	v_lshlrev_b32_e32 v21, 20, v21
	v_and_b32_e32 v23, 0x80000000, v23
	v_lshl_add_u32 v22, v22, 23, v24
	v_or3_b32 v22, v23, v22, v21
.LBB19_1552:
	s_or_b64 exec, exec, s[6:7]
	s_nop 0
	v_mfma_f32_16x16x4f32 a[0:3], v20, v22, a[0:3]
	s_movk_i32 s4, 0xff
	v_and_b32_sdwa v21, v14, s4 dst_sel:DWORD dst_unused:UNUSED_PAD src0_sel:WORD_1 src1_sel:DWORD
	s_movk_i32 s4, 0x7f
	v_cmp_lt_i16_e32 vcc, s4, v21
	s_mov_b64 s[4:5], 0
                                        ; implicit-def: $sgpr10
	s_and_saveexec_b64 s[6:7], vcc
	s_xor_b64 s[6:7], exec, s[6:7]
	s_cbranch_execnz .LBB19_3601
; %bb.1553:
	s_or_saveexec_b64 s[6:7], s[6:7]
	v_mov_b32_e32 v20, s10
	s_xor_b64 exec, exec, s[6:7]
	s_cbranch_execnz .LBB19_3604
.LBB19_1554:
	s_or_b64 exec, exec, s[6:7]
	s_and_saveexec_b64 s[6:7], s[4:5]
	s_cbranch_execz .LBB19_1556
.LBB19_1555:
	v_bfe_u32 v20, v14, 16, 3
	v_ffbh_u32_e32 v23, v20
	v_min_u32_e32 v23, 32, v23
	v_lshrrev_b32_e32 v21, 19, v14
	v_subrev_u32_e32 v24, 28, v23
	v_and_b32_e32 v21, 15, v21
	v_lshlrev_b32_sdwa v24, v24, v14 dst_sel:DWORD dst_unused:UNUSED_PAD src0_sel:DWORD src1_sel:WORD_1
	v_bfe_u32 v22, v14, 19, 4
	v_sub_u32_e32 v23, 29, v23
	v_and_b32_e32 v24, 7, v24
	v_cmp_eq_u16_e32 vcc, 0, v21
	v_cndmask_b32_e32 v20, v20, v24, vcc
	v_cndmask_b32_e32 v21, v22, v23, vcc
	v_lshlrev_b32_e32 v22, 8, v14
	v_mov_b32_e32 v23, 0x3b800000
	v_lshlrev_b32_e32 v20, 20, v20
	v_and_b32_e32 v22, 0x80000000, v22
	v_lshl_add_u32 v21, v21, 23, v23
	v_or3_b32 v20, v22, v21, v20
.LBB19_1556:
	s_or_b64 exec, exec, s[6:7]
	s_movk_i32 s4, 0xff
	v_and_b32_sdwa v21, v10, s4 dst_sel:DWORD dst_unused:UNUSED_PAD src0_sel:WORD_1 src1_sel:DWORD
	s_movk_i32 s4, 0x7f
	v_cmp_lt_i16_e32 vcc, s4, v21
	s_mov_b64 s[4:5], 0
                                        ; implicit-def: $sgpr10
	s_and_saveexec_b64 s[6:7], vcc
	s_xor_b64 s[6:7], exec, s[6:7]
	s_cbranch_execnz .LBB19_3605
; %bb.1557:
	s_or_saveexec_b64 s[6:7], s[6:7]
	v_mov_b32_e32 v22, s10
	s_xor_b64 exec, exec, s[6:7]
	s_cbranch_execnz .LBB19_3608
.LBB19_1558:
	s_or_b64 exec, exec, s[6:7]
	s_and_saveexec_b64 s[6:7], s[4:5]
	s_cbranch_execz .LBB19_1560
.LBB19_1559:
	v_bfe_u32 v21, v10, 16, 3
	v_ffbh_u32_e32 v24, v21
	v_min_u32_e32 v24, 32, v24
	v_lshrrev_b32_e32 v22, 19, v10
	v_subrev_u32_e32 v25, 28, v24
	v_and_b32_e32 v22, 15, v22
	v_lshlrev_b32_sdwa v25, v25, v10 dst_sel:DWORD dst_unused:UNUSED_PAD src0_sel:DWORD src1_sel:WORD_1
	v_bfe_u32 v23, v10, 19, 4
	v_sub_u32_e32 v24, 29, v24
	v_and_b32_e32 v25, 7, v25
	v_cmp_eq_u16_e32 vcc, 0, v22
	v_cndmask_b32_e32 v21, v21, v25, vcc
	v_cndmask_b32_e32 v22, v23, v24, vcc
	v_lshlrev_b32_e32 v23, 8, v10
	v_mov_b32_e32 v24, 0x3b800000
	v_lshlrev_b32_e32 v21, 20, v21
	v_and_b32_e32 v23, 0x80000000, v23
	v_lshl_add_u32 v22, v22, 23, v24
	v_or3_b32 v22, v23, v22, v21
.LBB19_1560:
	s_or_b64 exec, exec, s[6:7]
	s_nop 0
	v_mfma_f32_16x16x4f32 a[0:3], v20, v22, a[0:3]
	s_movk_i32 s4, 0x7f
	v_cmp_gt_i16_sdwa s[6:7], v14, s4 src0_sel:BYTE_3 src1_sel:DWORD
	s_mov_b64 s[4:5], 0
                                        ; implicit-def: $sgpr10
	s_and_saveexec_b64 s[8:9], s[6:7]
	s_xor_b64 s[6:7], exec, s[8:9]
	s_cbranch_execnz .LBB19_3609
; %bb.1561:
	s_or_saveexec_b64 s[6:7], s[6:7]
	v_mov_b32_e32 v20, s10
	s_xor_b64 exec, exec, s[6:7]
	s_cbranch_execnz .LBB19_3612
.LBB19_1562:
	s_or_b64 exec, exec, s[6:7]
	s_and_saveexec_b64 s[6:7], s[4:5]
	s_cbranch_execz .LBB19_1564
.LBB19_1563:
	v_bfe_u32 v20, v14, 24, 3
	v_ffbh_u32_e32 v24, v20
	v_min_u32_e32 v24, 32, v24
	v_lshrrev_b32_e32 v22, 27, v14
	v_subrev_u32_e32 v25, 28, v24
	v_and_b32_e32 v21, 0x80000000, v14
	v_and_b32_e32 v22, 15, v22
	v_bfe_u32 v23, v14, 27, 4
	v_lshlrev_b32_sdwa v14, v25, v14 dst_sel:DWORD dst_unused:UNUSED_PAD src0_sel:DWORD src1_sel:BYTE_3
	v_sub_u32_e32 v24, 29, v24
	v_and_b32_e32 v14, 7, v14
	v_cmp_eq_u16_e32 vcc, 0, v22
	v_cndmask_b32_e32 v14, v20, v14, vcc
	v_cndmask_b32_e32 v20, v23, v24, vcc
	v_mov_b32_e32 v22, 0x3b800000
	v_lshlrev_b32_e32 v14, 20, v14
	v_lshl_add_u32 v20, v20, 23, v22
	v_or3_b32 v20, v21, v20, v14
.LBB19_1564:
	s_or_b64 exec, exec, s[6:7]
	s_movk_i32 s4, 0x7f
	v_cmp_gt_i16_sdwa s[6:7], v10, s4 src0_sel:BYTE_3 src1_sel:DWORD
	s_mov_b64 s[4:5], 0
                                        ; implicit-def: $sgpr10
	s_and_saveexec_b64 s[8:9], s[6:7]
	s_xor_b64 s[6:7], exec, s[8:9]
	s_cbranch_execnz .LBB19_3613
; %bb.1565:
	s_or_saveexec_b64 s[6:7], s[6:7]
	v_mov_b32_e32 v14, s10
	s_xor_b64 exec, exec, s[6:7]
	s_cbranch_execnz .LBB19_3616
.LBB19_1566:
	s_or_b64 exec, exec, s[6:7]
	s_and_saveexec_b64 s[6:7], s[4:5]
	s_cbranch_execz .LBB19_1568
.LBB19_1567:
	v_bfe_u32 v14, v10, 24, 3
	v_ffbh_u32_e32 v24, v14
	v_min_u32_e32 v24, 32, v24
	v_lshrrev_b32_e32 v22, 27, v10
	v_subrev_u32_e32 v25, 28, v24
	v_and_b32_e32 v21, 0x80000000, v10
	v_and_b32_e32 v22, 15, v22
	v_bfe_u32 v23, v10, 27, 4
	v_lshlrev_b32_sdwa v10, v25, v10 dst_sel:DWORD dst_unused:UNUSED_PAD src0_sel:DWORD src1_sel:BYTE_3
	v_sub_u32_e32 v24, 29, v24
	v_and_b32_e32 v10, 7, v10
	v_cmp_eq_u16_e32 vcc, 0, v22
	v_cndmask_b32_e32 v10, v14, v10, vcc
	v_cndmask_b32_e32 v14, v23, v24, vcc
	v_mov_b32_e32 v22, 0x3b800000
	v_lshlrev_b32_e32 v10, 20, v10
	v_lshl_add_u32 v14, v14, 23, v22
	v_or3_b32 v14, v21, v14, v10
.LBB19_1568:
	s_or_b64 exec, exec, s[6:7]
	s_nop 0
	v_mfma_f32_16x16x4f32 a[0:3], v20, v14, a[0:3]
	s_movk_i32 s4, 0x7f
	v_cmp_gt_i16_sdwa s[6:7], v15, s4 src0_sel:BYTE_0 src1_sel:DWORD
	s_mov_b64 s[4:5], 0
                                        ; implicit-def: $sgpr10
	s_and_saveexec_b64 s[8:9], s[6:7]
	s_xor_b64 s[6:7], exec, s[8:9]
	s_cbranch_execnz .LBB19_3617
; %bb.1569:
	s_or_saveexec_b64 s[6:7], s[6:7]
	v_mov_b32_e32 v10, s10
	s_xor_b64 exec, exec, s[6:7]
	s_cbranch_execnz .LBB19_3620
.LBB19_1570:
	s_or_b64 exec, exec, s[6:7]
	s_and_saveexec_b64 s[6:7], s[4:5]
	s_cbranch_execz .LBB19_1572
.LBB19_1571:
	v_and_b32_e32 v10, 7, v15
	v_ffbh_u32_e32 v20, v10
	v_min_u32_e32 v20, 32, v20
	v_lshrrev_b16_e32 v14, 3, v15
	v_subrev_u32_e32 v21, 28, v20
	v_and_b32_e32 v14, 15, v14
	v_lshlrev_b32_e32 v21, v21, v15
	v_sub_u32_e32 v20, 29, v20
	v_and_b32_e32 v21, 7, v21
	v_cmp_eq_u16_e32 vcc, 0, v14
	v_cndmask_b32_e32 v10, v10, v21, vcc
	v_cndmask_b32_e32 v14, v14, v20, vcc
	v_lshlrev_b32_e32 v20, 24, v15
	v_mov_b32_e32 v21, 0x3b800000
	v_lshlrev_b32_e32 v10, 20, v10
	v_and_b32_e32 v20, 0x80000000, v20
	v_lshl_add_u32 v14, v14, 23, v21
	v_or3_b32 v10, v20, v14, v10
.LBB19_1572:
	s_or_b64 exec, exec, s[6:7]
	s_movk_i32 s4, 0x7f
	v_cmp_gt_i16_sdwa s[6:7], v11, s4 src0_sel:BYTE_0 src1_sel:DWORD
	s_mov_b64 s[4:5], 0
                                        ; implicit-def: $sgpr10
	s_and_saveexec_b64 s[8:9], s[6:7]
	s_xor_b64 s[6:7], exec, s[8:9]
	s_cbranch_execnz .LBB19_3621
; %bb.1573:
	s_or_saveexec_b64 s[6:7], s[6:7]
	v_mov_b32_e32 v14, s10
	s_xor_b64 exec, exec, s[6:7]
	s_cbranch_execnz .LBB19_3624
.LBB19_1574:
	s_or_b64 exec, exec, s[6:7]
	s_and_saveexec_b64 s[6:7], s[4:5]
	s_cbranch_execz .LBB19_1576
.LBB19_1575:
	v_and_b32_e32 v14, 7, v11
	v_ffbh_u32_e32 v21, v14
	v_min_u32_e32 v21, 32, v21
	v_lshrrev_b16_e32 v20, 3, v11
	v_subrev_u32_e32 v22, 28, v21
	v_and_b32_e32 v20, 15, v20
	v_lshlrev_b32_e32 v22, v22, v11
	v_sub_u32_e32 v21, 29, v21
	v_and_b32_e32 v22, 7, v22
	v_cmp_eq_u16_e32 vcc, 0, v20
	v_cndmask_b32_e32 v14, v14, v22, vcc
	v_cndmask_b32_e32 v20, v20, v21, vcc
	v_lshlrev_b32_e32 v21, 24, v11
	v_mov_b32_e32 v22, 0x3b800000
	v_lshlrev_b32_e32 v14, 20, v14
	v_and_b32_e32 v21, 0x80000000, v21
	v_lshl_add_u32 v20, v20, 23, v22
	v_or3_b32 v14, v21, v20, v14
.LBB19_1576:
	s_or_b64 exec, exec, s[6:7]
	s_nop 0
	v_mfma_f32_16x16x4f32 a[0:3], v10, v14, a[0:3]
	v_lshrrev_b32_e32 v14, 8, v15
	s_movk_i32 s4, 0x7f
	v_cmp_gt_i16_sdwa s[6:7], v14, s4 src0_sel:BYTE_0 src1_sel:DWORD
	s_mov_b64 s[4:5], 0
                                        ; implicit-def: $sgpr10
	s_and_saveexec_b64 s[8:9], s[6:7]
	s_xor_b64 s[6:7], exec, s[8:9]
	s_cbranch_execnz .LBB19_3625
; %bb.1577:
	s_or_saveexec_b64 s[6:7], s[6:7]
	v_mov_b32_e32 v10, s10
	s_xor_b64 exec, exec, s[6:7]
	s_cbranch_execnz .LBB19_3628
.LBB19_1578:
	s_or_b64 exec, exec, s[6:7]
	s_and_saveexec_b64 s[6:7], s[4:5]
	s_cbranch_execz .LBB19_1580
.LBB19_1579:
	v_bfe_u32 v10, v15, 8, 3
	v_ffbh_u32_e32 v21, v10
	v_min_u32_e32 v21, 32, v21
	v_lshrrev_b16_e32 v20, 3, v14
	v_subrev_u32_e32 v22, 28, v21
	v_and_b32_e32 v20, 15, v20
	v_lshlrev_b32_e32 v14, v22, v14
	v_sub_u32_e32 v21, 29, v21
	v_and_b32_e32 v14, 7, v14
	v_cmp_eq_u16_e32 vcc, 0, v20
	v_cndmask_b32_e32 v10, v10, v14, vcc
	v_cndmask_b32_e32 v14, v20, v21, vcc
	v_lshlrev_b32_e32 v20, 16, v15
	v_mov_b32_e32 v21, 0x3b800000
	v_lshlrev_b32_e32 v10, 20, v10
	v_and_b32_e32 v20, 0x80000000, v20
	v_lshl_add_u32 v14, v14, 23, v21
	v_or3_b32 v10, v20, v14, v10
.LBB19_1580:
	s_or_b64 exec, exec, s[6:7]
	v_lshrrev_b32_e32 v14, 8, v11
	s_movk_i32 s4, 0x7f
	v_cmp_gt_i16_sdwa s[6:7], v14, s4 src0_sel:BYTE_0 src1_sel:DWORD
	s_mov_b64 s[4:5], 0
                                        ; implicit-def: $sgpr10
	s_and_saveexec_b64 s[8:9], s[6:7]
	s_xor_b64 s[6:7], exec, s[8:9]
	s_cbranch_execnz .LBB19_3629
; %bb.1581:
	s_or_saveexec_b64 s[6:7], s[6:7]
	v_mov_b32_e32 v20, s10
	s_xor_b64 exec, exec, s[6:7]
	s_cbranch_execnz .LBB19_3632
.LBB19_1582:
	s_or_b64 exec, exec, s[6:7]
	s_and_saveexec_b64 s[6:7], s[4:5]
	s_cbranch_execz .LBB19_1584
.LBB19_1583:
	v_bfe_u32 v20, v11, 8, 3
	v_ffbh_u32_e32 v22, v20
	v_min_u32_e32 v22, 32, v22
	v_lshrrev_b16_e32 v21, 3, v14
	v_subrev_u32_e32 v23, 28, v22
	v_and_b32_e32 v21, 15, v21
	v_lshlrev_b32_e32 v14, v23, v14
	v_sub_u32_e32 v22, 29, v22
	v_and_b32_e32 v14, 7, v14
	v_cmp_eq_u16_e32 vcc, 0, v21
	v_cndmask_b32_e32 v14, v20, v14, vcc
	v_cndmask_b32_e32 v20, v21, v22, vcc
	v_lshlrev_b32_e32 v21, 16, v11
	v_mov_b32_e32 v22, 0x3b800000
	v_lshlrev_b32_e32 v14, 20, v14
	v_and_b32_e32 v21, 0x80000000, v21
	v_lshl_add_u32 v20, v20, 23, v22
	v_or3_b32 v20, v21, v20, v14
.LBB19_1584:
	s_or_b64 exec, exec, s[6:7]
	s_nop 0
	v_mfma_f32_16x16x4f32 a[0:3], v10, v20, a[0:3]
	s_movk_i32 s4, 0xff
	v_and_b32_sdwa v14, v15, s4 dst_sel:DWORD dst_unused:UNUSED_PAD src0_sel:WORD_1 src1_sel:DWORD
	s_movk_i32 s4, 0x7f
	v_cmp_lt_i16_e32 vcc, s4, v14
	s_mov_b64 s[4:5], 0
                                        ; implicit-def: $sgpr10
	s_and_saveexec_b64 s[6:7], vcc
	s_xor_b64 s[6:7], exec, s[6:7]
	s_cbranch_execnz .LBB19_3633
; %bb.1585:
	s_or_saveexec_b64 s[6:7], s[6:7]
	v_mov_b32_e32 v10, s10
	s_xor_b64 exec, exec, s[6:7]
	s_cbranch_execnz .LBB19_3636
.LBB19_1586:
	s_or_b64 exec, exec, s[6:7]
	s_and_saveexec_b64 s[6:7], s[4:5]
	s_cbranch_execz .LBB19_1588
.LBB19_1587:
	v_bfe_u32 v10, v15, 16, 3
	v_ffbh_u32_e32 v21, v10
	v_min_u32_e32 v21, 32, v21
	v_lshrrev_b32_e32 v14, 19, v15
	v_subrev_u32_e32 v22, 28, v21
	v_and_b32_e32 v14, 15, v14
	v_lshlrev_b32_sdwa v22, v22, v15 dst_sel:DWORD dst_unused:UNUSED_PAD src0_sel:DWORD src1_sel:WORD_1
	v_bfe_u32 v20, v15, 19, 4
	v_sub_u32_e32 v21, 29, v21
	v_and_b32_e32 v22, 7, v22
	v_cmp_eq_u16_e32 vcc, 0, v14
	v_cndmask_b32_e32 v10, v10, v22, vcc
	v_cndmask_b32_e32 v14, v20, v21, vcc
	v_lshlrev_b32_e32 v20, 8, v15
	v_mov_b32_e32 v21, 0x3b800000
	v_lshlrev_b32_e32 v10, 20, v10
	v_and_b32_e32 v20, 0x80000000, v20
	v_lshl_add_u32 v14, v14, 23, v21
	v_or3_b32 v10, v20, v14, v10
.LBB19_1588:
	s_or_b64 exec, exec, s[6:7]
	s_movk_i32 s4, 0xff
	v_and_b32_sdwa v14, v11, s4 dst_sel:DWORD dst_unused:UNUSED_PAD src0_sel:WORD_1 src1_sel:DWORD
	s_movk_i32 s4, 0x7f
	v_cmp_lt_i16_e32 vcc, s4, v14
	s_mov_b64 s[4:5], 0
                                        ; implicit-def: $sgpr10
	s_and_saveexec_b64 s[6:7], vcc
	s_xor_b64 s[6:7], exec, s[6:7]
	s_cbranch_execnz .LBB19_3637
; %bb.1589:
	s_or_saveexec_b64 s[6:7], s[6:7]
	v_mov_b32_e32 v20, s10
	s_xor_b64 exec, exec, s[6:7]
	s_cbranch_execnz .LBB19_3640
.LBB19_1590:
	s_or_b64 exec, exec, s[6:7]
	s_and_saveexec_b64 s[6:7], s[4:5]
	s_cbranch_execz .LBB19_1592
.LBB19_1591:
	v_bfe_u32 v14, v11, 16, 3
	v_ffbh_u32_e32 v22, v14
	v_min_u32_e32 v22, 32, v22
	v_lshrrev_b32_e32 v20, 19, v11
	v_subrev_u32_e32 v23, 28, v22
	v_and_b32_e32 v20, 15, v20
	v_lshlrev_b32_sdwa v23, v23, v11 dst_sel:DWORD dst_unused:UNUSED_PAD src0_sel:DWORD src1_sel:WORD_1
	v_bfe_u32 v21, v11, 19, 4
	v_sub_u32_e32 v22, 29, v22
	v_and_b32_e32 v23, 7, v23
	v_cmp_eq_u16_e32 vcc, 0, v20
	v_cndmask_b32_e32 v14, v14, v23, vcc
	v_cndmask_b32_e32 v20, v21, v22, vcc
	v_lshlrev_b32_e32 v21, 8, v11
	v_mov_b32_e32 v22, 0x3b800000
	v_lshlrev_b32_e32 v14, 20, v14
	v_and_b32_e32 v21, 0x80000000, v21
	v_lshl_add_u32 v20, v20, 23, v22
	v_or3_b32 v20, v21, v20, v14
.LBB19_1592:
	s_or_b64 exec, exec, s[6:7]
	s_nop 0
	v_mfma_f32_16x16x4f32 a[0:3], v10, v20, a[0:3]
	s_movk_i32 s4, 0x7f
	v_cmp_gt_i16_sdwa s[6:7], v15, s4 src0_sel:BYTE_3 src1_sel:DWORD
	s_mov_b64 s[4:5], 0
                                        ; implicit-def: $sgpr10
	s_and_saveexec_b64 s[8:9], s[6:7]
	s_xor_b64 s[6:7], exec, s[8:9]
	s_cbranch_execnz .LBB19_3641
; %bb.1593:
	s_or_saveexec_b64 s[6:7], s[6:7]
	v_mov_b32_e32 v10, s10
	s_xor_b64 exec, exec, s[6:7]
	s_cbranch_execnz .LBB19_3644
.LBB19_1594:
	s_or_b64 exec, exec, s[6:7]
	s_and_saveexec_b64 s[6:7], s[4:5]
	s_cbranch_execz .LBB19_1596
.LBB19_1595:
	v_bfe_u32 v10, v15, 24, 3
	v_ffbh_u32_e32 v22, v10
	v_min_u32_e32 v22, 32, v22
	v_lshrrev_b32_e32 v20, 27, v15
	v_subrev_u32_e32 v23, 28, v22
	v_and_b32_e32 v14, 0x80000000, v15
	v_and_b32_e32 v20, 15, v20
	v_bfe_u32 v21, v15, 27, 4
	v_lshlrev_b32_sdwa v15, v23, v15 dst_sel:DWORD dst_unused:UNUSED_PAD src0_sel:DWORD src1_sel:BYTE_3
	v_sub_u32_e32 v22, 29, v22
	v_and_b32_e32 v15, 7, v15
	v_cmp_eq_u16_e32 vcc, 0, v20
	v_cndmask_b32_e32 v10, v10, v15, vcc
	v_cndmask_b32_e32 v15, v21, v22, vcc
	v_mov_b32_e32 v20, 0x3b800000
	v_lshlrev_b32_e32 v10, 20, v10
	v_lshl_add_u32 v15, v15, 23, v20
	v_or3_b32 v10, v14, v15, v10
.LBB19_1596:
	s_or_b64 exec, exec, s[6:7]
	s_movk_i32 s4, 0x7f
	v_cmp_gt_i16_sdwa s[6:7], v11, s4 src0_sel:BYTE_3 src1_sel:DWORD
	s_mov_b64 s[4:5], 0
                                        ; implicit-def: $sgpr10
	s_and_saveexec_b64 s[8:9], s[6:7]
	s_xor_b64 s[6:7], exec, s[8:9]
	s_cbranch_execnz .LBB19_3645
; %bb.1597:
	s_or_saveexec_b64 s[6:7], s[6:7]
	v_mov_b32_e32 v14, s10
	s_xor_b64 exec, exec, s[6:7]
	s_cbranch_execnz .LBB19_3648
.LBB19_1598:
	s_or_b64 exec, exec, s[6:7]
	s_and_saveexec_b64 s[6:7], s[4:5]
	s_cbranch_execz .LBB19_1600
.LBB19_1599:
	v_bfe_u32 v14, v11, 24, 3
	v_ffbh_u32_e32 v22, v14
	v_min_u32_e32 v22, 32, v22
	v_lshrrev_b32_e32 v20, 27, v11
	v_subrev_u32_e32 v23, 28, v22
	v_and_b32_e32 v15, 0x80000000, v11
	v_and_b32_e32 v20, 15, v20
	v_bfe_u32 v21, v11, 27, 4
	v_lshlrev_b32_sdwa v11, v23, v11 dst_sel:DWORD dst_unused:UNUSED_PAD src0_sel:DWORD src1_sel:BYTE_3
	v_sub_u32_e32 v22, 29, v22
	v_and_b32_e32 v11, 7, v11
	v_cmp_eq_u16_e32 vcc, 0, v20
	v_cndmask_b32_e32 v11, v14, v11, vcc
	v_cndmask_b32_e32 v14, v21, v22, vcc
	v_mov_b32_e32 v20, 0x3b800000
	v_lshlrev_b32_e32 v11, 20, v11
	v_lshl_add_u32 v14, v14, 23, v20
	v_or3_b32 v14, v15, v14, v11
.LBB19_1600:
	s_or_b64 exec, exec, s[6:7]
	s_nop 0
	v_mfma_f32_16x16x4f32 a[0:3], v10, v14, a[0:3]
	s_movk_i32 s4, 0x7f
	v_cmp_gt_i16_sdwa s[6:7], v16, s4 src0_sel:BYTE_0 src1_sel:DWORD
	s_mov_b64 s[4:5], 0
                                        ; implicit-def: $sgpr10
	s_and_saveexec_b64 s[8:9], s[6:7]
	s_xor_b64 s[6:7], exec, s[8:9]
	s_cbranch_execnz .LBB19_3649
; %bb.1601:
	s_or_saveexec_b64 s[6:7], s[6:7]
	v_mov_b32_e32 v10, s10
	s_xor_b64 exec, exec, s[6:7]
	s_cbranch_execnz .LBB19_3652
.LBB19_1602:
	s_or_b64 exec, exec, s[6:7]
	s_and_saveexec_b64 s[6:7], s[4:5]
	s_cbranch_execz .LBB19_1604
.LBB19_1603:
	v_and_b32_e32 v10, 7, v16
	v_ffbh_u32_e32 v14, v10
	v_min_u32_e32 v14, 32, v14
	v_lshrrev_b16_e32 v11, 3, v16
	v_subrev_u32_e32 v15, 28, v14
	v_and_b32_e32 v11, 15, v11
	v_lshlrev_b32_e32 v15, v15, v16
	v_sub_u32_e32 v14, 29, v14
	v_and_b32_e32 v15, 7, v15
	v_cmp_eq_u16_e32 vcc, 0, v11
	v_cndmask_b32_e32 v10, v10, v15, vcc
	v_cndmask_b32_e32 v11, v11, v14, vcc
	v_lshlrev_b32_e32 v14, 24, v16
	v_mov_b32_e32 v15, 0x3b800000
	v_lshlrev_b32_e32 v10, 20, v10
	v_and_b32_e32 v14, 0x80000000, v14
	v_lshl_add_u32 v11, v11, 23, v15
	v_or3_b32 v10, v14, v11, v10
.LBB19_1604:
	s_or_b64 exec, exec, s[6:7]
	s_movk_i32 s4, 0x7f
	v_cmp_gt_i16_sdwa s[6:7], v12, s4 src0_sel:BYTE_0 src1_sel:DWORD
	s_mov_b64 s[4:5], 0
                                        ; implicit-def: $sgpr10
	s_and_saveexec_b64 s[8:9], s[6:7]
	s_xor_b64 s[6:7], exec, s[8:9]
	s_cbranch_execnz .LBB19_3653
; %bb.1605:
	s_or_saveexec_b64 s[6:7], s[6:7]
	v_mov_b32_e32 v11, s10
	s_xor_b64 exec, exec, s[6:7]
	s_cbranch_execnz .LBB19_3656
.LBB19_1606:
	s_or_b64 exec, exec, s[6:7]
	s_and_saveexec_b64 s[6:7], s[4:5]
	s_cbranch_execz .LBB19_1608
.LBB19_1607:
	v_and_b32_e32 v11, 7, v12
	v_ffbh_u32_e32 v15, v11
	v_min_u32_e32 v15, 32, v15
	v_lshrrev_b16_e32 v14, 3, v12
	v_subrev_u32_e32 v20, 28, v15
	v_and_b32_e32 v14, 15, v14
	v_lshlrev_b32_e32 v20, v20, v12
	v_sub_u32_e32 v15, 29, v15
	v_and_b32_e32 v20, 7, v20
	v_cmp_eq_u16_e32 vcc, 0, v14
	v_cndmask_b32_e32 v11, v11, v20, vcc
	v_cndmask_b32_e32 v14, v14, v15, vcc
	v_lshlrev_b32_e32 v15, 24, v12
	v_mov_b32_e32 v20, 0x3b800000
	v_lshlrev_b32_e32 v11, 20, v11
	v_and_b32_e32 v15, 0x80000000, v15
	v_lshl_add_u32 v14, v14, 23, v20
	v_or3_b32 v11, v15, v14, v11
.LBB19_1608:
	s_or_b64 exec, exec, s[6:7]
	s_nop 0
	v_mfma_f32_16x16x4f32 a[0:3], v10, v11, a[0:3]
	v_lshrrev_b32_e32 v11, 8, v16
	s_movk_i32 s4, 0x7f
	v_cmp_gt_i16_sdwa s[6:7], v11, s4 src0_sel:BYTE_0 src1_sel:DWORD
	s_mov_b64 s[4:5], 0
                                        ; implicit-def: $sgpr10
	s_and_saveexec_b64 s[8:9], s[6:7]
	s_xor_b64 s[6:7], exec, s[8:9]
	s_cbranch_execnz .LBB19_3657
; %bb.1609:
	s_or_saveexec_b64 s[6:7], s[6:7]
	v_mov_b32_e32 v10, s10
	s_xor_b64 exec, exec, s[6:7]
	s_cbranch_execnz .LBB19_3660
.LBB19_1610:
	s_or_b64 exec, exec, s[6:7]
	s_and_saveexec_b64 s[6:7], s[4:5]
	s_cbranch_execz .LBB19_1612
.LBB19_1611:
	v_bfe_u32 v10, v16, 8, 3
	v_ffbh_u32_e32 v15, v10
	v_min_u32_e32 v15, 32, v15
	v_lshrrev_b16_e32 v14, 3, v11
	v_subrev_u32_e32 v20, 28, v15
	v_and_b32_e32 v14, 15, v14
	v_lshlrev_b32_e32 v11, v20, v11
	v_sub_u32_e32 v15, 29, v15
	v_and_b32_e32 v11, 7, v11
	v_cmp_eq_u16_e32 vcc, 0, v14
	v_cndmask_b32_e32 v10, v10, v11, vcc
	v_cndmask_b32_e32 v11, v14, v15, vcc
	v_lshlrev_b32_e32 v14, 16, v16
	v_mov_b32_e32 v15, 0x3b800000
	v_lshlrev_b32_e32 v10, 20, v10
	v_and_b32_e32 v14, 0x80000000, v14
	v_lshl_add_u32 v11, v11, 23, v15
	v_or3_b32 v10, v14, v11, v10
.LBB19_1612:
	s_or_b64 exec, exec, s[6:7]
	v_lshrrev_b32_e32 v11, 8, v12
	s_movk_i32 s4, 0x7f
	v_cmp_gt_i16_sdwa s[6:7], v11, s4 src0_sel:BYTE_0 src1_sel:DWORD
	s_mov_b64 s[4:5], 0
                                        ; implicit-def: $sgpr10
	s_and_saveexec_b64 s[8:9], s[6:7]
	s_xor_b64 s[6:7], exec, s[8:9]
	s_cbranch_execnz .LBB19_3661
; %bb.1613:
	s_or_saveexec_b64 s[6:7], s[6:7]
	v_mov_b32_e32 v14, s10
	s_xor_b64 exec, exec, s[6:7]
	s_cbranch_execnz .LBB19_3664
.LBB19_1614:
	s_or_b64 exec, exec, s[6:7]
	s_and_saveexec_b64 s[6:7], s[4:5]
	s_cbranch_execz .LBB19_1616
.LBB19_1615:
	v_bfe_u32 v14, v12, 8, 3
	v_ffbh_u32_e32 v20, v14
	v_min_u32_e32 v20, 32, v20
	v_lshrrev_b16_e32 v15, 3, v11
	v_subrev_u32_e32 v21, 28, v20
	v_and_b32_e32 v15, 15, v15
	v_lshlrev_b32_e32 v11, v21, v11
	v_sub_u32_e32 v20, 29, v20
	v_and_b32_e32 v11, 7, v11
	v_cmp_eq_u16_e32 vcc, 0, v15
	v_cndmask_b32_e32 v11, v14, v11, vcc
	v_cndmask_b32_e32 v14, v15, v20, vcc
	v_lshlrev_b32_e32 v15, 16, v12
	v_mov_b32_e32 v20, 0x3b800000
	v_lshlrev_b32_e32 v11, 20, v11
	v_and_b32_e32 v15, 0x80000000, v15
	v_lshl_add_u32 v14, v14, 23, v20
	v_or3_b32 v14, v15, v14, v11
.LBB19_1616:
	s_or_b64 exec, exec, s[6:7]
	s_nop 0
	v_mfma_f32_16x16x4f32 a[0:3], v10, v14, a[0:3]
	s_movk_i32 s4, 0xff
	v_and_b32_sdwa v11, v16, s4 dst_sel:DWORD dst_unused:UNUSED_PAD src0_sel:WORD_1 src1_sel:DWORD
	s_movk_i32 s4, 0x7f
	v_cmp_lt_i16_e32 vcc, s4, v11
	s_mov_b64 s[4:5], 0
                                        ; implicit-def: $sgpr10
	s_and_saveexec_b64 s[6:7], vcc
	s_xor_b64 s[6:7], exec, s[6:7]
	s_cbranch_execnz .LBB19_3665
; %bb.1617:
	s_or_saveexec_b64 s[6:7], s[6:7]
	v_mov_b32_e32 v10, s10
	s_xor_b64 exec, exec, s[6:7]
	s_cbranch_execnz .LBB19_3668
.LBB19_1618:
	s_or_b64 exec, exec, s[6:7]
	s_and_saveexec_b64 s[6:7], s[4:5]
	s_cbranch_execz .LBB19_1620
.LBB19_1619:
	v_bfe_u32 v10, v16, 16, 3
	v_ffbh_u32_e32 v15, v10
	v_min_u32_e32 v15, 32, v15
	v_lshrrev_b32_e32 v11, 19, v16
	v_subrev_u32_e32 v20, 28, v15
	v_and_b32_e32 v11, 15, v11
	v_lshlrev_b32_sdwa v20, v20, v16 dst_sel:DWORD dst_unused:UNUSED_PAD src0_sel:DWORD src1_sel:WORD_1
	v_bfe_u32 v14, v16, 19, 4
	v_sub_u32_e32 v15, 29, v15
	v_and_b32_e32 v20, 7, v20
	v_cmp_eq_u16_e32 vcc, 0, v11
	v_cndmask_b32_e32 v10, v10, v20, vcc
	v_cndmask_b32_e32 v11, v14, v15, vcc
	v_lshlrev_b32_e32 v14, 8, v16
	v_mov_b32_e32 v15, 0x3b800000
	v_lshlrev_b32_e32 v10, 20, v10
	v_and_b32_e32 v14, 0x80000000, v14
	v_lshl_add_u32 v11, v11, 23, v15
	v_or3_b32 v10, v14, v11, v10
.LBB19_1620:
	s_or_b64 exec, exec, s[6:7]
	s_movk_i32 s4, 0xff
	v_and_b32_sdwa v11, v12, s4 dst_sel:DWORD dst_unused:UNUSED_PAD src0_sel:WORD_1 src1_sel:DWORD
	s_movk_i32 s4, 0x7f
	v_cmp_lt_i16_e32 vcc, s4, v11
	s_mov_b64 s[4:5], 0
                                        ; implicit-def: $sgpr10
	s_and_saveexec_b64 s[6:7], vcc
	s_xor_b64 s[6:7], exec, s[6:7]
	s_cbranch_execnz .LBB19_3669
; %bb.1621:
	s_or_saveexec_b64 s[6:7], s[6:7]
	v_mov_b32_e32 v14, s10
	s_xor_b64 exec, exec, s[6:7]
	s_cbranch_execnz .LBB19_3672
.LBB19_1622:
	s_or_b64 exec, exec, s[6:7]
	s_and_saveexec_b64 s[6:7], s[4:5]
	s_cbranch_execz .LBB19_1624
.LBB19_1623:
	v_bfe_u32 v11, v12, 16, 3
	v_ffbh_u32_e32 v20, v11
	v_min_u32_e32 v20, 32, v20
	v_lshrrev_b32_e32 v14, 19, v12
	v_subrev_u32_e32 v21, 28, v20
	v_and_b32_e32 v14, 15, v14
	v_lshlrev_b32_sdwa v21, v21, v12 dst_sel:DWORD dst_unused:UNUSED_PAD src0_sel:DWORD src1_sel:WORD_1
	v_bfe_u32 v15, v12, 19, 4
	v_sub_u32_e32 v20, 29, v20
	v_and_b32_e32 v21, 7, v21
	v_cmp_eq_u16_e32 vcc, 0, v14
	v_cndmask_b32_e32 v11, v11, v21, vcc
	v_cndmask_b32_e32 v14, v15, v20, vcc
	v_lshlrev_b32_e32 v15, 8, v12
	v_mov_b32_e32 v20, 0x3b800000
	v_lshlrev_b32_e32 v11, 20, v11
	v_and_b32_e32 v15, 0x80000000, v15
	v_lshl_add_u32 v14, v14, 23, v20
	v_or3_b32 v14, v15, v14, v11
.LBB19_1624:
	s_or_b64 exec, exec, s[6:7]
	s_nop 0
	v_mfma_f32_16x16x4f32 a[0:3], v10, v14, a[0:3]
	s_movk_i32 s4, 0x7f
	v_cmp_gt_i16_sdwa s[6:7], v16, s4 src0_sel:BYTE_3 src1_sel:DWORD
	s_mov_b64 s[4:5], 0
                                        ; implicit-def: $sgpr10
	s_and_saveexec_b64 s[8:9], s[6:7]
	s_xor_b64 s[6:7], exec, s[8:9]
	s_cbranch_execnz .LBB19_3673
; %bb.1625:
	s_or_saveexec_b64 s[6:7], s[6:7]
	v_mov_b32_e32 v10, s10
	s_xor_b64 exec, exec, s[6:7]
	s_cbranch_execnz .LBB19_3676
.LBB19_1626:
	s_or_b64 exec, exec, s[6:7]
	s_and_saveexec_b64 s[6:7], s[4:5]
	s_cbranch_execz .LBB19_1628
.LBB19_1627:
	v_bfe_u32 v10, v16, 24, 3
	v_ffbh_u32_e32 v20, v10
	v_min_u32_e32 v20, 32, v20
	v_lshrrev_b32_e32 v14, 27, v16
	v_subrev_u32_e32 v21, 28, v20
	v_and_b32_e32 v11, 0x80000000, v16
	v_and_b32_e32 v14, 15, v14
	v_bfe_u32 v15, v16, 27, 4
	v_lshlrev_b32_sdwa v16, v21, v16 dst_sel:DWORD dst_unused:UNUSED_PAD src0_sel:DWORD src1_sel:BYTE_3
	v_sub_u32_e32 v20, 29, v20
	v_and_b32_e32 v16, 7, v16
	v_cmp_eq_u16_e32 vcc, 0, v14
	v_cndmask_b32_e32 v10, v10, v16, vcc
	v_cndmask_b32_e32 v14, v15, v20, vcc
	v_mov_b32_e32 v15, 0x3b800000
	v_lshlrev_b32_e32 v10, 20, v10
	v_lshl_add_u32 v14, v14, 23, v15
	v_or3_b32 v10, v11, v14, v10
.LBB19_1628:
	s_or_b64 exec, exec, s[6:7]
	s_movk_i32 s4, 0x7f
	v_cmp_gt_i16_sdwa s[6:7], v12, s4 src0_sel:BYTE_3 src1_sel:DWORD
	s_mov_b64 s[4:5], 0
                                        ; implicit-def: $sgpr10
	s_and_saveexec_b64 s[8:9], s[6:7]
	s_xor_b64 s[6:7], exec, s[8:9]
	s_cbranch_execnz .LBB19_3677
; %bb.1629:
	s_or_saveexec_b64 s[6:7], s[6:7]
	v_mov_b32_e32 v11, s10
	s_xor_b64 exec, exec, s[6:7]
	s_cbranch_execnz .LBB19_3680
.LBB19_1630:
	s_or_b64 exec, exec, s[6:7]
	s_and_saveexec_b64 s[6:7], s[4:5]
	s_cbranch_execz .LBB19_1632
.LBB19_1631:
	v_bfe_u32 v11, v12, 24, 3
	v_ffbh_u32_e32 v20, v11
	v_min_u32_e32 v20, 32, v20
	v_lshrrev_b32_e32 v15, 27, v12
	v_subrev_u32_e32 v21, 28, v20
	v_and_b32_e32 v14, 0x80000000, v12
	v_and_b32_e32 v15, 15, v15
	v_bfe_u32 v16, v12, 27, 4
	v_lshlrev_b32_sdwa v12, v21, v12 dst_sel:DWORD dst_unused:UNUSED_PAD src0_sel:DWORD src1_sel:BYTE_3
	v_sub_u32_e32 v20, 29, v20
	v_and_b32_e32 v12, 7, v12
	v_cmp_eq_u16_e32 vcc, 0, v15
	v_cndmask_b32_e32 v11, v11, v12, vcc
	v_cndmask_b32_e32 v12, v16, v20, vcc
	v_mov_b32_e32 v15, 0x3b800000
	v_lshlrev_b32_e32 v11, 20, v11
	v_lshl_add_u32 v12, v12, 23, v15
	v_or3_b32 v11, v14, v12, v11
.LBB19_1632:
	s_or_b64 exec, exec, s[6:7]
	s_nop 0
	v_mfma_f32_16x16x4f32 a[0:3], v10, v11, a[0:3]
	s_movk_i32 s4, 0x7f
	v_cmp_gt_i16_sdwa s[6:7], v17, s4 src0_sel:BYTE_0 src1_sel:DWORD
	s_mov_b64 s[4:5], 0
                                        ; implicit-def: $sgpr10
	s_and_saveexec_b64 s[8:9], s[6:7]
	s_xor_b64 s[6:7], exec, s[8:9]
	s_cbranch_execnz .LBB19_3681
; %bb.1633:
	s_or_saveexec_b64 s[6:7], s[6:7]
	v_mov_b32_e32 v10, s10
	s_xor_b64 exec, exec, s[6:7]
	s_cbranch_execnz .LBB19_3684
.LBB19_1634:
	s_or_b64 exec, exec, s[6:7]
	s_and_saveexec_b64 s[6:7], s[4:5]
	s_cbranch_execz .LBB19_1636
.LBB19_1635:
	v_and_b32_e32 v10, 7, v17
	v_ffbh_u32_e32 v12, v10
	v_min_u32_e32 v12, 32, v12
	v_lshrrev_b16_e32 v11, 3, v17
	v_subrev_u32_e32 v14, 28, v12
	v_and_b32_e32 v11, 15, v11
	v_lshlrev_b32_e32 v14, v14, v17
	v_sub_u32_e32 v12, 29, v12
	v_and_b32_e32 v14, 7, v14
	v_cmp_eq_u16_e32 vcc, 0, v11
	v_cndmask_b32_e32 v10, v10, v14, vcc
	v_cndmask_b32_e32 v11, v11, v12, vcc
	v_lshlrev_b32_e32 v12, 24, v17
	v_mov_b32_e32 v14, 0x3b800000
	v_lshlrev_b32_e32 v10, 20, v10
	v_and_b32_e32 v12, 0x80000000, v12
	v_lshl_add_u32 v11, v11, 23, v14
	v_or3_b32 v10, v12, v11, v10
.LBB19_1636:
	s_or_b64 exec, exec, s[6:7]
	s_movk_i32 s4, 0x7f
	v_cmp_gt_i16_sdwa s[6:7], v13, s4 src0_sel:BYTE_0 src1_sel:DWORD
	s_mov_b64 s[4:5], 0
                                        ; implicit-def: $sgpr10
	s_and_saveexec_b64 s[8:9], s[6:7]
	s_xor_b64 s[6:7], exec, s[8:9]
	s_cbranch_execnz .LBB19_3685
; %bb.1637:
	s_or_saveexec_b64 s[6:7], s[6:7]
	v_mov_b32_e32 v11, s10
	s_xor_b64 exec, exec, s[6:7]
	s_cbranch_execnz .LBB19_3688
.LBB19_1638:
	s_or_b64 exec, exec, s[6:7]
	s_and_saveexec_b64 s[6:7], s[4:5]
	s_cbranch_execz .LBB19_1640
.LBB19_1639:
	v_and_b32_e32 v11, 7, v13
	v_ffbh_u32_e32 v14, v11
	v_min_u32_e32 v14, 32, v14
	v_lshrrev_b16_e32 v12, 3, v13
	v_subrev_u32_e32 v15, 28, v14
	v_and_b32_e32 v12, 15, v12
	v_lshlrev_b32_e32 v15, v15, v13
	v_sub_u32_e32 v14, 29, v14
	v_and_b32_e32 v15, 7, v15
	v_cmp_eq_u16_e32 vcc, 0, v12
	v_cndmask_b32_e32 v11, v11, v15, vcc
	v_cndmask_b32_e32 v12, v12, v14, vcc
	v_lshlrev_b32_e32 v14, 24, v13
	v_mov_b32_e32 v15, 0x3b800000
	v_lshlrev_b32_e32 v11, 20, v11
	v_and_b32_e32 v14, 0x80000000, v14
	v_lshl_add_u32 v12, v12, 23, v15
	v_or3_b32 v11, v14, v12, v11
.LBB19_1640:
	s_or_b64 exec, exec, s[6:7]
	s_nop 0
	v_mfma_f32_16x16x4f32 a[0:3], v10, v11, a[0:3]
	v_lshrrev_b32_e32 v11, 8, v17
	s_movk_i32 s4, 0x7f
	v_cmp_gt_i16_sdwa s[6:7], v11, s4 src0_sel:BYTE_0 src1_sel:DWORD
	s_mov_b64 s[4:5], 0
                                        ; implicit-def: $sgpr10
	s_and_saveexec_b64 s[8:9], s[6:7]
	s_xor_b64 s[6:7], exec, s[8:9]
	s_cbranch_execnz .LBB19_3689
; %bb.1641:
	s_or_saveexec_b64 s[6:7], s[6:7]
	v_mov_b32_e32 v10, s10
	s_xor_b64 exec, exec, s[6:7]
	s_cbranch_execnz .LBB19_3692
.LBB19_1642:
	s_or_b64 exec, exec, s[6:7]
	s_and_saveexec_b64 s[6:7], s[4:5]
	s_cbranch_execz .LBB19_1644
.LBB19_1643:
	v_bfe_u32 v10, v17, 8, 3
	v_ffbh_u32_e32 v14, v10
	v_min_u32_e32 v14, 32, v14
	v_lshrrev_b16_e32 v12, 3, v11
	v_subrev_u32_e32 v15, 28, v14
	v_and_b32_e32 v12, 15, v12
	v_lshlrev_b32_e32 v11, v15, v11
	v_sub_u32_e32 v14, 29, v14
	v_and_b32_e32 v11, 7, v11
	v_cmp_eq_u16_e32 vcc, 0, v12
	v_cndmask_b32_e32 v10, v10, v11, vcc
	v_cndmask_b32_e32 v11, v12, v14, vcc
	v_lshlrev_b32_e32 v12, 16, v17
	v_mov_b32_e32 v14, 0x3b800000
	v_lshlrev_b32_e32 v10, 20, v10
	v_and_b32_e32 v12, 0x80000000, v12
	v_lshl_add_u32 v11, v11, 23, v14
	v_or3_b32 v10, v12, v11, v10
.LBB19_1644:
	s_or_b64 exec, exec, s[6:7]
	v_lshrrev_b32_e32 v11, 8, v13
	s_movk_i32 s4, 0x7f
	v_cmp_gt_i16_sdwa s[6:7], v11, s4 src0_sel:BYTE_0 src1_sel:DWORD
	s_mov_b64 s[4:5], 0
                                        ; implicit-def: $sgpr10
	s_and_saveexec_b64 s[8:9], s[6:7]
	s_xor_b64 s[6:7], exec, s[8:9]
	s_cbranch_execnz .LBB19_3693
; %bb.1645:
	s_or_saveexec_b64 s[6:7], s[6:7]
	v_mov_b32_e32 v12, s10
	s_xor_b64 exec, exec, s[6:7]
	s_cbranch_execnz .LBB19_3696
.LBB19_1646:
	s_or_b64 exec, exec, s[6:7]
	s_and_saveexec_b64 s[6:7], s[4:5]
	s_cbranch_execz .LBB19_1648
.LBB19_1647:
	v_bfe_u32 v12, v13, 8, 3
	v_ffbh_u32_e32 v15, v12
	v_min_u32_e32 v15, 32, v15
	v_lshrrev_b16_e32 v14, 3, v11
	v_subrev_u32_e32 v16, 28, v15
	v_and_b32_e32 v14, 15, v14
	v_lshlrev_b32_e32 v11, v16, v11
	v_sub_u32_e32 v15, 29, v15
	v_and_b32_e32 v11, 7, v11
	v_cmp_eq_u16_e32 vcc, 0, v14
	v_cndmask_b32_e32 v11, v12, v11, vcc
	v_cndmask_b32_e32 v12, v14, v15, vcc
	v_lshlrev_b32_e32 v14, 16, v13
	v_mov_b32_e32 v15, 0x3b800000
	v_lshlrev_b32_e32 v11, 20, v11
	v_and_b32_e32 v14, 0x80000000, v14
	v_lshl_add_u32 v12, v12, 23, v15
	v_or3_b32 v12, v14, v12, v11
.LBB19_1648:
	s_or_b64 exec, exec, s[6:7]
	s_nop 0
	v_mfma_f32_16x16x4f32 a[0:3], v10, v12, a[0:3]
	s_movk_i32 s4, 0xff
	v_and_b32_sdwa v11, v17, s4 dst_sel:DWORD dst_unused:UNUSED_PAD src0_sel:WORD_1 src1_sel:DWORD
	s_movk_i32 s4, 0x7f
	v_cmp_lt_i16_e32 vcc, s4, v11
	s_mov_b64 s[4:5], 0
                                        ; implicit-def: $sgpr10
	s_and_saveexec_b64 s[6:7], vcc
	s_xor_b64 s[6:7], exec, s[6:7]
	s_cbranch_execnz .LBB19_3697
; %bb.1649:
	s_or_saveexec_b64 s[6:7], s[6:7]
	v_mov_b32_e32 v10, s10
	s_xor_b64 exec, exec, s[6:7]
	s_cbranch_execnz .LBB19_3700
.LBB19_1650:
	s_or_b64 exec, exec, s[6:7]
	s_and_saveexec_b64 s[6:7], s[4:5]
	s_cbranch_execz .LBB19_1652
.LBB19_1651:
	v_bfe_u32 v10, v17, 16, 3
	v_ffbh_u32_e32 v14, v10
	v_min_u32_e32 v14, 32, v14
	v_lshrrev_b32_e32 v11, 19, v17
	v_subrev_u32_e32 v15, 28, v14
	v_and_b32_e32 v11, 15, v11
	v_lshlrev_b32_sdwa v15, v15, v17 dst_sel:DWORD dst_unused:UNUSED_PAD src0_sel:DWORD src1_sel:WORD_1
	v_bfe_u32 v12, v17, 19, 4
	v_sub_u32_e32 v14, 29, v14
	v_and_b32_e32 v15, 7, v15
	v_cmp_eq_u16_e32 vcc, 0, v11
	v_cndmask_b32_e32 v10, v10, v15, vcc
	v_cndmask_b32_e32 v11, v12, v14, vcc
	v_lshlrev_b32_e32 v12, 8, v17
	v_mov_b32_e32 v14, 0x3b800000
	v_lshlrev_b32_e32 v10, 20, v10
	v_and_b32_e32 v12, 0x80000000, v12
	v_lshl_add_u32 v11, v11, 23, v14
	v_or3_b32 v10, v12, v11, v10
.LBB19_1652:
	s_or_b64 exec, exec, s[6:7]
	s_movk_i32 s4, 0xff
	v_and_b32_sdwa v11, v13, s4 dst_sel:DWORD dst_unused:UNUSED_PAD src0_sel:WORD_1 src1_sel:DWORD
	s_movk_i32 s4, 0x7f
	v_cmp_lt_i16_e32 vcc, s4, v11
	s_mov_b64 s[4:5], 0
                                        ; implicit-def: $sgpr10
	s_and_saveexec_b64 s[6:7], vcc
	s_xor_b64 s[6:7], exec, s[6:7]
	s_cbranch_execnz .LBB19_3701
; %bb.1653:
	s_or_saveexec_b64 s[6:7], s[6:7]
	v_mov_b32_e32 v12, s10
	s_xor_b64 exec, exec, s[6:7]
	s_cbranch_execnz .LBB19_3704
.LBB19_1654:
	s_or_b64 exec, exec, s[6:7]
	s_and_saveexec_b64 s[6:7], s[4:5]
	s_cbranch_execz .LBB19_1656
.LBB19_1655:
	v_bfe_u32 v11, v13, 16, 3
	v_ffbh_u32_e32 v15, v11
	v_min_u32_e32 v15, 32, v15
	v_lshrrev_b32_e32 v12, 19, v13
	v_subrev_u32_e32 v16, 28, v15
	v_and_b32_e32 v12, 15, v12
	v_lshlrev_b32_sdwa v16, v16, v13 dst_sel:DWORD dst_unused:UNUSED_PAD src0_sel:DWORD src1_sel:WORD_1
	v_bfe_u32 v14, v13, 19, 4
	v_sub_u32_e32 v15, 29, v15
	v_and_b32_e32 v16, 7, v16
	v_cmp_eq_u16_e32 vcc, 0, v12
	v_cndmask_b32_e32 v11, v11, v16, vcc
	v_cndmask_b32_e32 v12, v14, v15, vcc
	v_lshlrev_b32_e32 v14, 8, v13
	v_mov_b32_e32 v15, 0x3b800000
	v_lshlrev_b32_e32 v11, 20, v11
	v_and_b32_e32 v14, 0x80000000, v14
	v_lshl_add_u32 v12, v12, 23, v15
	v_or3_b32 v12, v14, v12, v11
.LBB19_1656:
	s_or_b64 exec, exec, s[6:7]
	s_nop 0
	v_mfma_f32_16x16x4f32 a[0:3], v10, v12, a[0:3]
	s_movk_i32 s4, 0x7f
	v_cmp_gt_i16_sdwa s[6:7], v17, s4 src0_sel:BYTE_3 src1_sel:DWORD
	s_mov_b64 s[4:5], 0
                                        ; implicit-def: $sgpr10
	s_and_saveexec_b64 s[8:9], s[6:7]
	s_xor_b64 s[6:7], exec, s[8:9]
	s_cbranch_execnz .LBB19_3705
; %bb.1657:
	s_or_saveexec_b64 s[6:7], s[6:7]
	v_mov_b32_e32 v10, s10
	s_xor_b64 exec, exec, s[6:7]
	s_cbranch_execnz .LBB19_3708
.LBB19_1658:
	s_or_b64 exec, exec, s[6:7]
	s_and_saveexec_b64 s[6:7], s[4:5]
	s_cbranch_execz .LBB19_1660
.LBB19_1659:
	v_bfe_u32 v10, v17, 24, 3
	v_ffbh_u32_e32 v15, v10
	v_min_u32_e32 v15, 32, v15
	v_lshrrev_b32_e32 v12, 27, v17
	v_subrev_u32_e32 v16, 28, v15
	v_and_b32_e32 v12, 15, v12
	v_lshlrev_b32_sdwa v16, v16, v17 dst_sel:DWORD dst_unused:UNUSED_PAD src0_sel:DWORD src1_sel:BYTE_3
	v_bfe_u32 v14, v17, 27, 4
	v_sub_u32_e32 v15, 29, v15
	v_and_b32_e32 v16, 7, v16
	v_cmp_eq_u16_e32 vcc, 0, v12
	v_cndmask_b32_e32 v10, v10, v16, vcc
	v_cndmask_b32_e32 v12, v14, v15, vcc
	v_mov_b32_e32 v14, 0x3b800000
	v_and_b32_e32 v11, 0x80000000, v17
	v_lshlrev_b32_e32 v10, 20, v10
	v_lshl_add_u32 v12, v12, 23, v14
	v_or3_b32 v10, v11, v12, v10
.LBB19_1660:
	s_or_b64 exec, exec, s[6:7]
	s_movk_i32 s4, 0x7f
	v_cmp_gt_i16_sdwa s[6:7], v13, s4 src0_sel:BYTE_3 src1_sel:DWORD
	s_mov_b64 s[4:5], 0
                                        ; implicit-def: $sgpr10
	s_and_saveexec_b64 s[8:9], s[6:7]
	s_xor_b64 s[6:7], exec, s[8:9]
	s_cbranch_execnz .LBB19_3709
; %bb.1661:
	s_or_saveexec_b64 s[6:7], s[6:7]
	v_mov_b32_e32 v11, s10
	s_xor_b64 exec, exec, s[6:7]
	s_cbranch_execnz .LBB19_3712
.LBB19_1662:
	s_or_b64 exec, exec, s[6:7]
	s_and_saveexec_b64 s[6:7], s[4:5]
	s_cbranch_execz .LBB19_1664
.LBB19_1663:
	v_bfe_u32 v11, v13, 24, 3
	v_ffbh_u32_e32 v16, v11
	v_min_u32_e32 v16, 32, v16
	v_lshrrev_b32_e32 v14, 27, v13
	v_subrev_u32_e32 v17, 28, v16
	v_and_b32_e32 v12, 0x80000000, v13
	v_and_b32_e32 v14, 15, v14
	v_bfe_u32 v15, v13, 27, 4
	v_lshlrev_b32_sdwa v13, v17, v13 dst_sel:DWORD dst_unused:UNUSED_PAD src0_sel:DWORD src1_sel:BYTE_3
	v_sub_u32_e32 v16, 29, v16
	v_and_b32_e32 v13, 7, v13
	v_cmp_eq_u16_e32 vcc, 0, v14
	v_cndmask_b32_e32 v11, v11, v13, vcc
	v_cndmask_b32_e32 v13, v15, v16, vcc
	v_mov_b32_e32 v14, 0x3b800000
	v_lshlrev_b32_e32 v11, 20, v11
	v_lshl_add_u32 v13, v13, 23, v14
	v_or3_b32 v11, v12, v13, v11
.LBB19_1664:
	s_or_b64 exec, exec, s[6:7]
	s_nop 0
	v_mfma_f32_16x16x4f32 a[0:3], v10, v11, a[0:3]
	s_movk_i32 s4, 0x7f
	v_cmp_gt_i16_sdwa s[6:7], v6, s4 src0_sel:BYTE_0 src1_sel:DWORD
	s_mov_b64 s[4:5], 0
                                        ; implicit-def: $sgpr10
	s_and_saveexec_b64 s[8:9], s[6:7]
	s_xor_b64 s[6:7], exec, s[8:9]
	s_cbranch_execnz .LBB19_3713
; %bb.1665:
	s_or_saveexec_b64 s[6:7], s[6:7]
	v_mov_b32_e32 v10, s10
	s_xor_b64 exec, exec, s[6:7]
	s_cbranch_execnz .LBB19_3716
.LBB19_1666:
	s_or_b64 exec, exec, s[6:7]
	s_and_saveexec_b64 s[6:7], s[4:5]
	s_cbranch_execz .LBB19_1668
.LBB19_1667:
	v_and_b32_e32 v10, 7, v6
	v_ffbh_u32_e32 v12, v10
	v_min_u32_e32 v12, 32, v12
	v_lshrrev_b16_e32 v11, 3, v6
	v_subrev_u32_e32 v13, 28, v12
	v_and_b32_e32 v11, 15, v11
	v_lshlrev_b32_e32 v13, v13, v6
	v_sub_u32_e32 v12, 29, v12
	v_and_b32_e32 v13, 7, v13
	v_cmp_eq_u16_e32 vcc, 0, v11
	v_cndmask_b32_e32 v10, v10, v13, vcc
	v_cndmask_b32_e32 v11, v11, v12, vcc
	v_lshlrev_b32_e32 v12, 24, v6
	v_mov_b32_e32 v13, 0x3b800000
	v_lshlrev_b32_e32 v10, 20, v10
	v_and_b32_e32 v12, 0x80000000, v12
	v_lshl_add_u32 v11, v11, 23, v13
	v_or3_b32 v10, v12, v11, v10
.LBB19_1668:
	s_or_b64 exec, exec, s[6:7]
	s_movk_i32 s4, 0x7f
	v_cmp_gt_i16_sdwa s[6:7], v2, s4 src0_sel:BYTE_0 src1_sel:DWORD
	s_mov_b64 s[4:5], 0
                                        ; implicit-def: $sgpr10
	s_and_saveexec_b64 s[8:9], s[6:7]
	s_xor_b64 s[6:7], exec, s[8:9]
	s_cbranch_execnz .LBB19_3717
; %bb.1669:
	s_or_saveexec_b64 s[6:7], s[6:7]
	v_mov_b32_e32 v11, s10
	s_xor_b64 exec, exec, s[6:7]
	s_cbranch_execnz .LBB19_3720
.LBB19_1670:
	s_or_b64 exec, exec, s[6:7]
	s_and_saveexec_b64 s[6:7], s[4:5]
	s_cbranch_execz .LBB19_1672
.LBB19_1671:
	v_and_b32_e32 v11, 7, v2
	v_ffbh_u32_e32 v13, v11
	v_min_u32_e32 v13, 32, v13
	v_lshrrev_b16_e32 v12, 3, v2
	v_subrev_u32_e32 v14, 28, v13
	v_and_b32_e32 v12, 15, v12
	v_lshlrev_b32_e32 v14, v14, v2
	v_sub_u32_e32 v13, 29, v13
	v_and_b32_e32 v14, 7, v14
	v_cmp_eq_u16_e32 vcc, 0, v12
	v_cndmask_b32_e32 v11, v11, v14, vcc
	v_cndmask_b32_e32 v12, v12, v13, vcc
	v_lshlrev_b32_e32 v13, 24, v2
	v_mov_b32_e32 v14, 0x3b800000
	v_lshlrev_b32_e32 v11, 20, v11
	v_and_b32_e32 v13, 0x80000000, v13
	v_lshl_add_u32 v12, v12, 23, v14
	v_or3_b32 v11, v13, v12, v11
.LBB19_1672:
	s_or_b64 exec, exec, s[6:7]
	s_nop 0
	v_mfma_f32_16x16x4f32 a[0:3], v10, v11, a[0:3]
	v_lshrrev_b32_e32 v11, 8, v6
	s_movk_i32 s4, 0x7f
	v_cmp_gt_i16_sdwa s[6:7], v11, s4 src0_sel:BYTE_0 src1_sel:DWORD
	s_mov_b64 s[4:5], 0
                                        ; implicit-def: $sgpr10
	s_and_saveexec_b64 s[8:9], s[6:7]
	s_xor_b64 s[6:7], exec, s[8:9]
	s_cbranch_execnz .LBB19_3721
; %bb.1673:
	s_or_saveexec_b64 s[6:7], s[6:7]
	v_mov_b32_e32 v10, s10
	s_xor_b64 exec, exec, s[6:7]
	s_cbranch_execnz .LBB19_3724
.LBB19_1674:
	s_or_b64 exec, exec, s[6:7]
	s_and_saveexec_b64 s[6:7], s[4:5]
	s_cbranch_execz .LBB19_1676
.LBB19_1675:
	v_bfe_u32 v10, v6, 8, 3
	v_ffbh_u32_e32 v13, v10
	v_min_u32_e32 v13, 32, v13
	v_lshrrev_b16_e32 v12, 3, v11
	v_subrev_u32_e32 v14, 28, v13
	v_and_b32_e32 v12, 15, v12
	v_lshlrev_b32_e32 v11, v14, v11
	v_sub_u32_e32 v13, 29, v13
	v_and_b32_e32 v11, 7, v11
	v_cmp_eq_u16_e32 vcc, 0, v12
	v_cndmask_b32_e32 v10, v10, v11, vcc
	v_cndmask_b32_e32 v11, v12, v13, vcc
	v_lshlrev_b32_e32 v12, 16, v6
	v_mov_b32_e32 v13, 0x3b800000
	v_lshlrev_b32_e32 v10, 20, v10
	v_and_b32_e32 v12, 0x80000000, v12
	v_lshl_add_u32 v11, v11, 23, v13
	v_or3_b32 v10, v12, v11, v10
.LBB19_1676:
	s_or_b64 exec, exec, s[6:7]
	v_lshrrev_b32_e32 v11, 8, v2
	s_movk_i32 s4, 0x7f
	v_cmp_gt_i16_sdwa s[6:7], v11, s4 src0_sel:BYTE_0 src1_sel:DWORD
	s_mov_b64 s[4:5], 0
                                        ; implicit-def: $sgpr10
	s_and_saveexec_b64 s[8:9], s[6:7]
	s_xor_b64 s[6:7], exec, s[8:9]
	s_cbranch_execnz .LBB19_3725
; %bb.1677:
	s_or_saveexec_b64 s[6:7], s[6:7]
	v_mov_b32_e32 v12, s10
	s_xor_b64 exec, exec, s[6:7]
	s_cbranch_execnz .LBB19_3728
.LBB19_1678:
	s_or_b64 exec, exec, s[6:7]
	s_and_saveexec_b64 s[6:7], s[4:5]
	s_cbranch_execz .LBB19_1680
.LBB19_1679:
	v_bfe_u32 v12, v2, 8, 3
	v_ffbh_u32_e32 v14, v12
	v_min_u32_e32 v14, 32, v14
	v_lshrrev_b16_e32 v13, 3, v11
	v_subrev_u32_e32 v15, 28, v14
	v_and_b32_e32 v13, 15, v13
	v_lshlrev_b32_e32 v11, v15, v11
	v_sub_u32_e32 v14, 29, v14
	v_and_b32_e32 v11, 7, v11
	v_cmp_eq_u16_e32 vcc, 0, v13
	v_cndmask_b32_e32 v11, v12, v11, vcc
	v_cndmask_b32_e32 v12, v13, v14, vcc
	v_lshlrev_b32_e32 v13, 16, v2
	v_mov_b32_e32 v14, 0x3b800000
	v_lshlrev_b32_e32 v11, 20, v11
	v_and_b32_e32 v13, 0x80000000, v13
	v_lshl_add_u32 v12, v12, 23, v14
	v_or3_b32 v12, v13, v12, v11
.LBB19_1680:
	s_or_b64 exec, exec, s[6:7]
	s_nop 0
	v_mfma_f32_16x16x4f32 a[0:3], v10, v12, a[0:3]
	s_movk_i32 s4, 0xff
	v_and_b32_sdwa v11, v6, s4 dst_sel:DWORD dst_unused:UNUSED_PAD src0_sel:WORD_1 src1_sel:DWORD
	s_movk_i32 s4, 0x7f
	v_cmp_lt_i16_e32 vcc, s4, v11
	s_mov_b64 s[4:5], 0
                                        ; implicit-def: $sgpr10
	s_and_saveexec_b64 s[6:7], vcc
	s_xor_b64 s[6:7], exec, s[6:7]
	s_cbranch_execnz .LBB19_3729
; %bb.1681:
	s_or_saveexec_b64 s[6:7], s[6:7]
	v_mov_b32_e32 v10, s10
	s_xor_b64 exec, exec, s[6:7]
	s_cbranch_execnz .LBB19_3732
.LBB19_1682:
	s_or_b64 exec, exec, s[6:7]
	s_and_saveexec_b64 s[6:7], s[4:5]
	s_cbranch_execz .LBB19_1684
.LBB19_1683:
	v_bfe_u32 v10, v6, 16, 3
	v_ffbh_u32_e32 v13, v10
	v_min_u32_e32 v13, 32, v13
	v_lshrrev_b32_e32 v11, 19, v6
	v_subrev_u32_e32 v14, 28, v13
	v_and_b32_e32 v11, 15, v11
	v_lshlrev_b32_sdwa v14, v14, v6 dst_sel:DWORD dst_unused:UNUSED_PAD src0_sel:DWORD src1_sel:WORD_1
	v_bfe_u32 v12, v6, 19, 4
	v_sub_u32_e32 v13, 29, v13
	v_and_b32_e32 v14, 7, v14
	v_cmp_eq_u16_e32 vcc, 0, v11
	v_cndmask_b32_e32 v10, v10, v14, vcc
	v_cndmask_b32_e32 v11, v12, v13, vcc
	v_lshlrev_b32_e32 v12, 8, v6
	v_mov_b32_e32 v13, 0x3b800000
	v_lshlrev_b32_e32 v10, 20, v10
	v_and_b32_e32 v12, 0x80000000, v12
	v_lshl_add_u32 v11, v11, 23, v13
	v_or3_b32 v10, v12, v11, v10
.LBB19_1684:
	s_or_b64 exec, exec, s[6:7]
	s_movk_i32 s4, 0xff
	v_and_b32_sdwa v11, v2, s4 dst_sel:DWORD dst_unused:UNUSED_PAD src0_sel:WORD_1 src1_sel:DWORD
	s_movk_i32 s4, 0x7f
	v_cmp_lt_i16_e32 vcc, s4, v11
	s_mov_b64 s[4:5], 0
                                        ; implicit-def: $sgpr10
	s_and_saveexec_b64 s[6:7], vcc
	s_xor_b64 s[6:7], exec, s[6:7]
	s_cbranch_execnz .LBB19_3733
; %bb.1685:
	s_or_saveexec_b64 s[6:7], s[6:7]
	v_mov_b32_e32 v12, s10
	s_xor_b64 exec, exec, s[6:7]
	s_cbranch_execnz .LBB19_3736
.LBB19_1686:
	s_or_b64 exec, exec, s[6:7]
	s_and_saveexec_b64 s[6:7], s[4:5]
	s_cbranch_execz .LBB19_1688
.LBB19_1687:
	v_bfe_u32 v11, v2, 16, 3
	v_ffbh_u32_e32 v14, v11
	v_min_u32_e32 v14, 32, v14
	v_lshrrev_b32_e32 v12, 19, v2
	v_subrev_u32_e32 v15, 28, v14
	v_and_b32_e32 v12, 15, v12
	v_lshlrev_b32_sdwa v15, v15, v2 dst_sel:DWORD dst_unused:UNUSED_PAD src0_sel:DWORD src1_sel:WORD_1
	v_bfe_u32 v13, v2, 19, 4
	v_sub_u32_e32 v14, 29, v14
	v_and_b32_e32 v15, 7, v15
	v_cmp_eq_u16_e32 vcc, 0, v12
	v_cndmask_b32_e32 v11, v11, v15, vcc
	v_cndmask_b32_e32 v12, v13, v14, vcc
	v_lshlrev_b32_e32 v13, 8, v2
	v_mov_b32_e32 v14, 0x3b800000
	v_lshlrev_b32_e32 v11, 20, v11
	v_and_b32_e32 v13, 0x80000000, v13
	v_lshl_add_u32 v12, v12, 23, v14
	v_or3_b32 v12, v13, v12, v11
.LBB19_1688:
	s_or_b64 exec, exec, s[6:7]
	s_nop 0
	v_mfma_f32_16x16x4f32 a[0:3], v10, v12, a[0:3]
	s_movk_i32 s4, 0x7f
	v_cmp_gt_i16_sdwa s[6:7], v6, s4 src0_sel:BYTE_3 src1_sel:DWORD
	s_mov_b64 s[4:5], 0
                                        ; implicit-def: $sgpr10
	s_and_saveexec_b64 s[8:9], s[6:7]
	s_xor_b64 s[6:7], exec, s[8:9]
	s_cbranch_execnz .LBB19_3737
; %bb.1689:
	s_or_saveexec_b64 s[6:7], s[6:7]
	v_mov_b32_e32 v10, s10
	s_xor_b64 exec, exec, s[6:7]
	s_cbranch_execnz .LBB19_3740
.LBB19_1690:
	s_or_b64 exec, exec, s[6:7]
	s_and_saveexec_b64 s[6:7], s[4:5]
	s_cbranch_execz .LBB19_1692
.LBB19_1691:
	v_bfe_u32 v10, v6, 24, 3
	v_ffbh_u32_e32 v14, v10
	v_min_u32_e32 v14, 32, v14
	v_lshrrev_b32_e32 v12, 27, v6
	v_subrev_u32_e32 v15, 28, v14
	v_and_b32_e32 v11, 0x80000000, v6
	v_and_b32_e32 v12, 15, v12
	v_bfe_u32 v13, v6, 27, 4
	v_lshlrev_b32_sdwa v6, v15, v6 dst_sel:DWORD dst_unused:UNUSED_PAD src0_sel:DWORD src1_sel:BYTE_3
	v_sub_u32_e32 v14, 29, v14
	v_and_b32_e32 v6, 7, v6
	v_cmp_eq_u16_e32 vcc, 0, v12
	v_cndmask_b32_e32 v6, v10, v6, vcc
	v_cndmask_b32_e32 v10, v13, v14, vcc
	v_mov_b32_e32 v12, 0x3b800000
	v_lshlrev_b32_e32 v6, 20, v6
	v_lshl_add_u32 v10, v10, 23, v12
	v_or3_b32 v10, v11, v10, v6
.LBB19_1692:
	s_or_b64 exec, exec, s[6:7]
	s_movk_i32 s4, 0x7f
	v_cmp_gt_i16_sdwa s[6:7], v2, s4 src0_sel:BYTE_3 src1_sel:DWORD
	s_mov_b64 s[4:5], 0
                                        ; implicit-def: $sgpr10
	s_and_saveexec_b64 s[8:9], s[6:7]
	s_xor_b64 s[6:7], exec, s[8:9]
	s_cbranch_execnz .LBB19_3741
; %bb.1693:
	s_or_saveexec_b64 s[6:7], s[6:7]
	v_mov_b32_e32 v6, s10
	s_xor_b64 exec, exec, s[6:7]
	s_cbranch_execnz .LBB19_3744
.LBB19_1694:
	s_or_b64 exec, exec, s[6:7]
	s_and_saveexec_b64 s[6:7], s[4:5]
	s_cbranch_execz .LBB19_1696
.LBB19_1695:
	v_bfe_u32 v6, v2, 24, 3
	v_ffbh_u32_e32 v14, v6
	v_min_u32_e32 v14, 32, v14
	v_lshrrev_b32_e32 v12, 27, v2
	v_subrev_u32_e32 v15, 28, v14
	v_and_b32_e32 v11, 0x80000000, v2
	v_and_b32_e32 v12, 15, v12
	v_bfe_u32 v13, v2, 27, 4
	v_lshlrev_b32_sdwa v2, v15, v2 dst_sel:DWORD dst_unused:UNUSED_PAD src0_sel:DWORD src1_sel:BYTE_3
	v_sub_u32_e32 v14, 29, v14
	v_and_b32_e32 v2, 7, v2
	v_cmp_eq_u16_e32 vcc, 0, v12
	v_cndmask_b32_e32 v2, v6, v2, vcc
	v_cndmask_b32_e32 v6, v13, v14, vcc
	v_mov_b32_e32 v12, 0x3b800000
	v_lshlrev_b32_e32 v2, 20, v2
	v_lshl_add_u32 v6, v6, 23, v12
	v_or3_b32 v6, v11, v6, v2
.LBB19_1696:
	s_or_b64 exec, exec, s[6:7]
	s_nop 0
	v_mfma_f32_16x16x4f32 a[0:3], v10, v6, a[0:3]
	s_movk_i32 s4, 0x7f
	v_cmp_gt_i16_sdwa s[6:7], v7, s4 src0_sel:BYTE_0 src1_sel:DWORD
	s_mov_b64 s[4:5], 0
                                        ; implicit-def: $sgpr10
	s_and_saveexec_b64 s[8:9], s[6:7]
	s_xor_b64 s[6:7], exec, s[8:9]
	s_cbranch_execnz .LBB19_3745
; %bb.1697:
	s_or_saveexec_b64 s[6:7], s[6:7]
	v_mov_b32_e32 v2, s10
	s_xor_b64 exec, exec, s[6:7]
	s_cbranch_execnz .LBB19_3748
.LBB19_1698:
	s_or_b64 exec, exec, s[6:7]
	s_and_saveexec_b64 s[6:7], s[4:5]
	s_cbranch_execz .LBB19_1700
.LBB19_1699:
	v_and_b32_e32 v2, 7, v7
	v_ffbh_u32_e32 v10, v2
	v_min_u32_e32 v10, 32, v10
	v_lshrrev_b16_e32 v6, 3, v7
	v_subrev_u32_e32 v11, 28, v10
	v_and_b32_e32 v6, 15, v6
	v_lshlrev_b32_e32 v11, v11, v7
	v_sub_u32_e32 v10, 29, v10
	v_and_b32_e32 v11, 7, v11
	v_cmp_eq_u16_e32 vcc, 0, v6
	v_cndmask_b32_e32 v2, v2, v11, vcc
	v_cndmask_b32_e32 v6, v6, v10, vcc
	v_lshlrev_b32_e32 v10, 24, v7
	v_mov_b32_e32 v11, 0x3b800000
	v_lshlrev_b32_e32 v2, 20, v2
	v_and_b32_e32 v10, 0x80000000, v10
	v_lshl_add_u32 v6, v6, 23, v11
	v_or3_b32 v2, v10, v6, v2
.LBB19_1700:
	s_or_b64 exec, exec, s[6:7]
	s_movk_i32 s4, 0x7f
	v_cmp_gt_i16_sdwa s[6:7], v3, s4 src0_sel:BYTE_0 src1_sel:DWORD
	s_mov_b64 s[4:5], 0
                                        ; implicit-def: $sgpr10
	s_and_saveexec_b64 s[8:9], s[6:7]
	s_xor_b64 s[6:7], exec, s[8:9]
	s_cbranch_execnz .LBB19_3749
; %bb.1701:
	s_or_saveexec_b64 s[6:7], s[6:7]
	v_mov_b32_e32 v6, s10
	s_xor_b64 exec, exec, s[6:7]
	s_cbranch_execnz .LBB19_3752
.LBB19_1702:
	s_or_b64 exec, exec, s[6:7]
	s_and_saveexec_b64 s[6:7], s[4:5]
	s_cbranch_execz .LBB19_1704
.LBB19_1703:
	v_and_b32_e32 v6, 7, v3
	v_ffbh_u32_e32 v11, v6
	v_min_u32_e32 v11, 32, v11
	v_lshrrev_b16_e32 v10, 3, v3
	v_subrev_u32_e32 v12, 28, v11
	v_and_b32_e32 v10, 15, v10
	v_lshlrev_b32_e32 v12, v12, v3
	v_sub_u32_e32 v11, 29, v11
	v_and_b32_e32 v12, 7, v12
	v_cmp_eq_u16_e32 vcc, 0, v10
	v_cndmask_b32_e32 v6, v6, v12, vcc
	v_cndmask_b32_e32 v10, v10, v11, vcc
	v_lshlrev_b32_e32 v11, 24, v3
	v_mov_b32_e32 v12, 0x3b800000
	v_lshlrev_b32_e32 v6, 20, v6
	v_and_b32_e32 v11, 0x80000000, v11
	v_lshl_add_u32 v10, v10, 23, v12
	v_or3_b32 v6, v11, v10, v6
.LBB19_1704:
	s_or_b64 exec, exec, s[6:7]
	s_nop 0
	v_mfma_f32_16x16x4f32 a[0:3], v2, v6, a[0:3]
	v_lshrrev_b32_e32 v6, 8, v7
	s_movk_i32 s4, 0x7f
	v_cmp_gt_i16_sdwa s[6:7], v6, s4 src0_sel:BYTE_0 src1_sel:DWORD
	s_mov_b64 s[4:5], 0
                                        ; implicit-def: $sgpr10
	s_and_saveexec_b64 s[8:9], s[6:7]
	s_xor_b64 s[6:7], exec, s[8:9]
	s_cbranch_execnz .LBB19_3753
; %bb.1705:
	s_or_saveexec_b64 s[6:7], s[6:7]
	v_mov_b32_e32 v2, s10
	s_xor_b64 exec, exec, s[6:7]
	s_cbranch_execnz .LBB19_3756
.LBB19_1706:
	s_or_b64 exec, exec, s[6:7]
	s_and_saveexec_b64 s[6:7], s[4:5]
	s_cbranch_execz .LBB19_1708
.LBB19_1707:
	v_bfe_u32 v2, v7, 8, 3
	v_ffbh_u32_e32 v11, v2
	v_min_u32_e32 v11, 32, v11
	v_lshrrev_b16_e32 v10, 3, v6
	v_subrev_u32_e32 v12, 28, v11
	v_and_b32_e32 v10, 15, v10
	v_lshlrev_b32_e32 v6, v12, v6
	v_sub_u32_e32 v11, 29, v11
	v_and_b32_e32 v6, 7, v6
	v_cmp_eq_u16_e32 vcc, 0, v10
	v_cndmask_b32_e32 v2, v2, v6, vcc
	v_cndmask_b32_e32 v6, v10, v11, vcc
	v_lshlrev_b32_e32 v10, 16, v7
	v_mov_b32_e32 v11, 0x3b800000
	v_lshlrev_b32_e32 v2, 20, v2
	v_and_b32_e32 v10, 0x80000000, v10
	v_lshl_add_u32 v6, v6, 23, v11
	v_or3_b32 v2, v10, v6, v2
.LBB19_1708:
	s_or_b64 exec, exec, s[6:7]
	v_lshrrev_b32_e32 v6, 8, v3
	s_movk_i32 s4, 0x7f
	v_cmp_gt_i16_sdwa s[6:7], v6, s4 src0_sel:BYTE_0 src1_sel:DWORD
	s_mov_b64 s[4:5], 0
                                        ; implicit-def: $sgpr10
	s_and_saveexec_b64 s[8:9], s[6:7]
	s_xor_b64 s[6:7], exec, s[8:9]
	s_cbranch_execnz .LBB19_3757
; %bb.1709:
	s_or_saveexec_b64 s[6:7], s[6:7]
	v_mov_b32_e32 v10, s10
	s_xor_b64 exec, exec, s[6:7]
	s_cbranch_execnz .LBB19_3760
.LBB19_1710:
	s_or_b64 exec, exec, s[6:7]
	s_and_saveexec_b64 s[6:7], s[4:5]
	s_cbranch_execz .LBB19_1712
.LBB19_1711:
	v_bfe_u32 v10, v3, 8, 3
	v_ffbh_u32_e32 v12, v10
	v_min_u32_e32 v12, 32, v12
	v_lshrrev_b16_e32 v11, 3, v6
	v_subrev_u32_e32 v13, 28, v12
	v_and_b32_e32 v11, 15, v11
	v_lshlrev_b32_e32 v6, v13, v6
	v_sub_u32_e32 v12, 29, v12
	v_and_b32_e32 v6, 7, v6
	v_cmp_eq_u16_e32 vcc, 0, v11
	v_cndmask_b32_e32 v6, v10, v6, vcc
	v_cndmask_b32_e32 v10, v11, v12, vcc
	v_lshlrev_b32_e32 v11, 16, v3
	v_mov_b32_e32 v12, 0x3b800000
	v_lshlrev_b32_e32 v6, 20, v6
	v_and_b32_e32 v11, 0x80000000, v11
	v_lshl_add_u32 v10, v10, 23, v12
	v_or3_b32 v10, v11, v10, v6
.LBB19_1712:
	s_or_b64 exec, exec, s[6:7]
	s_nop 0
	v_mfma_f32_16x16x4f32 a[0:3], v2, v10, a[0:3]
	s_movk_i32 s4, 0xff
	v_and_b32_sdwa v6, v7, s4 dst_sel:DWORD dst_unused:UNUSED_PAD src0_sel:WORD_1 src1_sel:DWORD
	s_movk_i32 s4, 0x7f
	v_cmp_lt_i16_e32 vcc, s4, v6
	s_mov_b64 s[4:5], 0
                                        ; implicit-def: $sgpr10
	s_and_saveexec_b64 s[6:7], vcc
	s_xor_b64 s[6:7], exec, s[6:7]
	s_cbranch_execnz .LBB19_3761
; %bb.1713:
	s_or_saveexec_b64 s[6:7], s[6:7]
	v_mov_b32_e32 v2, s10
	s_xor_b64 exec, exec, s[6:7]
	s_cbranch_execnz .LBB19_3764
.LBB19_1714:
	s_or_b64 exec, exec, s[6:7]
	s_and_saveexec_b64 s[6:7], s[4:5]
	s_cbranch_execz .LBB19_1716
.LBB19_1715:
	v_bfe_u32 v2, v7, 16, 3
	v_ffbh_u32_e32 v11, v2
	v_min_u32_e32 v11, 32, v11
	v_lshrrev_b32_e32 v6, 19, v7
	v_subrev_u32_e32 v12, 28, v11
	v_and_b32_e32 v6, 15, v6
	v_lshlrev_b32_sdwa v12, v12, v7 dst_sel:DWORD dst_unused:UNUSED_PAD src0_sel:DWORD src1_sel:WORD_1
	v_bfe_u32 v10, v7, 19, 4
	v_sub_u32_e32 v11, 29, v11
	v_and_b32_e32 v12, 7, v12
	v_cmp_eq_u16_e32 vcc, 0, v6
	v_cndmask_b32_e32 v2, v2, v12, vcc
	v_cndmask_b32_e32 v6, v10, v11, vcc
	v_lshlrev_b32_e32 v10, 8, v7
	v_mov_b32_e32 v11, 0x3b800000
	v_lshlrev_b32_e32 v2, 20, v2
	v_and_b32_e32 v10, 0x80000000, v10
	v_lshl_add_u32 v6, v6, 23, v11
	v_or3_b32 v2, v10, v6, v2
.LBB19_1716:
	s_or_b64 exec, exec, s[6:7]
	s_movk_i32 s4, 0xff
	v_and_b32_sdwa v6, v3, s4 dst_sel:DWORD dst_unused:UNUSED_PAD src0_sel:WORD_1 src1_sel:DWORD
	s_movk_i32 s4, 0x7f
	v_cmp_lt_i16_e32 vcc, s4, v6
	s_mov_b64 s[4:5], 0
                                        ; implicit-def: $sgpr10
	s_and_saveexec_b64 s[6:7], vcc
	s_xor_b64 s[6:7], exec, s[6:7]
	s_cbranch_execnz .LBB19_3765
; %bb.1717:
	s_or_saveexec_b64 s[6:7], s[6:7]
	v_mov_b32_e32 v10, s10
	s_xor_b64 exec, exec, s[6:7]
	s_cbranch_execnz .LBB19_3768
.LBB19_1718:
	s_or_b64 exec, exec, s[6:7]
	s_and_saveexec_b64 s[6:7], s[4:5]
	s_cbranch_execz .LBB19_1720
.LBB19_1719:
	v_bfe_u32 v6, v3, 16, 3
	v_ffbh_u32_e32 v12, v6
	v_min_u32_e32 v12, 32, v12
	v_lshrrev_b32_e32 v10, 19, v3
	v_subrev_u32_e32 v13, 28, v12
	v_and_b32_e32 v10, 15, v10
	v_lshlrev_b32_sdwa v13, v13, v3 dst_sel:DWORD dst_unused:UNUSED_PAD src0_sel:DWORD src1_sel:WORD_1
	v_bfe_u32 v11, v3, 19, 4
	v_sub_u32_e32 v12, 29, v12
	v_and_b32_e32 v13, 7, v13
	v_cmp_eq_u16_e32 vcc, 0, v10
	v_cndmask_b32_e32 v6, v6, v13, vcc
	v_cndmask_b32_e32 v10, v11, v12, vcc
	v_lshlrev_b32_e32 v11, 8, v3
	v_mov_b32_e32 v12, 0x3b800000
	v_lshlrev_b32_e32 v6, 20, v6
	v_and_b32_e32 v11, 0x80000000, v11
	v_lshl_add_u32 v10, v10, 23, v12
	v_or3_b32 v10, v11, v10, v6
.LBB19_1720:
	s_or_b64 exec, exec, s[6:7]
	s_nop 0
	v_mfma_f32_16x16x4f32 a[0:3], v2, v10, a[0:3]
	s_movk_i32 s4, 0x7f
	v_cmp_gt_i16_sdwa s[6:7], v7, s4 src0_sel:BYTE_3 src1_sel:DWORD
	s_mov_b64 s[4:5], 0
                                        ; implicit-def: $sgpr10
	s_and_saveexec_b64 s[8:9], s[6:7]
	s_xor_b64 s[6:7], exec, s[8:9]
	s_cbranch_execnz .LBB19_3769
; %bb.1721:
	s_or_saveexec_b64 s[6:7], s[6:7]
	v_mov_b32_e32 v2, s10
	s_xor_b64 exec, exec, s[6:7]
	s_cbranch_execnz .LBB19_3772
.LBB19_1722:
	s_or_b64 exec, exec, s[6:7]
	s_and_saveexec_b64 s[6:7], s[4:5]
	s_cbranch_execz .LBB19_1724
.LBB19_1723:
	v_bfe_u32 v2, v7, 24, 3
	v_ffbh_u32_e32 v12, v2
	v_min_u32_e32 v12, 32, v12
	v_lshrrev_b32_e32 v10, 27, v7
	v_subrev_u32_e32 v13, 28, v12
	v_and_b32_e32 v6, 0x80000000, v7
	v_and_b32_e32 v10, 15, v10
	v_bfe_u32 v11, v7, 27, 4
	v_lshlrev_b32_sdwa v7, v13, v7 dst_sel:DWORD dst_unused:UNUSED_PAD src0_sel:DWORD src1_sel:BYTE_3
	v_sub_u32_e32 v12, 29, v12
	v_and_b32_e32 v7, 7, v7
	v_cmp_eq_u16_e32 vcc, 0, v10
	v_cndmask_b32_e32 v2, v2, v7, vcc
	v_cndmask_b32_e32 v7, v11, v12, vcc
	v_mov_b32_e32 v10, 0x3b800000
	v_lshlrev_b32_e32 v2, 20, v2
	v_lshl_add_u32 v7, v7, 23, v10
	v_or3_b32 v2, v6, v7, v2
.LBB19_1724:
	s_or_b64 exec, exec, s[6:7]
	s_movk_i32 s4, 0x7f
	v_cmp_gt_i16_sdwa s[6:7], v3, s4 src0_sel:BYTE_3 src1_sel:DWORD
	s_mov_b64 s[4:5], 0
                                        ; implicit-def: $sgpr10
	s_and_saveexec_b64 s[8:9], s[6:7]
	s_xor_b64 s[6:7], exec, s[8:9]
	s_cbranch_execnz .LBB19_3773
; %bb.1725:
	s_or_saveexec_b64 s[6:7], s[6:7]
	v_mov_b32_e32 v6, s10
	s_xor_b64 exec, exec, s[6:7]
	s_cbranch_execnz .LBB19_3776
.LBB19_1726:
	s_or_b64 exec, exec, s[6:7]
	s_and_saveexec_b64 s[6:7], s[4:5]
	s_cbranch_execz .LBB19_1728
.LBB19_1727:
	v_bfe_u32 v6, v3, 24, 3
	v_ffbh_u32_e32 v12, v6
	v_min_u32_e32 v12, 32, v12
	v_lshrrev_b32_e32 v10, 27, v3
	v_subrev_u32_e32 v13, 28, v12
	v_and_b32_e32 v7, 0x80000000, v3
	v_and_b32_e32 v10, 15, v10
	v_bfe_u32 v11, v3, 27, 4
	v_lshlrev_b32_sdwa v3, v13, v3 dst_sel:DWORD dst_unused:UNUSED_PAD src0_sel:DWORD src1_sel:BYTE_3
	v_sub_u32_e32 v12, 29, v12
	v_and_b32_e32 v3, 7, v3
	v_cmp_eq_u16_e32 vcc, 0, v10
	v_cndmask_b32_e32 v3, v6, v3, vcc
	v_cndmask_b32_e32 v6, v11, v12, vcc
	v_mov_b32_e32 v10, 0x3b800000
	v_lshlrev_b32_e32 v3, 20, v3
	v_lshl_add_u32 v6, v6, 23, v10
	v_or3_b32 v6, v7, v6, v3
.LBB19_1728:
	s_or_b64 exec, exec, s[6:7]
	s_nop 0
	v_mfma_f32_16x16x4f32 a[0:3], v2, v6, a[0:3]
	s_movk_i32 s4, 0x7f
	v_cmp_gt_i16_sdwa s[6:7], v8, s4 src0_sel:BYTE_0 src1_sel:DWORD
	s_mov_b64 s[4:5], 0
                                        ; implicit-def: $sgpr10
	s_and_saveexec_b64 s[8:9], s[6:7]
	s_xor_b64 s[6:7], exec, s[8:9]
	s_cbranch_execnz .LBB19_3777
; %bb.1729:
	s_or_saveexec_b64 s[6:7], s[6:7]
	v_mov_b32_e32 v2, s10
	s_xor_b64 exec, exec, s[6:7]
	s_cbranch_execnz .LBB19_3780
.LBB19_1730:
	s_or_b64 exec, exec, s[6:7]
	s_and_saveexec_b64 s[6:7], s[4:5]
	s_cbranch_execz .LBB19_1732
.LBB19_1731:
	v_and_b32_e32 v2, 7, v8
	v_ffbh_u32_e32 v6, v2
	v_min_u32_e32 v6, 32, v6
	v_lshrrev_b16_e32 v3, 3, v8
	v_subrev_u32_e32 v7, 28, v6
	v_and_b32_e32 v3, 15, v3
	v_lshlrev_b32_e32 v7, v7, v8
	v_sub_u32_e32 v6, 29, v6
	v_and_b32_e32 v7, 7, v7
	v_cmp_eq_u16_e32 vcc, 0, v3
	v_cndmask_b32_e32 v2, v2, v7, vcc
	v_cndmask_b32_e32 v3, v3, v6, vcc
	v_lshlrev_b32_e32 v6, 24, v8
	v_mov_b32_e32 v7, 0x3b800000
	v_lshlrev_b32_e32 v2, 20, v2
	v_and_b32_e32 v6, 0x80000000, v6
	v_lshl_add_u32 v3, v3, 23, v7
	v_or3_b32 v2, v6, v3, v2
.LBB19_1732:
	s_or_b64 exec, exec, s[6:7]
	s_movk_i32 s4, 0x7f
	v_cmp_gt_i16_sdwa s[6:7], v4, s4 src0_sel:BYTE_0 src1_sel:DWORD
	s_mov_b64 s[4:5], 0
                                        ; implicit-def: $sgpr10
	s_and_saveexec_b64 s[8:9], s[6:7]
	s_xor_b64 s[6:7], exec, s[8:9]
	s_cbranch_execnz .LBB19_3781
; %bb.1733:
	s_or_saveexec_b64 s[6:7], s[6:7]
	v_mov_b32_e32 v3, s10
	s_xor_b64 exec, exec, s[6:7]
	s_cbranch_execnz .LBB19_3784
.LBB19_1734:
	s_or_b64 exec, exec, s[6:7]
	s_and_saveexec_b64 s[6:7], s[4:5]
	s_cbranch_execz .LBB19_1736
.LBB19_1735:
	v_and_b32_e32 v3, 7, v4
	v_ffbh_u32_e32 v7, v3
	v_min_u32_e32 v7, 32, v7
	v_lshrrev_b16_e32 v6, 3, v4
	v_subrev_u32_e32 v10, 28, v7
	v_and_b32_e32 v6, 15, v6
	v_lshlrev_b32_e32 v10, v10, v4
	v_sub_u32_e32 v7, 29, v7
	v_and_b32_e32 v10, 7, v10
	v_cmp_eq_u16_e32 vcc, 0, v6
	v_cndmask_b32_e32 v3, v3, v10, vcc
	v_cndmask_b32_e32 v6, v6, v7, vcc
	v_lshlrev_b32_e32 v7, 24, v4
	v_mov_b32_e32 v10, 0x3b800000
	v_lshlrev_b32_e32 v3, 20, v3
	v_and_b32_e32 v7, 0x80000000, v7
	v_lshl_add_u32 v6, v6, 23, v10
	v_or3_b32 v3, v7, v6, v3
.LBB19_1736:
	s_or_b64 exec, exec, s[6:7]
	s_nop 0
	v_mfma_f32_16x16x4f32 a[0:3], v2, v3, a[0:3]
	v_lshrrev_b32_e32 v3, 8, v8
	s_movk_i32 s4, 0x7f
	v_cmp_gt_i16_sdwa s[6:7], v3, s4 src0_sel:BYTE_0 src1_sel:DWORD
	s_mov_b64 s[4:5], 0
                                        ; implicit-def: $sgpr10
	s_and_saveexec_b64 s[8:9], s[6:7]
	s_xor_b64 s[6:7], exec, s[8:9]
	s_cbranch_execnz .LBB19_3785
; %bb.1737:
	s_or_saveexec_b64 s[6:7], s[6:7]
	v_mov_b32_e32 v2, s10
	s_xor_b64 exec, exec, s[6:7]
	s_cbranch_execnz .LBB19_3788
.LBB19_1738:
	s_or_b64 exec, exec, s[6:7]
	s_and_saveexec_b64 s[6:7], s[4:5]
	s_cbranch_execz .LBB19_1740
.LBB19_1739:
	v_bfe_u32 v2, v8, 8, 3
	v_ffbh_u32_e32 v7, v2
	v_min_u32_e32 v7, 32, v7
	v_lshrrev_b16_e32 v6, 3, v3
	v_subrev_u32_e32 v10, 28, v7
	v_and_b32_e32 v6, 15, v6
	v_lshlrev_b32_e32 v3, v10, v3
	v_sub_u32_e32 v7, 29, v7
	v_and_b32_e32 v3, 7, v3
	v_cmp_eq_u16_e32 vcc, 0, v6
	v_cndmask_b32_e32 v2, v2, v3, vcc
	v_cndmask_b32_e32 v3, v6, v7, vcc
	v_lshlrev_b32_e32 v6, 16, v8
	v_mov_b32_e32 v7, 0x3b800000
	v_lshlrev_b32_e32 v2, 20, v2
	v_and_b32_e32 v6, 0x80000000, v6
	v_lshl_add_u32 v3, v3, 23, v7
	v_or3_b32 v2, v6, v3, v2
.LBB19_1740:
	s_or_b64 exec, exec, s[6:7]
	v_lshrrev_b32_e32 v3, 8, v4
	s_movk_i32 s4, 0x7f
	v_cmp_gt_i16_sdwa s[6:7], v3, s4 src0_sel:BYTE_0 src1_sel:DWORD
	s_mov_b64 s[4:5], 0
                                        ; implicit-def: $sgpr10
	s_and_saveexec_b64 s[8:9], s[6:7]
	s_xor_b64 s[6:7], exec, s[8:9]
	s_cbranch_execnz .LBB19_3789
; %bb.1741:
	s_or_saveexec_b64 s[6:7], s[6:7]
	v_mov_b32_e32 v6, s10
	s_xor_b64 exec, exec, s[6:7]
	s_cbranch_execnz .LBB19_3792
.LBB19_1742:
	s_or_b64 exec, exec, s[6:7]
	s_and_saveexec_b64 s[6:7], s[4:5]
	s_cbranch_execz .LBB19_1744
.LBB19_1743:
	v_bfe_u32 v6, v4, 8, 3
	v_ffbh_u32_e32 v10, v6
	v_min_u32_e32 v10, 32, v10
	v_lshrrev_b16_e32 v7, 3, v3
	v_subrev_u32_e32 v11, 28, v10
	v_and_b32_e32 v7, 15, v7
	v_lshlrev_b32_e32 v3, v11, v3
	v_sub_u32_e32 v10, 29, v10
	v_and_b32_e32 v3, 7, v3
	v_cmp_eq_u16_e32 vcc, 0, v7
	v_cndmask_b32_e32 v3, v6, v3, vcc
	v_cndmask_b32_e32 v6, v7, v10, vcc
	v_lshlrev_b32_e32 v7, 16, v4
	v_mov_b32_e32 v10, 0x3b800000
	v_lshlrev_b32_e32 v3, 20, v3
	v_and_b32_e32 v7, 0x80000000, v7
	v_lshl_add_u32 v6, v6, 23, v10
	v_or3_b32 v6, v7, v6, v3
.LBB19_1744:
	s_or_b64 exec, exec, s[6:7]
	s_nop 0
	v_mfma_f32_16x16x4f32 a[0:3], v2, v6, a[0:3]
	s_movk_i32 s4, 0xff
	v_and_b32_sdwa v3, v8, s4 dst_sel:DWORD dst_unused:UNUSED_PAD src0_sel:WORD_1 src1_sel:DWORD
	s_movk_i32 s4, 0x7f
	v_cmp_lt_i16_e32 vcc, s4, v3
	s_mov_b64 s[4:5], 0
                                        ; implicit-def: $sgpr10
	s_and_saveexec_b64 s[6:7], vcc
	s_xor_b64 s[6:7], exec, s[6:7]
	s_cbranch_execnz .LBB19_3793
; %bb.1745:
	s_or_saveexec_b64 s[6:7], s[6:7]
	v_mov_b32_e32 v2, s10
	s_xor_b64 exec, exec, s[6:7]
	s_cbranch_execnz .LBB19_3796
.LBB19_1746:
	s_or_b64 exec, exec, s[6:7]
	s_and_saveexec_b64 s[6:7], s[4:5]
	s_cbranch_execz .LBB19_1748
.LBB19_1747:
	v_bfe_u32 v2, v8, 16, 3
	v_ffbh_u32_e32 v7, v2
	v_min_u32_e32 v7, 32, v7
	v_lshrrev_b32_e32 v3, 19, v8
	v_subrev_u32_e32 v10, 28, v7
	v_and_b32_e32 v3, 15, v3
	v_lshlrev_b32_sdwa v10, v10, v8 dst_sel:DWORD dst_unused:UNUSED_PAD src0_sel:DWORD src1_sel:WORD_1
	v_bfe_u32 v6, v8, 19, 4
	v_sub_u32_e32 v7, 29, v7
	v_and_b32_e32 v10, 7, v10
	v_cmp_eq_u16_e32 vcc, 0, v3
	v_cndmask_b32_e32 v2, v2, v10, vcc
	v_cndmask_b32_e32 v3, v6, v7, vcc
	v_lshlrev_b32_e32 v6, 8, v8
	v_mov_b32_e32 v7, 0x3b800000
	v_lshlrev_b32_e32 v2, 20, v2
	v_and_b32_e32 v6, 0x80000000, v6
	v_lshl_add_u32 v3, v3, 23, v7
	v_or3_b32 v2, v6, v3, v2
.LBB19_1748:
	s_or_b64 exec, exec, s[6:7]
	s_movk_i32 s4, 0xff
	v_and_b32_sdwa v3, v4, s4 dst_sel:DWORD dst_unused:UNUSED_PAD src0_sel:WORD_1 src1_sel:DWORD
	s_movk_i32 s4, 0x7f
	v_cmp_lt_i16_e32 vcc, s4, v3
	s_mov_b64 s[4:5], 0
                                        ; implicit-def: $sgpr10
	s_and_saveexec_b64 s[6:7], vcc
	s_xor_b64 s[6:7], exec, s[6:7]
	s_cbranch_execnz .LBB19_3797
; %bb.1749:
	s_or_saveexec_b64 s[6:7], s[6:7]
	v_mov_b32_e32 v6, s10
	s_xor_b64 exec, exec, s[6:7]
	s_cbranch_execnz .LBB19_3800
.LBB19_1750:
	s_or_b64 exec, exec, s[6:7]
	s_and_saveexec_b64 s[6:7], s[4:5]
	s_cbranch_execz .LBB19_1752
.LBB19_1751:
	v_bfe_u32 v3, v4, 16, 3
	v_ffbh_u32_e32 v10, v3
	v_min_u32_e32 v10, 32, v10
	v_lshrrev_b32_e32 v6, 19, v4
	v_subrev_u32_e32 v11, 28, v10
	v_and_b32_e32 v6, 15, v6
	v_lshlrev_b32_sdwa v11, v11, v4 dst_sel:DWORD dst_unused:UNUSED_PAD src0_sel:DWORD src1_sel:WORD_1
	v_bfe_u32 v7, v4, 19, 4
	v_sub_u32_e32 v10, 29, v10
	v_and_b32_e32 v11, 7, v11
	v_cmp_eq_u16_e32 vcc, 0, v6
	v_cndmask_b32_e32 v3, v3, v11, vcc
	v_cndmask_b32_e32 v6, v7, v10, vcc
	v_lshlrev_b32_e32 v7, 8, v4
	v_mov_b32_e32 v10, 0x3b800000
	v_lshlrev_b32_e32 v3, 20, v3
	v_and_b32_e32 v7, 0x80000000, v7
	v_lshl_add_u32 v6, v6, 23, v10
	v_or3_b32 v6, v7, v6, v3
.LBB19_1752:
	s_or_b64 exec, exec, s[6:7]
	s_nop 0
	v_mfma_f32_16x16x4f32 a[0:3], v2, v6, a[0:3]
	s_movk_i32 s4, 0x7f
	v_cmp_gt_i16_sdwa s[6:7], v8, s4 src0_sel:BYTE_3 src1_sel:DWORD
	s_mov_b64 s[4:5], 0
                                        ; implicit-def: $sgpr10
	s_and_saveexec_b64 s[8:9], s[6:7]
	s_xor_b64 s[6:7], exec, s[8:9]
	s_cbranch_execnz .LBB19_3801
; %bb.1753:
	s_or_saveexec_b64 s[6:7], s[6:7]
	v_mov_b32_e32 v2, s10
	s_xor_b64 exec, exec, s[6:7]
	s_cbranch_execnz .LBB19_3804
.LBB19_1754:
	s_or_b64 exec, exec, s[6:7]
	s_and_saveexec_b64 s[6:7], s[4:5]
	s_cbranch_execz .LBB19_1756
.LBB19_1755:
	v_bfe_u32 v2, v8, 24, 3
	v_ffbh_u32_e32 v10, v2
	v_min_u32_e32 v10, 32, v10
	v_lshrrev_b32_e32 v6, 27, v8
	v_subrev_u32_e32 v11, 28, v10
	v_and_b32_e32 v3, 0x80000000, v8
	v_and_b32_e32 v6, 15, v6
	v_bfe_u32 v7, v8, 27, 4
	v_lshlrev_b32_sdwa v8, v11, v8 dst_sel:DWORD dst_unused:UNUSED_PAD src0_sel:DWORD src1_sel:BYTE_3
	v_sub_u32_e32 v10, 29, v10
	v_and_b32_e32 v8, 7, v8
	v_cmp_eq_u16_e32 vcc, 0, v6
	v_cndmask_b32_e32 v2, v2, v8, vcc
	v_cndmask_b32_e32 v6, v7, v10, vcc
	v_mov_b32_e32 v7, 0x3b800000
	v_lshlrev_b32_e32 v2, 20, v2
	v_lshl_add_u32 v6, v6, 23, v7
	v_or3_b32 v2, v3, v6, v2
.LBB19_1756:
	s_or_b64 exec, exec, s[6:7]
	s_movk_i32 s4, 0x7f
	v_cmp_gt_i16_sdwa s[6:7], v4, s4 src0_sel:BYTE_3 src1_sel:DWORD
	s_mov_b64 s[4:5], 0
                                        ; implicit-def: $sgpr10
	s_and_saveexec_b64 s[8:9], s[6:7]
	s_xor_b64 s[6:7], exec, s[8:9]
	s_cbranch_execnz .LBB19_3805
; %bb.1757:
	s_or_saveexec_b64 s[6:7], s[6:7]
	v_mov_b32_e32 v3, s10
	s_xor_b64 exec, exec, s[6:7]
	s_cbranch_execnz .LBB19_3808
.LBB19_1758:
	s_or_b64 exec, exec, s[6:7]
	s_and_saveexec_b64 s[6:7], s[4:5]
	s_cbranch_execz .LBB19_1760
.LBB19_1759:
	v_bfe_u32 v3, v4, 24, 3
	v_ffbh_u32_e32 v10, v3
	v_min_u32_e32 v10, 32, v10
	v_lshrrev_b32_e32 v7, 27, v4
	v_subrev_u32_e32 v11, 28, v10
	v_and_b32_e32 v6, 0x80000000, v4
	v_and_b32_e32 v7, 15, v7
	v_bfe_u32 v8, v4, 27, 4
	v_lshlrev_b32_sdwa v4, v11, v4 dst_sel:DWORD dst_unused:UNUSED_PAD src0_sel:DWORD src1_sel:BYTE_3
	v_sub_u32_e32 v10, 29, v10
	v_and_b32_e32 v4, 7, v4
	v_cmp_eq_u16_e32 vcc, 0, v7
	v_cndmask_b32_e32 v3, v3, v4, vcc
	v_cndmask_b32_e32 v4, v8, v10, vcc
	v_mov_b32_e32 v7, 0x3b800000
	v_lshlrev_b32_e32 v3, 20, v3
	v_lshl_add_u32 v4, v4, 23, v7
	v_or3_b32 v3, v6, v4, v3
.LBB19_1760:
	s_or_b64 exec, exec, s[6:7]
	s_nop 0
	v_mfma_f32_16x16x4f32 a[0:3], v2, v3, a[0:3]
	s_movk_i32 s4, 0x7f
	v_cmp_gt_i16_sdwa s[6:7], v9, s4 src0_sel:BYTE_0 src1_sel:DWORD
	s_mov_b64 s[4:5], 0
                                        ; implicit-def: $sgpr10
	s_and_saveexec_b64 s[8:9], s[6:7]
	s_xor_b64 s[6:7], exec, s[8:9]
	s_cbranch_execnz .LBB19_3809
; %bb.1761:
	s_or_saveexec_b64 s[6:7], s[6:7]
	v_mov_b32_e32 v2, s10
	s_xor_b64 exec, exec, s[6:7]
	s_cbranch_execnz .LBB19_3812
.LBB19_1762:
	s_or_b64 exec, exec, s[6:7]
	s_and_saveexec_b64 s[6:7], s[4:5]
	s_cbranch_execz .LBB19_1764
.LBB19_1763:
	v_mov_b32_e32 v2, 8
	v_and_b32_e32 v3, 7, v9
	v_lshrrev_b32_sdwa v2, v2, v9 dst_sel:BYTE_1 dst_unused:UNUSED_PAD src0_sel:DWORD src1_sel:DWORD
	v_ffbh_u32_e32 v4, v3
	v_or_b32_sdwa v2, v9, v2 dst_sel:DWORD dst_unused:UNUSED_PAD src0_sel:BYTE_0 src1_sel:DWORD
	v_min_u32_e32 v4, 32, v4
	v_lshrrev_b16_e32 v2, 3, v2
	v_subrev_u32_e32 v6, 28, v4
	v_and_b32_e32 v2, 15, v2
	v_lshlrev_b32_e32 v6, v6, v9
	v_sub_u32_e32 v4, 29, v4
	v_and_b32_e32 v6, 7, v6
	v_cmp_eq_u16_e32 vcc, 0, v2
	v_cndmask_b32_e32 v3, v3, v6, vcc
	v_cndmask_b32_e32 v2, v2, v4, vcc
	v_lshlrev_b32_e32 v4, 24, v9
	v_mov_b32_e32 v6, 0x3b800000
	v_lshlrev_b32_e32 v3, 20, v3
	v_and_b32_e32 v4, 0x80000000, v4
	v_lshl_add_u32 v2, v2, 23, v6
	v_or3_b32 v2, v4, v2, v3
.LBB19_1764:
	s_or_b64 exec, exec, s[6:7]
	s_movk_i32 s4, 0x7f
	v_cmp_gt_i16_sdwa s[6:7], v5, s4 src0_sel:BYTE_0 src1_sel:DWORD
	s_mov_b64 s[4:5], 0
                                        ; implicit-def: $sgpr10
	s_and_saveexec_b64 s[8:9], s[6:7]
	s_xor_b64 s[6:7], exec, s[8:9]
	s_cbranch_execnz .LBB19_3813
; %bb.1765:
	s_or_saveexec_b64 s[6:7], s[6:7]
	v_mov_b32_e32 v3, s10
	s_xor_b64 exec, exec, s[6:7]
	s_cbranch_execnz .LBB19_3816
.LBB19_1766:
	s_or_b64 exec, exec, s[6:7]
	s_and_saveexec_b64 s[6:7], s[4:5]
	s_cbranch_execz .LBB19_1768
.LBB19_1767:
	v_mov_b32_e32 v3, 8
	v_and_b32_e32 v4, 7, v5
	v_lshrrev_b32_sdwa v3, v3, v5 dst_sel:BYTE_1 dst_unused:UNUSED_PAD src0_sel:DWORD src1_sel:DWORD
	v_ffbh_u32_e32 v6, v4
	v_or_b32_sdwa v3, v5, v3 dst_sel:DWORD dst_unused:UNUSED_PAD src0_sel:BYTE_0 src1_sel:DWORD
	v_min_u32_e32 v6, 32, v6
	v_lshrrev_b16_e32 v3, 3, v3
	v_subrev_u32_e32 v7, 28, v6
	v_and_b32_e32 v3, 15, v3
	v_lshlrev_b32_e32 v7, v7, v5
	v_sub_u32_e32 v6, 29, v6
	v_and_b32_e32 v7, 7, v7
	v_cmp_eq_u16_e32 vcc, 0, v3
	v_cndmask_b32_e32 v4, v4, v7, vcc
	v_cndmask_b32_e32 v3, v3, v6, vcc
	v_lshlrev_b32_e32 v6, 24, v5
	v_mov_b32_e32 v7, 0x3b800000
	v_lshlrev_b32_e32 v4, 20, v4
	v_and_b32_e32 v6, 0x80000000, v6
	v_lshl_add_u32 v3, v3, 23, v7
	v_or3_b32 v3, v6, v3, v4
.LBB19_1768:
	s_or_b64 exec, exec, s[6:7]
	s_nop 0
	v_mfma_f32_16x16x4f32 a[0:3], v2, v3, a[0:3]
	v_lshrrev_b32_e32 v3, 8, v9
	s_movk_i32 s4, 0x7f
	v_cmp_gt_i16_sdwa s[6:7], v3, s4 src0_sel:BYTE_0 src1_sel:DWORD
	s_mov_b64 s[4:5], 0
                                        ; implicit-def: $sgpr10
	s_and_saveexec_b64 s[8:9], s[6:7]
	s_xor_b64 s[6:7], exec, s[8:9]
	s_cbranch_execnz .LBB19_3817
; %bb.1769:
	s_or_saveexec_b64 s[6:7], s[6:7]
	v_mov_b32_e32 v2, s10
	s_xor_b64 exec, exec, s[6:7]
	s_cbranch_execnz .LBB19_3820
.LBB19_1770:
	s_or_b64 exec, exec, s[6:7]
	s_and_saveexec_b64 s[6:7], s[4:5]
	s_cbranch_execz .LBB19_1772
.LBB19_1771:
	v_bfe_u32 v2, v9, 8, 3
	v_ffbh_u32_e32 v6, v2
	v_min_u32_e32 v6, 32, v6
	v_lshrrev_b16_e32 v4, 3, v3
	v_subrev_u32_e32 v7, 28, v6
	v_and_b32_e32 v4, 15, v4
	v_lshlrev_b32_e32 v3, v7, v3
	v_sub_u32_e32 v6, 29, v6
	v_and_b32_e32 v3, 7, v3
	v_cmp_eq_u16_e32 vcc, 0, v4
	v_cndmask_b32_e32 v2, v2, v3, vcc
	v_cndmask_b32_e32 v3, v4, v6, vcc
	v_lshlrev_b32_e32 v4, 16, v9
	v_mov_b32_e32 v6, 0x3b800000
	v_lshlrev_b32_e32 v2, 20, v2
	v_and_b32_e32 v4, 0x80000000, v4
	v_lshl_add_u32 v3, v3, 23, v6
	v_or3_b32 v2, v4, v3, v2
.LBB19_1772:
	s_or_b64 exec, exec, s[6:7]
	v_lshrrev_b32_e32 v3, 8, v5
	s_movk_i32 s4, 0x7f
	v_cmp_gt_i16_sdwa s[6:7], v3, s4 src0_sel:BYTE_0 src1_sel:DWORD
	s_mov_b64 s[4:5], 0
                                        ; implicit-def: $sgpr10
	s_and_saveexec_b64 s[8:9], s[6:7]
	s_xor_b64 s[6:7], exec, s[8:9]
	s_cbranch_execnz .LBB19_3821
; %bb.1773:
	s_or_saveexec_b64 s[6:7], s[6:7]
	v_mov_b32_e32 v4, s10
	s_xor_b64 exec, exec, s[6:7]
	s_cbranch_execnz .LBB19_3824
.LBB19_1774:
	s_or_b64 exec, exec, s[6:7]
	s_and_saveexec_b64 s[6:7], s[4:5]
	s_cbranch_execz .LBB19_1776
.LBB19_1775:
	v_bfe_u32 v4, v5, 8, 3
	v_ffbh_u32_e32 v7, v4
	v_min_u32_e32 v7, 32, v7
	v_lshrrev_b16_e32 v6, 3, v3
	v_subrev_u32_e32 v8, 28, v7
	v_and_b32_e32 v6, 15, v6
	v_lshlrev_b32_e32 v3, v8, v3
	v_sub_u32_e32 v7, 29, v7
	v_and_b32_e32 v3, 7, v3
	v_cmp_eq_u16_e32 vcc, 0, v6
	v_cndmask_b32_e32 v3, v4, v3, vcc
	v_cndmask_b32_e32 v4, v6, v7, vcc
	v_lshlrev_b32_e32 v6, 16, v5
	v_mov_b32_e32 v7, 0x3b800000
	v_lshlrev_b32_e32 v3, 20, v3
	v_and_b32_e32 v6, 0x80000000, v6
	v_lshl_add_u32 v4, v4, 23, v7
	v_or3_b32 v4, v6, v4, v3
.LBB19_1776:
	s_or_b64 exec, exec, s[6:7]
	s_nop 0
	v_mfma_f32_16x16x4f32 a[0:3], v2, v4, a[0:3]
	s_movk_i32 s4, 0xff
	v_and_b32_sdwa v3, v9, s4 dst_sel:DWORD dst_unused:UNUSED_PAD src0_sel:WORD_1 src1_sel:DWORD
	s_movk_i32 s4, 0x7f
	v_cmp_lt_i16_e32 vcc, s4, v3
	s_mov_b64 s[4:5], 0
                                        ; implicit-def: $sgpr10
	s_and_saveexec_b64 s[6:7], vcc
	s_xor_b64 s[6:7], exec, s[6:7]
	s_cbranch_execnz .LBB19_3825
; %bb.1777:
	s_or_saveexec_b64 s[6:7], s[6:7]
	v_mov_b32_e32 v2, s10
	s_xor_b64 exec, exec, s[6:7]
	s_cbranch_execnz .LBB19_3828
.LBB19_1778:
	s_or_b64 exec, exec, s[6:7]
	s_and_saveexec_b64 s[6:7], s[4:5]
	s_cbranch_execz .LBB19_1780
.LBB19_1779:
	v_bfe_u32 v2, v9, 16, 3
	v_ffbh_u32_e32 v6, v2
	v_min_u32_e32 v6, 32, v6
	v_lshrrev_b32_e32 v3, 19, v9
	v_subrev_u32_e32 v7, 28, v6
	v_and_b32_e32 v3, 15, v3
	v_lshlrev_b32_sdwa v7, v7, v9 dst_sel:DWORD dst_unused:UNUSED_PAD src0_sel:DWORD src1_sel:WORD_1
	v_bfe_u32 v4, v9, 19, 4
	v_sub_u32_e32 v6, 29, v6
	v_and_b32_e32 v7, 7, v7
	v_cmp_eq_u16_e32 vcc, 0, v3
	v_cndmask_b32_e32 v2, v2, v7, vcc
	v_cndmask_b32_e32 v3, v4, v6, vcc
	v_lshlrev_b32_e32 v4, 8, v9
	v_mov_b32_e32 v6, 0x3b800000
	v_lshlrev_b32_e32 v2, 20, v2
	v_and_b32_e32 v4, 0x80000000, v4
	v_lshl_add_u32 v3, v3, 23, v6
	v_or3_b32 v2, v4, v3, v2
.LBB19_1780:
	s_or_b64 exec, exec, s[6:7]
	s_movk_i32 s4, 0xff
	v_and_b32_sdwa v3, v5, s4 dst_sel:DWORD dst_unused:UNUSED_PAD src0_sel:WORD_1 src1_sel:DWORD
	s_movk_i32 s4, 0x7f
	v_cmp_lt_i16_e32 vcc, s4, v3
	s_mov_b64 s[4:5], 0
                                        ; implicit-def: $sgpr10
	s_and_saveexec_b64 s[6:7], vcc
	s_xor_b64 s[6:7], exec, s[6:7]
	s_cbranch_execnz .LBB19_3829
; %bb.1781:
	s_or_saveexec_b64 s[6:7], s[6:7]
	v_mov_b32_e32 v4, s10
	s_xor_b64 exec, exec, s[6:7]
	s_cbranch_execnz .LBB19_3832
.LBB19_1782:
	s_or_b64 exec, exec, s[6:7]
	s_and_saveexec_b64 s[6:7], s[4:5]
	s_cbranch_execz .LBB19_1784
.LBB19_1783:
	v_bfe_u32 v3, v5, 16, 3
	v_ffbh_u32_e32 v7, v3
	v_min_u32_e32 v7, 32, v7
	v_lshrrev_b32_e32 v4, 19, v5
	v_subrev_u32_e32 v8, 28, v7
	v_and_b32_e32 v4, 15, v4
	v_lshlrev_b32_sdwa v8, v8, v5 dst_sel:DWORD dst_unused:UNUSED_PAD src0_sel:DWORD src1_sel:WORD_1
	v_bfe_u32 v6, v5, 19, 4
	v_sub_u32_e32 v7, 29, v7
	v_and_b32_e32 v8, 7, v8
	v_cmp_eq_u16_e32 vcc, 0, v4
	v_cndmask_b32_e32 v3, v3, v8, vcc
	v_cndmask_b32_e32 v4, v6, v7, vcc
	v_lshlrev_b32_e32 v6, 8, v5
	v_mov_b32_e32 v7, 0x3b800000
	v_lshlrev_b32_e32 v3, 20, v3
	v_and_b32_e32 v6, 0x80000000, v6
	v_lshl_add_u32 v4, v4, 23, v7
	v_or3_b32 v4, v6, v4, v3
.LBB19_1784:
	s_or_b64 exec, exec, s[6:7]
	s_nop 0
	v_mfma_f32_16x16x4f32 a[0:3], v2, v4, a[0:3]
	s_movk_i32 s4, 0x7f
	v_cmp_gt_i16_sdwa s[6:7], v9, s4 src0_sel:BYTE_3 src1_sel:DWORD
	s_mov_b64 s[4:5], 0
                                        ; implicit-def: $sgpr10
	s_and_saveexec_b64 s[8:9], s[6:7]
	s_xor_b64 s[6:7], exec, s[8:9]
	s_cbranch_execnz .LBB19_3833
; %bb.1785:
	s_or_saveexec_b64 s[6:7], s[6:7]
	v_mov_b32_e32 v2, s10
	s_xor_b64 exec, exec, s[6:7]
	s_cbranch_execnz .LBB19_3836
.LBB19_1786:
	s_or_b64 exec, exec, s[6:7]
	s_and_saveexec_b64 s[6:7], s[4:5]
	s_cbranch_execz .LBB19_1788
.LBB19_1787:
	v_bfe_u32 v2, v9, 24, 3
	v_ffbh_u32_e32 v7, v2
	v_min_u32_e32 v7, 32, v7
	v_lshrrev_b32_e32 v4, 27, v9
	v_subrev_u32_e32 v8, 28, v7
	v_and_b32_e32 v4, 15, v4
	v_lshlrev_b32_sdwa v8, v8, v9 dst_sel:DWORD dst_unused:UNUSED_PAD src0_sel:DWORD src1_sel:BYTE_3
	v_bfe_u32 v6, v9, 27, 4
	v_sub_u32_e32 v7, 29, v7
	v_and_b32_e32 v8, 7, v8
	v_cmp_eq_u16_e32 vcc, 0, v4
	v_cndmask_b32_e32 v2, v2, v8, vcc
	v_cndmask_b32_e32 v4, v6, v7, vcc
	v_mov_b32_e32 v6, 0x3b800000
	v_and_b32_e32 v3, 0x80000000, v9
	v_lshlrev_b32_e32 v2, 20, v2
	v_lshl_add_u32 v4, v4, 23, v6
	v_or3_b32 v2, v3, v4, v2
.LBB19_1788:
	s_or_b64 exec, exec, s[6:7]
	s_movk_i32 s4, 0x7f
	v_cmp_gt_i16_sdwa s[6:7], v5, s4 src0_sel:BYTE_3 src1_sel:DWORD
	s_mov_b64 s[4:5], 0
                                        ; implicit-def: $sgpr10
	s_and_saveexec_b64 s[8:9], s[6:7]
	s_xor_b64 s[6:7], exec, s[8:9]
	s_cbranch_execnz .LBB19_3837
; %bb.1789:
	s_or_saveexec_b64 s[6:7], s[6:7]
	v_mov_b32_e32 v3, s10
	s_xor_b64 exec, exec, s[6:7]
	s_cbranch_execnz .LBB19_3840
.LBB19_1790:
	s_or_b64 exec, exec, s[6:7]
	s_and_saveexec_b64 s[6:7], s[4:5]
	s_cbranch_execz .LBB19_1792
.LBB19_1791:
	v_bfe_u32 v3, v5, 24, 3
	v_ffbh_u32_e32 v8, v3
	v_min_u32_e32 v8, 32, v8
	v_lshrrev_b32_e32 v6, 27, v5
	v_subrev_u32_e32 v9, 28, v8
	v_and_b32_e32 v4, 0x80000000, v5
	v_and_b32_e32 v6, 15, v6
	v_bfe_u32 v7, v5, 27, 4
	v_lshlrev_b32_sdwa v5, v9, v5 dst_sel:DWORD dst_unused:UNUSED_PAD src0_sel:DWORD src1_sel:BYTE_3
	v_sub_u32_e32 v8, 29, v8
	v_and_b32_e32 v5, 7, v5
	v_cmp_eq_u16_e32 vcc, 0, v6
	v_cndmask_b32_e32 v3, v3, v5, vcc
	v_cndmask_b32_e32 v5, v7, v8, vcc
	v_mov_b32_e32 v6, 0x3b800000
	v_lshlrev_b32_e32 v3, 20, v3
	v_lshl_add_u32 v5, v5, 23, v6
	v_or3_b32 v3, v4, v5, v3
.LBB19_1792:
	s_or_b64 exec, exec, s[6:7]
	s_nop 0
	v_mfma_f32_16x16x4f32 a[0:3], v2, v3, a[0:3]
	s_movk_i32 s4, 0x7f
                                        ; implicit-def: $sgpr10
	s_nop 7
	s_nop 1
	flat_store_dwordx4 v[18:19], a[0:3] offset:224
	flat_load_dwordx4 v[18:21], v[0:1] offset:8
	s_nop 0
	flat_load_dwordx2 v[16:17], v[0:1] offset:24
	s_waitcnt vmcnt(0) lgkmcnt(0)
	flat_load_dwordx4 v[12:15], v[18:19] offset:32
	flat_load_dwordx4 v[4:7], v[18:19] offset:48
	;; [unrolled: 1-line block ×4, first 2 shown]
	s_waitcnt vmcnt(0) lgkmcnt(0)
	v_cmp_gt_i16_sdwa s[6:7], v12, s4 src0_sel:BYTE_0 src1_sel:DWORD
	s_mov_b64 s[4:5], 0
	s_and_saveexec_b64 s[8:9], s[6:7]
	s_xor_b64 s[6:7], exec, s[8:9]
	s_cbranch_execnz .LBB19_3841
; %bb.1793:
	s_or_saveexec_b64 s[6:7], s[6:7]
	v_mov_b32_e32 v18, s10
	s_xor_b64 exec, exec, s[6:7]
	s_cbranch_execnz .LBB19_3844
.LBB19_1794:
	s_or_b64 exec, exec, s[6:7]
	s_and_saveexec_b64 s[6:7], s[4:5]
	s_cbranch_execz .LBB19_1796
.LBB19_1795:
	v_and_b32_e32 v18, 7, v12
	v_ffbh_u32_e32 v20, v18
	v_min_u32_e32 v20, 32, v20
	v_lshrrev_b16_e32 v19, 3, v12
	v_subrev_u32_e32 v21, 28, v20
	v_and_b32_e32 v19, 15, v19
	v_lshlrev_b32_e32 v21, v21, v12
	v_sub_u32_e32 v20, 29, v20
	v_and_b32_e32 v21, 7, v21
	v_cmp_eq_u16_e32 vcc, 0, v19
	v_cndmask_b32_e32 v18, v18, v21, vcc
	v_cndmask_b32_e32 v19, v19, v20, vcc
	v_lshlrev_b32_e32 v20, 24, v12
	v_mov_b32_e32 v21, 0x3b800000
	v_lshlrev_b32_e32 v18, 20, v18
	v_and_b32_e32 v20, 0x80000000, v20
	v_lshl_add_u32 v19, v19, 23, v21
	v_or3_b32 v18, v20, v19, v18
.LBB19_1796:
	s_or_b64 exec, exec, s[6:7]
	s_movk_i32 s4, 0x7f
	v_cmp_gt_i16_sdwa s[6:7], v8, s4 src0_sel:BYTE_0 src1_sel:DWORD
	s_mov_b64 s[4:5], 0
                                        ; implicit-def: $sgpr10
	s_and_saveexec_b64 s[8:9], s[6:7]
	s_xor_b64 s[6:7], exec, s[8:9]
	s_cbranch_execnz .LBB19_3845
; %bb.1797:
	s_or_saveexec_b64 s[6:7], s[6:7]
	v_mov_b32_e32 v19, s10
	s_xor_b64 exec, exec, s[6:7]
	s_cbranch_execnz .LBB19_3848
.LBB19_1798:
	s_or_b64 exec, exec, s[6:7]
	s_and_saveexec_b64 s[6:7], s[4:5]
	s_cbranch_execz .LBB19_1800
.LBB19_1799:
	v_and_b32_e32 v19, 7, v8
	v_ffbh_u32_e32 v21, v19
	v_min_u32_e32 v21, 32, v21
	v_lshrrev_b16_e32 v20, 3, v8
	v_subrev_u32_e32 v22, 28, v21
	v_and_b32_e32 v20, 15, v20
	v_lshlrev_b32_e32 v22, v22, v8
	v_sub_u32_e32 v21, 29, v21
	v_and_b32_e32 v22, 7, v22
	v_cmp_eq_u16_e32 vcc, 0, v20
	v_cndmask_b32_e32 v19, v19, v22, vcc
	v_cndmask_b32_e32 v20, v20, v21, vcc
	v_lshlrev_b32_e32 v21, 24, v8
	v_mov_b32_e32 v22, 0x3b800000
	v_lshlrev_b32_e32 v19, 20, v19
	v_and_b32_e32 v21, 0x80000000, v21
	v_lshl_add_u32 v20, v20, 23, v22
	v_or3_b32 v19, v21, v20, v19
.LBB19_1800:
	s_or_b64 exec, exec, s[6:7]
	flat_load_dwordx4 a[0:3], v[16:17] offset:240
	s_movk_i32 s4, 0x7f
                                        ; implicit-def: $sgpr10
	s_waitcnt vmcnt(0) lgkmcnt(0)
	v_mfma_f32_16x16x4f32 a[0:3], v18, v19, a[0:3]
	v_lshrrev_b32_e32 v19, 8, v12
	v_cmp_gt_i16_sdwa s[6:7], v19, s4 src0_sel:BYTE_0 src1_sel:DWORD
	s_mov_b64 s[4:5], 0
	s_and_saveexec_b64 s[8:9], s[6:7]
	s_xor_b64 s[6:7], exec, s[8:9]
	s_cbranch_execnz .LBB19_3849
; %bb.1801:
	s_or_saveexec_b64 s[6:7], s[6:7]
	v_mov_b32_e32 v18, s10
	s_xor_b64 exec, exec, s[6:7]
	s_cbranch_execnz .LBB19_3852
.LBB19_1802:
	s_or_b64 exec, exec, s[6:7]
	s_and_saveexec_b64 s[6:7], s[4:5]
	s_cbranch_execz .LBB19_1804
.LBB19_1803:
	v_bfe_u32 v18, v12, 8, 3
	v_ffbh_u32_e32 v21, v18
	v_min_u32_e32 v21, 32, v21
	v_lshrrev_b16_e32 v20, 3, v19
	v_subrev_u32_e32 v22, 28, v21
	v_and_b32_e32 v20, 15, v20
	v_lshlrev_b32_e32 v19, v22, v19
	v_sub_u32_e32 v21, 29, v21
	v_and_b32_e32 v19, 7, v19
	v_cmp_eq_u16_e32 vcc, 0, v20
	v_cndmask_b32_e32 v18, v18, v19, vcc
	v_cndmask_b32_e32 v19, v20, v21, vcc
	v_lshlrev_b32_e32 v20, 16, v12
	v_mov_b32_e32 v21, 0x3b800000
	v_lshlrev_b32_e32 v18, 20, v18
	v_and_b32_e32 v20, 0x80000000, v20
	v_lshl_add_u32 v19, v19, 23, v21
	v_or3_b32 v18, v20, v19, v18
.LBB19_1804:
	s_or_b64 exec, exec, s[6:7]
	v_lshrrev_b32_e32 v19, 8, v8
	s_movk_i32 s4, 0x7f
	v_cmp_gt_i16_sdwa s[6:7], v19, s4 src0_sel:BYTE_0 src1_sel:DWORD
	s_mov_b64 s[4:5], 0
                                        ; implicit-def: $sgpr10
	s_and_saveexec_b64 s[8:9], s[6:7]
	s_xor_b64 s[6:7], exec, s[8:9]
	s_cbranch_execnz .LBB19_3853
; %bb.1805:
	s_or_saveexec_b64 s[6:7], s[6:7]
	v_mov_b32_e32 v20, s10
	s_xor_b64 exec, exec, s[6:7]
	s_cbranch_execnz .LBB19_3856
.LBB19_1806:
	s_or_b64 exec, exec, s[6:7]
	s_and_saveexec_b64 s[6:7], s[4:5]
	s_cbranch_execz .LBB19_1808
.LBB19_1807:
	v_bfe_u32 v20, v8, 8, 3
	v_ffbh_u32_e32 v22, v20
	v_min_u32_e32 v22, 32, v22
	v_lshrrev_b16_e32 v21, 3, v19
	v_subrev_u32_e32 v23, 28, v22
	v_and_b32_e32 v21, 15, v21
	v_lshlrev_b32_e32 v19, v23, v19
	v_sub_u32_e32 v22, 29, v22
	v_and_b32_e32 v19, 7, v19
	v_cmp_eq_u16_e32 vcc, 0, v21
	v_cndmask_b32_e32 v19, v20, v19, vcc
	v_cndmask_b32_e32 v20, v21, v22, vcc
	v_lshlrev_b32_e32 v21, 16, v8
	v_mov_b32_e32 v22, 0x3b800000
	v_lshlrev_b32_e32 v19, 20, v19
	v_and_b32_e32 v21, 0x80000000, v21
	v_lshl_add_u32 v20, v20, 23, v22
	v_or3_b32 v20, v21, v20, v19
.LBB19_1808:
	s_or_b64 exec, exec, s[6:7]
	s_nop 0
	v_mfma_f32_16x16x4f32 a[0:3], v18, v20, a[0:3]
	s_movk_i32 s4, 0xff
	v_and_b32_sdwa v19, v12, s4 dst_sel:DWORD dst_unused:UNUSED_PAD src0_sel:WORD_1 src1_sel:DWORD
	s_movk_i32 s4, 0x7f
	v_cmp_lt_i16_e32 vcc, s4, v19
	s_mov_b64 s[4:5], 0
                                        ; implicit-def: $sgpr10
	s_and_saveexec_b64 s[6:7], vcc
	s_xor_b64 s[6:7], exec, s[6:7]
	s_cbranch_execnz .LBB19_3857
; %bb.1809:
	s_or_saveexec_b64 s[6:7], s[6:7]
	v_mov_b32_e32 v18, s10
	s_xor_b64 exec, exec, s[6:7]
	s_cbranch_execnz .LBB19_3860
.LBB19_1810:
	s_or_b64 exec, exec, s[6:7]
	s_and_saveexec_b64 s[6:7], s[4:5]
	s_cbranch_execz .LBB19_1812
.LBB19_1811:
	v_bfe_u32 v18, v12, 16, 3
	v_ffbh_u32_e32 v21, v18
	v_min_u32_e32 v21, 32, v21
	v_lshrrev_b32_e32 v19, 19, v12
	v_subrev_u32_e32 v22, 28, v21
	v_and_b32_e32 v19, 15, v19
	v_lshlrev_b32_sdwa v22, v22, v12 dst_sel:DWORD dst_unused:UNUSED_PAD src0_sel:DWORD src1_sel:WORD_1
	v_bfe_u32 v20, v12, 19, 4
	v_sub_u32_e32 v21, 29, v21
	v_and_b32_e32 v22, 7, v22
	v_cmp_eq_u16_e32 vcc, 0, v19
	v_cndmask_b32_e32 v18, v18, v22, vcc
	v_cndmask_b32_e32 v19, v20, v21, vcc
	v_lshlrev_b32_e32 v20, 8, v12
	v_mov_b32_e32 v21, 0x3b800000
	v_lshlrev_b32_e32 v18, 20, v18
	v_and_b32_e32 v20, 0x80000000, v20
	v_lshl_add_u32 v19, v19, 23, v21
	v_or3_b32 v18, v20, v19, v18
.LBB19_1812:
	s_or_b64 exec, exec, s[6:7]
	s_movk_i32 s4, 0xff
	v_and_b32_sdwa v19, v8, s4 dst_sel:DWORD dst_unused:UNUSED_PAD src0_sel:WORD_1 src1_sel:DWORD
	s_movk_i32 s4, 0x7f
	v_cmp_lt_i16_e32 vcc, s4, v19
	s_mov_b64 s[4:5], 0
                                        ; implicit-def: $sgpr10
	s_and_saveexec_b64 s[6:7], vcc
	s_xor_b64 s[6:7], exec, s[6:7]
	s_cbranch_execnz .LBB19_3861
; %bb.1813:
	s_or_saveexec_b64 s[6:7], s[6:7]
	v_mov_b32_e32 v20, s10
	s_xor_b64 exec, exec, s[6:7]
	s_cbranch_execnz .LBB19_3864
.LBB19_1814:
	s_or_b64 exec, exec, s[6:7]
	s_and_saveexec_b64 s[6:7], s[4:5]
	s_cbranch_execz .LBB19_1816
.LBB19_1815:
	v_bfe_u32 v19, v8, 16, 3
	v_ffbh_u32_e32 v22, v19
	v_min_u32_e32 v22, 32, v22
	v_lshrrev_b32_e32 v20, 19, v8
	v_subrev_u32_e32 v23, 28, v22
	v_and_b32_e32 v20, 15, v20
	v_lshlrev_b32_sdwa v23, v23, v8 dst_sel:DWORD dst_unused:UNUSED_PAD src0_sel:DWORD src1_sel:WORD_1
	v_bfe_u32 v21, v8, 19, 4
	v_sub_u32_e32 v22, 29, v22
	v_and_b32_e32 v23, 7, v23
	v_cmp_eq_u16_e32 vcc, 0, v20
	v_cndmask_b32_e32 v19, v19, v23, vcc
	v_cndmask_b32_e32 v20, v21, v22, vcc
	v_lshlrev_b32_e32 v21, 8, v8
	v_mov_b32_e32 v22, 0x3b800000
	v_lshlrev_b32_e32 v19, 20, v19
	v_and_b32_e32 v21, 0x80000000, v21
	v_lshl_add_u32 v20, v20, 23, v22
	v_or3_b32 v20, v21, v20, v19
.LBB19_1816:
	s_or_b64 exec, exec, s[6:7]
	s_nop 0
	v_mfma_f32_16x16x4f32 a[0:3], v18, v20, a[0:3]
	s_movk_i32 s4, 0x7f
	v_cmp_gt_i16_sdwa s[6:7], v12, s4 src0_sel:BYTE_3 src1_sel:DWORD
	s_mov_b64 s[4:5], 0
                                        ; implicit-def: $sgpr10
	s_and_saveexec_b64 s[8:9], s[6:7]
	s_xor_b64 s[6:7], exec, s[8:9]
	s_cbranch_execnz .LBB19_3865
; %bb.1817:
	s_or_saveexec_b64 s[6:7], s[6:7]
	v_mov_b32_e32 v18, s10
	s_xor_b64 exec, exec, s[6:7]
	s_cbranch_execnz .LBB19_3868
.LBB19_1818:
	s_or_b64 exec, exec, s[6:7]
	s_and_saveexec_b64 s[6:7], s[4:5]
	s_cbranch_execz .LBB19_1820
.LBB19_1819:
	v_bfe_u32 v18, v12, 24, 3
	v_ffbh_u32_e32 v22, v18
	v_min_u32_e32 v22, 32, v22
	v_lshrrev_b32_e32 v20, 27, v12
	v_subrev_u32_e32 v23, 28, v22
	v_and_b32_e32 v19, 0x80000000, v12
	v_and_b32_e32 v20, 15, v20
	v_bfe_u32 v21, v12, 27, 4
	v_lshlrev_b32_sdwa v12, v23, v12 dst_sel:DWORD dst_unused:UNUSED_PAD src0_sel:DWORD src1_sel:BYTE_3
	v_sub_u32_e32 v22, 29, v22
	v_and_b32_e32 v12, 7, v12
	v_cmp_eq_u16_e32 vcc, 0, v20
	v_cndmask_b32_e32 v12, v18, v12, vcc
	v_cndmask_b32_e32 v18, v21, v22, vcc
	v_mov_b32_e32 v20, 0x3b800000
	v_lshlrev_b32_e32 v12, 20, v12
	v_lshl_add_u32 v18, v18, 23, v20
	v_or3_b32 v18, v19, v18, v12
.LBB19_1820:
	s_or_b64 exec, exec, s[6:7]
	s_movk_i32 s4, 0x7f
	v_cmp_gt_i16_sdwa s[6:7], v8, s4 src0_sel:BYTE_3 src1_sel:DWORD
	s_mov_b64 s[4:5], 0
                                        ; implicit-def: $sgpr10
	s_and_saveexec_b64 s[8:9], s[6:7]
	s_xor_b64 s[6:7], exec, s[8:9]
	s_cbranch_execnz .LBB19_3869
; %bb.1821:
	s_or_saveexec_b64 s[6:7], s[6:7]
	v_mov_b32_e32 v12, s10
	s_xor_b64 exec, exec, s[6:7]
	s_cbranch_execnz .LBB19_3872
.LBB19_1822:
	s_or_b64 exec, exec, s[6:7]
	s_and_saveexec_b64 s[6:7], s[4:5]
	s_cbranch_execz .LBB19_1824
.LBB19_1823:
	v_bfe_u32 v12, v8, 24, 3
	v_ffbh_u32_e32 v22, v12
	v_min_u32_e32 v22, 32, v22
	v_lshrrev_b32_e32 v20, 27, v8
	v_subrev_u32_e32 v23, 28, v22
	v_and_b32_e32 v19, 0x80000000, v8
	v_and_b32_e32 v20, 15, v20
	v_bfe_u32 v21, v8, 27, 4
	v_lshlrev_b32_sdwa v8, v23, v8 dst_sel:DWORD dst_unused:UNUSED_PAD src0_sel:DWORD src1_sel:BYTE_3
	v_sub_u32_e32 v22, 29, v22
	v_and_b32_e32 v8, 7, v8
	v_cmp_eq_u16_e32 vcc, 0, v20
	v_cndmask_b32_e32 v8, v12, v8, vcc
	v_cndmask_b32_e32 v12, v21, v22, vcc
	v_mov_b32_e32 v20, 0x3b800000
	v_lshlrev_b32_e32 v8, 20, v8
	v_lshl_add_u32 v12, v12, 23, v20
	v_or3_b32 v12, v19, v12, v8
.LBB19_1824:
	s_or_b64 exec, exec, s[6:7]
	s_nop 0
	v_mfma_f32_16x16x4f32 a[0:3], v18, v12, a[0:3]
	s_movk_i32 s4, 0x7f
	v_cmp_gt_i16_sdwa s[6:7], v13, s4 src0_sel:BYTE_0 src1_sel:DWORD
	s_mov_b64 s[4:5], 0
                                        ; implicit-def: $sgpr10
	s_and_saveexec_b64 s[8:9], s[6:7]
	s_xor_b64 s[6:7], exec, s[8:9]
	s_cbranch_execnz .LBB19_3873
; %bb.1825:
	s_or_saveexec_b64 s[6:7], s[6:7]
	v_mov_b32_e32 v8, s10
	s_xor_b64 exec, exec, s[6:7]
	s_cbranch_execnz .LBB19_3876
.LBB19_1826:
	s_or_b64 exec, exec, s[6:7]
	s_and_saveexec_b64 s[6:7], s[4:5]
	s_cbranch_execz .LBB19_1828
.LBB19_1827:
	v_and_b32_e32 v8, 7, v13
	v_ffbh_u32_e32 v18, v8
	v_min_u32_e32 v18, 32, v18
	v_lshrrev_b16_e32 v12, 3, v13
	v_subrev_u32_e32 v19, 28, v18
	v_and_b32_e32 v12, 15, v12
	v_lshlrev_b32_e32 v19, v19, v13
	v_sub_u32_e32 v18, 29, v18
	v_and_b32_e32 v19, 7, v19
	v_cmp_eq_u16_e32 vcc, 0, v12
	v_cndmask_b32_e32 v8, v8, v19, vcc
	v_cndmask_b32_e32 v12, v12, v18, vcc
	v_lshlrev_b32_e32 v18, 24, v13
	v_mov_b32_e32 v19, 0x3b800000
	v_lshlrev_b32_e32 v8, 20, v8
	v_and_b32_e32 v18, 0x80000000, v18
	v_lshl_add_u32 v12, v12, 23, v19
	v_or3_b32 v8, v18, v12, v8
.LBB19_1828:
	s_or_b64 exec, exec, s[6:7]
	s_movk_i32 s4, 0x7f
	v_cmp_gt_i16_sdwa s[6:7], v9, s4 src0_sel:BYTE_0 src1_sel:DWORD
	s_mov_b64 s[4:5], 0
                                        ; implicit-def: $sgpr10
	s_and_saveexec_b64 s[8:9], s[6:7]
	s_xor_b64 s[6:7], exec, s[8:9]
	s_cbranch_execnz .LBB19_3877
; %bb.1829:
	s_or_saveexec_b64 s[6:7], s[6:7]
	v_mov_b32_e32 v12, s10
	s_xor_b64 exec, exec, s[6:7]
	s_cbranch_execnz .LBB19_3880
.LBB19_1830:
	s_or_b64 exec, exec, s[6:7]
	s_and_saveexec_b64 s[6:7], s[4:5]
	s_cbranch_execz .LBB19_1832
.LBB19_1831:
	v_and_b32_e32 v12, 7, v9
	v_ffbh_u32_e32 v19, v12
	v_min_u32_e32 v19, 32, v19
	v_lshrrev_b16_e32 v18, 3, v9
	v_subrev_u32_e32 v20, 28, v19
	v_and_b32_e32 v18, 15, v18
	v_lshlrev_b32_e32 v20, v20, v9
	v_sub_u32_e32 v19, 29, v19
	v_and_b32_e32 v20, 7, v20
	v_cmp_eq_u16_e32 vcc, 0, v18
	v_cndmask_b32_e32 v12, v12, v20, vcc
	v_cndmask_b32_e32 v18, v18, v19, vcc
	v_lshlrev_b32_e32 v19, 24, v9
	v_mov_b32_e32 v20, 0x3b800000
	v_lshlrev_b32_e32 v12, 20, v12
	v_and_b32_e32 v19, 0x80000000, v19
	v_lshl_add_u32 v18, v18, 23, v20
	v_or3_b32 v12, v19, v18, v12
.LBB19_1832:
	s_or_b64 exec, exec, s[6:7]
	s_nop 0
	v_mfma_f32_16x16x4f32 a[0:3], v8, v12, a[0:3]
	v_lshrrev_b32_e32 v12, 8, v13
	s_movk_i32 s4, 0x7f
	v_cmp_gt_i16_sdwa s[6:7], v12, s4 src0_sel:BYTE_0 src1_sel:DWORD
	s_mov_b64 s[4:5], 0
                                        ; implicit-def: $sgpr10
	s_and_saveexec_b64 s[8:9], s[6:7]
	s_xor_b64 s[6:7], exec, s[8:9]
	s_cbranch_execnz .LBB19_3881
; %bb.1833:
	s_or_saveexec_b64 s[6:7], s[6:7]
	v_mov_b32_e32 v8, s10
	s_xor_b64 exec, exec, s[6:7]
	s_cbranch_execnz .LBB19_3884
.LBB19_1834:
	s_or_b64 exec, exec, s[6:7]
	s_and_saveexec_b64 s[6:7], s[4:5]
	s_cbranch_execz .LBB19_1836
.LBB19_1835:
	v_bfe_u32 v8, v13, 8, 3
	v_ffbh_u32_e32 v19, v8
	v_min_u32_e32 v19, 32, v19
	v_lshrrev_b16_e32 v18, 3, v12
	v_subrev_u32_e32 v20, 28, v19
	v_and_b32_e32 v18, 15, v18
	v_lshlrev_b32_e32 v12, v20, v12
	v_sub_u32_e32 v19, 29, v19
	v_and_b32_e32 v12, 7, v12
	v_cmp_eq_u16_e32 vcc, 0, v18
	v_cndmask_b32_e32 v8, v8, v12, vcc
	v_cndmask_b32_e32 v12, v18, v19, vcc
	v_lshlrev_b32_e32 v18, 16, v13
	v_mov_b32_e32 v19, 0x3b800000
	v_lshlrev_b32_e32 v8, 20, v8
	v_and_b32_e32 v18, 0x80000000, v18
	v_lshl_add_u32 v12, v12, 23, v19
	v_or3_b32 v8, v18, v12, v8
.LBB19_1836:
	s_or_b64 exec, exec, s[6:7]
	v_lshrrev_b32_e32 v12, 8, v9
	s_movk_i32 s4, 0x7f
	v_cmp_gt_i16_sdwa s[6:7], v12, s4 src0_sel:BYTE_0 src1_sel:DWORD
	s_mov_b64 s[4:5], 0
                                        ; implicit-def: $sgpr10
	s_and_saveexec_b64 s[8:9], s[6:7]
	s_xor_b64 s[6:7], exec, s[8:9]
	s_cbranch_execnz .LBB19_3885
; %bb.1837:
	s_or_saveexec_b64 s[6:7], s[6:7]
	v_mov_b32_e32 v18, s10
	s_xor_b64 exec, exec, s[6:7]
	s_cbranch_execnz .LBB19_3888
.LBB19_1838:
	s_or_b64 exec, exec, s[6:7]
	s_and_saveexec_b64 s[6:7], s[4:5]
	s_cbranch_execz .LBB19_1840
.LBB19_1839:
	v_bfe_u32 v18, v9, 8, 3
	v_ffbh_u32_e32 v20, v18
	v_min_u32_e32 v20, 32, v20
	v_lshrrev_b16_e32 v19, 3, v12
	v_subrev_u32_e32 v21, 28, v20
	v_and_b32_e32 v19, 15, v19
	v_lshlrev_b32_e32 v12, v21, v12
	v_sub_u32_e32 v20, 29, v20
	v_and_b32_e32 v12, 7, v12
	v_cmp_eq_u16_e32 vcc, 0, v19
	v_cndmask_b32_e32 v12, v18, v12, vcc
	v_cndmask_b32_e32 v18, v19, v20, vcc
	v_lshlrev_b32_e32 v19, 16, v9
	v_mov_b32_e32 v20, 0x3b800000
	v_lshlrev_b32_e32 v12, 20, v12
	v_and_b32_e32 v19, 0x80000000, v19
	v_lshl_add_u32 v18, v18, 23, v20
	v_or3_b32 v18, v19, v18, v12
.LBB19_1840:
	s_or_b64 exec, exec, s[6:7]
	s_nop 0
	v_mfma_f32_16x16x4f32 a[0:3], v8, v18, a[0:3]
	s_movk_i32 s4, 0xff
	v_and_b32_sdwa v12, v13, s4 dst_sel:DWORD dst_unused:UNUSED_PAD src0_sel:WORD_1 src1_sel:DWORD
	s_movk_i32 s4, 0x7f
	v_cmp_lt_i16_e32 vcc, s4, v12
	s_mov_b64 s[4:5], 0
                                        ; implicit-def: $sgpr10
	s_and_saveexec_b64 s[6:7], vcc
	s_xor_b64 s[6:7], exec, s[6:7]
	s_cbranch_execnz .LBB19_3889
; %bb.1841:
	s_or_saveexec_b64 s[6:7], s[6:7]
	v_mov_b32_e32 v8, s10
	s_xor_b64 exec, exec, s[6:7]
	s_cbranch_execnz .LBB19_3892
.LBB19_1842:
	s_or_b64 exec, exec, s[6:7]
	s_and_saveexec_b64 s[6:7], s[4:5]
	s_cbranch_execz .LBB19_1844
.LBB19_1843:
	v_bfe_u32 v8, v13, 16, 3
	v_ffbh_u32_e32 v19, v8
	v_min_u32_e32 v19, 32, v19
	v_lshrrev_b32_e32 v12, 19, v13
	v_subrev_u32_e32 v20, 28, v19
	v_and_b32_e32 v12, 15, v12
	v_lshlrev_b32_sdwa v20, v20, v13 dst_sel:DWORD dst_unused:UNUSED_PAD src0_sel:DWORD src1_sel:WORD_1
	v_bfe_u32 v18, v13, 19, 4
	v_sub_u32_e32 v19, 29, v19
	v_and_b32_e32 v20, 7, v20
	v_cmp_eq_u16_e32 vcc, 0, v12
	v_cndmask_b32_e32 v8, v8, v20, vcc
	v_cndmask_b32_e32 v12, v18, v19, vcc
	v_lshlrev_b32_e32 v18, 8, v13
	v_mov_b32_e32 v19, 0x3b800000
	v_lshlrev_b32_e32 v8, 20, v8
	v_and_b32_e32 v18, 0x80000000, v18
	v_lshl_add_u32 v12, v12, 23, v19
	v_or3_b32 v8, v18, v12, v8
.LBB19_1844:
	s_or_b64 exec, exec, s[6:7]
	s_movk_i32 s4, 0xff
	v_and_b32_sdwa v12, v9, s4 dst_sel:DWORD dst_unused:UNUSED_PAD src0_sel:WORD_1 src1_sel:DWORD
	s_movk_i32 s4, 0x7f
	v_cmp_lt_i16_e32 vcc, s4, v12
	s_mov_b64 s[4:5], 0
                                        ; implicit-def: $sgpr10
	s_and_saveexec_b64 s[6:7], vcc
	s_xor_b64 s[6:7], exec, s[6:7]
	s_cbranch_execnz .LBB19_3893
; %bb.1845:
	s_or_saveexec_b64 s[6:7], s[6:7]
	v_mov_b32_e32 v18, s10
	s_xor_b64 exec, exec, s[6:7]
	s_cbranch_execnz .LBB19_3896
.LBB19_1846:
	s_or_b64 exec, exec, s[6:7]
	s_and_saveexec_b64 s[6:7], s[4:5]
	s_cbranch_execz .LBB19_1848
.LBB19_1847:
	v_bfe_u32 v12, v9, 16, 3
	v_ffbh_u32_e32 v20, v12
	v_min_u32_e32 v20, 32, v20
	v_lshrrev_b32_e32 v18, 19, v9
	v_subrev_u32_e32 v21, 28, v20
	v_and_b32_e32 v18, 15, v18
	v_lshlrev_b32_sdwa v21, v21, v9 dst_sel:DWORD dst_unused:UNUSED_PAD src0_sel:DWORD src1_sel:WORD_1
	v_bfe_u32 v19, v9, 19, 4
	v_sub_u32_e32 v20, 29, v20
	v_and_b32_e32 v21, 7, v21
	v_cmp_eq_u16_e32 vcc, 0, v18
	v_cndmask_b32_e32 v12, v12, v21, vcc
	v_cndmask_b32_e32 v18, v19, v20, vcc
	v_lshlrev_b32_e32 v19, 8, v9
	v_mov_b32_e32 v20, 0x3b800000
	v_lshlrev_b32_e32 v12, 20, v12
	v_and_b32_e32 v19, 0x80000000, v19
	v_lshl_add_u32 v18, v18, 23, v20
	v_or3_b32 v18, v19, v18, v12
.LBB19_1848:
	s_or_b64 exec, exec, s[6:7]
	s_nop 0
	v_mfma_f32_16x16x4f32 a[0:3], v8, v18, a[0:3]
	s_movk_i32 s4, 0x7f
	v_cmp_gt_i16_sdwa s[6:7], v13, s4 src0_sel:BYTE_3 src1_sel:DWORD
	s_mov_b64 s[4:5], 0
                                        ; implicit-def: $sgpr10
	s_and_saveexec_b64 s[8:9], s[6:7]
	s_xor_b64 s[6:7], exec, s[8:9]
	s_cbranch_execnz .LBB19_3897
; %bb.1849:
	s_or_saveexec_b64 s[6:7], s[6:7]
	v_mov_b32_e32 v8, s10
	s_xor_b64 exec, exec, s[6:7]
	s_cbranch_execnz .LBB19_3900
.LBB19_1850:
	s_or_b64 exec, exec, s[6:7]
	s_and_saveexec_b64 s[6:7], s[4:5]
	s_cbranch_execz .LBB19_1852
.LBB19_1851:
	v_bfe_u32 v8, v13, 24, 3
	v_ffbh_u32_e32 v20, v8
	v_min_u32_e32 v20, 32, v20
	v_lshrrev_b32_e32 v18, 27, v13
	v_subrev_u32_e32 v21, 28, v20
	v_and_b32_e32 v12, 0x80000000, v13
	v_and_b32_e32 v18, 15, v18
	v_bfe_u32 v19, v13, 27, 4
	v_lshlrev_b32_sdwa v13, v21, v13 dst_sel:DWORD dst_unused:UNUSED_PAD src0_sel:DWORD src1_sel:BYTE_3
	v_sub_u32_e32 v20, 29, v20
	v_and_b32_e32 v13, 7, v13
	v_cmp_eq_u16_e32 vcc, 0, v18
	v_cndmask_b32_e32 v8, v8, v13, vcc
	v_cndmask_b32_e32 v13, v19, v20, vcc
	v_mov_b32_e32 v18, 0x3b800000
	v_lshlrev_b32_e32 v8, 20, v8
	v_lshl_add_u32 v13, v13, 23, v18
	v_or3_b32 v8, v12, v13, v8
.LBB19_1852:
	s_or_b64 exec, exec, s[6:7]
	s_movk_i32 s4, 0x7f
	v_cmp_gt_i16_sdwa s[6:7], v9, s4 src0_sel:BYTE_3 src1_sel:DWORD
	s_mov_b64 s[4:5], 0
                                        ; implicit-def: $sgpr10
	s_and_saveexec_b64 s[8:9], s[6:7]
	s_xor_b64 s[6:7], exec, s[8:9]
	s_cbranch_execnz .LBB19_3901
; %bb.1853:
	s_or_saveexec_b64 s[6:7], s[6:7]
	v_mov_b32_e32 v12, s10
	s_xor_b64 exec, exec, s[6:7]
	s_cbranch_execnz .LBB19_3904
.LBB19_1854:
	s_or_b64 exec, exec, s[6:7]
	s_and_saveexec_b64 s[6:7], s[4:5]
	s_cbranch_execz .LBB19_1856
.LBB19_1855:
	v_bfe_u32 v12, v9, 24, 3
	v_ffbh_u32_e32 v20, v12
	v_min_u32_e32 v20, 32, v20
	v_lshrrev_b32_e32 v18, 27, v9
	v_subrev_u32_e32 v21, 28, v20
	v_and_b32_e32 v13, 0x80000000, v9
	v_and_b32_e32 v18, 15, v18
	v_bfe_u32 v19, v9, 27, 4
	v_lshlrev_b32_sdwa v9, v21, v9 dst_sel:DWORD dst_unused:UNUSED_PAD src0_sel:DWORD src1_sel:BYTE_3
	v_sub_u32_e32 v20, 29, v20
	v_and_b32_e32 v9, 7, v9
	v_cmp_eq_u16_e32 vcc, 0, v18
	v_cndmask_b32_e32 v9, v12, v9, vcc
	v_cndmask_b32_e32 v12, v19, v20, vcc
	v_mov_b32_e32 v18, 0x3b800000
	v_lshlrev_b32_e32 v9, 20, v9
	v_lshl_add_u32 v12, v12, 23, v18
	v_or3_b32 v12, v13, v12, v9
.LBB19_1856:
	s_or_b64 exec, exec, s[6:7]
	s_nop 0
	v_mfma_f32_16x16x4f32 a[0:3], v8, v12, a[0:3]
	s_movk_i32 s4, 0x7f
	v_cmp_gt_i16_sdwa s[6:7], v14, s4 src0_sel:BYTE_0 src1_sel:DWORD
	s_mov_b64 s[4:5], 0
                                        ; implicit-def: $sgpr10
	s_and_saveexec_b64 s[8:9], s[6:7]
	s_xor_b64 s[6:7], exec, s[8:9]
	s_cbranch_execnz .LBB19_3905
; %bb.1857:
	s_or_saveexec_b64 s[6:7], s[6:7]
	v_mov_b32_e32 v8, s10
	s_xor_b64 exec, exec, s[6:7]
	s_cbranch_execnz .LBB19_3908
.LBB19_1858:
	s_or_b64 exec, exec, s[6:7]
	s_and_saveexec_b64 s[6:7], s[4:5]
	s_cbranch_execz .LBB19_1860
.LBB19_1859:
	v_and_b32_e32 v8, 7, v14
	v_ffbh_u32_e32 v12, v8
	v_min_u32_e32 v12, 32, v12
	v_lshrrev_b16_e32 v9, 3, v14
	v_subrev_u32_e32 v13, 28, v12
	v_and_b32_e32 v9, 15, v9
	v_lshlrev_b32_e32 v13, v13, v14
	v_sub_u32_e32 v12, 29, v12
	v_and_b32_e32 v13, 7, v13
	v_cmp_eq_u16_e32 vcc, 0, v9
	v_cndmask_b32_e32 v8, v8, v13, vcc
	v_cndmask_b32_e32 v9, v9, v12, vcc
	v_lshlrev_b32_e32 v12, 24, v14
	v_mov_b32_e32 v13, 0x3b800000
	v_lshlrev_b32_e32 v8, 20, v8
	v_and_b32_e32 v12, 0x80000000, v12
	v_lshl_add_u32 v9, v9, 23, v13
	v_or3_b32 v8, v12, v9, v8
.LBB19_1860:
	s_or_b64 exec, exec, s[6:7]
	s_movk_i32 s4, 0x7f
	v_cmp_gt_i16_sdwa s[6:7], v10, s4 src0_sel:BYTE_0 src1_sel:DWORD
	s_mov_b64 s[4:5], 0
                                        ; implicit-def: $sgpr10
	s_and_saveexec_b64 s[8:9], s[6:7]
	s_xor_b64 s[6:7], exec, s[8:9]
	s_cbranch_execnz .LBB19_3909
; %bb.1861:
	s_or_saveexec_b64 s[6:7], s[6:7]
	v_mov_b32_e32 v9, s10
	s_xor_b64 exec, exec, s[6:7]
	s_cbranch_execnz .LBB19_3912
.LBB19_1862:
	s_or_b64 exec, exec, s[6:7]
	s_and_saveexec_b64 s[6:7], s[4:5]
	s_cbranch_execz .LBB19_1864
.LBB19_1863:
	v_and_b32_e32 v9, 7, v10
	v_ffbh_u32_e32 v13, v9
	v_min_u32_e32 v13, 32, v13
	v_lshrrev_b16_e32 v12, 3, v10
	v_subrev_u32_e32 v18, 28, v13
	v_and_b32_e32 v12, 15, v12
	v_lshlrev_b32_e32 v18, v18, v10
	v_sub_u32_e32 v13, 29, v13
	v_and_b32_e32 v18, 7, v18
	v_cmp_eq_u16_e32 vcc, 0, v12
	v_cndmask_b32_e32 v9, v9, v18, vcc
	v_cndmask_b32_e32 v12, v12, v13, vcc
	v_lshlrev_b32_e32 v13, 24, v10
	v_mov_b32_e32 v18, 0x3b800000
	v_lshlrev_b32_e32 v9, 20, v9
	v_and_b32_e32 v13, 0x80000000, v13
	v_lshl_add_u32 v12, v12, 23, v18
	v_or3_b32 v9, v13, v12, v9
.LBB19_1864:
	s_or_b64 exec, exec, s[6:7]
	s_nop 0
	v_mfma_f32_16x16x4f32 a[0:3], v8, v9, a[0:3]
	v_lshrrev_b32_e32 v9, 8, v14
	s_movk_i32 s4, 0x7f
	v_cmp_gt_i16_sdwa s[6:7], v9, s4 src0_sel:BYTE_0 src1_sel:DWORD
	s_mov_b64 s[4:5], 0
                                        ; implicit-def: $sgpr10
	s_and_saveexec_b64 s[8:9], s[6:7]
	s_xor_b64 s[6:7], exec, s[8:9]
	s_cbranch_execnz .LBB19_3913
; %bb.1865:
	s_or_saveexec_b64 s[6:7], s[6:7]
	v_mov_b32_e32 v8, s10
	s_xor_b64 exec, exec, s[6:7]
	s_cbranch_execnz .LBB19_3916
.LBB19_1866:
	s_or_b64 exec, exec, s[6:7]
	s_and_saveexec_b64 s[6:7], s[4:5]
	s_cbranch_execz .LBB19_1868
.LBB19_1867:
	v_bfe_u32 v8, v14, 8, 3
	v_ffbh_u32_e32 v13, v8
	v_min_u32_e32 v13, 32, v13
	v_lshrrev_b16_e32 v12, 3, v9
	v_subrev_u32_e32 v18, 28, v13
	v_and_b32_e32 v12, 15, v12
	v_lshlrev_b32_e32 v9, v18, v9
	v_sub_u32_e32 v13, 29, v13
	v_and_b32_e32 v9, 7, v9
	v_cmp_eq_u16_e32 vcc, 0, v12
	v_cndmask_b32_e32 v8, v8, v9, vcc
	v_cndmask_b32_e32 v9, v12, v13, vcc
	v_lshlrev_b32_e32 v12, 16, v14
	v_mov_b32_e32 v13, 0x3b800000
	v_lshlrev_b32_e32 v8, 20, v8
	v_and_b32_e32 v12, 0x80000000, v12
	v_lshl_add_u32 v9, v9, 23, v13
	v_or3_b32 v8, v12, v9, v8
.LBB19_1868:
	s_or_b64 exec, exec, s[6:7]
	v_lshrrev_b32_e32 v9, 8, v10
	s_movk_i32 s4, 0x7f
	v_cmp_gt_i16_sdwa s[6:7], v9, s4 src0_sel:BYTE_0 src1_sel:DWORD
	s_mov_b64 s[4:5], 0
                                        ; implicit-def: $sgpr10
	s_and_saveexec_b64 s[8:9], s[6:7]
	s_xor_b64 s[6:7], exec, s[8:9]
	s_cbranch_execnz .LBB19_3917
; %bb.1869:
	s_or_saveexec_b64 s[6:7], s[6:7]
	v_mov_b32_e32 v12, s10
	s_xor_b64 exec, exec, s[6:7]
	s_cbranch_execnz .LBB19_3920
.LBB19_1870:
	s_or_b64 exec, exec, s[6:7]
	s_and_saveexec_b64 s[6:7], s[4:5]
	s_cbranch_execz .LBB19_1872
.LBB19_1871:
	v_bfe_u32 v12, v10, 8, 3
	v_ffbh_u32_e32 v18, v12
	v_min_u32_e32 v18, 32, v18
	v_lshrrev_b16_e32 v13, 3, v9
	v_subrev_u32_e32 v19, 28, v18
	v_and_b32_e32 v13, 15, v13
	v_lshlrev_b32_e32 v9, v19, v9
	v_sub_u32_e32 v18, 29, v18
	v_and_b32_e32 v9, 7, v9
	v_cmp_eq_u16_e32 vcc, 0, v13
	v_cndmask_b32_e32 v9, v12, v9, vcc
	v_cndmask_b32_e32 v12, v13, v18, vcc
	v_lshlrev_b32_e32 v13, 16, v10
	v_mov_b32_e32 v18, 0x3b800000
	v_lshlrev_b32_e32 v9, 20, v9
	v_and_b32_e32 v13, 0x80000000, v13
	v_lshl_add_u32 v12, v12, 23, v18
	v_or3_b32 v12, v13, v12, v9
.LBB19_1872:
	s_or_b64 exec, exec, s[6:7]
	s_nop 0
	v_mfma_f32_16x16x4f32 a[0:3], v8, v12, a[0:3]
	s_movk_i32 s4, 0xff
	v_and_b32_sdwa v9, v14, s4 dst_sel:DWORD dst_unused:UNUSED_PAD src0_sel:WORD_1 src1_sel:DWORD
	s_movk_i32 s4, 0x7f
	v_cmp_lt_i16_e32 vcc, s4, v9
	s_mov_b64 s[4:5], 0
                                        ; implicit-def: $sgpr10
	s_and_saveexec_b64 s[6:7], vcc
	s_xor_b64 s[6:7], exec, s[6:7]
	s_cbranch_execnz .LBB19_3921
; %bb.1873:
	s_or_saveexec_b64 s[6:7], s[6:7]
	v_mov_b32_e32 v8, s10
	s_xor_b64 exec, exec, s[6:7]
	s_cbranch_execnz .LBB19_3924
.LBB19_1874:
	s_or_b64 exec, exec, s[6:7]
	s_and_saveexec_b64 s[6:7], s[4:5]
	s_cbranch_execz .LBB19_1876
.LBB19_1875:
	v_bfe_u32 v8, v14, 16, 3
	v_ffbh_u32_e32 v13, v8
	v_min_u32_e32 v13, 32, v13
	v_lshrrev_b32_e32 v9, 19, v14
	v_subrev_u32_e32 v18, 28, v13
	v_and_b32_e32 v9, 15, v9
	v_lshlrev_b32_sdwa v18, v18, v14 dst_sel:DWORD dst_unused:UNUSED_PAD src0_sel:DWORD src1_sel:WORD_1
	v_bfe_u32 v12, v14, 19, 4
	v_sub_u32_e32 v13, 29, v13
	v_and_b32_e32 v18, 7, v18
	v_cmp_eq_u16_e32 vcc, 0, v9
	v_cndmask_b32_e32 v8, v8, v18, vcc
	v_cndmask_b32_e32 v9, v12, v13, vcc
	v_lshlrev_b32_e32 v12, 8, v14
	v_mov_b32_e32 v13, 0x3b800000
	v_lshlrev_b32_e32 v8, 20, v8
	v_and_b32_e32 v12, 0x80000000, v12
	v_lshl_add_u32 v9, v9, 23, v13
	v_or3_b32 v8, v12, v9, v8
.LBB19_1876:
	s_or_b64 exec, exec, s[6:7]
	s_movk_i32 s4, 0xff
	v_and_b32_sdwa v9, v10, s4 dst_sel:DWORD dst_unused:UNUSED_PAD src0_sel:WORD_1 src1_sel:DWORD
	s_movk_i32 s4, 0x7f
	v_cmp_lt_i16_e32 vcc, s4, v9
	s_mov_b64 s[4:5], 0
                                        ; implicit-def: $sgpr10
	s_and_saveexec_b64 s[6:7], vcc
	s_xor_b64 s[6:7], exec, s[6:7]
	s_cbranch_execnz .LBB19_3925
; %bb.1877:
	s_or_saveexec_b64 s[6:7], s[6:7]
	v_mov_b32_e32 v12, s10
	s_xor_b64 exec, exec, s[6:7]
	s_cbranch_execnz .LBB19_3928
.LBB19_1878:
	s_or_b64 exec, exec, s[6:7]
	s_and_saveexec_b64 s[6:7], s[4:5]
	s_cbranch_execz .LBB19_1880
.LBB19_1879:
	v_bfe_u32 v9, v10, 16, 3
	v_ffbh_u32_e32 v18, v9
	v_min_u32_e32 v18, 32, v18
	v_lshrrev_b32_e32 v12, 19, v10
	v_subrev_u32_e32 v19, 28, v18
	v_and_b32_e32 v12, 15, v12
	v_lshlrev_b32_sdwa v19, v19, v10 dst_sel:DWORD dst_unused:UNUSED_PAD src0_sel:DWORD src1_sel:WORD_1
	v_bfe_u32 v13, v10, 19, 4
	v_sub_u32_e32 v18, 29, v18
	v_and_b32_e32 v19, 7, v19
	v_cmp_eq_u16_e32 vcc, 0, v12
	v_cndmask_b32_e32 v9, v9, v19, vcc
	v_cndmask_b32_e32 v12, v13, v18, vcc
	v_lshlrev_b32_e32 v13, 8, v10
	v_mov_b32_e32 v18, 0x3b800000
	v_lshlrev_b32_e32 v9, 20, v9
	v_and_b32_e32 v13, 0x80000000, v13
	v_lshl_add_u32 v12, v12, 23, v18
	v_or3_b32 v12, v13, v12, v9
.LBB19_1880:
	s_or_b64 exec, exec, s[6:7]
	s_nop 0
	v_mfma_f32_16x16x4f32 a[0:3], v8, v12, a[0:3]
	s_movk_i32 s4, 0x7f
	v_cmp_gt_i16_sdwa s[6:7], v14, s4 src0_sel:BYTE_3 src1_sel:DWORD
	s_mov_b64 s[4:5], 0
                                        ; implicit-def: $sgpr10
	s_and_saveexec_b64 s[8:9], s[6:7]
	s_xor_b64 s[6:7], exec, s[8:9]
	s_cbranch_execnz .LBB19_3929
; %bb.1881:
	s_or_saveexec_b64 s[6:7], s[6:7]
	v_mov_b32_e32 v8, s10
	s_xor_b64 exec, exec, s[6:7]
	s_cbranch_execnz .LBB19_3932
.LBB19_1882:
	s_or_b64 exec, exec, s[6:7]
	s_and_saveexec_b64 s[6:7], s[4:5]
	s_cbranch_execz .LBB19_1884
.LBB19_1883:
	v_bfe_u32 v8, v14, 24, 3
	v_ffbh_u32_e32 v18, v8
	v_min_u32_e32 v18, 32, v18
	v_lshrrev_b32_e32 v12, 27, v14
	v_subrev_u32_e32 v19, 28, v18
	v_and_b32_e32 v9, 0x80000000, v14
	v_and_b32_e32 v12, 15, v12
	v_bfe_u32 v13, v14, 27, 4
	v_lshlrev_b32_sdwa v14, v19, v14 dst_sel:DWORD dst_unused:UNUSED_PAD src0_sel:DWORD src1_sel:BYTE_3
	v_sub_u32_e32 v18, 29, v18
	v_and_b32_e32 v14, 7, v14
	v_cmp_eq_u16_e32 vcc, 0, v12
	v_cndmask_b32_e32 v8, v8, v14, vcc
	v_cndmask_b32_e32 v12, v13, v18, vcc
	v_mov_b32_e32 v13, 0x3b800000
	v_lshlrev_b32_e32 v8, 20, v8
	v_lshl_add_u32 v12, v12, 23, v13
	v_or3_b32 v8, v9, v12, v8
.LBB19_1884:
	s_or_b64 exec, exec, s[6:7]
	s_movk_i32 s4, 0x7f
	v_cmp_gt_i16_sdwa s[6:7], v10, s4 src0_sel:BYTE_3 src1_sel:DWORD
	s_mov_b64 s[4:5], 0
                                        ; implicit-def: $sgpr10
	s_and_saveexec_b64 s[8:9], s[6:7]
	s_xor_b64 s[6:7], exec, s[8:9]
	s_cbranch_execnz .LBB19_3933
; %bb.1885:
	s_or_saveexec_b64 s[6:7], s[6:7]
	v_mov_b32_e32 v9, s10
	s_xor_b64 exec, exec, s[6:7]
	s_cbranch_execnz .LBB19_3936
.LBB19_1886:
	s_or_b64 exec, exec, s[6:7]
	s_and_saveexec_b64 s[6:7], s[4:5]
	s_cbranch_execz .LBB19_1888
.LBB19_1887:
	v_bfe_u32 v9, v10, 24, 3
	v_ffbh_u32_e32 v18, v9
	v_min_u32_e32 v18, 32, v18
	v_lshrrev_b32_e32 v13, 27, v10
	v_subrev_u32_e32 v19, 28, v18
	v_and_b32_e32 v12, 0x80000000, v10
	v_and_b32_e32 v13, 15, v13
	v_bfe_u32 v14, v10, 27, 4
	v_lshlrev_b32_sdwa v10, v19, v10 dst_sel:DWORD dst_unused:UNUSED_PAD src0_sel:DWORD src1_sel:BYTE_3
	v_sub_u32_e32 v18, 29, v18
	v_and_b32_e32 v10, 7, v10
	v_cmp_eq_u16_e32 vcc, 0, v13
	v_cndmask_b32_e32 v9, v9, v10, vcc
	v_cndmask_b32_e32 v10, v14, v18, vcc
	v_mov_b32_e32 v13, 0x3b800000
	v_lshlrev_b32_e32 v9, 20, v9
	v_lshl_add_u32 v10, v10, 23, v13
	v_or3_b32 v9, v12, v10, v9
.LBB19_1888:
	s_or_b64 exec, exec, s[6:7]
	s_nop 0
	v_mfma_f32_16x16x4f32 a[0:3], v8, v9, a[0:3]
	s_movk_i32 s4, 0x7f
	v_cmp_gt_i16_sdwa s[6:7], v15, s4 src0_sel:BYTE_0 src1_sel:DWORD
	s_mov_b64 s[4:5], 0
                                        ; implicit-def: $sgpr10
	s_and_saveexec_b64 s[8:9], s[6:7]
	s_xor_b64 s[6:7], exec, s[8:9]
	s_cbranch_execnz .LBB19_3937
; %bb.1889:
	s_or_saveexec_b64 s[6:7], s[6:7]
	v_mov_b32_e32 v8, s10
	s_xor_b64 exec, exec, s[6:7]
	s_cbranch_execnz .LBB19_3940
.LBB19_1890:
	s_or_b64 exec, exec, s[6:7]
	s_and_saveexec_b64 s[6:7], s[4:5]
	s_cbranch_execz .LBB19_1892
.LBB19_1891:
	v_and_b32_e32 v8, 7, v15
	v_ffbh_u32_e32 v10, v8
	v_min_u32_e32 v10, 32, v10
	v_lshrrev_b16_e32 v9, 3, v15
	v_subrev_u32_e32 v12, 28, v10
	v_and_b32_e32 v9, 15, v9
	v_lshlrev_b32_e32 v12, v12, v15
	v_sub_u32_e32 v10, 29, v10
	v_and_b32_e32 v12, 7, v12
	v_cmp_eq_u16_e32 vcc, 0, v9
	v_cndmask_b32_e32 v8, v8, v12, vcc
	v_cndmask_b32_e32 v9, v9, v10, vcc
	v_lshlrev_b32_e32 v10, 24, v15
	v_mov_b32_e32 v12, 0x3b800000
	v_lshlrev_b32_e32 v8, 20, v8
	v_and_b32_e32 v10, 0x80000000, v10
	v_lshl_add_u32 v9, v9, 23, v12
	v_or3_b32 v8, v10, v9, v8
.LBB19_1892:
	s_or_b64 exec, exec, s[6:7]
	s_movk_i32 s4, 0x7f
	v_cmp_gt_i16_sdwa s[6:7], v11, s4 src0_sel:BYTE_0 src1_sel:DWORD
	s_mov_b64 s[4:5], 0
                                        ; implicit-def: $sgpr10
	s_and_saveexec_b64 s[8:9], s[6:7]
	s_xor_b64 s[6:7], exec, s[8:9]
	s_cbranch_execnz .LBB19_3941
; %bb.1893:
	s_or_saveexec_b64 s[6:7], s[6:7]
	v_mov_b32_e32 v9, s10
	s_xor_b64 exec, exec, s[6:7]
	s_cbranch_execnz .LBB19_3944
.LBB19_1894:
	s_or_b64 exec, exec, s[6:7]
	s_and_saveexec_b64 s[6:7], s[4:5]
	s_cbranch_execz .LBB19_1896
.LBB19_1895:
	v_and_b32_e32 v9, 7, v11
	v_ffbh_u32_e32 v12, v9
	v_min_u32_e32 v12, 32, v12
	v_lshrrev_b16_e32 v10, 3, v11
	v_subrev_u32_e32 v13, 28, v12
	v_and_b32_e32 v10, 15, v10
	v_lshlrev_b32_e32 v13, v13, v11
	v_sub_u32_e32 v12, 29, v12
	v_and_b32_e32 v13, 7, v13
	v_cmp_eq_u16_e32 vcc, 0, v10
	v_cndmask_b32_e32 v9, v9, v13, vcc
	v_cndmask_b32_e32 v10, v10, v12, vcc
	v_lshlrev_b32_e32 v12, 24, v11
	v_mov_b32_e32 v13, 0x3b800000
	v_lshlrev_b32_e32 v9, 20, v9
	v_and_b32_e32 v12, 0x80000000, v12
	v_lshl_add_u32 v10, v10, 23, v13
	v_or3_b32 v9, v12, v10, v9
.LBB19_1896:
	s_or_b64 exec, exec, s[6:7]
	s_nop 0
	v_mfma_f32_16x16x4f32 a[0:3], v8, v9, a[0:3]
	v_lshrrev_b32_e32 v9, 8, v15
	s_movk_i32 s4, 0x7f
	v_cmp_gt_i16_sdwa s[6:7], v9, s4 src0_sel:BYTE_0 src1_sel:DWORD
	s_mov_b64 s[4:5], 0
                                        ; implicit-def: $sgpr10
	s_and_saveexec_b64 s[8:9], s[6:7]
	s_xor_b64 s[6:7], exec, s[8:9]
	s_cbranch_execnz .LBB19_3945
; %bb.1897:
	s_or_saveexec_b64 s[6:7], s[6:7]
	v_mov_b32_e32 v8, s10
	s_xor_b64 exec, exec, s[6:7]
	s_cbranch_execnz .LBB19_3948
.LBB19_1898:
	s_or_b64 exec, exec, s[6:7]
	s_and_saveexec_b64 s[6:7], s[4:5]
	s_cbranch_execz .LBB19_1900
.LBB19_1899:
	v_bfe_u32 v8, v15, 8, 3
	v_ffbh_u32_e32 v12, v8
	v_min_u32_e32 v12, 32, v12
	v_lshrrev_b16_e32 v10, 3, v9
	v_subrev_u32_e32 v13, 28, v12
	v_and_b32_e32 v10, 15, v10
	v_lshlrev_b32_e32 v9, v13, v9
	v_sub_u32_e32 v12, 29, v12
	v_and_b32_e32 v9, 7, v9
	v_cmp_eq_u16_e32 vcc, 0, v10
	v_cndmask_b32_e32 v8, v8, v9, vcc
	v_cndmask_b32_e32 v9, v10, v12, vcc
	v_lshlrev_b32_e32 v10, 16, v15
	v_mov_b32_e32 v12, 0x3b800000
	v_lshlrev_b32_e32 v8, 20, v8
	v_and_b32_e32 v10, 0x80000000, v10
	v_lshl_add_u32 v9, v9, 23, v12
	v_or3_b32 v8, v10, v9, v8
.LBB19_1900:
	s_or_b64 exec, exec, s[6:7]
	v_lshrrev_b32_e32 v9, 8, v11
	s_movk_i32 s4, 0x7f
	v_cmp_gt_i16_sdwa s[6:7], v9, s4 src0_sel:BYTE_0 src1_sel:DWORD
	s_mov_b64 s[4:5], 0
                                        ; implicit-def: $sgpr10
	s_and_saveexec_b64 s[8:9], s[6:7]
	s_xor_b64 s[6:7], exec, s[8:9]
	s_cbranch_execnz .LBB19_3949
; %bb.1901:
	s_or_saveexec_b64 s[6:7], s[6:7]
	v_mov_b32_e32 v10, s10
	s_xor_b64 exec, exec, s[6:7]
	s_cbranch_execnz .LBB19_3952
.LBB19_1902:
	s_or_b64 exec, exec, s[6:7]
	s_and_saveexec_b64 s[6:7], s[4:5]
	s_cbranch_execz .LBB19_1904
.LBB19_1903:
	v_bfe_u32 v10, v11, 8, 3
	v_ffbh_u32_e32 v13, v10
	v_min_u32_e32 v13, 32, v13
	v_lshrrev_b16_e32 v12, 3, v9
	v_subrev_u32_e32 v14, 28, v13
	v_and_b32_e32 v12, 15, v12
	v_lshlrev_b32_e32 v9, v14, v9
	v_sub_u32_e32 v13, 29, v13
	v_and_b32_e32 v9, 7, v9
	v_cmp_eq_u16_e32 vcc, 0, v12
	v_cndmask_b32_e32 v9, v10, v9, vcc
	v_cndmask_b32_e32 v10, v12, v13, vcc
	v_lshlrev_b32_e32 v12, 16, v11
	v_mov_b32_e32 v13, 0x3b800000
	v_lshlrev_b32_e32 v9, 20, v9
	v_and_b32_e32 v12, 0x80000000, v12
	v_lshl_add_u32 v10, v10, 23, v13
	v_or3_b32 v10, v12, v10, v9
.LBB19_1904:
	s_or_b64 exec, exec, s[6:7]
	s_nop 0
	v_mfma_f32_16x16x4f32 a[0:3], v8, v10, a[0:3]
	s_movk_i32 s4, 0xff
	v_and_b32_sdwa v9, v15, s4 dst_sel:DWORD dst_unused:UNUSED_PAD src0_sel:WORD_1 src1_sel:DWORD
	s_movk_i32 s4, 0x7f
	v_cmp_lt_i16_e32 vcc, s4, v9
	s_mov_b64 s[4:5], 0
                                        ; implicit-def: $sgpr10
	s_and_saveexec_b64 s[6:7], vcc
	s_xor_b64 s[6:7], exec, s[6:7]
	s_cbranch_execnz .LBB19_3953
; %bb.1905:
	s_or_saveexec_b64 s[6:7], s[6:7]
	v_mov_b32_e32 v8, s10
	s_xor_b64 exec, exec, s[6:7]
	s_cbranch_execnz .LBB19_3956
.LBB19_1906:
	s_or_b64 exec, exec, s[6:7]
	s_and_saveexec_b64 s[6:7], s[4:5]
	s_cbranch_execz .LBB19_1908
.LBB19_1907:
	v_bfe_u32 v8, v15, 16, 3
	v_ffbh_u32_e32 v12, v8
	v_min_u32_e32 v12, 32, v12
	v_lshrrev_b32_e32 v9, 19, v15
	v_subrev_u32_e32 v13, 28, v12
	v_and_b32_e32 v9, 15, v9
	v_lshlrev_b32_sdwa v13, v13, v15 dst_sel:DWORD dst_unused:UNUSED_PAD src0_sel:DWORD src1_sel:WORD_1
	v_bfe_u32 v10, v15, 19, 4
	v_sub_u32_e32 v12, 29, v12
	v_and_b32_e32 v13, 7, v13
	v_cmp_eq_u16_e32 vcc, 0, v9
	v_cndmask_b32_e32 v8, v8, v13, vcc
	v_cndmask_b32_e32 v9, v10, v12, vcc
	v_lshlrev_b32_e32 v10, 8, v15
	v_mov_b32_e32 v12, 0x3b800000
	v_lshlrev_b32_e32 v8, 20, v8
	v_and_b32_e32 v10, 0x80000000, v10
	v_lshl_add_u32 v9, v9, 23, v12
	v_or3_b32 v8, v10, v9, v8
.LBB19_1908:
	s_or_b64 exec, exec, s[6:7]
	s_movk_i32 s4, 0xff
	v_and_b32_sdwa v9, v11, s4 dst_sel:DWORD dst_unused:UNUSED_PAD src0_sel:WORD_1 src1_sel:DWORD
	s_movk_i32 s4, 0x7f
	v_cmp_lt_i16_e32 vcc, s4, v9
	s_mov_b64 s[4:5], 0
                                        ; implicit-def: $sgpr10
	s_and_saveexec_b64 s[6:7], vcc
	s_xor_b64 s[6:7], exec, s[6:7]
	s_cbranch_execnz .LBB19_3957
; %bb.1909:
	s_or_saveexec_b64 s[6:7], s[6:7]
	v_mov_b32_e32 v10, s10
	s_xor_b64 exec, exec, s[6:7]
	s_cbranch_execnz .LBB19_3960
.LBB19_1910:
	s_or_b64 exec, exec, s[6:7]
	s_and_saveexec_b64 s[6:7], s[4:5]
	s_cbranch_execz .LBB19_1912
.LBB19_1911:
	v_bfe_u32 v9, v11, 16, 3
	v_ffbh_u32_e32 v13, v9
	v_min_u32_e32 v13, 32, v13
	v_lshrrev_b32_e32 v10, 19, v11
	v_subrev_u32_e32 v14, 28, v13
	v_and_b32_e32 v10, 15, v10
	v_lshlrev_b32_sdwa v14, v14, v11 dst_sel:DWORD dst_unused:UNUSED_PAD src0_sel:DWORD src1_sel:WORD_1
	v_bfe_u32 v12, v11, 19, 4
	v_sub_u32_e32 v13, 29, v13
	v_and_b32_e32 v14, 7, v14
	v_cmp_eq_u16_e32 vcc, 0, v10
	v_cndmask_b32_e32 v9, v9, v14, vcc
	v_cndmask_b32_e32 v10, v12, v13, vcc
	v_lshlrev_b32_e32 v12, 8, v11
	v_mov_b32_e32 v13, 0x3b800000
	v_lshlrev_b32_e32 v9, 20, v9
	v_and_b32_e32 v12, 0x80000000, v12
	v_lshl_add_u32 v10, v10, 23, v13
	v_or3_b32 v10, v12, v10, v9
.LBB19_1912:
	s_or_b64 exec, exec, s[6:7]
	s_nop 0
	v_mfma_f32_16x16x4f32 a[0:3], v8, v10, a[0:3]
	s_movk_i32 s4, 0x7f
	v_cmp_gt_i16_sdwa s[6:7], v15, s4 src0_sel:BYTE_3 src1_sel:DWORD
	s_mov_b64 s[4:5], 0
                                        ; implicit-def: $sgpr10
	s_and_saveexec_b64 s[8:9], s[6:7]
	s_xor_b64 s[6:7], exec, s[8:9]
	s_cbranch_execnz .LBB19_3961
; %bb.1913:
	s_or_saveexec_b64 s[6:7], s[6:7]
	v_mov_b32_e32 v8, s10
	s_xor_b64 exec, exec, s[6:7]
	s_cbranch_execnz .LBB19_3964
.LBB19_1914:
	s_or_b64 exec, exec, s[6:7]
	s_and_saveexec_b64 s[6:7], s[4:5]
	s_cbranch_execz .LBB19_1916
.LBB19_1915:
	v_bfe_u32 v8, v15, 24, 3
	v_ffbh_u32_e32 v13, v8
	v_min_u32_e32 v13, 32, v13
	v_lshrrev_b32_e32 v10, 27, v15
	v_subrev_u32_e32 v14, 28, v13
	v_and_b32_e32 v10, 15, v10
	v_lshlrev_b32_sdwa v14, v14, v15 dst_sel:DWORD dst_unused:UNUSED_PAD src0_sel:DWORD src1_sel:BYTE_3
	v_bfe_u32 v12, v15, 27, 4
	v_sub_u32_e32 v13, 29, v13
	v_and_b32_e32 v14, 7, v14
	v_cmp_eq_u16_e32 vcc, 0, v10
	v_cndmask_b32_e32 v8, v8, v14, vcc
	v_cndmask_b32_e32 v10, v12, v13, vcc
	v_mov_b32_e32 v12, 0x3b800000
	v_and_b32_e32 v9, 0x80000000, v15
	v_lshlrev_b32_e32 v8, 20, v8
	v_lshl_add_u32 v10, v10, 23, v12
	v_or3_b32 v8, v9, v10, v8
.LBB19_1916:
	s_or_b64 exec, exec, s[6:7]
	s_movk_i32 s4, 0x7f
	v_cmp_gt_i16_sdwa s[6:7], v11, s4 src0_sel:BYTE_3 src1_sel:DWORD
	s_mov_b64 s[4:5], 0
                                        ; implicit-def: $sgpr10
	s_and_saveexec_b64 s[8:9], s[6:7]
	s_xor_b64 s[6:7], exec, s[8:9]
	s_cbranch_execnz .LBB19_3965
; %bb.1917:
	s_or_saveexec_b64 s[6:7], s[6:7]
	v_mov_b32_e32 v9, s10
	s_xor_b64 exec, exec, s[6:7]
	s_cbranch_execnz .LBB19_3968
.LBB19_1918:
	s_or_b64 exec, exec, s[6:7]
	s_and_saveexec_b64 s[6:7], s[4:5]
	s_cbranch_execz .LBB19_1920
.LBB19_1919:
	v_bfe_u32 v9, v11, 24, 3
	v_ffbh_u32_e32 v14, v9
	v_min_u32_e32 v14, 32, v14
	v_lshrrev_b32_e32 v12, 27, v11
	v_subrev_u32_e32 v15, 28, v14
	v_and_b32_e32 v10, 0x80000000, v11
	v_and_b32_e32 v12, 15, v12
	v_bfe_u32 v13, v11, 27, 4
	v_lshlrev_b32_sdwa v11, v15, v11 dst_sel:DWORD dst_unused:UNUSED_PAD src0_sel:DWORD src1_sel:BYTE_3
	v_sub_u32_e32 v14, 29, v14
	v_and_b32_e32 v11, 7, v11
	v_cmp_eq_u16_e32 vcc, 0, v12
	v_cndmask_b32_e32 v9, v9, v11, vcc
	v_cndmask_b32_e32 v11, v13, v14, vcc
	v_mov_b32_e32 v12, 0x3b800000
	v_lshlrev_b32_e32 v9, 20, v9
	v_lshl_add_u32 v11, v11, 23, v12
	v_or3_b32 v9, v10, v11, v9
.LBB19_1920:
	s_or_b64 exec, exec, s[6:7]
	s_nop 0
	v_mfma_f32_16x16x4f32 a[0:3], v8, v9, a[0:3]
	s_movk_i32 s4, 0x7f
	v_cmp_gt_i16_sdwa s[6:7], v4, s4 src0_sel:BYTE_0 src1_sel:DWORD
	s_mov_b64 s[4:5], 0
                                        ; implicit-def: $sgpr10
	s_and_saveexec_b64 s[8:9], s[6:7]
	s_xor_b64 s[6:7], exec, s[8:9]
	s_cbranch_execnz .LBB19_3969
; %bb.1921:
	s_or_saveexec_b64 s[6:7], s[6:7]
	v_mov_b32_e32 v8, s10
	s_xor_b64 exec, exec, s[6:7]
	s_cbranch_execnz .LBB19_3972
.LBB19_1922:
	s_or_b64 exec, exec, s[6:7]
	s_and_saveexec_b64 s[6:7], s[4:5]
	s_cbranch_execz .LBB19_1924
.LBB19_1923:
	v_and_b32_e32 v8, 7, v4
	v_ffbh_u32_e32 v10, v8
	v_min_u32_e32 v10, 32, v10
	v_lshrrev_b16_e32 v9, 3, v4
	v_subrev_u32_e32 v11, 28, v10
	v_and_b32_e32 v9, 15, v9
	v_lshlrev_b32_e32 v11, v11, v4
	v_sub_u32_e32 v10, 29, v10
	v_and_b32_e32 v11, 7, v11
	v_cmp_eq_u16_e32 vcc, 0, v9
	v_cndmask_b32_e32 v8, v8, v11, vcc
	v_cndmask_b32_e32 v9, v9, v10, vcc
	v_lshlrev_b32_e32 v10, 24, v4
	v_mov_b32_e32 v11, 0x3b800000
	v_lshlrev_b32_e32 v8, 20, v8
	v_and_b32_e32 v10, 0x80000000, v10
	v_lshl_add_u32 v9, v9, 23, v11
	v_or3_b32 v8, v10, v9, v8
.LBB19_1924:
	s_or_b64 exec, exec, s[6:7]
	s_movk_i32 s4, 0x7f
	v_cmp_gt_i16_sdwa s[6:7], v0, s4 src0_sel:BYTE_0 src1_sel:DWORD
	s_mov_b64 s[4:5], 0
                                        ; implicit-def: $sgpr10
	s_and_saveexec_b64 s[8:9], s[6:7]
	s_xor_b64 s[6:7], exec, s[8:9]
	s_cbranch_execnz .LBB19_3973
; %bb.1925:
	s_or_saveexec_b64 s[6:7], s[6:7]
	v_mov_b32_e32 v9, s10
	s_xor_b64 exec, exec, s[6:7]
	s_cbranch_execnz .LBB19_3976
.LBB19_1926:
	s_or_b64 exec, exec, s[6:7]
	s_and_saveexec_b64 s[6:7], s[4:5]
	s_cbranch_execz .LBB19_1928
.LBB19_1927:
	v_and_b32_e32 v9, 7, v0
	v_ffbh_u32_e32 v11, v9
	v_min_u32_e32 v11, 32, v11
	v_lshrrev_b16_e32 v10, 3, v0
	v_subrev_u32_e32 v12, 28, v11
	v_and_b32_e32 v10, 15, v10
	v_lshlrev_b32_e32 v12, v12, v0
	v_sub_u32_e32 v11, 29, v11
	v_and_b32_e32 v12, 7, v12
	v_cmp_eq_u16_e32 vcc, 0, v10
	v_cndmask_b32_e32 v9, v9, v12, vcc
	v_cndmask_b32_e32 v10, v10, v11, vcc
	v_lshlrev_b32_e32 v11, 24, v0
	v_mov_b32_e32 v12, 0x3b800000
	v_lshlrev_b32_e32 v9, 20, v9
	v_and_b32_e32 v11, 0x80000000, v11
	v_lshl_add_u32 v10, v10, 23, v12
	v_or3_b32 v9, v11, v10, v9
.LBB19_1928:
	s_or_b64 exec, exec, s[6:7]
	s_nop 0
	v_mfma_f32_16x16x4f32 a[0:3], v8, v9, a[0:3]
	v_lshrrev_b32_e32 v9, 8, v4
	s_movk_i32 s4, 0x7f
	v_cmp_gt_i16_sdwa s[6:7], v9, s4 src0_sel:BYTE_0 src1_sel:DWORD
	s_mov_b64 s[4:5], 0
                                        ; implicit-def: $sgpr10
	s_and_saveexec_b64 s[8:9], s[6:7]
	s_xor_b64 s[6:7], exec, s[8:9]
	s_cbranch_execnz .LBB19_3977
; %bb.1929:
	s_or_saveexec_b64 s[6:7], s[6:7]
	v_mov_b32_e32 v8, s10
	s_xor_b64 exec, exec, s[6:7]
	s_cbranch_execnz .LBB19_3980
.LBB19_1930:
	s_or_b64 exec, exec, s[6:7]
	s_and_saveexec_b64 s[6:7], s[4:5]
	s_cbranch_execz .LBB19_1932
.LBB19_1931:
	v_bfe_u32 v8, v4, 8, 3
	v_ffbh_u32_e32 v11, v8
	v_min_u32_e32 v11, 32, v11
	v_lshrrev_b16_e32 v10, 3, v9
	v_subrev_u32_e32 v12, 28, v11
	v_and_b32_e32 v10, 15, v10
	v_lshlrev_b32_e32 v9, v12, v9
	v_sub_u32_e32 v11, 29, v11
	v_and_b32_e32 v9, 7, v9
	v_cmp_eq_u16_e32 vcc, 0, v10
	v_cndmask_b32_e32 v8, v8, v9, vcc
	v_cndmask_b32_e32 v9, v10, v11, vcc
	v_lshlrev_b32_e32 v10, 16, v4
	v_mov_b32_e32 v11, 0x3b800000
	v_lshlrev_b32_e32 v8, 20, v8
	v_and_b32_e32 v10, 0x80000000, v10
	v_lshl_add_u32 v9, v9, 23, v11
	v_or3_b32 v8, v10, v9, v8
.LBB19_1932:
	s_or_b64 exec, exec, s[6:7]
	v_lshrrev_b32_e32 v9, 8, v0
	s_movk_i32 s4, 0x7f
	v_cmp_gt_i16_sdwa s[6:7], v9, s4 src0_sel:BYTE_0 src1_sel:DWORD
	s_mov_b64 s[4:5], 0
                                        ; implicit-def: $sgpr10
	s_and_saveexec_b64 s[8:9], s[6:7]
	s_xor_b64 s[6:7], exec, s[8:9]
	s_cbranch_execnz .LBB19_3981
; %bb.1933:
	s_or_saveexec_b64 s[6:7], s[6:7]
	v_mov_b32_e32 v10, s10
	s_xor_b64 exec, exec, s[6:7]
	s_cbranch_execnz .LBB19_3984
.LBB19_1934:
	s_or_b64 exec, exec, s[6:7]
	s_and_saveexec_b64 s[6:7], s[4:5]
	s_cbranch_execz .LBB19_1936
.LBB19_1935:
	v_bfe_u32 v10, v0, 8, 3
	v_ffbh_u32_e32 v12, v10
	v_min_u32_e32 v12, 32, v12
	v_lshrrev_b16_e32 v11, 3, v9
	v_subrev_u32_e32 v13, 28, v12
	v_and_b32_e32 v11, 15, v11
	v_lshlrev_b32_e32 v9, v13, v9
	v_sub_u32_e32 v12, 29, v12
	v_and_b32_e32 v9, 7, v9
	v_cmp_eq_u16_e32 vcc, 0, v11
	v_cndmask_b32_e32 v9, v10, v9, vcc
	v_cndmask_b32_e32 v10, v11, v12, vcc
	v_lshlrev_b32_e32 v11, 16, v0
	v_mov_b32_e32 v12, 0x3b800000
	v_lshlrev_b32_e32 v9, 20, v9
	v_and_b32_e32 v11, 0x80000000, v11
	v_lshl_add_u32 v10, v10, 23, v12
	v_or3_b32 v10, v11, v10, v9
.LBB19_1936:
	s_or_b64 exec, exec, s[6:7]
	s_nop 0
	v_mfma_f32_16x16x4f32 a[0:3], v8, v10, a[0:3]
	s_movk_i32 s4, 0xff
	v_and_b32_sdwa v9, v4, s4 dst_sel:DWORD dst_unused:UNUSED_PAD src0_sel:WORD_1 src1_sel:DWORD
	s_movk_i32 s4, 0x7f
	v_cmp_lt_i16_e32 vcc, s4, v9
	s_mov_b64 s[4:5], 0
                                        ; implicit-def: $sgpr10
	s_and_saveexec_b64 s[6:7], vcc
	s_xor_b64 s[6:7], exec, s[6:7]
	s_cbranch_execnz .LBB19_3985
; %bb.1937:
	s_or_saveexec_b64 s[6:7], s[6:7]
	v_mov_b32_e32 v8, s10
	s_xor_b64 exec, exec, s[6:7]
	s_cbranch_execnz .LBB19_3988
.LBB19_1938:
	s_or_b64 exec, exec, s[6:7]
	s_and_saveexec_b64 s[6:7], s[4:5]
	s_cbranch_execz .LBB19_1940
.LBB19_1939:
	v_bfe_u32 v8, v4, 16, 3
	v_ffbh_u32_e32 v11, v8
	v_min_u32_e32 v11, 32, v11
	v_lshrrev_b32_e32 v9, 19, v4
	v_subrev_u32_e32 v12, 28, v11
	v_and_b32_e32 v9, 15, v9
	v_lshlrev_b32_sdwa v12, v12, v4 dst_sel:DWORD dst_unused:UNUSED_PAD src0_sel:DWORD src1_sel:WORD_1
	v_bfe_u32 v10, v4, 19, 4
	v_sub_u32_e32 v11, 29, v11
	v_and_b32_e32 v12, 7, v12
	v_cmp_eq_u16_e32 vcc, 0, v9
	v_cndmask_b32_e32 v8, v8, v12, vcc
	v_cndmask_b32_e32 v9, v10, v11, vcc
	v_lshlrev_b32_e32 v10, 8, v4
	v_mov_b32_e32 v11, 0x3b800000
	v_lshlrev_b32_e32 v8, 20, v8
	v_and_b32_e32 v10, 0x80000000, v10
	v_lshl_add_u32 v9, v9, 23, v11
	v_or3_b32 v8, v10, v9, v8
.LBB19_1940:
	s_or_b64 exec, exec, s[6:7]
	s_movk_i32 s4, 0xff
	v_and_b32_sdwa v9, v0, s4 dst_sel:DWORD dst_unused:UNUSED_PAD src0_sel:WORD_1 src1_sel:DWORD
	s_movk_i32 s4, 0x7f
	v_cmp_lt_i16_e32 vcc, s4, v9
	s_mov_b64 s[4:5], 0
                                        ; implicit-def: $sgpr10
	s_and_saveexec_b64 s[6:7], vcc
	s_xor_b64 s[6:7], exec, s[6:7]
	s_cbranch_execnz .LBB19_3989
; %bb.1941:
	s_or_saveexec_b64 s[6:7], s[6:7]
	v_mov_b32_e32 v10, s10
	s_xor_b64 exec, exec, s[6:7]
	s_cbranch_execnz .LBB19_3992
.LBB19_1942:
	s_or_b64 exec, exec, s[6:7]
	s_and_saveexec_b64 s[6:7], s[4:5]
	s_cbranch_execz .LBB19_1944
.LBB19_1943:
	v_bfe_u32 v9, v0, 16, 3
	v_ffbh_u32_e32 v12, v9
	v_min_u32_e32 v12, 32, v12
	v_lshrrev_b32_e32 v10, 19, v0
	v_subrev_u32_e32 v13, 28, v12
	v_and_b32_e32 v10, 15, v10
	v_lshlrev_b32_sdwa v13, v13, v0 dst_sel:DWORD dst_unused:UNUSED_PAD src0_sel:DWORD src1_sel:WORD_1
	v_bfe_u32 v11, v0, 19, 4
	v_sub_u32_e32 v12, 29, v12
	v_and_b32_e32 v13, 7, v13
	v_cmp_eq_u16_e32 vcc, 0, v10
	v_cndmask_b32_e32 v9, v9, v13, vcc
	v_cndmask_b32_e32 v10, v11, v12, vcc
	v_lshlrev_b32_e32 v11, 8, v0
	v_mov_b32_e32 v12, 0x3b800000
	v_lshlrev_b32_e32 v9, 20, v9
	v_and_b32_e32 v11, 0x80000000, v11
	v_lshl_add_u32 v10, v10, 23, v12
	v_or3_b32 v10, v11, v10, v9
.LBB19_1944:
	s_or_b64 exec, exec, s[6:7]
	s_nop 0
	v_mfma_f32_16x16x4f32 a[0:3], v8, v10, a[0:3]
	s_movk_i32 s4, 0x7f
	v_cmp_gt_i16_sdwa s[6:7], v4, s4 src0_sel:BYTE_3 src1_sel:DWORD
	s_mov_b64 s[4:5], 0
                                        ; implicit-def: $sgpr10
	s_and_saveexec_b64 s[8:9], s[6:7]
	s_xor_b64 s[6:7], exec, s[8:9]
	s_cbranch_execnz .LBB19_3993
; %bb.1945:
	s_or_saveexec_b64 s[6:7], s[6:7]
	v_mov_b32_e32 v8, s10
	s_xor_b64 exec, exec, s[6:7]
	s_cbranch_execnz .LBB19_3996
.LBB19_1946:
	s_or_b64 exec, exec, s[6:7]
	s_and_saveexec_b64 s[6:7], s[4:5]
	s_cbranch_execz .LBB19_1948
.LBB19_1947:
	v_bfe_u32 v8, v4, 24, 3
	v_ffbh_u32_e32 v12, v8
	v_min_u32_e32 v12, 32, v12
	v_lshrrev_b32_e32 v10, 27, v4
	v_subrev_u32_e32 v13, 28, v12
	v_and_b32_e32 v9, 0x80000000, v4
	v_and_b32_e32 v10, 15, v10
	v_bfe_u32 v11, v4, 27, 4
	v_lshlrev_b32_sdwa v4, v13, v4 dst_sel:DWORD dst_unused:UNUSED_PAD src0_sel:DWORD src1_sel:BYTE_3
	v_sub_u32_e32 v12, 29, v12
	v_and_b32_e32 v4, 7, v4
	v_cmp_eq_u16_e32 vcc, 0, v10
	v_cndmask_b32_e32 v4, v8, v4, vcc
	v_cndmask_b32_e32 v8, v11, v12, vcc
	v_mov_b32_e32 v10, 0x3b800000
	v_lshlrev_b32_e32 v4, 20, v4
	v_lshl_add_u32 v8, v8, 23, v10
	v_or3_b32 v8, v9, v8, v4
.LBB19_1948:
	s_or_b64 exec, exec, s[6:7]
	s_movk_i32 s4, 0x7f
	v_cmp_gt_i16_sdwa s[6:7], v0, s4 src0_sel:BYTE_3 src1_sel:DWORD
	s_mov_b64 s[4:5], 0
                                        ; implicit-def: $sgpr10
	s_and_saveexec_b64 s[8:9], s[6:7]
	s_xor_b64 s[6:7], exec, s[8:9]
	s_cbranch_execnz .LBB19_3997
; %bb.1949:
	s_or_saveexec_b64 s[6:7], s[6:7]
	v_mov_b32_e32 v4, s10
	s_xor_b64 exec, exec, s[6:7]
	s_cbranch_execnz .LBB19_4000
.LBB19_1950:
	s_or_b64 exec, exec, s[6:7]
	s_and_saveexec_b64 s[6:7], s[4:5]
	s_cbranch_execz .LBB19_1952
.LBB19_1951:
	v_bfe_u32 v4, v0, 24, 3
	v_ffbh_u32_e32 v12, v4
	v_min_u32_e32 v12, 32, v12
	v_lshrrev_b32_e32 v10, 27, v0
	v_subrev_u32_e32 v13, 28, v12
	v_and_b32_e32 v9, 0x80000000, v0
	v_and_b32_e32 v10, 15, v10
	v_bfe_u32 v11, v0, 27, 4
	v_lshlrev_b32_sdwa v0, v13, v0 dst_sel:DWORD dst_unused:UNUSED_PAD src0_sel:DWORD src1_sel:BYTE_3
	v_sub_u32_e32 v12, 29, v12
	v_and_b32_e32 v0, 7, v0
	v_cmp_eq_u16_e32 vcc, 0, v10
	v_cndmask_b32_e32 v0, v4, v0, vcc
	v_cndmask_b32_e32 v4, v11, v12, vcc
	v_mov_b32_e32 v10, 0x3b800000
	v_lshlrev_b32_e32 v0, 20, v0
	v_lshl_add_u32 v4, v4, 23, v10
	v_or3_b32 v4, v9, v4, v0
.LBB19_1952:
	s_or_b64 exec, exec, s[6:7]
	s_nop 0
	v_mfma_f32_16x16x4f32 a[0:3], v8, v4, a[0:3]
	s_movk_i32 s4, 0x7f
	v_cmp_gt_i16_sdwa s[6:7], v5, s4 src0_sel:BYTE_0 src1_sel:DWORD
	s_mov_b64 s[4:5], 0
                                        ; implicit-def: $sgpr10
	s_and_saveexec_b64 s[8:9], s[6:7]
	s_xor_b64 s[6:7], exec, s[8:9]
	s_cbranch_execnz .LBB19_4001
; %bb.1953:
	s_or_saveexec_b64 s[6:7], s[6:7]
	v_mov_b32_e32 v0, s10
	s_xor_b64 exec, exec, s[6:7]
	s_cbranch_execnz .LBB19_4004
.LBB19_1954:
	s_or_b64 exec, exec, s[6:7]
	s_and_saveexec_b64 s[6:7], s[4:5]
	s_cbranch_execz .LBB19_1956
.LBB19_1955:
	v_and_b32_e32 v0, 7, v5
	v_ffbh_u32_e32 v8, v0
	v_min_u32_e32 v8, 32, v8
	v_lshrrev_b16_e32 v4, 3, v5
	v_subrev_u32_e32 v9, 28, v8
	v_and_b32_e32 v4, 15, v4
	v_lshlrev_b32_e32 v9, v9, v5
	v_sub_u32_e32 v8, 29, v8
	v_and_b32_e32 v9, 7, v9
	v_cmp_eq_u16_e32 vcc, 0, v4
	v_cndmask_b32_e32 v0, v0, v9, vcc
	v_cndmask_b32_e32 v4, v4, v8, vcc
	v_lshlrev_b32_e32 v8, 24, v5
	v_mov_b32_e32 v9, 0x3b800000
	v_lshlrev_b32_e32 v0, 20, v0
	v_and_b32_e32 v8, 0x80000000, v8
	v_lshl_add_u32 v4, v4, 23, v9
	v_or3_b32 v0, v8, v4, v0
.LBB19_1956:
	s_or_b64 exec, exec, s[6:7]
	s_movk_i32 s4, 0x7f
	v_cmp_gt_i16_sdwa s[6:7], v1, s4 src0_sel:BYTE_0 src1_sel:DWORD
	s_mov_b64 s[4:5], 0
                                        ; implicit-def: $sgpr10
	s_and_saveexec_b64 s[8:9], s[6:7]
	s_xor_b64 s[6:7], exec, s[8:9]
	s_cbranch_execnz .LBB19_4005
; %bb.1957:
	s_or_saveexec_b64 s[6:7], s[6:7]
	v_mov_b32_e32 v4, s10
	s_xor_b64 exec, exec, s[6:7]
	s_cbranch_execnz .LBB19_4008
.LBB19_1958:
	s_or_b64 exec, exec, s[6:7]
	s_and_saveexec_b64 s[6:7], s[4:5]
	s_cbranch_execz .LBB19_1960
.LBB19_1959:
	v_and_b32_e32 v4, 7, v1
	v_ffbh_u32_e32 v9, v4
	v_min_u32_e32 v9, 32, v9
	v_lshrrev_b16_e32 v8, 3, v1
	v_subrev_u32_e32 v10, 28, v9
	v_and_b32_e32 v8, 15, v8
	v_lshlrev_b32_e32 v10, v10, v1
	v_sub_u32_e32 v9, 29, v9
	v_and_b32_e32 v10, 7, v10
	v_cmp_eq_u16_e32 vcc, 0, v8
	v_cndmask_b32_e32 v4, v4, v10, vcc
	v_cndmask_b32_e32 v8, v8, v9, vcc
	v_lshlrev_b32_e32 v9, 24, v1
	v_mov_b32_e32 v10, 0x3b800000
	v_lshlrev_b32_e32 v4, 20, v4
	v_and_b32_e32 v9, 0x80000000, v9
	v_lshl_add_u32 v8, v8, 23, v10
	v_or3_b32 v4, v9, v8, v4
.LBB19_1960:
	s_or_b64 exec, exec, s[6:7]
	s_nop 0
	v_mfma_f32_16x16x4f32 a[0:3], v0, v4, a[0:3]
	v_lshrrev_b32_e32 v4, 8, v5
	s_movk_i32 s4, 0x7f
	v_cmp_gt_i16_sdwa s[6:7], v4, s4 src0_sel:BYTE_0 src1_sel:DWORD
	s_mov_b64 s[4:5], 0
                                        ; implicit-def: $sgpr10
	s_and_saveexec_b64 s[8:9], s[6:7]
	s_xor_b64 s[6:7], exec, s[8:9]
	s_cbranch_execnz .LBB19_4009
; %bb.1961:
	s_or_saveexec_b64 s[6:7], s[6:7]
	v_mov_b32_e32 v0, s10
	s_xor_b64 exec, exec, s[6:7]
	s_cbranch_execnz .LBB19_4012
.LBB19_1962:
	s_or_b64 exec, exec, s[6:7]
	s_and_saveexec_b64 s[6:7], s[4:5]
	s_cbranch_execz .LBB19_1964
.LBB19_1963:
	v_bfe_u32 v0, v5, 8, 3
	v_ffbh_u32_e32 v9, v0
	v_min_u32_e32 v9, 32, v9
	v_lshrrev_b16_e32 v8, 3, v4
	v_subrev_u32_e32 v10, 28, v9
	v_and_b32_e32 v8, 15, v8
	v_lshlrev_b32_e32 v4, v10, v4
	v_sub_u32_e32 v9, 29, v9
	v_and_b32_e32 v4, 7, v4
	v_cmp_eq_u16_e32 vcc, 0, v8
	v_cndmask_b32_e32 v0, v0, v4, vcc
	v_cndmask_b32_e32 v4, v8, v9, vcc
	v_lshlrev_b32_e32 v8, 16, v5
	v_mov_b32_e32 v9, 0x3b800000
	v_lshlrev_b32_e32 v0, 20, v0
	v_and_b32_e32 v8, 0x80000000, v8
	v_lshl_add_u32 v4, v4, 23, v9
	v_or3_b32 v0, v8, v4, v0
.LBB19_1964:
	s_or_b64 exec, exec, s[6:7]
	v_lshrrev_b32_e32 v4, 8, v1
	s_movk_i32 s4, 0x7f
	v_cmp_gt_i16_sdwa s[6:7], v4, s4 src0_sel:BYTE_0 src1_sel:DWORD
	s_mov_b64 s[4:5], 0
                                        ; implicit-def: $sgpr10
	s_and_saveexec_b64 s[8:9], s[6:7]
	s_xor_b64 s[6:7], exec, s[8:9]
	s_cbranch_execnz .LBB19_4013
; %bb.1965:
	s_or_saveexec_b64 s[6:7], s[6:7]
	v_mov_b32_e32 v8, s10
	s_xor_b64 exec, exec, s[6:7]
	s_cbranch_execnz .LBB19_4016
.LBB19_1966:
	s_or_b64 exec, exec, s[6:7]
	s_and_saveexec_b64 s[6:7], s[4:5]
	s_cbranch_execz .LBB19_1968
.LBB19_1967:
	v_bfe_u32 v8, v1, 8, 3
	v_ffbh_u32_e32 v10, v8
	v_min_u32_e32 v10, 32, v10
	v_lshrrev_b16_e32 v9, 3, v4
	v_subrev_u32_e32 v11, 28, v10
	v_and_b32_e32 v9, 15, v9
	v_lshlrev_b32_e32 v4, v11, v4
	v_sub_u32_e32 v10, 29, v10
	v_and_b32_e32 v4, 7, v4
	v_cmp_eq_u16_e32 vcc, 0, v9
	v_cndmask_b32_e32 v4, v8, v4, vcc
	v_cndmask_b32_e32 v8, v9, v10, vcc
	v_lshlrev_b32_e32 v9, 16, v1
	v_mov_b32_e32 v10, 0x3b800000
	v_lshlrev_b32_e32 v4, 20, v4
	v_and_b32_e32 v9, 0x80000000, v9
	v_lshl_add_u32 v8, v8, 23, v10
	v_or3_b32 v8, v9, v8, v4
.LBB19_1968:
	s_or_b64 exec, exec, s[6:7]
	s_nop 0
	v_mfma_f32_16x16x4f32 a[0:3], v0, v8, a[0:3]
	s_movk_i32 s4, 0xff
	v_and_b32_sdwa v4, v5, s4 dst_sel:DWORD dst_unused:UNUSED_PAD src0_sel:WORD_1 src1_sel:DWORD
	s_movk_i32 s4, 0x7f
	v_cmp_lt_i16_e32 vcc, s4, v4
	s_mov_b64 s[4:5], 0
                                        ; implicit-def: $sgpr10
	s_and_saveexec_b64 s[6:7], vcc
	s_xor_b64 s[6:7], exec, s[6:7]
	s_cbranch_execnz .LBB19_4017
; %bb.1969:
	s_or_saveexec_b64 s[6:7], s[6:7]
	v_mov_b32_e32 v0, s10
	s_xor_b64 exec, exec, s[6:7]
	s_cbranch_execnz .LBB19_4020
.LBB19_1970:
	s_or_b64 exec, exec, s[6:7]
	s_and_saveexec_b64 s[6:7], s[4:5]
	s_cbranch_execz .LBB19_1972
.LBB19_1971:
	v_bfe_u32 v0, v5, 16, 3
	v_ffbh_u32_e32 v9, v0
	v_min_u32_e32 v9, 32, v9
	v_lshrrev_b32_e32 v4, 19, v5
	v_subrev_u32_e32 v10, 28, v9
	v_and_b32_e32 v4, 15, v4
	v_lshlrev_b32_sdwa v10, v10, v5 dst_sel:DWORD dst_unused:UNUSED_PAD src0_sel:DWORD src1_sel:WORD_1
	v_bfe_u32 v8, v5, 19, 4
	v_sub_u32_e32 v9, 29, v9
	v_and_b32_e32 v10, 7, v10
	v_cmp_eq_u16_e32 vcc, 0, v4
	v_cndmask_b32_e32 v0, v0, v10, vcc
	v_cndmask_b32_e32 v4, v8, v9, vcc
	v_lshlrev_b32_e32 v8, 8, v5
	v_mov_b32_e32 v9, 0x3b800000
	v_lshlrev_b32_e32 v0, 20, v0
	v_and_b32_e32 v8, 0x80000000, v8
	v_lshl_add_u32 v4, v4, 23, v9
	v_or3_b32 v0, v8, v4, v0
.LBB19_1972:
	s_or_b64 exec, exec, s[6:7]
	s_movk_i32 s4, 0xff
	v_and_b32_sdwa v4, v1, s4 dst_sel:DWORD dst_unused:UNUSED_PAD src0_sel:WORD_1 src1_sel:DWORD
	s_movk_i32 s4, 0x7f
	v_cmp_lt_i16_e32 vcc, s4, v4
	s_mov_b64 s[4:5], 0
                                        ; implicit-def: $sgpr10
	s_and_saveexec_b64 s[6:7], vcc
	s_xor_b64 s[6:7], exec, s[6:7]
	s_cbranch_execnz .LBB19_4021
; %bb.1973:
	s_or_saveexec_b64 s[6:7], s[6:7]
	v_mov_b32_e32 v8, s10
	s_xor_b64 exec, exec, s[6:7]
	s_cbranch_execnz .LBB19_4024
.LBB19_1974:
	s_or_b64 exec, exec, s[6:7]
	s_and_saveexec_b64 s[6:7], s[4:5]
	s_cbranch_execz .LBB19_1976
.LBB19_1975:
	v_bfe_u32 v4, v1, 16, 3
	v_ffbh_u32_e32 v10, v4
	v_min_u32_e32 v10, 32, v10
	v_lshrrev_b32_e32 v8, 19, v1
	v_subrev_u32_e32 v11, 28, v10
	v_and_b32_e32 v8, 15, v8
	v_lshlrev_b32_sdwa v11, v11, v1 dst_sel:DWORD dst_unused:UNUSED_PAD src0_sel:DWORD src1_sel:WORD_1
	v_bfe_u32 v9, v1, 19, 4
	v_sub_u32_e32 v10, 29, v10
	v_and_b32_e32 v11, 7, v11
	v_cmp_eq_u16_e32 vcc, 0, v8
	v_cndmask_b32_e32 v4, v4, v11, vcc
	v_cndmask_b32_e32 v8, v9, v10, vcc
	v_lshlrev_b32_e32 v9, 8, v1
	v_mov_b32_e32 v10, 0x3b800000
	v_lshlrev_b32_e32 v4, 20, v4
	v_and_b32_e32 v9, 0x80000000, v9
	v_lshl_add_u32 v8, v8, 23, v10
	v_or3_b32 v8, v9, v8, v4
.LBB19_1976:
	s_or_b64 exec, exec, s[6:7]
	s_nop 0
	v_mfma_f32_16x16x4f32 a[0:3], v0, v8, a[0:3]
	s_movk_i32 s4, 0x7f
	v_cmp_gt_i16_sdwa s[6:7], v5, s4 src0_sel:BYTE_3 src1_sel:DWORD
	s_mov_b64 s[4:5], 0
                                        ; implicit-def: $sgpr10
	s_and_saveexec_b64 s[8:9], s[6:7]
	s_xor_b64 s[6:7], exec, s[8:9]
	s_cbranch_execnz .LBB19_4025
; %bb.1977:
	s_or_saveexec_b64 s[6:7], s[6:7]
	v_mov_b32_e32 v0, s10
	s_xor_b64 exec, exec, s[6:7]
	s_cbranch_execnz .LBB19_4028
.LBB19_1978:
	s_or_b64 exec, exec, s[6:7]
	s_and_saveexec_b64 s[6:7], s[4:5]
	s_cbranch_execz .LBB19_1980
.LBB19_1979:
	v_bfe_u32 v0, v5, 24, 3
	v_ffbh_u32_e32 v10, v0
	v_min_u32_e32 v10, 32, v10
	v_lshrrev_b32_e32 v8, 27, v5
	v_subrev_u32_e32 v11, 28, v10
	v_and_b32_e32 v4, 0x80000000, v5
	v_and_b32_e32 v8, 15, v8
	v_bfe_u32 v9, v5, 27, 4
	v_lshlrev_b32_sdwa v5, v11, v5 dst_sel:DWORD dst_unused:UNUSED_PAD src0_sel:DWORD src1_sel:BYTE_3
	v_sub_u32_e32 v10, 29, v10
	v_and_b32_e32 v5, 7, v5
	v_cmp_eq_u16_e32 vcc, 0, v8
	v_cndmask_b32_e32 v0, v0, v5, vcc
	v_cndmask_b32_e32 v5, v9, v10, vcc
	v_mov_b32_e32 v8, 0x3b800000
	v_lshlrev_b32_e32 v0, 20, v0
	v_lshl_add_u32 v5, v5, 23, v8
	v_or3_b32 v0, v4, v5, v0
.LBB19_1980:
	s_or_b64 exec, exec, s[6:7]
	s_movk_i32 s4, 0x7f
	v_cmp_gt_i16_sdwa s[6:7], v1, s4 src0_sel:BYTE_3 src1_sel:DWORD
	s_mov_b64 s[4:5], 0
                                        ; implicit-def: $sgpr10
	s_and_saveexec_b64 s[8:9], s[6:7]
	s_xor_b64 s[6:7], exec, s[8:9]
	s_cbranch_execnz .LBB19_4029
; %bb.1981:
	s_or_saveexec_b64 s[6:7], s[6:7]
	v_mov_b32_e32 v4, s10
	s_xor_b64 exec, exec, s[6:7]
	s_cbranch_execnz .LBB19_4032
.LBB19_1982:
	s_or_b64 exec, exec, s[6:7]
	s_and_saveexec_b64 s[6:7], s[4:5]
	s_cbranch_execz .LBB19_1984
.LBB19_1983:
	v_bfe_u32 v4, v1, 24, 3
	v_ffbh_u32_e32 v10, v4
	v_min_u32_e32 v10, 32, v10
	v_lshrrev_b32_e32 v8, 27, v1
	v_subrev_u32_e32 v11, 28, v10
	v_and_b32_e32 v5, 0x80000000, v1
	v_and_b32_e32 v8, 15, v8
	v_bfe_u32 v9, v1, 27, 4
	v_lshlrev_b32_sdwa v1, v11, v1 dst_sel:DWORD dst_unused:UNUSED_PAD src0_sel:DWORD src1_sel:BYTE_3
	v_sub_u32_e32 v10, 29, v10
	v_and_b32_e32 v1, 7, v1
	v_cmp_eq_u16_e32 vcc, 0, v8
	v_cndmask_b32_e32 v1, v4, v1, vcc
	v_cndmask_b32_e32 v4, v9, v10, vcc
	v_mov_b32_e32 v8, 0x3b800000
	v_lshlrev_b32_e32 v1, 20, v1
	v_lshl_add_u32 v4, v4, 23, v8
	v_or3_b32 v4, v5, v4, v1
.LBB19_1984:
	s_or_b64 exec, exec, s[6:7]
	s_nop 0
	v_mfma_f32_16x16x4f32 a[0:3], v0, v4, a[0:3]
	s_movk_i32 s4, 0x7f
	v_cmp_gt_i16_sdwa s[6:7], v6, s4 src0_sel:BYTE_0 src1_sel:DWORD
	s_mov_b64 s[4:5], 0
                                        ; implicit-def: $sgpr10
	s_and_saveexec_b64 s[8:9], s[6:7]
	s_xor_b64 s[6:7], exec, s[8:9]
	s_cbranch_execnz .LBB19_4033
; %bb.1985:
	s_or_saveexec_b64 s[6:7], s[6:7]
	v_mov_b32_e32 v0, s10
	s_xor_b64 exec, exec, s[6:7]
	s_cbranch_execnz .LBB19_4036
.LBB19_1986:
	s_or_b64 exec, exec, s[6:7]
	s_and_saveexec_b64 s[6:7], s[4:5]
	s_cbranch_execz .LBB19_1988
.LBB19_1987:
	v_and_b32_e32 v0, 7, v6
	v_ffbh_u32_e32 v4, v0
	v_min_u32_e32 v4, 32, v4
	v_lshrrev_b16_e32 v1, 3, v6
	v_subrev_u32_e32 v5, 28, v4
	v_and_b32_e32 v1, 15, v1
	v_lshlrev_b32_e32 v5, v5, v6
	v_sub_u32_e32 v4, 29, v4
	v_and_b32_e32 v5, 7, v5
	v_cmp_eq_u16_e32 vcc, 0, v1
	v_cndmask_b32_e32 v0, v0, v5, vcc
	v_cndmask_b32_e32 v1, v1, v4, vcc
	v_lshlrev_b32_e32 v4, 24, v6
	v_mov_b32_e32 v5, 0x3b800000
	v_lshlrev_b32_e32 v0, 20, v0
	v_and_b32_e32 v4, 0x80000000, v4
	v_lshl_add_u32 v1, v1, 23, v5
	v_or3_b32 v0, v4, v1, v0
.LBB19_1988:
	s_or_b64 exec, exec, s[6:7]
	s_movk_i32 s4, 0x7f
	v_cmp_gt_i16_sdwa s[6:7], v2, s4 src0_sel:BYTE_0 src1_sel:DWORD
	s_mov_b64 s[4:5], 0
                                        ; implicit-def: $sgpr10
	s_and_saveexec_b64 s[8:9], s[6:7]
	s_xor_b64 s[6:7], exec, s[8:9]
	s_cbranch_execnz .LBB19_4037
; %bb.1989:
	s_or_saveexec_b64 s[6:7], s[6:7]
	v_mov_b32_e32 v1, s10
	s_xor_b64 exec, exec, s[6:7]
	s_cbranch_execnz .LBB19_4040
.LBB19_1990:
	s_or_b64 exec, exec, s[6:7]
	s_and_saveexec_b64 s[6:7], s[4:5]
	s_cbranch_execz .LBB19_1992
.LBB19_1991:
	v_and_b32_e32 v1, 7, v2
	v_ffbh_u32_e32 v5, v1
	v_min_u32_e32 v5, 32, v5
	v_lshrrev_b16_e32 v4, 3, v2
	v_subrev_u32_e32 v8, 28, v5
	v_and_b32_e32 v4, 15, v4
	v_lshlrev_b32_e32 v8, v8, v2
	v_sub_u32_e32 v5, 29, v5
	v_and_b32_e32 v8, 7, v8
	v_cmp_eq_u16_e32 vcc, 0, v4
	v_cndmask_b32_e32 v1, v1, v8, vcc
	v_cndmask_b32_e32 v4, v4, v5, vcc
	v_lshlrev_b32_e32 v5, 24, v2
	v_mov_b32_e32 v8, 0x3b800000
	v_lshlrev_b32_e32 v1, 20, v1
	v_and_b32_e32 v5, 0x80000000, v5
	v_lshl_add_u32 v4, v4, 23, v8
	v_or3_b32 v1, v5, v4, v1
.LBB19_1992:
	s_or_b64 exec, exec, s[6:7]
	s_nop 0
	v_mfma_f32_16x16x4f32 a[0:3], v0, v1, a[0:3]
	v_lshrrev_b32_e32 v1, 8, v6
	s_movk_i32 s4, 0x7f
	v_cmp_gt_i16_sdwa s[6:7], v1, s4 src0_sel:BYTE_0 src1_sel:DWORD
	s_mov_b64 s[4:5], 0
                                        ; implicit-def: $sgpr10
	s_and_saveexec_b64 s[8:9], s[6:7]
	s_xor_b64 s[6:7], exec, s[8:9]
	s_cbranch_execnz .LBB19_4041
; %bb.1993:
	s_or_saveexec_b64 s[6:7], s[6:7]
	v_mov_b32_e32 v0, s10
	s_xor_b64 exec, exec, s[6:7]
	s_cbranch_execnz .LBB19_4044
.LBB19_1994:
	s_or_b64 exec, exec, s[6:7]
	s_and_saveexec_b64 s[6:7], s[4:5]
	s_cbranch_execz .LBB19_1996
.LBB19_1995:
	v_bfe_u32 v0, v6, 8, 3
	v_ffbh_u32_e32 v5, v0
	v_min_u32_e32 v5, 32, v5
	v_lshrrev_b16_e32 v4, 3, v1
	v_subrev_u32_e32 v8, 28, v5
	v_and_b32_e32 v4, 15, v4
	v_lshlrev_b32_e32 v1, v8, v1
	v_sub_u32_e32 v5, 29, v5
	v_and_b32_e32 v1, 7, v1
	v_cmp_eq_u16_e32 vcc, 0, v4
	v_cndmask_b32_e32 v0, v0, v1, vcc
	v_cndmask_b32_e32 v1, v4, v5, vcc
	v_lshlrev_b32_e32 v4, 16, v6
	v_mov_b32_e32 v5, 0x3b800000
	v_lshlrev_b32_e32 v0, 20, v0
	v_and_b32_e32 v4, 0x80000000, v4
	v_lshl_add_u32 v1, v1, 23, v5
	v_or3_b32 v0, v4, v1, v0
.LBB19_1996:
	s_or_b64 exec, exec, s[6:7]
	v_lshrrev_b32_e32 v1, 8, v2
	s_movk_i32 s4, 0x7f
	v_cmp_gt_i16_sdwa s[6:7], v1, s4 src0_sel:BYTE_0 src1_sel:DWORD
	s_mov_b64 s[4:5], 0
                                        ; implicit-def: $sgpr10
	s_and_saveexec_b64 s[8:9], s[6:7]
	s_xor_b64 s[6:7], exec, s[8:9]
	s_cbranch_execnz .LBB19_4045
; %bb.1997:
	s_or_saveexec_b64 s[6:7], s[6:7]
	v_mov_b32_e32 v4, s10
	s_xor_b64 exec, exec, s[6:7]
	s_cbranch_execnz .LBB19_4048
.LBB19_1998:
	s_or_b64 exec, exec, s[6:7]
	s_and_saveexec_b64 s[6:7], s[4:5]
	s_cbranch_execz .LBB19_2000
.LBB19_1999:
	v_bfe_u32 v4, v2, 8, 3
	v_ffbh_u32_e32 v8, v4
	v_min_u32_e32 v8, 32, v8
	v_lshrrev_b16_e32 v5, 3, v1
	v_subrev_u32_e32 v9, 28, v8
	v_and_b32_e32 v5, 15, v5
	v_lshlrev_b32_e32 v1, v9, v1
	v_sub_u32_e32 v8, 29, v8
	v_and_b32_e32 v1, 7, v1
	v_cmp_eq_u16_e32 vcc, 0, v5
	v_cndmask_b32_e32 v1, v4, v1, vcc
	v_cndmask_b32_e32 v4, v5, v8, vcc
	v_lshlrev_b32_e32 v5, 16, v2
	v_mov_b32_e32 v8, 0x3b800000
	v_lshlrev_b32_e32 v1, 20, v1
	v_and_b32_e32 v5, 0x80000000, v5
	v_lshl_add_u32 v4, v4, 23, v8
	v_or3_b32 v4, v5, v4, v1
.LBB19_2000:
	s_or_b64 exec, exec, s[6:7]
	s_nop 0
	v_mfma_f32_16x16x4f32 a[0:3], v0, v4, a[0:3]
	s_movk_i32 s4, 0xff
	v_and_b32_sdwa v1, v6, s4 dst_sel:DWORD dst_unused:UNUSED_PAD src0_sel:WORD_1 src1_sel:DWORD
	s_movk_i32 s4, 0x7f
	v_cmp_lt_i16_e32 vcc, s4, v1
	s_mov_b64 s[4:5], 0
                                        ; implicit-def: $sgpr10
	s_and_saveexec_b64 s[6:7], vcc
	s_xor_b64 s[6:7], exec, s[6:7]
	s_cbranch_execnz .LBB19_4049
; %bb.2001:
	s_or_saveexec_b64 s[6:7], s[6:7]
	v_mov_b32_e32 v0, s10
	s_xor_b64 exec, exec, s[6:7]
	s_cbranch_execnz .LBB19_4052
.LBB19_2002:
	s_or_b64 exec, exec, s[6:7]
	s_and_saveexec_b64 s[6:7], s[4:5]
	s_cbranch_execz .LBB19_2004
.LBB19_2003:
	v_bfe_u32 v0, v6, 16, 3
	v_ffbh_u32_e32 v5, v0
	v_min_u32_e32 v5, 32, v5
	v_lshrrev_b32_e32 v1, 19, v6
	v_subrev_u32_e32 v8, 28, v5
	v_and_b32_e32 v1, 15, v1
	v_lshlrev_b32_sdwa v8, v8, v6 dst_sel:DWORD dst_unused:UNUSED_PAD src0_sel:DWORD src1_sel:WORD_1
	v_bfe_u32 v4, v6, 19, 4
	v_sub_u32_e32 v5, 29, v5
	v_and_b32_e32 v8, 7, v8
	v_cmp_eq_u16_e32 vcc, 0, v1
	v_cndmask_b32_e32 v0, v0, v8, vcc
	v_cndmask_b32_e32 v1, v4, v5, vcc
	v_lshlrev_b32_e32 v4, 8, v6
	v_mov_b32_e32 v5, 0x3b800000
	v_lshlrev_b32_e32 v0, 20, v0
	v_and_b32_e32 v4, 0x80000000, v4
	v_lshl_add_u32 v1, v1, 23, v5
	v_or3_b32 v0, v4, v1, v0
.LBB19_2004:
	s_or_b64 exec, exec, s[6:7]
	s_movk_i32 s4, 0xff
	v_and_b32_sdwa v1, v2, s4 dst_sel:DWORD dst_unused:UNUSED_PAD src0_sel:WORD_1 src1_sel:DWORD
	s_movk_i32 s4, 0x7f
	v_cmp_lt_i16_e32 vcc, s4, v1
	s_mov_b64 s[4:5], 0
                                        ; implicit-def: $sgpr10
	s_and_saveexec_b64 s[6:7], vcc
	s_xor_b64 s[6:7], exec, s[6:7]
	s_cbranch_execnz .LBB19_4053
; %bb.2005:
	s_or_saveexec_b64 s[6:7], s[6:7]
	v_mov_b32_e32 v4, s10
	s_xor_b64 exec, exec, s[6:7]
	s_cbranch_execnz .LBB19_4056
.LBB19_2006:
	s_or_b64 exec, exec, s[6:7]
	s_and_saveexec_b64 s[6:7], s[4:5]
	s_cbranch_execz .LBB19_2008
.LBB19_2007:
	v_bfe_u32 v1, v2, 16, 3
	v_ffbh_u32_e32 v8, v1
	v_min_u32_e32 v8, 32, v8
	v_lshrrev_b32_e32 v4, 19, v2
	v_subrev_u32_e32 v9, 28, v8
	v_and_b32_e32 v4, 15, v4
	v_lshlrev_b32_sdwa v9, v9, v2 dst_sel:DWORD dst_unused:UNUSED_PAD src0_sel:DWORD src1_sel:WORD_1
	v_bfe_u32 v5, v2, 19, 4
	v_sub_u32_e32 v8, 29, v8
	v_and_b32_e32 v9, 7, v9
	v_cmp_eq_u16_e32 vcc, 0, v4
	v_cndmask_b32_e32 v1, v1, v9, vcc
	v_cndmask_b32_e32 v4, v5, v8, vcc
	v_lshlrev_b32_e32 v5, 8, v2
	v_mov_b32_e32 v8, 0x3b800000
	v_lshlrev_b32_e32 v1, 20, v1
	v_and_b32_e32 v5, 0x80000000, v5
	v_lshl_add_u32 v4, v4, 23, v8
	v_or3_b32 v4, v5, v4, v1
.LBB19_2008:
	s_or_b64 exec, exec, s[6:7]
	s_nop 0
	v_mfma_f32_16x16x4f32 a[0:3], v0, v4, a[0:3]
	s_movk_i32 s4, 0x7f
	v_cmp_gt_i16_sdwa s[6:7], v6, s4 src0_sel:BYTE_3 src1_sel:DWORD
	s_mov_b64 s[4:5], 0
                                        ; implicit-def: $sgpr10
	s_and_saveexec_b64 s[8:9], s[6:7]
	s_xor_b64 s[6:7], exec, s[8:9]
	s_cbranch_execnz .LBB19_4057
; %bb.2009:
	s_or_saveexec_b64 s[6:7], s[6:7]
	v_mov_b32_e32 v0, s10
	s_xor_b64 exec, exec, s[6:7]
	s_cbranch_execnz .LBB19_4060
.LBB19_2010:
	s_or_b64 exec, exec, s[6:7]
	s_and_saveexec_b64 s[6:7], s[4:5]
	s_cbranch_execz .LBB19_2012
.LBB19_2011:
	v_bfe_u32 v0, v6, 24, 3
	v_ffbh_u32_e32 v8, v0
	v_min_u32_e32 v8, 32, v8
	v_lshrrev_b32_e32 v4, 27, v6
	v_subrev_u32_e32 v9, 28, v8
	v_and_b32_e32 v1, 0x80000000, v6
	v_and_b32_e32 v4, 15, v4
	v_bfe_u32 v5, v6, 27, 4
	v_lshlrev_b32_sdwa v6, v9, v6 dst_sel:DWORD dst_unused:UNUSED_PAD src0_sel:DWORD src1_sel:BYTE_3
	v_sub_u32_e32 v8, 29, v8
	v_and_b32_e32 v6, 7, v6
	v_cmp_eq_u16_e32 vcc, 0, v4
	v_cndmask_b32_e32 v0, v0, v6, vcc
	v_cndmask_b32_e32 v4, v5, v8, vcc
	v_mov_b32_e32 v5, 0x3b800000
	v_lshlrev_b32_e32 v0, 20, v0
	v_lshl_add_u32 v4, v4, 23, v5
	v_or3_b32 v0, v1, v4, v0
.LBB19_2012:
	s_or_b64 exec, exec, s[6:7]
	s_movk_i32 s4, 0x7f
	v_cmp_gt_i16_sdwa s[6:7], v2, s4 src0_sel:BYTE_3 src1_sel:DWORD
	s_mov_b64 s[4:5], 0
                                        ; implicit-def: $sgpr10
	s_and_saveexec_b64 s[8:9], s[6:7]
	s_xor_b64 s[6:7], exec, s[8:9]
	s_cbranch_execnz .LBB19_4061
; %bb.2013:
	s_or_saveexec_b64 s[6:7], s[6:7]
	v_mov_b32_e32 v1, s10
	s_xor_b64 exec, exec, s[6:7]
	s_cbranch_execnz .LBB19_4064
.LBB19_2014:
	s_or_b64 exec, exec, s[6:7]
	s_and_saveexec_b64 s[6:7], s[4:5]
	s_cbranch_execz .LBB19_2016
.LBB19_2015:
	v_bfe_u32 v1, v2, 24, 3
	v_ffbh_u32_e32 v8, v1
	v_min_u32_e32 v8, 32, v8
	v_lshrrev_b32_e32 v5, 27, v2
	v_subrev_u32_e32 v9, 28, v8
	v_and_b32_e32 v4, 0x80000000, v2
	v_and_b32_e32 v5, 15, v5
	v_bfe_u32 v6, v2, 27, 4
	v_lshlrev_b32_sdwa v2, v9, v2 dst_sel:DWORD dst_unused:UNUSED_PAD src0_sel:DWORD src1_sel:BYTE_3
	v_sub_u32_e32 v8, 29, v8
	v_and_b32_e32 v2, 7, v2
	v_cmp_eq_u16_e32 vcc, 0, v5
	v_cndmask_b32_e32 v1, v1, v2, vcc
	v_cndmask_b32_e32 v2, v6, v8, vcc
	v_mov_b32_e32 v5, 0x3b800000
	v_lshlrev_b32_e32 v1, 20, v1
	v_lshl_add_u32 v2, v2, 23, v5
	v_or3_b32 v1, v4, v2, v1
.LBB19_2016:
	s_or_b64 exec, exec, s[6:7]
	s_nop 0
	v_mfma_f32_16x16x4f32 a[0:3], v0, v1, a[0:3]
	s_movk_i32 s4, 0x7f
	v_cmp_gt_i16_sdwa s[6:7], v7, s4 src0_sel:BYTE_0 src1_sel:DWORD
	s_mov_b64 s[4:5], 0
                                        ; implicit-def: $sgpr10
	s_and_saveexec_b64 s[8:9], s[6:7]
	s_xor_b64 s[6:7], exec, s[8:9]
	s_cbranch_execnz .LBB19_4065
; %bb.2017:
	s_or_saveexec_b64 s[6:7], s[6:7]
	v_mov_b32_e32 v0, s10
	s_xor_b64 exec, exec, s[6:7]
	s_cbranch_execnz .LBB19_4068
.LBB19_2018:
	s_or_b64 exec, exec, s[6:7]
	s_and_saveexec_b64 s[6:7], s[4:5]
	s_cbranch_execz .LBB19_2020
.LBB19_2019:
	v_mov_b32_e32 v0, 8
	v_and_b32_e32 v1, 7, v7
	v_lshrrev_b32_sdwa v0, v0, v7 dst_sel:BYTE_1 dst_unused:UNUSED_PAD src0_sel:DWORD src1_sel:DWORD
	v_ffbh_u32_e32 v2, v1
	v_or_b32_sdwa v0, v7, v0 dst_sel:DWORD dst_unused:UNUSED_PAD src0_sel:BYTE_0 src1_sel:DWORD
	v_min_u32_e32 v2, 32, v2
	v_lshrrev_b16_e32 v0, 3, v0
	v_subrev_u32_e32 v4, 28, v2
	v_and_b32_e32 v0, 15, v0
	v_lshlrev_b32_e32 v4, v4, v7
	v_sub_u32_e32 v2, 29, v2
	v_and_b32_e32 v4, 7, v4
	v_cmp_eq_u16_e32 vcc, 0, v0
	v_cndmask_b32_e32 v1, v1, v4, vcc
	v_cndmask_b32_e32 v0, v0, v2, vcc
	v_lshlrev_b32_e32 v2, 24, v7
	v_mov_b32_e32 v4, 0x3b800000
	v_lshlrev_b32_e32 v1, 20, v1
	v_and_b32_e32 v2, 0x80000000, v2
	v_lshl_add_u32 v0, v0, 23, v4
	v_or3_b32 v0, v2, v0, v1
.LBB19_2020:
	s_or_b64 exec, exec, s[6:7]
	s_movk_i32 s4, 0x7f
	v_cmp_gt_i16_sdwa s[6:7], v3, s4 src0_sel:BYTE_0 src1_sel:DWORD
	s_mov_b64 s[4:5], 0
                                        ; implicit-def: $sgpr10
	s_and_saveexec_b64 s[8:9], s[6:7]
	s_xor_b64 s[6:7], exec, s[8:9]
	s_cbranch_execnz .LBB19_4069
; %bb.2021:
	s_or_saveexec_b64 s[6:7], s[6:7]
	v_mov_b32_e32 v1, s10
	s_xor_b64 exec, exec, s[6:7]
	s_cbranch_execnz .LBB19_4072
.LBB19_2022:
	s_or_b64 exec, exec, s[6:7]
	s_and_saveexec_b64 s[6:7], s[4:5]
	s_cbranch_execz .LBB19_2024
.LBB19_2023:
	v_mov_b32_e32 v1, 8
	v_and_b32_e32 v2, 7, v3
	v_lshrrev_b32_sdwa v1, v1, v3 dst_sel:BYTE_1 dst_unused:UNUSED_PAD src0_sel:DWORD src1_sel:DWORD
	v_ffbh_u32_e32 v4, v2
	v_or_b32_sdwa v1, v3, v1 dst_sel:DWORD dst_unused:UNUSED_PAD src0_sel:BYTE_0 src1_sel:DWORD
	v_min_u32_e32 v4, 32, v4
	v_lshrrev_b16_e32 v1, 3, v1
	v_subrev_u32_e32 v5, 28, v4
	v_and_b32_e32 v1, 15, v1
	v_lshlrev_b32_e32 v5, v5, v3
	v_sub_u32_e32 v4, 29, v4
	v_and_b32_e32 v5, 7, v5
	v_cmp_eq_u16_e32 vcc, 0, v1
	v_cndmask_b32_e32 v2, v2, v5, vcc
	v_cndmask_b32_e32 v1, v1, v4, vcc
	v_lshlrev_b32_e32 v4, 24, v3
	v_mov_b32_e32 v5, 0x3b800000
	v_lshlrev_b32_e32 v2, 20, v2
	v_and_b32_e32 v4, 0x80000000, v4
	v_lshl_add_u32 v1, v1, 23, v5
	v_or3_b32 v1, v4, v1, v2
.LBB19_2024:
	s_or_b64 exec, exec, s[6:7]
	s_nop 0
	v_mfma_f32_16x16x4f32 a[0:3], v0, v1, a[0:3]
	v_lshrrev_b32_e32 v1, 8, v7
	s_movk_i32 s4, 0x7f
	v_cmp_gt_i16_sdwa s[6:7], v1, s4 src0_sel:BYTE_0 src1_sel:DWORD
	s_mov_b64 s[4:5], 0
                                        ; implicit-def: $sgpr10
	s_and_saveexec_b64 s[8:9], s[6:7]
	s_xor_b64 s[6:7], exec, s[8:9]
	s_cbranch_execnz .LBB19_4073
; %bb.2025:
	s_or_saveexec_b64 s[6:7], s[6:7]
	v_mov_b32_e32 v0, s10
	s_xor_b64 exec, exec, s[6:7]
	s_cbranch_execnz .LBB19_4076
.LBB19_2026:
	s_or_b64 exec, exec, s[6:7]
	s_and_saveexec_b64 s[6:7], s[4:5]
	s_cbranch_execz .LBB19_2028
.LBB19_2027:
	v_bfe_u32 v0, v7, 8, 3
	v_ffbh_u32_e32 v4, v0
	v_min_u32_e32 v4, 32, v4
	v_lshrrev_b16_e32 v2, 3, v1
	v_subrev_u32_e32 v5, 28, v4
	v_and_b32_e32 v2, 15, v2
	v_lshlrev_b32_e32 v1, v5, v1
	v_sub_u32_e32 v4, 29, v4
	v_and_b32_e32 v1, 7, v1
	v_cmp_eq_u16_e32 vcc, 0, v2
	v_cndmask_b32_e32 v0, v0, v1, vcc
	v_cndmask_b32_e32 v1, v2, v4, vcc
	v_lshlrev_b32_e32 v2, 16, v7
	v_mov_b32_e32 v4, 0x3b800000
	v_lshlrev_b32_e32 v0, 20, v0
	v_and_b32_e32 v2, 0x80000000, v2
	v_lshl_add_u32 v1, v1, 23, v4
	v_or3_b32 v0, v2, v1, v0
.LBB19_2028:
	s_or_b64 exec, exec, s[6:7]
	v_lshrrev_b32_e32 v1, 8, v3
	s_movk_i32 s4, 0x7f
	v_cmp_gt_i16_sdwa s[6:7], v1, s4 src0_sel:BYTE_0 src1_sel:DWORD
	s_mov_b64 s[4:5], 0
                                        ; implicit-def: $sgpr10
	s_and_saveexec_b64 s[8:9], s[6:7]
	s_xor_b64 s[6:7], exec, s[8:9]
	s_cbranch_execnz .LBB19_4077
; %bb.2029:
	s_or_saveexec_b64 s[6:7], s[6:7]
	v_mov_b32_e32 v2, s10
	s_xor_b64 exec, exec, s[6:7]
	s_cbranch_execnz .LBB19_4080
.LBB19_2030:
	s_or_b64 exec, exec, s[6:7]
	s_and_saveexec_b64 s[6:7], s[4:5]
	s_cbranch_execz .LBB19_2032
.LBB19_2031:
	v_bfe_u32 v2, v3, 8, 3
	v_ffbh_u32_e32 v5, v2
	v_min_u32_e32 v5, 32, v5
	v_lshrrev_b16_e32 v4, 3, v1
	v_subrev_u32_e32 v6, 28, v5
	v_and_b32_e32 v4, 15, v4
	v_lshlrev_b32_e32 v1, v6, v1
	v_sub_u32_e32 v5, 29, v5
	v_and_b32_e32 v1, 7, v1
	v_cmp_eq_u16_e32 vcc, 0, v4
	v_cndmask_b32_e32 v1, v2, v1, vcc
	v_cndmask_b32_e32 v2, v4, v5, vcc
	v_lshlrev_b32_e32 v4, 16, v3
	v_mov_b32_e32 v5, 0x3b800000
	v_lshlrev_b32_e32 v1, 20, v1
	v_and_b32_e32 v4, 0x80000000, v4
	v_lshl_add_u32 v2, v2, 23, v5
	v_or3_b32 v2, v4, v2, v1
.LBB19_2032:
	s_or_b64 exec, exec, s[6:7]
	s_nop 0
	v_mfma_f32_16x16x4f32 a[0:3], v0, v2, a[0:3]
	s_movk_i32 s4, 0xff
	v_and_b32_sdwa v1, v7, s4 dst_sel:DWORD dst_unused:UNUSED_PAD src0_sel:WORD_1 src1_sel:DWORD
	s_movk_i32 s4, 0x7f
	v_cmp_lt_i16_e32 vcc, s4, v1
	s_mov_b64 s[4:5], 0
                                        ; implicit-def: $sgpr10
	s_and_saveexec_b64 s[6:7], vcc
	s_xor_b64 s[6:7], exec, s[6:7]
	s_cbranch_execnz .LBB19_4081
; %bb.2033:
	s_or_saveexec_b64 s[6:7], s[6:7]
	v_mov_b32_e32 v0, s10
	s_xor_b64 exec, exec, s[6:7]
	s_cbranch_execnz .LBB19_4084
.LBB19_2034:
	s_or_b64 exec, exec, s[6:7]
	s_and_saveexec_b64 s[6:7], s[4:5]
	s_cbranch_execz .LBB19_2036
.LBB19_2035:
	v_bfe_u32 v0, v7, 16, 3
	v_ffbh_u32_e32 v4, v0
	v_min_u32_e32 v4, 32, v4
	v_lshrrev_b32_e32 v1, 19, v7
	v_subrev_u32_e32 v5, 28, v4
	v_and_b32_e32 v1, 15, v1
	v_lshlrev_b32_sdwa v5, v5, v7 dst_sel:DWORD dst_unused:UNUSED_PAD src0_sel:DWORD src1_sel:WORD_1
	v_bfe_u32 v2, v7, 19, 4
	v_sub_u32_e32 v4, 29, v4
	v_and_b32_e32 v5, 7, v5
	v_cmp_eq_u16_e32 vcc, 0, v1
	v_cndmask_b32_e32 v0, v0, v5, vcc
	v_cndmask_b32_e32 v1, v2, v4, vcc
	v_lshlrev_b32_e32 v2, 8, v7
	v_mov_b32_e32 v4, 0x3b800000
	v_lshlrev_b32_e32 v0, 20, v0
	v_and_b32_e32 v2, 0x80000000, v2
	v_lshl_add_u32 v1, v1, 23, v4
	v_or3_b32 v0, v2, v1, v0
.LBB19_2036:
	s_or_b64 exec, exec, s[6:7]
	s_movk_i32 s4, 0xff
	v_and_b32_sdwa v1, v3, s4 dst_sel:DWORD dst_unused:UNUSED_PAD src0_sel:WORD_1 src1_sel:DWORD
	s_movk_i32 s4, 0x7f
	v_cmp_lt_i16_e32 vcc, s4, v1
	s_mov_b64 s[4:5], 0
                                        ; implicit-def: $sgpr10
	s_and_saveexec_b64 s[6:7], vcc
	s_xor_b64 s[6:7], exec, s[6:7]
	s_cbranch_execnz .LBB19_4085
; %bb.2037:
	s_or_saveexec_b64 s[6:7], s[6:7]
	v_mov_b32_e32 v2, s10
	s_xor_b64 exec, exec, s[6:7]
	s_cbranch_execnz .LBB19_4088
.LBB19_2038:
	s_or_b64 exec, exec, s[6:7]
	s_and_saveexec_b64 s[6:7], s[4:5]
	s_cbranch_execz .LBB19_2040
.LBB19_2039:
	v_bfe_u32 v1, v3, 16, 3
	v_ffbh_u32_e32 v5, v1
	v_min_u32_e32 v5, 32, v5
	v_lshrrev_b32_e32 v2, 19, v3
	v_subrev_u32_e32 v6, 28, v5
	v_and_b32_e32 v2, 15, v2
	v_lshlrev_b32_sdwa v6, v6, v3 dst_sel:DWORD dst_unused:UNUSED_PAD src0_sel:DWORD src1_sel:WORD_1
	v_bfe_u32 v4, v3, 19, 4
	v_sub_u32_e32 v5, 29, v5
	v_and_b32_e32 v6, 7, v6
	v_cmp_eq_u16_e32 vcc, 0, v2
	v_cndmask_b32_e32 v1, v1, v6, vcc
	v_cndmask_b32_e32 v2, v4, v5, vcc
	v_lshlrev_b32_e32 v4, 8, v3
	v_mov_b32_e32 v5, 0x3b800000
	v_lshlrev_b32_e32 v1, 20, v1
	v_and_b32_e32 v4, 0x80000000, v4
	v_lshl_add_u32 v2, v2, 23, v5
	v_or3_b32 v2, v4, v2, v1
.LBB19_2040:
	s_or_b64 exec, exec, s[6:7]
	s_nop 0
	v_mfma_f32_16x16x4f32 a[0:3], v0, v2, a[0:3]
	s_movk_i32 s4, 0x7f
	v_cmp_gt_i16_sdwa s[6:7], v7, s4 src0_sel:BYTE_3 src1_sel:DWORD
	s_mov_b64 s[4:5], 0
                                        ; implicit-def: $sgpr10
	s_and_saveexec_b64 s[8:9], s[6:7]
	s_xor_b64 s[6:7], exec, s[8:9]
	s_cbranch_execnz .LBB19_4089
; %bb.2041:
	s_or_saveexec_b64 s[6:7], s[6:7]
	v_mov_b32_e32 v0, s10
	s_xor_b64 exec, exec, s[6:7]
	s_cbranch_execnz .LBB19_4092
.LBB19_2042:
	s_or_b64 exec, exec, s[6:7]
	s_and_saveexec_b64 s[6:7], s[4:5]
	s_cbranch_execz .LBB19_2044
.LBB19_2043:
	v_bfe_u32 v0, v7, 24, 3
	v_ffbh_u32_e32 v5, v0
	v_min_u32_e32 v5, 32, v5
	v_lshrrev_b32_e32 v2, 27, v7
	v_subrev_u32_e32 v6, 28, v5
	v_and_b32_e32 v2, 15, v2
	v_lshlrev_b32_sdwa v6, v6, v7 dst_sel:DWORD dst_unused:UNUSED_PAD src0_sel:DWORD src1_sel:BYTE_3
	v_bfe_u32 v4, v7, 27, 4
	v_sub_u32_e32 v5, 29, v5
	v_and_b32_e32 v6, 7, v6
	v_cmp_eq_u16_e32 vcc, 0, v2
	v_cndmask_b32_e32 v0, v0, v6, vcc
	v_cndmask_b32_e32 v2, v4, v5, vcc
	v_mov_b32_e32 v4, 0x3b800000
	v_and_b32_e32 v1, 0x80000000, v7
	v_lshlrev_b32_e32 v0, 20, v0
	v_lshl_add_u32 v2, v2, 23, v4
	v_or3_b32 v0, v1, v2, v0
.LBB19_2044:
	s_or_b64 exec, exec, s[6:7]
	s_movk_i32 s4, 0x7f
	v_cmp_gt_i16_sdwa s[6:7], v3, s4 src0_sel:BYTE_3 src1_sel:DWORD
	s_mov_b64 s[4:5], 0
                                        ; implicit-def: $sgpr10
	s_and_saveexec_b64 s[8:9], s[6:7]
	s_xor_b64 s[6:7], exec, s[8:9]
	s_cbranch_execnz .LBB19_4093
; %bb.2045:
	s_or_saveexec_b64 s[6:7], s[6:7]
	v_mov_b32_e32 v1, s10
	s_xor_b64 exec, exec, s[6:7]
	s_cbranch_execnz .LBB19_4096
.LBB19_2046:
	s_or_b64 exec, exec, s[6:7]
	s_and_saveexec_b64 s[6:7], s[4:5]
	s_cbranch_execz .LBB19_2048
.LBB19_2047:
	v_bfe_u32 v1, v3, 24, 3
	v_ffbh_u32_e32 v6, v1
	v_min_u32_e32 v6, 32, v6
	v_lshrrev_b32_e32 v4, 27, v3
	v_subrev_u32_e32 v7, 28, v6
	v_and_b32_e32 v2, 0x80000000, v3
	v_and_b32_e32 v4, 15, v4
	v_bfe_u32 v5, v3, 27, 4
	v_lshlrev_b32_sdwa v3, v7, v3 dst_sel:DWORD dst_unused:UNUSED_PAD src0_sel:DWORD src1_sel:BYTE_3
	v_sub_u32_e32 v6, 29, v6
	v_and_b32_e32 v3, 7, v3
	v_cmp_eq_u16_e32 vcc, 0, v4
	v_cndmask_b32_e32 v1, v1, v3, vcc
	v_cndmask_b32_e32 v3, v5, v6, vcc
	v_mov_b32_e32 v4, 0x3b800000
	v_lshlrev_b32_e32 v1, 20, v1
	v_lshl_add_u32 v3, v3, 23, v4
	v_or3_b32 v1, v2, v3, v1
.LBB19_2048:
	s_or_b64 exec, exec, s[6:7]
	s_nop 0
	v_mfma_f32_16x16x4f32 a[0:3], v0, v1, a[0:3]
	s_nop 7
	s_nop 2
	flat_store_dwordx4 v[16:17], a[0:3] offset:240
	s_waitcnt vmcnt(0) lgkmcnt(0)
	s_setpc_b64 s[30:31]
.LBB19_2049:
	s_movk_i32 s4, 0x80
	v_cmp_eq_u16_sdwa s[12:13], v14, s4 src0_sel:BYTE_0 src1_sel:DWORD
	s_mov_b64 s[4:5], -1
                                        ; implicit-def: $sgpr10
	s_and_saveexec_b64 s[8:9], s[12:13]
; %bb.2050:
	s_mov_b32 s10, 0x7f800001
	s_xor_b64 s[4:5], exec, -1
; %bb.2051:
	s_or_b64 exec, exec, s[8:9]
	s_and_b64 s[4:5], s[4:5], exec
	s_or_saveexec_b64 s[6:7], s[6:7]
	v_mov_b32_e32 v20, s10
	s_xor_b64 exec, exec, s[6:7]
	s_cbranch_execz .LBB19_2
.LBB19_2052:
	v_mov_b32_e32 v20, 0
	v_cmp_ne_u16_sdwa s[8:9], v14, v20 src0_sel:BYTE_0 src1_sel:DWORD
	s_andn2_b64 s[4:5], s[4:5], exec
	s_and_b64 s[8:9], s[8:9], exec
	s_or_b64 s[4:5], s[4:5], s[8:9]
	s_or_b64 exec, exec, s[6:7]
	s_and_saveexec_b64 s[6:7], s[4:5]
	s_cbranch_execnz .LBB19_3
	s_branch .LBB19_4
.LBB19_2053:
	s_movk_i32 s4, 0x80
	v_cmp_eq_u16_sdwa s[12:13], v10, s4 src0_sel:BYTE_0 src1_sel:DWORD
	s_mov_b64 s[4:5], -1
                                        ; implicit-def: $sgpr10
	s_and_saveexec_b64 s[8:9], s[12:13]
; %bb.2054:
	s_mov_b32 s10, 0x7f800001
	s_xor_b64 s[4:5], exec, -1
; %bb.2055:
	s_or_b64 exec, exec, s[8:9]
	s_and_b64 s[4:5], s[4:5], exec
	s_or_saveexec_b64 s[6:7], s[6:7]
	v_mov_b32_e32 v21, s10
	s_xor_b64 exec, exec, s[6:7]
	s_cbranch_execz .LBB19_6
.LBB19_2056:
	v_mov_b32_e32 v21, 0
	v_cmp_ne_u16_sdwa s[8:9], v10, v21 src0_sel:BYTE_0 src1_sel:DWORD
	s_andn2_b64 s[4:5], s[4:5], exec
	s_and_b64 s[8:9], s[8:9], exec
	s_or_b64 s[4:5], s[4:5], s[8:9]
	s_or_b64 exec, exec, s[6:7]
	s_and_saveexec_b64 s[6:7], s[4:5]
	s_cbranch_execnz .LBB19_7
	s_branch .LBB19_8
.LBB19_2057:
	s_movk_i32 s4, 0x80
	v_cmp_eq_u16_sdwa s[12:13], v21, s4 src0_sel:BYTE_0 src1_sel:DWORD
	s_mov_b64 s[4:5], -1
                                        ; implicit-def: $sgpr10
	s_and_saveexec_b64 s[8:9], s[12:13]
; %bb.2058:
	s_mov_b32 s10, 0x7f800001
	s_xor_b64 s[4:5], exec, -1
; %bb.2059:
	s_or_b64 exec, exec, s[8:9]
	s_and_b64 s[4:5], s[4:5], exec
	s_or_saveexec_b64 s[6:7], s[6:7]
	v_mov_b32_e32 v20, s10
	s_xor_b64 exec, exec, s[6:7]
	s_cbranch_execz .LBB19_10
.LBB19_2060:
	v_mov_b32_e32 v20, 0
	v_cmp_ne_u16_sdwa s[8:9], v21, v20 src0_sel:BYTE_0 src1_sel:DWORD
	s_andn2_b64 s[4:5], s[4:5], exec
	s_and_b64 s[8:9], s[8:9], exec
	s_or_b64 s[4:5], s[4:5], s[8:9]
	s_or_b64 exec, exec, s[6:7]
	s_and_saveexec_b64 s[6:7], s[4:5]
	s_cbranch_execnz .LBB19_11
	s_branch .LBB19_12
.LBB19_2061:
	s_movk_i32 s4, 0x80
	v_cmp_eq_u16_sdwa s[12:13], v21, s4 src0_sel:BYTE_0 src1_sel:DWORD
	s_mov_b64 s[4:5], -1
                                        ; implicit-def: $sgpr10
	s_and_saveexec_b64 s[8:9], s[12:13]
; %bb.2062:
	s_mov_b32 s10, 0x7f800001
	s_xor_b64 s[4:5], exec, -1
; %bb.2063:
	s_or_b64 exec, exec, s[8:9]
	s_and_b64 s[4:5], s[4:5], exec
	s_or_saveexec_b64 s[6:7], s[6:7]
	v_mov_b32_e32 v22, s10
	s_xor_b64 exec, exec, s[6:7]
	s_cbranch_execz .LBB19_14
.LBB19_2064:
	v_mov_b32_e32 v22, 0
	v_cmp_ne_u16_sdwa s[8:9], v21, v22 src0_sel:BYTE_0 src1_sel:DWORD
	s_andn2_b64 s[4:5], s[4:5], exec
	s_and_b64 s[8:9], s[8:9], exec
	s_or_b64 s[4:5], s[4:5], s[8:9]
	s_or_b64 exec, exec, s[6:7]
	s_and_saveexec_b64 s[6:7], s[4:5]
	s_cbranch_execnz .LBB19_15
	s_branch .LBB19_16
.LBB19_2065:
	s_movk_i32 s4, 0x80
	v_cmp_eq_u16_e32 vcc, s4, v21
	s_mov_b64 s[4:5], -1
                                        ; implicit-def: $sgpr10
	s_and_saveexec_b64 s[8:9], vcc
; %bb.2066:
	s_mov_b32 s10, 0x7f800001
	s_xor_b64 s[4:5], exec, -1
; %bb.2067:
	s_or_b64 exec, exec, s[8:9]
	s_and_b64 s[4:5], s[4:5], exec
                                        ; implicit-def: $vgpr21
	s_or_saveexec_b64 s[6:7], s[6:7]
	v_mov_b32_e32 v20, s10
	s_xor_b64 exec, exec, s[6:7]
	s_cbranch_execz .LBB19_18
.LBB19_2068:
	v_cmp_ne_u16_e32 vcc, 0, v21
	s_andn2_b64 s[4:5], s[4:5], exec
	s_and_b64 s[8:9], vcc, exec
	v_mov_b32_e32 v20, 0
	s_or_b64 s[4:5], s[4:5], s[8:9]
	s_or_b64 exec, exec, s[6:7]
	s_and_saveexec_b64 s[6:7], s[4:5]
	s_cbranch_execnz .LBB19_19
	s_branch .LBB19_20
.LBB19_2069:
	s_movk_i32 s4, 0x80
	v_cmp_eq_u16_e32 vcc, s4, v21
	s_mov_b64 s[4:5], -1
                                        ; implicit-def: $sgpr10
	s_and_saveexec_b64 s[8:9], vcc
; %bb.2070:
	s_mov_b32 s10, 0x7f800001
	s_xor_b64 s[4:5], exec, -1
; %bb.2071:
	s_or_b64 exec, exec, s[8:9]
	s_and_b64 s[4:5], s[4:5], exec
                                        ; implicit-def: $vgpr21
	s_or_saveexec_b64 s[6:7], s[6:7]
	v_mov_b32_e32 v22, s10
	s_xor_b64 exec, exec, s[6:7]
	s_cbranch_execz .LBB19_22
.LBB19_2072:
	v_cmp_ne_u16_e32 vcc, 0, v21
	s_andn2_b64 s[4:5], s[4:5], exec
	s_and_b64 s[8:9], vcc, exec
	v_mov_b32_e32 v22, 0
	s_or_b64 s[4:5], s[4:5], s[8:9]
	s_or_b64 exec, exec, s[6:7]
	s_and_saveexec_b64 s[6:7], s[4:5]
	s_cbranch_execnz .LBB19_23
	s_branch .LBB19_24
.LBB19_2073:
	s_movk_i32 s4, 0x80
	v_cmp_eq_u16_sdwa s[12:13], v14, s4 src0_sel:BYTE_3 src1_sel:DWORD
	s_mov_b64 s[4:5], -1
                                        ; implicit-def: $sgpr10
	s_and_saveexec_b64 s[8:9], s[12:13]
; %bb.2074:
	s_mov_b32 s10, 0x7f800001
	s_xor_b64 s[4:5], exec, -1
; %bb.2075:
	s_or_b64 exec, exec, s[8:9]
	s_and_b64 s[4:5], s[4:5], exec
	s_or_saveexec_b64 s[6:7], s[6:7]
	v_mov_b32_e32 v20, s10
	s_xor_b64 exec, exec, s[6:7]
	s_cbranch_execz .LBB19_26
.LBB19_2076:
	v_mov_b32_e32 v20, 0
	v_cmp_ne_u16_sdwa s[8:9], v14, v20 src0_sel:BYTE_3 src1_sel:DWORD
	s_andn2_b64 s[4:5], s[4:5], exec
	s_and_b64 s[8:9], s[8:9], exec
	s_or_b64 s[4:5], s[4:5], s[8:9]
	s_or_b64 exec, exec, s[6:7]
	s_and_saveexec_b64 s[6:7], s[4:5]
	s_cbranch_execnz .LBB19_27
	s_branch .LBB19_28
.LBB19_2077:
	s_movk_i32 s4, 0x80
	v_cmp_eq_u16_sdwa s[12:13], v10, s4 src0_sel:BYTE_3 src1_sel:DWORD
	s_mov_b64 s[4:5], -1
                                        ; implicit-def: $sgpr10
	s_and_saveexec_b64 s[8:9], s[12:13]
; %bb.2078:
	s_mov_b32 s10, 0x7f800001
	s_xor_b64 s[4:5], exec, -1
; %bb.2079:
	s_or_b64 exec, exec, s[8:9]
	s_and_b64 s[4:5], s[4:5], exec
	s_or_saveexec_b64 s[6:7], s[6:7]
	v_mov_b32_e32 v14, s10
	s_xor_b64 exec, exec, s[6:7]
	s_cbranch_execz .LBB19_30
.LBB19_2080:
	v_mov_b32_e32 v14, 0
	v_cmp_ne_u16_sdwa s[8:9], v10, v14 src0_sel:BYTE_3 src1_sel:DWORD
	s_andn2_b64 s[4:5], s[4:5], exec
	s_and_b64 s[8:9], s[8:9], exec
	s_or_b64 s[4:5], s[4:5], s[8:9]
	s_or_b64 exec, exec, s[6:7]
	s_and_saveexec_b64 s[6:7], s[4:5]
	s_cbranch_execnz .LBB19_31
	s_branch .LBB19_32
.LBB19_2081:
	s_movk_i32 s4, 0x80
	v_cmp_eq_u16_sdwa s[12:13], v15, s4 src0_sel:BYTE_0 src1_sel:DWORD
	s_mov_b64 s[4:5], -1
                                        ; implicit-def: $sgpr10
	s_and_saveexec_b64 s[8:9], s[12:13]
; %bb.2082:
	s_mov_b32 s10, 0x7f800001
	s_xor_b64 s[4:5], exec, -1
; %bb.2083:
	s_or_b64 exec, exec, s[8:9]
	s_and_b64 s[4:5], s[4:5], exec
	s_or_saveexec_b64 s[6:7], s[6:7]
	v_mov_b32_e32 v10, s10
	s_xor_b64 exec, exec, s[6:7]
	s_cbranch_execz .LBB19_34
.LBB19_2084:
	v_mov_b32_e32 v10, 0
	v_cmp_ne_u16_sdwa s[8:9], v15, v10 src0_sel:BYTE_0 src1_sel:DWORD
	s_andn2_b64 s[4:5], s[4:5], exec
	s_and_b64 s[8:9], s[8:9], exec
	s_or_b64 s[4:5], s[4:5], s[8:9]
	s_or_b64 exec, exec, s[6:7]
	s_and_saveexec_b64 s[6:7], s[4:5]
	s_cbranch_execnz .LBB19_35
	s_branch .LBB19_36
.LBB19_2085:
	s_movk_i32 s4, 0x80
	v_cmp_eq_u16_sdwa s[12:13], v11, s4 src0_sel:BYTE_0 src1_sel:DWORD
	s_mov_b64 s[4:5], -1
                                        ; implicit-def: $sgpr10
	s_and_saveexec_b64 s[8:9], s[12:13]
; %bb.2086:
	s_mov_b32 s10, 0x7f800001
	s_xor_b64 s[4:5], exec, -1
; %bb.2087:
	s_or_b64 exec, exec, s[8:9]
	s_and_b64 s[4:5], s[4:5], exec
	s_or_saveexec_b64 s[6:7], s[6:7]
	v_mov_b32_e32 v14, s10
	s_xor_b64 exec, exec, s[6:7]
	s_cbranch_execz .LBB19_38
.LBB19_2088:
	v_mov_b32_e32 v14, 0
	v_cmp_ne_u16_sdwa s[8:9], v11, v14 src0_sel:BYTE_0 src1_sel:DWORD
	s_andn2_b64 s[4:5], s[4:5], exec
	s_and_b64 s[8:9], s[8:9], exec
	s_or_b64 s[4:5], s[4:5], s[8:9]
	s_or_b64 exec, exec, s[6:7]
	s_and_saveexec_b64 s[6:7], s[4:5]
	s_cbranch_execnz .LBB19_39
	s_branch .LBB19_40
.LBB19_2089:
	s_movk_i32 s4, 0x80
	v_cmp_eq_u16_sdwa s[12:13], v14, s4 src0_sel:BYTE_0 src1_sel:DWORD
	s_mov_b64 s[4:5], -1
                                        ; implicit-def: $sgpr10
	s_and_saveexec_b64 s[8:9], s[12:13]
; %bb.2090:
	s_mov_b32 s10, 0x7f800001
	s_xor_b64 s[4:5], exec, -1
; %bb.2091:
	s_or_b64 exec, exec, s[8:9]
	s_and_b64 s[4:5], s[4:5], exec
	s_or_saveexec_b64 s[6:7], s[6:7]
	v_mov_b32_e32 v10, s10
	s_xor_b64 exec, exec, s[6:7]
	s_cbranch_execz .LBB19_42
.LBB19_2092:
	v_mov_b32_e32 v10, 0
	v_cmp_ne_u16_sdwa s[8:9], v14, v10 src0_sel:BYTE_0 src1_sel:DWORD
	s_andn2_b64 s[4:5], s[4:5], exec
	s_and_b64 s[8:9], s[8:9], exec
	s_or_b64 s[4:5], s[4:5], s[8:9]
	s_or_b64 exec, exec, s[6:7]
	s_and_saveexec_b64 s[6:7], s[4:5]
	s_cbranch_execnz .LBB19_43
	s_branch .LBB19_44
.LBB19_2093:
	s_movk_i32 s4, 0x80
	v_cmp_eq_u16_sdwa s[12:13], v14, s4 src0_sel:BYTE_0 src1_sel:DWORD
	s_mov_b64 s[4:5], -1
                                        ; implicit-def: $sgpr10
	s_and_saveexec_b64 s[8:9], s[12:13]
; %bb.2094:
	s_mov_b32 s10, 0x7f800001
	s_xor_b64 s[4:5], exec, -1
; %bb.2095:
	s_or_b64 exec, exec, s[8:9]
	s_and_b64 s[4:5], s[4:5], exec
	s_or_saveexec_b64 s[6:7], s[6:7]
	v_mov_b32_e32 v20, s10
	s_xor_b64 exec, exec, s[6:7]
	s_cbranch_execz .LBB19_46
.LBB19_2096:
	v_mov_b32_e32 v20, 0
	v_cmp_ne_u16_sdwa s[8:9], v14, v20 src0_sel:BYTE_0 src1_sel:DWORD
	s_andn2_b64 s[4:5], s[4:5], exec
	s_and_b64 s[8:9], s[8:9], exec
	s_or_b64 s[4:5], s[4:5], s[8:9]
	s_or_b64 exec, exec, s[6:7]
	s_and_saveexec_b64 s[6:7], s[4:5]
	s_cbranch_execnz .LBB19_47
	s_branch .LBB19_48
.LBB19_2097:
	s_movk_i32 s4, 0x80
	v_cmp_eq_u16_e32 vcc, s4, v14
	s_mov_b64 s[4:5], -1
                                        ; implicit-def: $sgpr10
	s_and_saveexec_b64 s[8:9], vcc
; %bb.2098:
	s_mov_b32 s10, 0x7f800001
	s_xor_b64 s[4:5], exec, -1
; %bb.2099:
	s_or_b64 exec, exec, s[8:9]
	s_and_b64 s[4:5], s[4:5], exec
                                        ; implicit-def: $vgpr14
	s_or_saveexec_b64 s[6:7], s[6:7]
	v_mov_b32_e32 v10, s10
	s_xor_b64 exec, exec, s[6:7]
	s_cbranch_execz .LBB19_50
.LBB19_2100:
	v_cmp_ne_u16_e32 vcc, 0, v14
	s_andn2_b64 s[4:5], s[4:5], exec
	s_and_b64 s[8:9], vcc, exec
	v_mov_b32_e32 v10, 0
	s_or_b64 s[4:5], s[4:5], s[8:9]
	s_or_b64 exec, exec, s[6:7]
	s_and_saveexec_b64 s[6:7], s[4:5]
	s_cbranch_execnz .LBB19_51
	s_branch .LBB19_52
.LBB19_2101:
	s_movk_i32 s4, 0x80
	v_cmp_eq_u16_e32 vcc, s4, v14
	s_mov_b64 s[4:5], -1
                                        ; implicit-def: $sgpr10
	s_and_saveexec_b64 s[8:9], vcc
; %bb.2102:
	s_mov_b32 s10, 0x7f800001
	s_xor_b64 s[4:5], exec, -1
; %bb.2103:
	s_or_b64 exec, exec, s[8:9]
	s_and_b64 s[4:5], s[4:5], exec
                                        ; implicit-def: $vgpr14
	s_or_saveexec_b64 s[6:7], s[6:7]
	v_mov_b32_e32 v20, s10
	s_xor_b64 exec, exec, s[6:7]
	s_cbranch_execz .LBB19_54
.LBB19_2104:
	v_cmp_ne_u16_e32 vcc, 0, v14
	s_andn2_b64 s[4:5], s[4:5], exec
	s_and_b64 s[8:9], vcc, exec
	v_mov_b32_e32 v20, 0
	s_or_b64 s[4:5], s[4:5], s[8:9]
	s_or_b64 exec, exec, s[6:7]
	s_and_saveexec_b64 s[6:7], s[4:5]
	s_cbranch_execnz .LBB19_55
	s_branch .LBB19_56
.LBB19_2105:
	s_movk_i32 s4, 0x80
	v_cmp_eq_u16_sdwa s[12:13], v15, s4 src0_sel:BYTE_3 src1_sel:DWORD
	s_mov_b64 s[4:5], -1
                                        ; implicit-def: $sgpr10
	s_and_saveexec_b64 s[8:9], s[12:13]
; %bb.2106:
	s_mov_b32 s10, 0x7f800001
	s_xor_b64 s[4:5], exec, -1
; %bb.2107:
	s_or_b64 exec, exec, s[8:9]
	s_and_b64 s[4:5], s[4:5], exec
	s_or_saveexec_b64 s[6:7], s[6:7]
	v_mov_b32_e32 v10, s10
	s_xor_b64 exec, exec, s[6:7]
	s_cbranch_execz .LBB19_58
.LBB19_2108:
	v_mov_b32_e32 v10, 0
	v_cmp_ne_u16_sdwa s[8:9], v15, v10 src0_sel:BYTE_3 src1_sel:DWORD
	s_andn2_b64 s[4:5], s[4:5], exec
	s_and_b64 s[8:9], s[8:9], exec
	s_or_b64 s[4:5], s[4:5], s[8:9]
	s_or_b64 exec, exec, s[6:7]
	s_and_saveexec_b64 s[6:7], s[4:5]
	s_cbranch_execnz .LBB19_59
	s_branch .LBB19_60
.LBB19_2109:
	s_movk_i32 s4, 0x80
	v_cmp_eq_u16_sdwa s[12:13], v11, s4 src0_sel:BYTE_3 src1_sel:DWORD
	s_mov_b64 s[4:5], -1
                                        ; implicit-def: $sgpr10
	s_and_saveexec_b64 s[8:9], s[12:13]
; %bb.2110:
	s_mov_b32 s10, 0x7f800001
	s_xor_b64 s[4:5], exec, -1
; %bb.2111:
	s_or_b64 exec, exec, s[8:9]
	s_and_b64 s[4:5], s[4:5], exec
	s_or_saveexec_b64 s[6:7], s[6:7]
	v_mov_b32_e32 v14, s10
	s_xor_b64 exec, exec, s[6:7]
	s_cbranch_execz .LBB19_62
.LBB19_2112:
	v_mov_b32_e32 v14, 0
	v_cmp_ne_u16_sdwa s[8:9], v11, v14 src0_sel:BYTE_3 src1_sel:DWORD
	s_andn2_b64 s[4:5], s[4:5], exec
	s_and_b64 s[8:9], s[8:9], exec
	s_or_b64 s[4:5], s[4:5], s[8:9]
	s_or_b64 exec, exec, s[6:7]
	s_and_saveexec_b64 s[6:7], s[4:5]
	s_cbranch_execnz .LBB19_63
	s_branch .LBB19_64
.LBB19_2113:
	s_movk_i32 s4, 0x80
	v_cmp_eq_u16_sdwa s[12:13], v16, s4 src0_sel:BYTE_0 src1_sel:DWORD
	s_mov_b64 s[4:5], -1
                                        ; implicit-def: $sgpr10
	s_and_saveexec_b64 s[8:9], s[12:13]
; %bb.2114:
	s_mov_b32 s10, 0x7f800001
	s_xor_b64 s[4:5], exec, -1
; %bb.2115:
	s_or_b64 exec, exec, s[8:9]
	s_and_b64 s[4:5], s[4:5], exec
	s_or_saveexec_b64 s[6:7], s[6:7]
	v_mov_b32_e32 v10, s10
	s_xor_b64 exec, exec, s[6:7]
	s_cbranch_execz .LBB19_66
.LBB19_2116:
	v_mov_b32_e32 v10, 0
	v_cmp_ne_u16_sdwa s[8:9], v16, v10 src0_sel:BYTE_0 src1_sel:DWORD
	s_andn2_b64 s[4:5], s[4:5], exec
	s_and_b64 s[8:9], s[8:9], exec
	s_or_b64 s[4:5], s[4:5], s[8:9]
	s_or_b64 exec, exec, s[6:7]
	s_and_saveexec_b64 s[6:7], s[4:5]
	s_cbranch_execnz .LBB19_67
	s_branch .LBB19_68
.LBB19_2117:
	s_movk_i32 s4, 0x80
	v_cmp_eq_u16_sdwa s[12:13], v12, s4 src0_sel:BYTE_0 src1_sel:DWORD
	s_mov_b64 s[4:5], -1
                                        ; implicit-def: $sgpr10
	s_and_saveexec_b64 s[8:9], s[12:13]
; %bb.2118:
	s_mov_b32 s10, 0x7f800001
	s_xor_b64 s[4:5], exec, -1
; %bb.2119:
	s_or_b64 exec, exec, s[8:9]
	s_and_b64 s[4:5], s[4:5], exec
	s_or_saveexec_b64 s[6:7], s[6:7]
	v_mov_b32_e32 v11, s10
	s_xor_b64 exec, exec, s[6:7]
	s_cbranch_execz .LBB19_70
.LBB19_2120:
	v_mov_b32_e32 v11, 0
	v_cmp_ne_u16_sdwa s[8:9], v12, v11 src0_sel:BYTE_0 src1_sel:DWORD
	s_andn2_b64 s[4:5], s[4:5], exec
	s_and_b64 s[8:9], s[8:9], exec
	s_or_b64 s[4:5], s[4:5], s[8:9]
	s_or_b64 exec, exec, s[6:7]
	s_and_saveexec_b64 s[6:7], s[4:5]
	s_cbranch_execnz .LBB19_71
	s_branch .LBB19_72
.LBB19_2121:
	s_movk_i32 s4, 0x80
	v_cmp_eq_u16_sdwa s[12:13], v11, s4 src0_sel:BYTE_0 src1_sel:DWORD
	s_mov_b64 s[4:5], -1
                                        ; implicit-def: $sgpr10
	s_and_saveexec_b64 s[8:9], s[12:13]
; %bb.2122:
	s_mov_b32 s10, 0x7f800001
	s_xor_b64 s[4:5], exec, -1
; %bb.2123:
	s_or_b64 exec, exec, s[8:9]
	s_and_b64 s[4:5], s[4:5], exec
	s_or_saveexec_b64 s[6:7], s[6:7]
	v_mov_b32_e32 v10, s10
	s_xor_b64 exec, exec, s[6:7]
	s_cbranch_execz .LBB19_74
.LBB19_2124:
	v_mov_b32_e32 v10, 0
	v_cmp_ne_u16_sdwa s[8:9], v11, v10 src0_sel:BYTE_0 src1_sel:DWORD
	s_andn2_b64 s[4:5], s[4:5], exec
	s_and_b64 s[8:9], s[8:9], exec
	s_or_b64 s[4:5], s[4:5], s[8:9]
	s_or_b64 exec, exec, s[6:7]
	s_and_saveexec_b64 s[6:7], s[4:5]
	s_cbranch_execnz .LBB19_75
	s_branch .LBB19_76
.LBB19_2125:
	s_movk_i32 s4, 0x80
	v_cmp_eq_u16_sdwa s[12:13], v11, s4 src0_sel:BYTE_0 src1_sel:DWORD
	s_mov_b64 s[4:5], -1
                                        ; implicit-def: $sgpr10
	s_and_saveexec_b64 s[8:9], s[12:13]
; %bb.2126:
	s_mov_b32 s10, 0x7f800001
	s_xor_b64 s[4:5], exec, -1
; %bb.2127:
	s_or_b64 exec, exec, s[8:9]
	s_and_b64 s[4:5], s[4:5], exec
	s_or_saveexec_b64 s[6:7], s[6:7]
	v_mov_b32_e32 v14, s10
	s_xor_b64 exec, exec, s[6:7]
	s_cbranch_execz .LBB19_78
.LBB19_2128:
	v_mov_b32_e32 v14, 0
	v_cmp_ne_u16_sdwa s[8:9], v11, v14 src0_sel:BYTE_0 src1_sel:DWORD
	s_andn2_b64 s[4:5], s[4:5], exec
	s_and_b64 s[8:9], s[8:9], exec
	s_or_b64 s[4:5], s[4:5], s[8:9]
	s_or_b64 exec, exec, s[6:7]
	s_and_saveexec_b64 s[6:7], s[4:5]
	s_cbranch_execnz .LBB19_79
	s_branch .LBB19_80
.LBB19_2129:
	s_movk_i32 s4, 0x80
	v_cmp_eq_u16_e32 vcc, s4, v11
	s_mov_b64 s[4:5], -1
                                        ; implicit-def: $sgpr10
	s_and_saveexec_b64 s[8:9], vcc
; %bb.2130:
	s_mov_b32 s10, 0x7f800001
	s_xor_b64 s[4:5], exec, -1
; %bb.2131:
	s_or_b64 exec, exec, s[8:9]
	s_and_b64 s[4:5], s[4:5], exec
                                        ; implicit-def: $vgpr11
	s_or_saveexec_b64 s[6:7], s[6:7]
	v_mov_b32_e32 v10, s10
	s_xor_b64 exec, exec, s[6:7]
	s_cbranch_execz .LBB19_82
.LBB19_2132:
	v_cmp_ne_u16_e32 vcc, 0, v11
	s_andn2_b64 s[4:5], s[4:5], exec
	s_and_b64 s[8:9], vcc, exec
	v_mov_b32_e32 v10, 0
	s_or_b64 s[4:5], s[4:5], s[8:9]
	s_or_b64 exec, exec, s[6:7]
	s_and_saveexec_b64 s[6:7], s[4:5]
	s_cbranch_execnz .LBB19_83
	s_branch .LBB19_84
.LBB19_2133:
	s_movk_i32 s4, 0x80
	v_cmp_eq_u16_e32 vcc, s4, v11
	s_mov_b64 s[4:5], -1
                                        ; implicit-def: $sgpr10
	s_and_saveexec_b64 s[8:9], vcc
; %bb.2134:
	s_mov_b32 s10, 0x7f800001
	s_xor_b64 s[4:5], exec, -1
; %bb.2135:
	s_or_b64 exec, exec, s[8:9]
	s_and_b64 s[4:5], s[4:5], exec
                                        ; implicit-def: $vgpr11
	s_or_saveexec_b64 s[6:7], s[6:7]
	v_mov_b32_e32 v14, s10
	s_xor_b64 exec, exec, s[6:7]
	s_cbranch_execz .LBB19_86
.LBB19_2136:
	v_cmp_ne_u16_e32 vcc, 0, v11
	s_andn2_b64 s[4:5], s[4:5], exec
	s_and_b64 s[8:9], vcc, exec
	v_mov_b32_e32 v14, 0
	s_or_b64 s[4:5], s[4:5], s[8:9]
	s_or_b64 exec, exec, s[6:7]
	s_and_saveexec_b64 s[6:7], s[4:5]
	s_cbranch_execnz .LBB19_87
	s_branch .LBB19_88
.LBB19_2137:
	s_movk_i32 s4, 0x80
	v_cmp_eq_u16_sdwa s[12:13], v16, s4 src0_sel:BYTE_3 src1_sel:DWORD
	s_mov_b64 s[4:5], -1
                                        ; implicit-def: $sgpr10
	s_and_saveexec_b64 s[8:9], s[12:13]
; %bb.2138:
	s_mov_b32 s10, 0x7f800001
	s_xor_b64 s[4:5], exec, -1
; %bb.2139:
	s_or_b64 exec, exec, s[8:9]
	s_and_b64 s[4:5], s[4:5], exec
	s_or_saveexec_b64 s[6:7], s[6:7]
	v_mov_b32_e32 v10, s10
	s_xor_b64 exec, exec, s[6:7]
	s_cbranch_execz .LBB19_90
.LBB19_2140:
	v_mov_b32_e32 v10, 0
	v_cmp_ne_u16_sdwa s[8:9], v16, v10 src0_sel:BYTE_3 src1_sel:DWORD
	s_andn2_b64 s[4:5], s[4:5], exec
	s_and_b64 s[8:9], s[8:9], exec
	s_or_b64 s[4:5], s[4:5], s[8:9]
	s_or_b64 exec, exec, s[6:7]
	s_and_saveexec_b64 s[6:7], s[4:5]
	s_cbranch_execnz .LBB19_91
	s_branch .LBB19_92
.LBB19_2141:
	s_movk_i32 s4, 0x80
	v_cmp_eq_u16_sdwa s[12:13], v12, s4 src0_sel:BYTE_3 src1_sel:DWORD
	s_mov_b64 s[4:5], -1
                                        ; implicit-def: $sgpr10
	s_and_saveexec_b64 s[8:9], s[12:13]
; %bb.2142:
	s_mov_b32 s10, 0x7f800001
	s_xor_b64 s[4:5], exec, -1
; %bb.2143:
	s_or_b64 exec, exec, s[8:9]
	s_and_b64 s[4:5], s[4:5], exec
	s_or_saveexec_b64 s[6:7], s[6:7]
	v_mov_b32_e32 v11, s10
	s_xor_b64 exec, exec, s[6:7]
	s_cbranch_execz .LBB19_94
.LBB19_2144:
	v_mov_b32_e32 v11, 0
	v_cmp_ne_u16_sdwa s[8:9], v12, v11 src0_sel:BYTE_3 src1_sel:DWORD
	s_andn2_b64 s[4:5], s[4:5], exec
	s_and_b64 s[8:9], s[8:9], exec
	s_or_b64 s[4:5], s[4:5], s[8:9]
	s_or_b64 exec, exec, s[6:7]
	s_and_saveexec_b64 s[6:7], s[4:5]
	s_cbranch_execnz .LBB19_95
	s_branch .LBB19_96
.LBB19_2145:
	s_movk_i32 s4, 0x80
	v_cmp_eq_u16_sdwa s[12:13], v17, s4 src0_sel:BYTE_0 src1_sel:DWORD
	s_mov_b64 s[4:5], -1
                                        ; implicit-def: $sgpr10
	s_and_saveexec_b64 s[8:9], s[12:13]
; %bb.2146:
	s_mov_b32 s10, 0x7f800001
	s_xor_b64 s[4:5], exec, -1
; %bb.2147:
	s_or_b64 exec, exec, s[8:9]
	s_and_b64 s[4:5], s[4:5], exec
	s_or_saveexec_b64 s[6:7], s[6:7]
	v_mov_b32_e32 v10, s10
	s_xor_b64 exec, exec, s[6:7]
	s_cbranch_execz .LBB19_98
.LBB19_2148:
	v_mov_b32_e32 v10, 0
	v_cmp_ne_u16_sdwa s[8:9], v17, v10 src0_sel:BYTE_0 src1_sel:DWORD
	s_andn2_b64 s[4:5], s[4:5], exec
	s_and_b64 s[8:9], s[8:9], exec
	s_or_b64 s[4:5], s[4:5], s[8:9]
	s_or_b64 exec, exec, s[6:7]
	s_and_saveexec_b64 s[6:7], s[4:5]
	s_cbranch_execnz .LBB19_99
	s_branch .LBB19_100
.LBB19_2149:
	s_movk_i32 s4, 0x80
	v_cmp_eq_u16_sdwa s[12:13], v13, s4 src0_sel:BYTE_0 src1_sel:DWORD
	s_mov_b64 s[4:5], -1
                                        ; implicit-def: $sgpr10
	s_and_saveexec_b64 s[8:9], s[12:13]
; %bb.2150:
	s_mov_b32 s10, 0x7f800001
	s_xor_b64 s[4:5], exec, -1
; %bb.2151:
	s_or_b64 exec, exec, s[8:9]
	s_and_b64 s[4:5], s[4:5], exec
	s_or_saveexec_b64 s[6:7], s[6:7]
	v_mov_b32_e32 v11, s10
	s_xor_b64 exec, exec, s[6:7]
	s_cbranch_execz .LBB19_102
.LBB19_2152:
	v_mov_b32_e32 v11, 0
	v_cmp_ne_u16_sdwa s[8:9], v13, v11 src0_sel:BYTE_0 src1_sel:DWORD
	s_andn2_b64 s[4:5], s[4:5], exec
	s_and_b64 s[8:9], s[8:9], exec
	s_or_b64 s[4:5], s[4:5], s[8:9]
	s_or_b64 exec, exec, s[6:7]
	s_and_saveexec_b64 s[6:7], s[4:5]
	s_cbranch_execnz .LBB19_103
	s_branch .LBB19_104
.LBB19_2153:
	s_movk_i32 s4, 0x80
	v_cmp_eq_u16_sdwa s[12:13], v11, s4 src0_sel:BYTE_0 src1_sel:DWORD
	s_mov_b64 s[4:5], -1
                                        ; implicit-def: $sgpr10
	s_and_saveexec_b64 s[8:9], s[12:13]
; %bb.2154:
	s_mov_b32 s10, 0x7f800001
	s_xor_b64 s[4:5], exec, -1
; %bb.2155:
	s_or_b64 exec, exec, s[8:9]
	s_and_b64 s[4:5], s[4:5], exec
	s_or_saveexec_b64 s[6:7], s[6:7]
	v_mov_b32_e32 v10, s10
	s_xor_b64 exec, exec, s[6:7]
	s_cbranch_execz .LBB19_106
.LBB19_2156:
	v_mov_b32_e32 v10, 0
	v_cmp_ne_u16_sdwa s[8:9], v11, v10 src0_sel:BYTE_0 src1_sel:DWORD
	s_andn2_b64 s[4:5], s[4:5], exec
	s_and_b64 s[8:9], s[8:9], exec
	s_or_b64 s[4:5], s[4:5], s[8:9]
	s_or_b64 exec, exec, s[6:7]
	s_and_saveexec_b64 s[6:7], s[4:5]
	s_cbranch_execnz .LBB19_107
	s_branch .LBB19_108
.LBB19_2157:
	s_movk_i32 s4, 0x80
	v_cmp_eq_u16_sdwa s[12:13], v11, s4 src0_sel:BYTE_0 src1_sel:DWORD
	s_mov_b64 s[4:5], -1
                                        ; implicit-def: $sgpr10
	s_and_saveexec_b64 s[8:9], s[12:13]
; %bb.2158:
	s_mov_b32 s10, 0x7f800001
	s_xor_b64 s[4:5], exec, -1
; %bb.2159:
	s_or_b64 exec, exec, s[8:9]
	s_and_b64 s[4:5], s[4:5], exec
	s_or_saveexec_b64 s[6:7], s[6:7]
	v_mov_b32_e32 v12, s10
	s_xor_b64 exec, exec, s[6:7]
	s_cbranch_execz .LBB19_110
.LBB19_2160:
	v_mov_b32_e32 v12, 0
	v_cmp_ne_u16_sdwa s[8:9], v11, v12 src0_sel:BYTE_0 src1_sel:DWORD
	s_andn2_b64 s[4:5], s[4:5], exec
	s_and_b64 s[8:9], s[8:9], exec
	s_or_b64 s[4:5], s[4:5], s[8:9]
	s_or_b64 exec, exec, s[6:7]
	s_and_saveexec_b64 s[6:7], s[4:5]
	s_cbranch_execnz .LBB19_111
	s_branch .LBB19_112
.LBB19_2161:
	s_movk_i32 s4, 0x80
	v_cmp_eq_u16_e32 vcc, s4, v11
	s_mov_b64 s[4:5], -1
                                        ; implicit-def: $sgpr10
	s_and_saveexec_b64 s[8:9], vcc
; %bb.2162:
	s_mov_b32 s10, 0x7f800001
	s_xor_b64 s[4:5], exec, -1
; %bb.2163:
	s_or_b64 exec, exec, s[8:9]
	s_and_b64 s[4:5], s[4:5], exec
                                        ; implicit-def: $vgpr11
	s_or_saveexec_b64 s[6:7], s[6:7]
	v_mov_b32_e32 v10, s10
	s_xor_b64 exec, exec, s[6:7]
	s_cbranch_execz .LBB19_114
.LBB19_2164:
	v_cmp_ne_u16_e32 vcc, 0, v11
	s_andn2_b64 s[4:5], s[4:5], exec
	s_and_b64 s[8:9], vcc, exec
	v_mov_b32_e32 v10, 0
	s_or_b64 s[4:5], s[4:5], s[8:9]
	s_or_b64 exec, exec, s[6:7]
	s_and_saveexec_b64 s[6:7], s[4:5]
	s_cbranch_execnz .LBB19_115
	s_branch .LBB19_116
.LBB19_2165:
	s_movk_i32 s4, 0x80
	v_cmp_eq_u16_e32 vcc, s4, v11
	s_mov_b64 s[4:5], -1
                                        ; implicit-def: $sgpr10
	s_and_saveexec_b64 s[8:9], vcc
; %bb.2166:
	s_mov_b32 s10, 0x7f800001
	s_xor_b64 s[4:5], exec, -1
; %bb.2167:
	s_or_b64 exec, exec, s[8:9]
	s_and_b64 s[4:5], s[4:5], exec
                                        ; implicit-def: $vgpr11
	s_or_saveexec_b64 s[6:7], s[6:7]
	v_mov_b32_e32 v12, s10
	s_xor_b64 exec, exec, s[6:7]
	s_cbranch_execz .LBB19_118
.LBB19_2168:
	v_cmp_ne_u16_e32 vcc, 0, v11
	s_andn2_b64 s[4:5], s[4:5], exec
	s_and_b64 s[8:9], vcc, exec
	v_mov_b32_e32 v12, 0
	s_or_b64 s[4:5], s[4:5], s[8:9]
	s_or_b64 exec, exec, s[6:7]
	s_and_saveexec_b64 s[6:7], s[4:5]
	s_cbranch_execnz .LBB19_119
	s_branch .LBB19_120
.LBB19_2169:
	s_movk_i32 s4, 0x80
	v_cmp_eq_u16_sdwa s[12:13], v17, s4 src0_sel:BYTE_3 src1_sel:DWORD
	s_mov_b64 s[4:5], -1
                                        ; implicit-def: $sgpr10
	s_and_saveexec_b64 s[8:9], s[12:13]
; %bb.2170:
	s_mov_b32 s10, 0x7f800001
	s_xor_b64 s[4:5], exec, -1
; %bb.2171:
	s_or_b64 exec, exec, s[8:9]
	s_and_b64 s[4:5], s[4:5], exec
	s_or_saveexec_b64 s[6:7], s[6:7]
	v_mov_b32_e32 v10, s10
	s_xor_b64 exec, exec, s[6:7]
	s_cbranch_execz .LBB19_122
.LBB19_2172:
	v_mov_b32_e32 v10, 0
	v_cmp_ne_u16_sdwa s[8:9], v17, v10 src0_sel:BYTE_3 src1_sel:DWORD
	s_andn2_b64 s[4:5], s[4:5], exec
	s_and_b64 s[8:9], s[8:9], exec
	s_or_b64 s[4:5], s[4:5], s[8:9]
	s_or_b64 exec, exec, s[6:7]
	s_and_saveexec_b64 s[6:7], s[4:5]
	s_cbranch_execnz .LBB19_123
	s_branch .LBB19_124
.LBB19_2173:
	s_movk_i32 s4, 0x80
	v_cmp_eq_u16_sdwa s[12:13], v13, s4 src0_sel:BYTE_3 src1_sel:DWORD
	s_mov_b64 s[4:5], -1
                                        ; implicit-def: $sgpr10
	s_and_saveexec_b64 s[8:9], s[12:13]
; %bb.2174:
	s_mov_b32 s10, 0x7f800001
	s_xor_b64 s[4:5], exec, -1
; %bb.2175:
	s_or_b64 exec, exec, s[8:9]
	s_and_b64 s[4:5], s[4:5], exec
	s_or_saveexec_b64 s[6:7], s[6:7]
	v_mov_b32_e32 v11, s10
	s_xor_b64 exec, exec, s[6:7]
	s_cbranch_execz .LBB19_126
.LBB19_2176:
	v_mov_b32_e32 v11, 0
	v_cmp_ne_u16_sdwa s[8:9], v13, v11 src0_sel:BYTE_3 src1_sel:DWORD
	s_andn2_b64 s[4:5], s[4:5], exec
	s_and_b64 s[8:9], s[8:9], exec
	s_or_b64 s[4:5], s[4:5], s[8:9]
	s_or_b64 exec, exec, s[6:7]
	s_and_saveexec_b64 s[6:7], s[4:5]
	s_cbranch_execnz .LBB19_127
	s_branch .LBB19_128
.LBB19_2177:
	s_movk_i32 s4, 0x80
	v_cmp_eq_u16_sdwa s[12:13], v6, s4 src0_sel:BYTE_0 src1_sel:DWORD
	s_mov_b64 s[4:5], -1
                                        ; implicit-def: $sgpr10
	s_and_saveexec_b64 s[8:9], s[12:13]
; %bb.2178:
	s_mov_b32 s10, 0x7f800001
	s_xor_b64 s[4:5], exec, -1
; %bb.2179:
	s_or_b64 exec, exec, s[8:9]
	s_and_b64 s[4:5], s[4:5], exec
	s_or_saveexec_b64 s[6:7], s[6:7]
	v_mov_b32_e32 v10, s10
	s_xor_b64 exec, exec, s[6:7]
	s_cbranch_execz .LBB19_130
.LBB19_2180:
	v_mov_b32_e32 v10, 0
	v_cmp_ne_u16_sdwa s[8:9], v6, v10 src0_sel:BYTE_0 src1_sel:DWORD
	s_andn2_b64 s[4:5], s[4:5], exec
	s_and_b64 s[8:9], s[8:9], exec
	s_or_b64 s[4:5], s[4:5], s[8:9]
	s_or_b64 exec, exec, s[6:7]
	s_and_saveexec_b64 s[6:7], s[4:5]
	s_cbranch_execnz .LBB19_131
	s_branch .LBB19_132
.LBB19_2181:
	s_movk_i32 s4, 0x80
	v_cmp_eq_u16_sdwa s[12:13], v2, s4 src0_sel:BYTE_0 src1_sel:DWORD
	s_mov_b64 s[4:5], -1
                                        ; implicit-def: $sgpr10
	s_and_saveexec_b64 s[8:9], s[12:13]
; %bb.2182:
	s_mov_b32 s10, 0x7f800001
	s_xor_b64 s[4:5], exec, -1
; %bb.2183:
	s_or_b64 exec, exec, s[8:9]
	s_and_b64 s[4:5], s[4:5], exec
	s_or_saveexec_b64 s[6:7], s[6:7]
	v_mov_b32_e32 v11, s10
	s_xor_b64 exec, exec, s[6:7]
	s_cbranch_execz .LBB19_134
.LBB19_2184:
	v_mov_b32_e32 v11, 0
	v_cmp_ne_u16_sdwa s[8:9], v2, v11 src0_sel:BYTE_0 src1_sel:DWORD
	s_andn2_b64 s[4:5], s[4:5], exec
	s_and_b64 s[8:9], s[8:9], exec
	s_or_b64 s[4:5], s[4:5], s[8:9]
	s_or_b64 exec, exec, s[6:7]
	s_and_saveexec_b64 s[6:7], s[4:5]
	s_cbranch_execnz .LBB19_135
	s_branch .LBB19_136
.LBB19_2185:
	s_movk_i32 s4, 0x80
	v_cmp_eq_u16_sdwa s[12:13], v11, s4 src0_sel:BYTE_0 src1_sel:DWORD
	s_mov_b64 s[4:5], -1
                                        ; implicit-def: $sgpr10
	s_and_saveexec_b64 s[8:9], s[12:13]
; %bb.2186:
	s_mov_b32 s10, 0x7f800001
	s_xor_b64 s[4:5], exec, -1
; %bb.2187:
	s_or_b64 exec, exec, s[8:9]
	s_and_b64 s[4:5], s[4:5], exec
	s_or_saveexec_b64 s[6:7], s[6:7]
	v_mov_b32_e32 v10, s10
	s_xor_b64 exec, exec, s[6:7]
	s_cbranch_execz .LBB19_138
.LBB19_2188:
	v_mov_b32_e32 v10, 0
	v_cmp_ne_u16_sdwa s[8:9], v11, v10 src0_sel:BYTE_0 src1_sel:DWORD
	s_andn2_b64 s[4:5], s[4:5], exec
	s_and_b64 s[8:9], s[8:9], exec
	s_or_b64 s[4:5], s[4:5], s[8:9]
	s_or_b64 exec, exec, s[6:7]
	s_and_saveexec_b64 s[6:7], s[4:5]
	s_cbranch_execnz .LBB19_139
	s_branch .LBB19_140
.LBB19_2189:
	s_movk_i32 s4, 0x80
	v_cmp_eq_u16_sdwa s[12:13], v11, s4 src0_sel:BYTE_0 src1_sel:DWORD
	s_mov_b64 s[4:5], -1
                                        ; implicit-def: $sgpr10
	s_and_saveexec_b64 s[8:9], s[12:13]
; %bb.2190:
	s_mov_b32 s10, 0x7f800001
	s_xor_b64 s[4:5], exec, -1
; %bb.2191:
	s_or_b64 exec, exec, s[8:9]
	s_and_b64 s[4:5], s[4:5], exec
	s_or_saveexec_b64 s[6:7], s[6:7]
	v_mov_b32_e32 v12, s10
	s_xor_b64 exec, exec, s[6:7]
	s_cbranch_execz .LBB19_142
.LBB19_2192:
	v_mov_b32_e32 v12, 0
	v_cmp_ne_u16_sdwa s[8:9], v11, v12 src0_sel:BYTE_0 src1_sel:DWORD
	s_andn2_b64 s[4:5], s[4:5], exec
	s_and_b64 s[8:9], s[8:9], exec
	s_or_b64 s[4:5], s[4:5], s[8:9]
	s_or_b64 exec, exec, s[6:7]
	s_and_saveexec_b64 s[6:7], s[4:5]
	s_cbranch_execnz .LBB19_143
	s_branch .LBB19_144
.LBB19_2193:
	s_movk_i32 s4, 0x80
	v_cmp_eq_u16_e32 vcc, s4, v11
	s_mov_b64 s[4:5], -1
                                        ; implicit-def: $sgpr10
	s_and_saveexec_b64 s[8:9], vcc
; %bb.2194:
	s_mov_b32 s10, 0x7f800001
	s_xor_b64 s[4:5], exec, -1
; %bb.2195:
	s_or_b64 exec, exec, s[8:9]
	s_and_b64 s[4:5], s[4:5], exec
                                        ; implicit-def: $vgpr11
	s_or_saveexec_b64 s[6:7], s[6:7]
	v_mov_b32_e32 v10, s10
	s_xor_b64 exec, exec, s[6:7]
	s_cbranch_execz .LBB19_146
.LBB19_2196:
	v_cmp_ne_u16_e32 vcc, 0, v11
	s_andn2_b64 s[4:5], s[4:5], exec
	s_and_b64 s[8:9], vcc, exec
	v_mov_b32_e32 v10, 0
	s_or_b64 s[4:5], s[4:5], s[8:9]
	s_or_b64 exec, exec, s[6:7]
	s_and_saveexec_b64 s[6:7], s[4:5]
	s_cbranch_execnz .LBB19_147
	s_branch .LBB19_148
.LBB19_2197:
	s_movk_i32 s4, 0x80
	v_cmp_eq_u16_e32 vcc, s4, v11
	s_mov_b64 s[4:5], -1
                                        ; implicit-def: $sgpr10
	s_and_saveexec_b64 s[8:9], vcc
; %bb.2198:
	s_mov_b32 s10, 0x7f800001
	s_xor_b64 s[4:5], exec, -1
; %bb.2199:
	s_or_b64 exec, exec, s[8:9]
	s_and_b64 s[4:5], s[4:5], exec
                                        ; implicit-def: $vgpr11
	s_or_saveexec_b64 s[6:7], s[6:7]
	v_mov_b32_e32 v12, s10
	s_xor_b64 exec, exec, s[6:7]
	s_cbranch_execz .LBB19_150
.LBB19_2200:
	v_cmp_ne_u16_e32 vcc, 0, v11
	s_andn2_b64 s[4:5], s[4:5], exec
	s_and_b64 s[8:9], vcc, exec
	v_mov_b32_e32 v12, 0
	s_or_b64 s[4:5], s[4:5], s[8:9]
	s_or_b64 exec, exec, s[6:7]
	s_and_saveexec_b64 s[6:7], s[4:5]
	s_cbranch_execnz .LBB19_151
	s_branch .LBB19_152
.LBB19_2201:
	s_movk_i32 s4, 0x80
	v_cmp_eq_u16_sdwa s[12:13], v6, s4 src0_sel:BYTE_3 src1_sel:DWORD
	s_mov_b64 s[4:5], -1
                                        ; implicit-def: $sgpr10
	s_and_saveexec_b64 s[8:9], s[12:13]
; %bb.2202:
	s_mov_b32 s10, 0x7f800001
	s_xor_b64 s[4:5], exec, -1
; %bb.2203:
	s_or_b64 exec, exec, s[8:9]
	s_and_b64 s[4:5], s[4:5], exec
	s_or_saveexec_b64 s[6:7], s[6:7]
	v_mov_b32_e32 v10, s10
	s_xor_b64 exec, exec, s[6:7]
	s_cbranch_execz .LBB19_154
.LBB19_2204:
	v_mov_b32_e32 v10, 0
	v_cmp_ne_u16_sdwa s[8:9], v6, v10 src0_sel:BYTE_3 src1_sel:DWORD
	s_andn2_b64 s[4:5], s[4:5], exec
	s_and_b64 s[8:9], s[8:9], exec
	s_or_b64 s[4:5], s[4:5], s[8:9]
	s_or_b64 exec, exec, s[6:7]
	s_and_saveexec_b64 s[6:7], s[4:5]
	s_cbranch_execnz .LBB19_155
	s_branch .LBB19_156
.LBB19_2205:
	s_movk_i32 s4, 0x80
	v_cmp_eq_u16_sdwa s[12:13], v2, s4 src0_sel:BYTE_3 src1_sel:DWORD
	s_mov_b64 s[4:5], -1
                                        ; implicit-def: $sgpr10
	s_and_saveexec_b64 s[8:9], s[12:13]
; %bb.2206:
	s_mov_b32 s10, 0x7f800001
	s_xor_b64 s[4:5], exec, -1
; %bb.2207:
	s_or_b64 exec, exec, s[8:9]
	s_and_b64 s[4:5], s[4:5], exec
	s_or_saveexec_b64 s[6:7], s[6:7]
	v_mov_b32_e32 v6, s10
	s_xor_b64 exec, exec, s[6:7]
	s_cbranch_execz .LBB19_158
.LBB19_2208:
	v_mov_b32_e32 v6, 0
	v_cmp_ne_u16_sdwa s[8:9], v2, v6 src0_sel:BYTE_3 src1_sel:DWORD
	s_andn2_b64 s[4:5], s[4:5], exec
	s_and_b64 s[8:9], s[8:9], exec
	s_or_b64 s[4:5], s[4:5], s[8:9]
	s_or_b64 exec, exec, s[6:7]
	s_and_saveexec_b64 s[6:7], s[4:5]
	s_cbranch_execnz .LBB19_159
	s_branch .LBB19_160
.LBB19_2209:
	s_movk_i32 s4, 0x80
	v_cmp_eq_u16_sdwa s[12:13], v7, s4 src0_sel:BYTE_0 src1_sel:DWORD
	s_mov_b64 s[4:5], -1
                                        ; implicit-def: $sgpr10
	s_and_saveexec_b64 s[8:9], s[12:13]
; %bb.2210:
	s_mov_b32 s10, 0x7f800001
	s_xor_b64 s[4:5], exec, -1
; %bb.2211:
	s_or_b64 exec, exec, s[8:9]
	s_and_b64 s[4:5], s[4:5], exec
	s_or_saveexec_b64 s[6:7], s[6:7]
	v_mov_b32_e32 v2, s10
	s_xor_b64 exec, exec, s[6:7]
	s_cbranch_execz .LBB19_162
.LBB19_2212:
	v_mov_b32_e32 v2, 0
	v_cmp_ne_u16_sdwa s[8:9], v7, v2 src0_sel:BYTE_0 src1_sel:DWORD
	s_andn2_b64 s[4:5], s[4:5], exec
	s_and_b64 s[8:9], s[8:9], exec
	s_or_b64 s[4:5], s[4:5], s[8:9]
	s_or_b64 exec, exec, s[6:7]
	s_and_saveexec_b64 s[6:7], s[4:5]
	s_cbranch_execnz .LBB19_163
	s_branch .LBB19_164
.LBB19_2213:
	s_movk_i32 s4, 0x80
	v_cmp_eq_u16_sdwa s[12:13], v3, s4 src0_sel:BYTE_0 src1_sel:DWORD
	s_mov_b64 s[4:5], -1
                                        ; implicit-def: $sgpr10
	s_and_saveexec_b64 s[8:9], s[12:13]
; %bb.2214:
	s_mov_b32 s10, 0x7f800001
	s_xor_b64 s[4:5], exec, -1
; %bb.2215:
	s_or_b64 exec, exec, s[8:9]
	s_and_b64 s[4:5], s[4:5], exec
	s_or_saveexec_b64 s[6:7], s[6:7]
	v_mov_b32_e32 v6, s10
	s_xor_b64 exec, exec, s[6:7]
	s_cbranch_execz .LBB19_166
.LBB19_2216:
	v_mov_b32_e32 v6, 0
	v_cmp_ne_u16_sdwa s[8:9], v3, v6 src0_sel:BYTE_0 src1_sel:DWORD
	s_andn2_b64 s[4:5], s[4:5], exec
	s_and_b64 s[8:9], s[8:9], exec
	s_or_b64 s[4:5], s[4:5], s[8:9]
	s_or_b64 exec, exec, s[6:7]
	s_and_saveexec_b64 s[6:7], s[4:5]
	s_cbranch_execnz .LBB19_167
	s_branch .LBB19_168
.LBB19_2217:
	s_movk_i32 s4, 0x80
	v_cmp_eq_u16_sdwa s[12:13], v6, s4 src0_sel:BYTE_0 src1_sel:DWORD
	s_mov_b64 s[4:5], -1
                                        ; implicit-def: $sgpr10
	s_and_saveexec_b64 s[8:9], s[12:13]
; %bb.2218:
	s_mov_b32 s10, 0x7f800001
	s_xor_b64 s[4:5], exec, -1
; %bb.2219:
	s_or_b64 exec, exec, s[8:9]
	s_and_b64 s[4:5], s[4:5], exec
	s_or_saveexec_b64 s[6:7], s[6:7]
	v_mov_b32_e32 v2, s10
	s_xor_b64 exec, exec, s[6:7]
	s_cbranch_execz .LBB19_170
.LBB19_2220:
	v_mov_b32_e32 v2, 0
	v_cmp_ne_u16_sdwa s[8:9], v6, v2 src0_sel:BYTE_0 src1_sel:DWORD
	s_andn2_b64 s[4:5], s[4:5], exec
	s_and_b64 s[8:9], s[8:9], exec
	s_or_b64 s[4:5], s[4:5], s[8:9]
	s_or_b64 exec, exec, s[6:7]
	s_and_saveexec_b64 s[6:7], s[4:5]
	s_cbranch_execnz .LBB19_171
	s_branch .LBB19_172
.LBB19_2221:
	s_movk_i32 s4, 0x80
	v_cmp_eq_u16_sdwa s[12:13], v6, s4 src0_sel:BYTE_0 src1_sel:DWORD
	s_mov_b64 s[4:5], -1
                                        ; implicit-def: $sgpr10
	s_and_saveexec_b64 s[8:9], s[12:13]
; %bb.2222:
	s_mov_b32 s10, 0x7f800001
	s_xor_b64 s[4:5], exec, -1
; %bb.2223:
	s_or_b64 exec, exec, s[8:9]
	s_and_b64 s[4:5], s[4:5], exec
	s_or_saveexec_b64 s[6:7], s[6:7]
	v_mov_b32_e32 v10, s10
	s_xor_b64 exec, exec, s[6:7]
	s_cbranch_execz .LBB19_174
.LBB19_2224:
	v_mov_b32_e32 v10, 0
	v_cmp_ne_u16_sdwa s[8:9], v6, v10 src0_sel:BYTE_0 src1_sel:DWORD
	s_andn2_b64 s[4:5], s[4:5], exec
	s_and_b64 s[8:9], s[8:9], exec
	s_or_b64 s[4:5], s[4:5], s[8:9]
	s_or_b64 exec, exec, s[6:7]
	s_and_saveexec_b64 s[6:7], s[4:5]
	s_cbranch_execnz .LBB19_175
	s_branch .LBB19_176
.LBB19_2225:
	s_movk_i32 s4, 0x80
	v_cmp_eq_u16_e32 vcc, s4, v6
	s_mov_b64 s[4:5], -1
                                        ; implicit-def: $sgpr10
	s_and_saveexec_b64 s[8:9], vcc
; %bb.2226:
	s_mov_b32 s10, 0x7f800001
	s_xor_b64 s[4:5], exec, -1
; %bb.2227:
	s_or_b64 exec, exec, s[8:9]
	s_and_b64 s[4:5], s[4:5], exec
                                        ; implicit-def: $vgpr6
	s_or_saveexec_b64 s[6:7], s[6:7]
	v_mov_b32_e32 v2, s10
	s_xor_b64 exec, exec, s[6:7]
	s_cbranch_execz .LBB19_178
.LBB19_2228:
	v_cmp_ne_u16_e32 vcc, 0, v6
	s_andn2_b64 s[4:5], s[4:5], exec
	s_and_b64 s[8:9], vcc, exec
	v_mov_b32_e32 v2, 0
	s_or_b64 s[4:5], s[4:5], s[8:9]
	s_or_b64 exec, exec, s[6:7]
	s_and_saveexec_b64 s[6:7], s[4:5]
	s_cbranch_execnz .LBB19_179
	s_branch .LBB19_180
.LBB19_2229:
	s_movk_i32 s4, 0x80
	v_cmp_eq_u16_e32 vcc, s4, v6
	s_mov_b64 s[4:5], -1
                                        ; implicit-def: $sgpr10
	s_and_saveexec_b64 s[8:9], vcc
; %bb.2230:
	s_mov_b32 s10, 0x7f800001
	s_xor_b64 s[4:5], exec, -1
; %bb.2231:
	s_or_b64 exec, exec, s[8:9]
	s_and_b64 s[4:5], s[4:5], exec
                                        ; implicit-def: $vgpr6
	s_or_saveexec_b64 s[6:7], s[6:7]
	v_mov_b32_e32 v10, s10
	s_xor_b64 exec, exec, s[6:7]
	s_cbranch_execz .LBB19_182
.LBB19_2232:
	v_cmp_ne_u16_e32 vcc, 0, v6
	s_andn2_b64 s[4:5], s[4:5], exec
	s_and_b64 s[8:9], vcc, exec
	v_mov_b32_e32 v10, 0
	s_or_b64 s[4:5], s[4:5], s[8:9]
	s_or_b64 exec, exec, s[6:7]
	s_and_saveexec_b64 s[6:7], s[4:5]
	s_cbranch_execnz .LBB19_183
	s_branch .LBB19_184
.LBB19_2233:
	s_movk_i32 s4, 0x80
	v_cmp_eq_u16_sdwa s[12:13], v7, s4 src0_sel:BYTE_3 src1_sel:DWORD
	s_mov_b64 s[4:5], -1
                                        ; implicit-def: $sgpr10
	s_and_saveexec_b64 s[8:9], s[12:13]
; %bb.2234:
	s_mov_b32 s10, 0x7f800001
	s_xor_b64 s[4:5], exec, -1
; %bb.2235:
	s_or_b64 exec, exec, s[8:9]
	s_and_b64 s[4:5], s[4:5], exec
	s_or_saveexec_b64 s[6:7], s[6:7]
	v_mov_b32_e32 v2, s10
	s_xor_b64 exec, exec, s[6:7]
	s_cbranch_execz .LBB19_186
.LBB19_2236:
	v_mov_b32_e32 v2, 0
	v_cmp_ne_u16_sdwa s[8:9], v7, v2 src0_sel:BYTE_3 src1_sel:DWORD
	s_andn2_b64 s[4:5], s[4:5], exec
	s_and_b64 s[8:9], s[8:9], exec
	s_or_b64 s[4:5], s[4:5], s[8:9]
	s_or_b64 exec, exec, s[6:7]
	s_and_saveexec_b64 s[6:7], s[4:5]
	s_cbranch_execnz .LBB19_187
	s_branch .LBB19_188
.LBB19_2237:
	s_movk_i32 s4, 0x80
	v_cmp_eq_u16_sdwa s[12:13], v3, s4 src0_sel:BYTE_3 src1_sel:DWORD
	s_mov_b64 s[4:5], -1
                                        ; implicit-def: $sgpr10
	s_and_saveexec_b64 s[8:9], s[12:13]
; %bb.2238:
	s_mov_b32 s10, 0x7f800001
	s_xor_b64 s[4:5], exec, -1
; %bb.2239:
	s_or_b64 exec, exec, s[8:9]
	s_and_b64 s[4:5], s[4:5], exec
	s_or_saveexec_b64 s[6:7], s[6:7]
	v_mov_b32_e32 v6, s10
	s_xor_b64 exec, exec, s[6:7]
	s_cbranch_execz .LBB19_190
.LBB19_2240:
	v_mov_b32_e32 v6, 0
	v_cmp_ne_u16_sdwa s[8:9], v3, v6 src0_sel:BYTE_3 src1_sel:DWORD
	s_andn2_b64 s[4:5], s[4:5], exec
	s_and_b64 s[8:9], s[8:9], exec
	s_or_b64 s[4:5], s[4:5], s[8:9]
	s_or_b64 exec, exec, s[6:7]
	s_and_saveexec_b64 s[6:7], s[4:5]
	s_cbranch_execnz .LBB19_191
	s_branch .LBB19_192
.LBB19_2241:
	s_movk_i32 s4, 0x80
	v_cmp_eq_u16_sdwa s[12:13], v8, s4 src0_sel:BYTE_0 src1_sel:DWORD
	s_mov_b64 s[4:5], -1
                                        ; implicit-def: $sgpr10
	s_and_saveexec_b64 s[8:9], s[12:13]
; %bb.2242:
	s_mov_b32 s10, 0x7f800001
	s_xor_b64 s[4:5], exec, -1
; %bb.2243:
	s_or_b64 exec, exec, s[8:9]
	s_and_b64 s[4:5], s[4:5], exec
	s_or_saveexec_b64 s[6:7], s[6:7]
	v_mov_b32_e32 v2, s10
	s_xor_b64 exec, exec, s[6:7]
	s_cbranch_execz .LBB19_194
.LBB19_2244:
	v_mov_b32_e32 v2, 0
	v_cmp_ne_u16_sdwa s[8:9], v8, v2 src0_sel:BYTE_0 src1_sel:DWORD
	s_andn2_b64 s[4:5], s[4:5], exec
	s_and_b64 s[8:9], s[8:9], exec
	s_or_b64 s[4:5], s[4:5], s[8:9]
	s_or_b64 exec, exec, s[6:7]
	s_and_saveexec_b64 s[6:7], s[4:5]
	s_cbranch_execnz .LBB19_195
	s_branch .LBB19_196
.LBB19_2245:
	s_movk_i32 s4, 0x80
	v_cmp_eq_u16_sdwa s[12:13], v4, s4 src0_sel:BYTE_0 src1_sel:DWORD
	s_mov_b64 s[4:5], -1
                                        ; implicit-def: $sgpr10
	s_and_saveexec_b64 s[8:9], s[12:13]
; %bb.2246:
	s_mov_b32 s10, 0x7f800001
	s_xor_b64 s[4:5], exec, -1
; %bb.2247:
	s_or_b64 exec, exec, s[8:9]
	s_and_b64 s[4:5], s[4:5], exec
	s_or_saveexec_b64 s[6:7], s[6:7]
	v_mov_b32_e32 v3, s10
	s_xor_b64 exec, exec, s[6:7]
	s_cbranch_execz .LBB19_198
.LBB19_2248:
	v_mov_b32_e32 v3, 0
	v_cmp_ne_u16_sdwa s[8:9], v4, v3 src0_sel:BYTE_0 src1_sel:DWORD
	s_andn2_b64 s[4:5], s[4:5], exec
	s_and_b64 s[8:9], s[8:9], exec
	s_or_b64 s[4:5], s[4:5], s[8:9]
	s_or_b64 exec, exec, s[6:7]
	s_and_saveexec_b64 s[6:7], s[4:5]
	s_cbranch_execnz .LBB19_199
	s_branch .LBB19_200
.LBB19_2249:
	s_movk_i32 s4, 0x80
	v_cmp_eq_u16_sdwa s[12:13], v3, s4 src0_sel:BYTE_0 src1_sel:DWORD
	s_mov_b64 s[4:5], -1
                                        ; implicit-def: $sgpr10
	s_and_saveexec_b64 s[8:9], s[12:13]
; %bb.2250:
	s_mov_b32 s10, 0x7f800001
	s_xor_b64 s[4:5], exec, -1
; %bb.2251:
	s_or_b64 exec, exec, s[8:9]
	s_and_b64 s[4:5], s[4:5], exec
	s_or_saveexec_b64 s[6:7], s[6:7]
	v_mov_b32_e32 v2, s10
	s_xor_b64 exec, exec, s[6:7]
	s_cbranch_execz .LBB19_202
.LBB19_2252:
	v_mov_b32_e32 v2, 0
	v_cmp_ne_u16_sdwa s[8:9], v3, v2 src0_sel:BYTE_0 src1_sel:DWORD
	s_andn2_b64 s[4:5], s[4:5], exec
	s_and_b64 s[8:9], s[8:9], exec
	s_or_b64 s[4:5], s[4:5], s[8:9]
	s_or_b64 exec, exec, s[6:7]
	s_and_saveexec_b64 s[6:7], s[4:5]
	s_cbranch_execnz .LBB19_203
	s_branch .LBB19_204
.LBB19_2253:
	s_movk_i32 s4, 0x80
	v_cmp_eq_u16_sdwa s[12:13], v3, s4 src0_sel:BYTE_0 src1_sel:DWORD
	s_mov_b64 s[4:5], -1
                                        ; implicit-def: $sgpr10
	s_and_saveexec_b64 s[8:9], s[12:13]
; %bb.2254:
	s_mov_b32 s10, 0x7f800001
	s_xor_b64 s[4:5], exec, -1
; %bb.2255:
	s_or_b64 exec, exec, s[8:9]
	s_and_b64 s[4:5], s[4:5], exec
	s_or_saveexec_b64 s[6:7], s[6:7]
	v_mov_b32_e32 v6, s10
	s_xor_b64 exec, exec, s[6:7]
	s_cbranch_execz .LBB19_206
.LBB19_2256:
	v_mov_b32_e32 v6, 0
	v_cmp_ne_u16_sdwa s[8:9], v3, v6 src0_sel:BYTE_0 src1_sel:DWORD
	s_andn2_b64 s[4:5], s[4:5], exec
	s_and_b64 s[8:9], s[8:9], exec
	s_or_b64 s[4:5], s[4:5], s[8:9]
	s_or_b64 exec, exec, s[6:7]
	s_and_saveexec_b64 s[6:7], s[4:5]
	s_cbranch_execnz .LBB19_207
	s_branch .LBB19_208
.LBB19_2257:
	s_movk_i32 s4, 0x80
	v_cmp_eq_u16_e32 vcc, s4, v3
	s_mov_b64 s[4:5], -1
                                        ; implicit-def: $sgpr10
	s_and_saveexec_b64 s[8:9], vcc
; %bb.2258:
	s_mov_b32 s10, 0x7f800001
	s_xor_b64 s[4:5], exec, -1
; %bb.2259:
	s_or_b64 exec, exec, s[8:9]
	s_and_b64 s[4:5], s[4:5], exec
                                        ; implicit-def: $vgpr3
	s_or_saveexec_b64 s[6:7], s[6:7]
	v_mov_b32_e32 v2, s10
	s_xor_b64 exec, exec, s[6:7]
	s_cbranch_execz .LBB19_210
.LBB19_2260:
	v_cmp_ne_u16_e32 vcc, 0, v3
	s_andn2_b64 s[4:5], s[4:5], exec
	s_and_b64 s[8:9], vcc, exec
	v_mov_b32_e32 v2, 0
	s_or_b64 s[4:5], s[4:5], s[8:9]
	s_or_b64 exec, exec, s[6:7]
	s_and_saveexec_b64 s[6:7], s[4:5]
	s_cbranch_execnz .LBB19_211
	s_branch .LBB19_212
.LBB19_2261:
	s_movk_i32 s4, 0x80
	v_cmp_eq_u16_e32 vcc, s4, v3
	s_mov_b64 s[4:5], -1
                                        ; implicit-def: $sgpr10
	s_and_saveexec_b64 s[8:9], vcc
; %bb.2262:
	s_mov_b32 s10, 0x7f800001
	s_xor_b64 s[4:5], exec, -1
; %bb.2263:
	s_or_b64 exec, exec, s[8:9]
	s_and_b64 s[4:5], s[4:5], exec
                                        ; implicit-def: $vgpr3
	s_or_saveexec_b64 s[6:7], s[6:7]
	v_mov_b32_e32 v6, s10
	s_xor_b64 exec, exec, s[6:7]
	s_cbranch_execz .LBB19_214
.LBB19_2264:
	v_cmp_ne_u16_e32 vcc, 0, v3
	s_andn2_b64 s[4:5], s[4:5], exec
	s_and_b64 s[8:9], vcc, exec
	v_mov_b32_e32 v6, 0
	s_or_b64 s[4:5], s[4:5], s[8:9]
	s_or_b64 exec, exec, s[6:7]
	s_and_saveexec_b64 s[6:7], s[4:5]
	s_cbranch_execnz .LBB19_215
	s_branch .LBB19_216
.LBB19_2265:
	s_movk_i32 s4, 0x80
	v_cmp_eq_u16_sdwa s[12:13], v8, s4 src0_sel:BYTE_3 src1_sel:DWORD
	s_mov_b64 s[4:5], -1
                                        ; implicit-def: $sgpr10
	s_and_saveexec_b64 s[8:9], s[12:13]
; %bb.2266:
	s_mov_b32 s10, 0x7f800001
	s_xor_b64 s[4:5], exec, -1
; %bb.2267:
	s_or_b64 exec, exec, s[8:9]
	s_and_b64 s[4:5], s[4:5], exec
	s_or_saveexec_b64 s[6:7], s[6:7]
	v_mov_b32_e32 v2, s10
	s_xor_b64 exec, exec, s[6:7]
	s_cbranch_execz .LBB19_218
.LBB19_2268:
	v_mov_b32_e32 v2, 0
	v_cmp_ne_u16_sdwa s[8:9], v8, v2 src0_sel:BYTE_3 src1_sel:DWORD
	s_andn2_b64 s[4:5], s[4:5], exec
	s_and_b64 s[8:9], s[8:9], exec
	s_or_b64 s[4:5], s[4:5], s[8:9]
	s_or_b64 exec, exec, s[6:7]
	s_and_saveexec_b64 s[6:7], s[4:5]
	s_cbranch_execnz .LBB19_219
	s_branch .LBB19_220
.LBB19_2269:
	s_movk_i32 s4, 0x80
	v_cmp_eq_u16_sdwa s[12:13], v4, s4 src0_sel:BYTE_3 src1_sel:DWORD
	s_mov_b64 s[4:5], -1
                                        ; implicit-def: $sgpr10
	s_and_saveexec_b64 s[8:9], s[12:13]
; %bb.2270:
	s_mov_b32 s10, 0x7f800001
	s_xor_b64 s[4:5], exec, -1
; %bb.2271:
	s_or_b64 exec, exec, s[8:9]
	s_and_b64 s[4:5], s[4:5], exec
	s_or_saveexec_b64 s[6:7], s[6:7]
	v_mov_b32_e32 v3, s10
	s_xor_b64 exec, exec, s[6:7]
	s_cbranch_execz .LBB19_222
.LBB19_2272:
	v_mov_b32_e32 v3, 0
	v_cmp_ne_u16_sdwa s[8:9], v4, v3 src0_sel:BYTE_3 src1_sel:DWORD
	s_andn2_b64 s[4:5], s[4:5], exec
	s_and_b64 s[8:9], s[8:9], exec
	s_or_b64 s[4:5], s[4:5], s[8:9]
	s_or_b64 exec, exec, s[6:7]
	s_and_saveexec_b64 s[6:7], s[4:5]
	s_cbranch_execnz .LBB19_223
	s_branch .LBB19_224
.LBB19_2273:
	s_movk_i32 s4, 0x80
	v_cmp_eq_u16_sdwa s[12:13], v9, s4 src0_sel:BYTE_0 src1_sel:DWORD
	s_mov_b64 s[4:5], -1
                                        ; implicit-def: $sgpr10
	s_and_saveexec_b64 s[8:9], s[12:13]
; %bb.2274:
	s_mov_b32 s10, 0x7f800001
	s_xor_b64 s[4:5], exec, -1
; %bb.2275:
	s_or_b64 exec, exec, s[8:9]
	s_and_b64 s[4:5], s[4:5], exec
	s_or_saveexec_b64 s[6:7], s[6:7]
	v_mov_b32_e32 v2, s10
	s_xor_b64 exec, exec, s[6:7]
	s_cbranch_execz .LBB19_226
.LBB19_2276:
	v_mov_b32_e32 v2, 0
	v_cmp_ne_u16_sdwa s[8:9], v9, v2 src0_sel:BYTE_0 src1_sel:DWORD
	s_andn2_b64 s[4:5], s[4:5], exec
	s_and_b64 s[8:9], s[8:9], exec
	s_or_b64 s[4:5], s[4:5], s[8:9]
	s_or_b64 exec, exec, s[6:7]
	s_and_saveexec_b64 s[6:7], s[4:5]
	s_cbranch_execnz .LBB19_227
	s_branch .LBB19_228
.LBB19_2277:
	s_movk_i32 s4, 0x80
	v_cmp_eq_u16_sdwa s[12:13], v5, s4 src0_sel:BYTE_0 src1_sel:DWORD
	s_mov_b64 s[4:5], -1
                                        ; implicit-def: $sgpr10
	s_and_saveexec_b64 s[8:9], s[12:13]
; %bb.2278:
	s_mov_b32 s10, 0x7f800001
	s_xor_b64 s[4:5], exec, -1
; %bb.2279:
	s_or_b64 exec, exec, s[8:9]
	s_and_b64 s[4:5], s[4:5], exec
	s_or_saveexec_b64 s[6:7], s[6:7]
	v_mov_b32_e32 v3, s10
	s_xor_b64 exec, exec, s[6:7]
	s_cbranch_execz .LBB19_230
.LBB19_2280:
	v_mov_b32_e32 v3, 0
	v_cmp_ne_u16_sdwa s[8:9], v5, v3 src0_sel:BYTE_0 src1_sel:DWORD
	s_andn2_b64 s[4:5], s[4:5], exec
	s_and_b64 s[8:9], s[8:9], exec
	s_or_b64 s[4:5], s[4:5], s[8:9]
	s_or_b64 exec, exec, s[6:7]
	s_and_saveexec_b64 s[6:7], s[4:5]
	s_cbranch_execnz .LBB19_231
	s_branch .LBB19_232
.LBB19_2281:
	s_movk_i32 s4, 0x80
	v_cmp_eq_u16_sdwa s[12:13], v3, s4 src0_sel:BYTE_0 src1_sel:DWORD
	s_mov_b64 s[4:5], -1
                                        ; implicit-def: $sgpr10
	s_and_saveexec_b64 s[8:9], s[12:13]
; %bb.2282:
	s_mov_b32 s10, 0x7f800001
	s_xor_b64 s[4:5], exec, -1
; %bb.2283:
	s_or_b64 exec, exec, s[8:9]
	s_and_b64 s[4:5], s[4:5], exec
	s_or_saveexec_b64 s[6:7], s[6:7]
	v_mov_b32_e32 v2, s10
	s_xor_b64 exec, exec, s[6:7]
	s_cbranch_execz .LBB19_234
.LBB19_2284:
	v_mov_b32_e32 v2, 0
	v_cmp_ne_u16_sdwa s[8:9], v3, v2 src0_sel:BYTE_0 src1_sel:DWORD
	s_andn2_b64 s[4:5], s[4:5], exec
	s_and_b64 s[8:9], s[8:9], exec
	s_or_b64 s[4:5], s[4:5], s[8:9]
	s_or_b64 exec, exec, s[6:7]
	s_and_saveexec_b64 s[6:7], s[4:5]
	s_cbranch_execnz .LBB19_235
	s_branch .LBB19_236
.LBB19_2285:
	s_movk_i32 s4, 0x80
	v_cmp_eq_u16_sdwa s[12:13], v3, s4 src0_sel:BYTE_0 src1_sel:DWORD
	s_mov_b64 s[4:5], -1
                                        ; implicit-def: $sgpr10
	s_and_saveexec_b64 s[8:9], s[12:13]
; %bb.2286:
	s_mov_b32 s10, 0x7f800001
	s_xor_b64 s[4:5], exec, -1
; %bb.2287:
	s_or_b64 exec, exec, s[8:9]
	s_and_b64 s[4:5], s[4:5], exec
	s_or_saveexec_b64 s[6:7], s[6:7]
	v_mov_b32_e32 v4, s10
	s_xor_b64 exec, exec, s[6:7]
	s_cbranch_execz .LBB19_238
.LBB19_2288:
	v_mov_b32_e32 v4, 0
	v_cmp_ne_u16_sdwa s[8:9], v3, v4 src0_sel:BYTE_0 src1_sel:DWORD
	s_andn2_b64 s[4:5], s[4:5], exec
	s_and_b64 s[8:9], s[8:9], exec
	s_or_b64 s[4:5], s[4:5], s[8:9]
	s_or_b64 exec, exec, s[6:7]
	s_and_saveexec_b64 s[6:7], s[4:5]
	s_cbranch_execnz .LBB19_239
	s_branch .LBB19_240
.LBB19_2289:
	s_movk_i32 s4, 0x80
	v_cmp_eq_u16_e32 vcc, s4, v3
	s_mov_b64 s[4:5], -1
                                        ; implicit-def: $sgpr10
	s_and_saveexec_b64 s[8:9], vcc
; %bb.2290:
	s_mov_b32 s10, 0x7f800001
	s_xor_b64 s[4:5], exec, -1
; %bb.2291:
	s_or_b64 exec, exec, s[8:9]
	s_and_b64 s[4:5], s[4:5], exec
                                        ; implicit-def: $vgpr3
	s_or_saveexec_b64 s[6:7], s[6:7]
	v_mov_b32_e32 v2, s10
	s_xor_b64 exec, exec, s[6:7]
	s_cbranch_execz .LBB19_242
.LBB19_2292:
	v_cmp_ne_u16_e32 vcc, 0, v3
	s_andn2_b64 s[4:5], s[4:5], exec
	s_and_b64 s[8:9], vcc, exec
	v_mov_b32_e32 v2, 0
	s_or_b64 s[4:5], s[4:5], s[8:9]
	s_or_b64 exec, exec, s[6:7]
	s_and_saveexec_b64 s[6:7], s[4:5]
	s_cbranch_execnz .LBB19_243
	s_branch .LBB19_244
.LBB19_2293:
	s_movk_i32 s4, 0x80
	v_cmp_eq_u16_e32 vcc, s4, v3
	s_mov_b64 s[4:5], -1
                                        ; implicit-def: $sgpr10
	s_and_saveexec_b64 s[8:9], vcc
; %bb.2294:
	s_mov_b32 s10, 0x7f800001
	s_xor_b64 s[4:5], exec, -1
; %bb.2295:
	s_or_b64 exec, exec, s[8:9]
	s_and_b64 s[4:5], s[4:5], exec
                                        ; implicit-def: $vgpr3
	s_or_saveexec_b64 s[6:7], s[6:7]
	v_mov_b32_e32 v4, s10
	s_xor_b64 exec, exec, s[6:7]
	s_cbranch_execz .LBB19_246
.LBB19_2296:
	v_cmp_ne_u16_e32 vcc, 0, v3
	s_andn2_b64 s[4:5], s[4:5], exec
	s_and_b64 s[8:9], vcc, exec
	v_mov_b32_e32 v4, 0
	s_or_b64 s[4:5], s[4:5], s[8:9]
	s_or_b64 exec, exec, s[6:7]
	s_and_saveexec_b64 s[6:7], s[4:5]
	s_cbranch_execnz .LBB19_247
	s_branch .LBB19_248
.LBB19_2297:
	s_movk_i32 s4, 0x80
	v_cmp_eq_u16_sdwa s[12:13], v9, s4 src0_sel:BYTE_3 src1_sel:DWORD
	s_mov_b64 s[4:5], -1
                                        ; implicit-def: $sgpr10
	s_and_saveexec_b64 s[8:9], s[12:13]
; %bb.2298:
	s_mov_b32 s10, 0x7f800001
	s_xor_b64 s[4:5], exec, -1
; %bb.2299:
	s_or_b64 exec, exec, s[8:9]
	s_and_b64 s[4:5], s[4:5], exec
	s_or_saveexec_b64 s[6:7], s[6:7]
	v_mov_b32_e32 v2, s10
	s_xor_b64 exec, exec, s[6:7]
	s_cbranch_execz .LBB19_250
.LBB19_2300:
	v_mov_b32_e32 v2, 0
	v_cmp_ne_u16_sdwa s[8:9], v9, v2 src0_sel:BYTE_3 src1_sel:DWORD
	s_andn2_b64 s[4:5], s[4:5], exec
	s_and_b64 s[8:9], s[8:9], exec
	s_or_b64 s[4:5], s[4:5], s[8:9]
	s_or_b64 exec, exec, s[6:7]
	s_and_saveexec_b64 s[6:7], s[4:5]
	s_cbranch_execnz .LBB19_251
	s_branch .LBB19_252
.LBB19_2301:
	s_movk_i32 s4, 0x80
	v_cmp_eq_u16_sdwa s[12:13], v5, s4 src0_sel:BYTE_3 src1_sel:DWORD
	s_mov_b64 s[4:5], -1
                                        ; implicit-def: $sgpr10
	s_and_saveexec_b64 s[8:9], s[12:13]
; %bb.2302:
	s_mov_b32 s10, 0x7f800001
	s_xor_b64 s[4:5], exec, -1
; %bb.2303:
	s_or_b64 exec, exec, s[8:9]
	s_and_b64 s[4:5], s[4:5], exec
	s_or_saveexec_b64 s[6:7], s[6:7]
	v_mov_b32_e32 v3, s10
	s_xor_b64 exec, exec, s[6:7]
	s_cbranch_execz .LBB19_254
.LBB19_2304:
	v_mov_b32_e32 v3, 0
	v_cmp_ne_u16_sdwa s[8:9], v5, v3 src0_sel:BYTE_3 src1_sel:DWORD
	s_andn2_b64 s[4:5], s[4:5], exec
	s_and_b64 s[8:9], s[8:9], exec
	s_or_b64 s[4:5], s[4:5], s[8:9]
	s_or_b64 exec, exec, s[6:7]
	s_and_saveexec_b64 s[6:7], s[4:5]
	s_cbranch_execnz .LBB19_255
	s_branch .LBB19_256
.LBB19_2305:
	s_movk_i32 s4, 0x80
	v_cmp_eq_u16_sdwa s[12:13], v14, s4 src0_sel:BYTE_0 src1_sel:DWORD
	s_mov_b64 s[4:5], -1
                                        ; implicit-def: $sgpr10
	s_and_saveexec_b64 s[8:9], s[12:13]
; %bb.2306:
	s_mov_b32 s10, 0x7f800001
	s_xor_b64 s[4:5], exec, -1
; %bb.2307:
	s_or_b64 exec, exec, s[8:9]
	s_and_b64 s[4:5], s[4:5], exec
	s_or_saveexec_b64 s[6:7], s[6:7]
	v_mov_b32_e32 v20, s10
	s_xor_b64 exec, exec, s[6:7]
	s_cbranch_execz .LBB19_258
.LBB19_2308:
	v_mov_b32_e32 v20, 0
	v_cmp_ne_u16_sdwa s[8:9], v14, v20 src0_sel:BYTE_0 src1_sel:DWORD
	s_andn2_b64 s[4:5], s[4:5], exec
	s_and_b64 s[8:9], s[8:9], exec
	s_or_b64 s[4:5], s[4:5], s[8:9]
	s_or_b64 exec, exec, s[6:7]
	s_and_saveexec_b64 s[6:7], s[4:5]
	s_cbranch_execnz .LBB19_259
	s_branch .LBB19_260
.LBB19_2309:
	s_movk_i32 s4, 0x80
	v_cmp_eq_u16_sdwa s[12:13], v10, s4 src0_sel:BYTE_0 src1_sel:DWORD
	s_mov_b64 s[4:5], -1
                                        ; implicit-def: $sgpr10
	s_and_saveexec_b64 s[8:9], s[12:13]
; %bb.2310:
	s_mov_b32 s10, 0x7f800001
	s_xor_b64 s[4:5], exec, -1
; %bb.2311:
	s_or_b64 exec, exec, s[8:9]
	s_and_b64 s[4:5], s[4:5], exec
	s_or_saveexec_b64 s[6:7], s[6:7]
	v_mov_b32_e32 v21, s10
	s_xor_b64 exec, exec, s[6:7]
	s_cbranch_execz .LBB19_262
.LBB19_2312:
	v_mov_b32_e32 v21, 0
	v_cmp_ne_u16_sdwa s[8:9], v10, v21 src0_sel:BYTE_0 src1_sel:DWORD
	s_andn2_b64 s[4:5], s[4:5], exec
	s_and_b64 s[8:9], s[8:9], exec
	s_or_b64 s[4:5], s[4:5], s[8:9]
	s_or_b64 exec, exec, s[6:7]
	s_and_saveexec_b64 s[6:7], s[4:5]
	s_cbranch_execnz .LBB19_263
	s_branch .LBB19_264
.LBB19_2313:
	s_movk_i32 s4, 0x80
	v_cmp_eq_u16_sdwa s[12:13], v21, s4 src0_sel:BYTE_0 src1_sel:DWORD
	s_mov_b64 s[4:5], -1
                                        ; implicit-def: $sgpr10
	s_and_saveexec_b64 s[8:9], s[12:13]
; %bb.2314:
	s_mov_b32 s10, 0x7f800001
	s_xor_b64 s[4:5], exec, -1
; %bb.2315:
	s_or_b64 exec, exec, s[8:9]
	s_and_b64 s[4:5], s[4:5], exec
	s_or_saveexec_b64 s[6:7], s[6:7]
	v_mov_b32_e32 v20, s10
	s_xor_b64 exec, exec, s[6:7]
	s_cbranch_execz .LBB19_266
.LBB19_2316:
	v_mov_b32_e32 v20, 0
	v_cmp_ne_u16_sdwa s[8:9], v21, v20 src0_sel:BYTE_0 src1_sel:DWORD
	s_andn2_b64 s[4:5], s[4:5], exec
	s_and_b64 s[8:9], s[8:9], exec
	s_or_b64 s[4:5], s[4:5], s[8:9]
	s_or_b64 exec, exec, s[6:7]
	s_and_saveexec_b64 s[6:7], s[4:5]
	s_cbranch_execnz .LBB19_267
	s_branch .LBB19_268
.LBB19_2317:
	s_movk_i32 s4, 0x80
	v_cmp_eq_u16_sdwa s[12:13], v21, s4 src0_sel:BYTE_0 src1_sel:DWORD
	s_mov_b64 s[4:5], -1
                                        ; implicit-def: $sgpr10
	s_and_saveexec_b64 s[8:9], s[12:13]
; %bb.2318:
	s_mov_b32 s10, 0x7f800001
	s_xor_b64 s[4:5], exec, -1
; %bb.2319:
	s_or_b64 exec, exec, s[8:9]
	s_and_b64 s[4:5], s[4:5], exec
	s_or_saveexec_b64 s[6:7], s[6:7]
	v_mov_b32_e32 v22, s10
	s_xor_b64 exec, exec, s[6:7]
	s_cbranch_execz .LBB19_270
.LBB19_2320:
	v_mov_b32_e32 v22, 0
	v_cmp_ne_u16_sdwa s[8:9], v21, v22 src0_sel:BYTE_0 src1_sel:DWORD
	s_andn2_b64 s[4:5], s[4:5], exec
	s_and_b64 s[8:9], s[8:9], exec
	s_or_b64 s[4:5], s[4:5], s[8:9]
	s_or_b64 exec, exec, s[6:7]
	s_and_saveexec_b64 s[6:7], s[4:5]
	s_cbranch_execnz .LBB19_271
	s_branch .LBB19_272
.LBB19_2321:
	s_movk_i32 s4, 0x80
	v_cmp_eq_u16_e32 vcc, s4, v21
	s_mov_b64 s[4:5], -1
                                        ; implicit-def: $sgpr10
	s_and_saveexec_b64 s[8:9], vcc
; %bb.2322:
	s_mov_b32 s10, 0x7f800001
	s_xor_b64 s[4:5], exec, -1
; %bb.2323:
	s_or_b64 exec, exec, s[8:9]
	s_and_b64 s[4:5], s[4:5], exec
                                        ; implicit-def: $vgpr21
	s_or_saveexec_b64 s[6:7], s[6:7]
	v_mov_b32_e32 v20, s10
	s_xor_b64 exec, exec, s[6:7]
	s_cbranch_execz .LBB19_274
.LBB19_2324:
	v_cmp_ne_u16_e32 vcc, 0, v21
	s_andn2_b64 s[4:5], s[4:5], exec
	s_and_b64 s[8:9], vcc, exec
	v_mov_b32_e32 v20, 0
	s_or_b64 s[4:5], s[4:5], s[8:9]
	s_or_b64 exec, exec, s[6:7]
	s_and_saveexec_b64 s[6:7], s[4:5]
	s_cbranch_execnz .LBB19_275
	s_branch .LBB19_276
.LBB19_2325:
	s_movk_i32 s4, 0x80
	v_cmp_eq_u16_e32 vcc, s4, v21
	s_mov_b64 s[4:5], -1
                                        ; implicit-def: $sgpr10
	s_and_saveexec_b64 s[8:9], vcc
; %bb.2326:
	s_mov_b32 s10, 0x7f800001
	s_xor_b64 s[4:5], exec, -1
; %bb.2327:
	s_or_b64 exec, exec, s[8:9]
	s_and_b64 s[4:5], s[4:5], exec
                                        ; implicit-def: $vgpr21
	s_or_saveexec_b64 s[6:7], s[6:7]
	v_mov_b32_e32 v22, s10
	s_xor_b64 exec, exec, s[6:7]
	s_cbranch_execz .LBB19_278
.LBB19_2328:
	v_cmp_ne_u16_e32 vcc, 0, v21
	s_andn2_b64 s[4:5], s[4:5], exec
	s_and_b64 s[8:9], vcc, exec
	v_mov_b32_e32 v22, 0
	s_or_b64 s[4:5], s[4:5], s[8:9]
	s_or_b64 exec, exec, s[6:7]
	s_and_saveexec_b64 s[6:7], s[4:5]
	s_cbranch_execnz .LBB19_279
	s_branch .LBB19_280
.LBB19_2329:
	s_movk_i32 s4, 0x80
	v_cmp_eq_u16_sdwa s[12:13], v14, s4 src0_sel:BYTE_3 src1_sel:DWORD
	s_mov_b64 s[4:5], -1
                                        ; implicit-def: $sgpr10
	s_and_saveexec_b64 s[8:9], s[12:13]
; %bb.2330:
	s_mov_b32 s10, 0x7f800001
	s_xor_b64 s[4:5], exec, -1
; %bb.2331:
	s_or_b64 exec, exec, s[8:9]
	s_and_b64 s[4:5], s[4:5], exec
	s_or_saveexec_b64 s[6:7], s[6:7]
	v_mov_b32_e32 v20, s10
	s_xor_b64 exec, exec, s[6:7]
	s_cbranch_execz .LBB19_282
.LBB19_2332:
	v_mov_b32_e32 v20, 0
	v_cmp_ne_u16_sdwa s[8:9], v14, v20 src0_sel:BYTE_3 src1_sel:DWORD
	s_andn2_b64 s[4:5], s[4:5], exec
	s_and_b64 s[8:9], s[8:9], exec
	s_or_b64 s[4:5], s[4:5], s[8:9]
	s_or_b64 exec, exec, s[6:7]
	s_and_saveexec_b64 s[6:7], s[4:5]
	s_cbranch_execnz .LBB19_283
	s_branch .LBB19_284
.LBB19_2333:
	s_movk_i32 s4, 0x80
	v_cmp_eq_u16_sdwa s[12:13], v10, s4 src0_sel:BYTE_3 src1_sel:DWORD
	s_mov_b64 s[4:5], -1
                                        ; implicit-def: $sgpr10
	s_and_saveexec_b64 s[8:9], s[12:13]
; %bb.2334:
	s_mov_b32 s10, 0x7f800001
	s_xor_b64 s[4:5], exec, -1
; %bb.2335:
	s_or_b64 exec, exec, s[8:9]
	s_and_b64 s[4:5], s[4:5], exec
	s_or_saveexec_b64 s[6:7], s[6:7]
	v_mov_b32_e32 v14, s10
	s_xor_b64 exec, exec, s[6:7]
	s_cbranch_execz .LBB19_286
.LBB19_2336:
	v_mov_b32_e32 v14, 0
	v_cmp_ne_u16_sdwa s[8:9], v10, v14 src0_sel:BYTE_3 src1_sel:DWORD
	s_andn2_b64 s[4:5], s[4:5], exec
	s_and_b64 s[8:9], s[8:9], exec
	s_or_b64 s[4:5], s[4:5], s[8:9]
	s_or_b64 exec, exec, s[6:7]
	s_and_saveexec_b64 s[6:7], s[4:5]
	s_cbranch_execnz .LBB19_287
	s_branch .LBB19_288
.LBB19_2337:
	s_movk_i32 s4, 0x80
	v_cmp_eq_u16_sdwa s[12:13], v15, s4 src0_sel:BYTE_0 src1_sel:DWORD
	s_mov_b64 s[4:5], -1
                                        ; implicit-def: $sgpr10
	s_and_saveexec_b64 s[8:9], s[12:13]
; %bb.2338:
	s_mov_b32 s10, 0x7f800001
	s_xor_b64 s[4:5], exec, -1
; %bb.2339:
	s_or_b64 exec, exec, s[8:9]
	s_and_b64 s[4:5], s[4:5], exec
	s_or_saveexec_b64 s[6:7], s[6:7]
	v_mov_b32_e32 v10, s10
	s_xor_b64 exec, exec, s[6:7]
	s_cbranch_execz .LBB19_290
.LBB19_2340:
	v_mov_b32_e32 v10, 0
	v_cmp_ne_u16_sdwa s[8:9], v15, v10 src0_sel:BYTE_0 src1_sel:DWORD
	s_andn2_b64 s[4:5], s[4:5], exec
	s_and_b64 s[8:9], s[8:9], exec
	s_or_b64 s[4:5], s[4:5], s[8:9]
	s_or_b64 exec, exec, s[6:7]
	s_and_saveexec_b64 s[6:7], s[4:5]
	s_cbranch_execnz .LBB19_291
	s_branch .LBB19_292
.LBB19_2341:
	s_movk_i32 s4, 0x80
	v_cmp_eq_u16_sdwa s[12:13], v11, s4 src0_sel:BYTE_0 src1_sel:DWORD
	s_mov_b64 s[4:5], -1
                                        ; implicit-def: $sgpr10
	s_and_saveexec_b64 s[8:9], s[12:13]
; %bb.2342:
	s_mov_b32 s10, 0x7f800001
	s_xor_b64 s[4:5], exec, -1
; %bb.2343:
	s_or_b64 exec, exec, s[8:9]
	s_and_b64 s[4:5], s[4:5], exec
	s_or_saveexec_b64 s[6:7], s[6:7]
	v_mov_b32_e32 v14, s10
	s_xor_b64 exec, exec, s[6:7]
	s_cbranch_execz .LBB19_294
.LBB19_2344:
	v_mov_b32_e32 v14, 0
	v_cmp_ne_u16_sdwa s[8:9], v11, v14 src0_sel:BYTE_0 src1_sel:DWORD
	s_andn2_b64 s[4:5], s[4:5], exec
	s_and_b64 s[8:9], s[8:9], exec
	s_or_b64 s[4:5], s[4:5], s[8:9]
	s_or_b64 exec, exec, s[6:7]
	s_and_saveexec_b64 s[6:7], s[4:5]
	s_cbranch_execnz .LBB19_295
	s_branch .LBB19_296
.LBB19_2345:
	s_movk_i32 s4, 0x80
	v_cmp_eq_u16_sdwa s[12:13], v14, s4 src0_sel:BYTE_0 src1_sel:DWORD
	s_mov_b64 s[4:5], -1
                                        ; implicit-def: $sgpr10
	s_and_saveexec_b64 s[8:9], s[12:13]
; %bb.2346:
	s_mov_b32 s10, 0x7f800001
	s_xor_b64 s[4:5], exec, -1
; %bb.2347:
	s_or_b64 exec, exec, s[8:9]
	s_and_b64 s[4:5], s[4:5], exec
	s_or_saveexec_b64 s[6:7], s[6:7]
	v_mov_b32_e32 v10, s10
	s_xor_b64 exec, exec, s[6:7]
	s_cbranch_execz .LBB19_298
.LBB19_2348:
	v_mov_b32_e32 v10, 0
	v_cmp_ne_u16_sdwa s[8:9], v14, v10 src0_sel:BYTE_0 src1_sel:DWORD
	s_andn2_b64 s[4:5], s[4:5], exec
	s_and_b64 s[8:9], s[8:9], exec
	s_or_b64 s[4:5], s[4:5], s[8:9]
	s_or_b64 exec, exec, s[6:7]
	s_and_saveexec_b64 s[6:7], s[4:5]
	s_cbranch_execnz .LBB19_299
	s_branch .LBB19_300
.LBB19_2349:
	s_movk_i32 s4, 0x80
	v_cmp_eq_u16_sdwa s[12:13], v14, s4 src0_sel:BYTE_0 src1_sel:DWORD
	s_mov_b64 s[4:5], -1
                                        ; implicit-def: $sgpr10
	s_and_saveexec_b64 s[8:9], s[12:13]
; %bb.2350:
	s_mov_b32 s10, 0x7f800001
	s_xor_b64 s[4:5], exec, -1
; %bb.2351:
	s_or_b64 exec, exec, s[8:9]
	s_and_b64 s[4:5], s[4:5], exec
	s_or_saveexec_b64 s[6:7], s[6:7]
	v_mov_b32_e32 v20, s10
	s_xor_b64 exec, exec, s[6:7]
	s_cbranch_execz .LBB19_302
.LBB19_2352:
	v_mov_b32_e32 v20, 0
	v_cmp_ne_u16_sdwa s[8:9], v14, v20 src0_sel:BYTE_0 src1_sel:DWORD
	s_andn2_b64 s[4:5], s[4:5], exec
	s_and_b64 s[8:9], s[8:9], exec
	s_or_b64 s[4:5], s[4:5], s[8:9]
	s_or_b64 exec, exec, s[6:7]
	s_and_saveexec_b64 s[6:7], s[4:5]
	s_cbranch_execnz .LBB19_303
	s_branch .LBB19_304
.LBB19_2353:
	s_movk_i32 s4, 0x80
	v_cmp_eq_u16_e32 vcc, s4, v14
	s_mov_b64 s[4:5], -1
                                        ; implicit-def: $sgpr10
	s_and_saveexec_b64 s[8:9], vcc
; %bb.2354:
	s_mov_b32 s10, 0x7f800001
	s_xor_b64 s[4:5], exec, -1
; %bb.2355:
	s_or_b64 exec, exec, s[8:9]
	s_and_b64 s[4:5], s[4:5], exec
                                        ; implicit-def: $vgpr14
	s_or_saveexec_b64 s[6:7], s[6:7]
	v_mov_b32_e32 v10, s10
	s_xor_b64 exec, exec, s[6:7]
	s_cbranch_execz .LBB19_306
.LBB19_2356:
	v_cmp_ne_u16_e32 vcc, 0, v14
	s_andn2_b64 s[4:5], s[4:5], exec
	s_and_b64 s[8:9], vcc, exec
	v_mov_b32_e32 v10, 0
	s_or_b64 s[4:5], s[4:5], s[8:9]
	s_or_b64 exec, exec, s[6:7]
	s_and_saveexec_b64 s[6:7], s[4:5]
	s_cbranch_execnz .LBB19_307
	s_branch .LBB19_308
.LBB19_2357:
	s_movk_i32 s4, 0x80
	v_cmp_eq_u16_e32 vcc, s4, v14
	s_mov_b64 s[4:5], -1
                                        ; implicit-def: $sgpr10
	s_and_saveexec_b64 s[8:9], vcc
; %bb.2358:
	s_mov_b32 s10, 0x7f800001
	s_xor_b64 s[4:5], exec, -1
; %bb.2359:
	s_or_b64 exec, exec, s[8:9]
	s_and_b64 s[4:5], s[4:5], exec
                                        ; implicit-def: $vgpr14
	s_or_saveexec_b64 s[6:7], s[6:7]
	v_mov_b32_e32 v20, s10
	s_xor_b64 exec, exec, s[6:7]
	s_cbranch_execz .LBB19_310
.LBB19_2360:
	v_cmp_ne_u16_e32 vcc, 0, v14
	s_andn2_b64 s[4:5], s[4:5], exec
	s_and_b64 s[8:9], vcc, exec
	v_mov_b32_e32 v20, 0
	s_or_b64 s[4:5], s[4:5], s[8:9]
	s_or_b64 exec, exec, s[6:7]
	s_and_saveexec_b64 s[6:7], s[4:5]
	s_cbranch_execnz .LBB19_311
	s_branch .LBB19_312
.LBB19_2361:
	s_movk_i32 s4, 0x80
	v_cmp_eq_u16_sdwa s[12:13], v15, s4 src0_sel:BYTE_3 src1_sel:DWORD
	s_mov_b64 s[4:5], -1
                                        ; implicit-def: $sgpr10
	s_and_saveexec_b64 s[8:9], s[12:13]
; %bb.2362:
	s_mov_b32 s10, 0x7f800001
	s_xor_b64 s[4:5], exec, -1
; %bb.2363:
	s_or_b64 exec, exec, s[8:9]
	s_and_b64 s[4:5], s[4:5], exec
	s_or_saveexec_b64 s[6:7], s[6:7]
	v_mov_b32_e32 v10, s10
	s_xor_b64 exec, exec, s[6:7]
	s_cbranch_execz .LBB19_314
.LBB19_2364:
	v_mov_b32_e32 v10, 0
	v_cmp_ne_u16_sdwa s[8:9], v15, v10 src0_sel:BYTE_3 src1_sel:DWORD
	s_andn2_b64 s[4:5], s[4:5], exec
	s_and_b64 s[8:9], s[8:9], exec
	s_or_b64 s[4:5], s[4:5], s[8:9]
	s_or_b64 exec, exec, s[6:7]
	s_and_saveexec_b64 s[6:7], s[4:5]
	s_cbranch_execnz .LBB19_315
	s_branch .LBB19_316
.LBB19_2365:
	s_movk_i32 s4, 0x80
	v_cmp_eq_u16_sdwa s[12:13], v11, s4 src0_sel:BYTE_3 src1_sel:DWORD
	s_mov_b64 s[4:5], -1
                                        ; implicit-def: $sgpr10
	s_and_saveexec_b64 s[8:9], s[12:13]
; %bb.2366:
	s_mov_b32 s10, 0x7f800001
	s_xor_b64 s[4:5], exec, -1
; %bb.2367:
	s_or_b64 exec, exec, s[8:9]
	s_and_b64 s[4:5], s[4:5], exec
	s_or_saveexec_b64 s[6:7], s[6:7]
	v_mov_b32_e32 v14, s10
	s_xor_b64 exec, exec, s[6:7]
	s_cbranch_execz .LBB19_318
.LBB19_2368:
	v_mov_b32_e32 v14, 0
	v_cmp_ne_u16_sdwa s[8:9], v11, v14 src0_sel:BYTE_3 src1_sel:DWORD
	s_andn2_b64 s[4:5], s[4:5], exec
	s_and_b64 s[8:9], s[8:9], exec
	s_or_b64 s[4:5], s[4:5], s[8:9]
	s_or_b64 exec, exec, s[6:7]
	s_and_saveexec_b64 s[6:7], s[4:5]
	s_cbranch_execnz .LBB19_319
	s_branch .LBB19_320
.LBB19_2369:
	s_movk_i32 s4, 0x80
	v_cmp_eq_u16_sdwa s[12:13], v16, s4 src0_sel:BYTE_0 src1_sel:DWORD
	s_mov_b64 s[4:5], -1
                                        ; implicit-def: $sgpr10
	s_and_saveexec_b64 s[8:9], s[12:13]
; %bb.2370:
	s_mov_b32 s10, 0x7f800001
	s_xor_b64 s[4:5], exec, -1
; %bb.2371:
	s_or_b64 exec, exec, s[8:9]
	s_and_b64 s[4:5], s[4:5], exec
	s_or_saveexec_b64 s[6:7], s[6:7]
	v_mov_b32_e32 v10, s10
	s_xor_b64 exec, exec, s[6:7]
	s_cbranch_execz .LBB19_322
.LBB19_2372:
	v_mov_b32_e32 v10, 0
	v_cmp_ne_u16_sdwa s[8:9], v16, v10 src0_sel:BYTE_0 src1_sel:DWORD
	s_andn2_b64 s[4:5], s[4:5], exec
	s_and_b64 s[8:9], s[8:9], exec
	s_or_b64 s[4:5], s[4:5], s[8:9]
	s_or_b64 exec, exec, s[6:7]
	s_and_saveexec_b64 s[6:7], s[4:5]
	s_cbranch_execnz .LBB19_323
	s_branch .LBB19_324
.LBB19_2373:
	s_movk_i32 s4, 0x80
	v_cmp_eq_u16_sdwa s[12:13], v12, s4 src0_sel:BYTE_0 src1_sel:DWORD
	s_mov_b64 s[4:5], -1
                                        ; implicit-def: $sgpr10
	s_and_saveexec_b64 s[8:9], s[12:13]
; %bb.2374:
	s_mov_b32 s10, 0x7f800001
	s_xor_b64 s[4:5], exec, -1
; %bb.2375:
	s_or_b64 exec, exec, s[8:9]
	s_and_b64 s[4:5], s[4:5], exec
	s_or_saveexec_b64 s[6:7], s[6:7]
	v_mov_b32_e32 v11, s10
	s_xor_b64 exec, exec, s[6:7]
	s_cbranch_execz .LBB19_326
.LBB19_2376:
	v_mov_b32_e32 v11, 0
	v_cmp_ne_u16_sdwa s[8:9], v12, v11 src0_sel:BYTE_0 src1_sel:DWORD
	s_andn2_b64 s[4:5], s[4:5], exec
	s_and_b64 s[8:9], s[8:9], exec
	s_or_b64 s[4:5], s[4:5], s[8:9]
	s_or_b64 exec, exec, s[6:7]
	s_and_saveexec_b64 s[6:7], s[4:5]
	s_cbranch_execnz .LBB19_327
	s_branch .LBB19_328
.LBB19_2377:
	s_movk_i32 s4, 0x80
	v_cmp_eq_u16_sdwa s[12:13], v11, s4 src0_sel:BYTE_0 src1_sel:DWORD
	s_mov_b64 s[4:5], -1
                                        ; implicit-def: $sgpr10
	s_and_saveexec_b64 s[8:9], s[12:13]
; %bb.2378:
	s_mov_b32 s10, 0x7f800001
	s_xor_b64 s[4:5], exec, -1
; %bb.2379:
	s_or_b64 exec, exec, s[8:9]
	s_and_b64 s[4:5], s[4:5], exec
	s_or_saveexec_b64 s[6:7], s[6:7]
	v_mov_b32_e32 v10, s10
	s_xor_b64 exec, exec, s[6:7]
	s_cbranch_execz .LBB19_330
.LBB19_2380:
	v_mov_b32_e32 v10, 0
	v_cmp_ne_u16_sdwa s[8:9], v11, v10 src0_sel:BYTE_0 src1_sel:DWORD
	s_andn2_b64 s[4:5], s[4:5], exec
	s_and_b64 s[8:9], s[8:9], exec
	s_or_b64 s[4:5], s[4:5], s[8:9]
	s_or_b64 exec, exec, s[6:7]
	s_and_saveexec_b64 s[6:7], s[4:5]
	s_cbranch_execnz .LBB19_331
	s_branch .LBB19_332
.LBB19_2381:
	s_movk_i32 s4, 0x80
	v_cmp_eq_u16_sdwa s[12:13], v11, s4 src0_sel:BYTE_0 src1_sel:DWORD
	s_mov_b64 s[4:5], -1
                                        ; implicit-def: $sgpr10
	s_and_saveexec_b64 s[8:9], s[12:13]
; %bb.2382:
	s_mov_b32 s10, 0x7f800001
	s_xor_b64 s[4:5], exec, -1
; %bb.2383:
	s_or_b64 exec, exec, s[8:9]
	s_and_b64 s[4:5], s[4:5], exec
	s_or_saveexec_b64 s[6:7], s[6:7]
	v_mov_b32_e32 v14, s10
	s_xor_b64 exec, exec, s[6:7]
	s_cbranch_execz .LBB19_334
.LBB19_2384:
	v_mov_b32_e32 v14, 0
	v_cmp_ne_u16_sdwa s[8:9], v11, v14 src0_sel:BYTE_0 src1_sel:DWORD
	s_andn2_b64 s[4:5], s[4:5], exec
	s_and_b64 s[8:9], s[8:9], exec
	s_or_b64 s[4:5], s[4:5], s[8:9]
	s_or_b64 exec, exec, s[6:7]
	s_and_saveexec_b64 s[6:7], s[4:5]
	s_cbranch_execnz .LBB19_335
	s_branch .LBB19_336
.LBB19_2385:
	s_movk_i32 s4, 0x80
	v_cmp_eq_u16_e32 vcc, s4, v11
	s_mov_b64 s[4:5], -1
                                        ; implicit-def: $sgpr10
	s_and_saveexec_b64 s[8:9], vcc
; %bb.2386:
	s_mov_b32 s10, 0x7f800001
	s_xor_b64 s[4:5], exec, -1
; %bb.2387:
	s_or_b64 exec, exec, s[8:9]
	s_and_b64 s[4:5], s[4:5], exec
                                        ; implicit-def: $vgpr11
	s_or_saveexec_b64 s[6:7], s[6:7]
	v_mov_b32_e32 v10, s10
	s_xor_b64 exec, exec, s[6:7]
	s_cbranch_execz .LBB19_338
.LBB19_2388:
	v_cmp_ne_u16_e32 vcc, 0, v11
	s_andn2_b64 s[4:5], s[4:5], exec
	s_and_b64 s[8:9], vcc, exec
	v_mov_b32_e32 v10, 0
	s_or_b64 s[4:5], s[4:5], s[8:9]
	s_or_b64 exec, exec, s[6:7]
	s_and_saveexec_b64 s[6:7], s[4:5]
	s_cbranch_execnz .LBB19_339
	s_branch .LBB19_340
.LBB19_2389:
	s_movk_i32 s4, 0x80
	v_cmp_eq_u16_e32 vcc, s4, v11
	s_mov_b64 s[4:5], -1
                                        ; implicit-def: $sgpr10
	s_and_saveexec_b64 s[8:9], vcc
; %bb.2390:
	s_mov_b32 s10, 0x7f800001
	s_xor_b64 s[4:5], exec, -1
; %bb.2391:
	s_or_b64 exec, exec, s[8:9]
	s_and_b64 s[4:5], s[4:5], exec
                                        ; implicit-def: $vgpr11
	s_or_saveexec_b64 s[6:7], s[6:7]
	v_mov_b32_e32 v14, s10
	s_xor_b64 exec, exec, s[6:7]
	s_cbranch_execz .LBB19_342
.LBB19_2392:
	v_cmp_ne_u16_e32 vcc, 0, v11
	s_andn2_b64 s[4:5], s[4:5], exec
	s_and_b64 s[8:9], vcc, exec
	v_mov_b32_e32 v14, 0
	s_or_b64 s[4:5], s[4:5], s[8:9]
	s_or_b64 exec, exec, s[6:7]
	s_and_saveexec_b64 s[6:7], s[4:5]
	s_cbranch_execnz .LBB19_343
	s_branch .LBB19_344
.LBB19_2393:
	s_movk_i32 s4, 0x80
	v_cmp_eq_u16_sdwa s[12:13], v16, s4 src0_sel:BYTE_3 src1_sel:DWORD
	s_mov_b64 s[4:5], -1
                                        ; implicit-def: $sgpr10
	s_and_saveexec_b64 s[8:9], s[12:13]
; %bb.2394:
	s_mov_b32 s10, 0x7f800001
	s_xor_b64 s[4:5], exec, -1
; %bb.2395:
	s_or_b64 exec, exec, s[8:9]
	s_and_b64 s[4:5], s[4:5], exec
	s_or_saveexec_b64 s[6:7], s[6:7]
	v_mov_b32_e32 v10, s10
	s_xor_b64 exec, exec, s[6:7]
	s_cbranch_execz .LBB19_346
.LBB19_2396:
	v_mov_b32_e32 v10, 0
	v_cmp_ne_u16_sdwa s[8:9], v16, v10 src0_sel:BYTE_3 src1_sel:DWORD
	s_andn2_b64 s[4:5], s[4:5], exec
	s_and_b64 s[8:9], s[8:9], exec
	s_or_b64 s[4:5], s[4:5], s[8:9]
	s_or_b64 exec, exec, s[6:7]
	s_and_saveexec_b64 s[6:7], s[4:5]
	s_cbranch_execnz .LBB19_347
	s_branch .LBB19_348
.LBB19_2397:
	s_movk_i32 s4, 0x80
	v_cmp_eq_u16_sdwa s[12:13], v12, s4 src0_sel:BYTE_3 src1_sel:DWORD
	s_mov_b64 s[4:5], -1
                                        ; implicit-def: $sgpr10
	s_and_saveexec_b64 s[8:9], s[12:13]
; %bb.2398:
	s_mov_b32 s10, 0x7f800001
	s_xor_b64 s[4:5], exec, -1
; %bb.2399:
	s_or_b64 exec, exec, s[8:9]
	s_and_b64 s[4:5], s[4:5], exec
	s_or_saveexec_b64 s[6:7], s[6:7]
	v_mov_b32_e32 v11, s10
	s_xor_b64 exec, exec, s[6:7]
	s_cbranch_execz .LBB19_350
.LBB19_2400:
	v_mov_b32_e32 v11, 0
	v_cmp_ne_u16_sdwa s[8:9], v12, v11 src0_sel:BYTE_3 src1_sel:DWORD
	s_andn2_b64 s[4:5], s[4:5], exec
	s_and_b64 s[8:9], s[8:9], exec
	s_or_b64 s[4:5], s[4:5], s[8:9]
	s_or_b64 exec, exec, s[6:7]
	s_and_saveexec_b64 s[6:7], s[4:5]
	s_cbranch_execnz .LBB19_351
	s_branch .LBB19_352
.LBB19_2401:
	s_movk_i32 s4, 0x80
	v_cmp_eq_u16_sdwa s[12:13], v17, s4 src0_sel:BYTE_0 src1_sel:DWORD
	s_mov_b64 s[4:5], -1
                                        ; implicit-def: $sgpr10
	s_and_saveexec_b64 s[8:9], s[12:13]
; %bb.2402:
	s_mov_b32 s10, 0x7f800001
	s_xor_b64 s[4:5], exec, -1
; %bb.2403:
	s_or_b64 exec, exec, s[8:9]
	s_and_b64 s[4:5], s[4:5], exec
	s_or_saveexec_b64 s[6:7], s[6:7]
	v_mov_b32_e32 v10, s10
	s_xor_b64 exec, exec, s[6:7]
	s_cbranch_execz .LBB19_354
.LBB19_2404:
	v_mov_b32_e32 v10, 0
	v_cmp_ne_u16_sdwa s[8:9], v17, v10 src0_sel:BYTE_0 src1_sel:DWORD
	s_andn2_b64 s[4:5], s[4:5], exec
	s_and_b64 s[8:9], s[8:9], exec
	s_or_b64 s[4:5], s[4:5], s[8:9]
	s_or_b64 exec, exec, s[6:7]
	s_and_saveexec_b64 s[6:7], s[4:5]
	s_cbranch_execnz .LBB19_355
	s_branch .LBB19_356
.LBB19_2405:
	s_movk_i32 s4, 0x80
	v_cmp_eq_u16_sdwa s[12:13], v13, s4 src0_sel:BYTE_0 src1_sel:DWORD
	s_mov_b64 s[4:5], -1
                                        ; implicit-def: $sgpr10
	s_and_saveexec_b64 s[8:9], s[12:13]
; %bb.2406:
	s_mov_b32 s10, 0x7f800001
	s_xor_b64 s[4:5], exec, -1
; %bb.2407:
	s_or_b64 exec, exec, s[8:9]
	s_and_b64 s[4:5], s[4:5], exec
	s_or_saveexec_b64 s[6:7], s[6:7]
	v_mov_b32_e32 v11, s10
	s_xor_b64 exec, exec, s[6:7]
	s_cbranch_execz .LBB19_358
.LBB19_2408:
	v_mov_b32_e32 v11, 0
	v_cmp_ne_u16_sdwa s[8:9], v13, v11 src0_sel:BYTE_0 src1_sel:DWORD
	s_andn2_b64 s[4:5], s[4:5], exec
	s_and_b64 s[8:9], s[8:9], exec
	s_or_b64 s[4:5], s[4:5], s[8:9]
	s_or_b64 exec, exec, s[6:7]
	s_and_saveexec_b64 s[6:7], s[4:5]
	s_cbranch_execnz .LBB19_359
	s_branch .LBB19_360
.LBB19_2409:
	s_movk_i32 s4, 0x80
	v_cmp_eq_u16_sdwa s[12:13], v11, s4 src0_sel:BYTE_0 src1_sel:DWORD
	s_mov_b64 s[4:5], -1
                                        ; implicit-def: $sgpr10
	s_and_saveexec_b64 s[8:9], s[12:13]
; %bb.2410:
	s_mov_b32 s10, 0x7f800001
	s_xor_b64 s[4:5], exec, -1
; %bb.2411:
	s_or_b64 exec, exec, s[8:9]
	s_and_b64 s[4:5], s[4:5], exec
	s_or_saveexec_b64 s[6:7], s[6:7]
	v_mov_b32_e32 v10, s10
	s_xor_b64 exec, exec, s[6:7]
	s_cbranch_execz .LBB19_362
.LBB19_2412:
	v_mov_b32_e32 v10, 0
	v_cmp_ne_u16_sdwa s[8:9], v11, v10 src0_sel:BYTE_0 src1_sel:DWORD
	s_andn2_b64 s[4:5], s[4:5], exec
	s_and_b64 s[8:9], s[8:9], exec
	s_or_b64 s[4:5], s[4:5], s[8:9]
	s_or_b64 exec, exec, s[6:7]
	s_and_saveexec_b64 s[6:7], s[4:5]
	s_cbranch_execnz .LBB19_363
	s_branch .LBB19_364
.LBB19_2413:
	s_movk_i32 s4, 0x80
	v_cmp_eq_u16_sdwa s[12:13], v11, s4 src0_sel:BYTE_0 src1_sel:DWORD
	s_mov_b64 s[4:5], -1
                                        ; implicit-def: $sgpr10
	s_and_saveexec_b64 s[8:9], s[12:13]
; %bb.2414:
	s_mov_b32 s10, 0x7f800001
	s_xor_b64 s[4:5], exec, -1
; %bb.2415:
	s_or_b64 exec, exec, s[8:9]
	s_and_b64 s[4:5], s[4:5], exec
	s_or_saveexec_b64 s[6:7], s[6:7]
	v_mov_b32_e32 v12, s10
	s_xor_b64 exec, exec, s[6:7]
	s_cbranch_execz .LBB19_366
.LBB19_2416:
	v_mov_b32_e32 v12, 0
	v_cmp_ne_u16_sdwa s[8:9], v11, v12 src0_sel:BYTE_0 src1_sel:DWORD
	s_andn2_b64 s[4:5], s[4:5], exec
	s_and_b64 s[8:9], s[8:9], exec
	s_or_b64 s[4:5], s[4:5], s[8:9]
	s_or_b64 exec, exec, s[6:7]
	s_and_saveexec_b64 s[6:7], s[4:5]
	s_cbranch_execnz .LBB19_367
	s_branch .LBB19_368
.LBB19_2417:
	s_movk_i32 s4, 0x80
	v_cmp_eq_u16_e32 vcc, s4, v11
	s_mov_b64 s[4:5], -1
                                        ; implicit-def: $sgpr10
	s_and_saveexec_b64 s[8:9], vcc
; %bb.2418:
	s_mov_b32 s10, 0x7f800001
	s_xor_b64 s[4:5], exec, -1
; %bb.2419:
	s_or_b64 exec, exec, s[8:9]
	s_and_b64 s[4:5], s[4:5], exec
                                        ; implicit-def: $vgpr11
	s_or_saveexec_b64 s[6:7], s[6:7]
	v_mov_b32_e32 v10, s10
	s_xor_b64 exec, exec, s[6:7]
	s_cbranch_execz .LBB19_370
.LBB19_2420:
	v_cmp_ne_u16_e32 vcc, 0, v11
	s_andn2_b64 s[4:5], s[4:5], exec
	s_and_b64 s[8:9], vcc, exec
	v_mov_b32_e32 v10, 0
	s_or_b64 s[4:5], s[4:5], s[8:9]
	s_or_b64 exec, exec, s[6:7]
	s_and_saveexec_b64 s[6:7], s[4:5]
	s_cbranch_execnz .LBB19_371
	s_branch .LBB19_372
.LBB19_2421:
	s_movk_i32 s4, 0x80
	v_cmp_eq_u16_e32 vcc, s4, v11
	s_mov_b64 s[4:5], -1
                                        ; implicit-def: $sgpr10
	s_and_saveexec_b64 s[8:9], vcc
; %bb.2422:
	s_mov_b32 s10, 0x7f800001
	s_xor_b64 s[4:5], exec, -1
; %bb.2423:
	s_or_b64 exec, exec, s[8:9]
	s_and_b64 s[4:5], s[4:5], exec
                                        ; implicit-def: $vgpr11
	s_or_saveexec_b64 s[6:7], s[6:7]
	v_mov_b32_e32 v12, s10
	s_xor_b64 exec, exec, s[6:7]
	s_cbranch_execz .LBB19_374
.LBB19_2424:
	v_cmp_ne_u16_e32 vcc, 0, v11
	s_andn2_b64 s[4:5], s[4:5], exec
	s_and_b64 s[8:9], vcc, exec
	v_mov_b32_e32 v12, 0
	s_or_b64 s[4:5], s[4:5], s[8:9]
	s_or_b64 exec, exec, s[6:7]
	s_and_saveexec_b64 s[6:7], s[4:5]
	s_cbranch_execnz .LBB19_375
	s_branch .LBB19_376
.LBB19_2425:
	s_movk_i32 s4, 0x80
	v_cmp_eq_u16_sdwa s[12:13], v17, s4 src0_sel:BYTE_3 src1_sel:DWORD
	s_mov_b64 s[4:5], -1
                                        ; implicit-def: $sgpr10
	s_and_saveexec_b64 s[8:9], s[12:13]
; %bb.2426:
	s_mov_b32 s10, 0x7f800001
	s_xor_b64 s[4:5], exec, -1
; %bb.2427:
	s_or_b64 exec, exec, s[8:9]
	s_and_b64 s[4:5], s[4:5], exec
	s_or_saveexec_b64 s[6:7], s[6:7]
	v_mov_b32_e32 v10, s10
	s_xor_b64 exec, exec, s[6:7]
	s_cbranch_execz .LBB19_378
.LBB19_2428:
	v_mov_b32_e32 v10, 0
	v_cmp_ne_u16_sdwa s[8:9], v17, v10 src0_sel:BYTE_3 src1_sel:DWORD
	s_andn2_b64 s[4:5], s[4:5], exec
	s_and_b64 s[8:9], s[8:9], exec
	s_or_b64 s[4:5], s[4:5], s[8:9]
	s_or_b64 exec, exec, s[6:7]
	s_and_saveexec_b64 s[6:7], s[4:5]
	s_cbranch_execnz .LBB19_379
	s_branch .LBB19_380
.LBB19_2429:
	s_movk_i32 s4, 0x80
	v_cmp_eq_u16_sdwa s[12:13], v13, s4 src0_sel:BYTE_3 src1_sel:DWORD
	s_mov_b64 s[4:5], -1
                                        ; implicit-def: $sgpr10
	s_and_saveexec_b64 s[8:9], s[12:13]
; %bb.2430:
	s_mov_b32 s10, 0x7f800001
	s_xor_b64 s[4:5], exec, -1
; %bb.2431:
	s_or_b64 exec, exec, s[8:9]
	s_and_b64 s[4:5], s[4:5], exec
	s_or_saveexec_b64 s[6:7], s[6:7]
	v_mov_b32_e32 v11, s10
	s_xor_b64 exec, exec, s[6:7]
	s_cbranch_execz .LBB19_382
.LBB19_2432:
	v_mov_b32_e32 v11, 0
	v_cmp_ne_u16_sdwa s[8:9], v13, v11 src0_sel:BYTE_3 src1_sel:DWORD
	s_andn2_b64 s[4:5], s[4:5], exec
	s_and_b64 s[8:9], s[8:9], exec
	s_or_b64 s[4:5], s[4:5], s[8:9]
	s_or_b64 exec, exec, s[6:7]
	s_and_saveexec_b64 s[6:7], s[4:5]
	s_cbranch_execnz .LBB19_383
	s_branch .LBB19_384
.LBB19_2433:
	s_movk_i32 s4, 0x80
	v_cmp_eq_u16_sdwa s[12:13], v6, s4 src0_sel:BYTE_0 src1_sel:DWORD
	s_mov_b64 s[4:5], -1
                                        ; implicit-def: $sgpr10
	s_and_saveexec_b64 s[8:9], s[12:13]
; %bb.2434:
	s_mov_b32 s10, 0x7f800001
	s_xor_b64 s[4:5], exec, -1
; %bb.2435:
	s_or_b64 exec, exec, s[8:9]
	s_and_b64 s[4:5], s[4:5], exec
	s_or_saveexec_b64 s[6:7], s[6:7]
	v_mov_b32_e32 v10, s10
	s_xor_b64 exec, exec, s[6:7]
	s_cbranch_execz .LBB19_386
.LBB19_2436:
	v_mov_b32_e32 v10, 0
	v_cmp_ne_u16_sdwa s[8:9], v6, v10 src0_sel:BYTE_0 src1_sel:DWORD
	s_andn2_b64 s[4:5], s[4:5], exec
	s_and_b64 s[8:9], s[8:9], exec
	s_or_b64 s[4:5], s[4:5], s[8:9]
	s_or_b64 exec, exec, s[6:7]
	s_and_saveexec_b64 s[6:7], s[4:5]
	s_cbranch_execnz .LBB19_387
	s_branch .LBB19_388
.LBB19_2437:
	s_movk_i32 s4, 0x80
	v_cmp_eq_u16_sdwa s[12:13], v2, s4 src0_sel:BYTE_0 src1_sel:DWORD
	s_mov_b64 s[4:5], -1
                                        ; implicit-def: $sgpr10
	s_and_saveexec_b64 s[8:9], s[12:13]
; %bb.2438:
	s_mov_b32 s10, 0x7f800001
	s_xor_b64 s[4:5], exec, -1
; %bb.2439:
	s_or_b64 exec, exec, s[8:9]
	s_and_b64 s[4:5], s[4:5], exec
	s_or_saveexec_b64 s[6:7], s[6:7]
	v_mov_b32_e32 v11, s10
	s_xor_b64 exec, exec, s[6:7]
	s_cbranch_execz .LBB19_390
.LBB19_2440:
	v_mov_b32_e32 v11, 0
	v_cmp_ne_u16_sdwa s[8:9], v2, v11 src0_sel:BYTE_0 src1_sel:DWORD
	s_andn2_b64 s[4:5], s[4:5], exec
	s_and_b64 s[8:9], s[8:9], exec
	s_or_b64 s[4:5], s[4:5], s[8:9]
	s_or_b64 exec, exec, s[6:7]
	s_and_saveexec_b64 s[6:7], s[4:5]
	s_cbranch_execnz .LBB19_391
	s_branch .LBB19_392
.LBB19_2441:
	s_movk_i32 s4, 0x80
	v_cmp_eq_u16_sdwa s[12:13], v11, s4 src0_sel:BYTE_0 src1_sel:DWORD
	s_mov_b64 s[4:5], -1
                                        ; implicit-def: $sgpr10
	s_and_saveexec_b64 s[8:9], s[12:13]
; %bb.2442:
	s_mov_b32 s10, 0x7f800001
	s_xor_b64 s[4:5], exec, -1
; %bb.2443:
	s_or_b64 exec, exec, s[8:9]
	s_and_b64 s[4:5], s[4:5], exec
	s_or_saveexec_b64 s[6:7], s[6:7]
	v_mov_b32_e32 v10, s10
	s_xor_b64 exec, exec, s[6:7]
	s_cbranch_execz .LBB19_394
.LBB19_2444:
	v_mov_b32_e32 v10, 0
	v_cmp_ne_u16_sdwa s[8:9], v11, v10 src0_sel:BYTE_0 src1_sel:DWORD
	s_andn2_b64 s[4:5], s[4:5], exec
	s_and_b64 s[8:9], s[8:9], exec
	s_or_b64 s[4:5], s[4:5], s[8:9]
	s_or_b64 exec, exec, s[6:7]
	s_and_saveexec_b64 s[6:7], s[4:5]
	s_cbranch_execnz .LBB19_395
	s_branch .LBB19_396
.LBB19_2445:
	s_movk_i32 s4, 0x80
	v_cmp_eq_u16_sdwa s[12:13], v11, s4 src0_sel:BYTE_0 src1_sel:DWORD
	s_mov_b64 s[4:5], -1
                                        ; implicit-def: $sgpr10
	s_and_saveexec_b64 s[8:9], s[12:13]
; %bb.2446:
	s_mov_b32 s10, 0x7f800001
	s_xor_b64 s[4:5], exec, -1
; %bb.2447:
	s_or_b64 exec, exec, s[8:9]
	s_and_b64 s[4:5], s[4:5], exec
	s_or_saveexec_b64 s[6:7], s[6:7]
	v_mov_b32_e32 v12, s10
	s_xor_b64 exec, exec, s[6:7]
	s_cbranch_execz .LBB19_398
.LBB19_2448:
	v_mov_b32_e32 v12, 0
	v_cmp_ne_u16_sdwa s[8:9], v11, v12 src0_sel:BYTE_0 src1_sel:DWORD
	s_andn2_b64 s[4:5], s[4:5], exec
	s_and_b64 s[8:9], s[8:9], exec
	s_or_b64 s[4:5], s[4:5], s[8:9]
	s_or_b64 exec, exec, s[6:7]
	s_and_saveexec_b64 s[6:7], s[4:5]
	s_cbranch_execnz .LBB19_399
	s_branch .LBB19_400
.LBB19_2449:
	s_movk_i32 s4, 0x80
	v_cmp_eq_u16_e32 vcc, s4, v11
	s_mov_b64 s[4:5], -1
                                        ; implicit-def: $sgpr10
	s_and_saveexec_b64 s[8:9], vcc
; %bb.2450:
	s_mov_b32 s10, 0x7f800001
	s_xor_b64 s[4:5], exec, -1
; %bb.2451:
	s_or_b64 exec, exec, s[8:9]
	s_and_b64 s[4:5], s[4:5], exec
                                        ; implicit-def: $vgpr11
	s_or_saveexec_b64 s[6:7], s[6:7]
	v_mov_b32_e32 v10, s10
	s_xor_b64 exec, exec, s[6:7]
	s_cbranch_execz .LBB19_402
.LBB19_2452:
	v_cmp_ne_u16_e32 vcc, 0, v11
	s_andn2_b64 s[4:5], s[4:5], exec
	s_and_b64 s[8:9], vcc, exec
	v_mov_b32_e32 v10, 0
	s_or_b64 s[4:5], s[4:5], s[8:9]
	s_or_b64 exec, exec, s[6:7]
	s_and_saveexec_b64 s[6:7], s[4:5]
	s_cbranch_execnz .LBB19_403
	s_branch .LBB19_404
.LBB19_2453:
	s_movk_i32 s4, 0x80
	v_cmp_eq_u16_e32 vcc, s4, v11
	s_mov_b64 s[4:5], -1
                                        ; implicit-def: $sgpr10
	s_and_saveexec_b64 s[8:9], vcc
; %bb.2454:
	s_mov_b32 s10, 0x7f800001
	s_xor_b64 s[4:5], exec, -1
; %bb.2455:
	s_or_b64 exec, exec, s[8:9]
	s_and_b64 s[4:5], s[4:5], exec
                                        ; implicit-def: $vgpr11
	s_or_saveexec_b64 s[6:7], s[6:7]
	v_mov_b32_e32 v12, s10
	s_xor_b64 exec, exec, s[6:7]
	s_cbranch_execz .LBB19_406
.LBB19_2456:
	v_cmp_ne_u16_e32 vcc, 0, v11
	s_andn2_b64 s[4:5], s[4:5], exec
	s_and_b64 s[8:9], vcc, exec
	v_mov_b32_e32 v12, 0
	s_or_b64 s[4:5], s[4:5], s[8:9]
	s_or_b64 exec, exec, s[6:7]
	s_and_saveexec_b64 s[6:7], s[4:5]
	s_cbranch_execnz .LBB19_407
	s_branch .LBB19_408
.LBB19_2457:
	s_movk_i32 s4, 0x80
	v_cmp_eq_u16_sdwa s[12:13], v6, s4 src0_sel:BYTE_3 src1_sel:DWORD
	s_mov_b64 s[4:5], -1
                                        ; implicit-def: $sgpr10
	s_and_saveexec_b64 s[8:9], s[12:13]
; %bb.2458:
	s_mov_b32 s10, 0x7f800001
	s_xor_b64 s[4:5], exec, -1
; %bb.2459:
	s_or_b64 exec, exec, s[8:9]
	s_and_b64 s[4:5], s[4:5], exec
	s_or_saveexec_b64 s[6:7], s[6:7]
	v_mov_b32_e32 v10, s10
	s_xor_b64 exec, exec, s[6:7]
	s_cbranch_execz .LBB19_410
.LBB19_2460:
	v_mov_b32_e32 v10, 0
	v_cmp_ne_u16_sdwa s[8:9], v6, v10 src0_sel:BYTE_3 src1_sel:DWORD
	s_andn2_b64 s[4:5], s[4:5], exec
	s_and_b64 s[8:9], s[8:9], exec
	s_or_b64 s[4:5], s[4:5], s[8:9]
	s_or_b64 exec, exec, s[6:7]
	s_and_saveexec_b64 s[6:7], s[4:5]
	s_cbranch_execnz .LBB19_411
	s_branch .LBB19_412
.LBB19_2461:
	s_movk_i32 s4, 0x80
	v_cmp_eq_u16_sdwa s[12:13], v2, s4 src0_sel:BYTE_3 src1_sel:DWORD
	s_mov_b64 s[4:5], -1
                                        ; implicit-def: $sgpr10
	s_and_saveexec_b64 s[8:9], s[12:13]
; %bb.2462:
	s_mov_b32 s10, 0x7f800001
	s_xor_b64 s[4:5], exec, -1
; %bb.2463:
	s_or_b64 exec, exec, s[8:9]
	s_and_b64 s[4:5], s[4:5], exec
	s_or_saveexec_b64 s[6:7], s[6:7]
	v_mov_b32_e32 v6, s10
	s_xor_b64 exec, exec, s[6:7]
	s_cbranch_execz .LBB19_414
.LBB19_2464:
	v_mov_b32_e32 v6, 0
	v_cmp_ne_u16_sdwa s[8:9], v2, v6 src0_sel:BYTE_3 src1_sel:DWORD
	s_andn2_b64 s[4:5], s[4:5], exec
	s_and_b64 s[8:9], s[8:9], exec
	s_or_b64 s[4:5], s[4:5], s[8:9]
	s_or_b64 exec, exec, s[6:7]
	s_and_saveexec_b64 s[6:7], s[4:5]
	s_cbranch_execnz .LBB19_415
	s_branch .LBB19_416
.LBB19_2465:
	s_movk_i32 s4, 0x80
	v_cmp_eq_u16_sdwa s[12:13], v7, s4 src0_sel:BYTE_0 src1_sel:DWORD
	s_mov_b64 s[4:5], -1
                                        ; implicit-def: $sgpr10
	s_and_saveexec_b64 s[8:9], s[12:13]
; %bb.2466:
	s_mov_b32 s10, 0x7f800001
	s_xor_b64 s[4:5], exec, -1
; %bb.2467:
	s_or_b64 exec, exec, s[8:9]
	s_and_b64 s[4:5], s[4:5], exec
	s_or_saveexec_b64 s[6:7], s[6:7]
	v_mov_b32_e32 v2, s10
	s_xor_b64 exec, exec, s[6:7]
	s_cbranch_execz .LBB19_418
.LBB19_2468:
	v_mov_b32_e32 v2, 0
	v_cmp_ne_u16_sdwa s[8:9], v7, v2 src0_sel:BYTE_0 src1_sel:DWORD
	s_andn2_b64 s[4:5], s[4:5], exec
	s_and_b64 s[8:9], s[8:9], exec
	s_or_b64 s[4:5], s[4:5], s[8:9]
	s_or_b64 exec, exec, s[6:7]
	s_and_saveexec_b64 s[6:7], s[4:5]
	s_cbranch_execnz .LBB19_419
	s_branch .LBB19_420
.LBB19_2469:
	s_movk_i32 s4, 0x80
	v_cmp_eq_u16_sdwa s[12:13], v3, s4 src0_sel:BYTE_0 src1_sel:DWORD
	s_mov_b64 s[4:5], -1
                                        ; implicit-def: $sgpr10
	s_and_saveexec_b64 s[8:9], s[12:13]
; %bb.2470:
	s_mov_b32 s10, 0x7f800001
	s_xor_b64 s[4:5], exec, -1
; %bb.2471:
	s_or_b64 exec, exec, s[8:9]
	s_and_b64 s[4:5], s[4:5], exec
	s_or_saveexec_b64 s[6:7], s[6:7]
	v_mov_b32_e32 v6, s10
	s_xor_b64 exec, exec, s[6:7]
	s_cbranch_execz .LBB19_422
.LBB19_2472:
	v_mov_b32_e32 v6, 0
	v_cmp_ne_u16_sdwa s[8:9], v3, v6 src0_sel:BYTE_0 src1_sel:DWORD
	s_andn2_b64 s[4:5], s[4:5], exec
	s_and_b64 s[8:9], s[8:9], exec
	s_or_b64 s[4:5], s[4:5], s[8:9]
	s_or_b64 exec, exec, s[6:7]
	s_and_saveexec_b64 s[6:7], s[4:5]
	s_cbranch_execnz .LBB19_423
	s_branch .LBB19_424
.LBB19_2473:
	s_movk_i32 s4, 0x80
	v_cmp_eq_u16_sdwa s[12:13], v6, s4 src0_sel:BYTE_0 src1_sel:DWORD
	s_mov_b64 s[4:5], -1
                                        ; implicit-def: $sgpr10
	s_and_saveexec_b64 s[8:9], s[12:13]
; %bb.2474:
	s_mov_b32 s10, 0x7f800001
	s_xor_b64 s[4:5], exec, -1
; %bb.2475:
	s_or_b64 exec, exec, s[8:9]
	s_and_b64 s[4:5], s[4:5], exec
	s_or_saveexec_b64 s[6:7], s[6:7]
	v_mov_b32_e32 v2, s10
	s_xor_b64 exec, exec, s[6:7]
	s_cbranch_execz .LBB19_426
.LBB19_2476:
	v_mov_b32_e32 v2, 0
	v_cmp_ne_u16_sdwa s[8:9], v6, v2 src0_sel:BYTE_0 src1_sel:DWORD
	s_andn2_b64 s[4:5], s[4:5], exec
	s_and_b64 s[8:9], s[8:9], exec
	s_or_b64 s[4:5], s[4:5], s[8:9]
	s_or_b64 exec, exec, s[6:7]
	s_and_saveexec_b64 s[6:7], s[4:5]
	s_cbranch_execnz .LBB19_427
	s_branch .LBB19_428
.LBB19_2477:
	s_movk_i32 s4, 0x80
	v_cmp_eq_u16_sdwa s[12:13], v6, s4 src0_sel:BYTE_0 src1_sel:DWORD
	s_mov_b64 s[4:5], -1
                                        ; implicit-def: $sgpr10
	s_and_saveexec_b64 s[8:9], s[12:13]
; %bb.2478:
	s_mov_b32 s10, 0x7f800001
	s_xor_b64 s[4:5], exec, -1
; %bb.2479:
	s_or_b64 exec, exec, s[8:9]
	s_and_b64 s[4:5], s[4:5], exec
	s_or_saveexec_b64 s[6:7], s[6:7]
	v_mov_b32_e32 v10, s10
	s_xor_b64 exec, exec, s[6:7]
	s_cbranch_execz .LBB19_430
.LBB19_2480:
	v_mov_b32_e32 v10, 0
	v_cmp_ne_u16_sdwa s[8:9], v6, v10 src0_sel:BYTE_0 src1_sel:DWORD
	s_andn2_b64 s[4:5], s[4:5], exec
	s_and_b64 s[8:9], s[8:9], exec
	s_or_b64 s[4:5], s[4:5], s[8:9]
	s_or_b64 exec, exec, s[6:7]
	s_and_saveexec_b64 s[6:7], s[4:5]
	s_cbranch_execnz .LBB19_431
	s_branch .LBB19_432
.LBB19_2481:
	s_movk_i32 s4, 0x80
	v_cmp_eq_u16_e32 vcc, s4, v6
	s_mov_b64 s[4:5], -1
                                        ; implicit-def: $sgpr10
	s_and_saveexec_b64 s[8:9], vcc
; %bb.2482:
	s_mov_b32 s10, 0x7f800001
	s_xor_b64 s[4:5], exec, -1
; %bb.2483:
	s_or_b64 exec, exec, s[8:9]
	s_and_b64 s[4:5], s[4:5], exec
                                        ; implicit-def: $vgpr6
	s_or_saveexec_b64 s[6:7], s[6:7]
	v_mov_b32_e32 v2, s10
	s_xor_b64 exec, exec, s[6:7]
	s_cbranch_execz .LBB19_434
.LBB19_2484:
	v_cmp_ne_u16_e32 vcc, 0, v6
	s_andn2_b64 s[4:5], s[4:5], exec
	s_and_b64 s[8:9], vcc, exec
	v_mov_b32_e32 v2, 0
	s_or_b64 s[4:5], s[4:5], s[8:9]
	s_or_b64 exec, exec, s[6:7]
	s_and_saveexec_b64 s[6:7], s[4:5]
	s_cbranch_execnz .LBB19_435
	s_branch .LBB19_436
.LBB19_2485:
	s_movk_i32 s4, 0x80
	v_cmp_eq_u16_e32 vcc, s4, v6
	s_mov_b64 s[4:5], -1
                                        ; implicit-def: $sgpr10
	s_and_saveexec_b64 s[8:9], vcc
; %bb.2486:
	s_mov_b32 s10, 0x7f800001
	s_xor_b64 s[4:5], exec, -1
; %bb.2487:
	s_or_b64 exec, exec, s[8:9]
	s_and_b64 s[4:5], s[4:5], exec
                                        ; implicit-def: $vgpr6
	s_or_saveexec_b64 s[6:7], s[6:7]
	v_mov_b32_e32 v10, s10
	s_xor_b64 exec, exec, s[6:7]
	s_cbranch_execz .LBB19_438
.LBB19_2488:
	v_cmp_ne_u16_e32 vcc, 0, v6
	s_andn2_b64 s[4:5], s[4:5], exec
	s_and_b64 s[8:9], vcc, exec
	v_mov_b32_e32 v10, 0
	s_or_b64 s[4:5], s[4:5], s[8:9]
	s_or_b64 exec, exec, s[6:7]
	s_and_saveexec_b64 s[6:7], s[4:5]
	s_cbranch_execnz .LBB19_439
	s_branch .LBB19_440
.LBB19_2489:
	s_movk_i32 s4, 0x80
	v_cmp_eq_u16_sdwa s[12:13], v7, s4 src0_sel:BYTE_3 src1_sel:DWORD
	s_mov_b64 s[4:5], -1
                                        ; implicit-def: $sgpr10
	s_and_saveexec_b64 s[8:9], s[12:13]
; %bb.2490:
	s_mov_b32 s10, 0x7f800001
	s_xor_b64 s[4:5], exec, -1
; %bb.2491:
	s_or_b64 exec, exec, s[8:9]
	s_and_b64 s[4:5], s[4:5], exec
	s_or_saveexec_b64 s[6:7], s[6:7]
	v_mov_b32_e32 v2, s10
	s_xor_b64 exec, exec, s[6:7]
	s_cbranch_execz .LBB19_442
.LBB19_2492:
	v_mov_b32_e32 v2, 0
	v_cmp_ne_u16_sdwa s[8:9], v7, v2 src0_sel:BYTE_3 src1_sel:DWORD
	s_andn2_b64 s[4:5], s[4:5], exec
	s_and_b64 s[8:9], s[8:9], exec
	s_or_b64 s[4:5], s[4:5], s[8:9]
	s_or_b64 exec, exec, s[6:7]
	s_and_saveexec_b64 s[6:7], s[4:5]
	s_cbranch_execnz .LBB19_443
	s_branch .LBB19_444
.LBB19_2493:
	s_movk_i32 s4, 0x80
	v_cmp_eq_u16_sdwa s[12:13], v3, s4 src0_sel:BYTE_3 src1_sel:DWORD
	s_mov_b64 s[4:5], -1
                                        ; implicit-def: $sgpr10
	s_and_saveexec_b64 s[8:9], s[12:13]
; %bb.2494:
	s_mov_b32 s10, 0x7f800001
	s_xor_b64 s[4:5], exec, -1
; %bb.2495:
	s_or_b64 exec, exec, s[8:9]
	s_and_b64 s[4:5], s[4:5], exec
	s_or_saveexec_b64 s[6:7], s[6:7]
	v_mov_b32_e32 v6, s10
	s_xor_b64 exec, exec, s[6:7]
	s_cbranch_execz .LBB19_446
.LBB19_2496:
	v_mov_b32_e32 v6, 0
	v_cmp_ne_u16_sdwa s[8:9], v3, v6 src0_sel:BYTE_3 src1_sel:DWORD
	s_andn2_b64 s[4:5], s[4:5], exec
	s_and_b64 s[8:9], s[8:9], exec
	s_or_b64 s[4:5], s[4:5], s[8:9]
	s_or_b64 exec, exec, s[6:7]
	s_and_saveexec_b64 s[6:7], s[4:5]
	s_cbranch_execnz .LBB19_447
	s_branch .LBB19_448
.LBB19_2497:
	s_movk_i32 s4, 0x80
	v_cmp_eq_u16_sdwa s[12:13], v8, s4 src0_sel:BYTE_0 src1_sel:DWORD
	s_mov_b64 s[4:5], -1
                                        ; implicit-def: $sgpr10
	s_and_saveexec_b64 s[8:9], s[12:13]
; %bb.2498:
	s_mov_b32 s10, 0x7f800001
	s_xor_b64 s[4:5], exec, -1
; %bb.2499:
	s_or_b64 exec, exec, s[8:9]
	s_and_b64 s[4:5], s[4:5], exec
	s_or_saveexec_b64 s[6:7], s[6:7]
	v_mov_b32_e32 v2, s10
	s_xor_b64 exec, exec, s[6:7]
	s_cbranch_execz .LBB19_450
.LBB19_2500:
	v_mov_b32_e32 v2, 0
	v_cmp_ne_u16_sdwa s[8:9], v8, v2 src0_sel:BYTE_0 src1_sel:DWORD
	s_andn2_b64 s[4:5], s[4:5], exec
	s_and_b64 s[8:9], s[8:9], exec
	s_or_b64 s[4:5], s[4:5], s[8:9]
	s_or_b64 exec, exec, s[6:7]
	s_and_saveexec_b64 s[6:7], s[4:5]
	s_cbranch_execnz .LBB19_451
	s_branch .LBB19_452
.LBB19_2501:
	s_movk_i32 s4, 0x80
	v_cmp_eq_u16_sdwa s[12:13], v4, s4 src0_sel:BYTE_0 src1_sel:DWORD
	s_mov_b64 s[4:5], -1
                                        ; implicit-def: $sgpr10
	s_and_saveexec_b64 s[8:9], s[12:13]
; %bb.2502:
	s_mov_b32 s10, 0x7f800001
	s_xor_b64 s[4:5], exec, -1
; %bb.2503:
	s_or_b64 exec, exec, s[8:9]
	s_and_b64 s[4:5], s[4:5], exec
	s_or_saveexec_b64 s[6:7], s[6:7]
	v_mov_b32_e32 v3, s10
	s_xor_b64 exec, exec, s[6:7]
	s_cbranch_execz .LBB19_454
.LBB19_2504:
	v_mov_b32_e32 v3, 0
	v_cmp_ne_u16_sdwa s[8:9], v4, v3 src0_sel:BYTE_0 src1_sel:DWORD
	s_andn2_b64 s[4:5], s[4:5], exec
	s_and_b64 s[8:9], s[8:9], exec
	s_or_b64 s[4:5], s[4:5], s[8:9]
	s_or_b64 exec, exec, s[6:7]
	s_and_saveexec_b64 s[6:7], s[4:5]
	s_cbranch_execnz .LBB19_455
	s_branch .LBB19_456
.LBB19_2505:
	s_movk_i32 s4, 0x80
	v_cmp_eq_u16_sdwa s[12:13], v3, s4 src0_sel:BYTE_0 src1_sel:DWORD
	s_mov_b64 s[4:5], -1
                                        ; implicit-def: $sgpr10
	s_and_saveexec_b64 s[8:9], s[12:13]
; %bb.2506:
	s_mov_b32 s10, 0x7f800001
	s_xor_b64 s[4:5], exec, -1
; %bb.2507:
	s_or_b64 exec, exec, s[8:9]
	s_and_b64 s[4:5], s[4:5], exec
	s_or_saveexec_b64 s[6:7], s[6:7]
	v_mov_b32_e32 v2, s10
	s_xor_b64 exec, exec, s[6:7]
	s_cbranch_execz .LBB19_458
.LBB19_2508:
	v_mov_b32_e32 v2, 0
	v_cmp_ne_u16_sdwa s[8:9], v3, v2 src0_sel:BYTE_0 src1_sel:DWORD
	s_andn2_b64 s[4:5], s[4:5], exec
	s_and_b64 s[8:9], s[8:9], exec
	s_or_b64 s[4:5], s[4:5], s[8:9]
	s_or_b64 exec, exec, s[6:7]
	s_and_saveexec_b64 s[6:7], s[4:5]
	s_cbranch_execnz .LBB19_459
	s_branch .LBB19_460
.LBB19_2509:
	s_movk_i32 s4, 0x80
	v_cmp_eq_u16_sdwa s[12:13], v3, s4 src0_sel:BYTE_0 src1_sel:DWORD
	s_mov_b64 s[4:5], -1
                                        ; implicit-def: $sgpr10
	s_and_saveexec_b64 s[8:9], s[12:13]
; %bb.2510:
	s_mov_b32 s10, 0x7f800001
	s_xor_b64 s[4:5], exec, -1
; %bb.2511:
	s_or_b64 exec, exec, s[8:9]
	s_and_b64 s[4:5], s[4:5], exec
	s_or_saveexec_b64 s[6:7], s[6:7]
	v_mov_b32_e32 v6, s10
	s_xor_b64 exec, exec, s[6:7]
	s_cbranch_execz .LBB19_462
.LBB19_2512:
	v_mov_b32_e32 v6, 0
	v_cmp_ne_u16_sdwa s[8:9], v3, v6 src0_sel:BYTE_0 src1_sel:DWORD
	s_andn2_b64 s[4:5], s[4:5], exec
	s_and_b64 s[8:9], s[8:9], exec
	s_or_b64 s[4:5], s[4:5], s[8:9]
	s_or_b64 exec, exec, s[6:7]
	s_and_saveexec_b64 s[6:7], s[4:5]
	s_cbranch_execnz .LBB19_463
	s_branch .LBB19_464
.LBB19_2513:
	s_movk_i32 s4, 0x80
	v_cmp_eq_u16_e32 vcc, s4, v3
	s_mov_b64 s[4:5], -1
                                        ; implicit-def: $sgpr10
	s_and_saveexec_b64 s[8:9], vcc
; %bb.2514:
	s_mov_b32 s10, 0x7f800001
	s_xor_b64 s[4:5], exec, -1
; %bb.2515:
	s_or_b64 exec, exec, s[8:9]
	s_and_b64 s[4:5], s[4:5], exec
                                        ; implicit-def: $vgpr3
	s_or_saveexec_b64 s[6:7], s[6:7]
	v_mov_b32_e32 v2, s10
	s_xor_b64 exec, exec, s[6:7]
	s_cbranch_execz .LBB19_466
.LBB19_2516:
	v_cmp_ne_u16_e32 vcc, 0, v3
	s_andn2_b64 s[4:5], s[4:5], exec
	s_and_b64 s[8:9], vcc, exec
	v_mov_b32_e32 v2, 0
	s_or_b64 s[4:5], s[4:5], s[8:9]
	s_or_b64 exec, exec, s[6:7]
	s_and_saveexec_b64 s[6:7], s[4:5]
	s_cbranch_execnz .LBB19_467
	s_branch .LBB19_468
.LBB19_2517:
	s_movk_i32 s4, 0x80
	v_cmp_eq_u16_e32 vcc, s4, v3
	s_mov_b64 s[4:5], -1
                                        ; implicit-def: $sgpr10
	s_and_saveexec_b64 s[8:9], vcc
; %bb.2518:
	s_mov_b32 s10, 0x7f800001
	s_xor_b64 s[4:5], exec, -1
; %bb.2519:
	s_or_b64 exec, exec, s[8:9]
	s_and_b64 s[4:5], s[4:5], exec
                                        ; implicit-def: $vgpr3
	s_or_saveexec_b64 s[6:7], s[6:7]
	v_mov_b32_e32 v6, s10
	s_xor_b64 exec, exec, s[6:7]
	s_cbranch_execz .LBB19_470
.LBB19_2520:
	v_cmp_ne_u16_e32 vcc, 0, v3
	s_andn2_b64 s[4:5], s[4:5], exec
	s_and_b64 s[8:9], vcc, exec
	v_mov_b32_e32 v6, 0
	s_or_b64 s[4:5], s[4:5], s[8:9]
	s_or_b64 exec, exec, s[6:7]
	s_and_saveexec_b64 s[6:7], s[4:5]
	s_cbranch_execnz .LBB19_471
	s_branch .LBB19_472
.LBB19_2521:
	s_movk_i32 s4, 0x80
	v_cmp_eq_u16_sdwa s[12:13], v8, s4 src0_sel:BYTE_3 src1_sel:DWORD
	s_mov_b64 s[4:5], -1
                                        ; implicit-def: $sgpr10
	s_and_saveexec_b64 s[8:9], s[12:13]
; %bb.2522:
	s_mov_b32 s10, 0x7f800001
	s_xor_b64 s[4:5], exec, -1
; %bb.2523:
	s_or_b64 exec, exec, s[8:9]
	s_and_b64 s[4:5], s[4:5], exec
	s_or_saveexec_b64 s[6:7], s[6:7]
	v_mov_b32_e32 v2, s10
	s_xor_b64 exec, exec, s[6:7]
	s_cbranch_execz .LBB19_474
.LBB19_2524:
	v_mov_b32_e32 v2, 0
	v_cmp_ne_u16_sdwa s[8:9], v8, v2 src0_sel:BYTE_3 src1_sel:DWORD
	s_andn2_b64 s[4:5], s[4:5], exec
	s_and_b64 s[8:9], s[8:9], exec
	s_or_b64 s[4:5], s[4:5], s[8:9]
	s_or_b64 exec, exec, s[6:7]
	s_and_saveexec_b64 s[6:7], s[4:5]
	s_cbranch_execnz .LBB19_475
	s_branch .LBB19_476
.LBB19_2525:
	s_movk_i32 s4, 0x80
	v_cmp_eq_u16_sdwa s[12:13], v4, s4 src0_sel:BYTE_3 src1_sel:DWORD
	s_mov_b64 s[4:5], -1
                                        ; implicit-def: $sgpr10
	s_and_saveexec_b64 s[8:9], s[12:13]
; %bb.2526:
	s_mov_b32 s10, 0x7f800001
	s_xor_b64 s[4:5], exec, -1
; %bb.2527:
	s_or_b64 exec, exec, s[8:9]
	s_and_b64 s[4:5], s[4:5], exec
	s_or_saveexec_b64 s[6:7], s[6:7]
	v_mov_b32_e32 v3, s10
	s_xor_b64 exec, exec, s[6:7]
	s_cbranch_execz .LBB19_478
.LBB19_2528:
	v_mov_b32_e32 v3, 0
	v_cmp_ne_u16_sdwa s[8:9], v4, v3 src0_sel:BYTE_3 src1_sel:DWORD
	s_andn2_b64 s[4:5], s[4:5], exec
	s_and_b64 s[8:9], s[8:9], exec
	s_or_b64 s[4:5], s[4:5], s[8:9]
	s_or_b64 exec, exec, s[6:7]
	s_and_saveexec_b64 s[6:7], s[4:5]
	s_cbranch_execnz .LBB19_479
	s_branch .LBB19_480
.LBB19_2529:
	s_movk_i32 s4, 0x80
	v_cmp_eq_u16_sdwa s[12:13], v9, s4 src0_sel:BYTE_0 src1_sel:DWORD
	s_mov_b64 s[4:5], -1
                                        ; implicit-def: $sgpr10
	s_and_saveexec_b64 s[8:9], s[12:13]
; %bb.2530:
	s_mov_b32 s10, 0x7f800001
	s_xor_b64 s[4:5], exec, -1
; %bb.2531:
	s_or_b64 exec, exec, s[8:9]
	s_and_b64 s[4:5], s[4:5], exec
	s_or_saveexec_b64 s[6:7], s[6:7]
	v_mov_b32_e32 v2, s10
	s_xor_b64 exec, exec, s[6:7]
	s_cbranch_execz .LBB19_482
.LBB19_2532:
	v_mov_b32_e32 v2, 0
	v_cmp_ne_u16_sdwa s[8:9], v9, v2 src0_sel:BYTE_0 src1_sel:DWORD
	s_andn2_b64 s[4:5], s[4:5], exec
	s_and_b64 s[8:9], s[8:9], exec
	s_or_b64 s[4:5], s[4:5], s[8:9]
	s_or_b64 exec, exec, s[6:7]
	s_and_saveexec_b64 s[6:7], s[4:5]
	s_cbranch_execnz .LBB19_483
	s_branch .LBB19_484
.LBB19_2533:
	s_movk_i32 s4, 0x80
	v_cmp_eq_u16_sdwa s[12:13], v5, s4 src0_sel:BYTE_0 src1_sel:DWORD
	s_mov_b64 s[4:5], -1
                                        ; implicit-def: $sgpr10
	s_and_saveexec_b64 s[8:9], s[12:13]
; %bb.2534:
	s_mov_b32 s10, 0x7f800001
	s_xor_b64 s[4:5], exec, -1
; %bb.2535:
	s_or_b64 exec, exec, s[8:9]
	s_and_b64 s[4:5], s[4:5], exec
	s_or_saveexec_b64 s[6:7], s[6:7]
	v_mov_b32_e32 v3, s10
	s_xor_b64 exec, exec, s[6:7]
	s_cbranch_execz .LBB19_486
.LBB19_2536:
	v_mov_b32_e32 v3, 0
	v_cmp_ne_u16_sdwa s[8:9], v5, v3 src0_sel:BYTE_0 src1_sel:DWORD
	s_andn2_b64 s[4:5], s[4:5], exec
	s_and_b64 s[8:9], s[8:9], exec
	s_or_b64 s[4:5], s[4:5], s[8:9]
	s_or_b64 exec, exec, s[6:7]
	s_and_saveexec_b64 s[6:7], s[4:5]
	s_cbranch_execnz .LBB19_487
	s_branch .LBB19_488
.LBB19_2537:
	s_movk_i32 s4, 0x80
	v_cmp_eq_u16_sdwa s[12:13], v3, s4 src0_sel:BYTE_0 src1_sel:DWORD
	s_mov_b64 s[4:5], -1
                                        ; implicit-def: $sgpr10
	s_and_saveexec_b64 s[8:9], s[12:13]
; %bb.2538:
	s_mov_b32 s10, 0x7f800001
	s_xor_b64 s[4:5], exec, -1
; %bb.2539:
	s_or_b64 exec, exec, s[8:9]
	s_and_b64 s[4:5], s[4:5], exec
	s_or_saveexec_b64 s[6:7], s[6:7]
	v_mov_b32_e32 v2, s10
	s_xor_b64 exec, exec, s[6:7]
	s_cbranch_execz .LBB19_490
.LBB19_2540:
	v_mov_b32_e32 v2, 0
	v_cmp_ne_u16_sdwa s[8:9], v3, v2 src0_sel:BYTE_0 src1_sel:DWORD
	s_andn2_b64 s[4:5], s[4:5], exec
	s_and_b64 s[8:9], s[8:9], exec
	s_or_b64 s[4:5], s[4:5], s[8:9]
	s_or_b64 exec, exec, s[6:7]
	s_and_saveexec_b64 s[6:7], s[4:5]
	s_cbranch_execnz .LBB19_491
	s_branch .LBB19_492
.LBB19_2541:
	s_movk_i32 s4, 0x80
	v_cmp_eq_u16_sdwa s[12:13], v3, s4 src0_sel:BYTE_0 src1_sel:DWORD
	s_mov_b64 s[4:5], -1
                                        ; implicit-def: $sgpr10
	s_and_saveexec_b64 s[8:9], s[12:13]
; %bb.2542:
	s_mov_b32 s10, 0x7f800001
	s_xor_b64 s[4:5], exec, -1
; %bb.2543:
	s_or_b64 exec, exec, s[8:9]
	s_and_b64 s[4:5], s[4:5], exec
	s_or_saveexec_b64 s[6:7], s[6:7]
	v_mov_b32_e32 v4, s10
	s_xor_b64 exec, exec, s[6:7]
	s_cbranch_execz .LBB19_494
.LBB19_2544:
	v_mov_b32_e32 v4, 0
	v_cmp_ne_u16_sdwa s[8:9], v3, v4 src0_sel:BYTE_0 src1_sel:DWORD
	s_andn2_b64 s[4:5], s[4:5], exec
	s_and_b64 s[8:9], s[8:9], exec
	s_or_b64 s[4:5], s[4:5], s[8:9]
	s_or_b64 exec, exec, s[6:7]
	s_and_saveexec_b64 s[6:7], s[4:5]
	s_cbranch_execnz .LBB19_495
	s_branch .LBB19_496
.LBB19_2545:
	s_movk_i32 s4, 0x80
	v_cmp_eq_u16_e32 vcc, s4, v3
	s_mov_b64 s[4:5], -1
                                        ; implicit-def: $sgpr10
	s_and_saveexec_b64 s[8:9], vcc
; %bb.2546:
	s_mov_b32 s10, 0x7f800001
	s_xor_b64 s[4:5], exec, -1
; %bb.2547:
	s_or_b64 exec, exec, s[8:9]
	s_and_b64 s[4:5], s[4:5], exec
                                        ; implicit-def: $vgpr3
	s_or_saveexec_b64 s[6:7], s[6:7]
	v_mov_b32_e32 v2, s10
	s_xor_b64 exec, exec, s[6:7]
	s_cbranch_execz .LBB19_498
.LBB19_2548:
	v_cmp_ne_u16_e32 vcc, 0, v3
	s_andn2_b64 s[4:5], s[4:5], exec
	s_and_b64 s[8:9], vcc, exec
	v_mov_b32_e32 v2, 0
	s_or_b64 s[4:5], s[4:5], s[8:9]
	s_or_b64 exec, exec, s[6:7]
	s_and_saveexec_b64 s[6:7], s[4:5]
	s_cbranch_execnz .LBB19_499
	s_branch .LBB19_500
.LBB19_2549:
	s_movk_i32 s4, 0x80
	v_cmp_eq_u16_e32 vcc, s4, v3
	s_mov_b64 s[4:5], -1
                                        ; implicit-def: $sgpr10
	s_and_saveexec_b64 s[8:9], vcc
; %bb.2550:
	s_mov_b32 s10, 0x7f800001
	s_xor_b64 s[4:5], exec, -1
; %bb.2551:
	s_or_b64 exec, exec, s[8:9]
	s_and_b64 s[4:5], s[4:5], exec
                                        ; implicit-def: $vgpr3
	s_or_saveexec_b64 s[6:7], s[6:7]
	v_mov_b32_e32 v4, s10
	s_xor_b64 exec, exec, s[6:7]
	s_cbranch_execz .LBB19_502
.LBB19_2552:
	v_cmp_ne_u16_e32 vcc, 0, v3
	s_andn2_b64 s[4:5], s[4:5], exec
	s_and_b64 s[8:9], vcc, exec
	v_mov_b32_e32 v4, 0
	s_or_b64 s[4:5], s[4:5], s[8:9]
	s_or_b64 exec, exec, s[6:7]
	s_and_saveexec_b64 s[6:7], s[4:5]
	s_cbranch_execnz .LBB19_503
	s_branch .LBB19_504
.LBB19_2553:
	s_movk_i32 s4, 0x80
	v_cmp_eq_u16_sdwa s[12:13], v9, s4 src0_sel:BYTE_3 src1_sel:DWORD
	s_mov_b64 s[4:5], -1
                                        ; implicit-def: $sgpr10
	s_and_saveexec_b64 s[8:9], s[12:13]
; %bb.2554:
	s_mov_b32 s10, 0x7f800001
	s_xor_b64 s[4:5], exec, -1
; %bb.2555:
	s_or_b64 exec, exec, s[8:9]
	s_and_b64 s[4:5], s[4:5], exec
	s_or_saveexec_b64 s[6:7], s[6:7]
	v_mov_b32_e32 v2, s10
	s_xor_b64 exec, exec, s[6:7]
	s_cbranch_execz .LBB19_506
.LBB19_2556:
	v_mov_b32_e32 v2, 0
	v_cmp_ne_u16_sdwa s[8:9], v9, v2 src0_sel:BYTE_3 src1_sel:DWORD
	s_andn2_b64 s[4:5], s[4:5], exec
	s_and_b64 s[8:9], s[8:9], exec
	s_or_b64 s[4:5], s[4:5], s[8:9]
	s_or_b64 exec, exec, s[6:7]
	s_and_saveexec_b64 s[6:7], s[4:5]
	s_cbranch_execnz .LBB19_507
	s_branch .LBB19_508
.LBB19_2557:
	s_movk_i32 s4, 0x80
	v_cmp_eq_u16_sdwa s[12:13], v5, s4 src0_sel:BYTE_3 src1_sel:DWORD
	s_mov_b64 s[4:5], -1
                                        ; implicit-def: $sgpr10
	s_and_saveexec_b64 s[8:9], s[12:13]
; %bb.2558:
	s_mov_b32 s10, 0x7f800001
	s_xor_b64 s[4:5], exec, -1
; %bb.2559:
	s_or_b64 exec, exec, s[8:9]
	s_and_b64 s[4:5], s[4:5], exec
	s_or_saveexec_b64 s[6:7], s[6:7]
	v_mov_b32_e32 v3, s10
	s_xor_b64 exec, exec, s[6:7]
	s_cbranch_execz .LBB19_510
.LBB19_2560:
	v_mov_b32_e32 v3, 0
	v_cmp_ne_u16_sdwa s[8:9], v5, v3 src0_sel:BYTE_3 src1_sel:DWORD
	s_andn2_b64 s[4:5], s[4:5], exec
	s_and_b64 s[8:9], s[8:9], exec
	s_or_b64 s[4:5], s[4:5], s[8:9]
	s_or_b64 exec, exec, s[6:7]
	s_and_saveexec_b64 s[6:7], s[4:5]
	s_cbranch_execnz .LBB19_511
	s_branch .LBB19_512
.LBB19_2561:
	s_movk_i32 s4, 0x80
	v_cmp_eq_u16_sdwa s[12:13], v14, s4 src0_sel:BYTE_0 src1_sel:DWORD
	s_mov_b64 s[4:5], -1
                                        ; implicit-def: $sgpr10
	s_and_saveexec_b64 s[8:9], s[12:13]
; %bb.2562:
	s_mov_b32 s10, 0x7f800001
	s_xor_b64 s[4:5], exec, -1
; %bb.2563:
	s_or_b64 exec, exec, s[8:9]
	s_and_b64 s[4:5], s[4:5], exec
	s_or_saveexec_b64 s[6:7], s[6:7]
	v_mov_b32_e32 v20, s10
	s_xor_b64 exec, exec, s[6:7]
	s_cbranch_execz .LBB19_514
.LBB19_2564:
	v_mov_b32_e32 v20, 0
	v_cmp_ne_u16_sdwa s[8:9], v14, v20 src0_sel:BYTE_0 src1_sel:DWORD
	s_andn2_b64 s[4:5], s[4:5], exec
	s_and_b64 s[8:9], s[8:9], exec
	s_or_b64 s[4:5], s[4:5], s[8:9]
	s_or_b64 exec, exec, s[6:7]
	s_and_saveexec_b64 s[6:7], s[4:5]
	s_cbranch_execnz .LBB19_515
	s_branch .LBB19_516
.LBB19_2565:
	s_movk_i32 s4, 0x80
	v_cmp_eq_u16_sdwa s[12:13], v10, s4 src0_sel:BYTE_0 src1_sel:DWORD
	s_mov_b64 s[4:5], -1
                                        ; implicit-def: $sgpr10
	s_and_saveexec_b64 s[8:9], s[12:13]
; %bb.2566:
	s_mov_b32 s10, 0x7f800001
	s_xor_b64 s[4:5], exec, -1
; %bb.2567:
	s_or_b64 exec, exec, s[8:9]
	s_and_b64 s[4:5], s[4:5], exec
	s_or_saveexec_b64 s[6:7], s[6:7]
	v_mov_b32_e32 v21, s10
	s_xor_b64 exec, exec, s[6:7]
	s_cbranch_execz .LBB19_518
.LBB19_2568:
	v_mov_b32_e32 v21, 0
	v_cmp_ne_u16_sdwa s[8:9], v10, v21 src0_sel:BYTE_0 src1_sel:DWORD
	s_andn2_b64 s[4:5], s[4:5], exec
	s_and_b64 s[8:9], s[8:9], exec
	s_or_b64 s[4:5], s[4:5], s[8:9]
	s_or_b64 exec, exec, s[6:7]
	s_and_saveexec_b64 s[6:7], s[4:5]
	s_cbranch_execnz .LBB19_519
	s_branch .LBB19_520
.LBB19_2569:
	s_movk_i32 s4, 0x80
	v_cmp_eq_u16_sdwa s[12:13], v21, s4 src0_sel:BYTE_0 src1_sel:DWORD
	s_mov_b64 s[4:5], -1
                                        ; implicit-def: $sgpr10
	s_and_saveexec_b64 s[8:9], s[12:13]
; %bb.2570:
	s_mov_b32 s10, 0x7f800001
	s_xor_b64 s[4:5], exec, -1
; %bb.2571:
	s_or_b64 exec, exec, s[8:9]
	s_and_b64 s[4:5], s[4:5], exec
	s_or_saveexec_b64 s[6:7], s[6:7]
	v_mov_b32_e32 v20, s10
	s_xor_b64 exec, exec, s[6:7]
	s_cbranch_execz .LBB19_522
.LBB19_2572:
	v_mov_b32_e32 v20, 0
	v_cmp_ne_u16_sdwa s[8:9], v21, v20 src0_sel:BYTE_0 src1_sel:DWORD
	s_andn2_b64 s[4:5], s[4:5], exec
	s_and_b64 s[8:9], s[8:9], exec
	s_or_b64 s[4:5], s[4:5], s[8:9]
	s_or_b64 exec, exec, s[6:7]
	s_and_saveexec_b64 s[6:7], s[4:5]
	s_cbranch_execnz .LBB19_523
	s_branch .LBB19_524
.LBB19_2573:
	s_movk_i32 s4, 0x80
	v_cmp_eq_u16_sdwa s[12:13], v21, s4 src0_sel:BYTE_0 src1_sel:DWORD
	s_mov_b64 s[4:5], -1
                                        ; implicit-def: $sgpr10
	s_and_saveexec_b64 s[8:9], s[12:13]
; %bb.2574:
	s_mov_b32 s10, 0x7f800001
	s_xor_b64 s[4:5], exec, -1
; %bb.2575:
	s_or_b64 exec, exec, s[8:9]
	s_and_b64 s[4:5], s[4:5], exec
	s_or_saveexec_b64 s[6:7], s[6:7]
	v_mov_b32_e32 v22, s10
	s_xor_b64 exec, exec, s[6:7]
	s_cbranch_execz .LBB19_526
.LBB19_2576:
	v_mov_b32_e32 v22, 0
	v_cmp_ne_u16_sdwa s[8:9], v21, v22 src0_sel:BYTE_0 src1_sel:DWORD
	s_andn2_b64 s[4:5], s[4:5], exec
	s_and_b64 s[8:9], s[8:9], exec
	s_or_b64 s[4:5], s[4:5], s[8:9]
	s_or_b64 exec, exec, s[6:7]
	s_and_saveexec_b64 s[6:7], s[4:5]
	s_cbranch_execnz .LBB19_527
	s_branch .LBB19_528
.LBB19_2577:
	s_movk_i32 s4, 0x80
	v_cmp_eq_u16_e32 vcc, s4, v21
	s_mov_b64 s[4:5], -1
                                        ; implicit-def: $sgpr10
	s_and_saveexec_b64 s[8:9], vcc
; %bb.2578:
	s_mov_b32 s10, 0x7f800001
	s_xor_b64 s[4:5], exec, -1
; %bb.2579:
	s_or_b64 exec, exec, s[8:9]
	s_and_b64 s[4:5], s[4:5], exec
                                        ; implicit-def: $vgpr21
	s_or_saveexec_b64 s[6:7], s[6:7]
	v_mov_b32_e32 v20, s10
	s_xor_b64 exec, exec, s[6:7]
	s_cbranch_execz .LBB19_530
.LBB19_2580:
	v_cmp_ne_u16_e32 vcc, 0, v21
	s_andn2_b64 s[4:5], s[4:5], exec
	s_and_b64 s[8:9], vcc, exec
	v_mov_b32_e32 v20, 0
	s_or_b64 s[4:5], s[4:5], s[8:9]
	s_or_b64 exec, exec, s[6:7]
	s_and_saveexec_b64 s[6:7], s[4:5]
	s_cbranch_execnz .LBB19_531
	s_branch .LBB19_532
.LBB19_2581:
	s_movk_i32 s4, 0x80
	v_cmp_eq_u16_e32 vcc, s4, v21
	s_mov_b64 s[4:5], -1
                                        ; implicit-def: $sgpr10
	s_and_saveexec_b64 s[8:9], vcc
; %bb.2582:
	s_mov_b32 s10, 0x7f800001
	s_xor_b64 s[4:5], exec, -1
; %bb.2583:
	s_or_b64 exec, exec, s[8:9]
	s_and_b64 s[4:5], s[4:5], exec
                                        ; implicit-def: $vgpr21
	s_or_saveexec_b64 s[6:7], s[6:7]
	v_mov_b32_e32 v22, s10
	s_xor_b64 exec, exec, s[6:7]
	s_cbranch_execz .LBB19_534
.LBB19_2584:
	v_cmp_ne_u16_e32 vcc, 0, v21
	s_andn2_b64 s[4:5], s[4:5], exec
	s_and_b64 s[8:9], vcc, exec
	v_mov_b32_e32 v22, 0
	s_or_b64 s[4:5], s[4:5], s[8:9]
	s_or_b64 exec, exec, s[6:7]
	s_and_saveexec_b64 s[6:7], s[4:5]
	s_cbranch_execnz .LBB19_535
	s_branch .LBB19_536
.LBB19_2585:
	s_movk_i32 s4, 0x80
	v_cmp_eq_u16_sdwa s[12:13], v14, s4 src0_sel:BYTE_3 src1_sel:DWORD
	s_mov_b64 s[4:5], -1
                                        ; implicit-def: $sgpr10
	s_and_saveexec_b64 s[8:9], s[12:13]
; %bb.2586:
	s_mov_b32 s10, 0x7f800001
	s_xor_b64 s[4:5], exec, -1
; %bb.2587:
	s_or_b64 exec, exec, s[8:9]
	s_and_b64 s[4:5], s[4:5], exec
	s_or_saveexec_b64 s[6:7], s[6:7]
	v_mov_b32_e32 v20, s10
	s_xor_b64 exec, exec, s[6:7]
	s_cbranch_execz .LBB19_538
.LBB19_2588:
	v_mov_b32_e32 v20, 0
	v_cmp_ne_u16_sdwa s[8:9], v14, v20 src0_sel:BYTE_3 src1_sel:DWORD
	s_andn2_b64 s[4:5], s[4:5], exec
	s_and_b64 s[8:9], s[8:9], exec
	s_or_b64 s[4:5], s[4:5], s[8:9]
	s_or_b64 exec, exec, s[6:7]
	s_and_saveexec_b64 s[6:7], s[4:5]
	s_cbranch_execnz .LBB19_539
	s_branch .LBB19_540
.LBB19_2589:
	s_movk_i32 s4, 0x80
	v_cmp_eq_u16_sdwa s[12:13], v10, s4 src0_sel:BYTE_3 src1_sel:DWORD
	s_mov_b64 s[4:5], -1
                                        ; implicit-def: $sgpr10
	s_and_saveexec_b64 s[8:9], s[12:13]
; %bb.2590:
	s_mov_b32 s10, 0x7f800001
	s_xor_b64 s[4:5], exec, -1
; %bb.2591:
	s_or_b64 exec, exec, s[8:9]
	s_and_b64 s[4:5], s[4:5], exec
	s_or_saveexec_b64 s[6:7], s[6:7]
	v_mov_b32_e32 v14, s10
	s_xor_b64 exec, exec, s[6:7]
	s_cbranch_execz .LBB19_542
.LBB19_2592:
	v_mov_b32_e32 v14, 0
	v_cmp_ne_u16_sdwa s[8:9], v10, v14 src0_sel:BYTE_3 src1_sel:DWORD
	s_andn2_b64 s[4:5], s[4:5], exec
	s_and_b64 s[8:9], s[8:9], exec
	s_or_b64 s[4:5], s[4:5], s[8:9]
	s_or_b64 exec, exec, s[6:7]
	s_and_saveexec_b64 s[6:7], s[4:5]
	s_cbranch_execnz .LBB19_543
	s_branch .LBB19_544
.LBB19_2593:
	s_movk_i32 s4, 0x80
	v_cmp_eq_u16_sdwa s[12:13], v15, s4 src0_sel:BYTE_0 src1_sel:DWORD
	s_mov_b64 s[4:5], -1
                                        ; implicit-def: $sgpr10
	s_and_saveexec_b64 s[8:9], s[12:13]
; %bb.2594:
	s_mov_b32 s10, 0x7f800001
	s_xor_b64 s[4:5], exec, -1
; %bb.2595:
	s_or_b64 exec, exec, s[8:9]
	s_and_b64 s[4:5], s[4:5], exec
	s_or_saveexec_b64 s[6:7], s[6:7]
	v_mov_b32_e32 v10, s10
	s_xor_b64 exec, exec, s[6:7]
	s_cbranch_execz .LBB19_546
.LBB19_2596:
	v_mov_b32_e32 v10, 0
	v_cmp_ne_u16_sdwa s[8:9], v15, v10 src0_sel:BYTE_0 src1_sel:DWORD
	s_andn2_b64 s[4:5], s[4:5], exec
	s_and_b64 s[8:9], s[8:9], exec
	s_or_b64 s[4:5], s[4:5], s[8:9]
	s_or_b64 exec, exec, s[6:7]
	s_and_saveexec_b64 s[6:7], s[4:5]
	s_cbranch_execnz .LBB19_547
	s_branch .LBB19_548
.LBB19_2597:
	s_movk_i32 s4, 0x80
	v_cmp_eq_u16_sdwa s[12:13], v11, s4 src0_sel:BYTE_0 src1_sel:DWORD
	s_mov_b64 s[4:5], -1
                                        ; implicit-def: $sgpr10
	s_and_saveexec_b64 s[8:9], s[12:13]
; %bb.2598:
	s_mov_b32 s10, 0x7f800001
	s_xor_b64 s[4:5], exec, -1
; %bb.2599:
	s_or_b64 exec, exec, s[8:9]
	s_and_b64 s[4:5], s[4:5], exec
	s_or_saveexec_b64 s[6:7], s[6:7]
	v_mov_b32_e32 v14, s10
	s_xor_b64 exec, exec, s[6:7]
	s_cbranch_execz .LBB19_550
.LBB19_2600:
	v_mov_b32_e32 v14, 0
	v_cmp_ne_u16_sdwa s[8:9], v11, v14 src0_sel:BYTE_0 src1_sel:DWORD
	s_andn2_b64 s[4:5], s[4:5], exec
	s_and_b64 s[8:9], s[8:9], exec
	s_or_b64 s[4:5], s[4:5], s[8:9]
	s_or_b64 exec, exec, s[6:7]
	s_and_saveexec_b64 s[6:7], s[4:5]
	s_cbranch_execnz .LBB19_551
	s_branch .LBB19_552
.LBB19_2601:
	s_movk_i32 s4, 0x80
	v_cmp_eq_u16_sdwa s[12:13], v14, s4 src0_sel:BYTE_0 src1_sel:DWORD
	s_mov_b64 s[4:5], -1
                                        ; implicit-def: $sgpr10
	s_and_saveexec_b64 s[8:9], s[12:13]
; %bb.2602:
	s_mov_b32 s10, 0x7f800001
	s_xor_b64 s[4:5], exec, -1
; %bb.2603:
	s_or_b64 exec, exec, s[8:9]
	s_and_b64 s[4:5], s[4:5], exec
	s_or_saveexec_b64 s[6:7], s[6:7]
	v_mov_b32_e32 v10, s10
	s_xor_b64 exec, exec, s[6:7]
	s_cbranch_execz .LBB19_554
.LBB19_2604:
	v_mov_b32_e32 v10, 0
	v_cmp_ne_u16_sdwa s[8:9], v14, v10 src0_sel:BYTE_0 src1_sel:DWORD
	s_andn2_b64 s[4:5], s[4:5], exec
	s_and_b64 s[8:9], s[8:9], exec
	s_or_b64 s[4:5], s[4:5], s[8:9]
	s_or_b64 exec, exec, s[6:7]
	s_and_saveexec_b64 s[6:7], s[4:5]
	s_cbranch_execnz .LBB19_555
	s_branch .LBB19_556
.LBB19_2605:
	s_movk_i32 s4, 0x80
	v_cmp_eq_u16_sdwa s[12:13], v14, s4 src0_sel:BYTE_0 src1_sel:DWORD
	s_mov_b64 s[4:5], -1
                                        ; implicit-def: $sgpr10
	s_and_saveexec_b64 s[8:9], s[12:13]
; %bb.2606:
	s_mov_b32 s10, 0x7f800001
	s_xor_b64 s[4:5], exec, -1
; %bb.2607:
	s_or_b64 exec, exec, s[8:9]
	s_and_b64 s[4:5], s[4:5], exec
	s_or_saveexec_b64 s[6:7], s[6:7]
	v_mov_b32_e32 v20, s10
	s_xor_b64 exec, exec, s[6:7]
	s_cbranch_execz .LBB19_558
.LBB19_2608:
	v_mov_b32_e32 v20, 0
	v_cmp_ne_u16_sdwa s[8:9], v14, v20 src0_sel:BYTE_0 src1_sel:DWORD
	s_andn2_b64 s[4:5], s[4:5], exec
	s_and_b64 s[8:9], s[8:9], exec
	s_or_b64 s[4:5], s[4:5], s[8:9]
	s_or_b64 exec, exec, s[6:7]
	s_and_saveexec_b64 s[6:7], s[4:5]
	s_cbranch_execnz .LBB19_559
	s_branch .LBB19_560
.LBB19_2609:
	s_movk_i32 s4, 0x80
	v_cmp_eq_u16_e32 vcc, s4, v14
	s_mov_b64 s[4:5], -1
                                        ; implicit-def: $sgpr10
	s_and_saveexec_b64 s[8:9], vcc
; %bb.2610:
	s_mov_b32 s10, 0x7f800001
	s_xor_b64 s[4:5], exec, -1
; %bb.2611:
	s_or_b64 exec, exec, s[8:9]
	s_and_b64 s[4:5], s[4:5], exec
                                        ; implicit-def: $vgpr14
	s_or_saveexec_b64 s[6:7], s[6:7]
	v_mov_b32_e32 v10, s10
	s_xor_b64 exec, exec, s[6:7]
	s_cbranch_execz .LBB19_562
.LBB19_2612:
	v_cmp_ne_u16_e32 vcc, 0, v14
	s_andn2_b64 s[4:5], s[4:5], exec
	s_and_b64 s[8:9], vcc, exec
	v_mov_b32_e32 v10, 0
	s_or_b64 s[4:5], s[4:5], s[8:9]
	s_or_b64 exec, exec, s[6:7]
	s_and_saveexec_b64 s[6:7], s[4:5]
	s_cbranch_execnz .LBB19_563
	s_branch .LBB19_564
.LBB19_2613:
	s_movk_i32 s4, 0x80
	v_cmp_eq_u16_e32 vcc, s4, v14
	s_mov_b64 s[4:5], -1
                                        ; implicit-def: $sgpr10
	s_and_saveexec_b64 s[8:9], vcc
; %bb.2614:
	s_mov_b32 s10, 0x7f800001
	s_xor_b64 s[4:5], exec, -1
; %bb.2615:
	s_or_b64 exec, exec, s[8:9]
	s_and_b64 s[4:5], s[4:5], exec
                                        ; implicit-def: $vgpr14
	s_or_saveexec_b64 s[6:7], s[6:7]
	v_mov_b32_e32 v20, s10
	s_xor_b64 exec, exec, s[6:7]
	s_cbranch_execz .LBB19_566
.LBB19_2616:
	v_cmp_ne_u16_e32 vcc, 0, v14
	s_andn2_b64 s[4:5], s[4:5], exec
	s_and_b64 s[8:9], vcc, exec
	v_mov_b32_e32 v20, 0
	s_or_b64 s[4:5], s[4:5], s[8:9]
	s_or_b64 exec, exec, s[6:7]
	s_and_saveexec_b64 s[6:7], s[4:5]
	s_cbranch_execnz .LBB19_567
	s_branch .LBB19_568
.LBB19_2617:
	s_movk_i32 s4, 0x80
	v_cmp_eq_u16_sdwa s[12:13], v15, s4 src0_sel:BYTE_3 src1_sel:DWORD
	s_mov_b64 s[4:5], -1
                                        ; implicit-def: $sgpr10
	s_and_saveexec_b64 s[8:9], s[12:13]
; %bb.2618:
	s_mov_b32 s10, 0x7f800001
	s_xor_b64 s[4:5], exec, -1
; %bb.2619:
	s_or_b64 exec, exec, s[8:9]
	s_and_b64 s[4:5], s[4:5], exec
	s_or_saveexec_b64 s[6:7], s[6:7]
	v_mov_b32_e32 v10, s10
	s_xor_b64 exec, exec, s[6:7]
	s_cbranch_execz .LBB19_570
.LBB19_2620:
	v_mov_b32_e32 v10, 0
	v_cmp_ne_u16_sdwa s[8:9], v15, v10 src0_sel:BYTE_3 src1_sel:DWORD
	s_andn2_b64 s[4:5], s[4:5], exec
	s_and_b64 s[8:9], s[8:9], exec
	s_or_b64 s[4:5], s[4:5], s[8:9]
	s_or_b64 exec, exec, s[6:7]
	s_and_saveexec_b64 s[6:7], s[4:5]
	s_cbranch_execnz .LBB19_571
	s_branch .LBB19_572
.LBB19_2621:
	s_movk_i32 s4, 0x80
	v_cmp_eq_u16_sdwa s[12:13], v11, s4 src0_sel:BYTE_3 src1_sel:DWORD
	s_mov_b64 s[4:5], -1
                                        ; implicit-def: $sgpr10
	s_and_saveexec_b64 s[8:9], s[12:13]
; %bb.2622:
	s_mov_b32 s10, 0x7f800001
	s_xor_b64 s[4:5], exec, -1
; %bb.2623:
	s_or_b64 exec, exec, s[8:9]
	s_and_b64 s[4:5], s[4:5], exec
	s_or_saveexec_b64 s[6:7], s[6:7]
	v_mov_b32_e32 v14, s10
	s_xor_b64 exec, exec, s[6:7]
	s_cbranch_execz .LBB19_574
.LBB19_2624:
	v_mov_b32_e32 v14, 0
	v_cmp_ne_u16_sdwa s[8:9], v11, v14 src0_sel:BYTE_3 src1_sel:DWORD
	s_andn2_b64 s[4:5], s[4:5], exec
	s_and_b64 s[8:9], s[8:9], exec
	s_or_b64 s[4:5], s[4:5], s[8:9]
	s_or_b64 exec, exec, s[6:7]
	s_and_saveexec_b64 s[6:7], s[4:5]
	s_cbranch_execnz .LBB19_575
	s_branch .LBB19_576
.LBB19_2625:
	s_movk_i32 s4, 0x80
	v_cmp_eq_u16_sdwa s[12:13], v16, s4 src0_sel:BYTE_0 src1_sel:DWORD
	s_mov_b64 s[4:5], -1
                                        ; implicit-def: $sgpr10
	s_and_saveexec_b64 s[8:9], s[12:13]
; %bb.2626:
	s_mov_b32 s10, 0x7f800001
	s_xor_b64 s[4:5], exec, -1
; %bb.2627:
	s_or_b64 exec, exec, s[8:9]
	s_and_b64 s[4:5], s[4:5], exec
	s_or_saveexec_b64 s[6:7], s[6:7]
	v_mov_b32_e32 v10, s10
	s_xor_b64 exec, exec, s[6:7]
	s_cbranch_execz .LBB19_578
.LBB19_2628:
	v_mov_b32_e32 v10, 0
	v_cmp_ne_u16_sdwa s[8:9], v16, v10 src0_sel:BYTE_0 src1_sel:DWORD
	s_andn2_b64 s[4:5], s[4:5], exec
	s_and_b64 s[8:9], s[8:9], exec
	s_or_b64 s[4:5], s[4:5], s[8:9]
	s_or_b64 exec, exec, s[6:7]
	s_and_saveexec_b64 s[6:7], s[4:5]
	s_cbranch_execnz .LBB19_579
	s_branch .LBB19_580
.LBB19_2629:
	s_movk_i32 s4, 0x80
	v_cmp_eq_u16_sdwa s[12:13], v12, s4 src0_sel:BYTE_0 src1_sel:DWORD
	s_mov_b64 s[4:5], -1
                                        ; implicit-def: $sgpr10
	s_and_saveexec_b64 s[8:9], s[12:13]
; %bb.2630:
	s_mov_b32 s10, 0x7f800001
	s_xor_b64 s[4:5], exec, -1
; %bb.2631:
	s_or_b64 exec, exec, s[8:9]
	s_and_b64 s[4:5], s[4:5], exec
	s_or_saveexec_b64 s[6:7], s[6:7]
	v_mov_b32_e32 v11, s10
	s_xor_b64 exec, exec, s[6:7]
	s_cbranch_execz .LBB19_582
.LBB19_2632:
	v_mov_b32_e32 v11, 0
	v_cmp_ne_u16_sdwa s[8:9], v12, v11 src0_sel:BYTE_0 src1_sel:DWORD
	s_andn2_b64 s[4:5], s[4:5], exec
	s_and_b64 s[8:9], s[8:9], exec
	s_or_b64 s[4:5], s[4:5], s[8:9]
	s_or_b64 exec, exec, s[6:7]
	s_and_saveexec_b64 s[6:7], s[4:5]
	s_cbranch_execnz .LBB19_583
	s_branch .LBB19_584
.LBB19_2633:
	s_movk_i32 s4, 0x80
	v_cmp_eq_u16_sdwa s[12:13], v11, s4 src0_sel:BYTE_0 src1_sel:DWORD
	s_mov_b64 s[4:5], -1
                                        ; implicit-def: $sgpr10
	s_and_saveexec_b64 s[8:9], s[12:13]
; %bb.2634:
	s_mov_b32 s10, 0x7f800001
	s_xor_b64 s[4:5], exec, -1
; %bb.2635:
	s_or_b64 exec, exec, s[8:9]
	s_and_b64 s[4:5], s[4:5], exec
	s_or_saveexec_b64 s[6:7], s[6:7]
	v_mov_b32_e32 v10, s10
	s_xor_b64 exec, exec, s[6:7]
	s_cbranch_execz .LBB19_586
.LBB19_2636:
	v_mov_b32_e32 v10, 0
	v_cmp_ne_u16_sdwa s[8:9], v11, v10 src0_sel:BYTE_0 src1_sel:DWORD
	s_andn2_b64 s[4:5], s[4:5], exec
	s_and_b64 s[8:9], s[8:9], exec
	s_or_b64 s[4:5], s[4:5], s[8:9]
	s_or_b64 exec, exec, s[6:7]
	s_and_saveexec_b64 s[6:7], s[4:5]
	s_cbranch_execnz .LBB19_587
	s_branch .LBB19_588
.LBB19_2637:
	s_movk_i32 s4, 0x80
	v_cmp_eq_u16_sdwa s[12:13], v11, s4 src0_sel:BYTE_0 src1_sel:DWORD
	s_mov_b64 s[4:5], -1
                                        ; implicit-def: $sgpr10
	s_and_saveexec_b64 s[8:9], s[12:13]
; %bb.2638:
	s_mov_b32 s10, 0x7f800001
	s_xor_b64 s[4:5], exec, -1
; %bb.2639:
	s_or_b64 exec, exec, s[8:9]
	s_and_b64 s[4:5], s[4:5], exec
	s_or_saveexec_b64 s[6:7], s[6:7]
	v_mov_b32_e32 v14, s10
	s_xor_b64 exec, exec, s[6:7]
	s_cbranch_execz .LBB19_590
.LBB19_2640:
	v_mov_b32_e32 v14, 0
	v_cmp_ne_u16_sdwa s[8:9], v11, v14 src0_sel:BYTE_0 src1_sel:DWORD
	s_andn2_b64 s[4:5], s[4:5], exec
	s_and_b64 s[8:9], s[8:9], exec
	s_or_b64 s[4:5], s[4:5], s[8:9]
	s_or_b64 exec, exec, s[6:7]
	s_and_saveexec_b64 s[6:7], s[4:5]
	s_cbranch_execnz .LBB19_591
	s_branch .LBB19_592
.LBB19_2641:
	s_movk_i32 s4, 0x80
	v_cmp_eq_u16_e32 vcc, s4, v11
	s_mov_b64 s[4:5], -1
                                        ; implicit-def: $sgpr10
	s_and_saveexec_b64 s[8:9], vcc
; %bb.2642:
	s_mov_b32 s10, 0x7f800001
	s_xor_b64 s[4:5], exec, -1
; %bb.2643:
	s_or_b64 exec, exec, s[8:9]
	s_and_b64 s[4:5], s[4:5], exec
                                        ; implicit-def: $vgpr11
	s_or_saveexec_b64 s[6:7], s[6:7]
	v_mov_b32_e32 v10, s10
	s_xor_b64 exec, exec, s[6:7]
	s_cbranch_execz .LBB19_594
.LBB19_2644:
	v_cmp_ne_u16_e32 vcc, 0, v11
	s_andn2_b64 s[4:5], s[4:5], exec
	s_and_b64 s[8:9], vcc, exec
	v_mov_b32_e32 v10, 0
	s_or_b64 s[4:5], s[4:5], s[8:9]
	s_or_b64 exec, exec, s[6:7]
	s_and_saveexec_b64 s[6:7], s[4:5]
	s_cbranch_execnz .LBB19_595
	s_branch .LBB19_596
.LBB19_2645:
	s_movk_i32 s4, 0x80
	v_cmp_eq_u16_e32 vcc, s4, v11
	s_mov_b64 s[4:5], -1
                                        ; implicit-def: $sgpr10
	s_and_saveexec_b64 s[8:9], vcc
; %bb.2646:
	s_mov_b32 s10, 0x7f800001
	s_xor_b64 s[4:5], exec, -1
; %bb.2647:
	s_or_b64 exec, exec, s[8:9]
	s_and_b64 s[4:5], s[4:5], exec
                                        ; implicit-def: $vgpr11
	s_or_saveexec_b64 s[6:7], s[6:7]
	v_mov_b32_e32 v14, s10
	s_xor_b64 exec, exec, s[6:7]
	s_cbranch_execz .LBB19_598
.LBB19_2648:
	v_cmp_ne_u16_e32 vcc, 0, v11
	s_andn2_b64 s[4:5], s[4:5], exec
	s_and_b64 s[8:9], vcc, exec
	v_mov_b32_e32 v14, 0
	s_or_b64 s[4:5], s[4:5], s[8:9]
	s_or_b64 exec, exec, s[6:7]
	s_and_saveexec_b64 s[6:7], s[4:5]
	s_cbranch_execnz .LBB19_599
	s_branch .LBB19_600
.LBB19_2649:
	s_movk_i32 s4, 0x80
	v_cmp_eq_u16_sdwa s[12:13], v16, s4 src0_sel:BYTE_3 src1_sel:DWORD
	s_mov_b64 s[4:5], -1
                                        ; implicit-def: $sgpr10
	s_and_saveexec_b64 s[8:9], s[12:13]
; %bb.2650:
	s_mov_b32 s10, 0x7f800001
	s_xor_b64 s[4:5], exec, -1
; %bb.2651:
	s_or_b64 exec, exec, s[8:9]
	s_and_b64 s[4:5], s[4:5], exec
	s_or_saveexec_b64 s[6:7], s[6:7]
	v_mov_b32_e32 v10, s10
	s_xor_b64 exec, exec, s[6:7]
	s_cbranch_execz .LBB19_602
.LBB19_2652:
	v_mov_b32_e32 v10, 0
	v_cmp_ne_u16_sdwa s[8:9], v16, v10 src0_sel:BYTE_3 src1_sel:DWORD
	s_andn2_b64 s[4:5], s[4:5], exec
	s_and_b64 s[8:9], s[8:9], exec
	s_or_b64 s[4:5], s[4:5], s[8:9]
	s_or_b64 exec, exec, s[6:7]
	s_and_saveexec_b64 s[6:7], s[4:5]
	s_cbranch_execnz .LBB19_603
	s_branch .LBB19_604
.LBB19_2653:
	s_movk_i32 s4, 0x80
	v_cmp_eq_u16_sdwa s[12:13], v12, s4 src0_sel:BYTE_3 src1_sel:DWORD
	s_mov_b64 s[4:5], -1
                                        ; implicit-def: $sgpr10
	s_and_saveexec_b64 s[8:9], s[12:13]
; %bb.2654:
	s_mov_b32 s10, 0x7f800001
	s_xor_b64 s[4:5], exec, -1
; %bb.2655:
	s_or_b64 exec, exec, s[8:9]
	s_and_b64 s[4:5], s[4:5], exec
	s_or_saveexec_b64 s[6:7], s[6:7]
	v_mov_b32_e32 v11, s10
	s_xor_b64 exec, exec, s[6:7]
	s_cbranch_execz .LBB19_606
.LBB19_2656:
	v_mov_b32_e32 v11, 0
	v_cmp_ne_u16_sdwa s[8:9], v12, v11 src0_sel:BYTE_3 src1_sel:DWORD
	s_andn2_b64 s[4:5], s[4:5], exec
	s_and_b64 s[8:9], s[8:9], exec
	s_or_b64 s[4:5], s[4:5], s[8:9]
	s_or_b64 exec, exec, s[6:7]
	s_and_saveexec_b64 s[6:7], s[4:5]
	s_cbranch_execnz .LBB19_607
	s_branch .LBB19_608
.LBB19_2657:
	s_movk_i32 s4, 0x80
	v_cmp_eq_u16_sdwa s[12:13], v17, s4 src0_sel:BYTE_0 src1_sel:DWORD
	s_mov_b64 s[4:5], -1
                                        ; implicit-def: $sgpr10
	s_and_saveexec_b64 s[8:9], s[12:13]
; %bb.2658:
	s_mov_b32 s10, 0x7f800001
	s_xor_b64 s[4:5], exec, -1
; %bb.2659:
	s_or_b64 exec, exec, s[8:9]
	s_and_b64 s[4:5], s[4:5], exec
	s_or_saveexec_b64 s[6:7], s[6:7]
	v_mov_b32_e32 v10, s10
	s_xor_b64 exec, exec, s[6:7]
	s_cbranch_execz .LBB19_610
.LBB19_2660:
	v_mov_b32_e32 v10, 0
	v_cmp_ne_u16_sdwa s[8:9], v17, v10 src0_sel:BYTE_0 src1_sel:DWORD
	s_andn2_b64 s[4:5], s[4:5], exec
	s_and_b64 s[8:9], s[8:9], exec
	s_or_b64 s[4:5], s[4:5], s[8:9]
	s_or_b64 exec, exec, s[6:7]
	s_and_saveexec_b64 s[6:7], s[4:5]
	s_cbranch_execnz .LBB19_611
	s_branch .LBB19_612
.LBB19_2661:
	s_movk_i32 s4, 0x80
	v_cmp_eq_u16_sdwa s[12:13], v13, s4 src0_sel:BYTE_0 src1_sel:DWORD
	s_mov_b64 s[4:5], -1
                                        ; implicit-def: $sgpr10
	s_and_saveexec_b64 s[8:9], s[12:13]
; %bb.2662:
	s_mov_b32 s10, 0x7f800001
	s_xor_b64 s[4:5], exec, -1
; %bb.2663:
	s_or_b64 exec, exec, s[8:9]
	s_and_b64 s[4:5], s[4:5], exec
	s_or_saveexec_b64 s[6:7], s[6:7]
	v_mov_b32_e32 v11, s10
	s_xor_b64 exec, exec, s[6:7]
	s_cbranch_execz .LBB19_614
.LBB19_2664:
	v_mov_b32_e32 v11, 0
	v_cmp_ne_u16_sdwa s[8:9], v13, v11 src0_sel:BYTE_0 src1_sel:DWORD
	s_andn2_b64 s[4:5], s[4:5], exec
	s_and_b64 s[8:9], s[8:9], exec
	s_or_b64 s[4:5], s[4:5], s[8:9]
	s_or_b64 exec, exec, s[6:7]
	s_and_saveexec_b64 s[6:7], s[4:5]
	s_cbranch_execnz .LBB19_615
	s_branch .LBB19_616
.LBB19_2665:
	s_movk_i32 s4, 0x80
	v_cmp_eq_u16_sdwa s[12:13], v11, s4 src0_sel:BYTE_0 src1_sel:DWORD
	s_mov_b64 s[4:5], -1
                                        ; implicit-def: $sgpr10
	s_and_saveexec_b64 s[8:9], s[12:13]
; %bb.2666:
	s_mov_b32 s10, 0x7f800001
	s_xor_b64 s[4:5], exec, -1
; %bb.2667:
	s_or_b64 exec, exec, s[8:9]
	s_and_b64 s[4:5], s[4:5], exec
	s_or_saveexec_b64 s[6:7], s[6:7]
	v_mov_b32_e32 v10, s10
	s_xor_b64 exec, exec, s[6:7]
	s_cbranch_execz .LBB19_618
.LBB19_2668:
	v_mov_b32_e32 v10, 0
	v_cmp_ne_u16_sdwa s[8:9], v11, v10 src0_sel:BYTE_0 src1_sel:DWORD
	s_andn2_b64 s[4:5], s[4:5], exec
	s_and_b64 s[8:9], s[8:9], exec
	s_or_b64 s[4:5], s[4:5], s[8:9]
	s_or_b64 exec, exec, s[6:7]
	s_and_saveexec_b64 s[6:7], s[4:5]
	s_cbranch_execnz .LBB19_619
	s_branch .LBB19_620
.LBB19_2669:
	s_movk_i32 s4, 0x80
	v_cmp_eq_u16_sdwa s[12:13], v11, s4 src0_sel:BYTE_0 src1_sel:DWORD
	s_mov_b64 s[4:5], -1
                                        ; implicit-def: $sgpr10
	s_and_saveexec_b64 s[8:9], s[12:13]
; %bb.2670:
	s_mov_b32 s10, 0x7f800001
	s_xor_b64 s[4:5], exec, -1
; %bb.2671:
	s_or_b64 exec, exec, s[8:9]
	s_and_b64 s[4:5], s[4:5], exec
	s_or_saveexec_b64 s[6:7], s[6:7]
	v_mov_b32_e32 v12, s10
	s_xor_b64 exec, exec, s[6:7]
	s_cbranch_execz .LBB19_622
.LBB19_2672:
	v_mov_b32_e32 v12, 0
	v_cmp_ne_u16_sdwa s[8:9], v11, v12 src0_sel:BYTE_0 src1_sel:DWORD
	s_andn2_b64 s[4:5], s[4:5], exec
	s_and_b64 s[8:9], s[8:9], exec
	s_or_b64 s[4:5], s[4:5], s[8:9]
	s_or_b64 exec, exec, s[6:7]
	s_and_saveexec_b64 s[6:7], s[4:5]
	s_cbranch_execnz .LBB19_623
	s_branch .LBB19_624
.LBB19_2673:
	s_movk_i32 s4, 0x80
	v_cmp_eq_u16_e32 vcc, s4, v11
	s_mov_b64 s[4:5], -1
                                        ; implicit-def: $sgpr10
	s_and_saveexec_b64 s[8:9], vcc
; %bb.2674:
	s_mov_b32 s10, 0x7f800001
	s_xor_b64 s[4:5], exec, -1
; %bb.2675:
	s_or_b64 exec, exec, s[8:9]
	s_and_b64 s[4:5], s[4:5], exec
                                        ; implicit-def: $vgpr11
	s_or_saveexec_b64 s[6:7], s[6:7]
	v_mov_b32_e32 v10, s10
	s_xor_b64 exec, exec, s[6:7]
	s_cbranch_execz .LBB19_626
.LBB19_2676:
	v_cmp_ne_u16_e32 vcc, 0, v11
	s_andn2_b64 s[4:5], s[4:5], exec
	s_and_b64 s[8:9], vcc, exec
	v_mov_b32_e32 v10, 0
	s_or_b64 s[4:5], s[4:5], s[8:9]
	s_or_b64 exec, exec, s[6:7]
	s_and_saveexec_b64 s[6:7], s[4:5]
	s_cbranch_execnz .LBB19_627
	s_branch .LBB19_628
.LBB19_2677:
	s_movk_i32 s4, 0x80
	v_cmp_eq_u16_e32 vcc, s4, v11
	s_mov_b64 s[4:5], -1
                                        ; implicit-def: $sgpr10
	s_and_saveexec_b64 s[8:9], vcc
; %bb.2678:
	s_mov_b32 s10, 0x7f800001
	s_xor_b64 s[4:5], exec, -1
; %bb.2679:
	s_or_b64 exec, exec, s[8:9]
	s_and_b64 s[4:5], s[4:5], exec
                                        ; implicit-def: $vgpr11
	s_or_saveexec_b64 s[6:7], s[6:7]
	v_mov_b32_e32 v12, s10
	s_xor_b64 exec, exec, s[6:7]
	s_cbranch_execz .LBB19_630
.LBB19_2680:
	v_cmp_ne_u16_e32 vcc, 0, v11
	s_andn2_b64 s[4:5], s[4:5], exec
	s_and_b64 s[8:9], vcc, exec
	v_mov_b32_e32 v12, 0
	s_or_b64 s[4:5], s[4:5], s[8:9]
	s_or_b64 exec, exec, s[6:7]
	s_and_saveexec_b64 s[6:7], s[4:5]
	s_cbranch_execnz .LBB19_631
	s_branch .LBB19_632
.LBB19_2681:
	s_movk_i32 s4, 0x80
	v_cmp_eq_u16_sdwa s[12:13], v17, s4 src0_sel:BYTE_3 src1_sel:DWORD
	s_mov_b64 s[4:5], -1
                                        ; implicit-def: $sgpr10
	s_and_saveexec_b64 s[8:9], s[12:13]
; %bb.2682:
	s_mov_b32 s10, 0x7f800001
	s_xor_b64 s[4:5], exec, -1
; %bb.2683:
	s_or_b64 exec, exec, s[8:9]
	s_and_b64 s[4:5], s[4:5], exec
	s_or_saveexec_b64 s[6:7], s[6:7]
	v_mov_b32_e32 v10, s10
	s_xor_b64 exec, exec, s[6:7]
	s_cbranch_execz .LBB19_634
.LBB19_2684:
	v_mov_b32_e32 v10, 0
	v_cmp_ne_u16_sdwa s[8:9], v17, v10 src0_sel:BYTE_3 src1_sel:DWORD
	s_andn2_b64 s[4:5], s[4:5], exec
	s_and_b64 s[8:9], s[8:9], exec
	s_or_b64 s[4:5], s[4:5], s[8:9]
	s_or_b64 exec, exec, s[6:7]
	s_and_saveexec_b64 s[6:7], s[4:5]
	s_cbranch_execnz .LBB19_635
	s_branch .LBB19_636
.LBB19_2685:
	s_movk_i32 s4, 0x80
	v_cmp_eq_u16_sdwa s[12:13], v13, s4 src0_sel:BYTE_3 src1_sel:DWORD
	s_mov_b64 s[4:5], -1
                                        ; implicit-def: $sgpr10
	s_and_saveexec_b64 s[8:9], s[12:13]
; %bb.2686:
	s_mov_b32 s10, 0x7f800001
	s_xor_b64 s[4:5], exec, -1
; %bb.2687:
	s_or_b64 exec, exec, s[8:9]
	s_and_b64 s[4:5], s[4:5], exec
	s_or_saveexec_b64 s[6:7], s[6:7]
	v_mov_b32_e32 v11, s10
	s_xor_b64 exec, exec, s[6:7]
	s_cbranch_execz .LBB19_638
.LBB19_2688:
	v_mov_b32_e32 v11, 0
	v_cmp_ne_u16_sdwa s[8:9], v13, v11 src0_sel:BYTE_3 src1_sel:DWORD
	s_andn2_b64 s[4:5], s[4:5], exec
	s_and_b64 s[8:9], s[8:9], exec
	s_or_b64 s[4:5], s[4:5], s[8:9]
	s_or_b64 exec, exec, s[6:7]
	s_and_saveexec_b64 s[6:7], s[4:5]
	s_cbranch_execnz .LBB19_639
	s_branch .LBB19_640
.LBB19_2689:
	s_movk_i32 s4, 0x80
	v_cmp_eq_u16_sdwa s[12:13], v6, s4 src0_sel:BYTE_0 src1_sel:DWORD
	s_mov_b64 s[4:5], -1
                                        ; implicit-def: $sgpr10
	s_and_saveexec_b64 s[8:9], s[12:13]
; %bb.2690:
	s_mov_b32 s10, 0x7f800001
	s_xor_b64 s[4:5], exec, -1
; %bb.2691:
	s_or_b64 exec, exec, s[8:9]
	s_and_b64 s[4:5], s[4:5], exec
	s_or_saveexec_b64 s[6:7], s[6:7]
	v_mov_b32_e32 v10, s10
	s_xor_b64 exec, exec, s[6:7]
	s_cbranch_execz .LBB19_642
.LBB19_2692:
	v_mov_b32_e32 v10, 0
	v_cmp_ne_u16_sdwa s[8:9], v6, v10 src0_sel:BYTE_0 src1_sel:DWORD
	s_andn2_b64 s[4:5], s[4:5], exec
	s_and_b64 s[8:9], s[8:9], exec
	s_or_b64 s[4:5], s[4:5], s[8:9]
	s_or_b64 exec, exec, s[6:7]
	s_and_saveexec_b64 s[6:7], s[4:5]
	s_cbranch_execnz .LBB19_643
	s_branch .LBB19_644
.LBB19_2693:
	s_movk_i32 s4, 0x80
	v_cmp_eq_u16_sdwa s[12:13], v2, s4 src0_sel:BYTE_0 src1_sel:DWORD
	s_mov_b64 s[4:5], -1
                                        ; implicit-def: $sgpr10
	s_and_saveexec_b64 s[8:9], s[12:13]
; %bb.2694:
	s_mov_b32 s10, 0x7f800001
	s_xor_b64 s[4:5], exec, -1
; %bb.2695:
	s_or_b64 exec, exec, s[8:9]
	s_and_b64 s[4:5], s[4:5], exec
	s_or_saveexec_b64 s[6:7], s[6:7]
	v_mov_b32_e32 v11, s10
	s_xor_b64 exec, exec, s[6:7]
	s_cbranch_execz .LBB19_646
.LBB19_2696:
	v_mov_b32_e32 v11, 0
	v_cmp_ne_u16_sdwa s[8:9], v2, v11 src0_sel:BYTE_0 src1_sel:DWORD
	s_andn2_b64 s[4:5], s[4:5], exec
	s_and_b64 s[8:9], s[8:9], exec
	s_or_b64 s[4:5], s[4:5], s[8:9]
	s_or_b64 exec, exec, s[6:7]
	s_and_saveexec_b64 s[6:7], s[4:5]
	s_cbranch_execnz .LBB19_647
	s_branch .LBB19_648
.LBB19_2697:
	s_movk_i32 s4, 0x80
	v_cmp_eq_u16_sdwa s[12:13], v11, s4 src0_sel:BYTE_0 src1_sel:DWORD
	s_mov_b64 s[4:5], -1
                                        ; implicit-def: $sgpr10
	s_and_saveexec_b64 s[8:9], s[12:13]
; %bb.2698:
	s_mov_b32 s10, 0x7f800001
	s_xor_b64 s[4:5], exec, -1
; %bb.2699:
	s_or_b64 exec, exec, s[8:9]
	s_and_b64 s[4:5], s[4:5], exec
	s_or_saveexec_b64 s[6:7], s[6:7]
	v_mov_b32_e32 v10, s10
	s_xor_b64 exec, exec, s[6:7]
	s_cbranch_execz .LBB19_650
.LBB19_2700:
	v_mov_b32_e32 v10, 0
	v_cmp_ne_u16_sdwa s[8:9], v11, v10 src0_sel:BYTE_0 src1_sel:DWORD
	s_andn2_b64 s[4:5], s[4:5], exec
	s_and_b64 s[8:9], s[8:9], exec
	s_or_b64 s[4:5], s[4:5], s[8:9]
	s_or_b64 exec, exec, s[6:7]
	s_and_saveexec_b64 s[6:7], s[4:5]
	s_cbranch_execnz .LBB19_651
	s_branch .LBB19_652
.LBB19_2701:
	s_movk_i32 s4, 0x80
	v_cmp_eq_u16_sdwa s[12:13], v11, s4 src0_sel:BYTE_0 src1_sel:DWORD
	s_mov_b64 s[4:5], -1
                                        ; implicit-def: $sgpr10
	s_and_saveexec_b64 s[8:9], s[12:13]
; %bb.2702:
	s_mov_b32 s10, 0x7f800001
	s_xor_b64 s[4:5], exec, -1
; %bb.2703:
	s_or_b64 exec, exec, s[8:9]
	s_and_b64 s[4:5], s[4:5], exec
	s_or_saveexec_b64 s[6:7], s[6:7]
	v_mov_b32_e32 v12, s10
	s_xor_b64 exec, exec, s[6:7]
	s_cbranch_execz .LBB19_654
.LBB19_2704:
	v_mov_b32_e32 v12, 0
	v_cmp_ne_u16_sdwa s[8:9], v11, v12 src0_sel:BYTE_0 src1_sel:DWORD
	s_andn2_b64 s[4:5], s[4:5], exec
	s_and_b64 s[8:9], s[8:9], exec
	s_or_b64 s[4:5], s[4:5], s[8:9]
	s_or_b64 exec, exec, s[6:7]
	s_and_saveexec_b64 s[6:7], s[4:5]
	s_cbranch_execnz .LBB19_655
	s_branch .LBB19_656
.LBB19_2705:
	s_movk_i32 s4, 0x80
	v_cmp_eq_u16_e32 vcc, s4, v11
	s_mov_b64 s[4:5], -1
                                        ; implicit-def: $sgpr10
	s_and_saveexec_b64 s[8:9], vcc
; %bb.2706:
	s_mov_b32 s10, 0x7f800001
	s_xor_b64 s[4:5], exec, -1
; %bb.2707:
	s_or_b64 exec, exec, s[8:9]
	s_and_b64 s[4:5], s[4:5], exec
                                        ; implicit-def: $vgpr11
	s_or_saveexec_b64 s[6:7], s[6:7]
	v_mov_b32_e32 v10, s10
	s_xor_b64 exec, exec, s[6:7]
	s_cbranch_execz .LBB19_658
.LBB19_2708:
	v_cmp_ne_u16_e32 vcc, 0, v11
	s_andn2_b64 s[4:5], s[4:5], exec
	s_and_b64 s[8:9], vcc, exec
	v_mov_b32_e32 v10, 0
	s_or_b64 s[4:5], s[4:5], s[8:9]
	s_or_b64 exec, exec, s[6:7]
	s_and_saveexec_b64 s[6:7], s[4:5]
	s_cbranch_execnz .LBB19_659
	s_branch .LBB19_660
.LBB19_2709:
	s_movk_i32 s4, 0x80
	v_cmp_eq_u16_e32 vcc, s4, v11
	s_mov_b64 s[4:5], -1
                                        ; implicit-def: $sgpr10
	s_and_saveexec_b64 s[8:9], vcc
; %bb.2710:
	s_mov_b32 s10, 0x7f800001
	s_xor_b64 s[4:5], exec, -1
; %bb.2711:
	s_or_b64 exec, exec, s[8:9]
	s_and_b64 s[4:5], s[4:5], exec
                                        ; implicit-def: $vgpr11
	s_or_saveexec_b64 s[6:7], s[6:7]
	v_mov_b32_e32 v12, s10
	s_xor_b64 exec, exec, s[6:7]
	s_cbranch_execz .LBB19_662
.LBB19_2712:
	v_cmp_ne_u16_e32 vcc, 0, v11
	s_andn2_b64 s[4:5], s[4:5], exec
	s_and_b64 s[8:9], vcc, exec
	v_mov_b32_e32 v12, 0
	s_or_b64 s[4:5], s[4:5], s[8:9]
	s_or_b64 exec, exec, s[6:7]
	s_and_saveexec_b64 s[6:7], s[4:5]
	s_cbranch_execnz .LBB19_663
	s_branch .LBB19_664
.LBB19_2713:
	s_movk_i32 s4, 0x80
	v_cmp_eq_u16_sdwa s[12:13], v6, s4 src0_sel:BYTE_3 src1_sel:DWORD
	s_mov_b64 s[4:5], -1
                                        ; implicit-def: $sgpr10
	s_and_saveexec_b64 s[8:9], s[12:13]
; %bb.2714:
	s_mov_b32 s10, 0x7f800001
	s_xor_b64 s[4:5], exec, -1
; %bb.2715:
	s_or_b64 exec, exec, s[8:9]
	s_and_b64 s[4:5], s[4:5], exec
	s_or_saveexec_b64 s[6:7], s[6:7]
	v_mov_b32_e32 v10, s10
	s_xor_b64 exec, exec, s[6:7]
	s_cbranch_execz .LBB19_666
.LBB19_2716:
	v_mov_b32_e32 v10, 0
	v_cmp_ne_u16_sdwa s[8:9], v6, v10 src0_sel:BYTE_3 src1_sel:DWORD
	s_andn2_b64 s[4:5], s[4:5], exec
	s_and_b64 s[8:9], s[8:9], exec
	s_or_b64 s[4:5], s[4:5], s[8:9]
	s_or_b64 exec, exec, s[6:7]
	s_and_saveexec_b64 s[6:7], s[4:5]
	s_cbranch_execnz .LBB19_667
	s_branch .LBB19_668
.LBB19_2717:
	s_movk_i32 s4, 0x80
	v_cmp_eq_u16_sdwa s[12:13], v2, s4 src0_sel:BYTE_3 src1_sel:DWORD
	s_mov_b64 s[4:5], -1
                                        ; implicit-def: $sgpr10
	s_and_saveexec_b64 s[8:9], s[12:13]
; %bb.2718:
	s_mov_b32 s10, 0x7f800001
	s_xor_b64 s[4:5], exec, -1
; %bb.2719:
	s_or_b64 exec, exec, s[8:9]
	s_and_b64 s[4:5], s[4:5], exec
	s_or_saveexec_b64 s[6:7], s[6:7]
	v_mov_b32_e32 v6, s10
	s_xor_b64 exec, exec, s[6:7]
	s_cbranch_execz .LBB19_670
.LBB19_2720:
	v_mov_b32_e32 v6, 0
	v_cmp_ne_u16_sdwa s[8:9], v2, v6 src0_sel:BYTE_3 src1_sel:DWORD
	s_andn2_b64 s[4:5], s[4:5], exec
	s_and_b64 s[8:9], s[8:9], exec
	s_or_b64 s[4:5], s[4:5], s[8:9]
	s_or_b64 exec, exec, s[6:7]
	s_and_saveexec_b64 s[6:7], s[4:5]
	s_cbranch_execnz .LBB19_671
	s_branch .LBB19_672
.LBB19_2721:
	s_movk_i32 s4, 0x80
	v_cmp_eq_u16_sdwa s[12:13], v7, s4 src0_sel:BYTE_0 src1_sel:DWORD
	s_mov_b64 s[4:5], -1
                                        ; implicit-def: $sgpr10
	s_and_saveexec_b64 s[8:9], s[12:13]
; %bb.2722:
	s_mov_b32 s10, 0x7f800001
	s_xor_b64 s[4:5], exec, -1
; %bb.2723:
	s_or_b64 exec, exec, s[8:9]
	s_and_b64 s[4:5], s[4:5], exec
	s_or_saveexec_b64 s[6:7], s[6:7]
	v_mov_b32_e32 v2, s10
	s_xor_b64 exec, exec, s[6:7]
	s_cbranch_execz .LBB19_674
.LBB19_2724:
	v_mov_b32_e32 v2, 0
	v_cmp_ne_u16_sdwa s[8:9], v7, v2 src0_sel:BYTE_0 src1_sel:DWORD
	s_andn2_b64 s[4:5], s[4:5], exec
	s_and_b64 s[8:9], s[8:9], exec
	s_or_b64 s[4:5], s[4:5], s[8:9]
	s_or_b64 exec, exec, s[6:7]
	s_and_saveexec_b64 s[6:7], s[4:5]
	s_cbranch_execnz .LBB19_675
	s_branch .LBB19_676
.LBB19_2725:
	s_movk_i32 s4, 0x80
	v_cmp_eq_u16_sdwa s[12:13], v3, s4 src0_sel:BYTE_0 src1_sel:DWORD
	s_mov_b64 s[4:5], -1
                                        ; implicit-def: $sgpr10
	s_and_saveexec_b64 s[8:9], s[12:13]
; %bb.2726:
	s_mov_b32 s10, 0x7f800001
	s_xor_b64 s[4:5], exec, -1
; %bb.2727:
	s_or_b64 exec, exec, s[8:9]
	s_and_b64 s[4:5], s[4:5], exec
	s_or_saveexec_b64 s[6:7], s[6:7]
	v_mov_b32_e32 v6, s10
	s_xor_b64 exec, exec, s[6:7]
	s_cbranch_execz .LBB19_678
.LBB19_2728:
	v_mov_b32_e32 v6, 0
	v_cmp_ne_u16_sdwa s[8:9], v3, v6 src0_sel:BYTE_0 src1_sel:DWORD
	s_andn2_b64 s[4:5], s[4:5], exec
	s_and_b64 s[8:9], s[8:9], exec
	s_or_b64 s[4:5], s[4:5], s[8:9]
	s_or_b64 exec, exec, s[6:7]
	s_and_saveexec_b64 s[6:7], s[4:5]
	s_cbranch_execnz .LBB19_679
	s_branch .LBB19_680
.LBB19_2729:
	s_movk_i32 s4, 0x80
	v_cmp_eq_u16_sdwa s[12:13], v6, s4 src0_sel:BYTE_0 src1_sel:DWORD
	s_mov_b64 s[4:5], -1
                                        ; implicit-def: $sgpr10
	s_and_saveexec_b64 s[8:9], s[12:13]
; %bb.2730:
	s_mov_b32 s10, 0x7f800001
	s_xor_b64 s[4:5], exec, -1
; %bb.2731:
	s_or_b64 exec, exec, s[8:9]
	s_and_b64 s[4:5], s[4:5], exec
	s_or_saveexec_b64 s[6:7], s[6:7]
	v_mov_b32_e32 v2, s10
	s_xor_b64 exec, exec, s[6:7]
	s_cbranch_execz .LBB19_682
.LBB19_2732:
	v_mov_b32_e32 v2, 0
	v_cmp_ne_u16_sdwa s[8:9], v6, v2 src0_sel:BYTE_0 src1_sel:DWORD
	s_andn2_b64 s[4:5], s[4:5], exec
	s_and_b64 s[8:9], s[8:9], exec
	s_or_b64 s[4:5], s[4:5], s[8:9]
	s_or_b64 exec, exec, s[6:7]
	s_and_saveexec_b64 s[6:7], s[4:5]
	s_cbranch_execnz .LBB19_683
	s_branch .LBB19_684
.LBB19_2733:
	s_movk_i32 s4, 0x80
	v_cmp_eq_u16_sdwa s[12:13], v6, s4 src0_sel:BYTE_0 src1_sel:DWORD
	s_mov_b64 s[4:5], -1
                                        ; implicit-def: $sgpr10
	s_and_saveexec_b64 s[8:9], s[12:13]
; %bb.2734:
	s_mov_b32 s10, 0x7f800001
	s_xor_b64 s[4:5], exec, -1
; %bb.2735:
	s_or_b64 exec, exec, s[8:9]
	s_and_b64 s[4:5], s[4:5], exec
	s_or_saveexec_b64 s[6:7], s[6:7]
	v_mov_b32_e32 v10, s10
	s_xor_b64 exec, exec, s[6:7]
	s_cbranch_execz .LBB19_686
.LBB19_2736:
	v_mov_b32_e32 v10, 0
	v_cmp_ne_u16_sdwa s[8:9], v6, v10 src0_sel:BYTE_0 src1_sel:DWORD
	s_andn2_b64 s[4:5], s[4:5], exec
	s_and_b64 s[8:9], s[8:9], exec
	s_or_b64 s[4:5], s[4:5], s[8:9]
	s_or_b64 exec, exec, s[6:7]
	s_and_saveexec_b64 s[6:7], s[4:5]
	s_cbranch_execnz .LBB19_687
	s_branch .LBB19_688
.LBB19_2737:
	s_movk_i32 s4, 0x80
	v_cmp_eq_u16_e32 vcc, s4, v6
	s_mov_b64 s[4:5], -1
                                        ; implicit-def: $sgpr10
	s_and_saveexec_b64 s[8:9], vcc
; %bb.2738:
	s_mov_b32 s10, 0x7f800001
	s_xor_b64 s[4:5], exec, -1
; %bb.2739:
	s_or_b64 exec, exec, s[8:9]
	s_and_b64 s[4:5], s[4:5], exec
                                        ; implicit-def: $vgpr6
	s_or_saveexec_b64 s[6:7], s[6:7]
	v_mov_b32_e32 v2, s10
	s_xor_b64 exec, exec, s[6:7]
	s_cbranch_execz .LBB19_690
.LBB19_2740:
	v_cmp_ne_u16_e32 vcc, 0, v6
	s_andn2_b64 s[4:5], s[4:5], exec
	s_and_b64 s[8:9], vcc, exec
	v_mov_b32_e32 v2, 0
	s_or_b64 s[4:5], s[4:5], s[8:9]
	s_or_b64 exec, exec, s[6:7]
	s_and_saveexec_b64 s[6:7], s[4:5]
	s_cbranch_execnz .LBB19_691
	s_branch .LBB19_692
.LBB19_2741:
	s_movk_i32 s4, 0x80
	v_cmp_eq_u16_e32 vcc, s4, v6
	s_mov_b64 s[4:5], -1
                                        ; implicit-def: $sgpr10
	s_and_saveexec_b64 s[8:9], vcc
; %bb.2742:
	s_mov_b32 s10, 0x7f800001
	s_xor_b64 s[4:5], exec, -1
; %bb.2743:
	s_or_b64 exec, exec, s[8:9]
	s_and_b64 s[4:5], s[4:5], exec
                                        ; implicit-def: $vgpr6
	s_or_saveexec_b64 s[6:7], s[6:7]
	v_mov_b32_e32 v10, s10
	s_xor_b64 exec, exec, s[6:7]
	s_cbranch_execz .LBB19_694
.LBB19_2744:
	v_cmp_ne_u16_e32 vcc, 0, v6
	s_andn2_b64 s[4:5], s[4:5], exec
	s_and_b64 s[8:9], vcc, exec
	v_mov_b32_e32 v10, 0
	s_or_b64 s[4:5], s[4:5], s[8:9]
	s_or_b64 exec, exec, s[6:7]
	s_and_saveexec_b64 s[6:7], s[4:5]
	s_cbranch_execnz .LBB19_695
	s_branch .LBB19_696
.LBB19_2745:
	s_movk_i32 s4, 0x80
	v_cmp_eq_u16_sdwa s[12:13], v7, s4 src0_sel:BYTE_3 src1_sel:DWORD
	s_mov_b64 s[4:5], -1
                                        ; implicit-def: $sgpr10
	s_and_saveexec_b64 s[8:9], s[12:13]
; %bb.2746:
	s_mov_b32 s10, 0x7f800001
	s_xor_b64 s[4:5], exec, -1
; %bb.2747:
	s_or_b64 exec, exec, s[8:9]
	s_and_b64 s[4:5], s[4:5], exec
	s_or_saveexec_b64 s[6:7], s[6:7]
	v_mov_b32_e32 v2, s10
	s_xor_b64 exec, exec, s[6:7]
	s_cbranch_execz .LBB19_698
.LBB19_2748:
	v_mov_b32_e32 v2, 0
	v_cmp_ne_u16_sdwa s[8:9], v7, v2 src0_sel:BYTE_3 src1_sel:DWORD
	s_andn2_b64 s[4:5], s[4:5], exec
	s_and_b64 s[8:9], s[8:9], exec
	s_or_b64 s[4:5], s[4:5], s[8:9]
	s_or_b64 exec, exec, s[6:7]
	s_and_saveexec_b64 s[6:7], s[4:5]
	s_cbranch_execnz .LBB19_699
	s_branch .LBB19_700
.LBB19_2749:
	s_movk_i32 s4, 0x80
	v_cmp_eq_u16_sdwa s[12:13], v3, s4 src0_sel:BYTE_3 src1_sel:DWORD
	s_mov_b64 s[4:5], -1
                                        ; implicit-def: $sgpr10
	s_and_saveexec_b64 s[8:9], s[12:13]
; %bb.2750:
	s_mov_b32 s10, 0x7f800001
	s_xor_b64 s[4:5], exec, -1
; %bb.2751:
	s_or_b64 exec, exec, s[8:9]
	s_and_b64 s[4:5], s[4:5], exec
	s_or_saveexec_b64 s[6:7], s[6:7]
	v_mov_b32_e32 v6, s10
	s_xor_b64 exec, exec, s[6:7]
	s_cbranch_execz .LBB19_702
.LBB19_2752:
	v_mov_b32_e32 v6, 0
	v_cmp_ne_u16_sdwa s[8:9], v3, v6 src0_sel:BYTE_3 src1_sel:DWORD
	s_andn2_b64 s[4:5], s[4:5], exec
	s_and_b64 s[8:9], s[8:9], exec
	s_or_b64 s[4:5], s[4:5], s[8:9]
	s_or_b64 exec, exec, s[6:7]
	s_and_saveexec_b64 s[6:7], s[4:5]
	s_cbranch_execnz .LBB19_703
	s_branch .LBB19_704
.LBB19_2753:
	s_movk_i32 s4, 0x80
	v_cmp_eq_u16_sdwa s[12:13], v8, s4 src0_sel:BYTE_0 src1_sel:DWORD
	s_mov_b64 s[4:5], -1
                                        ; implicit-def: $sgpr10
	s_and_saveexec_b64 s[8:9], s[12:13]
; %bb.2754:
	s_mov_b32 s10, 0x7f800001
	s_xor_b64 s[4:5], exec, -1
; %bb.2755:
	s_or_b64 exec, exec, s[8:9]
	s_and_b64 s[4:5], s[4:5], exec
	s_or_saveexec_b64 s[6:7], s[6:7]
	v_mov_b32_e32 v2, s10
	s_xor_b64 exec, exec, s[6:7]
	s_cbranch_execz .LBB19_706
.LBB19_2756:
	v_mov_b32_e32 v2, 0
	v_cmp_ne_u16_sdwa s[8:9], v8, v2 src0_sel:BYTE_0 src1_sel:DWORD
	s_andn2_b64 s[4:5], s[4:5], exec
	s_and_b64 s[8:9], s[8:9], exec
	s_or_b64 s[4:5], s[4:5], s[8:9]
	s_or_b64 exec, exec, s[6:7]
	s_and_saveexec_b64 s[6:7], s[4:5]
	s_cbranch_execnz .LBB19_707
	s_branch .LBB19_708
.LBB19_2757:
	s_movk_i32 s4, 0x80
	v_cmp_eq_u16_sdwa s[12:13], v4, s4 src0_sel:BYTE_0 src1_sel:DWORD
	s_mov_b64 s[4:5], -1
                                        ; implicit-def: $sgpr10
	s_and_saveexec_b64 s[8:9], s[12:13]
; %bb.2758:
	s_mov_b32 s10, 0x7f800001
	s_xor_b64 s[4:5], exec, -1
; %bb.2759:
	s_or_b64 exec, exec, s[8:9]
	s_and_b64 s[4:5], s[4:5], exec
	s_or_saveexec_b64 s[6:7], s[6:7]
	v_mov_b32_e32 v3, s10
	s_xor_b64 exec, exec, s[6:7]
	s_cbranch_execz .LBB19_710
.LBB19_2760:
	v_mov_b32_e32 v3, 0
	v_cmp_ne_u16_sdwa s[8:9], v4, v3 src0_sel:BYTE_0 src1_sel:DWORD
	s_andn2_b64 s[4:5], s[4:5], exec
	s_and_b64 s[8:9], s[8:9], exec
	s_or_b64 s[4:5], s[4:5], s[8:9]
	s_or_b64 exec, exec, s[6:7]
	s_and_saveexec_b64 s[6:7], s[4:5]
	s_cbranch_execnz .LBB19_711
	s_branch .LBB19_712
.LBB19_2761:
	s_movk_i32 s4, 0x80
	v_cmp_eq_u16_sdwa s[12:13], v3, s4 src0_sel:BYTE_0 src1_sel:DWORD
	s_mov_b64 s[4:5], -1
                                        ; implicit-def: $sgpr10
	s_and_saveexec_b64 s[8:9], s[12:13]
; %bb.2762:
	s_mov_b32 s10, 0x7f800001
	s_xor_b64 s[4:5], exec, -1
; %bb.2763:
	s_or_b64 exec, exec, s[8:9]
	s_and_b64 s[4:5], s[4:5], exec
	s_or_saveexec_b64 s[6:7], s[6:7]
	v_mov_b32_e32 v2, s10
	s_xor_b64 exec, exec, s[6:7]
	s_cbranch_execz .LBB19_714
.LBB19_2764:
	v_mov_b32_e32 v2, 0
	v_cmp_ne_u16_sdwa s[8:9], v3, v2 src0_sel:BYTE_0 src1_sel:DWORD
	s_andn2_b64 s[4:5], s[4:5], exec
	s_and_b64 s[8:9], s[8:9], exec
	s_or_b64 s[4:5], s[4:5], s[8:9]
	s_or_b64 exec, exec, s[6:7]
	s_and_saveexec_b64 s[6:7], s[4:5]
	s_cbranch_execnz .LBB19_715
	s_branch .LBB19_716
.LBB19_2765:
	s_movk_i32 s4, 0x80
	v_cmp_eq_u16_sdwa s[12:13], v3, s4 src0_sel:BYTE_0 src1_sel:DWORD
	s_mov_b64 s[4:5], -1
                                        ; implicit-def: $sgpr10
	s_and_saveexec_b64 s[8:9], s[12:13]
; %bb.2766:
	s_mov_b32 s10, 0x7f800001
	s_xor_b64 s[4:5], exec, -1
; %bb.2767:
	s_or_b64 exec, exec, s[8:9]
	s_and_b64 s[4:5], s[4:5], exec
	s_or_saveexec_b64 s[6:7], s[6:7]
	v_mov_b32_e32 v6, s10
	s_xor_b64 exec, exec, s[6:7]
	s_cbranch_execz .LBB19_718
.LBB19_2768:
	v_mov_b32_e32 v6, 0
	v_cmp_ne_u16_sdwa s[8:9], v3, v6 src0_sel:BYTE_0 src1_sel:DWORD
	s_andn2_b64 s[4:5], s[4:5], exec
	s_and_b64 s[8:9], s[8:9], exec
	s_or_b64 s[4:5], s[4:5], s[8:9]
	s_or_b64 exec, exec, s[6:7]
	s_and_saveexec_b64 s[6:7], s[4:5]
	s_cbranch_execnz .LBB19_719
	s_branch .LBB19_720
.LBB19_2769:
	s_movk_i32 s4, 0x80
	v_cmp_eq_u16_e32 vcc, s4, v3
	s_mov_b64 s[4:5], -1
                                        ; implicit-def: $sgpr10
	s_and_saveexec_b64 s[8:9], vcc
; %bb.2770:
	s_mov_b32 s10, 0x7f800001
	s_xor_b64 s[4:5], exec, -1
; %bb.2771:
	s_or_b64 exec, exec, s[8:9]
	s_and_b64 s[4:5], s[4:5], exec
                                        ; implicit-def: $vgpr3
	s_or_saveexec_b64 s[6:7], s[6:7]
	v_mov_b32_e32 v2, s10
	s_xor_b64 exec, exec, s[6:7]
	s_cbranch_execz .LBB19_722
.LBB19_2772:
	v_cmp_ne_u16_e32 vcc, 0, v3
	s_andn2_b64 s[4:5], s[4:5], exec
	s_and_b64 s[8:9], vcc, exec
	v_mov_b32_e32 v2, 0
	s_or_b64 s[4:5], s[4:5], s[8:9]
	s_or_b64 exec, exec, s[6:7]
	s_and_saveexec_b64 s[6:7], s[4:5]
	s_cbranch_execnz .LBB19_723
	s_branch .LBB19_724
.LBB19_2773:
	s_movk_i32 s4, 0x80
	v_cmp_eq_u16_e32 vcc, s4, v3
	s_mov_b64 s[4:5], -1
                                        ; implicit-def: $sgpr10
	s_and_saveexec_b64 s[8:9], vcc
; %bb.2774:
	s_mov_b32 s10, 0x7f800001
	s_xor_b64 s[4:5], exec, -1
; %bb.2775:
	s_or_b64 exec, exec, s[8:9]
	s_and_b64 s[4:5], s[4:5], exec
                                        ; implicit-def: $vgpr3
	s_or_saveexec_b64 s[6:7], s[6:7]
	v_mov_b32_e32 v6, s10
	s_xor_b64 exec, exec, s[6:7]
	s_cbranch_execz .LBB19_726
.LBB19_2776:
	v_cmp_ne_u16_e32 vcc, 0, v3
	s_andn2_b64 s[4:5], s[4:5], exec
	s_and_b64 s[8:9], vcc, exec
	v_mov_b32_e32 v6, 0
	s_or_b64 s[4:5], s[4:5], s[8:9]
	s_or_b64 exec, exec, s[6:7]
	s_and_saveexec_b64 s[6:7], s[4:5]
	s_cbranch_execnz .LBB19_727
	s_branch .LBB19_728
.LBB19_2777:
	s_movk_i32 s4, 0x80
	v_cmp_eq_u16_sdwa s[12:13], v8, s4 src0_sel:BYTE_3 src1_sel:DWORD
	s_mov_b64 s[4:5], -1
                                        ; implicit-def: $sgpr10
	s_and_saveexec_b64 s[8:9], s[12:13]
; %bb.2778:
	s_mov_b32 s10, 0x7f800001
	s_xor_b64 s[4:5], exec, -1
; %bb.2779:
	s_or_b64 exec, exec, s[8:9]
	s_and_b64 s[4:5], s[4:5], exec
	s_or_saveexec_b64 s[6:7], s[6:7]
	v_mov_b32_e32 v2, s10
	s_xor_b64 exec, exec, s[6:7]
	s_cbranch_execz .LBB19_730
.LBB19_2780:
	v_mov_b32_e32 v2, 0
	v_cmp_ne_u16_sdwa s[8:9], v8, v2 src0_sel:BYTE_3 src1_sel:DWORD
	s_andn2_b64 s[4:5], s[4:5], exec
	s_and_b64 s[8:9], s[8:9], exec
	s_or_b64 s[4:5], s[4:5], s[8:9]
	s_or_b64 exec, exec, s[6:7]
	s_and_saveexec_b64 s[6:7], s[4:5]
	s_cbranch_execnz .LBB19_731
	s_branch .LBB19_732
.LBB19_2781:
	s_movk_i32 s4, 0x80
	v_cmp_eq_u16_sdwa s[12:13], v4, s4 src0_sel:BYTE_3 src1_sel:DWORD
	s_mov_b64 s[4:5], -1
                                        ; implicit-def: $sgpr10
	s_and_saveexec_b64 s[8:9], s[12:13]
; %bb.2782:
	s_mov_b32 s10, 0x7f800001
	s_xor_b64 s[4:5], exec, -1
; %bb.2783:
	s_or_b64 exec, exec, s[8:9]
	s_and_b64 s[4:5], s[4:5], exec
	s_or_saveexec_b64 s[6:7], s[6:7]
	v_mov_b32_e32 v3, s10
	s_xor_b64 exec, exec, s[6:7]
	s_cbranch_execz .LBB19_734
.LBB19_2784:
	v_mov_b32_e32 v3, 0
	v_cmp_ne_u16_sdwa s[8:9], v4, v3 src0_sel:BYTE_3 src1_sel:DWORD
	s_andn2_b64 s[4:5], s[4:5], exec
	s_and_b64 s[8:9], s[8:9], exec
	s_or_b64 s[4:5], s[4:5], s[8:9]
	s_or_b64 exec, exec, s[6:7]
	s_and_saveexec_b64 s[6:7], s[4:5]
	s_cbranch_execnz .LBB19_735
	s_branch .LBB19_736
.LBB19_2785:
	s_movk_i32 s4, 0x80
	v_cmp_eq_u16_sdwa s[12:13], v9, s4 src0_sel:BYTE_0 src1_sel:DWORD
	s_mov_b64 s[4:5], -1
                                        ; implicit-def: $sgpr10
	s_and_saveexec_b64 s[8:9], s[12:13]
; %bb.2786:
	s_mov_b32 s10, 0x7f800001
	s_xor_b64 s[4:5], exec, -1
; %bb.2787:
	s_or_b64 exec, exec, s[8:9]
	s_and_b64 s[4:5], s[4:5], exec
	s_or_saveexec_b64 s[6:7], s[6:7]
	v_mov_b32_e32 v2, s10
	s_xor_b64 exec, exec, s[6:7]
	s_cbranch_execz .LBB19_738
.LBB19_2788:
	v_mov_b32_e32 v2, 0
	v_cmp_ne_u16_sdwa s[8:9], v9, v2 src0_sel:BYTE_0 src1_sel:DWORD
	s_andn2_b64 s[4:5], s[4:5], exec
	s_and_b64 s[8:9], s[8:9], exec
	s_or_b64 s[4:5], s[4:5], s[8:9]
	s_or_b64 exec, exec, s[6:7]
	s_and_saveexec_b64 s[6:7], s[4:5]
	s_cbranch_execnz .LBB19_739
	s_branch .LBB19_740
.LBB19_2789:
	s_movk_i32 s4, 0x80
	v_cmp_eq_u16_sdwa s[12:13], v5, s4 src0_sel:BYTE_0 src1_sel:DWORD
	s_mov_b64 s[4:5], -1
                                        ; implicit-def: $sgpr10
	s_and_saveexec_b64 s[8:9], s[12:13]
; %bb.2790:
	s_mov_b32 s10, 0x7f800001
	s_xor_b64 s[4:5], exec, -1
; %bb.2791:
	s_or_b64 exec, exec, s[8:9]
	s_and_b64 s[4:5], s[4:5], exec
	s_or_saveexec_b64 s[6:7], s[6:7]
	v_mov_b32_e32 v3, s10
	s_xor_b64 exec, exec, s[6:7]
	s_cbranch_execz .LBB19_742
.LBB19_2792:
	v_mov_b32_e32 v3, 0
	v_cmp_ne_u16_sdwa s[8:9], v5, v3 src0_sel:BYTE_0 src1_sel:DWORD
	s_andn2_b64 s[4:5], s[4:5], exec
	s_and_b64 s[8:9], s[8:9], exec
	s_or_b64 s[4:5], s[4:5], s[8:9]
	s_or_b64 exec, exec, s[6:7]
	s_and_saveexec_b64 s[6:7], s[4:5]
	s_cbranch_execnz .LBB19_743
	s_branch .LBB19_744
.LBB19_2793:
	s_movk_i32 s4, 0x80
	v_cmp_eq_u16_sdwa s[12:13], v3, s4 src0_sel:BYTE_0 src1_sel:DWORD
	s_mov_b64 s[4:5], -1
                                        ; implicit-def: $sgpr10
	s_and_saveexec_b64 s[8:9], s[12:13]
; %bb.2794:
	s_mov_b32 s10, 0x7f800001
	s_xor_b64 s[4:5], exec, -1
; %bb.2795:
	s_or_b64 exec, exec, s[8:9]
	s_and_b64 s[4:5], s[4:5], exec
	s_or_saveexec_b64 s[6:7], s[6:7]
	v_mov_b32_e32 v2, s10
	s_xor_b64 exec, exec, s[6:7]
	s_cbranch_execz .LBB19_746
.LBB19_2796:
	v_mov_b32_e32 v2, 0
	v_cmp_ne_u16_sdwa s[8:9], v3, v2 src0_sel:BYTE_0 src1_sel:DWORD
	s_andn2_b64 s[4:5], s[4:5], exec
	s_and_b64 s[8:9], s[8:9], exec
	s_or_b64 s[4:5], s[4:5], s[8:9]
	s_or_b64 exec, exec, s[6:7]
	s_and_saveexec_b64 s[6:7], s[4:5]
	s_cbranch_execnz .LBB19_747
	s_branch .LBB19_748
.LBB19_2797:
	s_movk_i32 s4, 0x80
	v_cmp_eq_u16_sdwa s[12:13], v3, s4 src0_sel:BYTE_0 src1_sel:DWORD
	s_mov_b64 s[4:5], -1
                                        ; implicit-def: $sgpr10
	s_and_saveexec_b64 s[8:9], s[12:13]
; %bb.2798:
	s_mov_b32 s10, 0x7f800001
	s_xor_b64 s[4:5], exec, -1
; %bb.2799:
	s_or_b64 exec, exec, s[8:9]
	s_and_b64 s[4:5], s[4:5], exec
	s_or_saveexec_b64 s[6:7], s[6:7]
	v_mov_b32_e32 v4, s10
	s_xor_b64 exec, exec, s[6:7]
	s_cbranch_execz .LBB19_750
.LBB19_2800:
	v_mov_b32_e32 v4, 0
	v_cmp_ne_u16_sdwa s[8:9], v3, v4 src0_sel:BYTE_0 src1_sel:DWORD
	s_andn2_b64 s[4:5], s[4:5], exec
	s_and_b64 s[8:9], s[8:9], exec
	s_or_b64 s[4:5], s[4:5], s[8:9]
	s_or_b64 exec, exec, s[6:7]
	s_and_saveexec_b64 s[6:7], s[4:5]
	s_cbranch_execnz .LBB19_751
	s_branch .LBB19_752
.LBB19_2801:
	s_movk_i32 s4, 0x80
	v_cmp_eq_u16_e32 vcc, s4, v3
	s_mov_b64 s[4:5], -1
                                        ; implicit-def: $sgpr10
	s_and_saveexec_b64 s[8:9], vcc
; %bb.2802:
	s_mov_b32 s10, 0x7f800001
	s_xor_b64 s[4:5], exec, -1
; %bb.2803:
	s_or_b64 exec, exec, s[8:9]
	s_and_b64 s[4:5], s[4:5], exec
                                        ; implicit-def: $vgpr3
	s_or_saveexec_b64 s[6:7], s[6:7]
	v_mov_b32_e32 v2, s10
	s_xor_b64 exec, exec, s[6:7]
	s_cbranch_execz .LBB19_754
.LBB19_2804:
	v_cmp_ne_u16_e32 vcc, 0, v3
	s_andn2_b64 s[4:5], s[4:5], exec
	s_and_b64 s[8:9], vcc, exec
	v_mov_b32_e32 v2, 0
	s_or_b64 s[4:5], s[4:5], s[8:9]
	s_or_b64 exec, exec, s[6:7]
	s_and_saveexec_b64 s[6:7], s[4:5]
	s_cbranch_execnz .LBB19_755
	s_branch .LBB19_756
.LBB19_2805:
	s_movk_i32 s4, 0x80
	v_cmp_eq_u16_e32 vcc, s4, v3
	s_mov_b64 s[4:5], -1
                                        ; implicit-def: $sgpr10
	s_and_saveexec_b64 s[8:9], vcc
; %bb.2806:
	s_mov_b32 s10, 0x7f800001
	s_xor_b64 s[4:5], exec, -1
; %bb.2807:
	s_or_b64 exec, exec, s[8:9]
	s_and_b64 s[4:5], s[4:5], exec
                                        ; implicit-def: $vgpr3
	s_or_saveexec_b64 s[6:7], s[6:7]
	v_mov_b32_e32 v4, s10
	s_xor_b64 exec, exec, s[6:7]
	s_cbranch_execz .LBB19_758
.LBB19_2808:
	v_cmp_ne_u16_e32 vcc, 0, v3
	s_andn2_b64 s[4:5], s[4:5], exec
	s_and_b64 s[8:9], vcc, exec
	v_mov_b32_e32 v4, 0
	s_or_b64 s[4:5], s[4:5], s[8:9]
	s_or_b64 exec, exec, s[6:7]
	s_and_saveexec_b64 s[6:7], s[4:5]
	s_cbranch_execnz .LBB19_759
	s_branch .LBB19_760
.LBB19_2809:
	s_movk_i32 s4, 0x80
	v_cmp_eq_u16_sdwa s[12:13], v9, s4 src0_sel:BYTE_3 src1_sel:DWORD
	s_mov_b64 s[4:5], -1
                                        ; implicit-def: $sgpr10
	s_and_saveexec_b64 s[8:9], s[12:13]
; %bb.2810:
	s_mov_b32 s10, 0x7f800001
	s_xor_b64 s[4:5], exec, -1
; %bb.2811:
	s_or_b64 exec, exec, s[8:9]
	s_and_b64 s[4:5], s[4:5], exec
	s_or_saveexec_b64 s[6:7], s[6:7]
	v_mov_b32_e32 v2, s10
	s_xor_b64 exec, exec, s[6:7]
	s_cbranch_execz .LBB19_762
.LBB19_2812:
	v_mov_b32_e32 v2, 0
	v_cmp_ne_u16_sdwa s[8:9], v9, v2 src0_sel:BYTE_3 src1_sel:DWORD
	s_andn2_b64 s[4:5], s[4:5], exec
	s_and_b64 s[8:9], s[8:9], exec
	s_or_b64 s[4:5], s[4:5], s[8:9]
	s_or_b64 exec, exec, s[6:7]
	s_and_saveexec_b64 s[6:7], s[4:5]
	s_cbranch_execnz .LBB19_763
	s_branch .LBB19_764
.LBB19_2813:
	s_movk_i32 s4, 0x80
	v_cmp_eq_u16_sdwa s[12:13], v5, s4 src0_sel:BYTE_3 src1_sel:DWORD
	s_mov_b64 s[4:5], -1
                                        ; implicit-def: $sgpr10
	s_and_saveexec_b64 s[8:9], s[12:13]
; %bb.2814:
	s_mov_b32 s10, 0x7f800001
	s_xor_b64 s[4:5], exec, -1
; %bb.2815:
	s_or_b64 exec, exec, s[8:9]
	s_and_b64 s[4:5], s[4:5], exec
	s_or_saveexec_b64 s[6:7], s[6:7]
	v_mov_b32_e32 v3, s10
	s_xor_b64 exec, exec, s[6:7]
	s_cbranch_execz .LBB19_766
.LBB19_2816:
	v_mov_b32_e32 v3, 0
	v_cmp_ne_u16_sdwa s[8:9], v5, v3 src0_sel:BYTE_3 src1_sel:DWORD
	s_andn2_b64 s[4:5], s[4:5], exec
	s_and_b64 s[8:9], s[8:9], exec
	s_or_b64 s[4:5], s[4:5], s[8:9]
	s_or_b64 exec, exec, s[6:7]
	s_and_saveexec_b64 s[6:7], s[4:5]
	s_cbranch_execnz .LBB19_767
	s_branch .LBB19_768
.LBB19_2817:
	s_movk_i32 s4, 0x80
	v_cmp_eq_u16_sdwa s[12:13], v14, s4 src0_sel:BYTE_0 src1_sel:DWORD
	s_mov_b64 s[4:5], -1
                                        ; implicit-def: $sgpr10
	s_and_saveexec_b64 s[8:9], s[12:13]
; %bb.2818:
	s_mov_b32 s10, 0x7f800001
	s_xor_b64 s[4:5], exec, -1
; %bb.2819:
	s_or_b64 exec, exec, s[8:9]
	s_and_b64 s[4:5], s[4:5], exec
	s_or_saveexec_b64 s[6:7], s[6:7]
	v_mov_b32_e32 v20, s10
	s_xor_b64 exec, exec, s[6:7]
	s_cbranch_execz .LBB19_770
.LBB19_2820:
	v_mov_b32_e32 v20, 0
	v_cmp_ne_u16_sdwa s[8:9], v14, v20 src0_sel:BYTE_0 src1_sel:DWORD
	s_andn2_b64 s[4:5], s[4:5], exec
	s_and_b64 s[8:9], s[8:9], exec
	s_or_b64 s[4:5], s[4:5], s[8:9]
	s_or_b64 exec, exec, s[6:7]
	s_and_saveexec_b64 s[6:7], s[4:5]
	s_cbranch_execnz .LBB19_771
	s_branch .LBB19_772
.LBB19_2821:
	s_movk_i32 s4, 0x80
	v_cmp_eq_u16_sdwa s[12:13], v10, s4 src0_sel:BYTE_0 src1_sel:DWORD
	s_mov_b64 s[4:5], -1
                                        ; implicit-def: $sgpr10
	s_and_saveexec_b64 s[8:9], s[12:13]
; %bb.2822:
	s_mov_b32 s10, 0x7f800001
	s_xor_b64 s[4:5], exec, -1
; %bb.2823:
	s_or_b64 exec, exec, s[8:9]
	s_and_b64 s[4:5], s[4:5], exec
	s_or_saveexec_b64 s[6:7], s[6:7]
	v_mov_b32_e32 v21, s10
	s_xor_b64 exec, exec, s[6:7]
	s_cbranch_execz .LBB19_774
.LBB19_2824:
	v_mov_b32_e32 v21, 0
	v_cmp_ne_u16_sdwa s[8:9], v10, v21 src0_sel:BYTE_0 src1_sel:DWORD
	s_andn2_b64 s[4:5], s[4:5], exec
	s_and_b64 s[8:9], s[8:9], exec
	s_or_b64 s[4:5], s[4:5], s[8:9]
	s_or_b64 exec, exec, s[6:7]
	s_and_saveexec_b64 s[6:7], s[4:5]
	s_cbranch_execnz .LBB19_775
	s_branch .LBB19_776
.LBB19_2825:
	s_movk_i32 s4, 0x80
	v_cmp_eq_u16_sdwa s[12:13], v21, s4 src0_sel:BYTE_0 src1_sel:DWORD
	s_mov_b64 s[4:5], -1
                                        ; implicit-def: $sgpr10
	s_and_saveexec_b64 s[8:9], s[12:13]
; %bb.2826:
	s_mov_b32 s10, 0x7f800001
	s_xor_b64 s[4:5], exec, -1
; %bb.2827:
	s_or_b64 exec, exec, s[8:9]
	s_and_b64 s[4:5], s[4:5], exec
	s_or_saveexec_b64 s[6:7], s[6:7]
	v_mov_b32_e32 v20, s10
	s_xor_b64 exec, exec, s[6:7]
	s_cbranch_execz .LBB19_778
.LBB19_2828:
	v_mov_b32_e32 v20, 0
	v_cmp_ne_u16_sdwa s[8:9], v21, v20 src0_sel:BYTE_0 src1_sel:DWORD
	s_andn2_b64 s[4:5], s[4:5], exec
	s_and_b64 s[8:9], s[8:9], exec
	s_or_b64 s[4:5], s[4:5], s[8:9]
	s_or_b64 exec, exec, s[6:7]
	s_and_saveexec_b64 s[6:7], s[4:5]
	s_cbranch_execnz .LBB19_779
	s_branch .LBB19_780
.LBB19_2829:
	s_movk_i32 s4, 0x80
	v_cmp_eq_u16_sdwa s[12:13], v21, s4 src0_sel:BYTE_0 src1_sel:DWORD
	s_mov_b64 s[4:5], -1
                                        ; implicit-def: $sgpr10
	s_and_saveexec_b64 s[8:9], s[12:13]
; %bb.2830:
	s_mov_b32 s10, 0x7f800001
	s_xor_b64 s[4:5], exec, -1
; %bb.2831:
	s_or_b64 exec, exec, s[8:9]
	s_and_b64 s[4:5], s[4:5], exec
	s_or_saveexec_b64 s[6:7], s[6:7]
	v_mov_b32_e32 v22, s10
	s_xor_b64 exec, exec, s[6:7]
	s_cbranch_execz .LBB19_782
.LBB19_2832:
	v_mov_b32_e32 v22, 0
	v_cmp_ne_u16_sdwa s[8:9], v21, v22 src0_sel:BYTE_0 src1_sel:DWORD
	s_andn2_b64 s[4:5], s[4:5], exec
	s_and_b64 s[8:9], s[8:9], exec
	s_or_b64 s[4:5], s[4:5], s[8:9]
	s_or_b64 exec, exec, s[6:7]
	s_and_saveexec_b64 s[6:7], s[4:5]
	s_cbranch_execnz .LBB19_783
	s_branch .LBB19_784
.LBB19_2833:
	s_movk_i32 s4, 0x80
	v_cmp_eq_u16_e32 vcc, s4, v21
	s_mov_b64 s[4:5], -1
                                        ; implicit-def: $sgpr10
	s_and_saveexec_b64 s[8:9], vcc
; %bb.2834:
	s_mov_b32 s10, 0x7f800001
	s_xor_b64 s[4:5], exec, -1
; %bb.2835:
	s_or_b64 exec, exec, s[8:9]
	s_and_b64 s[4:5], s[4:5], exec
                                        ; implicit-def: $vgpr21
	s_or_saveexec_b64 s[6:7], s[6:7]
	v_mov_b32_e32 v20, s10
	s_xor_b64 exec, exec, s[6:7]
	s_cbranch_execz .LBB19_786
.LBB19_2836:
	v_cmp_ne_u16_e32 vcc, 0, v21
	s_andn2_b64 s[4:5], s[4:5], exec
	s_and_b64 s[8:9], vcc, exec
	v_mov_b32_e32 v20, 0
	s_or_b64 s[4:5], s[4:5], s[8:9]
	s_or_b64 exec, exec, s[6:7]
	s_and_saveexec_b64 s[6:7], s[4:5]
	s_cbranch_execnz .LBB19_787
	s_branch .LBB19_788
.LBB19_2837:
	s_movk_i32 s4, 0x80
	v_cmp_eq_u16_e32 vcc, s4, v21
	s_mov_b64 s[4:5], -1
                                        ; implicit-def: $sgpr10
	s_and_saveexec_b64 s[8:9], vcc
; %bb.2838:
	s_mov_b32 s10, 0x7f800001
	s_xor_b64 s[4:5], exec, -1
; %bb.2839:
	s_or_b64 exec, exec, s[8:9]
	s_and_b64 s[4:5], s[4:5], exec
                                        ; implicit-def: $vgpr21
	s_or_saveexec_b64 s[6:7], s[6:7]
	v_mov_b32_e32 v22, s10
	s_xor_b64 exec, exec, s[6:7]
	s_cbranch_execz .LBB19_790
.LBB19_2840:
	v_cmp_ne_u16_e32 vcc, 0, v21
	s_andn2_b64 s[4:5], s[4:5], exec
	s_and_b64 s[8:9], vcc, exec
	v_mov_b32_e32 v22, 0
	s_or_b64 s[4:5], s[4:5], s[8:9]
	s_or_b64 exec, exec, s[6:7]
	s_and_saveexec_b64 s[6:7], s[4:5]
	s_cbranch_execnz .LBB19_791
	s_branch .LBB19_792
.LBB19_2841:
	s_movk_i32 s4, 0x80
	v_cmp_eq_u16_sdwa s[12:13], v14, s4 src0_sel:BYTE_3 src1_sel:DWORD
	s_mov_b64 s[4:5], -1
                                        ; implicit-def: $sgpr10
	s_and_saveexec_b64 s[8:9], s[12:13]
; %bb.2842:
	s_mov_b32 s10, 0x7f800001
	s_xor_b64 s[4:5], exec, -1
; %bb.2843:
	s_or_b64 exec, exec, s[8:9]
	s_and_b64 s[4:5], s[4:5], exec
	s_or_saveexec_b64 s[6:7], s[6:7]
	v_mov_b32_e32 v20, s10
	s_xor_b64 exec, exec, s[6:7]
	s_cbranch_execz .LBB19_794
.LBB19_2844:
	v_mov_b32_e32 v20, 0
	v_cmp_ne_u16_sdwa s[8:9], v14, v20 src0_sel:BYTE_3 src1_sel:DWORD
	s_andn2_b64 s[4:5], s[4:5], exec
	s_and_b64 s[8:9], s[8:9], exec
	s_or_b64 s[4:5], s[4:5], s[8:9]
	s_or_b64 exec, exec, s[6:7]
	s_and_saveexec_b64 s[6:7], s[4:5]
	s_cbranch_execnz .LBB19_795
	s_branch .LBB19_796
.LBB19_2845:
	s_movk_i32 s4, 0x80
	v_cmp_eq_u16_sdwa s[12:13], v10, s4 src0_sel:BYTE_3 src1_sel:DWORD
	s_mov_b64 s[4:5], -1
                                        ; implicit-def: $sgpr10
	s_and_saveexec_b64 s[8:9], s[12:13]
; %bb.2846:
	s_mov_b32 s10, 0x7f800001
	s_xor_b64 s[4:5], exec, -1
; %bb.2847:
	s_or_b64 exec, exec, s[8:9]
	s_and_b64 s[4:5], s[4:5], exec
	s_or_saveexec_b64 s[6:7], s[6:7]
	v_mov_b32_e32 v14, s10
	s_xor_b64 exec, exec, s[6:7]
	s_cbranch_execz .LBB19_798
.LBB19_2848:
	v_mov_b32_e32 v14, 0
	v_cmp_ne_u16_sdwa s[8:9], v10, v14 src0_sel:BYTE_3 src1_sel:DWORD
	s_andn2_b64 s[4:5], s[4:5], exec
	s_and_b64 s[8:9], s[8:9], exec
	s_or_b64 s[4:5], s[4:5], s[8:9]
	s_or_b64 exec, exec, s[6:7]
	s_and_saveexec_b64 s[6:7], s[4:5]
	s_cbranch_execnz .LBB19_799
	s_branch .LBB19_800
.LBB19_2849:
	s_movk_i32 s4, 0x80
	v_cmp_eq_u16_sdwa s[12:13], v15, s4 src0_sel:BYTE_0 src1_sel:DWORD
	s_mov_b64 s[4:5], -1
                                        ; implicit-def: $sgpr10
	s_and_saveexec_b64 s[8:9], s[12:13]
; %bb.2850:
	s_mov_b32 s10, 0x7f800001
	s_xor_b64 s[4:5], exec, -1
; %bb.2851:
	s_or_b64 exec, exec, s[8:9]
	s_and_b64 s[4:5], s[4:5], exec
	s_or_saveexec_b64 s[6:7], s[6:7]
	v_mov_b32_e32 v10, s10
	s_xor_b64 exec, exec, s[6:7]
	s_cbranch_execz .LBB19_802
.LBB19_2852:
	v_mov_b32_e32 v10, 0
	v_cmp_ne_u16_sdwa s[8:9], v15, v10 src0_sel:BYTE_0 src1_sel:DWORD
	s_andn2_b64 s[4:5], s[4:5], exec
	s_and_b64 s[8:9], s[8:9], exec
	s_or_b64 s[4:5], s[4:5], s[8:9]
	s_or_b64 exec, exec, s[6:7]
	s_and_saveexec_b64 s[6:7], s[4:5]
	s_cbranch_execnz .LBB19_803
	s_branch .LBB19_804
.LBB19_2853:
	s_movk_i32 s4, 0x80
	v_cmp_eq_u16_sdwa s[12:13], v11, s4 src0_sel:BYTE_0 src1_sel:DWORD
	s_mov_b64 s[4:5], -1
                                        ; implicit-def: $sgpr10
	s_and_saveexec_b64 s[8:9], s[12:13]
; %bb.2854:
	s_mov_b32 s10, 0x7f800001
	s_xor_b64 s[4:5], exec, -1
; %bb.2855:
	s_or_b64 exec, exec, s[8:9]
	s_and_b64 s[4:5], s[4:5], exec
	s_or_saveexec_b64 s[6:7], s[6:7]
	v_mov_b32_e32 v14, s10
	s_xor_b64 exec, exec, s[6:7]
	s_cbranch_execz .LBB19_806
.LBB19_2856:
	v_mov_b32_e32 v14, 0
	v_cmp_ne_u16_sdwa s[8:9], v11, v14 src0_sel:BYTE_0 src1_sel:DWORD
	s_andn2_b64 s[4:5], s[4:5], exec
	s_and_b64 s[8:9], s[8:9], exec
	s_or_b64 s[4:5], s[4:5], s[8:9]
	s_or_b64 exec, exec, s[6:7]
	s_and_saveexec_b64 s[6:7], s[4:5]
	s_cbranch_execnz .LBB19_807
	s_branch .LBB19_808
.LBB19_2857:
	s_movk_i32 s4, 0x80
	v_cmp_eq_u16_sdwa s[12:13], v14, s4 src0_sel:BYTE_0 src1_sel:DWORD
	s_mov_b64 s[4:5], -1
                                        ; implicit-def: $sgpr10
	s_and_saveexec_b64 s[8:9], s[12:13]
; %bb.2858:
	s_mov_b32 s10, 0x7f800001
	s_xor_b64 s[4:5], exec, -1
; %bb.2859:
	s_or_b64 exec, exec, s[8:9]
	s_and_b64 s[4:5], s[4:5], exec
	s_or_saveexec_b64 s[6:7], s[6:7]
	v_mov_b32_e32 v10, s10
	s_xor_b64 exec, exec, s[6:7]
	s_cbranch_execz .LBB19_810
.LBB19_2860:
	v_mov_b32_e32 v10, 0
	v_cmp_ne_u16_sdwa s[8:9], v14, v10 src0_sel:BYTE_0 src1_sel:DWORD
	s_andn2_b64 s[4:5], s[4:5], exec
	s_and_b64 s[8:9], s[8:9], exec
	s_or_b64 s[4:5], s[4:5], s[8:9]
	s_or_b64 exec, exec, s[6:7]
	s_and_saveexec_b64 s[6:7], s[4:5]
	s_cbranch_execnz .LBB19_811
	s_branch .LBB19_812
.LBB19_2861:
	s_movk_i32 s4, 0x80
	v_cmp_eq_u16_sdwa s[12:13], v14, s4 src0_sel:BYTE_0 src1_sel:DWORD
	s_mov_b64 s[4:5], -1
                                        ; implicit-def: $sgpr10
	s_and_saveexec_b64 s[8:9], s[12:13]
; %bb.2862:
	s_mov_b32 s10, 0x7f800001
	s_xor_b64 s[4:5], exec, -1
; %bb.2863:
	s_or_b64 exec, exec, s[8:9]
	s_and_b64 s[4:5], s[4:5], exec
	s_or_saveexec_b64 s[6:7], s[6:7]
	v_mov_b32_e32 v20, s10
	s_xor_b64 exec, exec, s[6:7]
	s_cbranch_execz .LBB19_814
.LBB19_2864:
	v_mov_b32_e32 v20, 0
	v_cmp_ne_u16_sdwa s[8:9], v14, v20 src0_sel:BYTE_0 src1_sel:DWORD
	s_andn2_b64 s[4:5], s[4:5], exec
	s_and_b64 s[8:9], s[8:9], exec
	s_or_b64 s[4:5], s[4:5], s[8:9]
	s_or_b64 exec, exec, s[6:7]
	s_and_saveexec_b64 s[6:7], s[4:5]
	s_cbranch_execnz .LBB19_815
	s_branch .LBB19_816
.LBB19_2865:
	s_movk_i32 s4, 0x80
	v_cmp_eq_u16_e32 vcc, s4, v14
	s_mov_b64 s[4:5], -1
                                        ; implicit-def: $sgpr10
	s_and_saveexec_b64 s[8:9], vcc
; %bb.2866:
	s_mov_b32 s10, 0x7f800001
	s_xor_b64 s[4:5], exec, -1
; %bb.2867:
	s_or_b64 exec, exec, s[8:9]
	s_and_b64 s[4:5], s[4:5], exec
                                        ; implicit-def: $vgpr14
	s_or_saveexec_b64 s[6:7], s[6:7]
	v_mov_b32_e32 v10, s10
	s_xor_b64 exec, exec, s[6:7]
	s_cbranch_execz .LBB19_818
.LBB19_2868:
	v_cmp_ne_u16_e32 vcc, 0, v14
	s_andn2_b64 s[4:5], s[4:5], exec
	s_and_b64 s[8:9], vcc, exec
	v_mov_b32_e32 v10, 0
	s_or_b64 s[4:5], s[4:5], s[8:9]
	s_or_b64 exec, exec, s[6:7]
	s_and_saveexec_b64 s[6:7], s[4:5]
	s_cbranch_execnz .LBB19_819
	s_branch .LBB19_820
.LBB19_2869:
	s_movk_i32 s4, 0x80
	v_cmp_eq_u16_e32 vcc, s4, v14
	s_mov_b64 s[4:5], -1
                                        ; implicit-def: $sgpr10
	s_and_saveexec_b64 s[8:9], vcc
; %bb.2870:
	s_mov_b32 s10, 0x7f800001
	s_xor_b64 s[4:5], exec, -1
; %bb.2871:
	s_or_b64 exec, exec, s[8:9]
	s_and_b64 s[4:5], s[4:5], exec
                                        ; implicit-def: $vgpr14
	s_or_saveexec_b64 s[6:7], s[6:7]
	v_mov_b32_e32 v20, s10
	s_xor_b64 exec, exec, s[6:7]
	s_cbranch_execz .LBB19_822
.LBB19_2872:
	v_cmp_ne_u16_e32 vcc, 0, v14
	s_andn2_b64 s[4:5], s[4:5], exec
	s_and_b64 s[8:9], vcc, exec
	v_mov_b32_e32 v20, 0
	s_or_b64 s[4:5], s[4:5], s[8:9]
	s_or_b64 exec, exec, s[6:7]
	s_and_saveexec_b64 s[6:7], s[4:5]
	s_cbranch_execnz .LBB19_823
	s_branch .LBB19_824
.LBB19_2873:
	s_movk_i32 s4, 0x80
	v_cmp_eq_u16_sdwa s[12:13], v15, s4 src0_sel:BYTE_3 src1_sel:DWORD
	s_mov_b64 s[4:5], -1
                                        ; implicit-def: $sgpr10
	s_and_saveexec_b64 s[8:9], s[12:13]
; %bb.2874:
	s_mov_b32 s10, 0x7f800001
	s_xor_b64 s[4:5], exec, -1
; %bb.2875:
	s_or_b64 exec, exec, s[8:9]
	s_and_b64 s[4:5], s[4:5], exec
	s_or_saveexec_b64 s[6:7], s[6:7]
	v_mov_b32_e32 v10, s10
	s_xor_b64 exec, exec, s[6:7]
	s_cbranch_execz .LBB19_826
.LBB19_2876:
	v_mov_b32_e32 v10, 0
	v_cmp_ne_u16_sdwa s[8:9], v15, v10 src0_sel:BYTE_3 src1_sel:DWORD
	s_andn2_b64 s[4:5], s[4:5], exec
	s_and_b64 s[8:9], s[8:9], exec
	s_or_b64 s[4:5], s[4:5], s[8:9]
	s_or_b64 exec, exec, s[6:7]
	s_and_saveexec_b64 s[6:7], s[4:5]
	s_cbranch_execnz .LBB19_827
	s_branch .LBB19_828
.LBB19_2877:
	s_movk_i32 s4, 0x80
	v_cmp_eq_u16_sdwa s[12:13], v11, s4 src0_sel:BYTE_3 src1_sel:DWORD
	s_mov_b64 s[4:5], -1
                                        ; implicit-def: $sgpr10
	s_and_saveexec_b64 s[8:9], s[12:13]
; %bb.2878:
	s_mov_b32 s10, 0x7f800001
	s_xor_b64 s[4:5], exec, -1
; %bb.2879:
	s_or_b64 exec, exec, s[8:9]
	s_and_b64 s[4:5], s[4:5], exec
	s_or_saveexec_b64 s[6:7], s[6:7]
	v_mov_b32_e32 v14, s10
	s_xor_b64 exec, exec, s[6:7]
	s_cbranch_execz .LBB19_830
.LBB19_2880:
	v_mov_b32_e32 v14, 0
	v_cmp_ne_u16_sdwa s[8:9], v11, v14 src0_sel:BYTE_3 src1_sel:DWORD
	s_andn2_b64 s[4:5], s[4:5], exec
	s_and_b64 s[8:9], s[8:9], exec
	s_or_b64 s[4:5], s[4:5], s[8:9]
	s_or_b64 exec, exec, s[6:7]
	s_and_saveexec_b64 s[6:7], s[4:5]
	s_cbranch_execnz .LBB19_831
	s_branch .LBB19_832
.LBB19_2881:
	s_movk_i32 s4, 0x80
	v_cmp_eq_u16_sdwa s[12:13], v16, s4 src0_sel:BYTE_0 src1_sel:DWORD
	s_mov_b64 s[4:5], -1
                                        ; implicit-def: $sgpr10
	s_and_saveexec_b64 s[8:9], s[12:13]
; %bb.2882:
	s_mov_b32 s10, 0x7f800001
	s_xor_b64 s[4:5], exec, -1
; %bb.2883:
	s_or_b64 exec, exec, s[8:9]
	s_and_b64 s[4:5], s[4:5], exec
	s_or_saveexec_b64 s[6:7], s[6:7]
	v_mov_b32_e32 v10, s10
	s_xor_b64 exec, exec, s[6:7]
	s_cbranch_execz .LBB19_834
.LBB19_2884:
	v_mov_b32_e32 v10, 0
	v_cmp_ne_u16_sdwa s[8:9], v16, v10 src0_sel:BYTE_0 src1_sel:DWORD
	s_andn2_b64 s[4:5], s[4:5], exec
	s_and_b64 s[8:9], s[8:9], exec
	s_or_b64 s[4:5], s[4:5], s[8:9]
	s_or_b64 exec, exec, s[6:7]
	s_and_saveexec_b64 s[6:7], s[4:5]
	s_cbranch_execnz .LBB19_835
	s_branch .LBB19_836
.LBB19_2885:
	s_movk_i32 s4, 0x80
	v_cmp_eq_u16_sdwa s[12:13], v12, s4 src0_sel:BYTE_0 src1_sel:DWORD
	s_mov_b64 s[4:5], -1
                                        ; implicit-def: $sgpr10
	s_and_saveexec_b64 s[8:9], s[12:13]
; %bb.2886:
	s_mov_b32 s10, 0x7f800001
	s_xor_b64 s[4:5], exec, -1
; %bb.2887:
	s_or_b64 exec, exec, s[8:9]
	s_and_b64 s[4:5], s[4:5], exec
	s_or_saveexec_b64 s[6:7], s[6:7]
	v_mov_b32_e32 v11, s10
	s_xor_b64 exec, exec, s[6:7]
	s_cbranch_execz .LBB19_838
.LBB19_2888:
	v_mov_b32_e32 v11, 0
	v_cmp_ne_u16_sdwa s[8:9], v12, v11 src0_sel:BYTE_0 src1_sel:DWORD
	s_andn2_b64 s[4:5], s[4:5], exec
	s_and_b64 s[8:9], s[8:9], exec
	s_or_b64 s[4:5], s[4:5], s[8:9]
	s_or_b64 exec, exec, s[6:7]
	s_and_saveexec_b64 s[6:7], s[4:5]
	s_cbranch_execnz .LBB19_839
	s_branch .LBB19_840
.LBB19_2889:
	s_movk_i32 s4, 0x80
	v_cmp_eq_u16_sdwa s[12:13], v11, s4 src0_sel:BYTE_0 src1_sel:DWORD
	s_mov_b64 s[4:5], -1
                                        ; implicit-def: $sgpr10
	s_and_saveexec_b64 s[8:9], s[12:13]
; %bb.2890:
	s_mov_b32 s10, 0x7f800001
	s_xor_b64 s[4:5], exec, -1
; %bb.2891:
	s_or_b64 exec, exec, s[8:9]
	s_and_b64 s[4:5], s[4:5], exec
	s_or_saveexec_b64 s[6:7], s[6:7]
	v_mov_b32_e32 v10, s10
	s_xor_b64 exec, exec, s[6:7]
	s_cbranch_execz .LBB19_842
.LBB19_2892:
	v_mov_b32_e32 v10, 0
	v_cmp_ne_u16_sdwa s[8:9], v11, v10 src0_sel:BYTE_0 src1_sel:DWORD
	s_andn2_b64 s[4:5], s[4:5], exec
	s_and_b64 s[8:9], s[8:9], exec
	s_or_b64 s[4:5], s[4:5], s[8:9]
	s_or_b64 exec, exec, s[6:7]
	s_and_saveexec_b64 s[6:7], s[4:5]
	s_cbranch_execnz .LBB19_843
	s_branch .LBB19_844
.LBB19_2893:
	s_movk_i32 s4, 0x80
	v_cmp_eq_u16_sdwa s[12:13], v11, s4 src0_sel:BYTE_0 src1_sel:DWORD
	s_mov_b64 s[4:5], -1
                                        ; implicit-def: $sgpr10
	s_and_saveexec_b64 s[8:9], s[12:13]
; %bb.2894:
	s_mov_b32 s10, 0x7f800001
	s_xor_b64 s[4:5], exec, -1
; %bb.2895:
	s_or_b64 exec, exec, s[8:9]
	s_and_b64 s[4:5], s[4:5], exec
	s_or_saveexec_b64 s[6:7], s[6:7]
	v_mov_b32_e32 v14, s10
	s_xor_b64 exec, exec, s[6:7]
	s_cbranch_execz .LBB19_846
.LBB19_2896:
	v_mov_b32_e32 v14, 0
	v_cmp_ne_u16_sdwa s[8:9], v11, v14 src0_sel:BYTE_0 src1_sel:DWORD
	s_andn2_b64 s[4:5], s[4:5], exec
	s_and_b64 s[8:9], s[8:9], exec
	s_or_b64 s[4:5], s[4:5], s[8:9]
	s_or_b64 exec, exec, s[6:7]
	s_and_saveexec_b64 s[6:7], s[4:5]
	s_cbranch_execnz .LBB19_847
	s_branch .LBB19_848
.LBB19_2897:
	s_movk_i32 s4, 0x80
	v_cmp_eq_u16_e32 vcc, s4, v11
	s_mov_b64 s[4:5], -1
                                        ; implicit-def: $sgpr10
	s_and_saveexec_b64 s[8:9], vcc
; %bb.2898:
	s_mov_b32 s10, 0x7f800001
	s_xor_b64 s[4:5], exec, -1
; %bb.2899:
	s_or_b64 exec, exec, s[8:9]
	s_and_b64 s[4:5], s[4:5], exec
                                        ; implicit-def: $vgpr11
	s_or_saveexec_b64 s[6:7], s[6:7]
	v_mov_b32_e32 v10, s10
	s_xor_b64 exec, exec, s[6:7]
	s_cbranch_execz .LBB19_850
.LBB19_2900:
	v_cmp_ne_u16_e32 vcc, 0, v11
	s_andn2_b64 s[4:5], s[4:5], exec
	s_and_b64 s[8:9], vcc, exec
	v_mov_b32_e32 v10, 0
	s_or_b64 s[4:5], s[4:5], s[8:9]
	s_or_b64 exec, exec, s[6:7]
	s_and_saveexec_b64 s[6:7], s[4:5]
	s_cbranch_execnz .LBB19_851
	s_branch .LBB19_852
.LBB19_2901:
	s_movk_i32 s4, 0x80
	v_cmp_eq_u16_e32 vcc, s4, v11
	s_mov_b64 s[4:5], -1
                                        ; implicit-def: $sgpr10
	s_and_saveexec_b64 s[8:9], vcc
; %bb.2902:
	s_mov_b32 s10, 0x7f800001
	s_xor_b64 s[4:5], exec, -1
; %bb.2903:
	s_or_b64 exec, exec, s[8:9]
	s_and_b64 s[4:5], s[4:5], exec
                                        ; implicit-def: $vgpr11
	s_or_saveexec_b64 s[6:7], s[6:7]
	v_mov_b32_e32 v14, s10
	s_xor_b64 exec, exec, s[6:7]
	s_cbranch_execz .LBB19_854
.LBB19_2904:
	v_cmp_ne_u16_e32 vcc, 0, v11
	s_andn2_b64 s[4:5], s[4:5], exec
	s_and_b64 s[8:9], vcc, exec
	v_mov_b32_e32 v14, 0
	s_or_b64 s[4:5], s[4:5], s[8:9]
	s_or_b64 exec, exec, s[6:7]
	s_and_saveexec_b64 s[6:7], s[4:5]
	s_cbranch_execnz .LBB19_855
	s_branch .LBB19_856
.LBB19_2905:
	s_movk_i32 s4, 0x80
	v_cmp_eq_u16_sdwa s[12:13], v16, s4 src0_sel:BYTE_3 src1_sel:DWORD
	s_mov_b64 s[4:5], -1
                                        ; implicit-def: $sgpr10
	s_and_saveexec_b64 s[8:9], s[12:13]
; %bb.2906:
	s_mov_b32 s10, 0x7f800001
	s_xor_b64 s[4:5], exec, -1
; %bb.2907:
	s_or_b64 exec, exec, s[8:9]
	s_and_b64 s[4:5], s[4:5], exec
	s_or_saveexec_b64 s[6:7], s[6:7]
	v_mov_b32_e32 v10, s10
	s_xor_b64 exec, exec, s[6:7]
	s_cbranch_execz .LBB19_858
.LBB19_2908:
	v_mov_b32_e32 v10, 0
	v_cmp_ne_u16_sdwa s[8:9], v16, v10 src0_sel:BYTE_3 src1_sel:DWORD
	s_andn2_b64 s[4:5], s[4:5], exec
	s_and_b64 s[8:9], s[8:9], exec
	s_or_b64 s[4:5], s[4:5], s[8:9]
	s_or_b64 exec, exec, s[6:7]
	s_and_saveexec_b64 s[6:7], s[4:5]
	s_cbranch_execnz .LBB19_859
	s_branch .LBB19_860
.LBB19_2909:
	s_movk_i32 s4, 0x80
	v_cmp_eq_u16_sdwa s[12:13], v12, s4 src0_sel:BYTE_3 src1_sel:DWORD
	s_mov_b64 s[4:5], -1
                                        ; implicit-def: $sgpr10
	s_and_saveexec_b64 s[8:9], s[12:13]
; %bb.2910:
	s_mov_b32 s10, 0x7f800001
	s_xor_b64 s[4:5], exec, -1
; %bb.2911:
	s_or_b64 exec, exec, s[8:9]
	s_and_b64 s[4:5], s[4:5], exec
	s_or_saveexec_b64 s[6:7], s[6:7]
	v_mov_b32_e32 v11, s10
	s_xor_b64 exec, exec, s[6:7]
	s_cbranch_execz .LBB19_862
.LBB19_2912:
	v_mov_b32_e32 v11, 0
	v_cmp_ne_u16_sdwa s[8:9], v12, v11 src0_sel:BYTE_3 src1_sel:DWORD
	s_andn2_b64 s[4:5], s[4:5], exec
	s_and_b64 s[8:9], s[8:9], exec
	s_or_b64 s[4:5], s[4:5], s[8:9]
	s_or_b64 exec, exec, s[6:7]
	s_and_saveexec_b64 s[6:7], s[4:5]
	s_cbranch_execnz .LBB19_863
	s_branch .LBB19_864
.LBB19_2913:
	s_movk_i32 s4, 0x80
	v_cmp_eq_u16_sdwa s[12:13], v17, s4 src0_sel:BYTE_0 src1_sel:DWORD
	s_mov_b64 s[4:5], -1
                                        ; implicit-def: $sgpr10
	s_and_saveexec_b64 s[8:9], s[12:13]
; %bb.2914:
	s_mov_b32 s10, 0x7f800001
	s_xor_b64 s[4:5], exec, -1
; %bb.2915:
	s_or_b64 exec, exec, s[8:9]
	s_and_b64 s[4:5], s[4:5], exec
	s_or_saveexec_b64 s[6:7], s[6:7]
	v_mov_b32_e32 v10, s10
	s_xor_b64 exec, exec, s[6:7]
	s_cbranch_execz .LBB19_866
.LBB19_2916:
	v_mov_b32_e32 v10, 0
	v_cmp_ne_u16_sdwa s[8:9], v17, v10 src0_sel:BYTE_0 src1_sel:DWORD
	s_andn2_b64 s[4:5], s[4:5], exec
	s_and_b64 s[8:9], s[8:9], exec
	s_or_b64 s[4:5], s[4:5], s[8:9]
	s_or_b64 exec, exec, s[6:7]
	s_and_saveexec_b64 s[6:7], s[4:5]
	s_cbranch_execnz .LBB19_867
	s_branch .LBB19_868
.LBB19_2917:
	s_movk_i32 s4, 0x80
	v_cmp_eq_u16_sdwa s[12:13], v13, s4 src0_sel:BYTE_0 src1_sel:DWORD
	s_mov_b64 s[4:5], -1
                                        ; implicit-def: $sgpr10
	s_and_saveexec_b64 s[8:9], s[12:13]
; %bb.2918:
	s_mov_b32 s10, 0x7f800001
	s_xor_b64 s[4:5], exec, -1
; %bb.2919:
	s_or_b64 exec, exec, s[8:9]
	s_and_b64 s[4:5], s[4:5], exec
	s_or_saveexec_b64 s[6:7], s[6:7]
	v_mov_b32_e32 v11, s10
	s_xor_b64 exec, exec, s[6:7]
	s_cbranch_execz .LBB19_870
.LBB19_2920:
	v_mov_b32_e32 v11, 0
	v_cmp_ne_u16_sdwa s[8:9], v13, v11 src0_sel:BYTE_0 src1_sel:DWORD
	s_andn2_b64 s[4:5], s[4:5], exec
	s_and_b64 s[8:9], s[8:9], exec
	s_or_b64 s[4:5], s[4:5], s[8:9]
	s_or_b64 exec, exec, s[6:7]
	s_and_saveexec_b64 s[6:7], s[4:5]
	s_cbranch_execnz .LBB19_871
	s_branch .LBB19_872
.LBB19_2921:
	s_movk_i32 s4, 0x80
	v_cmp_eq_u16_sdwa s[12:13], v11, s4 src0_sel:BYTE_0 src1_sel:DWORD
	s_mov_b64 s[4:5], -1
                                        ; implicit-def: $sgpr10
	s_and_saveexec_b64 s[8:9], s[12:13]
; %bb.2922:
	s_mov_b32 s10, 0x7f800001
	s_xor_b64 s[4:5], exec, -1
; %bb.2923:
	s_or_b64 exec, exec, s[8:9]
	s_and_b64 s[4:5], s[4:5], exec
	s_or_saveexec_b64 s[6:7], s[6:7]
	v_mov_b32_e32 v10, s10
	s_xor_b64 exec, exec, s[6:7]
	s_cbranch_execz .LBB19_874
.LBB19_2924:
	v_mov_b32_e32 v10, 0
	v_cmp_ne_u16_sdwa s[8:9], v11, v10 src0_sel:BYTE_0 src1_sel:DWORD
	s_andn2_b64 s[4:5], s[4:5], exec
	s_and_b64 s[8:9], s[8:9], exec
	s_or_b64 s[4:5], s[4:5], s[8:9]
	s_or_b64 exec, exec, s[6:7]
	s_and_saveexec_b64 s[6:7], s[4:5]
	s_cbranch_execnz .LBB19_875
	s_branch .LBB19_876
.LBB19_2925:
	s_movk_i32 s4, 0x80
	v_cmp_eq_u16_sdwa s[12:13], v11, s4 src0_sel:BYTE_0 src1_sel:DWORD
	s_mov_b64 s[4:5], -1
                                        ; implicit-def: $sgpr10
	s_and_saveexec_b64 s[8:9], s[12:13]
; %bb.2926:
	s_mov_b32 s10, 0x7f800001
	s_xor_b64 s[4:5], exec, -1
; %bb.2927:
	s_or_b64 exec, exec, s[8:9]
	s_and_b64 s[4:5], s[4:5], exec
	s_or_saveexec_b64 s[6:7], s[6:7]
	v_mov_b32_e32 v12, s10
	s_xor_b64 exec, exec, s[6:7]
	s_cbranch_execz .LBB19_878
.LBB19_2928:
	v_mov_b32_e32 v12, 0
	v_cmp_ne_u16_sdwa s[8:9], v11, v12 src0_sel:BYTE_0 src1_sel:DWORD
	s_andn2_b64 s[4:5], s[4:5], exec
	s_and_b64 s[8:9], s[8:9], exec
	s_or_b64 s[4:5], s[4:5], s[8:9]
	s_or_b64 exec, exec, s[6:7]
	s_and_saveexec_b64 s[6:7], s[4:5]
	s_cbranch_execnz .LBB19_879
	s_branch .LBB19_880
.LBB19_2929:
	s_movk_i32 s4, 0x80
	v_cmp_eq_u16_e32 vcc, s4, v11
	s_mov_b64 s[4:5], -1
                                        ; implicit-def: $sgpr10
	s_and_saveexec_b64 s[8:9], vcc
; %bb.2930:
	s_mov_b32 s10, 0x7f800001
	s_xor_b64 s[4:5], exec, -1
; %bb.2931:
	s_or_b64 exec, exec, s[8:9]
	s_and_b64 s[4:5], s[4:5], exec
                                        ; implicit-def: $vgpr11
	s_or_saveexec_b64 s[6:7], s[6:7]
	v_mov_b32_e32 v10, s10
	s_xor_b64 exec, exec, s[6:7]
	s_cbranch_execz .LBB19_882
.LBB19_2932:
	v_cmp_ne_u16_e32 vcc, 0, v11
	s_andn2_b64 s[4:5], s[4:5], exec
	s_and_b64 s[8:9], vcc, exec
	v_mov_b32_e32 v10, 0
	s_or_b64 s[4:5], s[4:5], s[8:9]
	s_or_b64 exec, exec, s[6:7]
	s_and_saveexec_b64 s[6:7], s[4:5]
	s_cbranch_execnz .LBB19_883
	s_branch .LBB19_884
.LBB19_2933:
	s_movk_i32 s4, 0x80
	v_cmp_eq_u16_e32 vcc, s4, v11
	s_mov_b64 s[4:5], -1
                                        ; implicit-def: $sgpr10
	s_and_saveexec_b64 s[8:9], vcc
; %bb.2934:
	s_mov_b32 s10, 0x7f800001
	s_xor_b64 s[4:5], exec, -1
; %bb.2935:
	s_or_b64 exec, exec, s[8:9]
	s_and_b64 s[4:5], s[4:5], exec
                                        ; implicit-def: $vgpr11
	s_or_saveexec_b64 s[6:7], s[6:7]
	v_mov_b32_e32 v12, s10
	s_xor_b64 exec, exec, s[6:7]
	s_cbranch_execz .LBB19_886
.LBB19_2936:
	v_cmp_ne_u16_e32 vcc, 0, v11
	s_andn2_b64 s[4:5], s[4:5], exec
	s_and_b64 s[8:9], vcc, exec
	v_mov_b32_e32 v12, 0
	s_or_b64 s[4:5], s[4:5], s[8:9]
	s_or_b64 exec, exec, s[6:7]
	s_and_saveexec_b64 s[6:7], s[4:5]
	s_cbranch_execnz .LBB19_887
	s_branch .LBB19_888
.LBB19_2937:
	s_movk_i32 s4, 0x80
	v_cmp_eq_u16_sdwa s[12:13], v17, s4 src0_sel:BYTE_3 src1_sel:DWORD
	s_mov_b64 s[4:5], -1
                                        ; implicit-def: $sgpr10
	s_and_saveexec_b64 s[8:9], s[12:13]
; %bb.2938:
	s_mov_b32 s10, 0x7f800001
	s_xor_b64 s[4:5], exec, -1
; %bb.2939:
	s_or_b64 exec, exec, s[8:9]
	s_and_b64 s[4:5], s[4:5], exec
	s_or_saveexec_b64 s[6:7], s[6:7]
	v_mov_b32_e32 v10, s10
	s_xor_b64 exec, exec, s[6:7]
	s_cbranch_execz .LBB19_890
.LBB19_2940:
	v_mov_b32_e32 v10, 0
	v_cmp_ne_u16_sdwa s[8:9], v17, v10 src0_sel:BYTE_3 src1_sel:DWORD
	s_andn2_b64 s[4:5], s[4:5], exec
	s_and_b64 s[8:9], s[8:9], exec
	s_or_b64 s[4:5], s[4:5], s[8:9]
	s_or_b64 exec, exec, s[6:7]
	s_and_saveexec_b64 s[6:7], s[4:5]
	s_cbranch_execnz .LBB19_891
	s_branch .LBB19_892
.LBB19_2941:
	s_movk_i32 s4, 0x80
	v_cmp_eq_u16_sdwa s[12:13], v13, s4 src0_sel:BYTE_3 src1_sel:DWORD
	s_mov_b64 s[4:5], -1
                                        ; implicit-def: $sgpr10
	s_and_saveexec_b64 s[8:9], s[12:13]
; %bb.2942:
	s_mov_b32 s10, 0x7f800001
	s_xor_b64 s[4:5], exec, -1
; %bb.2943:
	s_or_b64 exec, exec, s[8:9]
	s_and_b64 s[4:5], s[4:5], exec
	s_or_saveexec_b64 s[6:7], s[6:7]
	v_mov_b32_e32 v11, s10
	s_xor_b64 exec, exec, s[6:7]
	s_cbranch_execz .LBB19_894
.LBB19_2944:
	v_mov_b32_e32 v11, 0
	v_cmp_ne_u16_sdwa s[8:9], v13, v11 src0_sel:BYTE_3 src1_sel:DWORD
	s_andn2_b64 s[4:5], s[4:5], exec
	s_and_b64 s[8:9], s[8:9], exec
	s_or_b64 s[4:5], s[4:5], s[8:9]
	s_or_b64 exec, exec, s[6:7]
	s_and_saveexec_b64 s[6:7], s[4:5]
	s_cbranch_execnz .LBB19_895
	s_branch .LBB19_896
.LBB19_2945:
	s_movk_i32 s4, 0x80
	v_cmp_eq_u16_sdwa s[12:13], v6, s4 src0_sel:BYTE_0 src1_sel:DWORD
	s_mov_b64 s[4:5], -1
                                        ; implicit-def: $sgpr10
	s_and_saveexec_b64 s[8:9], s[12:13]
; %bb.2946:
	s_mov_b32 s10, 0x7f800001
	s_xor_b64 s[4:5], exec, -1
; %bb.2947:
	s_or_b64 exec, exec, s[8:9]
	s_and_b64 s[4:5], s[4:5], exec
	s_or_saveexec_b64 s[6:7], s[6:7]
	v_mov_b32_e32 v10, s10
	s_xor_b64 exec, exec, s[6:7]
	s_cbranch_execz .LBB19_898
.LBB19_2948:
	v_mov_b32_e32 v10, 0
	v_cmp_ne_u16_sdwa s[8:9], v6, v10 src0_sel:BYTE_0 src1_sel:DWORD
	s_andn2_b64 s[4:5], s[4:5], exec
	s_and_b64 s[8:9], s[8:9], exec
	s_or_b64 s[4:5], s[4:5], s[8:9]
	s_or_b64 exec, exec, s[6:7]
	s_and_saveexec_b64 s[6:7], s[4:5]
	s_cbranch_execnz .LBB19_899
	s_branch .LBB19_900
.LBB19_2949:
	s_movk_i32 s4, 0x80
	v_cmp_eq_u16_sdwa s[12:13], v2, s4 src0_sel:BYTE_0 src1_sel:DWORD
	s_mov_b64 s[4:5], -1
                                        ; implicit-def: $sgpr10
	s_and_saveexec_b64 s[8:9], s[12:13]
; %bb.2950:
	s_mov_b32 s10, 0x7f800001
	s_xor_b64 s[4:5], exec, -1
; %bb.2951:
	s_or_b64 exec, exec, s[8:9]
	s_and_b64 s[4:5], s[4:5], exec
	s_or_saveexec_b64 s[6:7], s[6:7]
	v_mov_b32_e32 v11, s10
	s_xor_b64 exec, exec, s[6:7]
	s_cbranch_execz .LBB19_902
.LBB19_2952:
	v_mov_b32_e32 v11, 0
	v_cmp_ne_u16_sdwa s[8:9], v2, v11 src0_sel:BYTE_0 src1_sel:DWORD
	s_andn2_b64 s[4:5], s[4:5], exec
	s_and_b64 s[8:9], s[8:9], exec
	s_or_b64 s[4:5], s[4:5], s[8:9]
	s_or_b64 exec, exec, s[6:7]
	s_and_saveexec_b64 s[6:7], s[4:5]
	s_cbranch_execnz .LBB19_903
	s_branch .LBB19_904
.LBB19_2953:
	s_movk_i32 s4, 0x80
	v_cmp_eq_u16_sdwa s[12:13], v11, s4 src0_sel:BYTE_0 src1_sel:DWORD
	s_mov_b64 s[4:5], -1
                                        ; implicit-def: $sgpr10
	s_and_saveexec_b64 s[8:9], s[12:13]
; %bb.2954:
	s_mov_b32 s10, 0x7f800001
	s_xor_b64 s[4:5], exec, -1
; %bb.2955:
	s_or_b64 exec, exec, s[8:9]
	s_and_b64 s[4:5], s[4:5], exec
	s_or_saveexec_b64 s[6:7], s[6:7]
	v_mov_b32_e32 v10, s10
	s_xor_b64 exec, exec, s[6:7]
	s_cbranch_execz .LBB19_906
.LBB19_2956:
	v_mov_b32_e32 v10, 0
	v_cmp_ne_u16_sdwa s[8:9], v11, v10 src0_sel:BYTE_0 src1_sel:DWORD
	s_andn2_b64 s[4:5], s[4:5], exec
	s_and_b64 s[8:9], s[8:9], exec
	s_or_b64 s[4:5], s[4:5], s[8:9]
	s_or_b64 exec, exec, s[6:7]
	s_and_saveexec_b64 s[6:7], s[4:5]
	s_cbranch_execnz .LBB19_907
	s_branch .LBB19_908
.LBB19_2957:
	s_movk_i32 s4, 0x80
	v_cmp_eq_u16_sdwa s[12:13], v11, s4 src0_sel:BYTE_0 src1_sel:DWORD
	s_mov_b64 s[4:5], -1
                                        ; implicit-def: $sgpr10
	s_and_saveexec_b64 s[8:9], s[12:13]
; %bb.2958:
	s_mov_b32 s10, 0x7f800001
	s_xor_b64 s[4:5], exec, -1
; %bb.2959:
	s_or_b64 exec, exec, s[8:9]
	s_and_b64 s[4:5], s[4:5], exec
	s_or_saveexec_b64 s[6:7], s[6:7]
	v_mov_b32_e32 v12, s10
	s_xor_b64 exec, exec, s[6:7]
	s_cbranch_execz .LBB19_910
.LBB19_2960:
	v_mov_b32_e32 v12, 0
	v_cmp_ne_u16_sdwa s[8:9], v11, v12 src0_sel:BYTE_0 src1_sel:DWORD
	s_andn2_b64 s[4:5], s[4:5], exec
	s_and_b64 s[8:9], s[8:9], exec
	s_or_b64 s[4:5], s[4:5], s[8:9]
	s_or_b64 exec, exec, s[6:7]
	s_and_saveexec_b64 s[6:7], s[4:5]
	s_cbranch_execnz .LBB19_911
	s_branch .LBB19_912
.LBB19_2961:
	s_movk_i32 s4, 0x80
	v_cmp_eq_u16_e32 vcc, s4, v11
	s_mov_b64 s[4:5], -1
                                        ; implicit-def: $sgpr10
	s_and_saveexec_b64 s[8:9], vcc
; %bb.2962:
	s_mov_b32 s10, 0x7f800001
	s_xor_b64 s[4:5], exec, -1
; %bb.2963:
	s_or_b64 exec, exec, s[8:9]
	s_and_b64 s[4:5], s[4:5], exec
                                        ; implicit-def: $vgpr11
	s_or_saveexec_b64 s[6:7], s[6:7]
	v_mov_b32_e32 v10, s10
	s_xor_b64 exec, exec, s[6:7]
	s_cbranch_execz .LBB19_914
.LBB19_2964:
	v_cmp_ne_u16_e32 vcc, 0, v11
	s_andn2_b64 s[4:5], s[4:5], exec
	s_and_b64 s[8:9], vcc, exec
	v_mov_b32_e32 v10, 0
	s_or_b64 s[4:5], s[4:5], s[8:9]
	s_or_b64 exec, exec, s[6:7]
	s_and_saveexec_b64 s[6:7], s[4:5]
	s_cbranch_execnz .LBB19_915
	s_branch .LBB19_916
.LBB19_2965:
	s_movk_i32 s4, 0x80
	v_cmp_eq_u16_e32 vcc, s4, v11
	s_mov_b64 s[4:5], -1
                                        ; implicit-def: $sgpr10
	s_and_saveexec_b64 s[8:9], vcc
; %bb.2966:
	s_mov_b32 s10, 0x7f800001
	s_xor_b64 s[4:5], exec, -1
; %bb.2967:
	s_or_b64 exec, exec, s[8:9]
	s_and_b64 s[4:5], s[4:5], exec
                                        ; implicit-def: $vgpr11
	s_or_saveexec_b64 s[6:7], s[6:7]
	v_mov_b32_e32 v12, s10
	s_xor_b64 exec, exec, s[6:7]
	s_cbranch_execz .LBB19_918
.LBB19_2968:
	v_cmp_ne_u16_e32 vcc, 0, v11
	s_andn2_b64 s[4:5], s[4:5], exec
	s_and_b64 s[8:9], vcc, exec
	v_mov_b32_e32 v12, 0
	s_or_b64 s[4:5], s[4:5], s[8:9]
	s_or_b64 exec, exec, s[6:7]
	s_and_saveexec_b64 s[6:7], s[4:5]
	s_cbranch_execnz .LBB19_919
	s_branch .LBB19_920
.LBB19_2969:
	s_movk_i32 s4, 0x80
	v_cmp_eq_u16_sdwa s[12:13], v6, s4 src0_sel:BYTE_3 src1_sel:DWORD
	s_mov_b64 s[4:5], -1
                                        ; implicit-def: $sgpr10
	s_and_saveexec_b64 s[8:9], s[12:13]
; %bb.2970:
	s_mov_b32 s10, 0x7f800001
	s_xor_b64 s[4:5], exec, -1
; %bb.2971:
	s_or_b64 exec, exec, s[8:9]
	s_and_b64 s[4:5], s[4:5], exec
	s_or_saveexec_b64 s[6:7], s[6:7]
	v_mov_b32_e32 v10, s10
	s_xor_b64 exec, exec, s[6:7]
	s_cbranch_execz .LBB19_922
.LBB19_2972:
	v_mov_b32_e32 v10, 0
	v_cmp_ne_u16_sdwa s[8:9], v6, v10 src0_sel:BYTE_3 src1_sel:DWORD
	s_andn2_b64 s[4:5], s[4:5], exec
	s_and_b64 s[8:9], s[8:9], exec
	s_or_b64 s[4:5], s[4:5], s[8:9]
	s_or_b64 exec, exec, s[6:7]
	s_and_saveexec_b64 s[6:7], s[4:5]
	s_cbranch_execnz .LBB19_923
	s_branch .LBB19_924
.LBB19_2973:
	s_movk_i32 s4, 0x80
	v_cmp_eq_u16_sdwa s[12:13], v2, s4 src0_sel:BYTE_3 src1_sel:DWORD
	s_mov_b64 s[4:5], -1
                                        ; implicit-def: $sgpr10
	s_and_saveexec_b64 s[8:9], s[12:13]
; %bb.2974:
	s_mov_b32 s10, 0x7f800001
	s_xor_b64 s[4:5], exec, -1
; %bb.2975:
	s_or_b64 exec, exec, s[8:9]
	s_and_b64 s[4:5], s[4:5], exec
	s_or_saveexec_b64 s[6:7], s[6:7]
	v_mov_b32_e32 v6, s10
	s_xor_b64 exec, exec, s[6:7]
	s_cbranch_execz .LBB19_926
.LBB19_2976:
	v_mov_b32_e32 v6, 0
	v_cmp_ne_u16_sdwa s[8:9], v2, v6 src0_sel:BYTE_3 src1_sel:DWORD
	s_andn2_b64 s[4:5], s[4:5], exec
	s_and_b64 s[8:9], s[8:9], exec
	s_or_b64 s[4:5], s[4:5], s[8:9]
	s_or_b64 exec, exec, s[6:7]
	s_and_saveexec_b64 s[6:7], s[4:5]
	s_cbranch_execnz .LBB19_927
	s_branch .LBB19_928
.LBB19_2977:
	s_movk_i32 s4, 0x80
	v_cmp_eq_u16_sdwa s[12:13], v7, s4 src0_sel:BYTE_0 src1_sel:DWORD
	s_mov_b64 s[4:5], -1
                                        ; implicit-def: $sgpr10
	s_and_saveexec_b64 s[8:9], s[12:13]
; %bb.2978:
	s_mov_b32 s10, 0x7f800001
	s_xor_b64 s[4:5], exec, -1
; %bb.2979:
	s_or_b64 exec, exec, s[8:9]
	s_and_b64 s[4:5], s[4:5], exec
	s_or_saveexec_b64 s[6:7], s[6:7]
	v_mov_b32_e32 v2, s10
	s_xor_b64 exec, exec, s[6:7]
	s_cbranch_execz .LBB19_930
.LBB19_2980:
	v_mov_b32_e32 v2, 0
	v_cmp_ne_u16_sdwa s[8:9], v7, v2 src0_sel:BYTE_0 src1_sel:DWORD
	s_andn2_b64 s[4:5], s[4:5], exec
	s_and_b64 s[8:9], s[8:9], exec
	s_or_b64 s[4:5], s[4:5], s[8:9]
	s_or_b64 exec, exec, s[6:7]
	s_and_saveexec_b64 s[6:7], s[4:5]
	s_cbranch_execnz .LBB19_931
	s_branch .LBB19_932
.LBB19_2981:
	s_movk_i32 s4, 0x80
	v_cmp_eq_u16_sdwa s[12:13], v3, s4 src0_sel:BYTE_0 src1_sel:DWORD
	s_mov_b64 s[4:5], -1
                                        ; implicit-def: $sgpr10
	s_and_saveexec_b64 s[8:9], s[12:13]
; %bb.2982:
	s_mov_b32 s10, 0x7f800001
	s_xor_b64 s[4:5], exec, -1
; %bb.2983:
	s_or_b64 exec, exec, s[8:9]
	s_and_b64 s[4:5], s[4:5], exec
	s_or_saveexec_b64 s[6:7], s[6:7]
	v_mov_b32_e32 v6, s10
	s_xor_b64 exec, exec, s[6:7]
	s_cbranch_execz .LBB19_934
.LBB19_2984:
	v_mov_b32_e32 v6, 0
	v_cmp_ne_u16_sdwa s[8:9], v3, v6 src0_sel:BYTE_0 src1_sel:DWORD
	s_andn2_b64 s[4:5], s[4:5], exec
	s_and_b64 s[8:9], s[8:9], exec
	s_or_b64 s[4:5], s[4:5], s[8:9]
	s_or_b64 exec, exec, s[6:7]
	s_and_saveexec_b64 s[6:7], s[4:5]
	s_cbranch_execnz .LBB19_935
	s_branch .LBB19_936
.LBB19_2985:
	s_movk_i32 s4, 0x80
	v_cmp_eq_u16_sdwa s[12:13], v6, s4 src0_sel:BYTE_0 src1_sel:DWORD
	s_mov_b64 s[4:5], -1
                                        ; implicit-def: $sgpr10
	s_and_saveexec_b64 s[8:9], s[12:13]
; %bb.2986:
	s_mov_b32 s10, 0x7f800001
	s_xor_b64 s[4:5], exec, -1
; %bb.2987:
	s_or_b64 exec, exec, s[8:9]
	s_and_b64 s[4:5], s[4:5], exec
	s_or_saveexec_b64 s[6:7], s[6:7]
	v_mov_b32_e32 v2, s10
	s_xor_b64 exec, exec, s[6:7]
	s_cbranch_execz .LBB19_938
.LBB19_2988:
	v_mov_b32_e32 v2, 0
	v_cmp_ne_u16_sdwa s[8:9], v6, v2 src0_sel:BYTE_0 src1_sel:DWORD
	s_andn2_b64 s[4:5], s[4:5], exec
	s_and_b64 s[8:9], s[8:9], exec
	s_or_b64 s[4:5], s[4:5], s[8:9]
	s_or_b64 exec, exec, s[6:7]
	s_and_saveexec_b64 s[6:7], s[4:5]
	s_cbranch_execnz .LBB19_939
	s_branch .LBB19_940
.LBB19_2989:
	s_movk_i32 s4, 0x80
	v_cmp_eq_u16_sdwa s[12:13], v6, s4 src0_sel:BYTE_0 src1_sel:DWORD
	s_mov_b64 s[4:5], -1
                                        ; implicit-def: $sgpr10
	s_and_saveexec_b64 s[8:9], s[12:13]
; %bb.2990:
	s_mov_b32 s10, 0x7f800001
	s_xor_b64 s[4:5], exec, -1
; %bb.2991:
	s_or_b64 exec, exec, s[8:9]
	s_and_b64 s[4:5], s[4:5], exec
	s_or_saveexec_b64 s[6:7], s[6:7]
	v_mov_b32_e32 v10, s10
	s_xor_b64 exec, exec, s[6:7]
	s_cbranch_execz .LBB19_942
.LBB19_2992:
	v_mov_b32_e32 v10, 0
	v_cmp_ne_u16_sdwa s[8:9], v6, v10 src0_sel:BYTE_0 src1_sel:DWORD
	s_andn2_b64 s[4:5], s[4:5], exec
	s_and_b64 s[8:9], s[8:9], exec
	s_or_b64 s[4:5], s[4:5], s[8:9]
	s_or_b64 exec, exec, s[6:7]
	s_and_saveexec_b64 s[6:7], s[4:5]
	s_cbranch_execnz .LBB19_943
	s_branch .LBB19_944
.LBB19_2993:
	s_movk_i32 s4, 0x80
	v_cmp_eq_u16_e32 vcc, s4, v6
	s_mov_b64 s[4:5], -1
                                        ; implicit-def: $sgpr10
	s_and_saveexec_b64 s[8:9], vcc
; %bb.2994:
	s_mov_b32 s10, 0x7f800001
	s_xor_b64 s[4:5], exec, -1
; %bb.2995:
	s_or_b64 exec, exec, s[8:9]
	s_and_b64 s[4:5], s[4:5], exec
                                        ; implicit-def: $vgpr6
	s_or_saveexec_b64 s[6:7], s[6:7]
	v_mov_b32_e32 v2, s10
	s_xor_b64 exec, exec, s[6:7]
	s_cbranch_execz .LBB19_946
.LBB19_2996:
	v_cmp_ne_u16_e32 vcc, 0, v6
	s_andn2_b64 s[4:5], s[4:5], exec
	s_and_b64 s[8:9], vcc, exec
	v_mov_b32_e32 v2, 0
	s_or_b64 s[4:5], s[4:5], s[8:9]
	s_or_b64 exec, exec, s[6:7]
	s_and_saveexec_b64 s[6:7], s[4:5]
	s_cbranch_execnz .LBB19_947
	s_branch .LBB19_948
.LBB19_2997:
	s_movk_i32 s4, 0x80
	v_cmp_eq_u16_e32 vcc, s4, v6
	s_mov_b64 s[4:5], -1
                                        ; implicit-def: $sgpr10
	s_and_saveexec_b64 s[8:9], vcc
; %bb.2998:
	s_mov_b32 s10, 0x7f800001
	s_xor_b64 s[4:5], exec, -1
; %bb.2999:
	s_or_b64 exec, exec, s[8:9]
	s_and_b64 s[4:5], s[4:5], exec
                                        ; implicit-def: $vgpr6
	s_or_saveexec_b64 s[6:7], s[6:7]
	v_mov_b32_e32 v10, s10
	s_xor_b64 exec, exec, s[6:7]
	s_cbranch_execz .LBB19_950
.LBB19_3000:
	v_cmp_ne_u16_e32 vcc, 0, v6
	s_andn2_b64 s[4:5], s[4:5], exec
	s_and_b64 s[8:9], vcc, exec
	v_mov_b32_e32 v10, 0
	s_or_b64 s[4:5], s[4:5], s[8:9]
	s_or_b64 exec, exec, s[6:7]
	s_and_saveexec_b64 s[6:7], s[4:5]
	s_cbranch_execnz .LBB19_951
	s_branch .LBB19_952
.LBB19_3001:
	s_movk_i32 s4, 0x80
	v_cmp_eq_u16_sdwa s[12:13], v7, s4 src0_sel:BYTE_3 src1_sel:DWORD
	s_mov_b64 s[4:5], -1
                                        ; implicit-def: $sgpr10
	s_and_saveexec_b64 s[8:9], s[12:13]
; %bb.3002:
	s_mov_b32 s10, 0x7f800001
	s_xor_b64 s[4:5], exec, -1
; %bb.3003:
	s_or_b64 exec, exec, s[8:9]
	s_and_b64 s[4:5], s[4:5], exec
	s_or_saveexec_b64 s[6:7], s[6:7]
	v_mov_b32_e32 v2, s10
	s_xor_b64 exec, exec, s[6:7]
	s_cbranch_execz .LBB19_954
.LBB19_3004:
	v_mov_b32_e32 v2, 0
	v_cmp_ne_u16_sdwa s[8:9], v7, v2 src0_sel:BYTE_3 src1_sel:DWORD
	s_andn2_b64 s[4:5], s[4:5], exec
	s_and_b64 s[8:9], s[8:9], exec
	s_or_b64 s[4:5], s[4:5], s[8:9]
	s_or_b64 exec, exec, s[6:7]
	s_and_saveexec_b64 s[6:7], s[4:5]
	s_cbranch_execnz .LBB19_955
	s_branch .LBB19_956
.LBB19_3005:
	s_movk_i32 s4, 0x80
	v_cmp_eq_u16_sdwa s[12:13], v3, s4 src0_sel:BYTE_3 src1_sel:DWORD
	s_mov_b64 s[4:5], -1
                                        ; implicit-def: $sgpr10
	s_and_saveexec_b64 s[8:9], s[12:13]
; %bb.3006:
	s_mov_b32 s10, 0x7f800001
	s_xor_b64 s[4:5], exec, -1
; %bb.3007:
	s_or_b64 exec, exec, s[8:9]
	s_and_b64 s[4:5], s[4:5], exec
	s_or_saveexec_b64 s[6:7], s[6:7]
	v_mov_b32_e32 v6, s10
	s_xor_b64 exec, exec, s[6:7]
	s_cbranch_execz .LBB19_958
.LBB19_3008:
	v_mov_b32_e32 v6, 0
	v_cmp_ne_u16_sdwa s[8:9], v3, v6 src0_sel:BYTE_3 src1_sel:DWORD
	s_andn2_b64 s[4:5], s[4:5], exec
	s_and_b64 s[8:9], s[8:9], exec
	s_or_b64 s[4:5], s[4:5], s[8:9]
	s_or_b64 exec, exec, s[6:7]
	s_and_saveexec_b64 s[6:7], s[4:5]
	s_cbranch_execnz .LBB19_959
	s_branch .LBB19_960
.LBB19_3009:
	s_movk_i32 s4, 0x80
	v_cmp_eq_u16_sdwa s[12:13], v8, s4 src0_sel:BYTE_0 src1_sel:DWORD
	s_mov_b64 s[4:5], -1
                                        ; implicit-def: $sgpr10
	s_and_saveexec_b64 s[8:9], s[12:13]
; %bb.3010:
	s_mov_b32 s10, 0x7f800001
	s_xor_b64 s[4:5], exec, -1
; %bb.3011:
	s_or_b64 exec, exec, s[8:9]
	s_and_b64 s[4:5], s[4:5], exec
	s_or_saveexec_b64 s[6:7], s[6:7]
	v_mov_b32_e32 v2, s10
	s_xor_b64 exec, exec, s[6:7]
	s_cbranch_execz .LBB19_962
.LBB19_3012:
	v_mov_b32_e32 v2, 0
	v_cmp_ne_u16_sdwa s[8:9], v8, v2 src0_sel:BYTE_0 src1_sel:DWORD
	s_andn2_b64 s[4:5], s[4:5], exec
	s_and_b64 s[8:9], s[8:9], exec
	s_or_b64 s[4:5], s[4:5], s[8:9]
	s_or_b64 exec, exec, s[6:7]
	s_and_saveexec_b64 s[6:7], s[4:5]
	s_cbranch_execnz .LBB19_963
	s_branch .LBB19_964
.LBB19_3013:
	s_movk_i32 s4, 0x80
	v_cmp_eq_u16_sdwa s[12:13], v4, s4 src0_sel:BYTE_0 src1_sel:DWORD
	s_mov_b64 s[4:5], -1
                                        ; implicit-def: $sgpr10
	s_and_saveexec_b64 s[8:9], s[12:13]
; %bb.3014:
	s_mov_b32 s10, 0x7f800001
	s_xor_b64 s[4:5], exec, -1
; %bb.3015:
	s_or_b64 exec, exec, s[8:9]
	s_and_b64 s[4:5], s[4:5], exec
	s_or_saveexec_b64 s[6:7], s[6:7]
	v_mov_b32_e32 v3, s10
	s_xor_b64 exec, exec, s[6:7]
	s_cbranch_execz .LBB19_966
.LBB19_3016:
	v_mov_b32_e32 v3, 0
	v_cmp_ne_u16_sdwa s[8:9], v4, v3 src0_sel:BYTE_0 src1_sel:DWORD
	s_andn2_b64 s[4:5], s[4:5], exec
	s_and_b64 s[8:9], s[8:9], exec
	s_or_b64 s[4:5], s[4:5], s[8:9]
	s_or_b64 exec, exec, s[6:7]
	s_and_saveexec_b64 s[6:7], s[4:5]
	s_cbranch_execnz .LBB19_967
	s_branch .LBB19_968
.LBB19_3017:
	s_movk_i32 s4, 0x80
	v_cmp_eq_u16_sdwa s[12:13], v3, s4 src0_sel:BYTE_0 src1_sel:DWORD
	s_mov_b64 s[4:5], -1
                                        ; implicit-def: $sgpr10
	s_and_saveexec_b64 s[8:9], s[12:13]
; %bb.3018:
	s_mov_b32 s10, 0x7f800001
	s_xor_b64 s[4:5], exec, -1
; %bb.3019:
	s_or_b64 exec, exec, s[8:9]
	s_and_b64 s[4:5], s[4:5], exec
	s_or_saveexec_b64 s[6:7], s[6:7]
	v_mov_b32_e32 v2, s10
	s_xor_b64 exec, exec, s[6:7]
	s_cbranch_execz .LBB19_970
.LBB19_3020:
	v_mov_b32_e32 v2, 0
	v_cmp_ne_u16_sdwa s[8:9], v3, v2 src0_sel:BYTE_0 src1_sel:DWORD
	s_andn2_b64 s[4:5], s[4:5], exec
	s_and_b64 s[8:9], s[8:9], exec
	s_or_b64 s[4:5], s[4:5], s[8:9]
	s_or_b64 exec, exec, s[6:7]
	s_and_saveexec_b64 s[6:7], s[4:5]
	s_cbranch_execnz .LBB19_971
	s_branch .LBB19_972
.LBB19_3021:
	s_movk_i32 s4, 0x80
	v_cmp_eq_u16_sdwa s[12:13], v3, s4 src0_sel:BYTE_0 src1_sel:DWORD
	s_mov_b64 s[4:5], -1
                                        ; implicit-def: $sgpr10
	s_and_saveexec_b64 s[8:9], s[12:13]
; %bb.3022:
	s_mov_b32 s10, 0x7f800001
	s_xor_b64 s[4:5], exec, -1
; %bb.3023:
	s_or_b64 exec, exec, s[8:9]
	s_and_b64 s[4:5], s[4:5], exec
	s_or_saveexec_b64 s[6:7], s[6:7]
	v_mov_b32_e32 v6, s10
	s_xor_b64 exec, exec, s[6:7]
	s_cbranch_execz .LBB19_974
.LBB19_3024:
	v_mov_b32_e32 v6, 0
	v_cmp_ne_u16_sdwa s[8:9], v3, v6 src0_sel:BYTE_0 src1_sel:DWORD
	s_andn2_b64 s[4:5], s[4:5], exec
	s_and_b64 s[8:9], s[8:9], exec
	s_or_b64 s[4:5], s[4:5], s[8:9]
	s_or_b64 exec, exec, s[6:7]
	s_and_saveexec_b64 s[6:7], s[4:5]
	s_cbranch_execnz .LBB19_975
	s_branch .LBB19_976
.LBB19_3025:
	s_movk_i32 s4, 0x80
	v_cmp_eq_u16_e32 vcc, s4, v3
	s_mov_b64 s[4:5], -1
                                        ; implicit-def: $sgpr10
	s_and_saveexec_b64 s[8:9], vcc
; %bb.3026:
	s_mov_b32 s10, 0x7f800001
	s_xor_b64 s[4:5], exec, -1
; %bb.3027:
	s_or_b64 exec, exec, s[8:9]
	s_and_b64 s[4:5], s[4:5], exec
                                        ; implicit-def: $vgpr3
	s_or_saveexec_b64 s[6:7], s[6:7]
	v_mov_b32_e32 v2, s10
	s_xor_b64 exec, exec, s[6:7]
	s_cbranch_execz .LBB19_978
.LBB19_3028:
	v_cmp_ne_u16_e32 vcc, 0, v3
	s_andn2_b64 s[4:5], s[4:5], exec
	s_and_b64 s[8:9], vcc, exec
	v_mov_b32_e32 v2, 0
	s_or_b64 s[4:5], s[4:5], s[8:9]
	s_or_b64 exec, exec, s[6:7]
	s_and_saveexec_b64 s[6:7], s[4:5]
	s_cbranch_execnz .LBB19_979
	s_branch .LBB19_980
.LBB19_3029:
	s_movk_i32 s4, 0x80
	v_cmp_eq_u16_e32 vcc, s4, v3
	s_mov_b64 s[4:5], -1
                                        ; implicit-def: $sgpr10
	s_and_saveexec_b64 s[8:9], vcc
; %bb.3030:
	s_mov_b32 s10, 0x7f800001
	s_xor_b64 s[4:5], exec, -1
; %bb.3031:
	s_or_b64 exec, exec, s[8:9]
	s_and_b64 s[4:5], s[4:5], exec
                                        ; implicit-def: $vgpr3
	s_or_saveexec_b64 s[6:7], s[6:7]
	v_mov_b32_e32 v6, s10
	s_xor_b64 exec, exec, s[6:7]
	s_cbranch_execz .LBB19_982
.LBB19_3032:
	v_cmp_ne_u16_e32 vcc, 0, v3
	s_andn2_b64 s[4:5], s[4:5], exec
	s_and_b64 s[8:9], vcc, exec
	v_mov_b32_e32 v6, 0
	s_or_b64 s[4:5], s[4:5], s[8:9]
	s_or_b64 exec, exec, s[6:7]
	s_and_saveexec_b64 s[6:7], s[4:5]
	s_cbranch_execnz .LBB19_983
	s_branch .LBB19_984
.LBB19_3033:
	s_movk_i32 s4, 0x80
	v_cmp_eq_u16_sdwa s[12:13], v8, s4 src0_sel:BYTE_3 src1_sel:DWORD
	s_mov_b64 s[4:5], -1
                                        ; implicit-def: $sgpr10
	s_and_saveexec_b64 s[8:9], s[12:13]
; %bb.3034:
	s_mov_b32 s10, 0x7f800001
	s_xor_b64 s[4:5], exec, -1
; %bb.3035:
	s_or_b64 exec, exec, s[8:9]
	s_and_b64 s[4:5], s[4:5], exec
	s_or_saveexec_b64 s[6:7], s[6:7]
	v_mov_b32_e32 v2, s10
	s_xor_b64 exec, exec, s[6:7]
	s_cbranch_execz .LBB19_986
.LBB19_3036:
	v_mov_b32_e32 v2, 0
	v_cmp_ne_u16_sdwa s[8:9], v8, v2 src0_sel:BYTE_3 src1_sel:DWORD
	s_andn2_b64 s[4:5], s[4:5], exec
	s_and_b64 s[8:9], s[8:9], exec
	s_or_b64 s[4:5], s[4:5], s[8:9]
	s_or_b64 exec, exec, s[6:7]
	s_and_saveexec_b64 s[6:7], s[4:5]
	s_cbranch_execnz .LBB19_987
	s_branch .LBB19_988
.LBB19_3037:
	s_movk_i32 s4, 0x80
	v_cmp_eq_u16_sdwa s[12:13], v4, s4 src0_sel:BYTE_3 src1_sel:DWORD
	s_mov_b64 s[4:5], -1
                                        ; implicit-def: $sgpr10
	s_and_saveexec_b64 s[8:9], s[12:13]
; %bb.3038:
	s_mov_b32 s10, 0x7f800001
	s_xor_b64 s[4:5], exec, -1
; %bb.3039:
	s_or_b64 exec, exec, s[8:9]
	s_and_b64 s[4:5], s[4:5], exec
	s_or_saveexec_b64 s[6:7], s[6:7]
	v_mov_b32_e32 v3, s10
	s_xor_b64 exec, exec, s[6:7]
	s_cbranch_execz .LBB19_990
.LBB19_3040:
	v_mov_b32_e32 v3, 0
	v_cmp_ne_u16_sdwa s[8:9], v4, v3 src0_sel:BYTE_3 src1_sel:DWORD
	s_andn2_b64 s[4:5], s[4:5], exec
	s_and_b64 s[8:9], s[8:9], exec
	s_or_b64 s[4:5], s[4:5], s[8:9]
	s_or_b64 exec, exec, s[6:7]
	s_and_saveexec_b64 s[6:7], s[4:5]
	s_cbranch_execnz .LBB19_991
	s_branch .LBB19_992
.LBB19_3041:
	s_movk_i32 s4, 0x80
	v_cmp_eq_u16_sdwa s[12:13], v9, s4 src0_sel:BYTE_0 src1_sel:DWORD
	s_mov_b64 s[4:5], -1
                                        ; implicit-def: $sgpr10
	s_and_saveexec_b64 s[8:9], s[12:13]
; %bb.3042:
	s_mov_b32 s10, 0x7f800001
	s_xor_b64 s[4:5], exec, -1
; %bb.3043:
	s_or_b64 exec, exec, s[8:9]
	s_and_b64 s[4:5], s[4:5], exec
	s_or_saveexec_b64 s[6:7], s[6:7]
	v_mov_b32_e32 v2, s10
	s_xor_b64 exec, exec, s[6:7]
	s_cbranch_execz .LBB19_994
.LBB19_3044:
	v_mov_b32_e32 v2, 0
	v_cmp_ne_u16_sdwa s[8:9], v9, v2 src0_sel:BYTE_0 src1_sel:DWORD
	s_andn2_b64 s[4:5], s[4:5], exec
	s_and_b64 s[8:9], s[8:9], exec
	s_or_b64 s[4:5], s[4:5], s[8:9]
	s_or_b64 exec, exec, s[6:7]
	s_and_saveexec_b64 s[6:7], s[4:5]
	s_cbranch_execnz .LBB19_995
	s_branch .LBB19_996
.LBB19_3045:
	s_movk_i32 s4, 0x80
	v_cmp_eq_u16_sdwa s[12:13], v5, s4 src0_sel:BYTE_0 src1_sel:DWORD
	s_mov_b64 s[4:5], -1
                                        ; implicit-def: $sgpr10
	s_and_saveexec_b64 s[8:9], s[12:13]
; %bb.3046:
	s_mov_b32 s10, 0x7f800001
	s_xor_b64 s[4:5], exec, -1
; %bb.3047:
	s_or_b64 exec, exec, s[8:9]
	s_and_b64 s[4:5], s[4:5], exec
	s_or_saveexec_b64 s[6:7], s[6:7]
	v_mov_b32_e32 v3, s10
	s_xor_b64 exec, exec, s[6:7]
	s_cbranch_execz .LBB19_998
.LBB19_3048:
	v_mov_b32_e32 v3, 0
	v_cmp_ne_u16_sdwa s[8:9], v5, v3 src0_sel:BYTE_0 src1_sel:DWORD
	s_andn2_b64 s[4:5], s[4:5], exec
	s_and_b64 s[8:9], s[8:9], exec
	s_or_b64 s[4:5], s[4:5], s[8:9]
	s_or_b64 exec, exec, s[6:7]
	s_and_saveexec_b64 s[6:7], s[4:5]
	s_cbranch_execnz .LBB19_999
	s_branch .LBB19_1000
.LBB19_3049:
	s_movk_i32 s4, 0x80
	v_cmp_eq_u16_sdwa s[12:13], v3, s4 src0_sel:BYTE_0 src1_sel:DWORD
	s_mov_b64 s[4:5], -1
                                        ; implicit-def: $sgpr10
	s_and_saveexec_b64 s[8:9], s[12:13]
; %bb.3050:
	s_mov_b32 s10, 0x7f800001
	s_xor_b64 s[4:5], exec, -1
; %bb.3051:
	s_or_b64 exec, exec, s[8:9]
	s_and_b64 s[4:5], s[4:5], exec
	s_or_saveexec_b64 s[6:7], s[6:7]
	v_mov_b32_e32 v2, s10
	s_xor_b64 exec, exec, s[6:7]
	s_cbranch_execz .LBB19_1002
.LBB19_3052:
	v_mov_b32_e32 v2, 0
	v_cmp_ne_u16_sdwa s[8:9], v3, v2 src0_sel:BYTE_0 src1_sel:DWORD
	s_andn2_b64 s[4:5], s[4:5], exec
	s_and_b64 s[8:9], s[8:9], exec
	s_or_b64 s[4:5], s[4:5], s[8:9]
	s_or_b64 exec, exec, s[6:7]
	s_and_saveexec_b64 s[6:7], s[4:5]
	s_cbranch_execnz .LBB19_1003
	s_branch .LBB19_1004
.LBB19_3053:
	s_movk_i32 s4, 0x80
	v_cmp_eq_u16_sdwa s[12:13], v3, s4 src0_sel:BYTE_0 src1_sel:DWORD
	s_mov_b64 s[4:5], -1
                                        ; implicit-def: $sgpr10
	s_and_saveexec_b64 s[8:9], s[12:13]
; %bb.3054:
	s_mov_b32 s10, 0x7f800001
	s_xor_b64 s[4:5], exec, -1
; %bb.3055:
	s_or_b64 exec, exec, s[8:9]
	s_and_b64 s[4:5], s[4:5], exec
	s_or_saveexec_b64 s[6:7], s[6:7]
	v_mov_b32_e32 v4, s10
	s_xor_b64 exec, exec, s[6:7]
	s_cbranch_execz .LBB19_1006
.LBB19_3056:
	v_mov_b32_e32 v4, 0
	v_cmp_ne_u16_sdwa s[8:9], v3, v4 src0_sel:BYTE_0 src1_sel:DWORD
	s_andn2_b64 s[4:5], s[4:5], exec
	s_and_b64 s[8:9], s[8:9], exec
	s_or_b64 s[4:5], s[4:5], s[8:9]
	s_or_b64 exec, exec, s[6:7]
	s_and_saveexec_b64 s[6:7], s[4:5]
	s_cbranch_execnz .LBB19_1007
	s_branch .LBB19_1008
.LBB19_3057:
	s_movk_i32 s4, 0x80
	v_cmp_eq_u16_e32 vcc, s4, v3
	s_mov_b64 s[4:5], -1
                                        ; implicit-def: $sgpr10
	s_and_saveexec_b64 s[8:9], vcc
; %bb.3058:
	s_mov_b32 s10, 0x7f800001
	s_xor_b64 s[4:5], exec, -1
; %bb.3059:
	s_or_b64 exec, exec, s[8:9]
	s_and_b64 s[4:5], s[4:5], exec
                                        ; implicit-def: $vgpr3
	s_or_saveexec_b64 s[6:7], s[6:7]
	v_mov_b32_e32 v2, s10
	s_xor_b64 exec, exec, s[6:7]
	s_cbranch_execz .LBB19_1010
.LBB19_3060:
	v_cmp_ne_u16_e32 vcc, 0, v3
	s_andn2_b64 s[4:5], s[4:5], exec
	s_and_b64 s[8:9], vcc, exec
	v_mov_b32_e32 v2, 0
	s_or_b64 s[4:5], s[4:5], s[8:9]
	s_or_b64 exec, exec, s[6:7]
	s_and_saveexec_b64 s[6:7], s[4:5]
	s_cbranch_execnz .LBB19_1011
	s_branch .LBB19_1012
.LBB19_3061:
	s_movk_i32 s4, 0x80
	v_cmp_eq_u16_e32 vcc, s4, v3
	s_mov_b64 s[4:5], -1
                                        ; implicit-def: $sgpr10
	s_and_saveexec_b64 s[8:9], vcc
; %bb.3062:
	s_mov_b32 s10, 0x7f800001
	s_xor_b64 s[4:5], exec, -1
; %bb.3063:
	s_or_b64 exec, exec, s[8:9]
	s_and_b64 s[4:5], s[4:5], exec
                                        ; implicit-def: $vgpr3
	s_or_saveexec_b64 s[6:7], s[6:7]
	v_mov_b32_e32 v4, s10
	s_xor_b64 exec, exec, s[6:7]
	s_cbranch_execz .LBB19_1014
.LBB19_3064:
	v_cmp_ne_u16_e32 vcc, 0, v3
	s_andn2_b64 s[4:5], s[4:5], exec
	s_and_b64 s[8:9], vcc, exec
	v_mov_b32_e32 v4, 0
	s_or_b64 s[4:5], s[4:5], s[8:9]
	s_or_b64 exec, exec, s[6:7]
	s_and_saveexec_b64 s[6:7], s[4:5]
	s_cbranch_execnz .LBB19_1015
	s_branch .LBB19_1016
.LBB19_3065:
	s_movk_i32 s4, 0x80
	v_cmp_eq_u16_sdwa s[12:13], v9, s4 src0_sel:BYTE_3 src1_sel:DWORD
	s_mov_b64 s[4:5], -1
                                        ; implicit-def: $sgpr10
	s_and_saveexec_b64 s[8:9], s[12:13]
; %bb.3066:
	s_mov_b32 s10, 0x7f800001
	s_xor_b64 s[4:5], exec, -1
; %bb.3067:
	s_or_b64 exec, exec, s[8:9]
	s_and_b64 s[4:5], s[4:5], exec
	s_or_saveexec_b64 s[6:7], s[6:7]
	v_mov_b32_e32 v2, s10
	s_xor_b64 exec, exec, s[6:7]
	s_cbranch_execz .LBB19_1018
.LBB19_3068:
	v_mov_b32_e32 v2, 0
	v_cmp_ne_u16_sdwa s[8:9], v9, v2 src0_sel:BYTE_3 src1_sel:DWORD
	s_andn2_b64 s[4:5], s[4:5], exec
	s_and_b64 s[8:9], s[8:9], exec
	s_or_b64 s[4:5], s[4:5], s[8:9]
	s_or_b64 exec, exec, s[6:7]
	s_and_saveexec_b64 s[6:7], s[4:5]
	s_cbranch_execnz .LBB19_1019
	s_branch .LBB19_1020
.LBB19_3069:
	s_movk_i32 s4, 0x80
	v_cmp_eq_u16_sdwa s[12:13], v5, s4 src0_sel:BYTE_3 src1_sel:DWORD
	s_mov_b64 s[4:5], -1
                                        ; implicit-def: $sgpr10
	s_and_saveexec_b64 s[8:9], s[12:13]
; %bb.3070:
	s_mov_b32 s10, 0x7f800001
	s_xor_b64 s[4:5], exec, -1
; %bb.3071:
	s_or_b64 exec, exec, s[8:9]
	s_and_b64 s[4:5], s[4:5], exec
	s_or_saveexec_b64 s[6:7], s[6:7]
	v_mov_b32_e32 v3, s10
	s_xor_b64 exec, exec, s[6:7]
	s_cbranch_execz .LBB19_1022
.LBB19_3072:
	v_mov_b32_e32 v3, 0
	v_cmp_ne_u16_sdwa s[8:9], v5, v3 src0_sel:BYTE_3 src1_sel:DWORD
	s_andn2_b64 s[4:5], s[4:5], exec
	s_and_b64 s[8:9], s[8:9], exec
	s_or_b64 s[4:5], s[4:5], s[8:9]
	s_or_b64 exec, exec, s[6:7]
	s_and_saveexec_b64 s[6:7], s[4:5]
	s_cbranch_execnz .LBB19_1023
	s_branch .LBB19_1024
.LBB19_3073:
	s_movk_i32 s4, 0x80
	v_cmp_eq_u16_sdwa s[12:13], v14, s4 src0_sel:BYTE_0 src1_sel:DWORD
	s_mov_b64 s[4:5], -1
                                        ; implicit-def: $sgpr10
	s_and_saveexec_b64 s[8:9], s[12:13]
; %bb.3074:
	s_mov_b32 s10, 0x7f800001
	s_xor_b64 s[4:5], exec, -1
; %bb.3075:
	s_or_b64 exec, exec, s[8:9]
	s_and_b64 s[4:5], s[4:5], exec
	s_or_saveexec_b64 s[6:7], s[6:7]
	v_mov_b32_e32 v20, s10
	s_xor_b64 exec, exec, s[6:7]
	s_cbranch_execz .LBB19_1026
.LBB19_3076:
	v_mov_b32_e32 v20, 0
	v_cmp_ne_u16_sdwa s[8:9], v14, v20 src0_sel:BYTE_0 src1_sel:DWORD
	s_andn2_b64 s[4:5], s[4:5], exec
	s_and_b64 s[8:9], s[8:9], exec
	s_or_b64 s[4:5], s[4:5], s[8:9]
	s_or_b64 exec, exec, s[6:7]
	s_and_saveexec_b64 s[6:7], s[4:5]
	s_cbranch_execnz .LBB19_1027
	s_branch .LBB19_1028
.LBB19_3077:
	s_movk_i32 s4, 0x80
	v_cmp_eq_u16_sdwa s[12:13], v10, s4 src0_sel:BYTE_0 src1_sel:DWORD
	s_mov_b64 s[4:5], -1
                                        ; implicit-def: $sgpr10
	s_and_saveexec_b64 s[8:9], s[12:13]
; %bb.3078:
	s_mov_b32 s10, 0x7f800001
	s_xor_b64 s[4:5], exec, -1
; %bb.3079:
	s_or_b64 exec, exec, s[8:9]
	s_and_b64 s[4:5], s[4:5], exec
	s_or_saveexec_b64 s[6:7], s[6:7]
	v_mov_b32_e32 v21, s10
	s_xor_b64 exec, exec, s[6:7]
	s_cbranch_execz .LBB19_1030
.LBB19_3080:
	v_mov_b32_e32 v21, 0
	v_cmp_ne_u16_sdwa s[8:9], v10, v21 src0_sel:BYTE_0 src1_sel:DWORD
	s_andn2_b64 s[4:5], s[4:5], exec
	s_and_b64 s[8:9], s[8:9], exec
	s_or_b64 s[4:5], s[4:5], s[8:9]
	s_or_b64 exec, exec, s[6:7]
	s_and_saveexec_b64 s[6:7], s[4:5]
	s_cbranch_execnz .LBB19_1031
	s_branch .LBB19_1032
.LBB19_3081:
	s_movk_i32 s4, 0x80
	v_cmp_eq_u16_sdwa s[12:13], v21, s4 src0_sel:BYTE_0 src1_sel:DWORD
	s_mov_b64 s[4:5], -1
                                        ; implicit-def: $sgpr10
	s_and_saveexec_b64 s[8:9], s[12:13]
; %bb.3082:
	s_mov_b32 s10, 0x7f800001
	s_xor_b64 s[4:5], exec, -1
; %bb.3083:
	s_or_b64 exec, exec, s[8:9]
	s_and_b64 s[4:5], s[4:5], exec
	s_or_saveexec_b64 s[6:7], s[6:7]
	v_mov_b32_e32 v20, s10
	s_xor_b64 exec, exec, s[6:7]
	s_cbranch_execz .LBB19_1034
.LBB19_3084:
	v_mov_b32_e32 v20, 0
	v_cmp_ne_u16_sdwa s[8:9], v21, v20 src0_sel:BYTE_0 src1_sel:DWORD
	s_andn2_b64 s[4:5], s[4:5], exec
	s_and_b64 s[8:9], s[8:9], exec
	s_or_b64 s[4:5], s[4:5], s[8:9]
	s_or_b64 exec, exec, s[6:7]
	s_and_saveexec_b64 s[6:7], s[4:5]
	s_cbranch_execnz .LBB19_1035
	s_branch .LBB19_1036
.LBB19_3085:
	s_movk_i32 s4, 0x80
	v_cmp_eq_u16_sdwa s[12:13], v21, s4 src0_sel:BYTE_0 src1_sel:DWORD
	s_mov_b64 s[4:5], -1
                                        ; implicit-def: $sgpr10
	s_and_saveexec_b64 s[8:9], s[12:13]
; %bb.3086:
	s_mov_b32 s10, 0x7f800001
	s_xor_b64 s[4:5], exec, -1
; %bb.3087:
	s_or_b64 exec, exec, s[8:9]
	s_and_b64 s[4:5], s[4:5], exec
	s_or_saveexec_b64 s[6:7], s[6:7]
	v_mov_b32_e32 v22, s10
	s_xor_b64 exec, exec, s[6:7]
	s_cbranch_execz .LBB19_1038
.LBB19_3088:
	v_mov_b32_e32 v22, 0
	v_cmp_ne_u16_sdwa s[8:9], v21, v22 src0_sel:BYTE_0 src1_sel:DWORD
	s_andn2_b64 s[4:5], s[4:5], exec
	s_and_b64 s[8:9], s[8:9], exec
	s_or_b64 s[4:5], s[4:5], s[8:9]
	s_or_b64 exec, exec, s[6:7]
	s_and_saveexec_b64 s[6:7], s[4:5]
	s_cbranch_execnz .LBB19_1039
	s_branch .LBB19_1040
.LBB19_3089:
	s_movk_i32 s4, 0x80
	v_cmp_eq_u16_e32 vcc, s4, v21
	s_mov_b64 s[4:5], -1
                                        ; implicit-def: $sgpr10
	s_and_saveexec_b64 s[8:9], vcc
; %bb.3090:
	s_mov_b32 s10, 0x7f800001
	s_xor_b64 s[4:5], exec, -1
; %bb.3091:
	s_or_b64 exec, exec, s[8:9]
	s_and_b64 s[4:5], s[4:5], exec
                                        ; implicit-def: $vgpr21
	s_or_saveexec_b64 s[6:7], s[6:7]
	v_mov_b32_e32 v20, s10
	s_xor_b64 exec, exec, s[6:7]
	s_cbranch_execz .LBB19_1042
.LBB19_3092:
	v_cmp_ne_u16_e32 vcc, 0, v21
	s_andn2_b64 s[4:5], s[4:5], exec
	s_and_b64 s[8:9], vcc, exec
	v_mov_b32_e32 v20, 0
	s_or_b64 s[4:5], s[4:5], s[8:9]
	s_or_b64 exec, exec, s[6:7]
	s_and_saveexec_b64 s[6:7], s[4:5]
	s_cbranch_execnz .LBB19_1043
	s_branch .LBB19_1044
.LBB19_3093:
	s_movk_i32 s4, 0x80
	v_cmp_eq_u16_e32 vcc, s4, v21
	s_mov_b64 s[4:5], -1
                                        ; implicit-def: $sgpr10
	s_and_saveexec_b64 s[8:9], vcc
; %bb.3094:
	s_mov_b32 s10, 0x7f800001
	s_xor_b64 s[4:5], exec, -1
; %bb.3095:
	s_or_b64 exec, exec, s[8:9]
	s_and_b64 s[4:5], s[4:5], exec
                                        ; implicit-def: $vgpr21
	s_or_saveexec_b64 s[6:7], s[6:7]
	v_mov_b32_e32 v22, s10
	s_xor_b64 exec, exec, s[6:7]
	s_cbranch_execz .LBB19_1046
.LBB19_3096:
	v_cmp_ne_u16_e32 vcc, 0, v21
	s_andn2_b64 s[4:5], s[4:5], exec
	s_and_b64 s[8:9], vcc, exec
	v_mov_b32_e32 v22, 0
	s_or_b64 s[4:5], s[4:5], s[8:9]
	s_or_b64 exec, exec, s[6:7]
	s_and_saveexec_b64 s[6:7], s[4:5]
	s_cbranch_execnz .LBB19_1047
	s_branch .LBB19_1048
.LBB19_3097:
	s_movk_i32 s4, 0x80
	v_cmp_eq_u16_sdwa s[12:13], v14, s4 src0_sel:BYTE_3 src1_sel:DWORD
	s_mov_b64 s[4:5], -1
                                        ; implicit-def: $sgpr10
	s_and_saveexec_b64 s[8:9], s[12:13]
; %bb.3098:
	s_mov_b32 s10, 0x7f800001
	s_xor_b64 s[4:5], exec, -1
; %bb.3099:
	s_or_b64 exec, exec, s[8:9]
	s_and_b64 s[4:5], s[4:5], exec
	s_or_saveexec_b64 s[6:7], s[6:7]
	v_mov_b32_e32 v20, s10
	s_xor_b64 exec, exec, s[6:7]
	s_cbranch_execz .LBB19_1050
.LBB19_3100:
	v_mov_b32_e32 v20, 0
	v_cmp_ne_u16_sdwa s[8:9], v14, v20 src0_sel:BYTE_3 src1_sel:DWORD
	s_andn2_b64 s[4:5], s[4:5], exec
	s_and_b64 s[8:9], s[8:9], exec
	s_or_b64 s[4:5], s[4:5], s[8:9]
	s_or_b64 exec, exec, s[6:7]
	s_and_saveexec_b64 s[6:7], s[4:5]
	s_cbranch_execnz .LBB19_1051
	s_branch .LBB19_1052
.LBB19_3101:
	s_movk_i32 s4, 0x80
	v_cmp_eq_u16_sdwa s[12:13], v10, s4 src0_sel:BYTE_3 src1_sel:DWORD
	s_mov_b64 s[4:5], -1
                                        ; implicit-def: $sgpr10
	s_and_saveexec_b64 s[8:9], s[12:13]
; %bb.3102:
	s_mov_b32 s10, 0x7f800001
	s_xor_b64 s[4:5], exec, -1
; %bb.3103:
	s_or_b64 exec, exec, s[8:9]
	s_and_b64 s[4:5], s[4:5], exec
	s_or_saveexec_b64 s[6:7], s[6:7]
	v_mov_b32_e32 v14, s10
	s_xor_b64 exec, exec, s[6:7]
	s_cbranch_execz .LBB19_1054
.LBB19_3104:
	v_mov_b32_e32 v14, 0
	v_cmp_ne_u16_sdwa s[8:9], v10, v14 src0_sel:BYTE_3 src1_sel:DWORD
	s_andn2_b64 s[4:5], s[4:5], exec
	s_and_b64 s[8:9], s[8:9], exec
	s_or_b64 s[4:5], s[4:5], s[8:9]
	s_or_b64 exec, exec, s[6:7]
	s_and_saveexec_b64 s[6:7], s[4:5]
	s_cbranch_execnz .LBB19_1055
	s_branch .LBB19_1056
.LBB19_3105:
	s_movk_i32 s4, 0x80
	v_cmp_eq_u16_sdwa s[12:13], v15, s4 src0_sel:BYTE_0 src1_sel:DWORD
	s_mov_b64 s[4:5], -1
                                        ; implicit-def: $sgpr10
	s_and_saveexec_b64 s[8:9], s[12:13]
; %bb.3106:
	s_mov_b32 s10, 0x7f800001
	s_xor_b64 s[4:5], exec, -1
; %bb.3107:
	s_or_b64 exec, exec, s[8:9]
	s_and_b64 s[4:5], s[4:5], exec
	s_or_saveexec_b64 s[6:7], s[6:7]
	v_mov_b32_e32 v10, s10
	s_xor_b64 exec, exec, s[6:7]
	s_cbranch_execz .LBB19_1058
.LBB19_3108:
	v_mov_b32_e32 v10, 0
	v_cmp_ne_u16_sdwa s[8:9], v15, v10 src0_sel:BYTE_0 src1_sel:DWORD
	s_andn2_b64 s[4:5], s[4:5], exec
	s_and_b64 s[8:9], s[8:9], exec
	s_or_b64 s[4:5], s[4:5], s[8:9]
	s_or_b64 exec, exec, s[6:7]
	s_and_saveexec_b64 s[6:7], s[4:5]
	s_cbranch_execnz .LBB19_1059
	s_branch .LBB19_1060
.LBB19_3109:
	s_movk_i32 s4, 0x80
	v_cmp_eq_u16_sdwa s[12:13], v11, s4 src0_sel:BYTE_0 src1_sel:DWORD
	s_mov_b64 s[4:5], -1
                                        ; implicit-def: $sgpr10
	s_and_saveexec_b64 s[8:9], s[12:13]
; %bb.3110:
	s_mov_b32 s10, 0x7f800001
	s_xor_b64 s[4:5], exec, -1
; %bb.3111:
	s_or_b64 exec, exec, s[8:9]
	s_and_b64 s[4:5], s[4:5], exec
	s_or_saveexec_b64 s[6:7], s[6:7]
	v_mov_b32_e32 v14, s10
	s_xor_b64 exec, exec, s[6:7]
	s_cbranch_execz .LBB19_1062
.LBB19_3112:
	v_mov_b32_e32 v14, 0
	v_cmp_ne_u16_sdwa s[8:9], v11, v14 src0_sel:BYTE_0 src1_sel:DWORD
	s_andn2_b64 s[4:5], s[4:5], exec
	s_and_b64 s[8:9], s[8:9], exec
	s_or_b64 s[4:5], s[4:5], s[8:9]
	s_or_b64 exec, exec, s[6:7]
	s_and_saveexec_b64 s[6:7], s[4:5]
	s_cbranch_execnz .LBB19_1063
	s_branch .LBB19_1064
.LBB19_3113:
	s_movk_i32 s4, 0x80
	v_cmp_eq_u16_sdwa s[12:13], v14, s4 src0_sel:BYTE_0 src1_sel:DWORD
	s_mov_b64 s[4:5], -1
                                        ; implicit-def: $sgpr10
	s_and_saveexec_b64 s[8:9], s[12:13]
; %bb.3114:
	s_mov_b32 s10, 0x7f800001
	s_xor_b64 s[4:5], exec, -1
; %bb.3115:
	s_or_b64 exec, exec, s[8:9]
	s_and_b64 s[4:5], s[4:5], exec
	s_or_saveexec_b64 s[6:7], s[6:7]
	v_mov_b32_e32 v10, s10
	s_xor_b64 exec, exec, s[6:7]
	s_cbranch_execz .LBB19_1066
.LBB19_3116:
	v_mov_b32_e32 v10, 0
	v_cmp_ne_u16_sdwa s[8:9], v14, v10 src0_sel:BYTE_0 src1_sel:DWORD
	s_andn2_b64 s[4:5], s[4:5], exec
	s_and_b64 s[8:9], s[8:9], exec
	s_or_b64 s[4:5], s[4:5], s[8:9]
	s_or_b64 exec, exec, s[6:7]
	s_and_saveexec_b64 s[6:7], s[4:5]
	s_cbranch_execnz .LBB19_1067
	s_branch .LBB19_1068
.LBB19_3117:
	s_movk_i32 s4, 0x80
	v_cmp_eq_u16_sdwa s[12:13], v14, s4 src0_sel:BYTE_0 src1_sel:DWORD
	s_mov_b64 s[4:5], -1
                                        ; implicit-def: $sgpr10
	s_and_saveexec_b64 s[8:9], s[12:13]
; %bb.3118:
	s_mov_b32 s10, 0x7f800001
	s_xor_b64 s[4:5], exec, -1
; %bb.3119:
	s_or_b64 exec, exec, s[8:9]
	s_and_b64 s[4:5], s[4:5], exec
	s_or_saveexec_b64 s[6:7], s[6:7]
	v_mov_b32_e32 v20, s10
	s_xor_b64 exec, exec, s[6:7]
	s_cbranch_execz .LBB19_1070
.LBB19_3120:
	v_mov_b32_e32 v20, 0
	v_cmp_ne_u16_sdwa s[8:9], v14, v20 src0_sel:BYTE_0 src1_sel:DWORD
	s_andn2_b64 s[4:5], s[4:5], exec
	s_and_b64 s[8:9], s[8:9], exec
	s_or_b64 s[4:5], s[4:5], s[8:9]
	s_or_b64 exec, exec, s[6:7]
	s_and_saveexec_b64 s[6:7], s[4:5]
	s_cbranch_execnz .LBB19_1071
	s_branch .LBB19_1072
.LBB19_3121:
	s_movk_i32 s4, 0x80
	v_cmp_eq_u16_e32 vcc, s4, v14
	s_mov_b64 s[4:5], -1
                                        ; implicit-def: $sgpr10
	s_and_saveexec_b64 s[8:9], vcc
; %bb.3122:
	s_mov_b32 s10, 0x7f800001
	s_xor_b64 s[4:5], exec, -1
; %bb.3123:
	s_or_b64 exec, exec, s[8:9]
	s_and_b64 s[4:5], s[4:5], exec
                                        ; implicit-def: $vgpr14
	s_or_saveexec_b64 s[6:7], s[6:7]
	v_mov_b32_e32 v10, s10
	s_xor_b64 exec, exec, s[6:7]
	s_cbranch_execz .LBB19_1074
.LBB19_3124:
	v_cmp_ne_u16_e32 vcc, 0, v14
	s_andn2_b64 s[4:5], s[4:5], exec
	s_and_b64 s[8:9], vcc, exec
	v_mov_b32_e32 v10, 0
	s_or_b64 s[4:5], s[4:5], s[8:9]
	s_or_b64 exec, exec, s[6:7]
	s_and_saveexec_b64 s[6:7], s[4:5]
	s_cbranch_execnz .LBB19_1075
	s_branch .LBB19_1076
.LBB19_3125:
	s_movk_i32 s4, 0x80
	v_cmp_eq_u16_e32 vcc, s4, v14
	s_mov_b64 s[4:5], -1
                                        ; implicit-def: $sgpr10
	s_and_saveexec_b64 s[8:9], vcc
; %bb.3126:
	s_mov_b32 s10, 0x7f800001
	s_xor_b64 s[4:5], exec, -1
; %bb.3127:
	s_or_b64 exec, exec, s[8:9]
	s_and_b64 s[4:5], s[4:5], exec
                                        ; implicit-def: $vgpr14
	s_or_saveexec_b64 s[6:7], s[6:7]
	v_mov_b32_e32 v20, s10
	s_xor_b64 exec, exec, s[6:7]
	s_cbranch_execz .LBB19_1078
.LBB19_3128:
	v_cmp_ne_u16_e32 vcc, 0, v14
	s_andn2_b64 s[4:5], s[4:5], exec
	s_and_b64 s[8:9], vcc, exec
	v_mov_b32_e32 v20, 0
	s_or_b64 s[4:5], s[4:5], s[8:9]
	s_or_b64 exec, exec, s[6:7]
	s_and_saveexec_b64 s[6:7], s[4:5]
	s_cbranch_execnz .LBB19_1079
	s_branch .LBB19_1080
.LBB19_3129:
	s_movk_i32 s4, 0x80
	v_cmp_eq_u16_sdwa s[12:13], v15, s4 src0_sel:BYTE_3 src1_sel:DWORD
	s_mov_b64 s[4:5], -1
                                        ; implicit-def: $sgpr10
	s_and_saveexec_b64 s[8:9], s[12:13]
; %bb.3130:
	s_mov_b32 s10, 0x7f800001
	s_xor_b64 s[4:5], exec, -1
; %bb.3131:
	s_or_b64 exec, exec, s[8:9]
	s_and_b64 s[4:5], s[4:5], exec
	s_or_saveexec_b64 s[6:7], s[6:7]
	v_mov_b32_e32 v10, s10
	s_xor_b64 exec, exec, s[6:7]
	s_cbranch_execz .LBB19_1082
.LBB19_3132:
	v_mov_b32_e32 v10, 0
	v_cmp_ne_u16_sdwa s[8:9], v15, v10 src0_sel:BYTE_3 src1_sel:DWORD
	s_andn2_b64 s[4:5], s[4:5], exec
	s_and_b64 s[8:9], s[8:9], exec
	s_or_b64 s[4:5], s[4:5], s[8:9]
	s_or_b64 exec, exec, s[6:7]
	s_and_saveexec_b64 s[6:7], s[4:5]
	s_cbranch_execnz .LBB19_1083
	s_branch .LBB19_1084
.LBB19_3133:
	s_movk_i32 s4, 0x80
	v_cmp_eq_u16_sdwa s[12:13], v11, s4 src0_sel:BYTE_3 src1_sel:DWORD
	s_mov_b64 s[4:5], -1
                                        ; implicit-def: $sgpr10
	s_and_saveexec_b64 s[8:9], s[12:13]
; %bb.3134:
	s_mov_b32 s10, 0x7f800001
	s_xor_b64 s[4:5], exec, -1
; %bb.3135:
	s_or_b64 exec, exec, s[8:9]
	s_and_b64 s[4:5], s[4:5], exec
	s_or_saveexec_b64 s[6:7], s[6:7]
	v_mov_b32_e32 v14, s10
	s_xor_b64 exec, exec, s[6:7]
	s_cbranch_execz .LBB19_1086
.LBB19_3136:
	v_mov_b32_e32 v14, 0
	v_cmp_ne_u16_sdwa s[8:9], v11, v14 src0_sel:BYTE_3 src1_sel:DWORD
	s_andn2_b64 s[4:5], s[4:5], exec
	s_and_b64 s[8:9], s[8:9], exec
	s_or_b64 s[4:5], s[4:5], s[8:9]
	s_or_b64 exec, exec, s[6:7]
	s_and_saveexec_b64 s[6:7], s[4:5]
	s_cbranch_execnz .LBB19_1087
	s_branch .LBB19_1088
.LBB19_3137:
	s_movk_i32 s4, 0x80
	v_cmp_eq_u16_sdwa s[12:13], v16, s4 src0_sel:BYTE_0 src1_sel:DWORD
	s_mov_b64 s[4:5], -1
                                        ; implicit-def: $sgpr10
	s_and_saveexec_b64 s[8:9], s[12:13]
; %bb.3138:
	s_mov_b32 s10, 0x7f800001
	s_xor_b64 s[4:5], exec, -1
; %bb.3139:
	s_or_b64 exec, exec, s[8:9]
	s_and_b64 s[4:5], s[4:5], exec
	s_or_saveexec_b64 s[6:7], s[6:7]
	v_mov_b32_e32 v10, s10
	s_xor_b64 exec, exec, s[6:7]
	s_cbranch_execz .LBB19_1090
.LBB19_3140:
	v_mov_b32_e32 v10, 0
	v_cmp_ne_u16_sdwa s[8:9], v16, v10 src0_sel:BYTE_0 src1_sel:DWORD
	s_andn2_b64 s[4:5], s[4:5], exec
	s_and_b64 s[8:9], s[8:9], exec
	s_or_b64 s[4:5], s[4:5], s[8:9]
	s_or_b64 exec, exec, s[6:7]
	s_and_saveexec_b64 s[6:7], s[4:5]
	s_cbranch_execnz .LBB19_1091
	s_branch .LBB19_1092
.LBB19_3141:
	s_movk_i32 s4, 0x80
	v_cmp_eq_u16_sdwa s[12:13], v12, s4 src0_sel:BYTE_0 src1_sel:DWORD
	s_mov_b64 s[4:5], -1
                                        ; implicit-def: $sgpr10
	s_and_saveexec_b64 s[8:9], s[12:13]
; %bb.3142:
	s_mov_b32 s10, 0x7f800001
	s_xor_b64 s[4:5], exec, -1
; %bb.3143:
	s_or_b64 exec, exec, s[8:9]
	s_and_b64 s[4:5], s[4:5], exec
	s_or_saveexec_b64 s[6:7], s[6:7]
	v_mov_b32_e32 v11, s10
	s_xor_b64 exec, exec, s[6:7]
	s_cbranch_execz .LBB19_1094
.LBB19_3144:
	v_mov_b32_e32 v11, 0
	v_cmp_ne_u16_sdwa s[8:9], v12, v11 src0_sel:BYTE_0 src1_sel:DWORD
	s_andn2_b64 s[4:5], s[4:5], exec
	s_and_b64 s[8:9], s[8:9], exec
	s_or_b64 s[4:5], s[4:5], s[8:9]
	s_or_b64 exec, exec, s[6:7]
	s_and_saveexec_b64 s[6:7], s[4:5]
	s_cbranch_execnz .LBB19_1095
	s_branch .LBB19_1096
.LBB19_3145:
	s_movk_i32 s4, 0x80
	v_cmp_eq_u16_sdwa s[12:13], v11, s4 src0_sel:BYTE_0 src1_sel:DWORD
	s_mov_b64 s[4:5], -1
                                        ; implicit-def: $sgpr10
	s_and_saveexec_b64 s[8:9], s[12:13]
; %bb.3146:
	s_mov_b32 s10, 0x7f800001
	s_xor_b64 s[4:5], exec, -1
; %bb.3147:
	s_or_b64 exec, exec, s[8:9]
	s_and_b64 s[4:5], s[4:5], exec
	s_or_saveexec_b64 s[6:7], s[6:7]
	v_mov_b32_e32 v10, s10
	s_xor_b64 exec, exec, s[6:7]
	s_cbranch_execz .LBB19_1098
.LBB19_3148:
	v_mov_b32_e32 v10, 0
	v_cmp_ne_u16_sdwa s[8:9], v11, v10 src0_sel:BYTE_0 src1_sel:DWORD
	s_andn2_b64 s[4:5], s[4:5], exec
	s_and_b64 s[8:9], s[8:9], exec
	s_or_b64 s[4:5], s[4:5], s[8:9]
	s_or_b64 exec, exec, s[6:7]
	s_and_saveexec_b64 s[6:7], s[4:5]
	s_cbranch_execnz .LBB19_1099
	s_branch .LBB19_1100
.LBB19_3149:
	s_movk_i32 s4, 0x80
	v_cmp_eq_u16_sdwa s[12:13], v11, s4 src0_sel:BYTE_0 src1_sel:DWORD
	s_mov_b64 s[4:5], -1
                                        ; implicit-def: $sgpr10
	s_and_saveexec_b64 s[8:9], s[12:13]
; %bb.3150:
	s_mov_b32 s10, 0x7f800001
	s_xor_b64 s[4:5], exec, -1
; %bb.3151:
	s_or_b64 exec, exec, s[8:9]
	s_and_b64 s[4:5], s[4:5], exec
	s_or_saveexec_b64 s[6:7], s[6:7]
	v_mov_b32_e32 v14, s10
	s_xor_b64 exec, exec, s[6:7]
	s_cbranch_execz .LBB19_1102
.LBB19_3152:
	v_mov_b32_e32 v14, 0
	v_cmp_ne_u16_sdwa s[8:9], v11, v14 src0_sel:BYTE_0 src1_sel:DWORD
	s_andn2_b64 s[4:5], s[4:5], exec
	s_and_b64 s[8:9], s[8:9], exec
	s_or_b64 s[4:5], s[4:5], s[8:9]
	s_or_b64 exec, exec, s[6:7]
	s_and_saveexec_b64 s[6:7], s[4:5]
	s_cbranch_execnz .LBB19_1103
	s_branch .LBB19_1104
.LBB19_3153:
	s_movk_i32 s4, 0x80
	v_cmp_eq_u16_e32 vcc, s4, v11
	s_mov_b64 s[4:5], -1
                                        ; implicit-def: $sgpr10
	s_and_saveexec_b64 s[8:9], vcc
; %bb.3154:
	s_mov_b32 s10, 0x7f800001
	s_xor_b64 s[4:5], exec, -1
; %bb.3155:
	s_or_b64 exec, exec, s[8:9]
	s_and_b64 s[4:5], s[4:5], exec
                                        ; implicit-def: $vgpr11
	s_or_saveexec_b64 s[6:7], s[6:7]
	v_mov_b32_e32 v10, s10
	s_xor_b64 exec, exec, s[6:7]
	s_cbranch_execz .LBB19_1106
.LBB19_3156:
	v_cmp_ne_u16_e32 vcc, 0, v11
	s_andn2_b64 s[4:5], s[4:5], exec
	s_and_b64 s[8:9], vcc, exec
	v_mov_b32_e32 v10, 0
	s_or_b64 s[4:5], s[4:5], s[8:9]
	s_or_b64 exec, exec, s[6:7]
	s_and_saveexec_b64 s[6:7], s[4:5]
	s_cbranch_execnz .LBB19_1107
	s_branch .LBB19_1108
.LBB19_3157:
	s_movk_i32 s4, 0x80
	v_cmp_eq_u16_e32 vcc, s4, v11
	s_mov_b64 s[4:5], -1
                                        ; implicit-def: $sgpr10
	s_and_saveexec_b64 s[8:9], vcc
; %bb.3158:
	s_mov_b32 s10, 0x7f800001
	s_xor_b64 s[4:5], exec, -1
; %bb.3159:
	s_or_b64 exec, exec, s[8:9]
	s_and_b64 s[4:5], s[4:5], exec
                                        ; implicit-def: $vgpr11
	s_or_saveexec_b64 s[6:7], s[6:7]
	v_mov_b32_e32 v14, s10
	s_xor_b64 exec, exec, s[6:7]
	s_cbranch_execz .LBB19_1110
.LBB19_3160:
	v_cmp_ne_u16_e32 vcc, 0, v11
	s_andn2_b64 s[4:5], s[4:5], exec
	s_and_b64 s[8:9], vcc, exec
	v_mov_b32_e32 v14, 0
	s_or_b64 s[4:5], s[4:5], s[8:9]
	s_or_b64 exec, exec, s[6:7]
	s_and_saveexec_b64 s[6:7], s[4:5]
	s_cbranch_execnz .LBB19_1111
	s_branch .LBB19_1112
.LBB19_3161:
	s_movk_i32 s4, 0x80
	v_cmp_eq_u16_sdwa s[12:13], v16, s4 src0_sel:BYTE_3 src1_sel:DWORD
	s_mov_b64 s[4:5], -1
                                        ; implicit-def: $sgpr10
	s_and_saveexec_b64 s[8:9], s[12:13]
; %bb.3162:
	s_mov_b32 s10, 0x7f800001
	s_xor_b64 s[4:5], exec, -1
; %bb.3163:
	s_or_b64 exec, exec, s[8:9]
	s_and_b64 s[4:5], s[4:5], exec
	s_or_saveexec_b64 s[6:7], s[6:7]
	v_mov_b32_e32 v10, s10
	s_xor_b64 exec, exec, s[6:7]
	s_cbranch_execz .LBB19_1114
.LBB19_3164:
	v_mov_b32_e32 v10, 0
	v_cmp_ne_u16_sdwa s[8:9], v16, v10 src0_sel:BYTE_3 src1_sel:DWORD
	s_andn2_b64 s[4:5], s[4:5], exec
	s_and_b64 s[8:9], s[8:9], exec
	s_or_b64 s[4:5], s[4:5], s[8:9]
	s_or_b64 exec, exec, s[6:7]
	s_and_saveexec_b64 s[6:7], s[4:5]
	s_cbranch_execnz .LBB19_1115
	s_branch .LBB19_1116
.LBB19_3165:
	s_movk_i32 s4, 0x80
	v_cmp_eq_u16_sdwa s[12:13], v12, s4 src0_sel:BYTE_3 src1_sel:DWORD
	s_mov_b64 s[4:5], -1
                                        ; implicit-def: $sgpr10
	s_and_saveexec_b64 s[8:9], s[12:13]
; %bb.3166:
	s_mov_b32 s10, 0x7f800001
	s_xor_b64 s[4:5], exec, -1
; %bb.3167:
	s_or_b64 exec, exec, s[8:9]
	s_and_b64 s[4:5], s[4:5], exec
	s_or_saveexec_b64 s[6:7], s[6:7]
	v_mov_b32_e32 v11, s10
	s_xor_b64 exec, exec, s[6:7]
	s_cbranch_execz .LBB19_1118
.LBB19_3168:
	v_mov_b32_e32 v11, 0
	v_cmp_ne_u16_sdwa s[8:9], v12, v11 src0_sel:BYTE_3 src1_sel:DWORD
	s_andn2_b64 s[4:5], s[4:5], exec
	s_and_b64 s[8:9], s[8:9], exec
	s_or_b64 s[4:5], s[4:5], s[8:9]
	s_or_b64 exec, exec, s[6:7]
	s_and_saveexec_b64 s[6:7], s[4:5]
	s_cbranch_execnz .LBB19_1119
	s_branch .LBB19_1120
.LBB19_3169:
	s_movk_i32 s4, 0x80
	v_cmp_eq_u16_sdwa s[12:13], v17, s4 src0_sel:BYTE_0 src1_sel:DWORD
	s_mov_b64 s[4:5], -1
                                        ; implicit-def: $sgpr10
	s_and_saveexec_b64 s[8:9], s[12:13]
; %bb.3170:
	s_mov_b32 s10, 0x7f800001
	s_xor_b64 s[4:5], exec, -1
; %bb.3171:
	s_or_b64 exec, exec, s[8:9]
	s_and_b64 s[4:5], s[4:5], exec
	s_or_saveexec_b64 s[6:7], s[6:7]
	v_mov_b32_e32 v10, s10
	s_xor_b64 exec, exec, s[6:7]
	s_cbranch_execz .LBB19_1122
.LBB19_3172:
	v_mov_b32_e32 v10, 0
	v_cmp_ne_u16_sdwa s[8:9], v17, v10 src0_sel:BYTE_0 src1_sel:DWORD
	s_andn2_b64 s[4:5], s[4:5], exec
	s_and_b64 s[8:9], s[8:9], exec
	s_or_b64 s[4:5], s[4:5], s[8:9]
	s_or_b64 exec, exec, s[6:7]
	s_and_saveexec_b64 s[6:7], s[4:5]
	s_cbranch_execnz .LBB19_1123
	s_branch .LBB19_1124
.LBB19_3173:
	s_movk_i32 s4, 0x80
	v_cmp_eq_u16_sdwa s[12:13], v13, s4 src0_sel:BYTE_0 src1_sel:DWORD
	s_mov_b64 s[4:5], -1
                                        ; implicit-def: $sgpr10
	s_and_saveexec_b64 s[8:9], s[12:13]
; %bb.3174:
	s_mov_b32 s10, 0x7f800001
	s_xor_b64 s[4:5], exec, -1
; %bb.3175:
	s_or_b64 exec, exec, s[8:9]
	s_and_b64 s[4:5], s[4:5], exec
	s_or_saveexec_b64 s[6:7], s[6:7]
	v_mov_b32_e32 v11, s10
	s_xor_b64 exec, exec, s[6:7]
	s_cbranch_execz .LBB19_1126
.LBB19_3176:
	v_mov_b32_e32 v11, 0
	v_cmp_ne_u16_sdwa s[8:9], v13, v11 src0_sel:BYTE_0 src1_sel:DWORD
	s_andn2_b64 s[4:5], s[4:5], exec
	s_and_b64 s[8:9], s[8:9], exec
	s_or_b64 s[4:5], s[4:5], s[8:9]
	s_or_b64 exec, exec, s[6:7]
	s_and_saveexec_b64 s[6:7], s[4:5]
	s_cbranch_execnz .LBB19_1127
	s_branch .LBB19_1128
.LBB19_3177:
	s_movk_i32 s4, 0x80
	v_cmp_eq_u16_sdwa s[12:13], v11, s4 src0_sel:BYTE_0 src1_sel:DWORD
	s_mov_b64 s[4:5], -1
                                        ; implicit-def: $sgpr10
	s_and_saveexec_b64 s[8:9], s[12:13]
; %bb.3178:
	s_mov_b32 s10, 0x7f800001
	s_xor_b64 s[4:5], exec, -1
; %bb.3179:
	s_or_b64 exec, exec, s[8:9]
	s_and_b64 s[4:5], s[4:5], exec
	s_or_saveexec_b64 s[6:7], s[6:7]
	v_mov_b32_e32 v10, s10
	s_xor_b64 exec, exec, s[6:7]
	s_cbranch_execz .LBB19_1130
.LBB19_3180:
	v_mov_b32_e32 v10, 0
	v_cmp_ne_u16_sdwa s[8:9], v11, v10 src0_sel:BYTE_0 src1_sel:DWORD
	s_andn2_b64 s[4:5], s[4:5], exec
	s_and_b64 s[8:9], s[8:9], exec
	s_or_b64 s[4:5], s[4:5], s[8:9]
	s_or_b64 exec, exec, s[6:7]
	s_and_saveexec_b64 s[6:7], s[4:5]
	s_cbranch_execnz .LBB19_1131
	s_branch .LBB19_1132
.LBB19_3181:
	s_movk_i32 s4, 0x80
	v_cmp_eq_u16_sdwa s[12:13], v11, s4 src0_sel:BYTE_0 src1_sel:DWORD
	s_mov_b64 s[4:5], -1
                                        ; implicit-def: $sgpr10
	s_and_saveexec_b64 s[8:9], s[12:13]
; %bb.3182:
	s_mov_b32 s10, 0x7f800001
	s_xor_b64 s[4:5], exec, -1
; %bb.3183:
	s_or_b64 exec, exec, s[8:9]
	s_and_b64 s[4:5], s[4:5], exec
	s_or_saveexec_b64 s[6:7], s[6:7]
	v_mov_b32_e32 v12, s10
	s_xor_b64 exec, exec, s[6:7]
	s_cbranch_execz .LBB19_1134
.LBB19_3184:
	v_mov_b32_e32 v12, 0
	v_cmp_ne_u16_sdwa s[8:9], v11, v12 src0_sel:BYTE_0 src1_sel:DWORD
	s_andn2_b64 s[4:5], s[4:5], exec
	s_and_b64 s[8:9], s[8:9], exec
	s_or_b64 s[4:5], s[4:5], s[8:9]
	s_or_b64 exec, exec, s[6:7]
	s_and_saveexec_b64 s[6:7], s[4:5]
	s_cbranch_execnz .LBB19_1135
	s_branch .LBB19_1136
.LBB19_3185:
	s_movk_i32 s4, 0x80
	v_cmp_eq_u16_e32 vcc, s4, v11
	s_mov_b64 s[4:5], -1
                                        ; implicit-def: $sgpr10
	s_and_saveexec_b64 s[8:9], vcc
; %bb.3186:
	s_mov_b32 s10, 0x7f800001
	s_xor_b64 s[4:5], exec, -1
; %bb.3187:
	s_or_b64 exec, exec, s[8:9]
	s_and_b64 s[4:5], s[4:5], exec
                                        ; implicit-def: $vgpr11
	s_or_saveexec_b64 s[6:7], s[6:7]
	v_mov_b32_e32 v10, s10
	s_xor_b64 exec, exec, s[6:7]
	s_cbranch_execz .LBB19_1138
.LBB19_3188:
	v_cmp_ne_u16_e32 vcc, 0, v11
	s_andn2_b64 s[4:5], s[4:5], exec
	s_and_b64 s[8:9], vcc, exec
	v_mov_b32_e32 v10, 0
	s_or_b64 s[4:5], s[4:5], s[8:9]
	s_or_b64 exec, exec, s[6:7]
	s_and_saveexec_b64 s[6:7], s[4:5]
	s_cbranch_execnz .LBB19_1139
	s_branch .LBB19_1140
.LBB19_3189:
	s_movk_i32 s4, 0x80
	v_cmp_eq_u16_e32 vcc, s4, v11
	s_mov_b64 s[4:5], -1
                                        ; implicit-def: $sgpr10
	s_and_saveexec_b64 s[8:9], vcc
; %bb.3190:
	s_mov_b32 s10, 0x7f800001
	s_xor_b64 s[4:5], exec, -1
; %bb.3191:
	s_or_b64 exec, exec, s[8:9]
	s_and_b64 s[4:5], s[4:5], exec
                                        ; implicit-def: $vgpr11
	s_or_saveexec_b64 s[6:7], s[6:7]
	v_mov_b32_e32 v12, s10
	s_xor_b64 exec, exec, s[6:7]
	s_cbranch_execz .LBB19_1142
.LBB19_3192:
	v_cmp_ne_u16_e32 vcc, 0, v11
	s_andn2_b64 s[4:5], s[4:5], exec
	s_and_b64 s[8:9], vcc, exec
	v_mov_b32_e32 v12, 0
	s_or_b64 s[4:5], s[4:5], s[8:9]
	s_or_b64 exec, exec, s[6:7]
	s_and_saveexec_b64 s[6:7], s[4:5]
	s_cbranch_execnz .LBB19_1143
	s_branch .LBB19_1144
.LBB19_3193:
	s_movk_i32 s4, 0x80
	v_cmp_eq_u16_sdwa s[12:13], v17, s4 src0_sel:BYTE_3 src1_sel:DWORD
	s_mov_b64 s[4:5], -1
                                        ; implicit-def: $sgpr10
	s_and_saveexec_b64 s[8:9], s[12:13]
; %bb.3194:
	s_mov_b32 s10, 0x7f800001
	s_xor_b64 s[4:5], exec, -1
; %bb.3195:
	s_or_b64 exec, exec, s[8:9]
	s_and_b64 s[4:5], s[4:5], exec
	s_or_saveexec_b64 s[6:7], s[6:7]
	v_mov_b32_e32 v10, s10
	s_xor_b64 exec, exec, s[6:7]
	s_cbranch_execz .LBB19_1146
.LBB19_3196:
	v_mov_b32_e32 v10, 0
	v_cmp_ne_u16_sdwa s[8:9], v17, v10 src0_sel:BYTE_3 src1_sel:DWORD
	s_andn2_b64 s[4:5], s[4:5], exec
	s_and_b64 s[8:9], s[8:9], exec
	s_or_b64 s[4:5], s[4:5], s[8:9]
	s_or_b64 exec, exec, s[6:7]
	s_and_saveexec_b64 s[6:7], s[4:5]
	s_cbranch_execnz .LBB19_1147
	s_branch .LBB19_1148
.LBB19_3197:
	s_movk_i32 s4, 0x80
	v_cmp_eq_u16_sdwa s[12:13], v13, s4 src0_sel:BYTE_3 src1_sel:DWORD
	s_mov_b64 s[4:5], -1
                                        ; implicit-def: $sgpr10
	s_and_saveexec_b64 s[8:9], s[12:13]
; %bb.3198:
	s_mov_b32 s10, 0x7f800001
	s_xor_b64 s[4:5], exec, -1
; %bb.3199:
	s_or_b64 exec, exec, s[8:9]
	s_and_b64 s[4:5], s[4:5], exec
	s_or_saveexec_b64 s[6:7], s[6:7]
	v_mov_b32_e32 v11, s10
	s_xor_b64 exec, exec, s[6:7]
	s_cbranch_execz .LBB19_1150
.LBB19_3200:
	v_mov_b32_e32 v11, 0
	v_cmp_ne_u16_sdwa s[8:9], v13, v11 src0_sel:BYTE_3 src1_sel:DWORD
	s_andn2_b64 s[4:5], s[4:5], exec
	s_and_b64 s[8:9], s[8:9], exec
	s_or_b64 s[4:5], s[4:5], s[8:9]
	s_or_b64 exec, exec, s[6:7]
	s_and_saveexec_b64 s[6:7], s[4:5]
	s_cbranch_execnz .LBB19_1151
	s_branch .LBB19_1152
.LBB19_3201:
	s_movk_i32 s4, 0x80
	v_cmp_eq_u16_sdwa s[12:13], v6, s4 src0_sel:BYTE_0 src1_sel:DWORD
	s_mov_b64 s[4:5], -1
                                        ; implicit-def: $sgpr10
	s_and_saveexec_b64 s[8:9], s[12:13]
; %bb.3202:
	s_mov_b32 s10, 0x7f800001
	s_xor_b64 s[4:5], exec, -1
; %bb.3203:
	s_or_b64 exec, exec, s[8:9]
	s_and_b64 s[4:5], s[4:5], exec
	s_or_saveexec_b64 s[6:7], s[6:7]
	v_mov_b32_e32 v10, s10
	s_xor_b64 exec, exec, s[6:7]
	s_cbranch_execz .LBB19_1154
.LBB19_3204:
	v_mov_b32_e32 v10, 0
	v_cmp_ne_u16_sdwa s[8:9], v6, v10 src0_sel:BYTE_0 src1_sel:DWORD
	s_andn2_b64 s[4:5], s[4:5], exec
	s_and_b64 s[8:9], s[8:9], exec
	s_or_b64 s[4:5], s[4:5], s[8:9]
	s_or_b64 exec, exec, s[6:7]
	s_and_saveexec_b64 s[6:7], s[4:5]
	s_cbranch_execnz .LBB19_1155
	s_branch .LBB19_1156
.LBB19_3205:
	s_movk_i32 s4, 0x80
	v_cmp_eq_u16_sdwa s[12:13], v2, s4 src0_sel:BYTE_0 src1_sel:DWORD
	s_mov_b64 s[4:5], -1
                                        ; implicit-def: $sgpr10
	s_and_saveexec_b64 s[8:9], s[12:13]
; %bb.3206:
	s_mov_b32 s10, 0x7f800001
	s_xor_b64 s[4:5], exec, -1
; %bb.3207:
	s_or_b64 exec, exec, s[8:9]
	s_and_b64 s[4:5], s[4:5], exec
	s_or_saveexec_b64 s[6:7], s[6:7]
	v_mov_b32_e32 v11, s10
	s_xor_b64 exec, exec, s[6:7]
	s_cbranch_execz .LBB19_1158
.LBB19_3208:
	v_mov_b32_e32 v11, 0
	v_cmp_ne_u16_sdwa s[8:9], v2, v11 src0_sel:BYTE_0 src1_sel:DWORD
	s_andn2_b64 s[4:5], s[4:5], exec
	s_and_b64 s[8:9], s[8:9], exec
	s_or_b64 s[4:5], s[4:5], s[8:9]
	s_or_b64 exec, exec, s[6:7]
	s_and_saveexec_b64 s[6:7], s[4:5]
	s_cbranch_execnz .LBB19_1159
	s_branch .LBB19_1160
.LBB19_3209:
	s_movk_i32 s4, 0x80
	v_cmp_eq_u16_sdwa s[12:13], v11, s4 src0_sel:BYTE_0 src1_sel:DWORD
	s_mov_b64 s[4:5], -1
                                        ; implicit-def: $sgpr10
	s_and_saveexec_b64 s[8:9], s[12:13]
; %bb.3210:
	s_mov_b32 s10, 0x7f800001
	s_xor_b64 s[4:5], exec, -1
; %bb.3211:
	s_or_b64 exec, exec, s[8:9]
	s_and_b64 s[4:5], s[4:5], exec
	s_or_saveexec_b64 s[6:7], s[6:7]
	v_mov_b32_e32 v10, s10
	s_xor_b64 exec, exec, s[6:7]
	s_cbranch_execz .LBB19_1162
.LBB19_3212:
	v_mov_b32_e32 v10, 0
	v_cmp_ne_u16_sdwa s[8:9], v11, v10 src0_sel:BYTE_0 src1_sel:DWORD
	s_andn2_b64 s[4:5], s[4:5], exec
	s_and_b64 s[8:9], s[8:9], exec
	s_or_b64 s[4:5], s[4:5], s[8:9]
	s_or_b64 exec, exec, s[6:7]
	s_and_saveexec_b64 s[6:7], s[4:5]
	s_cbranch_execnz .LBB19_1163
	s_branch .LBB19_1164
.LBB19_3213:
	s_movk_i32 s4, 0x80
	v_cmp_eq_u16_sdwa s[12:13], v11, s4 src0_sel:BYTE_0 src1_sel:DWORD
	s_mov_b64 s[4:5], -1
                                        ; implicit-def: $sgpr10
	s_and_saveexec_b64 s[8:9], s[12:13]
; %bb.3214:
	s_mov_b32 s10, 0x7f800001
	s_xor_b64 s[4:5], exec, -1
; %bb.3215:
	s_or_b64 exec, exec, s[8:9]
	s_and_b64 s[4:5], s[4:5], exec
	s_or_saveexec_b64 s[6:7], s[6:7]
	v_mov_b32_e32 v12, s10
	s_xor_b64 exec, exec, s[6:7]
	s_cbranch_execz .LBB19_1166
.LBB19_3216:
	v_mov_b32_e32 v12, 0
	v_cmp_ne_u16_sdwa s[8:9], v11, v12 src0_sel:BYTE_0 src1_sel:DWORD
	s_andn2_b64 s[4:5], s[4:5], exec
	s_and_b64 s[8:9], s[8:9], exec
	s_or_b64 s[4:5], s[4:5], s[8:9]
	s_or_b64 exec, exec, s[6:7]
	s_and_saveexec_b64 s[6:7], s[4:5]
	s_cbranch_execnz .LBB19_1167
	s_branch .LBB19_1168
.LBB19_3217:
	s_movk_i32 s4, 0x80
	v_cmp_eq_u16_e32 vcc, s4, v11
	s_mov_b64 s[4:5], -1
                                        ; implicit-def: $sgpr10
	s_and_saveexec_b64 s[8:9], vcc
; %bb.3218:
	s_mov_b32 s10, 0x7f800001
	s_xor_b64 s[4:5], exec, -1
; %bb.3219:
	s_or_b64 exec, exec, s[8:9]
	s_and_b64 s[4:5], s[4:5], exec
                                        ; implicit-def: $vgpr11
	s_or_saveexec_b64 s[6:7], s[6:7]
	v_mov_b32_e32 v10, s10
	s_xor_b64 exec, exec, s[6:7]
	s_cbranch_execz .LBB19_1170
.LBB19_3220:
	v_cmp_ne_u16_e32 vcc, 0, v11
	s_andn2_b64 s[4:5], s[4:5], exec
	s_and_b64 s[8:9], vcc, exec
	v_mov_b32_e32 v10, 0
	s_or_b64 s[4:5], s[4:5], s[8:9]
	s_or_b64 exec, exec, s[6:7]
	s_and_saveexec_b64 s[6:7], s[4:5]
	s_cbranch_execnz .LBB19_1171
	s_branch .LBB19_1172
.LBB19_3221:
	s_movk_i32 s4, 0x80
	v_cmp_eq_u16_e32 vcc, s4, v11
	s_mov_b64 s[4:5], -1
                                        ; implicit-def: $sgpr10
	s_and_saveexec_b64 s[8:9], vcc
; %bb.3222:
	s_mov_b32 s10, 0x7f800001
	s_xor_b64 s[4:5], exec, -1
; %bb.3223:
	s_or_b64 exec, exec, s[8:9]
	s_and_b64 s[4:5], s[4:5], exec
                                        ; implicit-def: $vgpr11
	s_or_saveexec_b64 s[6:7], s[6:7]
	v_mov_b32_e32 v12, s10
	s_xor_b64 exec, exec, s[6:7]
	s_cbranch_execz .LBB19_1174
.LBB19_3224:
	v_cmp_ne_u16_e32 vcc, 0, v11
	s_andn2_b64 s[4:5], s[4:5], exec
	s_and_b64 s[8:9], vcc, exec
	v_mov_b32_e32 v12, 0
	s_or_b64 s[4:5], s[4:5], s[8:9]
	s_or_b64 exec, exec, s[6:7]
	s_and_saveexec_b64 s[6:7], s[4:5]
	s_cbranch_execnz .LBB19_1175
	s_branch .LBB19_1176
.LBB19_3225:
	s_movk_i32 s4, 0x80
	v_cmp_eq_u16_sdwa s[12:13], v6, s4 src0_sel:BYTE_3 src1_sel:DWORD
	s_mov_b64 s[4:5], -1
                                        ; implicit-def: $sgpr10
	s_and_saveexec_b64 s[8:9], s[12:13]
; %bb.3226:
	s_mov_b32 s10, 0x7f800001
	s_xor_b64 s[4:5], exec, -1
; %bb.3227:
	s_or_b64 exec, exec, s[8:9]
	s_and_b64 s[4:5], s[4:5], exec
	s_or_saveexec_b64 s[6:7], s[6:7]
	v_mov_b32_e32 v10, s10
	s_xor_b64 exec, exec, s[6:7]
	s_cbranch_execz .LBB19_1178
.LBB19_3228:
	v_mov_b32_e32 v10, 0
	v_cmp_ne_u16_sdwa s[8:9], v6, v10 src0_sel:BYTE_3 src1_sel:DWORD
	s_andn2_b64 s[4:5], s[4:5], exec
	s_and_b64 s[8:9], s[8:9], exec
	s_or_b64 s[4:5], s[4:5], s[8:9]
	s_or_b64 exec, exec, s[6:7]
	s_and_saveexec_b64 s[6:7], s[4:5]
	s_cbranch_execnz .LBB19_1179
	s_branch .LBB19_1180
.LBB19_3229:
	s_movk_i32 s4, 0x80
	v_cmp_eq_u16_sdwa s[12:13], v2, s4 src0_sel:BYTE_3 src1_sel:DWORD
	s_mov_b64 s[4:5], -1
                                        ; implicit-def: $sgpr10
	s_and_saveexec_b64 s[8:9], s[12:13]
; %bb.3230:
	s_mov_b32 s10, 0x7f800001
	s_xor_b64 s[4:5], exec, -1
; %bb.3231:
	s_or_b64 exec, exec, s[8:9]
	s_and_b64 s[4:5], s[4:5], exec
	s_or_saveexec_b64 s[6:7], s[6:7]
	v_mov_b32_e32 v6, s10
	s_xor_b64 exec, exec, s[6:7]
	s_cbranch_execz .LBB19_1182
.LBB19_3232:
	v_mov_b32_e32 v6, 0
	v_cmp_ne_u16_sdwa s[8:9], v2, v6 src0_sel:BYTE_3 src1_sel:DWORD
	s_andn2_b64 s[4:5], s[4:5], exec
	s_and_b64 s[8:9], s[8:9], exec
	s_or_b64 s[4:5], s[4:5], s[8:9]
	s_or_b64 exec, exec, s[6:7]
	s_and_saveexec_b64 s[6:7], s[4:5]
	s_cbranch_execnz .LBB19_1183
	s_branch .LBB19_1184
.LBB19_3233:
	s_movk_i32 s4, 0x80
	v_cmp_eq_u16_sdwa s[12:13], v7, s4 src0_sel:BYTE_0 src1_sel:DWORD
	s_mov_b64 s[4:5], -1
                                        ; implicit-def: $sgpr10
	s_and_saveexec_b64 s[8:9], s[12:13]
; %bb.3234:
	s_mov_b32 s10, 0x7f800001
	s_xor_b64 s[4:5], exec, -1
; %bb.3235:
	s_or_b64 exec, exec, s[8:9]
	s_and_b64 s[4:5], s[4:5], exec
	s_or_saveexec_b64 s[6:7], s[6:7]
	v_mov_b32_e32 v2, s10
	s_xor_b64 exec, exec, s[6:7]
	s_cbranch_execz .LBB19_1186
.LBB19_3236:
	v_mov_b32_e32 v2, 0
	v_cmp_ne_u16_sdwa s[8:9], v7, v2 src0_sel:BYTE_0 src1_sel:DWORD
	s_andn2_b64 s[4:5], s[4:5], exec
	s_and_b64 s[8:9], s[8:9], exec
	s_or_b64 s[4:5], s[4:5], s[8:9]
	s_or_b64 exec, exec, s[6:7]
	s_and_saveexec_b64 s[6:7], s[4:5]
	s_cbranch_execnz .LBB19_1187
	s_branch .LBB19_1188
.LBB19_3237:
	s_movk_i32 s4, 0x80
	v_cmp_eq_u16_sdwa s[12:13], v3, s4 src0_sel:BYTE_0 src1_sel:DWORD
	s_mov_b64 s[4:5], -1
                                        ; implicit-def: $sgpr10
	s_and_saveexec_b64 s[8:9], s[12:13]
; %bb.3238:
	s_mov_b32 s10, 0x7f800001
	s_xor_b64 s[4:5], exec, -1
; %bb.3239:
	s_or_b64 exec, exec, s[8:9]
	s_and_b64 s[4:5], s[4:5], exec
	s_or_saveexec_b64 s[6:7], s[6:7]
	v_mov_b32_e32 v6, s10
	s_xor_b64 exec, exec, s[6:7]
	s_cbranch_execz .LBB19_1190
.LBB19_3240:
	v_mov_b32_e32 v6, 0
	v_cmp_ne_u16_sdwa s[8:9], v3, v6 src0_sel:BYTE_0 src1_sel:DWORD
	s_andn2_b64 s[4:5], s[4:5], exec
	s_and_b64 s[8:9], s[8:9], exec
	s_or_b64 s[4:5], s[4:5], s[8:9]
	s_or_b64 exec, exec, s[6:7]
	s_and_saveexec_b64 s[6:7], s[4:5]
	s_cbranch_execnz .LBB19_1191
	s_branch .LBB19_1192
.LBB19_3241:
	s_movk_i32 s4, 0x80
	v_cmp_eq_u16_sdwa s[12:13], v6, s4 src0_sel:BYTE_0 src1_sel:DWORD
	s_mov_b64 s[4:5], -1
                                        ; implicit-def: $sgpr10
	s_and_saveexec_b64 s[8:9], s[12:13]
; %bb.3242:
	s_mov_b32 s10, 0x7f800001
	s_xor_b64 s[4:5], exec, -1
; %bb.3243:
	s_or_b64 exec, exec, s[8:9]
	s_and_b64 s[4:5], s[4:5], exec
	s_or_saveexec_b64 s[6:7], s[6:7]
	v_mov_b32_e32 v2, s10
	s_xor_b64 exec, exec, s[6:7]
	s_cbranch_execz .LBB19_1194
.LBB19_3244:
	v_mov_b32_e32 v2, 0
	v_cmp_ne_u16_sdwa s[8:9], v6, v2 src0_sel:BYTE_0 src1_sel:DWORD
	s_andn2_b64 s[4:5], s[4:5], exec
	s_and_b64 s[8:9], s[8:9], exec
	s_or_b64 s[4:5], s[4:5], s[8:9]
	s_or_b64 exec, exec, s[6:7]
	s_and_saveexec_b64 s[6:7], s[4:5]
	s_cbranch_execnz .LBB19_1195
	s_branch .LBB19_1196
.LBB19_3245:
	s_movk_i32 s4, 0x80
	v_cmp_eq_u16_sdwa s[12:13], v6, s4 src0_sel:BYTE_0 src1_sel:DWORD
	s_mov_b64 s[4:5], -1
                                        ; implicit-def: $sgpr10
	s_and_saveexec_b64 s[8:9], s[12:13]
; %bb.3246:
	s_mov_b32 s10, 0x7f800001
	s_xor_b64 s[4:5], exec, -1
; %bb.3247:
	s_or_b64 exec, exec, s[8:9]
	s_and_b64 s[4:5], s[4:5], exec
	s_or_saveexec_b64 s[6:7], s[6:7]
	v_mov_b32_e32 v10, s10
	s_xor_b64 exec, exec, s[6:7]
	s_cbranch_execz .LBB19_1198
.LBB19_3248:
	v_mov_b32_e32 v10, 0
	v_cmp_ne_u16_sdwa s[8:9], v6, v10 src0_sel:BYTE_0 src1_sel:DWORD
	s_andn2_b64 s[4:5], s[4:5], exec
	s_and_b64 s[8:9], s[8:9], exec
	s_or_b64 s[4:5], s[4:5], s[8:9]
	s_or_b64 exec, exec, s[6:7]
	s_and_saveexec_b64 s[6:7], s[4:5]
	s_cbranch_execnz .LBB19_1199
	s_branch .LBB19_1200
.LBB19_3249:
	s_movk_i32 s4, 0x80
	v_cmp_eq_u16_e32 vcc, s4, v6
	s_mov_b64 s[4:5], -1
                                        ; implicit-def: $sgpr10
	s_and_saveexec_b64 s[8:9], vcc
; %bb.3250:
	s_mov_b32 s10, 0x7f800001
	s_xor_b64 s[4:5], exec, -1
; %bb.3251:
	s_or_b64 exec, exec, s[8:9]
	s_and_b64 s[4:5], s[4:5], exec
                                        ; implicit-def: $vgpr6
	s_or_saveexec_b64 s[6:7], s[6:7]
	v_mov_b32_e32 v2, s10
	s_xor_b64 exec, exec, s[6:7]
	s_cbranch_execz .LBB19_1202
.LBB19_3252:
	v_cmp_ne_u16_e32 vcc, 0, v6
	s_andn2_b64 s[4:5], s[4:5], exec
	s_and_b64 s[8:9], vcc, exec
	v_mov_b32_e32 v2, 0
	s_or_b64 s[4:5], s[4:5], s[8:9]
	s_or_b64 exec, exec, s[6:7]
	s_and_saveexec_b64 s[6:7], s[4:5]
	s_cbranch_execnz .LBB19_1203
	s_branch .LBB19_1204
.LBB19_3253:
	s_movk_i32 s4, 0x80
	v_cmp_eq_u16_e32 vcc, s4, v6
	s_mov_b64 s[4:5], -1
                                        ; implicit-def: $sgpr10
	s_and_saveexec_b64 s[8:9], vcc
; %bb.3254:
	s_mov_b32 s10, 0x7f800001
	s_xor_b64 s[4:5], exec, -1
; %bb.3255:
	s_or_b64 exec, exec, s[8:9]
	s_and_b64 s[4:5], s[4:5], exec
                                        ; implicit-def: $vgpr6
	s_or_saveexec_b64 s[6:7], s[6:7]
	v_mov_b32_e32 v10, s10
	s_xor_b64 exec, exec, s[6:7]
	s_cbranch_execz .LBB19_1206
.LBB19_3256:
	v_cmp_ne_u16_e32 vcc, 0, v6
	s_andn2_b64 s[4:5], s[4:5], exec
	s_and_b64 s[8:9], vcc, exec
	v_mov_b32_e32 v10, 0
	s_or_b64 s[4:5], s[4:5], s[8:9]
	s_or_b64 exec, exec, s[6:7]
	s_and_saveexec_b64 s[6:7], s[4:5]
	s_cbranch_execnz .LBB19_1207
	s_branch .LBB19_1208
.LBB19_3257:
	s_movk_i32 s4, 0x80
	v_cmp_eq_u16_sdwa s[12:13], v7, s4 src0_sel:BYTE_3 src1_sel:DWORD
	s_mov_b64 s[4:5], -1
                                        ; implicit-def: $sgpr10
	s_and_saveexec_b64 s[8:9], s[12:13]
; %bb.3258:
	s_mov_b32 s10, 0x7f800001
	s_xor_b64 s[4:5], exec, -1
; %bb.3259:
	s_or_b64 exec, exec, s[8:9]
	s_and_b64 s[4:5], s[4:5], exec
	s_or_saveexec_b64 s[6:7], s[6:7]
	v_mov_b32_e32 v2, s10
	s_xor_b64 exec, exec, s[6:7]
	s_cbranch_execz .LBB19_1210
.LBB19_3260:
	v_mov_b32_e32 v2, 0
	v_cmp_ne_u16_sdwa s[8:9], v7, v2 src0_sel:BYTE_3 src1_sel:DWORD
	s_andn2_b64 s[4:5], s[4:5], exec
	s_and_b64 s[8:9], s[8:9], exec
	s_or_b64 s[4:5], s[4:5], s[8:9]
	s_or_b64 exec, exec, s[6:7]
	s_and_saveexec_b64 s[6:7], s[4:5]
	s_cbranch_execnz .LBB19_1211
	s_branch .LBB19_1212
.LBB19_3261:
	s_movk_i32 s4, 0x80
	v_cmp_eq_u16_sdwa s[12:13], v3, s4 src0_sel:BYTE_3 src1_sel:DWORD
	s_mov_b64 s[4:5], -1
                                        ; implicit-def: $sgpr10
	s_and_saveexec_b64 s[8:9], s[12:13]
; %bb.3262:
	s_mov_b32 s10, 0x7f800001
	s_xor_b64 s[4:5], exec, -1
; %bb.3263:
	s_or_b64 exec, exec, s[8:9]
	s_and_b64 s[4:5], s[4:5], exec
	s_or_saveexec_b64 s[6:7], s[6:7]
	v_mov_b32_e32 v6, s10
	s_xor_b64 exec, exec, s[6:7]
	s_cbranch_execz .LBB19_1214
.LBB19_3264:
	v_mov_b32_e32 v6, 0
	v_cmp_ne_u16_sdwa s[8:9], v3, v6 src0_sel:BYTE_3 src1_sel:DWORD
	s_andn2_b64 s[4:5], s[4:5], exec
	s_and_b64 s[8:9], s[8:9], exec
	s_or_b64 s[4:5], s[4:5], s[8:9]
	s_or_b64 exec, exec, s[6:7]
	s_and_saveexec_b64 s[6:7], s[4:5]
	s_cbranch_execnz .LBB19_1215
	s_branch .LBB19_1216
.LBB19_3265:
	s_movk_i32 s4, 0x80
	v_cmp_eq_u16_sdwa s[12:13], v8, s4 src0_sel:BYTE_0 src1_sel:DWORD
	s_mov_b64 s[4:5], -1
                                        ; implicit-def: $sgpr10
	s_and_saveexec_b64 s[8:9], s[12:13]
; %bb.3266:
	s_mov_b32 s10, 0x7f800001
	s_xor_b64 s[4:5], exec, -1
; %bb.3267:
	s_or_b64 exec, exec, s[8:9]
	s_and_b64 s[4:5], s[4:5], exec
	s_or_saveexec_b64 s[6:7], s[6:7]
	v_mov_b32_e32 v2, s10
	s_xor_b64 exec, exec, s[6:7]
	s_cbranch_execz .LBB19_1218
.LBB19_3268:
	v_mov_b32_e32 v2, 0
	v_cmp_ne_u16_sdwa s[8:9], v8, v2 src0_sel:BYTE_0 src1_sel:DWORD
	s_andn2_b64 s[4:5], s[4:5], exec
	s_and_b64 s[8:9], s[8:9], exec
	s_or_b64 s[4:5], s[4:5], s[8:9]
	s_or_b64 exec, exec, s[6:7]
	s_and_saveexec_b64 s[6:7], s[4:5]
	s_cbranch_execnz .LBB19_1219
	s_branch .LBB19_1220
.LBB19_3269:
	s_movk_i32 s4, 0x80
	v_cmp_eq_u16_sdwa s[12:13], v4, s4 src0_sel:BYTE_0 src1_sel:DWORD
	s_mov_b64 s[4:5], -1
                                        ; implicit-def: $sgpr10
	s_and_saveexec_b64 s[8:9], s[12:13]
; %bb.3270:
	s_mov_b32 s10, 0x7f800001
	s_xor_b64 s[4:5], exec, -1
; %bb.3271:
	s_or_b64 exec, exec, s[8:9]
	s_and_b64 s[4:5], s[4:5], exec
	s_or_saveexec_b64 s[6:7], s[6:7]
	v_mov_b32_e32 v3, s10
	s_xor_b64 exec, exec, s[6:7]
	s_cbranch_execz .LBB19_1222
.LBB19_3272:
	v_mov_b32_e32 v3, 0
	v_cmp_ne_u16_sdwa s[8:9], v4, v3 src0_sel:BYTE_0 src1_sel:DWORD
	s_andn2_b64 s[4:5], s[4:5], exec
	s_and_b64 s[8:9], s[8:9], exec
	s_or_b64 s[4:5], s[4:5], s[8:9]
	s_or_b64 exec, exec, s[6:7]
	s_and_saveexec_b64 s[6:7], s[4:5]
	s_cbranch_execnz .LBB19_1223
	s_branch .LBB19_1224
.LBB19_3273:
	s_movk_i32 s4, 0x80
	v_cmp_eq_u16_sdwa s[12:13], v3, s4 src0_sel:BYTE_0 src1_sel:DWORD
	s_mov_b64 s[4:5], -1
                                        ; implicit-def: $sgpr10
	s_and_saveexec_b64 s[8:9], s[12:13]
; %bb.3274:
	s_mov_b32 s10, 0x7f800001
	s_xor_b64 s[4:5], exec, -1
; %bb.3275:
	s_or_b64 exec, exec, s[8:9]
	s_and_b64 s[4:5], s[4:5], exec
	s_or_saveexec_b64 s[6:7], s[6:7]
	v_mov_b32_e32 v2, s10
	s_xor_b64 exec, exec, s[6:7]
	s_cbranch_execz .LBB19_1226
.LBB19_3276:
	v_mov_b32_e32 v2, 0
	v_cmp_ne_u16_sdwa s[8:9], v3, v2 src0_sel:BYTE_0 src1_sel:DWORD
	s_andn2_b64 s[4:5], s[4:5], exec
	s_and_b64 s[8:9], s[8:9], exec
	s_or_b64 s[4:5], s[4:5], s[8:9]
	s_or_b64 exec, exec, s[6:7]
	s_and_saveexec_b64 s[6:7], s[4:5]
	s_cbranch_execnz .LBB19_1227
	s_branch .LBB19_1228
.LBB19_3277:
	s_movk_i32 s4, 0x80
	v_cmp_eq_u16_sdwa s[12:13], v3, s4 src0_sel:BYTE_0 src1_sel:DWORD
	s_mov_b64 s[4:5], -1
                                        ; implicit-def: $sgpr10
	s_and_saveexec_b64 s[8:9], s[12:13]
; %bb.3278:
	s_mov_b32 s10, 0x7f800001
	s_xor_b64 s[4:5], exec, -1
; %bb.3279:
	s_or_b64 exec, exec, s[8:9]
	s_and_b64 s[4:5], s[4:5], exec
	s_or_saveexec_b64 s[6:7], s[6:7]
	v_mov_b32_e32 v6, s10
	s_xor_b64 exec, exec, s[6:7]
	s_cbranch_execz .LBB19_1230
.LBB19_3280:
	v_mov_b32_e32 v6, 0
	v_cmp_ne_u16_sdwa s[8:9], v3, v6 src0_sel:BYTE_0 src1_sel:DWORD
	s_andn2_b64 s[4:5], s[4:5], exec
	s_and_b64 s[8:9], s[8:9], exec
	s_or_b64 s[4:5], s[4:5], s[8:9]
	s_or_b64 exec, exec, s[6:7]
	s_and_saveexec_b64 s[6:7], s[4:5]
	s_cbranch_execnz .LBB19_1231
	s_branch .LBB19_1232
.LBB19_3281:
	s_movk_i32 s4, 0x80
	v_cmp_eq_u16_e32 vcc, s4, v3
	s_mov_b64 s[4:5], -1
                                        ; implicit-def: $sgpr10
	s_and_saveexec_b64 s[8:9], vcc
; %bb.3282:
	s_mov_b32 s10, 0x7f800001
	s_xor_b64 s[4:5], exec, -1
; %bb.3283:
	s_or_b64 exec, exec, s[8:9]
	s_and_b64 s[4:5], s[4:5], exec
                                        ; implicit-def: $vgpr3
	s_or_saveexec_b64 s[6:7], s[6:7]
	v_mov_b32_e32 v2, s10
	s_xor_b64 exec, exec, s[6:7]
	s_cbranch_execz .LBB19_1234
.LBB19_3284:
	v_cmp_ne_u16_e32 vcc, 0, v3
	s_andn2_b64 s[4:5], s[4:5], exec
	s_and_b64 s[8:9], vcc, exec
	v_mov_b32_e32 v2, 0
	s_or_b64 s[4:5], s[4:5], s[8:9]
	s_or_b64 exec, exec, s[6:7]
	s_and_saveexec_b64 s[6:7], s[4:5]
	s_cbranch_execnz .LBB19_1235
	s_branch .LBB19_1236
.LBB19_3285:
	s_movk_i32 s4, 0x80
	v_cmp_eq_u16_e32 vcc, s4, v3
	s_mov_b64 s[4:5], -1
                                        ; implicit-def: $sgpr10
	s_and_saveexec_b64 s[8:9], vcc
; %bb.3286:
	s_mov_b32 s10, 0x7f800001
	s_xor_b64 s[4:5], exec, -1
; %bb.3287:
	s_or_b64 exec, exec, s[8:9]
	s_and_b64 s[4:5], s[4:5], exec
                                        ; implicit-def: $vgpr3
	s_or_saveexec_b64 s[6:7], s[6:7]
	v_mov_b32_e32 v6, s10
	s_xor_b64 exec, exec, s[6:7]
	s_cbranch_execz .LBB19_1238
.LBB19_3288:
	v_cmp_ne_u16_e32 vcc, 0, v3
	s_andn2_b64 s[4:5], s[4:5], exec
	s_and_b64 s[8:9], vcc, exec
	v_mov_b32_e32 v6, 0
	s_or_b64 s[4:5], s[4:5], s[8:9]
	s_or_b64 exec, exec, s[6:7]
	s_and_saveexec_b64 s[6:7], s[4:5]
	s_cbranch_execnz .LBB19_1239
	s_branch .LBB19_1240
.LBB19_3289:
	s_movk_i32 s4, 0x80
	v_cmp_eq_u16_sdwa s[12:13], v8, s4 src0_sel:BYTE_3 src1_sel:DWORD
	s_mov_b64 s[4:5], -1
                                        ; implicit-def: $sgpr10
	s_and_saveexec_b64 s[8:9], s[12:13]
; %bb.3290:
	s_mov_b32 s10, 0x7f800001
	s_xor_b64 s[4:5], exec, -1
; %bb.3291:
	s_or_b64 exec, exec, s[8:9]
	s_and_b64 s[4:5], s[4:5], exec
	s_or_saveexec_b64 s[6:7], s[6:7]
	v_mov_b32_e32 v2, s10
	s_xor_b64 exec, exec, s[6:7]
	s_cbranch_execz .LBB19_1242
.LBB19_3292:
	v_mov_b32_e32 v2, 0
	v_cmp_ne_u16_sdwa s[8:9], v8, v2 src0_sel:BYTE_3 src1_sel:DWORD
	s_andn2_b64 s[4:5], s[4:5], exec
	s_and_b64 s[8:9], s[8:9], exec
	s_or_b64 s[4:5], s[4:5], s[8:9]
	s_or_b64 exec, exec, s[6:7]
	s_and_saveexec_b64 s[6:7], s[4:5]
	s_cbranch_execnz .LBB19_1243
	s_branch .LBB19_1244
.LBB19_3293:
	s_movk_i32 s4, 0x80
	v_cmp_eq_u16_sdwa s[12:13], v4, s4 src0_sel:BYTE_3 src1_sel:DWORD
	s_mov_b64 s[4:5], -1
                                        ; implicit-def: $sgpr10
	s_and_saveexec_b64 s[8:9], s[12:13]
; %bb.3294:
	s_mov_b32 s10, 0x7f800001
	s_xor_b64 s[4:5], exec, -1
; %bb.3295:
	s_or_b64 exec, exec, s[8:9]
	s_and_b64 s[4:5], s[4:5], exec
	s_or_saveexec_b64 s[6:7], s[6:7]
	v_mov_b32_e32 v3, s10
	s_xor_b64 exec, exec, s[6:7]
	s_cbranch_execz .LBB19_1246
.LBB19_3296:
	v_mov_b32_e32 v3, 0
	v_cmp_ne_u16_sdwa s[8:9], v4, v3 src0_sel:BYTE_3 src1_sel:DWORD
	s_andn2_b64 s[4:5], s[4:5], exec
	s_and_b64 s[8:9], s[8:9], exec
	s_or_b64 s[4:5], s[4:5], s[8:9]
	s_or_b64 exec, exec, s[6:7]
	s_and_saveexec_b64 s[6:7], s[4:5]
	s_cbranch_execnz .LBB19_1247
	s_branch .LBB19_1248
.LBB19_3297:
	s_movk_i32 s4, 0x80
	v_cmp_eq_u16_sdwa s[12:13], v9, s4 src0_sel:BYTE_0 src1_sel:DWORD
	s_mov_b64 s[4:5], -1
                                        ; implicit-def: $sgpr10
	s_and_saveexec_b64 s[8:9], s[12:13]
; %bb.3298:
	s_mov_b32 s10, 0x7f800001
	s_xor_b64 s[4:5], exec, -1
; %bb.3299:
	s_or_b64 exec, exec, s[8:9]
	s_and_b64 s[4:5], s[4:5], exec
	s_or_saveexec_b64 s[6:7], s[6:7]
	v_mov_b32_e32 v2, s10
	s_xor_b64 exec, exec, s[6:7]
	s_cbranch_execz .LBB19_1250
.LBB19_3300:
	v_mov_b32_e32 v2, 0
	v_cmp_ne_u16_sdwa s[8:9], v9, v2 src0_sel:BYTE_0 src1_sel:DWORD
	s_andn2_b64 s[4:5], s[4:5], exec
	s_and_b64 s[8:9], s[8:9], exec
	s_or_b64 s[4:5], s[4:5], s[8:9]
	s_or_b64 exec, exec, s[6:7]
	s_and_saveexec_b64 s[6:7], s[4:5]
	s_cbranch_execnz .LBB19_1251
	s_branch .LBB19_1252
.LBB19_3301:
	s_movk_i32 s4, 0x80
	v_cmp_eq_u16_sdwa s[12:13], v5, s4 src0_sel:BYTE_0 src1_sel:DWORD
	s_mov_b64 s[4:5], -1
                                        ; implicit-def: $sgpr10
	s_and_saveexec_b64 s[8:9], s[12:13]
; %bb.3302:
	s_mov_b32 s10, 0x7f800001
	s_xor_b64 s[4:5], exec, -1
; %bb.3303:
	s_or_b64 exec, exec, s[8:9]
	s_and_b64 s[4:5], s[4:5], exec
	s_or_saveexec_b64 s[6:7], s[6:7]
	v_mov_b32_e32 v3, s10
	s_xor_b64 exec, exec, s[6:7]
	s_cbranch_execz .LBB19_1254
.LBB19_3304:
	v_mov_b32_e32 v3, 0
	v_cmp_ne_u16_sdwa s[8:9], v5, v3 src0_sel:BYTE_0 src1_sel:DWORD
	s_andn2_b64 s[4:5], s[4:5], exec
	s_and_b64 s[8:9], s[8:9], exec
	s_or_b64 s[4:5], s[4:5], s[8:9]
	s_or_b64 exec, exec, s[6:7]
	s_and_saveexec_b64 s[6:7], s[4:5]
	s_cbranch_execnz .LBB19_1255
	s_branch .LBB19_1256
.LBB19_3305:
	s_movk_i32 s4, 0x80
	v_cmp_eq_u16_sdwa s[12:13], v3, s4 src0_sel:BYTE_0 src1_sel:DWORD
	s_mov_b64 s[4:5], -1
                                        ; implicit-def: $sgpr10
	s_and_saveexec_b64 s[8:9], s[12:13]
; %bb.3306:
	s_mov_b32 s10, 0x7f800001
	s_xor_b64 s[4:5], exec, -1
; %bb.3307:
	s_or_b64 exec, exec, s[8:9]
	s_and_b64 s[4:5], s[4:5], exec
	s_or_saveexec_b64 s[6:7], s[6:7]
	v_mov_b32_e32 v2, s10
	s_xor_b64 exec, exec, s[6:7]
	s_cbranch_execz .LBB19_1258
.LBB19_3308:
	v_mov_b32_e32 v2, 0
	v_cmp_ne_u16_sdwa s[8:9], v3, v2 src0_sel:BYTE_0 src1_sel:DWORD
	s_andn2_b64 s[4:5], s[4:5], exec
	s_and_b64 s[8:9], s[8:9], exec
	s_or_b64 s[4:5], s[4:5], s[8:9]
	s_or_b64 exec, exec, s[6:7]
	s_and_saveexec_b64 s[6:7], s[4:5]
	s_cbranch_execnz .LBB19_1259
	s_branch .LBB19_1260
.LBB19_3309:
	s_movk_i32 s4, 0x80
	v_cmp_eq_u16_sdwa s[12:13], v3, s4 src0_sel:BYTE_0 src1_sel:DWORD
	s_mov_b64 s[4:5], -1
                                        ; implicit-def: $sgpr10
	s_and_saveexec_b64 s[8:9], s[12:13]
; %bb.3310:
	s_mov_b32 s10, 0x7f800001
	s_xor_b64 s[4:5], exec, -1
; %bb.3311:
	s_or_b64 exec, exec, s[8:9]
	s_and_b64 s[4:5], s[4:5], exec
	s_or_saveexec_b64 s[6:7], s[6:7]
	v_mov_b32_e32 v4, s10
	s_xor_b64 exec, exec, s[6:7]
	s_cbranch_execz .LBB19_1262
.LBB19_3312:
	v_mov_b32_e32 v4, 0
	v_cmp_ne_u16_sdwa s[8:9], v3, v4 src0_sel:BYTE_0 src1_sel:DWORD
	s_andn2_b64 s[4:5], s[4:5], exec
	s_and_b64 s[8:9], s[8:9], exec
	s_or_b64 s[4:5], s[4:5], s[8:9]
	s_or_b64 exec, exec, s[6:7]
	s_and_saveexec_b64 s[6:7], s[4:5]
	s_cbranch_execnz .LBB19_1263
	s_branch .LBB19_1264
.LBB19_3313:
	s_movk_i32 s4, 0x80
	v_cmp_eq_u16_e32 vcc, s4, v3
	s_mov_b64 s[4:5], -1
                                        ; implicit-def: $sgpr10
	s_and_saveexec_b64 s[8:9], vcc
; %bb.3314:
	s_mov_b32 s10, 0x7f800001
	s_xor_b64 s[4:5], exec, -1
; %bb.3315:
	s_or_b64 exec, exec, s[8:9]
	s_and_b64 s[4:5], s[4:5], exec
                                        ; implicit-def: $vgpr3
	s_or_saveexec_b64 s[6:7], s[6:7]
	v_mov_b32_e32 v2, s10
	s_xor_b64 exec, exec, s[6:7]
	s_cbranch_execz .LBB19_1266
.LBB19_3316:
	v_cmp_ne_u16_e32 vcc, 0, v3
	s_andn2_b64 s[4:5], s[4:5], exec
	s_and_b64 s[8:9], vcc, exec
	v_mov_b32_e32 v2, 0
	s_or_b64 s[4:5], s[4:5], s[8:9]
	s_or_b64 exec, exec, s[6:7]
	s_and_saveexec_b64 s[6:7], s[4:5]
	s_cbranch_execnz .LBB19_1267
	s_branch .LBB19_1268
.LBB19_3317:
	s_movk_i32 s4, 0x80
	v_cmp_eq_u16_e32 vcc, s4, v3
	s_mov_b64 s[4:5], -1
                                        ; implicit-def: $sgpr10
	s_and_saveexec_b64 s[8:9], vcc
; %bb.3318:
	s_mov_b32 s10, 0x7f800001
	s_xor_b64 s[4:5], exec, -1
; %bb.3319:
	s_or_b64 exec, exec, s[8:9]
	s_and_b64 s[4:5], s[4:5], exec
                                        ; implicit-def: $vgpr3
	s_or_saveexec_b64 s[6:7], s[6:7]
	v_mov_b32_e32 v4, s10
	s_xor_b64 exec, exec, s[6:7]
	s_cbranch_execz .LBB19_1270
.LBB19_3320:
	v_cmp_ne_u16_e32 vcc, 0, v3
	s_andn2_b64 s[4:5], s[4:5], exec
	s_and_b64 s[8:9], vcc, exec
	v_mov_b32_e32 v4, 0
	s_or_b64 s[4:5], s[4:5], s[8:9]
	s_or_b64 exec, exec, s[6:7]
	s_and_saveexec_b64 s[6:7], s[4:5]
	s_cbranch_execnz .LBB19_1271
	s_branch .LBB19_1272
.LBB19_3321:
	s_movk_i32 s4, 0x80
	v_cmp_eq_u16_sdwa s[12:13], v9, s4 src0_sel:BYTE_3 src1_sel:DWORD
	s_mov_b64 s[4:5], -1
                                        ; implicit-def: $sgpr10
	s_and_saveexec_b64 s[8:9], s[12:13]
; %bb.3322:
	s_mov_b32 s10, 0x7f800001
	s_xor_b64 s[4:5], exec, -1
; %bb.3323:
	s_or_b64 exec, exec, s[8:9]
	s_and_b64 s[4:5], s[4:5], exec
	s_or_saveexec_b64 s[6:7], s[6:7]
	v_mov_b32_e32 v2, s10
	s_xor_b64 exec, exec, s[6:7]
	s_cbranch_execz .LBB19_1274
.LBB19_3324:
	v_mov_b32_e32 v2, 0
	v_cmp_ne_u16_sdwa s[8:9], v9, v2 src0_sel:BYTE_3 src1_sel:DWORD
	s_andn2_b64 s[4:5], s[4:5], exec
	s_and_b64 s[8:9], s[8:9], exec
	s_or_b64 s[4:5], s[4:5], s[8:9]
	s_or_b64 exec, exec, s[6:7]
	s_and_saveexec_b64 s[6:7], s[4:5]
	s_cbranch_execnz .LBB19_1275
	s_branch .LBB19_1276
.LBB19_3325:
	s_movk_i32 s4, 0x80
	v_cmp_eq_u16_sdwa s[12:13], v5, s4 src0_sel:BYTE_3 src1_sel:DWORD
	s_mov_b64 s[4:5], -1
                                        ; implicit-def: $sgpr10
	s_and_saveexec_b64 s[8:9], s[12:13]
; %bb.3326:
	s_mov_b32 s10, 0x7f800001
	s_xor_b64 s[4:5], exec, -1
; %bb.3327:
	s_or_b64 exec, exec, s[8:9]
	s_and_b64 s[4:5], s[4:5], exec
	s_or_saveexec_b64 s[6:7], s[6:7]
	v_mov_b32_e32 v3, s10
	s_xor_b64 exec, exec, s[6:7]
	s_cbranch_execz .LBB19_1278
.LBB19_3328:
	v_mov_b32_e32 v3, 0
	v_cmp_ne_u16_sdwa s[8:9], v5, v3 src0_sel:BYTE_3 src1_sel:DWORD
	s_andn2_b64 s[4:5], s[4:5], exec
	s_and_b64 s[8:9], s[8:9], exec
	s_or_b64 s[4:5], s[4:5], s[8:9]
	s_or_b64 exec, exec, s[6:7]
	s_and_saveexec_b64 s[6:7], s[4:5]
	s_cbranch_execnz .LBB19_1279
	s_branch .LBB19_1280
.LBB19_3329:
	s_movk_i32 s4, 0x80
	v_cmp_eq_u16_sdwa s[12:13], v14, s4 src0_sel:BYTE_0 src1_sel:DWORD
	s_mov_b64 s[4:5], -1
                                        ; implicit-def: $sgpr10
	s_and_saveexec_b64 s[8:9], s[12:13]
; %bb.3330:
	s_mov_b32 s10, 0x7f800001
	s_xor_b64 s[4:5], exec, -1
; %bb.3331:
	s_or_b64 exec, exec, s[8:9]
	s_and_b64 s[4:5], s[4:5], exec
	s_or_saveexec_b64 s[6:7], s[6:7]
	v_mov_b32_e32 v20, s10
	s_xor_b64 exec, exec, s[6:7]
	s_cbranch_execz .LBB19_1282
.LBB19_3332:
	v_mov_b32_e32 v20, 0
	v_cmp_ne_u16_sdwa s[8:9], v14, v20 src0_sel:BYTE_0 src1_sel:DWORD
	s_andn2_b64 s[4:5], s[4:5], exec
	s_and_b64 s[8:9], s[8:9], exec
	s_or_b64 s[4:5], s[4:5], s[8:9]
	s_or_b64 exec, exec, s[6:7]
	s_and_saveexec_b64 s[6:7], s[4:5]
	s_cbranch_execnz .LBB19_1283
	s_branch .LBB19_1284
.LBB19_3333:
	s_movk_i32 s4, 0x80
	v_cmp_eq_u16_sdwa s[12:13], v10, s4 src0_sel:BYTE_0 src1_sel:DWORD
	s_mov_b64 s[4:5], -1
                                        ; implicit-def: $sgpr10
	s_and_saveexec_b64 s[8:9], s[12:13]
; %bb.3334:
	s_mov_b32 s10, 0x7f800001
	s_xor_b64 s[4:5], exec, -1
; %bb.3335:
	s_or_b64 exec, exec, s[8:9]
	s_and_b64 s[4:5], s[4:5], exec
	s_or_saveexec_b64 s[6:7], s[6:7]
	v_mov_b32_e32 v21, s10
	s_xor_b64 exec, exec, s[6:7]
	s_cbranch_execz .LBB19_1286
.LBB19_3336:
	v_mov_b32_e32 v21, 0
	v_cmp_ne_u16_sdwa s[8:9], v10, v21 src0_sel:BYTE_0 src1_sel:DWORD
	s_andn2_b64 s[4:5], s[4:5], exec
	s_and_b64 s[8:9], s[8:9], exec
	s_or_b64 s[4:5], s[4:5], s[8:9]
	s_or_b64 exec, exec, s[6:7]
	s_and_saveexec_b64 s[6:7], s[4:5]
	s_cbranch_execnz .LBB19_1287
	s_branch .LBB19_1288
.LBB19_3337:
	s_movk_i32 s4, 0x80
	v_cmp_eq_u16_sdwa s[12:13], v21, s4 src0_sel:BYTE_0 src1_sel:DWORD
	s_mov_b64 s[4:5], -1
                                        ; implicit-def: $sgpr10
	s_and_saveexec_b64 s[8:9], s[12:13]
; %bb.3338:
	s_mov_b32 s10, 0x7f800001
	s_xor_b64 s[4:5], exec, -1
; %bb.3339:
	s_or_b64 exec, exec, s[8:9]
	s_and_b64 s[4:5], s[4:5], exec
	s_or_saveexec_b64 s[6:7], s[6:7]
	v_mov_b32_e32 v20, s10
	s_xor_b64 exec, exec, s[6:7]
	s_cbranch_execz .LBB19_1290
.LBB19_3340:
	v_mov_b32_e32 v20, 0
	v_cmp_ne_u16_sdwa s[8:9], v21, v20 src0_sel:BYTE_0 src1_sel:DWORD
	s_andn2_b64 s[4:5], s[4:5], exec
	s_and_b64 s[8:9], s[8:9], exec
	s_or_b64 s[4:5], s[4:5], s[8:9]
	s_or_b64 exec, exec, s[6:7]
	s_and_saveexec_b64 s[6:7], s[4:5]
	s_cbranch_execnz .LBB19_1291
	s_branch .LBB19_1292
.LBB19_3341:
	s_movk_i32 s4, 0x80
	v_cmp_eq_u16_sdwa s[12:13], v21, s4 src0_sel:BYTE_0 src1_sel:DWORD
	s_mov_b64 s[4:5], -1
                                        ; implicit-def: $sgpr10
	s_and_saveexec_b64 s[8:9], s[12:13]
; %bb.3342:
	s_mov_b32 s10, 0x7f800001
	s_xor_b64 s[4:5], exec, -1
; %bb.3343:
	s_or_b64 exec, exec, s[8:9]
	s_and_b64 s[4:5], s[4:5], exec
	s_or_saveexec_b64 s[6:7], s[6:7]
	v_mov_b32_e32 v22, s10
	s_xor_b64 exec, exec, s[6:7]
	s_cbranch_execz .LBB19_1294
.LBB19_3344:
	v_mov_b32_e32 v22, 0
	v_cmp_ne_u16_sdwa s[8:9], v21, v22 src0_sel:BYTE_0 src1_sel:DWORD
	s_andn2_b64 s[4:5], s[4:5], exec
	s_and_b64 s[8:9], s[8:9], exec
	s_or_b64 s[4:5], s[4:5], s[8:9]
	s_or_b64 exec, exec, s[6:7]
	s_and_saveexec_b64 s[6:7], s[4:5]
	s_cbranch_execnz .LBB19_1295
	s_branch .LBB19_1296
.LBB19_3345:
	s_movk_i32 s4, 0x80
	v_cmp_eq_u16_e32 vcc, s4, v21
	s_mov_b64 s[4:5], -1
                                        ; implicit-def: $sgpr10
	s_and_saveexec_b64 s[8:9], vcc
; %bb.3346:
	s_mov_b32 s10, 0x7f800001
	s_xor_b64 s[4:5], exec, -1
; %bb.3347:
	s_or_b64 exec, exec, s[8:9]
	s_and_b64 s[4:5], s[4:5], exec
                                        ; implicit-def: $vgpr21
	s_or_saveexec_b64 s[6:7], s[6:7]
	v_mov_b32_e32 v20, s10
	s_xor_b64 exec, exec, s[6:7]
	s_cbranch_execz .LBB19_1298
.LBB19_3348:
	v_cmp_ne_u16_e32 vcc, 0, v21
	s_andn2_b64 s[4:5], s[4:5], exec
	s_and_b64 s[8:9], vcc, exec
	v_mov_b32_e32 v20, 0
	s_or_b64 s[4:5], s[4:5], s[8:9]
	s_or_b64 exec, exec, s[6:7]
	s_and_saveexec_b64 s[6:7], s[4:5]
	s_cbranch_execnz .LBB19_1299
	s_branch .LBB19_1300
.LBB19_3349:
	s_movk_i32 s4, 0x80
	v_cmp_eq_u16_e32 vcc, s4, v21
	s_mov_b64 s[4:5], -1
                                        ; implicit-def: $sgpr10
	s_and_saveexec_b64 s[8:9], vcc
; %bb.3350:
	s_mov_b32 s10, 0x7f800001
	s_xor_b64 s[4:5], exec, -1
; %bb.3351:
	s_or_b64 exec, exec, s[8:9]
	s_and_b64 s[4:5], s[4:5], exec
                                        ; implicit-def: $vgpr21
	s_or_saveexec_b64 s[6:7], s[6:7]
	v_mov_b32_e32 v22, s10
	s_xor_b64 exec, exec, s[6:7]
	s_cbranch_execz .LBB19_1302
.LBB19_3352:
	v_cmp_ne_u16_e32 vcc, 0, v21
	s_andn2_b64 s[4:5], s[4:5], exec
	s_and_b64 s[8:9], vcc, exec
	v_mov_b32_e32 v22, 0
	s_or_b64 s[4:5], s[4:5], s[8:9]
	s_or_b64 exec, exec, s[6:7]
	s_and_saveexec_b64 s[6:7], s[4:5]
	s_cbranch_execnz .LBB19_1303
	s_branch .LBB19_1304
.LBB19_3353:
	s_movk_i32 s4, 0x80
	v_cmp_eq_u16_sdwa s[12:13], v14, s4 src0_sel:BYTE_3 src1_sel:DWORD
	s_mov_b64 s[4:5], -1
                                        ; implicit-def: $sgpr10
	s_and_saveexec_b64 s[8:9], s[12:13]
; %bb.3354:
	s_mov_b32 s10, 0x7f800001
	s_xor_b64 s[4:5], exec, -1
; %bb.3355:
	s_or_b64 exec, exec, s[8:9]
	s_and_b64 s[4:5], s[4:5], exec
	s_or_saveexec_b64 s[6:7], s[6:7]
	v_mov_b32_e32 v20, s10
	s_xor_b64 exec, exec, s[6:7]
	s_cbranch_execz .LBB19_1306
.LBB19_3356:
	v_mov_b32_e32 v20, 0
	v_cmp_ne_u16_sdwa s[8:9], v14, v20 src0_sel:BYTE_3 src1_sel:DWORD
	s_andn2_b64 s[4:5], s[4:5], exec
	s_and_b64 s[8:9], s[8:9], exec
	s_or_b64 s[4:5], s[4:5], s[8:9]
	s_or_b64 exec, exec, s[6:7]
	s_and_saveexec_b64 s[6:7], s[4:5]
	s_cbranch_execnz .LBB19_1307
	s_branch .LBB19_1308
.LBB19_3357:
	s_movk_i32 s4, 0x80
	v_cmp_eq_u16_sdwa s[12:13], v10, s4 src0_sel:BYTE_3 src1_sel:DWORD
	s_mov_b64 s[4:5], -1
                                        ; implicit-def: $sgpr10
	s_and_saveexec_b64 s[8:9], s[12:13]
; %bb.3358:
	s_mov_b32 s10, 0x7f800001
	s_xor_b64 s[4:5], exec, -1
; %bb.3359:
	s_or_b64 exec, exec, s[8:9]
	s_and_b64 s[4:5], s[4:5], exec
	s_or_saveexec_b64 s[6:7], s[6:7]
	v_mov_b32_e32 v14, s10
	s_xor_b64 exec, exec, s[6:7]
	s_cbranch_execz .LBB19_1310
.LBB19_3360:
	v_mov_b32_e32 v14, 0
	v_cmp_ne_u16_sdwa s[8:9], v10, v14 src0_sel:BYTE_3 src1_sel:DWORD
	s_andn2_b64 s[4:5], s[4:5], exec
	s_and_b64 s[8:9], s[8:9], exec
	s_or_b64 s[4:5], s[4:5], s[8:9]
	s_or_b64 exec, exec, s[6:7]
	s_and_saveexec_b64 s[6:7], s[4:5]
	s_cbranch_execnz .LBB19_1311
	s_branch .LBB19_1312
.LBB19_3361:
	s_movk_i32 s4, 0x80
	v_cmp_eq_u16_sdwa s[12:13], v15, s4 src0_sel:BYTE_0 src1_sel:DWORD
	s_mov_b64 s[4:5], -1
                                        ; implicit-def: $sgpr10
	s_and_saveexec_b64 s[8:9], s[12:13]
; %bb.3362:
	s_mov_b32 s10, 0x7f800001
	s_xor_b64 s[4:5], exec, -1
; %bb.3363:
	s_or_b64 exec, exec, s[8:9]
	s_and_b64 s[4:5], s[4:5], exec
	s_or_saveexec_b64 s[6:7], s[6:7]
	v_mov_b32_e32 v10, s10
	s_xor_b64 exec, exec, s[6:7]
	s_cbranch_execz .LBB19_1314
.LBB19_3364:
	v_mov_b32_e32 v10, 0
	v_cmp_ne_u16_sdwa s[8:9], v15, v10 src0_sel:BYTE_0 src1_sel:DWORD
	s_andn2_b64 s[4:5], s[4:5], exec
	s_and_b64 s[8:9], s[8:9], exec
	s_or_b64 s[4:5], s[4:5], s[8:9]
	s_or_b64 exec, exec, s[6:7]
	s_and_saveexec_b64 s[6:7], s[4:5]
	s_cbranch_execnz .LBB19_1315
	s_branch .LBB19_1316
.LBB19_3365:
	s_movk_i32 s4, 0x80
	v_cmp_eq_u16_sdwa s[12:13], v11, s4 src0_sel:BYTE_0 src1_sel:DWORD
	s_mov_b64 s[4:5], -1
                                        ; implicit-def: $sgpr10
	s_and_saveexec_b64 s[8:9], s[12:13]
; %bb.3366:
	s_mov_b32 s10, 0x7f800001
	s_xor_b64 s[4:5], exec, -1
; %bb.3367:
	s_or_b64 exec, exec, s[8:9]
	s_and_b64 s[4:5], s[4:5], exec
	s_or_saveexec_b64 s[6:7], s[6:7]
	v_mov_b32_e32 v14, s10
	s_xor_b64 exec, exec, s[6:7]
	s_cbranch_execz .LBB19_1318
.LBB19_3368:
	v_mov_b32_e32 v14, 0
	v_cmp_ne_u16_sdwa s[8:9], v11, v14 src0_sel:BYTE_0 src1_sel:DWORD
	s_andn2_b64 s[4:5], s[4:5], exec
	s_and_b64 s[8:9], s[8:9], exec
	s_or_b64 s[4:5], s[4:5], s[8:9]
	s_or_b64 exec, exec, s[6:7]
	s_and_saveexec_b64 s[6:7], s[4:5]
	s_cbranch_execnz .LBB19_1319
	s_branch .LBB19_1320
.LBB19_3369:
	s_movk_i32 s4, 0x80
	v_cmp_eq_u16_sdwa s[12:13], v14, s4 src0_sel:BYTE_0 src1_sel:DWORD
	s_mov_b64 s[4:5], -1
                                        ; implicit-def: $sgpr10
	s_and_saveexec_b64 s[8:9], s[12:13]
; %bb.3370:
	s_mov_b32 s10, 0x7f800001
	s_xor_b64 s[4:5], exec, -1
; %bb.3371:
	s_or_b64 exec, exec, s[8:9]
	s_and_b64 s[4:5], s[4:5], exec
	s_or_saveexec_b64 s[6:7], s[6:7]
	v_mov_b32_e32 v10, s10
	s_xor_b64 exec, exec, s[6:7]
	s_cbranch_execz .LBB19_1322
.LBB19_3372:
	v_mov_b32_e32 v10, 0
	v_cmp_ne_u16_sdwa s[8:9], v14, v10 src0_sel:BYTE_0 src1_sel:DWORD
	s_andn2_b64 s[4:5], s[4:5], exec
	s_and_b64 s[8:9], s[8:9], exec
	s_or_b64 s[4:5], s[4:5], s[8:9]
	s_or_b64 exec, exec, s[6:7]
	s_and_saveexec_b64 s[6:7], s[4:5]
	s_cbranch_execnz .LBB19_1323
	s_branch .LBB19_1324
.LBB19_3373:
	s_movk_i32 s4, 0x80
	v_cmp_eq_u16_sdwa s[12:13], v14, s4 src0_sel:BYTE_0 src1_sel:DWORD
	s_mov_b64 s[4:5], -1
                                        ; implicit-def: $sgpr10
	s_and_saveexec_b64 s[8:9], s[12:13]
; %bb.3374:
	s_mov_b32 s10, 0x7f800001
	s_xor_b64 s[4:5], exec, -1
; %bb.3375:
	s_or_b64 exec, exec, s[8:9]
	s_and_b64 s[4:5], s[4:5], exec
	s_or_saveexec_b64 s[6:7], s[6:7]
	v_mov_b32_e32 v20, s10
	s_xor_b64 exec, exec, s[6:7]
	s_cbranch_execz .LBB19_1326
.LBB19_3376:
	v_mov_b32_e32 v20, 0
	v_cmp_ne_u16_sdwa s[8:9], v14, v20 src0_sel:BYTE_0 src1_sel:DWORD
	s_andn2_b64 s[4:5], s[4:5], exec
	s_and_b64 s[8:9], s[8:9], exec
	s_or_b64 s[4:5], s[4:5], s[8:9]
	s_or_b64 exec, exec, s[6:7]
	s_and_saveexec_b64 s[6:7], s[4:5]
	s_cbranch_execnz .LBB19_1327
	s_branch .LBB19_1328
.LBB19_3377:
	s_movk_i32 s4, 0x80
	v_cmp_eq_u16_e32 vcc, s4, v14
	s_mov_b64 s[4:5], -1
                                        ; implicit-def: $sgpr10
	s_and_saveexec_b64 s[8:9], vcc
; %bb.3378:
	s_mov_b32 s10, 0x7f800001
	s_xor_b64 s[4:5], exec, -1
; %bb.3379:
	s_or_b64 exec, exec, s[8:9]
	s_and_b64 s[4:5], s[4:5], exec
                                        ; implicit-def: $vgpr14
	s_or_saveexec_b64 s[6:7], s[6:7]
	v_mov_b32_e32 v10, s10
	s_xor_b64 exec, exec, s[6:7]
	s_cbranch_execz .LBB19_1330
.LBB19_3380:
	v_cmp_ne_u16_e32 vcc, 0, v14
	s_andn2_b64 s[4:5], s[4:5], exec
	s_and_b64 s[8:9], vcc, exec
	v_mov_b32_e32 v10, 0
	s_or_b64 s[4:5], s[4:5], s[8:9]
	s_or_b64 exec, exec, s[6:7]
	s_and_saveexec_b64 s[6:7], s[4:5]
	s_cbranch_execnz .LBB19_1331
	s_branch .LBB19_1332
.LBB19_3381:
	s_movk_i32 s4, 0x80
	v_cmp_eq_u16_e32 vcc, s4, v14
	s_mov_b64 s[4:5], -1
                                        ; implicit-def: $sgpr10
	s_and_saveexec_b64 s[8:9], vcc
; %bb.3382:
	s_mov_b32 s10, 0x7f800001
	s_xor_b64 s[4:5], exec, -1
; %bb.3383:
	s_or_b64 exec, exec, s[8:9]
	s_and_b64 s[4:5], s[4:5], exec
                                        ; implicit-def: $vgpr14
	s_or_saveexec_b64 s[6:7], s[6:7]
	v_mov_b32_e32 v20, s10
	s_xor_b64 exec, exec, s[6:7]
	s_cbranch_execz .LBB19_1334
.LBB19_3384:
	v_cmp_ne_u16_e32 vcc, 0, v14
	s_andn2_b64 s[4:5], s[4:5], exec
	s_and_b64 s[8:9], vcc, exec
	v_mov_b32_e32 v20, 0
	s_or_b64 s[4:5], s[4:5], s[8:9]
	s_or_b64 exec, exec, s[6:7]
	s_and_saveexec_b64 s[6:7], s[4:5]
	s_cbranch_execnz .LBB19_1335
	s_branch .LBB19_1336
.LBB19_3385:
	s_movk_i32 s4, 0x80
	v_cmp_eq_u16_sdwa s[12:13], v15, s4 src0_sel:BYTE_3 src1_sel:DWORD
	s_mov_b64 s[4:5], -1
                                        ; implicit-def: $sgpr10
	s_and_saveexec_b64 s[8:9], s[12:13]
; %bb.3386:
	s_mov_b32 s10, 0x7f800001
	s_xor_b64 s[4:5], exec, -1
; %bb.3387:
	s_or_b64 exec, exec, s[8:9]
	s_and_b64 s[4:5], s[4:5], exec
	s_or_saveexec_b64 s[6:7], s[6:7]
	v_mov_b32_e32 v10, s10
	s_xor_b64 exec, exec, s[6:7]
	s_cbranch_execz .LBB19_1338
.LBB19_3388:
	v_mov_b32_e32 v10, 0
	v_cmp_ne_u16_sdwa s[8:9], v15, v10 src0_sel:BYTE_3 src1_sel:DWORD
	s_andn2_b64 s[4:5], s[4:5], exec
	s_and_b64 s[8:9], s[8:9], exec
	s_or_b64 s[4:5], s[4:5], s[8:9]
	s_or_b64 exec, exec, s[6:7]
	s_and_saveexec_b64 s[6:7], s[4:5]
	s_cbranch_execnz .LBB19_1339
	s_branch .LBB19_1340
.LBB19_3389:
	s_movk_i32 s4, 0x80
	v_cmp_eq_u16_sdwa s[12:13], v11, s4 src0_sel:BYTE_3 src1_sel:DWORD
	s_mov_b64 s[4:5], -1
                                        ; implicit-def: $sgpr10
	s_and_saveexec_b64 s[8:9], s[12:13]
; %bb.3390:
	s_mov_b32 s10, 0x7f800001
	s_xor_b64 s[4:5], exec, -1
; %bb.3391:
	s_or_b64 exec, exec, s[8:9]
	s_and_b64 s[4:5], s[4:5], exec
	s_or_saveexec_b64 s[6:7], s[6:7]
	v_mov_b32_e32 v14, s10
	s_xor_b64 exec, exec, s[6:7]
	s_cbranch_execz .LBB19_1342
.LBB19_3392:
	v_mov_b32_e32 v14, 0
	v_cmp_ne_u16_sdwa s[8:9], v11, v14 src0_sel:BYTE_3 src1_sel:DWORD
	s_andn2_b64 s[4:5], s[4:5], exec
	s_and_b64 s[8:9], s[8:9], exec
	s_or_b64 s[4:5], s[4:5], s[8:9]
	s_or_b64 exec, exec, s[6:7]
	s_and_saveexec_b64 s[6:7], s[4:5]
	s_cbranch_execnz .LBB19_1343
	s_branch .LBB19_1344
.LBB19_3393:
	s_movk_i32 s4, 0x80
	v_cmp_eq_u16_sdwa s[12:13], v16, s4 src0_sel:BYTE_0 src1_sel:DWORD
	s_mov_b64 s[4:5], -1
                                        ; implicit-def: $sgpr10
	s_and_saveexec_b64 s[8:9], s[12:13]
; %bb.3394:
	s_mov_b32 s10, 0x7f800001
	s_xor_b64 s[4:5], exec, -1
; %bb.3395:
	s_or_b64 exec, exec, s[8:9]
	s_and_b64 s[4:5], s[4:5], exec
	s_or_saveexec_b64 s[6:7], s[6:7]
	v_mov_b32_e32 v10, s10
	s_xor_b64 exec, exec, s[6:7]
	s_cbranch_execz .LBB19_1346
.LBB19_3396:
	v_mov_b32_e32 v10, 0
	v_cmp_ne_u16_sdwa s[8:9], v16, v10 src0_sel:BYTE_0 src1_sel:DWORD
	s_andn2_b64 s[4:5], s[4:5], exec
	s_and_b64 s[8:9], s[8:9], exec
	s_or_b64 s[4:5], s[4:5], s[8:9]
	s_or_b64 exec, exec, s[6:7]
	s_and_saveexec_b64 s[6:7], s[4:5]
	s_cbranch_execnz .LBB19_1347
	s_branch .LBB19_1348
.LBB19_3397:
	s_movk_i32 s4, 0x80
	v_cmp_eq_u16_sdwa s[12:13], v12, s4 src0_sel:BYTE_0 src1_sel:DWORD
	s_mov_b64 s[4:5], -1
                                        ; implicit-def: $sgpr10
	s_and_saveexec_b64 s[8:9], s[12:13]
; %bb.3398:
	s_mov_b32 s10, 0x7f800001
	s_xor_b64 s[4:5], exec, -1
; %bb.3399:
	s_or_b64 exec, exec, s[8:9]
	s_and_b64 s[4:5], s[4:5], exec
	s_or_saveexec_b64 s[6:7], s[6:7]
	v_mov_b32_e32 v11, s10
	s_xor_b64 exec, exec, s[6:7]
	s_cbranch_execz .LBB19_1350
.LBB19_3400:
	v_mov_b32_e32 v11, 0
	v_cmp_ne_u16_sdwa s[8:9], v12, v11 src0_sel:BYTE_0 src1_sel:DWORD
	s_andn2_b64 s[4:5], s[4:5], exec
	s_and_b64 s[8:9], s[8:9], exec
	s_or_b64 s[4:5], s[4:5], s[8:9]
	s_or_b64 exec, exec, s[6:7]
	s_and_saveexec_b64 s[6:7], s[4:5]
	s_cbranch_execnz .LBB19_1351
	s_branch .LBB19_1352
.LBB19_3401:
	s_movk_i32 s4, 0x80
	v_cmp_eq_u16_sdwa s[12:13], v11, s4 src0_sel:BYTE_0 src1_sel:DWORD
	s_mov_b64 s[4:5], -1
                                        ; implicit-def: $sgpr10
	s_and_saveexec_b64 s[8:9], s[12:13]
; %bb.3402:
	s_mov_b32 s10, 0x7f800001
	s_xor_b64 s[4:5], exec, -1
; %bb.3403:
	s_or_b64 exec, exec, s[8:9]
	s_and_b64 s[4:5], s[4:5], exec
	s_or_saveexec_b64 s[6:7], s[6:7]
	v_mov_b32_e32 v10, s10
	s_xor_b64 exec, exec, s[6:7]
	s_cbranch_execz .LBB19_1354
.LBB19_3404:
	v_mov_b32_e32 v10, 0
	v_cmp_ne_u16_sdwa s[8:9], v11, v10 src0_sel:BYTE_0 src1_sel:DWORD
	s_andn2_b64 s[4:5], s[4:5], exec
	s_and_b64 s[8:9], s[8:9], exec
	s_or_b64 s[4:5], s[4:5], s[8:9]
	s_or_b64 exec, exec, s[6:7]
	s_and_saveexec_b64 s[6:7], s[4:5]
	s_cbranch_execnz .LBB19_1355
	s_branch .LBB19_1356
.LBB19_3405:
	s_movk_i32 s4, 0x80
	v_cmp_eq_u16_sdwa s[12:13], v11, s4 src0_sel:BYTE_0 src1_sel:DWORD
	s_mov_b64 s[4:5], -1
                                        ; implicit-def: $sgpr10
	s_and_saveexec_b64 s[8:9], s[12:13]
; %bb.3406:
	s_mov_b32 s10, 0x7f800001
	s_xor_b64 s[4:5], exec, -1
; %bb.3407:
	s_or_b64 exec, exec, s[8:9]
	s_and_b64 s[4:5], s[4:5], exec
	s_or_saveexec_b64 s[6:7], s[6:7]
	v_mov_b32_e32 v14, s10
	s_xor_b64 exec, exec, s[6:7]
	s_cbranch_execz .LBB19_1358
.LBB19_3408:
	v_mov_b32_e32 v14, 0
	v_cmp_ne_u16_sdwa s[8:9], v11, v14 src0_sel:BYTE_0 src1_sel:DWORD
	s_andn2_b64 s[4:5], s[4:5], exec
	s_and_b64 s[8:9], s[8:9], exec
	s_or_b64 s[4:5], s[4:5], s[8:9]
	s_or_b64 exec, exec, s[6:7]
	s_and_saveexec_b64 s[6:7], s[4:5]
	s_cbranch_execnz .LBB19_1359
	s_branch .LBB19_1360
.LBB19_3409:
	s_movk_i32 s4, 0x80
	v_cmp_eq_u16_e32 vcc, s4, v11
	s_mov_b64 s[4:5], -1
                                        ; implicit-def: $sgpr10
	s_and_saveexec_b64 s[8:9], vcc
; %bb.3410:
	s_mov_b32 s10, 0x7f800001
	s_xor_b64 s[4:5], exec, -1
; %bb.3411:
	s_or_b64 exec, exec, s[8:9]
	s_and_b64 s[4:5], s[4:5], exec
                                        ; implicit-def: $vgpr11
	s_or_saveexec_b64 s[6:7], s[6:7]
	v_mov_b32_e32 v10, s10
	s_xor_b64 exec, exec, s[6:7]
	s_cbranch_execz .LBB19_1362
.LBB19_3412:
	v_cmp_ne_u16_e32 vcc, 0, v11
	s_andn2_b64 s[4:5], s[4:5], exec
	s_and_b64 s[8:9], vcc, exec
	v_mov_b32_e32 v10, 0
	s_or_b64 s[4:5], s[4:5], s[8:9]
	s_or_b64 exec, exec, s[6:7]
	s_and_saveexec_b64 s[6:7], s[4:5]
	s_cbranch_execnz .LBB19_1363
	s_branch .LBB19_1364
.LBB19_3413:
	s_movk_i32 s4, 0x80
	v_cmp_eq_u16_e32 vcc, s4, v11
	s_mov_b64 s[4:5], -1
                                        ; implicit-def: $sgpr10
	s_and_saveexec_b64 s[8:9], vcc
; %bb.3414:
	s_mov_b32 s10, 0x7f800001
	s_xor_b64 s[4:5], exec, -1
; %bb.3415:
	s_or_b64 exec, exec, s[8:9]
	s_and_b64 s[4:5], s[4:5], exec
                                        ; implicit-def: $vgpr11
	s_or_saveexec_b64 s[6:7], s[6:7]
	v_mov_b32_e32 v14, s10
	s_xor_b64 exec, exec, s[6:7]
	s_cbranch_execz .LBB19_1366
.LBB19_3416:
	v_cmp_ne_u16_e32 vcc, 0, v11
	s_andn2_b64 s[4:5], s[4:5], exec
	s_and_b64 s[8:9], vcc, exec
	v_mov_b32_e32 v14, 0
	s_or_b64 s[4:5], s[4:5], s[8:9]
	s_or_b64 exec, exec, s[6:7]
	s_and_saveexec_b64 s[6:7], s[4:5]
	s_cbranch_execnz .LBB19_1367
	s_branch .LBB19_1368
.LBB19_3417:
	s_movk_i32 s4, 0x80
	v_cmp_eq_u16_sdwa s[12:13], v16, s4 src0_sel:BYTE_3 src1_sel:DWORD
	s_mov_b64 s[4:5], -1
                                        ; implicit-def: $sgpr10
	s_and_saveexec_b64 s[8:9], s[12:13]
; %bb.3418:
	s_mov_b32 s10, 0x7f800001
	s_xor_b64 s[4:5], exec, -1
; %bb.3419:
	s_or_b64 exec, exec, s[8:9]
	s_and_b64 s[4:5], s[4:5], exec
	s_or_saveexec_b64 s[6:7], s[6:7]
	v_mov_b32_e32 v10, s10
	s_xor_b64 exec, exec, s[6:7]
	s_cbranch_execz .LBB19_1370
.LBB19_3420:
	v_mov_b32_e32 v10, 0
	v_cmp_ne_u16_sdwa s[8:9], v16, v10 src0_sel:BYTE_3 src1_sel:DWORD
	s_andn2_b64 s[4:5], s[4:5], exec
	s_and_b64 s[8:9], s[8:9], exec
	s_or_b64 s[4:5], s[4:5], s[8:9]
	s_or_b64 exec, exec, s[6:7]
	s_and_saveexec_b64 s[6:7], s[4:5]
	s_cbranch_execnz .LBB19_1371
	s_branch .LBB19_1372
.LBB19_3421:
	s_movk_i32 s4, 0x80
	v_cmp_eq_u16_sdwa s[12:13], v12, s4 src0_sel:BYTE_3 src1_sel:DWORD
	s_mov_b64 s[4:5], -1
                                        ; implicit-def: $sgpr10
	s_and_saveexec_b64 s[8:9], s[12:13]
; %bb.3422:
	s_mov_b32 s10, 0x7f800001
	s_xor_b64 s[4:5], exec, -1
; %bb.3423:
	s_or_b64 exec, exec, s[8:9]
	s_and_b64 s[4:5], s[4:5], exec
	s_or_saveexec_b64 s[6:7], s[6:7]
	v_mov_b32_e32 v11, s10
	s_xor_b64 exec, exec, s[6:7]
	s_cbranch_execz .LBB19_1374
.LBB19_3424:
	v_mov_b32_e32 v11, 0
	v_cmp_ne_u16_sdwa s[8:9], v12, v11 src0_sel:BYTE_3 src1_sel:DWORD
	s_andn2_b64 s[4:5], s[4:5], exec
	s_and_b64 s[8:9], s[8:9], exec
	s_or_b64 s[4:5], s[4:5], s[8:9]
	s_or_b64 exec, exec, s[6:7]
	s_and_saveexec_b64 s[6:7], s[4:5]
	s_cbranch_execnz .LBB19_1375
	s_branch .LBB19_1376
.LBB19_3425:
	s_movk_i32 s4, 0x80
	v_cmp_eq_u16_sdwa s[12:13], v17, s4 src0_sel:BYTE_0 src1_sel:DWORD
	s_mov_b64 s[4:5], -1
                                        ; implicit-def: $sgpr10
	s_and_saveexec_b64 s[8:9], s[12:13]
; %bb.3426:
	s_mov_b32 s10, 0x7f800001
	s_xor_b64 s[4:5], exec, -1
; %bb.3427:
	s_or_b64 exec, exec, s[8:9]
	s_and_b64 s[4:5], s[4:5], exec
	s_or_saveexec_b64 s[6:7], s[6:7]
	v_mov_b32_e32 v10, s10
	s_xor_b64 exec, exec, s[6:7]
	s_cbranch_execz .LBB19_1378
.LBB19_3428:
	v_mov_b32_e32 v10, 0
	v_cmp_ne_u16_sdwa s[8:9], v17, v10 src0_sel:BYTE_0 src1_sel:DWORD
	s_andn2_b64 s[4:5], s[4:5], exec
	s_and_b64 s[8:9], s[8:9], exec
	s_or_b64 s[4:5], s[4:5], s[8:9]
	s_or_b64 exec, exec, s[6:7]
	s_and_saveexec_b64 s[6:7], s[4:5]
	s_cbranch_execnz .LBB19_1379
	s_branch .LBB19_1380
.LBB19_3429:
	s_movk_i32 s4, 0x80
	v_cmp_eq_u16_sdwa s[12:13], v13, s4 src0_sel:BYTE_0 src1_sel:DWORD
	s_mov_b64 s[4:5], -1
                                        ; implicit-def: $sgpr10
	s_and_saveexec_b64 s[8:9], s[12:13]
; %bb.3430:
	s_mov_b32 s10, 0x7f800001
	s_xor_b64 s[4:5], exec, -1
; %bb.3431:
	s_or_b64 exec, exec, s[8:9]
	s_and_b64 s[4:5], s[4:5], exec
	s_or_saveexec_b64 s[6:7], s[6:7]
	v_mov_b32_e32 v11, s10
	s_xor_b64 exec, exec, s[6:7]
	s_cbranch_execz .LBB19_1382
.LBB19_3432:
	v_mov_b32_e32 v11, 0
	v_cmp_ne_u16_sdwa s[8:9], v13, v11 src0_sel:BYTE_0 src1_sel:DWORD
	s_andn2_b64 s[4:5], s[4:5], exec
	s_and_b64 s[8:9], s[8:9], exec
	s_or_b64 s[4:5], s[4:5], s[8:9]
	s_or_b64 exec, exec, s[6:7]
	s_and_saveexec_b64 s[6:7], s[4:5]
	s_cbranch_execnz .LBB19_1383
	s_branch .LBB19_1384
.LBB19_3433:
	s_movk_i32 s4, 0x80
	v_cmp_eq_u16_sdwa s[12:13], v11, s4 src0_sel:BYTE_0 src1_sel:DWORD
	s_mov_b64 s[4:5], -1
                                        ; implicit-def: $sgpr10
	s_and_saveexec_b64 s[8:9], s[12:13]
; %bb.3434:
	s_mov_b32 s10, 0x7f800001
	s_xor_b64 s[4:5], exec, -1
; %bb.3435:
	s_or_b64 exec, exec, s[8:9]
	s_and_b64 s[4:5], s[4:5], exec
	s_or_saveexec_b64 s[6:7], s[6:7]
	v_mov_b32_e32 v10, s10
	s_xor_b64 exec, exec, s[6:7]
	s_cbranch_execz .LBB19_1386
.LBB19_3436:
	v_mov_b32_e32 v10, 0
	v_cmp_ne_u16_sdwa s[8:9], v11, v10 src0_sel:BYTE_0 src1_sel:DWORD
	s_andn2_b64 s[4:5], s[4:5], exec
	s_and_b64 s[8:9], s[8:9], exec
	s_or_b64 s[4:5], s[4:5], s[8:9]
	s_or_b64 exec, exec, s[6:7]
	s_and_saveexec_b64 s[6:7], s[4:5]
	s_cbranch_execnz .LBB19_1387
	s_branch .LBB19_1388
.LBB19_3437:
	s_movk_i32 s4, 0x80
	v_cmp_eq_u16_sdwa s[12:13], v11, s4 src0_sel:BYTE_0 src1_sel:DWORD
	s_mov_b64 s[4:5], -1
                                        ; implicit-def: $sgpr10
	s_and_saveexec_b64 s[8:9], s[12:13]
; %bb.3438:
	s_mov_b32 s10, 0x7f800001
	s_xor_b64 s[4:5], exec, -1
; %bb.3439:
	s_or_b64 exec, exec, s[8:9]
	s_and_b64 s[4:5], s[4:5], exec
	s_or_saveexec_b64 s[6:7], s[6:7]
	v_mov_b32_e32 v12, s10
	s_xor_b64 exec, exec, s[6:7]
	s_cbranch_execz .LBB19_1390
.LBB19_3440:
	v_mov_b32_e32 v12, 0
	v_cmp_ne_u16_sdwa s[8:9], v11, v12 src0_sel:BYTE_0 src1_sel:DWORD
	s_andn2_b64 s[4:5], s[4:5], exec
	s_and_b64 s[8:9], s[8:9], exec
	s_or_b64 s[4:5], s[4:5], s[8:9]
	s_or_b64 exec, exec, s[6:7]
	s_and_saveexec_b64 s[6:7], s[4:5]
	s_cbranch_execnz .LBB19_1391
	s_branch .LBB19_1392
.LBB19_3441:
	s_movk_i32 s4, 0x80
	v_cmp_eq_u16_e32 vcc, s4, v11
	s_mov_b64 s[4:5], -1
                                        ; implicit-def: $sgpr10
	s_and_saveexec_b64 s[8:9], vcc
; %bb.3442:
	s_mov_b32 s10, 0x7f800001
	s_xor_b64 s[4:5], exec, -1
; %bb.3443:
	s_or_b64 exec, exec, s[8:9]
	s_and_b64 s[4:5], s[4:5], exec
                                        ; implicit-def: $vgpr11
	s_or_saveexec_b64 s[6:7], s[6:7]
	v_mov_b32_e32 v10, s10
	s_xor_b64 exec, exec, s[6:7]
	s_cbranch_execz .LBB19_1394
.LBB19_3444:
	v_cmp_ne_u16_e32 vcc, 0, v11
	s_andn2_b64 s[4:5], s[4:5], exec
	s_and_b64 s[8:9], vcc, exec
	v_mov_b32_e32 v10, 0
	s_or_b64 s[4:5], s[4:5], s[8:9]
	s_or_b64 exec, exec, s[6:7]
	s_and_saveexec_b64 s[6:7], s[4:5]
	s_cbranch_execnz .LBB19_1395
	s_branch .LBB19_1396
.LBB19_3445:
	s_movk_i32 s4, 0x80
	v_cmp_eq_u16_e32 vcc, s4, v11
	s_mov_b64 s[4:5], -1
                                        ; implicit-def: $sgpr10
	s_and_saveexec_b64 s[8:9], vcc
; %bb.3446:
	s_mov_b32 s10, 0x7f800001
	s_xor_b64 s[4:5], exec, -1
; %bb.3447:
	s_or_b64 exec, exec, s[8:9]
	s_and_b64 s[4:5], s[4:5], exec
                                        ; implicit-def: $vgpr11
	s_or_saveexec_b64 s[6:7], s[6:7]
	v_mov_b32_e32 v12, s10
	s_xor_b64 exec, exec, s[6:7]
	s_cbranch_execz .LBB19_1398
.LBB19_3448:
	v_cmp_ne_u16_e32 vcc, 0, v11
	s_andn2_b64 s[4:5], s[4:5], exec
	s_and_b64 s[8:9], vcc, exec
	v_mov_b32_e32 v12, 0
	s_or_b64 s[4:5], s[4:5], s[8:9]
	s_or_b64 exec, exec, s[6:7]
	s_and_saveexec_b64 s[6:7], s[4:5]
	s_cbranch_execnz .LBB19_1399
	s_branch .LBB19_1400
.LBB19_3449:
	s_movk_i32 s4, 0x80
	v_cmp_eq_u16_sdwa s[12:13], v17, s4 src0_sel:BYTE_3 src1_sel:DWORD
	s_mov_b64 s[4:5], -1
                                        ; implicit-def: $sgpr10
	s_and_saveexec_b64 s[8:9], s[12:13]
; %bb.3450:
	s_mov_b32 s10, 0x7f800001
	s_xor_b64 s[4:5], exec, -1
; %bb.3451:
	s_or_b64 exec, exec, s[8:9]
	s_and_b64 s[4:5], s[4:5], exec
	s_or_saveexec_b64 s[6:7], s[6:7]
	v_mov_b32_e32 v10, s10
	s_xor_b64 exec, exec, s[6:7]
	s_cbranch_execz .LBB19_1402
.LBB19_3452:
	v_mov_b32_e32 v10, 0
	v_cmp_ne_u16_sdwa s[8:9], v17, v10 src0_sel:BYTE_3 src1_sel:DWORD
	s_andn2_b64 s[4:5], s[4:5], exec
	s_and_b64 s[8:9], s[8:9], exec
	s_or_b64 s[4:5], s[4:5], s[8:9]
	s_or_b64 exec, exec, s[6:7]
	s_and_saveexec_b64 s[6:7], s[4:5]
	s_cbranch_execnz .LBB19_1403
	s_branch .LBB19_1404
.LBB19_3453:
	s_movk_i32 s4, 0x80
	v_cmp_eq_u16_sdwa s[12:13], v13, s4 src0_sel:BYTE_3 src1_sel:DWORD
	s_mov_b64 s[4:5], -1
                                        ; implicit-def: $sgpr10
	s_and_saveexec_b64 s[8:9], s[12:13]
; %bb.3454:
	s_mov_b32 s10, 0x7f800001
	s_xor_b64 s[4:5], exec, -1
; %bb.3455:
	s_or_b64 exec, exec, s[8:9]
	s_and_b64 s[4:5], s[4:5], exec
	s_or_saveexec_b64 s[6:7], s[6:7]
	v_mov_b32_e32 v11, s10
	s_xor_b64 exec, exec, s[6:7]
	s_cbranch_execz .LBB19_1406
.LBB19_3456:
	v_mov_b32_e32 v11, 0
	v_cmp_ne_u16_sdwa s[8:9], v13, v11 src0_sel:BYTE_3 src1_sel:DWORD
	s_andn2_b64 s[4:5], s[4:5], exec
	s_and_b64 s[8:9], s[8:9], exec
	s_or_b64 s[4:5], s[4:5], s[8:9]
	s_or_b64 exec, exec, s[6:7]
	s_and_saveexec_b64 s[6:7], s[4:5]
	s_cbranch_execnz .LBB19_1407
	s_branch .LBB19_1408
.LBB19_3457:
	s_movk_i32 s4, 0x80
	v_cmp_eq_u16_sdwa s[12:13], v6, s4 src0_sel:BYTE_0 src1_sel:DWORD
	s_mov_b64 s[4:5], -1
                                        ; implicit-def: $sgpr10
	s_and_saveexec_b64 s[8:9], s[12:13]
; %bb.3458:
	s_mov_b32 s10, 0x7f800001
	s_xor_b64 s[4:5], exec, -1
; %bb.3459:
	s_or_b64 exec, exec, s[8:9]
	s_and_b64 s[4:5], s[4:5], exec
	s_or_saveexec_b64 s[6:7], s[6:7]
	v_mov_b32_e32 v10, s10
	s_xor_b64 exec, exec, s[6:7]
	s_cbranch_execz .LBB19_1410
.LBB19_3460:
	v_mov_b32_e32 v10, 0
	v_cmp_ne_u16_sdwa s[8:9], v6, v10 src0_sel:BYTE_0 src1_sel:DWORD
	s_andn2_b64 s[4:5], s[4:5], exec
	s_and_b64 s[8:9], s[8:9], exec
	s_or_b64 s[4:5], s[4:5], s[8:9]
	s_or_b64 exec, exec, s[6:7]
	s_and_saveexec_b64 s[6:7], s[4:5]
	s_cbranch_execnz .LBB19_1411
	s_branch .LBB19_1412
.LBB19_3461:
	s_movk_i32 s4, 0x80
	v_cmp_eq_u16_sdwa s[12:13], v2, s4 src0_sel:BYTE_0 src1_sel:DWORD
	s_mov_b64 s[4:5], -1
                                        ; implicit-def: $sgpr10
	s_and_saveexec_b64 s[8:9], s[12:13]
; %bb.3462:
	s_mov_b32 s10, 0x7f800001
	s_xor_b64 s[4:5], exec, -1
; %bb.3463:
	s_or_b64 exec, exec, s[8:9]
	s_and_b64 s[4:5], s[4:5], exec
	s_or_saveexec_b64 s[6:7], s[6:7]
	v_mov_b32_e32 v11, s10
	s_xor_b64 exec, exec, s[6:7]
	s_cbranch_execz .LBB19_1414
.LBB19_3464:
	v_mov_b32_e32 v11, 0
	v_cmp_ne_u16_sdwa s[8:9], v2, v11 src0_sel:BYTE_0 src1_sel:DWORD
	s_andn2_b64 s[4:5], s[4:5], exec
	s_and_b64 s[8:9], s[8:9], exec
	s_or_b64 s[4:5], s[4:5], s[8:9]
	s_or_b64 exec, exec, s[6:7]
	s_and_saveexec_b64 s[6:7], s[4:5]
	s_cbranch_execnz .LBB19_1415
	s_branch .LBB19_1416
.LBB19_3465:
	s_movk_i32 s4, 0x80
	v_cmp_eq_u16_sdwa s[12:13], v11, s4 src0_sel:BYTE_0 src1_sel:DWORD
	s_mov_b64 s[4:5], -1
                                        ; implicit-def: $sgpr10
	s_and_saveexec_b64 s[8:9], s[12:13]
; %bb.3466:
	s_mov_b32 s10, 0x7f800001
	s_xor_b64 s[4:5], exec, -1
; %bb.3467:
	s_or_b64 exec, exec, s[8:9]
	s_and_b64 s[4:5], s[4:5], exec
	s_or_saveexec_b64 s[6:7], s[6:7]
	v_mov_b32_e32 v10, s10
	s_xor_b64 exec, exec, s[6:7]
	s_cbranch_execz .LBB19_1418
.LBB19_3468:
	v_mov_b32_e32 v10, 0
	v_cmp_ne_u16_sdwa s[8:9], v11, v10 src0_sel:BYTE_0 src1_sel:DWORD
	s_andn2_b64 s[4:5], s[4:5], exec
	s_and_b64 s[8:9], s[8:9], exec
	s_or_b64 s[4:5], s[4:5], s[8:9]
	s_or_b64 exec, exec, s[6:7]
	s_and_saveexec_b64 s[6:7], s[4:5]
	s_cbranch_execnz .LBB19_1419
	s_branch .LBB19_1420
.LBB19_3469:
	s_movk_i32 s4, 0x80
	v_cmp_eq_u16_sdwa s[12:13], v11, s4 src0_sel:BYTE_0 src1_sel:DWORD
	s_mov_b64 s[4:5], -1
                                        ; implicit-def: $sgpr10
	s_and_saveexec_b64 s[8:9], s[12:13]
; %bb.3470:
	s_mov_b32 s10, 0x7f800001
	s_xor_b64 s[4:5], exec, -1
; %bb.3471:
	s_or_b64 exec, exec, s[8:9]
	s_and_b64 s[4:5], s[4:5], exec
	s_or_saveexec_b64 s[6:7], s[6:7]
	v_mov_b32_e32 v12, s10
	s_xor_b64 exec, exec, s[6:7]
	s_cbranch_execz .LBB19_1422
.LBB19_3472:
	v_mov_b32_e32 v12, 0
	v_cmp_ne_u16_sdwa s[8:9], v11, v12 src0_sel:BYTE_0 src1_sel:DWORD
	s_andn2_b64 s[4:5], s[4:5], exec
	s_and_b64 s[8:9], s[8:9], exec
	s_or_b64 s[4:5], s[4:5], s[8:9]
	s_or_b64 exec, exec, s[6:7]
	s_and_saveexec_b64 s[6:7], s[4:5]
	s_cbranch_execnz .LBB19_1423
	s_branch .LBB19_1424
.LBB19_3473:
	s_movk_i32 s4, 0x80
	v_cmp_eq_u16_e32 vcc, s4, v11
	s_mov_b64 s[4:5], -1
                                        ; implicit-def: $sgpr10
	s_and_saveexec_b64 s[8:9], vcc
; %bb.3474:
	s_mov_b32 s10, 0x7f800001
	s_xor_b64 s[4:5], exec, -1
; %bb.3475:
	s_or_b64 exec, exec, s[8:9]
	s_and_b64 s[4:5], s[4:5], exec
                                        ; implicit-def: $vgpr11
	s_or_saveexec_b64 s[6:7], s[6:7]
	v_mov_b32_e32 v10, s10
	s_xor_b64 exec, exec, s[6:7]
	s_cbranch_execz .LBB19_1426
.LBB19_3476:
	v_cmp_ne_u16_e32 vcc, 0, v11
	s_andn2_b64 s[4:5], s[4:5], exec
	s_and_b64 s[8:9], vcc, exec
	v_mov_b32_e32 v10, 0
	s_or_b64 s[4:5], s[4:5], s[8:9]
	s_or_b64 exec, exec, s[6:7]
	s_and_saveexec_b64 s[6:7], s[4:5]
	s_cbranch_execnz .LBB19_1427
	s_branch .LBB19_1428
.LBB19_3477:
	s_movk_i32 s4, 0x80
	v_cmp_eq_u16_e32 vcc, s4, v11
	s_mov_b64 s[4:5], -1
                                        ; implicit-def: $sgpr10
	s_and_saveexec_b64 s[8:9], vcc
; %bb.3478:
	s_mov_b32 s10, 0x7f800001
	s_xor_b64 s[4:5], exec, -1
; %bb.3479:
	s_or_b64 exec, exec, s[8:9]
	s_and_b64 s[4:5], s[4:5], exec
                                        ; implicit-def: $vgpr11
	s_or_saveexec_b64 s[6:7], s[6:7]
	v_mov_b32_e32 v12, s10
	s_xor_b64 exec, exec, s[6:7]
	s_cbranch_execz .LBB19_1430
.LBB19_3480:
	v_cmp_ne_u16_e32 vcc, 0, v11
	s_andn2_b64 s[4:5], s[4:5], exec
	s_and_b64 s[8:9], vcc, exec
	v_mov_b32_e32 v12, 0
	s_or_b64 s[4:5], s[4:5], s[8:9]
	s_or_b64 exec, exec, s[6:7]
	s_and_saveexec_b64 s[6:7], s[4:5]
	s_cbranch_execnz .LBB19_1431
	s_branch .LBB19_1432
.LBB19_3481:
	s_movk_i32 s4, 0x80
	v_cmp_eq_u16_sdwa s[12:13], v6, s4 src0_sel:BYTE_3 src1_sel:DWORD
	s_mov_b64 s[4:5], -1
                                        ; implicit-def: $sgpr10
	s_and_saveexec_b64 s[8:9], s[12:13]
; %bb.3482:
	s_mov_b32 s10, 0x7f800001
	s_xor_b64 s[4:5], exec, -1
; %bb.3483:
	s_or_b64 exec, exec, s[8:9]
	s_and_b64 s[4:5], s[4:5], exec
	s_or_saveexec_b64 s[6:7], s[6:7]
	v_mov_b32_e32 v10, s10
	s_xor_b64 exec, exec, s[6:7]
	s_cbranch_execz .LBB19_1434
.LBB19_3484:
	v_mov_b32_e32 v10, 0
	v_cmp_ne_u16_sdwa s[8:9], v6, v10 src0_sel:BYTE_3 src1_sel:DWORD
	s_andn2_b64 s[4:5], s[4:5], exec
	s_and_b64 s[8:9], s[8:9], exec
	s_or_b64 s[4:5], s[4:5], s[8:9]
	s_or_b64 exec, exec, s[6:7]
	s_and_saveexec_b64 s[6:7], s[4:5]
	s_cbranch_execnz .LBB19_1435
	s_branch .LBB19_1436
.LBB19_3485:
	s_movk_i32 s4, 0x80
	v_cmp_eq_u16_sdwa s[12:13], v2, s4 src0_sel:BYTE_3 src1_sel:DWORD
	s_mov_b64 s[4:5], -1
                                        ; implicit-def: $sgpr10
	s_and_saveexec_b64 s[8:9], s[12:13]
; %bb.3486:
	s_mov_b32 s10, 0x7f800001
	s_xor_b64 s[4:5], exec, -1
; %bb.3487:
	s_or_b64 exec, exec, s[8:9]
	s_and_b64 s[4:5], s[4:5], exec
	s_or_saveexec_b64 s[6:7], s[6:7]
	v_mov_b32_e32 v6, s10
	s_xor_b64 exec, exec, s[6:7]
	s_cbranch_execz .LBB19_1438
.LBB19_3488:
	v_mov_b32_e32 v6, 0
	v_cmp_ne_u16_sdwa s[8:9], v2, v6 src0_sel:BYTE_3 src1_sel:DWORD
	s_andn2_b64 s[4:5], s[4:5], exec
	s_and_b64 s[8:9], s[8:9], exec
	s_or_b64 s[4:5], s[4:5], s[8:9]
	s_or_b64 exec, exec, s[6:7]
	s_and_saveexec_b64 s[6:7], s[4:5]
	s_cbranch_execnz .LBB19_1439
	s_branch .LBB19_1440
.LBB19_3489:
	s_movk_i32 s4, 0x80
	v_cmp_eq_u16_sdwa s[12:13], v7, s4 src0_sel:BYTE_0 src1_sel:DWORD
	s_mov_b64 s[4:5], -1
                                        ; implicit-def: $sgpr10
	s_and_saveexec_b64 s[8:9], s[12:13]
; %bb.3490:
	s_mov_b32 s10, 0x7f800001
	s_xor_b64 s[4:5], exec, -1
; %bb.3491:
	s_or_b64 exec, exec, s[8:9]
	s_and_b64 s[4:5], s[4:5], exec
	s_or_saveexec_b64 s[6:7], s[6:7]
	v_mov_b32_e32 v2, s10
	s_xor_b64 exec, exec, s[6:7]
	s_cbranch_execz .LBB19_1442
.LBB19_3492:
	v_mov_b32_e32 v2, 0
	v_cmp_ne_u16_sdwa s[8:9], v7, v2 src0_sel:BYTE_0 src1_sel:DWORD
	s_andn2_b64 s[4:5], s[4:5], exec
	s_and_b64 s[8:9], s[8:9], exec
	s_or_b64 s[4:5], s[4:5], s[8:9]
	s_or_b64 exec, exec, s[6:7]
	s_and_saveexec_b64 s[6:7], s[4:5]
	s_cbranch_execnz .LBB19_1443
	s_branch .LBB19_1444
.LBB19_3493:
	s_movk_i32 s4, 0x80
	v_cmp_eq_u16_sdwa s[12:13], v3, s4 src0_sel:BYTE_0 src1_sel:DWORD
	s_mov_b64 s[4:5], -1
                                        ; implicit-def: $sgpr10
	s_and_saveexec_b64 s[8:9], s[12:13]
; %bb.3494:
	s_mov_b32 s10, 0x7f800001
	s_xor_b64 s[4:5], exec, -1
; %bb.3495:
	s_or_b64 exec, exec, s[8:9]
	s_and_b64 s[4:5], s[4:5], exec
	s_or_saveexec_b64 s[6:7], s[6:7]
	v_mov_b32_e32 v6, s10
	s_xor_b64 exec, exec, s[6:7]
	s_cbranch_execz .LBB19_1446
.LBB19_3496:
	v_mov_b32_e32 v6, 0
	v_cmp_ne_u16_sdwa s[8:9], v3, v6 src0_sel:BYTE_0 src1_sel:DWORD
	s_andn2_b64 s[4:5], s[4:5], exec
	s_and_b64 s[8:9], s[8:9], exec
	s_or_b64 s[4:5], s[4:5], s[8:9]
	s_or_b64 exec, exec, s[6:7]
	s_and_saveexec_b64 s[6:7], s[4:5]
	s_cbranch_execnz .LBB19_1447
	s_branch .LBB19_1448
.LBB19_3497:
	s_movk_i32 s4, 0x80
	v_cmp_eq_u16_sdwa s[12:13], v6, s4 src0_sel:BYTE_0 src1_sel:DWORD
	s_mov_b64 s[4:5], -1
                                        ; implicit-def: $sgpr10
	s_and_saveexec_b64 s[8:9], s[12:13]
; %bb.3498:
	s_mov_b32 s10, 0x7f800001
	s_xor_b64 s[4:5], exec, -1
; %bb.3499:
	s_or_b64 exec, exec, s[8:9]
	s_and_b64 s[4:5], s[4:5], exec
	s_or_saveexec_b64 s[6:7], s[6:7]
	v_mov_b32_e32 v2, s10
	s_xor_b64 exec, exec, s[6:7]
	s_cbranch_execz .LBB19_1450
.LBB19_3500:
	v_mov_b32_e32 v2, 0
	v_cmp_ne_u16_sdwa s[8:9], v6, v2 src0_sel:BYTE_0 src1_sel:DWORD
	s_andn2_b64 s[4:5], s[4:5], exec
	s_and_b64 s[8:9], s[8:9], exec
	s_or_b64 s[4:5], s[4:5], s[8:9]
	s_or_b64 exec, exec, s[6:7]
	s_and_saveexec_b64 s[6:7], s[4:5]
	s_cbranch_execnz .LBB19_1451
	s_branch .LBB19_1452
.LBB19_3501:
	s_movk_i32 s4, 0x80
	v_cmp_eq_u16_sdwa s[12:13], v6, s4 src0_sel:BYTE_0 src1_sel:DWORD
	s_mov_b64 s[4:5], -1
                                        ; implicit-def: $sgpr10
	s_and_saveexec_b64 s[8:9], s[12:13]
; %bb.3502:
	s_mov_b32 s10, 0x7f800001
	s_xor_b64 s[4:5], exec, -1
; %bb.3503:
	s_or_b64 exec, exec, s[8:9]
	s_and_b64 s[4:5], s[4:5], exec
	s_or_saveexec_b64 s[6:7], s[6:7]
	v_mov_b32_e32 v10, s10
	s_xor_b64 exec, exec, s[6:7]
	s_cbranch_execz .LBB19_1454
.LBB19_3504:
	v_mov_b32_e32 v10, 0
	v_cmp_ne_u16_sdwa s[8:9], v6, v10 src0_sel:BYTE_0 src1_sel:DWORD
	s_andn2_b64 s[4:5], s[4:5], exec
	s_and_b64 s[8:9], s[8:9], exec
	s_or_b64 s[4:5], s[4:5], s[8:9]
	s_or_b64 exec, exec, s[6:7]
	s_and_saveexec_b64 s[6:7], s[4:5]
	s_cbranch_execnz .LBB19_1455
	s_branch .LBB19_1456
.LBB19_3505:
	s_movk_i32 s4, 0x80
	v_cmp_eq_u16_e32 vcc, s4, v6
	s_mov_b64 s[4:5], -1
                                        ; implicit-def: $sgpr10
	s_and_saveexec_b64 s[8:9], vcc
; %bb.3506:
	s_mov_b32 s10, 0x7f800001
	s_xor_b64 s[4:5], exec, -1
; %bb.3507:
	s_or_b64 exec, exec, s[8:9]
	s_and_b64 s[4:5], s[4:5], exec
                                        ; implicit-def: $vgpr6
	s_or_saveexec_b64 s[6:7], s[6:7]
	v_mov_b32_e32 v2, s10
	s_xor_b64 exec, exec, s[6:7]
	s_cbranch_execz .LBB19_1458
.LBB19_3508:
	v_cmp_ne_u16_e32 vcc, 0, v6
	s_andn2_b64 s[4:5], s[4:5], exec
	s_and_b64 s[8:9], vcc, exec
	v_mov_b32_e32 v2, 0
	s_or_b64 s[4:5], s[4:5], s[8:9]
	s_or_b64 exec, exec, s[6:7]
	s_and_saveexec_b64 s[6:7], s[4:5]
	s_cbranch_execnz .LBB19_1459
	s_branch .LBB19_1460
.LBB19_3509:
	s_movk_i32 s4, 0x80
	v_cmp_eq_u16_e32 vcc, s4, v6
	s_mov_b64 s[4:5], -1
                                        ; implicit-def: $sgpr10
	s_and_saveexec_b64 s[8:9], vcc
; %bb.3510:
	s_mov_b32 s10, 0x7f800001
	s_xor_b64 s[4:5], exec, -1
; %bb.3511:
	s_or_b64 exec, exec, s[8:9]
	s_and_b64 s[4:5], s[4:5], exec
                                        ; implicit-def: $vgpr6
	s_or_saveexec_b64 s[6:7], s[6:7]
	v_mov_b32_e32 v10, s10
	s_xor_b64 exec, exec, s[6:7]
	s_cbranch_execz .LBB19_1462
.LBB19_3512:
	v_cmp_ne_u16_e32 vcc, 0, v6
	s_andn2_b64 s[4:5], s[4:5], exec
	s_and_b64 s[8:9], vcc, exec
	v_mov_b32_e32 v10, 0
	s_or_b64 s[4:5], s[4:5], s[8:9]
	s_or_b64 exec, exec, s[6:7]
	s_and_saveexec_b64 s[6:7], s[4:5]
	s_cbranch_execnz .LBB19_1463
	s_branch .LBB19_1464
.LBB19_3513:
	s_movk_i32 s4, 0x80
	v_cmp_eq_u16_sdwa s[12:13], v7, s4 src0_sel:BYTE_3 src1_sel:DWORD
	s_mov_b64 s[4:5], -1
                                        ; implicit-def: $sgpr10
	s_and_saveexec_b64 s[8:9], s[12:13]
; %bb.3514:
	s_mov_b32 s10, 0x7f800001
	s_xor_b64 s[4:5], exec, -1
; %bb.3515:
	s_or_b64 exec, exec, s[8:9]
	s_and_b64 s[4:5], s[4:5], exec
	s_or_saveexec_b64 s[6:7], s[6:7]
	v_mov_b32_e32 v2, s10
	s_xor_b64 exec, exec, s[6:7]
	s_cbranch_execz .LBB19_1466
.LBB19_3516:
	v_mov_b32_e32 v2, 0
	v_cmp_ne_u16_sdwa s[8:9], v7, v2 src0_sel:BYTE_3 src1_sel:DWORD
	s_andn2_b64 s[4:5], s[4:5], exec
	s_and_b64 s[8:9], s[8:9], exec
	s_or_b64 s[4:5], s[4:5], s[8:9]
	s_or_b64 exec, exec, s[6:7]
	s_and_saveexec_b64 s[6:7], s[4:5]
	s_cbranch_execnz .LBB19_1467
	s_branch .LBB19_1468
.LBB19_3517:
	s_movk_i32 s4, 0x80
	v_cmp_eq_u16_sdwa s[12:13], v3, s4 src0_sel:BYTE_3 src1_sel:DWORD
	s_mov_b64 s[4:5], -1
                                        ; implicit-def: $sgpr10
	s_and_saveexec_b64 s[8:9], s[12:13]
; %bb.3518:
	s_mov_b32 s10, 0x7f800001
	s_xor_b64 s[4:5], exec, -1
; %bb.3519:
	s_or_b64 exec, exec, s[8:9]
	s_and_b64 s[4:5], s[4:5], exec
	s_or_saveexec_b64 s[6:7], s[6:7]
	v_mov_b32_e32 v6, s10
	s_xor_b64 exec, exec, s[6:7]
	s_cbranch_execz .LBB19_1470
.LBB19_3520:
	v_mov_b32_e32 v6, 0
	v_cmp_ne_u16_sdwa s[8:9], v3, v6 src0_sel:BYTE_3 src1_sel:DWORD
	s_andn2_b64 s[4:5], s[4:5], exec
	s_and_b64 s[8:9], s[8:9], exec
	s_or_b64 s[4:5], s[4:5], s[8:9]
	s_or_b64 exec, exec, s[6:7]
	s_and_saveexec_b64 s[6:7], s[4:5]
	s_cbranch_execnz .LBB19_1471
	s_branch .LBB19_1472
.LBB19_3521:
	s_movk_i32 s4, 0x80
	v_cmp_eq_u16_sdwa s[12:13], v8, s4 src0_sel:BYTE_0 src1_sel:DWORD
	s_mov_b64 s[4:5], -1
                                        ; implicit-def: $sgpr10
	s_and_saveexec_b64 s[8:9], s[12:13]
; %bb.3522:
	s_mov_b32 s10, 0x7f800001
	s_xor_b64 s[4:5], exec, -1
; %bb.3523:
	s_or_b64 exec, exec, s[8:9]
	s_and_b64 s[4:5], s[4:5], exec
	s_or_saveexec_b64 s[6:7], s[6:7]
	v_mov_b32_e32 v2, s10
	s_xor_b64 exec, exec, s[6:7]
	s_cbranch_execz .LBB19_1474
.LBB19_3524:
	v_mov_b32_e32 v2, 0
	v_cmp_ne_u16_sdwa s[8:9], v8, v2 src0_sel:BYTE_0 src1_sel:DWORD
	s_andn2_b64 s[4:5], s[4:5], exec
	s_and_b64 s[8:9], s[8:9], exec
	s_or_b64 s[4:5], s[4:5], s[8:9]
	s_or_b64 exec, exec, s[6:7]
	s_and_saveexec_b64 s[6:7], s[4:5]
	s_cbranch_execnz .LBB19_1475
	s_branch .LBB19_1476
.LBB19_3525:
	s_movk_i32 s4, 0x80
	v_cmp_eq_u16_sdwa s[12:13], v4, s4 src0_sel:BYTE_0 src1_sel:DWORD
	s_mov_b64 s[4:5], -1
                                        ; implicit-def: $sgpr10
	s_and_saveexec_b64 s[8:9], s[12:13]
; %bb.3526:
	s_mov_b32 s10, 0x7f800001
	s_xor_b64 s[4:5], exec, -1
; %bb.3527:
	s_or_b64 exec, exec, s[8:9]
	s_and_b64 s[4:5], s[4:5], exec
	s_or_saveexec_b64 s[6:7], s[6:7]
	v_mov_b32_e32 v3, s10
	s_xor_b64 exec, exec, s[6:7]
	s_cbranch_execz .LBB19_1478
.LBB19_3528:
	v_mov_b32_e32 v3, 0
	v_cmp_ne_u16_sdwa s[8:9], v4, v3 src0_sel:BYTE_0 src1_sel:DWORD
	s_andn2_b64 s[4:5], s[4:5], exec
	s_and_b64 s[8:9], s[8:9], exec
	s_or_b64 s[4:5], s[4:5], s[8:9]
	s_or_b64 exec, exec, s[6:7]
	s_and_saveexec_b64 s[6:7], s[4:5]
	s_cbranch_execnz .LBB19_1479
	s_branch .LBB19_1480
.LBB19_3529:
	s_movk_i32 s4, 0x80
	v_cmp_eq_u16_sdwa s[12:13], v3, s4 src0_sel:BYTE_0 src1_sel:DWORD
	s_mov_b64 s[4:5], -1
                                        ; implicit-def: $sgpr10
	s_and_saveexec_b64 s[8:9], s[12:13]
; %bb.3530:
	s_mov_b32 s10, 0x7f800001
	s_xor_b64 s[4:5], exec, -1
; %bb.3531:
	s_or_b64 exec, exec, s[8:9]
	s_and_b64 s[4:5], s[4:5], exec
	s_or_saveexec_b64 s[6:7], s[6:7]
	v_mov_b32_e32 v2, s10
	s_xor_b64 exec, exec, s[6:7]
	s_cbranch_execz .LBB19_1482
.LBB19_3532:
	v_mov_b32_e32 v2, 0
	v_cmp_ne_u16_sdwa s[8:9], v3, v2 src0_sel:BYTE_0 src1_sel:DWORD
	s_andn2_b64 s[4:5], s[4:5], exec
	s_and_b64 s[8:9], s[8:9], exec
	s_or_b64 s[4:5], s[4:5], s[8:9]
	s_or_b64 exec, exec, s[6:7]
	s_and_saveexec_b64 s[6:7], s[4:5]
	s_cbranch_execnz .LBB19_1483
	s_branch .LBB19_1484
.LBB19_3533:
	s_movk_i32 s4, 0x80
	v_cmp_eq_u16_sdwa s[12:13], v3, s4 src0_sel:BYTE_0 src1_sel:DWORD
	s_mov_b64 s[4:5], -1
                                        ; implicit-def: $sgpr10
	s_and_saveexec_b64 s[8:9], s[12:13]
; %bb.3534:
	s_mov_b32 s10, 0x7f800001
	s_xor_b64 s[4:5], exec, -1
; %bb.3535:
	s_or_b64 exec, exec, s[8:9]
	s_and_b64 s[4:5], s[4:5], exec
	s_or_saveexec_b64 s[6:7], s[6:7]
	v_mov_b32_e32 v6, s10
	s_xor_b64 exec, exec, s[6:7]
	s_cbranch_execz .LBB19_1486
.LBB19_3536:
	v_mov_b32_e32 v6, 0
	v_cmp_ne_u16_sdwa s[8:9], v3, v6 src0_sel:BYTE_0 src1_sel:DWORD
	s_andn2_b64 s[4:5], s[4:5], exec
	s_and_b64 s[8:9], s[8:9], exec
	s_or_b64 s[4:5], s[4:5], s[8:9]
	s_or_b64 exec, exec, s[6:7]
	s_and_saveexec_b64 s[6:7], s[4:5]
	s_cbranch_execnz .LBB19_1487
	s_branch .LBB19_1488
.LBB19_3537:
	s_movk_i32 s4, 0x80
	v_cmp_eq_u16_e32 vcc, s4, v3
	s_mov_b64 s[4:5], -1
                                        ; implicit-def: $sgpr10
	s_and_saveexec_b64 s[8:9], vcc
; %bb.3538:
	s_mov_b32 s10, 0x7f800001
	s_xor_b64 s[4:5], exec, -1
; %bb.3539:
	s_or_b64 exec, exec, s[8:9]
	s_and_b64 s[4:5], s[4:5], exec
                                        ; implicit-def: $vgpr3
	s_or_saveexec_b64 s[6:7], s[6:7]
	v_mov_b32_e32 v2, s10
	s_xor_b64 exec, exec, s[6:7]
	s_cbranch_execz .LBB19_1490
.LBB19_3540:
	v_cmp_ne_u16_e32 vcc, 0, v3
	s_andn2_b64 s[4:5], s[4:5], exec
	s_and_b64 s[8:9], vcc, exec
	v_mov_b32_e32 v2, 0
	s_or_b64 s[4:5], s[4:5], s[8:9]
	s_or_b64 exec, exec, s[6:7]
	s_and_saveexec_b64 s[6:7], s[4:5]
	s_cbranch_execnz .LBB19_1491
	s_branch .LBB19_1492
.LBB19_3541:
	s_movk_i32 s4, 0x80
	v_cmp_eq_u16_e32 vcc, s4, v3
	s_mov_b64 s[4:5], -1
                                        ; implicit-def: $sgpr10
	s_and_saveexec_b64 s[8:9], vcc
; %bb.3542:
	s_mov_b32 s10, 0x7f800001
	s_xor_b64 s[4:5], exec, -1
; %bb.3543:
	s_or_b64 exec, exec, s[8:9]
	s_and_b64 s[4:5], s[4:5], exec
                                        ; implicit-def: $vgpr3
	s_or_saveexec_b64 s[6:7], s[6:7]
	v_mov_b32_e32 v6, s10
	s_xor_b64 exec, exec, s[6:7]
	s_cbranch_execz .LBB19_1494
.LBB19_3544:
	v_cmp_ne_u16_e32 vcc, 0, v3
	s_andn2_b64 s[4:5], s[4:5], exec
	s_and_b64 s[8:9], vcc, exec
	v_mov_b32_e32 v6, 0
	s_or_b64 s[4:5], s[4:5], s[8:9]
	s_or_b64 exec, exec, s[6:7]
	s_and_saveexec_b64 s[6:7], s[4:5]
	s_cbranch_execnz .LBB19_1495
	s_branch .LBB19_1496
.LBB19_3545:
	s_movk_i32 s4, 0x80
	v_cmp_eq_u16_sdwa s[12:13], v8, s4 src0_sel:BYTE_3 src1_sel:DWORD
	s_mov_b64 s[4:5], -1
                                        ; implicit-def: $sgpr10
	s_and_saveexec_b64 s[8:9], s[12:13]
; %bb.3546:
	s_mov_b32 s10, 0x7f800001
	s_xor_b64 s[4:5], exec, -1
; %bb.3547:
	s_or_b64 exec, exec, s[8:9]
	s_and_b64 s[4:5], s[4:5], exec
	s_or_saveexec_b64 s[6:7], s[6:7]
	v_mov_b32_e32 v2, s10
	s_xor_b64 exec, exec, s[6:7]
	s_cbranch_execz .LBB19_1498
.LBB19_3548:
	v_mov_b32_e32 v2, 0
	v_cmp_ne_u16_sdwa s[8:9], v8, v2 src0_sel:BYTE_3 src1_sel:DWORD
	s_andn2_b64 s[4:5], s[4:5], exec
	s_and_b64 s[8:9], s[8:9], exec
	s_or_b64 s[4:5], s[4:5], s[8:9]
	s_or_b64 exec, exec, s[6:7]
	s_and_saveexec_b64 s[6:7], s[4:5]
	s_cbranch_execnz .LBB19_1499
	s_branch .LBB19_1500
.LBB19_3549:
	s_movk_i32 s4, 0x80
	v_cmp_eq_u16_sdwa s[12:13], v4, s4 src0_sel:BYTE_3 src1_sel:DWORD
	s_mov_b64 s[4:5], -1
                                        ; implicit-def: $sgpr10
	s_and_saveexec_b64 s[8:9], s[12:13]
; %bb.3550:
	s_mov_b32 s10, 0x7f800001
	s_xor_b64 s[4:5], exec, -1
; %bb.3551:
	s_or_b64 exec, exec, s[8:9]
	s_and_b64 s[4:5], s[4:5], exec
	s_or_saveexec_b64 s[6:7], s[6:7]
	v_mov_b32_e32 v3, s10
	s_xor_b64 exec, exec, s[6:7]
	s_cbranch_execz .LBB19_1502
.LBB19_3552:
	v_mov_b32_e32 v3, 0
	v_cmp_ne_u16_sdwa s[8:9], v4, v3 src0_sel:BYTE_3 src1_sel:DWORD
	s_andn2_b64 s[4:5], s[4:5], exec
	s_and_b64 s[8:9], s[8:9], exec
	s_or_b64 s[4:5], s[4:5], s[8:9]
	s_or_b64 exec, exec, s[6:7]
	s_and_saveexec_b64 s[6:7], s[4:5]
	s_cbranch_execnz .LBB19_1503
	s_branch .LBB19_1504
.LBB19_3553:
	s_movk_i32 s4, 0x80
	v_cmp_eq_u16_sdwa s[12:13], v9, s4 src0_sel:BYTE_0 src1_sel:DWORD
	s_mov_b64 s[4:5], -1
                                        ; implicit-def: $sgpr10
	s_and_saveexec_b64 s[8:9], s[12:13]
; %bb.3554:
	s_mov_b32 s10, 0x7f800001
	s_xor_b64 s[4:5], exec, -1
; %bb.3555:
	s_or_b64 exec, exec, s[8:9]
	s_and_b64 s[4:5], s[4:5], exec
	s_or_saveexec_b64 s[6:7], s[6:7]
	v_mov_b32_e32 v2, s10
	s_xor_b64 exec, exec, s[6:7]
	s_cbranch_execz .LBB19_1506
.LBB19_3556:
	v_mov_b32_e32 v2, 0
	v_cmp_ne_u16_sdwa s[8:9], v9, v2 src0_sel:BYTE_0 src1_sel:DWORD
	s_andn2_b64 s[4:5], s[4:5], exec
	s_and_b64 s[8:9], s[8:9], exec
	s_or_b64 s[4:5], s[4:5], s[8:9]
	s_or_b64 exec, exec, s[6:7]
	s_and_saveexec_b64 s[6:7], s[4:5]
	s_cbranch_execnz .LBB19_1507
	s_branch .LBB19_1508
.LBB19_3557:
	s_movk_i32 s4, 0x80
	v_cmp_eq_u16_sdwa s[12:13], v5, s4 src0_sel:BYTE_0 src1_sel:DWORD
	s_mov_b64 s[4:5], -1
                                        ; implicit-def: $sgpr10
	s_and_saveexec_b64 s[8:9], s[12:13]
; %bb.3558:
	s_mov_b32 s10, 0x7f800001
	s_xor_b64 s[4:5], exec, -1
; %bb.3559:
	s_or_b64 exec, exec, s[8:9]
	s_and_b64 s[4:5], s[4:5], exec
	s_or_saveexec_b64 s[6:7], s[6:7]
	v_mov_b32_e32 v3, s10
	s_xor_b64 exec, exec, s[6:7]
	s_cbranch_execz .LBB19_1510
.LBB19_3560:
	v_mov_b32_e32 v3, 0
	v_cmp_ne_u16_sdwa s[8:9], v5, v3 src0_sel:BYTE_0 src1_sel:DWORD
	s_andn2_b64 s[4:5], s[4:5], exec
	s_and_b64 s[8:9], s[8:9], exec
	s_or_b64 s[4:5], s[4:5], s[8:9]
	s_or_b64 exec, exec, s[6:7]
	s_and_saveexec_b64 s[6:7], s[4:5]
	s_cbranch_execnz .LBB19_1511
	s_branch .LBB19_1512
.LBB19_3561:
	s_movk_i32 s4, 0x80
	v_cmp_eq_u16_sdwa s[12:13], v3, s4 src0_sel:BYTE_0 src1_sel:DWORD
	s_mov_b64 s[4:5], -1
                                        ; implicit-def: $sgpr10
	s_and_saveexec_b64 s[8:9], s[12:13]
; %bb.3562:
	s_mov_b32 s10, 0x7f800001
	s_xor_b64 s[4:5], exec, -1
; %bb.3563:
	s_or_b64 exec, exec, s[8:9]
	s_and_b64 s[4:5], s[4:5], exec
	s_or_saveexec_b64 s[6:7], s[6:7]
	v_mov_b32_e32 v2, s10
	s_xor_b64 exec, exec, s[6:7]
	s_cbranch_execz .LBB19_1514
.LBB19_3564:
	v_mov_b32_e32 v2, 0
	v_cmp_ne_u16_sdwa s[8:9], v3, v2 src0_sel:BYTE_0 src1_sel:DWORD
	s_andn2_b64 s[4:5], s[4:5], exec
	s_and_b64 s[8:9], s[8:9], exec
	s_or_b64 s[4:5], s[4:5], s[8:9]
	s_or_b64 exec, exec, s[6:7]
	s_and_saveexec_b64 s[6:7], s[4:5]
	s_cbranch_execnz .LBB19_1515
	s_branch .LBB19_1516
.LBB19_3565:
	s_movk_i32 s4, 0x80
	v_cmp_eq_u16_sdwa s[12:13], v3, s4 src0_sel:BYTE_0 src1_sel:DWORD
	s_mov_b64 s[4:5], -1
                                        ; implicit-def: $sgpr10
	s_and_saveexec_b64 s[8:9], s[12:13]
; %bb.3566:
	s_mov_b32 s10, 0x7f800001
	s_xor_b64 s[4:5], exec, -1
; %bb.3567:
	s_or_b64 exec, exec, s[8:9]
	s_and_b64 s[4:5], s[4:5], exec
	s_or_saveexec_b64 s[6:7], s[6:7]
	v_mov_b32_e32 v4, s10
	s_xor_b64 exec, exec, s[6:7]
	s_cbranch_execz .LBB19_1518
.LBB19_3568:
	v_mov_b32_e32 v4, 0
	v_cmp_ne_u16_sdwa s[8:9], v3, v4 src0_sel:BYTE_0 src1_sel:DWORD
	s_andn2_b64 s[4:5], s[4:5], exec
	s_and_b64 s[8:9], s[8:9], exec
	s_or_b64 s[4:5], s[4:5], s[8:9]
	s_or_b64 exec, exec, s[6:7]
	s_and_saveexec_b64 s[6:7], s[4:5]
	s_cbranch_execnz .LBB19_1519
	s_branch .LBB19_1520
.LBB19_3569:
	s_movk_i32 s4, 0x80
	v_cmp_eq_u16_e32 vcc, s4, v3
	s_mov_b64 s[4:5], -1
                                        ; implicit-def: $sgpr10
	s_and_saveexec_b64 s[8:9], vcc
; %bb.3570:
	s_mov_b32 s10, 0x7f800001
	s_xor_b64 s[4:5], exec, -1
; %bb.3571:
	s_or_b64 exec, exec, s[8:9]
	s_and_b64 s[4:5], s[4:5], exec
                                        ; implicit-def: $vgpr3
	s_or_saveexec_b64 s[6:7], s[6:7]
	v_mov_b32_e32 v2, s10
	s_xor_b64 exec, exec, s[6:7]
	s_cbranch_execz .LBB19_1522
.LBB19_3572:
	v_cmp_ne_u16_e32 vcc, 0, v3
	s_andn2_b64 s[4:5], s[4:5], exec
	s_and_b64 s[8:9], vcc, exec
	v_mov_b32_e32 v2, 0
	s_or_b64 s[4:5], s[4:5], s[8:9]
	s_or_b64 exec, exec, s[6:7]
	s_and_saveexec_b64 s[6:7], s[4:5]
	s_cbranch_execnz .LBB19_1523
	s_branch .LBB19_1524
.LBB19_3573:
	s_movk_i32 s4, 0x80
	v_cmp_eq_u16_e32 vcc, s4, v3
	s_mov_b64 s[4:5], -1
                                        ; implicit-def: $sgpr10
	s_and_saveexec_b64 s[8:9], vcc
; %bb.3574:
	s_mov_b32 s10, 0x7f800001
	s_xor_b64 s[4:5], exec, -1
; %bb.3575:
	s_or_b64 exec, exec, s[8:9]
	s_and_b64 s[4:5], s[4:5], exec
                                        ; implicit-def: $vgpr3
	s_or_saveexec_b64 s[6:7], s[6:7]
	v_mov_b32_e32 v4, s10
	s_xor_b64 exec, exec, s[6:7]
	s_cbranch_execz .LBB19_1526
.LBB19_3576:
	v_cmp_ne_u16_e32 vcc, 0, v3
	s_andn2_b64 s[4:5], s[4:5], exec
	s_and_b64 s[8:9], vcc, exec
	v_mov_b32_e32 v4, 0
	s_or_b64 s[4:5], s[4:5], s[8:9]
	s_or_b64 exec, exec, s[6:7]
	s_and_saveexec_b64 s[6:7], s[4:5]
	s_cbranch_execnz .LBB19_1527
	s_branch .LBB19_1528
.LBB19_3577:
	s_movk_i32 s4, 0x80
	v_cmp_eq_u16_sdwa s[12:13], v9, s4 src0_sel:BYTE_3 src1_sel:DWORD
	s_mov_b64 s[4:5], -1
                                        ; implicit-def: $sgpr10
	s_and_saveexec_b64 s[8:9], s[12:13]
; %bb.3578:
	s_mov_b32 s10, 0x7f800001
	s_xor_b64 s[4:5], exec, -1
; %bb.3579:
	s_or_b64 exec, exec, s[8:9]
	s_and_b64 s[4:5], s[4:5], exec
	s_or_saveexec_b64 s[6:7], s[6:7]
	v_mov_b32_e32 v2, s10
	s_xor_b64 exec, exec, s[6:7]
	s_cbranch_execz .LBB19_1530
.LBB19_3580:
	v_mov_b32_e32 v2, 0
	v_cmp_ne_u16_sdwa s[8:9], v9, v2 src0_sel:BYTE_3 src1_sel:DWORD
	s_andn2_b64 s[4:5], s[4:5], exec
	s_and_b64 s[8:9], s[8:9], exec
	s_or_b64 s[4:5], s[4:5], s[8:9]
	s_or_b64 exec, exec, s[6:7]
	s_and_saveexec_b64 s[6:7], s[4:5]
	s_cbranch_execnz .LBB19_1531
	s_branch .LBB19_1532
.LBB19_3581:
	s_movk_i32 s4, 0x80
	v_cmp_eq_u16_sdwa s[12:13], v5, s4 src0_sel:BYTE_3 src1_sel:DWORD
	s_mov_b64 s[4:5], -1
                                        ; implicit-def: $sgpr10
	s_and_saveexec_b64 s[8:9], s[12:13]
; %bb.3582:
	s_mov_b32 s10, 0x7f800001
	s_xor_b64 s[4:5], exec, -1
; %bb.3583:
	s_or_b64 exec, exec, s[8:9]
	s_and_b64 s[4:5], s[4:5], exec
	s_or_saveexec_b64 s[6:7], s[6:7]
	v_mov_b32_e32 v3, s10
	s_xor_b64 exec, exec, s[6:7]
	s_cbranch_execz .LBB19_1534
.LBB19_3584:
	v_mov_b32_e32 v3, 0
	v_cmp_ne_u16_sdwa s[8:9], v5, v3 src0_sel:BYTE_3 src1_sel:DWORD
	s_andn2_b64 s[4:5], s[4:5], exec
	s_and_b64 s[8:9], s[8:9], exec
	s_or_b64 s[4:5], s[4:5], s[8:9]
	s_or_b64 exec, exec, s[6:7]
	s_and_saveexec_b64 s[6:7], s[4:5]
	s_cbranch_execnz .LBB19_1535
	s_branch .LBB19_1536
.LBB19_3585:
	s_movk_i32 s4, 0x80
	v_cmp_eq_u16_sdwa s[12:13], v14, s4 src0_sel:BYTE_0 src1_sel:DWORD
	s_mov_b64 s[4:5], -1
                                        ; implicit-def: $sgpr10
	s_and_saveexec_b64 s[8:9], s[12:13]
; %bb.3586:
	s_mov_b32 s10, 0x7f800001
	s_xor_b64 s[4:5], exec, -1
; %bb.3587:
	s_or_b64 exec, exec, s[8:9]
	s_and_b64 s[4:5], s[4:5], exec
	s_or_saveexec_b64 s[6:7], s[6:7]
	v_mov_b32_e32 v20, s10
	s_xor_b64 exec, exec, s[6:7]
	s_cbranch_execz .LBB19_1538
.LBB19_3588:
	v_mov_b32_e32 v20, 0
	v_cmp_ne_u16_sdwa s[8:9], v14, v20 src0_sel:BYTE_0 src1_sel:DWORD
	s_andn2_b64 s[4:5], s[4:5], exec
	s_and_b64 s[8:9], s[8:9], exec
	s_or_b64 s[4:5], s[4:5], s[8:9]
	s_or_b64 exec, exec, s[6:7]
	s_and_saveexec_b64 s[6:7], s[4:5]
	s_cbranch_execnz .LBB19_1539
	s_branch .LBB19_1540
.LBB19_3589:
	s_movk_i32 s4, 0x80
	v_cmp_eq_u16_sdwa s[12:13], v10, s4 src0_sel:BYTE_0 src1_sel:DWORD
	s_mov_b64 s[4:5], -1
                                        ; implicit-def: $sgpr10
	s_and_saveexec_b64 s[8:9], s[12:13]
; %bb.3590:
	s_mov_b32 s10, 0x7f800001
	s_xor_b64 s[4:5], exec, -1
; %bb.3591:
	s_or_b64 exec, exec, s[8:9]
	s_and_b64 s[4:5], s[4:5], exec
	s_or_saveexec_b64 s[6:7], s[6:7]
	v_mov_b32_e32 v21, s10
	s_xor_b64 exec, exec, s[6:7]
	s_cbranch_execz .LBB19_1542
.LBB19_3592:
	v_mov_b32_e32 v21, 0
	v_cmp_ne_u16_sdwa s[8:9], v10, v21 src0_sel:BYTE_0 src1_sel:DWORD
	s_andn2_b64 s[4:5], s[4:5], exec
	s_and_b64 s[8:9], s[8:9], exec
	s_or_b64 s[4:5], s[4:5], s[8:9]
	s_or_b64 exec, exec, s[6:7]
	s_and_saveexec_b64 s[6:7], s[4:5]
	s_cbranch_execnz .LBB19_1543
	s_branch .LBB19_1544
.LBB19_3593:
	s_movk_i32 s4, 0x80
	v_cmp_eq_u16_sdwa s[12:13], v21, s4 src0_sel:BYTE_0 src1_sel:DWORD
	s_mov_b64 s[4:5], -1
                                        ; implicit-def: $sgpr10
	s_and_saveexec_b64 s[8:9], s[12:13]
; %bb.3594:
	s_mov_b32 s10, 0x7f800001
	s_xor_b64 s[4:5], exec, -1
; %bb.3595:
	s_or_b64 exec, exec, s[8:9]
	s_and_b64 s[4:5], s[4:5], exec
	s_or_saveexec_b64 s[6:7], s[6:7]
	v_mov_b32_e32 v20, s10
	s_xor_b64 exec, exec, s[6:7]
	s_cbranch_execz .LBB19_1546
.LBB19_3596:
	v_mov_b32_e32 v20, 0
	v_cmp_ne_u16_sdwa s[8:9], v21, v20 src0_sel:BYTE_0 src1_sel:DWORD
	s_andn2_b64 s[4:5], s[4:5], exec
	s_and_b64 s[8:9], s[8:9], exec
	s_or_b64 s[4:5], s[4:5], s[8:9]
	s_or_b64 exec, exec, s[6:7]
	s_and_saveexec_b64 s[6:7], s[4:5]
	s_cbranch_execnz .LBB19_1547
	s_branch .LBB19_1548
.LBB19_3597:
	s_movk_i32 s4, 0x80
	v_cmp_eq_u16_sdwa s[12:13], v21, s4 src0_sel:BYTE_0 src1_sel:DWORD
	s_mov_b64 s[4:5], -1
                                        ; implicit-def: $sgpr10
	s_and_saveexec_b64 s[8:9], s[12:13]
; %bb.3598:
	s_mov_b32 s10, 0x7f800001
	s_xor_b64 s[4:5], exec, -1
; %bb.3599:
	s_or_b64 exec, exec, s[8:9]
	s_and_b64 s[4:5], s[4:5], exec
	s_or_saveexec_b64 s[6:7], s[6:7]
	v_mov_b32_e32 v22, s10
	s_xor_b64 exec, exec, s[6:7]
	s_cbranch_execz .LBB19_1550
.LBB19_3600:
	v_mov_b32_e32 v22, 0
	v_cmp_ne_u16_sdwa s[8:9], v21, v22 src0_sel:BYTE_0 src1_sel:DWORD
	s_andn2_b64 s[4:5], s[4:5], exec
	s_and_b64 s[8:9], s[8:9], exec
	s_or_b64 s[4:5], s[4:5], s[8:9]
	s_or_b64 exec, exec, s[6:7]
	s_and_saveexec_b64 s[6:7], s[4:5]
	s_cbranch_execnz .LBB19_1551
	s_branch .LBB19_1552
.LBB19_3601:
	s_movk_i32 s4, 0x80
	v_cmp_eq_u16_e32 vcc, s4, v21
	s_mov_b64 s[4:5], -1
                                        ; implicit-def: $sgpr10
	s_and_saveexec_b64 s[8:9], vcc
; %bb.3602:
	s_mov_b32 s10, 0x7f800001
	s_xor_b64 s[4:5], exec, -1
; %bb.3603:
	s_or_b64 exec, exec, s[8:9]
	s_and_b64 s[4:5], s[4:5], exec
                                        ; implicit-def: $vgpr21
	s_or_saveexec_b64 s[6:7], s[6:7]
	v_mov_b32_e32 v20, s10
	s_xor_b64 exec, exec, s[6:7]
	s_cbranch_execz .LBB19_1554
.LBB19_3604:
	v_cmp_ne_u16_e32 vcc, 0, v21
	s_andn2_b64 s[4:5], s[4:5], exec
	s_and_b64 s[8:9], vcc, exec
	v_mov_b32_e32 v20, 0
	s_or_b64 s[4:5], s[4:5], s[8:9]
	s_or_b64 exec, exec, s[6:7]
	s_and_saveexec_b64 s[6:7], s[4:5]
	s_cbranch_execnz .LBB19_1555
	s_branch .LBB19_1556
.LBB19_3605:
	s_movk_i32 s4, 0x80
	v_cmp_eq_u16_e32 vcc, s4, v21
	s_mov_b64 s[4:5], -1
                                        ; implicit-def: $sgpr10
	s_and_saveexec_b64 s[8:9], vcc
; %bb.3606:
	s_mov_b32 s10, 0x7f800001
	s_xor_b64 s[4:5], exec, -1
; %bb.3607:
	s_or_b64 exec, exec, s[8:9]
	s_and_b64 s[4:5], s[4:5], exec
                                        ; implicit-def: $vgpr21
	s_or_saveexec_b64 s[6:7], s[6:7]
	v_mov_b32_e32 v22, s10
	s_xor_b64 exec, exec, s[6:7]
	s_cbranch_execz .LBB19_1558
.LBB19_3608:
	v_cmp_ne_u16_e32 vcc, 0, v21
	s_andn2_b64 s[4:5], s[4:5], exec
	s_and_b64 s[8:9], vcc, exec
	v_mov_b32_e32 v22, 0
	s_or_b64 s[4:5], s[4:5], s[8:9]
	s_or_b64 exec, exec, s[6:7]
	s_and_saveexec_b64 s[6:7], s[4:5]
	s_cbranch_execnz .LBB19_1559
	s_branch .LBB19_1560
.LBB19_3609:
	s_movk_i32 s4, 0x80
	v_cmp_eq_u16_sdwa s[12:13], v14, s4 src0_sel:BYTE_3 src1_sel:DWORD
	s_mov_b64 s[4:5], -1
                                        ; implicit-def: $sgpr10
	s_and_saveexec_b64 s[8:9], s[12:13]
; %bb.3610:
	s_mov_b32 s10, 0x7f800001
	s_xor_b64 s[4:5], exec, -1
; %bb.3611:
	s_or_b64 exec, exec, s[8:9]
	s_and_b64 s[4:5], s[4:5], exec
	s_or_saveexec_b64 s[6:7], s[6:7]
	v_mov_b32_e32 v20, s10
	s_xor_b64 exec, exec, s[6:7]
	s_cbranch_execz .LBB19_1562
.LBB19_3612:
	v_mov_b32_e32 v20, 0
	v_cmp_ne_u16_sdwa s[8:9], v14, v20 src0_sel:BYTE_3 src1_sel:DWORD
	s_andn2_b64 s[4:5], s[4:5], exec
	s_and_b64 s[8:9], s[8:9], exec
	s_or_b64 s[4:5], s[4:5], s[8:9]
	s_or_b64 exec, exec, s[6:7]
	s_and_saveexec_b64 s[6:7], s[4:5]
	s_cbranch_execnz .LBB19_1563
	s_branch .LBB19_1564
.LBB19_3613:
	s_movk_i32 s4, 0x80
	v_cmp_eq_u16_sdwa s[12:13], v10, s4 src0_sel:BYTE_3 src1_sel:DWORD
	s_mov_b64 s[4:5], -1
                                        ; implicit-def: $sgpr10
	s_and_saveexec_b64 s[8:9], s[12:13]
; %bb.3614:
	s_mov_b32 s10, 0x7f800001
	s_xor_b64 s[4:5], exec, -1
; %bb.3615:
	s_or_b64 exec, exec, s[8:9]
	s_and_b64 s[4:5], s[4:5], exec
	s_or_saveexec_b64 s[6:7], s[6:7]
	v_mov_b32_e32 v14, s10
	s_xor_b64 exec, exec, s[6:7]
	s_cbranch_execz .LBB19_1566
.LBB19_3616:
	v_mov_b32_e32 v14, 0
	v_cmp_ne_u16_sdwa s[8:9], v10, v14 src0_sel:BYTE_3 src1_sel:DWORD
	s_andn2_b64 s[4:5], s[4:5], exec
	s_and_b64 s[8:9], s[8:9], exec
	s_or_b64 s[4:5], s[4:5], s[8:9]
	s_or_b64 exec, exec, s[6:7]
	s_and_saveexec_b64 s[6:7], s[4:5]
	s_cbranch_execnz .LBB19_1567
	s_branch .LBB19_1568
.LBB19_3617:
	s_movk_i32 s4, 0x80
	v_cmp_eq_u16_sdwa s[12:13], v15, s4 src0_sel:BYTE_0 src1_sel:DWORD
	s_mov_b64 s[4:5], -1
                                        ; implicit-def: $sgpr10
	s_and_saveexec_b64 s[8:9], s[12:13]
; %bb.3618:
	s_mov_b32 s10, 0x7f800001
	s_xor_b64 s[4:5], exec, -1
; %bb.3619:
	s_or_b64 exec, exec, s[8:9]
	s_and_b64 s[4:5], s[4:5], exec
	s_or_saveexec_b64 s[6:7], s[6:7]
	v_mov_b32_e32 v10, s10
	s_xor_b64 exec, exec, s[6:7]
	s_cbranch_execz .LBB19_1570
.LBB19_3620:
	v_mov_b32_e32 v10, 0
	v_cmp_ne_u16_sdwa s[8:9], v15, v10 src0_sel:BYTE_0 src1_sel:DWORD
	s_andn2_b64 s[4:5], s[4:5], exec
	s_and_b64 s[8:9], s[8:9], exec
	s_or_b64 s[4:5], s[4:5], s[8:9]
	s_or_b64 exec, exec, s[6:7]
	s_and_saveexec_b64 s[6:7], s[4:5]
	s_cbranch_execnz .LBB19_1571
	s_branch .LBB19_1572
.LBB19_3621:
	s_movk_i32 s4, 0x80
	v_cmp_eq_u16_sdwa s[12:13], v11, s4 src0_sel:BYTE_0 src1_sel:DWORD
	s_mov_b64 s[4:5], -1
                                        ; implicit-def: $sgpr10
	s_and_saveexec_b64 s[8:9], s[12:13]
; %bb.3622:
	s_mov_b32 s10, 0x7f800001
	s_xor_b64 s[4:5], exec, -1
; %bb.3623:
	s_or_b64 exec, exec, s[8:9]
	s_and_b64 s[4:5], s[4:5], exec
	s_or_saveexec_b64 s[6:7], s[6:7]
	v_mov_b32_e32 v14, s10
	s_xor_b64 exec, exec, s[6:7]
	s_cbranch_execz .LBB19_1574
.LBB19_3624:
	v_mov_b32_e32 v14, 0
	v_cmp_ne_u16_sdwa s[8:9], v11, v14 src0_sel:BYTE_0 src1_sel:DWORD
	s_andn2_b64 s[4:5], s[4:5], exec
	s_and_b64 s[8:9], s[8:9], exec
	s_or_b64 s[4:5], s[4:5], s[8:9]
	s_or_b64 exec, exec, s[6:7]
	s_and_saveexec_b64 s[6:7], s[4:5]
	s_cbranch_execnz .LBB19_1575
	s_branch .LBB19_1576
.LBB19_3625:
	s_movk_i32 s4, 0x80
	v_cmp_eq_u16_sdwa s[12:13], v14, s4 src0_sel:BYTE_0 src1_sel:DWORD
	s_mov_b64 s[4:5], -1
                                        ; implicit-def: $sgpr10
	s_and_saveexec_b64 s[8:9], s[12:13]
; %bb.3626:
	s_mov_b32 s10, 0x7f800001
	s_xor_b64 s[4:5], exec, -1
; %bb.3627:
	s_or_b64 exec, exec, s[8:9]
	s_and_b64 s[4:5], s[4:5], exec
	s_or_saveexec_b64 s[6:7], s[6:7]
	v_mov_b32_e32 v10, s10
	s_xor_b64 exec, exec, s[6:7]
	s_cbranch_execz .LBB19_1578
.LBB19_3628:
	v_mov_b32_e32 v10, 0
	v_cmp_ne_u16_sdwa s[8:9], v14, v10 src0_sel:BYTE_0 src1_sel:DWORD
	s_andn2_b64 s[4:5], s[4:5], exec
	s_and_b64 s[8:9], s[8:9], exec
	s_or_b64 s[4:5], s[4:5], s[8:9]
	s_or_b64 exec, exec, s[6:7]
	s_and_saveexec_b64 s[6:7], s[4:5]
	s_cbranch_execnz .LBB19_1579
	s_branch .LBB19_1580
.LBB19_3629:
	s_movk_i32 s4, 0x80
	v_cmp_eq_u16_sdwa s[12:13], v14, s4 src0_sel:BYTE_0 src1_sel:DWORD
	s_mov_b64 s[4:5], -1
                                        ; implicit-def: $sgpr10
	s_and_saveexec_b64 s[8:9], s[12:13]
; %bb.3630:
	s_mov_b32 s10, 0x7f800001
	s_xor_b64 s[4:5], exec, -1
; %bb.3631:
	s_or_b64 exec, exec, s[8:9]
	s_and_b64 s[4:5], s[4:5], exec
	s_or_saveexec_b64 s[6:7], s[6:7]
	v_mov_b32_e32 v20, s10
	s_xor_b64 exec, exec, s[6:7]
	s_cbranch_execz .LBB19_1582
.LBB19_3632:
	v_mov_b32_e32 v20, 0
	v_cmp_ne_u16_sdwa s[8:9], v14, v20 src0_sel:BYTE_0 src1_sel:DWORD
	s_andn2_b64 s[4:5], s[4:5], exec
	s_and_b64 s[8:9], s[8:9], exec
	s_or_b64 s[4:5], s[4:5], s[8:9]
	s_or_b64 exec, exec, s[6:7]
	s_and_saveexec_b64 s[6:7], s[4:5]
	s_cbranch_execnz .LBB19_1583
	s_branch .LBB19_1584
.LBB19_3633:
	s_movk_i32 s4, 0x80
	v_cmp_eq_u16_e32 vcc, s4, v14
	s_mov_b64 s[4:5], -1
                                        ; implicit-def: $sgpr10
	s_and_saveexec_b64 s[8:9], vcc
; %bb.3634:
	s_mov_b32 s10, 0x7f800001
	s_xor_b64 s[4:5], exec, -1
; %bb.3635:
	s_or_b64 exec, exec, s[8:9]
	s_and_b64 s[4:5], s[4:5], exec
                                        ; implicit-def: $vgpr14
	s_or_saveexec_b64 s[6:7], s[6:7]
	v_mov_b32_e32 v10, s10
	s_xor_b64 exec, exec, s[6:7]
	s_cbranch_execz .LBB19_1586
.LBB19_3636:
	v_cmp_ne_u16_e32 vcc, 0, v14
	s_andn2_b64 s[4:5], s[4:5], exec
	s_and_b64 s[8:9], vcc, exec
	v_mov_b32_e32 v10, 0
	s_or_b64 s[4:5], s[4:5], s[8:9]
	s_or_b64 exec, exec, s[6:7]
	s_and_saveexec_b64 s[6:7], s[4:5]
	s_cbranch_execnz .LBB19_1587
	s_branch .LBB19_1588
.LBB19_3637:
	s_movk_i32 s4, 0x80
	v_cmp_eq_u16_e32 vcc, s4, v14
	s_mov_b64 s[4:5], -1
                                        ; implicit-def: $sgpr10
	s_and_saveexec_b64 s[8:9], vcc
; %bb.3638:
	s_mov_b32 s10, 0x7f800001
	s_xor_b64 s[4:5], exec, -1
; %bb.3639:
	s_or_b64 exec, exec, s[8:9]
	s_and_b64 s[4:5], s[4:5], exec
                                        ; implicit-def: $vgpr14
	s_or_saveexec_b64 s[6:7], s[6:7]
	v_mov_b32_e32 v20, s10
	s_xor_b64 exec, exec, s[6:7]
	s_cbranch_execz .LBB19_1590
.LBB19_3640:
	v_cmp_ne_u16_e32 vcc, 0, v14
	s_andn2_b64 s[4:5], s[4:5], exec
	s_and_b64 s[8:9], vcc, exec
	v_mov_b32_e32 v20, 0
	s_or_b64 s[4:5], s[4:5], s[8:9]
	s_or_b64 exec, exec, s[6:7]
	s_and_saveexec_b64 s[6:7], s[4:5]
	s_cbranch_execnz .LBB19_1591
	s_branch .LBB19_1592
.LBB19_3641:
	s_movk_i32 s4, 0x80
	v_cmp_eq_u16_sdwa s[12:13], v15, s4 src0_sel:BYTE_3 src1_sel:DWORD
	s_mov_b64 s[4:5], -1
                                        ; implicit-def: $sgpr10
	s_and_saveexec_b64 s[8:9], s[12:13]
; %bb.3642:
	s_mov_b32 s10, 0x7f800001
	s_xor_b64 s[4:5], exec, -1
; %bb.3643:
	s_or_b64 exec, exec, s[8:9]
	s_and_b64 s[4:5], s[4:5], exec
	s_or_saveexec_b64 s[6:7], s[6:7]
	v_mov_b32_e32 v10, s10
	s_xor_b64 exec, exec, s[6:7]
	s_cbranch_execz .LBB19_1594
.LBB19_3644:
	v_mov_b32_e32 v10, 0
	v_cmp_ne_u16_sdwa s[8:9], v15, v10 src0_sel:BYTE_3 src1_sel:DWORD
	s_andn2_b64 s[4:5], s[4:5], exec
	s_and_b64 s[8:9], s[8:9], exec
	s_or_b64 s[4:5], s[4:5], s[8:9]
	s_or_b64 exec, exec, s[6:7]
	s_and_saveexec_b64 s[6:7], s[4:5]
	s_cbranch_execnz .LBB19_1595
	s_branch .LBB19_1596
.LBB19_3645:
	s_movk_i32 s4, 0x80
	v_cmp_eq_u16_sdwa s[12:13], v11, s4 src0_sel:BYTE_3 src1_sel:DWORD
	s_mov_b64 s[4:5], -1
                                        ; implicit-def: $sgpr10
	s_and_saveexec_b64 s[8:9], s[12:13]
; %bb.3646:
	s_mov_b32 s10, 0x7f800001
	s_xor_b64 s[4:5], exec, -1
; %bb.3647:
	s_or_b64 exec, exec, s[8:9]
	s_and_b64 s[4:5], s[4:5], exec
	s_or_saveexec_b64 s[6:7], s[6:7]
	v_mov_b32_e32 v14, s10
	s_xor_b64 exec, exec, s[6:7]
	s_cbranch_execz .LBB19_1598
.LBB19_3648:
	v_mov_b32_e32 v14, 0
	v_cmp_ne_u16_sdwa s[8:9], v11, v14 src0_sel:BYTE_3 src1_sel:DWORD
	s_andn2_b64 s[4:5], s[4:5], exec
	s_and_b64 s[8:9], s[8:9], exec
	s_or_b64 s[4:5], s[4:5], s[8:9]
	s_or_b64 exec, exec, s[6:7]
	s_and_saveexec_b64 s[6:7], s[4:5]
	s_cbranch_execnz .LBB19_1599
	s_branch .LBB19_1600
.LBB19_3649:
	s_movk_i32 s4, 0x80
	v_cmp_eq_u16_sdwa s[12:13], v16, s4 src0_sel:BYTE_0 src1_sel:DWORD
	s_mov_b64 s[4:5], -1
                                        ; implicit-def: $sgpr10
	s_and_saveexec_b64 s[8:9], s[12:13]
; %bb.3650:
	s_mov_b32 s10, 0x7f800001
	s_xor_b64 s[4:5], exec, -1
; %bb.3651:
	s_or_b64 exec, exec, s[8:9]
	s_and_b64 s[4:5], s[4:5], exec
	s_or_saveexec_b64 s[6:7], s[6:7]
	v_mov_b32_e32 v10, s10
	s_xor_b64 exec, exec, s[6:7]
	s_cbranch_execz .LBB19_1602
.LBB19_3652:
	v_mov_b32_e32 v10, 0
	v_cmp_ne_u16_sdwa s[8:9], v16, v10 src0_sel:BYTE_0 src1_sel:DWORD
	s_andn2_b64 s[4:5], s[4:5], exec
	s_and_b64 s[8:9], s[8:9], exec
	s_or_b64 s[4:5], s[4:5], s[8:9]
	s_or_b64 exec, exec, s[6:7]
	s_and_saveexec_b64 s[6:7], s[4:5]
	s_cbranch_execnz .LBB19_1603
	s_branch .LBB19_1604
.LBB19_3653:
	s_movk_i32 s4, 0x80
	v_cmp_eq_u16_sdwa s[12:13], v12, s4 src0_sel:BYTE_0 src1_sel:DWORD
	s_mov_b64 s[4:5], -1
                                        ; implicit-def: $sgpr10
	s_and_saveexec_b64 s[8:9], s[12:13]
; %bb.3654:
	s_mov_b32 s10, 0x7f800001
	s_xor_b64 s[4:5], exec, -1
; %bb.3655:
	s_or_b64 exec, exec, s[8:9]
	s_and_b64 s[4:5], s[4:5], exec
	s_or_saveexec_b64 s[6:7], s[6:7]
	v_mov_b32_e32 v11, s10
	s_xor_b64 exec, exec, s[6:7]
	s_cbranch_execz .LBB19_1606
.LBB19_3656:
	v_mov_b32_e32 v11, 0
	v_cmp_ne_u16_sdwa s[8:9], v12, v11 src0_sel:BYTE_0 src1_sel:DWORD
	s_andn2_b64 s[4:5], s[4:5], exec
	s_and_b64 s[8:9], s[8:9], exec
	s_or_b64 s[4:5], s[4:5], s[8:9]
	s_or_b64 exec, exec, s[6:7]
	s_and_saveexec_b64 s[6:7], s[4:5]
	s_cbranch_execnz .LBB19_1607
	s_branch .LBB19_1608
.LBB19_3657:
	s_movk_i32 s4, 0x80
	v_cmp_eq_u16_sdwa s[12:13], v11, s4 src0_sel:BYTE_0 src1_sel:DWORD
	s_mov_b64 s[4:5], -1
                                        ; implicit-def: $sgpr10
	s_and_saveexec_b64 s[8:9], s[12:13]
; %bb.3658:
	s_mov_b32 s10, 0x7f800001
	s_xor_b64 s[4:5], exec, -1
; %bb.3659:
	s_or_b64 exec, exec, s[8:9]
	s_and_b64 s[4:5], s[4:5], exec
	s_or_saveexec_b64 s[6:7], s[6:7]
	v_mov_b32_e32 v10, s10
	s_xor_b64 exec, exec, s[6:7]
	s_cbranch_execz .LBB19_1610
.LBB19_3660:
	v_mov_b32_e32 v10, 0
	v_cmp_ne_u16_sdwa s[8:9], v11, v10 src0_sel:BYTE_0 src1_sel:DWORD
	s_andn2_b64 s[4:5], s[4:5], exec
	s_and_b64 s[8:9], s[8:9], exec
	s_or_b64 s[4:5], s[4:5], s[8:9]
	s_or_b64 exec, exec, s[6:7]
	s_and_saveexec_b64 s[6:7], s[4:5]
	s_cbranch_execnz .LBB19_1611
	s_branch .LBB19_1612
.LBB19_3661:
	s_movk_i32 s4, 0x80
	v_cmp_eq_u16_sdwa s[12:13], v11, s4 src0_sel:BYTE_0 src1_sel:DWORD
	s_mov_b64 s[4:5], -1
                                        ; implicit-def: $sgpr10
	s_and_saveexec_b64 s[8:9], s[12:13]
; %bb.3662:
	s_mov_b32 s10, 0x7f800001
	s_xor_b64 s[4:5], exec, -1
; %bb.3663:
	s_or_b64 exec, exec, s[8:9]
	s_and_b64 s[4:5], s[4:5], exec
	s_or_saveexec_b64 s[6:7], s[6:7]
	v_mov_b32_e32 v14, s10
	s_xor_b64 exec, exec, s[6:7]
	s_cbranch_execz .LBB19_1614
.LBB19_3664:
	v_mov_b32_e32 v14, 0
	v_cmp_ne_u16_sdwa s[8:9], v11, v14 src0_sel:BYTE_0 src1_sel:DWORD
	s_andn2_b64 s[4:5], s[4:5], exec
	s_and_b64 s[8:9], s[8:9], exec
	s_or_b64 s[4:5], s[4:5], s[8:9]
	s_or_b64 exec, exec, s[6:7]
	s_and_saveexec_b64 s[6:7], s[4:5]
	s_cbranch_execnz .LBB19_1615
	s_branch .LBB19_1616
.LBB19_3665:
	s_movk_i32 s4, 0x80
	v_cmp_eq_u16_e32 vcc, s4, v11
	s_mov_b64 s[4:5], -1
                                        ; implicit-def: $sgpr10
	s_and_saveexec_b64 s[8:9], vcc
; %bb.3666:
	s_mov_b32 s10, 0x7f800001
	s_xor_b64 s[4:5], exec, -1
; %bb.3667:
	s_or_b64 exec, exec, s[8:9]
	s_and_b64 s[4:5], s[4:5], exec
                                        ; implicit-def: $vgpr11
	s_or_saveexec_b64 s[6:7], s[6:7]
	v_mov_b32_e32 v10, s10
	s_xor_b64 exec, exec, s[6:7]
	s_cbranch_execz .LBB19_1618
.LBB19_3668:
	v_cmp_ne_u16_e32 vcc, 0, v11
	s_andn2_b64 s[4:5], s[4:5], exec
	s_and_b64 s[8:9], vcc, exec
	v_mov_b32_e32 v10, 0
	s_or_b64 s[4:5], s[4:5], s[8:9]
	s_or_b64 exec, exec, s[6:7]
	s_and_saveexec_b64 s[6:7], s[4:5]
	s_cbranch_execnz .LBB19_1619
	s_branch .LBB19_1620
.LBB19_3669:
	s_movk_i32 s4, 0x80
	v_cmp_eq_u16_e32 vcc, s4, v11
	s_mov_b64 s[4:5], -1
                                        ; implicit-def: $sgpr10
	s_and_saveexec_b64 s[8:9], vcc
; %bb.3670:
	s_mov_b32 s10, 0x7f800001
	s_xor_b64 s[4:5], exec, -1
; %bb.3671:
	s_or_b64 exec, exec, s[8:9]
	s_and_b64 s[4:5], s[4:5], exec
                                        ; implicit-def: $vgpr11
	s_or_saveexec_b64 s[6:7], s[6:7]
	v_mov_b32_e32 v14, s10
	s_xor_b64 exec, exec, s[6:7]
	s_cbranch_execz .LBB19_1622
.LBB19_3672:
	v_cmp_ne_u16_e32 vcc, 0, v11
	s_andn2_b64 s[4:5], s[4:5], exec
	s_and_b64 s[8:9], vcc, exec
	v_mov_b32_e32 v14, 0
	s_or_b64 s[4:5], s[4:5], s[8:9]
	s_or_b64 exec, exec, s[6:7]
	s_and_saveexec_b64 s[6:7], s[4:5]
	s_cbranch_execnz .LBB19_1623
	s_branch .LBB19_1624
.LBB19_3673:
	s_movk_i32 s4, 0x80
	v_cmp_eq_u16_sdwa s[12:13], v16, s4 src0_sel:BYTE_3 src1_sel:DWORD
	s_mov_b64 s[4:5], -1
                                        ; implicit-def: $sgpr10
	s_and_saveexec_b64 s[8:9], s[12:13]
; %bb.3674:
	s_mov_b32 s10, 0x7f800001
	s_xor_b64 s[4:5], exec, -1
; %bb.3675:
	s_or_b64 exec, exec, s[8:9]
	s_and_b64 s[4:5], s[4:5], exec
	s_or_saveexec_b64 s[6:7], s[6:7]
	v_mov_b32_e32 v10, s10
	s_xor_b64 exec, exec, s[6:7]
	s_cbranch_execz .LBB19_1626
.LBB19_3676:
	v_mov_b32_e32 v10, 0
	v_cmp_ne_u16_sdwa s[8:9], v16, v10 src0_sel:BYTE_3 src1_sel:DWORD
	s_andn2_b64 s[4:5], s[4:5], exec
	s_and_b64 s[8:9], s[8:9], exec
	s_or_b64 s[4:5], s[4:5], s[8:9]
	s_or_b64 exec, exec, s[6:7]
	s_and_saveexec_b64 s[6:7], s[4:5]
	s_cbranch_execnz .LBB19_1627
	s_branch .LBB19_1628
.LBB19_3677:
	s_movk_i32 s4, 0x80
	v_cmp_eq_u16_sdwa s[12:13], v12, s4 src0_sel:BYTE_3 src1_sel:DWORD
	s_mov_b64 s[4:5], -1
                                        ; implicit-def: $sgpr10
	s_and_saveexec_b64 s[8:9], s[12:13]
; %bb.3678:
	s_mov_b32 s10, 0x7f800001
	s_xor_b64 s[4:5], exec, -1
; %bb.3679:
	s_or_b64 exec, exec, s[8:9]
	s_and_b64 s[4:5], s[4:5], exec
	s_or_saveexec_b64 s[6:7], s[6:7]
	v_mov_b32_e32 v11, s10
	s_xor_b64 exec, exec, s[6:7]
	s_cbranch_execz .LBB19_1630
.LBB19_3680:
	v_mov_b32_e32 v11, 0
	v_cmp_ne_u16_sdwa s[8:9], v12, v11 src0_sel:BYTE_3 src1_sel:DWORD
	s_andn2_b64 s[4:5], s[4:5], exec
	s_and_b64 s[8:9], s[8:9], exec
	s_or_b64 s[4:5], s[4:5], s[8:9]
	s_or_b64 exec, exec, s[6:7]
	s_and_saveexec_b64 s[6:7], s[4:5]
	s_cbranch_execnz .LBB19_1631
	s_branch .LBB19_1632
.LBB19_3681:
	s_movk_i32 s4, 0x80
	v_cmp_eq_u16_sdwa s[12:13], v17, s4 src0_sel:BYTE_0 src1_sel:DWORD
	s_mov_b64 s[4:5], -1
                                        ; implicit-def: $sgpr10
	s_and_saveexec_b64 s[8:9], s[12:13]
; %bb.3682:
	s_mov_b32 s10, 0x7f800001
	s_xor_b64 s[4:5], exec, -1
; %bb.3683:
	s_or_b64 exec, exec, s[8:9]
	s_and_b64 s[4:5], s[4:5], exec
	s_or_saveexec_b64 s[6:7], s[6:7]
	v_mov_b32_e32 v10, s10
	s_xor_b64 exec, exec, s[6:7]
	s_cbranch_execz .LBB19_1634
.LBB19_3684:
	v_mov_b32_e32 v10, 0
	v_cmp_ne_u16_sdwa s[8:9], v17, v10 src0_sel:BYTE_0 src1_sel:DWORD
	s_andn2_b64 s[4:5], s[4:5], exec
	s_and_b64 s[8:9], s[8:9], exec
	s_or_b64 s[4:5], s[4:5], s[8:9]
	s_or_b64 exec, exec, s[6:7]
	s_and_saveexec_b64 s[6:7], s[4:5]
	s_cbranch_execnz .LBB19_1635
	s_branch .LBB19_1636
.LBB19_3685:
	s_movk_i32 s4, 0x80
	v_cmp_eq_u16_sdwa s[12:13], v13, s4 src0_sel:BYTE_0 src1_sel:DWORD
	s_mov_b64 s[4:5], -1
                                        ; implicit-def: $sgpr10
	s_and_saveexec_b64 s[8:9], s[12:13]
; %bb.3686:
	s_mov_b32 s10, 0x7f800001
	s_xor_b64 s[4:5], exec, -1
; %bb.3687:
	s_or_b64 exec, exec, s[8:9]
	s_and_b64 s[4:5], s[4:5], exec
	s_or_saveexec_b64 s[6:7], s[6:7]
	v_mov_b32_e32 v11, s10
	s_xor_b64 exec, exec, s[6:7]
	s_cbranch_execz .LBB19_1638
.LBB19_3688:
	v_mov_b32_e32 v11, 0
	v_cmp_ne_u16_sdwa s[8:9], v13, v11 src0_sel:BYTE_0 src1_sel:DWORD
	s_andn2_b64 s[4:5], s[4:5], exec
	s_and_b64 s[8:9], s[8:9], exec
	s_or_b64 s[4:5], s[4:5], s[8:9]
	s_or_b64 exec, exec, s[6:7]
	s_and_saveexec_b64 s[6:7], s[4:5]
	s_cbranch_execnz .LBB19_1639
	s_branch .LBB19_1640
.LBB19_3689:
	s_movk_i32 s4, 0x80
	v_cmp_eq_u16_sdwa s[12:13], v11, s4 src0_sel:BYTE_0 src1_sel:DWORD
	s_mov_b64 s[4:5], -1
                                        ; implicit-def: $sgpr10
	s_and_saveexec_b64 s[8:9], s[12:13]
; %bb.3690:
	s_mov_b32 s10, 0x7f800001
	s_xor_b64 s[4:5], exec, -1
; %bb.3691:
	s_or_b64 exec, exec, s[8:9]
	s_and_b64 s[4:5], s[4:5], exec
	s_or_saveexec_b64 s[6:7], s[6:7]
	v_mov_b32_e32 v10, s10
	s_xor_b64 exec, exec, s[6:7]
	s_cbranch_execz .LBB19_1642
.LBB19_3692:
	v_mov_b32_e32 v10, 0
	v_cmp_ne_u16_sdwa s[8:9], v11, v10 src0_sel:BYTE_0 src1_sel:DWORD
	s_andn2_b64 s[4:5], s[4:5], exec
	s_and_b64 s[8:9], s[8:9], exec
	s_or_b64 s[4:5], s[4:5], s[8:9]
	s_or_b64 exec, exec, s[6:7]
	s_and_saveexec_b64 s[6:7], s[4:5]
	s_cbranch_execnz .LBB19_1643
	s_branch .LBB19_1644
.LBB19_3693:
	s_movk_i32 s4, 0x80
	v_cmp_eq_u16_sdwa s[12:13], v11, s4 src0_sel:BYTE_0 src1_sel:DWORD
	s_mov_b64 s[4:5], -1
                                        ; implicit-def: $sgpr10
	s_and_saveexec_b64 s[8:9], s[12:13]
; %bb.3694:
	s_mov_b32 s10, 0x7f800001
	s_xor_b64 s[4:5], exec, -1
; %bb.3695:
	s_or_b64 exec, exec, s[8:9]
	s_and_b64 s[4:5], s[4:5], exec
	s_or_saveexec_b64 s[6:7], s[6:7]
	v_mov_b32_e32 v12, s10
	s_xor_b64 exec, exec, s[6:7]
	s_cbranch_execz .LBB19_1646
.LBB19_3696:
	v_mov_b32_e32 v12, 0
	v_cmp_ne_u16_sdwa s[8:9], v11, v12 src0_sel:BYTE_0 src1_sel:DWORD
	s_andn2_b64 s[4:5], s[4:5], exec
	s_and_b64 s[8:9], s[8:9], exec
	s_or_b64 s[4:5], s[4:5], s[8:9]
	s_or_b64 exec, exec, s[6:7]
	s_and_saveexec_b64 s[6:7], s[4:5]
	s_cbranch_execnz .LBB19_1647
	s_branch .LBB19_1648
.LBB19_3697:
	s_movk_i32 s4, 0x80
	v_cmp_eq_u16_e32 vcc, s4, v11
	s_mov_b64 s[4:5], -1
                                        ; implicit-def: $sgpr10
	s_and_saveexec_b64 s[8:9], vcc
; %bb.3698:
	s_mov_b32 s10, 0x7f800001
	s_xor_b64 s[4:5], exec, -1
; %bb.3699:
	s_or_b64 exec, exec, s[8:9]
	s_and_b64 s[4:5], s[4:5], exec
                                        ; implicit-def: $vgpr11
	s_or_saveexec_b64 s[6:7], s[6:7]
	v_mov_b32_e32 v10, s10
	s_xor_b64 exec, exec, s[6:7]
	s_cbranch_execz .LBB19_1650
.LBB19_3700:
	v_cmp_ne_u16_e32 vcc, 0, v11
	s_andn2_b64 s[4:5], s[4:5], exec
	s_and_b64 s[8:9], vcc, exec
	v_mov_b32_e32 v10, 0
	s_or_b64 s[4:5], s[4:5], s[8:9]
	s_or_b64 exec, exec, s[6:7]
	s_and_saveexec_b64 s[6:7], s[4:5]
	s_cbranch_execnz .LBB19_1651
	s_branch .LBB19_1652
.LBB19_3701:
	s_movk_i32 s4, 0x80
	v_cmp_eq_u16_e32 vcc, s4, v11
	s_mov_b64 s[4:5], -1
                                        ; implicit-def: $sgpr10
	s_and_saveexec_b64 s[8:9], vcc
; %bb.3702:
	s_mov_b32 s10, 0x7f800001
	s_xor_b64 s[4:5], exec, -1
; %bb.3703:
	s_or_b64 exec, exec, s[8:9]
	s_and_b64 s[4:5], s[4:5], exec
                                        ; implicit-def: $vgpr11
	s_or_saveexec_b64 s[6:7], s[6:7]
	v_mov_b32_e32 v12, s10
	s_xor_b64 exec, exec, s[6:7]
	s_cbranch_execz .LBB19_1654
.LBB19_3704:
	v_cmp_ne_u16_e32 vcc, 0, v11
	s_andn2_b64 s[4:5], s[4:5], exec
	s_and_b64 s[8:9], vcc, exec
	v_mov_b32_e32 v12, 0
	s_or_b64 s[4:5], s[4:5], s[8:9]
	s_or_b64 exec, exec, s[6:7]
	s_and_saveexec_b64 s[6:7], s[4:5]
	s_cbranch_execnz .LBB19_1655
	s_branch .LBB19_1656
.LBB19_3705:
	s_movk_i32 s4, 0x80
	v_cmp_eq_u16_sdwa s[12:13], v17, s4 src0_sel:BYTE_3 src1_sel:DWORD
	s_mov_b64 s[4:5], -1
                                        ; implicit-def: $sgpr10
	s_and_saveexec_b64 s[8:9], s[12:13]
; %bb.3706:
	s_mov_b32 s10, 0x7f800001
	s_xor_b64 s[4:5], exec, -1
; %bb.3707:
	s_or_b64 exec, exec, s[8:9]
	s_and_b64 s[4:5], s[4:5], exec
	s_or_saveexec_b64 s[6:7], s[6:7]
	v_mov_b32_e32 v10, s10
	s_xor_b64 exec, exec, s[6:7]
	s_cbranch_execz .LBB19_1658
.LBB19_3708:
	v_mov_b32_e32 v10, 0
	v_cmp_ne_u16_sdwa s[8:9], v17, v10 src0_sel:BYTE_3 src1_sel:DWORD
	s_andn2_b64 s[4:5], s[4:5], exec
	s_and_b64 s[8:9], s[8:9], exec
	s_or_b64 s[4:5], s[4:5], s[8:9]
	s_or_b64 exec, exec, s[6:7]
	s_and_saveexec_b64 s[6:7], s[4:5]
	s_cbranch_execnz .LBB19_1659
	s_branch .LBB19_1660
.LBB19_3709:
	s_movk_i32 s4, 0x80
	v_cmp_eq_u16_sdwa s[12:13], v13, s4 src0_sel:BYTE_3 src1_sel:DWORD
	s_mov_b64 s[4:5], -1
                                        ; implicit-def: $sgpr10
	s_and_saveexec_b64 s[8:9], s[12:13]
; %bb.3710:
	s_mov_b32 s10, 0x7f800001
	s_xor_b64 s[4:5], exec, -1
; %bb.3711:
	s_or_b64 exec, exec, s[8:9]
	s_and_b64 s[4:5], s[4:5], exec
	s_or_saveexec_b64 s[6:7], s[6:7]
	v_mov_b32_e32 v11, s10
	s_xor_b64 exec, exec, s[6:7]
	s_cbranch_execz .LBB19_1662
.LBB19_3712:
	v_mov_b32_e32 v11, 0
	v_cmp_ne_u16_sdwa s[8:9], v13, v11 src0_sel:BYTE_3 src1_sel:DWORD
	s_andn2_b64 s[4:5], s[4:5], exec
	s_and_b64 s[8:9], s[8:9], exec
	s_or_b64 s[4:5], s[4:5], s[8:9]
	s_or_b64 exec, exec, s[6:7]
	s_and_saveexec_b64 s[6:7], s[4:5]
	s_cbranch_execnz .LBB19_1663
	s_branch .LBB19_1664
.LBB19_3713:
	s_movk_i32 s4, 0x80
	v_cmp_eq_u16_sdwa s[12:13], v6, s4 src0_sel:BYTE_0 src1_sel:DWORD
	s_mov_b64 s[4:5], -1
                                        ; implicit-def: $sgpr10
	s_and_saveexec_b64 s[8:9], s[12:13]
; %bb.3714:
	s_mov_b32 s10, 0x7f800001
	s_xor_b64 s[4:5], exec, -1
; %bb.3715:
	s_or_b64 exec, exec, s[8:9]
	s_and_b64 s[4:5], s[4:5], exec
	s_or_saveexec_b64 s[6:7], s[6:7]
	v_mov_b32_e32 v10, s10
	s_xor_b64 exec, exec, s[6:7]
	s_cbranch_execz .LBB19_1666
.LBB19_3716:
	v_mov_b32_e32 v10, 0
	v_cmp_ne_u16_sdwa s[8:9], v6, v10 src0_sel:BYTE_0 src1_sel:DWORD
	s_andn2_b64 s[4:5], s[4:5], exec
	s_and_b64 s[8:9], s[8:9], exec
	s_or_b64 s[4:5], s[4:5], s[8:9]
	s_or_b64 exec, exec, s[6:7]
	s_and_saveexec_b64 s[6:7], s[4:5]
	s_cbranch_execnz .LBB19_1667
	s_branch .LBB19_1668
.LBB19_3717:
	s_movk_i32 s4, 0x80
	v_cmp_eq_u16_sdwa s[12:13], v2, s4 src0_sel:BYTE_0 src1_sel:DWORD
	s_mov_b64 s[4:5], -1
                                        ; implicit-def: $sgpr10
	s_and_saveexec_b64 s[8:9], s[12:13]
; %bb.3718:
	s_mov_b32 s10, 0x7f800001
	s_xor_b64 s[4:5], exec, -1
; %bb.3719:
	s_or_b64 exec, exec, s[8:9]
	s_and_b64 s[4:5], s[4:5], exec
	s_or_saveexec_b64 s[6:7], s[6:7]
	v_mov_b32_e32 v11, s10
	s_xor_b64 exec, exec, s[6:7]
	s_cbranch_execz .LBB19_1670
.LBB19_3720:
	v_mov_b32_e32 v11, 0
	v_cmp_ne_u16_sdwa s[8:9], v2, v11 src0_sel:BYTE_0 src1_sel:DWORD
	s_andn2_b64 s[4:5], s[4:5], exec
	s_and_b64 s[8:9], s[8:9], exec
	s_or_b64 s[4:5], s[4:5], s[8:9]
	s_or_b64 exec, exec, s[6:7]
	s_and_saveexec_b64 s[6:7], s[4:5]
	s_cbranch_execnz .LBB19_1671
	s_branch .LBB19_1672
.LBB19_3721:
	s_movk_i32 s4, 0x80
	v_cmp_eq_u16_sdwa s[12:13], v11, s4 src0_sel:BYTE_0 src1_sel:DWORD
	s_mov_b64 s[4:5], -1
                                        ; implicit-def: $sgpr10
	s_and_saveexec_b64 s[8:9], s[12:13]
; %bb.3722:
	s_mov_b32 s10, 0x7f800001
	s_xor_b64 s[4:5], exec, -1
; %bb.3723:
	s_or_b64 exec, exec, s[8:9]
	s_and_b64 s[4:5], s[4:5], exec
	s_or_saveexec_b64 s[6:7], s[6:7]
	v_mov_b32_e32 v10, s10
	s_xor_b64 exec, exec, s[6:7]
	s_cbranch_execz .LBB19_1674
.LBB19_3724:
	v_mov_b32_e32 v10, 0
	v_cmp_ne_u16_sdwa s[8:9], v11, v10 src0_sel:BYTE_0 src1_sel:DWORD
	s_andn2_b64 s[4:5], s[4:5], exec
	s_and_b64 s[8:9], s[8:9], exec
	s_or_b64 s[4:5], s[4:5], s[8:9]
	s_or_b64 exec, exec, s[6:7]
	s_and_saveexec_b64 s[6:7], s[4:5]
	s_cbranch_execnz .LBB19_1675
	s_branch .LBB19_1676
.LBB19_3725:
	s_movk_i32 s4, 0x80
	v_cmp_eq_u16_sdwa s[12:13], v11, s4 src0_sel:BYTE_0 src1_sel:DWORD
	s_mov_b64 s[4:5], -1
                                        ; implicit-def: $sgpr10
	s_and_saveexec_b64 s[8:9], s[12:13]
; %bb.3726:
	s_mov_b32 s10, 0x7f800001
	s_xor_b64 s[4:5], exec, -1
; %bb.3727:
	s_or_b64 exec, exec, s[8:9]
	s_and_b64 s[4:5], s[4:5], exec
	s_or_saveexec_b64 s[6:7], s[6:7]
	v_mov_b32_e32 v12, s10
	s_xor_b64 exec, exec, s[6:7]
	s_cbranch_execz .LBB19_1678
.LBB19_3728:
	v_mov_b32_e32 v12, 0
	v_cmp_ne_u16_sdwa s[8:9], v11, v12 src0_sel:BYTE_0 src1_sel:DWORD
	s_andn2_b64 s[4:5], s[4:5], exec
	s_and_b64 s[8:9], s[8:9], exec
	s_or_b64 s[4:5], s[4:5], s[8:9]
	s_or_b64 exec, exec, s[6:7]
	s_and_saveexec_b64 s[6:7], s[4:5]
	s_cbranch_execnz .LBB19_1679
	s_branch .LBB19_1680
.LBB19_3729:
	s_movk_i32 s4, 0x80
	v_cmp_eq_u16_e32 vcc, s4, v11
	s_mov_b64 s[4:5], -1
                                        ; implicit-def: $sgpr10
	s_and_saveexec_b64 s[8:9], vcc
; %bb.3730:
	s_mov_b32 s10, 0x7f800001
	s_xor_b64 s[4:5], exec, -1
; %bb.3731:
	s_or_b64 exec, exec, s[8:9]
	s_and_b64 s[4:5], s[4:5], exec
                                        ; implicit-def: $vgpr11
	s_or_saveexec_b64 s[6:7], s[6:7]
	v_mov_b32_e32 v10, s10
	s_xor_b64 exec, exec, s[6:7]
	s_cbranch_execz .LBB19_1682
.LBB19_3732:
	v_cmp_ne_u16_e32 vcc, 0, v11
	s_andn2_b64 s[4:5], s[4:5], exec
	s_and_b64 s[8:9], vcc, exec
	v_mov_b32_e32 v10, 0
	s_or_b64 s[4:5], s[4:5], s[8:9]
	s_or_b64 exec, exec, s[6:7]
	s_and_saveexec_b64 s[6:7], s[4:5]
	s_cbranch_execnz .LBB19_1683
	s_branch .LBB19_1684
.LBB19_3733:
	s_movk_i32 s4, 0x80
	v_cmp_eq_u16_e32 vcc, s4, v11
	s_mov_b64 s[4:5], -1
                                        ; implicit-def: $sgpr10
	s_and_saveexec_b64 s[8:9], vcc
; %bb.3734:
	s_mov_b32 s10, 0x7f800001
	s_xor_b64 s[4:5], exec, -1
; %bb.3735:
	s_or_b64 exec, exec, s[8:9]
	s_and_b64 s[4:5], s[4:5], exec
                                        ; implicit-def: $vgpr11
	s_or_saveexec_b64 s[6:7], s[6:7]
	v_mov_b32_e32 v12, s10
	s_xor_b64 exec, exec, s[6:7]
	s_cbranch_execz .LBB19_1686
.LBB19_3736:
	v_cmp_ne_u16_e32 vcc, 0, v11
	s_andn2_b64 s[4:5], s[4:5], exec
	s_and_b64 s[8:9], vcc, exec
	v_mov_b32_e32 v12, 0
	s_or_b64 s[4:5], s[4:5], s[8:9]
	s_or_b64 exec, exec, s[6:7]
	s_and_saveexec_b64 s[6:7], s[4:5]
	s_cbranch_execnz .LBB19_1687
	s_branch .LBB19_1688
.LBB19_3737:
	s_movk_i32 s4, 0x80
	v_cmp_eq_u16_sdwa s[12:13], v6, s4 src0_sel:BYTE_3 src1_sel:DWORD
	s_mov_b64 s[4:5], -1
                                        ; implicit-def: $sgpr10
	s_and_saveexec_b64 s[8:9], s[12:13]
; %bb.3738:
	s_mov_b32 s10, 0x7f800001
	s_xor_b64 s[4:5], exec, -1
; %bb.3739:
	s_or_b64 exec, exec, s[8:9]
	s_and_b64 s[4:5], s[4:5], exec
	s_or_saveexec_b64 s[6:7], s[6:7]
	v_mov_b32_e32 v10, s10
	s_xor_b64 exec, exec, s[6:7]
	s_cbranch_execz .LBB19_1690
.LBB19_3740:
	v_mov_b32_e32 v10, 0
	v_cmp_ne_u16_sdwa s[8:9], v6, v10 src0_sel:BYTE_3 src1_sel:DWORD
	s_andn2_b64 s[4:5], s[4:5], exec
	s_and_b64 s[8:9], s[8:9], exec
	s_or_b64 s[4:5], s[4:5], s[8:9]
	s_or_b64 exec, exec, s[6:7]
	s_and_saveexec_b64 s[6:7], s[4:5]
	s_cbranch_execnz .LBB19_1691
	s_branch .LBB19_1692
.LBB19_3741:
	s_movk_i32 s4, 0x80
	v_cmp_eq_u16_sdwa s[12:13], v2, s4 src0_sel:BYTE_3 src1_sel:DWORD
	s_mov_b64 s[4:5], -1
                                        ; implicit-def: $sgpr10
	s_and_saveexec_b64 s[8:9], s[12:13]
; %bb.3742:
	s_mov_b32 s10, 0x7f800001
	s_xor_b64 s[4:5], exec, -1
; %bb.3743:
	s_or_b64 exec, exec, s[8:9]
	s_and_b64 s[4:5], s[4:5], exec
	s_or_saveexec_b64 s[6:7], s[6:7]
	v_mov_b32_e32 v6, s10
	s_xor_b64 exec, exec, s[6:7]
	s_cbranch_execz .LBB19_1694
.LBB19_3744:
	v_mov_b32_e32 v6, 0
	v_cmp_ne_u16_sdwa s[8:9], v2, v6 src0_sel:BYTE_3 src1_sel:DWORD
	s_andn2_b64 s[4:5], s[4:5], exec
	s_and_b64 s[8:9], s[8:9], exec
	s_or_b64 s[4:5], s[4:5], s[8:9]
	s_or_b64 exec, exec, s[6:7]
	s_and_saveexec_b64 s[6:7], s[4:5]
	s_cbranch_execnz .LBB19_1695
	s_branch .LBB19_1696
.LBB19_3745:
	s_movk_i32 s4, 0x80
	v_cmp_eq_u16_sdwa s[12:13], v7, s4 src0_sel:BYTE_0 src1_sel:DWORD
	s_mov_b64 s[4:5], -1
                                        ; implicit-def: $sgpr10
	s_and_saveexec_b64 s[8:9], s[12:13]
; %bb.3746:
	s_mov_b32 s10, 0x7f800001
	s_xor_b64 s[4:5], exec, -1
; %bb.3747:
	s_or_b64 exec, exec, s[8:9]
	s_and_b64 s[4:5], s[4:5], exec
	s_or_saveexec_b64 s[6:7], s[6:7]
	v_mov_b32_e32 v2, s10
	s_xor_b64 exec, exec, s[6:7]
	s_cbranch_execz .LBB19_1698
.LBB19_3748:
	v_mov_b32_e32 v2, 0
	v_cmp_ne_u16_sdwa s[8:9], v7, v2 src0_sel:BYTE_0 src1_sel:DWORD
	s_andn2_b64 s[4:5], s[4:5], exec
	s_and_b64 s[8:9], s[8:9], exec
	s_or_b64 s[4:5], s[4:5], s[8:9]
	s_or_b64 exec, exec, s[6:7]
	s_and_saveexec_b64 s[6:7], s[4:5]
	s_cbranch_execnz .LBB19_1699
	s_branch .LBB19_1700
.LBB19_3749:
	s_movk_i32 s4, 0x80
	v_cmp_eq_u16_sdwa s[12:13], v3, s4 src0_sel:BYTE_0 src1_sel:DWORD
	s_mov_b64 s[4:5], -1
                                        ; implicit-def: $sgpr10
	s_and_saveexec_b64 s[8:9], s[12:13]
; %bb.3750:
	s_mov_b32 s10, 0x7f800001
	s_xor_b64 s[4:5], exec, -1
; %bb.3751:
	s_or_b64 exec, exec, s[8:9]
	s_and_b64 s[4:5], s[4:5], exec
	s_or_saveexec_b64 s[6:7], s[6:7]
	v_mov_b32_e32 v6, s10
	s_xor_b64 exec, exec, s[6:7]
	s_cbranch_execz .LBB19_1702
.LBB19_3752:
	v_mov_b32_e32 v6, 0
	v_cmp_ne_u16_sdwa s[8:9], v3, v6 src0_sel:BYTE_0 src1_sel:DWORD
	s_andn2_b64 s[4:5], s[4:5], exec
	s_and_b64 s[8:9], s[8:9], exec
	s_or_b64 s[4:5], s[4:5], s[8:9]
	s_or_b64 exec, exec, s[6:7]
	s_and_saveexec_b64 s[6:7], s[4:5]
	s_cbranch_execnz .LBB19_1703
	s_branch .LBB19_1704
.LBB19_3753:
	s_movk_i32 s4, 0x80
	v_cmp_eq_u16_sdwa s[12:13], v6, s4 src0_sel:BYTE_0 src1_sel:DWORD
	s_mov_b64 s[4:5], -1
                                        ; implicit-def: $sgpr10
	s_and_saveexec_b64 s[8:9], s[12:13]
; %bb.3754:
	s_mov_b32 s10, 0x7f800001
	s_xor_b64 s[4:5], exec, -1
; %bb.3755:
	s_or_b64 exec, exec, s[8:9]
	s_and_b64 s[4:5], s[4:5], exec
	s_or_saveexec_b64 s[6:7], s[6:7]
	v_mov_b32_e32 v2, s10
	s_xor_b64 exec, exec, s[6:7]
	s_cbranch_execz .LBB19_1706
.LBB19_3756:
	v_mov_b32_e32 v2, 0
	v_cmp_ne_u16_sdwa s[8:9], v6, v2 src0_sel:BYTE_0 src1_sel:DWORD
	s_andn2_b64 s[4:5], s[4:5], exec
	s_and_b64 s[8:9], s[8:9], exec
	s_or_b64 s[4:5], s[4:5], s[8:9]
	s_or_b64 exec, exec, s[6:7]
	s_and_saveexec_b64 s[6:7], s[4:5]
	s_cbranch_execnz .LBB19_1707
	s_branch .LBB19_1708
.LBB19_3757:
	s_movk_i32 s4, 0x80
	v_cmp_eq_u16_sdwa s[12:13], v6, s4 src0_sel:BYTE_0 src1_sel:DWORD
	s_mov_b64 s[4:5], -1
                                        ; implicit-def: $sgpr10
	s_and_saveexec_b64 s[8:9], s[12:13]
; %bb.3758:
	s_mov_b32 s10, 0x7f800001
	s_xor_b64 s[4:5], exec, -1
; %bb.3759:
	s_or_b64 exec, exec, s[8:9]
	s_and_b64 s[4:5], s[4:5], exec
	s_or_saveexec_b64 s[6:7], s[6:7]
	v_mov_b32_e32 v10, s10
	s_xor_b64 exec, exec, s[6:7]
	s_cbranch_execz .LBB19_1710
.LBB19_3760:
	v_mov_b32_e32 v10, 0
	v_cmp_ne_u16_sdwa s[8:9], v6, v10 src0_sel:BYTE_0 src1_sel:DWORD
	s_andn2_b64 s[4:5], s[4:5], exec
	s_and_b64 s[8:9], s[8:9], exec
	s_or_b64 s[4:5], s[4:5], s[8:9]
	s_or_b64 exec, exec, s[6:7]
	s_and_saveexec_b64 s[6:7], s[4:5]
	s_cbranch_execnz .LBB19_1711
	s_branch .LBB19_1712
.LBB19_3761:
	s_movk_i32 s4, 0x80
	v_cmp_eq_u16_e32 vcc, s4, v6
	s_mov_b64 s[4:5], -1
                                        ; implicit-def: $sgpr10
	s_and_saveexec_b64 s[8:9], vcc
; %bb.3762:
	s_mov_b32 s10, 0x7f800001
	s_xor_b64 s[4:5], exec, -1
; %bb.3763:
	s_or_b64 exec, exec, s[8:9]
	s_and_b64 s[4:5], s[4:5], exec
                                        ; implicit-def: $vgpr6
	s_or_saveexec_b64 s[6:7], s[6:7]
	v_mov_b32_e32 v2, s10
	s_xor_b64 exec, exec, s[6:7]
	s_cbranch_execz .LBB19_1714
.LBB19_3764:
	v_cmp_ne_u16_e32 vcc, 0, v6
	s_andn2_b64 s[4:5], s[4:5], exec
	s_and_b64 s[8:9], vcc, exec
	v_mov_b32_e32 v2, 0
	s_or_b64 s[4:5], s[4:5], s[8:9]
	s_or_b64 exec, exec, s[6:7]
	s_and_saveexec_b64 s[6:7], s[4:5]
	s_cbranch_execnz .LBB19_1715
	s_branch .LBB19_1716
.LBB19_3765:
	s_movk_i32 s4, 0x80
	v_cmp_eq_u16_e32 vcc, s4, v6
	s_mov_b64 s[4:5], -1
                                        ; implicit-def: $sgpr10
	s_and_saveexec_b64 s[8:9], vcc
; %bb.3766:
	s_mov_b32 s10, 0x7f800001
	s_xor_b64 s[4:5], exec, -1
; %bb.3767:
	s_or_b64 exec, exec, s[8:9]
	s_and_b64 s[4:5], s[4:5], exec
                                        ; implicit-def: $vgpr6
	s_or_saveexec_b64 s[6:7], s[6:7]
	v_mov_b32_e32 v10, s10
	s_xor_b64 exec, exec, s[6:7]
	s_cbranch_execz .LBB19_1718
.LBB19_3768:
	v_cmp_ne_u16_e32 vcc, 0, v6
	s_andn2_b64 s[4:5], s[4:5], exec
	s_and_b64 s[8:9], vcc, exec
	v_mov_b32_e32 v10, 0
	s_or_b64 s[4:5], s[4:5], s[8:9]
	s_or_b64 exec, exec, s[6:7]
	s_and_saveexec_b64 s[6:7], s[4:5]
	s_cbranch_execnz .LBB19_1719
	s_branch .LBB19_1720
.LBB19_3769:
	s_movk_i32 s4, 0x80
	v_cmp_eq_u16_sdwa s[12:13], v7, s4 src0_sel:BYTE_3 src1_sel:DWORD
	s_mov_b64 s[4:5], -1
                                        ; implicit-def: $sgpr10
	s_and_saveexec_b64 s[8:9], s[12:13]
; %bb.3770:
	s_mov_b32 s10, 0x7f800001
	s_xor_b64 s[4:5], exec, -1
; %bb.3771:
	s_or_b64 exec, exec, s[8:9]
	s_and_b64 s[4:5], s[4:5], exec
	s_or_saveexec_b64 s[6:7], s[6:7]
	v_mov_b32_e32 v2, s10
	s_xor_b64 exec, exec, s[6:7]
	s_cbranch_execz .LBB19_1722
.LBB19_3772:
	v_mov_b32_e32 v2, 0
	v_cmp_ne_u16_sdwa s[8:9], v7, v2 src0_sel:BYTE_3 src1_sel:DWORD
	s_andn2_b64 s[4:5], s[4:5], exec
	s_and_b64 s[8:9], s[8:9], exec
	s_or_b64 s[4:5], s[4:5], s[8:9]
	s_or_b64 exec, exec, s[6:7]
	s_and_saveexec_b64 s[6:7], s[4:5]
	s_cbranch_execnz .LBB19_1723
	s_branch .LBB19_1724
.LBB19_3773:
	s_movk_i32 s4, 0x80
	v_cmp_eq_u16_sdwa s[12:13], v3, s4 src0_sel:BYTE_3 src1_sel:DWORD
	s_mov_b64 s[4:5], -1
                                        ; implicit-def: $sgpr10
	s_and_saveexec_b64 s[8:9], s[12:13]
; %bb.3774:
	s_mov_b32 s10, 0x7f800001
	s_xor_b64 s[4:5], exec, -1
; %bb.3775:
	s_or_b64 exec, exec, s[8:9]
	s_and_b64 s[4:5], s[4:5], exec
	s_or_saveexec_b64 s[6:7], s[6:7]
	v_mov_b32_e32 v6, s10
	s_xor_b64 exec, exec, s[6:7]
	s_cbranch_execz .LBB19_1726
.LBB19_3776:
	v_mov_b32_e32 v6, 0
	v_cmp_ne_u16_sdwa s[8:9], v3, v6 src0_sel:BYTE_3 src1_sel:DWORD
	s_andn2_b64 s[4:5], s[4:5], exec
	s_and_b64 s[8:9], s[8:9], exec
	s_or_b64 s[4:5], s[4:5], s[8:9]
	s_or_b64 exec, exec, s[6:7]
	s_and_saveexec_b64 s[6:7], s[4:5]
	s_cbranch_execnz .LBB19_1727
	s_branch .LBB19_1728
.LBB19_3777:
	s_movk_i32 s4, 0x80
	v_cmp_eq_u16_sdwa s[12:13], v8, s4 src0_sel:BYTE_0 src1_sel:DWORD
	s_mov_b64 s[4:5], -1
                                        ; implicit-def: $sgpr10
	s_and_saveexec_b64 s[8:9], s[12:13]
; %bb.3778:
	s_mov_b32 s10, 0x7f800001
	s_xor_b64 s[4:5], exec, -1
; %bb.3779:
	s_or_b64 exec, exec, s[8:9]
	s_and_b64 s[4:5], s[4:5], exec
	s_or_saveexec_b64 s[6:7], s[6:7]
	v_mov_b32_e32 v2, s10
	s_xor_b64 exec, exec, s[6:7]
	s_cbranch_execz .LBB19_1730
.LBB19_3780:
	v_mov_b32_e32 v2, 0
	v_cmp_ne_u16_sdwa s[8:9], v8, v2 src0_sel:BYTE_0 src1_sel:DWORD
	s_andn2_b64 s[4:5], s[4:5], exec
	s_and_b64 s[8:9], s[8:9], exec
	s_or_b64 s[4:5], s[4:5], s[8:9]
	s_or_b64 exec, exec, s[6:7]
	s_and_saveexec_b64 s[6:7], s[4:5]
	s_cbranch_execnz .LBB19_1731
	s_branch .LBB19_1732
.LBB19_3781:
	s_movk_i32 s4, 0x80
	v_cmp_eq_u16_sdwa s[12:13], v4, s4 src0_sel:BYTE_0 src1_sel:DWORD
	s_mov_b64 s[4:5], -1
                                        ; implicit-def: $sgpr10
	s_and_saveexec_b64 s[8:9], s[12:13]
; %bb.3782:
	s_mov_b32 s10, 0x7f800001
	s_xor_b64 s[4:5], exec, -1
; %bb.3783:
	s_or_b64 exec, exec, s[8:9]
	s_and_b64 s[4:5], s[4:5], exec
	s_or_saveexec_b64 s[6:7], s[6:7]
	v_mov_b32_e32 v3, s10
	s_xor_b64 exec, exec, s[6:7]
	s_cbranch_execz .LBB19_1734
.LBB19_3784:
	v_mov_b32_e32 v3, 0
	v_cmp_ne_u16_sdwa s[8:9], v4, v3 src0_sel:BYTE_0 src1_sel:DWORD
	s_andn2_b64 s[4:5], s[4:5], exec
	s_and_b64 s[8:9], s[8:9], exec
	s_or_b64 s[4:5], s[4:5], s[8:9]
	s_or_b64 exec, exec, s[6:7]
	s_and_saveexec_b64 s[6:7], s[4:5]
	s_cbranch_execnz .LBB19_1735
	s_branch .LBB19_1736
.LBB19_3785:
	s_movk_i32 s4, 0x80
	v_cmp_eq_u16_sdwa s[12:13], v3, s4 src0_sel:BYTE_0 src1_sel:DWORD
	s_mov_b64 s[4:5], -1
                                        ; implicit-def: $sgpr10
	s_and_saveexec_b64 s[8:9], s[12:13]
; %bb.3786:
	s_mov_b32 s10, 0x7f800001
	s_xor_b64 s[4:5], exec, -1
; %bb.3787:
	s_or_b64 exec, exec, s[8:9]
	s_and_b64 s[4:5], s[4:5], exec
	s_or_saveexec_b64 s[6:7], s[6:7]
	v_mov_b32_e32 v2, s10
	s_xor_b64 exec, exec, s[6:7]
	s_cbranch_execz .LBB19_1738
.LBB19_3788:
	v_mov_b32_e32 v2, 0
	v_cmp_ne_u16_sdwa s[8:9], v3, v2 src0_sel:BYTE_0 src1_sel:DWORD
	s_andn2_b64 s[4:5], s[4:5], exec
	s_and_b64 s[8:9], s[8:9], exec
	s_or_b64 s[4:5], s[4:5], s[8:9]
	s_or_b64 exec, exec, s[6:7]
	s_and_saveexec_b64 s[6:7], s[4:5]
	s_cbranch_execnz .LBB19_1739
	s_branch .LBB19_1740
.LBB19_3789:
	s_movk_i32 s4, 0x80
	v_cmp_eq_u16_sdwa s[12:13], v3, s4 src0_sel:BYTE_0 src1_sel:DWORD
	s_mov_b64 s[4:5], -1
                                        ; implicit-def: $sgpr10
	s_and_saveexec_b64 s[8:9], s[12:13]
; %bb.3790:
	s_mov_b32 s10, 0x7f800001
	s_xor_b64 s[4:5], exec, -1
; %bb.3791:
	s_or_b64 exec, exec, s[8:9]
	s_and_b64 s[4:5], s[4:5], exec
	s_or_saveexec_b64 s[6:7], s[6:7]
	v_mov_b32_e32 v6, s10
	s_xor_b64 exec, exec, s[6:7]
	s_cbranch_execz .LBB19_1742
.LBB19_3792:
	v_mov_b32_e32 v6, 0
	v_cmp_ne_u16_sdwa s[8:9], v3, v6 src0_sel:BYTE_0 src1_sel:DWORD
	s_andn2_b64 s[4:5], s[4:5], exec
	s_and_b64 s[8:9], s[8:9], exec
	s_or_b64 s[4:5], s[4:5], s[8:9]
	s_or_b64 exec, exec, s[6:7]
	s_and_saveexec_b64 s[6:7], s[4:5]
	s_cbranch_execnz .LBB19_1743
	s_branch .LBB19_1744
.LBB19_3793:
	s_movk_i32 s4, 0x80
	v_cmp_eq_u16_e32 vcc, s4, v3
	s_mov_b64 s[4:5], -1
                                        ; implicit-def: $sgpr10
	s_and_saveexec_b64 s[8:9], vcc
; %bb.3794:
	s_mov_b32 s10, 0x7f800001
	s_xor_b64 s[4:5], exec, -1
; %bb.3795:
	s_or_b64 exec, exec, s[8:9]
	s_and_b64 s[4:5], s[4:5], exec
                                        ; implicit-def: $vgpr3
	s_or_saveexec_b64 s[6:7], s[6:7]
	v_mov_b32_e32 v2, s10
	s_xor_b64 exec, exec, s[6:7]
	s_cbranch_execz .LBB19_1746
.LBB19_3796:
	v_cmp_ne_u16_e32 vcc, 0, v3
	s_andn2_b64 s[4:5], s[4:5], exec
	s_and_b64 s[8:9], vcc, exec
	v_mov_b32_e32 v2, 0
	s_or_b64 s[4:5], s[4:5], s[8:9]
	s_or_b64 exec, exec, s[6:7]
	s_and_saveexec_b64 s[6:7], s[4:5]
	s_cbranch_execnz .LBB19_1747
	s_branch .LBB19_1748
.LBB19_3797:
	s_movk_i32 s4, 0x80
	v_cmp_eq_u16_e32 vcc, s4, v3
	s_mov_b64 s[4:5], -1
                                        ; implicit-def: $sgpr10
	s_and_saveexec_b64 s[8:9], vcc
; %bb.3798:
	s_mov_b32 s10, 0x7f800001
	s_xor_b64 s[4:5], exec, -1
; %bb.3799:
	s_or_b64 exec, exec, s[8:9]
	s_and_b64 s[4:5], s[4:5], exec
                                        ; implicit-def: $vgpr3
	s_or_saveexec_b64 s[6:7], s[6:7]
	v_mov_b32_e32 v6, s10
	s_xor_b64 exec, exec, s[6:7]
	s_cbranch_execz .LBB19_1750
.LBB19_3800:
	v_cmp_ne_u16_e32 vcc, 0, v3
	s_andn2_b64 s[4:5], s[4:5], exec
	s_and_b64 s[8:9], vcc, exec
	v_mov_b32_e32 v6, 0
	s_or_b64 s[4:5], s[4:5], s[8:9]
	s_or_b64 exec, exec, s[6:7]
	s_and_saveexec_b64 s[6:7], s[4:5]
	s_cbranch_execnz .LBB19_1751
	s_branch .LBB19_1752
.LBB19_3801:
	s_movk_i32 s4, 0x80
	v_cmp_eq_u16_sdwa s[12:13], v8, s4 src0_sel:BYTE_3 src1_sel:DWORD
	s_mov_b64 s[4:5], -1
                                        ; implicit-def: $sgpr10
	s_and_saveexec_b64 s[8:9], s[12:13]
; %bb.3802:
	s_mov_b32 s10, 0x7f800001
	s_xor_b64 s[4:5], exec, -1
; %bb.3803:
	s_or_b64 exec, exec, s[8:9]
	s_and_b64 s[4:5], s[4:5], exec
	s_or_saveexec_b64 s[6:7], s[6:7]
	v_mov_b32_e32 v2, s10
	s_xor_b64 exec, exec, s[6:7]
	s_cbranch_execz .LBB19_1754
.LBB19_3804:
	v_mov_b32_e32 v2, 0
	v_cmp_ne_u16_sdwa s[8:9], v8, v2 src0_sel:BYTE_3 src1_sel:DWORD
	s_andn2_b64 s[4:5], s[4:5], exec
	s_and_b64 s[8:9], s[8:9], exec
	s_or_b64 s[4:5], s[4:5], s[8:9]
	s_or_b64 exec, exec, s[6:7]
	s_and_saveexec_b64 s[6:7], s[4:5]
	s_cbranch_execnz .LBB19_1755
	s_branch .LBB19_1756
.LBB19_3805:
	s_movk_i32 s4, 0x80
	v_cmp_eq_u16_sdwa s[12:13], v4, s4 src0_sel:BYTE_3 src1_sel:DWORD
	s_mov_b64 s[4:5], -1
                                        ; implicit-def: $sgpr10
	s_and_saveexec_b64 s[8:9], s[12:13]
; %bb.3806:
	s_mov_b32 s10, 0x7f800001
	s_xor_b64 s[4:5], exec, -1
; %bb.3807:
	s_or_b64 exec, exec, s[8:9]
	s_and_b64 s[4:5], s[4:5], exec
	s_or_saveexec_b64 s[6:7], s[6:7]
	v_mov_b32_e32 v3, s10
	s_xor_b64 exec, exec, s[6:7]
	s_cbranch_execz .LBB19_1758
.LBB19_3808:
	v_mov_b32_e32 v3, 0
	v_cmp_ne_u16_sdwa s[8:9], v4, v3 src0_sel:BYTE_3 src1_sel:DWORD
	s_andn2_b64 s[4:5], s[4:5], exec
	s_and_b64 s[8:9], s[8:9], exec
	s_or_b64 s[4:5], s[4:5], s[8:9]
	s_or_b64 exec, exec, s[6:7]
	s_and_saveexec_b64 s[6:7], s[4:5]
	s_cbranch_execnz .LBB19_1759
	s_branch .LBB19_1760
.LBB19_3809:
	s_movk_i32 s4, 0x80
	v_cmp_eq_u16_sdwa s[12:13], v9, s4 src0_sel:BYTE_0 src1_sel:DWORD
	s_mov_b64 s[4:5], -1
                                        ; implicit-def: $sgpr10
	s_and_saveexec_b64 s[8:9], s[12:13]
; %bb.3810:
	s_mov_b32 s10, 0x7f800001
	s_xor_b64 s[4:5], exec, -1
; %bb.3811:
	s_or_b64 exec, exec, s[8:9]
	s_and_b64 s[4:5], s[4:5], exec
	s_or_saveexec_b64 s[6:7], s[6:7]
	v_mov_b32_e32 v2, s10
	s_xor_b64 exec, exec, s[6:7]
	s_cbranch_execz .LBB19_1762
.LBB19_3812:
	v_mov_b32_e32 v2, 0
	v_cmp_ne_u16_sdwa s[8:9], v9, v2 src0_sel:BYTE_0 src1_sel:DWORD
	s_andn2_b64 s[4:5], s[4:5], exec
	s_and_b64 s[8:9], s[8:9], exec
	s_or_b64 s[4:5], s[4:5], s[8:9]
	s_or_b64 exec, exec, s[6:7]
	s_and_saveexec_b64 s[6:7], s[4:5]
	s_cbranch_execnz .LBB19_1763
	s_branch .LBB19_1764
.LBB19_3813:
	s_movk_i32 s4, 0x80
	v_cmp_eq_u16_sdwa s[12:13], v5, s4 src0_sel:BYTE_0 src1_sel:DWORD
	s_mov_b64 s[4:5], -1
                                        ; implicit-def: $sgpr10
	s_and_saveexec_b64 s[8:9], s[12:13]
; %bb.3814:
	s_mov_b32 s10, 0x7f800001
	s_xor_b64 s[4:5], exec, -1
; %bb.3815:
	s_or_b64 exec, exec, s[8:9]
	s_and_b64 s[4:5], s[4:5], exec
	s_or_saveexec_b64 s[6:7], s[6:7]
	v_mov_b32_e32 v3, s10
	s_xor_b64 exec, exec, s[6:7]
	s_cbranch_execz .LBB19_1766
.LBB19_3816:
	v_mov_b32_e32 v3, 0
	v_cmp_ne_u16_sdwa s[8:9], v5, v3 src0_sel:BYTE_0 src1_sel:DWORD
	s_andn2_b64 s[4:5], s[4:5], exec
	s_and_b64 s[8:9], s[8:9], exec
	s_or_b64 s[4:5], s[4:5], s[8:9]
	s_or_b64 exec, exec, s[6:7]
	s_and_saveexec_b64 s[6:7], s[4:5]
	s_cbranch_execnz .LBB19_1767
	s_branch .LBB19_1768
.LBB19_3817:
	s_movk_i32 s4, 0x80
	v_cmp_eq_u16_sdwa s[12:13], v3, s4 src0_sel:BYTE_0 src1_sel:DWORD
	s_mov_b64 s[4:5], -1
                                        ; implicit-def: $sgpr10
	s_and_saveexec_b64 s[8:9], s[12:13]
; %bb.3818:
	s_mov_b32 s10, 0x7f800001
	s_xor_b64 s[4:5], exec, -1
; %bb.3819:
	s_or_b64 exec, exec, s[8:9]
	s_and_b64 s[4:5], s[4:5], exec
	s_or_saveexec_b64 s[6:7], s[6:7]
	v_mov_b32_e32 v2, s10
	s_xor_b64 exec, exec, s[6:7]
	s_cbranch_execz .LBB19_1770
.LBB19_3820:
	v_mov_b32_e32 v2, 0
	v_cmp_ne_u16_sdwa s[8:9], v3, v2 src0_sel:BYTE_0 src1_sel:DWORD
	s_andn2_b64 s[4:5], s[4:5], exec
	s_and_b64 s[8:9], s[8:9], exec
	s_or_b64 s[4:5], s[4:5], s[8:9]
	s_or_b64 exec, exec, s[6:7]
	s_and_saveexec_b64 s[6:7], s[4:5]
	s_cbranch_execnz .LBB19_1771
	s_branch .LBB19_1772
.LBB19_3821:
	s_movk_i32 s4, 0x80
	v_cmp_eq_u16_sdwa s[12:13], v3, s4 src0_sel:BYTE_0 src1_sel:DWORD
	s_mov_b64 s[4:5], -1
                                        ; implicit-def: $sgpr10
	s_and_saveexec_b64 s[8:9], s[12:13]
; %bb.3822:
	s_mov_b32 s10, 0x7f800001
	s_xor_b64 s[4:5], exec, -1
; %bb.3823:
	s_or_b64 exec, exec, s[8:9]
	s_and_b64 s[4:5], s[4:5], exec
	s_or_saveexec_b64 s[6:7], s[6:7]
	v_mov_b32_e32 v4, s10
	s_xor_b64 exec, exec, s[6:7]
	s_cbranch_execz .LBB19_1774
.LBB19_3824:
	v_mov_b32_e32 v4, 0
	v_cmp_ne_u16_sdwa s[8:9], v3, v4 src0_sel:BYTE_0 src1_sel:DWORD
	s_andn2_b64 s[4:5], s[4:5], exec
	s_and_b64 s[8:9], s[8:9], exec
	s_or_b64 s[4:5], s[4:5], s[8:9]
	s_or_b64 exec, exec, s[6:7]
	s_and_saveexec_b64 s[6:7], s[4:5]
	s_cbranch_execnz .LBB19_1775
	s_branch .LBB19_1776
.LBB19_3825:
	s_movk_i32 s4, 0x80
	v_cmp_eq_u16_e32 vcc, s4, v3
	s_mov_b64 s[4:5], -1
                                        ; implicit-def: $sgpr10
	s_and_saveexec_b64 s[8:9], vcc
; %bb.3826:
	s_mov_b32 s10, 0x7f800001
	s_xor_b64 s[4:5], exec, -1
; %bb.3827:
	s_or_b64 exec, exec, s[8:9]
	s_and_b64 s[4:5], s[4:5], exec
                                        ; implicit-def: $vgpr3
	s_or_saveexec_b64 s[6:7], s[6:7]
	v_mov_b32_e32 v2, s10
	s_xor_b64 exec, exec, s[6:7]
	s_cbranch_execz .LBB19_1778
.LBB19_3828:
	v_cmp_ne_u16_e32 vcc, 0, v3
	s_andn2_b64 s[4:5], s[4:5], exec
	s_and_b64 s[8:9], vcc, exec
	v_mov_b32_e32 v2, 0
	s_or_b64 s[4:5], s[4:5], s[8:9]
	s_or_b64 exec, exec, s[6:7]
	s_and_saveexec_b64 s[6:7], s[4:5]
	s_cbranch_execnz .LBB19_1779
	s_branch .LBB19_1780
.LBB19_3829:
	s_movk_i32 s4, 0x80
	v_cmp_eq_u16_e32 vcc, s4, v3
	s_mov_b64 s[4:5], -1
                                        ; implicit-def: $sgpr10
	s_and_saveexec_b64 s[8:9], vcc
; %bb.3830:
	s_mov_b32 s10, 0x7f800001
	s_xor_b64 s[4:5], exec, -1
; %bb.3831:
	s_or_b64 exec, exec, s[8:9]
	s_and_b64 s[4:5], s[4:5], exec
                                        ; implicit-def: $vgpr3
	s_or_saveexec_b64 s[6:7], s[6:7]
	v_mov_b32_e32 v4, s10
	s_xor_b64 exec, exec, s[6:7]
	s_cbranch_execz .LBB19_1782
.LBB19_3832:
	v_cmp_ne_u16_e32 vcc, 0, v3
	s_andn2_b64 s[4:5], s[4:5], exec
	s_and_b64 s[8:9], vcc, exec
	v_mov_b32_e32 v4, 0
	s_or_b64 s[4:5], s[4:5], s[8:9]
	s_or_b64 exec, exec, s[6:7]
	s_and_saveexec_b64 s[6:7], s[4:5]
	s_cbranch_execnz .LBB19_1783
	s_branch .LBB19_1784
.LBB19_3833:
	s_movk_i32 s4, 0x80
	v_cmp_eq_u16_sdwa s[12:13], v9, s4 src0_sel:BYTE_3 src1_sel:DWORD
	s_mov_b64 s[4:5], -1
                                        ; implicit-def: $sgpr10
	s_and_saveexec_b64 s[8:9], s[12:13]
; %bb.3834:
	s_mov_b32 s10, 0x7f800001
	s_xor_b64 s[4:5], exec, -1
; %bb.3835:
	s_or_b64 exec, exec, s[8:9]
	s_and_b64 s[4:5], s[4:5], exec
	s_or_saveexec_b64 s[6:7], s[6:7]
	v_mov_b32_e32 v2, s10
	s_xor_b64 exec, exec, s[6:7]
	s_cbranch_execz .LBB19_1786
.LBB19_3836:
	v_mov_b32_e32 v2, 0
	v_cmp_ne_u16_sdwa s[8:9], v9, v2 src0_sel:BYTE_3 src1_sel:DWORD
	s_andn2_b64 s[4:5], s[4:5], exec
	s_and_b64 s[8:9], s[8:9], exec
	s_or_b64 s[4:5], s[4:5], s[8:9]
	s_or_b64 exec, exec, s[6:7]
	s_and_saveexec_b64 s[6:7], s[4:5]
	s_cbranch_execnz .LBB19_1787
	s_branch .LBB19_1788
.LBB19_3837:
	s_movk_i32 s4, 0x80
	v_cmp_eq_u16_sdwa s[12:13], v5, s4 src0_sel:BYTE_3 src1_sel:DWORD
	s_mov_b64 s[4:5], -1
                                        ; implicit-def: $sgpr10
	s_and_saveexec_b64 s[8:9], s[12:13]
; %bb.3838:
	s_mov_b32 s10, 0x7f800001
	s_xor_b64 s[4:5], exec, -1
; %bb.3839:
	s_or_b64 exec, exec, s[8:9]
	s_and_b64 s[4:5], s[4:5], exec
	s_or_saveexec_b64 s[6:7], s[6:7]
	v_mov_b32_e32 v3, s10
	s_xor_b64 exec, exec, s[6:7]
	s_cbranch_execz .LBB19_1790
.LBB19_3840:
	v_mov_b32_e32 v3, 0
	v_cmp_ne_u16_sdwa s[8:9], v5, v3 src0_sel:BYTE_3 src1_sel:DWORD
	s_andn2_b64 s[4:5], s[4:5], exec
	s_and_b64 s[8:9], s[8:9], exec
	s_or_b64 s[4:5], s[4:5], s[8:9]
	s_or_b64 exec, exec, s[6:7]
	s_and_saveexec_b64 s[6:7], s[4:5]
	s_cbranch_execnz .LBB19_1791
	s_branch .LBB19_1792
.LBB19_3841:
	s_movk_i32 s4, 0x80
	v_cmp_eq_u16_sdwa s[12:13], v12, s4 src0_sel:BYTE_0 src1_sel:DWORD
	s_mov_b64 s[4:5], -1
                                        ; implicit-def: $sgpr10
	s_and_saveexec_b64 s[8:9], s[12:13]
; %bb.3842:
	s_mov_b32 s10, 0x7f800001
	s_xor_b64 s[4:5], exec, -1
; %bb.3843:
	s_or_b64 exec, exec, s[8:9]
	s_and_b64 s[4:5], s[4:5], exec
	s_or_saveexec_b64 s[6:7], s[6:7]
	v_mov_b32_e32 v18, s10
	s_xor_b64 exec, exec, s[6:7]
	s_cbranch_execz .LBB19_1794
.LBB19_3844:
	v_mov_b32_e32 v18, 0
	v_cmp_ne_u16_sdwa s[8:9], v12, v18 src0_sel:BYTE_0 src1_sel:DWORD
	s_andn2_b64 s[4:5], s[4:5], exec
	s_and_b64 s[8:9], s[8:9], exec
	s_or_b64 s[4:5], s[4:5], s[8:9]
	s_or_b64 exec, exec, s[6:7]
	s_and_saveexec_b64 s[6:7], s[4:5]
	s_cbranch_execnz .LBB19_1795
	s_branch .LBB19_1796
.LBB19_3845:
	s_movk_i32 s4, 0x80
	v_cmp_eq_u16_sdwa s[12:13], v8, s4 src0_sel:BYTE_0 src1_sel:DWORD
	s_mov_b64 s[4:5], -1
                                        ; implicit-def: $sgpr10
	s_and_saveexec_b64 s[8:9], s[12:13]
; %bb.3846:
	s_mov_b32 s10, 0x7f800001
	s_xor_b64 s[4:5], exec, -1
; %bb.3847:
	s_or_b64 exec, exec, s[8:9]
	s_and_b64 s[4:5], s[4:5], exec
	s_or_saveexec_b64 s[6:7], s[6:7]
	v_mov_b32_e32 v19, s10
	s_xor_b64 exec, exec, s[6:7]
	s_cbranch_execz .LBB19_1798
.LBB19_3848:
	v_mov_b32_e32 v19, 0
	v_cmp_ne_u16_sdwa s[8:9], v8, v19 src0_sel:BYTE_0 src1_sel:DWORD
	s_andn2_b64 s[4:5], s[4:5], exec
	s_and_b64 s[8:9], s[8:9], exec
	s_or_b64 s[4:5], s[4:5], s[8:9]
	s_or_b64 exec, exec, s[6:7]
	s_and_saveexec_b64 s[6:7], s[4:5]
	s_cbranch_execnz .LBB19_1799
	s_branch .LBB19_1800
.LBB19_3849:
	s_movk_i32 s4, 0x80
	v_cmp_eq_u16_sdwa s[12:13], v19, s4 src0_sel:BYTE_0 src1_sel:DWORD
	s_mov_b64 s[4:5], -1
                                        ; implicit-def: $sgpr10
	s_and_saveexec_b64 s[8:9], s[12:13]
; %bb.3850:
	s_mov_b32 s10, 0x7f800001
	s_xor_b64 s[4:5], exec, -1
; %bb.3851:
	s_or_b64 exec, exec, s[8:9]
	s_and_b64 s[4:5], s[4:5], exec
	s_or_saveexec_b64 s[6:7], s[6:7]
	v_mov_b32_e32 v18, s10
	s_xor_b64 exec, exec, s[6:7]
	s_cbranch_execz .LBB19_1802
.LBB19_3852:
	v_mov_b32_e32 v18, 0
	v_cmp_ne_u16_sdwa s[8:9], v19, v18 src0_sel:BYTE_0 src1_sel:DWORD
	s_andn2_b64 s[4:5], s[4:5], exec
	s_and_b64 s[8:9], s[8:9], exec
	s_or_b64 s[4:5], s[4:5], s[8:9]
	s_or_b64 exec, exec, s[6:7]
	s_and_saveexec_b64 s[6:7], s[4:5]
	s_cbranch_execnz .LBB19_1803
	s_branch .LBB19_1804
.LBB19_3853:
	s_movk_i32 s4, 0x80
	v_cmp_eq_u16_sdwa s[12:13], v19, s4 src0_sel:BYTE_0 src1_sel:DWORD
	s_mov_b64 s[4:5], -1
                                        ; implicit-def: $sgpr10
	s_and_saveexec_b64 s[8:9], s[12:13]
; %bb.3854:
	s_mov_b32 s10, 0x7f800001
	s_xor_b64 s[4:5], exec, -1
; %bb.3855:
	s_or_b64 exec, exec, s[8:9]
	s_and_b64 s[4:5], s[4:5], exec
	s_or_saveexec_b64 s[6:7], s[6:7]
	v_mov_b32_e32 v20, s10
	s_xor_b64 exec, exec, s[6:7]
	s_cbranch_execz .LBB19_1806
.LBB19_3856:
	v_mov_b32_e32 v20, 0
	v_cmp_ne_u16_sdwa s[8:9], v19, v20 src0_sel:BYTE_0 src1_sel:DWORD
	s_andn2_b64 s[4:5], s[4:5], exec
	s_and_b64 s[8:9], s[8:9], exec
	s_or_b64 s[4:5], s[4:5], s[8:9]
	s_or_b64 exec, exec, s[6:7]
	s_and_saveexec_b64 s[6:7], s[4:5]
	s_cbranch_execnz .LBB19_1807
	s_branch .LBB19_1808
.LBB19_3857:
	s_movk_i32 s4, 0x80
	v_cmp_eq_u16_e32 vcc, s4, v19
	s_mov_b64 s[4:5], -1
                                        ; implicit-def: $sgpr10
	s_and_saveexec_b64 s[8:9], vcc
; %bb.3858:
	s_mov_b32 s10, 0x7f800001
	s_xor_b64 s[4:5], exec, -1
; %bb.3859:
	s_or_b64 exec, exec, s[8:9]
	s_and_b64 s[4:5], s[4:5], exec
                                        ; implicit-def: $vgpr19
	s_or_saveexec_b64 s[6:7], s[6:7]
	v_mov_b32_e32 v18, s10
	s_xor_b64 exec, exec, s[6:7]
	s_cbranch_execz .LBB19_1810
.LBB19_3860:
	v_cmp_ne_u16_e32 vcc, 0, v19
	s_andn2_b64 s[4:5], s[4:5], exec
	s_and_b64 s[8:9], vcc, exec
	v_mov_b32_e32 v18, 0
	s_or_b64 s[4:5], s[4:5], s[8:9]
	s_or_b64 exec, exec, s[6:7]
	s_and_saveexec_b64 s[6:7], s[4:5]
	s_cbranch_execnz .LBB19_1811
	s_branch .LBB19_1812
.LBB19_3861:
	s_movk_i32 s4, 0x80
	v_cmp_eq_u16_e32 vcc, s4, v19
	s_mov_b64 s[4:5], -1
                                        ; implicit-def: $sgpr10
	s_and_saveexec_b64 s[8:9], vcc
; %bb.3862:
	s_mov_b32 s10, 0x7f800001
	s_xor_b64 s[4:5], exec, -1
; %bb.3863:
	s_or_b64 exec, exec, s[8:9]
	s_and_b64 s[4:5], s[4:5], exec
                                        ; implicit-def: $vgpr19
	s_or_saveexec_b64 s[6:7], s[6:7]
	v_mov_b32_e32 v20, s10
	s_xor_b64 exec, exec, s[6:7]
	s_cbranch_execz .LBB19_1814
.LBB19_3864:
	v_cmp_ne_u16_e32 vcc, 0, v19
	s_andn2_b64 s[4:5], s[4:5], exec
	s_and_b64 s[8:9], vcc, exec
	v_mov_b32_e32 v20, 0
	s_or_b64 s[4:5], s[4:5], s[8:9]
	s_or_b64 exec, exec, s[6:7]
	s_and_saveexec_b64 s[6:7], s[4:5]
	s_cbranch_execnz .LBB19_1815
	s_branch .LBB19_1816
.LBB19_3865:
	s_movk_i32 s4, 0x80
	v_cmp_eq_u16_sdwa s[12:13], v12, s4 src0_sel:BYTE_3 src1_sel:DWORD
	s_mov_b64 s[4:5], -1
                                        ; implicit-def: $sgpr10
	s_and_saveexec_b64 s[8:9], s[12:13]
; %bb.3866:
	s_mov_b32 s10, 0x7f800001
	s_xor_b64 s[4:5], exec, -1
; %bb.3867:
	s_or_b64 exec, exec, s[8:9]
	s_and_b64 s[4:5], s[4:5], exec
	s_or_saveexec_b64 s[6:7], s[6:7]
	v_mov_b32_e32 v18, s10
	s_xor_b64 exec, exec, s[6:7]
	s_cbranch_execz .LBB19_1818
.LBB19_3868:
	v_mov_b32_e32 v18, 0
	v_cmp_ne_u16_sdwa s[8:9], v12, v18 src0_sel:BYTE_3 src1_sel:DWORD
	s_andn2_b64 s[4:5], s[4:5], exec
	s_and_b64 s[8:9], s[8:9], exec
	s_or_b64 s[4:5], s[4:5], s[8:9]
	s_or_b64 exec, exec, s[6:7]
	s_and_saveexec_b64 s[6:7], s[4:5]
	s_cbranch_execnz .LBB19_1819
	s_branch .LBB19_1820
.LBB19_3869:
	s_movk_i32 s4, 0x80
	v_cmp_eq_u16_sdwa s[12:13], v8, s4 src0_sel:BYTE_3 src1_sel:DWORD
	s_mov_b64 s[4:5], -1
                                        ; implicit-def: $sgpr10
	s_and_saveexec_b64 s[8:9], s[12:13]
; %bb.3870:
	s_mov_b32 s10, 0x7f800001
	s_xor_b64 s[4:5], exec, -1
; %bb.3871:
	s_or_b64 exec, exec, s[8:9]
	s_and_b64 s[4:5], s[4:5], exec
	s_or_saveexec_b64 s[6:7], s[6:7]
	v_mov_b32_e32 v12, s10
	s_xor_b64 exec, exec, s[6:7]
	s_cbranch_execz .LBB19_1822
.LBB19_3872:
	v_mov_b32_e32 v12, 0
	v_cmp_ne_u16_sdwa s[8:9], v8, v12 src0_sel:BYTE_3 src1_sel:DWORD
	s_andn2_b64 s[4:5], s[4:5], exec
	s_and_b64 s[8:9], s[8:9], exec
	s_or_b64 s[4:5], s[4:5], s[8:9]
	s_or_b64 exec, exec, s[6:7]
	s_and_saveexec_b64 s[6:7], s[4:5]
	s_cbranch_execnz .LBB19_1823
	s_branch .LBB19_1824
.LBB19_3873:
	s_movk_i32 s4, 0x80
	v_cmp_eq_u16_sdwa s[12:13], v13, s4 src0_sel:BYTE_0 src1_sel:DWORD
	s_mov_b64 s[4:5], -1
                                        ; implicit-def: $sgpr10
	s_and_saveexec_b64 s[8:9], s[12:13]
; %bb.3874:
	s_mov_b32 s10, 0x7f800001
	s_xor_b64 s[4:5], exec, -1
; %bb.3875:
	s_or_b64 exec, exec, s[8:9]
	s_and_b64 s[4:5], s[4:5], exec
	s_or_saveexec_b64 s[6:7], s[6:7]
	v_mov_b32_e32 v8, s10
	s_xor_b64 exec, exec, s[6:7]
	s_cbranch_execz .LBB19_1826
.LBB19_3876:
	v_mov_b32_e32 v8, 0
	v_cmp_ne_u16_sdwa s[8:9], v13, v8 src0_sel:BYTE_0 src1_sel:DWORD
	s_andn2_b64 s[4:5], s[4:5], exec
	s_and_b64 s[8:9], s[8:9], exec
	s_or_b64 s[4:5], s[4:5], s[8:9]
	s_or_b64 exec, exec, s[6:7]
	s_and_saveexec_b64 s[6:7], s[4:5]
	s_cbranch_execnz .LBB19_1827
	s_branch .LBB19_1828
.LBB19_3877:
	s_movk_i32 s4, 0x80
	v_cmp_eq_u16_sdwa s[12:13], v9, s4 src0_sel:BYTE_0 src1_sel:DWORD
	s_mov_b64 s[4:5], -1
                                        ; implicit-def: $sgpr10
	s_and_saveexec_b64 s[8:9], s[12:13]
; %bb.3878:
	s_mov_b32 s10, 0x7f800001
	s_xor_b64 s[4:5], exec, -1
; %bb.3879:
	s_or_b64 exec, exec, s[8:9]
	s_and_b64 s[4:5], s[4:5], exec
	s_or_saveexec_b64 s[6:7], s[6:7]
	v_mov_b32_e32 v12, s10
	s_xor_b64 exec, exec, s[6:7]
	s_cbranch_execz .LBB19_1830
.LBB19_3880:
	v_mov_b32_e32 v12, 0
	v_cmp_ne_u16_sdwa s[8:9], v9, v12 src0_sel:BYTE_0 src1_sel:DWORD
	s_andn2_b64 s[4:5], s[4:5], exec
	s_and_b64 s[8:9], s[8:9], exec
	s_or_b64 s[4:5], s[4:5], s[8:9]
	s_or_b64 exec, exec, s[6:7]
	s_and_saveexec_b64 s[6:7], s[4:5]
	s_cbranch_execnz .LBB19_1831
	s_branch .LBB19_1832
.LBB19_3881:
	s_movk_i32 s4, 0x80
	v_cmp_eq_u16_sdwa s[12:13], v12, s4 src0_sel:BYTE_0 src1_sel:DWORD
	s_mov_b64 s[4:5], -1
                                        ; implicit-def: $sgpr10
	s_and_saveexec_b64 s[8:9], s[12:13]
; %bb.3882:
	s_mov_b32 s10, 0x7f800001
	s_xor_b64 s[4:5], exec, -1
; %bb.3883:
	s_or_b64 exec, exec, s[8:9]
	s_and_b64 s[4:5], s[4:5], exec
	s_or_saveexec_b64 s[6:7], s[6:7]
	v_mov_b32_e32 v8, s10
	s_xor_b64 exec, exec, s[6:7]
	s_cbranch_execz .LBB19_1834
.LBB19_3884:
	v_mov_b32_e32 v8, 0
	v_cmp_ne_u16_sdwa s[8:9], v12, v8 src0_sel:BYTE_0 src1_sel:DWORD
	s_andn2_b64 s[4:5], s[4:5], exec
	s_and_b64 s[8:9], s[8:9], exec
	s_or_b64 s[4:5], s[4:5], s[8:9]
	s_or_b64 exec, exec, s[6:7]
	s_and_saveexec_b64 s[6:7], s[4:5]
	s_cbranch_execnz .LBB19_1835
	s_branch .LBB19_1836
.LBB19_3885:
	s_movk_i32 s4, 0x80
	v_cmp_eq_u16_sdwa s[12:13], v12, s4 src0_sel:BYTE_0 src1_sel:DWORD
	s_mov_b64 s[4:5], -1
                                        ; implicit-def: $sgpr10
	s_and_saveexec_b64 s[8:9], s[12:13]
; %bb.3886:
	s_mov_b32 s10, 0x7f800001
	s_xor_b64 s[4:5], exec, -1
; %bb.3887:
	s_or_b64 exec, exec, s[8:9]
	s_and_b64 s[4:5], s[4:5], exec
	s_or_saveexec_b64 s[6:7], s[6:7]
	v_mov_b32_e32 v18, s10
	s_xor_b64 exec, exec, s[6:7]
	s_cbranch_execz .LBB19_1838
.LBB19_3888:
	v_mov_b32_e32 v18, 0
	v_cmp_ne_u16_sdwa s[8:9], v12, v18 src0_sel:BYTE_0 src1_sel:DWORD
	s_andn2_b64 s[4:5], s[4:5], exec
	s_and_b64 s[8:9], s[8:9], exec
	s_or_b64 s[4:5], s[4:5], s[8:9]
	s_or_b64 exec, exec, s[6:7]
	s_and_saveexec_b64 s[6:7], s[4:5]
	s_cbranch_execnz .LBB19_1839
	s_branch .LBB19_1840
.LBB19_3889:
	s_movk_i32 s4, 0x80
	v_cmp_eq_u16_e32 vcc, s4, v12
	s_mov_b64 s[4:5], -1
                                        ; implicit-def: $sgpr10
	s_and_saveexec_b64 s[8:9], vcc
; %bb.3890:
	s_mov_b32 s10, 0x7f800001
	s_xor_b64 s[4:5], exec, -1
; %bb.3891:
	s_or_b64 exec, exec, s[8:9]
	s_and_b64 s[4:5], s[4:5], exec
                                        ; implicit-def: $vgpr12
	s_or_saveexec_b64 s[6:7], s[6:7]
	v_mov_b32_e32 v8, s10
	s_xor_b64 exec, exec, s[6:7]
	s_cbranch_execz .LBB19_1842
.LBB19_3892:
	v_cmp_ne_u16_e32 vcc, 0, v12
	s_andn2_b64 s[4:5], s[4:5], exec
	s_and_b64 s[8:9], vcc, exec
	v_mov_b32_e32 v8, 0
	s_or_b64 s[4:5], s[4:5], s[8:9]
	s_or_b64 exec, exec, s[6:7]
	s_and_saveexec_b64 s[6:7], s[4:5]
	s_cbranch_execnz .LBB19_1843
	s_branch .LBB19_1844
.LBB19_3893:
	s_movk_i32 s4, 0x80
	v_cmp_eq_u16_e32 vcc, s4, v12
	s_mov_b64 s[4:5], -1
                                        ; implicit-def: $sgpr10
	s_and_saveexec_b64 s[8:9], vcc
; %bb.3894:
	s_mov_b32 s10, 0x7f800001
	s_xor_b64 s[4:5], exec, -1
; %bb.3895:
	s_or_b64 exec, exec, s[8:9]
	s_and_b64 s[4:5], s[4:5], exec
                                        ; implicit-def: $vgpr12
	s_or_saveexec_b64 s[6:7], s[6:7]
	v_mov_b32_e32 v18, s10
	s_xor_b64 exec, exec, s[6:7]
	s_cbranch_execz .LBB19_1846
.LBB19_3896:
	v_cmp_ne_u16_e32 vcc, 0, v12
	s_andn2_b64 s[4:5], s[4:5], exec
	s_and_b64 s[8:9], vcc, exec
	v_mov_b32_e32 v18, 0
	s_or_b64 s[4:5], s[4:5], s[8:9]
	s_or_b64 exec, exec, s[6:7]
	s_and_saveexec_b64 s[6:7], s[4:5]
	s_cbranch_execnz .LBB19_1847
	s_branch .LBB19_1848
.LBB19_3897:
	s_movk_i32 s4, 0x80
	v_cmp_eq_u16_sdwa s[12:13], v13, s4 src0_sel:BYTE_3 src1_sel:DWORD
	s_mov_b64 s[4:5], -1
                                        ; implicit-def: $sgpr10
	s_and_saveexec_b64 s[8:9], s[12:13]
; %bb.3898:
	s_mov_b32 s10, 0x7f800001
	s_xor_b64 s[4:5], exec, -1
; %bb.3899:
	s_or_b64 exec, exec, s[8:9]
	s_and_b64 s[4:5], s[4:5], exec
	s_or_saveexec_b64 s[6:7], s[6:7]
	v_mov_b32_e32 v8, s10
	s_xor_b64 exec, exec, s[6:7]
	s_cbranch_execz .LBB19_1850
.LBB19_3900:
	v_mov_b32_e32 v8, 0
	v_cmp_ne_u16_sdwa s[8:9], v13, v8 src0_sel:BYTE_3 src1_sel:DWORD
	s_andn2_b64 s[4:5], s[4:5], exec
	s_and_b64 s[8:9], s[8:9], exec
	s_or_b64 s[4:5], s[4:5], s[8:9]
	s_or_b64 exec, exec, s[6:7]
	s_and_saveexec_b64 s[6:7], s[4:5]
	s_cbranch_execnz .LBB19_1851
	s_branch .LBB19_1852
.LBB19_3901:
	s_movk_i32 s4, 0x80
	v_cmp_eq_u16_sdwa s[12:13], v9, s4 src0_sel:BYTE_3 src1_sel:DWORD
	s_mov_b64 s[4:5], -1
                                        ; implicit-def: $sgpr10
	s_and_saveexec_b64 s[8:9], s[12:13]
; %bb.3902:
	s_mov_b32 s10, 0x7f800001
	s_xor_b64 s[4:5], exec, -1
; %bb.3903:
	s_or_b64 exec, exec, s[8:9]
	s_and_b64 s[4:5], s[4:5], exec
	s_or_saveexec_b64 s[6:7], s[6:7]
	v_mov_b32_e32 v12, s10
	s_xor_b64 exec, exec, s[6:7]
	s_cbranch_execz .LBB19_1854
.LBB19_3904:
	v_mov_b32_e32 v12, 0
	v_cmp_ne_u16_sdwa s[8:9], v9, v12 src0_sel:BYTE_3 src1_sel:DWORD
	s_andn2_b64 s[4:5], s[4:5], exec
	s_and_b64 s[8:9], s[8:9], exec
	s_or_b64 s[4:5], s[4:5], s[8:9]
	s_or_b64 exec, exec, s[6:7]
	s_and_saveexec_b64 s[6:7], s[4:5]
	s_cbranch_execnz .LBB19_1855
	s_branch .LBB19_1856
.LBB19_3905:
	s_movk_i32 s4, 0x80
	v_cmp_eq_u16_sdwa s[12:13], v14, s4 src0_sel:BYTE_0 src1_sel:DWORD
	s_mov_b64 s[4:5], -1
                                        ; implicit-def: $sgpr10
	s_and_saveexec_b64 s[8:9], s[12:13]
; %bb.3906:
	s_mov_b32 s10, 0x7f800001
	s_xor_b64 s[4:5], exec, -1
; %bb.3907:
	s_or_b64 exec, exec, s[8:9]
	s_and_b64 s[4:5], s[4:5], exec
	s_or_saveexec_b64 s[6:7], s[6:7]
	v_mov_b32_e32 v8, s10
	s_xor_b64 exec, exec, s[6:7]
	s_cbranch_execz .LBB19_1858
.LBB19_3908:
	v_mov_b32_e32 v8, 0
	v_cmp_ne_u16_sdwa s[8:9], v14, v8 src0_sel:BYTE_0 src1_sel:DWORD
	s_andn2_b64 s[4:5], s[4:5], exec
	s_and_b64 s[8:9], s[8:9], exec
	s_or_b64 s[4:5], s[4:5], s[8:9]
	s_or_b64 exec, exec, s[6:7]
	s_and_saveexec_b64 s[6:7], s[4:5]
	s_cbranch_execnz .LBB19_1859
	s_branch .LBB19_1860
.LBB19_3909:
	s_movk_i32 s4, 0x80
	v_cmp_eq_u16_sdwa s[12:13], v10, s4 src0_sel:BYTE_0 src1_sel:DWORD
	s_mov_b64 s[4:5], -1
                                        ; implicit-def: $sgpr10
	s_and_saveexec_b64 s[8:9], s[12:13]
; %bb.3910:
	s_mov_b32 s10, 0x7f800001
	s_xor_b64 s[4:5], exec, -1
; %bb.3911:
	s_or_b64 exec, exec, s[8:9]
	s_and_b64 s[4:5], s[4:5], exec
	s_or_saveexec_b64 s[6:7], s[6:7]
	v_mov_b32_e32 v9, s10
	s_xor_b64 exec, exec, s[6:7]
	s_cbranch_execz .LBB19_1862
.LBB19_3912:
	v_mov_b32_e32 v9, 0
	v_cmp_ne_u16_sdwa s[8:9], v10, v9 src0_sel:BYTE_0 src1_sel:DWORD
	s_andn2_b64 s[4:5], s[4:5], exec
	s_and_b64 s[8:9], s[8:9], exec
	s_or_b64 s[4:5], s[4:5], s[8:9]
	s_or_b64 exec, exec, s[6:7]
	s_and_saveexec_b64 s[6:7], s[4:5]
	s_cbranch_execnz .LBB19_1863
	s_branch .LBB19_1864
.LBB19_3913:
	s_movk_i32 s4, 0x80
	v_cmp_eq_u16_sdwa s[12:13], v9, s4 src0_sel:BYTE_0 src1_sel:DWORD
	s_mov_b64 s[4:5], -1
                                        ; implicit-def: $sgpr10
	s_and_saveexec_b64 s[8:9], s[12:13]
; %bb.3914:
	s_mov_b32 s10, 0x7f800001
	s_xor_b64 s[4:5], exec, -1
; %bb.3915:
	s_or_b64 exec, exec, s[8:9]
	s_and_b64 s[4:5], s[4:5], exec
	s_or_saveexec_b64 s[6:7], s[6:7]
	v_mov_b32_e32 v8, s10
	s_xor_b64 exec, exec, s[6:7]
	s_cbranch_execz .LBB19_1866
.LBB19_3916:
	v_mov_b32_e32 v8, 0
	v_cmp_ne_u16_sdwa s[8:9], v9, v8 src0_sel:BYTE_0 src1_sel:DWORD
	s_andn2_b64 s[4:5], s[4:5], exec
	s_and_b64 s[8:9], s[8:9], exec
	s_or_b64 s[4:5], s[4:5], s[8:9]
	s_or_b64 exec, exec, s[6:7]
	s_and_saveexec_b64 s[6:7], s[4:5]
	s_cbranch_execnz .LBB19_1867
	s_branch .LBB19_1868
.LBB19_3917:
	s_movk_i32 s4, 0x80
	v_cmp_eq_u16_sdwa s[12:13], v9, s4 src0_sel:BYTE_0 src1_sel:DWORD
	s_mov_b64 s[4:5], -1
                                        ; implicit-def: $sgpr10
	s_and_saveexec_b64 s[8:9], s[12:13]
; %bb.3918:
	s_mov_b32 s10, 0x7f800001
	s_xor_b64 s[4:5], exec, -1
; %bb.3919:
	s_or_b64 exec, exec, s[8:9]
	s_and_b64 s[4:5], s[4:5], exec
	s_or_saveexec_b64 s[6:7], s[6:7]
	v_mov_b32_e32 v12, s10
	s_xor_b64 exec, exec, s[6:7]
	s_cbranch_execz .LBB19_1870
.LBB19_3920:
	v_mov_b32_e32 v12, 0
	v_cmp_ne_u16_sdwa s[8:9], v9, v12 src0_sel:BYTE_0 src1_sel:DWORD
	s_andn2_b64 s[4:5], s[4:5], exec
	s_and_b64 s[8:9], s[8:9], exec
	s_or_b64 s[4:5], s[4:5], s[8:9]
	s_or_b64 exec, exec, s[6:7]
	s_and_saveexec_b64 s[6:7], s[4:5]
	s_cbranch_execnz .LBB19_1871
	s_branch .LBB19_1872
.LBB19_3921:
	s_movk_i32 s4, 0x80
	v_cmp_eq_u16_e32 vcc, s4, v9
	s_mov_b64 s[4:5], -1
                                        ; implicit-def: $sgpr10
	s_and_saveexec_b64 s[8:9], vcc
; %bb.3922:
	s_mov_b32 s10, 0x7f800001
	s_xor_b64 s[4:5], exec, -1
; %bb.3923:
	s_or_b64 exec, exec, s[8:9]
	s_and_b64 s[4:5], s[4:5], exec
                                        ; implicit-def: $vgpr9
	s_or_saveexec_b64 s[6:7], s[6:7]
	v_mov_b32_e32 v8, s10
	s_xor_b64 exec, exec, s[6:7]
	s_cbranch_execz .LBB19_1874
.LBB19_3924:
	v_cmp_ne_u16_e32 vcc, 0, v9
	s_andn2_b64 s[4:5], s[4:5], exec
	s_and_b64 s[8:9], vcc, exec
	v_mov_b32_e32 v8, 0
	s_or_b64 s[4:5], s[4:5], s[8:9]
	s_or_b64 exec, exec, s[6:7]
	s_and_saveexec_b64 s[6:7], s[4:5]
	s_cbranch_execnz .LBB19_1875
	s_branch .LBB19_1876
.LBB19_3925:
	s_movk_i32 s4, 0x80
	v_cmp_eq_u16_e32 vcc, s4, v9
	s_mov_b64 s[4:5], -1
                                        ; implicit-def: $sgpr10
	s_and_saveexec_b64 s[8:9], vcc
; %bb.3926:
	s_mov_b32 s10, 0x7f800001
	s_xor_b64 s[4:5], exec, -1
; %bb.3927:
	s_or_b64 exec, exec, s[8:9]
	s_and_b64 s[4:5], s[4:5], exec
                                        ; implicit-def: $vgpr9
	s_or_saveexec_b64 s[6:7], s[6:7]
	v_mov_b32_e32 v12, s10
	s_xor_b64 exec, exec, s[6:7]
	s_cbranch_execz .LBB19_1878
.LBB19_3928:
	v_cmp_ne_u16_e32 vcc, 0, v9
	s_andn2_b64 s[4:5], s[4:5], exec
	s_and_b64 s[8:9], vcc, exec
	v_mov_b32_e32 v12, 0
	s_or_b64 s[4:5], s[4:5], s[8:9]
	s_or_b64 exec, exec, s[6:7]
	s_and_saveexec_b64 s[6:7], s[4:5]
	s_cbranch_execnz .LBB19_1879
	s_branch .LBB19_1880
.LBB19_3929:
	s_movk_i32 s4, 0x80
	v_cmp_eq_u16_sdwa s[12:13], v14, s4 src0_sel:BYTE_3 src1_sel:DWORD
	s_mov_b64 s[4:5], -1
                                        ; implicit-def: $sgpr10
	s_and_saveexec_b64 s[8:9], s[12:13]
; %bb.3930:
	s_mov_b32 s10, 0x7f800001
	s_xor_b64 s[4:5], exec, -1
; %bb.3931:
	s_or_b64 exec, exec, s[8:9]
	s_and_b64 s[4:5], s[4:5], exec
	s_or_saveexec_b64 s[6:7], s[6:7]
	v_mov_b32_e32 v8, s10
	s_xor_b64 exec, exec, s[6:7]
	s_cbranch_execz .LBB19_1882
.LBB19_3932:
	v_mov_b32_e32 v8, 0
	v_cmp_ne_u16_sdwa s[8:9], v14, v8 src0_sel:BYTE_3 src1_sel:DWORD
	s_andn2_b64 s[4:5], s[4:5], exec
	s_and_b64 s[8:9], s[8:9], exec
	s_or_b64 s[4:5], s[4:5], s[8:9]
	s_or_b64 exec, exec, s[6:7]
	s_and_saveexec_b64 s[6:7], s[4:5]
	s_cbranch_execnz .LBB19_1883
	s_branch .LBB19_1884
.LBB19_3933:
	s_movk_i32 s4, 0x80
	v_cmp_eq_u16_sdwa s[12:13], v10, s4 src0_sel:BYTE_3 src1_sel:DWORD
	s_mov_b64 s[4:5], -1
                                        ; implicit-def: $sgpr10
	s_and_saveexec_b64 s[8:9], s[12:13]
; %bb.3934:
	s_mov_b32 s10, 0x7f800001
	s_xor_b64 s[4:5], exec, -1
; %bb.3935:
	s_or_b64 exec, exec, s[8:9]
	s_and_b64 s[4:5], s[4:5], exec
	s_or_saveexec_b64 s[6:7], s[6:7]
	v_mov_b32_e32 v9, s10
	s_xor_b64 exec, exec, s[6:7]
	s_cbranch_execz .LBB19_1886
.LBB19_3936:
	v_mov_b32_e32 v9, 0
	v_cmp_ne_u16_sdwa s[8:9], v10, v9 src0_sel:BYTE_3 src1_sel:DWORD
	s_andn2_b64 s[4:5], s[4:5], exec
	s_and_b64 s[8:9], s[8:9], exec
	s_or_b64 s[4:5], s[4:5], s[8:9]
	s_or_b64 exec, exec, s[6:7]
	s_and_saveexec_b64 s[6:7], s[4:5]
	s_cbranch_execnz .LBB19_1887
	s_branch .LBB19_1888
.LBB19_3937:
	s_movk_i32 s4, 0x80
	v_cmp_eq_u16_sdwa s[12:13], v15, s4 src0_sel:BYTE_0 src1_sel:DWORD
	s_mov_b64 s[4:5], -1
                                        ; implicit-def: $sgpr10
	s_and_saveexec_b64 s[8:9], s[12:13]
; %bb.3938:
	s_mov_b32 s10, 0x7f800001
	s_xor_b64 s[4:5], exec, -1
; %bb.3939:
	s_or_b64 exec, exec, s[8:9]
	s_and_b64 s[4:5], s[4:5], exec
	s_or_saveexec_b64 s[6:7], s[6:7]
	v_mov_b32_e32 v8, s10
	s_xor_b64 exec, exec, s[6:7]
	s_cbranch_execz .LBB19_1890
.LBB19_3940:
	v_mov_b32_e32 v8, 0
	v_cmp_ne_u16_sdwa s[8:9], v15, v8 src0_sel:BYTE_0 src1_sel:DWORD
	s_andn2_b64 s[4:5], s[4:5], exec
	s_and_b64 s[8:9], s[8:9], exec
	s_or_b64 s[4:5], s[4:5], s[8:9]
	s_or_b64 exec, exec, s[6:7]
	s_and_saveexec_b64 s[6:7], s[4:5]
	s_cbranch_execnz .LBB19_1891
	s_branch .LBB19_1892
.LBB19_3941:
	s_movk_i32 s4, 0x80
	v_cmp_eq_u16_sdwa s[12:13], v11, s4 src0_sel:BYTE_0 src1_sel:DWORD
	s_mov_b64 s[4:5], -1
                                        ; implicit-def: $sgpr10
	s_and_saveexec_b64 s[8:9], s[12:13]
; %bb.3942:
	s_mov_b32 s10, 0x7f800001
	s_xor_b64 s[4:5], exec, -1
; %bb.3943:
	s_or_b64 exec, exec, s[8:9]
	s_and_b64 s[4:5], s[4:5], exec
	s_or_saveexec_b64 s[6:7], s[6:7]
	v_mov_b32_e32 v9, s10
	s_xor_b64 exec, exec, s[6:7]
	s_cbranch_execz .LBB19_1894
.LBB19_3944:
	v_mov_b32_e32 v9, 0
	v_cmp_ne_u16_sdwa s[8:9], v11, v9 src0_sel:BYTE_0 src1_sel:DWORD
	s_andn2_b64 s[4:5], s[4:5], exec
	s_and_b64 s[8:9], s[8:9], exec
	s_or_b64 s[4:5], s[4:5], s[8:9]
	s_or_b64 exec, exec, s[6:7]
	s_and_saveexec_b64 s[6:7], s[4:5]
	s_cbranch_execnz .LBB19_1895
	s_branch .LBB19_1896
.LBB19_3945:
	s_movk_i32 s4, 0x80
	v_cmp_eq_u16_sdwa s[12:13], v9, s4 src0_sel:BYTE_0 src1_sel:DWORD
	s_mov_b64 s[4:5], -1
                                        ; implicit-def: $sgpr10
	s_and_saveexec_b64 s[8:9], s[12:13]
; %bb.3946:
	s_mov_b32 s10, 0x7f800001
	s_xor_b64 s[4:5], exec, -1
; %bb.3947:
	s_or_b64 exec, exec, s[8:9]
	s_and_b64 s[4:5], s[4:5], exec
	s_or_saveexec_b64 s[6:7], s[6:7]
	v_mov_b32_e32 v8, s10
	s_xor_b64 exec, exec, s[6:7]
	s_cbranch_execz .LBB19_1898
.LBB19_3948:
	v_mov_b32_e32 v8, 0
	v_cmp_ne_u16_sdwa s[8:9], v9, v8 src0_sel:BYTE_0 src1_sel:DWORD
	s_andn2_b64 s[4:5], s[4:5], exec
	s_and_b64 s[8:9], s[8:9], exec
	s_or_b64 s[4:5], s[4:5], s[8:9]
	s_or_b64 exec, exec, s[6:7]
	s_and_saveexec_b64 s[6:7], s[4:5]
	s_cbranch_execnz .LBB19_1899
	s_branch .LBB19_1900
.LBB19_3949:
	s_movk_i32 s4, 0x80
	v_cmp_eq_u16_sdwa s[12:13], v9, s4 src0_sel:BYTE_0 src1_sel:DWORD
	s_mov_b64 s[4:5], -1
                                        ; implicit-def: $sgpr10
	s_and_saveexec_b64 s[8:9], s[12:13]
; %bb.3950:
	s_mov_b32 s10, 0x7f800001
	s_xor_b64 s[4:5], exec, -1
; %bb.3951:
	s_or_b64 exec, exec, s[8:9]
	s_and_b64 s[4:5], s[4:5], exec
	s_or_saveexec_b64 s[6:7], s[6:7]
	v_mov_b32_e32 v10, s10
	s_xor_b64 exec, exec, s[6:7]
	s_cbranch_execz .LBB19_1902
.LBB19_3952:
	v_mov_b32_e32 v10, 0
	v_cmp_ne_u16_sdwa s[8:9], v9, v10 src0_sel:BYTE_0 src1_sel:DWORD
	s_andn2_b64 s[4:5], s[4:5], exec
	s_and_b64 s[8:9], s[8:9], exec
	s_or_b64 s[4:5], s[4:5], s[8:9]
	s_or_b64 exec, exec, s[6:7]
	s_and_saveexec_b64 s[6:7], s[4:5]
	s_cbranch_execnz .LBB19_1903
	s_branch .LBB19_1904
.LBB19_3953:
	s_movk_i32 s4, 0x80
	v_cmp_eq_u16_e32 vcc, s4, v9
	s_mov_b64 s[4:5], -1
                                        ; implicit-def: $sgpr10
	s_and_saveexec_b64 s[8:9], vcc
; %bb.3954:
	s_mov_b32 s10, 0x7f800001
	s_xor_b64 s[4:5], exec, -1
; %bb.3955:
	s_or_b64 exec, exec, s[8:9]
	s_and_b64 s[4:5], s[4:5], exec
                                        ; implicit-def: $vgpr9
	s_or_saveexec_b64 s[6:7], s[6:7]
	v_mov_b32_e32 v8, s10
	s_xor_b64 exec, exec, s[6:7]
	s_cbranch_execz .LBB19_1906
.LBB19_3956:
	v_cmp_ne_u16_e32 vcc, 0, v9
	s_andn2_b64 s[4:5], s[4:5], exec
	s_and_b64 s[8:9], vcc, exec
	v_mov_b32_e32 v8, 0
	s_or_b64 s[4:5], s[4:5], s[8:9]
	s_or_b64 exec, exec, s[6:7]
	s_and_saveexec_b64 s[6:7], s[4:5]
	s_cbranch_execnz .LBB19_1907
	s_branch .LBB19_1908
.LBB19_3957:
	s_movk_i32 s4, 0x80
	v_cmp_eq_u16_e32 vcc, s4, v9
	s_mov_b64 s[4:5], -1
                                        ; implicit-def: $sgpr10
	s_and_saveexec_b64 s[8:9], vcc
; %bb.3958:
	s_mov_b32 s10, 0x7f800001
	s_xor_b64 s[4:5], exec, -1
; %bb.3959:
	s_or_b64 exec, exec, s[8:9]
	s_and_b64 s[4:5], s[4:5], exec
                                        ; implicit-def: $vgpr9
	s_or_saveexec_b64 s[6:7], s[6:7]
	v_mov_b32_e32 v10, s10
	s_xor_b64 exec, exec, s[6:7]
	s_cbranch_execz .LBB19_1910
.LBB19_3960:
	v_cmp_ne_u16_e32 vcc, 0, v9
	s_andn2_b64 s[4:5], s[4:5], exec
	s_and_b64 s[8:9], vcc, exec
	v_mov_b32_e32 v10, 0
	s_or_b64 s[4:5], s[4:5], s[8:9]
	s_or_b64 exec, exec, s[6:7]
	s_and_saveexec_b64 s[6:7], s[4:5]
	s_cbranch_execnz .LBB19_1911
	s_branch .LBB19_1912
.LBB19_3961:
	s_movk_i32 s4, 0x80
	v_cmp_eq_u16_sdwa s[12:13], v15, s4 src0_sel:BYTE_3 src1_sel:DWORD
	s_mov_b64 s[4:5], -1
                                        ; implicit-def: $sgpr10
	s_and_saveexec_b64 s[8:9], s[12:13]
; %bb.3962:
	s_mov_b32 s10, 0x7f800001
	s_xor_b64 s[4:5], exec, -1
; %bb.3963:
	s_or_b64 exec, exec, s[8:9]
	s_and_b64 s[4:5], s[4:5], exec
	s_or_saveexec_b64 s[6:7], s[6:7]
	v_mov_b32_e32 v8, s10
	s_xor_b64 exec, exec, s[6:7]
	s_cbranch_execz .LBB19_1914
.LBB19_3964:
	v_mov_b32_e32 v8, 0
	v_cmp_ne_u16_sdwa s[8:9], v15, v8 src0_sel:BYTE_3 src1_sel:DWORD
	s_andn2_b64 s[4:5], s[4:5], exec
	s_and_b64 s[8:9], s[8:9], exec
	s_or_b64 s[4:5], s[4:5], s[8:9]
	s_or_b64 exec, exec, s[6:7]
	s_and_saveexec_b64 s[6:7], s[4:5]
	s_cbranch_execnz .LBB19_1915
	s_branch .LBB19_1916
.LBB19_3965:
	s_movk_i32 s4, 0x80
	v_cmp_eq_u16_sdwa s[12:13], v11, s4 src0_sel:BYTE_3 src1_sel:DWORD
	s_mov_b64 s[4:5], -1
                                        ; implicit-def: $sgpr10
	s_and_saveexec_b64 s[8:9], s[12:13]
; %bb.3966:
	s_mov_b32 s10, 0x7f800001
	s_xor_b64 s[4:5], exec, -1
; %bb.3967:
	s_or_b64 exec, exec, s[8:9]
	s_and_b64 s[4:5], s[4:5], exec
	s_or_saveexec_b64 s[6:7], s[6:7]
	v_mov_b32_e32 v9, s10
	s_xor_b64 exec, exec, s[6:7]
	s_cbranch_execz .LBB19_1918
.LBB19_3968:
	v_mov_b32_e32 v9, 0
	v_cmp_ne_u16_sdwa s[8:9], v11, v9 src0_sel:BYTE_3 src1_sel:DWORD
	s_andn2_b64 s[4:5], s[4:5], exec
	s_and_b64 s[8:9], s[8:9], exec
	s_or_b64 s[4:5], s[4:5], s[8:9]
	s_or_b64 exec, exec, s[6:7]
	s_and_saveexec_b64 s[6:7], s[4:5]
	s_cbranch_execnz .LBB19_1919
	s_branch .LBB19_1920
.LBB19_3969:
	s_movk_i32 s4, 0x80
	v_cmp_eq_u16_sdwa s[12:13], v4, s4 src0_sel:BYTE_0 src1_sel:DWORD
	s_mov_b64 s[4:5], -1
                                        ; implicit-def: $sgpr10
	s_and_saveexec_b64 s[8:9], s[12:13]
; %bb.3970:
	s_mov_b32 s10, 0x7f800001
	s_xor_b64 s[4:5], exec, -1
; %bb.3971:
	s_or_b64 exec, exec, s[8:9]
	s_and_b64 s[4:5], s[4:5], exec
	s_or_saveexec_b64 s[6:7], s[6:7]
	v_mov_b32_e32 v8, s10
	s_xor_b64 exec, exec, s[6:7]
	s_cbranch_execz .LBB19_1922
.LBB19_3972:
	v_mov_b32_e32 v8, 0
	v_cmp_ne_u16_sdwa s[8:9], v4, v8 src0_sel:BYTE_0 src1_sel:DWORD
	s_andn2_b64 s[4:5], s[4:5], exec
	s_and_b64 s[8:9], s[8:9], exec
	s_or_b64 s[4:5], s[4:5], s[8:9]
	s_or_b64 exec, exec, s[6:7]
	s_and_saveexec_b64 s[6:7], s[4:5]
	s_cbranch_execnz .LBB19_1923
	s_branch .LBB19_1924
.LBB19_3973:
	s_movk_i32 s4, 0x80
	v_cmp_eq_u16_sdwa s[12:13], v0, s4 src0_sel:BYTE_0 src1_sel:DWORD
	s_mov_b64 s[4:5], -1
                                        ; implicit-def: $sgpr10
	s_and_saveexec_b64 s[8:9], s[12:13]
; %bb.3974:
	s_mov_b32 s10, 0x7f800001
	s_xor_b64 s[4:5], exec, -1
; %bb.3975:
	s_or_b64 exec, exec, s[8:9]
	s_and_b64 s[4:5], s[4:5], exec
	s_or_saveexec_b64 s[6:7], s[6:7]
	v_mov_b32_e32 v9, s10
	s_xor_b64 exec, exec, s[6:7]
	s_cbranch_execz .LBB19_1926
.LBB19_3976:
	v_mov_b32_e32 v9, 0
	v_cmp_ne_u16_sdwa s[8:9], v0, v9 src0_sel:BYTE_0 src1_sel:DWORD
	s_andn2_b64 s[4:5], s[4:5], exec
	s_and_b64 s[8:9], s[8:9], exec
	s_or_b64 s[4:5], s[4:5], s[8:9]
	s_or_b64 exec, exec, s[6:7]
	s_and_saveexec_b64 s[6:7], s[4:5]
	s_cbranch_execnz .LBB19_1927
	s_branch .LBB19_1928
.LBB19_3977:
	s_movk_i32 s4, 0x80
	v_cmp_eq_u16_sdwa s[12:13], v9, s4 src0_sel:BYTE_0 src1_sel:DWORD
	s_mov_b64 s[4:5], -1
                                        ; implicit-def: $sgpr10
	s_and_saveexec_b64 s[8:9], s[12:13]
; %bb.3978:
	s_mov_b32 s10, 0x7f800001
	s_xor_b64 s[4:5], exec, -1
; %bb.3979:
	s_or_b64 exec, exec, s[8:9]
	s_and_b64 s[4:5], s[4:5], exec
	s_or_saveexec_b64 s[6:7], s[6:7]
	v_mov_b32_e32 v8, s10
	s_xor_b64 exec, exec, s[6:7]
	s_cbranch_execz .LBB19_1930
.LBB19_3980:
	v_mov_b32_e32 v8, 0
	v_cmp_ne_u16_sdwa s[8:9], v9, v8 src0_sel:BYTE_0 src1_sel:DWORD
	s_andn2_b64 s[4:5], s[4:5], exec
	s_and_b64 s[8:9], s[8:9], exec
	s_or_b64 s[4:5], s[4:5], s[8:9]
	s_or_b64 exec, exec, s[6:7]
	s_and_saveexec_b64 s[6:7], s[4:5]
	s_cbranch_execnz .LBB19_1931
	s_branch .LBB19_1932
.LBB19_3981:
	s_movk_i32 s4, 0x80
	v_cmp_eq_u16_sdwa s[12:13], v9, s4 src0_sel:BYTE_0 src1_sel:DWORD
	s_mov_b64 s[4:5], -1
                                        ; implicit-def: $sgpr10
	s_and_saveexec_b64 s[8:9], s[12:13]
; %bb.3982:
	s_mov_b32 s10, 0x7f800001
	s_xor_b64 s[4:5], exec, -1
; %bb.3983:
	s_or_b64 exec, exec, s[8:9]
	s_and_b64 s[4:5], s[4:5], exec
	s_or_saveexec_b64 s[6:7], s[6:7]
	v_mov_b32_e32 v10, s10
	s_xor_b64 exec, exec, s[6:7]
	s_cbranch_execz .LBB19_1934
.LBB19_3984:
	v_mov_b32_e32 v10, 0
	v_cmp_ne_u16_sdwa s[8:9], v9, v10 src0_sel:BYTE_0 src1_sel:DWORD
	s_andn2_b64 s[4:5], s[4:5], exec
	s_and_b64 s[8:9], s[8:9], exec
	s_or_b64 s[4:5], s[4:5], s[8:9]
	s_or_b64 exec, exec, s[6:7]
	s_and_saveexec_b64 s[6:7], s[4:5]
	s_cbranch_execnz .LBB19_1935
	s_branch .LBB19_1936
.LBB19_3985:
	s_movk_i32 s4, 0x80
	v_cmp_eq_u16_e32 vcc, s4, v9
	s_mov_b64 s[4:5], -1
                                        ; implicit-def: $sgpr10
	s_and_saveexec_b64 s[8:9], vcc
; %bb.3986:
	s_mov_b32 s10, 0x7f800001
	s_xor_b64 s[4:5], exec, -1
; %bb.3987:
	s_or_b64 exec, exec, s[8:9]
	s_and_b64 s[4:5], s[4:5], exec
                                        ; implicit-def: $vgpr9
	s_or_saveexec_b64 s[6:7], s[6:7]
	v_mov_b32_e32 v8, s10
	s_xor_b64 exec, exec, s[6:7]
	s_cbranch_execz .LBB19_1938
.LBB19_3988:
	v_cmp_ne_u16_e32 vcc, 0, v9
	s_andn2_b64 s[4:5], s[4:5], exec
	s_and_b64 s[8:9], vcc, exec
	v_mov_b32_e32 v8, 0
	s_or_b64 s[4:5], s[4:5], s[8:9]
	s_or_b64 exec, exec, s[6:7]
	s_and_saveexec_b64 s[6:7], s[4:5]
	s_cbranch_execnz .LBB19_1939
	s_branch .LBB19_1940
.LBB19_3989:
	s_movk_i32 s4, 0x80
	v_cmp_eq_u16_e32 vcc, s4, v9
	s_mov_b64 s[4:5], -1
                                        ; implicit-def: $sgpr10
	s_and_saveexec_b64 s[8:9], vcc
; %bb.3990:
	s_mov_b32 s10, 0x7f800001
	s_xor_b64 s[4:5], exec, -1
; %bb.3991:
	s_or_b64 exec, exec, s[8:9]
	s_and_b64 s[4:5], s[4:5], exec
                                        ; implicit-def: $vgpr9
	s_or_saveexec_b64 s[6:7], s[6:7]
	v_mov_b32_e32 v10, s10
	s_xor_b64 exec, exec, s[6:7]
	s_cbranch_execz .LBB19_1942
.LBB19_3992:
	v_cmp_ne_u16_e32 vcc, 0, v9
	s_andn2_b64 s[4:5], s[4:5], exec
	s_and_b64 s[8:9], vcc, exec
	v_mov_b32_e32 v10, 0
	s_or_b64 s[4:5], s[4:5], s[8:9]
	s_or_b64 exec, exec, s[6:7]
	s_and_saveexec_b64 s[6:7], s[4:5]
	s_cbranch_execnz .LBB19_1943
	s_branch .LBB19_1944
.LBB19_3993:
	s_movk_i32 s4, 0x80
	v_cmp_eq_u16_sdwa s[12:13], v4, s4 src0_sel:BYTE_3 src1_sel:DWORD
	s_mov_b64 s[4:5], -1
                                        ; implicit-def: $sgpr10
	s_and_saveexec_b64 s[8:9], s[12:13]
; %bb.3994:
	s_mov_b32 s10, 0x7f800001
	s_xor_b64 s[4:5], exec, -1
; %bb.3995:
	s_or_b64 exec, exec, s[8:9]
	s_and_b64 s[4:5], s[4:5], exec
	s_or_saveexec_b64 s[6:7], s[6:7]
	v_mov_b32_e32 v8, s10
	s_xor_b64 exec, exec, s[6:7]
	s_cbranch_execz .LBB19_1946
.LBB19_3996:
	v_mov_b32_e32 v8, 0
	v_cmp_ne_u16_sdwa s[8:9], v4, v8 src0_sel:BYTE_3 src1_sel:DWORD
	s_andn2_b64 s[4:5], s[4:5], exec
	s_and_b64 s[8:9], s[8:9], exec
	s_or_b64 s[4:5], s[4:5], s[8:9]
	s_or_b64 exec, exec, s[6:7]
	s_and_saveexec_b64 s[6:7], s[4:5]
	s_cbranch_execnz .LBB19_1947
	s_branch .LBB19_1948
.LBB19_3997:
	s_movk_i32 s4, 0x80
	v_cmp_eq_u16_sdwa s[12:13], v0, s4 src0_sel:BYTE_3 src1_sel:DWORD
	s_mov_b64 s[4:5], -1
                                        ; implicit-def: $sgpr10
	s_and_saveexec_b64 s[8:9], s[12:13]
; %bb.3998:
	s_mov_b32 s10, 0x7f800001
	s_xor_b64 s[4:5], exec, -1
; %bb.3999:
	s_or_b64 exec, exec, s[8:9]
	s_and_b64 s[4:5], s[4:5], exec
	s_or_saveexec_b64 s[6:7], s[6:7]
	v_mov_b32_e32 v4, s10
	s_xor_b64 exec, exec, s[6:7]
	s_cbranch_execz .LBB19_1950
.LBB19_4000:
	v_mov_b32_e32 v4, 0
	v_cmp_ne_u16_sdwa s[8:9], v0, v4 src0_sel:BYTE_3 src1_sel:DWORD
	s_andn2_b64 s[4:5], s[4:5], exec
	s_and_b64 s[8:9], s[8:9], exec
	s_or_b64 s[4:5], s[4:5], s[8:9]
	s_or_b64 exec, exec, s[6:7]
	s_and_saveexec_b64 s[6:7], s[4:5]
	s_cbranch_execnz .LBB19_1951
	s_branch .LBB19_1952
.LBB19_4001:
	s_movk_i32 s4, 0x80
	v_cmp_eq_u16_sdwa s[12:13], v5, s4 src0_sel:BYTE_0 src1_sel:DWORD
	s_mov_b64 s[4:5], -1
                                        ; implicit-def: $sgpr10
	s_and_saveexec_b64 s[8:9], s[12:13]
; %bb.4002:
	s_mov_b32 s10, 0x7f800001
	s_xor_b64 s[4:5], exec, -1
; %bb.4003:
	s_or_b64 exec, exec, s[8:9]
	s_and_b64 s[4:5], s[4:5], exec
	s_or_saveexec_b64 s[6:7], s[6:7]
	v_mov_b32_e32 v0, s10
	s_xor_b64 exec, exec, s[6:7]
	s_cbranch_execz .LBB19_1954
.LBB19_4004:
	v_mov_b32_e32 v0, 0
	v_cmp_ne_u16_sdwa s[8:9], v5, v0 src0_sel:BYTE_0 src1_sel:DWORD
	s_andn2_b64 s[4:5], s[4:5], exec
	s_and_b64 s[8:9], s[8:9], exec
	s_or_b64 s[4:5], s[4:5], s[8:9]
	s_or_b64 exec, exec, s[6:7]
	s_and_saveexec_b64 s[6:7], s[4:5]
	s_cbranch_execnz .LBB19_1955
	s_branch .LBB19_1956
.LBB19_4005:
	s_movk_i32 s4, 0x80
	v_cmp_eq_u16_sdwa s[12:13], v1, s4 src0_sel:BYTE_0 src1_sel:DWORD
	s_mov_b64 s[4:5], -1
                                        ; implicit-def: $sgpr10
	s_and_saveexec_b64 s[8:9], s[12:13]
; %bb.4006:
	s_mov_b32 s10, 0x7f800001
	s_xor_b64 s[4:5], exec, -1
; %bb.4007:
	s_or_b64 exec, exec, s[8:9]
	s_and_b64 s[4:5], s[4:5], exec
	s_or_saveexec_b64 s[6:7], s[6:7]
	v_mov_b32_e32 v4, s10
	s_xor_b64 exec, exec, s[6:7]
	s_cbranch_execz .LBB19_1958
.LBB19_4008:
	v_mov_b32_e32 v4, 0
	v_cmp_ne_u16_sdwa s[8:9], v1, v4 src0_sel:BYTE_0 src1_sel:DWORD
	s_andn2_b64 s[4:5], s[4:5], exec
	s_and_b64 s[8:9], s[8:9], exec
	s_or_b64 s[4:5], s[4:5], s[8:9]
	s_or_b64 exec, exec, s[6:7]
	s_and_saveexec_b64 s[6:7], s[4:5]
	s_cbranch_execnz .LBB19_1959
	s_branch .LBB19_1960
.LBB19_4009:
	s_movk_i32 s4, 0x80
	v_cmp_eq_u16_sdwa s[12:13], v4, s4 src0_sel:BYTE_0 src1_sel:DWORD
	s_mov_b64 s[4:5], -1
                                        ; implicit-def: $sgpr10
	s_and_saveexec_b64 s[8:9], s[12:13]
; %bb.4010:
	s_mov_b32 s10, 0x7f800001
	s_xor_b64 s[4:5], exec, -1
; %bb.4011:
	s_or_b64 exec, exec, s[8:9]
	s_and_b64 s[4:5], s[4:5], exec
	s_or_saveexec_b64 s[6:7], s[6:7]
	v_mov_b32_e32 v0, s10
	s_xor_b64 exec, exec, s[6:7]
	s_cbranch_execz .LBB19_1962
.LBB19_4012:
	v_mov_b32_e32 v0, 0
	v_cmp_ne_u16_sdwa s[8:9], v4, v0 src0_sel:BYTE_0 src1_sel:DWORD
	s_andn2_b64 s[4:5], s[4:5], exec
	s_and_b64 s[8:9], s[8:9], exec
	s_or_b64 s[4:5], s[4:5], s[8:9]
	s_or_b64 exec, exec, s[6:7]
	s_and_saveexec_b64 s[6:7], s[4:5]
	s_cbranch_execnz .LBB19_1963
	s_branch .LBB19_1964
.LBB19_4013:
	s_movk_i32 s4, 0x80
	v_cmp_eq_u16_sdwa s[12:13], v4, s4 src0_sel:BYTE_0 src1_sel:DWORD
	s_mov_b64 s[4:5], -1
                                        ; implicit-def: $sgpr10
	s_and_saveexec_b64 s[8:9], s[12:13]
; %bb.4014:
	s_mov_b32 s10, 0x7f800001
	s_xor_b64 s[4:5], exec, -1
; %bb.4015:
	s_or_b64 exec, exec, s[8:9]
	s_and_b64 s[4:5], s[4:5], exec
	s_or_saveexec_b64 s[6:7], s[6:7]
	v_mov_b32_e32 v8, s10
	s_xor_b64 exec, exec, s[6:7]
	s_cbranch_execz .LBB19_1966
.LBB19_4016:
	v_mov_b32_e32 v8, 0
	v_cmp_ne_u16_sdwa s[8:9], v4, v8 src0_sel:BYTE_0 src1_sel:DWORD
	s_andn2_b64 s[4:5], s[4:5], exec
	s_and_b64 s[8:9], s[8:9], exec
	s_or_b64 s[4:5], s[4:5], s[8:9]
	s_or_b64 exec, exec, s[6:7]
	s_and_saveexec_b64 s[6:7], s[4:5]
	s_cbranch_execnz .LBB19_1967
	s_branch .LBB19_1968
.LBB19_4017:
	s_movk_i32 s4, 0x80
	v_cmp_eq_u16_e32 vcc, s4, v4
	s_mov_b64 s[4:5], -1
                                        ; implicit-def: $sgpr10
	s_and_saveexec_b64 s[8:9], vcc
; %bb.4018:
	s_mov_b32 s10, 0x7f800001
	s_xor_b64 s[4:5], exec, -1
; %bb.4019:
	s_or_b64 exec, exec, s[8:9]
	s_and_b64 s[4:5], s[4:5], exec
                                        ; implicit-def: $vgpr4
	s_or_saveexec_b64 s[6:7], s[6:7]
	v_mov_b32_e32 v0, s10
	s_xor_b64 exec, exec, s[6:7]
	s_cbranch_execz .LBB19_1970
.LBB19_4020:
	v_cmp_ne_u16_e32 vcc, 0, v4
	s_andn2_b64 s[4:5], s[4:5], exec
	s_and_b64 s[8:9], vcc, exec
	v_mov_b32_e32 v0, 0
	s_or_b64 s[4:5], s[4:5], s[8:9]
	s_or_b64 exec, exec, s[6:7]
	s_and_saveexec_b64 s[6:7], s[4:5]
	s_cbranch_execnz .LBB19_1971
	s_branch .LBB19_1972
.LBB19_4021:
	s_movk_i32 s4, 0x80
	v_cmp_eq_u16_e32 vcc, s4, v4
	s_mov_b64 s[4:5], -1
                                        ; implicit-def: $sgpr10
	s_and_saveexec_b64 s[8:9], vcc
; %bb.4022:
	s_mov_b32 s10, 0x7f800001
	s_xor_b64 s[4:5], exec, -1
; %bb.4023:
	s_or_b64 exec, exec, s[8:9]
	s_and_b64 s[4:5], s[4:5], exec
                                        ; implicit-def: $vgpr4
	s_or_saveexec_b64 s[6:7], s[6:7]
	v_mov_b32_e32 v8, s10
	s_xor_b64 exec, exec, s[6:7]
	s_cbranch_execz .LBB19_1974
.LBB19_4024:
	v_cmp_ne_u16_e32 vcc, 0, v4
	s_andn2_b64 s[4:5], s[4:5], exec
	s_and_b64 s[8:9], vcc, exec
	v_mov_b32_e32 v8, 0
	s_or_b64 s[4:5], s[4:5], s[8:9]
	s_or_b64 exec, exec, s[6:7]
	s_and_saveexec_b64 s[6:7], s[4:5]
	s_cbranch_execnz .LBB19_1975
	s_branch .LBB19_1976
.LBB19_4025:
	s_movk_i32 s4, 0x80
	v_cmp_eq_u16_sdwa s[12:13], v5, s4 src0_sel:BYTE_3 src1_sel:DWORD
	s_mov_b64 s[4:5], -1
                                        ; implicit-def: $sgpr10
	s_and_saveexec_b64 s[8:9], s[12:13]
; %bb.4026:
	s_mov_b32 s10, 0x7f800001
	s_xor_b64 s[4:5], exec, -1
; %bb.4027:
	s_or_b64 exec, exec, s[8:9]
	s_and_b64 s[4:5], s[4:5], exec
	s_or_saveexec_b64 s[6:7], s[6:7]
	v_mov_b32_e32 v0, s10
	s_xor_b64 exec, exec, s[6:7]
	s_cbranch_execz .LBB19_1978
.LBB19_4028:
	v_mov_b32_e32 v0, 0
	v_cmp_ne_u16_sdwa s[8:9], v5, v0 src0_sel:BYTE_3 src1_sel:DWORD
	s_andn2_b64 s[4:5], s[4:5], exec
	s_and_b64 s[8:9], s[8:9], exec
	s_or_b64 s[4:5], s[4:5], s[8:9]
	s_or_b64 exec, exec, s[6:7]
	s_and_saveexec_b64 s[6:7], s[4:5]
	s_cbranch_execnz .LBB19_1979
	s_branch .LBB19_1980
.LBB19_4029:
	s_movk_i32 s4, 0x80
	v_cmp_eq_u16_sdwa s[12:13], v1, s4 src0_sel:BYTE_3 src1_sel:DWORD
	s_mov_b64 s[4:5], -1
                                        ; implicit-def: $sgpr10
	s_and_saveexec_b64 s[8:9], s[12:13]
; %bb.4030:
	s_mov_b32 s10, 0x7f800001
	s_xor_b64 s[4:5], exec, -1
; %bb.4031:
	s_or_b64 exec, exec, s[8:9]
	s_and_b64 s[4:5], s[4:5], exec
	s_or_saveexec_b64 s[6:7], s[6:7]
	v_mov_b32_e32 v4, s10
	s_xor_b64 exec, exec, s[6:7]
	s_cbranch_execz .LBB19_1982
.LBB19_4032:
	v_mov_b32_e32 v4, 0
	v_cmp_ne_u16_sdwa s[8:9], v1, v4 src0_sel:BYTE_3 src1_sel:DWORD
	s_andn2_b64 s[4:5], s[4:5], exec
	s_and_b64 s[8:9], s[8:9], exec
	s_or_b64 s[4:5], s[4:5], s[8:9]
	s_or_b64 exec, exec, s[6:7]
	s_and_saveexec_b64 s[6:7], s[4:5]
	s_cbranch_execnz .LBB19_1983
	s_branch .LBB19_1984
.LBB19_4033:
	s_movk_i32 s4, 0x80
	v_cmp_eq_u16_sdwa s[12:13], v6, s4 src0_sel:BYTE_0 src1_sel:DWORD
	s_mov_b64 s[4:5], -1
                                        ; implicit-def: $sgpr10
	s_and_saveexec_b64 s[8:9], s[12:13]
; %bb.4034:
	s_mov_b32 s10, 0x7f800001
	s_xor_b64 s[4:5], exec, -1
; %bb.4035:
	s_or_b64 exec, exec, s[8:9]
	s_and_b64 s[4:5], s[4:5], exec
	s_or_saveexec_b64 s[6:7], s[6:7]
	v_mov_b32_e32 v0, s10
	s_xor_b64 exec, exec, s[6:7]
	s_cbranch_execz .LBB19_1986
.LBB19_4036:
	v_mov_b32_e32 v0, 0
	v_cmp_ne_u16_sdwa s[8:9], v6, v0 src0_sel:BYTE_0 src1_sel:DWORD
	s_andn2_b64 s[4:5], s[4:5], exec
	s_and_b64 s[8:9], s[8:9], exec
	s_or_b64 s[4:5], s[4:5], s[8:9]
	s_or_b64 exec, exec, s[6:7]
	s_and_saveexec_b64 s[6:7], s[4:5]
	s_cbranch_execnz .LBB19_1987
	s_branch .LBB19_1988
.LBB19_4037:
	s_movk_i32 s4, 0x80
	v_cmp_eq_u16_sdwa s[12:13], v2, s4 src0_sel:BYTE_0 src1_sel:DWORD
	s_mov_b64 s[4:5], -1
                                        ; implicit-def: $sgpr10
	s_and_saveexec_b64 s[8:9], s[12:13]
; %bb.4038:
	s_mov_b32 s10, 0x7f800001
	s_xor_b64 s[4:5], exec, -1
; %bb.4039:
	s_or_b64 exec, exec, s[8:9]
	s_and_b64 s[4:5], s[4:5], exec
	s_or_saveexec_b64 s[6:7], s[6:7]
	v_mov_b32_e32 v1, s10
	s_xor_b64 exec, exec, s[6:7]
	s_cbranch_execz .LBB19_1990
.LBB19_4040:
	v_mov_b32_e32 v1, 0
	v_cmp_ne_u16_sdwa s[8:9], v2, v1 src0_sel:BYTE_0 src1_sel:DWORD
	s_andn2_b64 s[4:5], s[4:5], exec
	s_and_b64 s[8:9], s[8:9], exec
	s_or_b64 s[4:5], s[4:5], s[8:9]
	s_or_b64 exec, exec, s[6:7]
	s_and_saveexec_b64 s[6:7], s[4:5]
	s_cbranch_execnz .LBB19_1991
	s_branch .LBB19_1992
.LBB19_4041:
	s_movk_i32 s4, 0x80
	v_cmp_eq_u16_sdwa s[12:13], v1, s4 src0_sel:BYTE_0 src1_sel:DWORD
	s_mov_b64 s[4:5], -1
                                        ; implicit-def: $sgpr10
	s_and_saveexec_b64 s[8:9], s[12:13]
; %bb.4042:
	s_mov_b32 s10, 0x7f800001
	s_xor_b64 s[4:5], exec, -1
; %bb.4043:
	s_or_b64 exec, exec, s[8:9]
	s_and_b64 s[4:5], s[4:5], exec
	s_or_saveexec_b64 s[6:7], s[6:7]
	v_mov_b32_e32 v0, s10
	s_xor_b64 exec, exec, s[6:7]
	s_cbranch_execz .LBB19_1994
.LBB19_4044:
	v_mov_b32_e32 v0, 0
	v_cmp_ne_u16_sdwa s[8:9], v1, v0 src0_sel:BYTE_0 src1_sel:DWORD
	s_andn2_b64 s[4:5], s[4:5], exec
	s_and_b64 s[8:9], s[8:9], exec
	s_or_b64 s[4:5], s[4:5], s[8:9]
	s_or_b64 exec, exec, s[6:7]
	s_and_saveexec_b64 s[6:7], s[4:5]
	s_cbranch_execnz .LBB19_1995
	s_branch .LBB19_1996
.LBB19_4045:
	s_movk_i32 s4, 0x80
	v_cmp_eq_u16_sdwa s[12:13], v1, s4 src0_sel:BYTE_0 src1_sel:DWORD
	s_mov_b64 s[4:5], -1
                                        ; implicit-def: $sgpr10
	s_and_saveexec_b64 s[8:9], s[12:13]
; %bb.4046:
	s_mov_b32 s10, 0x7f800001
	s_xor_b64 s[4:5], exec, -1
; %bb.4047:
	s_or_b64 exec, exec, s[8:9]
	s_and_b64 s[4:5], s[4:5], exec
	s_or_saveexec_b64 s[6:7], s[6:7]
	v_mov_b32_e32 v4, s10
	s_xor_b64 exec, exec, s[6:7]
	s_cbranch_execz .LBB19_1998
.LBB19_4048:
	v_mov_b32_e32 v4, 0
	v_cmp_ne_u16_sdwa s[8:9], v1, v4 src0_sel:BYTE_0 src1_sel:DWORD
	s_andn2_b64 s[4:5], s[4:5], exec
	s_and_b64 s[8:9], s[8:9], exec
	s_or_b64 s[4:5], s[4:5], s[8:9]
	s_or_b64 exec, exec, s[6:7]
	s_and_saveexec_b64 s[6:7], s[4:5]
	s_cbranch_execnz .LBB19_1999
	s_branch .LBB19_2000
.LBB19_4049:
	s_movk_i32 s4, 0x80
	v_cmp_eq_u16_e32 vcc, s4, v1
	s_mov_b64 s[4:5], -1
                                        ; implicit-def: $sgpr10
	s_and_saveexec_b64 s[8:9], vcc
; %bb.4050:
	s_mov_b32 s10, 0x7f800001
	s_xor_b64 s[4:5], exec, -1
; %bb.4051:
	s_or_b64 exec, exec, s[8:9]
	s_and_b64 s[4:5], s[4:5], exec
                                        ; implicit-def: $vgpr1
	s_or_saveexec_b64 s[6:7], s[6:7]
	v_mov_b32_e32 v0, s10
	s_xor_b64 exec, exec, s[6:7]
	s_cbranch_execz .LBB19_2002
.LBB19_4052:
	v_cmp_ne_u16_e32 vcc, 0, v1
	s_andn2_b64 s[4:5], s[4:5], exec
	s_and_b64 s[8:9], vcc, exec
	v_mov_b32_e32 v0, 0
	s_or_b64 s[4:5], s[4:5], s[8:9]
	s_or_b64 exec, exec, s[6:7]
	s_and_saveexec_b64 s[6:7], s[4:5]
	s_cbranch_execnz .LBB19_2003
	s_branch .LBB19_2004
.LBB19_4053:
	s_movk_i32 s4, 0x80
	v_cmp_eq_u16_e32 vcc, s4, v1
	s_mov_b64 s[4:5], -1
                                        ; implicit-def: $sgpr10
	s_and_saveexec_b64 s[8:9], vcc
; %bb.4054:
	s_mov_b32 s10, 0x7f800001
	s_xor_b64 s[4:5], exec, -1
; %bb.4055:
	s_or_b64 exec, exec, s[8:9]
	s_and_b64 s[4:5], s[4:5], exec
                                        ; implicit-def: $vgpr1
	s_or_saveexec_b64 s[6:7], s[6:7]
	v_mov_b32_e32 v4, s10
	s_xor_b64 exec, exec, s[6:7]
	s_cbranch_execz .LBB19_2006
.LBB19_4056:
	v_cmp_ne_u16_e32 vcc, 0, v1
	s_andn2_b64 s[4:5], s[4:5], exec
	s_and_b64 s[8:9], vcc, exec
	v_mov_b32_e32 v4, 0
	s_or_b64 s[4:5], s[4:5], s[8:9]
	s_or_b64 exec, exec, s[6:7]
	s_and_saveexec_b64 s[6:7], s[4:5]
	s_cbranch_execnz .LBB19_2007
	s_branch .LBB19_2008
.LBB19_4057:
	s_movk_i32 s4, 0x80
	v_cmp_eq_u16_sdwa s[12:13], v6, s4 src0_sel:BYTE_3 src1_sel:DWORD
	s_mov_b64 s[4:5], -1
                                        ; implicit-def: $sgpr10
	s_and_saveexec_b64 s[8:9], s[12:13]
; %bb.4058:
	s_mov_b32 s10, 0x7f800001
	s_xor_b64 s[4:5], exec, -1
; %bb.4059:
	s_or_b64 exec, exec, s[8:9]
	s_and_b64 s[4:5], s[4:5], exec
	s_or_saveexec_b64 s[6:7], s[6:7]
	v_mov_b32_e32 v0, s10
	s_xor_b64 exec, exec, s[6:7]
	s_cbranch_execz .LBB19_2010
.LBB19_4060:
	v_mov_b32_e32 v0, 0
	v_cmp_ne_u16_sdwa s[8:9], v6, v0 src0_sel:BYTE_3 src1_sel:DWORD
	s_andn2_b64 s[4:5], s[4:5], exec
	s_and_b64 s[8:9], s[8:9], exec
	s_or_b64 s[4:5], s[4:5], s[8:9]
	s_or_b64 exec, exec, s[6:7]
	s_and_saveexec_b64 s[6:7], s[4:5]
	s_cbranch_execnz .LBB19_2011
	s_branch .LBB19_2012
.LBB19_4061:
	s_movk_i32 s4, 0x80
	v_cmp_eq_u16_sdwa s[12:13], v2, s4 src0_sel:BYTE_3 src1_sel:DWORD
	s_mov_b64 s[4:5], -1
                                        ; implicit-def: $sgpr10
	s_and_saveexec_b64 s[8:9], s[12:13]
; %bb.4062:
	s_mov_b32 s10, 0x7f800001
	s_xor_b64 s[4:5], exec, -1
; %bb.4063:
	s_or_b64 exec, exec, s[8:9]
	s_and_b64 s[4:5], s[4:5], exec
	s_or_saveexec_b64 s[6:7], s[6:7]
	v_mov_b32_e32 v1, s10
	s_xor_b64 exec, exec, s[6:7]
	s_cbranch_execz .LBB19_2014
.LBB19_4064:
	v_mov_b32_e32 v1, 0
	v_cmp_ne_u16_sdwa s[8:9], v2, v1 src0_sel:BYTE_3 src1_sel:DWORD
	s_andn2_b64 s[4:5], s[4:5], exec
	s_and_b64 s[8:9], s[8:9], exec
	s_or_b64 s[4:5], s[4:5], s[8:9]
	s_or_b64 exec, exec, s[6:7]
	s_and_saveexec_b64 s[6:7], s[4:5]
	s_cbranch_execnz .LBB19_2015
	s_branch .LBB19_2016
.LBB19_4065:
	s_movk_i32 s4, 0x80
	v_cmp_eq_u16_sdwa s[12:13], v7, s4 src0_sel:BYTE_0 src1_sel:DWORD
	s_mov_b64 s[4:5], -1
                                        ; implicit-def: $sgpr10
	s_and_saveexec_b64 s[8:9], s[12:13]
; %bb.4066:
	s_mov_b32 s10, 0x7f800001
	s_xor_b64 s[4:5], exec, -1
; %bb.4067:
	s_or_b64 exec, exec, s[8:9]
	s_and_b64 s[4:5], s[4:5], exec
	s_or_saveexec_b64 s[6:7], s[6:7]
	v_mov_b32_e32 v0, s10
	s_xor_b64 exec, exec, s[6:7]
	s_cbranch_execz .LBB19_2018
.LBB19_4068:
	v_mov_b32_e32 v0, 0
	v_cmp_ne_u16_sdwa s[8:9], v7, v0 src0_sel:BYTE_0 src1_sel:DWORD
	s_andn2_b64 s[4:5], s[4:5], exec
	s_and_b64 s[8:9], s[8:9], exec
	s_or_b64 s[4:5], s[4:5], s[8:9]
	s_or_b64 exec, exec, s[6:7]
	s_and_saveexec_b64 s[6:7], s[4:5]
	s_cbranch_execnz .LBB19_2019
	s_branch .LBB19_2020
.LBB19_4069:
	s_movk_i32 s4, 0x80
	v_cmp_eq_u16_sdwa s[12:13], v3, s4 src0_sel:BYTE_0 src1_sel:DWORD
	s_mov_b64 s[4:5], -1
                                        ; implicit-def: $sgpr10
	s_and_saveexec_b64 s[8:9], s[12:13]
; %bb.4070:
	s_mov_b32 s10, 0x7f800001
	s_xor_b64 s[4:5], exec, -1
; %bb.4071:
	s_or_b64 exec, exec, s[8:9]
	s_and_b64 s[4:5], s[4:5], exec
	s_or_saveexec_b64 s[6:7], s[6:7]
	v_mov_b32_e32 v1, s10
	s_xor_b64 exec, exec, s[6:7]
	s_cbranch_execz .LBB19_2022
.LBB19_4072:
	v_mov_b32_e32 v1, 0
	v_cmp_ne_u16_sdwa s[8:9], v3, v1 src0_sel:BYTE_0 src1_sel:DWORD
	s_andn2_b64 s[4:5], s[4:5], exec
	s_and_b64 s[8:9], s[8:9], exec
	s_or_b64 s[4:5], s[4:5], s[8:9]
	s_or_b64 exec, exec, s[6:7]
	s_and_saveexec_b64 s[6:7], s[4:5]
	s_cbranch_execnz .LBB19_2023
	s_branch .LBB19_2024
.LBB19_4073:
	s_movk_i32 s4, 0x80
	v_cmp_eq_u16_sdwa s[12:13], v1, s4 src0_sel:BYTE_0 src1_sel:DWORD
	s_mov_b64 s[4:5], -1
                                        ; implicit-def: $sgpr10
	s_and_saveexec_b64 s[8:9], s[12:13]
; %bb.4074:
	s_mov_b32 s10, 0x7f800001
	s_xor_b64 s[4:5], exec, -1
; %bb.4075:
	s_or_b64 exec, exec, s[8:9]
	s_and_b64 s[4:5], s[4:5], exec
	s_or_saveexec_b64 s[6:7], s[6:7]
	v_mov_b32_e32 v0, s10
	s_xor_b64 exec, exec, s[6:7]
	s_cbranch_execz .LBB19_2026
.LBB19_4076:
	v_mov_b32_e32 v0, 0
	v_cmp_ne_u16_sdwa s[8:9], v1, v0 src0_sel:BYTE_0 src1_sel:DWORD
	s_andn2_b64 s[4:5], s[4:5], exec
	s_and_b64 s[8:9], s[8:9], exec
	s_or_b64 s[4:5], s[4:5], s[8:9]
	s_or_b64 exec, exec, s[6:7]
	s_and_saveexec_b64 s[6:7], s[4:5]
	s_cbranch_execnz .LBB19_2027
	s_branch .LBB19_2028
.LBB19_4077:
	s_movk_i32 s4, 0x80
	v_cmp_eq_u16_sdwa s[12:13], v1, s4 src0_sel:BYTE_0 src1_sel:DWORD
	s_mov_b64 s[4:5], -1
                                        ; implicit-def: $sgpr10
	s_and_saveexec_b64 s[8:9], s[12:13]
; %bb.4078:
	s_mov_b32 s10, 0x7f800001
	s_xor_b64 s[4:5], exec, -1
; %bb.4079:
	s_or_b64 exec, exec, s[8:9]
	s_and_b64 s[4:5], s[4:5], exec
	s_or_saveexec_b64 s[6:7], s[6:7]
	v_mov_b32_e32 v2, s10
	s_xor_b64 exec, exec, s[6:7]
	s_cbranch_execz .LBB19_2030
.LBB19_4080:
	v_mov_b32_e32 v2, 0
	v_cmp_ne_u16_sdwa s[8:9], v1, v2 src0_sel:BYTE_0 src1_sel:DWORD
	s_andn2_b64 s[4:5], s[4:5], exec
	s_and_b64 s[8:9], s[8:9], exec
	s_or_b64 s[4:5], s[4:5], s[8:9]
	s_or_b64 exec, exec, s[6:7]
	s_and_saveexec_b64 s[6:7], s[4:5]
	s_cbranch_execnz .LBB19_2031
	s_branch .LBB19_2032
.LBB19_4081:
	s_movk_i32 s4, 0x80
	v_cmp_eq_u16_e32 vcc, s4, v1
	s_mov_b64 s[4:5], -1
                                        ; implicit-def: $sgpr10
	s_and_saveexec_b64 s[8:9], vcc
; %bb.4082:
	s_mov_b32 s10, 0x7f800001
	s_xor_b64 s[4:5], exec, -1
; %bb.4083:
	s_or_b64 exec, exec, s[8:9]
	s_and_b64 s[4:5], s[4:5], exec
                                        ; implicit-def: $vgpr1
	s_or_saveexec_b64 s[6:7], s[6:7]
	v_mov_b32_e32 v0, s10
	s_xor_b64 exec, exec, s[6:7]
	s_cbranch_execz .LBB19_2034
.LBB19_4084:
	v_cmp_ne_u16_e32 vcc, 0, v1
	s_andn2_b64 s[4:5], s[4:5], exec
	s_and_b64 s[8:9], vcc, exec
	v_mov_b32_e32 v0, 0
	s_or_b64 s[4:5], s[4:5], s[8:9]
	s_or_b64 exec, exec, s[6:7]
	s_and_saveexec_b64 s[6:7], s[4:5]
	s_cbranch_execnz .LBB19_2035
	s_branch .LBB19_2036
.LBB19_4085:
	s_movk_i32 s4, 0x80
	v_cmp_eq_u16_e32 vcc, s4, v1
	s_mov_b64 s[4:5], -1
                                        ; implicit-def: $sgpr10
	s_and_saveexec_b64 s[8:9], vcc
; %bb.4086:
	s_mov_b32 s10, 0x7f800001
	s_xor_b64 s[4:5], exec, -1
; %bb.4087:
	s_or_b64 exec, exec, s[8:9]
	s_and_b64 s[4:5], s[4:5], exec
                                        ; implicit-def: $vgpr1
	s_or_saveexec_b64 s[6:7], s[6:7]
	v_mov_b32_e32 v2, s10
	s_xor_b64 exec, exec, s[6:7]
	s_cbranch_execz .LBB19_2038
.LBB19_4088:
	v_cmp_ne_u16_e32 vcc, 0, v1
	s_andn2_b64 s[4:5], s[4:5], exec
	s_and_b64 s[8:9], vcc, exec
	v_mov_b32_e32 v2, 0
	s_or_b64 s[4:5], s[4:5], s[8:9]
	s_or_b64 exec, exec, s[6:7]
	s_and_saveexec_b64 s[6:7], s[4:5]
	s_cbranch_execnz .LBB19_2039
	s_branch .LBB19_2040
.LBB19_4089:
	s_movk_i32 s4, 0x80
	v_cmp_eq_u16_sdwa s[12:13], v7, s4 src0_sel:BYTE_3 src1_sel:DWORD
	s_mov_b64 s[4:5], -1
                                        ; implicit-def: $sgpr10
	s_and_saveexec_b64 s[8:9], s[12:13]
; %bb.4090:
	s_mov_b32 s10, 0x7f800001
	s_xor_b64 s[4:5], exec, -1
; %bb.4091:
	s_or_b64 exec, exec, s[8:9]
	s_and_b64 s[4:5], s[4:5], exec
	s_or_saveexec_b64 s[6:7], s[6:7]
	v_mov_b32_e32 v0, s10
	s_xor_b64 exec, exec, s[6:7]
	s_cbranch_execz .LBB19_2042
.LBB19_4092:
	v_mov_b32_e32 v0, 0
	v_cmp_ne_u16_sdwa s[8:9], v7, v0 src0_sel:BYTE_3 src1_sel:DWORD
	s_andn2_b64 s[4:5], s[4:5], exec
	s_and_b64 s[8:9], s[8:9], exec
	s_or_b64 s[4:5], s[4:5], s[8:9]
	s_or_b64 exec, exec, s[6:7]
	s_and_saveexec_b64 s[6:7], s[4:5]
	s_cbranch_execnz .LBB19_2043
	s_branch .LBB19_2044
.LBB19_4093:
	s_movk_i32 s4, 0x80
	v_cmp_eq_u16_sdwa s[12:13], v3, s4 src0_sel:BYTE_3 src1_sel:DWORD
	s_mov_b64 s[4:5], -1
                                        ; implicit-def: $sgpr10
	s_and_saveexec_b64 s[8:9], s[12:13]
; %bb.4094:
	s_mov_b32 s10, 0x7f800001
	s_xor_b64 s[4:5], exec, -1
; %bb.4095:
	s_or_b64 exec, exec, s[8:9]
	s_and_b64 s[4:5], s[4:5], exec
	s_or_saveexec_b64 s[6:7], s[6:7]
	v_mov_b32_e32 v1, s10
	s_xor_b64 exec, exec, s[6:7]
	s_cbranch_execz .LBB19_2046
.LBB19_4096:
	v_mov_b32_e32 v1, 0
	v_cmp_ne_u16_sdwa s[8:9], v3, v1 src0_sel:BYTE_3 src1_sel:DWORD
	s_andn2_b64 s[4:5], s[4:5], exec
	s_and_b64 s[8:9], s[8:9], exec
	s_or_b64 s[4:5], s[4:5], s[8:9]
	s_or_b64 exec, exec, s[6:7]
	s_and_saveexec_b64 s[6:7], s[4:5]
	s_cbranch_execnz .LBB19_2047
	s_branch .LBB19_2048
.Lfunc_end19:
	.size	_ZNK2ck6detail7applierIiJLi0ELi1ELi2ELi3ELi4ELi5ELi6ELi7EEEclIZNKS_11static_fordINS_8SequenceIJLi1ELi8EEEENS5_IJLi0ELi1EEEEEclIZZNKS_52BlockwiseGemmXdlops_pipeline_bpreshuffle_bdequant_v3ILNS_26BlockGemmPipelineSchedulerE0ELi256ENS_9f8_fnuz_tENS_7pk_i4_tESC_fNS_16TensorDescriptorINS_5TupleIJNS_5EmbedINSF_IJNS_17integral_constantIiLi8EEENSH_IiLi256EEENSH_IiLi16EEEEEENSF_IJSK_NSH_IiLi128EEENSH_IiLi1EEEEEELb0EEENS_3XorINSF_IJSJ_SI_EEELb1EEENS_11PassThroughISK_EENS_7UnMergeINSF_IJSI_SN_EEELb0EEENST_ISJ_EESU_NST_ISI_EENS_21Merge_v3_division_modINSF_IJSJ_SN_EEEEESU_EEENSF_IJNS5_IJLi0EEEENS5_IJLi2ELi1EEEENS5_IJLi3EEEENS5_IJLi5EEEENS5_IJLi4EEEENS5_IJLi6EEEENS5_IJLi7EEEENS5_IJLi9ELi8EEEENS5_IJLi10EEEEEEENSF_IJNS5_IJLi1ELi2ELi3EEEENS5_IJLi4ELi5EEEES19_NS5_IJLi7ELi8EEEENS5_IJLi9EEEES1C_NS5_IJLi11EEEENS5_IJLi12EEEENS5_IJLi13EEEEEEENS5_IJLi11ELi12ELi13EEEENSH_IlLl32768EEEEENSE_INSF_IJNSV_INSF_IJSI_SN_SN_NSH_IiLi32EEEEEELb0EEEEEENSF_IJS14_EEENSF_IJNS5_IJLi1ELi2ELi3ELi4EEEEEEES1U_NSH_IlLl256EEEEENSE_INSF_IJSP_SS_SU_SX_SY_SU_SZ_S12_SU_NS10_INSF_IJSI_SK_EEEEENSV_INSF_IJSI_NSH_IiLi2EEESK_EEELb0EEEEEENSF_IJS14_S15_S16_S17_S18_S19_S1A_S1B_S1C_NS5_IJLi11ELi13EEEES1J_EEENSF_IJS1E_S1F_S19_S1G_S1H_S1C_S1I_S1J_S1K_NS5_IJLi14EEEENS5_IJLi15ELi16ELi17EEEEEEENS5_IJLi15ELi16ELi17ELi14EEEES1N_EENSE_INSF_IJS1R_NS10_ISW_EES22_EEENSF_IJS14_NS5_IJLi1ELi3EEEENS5_IJLi2EEEEEEENSF_IJS1U_S17_NS5_IJLi6ELi7ELi8EEEEEEENS5_IJLi6ELi7ELi8ELi5EEEES1W_EELi16ELi32ELi256ELi256ELi128ELi16ELi16ELi8ELi8ELi32ELb0EE3RunILb1ELNS_10TailNumberE0ENSE_INSF_IJNSG_INSF_IJiiEEENSF_IJiSN_EEELb0EEENSV_IS2N_Lb0EEENST_IiEEEEENSF_IJS14_S2E_NS5_IJLi1EEEEEEENSF_IJNS5_IJLi1ELi2EEEENS5_IJLi3ELi4EEEES17_EEENS5_IJLi3ELi5ELi4EEEElEES1O_NS_35ThreadGroupTensorSliceTransfer_v4r1INS_15ThisThreadBlockILi256EEENS_16tensor_operation12element_wise11PassThroughES35_LNS_25InMemoryDataOperationEnumE0ENS5_IJLi8ELi256ELi16EEEENS5_IJLi8ELi32ELi1EEEENS5_IJLi1ELi0ELi2EEEESC_SC_RKS2Z_KS1O_S39_NS5_IJLi0ELi1ELi2EEEELi2ELi2ELi16ELi16ELi1ELi1ELb0ELb1ELi2EiEENS_13DynamicBufferILNS_16AddressSpaceEnumE1EKSC_lLb1ELNS_22AmdBufferCoherenceEnumE0EiEENSF_IJNS3F_ILS3G_2ESC_S1N_Lb1ELS3I_0EiEES3K_EEENSF_IJiiiEEENSE_INSF_IJNSG_INSF_IJiiiiEEENSF_IJiiiSN_EEELb0EEEEEES1T_S1V_S1U_lEENS_32ThreadwiseTensorSliceTransfer_v2ISD_SD_RKS3R_KS1X_NS5_IJLi8ELi1ELi1ELi32EEEENS5_IJLi1ELi2ELi0ELi3EEEELi3ELi32ELi0ELb1ELb0ELb0EEENS3F_ILS3G_1EKSD_lLb1ELS3I_0EiEENSF_IJNS_12StaticBufferILS3G_4ESD_Li256ELb1EEES42_EEES3N_NS_25StaticBufferTupleOfVectorILS3G_4EfLi64ELi4ELb1ELb0EEEEEvRKT1_RKT2_RT3_RKT4_RT5_RKT6_RKT7_RT8_RKT9_RT10_RKT11_RT12_iENKUlT_E0_clISN_EEDaS51_EUlS51_E_EEvS51_EUlS51_E_EEvS51_, .Lfunc_end19-_ZNK2ck6detail7applierIiJLi0ELi1ELi2ELi3ELi4ELi5ELi6ELi7EEEclIZNKS_11static_fordINS_8SequenceIJLi1ELi8EEEENS5_IJLi0ELi1EEEEEclIZZNKS_52BlockwiseGemmXdlops_pipeline_bpreshuffle_bdequant_v3ILNS_26BlockGemmPipelineSchedulerE0ELi256ENS_9f8_fnuz_tENS_7pk_i4_tESC_fNS_16TensorDescriptorINS_5TupleIJNS_5EmbedINSF_IJNS_17integral_constantIiLi8EEENSH_IiLi256EEENSH_IiLi16EEEEEENSF_IJSK_NSH_IiLi128EEENSH_IiLi1EEEEEELb0EEENS_3XorINSF_IJSJ_SI_EEELb1EEENS_11PassThroughISK_EENS_7UnMergeINSF_IJSI_SN_EEELb0EEENST_ISJ_EESU_NST_ISI_EENS_21Merge_v3_division_modINSF_IJSJ_SN_EEEEESU_EEENSF_IJNS5_IJLi0EEEENS5_IJLi2ELi1EEEENS5_IJLi3EEEENS5_IJLi5EEEENS5_IJLi4EEEENS5_IJLi6EEEENS5_IJLi7EEEENS5_IJLi9ELi8EEEENS5_IJLi10EEEEEEENSF_IJNS5_IJLi1ELi2ELi3EEEENS5_IJLi4ELi5EEEES19_NS5_IJLi7ELi8EEEENS5_IJLi9EEEES1C_NS5_IJLi11EEEENS5_IJLi12EEEENS5_IJLi13EEEEEEENS5_IJLi11ELi12ELi13EEEENSH_IlLl32768EEEEENSE_INSF_IJNSV_INSF_IJSI_SN_SN_NSH_IiLi32EEEEEELb0EEEEEENSF_IJS14_EEENSF_IJNS5_IJLi1ELi2ELi3ELi4EEEEEEES1U_NSH_IlLl256EEEEENSE_INSF_IJSP_SS_SU_SX_SY_SU_SZ_S12_SU_NS10_INSF_IJSI_SK_EEEEENSV_INSF_IJSI_NSH_IiLi2EEESK_EEELb0EEEEEENSF_IJS14_S15_S16_S17_S18_S19_S1A_S1B_S1C_NS5_IJLi11ELi13EEEES1J_EEENSF_IJS1E_S1F_S19_S1G_S1H_S1C_S1I_S1J_S1K_NS5_IJLi14EEEENS5_IJLi15ELi16ELi17EEEEEEENS5_IJLi15ELi16ELi17ELi14EEEES1N_EENSE_INSF_IJS1R_NS10_ISW_EES22_EEENSF_IJS14_NS5_IJLi1ELi3EEEENS5_IJLi2EEEEEEENSF_IJS1U_S17_NS5_IJLi6ELi7ELi8EEEEEEENS5_IJLi6ELi7ELi8ELi5EEEES1W_EELi16ELi32ELi256ELi256ELi128ELi16ELi16ELi8ELi8ELi32ELb0EE3RunILb1ELNS_10TailNumberE0ENSE_INSF_IJNSG_INSF_IJiiEEENSF_IJiSN_EEELb0EEENSV_IS2N_Lb0EEENST_IiEEEEENSF_IJS14_S2E_NS5_IJLi1EEEEEEENSF_IJNS5_IJLi1ELi2EEEENS5_IJLi3ELi4EEEES17_EEENS5_IJLi3ELi5ELi4EEEElEES1O_NS_35ThreadGroupTensorSliceTransfer_v4r1INS_15ThisThreadBlockILi256EEENS_16tensor_operation12element_wise11PassThroughES35_LNS_25InMemoryDataOperationEnumE0ENS5_IJLi8ELi256ELi16EEEENS5_IJLi8ELi32ELi1EEEENS5_IJLi1ELi0ELi2EEEESC_SC_RKS2Z_KS1O_S39_NS5_IJLi0ELi1ELi2EEEELi2ELi2ELi16ELi16ELi1ELi1ELb0ELb1ELi2EiEENS_13DynamicBufferILNS_16AddressSpaceEnumE1EKSC_lLb1ELNS_22AmdBufferCoherenceEnumE0EiEENSF_IJNS3F_ILS3G_2ESC_S1N_Lb1ELS3I_0EiEES3K_EEENSF_IJiiiEEENSE_INSF_IJNSG_INSF_IJiiiiEEENSF_IJiiiSN_EEELb0EEEEEES1T_S1V_S1U_lEENS_32ThreadwiseTensorSliceTransfer_v2ISD_SD_RKS3R_KS1X_NS5_IJLi8ELi1ELi1ELi32EEEENS5_IJLi1ELi2ELi0ELi3EEEELi3ELi32ELi0ELb1ELb0ELb0EEENS3F_ILS3G_1EKSD_lLb1ELS3I_0EiEENSF_IJNS_12StaticBufferILS3G_4ESD_Li256ELb1EEES42_EEES3N_NS_25StaticBufferTupleOfVectorILS3G_4EfLi64ELi4ELb1ELb0EEEEEvRKT1_RKT2_RT3_RKT4_RT5_RKT6_RKT7_RT8_RKT9_RT10_RKT11_RT12_iENKUlT_E0_clISN_EEDaS51_EUlS51_E_EEvS51_EUlS51_E_EEvS51_
                                        ; -- End function
	.section	.AMDGPU.csdata,"",@progbits
; Function info:
; codeLenInByte = 133608
; NumSgprs: 36
; NumVgprs: 26
; NumAgprs: 4
; TotalNumVgprs: 32
; ScratchSize: 0
; MemoryBound: 1
	.text
	.p2align	2                               ; -- Begin function _ZNK2ck6detail7applierIiJLi0ELi1ELi2ELi3ELi4ELi5ELi6ELi7EEEclIZNKS_11static_fordINS_8SequenceIJLi1ELi8EEEENS5_IJLi0ELi1EEEEEclIZZNKS_52BlockwiseGemmXdlops_pipeline_bpreshuffle_bdequant_v3ILNS_26BlockGemmPipelineSchedulerE0ELi256ENS_9f8_fnuz_tENS_7pk_i4_tESC_fNS_16TensorDescriptorINS_5TupleIJNS_5EmbedINSF_IJNS_17integral_constantIiLi8EEENSH_IiLi256EEENSH_IiLi16EEEEEENSF_IJSK_NSH_IiLi128EEENSH_IiLi1EEEEEELb0EEENS_3XorINSF_IJSJ_SI_EEELb1EEENS_11PassThroughISK_EENS_7UnMergeINSF_IJSI_SN_EEELb0EEENST_ISJ_EESU_NST_ISI_EENS_21Merge_v3_division_modINSF_IJSJ_SN_EEEEESU_EEENSF_IJNS5_IJLi0EEEENS5_IJLi2ELi1EEEENS5_IJLi3EEEENS5_IJLi5EEEENS5_IJLi4EEEENS5_IJLi6EEEENS5_IJLi7EEEENS5_IJLi9ELi8EEEENS5_IJLi10EEEEEEENSF_IJNS5_IJLi1ELi2ELi3EEEENS5_IJLi4ELi5EEEES19_NS5_IJLi7ELi8EEEENS5_IJLi9EEEES1C_NS5_IJLi11EEEENS5_IJLi12EEEENS5_IJLi13EEEEEEENS5_IJLi11ELi12ELi13EEEENSH_IlLl32768EEEEENSE_INSF_IJNSV_INSF_IJSI_SN_SN_NSH_IiLi32EEEEEELb0EEEEEENSF_IJS14_EEENSF_IJNS5_IJLi1ELi2ELi3ELi4EEEEEEES1U_NSH_IlLl256EEEEENSE_INSF_IJSP_SS_SU_SX_SY_SU_SZ_S12_SU_NS10_INSF_IJSI_SK_EEEEENSV_INSF_IJSI_NSH_IiLi2EEESK_EEELb0EEEEEENSF_IJS14_S15_S16_S17_S18_S19_S1A_S1B_S1C_NS5_IJLi11ELi13EEEES1J_EEENSF_IJS1E_S1F_S19_S1G_S1H_S1C_S1I_S1J_S1K_NS5_IJLi14EEEENS5_IJLi15ELi16ELi17EEEEEEENS5_IJLi15ELi16ELi17ELi14EEEES1N_EENSE_INSF_IJS1R_NS10_ISW_EES22_EEENSF_IJS14_NS5_IJLi1ELi3EEEENS5_IJLi2EEEEEEENSF_IJS1U_S17_NS5_IJLi6ELi7ELi8EEEEEEENS5_IJLi6ELi7ELi8ELi5EEEES1W_EELi16ELi32ELi256ELi256ELi128ELi16ELi16ELi8ELi8ELi32ELb0EE3RunILb1ELNS_10TailNumberE0ENSE_INSF_IJNSG_INSF_IJiiEEENSF_IJiSN_EEELb0EEENSV_IS2N_Lb0EEENST_IiEEEEENSF_IJS14_S2E_NS5_IJLi1EEEEEEENSF_IJNS5_IJLi1ELi2EEEENS5_IJLi3ELi4EEEES17_EEENS5_IJLi3ELi5ELi4EEEElEES1O_NS_35ThreadGroupTensorSliceTransfer_v4r1INS_15ThisThreadBlockILi256EEENS_16tensor_operation12element_wise11PassThroughES35_LNS_25InMemoryDataOperationEnumE0ENS5_IJLi8ELi256ELi16EEEENS5_IJLi8ELi32ELi1EEEENS5_IJLi1ELi0ELi2EEEESC_SC_RKS2Z_KS1O_S39_NS5_IJLi0ELi1ELi2EEEELi2ELi2ELi16ELi16ELi1ELi1ELb0ELb1ELi2EiEENS_13DynamicBufferILNS_16AddressSpaceEnumE1EKSC_lLb1ELNS_22AmdBufferCoherenceEnumE0EiEENSF_IJNS3F_ILS3G_2ESC_S1N_Lb1ELS3I_0EiEES3K_EEENSF_IJiiiEEENSE_INSF_IJNSG_INSF_IJiiiiEEENSF_IJiiiSN_EEELb0EEEEEES1T_S1V_S1U_lEENS_32ThreadwiseTensorSliceTransfer_v2ISD_SD_RKS3R_KS1X_NS5_IJLi8ELi1ELi1ELi32EEEENS5_IJLi1ELi2ELi0ELi3EEEELi3ELi32ELi0ELb1ELb0ELb0EEENS3F_ILS3G_1EKSD_lLb1ELS3I_0EiEENSF_IJNS_12StaticBufferILS3G_4ESD_Li256ELb1EEES42_EEES3N_NS_25StaticBufferTupleOfVectorILS3G_4EfLi64ELi4ELb1ELb0EEEEEvRKT1_RKT2_RT3_RKT4_RT5_RKT6_RKT7_RT8_RKT9_RT10_RKT11_RT12_iENKUlT_E0_clIS20_EEDaS51_EUlS51_E_EEvS51_EUlS51_E_EEvS51_
	.type	_ZNK2ck6detail7applierIiJLi0ELi1ELi2ELi3ELi4ELi5ELi6ELi7EEEclIZNKS_11static_fordINS_8SequenceIJLi1ELi8EEEENS5_IJLi0ELi1EEEEEclIZZNKS_52BlockwiseGemmXdlops_pipeline_bpreshuffle_bdequant_v3ILNS_26BlockGemmPipelineSchedulerE0ELi256ENS_9f8_fnuz_tENS_7pk_i4_tESC_fNS_16TensorDescriptorINS_5TupleIJNS_5EmbedINSF_IJNS_17integral_constantIiLi8EEENSH_IiLi256EEENSH_IiLi16EEEEEENSF_IJSK_NSH_IiLi128EEENSH_IiLi1EEEEEELb0EEENS_3XorINSF_IJSJ_SI_EEELb1EEENS_11PassThroughISK_EENS_7UnMergeINSF_IJSI_SN_EEELb0EEENST_ISJ_EESU_NST_ISI_EENS_21Merge_v3_division_modINSF_IJSJ_SN_EEEEESU_EEENSF_IJNS5_IJLi0EEEENS5_IJLi2ELi1EEEENS5_IJLi3EEEENS5_IJLi5EEEENS5_IJLi4EEEENS5_IJLi6EEEENS5_IJLi7EEEENS5_IJLi9ELi8EEEENS5_IJLi10EEEEEEENSF_IJNS5_IJLi1ELi2ELi3EEEENS5_IJLi4ELi5EEEES19_NS5_IJLi7ELi8EEEENS5_IJLi9EEEES1C_NS5_IJLi11EEEENS5_IJLi12EEEENS5_IJLi13EEEEEEENS5_IJLi11ELi12ELi13EEEENSH_IlLl32768EEEEENSE_INSF_IJNSV_INSF_IJSI_SN_SN_NSH_IiLi32EEEEEELb0EEEEEENSF_IJS14_EEENSF_IJNS5_IJLi1ELi2ELi3ELi4EEEEEEES1U_NSH_IlLl256EEEEENSE_INSF_IJSP_SS_SU_SX_SY_SU_SZ_S12_SU_NS10_INSF_IJSI_SK_EEEEENSV_INSF_IJSI_NSH_IiLi2EEESK_EEELb0EEEEEENSF_IJS14_S15_S16_S17_S18_S19_S1A_S1B_S1C_NS5_IJLi11ELi13EEEES1J_EEENSF_IJS1E_S1F_S19_S1G_S1H_S1C_S1I_S1J_S1K_NS5_IJLi14EEEENS5_IJLi15ELi16ELi17EEEEEEENS5_IJLi15ELi16ELi17ELi14EEEES1N_EENSE_INSF_IJS1R_NS10_ISW_EES22_EEENSF_IJS14_NS5_IJLi1ELi3EEEENS5_IJLi2EEEEEEENSF_IJS1U_S17_NS5_IJLi6ELi7ELi8EEEEEEENS5_IJLi6ELi7ELi8ELi5EEEES1W_EELi16ELi32ELi256ELi256ELi128ELi16ELi16ELi8ELi8ELi32ELb0EE3RunILb1ELNS_10TailNumberE0ENSE_INSF_IJNSG_INSF_IJiiEEENSF_IJiSN_EEELb0EEENSV_IS2N_Lb0EEENST_IiEEEEENSF_IJS14_S2E_NS5_IJLi1EEEEEEENSF_IJNS5_IJLi1ELi2EEEENS5_IJLi3ELi4EEEES17_EEENS5_IJLi3ELi5ELi4EEEElEES1O_NS_35ThreadGroupTensorSliceTransfer_v4r1INS_15ThisThreadBlockILi256EEENS_16tensor_operation12element_wise11PassThroughES35_LNS_25InMemoryDataOperationEnumE0ENS5_IJLi8ELi256ELi16EEEENS5_IJLi8ELi32ELi1EEEENS5_IJLi1ELi0ELi2EEEESC_SC_RKS2Z_KS1O_S39_NS5_IJLi0ELi1ELi2EEEELi2ELi2ELi16ELi16ELi1ELi1ELb0ELb1ELi2EiEENS_13DynamicBufferILNS_16AddressSpaceEnumE1EKSC_lLb1ELNS_22AmdBufferCoherenceEnumE0EiEENSF_IJNS3F_ILS3G_2ESC_S1N_Lb1ELS3I_0EiEES3K_EEENSF_IJiiiEEENSE_INSF_IJNSG_INSF_IJiiiiEEENSF_IJiiiSN_EEELb0EEEEEES1T_S1V_S1U_lEENS_32ThreadwiseTensorSliceTransfer_v2ISD_SD_RKS3R_KS1X_NS5_IJLi8ELi1ELi1ELi32EEEENS5_IJLi1ELi2ELi0ELi3EEEELi3ELi32ELi0ELb1ELb0ELb0EEENS3F_ILS3G_1EKSD_lLb1ELS3I_0EiEENSF_IJNS_12StaticBufferILS3G_4ESD_Li256ELb1EEES42_EEES3N_NS_25StaticBufferTupleOfVectorILS3G_4EfLi64ELi4ELb1ELb0EEEEEvRKT1_RKT2_RT3_RKT4_RT5_RKT6_RKT7_RT8_RKT9_RT10_RKT11_RT12_iENKUlT_E0_clIS20_EEDaS51_EUlS51_E_EEvS51_EUlS51_E_EEvS51_,@function
_ZNK2ck6detail7applierIiJLi0ELi1ELi2ELi3ELi4ELi5ELi6ELi7EEEclIZNKS_11static_fordINS_8SequenceIJLi1ELi8EEEENS5_IJLi0ELi1EEEEEclIZZNKS_52BlockwiseGemmXdlops_pipeline_bpreshuffle_bdequant_v3ILNS_26BlockGemmPipelineSchedulerE0ELi256ENS_9f8_fnuz_tENS_7pk_i4_tESC_fNS_16TensorDescriptorINS_5TupleIJNS_5EmbedINSF_IJNS_17integral_constantIiLi8EEENSH_IiLi256EEENSH_IiLi16EEEEEENSF_IJSK_NSH_IiLi128EEENSH_IiLi1EEEEEELb0EEENS_3XorINSF_IJSJ_SI_EEELb1EEENS_11PassThroughISK_EENS_7UnMergeINSF_IJSI_SN_EEELb0EEENST_ISJ_EESU_NST_ISI_EENS_21Merge_v3_division_modINSF_IJSJ_SN_EEEEESU_EEENSF_IJNS5_IJLi0EEEENS5_IJLi2ELi1EEEENS5_IJLi3EEEENS5_IJLi5EEEENS5_IJLi4EEEENS5_IJLi6EEEENS5_IJLi7EEEENS5_IJLi9ELi8EEEENS5_IJLi10EEEEEEENSF_IJNS5_IJLi1ELi2ELi3EEEENS5_IJLi4ELi5EEEES19_NS5_IJLi7ELi8EEEENS5_IJLi9EEEES1C_NS5_IJLi11EEEENS5_IJLi12EEEENS5_IJLi13EEEEEEENS5_IJLi11ELi12ELi13EEEENSH_IlLl32768EEEEENSE_INSF_IJNSV_INSF_IJSI_SN_SN_NSH_IiLi32EEEEEELb0EEEEEENSF_IJS14_EEENSF_IJNS5_IJLi1ELi2ELi3ELi4EEEEEEES1U_NSH_IlLl256EEEEENSE_INSF_IJSP_SS_SU_SX_SY_SU_SZ_S12_SU_NS10_INSF_IJSI_SK_EEEEENSV_INSF_IJSI_NSH_IiLi2EEESK_EEELb0EEEEEENSF_IJS14_S15_S16_S17_S18_S19_S1A_S1B_S1C_NS5_IJLi11ELi13EEEES1J_EEENSF_IJS1E_S1F_S19_S1G_S1H_S1C_S1I_S1J_S1K_NS5_IJLi14EEEENS5_IJLi15ELi16ELi17EEEEEEENS5_IJLi15ELi16ELi17ELi14EEEES1N_EENSE_INSF_IJS1R_NS10_ISW_EES22_EEENSF_IJS14_NS5_IJLi1ELi3EEEENS5_IJLi2EEEEEEENSF_IJS1U_S17_NS5_IJLi6ELi7ELi8EEEEEEENS5_IJLi6ELi7ELi8ELi5EEEES1W_EELi16ELi32ELi256ELi256ELi128ELi16ELi16ELi8ELi8ELi32ELb0EE3RunILb1ELNS_10TailNumberE0ENSE_INSF_IJNSG_INSF_IJiiEEENSF_IJiSN_EEELb0EEENSV_IS2N_Lb0EEENST_IiEEEEENSF_IJS14_S2E_NS5_IJLi1EEEEEEENSF_IJNS5_IJLi1ELi2EEEENS5_IJLi3ELi4EEEES17_EEENS5_IJLi3ELi5ELi4EEEElEES1O_NS_35ThreadGroupTensorSliceTransfer_v4r1INS_15ThisThreadBlockILi256EEENS_16tensor_operation12element_wise11PassThroughES35_LNS_25InMemoryDataOperationEnumE0ENS5_IJLi8ELi256ELi16EEEENS5_IJLi8ELi32ELi1EEEENS5_IJLi1ELi0ELi2EEEESC_SC_RKS2Z_KS1O_S39_NS5_IJLi0ELi1ELi2EEEELi2ELi2ELi16ELi16ELi1ELi1ELb0ELb1ELi2EiEENS_13DynamicBufferILNS_16AddressSpaceEnumE1EKSC_lLb1ELNS_22AmdBufferCoherenceEnumE0EiEENSF_IJNS3F_ILS3G_2ESC_S1N_Lb1ELS3I_0EiEES3K_EEENSF_IJiiiEEENSE_INSF_IJNSG_INSF_IJiiiiEEENSF_IJiiiSN_EEELb0EEEEEES1T_S1V_S1U_lEENS_32ThreadwiseTensorSliceTransfer_v2ISD_SD_RKS3R_KS1X_NS5_IJLi8ELi1ELi1ELi32EEEENS5_IJLi1ELi2ELi0ELi3EEEELi3ELi32ELi0ELb1ELb0ELb0EEENS3F_ILS3G_1EKSD_lLb1ELS3I_0EiEENSF_IJNS_12StaticBufferILS3G_4ESD_Li256ELb1EEES42_EEES3N_NS_25StaticBufferTupleOfVectorILS3G_4EfLi64ELi4ELb1ELb0EEEEEvRKT1_RKT2_RT3_RKT4_RT5_RKT6_RKT7_RT8_RKT9_RT10_RKT11_RT12_iENKUlT_E0_clIS20_EEDaS51_EUlS51_E_EEvS51_EUlS51_E_EEvS51_: ; @_ZNK2ck6detail7applierIiJLi0ELi1ELi2ELi3ELi4ELi5ELi6ELi7EEEclIZNKS_11static_fordINS_8SequenceIJLi1ELi8EEEENS5_IJLi0ELi1EEEEEclIZZNKS_52BlockwiseGemmXdlops_pipeline_bpreshuffle_bdequant_v3ILNS_26BlockGemmPipelineSchedulerE0ELi256ENS_9f8_fnuz_tENS_7pk_i4_tESC_fNS_16TensorDescriptorINS_5TupleIJNS_5EmbedINSF_IJNS_17integral_constantIiLi8EEENSH_IiLi256EEENSH_IiLi16EEEEEENSF_IJSK_NSH_IiLi128EEENSH_IiLi1EEEEEELb0EEENS_3XorINSF_IJSJ_SI_EEELb1EEENS_11PassThroughISK_EENS_7UnMergeINSF_IJSI_SN_EEELb0EEENST_ISJ_EESU_NST_ISI_EENS_21Merge_v3_division_modINSF_IJSJ_SN_EEEEESU_EEENSF_IJNS5_IJLi0EEEENS5_IJLi2ELi1EEEENS5_IJLi3EEEENS5_IJLi5EEEENS5_IJLi4EEEENS5_IJLi6EEEENS5_IJLi7EEEENS5_IJLi9ELi8EEEENS5_IJLi10EEEEEEENSF_IJNS5_IJLi1ELi2ELi3EEEENS5_IJLi4ELi5EEEES19_NS5_IJLi7ELi8EEEENS5_IJLi9EEEES1C_NS5_IJLi11EEEENS5_IJLi12EEEENS5_IJLi13EEEEEEENS5_IJLi11ELi12ELi13EEEENSH_IlLl32768EEEEENSE_INSF_IJNSV_INSF_IJSI_SN_SN_NSH_IiLi32EEEEEELb0EEEEEENSF_IJS14_EEENSF_IJNS5_IJLi1ELi2ELi3ELi4EEEEEEES1U_NSH_IlLl256EEEEENSE_INSF_IJSP_SS_SU_SX_SY_SU_SZ_S12_SU_NS10_INSF_IJSI_SK_EEEEENSV_INSF_IJSI_NSH_IiLi2EEESK_EEELb0EEEEEENSF_IJS14_S15_S16_S17_S18_S19_S1A_S1B_S1C_NS5_IJLi11ELi13EEEES1J_EEENSF_IJS1E_S1F_S19_S1G_S1H_S1C_S1I_S1J_S1K_NS5_IJLi14EEEENS5_IJLi15ELi16ELi17EEEEEEENS5_IJLi15ELi16ELi17ELi14EEEES1N_EENSE_INSF_IJS1R_NS10_ISW_EES22_EEENSF_IJS14_NS5_IJLi1ELi3EEEENS5_IJLi2EEEEEEENSF_IJS1U_S17_NS5_IJLi6ELi7ELi8EEEEEEENS5_IJLi6ELi7ELi8ELi5EEEES1W_EELi16ELi32ELi256ELi256ELi128ELi16ELi16ELi8ELi8ELi32ELb0EE3RunILb1ELNS_10TailNumberE0ENSE_INSF_IJNSG_INSF_IJiiEEENSF_IJiSN_EEELb0EEENSV_IS2N_Lb0EEENST_IiEEEEENSF_IJS14_S2E_NS5_IJLi1EEEEEEENSF_IJNS5_IJLi1ELi2EEEENS5_IJLi3ELi4EEEES17_EEENS5_IJLi3ELi5ELi4EEEElEES1O_NS_35ThreadGroupTensorSliceTransfer_v4r1INS_15ThisThreadBlockILi256EEENS_16tensor_operation12element_wise11PassThroughES35_LNS_25InMemoryDataOperationEnumE0ENS5_IJLi8ELi256ELi16EEEENS5_IJLi8ELi32ELi1EEEENS5_IJLi1ELi0ELi2EEEESC_SC_RKS2Z_KS1O_S39_NS5_IJLi0ELi1ELi2EEEELi2ELi2ELi16ELi16ELi1ELi1ELb0ELb1ELi2EiEENS_13DynamicBufferILNS_16AddressSpaceEnumE1EKSC_lLb1ELNS_22AmdBufferCoherenceEnumE0EiEENSF_IJNS3F_ILS3G_2ESC_S1N_Lb1ELS3I_0EiEES3K_EEENSF_IJiiiEEENSE_INSF_IJNSG_INSF_IJiiiiEEENSF_IJiiiSN_EEELb0EEEEEES1T_S1V_S1U_lEENS_32ThreadwiseTensorSliceTransfer_v2ISD_SD_RKS3R_KS1X_NS5_IJLi8ELi1ELi1ELi32EEEENS5_IJLi1ELi2ELi0ELi3EEEELi3ELi32ELi0ELb1ELb0ELb0EEENS3F_ILS3G_1EKSD_lLb1ELS3I_0EiEENSF_IJNS_12StaticBufferILS3G_4ESD_Li256ELb1EEES42_EEES3N_NS_25StaticBufferTupleOfVectorILS3G_4EfLi64ELi4ELb1ELb0EEEEEvRKT1_RKT2_RT3_RKT4_RT5_RKT6_RKT7_RT8_RKT9_RT10_RKT11_RT12_iENKUlT_E0_clIS20_EEDaS51_EUlS51_E_EEvS51_EUlS51_E_EEvS51_
; %bb.0:
	s_waitcnt vmcnt(0) expcnt(0) lgkmcnt(0)
	flat_load_dwordx4 v[20:23], v[0:1] offset:8
	flat_load_dwordx2 v[18:19], v[0:1] offset:24
	s_movk_i32 s4, 0x7f
                                        ; implicit-def: $sgpr10
	s_waitcnt vmcnt(0) lgkmcnt(0)
	flat_load_dwordx4 v[14:17], v[20:21]
	flat_load_dwordx4 v[10:13], v[22:23]
	flat_load_dwordx4 v[6:9], v[20:21] offset:16
	flat_load_dwordx4 v[2:5], v[22:23] offset:16
	s_waitcnt vmcnt(0) lgkmcnt(0)
	v_cmp_gt_i16_sdwa s[6:7], v14, s4 src0_sel:BYTE_0 src1_sel:DWORD
	s_mov_b64 s[4:5], 0
	s_and_saveexec_b64 s[8:9], s[6:7]
	s_xor_b64 s[6:7], exec, s[8:9]
	s_cbranch_execnz .LBB20_2049
; %bb.1:
	s_or_saveexec_b64 s[6:7], s[6:7]
	v_mov_b32_e32 v20, s10
	s_xor_b64 exec, exec, s[6:7]
	s_cbranch_execnz .LBB20_2052
.LBB20_2:
	s_or_b64 exec, exec, s[6:7]
	s_and_saveexec_b64 s[6:7], s[4:5]
	s_cbranch_execz .LBB20_4
.LBB20_3:
	v_and_b32_e32 v20, 7, v14
	v_ffbh_u32_e32 v22, v20
	v_min_u32_e32 v22, 32, v22
	v_lshrrev_b16_e32 v21, 3, v14
	v_subrev_u32_e32 v23, 28, v22
	v_and_b32_e32 v21, 15, v21
	v_lshlrev_b32_e32 v23, v23, v14
	v_sub_u32_e32 v22, 29, v22
	v_and_b32_e32 v23, 7, v23
	v_cmp_eq_u16_e32 vcc, 0, v21
	v_cndmask_b32_e32 v20, v20, v23, vcc
	v_cndmask_b32_e32 v21, v21, v22, vcc
	v_lshlrev_b32_e32 v22, 24, v14
	v_mov_b32_e32 v23, 0x3b800000
	v_lshlrev_b32_e32 v20, 20, v20
	v_and_b32_e32 v22, 0x80000000, v22
	v_lshl_add_u32 v21, v21, 23, v23
	v_or3_b32 v20, v22, v21, v20
.LBB20_4:
	s_or_b64 exec, exec, s[6:7]
	s_movk_i32 s4, 0x7f
	v_cmp_gt_i16_sdwa s[6:7], v10, s4 src0_sel:BYTE_0 src1_sel:DWORD
	s_mov_b64 s[4:5], 0
                                        ; implicit-def: $sgpr10
	s_and_saveexec_b64 s[8:9], s[6:7]
	s_xor_b64 s[6:7], exec, s[8:9]
	s_cbranch_execnz .LBB20_2053
; %bb.5:
	s_or_saveexec_b64 s[6:7], s[6:7]
	v_mov_b32_e32 v21, s10
	s_xor_b64 exec, exec, s[6:7]
	s_cbranch_execnz .LBB20_2056
.LBB20_6:
	s_or_b64 exec, exec, s[6:7]
	s_and_saveexec_b64 s[6:7], s[4:5]
	s_cbranch_execz .LBB20_8
.LBB20_7:
	v_and_b32_e32 v21, 7, v10
	v_ffbh_u32_e32 v23, v21
	v_min_u32_e32 v23, 32, v23
	v_lshrrev_b16_e32 v22, 3, v10
	v_subrev_u32_e32 v24, 28, v23
	v_and_b32_e32 v22, 15, v22
	v_lshlrev_b32_e32 v24, v24, v10
	v_sub_u32_e32 v23, 29, v23
	v_and_b32_e32 v24, 7, v24
	v_cmp_eq_u16_e32 vcc, 0, v22
	v_cndmask_b32_e32 v21, v21, v24, vcc
	v_cndmask_b32_e32 v22, v22, v23, vcc
	v_lshlrev_b32_e32 v23, 24, v10
	v_mov_b32_e32 v24, 0x3b800000
	v_lshlrev_b32_e32 v21, 20, v21
	v_and_b32_e32 v23, 0x80000000, v23
	v_lshl_add_u32 v22, v22, 23, v24
	v_or3_b32 v21, v23, v22, v21
.LBB20_8:
	s_or_b64 exec, exec, s[6:7]
	flat_load_dwordx4 a[0:3], v[18:19] offset:256
	s_movk_i32 s4, 0x7f
                                        ; implicit-def: $sgpr10
	s_waitcnt vmcnt(0) lgkmcnt(0)
	v_mfma_f32_16x16x4f32 a[0:3], v20, v21, a[0:3]
	v_lshrrev_b32_e32 v21, 8, v14
	v_cmp_gt_i16_sdwa s[6:7], v21, s4 src0_sel:BYTE_0 src1_sel:DWORD
	s_mov_b64 s[4:5], 0
	s_and_saveexec_b64 s[8:9], s[6:7]
	s_xor_b64 s[6:7], exec, s[8:9]
	s_cbranch_execnz .LBB20_2057
; %bb.9:
	s_or_saveexec_b64 s[6:7], s[6:7]
	v_mov_b32_e32 v20, s10
	s_xor_b64 exec, exec, s[6:7]
	s_cbranch_execnz .LBB20_2060
.LBB20_10:
	s_or_b64 exec, exec, s[6:7]
	s_and_saveexec_b64 s[6:7], s[4:5]
	s_cbranch_execz .LBB20_12
.LBB20_11:
	v_bfe_u32 v20, v14, 8, 3
	v_ffbh_u32_e32 v23, v20
	v_min_u32_e32 v23, 32, v23
	v_lshrrev_b16_e32 v22, 3, v21
	v_subrev_u32_e32 v24, 28, v23
	v_and_b32_e32 v22, 15, v22
	v_lshlrev_b32_e32 v21, v24, v21
	v_sub_u32_e32 v23, 29, v23
	v_and_b32_e32 v21, 7, v21
	v_cmp_eq_u16_e32 vcc, 0, v22
	v_cndmask_b32_e32 v20, v20, v21, vcc
	v_cndmask_b32_e32 v21, v22, v23, vcc
	v_lshlrev_b32_e32 v22, 16, v14
	v_mov_b32_e32 v23, 0x3b800000
	v_lshlrev_b32_e32 v20, 20, v20
	v_and_b32_e32 v22, 0x80000000, v22
	v_lshl_add_u32 v21, v21, 23, v23
	v_or3_b32 v20, v22, v21, v20
.LBB20_12:
	s_or_b64 exec, exec, s[6:7]
	v_lshrrev_b32_e32 v21, 8, v10
	s_movk_i32 s4, 0x7f
	v_cmp_gt_i16_sdwa s[6:7], v21, s4 src0_sel:BYTE_0 src1_sel:DWORD
	s_mov_b64 s[4:5], 0
                                        ; implicit-def: $sgpr10
	s_and_saveexec_b64 s[8:9], s[6:7]
	s_xor_b64 s[6:7], exec, s[8:9]
	s_cbranch_execnz .LBB20_2061
; %bb.13:
	s_or_saveexec_b64 s[6:7], s[6:7]
	v_mov_b32_e32 v22, s10
	s_xor_b64 exec, exec, s[6:7]
	s_cbranch_execnz .LBB20_2064
.LBB20_14:
	s_or_b64 exec, exec, s[6:7]
	s_and_saveexec_b64 s[6:7], s[4:5]
	s_cbranch_execz .LBB20_16
.LBB20_15:
	v_bfe_u32 v22, v10, 8, 3
	v_ffbh_u32_e32 v24, v22
	v_min_u32_e32 v24, 32, v24
	v_lshrrev_b16_e32 v23, 3, v21
	v_subrev_u32_e32 v25, 28, v24
	v_and_b32_e32 v23, 15, v23
	v_lshlrev_b32_e32 v21, v25, v21
	v_sub_u32_e32 v24, 29, v24
	v_and_b32_e32 v21, 7, v21
	v_cmp_eq_u16_e32 vcc, 0, v23
	v_cndmask_b32_e32 v21, v22, v21, vcc
	v_cndmask_b32_e32 v22, v23, v24, vcc
	v_lshlrev_b32_e32 v23, 16, v10
	v_mov_b32_e32 v24, 0x3b800000
	v_lshlrev_b32_e32 v21, 20, v21
	v_and_b32_e32 v23, 0x80000000, v23
	v_lshl_add_u32 v22, v22, 23, v24
	v_or3_b32 v22, v23, v22, v21
.LBB20_16:
	s_or_b64 exec, exec, s[6:7]
	s_nop 0
	v_mfma_f32_16x16x4f32 a[0:3], v20, v22, a[0:3]
	s_movk_i32 s4, 0xff
	v_and_b32_sdwa v21, v14, s4 dst_sel:DWORD dst_unused:UNUSED_PAD src0_sel:WORD_1 src1_sel:DWORD
	s_movk_i32 s4, 0x7f
	v_cmp_lt_i16_e32 vcc, s4, v21
	s_mov_b64 s[4:5], 0
                                        ; implicit-def: $sgpr10
	s_and_saveexec_b64 s[6:7], vcc
	s_xor_b64 s[6:7], exec, s[6:7]
	s_cbranch_execnz .LBB20_2065
; %bb.17:
	s_or_saveexec_b64 s[6:7], s[6:7]
	v_mov_b32_e32 v20, s10
	s_xor_b64 exec, exec, s[6:7]
	s_cbranch_execnz .LBB20_2068
.LBB20_18:
	s_or_b64 exec, exec, s[6:7]
	s_and_saveexec_b64 s[6:7], s[4:5]
	s_cbranch_execz .LBB20_20
.LBB20_19:
	v_bfe_u32 v20, v14, 16, 3
	v_ffbh_u32_e32 v23, v20
	v_min_u32_e32 v23, 32, v23
	v_lshrrev_b32_e32 v21, 19, v14
	v_subrev_u32_e32 v24, 28, v23
	v_and_b32_e32 v21, 15, v21
	v_lshlrev_b32_sdwa v24, v24, v14 dst_sel:DWORD dst_unused:UNUSED_PAD src0_sel:DWORD src1_sel:WORD_1
	v_bfe_u32 v22, v14, 19, 4
	v_sub_u32_e32 v23, 29, v23
	v_and_b32_e32 v24, 7, v24
	v_cmp_eq_u16_e32 vcc, 0, v21
	v_cndmask_b32_e32 v20, v20, v24, vcc
	v_cndmask_b32_e32 v21, v22, v23, vcc
	v_lshlrev_b32_e32 v22, 8, v14
	v_mov_b32_e32 v23, 0x3b800000
	v_lshlrev_b32_e32 v20, 20, v20
	v_and_b32_e32 v22, 0x80000000, v22
	v_lshl_add_u32 v21, v21, 23, v23
	v_or3_b32 v20, v22, v21, v20
.LBB20_20:
	s_or_b64 exec, exec, s[6:7]
	s_movk_i32 s4, 0xff
	v_and_b32_sdwa v21, v10, s4 dst_sel:DWORD dst_unused:UNUSED_PAD src0_sel:WORD_1 src1_sel:DWORD
	s_movk_i32 s4, 0x7f
	v_cmp_lt_i16_e32 vcc, s4, v21
	s_mov_b64 s[4:5], 0
                                        ; implicit-def: $sgpr10
	s_and_saveexec_b64 s[6:7], vcc
	s_xor_b64 s[6:7], exec, s[6:7]
	s_cbranch_execnz .LBB20_2069
; %bb.21:
	s_or_saveexec_b64 s[6:7], s[6:7]
	v_mov_b32_e32 v22, s10
	s_xor_b64 exec, exec, s[6:7]
	s_cbranch_execnz .LBB20_2072
.LBB20_22:
	s_or_b64 exec, exec, s[6:7]
	s_and_saveexec_b64 s[6:7], s[4:5]
	s_cbranch_execz .LBB20_24
.LBB20_23:
	v_bfe_u32 v21, v10, 16, 3
	v_ffbh_u32_e32 v24, v21
	v_min_u32_e32 v24, 32, v24
	v_lshrrev_b32_e32 v22, 19, v10
	v_subrev_u32_e32 v25, 28, v24
	v_and_b32_e32 v22, 15, v22
	v_lshlrev_b32_sdwa v25, v25, v10 dst_sel:DWORD dst_unused:UNUSED_PAD src0_sel:DWORD src1_sel:WORD_1
	v_bfe_u32 v23, v10, 19, 4
	v_sub_u32_e32 v24, 29, v24
	v_and_b32_e32 v25, 7, v25
	v_cmp_eq_u16_e32 vcc, 0, v22
	v_cndmask_b32_e32 v21, v21, v25, vcc
	v_cndmask_b32_e32 v22, v23, v24, vcc
	v_lshlrev_b32_e32 v23, 8, v10
	v_mov_b32_e32 v24, 0x3b800000
	v_lshlrev_b32_e32 v21, 20, v21
	v_and_b32_e32 v23, 0x80000000, v23
	v_lshl_add_u32 v22, v22, 23, v24
	v_or3_b32 v22, v23, v22, v21
.LBB20_24:
	s_or_b64 exec, exec, s[6:7]
	s_nop 0
	v_mfma_f32_16x16x4f32 a[0:3], v20, v22, a[0:3]
	s_movk_i32 s4, 0x7f
	v_cmp_gt_i16_sdwa s[6:7], v14, s4 src0_sel:BYTE_3 src1_sel:DWORD
	s_mov_b64 s[4:5], 0
                                        ; implicit-def: $sgpr10
	s_and_saveexec_b64 s[8:9], s[6:7]
	s_xor_b64 s[6:7], exec, s[8:9]
	s_cbranch_execnz .LBB20_2073
; %bb.25:
	s_or_saveexec_b64 s[6:7], s[6:7]
	v_mov_b32_e32 v20, s10
	s_xor_b64 exec, exec, s[6:7]
	s_cbranch_execnz .LBB20_2076
.LBB20_26:
	s_or_b64 exec, exec, s[6:7]
	s_and_saveexec_b64 s[6:7], s[4:5]
	s_cbranch_execz .LBB20_28
.LBB20_27:
	v_bfe_u32 v20, v14, 24, 3
	v_ffbh_u32_e32 v24, v20
	v_min_u32_e32 v24, 32, v24
	v_lshrrev_b32_e32 v22, 27, v14
	v_subrev_u32_e32 v25, 28, v24
	v_and_b32_e32 v21, 0x80000000, v14
	v_and_b32_e32 v22, 15, v22
	v_bfe_u32 v23, v14, 27, 4
	v_lshlrev_b32_sdwa v14, v25, v14 dst_sel:DWORD dst_unused:UNUSED_PAD src0_sel:DWORD src1_sel:BYTE_3
	v_sub_u32_e32 v24, 29, v24
	v_and_b32_e32 v14, 7, v14
	v_cmp_eq_u16_e32 vcc, 0, v22
	v_cndmask_b32_e32 v14, v20, v14, vcc
	v_cndmask_b32_e32 v20, v23, v24, vcc
	v_mov_b32_e32 v22, 0x3b800000
	v_lshlrev_b32_e32 v14, 20, v14
	v_lshl_add_u32 v20, v20, 23, v22
	v_or3_b32 v20, v21, v20, v14
.LBB20_28:
	s_or_b64 exec, exec, s[6:7]
	s_movk_i32 s4, 0x7f
	v_cmp_gt_i16_sdwa s[6:7], v10, s4 src0_sel:BYTE_3 src1_sel:DWORD
	s_mov_b64 s[4:5], 0
                                        ; implicit-def: $sgpr10
	s_and_saveexec_b64 s[8:9], s[6:7]
	s_xor_b64 s[6:7], exec, s[8:9]
	s_cbranch_execnz .LBB20_2077
; %bb.29:
	s_or_saveexec_b64 s[6:7], s[6:7]
	v_mov_b32_e32 v14, s10
	s_xor_b64 exec, exec, s[6:7]
	s_cbranch_execnz .LBB20_2080
.LBB20_30:
	s_or_b64 exec, exec, s[6:7]
	s_and_saveexec_b64 s[6:7], s[4:5]
	s_cbranch_execz .LBB20_32
.LBB20_31:
	v_bfe_u32 v14, v10, 24, 3
	v_ffbh_u32_e32 v24, v14
	v_min_u32_e32 v24, 32, v24
	v_lshrrev_b32_e32 v22, 27, v10
	v_subrev_u32_e32 v25, 28, v24
	v_and_b32_e32 v21, 0x80000000, v10
	v_and_b32_e32 v22, 15, v22
	v_bfe_u32 v23, v10, 27, 4
	v_lshlrev_b32_sdwa v10, v25, v10 dst_sel:DWORD dst_unused:UNUSED_PAD src0_sel:DWORD src1_sel:BYTE_3
	v_sub_u32_e32 v24, 29, v24
	v_and_b32_e32 v10, 7, v10
	v_cmp_eq_u16_e32 vcc, 0, v22
	v_cndmask_b32_e32 v10, v14, v10, vcc
	v_cndmask_b32_e32 v14, v23, v24, vcc
	v_mov_b32_e32 v22, 0x3b800000
	v_lshlrev_b32_e32 v10, 20, v10
	v_lshl_add_u32 v14, v14, 23, v22
	v_or3_b32 v14, v21, v14, v10
.LBB20_32:
	s_or_b64 exec, exec, s[6:7]
	s_nop 0
	v_mfma_f32_16x16x4f32 a[0:3], v20, v14, a[0:3]
	s_movk_i32 s4, 0x7f
	v_cmp_gt_i16_sdwa s[6:7], v15, s4 src0_sel:BYTE_0 src1_sel:DWORD
	s_mov_b64 s[4:5], 0
                                        ; implicit-def: $sgpr10
	s_and_saveexec_b64 s[8:9], s[6:7]
	s_xor_b64 s[6:7], exec, s[8:9]
	s_cbranch_execnz .LBB20_2081
; %bb.33:
	s_or_saveexec_b64 s[6:7], s[6:7]
	v_mov_b32_e32 v10, s10
	s_xor_b64 exec, exec, s[6:7]
	s_cbranch_execnz .LBB20_2084
.LBB20_34:
	s_or_b64 exec, exec, s[6:7]
	s_and_saveexec_b64 s[6:7], s[4:5]
	s_cbranch_execz .LBB20_36
.LBB20_35:
	v_and_b32_e32 v10, 7, v15
	v_ffbh_u32_e32 v20, v10
	v_min_u32_e32 v20, 32, v20
	v_lshrrev_b16_e32 v14, 3, v15
	v_subrev_u32_e32 v21, 28, v20
	v_and_b32_e32 v14, 15, v14
	v_lshlrev_b32_e32 v21, v21, v15
	v_sub_u32_e32 v20, 29, v20
	v_and_b32_e32 v21, 7, v21
	v_cmp_eq_u16_e32 vcc, 0, v14
	v_cndmask_b32_e32 v10, v10, v21, vcc
	v_cndmask_b32_e32 v14, v14, v20, vcc
	v_lshlrev_b32_e32 v20, 24, v15
	v_mov_b32_e32 v21, 0x3b800000
	v_lshlrev_b32_e32 v10, 20, v10
	v_and_b32_e32 v20, 0x80000000, v20
	v_lshl_add_u32 v14, v14, 23, v21
	v_or3_b32 v10, v20, v14, v10
.LBB20_36:
	s_or_b64 exec, exec, s[6:7]
	s_movk_i32 s4, 0x7f
	v_cmp_gt_i16_sdwa s[6:7], v11, s4 src0_sel:BYTE_0 src1_sel:DWORD
	s_mov_b64 s[4:5], 0
                                        ; implicit-def: $sgpr10
	s_and_saveexec_b64 s[8:9], s[6:7]
	s_xor_b64 s[6:7], exec, s[8:9]
	s_cbranch_execnz .LBB20_2085
; %bb.37:
	s_or_saveexec_b64 s[6:7], s[6:7]
	v_mov_b32_e32 v14, s10
	s_xor_b64 exec, exec, s[6:7]
	s_cbranch_execnz .LBB20_2088
.LBB20_38:
	s_or_b64 exec, exec, s[6:7]
	s_and_saveexec_b64 s[6:7], s[4:5]
	s_cbranch_execz .LBB20_40
.LBB20_39:
	v_and_b32_e32 v14, 7, v11
	v_ffbh_u32_e32 v21, v14
	v_min_u32_e32 v21, 32, v21
	v_lshrrev_b16_e32 v20, 3, v11
	v_subrev_u32_e32 v22, 28, v21
	v_and_b32_e32 v20, 15, v20
	v_lshlrev_b32_e32 v22, v22, v11
	v_sub_u32_e32 v21, 29, v21
	v_and_b32_e32 v22, 7, v22
	v_cmp_eq_u16_e32 vcc, 0, v20
	v_cndmask_b32_e32 v14, v14, v22, vcc
	v_cndmask_b32_e32 v20, v20, v21, vcc
	v_lshlrev_b32_e32 v21, 24, v11
	v_mov_b32_e32 v22, 0x3b800000
	v_lshlrev_b32_e32 v14, 20, v14
	v_and_b32_e32 v21, 0x80000000, v21
	v_lshl_add_u32 v20, v20, 23, v22
	v_or3_b32 v14, v21, v20, v14
.LBB20_40:
	s_or_b64 exec, exec, s[6:7]
	s_nop 0
	v_mfma_f32_16x16x4f32 a[0:3], v10, v14, a[0:3]
	v_lshrrev_b32_e32 v14, 8, v15
	s_movk_i32 s4, 0x7f
	v_cmp_gt_i16_sdwa s[6:7], v14, s4 src0_sel:BYTE_0 src1_sel:DWORD
	s_mov_b64 s[4:5], 0
                                        ; implicit-def: $sgpr10
	s_and_saveexec_b64 s[8:9], s[6:7]
	s_xor_b64 s[6:7], exec, s[8:9]
	s_cbranch_execnz .LBB20_2089
; %bb.41:
	s_or_saveexec_b64 s[6:7], s[6:7]
	v_mov_b32_e32 v10, s10
	s_xor_b64 exec, exec, s[6:7]
	s_cbranch_execnz .LBB20_2092
.LBB20_42:
	s_or_b64 exec, exec, s[6:7]
	s_and_saveexec_b64 s[6:7], s[4:5]
	s_cbranch_execz .LBB20_44
.LBB20_43:
	v_bfe_u32 v10, v15, 8, 3
	v_ffbh_u32_e32 v21, v10
	v_min_u32_e32 v21, 32, v21
	v_lshrrev_b16_e32 v20, 3, v14
	v_subrev_u32_e32 v22, 28, v21
	v_and_b32_e32 v20, 15, v20
	v_lshlrev_b32_e32 v14, v22, v14
	v_sub_u32_e32 v21, 29, v21
	v_and_b32_e32 v14, 7, v14
	v_cmp_eq_u16_e32 vcc, 0, v20
	v_cndmask_b32_e32 v10, v10, v14, vcc
	v_cndmask_b32_e32 v14, v20, v21, vcc
	v_lshlrev_b32_e32 v20, 16, v15
	v_mov_b32_e32 v21, 0x3b800000
	v_lshlrev_b32_e32 v10, 20, v10
	v_and_b32_e32 v20, 0x80000000, v20
	v_lshl_add_u32 v14, v14, 23, v21
	v_or3_b32 v10, v20, v14, v10
.LBB20_44:
	s_or_b64 exec, exec, s[6:7]
	v_lshrrev_b32_e32 v14, 8, v11
	s_movk_i32 s4, 0x7f
	v_cmp_gt_i16_sdwa s[6:7], v14, s4 src0_sel:BYTE_0 src1_sel:DWORD
	s_mov_b64 s[4:5], 0
                                        ; implicit-def: $sgpr10
	s_and_saveexec_b64 s[8:9], s[6:7]
	s_xor_b64 s[6:7], exec, s[8:9]
	s_cbranch_execnz .LBB20_2093
; %bb.45:
	s_or_saveexec_b64 s[6:7], s[6:7]
	v_mov_b32_e32 v20, s10
	s_xor_b64 exec, exec, s[6:7]
	s_cbranch_execnz .LBB20_2096
.LBB20_46:
	s_or_b64 exec, exec, s[6:7]
	s_and_saveexec_b64 s[6:7], s[4:5]
	s_cbranch_execz .LBB20_48
.LBB20_47:
	v_bfe_u32 v20, v11, 8, 3
	v_ffbh_u32_e32 v22, v20
	v_min_u32_e32 v22, 32, v22
	v_lshrrev_b16_e32 v21, 3, v14
	v_subrev_u32_e32 v23, 28, v22
	v_and_b32_e32 v21, 15, v21
	v_lshlrev_b32_e32 v14, v23, v14
	v_sub_u32_e32 v22, 29, v22
	v_and_b32_e32 v14, 7, v14
	v_cmp_eq_u16_e32 vcc, 0, v21
	v_cndmask_b32_e32 v14, v20, v14, vcc
	v_cndmask_b32_e32 v20, v21, v22, vcc
	v_lshlrev_b32_e32 v21, 16, v11
	v_mov_b32_e32 v22, 0x3b800000
	v_lshlrev_b32_e32 v14, 20, v14
	v_and_b32_e32 v21, 0x80000000, v21
	v_lshl_add_u32 v20, v20, 23, v22
	v_or3_b32 v20, v21, v20, v14
.LBB20_48:
	s_or_b64 exec, exec, s[6:7]
	s_nop 0
	v_mfma_f32_16x16x4f32 a[0:3], v10, v20, a[0:3]
	s_movk_i32 s4, 0xff
	v_and_b32_sdwa v14, v15, s4 dst_sel:DWORD dst_unused:UNUSED_PAD src0_sel:WORD_1 src1_sel:DWORD
	s_movk_i32 s4, 0x7f
	v_cmp_lt_i16_e32 vcc, s4, v14
	s_mov_b64 s[4:5], 0
                                        ; implicit-def: $sgpr10
	s_and_saveexec_b64 s[6:7], vcc
	s_xor_b64 s[6:7], exec, s[6:7]
	s_cbranch_execnz .LBB20_2097
; %bb.49:
	s_or_saveexec_b64 s[6:7], s[6:7]
	v_mov_b32_e32 v10, s10
	s_xor_b64 exec, exec, s[6:7]
	s_cbranch_execnz .LBB20_2100
.LBB20_50:
	s_or_b64 exec, exec, s[6:7]
	s_and_saveexec_b64 s[6:7], s[4:5]
	s_cbranch_execz .LBB20_52
.LBB20_51:
	v_bfe_u32 v10, v15, 16, 3
	v_ffbh_u32_e32 v21, v10
	v_min_u32_e32 v21, 32, v21
	v_lshrrev_b32_e32 v14, 19, v15
	v_subrev_u32_e32 v22, 28, v21
	v_and_b32_e32 v14, 15, v14
	v_lshlrev_b32_sdwa v22, v22, v15 dst_sel:DWORD dst_unused:UNUSED_PAD src0_sel:DWORD src1_sel:WORD_1
	v_bfe_u32 v20, v15, 19, 4
	v_sub_u32_e32 v21, 29, v21
	v_and_b32_e32 v22, 7, v22
	v_cmp_eq_u16_e32 vcc, 0, v14
	v_cndmask_b32_e32 v10, v10, v22, vcc
	v_cndmask_b32_e32 v14, v20, v21, vcc
	v_lshlrev_b32_e32 v20, 8, v15
	v_mov_b32_e32 v21, 0x3b800000
	v_lshlrev_b32_e32 v10, 20, v10
	v_and_b32_e32 v20, 0x80000000, v20
	v_lshl_add_u32 v14, v14, 23, v21
	v_or3_b32 v10, v20, v14, v10
.LBB20_52:
	s_or_b64 exec, exec, s[6:7]
	s_movk_i32 s4, 0xff
	v_and_b32_sdwa v14, v11, s4 dst_sel:DWORD dst_unused:UNUSED_PAD src0_sel:WORD_1 src1_sel:DWORD
	s_movk_i32 s4, 0x7f
	v_cmp_lt_i16_e32 vcc, s4, v14
	s_mov_b64 s[4:5], 0
                                        ; implicit-def: $sgpr10
	s_and_saveexec_b64 s[6:7], vcc
	s_xor_b64 s[6:7], exec, s[6:7]
	s_cbranch_execnz .LBB20_2101
; %bb.53:
	s_or_saveexec_b64 s[6:7], s[6:7]
	v_mov_b32_e32 v20, s10
	s_xor_b64 exec, exec, s[6:7]
	s_cbranch_execnz .LBB20_2104
.LBB20_54:
	s_or_b64 exec, exec, s[6:7]
	s_and_saveexec_b64 s[6:7], s[4:5]
	s_cbranch_execz .LBB20_56
.LBB20_55:
	v_bfe_u32 v14, v11, 16, 3
	v_ffbh_u32_e32 v22, v14
	v_min_u32_e32 v22, 32, v22
	v_lshrrev_b32_e32 v20, 19, v11
	v_subrev_u32_e32 v23, 28, v22
	v_and_b32_e32 v20, 15, v20
	v_lshlrev_b32_sdwa v23, v23, v11 dst_sel:DWORD dst_unused:UNUSED_PAD src0_sel:DWORD src1_sel:WORD_1
	v_bfe_u32 v21, v11, 19, 4
	v_sub_u32_e32 v22, 29, v22
	v_and_b32_e32 v23, 7, v23
	v_cmp_eq_u16_e32 vcc, 0, v20
	v_cndmask_b32_e32 v14, v14, v23, vcc
	v_cndmask_b32_e32 v20, v21, v22, vcc
	v_lshlrev_b32_e32 v21, 8, v11
	v_mov_b32_e32 v22, 0x3b800000
	v_lshlrev_b32_e32 v14, 20, v14
	v_and_b32_e32 v21, 0x80000000, v21
	v_lshl_add_u32 v20, v20, 23, v22
	v_or3_b32 v20, v21, v20, v14
.LBB20_56:
	s_or_b64 exec, exec, s[6:7]
	s_nop 0
	v_mfma_f32_16x16x4f32 a[0:3], v10, v20, a[0:3]
	s_movk_i32 s4, 0x7f
	v_cmp_gt_i16_sdwa s[6:7], v15, s4 src0_sel:BYTE_3 src1_sel:DWORD
	s_mov_b64 s[4:5], 0
                                        ; implicit-def: $sgpr10
	s_and_saveexec_b64 s[8:9], s[6:7]
	s_xor_b64 s[6:7], exec, s[8:9]
	s_cbranch_execnz .LBB20_2105
; %bb.57:
	s_or_saveexec_b64 s[6:7], s[6:7]
	v_mov_b32_e32 v10, s10
	s_xor_b64 exec, exec, s[6:7]
	s_cbranch_execnz .LBB20_2108
.LBB20_58:
	s_or_b64 exec, exec, s[6:7]
	s_and_saveexec_b64 s[6:7], s[4:5]
	s_cbranch_execz .LBB20_60
.LBB20_59:
	v_bfe_u32 v10, v15, 24, 3
	v_ffbh_u32_e32 v22, v10
	v_min_u32_e32 v22, 32, v22
	v_lshrrev_b32_e32 v20, 27, v15
	v_subrev_u32_e32 v23, 28, v22
	v_and_b32_e32 v14, 0x80000000, v15
	v_and_b32_e32 v20, 15, v20
	v_bfe_u32 v21, v15, 27, 4
	v_lshlrev_b32_sdwa v15, v23, v15 dst_sel:DWORD dst_unused:UNUSED_PAD src0_sel:DWORD src1_sel:BYTE_3
	v_sub_u32_e32 v22, 29, v22
	v_and_b32_e32 v15, 7, v15
	v_cmp_eq_u16_e32 vcc, 0, v20
	v_cndmask_b32_e32 v10, v10, v15, vcc
	v_cndmask_b32_e32 v15, v21, v22, vcc
	v_mov_b32_e32 v20, 0x3b800000
	v_lshlrev_b32_e32 v10, 20, v10
	v_lshl_add_u32 v15, v15, 23, v20
	v_or3_b32 v10, v14, v15, v10
.LBB20_60:
	s_or_b64 exec, exec, s[6:7]
	s_movk_i32 s4, 0x7f
	v_cmp_gt_i16_sdwa s[6:7], v11, s4 src0_sel:BYTE_3 src1_sel:DWORD
	s_mov_b64 s[4:5], 0
                                        ; implicit-def: $sgpr10
	s_and_saveexec_b64 s[8:9], s[6:7]
	s_xor_b64 s[6:7], exec, s[8:9]
	s_cbranch_execnz .LBB20_2109
; %bb.61:
	s_or_saveexec_b64 s[6:7], s[6:7]
	v_mov_b32_e32 v14, s10
	s_xor_b64 exec, exec, s[6:7]
	s_cbranch_execnz .LBB20_2112
.LBB20_62:
	s_or_b64 exec, exec, s[6:7]
	s_and_saveexec_b64 s[6:7], s[4:5]
	s_cbranch_execz .LBB20_64
.LBB20_63:
	v_bfe_u32 v14, v11, 24, 3
	v_ffbh_u32_e32 v22, v14
	v_min_u32_e32 v22, 32, v22
	v_lshrrev_b32_e32 v20, 27, v11
	v_subrev_u32_e32 v23, 28, v22
	v_and_b32_e32 v15, 0x80000000, v11
	v_and_b32_e32 v20, 15, v20
	v_bfe_u32 v21, v11, 27, 4
	v_lshlrev_b32_sdwa v11, v23, v11 dst_sel:DWORD dst_unused:UNUSED_PAD src0_sel:DWORD src1_sel:BYTE_3
	v_sub_u32_e32 v22, 29, v22
	v_and_b32_e32 v11, 7, v11
	v_cmp_eq_u16_e32 vcc, 0, v20
	v_cndmask_b32_e32 v11, v14, v11, vcc
	v_cndmask_b32_e32 v14, v21, v22, vcc
	v_mov_b32_e32 v20, 0x3b800000
	v_lshlrev_b32_e32 v11, 20, v11
	v_lshl_add_u32 v14, v14, 23, v20
	v_or3_b32 v14, v15, v14, v11
.LBB20_64:
	s_or_b64 exec, exec, s[6:7]
	s_nop 0
	v_mfma_f32_16x16x4f32 a[0:3], v10, v14, a[0:3]
	s_movk_i32 s4, 0x7f
	v_cmp_gt_i16_sdwa s[6:7], v16, s4 src0_sel:BYTE_0 src1_sel:DWORD
	s_mov_b64 s[4:5], 0
                                        ; implicit-def: $sgpr10
	s_and_saveexec_b64 s[8:9], s[6:7]
	s_xor_b64 s[6:7], exec, s[8:9]
	s_cbranch_execnz .LBB20_2113
; %bb.65:
	s_or_saveexec_b64 s[6:7], s[6:7]
	v_mov_b32_e32 v10, s10
	s_xor_b64 exec, exec, s[6:7]
	s_cbranch_execnz .LBB20_2116
.LBB20_66:
	s_or_b64 exec, exec, s[6:7]
	s_and_saveexec_b64 s[6:7], s[4:5]
	s_cbranch_execz .LBB20_68
.LBB20_67:
	v_and_b32_e32 v10, 7, v16
	v_ffbh_u32_e32 v14, v10
	v_min_u32_e32 v14, 32, v14
	v_lshrrev_b16_e32 v11, 3, v16
	v_subrev_u32_e32 v15, 28, v14
	v_and_b32_e32 v11, 15, v11
	v_lshlrev_b32_e32 v15, v15, v16
	v_sub_u32_e32 v14, 29, v14
	v_and_b32_e32 v15, 7, v15
	v_cmp_eq_u16_e32 vcc, 0, v11
	v_cndmask_b32_e32 v10, v10, v15, vcc
	v_cndmask_b32_e32 v11, v11, v14, vcc
	v_lshlrev_b32_e32 v14, 24, v16
	v_mov_b32_e32 v15, 0x3b800000
	v_lshlrev_b32_e32 v10, 20, v10
	v_and_b32_e32 v14, 0x80000000, v14
	v_lshl_add_u32 v11, v11, 23, v15
	v_or3_b32 v10, v14, v11, v10
.LBB20_68:
	s_or_b64 exec, exec, s[6:7]
	s_movk_i32 s4, 0x7f
	v_cmp_gt_i16_sdwa s[6:7], v12, s4 src0_sel:BYTE_0 src1_sel:DWORD
	s_mov_b64 s[4:5], 0
                                        ; implicit-def: $sgpr10
	s_and_saveexec_b64 s[8:9], s[6:7]
	s_xor_b64 s[6:7], exec, s[8:9]
	s_cbranch_execnz .LBB20_2117
; %bb.69:
	s_or_saveexec_b64 s[6:7], s[6:7]
	v_mov_b32_e32 v11, s10
	s_xor_b64 exec, exec, s[6:7]
	s_cbranch_execnz .LBB20_2120
.LBB20_70:
	s_or_b64 exec, exec, s[6:7]
	s_and_saveexec_b64 s[6:7], s[4:5]
	s_cbranch_execz .LBB20_72
.LBB20_71:
	v_and_b32_e32 v11, 7, v12
	v_ffbh_u32_e32 v15, v11
	v_min_u32_e32 v15, 32, v15
	v_lshrrev_b16_e32 v14, 3, v12
	v_subrev_u32_e32 v20, 28, v15
	v_and_b32_e32 v14, 15, v14
	v_lshlrev_b32_e32 v20, v20, v12
	v_sub_u32_e32 v15, 29, v15
	v_and_b32_e32 v20, 7, v20
	v_cmp_eq_u16_e32 vcc, 0, v14
	v_cndmask_b32_e32 v11, v11, v20, vcc
	v_cndmask_b32_e32 v14, v14, v15, vcc
	v_lshlrev_b32_e32 v15, 24, v12
	v_mov_b32_e32 v20, 0x3b800000
	v_lshlrev_b32_e32 v11, 20, v11
	v_and_b32_e32 v15, 0x80000000, v15
	v_lshl_add_u32 v14, v14, 23, v20
	v_or3_b32 v11, v15, v14, v11
.LBB20_72:
	s_or_b64 exec, exec, s[6:7]
	s_nop 0
	v_mfma_f32_16x16x4f32 a[0:3], v10, v11, a[0:3]
	v_lshrrev_b32_e32 v11, 8, v16
	s_movk_i32 s4, 0x7f
	v_cmp_gt_i16_sdwa s[6:7], v11, s4 src0_sel:BYTE_0 src1_sel:DWORD
	s_mov_b64 s[4:5], 0
                                        ; implicit-def: $sgpr10
	s_and_saveexec_b64 s[8:9], s[6:7]
	s_xor_b64 s[6:7], exec, s[8:9]
	s_cbranch_execnz .LBB20_2121
; %bb.73:
	s_or_saveexec_b64 s[6:7], s[6:7]
	v_mov_b32_e32 v10, s10
	s_xor_b64 exec, exec, s[6:7]
	s_cbranch_execnz .LBB20_2124
.LBB20_74:
	s_or_b64 exec, exec, s[6:7]
	s_and_saveexec_b64 s[6:7], s[4:5]
	s_cbranch_execz .LBB20_76
.LBB20_75:
	v_bfe_u32 v10, v16, 8, 3
	v_ffbh_u32_e32 v15, v10
	v_min_u32_e32 v15, 32, v15
	v_lshrrev_b16_e32 v14, 3, v11
	v_subrev_u32_e32 v20, 28, v15
	v_and_b32_e32 v14, 15, v14
	v_lshlrev_b32_e32 v11, v20, v11
	v_sub_u32_e32 v15, 29, v15
	v_and_b32_e32 v11, 7, v11
	v_cmp_eq_u16_e32 vcc, 0, v14
	v_cndmask_b32_e32 v10, v10, v11, vcc
	v_cndmask_b32_e32 v11, v14, v15, vcc
	v_lshlrev_b32_e32 v14, 16, v16
	v_mov_b32_e32 v15, 0x3b800000
	v_lshlrev_b32_e32 v10, 20, v10
	v_and_b32_e32 v14, 0x80000000, v14
	v_lshl_add_u32 v11, v11, 23, v15
	v_or3_b32 v10, v14, v11, v10
.LBB20_76:
	s_or_b64 exec, exec, s[6:7]
	v_lshrrev_b32_e32 v11, 8, v12
	s_movk_i32 s4, 0x7f
	v_cmp_gt_i16_sdwa s[6:7], v11, s4 src0_sel:BYTE_0 src1_sel:DWORD
	s_mov_b64 s[4:5], 0
                                        ; implicit-def: $sgpr10
	s_and_saveexec_b64 s[8:9], s[6:7]
	s_xor_b64 s[6:7], exec, s[8:9]
	s_cbranch_execnz .LBB20_2125
; %bb.77:
	s_or_saveexec_b64 s[6:7], s[6:7]
	v_mov_b32_e32 v14, s10
	s_xor_b64 exec, exec, s[6:7]
	s_cbranch_execnz .LBB20_2128
.LBB20_78:
	s_or_b64 exec, exec, s[6:7]
	s_and_saveexec_b64 s[6:7], s[4:5]
	s_cbranch_execz .LBB20_80
.LBB20_79:
	v_bfe_u32 v14, v12, 8, 3
	v_ffbh_u32_e32 v20, v14
	v_min_u32_e32 v20, 32, v20
	v_lshrrev_b16_e32 v15, 3, v11
	v_subrev_u32_e32 v21, 28, v20
	v_and_b32_e32 v15, 15, v15
	v_lshlrev_b32_e32 v11, v21, v11
	v_sub_u32_e32 v20, 29, v20
	v_and_b32_e32 v11, 7, v11
	v_cmp_eq_u16_e32 vcc, 0, v15
	v_cndmask_b32_e32 v11, v14, v11, vcc
	v_cndmask_b32_e32 v14, v15, v20, vcc
	v_lshlrev_b32_e32 v15, 16, v12
	v_mov_b32_e32 v20, 0x3b800000
	v_lshlrev_b32_e32 v11, 20, v11
	v_and_b32_e32 v15, 0x80000000, v15
	v_lshl_add_u32 v14, v14, 23, v20
	v_or3_b32 v14, v15, v14, v11
.LBB20_80:
	s_or_b64 exec, exec, s[6:7]
	s_nop 0
	v_mfma_f32_16x16x4f32 a[0:3], v10, v14, a[0:3]
	s_movk_i32 s4, 0xff
	v_and_b32_sdwa v11, v16, s4 dst_sel:DWORD dst_unused:UNUSED_PAD src0_sel:WORD_1 src1_sel:DWORD
	s_movk_i32 s4, 0x7f
	v_cmp_lt_i16_e32 vcc, s4, v11
	s_mov_b64 s[4:5], 0
                                        ; implicit-def: $sgpr10
	s_and_saveexec_b64 s[6:7], vcc
	s_xor_b64 s[6:7], exec, s[6:7]
	s_cbranch_execnz .LBB20_2129
; %bb.81:
	s_or_saveexec_b64 s[6:7], s[6:7]
	v_mov_b32_e32 v10, s10
	s_xor_b64 exec, exec, s[6:7]
	s_cbranch_execnz .LBB20_2132
.LBB20_82:
	s_or_b64 exec, exec, s[6:7]
	s_and_saveexec_b64 s[6:7], s[4:5]
	s_cbranch_execz .LBB20_84
.LBB20_83:
	v_bfe_u32 v10, v16, 16, 3
	v_ffbh_u32_e32 v15, v10
	v_min_u32_e32 v15, 32, v15
	v_lshrrev_b32_e32 v11, 19, v16
	v_subrev_u32_e32 v20, 28, v15
	v_and_b32_e32 v11, 15, v11
	v_lshlrev_b32_sdwa v20, v20, v16 dst_sel:DWORD dst_unused:UNUSED_PAD src0_sel:DWORD src1_sel:WORD_1
	v_bfe_u32 v14, v16, 19, 4
	v_sub_u32_e32 v15, 29, v15
	v_and_b32_e32 v20, 7, v20
	v_cmp_eq_u16_e32 vcc, 0, v11
	v_cndmask_b32_e32 v10, v10, v20, vcc
	v_cndmask_b32_e32 v11, v14, v15, vcc
	v_lshlrev_b32_e32 v14, 8, v16
	v_mov_b32_e32 v15, 0x3b800000
	v_lshlrev_b32_e32 v10, 20, v10
	v_and_b32_e32 v14, 0x80000000, v14
	v_lshl_add_u32 v11, v11, 23, v15
	v_or3_b32 v10, v14, v11, v10
.LBB20_84:
	s_or_b64 exec, exec, s[6:7]
	s_movk_i32 s4, 0xff
	v_and_b32_sdwa v11, v12, s4 dst_sel:DWORD dst_unused:UNUSED_PAD src0_sel:WORD_1 src1_sel:DWORD
	s_movk_i32 s4, 0x7f
	v_cmp_lt_i16_e32 vcc, s4, v11
	s_mov_b64 s[4:5], 0
                                        ; implicit-def: $sgpr10
	s_and_saveexec_b64 s[6:7], vcc
	s_xor_b64 s[6:7], exec, s[6:7]
	s_cbranch_execnz .LBB20_2133
; %bb.85:
	s_or_saveexec_b64 s[6:7], s[6:7]
	v_mov_b32_e32 v14, s10
	s_xor_b64 exec, exec, s[6:7]
	s_cbranch_execnz .LBB20_2136
.LBB20_86:
	s_or_b64 exec, exec, s[6:7]
	s_and_saveexec_b64 s[6:7], s[4:5]
	s_cbranch_execz .LBB20_88
.LBB20_87:
	v_bfe_u32 v11, v12, 16, 3
	v_ffbh_u32_e32 v20, v11
	v_min_u32_e32 v20, 32, v20
	v_lshrrev_b32_e32 v14, 19, v12
	v_subrev_u32_e32 v21, 28, v20
	v_and_b32_e32 v14, 15, v14
	v_lshlrev_b32_sdwa v21, v21, v12 dst_sel:DWORD dst_unused:UNUSED_PAD src0_sel:DWORD src1_sel:WORD_1
	v_bfe_u32 v15, v12, 19, 4
	v_sub_u32_e32 v20, 29, v20
	v_and_b32_e32 v21, 7, v21
	v_cmp_eq_u16_e32 vcc, 0, v14
	v_cndmask_b32_e32 v11, v11, v21, vcc
	v_cndmask_b32_e32 v14, v15, v20, vcc
	v_lshlrev_b32_e32 v15, 8, v12
	v_mov_b32_e32 v20, 0x3b800000
	v_lshlrev_b32_e32 v11, 20, v11
	v_and_b32_e32 v15, 0x80000000, v15
	v_lshl_add_u32 v14, v14, 23, v20
	v_or3_b32 v14, v15, v14, v11
.LBB20_88:
	s_or_b64 exec, exec, s[6:7]
	s_nop 0
	v_mfma_f32_16x16x4f32 a[0:3], v10, v14, a[0:3]
	s_movk_i32 s4, 0x7f
	v_cmp_gt_i16_sdwa s[6:7], v16, s4 src0_sel:BYTE_3 src1_sel:DWORD
	s_mov_b64 s[4:5], 0
                                        ; implicit-def: $sgpr10
	s_and_saveexec_b64 s[8:9], s[6:7]
	s_xor_b64 s[6:7], exec, s[8:9]
	s_cbranch_execnz .LBB20_2137
; %bb.89:
	s_or_saveexec_b64 s[6:7], s[6:7]
	v_mov_b32_e32 v10, s10
	s_xor_b64 exec, exec, s[6:7]
	s_cbranch_execnz .LBB20_2140
.LBB20_90:
	s_or_b64 exec, exec, s[6:7]
	s_and_saveexec_b64 s[6:7], s[4:5]
	s_cbranch_execz .LBB20_92
.LBB20_91:
	v_bfe_u32 v10, v16, 24, 3
	v_ffbh_u32_e32 v20, v10
	v_min_u32_e32 v20, 32, v20
	v_lshrrev_b32_e32 v14, 27, v16
	v_subrev_u32_e32 v21, 28, v20
	v_and_b32_e32 v11, 0x80000000, v16
	v_and_b32_e32 v14, 15, v14
	v_bfe_u32 v15, v16, 27, 4
	v_lshlrev_b32_sdwa v16, v21, v16 dst_sel:DWORD dst_unused:UNUSED_PAD src0_sel:DWORD src1_sel:BYTE_3
	v_sub_u32_e32 v20, 29, v20
	v_and_b32_e32 v16, 7, v16
	v_cmp_eq_u16_e32 vcc, 0, v14
	v_cndmask_b32_e32 v10, v10, v16, vcc
	v_cndmask_b32_e32 v14, v15, v20, vcc
	v_mov_b32_e32 v15, 0x3b800000
	v_lshlrev_b32_e32 v10, 20, v10
	v_lshl_add_u32 v14, v14, 23, v15
	v_or3_b32 v10, v11, v14, v10
.LBB20_92:
	s_or_b64 exec, exec, s[6:7]
	s_movk_i32 s4, 0x7f
	v_cmp_gt_i16_sdwa s[6:7], v12, s4 src0_sel:BYTE_3 src1_sel:DWORD
	s_mov_b64 s[4:5], 0
                                        ; implicit-def: $sgpr10
	s_and_saveexec_b64 s[8:9], s[6:7]
	s_xor_b64 s[6:7], exec, s[8:9]
	s_cbranch_execnz .LBB20_2141
; %bb.93:
	s_or_saveexec_b64 s[6:7], s[6:7]
	v_mov_b32_e32 v11, s10
	s_xor_b64 exec, exec, s[6:7]
	s_cbranch_execnz .LBB20_2144
.LBB20_94:
	s_or_b64 exec, exec, s[6:7]
	s_and_saveexec_b64 s[6:7], s[4:5]
	s_cbranch_execz .LBB20_96
.LBB20_95:
	v_bfe_u32 v11, v12, 24, 3
	v_ffbh_u32_e32 v20, v11
	v_min_u32_e32 v20, 32, v20
	v_lshrrev_b32_e32 v15, 27, v12
	v_subrev_u32_e32 v21, 28, v20
	v_and_b32_e32 v14, 0x80000000, v12
	v_and_b32_e32 v15, 15, v15
	v_bfe_u32 v16, v12, 27, 4
	v_lshlrev_b32_sdwa v12, v21, v12 dst_sel:DWORD dst_unused:UNUSED_PAD src0_sel:DWORD src1_sel:BYTE_3
	v_sub_u32_e32 v20, 29, v20
	v_and_b32_e32 v12, 7, v12
	v_cmp_eq_u16_e32 vcc, 0, v15
	v_cndmask_b32_e32 v11, v11, v12, vcc
	v_cndmask_b32_e32 v12, v16, v20, vcc
	v_mov_b32_e32 v15, 0x3b800000
	v_lshlrev_b32_e32 v11, 20, v11
	v_lshl_add_u32 v12, v12, 23, v15
	v_or3_b32 v11, v14, v12, v11
.LBB20_96:
	s_or_b64 exec, exec, s[6:7]
	s_nop 0
	v_mfma_f32_16x16x4f32 a[0:3], v10, v11, a[0:3]
	s_movk_i32 s4, 0x7f
	v_cmp_gt_i16_sdwa s[6:7], v17, s4 src0_sel:BYTE_0 src1_sel:DWORD
	s_mov_b64 s[4:5], 0
                                        ; implicit-def: $sgpr10
	s_and_saveexec_b64 s[8:9], s[6:7]
	s_xor_b64 s[6:7], exec, s[8:9]
	s_cbranch_execnz .LBB20_2145
; %bb.97:
	s_or_saveexec_b64 s[6:7], s[6:7]
	v_mov_b32_e32 v10, s10
	s_xor_b64 exec, exec, s[6:7]
	s_cbranch_execnz .LBB20_2148
.LBB20_98:
	s_or_b64 exec, exec, s[6:7]
	s_and_saveexec_b64 s[6:7], s[4:5]
	s_cbranch_execz .LBB20_100
.LBB20_99:
	v_and_b32_e32 v10, 7, v17
	v_ffbh_u32_e32 v12, v10
	v_min_u32_e32 v12, 32, v12
	v_lshrrev_b16_e32 v11, 3, v17
	v_subrev_u32_e32 v14, 28, v12
	v_and_b32_e32 v11, 15, v11
	v_lshlrev_b32_e32 v14, v14, v17
	v_sub_u32_e32 v12, 29, v12
	v_and_b32_e32 v14, 7, v14
	v_cmp_eq_u16_e32 vcc, 0, v11
	v_cndmask_b32_e32 v10, v10, v14, vcc
	v_cndmask_b32_e32 v11, v11, v12, vcc
	v_lshlrev_b32_e32 v12, 24, v17
	v_mov_b32_e32 v14, 0x3b800000
	v_lshlrev_b32_e32 v10, 20, v10
	v_and_b32_e32 v12, 0x80000000, v12
	v_lshl_add_u32 v11, v11, 23, v14
	v_or3_b32 v10, v12, v11, v10
.LBB20_100:
	s_or_b64 exec, exec, s[6:7]
	s_movk_i32 s4, 0x7f
	v_cmp_gt_i16_sdwa s[6:7], v13, s4 src0_sel:BYTE_0 src1_sel:DWORD
	s_mov_b64 s[4:5], 0
                                        ; implicit-def: $sgpr10
	s_and_saveexec_b64 s[8:9], s[6:7]
	s_xor_b64 s[6:7], exec, s[8:9]
	s_cbranch_execnz .LBB20_2149
; %bb.101:
	s_or_saveexec_b64 s[6:7], s[6:7]
	v_mov_b32_e32 v11, s10
	s_xor_b64 exec, exec, s[6:7]
	s_cbranch_execnz .LBB20_2152
.LBB20_102:
	s_or_b64 exec, exec, s[6:7]
	s_and_saveexec_b64 s[6:7], s[4:5]
	s_cbranch_execz .LBB20_104
.LBB20_103:
	v_and_b32_e32 v11, 7, v13
	v_ffbh_u32_e32 v14, v11
	v_min_u32_e32 v14, 32, v14
	v_lshrrev_b16_e32 v12, 3, v13
	v_subrev_u32_e32 v15, 28, v14
	v_and_b32_e32 v12, 15, v12
	v_lshlrev_b32_e32 v15, v15, v13
	v_sub_u32_e32 v14, 29, v14
	v_and_b32_e32 v15, 7, v15
	v_cmp_eq_u16_e32 vcc, 0, v12
	v_cndmask_b32_e32 v11, v11, v15, vcc
	v_cndmask_b32_e32 v12, v12, v14, vcc
	v_lshlrev_b32_e32 v14, 24, v13
	v_mov_b32_e32 v15, 0x3b800000
	v_lshlrev_b32_e32 v11, 20, v11
	v_and_b32_e32 v14, 0x80000000, v14
	v_lshl_add_u32 v12, v12, 23, v15
	v_or3_b32 v11, v14, v12, v11
.LBB20_104:
	s_or_b64 exec, exec, s[6:7]
	s_nop 0
	v_mfma_f32_16x16x4f32 a[0:3], v10, v11, a[0:3]
	v_lshrrev_b32_e32 v11, 8, v17
	s_movk_i32 s4, 0x7f
	v_cmp_gt_i16_sdwa s[6:7], v11, s4 src0_sel:BYTE_0 src1_sel:DWORD
	s_mov_b64 s[4:5], 0
                                        ; implicit-def: $sgpr10
	s_and_saveexec_b64 s[8:9], s[6:7]
	s_xor_b64 s[6:7], exec, s[8:9]
	s_cbranch_execnz .LBB20_2153
; %bb.105:
	s_or_saveexec_b64 s[6:7], s[6:7]
	v_mov_b32_e32 v10, s10
	s_xor_b64 exec, exec, s[6:7]
	s_cbranch_execnz .LBB20_2156
.LBB20_106:
	s_or_b64 exec, exec, s[6:7]
	s_and_saveexec_b64 s[6:7], s[4:5]
	s_cbranch_execz .LBB20_108
.LBB20_107:
	v_bfe_u32 v10, v17, 8, 3
	v_ffbh_u32_e32 v14, v10
	v_min_u32_e32 v14, 32, v14
	v_lshrrev_b16_e32 v12, 3, v11
	v_subrev_u32_e32 v15, 28, v14
	v_and_b32_e32 v12, 15, v12
	v_lshlrev_b32_e32 v11, v15, v11
	v_sub_u32_e32 v14, 29, v14
	v_and_b32_e32 v11, 7, v11
	v_cmp_eq_u16_e32 vcc, 0, v12
	v_cndmask_b32_e32 v10, v10, v11, vcc
	v_cndmask_b32_e32 v11, v12, v14, vcc
	v_lshlrev_b32_e32 v12, 16, v17
	v_mov_b32_e32 v14, 0x3b800000
	v_lshlrev_b32_e32 v10, 20, v10
	v_and_b32_e32 v12, 0x80000000, v12
	v_lshl_add_u32 v11, v11, 23, v14
	v_or3_b32 v10, v12, v11, v10
.LBB20_108:
	s_or_b64 exec, exec, s[6:7]
	v_lshrrev_b32_e32 v11, 8, v13
	s_movk_i32 s4, 0x7f
	v_cmp_gt_i16_sdwa s[6:7], v11, s4 src0_sel:BYTE_0 src1_sel:DWORD
	s_mov_b64 s[4:5], 0
                                        ; implicit-def: $sgpr10
	s_and_saveexec_b64 s[8:9], s[6:7]
	s_xor_b64 s[6:7], exec, s[8:9]
	s_cbranch_execnz .LBB20_2157
; %bb.109:
	s_or_saveexec_b64 s[6:7], s[6:7]
	v_mov_b32_e32 v12, s10
	s_xor_b64 exec, exec, s[6:7]
	s_cbranch_execnz .LBB20_2160
.LBB20_110:
	s_or_b64 exec, exec, s[6:7]
	s_and_saveexec_b64 s[6:7], s[4:5]
	s_cbranch_execz .LBB20_112
.LBB20_111:
	v_bfe_u32 v12, v13, 8, 3
	v_ffbh_u32_e32 v15, v12
	v_min_u32_e32 v15, 32, v15
	v_lshrrev_b16_e32 v14, 3, v11
	v_subrev_u32_e32 v16, 28, v15
	v_and_b32_e32 v14, 15, v14
	v_lshlrev_b32_e32 v11, v16, v11
	v_sub_u32_e32 v15, 29, v15
	v_and_b32_e32 v11, 7, v11
	v_cmp_eq_u16_e32 vcc, 0, v14
	v_cndmask_b32_e32 v11, v12, v11, vcc
	v_cndmask_b32_e32 v12, v14, v15, vcc
	v_lshlrev_b32_e32 v14, 16, v13
	v_mov_b32_e32 v15, 0x3b800000
	v_lshlrev_b32_e32 v11, 20, v11
	v_and_b32_e32 v14, 0x80000000, v14
	v_lshl_add_u32 v12, v12, 23, v15
	v_or3_b32 v12, v14, v12, v11
.LBB20_112:
	s_or_b64 exec, exec, s[6:7]
	s_nop 0
	v_mfma_f32_16x16x4f32 a[0:3], v10, v12, a[0:3]
	s_movk_i32 s4, 0xff
	v_and_b32_sdwa v11, v17, s4 dst_sel:DWORD dst_unused:UNUSED_PAD src0_sel:WORD_1 src1_sel:DWORD
	s_movk_i32 s4, 0x7f
	v_cmp_lt_i16_e32 vcc, s4, v11
	s_mov_b64 s[4:5], 0
                                        ; implicit-def: $sgpr10
	s_and_saveexec_b64 s[6:7], vcc
	s_xor_b64 s[6:7], exec, s[6:7]
	s_cbranch_execnz .LBB20_2161
; %bb.113:
	s_or_saveexec_b64 s[6:7], s[6:7]
	v_mov_b32_e32 v10, s10
	s_xor_b64 exec, exec, s[6:7]
	s_cbranch_execnz .LBB20_2164
.LBB20_114:
	s_or_b64 exec, exec, s[6:7]
	s_and_saveexec_b64 s[6:7], s[4:5]
	s_cbranch_execz .LBB20_116
.LBB20_115:
	v_bfe_u32 v10, v17, 16, 3
	v_ffbh_u32_e32 v14, v10
	v_min_u32_e32 v14, 32, v14
	v_lshrrev_b32_e32 v11, 19, v17
	v_subrev_u32_e32 v15, 28, v14
	v_and_b32_e32 v11, 15, v11
	v_lshlrev_b32_sdwa v15, v15, v17 dst_sel:DWORD dst_unused:UNUSED_PAD src0_sel:DWORD src1_sel:WORD_1
	v_bfe_u32 v12, v17, 19, 4
	v_sub_u32_e32 v14, 29, v14
	v_and_b32_e32 v15, 7, v15
	v_cmp_eq_u16_e32 vcc, 0, v11
	v_cndmask_b32_e32 v10, v10, v15, vcc
	v_cndmask_b32_e32 v11, v12, v14, vcc
	v_lshlrev_b32_e32 v12, 8, v17
	v_mov_b32_e32 v14, 0x3b800000
	v_lshlrev_b32_e32 v10, 20, v10
	v_and_b32_e32 v12, 0x80000000, v12
	v_lshl_add_u32 v11, v11, 23, v14
	v_or3_b32 v10, v12, v11, v10
.LBB20_116:
	s_or_b64 exec, exec, s[6:7]
	s_movk_i32 s4, 0xff
	v_and_b32_sdwa v11, v13, s4 dst_sel:DWORD dst_unused:UNUSED_PAD src0_sel:WORD_1 src1_sel:DWORD
	s_movk_i32 s4, 0x7f
	v_cmp_lt_i16_e32 vcc, s4, v11
	s_mov_b64 s[4:5], 0
                                        ; implicit-def: $sgpr10
	s_and_saveexec_b64 s[6:7], vcc
	s_xor_b64 s[6:7], exec, s[6:7]
	s_cbranch_execnz .LBB20_2165
; %bb.117:
	s_or_saveexec_b64 s[6:7], s[6:7]
	v_mov_b32_e32 v12, s10
	s_xor_b64 exec, exec, s[6:7]
	s_cbranch_execnz .LBB20_2168
.LBB20_118:
	s_or_b64 exec, exec, s[6:7]
	s_and_saveexec_b64 s[6:7], s[4:5]
	s_cbranch_execz .LBB20_120
.LBB20_119:
	v_bfe_u32 v11, v13, 16, 3
	v_ffbh_u32_e32 v15, v11
	v_min_u32_e32 v15, 32, v15
	v_lshrrev_b32_e32 v12, 19, v13
	v_subrev_u32_e32 v16, 28, v15
	v_and_b32_e32 v12, 15, v12
	v_lshlrev_b32_sdwa v16, v16, v13 dst_sel:DWORD dst_unused:UNUSED_PAD src0_sel:DWORD src1_sel:WORD_1
	v_bfe_u32 v14, v13, 19, 4
	v_sub_u32_e32 v15, 29, v15
	v_and_b32_e32 v16, 7, v16
	v_cmp_eq_u16_e32 vcc, 0, v12
	v_cndmask_b32_e32 v11, v11, v16, vcc
	v_cndmask_b32_e32 v12, v14, v15, vcc
	v_lshlrev_b32_e32 v14, 8, v13
	v_mov_b32_e32 v15, 0x3b800000
	v_lshlrev_b32_e32 v11, 20, v11
	v_and_b32_e32 v14, 0x80000000, v14
	v_lshl_add_u32 v12, v12, 23, v15
	v_or3_b32 v12, v14, v12, v11
.LBB20_120:
	s_or_b64 exec, exec, s[6:7]
	s_nop 0
	v_mfma_f32_16x16x4f32 a[0:3], v10, v12, a[0:3]
	s_movk_i32 s4, 0x7f
	v_cmp_gt_i16_sdwa s[6:7], v17, s4 src0_sel:BYTE_3 src1_sel:DWORD
	s_mov_b64 s[4:5], 0
                                        ; implicit-def: $sgpr10
	s_and_saveexec_b64 s[8:9], s[6:7]
	s_xor_b64 s[6:7], exec, s[8:9]
	s_cbranch_execnz .LBB20_2169
; %bb.121:
	s_or_saveexec_b64 s[6:7], s[6:7]
	v_mov_b32_e32 v10, s10
	s_xor_b64 exec, exec, s[6:7]
	s_cbranch_execnz .LBB20_2172
.LBB20_122:
	s_or_b64 exec, exec, s[6:7]
	s_and_saveexec_b64 s[6:7], s[4:5]
	s_cbranch_execz .LBB20_124
.LBB20_123:
	v_bfe_u32 v10, v17, 24, 3
	v_ffbh_u32_e32 v15, v10
	v_min_u32_e32 v15, 32, v15
	v_lshrrev_b32_e32 v12, 27, v17
	v_subrev_u32_e32 v16, 28, v15
	v_and_b32_e32 v12, 15, v12
	v_lshlrev_b32_sdwa v16, v16, v17 dst_sel:DWORD dst_unused:UNUSED_PAD src0_sel:DWORD src1_sel:BYTE_3
	v_bfe_u32 v14, v17, 27, 4
	v_sub_u32_e32 v15, 29, v15
	v_and_b32_e32 v16, 7, v16
	v_cmp_eq_u16_e32 vcc, 0, v12
	v_cndmask_b32_e32 v10, v10, v16, vcc
	v_cndmask_b32_e32 v12, v14, v15, vcc
	v_mov_b32_e32 v14, 0x3b800000
	v_and_b32_e32 v11, 0x80000000, v17
	v_lshlrev_b32_e32 v10, 20, v10
	v_lshl_add_u32 v12, v12, 23, v14
	v_or3_b32 v10, v11, v12, v10
.LBB20_124:
	s_or_b64 exec, exec, s[6:7]
	s_movk_i32 s4, 0x7f
	v_cmp_gt_i16_sdwa s[6:7], v13, s4 src0_sel:BYTE_3 src1_sel:DWORD
	s_mov_b64 s[4:5], 0
                                        ; implicit-def: $sgpr10
	s_and_saveexec_b64 s[8:9], s[6:7]
	s_xor_b64 s[6:7], exec, s[8:9]
	s_cbranch_execnz .LBB20_2173
; %bb.125:
	s_or_saveexec_b64 s[6:7], s[6:7]
	v_mov_b32_e32 v11, s10
	s_xor_b64 exec, exec, s[6:7]
	s_cbranch_execnz .LBB20_2176
.LBB20_126:
	s_or_b64 exec, exec, s[6:7]
	s_and_saveexec_b64 s[6:7], s[4:5]
	s_cbranch_execz .LBB20_128
.LBB20_127:
	v_bfe_u32 v11, v13, 24, 3
	v_ffbh_u32_e32 v16, v11
	v_min_u32_e32 v16, 32, v16
	v_lshrrev_b32_e32 v14, 27, v13
	v_subrev_u32_e32 v17, 28, v16
	v_and_b32_e32 v12, 0x80000000, v13
	v_and_b32_e32 v14, 15, v14
	v_bfe_u32 v15, v13, 27, 4
	v_lshlrev_b32_sdwa v13, v17, v13 dst_sel:DWORD dst_unused:UNUSED_PAD src0_sel:DWORD src1_sel:BYTE_3
	v_sub_u32_e32 v16, 29, v16
	v_and_b32_e32 v13, 7, v13
	v_cmp_eq_u16_e32 vcc, 0, v14
	v_cndmask_b32_e32 v11, v11, v13, vcc
	v_cndmask_b32_e32 v13, v15, v16, vcc
	v_mov_b32_e32 v14, 0x3b800000
	v_lshlrev_b32_e32 v11, 20, v11
	v_lshl_add_u32 v13, v13, 23, v14
	v_or3_b32 v11, v12, v13, v11
.LBB20_128:
	s_or_b64 exec, exec, s[6:7]
	s_nop 0
	v_mfma_f32_16x16x4f32 a[0:3], v10, v11, a[0:3]
	s_movk_i32 s4, 0x7f
	v_cmp_gt_i16_sdwa s[6:7], v6, s4 src0_sel:BYTE_0 src1_sel:DWORD
	s_mov_b64 s[4:5], 0
                                        ; implicit-def: $sgpr10
	s_and_saveexec_b64 s[8:9], s[6:7]
	s_xor_b64 s[6:7], exec, s[8:9]
	s_cbranch_execnz .LBB20_2177
; %bb.129:
	s_or_saveexec_b64 s[6:7], s[6:7]
	v_mov_b32_e32 v10, s10
	s_xor_b64 exec, exec, s[6:7]
	s_cbranch_execnz .LBB20_2180
.LBB20_130:
	s_or_b64 exec, exec, s[6:7]
	s_and_saveexec_b64 s[6:7], s[4:5]
	s_cbranch_execz .LBB20_132
.LBB20_131:
	v_and_b32_e32 v10, 7, v6
	v_ffbh_u32_e32 v12, v10
	v_min_u32_e32 v12, 32, v12
	v_lshrrev_b16_e32 v11, 3, v6
	v_subrev_u32_e32 v13, 28, v12
	v_and_b32_e32 v11, 15, v11
	v_lshlrev_b32_e32 v13, v13, v6
	v_sub_u32_e32 v12, 29, v12
	v_and_b32_e32 v13, 7, v13
	v_cmp_eq_u16_e32 vcc, 0, v11
	v_cndmask_b32_e32 v10, v10, v13, vcc
	v_cndmask_b32_e32 v11, v11, v12, vcc
	v_lshlrev_b32_e32 v12, 24, v6
	v_mov_b32_e32 v13, 0x3b800000
	v_lshlrev_b32_e32 v10, 20, v10
	v_and_b32_e32 v12, 0x80000000, v12
	v_lshl_add_u32 v11, v11, 23, v13
	v_or3_b32 v10, v12, v11, v10
.LBB20_132:
	s_or_b64 exec, exec, s[6:7]
	s_movk_i32 s4, 0x7f
	v_cmp_gt_i16_sdwa s[6:7], v2, s4 src0_sel:BYTE_0 src1_sel:DWORD
	s_mov_b64 s[4:5], 0
                                        ; implicit-def: $sgpr10
	s_and_saveexec_b64 s[8:9], s[6:7]
	s_xor_b64 s[6:7], exec, s[8:9]
	s_cbranch_execnz .LBB20_2181
; %bb.133:
	s_or_saveexec_b64 s[6:7], s[6:7]
	v_mov_b32_e32 v11, s10
	s_xor_b64 exec, exec, s[6:7]
	s_cbranch_execnz .LBB20_2184
.LBB20_134:
	s_or_b64 exec, exec, s[6:7]
	s_and_saveexec_b64 s[6:7], s[4:5]
	s_cbranch_execz .LBB20_136
.LBB20_135:
	v_and_b32_e32 v11, 7, v2
	v_ffbh_u32_e32 v13, v11
	v_min_u32_e32 v13, 32, v13
	v_lshrrev_b16_e32 v12, 3, v2
	v_subrev_u32_e32 v14, 28, v13
	v_and_b32_e32 v12, 15, v12
	v_lshlrev_b32_e32 v14, v14, v2
	v_sub_u32_e32 v13, 29, v13
	v_and_b32_e32 v14, 7, v14
	v_cmp_eq_u16_e32 vcc, 0, v12
	v_cndmask_b32_e32 v11, v11, v14, vcc
	v_cndmask_b32_e32 v12, v12, v13, vcc
	v_lshlrev_b32_e32 v13, 24, v2
	v_mov_b32_e32 v14, 0x3b800000
	v_lshlrev_b32_e32 v11, 20, v11
	v_and_b32_e32 v13, 0x80000000, v13
	v_lshl_add_u32 v12, v12, 23, v14
	v_or3_b32 v11, v13, v12, v11
.LBB20_136:
	s_or_b64 exec, exec, s[6:7]
	s_nop 0
	v_mfma_f32_16x16x4f32 a[0:3], v10, v11, a[0:3]
	v_lshrrev_b32_e32 v11, 8, v6
	s_movk_i32 s4, 0x7f
	v_cmp_gt_i16_sdwa s[6:7], v11, s4 src0_sel:BYTE_0 src1_sel:DWORD
	s_mov_b64 s[4:5], 0
                                        ; implicit-def: $sgpr10
	s_and_saveexec_b64 s[8:9], s[6:7]
	s_xor_b64 s[6:7], exec, s[8:9]
	s_cbranch_execnz .LBB20_2185
; %bb.137:
	s_or_saveexec_b64 s[6:7], s[6:7]
	v_mov_b32_e32 v10, s10
	s_xor_b64 exec, exec, s[6:7]
	s_cbranch_execnz .LBB20_2188
.LBB20_138:
	s_or_b64 exec, exec, s[6:7]
	s_and_saveexec_b64 s[6:7], s[4:5]
	s_cbranch_execz .LBB20_140
.LBB20_139:
	v_bfe_u32 v10, v6, 8, 3
	v_ffbh_u32_e32 v13, v10
	v_min_u32_e32 v13, 32, v13
	v_lshrrev_b16_e32 v12, 3, v11
	v_subrev_u32_e32 v14, 28, v13
	v_and_b32_e32 v12, 15, v12
	v_lshlrev_b32_e32 v11, v14, v11
	v_sub_u32_e32 v13, 29, v13
	v_and_b32_e32 v11, 7, v11
	v_cmp_eq_u16_e32 vcc, 0, v12
	v_cndmask_b32_e32 v10, v10, v11, vcc
	v_cndmask_b32_e32 v11, v12, v13, vcc
	v_lshlrev_b32_e32 v12, 16, v6
	v_mov_b32_e32 v13, 0x3b800000
	v_lshlrev_b32_e32 v10, 20, v10
	v_and_b32_e32 v12, 0x80000000, v12
	v_lshl_add_u32 v11, v11, 23, v13
	v_or3_b32 v10, v12, v11, v10
.LBB20_140:
	s_or_b64 exec, exec, s[6:7]
	v_lshrrev_b32_e32 v11, 8, v2
	s_movk_i32 s4, 0x7f
	v_cmp_gt_i16_sdwa s[6:7], v11, s4 src0_sel:BYTE_0 src1_sel:DWORD
	s_mov_b64 s[4:5], 0
                                        ; implicit-def: $sgpr10
	s_and_saveexec_b64 s[8:9], s[6:7]
	s_xor_b64 s[6:7], exec, s[8:9]
	s_cbranch_execnz .LBB20_2189
; %bb.141:
	s_or_saveexec_b64 s[6:7], s[6:7]
	v_mov_b32_e32 v12, s10
	s_xor_b64 exec, exec, s[6:7]
	s_cbranch_execnz .LBB20_2192
.LBB20_142:
	s_or_b64 exec, exec, s[6:7]
	s_and_saveexec_b64 s[6:7], s[4:5]
	s_cbranch_execz .LBB20_144
.LBB20_143:
	v_bfe_u32 v12, v2, 8, 3
	v_ffbh_u32_e32 v14, v12
	v_min_u32_e32 v14, 32, v14
	v_lshrrev_b16_e32 v13, 3, v11
	v_subrev_u32_e32 v15, 28, v14
	v_and_b32_e32 v13, 15, v13
	v_lshlrev_b32_e32 v11, v15, v11
	v_sub_u32_e32 v14, 29, v14
	v_and_b32_e32 v11, 7, v11
	v_cmp_eq_u16_e32 vcc, 0, v13
	v_cndmask_b32_e32 v11, v12, v11, vcc
	v_cndmask_b32_e32 v12, v13, v14, vcc
	v_lshlrev_b32_e32 v13, 16, v2
	v_mov_b32_e32 v14, 0x3b800000
	v_lshlrev_b32_e32 v11, 20, v11
	v_and_b32_e32 v13, 0x80000000, v13
	v_lshl_add_u32 v12, v12, 23, v14
	v_or3_b32 v12, v13, v12, v11
.LBB20_144:
	s_or_b64 exec, exec, s[6:7]
	s_nop 0
	v_mfma_f32_16x16x4f32 a[0:3], v10, v12, a[0:3]
	s_movk_i32 s4, 0xff
	v_and_b32_sdwa v11, v6, s4 dst_sel:DWORD dst_unused:UNUSED_PAD src0_sel:WORD_1 src1_sel:DWORD
	s_movk_i32 s4, 0x7f
	v_cmp_lt_i16_e32 vcc, s4, v11
	s_mov_b64 s[4:5], 0
                                        ; implicit-def: $sgpr10
	s_and_saveexec_b64 s[6:7], vcc
	s_xor_b64 s[6:7], exec, s[6:7]
	s_cbranch_execnz .LBB20_2193
; %bb.145:
	s_or_saveexec_b64 s[6:7], s[6:7]
	v_mov_b32_e32 v10, s10
	s_xor_b64 exec, exec, s[6:7]
	s_cbranch_execnz .LBB20_2196
.LBB20_146:
	s_or_b64 exec, exec, s[6:7]
	s_and_saveexec_b64 s[6:7], s[4:5]
	s_cbranch_execz .LBB20_148
.LBB20_147:
	v_bfe_u32 v10, v6, 16, 3
	v_ffbh_u32_e32 v13, v10
	v_min_u32_e32 v13, 32, v13
	v_lshrrev_b32_e32 v11, 19, v6
	v_subrev_u32_e32 v14, 28, v13
	v_and_b32_e32 v11, 15, v11
	v_lshlrev_b32_sdwa v14, v14, v6 dst_sel:DWORD dst_unused:UNUSED_PAD src0_sel:DWORD src1_sel:WORD_1
	v_bfe_u32 v12, v6, 19, 4
	v_sub_u32_e32 v13, 29, v13
	v_and_b32_e32 v14, 7, v14
	v_cmp_eq_u16_e32 vcc, 0, v11
	v_cndmask_b32_e32 v10, v10, v14, vcc
	v_cndmask_b32_e32 v11, v12, v13, vcc
	v_lshlrev_b32_e32 v12, 8, v6
	v_mov_b32_e32 v13, 0x3b800000
	v_lshlrev_b32_e32 v10, 20, v10
	v_and_b32_e32 v12, 0x80000000, v12
	v_lshl_add_u32 v11, v11, 23, v13
	v_or3_b32 v10, v12, v11, v10
.LBB20_148:
	s_or_b64 exec, exec, s[6:7]
	s_movk_i32 s4, 0xff
	v_and_b32_sdwa v11, v2, s4 dst_sel:DWORD dst_unused:UNUSED_PAD src0_sel:WORD_1 src1_sel:DWORD
	s_movk_i32 s4, 0x7f
	v_cmp_lt_i16_e32 vcc, s4, v11
	s_mov_b64 s[4:5], 0
                                        ; implicit-def: $sgpr10
	s_and_saveexec_b64 s[6:7], vcc
	s_xor_b64 s[6:7], exec, s[6:7]
	s_cbranch_execnz .LBB20_2197
; %bb.149:
	s_or_saveexec_b64 s[6:7], s[6:7]
	v_mov_b32_e32 v12, s10
	s_xor_b64 exec, exec, s[6:7]
	s_cbranch_execnz .LBB20_2200
.LBB20_150:
	s_or_b64 exec, exec, s[6:7]
	s_and_saveexec_b64 s[6:7], s[4:5]
	s_cbranch_execz .LBB20_152
.LBB20_151:
	v_bfe_u32 v11, v2, 16, 3
	v_ffbh_u32_e32 v14, v11
	v_min_u32_e32 v14, 32, v14
	v_lshrrev_b32_e32 v12, 19, v2
	v_subrev_u32_e32 v15, 28, v14
	v_and_b32_e32 v12, 15, v12
	v_lshlrev_b32_sdwa v15, v15, v2 dst_sel:DWORD dst_unused:UNUSED_PAD src0_sel:DWORD src1_sel:WORD_1
	v_bfe_u32 v13, v2, 19, 4
	v_sub_u32_e32 v14, 29, v14
	v_and_b32_e32 v15, 7, v15
	v_cmp_eq_u16_e32 vcc, 0, v12
	v_cndmask_b32_e32 v11, v11, v15, vcc
	v_cndmask_b32_e32 v12, v13, v14, vcc
	v_lshlrev_b32_e32 v13, 8, v2
	v_mov_b32_e32 v14, 0x3b800000
	v_lshlrev_b32_e32 v11, 20, v11
	v_and_b32_e32 v13, 0x80000000, v13
	v_lshl_add_u32 v12, v12, 23, v14
	v_or3_b32 v12, v13, v12, v11
.LBB20_152:
	s_or_b64 exec, exec, s[6:7]
	s_nop 0
	v_mfma_f32_16x16x4f32 a[0:3], v10, v12, a[0:3]
	s_movk_i32 s4, 0x7f
	v_cmp_gt_i16_sdwa s[6:7], v6, s4 src0_sel:BYTE_3 src1_sel:DWORD
	s_mov_b64 s[4:5], 0
                                        ; implicit-def: $sgpr10
	s_and_saveexec_b64 s[8:9], s[6:7]
	s_xor_b64 s[6:7], exec, s[8:9]
	s_cbranch_execnz .LBB20_2201
; %bb.153:
	s_or_saveexec_b64 s[6:7], s[6:7]
	v_mov_b32_e32 v10, s10
	s_xor_b64 exec, exec, s[6:7]
	s_cbranch_execnz .LBB20_2204
.LBB20_154:
	s_or_b64 exec, exec, s[6:7]
	s_and_saveexec_b64 s[6:7], s[4:5]
	s_cbranch_execz .LBB20_156
.LBB20_155:
	v_bfe_u32 v10, v6, 24, 3
	v_ffbh_u32_e32 v14, v10
	v_min_u32_e32 v14, 32, v14
	v_lshrrev_b32_e32 v12, 27, v6
	v_subrev_u32_e32 v15, 28, v14
	v_and_b32_e32 v11, 0x80000000, v6
	v_and_b32_e32 v12, 15, v12
	v_bfe_u32 v13, v6, 27, 4
	v_lshlrev_b32_sdwa v6, v15, v6 dst_sel:DWORD dst_unused:UNUSED_PAD src0_sel:DWORD src1_sel:BYTE_3
	v_sub_u32_e32 v14, 29, v14
	v_and_b32_e32 v6, 7, v6
	v_cmp_eq_u16_e32 vcc, 0, v12
	v_cndmask_b32_e32 v6, v10, v6, vcc
	v_cndmask_b32_e32 v10, v13, v14, vcc
	v_mov_b32_e32 v12, 0x3b800000
	v_lshlrev_b32_e32 v6, 20, v6
	v_lshl_add_u32 v10, v10, 23, v12
	v_or3_b32 v10, v11, v10, v6
.LBB20_156:
	s_or_b64 exec, exec, s[6:7]
	s_movk_i32 s4, 0x7f
	v_cmp_gt_i16_sdwa s[6:7], v2, s4 src0_sel:BYTE_3 src1_sel:DWORD
	s_mov_b64 s[4:5], 0
                                        ; implicit-def: $sgpr10
	s_and_saveexec_b64 s[8:9], s[6:7]
	s_xor_b64 s[6:7], exec, s[8:9]
	s_cbranch_execnz .LBB20_2205
; %bb.157:
	s_or_saveexec_b64 s[6:7], s[6:7]
	v_mov_b32_e32 v6, s10
	s_xor_b64 exec, exec, s[6:7]
	s_cbranch_execnz .LBB20_2208
.LBB20_158:
	s_or_b64 exec, exec, s[6:7]
	s_and_saveexec_b64 s[6:7], s[4:5]
	s_cbranch_execz .LBB20_160
.LBB20_159:
	v_bfe_u32 v6, v2, 24, 3
	v_ffbh_u32_e32 v14, v6
	v_min_u32_e32 v14, 32, v14
	v_lshrrev_b32_e32 v12, 27, v2
	v_subrev_u32_e32 v15, 28, v14
	v_and_b32_e32 v11, 0x80000000, v2
	v_and_b32_e32 v12, 15, v12
	v_bfe_u32 v13, v2, 27, 4
	v_lshlrev_b32_sdwa v2, v15, v2 dst_sel:DWORD dst_unused:UNUSED_PAD src0_sel:DWORD src1_sel:BYTE_3
	v_sub_u32_e32 v14, 29, v14
	v_and_b32_e32 v2, 7, v2
	v_cmp_eq_u16_e32 vcc, 0, v12
	v_cndmask_b32_e32 v2, v6, v2, vcc
	v_cndmask_b32_e32 v6, v13, v14, vcc
	v_mov_b32_e32 v12, 0x3b800000
	v_lshlrev_b32_e32 v2, 20, v2
	v_lshl_add_u32 v6, v6, 23, v12
	v_or3_b32 v6, v11, v6, v2
.LBB20_160:
	s_or_b64 exec, exec, s[6:7]
	s_nop 0
	v_mfma_f32_16x16x4f32 a[0:3], v10, v6, a[0:3]
	s_movk_i32 s4, 0x7f
	v_cmp_gt_i16_sdwa s[6:7], v7, s4 src0_sel:BYTE_0 src1_sel:DWORD
	s_mov_b64 s[4:5], 0
                                        ; implicit-def: $sgpr10
	s_and_saveexec_b64 s[8:9], s[6:7]
	s_xor_b64 s[6:7], exec, s[8:9]
	s_cbranch_execnz .LBB20_2209
; %bb.161:
	s_or_saveexec_b64 s[6:7], s[6:7]
	v_mov_b32_e32 v2, s10
	s_xor_b64 exec, exec, s[6:7]
	s_cbranch_execnz .LBB20_2212
.LBB20_162:
	s_or_b64 exec, exec, s[6:7]
	s_and_saveexec_b64 s[6:7], s[4:5]
	s_cbranch_execz .LBB20_164
.LBB20_163:
	v_and_b32_e32 v2, 7, v7
	v_ffbh_u32_e32 v10, v2
	v_min_u32_e32 v10, 32, v10
	v_lshrrev_b16_e32 v6, 3, v7
	v_subrev_u32_e32 v11, 28, v10
	v_and_b32_e32 v6, 15, v6
	v_lshlrev_b32_e32 v11, v11, v7
	v_sub_u32_e32 v10, 29, v10
	v_and_b32_e32 v11, 7, v11
	v_cmp_eq_u16_e32 vcc, 0, v6
	v_cndmask_b32_e32 v2, v2, v11, vcc
	v_cndmask_b32_e32 v6, v6, v10, vcc
	v_lshlrev_b32_e32 v10, 24, v7
	v_mov_b32_e32 v11, 0x3b800000
	v_lshlrev_b32_e32 v2, 20, v2
	v_and_b32_e32 v10, 0x80000000, v10
	v_lshl_add_u32 v6, v6, 23, v11
	v_or3_b32 v2, v10, v6, v2
.LBB20_164:
	s_or_b64 exec, exec, s[6:7]
	s_movk_i32 s4, 0x7f
	v_cmp_gt_i16_sdwa s[6:7], v3, s4 src0_sel:BYTE_0 src1_sel:DWORD
	s_mov_b64 s[4:5], 0
                                        ; implicit-def: $sgpr10
	s_and_saveexec_b64 s[8:9], s[6:7]
	s_xor_b64 s[6:7], exec, s[8:9]
	s_cbranch_execnz .LBB20_2213
; %bb.165:
	s_or_saveexec_b64 s[6:7], s[6:7]
	v_mov_b32_e32 v6, s10
	s_xor_b64 exec, exec, s[6:7]
	s_cbranch_execnz .LBB20_2216
.LBB20_166:
	s_or_b64 exec, exec, s[6:7]
	s_and_saveexec_b64 s[6:7], s[4:5]
	s_cbranch_execz .LBB20_168
.LBB20_167:
	v_and_b32_e32 v6, 7, v3
	v_ffbh_u32_e32 v11, v6
	v_min_u32_e32 v11, 32, v11
	v_lshrrev_b16_e32 v10, 3, v3
	v_subrev_u32_e32 v12, 28, v11
	v_and_b32_e32 v10, 15, v10
	v_lshlrev_b32_e32 v12, v12, v3
	v_sub_u32_e32 v11, 29, v11
	v_and_b32_e32 v12, 7, v12
	v_cmp_eq_u16_e32 vcc, 0, v10
	v_cndmask_b32_e32 v6, v6, v12, vcc
	v_cndmask_b32_e32 v10, v10, v11, vcc
	v_lshlrev_b32_e32 v11, 24, v3
	v_mov_b32_e32 v12, 0x3b800000
	v_lshlrev_b32_e32 v6, 20, v6
	v_and_b32_e32 v11, 0x80000000, v11
	v_lshl_add_u32 v10, v10, 23, v12
	v_or3_b32 v6, v11, v10, v6
.LBB20_168:
	s_or_b64 exec, exec, s[6:7]
	s_nop 0
	v_mfma_f32_16x16x4f32 a[0:3], v2, v6, a[0:3]
	v_lshrrev_b32_e32 v6, 8, v7
	s_movk_i32 s4, 0x7f
	v_cmp_gt_i16_sdwa s[6:7], v6, s4 src0_sel:BYTE_0 src1_sel:DWORD
	s_mov_b64 s[4:5], 0
                                        ; implicit-def: $sgpr10
	s_and_saveexec_b64 s[8:9], s[6:7]
	s_xor_b64 s[6:7], exec, s[8:9]
	s_cbranch_execnz .LBB20_2217
; %bb.169:
	s_or_saveexec_b64 s[6:7], s[6:7]
	v_mov_b32_e32 v2, s10
	s_xor_b64 exec, exec, s[6:7]
	s_cbranch_execnz .LBB20_2220
.LBB20_170:
	s_or_b64 exec, exec, s[6:7]
	s_and_saveexec_b64 s[6:7], s[4:5]
	s_cbranch_execz .LBB20_172
.LBB20_171:
	v_bfe_u32 v2, v7, 8, 3
	v_ffbh_u32_e32 v11, v2
	v_min_u32_e32 v11, 32, v11
	v_lshrrev_b16_e32 v10, 3, v6
	v_subrev_u32_e32 v12, 28, v11
	v_and_b32_e32 v10, 15, v10
	v_lshlrev_b32_e32 v6, v12, v6
	v_sub_u32_e32 v11, 29, v11
	v_and_b32_e32 v6, 7, v6
	v_cmp_eq_u16_e32 vcc, 0, v10
	v_cndmask_b32_e32 v2, v2, v6, vcc
	v_cndmask_b32_e32 v6, v10, v11, vcc
	v_lshlrev_b32_e32 v10, 16, v7
	v_mov_b32_e32 v11, 0x3b800000
	v_lshlrev_b32_e32 v2, 20, v2
	v_and_b32_e32 v10, 0x80000000, v10
	v_lshl_add_u32 v6, v6, 23, v11
	v_or3_b32 v2, v10, v6, v2
.LBB20_172:
	s_or_b64 exec, exec, s[6:7]
	v_lshrrev_b32_e32 v6, 8, v3
	s_movk_i32 s4, 0x7f
	v_cmp_gt_i16_sdwa s[6:7], v6, s4 src0_sel:BYTE_0 src1_sel:DWORD
	s_mov_b64 s[4:5], 0
                                        ; implicit-def: $sgpr10
	s_and_saveexec_b64 s[8:9], s[6:7]
	s_xor_b64 s[6:7], exec, s[8:9]
	s_cbranch_execnz .LBB20_2221
; %bb.173:
	s_or_saveexec_b64 s[6:7], s[6:7]
	v_mov_b32_e32 v10, s10
	s_xor_b64 exec, exec, s[6:7]
	s_cbranch_execnz .LBB20_2224
.LBB20_174:
	s_or_b64 exec, exec, s[6:7]
	s_and_saveexec_b64 s[6:7], s[4:5]
	s_cbranch_execz .LBB20_176
.LBB20_175:
	v_bfe_u32 v10, v3, 8, 3
	v_ffbh_u32_e32 v12, v10
	v_min_u32_e32 v12, 32, v12
	v_lshrrev_b16_e32 v11, 3, v6
	v_subrev_u32_e32 v13, 28, v12
	v_and_b32_e32 v11, 15, v11
	v_lshlrev_b32_e32 v6, v13, v6
	v_sub_u32_e32 v12, 29, v12
	v_and_b32_e32 v6, 7, v6
	v_cmp_eq_u16_e32 vcc, 0, v11
	v_cndmask_b32_e32 v6, v10, v6, vcc
	v_cndmask_b32_e32 v10, v11, v12, vcc
	v_lshlrev_b32_e32 v11, 16, v3
	v_mov_b32_e32 v12, 0x3b800000
	v_lshlrev_b32_e32 v6, 20, v6
	v_and_b32_e32 v11, 0x80000000, v11
	v_lshl_add_u32 v10, v10, 23, v12
	v_or3_b32 v10, v11, v10, v6
.LBB20_176:
	s_or_b64 exec, exec, s[6:7]
	s_nop 0
	v_mfma_f32_16x16x4f32 a[0:3], v2, v10, a[0:3]
	s_movk_i32 s4, 0xff
	v_and_b32_sdwa v6, v7, s4 dst_sel:DWORD dst_unused:UNUSED_PAD src0_sel:WORD_1 src1_sel:DWORD
	s_movk_i32 s4, 0x7f
	v_cmp_lt_i16_e32 vcc, s4, v6
	s_mov_b64 s[4:5], 0
                                        ; implicit-def: $sgpr10
	s_and_saveexec_b64 s[6:7], vcc
	s_xor_b64 s[6:7], exec, s[6:7]
	s_cbranch_execnz .LBB20_2225
; %bb.177:
	s_or_saveexec_b64 s[6:7], s[6:7]
	v_mov_b32_e32 v2, s10
	s_xor_b64 exec, exec, s[6:7]
	s_cbranch_execnz .LBB20_2228
.LBB20_178:
	s_or_b64 exec, exec, s[6:7]
	s_and_saveexec_b64 s[6:7], s[4:5]
	s_cbranch_execz .LBB20_180
.LBB20_179:
	v_bfe_u32 v2, v7, 16, 3
	v_ffbh_u32_e32 v11, v2
	v_min_u32_e32 v11, 32, v11
	v_lshrrev_b32_e32 v6, 19, v7
	v_subrev_u32_e32 v12, 28, v11
	v_and_b32_e32 v6, 15, v6
	v_lshlrev_b32_sdwa v12, v12, v7 dst_sel:DWORD dst_unused:UNUSED_PAD src0_sel:DWORD src1_sel:WORD_1
	v_bfe_u32 v10, v7, 19, 4
	v_sub_u32_e32 v11, 29, v11
	v_and_b32_e32 v12, 7, v12
	v_cmp_eq_u16_e32 vcc, 0, v6
	v_cndmask_b32_e32 v2, v2, v12, vcc
	v_cndmask_b32_e32 v6, v10, v11, vcc
	v_lshlrev_b32_e32 v10, 8, v7
	v_mov_b32_e32 v11, 0x3b800000
	v_lshlrev_b32_e32 v2, 20, v2
	v_and_b32_e32 v10, 0x80000000, v10
	v_lshl_add_u32 v6, v6, 23, v11
	v_or3_b32 v2, v10, v6, v2
.LBB20_180:
	s_or_b64 exec, exec, s[6:7]
	s_movk_i32 s4, 0xff
	v_and_b32_sdwa v6, v3, s4 dst_sel:DWORD dst_unused:UNUSED_PAD src0_sel:WORD_1 src1_sel:DWORD
	s_movk_i32 s4, 0x7f
	v_cmp_lt_i16_e32 vcc, s4, v6
	s_mov_b64 s[4:5], 0
                                        ; implicit-def: $sgpr10
	s_and_saveexec_b64 s[6:7], vcc
	s_xor_b64 s[6:7], exec, s[6:7]
	s_cbranch_execnz .LBB20_2229
; %bb.181:
	s_or_saveexec_b64 s[6:7], s[6:7]
	v_mov_b32_e32 v10, s10
	s_xor_b64 exec, exec, s[6:7]
	s_cbranch_execnz .LBB20_2232
.LBB20_182:
	s_or_b64 exec, exec, s[6:7]
	s_and_saveexec_b64 s[6:7], s[4:5]
	s_cbranch_execz .LBB20_184
.LBB20_183:
	v_bfe_u32 v6, v3, 16, 3
	v_ffbh_u32_e32 v12, v6
	v_min_u32_e32 v12, 32, v12
	v_lshrrev_b32_e32 v10, 19, v3
	v_subrev_u32_e32 v13, 28, v12
	v_and_b32_e32 v10, 15, v10
	v_lshlrev_b32_sdwa v13, v13, v3 dst_sel:DWORD dst_unused:UNUSED_PAD src0_sel:DWORD src1_sel:WORD_1
	v_bfe_u32 v11, v3, 19, 4
	v_sub_u32_e32 v12, 29, v12
	v_and_b32_e32 v13, 7, v13
	v_cmp_eq_u16_e32 vcc, 0, v10
	v_cndmask_b32_e32 v6, v6, v13, vcc
	v_cndmask_b32_e32 v10, v11, v12, vcc
	v_lshlrev_b32_e32 v11, 8, v3
	v_mov_b32_e32 v12, 0x3b800000
	v_lshlrev_b32_e32 v6, 20, v6
	v_and_b32_e32 v11, 0x80000000, v11
	v_lshl_add_u32 v10, v10, 23, v12
	v_or3_b32 v10, v11, v10, v6
.LBB20_184:
	s_or_b64 exec, exec, s[6:7]
	s_nop 0
	v_mfma_f32_16x16x4f32 a[0:3], v2, v10, a[0:3]
	s_movk_i32 s4, 0x7f
	v_cmp_gt_i16_sdwa s[6:7], v7, s4 src0_sel:BYTE_3 src1_sel:DWORD
	s_mov_b64 s[4:5], 0
                                        ; implicit-def: $sgpr10
	s_and_saveexec_b64 s[8:9], s[6:7]
	s_xor_b64 s[6:7], exec, s[8:9]
	s_cbranch_execnz .LBB20_2233
; %bb.185:
	s_or_saveexec_b64 s[6:7], s[6:7]
	v_mov_b32_e32 v2, s10
	s_xor_b64 exec, exec, s[6:7]
	s_cbranch_execnz .LBB20_2236
.LBB20_186:
	s_or_b64 exec, exec, s[6:7]
	s_and_saveexec_b64 s[6:7], s[4:5]
	s_cbranch_execz .LBB20_188
.LBB20_187:
	v_bfe_u32 v2, v7, 24, 3
	v_ffbh_u32_e32 v12, v2
	v_min_u32_e32 v12, 32, v12
	v_lshrrev_b32_e32 v10, 27, v7
	v_subrev_u32_e32 v13, 28, v12
	v_and_b32_e32 v6, 0x80000000, v7
	v_and_b32_e32 v10, 15, v10
	v_bfe_u32 v11, v7, 27, 4
	v_lshlrev_b32_sdwa v7, v13, v7 dst_sel:DWORD dst_unused:UNUSED_PAD src0_sel:DWORD src1_sel:BYTE_3
	v_sub_u32_e32 v12, 29, v12
	v_and_b32_e32 v7, 7, v7
	v_cmp_eq_u16_e32 vcc, 0, v10
	v_cndmask_b32_e32 v2, v2, v7, vcc
	v_cndmask_b32_e32 v7, v11, v12, vcc
	v_mov_b32_e32 v10, 0x3b800000
	v_lshlrev_b32_e32 v2, 20, v2
	v_lshl_add_u32 v7, v7, 23, v10
	v_or3_b32 v2, v6, v7, v2
.LBB20_188:
	s_or_b64 exec, exec, s[6:7]
	s_movk_i32 s4, 0x7f
	v_cmp_gt_i16_sdwa s[6:7], v3, s4 src0_sel:BYTE_3 src1_sel:DWORD
	s_mov_b64 s[4:5], 0
                                        ; implicit-def: $sgpr10
	s_and_saveexec_b64 s[8:9], s[6:7]
	s_xor_b64 s[6:7], exec, s[8:9]
	s_cbranch_execnz .LBB20_2237
; %bb.189:
	s_or_saveexec_b64 s[6:7], s[6:7]
	v_mov_b32_e32 v6, s10
	s_xor_b64 exec, exec, s[6:7]
	s_cbranch_execnz .LBB20_2240
.LBB20_190:
	s_or_b64 exec, exec, s[6:7]
	s_and_saveexec_b64 s[6:7], s[4:5]
	s_cbranch_execz .LBB20_192
.LBB20_191:
	v_bfe_u32 v6, v3, 24, 3
	v_ffbh_u32_e32 v12, v6
	v_min_u32_e32 v12, 32, v12
	v_lshrrev_b32_e32 v10, 27, v3
	v_subrev_u32_e32 v13, 28, v12
	v_and_b32_e32 v7, 0x80000000, v3
	v_and_b32_e32 v10, 15, v10
	v_bfe_u32 v11, v3, 27, 4
	v_lshlrev_b32_sdwa v3, v13, v3 dst_sel:DWORD dst_unused:UNUSED_PAD src0_sel:DWORD src1_sel:BYTE_3
	v_sub_u32_e32 v12, 29, v12
	v_and_b32_e32 v3, 7, v3
	v_cmp_eq_u16_e32 vcc, 0, v10
	v_cndmask_b32_e32 v3, v6, v3, vcc
	v_cndmask_b32_e32 v6, v11, v12, vcc
	v_mov_b32_e32 v10, 0x3b800000
	v_lshlrev_b32_e32 v3, 20, v3
	v_lshl_add_u32 v6, v6, 23, v10
	v_or3_b32 v6, v7, v6, v3
.LBB20_192:
	s_or_b64 exec, exec, s[6:7]
	s_nop 0
	v_mfma_f32_16x16x4f32 a[0:3], v2, v6, a[0:3]
	s_movk_i32 s4, 0x7f
	v_cmp_gt_i16_sdwa s[6:7], v8, s4 src0_sel:BYTE_0 src1_sel:DWORD
	s_mov_b64 s[4:5], 0
                                        ; implicit-def: $sgpr10
	s_and_saveexec_b64 s[8:9], s[6:7]
	s_xor_b64 s[6:7], exec, s[8:9]
	s_cbranch_execnz .LBB20_2241
; %bb.193:
	s_or_saveexec_b64 s[6:7], s[6:7]
	v_mov_b32_e32 v2, s10
	s_xor_b64 exec, exec, s[6:7]
	s_cbranch_execnz .LBB20_2244
.LBB20_194:
	s_or_b64 exec, exec, s[6:7]
	s_and_saveexec_b64 s[6:7], s[4:5]
	s_cbranch_execz .LBB20_196
.LBB20_195:
	v_and_b32_e32 v2, 7, v8
	v_ffbh_u32_e32 v6, v2
	v_min_u32_e32 v6, 32, v6
	v_lshrrev_b16_e32 v3, 3, v8
	v_subrev_u32_e32 v7, 28, v6
	v_and_b32_e32 v3, 15, v3
	v_lshlrev_b32_e32 v7, v7, v8
	v_sub_u32_e32 v6, 29, v6
	v_and_b32_e32 v7, 7, v7
	v_cmp_eq_u16_e32 vcc, 0, v3
	v_cndmask_b32_e32 v2, v2, v7, vcc
	v_cndmask_b32_e32 v3, v3, v6, vcc
	v_lshlrev_b32_e32 v6, 24, v8
	v_mov_b32_e32 v7, 0x3b800000
	v_lshlrev_b32_e32 v2, 20, v2
	v_and_b32_e32 v6, 0x80000000, v6
	v_lshl_add_u32 v3, v3, 23, v7
	v_or3_b32 v2, v6, v3, v2
.LBB20_196:
	s_or_b64 exec, exec, s[6:7]
	s_movk_i32 s4, 0x7f
	v_cmp_gt_i16_sdwa s[6:7], v4, s4 src0_sel:BYTE_0 src1_sel:DWORD
	s_mov_b64 s[4:5], 0
                                        ; implicit-def: $sgpr10
	s_and_saveexec_b64 s[8:9], s[6:7]
	s_xor_b64 s[6:7], exec, s[8:9]
	s_cbranch_execnz .LBB20_2245
; %bb.197:
	s_or_saveexec_b64 s[6:7], s[6:7]
	v_mov_b32_e32 v3, s10
	s_xor_b64 exec, exec, s[6:7]
	s_cbranch_execnz .LBB20_2248
.LBB20_198:
	s_or_b64 exec, exec, s[6:7]
	s_and_saveexec_b64 s[6:7], s[4:5]
	s_cbranch_execz .LBB20_200
.LBB20_199:
	v_and_b32_e32 v3, 7, v4
	v_ffbh_u32_e32 v7, v3
	v_min_u32_e32 v7, 32, v7
	v_lshrrev_b16_e32 v6, 3, v4
	v_subrev_u32_e32 v10, 28, v7
	v_and_b32_e32 v6, 15, v6
	v_lshlrev_b32_e32 v10, v10, v4
	v_sub_u32_e32 v7, 29, v7
	v_and_b32_e32 v10, 7, v10
	v_cmp_eq_u16_e32 vcc, 0, v6
	v_cndmask_b32_e32 v3, v3, v10, vcc
	v_cndmask_b32_e32 v6, v6, v7, vcc
	v_lshlrev_b32_e32 v7, 24, v4
	v_mov_b32_e32 v10, 0x3b800000
	v_lshlrev_b32_e32 v3, 20, v3
	v_and_b32_e32 v7, 0x80000000, v7
	v_lshl_add_u32 v6, v6, 23, v10
	v_or3_b32 v3, v7, v6, v3
.LBB20_200:
	s_or_b64 exec, exec, s[6:7]
	s_nop 0
	v_mfma_f32_16x16x4f32 a[0:3], v2, v3, a[0:3]
	v_lshrrev_b32_e32 v3, 8, v8
	s_movk_i32 s4, 0x7f
	v_cmp_gt_i16_sdwa s[6:7], v3, s4 src0_sel:BYTE_0 src1_sel:DWORD
	s_mov_b64 s[4:5], 0
                                        ; implicit-def: $sgpr10
	s_and_saveexec_b64 s[8:9], s[6:7]
	s_xor_b64 s[6:7], exec, s[8:9]
	s_cbranch_execnz .LBB20_2249
; %bb.201:
	s_or_saveexec_b64 s[6:7], s[6:7]
	v_mov_b32_e32 v2, s10
	s_xor_b64 exec, exec, s[6:7]
	s_cbranch_execnz .LBB20_2252
.LBB20_202:
	s_or_b64 exec, exec, s[6:7]
	s_and_saveexec_b64 s[6:7], s[4:5]
	s_cbranch_execz .LBB20_204
.LBB20_203:
	v_bfe_u32 v2, v8, 8, 3
	v_ffbh_u32_e32 v7, v2
	v_min_u32_e32 v7, 32, v7
	v_lshrrev_b16_e32 v6, 3, v3
	v_subrev_u32_e32 v10, 28, v7
	v_and_b32_e32 v6, 15, v6
	v_lshlrev_b32_e32 v3, v10, v3
	v_sub_u32_e32 v7, 29, v7
	v_and_b32_e32 v3, 7, v3
	v_cmp_eq_u16_e32 vcc, 0, v6
	v_cndmask_b32_e32 v2, v2, v3, vcc
	v_cndmask_b32_e32 v3, v6, v7, vcc
	v_lshlrev_b32_e32 v6, 16, v8
	v_mov_b32_e32 v7, 0x3b800000
	v_lshlrev_b32_e32 v2, 20, v2
	v_and_b32_e32 v6, 0x80000000, v6
	v_lshl_add_u32 v3, v3, 23, v7
	v_or3_b32 v2, v6, v3, v2
.LBB20_204:
	s_or_b64 exec, exec, s[6:7]
	v_lshrrev_b32_e32 v3, 8, v4
	s_movk_i32 s4, 0x7f
	v_cmp_gt_i16_sdwa s[6:7], v3, s4 src0_sel:BYTE_0 src1_sel:DWORD
	s_mov_b64 s[4:5], 0
                                        ; implicit-def: $sgpr10
	s_and_saveexec_b64 s[8:9], s[6:7]
	s_xor_b64 s[6:7], exec, s[8:9]
	s_cbranch_execnz .LBB20_2253
; %bb.205:
	s_or_saveexec_b64 s[6:7], s[6:7]
	v_mov_b32_e32 v6, s10
	s_xor_b64 exec, exec, s[6:7]
	s_cbranch_execnz .LBB20_2256
.LBB20_206:
	s_or_b64 exec, exec, s[6:7]
	s_and_saveexec_b64 s[6:7], s[4:5]
	s_cbranch_execz .LBB20_208
.LBB20_207:
	v_bfe_u32 v6, v4, 8, 3
	v_ffbh_u32_e32 v10, v6
	v_min_u32_e32 v10, 32, v10
	v_lshrrev_b16_e32 v7, 3, v3
	v_subrev_u32_e32 v11, 28, v10
	v_and_b32_e32 v7, 15, v7
	v_lshlrev_b32_e32 v3, v11, v3
	v_sub_u32_e32 v10, 29, v10
	v_and_b32_e32 v3, 7, v3
	v_cmp_eq_u16_e32 vcc, 0, v7
	v_cndmask_b32_e32 v3, v6, v3, vcc
	v_cndmask_b32_e32 v6, v7, v10, vcc
	v_lshlrev_b32_e32 v7, 16, v4
	v_mov_b32_e32 v10, 0x3b800000
	v_lshlrev_b32_e32 v3, 20, v3
	v_and_b32_e32 v7, 0x80000000, v7
	v_lshl_add_u32 v6, v6, 23, v10
	v_or3_b32 v6, v7, v6, v3
.LBB20_208:
	s_or_b64 exec, exec, s[6:7]
	s_nop 0
	v_mfma_f32_16x16x4f32 a[0:3], v2, v6, a[0:3]
	s_movk_i32 s4, 0xff
	v_and_b32_sdwa v3, v8, s4 dst_sel:DWORD dst_unused:UNUSED_PAD src0_sel:WORD_1 src1_sel:DWORD
	s_movk_i32 s4, 0x7f
	v_cmp_lt_i16_e32 vcc, s4, v3
	s_mov_b64 s[4:5], 0
                                        ; implicit-def: $sgpr10
	s_and_saveexec_b64 s[6:7], vcc
	s_xor_b64 s[6:7], exec, s[6:7]
	s_cbranch_execnz .LBB20_2257
; %bb.209:
	s_or_saveexec_b64 s[6:7], s[6:7]
	v_mov_b32_e32 v2, s10
	s_xor_b64 exec, exec, s[6:7]
	s_cbranch_execnz .LBB20_2260
.LBB20_210:
	s_or_b64 exec, exec, s[6:7]
	s_and_saveexec_b64 s[6:7], s[4:5]
	s_cbranch_execz .LBB20_212
.LBB20_211:
	v_bfe_u32 v2, v8, 16, 3
	v_ffbh_u32_e32 v7, v2
	v_min_u32_e32 v7, 32, v7
	v_lshrrev_b32_e32 v3, 19, v8
	v_subrev_u32_e32 v10, 28, v7
	v_and_b32_e32 v3, 15, v3
	v_lshlrev_b32_sdwa v10, v10, v8 dst_sel:DWORD dst_unused:UNUSED_PAD src0_sel:DWORD src1_sel:WORD_1
	v_bfe_u32 v6, v8, 19, 4
	v_sub_u32_e32 v7, 29, v7
	v_and_b32_e32 v10, 7, v10
	v_cmp_eq_u16_e32 vcc, 0, v3
	v_cndmask_b32_e32 v2, v2, v10, vcc
	v_cndmask_b32_e32 v3, v6, v7, vcc
	v_lshlrev_b32_e32 v6, 8, v8
	v_mov_b32_e32 v7, 0x3b800000
	v_lshlrev_b32_e32 v2, 20, v2
	v_and_b32_e32 v6, 0x80000000, v6
	v_lshl_add_u32 v3, v3, 23, v7
	v_or3_b32 v2, v6, v3, v2
.LBB20_212:
	s_or_b64 exec, exec, s[6:7]
	s_movk_i32 s4, 0xff
	v_and_b32_sdwa v3, v4, s4 dst_sel:DWORD dst_unused:UNUSED_PAD src0_sel:WORD_1 src1_sel:DWORD
	s_movk_i32 s4, 0x7f
	v_cmp_lt_i16_e32 vcc, s4, v3
	s_mov_b64 s[4:5], 0
                                        ; implicit-def: $sgpr10
	s_and_saveexec_b64 s[6:7], vcc
	s_xor_b64 s[6:7], exec, s[6:7]
	s_cbranch_execnz .LBB20_2261
; %bb.213:
	s_or_saveexec_b64 s[6:7], s[6:7]
	v_mov_b32_e32 v6, s10
	s_xor_b64 exec, exec, s[6:7]
	s_cbranch_execnz .LBB20_2264
.LBB20_214:
	s_or_b64 exec, exec, s[6:7]
	s_and_saveexec_b64 s[6:7], s[4:5]
	s_cbranch_execz .LBB20_216
.LBB20_215:
	v_bfe_u32 v3, v4, 16, 3
	v_ffbh_u32_e32 v10, v3
	v_min_u32_e32 v10, 32, v10
	v_lshrrev_b32_e32 v6, 19, v4
	v_subrev_u32_e32 v11, 28, v10
	v_and_b32_e32 v6, 15, v6
	v_lshlrev_b32_sdwa v11, v11, v4 dst_sel:DWORD dst_unused:UNUSED_PAD src0_sel:DWORD src1_sel:WORD_1
	v_bfe_u32 v7, v4, 19, 4
	v_sub_u32_e32 v10, 29, v10
	v_and_b32_e32 v11, 7, v11
	v_cmp_eq_u16_e32 vcc, 0, v6
	v_cndmask_b32_e32 v3, v3, v11, vcc
	v_cndmask_b32_e32 v6, v7, v10, vcc
	v_lshlrev_b32_e32 v7, 8, v4
	v_mov_b32_e32 v10, 0x3b800000
	v_lshlrev_b32_e32 v3, 20, v3
	v_and_b32_e32 v7, 0x80000000, v7
	v_lshl_add_u32 v6, v6, 23, v10
	v_or3_b32 v6, v7, v6, v3
.LBB20_216:
	s_or_b64 exec, exec, s[6:7]
	s_nop 0
	v_mfma_f32_16x16x4f32 a[0:3], v2, v6, a[0:3]
	s_movk_i32 s4, 0x7f
	v_cmp_gt_i16_sdwa s[6:7], v8, s4 src0_sel:BYTE_3 src1_sel:DWORD
	s_mov_b64 s[4:5], 0
                                        ; implicit-def: $sgpr10
	s_and_saveexec_b64 s[8:9], s[6:7]
	s_xor_b64 s[6:7], exec, s[8:9]
	s_cbranch_execnz .LBB20_2265
; %bb.217:
	s_or_saveexec_b64 s[6:7], s[6:7]
	v_mov_b32_e32 v2, s10
	s_xor_b64 exec, exec, s[6:7]
	s_cbranch_execnz .LBB20_2268
.LBB20_218:
	s_or_b64 exec, exec, s[6:7]
	s_and_saveexec_b64 s[6:7], s[4:5]
	s_cbranch_execz .LBB20_220
.LBB20_219:
	v_bfe_u32 v2, v8, 24, 3
	v_ffbh_u32_e32 v10, v2
	v_min_u32_e32 v10, 32, v10
	v_lshrrev_b32_e32 v6, 27, v8
	v_subrev_u32_e32 v11, 28, v10
	v_and_b32_e32 v3, 0x80000000, v8
	v_and_b32_e32 v6, 15, v6
	v_bfe_u32 v7, v8, 27, 4
	v_lshlrev_b32_sdwa v8, v11, v8 dst_sel:DWORD dst_unused:UNUSED_PAD src0_sel:DWORD src1_sel:BYTE_3
	v_sub_u32_e32 v10, 29, v10
	v_and_b32_e32 v8, 7, v8
	v_cmp_eq_u16_e32 vcc, 0, v6
	v_cndmask_b32_e32 v2, v2, v8, vcc
	v_cndmask_b32_e32 v6, v7, v10, vcc
	v_mov_b32_e32 v7, 0x3b800000
	v_lshlrev_b32_e32 v2, 20, v2
	v_lshl_add_u32 v6, v6, 23, v7
	v_or3_b32 v2, v3, v6, v2
.LBB20_220:
	s_or_b64 exec, exec, s[6:7]
	s_movk_i32 s4, 0x7f
	v_cmp_gt_i16_sdwa s[6:7], v4, s4 src0_sel:BYTE_3 src1_sel:DWORD
	s_mov_b64 s[4:5], 0
                                        ; implicit-def: $sgpr10
	s_and_saveexec_b64 s[8:9], s[6:7]
	s_xor_b64 s[6:7], exec, s[8:9]
	s_cbranch_execnz .LBB20_2269
; %bb.221:
	s_or_saveexec_b64 s[6:7], s[6:7]
	v_mov_b32_e32 v3, s10
	s_xor_b64 exec, exec, s[6:7]
	s_cbranch_execnz .LBB20_2272
.LBB20_222:
	s_or_b64 exec, exec, s[6:7]
	s_and_saveexec_b64 s[6:7], s[4:5]
	s_cbranch_execz .LBB20_224
.LBB20_223:
	v_bfe_u32 v3, v4, 24, 3
	v_ffbh_u32_e32 v10, v3
	v_min_u32_e32 v10, 32, v10
	v_lshrrev_b32_e32 v7, 27, v4
	v_subrev_u32_e32 v11, 28, v10
	v_and_b32_e32 v6, 0x80000000, v4
	v_and_b32_e32 v7, 15, v7
	v_bfe_u32 v8, v4, 27, 4
	v_lshlrev_b32_sdwa v4, v11, v4 dst_sel:DWORD dst_unused:UNUSED_PAD src0_sel:DWORD src1_sel:BYTE_3
	v_sub_u32_e32 v10, 29, v10
	v_and_b32_e32 v4, 7, v4
	v_cmp_eq_u16_e32 vcc, 0, v7
	v_cndmask_b32_e32 v3, v3, v4, vcc
	v_cndmask_b32_e32 v4, v8, v10, vcc
	v_mov_b32_e32 v7, 0x3b800000
	v_lshlrev_b32_e32 v3, 20, v3
	v_lshl_add_u32 v4, v4, 23, v7
	v_or3_b32 v3, v6, v4, v3
.LBB20_224:
	s_or_b64 exec, exec, s[6:7]
	s_nop 0
	v_mfma_f32_16x16x4f32 a[0:3], v2, v3, a[0:3]
	s_movk_i32 s4, 0x7f
	v_cmp_gt_i16_sdwa s[6:7], v9, s4 src0_sel:BYTE_0 src1_sel:DWORD
	s_mov_b64 s[4:5], 0
                                        ; implicit-def: $sgpr10
	s_and_saveexec_b64 s[8:9], s[6:7]
	s_xor_b64 s[6:7], exec, s[8:9]
	s_cbranch_execnz .LBB20_2273
; %bb.225:
	s_or_saveexec_b64 s[6:7], s[6:7]
	v_mov_b32_e32 v2, s10
	s_xor_b64 exec, exec, s[6:7]
	s_cbranch_execnz .LBB20_2276
.LBB20_226:
	s_or_b64 exec, exec, s[6:7]
	s_and_saveexec_b64 s[6:7], s[4:5]
	s_cbranch_execz .LBB20_228
.LBB20_227:
	v_mov_b32_e32 v2, 8
	v_and_b32_e32 v3, 7, v9
	v_lshrrev_b32_sdwa v2, v2, v9 dst_sel:BYTE_1 dst_unused:UNUSED_PAD src0_sel:DWORD src1_sel:DWORD
	v_ffbh_u32_e32 v4, v3
	v_or_b32_sdwa v2, v9, v2 dst_sel:DWORD dst_unused:UNUSED_PAD src0_sel:BYTE_0 src1_sel:DWORD
	v_min_u32_e32 v4, 32, v4
	v_lshrrev_b16_e32 v2, 3, v2
	v_subrev_u32_e32 v6, 28, v4
	v_and_b32_e32 v2, 15, v2
	v_lshlrev_b32_e32 v6, v6, v9
	v_sub_u32_e32 v4, 29, v4
	v_and_b32_e32 v6, 7, v6
	v_cmp_eq_u16_e32 vcc, 0, v2
	v_cndmask_b32_e32 v3, v3, v6, vcc
	v_cndmask_b32_e32 v2, v2, v4, vcc
	v_lshlrev_b32_e32 v4, 24, v9
	v_mov_b32_e32 v6, 0x3b800000
	v_lshlrev_b32_e32 v3, 20, v3
	v_and_b32_e32 v4, 0x80000000, v4
	v_lshl_add_u32 v2, v2, 23, v6
	v_or3_b32 v2, v4, v2, v3
.LBB20_228:
	s_or_b64 exec, exec, s[6:7]
	s_movk_i32 s4, 0x7f
	v_cmp_gt_i16_sdwa s[6:7], v5, s4 src0_sel:BYTE_0 src1_sel:DWORD
	s_mov_b64 s[4:5], 0
                                        ; implicit-def: $sgpr10
	s_and_saveexec_b64 s[8:9], s[6:7]
	s_xor_b64 s[6:7], exec, s[8:9]
	s_cbranch_execnz .LBB20_2277
; %bb.229:
	s_or_saveexec_b64 s[6:7], s[6:7]
	v_mov_b32_e32 v3, s10
	s_xor_b64 exec, exec, s[6:7]
	s_cbranch_execnz .LBB20_2280
.LBB20_230:
	s_or_b64 exec, exec, s[6:7]
	s_and_saveexec_b64 s[6:7], s[4:5]
	s_cbranch_execz .LBB20_232
.LBB20_231:
	v_mov_b32_e32 v3, 8
	v_and_b32_e32 v4, 7, v5
	v_lshrrev_b32_sdwa v3, v3, v5 dst_sel:BYTE_1 dst_unused:UNUSED_PAD src0_sel:DWORD src1_sel:DWORD
	v_ffbh_u32_e32 v6, v4
	v_or_b32_sdwa v3, v5, v3 dst_sel:DWORD dst_unused:UNUSED_PAD src0_sel:BYTE_0 src1_sel:DWORD
	v_min_u32_e32 v6, 32, v6
	v_lshrrev_b16_e32 v3, 3, v3
	v_subrev_u32_e32 v7, 28, v6
	v_and_b32_e32 v3, 15, v3
	v_lshlrev_b32_e32 v7, v7, v5
	v_sub_u32_e32 v6, 29, v6
	v_and_b32_e32 v7, 7, v7
	v_cmp_eq_u16_e32 vcc, 0, v3
	v_cndmask_b32_e32 v4, v4, v7, vcc
	v_cndmask_b32_e32 v3, v3, v6, vcc
	v_lshlrev_b32_e32 v6, 24, v5
	v_mov_b32_e32 v7, 0x3b800000
	v_lshlrev_b32_e32 v4, 20, v4
	v_and_b32_e32 v6, 0x80000000, v6
	v_lshl_add_u32 v3, v3, 23, v7
	v_or3_b32 v3, v6, v3, v4
.LBB20_232:
	s_or_b64 exec, exec, s[6:7]
	s_nop 0
	v_mfma_f32_16x16x4f32 a[0:3], v2, v3, a[0:3]
	v_lshrrev_b32_e32 v3, 8, v9
	s_movk_i32 s4, 0x7f
	v_cmp_gt_i16_sdwa s[6:7], v3, s4 src0_sel:BYTE_0 src1_sel:DWORD
	s_mov_b64 s[4:5], 0
                                        ; implicit-def: $sgpr10
	s_and_saveexec_b64 s[8:9], s[6:7]
	s_xor_b64 s[6:7], exec, s[8:9]
	s_cbranch_execnz .LBB20_2281
; %bb.233:
	s_or_saveexec_b64 s[6:7], s[6:7]
	v_mov_b32_e32 v2, s10
	s_xor_b64 exec, exec, s[6:7]
	s_cbranch_execnz .LBB20_2284
.LBB20_234:
	s_or_b64 exec, exec, s[6:7]
	s_and_saveexec_b64 s[6:7], s[4:5]
	s_cbranch_execz .LBB20_236
.LBB20_235:
	v_bfe_u32 v2, v9, 8, 3
	v_ffbh_u32_e32 v6, v2
	v_min_u32_e32 v6, 32, v6
	v_lshrrev_b16_e32 v4, 3, v3
	v_subrev_u32_e32 v7, 28, v6
	v_and_b32_e32 v4, 15, v4
	v_lshlrev_b32_e32 v3, v7, v3
	v_sub_u32_e32 v6, 29, v6
	v_and_b32_e32 v3, 7, v3
	v_cmp_eq_u16_e32 vcc, 0, v4
	v_cndmask_b32_e32 v2, v2, v3, vcc
	v_cndmask_b32_e32 v3, v4, v6, vcc
	v_lshlrev_b32_e32 v4, 16, v9
	v_mov_b32_e32 v6, 0x3b800000
	v_lshlrev_b32_e32 v2, 20, v2
	v_and_b32_e32 v4, 0x80000000, v4
	v_lshl_add_u32 v3, v3, 23, v6
	v_or3_b32 v2, v4, v3, v2
.LBB20_236:
	s_or_b64 exec, exec, s[6:7]
	v_lshrrev_b32_e32 v3, 8, v5
	s_movk_i32 s4, 0x7f
	v_cmp_gt_i16_sdwa s[6:7], v3, s4 src0_sel:BYTE_0 src1_sel:DWORD
	s_mov_b64 s[4:5], 0
                                        ; implicit-def: $sgpr10
	s_and_saveexec_b64 s[8:9], s[6:7]
	s_xor_b64 s[6:7], exec, s[8:9]
	s_cbranch_execnz .LBB20_2285
; %bb.237:
	s_or_saveexec_b64 s[6:7], s[6:7]
	v_mov_b32_e32 v4, s10
	s_xor_b64 exec, exec, s[6:7]
	s_cbranch_execnz .LBB20_2288
.LBB20_238:
	s_or_b64 exec, exec, s[6:7]
	s_and_saveexec_b64 s[6:7], s[4:5]
	s_cbranch_execz .LBB20_240
.LBB20_239:
	v_bfe_u32 v4, v5, 8, 3
	v_ffbh_u32_e32 v7, v4
	v_min_u32_e32 v7, 32, v7
	v_lshrrev_b16_e32 v6, 3, v3
	v_subrev_u32_e32 v8, 28, v7
	v_and_b32_e32 v6, 15, v6
	v_lshlrev_b32_e32 v3, v8, v3
	v_sub_u32_e32 v7, 29, v7
	v_and_b32_e32 v3, 7, v3
	v_cmp_eq_u16_e32 vcc, 0, v6
	v_cndmask_b32_e32 v3, v4, v3, vcc
	v_cndmask_b32_e32 v4, v6, v7, vcc
	v_lshlrev_b32_e32 v6, 16, v5
	v_mov_b32_e32 v7, 0x3b800000
	v_lshlrev_b32_e32 v3, 20, v3
	v_and_b32_e32 v6, 0x80000000, v6
	v_lshl_add_u32 v4, v4, 23, v7
	v_or3_b32 v4, v6, v4, v3
.LBB20_240:
	s_or_b64 exec, exec, s[6:7]
	s_nop 0
	v_mfma_f32_16x16x4f32 a[0:3], v2, v4, a[0:3]
	s_movk_i32 s4, 0xff
	v_and_b32_sdwa v3, v9, s4 dst_sel:DWORD dst_unused:UNUSED_PAD src0_sel:WORD_1 src1_sel:DWORD
	s_movk_i32 s4, 0x7f
	v_cmp_lt_i16_e32 vcc, s4, v3
	s_mov_b64 s[4:5], 0
                                        ; implicit-def: $sgpr10
	s_and_saveexec_b64 s[6:7], vcc
	s_xor_b64 s[6:7], exec, s[6:7]
	s_cbranch_execnz .LBB20_2289
; %bb.241:
	s_or_saveexec_b64 s[6:7], s[6:7]
	v_mov_b32_e32 v2, s10
	s_xor_b64 exec, exec, s[6:7]
	s_cbranch_execnz .LBB20_2292
.LBB20_242:
	s_or_b64 exec, exec, s[6:7]
	s_and_saveexec_b64 s[6:7], s[4:5]
	s_cbranch_execz .LBB20_244
.LBB20_243:
	v_bfe_u32 v2, v9, 16, 3
	v_ffbh_u32_e32 v6, v2
	v_min_u32_e32 v6, 32, v6
	v_lshrrev_b32_e32 v3, 19, v9
	v_subrev_u32_e32 v7, 28, v6
	v_and_b32_e32 v3, 15, v3
	v_lshlrev_b32_sdwa v7, v7, v9 dst_sel:DWORD dst_unused:UNUSED_PAD src0_sel:DWORD src1_sel:WORD_1
	v_bfe_u32 v4, v9, 19, 4
	v_sub_u32_e32 v6, 29, v6
	v_and_b32_e32 v7, 7, v7
	v_cmp_eq_u16_e32 vcc, 0, v3
	v_cndmask_b32_e32 v2, v2, v7, vcc
	v_cndmask_b32_e32 v3, v4, v6, vcc
	v_lshlrev_b32_e32 v4, 8, v9
	v_mov_b32_e32 v6, 0x3b800000
	v_lshlrev_b32_e32 v2, 20, v2
	v_and_b32_e32 v4, 0x80000000, v4
	v_lshl_add_u32 v3, v3, 23, v6
	v_or3_b32 v2, v4, v3, v2
.LBB20_244:
	s_or_b64 exec, exec, s[6:7]
	s_movk_i32 s4, 0xff
	v_and_b32_sdwa v3, v5, s4 dst_sel:DWORD dst_unused:UNUSED_PAD src0_sel:WORD_1 src1_sel:DWORD
	s_movk_i32 s4, 0x7f
	v_cmp_lt_i16_e32 vcc, s4, v3
	s_mov_b64 s[4:5], 0
                                        ; implicit-def: $sgpr10
	s_and_saveexec_b64 s[6:7], vcc
	s_xor_b64 s[6:7], exec, s[6:7]
	s_cbranch_execnz .LBB20_2293
; %bb.245:
	s_or_saveexec_b64 s[6:7], s[6:7]
	v_mov_b32_e32 v4, s10
	s_xor_b64 exec, exec, s[6:7]
	s_cbranch_execnz .LBB20_2296
.LBB20_246:
	s_or_b64 exec, exec, s[6:7]
	s_and_saveexec_b64 s[6:7], s[4:5]
	s_cbranch_execz .LBB20_248
.LBB20_247:
	v_bfe_u32 v3, v5, 16, 3
	v_ffbh_u32_e32 v7, v3
	v_min_u32_e32 v7, 32, v7
	v_lshrrev_b32_e32 v4, 19, v5
	v_subrev_u32_e32 v8, 28, v7
	v_and_b32_e32 v4, 15, v4
	v_lshlrev_b32_sdwa v8, v8, v5 dst_sel:DWORD dst_unused:UNUSED_PAD src0_sel:DWORD src1_sel:WORD_1
	v_bfe_u32 v6, v5, 19, 4
	v_sub_u32_e32 v7, 29, v7
	v_and_b32_e32 v8, 7, v8
	v_cmp_eq_u16_e32 vcc, 0, v4
	v_cndmask_b32_e32 v3, v3, v8, vcc
	v_cndmask_b32_e32 v4, v6, v7, vcc
	v_lshlrev_b32_e32 v6, 8, v5
	v_mov_b32_e32 v7, 0x3b800000
	v_lshlrev_b32_e32 v3, 20, v3
	v_and_b32_e32 v6, 0x80000000, v6
	v_lshl_add_u32 v4, v4, 23, v7
	v_or3_b32 v4, v6, v4, v3
.LBB20_248:
	s_or_b64 exec, exec, s[6:7]
	s_nop 0
	v_mfma_f32_16x16x4f32 a[0:3], v2, v4, a[0:3]
	s_movk_i32 s4, 0x7f
	v_cmp_gt_i16_sdwa s[6:7], v9, s4 src0_sel:BYTE_3 src1_sel:DWORD
	s_mov_b64 s[4:5], 0
                                        ; implicit-def: $sgpr10
	s_and_saveexec_b64 s[8:9], s[6:7]
	s_xor_b64 s[6:7], exec, s[8:9]
	s_cbranch_execnz .LBB20_2297
; %bb.249:
	s_or_saveexec_b64 s[6:7], s[6:7]
	v_mov_b32_e32 v2, s10
	s_xor_b64 exec, exec, s[6:7]
	s_cbranch_execnz .LBB20_2300
.LBB20_250:
	s_or_b64 exec, exec, s[6:7]
	s_and_saveexec_b64 s[6:7], s[4:5]
	s_cbranch_execz .LBB20_252
.LBB20_251:
	v_bfe_u32 v2, v9, 24, 3
	v_ffbh_u32_e32 v7, v2
	v_min_u32_e32 v7, 32, v7
	v_lshrrev_b32_e32 v4, 27, v9
	v_subrev_u32_e32 v8, 28, v7
	v_and_b32_e32 v4, 15, v4
	v_lshlrev_b32_sdwa v8, v8, v9 dst_sel:DWORD dst_unused:UNUSED_PAD src0_sel:DWORD src1_sel:BYTE_3
	v_bfe_u32 v6, v9, 27, 4
	v_sub_u32_e32 v7, 29, v7
	v_and_b32_e32 v8, 7, v8
	v_cmp_eq_u16_e32 vcc, 0, v4
	v_cndmask_b32_e32 v2, v2, v8, vcc
	v_cndmask_b32_e32 v4, v6, v7, vcc
	v_mov_b32_e32 v6, 0x3b800000
	v_and_b32_e32 v3, 0x80000000, v9
	v_lshlrev_b32_e32 v2, 20, v2
	v_lshl_add_u32 v4, v4, 23, v6
	v_or3_b32 v2, v3, v4, v2
.LBB20_252:
	s_or_b64 exec, exec, s[6:7]
	s_movk_i32 s4, 0x7f
	v_cmp_gt_i16_sdwa s[6:7], v5, s4 src0_sel:BYTE_3 src1_sel:DWORD
	s_mov_b64 s[4:5], 0
                                        ; implicit-def: $sgpr10
	s_and_saveexec_b64 s[8:9], s[6:7]
	s_xor_b64 s[6:7], exec, s[8:9]
	s_cbranch_execnz .LBB20_2301
; %bb.253:
	s_or_saveexec_b64 s[6:7], s[6:7]
	v_mov_b32_e32 v3, s10
	s_xor_b64 exec, exec, s[6:7]
	s_cbranch_execnz .LBB20_2304
.LBB20_254:
	s_or_b64 exec, exec, s[6:7]
	s_and_saveexec_b64 s[6:7], s[4:5]
	s_cbranch_execz .LBB20_256
.LBB20_255:
	v_bfe_u32 v3, v5, 24, 3
	v_ffbh_u32_e32 v8, v3
	v_min_u32_e32 v8, 32, v8
	v_lshrrev_b32_e32 v6, 27, v5
	v_subrev_u32_e32 v9, 28, v8
	v_and_b32_e32 v4, 0x80000000, v5
	v_and_b32_e32 v6, 15, v6
	v_bfe_u32 v7, v5, 27, 4
	v_lshlrev_b32_sdwa v5, v9, v5 dst_sel:DWORD dst_unused:UNUSED_PAD src0_sel:DWORD src1_sel:BYTE_3
	v_sub_u32_e32 v8, 29, v8
	v_and_b32_e32 v5, 7, v5
	v_cmp_eq_u16_e32 vcc, 0, v6
	v_cndmask_b32_e32 v3, v3, v5, vcc
	v_cndmask_b32_e32 v5, v7, v8, vcc
	v_mov_b32_e32 v6, 0x3b800000
	v_lshlrev_b32_e32 v3, 20, v3
	v_lshl_add_u32 v5, v5, 23, v6
	v_or3_b32 v3, v4, v5, v3
.LBB20_256:
	s_or_b64 exec, exec, s[6:7]
	s_nop 0
	v_mfma_f32_16x16x4f32 a[0:3], v2, v3, a[0:3]
	s_movk_i32 s4, 0x7f
                                        ; implicit-def: $sgpr10
	s_nop 7
	s_nop 1
	flat_store_dwordx4 v[18:19], a[0:3] offset:256
	flat_load_dwordx4 v[20:23], v[0:1] offset:8
	s_nop 0
	flat_load_dwordx2 v[18:19], v[0:1] offset:24
	s_waitcnt vmcnt(0) lgkmcnt(0)
	flat_load_dwordx4 v[14:17], v[20:21]
	flat_load_dwordx4 v[6:9], v[20:21] offset:16
	flat_load_dwordx4 v[10:13], v[22:23] offset:32
	;; [unrolled: 1-line block ×3, first 2 shown]
	s_waitcnt vmcnt(0) lgkmcnt(0)
	v_cmp_gt_i16_sdwa s[6:7], v14, s4 src0_sel:BYTE_0 src1_sel:DWORD
	s_mov_b64 s[4:5], 0
	s_and_saveexec_b64 s[8:9], s[6:7]
	s_xor_b64 s[6:7], exec, s[8:9]
	s_cbranch_execnz .LBB20_2305
; %bb.257:
	s_or_saveexec_b64 s[6:7], s[6:7]
	v_mov_b32_e32 v20, s10
	s_xor_b64 exec, exec, s[6:7]
	s_cbranch_execnz .LBB20_2308
.LBB20_258:
	s_or_b64 exec, exec, s[6:7]
	s_and_saveexec_b64 s[6:7], s[4:5]
	s_cbranch_execz .LBB20_260
.LBB20_259:
	v_and_b32_e32 v20, 7, v14
	v_ffbh_u32_e32 v22, v20
	v_min_u32_e32 v22, 32, v22
	v_lshrrev_b16_e32 v21, 3, v14
	v_subrev_u32_e32 v23, 28, v22
	v_and_b32_e32 v21, 15, v21
	v_lshlrev_b32_e32 v23, v23, v14
	v_sub_u32_e32 v22, 29, v22
	v_and_b32_e32 v23, 7, v23
	v_cmp_eq_u16_e32 vcc, 0, v21
	v_cndmask_b32_e32 v20, v20, v23, vcc
	v_cndmask_b32_e32 v21, v21, v22, vcc
	v_lshlrev_b32_e32 v22, 24, v14
	v_mov_b32_e32 v23, 0x3b800000
	v_lshlrev_b32_e32 v20, 20, v20
	v_and_b32_e32 v22, 0x80000000, v22
	v_lshl_add_u32 v21, v21, 23, v23
	v_or3_b32 v20, v22, v21, v20
.LBB20_260:
	s_or_b64 exec, exec, s[6:7]
	s_movk_i32 s4, 0x7f
	v_cmp_gt_i16_sdwa s[6:7], v10, s4 src0_sel:BYTE_0 src1_sel:DWORD
	s_mov_b64 s[4:5], 0
                                        ; implicit-def: $sgpr10
	s_and_saveexec_b64 s[8:9], s[6:7]
	s_xor_b64 s[6:7], exec, s[8:9]
	s_cbranch_execnz .LBB20_2309
; %bb.261:
	s_or_saveexec_b64 s[6:7], s[6:7]
	v_mov_b32_e32 v21, s10
	s_xor_b64 exec, exec, s[6:7]
	s_cbranch_execnz .LBB20_2312
.LBB20_262:
	s_or_b64 exec, exec, s[6:7]
	s_and_saveexec_b64 s[6:7], s[4:5]
	s_cbranch_execz .LBB20_264
.LBB20_263:
	v_and_b32_e32 v21, 7, v10
	v_ffbh_u32_e32 v23, v21
	v_min_u32_e32 v23, 32, v23
	v_lshrrev_b16_e32 v22, 3, v10
	v_subrev_u32_e32 v24, 28, v23
	v_and_b32_e32 v22, 15, v22
	v_lshlrev_b32_e32 v24, v24, v10
	v_sub_u32_e32 v23, 29, v23
	v_and_b32_e32 v24, 7, v24
	v_cmp_eq_u16_e32 vcc, 0, v22
	v_cndmask_b32_e32 v21, v21, v24, vcc
	v_cndmask_b32_e32 v22, v22, v23, vcc
	v_lshlrev_b32_e32 v23, 24, v10
	v_mov_b32_e32 v24, 0x3b800000
	v_lshlrev_b32_e32 v21, 20, v21
	v_and_b32_e32 v23, 0x80000000, v23
	v_lshl_add_u32 v22, v22, 23, v24
	v_or3_b32 v21, v23, v22, v21
.LBB20_264:
	s_or_b64 exec, exec, s[6:7]
	flat_load_dwordx4 a[0:3], v[18:19] offset:272
	s_movk_i32 s4, 0x7f
                                        ; implicit-def: $sgpr10
	s_waitcnt vmcnt(0) lgkmcnt(0)
	v_mfma_f32_16x16x4f32 a[0:3], v20, v21, a[0:3]
	v_lshrrev_b32_e32 v21, 8, v14
	v_cmp_gt_i16_sdwa s[6:7], v21, s4 src0_sel:BYTE_0 src1_sel:DWORD
	s_mov_b64 s[4:5], 0
	s_and_saveexec_b64 s[8:9], s[6:7]
	s_xor_b64 s[6:7], exec, s[8:9]
	s_cbranch_execnz .LBB20_2313
; %bb.265:
	s_or_saveexec_b64 s[6:7], s[6:7]
	v_mov_b32_e32 v20, s10
	s_xor_b64 exec, exec, s[6:7]
	s_cbranch_execnz .LBB20_2316
.LBB20_266:
	s_or_b64 exec, exec, s[6:7]
	s_and_saveexec_b64 s[6:7], s[4:5]
	s_cbranch_execz .LBB20_268
.LBB20_267:
	v_bfe_u32 v20, v14, 8, 3
	v_ffbh_u32_e32 v23, v20
	v_min_u32_e32 v23, 32, v23
	v_lshrrev_b16_e32 v22, 3, v21
	v_subrev_u32_e32 v24, 28, v23
	v_and_b32_e32 v22, 15, v22
	v_lshlrev_b32_e32 v21, v24, v21
	v_sub_u32_e32 v23, 29, v23
	v_and_b32_e32 v21, 7, v21
	v_cmp_eq_u16_e32 vcc, 0, v22
	v_cndmask_b32_e32 v20, v20, v21, vcc
	v_cndmask_b32_e32 v21, v22, v23, vcc
	v_lshlrev_b32_e32 v22, 16, v14
	v_mov_b32_e32 v23, 0x3b800000
	v_lshlrev_b32_e32 v20, 20, v20
	v_and_b32_e32 v22, 0x80000000, v22
	v_lshl_add_u32 v21, v21, 23, v23
	v_or3_b32 v20, v22, v21, v20
.LBB20_268:
	s_or_b64 exec, exec, s[6:7]
	v_lshrrev_b32_e32 v21, 8, v10
	s_movk_i32 s4, 0x7f
	v_cmp_gt_i16_sdwa s[6:7], v21, s4 src0_sel:BYTE_0 src1_sel:DWORD
	s_mov_b64 s[4:5], 0
                                        ; implicit-def: $sgpr10
	s_and_saveexec_b64 s[8:9], s[6:7]
	s_xor_b64 s[6:7], exec, s[8:9]
	s_cbranch_execnz .LBB20_2317
; %bb.269:
	s_or_saveexec_b64 s[6:7], s[6:7]
	v_mov_b32_e32 v22, s10
	s_xor_b64 exec, exec, s[6:7]
	s_cbranch_execnz .LBB20_2320
.LBB20_270:
	s_or_b64 exec, exec, s[6:7]
	s_and_saveexec_b64 s[6:7], s[4:5]
	s_cbranch_execz .LBB20_272
.LBB20_271:
	v_bfe_u32 v22, v10, 8, 3
	v_ffbh_u32_e32 v24, v22
	v_min_u32_e32 v24, 32, v24
	v_lshrrev_b16_e32 v23, 3, v21
	v_subrev_u32_e32 v25, 28, v24
	v_and_b32_e32 v23, 15, v23
	v_lshlrev_b32_e32 v21, v25, v21
	v_sub_u32_e32 v24, 29, v24
	v_and_b32_e32 v21, 7, v21
	v_cmp_eq_u16_e32 vcc, 0, v23
	v_cndmask_b32_e32 v21, v22, v21, vcc
	v_cndmask_b32_e32 v22, v23, v24, vcc
	v_lshlrev_b32_e32 v23, 16, v10
	v_mov_b32_e32 v24, 0x3b800000
	v_lshlrev_b32_e32 v21, 20, v21
	v_and_b32_e32 v23, 0x80000000, v23
	v_lshl_add_u32 v22, v22, 23, v24
	v_or3_b32 v22, v23, v22, v21
.LBB20_272:
	s_or_b64 exec, exec, s[6:7]
	s_nop 0
	v_mfma_f32_16x16x4f32 a[0:3], v20, v22, a[0:3]
	s_movk_i32 s4, 0xff
	v_and_b32_sdwa v21, v14, s4 dst_sel:DWORD dst_unused:UNUSED_PAD src0_sel:WORD_1 src1_sel:DWORD
	s_movk_i32 s4, 0x7f
	v_cmp_lt_i16_e32 vcc, s4, v21
	s_mov_b64 s[4:5], 0
                                        ; implicit-def: $sgpr10
	s_and_saveexec_b64 s[6:7], vcc
	s_xor_b64 s[6:7], exec, s[6:7]
	s_cbranch_execnz .LBB20_2321
; %bb.273:
	s_or_saveexec_b64 s[6:7], s[6:7]
	v_mov_b32_e32 v20, s10
	s_xor_b64 exec, exec, s[6:7]
	s_cbranch_execnz .LBB20_2324
.LBB20_274:
	s_or_b64 exec, exec, s[6:7]
	s_and_saveexec_b64 s[6:7], s[4:5]
	s_cbranch_execz .LBB20_276
.LBB20_275:
	v_bfe_u32 v20, v14, 16, 3
	v_ffbh_u32_e32 v23, v20
	v_min_u32_e32 v23, 32, v23
	v_lshrrev_b32_e32 v21, 19, v14
	v_subrev_u32_e32 v24, 28, v23
	v_and_b32_e32 v21, 15, v21
	v_lshlrev_b32_sdwa v24, v24, v14 dst_sel:DWORD dst_unused:UNUSED_PAD src0_sel:DWORD src1_sel:WORD_1
	v_bfe_u32 v22, v14, 19, 4
	v_sub_u32_e32 v23, 29, v23
	v_and_b32_e32 v24, 7, v24
	v_cmp_eq_u16_e32 vcc, 0, v21
	v_cndmask_b32_e32 v20, v20, v24, vcc
	v_cndmask_b32_e32 v21, v22, v23, vcc
	v_lshlrev_b32_e32 v22, 8, v14
	v_mov_b32_e32 v23, 0x3b800000
	v_lshlrev_b32_e32 v20, 20, v20
	v_and_b32_e32 v22, 0x80000000, v22
	v_lshl_add_u32 v21, v21, 23, v23
	v_or3_b32 v20, v22, v21, v20
.LBB20_276:
	s_or_b64 exec, exec, s[6:7]
	s_movk_i32 s4, 0xff
	v_and_b32_sdwa v21, v10, s4 dst_sel:DWORD dst_unused:UNUSED_PAD src0_sel:WORD_1 src1_sel:DWORD
	s_movk_i32 s4, 0x7f
	v_cmp_lt_i16_e32 vcc, s4, v21
	s_mov_b64 s[4:5], 0
                                        ; implicit-def: $sgpr10
	s_and_saveexec_b64 s[6:7], vcc
	s_xor_b64 s[6:7], exec, s[6:7]
	s_cbranch_execnz .LBB20_2325
; %bb.277:
	s_or_saveexec_b64 s[6:7], s[6:7]
	v_mov_b32_e32 v22, s10
	s_xor_b64 exec, exec, s[6:7]
	s_cbranch_execnz .LBB20_2328
.LBB20_278:
	s_or_b64 exec, exec, s[6:7]
	s_and_saveexec_b64 s[6:7], s[4:5]
	s_cbranch_execz .LBB20_280
.LBB20_279:
	v_bfe_u32 v21, v10, 16, 3
	v_ffbh_u32_e32 v24, v21
	v_min_u32_e32 v24, 32, v24
	v_lshrrev_b32_e32 v22, 19, v10
	v_subrev_u32_e32 v25, 28, v24
	v_and_b32_e32 v22, 15, v22
	v_lshlrev_b32_sdwa v25, v25, v10 dst_sel:DWORD dst_unused:UNUSED_PAD src0_sel:DWORD src1_sel:WORD_1
	v_bfe_u32 v23, v10, 19, 4
	v_sub_u32_e32 v24, 29, v24
	v_and_b32_e32 v25, 7, v25
	v_cmp_eq_u16_e32 vcc, 0, v22
	v_cndmask_b32_e32 v21, v21, v25, vcc
	v_cndmask_b32_e32 v22, v23, v24, vcc
	v_lshlrev_b32_e32 v23, 8, v10
	v_mov_b32_e32 v24, 0x3b800000
	v_lshlrev_b32_e32 v21, 20, v21
	v_and_b32_e32 v23, 0x80000000, v23
	v_lshl_add_u32 v22, v22, 23, v24
	v_or3_b32 v22, v23, v22, v21
.LBB20_280:
	s_or_b64 exec, exec, s[6:7]
	s_nop 0
	v_mfma_f32_16x16x4f32 a[0:3], v20, v22, a[0:3]
	s_movk_i32 s4, 0x7f
	v_cmp_gt_i16_sdwa s[6:7], v14, s4 src0_sel:BYTE_3 src1_sel:DWORD
	s_mov_b64 s[4:5], 0
                                        ; implicit-def: $sgpr10
	s_and_saveexec_b64 s[8:9], s[6:7]
	s_xor_b64 s[6:7], exec, s[8:9]
	s_cbranch_execnz .LBB20_2329
; %bb.281:
	s_or_saveexec_b64 s[6:7], s[6:7]
	v_mov_b32_e32 v20, s10
	s_xor_b64 exec, exec, s[6:7]
	s_cbranch_execnz .LBB20_2332
.LBB20_282:
	s_or_b64 exec, exec, s[6:7]
	s_and_saveexec_b64 s[6:7], s[4:5]
	s_cbranch_execz .LBB20_284
.LBB20_283:
	v_bfe_u32 v20, v14, 24, 3
	v_ffbh_u32_e32 v24, v20
	v_min_u32_e32 v24, 32, v24
	v_lshrrev_b32_e32 v22, 27, v14
	v_subrev_u32_e32 v25, 28, v24
	v_and_b32_e32 v21, 0x80000000, v14
	v_and_b32_e32 v22, 15, v22
	v_bfe_u32 v23, v14, 27, 4
	v_lshlrev_b32_sdwa v14, v25, v14 dst_sel:DWORD dst_unused:UNUSED_PAD src0_sel:DWORD src1_sel:BYTE_3
	v_sub_u32_e32 v24, 29, v24
	v_and_b32_e32 v14, 7, v14
	v_cmp_eq_u16_e32 vcc, 0, v22
	v_cndmask_b32_e32 v14, v20, v14, vcc
	v_cndmask_b32_e32 v20, v23, v24, vcc
	v_mov_b32_e32 v22, 0x3b800000
	v_lshlrev_b32_e32 v14, 20, v14
	v_lshl_add_u32 v20, v20, 23, v22
	v_or3_b32 v20, v21, v20, v14
.LBB20_284:
	s_or_b64 exec, exec, s[6:7]
	s_movk_i32 s4, 0x7f
	v_cmp_gt_i16_sdwa s[6:7], v10, s4 src0_sel:BYTE_3 src1_sel:DWORD
	s_mov_b64 s[4:5], 0
                                        ; implicit-def: $sgpr10
	s_and_saveexec_b64 s[8:9], s[6:7]
	s_xor_b64 s[6:7], exec, s[8:9]
	s_cbranch_execnz .LBB20_2333
; %bb.285:
	s_or_saveexec_b64 s[6:7], s[6:7]
	v_mov_b32_e32 v14, s10
	s_xor_b64 exec, exec, s[6:7]
	s_cbranch_execnz .LBB20_2336
.LBB20_286:
	s_or_b64 exec, exec, s[6:7]
	s_and_saveexec_b64 s[6:7], s[4:5]
	s_cbranch_execz .LBB20_288
.LBB20_287:
	v_bfe_u32 v14, v10, 24, 3
	v_ffbh_u32_e32 v24, v14
	v_min_u32_e32 v24, 32, v24
	v_lshrrev_b32_e32 v22, 27, v10
	v_subrev_u32_e32 v25, 28, v24
	v_and_b32_e32 v21, 0x80000000, v10
	v_and_b32_e32 v22, 15, v22
	v_bfe_u32 v23, v10, 27, 4
	v_lshlrev_b32_sdwa v10, v25, v10 dst_sel:DWORD dst_unused:UNUSED_PAD src0_sel:DWORD src1_sel:BYTE_3
	v_sub_u32_e32 v24, 29, v24
	v_and_b32_e32 v10, 7, v10
	v_cmp_eq_u16_e32 vcc, 0, v22
	v_cndmask_b32_e32 v10, v14, v10, vcc
	v_cndmask_b32_e32 v14, v23, v24, vcc
	v_mov_b32_e32 v22, 0x3b800000
	v_lshlrev_b32_e32 v10, 20, v10
	v_lshl_add_u32 v14, v14, 23, v22
	v_or3_b32 v14, v21, v14, v10
.LBB20_288:
	s_or_b64 exec, exec, s[6:7]
	s_nop 0
	v_mfma_f32_16x16x4f32 a[0:3], v20, v14, a[0:3]
	s_movk_i32 s4, 0x7f
	v_cmp_gt_i16_sdwa s[6:7], v15, s4 src0_sel:BYTE_0 src1_sel:DWORD
	s_mov_b64 s[4:5], 0
                                        ; implicit-def: $sgpr10
	s_and_saveexec_b64 s[8:9], s[6:7]
	s_xor_b64 s[6:7], exec, s[8:9]
	s_cbranch_execnz .LBB20_2337
; %bb.289:
	s_or_saveexec_b64 s[6:7], s[6:7]
	v_mov_b32_e32 v10, s10
	s_xor_b64 exec, exec, s[6:7]
	s_cbranch_execnz .LBB20_2340
.LBB20_290:
	s_or_b64 exec, exec, s[6:7]
	s_and_saveexec_b64 s[6:7], s[4:5]
	s_cbranch_execz .LBB20_292
.LBB20_291:
	v_and_b32_e32 v10, 7, v15
	v_ffbh_u32_e32 v20, v10
	v_min_u32_e32 v20, 32, v20
	v_lshrrev_b16_e32 v14, 3, v15
	v_subrev_u32_e32 v21, 28, v20
	v_and_b32_e32 v14, 15, v14
	v_lshlrev_b32_e32 v21, v21, v15
	v_sub_u32_e32 v20, 29, v20
	v_and_b32_e32 v21, 7, v21
	v_cmp_eq_u16_e32 vcc, 0, v14
	v_cndmask_b32_e32 v10, v10, v21, vcc
	v_cndmask_b32_e32 v14, v14, v20, vcc
	v_lshlrev_b32_e32 v20, 24, v15
	v_mov_b32_e32 v21, 0x3b800000
	v_lshlrev_b32_e32 v10, 20, v10
	v_and_b32_e32 v20, 0x80000000, v20
	v_lshl_add_u32 v14, v14, 23, v21
	v_or3_b32 v10, v20, v14, v10
.LBB20_292:
	s_or_b64 exec, exec, s[6:7]
	s_movk_i32 s4, 0x7f
	v_cmp_gt_i16_sdwa s[6:7], v11, s4 src0_sel:BYTE_0 src1_sel:DWORD
	s_mov_b64 s[4:5], 0
                                        ; implicit-def: $sgpr10
	s_and_saveexec_b64 s[8:9], s[6:7]
	s_xor_b64 s[6:7], exec, s[8:9]
	s_cbranch_execnz .LBB20_2341
; %bb.293:
	s_or_saveexec_b64 s[6:7], s[6:7]
	v_mov_b32_e32 v14, s10
	s_xor_b64 exec, exec, s[6:7]
	s_cbranch_execnz .LBB20_2344
.LBB20_294:
	s_or_b64 exec, exec, s[6:7]
	s_and_saveexec_b64 s[6:7], s[4:5]
	s_cbranch_execz .LBB20_296
.LBB20_295:
	v_and_b32_e32 v14, 7, v11
	v_ffbh_u32_e32 v21, v14
	v_min_u32_e32 v21, 32, v21
	v_lshrrev_b16_e32 v20, 3, v11
	v_subrev_u32_e32 v22, 28, v21
	v_and_b32_e32 v20, 15, v20
	v_lshlrev_b32_e32 v22, v22, v11
	v_sub_u32_e32 v21, 29, v21
	v_and_b32_e32 v22, 7, v22
	v_cmp_eq_u16_e32 vcc, 0, v20
	v_cndmask_b32_e32 v14, v14, v22, vcc
	v_cndmask_b32_e32 v20, v20, v21, vcc
	v_lshlrev_b32_e32 v21, 24, v11
	v_mov_b32_e32 v22, 0x3b800000
	v_lshlrev_b32_e32 v14, 20, v14
	v_and_b32_e32 v21, 0x80000000, v21
	v_lshl_add_u32 v20, v20, 23, v22
	v_or3_b32 v14, v21, v20, v14
.LBB20_296:
	s_or_b64 exec, exec, s[6:7]
	s_nop 0
	v_mfma_f32_16x16x4f32 a[0:3], v10, v14, a[0:3]
	v_lshrrev_b32_e32 v14, 8, v15
	s_movk_i32 s4, 0x7f
	v_cmp_gt_i16_sdwa s[6:7], v14, s4 src0_sel:BYTE_0 src1_sel:DWORD
	s_mov_b64 s[4:5], 0
                                        ; implicit-def: $sgpr10
	s_and_saveexec_b64 s[8:9], s[6:7]
	s_xor_b64 s[6:7], exec, s[8:9]
	s_cbranch_execnz .LBB20_2345
; %bb.297:
	s_or_saveexec_b64 s[6:7], s[6:7]
	v_mov_b32_e32 v10, s10
	s_xor_b64 exec, exec, s[6:7]
	s_cbranch_execnz .LBB20_2348
.LBB20_298:
	s_or_b64 exec, exec, s[6:7]
	s_and_saveexec_b64 s[6:7], s[4:5]
	s_cbranch_execz .LBB20_300
.LBB20_299:
	v_bfe_u32 v10, v15, 8, 3
	v_ffbh_u32_e32 v21, v10
	v_min_u32_e32 v21, 32, v21
	v_lshrrev_b16_e32 v20, 3, v14
	v_subrev_u32_e32 v22, 28, v21
	v_and_b32_e32 v20, 15, v20
	v_lshlrev_b32_e32 v14, v22, v14
	v_sub_u32_e32 v21, 29, v21
	v_and_b32_e32 v14, 7, v14
	v_cmp_eq_u16_e32 vcc, 0, v20
	v_cndmask_b32_e32 v10, v10, v14, vcc
	v_cndmask_b32_e32 v14, v20, v21, vcc
	v_lshlrev_b32_e32 v20, 16, v15
	v_mov_b32_e32 v21, 0x3b800000
	v_lshlrev_b32_e32 v10, 20, v10
	v_and_b32_e32 v20, 0x80000000, v20
	v_lshl_add_u32 v14, v14, 23, v21
	v_or3_b32 v10, v20, v14, v10
.LBB20_300:
	s_or_b64 exec, exec, s[6:7]
	v_lshrrev_b32_e32 v14, 8, v11
	s_movk_i32 s4, 0x7f
	v_cmp_gt_i16_sdwa s[6:7], v14, s4 src0_sel:BYTE_0 src1_sel:DWORD
	s_mov_b64 s[4:5], 0
                                        ; implicit-def: $sgpr10
	s_and_saveexec_b64 s[8:9], s[6:7]
	s_xor_b64 s[6:7], exec, s[8:9]
	s_cbranch_execnz .LBB20_2349
; %bb.301:
	s_or_saveexec_b64 s[6:7], s[6:7]
	v_mov_b32_e32 v20, s10
	s_xor_b64 exec, exec, s[6:7]
	s_cbranch_execnz .LBB20_2352
.LBB20_302:
	s_or_b64 exec, exec, s[6:7]
	s_and_saveexec_b64 s[6:7], s[4:5]
	s_cbranch_execz .LBB20_304
.LBB20_303:
	v_bfe_u32 v20, v11, 8, 3
	v_ffbh_u32_e32 v22, v20
	v_min_u32_e32 v22, 32, v22
	v_lshrrev_b16_e32 v21, 3, v14
	v_subrev_u32_e32 v23, 28, v22
	v_and_b32_e32 v21, 15, v21
	v_lshlrev_b32_e32 v14, v23, v14
	v_sub_u32_e32 v22, 29, v22
	v_and_b32_e32 v14, 7, v14
	v_cmp_eq_u16_e32 vcc, 0, v21
	v_cndmask_b32_e32 v14, v20, v14, vcc
	v_cndmask_b32_e32 v20, v21, v22, vcc
	v_lshlrev_b32_e32 v21, 16, v11
	v_mov_b32_e32 v22, 0x3b800000
	v_lshlrev_b32_e32 v14, 20, v14
	v_and_b32_e32 v21, 0x80000000, v21
	v_lshl_add_u32 v20, v20, 23, v22
	v_or3_b32 v20, v21, v20, v14
.LBB20_304:
	s_or_b64 exec, exec, s[6:7]
	s_nop 0
	v_mfma_f32_16x16x4f32 a[0:3], v10, v20, a[0:3]
	s_movk_i32 s4, 0xff
	v_and_b32_sdwa v14, v15, s4 dst_sel:DWORD dst_unused:UNUSED_PAD src0_sel:WORD_1 src1_sel:DWORD
	s_movk_i32 s4, 0x7f
	v_cmp_lt_i16_e32 vcc, s4, v14
	s_mov_b64 s[4:5], 0
                                        ; implicit-def: $sgpr10
	s_and_saveexec_b64 s[6:7], vcc
	s_xor_b64 s[6:7], exec, s[6:7]
	s_cbranch_execnz .LBB20_2353
; %bb.305:
	s_or_saveexec_b64 s[6:7], s[6:7]
	v_mov_b32_e32 v10, s10
	s_xor_b64 exec, exec, s[6:7]
	s_cbranch_execnz .LBB20_2356
.LBB20_306:
	s_or_b64 exec, exec, s[6:7]
	s_and_saveexec_b64 s[6:7], s[4:5]
	s_cbranch_execz .LBB20_308
.LBB20_307:
	v_bfe_u32 v10, v15, 16, 3
	v_ffbh_u32_e32 v21, v10
	v_min_u32_e32 v21, 32, v21
	v_lshrrev_b32_e32 v14, 19, v15
	v_subrev_u32_e32 v22, 28, v21
	v_and_b32_e32 v14, 15, v14
	v_lshlrev_b32_sdwa v22, v22, v15 dst_sel:DWORD dst_unused:UNUSED_PAD src0_sel:DWORD src1_sel:WORD_1
	v_bfe_u32 v20, v15, 19, 4
	v_sub_u32_e32 v21, 29, v21
	v_and_b32_e32 v22, 7, v22
	v_cmp_eq_u16_e32 vcc, 0, v14
	v_cndmask_b32_e32 v10, v10, v22, vcc
	v_cndmask_b32_e32 v14, v20, v21, vcc
	v_lshlrev_b32_e32 v20, 8, v15
	v_mov_b32_e32 v21, 0x3b800000
	v_lshlrev_b32_e32 v10, 20, v10
	v_and_b32_e32 v20, 0x80000000, v20
	v_lshl_add_u32 v14, v14, 23, v21
	v_or3_b32 v10, v20, v14, v10
.LBB20_308:
	s_or_b64 exec, exec, s[6:7]
	s_movk_i32 s4, 0xff
	v_and_b32_sdwa v14, v11, s4 dst_sel:DWORD dst_unused:UNUSED_PAD src0_sel:WORD_1 src1_sel:DWORD
	s_movk_i32 s4, 0x7f
	v_cmp_lt_i16_e32 vcc, s4, v14
	s_mov_b64 s[4:5], 0
                                        ; implicit-def: $sgpr10
	s_and_saveexec_b64 s[6:7], vcc
	s_xor_b64 s[6:7], exec, s[6:7]
	s_cbranch_execnz .LBB20_2357
; %bb.309:
	s_or_saveexec_b64 s[6:7], s[6:7]
	v_mov_b32_e32 v20, s10
	s_xor_b64 exec, exec, s[6:7]
	s_cbranch_execnz .LBB20_2360
.LBB20_310:
	s_or_b64 exec, exec, s[6:7]
	s_and_saveexec_b64 s[6:7], s[4:5]
	s_cbranch_execz .LBB20_312
.LBB20_311:
	v_bfe_u32 v14, v11, 16, 3
	v_ffbh_u32_e32 v22, v14
	v_min_u32_e32 v22, 32, v22
	v_lshrrev_b32_e32 v20, 19, v11
	v_subrev_u32_e32 v23, 28, v22
	v_and_b32_e32 v20, 15, v20
	v_lshlrev_b32_sdwa v23, v23, v11 dst_sel:DWORD dst_unused:UNUSED_PAD src0_sel:DWORD src1_sel:WORD_1
	v_bfe_u32 v21, v11, 19, 4
	v_sub_u32_e32 v22, 29, v22
	v_and_b32_e32 v23, 7, v23
	v_cmp_eq_u16_e32 vcc, 0, v20
	v_cndmask_b32_e32 v14, v14, v23, vcc
	v_cndmask_b32_e32 v20, v21, v22, vcc
	v_lshlrev_b32_e32 v21, 8, v11
	v_mov_b32_e32 v22, 0x3b800000
	v_lshlrev_b32_e32 v14, 20, v14
	v_and_b32_e32 v21, 0x80000000, v21
	v_lshl_add_u32 v20, v20, 23, v22
	v_or3_b32 v20, v21, v20, v14
.LBB20_312:
	s_or_b64 exec, exec, s[6:7]
	s_nop 0
	v_mfma_f32_16x16x4f32 a[0:3], v10, v20, a[0:3]
	s_movk_i32 s4, 0x7f
	v_cmp_gt_i16_sdwa s[6:7], v15, s4 src0_sel:BYTE_3 src1_sel:DWORD
	s_mov_b64 s[4:5], 0
                                        ; implicit-def: $sgpr10
	s_and_saveexec_b64 s[8:9], s[6:7]
	s_xor_b64 s[6:7], exec, s[8:9]
	s_cbranch_execnz .LBB20_2361
; %bb.313:
	s_or_saveexec_b64 s[6:7], s[6:7]
	v_mov_b32_e32 v10, s10
	s_xor_b64 exec, exec, s[6:7]
	s_cbranch_execnz .LBB20_2364
.LBB20_314:
	s_or_b64 exec, exec, s[6:7]
	s_and_saveexec_b64 s[6:7], s[4:5]
	s_cbranch_execz .LBB20_316
.LBB20_315:
	v_bfe_u32 v10, v15, 24, 3
	v_ffbh_u32_e32 v22, v10
	v_min_u32_e32 v22, 32, v22
	v_lshrrev_b32_e32 v20, 27, v15
	v_subrev_u32_e32 v23, 28, v22
	v_and_b32_e32 v14, 0x80000000, v15
	v_and_b32_e32 v20, 15, v20
	v_bfe_u32 v21, v15, 27, 4
	v_lshlrev_b32_sdwa v15, v23, v15 dst_sel:DWORD dst_unused:UNUSED_PAD src0_sel:DWORD src1_sel:BYTE_3
	v_sub_u32_e32 v22, 29, v22
	v_and_b32_e32 v15, 7, v15
	v_cmp_eq_u16_e32 vcc, 0, v20
	v_cndmask_b32_e32 v10, v10, v15, vcc
	v_cndmask_b32_e32 v15, v21, v22, vcc
	v_mov_b32_e32 v20, 0x3b800000
	v_lshlrev_b32_e32 v10, 20, v10
	v_lshl_add_u32 v15, v15, 23, v20
	v_or3_b32 v10, v14, v15, v10
.LBB20_316:
	s_or_b64 exec, exec, s[6:7]
	s_movk_i32 s4, 0x7f
	v_cmp_gt_i16_sdwa s[6:7], v11, s4 src0_sel:BYTE_3 src1_sel:DWORD
	s_mov_b64 s[4:5], 0
                                        ; implicit-def: $sgpr10
	s_and_saveexec_b64 s[8:9], s[6:7]
	s_xor_b64 s[6:7], exec, s[8:9]
	s_cbranch_execnz .LBB20_2365
; %bb.317:
	s_or_saveexec_b64 s[6:7], s[6:7]
	v_mov_b32_e32 v14, s10
	s_xor_b64 exec, exec, s[6:7]
	s_cbranch_execnz .LBB20_2368
.LBB20_318:
	s_or_b64 exec, exec, s[6:7]
	s_and_saveexec_b64 s[6:7], s[4:5]
	s_cbranch_execz .LBB20_320
.LBB20_319:
	v_bfe_u32 v14, v11, 24, 3
	v_ffbh_u32_e32 v22, v14
	v_min_u32_e32 v22, 32, v22
	v_lshrrev_b32_e32 v20, 27, v11
	v_subrev_u32_e32 v23, 28, v22
	v_and_b32_e32 v15, 0x80000000, v11
	v_and_b32_e32 v20, 15, v20
	v_bfe_u32 v21, v11, 27, 4
	v_lshlrev_b32_sdwa v11, v23, v11 dst_sel:DWORD dst_unused:UNUSED_PAD src0_sel:DWORD src1_sel:BYTE_3
	v_sub_u32_e32 v22, 29, v22
	v_and_b32_e32 v11, 7, v11
	v_cmp_eq_u16_e32 vcc, 0, v20
	v_cndmask_b32_e32 v11, v14, v11, vcc
	v_cndmask_b32_e32 v14, v21, v22, vcc
	v_mov_b32_e32 v20, 0x3b800000
	v_lshlrev_b32_e32 v11, 20, v11
	v_lshl_add_u32 v14, v14, 23, v20
	v_or3_b32 v14, v15, v14, v11
.LBB20_320:
	s_or_b64 exec, exec, s[6:7]
	s_nop 0
	v_mfma_f32_16x16x4f32 a[0:3], v10, v14, a[0:3]
	s_movk_i32 s4, 0x7f
	v_cmp_gt_i16_sdwa s[6:7], v16, s4 src0_sel:BYTE_0 src1_sel:DWORD
	s_mov_b64 s[4:5], 0
                                        ; implicit-def: $sgpr10
	s_and_saveexec_b64 s[8:9], s[6:7]
	s_xor_b64 s[6:7], exec, s[8:9]
	s_cbranch_execnz .LBB20_2369
; %bb.321:
	s_or_saveexec_b64 s[6:7], s[6:7]
	v_mov_b32_e32 v10, s10
	s_xor_b64 exec, exec, s[6:7]
	s_cbranch_execnz .LBB20_2372
.LBB20_322:
	s_or_b64 exec, exec, s[6:7]
	s_and_saveexec_b64 s[6:7], s[4:5]
	s_cbranch_execz .LBB20_324
.LBB20_323:
	v_and_b32_e32 v10, 7, v16
	v_ffbh_u32_e32 v14, v10
	v_min_u32_e32 v14, 32, v14
	v_lshrrev_b16_e32 v11, 3, v16
	v_subrev_u32_e32 v15, 28, v14
	v_and_b32_e32 v11, 15, v11
	v_lshlrev_b32_e32 v15, v15, v16
	v_sub_u32_e32 v14, 29, v14
	v_and_b32_e32 v15, 7, v15
	v_cmp_eq_u16_e32 vcc, 0, v11
	v_cndmask_b32_e32 v10, v10, v15, vcc
	v_cndmask_b32_e32 v11, v11, v14, vcc
	v_lshlrev_b32_e32 v14, 24, v16
	v_mov_b32_e32 v15, 0x3b800000
	v_lshlrev_b32_e32 v10, 20, v10
	v_and_b32_e32 v14, 0x80000000, v14
	v_lshl_add_u32 v11, v11, 23, v15
	v_or3_b32 v10, v14, v11, v10
.LBB20_324:
	s_or_b64 exec, exec, s[6:7]
	s_movk_i32 s4, 0x7f
	v_cmp_gt_i16_sdwa s[6:7], v12, s4 src0_sel:BYTE_0 src1_sel:DWORD
	s_mov_b64 s[4:5], 0
                                        ; implicit-def: $sgpr10
	s_and_saveexec_b64 s[8:9], s[6:7]
	s_xor_b64 s[6:7], exec, s[8:9]
	s_cbranch_execnz .LBB20_2373
; %bb.325:
	s_or_saveexec_b64 s[6:7], s[6:7]
	v_mov_b32_e32 v11, s10
	s_xor_b64 exec, exec, s[6:7]
	s_cbranch_execnz .LBB20_2376
.LBB20_326:
	s_or_b64 exec, exec, s[6:7]
	s_and_saveexec_b64 s[6:7], s[4:5]
	s_cbranch_execz .LBB20_328
.LBB20_327:
	v_and_b32_e32 v11, 7, v12
	v_ffbh_u32_e32 v15, v11
	v_min_u32_e32 v15, 32, v15
	v_lshrrev_b16_e32 v14, 3, v12
	v_subrev_u32_e32 v20, 28, v15
	v_and_b32_e32 v14, 15, v14
	v_lshlrev_b32_e32 v20, v20, v12
	v_sub_u32_e32 v15, 29, v15
	v_and_b32_e32 v20, 7, v20
	v_cmp_eq_u16_e32 vcc, 0, v14
	v_cndmask_b32_e32 v11, v11, v20, vcc
	v_cndmask_b32_e32 v14, v14, v15, vcc
	v_lshlrev_b32_e32 v15, 24, v12
	v_mov_b32_e32 v20, 0x3b800000
	v_lshlrev_b32_e32 v11, 20, v11
	v_and_b32_e32 v15, 0x80000000, v15
	v_lshl_add_u32 v14, v14, 23, v20
	v_or3_b32 v11, v15, v14, v11
.LBB20_328:
	s_or_b64 exec, exec, s[6:7]
	s_nop 0
	v_mfma_f32_16x16x4f32 a[0:3], v10, v11, a[0:3]
	v_lshrrev_b32_e32 v11, 8, v16
	s_movk_i32 s4, 0x7f
	v_cmp_gt_i16_sdwa s[6:7], v11, s4 src0_sel:BYTE_0 src1_sel:DWORD
	s_mov_b64 s[4:5], 0
                                        ; implicit-def: $sgpr10
	s_and_saveexec_b64 s[8:9], s[6:7]
	s_xor_b64 s[6:7], exec, s[8:9]
	s_cbranch_execnz .LBB20_2377
; %bb.329:
	s_or_saveexec_b64 s[6:7], s[6:7]
	v_mov_b32_e32 v10, s10
	s_xor_b64 exec, exec, s[6:7]
	s_cbranch_execnz .LBB20_2380
.LBB20_330:
	s_or_b64 exec, exec, s[6:7]
	s_and_saveexec_b64 s[6:7], s[4:5]
	s_cbranch_execz .LBB20_332
.LBB20_331:
	v_bfe_u32 v10, v16, 8, 3
	v_ffbh_u32_e32 v15, v10
	v_min_u32_e32 v15, 32, v15
	v_lshrrev_b16_e32 v14, 3, v11
	v_subrev_u32_e32 v20, 28, v15
	v_and_b32_e32 v14, 15, v14
	v_lshlrev_b32_e32 v11, v20, v11
	v_sub_u32_e32 v15, 29, v15
	v_and_b32_e32 v11, 7, v11
	v_cmp_eq_u16_e32 vcc, 0, v14
	v_cndmask_b32_e32 v10, v10, v11, vcc
	v_cndmask_b32_e32 v11, v14, v15, vcc
	v_lshlrev_b32_e32 v14, 16, v16
	v_mov_b32_e32 v15, 0x3b800000
	v_lshlrev_b32_e32 v10, 20, v10
	v_and_b32_e32 v14, 0x80000000, v14
	v_lshl_add_u32 v11, v11, 23, v15
	v_or3_b32 v10, v14, v11, v10
.LBB20_332:
	s_or_b64 exec, exec, s[6:7]
	v_lshrrev_b32_e32 v11, 8, v12
	s_movk_i32 s4, 0x7f
	v_cmp_gt_i16_sdwa s[6:7], v11, s4 src0_sel:BYTE_0 src1_sel:DWORD
	s_mov_b64 s[4:5], 0
                                        ; implicit-def: $sgpr10
	s_and_saveexec_b64 s[8:9], s[6:7]
	s_xor_b64 s[6:7], exec, s[8:9]
	s_cbranch_execnz .LBB20_2381
; %bb.333:
	s_or_saveexec_b64 s[6:7], s[6:7]
	v_mov_b32_e32 v14, s10
	s_xor_b64 exec, exec, s[6:7]
	s_cbranch_execnz .LBB20_2384
.LBB20_334:
	s_or_b64 exec, exec, s[6:7]
	s_and_saveexec_b64 s[6:7], s[4:5]
	s_cbranch_execz .LBB20_336
.LBB20_335:
	v_bfe_u32 v14, v12, 8, 3
	v_ffbh_u32_e32 v20, v14
	v_min_u32_e32 v20, 32, v20
	v_lshrrev_b16_e32 v15, 3, v11
	v_subrev_u32_e32 v21, 28, v20
	v_and_b32_e32 v15, 15, v15
	v_lshlrev_b32_e32 v11, v21, v11
	v_sub_u32_e32 v20, 29, v20
	v_and_b32_e32 v11, 7, v11
	v_cmp_eq_u16_e32 vcc, 0, v15
	v_cndmask_b32_e32 v11, v14, v11, vcc
	v_cndmask_b32_e32 v14, v15, v20, vcc
	v_lshlrev_b32_e32 v15, 16, v12
	v_mov_b32_e32 v20, 0x3b800000
	v_lshlrev_b32_e32 v11, 20, v11
	v_and_b32_e32 v15, 0x80000000, v15
	v_lshl_add_u32 v14, v14, 23, v20
	v_or3_b32 v14, v15, v14, v11
.LBB20_336:
	s_or_b64 exec, exec, s[6:7]
	s_nop 0
	v_mfma_f32_16x16x4f32 a[0:3], v10, v14, a[0:3]
	s_movk_i32 s4, 0xff
	v_and_b32_sdwa v11, v16, s4 dst_sel:DWORD dst_unused:UNUSED_PAD src0_sel:WORD_1 src1_sel:DWORD
	s_movk_i32 s4, 0x7f
	v_cmp_lt_i16_e32 vcc, s4, v11
	s_mov_b64 s[4:5], 0
                                        ; implicit-def: $sgpr10
	s_and_saveexec_b64 s[6:7], vcc
	s_xor_b64 s[6:7], exec, s[6:7]
	s_cbranch_execnz .LBB20_2385
; %bb.337:
	s_or_saveexec_b64 s[6:7], s[6:7]
	v_mov_b32_e32 v10, s10
	s_xor_b64 exec, exec, s[6:7]
	s_cbranch_execnz .LBB20_2388
.LBB20_338:
	s_or_b64 exec, exec, s[6:7]
	s_and_saveexec_b64 s[6:7], s[4:5]
	s_cbranch_execz .LBB20_340
.LBB20_339:
	v_bfe_u32 v10, v16, 16, 3
	v_ffbh_u32_e32 v15, v10
	v_min_u32_e32 v15, 32, v15
	v_lshrrev_b32_e32 v11, 19, v16
	v_subrev_u32_e32 v20, 28, v15
	v_and_b32_e32 v11, 15, v11
	v_lshlrev_b32_sdwa v20, v20, v16 dst_sel:DWORD dst_unused:UNUSED_PAD src0_sel:DWORD src1_sel:WORD_1
	v_bfe_u32 v14, v16, 19, 4
	v_sub_u32_e32 v15, 29, v15
	v_and_b32_e32 v20, 7, v20
	v_cmp_eq_u16_e32 vcc, 0, v11
	v_cndmask_b32_e32 v10, v10, v20, vcc
	v_cndmask_b32_e32 v11, v14, v15, vcc
	v_lshlrev_b32_e32 v14, 8, v16
	v_mov_b32_e32 v15, 0x3b800000
	v_lshlrev_b32_e32 v10, 20, v10
	v_and_b32_e32 v14, 0x80000000, v14
	v_lshl_add_u32 v11, v11, 23, v15
	v_or3_b32 v10, v14, v11, v10
.LBB20_340:
	s_or_b64 exec, exec, s[6:7]
	s_movk_i32 s4, 0xff
	v_and_b32_sdwa v11, v12, s4 dst_sel:DWORD dst_unused:UNUSED_PAD src0_sel:WORD_1 src1_sel:DWORD
	s_movk_i32 s4, 0x7f
	v_cmp_lt_i16_e32 vcc, s4, v11
	s_mov_b64 s[4:5], 0
                                        ; implicit-def: $sgpr10
	s_and_saveexec_b64 s[6:7], vcc
	s_xor_b64 s[6:7], exec, s[6:7]
	s_cbranch_execnz .LBB20_2389
; %bb.341:
	s_or_saveexec_b64 s[6:7], s[6:7]
	v_mov_b32_e32 v14, s10
	s_xor_b64 exec, exec, s[6:7]
	s_cbranch_execnz .LBB20_2392
.LBB20_342:
	s_or_b64 exec, exec, s[6:7]
	s_and_saveexec_b64 s[6:7], s[4:5]
	s_cbranch_execz .LBB20_344
.LBB20_343:
	v_bfe_u32 v11, v12, 16, 3
	v_ffbh_u32_e32 v20, v11
	v_min_u32_e32 v20, 32, v20
	v_lshrrev_b32_e32 v14, 19, v12
	v_subrev_u32_e32 v21, 28, v20
	v_and_b32_e32 v14, 15, v14
	v_lshlrev_b32_sdwa v21, v21, v12 dst_sel:DWORD dst_unused:UNUSED_PAD src0_sel:DWORD src1_sel:WORD_1
	v_bfe_u32 v15, v12, 19, 4
	v_sub_u32_e32 v20, 29, v20
	v_and_b32_e32 v21, 7, v21
	v_cmp_eq_u16_e32 vcc, 0, v14
	v_cndmask_b32_e32 v11, v11, v21, vcc
	v_cndmask_b32_e32 v14, v15, v20, vcc
	v_lshlrev_b32_e32 v15, 8, v12
	v_mov_b32_e32 v20, 0x3b800000
	v_lshlrev_b32_e32 v11, 20, v11
	v_and_b32_e32 v15, 0x80000000, v15
	v_lshl_add_u32 v14, v14, 23, v20
	v_or3_b32 v14, v15, v14, v11
.LBB20_344:
	s_or_b64 exec, exec, s[6:7]
	s_nop 0
	v_mfma_f32_16x16x4f32 a[0:3], v10, v14, a[0:3]
	s_movk_i32 s4, 0x7f
	v_cmp_gt_i16_sdwa s[6:7], v16, s4 src0_sel:BYTE_3 src1_sel:DWORD
	s_mov_b64 s[4:5], 0
                                        ; implicit-def: $sgpr10
	s_and_saveexec_b64 s[8:9], s[6:7]
	s_xor_b64 s[6:7], exec, s[8:9]
	s_cbranch_execnz .LBB20_2393
; %bb.345:
	s_or_saveexec_b64 s[6:7], s[6:7]
	v_mov_b32_e32 v10, s10
	s_xor_b64 exec, exec, s[6:7]
	s_cbranch_execnz .LBB20_2396
.LBB20_346:
	s_or_b64 exec, exec, s[6:7]
	s_and_saveexec_b64 s[6:7], s[4:5]
	s_cbranch_execz .LBB20_348
.LBB20_347:
	v_bfe_u32 v10, v16, 24, 3
	v_ffbh_u32_e32 v20, v10
	v_min_u32_e32 v20, 32, v20
	v_lshrrev_b32_e32 v14, 27, v16
	v_subrev_u32_e32 v21, 28, v20
	v_and_b32_e32 v11, 0x80000000, v16
	v_and_b32_e32 v14, 15, v14
	v_bfe_u32 v15, v16, 27, 4
	v_lshlrev_b32_sdwa v16, v21, v16 dst_sel:DWORD dst_unused:UNUSED_PAD src0_sel:DWORD src1_sel:BYTE_3
	v_sub_u32_e32 v20, 29, v20
	v_and_b32_e32 v16, 7, v16
	v_cmp_eq_u16_e32 vcc, 0, v14
	v_cndmask_b32_e32 v10, v10, v16, vcc
	v_cndmask_b32_e32 v14, v15, v20, vcc
	v_mov_b32_e32 v15, 0x3b800000
	v_lshlrev_b32_e32 v10, 20, v10
	v_lshl_add_u32 v14, v14, 23, v15
	v_or3_b32 v10, v11, v14, v10
.LBB20_348:
	s_or_b64 exec, exec, s[6:7]
	s_movk_i32 s4, 0x7f
	v_cmp_gt_i16_sdwa s[6:7], v12, s4 src0_sel:BYTE_3 src1_sel:DWORD
	s_mov_b64 s[4:5], 0
                                        ; implicit-def: $sgpr10
	s_and_saveexec_b64 s[8:9], s[6:7]
	s_xor_b64 s[6:7], exec, s[8:9]
	s_cbranch_execnz .LBB20_2397
; %bb.349:
	s_or_saveexec_b64 s[6:7], s[6:7]
	v_mov_b32_e32 v11, s10
	s_xor_b64 exec, exec, s[6:7]
	s_cbranch_execnz .LBB20_2400
.LBB20_350:
	s_or_b64 exec, exec, s[6:7]
	s_and_saveexec_b64 s[6:7], s[4:5]
	s_cbranch_execz .LBB20_352
.LBB20_351:
	v_bfe_u32 v11, v12, 24, 3
	v_ffbh_u32_e32 v20, v11
	v_min_u32_e32 v20, 32, v20
	v_lshrrev_b32_e32 v15, 27, v12
	v_subrev_u32_e32 v21, 28, v20
	v_and_b32_e32 v14, 0x80000000, v12
	v_and_b32_e32 v15, 15, v15
	v_bfe_u32 v16, v12, 27, 4
	v_lshlrev_b32_sdwa v12, v21, v12 dst_sel:DWORD dst_unused:UNUSED_PAD src0_sel:DWORD src1_sel:BYTE_3
	v_sub_u32_e32 v20, 29, v20
	v_and_b32_e32 v12, 7, v12
	v_cmp_eq_u16_e32 vcc, 0, v15
	v_cndmask_b32_e32 v11, v11, v12, vcc
	v_cndmask_b32_e32 v12, v16, v20, vcc
	v_mov_b32_e32 v15, 0x3b800000
	v_lshlrev_b32_e32 v11, 20, v11
	v_lshl_add_u32 v12, v12, 23, v15
	v_or3_b32 v11, v14, v12, v11
.LBB20_352:
	s_or_b64 exec, exec, s[6:7]
	s_nop 0
	v_mfma_f32_16x16x4f32 a[0:3], v10, v11, a[0:3]
	s_movk_i32 s4, 0x7f
	v_cmp_gt_i16_sdwa s[6:7], v17, s4 src0_sel:BYTE_0 src1_sel:DWORD
	s_mov_b64 s[4:5], 0
                                        ; implicit-def: $sgpr10
	s_and_saveexec_b64 s[8:9], s[6:7]
	s_xor_b64 s[6:7], exec, s[8:9]
	s_cbranch_execnz .LBB20_2401
; %bb.353:
	s_or_saveexec_b64 s[6:7], s[6:7]
	v_mov_b32_e32 v10, s10
	s_xor_b64 exec, exec, s[6:7]
	s_cbranch_execnz .LBB20_2404
.LBB20_354:
	s_or_b64 exec, exec, s[6:7]
	s_and_saveexec_b64 s[6:7], s[4:5]
	s_cbranch_execz .LBB20_356
.LBB20_355:
	v_and_b32_e32 v10, 7, v17
	v_ffbh_u32_e32 v12, v10
	v_min_u32_e32 v12, 32, v12
	v_lshrrev_b16_e32 v11, 3, v17
	v_subrev_u32_e32 v14, 28, v12
	v_and_b32_e32 v11, 15, v11
	v_lshlrev_b32_e32 v14, v14, v17
	v_sub_u32_e32 v12, 29, v12
	v_and_b32_e32 v14, 7, v14
	v_cmp_eq_u16_e32 vcc, 0, v11
	v_cndmask_b32_e32 v10, v10, v14, vcc
	v_cndmask_b32_e32 v11, v11, v12, vcc
	v_lshlrev_b32_e32 v12, 24, v17
	v_mov_b32_e32 v14, 0x3b800000
	v_lshlrev_b32_e32 v10, 20, v10
	v_and_b32_e32 v12, 0x80000000, v12
	v_lshl_add_u32 v11, v11, 23, v14
	v_or3_b32 v10, v12, v11, v10
.LBB20_356:
	s_or_b64 exec, exec, s[6:7]
	s_movk_i32 s4, 0x7f
	v_cmp_gt_i16_sdwa s[6:7], v13, s4 src0_sel:BYTE_0 src1_sel:DWORD
	s_mov_b64 s[4:5], 0
                                        ; implicit-def: $sgpr10
	s_and_saveexec_b64 s[8:9], s[6:7]
	s_xor_b64 s[6:7], exec, s[8:9]
	s_cbranch_execnz .LBB20_2405
; %bb.357:
	s_or_saveexec_b64 s[6:7], s[6:7]
	v_mov_b32_e32 v11, s10
	s_xor_b64 exec, exec, s[6:7]
	s_cbranch_execnz .LBB20_2408
.LBB20_358:
	s_or_b64 exec, exec, s[6:7]
	s_and_saveexec_b64 s[6:7], s[4:5]
	s_cbranch_execz .LBB20_360
.LBB20_359:
	v_and_b32_e32 v11, 7, v13
	v_ffbh_u32_e32 v14, v11
	v_min_u32_e32 v14, 32, v14
	v_lshrrev_b16_e32 v12, 3, v13
	v_subrev_u32_e32 v15, 28, v14
	v_and_b32_e32 v12, 15, v12
	v_lshlrev_b32_e32 v15, v15, v13
	v_sub_u32_e32 v14, 29, v14
	v_and_b32_e32 v15, 7, v15
	v_cmp_eq_u16_e32 vcc, 0, v12
	v_cndmask_b32_e32 v11, v11, v15, vcc
	v_cndmask_b32_e32 v12, v12, v14, vcc
	v_lshlrev_b32_e32 v14, 24, v13
	v_mov_b32_e32 v15, 0x3b800000
	v_lshlrev_b32_e32 v11, 20, v11
	v_and_b32_e32 v14, 0x80000000, v14
	v_lshl_add_u32 v12, v12, 23, v15
	v_or3_b32 v11, v14, v12, v11
.LBB20_360:
	s_or_b64 exec, exec, s[6:7]
	s_nop 0
	v_mfma_f32_16x16x4f32 a[0:3], v10, v11, a[0:3]
	v_lshrrev_b32_e32 v11, 8, v17
	s_movk_i32 s4, 0x7f
	v_cmp_gt_i16_sdwa s[6:7], v11, s4 src0_sel:BYTE_0 src1_sel:DWORD
	s_mov_b64 s[4:5], 0
                                        ; implicit-def: $sgpr10
	s_and_saveexec_b64 s[8:9], s[6:7]
	s_xor_b64 s[6:7], exec, s[8:9]
	s_cbranch_execnz .LBB20_2409
; %bb.361:
	s_or_saveexec_b64 s[6:7], s[6:7]
	v_mov_b32_e32 v10, s10
	s_xor_b64 exec, exec, s[6:7]
	s_cbranch_execnz .LBB20_2412
.LBB20_362:
	s_or_b64 exec, exec, s[6:7]
	s_and_saveexec_b64 s[6:7], s[4:5]
	s_cbranch_execz .LBB20_364
.LBB20_363:
	v_bfe_u32 v10, v17, 8, 3
	v_ffbh_u32_e32 v14, v10
	v_min_u32_e32 v14, 32, v14
	v_lshrrev_b16_e32 v12, 3, v11
	v_subrev_u32_e32 v15, 28, v14
	v_and_b32_e32 v12, 15, v12
	v_lshlrev_b32_e32 v11, v15, v11
	v_sub_u32_e32 v14, 29, v14
	v_and_b32_e32 v11, 7, v11
	v_cmp_eq_u16_e32 vcc, 0, v12
	v_cndmask_b32_e32 v10, v10, v11, vcc
	v_cndmask_b32_e32 v11, v12, v14, vcc
	v_lshlrev_b32_e32 v12, 16, v17
	v_mov_b32_e32 v14, 0x3b800000
	v_lshlrev_b32_e32 v10, 20, v10
	v_and_b32_e32 v12, 0x80000000, v12
	v_lshl_add_u32 v11, v11, 23, v14
	v_or3_b32 v10, v12, v11, v10
.LBB20_364:
	s_or_b64 exec, exec, s[6:7]
	v_lshrrev_b32_e32 v11, 8, v13
	s_movk_i32 s4, 0x7f
	v_cmp_gt_i16_sdwa s[6:7], v11, s4 src0_sel:BYTE_0 src1_sel:DWORD
	s_mov_b64 s[4:5], 0
                                        ; implicit-def: $sgpr10
	s_and_saveexec_b64 s[8:9], s[6:7]
	s_xor_b64 s[6:7], exec, s[8:9]
	s_cbranch_execnz .LBB20_2413
; %bb.365:
	s_or_saveexec_b64 s[6:7], s[6:7]
	v_mov_b32_e32 v12, s10
	s_xor_b64 exec, exec, s[6:7]
	s_cbranch_execnz .LBB20_2416
.LBB20_366:
	s_or_b64 exec, exec, s[6:7]
	s_and_saveexec_b64 s[6:7], s[4:5]
	s_cbranch_execz .LBB20_368
.LBB20_367:
	v_bfe_u32 v12, v13, 8, 3
	v_ffbh_u32_e32 v15, v12
	v_min_u32_e32 v15, 32, v15
	v_lshrrev_b16_e32 v14, 3, v11
	v_subrev_u32_e32 v16, 28, v15
	v_and_b32_e32 v14, 15, v14
	v_lshlrev_b32_e32 v11, v16, v11
	v_sub_u32_e32 v15, 29, v15
	v_and_b32_e32 v11, 7, v11
	v_cmp_eq_u16_e32 vcc, 0, v14
	v_cndmask_b32_e32 v11, v12, v11, vcc
	v_cndmask_b32_e32 v12, v14, v15, vcc
	v_lshlrev_b32_e32 v14, 16, v13
	v_mov_b32_e32 v15, 0x3b800000
	v_lshlrev_b32_e32 v11, 20, v11
	v_and_b32_e32 v14, 0x80000000, v14
	v_lshl_add_u32 v12, v12, 23, v15
	v_or3_b32 v12, v14, v12, v11
.LBB20_368:
	s_or_b64 exec, exec, s[6:7]
	s_nop 0
	v_mfma_f32_16x16x4f32 a[0:3], v10, v12, a[0:3]
	s_movk_i32 s4, 0xff
	v_and_b32_sdwa v11, v17, s4 dst_sel:DWORD dst_unused:UNUSED_PAD src0_sel:WORD_1 src1_sel:DWORD
	s_movk_i32 s4, 0x7f
	v_cmp_lt_i16_e32 vcc, s4, v11
	s_mov_b64 s[4:5], 0
                                        ; implicit-def: $sgpr10
	s_and_saveexec_b64 s[6:7], vcc
	s_xor_b64 s[6:7], exec, s[6:7]
	s_cbranch_execnz .LBB20_2417
; %bb.369:
	s_or_saveexec_b64 s[6:7], s[6:7]
	v_mov_b32_e32 v10, s10
	s_xor_b64 exec, exec, s[6:7]
	s_cbranch_execnz .LBB20_2420
.LBB20_370:
	s_or_b64 exec, exec, s[6:7]
	s_and_saveexec_b64 s[6:7], s[4:5]
	s_cbranch_execz .LBB20_372
.LBB20_371:
	v_bfe_u32 v10, v17, 16, 3
	v_ffbh_u32_e32 v14, v10
	v_min_u32_e32 v14, 32, v14
	v_lshrrev_b32_e32 v11, 19, v17
	v_subrev_u32_e32 v15, 28, v14
	v_and_b32_e32 v11, 15, v11
	v_lshlrev_b32_sdwa v15, v15, v17 dst_sel:DWORD dst_unused:UNUSED_PAD src0_sel:DWORD src1_sel:WORD_1
	v_bfe_u32 v12, v17, 19, 4
	v_sub_u32_e32 v14, 29, v14
	v_and_b32_e32 v15, 7, v15
	v_cmp_eq_u16_e32 vcc, 0, v11
	v_cndmask_b32_e32 v10, v10, v15, vcc
	v_cndmask_b32_e32 v11, v12, v14, vcc
	v_lshlrev_b32_e32 v12, 8, v17
	v_mov_b32_e32 v14, 0x3b800000
	v_lshlrev_b32_e32 v10, 20, v10
	v_and_b32_e32 v12, 0x80000000, v12
	v_lshl_add_u32 v11, v11, 23, v14
	v_or3_b32 v10, v12, v11, v10
.LBB20_372:
	s_or_b64 exec, exec, s[6:7]
	s_movk_i32 s4, 0xff
	v_and_b32_sdwa v11, v13, s4 dst_sel:DWORD dst_unused:UNUSED_PAD src0_sel:WORD_1 src1_sel:DWORD
	s_movk_i32 s4, 0x7f
	v_cmp_lt_i16_e32 vcc, s4, v11
	s_mov_b64 s[4:5], 0
                                        ; implicit-def: $sgpr10
	s_and_saveexec_b64 s[6:7], vcc
	s_xor_b64 s[6:7], exec, s[6:7]
	s_cbranch_execnz .LBB20_2421
; %bb.373:
	s_or_saveexec_b64 s[6:7], s[6:7]
	v_mov_b32_e32 v12, s10
	s_xor_b64 exec, exec, s[6:7]
	s_cbranch_execnz .LBB20_2424
.LBB20_374:
	s_or_b64 exec, exec, s[6:7]
	s_and_saveexec_b64 s[6:7], s[4:5]
	s_cbranch_execz .LBB20_376
.LBB20_375:
	v_bfe_u32 v11, v13, 16, 3
	v_ffbh_u32_e32 v15, v11
	v_min_u32_e32 v15, 32, v15
	v_lshrrev_b32_e32 v12, 19, v13
	v_subrev_u32_e32 v16, 28, v15
	v_and_b32_e32 v12, 15, v12
	v_lshlrev_b32_sdwa v16, v16, v13 dst_sel:DWORD dst_unused:UNUSED_PAD src0_sel:DWORD src1_sel:WORD_1
	v_bfe_u32 v14, v13, 19, 4
	v_sub_u32_e32 v15, 29, v15
	v_and_b32_e32 v16, 7, v16
	v_cmp_eq_u16_e32 vcc, 0, v12
	v_cndmask_b32_e32 v11, v11, v16, vcc
	v_cndmask_b32_e32 v12, v14, v15, vcc
	v_lshlrev_b32_e32 v14, 8, v13
	v_mov_b32_e32 v15, 0x3b800000
	v_lshlrev_b32_e32 v11, 20, v11
	v_and_b32_e32 v14, 0x80000000, v14
	v_lshl_add_u32 v12, v12, 23, v15
	v_or3_b32 v12, v14, v12, v11
.LBB20_376:
	s_or_b64 exec, exec, s[6:7]
	s_nop 0
	v_mfma_f32_16x16x4f32 a[0:3], v10, v12, a[0:3]
	s_movk_i32 s4, 0x7f
	v_cmp_gt_i16_sdwa s[6:7], v17, s4 src0_sel:BYTE_3 src1_sel:DWORD
	s_mov_b64 s[4:5], 0
                                        ; implicit-def: $sgpr10
	s_and_saveexec_b64 s[8:9], s[6:7]
	s_xor_b64 s[6:7], exec, s[8:9]
	s_cbranch_execnz .LBB20_2425
; %bb.377:
	s_or_saveexec_b64 s[6:7], s[6:7]
	v_mov_b32_e32 v10, s10
	s_xor_b64 exec, exec, s[6:7]
	s_cbranch_execnz .LBB20_2428
.LBB20_378:
	s_or_b64 exec, exec, s[6:7]
	s_and_saveexec_b64 s[6:7], s[4:5]
	s_cbranch_execz .LBB20_380
.LBB20_379:
	v_bfe_u32 v10, v17, 24, 3
	v_ffbh_u32_e32 v15, v10
	v_min_u32_e32 v15, 32, v15
	v_lshrrev_b32_e32 v12, 27, v17
	v_subrev_u32_e32 v16, 28, v15
	v_and_b32_e32 v12, 15, v12
	v_lshlrev_b32_sdwa v16, v16, v17 dst_sel:DWORD dst_unused:UNUSED_PAD src0_sel:DWORD src1_sel:BYTE_3
	v_bfe_u32 v14, v17, 27, 4
	v_sub_u32_e32 v15, 29, v15
	v_and_b32_e32 v16, 7, v16
	v_cmp_eq_u16_e32 vcc, 0, v12
	v_cndmask_b32_e32 v10, v10, v16, vcc
	v_cndmask_b32_e32 v12, v14, v15, vcc
	v_mov_b32_e32 v14, 0x3b800000
	v_and_b32_e32 v11, 0x80000000, v17
	v_lshlrev_b32_e32 v10, 20, v10
	v_lshl_add_u32 v12, v12, 23, v14
	v_or3_b32 v10, v11, v12, v10
.LBB20_380:
	s_or_b64 exec, exec, s[6:7]
	s_movk_i32 s4, 0x7f
	v_cmp_gt_i16_sdwa s[6:7], v13, s4 src0_sel:BYTE_3 src1_sel:DWORD
	s_mov_b64 s[4:5], 0
                                        ; implicit-def: $sgpr10
	s_and_saveexec_b64 s[8:9], s[6:7]
	s_xor_b64 s[6:7], exec, s[8:9]
	s_cbranch_execnz .LBB20_2429
; %bb.381:
	s_or_saveexec_b64 s[6:7], s[6:7]
	v_mov_b32_e32 v11, s10
	s_xor_b64 exec, exec, s[6:7]
	s_cbranch_execnz .LBB20_2432
.LBB20_382:
	s_or_b64 exec, exec, s[6:7]
	s_and_saveexec_b64 s[6:7], s[4:5]
	s_cbranch_execz .LBB20_384
.LBB20_383:
	v_bfe_u32 v11, v13, 24, 3
	v_ffbh_u32_e32 v16, v11
	v_min_u32_e32 v16, 32, v16
	v_lshrrev_b32_e32 v14, 27, v13
	v_subrev_u32_e32 v17, 28, v16
	v_and_b32_e32 v12, 0x80000000, v13
	v_and_b32_e32 v14, 15, v14
	v_bfe_u32 v15, v13, 27, 4
	v_lshlrev_b32_sdwa v13, v17, v13 dst_sel:DWORD dst_unused:UNUSED_PAD src0_sel:DWORD src1_sel:BYTE_3
	v_sub_u32_e32 v16, 29, v16
	v_and_b32_e32 v13, 7, v13
	v_cmp_eq_u16_e32 vcc, 0, v14
	v_cndmask_b32_e32 v11, v11, v13, vcc
	v_cndmask_b32_e32 v13, v15, v16, vcc
	v_mov_b32_e32 v14, 0x3b800000
	v_lshlrev_b32_e32 v11, 20, v11
	v_lshl_add_u32 v13, v13, 23, v14
	v_or3_b32 v11, v12, v13, v11
.LBB20_384:
	s_or_b64 exec, exec, s[6:7]
	s_nop 0
	v_mfma_f32_16x16x4f32 a[0:3], v10, v11, a[0:3]
	s_movk_i32 s4, 0x7f
	v_cmp_gt_i16_sdwa s[6:7], v6, s4 src0_sel:BYTE_0 src1_sel:DWORD
	s_mov_b64 s[4:5], 0
                                        ; implicit-def: $sgpr10
	s_and_saveexec_b64 s[8:9], s[6:7]
	s_xor_b64 s[6:7], exec, s[8:9]
	s_cbranch_execnz .LBB20_2433
; %bb.385:
	s_or_saveexec_b64 s[6:7], s[6:7]
	v_mov_b32_e32 v10, s10
	s_xor_b64 exec, exec, s[6:7]
	s_cbranch_execnz .LBB20_2436
.LBB20_386:
	s_or_b64 exec, exec, s[6:7]
	s_and_saveexec_b64 s[6:7], s[4:5]
	s_cbranch_execz .LBB20_388
.LBB20_387:
	v_and_b32_e32 v10, 7, v6
	v_ffbh_u32_e32 v12, v10
	v_min_u32_e32 v12, 32, v12
	v_lshrrev_b16_e32 v11, 3, v6
	v_subrev_u32_e32 v13, 28, v12
	v_and_b32_e32 v11, 15, v11
	v_lshlrev_b32_e32 v13, v13, v6
	v_sub_u32_e32 v12, 29, v12
	v_and_b32_e32 v13, 7, v13
	v_cmp_eq_u16_e32 vcc, 0, v11
	v_cndmask_b32_e32 v10, v10, v13, vcc
	v_cndmask_b32_e32 v11, v11, v12, vcc
	v_lshlrev_b32_e32 v12, 24, v6
	v_mov_b32_e32 v13, 0x3b800000
	v_lshlrev_b32_e32 v10, 20, v10
	v_and_b32_e32 v12, 0x80000000, v12
	v_lshl_add_u32 v11, v11, 23, v13
	v_or3_b32 v10, v12, v11, v10
.LBB20_388:
	s_or_b64 exec, exec, s[6:7]
	s_movk_i32 s4, 0x7f
	v_cmp_gt_i16_sdwa s[6:7], v2, s4 src0_sel:BYTE_0 src1_sel:DWORD
	s_mov_b64 s[4:5], 0
                                        ; implicit-def: $sgpr10
	s_and_saveexec_b64 s[8:9], s[6:7]
	s_xor_b64 s[6:7], exec, s[8:9]
	s_cbranch_execnz .LBB20_2437
; %bb.389:
	s_or_saveexec_b64 s[6:7], s[6:7]
	v_mov_b32_e32 v11, s10
	s_xor_b64 exec, exec, s[6:7]
	s_cbranch_execnz .LBB20_2440
.LBB20_390:
	s_or_b64 exec, exec, s[6:7]
	s_and_saveexec_b64 s[6:7], s[4:5]
	s_cbranch_execz .LBB20_392
.LBB20_391:
	v_and_b32_e32 v11, 7, v2
	v_ffbh_u32_e32 v13, v11
	v_min_u32_e32 v13, 32, v13
	v_lshrrev_b16_e32 v12, 3, v2
	v_subrev_u32_e32 v14, 28, v13
	v_and_b32_e32 v12, 15, v12
	v_lshlrev_b32_e32 v14, v14, v2
	v_sub_u32_e32 v13, 29, v13
	v_and_b32_e32 v14, 7, v14
	v_cmp_eq_u16_e32 vcc, 0, v12
	v_cndmask_b32_e32 v11, v11, v14, vcc
	v_cndmask_b32_e32 v12, v12, v13, vcc
	v_lshlrev_b32_e32 v13, 24, v2
	v_mov_b32_e32 v14, 0x3b800000
	v_lshlrev_b32_e32 v11, 20, v11
	v_and_b32_e32 v13, 0x80000000, v13
	v_lshl_add_u32 v12, v12, 23, v14
	v_or3_b32 v11, v13, v12, v11
.LBB20_392:
	s_or_b64 exec, exec, s[6:7]
	s_nop 0
	v_mfma_f32_16x16x4f32 a[0:3], v10, v11, a[0:3]
	v_lshrrev_b32_e32 v11, 8, v6
	s_movk_i32 s4, 0x7f
	v_cmp_gt_i16_sdwa s[6:7], v11, s4 src0_sel:BYTE_0 src1_sel:DWORD
	s_mov_b64 s[4:5], 0
                                        ; implicit-def: $sgpr10
	s_and_saveexec_b64 s[8:9], s[6:7]
	s_xor_b64 s[6:7], exec, s[8:9]
	s_cbranch_execnz .LBB20_2441
; %bb.393:
	s_or_saveexec_b64 s[6:7], s[6:7]
	v_mov_b32_e32 v10, s10
	s_xor_b64 exec, exec, s[6:7]
	s_cbranch_execnz .LBB20_2444
.LBB20_394:
	s_or_b64 exec, exec, s[6:7]
	s_and_saveexec_b64 s[6:7], s[4:5]
	s_cbranch_execz .LBB20_396
.LBB20_395:
	v_bfe_u32 v10, v6, 8, 3
	v_ffbh_u32_e32 v13, v10
	v_min_u32_e32 v13, 32, v13
	v_lshrrev_b16_e32 v12, 3, v11
	v_subrev_u32_e32 v14, 28, v13
	v_and_b32_e32 v12, 15, v12
	v_lshlrev_b32_e32 v11, v14, v11
	v_sub_u32_e32 v13, 29, v13
	v_and_b32_e32 v11, 7, v11
	v_cmp_eq_u16_e32 vcc, 0, v12
	v_cndmask_b32_e32 v10, v10, v11, vcc
	v_cndmask_b32_e32 v11, v12, v13, vcc
	v_lshlrev_b32_e32 v12, 16, v6
	v_mov_b32_e32 v13, 0x3b800000
	v_lshlrev_b32_e32 v10, 20, v10
	v_and_b32_e32 v12, 0x80000000, v12
	v_lshl_add_u32 v11, v11, 23, v13
	v_or3_b32 v10, v12, v11, v10
.LBB20_396:
	s_or_b64 exec, exec, s[6:7]
	v_lshrrev_b32_e32 v11, 8, v2
	s_movk_i32 s4, 0x7f
	v_cmp_gt_i16_sdwa s[6:7], v11, s4 src0_sel:BYTE_0 src1_sel:DWORD
	s_mov_b64 s[4:5], 0
                                        ; implicit-def: $sgpr10
	s_and_saveexec_b64 s[8:9], s[6:7]
	s_xor_b64 s[6:7], exec, s[8:9]
	s_cbranch_execnz .LBB20_2445
; %bb.397:
	s_or_saveexec_b64 s[6:7], s[6:7]
	v_mov_b32_e32 v12, s10
	s_xor_b64 exec, exec, s[6:7]
	s_cbranch_execnz .LBB20_2448
.LBB20_398:
	s_or_b64 exec, exec, s[6:7]
	s_and_saveexec_b64 s[6:7], s[4:5]
	s_cbranch_execz .LBB20_400
.LBB20_399:
	v_bfe_u32 v12, v2, 8, 3
	v_ffbh_u32_e32 v14, v12
	v_min_u32_e32 v14, 32, v14
	v_lshrrev_b16_e32 v13, 3, v11
	v_subrev_u32_e32 v15, 28, v14
	v_and_b32_e32 v13, 15, v13
	v_lshlrev_b32_e32 v11, v15, v11
	v_sub_u32_e32 v14, 29, v14
	v_and_b32_e32 v11, 7, v11
	v_cmp_eq_u16_e32 vcc, 0, v13
	v_cndmask_b32_e32 v11, v12, v11, vcc
	v_cndmask_b32_e32 v12, v13, v14, vcc
	v_lshlrev_b32_e32 v13, 16, v2
	v_mov_b32_e32 v14, 0x3b800000
	v_lshlrev_b32_e32 v11, 20, v11
	v_and_b32_e32 v13, 0x80000000, v13
	v_lshl_add_u32 v12, v12, 23, v14
	v_or3_b32 v12, v13, v12, v11
.LBB20_400:
	s_or_b64 exec, exec, s[6:7]
	s_nop 0
	v_mfma_f32_16x16x4f32 a[0:3], v10, v12, a[0:3]
	s_movk_i32 s4, 0xff
	v_and_b32_sdwa v11, v6, s4 dst_sel:DWORD dst_unused:UNUSED_PAD src0_sel:WORD_1 src1_sel:DWORD
	s_movk_i32 s4, 0x7f
	v_cmp_lt_i16_e32 vcc, s4, v11
	s_mov_b64 s[4:5], 0
                                        ; implicit-def: $sgpr10
	s_and_saveexec_b64 s[6:7], vcc
	s_xor_b64 s[6:7], exec, s[6:7]
	s_cbranch_execnz .LBB20_2449
; %bb.401:
	s_or_saveexec_b64 s[6:7], s[6:7]
	v_mov_b32_e32 v10, s10
	s_xor_b64 exec, exec, s[6:7]
	s_cbranch_execnz .LBB20_2452
.LBB20_402:
	s_or_b64 exec, exec, s[6:7]
	s_and_saveexec_b64 s[6:7], s[4:5]
	s_cbranch_execz .LBB20_404
.LBB20_403:
	v_bfe_u32 v10, v6, 16, 3
	v_ffbh_u32_e32 v13, v10
	v_min_u32_e32 v13, 32, v13
	v_lshrrev_b32_e32 v11, 19, v6
	v_subrev_u32_e32 v14, 28, v13
	v_and_b32_e32 v11, 15, v11
	v_lshlrev_b32_sdwa v14, v14, v6 dst_sel:DWORD dst_unused:UNUSED_PAD src0_sel:DWORD src1_sel:WORD_1
	v_bfe_u32 v12, v6, 19, 4
	v_sub_u32_e32 v13, 29, v13
	v_and_b32_e32 v14, 7, v14
	v_cmp_eq_u16_e32 vcc, 0, v11
	v_cndmask_b32_e32 v10, v10, v14, vcc
	v_cndmask_b32_e32 v11, v12, v13, vcc
	v_lshlrev_b32_e32 v12, 8, v6
	v_mov_b32_e32 v13, 0x3b800000
	v_lshlrev_b32_e32 v10, 20, v10
	v_and_b32_e32 v12, 0x80000000, v12
	v_lshl_add_u32 v11, v11, 23, v13
	v_or3_b32 v10, v12, v11, v10
.LBB20_404:
	s_or_b64 exec, exec, s[6:7]
	s_movk_i32 s4, 0xff
	v_and_b32_sdwa v11, v2, s4 dst_sel:DWORD dst_unused:UNUSED_PAD src0_sel:WORD_1 src1_sel:DWORD
	s_movk_i32 s4, 0x7f
	v_cmp_lt_i16_e32 vcc, s4, v11
	s_mov_b64 s[4:5], 0
                                        ; implicit-def: $sgpr10
	s_and_saveexec_b64 s[6:7], vcc
	s_xor_b64 s[6:7], exec, s[6:7]
	s_cbranch_execnz .LBB20_2453
; %bb.405:
	s_or_saveexec_b64 s[6:7], s[6:7]
	v_mov_b32_e32 v12, s10
	s_xor_b64 exec, exec, s[6:7]
	s_cbranch_execnz .LBB20_2456
.LBB20_406:
	s_or_b64 exec, exec, s[6:7]
	s_and_saveexec_b64 s[6:7], s[4:5]
	s_cbranch_execz .LBB20_408
.LBB20_407:
	v_bfe_u32 v11, v2, 16, 3
	v_ffbh_u32_e32 v14, v11
	v_min_u32_e32 v14, 32, v14
	v_lshrrev_b32_e32 v12, 19, v2
	v_subrev_u32_e32 v15, 28, v14
	v_and_b32_e32 v12, 15, v12
	v_lshlrev_b32_sdwa v15, v15, v2 dst_sel:DWORD dst_unused:UNUSED_PAD src0_sel:DWORD src1_sel:WORD_1
	v_bfe_u32 v13, v2, 19, 4
	v_sub_u32_e32 v14, 29, v14
	v_and_b32_e32 v15, 7, v15
	v_cmp_eq_u16_e32 vcc, 0, v12
	v_cndmask_b32_e32 v11, v11, v15, vcc
	v_cndmask_b32_e32 v12, v13, v14, vcc
	v_lshlrev_b32_e32 v13, 8, v2
	v_mov_b32_e32 v14, 0x3b800000
	v_lshlrev_b32_e32 v11, 20, v11
	v_and_b32_e32 v13, 0x80000000, v13
	v_lshl_add_u32 v12, v12, 23, v14
	v_or3_b32 v12, v13, v12, v11
.LBB20_408:
	s_or_b64 exec, exec, s[6:7]
	s_nop 0
	v_mfma_f32_16x16x4f32 a[0:3], v10, v12, a[0:3]
	s_movk_i32 s4, 0x7f
	v_cmp_gt_i16_sdwa s[6:7], v6, s4 src0_sel:BYTE_3 src1_sel:DWORD
	s_mov_b64 s[4:5], 0
                                        ; implicit-def: $sgpr10
	s_and_saveexec_b64 s[8:9], s[6:7]
	s_xor_b64 s[6:7], exec, s[8:9]
	s_cbranch_execnz .LBB20_2457
; %bb.409:
	s_or_saveexec_b64 s[6:7], s[6:7]
	v_mov_b32_e32 v10, s10
	s_xor_b64 exec, exec, s[6:7]
	s_cbranch_execnz .LBB20_2460
.LBB20_410:
	s_or_b64 exec, exec, s[6:7]
	s_and_saveexec_b64 s[6:7], s[4:5]
	s_cbranch_execz .LBB20_412
.LBB20_411:
	v_bfe_u32 v10, v6, 24, 3
	v_ffbh_u32_e32 v14, v10
	v_min_u32_e32 v14, 32, v14
	v_lshrrev_b32_e32 v12, 27, v6
	v_subrev_u32_e32 v15, 28, v14
	v_and_b32_e32 v11, 0x80000000, v6
	v_and_b32_e32 v12, 15, v12
	v_bfe_u32 v13, v6, 27, 4
	v_lshlrev_b32_sdwa v6, v15, v6 dst_sel:DWORD dst_unused:UNUSED_PAD src0_sel:DWORD src1_sel:BYTE_3
	v_sub_u32_e32 v14, 29, v14
	v_and_b32_e32 v6, 7, v6
	v_cmp_eq_u16_e32 vcc, 0, v12
	v_cndmask_b32_e32 v6, v10, v6, vcc
	v_cndmask_b32_e32 v10, v13, v14, vcc
	v_mov_b32_e32 v12, 0x3b800000
	v_lshlrev_b32_e32 v6, 20, v6
	v_lshl_add_u32 v10, v10, 23, v12
	v_or3_b32 v10, v11, v10, v6
.LBB20_412:
	s_or_b64 exec, exec, s[6:7]
	s_movk_i32 s4, 0x7f
	v_cmp_gt_i16_sdwa s[6:7], v2, s4 src0_sel:BYTE_3 src1_sel:DWORD
	s_mov_b64 s[4:5], 0
                                        ; implicit-def: $sgpr10
	s_and_saveexec_b64 s[8:9], s[6:7]
	s_xor_b64 s[6:7], exec, s[8:9]
	s_cbranch_execnz .LBB20_2461
; %bb.413:
	s_or_saveexec_b64 s[6:7], s[6:7]
	v_mov_b32_e32 v6, s10
	s_xor_b64 exec, exec, s[6:7]
	s_cbranch_execnz .LBB20_2464
.LBB20_414:
	s_or_b64 exec, exec, s[6:7]
	s_and_saveexec_b64 s[6:7], s[4:5]
	s_cbranch_execz .LBB20_416
.LBB20_415:
	v_bfe_u32 v6, v2, 24, 3
	v_ffbh_u32_e32 v14, v6
	v_min_u32_e32 v14, 32, v14
	v_lshrrev_b32_e32 v12, 27, v2
	v_subrev_u32_e32 v15, 28, v14
	v_and_b32_e32 v11, 0x80000000, v2
	v_and_b32_e32 v12, 15, v12
	v_bfe_u32 v13, v2, 27, 4
	v_lshlrev_b32_sdwa v2, v15, v2 dst_sel:DWORD dst_unused:UNUSED_PAD src0_sel:DWORD src1_sel:BYTE_3
	v_sub_u32_e32 v14, 29, v14
	v_and_b32_e32 v2, 7, v2
	v_cmp_eq_u16_e32 vcc, 0, v12
	v_cndmask_b32_e32 v2, v6, v2, vcc
	v_cndmask_b32_e32 v6, v13, v14, vcc
	v_mov_b32_e32 v12, 0x3b800000
	v_lshlrev_b32_e32 v2, 20, v2
	v_lshl_add_u32 v6, v6, 23, v12
	v_or3_b32 v6, v11, v6, v2
.LBB20_416:
	s_or_b64 exec, exec, s[6:7]
	s_nop 0
	v_mfma_f32_16x16x4f32 a[0:3], v10, v6, a[0:3]
	s_movk_i32 s4, 0x7f
	v_cmp_gt_i16_sdwa s[6:7], v7, s4 src0_sel:BYTE_0 src1_sel:DWORD
	s_mov_b64 s[4:5], 0
                                        ; implicit-def: $sgpr10
	s_and_saveexec_b64 s[8:9], s[6:7]
	s_xor_b64 s[6:7], exec, s[8:9]
	s_cbranch_execnz .LBB20_2465
; %bb.417:
	s_or_saveexec_b64 s[6:7], s[6:7]
	v_mov_b32_e32 v2, s10
	s_xor_b64 exec, exec, s[6:7]
	s_cbranch_execnz .LBB20_2468
.LBB20_418:
	s_or_b64 exec, exec, s[6:7]
	s_and_saveexec_b64 s[6:7], s[4:5]
	s_cbranch_execz .LBB20_420
.LBB20_419:
	v_and_b32_e32 v2, 7, v7
	v_ffbh_u32_e32 v10, v2
	v_min_u32_e32 v10, 32, v10
	v_lshrrev_b16_e32 v6, 3, v7
	v_subrev_u32_e32 v11, 28, v10
	v_and_b32_e32 v6, 15, v6
	v_lshlrev_b32_e32 v11, v11, v7
	v_sub_u32_e32 v10, 29, v10
	v_and_b32_e32 v11, 7, v11
	v_cmp_eq_u16_e32 vcc, 0, v6
	v_cndmask_b32_e32 v2, v2, v11, vcc
	v_cndmask_b32_e32 v6, v6, v10, vcc
	v_lshlrev_b32_e32 v10, 24, v7
	v_mov_b32_e32 v11, 0x3b800000
	v_lshlrev_b32_e32 v2, 20, v2
	v_and_b32_e32 v10, 0x80000000, v10
	v_lshl_add_u32 v6, v6, 23, v11
	v_or3_b32 v2, v10, v6, v2
.LBB20_420:
	s_or_b64 exec, exec, s[6:7]
	s_movk_i32 s4, 0x7f
	v_cmp_gt_i16_sdwa s[6:7], v3, s4 src0_sel:BYTE_0 src1_sel:DWORD
	s_mov_b64 s[4:5], 0
                                        ; implicit-def: $sgpr10
	s_and_saveexec_b64 s[8:9], s[6:7]
	s_xor_b64 s[6:7], exec, s[8:9]
	s_cbranch_execnz .LBB20_2469
; %bb.421:
	s_or_saveexec_b64 s[6:7], s[6:7]
	v_mov_b32_e32 v6, s10
	s_xor_b64 exec, exec, s[6:7]
	s_cbranch_execnz .LBB20_2472
.LBB20_422:
	s_or_b64 exec, exec, s[6:7]
	s_and_saveexec_b64 s[6:7], s[4:5]
	s_cbranch_execz .LBB20_424
.LBB20_423:
	v_and_b32_e32 v6, 7, v3
	v_ffbh_u32_e32 v11, v6
	v_min_u32_e32 v11, 32, v11
	v_lshrrev_b16_e32 v10, 3, v3
	v_subrev_u32_e32 v12, 28, v11
	v_and_b32_e32 v10, 15, v10
	v_lshlrev_b32_e32 v12, v12, v3
	v_sub_u32_e32 v11, 29, v11
	v_and_b32_e32 v12, 7, v12
	v_cmp_eq_u16_e32 vcc, 0, v10
	v_cndmask_b32_e32 v6, v6, v12, vcc
	v_cndmask_b32_e32 v10, v10, v11, vcc
	v_lshlrev_b32_e32 v11, 24, v3
	v_mov_b32_e32 v12, 0x3b800000
	v_lshlrev_b32_e32 v6, 20, v6
	v_and_b32_e32 v11, 0x80000000, v11
	v_lshl_add_u32 v10, v10, 23, v12
	v_or3_b32 v6, v11, v10, v6
.LBB20_424:
	s_or_b64 exec, exec, s[6:7]
	s_nop 0
	v_mfma_f32_16x16x4f32 a[0:3], v2, v6, a[0:3]
	v_lshrrev_b32_e32 v6, 8, v7
	s_movk_i32 s4, 0x7f
	v_cmp_gt_i16_sdwa s[6:7], v6, s4 src0_sel:BYTE_0 src1_sel:DWORD
	s_mov_b64 s[4:5], 0
                                        ; implicit-def: $sgpr10
	s_and_saveexec_b64 s[8:9], s[6:7]
	s_xor_b64 s[6:7], exec, s[8:9]
	s_cbranch_execnz .LBB20_2473
; %bb.425:
	s_or_saveexec_b64 s[6:7], s[6:7]
	v_mov_b32_e32 v2, s10
	s_xor_b64 exec, exec, s[6:7]
	s_cbranch_execnz .LBB20_2476
.LBB20_426:
	s_or_b64 exec, exec, s[6:7]
	s_and_saveexec_b64 s[6:7], s[4:5]
	s_cbranch_execz .LBB20_428
.LBB20_427:
	v_bfe_u32 v2, v7, 8, 3
	v_ffbh_u32_e32 v11, v2
	v_min_u32_e32 v11, 32, v11
	v_lshrrev_b16_e32 v10, 3, v6
	v_subrev_u32_e32 v12, 28, v11
	v_and_b32_e32 v10, 15, v10
	v_lshlrev_b32_e32 v6, v12, v6
	v_sub_u32_e32 v11, 29, v11
	v_and_b32_e32 v6, 7, v6
	v_cmp_eq_u16_e32 vcc, 0, v10
	v_cndmask_b32_e32 v2, v2, v6, vcc
	v_cndmask_b32_e32 v6, v10, v11, vcc
	v_lshlrev_b32_e32 v10, 16, v7
	v_mov_b32_e32 v11, 0x3b800000
	v_lshlrev_b32_e32 v2, 20, v2
	v_and_b32_e32 v10, 0x80000000, v10
	v_lshl_add_u32 v6, v6, 23, v11
	v_or3_b32 v2, v10, v6, v2
.LBB20_428:
	s_or_b64 exec, exec, s[6:7]
	v_lshrrev_b32_e32 v6, 8, v3
	s_movk_i32 s4, 0x7f
	v_cmp_gt_i16_sdwa s[6:7], v6, s4 src0_sel:BYTE_0 src1_sel:DWORD
	s_mov_b64 s[4:5], 0
                                        ; implicit-def: $sgpr10
	s_and_saveexec_b64 s[8:9], s[6:7]
	s_xor_b64 s[6:7], exec, s[8:9]
	s_cbranch_execnz .LBB20_2477
; %bb.429:
	s_or_saveexec_b64 s[6:7], s[6:7]
	v_mov_b32_e32 v10, s10
	s_xor_b64 exec, exec, s[6:7]
	s_cbranch_execnz .LBB20_2480
.LBB20_430:
	s_or_b64 exec, exec, s[6:7]
	s_and_saveexec_b64 s[6:7], s[4:5]
	s_cbranch_execz .LBB20_432
.LBB20_431:
	v_bfe_u32 v10, v3, 8, 3
	v_ffbh_u32_e32 v12, v10
	v_min_u32_e32 v12, 32, v12
	v_lshrrev_b16_e32 v11, 3, v6
	v_subrev_u32_e32 v13, 28, v12
	v_and_b32_e32 v11, 15, v11
	v_lshlrev_b32_e32 v6, v13, v6
	v_sub_u32_e32 v12, 29, v12
	v_and_b32_e32 v6, 7, v6
	v_cmp_eq_u16_e32 vcc, 0, v11
	v_cndmask_b32_e32 v6, v10, v6, vcc
	v_cndmask_b32_e32 v10, v11, v12, vcc
	v_lshlrev_b32_e32 v11, 16, v3
	v_mov_b32_e32 v12, 0x3b800000
	v_lshlrev_b32_e32 v6, 20, v6
	v_and_b32_e32 v11, 0x80000000, v11
	v_lshl_add_u32 v10, v10, 23, v12
	v_or3_b32 v10, v11, v10, v6
.LBB20_432:
	s_or_b64 exec, exec, s[6:7]
	s_nop 0
	v_mfma_f32_16x16x4f32 a[0:3], v2, v10, a[0:3]
	s_movk_i32 s4, 0xff
	v_and_b32_sdwa v6, v7, s4 dst_sel:DWORD dst_unused:UNUSED_PAD src0_sel:WORD_1 src1_sel:DWORD
	s_movk_i32 s4, 0x7f
	v_cmp_lt_i16_e32 vcc, s4, v6
	s_mov_b64 s[4:5], 0
                                        ; implicit-def: $sgpr10
	s_and_saveexec_b64 s[6:7], vcc
	s_xor_b64 s[6:7], exec, s[6:7]
	s_cbranch_execnz .LBB20_2481
; %bb.433:
	s_or_saveexec_b64 s[6:7], s[6:7]
	v_mov_b32_e32 v2, s10
	s_xor_b64 exec, exec, s[6:7]
	s_cbranch_execnz .LBB20_2484
.LBB20_434:
	s_or_b64 exec, exec, s[6:7]
	s_and_saveexec_b64 s[6:7], s[4:5]
	s_cbranch_execz .LBB20_436
.LBB20_435:
	v_bfe_u32 v2, v7, 16, 3
	v_ffbh_u32_e32 v11, v2
	v_min_u32_e32 v11, 32, v11
	v_lshrrev_b32_e32 v6, 19, v7
	v_subrev_u32_e32 v12, 28, v11
	v_and_b32_e32 v6, 15, v6
	v_lshlrev_b32_sdwa v12, v12, v7 dst_sel:DWORD dst_unused:UNUSED_PAD src0_sel:DWORD src1_sel:WORD_1
	v_bfe_u32 v10, v7, 19, 4
	v_sub_u32_e32 v11, 29, v11
	v_and_b32_e32 v12, 7, v12
	v_cmp_eq_u16_e32 vcc, 0, v6
	v_cndmask_b32_e32 v2, v2, v12, vcc
	v_cndmask_b32_e32 v6, v10, v11, vcc
	v_lshlrev_b32_e32 v10, 8, v7
	v_mov_b32_e32 v11, 0x3b800000
	v_lshlrev_b32_e32 v2, 20, v2
	v_and_b32_e32 v10, 0x80000000, v10
	v_lshl_add_u32 v6, v6, 23, v11
	v_or3_b32 v2, v10, v6, v2
.LBB20_436:
	s_or_b64 exec, exec, s[6:7]
	s_movk_i32 s4, 0xff
	v_and_b32_sdwa v6, v3, s4 dst_sel:DWORD dst_unused:UNUSED_PAD src0_sel:WORD_1 src1_sel:DWORD
	s_movk_i32 s4, 0x7f
	v_cmp_lt_i16_e32 vcc, s4, v6
	s_mov_b64 s[4:5], 0
                                        ; implicit-def: $sgpr10
	s_and_saveexec_b64 s[6:7], vcc
	s_xor_b64 s[6:7], exec, s[6:7]
	s_cbranch_execnz .LBB20_2485
; %bb.437:
	s_or_saveexec_b64 s[6:7], s[6:7]
	v_mov_b32_e32 v10, s10
	s_xor_b64 exec, exec, s[6:7]
	s_cbranch_execnz .LBB20_2488
.LBB20_438:
	s_or_b64 exec, exec, s[6:7]
	s_and_saveexec_b64 s[6:7], s[4:5]
	s_cbranch_execz .LBB20_440
.LBB20_439:
	v_bfe_u32 v6, v3, 16, 3
	v_ffbh_u32_e32 v12, v6
	v_min_u32_e32 v12, 32, v12
	v_lshrrev_b32_e32 v10, 19, v3
	v_subrev_u32_e32 v13, 28, v12
	v_and_b32_e32 v10, 15, v10
	v_lshlrev_b32_sdwa v13, v13, v3 dst_sel:DWORD dst_unused:UNUSED_PAD src0_sel:DWORD src1_sel:WORD_1
	v_bfe_u32 v11, v3, 19, 4
	v_sub_u32_e32 v12, 29, v12
	v_and_b32_e32 v13, 7, v13
	v_cmp_eq_u16_e32 vcc, 0, v10
	v_cndmask_b32_e32 v6, v6, v13, vcc
	v_cndmask_b32_e32 v10, v11, v12, vcc
	v_lshlrev_b32_e32 v11, 8, v3
	v_mov_b32_e32 v12, 0x3b800000
	v_lshlrev_b32_e32 v6, 20, v6
	v_and_b32_e32 v11, 0x80000000, v11
	v_lshl_add_u32 v10, v10, 23, v12
	v_or3_b32 v10, v11, v10, v6
.LBB20_440:
	s_or_b64 exec, exec, s[6:7]
	s_nop 0
	v_mfma_f32_16x16x4f32 a[0:3], v2, v10, a[0:3]
	s_movk_i32 s4, 0x7f
	v_cmp_gt_i16_sdwa s[6:7], v7, s4 src0_sel:BYTE_3 src1_sel:DWORD
	s_mov_b64 s[4:5], 0
                                        ; implicit-def: $sgpr10
	s_and_saveexec_b64 s[8:9], s[6:7]
	s_xor_b64 s[6:7], exec, s[8:9]
	s_cbranch_execnz .LBB20_2489
; %bb.441:
	s_or_saveexec_b64 s[6:7], s[6:7]
	v_mov_b32_e32 v2, s10
	s_xor_b64 exec, exec, s[6:7]
	s_cbranch_execnz .LBB20_2492
.LBB20_442:
	s_or_b64 exec, exec, s[6:7]
	s_and_saveexec_b64 s[6:7], s[4:5]
	s_cbranch_execz .LBB20_444
.LBB20_443:
	v_bfe_u32 v2, v7, 24, 3
	v_ffbh_u32_e32 v12, v2
	v_min_u32_e32 v12, 32, v12
	v_lshrrev_b32_e32 v10, 27, v7
	v_subrev_u32_e32 v13, 28, v12
	v_and_b32_e32 v6, 0x80000000, v7
	v_and_b32_e32 v10, 15, v10
	v_bfe_u32 v11, v7, 27, 4
	v_lshlrev_b32_sdwa v7, v13, v7 dst_sel:DWORD dst_unused:UNUSED_PAD src0_sel:DWORD src1_sel:BYTE_3
	v_sub_u32_e32 v12, 29, v12
	v_and_b32_e32 v7, 7, v7
	v_cmp_eq_u16_e32 vcc, 0, v10
	v_cndmask_b32_e32 v2, v2, v7, vcc
	v_cndmask_b32_e32 v7, v11, v12, vcc
	v_mov_b32_e32 v10, 0x3b800000
	v_lshlrev_b32_e32 v2, 20, v2
	v_lshl_add_u32 v7, v7, 23, v10
	v_or3_b32 v2, v6, v7, v2
.LBB20_444:
	s_or_b64 exec, exec, s[6:7]
	s_movk_i32 s4, 0x7f
	v_cmp_gt_i16_sdwa s[6:7], v3, s4 src0_sel:BYTE_3 src1_sel:DWORD
	s_mov_b64 s[4:5], 0
                                        ; implicit-def: $sgpr10
	s_and_saveexec_b64 s[8:9], s[6:7]
	s_xor_b64 s[6:7], exec, s[8:9]
	s_cbranch_execnz .LBB20_2493
; %bb.445:
	s_or_saveexec_b64 s[6:7], s[6:7]
	v_mov_b32_e32 v6, s10
	s_xor_b64 exec, exec, s[6:7]
	s_cbranch_execnz .LBB20_2496
.LBB20_446:
	s_or_b64 exec, exec, s[6:7]
	s_and_saveexec_b64 s[6:7], s[4:5]
	s_cbranch_execz .LBB20_448
.LBB20_447:
	v_bfe_u32 v6, v3, 24, 3
	v_ffbh_u32_e32 v12, v6
	v_min_u32_e32 v12, 32, v12
	v_lshrrev_b32_e32 v10, 27, v3
	v_subrev_u32_e32 v13, 28, v12
	v_and_b32_e32 v7, 0x80000000, v3
	v_and_b32_e32 v10, 15, v10
	v_bfe_u32 v11, v3, 27, 4
	v_lshlrev_b32_sdwa v3, v13, v3 dst_sel:DWORD dst_unused:UNUSED_PAD src0_sel:DWORD src1_sel:BYTE_3
	v_sub_u32_e32 v12, 29, v12
	v_and_b32_e32 v3, 7, v3
	v_cmp_eq_u16_e32 vcc, 0, v10
	v_cndmask_b32_e32 v3, v6, v3, vcc
	v_cndmask_b32_e32 v6, v11, v12, vcc
	v_mov_b32_e32 v10, 0x3b800000
	v_lshlrev_b32_e32 v3, 20, v3
	v_lshl_add_u32 v6, v6, 23, v10
	v_or3_b32 v6, v7, v6, v3
.LBB20_448:
	s_or_b64 exec, exec, s[6:7]
	s_nop 0
	v_mfma_f32_16x16x4f32 a[0:3], v2, v6, a[0:3]
	s_movk_i32 s4, 0x7f
	v_cmp_gt_i16_sdwa s[6:7], v8, s4 src0_sel:BYTE_0 src1_sel:DWORD
	s_mov_b64 s[4:5], 0
                                        ; implicit-def: $sgpr10
	s_and_saveexec_b64 s[8:9], s[6:7]
	s_xor_b64 s[6:7], exec, s[8:9]
	s_cbranch_execnz .LBB20_2497
; %bb.449:
	s_or_saveexec_b64 s[6:7], s[6:7]
	v_mov_b32_e32 v2, s10
	s_xor_b64 exec, exec, s[6:7]
	s_cbranch_execnz .LBB20_2500
.LBB20_450:
	s_or_b64 exec, exec, s[6:7]
	s_and_saveexec_b64 s[6:7], s[4:5]
	s_cbranch_execz .LBB20_452
.LBB20_451:
	v_and_b32_e32 v2, 7, v8
	v_ffbh_u32_e32 v6, v2
	v_min_u32_e32 v6, 32, v6
	v_lshrrev_b16_e32 v3, 3, v8
	v_subrev_u32_e32 v7, 28, v6
	v_and_b32_e32 v3, 15, v3
	v_lshlrev_b32_e32 v7, v7, v8
	v_sub_u32_e32 v6, 29, v6
	v_and_b32_e32 v7, 7, v7
	v_cmp_eq_u16_e32 vcc, 0, v3
	v_cndmask_b32_e32 v2, v2, v7, vcc
	v_cndmask_b32_e32 v3, v3, v6, vcc
	v_lshlrev_b32_e32 v6, 24, v8
	v_mov_b32_e32 v7, 0x3b800000
	v_lshlrev_b32_e32 v2, 20, v2
	v_and_b32_e32 v6, 0x80000000, v6
	v_lshl_add_u32 v3, v3, 23, v7
	v_or3_b32 v2, v6, v3, v2
.LBB20_452:
	s_or_b64 exec, exec, s[6:7]
	s_movk_i32 s4, 0x7f
	v_cmp_gt_i16_sdwa s[6:7], v4, s4 src0_sel:BYTE_0 src1_sel:DWORD
	s_mov_b64 s[4:5], 0
                                        ; implicit-def: $sgpr10
	s_and_saveexec_b64 s[8:9], s[6:7]
	s_xor_b64 s[6:7], exec, s[8:9]
	s_cbranch_execnz .LBB20_2501
; %bb.453:
	s_or_saveexec_b64 s[6:7], s[6:7]
	v_mov_b32_e32 v3, s10
	s_xor_b64 exec, exec, s[6:7]
	s_cbranch_execnz .LBB20_2504
.LBB20_454:
	s_or_b64 exec, exec, s[6:7]
	s_and_saveexec_b64 s[6:7], s[4:5]
	s_cbranch_execz .LBB20_456
.LBB20_455:
	v_and_b32_e32 v3, 7, v4
	v_ffbh_u32_e32 v7, v3
	v_min_u32_e32 v7, 32, v7
	v_lshrrev_b16_e32 v6, 3, v4
	v_subrev_u32_e32 v10, 28, v7
	v_and_b32_e32 v6, 15, v6
	v_lshlrev_b32_e32 v10, v10, v4
	v_sub_u32_e32 v7, 29, v7
	v_and_b32_e32 v10, 7, v10
	v_cmp_eq_u16_e32 vcc, 0, v6
	v_cndmask_b32_e32 v3, v3, v10, vcc
	v_cndmask_b32_e32 v6, v6, v7, vcc
	v_lshlrev_b32_e32 v7, 24, v4
	v_mov_b32_e32 v10, 0x3b800000
	v_lshlrev_b32_e32 v3, 20, v3
	v_and_b32_e32 v7, 0x80000000, v7
	v_lshl_add_u32 v6, v6, 23, v10
	v_or3_b32 v3, v7, v6, v3
.LBB20_456:
	s_or_b64 exec, exec, s[6:7]
	s_nop 0
	v_mfma_f32_16x16x4f32 a[0:3], v2, v3, a[0:3]
	v_lshrrev_b32_e32 v3, 8, v8
	s_movk_i32 s4, 0x7f
	v_cmp_gt_i16_sdwa s[6:7], v3, s4 src0_sel:BYTE_0 src1_sel:DWORD
	s_mov_b64 s[4:5], 0
                                        ; implicit-def: $sgpr10
	s_and_saveexec_b64 s[8:9], s[6:7]
	s_xor_b64 s[6:7], exec, s[8:9]
	s_cbranch_execnz .LBB20_2505
; %bb.457:
	s_or_saveexec_b64 s[6:7], s[6:7]
	v_mov_b32_e32 v2, s10
	s_xor_b64 exec, exec, s[6:7]
	s_cbranch_execnz .LBB20_2508
.LBB20_458:
	s_or_b64 exec, exec, s[6:7]
	s_and_saveexec_b64 s[6:7], s[4:5]
	s_cbranch_execz .LBB20_460
.LBB20_459:
	v_bfe_u32 v2, v8, 8, 3
	v_ffbh_u32_e32 v7, v2
	v_min_u32_e32 v7, 32, v7
	v_lshrrev_b16_e32 v6, 3, v3
	v_subrev_u32_e32 v10, 28, v7
	v_and_b32_e32 v6, 15, v6
	v_lshlrev_b32_e32 v3, v10, v3
	v_sub_u32_e32 v7, 29, v7
	v_and_b32_e32 v3, 7, v3
	v_cmp_eq_u16_e32 vcc, 0, v6
	v_cndmask_b32_e32 v2, v2, v3, vcc
	v_cndmask_b32_e32 v3, v6, v7, vcc
	v_lshlrev_b32_e32 v6, 16, v8
	v_mov_b32_e32 v7, 0x3b800000
	v_lshlrev_b32_e32 v2, 20, v2
	v_and_b32_e32 v6, 0x80000000, v6
	v_lshl_add_u32 v3, v3, 23, v7
	v_or3_b32 v2, v6, v3, v2
.LBB20_460:
	s_or_b64 exec, exec, s[6:7]
	v_lshrrev_b32_e32 v3, 8, v4
	s_movk_i32 s4, 0x7f
	v_cmp_gt_i16_sdwa s[6:7], v3, s4 src0_sel:BYTE_0 src1_sel:DWORD
	s_mov_b64 s[4:5], 0
                                        ; implicit-def: $sgpr10
	s_and_saveexec_b64 s[8:9], s[6:7]
	s_xor_b64 s[6:7], exec, s[8:9]
	s_cbranch_execnz .LBB20_2509
; %bb.461:
	s_or_saveexec_b64 s[6:7], s[6:7]
	v_mov_b32_e32 v6, s10
	s_xor_b64 exec, exec, s[6:7]
	s_cbranch_execnz .LBB20_2512
.LBB20_462:
	s_or_b64 exec, exec, s[6:7]
	s_and_saveexec_b64 s[6:7], s[4:5]
	s_cbranch_execz .LBB20_464
.LBB20_463:
	v_bfe_u32 v6, v4, 8, 3
	v_ffbh_u32_e32 v10, v6
	v_min_u32_e32 v10, 32, v10
	v_lshrrev_b16_e32 v7, 3, v3
	v_subrev_u32_e32 v11, 28, v10
	v_and_b32_e32 v7, 15, v7
	v_lshlrev_b32_e32 v3, v11, v3
	v_sub_u32_e32 v10, 29, v10
	v_and_b32_e32 v3, 7, v3
	v_cmp_eq_u16_e32 vcc, 0, v7
	v_cndmask_b32_e32 v3, v6, v3, vcc
	v_cndmask_b32_e32 v6, v7, v10, vcc
	v_lshlrev_b32_e32 v7, 16, v4
	v_mov_b32_e32 v10, 0x3b800000
	v_lshlrev_b32_e32 v3, 20, v3
	v_and_b32_e32 v7, 0x80000000, v7
	v_lshl_add_u32 v6, v6, 23, v10
	v_or3_b32 v6, v7, v6, v3
.LBB20_464:
	s_or_b64 exec, exec, s[6:7]
	s_nop 0
	v_mfma_f32_16x16x4f32 a[0:3], v2, v6, a[0:3]
	s_movk_i32 s4, 0xff
	v_and_b32_sdwa v3, v8, s4 dst_sel:DWORD dst_unused:UNUSED_PAD src0_sel:WORD_1 src1_sel:DWORD
	s_movk_i32 s4, 0x7f
	v_cmp_lt_i16_e32 vcc, s4, v3
	s_mov_b64 s[4:5], 0
                                        ; implicit-def: $sgpr10
	s_and_saveexec_b64 s[6:7], vcc
	s_xor_b64 s[6:7], exec, s[6:7]
	s_cbranch_execnz .LBB20_2513
; %bb.465:
	s_or_saveexec_b64 s[6:7], s[6:7]
	v_mov_b32_e32 v2, s10
	s_xor_b64 exec, exec, s[6:7]
	s_cbranch_execnz .LBB20_2516
.LBB20_466:
	s_or_b64 exec, exec, s[6:7]
	s_and_saveexec_b64 s[6:7], s[4:5]
	s_cbranch_execz .LBB20_468
.LBB20_467:
	v_bfe_u32 v2, v8, 16, 3
	v_ffbh_u32_e32 v7, v2
	v_min_u32_e32 v7, 32, v7
	v_lshrrev_b32_e32 v3, 19, v8
	v_subrev_u32_e32 v10, 28, v7
	v_and_b32_e32 v3, 15, v3
	v_lshlrev_b32_sdwa v10, v10, v8 dst_sel:DWORD dst_unused:UNUSED_PAD src0_sel:DWORD src1_sel:WORD_1
	v_bfe_u32 v6, v8, 19, 4
	v_sub_u32_e32 v7, 29, v7
	v_and_b32_e32 v10, 7, v10
	v_cmp_eq_u16_e32 vcc, 0, v3
	v_cndmask_b32_e32 v2, v2, v10, vcc
	v_cndmask_b32_e32 v3, v6, v7, vcc
	v_lshlrev_b32_e32 v6, 8, v8
	v_mov_b32_e32 v7, 0x3b800000
	v_lshlrev_b32_e32 v2, 20, v2
	v_and_b32_e32 v6, 0x80000000, v6
	v_lshl_add_u32 v3, v3, 23, v7
	v_or3_b32 v2, v6, v3, v2
.LBB20_468:
	s_or_b64 exec, exec, s[6:7]
	s_movk_i32 s4, 0xff
	v_and_b32_sdwa v3, v4, s4 dst_sel:DWORD dst_unused:UNUSED_PAD src0_sel:WORD_1 src1_sel:DWORD
	s_movk_i32 s4, 0x7f
	v_cmp_lt_i16_e32 vcc, s4, v3
	s_mov_b64 s[4:5], 0
                                        ; implicit-def: $sgpr10
	s_and_saveexec_b64 s[6:7], vcc
	s_xor_b64 s[6:7], exec, s[6:7]
	s_cbranch_execnz .LBB20_2517
; %bb.469:
	s_or_saveexec_b64 s[6:7], s[6:7]
	v_mov_b32_e32 v6, s10
	s_xor_b64 exec, exec, s[6:7]
	s_cbranch_execnz .LBB20_2520
.LBB20_470:
	s_or_b64 exec, exec, s[6:7]
	s_and_saveexec_b64 s[6:7], s[4:5]
	s_cbranch_execz .LBB20_472
.LBB20_471:
	v_bfe_u32 v3, v4, 16, 3
	v_ffbh_u32_e32 v10, v3
	v_min_u32_e32 v10, 32, v10
	v_lshrrev_b32_e32 v6, 19, v4
	v_subrev_u32_e32 v11, 28, v10
	v_and_b32_e32 v6, 15, v6
	v_lshlrev_b32_sdwa v11, v11, v4 dst_sel:DWORD dst_unused:UNUSED_PAD src0_sel:DWORD src1_sel:WORD_1
	v_bfe_u32 v7, v4, 19, 4
	v_sub_u32_e32 v10, 29, v10
	v_and_b32_e32 v11, 7, v11
	v_cmp_eq_u16_e32 vcc, 0, v6
	v_cndmask_b32_e32 v3, v3, v11, vcc
	v_cndmask_b32_e32 v6, v7, v10, vcc
	v_lshlrev_b32_e32 v7, 8, v4
	v_mov_b32_e32 v10, 0x3b800000
	v_lshlrev_b32_e32 v3, 20, v3
	v_and_b32_e32 v7, 0x80000000, v7
	v_lshl_add_u32 v6, v6, 23, v10
	v_or3_b32 v6, v7, v6, v3
.LBB20_472:
	s_or_b64 exec, exec, s[6:7]
	s_nop 0
	v_mfma_f32_16x16x4f32 a[0:3], v2, v6, a[0:3]
	s_movk_i32 s4, 0x7f
	v_cmp_gt_i16_sdwa s[6:7], v8, s4 src0_sel:BYTE_3 src1_sel:DWORD
	s_mov_b64 s[4:5], 0
                                        ; implicit-def: $sgpr10
	s_and_saveexec_b64 s[8:9], s[6:7]
	s_xor_b64 s[6:7], exec, s[8:9]
	s_cbranch_execnz .LBB20_2521
; %bb.473:
	s_or_saveexec_b64 s[6:7], s[6:7]
	v_mov_b32_e32 v2, s10
	s_xor_b64 exec, exec, s[6:7]
	s_cbranch_execnz .LBB20_2524
.LBB20_474:
	s_or_b64 exec, exec, s[6:7]
	s_and_saveexec_b64 s[6:7], s[4:5]
	s_cbranch_execz .LBB20_476
.LBB20_475:
	v_bfe_u32 v2, v8, 24, 3
	v_ffbh_u32_e32 v10, v2
	v_min_u32_e32 v10, 32, v10
	v_lshrrev_b32_e32 v6, 27, v8
	v_subrev_u32_e32 v11, 28, v10
	v_and_b32_e32 v3, 0x80000000, v8
	v_and_b32_e32 v6, 15, v6
	v_bfe_u32 v7, v8, 27, 4
	v_lshlrev_b32_sdwa v8, v11, v8 dst_sel:DWORD dst_unused:UNUSED_PAD src0_sel:DWORD src1_sel:BYTE_3
	v_sub_u32_e32 v10, 29, v10
	v_and_b32_e32 v8, 7, v8
	v_cmp_eq_u16_e32 vcc, 0, v6
	v_cndmask_b32_e32 v2, v2, v8, vcc
	v_cndmask_b32_e32 v6, v7, v10, vcc
	v_mov_b32_e32 v7, 0x3b800000
	v_lshlrev_b32_e32 v2, 20, v2
	v_lshl_add_u32 v6, v6, 23, v7
	v_or3_b32 v2, v3, v6, v2
.LBB20_476:
	s_or_b64 exec, exec, s[6:7]
	s_movk_i32 s4, 0x7f
	v_cmp_gt_i16_sdwa s[6:7], v4, s4 src0_sel:BYTE_3 src1_sel:DWORD
	s_mov_b64 s[4:5], 0
                                        ; implicit-def: $sgpr10
	s_and_saveexec_b64 s[8:9], s[6:7]
	s_xor_b64 s[6:7], exec, s[8:9]
	s_cbranch_execnz .LBB20_2525
; %bb.477:
	s_or_saveexec_b64 s[6:7], s[6:7]
	v_mov_b32_e32 v3, s10
	s_xor_b64 exec, exec, s[6:7]
	s_cbranch_execnz .LBB20_2528
.LBB20_478:
	s_or_b64 exec, exec, s[6:7]
	s_and_saveexec_b64 s[6:7], s[4:5]
	s_cbranch_execz .LBB20_480
.LBB20_479:
	v_bfe_u32 v3, v4, 24, 3
	v_ffbh_u32_e32 v10, v3
	v_min_u32_e32 v10, 32, v10
	v_lshrrev_b32_e32 v7, 27, v4
	v_subrev_u32_e32 v11, 28, v10
	v_and_b32_e32 v6, 0x80000000, v4
	v_and_b32_e32 v7, 15, v7
	v_bfe_u32 v8, v4, 27, 4
	v_lshlrev_b32_sdwa v4, v11, v4 dst_sel:DWORD dst_unused:UNUSED_PAD src0_sel:DWORD src1_sel:BYTE_3
	v_sub_u32_e32 v10, 29, v10
	v_and_b32_e32 v4, 7, v4
	v_cmp_eq_u16_e32 vcc, 0, v7
	v_cndmask_b32_e32 v3, v3, v4, vcc
	v_cndmask_b32_e32 v4, v8, v10, vcc
	v_mov_b32_e32 v7, 0x3b800000
	v_lshlrev_b32_e32 v3, 20, v3
	v_lshl_add_u32 v4, v4, 23, v7
	v_or3_b32 v3, v6, v4, v3
.LBB20_480:
	s_or_b64 exec, exec, s[6:7]
	s_nop 0
	v_mfma_f32_16x16x4f32 a[0:3], v2, v3, a[0:3]
	s_movk_i32 s4, 0x7f
	v_cmp_gt_i16_sdwa s[6:7], v9, s4 src0_sel:BYTE_0 src1_sel:DWORD
	s_mov_b64 s[4:5], 0
                                        ; implicit-def: $sgpr10
	s_and_saveexec_b64 s[8:9], s[6:7]
	s_xor_b64 s[6:7], exec, s[8:9]
	s_cbranch_execnz .LBB20_2529
; %bb.481:
	s_or_saveexec_b64 s[6:7], s[6:7]
	v_mov_b32_e32 v2, s10
	s_xor_b64 exec, exec, s[6:7]
	s_cbranch_execnz .LBB20_2532
.LBB20_482:
	s_or_b64 exec, exec, s[6:7]
	s_and_saveexec_b64 s[6:7], s[4:5]
	s_cbranch_execz .LBB20_484
.LBB20_483:
	v_mov_b32_e32 v2, 8
	v_and_b32_e32 v3, 7, v9
	v_lshrrev_b32_sdwa v2, v2, v9 dst_sel:BYTE_1 dst_unused:UNUSED_PAD src0_sel:DWORD src1_sel:DWORD
	v_ffbh_u32_e32 v4, v3
	v_or_b32_sdwa v2, v9, v2 dst_sel:DWORD dst_unused:UNUSED_PAD src0_sel:BYTE_0 src1_sel:DWORD
	v_min_u32_e32 v4, 32, v4
	v_lshrrev_b16_e32 v2, 3, v2
	v_subrev_u32_e32 v6, 28, v4
	v_and_b32_e32 v2, 15, v2
	v_lshlrev_b32_e32 v6, v6, v9
	v_sub_u32_e32 v4, 29, v4
	v_and_b32_e32 v6, 7, v6
	v_cmp_eq_u16_e32 vcc, 0, v2
	v_cndmask_b32_e32 v3, v3, v6, vcc
	v_cndmask_b32_e32 v2, v2, v4, vcc
	v_lshlrev_b32_e32 v4, 24, v9
	v_mov_b32_e32 v6, 0x3b800000
	v_lshlrev_b32_e32 v3, 20, v3
	v_and_b32_e32 v4, 0x80000000, v4
	v_lshl_add_u32 v2, v2, 23, v6
	v_or3_b32 v2, v4, v2, v3
.LBB20_484:
	s_or_b64 exec, exec, s[6:7]
	s_movk_i32 s4, 0x7f
	v_cmp_gt_i16_sdwa s[6:7], v5, s4 src0_sel:BYTE_0 src1_sel:DWORD
	s_mov_b64 s[4:5], 0
                                        ; implicit-def: $sgpr10
	s_and_saveexec_b64 s[8:9], s[6:7]
	s_xor_b64 s[6:7], exec, s[8:9]
	s_cbranch_execnz .LBB20_2533
; %bb.485:
	s_or_saveexec_b64 s[6:7], s[6:7]
	v_mov_b32_e32 v3, s10
	s_xor_b64 exec, exec, s[6:7]
	s_cbranch_execnz .LBB20_2536
.LBB20_486:
	s_or_b64 exec, exec, s[6:7]
	s_and_saveexec_b64 s[6:7], s[4:5]
	s_cbranch_execz .LBB20_488
.LBB20_487:
	v_mov_b32_e32 v3, 8
	v_and_b32_e32 v4, 7, v5
	v_lshrrev_b32_sdwa v3, v3, v5 dst_sel:BYTE_1 dst_unused:UNUSED_PAD src0_sel:DWORD src1_sel:DWORD
	v_ffbh_u32_e32 v6, v4
	v_or_b32_sdwa v3, v5, v3 dst_sel:DWORD dst_unused:UNUSED_PAD src0_sel:BYTE_0 src1_sel:DWORD
	v_min_u32_e32 v6, 32, v6
	v_lshrrev_b16_e32 v3, 3, v3
	v_subrev_u32_e32 v7, 28, v6
	v_and_b32_e32 v3, 15, v3
	v_lshlrev_b32_e32 v7, v7, v5
	v_sub_u32_e32 v6, 29, v6
	v_and_b32_e32 v7, 7, v7
	v_cmp_eq_u16_e32 vcc, 0, v3
	v_cndmask_b32_e32 v4, v4, v7, vcc
	v_cndmask_b32_e32 v3, v3, v6, vcc
	v_lshlrev_b32_e32 v6, 24, v5
	v_mov_b32_e32 v7, 0x3b800000
	v_lshlrev_b32_e32 v4, 20, v4
	v_and_b32_e32 v6, 0x80000000, v6
	v_lshl_add_u32 v3, v3, 23, v7
	v_or3_b32 v3, v6, v3, v4
.LBB20_488:
	s_or_b64 exec, exec, s[6:7]
	s_nop 0
	v_mfma_f32_16x16x4f32 a[0:3], v2, v3, a[0:3]
	v_lshrrev_b32_e32 v3, 8, v9
	s_movk_i32 s4, 0x7f
	v_cmp_gt_i16_sdwa s[6:7], v3, s4 src0_sel:BYTE_0 src1_sel:DWORD
	s_mov_b64 s[4:5], 0
                                        ; implicit-def: $sgpr10
	s_and_saveexec_b64 s[8:9], s[6:7]
	s_xor_b64 s[6:7], exec, s[8:9]
	s_cbranch_execnz .LBB20_2537
; %bb.489:
	s_or_saveexec_b64 s[6:7], s[6:7]
	v_mov_b32_e32 v2, s10
	s_xor_b64 exec, exec, s[6:7]
	s_cbranch_execnz .LBB20_2540
.LBB20_490:
	s_or_b64 exec, exec, s[6:7]
	s_and_saveexec_b64 s[6:7], s[4:5]
	s_cbranch_execz .LBB20_492
.LBB20_491:
	v_bfe_u32 v2, v9, 8, 3
	v_ffbh_u32_e32 v6, v2
	v_min_u32_e32 v6, 32, v6
	v_lshrrev_b16_e32 v4, 3, v3
	v_subrev_u32_e32 v7, 28, v6
	v_and_b32_e32 v4, 15, v4
	v_lshlrev_b32_e32 v3, v7, v3
	v_sub_u32_e32 v6, 29, v6
	v_and_b32_e32 v3, 7, v3
	v_cmp_eq_u16_e32 vcc, 0, v4
	v_cndmask_b32_e32 v2, v2, v3, vcc
	v_cndmask_b32_e32 v3, v4, v6, vcc
	v_lshlrev_b32_e32 v4, 16, v9
	v_mov_b32_e32 v6, 0x3b800000
	v_lshlrev_b32_e32 v2, 20, v2
	v_and_b32_e32 v4, 0x80000000, v4
	v_lshl_add_u32 v3, v3, 23, v6
	v_or3_b32 v2, v4, v3, v2
.LBB20_492:
	s_or_b64 exec, exec, s[6:7]
	v_lshrrev_b32_e32 v3, 8, v5
	s_movk_i32 s4, 0x7f
	v_cmp_gt_i16_sdwa s[6:7], v3, s4 src0_sel:BYTE_0 src1_sel:DWORD
	s_mov_b64 s[4:5], 0
                                        ; implicit-def: $sgpr10
	s_and_saveexec_b64 s[8:9], s[6:7]
	s_xor_b64 s[6:7], exec, s[8:9]
	s_cbranch_execnz .LBB20_2541
; %bb.493:
	s_or_saveexec_b64 s[6:7], s[6:7]
	v_mov_b32_e32 v4, s10
	s_xor_b64 exec, exec, s[6:7]
	s_cbranch_execnz .LBB20_2544
.LBB20_494:
	s_or_b64 exec, exec, s[6:7]
	s_and_saveexec_b64 s[6:7], s[4:5]
	s_cbranch_execz .LBB20_496
.LBB20_495:
	v_bfe_u32 v4, v5, 8, 3
	v_ffbh_u32_e32 v7, v4
	v_min_u32_e32 v7, 32, v7
	v_lshrrev_b16_e32 v6, 3, v3
	v_subrev_u32_e32 v8, 28, v7
	v_and_b32_e32 v6, 15, v6
	v_lshlrev_b32_e32 v3, v8, v3
	v_sub_u32_e32 v7, 29, v7
	v_and_b32_e32 v3, 7, v3
	v_cmp_eq_u16_e32 vcc, 0, v6
	v_cndmask_b32_e32 v3, v4, v3, vcc
	v_cndmask_b32_e32 v4, v6, v7, vcc
	v_lshlrev_b32_e32 v6, 16, v5
	v_mov_b32_e32 v7, 0x3b800000
	v_lshlrev_b32_e32 v3, 20, v3
	v_and_b32_e32 v6, 0x80000000, v6
	v_lshl_add_u32 v4, v4, 23, v7
	v_or3_b32 v4, v6, v4, v3
.LBB20_496:
	s_or_b64 exec, exec, s[6:7]
	s_nop 0
	v_mfma_f32_16x16x4f32 a[0:3], v2, v4, a[0:3]
	s_movk_i32 s4, 0xff
	v_and_b32_sdwa v3, v9, s4 dst_sel:DWORD dst_unused:UNUSED_PAD src0_sel:WORD_1 src1_sel:DWORD
	s_movk_i32 s4, 0x7f
	v_cmp_lt_i16_e32 vcc, s4, v3
	s_mov_b64 s[4:5], 0
                                        ; implicit-def: $sgpr10
	s_and_saveexec_b64 s[6:7], vcc
	s_xor_b64 s[6:7], exec, s[6:7]
	s_cbranch_execnz .LBB20_2545
; %bb.497:
	s_or_saveexec_b64 s[6:7], s[6:7]
	v_mov_b32_e32 v2, s10
	s_xor_b64 exec, exec, s[6:7]
	s_cbranch_execnz .LBB20_2548
.LBB20_498:
	s_or_b64 exec, exec, s[6:7]
	s_and_saveexec_b64 s[6:7], s[4:5]
	s_cbranch_execz .LBB20_500
.LBB20_499:
	v_bfe_u32 v2, v9, 16, 3
	v_ffbh_u32_e32 v6, v2
	v_min_u32_e32 v6, 32, v6
	v_lshrrev_b32_e32 v3, 19, v9
	v_subrev_u32_e32 v7, 28, v6
	v_and_b32_e32 v3, 15, v3
	v_lshlrev_b32_sdwa v7, v7, v9 dst_sel:DWORD dst_unused:UNUSED_PAD src0_sel:DWORD src1_sel:WORD_1
	v_bfe_u32 v4, v9, 19, 4
	v_sub_u32_e32 v6, 29, v6
	v_and_b32_e32 v7, 7, v7
	v_cmp_eq_u16_e32 vcc, 0, v3
	v_cndmask_b32_e32 v2, v2, v7, vcc
	v_cndmask_b32_e32 v3, v4, v6, vcc
	v_lshlrev_b32_e32 v4, 8, v9
	v_mov_b32_e32 v6, 0x3b800000
	v_lshlrev_b32_e32 v2, 20, v2
	v_and_b32_e32 v4, 0x80000000, v4
	v_lshl_add_u32 v3, v3, 23, v6
	v_or3_b32 v2, v4, v3, v2
.LBB20_500:
	s_or_b64 exec, exec, s[6:7]
	s_movk_i32 s4, 0xff
	v_and_b32_sdwa v3, v5, s4 dst_sel:DWORD dst_unused:UNUSED_PAD src0_sel:WORD_1 src1_sel:DWORD
	s_movk_i32 s4, 0x7f
	v_cmp_lt_i16_e32 vcc, s4, v3
	s_mov_b64 s[4:5], 0
                                        ; implicit-def: $sgpr10
	s_and_saveexec_b64 s[6:7], vcc
	s_xor_b64 s[6:7], exec, s[6:7]
	s_cbranch_execnz .LBB20_2549
; %bb.501:
	s_or_saveexec_b64 s[6:7], s[6:7]
	v_mov_b32_e32 v4, s10
	s_xor_b64 exec, exec, s[6:7]
	s_cbranch_execnz .LBB20_2552
.LBB20_502:
	s_or_b64 exec, exec, s[6:7]
	s_and_saveexec_b64 s[6:7], s[4:5]
	s_cbranch_execz .LBB20_504
.LBB20_503:
	v_bfe_u32 v3, v5, 16, 3
	v_ffbh_u32_e32 v7, v3
	v_min_u32_e32 v7, 32, v7
	v_lshrrev_b32_e32 v4, 19, v5
	v_subrev_u32_e32 v8, 28, v7
	v_and_b32_e32 v4, 15, v4
	v_lshlrev_b32_sdwa v8, v8, v5 dst_sel:DWORD dst_unused:UNUSED_PAD src0_sel:DWORD src1_sel:WORD_1
	v_bfe_u32 v6, v5, 19, 4
	v_sub_u32_e32 v7, 29, v7
	v_and_b32_e32 v8, 7, v8
	v_cmp_eq_u16_e32 vcc, 0, v4
	v_cndmask_b32_e32 v3, v3, v8, vcc
	v_cndmask_b32_e32 v4, v6, v7, vcc
	v_lshlrev_b32_e32 v6, 8, v5
	v_mov_b32_e32 v7, 0x3b800000
	v_lshlrev_b32_e32 v3, 20, v3
	v_and_b32_e32 v6, 0x80000000, v6
	v_lshl_add_u32 v4, v4, 23, v7
	v_or3_b32 v4, v6, v4, v3
.LBB20_504:
	s_or_b64 exec, exec, s[6:7]
	s_nop 0
	v_mfma_f32_16x16x4f32 a[0:3], v2, v4, a[0:3]
	s_movk_i32 s4, 0x7f
	v_cmp_gt_i16_sdwa s[6:7], v9, s4 src0_sel:BYTE_3 src1_sel:DWORD
	s_mov_b64 s[4:5], 0
                                        ; implicit-def: $sgpr10
	s_and_saveexec_b64 s[8:9], s[6:7]
	s_xor_b64 s[6:7], exec, s[8:9]
	s_cbranch_execnz .LBB20_2553
; %bb.505:
	s_or_saveexec_b64 s[6:7], s[6:7]
	v_mov_b32_e32 v2, s10
	s_xor_b64 exec, exec, s[6:7]
	s_cbranch_execnz .LBB20_2556
.LBB20_506:
	s_or_b64 exec, exec, s[6:7]
	s_and_saveexec_b64 s[6:7], s[4:5]
	s_cbranch_execz .LBB20_508
.LBB20_507:
	v_bfe_u32 v2, v9, 24, 3
	v_ffbh_u32_e32 v7, v2
	v_min_u32_e32 v7, 32, v7
	v_lshrrev_b32_e32 v4, 27, v9
	v_subrev_u32_e32 v8, 28, v7
	v_and_b32_e32 v4, 15, v4
	v_lshlrev_b32_sdwa v8, v8, v9 dst_sel:DWORD dst_unused:UNUSED_PAD src0_sel:DWORD src1_sel:BYTE_3
	v_bfe_u32 v6, v9, 27, 4
	v_sub_u32_e32 v7, 29, v7
	v_and_b32_e32 v8, 7, v8
	v_cmp_eq_u16_e32 vcc, 0, v4
	v_cndmask_b32_e32 v2, v2, v8, vcc
	v_cndmask_b32_e32 v4, v6, v7, vcc
	v_mov_b32_e32 v6, 0x3b800000
	v_and_b32_e32 v3, 0x80000000, v9
	v_lshlrev_b32_e32 v2, 20, v2
	v_lshl_add_u32 v4, v4, 23, v6
	v_or3_b32 v2, v3, v4, v2
.LBB20_508:
	s_or_b64 exec, exec, s[6:7]
	s_movk_i32 s4, 0x7f
	v_cmp_gt_i16_sdwa s[6:7], v5, s4 src0_sel:BYTE_3 src1_sel:DWORD
	s_mov_b64 s[4:5], 0
                                        ; implicit-def: $sgpr10
	s_and_saveexec_b64 s[8:9], s[6:7]
	s_xor_b64 s[6:7], exec, s[8:9]
	s_cbranch_execnz .LBB20_2557
; %bb.509:
	s_or_saveexec_b64 s[6:7], s[6:7]
	v_mov_b32_e32 v3, s10
	s_xor_b64 exec, exec, s[6:7]
	s_cbranch_execnz .LBB20_2560
.LBB20_510:
	s_or_b64 exec, exec, s[6:7]
	s_and_saveexec_b64 s[6:7], s[4:5]
	s_cbranch_execz .LBB20_512
.LBB20_511:
	v_bfe_u32 v3, v5, 24, 3
	v_ffbh_u32_e32 v8, v3
	v_min_u32_e32 v8, 32, v8
	v_lshrrev_b32_e32 v6, 27, v5
	v_subrev_u32_e32 v9, 28, v8
	v_and_b32_e32 v4, 0x80000000, v5
	v_and_b32_e32 v6, 15, v6
	v_bfe_u32 v7, v5, 27, 4
	v_lshlrev_b32_sdwa v5, v9, v5 dst_sel:DWORD dst_unused:UNUSED_PAD src0_sel:DWORD src1_sel:BYTE_3
	v_sub_u32_e32 v8, 29, v8
	v_and_b32_e32 v5, 7, v5
	v_cmp_eq_u16_e32 vcc, 0, v6
	v_cndmask_b32_e32 v3, v3, v5, vcc
	v_cndmask_b32_e32 v5, v7, v8, vcc
	v_mov_b32_e32 v6, 0x3b800000
	v_lshlrev_b32_e32 v3, 20, v3
	v_lshl_add_u32 v5, v5, 23, v6
	v_or3_b32 v3, v4, v5, v3
.LBB20_512:
	s_or_b64 exec, exec, s[6:7]
	s_nop 0
	v_mfma_f32_16x16x4f32 a[0:3], v2, v3, a[0:3]
	s_movk_i32 s4, 0x7f
                                        ; implicit-def: $sgpr10
	s_nop 7
	s_nop 1
	flat_store_dwordx4 v[18:19], a[0:3] offset:272
	flat_load_dwordx4 v[20:23], v[0:1] offset:8
	s_nop 0
	flat_load_dwordx2 v[18:19], v[0:1] offset:24
	s_waitcnt vmcnt(0) lgkmcnt(0)
	flat_load_dwordx4 v[14:17], v[20:21]
	flat_load_dwordx4 v[6:9], v[20:21] offset:16
	flat_load_dwordx4 v[10:13], v[22:23] offset:64
	;; [unrolled: 1-line block ×3, first 2 shown]
	s_waitcnt vmcnt(0) lgkmcnt(0)
	v_cmp_gt_i16_sdwa s[6:7], v14, s4 src0_sel:BYTE_0 src1_sel:DWORD
	s_mov_b64 s[4:5], 0
	s_and_saveexec_b64 s[8:9], s[6:7]
	s_xor_b64 s[6:7], exec, s[8:9]
	s_cbranch_execnz .LBB20_2561
; %bb.513:
	s_or_saveexec_b64 s[6:7], s[6:7]
	v_mov_b32_e32 v20, s10
	s_xor_b64 exec, exec, s[6:7]
	s_cbranch_execnz .LBB20_2564
.LBB20_514:
	s_or_b64 exec, exec, s[6:7]
	s_and_saveexec_b64 s[6:7], s[4:5]
	s_cbranch_execz .LBB20_516
.LBB20_515:
	v_and_b32_e32 v20, 7, v14
	v_ffbh_u32_e32 v22, v20
	v_min_u32_e32 v22, 32, v22
	v_lshrrev_b16_e32 v21, 3, v14
	v_subrev_u32_e32 v23, 28, v22
	v_and_b32_e32 v21, 15, v21
	v_lshlrev_b32_e32 v23, v23, v14
	v_sub_u32_e32 v22, 29, v22
	v_and_b32_e32 v23, 7, v23
	v_cmp_eq_u16_e32 vcc, 0, v21
	v_cndmask_b32_e32 v20, v20, v23, vcc
	v_cndmask_b32_e32 v21, v21, v22, vcc
	v_lshlrev_b32_e32 v22, 24, v14
	v_mov_b32_e32 v23, 0x3b800000
	v_lshlrev_b32_e32 v20, 20, v20
	v_and_b32_e32 v22, 0x80000000, v22
	v_lshl_add_u32 v21, v21, 23, v23
	v_or3_b32 v20, v22, v21, v20
.LBB20_516:
	s_or_b64 exec, exec, s[6:7]
	s_movk_i32 s4, 0x7f
	v_cmp_gt_i16_sdwa s[6:7], v10, s4 src0_sel:BYTE_0 src1_sel:DWORD
	s_mov_b64 s[4:5], 0
                                        ; implicit-def: $sgpr10
	s_and_saveexec_b64 s[8:9], s[6:7]
	s_xor_b64 s[6:7], exec, s[8:9]
	s_cbranch_execnz .LBB20_2565
; %bb.517:
	s_or_saveexec_b64 s[6:7], s[6:7]
	v_mov_b32_e32 v21, s10
	s_xor_b64 exec, exec, s[6:7]
	s_cbranch_execnz .LBB20_2568
.LBB20_518:
	s_or_b64 exec, exec, s[6:7]
	s_and_saveexec_b64 s[6:7], s[4:5]
	s_cbranch_execz .LBB20_520
.LBB20_519:
	v_and_b32_e32 v21, 7, v10
	v_ffbh_u32_e32 v23, v21
	v_min_u32_e32 v23, 32, v23
	v_lshrrev_b16_e32 v22, 3, v10
	v_subrev_u32_e32 v24, 28, v23
	v_and_b32_e32 v22, 15, v22
	v_lshlrev_b32_e32 v24, v24, v10
	v_sub_u32_e32 v23, 29, v23
	v_and_b32_e32 v24, 7, v24
	v_cmp_eq_u16_e32 vcc, 0, v22
	v_cndmask_b32_e32 v21, v21, v24, vcc
	v_cndmask_b32_e32 v22, v22, v23, vcc
	v_lshlrev_b32_e32 v23, 24, v10
	v_mov_b32_e32 v24, 0x3b800000
	v_lshlrev_b32_e32 v21, 20, v21
	v_and_b32_e32 v23, 0x80000000, v23
	v_lshl_add_u32 v22, v22, 23, v24
	v_or3_b32 v21, v23, v22, v21
.LBB20_520:
	s_or_b64 exec, exec, s[6:7]
	flat_load_dwordx4 a[0:3], v[18:19] offset:288
	s_movk_i32 s4, 0x7f
                                        ; implicit-def: $sgpr10
	s_waitcnt vmcnt(0) lgkmcnt(0)
	v_mfma_f32_16x16x4f32 a[0:3], v20, v21, a[0:3]
	v_lshrrev_b32_e32 v21, 8, v14
	v_cmp_gt_i16_sdwa s[6:7], v21, s4 src0_sel:BYTE_0 src1_sel:DWORD
	s_mov_b64 s[4:5], 0
	s_and_saveexec_b64 s[8:9], s[6:7]
	s_xor_b64 s[6:7], exec, s[8:9]
	s_cbranch_execnz .LBB20_2569
; %bb.521:
	s_or_saveexec_b64 s[6:7], s[6:7]
	v_mov_b32_e32 v20, s10
	s_xor_b64 exec, exec, s[6:7]
	s_cbranch_execnz .LBB20_2572
.LBB20_522:
	s_or_b64 exec, exec, s[6:7]
	s_and_saveexec_b64 s[6:7], s[4:5]
	s_cbranch_execz .LBB20_524
.LBB20_523:
	v_bfe_u32 v20, v14, 8, 3
	v_ffbh_u32_e32 v23, v20
	v_min_u32_e32 v23, 32, v23
	v_lshrrev_b16_e32 v22, 3, v21
	v_subrev_u32_e32 v24, 28, v23
	v_and_b32_e32 v22, 15, v22
	v_lshlrev_b32_e32 v21, v24, v21
	v_sub_u32_e32 v23, 29, v23
	v_and_b32_e32 v21, 7, v21
	v_cmp_eq_u16_e32 vcc, 0, v22
	v_cndmask_b32_e32 v20, v20, v21, vcc
	v_cndmask_b32_e32 v21, v22, v23, vcc
	v_lshlrev_b32_e32 v22, 16, v14
	v_mov_b32_e32 v23, 0x3b800000
	v_lshlrev_b32_e32 v20, 20, v20
	v_and_b32_e32 v22, 0x80000000, v22
	v_lshl_add_u32 v21, v21, 23, v23
	v_or3_b32 v20, v22, v21, v20
.LBB20_524:
	s_or_b64 exec, exec, s[6:7]
	v_lshrrev_b32_e32 v21, 8, v10
	s_movk_i32 s4, 0x7f
	v_cmp_gt_i16_sdwa s[6:7], v21, s4 src0_sel:BYTE_0 src1_sel:DWORD
	s_mov_b64 s[4:5], 0
                                        ; implicit-def: $sgpr10
	s_and_saveexec_b64 s[8:9], s[6:7]
	s_xor_b64 s[6:7], exec, s[8:9]
	s_cbranch_execnz .LBB20_2573
; %bb.525:
	s_or_saveexec_b64 s[6:7], s[6:7]
	v_mov_b32_e32 v22, s10
	s_xor_b64 exec, exec, s[6:7]
	s_cbranch_execnz .LBB20_2576
.LBB20_526:
	s_or_b64 exec, exec, s[6:7]
	s_and_saveexec_b64 s[6:7], s[4:5]
	s_cbranch_execz .LBB20_528
.LBB20_527:
	v_bfe_u32 v22, v10, 8, 3
	v_ffbh_u32_e32 v24, v22
	v_min_u32_e32 v24, 32, v24
	v_lshrrev_b16_e32 v23, 3, v21
	v_subrev_u32_e32 v25, 28, v24
	v_and_b32_e32 v23, 15, v23
	v_lshlrev_b32_e32 v21, v25, v21
	v_sub_u32_e32 v24, 29, v24
	v_and_b32_e32 v21, 7, v21
	v_cmp_eq_u16_e32 vcc, 0, v23
	v_cndmask_b32_e32 v21, v22, v21, vcc
	v_cndmask_b32_e32 v22, v23, v24, vcc
	v_lshlrev_b32_e32 v23, 16, v10
	v_mov_b32_e32 v24, 0x3b800000
	v_lshlrev_b32_e32 v21, 20, v21
	v_and_b32_e32 v23, 0x80000000, v23
	v_lshl_add_u32 v22, v22, 23, v24
	v_or3_b32 v22, v23, v22, v21
.LBB20_528:
	s_or_b64 exec, exec, s[6:7]
	s_nop 0
	v_mfma_f32_16x16x4f32 a[0:3], v20, v22, a[0:3]
	s_movk_i32 s4, 0xff
	v_and_b32_sdwa v21, v14, s4 dst_sel:DWORD dst_unused:UNUSED_PAD src0_sel:WORD_1 src1_sel:DWORD
	s_movk_i32 s4, 0x7f
	v_cmp_lt_i16_e32 vcc, s4, v21
	s_mov_b64 s[4:5], 0
                                        ; implicit-def: $sgpr10
	s_and_saveexec_b64 s[6:7], vcc
	s_xor_b64 s[6:7], exec, s[6:7]
	s_cbranch_execnz .LBB20_2577
; %bb.529:
	s_or_saveexec_b64 s[6:7], s[6:7]
	v_mov_b32_e32 v20, s10
	s_xor_b64 exec, exec, s[6:7]
	s_cbranch_execnz .LBB20_2580
.LBB20_530:
	s_or_b64 exec, exec, s[6:7]
	s_and_saveexec_b64 s[6:7], s[4:5]
	s_cbranch_execz .LBB20_532
.LBB20_531:
	v_bfe_u32 v20, v14, 16, 3
	v_ffbh_u32_e32 v23, v20
	v_min_u32_e32 v23, 32, v23
	v_lshrrev_b32_e32 v21, 19, v14
	v_subrev_u32_e32 v24, 28, v23
	v_and_b32_e32 v21, 15, v21
	v_lshlrev_b32_sdwa v24, v24, v14 dst_sel:DWORD dst_unused:UNUSED_PAD src0_sel:DWORD src1_sel:WORD_1
	v_bfe_u32 v22, v14, 19, 4
	v_sub_u32_e32 v23, 29, v23
	v_and_b32_e32 v24, 7, v24
	v_cmp_eq_u16_e32 vcc, 0, v21
	v_cndmask_b32_e32 v20, v20, v24, vcc
	v_cndmask_b32_e32 v21, v22, v23, vcc
	v_lshlrev_b32_e32 v22, 8, v14
	v_mov_b32_e32 v23, 0x3b800000
	v_lshlrev_b32_e32 v20, 20, v20
	v_and_b32_e32 v22, 0x80000000, v22
	v_lshl_add_u32 v21, v21, 23, v23
	v_or3_b32 v20, v22, v21, v20
.LBB20_532:
	s_or_b64 exec, exec, s[6:7]
	s_movk_i32 s4, 0xff
	v_and_b32_sdwa v21, v10, s4 dst_sel:DWORD dst_unused:UNUSED_PAD src0_sel:WORD_1 src1_sel:DWORD
	s_movk_i32 s4, 0x7f
	v_cmp_lt_i16_e32 vcc, s4, v21
	s_mov_b64 s[4:5], 0
                                        ; implicit-def: $sgpr10
	s_and_saveexec_b64 s[6:7], vcc
	s_xor_b64 s[6:7], exec, s[6:7]
	s_cbranch_execnz .LBB20_2581
; %bb.533:
	s_or_saveexec_b64 s[6:7], s[6:7]
	v_mov_b32_e32 v22, s10
	s_xor_b64 exec, exec, s[6:7]
	s_cbranch_execnz .LBB20_2584
.LBB20_534:
	s_or_b64 exec, exec, s[6:7]
	s_and_saveexec_b64 s[6:7], s[4:5]
	s_cbranch_execz .LBB20_536
.LBB20_535:
	v_bfe_u32 v21, v10, 16, 3
	v_ffbh_u32_e32 v24, v21
	v_min_u32_e32 v24, 32, v24
	v_lshrrev_b32_e32 v22, 19, v10
	v_subrev_u32_e32 v25, 28, v24
	v_and_b32_e32 v22, 15, v22
	v_lshlrev_b32_sdwa v25, v25, v10 dst_sel:DWORD dst_unused:UNUSED_PAD src0_sel:DWORD src1_sel:WORD_1
	v_bfe_u32 v23, v10, 19, 4
	v_sub_u32_e32 v24, 29, v24
	v_and_b32_e32 v25, 7, v25
	v_cmp_eq_u16_e32 vcc, 0, v22
	v_cndmask_b32_e32 v21, v21, v25, vcc
	v_cndmask_b32_e32 v22, v23, v24, vcc
	v_lshlrev_b32_e32 v23, 8, v10
	v_mov_b32_e32 v24, 0x3b800000
	v_lshlrev_b32_e32 v21, 20, v21
	v_and_b32_e32 v23, 0x80000000, v23
	v_lshl_add_u32 v22, v22, 23, v24
	v_or3_b32 v22, v23, v22, v21
.LBB20_536:
	s_or_b64 exec, exec, s[6:7]
	s_nop 0
	v_mfma_f32_16x16x4f32 a[0:3], v20, v22, a[0:3]
	s_movk_i32 s4, 0x7f
	v_cmp_gt_i16_sdwa s[6:7], v14, s4 src0_sel:BYTE_3 src1_sel:DWORD
	s_mov_b64 s[4:5], 0
                                        ; implicit-def: $sgpr10
	s_and_saveexec_b64 s[8:9], s[6:7]
	s_xor_b64 s[6:7], exec, s[8:9]
	s_cbranch_execnz .LBB20_2585
; %bb.537:
	s_or_saveexec_b64 s[6:7], s[6:7]
	v_mov_b32_e32 v20, s10
	s_xor_b64 exec, exec, s[6:7]
	s_cbranch_execnz .LBB20_2588
.LBB20_538:
	s_or_b64 exec, exec, s[6:7]
	s_and_saveexec_b64 s[6:7], s[4:5]
	s_cbranch_execz .LBB20_540
.LBB20_539:
	v_bfe_u32 v20, v14, 24, 3
	v_ffbh_u32_e32 v24, v20
	v_min_u32_e32 v24, 32, v24
	v_lshrrev_b32_e32 v22, 27, v14
	v_subrev_u32_e32 v25, 28, v24
	v_and_b32_e32 v21, 0x80000000, v14
	v_and_b32_e32 v22, 15, v22
	v_bfe_u32 v23, v14, 27, 4
	v_lshlrev_b32_sdwa v14, v25, v14 dst_sel:DWORD dst_unused:UNUSED_PAD src0_sel:DWORD src1_sel:BYTE_3
	v_sub_u32_e32 v24, 29, v24
	v_and_b32_e32 v14, 7, v14
	v_cmp_eq_u16_e32 vcc, 0, v22
	v_cndmask_b32_e32 v14, v20, v14, vcc
	v_cndmask_b32_e32 v20, v23, v24, vcc
	v_mov_b32_e32 v22, 0x3b800000
	v_lshlrev_b32_e32 v14, 20, v14
	v_lshl_add_u32 v20, v20, 23, v22
	v_or3_b32 v20, v21, v20, v14
.LBB20_540:
	s_or_b64 exec, exec, s[6:7]
	s_movk_i32 s4, 0x7f
	v_cmp_gt_i16_sdwa s[6:7], v10, s4 src0_sel:BYTE_3 src1_sel:DWORD
	s_mov_b64 s[4:5], 0
                                        ; implicit-def: $sgpr10
	s_and_saveexec_b64 s[8:9], s[6:7]
	s_xor_b64 s[6:7], exec, s[8:9]
	s_cbranch_execnz .LBB20_2589
; %bb.541:
	s_or_saveexec_b64 s[6:7], s[6:7]
	v_mov_b32_e32 v14, s10
	s_xor_b64 exec, exec, s[6:7]
	s_cbranch_execnz .LBB20_2592
.LBB20_542:
	s_or_b64 exec, exec, s[6:7]
	s_and_saveexec_b64 s[6:7], s[4:5]
	s_cbranch_execz .LBB20_544
.LBB20_543:
	v_bfe_u32 v14, v10, 24, 3
	v_ffbh_u32_e32 v24, v14
	v_min_u32_e32 v24, 32, v24
	v_lshrrev_b32_e32 v22, 27, v10
	v_subrev_u32_e32 v25, 28, v24
	v_and_b32_e32 v21, 0x80000000, v10
	v_and_b32_e32 v22, 15, v22
	v_bfe_u32 v23, v10, 27, 4
	v_lshlrev_b32_sdwa v10, v25, v10 dst_sel:DWORD dst_unused:UNUSED_PAD src0_sel:DWORD src1_sel:BYTE_3
	v_sub_u32_e32 v24, 29, v24
	v_and_b32_e32 v10, 7, v10
	v_cmp_eq_u16_e32 vcc, 0, v22
	v_cndmask_b32_e32 v10, v14, v10, vcc
	v_cndmask_b32_e32 v14, v23, v24, vcc
	v_mov_b32_e32 v22, 0x3b800000
	v_lshlrev_b32_e32 v10, 20, v10
	v_lshl_add_u32 v14, v14, 23, v22
	v_or3_b32 v14, v21, v14, v10
.LBB20_544:
	s_or_b64 exec, exec, s[6:7]
	s_nop 0
	v_mfma_f32_16x16x4f32 a[0:3], v20, v14, a[0:3]
	s_movk_i32 s4, 0x7f
	v_cmp_gt_i16_sdwa s[6:7], v15, s4 src0_sel:BYTE_0 src1_sel:DWORD
	s_mov_b64 s[4:5], 0
                                        ; implicit-def: $sgpr10
	s_and_saveexec_b64 s[8:9], s[6:7]
	s_xor_b64 s[6:7], exec, s[8:9]
	s_cbranch_execnz .LBB20_2593
; %bb.545:
	s_or_saveexec_b64 s[6:7], s[6:7]
	v_mov_b32_e32 v10, s10
	s_xor_b64 exec, exec, s[6:7]
	s_cbranch_execnz .LBB20_2596
.LBB20_546:
	s_or_b64 exec, exec, s[6:7]
	s_and_saveexec_b64 s[6:7], s[4:5]
	s_cbranch_execz .LBB20_548
.LBB20_547:
	v_and_b32_e32 v10, 7, v15
	v_ffbh_u32_e32 v20, v10
	v_min_u32_e32 v20, 32, v20
	v_lshrrev_b16_e32 v14, 3, v15
	v_subrev_u32_e32 v21, 28, v20
	v_and_b32_e32 v14, 15, v14
	v_lshlrev_b32_e32 v21, v21, v15
	v_sub_u32_e32 v20, 29, v20
	v_and_b32_e32 v21, 7, v21
	v_cmp_eq_u16_e32 vcc, 0, v14
	v_cndmask_b32_e32 v10, v10, v21, vcc
	v_cndmask_b32_e32 v14, v14, v20, vcc
	v_lshlrev_b32_e32 v20, 24, v15
	v_mov_b32_e32 v21, 0x3b800000
	v_lshlrev_b32_e32 v10, 20, v10
	v_and_b32_e32 v20, 0x80000000, v20
	v_lshl_add_u32 v14, v14, 23, v21
	v_or3_b32 v10, v20, v14, v10
.LBB20_548:
	s_or_b64 exec, exec, s[6:7]
	s_movk_i32 s4, 0x7f
	v_cmp_gt_i16_sdwa s[6:7], v11, s4 src0_sel:BYTE_0 src1_sel:DWORD
	s_mov_b64 s[4:5], 0
                                        ; implicit-def: $sgpr10
	s_and_saveexec_b64 s[8:9], s[6:7]
	s_xor_b64 s[6:7], exec, s[8:9]
	s_cbranch_execnz .LBB20_2597
; %bb.549:
	s_or_saveexec_b64 s[6:7], s[6:7]
	v_mov_b32_e32 v14, s10
	s_xor_b64 exec, exec, s[6:7]
	s_cbranch_execnz .LBB20_2600
.LBB20_550:
	s_or_b64 exec, exec, s[6:7]
	s_and_saveexec_b64 s[6:7], s[4:5]
	s_cbranch_execz .LBB20_552
.LBB20_551:
	v_and_b32_e32 v14, 7, v11
	v_ffbh_u32_e32 v21, v14
	v_min_u32_e32 v21, 32, v21
	v_lshrrev_b16_e32 v20, 3, v11
	v_subrev_u32_e32 v22, 28, v21
	v_and_b32_e32 v20, 15, v20
	v_lshlrev_b32_e32 v22, v22, v11
	v_sub_u32_e32 v21, 29, v21
	v_and_b32_e32 v22, 7, v22
	v_cmp_eq_u16_e32 vcc, 0, v20
	v_cndmask_b32_e32 v14, v14, v22, vcc
	v_cndmask_b32_e32 v20, v20, v21, vcc
	v_lshlrev_b32_e32 v21, 24, v11
	v_mov_b32_e32 v22, 0x3b800000
	v_lshlrev_b32_e32 v14, 20, v14
	v_and_b32_e32 v21, 0x80000000, v21
	v_lshl_add_u32 v20, v20, 23, v22
	v_or3_b32 v14, v21, v20, v14
.LBB20_552:
	s_or_b64 exec, exec, s[6:7]
	s_nop 0
	v_mfma_f32_16x16x4f32 a[0:3], v10, v14, a[0:3]
	v_lshrrev_b32_e32 v14, 8, v15
	s_movk_i32 s4, 0x7f
	v_cmp_gt_i16_sdwa s[6:7], v14, s4 src0_sel:BYTE_0 src1_sel:DWORD
	s_mov_b64 s[4:5], 0
                                        ; implicit-def: $sgpr10
	s_and_saveexec_b64 s[8:9], s[6:7]
	s_xor_b64 s[6:7], exec, s[8:9]
	s_cbranch_execnz .LBB20_2601
; %bb.553:
	s_or_saveexec_b64 s[6:7], s[6:7]
	v_mov_b32_e32 v10, s10
	s_xor_b64 exec, exec, s[6:7]
	s_cbranch_execnz .LBB20_2604
.LBB20_554:
	s_or_b64 exec, exec, s[6:7]
	s_and_saveexec_b64 s[6:7], s[4:5]
	s_cbranch_execz .LBB20_556
.LBB20_555:
	v_bfe_u32 v10, v15, 8, 3
	v_ffbh_u32_e32 v21, v10
	v_min_u32_e32 v21, 32, v21
	v_lshrrev_b16_e32 v20, 3, v14
	v_subrev_u32_e32 v22, 28, v21
	v_and_b32_e32 v20, 15, v20
	v_lshlrev_b32_e32 v14, v22, v14
	v_sub_u32_e32 v21, 29, v21
	v_and_b32_e32 v14, 7, v14
	v_cmp_eq_u16_e32 vcc, 0, v20
	v_cndmask_b32_e32 v10, v10, v14, vcc
	v_cndmask_b32_e32 v14, v20, v21, vcc
	v_lshlrev_b32_e32 v20, 16, v15
	v_mov_b32_e32 v21, 0x3b800000
	v_lshlrev_b32_e32 v10, 20, v10
	v_and_b32_e32 v20, 0x80000000, v20
	v_lshl_add_u32 v14, v14, 23, v21
	v_or3_b32 v10, v20, v14, v10
.LBB20_556:
	s_or_b64 exec, exec, s[6:7]
	v_lshrrev_b32_e32 v14, 8, v11
	s_movk_i32 s4, 0x7f
	v_cmp_gt_i16_sdwa s[6:7], v14, s4 src0_sel:BYTE_0 src1_sel:DWORD
	s_mov_b64 s[4:5], 0
                                        ; implicit-def: $sgpr10
	s_and_saveexec_b64 s[8:9], s[6:7]
	s_xor_b64 s[6:7], exec, s[8:9]
	s_cbranch_execnz .LBB20_2605
; %bb.557:
	s_or_saveexec_b64 s[6:7], s[6:7]
	v_mov_b32_e32 v20, s10
	s_xor_b64 exec, exec, s[6:7]
	s_cbranch_execnz .LBB20_2608
.LBB20_558:
	s_or_b64 exec, exec, s[6:7]
	s_and_saveexec_b64 s[6:7], s[4:5]
	s_cbranch_execz .LBB20_560
.LBB20_559:
	v_bfe_u32 v20, v11, 8, 3
	v_ffbh_u32_e32 v22, v20
	v_min_u32_e32 v22, 32, v22
	v_lshrrev_b16_e32 v21, 3, v14
	v_subrev_u32_e32 v23, 28, v22
	v_and_b32_e32 v21, 15, v21
	v_lshlrev_b32_e32 v14, v23, v14
	v_sub_u32_e32 v22, 29, v22
	v_and_b32_e32 v14, 7, v14
	v_cmp_eq_u16_e32 vcc, 0, v21
	v_cndmask_b32_e32 v14, v20, v14, vcc
	v_cndmask_b32_e32 v20, v21, v22, vcc
	v_lshlrev_b32_e32 v21, 16, v11
	v_mov_b32_e32 v22, 0x3b800000
	v_lshlrev_b32_e32 v14, 20, v14
	v_and_b32_e32 v21, 0x80000000, v21
	v_lshl_add_u32 v20, v20, 23, v22
	v_or3_b32 v20, v21, v20, v14
.LBB20_560:
	s_or_b64 exec, exec, s[6:7]
	s_nop 0
	v_mfma_f32_16x16x4f32 a[0:3], v10, v20, a[0:3]
	s_movk_i32 s4, 0xff
	v_and_b32_sdwa v14, v15, s4 dst_sel:DWORD dst_unused:UNUSED_PAD src0_sel:WORD_1 src1_sel:DWORD
	s_movk_i32 s4, 0x7f
	v_cmp_lt_i16_e32 vcc, s4, v14
	s_mov_b64 s[4:5], 0
                                        ; implicit-def: $sgpr10
	s_and_saveexec_b64 s[6:7], vcc
	s_xor_b64 s[6:7], exec, s[6:7]
	s_cbranch_execnz .LBB20_2609
; %bb.561:
	s_or_saveexec_b64 s[6:7], s[6:7]
	v_mov_b32_e32 v10, s10
	s_xor_b64 exec, exec, s[6:7]
	s_cbranch_execnz .LBB20_2612
.LBB20_562:
	s_or_b64 exec, exec, s[6:7]
	s_and_saveexec_b64 s[6:7], s[4:5]
	s_cbranch_execz .LBB20_564
.LBB20_563:
	v_bfe_u32 v10, v15, 16, 3
	v_ffbh_u32_e32 v21, v10
	v_min_u32_e32 v21, 32, v21
	v_lshrrev_b32_e32 v14, 19, v15
	v_subrev_u32_e32 v22, 28, v21
	v_and_b32_e32 v14, 15, v14
	v_lshlrev_b32_sdwa v22, v22, v15 dst_sel:DWORD dst_unused:UNUSED_PAD src0_sel:DWORD src1_sel:WORD_1
	v_bfe_u32 v20, v15, 19, 4
	v_sub_u32_e32 v21, 29, v21
	v_and_b32_e32 v22, 7, v22
	v_cmp_eq_u16_e32 vcc, 0, v14
	v_cndmask_b32_e32 v10, v10, v22, vcc
	v_cndmask_b32_e32 v14, v20, v21, vcc
	v_lshlrev_b32_e32 v20, 8, v15
	v_mov_b32_e32 v21, 0x3b800000
	v_lshlrev_b32_e32 v10, 20, v10
	v_and_b32_e32 v20, 0x80000000, v20
	v_lshl_add_u32 v14, v14, 23, v21
	v_or3_b32 v10, v20, v14, v10
.LBB20_564:
	s_or_b64 exec, exec, s[6:7]
	s_movk_i32 s4, 0xff
	v_and_b32_sdwa v14, v11, s4 dst_sel:DWORD dst_unused:UNUSED_PAD src0_sel:WORD_1 src1_sel:DWORD
	s_movk_i32 s4, 0x7f
	v_cmp_lt_i16_e32 vcc, s4, v14
	s_mov_b64 s[4:5], 0
                                        ; implicit-def: $sgpr10
	s_and_saveexec_b64 s[6:7], vcc
	s_xor_b64 s[6:7], exec, s[6:7]
	s_cbranch_execnz .LBB20_2613
; %bb.565:
	s_or_saveexec_b64 s[6:7], s[6:7]
	v_mov_b32_e32 v20, s10
	s_xor_b64 exec, exec, s[6:7]
	s_cbranch_execnz .LBB20_2616
.LBB20_566:
	s_or_b64 exec, exec, s[6:7]
	s_and_saveexec_b64 s[6:7], s[4:5]
	s_cbranch_execz .LBB20_568
.LBB20_567:
	v_bfe_u32 v14, v11, 16, 3
	v_ffbh_u32_e32 v22, v14
	v_min_u32_e32 v22, 32, v22
	v_lshrrev_b32_e32 v20, 19, v11
	v_subrev_u32_e32 v23, 28, v22
	v_and_b32_e32 v20, 15, v20
	v_lshlrev_b32_sdwa v23, v23, v11 dst_sel:DWORD dst_unused:UNUSED_PAD src0_sel:DWORD src1_sel:WORD_1
	v_bfe_u32 v21, v11, 19, 4
	v_sub_u32_e32 v22, 29, v22
	v_and_b32_e32 v23, 7, v23
	v_cmp_eq_u16_e32 vcc, 0, v20
	v_cndmask_b32_e32 v14, v14, v23, vcc
	v_cndmask_b32_e32 v20, v21, v22, vcc
	v_lshlrev_b32_e32 v21, 8, v11
	v_mov_b32_e32 v22, 0x3b800000
	v_lshlrev_b32_e32 v14, 20, v14
	v_and_b32_e32 v21, 0x80000000, v21
	v_lshl_add_u32 v20, v20, 23, v22
	v_or3_b32 v20, v21, v20, v14
.LBB20_568:
	s_or_b64 exec, exec, s[6:7]
	s_nop 0
	v_mfma_f32_16x16x4f32 a[0:3], v10, v20, a[0:3]
	s_movk_i32 s4, 0x7f
	v_cmp_gt_i16_sdwa s[6:7], v15, s4 src0_sel:BYTE_3 src1_sel:DWORD
	s_mov_b64 s[4:5], 0
                                        ; implicit-def: $sgpr10
	s_and_saveexec_b64 s[8:9], s[6:7]
	s_xor_b64 s[6:7], exec, s[8:9]
	s_cbranch_execnz .LBB20_2617
; %bb.569:
	s_or_saveexec_b64 s[6:7], s[6:7]
	v_mov_b32_e32 v10, s10
	s_xor_b64 exec, exec, s[6:7]
	s_cbranch_execnz .LBB20_2620
.LBB20_570:
	s_or_b64 exec, exec, s[6:7]
	s_and_saveexec_b64 s[6:7], s[4:5]
	s_cbranch_execz .LBB20_572
.LBB20_571:
	v_bfe_u32 v10, v15, 24, 3
	v_ffbh_u32_e32 v22, v10
	v_min_u32_e32 v22, 32, v22
	v_lshrrev_b32_e32 v20, 27, v15
	v_subrev_u32_e32 v23, 28, v22
	v_and_b32_e32 v14, 0x80000000, v15
	v_and_b32_e32 v20, 15, v20
	v_bfe_u32 v21, v15, 27, 4
	v_lshlrev_b32_sdwa v15, v23, v15 dst_sel:DWORD dst_unused:UNUSED_PAD src0_sel:DWORD src1_sel:BYTE_3
	v_sub_u32_e32 v22, 29, v22
	v_and_b32_e32 v15, 7, v15
	v_cmp_eq_u16_e32 vcc, 0, v20
	v_cndmask_b32_e32 v10, v10, v15, vcc
	v_cndmask_b32_e32 v15, v21, v22, vcc
	v_mov_b32_e32 v20, 0x3b800000
	v_lshlrev_b32_e32 v10, 20, v10
	v_lshl_add_u32 v15, v15, 23, v20
	v_or3_b32 v10, v14, v15, v10
.LBB20_572:
	s_or_b64 exec, exec, s[6:7]
	s_movk_i32 s4, 0x7f
	v_cmp_gt_i16_sdwa s[6:7], v11, s4 src0_sel:BYTE_3 src1_sel:DWORD
	s_mov_b64 s[4:5], 0
                                        ; implicit-def: $sgpr10
	s_and_saveexec_b64 s[8:9], s[6:7]
	s_xor_b64 s[6:7], exec, s[8:9]
	s_cbranch_execnz .LBB20_2621
; %bb.573:
	s_or_saveexec_b64 s[6:7], s[6:7]
	v_mov_b32_e32 v14, s10
	s_xor_b64 exec, exec, s[6:7]
	s_cbranch_execnz .LBB20_2624
.LBB20_574:
	s_or_b64 exec, exec, s[6:7]
	s_and_saveexec_b64 s[6:7], s[4:5]
	s_cbranch_execz .LBB20_576
.LBB20_575:
	v_bfe_u32 v14, v11, 24, 3
	v_ffbh_u32_e32 v22, v14
	v_min_u32_e32 v22, 32, v22
	v_lshrrev_b32_e32 v20, 27, v11
	v_subrev_u32_e32 v23, 28, v22
	v_and_b32_e32 v15, 0x80000000, v11
	v_and_b32_e32 v20, 15, v20
	v_bfe_u32 v21, v11, 27, 4
	v_lshlrev_b32_sdwa v11, v23, v11 dst_sel:DWORD dst_unused:UNUSED_PAD src0_sel:DWORD src1_sel:BYTE_3
	v_sub_u32_e32 v22, 29, v22
	v_and_b32_e32 v11, 7, v11
	v_cmp_eq_u16_e32 vcc, 0, v20
	v_cndmask_b32_e32 v11, v14, v11, vcc
	v_cndmask_b32_e32 v14, v21, v22, vcc
	v_mov_b32_e32 v20, 0x3b800000
	v_lshlrev_b32_e32 v11, 20, v11
	v_lshl_add_u32 v14, v14, 23, v20
	v_or3_b32 v14, v15, v14, v11
.LBB20_576:
	s_or_b64 exec, exec, s[6:7]
	s_nop 0
	v_mfma_f32_16x16x4f32 a[0:3], v10, v14, a[0:3]
	s_movk_i32 s4, 0x7f
	v_cmp_gt_i16_sdwa s[6:7], v16, s4 src0_sel:BYTE_0 src1_sel:DWORD
	s_mov_b64 s[4:5], 0
                                        ; implicit-def: $sgpr10
	s_and_saveexec_b64 s[8:9], s[6:7]
	s_xor_b64 s[6:7], exec, s[8:9]
	s_cbranch_execnz .LBB20_2625
; %bb.577:
	s_or_saveexec_b64 s[6:7], s[6:7]
	v_mov_b32_e32 v10, s10
	s_xor_b64 exec, exec, s[6:7]
	s_cbranch_execnz .LBB20_2628
.LBB20_578:
	s_or_b64 exec, exec, s[6:7]
	s_and_saveexec_b64 s[6:7], s[4:5]
	s_cbranch_execz .LBB20_580
.LBB20_579:
	v_and_b32_e32 v10, 7, v16
	v_ffbh_u32_e32 v14, v10
	v_min_u32_e32 v14, 32, v14
	v_lshrrev_b16_e32 v11, 3, v16
	v_subrev_u32_e32 v15, 28, v14
	v_and_b32_e32 v11, 15, v11
	v_lshlrev_b32_e32 v15, v15, v16
	v_sub_u32_e32 v14, 29, v14
	v_and_b32_e32 v15, 7, v15
	v_cmp_eq_u16_e32 vcc, 0, v11
	v_cndmask_b32_e32 v10, v10, v15, vcc
	v_cndmask_b32_e32 v11, v11, v14, vcc
	v_lshlrev_b32_e32 v14, 24, v16
	v_mov_b32_e32 v15, 0x3b800000
	v_lshlrev_b32_e32 v10, 20, v10
	v_and_b32_e32 v14, 0x80000000, v14
	v_lshl_add_u32 v11, v11, 23, v15
	v_or3_b32 v10, v14, v11, v10
.LBB20_580:
	s_or_b64 exec, exec, s[6:7]
	s_movk_i32 s4, 0x7f
	v_cmp_gt_i16_sdwa s[6:7], v12, s4 src0_sel:BYTE_0 src1_sel:DWORD
	s_mov_b64 s[4:5], 0
                                        ; implicit-def: $sgpr10
	s_and_saveexec_b64 s[8:9], s[6:7]
	s_xor_b64 s[6:7], exec, s[8:9]
	s_cbranch_execnz .LBB20_2629
; %bb.581:
	s_or_saveexec_b64 s[6:7], s[6:7]
	v_mov_b32_e32 v11, s10
	s_xor_b64 exec, exec, s[6:7]
	s_cbranch_execnz .LBB20_2632
.LBB20_582:
	s_or_b64 exec, exec, s[6:7]
	s_and_saveexec_b64 s[6:7], s[4:5]
	s_cbranch_execz .LBB20_584
.LBB20_583:
	v_and_b32_e32 v11, 7, v12
	v_ffbh_u32_e32 v15, v11
	v_min_u32_e32 v15, 32, v15
	v_lshrrev_b16_e32 v14, 3, v12
	v_subrev_u32_e32 v20, 28, v15
	v_and_b32_e32 v14, 15, v14
	v_lshlrev_b32_e32 v20, v20, v12
	v_sub_u32_e32 v15, 29, v15
	v_and_b32_e32 v20, 7, v20
	v_cmp_eq_u16_e32 vcc, 0, v14
	v_cndmask_b32_e32 v11, v11, v20, vcc
	v_cndmask_b32_e32 v14, v14, v15, vcc
	v_lshlrev_b32_e32 v15, 24, v12
	v_mov_b32_e32 v20, 0x3b800000
	v_lshlrev_b32_e32 v11, 20, v11
	v_and_b32_e32 v15, 0x80000000, v15
	v_lshl_add_u32 v14, v14, 23, v20
	v_or3_b32 v11, v15, v14, v11
.LBB20_584:
	s_or_b64 exec, exec, s[6:7]
	s_nop 0
	v_mfma_f32_16x16x4f32 a[0:3], v10, v11, a[0:3]
	v_lshrrev_b32_e32 v11, 8, v16
	s_movk_i32 s4, 0x7f
	v_cmp_gt_i16_sdwa s[6:7], v11, s4 src0_sel:BYTE_0 src1_sel:DWORD
	s_mov_b64 s[4:5], 0
                                        ; implicit-def: $sgpr10
	s_and_saveexec_b64 s[8:9], s[6:7]
	s_xor_b64 s[6:7], exec, s[8:9]
	s_cbranch_execnz .LBB20_2633
; %bb.585:
	s_or_saveexec_b64 s[6:7], s[6:7]
	v_mov_b32_e32 v10, s10
	s_xor_b64 exec, exec, s[6:7]
	s_cbranch_execnz .LBB20_2636
.LBB20_586:
	s_or_b64 exec, exec, s[6:7]
	s_and_saveexec_b64 s[6:7], s[4:5]
	s_cbranch_execz .LBB20_588
.LBB20_587:
	v_bfe_u32 v10, v16, 8, 3
	v_ffbh_u32_e32 v15, v10
	v_min_u32_e32 v15, 32, v15
	v_lshrrev_b16_e32 v14, 3, v11
	v_subrev_u32_e32 v20, 28, v15
	v_and_b32_e32 v14, 15, v14
	v_lshlrev_b32_e32 v11, v20, v11
	v_sub_u32_e32 v15, 29, v15
	v_and_b32_e32 v11, 7, v11
	v_cmp_eq_u16_e32 vcc, 0, v14
	v_cndmask_b32_e32 v10, v10, v11, vcc
	v_cndmask_b32_e32 v11, v14, v15, vcc
	v_lshlrev_b32_e32 v14, 16, v16
	v_mov_b32_e32 v15, 0x3b800000
	v_lshlrev_b32_e32 v10, 20, v10
	v_and_b32_e32 v14, 0x80000000, v14
	v_lshl_add_u32 v11, v11, 23, v15
	v_or3_b32 v10, v14, v11, v10
.LBB20_588:
	s_or_b64 exec, exec, s[6:7]
	v_lshrrev_b32_e32 v11, 8, v12
	s_movk_i32 s4, 0x7f
	v_cmp_gt_i16_sdwa s[6:7], v11, s4 src0_sel:BYTE_0 src1_sel:DWORD
	s_mov_b64 s[4:5], 0
                                        ; implicit-def: $sgpr10
	s_and_saveexec_b64 s[8:9], s[6:7]
	s_xor_b64 s[6:7], exec, s[8:9]
	s_cbranch_execnz .LBB20_2637
; %bb.589:
	s_or_saveexec_b64 s[6:7], s[6:7]
	v_mov_b32_e32 v14, s10
	s_xor_b64 exec, exec, s[6:7]
	s_cbranch_execnz .LBB20_2640
.LBB20_590:
	s_or_b64 exec, exec, s[6:7]
	s_and_saveexec_b64 s[6:7], s[4:5]
	s_cbranch_execz .LBB20_592
.LBB20_591:
	v_bfe_u32 v14, v12, 8, 3
	v_ffbh_u32_e32 v20, v14
	v_min_u32_e32 v20, 32, v20
	v_lshrrev_b16_e32 v15, 3, v11
	v_subrev_u32_e32 v21, 28, v20
	v_and_b32_e32 v15, 15, v15
	v_lshlrev_b32_e32 v11, v21, v11
	v_sub_u32_e32 v20, 29, v20
	v_and_b32_e32 v11, 7, v11
	v_cmp_eq_u16_e32 vcc, 0, v15
	v_cndmask_b32_e32 v11, v14, v11, vcc
	v_cndmask_b32_e32 v14, v15, v20, vcc
	v_lshlrev_b32_e32 v15, 16, v12
	v_mov_b32_e32 v20, 0x3b800000
	v_lshlrev_b32_e32 v11, 20, v11
	v_and_b32_e32 v15, 0x80000000, v15
	v_lshl_add_u32 v14, v14, 23, v20
	v_or3_b32 v14, v15, v14, v11
.LBB20_592:
	s_or_b64 exec, exec, s[6:7]
	s_nop 0
	v_mfma_f32_16x16x4f32 a[0:3], v10, v14, a[0:3]
	s_movk_i32 s4, 0xff
	v_and_b32_sdwa v11, v16, s4 dst_sel:DWORD dst_unused:UNUSED_PAD src0_sel:WORD_1 src1_sel:DWORD
	s_movk_i32 s4, 0x7f
	v_cmp_lt_i16_e32 vcc, s4, v11
	s_mov_b64 s[4:5], 0
                                        ; implicit-def: $sgpr10
	s_and_saveexec_b64 s[6:7], vcc
	s_xor_b64 s[6:7], exec, s[6:7]
	s_cbranch_execnz .LBB20_2641
; %bb.593:
	s_or_saveexec_b64 s[6:7], s[6:7]
	v_mov_b32_e32 v10, s10
	s_xor_b64 exec, exec, s[6:7]
	s_cbranch_execnz .LBB20_2644
.LBB20_594:
	s_or_b64 exec, exec, s[6:7]
	s_and_saveexec_b64 s[6:7], s[4:5]
	s_cbranch_execz .LBB20_596
.LBB20_595:
	v_bfe_u32 v10, v16, 16, 3
	v_ffbh_u32_e32 v15, v10
	v_min_u32_e32 v15, 32, v15
	v_lshrrev_b32_e32 v11, 19, v16
	v_subrev_u32_e32 v20, 28, v15
	v_and_b32_e32 v11, 15, v11
	v_lshlrev_b32_sdwa v20, v20, v16 dst_sel:DWORD dst_unused:UNUSED_PAD src0_sel:DWORD src1_sel:WORD_1
	v_bfe_u32 v14, v16, 19, 4
	v_sub_u32_e32 v15, 29, v15
	v_and_b32_e32 v20, 7, v20
	v_cmp_eq_u16_e32 vcc, 0, v11
	v_cndmask_b32_e32 v10, v10, v20, vcc
	v_cndmask_b32_e32 v11, v14, v15, vcc
	v_lshlrev_b32_e32 v14, 8, v16
	v_mov_b32_e32 v15, 0x3b800000
	v_lshlrev_b32_e32 v10, 20, v10
	v_and_b32_e32 v14, 0x80000000, v14
	v_lshl_add_u32 v11, v11, 23, v15
	v_or3_b32 v10, v14, v11, v10
.LBB20_596:
	s_or_b64 exec, exec, s[6:7]
	s_movk_i32 s4, 0xff
	v_and_b32_sdwa v11, v12, s4 dst_sel:DWORD dst_unused:UNUSED_PAD src0_sel:WORD_1 src1_sel:DWORD
	s_movk_i32 s4, 0x7f
	v_cmp_lt_i16_e32 vcc, s4, v11
	s_mov_b64 s[4:5], 0
                                        ; implicit-def: $sgpr10
	s_and_saveexec_b64 s[6:7], vcc
	s_xor_b64 s[6:7], exec, s[6:7]
	s_cbranch_execnz .LBB20_2645
; %bb.597:
	s_or_saveexec_b64 s[6:7], s[6:7]
	v_mov_b32_e32 v14, s10
	s_xor_b64 exec, exec, s[6:7]
	s_cbranch_execnz .LBB20_2648
.LBB20_598:
	s_or_b64 exec, exec, s[6:7]
	s_and_saveexec_b64 s[6:7], s[4:5]
	s_cbranch_execz .LBB20_600
.LBB20_599:
	v_bfe_u32 v11, v12, 16, 3
	v_ffbh_u32_e32 v20, v11
	v_min_u32_e32 v20, 32, v20
	v_lshrrev_b32_e32 v14, 19, v12
	v_subrev_u32_e32 v21, 28, v20
	v_and_b32_e32 v14, 15, v14
	v_lshlrev_b32_sdwa v21, v21, v12 dst_sel:DWORD dst_unused:UNUSED_PAD src0_sel:DWORD src1_sel:WORD_1
	v_bfe_u32 v15, v12, 19, 4
	v_sub_u32_e32 v20, 29, v20
	v_and_b32_e32 v21, 7, v21
	v_cmp_eq_u16_e32 vcc, 0, v14
	v_cndmask_b32_e32 v11, v11, v21, vcc
	v_cndmask_b32_e32 v14, v15, v20, vcc
	v_lshlrev_b32_e32 v15, 8, v12
	v_mov_b32_e32 v20, 0x3b800000
	v_lshlrev_b32_e32 v11, 20, v11
	v_and_b32_e32 v15, 0x80000000, v15
	v_lshl_add_u32 v14, v14, 23, v20
	v_or3_b32 v14, v15, v14, v11
.LBB20_600:
	s_or_b64 exec, exec, s[6:7]
	s_nop 0
	v_mfma_f32_16x16x4f32 a[0:3], v10, v14, a[0:3]
	s_movk_i32 s4, 0x7f
	v_cmp_gt_i16_sdwa s[6:7], v16, s4 src0_sel:BYTE_3 src1_sel:DWORD
	s_mov_b64 s[4:5], 0
                                        ; implicit-def: $sgpr10
	s_and_saveexec_b64 s[8:9], s[6:7]
	s_xor_b64 s[6:7], exec, s[8:9]
	s_cbranch_execnz .LBB20_2649
; %bb.601:
	s_or_saveexec_b64 s[6:7], s[6:7]
	v_mov_b32_e32 v10, s10
	s_xor_b64 exec, exec, s[6:7]
	s_cbranch_execnz .LBB20_2652
.LBB20_602:
	s_or_b64 exec, exec, s[6:7]
	s_and_saveexec_b64 s[6:7], s[4:5]
	s_cbranch_execz .LBB20_604
.LBB20_603:
	v_bfe_u32 v10, v16, 24, 3
	v_ffbh_u32_e32 v20, v10
	v_min_u32_e32 v20, 32, v20
	v_lshrrev_b32_e32 v14, 27, v16
	v_subrev_u32_e32 v21, 28, v20
	v_and_b32_e32 v11, 0x80000000, v16
	v_and_b32_e32 v14, 15, v14
	v_bfe_u32 v15, v16, 27, 4
	v_lshlrev_b32_sdwa v16, v21, v16 dst_sel:DWORD dst_unused:UNUSED_PAD src0_sel:DWORD src1_sel:BYTE_3
	v_sub_u32_e32 v20, 29, v20
	v_and_b32_e32 v16, 7, v16
	v_cmp_eq_u16_e32 vcc, 0, v14
	v_cndmask_b32_e32 v10, v10, v16, vcc
	v_cndmask_b32_e32 v14, v15, v20, vcc
	v_mov_b32_e32 v15, 0x3b800000
	v_lshlrev_b32_e32 v10, 20, v10
	v_lshl_add_u32 v14, v14, 23, v15
	v_or3_b32 v10, v11, v14, v10
.LBB20_604:
	s_or_b64 exec, exec, s[6:7]
	s_movk_i32 s4, 0x7f
	v_cmp_gt_i16_sdwa s[6:7], v12, s4 src0_sel:BYTE_3 src1_sel:DWORD
	s_mov_b64 s[4:5], 0
                                        ; implicit-def: $sgpr10
	s_and_saveexec_b64 s[8:9], s[6:7]
	s_xor_b64 s[6:7], exec, s[8:9]
	s_cbranch_execnz .LBB20_2653
; %bb.605:
	s_or_saveexec_b64 s[6:7], s[6:7]
	v_mov_b32_e32 v11, s10
	s_xor_b64 exec, exec, s[6:7]
	s_cbranch_execnz .LBB20_2656
.LBB20_606:
	s_or_b64 exec, exec, s[6:7]
	s_and_saveexec_b64 s[6:7], s[4:5]
	s_cbranch_execz .LBB20_608
.LBB20_607:
	v_bfe_u32 v11, v12, 24, 3
	v_ffbh_u32_e32 v20, v11
	v_min_u32_e32 v20, 32, v20
	v_lshrrev_b32_e32 v15, 27, v12
	v_subrev_u32_e32 v21, 28, v20
	v_and_b32_e32 v14, 0x80000000, v12
	v_and_b32_e32 v15, 15, v15
	v_bfe_u32 v16, v12, 27, 4
	v_lshlrev_b32_sdwa v12, v21, v12 dst_sel:DWORD dst_unused:UNUSED_PAD src0_sel:DWORD src1_sel:BYTE_3
	v_sub_u32_e32 v20, 29, v20
	v_and_b32_e32 v12, 7, v12
	v_cmp_eq_u16_e32 vcc, 0, v15
	v_cndmask_b32_e32 v11, v11, v12, vcc
	v_cndmask_b32_e32 v12, v16, v20, vcc
	v_mov_b32_e32 v15, 0x3b800000
	v_lshlrev_b32_e32 v11, 20, v11
	v_lshl_add_u32 v12, v12, 23, v15
	v_or3_b32 v11, v14, v12, v11
.LBB20_608:
	s_or_b64 exec, exec, s[6:7]
	s_nop 0
	v_mfma_f32_16x16x4f32 a[0:3], v10, v11, a[0:3]
	s_movk_i32 s4, 0x7f
	v_cmp_gt_i16_sdwa s[6:7], v17, s4 src0_sel:BYTE_0 src1_sel:DWORD
	s_mov_b64 s[4:5], 0
                                        ; implicit-def: $sgpr10
	s_and_saveexec_b64 s[8:9], s[6:7]
	s_xor_b64 s[6:7], exec, s[8:9]
	s_cbranch_execnz .LBB20_2657
; %bb.609:
	s_or_saveexec_b64 s[6:7], s[6:7]
	v_mov_b32_e32 v10, s10
	s_xor_b64 exec, exec, s[6:7]
	s_cbranch_execnz .LBB20_2660
.LBB20_610:
	s_or_b64 exec, exec, s[6:7]
	s_and_saveexec_b64 s[6:7], s[4:5]
	s_cbranch_execz .LBB20_612
.LBB20_611:
	v_and_b32_e32 v10, 7, v17
	v_ffbh_u32_e32 v12, v10
	v_min_u32_e32 v12, 32, v12
	v_lshrrev_b16_e32 v11, 3, v17
	v_subrev_u32_e32 v14, 28, v12
	v_and_b32_e32 v11, 15, v11
	v_lshlrev_b32_e32 v14, v14, v17
	v_sub_u32_e32 v12, 29, v12
	v_and_b32_e32 v14, 7, v14
	v_cmp_eq_u16_e32 vcc, 0, v11
	v_cndmask_b32_e32 v10, v10, v14, vcc
	v_cndmask_b32_e32 v11, v11, v12, vcc
	v_lshlrev_b32_e32 v12, 24, v17
	v_mov_b32_e32 v14, 0x3b800000
	v_lshlrev_b32_e32 v10, 20, v10
	v_and_b32_e32 v12, 0x80000000, v12
	v_lshl_add_u32 v11, v11, 23, v14
	v_or3_b32 v10, v12, v11, v10
.LBB20_612:
	s_or_b64 exec, exec, s[6:7]
	s_movk_i32 s4, 0x7f
	v_cmp_gt_i16_sdwa s[6:7], v13, s4 src0_sel:BYTE_0 src1_sel:DWORD
	s_mov_b64 s[4:5], 0
                                        ; implicit-def: $sgpr10
	s_and_saveexec_b64 s[8:9], s[6:7]
	s_xor_b64 s[6:7], exec, s[8:9]
	s_cbranch_execnz .LBB20_2661
; %bb.613:
	s_or_saveexec_b64 s[6:7], s[6:7]
	v_mov_b32_e32 v11, s10
	s_xor_b64 exec, exec, s[6:7]
	s_cbranch_execnz .LBB20_2664
.LBB20_614:
	s_or_b64 exec, exec, s[6:7]
	s_and_saveexec_b64 s[6:7], s[4:5]
	s_cbranch_execz .LBB20_616
.LBB20_615:
	v_and_b32_e32 v11, 7, v13
	v_ffbh_u32_e32 v14, v11
	v_min_u32_e32 v14, 32, v14
	v_lshrrev_b16_e32 v12, 3, v13
	v_subrev_u32_e32 v15, 28, v14
	v_and_b32_e32 v12, 15, v12
	v_lshlrev_b32_e32 v15, v15, v13
	v_sub_u32_e32 v14, 29, v14
	v_and_b32_e32 v15, 7, v15
	v_cmp_eq_u16_e32 vcc, 0, v12
	v_cndmask_b32_e32 v11, v11, v15, vcc
	v_cndmask_b32_e32 v12, v12, v14, vcc
	v_lshlrev_b32_e32 v14, 24, v13
	v_mov_b32_e32 v15, 0x3b800000
	v_lshlrev_b32_e32 v11, 20, v11
	v_and_b32_e32 v14, 0x80000000, v14
	v_lshl_add_u32 v12, v12, 23, v15
	v_or3_b32 v11, v14, v12, v11
.LBB20_616:
	s_or_b64 exec, exec, s[6:7]
	s_nop 0
	v_mfma_f32_16x16x4f32 a[0:3], v10, v11, a[0:3]
	v_lshrrev_b32_e32 v11, 8, v17
	s_movk_i32 s4, 0x7f
	v_cmp_gt_i16_sdwa s[6:7], v11, s4 src0_sel:BYTE_0 src1_sel:DWORD
	s_mov_b64 s[4:5], 0
                                        ; implicit-def: $sgpr10
	s_and_saveexec_b64 s[8:9], s[6:7]
	s_xor_b64 s[6:7], exec, s[8:9]
	s_cbranch_execnz .LBB20_2665
; %bb.617:
	s_or_saveexec_b64 s[6:7], s[6:7]
	v_mov_b32_e32 v10, s10
	s_xor_b64 exec, exec, s[6:7]
	s_cbranch_execnz .LBB20_2668
.LBB20_618:
	s_or_b64 exec, exec, s[6:7]
	s_and_saveexec_b64 s[6:7], s[4:5]
	s_cbranch_execz .LBB20_620
.LBB20_619:
	v_bfe_u32 v10, v17, 8, 3
	v_ffbh_u32_e32 v14, v10
	v_min_u32_e32 v14, 32, v14
	v_lshrrev_b16_e32 v12, 3, v11
	v_subrev_u32_e32 v15, 28, v14
	v_and_b32_e32 v12, 15, v12
	v_lshlrev_b32_e32 v11, v15, v11
	v_sub_u32_e32 v14, 29, v14
	v_and_b32_e32 v11, 7, v11
	v_cmp_eq_u16_e32 vcc, 0, v12
	v_cndmask_b32_e32 v10, v10, v11, vcc
	v_cndmask_b32_e32 v11, v12, v14, vcc
	v_lshlrev_b32_e32 v12, 16, v17
	v_mov_b32_e32 v14, 0x3b800000
	v_lshlrev_b32_e32 v10, 20, v10
	v_and_b32_e32 v12, 0x80000000, v12
	v_lshl_add_u32 v11, v11, 23, v14
	v_or3_b32 v10, v12, v11, v10
.LBB20_620:
	s_or_b64 exec, exec, s[6:7]
	v_lshrrev_b32_e32 v11, 8, v13
	s_movk_i32 s4, 0x7f
	v_cmp_gt_i16_sdwa s[6:7], v11, s4 src0_sel:BYTE_0 src1_sel:DWORD
	s_mov_b64 s[4:5], 0
                                        ; implicit-def: $sgpr10
	s_and_saveexec_b64 s[8:9], s[6:7]
	s_xor_b64 s[6:7], exec, s[8:9]
	s_cbranch_execnz .LBB20_2669
; %bb.621:
	s_or_saveexec_b64 s[6:7], s[6:7]
	v_mov_b32_e32 v12, s10
	s_xor_b64 exec, exec, s[6:7]
	s_cbranch_execnz .LBB20_2672
.LBB20_622:
	s_or_b64 exec, exec, s[6:7]
	s_and_saveexec_b64 s[6:7], s[4:5]
	s_cbranch_execz .LBB20_624
.LBB20_623:
	v_bfe_u32 v12, v13, 8, 3
	v_ffbh_u32_e32 v15, v12
	v_min_u32_e32 v15, 32, v15
	v_lshrrev_b16_e32 v14, 3, v11
	v_subrev_u32_e32 v16, 28, v15
	v_and_b32_e32 v14, 15, v14
	v_lshlrev_b32_e32 v11, v16, v11
	v_sub_u32_e32 v15, 29, v15
	v_and_b32_e32 v11, 7, v11
	v_cmp_eq_u16_e32 vcc, 0, v14
	v_cndmask_b32_e32 v11, v12, v11, vcc
	v_cndmask_b32_e32 v12, v14, v15, vcc
	v_lshlrev_b32_e32 v14, 16, v13
	v_mov_b32_e32 v15, 0x3b800000
	v_lshlrev_b32_e32 v11, 20, v11
	v_and_b32_e32 v14, 0x80000000, v14
	v_lshl_add_u32 v12, v12, 23, v15
	v_or3_b32 v12, v14, v12, v11
.LBB20_624:
	s_or_b64 exec, exec, s[6:7]
	s_nop 0
	v_mfma_f32_16x16x4f32 a[0:3], v10, v12, a[0:3]
	s_movk_i32 s4, 0xff
	v_and_b32_sdwa v11, v17, s4 dst_sel:DWORD dst_unused:UNUSED_PAD src0_sel:WORD_1 src1_sel:DWORD
	s_movk_i32 s4, 0x7f
	v_cmp_lt_i16_e32 vcc, s4, v11
	s_mov_b64 s[4:5], 0
                                        ; implicit-def: $sgpr10
	s_and_saveexec_b64 s[6:7], vcc
	s_xor_b64 s[6:7], exec, s[6:7]
	s_cbranch_execnz .LBB20_2673
; %bb.625:
	s_or_saveexec_b64 s[6:7], s[6:7]
	v_mov_b32_e32 v10, s10
	s_xor_b64 exec, exec, s[6:7]
	s_cbranch_execnz .LBB20_2676
.LBB20_626:
	s_or_b64 exec, exec, s[6:7]
	s_and_saveexec_b64 s[6:7], s[4:5]
	s_cbranch_execz .LBB20_628
.LBB20_627:
	v_bfe_u32 v10, v17, 16, 3
	v_ffbh_u32_e32 v14, v10
	v_min_u32_e32 v14, 32, v14
	v_lshrrev_b32_e32 v11, 19, v17
	v_subrev_u32_e32 v15, 28, v14
	v_and_b32_e32 v11, 15, v11
	v_lshlrev_b32_sdwa v15, v15, v17 dst_sel:DWORD dst_unused:UNUSED_PAD src0_sel:DWORD src1_sel:WORD_1
	v_bfe_u32 v12, v17, 19, 4
	v_sub_u32_e32 v14, 29, v14
	v_and_b32_e32 v15, 7, v15
	v_cmp_eq_u16_e32 vcc, 0, v11
	v_cndmask_b32_e32 v10, v10, v15, vcc
	v_cndmask_b32_e32 v11, v12, v14, vcc
	v_lshlrev_b32_e32 v12, 8, v17
	v_mov_b32_e32 v14, 0x3b800000
	v_lshlrev_b32_e32 v10, 20, v10
	v_and_b32_e32 v12, 0x80000000, v12
	v_lshl_add_u32 v11, v11, 23, v14
	v_or3_b32 v10, v12, v11, v10
.LBB20_628:
	s_or_b64 exec, exec, s[6:7]
	s_movk_i32 s4, 0xff
	v_and_b32_sdwa v11, v13, s4 dst_sel:DWORD dst_unused:UNUSED_PAD src0_sel:WORD_1 src1_sel:DWORD
	s_movk_i32 s4, 0x7f
	v_cmp_lt_i16_e32 vcc, s4, v11
	s_mov_b64 s[4:5], 0
                                        ; implicit-def: $sgpr10
	s_and_saveexec_b64 s[6:7], vcc
	s_xor_b64 s[6:7], exec, s[6:7]
	s_cbranch_execnz .LBB20_2677
; %bb.629:
	s_or_saveexec_b64 s[6:7], s[6:7]
	v_mov_b32_e32 v12, s10
	s_xor_b64 exec, exec, s[6:7]
	s_cbranch_execnz .LBB20_2680
.LBB20_630:
	s_or_b64 exec, exec, s[6:7]
	s_and_saveexec_b64 s[6:7], s[4:5]
	s_cbranch_execz .LBB20_632
.LBB20_631:
	v_bfe_u32 v11, v13, 16, 3
	v_ffbh_u32_e32 v15, v11
	v_min_u32_e32 v15, 32, v15
	v_lshrrev_b32_e32 v12, 19, v13
	v_subrev_u32_e32 v16, 28, v15
	v_and_b32_e32 v12, 15, v12
	v_lshlrev_b32_sdwa v16, v16, v13 dst_sel:DWORD dst_unused:UNUSED_PAD src0_sel:DWORD src1_sel:WORD_1
	v_bfe_u32 v14, v13, 19, 4
	v_sub_u32_e32 v15, 29, v15
	v_and_b32_e32 v16, 7, v16
	v_cmp_eq_u16_e32 vcc, 0, v12
	v_cndmask_b32_e32 v11, v11, v16, vcc
	v_cndmask_b32_e32 v12, v14, v15, vcc
	v_lshlrev_b32_e32 v14, 8, v13
	v_mov_b32_e32 v15, 0x3b800000
	v_lshlrev_b32_e32 v11, 20, v11
	v_and_b32_e32 v14, 0x80000000, v14
	v_lshl_add_u32 v12, v12, 23, v15
	v_or3_b32 v12, v14, v12, v11
.LBB20_632:
	s_or_b64 exec, exec, s[6:7]
	s_nop 0
	v_mfma_f32_16x16x4f32 a[0:3], v10, v12, a[0:3]
	s_movk_i32 s4, 0x7f
	v_cmp_gt_i16_sdwa s[6:7], v17, s4 src0_sel:BYTE_3 src1_sel:DWORD
	s_mov_b64 s[4:5], 0
                                        ; implicit-def: $sgpr10
	s_and_saveexec_b64 s[8:9], s[6:7]
	s_xor_b64 s[6:7], exec, s[8:9]
	s_cbranch_execnz .LBB20_2681
; %bb.633:
	s_or_saveexec_b64 s[6:7], s[6:7]
	v_mov_b32_e32 v10, s10
	s_xor_b64 exec, exec, s[6:7]
	s_cbranch_execnz .LBB20_2684
.LBB20_634:
	s_or_b64 exec, exec, s[6:7]
	s_and_saveexec_b64 s[6:7], s[4:5]
	s_cbranch_execz .LBB20_636
.LBB20_635:
	v_bfe_u32 v10, v17, 24, 3
	v_ffbh_u32_e32 v15, v10
	v_min_u32_e32 v15, 32, v15
	v_lshrrev_b32_e32 v12, 27, v17
	v_subrev_u32_e32 v16, 28, v15
	v_and_b32_e32 v12, 15, v12
	v_lshlrev_b32_sdwa v16, v16, v17 dst_sel:DWORD dst_unused:UNUSED_PAD src0_sel:DWORD src1_sel:BYTE_3
	v_bfe_u32 v14, v17, 27, 4
	v_sub_u32_e32 v15, 29, v15
	v_and_b32_e32 v16, 7, v16
	v_cmp_eq_u16_e32 vcc, 0, v12
	v_cndmask_b32_e32 v10, v10, v16, vcc
	v_cndmask_b32_e32 v12, v14, v15, vcc
	v_mov_b32_e32 v14, 0x3b800000
	v_and_b32_e32 v11, 0x80000000, v17
	v_lshlrev_b32_e32 v10, 20, v10
	v_lshl_add_u32 v12, v12, 23, v14
	v_or3_b32 v10, v11, v12, v10
.LBB20_636:
	s_or_b64 exec, exec, s[6:7]
	s_movk_i32 s4, 0x7f
	v_cmp_gt_i16_sdwa s[6:7], v13, s4 src0_sel:BYTE_3 src1_sel:DWORD
	s_mov_b64 s[4:5], 0
                                        ; implicit-def: $sgpr10
	s_and_saveexec_b64 s[8:9], s[6:7]
	s_xor_b64 s[6:7], exec, s[8:9]
	s_cbranch_execnz .LBB20_2685
; %bb.637:
	s_or_saveexec_b64 s[6:7], s[6:7]
	v_mov_b32_e32 v11, s10
	s_xor_b64 exec, exec, s[6:7]
	s_cbranch_execnz .LBB20_2688
.LBB20_638:
	s_or_b64 exec, exec, s[6:7]
	s_and_saveexec_b64 s[6:7], s[4:5]
	s_cbranch_execz .LBB20_640
.LBB20_639:
	v_bfe_u32 v11, v13, 24, 3
	v_ffbh_u32_e32 v16, v11
	v_min_u32_e32 v16, 32, v16
	v_lshrrev_b32_e32 v14, 27, v13
	v_subrev_u32_e32 v17, 28, v16
	v_and_b32_e32 v12, 0x80000000, v13
	v_and_b32_e32 v14, 15, v14
	v_bfe_u32 v15, v13, 27, 4
	v_lshlrev_b32_sdwa v13, v17, v13 dst_sel:DWORD dst_unused:UNUSED_PAD src0_sel:DWORD src1_sel:BYTE_3
	v_sub_u32_e32 v16, 29, v16
	v_and_b32_e32 v13, 7, v13
	v_cmp_eq_u16_e32 vcc, 0, v14
	v_cndmask_b32_e32 v11, v11, v13, vcc
	v_cndmask_b32_e32 v13, v15, v16, vcc
	v_mov_b32_e32 v14, 0x3b800000
	v_lshlrev_b32_e32 v11, 20, v11
	v_lshl_add_u32 v13, v13, 23, v14
	v_or3_b32 v11, v12, v13, v11
.LBB20_640:
	s_or_b64 exec, exec, s[6:7]
	s_nop 0
	v_mfma_f32_16x16x4f32 a[0:3], v10, v11, a[0:3]
	s_movk_i32 s4, 0x7f
	v_cmp_gt_i16_sdwa s[6:7], v6, s4 src0_sel:BYTE_0 src1_sel:DWORD
	s_mov_b64 s[4:5], 0
                                        ; implicit-def: $sgpr10
	s_and_saveexec_b64 s[8:9], s[6:7]
	s_xor_b64 s[6:7], exec, s[8:9]
	s_cbranch_execnz .LBB20_2689
; %bb.641:
	s_or_saveexec_b64 s[6:7], s[6:7]
	v_mov_b32_e32 v10, s10
	s_xor_b64 exec, exec, s[6:7]
	s_cbranch_execnz .LBB20_2692
.LBB20_642:
	s_or_b64 exec, exec, s[6:7]
	s_and_saveexec_b64 s[6:7], s[4:5]
	s_cbranch_execz .LBB20_644
.LBB20_643:
	v_and_b32_e32 v10, 7, v6
	v_ffbh_u32_e32 v12, v10
	v_min_u32_e32 v12, 32, v12
	v_lshrrev_b16_e32 v11, 3, v6
	v_subrev_u32_e32 v13, 28, v12
	v_and_b32_e32 v11, 15, v11
	v_lshlrev_b32_e32 v13, v13, v6
	v_sub_u32_e32 v12, 29, v12
	v_and_b32_e32 v13, 7, v13
	v_cmp_eq_u16_e32 vcc, 0, v11
	v_cndmask_b32_e32 v10, v10, v13, vcc
	v_cndmask_b32_e32 v11, v11, v12, vcc
	v_lshlrev_b32_e32 v12, 24, v6
	v_mov_b32_e32 v13, 0x3b800000
	v_lshlrev_b32_e32 v10, 20, v10
	v_and_b32_e32 v12, 0x80000000, v12
	v_lshl_add_u32 v11, v11, 23, v13
	v_or3_b32 v10, v12, v11, v10
.LBB20_644:
	s_or_b64 exec, exec, s[6:7]
	s_movk_i32 s4, 0x7f
	v_cmp_gt_i16_sdwa s[6:7], v2, s4 src0_sel:BYTE_0 src1_sel:DWORD
	s_mov_b64 s[4:5], 0
                                        ; implicit-def: $sgpr10
	s_and_saveexec_b64 s[8:9], s[6:7]
	s_xor_b64 s[6:7], exec, s[8:9]
	s_cbranch_execnz .LBB20_2693
; %bb.645:
	s_or_saveexec_b64 s[6:7], s[6:7]
	v_mov_b32_e32 v11, s10
	s_xor_b64 exec, exec, s[6:7]
	s_cbranch_execnz .LBB20_2696
.LBB20_646:
	s_or_b64 exec, exec, s[6:7]
	s_and_saveexec_b64 s[6:7], s[4:5]
	s_cbranch_execz .LBB20_648
.LBB20_647:
	v_and_b32_e32 v11, 7, v2
	v_ffbh_u32_e32 v13, v11
	v_min_u32_e32 v13, 32, v13
	v_lshrrev_b16_e32 v12, 3, v2
	v_subrev_u32_e32 v14, 28, v13
	v_and_b32_e32 v12, 15, v12
	v_lshlrev_b32_e32 v14, v14, v2
	v_sub_u32_e32 v13, 29, v13
	v_and_b32_e32 v14, 7, v14
	v_cmp_eq_u16_e32 vcc, 0, v12
	v_cndmask_b32_e32 v11, v11, v14, vcc
	v_cndmask_b32_e32 v12, v12, v13, vcc
	v_lshlrev_b32_e32 v13, 24, v2
	v_mov_b32_e32 v14, 0x3b800000
	v_lshlrev_b32_e32 v11, 20, v11
	v_and_b32_e32 v13, 0x80000000, v13
	v_lshl_add_u32 v12, v12, 23, v14
	v_or3_b32 v11, v13, v12, v11
.LBB20_648:
	s_or_b64 exec, exec, s[6:7]
	s_nop 0
	v_mfma_f32_16x16x4f32 a[0:3], v10, v11, a[0:3]
	v_lshrrev_b32_e32 v11, 8, v6
	s_movk_i32 s4, 0x7f
	v_cmp_gt_i16_sdwa s[6:7], v11, s4 src0_sel:BYTE_0 src1_sel:DWORD
	s_mov_b64 s[4:5], 0
                                        ; implicit-def: $sgpr10
	s_and_saveexec_b64 s[8:9], s[6:7]
	s_xor_b64 s[6:7], exec, s[8:9]
	s_cbranch_execnz .LBB20_2697
; %bb.649:
	s_or_saveexec_b64 s[6:7], s[6:7]
	v_mov_b32_e32 v10, s10
	s_xor_b64 exec, exec, s[6:7]
	s_cbranch_execnz .LBB20_2700
.LBB20_650:
	s_or_b64 exec, exec, s[6:7]
	s_and_saveexec_b64 s[6:7], s[4:5]
	s_cbranch_execz .LBB20_652
.LBB20_651:
	v_bfe_u32 v10, v6, 8, 3
	v_ffbh_u32_e32 v13, v10
	v_min_u32_e32 v13, 32, v13
	v_lshrrev_b16_e32 v12, 3, v11
	v_subrev_u32_e32 v14, 28, v13
	v_and_b32_e32 v12, 15, v12
	v_lshlrev_b32_e32 v11, v14, v11
	v_sub_u32_e32 v13, 29, v13
	v_and_b32_e32 v11, 7, v11
	v_cmp_eq_u16_e32 vcc, 0, v12
	v_cndmask_b32_e32 v10, v10, v11, vcc
	v_cndmask_b32_e32 v11, v12, v13, vcc
	v_lshlrev_b32_e32 v12, 16, v6
	v_mov_b32_e32 v13, 0x3b800000
	v_lshlrev_b32_e32 v10, 20, v10
	v_and_b32_e32 v12, 0x80000000, v12
	v_lshl_add_u32 v11, v11, 23, v13
	v_or3_b32 v10, v12, v11, v10
.LBB20_652:
	s_or_b64 exec, exec, s[6:7]
	v_lshrrev_b32_e32 v11, 8, v2
	s_movk_i32 s4, 0x7f
	v_cmp_gt_i16_sdwa s[6:7], v11, s4 src0_sel:BYTE_0 src1_sel:DWORD
	s_mov_b64 s[4:5], 0
                                        ; implicit-def: $sgpr10
	s_and_saveexec_b64 s[8:9], s[6:7]
	s_xor_b64 s[6:7], exec, s[8:9]
	s_cbranch_execnz .LBB20_2701
; %bb.653:
	s_or_saveexec_b64 s[6:7], s[6:7]
	v_mov_b32_e32 v12, s10
	s_xor_b64 exec, exec, s[6:7]
	s_cbranch_execnz .LBB20_2704
.LBB20_654:
	s_or_b64 exec, exec, s[6:7]
	s_and_saveexec_b64 s[6:7], s[4:5]
	s_cbranch_execz .LBB20_656
.LBB20_655:
	v_bfe_u32 v12, v2, 8, 3
	v_ffbh_u32_e32 v14, v12
	v_min_u32_e32 v14, 32, v14
	v_lshrrev_b16_e32 v13, 3, v11
	v_subrev_u32_e32 v15, 28, v14
	v_and_b32_e32 v13, 15, v13
	v_lshlrev_b32_e32 v11, v15, v11
	v_sub_u32_e32 v14, 29, v14
	v_and_b32_e32 v11, 7, v11
	v_cmp_eq_u16_e32 vcc, 0, v13
	v_cndmask_b32_e32 v11, v12, v11, vcc
	v_cndmask_b32_e32 v12, v13, v14, vcc
	v_lshlrev_b32_e32 v13, 16, v2
	v_mov_b32_e32 v14, 0x3b800000
	v_lshlrev_b32_e32 v11, 20, v11
	v_and_b32_e32 v13, 0x80000000, v13
	v_lshl_add_u32 v12, v12, 23, v14
	v_or3_b32 v12, v13, v12, v11
.LBB20_656:
	s_or_b64 exec, exec, s[6:7]
	s_nop 0
	v_mfma_f32_16x16x4f32 a[0:3], v10, v12, a[0:3]
	s_movk_i32 s4, 0xff
	v_and_b32_sdwa v11, v6, s4 dst_sel:DWORD dst_unused:UNUSED_PAD src0_sel:WORD_1 src1_sel:DWORD
	s_movk_i32 s4, 0x7f
	v_cmp_lt_i16_e32 vcc, s4, v11
	s_mov_b64 s[4:5], 0
                                        ; implicit-def: $sgpr10
	s_and_saveexec_b64 s[6:7], vcc
	s_xor_b64 s[6:7], exec, s[6:7]
	s_cbranch_execnz .LBB20_2705
; %bb.657:
	s_or_saveexec_b64 s[6:7], s[6:7]
	v_mov_b32_e32 v10, s10
	s_xor_b64 exec, exec, s[6:7]
	s_cbranch_execnz .LBB20_2708
.LBB20_658:
	s_or_b64 exec, exec, s[6:7]
	s_and_saveexec_b64 s[6:7], s[4:5]
	s_cbranch_execz .LBB20_660
.LBB20_659:
	v_bfe_u32 v10, v6, 16, 3
	v_ffbh_u32_e32 v13, v10
	v_min_u32_e32 v13, 32, v13
	v_lshrrev_b32_e32 v11, 19, v6
	v_subrev_u32_e32 v14, 28, v13
	v_and_b32_e32 v11, 15, v11
	v_lshlrev_b32_sdwa v14, v14, v6 dst_sel:DWORD dst_unused:UNUSED_PAD src0_sel:DWORD src1_sel:WORD_1
	v_bfe_u32 v12, v6, 19, 4
	v_sub_u32_e32 v13, 29, v13
	v_and_b32_e32 v14, 7, v14
	v_cmp_eq_u16_e32 vcc, 0, v11
	v_cndmask_b32_e32 v10, v10, v14, vcc
	v_cndmask_b32_e32 v11, v12, v13, vcc
	v_lshlrev_b32_e32 v12, 8, v6
	v_mov_b32_e32 v13, 0x3b800000
	v_lshlrev_b32_e32 v10, 20, v10
	v_and_b32_e32 v12, 0x80000000, v12
	v_lshl_add_u32 v11, v11, 23, v13
	v_or3_b32 v10, v12, v11, v10
.LBB20_660:
	s_or_b64 exec, exec, s[6:7]
	s_movk_i32 s4, 0xff
	v_and_b32_sdwa v11, v2, s4 dst_sel:DWORD dst_unused:UNUSED_PAD src0_sel:WORD_1 src1_sel:DWORD
	s_movk_i32 s4, 0x7f
	v_cmp_lt_i16_e32 vcc, s4, v11
	s_mov_b64 s[4:5], 0
                                        ; implicit-def: $sgpr10
	s_and_saveexec_b64 s[6:7], vcc
	s_xor_b64 s[6:7], exec, s[6:7]
	s_cbranch_execnz .LBB20_2709
; %bb.661:
	s_or_saveexec_b64 s[6:7], s[6:7]
	v_mov_b32_e32 v12, s10
	s_xor_b64 exec, exec, s[6:7]
	s_cbranch_execnz .LBB20_2712
.LBB20_662:
	s_or_b64 exec, exec, s[6:7]
	s_and_saveexec_b64 s[6:7], s[4:5]
	s_cbranch_execz .LBB20_664
.LBB20_663:
	v_bfe_u32 v11, v2, 16, 3
	v_ffbh_u32_e32 v14, v11
	v_min_u32_e32 v14, 32, v14
	v_lshrrev_b32_e32 v12, 19, v2
	v_subrev_u32_e32 v15, 28, v14
	v_and_b32_e32 v12, 15, v12
	v_lshlrev_b32_sdwa v15, v15, v2 dst_sel:DWORD dst_unused:UNUSED_PAD src0_sel:DWORD src1_sel:WORD_1
	v_bfe_u32 v13, v2, 19, 4
	v_sub_u32_e32 v14, 29, v14
	v_and_b32_e32 v15, 7, v15
	v_cmp_eq_u16_e32 vcc, 0, v12
	v_cndmask_b32_e32 v11, v11, v15, vcc
	v_cndmask_b32_e32 v12, v13, v14, vcc
	v_lshlrev_b32_e32 v13, 8, v2
	v_mov_b32_e32 v14, 0x3b800000
	v_lshlrev_b32_e32 v11, 20, v11
	v_and_b32_e32 v13, 0x80000000, v13
	v_lshl_add_u32 v12, v12, 23, v14
	v_or3_b32 v12, v13, v12, v11
.LBB20_664:
	s_or_b64 exec, exec, s[6:7]
	s_nop 0
	v_mfma_f32_16x16x4f32 a[0:3], v10, v12, a[0:3]
	s_movk_i32 s4, 0x7f
	v_cmp_gt_i16_sdwa s[6:7], v6, s4 src0_sel:BYTE_3 src1_sel:DWORD
	s_mov_b64 s[4:5], 0
                                        ; implicit-def: $sgpr10
	s_and_saveexec_b64 s[8:9], s[6:7]
	s_xor_b64 s[6:7], exec, s[8:9]
	s_cbranch_execnz .LBB20_2713
; %bb.665:
	s_or_saveexec_b64 s[6:7], s[6:7]
	v_mov_b32_e32 v10, s10
	s_xor_b64 exec, exec, s[6:7]
	s_cbranch_execnz .LBB20_2716
.LBB20_666:
	s_or_b64 exec, exec, s[6:7]
	s_and_saveexec_b64 s[6:7], s[4:5]
	s_cbranch_execz .LBB20_668
.LBB20_667:
	v_bfe_u32 v10, v6, 24, 3
	v_ffbh_u32_e32 v14, v10
	v_min_u32_e32 v14, 32, v14
	v_lshrrev_b32_e32 v12, 27, v6
	v_subrev_u32_e32 v15, 28, v14
	v_and_b32_e32 v11, 0x80000000, v6
	v_and_b32_e32 v12, 15, v12
	v_bfe_u32 v13, v6, 27, 4
	v_lshlrev_b32_sdwa v6, v15, v6 dst_sel:DWORD dst_unused:UNUSED_PAD src0_sel:DWORD src1_sel:BYTE_3
	v_sub_u32_e32 v14, 29, v14
	v_and_b32_e32 v6, 7, v6
	v_cmp_eq_u16_e32 vcc, 0, v12
	v_cndmask_b32_e32 v6, v10, v6, vcc
	v_cndmask_b32_e32 v10, v13, v14, vcc
	v_mov_b32_e32 v12, 0x3b800000
	v_lshlrev_b32_e32 v6, 20, v6
	v_lshl_add_u32 v10, v10, 23, v12
	v_or3_b32 v10, v11, v10, v6
.LBB20_668:
	s_or_b64 exec, exec, s[6:7]
	s_movk_i32 s4, 0x7f
	v_cmp_gt_i16_sdwa s[6:7], v2, s4 src0_sel:BYTE_3 src1_sel:DWORD
	s_mov_b64 s[4:5], 0
                                        ; implicit-def: $sgpr10
	s_and_saveexec_b64 s[8:9], s[6:7]
	s_xor_b64 s[6:7], exec, s[8:9]
	s_cbranch_execnz .LBB20_2717
; %bb.669:
	s_or_saveexec_b64 s[6:7], s[6:7]
	v_mov_b32_e32 v6, s10
	s_xor_b64 exec, exec, s[6:7]
	s_cbranch_execnz .LBB20_2720
.LBB20_670:
	s_or_b64 exec, exec, s[6:7]
	s_and_saveexec_b64 s[6:7], s[4:5]
	s_cbranch_execz .LBB20_672
.LBB20_671:
	v_bfe_u32 v6, v2, 24, 3
	v_ffbh_u32_e32 v14, v6
	v_min_u32_e32 v14, 32, v14
	v_lshrrev_b32_e32 v12, 27, v2
	v_subrev_u32_e32 v15, 28, v14
	v_and_b32_e32 v11, 0x80000000, v2
	v_and_b32_e32 v12, 15, v12
	v_bfe_u32 v13, v2, 27, 4
	v_lshlrev_b32_sdwa v2, v15, v2 dst_sel:DWORD dst_unused:UNUSED_PAD src0_sel:DWORD src1_sel:BYTE_3
	v_sub_u32_e32 v14, 29, v14
	v_and_b32_e32 v2, 7, v2
	v_cmp_eq_u16_e32 vcc, 0, v12
	v_cndmask_b32_e32 v2, v6, v2, vcc
	v_cndmask_b32_e32 v6, v13, v14, vcc
	v_mov_b32_e32 v12, 0x3b800000
	v_lshlrev_b32_e32 v2, 20, v2
	v_lshl_add_u32 v6, v6, 23, v12
	v_or3_b32 v6, v11, v6, v2
.LBB20_672:
	s_or_b64 exec, exec, s[6:7]
	s_nop 0
	v_mfma_f32_16x16x4f32 a[0:3], v10, v6, a[0:3]
	s_movk_i32 s4, 0x7f
	v_cmp_gt_i16_sdwa s[6:7], v7, s4 src0_sel:BYTE_0 src1_sel:DWORD
	s_mov_b64 s[4:5], 0
                                        ; implicit-def: $sgpr10
	s_and_saveexec_b64 s[8:9], s[6:7]
	s_xor_b64 s[6:7], exec, s[8:9]
	s_cbranch_execnz .LBB20_2721
; %bb.673:
	s_or_saveexec_b64 s[6:7], s[6:7]
	v_mov_b32_e32 v2, s10
	s_xor_b64 exec, exec, s[6:7]
	s_cbranch_execnz .LBB20_2724
.LBB20_674:
	s_or_b64 exec, exec, s[6:7]
	s_and_saveexec_b64 s[6:7], s[4:5]
	s_cbranch_execz .LBB20_676
.LBB20_675:
	v_and_b32_e32 v2, 7, v7
	v_ffbh_u32_e32 v10, v2
	v_min_u32_e32 v10, 32, v10
	v_lshrrev_b16_e32 v6, 3, v7
	v_subrev_u32_e32 v11, 28, v10
	v_and_b32_e32 v6, 15, v6
	v_lshlrev_b32_e32 v11, v11, v7
	v_sub_u32_e32 v10, 29, v10
	v_and_b32_e32 v11, 7, v11
	v_cmp_eq_u16_e32 vcc, 0, v6
	v_cndmask_b32_e32 v2, v2, v11, vcc
	v_cndmask_b32_e32 v6, v6, v10, vcc
	v_lshlrev_b32_e32 v10, 24, v7
	v_mov_b32_e32 v11, 0x3b800000
	v_lshlrev_b32_e32 v2, 20, v2
	v_and_b32_e32 v10, 0x80000000, v10
	v_lshl_add_u32 v6, v6, 23, v11
	v_or3_b32 v2, v10, v6, v2
.LBB20_676:
	s_or_b64 exec, exec, s[6:7]
	s_movk_i32 s4, 0x7f
	v_cmp_gt_i16_sdwa s[6:7], v3, s4 src0_sel:BYTE_0 src1_sel:DWORD
	s_mov_b64 s[4:5], 0
                                        ; implicit-def: $sgpr10
	s_and_saveexec_b64 s[8:9], s[6:7]
	s_xor_b64 s[6:7], exec, s[8:9]
	s_cbranch_execnz .LBB20_2725
; %bb.677:
	s_or_saveexec_b64 s[6:7], s[6:7]
	v_mov_b32_e32 v6, s10
	s_xor_b64 exec, exec, s[6:7]
	s_cbranch_execnz .LBB20_2728
.LBB20_678:
	s_or_b64 exec, exec, s[6:7]
	s_and_saveexec_b64 s[6:7], s[4:5]
	s_cbranch_execz .LBB20_680
.LBB20_679:
	v_and_b32_e32 v6, 7, v3
	v_ffbh_u32_e32 v11, v6
	v_min_u32_e32 v11, 32, v11
	v_lshrrev_b16_e32 v10, 3, v3
	v_subrev_u32_e32 v12, 28, v11
	v_and_b32_e32 v10, 15, v10
	v_lshlrev_b32_e32 v12, v12, v3
	v_sub_u32_e32 v11, 29, v11
	v_and_b32_e32 v12, 7, v12
	v_cmp_eq_u16_e32 vcc, 0, v10
	v_cndmask_b32_e32 v6, v6, v12, vcc
	v_cndmask_b32_e32 v10, v10, v11, vcc
	v_lshlrev_b32_e32 v11, 24, v3
	v_mov_b32_e32 v12, 0x3b800000
	v_lshlrev_b32_e32 v6, 20, v6
	v_and_b32_e32 v11, 0x80000000, v11
	v_lshl_add_u32 v10, v10, 23, v12
	v_or3_b32 v6, v11, v10, v6
.LBB20_680:
	s_or_b64 exec, exec, s[6:7]
	s_nop 0
	v_mfma_f32_16x16x4f32 a[0:3], v2, v6, a[0:3]
	v_lshrrev_b32_e32 v6, 8, v7
	s_movk_i32 s4, 0x7f
	v_cmp_gt_i16_sdwa s[6:7], v6, s4 src0_sel:BYTE_0 src1_sel:DWORD
	s_mov_b64 s[4:5], 0
                                        ; implicit-def: $sgpr10
	s_and_saveexec_b64 s[8:9], s[6:7]
	s_xor_b64 s[6:7], exec, s[8:9]
	s_cbranch_execnz .LBB20_2729
; %bb.681:
	s_or_saveexec_b64 s[6:7], s[6:7]
	v_mov_b32_e32 v2, s10
	s_xor_b64 exec, exec, s[6:7]
	s_cbranch_execnz .LBB20_2732
.LBB20_682:
	s_or_b64 exec, exec, s[6:7]
	s_and_saveexec_b64 s[6:7], s[4:5]
	s_cbranch_execz .LBB20_684
.LBB20_683:
	v_bfe_u32 v2, v7, 8, 3
	v_ffbh_u32_e32 v11, v2
	v_min_u32_e32 v11, 32, v11
	v_lshrrev_b16_e32 v10, 3, v6
	v_subrev_u32_e32 v12, 28, v11
	v_and_b32_e32 v10, 15, v10
	v_lshlrev_b32_e32 v6, v12, v6
	v_sub_u32_e32 v11, 29, v11
	v_and_b32_e32 v6, 7, v6
	v_cmp_eq_u16_e32 vcc, 0, v10
	v_cndmask_b32_e32 v2, v2, v6, vcc
	v_cndmask_b32_e32 v6, v10, v11, vcc
	v_lshlrev_b32_e32 v10, 16, v7
	v_mov_b32_e32 v11, 0x3b800000
	v_lshlrev_b32_e32 v2, 20, v2
	v_and_b32_e32 v10, 0x80000000, v10
	v_lshl_add_u32 v6, v6, 23, v11
	v_or3_b32 v2, v10, v6, v2
.LBB20_684:
	s_or_b64 exec, exec, s[6:7]
	v_lshrrev_b32_e32 v6, 8, v3
	s_movk_i32 s4, 0x7f
	v_cmp_gt_i16_sdwa s[6:7], v6, s4 src0_sel:BYTE_0 src1_sel:DWORD
	s_mov_b64 s[4:5], 0
                                        ; implicit-def: $sgpr10
	s_and_saveexec_b64 s[8:9], s[6:7]
	s_xor_b64 s[6:7], exec, s[8:9]
	s_cbranch_execnz .LBB20_2733
; %bb.685:
	s_or_saveexec_b64 s[6:7], s[6:7]
	v_mov_b32_e32 v10, s10
	s_xor_b64 exec, exec, s[6:7]
	s_cbranch_execnz .LBB20_2736
.LBB20_686:
	s_or_b64 exec, exec, s[6:7]
	s_and_saveexec_b64 s[6:7], s[4:5]
	s_cbranch_execz .LBB20_688
.LBB20_687:
	v_bfe_u32 v10, v3, 8, 3
	v_ffbh_u32_e32 v12, v10
	v_min_u32_e32 v12, 32, v12
	v_lshrrev_b16_e32 v11, 3, v6
	v_subrev_u32_e32 v13, 28, v12
	v_and_b32_e32 v11, 15, v11
	v_lshlrev_b32_e32 v6, v13, v6
	v_sub_u32_e32 v12, 29, v12
	v_and_b32_e32 v6, 7, v6
	v_cmp_eq_u16_e32 vcc, 0, v11
	v_cndmask_b32_e32 v6, v10, v6, vcc
	v_cndmask_b32_e32 v10, v11, v12, vcc
	v_lshlrev_b32_e32 v11, 16, v3
	v_mov_b32_e32 v12, 0x3b800000
	v_lshlrev_b32_e32 v6, 20, v6
	v_and_b32_e32 v11, 0x80000000, v11
	v_lshl_add_u32 v10, v10, 23, v12
	v_or3_b32 v10, v11, v10, v6
.LBB20_688:
	s_or_b64 exec, exec, s[6:7]
	s_nop 0
	v_mfma_f32_16x16x4f32 a[0:3], v2, v10, a[0:3]
	s_movk_i32 s4, 0xff
	v_and_b32_sdwa v6, v7, s4 dst_sel:DWORD dst_unused:UNUSED_PAD src0_sel:WORD_1 src1_sel:DWORD
	s_movk_i32 s4, 0x7f
	v_cmp_lt_i16_e32 vcc, s4, v6
	s_mov_b64 s[4:5], 0
                                        ; implicit-def: $sgpr10
	s_and_saveexec_b64 s[6:7], vcc
	s_xor_b64 s[6:7], exec, s[6:7]
	s_cbranch_execnz .LBB20_2737
; %bb.689:
	s_or_saveexec_b64 s[6:7], s[6:7]
	v_mov_b32_e32 v2, s10
	s_xor_b64 exec, exec, s[6:7]
	s_cbranch_execnz .LBB20_2740
.LBB20_690:
	s_or_b64 exec, exec, s[6:7]
	s_and_saveexec_b64 s[6:7], s[4:5]
	s_cbranch_execz .LBB20_692
.LBB20_691:
	v_bfe_u32 v2, v7, 16, 3
	v_ffbh_u32_e32 v11, v2
	v_min_u32_e32 v11, 32, v11
	v_lshrrev_b32_e32 v6, 19, v7
	v_subrev_u32_e32 v12, 28, v11
	v_and_b32_e32 v6, 15, v6
	v_lshlrev_b32_sdwa v12, v12, v7 dst_sel:DWORD dst_unused:UNUSED_PAD src0_sel:DWORD src1_sel:WORD_1
	v_bfe_u32 v10, v7, 19, 4
	v_sub_u32_e32 v11, 29, v11
	v_and_b32_e32 v12, 7, v12
	v_cmp_eq_u16_e32 vcc, 0, v6
	v_cndmask_b32_e32 v2, v2, v12, vcc
	v_cndmask_b32_e32 v6, v10, v11, vcc
	v_lshlrev_b32_e32 v10, 8, v7
	v_mov_b32_e32 v11, 0x3b800000
	v_lshlrev_b32_e32 v2, 20, v2
	v_and_b32_e32 v10, 0x80000000, v10
	v_lshl_add_u32 v6, v6, 23, v11
	v_or3_b32 v2, v10, v6, v2
.LBB20_692:
	s_or_b64 exec, exec, s[6:7]
	s_movk_i32 s4, 0xff
	v_and_b32_sdwa v6, v3, s4 dst_sel:DWORD dst_unused:UNUSED_PAD src0_sel:WORD_1 src1_sel:DWORD
	s_movk_i32 s4, 0x7f
	v_cmp_lt_i16_e32 vcc, s4, v6
	s_mov_b64 s[4:5], 0
                                        ; implicit-def: $sgpr10
	s_and_saveexec_b64 s[6:7], vcc
	s_xor_b64 s[6:7], exec, s[6:7]
	s_cbranch_execnz .LBB20_2741
; %bb.693:
	s_or_saveexec_b64 s[6:7], s[6:7]
	v_mov_b32_e32 v10, s10
	s_xor_b64 exec, exec, s[6:7]
	s_cbranch_execnz .LBB20_2744
.LBB20_694:
	s_or_b64 exec, exec, s[6:7]
	s_and_saveexec_b64 s[6:7], s[4:5]
	s_cbranch_execz .LBB20_696
.LBB20_695:
	v_bfe_u32 v6, v3, 16, 3
	v_ffbh_u32_e32 v12, v6
	v_min_u32_e32 v12, 32, v12
	v_lshrrev_b32_e32 v10, 19, v3
	v_subrev_u32_e32 v13, 28, v12
	v_and_b32_e32 v10, 15, v10
	v_lshlrev_b32_sdwa v13, v13, v3 dst_sel:DWORD dst_unused:UNUSED_PAD src0_sel:DWORD src1_sel:WORD_1
	v_bfe_u32 v11, v3, 19, 4
	v_sub_u32_e32 v12, 29, v12
	v_and_b32_e32 v13, 7, v13
	v_cmp_eq_u16_e32 vcc, 0, v10
	v_cndmask_b32_e32 v6, v6, v13, vcc
	v_cndmask_b32_e32 v10, v11, v12, vcc
	v_lshlrev_b32_e32 v11, 8, v3
	v_mov_b32_e32 v12, 0x3b800000
	v_lshlrev_b32_e32 v6, 20, v6
	v_and_b32_e32 v11, 0x80000000, v11
	v_lshl_add_u32 v10, v10, 23, v12
	v_or3_b32 v10, v11, v10, v6
.LBB20_696:
	s_or_b64 exec, exec, s[6:7]
	s_nop 0
	v_mfma_f32_16x16x4f32 a[0:3], v2, v10, a[0:3]
	s_movk_i32 s4, 0x7f
	v_cmp_gt_i16_sdwa s[6:7], v7, s4 src0_sel:BYTE_3 src1_sel:DWORD
	s_mov_b64 s[4:5], 0
                                        ; implicit-def: $sgpr10
	s_and_saveexec_b64 s[8:9], s[6:7]
	s_xor_b64 s[6:7], exec, s[8:9]
	s_cbranch_execnz .LBB20_2745
; %bb.697:
	s_or_saveexec_b64 s[6:7], s[6:7]
	v_mov_b32_e32 v2, s10
	s_xor_b64 exec, exec, s[6:7]
	s_cbranch_execnz .LBB20_2748
.LBB20_698:
	s_or_b64 exec, exec, s[6:7]
	s_and_saveexec_b64 s[6:7], s[4:5]
	s_cbranch_execz .LBB20_700
.LBB20_699:
	v_bfe_u32 v2, v7, 24, 3
	v_ffbh_u32_e32 v12, v2
	v_min_u32_e32 v12, 32, v12
	v_lshrrev_b32_e32 v10, 27, v7
	v_subrev_u32_e32 v13, 28, v12
	v_and_b32_e32 v6, 0x80000000, v7
	v_and_b32_e32 v10, 15, v10
	v_bfe_u32 v11, v7, 27, 4
	v_lshlrev_b32_sdwa v7, v13, v7 dst_sel:DWORD dst_unused:UNUSED_PAD src0_sel:DWORD src1_sel:BYTE_3
	v_sub_u32_e32 v12, 29, v12
	v_and_b32_e32 v7, 7, v7
	v_cmp_eq_u16_e32 vcc, 0, v10
	v_cndmask_b32_e32 v2, v2, v7, vcc
	v_cndmask_b32_e32 v7, v11, v12, vcc
	v_mov_b32_e32 v10, 0x3b800000
	v_lshlrev_b32_e32 v2, 20, v2
	v_lshl_add_u32 v7, v7, 23, v10
	v_or3_b32 v2, v6, v7, v2
.LBB20_700:
	s_or_b64 exec, exec, s[6:7]
	s_movk_i32 s4, 0x7f
	v_cmp_gt_i16_sdwa s[6:7], v3, s4 src0_sel:BYTE_3 src1_sel:DWORD
	s_mov_b64 s[4:5], 0
                                        ; implicit-def: $sgpr10
	s_and_saveexec_b64 s[8:9], s[6:7]
	s_xor_b64 s[6:7], exec, s[8:9]
	s_cbranch_execnz .LBB20_2749
; %bb.701:
	s_or_saveexec_b64 s[6:7], s[6:7]
	v_mov_b32_e32 v6, s10
	s_xor_b64 exec, exec, s[6:7]
	s_cbranch_execnz .LBB20_2752
.LBB20_702:
	s_or_b64 exec, exec, s[6:7]
	s_and_saveexec_b64 s[6:7], s[4:5]
	s_cbranch_execz .LBB20_704
.LBB20_703:
	v_bfe_u32 v6, v3, 24, 3
	v_ffbh_u32_e32 v12, v6
	v_min_u32_e32 v12, 32, v12
	v_lshrrev_b32_e32 v10, 27, v3
	v_subrev_u32_e32 v13, 28, v12
	v_and_b32_e32 v7, 0x80000000, v3
	v_and_b32_e32 v10, 15, v10
	v_bfe_u32 v11, v3, 27, 4
	v_lshlrev_b32_sdwa v3, v13, v3 dst_sel:DWORD dst_unused:UNUSED_PAD src0_sel:DWORD src1_sel:BYTE_3
	v_sub_u32_e32 v12, 29, v12
	v_and_b32_e32 v3, 7, v3
	v_cmp_eq_u16_e32 vcc, 0, v10
	v_cndmask_b32_e32 v3, v6, v3, vcc
	v_cndmask_b32_e32 v6, v11, v12, vcc
	v_mov_b32_e32 v10, 0x3b800000
	v_lshlrev_b32_e32 v3, 20, v3
	v_lshl_add_u32 v6, v6, 23, v10
	v_or3_b32 v6, v7, v6, v3
.LBB20_704:
	s_or_b64 exec, exec, s[6:7]
	s_nop 0
	v_mfma_f32_16x16x4f32 a[0:3], v2, v6, a[0:3]
	s_movk_i32 s4, 0x7f
	v_cmp_gt_i16_sdwa s[6:7], v8, s4 src0_sel:BYTE_0 src1_sel:DWORD
	s_mov_b64 s[4:5], 0
                                        ; implicit-def: $sgpr10
	s_and_saveexec_b64 s[8:9], s[6:7]
	s_xor_b64 s[6:7], exec, s[8:9]
	s_cbranch_execnz .LBB20_2753
; %bb.705:
	s_or_saveexec_b64 s[6:7], s[6:7]
	v_mov_b32_e32 v2, s10
	s_xor_b64 exec, exec, s[6:7]
	s_cbranch_execnz .LBB20_2756
.LBB20_706:
	s_or_b64 exec, exec, s[6:7]
	s_and_saveexec_b64 s[6:7], s[4:5]
	s_cbranch_execz .LBB20_708
.LBB20_707:
	v_and_b32_e32 v2, 7, v8
	v_ffbh_u32_e32 v6, v2
	v_min_u32_e32 v6, 32, v6
	v_lshrrev_b16_e32 v3, 3, v8
	v_subrev_u32_e32 v7, 28, v6
	v_and_b32_e32 v3, 15, v3
	v_lshlrev_b32_e32 v7, v7, v8
	v_sub_u32_e32 v6, 29, v6
	v_and_b32_e32 v7, 7, v7
	v_cmp_eq_u16_e32 vcc, 0, v3
	v_cndmask_b32_e32 v2, v2, v7, vcc
	v_cndmask_b32_e32 v3, v3, v6, vcc
	v_lshlrev_b32_e32 v6, 24, v8
	v_mov_b32_e32 v7, 0x3b800000
	v_lshlrev_b32_e32 v2, 20, v2
	v_and_b32_e32 v6, 0x80000000, v6
	v_lshl_add_u32 v3, v3, 23, v7
	v_or3_b32 v2, v6, v3, v2
.LBB20_708:
	s_or_b64 exec, exec, s[6:7]
	s_movk_i32 s4, 0x7f
	v_cmp_gt_i16_sdwa s[6:7], v4, s4 src0_sel:BYTE_0 src1_sel:DWORD
	s_mov_b64 s[4:5], 0
                                        ; implicit-def: $sgpr10
	s_and_saveexec_b64 s[8:9], s[6:7]
	s_xor_b64 s[6:7], exec, s[8:9]
	s_cbranch_execnz .LBB20_2757
; %bb.709:
	s_or_saveexec_b64 s[6:7], s[6:7]
	v_mov_b32_e32 v3, s10
	s_xor_b64 exec, exec, s[6:7]
	s_cbranch_execnz .LBB20_2760
.LBB20_710:
	s_or_b64 exec, exec, s[6:7]
	s_and_saveexec_b64 s[6:7], s[4:5]
	s_cbranch_execz .LBB20_712
.LBB20_711:
	v_and_b32_e32 v3, 7, v4
	v_ffbh_u32_e32 v7, v3
	v_min_u32_e32 v7, 32, v7
	v_lshrrev_b16_e32 v6, 3, v4
	v_subrev_u32_e32 v10, 28, v7
	v_and_b32_e32 v6, 15, v6
	v_lshlrev_b32_e32 v10, v10, v4
	v_sub_u32_e32 v7, 29, v7
	v_and_b32_e32 v10, 7, v10
	v_cmp_eq_u16_e32 vcc, 0, v6
	v_cndmask_b32_e32 v3, v3, v10, vcc
	v_cndmask_b32_e32 v6, v6, v7, vcc
	v_lshlrev_b32_e32 v7, 24, v4
	v_mov_b32_e32 v10, 0x3b800000
	v_lshlrev_b32_e32 v3, 20, v3
	v_and_b32_e32 v7, 0x80000000, v7
	v_lshl_add_u32 v6, v6, 23, v10
	v_or3_b32 v3, v7, v6, v3
.LBB20_712:
	s_or_b64 exec, exec, s[6:7]
	s_nop 0
	v_mfma_f32_16x16x4f32 a[0:3], v2, v3, a[0:3]
	v_lshrrev_b32_e32 v3, 8, v8
	s_movk_i32 s4, 0x7f
	v_cmp_gt_i16_sdwa s[6:7], v3, s4 src0_sel:BYTE_0 src1_sel:DWORD
	s_mov_b64 s[4:5], 0
                                        ; implicit-def: $sgpr10
	s_and_saveexec_b64 s[8:9], s[6:7]
	s_xor_b64 s[6:7], exec, s[8:9]
	s_cbranch_execnz .LBB20_2761
; %bb.713:
	s_or_saveexec_b64 s[6:7], s[6:7]
	v_mov_b32_e32 v2, s10
	s_xor_b64 exec, exec, s[6:7]
	s_cbranch_execnz .LBB20_2764
.LBB20_714:
	s_or_b64 exec, exec, s[6:7]
	s_and_saveexec_b64 s[6:7], s[4:5]
	s_cbranch_execz .LBB20_716
.LBB20_715:
	v_bfe_u32 v2, v8, 8, 3
	v_ffbh_u32_e32 v7, v2
	v_min_u32_e32 v7, 32, v7
	v_lshrrev_b16_e32 v6, 3, v3
	v_subrev_u32_e32 v10, 28, v7
	v_and_b32_e32 v6, 15, v6
	v_lshlrev_b32_e32 v3, v10, v3
	v_sub_u32_e32 v7, 29, v7
	v_and_b32_e32 v3, 7, v3
	v_cmp_eq_u16_e32 vcc, 0, v6
	v_cndmask_b32_e32 v2, v2, v3, vcc
	v_cndmask_b32_e32 v3, v6, v7, vcc
	v_lshlrev_b32_e32 v6, 16, v8
	v_mov_b32_e32 v7, 0x3b800000
	v_lshlrev_b32_e32 v2, 20, v2
	v_and_b32_e32 v6, 0x80000000, v6
	v_lshl_add_u32 v3, v3, 23, v7
	v_or3_b32 v2, v6, v3, v2
.LBB20_716:
	s_or_b64 exec, exec, s[6:7]
	v_lshrrev_b32_e32 v3, 8, v4
	s_movk_i32 s4, 0x7f
	v_cmp_gt_i16_sdwa s[6:7], v3, s4 src0_sel:BYTE_0 src1_sel:DWORD
	s_mov_b64 s[4:5], 0
                                        ; implicit-def: $sgpr10
	s_and_saveexec_b64 s[8:9], s[6:7]
	s_xor_b64 s[6:7], exec, s[8:9]
	s_cbranch_execnz .LBB20_2765
; %bb.717:
	s_or_saveexec_b64 s[6:7], s[6:7]
	v_mov_b32_e32 v6, s10
	s_xor_b64 exec, exec, s[6:7]
	s_cbranch_execnz .LBB20_2768
.LBB20_718:
	s_or_b64 exec, exec, s[6:7]
	s_and_saveexec_b64 s[6:7], s[4:5]
	s_cbranch_execz .LBB20_720
.LBB20_719:
	v_bfe_u32 v6, v4, 8, 3
	v_ffbh_u32_e32 v10, v6
	v_min_u32_e32 v10, 32, v10
	v_lshrrev_b16_e32 v7, 3, v3
	v_subrev_u32_e32 v11, 28, v10
	v_and_b32_e32 v7, 15, v7
	v_lshlrev_b32_e32 v3, v11, v3
	v_sub_u32_e32 v10, 29, v10
	v_and_b32_e32 v3, 7, v3
	v_cmp_eq_u16_e32 vcc, 0, v7
	v_cndmask_b32_e32 v3, v6, v3, vcc
	v_cndmask_b32_e32 v6, v7, v10, vcc
	v_lshlrev_b32_e32 v7, 16, v4
	v_mov_b32_e32 v10, 0x3b800000
	v_lshlrev_b32_e32 v3, 20, v3
	v_and_b32_e32 v7, 0x80000000, v7
	v_lshl_add_u32 v6, v6, 23, v10
	v_or3_b32 v6, v7, v6, v3
.LBB20_720:
	s_or_b64 exec, exec, s[6:7]
	s_nop 0
	v_mfma_f32_16x16x4f32 a[0:3], v2, v6, a[0:3]
	s_movk_i32 s4, 0xff
	v_and_b32_sdwa v3, v8, s4 dst_sel:DWORD dst_unused:UNUSED_PAD src0_sel:WORD_1 src1_sel:DWORD
	s_movk_i32 s4, 0x7f
	v_cmp_lt_i16_e32 vcc, s4, v3
	s_mov_b64 s[4:5], 0
                                        ; implicit-def: $sgpr10
	s_and_saveexec_b64 s[6:7], vcc
	s_xor_b64 s[6:7], exec, s[6:7]
	s_cbranch_execnz .LBB20_2769
; %bb.721:
	s_or_saveexec_b64 s[6:7], s[6:7]
	v_mov_b32_e32 v2, s10
	s_xor_b64 exec, exec, s[6:7]
	s_cbranch_execnz .LBB20_2772
.LBB20_722:
	s_or_b64 exec, exec, s[6:7]
	s_and_saveexec_b64 s[6:7], s[4:5]
	s_cbranch_execz .LBB20_724
.LBB20_723:
	v_bfe_u32 v2, v8, 16, 3
	v_ffbh_u32_e32 v7, v2
	v_min_u32_e32 v7, 32, v7
	v_lshrrev_b32_e32 v3, 19, v8
	v_subrev_u32_e32 v10, 28, v7
	v_and_b32_e32 v3, 15, v3
	v_lshlrev_b32_sdwa v10, v10, v8 dst_sel:DWORD dst_unused:UNUSED_PAD src0_sel:DWORD src1_sel:WORD_1
	v_bfe_u32 v6, v8, 19, 4
	v_sub_u32_e32 v7, 29, v7
	v_and_b32_e32 v10, 7, v10
	v_cmp_eq_u16_e32 vcc, 0, v3
	v_cndmask_b32_e32 v2, v2, v10, vcc
	v_cndmask_b32_e32 v3, v6, v7, vcc
	v_lshlrev_b32_e32 v6, 8, v8
	v_mov_b32_e32 v7, 0x3b800000
	v_lshlrev_b32_e32 v2, 20, v2
	v_and_b32_e32 v6, 0x80000000, v6
	v_lshl_add_u32 v3, v3, 23, v7
	v_or3_b32 v2, v6, v3, v2
.LBB20_724:
	s_or_b64 exec, exec, s[6:7]
	s_movk_i32 s4, 0xff
	v_and_b32_sdwa v3, v4, s4 dst_sel:DWORD dst_unused:UNUSED_PAD src0_sel:WORD_1 src1_sel:DWORD
	s_movk_i32 s4, 0x7f
	v_cmp_lt_i16_e32 vcc, s4, v3
	s_mov_b64 s[4:5], 0
                                        ; implicit-def: $sgpr10
	s_and_saveexec_b64 s[6:7], vcc
	s_xor_b64 s[6:7], exec, s[6:7]
	s_cbranch_execnz .LBB20_2773
; %bb.725:
	s_or_saveexec_b64 s[6:7], s[6:7]
	v_mov_b32_e32 v6, s10
	s_xor_b64 exec, exec, s[6:7]
	s_cbranch_execnz .LBB20_2776
.LBB20_726:
	s_or_b64 exec, exec, s[6:7]
	s_and_saveexec_b64 s[6:7], s[4:5]
	s_cbranch_execz .LBB20_728
.LBB20_727:
	v_bfe_u32 v3, v4, 16, 3
	v_ffbh_u32_e32 v10, v3
	v_min_u32_e32 v10, 32, v10
	v_lshrrev_b32_e32 v6, 19, v4
	v_subrev_u32_e32 v11, 28, v10
	v_and_b32_e32 v6, 15, v6
	v_lshlrev_b32_sdwa v11, v11, v4 dst_sel:DWORD dst_unused:UNUSED_PAD src0_sel:DWORD src1_sel:WORD_1
	v_bfe_u32 v7, v4, 19, 4
	v_sub_u32_e32 v10, 29, v10
	v_and_b32_e32 v11, 7, v11
	v_cmp_eq_u16_e32 vcc, 0, v6
	v_cndmask_b32_e32 v3, v3, v11, vcc
	v_cndmask_b32_e32 v6, v7, v10, vcc
	v_lshlrev_b32_e32 v7, 8, v4
	v_mov_b32_e32 v10, 0x3b800000
	v_lshlrev_b32_e32 v3, 20, v3
	v_and_b32_e32 v7, 0x80000000, v7
	v_lshl_add_u32 v6, v6, 23, v10
	v_or3_b32 v6, v7, v6, v3
.LBB20_728:
	s_or_b64 exec, exec, s[6:7]
	s_nop 0
	v_mfma_f32_16x16x4f32 a[0:3], v2, v6, a[0:3]
	s_movk_i32 s4, 0x7f
	v_cmp_gt_i16_sdwa s[6:7], v8, s4 src0_sel:BYTE_3 src1_sel:DWORD
	s_mov_b64 s[4:5], 0
                                        ; implicit-def: $sgpr10
	s_and_saveexec_b64 s[8:9], s[6:7]
	s_xor_b64 s[6:7], exec, s[8:9]
	s_cbranch_execnz .LBB20_2777
; %bb.729:
	s_or_saveexec_b64 s[6:7], s[6:7]
	v_mov_b32_e32 v2, s10
	s_xor_b64 exec, exec, s[6:7]
	s_cbranch_execnz .LBB20_2780
.LBB20_730:
	s_or_b64 exec, exec, s[6:7]
	s_and_saveexec_b64 s[6:7], s[4:5]
	s_cbranch_execz .LBB20_732
.LBB20_731:
	v_bfe_u32 v2, v8, 24, 3
	v_ffbh_u32_e32 v10, v2
	v_min_u32_e32 v10, 32, v10
	v_lshrrev_b32_e32 v6, 27, v8
	v_subrev_u32_e32 v11, 28, v10
	v_and_b32_e32 v3, 0x80000000, v8
	v_and_b32_e32 v6, 15, v6
	v_bfe_u32 v7, v8, 27, 4
	v_lshlrev_b32_sdwa v8, v11, v8 dst_sel:DWORD dst_unused:UNUSED_PAD src0_sel:DWORD src1_sel:BYTE_3
	v_sub_u32_e32 v10, 29, v10
	v_and_b32_e32 v8, 7, v8
	v_cmp_eq_u16_e32 vcc, 0, v6
	v_cndmask_b32_e32 v2, v2, v8, vcc
	v_cndmask_b32_e32 v6, v7, v10, vcc
	v_mov_b32_e32 v7, 0x3b800000
	v_lshlrev_b32_e32 v2, 20, v2
	v_lshl_add_u32 v6, v6, 23, v7
	v_or3_b32 v2, v3, v6, v2
.LBB20_732:
	s_or_b64 exec, exec, s[6:7]
	s_movk_i32 s4, 0x7f
	v_cmp_gt_i16_sdwa s[6:7], v4, s4 src0_sel:BYTE_3 src1_sel:DWORD
	s_mov_b64 s[4:5], 0
                                        ; implicit-def: $sgpr10
	s_and_saveexec_b64 s[8:9], s[6:7]
	s_xor_b64 s[6:7], exec, s[8:9]
	s_cbranch_execnz .LBB20_2781
; %bb.733:
	s_or_saveexec_b64 s[6:7], s[6:7]
	v_mov_b32_e32 v3, s10
	s_xor_b64 exec, exec, s[6:7]
	s_cbranch_execnz .LBB20_2784
.LBB20_734:
	s_or_b64 exec, exec, s[6:7]
	s_and_saveexec_b64 s[6:7], s[4:5]
	s_cbranch_execz .LBB20_736
.LBB20_735:
	v_bfe_u32 v3, v4, 24, 3
	v_ffbh_u32_e32 v10, v3
	v_min_u32_e32 v10, 32, v10
	v_lshrrev_b32_e32 v7, 27, v4
	v_subrev_u32_e32 v11, 28, v10
	v_and_b32_e32 v6, 0x80000000, v4
	v_and_b32_e32 v7, 15, v7
	v_bfe_u32 v8, v4, 27, 4
	v_lshlrev_b32_sdwa v4, v11, v4 dst_sel:DWORD dst_unused:UNUSED_PAD src0_sel:DWORD src1_sel:BYTE_3
	v_sub_u32_e32 v10, 29, v10
	v_and_b32_e32 v4, 7, v4
	v_cmp_eq_u16_e32 vcc, 0, v7
	v_cndmask_b32_e32 v3, v3, v4, vcc
	v_cndmask_b32_e32 v4, v8, v10, vcc
	v_mov_b32_e32 v7, 0x3b800000
	v_lshlrev_b32_e32 v3, 20, v3
	v_lshl_add_u32 v4, v4, 23, v7
	v_or3_b32 v3, v6, v4, v3
.LBB20_736:
	s_or_b64 exec, exec, s[6:7]
	s_nop 0
	v_mfma_f32_16x16x4f32 a[0:3], v2, v3, a[0:3]
	s_movk_i32 s4, 0x7f
	v_cmp_gt_i16_sdwa s[6:7], v9, s4 src0_sel:BYTE_0 src1_sel:DWORD
	s_mov_b64 s[4:5], 0
                                        ; implicit-def: $sgpr10
	s_and_saveexec_b64 s[8:9], s[6:7]
	s_xor_b64 s[6:7], exec, s[8:9]
	s_cbranch_execnz .LBB20_2785
; %bb.737:
	s_or_saveexec_b64 s[6:7], s[6:7]
	v_mov_b32_e32 v2, s10
	s_xor_b64 exec, exec, s[6:7]
	s_cbranch_execnz .LBB20_2788
.LBB20_738:
	s_or_b64 exec, exec, s[6:7]
	s_and_saveexec_b64 s[6:7], s[4:5]
	s_cbranch_execz .LBB20_740
.LBB20_739:
	v_mov_b32_e32 v2, 8
	v_and_b32_e32 v3, 7, v9
	v_lshrrev_b32_sdwa v2, v2, v9 dst_sel:BYTE_1 dst_unused:UNUSED_PAD src0_sel:DWORD src1_sel:DWORD
	v_ffbh_u32_e32 v4, v3
	v_or_b32_sdwa v2, v9, v2 dst_sel:DWORD dst_unused:UNUSED_PAD src0_sel:BYTE_0 src1_sel:DWORD
	v_min_u32_e32 v4, 32, v4
	v_lshrrev_b16_e32 v2, 3, v2
	v_subrev_u32_e32 v6, 28, v4
	v_and_b32_e32 v2, 15, v2
	v_lshlrev_b32_e32 v6, v6, v9
	v_sub_u32_e32 v4, 29, v4
	v_and_b32_e32 v6, 7, v6
	v_cmp_eq_u16_e32 vcc, 0, v2
	v_cndmask_b32_e32 v3, v3, v6, vcc
	v_cndmask_b32_e32 v2, v2, v4, vcc
	v_lshlrev_b32_e32 v4, 24, v9
	v_mov_b32_e32 v6, 0x3b800000
	v_lshlrev_b32_e32 v3, 20, v3
	v_and_b32_e32 v4, 0x80000000, v4
	v_lshl_add_u32 v2, v2, 23, v6
	v_or3_b32 v2, v4, v2, v3
.LBB20_740:
	s_or_b64 exec, exec, s[6:7]
	s_movk_i32 s4, 0x7f
	v_cmp_gt_i16_sdwa s[6:7], v5, s4 src0_sel:BYTE_0 src1_sel:DWORD
	s_mov_b64 s[4:5], 0
                                        ; implicit-def: $sgpr10
	s_and_saveexec_b64 s[8:9], s[6:7]
	s_xor_b64 s[6:7], exec, s[8:9]
	s_cbranch_execnz .LBB20_2789
; %bb.741:
	s_or_saveexec_b64 s[6:7], s[6:7]
	v_mov_b32_e32 v3, s10
	s_xor_b64 exec, exec, s[6:7]
	s_cbranch_execnz .LBB20_2792
.LBB20_742:
	s_or_b64 exec, exec, s[6:7]
	s_and_saveexec_b64 s[6:7], s[4:5]
	s_cbranch_execz .LBB20_744
.LBB20_743:
	v_mov_b32_e32 v3, 8
	v_and_b32_e32 v4, 7, v5
	v_lshrrev_b32_sdwa v3, v3, v5 dst_sel:BYTE_1 dst_unused:UNUSED_PAD src0_sel:DWORD src1_sel:DWORD
	v_ffbh_u32_e32 v6, v4
	v_or_b32_sdwa v3, v5, v3 dst_sel:DWORD dst_unused:UNUSED_PAD src0_sel:BYTE_0 src1_sel:DWORD
	v_min_u32_e32 v6, 32, v6
	v_lshrrev_b16_e32 v3, 3, v3
	v_subrev_u32_e32 v7, 28, v6
	v_and_b32_e32 v3, 15, v3
	v_lshlrev_b32_e32 v7, v7, v5
	v_sub_u32_e32 v6, 29, v6
	v_and_b32_e32 v7, 7, v7
	v_cmp_eq_u16_e32 vcc, 0, v3
	v_cndmask_b32_e32 v4, v4, v7, vcc
	v_cndmask_b32_e32 v3, v3, v6, vcc
	v_lshlrev_b32_e32 v6, 24, v5
	v_mov_b32_e32 v7, 0x3b800000
	v_lshlrev_b32_e32 v4, 20, v4
	v_and_b32_e32 v6, 0x80000000, v6
	v_lshl_add_u32 v3, v3, 23, v7
	v_or3_b32 v3, v6, v3, v4
.LBB20_744:
	s_or_b64 exec, exec, s[6:7]
	s_nop 0
	v_mfma_f32_16x16x4f32 a[0:3], v2, v3, a[0:3]
	v_lshrrev_b32_e32 v3, 8, v9
	s_movk_i32 s4, 0x7f
	v_cmp_gt_i16_sdwa s[6:7], v3, s4 src0_sel:BYTE_0 src1_sel:DWORD
	s_mov_b64 s[4:5], 0
                                        ; implicit-def: $sgpr10
	s_and_saveexec_b64 s[8:9], s[6:7]
	s_xor_b64 s[6:7], exec, s[8:9]
	s_cbranch_execnz .LBB20_2793
; %bb.745:
	s_or_saveexec_b64 s[6:7], s[6:7]
	v_mov_b32_e32 v2, s10
	s_xor_b64 exec, exec, s[6:7]
	s_cbranch_execnz .LBB20_2796
.LBB20_746:
	s_or_b64 exec, exec, s[6:7]
	s_and_saveexec_b64 s[6:7], s[4:5]
	s_cbranch_execz .LBB20_748
.LBB20_747:
	v_bfe_u32 v2, v9, 8, 3
	v_ffbh_u32_e32 v6, v2
	v_min_u32_e32 v6, 32, v6
	v_lshrrev_b16_e32 v4, 3, v3
	v_subrev_u32_e32 v7, 28, v6
	v_and_b32_e32 v4, 15, v4
	v_lshlrev_b32_e32 v3, v7, v3
	v_sub_u32_e32 v6, 29, v6
	v_and_b32_e32 v3, 7, v3
	v_cmp_eq_u16_e32 vcc, 0, v4
	v_cndmask_b32_e32 v2, v2, v3, vcc
	v_cndmask_b32_e32 v3, v4, v6, vcc
	v_lshlrev_b32_e32 v4, 16, v9
	v_mov_b32_e32 v6, 0x3b800000
	v_lshlrev_b32_e32 v2, 20, v2
	v_and_b32_e32 v4, 0x80000000, v4
	v_lshl_add_u32 v3, v3, 23, v6
	v_or3_b32 v2, v4, v3, v2
.LBB20_748:
	s_or_b64 exec, exec, s[6:7]
	v_lshrrev_b32_e32 v3, 8, v5
	s_movk_i32 s4, 0x7f
	v_cmp_gt_i16_sdwa s[6:7], v3, s4 src0_sel:BYTE_0 src1_sel:DWORD
	s_mov_b64 s[4:5], 0
                                        ; implicit-def: $sgpr10
	s_and_saveexec_b64 s[8:9], s[6:7]
	s_xor_b64 s[6:7], exec, s[8:9]
	s_cbranch_execnz .LBB20_2797
; %bb.749:
	s_or_saveexec_b64 s[6:7], s[6:7]
	v_mov_b32_e32 v4, s10
	s_xor_b64 exec, exec, s[6:7]
	s_cbranch_execnz .LBB20_2800
.LBB20_750:
	s_or_b64 exec, exec, s[6:7]
	s_and_saveexec_b64 s[6:7], s[4:5]
	s_cbranch_execz .LBB20_752
.LBB20_751:
	v_bfe_u32 v4, v5, 8, 3
	v_ffbh_u32_e32 v7, v4
	v_min_u32_e32 v7, 32, v7
	v_lshrrev_b16_e32 v6, 3, v3
	v_subrev_u32_e32 v8, 28, v7
	v_and_b32_e32 v6, 15, v6
	v_lshlrev_b32_e32 v3, v8, v3
	v_sub_u32_e32 v7, 29, v7
	v_and_b32_e32 v3, 7, v3
	v_cmp_eq_u16_e32 vcc, 0, v6
	v_cndmask_b32_e32 v3, v4, v3, vcc
	v_cndmask_b32_e32 v4, v6, v7, vcc
	v_lshlrev_b32_e32 v6, 16, v5
	v_mov_b32_e32 v7, 0x3b800000
	v_lshlrev_b32_e32 v3, 20, v3
	v_and_b32_e32 v6, 0x80000000, v6
	v_lshl_add_u32 v4, v4, 23, v7
	v_or3_b32 v4, v6, v4, v3
.LBB20_752:
	s_or_b64 exec, exec, s[6:7]
	s_nop 0
	v_mfma_f32_16x16x4f32 a[0:3], v2, v4, a[0:3]
	s_movk_i32 s4, 0xff
	v_and_b32_sdwa v3, v9, s4 dst_sel:DWORD dst_unused:UNUSED_PAD src0_sel:WORD_1 src1_sel:DWORD
	s_movk_i32 s4, 0x7f
	v_cmp_lt_i16_e32 vcc, s4, v3
	s_mov_b64 s[4:5], 0
                                        ; implicit-def: $sgpr10
	s_and_saveexec_b64 s[6:7], vcc
	s_xor_b64 s[6:7], exec, s[6:7]
	s_cbranch_execnz .LBB20_2801
; %bb.753:
	s_or_saveexec_b64 s[6:7], s[6:7]
	v_mov_b32_e32 v2, s10
	s_xor_b64 exec, exec, s[6:7]
	s_cbranch_execnz .LBB20_2804
.LBB20_754:
	s_or_b64 exec, exec, s[6:7]
	s_and_saveexec_b64 s[6:7], s[4:5]
	s_cbranch_execz .LBB20_756
.LBB20_755:
	v_bfe_u32 v2, v9, 16, 3
	v_ffbh_u32_e32 v6, v2
	v_min_u32_e32 v6, 32, v6
	v_lshrrev_b32_e32 v3, 19, v9
	v_subrev_u32_e32 v7, 28, v6
	v_and_b32_e32 v3, 15, v3
	v_lshlrev_b32_sdwa v7, v7, v9 dst_sel:DWORD dst_unused:UNUSED_PAD src0_sel:DWORD src1_sel:WORD_1
	v_bfe_u32 v4, v9, 19, 4
	v_sub_u32_e32 v6, 29, v6
	v_and_b32_e32 v7, 7, v7
	v_cmp_eq_u16_e32 vcc, 0, v3
	v_cndmask_b32_e32 v2, v2, v7, vcc
	v_cndmask_b32_e32 v3, v4, v6, vcc
	v_lshlrev_b32_e32 v4, 8, v9
	v_mov_b32_e32 v6, 0x3b800000
	v_lshlrev_b32_e32 v2, 20, v2
	v_and_b32_e32 v4, 0x80000000, v4
	v_lshl_add_u32 v3, v3, 23, v6
	v_or3_b32 v2, v4, v3, v2
.LBB20_756:
	s_or_b64 exec, exec, s[6:7]
	s_movk_i32 s4, 0xff
	v_and_b32_sdwa v3, v5, s4 dst_sel:DWORD dst_unused:UNUSED_PAD src0_sel:WORD_1 src1_sel:DWORD
	s_movk_i32 s4, 0x7f
	v_cmp_lt_i16_e32 vcc, s4, v3
	s_mov_b64 s[4:5], 0
                                        ; implicit-def: $sgpr10
	s_and_saveexec_b64 s[6:7], vcc
	s_xor_b64 s[6:7], exec, s[6:7]
	s_cbranch_execnz .LBB20_2805
; %bb.757:
	s_or_saveexec_b64 s[6:7], s[6:7]
	v_mov_b32_e32 v4, s10
	s_xor_b64 exec, exec, s[6:7]
	s_cbranch_execnz .LBB20_2808
.LBB20_758:
	s_or_b64 exec, exec, s[6:7]
	s_and_saveexec_b64 s[6:7], s[4:5]
	s_cbranch_execz .LBB20_760
.LBB20_759:
	v_bfe_u32 v3, v5, 16, 3
	v_ffbh_u32_e32 v7, v3
	v_min_u32_e32 v7, 32, v7
	v_lshrrev_b32_e32 v4, 19, v5
	v_subrev_u32_e32 v8, 28, v7
	v_and_b32_e32 v4, 15, v4
	v_lshlrev_b32_sdwa v8, v8, v5 dst_sel:DWORD dst_unused:UNUSED_PAD src0_sel:DWORD src1_sel:WORD_1
	v_bfe_u32 v6, v5, 19, 4
	v_sub_u32_e32 v7, 29, v7
	v_and_b32_e32 v8, 7, v8
	v_cmp_eq_u16_e32 vcc, 0, v4
	v_cndmask_b32_e32 v3, v3, v8, vcc
	v_cndmask_b32_e32 v4, v6, v7, vcc
	v_lshlrev_b32_e32 v6, 8, v5
	v_mov_b32_e32 v7, 0x3b800000
	v_lshlrev_b32_e32 v3, 20, v3
	v_and_b32_e32 v6, 0x80000000, v6
	v_lshl_add_u32 v4, v4, 23, v7
	v_or3_b32 v4, v6, v4, v3
.LBB20_760:
	s_or_b64 exec, exec, s[6:7]
	s_nop 0
	v_mfma_f32_16x16x4f32 a[0:3], v2, v4, a[0:3]
	s_movk_i32 s4, 0x7f
	v_cmp_gt_i16_sdwa s[6:7], v9, s4 src0_sel:BYTE_3 src1_sel:DWORD
	s_mov_b64 s[4:5], 0
                                        ; implicit-def: $sgpr10
	s_and_saveexec_b64 s[8:9], s[6:7]
	s_xor_b64 s[6:7], exec, s[8:9]
	s_cbranch_execnz .LBB20_2809
; %bb.761:
	s_or_saveexec_b64 s[6:7], s[6:7]
	v_mov_b32_e32 v2, s10
	s_xor_b64 exec, exec, s[6:7]
	s_cbranch_execnz .LBB20_2812
.LBB20_762:
	s_or_b64 exec, exec, s[6:7]
	s_and_saveexec_b64 s[6:7], s[4:5]
	s_cbranch_execz .LBB20_764
.LBB20_763:
	v_bfe_u32 v2, v9, 24, 3
	v_ffbh_u32_e32 v7, v2
	v_min_u32_e32 v7, 32, v7
	v_lshrrev_b32_e32 v4, 27, v9
	v_subrev_u32_e32 v8, 28, v7
	v_and_b32_e32 v4, 15, v4
	v_lshlrev_b32_sdwa v8, v8, v9 dst_sel:DWORD dst_unused:UNUSED_PAD src0_sel:DWORD src1_sel:BYTE_3
	v_bfe_u32 v6, v9, 27, 4
	v_sub_u32_e32 v7, 29, v7
	v_and_b32_e32 v8, 7, v8
	v_cmp_eq_u16_e32 vcc, 0, v4
	v_cndmask_b32_e32 v2, v2, v8, vcc
	v_cndmask_b32_e32 v4, v6, v7, vcc
	v_mov_b32_e32 v6, 0x3b800000
	v_and_b32_e32 v3, 0x80000000, v9
	v_lshlrev_b32_e32 v2, 20, v2
	v_lshl_add_u32 v4, v4, 23, v6
	v_or3_b32 v2, v3, v4, v2
.LBB20_764:
	s_or_b64 exec, exec, s[6:7]
	s_movk_i32 s4, 0x7f
	v_cmp_gt_i16_sdwa s[6:7], v5, s4 src0_sel:BYTE_3 src1_sel:DWORD
	s_mov_b64 s[4:5], 0
                                        ; implicit-def: $sgpr10
	s_and_saveexec_b64 s[8:9], s[6:7]
	s_xor_b64 s[6:7], exec, s[8:9]
	s_cbranch_execnz .LBB20_2813
; %bb.765:
	s_or_saveexec_b64 s[6:7], s[6:7]
	v_mov_b32_e32 v3, s10
	s_xor_b64 exec, exec, s[6:7]
	s_cbranch_execnz .LBB20_2816
.LBB20_766:
	s_or_b64 exec, exec, s[6:7]
	s_and_saveexec_b64 s[6:7], s[4:5]
	s_cbranch_execz .LBB20_768
.LBB20_767:
	v_bfe_u32 v3, v5, 24, 3
	v_ffbh_u32_e32 v8, v3
	v_min_u32_e32 v8, 32, v8
	v_lshrrev_b32_e32 v6, 27, v5
	v_subrev_u32_e32 v9, 28, v8
	v_and_b32_e32 v4, 0x80000000, v5
	v_and_b32_e32 v6, 15, v6
	v_bfe_u32 v7, v5, 27, 4
	v_lshlrev_b32_sdwa v5, v9, v5 dst_sel:DWORD dst_unused:UNUSED_PAD src0_sel:DWORD src1_sel:BYTE_3
	v_sub_u32_e32 v8, 29, v8
	v_and_b32_e32 v5, 7, v5
	v_cmp_eq_u16_e32 vcc, 0, v6
	v_cndmask_b32_e32 v3, v3, v5, vcc
	v_cndmask_b32_e32 v5, v7, v8, vcc
	v_mov_b32_e32 v6, 0x3b800000
	v_lshlrev_b32_e32 v3, 20, v3
	v_lshl_add_u32 v5, v5, 23, v6
	v_or3_b32 v3, v4, v5, v3
.LBB20_768:
	s_or_b64 exec, exec, s[6:7]
	s_nop 0
	v_mfma_f32_16x16x4f32 a[0:3], v2, v3, a[0:3]
	s_movk_i32 s4, 0x7f
                                        ; implicit-def: $sgpr10
	s_nop 7
	s_nop 1
	flat_store_dwordx4 v[18:19], a[0:3] offset:288
	flat_load_dwordx4 v[20:23], v[0:1] offset:8
	s_nop 0
	flat_load_dwordx2 v[18:19], v[0:1] offset:24
	s_waitcnt vmcnt(0) lgkmcnt(0)
	flat_load_dwordx4 v[14:17], v[20:21]
	flat_load_dwordx4 v[6:9], v[20:21] offset:16
	flat_load_dwordx4 v[10:13], v[22:23] offset:96
	;; [unrolled: 1-line block ×3, first 2 shown]
	s_waitcnt vmcnt(0) lgkmcnt(0)
	v_cmp_gt_i16_sdwa s[6:7], v14, s4 src0_sel:BYTE_0 src1_sel:DWORD
	s_mov_b64 s[4:5], 0
	s_and_saveexec_b64 s[8:9], s[6:7]
	s_xor_b64 s[6:7], exec, s[8:9]
	s_cbranch_execnz .LBB20_2817
; %bb.769:
	s_or_saveexec_b64 s[6:7], s[6:7]
	v_mov_b32_e32 v20, s10
	s_xor_b64 exec, exec, s[6:7]
	s_cbranch_execnz .LBB20_2820
.LBB20_770:
	s_or_b64 exec, exec, s[6:7]
	s_and_saveexec_b64 s[6:7], s[4:5]
	s_cbranch_execz .LBB20_772
.LBB20_771:
	v_and_b32_e32 v20, 7, v14
	v_ffbh_u32_e32 v22, v20
	v_min_u32_e32 v22, 32, v22
	v_lshrrev_b16_e32 v21, 3, v14
	v_subrev_u32_e32 v23, 28, v22
	v_and_b32_e32 v21, 15, v21
	v_lshlrev_b32_e32 v23, v23, v14
	v_sub_u32_e32 v22, 29, v22
	v_and_b32_e32 v23, 7, v23
	v_cmp_eq_u16_e32 vcc, 0, v21
	v_cndmask_b32_e32 v20, v20, v23, vcc
	v_cndmask_b32_e32 v21, v21, v22, vcc
	v_lshlrev_b32_e32 v22, 24, v14
	v_mov_b32_e32 v23, 0x3b800000
	v_lshlrev_b32_e32 v20, 20, v20
	v_and_b32_e32 v22, 0x80000000, v22
	v_lshl_add_u32 v21, v21, 23, v23
	v_or3_b32 v20, v22, v21, v20
.LBB20_772:
	s_or_b64 exec, exec, s[6:7]
	s_movk_i32 s4, 0x7f
	v_cmp_gt_i16_sdwa s[6:7], v10, s4 src0_sel:BYTE_0 src1_sel:DWORD
	s_mov_b64 s[4:5], 0
                                        ; implicit-def: $sgpr10
	s_and_saveexec_b64 s[8:9], s[6:7]
	s_xor_b64 s[6:7], exec, s[8:9]
	s_cbranch_execnz .LBB20_2821
; %bb.773:
	s_or_saveexec_b64 s[6:7], s[6:7]
	v_mov_b32_e32 v21, s10
	s_xor_b64 exec, exec, s[6:7]
	s_cbranch_execnz .LBB20_2824
.LBB20_774:
	s_or_b64 exec, exec, s[6:7]
	s_and_saveexec_b64 s[6:7], s[4:5]
	s_cbranch_execz .LBB20_776
.LBB20_775:
	v_and_b32_e32 v21, 7, v10
	v_ffbh_u32_e32 v23, v21
	v_min_u32_e32 v23, 32, v23
	v_lshrrev_b16_e32 v22, 3, v10
	v_subrev_u32_e32 v24, 28, v23
	v_and_b32_e32 v22, 15, v22
	v_lshlrev_b32_e32 v24, v24, v10
	v_sub_u32_e32 v23, 29, v23
	v_and_b32_e32 v24, 7, v24
	v_cmp_eq_u16_e32 vcc, 0, v22
	v_cndmask_b32_e32 v21, v21, v24, vcc
	v_cndmask_b32_e32 v22, v22, v23, vcc
	v_lshlrev_b32_e32 v23, 24, v10
	v_mov_b32_e32 v24, 0x3b800000
	v_lshlrev_b32_e32 v21, 20, v21
	v_and_b32_e32 v23, 0x80000000, v23
	v_lshl_add_u32 v22, v22, 23, v24
	v_or3_b32 v21, v23, v22, v21
.LBB20_776:
	s_or_b64 exec, exec, s[6:7]
	flat_load_dwordx4 a[0:3], v[18:19] offset:304
	s_movk_i32 s4, 0x7f
                                        ; implicit-def: $sgpr10
	s_waitcnt vmcnt(0) lgkmcnt(0)
	v_mfma_f32_16x16x4f32 a[0:3], v20, v21, a[0:3]
	v_lshrrev_b32_e32 v21, 8, v14
	v_cmp_gt_i16_sdwa s[6:7], v21, s4 src0_sel:BYTE_0 src1_sel:DWORD
	s_mov_b64 s[4:5], 0
	s_and_saveexec_b64 s[8:9], s[6:7]
	s_xor_b64 s[6:7], exec, s[8:9]
	s_cbranch_execnz .LBB20_2825
; %bb.777:
	s_or_saveexec_b64 s[6:7], s[6:7]
	v_mov_b32_e32 v20, s10
	s_xor_b64 exec, exec, s[6:7]
	s_cbranch_execnz .LBB20_2828
.LBB20_778:
	s_or_b64 exec, exec, s[6:7]
	s_and_saveexec_b64 s[6:7], s[4:5]
	s_cbranch_execz .LBB20_780
.LBB20_779:
	v_bfe_u32 v20, v14, 8, 3
	v_ffbh_u32_e32 v23, v20
	v_min_u32_e32 v23, 32, v23
	v_lshrrev_b16_e32 v22, 3, v21
	v_subrev_u32_e32 v24, 28, v23
	v_and_b32_e32 v22, 15, v22
	v_lshlrev_b32_e32 v21, v24, v21
	v_sub_u32_e32 v23, 29, v23
	v_and_b32_e32 v21, 7, v21
	v_cmp_eq_u16_e32 vcc, 0, v22
	v_cndmask_b32_e32 v20, v20, v21, vcc
	v_cndmask_b32_e32 v21, v22, v23, vcc
	v_lshlrev_b32_e32 v22, 16, v14
	v_mov_b32_e32 v23, 0x3b800000
	v_lshlrev_b32_e32 v20, 20, v20
	v_and_b32_e32 v22, 0x80000000, v22
	v_lshl_add_u32 v21, v21, 23, v23
	v_or3_b32 v20, v22, v21, v20
.LBB20_780:
	s_or_b64 exec, exec, s[6:7]
	v_lshrrev_b32_e32 v21, 8, v10
	s_movk_i32 s4, 0x7f
	v_cmp_gt_i16_sdwa s[6:7], v21, s4 src0_sel:BYTE_0 src1_sel:DWORD
	s_mov_b64 s[4:5], 0
                                        ; implicit-def: $sgpr10
	s_and_saveexec_b64 s[8:9], s[6:7]
	s_xor_b64 s[6:7], exec, s[8:9]
	s_cbranch_execnz .LBB20_2829
; %bb.781:
	s_or_saveexec_b64 s[6:7], s[6:7]
	v_mov_b32_e32 v22, s10
	s_xor_b64 exec, exec, s[6:7]
	s_cbranch_execnz .LBB20_2832
.LBB20_782:
	s_or_b64 exec, exec, s[6:7]
	s_and_saveexec_b64 s[6:7], s[4:5]
	s_cbranch_execz .LBB20_784
.LBB20_783:
	v_bfe_u32 v22, v10, 8, 3
	v_ffbh_u32_e32 v24, v22
	v_min_u32_e32 v24, 32, v24
	v_lshrrev_b16_e32 v23, 3, v21
	v_subrev_u32_e32 v25, 28, v24
	v_and_b32_e32 v23, 15, v23
	v_lshlrev_b32_e32 v21, v25, v21
	v_sub_u32_e32 v24, 29, v24
	v_and_b32_e32 v21, 7, v21
	v_cmp_eq_u16_e32 vcc, 0, v23
	v_cndmask_b32_e32 v21, v22, v21, vcc
	v_cndmask_b32_e32 v22, v23, v24, vcc
	v_lshlrev_b32_e32 v23, 16, v10
	v_mov_b32_e32 v24, 0x3b800000
	v_lshlrev_b32_e32 v21, 20, v21
	v_and_b32_e32 v23, 0x80000000, v23
	v_lshl_add_u32 v22, v22, 23, v24
	v_or3_b32 v22, v23, v22, v21
.LBB20_784:
	s_or_b64 exec, exec, s[6:7]
	s_nop 0
	v_mfma_f32_16x16x4f32 a[0:3], v20, v22, a[0:3]
	s_movk_i32 s4, 0xff
	v_and_b32_sdwa v21, v14, s4 dst_sel:DWORD dst_unused:UNUSED_PAD src0_sel:WORD_1 src1_sel:DWORD
	s_movk_i32 s4, 0x7f
	v_cmp_lt_i16_e32 vcc, s4, v21
	s_mov_b64 s[4:5], 0
                                        ; implicit-def: $sgpr10
	s_and_saveexec_b64 s[6:7], vcc
	s_xor_b64 s[6:7], exec, s[6:7]
	s_cbranch_execnz .LBB20_2833
; %bb.785:
	s_or_saveexec_b64 s[6:7], s[6:7]
	v_mov_b32_e32 v20, s10
	s_xor_b64 exec, exec, s[6:7]
	s_cbranch_execnz .LBB20_2836
.LBB20_786:
	s_or_b64 exec, exec, s[6:7]
	s_and_saveexec_b64 s[6:7], s[4:5]
	s_cbranch_execz .LBB20_788
.LBB20_787:
	v_bfe_u32 v20, v14, 16, 3
	v_ffbh_u32_e32 v23, v20
	v_min_u32_e32 v23, 32, v23
	v_lshrrev_b32_e32 v21, 19, v14
	v_subrev_u32_e32 v24, 28, v23
	v_and_b32_e32 v21, 15, v21
	v_lshlrev_b32_sdwa v24, v24, v14 dst_sel:DWORD dst_unused:UNUSED_PAD src0_sel:DWORD src1_sel:WORD_1
	v_bfe_u32 v22, v14, 19, 4
	v_sub_u32_e32 v23, 29, v23
	v_and_b32_e32 v24, 7, v24
	v_cmp_eq_u16_e32 vcc, 0, v21
	v_cndmask_b32_e32 v20, v20, v24, vcc
	v_cndmask_b32_e32 v21, v22, v23, vcc
	v_lshlrev_b32_e32 v22, 8, v14
	v_mov_b32_e32 v23, 0x3b800000
	v_lshlrev_b32_e32 v20, 20, v20
	v_and_b32_e32 v22, 0x80000000, v22
	v_lshl_add_u32 v21, v21, 23, v23
	v_or3_b32 v20, v22, v21, v20
.LBB20_788:
	s_or_b64 exec, exec, s[6:7]
	s_movk_i32 s4, 0xff
	v_and_b32_sdwa v21, v10, s4 dst_sel:DWORD dst_unused:UNUSED_PAD src0_sel:WORD_1 src1_sel:DWORD
	s_movk_i32 s4, 0x7f
	v_cmp_lt_i16_e32 vcc, s4, v21
	s_mov_b64 s[4:5], 0
                                        ; implicit-def: $sgpr10
	s_and_saveexec_b64 s[6:7], vcc
	s_xor_b64 s[6:7], exec, s[6:7]
	s_cbranch_execnz .LBB20_2837
; %bb.789:
	s_or_saveexec_b64 s[6:7], s[6:7]
	v_mov_b32_e32 v22, s10
	s_xor_b64 exec, exec, s[6:7]
	s_cbranch_execnz .LBB20_2840
.LBB20_790:
	s_or_b64 exec, exec, s[6:7]
	s_and_saveexec_b64 s[6:7], s[4:5]
	s_cbranch_execz .LBB20_792
.LBB20_791:
	v_bfe_u32 v21, v10, 16, 3
	v_ffbh_u32_e32 v24, v21
	v_min_u32_e32 v24, 32, v24
	v_lshrrev_b32_e32 v22, 19, v10
	v_subrev_u32_e32 v25, 28, v24
	v_and_b32_e32 v22, 15, v22
	v_lshlrev_b32_sdwa v25, v25, v10 dst_sel:DWORD dst_unused:UNUSED_PAD src0_sel:DWORD src1_sel:WORD_1
	v_bfe_u32 v23, v10, 19, 4
	v_sub_u32_e32 v24, 29, v24
	v_and_b32_e32 v25, 7, v25
	v_cmp_eq_u16_e32 vcc, 0, v22
	v_cndmask_b32_e32 v21, v21, v25, vcc
	v_cndmask_b32_e32 v22, v23, v24, vcc
	v_lshlrev_b32_e32 v23, 8, v10
	v_mov_b32_e32 v24, 0x3b800000
	v_lshlrev_b32_e32 v21, 20, v21
	v_and_b32_e32 v23, 0x80000000, v23
	v_lshl_add_u32 v22, v22, 23, v24
	v_or3_b32 v22, v23, v22, v21
.LBB20_792:
	s_or_b64 exec, exec, s[6:7]
	s_nop 0
	v_mfma_f32_16x16x4f32 a[0:3], v20, v22, a[0:3]
	s_movk_i32 s4, 0x7f
	v_cmp_gt_i16_sdwa s[6:7], v14, s4 src0_sel:BYTE_3 src1_sel:DWORD
	s_mov_b64 s[4:5], 0
                                        ; implicit-def: $sgpr10
	s_and_saveexec_b64 s[8:9], s[6:7]
	s_xor_b64 s[6:7], exec, s[8:9]
	s_cbranch_execnz .LBB20_2841
; %bb.793:
	s_or_saveexec_b64 s[6:7], s[6:7]
	v_mov_b32_e32 v20, s10
	s_xor_b64 exec, exec, s[6:7]
	s_cbranch_execnz .LBB20_2844
.LBB20_794:
	s_or_b64 exec, exec, s[6:7]
	s_and_saveexec_b64 s[6:7], s[4:5]
	s_cbranch_execz .LBB20_796
.LBB20_795:
	v_bfe_u32 v20, v14, 24, 3
	v_ffbh_u32_e32 v24, v20
	v_min_u32_e32 v24, 32, v24
	v_lshrrev_b32_e32 v22, 27, v14
	v_subrev_u32_e32 v25, 28, v24
	v_and_b32_e32 v21, 0x80000000, v14
	v_and_b32_e32 v22, 15, v22
	v_bfe_u32 v23, v14, 27, 4
	v_lshlrev_b32_sdwa v14, v25, v14 dst_sel:DWORD dst_unused:UNUSED_PAD src0_sel:DWORD src1_sel:BYTE_3
	v_sub_u32_e32 v24, 29, v24
	v_and_b32_e32 v14, 7, v14
	v_cmp_eq_u16_e32 vcc, 0, v22
	v_cndmask_b32_e32 v14, v20, v14, vcc
	v_cndmask_b32_e32 v20, v23, v24, vcc
	v_mov_b32_e32 v22, 0x3b800000
	v_lshlrev_b32_e32 v14, 20, v14
	v_lshl_add_u32 v20, v20, 23, v22
	v_or3_b32 v20, v21, v20, v14
.LBB20_796:
	s_or_b64 exec, exec, s[6:7]
	s_movk_i32 s4, 0x7f
	v_cmp_gt_i16_sdwa s[6:7], v10, s4 src0_sel:BYTE_3 src1_sel:DWORD
	s_mov_b64 s[4:5], 0
                                        ; implicit-def: $sgpr10
	s_and_saveexec_b64 s[8:9], s[6:7]
	s_xor_b64 s[6:7], exec, s[8:9]
	s_cbranch_execnz .LBB20_2845
; %bb.797:
	s_or_saveexec_b64 s[6:7], s[6:7]
	v_mov_b32_e32 v14, s10
	s_xor_b64 exec, exec, s[6:7]
	s_cbranch_execnz .LBB20_2848
.LBB20_798:
	s_or_b64 exec, exec, s[6:7]
	s_and_saveexec_b64 s[6:7], s[4:5]
	s_cbranch_execz .LBB20_800
.LBB20_799:
	v_bfe_u32 v14, v10, 24, 3
	v_ffbh_u32_e32 v24, v14
	v_min_u32_e32 v24, 32, v24
	v_lshrrev_b32_e32 v22, 27, v10
	v_subrev_u32_e32 v25, 28, v24
	v_and_b32_e32 v21, 0x80000000, v10
	v_and_b32_e32 v22, 15, v22
	v_bfe_u32 v23, v10, 27, 4
	v_lshlrev_b32_sdwa v10, v25, v10 dst_sel:DWORD dst_unused:UNUSED_PAD src0_sel:DWORD src1_sel:BYTE_3
	v_sub_u32_e32 v24, 29, v24
	v_and_b32_e32 v10, 7, v10
	v_cmp_eq_u16_e32 vcc, 0, v22
	v_cndmask_b32_e32 v10, v14, v10, vcc
	v_cndmask_b32_e32 v14, v23, v24, vcc
	v_mov_b32_e32 v22, 0x3b800000
	v_lshlrev_b32_e32 v10, 20, v10
	v_lshl_add_u32 v14, v14, 23, v22
	v_or3_b32 v14, v21, v14, v10
.LBB20_800:
	s_or_b64 exec, exec, s[6:7]
	s_nop 0
	v_mfma_f32_16x16x4f32 a[0:3], v20, v14, a[0:3]
	s_movk_i32 s4, 0x7f
	v_cmp_gt_i16_sdwa s[6:7], v15, s4 src0_sel:BYTE_0 src1_sel:DWORD
	s_mov_b64 s[4:5], 0
                                        ; implicit-def: $sgpr10
	s_and_saveexec_b64 s[8:9], s[6:7]
	s_xor_b64 s[6:7], exec, s[8:9]
	s_cbranch_execnz .LBB20_2849
; %bb.801:
	s_or_saveexec_b64 s[6:7], s[6:7]
	v_mov_b32_e32 v10, s10
	s_xor_b64 exec, exec, s[6:7]
	s_cbranch_execnz .LBB20_2852
.LBB20_802:
	s_or_b64 exec, exec, s[6:7]
	s_and_saveexec_b64 s[6:7], s[4:5]
	s_cbranch_execz .LBB20_804
.LBB20_803:
	v_and_b32_e32 v10, 7, v15
	v_ffbh_u32_e32 v20, v10
	v_min_u32_e32 v20, 32, v20
	v_lshrrev_b16_e32 v14, 3, v15
	v_subrev_u32_e32 v21, 28, v20
	v_and_b32_e32 v14, 15, v14
	v_lshlrev_b32_e32 v21, v21, v15
	v_sub_u32_e32 v20, 29, v20
	v_and_b32_e32 v21, 7, v21
	v_cmp_eq_u16_e32 vcc, 0, v14
	v_cndmask_b32_e32 v10, v10, v21, vcc
	v_cndmask_b32_e32 v14, v14, v20, vcc
	v_lshlrev_b32_e32 v20, 24, v15
	v_mov_b32_e32 v21, 0x3b800000
	v_lshlrev_b32_e32 v10, 20, v10
	v_and_b32_e32 v20, 0x80000000, v20
	v_lshl_add_u32 v14, v14, 23, v21
	v_or3_b32 v10, v20, v14, v10
.LBB20_804:
	s_or_b64 exec, exec, s[6:7]
	s_movk_i32 s4, 0x7f
	v_cmp_gt_i16_sdwa s[6:7], v11, s4 src0_sel:BYTE_0 src1_sel:DWORD
	s_mov_b64 s[4:5], 0
                                        ; implicit-def: $sgpr10
	s_and_saveexec_b64 s[8:9], s[6:7]
	s_xor_b64 s[6:7], exec, s[8:9]
	s_cbranch_execnz .LBB20_2853
; %bb.805:
	s_or_saveexec_b64 s[6:7], s[6:7]
	v_mov_b32_e32 v14, s10
	s_xor_b64 exec, exec, s[6:7]
	s_cbranch_execnz .LBB20_2856
.LBB20_806:
	s_or_b64 exec, exec, s[6:7]
	s_and_saveexec_b64 s[6:7], s[4:5]
	s_cbranch_execz .LBB20_808
.LBB20_807:
	v_and_b32_e32 v14, 7, v11
	v_ffbh_u32_e32 v21, v14
	v_min_u32_e32 v21, 32, v21
	v_lshrrev_b16_e32 v20, 3, v11
	v_subrev_u32_e32 v22, 28, v21
	v_and_b32_e32 v20, 15, v20
	v_lshlrev_b32_e32 v22, v22, v11
	v_sub_u32_e32 v21, 29, v21
	v_and_b32_e32 v22, 7, v22
	v_cmp_eq_u16_e32 vcc, 0, v20
	v_cndmask_b32_e32 v14, v14, v22, vcc
	v_cndmask_b32_e32 v20, v20, v21, vcc
	v_lshlrev_b32_e32 v21, 24, v11
	v_mov_b32_e32 v22, 0x3b800000
	v_lshlrev_b32_e32 v14, 20, v14
	v_and_b32_e32 v21, 0x80000000, v21
	v_lshl_add_u32 v20, v20, 23, v22
	v_or3_b32 v14, v21, v20, v14
.LBB20_808:
	s_or_b64 exec, exec, s[6:7]
	s_nop 0
	v_mfma_f32_16x16x4f32 a[0:3], v10, v14, a[0:3]
	v_lshrrev_b32_e32 v14, 8, v15
	s_movk_i32 s4, 0x7f
	v_cmp_gt_i16_sdwa s[6:7], v14, s4 src0_sel:BYTE_0 src1_sel:DWORD
	s_mov_b64 s[4:5], 0
                                        ; implicit-def: $sgpr10
	s_and_saveexec_b64 s[8:9], s[6:7]
	s_xor_b64 s[6:7], exec, s[8:9]
	s_cbranch_execnz .LBB20_2857
; %bb.809:
	s_or_saveexec_b64 s[6:7], s[6:7]
	v_mov_b32_e32 v10, s10
	s_xor_b64 exec, exec, s[6:7]
	s_cbranch_execnz .LBB20_2860
.LBB20_810:
	s_or_b64 exec, exec, s[6:7]
	s_and_saveexec_b64 s[6:7], s[4:5]
	s_cbranch_execz .LBB20_812
.LBB20_811:
	v_bfe_u32 v10, v15, 8, 3
	v_ffbh_u32_e32 v21, v10
	v_min_u32_e32 v21, 32, v21
	v_lshrrev_b16_e32 v20, 3, v14
	v_subrev_u32_e32 v22, 28, v21
	v_and_b32_e32 v20, 15, v20
	v_lshlrev_b32_e32 v14, v22, v14
	v_sub_u32_e32 v21, 29, v21
	v_and_b32_e32 v14, 7, v14
	v_cmp_eq_u16_e32 vcc, 0, v20
	v_cndmask_b32_e32 v10, v10, v14, vcc
	v_cndmask_b32_e32 v14, v20, v21, vcc
	v_lshlrev_b32_e32 v20, 16, v15
	v_mov_b32_e32 v21, 0x3b800000
	v_lshlrev_b32_e32 v10, 20, v10
	v_and_b32_e32 v20, 0x80000000, v20
	v_lshl_add_u32 v14, v14, 23, v21
	v_or3_b32 v10, v20, v14, v10
.LBB20_812:
	s_or_b64 exec, exec, s[6:7]
	v_lshrrev_b32_e32 v14, 8, v11
	s_movk_i32 s4, 0x7f
	v_cmp_gt_i16_sdwa s[6:7], v14, s4 src0_sel:BYTE_0 src1_sel:DWORD
	s_mov_b64 s[4:5], 0
                                        ; implicit-def: $sgpr10
	s_and_saveexec_b64 s[8:9], s[6:7]
	s_xor_b64 s[6:7], exec, s[8:9]
	s_cbranch_execnz .LBB20_2861
; %bb.813:
	s_or_saveexec_b64 s[6:7], s[6:7]
	v_mov_b32_e32 v20, s10
	s_xor_b64 exec, exec, s[6:7]
	s_cbranch_execnz .LBB20_2864
.LBB20_814:
	s_or_b64 exec, exec, s[6:7]
	s_and_saveexec_b64 s[6:7], s[4:5]
	s_cbranch_execz .LBB20_816
.LBB20_815:
	v_bfe_u32 v20, v11, 8, 3
	v_ffbh_u32_e32 v22, v20
	v_min_u32_e32 v22, 32, v22
	v_lshrrev_b16_e32 v21, 3, v14
	v_subrev_u32_e32 v23, 28, v22
	v_and_b32_e32 v21, 15, v21
	v_lshlrev_b32_e32 v14, v23, v14
	v_sub_u32_e32 v22, 29, v22
	v_and_b32_e32 v14, 7, v14
	v_cmp_eq_u16_e32 vcc, 0, v21
	v_cndmask_b32_e32 v14, v20, v14, vcc
	v_cndmask_b32_e32 v20, v21, v22, vcc
	v_lshlrev_b32_e32 v21, 16, v11
	v_mov_b32_e32 v22, 0x3b800000
	v_lshlrev_b32_e32 v14, 20, v14
	v_and_b32_e32 v21, 0x80000000, v21
	v_lshl_add_u32 v20, v20, 23, v22
	v_or3_b32 v20, v21, v20, v14
.LBB20_816:
	s_or_b64 exec, exec, s[6:7]
	s_nop 0
	v_mfma_f32_16x16x4f32 a[0:3], v10, v20, a[0:3]
	s_movk_i32 s4, 0xff
	v_and_b32_sdwa v14, v15, s4 dst_sel:DWORD dst_unused:UNUSED_PAD src0_sel:WORD_1 src1_sel:DWORD
	s_movk_i32 s4, 0x7f
	v_cmp_lt_i16_e32 vcc, s4, v14
	s_mov_b64 s[4:5], 0
                                        ; implicit-def: $sgpr10
	s_and_saveexec_b64 s[6:7], vcc
	s_xor_b64 s[6:7], exec, s[6:7]
	s_cbranch_execnz .LBB20_2865
; %bb.817:
	s_or_saveexec_b64 s[6:7], s[6:7]
	v_mov_b32_e32 v10, s10
	s_xor_b64 exec, exec, s[6:7]
	s_cbranch_execnz .LBB20_2868
.LBB20_818:
	s_or_b64 exec, exec, s[6:7]
	s_and_saveexec_b64 s[6:7], s[4:5]
	s_cbranch_execz .LBB20_820
.LBB20_819:
	v_bfe_u32 v10, v15, 16, 3
	v_ffbh_u32_e32 v21, v10
	v_min_u32_e32 v21, 32, v21
	v_lshrrev_b32_e32 v14, 19, v15
	v_subrev_u32_e32 v22, 28, v21
	v_and_b32_e32 v14, 15, v14
	v_lshlrev_b32_sdwa v22, v22, v15 dst_sel:DWORD dst_unused:UNUSED_PAD src0_sel:DWORD src1_sel:WORD_1
	v_bfe_u32 v20, v15, 19, 4
	v_sub_u32_e32 v21, 29, v21
	v_and_b32_e32 v22, 7, v22
	v_cmp_eq_u16_e32 vcc, 0, v14
	v_cndmask_b32_e32 v10, v10, v22, vcc
	v_cndmask_b32_e32 v14, v20, v21, vcc
	v_lshlrev_b32_e32 v20, 8, v15
	v_mov_b32_e32 v21, 0x3b800000
	v_lshlrev_b32_e32 v10, 20, v10
	v_and_b32_e32 v20, 0x80000000, v20
	v_lshl_add_u32 v14, v14, 23, v21
	v_or3_b32 v10, v20, v14, v10
.LBB20_820:
	s_or_b64 exec, exec, s[6:7]
	s_movk_i32 s4, 0xff
	v_and_b32_sdwa v14, v11, s4 dst_sel:DWORD dst_unused:UNUSED_PAD src0_sel:WORD_1 src1_sel:DWORD
	s_movk_i32 s4, 0x7f
	v_cmp_lt_i16_e32 vcc, s4, v14
	s_mov_b64 s[4:5], 0
                                        ; implicit-def: $sgpr10
	s_and_saveexec_b64 s[6:7], vcc
	s_xor_b64 s[6:7], exec, s[6:7]
	s_cbranch_execnz .LBB20_2869
; %bb.821:
	s_or_saveexec_b64 s[6:7], s[6:7]
	v_mov_b32_e32 v20, s10
	s_xor_b64 exec, exec, s[6:7]
	s_cbranch_execnz .LBB20_2872
.LBB20_822:
	s_or_b64 exec, exec, s[6:7]
	s_and_saveexec_b64 s[6:7], s[4:5]
	s_cbranch_execz .LBB20_824
.LBB20_823:
	v_bfe_u32 v14, v11, 16, 3
	v_ffbh_u32_e32 v22, v14
	v_min_u32_e32 v22, 32, v22
	v_lshrrev_b32_e32 v20, 19, v11
	v_subrev_u32_e32 v23, 28, v22
	v_and_b32_e32 v20, 15, v20
	v_lshlrev_b32_sdwa v23, v23, v11 dst_sel:DWORD dst_unused:UNUSED_PAD src0_sel:DWORD src1_sel:WORD_1
	v_bfe_u32 v21, v11, 19, 4
	v_sub_u32_e32 v22, 29, v22
	v_and_b32_e32 v23, 7, v23
	v_cmp_eq_u16_e32 vcc, 0, v20
	v_cndmask_b32_e32 v14, v14, v23, vcc
	v_cndmask_b32_e32 v20, v21, v22, vcc
	v_lshlrev_b32_e32 v21, 8, v11
	v_mov_b32_e32 v22, 0x3b800000
	v_lshlrev_b32_e32 v14, 20, v14
	v_and_b32_e32 v21, 0x80000000, v21
	v_lshl_add_u32 v20, v20, 23, v22
	v_or3_b32 v20, v21, v20, v14
.LBB20_824:
	s_or_b64 exec, exec, s[6:7]
	s_nop 0
	v_mfma_f32_16x16x4f32 a[0:3], v10, v20, a[0:3]
	s_movk_i32 s4, 0x7f
	v_cmp_gt_i16_sdwa s[6:7], v15, s4 src0_sel:BYTE_3 src1_sel:DWORD
	s_mov_b64 s[4:5], 0
                                        ; implicit-def: $sgpr10
	s_and_saveexec_b64 s[8:9], s[6:7]
	s_xor_b64 s[6:7], exec, s[8:9]
	s_cbranch_execnz .LBB20_2873
; %bb.825:
	s_or_saveexec_b64 s[6:7], s[6:7]
	v_mov_b32_e32 v10, s10
	s_xor_b64 exec, exec, s[6:7]
	s_cbranch_execnz .LBB20_2876
.LBB20_826:
	s_or_b64 exec, exec, s[6:7]
	s_and_saveexec_b64 s[6:7], s[4:5]
	s_cbranch_execz .LBB20_828
.LBB20_827:
	v_bfe_u32 v10, v15, 24, 3
	v_ffbh_u32_e32 v22, v10
	v_min_u32_e32 v22, 32, v22
	v_lshrrev_b32_e32 v20, 27, v15
	v_subrev_u32_e32 v23, 28, v22
	v_and_b32_e32 v14, 0x80000000, v15
	v_and_b32_e32 v20, 15, v20
	v_bfe_u32 v21, v15, 27, 4
	v_lshlrev_b32_sdwa v15, v23, v15 dst_sel:DWORD dst_unused:UNUSED_PAD src0_sel:DWORD src1_sel:BYTE_3
	v_sub_u32_e32 v22, 29, v22
	v_and_b32_e32 v15, 7, v15
	v_cmp_eq_u16_e32 vcc, 0, v20
	v_cndmask_b32_e32 v10, v10, v15, vcc
	v_cndmask_b32_e32 v15, v21, v22, vcc
	v_mov_b32_e32 v20, 0x3b800000
	v_lshlrev_b32_e32 v10, 20, v10
	v_lshl_add_u32 v15, v15, 23, v20
	v_or3_b32 v10, v14, v15, v10
.LBB20_828:
	s_or_b64 exec, exec, s[6:7]
	s_movk_i32 s4, 0x7f
	v_cmp_gt_i16_sdwa s[6:7], v11, s4 src0_sel:BYTE_3 src1_sel:DWORD
	s_mov_b64 s[4:5], 0
                                        ; implicit-def: $sgpr10
	s_and_saveexec_b64 s[8:9], s[6:7]
	s_xor_b64 s[6:7], exec, s[8:9]
	s_cbranch_execnz .LBB20_2877
; %bb.829:
	s_or_saveexec_b64 s[6:7], s[6:7]
	v_mov_b32_e32 v14, s10
	s_xor_b64 exec, exec, s[6:7]
	s_cbranch_execnz .LBB20_2880
.LBB20_830:
	s_or_b64 exec, exec, s[6:7]
	s_and_saveexec_b64 s[6:7], s[4:5]
	s_cbranch_execz .LBB20_832
.LBB20_831:
	v_bfe_u32 v14, v11, 24, 3
	v_ffbh_u32_e32 v22, v14
	v_min_u32_e32 v22, 32, v22
	v_lshrrev_b32_e32 v20, 27, v11
	v_subrev_u32_e32 v23, 28, v22
	v_and_b32_e32 v15, 0x80000000, v11
	v_and_b32_e32 v20, 15, v20
	v_bfe_u32 v21, v11, 27, 4
	v_lshlrev_b32_sdwa v11, v23, v11 dst_sel:DWORD dst_unused:UNUSED_PAD src0_sel:DWORD src1_sel:BYTE_3
	v_sub_u32_e32 v22, 29, v22
	v_and_b32_e32 v11, 7, v11
	v_cmp_eq_u16_e32 vcc, 0, v20
	v_cndmask_b32_e32 v11, v14, v11, vcc
	v_cndmask_b32_e32 v14, v21, v22, vcc
	v_mov_b32_e32 v20, 0x3b800000
	v_lshlrev_b32_e32 v11, 20, v11
	v_lshl_add_u32 v14, v14, 23, v20
	v_or3_b32 v14, v15, v14, v11
.LBB20_832:
	s_or_b64 exec, exec, s[6:7]
	s_nop 0
	v_mfma_f32_16x16x4f32 a[0:3], v10, v14, a[0:3]
	s_movk_i32 s4, 0x7f
	v_cmp_gt_i16_sdwa s[6:7], v16, s4 src0_sel:BYTE_0 src1_sel:DWORD
	s_mov_b64 s[4:5], 0
                                        ; implicit-def: $sgpr10
	s_and_saveexec_b64 s[8:9], s[6:7]
	s_xor_b64 s[6:7], exec, s[8:9]
	s_cbranch_execnz .LBB20_2881
; %bb.833:
	s_or_saveexec_b64 s[6:7], s[6:7]
	v_mov_b32_e32 v10, s10
	s_xor_b64 exec, exec, s[6:7]
	s_cbranch_execnz .LBB20_2884
.LBB20_834:
	s_or_b64 exec, exec, s[6:7]
	s_and_saveexec_b64 s[6:7], s[4:5]
	s_cbranch_execz .LBB20_836
.LBB20_835:
	v_and_b32_e32 v10, 7, v16
	v_ffbh_u32_e32 v14, v10
	v_min_u32_e32 v14, 32, v14
	v_lshrrev_b16_e32 v11, 3, v16
	v_subrev_u32_e32 v15, 28, v14
	v_and_b32_e32 v11, 15, v11
	v_lshlrev_b32_e32 v15, v15, v16
	v_sub_u32_e32 v14, 29, v14
	v_and_b32_e32 v15, 7, v15
	v_cmp_eq_u16_e32 vcc, 0, v11
	v_cndmask_b32_e32 v10, v10, v15, vcc
	v_cndmask_b32_e32 v11, v11, v14, vcc
	v_lshlrev_b32_e32 v14, 24, v16
	v_mov_b32_e32 v15, 0x3b800000
	v_lshlrev_b32_e32 v10, 20, v10
	v_and_b32_e32 v14, 0x80000000, v14
	v_lshl_add_u32 v11, v11, 23, v15
	v_or3_b32 v10, v14, v11, v10
.LBB20_836:
	s_or_b64 exec, exec, s[6:7]
	s_movk_i32 s4, 0x7f
	v_cmp_gt_i16_sdwa s[6:7], v12, s4 src0_sel:BYTE_0 src1_sel:DWORD
	s_mov_b64 s[4:5], 0
                                        ; implicit-def: $sgpr10
	s_and_saveexec_b64 s[8:9], s[6:7]
	s_xor_b64 s[6:7], exec, s[8:9]
	s_cbranch_execnz .LBB20_2885
; %bb.837:
	s_or_saveexec_b64 s[6:7], s[6:7]
	v_mov_b32_e32 v11, s10
	s_xor_b64 exec, exec, s[6:7]
	s_cbranch_execnz .LBB20_2888
.LBB20_838:
	s_or_b64 exec, exec, s[6:7]
	s_and_saveexec_b64 s[6:7], s[4:5]
	s_cbranch_execz .LBB20_840
.LBB20_839:
	v_and_b32_e32 v11, 7, v12
	v_ffbh_u32_e32 v15, v11
	v_min_u32_e32 v15, 32, v15
	v_lshrrev_b16_e32 v14, 3, v12
	v_subrev_u32_e32 v20, 28, v15
	v_and_b32_e32 v14, 15, v14
	v_lshlrev_b32_e32 v20, v20, v12
	v_sub_u32_e32 v15, 29, v15
	v_and_b32_e32 v20, 7, v20
	v_cmp_eq_u16_e32 vcc, 0, v14
	v_cndmask_b32_e32 v11, v11, v20, vcc
	v_cndmask_b32_e32 v14, v14, v15, vcc
	v_lshlrev_b32_e32 v15, 24, v12
	v_mov_b32_e32 v20, 0x3b800000
	v_lshlrev_b32_e32 v11, 20, v11
	v_and_b32_e32 v15, 0x80000000, v15
	v_lshl_add_u32 v14, v14, 23, v20
	v_or3_b32 v11, v15, v14, v11
.LBB20_840:
	s_or_b64 exec, exec, s[6:7]
	s_nop 0
	v_mfma_f32_16x16x4f32 a[0:3], v10, v11, a[0:3]
	v_lshrrev_b32_e32 v11, 8, v16
	s_movk_i32 s4, 0x7f
	v_cmp_gt_i16_sdwa s[6:7], v11, s4 src0_sel:BYTE_0 src1_sel:DWORD
	s_mov_b64 s[4:5], 0
                                        ; implicit-def: $sgpr10
	s_and_saveexec_b64 s[8:9], s[6:7]
	s_xor_b64 s[6:7], exec, s[8:9]
	s_cbranch_execnz .LBB20_2889
; %bb.841:
	s_or_saveexec_b64 s[6:7], s[6:7]
	v_mov_b32_e32 v10, s10
	s_xor_b64 exec, exec, s[6:7]
	s_cbranch_execnz .LBB20_2892
.LBB20_842:
	s_or_b64 exec, exec, s[6:7]
	s_and_saveexec_b64 s[6:7], s[4:5]
	s_cbranch_execz .LBB20_844
.LBB20_843:
	v_bfe_u32 v10, v16, 8, 3
	v_ffbh_u32_e32 v15, v10
	v_min_u32_e32 v15, 32, v15
	v_lshrrev_b16_e32 v14, 3, v11
	v_subrev_u32_e32 v20, 28, v15
	v_and_b32_e32 v14, 15, v14
	v_lshlrev_b32_e32 v11, v20, v11
	v_sub_u32_e32 v15, 29, v15
	v_and_b32_e32 v11, 7, v11
	v_cmp_eq_u16_e32 vcc, 0, v14
	v_cndmask_b32_e32 v10, v10, v11, vcc
	v_cndmask_b32_e32 v11, v14, v15, vcc
	v_lshlrev_b32_e32 v14, 16, v16
	v_mov_b32_e32 v15, 0x3b800000
	v_lshlrev_b32_e32 v10, 20, v10
	v_and_b32_e32 v14, 0x80000000, v14
	v_lshl_add_u32 v11, v11, 23, v15
	v_or3_b32 v10, v14, v11, v10
.LBB20_844:
	s_or_b64 exec, exec, s[6:7]
	v_lshrrev_b32_e32 v11, 8, v12
	s_movk_i32 s4, 0x7f
	v_cmp_gt_i16_sdwa s[6:7], v11, s4 src0_sel:BYTE_0 src1_sel:DWORD
	s_mov_b64 s[4:5], 0
                                        ; implicit-def: $sgpr10
	s_and_saveexec_b64 s[8:9], s[6:7]
	s_xor_b64 s[6:7], exec, s[8:9]
	s_cbranch_execnz .LBB20_2893
; %bb.845:
	s_or_saveexec_b64 s[6:7], s[6:7]
	v_mov_b32_e32 v14, s10
	s_xor_b64 exec, exec, s[6:7]
	s_cbranch_execnz .LBB20_2896
.LBB20_846:
	s_or_b64 exec, exec, s[6:7]
	s_and_saveexec_b64 s[6:7], s[4:5]
	s_cbranch_execz .LBB20_848
.LBB20_847:
	v_bfe_u32 v14, v12, 8, 3
	v_ffbh_u32_e32 v20, v14
	v_min_u32_e32 v20, 32, v20
	v_lshrrev_b16_e32 v15, 3, v11
	v_subrev_u32_e32 v21, 28, v20
	v_and_b32_e32 v15, 15, v15
	v_lshlrev_b32_e32 v11, v21, v11
	v_sub_u32_e32 v20, 29, v20
	v_and_b32_e32 v11, 7, v11
	v_cmp_eq_u16_e32 vcc, 0, v15
	v_cndmask_b32_e32 v11, v14, v11, vcc
	v_cndmask_b32_e32 v14, v15, v20, vcc
	v_lshlrev_b32_e32 v15, 16, v12
	v_mov_b32_e32 v20, 0x3b800000
	v_lshlrev_b32_e32 v11, 20, v11
	v_and_b32_e32 v15, 0x80000000, v15
	v_lshl_add_u32 v14, v14, 23, v20
	v_or3_b32 v14, v15, v14, v11
.LBB20_848:
	s_or_b64 exec, exec, s[6:7]
	s_nop 0
	v_mfma_f32_16x16x4f32 a[0:3], v10, v14, a[0:3]
	s_movk_i32 s4, 0xff
	v_and_b32_sdwa v11, v16, s4 dst_sel:DWORD dst_unused:UNUSED_PAD src0_sel:WORD_1 src1_sel:DWORD
	s_movk_i32 s4, 0x7f
	v_cmp_lt_i16_e32 vcc, s4, v11
	s_mov_b64 s[4:5], 0
                                        ; implicit-def: $sgpr10
	s_and_saveexec_b64 s[6:7], vcc
	s_xor_b64 s[6:7], exec, s[6:7]
	s_cbranch_execnz .LBB20_2897
; %bb.849:
	s_or_saveexec_b64 s[6:7], s[6:7]
	v_mov_b32_e32 v10, s10
	s_xor_b64 exec, exec, s[6:7]
	s_cbranch_execnz .LBB20_2900
.LBB20_850:
	s_or_b64 exec, exec, s[6:7]
	s_and_saveexec_b64 s[6:7], s[4:5]
	s_cbranch_execz .LBB20_852
.LBB20_851:
	v_bfe_u32 v10, v16, 16, 3
	v_ffbh_u32_e32 v15, v10
	v_min_u32_e32 v15, 32, v15
	v_lshrrev_b32_e32 v11, 19, v16
	v_subrev_u32_e32 v20, 28, v15
	v_and_b32_e32 v11, 15, v11
	v_lshlrev_b32_sdwa v20, v20, v16 dst_sel:DWORD dst_unused:UNUSED_PAD src0_sel:DWORD src1_sel:WORD_1
	v_bfe_u32 v14, v16, 19, 4
	v_sub_u32_e32 v15, 29, v15
	v_and_b32_e32 v20, 7, v20
	v_cmp_eq_u16_e32 vcc, 0, v11
	v_cndmask_b32_e32 v10, v10, v20, vcc
	v_cndmask_b32_e32 v11, v14, v15, vcc
	v_lshlrev_b32_e32 v14, 8, v16
	v_mov_b32_e32 v15, 0x3b800000
	v_lshlrev_b32_e32 v10, 20, v10
	v_and_b32_e32 v14, 0x80000000, v14
	v_lshl_add_u32 v11, v11, 23, v15
	v_or3_b32 v10, v14, v11, v10
.LBB20_852:
	s_or_b64 exec, exec, s[6:7]
	s_movk_i32 s4, 0xff
	v_and_b32_sdwa v11, v12, s4 dst_sel:DWORD dst_unused:UNUSED_PAD src0_sel:WORD_1 src1_sel:DWORD
	s_movk_i32 s4, 0x7f
	v_cmp_lt_i16_e32 vcc, s4, v11
	s_mov_b64 s[4:5], 0
                                        ; implicit-def: $sgpr10
	s_and_saveexec_b64 s[6:7], vcc
	s_xor_b64 s[6:7], exec, s[6:7]
	s_cbranch_execnz .LBB20_2901
; %bb.853:
	s_or_saveexec_b64 s[6:7], s[6:7]
	v_mov_b32_e32 v14, s10
	s_xor_b64 exec, exec, s[6:7]
	s_cbranch_execnz .LBB20_2904
.LBB20_854:
	s_or_b64 exec, exec, s[6:7]
	s_and_saveexec_b64 s[6:7], s[4:5]
	s_cbranch_execz .LBB20_856
.LBB20_855:
	v_bfe_u32 v11, v12, 16, 3
	v_ffbh_u32_e32 v20, v11
	v_min_u32_e32 v20, 32, v20
	v_lshrrev_b32_e32 v14, 19, v12
	v_subrev_u32_e32 v21, 28, v20
	v_and_b32_e32 v14, 15, v14
	v_lshlrev_b32_sdwa v21, v21, v12 dst_sel:DWORD dst_unused:UNUSED_PAD src0_sel:DWORD src1_sel:WORD_1
	v_bfe_u32 v15, v12, 19, 4
	v_sub_u32_e32 v20, 29, v20
	v_and_b32_e32 v21, 7, v21
	v_cmp_eq_u16_e32 vcc, 0, v14
	v_cndmask_b32_e32 v11, v11, v21, vcc
	v_cndmask_b32_e32 v14, v15, v20, vcc
	v_lshlrev_b32_e32 v15, 8, v12
	v_mov_b32_e32 v20, 0x3b800000
	v_lshlrev_b32_e32 v11, 20, v11
	v_and_b32_e32 v15, 0x80000000, v15
	v_lshl_add_u32 v14, v14, 23, v20
	v_or3_b32 v14, v15, v14, v11
.LBB20_856:
	s_or_b64 exec, exec, s[6:7]
	s_nop 0
	v_mfma_f32_16x16x4f32 a[0:3], v10, v14, a[0:3]
	s_movk_i32 s4, 0x7f
	v_cmp_gt_i16_sdwa s[6:7], v16, s4 src0_sel:BYTE_3 src1_sel:DWORD
	s_mov_b64 s[4:5], 0
                                        ; implicit-def: $sgpr10
	s_and_saveexec_b64 s[8:9], s[6:7]
	s_xor_b64 s[6:7], exec, s[8:9]
	s_cbranch_execnz .LBB20_2905
; %bb.857:
	s_or_saveexec_b64 s[6:7], s[6:7]
	v_mov_b32_e32 v10, s10
	s_xor_b64 exec, exec, s[6:7]
	s_cbranch_execnz .LBB20_2908
.LBB20_858:
	s_or_b64 exec, exec, s[6:7]
	s_and_saveexec_b64 s[6:7], s[4:5]
	s_cbranch_execz .LBB20_860
.LBB20_859:
	v_bfe_u32 v10, v16, 24, 3
	v_ffbh_u32_e32 v20, v10
	v_min_u32_e32 v20, 32, v20
	v_lshrrev_b32_e32 v14, 27, v16
	v_subrev_u32_e32 v21, 28, v20
	v_and_b32_e32 v11, 0x80000000, v16
	v_and_b32_e32 v14, 15, v14
	v_bfe_u32 v15, v16, 27, 4
	v_lshlrev_b32_sdwa v16, v21, v16 dst_sel:DWORD dst_unused:UNUSED_PAD src0_sel:DWORD src1_sel:BYTE_3
	v_sub_u32_e32 v20, 29, v20
	v_and_b32_e32 v16, 7, v16
	v_cmp_eq_u16_e32 vcc, 0, v14
	v_cndmask_b32_e32 v10, v10, v16, vcc
	v_cndmask_b32_e32 v14, v15, v20, vcc
	v_mov_b32_e32 v15, 0x3b800000
	v_lshlrev_b32_e32 v10, 20, v10
	v_lshl_add_u32 v14, v14, 23, v15
	v_or3_b32 v10, v11, v14, v10
.LBB20_860:
	s_or_b64 exec, exec, s[6:7]
	s_movk_i32 s4, 0x7f
	v_cmp_gt_i16_sdwa s[6:7], v12, s4 src0_sel:BYTE_3 src1_sel:DWORD
	s_mov_b64 s[4:5], 0
                                        ; implicit-def: $sgpr10
	s_and_saveexec_b64 s[8:9], s[6:7]
	s_xor_b64 s[6:7], exec, s[8:9]
	s_cbranch_execnz .LBB20_2909
; %bb.861:
	s_or_saveexec_b64 s[6:7], s[6:7]
	v_mov_b32_e32 v11, s10
	s_xor_b64 exec, exec, s[6:7]
	s_cbranch_execnz .LBB20_2912
.LBB20_862:
	s_or_b64 exec, exec, s[6:7]
	s_and_saveexec_b64 s[6:7], s[4:5]
	s_cbranch_execz .LBB20_864
.LBB20_863:
	v_bfe_u32 v11, v12, 24, 3
	v_ffbh_u32_e32 v20, v11
	v_min_u32_e32 v20, 32, v20
	v_lshrrev_b32_e32 v15, 27, v12
	v_subrev_u32_e32 v21, 28, v20
	v_and_b32_e32 v14, 0x80000000, v12
	v_and_b32_e32 v15, 15, v15
	v_bfe_u32 v16, v12, 27, 4
	v_lshlrev_b32_sdwa v12, v21, v12 dst_sel:DWORD dst_unused:UNUSED_PAD src0_sel:DWORD src1_sel:BYTE_3
	v_sub_u32_e32 v20, 29, v20
	v_and_b32_e32 v12, 7, v12
	v_cmp_eq_u16_e32 vcc, 0, v15
	v_cndmask_b32_e32 v11, v11, v12, vcc
	v_cndmask_b32_e32 v12, v16, v20, vcc
	v_mov_b32_e32 v15, 0x3b800000
	v_lshlrev_b32_e32 v11, 20, v11
	v_lshl_add_u32 v12, v12, 23, v15
	v_or3_b32 v11, v14, v12, v11
.LBB20_864:
	s_or_b64 exec, exec, s[6:7]
	s_nop 0
	v_mfma_f32_16x16x4f32 a[0:3], v10, v11, a[0:3]
	s_movk_i32 s4, 0x7f
	v_cmp_gt_i16_sdwa s[6:7], v17, s4 src0_sel:BYTE_0 src1_sel:DWORD
	s_mov_b64 s[4:5], 0
                                        ; implicit-def: $sgpr10
	s_and_saveexec_b64 s[8:9], s[6:7]
	s_xor_b64 s[6:7], exec, s[8:9]
	s_cbranch_execnz .LBB20_2913
; %bb.865:
	s_or_saveexec_b64 s[6:7], s[6:7]
	v_mov_b32_e32 v10, s10
	s_xor_b64 exec, exec, s[6:7]
	s_cbranch_execnz .LBB20_2916
.LBB20_866:
	s_or_b64 exec, exec, s[6:7]
	s_and_saveexec_b64 s[6:7], s[4:5]
	s_cbranch_execz .LBB20_868
.LBB20_867:
	v_and_b32_e32 v10, 7, v17
	v_ffbh_u32_e32 v12, v10
	v_min_u32_e32 v12, 32, v12
	v_lshrrev_b16_e32 v11, 3, v17
	v_subrev_u32_e32 v14, 28, v12
	v_and_b32_e32 v11, 15, v11
	v_lshlrev_b32_e32 v14, v14, v17
	v_sub_u32_e32 v12, 29, v12
	v_and_b32_e32 v14, 7, v14
	v_cmp_eq_u16_e32 vcc, 0, v11
	v_cndmask_b32_e32 v10, v10, v14, vcc
	v_cndmask_b32_e32 v11, v11, v12, vcc
	v_lshlrev_b32_e32 v12, 24, v17
	v_mov_b32_e32 v14, 0x3b800000
	v_lshlrev_b32_e32 v10, 20, v10
	v_and_b32_e32 v12, 0x80000000, v12
	v_lshl_add_u32 v11, v11, 23, v14
	v_or3_b32 v10, v12, v11, v10
.LBB20_868:
	s_or_b64 exec, exec, s[6:7]
	s_movk_i32 s4, 0x7f
	v_cmp_gt_i16_sdwa s[6:7], v13, s4 src0_sel:BYTE_0 src1_sel:DWORD
	s_mov_b64 s[4:5], 0
                                        ; implicit-def: $sgpr10
	s_and_saveexec_b64 s[8:9], s[6:7]
	s_xor_b64 s[6:7], exec, s[8:9]
	s_cbranch_execnz .LBB20_2917
; %bb.869:
	s_or_saveexec_b64 s[6:7], s[6:7]
	v_mov_b32_e32 v11, s10
	s_xor_b64 exec, exec, s[6:7]
	s_cbranch_execnz .LBB20_2920
.LBB20_870:
	s_or_b64 exec, exec, s[6:7]
	s_and_saveexec_b64 s[6:7], s[4:5]
	s_cbranch_execz .LBB20_872
.LBB20_871:
	v_and_b32_e32 v11, 7, v13
	v_ffbh_u32_e32 v14, v11
	v_min_u32_e32 v14, 32, v14
	v_lshrrev_b16_e32 v12, 3, v13
	v_subrev_u32_e32 v15, 28, v14
	v_and_b32_e32 v12, 15, v12
	v_lshlrev_b32_e32 v15, v15, v13
	v_sub_u32_e32 v14, 29, v14
	v_and_b32_e32 v15, 7, v15
	v_cmp_eq_u16_e32 vcc, 0, v12
	v_cndmask_b32_e32 v11, v11, v15, vcc
	v_cndmask_b32_e32 v12, v12, v14, vcc
	v_lshlrev_b32_e32 v14, 24, v13
	v_mov_b32_e32 v15, 0x3b800000
	v_lshlrev_b32_e32 v11, 20, v11
	v_and_b32_e32 v14, 0x80000000, v14
	v_lshl_add_u32 v12, v12, 23, v15
	v_or3_b32 v11, v14, v12, v11
.LBB20_872:
	s_or_b64 exec, exec, s[6:7]
	s_nop 0
	v_mfma_f32_16x16x4f32 a[0:3], v10, v11, a[0:3]
	v_lshrrev_b32_e32 v11, 8, v17
	s_movk_i32 s4, 0x7f
	v_cmp_gt_i16_sdwa s[6:7], v11, s4 src0_sel:BYTE_0 src1_sel:DWORD
	s_mov_b64 s[4:5], 0
                                        ; implicit-def: $sgpr10
	s_and_saveexec_b64 s[8:9], s[6:7]
	s_xor_b64 s[6:7], exec, s[8:9]
	s_cbranch_execnz .LBB20_2921
; %bb.873:
	s_or_saveexec_b64 s[6:7], s[6:7]
	v_mov_b32_e32 v10, s10
	s_xor_b64 exec, exec, s[6:7]
	s_cbranch_execnz .LBB20_2924
.LBB20_874:
	s_or_b64 exec, exec, s[6:7]
	s_and_saveexec_b64 s[6:7], s[4:5]
	s_cbranch_execz .LBB20_876
.LBB20_875:
	v_bfe_u32 v10, v17, 8, 3
	v_ffbh_u32_e32 v14, v10
	v_min_u32_e32 v14, 32, v14
	v_lshrrev_b16_e32 v12, 3, v11
	v_subrev_u32_e32 v15, 28, v14
	v_and_b32_e32 v12, 15, v12
	v_lshlrev_b32_e32 v11, v15, v11
	v_sub_u32_e32 v14, 29, v14
	v_and_b32_e32 v11, 7, v11
	v_cmp_eq_u16_e32 vcc, 0, v12
	v_cndmask_b32_e32 v10, v10, v11, vcc
	v_cndmask_b32_e32 v11, v12, v14, vcc
	v_lshlrev_b32_e32 v12, 16, v17
	v_mov_b32_e32 v14, 0x3b800000
	v_lshlrev_b32_e32 v10, 20, v10
	v_and_b32_e32 v12, 0x80000000, v12
	v_lshl_add_u32 v11, v11, 23, v14
	v_or3_b32 v10, v12, v11, v10
.LBB20_876:
	s_or_b64 exec, exec, s[6:7]
	v_lshrrev_b32_e32 v11, 8, v13
	s_movk_i32 s4, 0x7f
	v_cmp_gt_i16_sdwa s[6:7], v11, s4 src0_sel:BYTE_0 src1_sel:DWORD
	s_mov_b64 s[4:5], 0
                                        ; implicit-def: $sgpr10
	s_and_saveexec_b64 s[8:9], s[6:7]
	s_xor_b64 s[6:7], exec, s[8:9]
	s_cbranch_execnz .LBB20_2925
; %bb.877:
	s_or_saveexec_b64 s[6:7], s[6:7]
	v_mov_b32_e32 v12, s10
	s_xor_b64 exec, exec, s[6:7]
	s_cbranch_execnz .LBB20_2928
.LBB20_878:
	s_or_b64 exec, exec, s[6:7]
	s_and_saveexec_b64 s[6:7], s[4:5]
	s_cbranch_execz .LBB20_880
.LBB20_879:
	v_bfe_u32 v12, v13, 8, 3
	v_ffbh_u32_e32 v15, v12
	v_min_u32_e32 v15, 32, v15
	v_lshrrev_b16_e32 v14, 3, v11
	v_subrev_u32_e32 v16, 28, v15
	v_and_b32_e32 v14, 15, v14
	v_lshlrev_b32_e32 v11, v16, v11
	v_sub_u32_e32 v15, 29, v15
	v_and_b32_e32 v11, 7, v11
	v_cmp_eq_u16_e32 vcc, 0, v14
	v_cndmask_b32_e32 v11, v12, v11, vcc
	v_cndmask_b32_e32 v12, v14, v15, vcc
	v_lshlrev_b32_e32 v14, 16, v13
	v_mov_b32_e32 v15, 0x3b800000
	v_lshlrev_b32_e32 v11, 20, v11
	v_and_b32_e32 v14, 0x80000000, v14
	v_lshl_add_u32 v12, v12, 23, v15
	v_or3_b32 v12, v14, v12, v11
.LBB20_880:
	s_or_b64 exec, exec, s[6:7]
	s_nop 0
	v_mfma_f32_16x16x4f32 a[0:3], v10, v12, a[0:3]
	s_movk_i32 s4, 0xff
	v_and_b32_sdwa v11, v17, s4 dst_sel:DWORD dst_unused:UNUSED_PAD src0_sel:WORD_1 src1_sel:DWORD
	s_movk_i32 s4, 0x7f
	v_cmp_lt_i16_e32 vcc, s4, v11
	s_mov_b64 s[4:5], 0
                                        ; implicit-def: $sgpr10
	s_and_saveexec_b64 s[6:7], vcc
	s_xor_b64 s[6:7], exec, s[6:7]
	s_cbranch_execnz .LBB20_2929
; %bb.881:
	s_or_saveexec_b64 s[6:7], s[6:7]
	v_mov_b32_e32 v10, s10
	s_xor_b64 exec, exec, s[6:7]
	s_cbranch_execnz .LBB20_2932
.LBB20_882:
	s_or_b64 exec, exec, s[6:7]
	s_and_saveexec_b64 s[6:7], s[4:5]
	s_cbranch_execz .LBB20_884
.LBB20_883:
	v_bfe_u32 v10, v17, 16, 3
	v_ffbh_u32_e32 v14, v10
	v_min_u32_e32 v14, 32, v14
	v_lshrrev_b32_e32 v11, 19, v17
	v_subrev_u32_e32 v15, 28, v14
	v_and_b32_e32 v11, 15, v11
	v_lshlrev_b32_sdwa v15, v15, v17 dst_sel:DWORD dst_unused:UNUSED_PAD src0_sel:DWORD src1_sel:WORD_1
	v_bfe_u32 v12, v17, 19, 4
	v_sub_u32_e32 v14, 29, v14
	v_and_b32_e32 v15, 7, v15
	v_cmp_eq_u16_e32 vcc, 0, v11
	v_cndmask_b32_e32 v10, v10, v15, vcc
	v_cndmask_b32_e32 v11, v12, v14, vcc
	v_lshlrev_b32_e32 v12, 8, v17
	v_mov_b32_e32 v14, 0x3b800000
	v_lshlrev_b32_e32 v10, 20, v10
	v_and_b32_e32 v12, 0x80000000, v12
	v_lshl_add_u32 v11, v11, 23, v14
	v_or3_b32 v10, v12, v11, v10
.LBB20_884:
	s_or_b64 exec, exec, s[6:7]
	s_movk_i32 s4, 0xff
	v_and_b32_sdwa v11, v13, s4 dst_sel:DWORD dst_unused:UNUSED_PAD src0_sel:WORD_1 src1_sel:DWORD
	s_movk_i32 s4, 0x7f
	v_cmp_lt_i16_e32 vcc, s4, v11
	s_mov_b64 s[4:5], 0
                                        ; implicit-def: $sgpr10
	s_and_saveexec_b64 s[6:7], vcc
	s_xor_b64 s[6:7], exec, s[6:7]
	s_cbranch_execnz .LBB20_2933
; %bb.885:
	s_or_saveexec_b64 s[6:7], s[6:7]
	v_mov_b32_e32 v12, s10
	s_xor_b64 exec, exec, s[6:7]
	s_cbranch_execnz .LBB20_2936
.LBB20_886:
	s_or_b64 exec, exec, s[6:7]
	s_and_saveexec_b64 s[6:7], s[4:5]
	s_cbranch_execz .LBB20_888
.LBB20_887:
	v_bfe_u32 v11, v13, 16, 3
	v_ffbh_u32_e32 v15, v11
	v_min_u32_e32 v15, 32, v15
	v_lshrrev_b32_e32 v12, 19, v13
	v_subrev_u32_e32 v16, 28, v15
	v_and_b32_e32 v12, 15, v12
	v_lshlrev_b32_sdwa v16, v16, v13 dst_sel:DWORD dst_unused:UNUSED_PAD src0_sel:DWORD src1_sel:WORD_1
	v_bfe_u32 v14, v13, 19, 4
	v_sub_u32_e32 v15, 29, v15
	v_and_b32_e32 v16, 7, v16
	v_cmp_eq_u16_e32 vcc, 0, v12
	v_cndmask_b32_e32 v11, v11, v16, vcc
	v_cndmask_b32_e32 v12, v14, v15, vcc
	v_lshlrev_b32_e32 v14, 8, v13
	v_mov_b32_e32 v15, 0x3b800000
	v_lshlrev_b32_e32 v11, 20, v11
	v_and_b32_e32 v14, 0x80000000, v14
	v_lshl_add_u32 v12, v12, 23, v15
	v_or3_b32 v12, v14, v12, v11
.LBB20_888:
	s_or_b64 exec, exec, s[6:7]
	s_nop 0
	v_mfma_f32_16x16x4f32 a[0:3], v10, v12, a[0:3]
	s_movk_i32 s4, 0x7f
	v_cmp_gt_i16_sdwa s[6:7], v17, s4 src0_sel:BYTE_3 src1_sel:DWORD
	s_mov_b64 s[4:5], 0
                                        ; implicit-def: $sgpr10
	s_and_saveexec_b64 s[8:9], s[6:7]
	s_xor_b64 s[6:7], exec, s[8:9]
	s_cbranch_execnz .LBB20_2937
; %bb.889:
	s_or_saveexec_b64 s[6:7], s[6:7]
	v_mov_b32_e32 v10, s10
	s_xor_b64 exec, exec, s[6:7]
	s_cbranch_execnz .LBB20_2940
.LBB20_890:
	s_or_b64 exec, exec, s[6:7]
	s_and_saveexec_b64 s[6:7], s[4:5]
	s_cbranch_execz .LBB20_892
.LBB20_891:
	v_bfe_u32 v10, v17, 24, 3
	v_ffbh_u32_e32 v15, v10
	v_min_u32_e32 v15, 32, v15
	v_lshrrev_b32_e32 v12, 27, v17
	v_subrev_u32_e32 v16, 28, v15
	v_and_b32_e32 v12, 15, v12
	v_lshlrev_b32_sdwa v16, v16, v17 dst_sel:DWORD dst_unused:UNUSED_PAD src0_sel:DWORD src1_sel:BYTE_3
	v_bfe_u32 v14, v17, 27, 4
	v_sub_u32_e32 v15, 29, v15
	v_and_b32_e32 v16, 7, v16
	v_cmp_eq_u16_e32 vcc, 0, v12
	v_cndmask_b32_e32 v10, v10, v16, vcc
	v_cndmask_b32_e32 v12, v14, v15, vcc
	v_mov_b32_e32 v14, 0x3b800000
	v_and_b32_e32 v11, 0x80000000, v17
	v_lshlrev_b32_e32 v10, 20, v10
	v_lshl_add_u32 v12, v12, 23, v14
	v_or3_b32 v10, v11, v12, v10
.LBB20_892:
	s_or_b64 exec, exec, s[6:7]
	s_movk_i32 s4, 0x7f
	v_cmp_gt_i16_sdwa s[6:7], v13, s4 src0_sel:BYTE_3 src1_sel:DWORD
	s_mov_b64 s[4:5], 0
                                        ; implicit-def: $sgpr10
	s_and_saveexec_b64 s[8:9], s[6:7]
	s_xor_b64 s[6:7], exec, s[8:9]
	s_cbranch_execnz .LBB20_2941
; %bb.893:
	s_or_saveexec_b64 s[6:7], s[6:7]
	v_mov_b32_e32 v11, s10
	s_xor_b64 exec, exec, s[6:7]
	s_cbranch_execnz .LBB20_2944
.LBB20_894:
	s_or_b64 exec, exec, s[6:7]
	s_and_saveexec_b64 s[6:7], s[4:5]
	s_cbranch_execz .LBB20_896
.LBB20_895:
	v_bfe_u32 v11, v13, 24, 3
	v_ffbh_u32_e32 v16, v11
	v_min_u32_e32 v16, 32, v16
	v_lshrrev_b32_e32 v14, 27, v13
	v_subrev_u32_e32 v17, 28, v16
	v_and_b32_e32 v12, 0x80000000, v13
	v_and_b32_e32 v14, 15, v14
	v_bfe_u32 v15, v13, 27, 4
	v_lshlrev_b32_sdwa v13, v17, v13 dst_sel:DWORD dst_unused:UNUSED_PAD src0_sel:DWORD src1_sel:BYTE_3
	v_sub_u32_e32 v16, 29, v16
	v_and_b32_e32 v13, 7, v13
	v_cmp_eq_u16_e32 vcc, 0, v14
	v_cndmask_b32_e32 v11, v11, v13, vcc
	v_cndmask_b32_e32 v13, v15, v16, vcc
	v_mov_b32_e32 v14, 0x3b800000
	v_lshlrev_b32_e32 v11, 20, v11
	v_lshl_add_u32 v13, v13, 23, v14
	v_or3_b32 v11, v12, v13, v11
.LBB20_896:
	s_or_b64 exec, exec, s[6:7]
	s_nop 0
	v_mfma_f32_16x16x4f32 a[0:3], v10, v11, a[0:3]
	s_movk_i32 s4, 0x7f
	v_cmp_gt_i16_sdwa s[6:7], v6, s4 src0_sel:BYTE_0 src1_sel:DWORD
	s_mov_b64 s[4:5], 0
                                        ; implicit-def: $sgpr10
	s_and_saveexec_b64 s[8:9], s[6:7]
	s_xor_b64 s[6:7], exec, s[8:9]
	s_cbranch_execnz .LBB20_2945
; %bb.897:
	s_or_saveexec_b64 s[6:7], s[6:7]
	v_mov_b32_e32 v10, s10
	s_xor_b64 exec, exec, s[6:7]
	s_cbranch_execnz .LBB20_2948
.LBB20_898:
	s_or_b64 exec, exec, s[6:7]
	s_and_saveexec_b64 s[6:7], s[4:5]
	s_cbranch_execz .LBB20_900
.LBB20_899:
	v_and_b32_e32 v10, 7, v6
	v_ffbh_u32_e32 v12, v10
	v_min_u32_e32 v12, 32, v12
	v_lshrrev_b16_e32 v11, 3, v6
	v_subrev_u32_e32 v13, 28, v12
	v_and_b32_e32 v11, 15, v11
	v_lshlrev_b32_e32 v13, v13, v6
	v_sub_u32_e32 v12, 29, v12
	v_and_b32_e32 v13, 7, v13
	v_cmp_eq_u16_e32 vcc, 0, v11
	v_cndmask_b32_e32 v10, v10, v13, vcc
	v_cndmask_b32_e32 v11, v11, v12, vcc
	v_lshlrev_b32_e32 v12, 24, v6
	v_mov_b32_e32 v13, 0x3b800000
	v_lshlrev_b32_e32 v10, 20, v10
	v_and_b32_e32 v12, 0x80000000, v12
	v_lshl_add_u32 v11, v11, 23, v13
	v_or3_b32 v10, v12, v11, v10
.LBB20_900:
	s_or_b64 exec, exec, s[6:7]
	s_movk_i32 s4, 0x7f
	v_cmp_gt_i16_sdwa s[6:7], v2, s4 src0_sel:BYTE_0 src1_sel:DWORD
	s_mov_b64 s[4:5], 0
                                        ; implicit-def: $sgpr10
	s_and_saveexec_b64 s[8:9], s[6:7]
	s_xor_b64 s[6:7], exec, s[8:9]
	s_cbranch_execnz .LBB20_2949
; %bb.901:
	s_or_saveexec_b64 s[6:7], s[6:7]
	v_mov_b32_e32 v11, s10
	s_xor_b64 exec, exec, s[6:7]
	s_cbranch_execnz .LBB20_2952
.LBB20_902:
	s_or_b64 exec, exec, s[6:7]
	s_and_saveexec_b64 s[6:7], s[4:5]
	s_cbranch_execz .LBB20_904
.LBB20_903:
	v_and_b32_e32 v11, 7, v2
	v_ffbh_u32_e32 v13, v11
	v_min_u32_e32 v13, 32, v13
	v_lshrrev_b16_e32 v12, 3, v2
	v_subrev_u32_e32 v14, 28, v13
	v_and_b32_e32 v12, 15, v12
	v_lshlrev_b32_e32 v14, v14, v2
	v_sub_u32_e32 v13, 29, v13
	v_and_b32_e32 v14, 7, v14
	v_cmp_eq_u16_e32 vcc, 0, v12
	v_cndmask_b32_e32 v11, v11, v14, vcc
	v_cndmask_b32_e32 v12, v12, v13, vcc
	v_lshlrev_b32_e32 v13, 24, v2
	v_mov_b32_e32 v14, 0x3b800000
	v_lshlrev_b32_e32 v11, 20, v11
	v_and_b32_e32 v13, 0x80000000, v13
	v_lshl_add_u32 v12, v12, 23, v14
	v_or3_b32 v11, v13, v12, v11
.LBB20_904:
	s_or_b64 exec, exec, s[6:7]
	s_nop 0
	v_mfma_f32_16x16x4f32 a[0:3], v10, v11, a[0:3]
	v_lshrrev_b32_e32 v11, 8, v6
	s_movk_i32 s4, 0x7f
	v_cmp_gt_i16_sdwa s[6:7], v11, s4 src0_sel:BYTE_0 src1_sel:DWORD
	s_mov_b64 s[4:5], 0
                                        ; implicit-def: $sgpr10
	s_and_saveexec_b64 s[8:9], s[6:7]
	s_xor_b64 s[6:7], exec, s[8:9]
	s_cbranch_execnz .LBB20_2953
; %bb.905:
	s_or_saveexec_b64 s[6:7], s[6:7]
	v_mov_b32_e32 v10, s10
	s_xor_b64 exec, exec, s[6:7]
	s_cbranch_execnz .LBB20_2956
.LBB20_906:
	s_or_b64 exec, exec, s[6:7]
	s_and_saveexec_b64 s[6:7], s[4:5]
	s_cbranch_execz .LBB20_908
.LBB20_907:
	v_bfe_u32 v10, v6, 8, 3
	v_ffbh_u32_e32 v13, v10
	v_min_u32_e32 v13, 32, v13
	v_lshrrev_b16_e32 v12, 3, v11
	v_subrev_u32_e32 v14, 28, v13
	v_and_b32_e32 v12, 15, v12
	v_lshlrev_b32_e32 v11, v14, v11
	v_sub_u32_e32 v13, 29, v13
	v_and_b32_e32 v11, 7, v11
	v_cmp_eq_u16_e32 vcc, 0, v12
	v_cndmask_b32_e32 v10, v10, v11, vcc
	v_cndmask_b32_e32 v11, v12, v13, vcc
	v_lshlrev_b32_e32 v12, 16, v6
	v_mov_b32_e32 v13, 0x3b800000
	v_lshlrev_b32_e32 v10, 20, v10
	v_and_b32_e32 v12, 0x80000000, v12
	v_lshl_add_u32 v11, v11, 23, v13
	v_or3_b32 v10, v12, v11, v10
.LBB20_908:
	s_or_b64 exec, exec, s[6:7]
	v_lshrrev_b32_e32 v11, 8, v2
	s_movk_i32 s4, 0x7f
	v_cmp_gt_i16_sdwa s[6:7], v11, s4 src0_sel:BYTE_0 src1_sel:DWORD
	s_mov_b64 s[4:5], 0
                                        ; implicit-def: $sgpr10
	s_and_saveexec_b64 s[8:9], s[6:7]
	s_xor_b64 s[6:7], exec, s[8:9]
	s_cbranch_execnz .LBB20_2957
; %bb.909:
	s_or_saveexec_b64 s[6:7], s[6:7]
	v_mov_b32_e32 v12, s10
	s_xor_b64 exec, exec, s[6:7]
	s_cbranch_execnz .LBB20_2960
.LBB20_910:
	s_or_b64 exec, exec, s[6:7]
	s_and_saveexec_b64 s[6:7], s[4:5]
	s_cbranch_execz .LBB20_912
.LBB20_911:
	v_bfe_u32 v12, v2, 8, 3
	v_ffbh_u32_e32 v14, v12
	v_min_u32_e32 v14, 32, v14
	v_lshrrev_b16_e32 v13, 3, v11
	v_subrev_u32_e32 v15, 28, v14
	v_and_b32_e32 v13, 15, v13
	v_lshlrev_b32_e32 v11, v15, v11
	v_sub_u32_e32 v14, 29, v14
	v_and_b32_e32 v11, 7, v11
	v_cmp_eq_u16_e32 vcc, 0, v13
	v_cndmask_b32_e32 v11, v12, v11, vcc
	v_cndmask_b32_e32 v12, v13, v14, vcc
	v_lshlrev_b32_e32 v13, 16, v2
	v_mov_b32_e32 v14, 0x3b800000
	v_lshlrev_b32_e32 v11, 20, v11
	v_and_b32_e32 v13, 0x80000000, v13
	v_lshl_add_u32 v12, v12, 23, v14
	v_or3_b32 v12, v13, v12, v11
.LBB20_912:
	s_or_b64 exec, exec, s[6:7]
	s_nop 0
	v_mfma_f32_16x16x4f32 a[0:3], v10, v12, a[0:3]
	s_movk_i32 s4, 0xff
	v_and_b32_sdwa v11, v6, s4 dst_sel:DWORD dst_unused:UNUSED_PAD src0_sel:WORD_1 src1_sel:DWORD
	s_movk_i32 s4, 0x7f
	v_cmp_lt_i16_e32 vcc, s4, v11
	s_mov_b64 s[4:5], 0
                                        ; implicit-def: $sgpr10
	s_and_saveexec_b64 s[6:7], vcc
	s_xor_b64 s[6:7], exec, s[6:7]
	s_cbranch_execnz .LBB20_2961
; %bb.913:
	s_or_saveexec_b64 s[6:7], s[6:7]
	v_mov_b32_e32 v10, s10
	s_xor_b64 exec, exec, s[6:7]
	s_cbranch_execnz .LBB20_2964
.LBB20_914:
	s_or_b64 exec, exec, s[6:7]
	s_and_saveexec_b64 s[6:7], s[4:5]
	s_cbranch_execz .LBB20_916
.LBB20_915:
	v_bfe_u32 v10, v6, 16, 3
	v_ffbh_u32_e32 v13, v10
	v_min_u32_e32 v13, 32, v13
	v_lshrrev_b32_e32 v11, 19, v6
	v_subrev_u32_e32 v14, 28, v13
	v_and_b32_e32 v11, 15, v11
	v_lshlrev_b32_sdwa v14, v14, v6 dst_sel:DWORD dst_unused:UNUSED_PAD src0_sel:DWORD src1_sel:WORD_1
	v_bfe_u32 v12, v6, 19, 4
	v_sub_u32_e32 v13, 29, v13
	v_and_b32_e32 v14, 7, v14
	v_cmp_eq_u16_e32 vcc, 0, v11
	v_cndmask_b32_e32 v10, v10, v14, vcc
	v_cndmask_b32_e32 v11, v12, v13, vcc
	v_lshlrev_b32_e32 v12, 8, v6
	v_mov_b32_e32 v13, 0x3b800000
	v_lshlrev_b32_e32 v10, 20, v10
	v_and_b32_e32 v12, 0x80000000, v12
	v_lshl_add_u32 v11, v11, 23, v13
	v_or3_b32 v10, v12, v11, v10
.LBB20_916:
	s_or_b64 exec, exec, s[6:7]
	s_movk_i32 s4, 0xff
	v_and_b32_sdwa v11, v2, s4 dst_sel:DWORD dst_unused:UNUSED_PAD src0_sel:WORD_1 src1_sel:DWORD
	s_movk_i32 s4, 0x7f
	v_cmp_lt_i16_e32 vcc, s4, v11
	s_mov_b64 s[4:5], 0
                                        ; implicit-def: $sgpr10
	s_and_saveexec_b64 s[6:7], vcc
	s_xor_b64 s[6:7], exec, s[6:7]
	s_cbranch_execnz .LBB20_2965
; %bb.917:
	s_or_saveexec_b64 s[6:7], s[6:7]
	v_mov_b32_e32 v12, s10
	s_xor_b64 exec, exec, s[6:7]
	s_cbranch_execnz .LBB20_2968
.LBB20_918:
	s_or_b64 exec, exec, s[6:7]
	s_and_saveexec_b64 s[6:7], s[4:5]
	s_cbranch_execz .LBB20_920
.LBB20_919:
	v_bfe_u32 v11, v2, 16, 3
	v_ffbh_u32_e32 v14, v11
	v_min_u32_e32 v14, 32, v14
	v_lshrrev_b32_e32 v12, 19, v2
	v_subrev_u32_e32 v15, 28, v14
	v_and_b32_e32 v12, 15, v12
	v_lshlrev_b32_sdwa v15, v15, v2 dst_sel:DWORD dst_unused:UNUSED_PAD src0_sel:DWORD src1_sel:WORD_1
	v_bfe_u32 v13, v2, 19, 4
	v_sub_u32_e32 v14, 29, v14
	v_and_b32_e32 v15, 7, v15
	v_cmp_eq_u16_e32 vcc, 0, v12
	v_cndmask_b32_e32 v11, v11, v15, vcc
	v_cndmask_b32_e32 v12, v13, v14, vcc
	v_lshlrev_b32_e32 v13, 8, v2
	v_mov_b32_e32 v14, 0x3b800000
	v_lshlrev_b32_e32 v11, 20, v11
	v_and_b32_e32 v13, 0x80000000, v13
	v_lshl_add_u32 v12, v12, 23, v14
	v_or3_b32 v12, v13, v12, v11
.LBB20_920:
	s_or_b64 exec, exec, s[6:7]
	s_nop 0
	v_mfma_f32_16x16x4f32 a[0:3], v10, v12, a[0:3]
	s_movk_i32 s4, 0x7f
	v_cmp_gt_i16_sdwa s[6:7], v6, s4 src0_sel:BYTE_3 src1_sel:DWORD
	s_mov_b64 s[4:5], 0
                                        ; implicit-def: $sgpr10
	s_and_saveexec_b64 s[8:9], s[6:7]
	s_xor_b64 s[6:7], exec, s[8:9]
	s_cbranch_execnz .LBB20_2969
; %bb.921:
	s_or_saveexec_b64 s[6:7], s[6:7]
	v_mov_b32_e32 v10, s10
	s_xor_b64 exec, exec, s[6:7]
	s_cbranch_execnz .LBB20_2972
.LBB20_922:
	s_or_b64 exec, exec, s[6:7]
	s_and_saveexec_b64 s[6:7], s[4:5]
	s_cbranch_execz .LBB20_924
.LBB20_923:
	v_bfe_u32 v10, v6, 24, 3
	v_ffbh_u32_e32 v14, v10
	v_min_u32_e32 v14, 32, v14
	v_lshrrev_b32_e32 v12, 27, v6
	v_subrev_u32_e32 v15, 28, v14
	v_and_b32_e32 v11, 0x80000000, v6
	v_and_b32_e32 v12, 15, v12
	v_bfe_u32 v13, v6, 27, 4
	v_lshlrev_b32_sdwa v6, v15, v6 dst_sel:DWORD dst_unused:UNUSED_PAD src0_sel:DWORD src1_sel:BYTE_3
	v_sub_u32_e32 v14, 29, v14
	v_and_b32_e32 v6, 7, v6
	v_cmp_eq_u16_e32 vcc, 0, v12
	v_cndmask_b32_e32 v6, v10, v6, vcc
	v_cndmask_b32_e32 v10, v13, v14, vcc
	v_mov_b32_e32 v12, 0x3b800000
	v_lshlrev_b32_e32 v6, 20, v6
	v_lshl_add_u32 v10, v10, 23, v12
	v_or3_b32 v10, v11, v10, v6
.LBB20_924:
	s_or_b64 exec, exec, s[6:7]
	s_movk_i32 s4, 0x7f
	v_cmp_gt_i16_sdwa s[6:7], v2, s4 src0_sel:BYTE_3 src1_sel:DWORD
	s_mov_b64 s[4:5], 0
                                        ; implicit-def: $sgpr10
	s_and_saveexec_b64 s[8:9], s[6:7]
	s_xor_b64 s[6:7], exec, s[8:9]
	s_cbranch_execnz .LBB20_2973
; %bb.925:
	s_or_saveexec_b64 s[6:7], s[6:7]
	v_mov_b32_e32 v6, s10
	s_xor_b64 exec, exec, s[6:7]
	s_cbranch_execnz .LBB20_2976
.LBB20_926:
	s_or_b64 exec, exec, s[6:7]
	s_and_saveexec_b64 s[6:7], s[4:5]
	s_cbranch_execz .LBB20_928
.LBB20_927:
	v_bfe_u32 v6, v2, 24, 3
	v_ffbh_u32_e32 v14, v6
	v_min_u32_e32 v14, 32, v14
	v_lshrrev_b32_e32 v12, 27, v2
	v_subrev_u32_e32 v15, 28, v14
	v_and_b32_e32 v11, 0x80000000, v2
	v_and_b32_e32 v12, 15, v12
	v_bfe_u32 v13, v2, 27, 4
	v_lshlrev_b32_sdwa v2, v15, v2 dst_sel:DWORD dst_unused:UNUSED_PAD src0_sel:DWORD src1_sel:BYTE_3
	v_sub_u32_e32 v14, 29, v14
	v_and_b32_e32 v2, 7, v2
	v_cmp_eq_u16_e32 vcc, 0, v12
	v_cndmask_b32_e32 v2, v6, v2, vcc
	v_cndmask_b32_e32 v6, v13, v14, vcc
	v_mov_b32_e32 v12, 0x3b800000
	v_lshlrev_b32_e32 v2, 20, v2
	v_lshl_add_u32 v6, v6, 23, v12
	v_or3_b32 v6, v11, v6, v2
.LBB20_928:
	s_or_b64 exec, exec, s[6:7]
	s_nop 0
	v_mfma_f32_16x16x4f32 a[0:3], v10, v6, a[0:3]
	s_movk_i32 s4, 0x7f
	v_cmp_gt_i16_sdwa s[6:7], v7, s4 src0_sel:BYTE_0 src1_sel:DWORD
	s_mov_b64 s[4:5], 0
                                        ; implicit-def: $sgpr10
	s_and_saveexec_b64 s[8:9], s[6:7]
	s_xor_b64 s[6:7], exec, s[8:9]
	s_cbranch_execnz .LBB20_2977
; %bb.929:
	s_or_saveexec_b64 s[6:7], s[6:7]
	v_mov_b32_e32 v2, s10
	s_xor_b64 exec, exec, s[6:7]
	s_cbranch_execnz .LBB20_2980
.LBB20_930:
	s_or_b64 exec, exec, s[6:7]
	s_and_saveexec_b64 s[6:7], s[4:5]
	s_cbranch_execz .LBB20_932
.LBB20_931:
	v_and_b32_e32 v2, 7, v7
	v_ffbh_u32_e32 v10, v2
	v_min_u32_e32 v10, 32, v10
	v_lshrrev_b16_e32 v6, 3, v7
	v_subrev_u32_e32 v11, 28, v10
	v_and_b32_e32 v6, 15, v6
	v_lshlrev_b32_e32 v11, v11, v7
	v_sub_u32_e32 v10, 29, v10
	v_and_b32_e32 v11, 7, v11
	v_cmp_eq_u16_e32 vcc, 0, v6
	v_cndmask_b32_e32 v2, v2, v11, vcc
	v_cndmask_b32_e32 v6, v6, v10, vcc
	v_lshlrev_b32_e32 v10, 24, v7
	v_mov_b32_e32 v11, 0x3b800000
	v_lshlrev_b32_e32 v2, 20, v2
	v_and_b32_e32 v10, 0x80000000, v10
	v_lshl_add_u32 v6, v6, 23, v11
	v_or3_b32 v2, v10, v6, v2
.LBB20_932:
	s_or_b64 exec, exec, s[6:7]
	s_movk_i32 s4, 0x7f
	v_cmp_gt_i16_sdwa s[6:7], v3, s4 src0_sel:BYTE_0 src1_sel:DWORD
	s_mov_b64 s[4:5], 0
                                        ; implicit-def: $sgpr10
	s_and_saveexec_b64 s[8:9], s[6:7]
	s_xor_b64 s[6:7], exec, s[8:9]
	s_cbranch_execnz .LBB20_2981
; %bb.933:
	s_or_saveexec_b64 s[6:7], s[6:7]
	v_mov_b32_e32 v6, s10
	s_xor_b64 exec, exec, s[6:7]
	s_cbranch_execnz .LBB20_2984
.LBB20_934:
	s_or_b64 exec, exec, s[6:7]
	s_and_saveexec_b64 s[6:7], s[4:5]
	s_cbranch_execz .LBB20_936
.LBB20_935:
	v_and_b32_e32 v6, 7, v3
	v_ffbh_u32_e32 v11, v6
	v_min_u32_e32 v11, 32, v11
	v_lshrrev_b16_e32 v10, 3, v3
	v_subrev_u32_e32 v12, 28, v11
	v_and_b32_e32 v10, 15, v10
	v_lshlrev_b32_e32 v12, v12, v3
	v_sub_u32_e32 v11, 29, v11
	v_and_b32_e32 v12, 7, v12
	v_cmp_eq_u16_e32 vcc, 0, v10
	v_cndmask_b32_e32 v6, v6, v12, vcc
	v_cndmask_b32_e32 v10, v10, v11, vcc
	v_lshlrev_b32_e32 v11, 24, v3
	v_mov_b32_e32 v12, 0x3b800000
	v_lshlrev_b32_e32 v6, 20, v6
	v_and_b32_e32 v11, 0x80000000, v11
	v_lshl_add_u32 v10, v10, 23, v12
	v_or3_b32 v6, v11, v10, v6
.LBB20_936:
	s_or_b64 exec, exec, s[6:7]
	s_nop 0
	v_mfma_f32_16x16x4f32 a[0:3], v2, v6, a[0:3]
	v_lshrrev_b32_e32 v6, 8, v7
	s_movk_i32 s4, 0x7f
	v_cmp_gt_i16_sdwa s[6:7], v6, s4 src0_sel:BYTE_0 src1_sel:DWORD
	s_mov_b64 s[4:5], 0
                                        ; implicit-def: $sgpr10
	s_and_saveexec_b64 s[8:9], s[6:7]
	s_xor_b64 s[6:7], exec, s[8:9]
	s_cbranch_execnz .LBB20_2985
; %bb.937:
	s_or_saveexec_b64 s[6:7], s[6:7]
	v_mov_b32_e32 v2, s10
	s_xor_b64 exec, exec, s[6:7]
	s_cbranch_execnz .LBB20_2988
.LBB20_938:
	s_or_b64 exec, exec, s[6:7]
	s_and_saveexec_b64 s[6:7], s[4:5]
	s_cbranch_execz .LBB20_940
.LBB20_939:
	v_bfe_u32 v2, v7, 8, 3
	v_ffbh_u32_e32 v11, v2
	v_min_u32_e32 v11, 32, v11
	v_lshrrev_b16_e32 v10, 3, v6
	v_subrev_u32_e32 v12, 28, v11
	v_and_b32_e32 v10, 15, v10
	v_lshlrev_b32_e32 v6, v12, v6
	v_sub_u32_e32 v11, 29, v11
	v_and_b32_e32 v6, 7, v6
	v_cmp_eq_u16_e32 vcc, 0, v10
	v_cndmask_b32_e32 v2, v2, v6, vcc
	v_cndmask_b32_e32 v6, v10, v11, vcc
	v_lshlrev_b32_e32 v10, 16, v7
	v_mov_b32_e32 v11, 0x3b800000
	v_lshlrev_b32_e32 v2, 20, v2
	v_and_b32_e32 v10, 0x80000000, v10
	v_lshl_add_u32 v6, v6, 23, v11
	v_or3_b32 v2, v10, v6, v2
.LBB20_940:
	s_or_b64 exec, exec, s[6:7]
	v_lshrrev_b32_e32 v6, 8, v3
	s_movk_i32 s4, 0x7f
	v_cmp_gt_i16_sdwa s[6:7], v6, s4 src0_sel:BYTE_0 src1_sel:DWORD
	s_mov_b64 s[4:5], 0
                                        ; implicit-def: $sgpr10
	s_and_saveexec_b64 s[8:9], s[6:7]
	s_xor_b64 s[6:7], exec, s[8:9]
	s_cbranch_execnz .LBB20_2989
; %bb.941:
	s_or_saveexec_b64 s[6:7], s[6:7]
	v_mov_b32_e32 v10, s10
	s_xor_b64 exec, exec, s[6:7]
	s_cbranch_execnz .LBB20_2992
.LBB20_942:
	s_or_b64 exec, exec, s[6:7]
	s_and_saveexec_b64 s[6:7], s[4:5]
	s_cbranch_execz .LBB20_944
.LBB20_943:
	v_bfe_u32 v10, v3, 8, 3
	v_ffbh_u32_e32 v12, v10
	v_min_u32_e32 v12, 32, v12
	v_lshrrev_b16_e32 v11, 3, v6
	v_subrev_u32_e32 v13, 28, v12
	v_and_b32_e32 v11, 15, v11
	v_lshlrev_b32_e32 v6, v13, v6
	v_sub_u32_e32 v12, 29, v12
	v_and_b32_e32 v6, 7, v6
	v_cmp_eq_u16_e32 vcc, 0, v11
	v_cndmask_b32_e32 v6, v10, v6, vcc
	v_cndmask_b32_e32 v10, v11, v12, vcc
	v_lshlrev_b32_e32 v11, 16, v3
	v_mov_b32_e32 v12, 0x3b800000
	v_lshlrev_b32_e32 v6, 20, v6
	v_and_b32_e32 v11, 0x80000000, v11
	v_lshl_add_u32 v10, v10, 23, v12
	v_or3_b32 v10, v11, v10, v6
.LBB20_944:
	s_or_b64 exec, exec, s[6:7]
	s_nop 0
	v_mfma_f32_16x16x4f32 a[0:3], v2, v10, a[0:3]
	s_movk_i32 s4, 0xff
	v_and_b32_sdwa v6, v7, s4 dst_sel:DWORD dst_unused:UNUSED_PAD src0_sel:WORD_1 src1_sel:DWORD
	s_movk_i32 s4, 0x7f
	v_cmp_lt_i16_e32 vcc, s4, v6
	s_mov_b64 s[4:5], 0
                                        ; implicit-def: $sgpr10
	s_and_saveexec_b64 s[6:7], vcc
	s_xor_b64 s[6:7], exec, s[6:7]
	s_cbranch_execnz .LBB20_2993
; %bb.945:
	s_or_saveexec_b64 s[6:7], s[6:7]
	v_mov_b32_e32 v2, s10
	s_xor_b64 exec, exec, s[6:7]
	s_cbranch_execnz .LBB20_2996
.LBB20_946:
	s_or_b64 exec, exec, s[6:7]
	s_and_saveexec_b64 s[6:7], s[4:5]
	s_cbranch_execz .LBB20_948
.LBB20_947:
	v_bfe_u32 v2, v7, 16, 3
	v_ffbh_u32_e32 v11, v2
	v_min_u32_e32 v11, 32, v11
	v_lshrrev_b32_e32 v6, 19, v7
	v_subrev_u32_e32 v12, 28, v11
	v_and_b32_e32 v6, 15, v6
	v_lshlrev_b32_sdwa v12, v12, v7 dst_sel:DWORD dst_unused:UNUSED_PAD src0_sel:DWORD src1_sel:WORD_1
	v_bfe_u32 v10, v7, 19, 4
	v_sub_u32_e32 v11, 29, v11
	v_and_b32_e32 v12, 7, v12
	v_cmp_eq_u16_e32 vcc, 0, v6
	v_cndmask_b32_e32 v2, v2, v12, vcc
	v_cndmask_b32_e32 v6, v10, v11, vcc
	v_lshlrev_b32_e32 v10, 8, v7
	v_mov_b32_e32 v11, 0x3b800000
	v_lshlrev_b32_e32 v2, 20, v2
	v_and_b32_e32 v10, 0x80000000, v10
	v_lshl_add_u32 v6, v6, 23, v11
	v_or3_b32 v2, v10, v6, v2
.LBB20_948:
	s_or_b64 exec, exec, s[6:7]
	s_movk_i32 s4, 0xff
	v_and_b32_sdwa v6, v3, s4 dst_sel:DWORD dst_unused:UNUSED_PAD src0_sel:WORD_1 src1_sel:DWORD
	s_movk_i32 s4, 0x7f
	v_cmp_lt_i16_e32 vcc, s4, v6
	s_mov_b64 s[4:5], 0
                                        ; implicit-def: $sgpr10
	s_and_saveexec_b64 s[6:7], vcc
	s_xor_b64 s[6:7], exec, s[6:7]
	s_cbranch_execnz .LBB20_2997
; %bb.949:
	s_or_saveexec_b64 s[6:7], s[6:7]
	v_mov_b32_e32 v10, s10
	s_xor_b64 exec, exec, s[6:7]
	s_cbranch_execnz .LBB20_3000
.LBB20_950:
	s_or_b64 exec, exec, s[6:7]
	s_and_saveexec_b64 s[6:7], s[4:5]
	s_cbranch_execz .LBB20_952
.LBB20_951:
	v_bfe_u32 v6, v3, 16, 3
	v_ffbh_u32_e32 v12, v6
	v_min_u32_e32 v12, 32, v12
	v_lshrrev_b32_e32 v10, 19, v3
	v_subrev_u32_e32 v13, 28, v12
	v_and_b32_e32 v10, 15, v10
	v_lshlrev_b32_sdwa v13, v13, v3 dst_sel:DWORD dst_unused:UNUSED_PAD src0_sel:DWORD src1_sel:WORD_1
	v_bfe_u32 v11, v3, 19, 4
	v_sub_u32_e32 v12, 29, v12
	v_and_b32_e32 v13, 7, v13
	v_cmp_eq_u16_e32 vcc, 0, v10
	v_cndmask_b32_e32 v6, v6, v13, vcc
	v_cndmask_b32_e32 v10, v11, v12, vcc
	v_lshlrev_b32_e32 v11, 8, v3
	v_mov_b32_e32 v12, 0x3b800000
	v_lshlrev_b32_e32 v6, 20, v6
	v_and_b32_e32 v11, 0x80000000, v11
	v_lshl_add_u32 v10, v10, 23, v12
	v_or3_b32 v10, v11, v10, v6
.LBB20_952:
	s_or_b64 exec, exec, s[6:7]
	s_nop 0
	v_mfma_f32_16x16x4f32 a[0:3], v2, v10, a[0:3]
	s_movk_i32 s4, 0x7f
	v_cmp_gt_i16_sdwa s[6:7], v7, s4 src0_sel:BYTE_3 src1_sel:DWORD
	s_mov_b64 s[4:5], 0
                                        ; implicit-def: $sgpr10
	s_and_saveexec_b64 s[8:9], s[6:7]
	s_xor_b64 s[6:7], exec, s[8:9]
	s_cbranch_execnz .LBB20_3001
; %bb.953:
	s_or_saveexec_b64 s[6:7], s[6:7]
	v_mov_b32_e32 v2, s10
	s_xor_b64 exec, exec, s[6:7]
	s_cbranch_execnz .LBB20_3004
.LBB20_954:
	s_or_b64 exec, exec, s[6:7]
	s_and_saveexec_b64 s[6:7], s[4:5]
	s_cbranch_execz .LBB20_956
.LBB20_955:
	v_bfe_u32 v2, v7, 24, 3
	v_ffbh_u32_e32 v12, v2
	v_min_u32_e32 v12, 32, v12
	v_lshrrev_b32_e32 v10, 27, v7
	v_subrev_u32_e32 v13, 28, v12
	v_and_b32_e32 v6, 0x80000000, v7
	v_and_b32_e32 v10, 15, v10
	v_bfe_u32 v11, v7, 27, 4
	v_lshlrev_b32_sdwa v7, v13, v7 dst_sel:DWORD dst_unused:UNUSED_PAD src0_sel:DWORD src1_sel:BYTE_3
	v_sub_u32_e32 v12, 29, v12
	v_and_b32_e32 v7, 7, v7
	v_cmp_eq_u16_e32 vcc, 0, v10
	v_cndmask_b32_e32 v2, v2, v7, vcc
	v_cndmask_b32_e32 v7, v11, v12, vcc
	v_mov_b32_e32 v10, 0x3b800000
	v_lshlrev_b32_e32 v2, 20, v2
	v_lshl_add_u32 v7, v7, 23, v10
	v_or3_b32 v2, v6, v7, v2
.LBB20_956:
	s_or_b64 exec, exec, s[6:7]
	s_movk_i32 s4, 0x7f
	v_cmp_gt_i16_sdwa s[6:7], v3, s4 src0_sel:BYTE_3 src1_sel:DWORD
	s_mov_b64 s[4:5], 0
                                        ; implicit-def: $sgpr10
	s_and_saveexec_b64 s[8:9], s[6:7]
	s_xor_b64 s[6:7], exec, s[8:9]
	s_cbranch_execnz .LBB20_3005
; %bb.957:
	s_or_saveexec_b64 s[6:7], s[6:7]
	v_mov_b32_e32 v6, s10
	s_xor_b64 exec, exec, s[6:7]
	s_cbranch_execnz .LBB20_3008
.LBB20_958:
	s_or_b64 exec, exec, s[6:7]
	s_and_saveexec_b64 s[6:7], s[4:5]
	s_cbranch_execz .LBB20_960
.LBB20_959:
	v_bfe_u32 v6, v3, 24, 3
	v_ffbh_u32_e32 v12, v6
	v_min_u32_e32 v12, 32, v12
	v_lshrrev_b32_e32 v10, 27, v3
	v_subrev_u32_e32 v13, 28, v12
	v_and_b32_e32 v7, 0x80000000, v3
	v_and_b32_e32 v10, 15, v10
	v_bfe_u32 v11, v3, 27, 4
	v_lshlrev_b32_sdwa v3, v13, v3 dst_sel:DWORD dst_unused:UNUSED_PAD src0_sel:DWORD src1_sel:BYTE_3
	v_sub_u32_e32 v12, 29, v12
	v_and_b32_e32 v3, 7, v3
	v_cmp_eq_u16_e32 vcc, 0, v10
	v_cndmask_b32_e32 v3, v6, v3, vcc
	v_cndmask_b32_e32 v6, v11, v12, vcc
	v_mov_b32_e32 v10, 0x3b800000
	v_lshlrev_b32_e32 v3, 20, v3
	v_lshl_add_u32 v6, v6, 23, v10
	v_or3_b32 v6, v7, v6, v3
.LBB20_960:
	s_or_b64 exec, exec, s[6:7]
	s_nop 0
	v_mfma_f32_16x16x4f32 a[0:3], v2, v6, a[0:3]
	s_movk_i32 s4, 0x7f
	v_cmp_gt_i16_sdwa s[6:7], v8, s4 src0_sel:BYTE_0 src1_sel:DWORD
	s_mov_b64 s[4:5], 0
                                        ; implicit-def: $sgpr10
	s_and_saveexec_b64 s[8:9], s[6:7]
	s_xor_b64 s[6:7], exec, s[8:9]
	s_cbranch_execnz .LBB20_3009
; %bb.961:
	s_or_saveexec_b64 s[6:7], s[6:7]
	v_mov_b32_e32 v2, s10
	s_xor_b64 exec, exec, s[6:7]
	s_cbranch_execnz .LBB20_3012
.LBB20_962:
	s_or_b64 exec, exec, s[6:7]
	s_and_saveexec_b64 s[6:7], s[4:5]
	s_cbranch_execz .LBB20_964
.LBB20_963:
	v_and_b32_e32 v2, 7, v8
	v_ffbh_u32_e32 v6, v2
	v_min_u32_e32 v6, 32, v6
	v_lshrrev_b16_e32 v3, 3, v8
	v_subrev_u32_e32 v7, 28, v6
	v_and_b32_e32 v3, 15, v3
	v_lshlrev_b32_e32 v7, v7, v8
	v_sub_u32_e32 v6, 29, v6
	v_and_b32_e32 v7, 7, v7
	v_cmp_eq_u16_e32 vcc, 0, v3
	v_cndmask_b32_e32 v2, v2, v7, vcc
	v_cndmask_b32_e32 v3, v3, v6, vcc
	v_lshlrev_b32_e32 v6, 24, v8
	v_mov_b32_e32 v7, 0x3b800000
	v_lshlrev_b32_e32 v2, 20, v2
	v_and_b32_e32 v6, 0x80000000, v6
	v_lshl_add_u32 v3, v3, 23, v7
	v_or3_b32 v2, v6, v3, v2
.LBB20_964:
	s_or_b64 exec, exec, s[6:7]
	s_movk_i32 s4, 0x7f
	v_cmp_gt_i16_sdwa s[6:7], v4, s4 src0_sel:BYTE_0 src1_sel:DWORD
	s_mov_b64 s[4:5], 0
                                        ; implicit-def: $sgpr10
	s_and_saveexec_b64 s[8:9], s[6:7]
	s_xor_b64 s[6:7], exec, s[8:9]
	s_cbranch_execnz .LBB20_3013
; %bb.965:
	s_or_saveexec_b64 s[6:7], s[6:7]
	v_mov_b32_e32 v3, s10
	s_xor_b64 exec, exec, s[6:7]
	s_cbranch_execnz .LBB20_3016
.LBB20_966:
	s_or_b64 exec, exec, s[6:7]
	s_and_saveexec_b64 s[6:7], s[4:5]
	s_cbranch_execz .LBB20_968
.LBB20_967:
	v_and_b32_e32 v3, 7, v4
	v_ffbh_u32_e32 v7, v3
	v_min_u32_e32 v7, 32, v7
	v_lshrrev_b16_e32 v6, 3, v4
	v_subrev_u32_e32 v10, 28, v7
	v_and_b32_e32 v6, 15, v6
	v_lshlrev_b32_e32 v10, v10, v4
	v_sub_u32_e32 v7, 29, v7
	v_and_b32_e32 v10, 7, v10
	v_cmp_eq_u16_e32 vcc, 0, v6
	v_cndmask_b32_e32 v3, v3, v10, vcc
	v_cndmask_b32_e32 v6, v6, v7, vcc
	v_lshlrev_b32_e32 v7, 24, v4
	v_mov_b32_e32 v10, 0x3b800000
	v_lshlrev_b32_e32 v3, 20, v3
	v_and_b32_e32 v7, 0x80000000, v7
	v_lshl_add_u32 v6, v6, 23, v10
	v_or3_b32 v3, v7, v6, v3
.LBB20_968:
	s_or_b64 exec, exec, s[6:7]
	s_nop 0
	v_mfma_f32_16x16x4f32 a[0:3], v2, v3, a[0:3]
	v_lshrrev_b32_e32 v3, 8, v8
	s_movk_i32 s4, 0x7f
	v_cmp_gt_i16_sdwa s[6:7], v3, s4 src0_sel:BYTE_0 src1_sel:DWORD
	s_mov_b64 s[4:5], 0
                                        ; implicit-def: $sgpr10
	s_and_saveexec_b64 s[8:9], s[6:7]
	s_xor_b64 s[6:7], exec, s[8:9]
	s_cbranch_execnz .LBB20_3017
; %bb.969:
	s_or_saveexec_b64 s[6:7], s[6:7]
	v_mov_b32_e32 v2, s10
	s_xor_b64 exec, exec, s[6:7]
	s_cbranch_execnz .LBB20_3020
.LBB20_970:
	s_or_b64 exec, exec, s[6:7]
	s_and_saveexec_b64 s[6:7], s[4:5]
	s_cbranch_execz .LBB20_972
.LBB20_971:
	v_bfe_u32 v2, v8, 8, 3
	v_ffbh_u32_e32 v7, v2
	v_min_u32_e32 v7, 32, v7
	v_lshrrev_b16_e32 v6, 3, v3
	v_subrev_u32_e32 v10, 28, v7
	v_and_b32_e32 v6, 15, v6
	v_lshlrev_b32_e32 v3, v10, v3
	v_sub_u32_e32 v7, 29, v7
	v_and_b32_e32 v3, 7, v3
	v_cmp_eq_u16_e32 vcc, 0, v6
	v_cndmask_b32_e32 v2, v2, v3, vcc
	v_cndmask_b32_e32 v3, v6, v7, vcc
	v_lshlrev_b32_e32 v6, 16, v8
	v_mov_b32_e32 v7, 0x3b800000
	v_lshlrev_b32_e32 v2, 20, v2
	v_and_b32_e32 v6, 0x80000000, v6
	v_lshl_add_u32 v3, v3, 23, v7
	v_or3_b32 v2, v6, v3, v2
.LBB20_972:
	s_or_b64 exec, exec, s[6:7]
	v_lshrrev_b32_e32 v3, 8, v4
	s_movk_i32 s4, 0x7f
	v_cmp_gt_i16_sdwa s[6:7], v3, s4 src0_sel:BYTE_0 src1_sel:DWORD
	s_mov_b64 s[4:5], 0
                                        ; implicit-def: $sgpr10
	s_and_saveexec_b64 s[8:9], s[6:7]
	s_xor_b64 s[6:7], exec, s[8:9]
	s_cbranch_execnz .LBB20_3021
; %bb.973:
	s_or_saveexec_b64 s[6:7], s[6:7]
	v_mov_b32_e32 v6, s10
	s_xor_b64 exec, exec, s[6:7]
	s_cbranch_execnz .LBB20_3024
.LBB20_974:
	s_or_b64 exec, exec, s[6:7]
	s_and_saveexec_b64 s[6:7], s[4:5]
	s_cbranch_execz .LBB20_976
.LBB20_975:
	v_bfe_u32 v6, v4, 8, 3
	v_ffbh_u32_e32 v10, v6
	v_min_u32_e32 v10, 32, v10
	v_lshrrev_b16_e32 v7, 3, v3
	v_subrev_u32_e32 v11, 28, v10
	v_and_b32_e32 v7, 15, v7
	v_lshlrev_b32_e32 v3, v11, v3
	v_sub_u32_e32 v10, 29, v10
	v_and_b32_e32 v3, 7, v3
	v_cmp_eq_u16_e32 vcc, 0, v7
	v_cndmask_b32_e32 v3, v6, v3, vcc
	v_cndmask_b32_e32 v6, v7, v10, vcc
	v_lshlrev_b32_e32 v7, 16, v4
	v_mov_b32_e32 v10, 0x3b800000
	v_lshlrev_b32_e32 v3, 20, v3
	v_and_b32_e32 v7, 0x80000000, v7
	v_lshl_add_u32 v6, v6, 23, v10
	v_or3_b32 v6, v7, v6, v3
.LBB20_976:
	s_or_b64 exec, exec, s[6:7]
	s_nop 0
	v_mfma_f32_16x16x4f32 a[0:3], v2, v6, a[0:3]
	s_movk_i32 s4, 0xff
	v_and_b32_sdwa v3, v8, s4 dst_sel:DWORD dst_unused:UNUSED_PAD src0_sel:WORD_1 src1_sel:DWORD
	s_movk_i32 s4, 0x7f
	v_cmp_lt_i16_e32 vcc, s4, v3
	s_mov_b64 s[4:5], 0
                                        ; implicit-def: $sgpr10
	s_and_saveexec_b64 s[6:7], vcc
	s_xor_b64 s[6:7], exec, s[6:7]
	s_cbranch_execnz .LBB20_3025
; %bb.977:
	s_or_saveexec_b64 s[6:7], s[6:7]
	v_mov_b32_e32 v2, s10
	s_xor_b64 exec, exec, s[6:7]
	s_cbranch_execnz .LBB20_3028
.LBB20_978:
	s_or_b64 exec, exec, s[6:7]
	s_and_saveexec_b64 s[6:7], s[4:5]
	s_cbranch_execz .LBB20_980
.LBB20_979:
	v_bfe_u32 v2, v8, 16, 3
	v_ffbh_u32_e32 v7, v2
	v_min_u32_e32 v7, 32, v7
	v_lshrrev_b32_e32 v3, 19, v8
	v_subrev_u32_e32 v10, 28, v7
	v_and_b32_e32 v3, 15, v3
	v_lshlrev_b32_sdwa v10, v10, v8 dst_sel:DWORD dst_unused:UNUSED_PAD src0_sel:DWORD src1_sel:WORD_1
	v_bfe_u32 v6, v8, 19, 4
	v_sub_u32_e32 v7, 29, v7
	v_and_b32_e32 v10, 7, v10
	v_cmp_eq_u16_e32 vcc, 0, v3
	v_cndmask_b32_e32 v2, v2, v10, vcc
	v_cndmask_b32_e32 v3, v6, v7, vcc
	v_lshlrev_b32_e32 v6, 8, v8
	v_mov_b32_e32 v7, 0x3b800000
	v_lshlrev_b32_e32 v2, 20, v2
	v_and_b32_e32 v6, 0x80000000, v6
	v_lshl_add_u32 v3, v3, 23, v7
	v_or3_b32 v2, v6, v3, v2
.LBB20_980:
	s_or_b64 exec, exec, s[6:7]
	s_movk_i32 s4, 0xff
	v_and_b32_sdwa v3, v4, s4 dst_sel:DWORD dst_unused:UNUSED_PAD src0_sel:WORD_1 src1_sel:DWORD
	s_movk_i32 s4, 0x7f
	v_cmp_lt_i16_e32 vcc, s4, v3
	s_mov_b64 s[4:5], 0
                                        ; implicit-def: $sgpr10
	s_and_saveexec_b64 s[6:7], vcc
	s_xor_b64 s[6:7], exec, s[6:7]
	s_cbranch_execnz .LBB20_3029
; %bb.981:
	s_or_saveexec_b64 s[6:7], s[6:7]
	v_mov_b32_e32 v6, s10
	s_xor_b64 exec, exec, s[6:7]
	s_cbranch_execnz .LBB20_3032
.LBB20_982:
	s_or_b64 exec, exec, s[6:7]
	s_and_saveexec_b64 s[6:7], s[4:5]
	s_cbranch_execz .LBB20_984
.LBB20_983:
	v_bfe_u32 v3, v4, 16, 3
	v_ffbh_u32_e32 v10, v3
	v_min_u32_e32 v10, 32, v10
	v_lshrrev_b32_e32 v6, 19, v4
	v_subrev_u32_e32 v11, 28, v10
	v_and_b32_e32 v6, 15, v6
	v_lshlrev_b32_sdwa v11, v11, v4 dst_sel:DWORD dst_unused:UNUSED_PAD src0_sel:DWORD src1_sel:WORD_1
	v_bfe_u32 v7, v4, 19, 4
	v_sub_u32_e32 v10, 29, v10
	v_and_b32_e32 v11, 7, v11
	v_cmp_eq_u16_e32 vcc, 0, v6
	v_cndmask_b32_e32 v3, v3, v11, vcc
	v_cndmask_b32_e32 v6, v7, v10, vcc
	v_lshlrev_b32_e32 v7, 8, v4
	v_mov_b32_e32 v10, 0x3b800000
	v_lshlrev_b32_e32 v3, 20, v3
	v_and_b32_e32 v7, 0x80000000, v7
	v_lshl_add_u32 v6, v6, 23, v10
	v_or3_b32 v6, v7, v6, v3
.LBB20_984:
	s_or_b64 exec, exec, s[6:7]
	s_nop 0
	v_mfma_f32_16x16x4f32 a[0:3], v2, v6, a[0:3]
	s_movk_i32 s4, 0x7f
	v_cmp_gt_i16_sdwa s[6:7], v8, s4 src0_sel:BYTE_3 src1_sel:DWORD
	s_mov_b64 s[4:5], 0
                                        ; implicit-def: $sgpr10
	s_and_saveexec_b64 s[8:9], s[6:7]
	s_xor_b64 s[6:7], exec, s[8:9]
	s_cbranch_execnz .LBB20_3033
; %bb.985:
	s_or_saveexec_b64 s[6:7], s[6:7]
	v_mov_b32_e32 v2, s10
	s_xor_b64 exec, exec, s[6:7]
	s_cbranch_execnz .LBB20_3036
.LBB20_986:
	s_or_b64 exec, exec, s[6:7]
	s_and_saveexec_b64 s[6:7], s[4:5]
	s_cbranch_execz .LBB20_988
.LBB20_987:
	v_bfe_u32 v2, v8, 24, 3
	v_ffbh_u32_e32 v10, v2
	v_min_u32_e32 v10, 32, v10
	v_lshrrev_b32_e32 v6, 27, v8
	v_subrev_u32_e32 v11, 28, v10
	v_and_b32_e32 v3, 0x80000000, v8
	v_and_b32_e32 v6, 15, v6
	v_bfe_u32 v7, v8, 27, 4
	v_lshlrev_b32_sdwa v8, v11, v8 dst_sel:DWORD dst_unused:UNUSED_PAD src0_sel:DWORD src1_sel:BYTE_3
	v_sub_u32_e32 v10, 29, v10
	v_and_b32_e32 v8, 7, v8
	v_cmp_eq_u16_e32 vcc, 0, v6
	v_cndmask_b32_e32 v2, v2, v8, vcc
	v_cndmask_b32_e32 v6, v7, v10, vcc
	v_mov_b32_e32 v7, 0x3b800000
	v_lshlrev_b32_e32 v2, 20, v2
	v_lshl_add_u32 v6, v6, 23, v7
	v_or3_b32 v2, v3, v6, v2
.LBB20_988:
	s_or_b64 exec, exec, s[6:7]
	s_movk_i32 s4, 0x7f
	v_cmp_gt_i16_sdwa s[6:7], v4, s4 src0_sel:BYTE_3 src1_sel:DWORD
	s_mov_b64 s[4:5], 0
                                        ; implicit-def: $sgpr10
	s_and_saveexec_b64 s[8:9], s[6:7]
	s_xor_b64 s[6:7], exec, s[8:9]
	s_cbranch_execnz .LBB20_3037
; %bb.989:
	s_or_saveexec_b64 s[6:7], s[6:7]
	v_mov_b32_e32 v3, s10
	s_xor_b64 exec, exec, s[6:7]
	s_cbranch_execnz .LBB20_3040
.LBB20_990:
	s_or_b64 exec, exec, s[6:7]
	s_and_saveexec_b64 s[6:7], s[4:5]
	s_cbranch_execz .LBB20_992
.LBB20_991:
	v_bfe_u32 v3, v4, 24, 3
	v_ffbh_u32_e32 v10, v3
	v_min_u32_e32 v10, 32, v10
	v_lshrrev_b32_e32 v7, 27, v4
	v_subrev_u32_e32 v11, 28, v10
	v_and_b32_e32 v6, 0x80000000, v4
	v_and_b32_e32 v7, 15, v7
	v_bfe_u32 v8, v4, 27, 4
	v_lshlrev_b32_sdwa v4, v11, v4 dst_sel:DWORD dst_unused:UNUSED_PAD src0_sel:DWORD src1_sel:BYTE_3
	v_sub_u32_e32 v10, 29, v10
	v_and_b32_e32 v4, 7, v4
	v_cmp_eq_u16_e32 vcc, 0, v7
	v_cndmask_b32_e32 v3, v3, v4, vcc
	v_cndmask_b32_e32 v4, v8, v10, vcc
	v_mov_b32_e32 v7, 0x3b800000
	v_lshlrev_b32_e32 v3, 20, v3
	v_lshl_add_u32 v4, v4, 23, v7
	v_or3_b32 v3, v6, v4, v3
.LBB20_992:
	s_or_b64 exec, exec, s[6:7]
	s_nop 0
	v_mfma_f32_16x16x4f32 a[0:3], v2, v3, a[0:3]
	s_movk_i32 s4, 0x7f
	v_cmp_gt_i16_sdwa s[6:7], v9, s4 src0_sel:BYTE_0 src1_sel:DWORD
	s_mov_b64 s[4:5], 0
                                        ; implicit-def: $sgpr10
	s_and_saveexec_b64 s[8:9], s[6:7]
	s_xor_b64 s[6:7], exec, s[8:9]
	s_cbranch_execnz .LBB20_3041
; %bb.993:
	s_or_saveexec_b64 s[6:7], s[6:7]
	v_mov_b32_e32 v2, s10
	s_xor_b64 exec, exec, s[6:7]
	s_cbranch_execnz .LBB20_3044
.LBB20_994:
	s_or_b64 exec, exec, s[6:7]
	s_and_saveexec_b64 s[6:7], s[4:5]
	s_cbranch_execz .LBB20_996
.LBB20_995:
	v_mov_b32_e32 v2, 8
	v_and_b32_e32 v3, 7, v9
	v_lshrrev_b32_sdwa v2, v2, v9 dst_sel:BYTE_1 dst_unused:UNUSED_PAD src0_sel:DWORD src1_sel:DWORD
	v_ffbh_u32_e32 v4, v3
	v_or_b32_sdwa v2, v9, v2 dst_sel:DWORD dst_unused:UNUSED_PAD src0_sel:BYTE_0 src1_sel:DWORD
	v_min_u32_e32 v4, 32, v4
	v_lshrrev_b16_e32 v2, 3, v2
	v_subrev_u32_e32 v6, 28, v4
	v_and_b32_e32 v2, 15, v2
	v_lshlrev_b32_e32 v6, v6, v9
	v_sub_u32_e32 v4, 29, v4
	v_and_b32_e32 v6, 7, v6
	v_cmp_eq_u16_e32 vcc, 0, v2
	v_cndmask_b32_e32 v3, v3, v6, vcc
	v_cndmask_b32_e32 v2, v2, v4, vcc
	v_lshlrev_b32_e32 v4, 24, v9
	v_mov_b32_e32 v6, 0x3b800000
	v_lshlrev_b32_e32 v3, 20, v3
	v_and_b32_e32 v4, 0x80000000, v4
	v_lshl_add_u32 v2, v2, 23, v6
	v_or3_b32 v2, v4, v2, v3
.LBB20_996:
	s_or_b64 exec, exec, s[6:7]
	s_movk_i32 s4, 0x7f
	v_cmp_gt_i16_sdwa s[6:7], v5, s4 src0_sel:BYTE_0 src1_sel:DWORD
	s_mov_b64 s[4:5], 0
                                        ; implicit-def: $sgpr10
	s_and_saveexec_b64 s[8:9], s[6:7]
	s_xor_b64 s[6:7], exec, s[8:9]
	s_cbranch_execnz .LBB20_3045
; %bb.997:
	s_or_saveexec_b64 s[6:7], s[6:7]
	v_mov_b32_e32 v3, s10
	s_xor_b64 exec, exec, s[6:7]
	s_cbranch_execnz .LBB20_3048
.LBB20_998:
	s_or_b64 exec, exec, s[6:7]
	s_and_saveexec_b64 s[6:7], s[4:5]
	s_cbranch_execz .LBB20_1000
.LBB20_999:
	v_mov_b32_e32 v3, 8
	v_and_b32_e32 v4, 7, v5
	v_lshrrev_b32_sdwa v3, v3, v5 dst_sel:BYTE_1 dst_unused:UNUSED_PAD src0_sel:DWORD src1_sel:DWORD
	v_ffbh_u32_e32 v6, v4
	v_or_b32_sdwa v3, v5, v3 dst_sel:DWORD dst_unused:UNUSED_PAD src0_sel:BYTE_0 src1_sel:DWORD
	v_min_u32_e32 v6, 32, v6
	v_lshrrev_b16_e32 v3, 3, v3
	v_subrev_u32_e32 v7, 28, v6
	v_and_b32_e32 v3, 15, v3
	v_lshlrev_b32_e32 v7, v7, v5
	v_sub_u32_e32 v6, 29, v6
	v_and_b32_e32 v7, 7, v7
	v_cmp_eq_u16_e32 vcc, 0, v3
	v_cndmask_b32_e32 v4, v4, v7, vcc
	v_cndmask_b32_e32 v3, v3, v6, vcc
	v_lshlrev_b32_e32 v6, 24, v5
	v_mov_b32_e32 v7, 0x3b800000
	v_lshlrev_b32_e32 v4, 20, v4
	v_and_b32_e32 v6, 0x80000000, v6
	v_lshl_add_u32 v3, v3, 23, v7
	v_or3_b32 v3, v6, v3, v4
.LBB20_1000:
	s_or_b64 exec, exec, s[6:7]
	s_nop 0
	v_mfma_f32_16x16x4f32 a[0:3], v2, v3, a[0:3]
	v_lshrrev_b32_e32 v3, 8, v9
	s_movk_i32 s4, 0x7f
	v_cmp_gt_i16_sdwa s[6:7], v3, s4 src0_sel:BYTE_0 src1_sel:DWORD
	s_mov_b64 s[4:5], 0
                                        ; implicit-def: $sgpr10
	s_and_saveexec_b64 s[8:9], s[6:7]
	s_xor_b64 s[6:7], exec, s[8:9]
	s_cbranch_execnz .LBB20_3049
; %bb.1001:
	s_or_saveexec_b64 s[6:7], s[6:7]
	v_mov_b32_e32 v2, s10
	s_xor_b64 exec, exec, s[6:7]
	s_cbranch_execnz .LBB20_3052
.LBB20_1002:
	s_or_b64 exec, exec, s[6:7]
	s_and_saveexec_b64 s[6:7], s[4:5]
	s_cbranch_execz .LBB20_1004
.LBB20_1003:
	v_bfe_u32 v2, v9, 8, 3
	v_ffbh_u32_e32 v6, v2
	v_min_u32_e32 v6, 32, v6
	v_lshrrev_b16_e32 v4, 3, v3
	v_subrev_u32_e32 v7, 28, v6
	v_and_b32_e32 v4, 15, v4
	v_lshlrev_b32_e32 v3, v7, v3
	v_sub_u32_e32 v6, 29, v6
	v_and_b32_e32 v3, 7, v3
	v_cmp_eq_u16_e32 vcc, 0, v4
	v_cndmask_b32_e32 v2, v2, v3, vcc
	v_cndmask_b32_e32 v3, v4, v6, vcc
	v_lshlrev_b32_e32 v4, 16, v9
	v_mov_b32_e32 v6, 0x3b800000
	v_lshlrev_b32_e32 v2, 20, v2
	v_and_b32_e32 v4, 0x80000000, v4
	v_lshl_add_u32 v3, v3, 23, v6
	v_or3_b32 v2, v4, v3, v2
.LBB20_1004:
	s_or_b64 exec, exec, s[6:7]
	v_lshrrev_b32_e32 v3, 8, v5
	s_movk_i32 s4, 0x7f
	v_cmp_gt_i16_sdwa s[6:7], v3, s4 src0_sel:BYTE_0 src1_sel:DWORD
	s_mov_b64 s[4:5], 0
                                        ; implicit-def: $sgpr10
	s_and_saveexec_b64 s[8:9], s[6:7]
	s_xor_b64 s[6:7], exec, s[8:9]
	s_cbranch_execnz .LBB20_3053
; %bb.1005:
	s_or_saveexec_b64 s[6:7], s[6:7]
	v_mov_b32_e32 v4, s10
	s_xor_b64 exec, exec, s[6:7]
	s_cbranch_execnz .LBB20_3056
.LBB20_1006:
	s_or_b64 exec, exec, s[6:7]
	s_and_saveexec_b64 s[6:7], s[4:5]
	s_cbranch_execz .LBB20_1008
.LBB20_1007:
	v_bfe_u32 v4, v5, 8, 3
	v_ffbh_u32_e32 v7, v4
	v_min_u32_e32 v7, 32, v7
	v_lshrrev_b16_e32 v6, 3, v3
	v_subrev_u32_e32 v8, 28, v7
	v_and_b32_e32 v6, 15, v6
	v_lshlrev_b32_e32 v3, v8, v3
	v_sub_u32_e32 v7, 29, v7
	v_and_b32_e32 v3, 7, v3
	v_cmp_eq_u16_e32 vcc, 0, v6
	v_cndmask_b32_e32 v3, v4, v3, vcc
	v_cndmask_b32_e32 v4, v6, v7, vcc
	v_lshlrev_b32_e32 v6, 16, v5
	v_mov_b32_e32 v7, 0x3b800000
	v_lshlrev_b32_e32 v3, 20, v3
	v_and_b32_e32 v6, 0x80000000, v6
	v_lshl_add_u32 v4, v4, 23, v7
	v_or3_b32 v4, v6, v4, v3
.LBB20_1008:
	s_or_b64 exec, exec, s[6:7]
	s_nop 0
	v_mfma_f32_16x16x4f32 a[0:3], v2, v4, a[0:3]
	s_movk_i32 s4, 0xff
	v_and_b32_sdwa v3, v9, s4 dst_sel:DWORD dst_unused:UNUSED_PAD src0_sel:WORD_1 src1_sel:DWORD
	s_movk_i32 s4, 0x7f
	v_cmp_lt_i16_e32 vcc, s4, v3
	s_mov_b64 s[4:5], 0
                                        ; implicit-def: $sgpr10
	s_and_saveexec_b64 s[6:7], vcc
	s_xor_b64 s[6:7], exec, s[6:7]
	s_cbranch_execnz .LBB20_3057
; %bb.1009:
	s_or_saveexec_b64 s[6:7], s[6:7]
	v_mov_b32_e32 v2, s10
	s_xor_b64 exec, exec, s[6:7]
	s_cbranch_execnz .LBB20_3060
.LBB20_1010:
	s_or_b64 exec, exec, s[6:7]
	s_and_saveexec_b64 s[6:7], s[4:5]
	s_cbranch_execz .LBB20_1012
.LBB20_1011:
	v_bfe_u32 v2, v9, 16, 3
	v_ffbh_u32_e32 v6, v2
	v_min_u32_e32 v6, 32, v6
	v_lshrrev_b32_e32 v3, 19, v9
	v_subrev_u32_e32 v7, 28, v6
	v_and_b32_e32 v3, 15, v3
	v_lshlrev_b32_sdwa v7, v7, v9 dst_sel:DWORD dst_unused:UNUSED_PAD src0_sel:DWORD src1_sel:WORD_1
	v_bfe_u32 v4, v9, 19, 4
	v_sub_u32_e32 v6, 29, v6
	v_and_b32_e32 v7, 7, v7
	v_cmp_eq_u16_e32 vcc, 0, v3
	v_cndmask_b32_e32 v2, v2, v7, vcc
	v_cndmask_b32_e32 v3, v4, v6, vcc
	v_lshlrev_b32_e32 v4, 8, v9
	v_mov_b32_e32 v6, 0x3b800000
	v_lshlrev_b32_e32 v2, 20, v2
	v_and_b32_e32 v4, 0x80000000, v4
	v_lshl_add_u32 v3, v3, 23, v6
	v_or3_b32 v2, v4, v3, v2
.LBB20_1012:
	s_or_b64 exec, exec, s[6:7]
	s_movk_i32 s4, 0xff
	v_and_b32_sdwa v3, v5, s4 dst_sel:DWORD dst_unused:UNUSED_PAD src0_sel:WORD_1 src1_sel:DWORD
	s_movk_i32 s4, 0x7f
	v_cmp_lt_i16_e32 vcc, s4, v3
	s_mov_b64 s[4:5], 0
                                        ; implicit-def: $sgpr10
	s_and_saveexec_b64 s[6:7], vcc
	s_xor_b64 s[6:7], exec, s[6:7]
	s_cbranch_execnz .LBB20_3061
; %bb.1013:
	s_or_saveexec_b64 s[6:7], s[6:7]
	v_mov_b32_e32 v4, s10
	s_xor_b64 exec, exec, s[6:7]
	s_cbranch_execnz .LBB20_3064
.LBB20_1014:
	s_or_b64 exec, exec, s[6:7]
	s_and_saveexec_b64 s[6:7], s[4:5]
	s_cbranch_execz .LBB20_1016
.LBB20_1015:
	v_bfe_u32 v3, v5, 16, 3
	v_ffbh_u32_e32 v7, v3
	v_min_u32_e32 v7, 32, v7
	v_lshrrev_b32_e32 v4, 19, v5
	v_subrev_u32_e32 v8, 28, v7
	v_and_b32_e32 v4, 15, v4
	v_lshlrev_b32_sdwa v8, v8, v5 dst_sel:DWORD dst_unused:UNUSED_PAD src0_sel:DWORD src1_sel:WORD_1
	v_bfe_u32 v6, v5, 19, 4
	v_sub_u32_e32 v7, 29, v7
	v_and_b32_e32 v8, 7, v8
	v_cmp_eq_u16_e32 vcc, 0, v4
	v_cndmask_b32_e32 v3, v3, v8, vcc
	v_cndmask_b32_e32 v4, v6, v7, vcc
	v_lshlrev_b32_e32 v6, 8, v5
	v_mov_b32_e32 v7, 0x3b800000
	v_lshlrev_b32_e32 v3, 20, v3
	v_and_b32_e32 v6, 0x80000000, v6
	v_lshl_add_u32 v4, v4, 23, v7
	v_or3_b32 v4, v6, v4, v3
.LBB20_1016:
	s_or_b64 exec, exec, s[6:7]
	s_nop 0
	v_mfma_f32_16x16x4f32 a[0:3], v2, v4, a[0:3]
	s_movk_i32 s4, 0x7f
	v_cmp_gt_i16_sdwa s[6:7], v9, s4 src0_sel:BYTE_3 src1_sel:DWORD
	s_mov_b64 s[4:5], 0
                                        ; implicit-def: $sgpr10
	s_and_saveexec_b64 s[8:9], s[6:7]
	s_xor_b64 s[6:7], exec, s[8:9]
	s_cbranch_execnz .LBB20_3065
; %bb.1017:
	s_or_saveexec_b64 s[6:7], s[6:7]
	v_mov_b32_e32 v2, s10
	s_xor_b64 exec, exec, s[6:7]
	s_cbranch_execnz .LBB20_3068
.LBB20_1018:
	s_or_b64 exec, exec, s[6:7]
	s_and_saveexec_b64 s[6:7], s[4:5]
	s_cbranch_execz .LBB20_1020
.LBB20_1019:
	v_bfe_u32 v2, v9, 24, 3
	v_ffbh_u32_e32 v7, v2
	v_min_u32_e32 v7, 32, v7
	v_lshrrev_b32_e32 v4, 27, v9
	v_subrev_u32_e32 v8, 28, v7
	v_and_b32_e32 v4, 15, v4
	v_lshlrev_b32_sdwa v8, v8, v9 dst_sel:DWORD dst_unused:UNUSED_PAD src0_sel:DWORD src1_sel:BYTE_3
	v_bfe_u32 v6, v9, 27, 4
	v_sub_u32_e32 v7, 29, v7
	v_and_b32_e32 v8, 7, v8
	v_cmp_eq_u16_e32 vcc, 0, v4
	v_cndmask_b32_e32 v2, v2, v8, vcc
	v_cndmask_b32_e32 v4, v6, v7, vcc
	v_mov_b32_e32 v6, 0x3b800000
	v_and_b32_e32 v3, 0x80000000, v9
	v_lshlrev_b32_e32 v2, 20, v2
	v_lshl_add_u32 v4, v4, 23, v6
	v_or3_b32 v2, v3, v4, v2
.LBB20_1020:
	s_or_b64 exec, exec, s[6:7]
	s_movk_i32 s4, 0x7f
	v_cmp_gt_i16_sdwa s[6:7], v5, s4 src0_sel:BYTE_3 src1_sel:DWORD
	s_mov_b64 s[4:5], 0
                                        ; implicit-def: $sgpr10
	s_and_saveexec_b64 s[8:9], s[6:7]
	s_xor_b64 s[6:7], exec, s[8:9]
	s_cbranch_execnz .LBB20_3069
; %bb.1021:
	s_or_saveexec_b64 s[6:7], s[6:7]
	v_mov_b32_e32 v3, s10
	s_xor_b64 exec, exec, s[6:7]
	s_cbranch_execnz .LBB20_3072
.LBB20_1022:
	s_or_b64 exec, exec, s[6:7]
	s_and_saveexec_b64 s[6:7], s[4:5]
	s_cbranch_execz .LBB20_1024
.LBB20_1023:
	v_bfe_u32 v3, v5, 24, 3
	v_ffbh_u32_e32 v8, v3
	v_min_u32_e32 v8, 32, v8
	v_lshrrev_b32_e32 v6, 27, v5
	v_subrev_u32_e32 v9, 28, v8
	v_and_b32_e32 v4, 0x80000000, v5
	v_and_b32_e32 v6, 15, v6
	v_bfe_u32 v7, v5, 27, 4
	v_lshlrev_b32_sdwa v5, v9, v5 dst_sel:DWORD dst_unused:UNUSED_PAD src0_sel:DWORD src1_sel:BYTE_3
	v_sub_u32_e32 v8, 29, v8
	v_and_b32_e32 v5, 7, v5
	v_cmp_eq_u16_e32 vcc, 0, v6
	v_cndmask_b32_e32 v3, v3, v5, vcc
	v_cndmask_b32_e32 v5, v7, v8, vcc
	v_mov_b32_e32 v6, 0x3b800000
	v_lshlrev_b32_e32 v3, 20, v3
	v_lshl_add_u32 v5, v5, 23, v6
	v_or3_b32 v3, v4, v5, v3
.LBB20_1024:
	s_or_b64 exec, exec, s[6:7]
	s_nop 0
	v_mfma_f32_16x16x4f32 a[0:3], v2, v3, a[0:3]
	s_movk_i32 s4, 0x7f
                                        ; implicit-def: $sgpr10
	s_nop 7
	s_nop 1
	flat_store_dwordx4 v[18:19], a[0:3] offset:304
	flat_load_dwordx4 v[20:23], v[0:1] offset:8
	s_nop 0
	flat_load_dwordx2 v[18:19], v[0:1] offset:24
	s_waitcnt vmcnt(0) lgkmcnt(0)
	flat_load_dwordx4 v[14:17], v[20:21]
	flat_load_dwordx4 v[6:9], v[20:21] offset:16
	flat_load_dwordx4 v[10:13], v[22:23] offset:128
	;; [unrolled: 1-line block ×3, first 2 shown]
	s_waitcnt vmcnt(0) lgkmcnt(0)
	v_cmp_gt_i16_sdwa s[6:7], v14, s4 src0_sel:BYTE_0 src1_sel:DWORD
	s_mov_b64 s[4:5], 0
	s_and_saveexec_b64 s[8:9], s[6:7]
	s_xor_b64 s[6:7], exec, s[8:9]
	s_cbranch_execnz .LBB20_3073
; %bb.1025:
	s_or_saveexec_b64 s[6:7], s[6:7]
	v_mov_b32_e32 v20, s10
	s_xor_b64 exec, exec, s[6:7]
	s_cbranch_execnz .LBB20_3076
.LBB20_1026:
	s_or_b64 exec, exec, s[6:7]
	s_and_saveexec_b64 s[6:7], s[4:5]
	s_cbranch_execz .LBB20_1028
.LBB20_1027:
	v_and_b32_e32 v20, 7, v14
	v_ffbh_u32_e32 v22, v20
	v_min_u32_e32 v22, 32, v22
	v_lshrrev_b16_e32 v21, 3, v14
	v_subrev_u32_e32 v23, 28, v22
	v_and_b32_e32 v21, 15, v21
	v_lshlrev_b32_e32 v23, v23, v14
	v_sub_u32_e32 v22, 29, v22
	v_and_b32_e32 v23, 7, v23
	v_cmp_eq_u16_e32 vcc, 0, v21
	v_cndmask_b32_e32 v20, v20, v23, vcc
	v_cndmask_b32_e32 v21, v21, v22, vcc
	v_lshlrev_b32_e32 v22, 24, v14
	v_mov_b32_e32 v23, 0x3b800000
	v_lshlrev_b32_e32 v20, 20, v20
	v_and_b32_e32 v22, 0x80000000, v22
	v_lshl_add_u32 v21, v21, 23, v23
	v_or3_b32 v20, v22, v21, v20
.LBB20_1028:
	s_or_b64 exec, exec, s[6:7]
	s_movk_i32 s4, 0x7f
	v_cmp_gt_i16_sdwa s[6:7], v10, s4 src0_sel:BYTE_0 src1_sel:DWORD
	s_mov_b64 s[4:5], 0
                                        ; implicit-def: $sgpr10
	s_and_saveexec_b64 s[8:9], s[6:7]
	s_xor_b64 s[6:7], exec, s[8:9]
	s_cbranch_execnz .LBB20_3077
; %bb.1029:
	s_or_saveexec_b64 s[6:7], s[6:7]
	v_mov_b32_e32 v21, s10
	s_xor_b64 exec, exec, s[6:7]
	s_cbranch_execnz .LBB20_3080
.LBB20_1030:
	s_or_b64 exec, exec, s[6:7]
	s_and_saveexec_b64 s[6:7], s[4:5]
	s_cbranch_execz .LBB20_1032
.LBB20_1031:
	v_and_b32_e32 v21, 7, v10
	v_ffbh_u32_e32 v23, v21
	v_min_u32_e32 v23, 32, v23
	v_lshrrev_b16_e32 v22, 3, v10
	v_subrev_u32_e32 v24, 28, v23
	v_and_b32_e32 v22, 15, v22
	v_lshlrev_b32_e32 v24, v24, v10
	v_sub_u32_e32 v23, 29, v23
	v_and_b32_e32 v24, 7, v24
	v_cmp_eq_u16_e32 vcc, 0, v22
	v_cndmask_b32_e32 v21, v21, v24, vcc
	v_cndmask_b32_e32 v22, v22, v23, vcc
	v_lshlrev_b32_e32 v23, 24, v10
	v_mov_b32_e32 v24, 0x3b800000
	v_lshlrev_b32_e32 v21, 20, v21
	v_and_b32_e32 v23, 0x80000000, v23
	v_lshl_add_u32 v22, v22, 23, v24
	v_or3_b32 v21, v23, v22, v21
.LBB20_1032:
	s_or_b64 exec, exec, s[6:7]
	flat_load_dwordx4 a[0:3], v[18:19] offset:320
	s_movk_i32 s4, 0x7f
                                        ; implicit-def: $sgpr10
	s_waitcnt vmcnt(0) lgkmcnt(0)
	v_mfma_f32_16x16x4f32 a[0:3], v20, v21, a[0:3]
	v_lshrrev_b32_e32 v21, 8, v14
	v_cmp_gt_i16_sdwa s[6:7], v21, s4 src0_sel:BYTE_0 src1_sel:DWORD
	s_mov_b64 s[4:5], 0
	s_and_saveexec_b64 s[8:9], s[6:7]
	s_xor_b64 s[6:7], exec, s[8:9]
	s_cbranch_execnz .LBB20_3081
; %bb.1033:
	s_or_saveexec_b64 s[6:7], s[6:7]
	v_mov_b32_e32 v20, s10
	s_xor_b64 exec, exec, s[6:7]
	s_cbranch_execnz .LBB20_3084
.LBB20_1034:
	s_or_b64 exec, exec, s[6:7]
	s_and_saveexec_b64 s[6:7], s[4:5]
	s_cbranch_execz .LBB20_1036
.LBB20_1035:
	v_bfe_u32 v20, v14, 8, 3
	v_ffbh_u32_e32 v23, v20
	v_min_u32_e32 v23, 32, v23
	v_lshrrev_b16_e32 v22, 3, v21
	v_subrev_u32_e32 v24, 28, v23
	v_and_b32_e32 v22, 15, v22
	v_lshlrev_b32_e32 v21, v24, v21
	v_sub_u32_e32 v23, 29, v23
	v_and_b32_e32 v21, 7, v21
	v_cmp_eq_u16_e32 vcc, 0, v22
	v_cndmask_b32_e32 v20, v20, v21, vcc
	v_cndmask_b32_e32 v21, v22, v23, vcc
	v_lshlrev_b32_e32 v22, 16, v14
	v_mov_b32_e32 v23, 0x3b800000
	v_lshlrev_b32_e32 v20, 20, v20
	v_and_b32_e32 v22, 0x80000000, v22
	v_lshl_add_u32 v21, v21, 23, v23
	v_or3_b32 v20, v22, v21, v20
.LBB20_1036:
	s_or_b64 exec, exec, s[6:7]
	v_lshrrev_b32_e32 v21, 8, v10
	s_movk_i32 s4, 0x7f
	v_cmp_gt_i16_sdwa s[6:7], v21, s4 src0_sel:BYTE_0 src1_sel:DWORD
	s_mov_b64 s[4:5], 0
                                        ; implicit-def: $sgpr10
	s_and_saveexec_b64 s[8:9], s[6:7]
	s_xor_b64 s[6:7], exec, s[8:9]
	s_cbranch_execnz .LBB20_3085
; %bb.1037:
	s_or_saveexec_b64 s[6:7], s[6:7]
	v_mov_b32_e32 v22, s10
	s_xor_b64 exec, exec, s[6:7]
	s_cbranch_execnz .LBB20_3088
.LBB20_1038:
	s_or_b64 exec, exec, s[6:7]
	s_and_saveexec_b64 s[6:7], s[4:5]
	s_cbranch_execz .LBB20_1040
.LBB20_1039:
	v_bfe_u32 v22, v10, 8, 3
	v_ffbh_u32_e32 v24, v22
	v_min_u32_e32 v24, 32, v24
	v_lshrrev_b16_e32 v23, 3, v21
	v_subrev_u32_e32 v25, 28, v24
	v_and_b32_e32 v23, 15, v23
	v_lshlrev_b32_e32 v21, v25, v21
	v_sub_u32_e32 v24, 29, v24
	v_and_b32_e32 v21, 7, v21
	v_cmp_eq_u16_e32 vcc, 0, v23
	v_cndmask_b32_e32 v21, v22, v21, vcc
	v_cndmask_b32_e32 v22, v23, v24, vcc
	v_lshlrev_b32_e32 v23, 16, v10
	v_mov_b32_e32 v24, 0x3b800000
	v_lshlrev_b32_e32 v21, 20, v21
	v_and_b32_e32 v23, 0x80000000, v23
	v_lshl_add_u32 v22, v22, 23, v24
	v_or3_b32 v22, v23, v22, v21
.LBB20_1040:
	s_or_b64 exec, exec, s[6:7]
	s_nop 0
	v_mfma_f32_16x16x4f32 a[0:3], v20, v22, a[0:3]
	s_movk_i32 s4, 0xff
	v_and_b32_sdwa v21, v14, s4 dst_sel:DWORD dst_unused:UNUSED_PAD src0_sel:WORD_1 src1_sel:DWORD
	s_movk_i32 s4, 0x7f
	v_cmp_lt_i16_e32 vcc, s4, v21
	s_mov_b64 s[4:5], 0
                                        ; implicit-def: $sgpr10
	s_and_saveexec_b64 s[6:7], vcc
	s_xor_b64 s[6:7], exec, s[6:7]
	s_cbranch_execnz .LBB20_3089
; %bb.1041:
	s_or_saveexec_b64 s[6:7], s[6:7]
	v_mov_b32_e32 v20, s10
	s_xor_b64 exec, exec, s[6:7]
	s_cbranch_execnz .LBB20_3092
.LBB20_1042:
	s_or_b64 exec, exec, s[6:7]
	s_and_saveexec_b64 s[6:7], s[4:5]
	s_cbranch_execz .LBB20_1044
.LBB20_1043:
	v_bfe_u32 v20, v14, 16, 3
	v_ffbh_u32_e32 v23, v20
	v_min_u32_e32 v23, 32, v23
	v_lshrrev_b32_e32 v21, 19, v14
	v_subrev_u32_e32 v24, 28, v23
	v_and_b32_e32 v21, 15, v21
	v_lshlrev_b32_sdwa v24, v24, v14 dst_sel:DWORD dst_unused:UNUSED_PAD src0_sel:DWORD src1_sel:WORD_1
	v_bfe_u32 v22, v14, 19, 4
	v_sub_u32_e32 v23, 29, v23
	v_and_b32_e32 v24, 7, v24
	v_cmp_eq_u16_e32 vcc, 0, v21
	v_cndmask_b32_e32 v20, v20, v24, vcc
	v_cndmask_b32_e32 v21, v22, v23, vcc
	v_lshlrev_b32_e32 v22, 8, v14
	v_mov_b32_e32 v23, 0x3b800000
	v_lshlrev_b32_e32 v20, 20, v20
	v_and_b32_e32 v22, 0x80000000, v22
	v_lshl_add_u32 v21, v21, 23, v23
	v_or3_b32 v20, v22, v21, v20
.LBB20_1044:
	s_or_b64 exec, exec, s[6:7]
	s_movk_i32 s4, 0xff
	v_and_b32_sdwa v21, v10, s4 dst_sel:DWORD dst_unused:UNUSED_PAD src0_sel:WORD_1 src1_sel:DWORD
	s_movk_i32 s4, 0x7f
	v_cmp_lt_i16_e32 vcc, s4, v21
	s_mov_b64 s[4:5], 0
                                        ; implicit-def: $sgpr10
	s_and_saveexec_b64 s[6:7], vcc
	s_xor_b64 s[6:7], exec, s[6:7]
	s_cbranch_execnz .LBB20_3093
; %bb.1045:
	s_or_saveexec_b64 s[6:7], s[6:7]
	v_mov_b32_e32 v22, s10
	s_xor_b64 exec, exec, s[6:7]
	s_cbranch_execnz .LBB20_3096
.LBB20_1046:
	s_or_b64 exec, exec, s[6:7]
	s_and_saveexec_b64 s[6:7], s[4:5]
	s_cbranch_execz .LBB20_1048
.LBB20_1047:
	v_bfe_u32 v21, v10, 16, 3
	v_ffbh_u32_e32 v24, v21
	v_min_u32_e32 v24, 32, v24
	v_lshrrev_b32_e32 v22, 19, v10
	v_subrev_u32_e32 v25, 28, v24
	v_and_b32_e32 v22, 15, v22
	v_lshlrev_b32_sdwa v25, v25, v10 dst_sel:DWORD dst_unused:UNUSED_PAD src0_sel:DWORD src1_sel:WORD_1
	v_bfe_u32 v23, v10, 19, 4
	v_sub_u32_e32 v24, 29, v24
	v_and_b32_e32 v25, 7, v25
	v_cmp_eq_u16_e32 vcc, 0, v22
	v_cndmask_b32_e32 v21, v21, v25, vcc
	v_cndmask_b32_e32 v22, v23, v24, vcc
	v_lshlrev_b32_e32 v23, 8, v10
	v_mov_b32_e32 v24, 0x3b800000
	v_lshlrev_b32_e32 v21, 20, v21
	v_and_b32_e32 v23, 0x80000000, v23
	v_lshl_add_u32 v22, v22, 23, v24
	v_or3_b32 v22, v23, v22, v21
.LBB20_1048:
	s_or_b64 exec, exec, s[6:7]
	s_nop 0
	v_mfma_f32_16x16x4f32 a[0:3], v20, v22, a[0:3]
	s_movk_i32 s4, 0x7f
	v_cmp_gt_i16_sdwa s[6:7], v14, s4 src0_sel:BYTE_3 src1_sel:DWORD
	s_mov_b64 s[4:5], 0
                                        ; implicit-def: $sgpr10
	s_and_saveexec_b64 s[8:9], s[6:7]
	s_xor_b64 s[6:7], exec, s[8:9]
	s_cbranch_execnz .LBB20_3097
; %bb.1049:
	s_or_saveexec_b64 s[6:7], s[6:7]
	v_mov_b32_e32 v20, s10
	s_xor_b64 exec, exec, s[6:7]
	s_cbranch_execnz .LBB20_3100
.LBB20_1050:
	s_or_b64 exec, exec, s[6:7]
	s_and_saveexec_b64 s[6:7], s[4:5]
	s_cbranch_execz .LBB20_1052
.LBB20_1051:
	v_bfe_u32 v20, v14, 24, 3
	v_ffbh_u32_e32 v24, v20
	v_min_u32_e32 v24, 32, v24
	v_lshrrev_b32_e32 v22, 27, v14
	v_subrev_u32_e32 v25, 28, v24
	v_and_b32_e32 v21, 0x80000000, v14
	v_and_b32_e32 v22, 15, v22
	v_bfe_u32 v23, v14, 27, 4
	v_lshlrev_b32_sdwa v14, v25, v14 dst_sel:DWORD dst_unused:UNUSED_PAD src0_sel:DWORD src1_sel:BYTE_3
	v_sub_u32_e32 v24, 29, v24
	v_and_b32_e32 v14, 7, v14
	v_cmp_eq_u16_e32 vcc, 0, v22
	v_cndmask_b32_e32 v14, v20, v14, vcc
	v_cndmask_b32_e32 v20, v23, v24, vcc
	v_mov_b32_e32 v22, 0x3b800000
	v_lshlrev_b32_e32 v14, 20, v14
	v_lshl_add_u32 v20, v20, 23, v22
	v_or3_b32 v20, v21, v20, v14
.LBB20_1052:
	s_or_b64 exec, exec, s[6:7]
	s_movk_i32 s4, 0x7f
	v_cmp_gt_i16_sdwa s[6:7], v10, s4 src0_sel:BYTE_3 src1_sel:DWORD
	s_mov_b64 s[4:5], 0
                                        ; implicit-def: $sgpr10
	s_and_saveexec_b64 s[8:9], s[6:7]
	s_xor_b64 s[6:7], exec, s[8:9]
	s_cbranch_execnz .LBB20_3101
; %bb.1053:
	s_or_saveexec_b64 s[6:7], s[6:7]
	v_mov_b32_e32 v14, s10
	s_xor_b64 exec, exec, s[6:7]
	s_cbranch_execnz .LBB20_3104
.LBB20_1054:
	s_or_b64 exec, exec, s[6:7]
	s_and_saveexec_b64 s[6:7], s[4:5]
	s_cbranch_execz .LBB20_1056
.LBB20_1055:
	v_bfe_u32 v14, v10, 24, 3
	v_ffbh_u32_e32 v24, v14
	v_min_u32_e32 v24, 32, v24
	v_lshrrev_b32_e32 v22, 27, v10
	v_subrev_u32_e32 v25, 28, v24
	v_and_b32_e32 v21, 0x80000000, v10
	v_and_b32_e32 v22, 15, v22
	v_bfe_u32 v23, v10, 27, 4
	v_lshlrev_b32_sdwa v10, v25, v10 dst_sel:DWORD dst_unused:UNUSED_PAD src0_sel:DWORD src1_sel:BYTE_3
	v_sub_u32_e32 v24, 29, v24
	v_and_b32_e32 v10, 7, v10
	v_cmp_eq_u16_e32 vcc, 0, v22
	v_cndmask_b32_e32 v10, v14, v10, vcc
	v_cndmask_b32_e32 v14, v23, v24, vcc
	v_mov_b32_e32 v22, 0x3b800000
	v_lshlrev_b32_e32 v10, 20, v10
	v_lshl_add_u32 v14, v14, 23, v22
	v_or3_b32 v14, v21, v14, v10
.LBB20_1056:
	s_or_b64 exec, exec, s[6:7]
	s_nop 0
	v_mfma_f32_16x16x4f32 a[0:3], v20, v14, a[0:3]
	s_movk_i32 s4, 0x7f
	v_cmp_gt_i16_sdwa s[6:7], v15, s4 src0_sel:BYTE_0 src1_sel:DWORD
	s_mov_b64 s[4:5], 0
                                        ; implicit-def: $sgpr10
	s_and_saveexec_b64 s[8:9], s[6:7]
	s_xor_b64 s[6:7], exec, s[8:9]
	s_cbranch_execnz .LBB20_3105
; %bb.1057:
	s_or_saveexec_b64 s[6:7], s[6:7]
	v_mov_b32_e32 v10, s10
	s_xor_b64 exec, exec, s[6:7]
	s_cbranch_execnz .LBB20_3108
.LBB20_1058:
	s_or_b64 exec, exec, s[6:7]
	s_and_saveexec_b64 s[6:7], s[4:5]
	s_cbranch_execz .LBB20_1060
.LBB20_1059:
	v_and_b32_e32 v10, 7, v15
	v_ffbh_u32_e32 v20, v10
	v_min_u32_e32 v20, 32, v20
	v_lshrrev_b16_e32 v14, 3, v15
	v_subrev_u32_e32 v21, 28, v20
	v_and_b32_e32 v14, 15, v14
	v_lshlrev_b32_e32 v21, v21, v15
	v_sub_u32_e32 v20, 29, v20
	v_and_b32_e32 v21, 7, v21
	v_cmp_eq_u16_e32 vcc, 0, v14
	v_cndmask_b32_e32 v10, v10, v21, vcc
	v_cndmask_b32_e32 v14, v14, v20, vcc
	v_lshlrev_b32_e32 v20, 24, v15
	v_mov_b32_e32 v21, 0x3b800000
	v_lshlrev_b32_e32 v10, 20, v10
	v_and_b32_e32 v20, 0x80000000, v20
	v_lshl_add_u32 v14, v14, 23, v21
	v_or3_b32 v10, v20, v14, v10
.LBB20_1060:
	s_or_b64 exec, exec, s[6:7]
	s_movk_i32 s4, 0x7f
	v_cmp_gt_i16_sdwa s[6:7], v11, s4 src0_sel:BYTE_0 src1_sel:DWORD
	s_mov_b64 s[4:5], 0
                                        ; implicit-def: $sgpr10
	s_and_saveexec_b64 s[8:9], s[6:7]
	s_xor_b64 s[6:7], exec, s[8:9]
	s_cbranch_execnz .LBB20_3109
; %bb.1061:
	s_or_saveexec_b64 s[6:7], s[6:7]
	v_mov_b32_e32 v14, s10
	s_xor_b64 exec, exec, s[6:7]
	s_cbranch_execnz .LBB20_3112
.LBB20_1062:
	s_or_b64 exec, exec, s[6:7]
	s_and_saveexec_b64 s[6:7], s[4:5]
	s_cbranch_execz .LBB20_1064
.LBB20_1063:
	v_and_b32_e32 v14, 7, v11
	v_ffbh_u32_e32 v21, v14
	v_min_u32_e32 v21, 32, v21
	v_lshrrev_b16_e32 v20, 3, v11
	v_subrev_u32_e32 v22, 28, v21
	v_and_b32_e32 v20, 15, v20
	v_lshlrev_b32_e32 v22, v22, v11
	v_sub_u32_e32 v21, 29, v21
	v_and_b32_e32 v22, 7, v22
	v_cmp_eq_u16_e32 vcc, 0, v20
	v_cndmask_b32_e32 v14, v14, v22, vcc
	v_cndmask_b32_e32 v20, v20, v21, vcc
	v_lshlrev_b32_e32 v21, 24, v11
	v_mov_b32_e32 v22, 0x3b800000
	v_lshlrev_b32_e32 v14, 20, v14
	v_and_b32_e32 v21, 0x80000000, v21
	v_lshl_add_u32 v20, v20, 23, v22
	v_or3_b32 v14, v21, v20, v14
.LBB20_1064:
	s_or_b64 exec, exec, s[6:7]
	s_nop 0
	v_mfma_f32_16x16x4f32 a[0:3], v10, v14, a[0:3]
	v_lshrrev_b32_e32 v14, 8, v15
	s_movk_i32 s4, 0x7f
	v_cmp_gt_i16_sdwa s[6:7], v14, s4 src0_sel:BYTE_0 src1_sel:DWORD
	s_mov_b64 s[4:5], 0
                                        ; implicit-def: $sgpr10
	s_and_saveexec_b64 s[8:9], s[6:7]
	s_xor_b64 s[6:7], exec, s[8:9]
	s_cbranch_execnz .LBB20_3113
; %bb.1065:
	s_or_saveexec_b64 s[6:7], s[6:7]
	v_mov_b32_e32 v10, s10
	s_xor_b64 exec, exec, s[6:7]
	s_cbranch_execnz .LBB20_3116
.LBB20_1066:
	s_or_b64 exec, exec, s[6:7]
	s_and_saveexec_b64 s[6:7], s[4:5]
	s_cbranch_execz .LBB20_1068
.LBB20_1067:
	v_bfe_u32 v10, v15, 8, 3
	v_ffbh_u32_e32 v21, v10
	v_min_u32_e32 v21, 32, v21
	v_lshrrev_b16_e32 v20, 3, v14
	v_subrev_u32_e32 v22, 28, v21
	v_and_b32_e32 v20, 15, v20
	v_lshlrev_b32_e32 v14, v22, v14
	v_sub_u32_e32 v21, 29, v21
	v_and_b32_e32 v14, 7, v14
	v_cmp_eq_u16_e32 vcc, 0, v20
	v_cndmask_b32_e32 v10, v10, v14, vcc
	v_cndmask_b32_e32 v14, v20, v21, vcc
	v_lshlrev_b32_e32 v20, 16, v15
	v_mov_b32_e32 v21, 0x3b800000
	v_lshlrev_b32_e32 v10, 20, v10
	v_and_b32_e32 v20, 0x80000000, v20
	v_lshl_add_u32 v14, v14, 23, v21
	v_or3_b32 v10, v20, v14, v10
.LBB20_1068:
	s_or_b64 exec, exec, s[6:7]
	v_lshrrev_b32_e32 v14, 8, v11
	s_movk_i32 s4, 0x7f
	v_cmp_gt_i16_sdwa s[6:7], v14, s4 src0_sel:BYTE_0 src1_sel:DWORD
	s_mov_b64 s[4:5], 0
                                        ; implicit-def: $sgpr10
	s_and_saveexec_b64 s[8:9], s[6:7]
	s_xor_b64 s[6:7], exec, s[8:9]
	s_cbranch_execnz .LBB20_3117
; %bb.1069:
	s_or_saveexec_b64 s[6:7], s[6:7]
	v_mov_b32_e32 v20, s10
	s_xor_b64 exec, exec, s[6:7]
	s_cbranch_execnz .LBB20_3120
.LBB20_1070:
	s_or_b64 exec, exec, s[6:7]
	s_and_saveexec_b64 s[6:7], s[4:5]
	s_cbranch_execz .LBB20_1072
.LBB20_1071:
	v_bfe_u32 v20, v11, 8, 3
	v_ffbh_u32_e32 v22, v20
	v_min_u32_e32 v22, 32, v22
	v_lshrrev_b16_e32 v21, 3, v14
	v_subrev_u32_e32 v23, 28, v22
	v_and_b32_e32 v21, 15, v21
	v_lshlrev_b32_e32 v14, v23, v14
	v_sub_u32_e32 v22, 29, v22
	v_and_b32_e32 v14, 7, v14
	v_cmp_eq_u16_e32 vcc, 0, v21
	v_cndmask_b32_e32 v14, v20, v14, vcc
	v_cndmask_b32_e32 v20, v21, v22, vcc
	v_lshlrev_b32_e32 v21, 16, v11
	v_mov_b32_e32 v22, 0x3b800000
	v_lshlrev_b32_e32 v14, 20, v14
	v_and_b32_e32 v21, 0x80000000, v21
	v_lshl_add_u32 v20, v20, 23, v22
	v_or3_b32 v20, v21, v20, v14
.LBB20_1072:
	s_or_b64 exec, exec, s[6:7]
	s_nop 0
	v_mfma_f32_16x16x4f32 a[0:3], v10, v20, a[0:3]
	s_movk_i32 s4, 0xff
	v_and_b32_sdwa v14, v15, s4 dst_sel:DWORD dst_unused:UNUSED_PAD src0_sel:WORD_1 src1_sel:DWORD
	s_movk_i32 s4, 0x7f
	v_cmp_lt_i16_e32 vcc, s4, v14
	s_mov_b64 s[4:5], 0
                                        ; implicit-def: $sgpr10
	s_and_saveexec_b64 s[6:7], vcc
	s_xor_b64 s[6:7], exec, s[6:7]
	s_cbranch_execnz .LBB20_3121
; %bb.1073:
	s_or_saveexec_b64 s[6:7], s[6:7]
	v_mov_b32_e32 v10, s10
	s_xor_b64 exec, exec, s[6:7]
	s_cbranch_execnz .LBB20_3124
.LBB20_1074:
	s_or_b64 exec, exec, s[6:7]
	s_and_saveexec_b64 s[6:7], s[4:5]
	s_cbranch_execz .LBB20_1076
.LBB20_1075:
	v_bfe_u32 v10, v15, 16, 3
	v_ffbh_u32_e32 v21, v10
	v_min_u32_e32 v21, 32, v21
	v_lshrrev_b32_e32 v14, 19, v15
	v_subrev_u32_e32 v22, 28, v21
	v_and_b32_e32 v14, 15, v14
	v_lshlrev_b32_sdwa v22, v22, v15 dst_sel:DWORD dst_unused:UNUSED_PAD src0_sel:DWORD src1_sel:WORD_1
	v_bfe_u32 v20, v15, 19, 4
	v_sub_u32_e32 v21, 29, v21
	v_and_b32_e32 v22, 7, v22
	v_cmp_eq_u16_e32 vcc, 0, v14
	v_cndmask_b32_e32 v10, v10, v22, vcc
	v_cndmask_b32_e32 v14, v20, v21, vcc
	v_lshlrev_b32_e32 v20, 8, v15
	v_mov_b32_e32 v21, 0x3b800000
	v_lshlrev_b32_e32 v10, 20, v10
	v_and_b32_e32 v20, 0x80000000, v20
	v_lshl_add_u32 v14, v14, 23, v21
	v_or3_b32 v10, v20, v14, v10
.LBB20_1076:
	s_or_b64 exec, exec, s[6:7]
	s_movk_i32 s4, 0xff
	v_and_b32_sdwa v14, v11, s4 dst_sel:DWORD dst_unused:UNUSED_PAD src0_sel:WORD_1 src1_sel:DWORD
	s_movk_i32 s4, 0x7f
	v_cmp_lt_i16_e32 vcc, s4, v14
	s_mov_b64 s[4:5], 0
                                        ; implicit-def: $sgpr10
	s_and_saveexec_b64 s[6:7], vcc
	s_xor_b64 s[6:7], exec, s[6:7]
	s_cbranch_execnz .LBB20_3125
; %bb.1077:
	s_or_saveexec_b64 s[6:7], s[6:7]
	v_mov_b32_e32 v20, s10
	s_xor_b64 exec, exec, s[6:7]
	s_cbranch_execnz .LBB20_3128
.LBB20_1078:
	s_or_b64 exec, exec, s[6:7]
	s_and_saveexec_b64 s[6:7], s[4:5]
	s_cbranch_execz .LBB20_1080
.LBB20_1079:
	v_bfe_u32 v14, v11, 16, 3
	v_ffbh_u32_e32 v22, v14
	v_min_u32_e32 v22, 32, v22
	v_lshrrev_b32_e32 v20, 19, v11
	v_subrev_u32_e32 v23, 28, v22
	v_and_b32_e32 v20, 15, v20
	v_lshlrev_b32_sdwa v23, v23, v11 dst_sel:DWORD dst_unused:UNUSED_PAD src0_sel:DWORD src1_sel:WORD_1
	v_bfe_u32 v21, v11, 19, 4
	v_sub_u32_e32 v22, 29, v22
	v_and_b32_e32 v23, 7, v23
	v_cmp_eq_u16_e32 vcc, 0, v20
	v_cndmask_b32_e32 v14, v14, v23, vcc
	v_cndmask_b32_e32 v20, v21, v22, vcc
	v_lshlrev_b32_e32 v21, 8, v11
	v_mov_b32_e32 v22, 0x3b800000
	v_lshlrev_b32_e32 v14, 20, v14
	v_and_b32_e32 v21, 0x80000000, v21
	v_lshl_add_u32 v20, v20, 23, v22
	v_or3_b32 v20, v21, v20, v14
.LBB20_1080:
	s_or_b64 exec, exec, s[6:7]
	s_nop 0
	v_mfma_f32_16x16x4f32 a[0:3], v10, v20, a[0:3]
	s_movk_i32 s4, 0x7f
	v_cmp_gt_i16_sdwa s[6:7], v15, s4 src0_sel:BYTE_3 src1_sel:DWORD
	s_mov_b64 s[4:5], 0
                                        ; implicit-def: $sgpr10
	s_and_saveexec_b64 s[8:9], s[6:7]
	s_xor_b64 s[6:7], exec, s[8:9]
	s_cbranch_execnz .LBB20_3129
; %bb.1081:
	s_or_saveexec_b64 s[6:7], s[6:7]
	v_mov_b32_e32 v10, s10
	s_xor_b64 exec, exec, s[6:7]
	s_cbranch_execnz .LBB20_3132
.LBB20_1082:
	s_or_b64 exec, exec, s[6:7]
	s_and_saveexec_b64 s[6:7], s[4:5]
	s_cbranch_execz .LBB20_1084
.LBB20_1083:
	v_bfe_u32 v10, v15, 24, 3
	v_ffbh_u32_e32 v22, v10
	v_min_u32_e32 v22, 32, v22
	v_lshrrev_b32_e32 v20, 27, v15
	v_subrev_u32_e32 v23, 28, v22
	v_and_b32_e32 v14, 0x80000000, v15
	v_and_b32_e32 v20, 15, v20
	v_bfe_u32 v21, v15, 27, 4
	v_lshlrev_b32_sdwa v15, v23, v15 dst_sel:DWORD dst_unused:UNUSED_PAD src0_sel:DWORD src1_sel:BYTE_3
	v_sub_u32_e32 v22, 29, v22
	v_and_b32_e32 v15, 7, v15
	v_cmp_eq_u16_e32 vcc, 0, v20
	v_cndmask_b32_e32 v10, v10, v15, vcc
	v_cndmask_b32_e32 v15, v21, v22, vcc
	v_mov_b32_e32 v20, 0x3b800000
	v_lshlrev_b32_e32 v10, 20, v10
	v_lshl_add_u32 v15, v15, 23, v20
	v_or3_b32 v10, v14, v15, v10
.LBB20_1084:
	s_or_b64 exec, exec, s[6:7]
	s_movk_i32 s4, 0x7f
	v_cmp_gt_i16_sdwa s[6:7], v11, s4 src0_sel:BYTE_3 src1_sel:DWORD
	s_mov_b64 s[4:5], 0
                                        ; implicit-def: $sgpr10
	s_and_saveexec_b64 s[8:9], s[6:7]
	s_xor_b64 s[6:7], exec, s[8:9]
	s_cbranch_execnz .LBB20_3133
; %bb.1085:
	s_or_saveexec_b64 s[6:7], s[6:7]
	v_mov_b32_e32 v14, s10
	s_xor_b64 exec, exec, s[6:7]
	s_cbranch_execnz .LBB20_3136
.LBB20_1086:
	s_or_b64 exec, exec, s[6:7]
	s_and_saveexec_b64 s[6:7], s[4:5]
	s_cbranch_execz .LBB20_1088
.LBB20_1087:
	v_bfe_u32 v14, v11, 24, 3
	v_ffbh_u32_e32 v22, v14
	v_min_u32_e32 v22, 32, v22
	v_lshrrev_b32_e32 v20, 27, v11
	v_subrev_u32_e32 v23, 28, v22
	v_and_b32_e32 v15, 0x80000000, v11
	v_and_b32_e32 v20, 15, v20
	v_bfe_u32 v21, v11, 27, 4
	v_lshlrev_b32_sdwa v11, v23, v11 dst_sel:DWORD dst_unused:UNUSED_PAD src0_sel:DWORD src1_sel:BYTE_3
	v_sub_u32_e32 v22, 29, v22
	v_and_b32_e32 v11, 7, v11
	v_cmp_eq_u16_e32 vcc, 0, v20
	v_cndmask_b32_e32 v11, v14, v11, vcc
	v_cndmask_b32_e32 v14, v21, v22, vcc
	v_mov_b32_e32 v20, 0x3b800000
	v_lshlrev_b32_e32 v11, 20, v11
	v_lshl_add_u32 v14, v14, 23, v20
	v_or3_b32 v14, v15, v14, v11
.LBB20_1088:
	s_or_b64 exec, exec, s[6:7]
	s_nop 0
	v_mfma_f32_16x16x4f32 a[0:3], v10, v14, a[0:3]
	s_movk_i32 s4, 0x7f
	v_cmp_gt_i16_sdwa s[6:7], v16, s4 src0_sel:BYTE_0 src1_sel:DWORD
	s_mov_b64 s[4:5], 0
                                        ; implicit-def: $sgpr10
	s_and_saveexec_b64 s[8:9], s[6:7]
	s_xor_b64 s[6:7], exec, s[8:9]
	s_cbranch_execnz .LBB20_3137
; %bb.1089:
	s_or_saveexec_b64 s[6:7], s[6:7]
	v_mov_b32_e32 v10, s10
	s_xor_b64 exec, exec, s[6:7]
	s_cbranch_execnz .LBB20_3140
.LBB20_1090:
	s_or_b64 exec, exec, s[6:7]
	s_and_saveexec_b64 s[6:7], s[4:5]
	s_cbranch_execz .LBB20_1092
.LBB20_1091:
	v_and_b32_e32 v10, 7, v16
	v_ffbh_u32_e32 v14, v10
	v_min_u32_e32 v14, 32, v14
	v_lshrrev_b16_e32 v11, 3, v16
	v_subrev_u32_e32 v15, 28, v14
	v_and_b32_e32 v11, 15, v11
	v_lshlrev_b32_e32 v15, v15, v16
	v_sub_u32_e32 v14, 29, v14
	v_and_b32_e32 v15, 7, v15
	v_cmp_eq_u16_e32 vcc, 0, v11
	v_cndmask_b32_e32 v10, v10, v15, vcc
	v_cndmask_b32_e32 v11, v11, v14, vcc
	v_lshlrev_b32_e32 v14, 24, v16
	v_mov_b32_e32 v15, 0x3b800000
	v_lshlrev_b32_e32 v10, 20, v10
	v_and_b32_e32 v14, 0x80000000, v14
	v_lshl_add_u32 v11, v11, 23, v15
	v_or3_b32 v10, v14, v11, v10
.LBB20_1092:
	s_or_b64 exec, exec, s[6:7]
	s_movk_i32 s4, 0x7f
	v_cmp_gt_i16_sdwa s[6:7], v12, s4 src0_sel:BYTE_0 src1_sel:DWORD
	s_mov_b64 s[4:5], 0
                                        ; implicit-def: $sgpr10
	s_and_saveexec_b64 s[8:9], s[6:7]
	s_xor_b64 s[6:7], exec, s[8:9]
	s_cbranch_execnz .LBB20_3141
; %bb.1093:
	s_or_saveexec_b64 s[6:7], s[6:7]
	v_mov_b32_e32 v11, s10
	s_xor_b64 exec, exec, s[6:7]
	s_cbranch_execnz .LBB20_3144
.LBB20_1094:
	s_or_b64 exec, exec, s[6:7]
	s_and_saveexec_b64 s[6:7], s[4:5]
	s_cbranch_execz .LBB20_1096
.LBB20_1095:
	v_and_b32_e32 v11, 7, v12
	v_ffbh_u32_e32 v15, v11
	v_min_u32_e32 v15, 32, v15
	v_lshrrev_b16_e32 v14, 3, v12
	v_subrev_u32_e32 v20, 28, v15
	v_and_b32_e32 v14, 15, v14
	v_lshlrev_b32_e32 v20, v20, v12
	v_sub_u32_e32 v15, 29, v15
	v_and_b32_e32 v20, 7, v20
	v_cmp_eq_u16_e32 vcc, 0, v14
	v_cndmask_b32_e32 v11, v11, v20, vcc
	v_cndmask_b32_e32 v14, v14, v15, vcc
	v_lshlrev_b32_e32 v15, 24, v12
	v_mov_b32_e32 v20, 0x3b800000
	v_lshlrev_b32_e32 v11, 20, v11
	v_and_b32_e32 v15, 0x80000000, v15
	v_lshl_add_u32 v14, v14, 23, v20
	v_or3_b32 v11, v15, v14, v11
.LBB20_1096:
	s_or_b64 exec, exec, s[6:7]
	s_nop 0
	v_mfma_f32_16x16x4f32 a[0:3], v10, v11, a[0:3]
	v_lshrrev_b32_e32 v11, 8, v16
	s_movk_i32 s4, 0x7f
	v_cmp_gt_i16_sdwa s[6:7], v11, s4 src0_sel:BYTE_0 src1_sel:DWORD
	s_mov_b64 s[4:5], 0
                                        ; implicit-def: $sgpr10
	s_and_saveexec_b64 s[8:9], s[6:7]
	s_xor_b64 s[6:7], exec, s[8:9]
	s_cbranch_execnz .LBB20_3145
; %bb.1097:
	s_or_saveexec_b64 s[6:7], s[6:7]
	v_mov_b32_e32 v10, s10
	s_xor_b64 exec, exec, s[6:7]
	s_cbranch_execnz .LBB20_3148
.LBB20_1098:
	s_or_b64 exec, exec, s[6:7]
	s_and_saveexec_b64 s[6:7], s[4:5]
	s_cbranch_execz .LBB20_1100
.LBB20_1099:
	v_bfe_u32 v10, v16, 8, 3
	v_ffbh_u32_e32 v15, v10
	v_min_u32_e32 v15, 32, v15
	v_lshrrev_b16_e32 v14, 3, v11
	v_subrev_u32_e32 v20, 28, v15
	v_and_b32_e32 v14, 15, v14
	v_lshlrev_b32_e32 v11, v20, v11
	v_sub_u32_e32 v15, 29, v15
	v_and_b32_e32 v11, 7, v11
	v_cmp_eq_u16_e32 vcc, 0, v14
	v_cndmask_b32_e32 v10, v10, v11, vcc
	v_cndmask_b32_e32 v11, v14, v15, vcc
	v_lshlrev_b32_e32 v14, 16, v16
	v_mov_b32_e32 v15, 0x3b800000
	v_lshlrev_b32_e32 v10, 20, v10
	v_and_b32_e32 v14, 0x80000000, v14
	v_lshl_add_u32 v11, v11, 23, v15
	v_or3_b32 v10, v14, v11, v10
.LBB20_1100:
	s_or_b64 exec, exec, s[6:7]
	v_lshrrev_b32_e32 v11, 8, v12
	s_movk_i32 s4, 0x7f
	v_cmp_gt_i16_sdwa s[6:7], v11, s4 src0_sel:BYTE_0 src1_sel:DWORD
	s_mov_b64 s[4:5], 0
                                        ; implicit-def: $sgpr10
	s_and_saveexec_b64 s[8:9], s[6:7]
	s_xor_b64 s[6:7], exec, s[8:9]
	s_cbranch_execnz .LBB20_3149
; %bb.1101:
	s_or_saveexec_b64 s[6:7], s[6:7]
	v_mov_b32_e32 v14, s10
	s_xor_b64 exec, exec, s[6:7]
	s_cbranch_execnz .LBB20_3152
.LBB20_1102:
	s_or_b64 exec, exec, s[6:7]
	s_and_saveexec_b64 s[6:7], s[4:5]
	s_cbranch_execz .LBB20_1104
.LBB20_1103:
	v_bfe_u32 v14, v12, 8, 3
	v_ffbh_u32_e32 v20, v14
	v_min_u32_e32 v20, 32, v20
	v_lshrrev_b16_e32 v15, 3, v11
	v_subrev_u32_e32 v21, 28, v20
	v_and_b32_e32 v15, 15, v15
	v_lshlrev_b32_e32 v11, v21, v11
	v_sub_u32_e32 v20, 29, v20
	v_and_b32_e32 v11, 7, v11
	v_cmp_eq_u16_e32 vcc, 0, v15
	v_cndmask_b32_e32 v11, v14, v11, vcc
	v_cndmask_b32_e32 v14, v15, v20, vcc
	v_lshlrev_b32_e32 v15, 16, v12
	v_mov_b32_e32 v20, 0x3b800000
	v_lshlrev_b32_e32 v11, 20, v11
	v_and_b32_e32 v15, 0x80000000, v15
	v_lshl_add_u32 v14, v14, 23, v20
	v_or3_b32 v14, v15, v14, v11
.LBB20_1104:
	s_or_b64 exec, exec, s[6:7]
	s_nop 0
	v_mfma_f32_16x16x4f32 a[0:3], v10, v14, a[0:3]
	s_movk_i32 s4, 0xff
	v_and_b32_sdwa v11, v16, s4 dst_sel:DWORD dst_unused:UNUSED_PAD src0_sel:WORD_1 src1_sel:DWORD
	s_movk_i32 s4, 0x7f
	v_cmp_lt_i16_e32 vcc, s4, v11
	s_mov_b64 s[4:5], 0
                                        ; implicit-def: $sgpr10
	s_and_saveexec_b64 s[6:7], vcc
	s_xor_b64 s[6:7], exec, s[6:7]
	s_cbranch_execnz .LBB20_3153
; %bb.1105:
	s_or_saveexec_b64 s[6:7], s[6:7]
	v_mov_b32_e32 v10, s10
	s_xor_b64 exec, exec, s[6:7]
	s_cbranch_execnz .LBB20_3156
.LBB20_1106:
	s_or_b64 exec, exec, s[6:7]
	s_and_saveexec_b64 s[6:7], s[4:5]
	s_cbranch_execz .LBB20_1108
.LBB20_1107:
	v_bfe_u32 v10, v16, 16, 3
	v_ffbh_u32_e32 v15, v10
	v_min_u32_e32 v15, 32, v15
	v_lshrrev_b32_e32 v11, 19, v16
	v_subrev_u32_e32 v20, 28, v15
	v_and_b32_e32 v11, 15, v11
	v_lshlrev_b32_sdwa v20, v20, v16 dst_sel:DWORD dst_unused:UNUSED_PAD src0_sel:DWORD src1_sel:WORD_1
	v_bfe_u32 v14, v16, 19, 4
	v_sub_u32_e32 v15, 29, v15
	v_and_b32_e32 v20, 7, v20
	v_cmp_eq_u16_e32 vcc, 0, v11
	v_cndmask_b32_e32 v10, v10, v20, vcc
	v_cndmask_b32_e32 v11, v14, v15, vcc
	v_lshlrev_b32_e32 v14, 8, v16
	v_mov_b32_e32 v15, 0x3b800000
	v_lshlrev_b32_e32 v10, 20, v10
	v_and_b32_e32 v14, 0x80000000, v14
	v_lshl_add_u32 v11, v11, 23, v15
	v_or3_b32 v10, v14, v11, v10
.LBB20_1108:
	s_or_b64 exec, exec, s[6:7]
	s_movk_i32 s4, 0xff
	v_and_b32_sdwa v11, v12, s4 dst_sel:DWORD dst_unused:UNUSED_PAD src0_sel:WORD_1 src1_sel:DWORD
	s_movk_i32 s4, 0x7f
	v_cmp_lt_i16_e32 vcc, s4, v11
	s_mov_b64 s[4:5], 0
                                        ; implicit-def: $sgpr10
	s_and_saveexec_b64 s[6:7], vcc
	s_xor_b64 s[6:7], exec, s[6:7]
	s_cbranch_execnz .LBB20_3157
; %bb.1109:
	s_or_saveexec_b64 s[6:7], s[6:7]
	v_mov_b32_e32 v14, s10
	s_xor_b64 exec, exec, s[6:7]
	s_cbranch_execnz .LBB20_3160
.LBB20_1110:
	s_or_b64 exec, exec, s[6:7]
	s_and_saveexec_b64 s[6:7], s[4:5]
	s_cbranch_execz .LBB20_1112
.LBB20_1111:
	v_bfe_u32 v11, v12, 16, 3
	v_ffbh_u32_e32 v20, v11
	v_min_u32_e32 v20, 32, v20
	v_lshrrev_b32_e32 v14, 19, v12
	v_subrev_u32_e32 v21, 28, v20
	v_and_b32_e32 v14, 15, v14
	v_lshlrev_b32_sdwa v21, v21, v12 dst_sel:DWORD dst_unused:UNUSED_PAD src0_sel:DWORD src1_sel:WORD_1
	v_bfe_u32 v15, v12, 19, 4
	v_sub_u32_e32 v20, 29, v20
	v_and_b32_e32 v21, 7, v21
	v_cmp_eq_u16_e32 vcc, 0, v14
	v_cndmask_b32_e32 v11, v11, v21, vcc
	v_cndmask_b32_e32 v14, v15, v20, vcc
	v_lshlrev_b32_e32 v15, 8, v12
	v_mov_b32_e32 v20, 0x3b800000
	v_lshlrev_b32_e32 v11, 20, v11
	v_and_b32_e32 v15, 0x80000000, v15
	v_lshl_add_u32 v14, v14, 23, v20
	v_or3_b32 v14, v15, v14, v11
.LBB20_1112:
	s_or_b64 exec, exec, s[6:7]
	s_nop 0
	v_mfma_f32_16x16x4f32 a[0:3], v10, v14, a[0:3]
	s_movk_i32 s4, 0x7f
	v_cmp_gt_i16_sdwa s[6:7], v16, s4 src0_sel:BYTE_3 src1_sel:DWORD
	s_mov_b64 s[4:5], 0
                                        ; implicit-def: $sgpr10
	s_and_saveexec_b64 s[8:9], s[6:7]
	s_xor_b64 s[6:7], exec, s[8:9]
	s_cbranch_execnz .LBB20_3161
; %bb.1113:
	s_or_saveexec_b64 s[6:7], s[6:7]
	v_mov_b32_e32 v10, s10
	s_xor_b64 exec, exec, s[6:7]
	s_cbranch_execnz .LBB20_3164
.LBB20_1114:
	s_or_b64 exec, exec, s[6:7]
	s_and_saveexec_b64 s[6:7], s[4:5]
	s_cbranch_execz .LBB20_1116
.LBB20_1115:
	v_bfe_u32 v10, v16, 24, 3
	v_ffbh_u32_e32 v20, v10
	v_min_u32_e32 v20, 32, v20
	v_lshrrev_b32_e32 v14, 27, v16
	v_subrev_u32_e32 v21, 28, v20
	v_and_b32_e32 v11, 0x80000000, v16
	v_and_b32_e32 v14, 15, v14
	v_bfe_u32 v15, v16, 27, 4
	v_lshlrev_b32_sdwa v16, v21, v16 dst_sel:DWORD dst_unused:UNUSED_PAD src0_sel:DWORD src1_sel:BYTE_3
	v_sub_u32_e32 v20, 29, v20
	v_and_b32_e32 v16, 7, v16
	v_cmp_eq_u16_e32 vcc, 0, v14
	v_cndmask_b32_e32 v10, v10, v16, vcc
	v_cndmask_b32_e32 v14, v15, v20, vcc
	v_mov_b32_e32 v15, 0x3b800000
	v_lshlrev_b32_e32 v10, 20, v10
	v_lshl_add_u32 v14, v14, 23, v15
	v_or3_b32 v10, v11, v14, v10
.LBB20_1116:
	s_or_b64 exec, exec, s[6:7]
	s_movk_i32 s4, 0x7f
	v_cmp_gt_i16_sdwa s[6:7], v12, s4 src0_sel:BYTE_3 src1_sel:DWORD
	s_mov_b64 s[4:5], 0
                                        ; implicit-def: $sgpr10
	s_and_saveexec_b64 s[8:9], s[6:7]
	s_xor_b64 s[6:7], exec, s[8:9]
	s_cbranch_execnz .LBB20_3165
; %bb.1117:
	s_or_saveexec_b64 s[6:7], s[6:7]
	v_mov_b32_e32 v11, s10
	s_xor_b64 exec, exec, s[6:7]
	s_cbranch_execnz .LBB20_3168
.LBB20_1118:
	s_or_b64 exec, exec, s[6:7]
	s_and_saveexec_b64 s[6:7], s[4:5]
	s_cbranch_execz .LBB20_1120
.LBB20_1119:
	v_bfe_u32 v11, v12, 24, 3
	v_ffbh_u32_e32 v20, v11
	v_min_u32_e32 v20, 32, v20
	v_lshrrev_b32_e32 v15, 27, v12
	v_subrev_u32_e32 v21, 28, v20
	v_and_b32_e32 v14, 0x80000000, v12
	v_and_b32_e32 v15, 15, v15
	v_bfe_u32 v16, v12, 27, 4
	v_lshlrev_b32_sdwa v12, v21, v12 dst_sel:DWORD dst_unused:UNUSED_PAD src0_sel:DWORD src1_sel:BYTE_3
	v_sub_u32_e32 v20, 29, v20
	v_and_b32_e32 v12, 7, v12
	v_cmp_eq_u16_e32 vcc, 0, v15
	v_cndmask_b32_e32 v11, v11, v12, vcc
	v_cndmask_b32_e32 v12, v16, v20, vcc
	v_mov_b32_e32 v15, 0x3b800000
	v_lshlrev_b32_e32 v11, 20, v11
	v_lshl_add_u32 v12, v12, 23, v15
	v_or3_b32 v11, v14, v12, v11
.LBB20_1120:
	s_or_b64 exec, exec, s[6:7]
	s_nop 0
	v_mfma_f32_16x16x4f32 a[0:3], v10, v11, a[0:3]
	s_movk_i32 s4, 0x7f
	v_cmp_gt_i16_sdwa s[6:7], v17, s4 src0_sel:BYTE_0 src1_sel:DWORD
	s_mov_b64 s[4:5], 0
                                        ; implicit-def: $sgpr10
	s_and_saveexec_b64 s[8:9], s[6:7]
	s_xor_b64 s[6:7], exec, s[8:9]
	s_cbranch_execnz .LBB20_3169
; %bb.1121:
	s_or_saveexec_b64 s[6:7], s[6:7]
	v_mov_b32_e32 v10, s10
	s_xor_b64 exec, exec, s[6:7]
	s_cbranch_execnz .LBB20_3172
.LBB20_1122:
	s_or_b64 exec, exec, s[6:7]
	s_and_saveexec_b64 s[6:7], s[4:5]
	s_cbranch_execz .LBB20_1124
.LBB20_1123:
	v_and_b32_e32 v10, 7, v17
	v_ffbh_u32_e32 v12, v10
	v_min_u32_e32 v12, 32, v12
	v_lshrrev_b16_e32 v11, 3, v17
	v_subrev_u32_e32 v14, 28, v12
	v_and_b32_e32 v11, 15, v11
	v_lshlrev_b32_e32 v14, v14, v17
	v_sub_u32_e32 v12, 29, v12
	v_and_b32_e32 v14, 7, v14
	v_cmp_eq_u16_e32 vcc, 0, v11
	v_cndmask_b32_e32 v10, v10, v14, vcc
	v_cndmask_b32_e32 v11, v11, v12, vcc
	v_lshlrev_b32_e32 v12, 24, v17
	v_mov_b32_e32 v14, 0x3b800000
	v_lshlrev_b32_e32 v10, 20, v10
	v_and_b32_e32 v12, 0x80000000, v12
	v_lshl_add_u32 v11, v11, 23, v14
	v_or3_b32 v10, v12, v11, v10
.LBB20_1124:
	s_or_b64 exec, exec, s[6:7]
	s_movk_i32 s4, 0x7f
	v_cmp_gt_i16_sdwa s[6:7], v13, s4 src0_sel:BYTE_0 src1_sel:DWORD
	s_mov_b64 s[4:5], 0
                                        ; implicit-def: $sgpr10
	s_and_saveexec_b64 s[8:9], s[6:7]
	s_xor_b64 s[6:7], exec, s[8:9]
	s_cbranch_execnz .LBB20_3173
; %bb.1125:
	s_or_saveexec_b64 s[6:7], s[6:7]
	v_mov_b32_e32 v11, s10
	s_xor_b64 exec, exec, s[6:7]
	s_cbranch_execnz .LBB20_3176
.LBB20_1126:
	s_or_b64 exec, exec, s[6:7]
	s_and_saveexec_b64 s[6:7], s[4:5]
	s_cbranch_execz .LBB20_1128
.LBB20_1127:
	v_and_b32_e32 v11, 7, v13
	v_ffbh_u32_e32 v14, v11
	v_min_u32_e32 v14, 32, v14
	v_lshrrev_b16_e32 v12, 3, v13
	v_subrev_u32_e32 v15, 28, v14
	v_and_b32_e32 v12, 15, v12
	v_lshlrev_b32_e32 v15, v15, v13
	v_sub_u32_e32 v14, 29, v14
	v_and_b32_e32 v15, 7, v15
	v_cmp_eq_u16_e32 vcc, 0, v12
	v_cndmask_b32_e32 v11, v11, v15, vcc
	v_cndmask_b32_e32 v12, v12, v14, vcc
	v_lshlrev_b32_e32 v14, 24, v13
	v_mov_b32_e32 v15, 0x3b800000
	v_lshlrev_b32_e32 v11, 20, v11
	v_and_b32_e32 v14, 0x80000000, v14
	v_lshl_add_u32 v12, v12, 23, v15
	v_or3_b32 v11, v14, v12, v11
.LBB20_1128:
	s_or_b64 exec, exec, s[6:7]
	s_nop 0
	v_mfma_f32_16x16x4f32 a[0:3], v10, v11, a[0:3]
	v_lshrrev_b32_e32 v11, 8, v17
	s_movk_i32 s4, 0x7f
	v_cmp_gt_i16_sdwa s[6:7], v11, s4 src0_sel:BYTE_0 src1_sel:DWORD
	s_mov_b64 s[4:5], 0
                                        ; implicit-def: $sgpr10
	s_and_saveexec_b64 s[8:9], s[6:7]
	s_xor_b64 s[6:7], exec, s[8:9]
	s_cbranch_execnz .LBB20_3177
; %bb.1129:
	s_or_saveexec_b64 s[6:7], s[6:7]
	v_mov_b32_e32 v10, s10
	s_xor_b64 exec, exec, s[6:7]
	s_cbranch_execnz .LBB20_3180
.LBB20_1130:
	s_or_b64 exec, exec, s[6:7]
	s_and_saveexec_b64 s[6:7], s[4:5]
	s_cbranch_execz .LBB20_1132
.LBB20_1131:
	v_bfe_u32 v10, v17, 8, 3
	v_ffbh_u32_e32 v14, v10
	v_min_u32_e32 v14, 32, v14
	v_lshrrev_b16_e32 v12, 3, v11
	v_subrev_u32_e32 v15, 28, v14
	v_and_b32_e32 v12, 15, v12
	v_lshlrev_b32_e32 v11, v15, v11
	v_sub_u32_e32 v14, 29, v14
	v_and_b32_e32 v11, 7, v11
	v_cmp_eq_u16_e32 vcc, 0, v12
	v_cndmask_b32_e32 v10, v10, v11, vcc
	v_cndmask_b32_e32 v11, v12, v14, vcc
	v_lshlrev_b32_e32 v12, 16, v17
	v_mov_b32_e32 v14, 0x3b800000
	v_lshlrev_b32_e32 v10, 20, v10
	v_and_b32_e32 v12, 0x80000000, v12
	v_lshl_add_u32 v11, v11, 23, v14
	v_or3_b32 v10, v12, v11, v10
.LBB20_1132:
	s_or_b64 exec, exec, s[6:7]
	v_lshrrev_b32_e32 v11, 8, v13
	s_movk_i32 s4, 0x7f
	v_cmp_gt_i16_sdwa s[6:7], v11, s4 src0_sel:BYTE_0 src1_sel:DWORD
	s_mov_b64 s[4:5], 0
                                        ; implicit-def: $sgpr10
	s_and_saveexec_b64 s[8:9], s[6:7]
	s_xor_b64 s[6:7], exec, s[8:9]
	s_cbranch_execnz .LBB20_3181
; %bb.1133:
	s_or_saveexec_b64 s[6:7], s[6:7]
	v_mov_b32_e32 v12, s10
	s_xor_b64 exec, exec, s[6:7]
	s_cbranch_execnz .LBB20_3184
.LBB20_1134:
	s_or_b64 exec, exec, s[6:7]
	s_and_saveexec_b64 s[6:7], s[4:5]
	s_cbranch_execz .LBB20_1136
.LBB20_1135:
	v_bfe_u32 v12, v13, 8, 3
	v_ffbh_u32_e32 v15, v12
	v_min_u32_e32 v15, 32, v15
	v_lshrrev_b16_e32 v14, 3, v11
	v_subrev_u32_e32 v16, 28, v15
	v_and_b32_e32 v14, 15, v14
	v_lshlrev_b32_e32 v11, v16, v11
	v_sub_u32_e32 v15, 29, v15
	v_and_b32_e32 v11, 7, v11
	v_cmp_eq_u16_e32 vcc, 0, v14
	v_cndmask_b32_e32 v11, v12, v11, vcc
	v_cndmask_b32_e32 v12, v14, v15, vcc
	v_lshlrev_b32_e32 v14, 16, v13
	v_mov_b32_e32 v15, 0x3b800000
	v_lshlrev_b32_e32 v11, 20, v11
	v_and_b32_e32 v14, 0x80000000, v14
	v_lshl_add_u32 v12, v12, 23, v15
	v_or3_b32 v12, v14, v12, v11
.LBB20_1136:
	s_or_b64 exec, exec, s[6:7]
	s_nop 0
	v_mfma_f32_16x16x4f32 a[0:3], v10, v12, a[0:3]
	s_movk_i32 s4, 0xff
	v_and_b32_sdwa v11, v17, s4 dst_sel:DWORD dst_unused:UNUSED_PAD src0_sel:WORD_1 src1_sel:DWORD
	s_movk_i32 s4, 0x7f
	v_cmp_lt_i16_e32 vcc, s4, v11
	s_mov_b64 s[4:5], 0
                                        ; implicit-def: $sgpr10
	s_and_saveexec_b64 s[6:7], vcc
	s_xor_b64 s[6:7], exec, s[6:7]
	s_cbranch_execnz .LBB20_3185
; %bb.1137:
	s_or_saveexec_b64 s[6:7], s[6:7]
	v_mov_b32_e32 v10, s10
	s_xor_b64 exec, exec, s[6:7]
	s_cbranch_execnz .LBB20_3188
.LBB20_1138:
	s_or_b64 exec, exec, s[6:7]
	s_and_saveexec_b64 s[6:7], s[4:5]
	s_cbranch_execz .LBB20_1140
.LBB20_1139:
	v_bfe_u32 v10, v17, 16, 3
	v_ffbh_u32_e32 v14, v10
	v_min_u32_e32 v14, 32, v14
	v_lshrrev_b32_e32 v11, 19, v17
	v_subrev_u32_e32 v15, 28, v14
	v_and_b32_e32 v11, 15, v11
	v_lshlrev_b32_sdwa v15, v15, v17 dst_sel:DWORD dst_unused:UNUSED_PAD src0_sel:DWORD src1_sel:WORD_1
	v_bfe_u32 v12, v17, 19, 4
	v_sub_u32_e32 v14, 29, v14
	v_and_b32_e32 v15, 7, v15
	v_cmp_eq_u16_e32 vcc, 0, v11
	v_cndmask_b32_e32 v10, v10, v15, vcc
	v_cndmask_b32_e32 v11, v12, v14, vcc
	v_lshlrev_b32_e32 v12, 8, v17
	v_mov_b32_e32 v14, 0x3b800000
	v_lshlrev_b32_e32 v10, 20, v10
	v_and_b32_e32 v12, 0x80000000, v12
	v_lshl_add_u32 v11, v11, 23, v14
	v_or3_b32 v10, v12, v11, v10
.LBB20_1140:
	s_or_b64 exec, exec, s[6:7]
	s_movk_i32 s4, 0xff
	v_and_b32_sdwa v11, v13, s4 dst_sel:DWORD dst_unused:UNUSED_PAD src0_sel:WORD_1 src1_sel:DWORD
	s_movk_i32 s4, 0x7f
	v_cmp_lt_i16_e32 vcc, s4, v11
	s_mov_b64 s[4:5], 0
                                        ; implicit-def: $sgpr10
	s_and_saveexec_b64 s[6:7], vcc
	s_xor_b64 s[6:7], exec, s[6:7]
	s_cbranch_execnz .LBB20_3189
; %bb.1141:
	s_or_saveexec_b64 s[6:7], s[6:7]
	v_mov_b32_e32 v12, s10
	s_xor_b64 exec, exec, s[6:7]
	s_cbranch_execnz .LBB20_3192
.LBB20_1142:
	s_or_b64 exec, exec, s[6:7]
	s_and_saveexec_b64 s[6:7], s[4:5]
	s_cbranch_execz .LBB20_1144
.LBB20_1143:
	v_bfe_u32 v11, v13, 16, 3
	v_ffbh_u32_e32 v15, v11
	v_min_u32_e32 v15, 32, v15
	v_lshrrev_b32_e32 v12, 19, v13
	v_subrev_u32_e32 v16, 28, v15
	v_and_b32_e32 v12, 15, v12
	v_lshlrev_b32_sdwa v16, v16, v13 dst_sel:DWORD dst_unused:UNUSED_PAD src0_sel:DWORD src1_sel:WORD_1
	v_bfe_u32 v14, v13, 19, 4
	v_sub_u32_e32 v15, 29, v15
	v_and_b32_e32 v16, 7, v16
	v_cmp_eq_u16_e32 vcc, 0, v12
	v_cndmask_b32_e32 v11, v11, v16, vcc
	v_cndmask_b32_e32 v12, v14, v15, vcc
	v_lshlrev_b32_e32 v14, 8, v13
	v_mov_b32_e32 v15, 0x3b800000
	v_lshlrev_b32_e32 v11, 20, v11
	v_and_b32_e32 v14, 0x80000000, v14
	v_lshl_add_u32 v12, v12, 23, v15
	v_or3_b32 v12, v14, v12, v11
.LBB20_1144:
	s_or_b64 exec, exec, s[6:7]
	s_nop 0
	v_mfma_f32_16x16x4f32 a[0:3], v10, v12, a[0:3]
	s_movk_i32 s4, 0x7f
	v_cmp_gt_i16_sdwa s[6:7], v17, s4 src0_sel:BYTE_3 src1_sel:DWORD
	s_mov_b64 s[4:5], 0
                                        ; implicit-def: $sgpr10
	s_and_saveexec_b64 s[8:9], s[6:7]
	s_xor_b64 s[6:7], exec, s[8:9]
	s_cbranch_execnz .LBB20_3193
; %bb.1145:
	s_or_saveexec_b64 s[6:7], s[6:7]
	v_mov_b32_e32 v10, s10
	s_xor_b64 exec, exec, s[6:7]
	s_cbranch_execnz .LBB20_3196
.LBB20_1146:
	s_or_b64 exec, exec, s[6:7]
	s_and_saveexec_b64 s[6:7], s[4:5]
	s_cbranch_execz .LBB20_1148
.LBB20_1147:
	v_bfe_u32 v10, v17, 24, 3
	v_ffbh_u32_e32 v15, v10
	v_min_u32_e32 v15, 32, v15
	v_lshrrev_b32_e32 v12, 27, v17
	v_subrev_u32_e32 v16, 28, v15
	v_and_b32_e32 v12, 15, v12
	v_lshlrev_b32_sdwa v16, v16, v17 dst_sel:DWORD dst_unused:UNUSED_PAD src0_sel:DWORD src1_sel:BYTE_3
	v_bfe_u32 v14, v17, 27, 4
	v_sub_u32_e32 v15, 29, v15
	v_and_b32_e32 v16, 7, v16
	v_cmp_eq_u16_e32 vcc, 0, v12
	v_cndmask_b32_e32 v10, v10, v16, vcc
	v_cndmask_b32_e32 v12, v14, v15, vcc
	v_mov_b32_e32 v14, 0x3b800000
	v_and_b32_e32 v11, 0x80000000, v17
	v_lshlrev_b32_e32 v10, 20, v10
	v_lshl_add_u32 v12, v12, 23, v14
	v_or3_b32 v10, v11, v12, v10
.LBB20_1148:
	s_or_b64 exec, exec, s[6:7]
	s_movk_i32 s4, 0x7f
	v_cmp_gt_i16_sdwa s[6:7], v13, s4 src0_sel:BYTE_3 src1_sel:DWORD
	s_mov_b64 s[4:5], 0
                                        ; implicit-def: $sgpr10
	s_and_saveexec_b64 s[8:9], s[6:7]
	s_xor_b64 s[6:7], exec, s[8:9]
	s_cbranch_execnz .LBB20_3197
; %bb.1149:
	s_or_saveexec_b64 s[6:7], s[6:7]
	v_mov_b32_e32 v11, s10
	s_xor_b64 exec, exec, s[6:7]
	s_cbranch_execnz .LBB20_3200
.LBB20_1150:
	s_or_b64 exec, exec, s[6:7]
	s_and_saveexec_b64 s[6:7], s[4:5]
	s_cbranch_execz .LBB20_1152
.LBB20_1151:
	v_bfe_u32 v11, v13, 24, 3
	v_ffbh_u32_e32 v16, v11
	v_min_u32_e32 v16, 32, v16
	v_lshrrev_b32_e32 v14, 27, v13
	v_subrev_u32_e32 v17, 28, v16
	v_and_b32_e32 v12, 0x80000000, v13
	v_and_b32_e32 v14, 15, v14
	v_bfe_u32 v15, v13, 27, 4
	v_lshlrev_b32_sdwa v13, v17, v13 dst_sel:DWORD dst_unused:UNUSED_PAD src0_sel:DWORD src1_sel:BYTE_3
	v_sub_u32_e32 v16, 29, v16
	v_and_b32_e32 v13, 7, v13
	v_cmp_eq_u16_e32 vcc, 0, v14
	v_cndmask_b32_e32 v11, v11, v13, vcc
	v_cndmask_b32_e32 v13, v15, v16, vcc
	v_mov_b32_e32 v14, 0x3b800000
	v_lshlrev_b32_e32 v11, 20, v11
	v_lshl_add_u32 v13, v13, 23, v14
	v_or3_b32 v11, v12, v13, v11
.LBB20_1152:
	s_or_b64 exec, exec, s[6:7]
	s_nop 0
	v_mfma_f32_16x16x4f32 a[0:3], v10, v11, a[0:3]
	s_movk_i32 s4, 0x7f
	v_cmp_gt_i16_sdwa s[6:7], v6, s4 src0_sel:BYTE_0 src1_sel:DWORD
	s_mov_b64 s[4:5], 0
                                        ; implicit-def: $sgpr10
	s_and_saveexec_b64 s[8:9], s[6:7]
	s_xor_b64 s[6:7], exec, s[8:9]
	s_cbranch_execnz .LBB20_3201
; %bb.1153:
	s_or_saveexec_b64 s[6:7], s[6:7]
	v_mov_b32_e32 v10, s10
	s_xor_b64 exec, exec, s[6:7]
	s_cbranch_execnz .LBB20_3204
.LBB20_1154:
	s_or_b64 exec, exec, s[6:7]
	s_and_saveexec_b64 s[6:7], s[4:5]
	s_cbranch_execz .LBB20_1156
.LBB20_1155:
	v_and_b32_e32 v10, 7, v6
	v_ffbh_u32_e32 v12, v10
	v_min_u32_e32 v12, 32, v12
	v_lshrrev_b16_e32 v11, 3, v6
	v_subrev_u32_e32 v13, 28, v12
	v_and_b32_e32 v11, 15, v11
	v_lshlrev_b32_e32 v13, v13, v6
	v_sub_u32_e32 v12, 29, v12
	v_and_b32_e32 v13, 7, v13
	v_cmp_eq_u16_e32 vcc, 0, v11
	v_cndmask_b32_e32 v10, v10, v13, vcc
	v_cndmask_b32_e32 v11, v11, v12, vcc
	v_lshlrev_b32_e32 v12, 24, v6
	v_mov_b32_e32 v13, 0x3b800000
	v_lshlrev_b32_e32 v10, 20, v10
	v_and_b32_e32 v12, 0x80000000, v12
	v_lshl_add_u32 v11, v11, 23, v13
	v_or3_b32 v10, v12, v11, v10
.LBB20_1156:
	s_or_b64 exec, exec, s[6:7]
	s_movk_i32 s4, 0x7f
	v_cmp_gt_i16_sdwa s[6:7], v2, s4 src0_sel:BYTE_0 src1_sel:DWORD
	s_mov_b64 s[4:5], 0
                                        ; implicit-def: $sgpr10
	s_and_saveexec_b64 s[8:9], s[6:7]
	s_xor_b64 s[6:7], exec, s[8:9]
	s_cbranch_execnz .LBB20_3205
; %bb.1157:
	s_or_saveexec_b64 s[6:7], s[6:7]
	v_mov_b32_e32 v11, s10
	s_xor_b64 exec, exec, s[6:7]
	s_cbranch_execnz .LBB20_3208
.LBB20_1158:
	s_or_b64 exec, exec, s[6:7]
	s_and_saveexec_b64 s[6:7], s[4:5]
	s_cbranch_execz .LBB20_1160
.LBB20_1159:
	v_and_b32_e32 v11, 7, v2
	v_ffbh_u32_e32 v13, v11
	v_min_u32_e32 v13, 32, v13
	v_lshrrev_b16_e32 v12, 3, v2
	v_subrev_u32_e32 v14, 28, v13
	v_and_b32_e32 v12, 15, v12
	v_lshlrev_b32_e32 v14, v14, v2
	v_sub_u32_e32 v13, 29, v13
	v_and_b32_e32 v14, 7, v14
	v_cmp_eq_u16_e32 vcc, 0, v12
	v_cndmask_b32_e32 v11, v11, v14, vcc
	v_cndmask_b32_e32 v12, v12, v13, vcc
	v_lshlrev_b32_e32 v13, 24, v2
	v_mov_b32_e32 v14, 0x3b800000
	v_lshlrev_b32_e32 v11, 20, v11
	v_and_b32_e32 v13, 0x80000000, v13
	v_lshl_add_u32 v12, v12, 23, v14
	v_or3_b32 v11, v13, v12, v11
.LBB20_1160:
	s_or_b64 exec, exec, s[6:7]
	s_nop 0
	v_mfma_f32_16x16x4f32 a[0:3], v10, v11, a[0:3]
	v_lshrrev_b32_e32 v11, 8, v6
	s_movk_i32 s4, 0x7f
	v_cmp_gt_i16_sdwa s[6:7], v11, s4 src0_sel:BYTE_0 src1_sel:DWORD
	s_mov_b64 s[4:5], 0
                                        ; implicit-def: $sgpr10
	s_and_saveexec_b64 s[8:9], s[6:7]
	s_xor_b64 s[6:7], exec, s[8:9]
	s_cbranch_execnz .LBB20_3209
; %bb.1161:
	s_or_saveexec_b64 s[6:7], s[6:7]
	v_mov_b32_e32 v10, s10
	s_xor_b64 exec, exec, s[6:7]
	s_cbranch_execnz .LBB20_3212
.LBB20_1162:
	s_or_b64 exec, exec, s[6:7]
	s_and_saveexec_b64 s[6:7], s[4:5]
	s_cbranch_execz .LBB20_1164
.LBB20_1163:
	v_bfe_u32 v10, v6, 8, 3
	v_ffbh_u32_e32 v13, v10
	v_min_u32_e32 v13, 32, v13
	v_lshrrev_b16_e32 v12, 3, v11
	v_subrev_u32_e32 v14, 28, v13
	v_and_b32_e32 v12, 15, v12
	v_lshlrev_b32_e32 v11, v14, v11
	v_sub_u32_e32 v13, 29, v13
	v_and_b32_e32 v11, 7, v11
	v_cmp_eq_u16_e32 vcc, 0, v12
	v_cndmask_b32_e32 v10, v10, v11, vcc
	v_cndmask_b32_e32 v11, v12, v13, vcc
	v_lshlrev_b32_e32 v12, 16, v6
	v_mov_b32_e32 v13, 0x3b800000
	v_lshlrev_b32_e32 v10, 20, v10
	v_and_b32_e32 v12, 0x80000000, v12
	v_lshl_add_u32 v11, v11, 23, v13
	v_or3_b32 v10, v12, v11, v10
.LBB20_1164:
	s_or_b64 exec, exec, s[6:7]
	v_lshrrev_b32_e32 v11, 8, v2
	s_movk_i32 s4, 0x7f
	v_cmp_gt_i16_sdwa s[6:7], v11, s4 src0_sel:BYTE_0 src1_sel:DWORD
	s_mov_b64 s[4:5], 0
                                        ; implicit-def: $sgpr10
	s_and_saveexec_b64 s[8:9], s[6:7]
	s_xor_b64 s[6:7], exec, s[8:9]
	s_cbranch_execnz .LBB20_3213
; %bb.1165:
	s_or_saveexec_b64 s[6:7], s[6:7]
	v_mov_b32_e32 v12, s10
	s_xor_b64 exec, exec, s[6:7]
	s_cbranch_execnz .LBB20_3216
.LBB20_1166:
	s_or_b64 exec, exec, s[6:7]
	s_and_saveexec_b64 s[6:7], s[4:5]
	s_cbranch_execz .LBB20_1168
.LBB20_1167:
	v_bfe_u32 v12, v2, 8, 3
	v_ffbh_u32_e32 v14, v12
	v_min_u32_e32 v14, 32, v14
	v_lshrrev_b16_e32 v13, 3, v11
	v_subrev_u32_e32 v15, 28, v14
	v_and_b32_e32 v13, 15, v13
	v_lshlrev_b32_e32 v11, v15, v11
	v_sub_u32_e32 v14, 29, v14
	v_and_b32_e32 v11, 7, v11
	v_cmp_eq_u16_e32 vcc, 0, v13
	v_cndmask_b32_e32 v11, v12, v11, vcc
	v_cndmask_b32_e32 v12, v13, v14, vcc
	v_lshlrev_b32_e32 v13, 16, v2
	v_mov_b32_e32 v14, 0x3b800000
	v_lshlrev_b32_e32 v11, 20, v11
	v_and_b32_e32 v13, 0x80000000, v13
	v_lshl_add_u32 v12, v12, 23, v14
	v_or3_b32 v12, v13, v12, v11
.LBB20_1168:
	s_or_b64 exec, exec, s[6:7]
	s_nop 0
	v_mfma_f32_16x16x4f32 a[0:3], v10, v12, a[0:3]
	s_movk_i32 s4, 0xff
	v_and_b32_sdwa v11, v6, s4 dst_sel:DWORD dst_unused:UNUSED_PAD src0_sel:WORD_1 src1_sel:DWORD
	s_movk_i32 s4, 0x7f
	v_cmp_lt_i16_e32 vcc, s4, v11
	s_mov_b64 s[4:5], 0
                                        ; implicit-def: $sgpr10
	s_and_saveexec_b64 s[6:7], vcc
	s_xor_b64 s[6:7], exec, s[6:7]
	s_cbranch_execnz .LBB20_3217
; %bb.1169:
	s_or_saveexec_b64 s[6:7], s[6:7]
	v_mov_b32_e32 v10, s10
	s_xor_b64 exec, exec, s[6:7]
	s_cbranch_execnz .LBB20_3220
.LBB20_1170:
	s_or_b64 exec, exec, s[6:7]
	s_and_saveexec_b64 s[6:7], s[4:5]
	s_cbranch_execz .LBB20_1172
.LBB20_1171:
	v_bfe_u32 v10, v6, 16, 3
	v_ffbh_u32_e32 v13, v10
	v_min_u32_e32 v13, 32, v13
	v_lshrrev_b32_e32 v11, 19, v6
	v_subrev_u32_e32 v14, 28, v13
	v_and_b32_e32 v11, 15, v11
	v_lshlrev_b32_sdwa v14, v14, v6 dst_sel:DWORD dst_unused:UNUSED_PAD src0_sel:DWORD src1_sel:WORD_1
	v_bfe_u32 v12, v6, 19, 4
	v_sub_u32_e32 v13, 29, v13
	v_and_b32_e32 v14, 7, v14
	v_cmp_eq_u16_e32 vcc, 0, v11
	v_cndmask_b32_e32 v10, v10, v14, vcc
	v_cndmask_b32_e32 v11, v12, v13, vcc
	v_lshlrev_b32_e32 v12, 8, v6
	v_mov_b32_e32 v13, 0x3b800000
	v_lshlrev_b32_e32 v10, 20, v10
	v_and_b32_e32 v12, 0x80000000, v12
	v_lshl_add_u32 v11, v11, 23, v13
	v_or3_b32 v10, v12, v11, v10
.LBB20_1172:
	s_or_b64 exec, exec, s[6:7]
	s_movk_i32 s4, 0xff
	v_and_b32_sdwa v11, v2, s4 dst_sel:DWORD dst_unused:UNUSED_PAD src0_sel:WORD_1 src1_sel:DWORD
	s_movk_i32 s4, 0x7f
	v_cmp_lt_i16_e32 vcc, s4, v11
	s_mov_b64 s[4:5], 0
                                        ; implicit-def: $sgpr10
	s_and_saveexec_b64 s[6:7], vcc
	s_xor_b64 s[6:7], exec, s[6:7]
	s_cbranch_execnz .LBB20_3221
; %bb.1173:
	s_or_saveexec_b64 s[6:7], s[6:7]
	v_mov_b32_e32 v12, s10
	s_xor_b64 exec, exec, s[6:7]
	s_cbranch_execnz .LBB20_3224
.LBB20_1174:
	s_or_b64 exec, exec, s[6:7]
	s_and_saveexec_b64 s[6:7], s[4:5]
	s_cbranch_execz .LBB20_1176
.LBB20_1175:
	v_bfe_u32 v11, v2, 16, 3
	v_ffbh_u32_e32 v14, v11
	v_min_u32_e32 v14, 32, v14
	v_lshrrev_b32_e32 v12, 19, v2
	v_subrev_u32_e32 v15, 28, v14
	v_and_b32_e32 v12, 15, v12
	v_lshlrev_b32_sdwa v15, v15, v2 dst_sel:DWORD dst_unused:UNUSED_PAD src0_sel:DWORD src1_sel:WORD_1
	v_bfe_u32 v13, v2, 19, 4
	v_sub_u32_e32 v14, 29, v14
	v_and_b32_e32 v15, 7, v15
	v_cmp_eq_u16_e32 vcc, 0, v12
	v_cndmask_b32_e32 v11, v11, v15, vcc
	v_cndmask_b32_e32 v12, v13, v14, vcc
	v_lshlrev_b32_e32 v13, 8, v2
	v_mov_b32_e32 v14, 0x3b800000
	v_lshlrev_b32_e32 v11, 20, v11
	v_and_b32_e32 v13, 0x80000000, v13
	v_lshl_add_u32 v12, v12, 23, v14
	v_or3_b32 v12, v13, v12, v11
.LBB20_1176:
	s_or_b64 exec, exec, s[6:7]
	s_nop 0
	v_mfma_f32_16x16x4f32 a[0:3], v10, v12, a[0:3]
	s_movk_i32 s4, 0x7f
	v_cmp_gt_i16_sdwa s[6:7], v6, s4 src0_sel:BYTE_3 src1_sel:DWORD
	s_mov_b64 s[4:5], 0
                                        ; implicit-def: $sgpr10
	s_and_saveexec_b64 s[8:9], s[6:7]
	s_xor_b64 s[6:7], exec, s[8:9]
	s_cbranch_execnz .LBB20_3225
; %bb.1177:
	s_or_saveexec_b64 s[6:7], s[6:7]
	v_mov_b32_e32 v10, s10
	s_xor_b64 exec, exec, s[6:7]
	s_cbranch_execnz .LBB20_3228
.LBB20_1178:
	s_or_b64 exec, exec, s[6:7]
	s_and_saveexec_b64 s[6:7], s[4:5]
	s_cbranch_execz .LBB20_1180
.LBB20_1179:
	v_bfe_u32 v10, v6, 24, 3
	v_ffbh_u32_e32 v14, v10
	v_min_u32_e32 v14, 32, v14
	v_lshrrev_b32_e32 v12, 27, v6
	v_subrev_u32_e32 v15, 28, v14
	v_and_b32_e32 v11, 0x80000000, v6
	v_and_b32_e32 v12, 15, v12
	v_bfe_u32 v13, v6, 27, 4
	v_lshlrev_b32_sdwa v6, v15, v6 dst_sel:DWORD dst_unused:UNUSED_PAD src0_sel:DWORD src1_sel:BYTE_3
	v_sub_u32_e32 v14, 29, v14
	v_and_b32_e32 v6, 7, v6
	v_cmp_eq_u16_e32 vcc, 0, v12
	v_cndmask_b32_e32 v6, v10, v6, vcc
	v_cndmask_b32_e32 v10, v13, v14, vcc
	v_mov_b32_e32 v12, 0x3b800000
	v_lshlrev_b32_e32 v6, 20, v6
	v_lshl_add_u32 v10, v10, 23, v12
	v_or3_b32 v10, v11, v10, v6
.LBB20_1180:
	s_or_b64 exec, exec, s[6:7]
	s_movk_i32 s4, 0x7f
	v_cmp_gt_i16_sdwa s[6:7], v2, s4 src0_sel:BYTE_3 src1_sel:DWORD
	s_mov_b64 s[4:5], 0
                                        ; implicit-def: $sgpr10
	s_and_saveexec_b64 s[8:9], s[6:7]
	s_xor_b64 s[6:7], exec, s[8:9]
	s_cbranch_execnz .LBB20_3229
; %bb.1181:
	s_or_saveexec_b64 s[6:7], s[6:7]
	v_mov_b32_e32 v6, s10
	s_xor_b64 exec, exec, s[6:7]
	s_cbranch_execnz .LBB20_3232
.LBB20_1182:
	s_or_b64 exec, exec, s[6:7]
	s_and_saveexec_b64 s[6:7], s[4:5]
	s_cbranch_execz .LBB20_1184
.LBB20_1183:
	v_bfe_u32 v6, v2, 24, 3
	v_ffbh_u32_e32 v14, v6
	v_min_u32_e32 v14, 32, v14
	v_lshrrev_b32_e32 v12, 27, v2
	v_subrev_u32_e32 v15, 28, v14
	v_and_b32_e32 v11, 0x80000000, v2
	v_and_b32_e32 v12, 15, v12
	v_bfe_u32 v13, v2, 27, 4
	v_lshlrev_b32_sdwa v2, v15, v2 dst_sel:DWORD dst_unused:UNUSED_PAD src0_sel:DWORD src1_sel:BYTE_3
	v_sub_u32_e32 v14, 29, v14
	v_and_b32_e32 v2, 7, v2
	v_cmp_eq_u16_e32 vcc, 0, v12
	v_cndmask_b32_e32 v2, v6, v2, vcc
	v_cndmask_b32_e32 v6, v13, v14, vcc
	v_mov_b32_e32 v12, 0x3b800000
	v_lshlrev_b32_e32 v2, 20, v2
	v_lshl_add_u32 v6, v6, 23, v12
	v_or3_b32 v6, v11, v6, v2
.LBB20_1184:
	s_or_b64 exec, exec, s[6:7]
	s_nop 0
	v_mfma_f32_16x16x4f32 a[0:3], v10, v6, a[0:3]
	s_movk_i32 s4, 0x7f
	v_cmp_gt_i16_sdwa s[6:7], v7, s4 src0_sel:BYTE_0 src1_sel:DWORD
	s_mov_b64 s[4:5], 0
                                        ; implicit-def: $sgpr10
	s_and_saveexec_b64 s[8:9], s[6:7]
	s_xor_b64 s[6:7], exec, s[8:9]
	s_cbranch_execnz .LBB20_3233
; %bb.1185:
	s_or_saveexec_b64 s[6:7], s[6:7]
	v_mov_b32_e32 v2, s10
	s_xor_b64 exec, exec, s[6:7]
	s_cbranch_execnz .LBB20_3236
.LBB20_1186:
	s_or_b64 exec, exec, s[6:7]
	s_and_saveexec_b64 s[6:7], s[4:5]
	s_cbranch_execz .LBB20_1188
.LBB20_1187:
	v_and_b32_e32 v2, 7, v7
	v_ffbh_u32_e32 v10, v2
	v_min_u32_e32 v10, 32, v10
	v_lshrrev_b16_e32 v6, 3, v7
	v_subrev_u32_e32 v11, 28, v10
	v_and_b32_e32 v6, 15, v6
	v_lshlrev_b32_e32 v11, v11, v7
	v_sub_u32_e32 v10, 29, v10
	v_and_b32_e32 v11, 7, v11
	v_cmp_eq_u16_e32 vcc, 0, v6
	v_cndmask_b32_e32 v2, v2, v11, vcc
	v_cndmask_b32_e32 v6, v6, v10, vcc
	v_lshlrev_b32_e32 v10, 24, v7
	v_mov_b32_e32 v11, 0x3b800000
	v_lshlrev_b32_e32 v2, 20, v2
	v_and_b32_e32 v10, 0x80000000, v10
	v_lshl_add_u32 v6, v6, 23, v11
	v_or3_b32 v2, v10, v6, v2
.LBB20_1188:
	s_or_b64 exec, exec, s[6:7]
	s_movk_i32 s4, 0x7f
	v_cmp_gt_i16_sdwa s[6:7], v3, s4 src0_sel:BYTE_0 src1_sel:DWORD
	s_mov_b64 s[4:5], 0
                                        ; implicit-def: $sgpr10
	s_and_saveexec_b64 s[8:9], s[6:7]
	s_xor_b64 s[6:7], exec, s[8:9]
	s_cbranch_execnz .LBB20_3237
; %bb.1189:
	s_or_saveexec_b64 s[6:7], s[6:7]
	v_mov_b32_e32 v6, s10
	s_xor_b64 exec, exec, s[6:7]
	s_cbranch_execnz .LBB20_3240
.LBB20_1190:
	s_or_b64 exec, exec, s[6:7]
	s_and_saveexec_b64 s[6:7], s[4:5]
	s_cbranch_execz .LBB20_1192
.LBB20_1191:
	v_and_b32_e32 v6, 7, v3
	v_ffbh_u32_e32 v11, v6
	v_min_u32_e32 v11, 32, v11
	v_lshrrev_b16_e32 v10, 3, v3
	v_subrev_u32_e32 v12, 28, v11
	v_and_b32_e32 v10, 15, v10
	v_lshlrev_b32_e32 v12, v12, v3
	v_sub_u32_e32 v11, 29, v11
	v_and_b32_e32 v12, 7, v12
	v_cmp_eq_u16_e32 vcc, 0, v10
	v_cndmask_b32_e32 v6, v6, v12, vcc
	v_cndmask_b32_e32 v10, v10, v11, vcc
	v_lshlrev_b32_e32 v11, 24, v3
	v_mov_b32_e32 v12, 0x3b800000
	v_lshlrev_b32_e32 v6, 20, v6
	v_and_b32_e32 v11, 0x80000000, v11
	v_lshl_add_u32 v10, v10, 23, v12
	v_or3_b32 v6, v11, v10, v6
.LBB20_1192:
	s_or_b64 exec, exec, s[6:7]
	s_nop 0
	v_mfma_f32_16x16x4f32 a[0:3], v2, v6, a[0:3]
	v_lshrrev_b32_e32 v6, 8, v7
	s_movk_i32 s4, 0x7f
	v_cmp_gt_i16_sdwa s[6:7], v6, s4 src0_sel:BYTE_0 src1_sel:DWORD
	s_mov_b64 s[4:5], 0
                                        ; implicit-def: $sgpr10
	s_and_saveexec_b64 s[8:9], s[6:7]
	s_xor_b64 s[6:7], exec, s[8:9]
	s_cbranch_execnz .LBB20_3241
; %bb.1193:
	s_or_saveexec_b64 s[6:7], s[6:7]
	v_mov_b32_e32 v2, s10
	s_xor_b64 exec, exec, s[6:7]
	s_cbranch_execnz .LBB20_3244
.LBB20_1194:
	s_or_b64 exec, exec, s[6:7]
	s_and_saveexec_b64 s[6:7], s[4:5]
	s_cbranch_execz .LBB20_1196
.LBB20_1195:
	v_bfe_u32 v2, v7, 8, 3
	v_ffbh_u32_e32 v11, v2
	v_min_u32_e32 v11, 32, v11
	v_lshrrev_b16_e32 v10, 3, v6
	v_subrev_u32_e32 v12, 28, v11
	v_and_b32_e32 v10, 15, v10
	v_lshlrev_b32_e32 v6, v12, v6
	v_sub_u32_e32 v11, 29, v11
	v_and_b32_e32 v6, 7, v6
	v_cmp_eq_u16_e32 vcc, 0, v10
	v_cndmask_b32_e32 v2, v2, v6, vcc
	v_cndmask_b32_e32 v6, v10, v11, vcc
	v_lshlrev_b32_e32 v10, 16, v7
	v_mov_b32_e32 v11, 0x3b800000
	v_lshlrev_b32_e32 v2, 20, v2
	v_and_b32_e32 v10, 0x80000000, v10
	v_lshl_add_u32 v6, v6, 23, v11
	v_or3_b32 v2, v10, v6, v2
.LBB20_1196:
	s_or_b64 exec, exec, s[6:7]
	v_lshrrev_b32_e32 v6, 8, v3
	s_movk_i32 s4, 0x7f
	v_cmp_gt_i16_sdwa s[6:7], v6, s4 src0_sel:BYTE_0 src1_sel:DWORD
	s_mov_b64 s[4:5], 0
                                        ; implicit-def: $sgpr10
	s_and_saveexec_b64 s[8:9], s[6:7]
	s_xor_b64 s[6:7], exec, s[8:9]
	s_cbranch_execnz .LBB20_3245
; %bb.1197:
	s_or_saveexec_b64 s[6:7], s[6:7]
	v_mov_b32_e32 v10, s10
	s_xor_b64 exec, exec, s[6:7]
	s_cbranch_execnz .LBB20_3248
.LBB20_1198:
	s_or_b64 exec, exec, s[6:7]
	s_and_saveexec_b64 s[6:7], s[4:5]
	s_cbranch_execz .LBB20_1200
.LBB20_1199:
	v_bfe_u32 v10, v3, 8, 3
	v_ffbh_u32_e32 v12, v10
	v_min_u32_e32 v12, 32, v12
	v_lshrrev_b16_e32 v11, 3, v6
	v_subrev_u32_e32 v13, 28, v12
	v_and_b32_e32 v11, 15, v11
	v_lshlrev_b32_e32 v6, v13, v6
	v_sub_u32_e32 v12, 29, v12
	v_and_b32_e32 v6, 7, v6
	v_cmp_eq_u16_e32 vcc, 0, v11
	v_cndmask_b32_e32 v6, v10, v6, vcc
	v_cndmask_b32_e32 v10, v11, v12, vcc
	v_lshlrev_b32_e32 v11, 16, v3
	v_mov_b32_e32 v12, 0x3b800000
	v_lshlrev_b32_e32 v6, 20, v6
	v_and_b32_e32 v11, 0x80000000, v11
	v_lshl_add_u32 v10, v10, 23, v12
	v_or3_b32 v10, v11, v10, v6
.LBB20_1200:
	s_or_b64 exec, exec, s[6:7]
	s_nop 0
	v_mfma_f32_16x16x4f32 a[0:3], v2, v10, a[0:3]
	s_movk_i32 s4, 0xff
	v_and_b32_sdwa v6, v7, s4 dst_sel:DWORD dst_unused:UNUSED_PAD src0_sel:WORD_1 src1_sel:DWORD
	s_movk_i32 s4, 0x7f
	v_cmp_lt_i16_e32 vcc, s4, v6
	s_mov_b64 s[4:5], 0
                                        ; implicit-def: $sgpr10
	s_and_saveexec_b64 s[6:7], vcc
	s_xor_b64 s[6:7], exec, s[6:7]
	s_cbranch_execnz .LBB20_3249
; %bb.1201:
	s_or_saveexec_b64 s[6:7], s[6:7]
	v_mov_b32_e32 v2, s10
	s_xor_b64 exec, exec, s[6:7]
	s_cbranch_execnz .LBB20_3252
.LBB20_1202:
	s_or_b64 exec, exec, s[6:7]
	s_and_saveexec_b64 s[6:7], s[4:5]
	s_cbranch_execz .LBB20_1204
.LBB20_1203:
	v_bfe_u32 v2, v7, 16, 3
	v_ffbh_u32_e32 v11, v2
	v_min_u32_e32 v11, 32, v11
	v_lshrrev_b32_e32 v6, 19, v7
	v_subrev_u32_e32 v12, 28, v11
	v_and_b32_e32 v6, 15, v6
	v_lshlrev_b32_sdwa v12, v12, v7 dst_sel:DWORD dst_unused:UNUSED_PAD src0_sel:DWORD src1_sel:WORD_1
	v_bfe_u32 v10, v7, 19, 4
	v_sub_u32_e32 v11, 29, v11
	v_and_b32_e32 v12, 7, v12
	v_cmp_eq_u16_e32 vcc, 0, v6
	v_cndmask_b32_e32 v2, v2, v12, vcc
	v_cndmask_b32_e32 v6, v10, v11, vcc
	v_lshlrev_b32_e32 v10, 8, v7
	v_mov_b32_e32 v11, 0x3b800000
	v_lshlrev_b32_e32 v2, 20, v2
	v_and_b32_e32 v10, 0x80000000, v10
	v_lshl_add_u32 v6, v6, 23, v11
	v_or3_b32 v2, v10, v6, v2
.LBB20_1204:
	s_or_b64 exec, exec, s[6:7]
	s_movk_i32 s4, 0xff
	v_and_b32_sdwa v6, v3, s4 dst_sel:DWORD dst_unused:UNUSED_PAD src0_sel:WORD_1 src1_sel:DWORD
	s_movk_i32 s4, 0x7f
	v_cmp_lt_i16_e32 vcc, s4, v6
	s_mov_b64 s[4:5], 0
                                        ; implicit-def: $sgpr10
	s_and_saveexec_b64 s[6:7], vcc
	s_xor_b64 s[6:7], exec, s[6:7]
	s_cbranch_execnz .LBB20_3253
; %bb.1205:
	s_or_saveexec_b64 s[6:7], s[6:7]
	v_mov_b32_e32 v10, s10
	s_xor_b64 exec, exec, s[6:7]
	s_cbranch_execnz .LBB20_3256
.LBB20_1206:
	s_or_b64 exec, exec, s[6:7]
	s_and_saveexec_b64 s[6:7], s[4:5]
	s_cbranch_execz .LBB20_1208
.LBB20_1207:
	v_bfe_u32 v6, v3, 16, 3
	v_ffbh_u32_e32 v12, v6
	v_min_u32_e32 v12, 32, v12
	v_lshrrev_b32_e32 v10, 19, v3
	v_subrev_u32_e32 v13, 28, v12
	v_and_b32_e32 v10, 15, v10
	v_lshlrev_b32_sdwa v13, v13, v3 dst_sel:DWORD dst_unused:UNUSED_PAD src0_sel:DWORD src1_sel:WORD_1
	v_bfe_u32 v11, v3, 19, 4
	v_sub_u32_e32 v12, 29, v12
	v_and_b32_e32 v13, 7, v13
	v_cmp_eq_u16_e32 vcc, 0, v10
	v_cndmask_b32_e32 v6, v6, v13, vcc
	v_cndmask_b32_e32 v10, v11, v12, vcc
	v_lshlrev_b32_e32 v11, 8, v3
	v_mov_b32_e32 v12, 0x3b800000
	v_lshlrev_b32_e32 v6, 20, v6
	v_and_b32_e32 v11, 0x80000000, v11
	v_lshl_add_u32 v10, v10, 23, v12
	v_or3_b32 v10, v11, v10, v6
.LBB20_1208:
	s_or_b64 exec, exec, s[6:7]
	s_nop 0
	v_mfma_f32_16x16x4f32 a[0:3], v2, v10, a[0:3]
	s_movk_i32 s4, 0x7f
	v_cmp_gt_i16_sdwa s[6:7], v7, s4 src0_sel:BYTE_3 src1_sel:DWORD
	s_mov_b64 s[4:5], 0
                                        ; implicit-def: $sgpr10
	s_and_saveexec_b64 s[8:9], s[6:7]
	s_xor_b64 s[6:7], exec, s[8:9]
	s_cbranch_execnz .LBB20_3257
; %bb.1209:
	s_or_saveexec_b64 s[6:7], s[6:7]
	v_mov_b32_e32 v2, s10
	s_xor_b64 exec, exec, s[6:7]
	s_cbranch_execnz .LBB20_3260
.LBB20_1210:
	s_or_b64 exec, exec, s[6:7]
	s_and_saveexec_b64 s[6:7], s[4:5]
	s_cbranch_execz .LBB20_1212
.LBB20_1211:
	v_bfe_u32 v2, v7, 24, 3
	v_ffbh_u32_e32 v12, v2
	v_min_u32_e32 v12, 32, v12
	v_lshrrev_b32_e32 v10, 27, v7
	v_subrev_u32_e32 v13, 28, v12
	v_and_b32_e32 v6, 0x80000000, v7
	v_and_b32_e32 v10, 15, v10
	v_bfe_u32 v11, v7, 27, 4
	v_lshlrev_b32_sdwa v7, v13, v7 dst_sel:DWORD dst_unused:UNUSED_PAD src0_sel:DWORD src1_sel:BYTE_3
	v_sub_u32_e32 v12, 29, v12
	v_and_b32_e32 v7, 7, v7
	v_cmp_eq_u16_e32 vcc, 0, v10
	v_cndmask_b32_e32 v2, v2, v7, vcc
	v_cndmask_b32_e32 v7, v11, v12, vcc
	v_mov_b32_e32 v10, 0x3b800000
	v_lshlrev_b32_e32 v2, 20, v2
	v_lshl_add_u32 v7, v7, 23, v10
	v_or3_b32 v2, v6, v7, v2
.LBB20_1212:
	s_or_b64 exec, exec, s[6:7]
	s_movk_i32 s4, 0x7f
	v_cmp_gt_i16_sdwa s[6:7], v3, s4 src0_sel:BYTE_3 src1_sel:DWORD
	s_mov_b64 s[4:5], 0
                                        ; implicit-def: $sgpr10
	s_and_saveexec_b64 s[8:9], s[6:7]
	s_xor_b64 s[6:7], exec, s[8:9]
	s_cbranch_execnz .LBB20_3261
; %bb.1213:
	s_or_saveexec_b64 s[6:7], s[6:7]
	v_mov_b32_e32 v6, s10
	s_xor_b64 exec, exec, s[6:7]
	s_cbranch_execnz .LBB20_3264
.LBB20_1214:
	s_or_b64 exec, exec, s[6:7]
	s_and_saveexec_b64 s[6:7], s[4:5]
	s_cbranch_execz .LBB20_1216
.LBB20_1215:
	v_bfe_u32 v6, v3, 24, 3
	v_ffbh_u32_e32 v12, v6
	v_min_u32_e32 v12, 32, v12
	v_lshrrev_b32_e32 v10, 27, v3
	v_subrev_u32_e32 v13, 28, v12
	v_and_b32_e32 v7, 0x80000000, v3
	v_and_b32_e32 v10, 15, v10
	v_bfe_u32 v11, v3, 27, 4
	v_lshlrev_b32_sdwa v3, v13, v3 dst_sel:DWORD dst_unused:UNUSED_PAD src0_sel:DWORD src1_sel:BYTE_3
	v_sub_u32_e32 v12, 29, v12
	v_and_b32_e32 v3, 7, v3
	v_cmp_eq_u16_e32 vcc, 0, v10
	v_cndmask_b32_e32 v3, v6, v3, vcc
	v_cndmask_b32_e32 v6, v11, v12, vcc
	v_mov_b32_e32 v10, 0x3b800000
	v_lshlrev_b32_e32 v3, 20, v3
	v_lshl_add_u32 v6, v6, 23, v10
	v_or3_b32 v6, v7, v6, v3
.LBB20_1216:
	s_or_b64 exec, exec, s[6:7]
	s_nop 0
	v_mfma_f32_16x16x4f32 a[0:3], v2, v6, a[0:3]
	s_movk_i32 s4, 0x7f
	v_cmp_gt_i16_sdwa s[6:7], v8, s4 src0_sel:BYTE_0 src1_sel:DWORD
	s_mov_b64 s[4:5], 0
                                        ; implicit-def: $sgpr10
	s_and_saveexec_b64 s[8:9], s[6:7]
	s_xor_b64 s[6:7], exec, s[8:9]
	s_cbranch_execnz .LBB20_3265
; %bb.1217:
	s_or_saveexec_b64 s[6:7], s[6:7]
	v_mov_b32_e32 v2, s10
	s_xor_b64 exec, exec, s[6:7]
	s_cbranch_execnz .LBB20_3268
.LBB20_1218:
	s_or_b64 exec, exec, s[6:7]
	s_and_saveexec_b64 s[6:7], s[4:5]
	s_cbranch_execz .LBB20_1220
.LBB20_1219:
	v_and_b32_e32 v2, 7, v8
	v_ffbh_u32_e32 v6, v2
	v_min_u32_e32 v6, 32, v6
	v_lshrrev_b16_e32 v3, 3, v8
	v_subrev_u32_e32 v7, 28, v6
	v_and_b32_e32 v3, 15, v3
	v_lshlrev_b32_e32 v7, v7, v8
	v_sub_u32_e32 v6, 29, v6
	v_and_b32_e32 v7, 7, v7
	v_cmp_eq_u16_e32 vcc, 0, v3
	v_cndmask_b32_e32 v2, v2, v7, vcc
	v_cndmask_b32_e32 v3, v3, v6, vcc
	v_lshlrev_b32_e32 v6, 24, v8
	v_mov_b32_e32 v7, 0x3b800000
	v_lshlrev_b32_e32 v2, 20, v2
	v_and_b32_e32 v6, 0x80000000, v6
	v_lshl_add_u32 v3, v3, 23, v7
	v_or3_b32 v2, v6, v3, v2
.LBB20_1220:
	s_or_b64 exec, exec, s[6:7]
	s_movk_i32 s4, 0x7f
	v_cmp_gt_i16_sdwa s[6:7], v4, s4 src0_sel:BYTE_0 src1_sel:DWORD
	s_mov_b64 s[4:5], 0
                                        ; implicit-def: $sgpr10
	s_and_saveexec_b64 s[8:9], s[6:7]
	s_xor_b64 s[6:7], exec, s[8:9]
	s_cbranch_execnz .LBB20_3269
; %bb.1221:
	s_or_saveexec_b64 s[6:7], s[6:7]
	v_mov_b32_e32 v3, s10
	s_xor_b64 exec, exec, s[6:7]
	s_cbranch_execnz .LBB20_3272
.LBB20_1222:
	s_or_b64 exec, exec, s[6:7]
	s_and_saveexec_b64 s[6:7], s[4:5]
	s_cbranch_execz .LBB20_1224
.LBB20_1223:
	v_and_b32_e32 v3, 7, v4
	v_ffbh_u32_e32 v7, v3
	v_min_u32_e32 v7, 32, v7
	v_lshrrev_b16_e32 v6, 3, v4
	v_subrev_u32_e32 v10, 28, v7
	v_and_b32_e32 v6, 15, v6
	v_lshlrev_b32_e32 v10, v10, v4
	v_sub_u32_e32 v7, 29, v7
	v_and_b32_e32 v10, 7, v10
	v_cmp_eq_u16_e32 vcc, 0, v6
	v_cndmask_b32_e32 v3, v3, v10, vcc
	v_cndmask_b32_e32 v6, v6, v7, vcc
	v_lshlrev_b32_e32 v7, 24, v4
	v_mov_b32_e32 v10, 0x3b800000
	v_lshlrev_b32_e32 v3, 20, v3
	v_and_b32_e32 v7, 0x80000000, v7
	v_lshl_add_u32 v6, v6, 23, v10
	v_or3_b32 v3, v7, v6, v3
.LBB20_1224:
	s_or_b64 exec, exec, s[6:7]
	s_nop 0
	v_mfma_f32_16x16x4f32 a[0:3], v2, v3, a[0:3]
	v_lshrrev_b32_e32 v3, 8, v8
	s_movk_i32 s4, 0x7f
	v_cmp_gt_i16_sdwa s[6:7], v3, s4 src0_sel:BYTE_0 src1_sel:DWORD
	s_mov_b64 s[4:5], 0
                                        ; implicit-def: $sgpr10
	s_and_saveexec_b64 s[8:9], s[6:7]
	s_xor_b64 s[6:7], exec, s[8:9]
	s_cbranch_execnz .LBB20_3273
; %bb.1225:
	s_or_saveexec_b64 s[6:7], s[6:7]
	v_mov_b32_e32 v2, s10
	s_xor_b64 exec, exec, s[6:7]
	s_cbranch_execnz .LBB20_3276
.LBB20_1226:
	s_or_b64 exec, exec, s[6:7]
	s_and_saveexec_b64 s[6:7], s[4:5]
	s_cbranch_execz .LBB20_1228
.LBB20_1227:
	v_bfe_u32 v2, v8, 8, 3
	v_ffbh_u32_e32 v7, v2
	v_min_u32_e32 v7, 32, v7
	v_lshrrev_b16_e32 v6, 3, v3
	v_subrev_u32_e32 v10, 28, v7
	v_and_b32_e32 v6, 15, v6
	v_lshlrev_b32_e32 v3, v10, v3
	v_sub_u32_e32 v7, 29, v7
	v_and_b32_e32 v3, 7, v3
	v_cmp_eq_u16_e32 vcc, 0, v6
	v_cndmask_b32_e32 v2, v2, v3, vcc
	v_cndmask_b32_e32 v3, v6, v7, vcc
	v_lshlrev_b32_e32 v6, 16, v8
	v_mov_b32_e32 v7, 0x3b800000
	v_lshlrev_b32_e32 v2, 20, v2
	v_and_b32_e32 v6, 0x80000000, v6
	v_lshl_add_u32 v3, v3, 23, v7
	v_or3_b32 v2, v6, v3, v2
.LBB20_1228:
	s_or_b64 exec, exec, s[6:7]
	v_lshrrev_b32_e32 v3, 8, v4
	s_movk_i32 s4, 0x7f
	v_cmp_gt_i16_sdwa s[6:7], v3, s4 src0_sel:BYTE_0 src1_sel:DWORD
	s_mov_b64 s[4:5], 0
                                        ; implicit-def: $sgpr10
	s_and_saveexec_b64 s[8:9], s[6:7]
	s_xor_b64 s[6:7], exec, s[8:9]
	s_cbranch_execnz .LBB20_3277
; %bb.1229:
	s_or_saveexec_b64 s[6:7], s[6:7]
	v_mov_b32_e32 v6, s10
	s_xor_b64 exec, exec, s[6:7]
	s_cbranch_execnz .LBB20_3280
.LBB20_1230:
	s_or_b64 exec, exec, s[6:7]
	s_and_saveexec_b64 s[6:7], s[4:5]
	s_cbranch_execz .LBB20_1232
.LBB20_1231:
	v_bfe_u32 v6, v4, 8, 3
	v_ffbh_u32_e32 v10, v6
	v_min_u32_e32 v10, 32, v10
	v_lshrrev_b16_e32 v7, 3, v3
	v_subrev_u32_e32 v11, 28, v10
	v_and_b32_e32 v7, 15, v7
	v_lshlrev_b32_e32 v3, v11, v3
	v_sub_u32_e32 v10, 29, v10
	v_and_b32_e32 v3, 7, v3
	v_cmp_eq_u16_e32 vcc, 0, v7
	v_cndmask_b32_e32 v3, v6, v3, vcc
	v_cndmask_b32_e32 v6, v7, v10, vcc
	v_lshlrev_b32_e32 v7, 16, v4
	v_mov_b32_e32 v10, 0x3b800000
	v_lshlrev_b32_e32 v3, 20, v3
	v_and_b32_e32 v7, 0x80000000, v7
	v_lshl_add_u32 v6, v6, 23, v10
	v_or3_b32 v6, v7, v6, v3
.LBB20_1232:
	s_or_b64 exec, exec, s[6:7]
	s_nop 0
	v_mfma_f32_16x16x4f32 a[0:3], v2, v6, a[0:3]
	s_movk_i32 s4, 0xff
	v_and_b32_sdwa v3, v8, s4 dst_sel:DWORD dst_unused:UNUSED_PAD src0_sel:WORD_1 src1_sel:DWORD
	s_movk_i32 s4, 0x7f
	v_cmp_lt_i16_e32 vcc, s4, v3
	s_mov_b64 s[4:5], 0
                                        ; implicit-def: $sgpr10
	s_and_saveexec_b64 s[6:7], vcc
	s_xor_b64 s[6:7], exec, s[6:7]
	s_cbranch_execnz .LBB20_3281
; %bb.1233:
	s_or_saveexec_b64 s[6:7], s[6:7]
	v_mov_b32_e32 v2, s10
	s_xor_b64 exec, exec, s[6:7]
	s_cbranch_execnz .LBB20_3284
.LBB20_1234:
	s_or_b64 exec, exec, s[6:7]
	s_and_saveexec_b64 s[6:7], s[4:5]
	s_cbranch_execz .LBB20_1236
.LBB20_1235:
	v_bfe_u32 v2, v8, 16, 3
	v_ffbh_u32_e32 v7, v2
	v_min_u32_e32 v7, 32, v7
	v_lshrrev_b32_e32 v3, 19, v8
	v_subrev_u32_e32 v10, 28, v7
	v_and_b32_e32 v3, 15, v3
	v_lshlrev_b32_sdwa v10, v10, v8 dst_sel:DWORD dst_unused:UNUSED_PAD src0_sel:DWORD src1_sel:WORD_1
	v_bfe_u32 v6, v8, 19, 4
	v_sub_u32_e32 v7, 29, v7
	v_and_b32_e32 v10, 7, v10
	v_cmp_eq_u16_e32 vcc, 0, v3
	v_cndmask_b32_e32 v2, v2, v10, vcc
	v_cndmask_b32_e32 v3, v6, v7, vcc
	v_lshlrev_b32_e32 v6, 8, v8
	v_mov_b32_e32 v7, 0x3b800000
	v_lshlrev_b32_e32 v2, 20, v2
	v_and_b32_e32 v6, 0x80000000, v6
	v_lshl_add_u32 v3, v3, 23, v7
	v_or3_b32 v2, v6, v3, v2
.LBB20_1236:
	s_or_b64 exec, exec, s[6:7]
	s_movk_i32 s4, 0xff
	v_and_b32_sdwa v3, v4, s4 dst_sel:DWORD dst_unused:UNUSED_PAD src0_sel:WORD_1 src1_sel:DWORD
	s_movk_i32 s4, 0x7f
	v_cmp_lt_i16_e32 vcc, s4, v3
	s_mov_b64 s[4:5], 0
                                        ; implicit-def: $sgpr10
	s_and_saveexec_b64 s[6:7], vcc
	s_xor_b64 s[6:7], exec, s[6:7]
	s_cbranch_execnz .LBB20_3285
; %bb.1237:
	s_or_saveexec_b64 s[6:7], s[6:7]
	v_mov_b32_e32 v6, s10
	s_xor_b64 exec, exec, s[6:7]
	s_cbranch_execnz .LBB20_3288
.LBB20_1238:
	s_or_b64 exec, exec, s[6:7]
	s_and_saveexec_b64 s[6:7], s[4:5]
	s_cbranch_execz .LBB20_1240
.LBB20_1239:
	v_bfe_u32 v3, v4, 16, 3
	v_ffbh_u32_e32 v10, v3
	v_min_u32_e32 v10, 32, v10
	v_lshrrev_b32_e32 v6, 19, v4
	v_subrev_u32_e32 v11, 28, v10
	v_and_b32_e32 v6, 15, v6
	v_lshlrev_b32_sdwa v11, v11, v4 dst_sel:DWORD dst_unused:UNUSED_PAD src0_sel:DWORD src1_sel:WORD_1
	v_bfe_u32 v7, v4, 19, 4
	v_sub_u32_e32 v10, 29, v10
	v_and_b32_e32 v11, 7, v11
	v_cmp_eq_u16_e32 vcc, 0, v6
	v_cndmask_b32_e32 v3, v3, v11, vcc
	v_cndmask_b32_e32 v6, v7, v10, vcc
	v_lshlrev_b32_e32 v7, 8, v4
	v_mov_b32_e32 v10, 0x3b800000
	v_lshlrev_b32_e32 v3, 20, v3
	v_and_b32_e32 v7, 0x80000000, v7
	v_lshl_add_u32 v6, v6, 23, v10
	v_or3_b32 v6, v7, v6, v3
.LBB20_1240:
	s_or_b64 exec, exec, s[6:7]
	s_nop 0
	v_mfma_f32_16x16x4f32 a[0:3], v2, v6, a[0:3]
	s_movk_i32 s4, 0x7f
	v_cmp_gt_i16_sdwa s[6:7], v8, s4 src0_sel:BYTE_3 src1_sel:DWORD
	s_mov_b64 s[4:5], 0
                                        ; implicit-def: $sgpr10
	s_and_saveexec_b64 s[8:9], s[6:7]
	s_xor_b64 s[6:7], exec, s[8:9]
	s_cbranch_execnz .LBB20_3289
; %bb.1241:
	s_or_saveexec_b64 s[6:7], s[6:7]
	v_mov_b32_e32 v2, s10
	s_xor_b64 exec, exec, s[6:7]
	s_cbranch_execnz .LBB20_3292
.LBB20_1242:
	s_or_b64 exec, exec, s[6:7]
	s_and_saveexec_b64 s[6:7], s[4:5]
	s_cbranch_execz .LBB20_1244
.LBB20_1243:
	v_bfe_u32 v2, v8, 24, 3
	v_ffbh_u32_e32 v10, v2
	v_min_u32_e32 v10, 32, v10
	v_lshrrev_b32_e32 v6, 27, v8
	v_subrev_u32_e32 v11, 28, v10
	v_and_b32_e32 v3, 0x80000000, v8
	v_and_b32_e32 v6, 15, v6
	v_bfe_u32 v7, v8, 27, 4
	v_lshlrev_b32_sdwa v8, v11, v8 dst_sel:DWORD dst_unused:UNUSED_PAD src0_sel:DWORD src1_sel:BYTE_3
	v_sub_u32_e32 v10, 29, v10
	v_and_b32_e32 v8, 7, v8
	v_cmp_eq_u16_e32 vcc, 0, v6
	v_cndmask_b32_e32 v2, v2, v8, vcc
	v_cndmask_b32_e32 v6, v7, v10, vcc
	v_mov_b32_e32 v7, 0x3b800000
	v_lshlrev_b32_e32 v2, 20, v2
	v_lshl_add_u32 v6, v6, 23, v7
	v_or3_b32 v2, v3, v6, v2
.LBB20_1244:
	s_or_b64 exec, exec, s[6:7]
	s_movk_i32 s4, 0x7f
	v_cmp_gt_i16_sdwa s[6:7], v4, s4 src0_sel:BYTE_3 src1_sel:DWORD
	s_mov_b64 s[4:5], 0
                                        ; implicit-def: $sgpr10
	s_and_saveexec_b64 s[8:9], s[6:7]
	s_xor_b64 s[6:7], exec, s[8:9]
	s_cbranch_execnz .LBB20_3293
; %bb.1245:
	s_or_saveexec_b64 s[6:7], s[6:7]
	v_mov_b32_e32 v3, s10
	s_xor_b64 exec, exec, s[6:7]
	s_cbranch_execnz .LBB20_3296
.LBB20_1246:
	s_or_b64 exec, exec, s[6:7]
	s_and_saveexec_b64 s[6:7], s[4:5]
	s_cbranch_execz .LBB20_1248
.LBB20_1247:
	v_bfe_u32 v3, v4, 24, 3
	v_ffbh_u32_e32 v10, v3
	v_min_u32_e32 v10, 32, v10
	v_lshrrev_b32_e32 v7, 27, v4
	v_subrev_u32_e32 v11, 28, v10
	v_and_b32_e32 v6, 0x80000000, v4
	v_and_b32_e32 v7, 15, v7
	v_bfe_u32 v8, v4, 27, 4
	v_lshlrev_b32_sdwa v4, v11, v4 dst_sel:DWORD dst_unused:UNUSED_PAD src0_sel:DWORD src1_sel:BYTE_3
	v_sub_u32_e32 v10, 29, v10
	v_and_b32_e32 v4, 7, v4
	v_cmp_eq_u16_e32 vcc, 0, v7
	v_cndmask_b32_e32 v3, v3, v4, vcc
	v_cndmask_b32_e32 v4, v8, v10, vcc
	v_mov_b32_e32 v7, 0x3b800000
	v_lshlrev_b32_e32 v3, 20, v3
	v_lshl_add_u32 v4, v4, 23, v7
	v_or3_b32 v3, v6, v4, v3
.LBB20_1248:
	s_or_b64 exec, exec, s[6:7]
	s_nop 0
	v_mfma_f32_16x16x4f32 a[0:3], v2, v3, a[0:3]
	s_movk_i32 s4, 0x7f
	v_cmp_gt_i16_sdwa s[6:7], v9, s4 src0_sel:BYTE_0 src1_sel:DWORD
	s_mov_b64 s[4:5], 0
                                        ; implicit-def: $sgpr10
	s_and_saveexec_b64 s[8:9], s[6:7]
	s_xor_b64 s[6:7], exec, s[8:9]
	s_cbranch_execnz .LBB20_3297
; %bb.1249:
	s_or_saveexec_b64 s[6:7], s[6:7]
	v_mov_b32_e32 v2, s10
	s_xor_b64 exec, exec, s[6:7]
	s_cbranch_execnz .LBB20_3300
.LBB20_1250:
	s_or_b64 exec, exec, s[6:7]
	s_and_saveexec_b64 s[6:7], s[4:5]
	s_cbranch_execz .LBB20_1252
.LBB20_1251:
	v_mov_b32_e32 v2, 8
	v_and_b32_e32 v3, 7, v9
	v_lshrrev_b32_sdwa v2, v2, v9 dst_sel:BYTE_1 dst_unused:UNUSED_PAD src0_sel:DWORD src1_sel:DWORD
	v_ffbh_u32_e32 v4, v3
	v_or_b32_sdwa v2, v9, v2 dst_sel:DWORD dst_unused:UNUSED_PAD src0_sel:BYTE_0 src1_sel:DWORD
	v_min_u32_e32 v4, 32, v4
	v_lshrrev_b16_e32 v2, 3, v2
	v_subrev_u32_e32 v6, 28, v4
	v_and_b32_e32 v2, 15, v2
	v_lshlrev_b32_e32 v6, v6, v9
	v_sub_u32_e32 v4, 29, v4
	v_and_b32_e32 v6, 7, v6
	v_cmp_eq_u16_e32 vcc, 0, v2
	v_cndmask_b32_e32 v3, v3, v6, vcc
	v_cndmask_b32_e32 v2, v2, v4, vcc
	v_lshlrev_b32_e32 v4, 24, v9
	v_mov_b32_e32 v6, 0x3b800000
	v_lshlrev_b32_e32 v3, 20, v3
	v_and_b32_e32 v4, 0x80000000, v4
	v_lshl_add_u32 v2, v2, 23, v6
	v_or3_b32 v2, v4, v2, v3
.LBB20_1252:
	s_or_b64 exec, exec, s[6:7]
	s_movk_i32 s4, 0x7f
	v_cmp_gt_i16_sdwa s[6:7], v5, s4 src0_sel:BYTE_0 src1_sel:DWORD
	s_mov_b64 s[4:5], 0
                                        ; implicit-def: $sgpr10
	s_and_saveexec_b64 s[8:9], s[6:7]
	s_xor_b64 s[6:7], exec, s[8:9]
	s_cbranch_execnz .LBB20_3301
; %bb.1253:
	s_or_saveexec_b64 s[6:7], s[6:7]
	v_mov_b32_e32 v3, s10
	s_xor_b64 exec, exec, s[6:7]
	s_cbranch_execnz .LBB20_3304
.LBB20_1254:
	s_or_b64 exec, exec, s[6:7]
	s_and_saveexec_b64 s[6:7], s[4:5]
	s_cbranch_execz .LBB20_1256
.LBB20_1255:
	v_mov_b32_e32 v3, 8
	v_and_b32_e32 v4, 7, v5
	v_lshrrev_b32_sdwa v3, v3, v5 dst_sel:BYTE_1 dst_unused:UNUSED_PAD src0_sel:DWORD src1_sel:DWORD
	v_ffbh_u32_e32 v6, v4
	v_or_b32_sdwa v3, v5, v3 dst_sel:DWORD dst_unused:UNUSED_PAD src0_sel:BYTE_0 src1_sel:DWORD
	v_min_u32_e32 v6, 32, v6
	v_lshrrev_b16_e32 v3, 3, v3
	v_subrev_u32_e32 v7, 28, v6
	v_and_b32_e32 v3, 15, v3
	v_lshlrev_b32_e32 v7, v7, v5
	v_sub_u32_e32 v6, 29, v6
	v_and_b32_e32 v7, 7, v7
	v_cmp_eq_u16_e32 vcc, 0, v3
	v_cndmask_b32_e32 v4, v4, v7, vcc
	v_cndmask_b32_e32 v3, v3, v6, vcc
	v_lshlrev_b32_e32 v6, 24, v5
	v_mov_b32_e32 v7, 0x3b800000
	v_lshlrev_b32_e32 v4, 20, v4
	v_and_b32_e32 v6, 0x80000000, v6
	v_lshl_add_u32 v3, v3, 23, v7
	v_or3_b32 v3, v6, v3, v4
.LBB20_1256:
	s_or_b64 exec, exec, s[6:7]
	s_nop 0
	v_mfma_f32_16x16x4f32 a[0:3], v2, v3, a[0:3]
	v_lshrrev_b32_e32 v3, 8, v9
	s_movk_i32 s4, 0x7f
	v_cmp_gt_i16_sdwa s[6:7], v3, s4 src0_sel:BYTE_0 src1_sel:DWORD
	s_mov_b64 s[4:5], 0
                                        ; implicit-def: $sgpr10
	s_and_saveexec_b64 s[8:9], s[6:7]
	s_xor_b64 s[6:7], exec, s[8:9]
	s_cbranch_execnz .LBB20_3305
; %bb.1257:
	s_or_saveexec_b64 s[6:7], s[6:7]
	v_mov_b32_e32 v2, s10
	s_xor_b64 exec, exec, s[6:7]
	s_cbranch_execnz .LBB20_3308
.LBB20_1258:
	s_or_b64 exec, exec, s[6:7]
	s_and_saveexec_b64 s[6:7], s[4:5]
	s_cbranch_execz .LBB20_1260
.LBB20_1259:
	v_bfe_u32 v2, v9, 8, 3
	v_ffbh_u32_e32 v6, v2
	v_min_u32_e32 v6, 32, v6
	v_lshrrev_b16_e32 v4, 3, v3
	v_subrev_u32_e32 v7, 28, v6
	v_and_b32_e32 v4, 15, v4
	v_lshlrev_b32_e32 v3, v7, v3
	v_sub_u32_e32 v6, 29, v6
	v_and_b32_e32 v3, 7, v3
	v_cmp_eq_u16_e32 vcc, 0, v4
	v_cndmask_b32_e32 v2, v2, v3, vcc
	v_cndmask_b32_e32 v3, v4, v6, vcc
	v_lshlrev_b32_e32 v4, 16, v9
	v_mov_b32_e32 v6, 0x3b800000
	v_lshlrev_b32_e32 v2, 20, v2
	v_and_b32_e32 v4, 0x80000000, v4
	v_lshl_add_u32 v3, v3, 23, v6
	v_or3_b32 v2, v4, v3, v2
.LBB20_1260:
	s_or_b64 exec, exec, s[6:7]
	v_lshrrev_b32_e32 v3, 8, v5
	s_movk_i32 s4, 0x7f
	v_cmp_gt_i16_sdwa s[6:7], v3, s4 src0_sel:BYTE_0 src1_sel:DWORD
	s_mov_b64 s[4:5], 0
                                        ; implicit-def: $sgpr10
	s_and_saveexec_b64 s[8:9], s[6:7]
	s_xor_b64 s[6:7], exec, s[8:9]
	s_cbranch_execnz .LBB20_3309
; %bb.1261:
	s_or_saveexec_b64 s[6:7], s[6:7]
	v_mov_b32_e32 v4, s10
	s_xor_b64 exec, exec, s[6:7]
	s_cbranch_execnz .LBB20_3312
.LBB20_1262:
	s_or_b64 exec, exec, s[6:7]
	s_and_saveexec_b64 s[6:7], s[4:5]
	s_cbranch_execz .LBB20_1264
.LBB20_1263:
	v_bfe_u32 v4, v5, 8, 3
	v_ffbh_u32_e32 v7, v4
	v_min_u32_e32 v7, 32, v7
	v_lshrrev_b16_e32 v6, 3, v3
	v_subrev_u32_e32 v8, 28, v7
	v_and_b32_e32 v6, 15, v6
	v_lshlrev_b32_e32 v3, v8, v3
	v_sub_u32_e32 v7, 29, v7
	v_and_b32_e32 v3, 7, v3
	v_cmp_eq_u16_e32 vcc, 0, v6
	v_cndmask_b32_e32 v3, v4, v3, vcc
	v_cndmask_b32_e32 v4, v6, v7, vcc
	v_lshlrev_b32_e32 v6, 16, v5
	v_mov_b32_e32 v7, 0x3b800000
	v_lshlrev_b32_e32 v3, 20, v3
	v_and_b32_e32 v6, 0x80000000, v6
	v_lshl_add_u32 v4, v4, 23, v7
	v_or3_b32 v4, v6, v4, v3
.LBB20_1264:
	s_or_b64 exec, exec, s[6:7]
	s_nop 0
	v_mfma_f32_16x16x4f32 a[0:3], v2, v4, a[0:3]
	s_movk_i32 s4, 0xff
	v_and_b32_sdwa v3, v9, s4 dst_sel:DWORD dst_unused:UNUSED_PAD src0_sel:WORD_1 src1_sel:DWORD
	s_movk_i32 s4, 0x7f
	v_cmp_lt_i16_e32 vcc, s4, v3
	s_mov_b64 s[4:5], 0
                                        ; implicit-def: $sgpr10
	s_and_saveexec_b64 s[6:7], vcc
	s_xor_b64 s[6:7], exec, s[6:7]
	s_cbranch_execnz .LBB20_3313
; %bb.1265:
	s_or_saveexec_b64 s[6:7], s[6:7]
	v_mov_b32_e32 v2, s10
	s_xor_b64 exec, exec, s[6:7]
	s_cbranch_execnz .LBB20_3316
.LBB20_1266:
	s_or_b64 exec, exec, s[6:7]
	s_and_saveexec_b64 s[6:7], s[4:5]
	s_cbranch_execz .LBB20_1268
.LBB20_1267:
	v_bfe_u32 v2, v9, 16, 3
	v_ffbh_u32_e32 v6, v2
	v_min_u32_e32 v6, 32, v6
	v_lshrrev_b32_e32 v3, 19, v9
	v_subrev_u32_e32 v7, 28, v6
	v_and_b32_e32 v3, 15, v3
	v_lshlrev_b32_sdwa v7, v7, v9 dst_sel:DWORD dst_unused:UNUSED_PAD src0_sel:DWORD src1_sel:WORD_1
	v_bfe_u32 v4, v9, 19, 4
	v_sub_u32_e32 v6, 29, v6
	v_and_b32_e32 v7, 7, v7
	v_cmp_eq_u16_e32 vcc, 0, v3
	v_cndmask_b32_e32 v2, v2, v7, vcc
	v_cndmask_b32_e32 v3, v4, v6, vcc
	v_lshlrev_b32_e32 v4, 8, v9
	v_mov_b32_e32 v6, 0x3b800000
	v_lshlrev_b32_e32 v2, 20, v2
	v_and_b32_e32 v4, 0x80000000, v4
	v_lshl_add_u32 v3, v3, 23, v6
	v_or3_b32 v2, v4, v3, v2
.LBB20_1268:
	s_or_b64 exec, exec, s[6:7]
	s_movk_i32 s4, 0xff
	v_and_b32_sdwa v3, v5, s4 dst_sel:DWORD dst_unused:UNUSED_PAD src0_sel:WORD_1 src1_sel:DWORD
	s_movk_i32 s4, 0x7f
	v_cmp_lt_i16_e32 vcc, s4, v3
	s_mov_b64 s[4:5], 0
                                        ; implicit-def: $sgpr10
	s_and_saveexec_b64 s[6:7], vcc
	s_xor_b64 s[6:7], exec, s[6:7]
	s_cbranch_execnz .LBB20_3317
; %bb.1269:
	s_or_saveexec_b64 s[6:7], s[6:7]
	v_mov_b32_e32 v4, s10
	s_xor_b64 exec, exec, s[6:7]
	s_cbranch_execnz .LBB20_3320
.LBB20_1270:
	s_or_b64 exec, exec, s[6:7]
	s_and_saveexec_b64 s[6:7], s[4:5]
	s_cbranch_execz .LBB20_1272
.LBB20_1271:
	v_bfe_u32 v3, v5, 16, 3
	v_ffbh_u32_e32 v7, v3
	v_min_u32_e32 v7, 32, v7
	v_lshrrev_b32_e32 v4, 19, v5
	v_subrev_u32_e32 v8, 28, v7
	v_and_b32_e32 v4, 15, v4
	v_lshlrev_b32_sdwa v8, v8, v5 dst_sel:DWORD dst_unused:UNUSED_PAD src0_sel:DWORD src1_sel:WORD_1
	v_bfe_u32 v6, v5, 19, 4
	v_sub_u32_e32 v7, 29, v7
	v_and_b32_e32 v8, 7, v8
	v_cmp_eq_u16_e32 vcc, 0, v4
	v_cndmask_b32_e32 v3, v3, v8, vcc
	v_cndmask_b32_e32 v4, v6, v7, vcc
	v_lshlrev_b32_e32 v6, 8, v5
	v_mov_b32_e32 v7, 0x3b800000
	v_lshlrev_b32_e32 v3, 20, v3
	v_and_b32_e32 v6, 0x80000000, v6
	v_lshl_add_u32 v4, v4, 23, v7
	v_or3_b32 v4, v6, v4, v3
.LBB20_1272:
	s_or_b64 exec, exec, s[6:7]
	s_nop 0
	v_mfma_f32_16x16x4f32 a[0:3], v2, v4, a[0:3]
	s_movk_i32 s4, 0x7f
	v_cmp_gt_i16_sdwa s[6:7], v9, s4 src0_sel:BYTE_3 src1_sel:DWORD
	s_mov_b64 s[4:5], 0
                                        ; implicit-def: $sgpr10
	s_and_saveexec_b64 s[8:9], s[6:7]
	s_xor_b64 s[6:7], exec, s[8:9]
	s_cbranch_execnz .LBB20_3321
; %bb.1273:
	s_or_saveexec_b64 s[6:7], s[6:7]
	v_mov_b32_e32 v2, s10
	s_xor_b64 exec, exec, s[6:7]
	s_cbranch_execnz .LBB20_3324
.LBB20_1274:
	s_or_b64 exec, exec, s[6:7]
	s_and_saveexec_b64 s[6:7], s[4:5]
	s_cbranch_execz .LBB20_1276
.LBB20_1275:
	v_bfe_u32 v2, v9, 24, 3
	v_ffbh_u32_e32 v7, v2
	v_min_u32_e32 v7, 32, v7
	v_lshrrev_b32_e32 v4, 27, v9
	v_subrev_u32_e32 v8, 28, v7
	v_and_b32_e32 v4, 15, v4
	v_lshlrev_b32_sdwa v8, v8, v9 dst_sel:DWORD dst_unused:UNUSED_PAD src0_sel:DWORD src1_sel:BYTE_3
	v_bfe_u32 v6, v9, 27, 4
	v_sub_u32_e32 v7, 29, v7
	v_and_b32_e32 v8, 7, v8
	v_cmp_eq_u16_e32 vcc, 0, v4
	v_cndmask_b32_e32 v2, v2, v8, vcc
	v_cndmask_b32_e32 v4, v6, v7, vcc
	v_mov_b32_e32 v6, 0x3b800000
	v_and_b32_e32 v3, 0x80000000, v9
	v_lshlrev_b32_e32 v2, 20, v2
	v_lshl_add_u32 v4, v4, 23, v6
	v_or3_b32 v2, v3, v4, v2
.LBB20_1276:
	s_or_b64 exec, exec, s[6:7]
	s_movk_i32 s4, 0x7f
	v_cmp_gt_i16_sdwa s[6:7], v5, s4 src0_sel:BYTE_3 src1_sel:DWORD
	s_mov_b64 s[4:5], 0
                                        ; implicit-def: $sgpr10
	s_and_saveexec_b64 s[8:9], s[6:7]
	s_xor_b64 s[6:7], exec, s[8:9]
	s_cbranch_execnz .LBB20_3325
; %bb.1277:
	s_or_saveexec_b64 s[6:7], s[6:7]
	v_mov_b32_e32 v3, s10
	s_xor_b64 exec, exec, s[6:7]
	s_cbranch_execnz .LBB20_3328
.LBB20_1278:
	s_or_b64 exec, exec, s[6:7]
	s_and_saveexec_b64 s[6:7], s[4:5]
	s_cbranch_execz .LBB20_1280
.LBB20_1279:
	v_bfe_u32 v3, v5, 24, 3
	v_ffbh_u32_e32 v8, v3
	v_min_u32_e32 v8, 32, v8
	v_lshrrev_b32_e32 v6, 27, v5
	v_subrev_u32_e32 v9, 28, v8
	v_and_b32_e32 v4, 0x80000000, v5
	v_and_b32_e32 v6, 15, v6
	v_bfe_u32 v7, v5, 27, 4
	v_lshlrev_b32_sdwa v5, v9, v5 dst_sel:DWORD dst_unused:UNUSED_PAD src0_sel:DWORD src1_sel:BYTE_3
	v_sub_u32_e32 v8, 29, v8
	v_and_b32_e32 v5, 7, v5
	v_cmp_eq_u16_e32 vcc, 0, v6
	v_cndmask_b32_e32 v3, v3, v5, vcc
	v_cndmask_b32_e32 v5, v7, v8, vcc
	v_mov_b32_e32 v6, 0x3b800000
	v_lshlrev_b32_e32 v3, 20, v3
	v_lshl_add_u32 v5, v5, 23, v6
	v_or3_b32 v3, v4, v5, v3
.LBB20_1280:
	s_or_b64 exec, exec, s[6:7]
	s_nop 0
	v_mfma_f32_16x16x4f32 a[0:3], v2, v3, a[0:3]
	s_movk_i32 s4, 0x7f
                                        ; implicit-def: $sgpr10
	s_nop 7
	s_nop 1
	flat_store_dwordx4 v[18:19], a[0:3] offset:320
	flat_load_dwordx4 v[20:23], v[0:1] offset:8
	s_nop 0
	flat_load_dwordx2 v[18:19], v[0:1] offset:24
	s_waitcnt vmcnt(0) lgkmcnt(0)
	flat_load_dwordx4 v[14:17], v[20:21]
	flat_load_dwordx4 v[6:9], v[20:21] offset:16
	flat_load_dwordx4 v[10:13], v[22:23] offset:160
	;; [unrolled: 1-line block ×3, first 2 shown]
	s_waitcnt vmcnt(0) lgkmcnt(0)
	v_cmp_gt_i16_sdwa s[6:7], v14, s4 src0_sel:BYTE_0 src1_sel:DWORD
	s_mov_b64 s[4:5], 0
	s_and_saveexec_b64 s[8:9], s[6:7]
	s_xor_b64 s[6:7], exec, s[8:9]
	s_cbranch_execnz .LBB20_3329
; %bb.1281:
	s_or_saveexec_b64 s[6:7], s[6:7]
	v_mov_b32_e32 v20, s10
	s_xor_b64 exec, exec, s[6:7]
	s_cbranch_execnz .LBB20_3332
.LBB20_1282:
	s_or_b64 exec, exec, s[6:7]
	s_and_saveexec_b64 s[6:7], s[4:5]
	s_cbranch_execz .LBB20_1284
.LBB20_1283:
	v_and_b32_e32 v20, 7, v14
	v_ffbh_u32_e32 v22, v20
	v_min_u32_e32 v22, 32, v22
	v_lshrrev_b16_e32 v21, 3, v14
	v_subrev_u32_e32 v23, 28, v22
	v_and_b32_e32 v21, 15, v21
	v_lshlrev_b32_e32 v23, v23, v14
	v_sub_u32_e32 v22, 29, v22
	v_and_b32_e32 v23, 7, v23
	v_cmp_eq_u16_e32 vcc, 0, v21
	v_cndmask_b32_e32 v20, v20, v23, vcc
	v_cndmask_b32_e32 v21, v21, v22, vcc
	v_lshlrev_b32_e32 v22, 24, v14
	v_mov_b32_e32 v23, 0x3b800000
	v_lshlrev_b32_e32 v20, 20, v20
	v_and_b32_e32 v22, 0x80000000, v22
	v_lshl_add_u32 v21, v21, 23, v23
	v_or3_b32 v20, v22, v21, v20
.LBB20_1284:
	s_or_b64 exec, exec, s[6:7]
	s_movk_i32 s4, 0x7f
	v_cmp_gt_i16_sdwa s[6:7], v10, s4 src0_sel:BYTE_0 src1_sel:DWORD
	s_mov_b64 s[4:5], 0
                                        ; implicit-def: $sgpr10
	s_and_saveexec_b64 s[8:9], s[6:7]
	s_xor_b64 s[6:7], exec, s[8:9]
	s_cbranch_execnz .LBB20_3333
; %bb.1285:
	s_or_saveexec_b64 s[6:7], s[6:7]
	v_mov_b32_e32 v21, s10
	s_xor_b64 exec, exec, s[6:7]
	s_cbranch_execnz .LBB20_3336
.LBB20_1286:
	s_or_b64 exec, exec, s[6:7]
	s_and_saveexec_b64 s[6:7], s[4:5]
	s_cbranch_execz .LBB20_1288
.LBB20_1287:
	v_and_b32_e32 v21, 7, v10
	v_ffbh_u32_e32 v23, v21
	v_min_u32_e32 v23, 32, v23
	v_lshrrev_b16_e32 v22, 3, v10
	v_subrev_u32_e32 v24, 28, v23
	v_and_b32_e32 v22, 15, v22
	v_lshlrev_b32_e32 v24, v24, v10
	v_sub_u32_e32 v23, 29, v23
	v_and_b32_e32 v24, 7, v24
	v_cmp_eq_u16_e32 vcc, 0, v22
	v_cndmask_b32_e32 v21, v21, v24, vcc
	v_cndmask_b32_e32 v22, v22, v23, vcc
	v_lshlrev_b32_e32 v23, 24, v10
	v_mov_b32_e32 v24, 0x3b800000
	v_lshlrev_b32_e32 v21, 20, v21
	v_and_b32_e32 v23, 0x80000000, v23
	v_lshl_add_u32 v22, v22, 23, v24
	v_or3_b32 v21, v23, v22, v21
.LBB20_1288:
	s_or_b64 exec, exec, s[6:7]
	flat_load_dwordx4 a[0:3], v[18:19] offset:336
	s_movk_i32 s4, 0x7f
                                        ; implicit-def: $sgpr10
	s_waitcnt vmcnt(0) lgkmcnt(0)
	v_mfma_f32_16x16x4f32 a[0:3], v20, v21, a[0:3]
	v_lshrrev_b32_e32 v21, 8, v14
	v_cmp_gt_i16_sdwa s[6:7], v21, s4 src0_sel:BYTE_0 src1_sel:DWORD
	s_mov_b64 s[4:5], 0
	s_and_saveexec_b64 s[8:9], s[6:7]
	s_xor_b64 s[6:7], exec, s[8:9]
	s_cbranch_execnz .LBB20_3337
; %bb.1289:
	s_or_saveexec_b64 s[6:7], s[6:7]
	v_mov_b32_e32 v20, s10
	s_xor_b64 exec, exec, s[6:7]
	s_cbranch_execnz .LBB20_3340
.LBB20_1290:
	s_or_b64 exec, exec, s[6:7]
	s_and_saveexec_b64 s[6:7], s[4:5]
	s_cbranch_execz .LBB20_1292
.LBB20_1291:
	v_bfe_u32 v20, v14, 8, 3
	v_ffbh_u32_e32 v23, v20
	v_min_u32_e32 v23, 32, v23
	v_lshrrev_b16_e32 v22, 3, v21
	v_subrev_u32_e32 v24, 28, v23
	v_and_b32_e32 v22, 15, v22
	v_lshlrev_b32_e32 v21, v24, v21
	v_sub_u32_e32 v23, 29, v23
	v_and_b32_e32 v21, 7, v21
	v_cmp_eq_u16_e32 vcc, 0, v22
	v_cndmask_b32_e32 v20, v20, v21, vcc
	v_cndmask_b32_e32 v21, v22, v23, vcc
	v_lshlrev_b32_e32 v22, 16, v14
	v_mov_b32_e32 v23, 0x3b800000
	v_lshlrev_b32_e32 v20, 20, v20
	v_and_b32_e32 v22, 0x80000000, v22
	v_lshl_add_u32 v21, v21, 23, v23
	v_or3_b32 v20, v22, v21, v20
.LBB20_1292:
	s_or_b64 exec, exec, s[6:7]
	v_lshrrev_b32_e32 v21, 8, v10
	s_movk_i32 s4, 0x7f
	v_cmp_gt_i16_sdwa s[6:7], v21, s4 src0_sel:BYTE_0 src1_sel:DWORD
	s_mov_b64 s[4:5], 0
                                        ; implicit-def: $sgpr10
	s_and_saveexec_b64 s[8:9], s[6:7]
	s_xor_b64 s[6:7], exec, s[8:9]
	s_cbranch_execnz .LBB20_3341
; %bb.1293:
	s_or_saveexec_b64 s[6:7], s[6:7]
	v_mov_b32_e32 v22, s10
	s_xor_b64 exec, exec, s[6:7]
	s_cbranch_execnz .LBB20_3344
.LBB20_1294:
	s_or_b64 exec, exec, s[6:7]
	s_and_saveexec_b64 s[6:7], s[4:5]
	s_cbranch_execz .LBB20_1296
.LBB20_1295:
	v_bfe_u32 v22, v10, 8, 3
	v_ffbh_u32_e32 v24, v22
	v_min_u32_e32 v24, 32, v24
	v_lshrrev_b16_e32 v23, 3, v21
	v_subrev_u32_e32 v25, 28, v24
	v_and_b32_e32 v23, 15, v23
	v_lshlrev_b32_e32 v21, v25, v21
	v_sub_u32_e32 v24, 29, v24
	v_and_b32_e32 v21, 7, v21
	v_cmp_eq_u16_e32 vcc, 0, v23
	v_cndmask_b32_e32 v21, v22, v21, vcc
	v_cndmask_b32_e32 v22, v23, v24, vcc
	v_lshlrev_b32_e32 v23, 16, v10
	v_mov_b32_e32 v24, 0x3b800000
	v_lshlrev_b32_e32 v21, 20, v21
	v_and_b32_e32 v23, 0x80000000, v23
	v_lshl_add_u32 v22, v22, 23, v24
	v_or3_b32 v22, v23, v22, v21
.LBB20_1296:
	s_or_b64 exec, exec, s[6:7]
	s_nop 0
	v_mfma_f32_16x16x4f32 a[0:3], v20, v22, a[0:3]
	s_movk_i32 s4, 0xff
	v_and_b32_sdwa v21, v14, s4 dst_sel:DWORD dst_unused:UNUSED_PAD src0_sel:WORD_1 src1_sel:DWORD
	s_movk_i32 s4, 0x7f
	v_cmp_lt_i16_e32 vcc, s4, v21
	s_mov_b64 s[4:5], 0
                                        ; implicit-def: $sgpr10
	s_and_saveexec_b64 s[6:7], vcc
	s_xor_b64 s[6:7], exec, s[6:7]
	s_cbranch_execnz .LBB20_3345
; %bb.1297:
	s_or_saveexec_b64 s[6:7], s[6:7]
	v_mov_b32_e32 v20, s10
	s_xor_b64 exec, exec, s[6:7]
	s_cbranch_execnz .LBB20_3348
.LBB20_1298:
	s_or_b64 exec, exec, s[6:7]
	s_and_saveexec_b64 s[6:7], s[4:5]
	s_cbranch_execz .LBB20_1300
.LBB20_1299:
	v_bfe_u32 v20, v14, 16, 3
	v_ffbh_u32_e32 v23, v20
	v_min_u32_e32 v23, 32, v23
	v_lshrrev_b32_e32 v21, 19, v14
	v_subrev_u32_e32 v24, 28, v23
	v_and_b32_e32 v21, 15, v21
	v_lshlrev_b32_sdwa v24, v24, v14 dst_sel:DWORD dst_unused:UNUSED_PAD src0_sel:DWORD src1_sel:WORD_1
	v_bfe_u32 v22, v14, 19, 4
	v_sub_u32_e32 v23, 29, v23
	v_and_b32_e32 v24, 7, v24
	v_cmp_eq_u16_e32 vcc, 0, v21
	v_cndmask_b32_e32 v20, v20, v24, vcc
	v_cndmask_b32_e32 v21, v22, v23, vcc
	v_lshlrev_b32_e32 v22, 8, v14
	v_mov_b32_e32 v23, 0x3b800000
	v_lshlrev_b32_e32 v20, 20, v20
	v_and_b32_e32 v22, 0x80000000, v22
	v_lshl_add_u32 v21, v21, 23, v23
	v_or3_b32 v20, v22, v21, v20
.LBB20_1300:
	s_or_b64 exec, exec, s[6:7]
	s_movk_i32 s4, 0xff
	v_and_b32_sdwa v21, v10, s4 dst_sel:DWORD dst_unused:UNUSED_PAD src0_sel:WORD_1 src1_sel:DWORD
	s_movk_i32 s4, 0x7f
	v_cmp_lt_i16_e32 vcc, s4, v21
	s_mov_b64 s[4:5], 0
                                        ; implicit-def: $sgpr10
	s_and_saveexec_b64 s[6:7], vcc
	s_xor_b64 s[6:7], exec, s[6:7]
	s_cbranch_execnz .LBB20_3349
; %bb.1301:
	s_or_saveexec_b64 s[6:7], s[6:7]
	v_mov_b32_e32 v22, s10
	s_xor_b64 exec, exec, s[6:7]
	s_cbranch_execnz .LBB20_3352
.LBB20_1302:
	s_or_b64 exec, exec, s[6:7]
	s_and_saveexec_b64 s[6:7], s[4:5]
	s_cbranch_execz .LBB20_1304
.LBB20_1303:
	v_bfe_u32 v21, v10, 16, 3
	v_ffbh_u32_e32 v24, v21
	v_min_u32_e32 v24, 32, v24
	v_lshrrev_b32_e32 v22, 19, v10
	v_subrev_u32_e32 v25, 28, v24
	v_and_b32_e32 v22, 15, v22
	v_lshlrev_b32_sdwa v25, v25, v10 dst_sel:DWORD dst_unused:UNUSED_PAD src0_sel:DWORD src1_sel:WORD_1
	v_bfe_u32 v23, v10, 19, 4
	v_sub_u32_e32 v24, 29, v24
	v_and_b32_e32 v25, 7, v25
	v_cmp_eq_u16_e32 vcc, 0, v22
	v_cndmask_b32_e32 v21, v21, v25, vcc
	v_cndmask_b32_e32 v22, v23, v24, vcc
	v_lshlrev_b32_e32 v23, 8, v10
	v_mov_b32_e32 v24, 0x3b800000
	v_lshlrev_b32_e32 v21, 20, v21
	v_and_b32_e32 v23, 0x80000000, v23
	v_lshl_add_u32 v22, v22, 23, v24
	v_or3_b32 v22, v23, v22, v21
.LBB20_1304:
	s_or_b64 exec, exec, s[6:7]
	s_nop 0
	v_mfma_f32_16x16x4f32 a[0:3], v20, v22, a[0:3]
	s_movk_i32 s4, 0x7f
	v_cmp_gt_i16_sdwa s[6:7], v14, s4 src0_sel:BYTE_3 src1_sel:DWORD
	s_mov_b64 s[4:5], 0
                                        ; implicit-def: $sgpr10
	s_and_saveexec_b64 s[8:9], s[6:7]
	s_xor_b64 s[6:7], exec, s[8:9]
	s_cbranch_execnz .LBB20_3353
; %bb.1305:
	s_or_saveexec_b64 s[6:7], s[6:7]
	v_mov_b32_e32 v20, s10
	s_xor_b64 exec, exec, s[6:7]
	s_cbranch_execnz .LBB20_3356
.LBB20_1306:
	s_or_b64 exec, exec, s[6:7]
	s_and_saveexec_b64 s[6:7], s[4:5]
	s_cbranch_execz .LBB20_1308
.LBB20_1307:
	v_bfe_u32 v20, v14, 24, 3
	v_ffbh_u32_e32 v24, v20
	v_min_u32_e32 v24, 32, v24
	v_lshrrev_b32_e32 v22, 27, v14
	v_subrev_u32_e32 v25, 28, v24
	v_and_b32_e32 v21, 0x80000000, v14
	v_and_b32_e32 v22, 15, v22
	v_bfe_u32 v23, v14, 27, 4
	v_lshlrev_b32_sdwa v14, v25, v14 dst_sel:DWORD dst_unused:UNUSED_PAD src0_sel:DWORD src1_sel:BYTE_3
	v_sub_u32_e32 v24, 29, v24
	v_and_b32_e32 v14, 7, v14
	v_cmp_eq_u16_e32 vcc, 0, v22
	v_cndmask_b32_e32 v14, v20, v14, vcc
	v_cndmask_b32_e32 v20, v23, v24, vcc
	v_mov_b32_e32 v22, 0x3b800000
	v_lshlrev_b32_e32 v14, 20, v14
	v_lshl_add_u32 v20, v20, 23, v22
	v_or3_b32 v20, v21, v20, v14
.LBB20_1308:
	s_or_b64 exec, exec, s[6:7]
	s_movk_i32 s4, 0x7f
	v_cmp_gt_i16_sdwa s[6:7], v10, s4 src0_sel:BYTE_3 src1_sel:DWORD
	s_mov_b64 s[4:5], 0
                                        ; implicit-def: $sgpr10
	s_and_saveexec_b64 s[8:9], s[6:7]
	s_xor_b64 s[6:7], exec, s[8:9]
	s_cbranch_execnz .LBB20_3357
; %bb.1309:
	s_or_saveexec_b64 s[6:7], s[6:7]
	v_mov_b32_e32 v14, s10
	s_xor_b64 exec, exec, s[6:7]
	s_cbranch_execnz .LBB20_3360
.LBB20_1310:
	s_or_b64 exec, exec, s[6:7]
	s_and_saveexec_b64 s[6:7], s[4:5]
	s_cbranch_execz .LBB20_1312
.LBB20_1311:
	v_bfe_u32 v14, v10, 24, 3
	v_ffbh_u32_e32 v24, v14
	v_min_u32_e32 v24, 32, v24
	v_lshrrev_b32_e32 v22, 27, v10
	v_subrev_u32_e32 v25, 28, v24
	v_and_b32_e32 v21, 0x80000000, v10
	v_and_b32_e32 v22, 15, v22
	v_bfe_u32 v23, v10, 27, 4
	v_lshlrev_b32_sdwa v10, v25, v10 dst_sel:DWORD dst_unused:UNUSED_PAD src0_sel:DWORD src1_sel:BYTE_3
	v_sub_u32_e32 v24, 29, v24
	v_and_b32_e32 v10, 7, v10
	v_cmp_eq_u16_e32 vcc, 0, v22
	v_cndmask_b32_e32 v10, v14, v10, vcc
	v_cndmask_b32_e32 v14, v23, v24, vcc
	v_mov_b32_e32 v22, 0x3b800000
	v_lshlrev_b32_e32 v10, 20, v10
	v_lshl_add_u32 v14, v14, 23, v22
	v_or3_b32 v14, v21, v14, v10
.LBB20_1312:
	s_or_b64 exec, exec, s[6:7]
	s_nop 0
	v_mfma_f32_16x16x4f32 a[0:3], v20, v14, a[0:3]
	s_movk_i32 s4, 0x7f
	v_cmp_gt_i16_sdwa s[6:7], v15, s4 src0_sel:BYTE_0 src1_sel:DWORD
	s_mov_b64 s[4:5], 0
                                        ; implicit-def: $sgpr10
	s_and_saveexec_b64 s[8:9], s[6:7]
	s_xor_b64 s[6:7], exec, s[8:9]
	s_cbranch_execnz .LBB20_3361
; %bb.1313:
	s_or_saveexec_b64 s[6:7], s[6:7]
	v_mov_b32_e32 v10, s10
	s_xor_b64 exec, exec, s[6:7]
	s_cbranch_execnz .LBB20_3364
.LBB20_1314:
	s_or_b64 exec, exec, s[6:7]
	s_and_saveexec_b64 s[6:7], s[4:5]
	s_cbranch_execz .LBB20_1316
.LBB20_1315:
	v_and_b32_e32 v10, 7, v15
	v_ffbh_u32_e32 v20, v10
	v_min_u32_e32 v20, 32, v20
	v_lshrrev_b16_e32 v14, 3, v15
	v_subrev_u32_e32 v21, 28, v20
	v_and_b32_e32 v14, 15, v14
	v_lshlrev_b32_e32 v21, v21, v15
	v_sub_u32_e32 v20, 29, v20
	v_and_b32_e32 v21, 7, v21
	v_cmp_eq_u16_e32 vcc, 0, v14
	v_cndmask_b32_e32 v10, v10, v21, vcc
	v_cndmask_b32_e32 v14, v14, v20, vcc
	v_lshlrev_b32_e32 v20, 24, v15
	v_mov_b32_e32 v21, 0x3b800000
	v_lshlrev_b32_e32 v10, 20, v10
	v_and_b32_e32 v20, 0x80000000, v20
	v_lshl_add_u32 v14, v14, 23, v21
	v_or3_b32 v10, v20, v14, v10
.LBB20_1316:
	s_or_b64 exec, exec, s[6:7]
	s_movk_i32 s4, 0x7f
	v_cmp_gt_i16_sdwa s[6:7], v11, s4 src0_sel:BYTE_0 src1_sel:DWORD
	s_mov_b64 s[4:5], 0
                                        ; implicit-def: $sgpr10
	s_and_saveexec_b64 s[8:9], s[6:7]
	s_xor_b64 s[6:7], exec, s[8:9]
	s_cbranch_execnz .LBB20_3365
; %bb.1317:
	s_or_saveexec_b64 s[6:7], s[6:7]
	v_mov_b32_e32 v14, s10
	s_xor_b64 exec, exec, s[6:7]
	s_cbranch_execnz .LBB20_3368
.LBB20_1318:
	s_or_b64 exec, exec, s[6:7]
	s_and_saveexec_b64 s[6:7], s[4:5]
	s_cbranch_execz .LBB20_1320
.LBB20_1319:
	v_and_b32_e32 v14, 7, v11
	v_ffbh_u32_e32 v21, v14
	v_min_u32_e32 v21, 32, v21
	v_lshrrev_b16_e32 v20, 3, v11
	v_subrev_u32_e32 v22, 28, v21
	v_and_b32_e32 v20, 15, v20
	v_lshlrev_b32_e32 v22, v22, v11
	v_sub_u32_e32 v21, 29, v21
	v_and_b32_e32 v22, 7, v22
	v_cmp_eq_u16_e32 vcc, 0, v20
	v_cndmask_b32_e32 v14, v14, v22, vcc
	v_cndmask_b32_e32 v20, v20, v21, vcc
	v_lshlrev_b32_e32 v21, 24, v11
	v_mov_b32_e32 v22, 0x3b800000
	v_lshlrev_b32_e32 v14, 20, v14
	v_and_b32_e32 v21, 0x80000000, v21
	v_lshl_add_u32 v20, v20, 23, v22
	v_or3_b32 v14, v21, v20, v14
.LBB20_1320:
	s_or_b64 exec, exec, s[6:7]
	s_nop 0
	v_mfma_f32_16x16x4f32 a[0:3], v10, v14, a[0:3]
	v_lshrrev_b32_e32 v14, 8, v15
	s_movk_i32 s4, 0x7f
	v_cmp_gt_i16_sdwa s[6:7], v14, s4 src0_sel:BYTE_0 src1_sel:DWORD
	s_mov_b64 s[4:5], 0
                                        ; implicit-def: $sgpr10
	s_and_saveexec_b64 s[8:9], s[6:7]
	s_xor_b64 s[6:7], exec, s[8:9]
	s_cbranch_execnz .LBB20_3369
; %bb.1321:
	s_or_saveexec_b64 s[6:7], s[6:7]
	v_mov_b32_e32 v10, s10
	s_xor_b64 exec, exec, s[6:7]
	s_cbranch_execnz .LBB20_3372
.LBB20_1322:
	s_or_b64 exec, exec, s[6:7]
	s_and_saveexec_b64 s[6:7], s[4:5]
	s_cbranch_execz .LBB20_1324
.LBB20_1323:
	v_bfe_u32 v10, v15, 8, 3
	v_ffbh_u32_e32 v21, v10
	v_min_u32_e32 v21, 32, v21
	v_lshrrev_b16_e32 v20, 3, v14
	v_subrev_u32_e32 v22, 28, v21
	v_and_b32_e32 v20, 15, v20
	v_lshlrev_b32_e32 v14, v22, v14
	v_sub_u32_e32 v21, 29, v21
	v_and_b32_e32 v14, 7, v14
	v_cmp_eq_u16_e32 vcc, 0, v20
	v_cndmask_b32_e32 v10, v10, v14, vcc
	v_cndmask_b32_e32 v14, v20, v21, vcc
	v_lshlrev_b32_e32 v20, 16, v15
	v_mov_b32_e32 v21, 0x3b800000
	v_lshlrev_b32_e32 v10, 20, v10
	v_and_b32_e32 v20, 0x80000000, v20
	v_lshl_add_u32 v14, v14, 23, v21
	v_or3_b32 v10, v20, v14, v10
.LBB20_1324:
	s_or_b64 exec, exec, s[6:7]
	v_lshrrev_b32_e32 v14, 8, v11
	s_movk_i32 s4, 0x7f
	v_cmp_gt_i16_sdwa s[6:7], v14, s4 src0_sel:BYTE_0 src1_sel:DWORD
	s_mov_b64 s[4:5], 0
                                        ; implicit-def: $sgpr10
	s_and_saveexec_b64 s[8:9], s[6:7]
	s_xor_b64 s[6:7], exec, s[8:9]
	s_cbranch_execnz .LBB20_3373
; %bb.1325:
	s_or_saveexec_b64 s[6:7], s[6:7]
	v_mov_b32_e32 v20, s10
	s_xor_b64 exec, exec, s[6:7]
	s_cbranch_execnz .LBB20_3376
.LBB20_1326:
	s_or_b64 exec, exec, s[6:7]
	s_and_saveexec_b64 s[6:7], s[4:5]
	s_cbranch_execz .LBB20_1328
.LBB20_1327:
	v_bfe_u32 v20, v11, 8, 3
	v_ffbh_u32_e32 v22, v20
	v_min_u32_e32 v22, 32, v22
	v_lshrrev_b16_e32 v21, 3, v14
	v_subrev_u32_e32 v23, 28, v22
	v_and_b32_e32 v21, 15, v21
	v_lshlrev_b32_e32 v14, v23, v14
	v_sub_u32_e32 v22, 29, v22
	v_and_b32_e32 v14, 7, v14
	v_cmp_eq_u16_e32 vcc, 0, v21
	v_cndmask_b32_e32 v14, v20, v14, vcc
	v_cndmask_b32_e32 v20, v21, v22, vcc
	v_lshlrev_b32_e32 v21, 16, v11
	v_mov_b32_e32 v22, 0x3b800000
	v_lshlrev_b32_e32 v14, 20, v14
	v_and_b32_e32 v21, 0x80000000, v21
	v_lshl_add_u32 v20, v20, 23, v22
	v_or3_b32 v20, v21, v20, v14
.LBB20_1328:
	s_or_b64 exec, exec, s[6:7]
	s_nop 0
	v_mfma_f32_16x16x4f32 a[0:3], v10, v20, a[0:3]
	s_movk_i32 s4, 0xff
	v_and_b32_sdwa v14, v15, s4 dst_sel:DWORD dst_unused:UNUSED_PAD src0_sel:WORD_1 src1_sel:DWORD
	s_movk_i32 s4, 0x7f
	v_cmp_lt_i16_e32 vcc, s4, v14
	s_mov_b64 s[4:5], 0
                                        ; implicit-def: $sgpr10
	s_and_saveexec_b64 s[6:7], vcc
	s_xor_b64 s[6:7], exec, s[6:7]
	s_cbranch_execnz .LBB20_3377
; %bb.1329:
	s_or_saveexec_b64 s[6:7], s[6:7]
	v_mov_b32_e32 v10, s10
	s_xor_b64 exec, exec, s[6:7]
	s_cbranch_execnz .LBB20_3380
.LBB20_1330:
	s_or_b64 exec, exec, s[6:7]
	s_and_saveexec_b64 s[6:7], s[4:5]
	s_cbranch_execz .LBB20_1332
.LBB20_1331:
	v_bfe_u32 v10, v15, 16, 3
	v_ffbh_u32_e32 v21, v10
	v_min_u32_e32 v21, 32, v21
	v_lshrrev_b32_e32 v14, 19, v15
	v_subrev_u32_e32 v22, 28, v21
	v_and_b32_e32 v14, 15, v14
	v_lshlrev_b32_sdwa v22, v22, v15 dst_sel:DWORD dst_unused:UNUSED_PAD src0_sel:DWORD src1_sel:WORD_1
	v_bfe_u32 v20, v15, 19, 4
	v_sub_u32_e32 v21, 29, v21
	v_and_b32_e32 v22, 7, v22
	v_cmp_eq_u16_e32 vcc, 0, v14
	v_cndmask_b32_e32 v10, v10, v22, vcc
	v_cndmask_b32_e32 v14, v20, v21, vcc
	v_lshlrev_b32_e32 v20, 8, v15
	v_mov_b32_e32 v21, 0x3b800000
	v_lshlrev_b32_e32 v10, 20, v10
	v_and_b32_e32 v20, 0x80000000, v20
	v_lshl_add_u32 v14, v14, 23, v21
	v_or3_b32 v10, v20, v14, v10
.LBB20_1332:
	s_or_b64 exec, exec, s[6:7]
	s_movk_i32 s4, 0xff
	v_and_b32_sdwa v14, v11, s4 dst_sel:DWORD dst_unused:UNUSED_PAD src0_sel:WORD_1 src1_sel:DWORD
	s_movk_i32 s4, 0x7f
	v_cmp_lt_i16_e32 vcc, s4, v14
	s_mov_b64 s[4:5], 0
                                        ; implicit-def: $sgpr10
	s_and_saveexec_b64 s[6:7], vcc
	s_xor_b64 s[6:7], exec, s[6:7]
	s_cbranch_execnz .LBB20_3381
; %bb.1333:
	s_or_saveexec_b64 s[6:7], s[6:7]
	v_mov_b32_e32 v20, s10
	s_xor_b64 exec, exec, s[6:7]
	s_cbranch_execnz .LBB20_3384
.LBB20_1334:
	s_or_b64 exec, exec, s[6:7]
	s_and_saveexec_b64 s[6:7], s[4:5]
	s_cbranch_execz .LBB20_1336
.LBB20_1335:
	v_bfe_u32 v14, v11, 16, 3
	v_ffbh_u32_e32 v22, v14
	v_min_u32_e32 v22, 32, v22
	v_lshrrev_b32_e32 v20, 19, v11
	v_subrev_u32_e32 v23, 28, v22
	v_and_b32_e32 v20, 15, v20
	v_lshlrev_b32_sdwa v23, v23, v11 dst_sel:DWORD dst_unused:UNUSED_PAD src0_sel:DWORD src1_sel:WORD_1
	v_bfe_u32 v21, v11, 19, 4
	v_sub_u32_e32 v22, 29, v22
	v_and_b32_e32 v23, 7, v23
	v_cmp_eq_u16_e32 vcc, 0, v20
	v_cndmask_b32_e32 v14, v14, v23, vcc
	v_cndmask_b32_e32 v20, v21, v22, vcc
	v_lshlrev_b32_e32 v21, 8, v11
	v_mov_b32_e32 v22, 0x3b800000
	v_lshlrev_b32_e32 v14, 20, v14
	v_and_b32_e32 v21, 0x80000000, v21
	v_lshl_add_u32 v20, v20, 23, v22
	v_or3_b32 v20, v21, v20, v14
.LBB20_1336:
	s_or_b64 exec, exec, s[6:7]
	s_nop 0
	v_mfma_f32_16x16x4f32 a[0:3], v10, v20, a[0:3]
	s_movk_i32 s4, 0x7f
	v_cmp_gt_i16_sdwa s[6:7], v15, s4 src0_sel:BYTE_3 src1_sel:DWORD
	s_mov_b64 s[4:5], 0
                                        ; implicit-def: $sgpr10
	s_and_saveexec_b64 s[8:9], s[6:7]
	s_xor_b64 s[6:7], exec, s[8:9]
	s_cbranch_execnz .LBB20_3385
; %bb.1337:
	s_or_saveexec_b64 s[6:7], s[6:7]
	v_mov_b32_e32 v10, s10
	s_xor_b64 exec, exec, s[6:7]
	s_cbranch_execnz .LBB20_3388
.LBB20_1338:
	s_or_b64 exec, exec, s[6:7]
	s_and_saveexec_b64 s[6:7], s[4:5]
	s_cbranch_execz .LBB20_1340
.LBB20_1339:
	v_bfe_u32 v10, v15, 24, 3
	v_ffbh_u32_e32 v22, v10
	v_min_u32_e32 v22, 32, v22
	v_lshrrev_b32_e32 v20, 27, v15
	v_subrev_u32_e32 v23, 28, v22
	v_and_b32_e32 v14, 0x80000000, v15
	v_and_b32_e32 v20, 15, v20
	v_bfe_u32 v21, v15, 27, 4
	v_lshlrev_b32_sdwa v15, v23, v15 dst_sel:DWORD dst_unused:UNUSED_PAD src0_sel:DWORD src1_sel:BYTE_3
	v_sub_u32_e32 v22, 29, v22
	v_and_b32_e32 v15, 7, v15
	v_cmp_eq_u16_e32 vcc, 0, v20
	v_cndmask_b32_e32 v10, v10, v15, vcc
	v_cndmask_b32_e32 v15, v21, v22, vcc
	v_mov_b32_e32 v20, 0x3b800000
	v_lshlrev_b32_e32 v10, 20, v10
	v_lshl_add_u32 v15, v15, 23, v20
	v_or3_b32 v10, v14, v15, v10
.LBB20_1340:
	s_or_b64 exec, exec, s[6:7]
	s_movk_i32 s4, 0x7f
	v_cmp_gt_i16_sdwa s[6:7], v11, s4 src0_sel:BYTE_3 src1_sel:DWORD
	s_mov_b64 s[4:5], 0
                                        ; implicit-def: $sgpr10
	s_and_saveexec_b64 s[8:9], s[6:7]
	s_xor_b64 s[6:7], exec, s[8:9]
	s_cbranch_execnz .LBB20_3389
; %bb.1341:
	s_or_saveexec_b64 s[6:7], s[6:7]
	v_mov_b32_e32 v14, s10
	s_xor_b64 exec, exec, s[6:7]
	s_cbranch_execnz .LBB20_3392
.LBB20_1342:
	s_or_b64 exec, exec, s[6:7]
	s_and_saveexec_b64 s[6:7], s[4:5]
	s_cbranch_execz .LBB20_1344
.LBB20_1343:
	v_bfe_u32 v14, v11, 24, 3
	v_ffbh_u32_e32 v22, v14
	v_min_u32_e32 v22, 32, v22
	v_lshrrev_b32_e32 v20, 27, v11
	v_subrev_u32_e32 v23, 28, v22
	v_and_b32_e32 v15, 0x80000000, v11
	v_and_b32_e32 v20, 15, v20
	v_bfe_u32 v21, v11, 27, 4
	v_lshlrev_b32_sdwa v11, v23, v11 dst_sel:DWORD dst_unused:UNUSED_PAD src0_sel:DWORD src1_sel:BYTE_3
	v_sub_u32_e32 v22, 29, v22
	v_and_b32_e32 v11, 7, v11
	v_cmp_eq_u16_e32 vcc, 0, v20
	v_cndmask_b32_e32 v11, v14, v11, vcc
	v_cndmask_b32_e32 v14, v21, v22, vcc
	v_mov_b32_e32 v20, 0x3b800000
	v_lshlrev_b32_e32 v11, 20, v11
	v_lshl_add_u32 v14, v14, 23, v20
	v_or3_b32 v14, v15, v14, v11
.LBB20_1344:
	s_or_b64 exec, exec, s[6:7]
	s_nop 0
	v_mfma_f32_16x16x4f32 a[0:3], v10, v14, a[0:3]
	s_movk_i32 s4, 0x7f
	v_cmp_gt_i16_sdwa s[6:7], v16, s4 src0_sel:BYTE_0 src1_sel:DWORD
	s_mov_b64 s[4:5], 0
                                        ; implicit-def: $sgpr10
	s_and_saveexec_b64 s[8:9], s[6:7]
	s_xor_b64 s[6:7], exec, s[8:9]
	s_cbranch_execnz .LBB20_3393
; %bb.1345:
	s_or_saveexec_b64 s[6:7], s[6:7]
	v_mov_b32_e32 v10, s10
	s_xor_b64 exec, exec, s[6:7]
	s_cbranch_execnz .LBB20_3396
.LBB20_1346:
	s_or_b64 exec, exec, s[6:7]
	s_and_saveexec_b64 s[6:7], s[4:5]
	s_cbranch_execz .LBB20_1348
.LBB20_1347:
	v_and_b32_e32 v10, 7, v16
	v_ffbh_u32_e32 v14, v10
	v_min_u32_e32 v14, 32, v14
	v_lshrrev_b16_e32 v11, 3, v16
	v_subrev_u32_e32 v15, 28, v14
	v_and_b32_e32 v11, 15, v11
	v_lshlrev_b32_e32 v15, v15, v16
	v_sub_u32_e32 v14, 29, v14
	v_and_b32_e32 v15, 7, v15
	v_cmp_eq_u16_e32 vcc, 0, v11
	v_cndmask_b32_e32 v10, v10, v15, vcc
	v_cndmask_b32_e32 v11, v11, v14, vcc
	v_lshlrev_b32_e32 v14, 24, v16
	v_mov_b32_e32 v15, 0x3b800000
	v_lshlrev_b32_e32 v10, 20, v10
	v_and_b32_e32 v14, 0x80000000, v14
	v_lshl_add_u32 v11, v11, 23, v15
	v_or3_b32 v10, v14, v11, v10
.LBB20_1348:
	s_or_b64 exec, exec, s[6:7]
	s_movk_i32 s4, 0x7f
	v_cmp_gt_i16_sdwa s[6:7], v12, s4 src0_sel:BYTE_0 src1_sel:DWORD
	s_mov_b64 s[4:5], 0
                                        ; implicit-def: $sgpr10
	s_and_saveexec_b64 s[8:9], s[6:7]
	s_xor_b64 s[6:7], exec, s[8:9]
	s_cbranch_execnz .LBB20_3397
; %bb.1349:
	s_or_saveexec_b64 s[6:7], s[6:7]
	v_mov_b32_e32 v11, s10
	s_xor_b64 exec, exec, s[6:7]
	s_cbranch_execnz .LBB20_3400
.LBB20_1350:
	s_or_b64 exec, exec, s[6:7]
	s_and_saveexec_b64 s[6:7], s[4:5]
	s_cbranch_execz .LBB20_1352
.LBB20_1351:
	v_and_b32_e32 v11, 7, v12
	v_ffbh_u32_e32 v15, v11
	v_min_u32_e32 v15, 32, v15
	v_lshrrev_b16_e32 v14, 3, v12
	v_subrev_u32_e32 v20, 28, v15
	v_and_b32_e32 v14, 15, v14
	v_lshlrev_b32_e32 v20, v20, v12
	v_sub_u32_e32 v15, 29, v15
	v_and_b32_e32 v20, 7, v20
	v_cmp_eq_u16_e32 vcc, 0, v14
	v_cndmask_b32_e32 v11, v11, v20, vcc
	v_cndmask_b32_e32 v14, v14, v15, vcc
	v_lshlrev_b32_e32 v15, 24, v12
	v_mov_b32_e32 v20, 0x3b800000
	v_lshlrev_b32_e32 v11, 20, v11
	v_and_b32_e32 v15, 0x80000000, v15
	v_lshl_add_u32 v14, v14, 23, v20
	v_or3_b32 v11, v15, v14, v11
.LBB20_1352:
	s_or_b64 exec, exec, s[6:7]
	s_nop 0
	v_mfma_f32_16x16x4f32 a[0:3], v10, v11, a[0:3]
	v_lshrrev_b32_e32 v11, 8, v16
	s_movk_i32 s4, 0x7f
	v_cmp_gt_i16_sdwa s[6:7], v11, s4 src0_sel:BYTE_0 src1_sel:DWORD
	s_mov_b64 s[4:5], 0
                                        ; implicit-def: $sgpr10
	s_and_saveexec_b64 s[8:9], s[6:7]
	s_xor_b64 s[6:7], exec, s[8:9]
	s_cbranch_execnz .LBB20_3401
; %bb.1353:
	s_or_saveexec_b64 s[6:7], s[6:7]
	v_mov_b32_e32 v10, s10
	s_xor_b64 exec, exec, s[6:7]
	s_cbranch_execnz .LBB20_3404
.LBB20_1354:
	s_or_b64 exec, exec, s[6:7]
	s_and_saveexec_b64 s[6:7], s[4:5]
	s_cbranch_execz .LBB20_1356
.LBB20_1355:
	v_bfe_u32 v10, v16, 8, 3
	v_ffbh_u32_e32 v15, v10
	v_min_u32_e32 v15, 32, v15
	v_lshrrev_b16_e32 v14, 3, v11
	v_subrev_u32_e32 v20, 28, v15
	v_and_b32_e32 v14, 15, v14
	v_lshlrev_b32_e32 v11, v20, v11
	v_sub_u32_e32 v15, 29, v15
	v_and_b32_e32 v11, 7, v11
	v_cmp_eq_u16_e32 vcc, 0, v14
	v_cndmask_b32_e32 v10, v10, v11, vcc
	v_cndmask_b32_e32 v11, v14, v15, vcc
	v_lshlrev_b32_e32 v14, 16, v16
	v_mov_b32_e32 v15, 0x3b800000
	v_lshlrev_b32_e32 v10, 20, v10
	v_and_b32_e32 v14, 0x80000000, v14
	v_lshl_add_u32 v11, v11, 23, v15
	v_or3_b32 v10, v14, v11, v10
.LBB20_1356:
	s_or_b64 exec, exec, s[6:7]
	v_lshrrev_b32_e32 v11, 8, v12
	s_movk_i32 s4, 0x7f
	v_cmp_gt_i16_sdwa s[6:7], v11, s4 src0_sel:BYTE_0 src1_sel:DWORD
	s_mov_b64 s[4:5], 0
                                        ; implicit-def: $sgpr10
	s_and_saveexec_b64 s[8:9], s[6:7]
	s_xor_b64 s[6:7], exec, s[8:9]
	s_cbranch_execnz .LBB20_3405
; %bb.1357:
	s_or_saveexec_b64 s[6:7], s[6:7]
	v_mov_b32_e32 v14, s10
	s_xor_b64 exec, exec, s[6:7]
	s_cbranch_execnz .LBB20_3408
.LBB20_1358:
	s_or_b64 exec, exec, s[6:7]
	s_and_saveexec_b64 s[6:7], s[4:5]
	s_cbranch_execz .LBB20_1360
.LBB20_1359:
	v_bfe_u32 v14, v12, 8, 3
	v_ffbh_u32_e32 v20, v14
	v_min_u32_e32 v20, 32, v20
	v_lshrrev_b16_e32 v15, 3, v11
	v_subrev_u32_e32 v21, 28, v20
	v_and_b32_e32 v15, 15, v15
	v_lshlrev_b32_e32 v11, v21, v11
	v_sub_u32_e32 v20, 29, v20
	v_and_b32_e32 v11, 7, v11
	v_cmp_eq_u16_e32 vcc, 0, v15
	v_cndmask_b32_e32 v11, v14, v11, vcc
	v_cndmask_b32_e32 v14, v15, v20, vcc
	v_lshlrev_b32_e32 v15, 16, v12
	v_mov_b32_e32 v20, 0x3b800000
	v_lshlrev_b32_e32 v11, 20, v11
	v_and_b32_e32 v15, 0x80000000, v15
	v_lshl_add_u32 v14, v14, 23, v20
	v_or3_b32 v14, v15, v14, v11
.LBB20_1360:
	s_or_b64 exec, exec, s[6:7]
	s_nop 0
	v_mfma_f32_16x16x4f32 a[0:3], v10, v14, a[0:3]
	s_movk_i32 s4, 0xff
	v_and_b32_sdwa v11, v16, s4 dst_sel:DWORD dst_unused:UNUSED_PAD src0_sel:WORD_1 src1_sel:DWORD
	s_movk_i32 s4, 0x7f
	v_cmp_lt_i16_e32 vcc, s4, v11
	s_mov_b64 s[4:5], 0
                                        ; implicit-def: $sgpr10
	s_and_saveexec_b64 s[6:7], vcc
	s_xor_b64 s[6:7], exec, s[6:7]
	s_cbranch_execnz .LBB20_3409
; %bb.1361:
	s_or_saveexec_b64 s[6:7], s[6:7]
	v_mov_b32_e32 v10, s10
	s_xor_b64 exec, exec, s[6:7]
	s_cbranch_execnz .LBB20_3412
.LBB20_1362:
	s_or_b64 exec, exec, s[6:7]
	s_and_saveexec_b64 s[6:7], s[4:5]
	s_cbranch_execz .LBB20_1364
.LBB20_1363:
	v_bfe_u32 v10, v16, 16, 3
	v_ffbh_u32_e32 v15, v10
	v_min_u32_e32 v15, 32, v15
	v_lshrrev_b32_e32 v11, 19, v16
	v_subrev_u32_e32 v20, 28, v15
	v_and_b32_e32 v11, 15, v11
	v_lshlrev_b32_sdwa v20, v20, v16 dst_sel:DWORD dst_unused:UNUSED_PAD src0_sel:DWORD src1_sel:WORD_1
	v_bfe_u32 v14, v16, 19, 4
	v_sub_u32_e32 v15, 29, v15
	v_and_b32_e32 v20, 7, v20
	v_cmp_eq_u16_e32 vcc, 0, v11
	v_cndmask_b32_e32 v10, v10, v20, vcc
	v_cndmask_b32_e32 v11, v14, v15, vcc
	v_lshlrev_b32_e32 v14, 8, v16
	v_mov_b32_e32 v15, 0x3b800000
	v_lshlrev_b32_e32 v10, 20, v10
	v_and_b32_e32 v14, 0x80000000, v14
	v_lshl_add_u32 v11, v11, 23, v15
	v_or3_b32 v10, v14, v11, v10
.LBB20_1364:
	s_or_b64 exec, exec, s[6:7]
	s_movk_i32 s4, 0xff
	v_and_b32_sdwa v11, v12, s4 dst_sel:DWORD dst_unused:UNUSED_PAD src0_sel:WORD_1 src1_sel:DWORD
	s_movk_i32 s4, 0x7f
	v_cmp_lt_i16_e32 vcc, s4, v11
	s_mov_b64 s[4:5], 0
                                        ; implicit-def: $sgpr10
	s_and_saveexec_b64 s[6:7], vcc
	s_xor_b64 s[6:7], exec, s[6:7]
	s_cbranch_execnz .LBB20_3413
; %bb.1365:
	s_or_saveexec_b64 s[6:7], s[6:7]
	v_mov_b32_e32 v14, s10
	s_xor_b64 exec, exec, s[6:7]
	s_cbranch_execnz .LBB20_3416
.LBB20_1366:
	s_or_b64 exec, exec, s[6:7]
	s_and_saveexec_b64 s[6:7], s[4:5]
	s_cbranch_execz .LBB20_1368
.LBB20_1367:
	v_bfe_u32 v11, v12, 16, 3
	v_ffbh_u32_e32 v20, v11
	v_min_u32_e32 v20, 32, v20
	v_lshrrev_b32_e32 v14, 19, v12
	v_subrev_u32_e32 v21, 28, v20
	v_and_b32_e32 v14, 15, v14
	v_lshlrev_b32_sdwa v21, v21, v12 dst_sel:DWORD dst_unused:UNUSED_PAD src0_sel:DWORD src1_sel:WORD_1
	v_bfe_u32 v15, v12, 19, 4
	v_sub_u32_e32 v20, 29, v20
	v_and_b32_e32 v21, 7, v21
	v_cmp_eq_u16_e32 vcc, 0, v14
	v_cndmask_b32_e32 v11, v11, v21, vcc
	v_cndmask_b32_e32 v14, v15, v20, vcc
	v_lshlrev_b32_e32 v15, 8, v12
	v_mov_b32_e32 v20, 0x3b800000
	v_lshlrev_b32_e32 v11, 20, v11
	v_and_b32_e32 v15, 0x80000000, v15
	v_lshl_add_u32 v14, v14, 23, v20
	v_or3_b32 v14, v15, v14, v11
.LBB20_1368:
	s_or_b64 exec, exec, s[6:7]
	s_nop 0
	v_mfma_f32_16x16x4f32 a[0:3], v10, v14, a[0:3]
	s_movk_i32 s4, 0x7f
	v_cmp_gt_i16_sdwa s[6:7], v16, s4 src0_sel:BYTE_3 src1_sel:DWORD
	s_mov_b64 s[4:5], 0
                                        ; implicit-def: $sgpr10
	s_and_saveexec_b64 s[8:9], s[6:7]
	s_xor_b64 s[6:7], exec, s[8:9]
	s_cbranch_execnz .LBB20_3417
; %bb.1369:
	s_or_saveexec_b64 s[6:7], s[6:7]
	v_mov_b32_e32 v10, s10
	s_xor_b64 exec, exec, s[6:7]
	s_cbranch_execnz .LBB20_3420
.LBB20_1370:
	s_or_b64 exec, exec, s[6:7]
	s_and_saveexec_b64 s[6:7], s[4:5]
	s_cbranch_execz .LBB20_1372
.LBB20_1371:
	v_bfe_u32 v10, v16, 24, 3
	v_ffbh_u32_e32 v20, v10
	v_min_u32_e32 v20, 32, v20
	v_lshrrev_b32_e32 v14, 27, v16
	v_subrev_u32_e32 v21, 28, v20
	v_and_b32_e32 v11, 0x80000000, v16
	v_and_b32_e32 v14, 15, v14
	v_bfe_u32 v15, v16, 27, 4
	v_lshlrev_b32_sdwa v16, v21, v16 dst_sel:DWORD dst_unused:UNUSED_PAD src0_sel:DWORD src1_sel:BYTE_3
	v_sub_u32_e32 v20, 29, v20
	v_and_b32_e32 v16, 7, v16
	v_cmp_eq_u16_e32 vcc, 0, v14
	v_cndmask_b32_e32 v10, v10, v16, vcc
	v_cndmask_b32_e32 v14, v15, v20, vcc
	v_mov_b32_e32 v15, 0x3b800000
	v_lshlrev_b32_e32 v10, 20, v10
	v_lshl_add_u32 v14, v14, 23, v15
	v_or3_b32 v10, v11, v14, v10
.LBB20_1372:
	s_or_b64 exec, exec, s[6:7]
	s_movk_i32 s4, 0x7f
	v_cmp_gt_i16_sdwa s[6:7], v12, s4 src0_sel:BYTE_3 src1_sel:DWORD
	s_mov_b64 s[4:5], 0
                                        ; implicit-def: $sgpr10
	s_and_saveexec_b64 s[8:9], s[6:7]
	s_xor_b64 s[6:7], exec, s[8:9]
	s_cbranch_execnz .LBB20_3421
; %bb.1373:
	s_or_saveexec_b64 s[6:7], s[6:7]
	v_mov_b32_e32 v11, s10
	s_xor_b64 exec, exec, s[6:7]
	s_cbranch_execnz .LBB20_3424
.LBB20_1374:
	s_or_b64 exec, exec, s[6:7]
	s_and_saveexec_b64 s[6:7], s[4:5]
	s_cbranch_execz .LBB20_1376
.LBB20_1375:
	v_bfe_u32 v11, v12, 24, 3
	v_ffbh_u32_e32 v20, v11
	v_min_u32_e32 v20, 32, v20
	v_lshrrev_b32_e32 v15, 27, v12
	v_subrev_u32_e32 v21, 28, v20
	v_and_b32_e32 v14, 0x80000000, v12
	v_and_b32_e32 v15, 15, v15
	v_bfe_u32 v16, v12, 27, 4
	v_lshlrev_b32_sdwa v12, v21, v12 dst_sel:DWORD dst_unused:UNUSED_PAD src0_sel:DWORD src1_sel:BYTE_3
	v_sub_u32_e32 v20, 29, v20
	v_and_b32_e32 v12, 7, v12
	v_cmp_eq_u16_e32 vcc, 0, v15
	v_cndmask_b32_e32 v11, v11, v12, vcc
	v_cndmask_b32_e32 v12, v16, v20, vcc
	v_mov_b32_e32 v15, 0x3b800000
	v_lshlrev_b32_e32 v11, 20, v11
	v_lshl_add_u32 v12, v12, 23, v15
	v_or3_b32 v11, v14, v12, v11
.LBB20_1376:
	s_or_b64 exec, exec, s[6:7]
	s_nop 0
	v_mfma_f32_16x16x4f32 a[0:3], v10, v11, a[0:3]
	s_movk_i32 s4, 0x7f
	v_cmp_gt_i16_sdwa s[6:7], v17, s4 src0_sel:BYTE_0 src1_sel:DWORD
	s_mov_b64 s[4:5], 0
                                        ; implicit-def: $sgpr10
	s_and_saveexec_b64 s[8:9], s[6:7]
	s_xor_b64 s[6:7], exec, s[8:9]
	s_cbranch_execnz .LBB20_3425
; %bb.1377:
	s_or_saveexec_b64 s[6:7], s[6:7]
	v_mov_b32_e32 v10, s10
	s_xor_b64 exec, exec, s[6:7]
	s_cbranch_execnz .LBB20_3428
.LBB20_1378:
	s_or_b64 exec, exec, s[6:7]
	s_and_saveexec_b64 s[6:7], s[4:5]
	s_cbranch_execz .LBB20_1380
.LBB20_1379:
	v_and_b32_e32 v10, 7, v17
	v_ffbh_u32_e32 v12, v10
	v_min_u32_e32 v12, 32, v12
	v_lshrrev_b16_e32 v11, 3, v17
	v_subrev_u32_e32 v14, 28, v12
	v_and_b32_e32 v11, 15, v11
	v_lshlrev_b32_e32 v14, v14, v17
	v_sub_u32_e32 v12, 29, v12
	v_and_b32_e32 v14, 7, v14
	v_cmp_eq_u16_e32 vcc, 0, v11
	v_cndmask_b32_e32 v10, v10, v14, vcc
	v_cndmask_b32_e32 v11, v11, v12, vcc
	v_lshlrev_b32_e32 v12, 24, v17
	v_mov_b32_e32 v14, 0x3b800000
	v_lshlrev_b32_e32 v10, 20, v10
	v_and_b32_e32 v12, 0x80000000, v12
	v_lshl_add_u32 v11, v11, 23, v14
	v_or3_b32 v10, v12, v11, v10
.LBB20_1380:
	s_or_b64 exec, exec, s[6:7]
	s_movk_i32 s4, 0x7f
	v_cmp_gt_i16_sdwa s[6:7], v13, s4 src0_sel:BYTE_0 src1_sel:DWORD
	s_mov_b64 s[4:5], 0
                                        ; implicit-def: $sgpr10
	s_and_saveexec_b64 s[8:9], s[6:7]
	s_xor_b64 s[6:7], exec, s[8:9]
	s_cbranch_execnz .LBB20_3429
; %bb.1381:
	s_or_saveexec_b64 s[6:7], s[6:7]
	v_mov_b32_e32 v11, s10
	s_xor_b64 exec, exec, s[6:7]
	s_cbranch_execnz .LBB20_3432
.LBB20_1382:
	s_or_b64 exec, exec, s[6:7]
	s_and_saveexec_b64 s[6:7], s[4:5]
	s_cbranch_execz .LBB20_1384
.LBB20_1383:
	v_and_b32_e32 v11, 7, v13
	v_ffbh_u32_e32 v14, v11
	v_min_u32_e32 v14, 32, v14
	v_lshrrev_b16_e32 v12, 3, v13
	v_subrev_u32_e32 v15, 28, v14
	v_and_b32_e32 v12, 15, v12
	v_lshlrev_b32_e32 v15, v15, v13
	v_sub_u32_e32 v14, 29, v14
	v_and_b32_e32 v15, 7, v15
	v_cmp_eq_u16_e32 vcc, 0, v12
	v_cndmask_b32_e32 v11, v11, v15, vcc
	v_cndmask_b32_e32 v12, v12, v14, vcc
	v_lshlrev_b32_e32 v14, 24, v13
	v_mov_b32_e32 v15, 0x3b800000
	v_lshlrev_b32_e32 v11, 20, v11
	v_and_b32_e32 v14, 0x80000000, v14
	v_lshl_add_u32 v12, v12, 23, v15
	v_or3_b32 v11, v14, v12, v11
.LBB20_1384:
	s_or_b64 exec, exec, s[6:7]
	s_nop 0
	v_mfma_f32_16x16x4f32 a[0:3], v10, v11, a[0:3]
	v_lshrrev_b32_e32 v11, 8, v17
	s_movk_i32 s4, 0x7f
	v_cmp_gt_i16_sdwa s[6:7], v11, s4 src0_sel:BYTE_0 src1_sel:DWORD
	s_mov_b64 s[4:5], 0
                                        ; implicit-def: $sgpr10
	s_and_saveexec_b64 s[8:9], s[6:7]
	s_xor_b64 s[6:7], exec, s[8:9]
	s_cbranch_execnz .LBB20_3433
; %bb.1385:
	s_or_saveexec_b64 s[6:7], s[6:7]
	v_mov_b32_e32 v10, s10
	s_xor_b64 exec, exec, s[6:7]
	s_cbranch_execnz .LBB20_3436
.LBB20_1386:
	s_or_b64 exec, exec, s[6:7]
	s_and_saveexec_b64 s[6:7], s[4:5]
	s_cbranch_execz .LBB20_1388
.LBB20_1387:
	v_bfe_u32 v10, v17, 8, 3
	v_ffbh_u32_e32 v14, v10
	v_min_u32_e32 v14, 32, v14
	v_lshrrev_b16_e32 v12, 3, v11
	v_subrev_u32_e32 v15, 28, v14
	v_and_b32_e32 v12, 15, v12
	v_lshlrev_b32_e32 v11, v15, v11
	v_sub_u32_e32 v14, 29, v14
	v_and_b32_e32 v11, 7, v11
	v_cmp_eq_u16_e32 vcc, 0, v12
	v_cndmask_b32_e32 v10, v10, v11, vcc
	v_cndmask_b32_e32 v11, v12, v14, vcc
	v_lshlrev_b32_e32 v12, 16, v17
	v_mov_b32_e32 v14, 0x3b800000
	v_lshlrev_b32_e32 v10, 20, v10
	v_and_b32_e32 v12, 0x80000000, v12
	v_lshl_add_u32 v11, v11, 23, v14
	v_or3_b32 v10, v12, v11, v10
.LBB20_1388:
	s_or_b64 exec, exec, s[6:7]
	v_lshrrev_b32_e32 v11, 8, v13
	s_movk_i32 s4, 0x7f
	v_cmp_gt_i16_sdwa s[6:7], v11, s4 src0_sel:BYTE_0 src1_sel:DWORD
	s_mov_b64 s[4:5], 0
                                        ; implicit-def: $sgpr10
	s_and_saveexec_b64 s[8:9], s[6:7]
	s_xor_b64 s[6:7], exec, s[8:9]
	s_cbranch_execnz .LBB20_3437
; %bb.1389:
	s_or_saveexec_b64 s[6:7], s[6:7]
	v_mov_b32_e32 v12, s10
	s_xor_b64 exec, exec, s[6:7]
	s_cbranch_execnz .LBB20_3440
.LBB20_1390:
	s_or_b64 exec, exec, s[6:7]
	s_and_saveexec_b64 s[6:7], s[4:5]
	s_cbranch_execz .LBB20_1392
.LBB20_1391:
	v_bfe_u32 v12, v13, 8, 3
	v_ffbh_u32_e32 v15, v12
	v_min_u32_e32 v15, 32, v15
	v_lshrrev_b16_e32 v14, 3, v11
	v_subrev_u32_e32 v16, 28, v15
	v_and_b32_e32 v14, 15, v14
	v_lshlrev_b32_e32 v11, v16, v11
	v_sub_u32_e32 v15, 29, v15
	v_and_b32_e32 v11, 7, v11
	v_cmp_eq_u16_e32 vcc, 0, v14
	v_cndmask_b32_e32 v11, v12, v11, vcc
	v_cndmask_b32_e32 v12, v14, v15, vcc
	v_lshlrev_b32_e32 v14, 16, v13
	v_mov_b32_e32 v15, 0x3b800000
	v_lshlrev_b32_e32 v11, 20, v11
	v_and_b32_e32 v14, 0x80000000, v14
	v_lshl_add_u32 v12, v12, 23, v15
	v_or3_b32 v12, v14, v12, v11
.LBB20_1392:
	s_or_b64 exec, exec, s[6:7]
	s_nop 0
	v_mfma_f32_16x16x4f32 a[0:3], v10, v12, a[0:3]
	s_movk_i32 s4, 0xff
	v_and_b32_sdwa v11, v17, s4 dst_sel:DWORD dst_unused:UNUSED_PAD src0_sel:WORD_1 src1_sel:DWORD
	s_movk_i32 s4, 0x7f
	v_cmp_lt_i16_e32 vcc, s4, v11
	s_mov_b64 s[4:5], 0
                                        ; implicit-def: $sgpr10
	s_and_saveexec_b64 s[6:7], vcc
	s_xor_b64 s[6:7], exec, s[6:7]
	s_cbranch_execnz .LBB20_3441
; %bb.1393:
	s_or_saveexec_b64 s[6:7], s[6:7]
	v_mov_b32_e32 v10, s10
	s_xor_b64 exec, exec, s[6:7]
	s_cbranch_execnz .LBB20_3444
.LBB20_1394:
	s_or_b64 exec, exec, s[6:7]
	s_and_saveexec_b64 s[6:7], s[4:5]
	s_cbranch_execz .LBB20_1396
.LBB20_1395:
	v_bfe_u32 v10, v17, 16, 3
	v_ffbh_u32_e32 v14, v10
	v_min_u32_e32 v14, 32, v14
	v_lshrrev_b32_e32 v11, 19, v17
	v_subrev_u32_e32 v15, 28, v14
	v_and_b32_e32 v11, 15, v11
	v_lshlrev_b32_sdwa v15, v15, v17 dst_sel:DWORD dst_unused:UNUSED_PAD src0_sel:DWORD src1_sel:WORD_1
	v_bfe_u32 v12, v17, 19, 4
	v_sub_u32_e32 v14, 29, v14
	v_and_b32_e32 v15, 7, v15
	v_cmp_eq_u16_e32 vcc, 0, v11
	v_cndmask_b32_e32 v10, v10, v15, vcc
	v_cndmask_b32_e32 v11, v12, v14, vcc
	v_lshlrev_b32_e32 v12, 8, v17
	v_mov_b32_e32 v14, 0x3b800000
	v_lshlrev_b32_e32 v10, 20, v10
	v_and_b32_e32 v12, 0x80000000, v12
	v_lshl_add_u32 v11, v11, 23, v14
	v_or3_b32 v10, v12, v11, v10
.LBB20_1396:
	s_or_b64 exec, exec, s[6:7]
	s_movk_i32 s4, 0xff
	v_and_b32_sdwa v11, v13, s4 dst_sel:DWORD dst_unused:UNUSED_PAD src0_sel:WORD_1 src1_sel:DWORD
	s_movk_i32 s4, 0x7f
	v_cmp_lt_i16_e32 vcc, s4, v11
	s_mov_b64 s[4:5], 0
                                        ; implicit-def: $sgpr10
	s_and_saveexec_b64 s[6:7], vcc
	s_xor_b64 s[6:7], exec, s[6:7]
	s_cbranch_execnz .LBB20_3445
; %bb.1397:
	s_or_saveexec_b64 s[6:7], s[6:7]
	v_mov_b32_e32 v12, s10
	s_xor_b64 exec, exec, s[6:7]
	s_cbranch_execnz .LBB20_3448
.LBB20_1398:
	s_or_b64 exec, exec, s[6:7]
	s_and_saveexec_b64 s[6:7], s[4:5]
	s_cbranch_execz .LBB20_1400
.LBB20_1399:
	v_bfe_u32 v11, v13, 16, 3
	v_ffbh_u32_e32 v15, v11
	v_min_u32_e32 v15, 32, v15
	v_lshrrev_b32_e32 v12, 19, v13
	v_subrev_u32_e32 v16, 28, v15
	v_and_b32_e32 v12, 15, v12
	v_lshlrev_b32_sdwa v16, v16, v13 dst_sel:DWORD dst_unused:UNUSED_PAD src0_sel:DWORD src1_sel:WORD_1
	v_bfe_u32 v14, v13, 19, 4
	v_sub_u32_e32 v15, 29, v15
	v_and_b32_e32 v16, 7, v16
	v_cmp_eq_u16_e32 vcc, 0, v12
	v_cndmask_b32_e32 v11, v11, v16, vcc
	v_cndmask_b32_e32 v12, v14, v15, vcc
	v_lshlrev_b32_e32 v14, 8, v13
	v_mov_b32_e32 v15, 0x3b800000
	v_lshlrev_b32_e32 v11, 20, v11
	v_and_b32_e32 v14, 0x80000000, v14
	v_lshl_add_u32 v12, v12, 23, v15
	v_or3_b32 v12, v14, v12, v11
.LBB20_1400:
	s_or_b64 exec, exec, s[6:7]
	s_nop 0
	v_mfma_f32_16x16x4f32 a[0:3], v10, v12, a[0:3]
	s_movk_i32 s4, 0x7f
	v_cmp_gt_i16_sdwa s[6:7], v17, s4 src0_sel:BYTE_3 src1_sel:DWORD
	s_mov_b64 s[4:5], 0
                                        ; implicit-def: $sgpr10
	s_and_saveexec_b64 s[8:9], s[6:7]
	s_xor_b64 s[6:7], exec, s[8:9]
	s_cbranch_execnz .LBB20_3449
; %bb.1401:
	s_or_saveexec_b64 s[6:7], s[6:7]
	v_mov_b32_e32 v10, s10
	s_xor_b64 exec, exec, s[6:7]
	s_cbranch_execnz .LBB20_3452
.LBB20_1402:
	s_or_b64 exec, exec, s[6:7]
	s_and_saveexec_b64 s[6:7], s[4:5]
	s_cbranch_execz .LBB20_1404
.LBB20_1403:
	v_bfe_u32 v10, v17, 24, 3
	v_ffbh_u32_e32 v15, v10
	v_min_u32_e32 v15, 32, v15
	v_lshrrev_b32_e32 v12, 27, v17
	v_subrev_u32_e32 v16, 28, v15
	v_and_b32_e32 v12, 15, v12
	v_lshlrev_b32_sdwa v16, v16, v17 dst_sel:DWORD dst_unused:UNUSED_PAD src0_sel:DWORD src1_sel:BYTE_3
	v_bfe_u32 v14, v17, 27, 4
	v_sub_u32_e32 v15, 29, v15
	v_and_b32_e32 v16, 7, v16
	v_cmp_eq_u16_e32 vcc, 0, v12
	v_cndmask_b32_e32 v10, v10, v16, vcc
	v_cndmask_b32_e32 v12, v14, v15, vcc
	v_mov_b32_e32 v14, 0x3b800000
	v_and_b32_e32 v11, 0x80000000, v17
	v_lshlrev_b32_e32 v10, 20, v10
	v_lshl_add_u32 v12, v12, 23, v14
	v_or3_b32 v10, v11, v12, v10
.LBB20_1404:
	s_or_b64 exec, exec, s[6:7]
	s_movk_i32 s4, 0x7f
	v_cmp_gt_i16_sdwa s[6:7], v13, s4 src0_sel:BYTE_3 src1_sel:DWORD
	s_mov_b64 s[4:5], 0
                                        ; implicit-def: $sgpr10
	s_and_saveexec_b64 s[8:9], s[6:7]
	s_xor_b64 s[6:7], exec, s[8:9]
	s_cbranch_execnz .LBB20_3453
; %bb.1405:
	s_or_saveexec_b64 s[6:7], s[6:7]
	v_mov_b32_e32 v11, s10
	s_xor_b64 exec, exec, s[6:7]
	s_cbranch_execnz .LBB20_3456
.LBB20_1406:
	s_or_b64 exec, exec, s[6:7]
	s_and_saveexec_b64 s[6:7], s[4:5]
	s_cbranch_execz .LBB20_1408
.LBB20_1407:
	v_bfe_u32 v11, v13, 24, 3
	v_ffbh_u32_e32 v16, v11
	v_min_u32_e32 v16, 32, v16
	v_lshrrev_b32_e32 v14, 27, v13
	v_subrev_u32_e32 v17, 28, v16
	v_and_b32_e32 v12, 0x80000000, v13
	v_and_b32_e32 v14, 15, v14
	v_bfe_u32 v15, v13, 27, 4
	v_lshlrev_b32_sdwa v13, v17, v13 dst_sel:DWORD dst_unused:UNUSED_PAD src0_sel:DWORD src1_sel:BYTE_3
	v_sub_u32_e32 v16, 29, v16
	v_and_b32_e32 v13, 7, v13
	v_cmp_eq_u16_e32 vcc, 0, v14
	v_cndmask_b32_e32 v11, v11, v13, vcc
	v_cndmask_b32_e32 v13, v15, v16, vcc
	v_mov_b32_e32 v14, 0x3b800000
	v_lshlrev_b32_e32 v11, 20, v11
	v_lshl_add_u32 v13, v13, 23, v14
	v_or3_b32 v11, v12, v13, v11
.LBB20_1408:
	s_or_b64 exec, exec, s[6:7]
	s_nop 0
	v_mfma_f32_16x16x4f32 a[0:3], v10, v11, a[0:3]
	s_movk_i32 s4, 0x7f
	v_cmp_gt_i16_sdwa s[6:7], v6, s4 src0_sel:BYTE_0 src1_sel:DWORD
	s_mov_b64 s[4:5], 0
                                        ; implicit-def: $sgpr10
	s_and_saveexec_b64 s[8:9], s[6:7]
	s_xor_b64 s[6:7], exec, s[8:9]
	s_cbranch_execnz .LBB20_3457
; %bb.1409:
	s_or_saveexec_b64 s[6:7], s[6:7]
	v_mov_b32_e32 v10, s10
	s_xor_b64 exec, exec, s[6:7]
	s_cbranch_execnz .LBB20_3460
.LBB20_1410:
	s_or_b64 exec, exec, s[6:7]
	s_and_saveexec_b64 s[6:7], s[4:5]
	s_cbranch_execz .LBB20_1412
.LBB20_1411:
	v_and_b32_e32 v10, 7, v6
	v_ffbh_u32_e32 v12, v10
	v_min_u32_e32 v12, 32, v12
	v_lshrrev_b16_e32 v11, 3, v6
	v_subrev_u32_e32 v13, 28, v12
	v_and_b32_e32 v11, 15, v11
	v_lshlrev_b32_e32 v13, v13, v6
	v_sub_u32_e32 v12, 29, v12
	v_and_b32_e32 v13, 7, v13
	v_cmp_eq_u16_e32 vcc, 0, v11
	v_cndmask_b32_e32 v10, v10, v13, vcc
	v_cndmask_b32_e32 v11, v11, v12, vcc
	v_lshlrev_b32_e32 v12, 24, v6
	v_mov_b32_e32 v13, 0x3b800000
	v_lshlrev_b32_e32 v10, 20, v10
	v_and_b32_e32 v12, 0x80000000, v12
	v_lshl_add_u32 v11, v11, 23, v13
	v_or3_b32 v10, v12, v11, v10
.LBB20_1412:
	s_or_b64 exec, exec, s[6:7]
	s_movk_i32 s4, 0x7f
	v_cmp_gt_i16_sdwa s[6:7], v2, s4 src0_sel:BYTE_0 src1_sel:DWORD
	s_mov_b64 s[4:5], 0
                                        ; implicit-def: $sgpr10
	s_and_saveexec_b64 s[8:9], s[6:7]
	s_xor_b64 s[6:7], exec, s[8:9]
	s_cbranch_execnz .LBB20_3461
; %bb.1413:
	s_or_saveexec_b64 s[6:7], s[6:7]
	v_mov_b32_e32 v11, s10
	s_xor_b64 exec, exec, s[6:7]
	s_cbranch_execnz .LBB20_3464
.LBB20_1414:
	s_or_b64 exec, exec, s[6:7]
	s_and_saveexec_b64 s[6:7], s[4:5]
	s_cbranch_execz .LBB20_1416
.LBB20_1415:
	v_and_b32_e32 v11, 7, v2
	v_ffbh_u32_e32 v13, v11
	v_min_u32_e32 v13, 32, v13
	v_lshrrev_b16_e32 v12, 3, v2
	v_subrev_u32_e32 v14, 28, v13
	v_and_b32_e32 v12, 15, v12
	v_lshlrev_b32_e32 v14, v14, v2
	v_sub_u32_e32 v13, 29, v13
	v_and_b32_e32 v14, 7, v14
	v_cmp_eq_u16_e32 vcc, 0, v12
	v_cndmask_b32_e32 v11, v11, v14, vcc
	v_cndmask_b32_e32 v12, v12, v13, vcc
	v_lshlrev_b32_e32 v13, 24, v2
	v_mov_b32_e32 v14, 0x3b800000
	v_lshlrev_b32_e32 v11, 20, v11
	v_and_b32_e32 v13, 0x80000000, v13
	v_lshl_add_u32 v12, v12, 23, v14
	v_or3_b32 v11, v13, v12, v11
.LBB20_1416:
	s_or_b64 exec, exec, s[6:7]
	s_nop 0
	v_mfma_f32_16x16x4f32 a[0:3], v10, v11, a[0:3]
	v_lshrrev_b32_e32 v11, 8, v6
	s_movk_i32 s4, 0x7f
	v_cmp_gt_i16_sdwa s[6:7], v11, s4 src0_sel:BYTE_0 src1_sel:DWORD
	s_mov_b64 s[4:5], 0
                                        ; implicit-def: $sgpr10
	s_and_saveexec_b64 s[8:9], s[6:7]
	s_xor_b64 s[6:7], exec, s[8:9]
	s_cbranch_execnz .LBB20_3465
; %bb.1417:
	s_or_saveexec_b64 s[6:7], s[6:7]
	v_mov_b32_e32 v10, s10
	s_xor_b64 exec, exec, s[6:7]
	s_cbranch_execnz .LBB20_3468
.LBB20_1418:
	s_or_b64 exec, exec, s[6:7]
	s_and_saveexec_b64 s[6:7], s[4:5]
	s_cbranch_execz .LBB20_1420
.LBB20_1419:
	v_bfe_u32 v10, v6, 8, 3
	v_ffbh_u32_e32 v13, v10
	v_min_u32_e32 v13, 32, v13
	v_lshrrev_b16_e32 v12, 3, v11
	v_subrev_u32_e32 v14, 28, v13
	v_and_b32_e32 v12, 15, v12
	v_lshlrev_b32_e32 v11, v14, v11
	v_sub_u32_e32 v13, 29, v13
	v_and_b32_e32 v11, 7, v11
	v_cmp_eq_u16_e32 vcc, 0, v12
	v_cndmask_b32_e32 v10, v10, v11, vcc
	v_cndmask_b32_e32 v11, v12, v13, vcc
	v_lshlrev_b32_e32 v12, 16, v6
	v_mov_b32_e32 v13, 0x3b800000
	v_lshlrev_b32_e32 v10, 20, v10
	v_and_b32_e32 v12, 0x80000000, v12
	v_lshl_add_u32 v11, v11, 23, v13
	v_or3_b32 v10, v12, v11, v10
.LBB20_1420:
	s_or_b64 exec, exec, s[6:7]
	v_lshrrev_b32_e32 v11, 8, v2
	s_movk_i32 s4, 0x7f
	v_cmp_gt_i16_sdwa s[6:7], v11, s4 src0_sel:BYTE_0 src1_sel:DWORD
	s_mov_b64 s[4:5], 0
                                        ; implicit-def: $sgpr10
	s_and_saveexec_b64 s[8:9], s[6:7]
	s_xor_b64 s[6:7], exec, s[8:9]
	s_cbranch_execnz .LBB20_3469
; %bb.1421:
	s_or_saveexec_b64 s[6:7], s[6:7]
	v_mov_b32_e32 v12, s10
	s_xor_b64 exec, exec, s[6:7]
	s_cbranch_execnz .LBB20_3472
.LBB20_1422:
	s_or_b64 exec, exec, s[6:7]
	s_and_saveexec_b64 s[6:7], s[4:5]
	s_cbranch_execz .LBB20_1424
.LBB20_1423:
	v_bfe_u32 v12, v2, 8, 3
	v_ffbh_u32_e32 v14, v12
	v_min_u32_e32 v14, 32, v14
	v_lshrrev_b16_e32 v13, 3, v11
	v_subrev_u32_e32 v15, 28, v14
	v_and_b32_e32 v13, 15, v13
	v_lshlrev_b32_e32 v11, v15, v11
	v_sub_u32_e32 v14, 29, v14
	v_and_b32_e32 v11, 7, v11
	v_cmp_eq_u16_e32 vcc, 0, v13
	v_cndmask_b32_e32 v11, v12, v11, vcc
	v_cndmask_b32_e32 v12, v13, v14, vcc
	v_lshlrev_b32_e32 v13, 16, v2
	v_mov_b32_e32 v14, 0x3b800000
	v_lshlrev_b32_e32 v11, 20, v11
	v_and_b32_e32 v13, 0x80000000, v13
	v_lshl_add_u32 v12, v12, 23, v14
	v_or3_b32 v12, v13, v12, v11
.LBB20_1424:
	s_or_b64 exec, exec, s[6:7]
	s_nop 0
	v_mfma_f32_16x16x4f32 a[0:3], v10, v12, a[0:3]
	s_movk_i32 s4, 0xff
	v_and_b32_sdwa v11, v6, s4 dst_sel:DWORD dst_unused:UNUSED_PAD src0_sel:WORD_1 src1_sel:DWORD
	s_movk_i32 s4, 0x7f
	v_cmp_lt_i16_e32 vcc, s4, v11
	s_mov_b64 s[4:5], 0
                                        ; implicit-def: $sgpr10
	s_and_saveexec_b64 s[6:7], vcc
	s_xor_b64 s[6:7], exec, s[6:7]
	s_cbranch_execnz .LBB20_3473
; %bb.1425:
	s_or_saveexec_b64 s[6:7], s[6:7]
	v_mov_b32_e32 v10, s10
	s_xor_b64 exec, exec, s[6:7]
	s_cbranch_execnz .LBB20_3476
.LBB20_1426:
	s_or_b64 exec, exec, s[6:7]
	s_and_saveexec_b64 s[6:7], s[4:5]
	s_cbranch_execz .LBB20_1428
.LBB20_1427:
	v_bfe_u32 v10, v6, 16, 3
	v_ffbh_u32_e32 v13, v10
	v_min_u32_e32 v13, 32, v13
	v_lshrrev_b32_e32 v11, 19, v6
	v_subrev_u32_e32 v14, 28, v13
	v_and_b32_e32 v11, 15, v11
	v_lshlrev_b32_sdwa v14, v14, v6 dst_sel:DWORD dst_unused:UNUSED_PAD src0_sel:DWORD src1_sel:WORD_1
	v_bfe_u32 v12, v6, 19, 4
	v_sub_u32_e32 v13, 29, v13
	v_and_b32_e32 v14, 7, v14
	v_cmp_eq_u16_e32 vcc, 0, v11
	v_cndmask_b32_e32 v10, v10, v14, vcc
	v_cndmask_b32_e32 v11, v12, v13, vcc
	v_lshlrev_b32_e32 v12, 8, v6
	v_mov_b32_e32 v13, 0x3b800000
	v_lshlrev_b32_e32 v10, 20, v10
	v_and_b32_e32 v12, 0x80000000, v12
	v_lshl_add_u32 v11, v11, 23, v13
	v_or3_b32 v10, v12, v11, v10
.LBB20_1428:
	s_or_b64 exec, exec, s[6:7]
	s_movk_i32 s4, 0xff
	v_and_b32_sdwa v11, v2, s4 dst_sel:DWORD dst_unused:UNUSED_PAD src0_sel:WORD_1 src1_sel:DWORD
	s_movk_i32 s4, 0x7f
	v_cmp_lt_i16_e32 vcc, s4, v11
	s_mov_b64 s[4:5], 0
                                        ; implicit-def: $sgpr10
	s_and_saveexec_b64 s[6:7], vcc
	s_xor_b64 s[6:7], exec, s[6:7]
	s_cbranch_execnz .LBB20_3477
; %bb.1429:
	s_or_saveexec_b64 s[6:7], s[6:7]
	v_mov_b32_e32 v12, s10
	s_xor_b64 exec, exec, s[6:7]
	s_cbranch_execnz .LBB20_3480
.LBB20_1430:
	s_or_b64 exec, exec, s[6:7]
	s_and_saveexec_b64 s[6:7], s[4:5]
	s_cbranch_execz .LBB20_1432
.LBB20_1431:
	v_bfe_u32 v11, v2, 16, 3
	v_ffbh_u32_e32 v14, v11
	v_min_u32_e32 v14, 32, v14
	v_lshrrev_b32_e32 v12, 19, v2
	v_subrev_u32_e32 v15, 28, v14
	v_and_b32_e32 v12, 15, v12
	v_lshlrev_b32_sdwa v15, v15, v2 dst_sel:DWORD dst_unused:UNUSED_PAD src0_sel:DWORD src1_sel:WORD_1
	v_bfe_u32 v13, v2, 19, 4
	v_sub_u32_e32 v14, 29, v14
	v_and_b32_e32 v15, 7, v15
	v_cmp_eq_u16_e32 vcc, 0, v12
	v_cndmask_b32_e32 v11, v11, v15, vcc
	v_cndmask_b32_e32 v12, v13, v14, vcc
	v_lshlrev_b32_e32 v13, 8, v2
	v_mov_b32_e32 v14, 0x3b800000
	v_lshlrev_b32_e32 v11, 20, v11
	v_and_b32_e32 v13, 0x80000000, v13
	v_lshl_add_u32 v12, v12, 23, v14
	v_or3_b32 v12, v13, v12, v11
.LBB20_1432:
	s_or_b64 exec, exec, s[6:7]
	s_nop 0
	v_mfma_f32_16x16x4f32 a[0:3], v10, v12, a[0:3]
	s_movk_i32 s4, 0x7f
	v_cmp_gt_i16_sdwa s[6:7], v6, s4 src0_sel:BYTE_3 src1_sel:DWORD
	s_mov_b64 s[4:5], 0
                                        ; implicit-def: $sgpr10
	s_and_saveexec_b64 s[8:9], s[6:7]
	s_xor_b64 s[6:7], exec, s[8:9]
	s_cbranch_execnz .LBB20_3481
; %bb.1433:
	s_or_saveexec_b64 s[6:7], s[6:7]
	v_mov_b32_e32 v10, s10
	s_xor_b64 exec, exec, s[6:7]
	s_cbranch_execnz .LBB20_3484
.LBB20_1434:
	s_or_b64 exec, exec, s[6:7]
	s_and_saveexec_b64 s[6:7], s[4:5]
	s_cbranch_execz .LBB20_1436
.LBB20_1435:
	v_bfe_u32 v10, v6, 24, 3
	v_ffbh_u32_e32 v14, v10
	v_min_u32_e32 v14, 32, v14
	v_lshrrev_b32_e32 v12, 27, v6
	v_subrev_u32_e32 v15, 28, v14
	v_and_b32_e32 v11, 0x80000000, v6
	v_and_b32_e32 v12, 15, v12
	v_bfe_u32 v13, v6, 27, 4
	v_lshlrev_b32_sdwa v6, v15, v6 dst_sel:DWORD dst_unused:UNUSED_PAD src0_sel:DWORD src1_sel:BYTE_3
	v_sub_u32_e32 v14, 29, v14
	v_and_b32_e32 v6, 7, v6
	v_cmp_eq_u16_e32 vcc, 0, v12
	v_cndmask_b32_e32 v6, v10, v6, vcc
	v_cndmask_b32_e32 v10, v13, v14, vcc
	v_mov_b32_e32 v12, 0x3b800000
	v_lshlrev_b32_e32 v6, 20, v6
	v_lshl_add_u32 v10, v10, 23, v12
	v_or3_b32 v10, v11, v10, v6
.LBB20_1436:
	s_or_b64 exec, exec, s[6:7]
	s_movk_i32 s4, 0x7f
	v_cmp_gt_i16_sdwa s[6:7], v2, s4 src0_sel:BYTE_3 src1_sel:DWORD
	s_mov_b64 s[4:5], 0
                                        ; implicit-def: $sgpr10
	s_and_saveexec_b64 s[8:9], s[6:7]
	s_xor_b64 s[6:7], exec, s[8:9]
	s_cbranch_execnz .LBB20_3485
; %bb.1437:
	s_or_saveexec_b64 s[6:7], s[6:7]
	v_mov_b32_e32 v6, s10
	s_xor_b64 exec, exec, s[6:7]
	s_cbranch_execnz .LBB20_3488
.LBB20_1438:
	s_or_b64 exec, exec, s[6:7]
	s_and_saveexec_b64 s[6:7], s[4:5]
	s_cbranch_execz .LBB20_1440
.LBB20_1439:
	v_bfe_u32 v6, v2, 24, 3
	v_ffbh_u32_e32 v14, v6
	v_min_u32_e32 v14, 32, v14
	v_lshrrev_b32_e32 v12, 27, v2
	v_subrev_u32_e32 v15, 28, v14
	v_and_b32_e32 v11, 0x80000000, v2
	v_and_b32_e32 v12, 15, v12
	v_bfe_u32 v13, v2, 27, 4
	v_lshlrev_b32_sdwa v2, v15, v2 dst_sel:DWORD dst_unused:UNUSED_PAD src0_sel:DWORD src1_sel:BYTE_3
	v_sub_u32_e32 v14, 29, v14
	v_and_b32_e32 v2, 7, v2
	v_cmp_eq_u16_e32 vcc, 0, v12
	v_cndmask_b32_e32 v2, v6, v2, vcc
	v_cndmask_b32_e32 v6, v13, v14, vcc
	v_mov_b32_e32 v12, 0x3b800000
	v_lshlrev_b32_e32 v2, 20, v2
	v_lshl_add_u32 v6, v6, 23, v12
	v_or3_b32 v6, v11, v6, v2
.LBB20_1440:
	s_or_b64 exec, exec, s[6:7]
	s_nop 0
	v_mfma_f32_16x16x4f32 a[0:3], v10, v6, a[0:3]
	s_movk_i32 s4, 0x7f
	v_cmp_gt_i16_sdwa s[6:7], v7, s4 src0_sel:BYTE_0 src1_sel:DWORD
	s_mov_b64 s[4:5], 0
                                        ; implicit-def: $sgpr10
	s_and_saveexec_b64 s[8:9], s[6:7]
	s_xor_b64 s[6:7], exec, s[8:9]
	s_cbranch_execnz .LBB20_3489
; %bb.1441:
	s_or_saveexec_b64 s[6:7], s[6:7]
	v_mov_b32_e32 v2, s10
	s_xor_b64 exec, exec, s[6:7]
	s_cbranch_execnz .LBB20_3492
.LBB20_1442:
	s_or_b64 exec, exec, s[6:7]
	s_and_saveexec_b64 s[6:7], s[4:5]
	s_cbranch_execz .LBB20_1444
.LBB20_1443:
	v_and_b32_e32 v2, 7, v7
	v_ffbh_u32_e32 v10, v2
	v_min_u32_e32 v10, 32, v10
	v_lshrrev_b16_e32 v6, 3, v7
	v_subrev_u32_e32 v11, 28, v10
	v_and_b32_e32 v6, 15, v6
	v_lshlrev_b32_e32 v11, v11, v7
	v_sub_u32_e32 v10, 29, v10
	v_and_b32_e32 v11, 7, v11
	v_cmp_eq_u16_e32 vcc, 0, v6
	v_cndmask_b32_e32 v2, v2, v11, vcc
	v_cndmask_b32_e32 v6, v6, v10, vcc
	v_lshlrev_b32_e32 v10, 24, v7
	v_mov_b32_e32 v11, 0x3b800000
	v_lshlrev_b32_e32 v2, 20, v2
	v_and_b32_e32 v10, 0x80000000, v10
	v_lshl_add_u32 v6, v6, 23, v11
	v_or3_b32 v2, v10, v6, v2
.LBB20_1444:
	s_or_b64 exec, exec, s[6:7]
	s_movk_i32 s4, 0x7f
	v_cmp_gt_i16_sdwa s[6:7], v3, s4 src0_sel:BYTE_0 src1_sel:DWORD
	s_mov_b64 s[4:5], 0
                                        ; implicit-def: $sgpr10
	s_and_saveexec_b64 s[8:9], s[6:7]
	s_xor_b64 s[6:7], exec, s[8:9]
	s_cbranch_execnz .LBB20_3493
; %bb.1445:
	s_or_saveexec_b64 s[6:7], s[6:7]
	v_mov_b32_e32 v6, s10
	s_xor_b64 exec, exec, s[6:7]
	s_cbranch_execnz .LBB20_3496
.LBB20_1446:
	s_or_b64 exec, exec, s[6:7]
	s_and_saveexec_b64 s[6:7], s[4:5]
	s_cbranch_execz .LBB20_1448
.LBB20_1447:
	v_and_b32_e32 v6, 7, v3
	v_ffbh_u32_e32 v11, v6
	v_min_u32_e32 v11, 32, v11
	v_lshrrev_b16_e32 v10, 3, v3
	v_subrev_u32_e32 v12, 28, v11
	v_and_b32_e32 v10, 15, v10
	v_lshlrev_b32_e32 v12, v12, v3
	v_sub_u32_e32 v11, 29, v11
	v_and_b32_e32 v12, 7, v12
	v_cmp_eq_u16_e32 vcc, 0, v10
	v_cndmask_b32_e32 v6, v6, v12, vcc
	v_cndmask_b32_e32 v10, v10, v11, vcc
	v_lshlrev_b32_e32 v11, 24, v3
	v_mov_b32_e32 v12, 0x3b800000
	v_lshlrev_b32_e32 v6, 20, v6
	v_and_b32_e32 v11, 0x80000000, v11
	v_lshl_add_u32 v10, v10, 23, v12
	v_or3_b32 v6, v11, v10, v6
.LBB20_1448:
	s_or_b64 exec, exec, s[6:7]
	s_nop 0
	v_mfma_f32_16x16x4f32 a[0:3], v2, v6, a[0:3]
	v_lshrrev_b32_e32 v6, 8, v7
	s_movk_i32 s4, 0x7f
	v_cmp_gt_i16_sdwa s[6:7], v6, s4 src0_sel:BYTE_0 src1_sel:DWORD
	s_mov_b64 s[4:5], 0
                                        ; implicit-def: $sgpr10
	s_and_saveexec_b64 s[8:9], s[6:7]
	s_xor_b64 s[6:7], exec, s[8:9]
	s_cbranch_execnz .LBB20_3497
; %bb.1449:
	s_or_saveexec_b64 s[6:7], s[6:7]
	v_mov_b32_e32 v2, s10
	s_xor_b64 exec, exec, s[6:7]
	s_cbranch_execnz .LBB20_3500
.LBB20_1450:
	s_or_b64 exec, exec, s[6:7]
	s_and_saveexec_b64 s[6:7], s[4:5]
	s_cbranch_execz .LBB20_1452
.LBB20_1451:
	v_bfe_u32 v2, v7, 8, 3
	v_ffbh_u32_e32 v11, v2
	v_min_u32_e32 v11, 32, v11
	v_lshrrev_b16_e32 v10, 3, v6
	v_subrev_u32_e32 v12, 28, v11
	v_and_b32_e32 v10, 15, v10
	v_lshlrev_b32_e32 v6, v12, v6
	v_sub_u32_e32 v11, 29, v11
	v_and_b32_e32 v6, 7, v6
	v_cmp_eq_u16_e32 vcc, 0, v10
	v_cndmask_b32_e32 v2, v2, v6, vcc
	v_cndmask_b32_e32 v6, v10, v11, vcc
	v_lshlrev_b32_e32 v10, 16, v7
	v_mov_b32_e32 v11, 0x3b800000
	v_lshlrev_b32_e32 v2, 20, v2
	v_and_b32_e32 v10, 0x80000000, v10
	v_lshl_add_u32 v6, v6, 23, v11
	v_or3_b32 v2, v10, v6, v2
.LBB20_1452:
	s_or_b64 exec, exec, s[6:7]
	v_lshrrev_b32_e32 v6, 8, v3
	s_movk_i32 s4, 0x7f
	v_cmp_gt_i16_sdwa s[6:7], v6, s4 src0_sel:BYTE_0 src1_sel:DWORD
	s_mov_b64 s[4:5], 0
                                        ; implicit-def: $sgpr10
	s_and_saveexec_b64 s[8:9], s[6:7]
	s_xor_b64 s[6:7], exec, s[8:9]
	s_cbranch_execnz .LBB20_3501
; %bb.1453:
	s_or_saveexec_b64 s[6:7], s[6:7]
	v_mov_b32_e32 v10, s10
	s_xor_b64 exec, exec, s[6:7]
	s_cbranch_execnz .LBB20_3504
.LBB20_1454:
	s_or_b64 exec, exec, s[6:7]
	s_and_saveexec_b64 s[6:7], s[4:5]
	s_cbranch_execz .LBB20_1456
.LBB20_1455:
	v_bfe_u32 v10, v3, 8, 3
	v_ffbh_u32_e32 v12, v10
	v_min_u32_e32 v12, 32, v12
	v_lshrrev_b16_e32 v11, 3, v6
	v_subrev_u32_e32 v13, 28, v12
	v_and_b32_e32 v11, 15, v11
	v_lshlrev_b32_e32 v6, v13, v6
	v_sub_u32_e32 v12, 29, v12
	v_and_b32_e32 v6, 7, v6
	v_cmp_eq_u16_e32 vcc, 0, v11
	v_cndmask_b32_e32 v6, v10, v6, vcc
	v_cndmask_b32_e32 v10, v11, v12, vcc
	v_lshlrev_b32_e32 v11, 16, v3
	v_mov_b32_e32 v12, 0x3b800000
	v_lshlrev_b32_e32 v6, 20, v6
	v_and_b32_e32 v11, 0x80000000, v11
	v_lshl_add_u32 v10, v10, 23, v12
	v_or3_b32 v10, v11, v10, v6
.LBB20_1456:
	s_or_b64 exec, exec, s[6:7]
	s_nop 0
	v_mfma_f32_16x16x4f32 a[0:3], v2, v10, a[0:3]
	s_movk_i32 s4, 0xff
	v_and_b32_sdwa v6, v7, s4 dst_sel:DWORD dst_unused:UNUSED_PAD src0_sel:WORD_1 src1_sel:DWORD
	s_movk_i32 s4, 0x7f
	v_cmp_lt_i16_e32 vcc, s4, v6
	s_mov_b64 s[4:5], 0
                                        ; implicit-def: $sgpr10
	s_and_saveexec_b64 s[6:7], vcc
	s_xor_b64 s[6:7], exec, s[6:7]
	s_cbranch_execnz .LBB20_3505
; %bb.1457:
	s_or_saveexec_b64 s[6:7], s[6:7]
	v_mov_b32_e32 v2, s10
	s_xor_b64 exec, exec, s[6:7]
	s_cbranch_execnz .LBB20_3508
.LBB20_1458:
	s_or_b64 exec, exec, s[6:7]
	s_and_saveexec_b64 s[6:7], s[4:5]
	s_cbranch_execz .LBB20_1460
.LBB20_1459:
	v_bfe_u32 v2, v7, 16, 3
	v_ffbh_u32_e32 v11, v2
	v_min_u32_e32 v11, 32, v11
	v_lshrrev_b32_e32 v6, 19, v7
	v_subrev_u32_e32 v12, 28, v11
	v_and_b32_e32 v6, 15, v6
	v_lshlrev_b32_sdwa v12, v12, v7 dst_sel:DWORD dst_unused:UNUSED_PAD src0_sel:DWORD src1_sel:WORD_1
	v_bfe_u32 v10, v7, 19, 4
	v_sub_u32_e32 v11, 29, v11
	v_and_b32_e32 v12, 7, v12
	v_cmp_eq_u16_e32 vcc, 0, v6
	v_cndmask_b32_e32 v2, v2, v12, vcc
	v_cndmask_b32_e32 v6, v10, v11, vcc
	v_lshlrev_b32_e32 v10, 8, v7
	v_mov_b32_e32 v11, 0x3b800000
	v_lshlrev_b32_e32 v2, 20, v2
	v_and_b32_e32 v10, 0x80000000, v10
	v_lshl_add_u32 v6, v6, 23, v11
	v_or3_b32 v2, v10, v6, v2
.LBB20_1460:
	s_or_b64 exec, exec, s[6:7]
	s_movk_i32 s4, 0xff
	v_and_b32_sdwa v6, v3, s4 dst_sel:DWORD dst_unused:UNUSED_PAD src0_sel:WORD_1 src1_sel:DWORD
	s_movk_i32 s4, 0x7f
	v_cmp_lt_i16_e32 vcc, s4, v6
	s_mov_b64 s[4:5], 0
                                        ; implicit-def: $sgpr10
	s_and_saveexec_b64 s[6:7], vcc
	s_xor_b64 s[6:7], exec, s[6:7]
	s_cbranch_execnz .LBB20_3509
; %bb.1461:
	s_or_saveexec_b64 s[6:7], s[6:7]
	v_mov_b32_e32 v10, s10
	s_xor_b64 exec, exec, s[6:7]
	s_cbranch_execnz .LBB20_3512
.LBB20_1462:
	s_or_b64 exec, exec, s[6:7]
	s_and_saveexec_b64 s[6:7], s[4:5]
	s_cbranch_execz .LBB20_1464
.LBB20_1463:
	v_bfe_u32 v6, v3, 16, 3
	v_ffbh_u32_e32 v12, v6
	v_min_u32_e32 v12, 32, v12
	v_lshrrev_b32_e32 v10, 19, v3
	v_subrev_u32_e32 v13, 28, v12
	v_and_b32_e32 v10, 15, v10
	v_lshlrev_b32_sdwa v13, v13, v3 dst_sel:DWORD dst_unused:UNUSED_PAD src0_sel:DWORD src1_sel:WORD_1
	v_bfe_u32 v11, v3, 19, 4
	v_sub_u32_e32 v12, 29, v12
	v_and_b32_e32 v13, 7, v13
	v_cmp_eq_u16_e32 vcc, 0, v10
	v_cndmask_b32_e32 v6, v6, v13, vcc
	v_cndmask_b32_e32 v10, v11, v12, vcc
	v_lshlrev_b32_e32 v11, 8, v3
	v_mov_b32_e32 v12, 0x3b800000
	v_lshlrev_b32_e32 v6, 20, v6
	v_and_b32_e32 v11, 0x80000000, v11
	v_lshl_add_u32 v10, v10, 23, v12
	v_or3_b32 v10, v11, v10, v6
.LBB20_1464:
	s_or_b64 exec, exec, s[6:7]
	s_nop 0
	v_mfma_f32_16x16x4f32 a[0:3], v2, v10, a[0:3]
	s_movk_i32 s4, 0x7f
	v_cmp_gt_i16_sdwa s[6:7], v7, s4 src0_sel:BYTE_3 src1_sel:DWORD
	s_mov_b64 s[4:5], 0
                                        ; implicit-def: $sgpr10
	s_and_saveexec_b64 s[8:9], s[6:7]
	s_xor_b64 s[6:7], exec, s[8:9]
	s_cbranch_execnz .LBB20_3513
; %bb.1465:
	s_or_saveexec_b64 s[6:7], s[6:7]
	v_mov_b32_e32 v2, s10
	s_xor_b64 exec, exec, s[6:7]
	s_cbranch_execnz .LBB20_3516
.LBB20_1466:
	s_or_b64 exec, exec, s[6:7]
	s_and_saveexec_b64 s[6:7], s[4:5]
	s_cbranch_execz .LBB20_1468
.LBB20_1467:
	v_bfe_u32 v2, v7, 24, 3
	v_ffbh_u32_e32 v12, v2
	v_min_u32_e32 v12, 32, v12
	v_lshrrev_b32_e32 v10, 27, v7
	v_subrev_u32_e32 v13, 28, v12
	v_and_b32_e32 v6, 0x80000000, v7
	v_and_b32_e32 v10, 15, v10
	v_bfe_u32 v11, v7, 27, 4
	v_lshlrev_b32_sdwa v7, v13, v7 dst_sel:DWORD dst_unused:UNUSED_PAD src0_sel:DWORD src1_sel:BYTE_3
	v_sub_u32_e32 v12, 29, v12
	v_and_b32_e32 v7, 7, v7
	v_cmp_eq_u16_e32 vcc, 0, v10
	v_cndmask_b32_e32 v2, v2, v7, vcc
	v_cndmask_b32_e32 v7, v11, v12, vcc
	v_mov_b32_e32 v10, 0x3b800000
	v_lshlrev_b32_e32 v2, 20, v2
	v_lshl_add_u32 v7, v7, 23, v10
	v_or3_b32 v2, v6, v7, v2
.LBB20_1468:
	s_or_b64 exec, exec, s[6:7]
	s_movk_i32 s4, 0x7f
	v_cmp_gt_i16_sdwa s[6:7], v3, s4 src0_sel:BYTE_3 src1_sel:DWORD
	s_mov_b64 s[4:5], 0
                                        ; implicit-def: $sgpr10
	s_and_saveexec_b64 s[8:9], s[6:7]
	s_xor_b64 s[6:7], exec, s[8:9]
	s_cbranch_execnz .LBB20_3517
; %bb.1469:
	s_or_saveexec_b64 s[6:7], s[6:7]
	v_mov_b32_e32 v6, s10
	s_xor_b64 exec, exec, s[6:7]
	s_cbranch_execnz .LBB20_3520
.LBB20_1470:
	s_or_b64 exec, exec, s[6:7]
	s_and_saveexec_b64 s[6:7], s[4:5]
	s_cbranch_execz .LBB20_1472
.LBB20_1471:
	v_bfe_u32 v6, v3, 24, 3
	v_ffbh_u32_e32 v12, v6
	v_min_u32_e32 v12, 32, v12
	v_lshrrev_b32_e32 v10, 27, v3
	v_subrev_u32_e32 v13, 28, v12
	v_and_b32_e32 v7, 0x80000000, v3
	v_and_b32_e32 v10, 15, v10
	v_bfe_u32 v11, v3, 27, 4
	v_lshlrev_b32_sdwa v3, v13, v3 dst_sel:DWORD dst_unused:UNUSED_PAD src0_sel:DWORD src1_sel:BYTE_3
	v_sub_u32_e32 v12, 29, v12
	v_and_b32_e32 v3, 7, v3
	v_cmp_eq_u16_e32 vcc, 0, v10
	v_cndmask_b32_e32 v3, v6, v3, vcc
	v_cndmask_b32_e32 v6, v11, v12, vcc
	v_mov_b32_e32 v10, 0x3b800000
	v_lshlrev_b32_e32 v3, 20, v3
	v_lshl_add_u32 v6, v6, 23, v10
	v_or3_b32 v6, v7, v6, v3
.LBB20_1472:
	s_or_b64 exec, exec, s[6:7]
	s_nop 0
	v_mfma_f32_16x16x4f32 a[0:3], v2, v6, a[0:3]
	s_movk_i32 s4, 0x7f
	v_cmp_gt_i16_sdwa s[6:7], v8, s4 src0_sel:BYTE_0 src1_sel:DWORD
	s_mov_b64 s[4:5], 0
                                        ; implicit-def: $sgpr10
	s_and_saveexec_b64 s[8:9], s[6:7]
	s_xor_b64 s[6:7], exec, s[8:9]
	s_cbranch_execnz .LBB20_3521
; %bb.1473:
	s_or_saveexec_b64 s[6:7], s[6:7]
	v_mov_b32_e32 v2, s10
	s_xor_b64 exec, exec, s[6:7]
	s_cbranch_execnz .LBB20_3524
.LBB20_1474:
	s_or_b64 exec, exec, s[6:7]
	s_and_saveexec_b64 s[6:7], s[4:5]
	s_cbranch_execz .LBB20_1476
.LBB20_1475:
	v_and_b32_e32 v2, 7, v8
	v_ffbh_u32_e32 v6, v2
	v_min_u32_e32 v6, 32, v6
	v_lshrrev_b16_e32 v3, 3, v8
	v_subrev_u32_e32 v7, 28, v6
	v_and_b32_e32 v3, 15, v3
	v_lshlrev_b32_e32 v7, v7, v8
	v_sub_u32_e32 v6, 29, v6
	v_and_b32_e32 v7, 7, v7
	v_cmp_eq_u16_e32 vcc, 0, v3
	v_cndmask_b32_e32 v2, v2, v7, vcc
	v_cndmask_b32_e32 v3, v3, v6, vcc
	v_lshlrev_b32_e32 v6, 24, v8
	v_mov_b32_e32 v7, 0x3b800000
	v_lshlrev_b32_e32 v2, 20, v2
	v_and_b32_e32 v6, 0x80000000, v6
	v_lshl_add_u32 v3, v3, 23, v7
	v_or3_b32 v2, v6, v3, v2
.LBB20_1476:
	s_or_b64 exec, exec, s[6:7]
	s_movk_i32 s4, 0x7f
	v_cmp_gt_i16_sdwa s[6:7], v4, s4 src0_sel:BYTE_0 src1_sel:DWORD
	s_mov_b64 s[4:5], 0
                                        ; implicit-def: $sgpr10
	s_and_saveexec_b64 s[8:9], s[6:7]
	s_xor_b64 s[6:7], exec, s[8:9]
	s_cbranch_execnz .LBB20_3525
; %bb.1477:
	s_or_saveexec_b64 s[6:7], s[6:7]
	v_mov_b32_e32 v3, s10
	s_xor_b64 exec, exec, s[6:7]
	s_cbranch_execnz .LBB20_3528
.LBB20_1478:
	s_or_b64 exec, exec, s[6:7]
	s_and_saveexec_b64 s[6:7], s[4:5]
	s_cbranch_execz .LBB20_1480
.LBB20_1479:
	v_and_b32_e32 v3, 7, v4
	v_ffbh_u32_e32 v7, v3
	v_min_u32_e32 v7, 32, v7
	v_lshrrev_b16_e32 v6, 3, v4
	v_subrev_u32_e32 v10, 28, v7
	v_and_b32_e32 v6, 15, v6
	v_lshlrev_b32_e32 v10, v10, v4
	v_sub_u32_e32 v7, 29, v7
	v_and_b32_e32 v10, 7, v10
	v_cmp_eq_u16_e32 vcc, 0, v6
	v_cndmask_b32_e32 v3, v3, v10, vcc
	v_cndmask_b32_e32 v6, v6, v7, vcc
	v_lshlrev_b32_e32 v7, 24, v4
	v_mov_b32_e32 v10, 0x3b800000
	v_lshlrev_b32_e32 v3, 20, v3
	v_and_b32_e32 v7, 0x80000000, v7
	v_lshl_add_u32 v6, v6, 23, v10
	v_or3_b32 v3, v7, v6, v3
.LBB20_1480:
	s_or_b64 exec, exec, s[6:7]
	s_nop 0
	v_mfma_f32_16x16x4f32 a[0:3], v2, v3, a[0:3]
	v_lshrrev_b32_e32 v3, 8, v8
	s_movk_i32 s4, 0x7f
	v_cmp_gt_i16_sdwa s[6:7], v3, s4 src0_sel:BYTE_0 src1_sel:DWORD
	s_mov_b64 s[4:5], 0
                                        ; implicit-def: $sgpr10
	s_and_saveexec_b64 s[8:9], s[6:7]
	s_xor_b64 s[6:7], exec, s[8:9]
	s_cbranch_execnz .LBB20_3529
; %bb.1481:
	s_or_saveexec_b64 s[6:7], s[6:7]
	v_mov_b32_e32 v2, s10
	s_xor_b64 exec, exec, s[6:7]
	s_cbranch_execnz .LBB20_3532
.LBB20_1482:
	s_or_b64 exec, exec, s[6:7]
	s_and_saveexec_b64 s[6:7], s[4:5]
	s_cbranch_execz .LBB20_1484
.LBB20_1483:
	v_bfe_u32 v2, v8, 8, 3
	v_ffbh_u32_e32 v7, v2
	v_min_u32_e32 v7, 32, v7
	v_lshrrev_b16_e32 v6, 3, v3
	v_subrev_u32_e32 v10, 28, v7
	v_and_b32_e32 v6, 15, v6
	v_lshlrev_b32_e32 v3, v10, v3
	v_sub_u32_e32 v7, 29, v7
	v_and_b32_e32 v3, 7, v3
	v_cmp_eq_u16_e32 vcc, 0, v6
	v_cndmask_b32_e32 v2, v2, v3, vcc
	v_cndmask_b32_e32 v3, v6, v7, vcc
	v_lshlrev_b32_e32 v6, 16, v8
	v_mov_b32_e32 v7, 0x3b800000
	v_lshlrev_b32_e32 v2, 20, v2
	v_and_b32_e32 v6, 0x80000000, v6
	v_lshl_add_u32 v3, v3, 23, v7
	v_or3_b32 v2, v6, v3, v2
.LBB20_1484:
	s_or_b64 exec, exec, s[6:7]
	v_lshrrev_b32_e32 v3, 8, v4
	s_movk_i32 s4, 0x7f
	v_cmp_gt_i16_sdwa s[6:7], v3, s4 src0_sel:BYTE_0 src1_sel:DWORD
	s_mov_b64 s[4:5], 0
                                        ; implicit-def: $sgpr10
	s_and_saveexec_b64 s[8:9], s[6:7]
	s_xor_b64 s[6:7], exec, s[8:9]
	s_cbranch_execnz .LBB20_3533
; %bb.1485:
	s_or_saveexec_b64 s[6:7], s[6:7]
	v_mov_b32_e32 v6, s10
	s_xor_b64 exec, exec, s[6:7]
	s_cbranch_execnz .LBB20_3536
.LBB20_1486:
	s_or_b64 exec, exec, s[6:7]
	s_and_saveexec_b64 s[6:7], s[4:5]
	s_cbranch_execz .LBB20_1488
.LBB20_1487:
	v_bfe_u32 v6, v4, 8, 3
	v_ffbh_u32_e32 v10, v6
	v_min_u32_e32 v10, 32, v10
	v_lshrrev_b16_e32 v7, 3, v3
	v_subrev_u32_e32 v11, 28, v10
	v_and_b32_e32 v7, 15, v7
	v_lshlrev_b32_e32 v3, v11, v3
	v_sub_u32_e32 v10, 29, v10
	v_and_b32_e32 v3, 7, v3
	v_cmp_eq_u16_e32 vcc, 0, v7
	v_cndmask_b32_e32 v3, v6, v3, vcc
	v_cndmask_b32_e32 v6, v7, v10, vcc
	v_lshlrev_b32_e32 v7, 16, v4
	v_mov_b32_e32 v10, 0x3b800000
	v_lshlrev_b32_e32 v3, 20, v3
	v_and_b32_e32 v7, 0x80000000, v7
	v_lshl_add_u32 v6, v6, 23, v10
	v_or3_b32 v6, v7, v6, v3
.LBB20_1488:
	s_or_b64 exec, exec, s[6:7]
	s_nop 0
	v_mfma_f32_16x16x4f32 a[0:3], v2, v6, a[0:3]
	s_movk_i32 s4, 0xff
	v_and_b32_sdwa v3, v8, s4 dst_sel:DWORD dst_unused:UNUSED_PAD src0_sel:WORD_1 src1_sel:DWORD
	s_movk_i32 s4, 0x7f
	v_cmp_lt_i16_e32 vcc, s4, v3
	s_mov_b64 s[4:5], 0
                                        ; implicit-def: $sgpr10
	s_and_saveexec_b64 s[6:7], vcc
	s_xor_b64 s[6:7], exec, s[6:7]
	s_cbranch_execnz .LBB20_3537
; %bb.1489:
	s_or_saveexec_b64 s[6:7], s[6:7]
	v_mov_b32_e32 v2, s10
	s_xor_b64 exec, exec, s[6:7]
	s_cbranch_execnz .LBB20_3540
.LBB20_1490:
	s_or_b64 exec, exec, s[6:7]
	s_and_saveexec_b64 s[6:7], s[4:5]
	s_cbranch_execz .LBB20_1492
.LBB20_1491:
	v_bfe_u32 v2, v8, 16, 3
	v_ffbh_u32_e32 v7, v2
	v_min_u32_e32 v7, 32, v7
	v_lshrrev_b32_e32 v3, 19, v8
	v_subrev_u32_e32 v10, 28, v7
	v_and_b32_e32 v3, 15, v3
	v_lshlrev_b32_sdwa v10, v10, v8 dst_sel:DWORD dst_unused:UNUSED_PAD src0_sel:DWORD src1_sel:WORD_1
	v_bfe_u32 v6, v8, 19, 4
	v_sub_u32_e32 v7, 29, v7
	v_and_b32_e32 v10, 7, v10
	v_cmp_eq_u16_e32 vcc, 0, v3
	v_cndmask_b32_e32 v2, v2, v10, vcc
	v_cndmask_b32_e32 v3, v6, v7, vcc
	v_lshlrev_b32_e32 v6, 8, v8
	v_mov_b32_e32 v7, 0x3b800000
	v_lshlrev_b32_e32 v2, 20, v2
	v_and_b32_e32 v6, 0x80000000, v6
	v_lshl_add_u32 v3, v3, 23, v7
	v_or3_b32 v2, v6, v3, v2
.LBB20_1492:
	s_or_b64 exec, exec, s[6:7]
	s_movk_i32 s4, 0xff
	v_and_b32_sdwa v3, v4, s4 dst_sel:DWORD dst_unused:UNUSED_PAD src0_sel:WORD_1 src1_sel:DWORD
	s_movk_i32 s4, 0x7f
	v_cmp_lt_i16_e32 vcc, s4, v3
	s_mov_b64 s[4:5], 0
                                        ; implicit-def: $sgpr10
	s_and_saveexec_b64 s[6:7], vcc
	s_xor_b64 s[6:7], exec, s[6:7]
	s_cbranch_execnz .LBB20_3541
; %bb.1493:
	s_or_saveexec_b64 s[6:7], s[6:7]
	v_mov_b32_e32 v6, s10
	s_xor_b64 exec, exec, s[6:7]
	s_cbranch_execnz .LBB20_3544
.LBB20_1494:
	s_or_b64 exec, exec, s[6:7]
	s_and_saveexec_b64 s[6:7], s[4:5]
	s_cbranch_execz .LBB20_1496
.LBB20_1495:
	v_bfe_u32 v3, v4, 16, 3
	v_ffbh_u32_e32 v10, v3
	v_min_u32_e32 v10, 32, v10
	v_lshrrev_b32_e32 v6, 19, v4
	v_subrev_u32_e32 v11, 28, v10
	v_and_b32_e32 v6, 15, v6
	v_lshlrev_b32_sdwa v11, v11, v4 dst_sel:DWORD dst_unused:UNUSED_PAD src0_sel:DWORD src1_sel:WORD_1
	v_bfe_u32 v7, v4, 19, 4
	v_sub_u32_e32 v10, 29, v10
	v_and_b32_e32 v11, 7, v11
	v_cmp_eq_u16_e32 vcc, 0, v6
	v_cndmask_b32_e32 v3, v3, v11, vcc
	v_cndmask_b32_e32 v6, v7, v10, vcc
	v_lshlrev_b32_e32 v7, 8, v4
	v_mov_b32_e32 v10, 0x3b800000
	v_lshlrev_b32_e32 v3, 20, v3
	v_and_b32_e32 v7, 0x80000000, v7
	v_lshl_add_u32 v6, v6, 23, v10
	v_or3_b32 v6, v7, v6, v3
.LBB20_1496:
	s_or_b64 exec, exec, s[6:7]
	s_nop 0
	v_mfma_f32_16x16x4f32 a[0:3], v2, v6, a[0:3]
	s_movk_i32 s4, 0x7f
	v_cmp_gt_i16_sdwa s[6:7], v8, s4 src0_sel:BYTE_3 src1_sel:DWORD
	s_mov_b64 s[4:5], 0
                                        ; implicit-def: $sgpr10
	s_and_saveexec_b64 s[8:9], s[6:7]
	s_xor_b64 s[6:7], exec, s[8:9]
	s_cbranch_execnz .LBB20_3545
; %bb.1497:
	s_or_saveexec_b64 s[6:7], s[6:7]
	v_mov_b32_e32 v2, s10
	s_xor_b64 exec, exec, s[6:7]
	s_cbranch_execnz .LBB20_3548
.LBB20_1498:
	s_or_b64 exec, exec, s[6:7]
	s_and_saveexec_b64 s[6:7], s[4:5]
	s_cbranch_execz .LBB20_1500
.LBB20_1499:
	v_bfe_u32 v2, v8, 24, 3
	v_ffbh_u32_e32 v10, v2
	v_min_u32_e32 v10, 32, v10
	v_lshrrev_b32_e32 v6, 27, v8
	v_subrev_u32_e32 v11, 28, v10
	v_and_b32_e32 v3, 0x80000000, v8
	v_and_b32_e32 v6, 15, v6
	v_bfe_u32 v7, v8, 27, 4
	v_lshlrev_b32_sdwa v8, v11, v8 dst_sel:DWORD dst_unused:UNUSED_PAD src0_sel:DWORD src1_sel:BYTE_3
	v_sub_u32_e32 v10, 29, v10
	v_and_b32_e32 v8, 7, v8
	v_cmp_eq_u16_e32 vcc, 0, v6
	v_cndmask_b32_e32 v2, v2, v8, vcc
	v_cndmask_b32_e32 v6, v7, v10, vcc
	v_mov_b32_e32 v7, 0x3b800000
	v_lshlrev_b32_e32 v2, 20, v2
	v_lshl_add_u32 v6, v6, 23, v7
	v_or3_b32 v2, v3, v6, v2
.LBB20_1500:
	s_or_b64 exec, exec, s[6:7]
	s_movk_i32 s4, 0x7f
	v_cmp_gt_i16_sdwa s[6:7], v4, s4 src0_sel:BYTE_3 src1_sel:DWORD
	s_mov_b64 s[4:5], 0
                                        ; implicit-def: $sgpr10
	s_and_saveexec_b64 s[8:9], s[6:7]
	s_xor_b64 s[6:7], exec, s[8:9]
	s_cbranch_execnz .LBB20_3549
; %bb.1501:
	s_or_saveexec_b64 s[6:7], s[6:7]
	v_mov_b32_e32 v3, s10
	s_xor_b64 exec, exec, s[6:7]
	s_cbranch_execnz .LBB20_3552
.LBB20_1502:
	s_or_b64 exec, exec, s[6:7]
	s_and_saveexec_b64 s[6:7], s[4:5]
	s_cbranch_execz .LBB20_1504
.LBB20_1503:
	v_bfe_u32 v3, v4, 24, 3
	v_ffbh_u32_e32 v10, v3
	v_min_u32_e32 v10, 32, v10
	v_lshrrev_b32_e32 v7, 27, v4
	v_subrev_u32_e32 v11, 28, v10
	v_and_b32_e32 v6, 0x80000000, v4
	v_and_b32_e32 v7, 15, v7
	v_bfe_u32 v8, v4, 27, 4
	v_lshlrev_b32_sdwa v4, v11, v4 dst_sel:DWORD dst_unused:UNUSED_PAD src0_sel:DWORD src1_sel:BYTE_3
	v_sub_u32_e32 v10, 29, v10
	v_and_b32_e32 v4, 7, v4
	v_cmp_eq_u16_e32 vcc, 0, v7
	v_cndmask_b32_e32 v3, v3, v4, vcc
	v_cndmask_b32_e32 v4, v8, v10, vcc
	v_mov_b32_e32 v7, 0x3b800000
	v_lshlrev_b32_e32 v3, 20, v3
	v_lshl_add_u32 v4, v4, 23, v7
	v_or3_b32 v3, v6, v4, v3
.LBB20_1504:
	s_or_b64 exec, exec, s[6:7]
	s_nop 0
	v_mfma_f32_16x16x4f32 a[0:3], v2, v3, a[0:3]
	s_movk_i32 s4, 0x7f
	v_cmp_gt_i16_sdwa s[6:7], v9, s4 src0_sel:BYTE_0 src1_sel:DWORD
	s_mov_b64 s[4:5], 0
                                        ; implicit-def: $sgpr10
	s_and_saveexec_b64 s[8:9], s[6:7]
	s_xor_b64 s[6:7], exec, s[8:9]
	s_cbranch_execnz .LBB20_3553
; %bb.1505:
	s_or_saveexec_b64 s[6:7], s[6:7]
	v_mov_b32_e32 v2, s10
	s_xor_b64 exec, exec, s[6:7]
	s_cbranch_execnz .LBB20_3556
.LBB20_1506:
	s_or_b64 exec, exec, s[6:7]
	s_and_saveexec_b64 s[6:7], s[4:5]
	s_cbranch_execz .LBB20_1508
.LBB20_1507:
	v_mov_b32_e32 v2, 8
	v_and_b32_e32 v3, 7, v9
	v_lshrrev_b32_sdwa v2, v2, v9 dst_sel:BYTE_1 dst_unused:UNUSED_PAD src0_sel:DWORD src1_sel:DWORD
	v_ffbh_u32_e32 v4, v3
	v_or_b32_sdwa v2, v9, v2 dst_sel:DWORD dst_unused:UNUSED_PAD src0_sel:BYTE_0 src1_sel:DWORD
	v_min_u32_e32 v4, 32, v4
	v_lshrrev_b16_e32 v2, 3, v2
	v_subrev_u32_e32 v6, 28, v4
	v_and_b32_e32 v2, 15, v2
	v_lshlrev_b32_e32 v6, v6, v9
	v_sub_u32_e32 v4, 29, v4
	v_and_b32_e32 v6, 7, v6
	v_cmp_eq_u16_e32 vcc, 0, v2
	v_cndmask_b32_e32 v3, v3, v6, vcc
	v_cndmask_b32_e32 v2, v2, v4, vcc
	v_lshlrev_b32_e32 v4, 24, v9
	v_mov_b32_e32 v6, 0x3b800000
	v_lshlrev_b32_e32 v3, 20, v3
	v_and_b32_e32 v4, 0x80000000, v4
	v_lshl_add_u32 v2, v2, 23, v6
	v_or3_b32 v2, v4, v2, v3
.LBB20_1508:
	s_or_b64 exec, exec, s[6:7]
	s_movk_i32 s4, 0x7f
	v_cmp_gt_i16_sdwa s[6:7], v5, s4 src0_sel:BYTE_0 src1_sel:DWORD
	s_mov_b64 s[4:5], 0
                                        ; implicit-def: $sgpr10
	s_and_saveexec_b64 s[8:9], s[6:7]
	s_xor_b64 s[6:7], exec, s[8:9]
	s_cbranch_execnz .LBB20_3557
; %bb.1509:
	s_or_saveexec_b64 s[6:7], s[6:7]
	v_mov_b32_e32 v3, s10
	s_xor_b64 exec, exec, s[6:7]
	s_cbranch_execnz .LBB20_3560
.LBB20_1510:
	s_or_b64 exec, exec, s[6:7]
	s_and_saveexec_b64 s[6:7], s[4:5]
	s_cbranch_execz .LBB20_1512
.LBB20_1511:
	v_mov_b32_e32 v3, 8
	v_and_b32_e32 v4, 7, v5
	v_lshrrev_b32_sdwa v3, v3, v5 dst_sel:BYTE_1 dst_unused:UNUSED_PAD src0_sel:DWORD src1_sel:DWORD
	v_ffbh_u32_e32 v6, v4
	v_or_b32_sdwa v3, v5, v3 dst_sel:DWORD dst_unused:UNUSED_PAD src0_sel:BYTE_0 src1_sel:DWORD
	v_min_u32_e32 v6, 32, v6
	v_lshrrev_b16_e32 v3, 3, v3
	v_subrev_u32_e32 v7, 28, v6
	v_and_b32_e32 v3, 15, v3
	v_lshlrev_b32_e32 v7, v7, v5
	v_sub_u32_e32 v6, 29, v6
	v_and_b32_e32 v7, 7, v7
	v_cmp_eq_u16_e32 vcc, 0, v3
	v_cndmask_b32_e32 v4, v4, v7, vcc
	v_cndmask_b32_e32 v3, v3, v6, vcc
	v_lshlrev_b32_e32 v6, 24, v5
	v_mov_b32_e32 v7, 0x3b800000
	v_lshlrev_b32_e32 v4, 20, v4
	v_and_b32_e32 v6, 0x80000000, v6
	v_lshl_add_u32 v3, v3, 23, v7
	v_or3_b32 v3, v6, v3, v4
.LBB20_1512:
	s_or_b64 exec, exec, s[6:7]
	s_nop 0
	v_mfma_f32_16x16x4f32 a[0:3], v2, v3, a[0:3]
	v_lshrrev_b32_e32 v3, 8, v9
	s_movk_i32 s4, 0x7f
	v_cmp_gt_i16_sdwa s[6:7], v3, s4 src0_sel:BYTE_0 src1_sel:DWORD
	s_mov_b64 s[4:5], 0
                                        ; implicit-def: $sgpr10
	s_and_saveexec_b64 s[8:9], s[6:7]
	s_xor_b64 s[6:7], exec, s[8:9]
	s_cbranch_execnz .LBB20_3561
; %bb.1513:
	s_or_saveexec_b64 s[6:7], s[6:7]
	v_mov_b32_e32 v2, s10
	s_xor_b64 exec, exec, s[6:7]
	s_cbranch_execnz .LBB20_3564
.LBB20_1514:
	s_or_b64 exec, exec, s[6:7]
	s_and_saveexec_b64 s[6:7], s[4:5]
	s_cbranch_execz .LBB20_1516
.LBB20_1515:
	v_bfe_u32 v2, v9, 8, 3
	v_ffbh_u32_e32 v6, v2
	v_min_u32_e32 v6, 32, v6
	v_lshrrev_b16_e32 v4, 3, v3
	v_subrev_u32_e32 v7, 28, v6
	v_and_b32_e32 v4, 15, v4
	v_lshlrev_b32_e32 v3, v7, v3
	v_sub_u32_e32 v6, 29, v6
	v_and_b32_e32 v3, 7, v3
	v_cmp_eq_u16_e32 vcc, 0, v4
	v_cndmask_b32_e32 v2, v2, v3, vcc
	v_cndmask_b32_e32 v3, v4, v6, vcc
	v_lshlrev_b32_e32 v4, 16, v9
	v_mov_b32_e32 v6, 0x3b800000
	v_lshlrev_b32_e32 v2, 20, v2
	v_and_b32_e32 v4, 0x80000000, v4
	v_lshl_add_u32 v3, v3, 23, v6
	v_or3_b32 v2, v4, v3, v2
.LBB20_1516:
	s_or_b64 exec, exec, s[6:7]
	v_lshrrev_b32_e32 v3, 8, v5
	s_movk_i32 s4, 0x7f
	v_cmp_gt_i16_sdwa s[6:7], v3, s4 src0_sel:BYTE_0 src1_sel:DWORD
	s_mov_b64 s[4:5], 0
                                        ; implicit-def: $sgpr10
	s_and_saveexec_b64 s[8:9], s[6:7]
	s_xor_b64 s[6:7], exec, s[8:9]
	s_cbranch_execnz .LBB20_3565
; %bb.1517:
	s_or_saveexec_b64 s[6:7], s[6:7]
	v_mov_b32_e32 v4, s10
	s_xor_b64 exec, exec, s[6:7]
	s_cbranch_execnz .LBB20_3568
.LBB20_1518:
	s_or_b64 exec, exec, s[6:7]
	s_and_saveexec_b64 s[6:7], s[4:5]
	s_cbranch_execz .LBB20_1520
.LBB20_1519:
	v_bfe_u32 v4, v5, 8, 3
	v_ffbh_u32_e32 v7, v4
	v_min_u32_e32 v7, 32, v7
	v_lshrrev_b16_e32 v6, 3, v3
	v_subrev_u32_e32 v8, 28, v7
	v_and_b32_e32 v6, 15, v6
	v_lshlrev_b32_e32 v3, v8, v3
	v_sub_u32_e32 v7, 29, v7
	v_and_b32_e32 v3, 7, v3
	v_cmp_eq_u16_e32 vcc, 0, v6
	v_cndmask_b32_e32 v3, v4, v3, vcc
	v_cndmask_b32_e32 v4, v6, v7, vcc
	v_lshlrev_b32_e32 v6, 16, v5
	v_mov_b32_e32 v7, 0x3b800000
	v_lshlrev_b32_e32 v3, 20, v3
	v_and_b32_e32 v6, 0x80000000, v6
	v_lshl_add_u32 v4, v4, 23, v7
	v_or3_b32 v4, v6, v4, v3
.LBB20_1520:
	s_or_b64 exec, exec, s[6:7]
	s_nop 0
	v_mfma_f32_16x16x4f32 a[0:3], v2, v4, a[0:3]
	s_movk_i32 s4, 0xff
	v_and_b32_sdwa v3, v9, s4 dst_sel:DWORD dst_unused:UNUSED_PAD src0_sel:WORD_1 src1_sel:DWORD
	s_movk_i32 s4, 0x7f
	v_cmp_lt_i16_e32 vcc, s4, v3
	s_mov_b64 s[4:5], 0
                                        ; implicit-def: $sgpr10
	s_and_saveexec_b64 s[6:7], vcc
	s_xor_b64 s[6:7], exec, s[6:7]
	s_cbranch_execnz .LBB20_3569
; %bb.1521:
	s_or_saveexec_b64 s[6:7], s[6:7]
	v_mov_b32_e32 v2, s10
	s_xor_b64 exec, exec, s[6:7]
	s_cbranch_execnz .LBB20_3572
.LBB20_1522:
	s_or_b64 exec, exec, s[6:7]
	s_and_saveexec_b64 s[6:7], s[4:5]
	s_cbranch_execz .LBB20_1524
.LBB20_1523:
	v_bfe_u32 v2, v9, 16, 3
	v_ffbh_u32_e32 v6, v2
	v_min_u32_e32 v6, 32, v6
	v_lshrrev_b32_e32 v3, 19, v9
	v_subrev_u32_e32 v7, 28, v6
	v_and_b32_e32 v3, 15, v3
	v_lshlrev_b32_sdwa v7, v7, v9 dst_sel:DWORD dst_unused:UNUSED_PAD src0_sel:DWORD src1_sel:WORD_1
	v_bfe_u32 v4, v9, 19, 4
	v_sub_u32_e32 v6, 29, v6
	v_and_b32_e32 v7, 7, v7
	v_cmp_eq_u16_e32 vcc, 0, v3
	v_cndmask_b32_e32 v2, v2, v7, vcc
	v_cndmask_b32_e32 v3, v4, v6, vcc
	v_lshlrev_b32_e32 v4, 8, v9
	v_mov_b32_e32 v6, 0x3b800000
	v_lshlrev_b32_e32 v2, 20, v2
	v_and_b32_e32 v4, 0x80000000, v4
	v_lshl_add_u32 v3, v3, 23, v6
	v_or3_b32 v2, v4, v3, v2
.LBB20_1524:
	s_or_b64 exec, exec, s[6:7]
	s_movk_i32 s4, 0xff
	v_and_b32_sdwa v3, v5, s4 dst_sel:DWORD dst_unused:UNUSED_PAD src0_sel:WORD_1 src1_sel:DWORD
	s_movk_i32 s4, 0x7f
	v_cmp_lt_i16_e32 vcc, s4, v3
	s_mov_b64 s[4:5], 0
                                        ; implicit-def: $sgpr10
	s_and_saveexec_b64 s[6:7], vcc
	s_xor_b64 s[6:7], exec, s[6:7]
	s_cbranch_execnz .LBB20_3573
; %bb.1525:
	s_or_saveexec_b64 s[6:7], s[6:7]
	v_mov_b32_e32 v4, s10
	s_xor_b64 exec, exec, s[6:7]
	s_cbranch_execnz .LBB20_3576
.LBB20_1526:
	s_or_b64 exec, exec, s[6:7]
	s_and_saveexec_b64 s[6:7], s[4:5]
	s_cbranch_execz .LBB20_1528
.LBB20_1527:
	v_bfe_u32 v3, v5, 16, 3
	v_ffbh_u32_e32 v7, v3
	v_min_u32_e32 v7, 32, v7
	v_lshrrev_b32_e32 v4, 19, v5
	v_subrev_u32_e32 v8, 28, v7
	v_and_b32_e32 v4, 15, v4
	v_lshlrev_b32_sdwa v8, v8, v5 dst_sel:DWORD dst_unused:UNUSED_PAD src0_sel:DWORD src1_sel:WORD_1
	v_bfe_u32 v6, v5, 19, 4
	v_sub_u32_e32 v7, 29, v7
	v_and_b32_e32 v8, 7, v8
	v_cmp_eq_u16_e32 vcc, 0, v4
	v_cndmask_b32_e32 v3, v3, v8, vcc
	v_cndmask_b32_e32 v4, v6, v7, vcc
	v_lshlrev_b32_e32 v6, 8, v5
	v_mov_b32_e32 v7, 0x3b800000
	v_lshlrev_b32_e32 v3, 20, v3
	v_and_b32_e32 v6, 0x80000000, v6
	v_lshl_add_u32 v4, v4, 23, v7
	v_or3_b32 v4, v6, v4, v3
.LBB20_1528:
	s_or_b64 exec, exec, s[6:7]
	s_nop 0
	v_mfma_f32_16x16x4f32 a[0:3], v2, v4, a[0:3]
	s_movk_i32 s4, 0x7f
	v_cmp_gt_i16_sdwa s[6:7], v9, s4 src0_sel:BYTE_3 src1_sel:DWORD
	s_mov_b64 s[4:5], 0
                                        ; implicit-def: $sgpr10
	s_and_saveexec_b64 s[8:9], s[6:7]
	s_xor_b64 s[6:7], exec, s[8:9]
	s_cbranch_execnz .LBB20_3577
; %bb.1529:
	s_or_saveexec_b64 s[6:7], s[6:7]
	v_mov_b32_e32 v2, s10
	s_xor_b64 exec, exec, s[6:7]
	s_cbranch_execnz .LBB20_3580
.LBB20_1530:
	s_or_b64 exec, exec, s[6:7]
	s_and_saveexec_b64 s[6:7], s[4:5]
	s_cbranch_execz .LBB20_1532
.LBB20_1531:
	v_bfe_u32 v2, v9, 24, 3
	v_ffbh_u32_e32 v7, v2
	v_min_u32_e32 v7, 32, v7
	v_lshrrev_b32_e32 v4, 27, v9
	v_subrev_u32_e32 v8, 28, v7
	v_and_b32_e32 v4, 15, v4
	v_lshlrev_b32_sdwa v8, v8, v9 dst_sel:DWORD dst_unused:UNUSED_PAD src0_sel:DWORD src1_sel:BYTE_3
	v_bfe_u32 v6, v9, 27, 4
	v_sub_u32_e32 v7, 29, v7
	v_and_b32_e32 v8, 7, v8
	v_cmp_eq_u16_e32 vcc, 0, v4
	v_cndmask_b32_e32 v2, v2, v8, vcc
	v_cndmask_b32_e32 v4, v6, v7, vcc
	v_mov_b32_e32 v6, 0x3b800000
	v_and_b32_e32 v3, 0x80000000, v9
	v_lshlrev_b32_e32 v2, 20, v2
	v_lshl_add_u32 v4, v4, 23, v6
	v_or3_b32 v2, v3, v4, v2
.LBB20_1532:
	s_or_b64 exec, exec, s[6:7]
	s_movk_i32 s4, 0x7f
	v_cmp_gt_i16_sdwa s[6:7], v5, s4 src0_sel:BYTE_3 src1_sel:DWORD
	s_mov_b64 s[4:5], 0
                                        ; implicit-def: $sgpr10
	s_and_saveexec_b64 s[8:9], s[6:7]
	s_xor_b64 s[6:7], exec, s[8:9]
	s_cbranch_execnz .LBB20_3581
; %bb.1533:
	s_or_saveexec_b64 s[6:7], s[6:7]
	v_mov_b32_e32 v3, s10
	s_xor_b64 exec, exec, s[6:7]
	s_cbranch_execnz .LBB20_3584
.LBB20_1534:
	s_or_b64 exec, exec, s[6:7]
	s_and_saveexec_b64 s[6:7], s[4:5]
	s_cbranch_execz .LBB20_1536
.LBB20_1535:
	v_bfe_u32 v3, v5, 24, 3
	v_ffbh_u32_e32 v8, v3
	v_min_u32_e32 v8, 32, v8
	v_lshrrev_b32_e32 v6, 27, v5
	v_subrev_u32_e32 v9, 28, v8
	v_and_b32_e32 v4, 0x80000000, v5
	v_and_b32_e32 v6, 15, v6
	v_bfe_u32 v7, v5, 27, 4
	v_lshlrev_b32_sdwa v5, v9, v5 dst_sel:DWORD dst_unused:UNUSED_PAD src0_sel:DWORD src1_sel:BYTE_3
	v_sub_u32_e32 v8, 29, v8
	v_and_b32_e32 v5, 7, v5
	v_cmp_eq_u16_e32 vcc, 0, v6
	v_cndmask_b32_e32 v3, v3, v5, vcc
	v_cndmask_b32_e32 v5, v7, v8, vcc
	v_mov_b32_e32 v6, 0x3b800000
	v_lshlrev_b32_e32 v3, 20, v3
	v_lshl_add_u32 v5, v5, 23, v6
	v_or3_b32 v3, v4, v5, v3
.LBB20_1536:
	s_or_b64 exec, exec, s[6:7]
	s_nop 0
	v_mfma_f32_16x16x4f32 a[0:3], v2, v3, a[0:3]
	s_movk_i32 s4, 0x7f
                                        ; implicit-def: $sgpr10
	s_nop 7
	s_nop 1
	flat_store_dwordx4 v[18:19], a[0:3] offset:336
	flat_load_dwordx4 v[20:23], v[0:1] offset:8
	s_nop 0
	flat_load_dwordx2 v[18:19], v[0:1] offset:24
	s_waitcnt vmcnt(0) lgkmcnt(0)
	flat_load_dwordx4 v[14:17], v[20:21]
	flat_load_dwordx4 v[6:9], v[20:21] offset:16
	flat_load_dwordx4 v[10:13], v[22:23] offset:192
	;; [unrolled: 1-line block ×3, first 2 shown]
	s_waitcnt vmcnt(0) lgkmcnt(0)
	v_cmp_gt_i16_sdwa s[6:7], v14, s4 src0_sel:BYTE_0 src1_sel:DWORD
	s_mov_b64 s[4:5], 0
	s_and_saveexec_b64 s[8:9], s[6:7]
	s_xor_b64 s[6:7], exec, s[8:9]
	s_cbranch_execnz .LBB20_3585
; %bb.1537:
	s_or_saveexec_b64 s[6:7], s[6:7]
	v_mov_b32_e32 v20, s10
	s_xor_b64 exec, exec, s[6:7]
	s_cbranch_execnz .LBB20_3588
.LBB20_1538:
	s_or_b64 exec, exec, s[6:7]
	s_and_saveexec_b64 s[6:7], s[4:5]
	s_cbranch_execz .LBB20_1540
.LBB20_1539:
	v_and_b32_e32 v20, 7, v14
	v_ffbh_u32_e32 v22, v20
	v_min_u32_e32 v22, 32, v22
	v_lshrrev_b16_e32 v21, 3, v14
	v_subrev_u32_e32 v23, 28, v22
	v_and_b32_e32 v21, 15, v21
	v_lshlrev_b32_e32 v23, v23, v14
	v_sub_u32_e32 v22, 29, v22
	v_and_b32_e32 v23, 7, v23
	v_cmp_eq_u16_e32 vcc, 0, v21
	v_cndmask_b32_e32 v20, v20, v23, vcc
	v_cndmask_b32_e32 v21, v21, v22, vcc
	v_lshlrev_b32_e32 v22, 24, v14
	v_mov_b32_e32 v23, 0x3b800000
	v_lshlrev_b32_e32 v20, 20, v20
	v_and_b32_e32 v22, 0x80000000, v22
	v_lshl_add_u32 v21, v21, 23, v23
	v_or3_b32 v20, v22, v21, v20
.LBB20_1540:
	s_or_b64 exec, exec, s[6:7]
	s_movk_i32 s4, 0x7f
	v_cmp_gt_i16_sdwa s[6:7], v10, s4 src0_sel:BYTE_0 src1_sel:DWORD
	s_mov_b64 s[4:5], 0
                                        ; implicit-def: $sgpr10
	s_and_saveexec_b64 s[8:9], s[6:7]
	s_xor_b64 s[6:7], exec, s[8:9]
	s_cbranch_execnz .LBB20_3589
; %bb.1541:
	s_or_saveexec_b64 s[6:7], s[6:7]
	v_mov_b32_e32 v21, s10
	s_xor_b64 exec, exec, s[6:7]
	s_cbranch_execnz .LBB20_3592
.LBB20_1542:
	s_or_b64 exec, exec, s[6:7]
	s_and_saveexec_b64 s[6:7], s[4:5]
	s_cbranch_execz .LBB20_1544
.LBB20_1543:
	v_and_b32_e32 v21, 7, v10
	v_ffbh_u32_e32 v23, v21
	v_min_u32_e32 v23, 32, v23
	v_lshrrev_b16_e32 v22, 3, v10
	v_subrev_u32_e32 v24, 28, v23
	v_and_b32_e32 v22, 15, v22
	v_lshlrev_b32_e32 v24, v24, v10
	v_sub_u32_e32 v23, 29, v23
	v_and_b32_e32 v24, 7, v24
	v_cmp_eq_u16_e32 vcc, 0, v22
	v_cndmask_b32_e32 v21, v21, v24, vcc
	v_cndmask_b32_e32 v22, v22, v23, vcc
	v_lshlrev_b32_e32 v23, 24, v10
	v_mov_b32_e32 v24, 0x3b800000
	v_lshlrev_b32_e32 v21, 20, v21
	v_and_b32_e32 v23, 0x80000000, v23
	v_lshl_add_u32 v22, v22, 23, v24
	v_or3_b32 v21, v23, v22, v21
.LBB20_1544:
	s_or_b64 exec, exec, s[6:7]
	flat_load_dwordx4 a[0:3], v[18:19] offset:352
	s_movk_i32 s4, 0x7f
                                        ; implicit-def: $sgpr10
	s_waitcnt vmcnt(0) lgkmcnt(0)
	v_mfma_f32_16x16x4f32 a[0:3], v20, v21, a[0:3]
	v_lshrrev_b32_e32 v21, 8, v14
	v_cmp_gt_i16_sdwa s[6:7], v21, s4 src0_sel:BYTE_0 src1_sel:DWORD
	s_mov_b64 s[4:5], 0
	s_and_saveexec_b64 s[8:9], s[6:7]
	s_xor_b64 s[6:7], exec, s[8:9]
	s_cbranch_execnz .LBB20_3593
; %bb.1545:
	s_or_saveexec_b64 s[6:7], s[6:7]
	v_mov_b32_e32 v20, s10
	s_xor_b64 exec, exec, s[6:7]
	s_cbranch_execnz .LBB20_3596
.LBB20_1546:
	s_or_b64 exec, exec, s[6:7]
	s_and_saveexec_b64 s[6:7], s[4:5]
	s_cbranch_execz .LBB20_1548
.LBB20_1547:
	v_bfe_u32 v20, v14, 8, 3
	v_ffbh_u32_e32 v23, v20
	v_min_u32_e32 v23, 32, v23
	v_lshrrev_b16_e32 v22, 3, v21
	v_subrev_u32_e32 v24, 28, v23
	v_and_b32_e32 v22, 15, v22
	v_lshlrev_b32_e32 v21, v24, v21
	v_sub_u32_e32 v23, 29, v23
	v_and_b32_e32 v21, 7, v21
	v_cmp_eq_u16_e32 vcc, 0, v22
	v_cndmask_b32_e32 v20, v20, v21, vcc
	v_cndmask_b32_e32 v21, v22, v23, vcc
	v_lshlrev_b32_e32 v22, 16, v14
	v_mov_b32_e32 v23, 0x3b800000
	v_lshlrev_b32_e32 v20, 20, v20
	v_and_b32_e32 v22, 0x80000000, v22
	v_lshl_add_u32 v21, v21, 23, v23
	v_or3_b32 v20, v22, v21, v20
.LBB20_1548:
	s_or_b64 exec, exec, s[6:7]
	v_lshrrev_b32_e32 v21, 8, v10
	s_movk_i32 s4, 0x7f
	v_cmp_gt_i16_sdwa s[6:7], v21, s4 src0_sel:BYTE_0 src1_sel:DWORD
	s_mov_b64 s[4:5], 0
                                        ; implicit-def: $sgpr10
	s_and_saveexec_b64 s[8:9], s[6:7]
	s_xor_b64 s[6:7], exec, s[8:9]
	s_cbranch_execnz .LBB20_3597
; %bb.1549:
	s_or_saveexec_b64 s[6:7], s[6:7]
	v_mov_b32_e32 v22, s10
	s_xor_b64 exec, exec, s[6:7]
	s_cbranch_execnz .LBB20_3600
.LBB20_1550:
	s_or_b64 exec, exec, s[6:7]
	s_and_saveexec_b64 s[6:7], s[4:5]
	s_cbranch_execz .LBB20_1552
.LBB20_1551:
	v_bfe_u32 v22, v10, 8, 3
	v_ffbh_u32_e32 v24, v22
	v_min_u32_e32 v24, 32, v24
	v_lshrrev_b16_e32 v23, 3, v21
	v_subrev_u32_e32 v25, 28, v24
	v_and_b32_e32 v23, 15, v23
	v_lshlrev_b32_e32 v21, v25, v21
	v_sub_u32_e32 v24, 29, v24
	v_and_b32_e32 v21, 7, v21
	v_cmp_eq_u16_e32 vcc, 0, v23
	v_cndmask_b32_e32 v21, v22, v21, vcc
	v_cndmask_b32_e32 v22, v23, v24, vcc
	v_lshlrev_b32_e32 v23, 16, v10
	v_mov_b32_e32 v24, 0x3b800000
	v_lshlrev_b32_e32 v21, 20, v21
	v_and_b32_e32 v23, 0x80000000, v23
	v_lshl_add_u32 v22, v22, 23, v24
	v_or3_b32 v22, v23, v22, v21
.LBB20_1552:
	s_or_b64 exec, exec, s[6:7]
	s_nop 0
	v_mfma_f32_16x16x4f32 a[0:3], v20, v22, a[0:3]
	s_movk_i32 s4, 0xff
	v_and_b32_sdwa v21, v14, s4 dst_sel:DWORD dst_unused:UNUSED_PAD src0_sel:WORD_1 src1_sel:DWORD
	s_movk_i32 s4, 0x7f
	v_cmp_lt_i16_e32 vcc, s4, v21
	s_mov_b64 s[4:5], 0
                                        ; implicit-def: $sgpr10
	s_and_saveexec_b64 s[6:7], vcc
	s_xor_b64 s[6:7], exec, s[6:7]
	s_cbranch_execnz .LBB20_3601
; %bb.1553:
	s_or_saveexec_b64 s[6:7], s[6:7]
	v_mov_b32_e32 v20, s10
	s_xor_b64 exec, exec, s[6:7]
	s_cbranch_execnz .LBB20_3604
.LBB20_1554:
	s_or_b64 exec, exec, s[6:7]
	s_and_saveexec_b64 s[6:7], s[4:5]
	s_cbranch_execz .LBB20_1556
.LBB20_1555:
	v_bfe_u32 v20, v14, 16, 3
	v_ffbh_u32_e32 v23, v20
	v_min_u32_e32 v23, 32, v23
	v_lshrrev_b32_e32 v21, 19, v14
	v_subrev_u32_e32 v24, 28, v23
	v_and_b32_e32 v21, 15, v21
	v_lshlrev_b32_sdwa v24, v24, v14 dst_sel:DWORD dst_unused:UNUSED_PAD src0_sel:DWORD src1_sel:WORD_1
	v_bfe_u32 v22, v14, 19, 4
	v_sub_u32_e32 v23, 29, v23
	v_and_b32_e32 v24, 7, v24
	v_cmp_eq_u16_e32 vcc, 0, v21
	v_cndmask_b32_e32 v20, v20, v24, vcc
	v_cndmask_b32_e32 v21, v22, v23, vcc
	v_lshlrev_b32_e32 v22, 8, v14
	v_mov_b32_e32 v23, 0x3b800000
	v_lshlrev_b32_e32 v20, 20, v20
	v_and_b32_e32 v22, 0x80000000, v22
	v_lshl_add_u32 v21, v21, 23, v23
	v_or3_b32 v20, v22, v21, v20
.LBB20_1556:
	s_or_b64 exec, exec, s[6:7]
	s_movk_i32 s4, 0xff
	v_and_b32_sdwa v21, v10, s4 dst_sel:DWORD dst_unused:UNUSED_PAD src0_sel:WORD_1 src1_sel:DWORD
	s_movk_i32 s4, 0x7f
	v_cmp_lt_i16_e32 vcc, s4, v21
	s_mov_b64 s[4:5], 0
                                        ; implicit-def: $sgpr10
	s_and_saveexec_b64 s[6:7], vcc
	s_xor_b64 s[6:7], exec, s[6:7]
	s_cbranch_execnz .LBB20_3605
; %bb.1557:
	s_or_saveexec_b64 s[6:7], s[6:7]
	v_mov_b32_e32 v22, s10
	s_xor_b64 exec, exec, s[6:7]
	s_cbranch_execnz .LBB20_3608
.LBB20_1558:
	s_or_b64 exec, exec, s[6:7]
	s_and_saveexec_b64 s[6:7], s[4:5]
	s_cbranch_execz .LBB20_1560
.LBB20_1559:
	v_bfe_u32 v21, v10, 16, 3
	v_ffbh_u32_e32 v24, v21
	v_min_u32_e32 v24, 32, v24
	v_lshrrev_b32_e32 v22, 19, v10
	v_subrev_u32_e32 v25, 28, v24
	v_and_b32_e32 v22, 15, v22
	v_lshlrev_b32_sdwa v25, v25, v10 dst_sel:DWORD dst_unused:UNUSED_PAD src0_sel:DWORD src1_sel:WORD_1
	v_bfe_u32 v23, v10, 19, 4
	v_sub_u32_e32 v24, 29, v24
	v_and_b32_e32 v25, 7, v25
	v_cmp_eq_u16_e32 vcc, 0, v22
	v_cndmask_b32_e32 v21, v21, v25, vcc
	v_cndmask_b32_e32 v22, v23, v24, vcc
	v_lshlrev_b32_e32 v23, 8, v10
	v_mov_b32_e32 v24, 0x3b800000
	v_lshlrev_b32_e32 v21, 20, v21
	v_and_b32_e32 v23, 0x80000000, v23
	v_lshl_add_u32 v22, v22, 23, v24
	v_or3_b32 v22, v23, v22, v21
.LBB20_1560:
	s_or_b64 exec, exec, s[6:7]
	s_nop 0
	v_mfma_f32_16x16x4f32 a[0:3], v20, v22, a[0:3]
	s_movk_i32 s4, 0x7f
	v_cmp_gt_i16_sdwa s[6:7], v14, s4 src0_sel:BYTE_3 src1_sel:DWORD
	s_mov_b64 s[4:5], 0
                                        ; implicit-def: $sgpr10
	s_and_saveexec_b64 s[8:9], s[6:7]
	s_xor_b64 s[6:7], exec, s[8:9]
	s_cbranch_execnz .LBB20_3609
; %bb.1561:
	s_or_saveexec_b64 s[6:7], s[6:7]
	v_mov_b32_e32 v20, s10
	s_xor_b64 exec, exec, s[6:7]
	s_cbranch_execnz .LBB20_3612
.LBB20_1562:
	s_or_b64 exec, exec, s[6:7]
	s_and_saveexec_b64 s[6:7], s[4:5]
	s_cbranch_execz .LBB20_1564
.LBB20_1563:
	v_bfe_u32 v20, v14, 24, 3
	v_ffbh_u32_e32 v24, v20
	v_min_u32_e32 v24, 32, v24
	v_lshrrev_b32_e32 v22, 27, v14
	v_subrev_u32_e32 v25, 28, v24
	v_and_b32_e32 v21, 0x80000000, v14
	v_and_b32_e32 v22, 15, v22
	v_bfe_u32 v23, v14, 27, 4
	v_lshlrev_b32_sdwa v14, v25, v14 dst_sel:DWORD dst_unused:UNUSED_PAD src0_sel:DWORD src1_sel:BYTE_3
	v_sub_u32_e32 v24, 29, v24
	v_and_b32_e32 v14, 7, v14
	v_cmp_eq_u16_e32 vcc, 0, v22
	v_cndmask_b32_e32 v14, v20, v14, vcc
	v_cndmask_b32_e32 v20, v23, v24, vcc
	v_mov_b32_e32 v22, 0x3b800000
	v_lshlrev_b32_e32 v14, 20, v14
	v_lshl_add_u32 v20, v20, 23, v22
	v_or3_b32 v20, v21, v20, v14
.LBB20_1564:
	s_or_b64 exec, exec, s[6:7]
	s_movk_i32 s4, 0x7f
	v_cmp_gt_i16_sdwa s[6:7], v10, s4 src0_sel:BYTE_3 src1_sel:DWORD
	s_mov_b64 s[4:5], 0
                                        ; implicit-def: $sgpr10
	s_and_saveexec_b64 s[8:9], s[6:7]
	s_xor_b64 s[6:7], exec, s[8:9]
	s_cbranch_execnz .LBB20_3613
; %bb.1565:
	s_or_saveexec_b64 s[6:7], s[6:7]
	v_mov_b32_e32 v14, s10
	s_xor_b64 exec, exec, s[6:7]
	s_cbranch_execnz .LBB20_3616
.LBB20_1566:
	s_or_b64 exec, exec, s[6:7]
	s_and_saveexec_b64 s[6:7], s[4:5]
	s_cbranch_execz .LBB20_1568
.LBB20_1567:
	v_bfe_u32 v14, v10, 24, 3
	v_ffbh_u32_e32 v24, v14
	v_min_u32_e32 v24, 32, v24
	v_lshrrev_b32_e32 v22, 27, v10
	v_subrev_u32_e32 v25, 28, v24
	v_and_b32_e32 v21, 0x80000000, v10
	v_and_b32_e32 v22, 15, v22
	v_bfe_u32 v23, v10, 27, 4
	v_lshlrev_b32_sdwa v10, v25, v10 dst_sel:DWORD dst_unused:UNUSED_PAD src0_sel:DWORD src1_sel:BYTE_3
	v_sub_u32_e32 v24, 29, v24
	v_and_b32_e32 v10, 7, v10
	v_cmp_eq_u16_e32 vcc, 0, v22
	v_cndmask_b32_e32 v10, v14, v10, vcc
	v_cndmask_b32_e32 v14, v23, v24, vcc
	v_mov_b32_e32 v22, 0x3b800000
	v_lshlrev_b32_e32 v10, 20, v10
	v_lshl_add_u32 v14, v14, 23, v22
	v_or3_b32 v14, v21, v14, v10
.LBB20_1568:
	s_or_b64 exec, exec, s[6:7]
	s_nop 0
	v_mfma_f32_16x16x4f32 a[0:3], v20, v14, a[0:3]
	s_movk_i32 s4, 0x7f
	v_cmp_gt_i16_sdwa s[6:7], v15, s4 src0_sel:BYTE_0 src1_sel:DWORD
	s_mov_b64 s[4:5], 0
                                        ; implicit-def: $sgpr10
	s_and_saveexec_b64 s[8:9], s[6:7]
	s_xor_b64 s[6:7], exec, s[8:9]
	s_cbranch_execnz .LBB20_3617
; %bb.1569:
	s_or_saveexec_b64 s[6:7], s[6:7]
	v_mov_b32_e32 v10, s10
	s_xor_b64 exec, exec, s[6:7]
	s_cbranch_execnz .LBB20_3620
.LBB20_1570:
	s_or_b64 exec, exec, s[6:7]
	s_and_saveexec_b64 s[6:7], s[4:5]
	s_cbranch_execz .LBB20_1572
.LBB20_1571:
	v_and_b32_e32 v10, 7, v15
	v_ffbh_u32_e32 v20, v10
	v_min_u32_e32 v20, 32, v20
	v_lshrrev_b16_e32 v14, 3, v15
	v_subrev_u32_e32 v21, 28, v20
	v_and_b32_e32 v14, 15, v14
	v_lshlrev_b32_e32 v21, v21, v15
	v_sub_u32_e32 v20, 29, v20
	v_and_b32_e32 v21, 7, v21
	v_cmp_eq_u16_e32 vcc, 0, v14
	v_cndmask_b32_e32 v10, v10, v21, vcc
	v_cndmask_b32_e32 v14, v14, v20, vcc
	v_lshlrev_b32_e32 v20, 24, v15
	v_mov_b32_e32 v21, 0x3b800000
	v_lshlrev_b32_e32 v10, 20, v10
	v_and_b32_e32 v20, 0x80000000, v20
	v_lshl_add_u32 v14, v14, 23, v21
	v_or3_b32 v10, v20, v14, v10
.LBB20_1572:
	s_or_b64 exec, exec, s[6:7]
	s_movk_i32 s4, 0x7f
	v_cmp_gt_i16_sdwa s[6:7], v11, s4 src0_sel:BYTE_0 src1_sel:DWORD
	s_mov_b64 s[4:5], 0
                                        ; implicit-def: $sgpr10
	s_and_saveexec_b64 s[8:9], s[6:7]
	s_xor_b64 s[6:7], exec, s[8:9]
	s_cbranch_execnz .LBB20_3621
; %bb.1573:
	s_or_saveexec_b64 s[6:7], s[6:7]
	v_mov_b32_e32 v14, s10
	s_xor_b64 exec, exec, s[6:7]
	s_cbranch_execnz .LBB20_3624
.LBB20_1574:
	s_or_b64 exec, exec, s[6:7]
	s_and_saveexec_b64 s[6:7], s[4:5]
	s_cbranch_execz .LBB20_1576
.LBB20_1575:
	v_and_b32_e32 v14, 7, v11
	v_ffbh_u32_e32 v21, v14
	v_min_u32_e32 v21, 32, v21
	v_lshrrev_b16_e32 v20, 3, v11
	v_subrev_u32_e32 v22, 28, v21
	v_and_b32_e32 v20, 15, v20
	v_lshlrev_b32_e32 v22, v22, v11
	v_sub_u32_e32 v21, 29, v21
	v_and_b32_e32 v22, 7, v22
	v_cmp_eq_u16_e32 vcc, 0, v20
	v_cndmask_b32_e32 v14, v14, v22, vcc
	v_cndmask_b32_e32 v20, v20, v21, vcc
	v_lshlrev_b32_e32 v21, 24, v11
	v_mov_b32_e32 v22, 0x3b800000
	v_lshlrev_b32_e32 v14, 20, v14
	v_and_b32_e32 v21, 0x80000000, v21
	v_lshl_add_u32 v20, v20, 23, v22
	v_or3_b32 v14, v21, v20, v14
.LBB20_1576:
	s_or_b64 exec, exec, s[6:7]
	s_nop 0
	v_mfma_f32_16x16x4f32 a[0:3], v10, v14, a[0:3]
	v_lshrrev_b32_e32 v14, 8, v15
	s_movk_i32 s4, 0x7f
	v_cmp_gt_i16_sdwa s[6:7], v14, s4 src0_sel:BYTE_0 src1_sel:DWORD
	s_mov_b64 s[4:5], 0
                                        ; implicit-def: $sgpr10
	s_and_saveexec_b64 s[8:9], s[6:7]
	s_xor_b64 s[6:7], exec, s[8:9]
	s_cbranch_execnz .LBB20_3625
; %bb.1577:
	s_or_saveexec_b64 s[6:7], s[6:7]
	v_mov_b32_e32 v10, s10
	s_xor_b64 exec, exec, s[6:7]
	s_cbranch_execnz .LBB20_3628
.LBB20_1578:
	s_or_b64 exec, exec, s[6:7]
	s_and_saveexec_b64 s[6:7], s[4:5]
	s_cbranch_execz .LBB20_1580
.LBB20_1579:
	v_bfe_u32 v10, v15, 8, 3
	v_ffbh_u32_e32 v21, v10
	v_min_u32_e32 v21, 32, v21
	v_lshrrev_b16_e32 v20, 3, v14
	v_subrev_u32_e32 v22, 28, v21
	v_and_b32_e32 v20, 15, v20
	v_lshlrev_b32_e32 v14, v22, v14
	v_sub_u32_e32 v21, 29, v21
	v_and_b32_e32 v14, 7, v14
	v_cmp_eq_u16_e32 vcc, 0, v20
	v_cndmask_b32_e32 v10, v10, v14, vcc
	v_cndmask_b32_e32 v14, v20, v21, vcc
	v_lshlrev_b32_e32 v20, 16, v15
	v_mov_b32_e32 v21, 0x3b800000
	v_lshlrev_b32_e32 v10, 20, v10
	v_and_b32_e32 v20, 0x80000000, v20
	v_lshl_add_u32 v14, v14, 23, v21
	v_or3_b32 v10, v20, v14, v10
.LBB20_1580:
	s_or_b64 exec, exec, s[6:7]
	v_lshrrev_b32_e32 v14, 8, v11
	s_movk_i32 s4, 0x7f
	v_cmp_gt_i16_sdwa s[6:7], v14, s4 src0_sel:BYTE_0 src1_sel:DWORD
	s_mov_b64 s[4:5], 0
                                        ; implicit-def: $sgpr10
	s_and_saveexec_b64 s[8:9], s[6:7]
	s_xor_b64 s[6:7], exec, s[8:9]
	s_cbranch_execnz .LBB20_3629
; %bb.1581:
	s_or_saveexec_b64 s[6:7], s[6:7]
	v_mov_b32_e32 v20, s10
	s_xor_b64 exec, exec, s[6:7]
	s_cbranch_execnz .LBB20_3632
.LBB20_1582:
	s_or_b64 exec, exec, s[6:7]
	s_and_saveexec_b64 s[6:7], s[4:5]
	s_cbranch_execz .LBB20_1584
.LBB20_1583:
	v_bfe_u32 v20, v11, 8, 3
	v_ffbh_u32_e32 v22, v20
	v_min_u32_e32 v22, 32, v22
	v_lshrrev_b16_e32 v21, 3, v14
	v_subrev_u32_e32 v23, 28, v22
	v_and_b32_e32 v21, 15, v21
	v_lshlrev_b32_e32 v14, v23, v14
	v_sub_u32_e32 v22, 29, v22
	v_and_b32_e32 v14, 7, v14
	v_cmp_eq_u16_e32 vcc, 0, v21
	v_cndmask_b32_e32 v14, v20, v14, vcc
	v_cndmask_b32_e32 v20, v21, v22, vcc
	v_lshlrev_b32_e32 v21, 16, v11
	v_mov_b32_e32 v22, 0x3b800000
	v_lshlrev_b32_e32 v14, 20, v14
	v_and_b32_e32 v21, 0x80000000, v21
	v_lshl_add_u32 v20, v20, 23, v22
	v_or3_b32 v20, v21, v20, v14
.LBB20_1584:
	s_or_b64 exec, exec, s[6:7]
	s_nop 0
	v_mfma_f32_16x16x4f32 a[0:3], v10, v20, a[0:3]
	s_movk_i32 s4, 0xff
	v_and_b32_sdwa v14, v15, s4 dst_sel:DWORD dst_unused:UNUSED_PAD src0_sel:WORD_1 src1_sel:DWORD
	s_movk_i32 s4, 0x7f
	v_cmp_lt_i16_e32 vcc, s4, v14
	s_mov_b64 s[4:5], 0
                                        ; implicit-def: $sgpr10
	s_and_saveexec_b64 s[6:7], vcc
	s_xor_b64 s[6:7], exec, s[6:7]
	s_cbranch_execnz .LBB20_3633
; %bb.1585:
	s_or_saveexec_b64 s[6:7], s[6:7]
	v_mov_b32_e32 v10, s10
	s_xor_b64 exec, exec, s[6:7]
	s_cbranch_execnz .LBB20_3636
.LBB20_1586:
	s_or_b64 exec, exec, s[6:7]
	s_and_saveexec_b64 s[6:7], s[4:5]
	s_cbranch_execz .LBB20_1588
.LBB20_1587:
	v_bfe_u32 v10, v15, 16, 3
	v_ffbh_u32_e32 v21, v10
	v_min_u32_e32 v21, 32, v21
	v_lshrrev_b32_e32 v14, 19, v15
	v_subrev_u32_e32 v22, 28, v21
	v_and_b32_e32 v14, 15, v14
	v_lshlrev_b32_sdwa v22, v22, v15 dst_sel:DWORD dst_unused:UNUSED_PAD src0_sel:DWORD src1_sel:WORD_1
	v_bfe_u32 v20, v15, 19, 4
	v_sub_u32_e32 v21, 29, v21
	v_and_b32_e32 v22, 7, v22
	v_cmp_eq_u16_e32 vcc, 0, v14
	v_cndmask_b32_e32 v10, v10, v22, vcc
	v_cndmask_b32_e32 v14, v20, v21, vcc
	v_lshlrev_b32_e32 v20, 8, v15
	v_mov_b32_e32 v21, 0x3b800000
	v_lshlrev_b32_e32 v10, 20, v10
	v_and_b32_e32 v20, 0x80000000, v20
	v_lshl_add_u32 v14, v14, 23, v21
	v_or3_b32 v10, v20, v14, v10
.LBB20_1588:
	s_or_b64 exec, exec, s[6:7]
	s_movk_i32 s4, 0xff
	v_and_b32_sdwa v14, v11, s4 dst_sel:DWORD dst_unused:UNUSED_PAD src0_sel:WORD_1 src1_sel:DWORD
	s_movk_i32 s4, 0x7f
	v_cmp_lt_i16_e32 vcc, s4, v14
	s_mov_b64 s[4:5], 0
                                        ; implicit-def: $sgpr10
	s_and_saveexec_b64 s[6:7], vcc
	s_xor_b64 s[6:7], exec, s[6:7]
	s_cbranch_execnz .LBB20_3637
; %bb.1589:
	s_or_saveexec_b64 s[6:7], s[6:7]
	v_mov_b32_e32 v20, s10
	s_xor_b64 exec, exec, s[6:7]
	s_cbranch_execnz .LBB20_3640
.LBB20_1590:
	s_or_b64 exec, exec, s[6:7]
	s_and_saveexec_b64 s[6:7], s[4:5]
	s_cbranch_execz .LBB20_1592
.LBB20_1591:
	v_bfe_u32 v14, v11, 16, 3
	v_ffbh_u32_e32 v22, v14
	v_min_u32_e32 v22, 32, v22
	v_lshrrev_b32_e32 v20, 19, v11
	v_subrev_u32_e32 v23, 28, v22
	v_and_b32_e32 v20, 15, v20
	v_lshlrev_b32_sdwa v23, v23, v11 dst_sel:DWORD dst_unused:UNUSED_PAD src0_sel:DWORD src1_sel:WORD_1
	v_bfe_u32 v21, v11, 19, 4
	v_sub_u32_e32 v22, 29, v22
	v_and_b32_e32 v23, 7, v23
	v_cmp_eq_u16_e32 vcc, 0, v20
	v_cndmask_b32_e32 v14, v14, v23, vcc
	v_cndmask_b32_e32 v20, v21, v22, vcc
	v_lshlrev_b32_e32 v21, 8, v11
	v_mov_b32_e32 v22, 0x3b800000
	v_lshlrev_b32_e32 v14, 20, v14
	v_and_b32_e32 v21, 0x80000000, v21
	v_lshl_add_u32 v20, v20, 23, v22
	v_or3_b32 v20, v21, v20, v14
.LBB20_1592:
	s_or_b64 exec, exec, s[6:7]
	s_nop 0
	v_mfma_f32_16x16x4f32 a[0:3], v10, v20, a[0:3]
	s_movk_i32 s4, 0x7f
	v_cmp_gt_i16_sdwa s[6:7], v15, s4 src0_sel:BYTE_3 src1_sel:DWORD
	s_mov_b64 s[4:5], 0
                                        ; implicit-def: $sgpr10
	s_and_saveexec_b64 s[8:9], s[6:7]
	s_xor_b64 s[6:7], exec, s[8:9]
	s_cbranch_execnz .LBB20_3641
; %bb.1593:
	s_or_saveexec_b64 s[6:7], s[6:7]
	v_mov_b32_e32 v10, s10
	s_xor_b64 exec, exec, s[6:7]
	s_cbranch_execnz .LBB20_3644
.LBB20_1594:
	s_or_b64 exec, exec, s[6:7]
	s_and_saveexec_b64 s[6:7], s[4:5]
	s_cbranch_execz .LBB20_1596
.LBB20_1595:
	v_bfe_u32 v10, v15, 24, 3
	v_ffbh_u32_e32 v22, v10
	v_min_u32_e32 v22, 32, v22
	v_lshrrev_b32_e32 v20, 27, v15
	v_subrev_u32_e32 v23, 28, v22
	v_and_b32_e32 v14, 0x80000000, v15
	v_and_b32_e32 v20, 15, v20
	v_bfe_u32 v21, v15, 27, 4
	v_lshlrev_b32_sdwa v15, v23, v15 dst_sel:DWORD dst_unused:UNUSED_PAD src0_sel:DWORD src1_sel:BYTE_3
	v_sub_u32_e32 v22, 29, v22
	v_and_b32_e32 v15, 7, v15
	v_cmp_eq_u16_e32 vcc, 0, v20
	v_cndmask_b32_e32 v10, v10, v15, vcc
	v_cndmask_b32_e32 v15, v21, v22, vcc
	v_mov_b32_e32 v20, 0x3b800000
	v_lshlrev_b32_e32 v10, 20, v10
	v_lshl_add_u32 v15, v15, 23, v20
	v_or3_b32 v10, v14, v15, v10
.LBB20_1596:
	s_or_b64 exec, exec, s[6:7]
	s_movk_i32 s4, 0x7f
	v_cmp_gt_i16_sdwa s[6:7], v11, s4 src0_sel:BYTE_3 src1_sel:DWORD
	s_mov_b64 s[4:5], 0
                                        ; implicit-def: $sgpr10
	s_and_saveexec_b64 s[8:9], s[6:7]
	s_xor_b64 s[6:7], exec, s[8:9]
	s_cbranch_execnz .LBB20_3645
; %bb.1597:
	s_or_saveexec_b64 s[6:7], s[6:7]
	v_mov_b32_e32 v14, s10
	s_xor_b64 exec, exec, s[6:7]
	s_cbranch_execnz .LBB20_3648
.LBB20_1598:
	s_or_b64 exec, exec, s[6:7]
	s_and_saveexec_b64 s[6:7], s[4:5]
	s_cbranch_execz .LBB20_1600
.LBB20_1599:
	v_bfe_u32 v14, v11, 24, 3
	v_ffbh_u32_e32 v22, v14
	v_min_u32_e32 v22, 32, v22
	v_lshrrev_b32_e32 v20, 27, v11
	v_subrev_u32_e32 v23, 28, v22
	v_and_b32_e32 v15, 0x80000000, v11
	v_and_b32_e32 v20, 15, v20
	v_bfe_u32 v21, v11, 27, 4
	v_lshlrev_b32_sdwa v11, v23, v11 dst_sel:DWORD dst_unused:UNUSED_PAD src0_sel:DWORD src1_sel:BYTE_3
	v_sub_u32_e32 v22, 29, v22
	v_and_b32_e32 v11, 7, v11
	v_cmp_eq_u16_e32 vcc, 0, v20
	v_cndmask_b32_e32 v11, v14, v11, vcc
	v_cndmask_b32_e32 v14, v21, v22, vcc
	v_mov_b32_e32 v20, 0x3b800000
	v_lshlrev_b32_e32 v11, 20, v11
	v_lshl_add_u32 v14, v14, 23, v20
	v_or3_b32 v14, v15, v14, v11
.LBB20_1600:
	s_or_b64 exec, exec, s[6:7]
	s_nop 0
	v_mfma_f32_16x16x4f32 a[0:3], v10, v14, a[0:3]
	s_movk_i32 s4, 0x7f
	v_cmp_gt_i16_sdwa s[6:7], v16, s4 src0_sel:BYTE_0 src1_sel:DWORD
	s_mov_b64 s[4:5], 0
                                        ; implicit-def: $sgpr10
	s_and_saveexec_b64 s[8:9], s[6:7]
	s_xor_b64 s[6:7], exec, s[8:9]
	s_cbranch_execnz .LBB20_3649
; %bb.1601:
	s_or_saveexec_b64 s[6:7], s[6:7]
	v_mov_b32_e32 v10, s10
	s_xor_b64 exec, exec, s[6:7]
	s_cbranch_execnz .LBB20_3652
.LBB20_1602:
	s_or_b64 exec, exec, s[6:7]
	s_and_saveexec_b64 s[6:7], s[4:5]
	s_cbranch_execz .LBB20_1604
.LBB20_1603:
	v_and_b32_e32 v10, 7, v16
	v_ffbh_u32_e32 v14, v10
	v_min_u32_e32 v14, 32, v14
	v_lshrrev_b16_e32 v11, 3, v16
	v_subrev_u32_e32 v15, 28, v14
	v_and_b32_e32 v11, 15, v11
	v_lshlrev_b32_e32 v15, v15, v16
	v_sub_u32_e32 v14, 29, v14
	v_and_b32_e32 v15, 7, v15
	v_cmp_eq_u16_e32 vcc, 0, v11
	v_cndmask_b32_e32 v10, v10, v15, vcc
	v_cndmask_b32_e32 v11, v11, v14, vcc
	v_lshlrev_b32_e32 v14, 24, v16
	v_mov_b32_e32 v15, 0x3b800000
	v_lshlrev_b32_e32 v10, 20, v10
	v_and_b32_e32 v14, 0x80000000, v14
	v_lshl_add_u32 v11, v11, 23, v15
	v_or3_b32 v10, v14, v11, v10
.LBB20_1604:
	s_or_b64 exec, exec, s[6:7]
	s_movk_i32 s4, 0x7f
	v_cmp_gt_i16_sdwa s[6:7], v12, s4 src0_sel:BYTE_0 src1_sel:DWORD
	s_mov_b64 s[4:5], 0
                                        ; implicit-def: $sgpr10
	s_and_saveexec_b64 s[8:9], s[6:7]
	s_xor_b64 s[6:7], exec, s[8:9]
	s_cbranch_execnz .LBB20_3653
; %bb.1605:
	s_or_saveexec_b64 s[6:7], s[6:7]
	v_mov_b32_e32 v11, s10
	s_xor_b64 exec, exec, s[6:7]
	s_cbranch_execnz .LBB20_3656
.LBB20_1606:
	s_or_b64 exec, exec, s[6:7]
	s_and_saveexec_b64 s[6:7], s[4:5]
	s_cbranch_execz .LBB20_1608
.LBB20_1607:
	v_and_b32_e32 v11, 7, v12
	v_ffbh_u32_e32 v15, v11
	v_min_u32_e32 v15, 32, v15
	v_lshrrev_b16_e32 v14, 3, v12
	v_subrev_u32_e32 v20, 28, v15
	v_and_b32_e32 v14, 15, v14
	v_lshlrev_b32_e32 v20, v20, v12
	v_sub_u32_e32 v15, 29, v15
	v_and_b32_e32 v20, 7, v20
	v_cmp_eq_u16_e32 vcc, 0, v14
	v_cndmask_b32_e32 v11, v11, v20, vcc
	v_cndmask_b32_e32 v14, v14, v15, vcc
	v_lshlrev_b32_e32 v15, 24, v12
	v_mov_b32_e32 v20, 0x3b800000
	v_lshlrev_b32_e32 v11, 20, v11
	v_and_b32_e32 v15, 0x80000000, v15
	v_lshl_add_u32 v14, v14, 23, v20
	v_or3_b32 v11, v15, v14, v11
.LBB20_1608:
	s_or_b64 exec, exec, s[6:7]
	s_nop 0
	v_mfma_f32_16x16x4f32 a[0:3], v10, v11, a[0:3]
	v_lshrrev_b32_e32 v11, 8, v16
	s_movk_i32 s4, 0x7f
	v_cmp_gt_i16_sdwa s[6:7], v11, s4 src0_sel:BYTE_0 src1_sel:DWORD
	s_mov_b64 s[4:5], 0
                                        ; implicit-def: $sgpr10
	s_and_saveexec_b64 s[8:9], s[6:7]
	s_xor_b64 s[6:7], exec, s[8:9]
	s_cbranch_execnz .LBB20_3657
; %bb.1609:
	s_or_saveexec_b64 s[6:7], s[6:7]
	v_mov_b32_e32 v10, s10
	s_xor_b64 exec, exec, s[6:7]
	s_cbranch_execnz .LBB20_3660
.LBB20_1610:
	s_or_b64 exec, exec, s[6:7]
	s_and_saveexec_b64 s[6:7], s[4:5]
	s_cbranch_execz .LBB20_1612
.LBB20_1611:
	v_bfe_u32 v10, v16, 8, 3
	v_ffbh_u32_e32 v15, v10
	v_min_u32_e32 v15, 32, v15
	v_lshrrev_b16_e32 v14, 3, v11
	v_subrev_u32_e32 v20, 28, v15
	v_and_b32_e32 v14, 15, v14
	v_lshlrev_b32_e32 v11, v20, v11
	v_sub_u32_e32 v15, 29, v15
	v_and_b32_e32 v11, 7, v11
	v_cmp_eq_u16_e32 vcc, 0, v14
	v_cndmask_b32_e32 v10, v10, v11, vcc
	v_cndmask_b32_e32 v11, v14, v15, vcc
	v_lshlrev_b32_e32 v14, 16, v16
	v_mov_b32_e32 v15, 0x3b800000
	v_lshlrev_b32_e32 v10, 20, v10
	v_and_b32_e32 v14, 0x80000000, v14
	v_lshl_add_u32 v11, v11, 23, v15
	v_or3_b32 v10, v14, v11, v10
.LBB20_1612:
	s_or_b64 exec, exec, s[6:7]
	v_lshrrev_b32_e32 v11, 8, v12
	s_movk_i32 s4, 0x7f
	v_cmp_gt_i16_sdwa s[6:7], v11, s4 src0_sel:BYTE_0 src1_sel:DWORD
	s_mov_b64 s[4:5], 0
                                        ; implicit-def: $sgpr10
	s_and_saveexec_b64 s[8:9], s[6:7]
	s_xor_b64 s[6:7], exec, s[8:9]
	s_cbranch_execnz .LBB20_3661
; %bb.1613:
	s_or_saveexec_b64 s[6:7], s[6:7]
	v_mov_b32_e32 v14, s10
	s_xor_b64 exec, exec, s[6:7]
	s_cbranch_execnz .LBB20_3664
.LBB20_1614:
	s_or_b64 exec, exec, s[6:7]
	s_and_saveexec_b64 s[6:7], s[4:5]
	s_cbranch_execz .LBB20_1616
.LBB20_1615:
	v_bfe_u32 v14, v12, 8, 3
	v_ffbh_u32_e32 v20, v14
	v_min_u32_e32 v20, 32, v20
	v_lshrrev_b16_e32 v15, 3, v11
	v_subrev_u32_e32 v21, 28, v20
	v_and_b32_e32 v15, 15, v15
	v_lshlrev_b32_e32 v11, v21, v11
	v_sub_u32_e32 v20, 29, v20
	v_and_b32_e32 v11, 7, v11
	v_cmp_eq_u16_e32 vcc, 0, v15
	v_cndmask_b32_e32 v11, v14, v11, vcc
	v_cndmask_b32_e32 v14, v15, v20, vcc
	v_lshlrev_b32_e32 v15, 16, v12
	v_mov_b32_e32 v20, 0x3b800000
	v_lshlrev_b32_e32 v11, 20, v11
	v_and_b32_e32 v15, 0x80000000, v15
	v_lshl_add_u32 v14, v14, 23, v20
	v_or3_b32 v14, v15, v14, v11
.LBB20_1616:
	s_or_b64 exec, exec, s[6:7]
	s_nop 0
	v_mfma_f32_16x16x4f32 a[0:3], v10, v14, a[0:3]
	s_movk_i32 s4, 0xff
	v_and_b32_sdwa v11, v16, s4 dst_sel:DWORD dst_unused:UNUSED_PAD src0_sel:WORD_1 src1_sel:DWORD
	s_movk_i32 s4, 0x7f
	v_cmp_lt_i16_e32 vcc, s4, v11
	s_mov_b64 s[4:5], 0
                                        ; implicit-def: $sgpr10
	s_and_saveexec_b64 s[6:7], vcc
	s_xor_b64 s[6:7], exec, s[6:7]
	s_cbranch_execnz .LBB20_3665
; %bb.1617:
	s_or_saveexec_b64 s[6:7], s[6:7]
	v_mov_b32_e32 v10, s10
	s_xor_b64 exec, exec, s[6:7]
	s_cbranch_execnz .LBB20_3668
.LBB20_1618:
	s_or_b64 exec, exec, s[6:7]
	s_and_saveexec_b64 s[6:7], s[4:5]
	s_cbranch_execz .LBB20_1620
.LBB20_1619:
	v_bfe_u32 v10, v16, 16, 3
	v_ffbh_u32_e32 v15, v10
	v_min_u32_e32 v15, 32, v15
	v_lshrrev_b32_e32 v11, 19, v16
	v_subrev_u32_e32 v20, 28, v15
	v_and_b32_e32 v11, 15, v11
	v_lshlrev_b32_sdwa v20, v20, v16 dst_sel:DWORD dst_unused:UNUSED_PAD src0_sel:DWORD src1_sel:WORD_1
	v_bfe_u32 v14, v16, 19, 4
	v_sub_u32_e32 v15, 29, v15
	v_and_b32_e32 v20, 7, v20
	v_cmp_eq_u16_e32 vcc, 0, v11
	v_cndmask_b32_e32 v10, v10, v20, vcc
	v_cndmask_b32_e32 v11, v14, v15, vcc
	v_lshlrev_b32_e32 v14, 8, v16
	v_mov_b32_e32 v15, 0x3b800000
	v_lshlrev_b32_e32 v10, 20, v10
	v_and_b32_e32 v14, 0x80000000, v14
	v_lshl_add_u32 v11, v11, 23, v15
	v_or3_b32 v10, v14, v11, v10
.LBB20_1620:
	s_or_b64 exec, exec, s[6:7]
	s_movk_i32 s4, 0xff
	v_and_b32_sdwa v11, v12, s4 dst_sel:DWORD dst_unused:UNUSED_PAD src0_sel:WORD_1 src1_sel:DWORD
	s_movk_i32 s4, 0x7f
	v_cmp_lt_i16_e32 vcc, s4, v11
	s_mov_b64 s[4:5], 0
                                        ; implicit-def: $sgpr10
	s_and_saveexec_b64 s[6:7], vcc
	s_xor_b64 s[6:7], exec, s[6:7]
	s_cbranch_execnz .LBB20_3669
; %bb.1621:
	s_or_saveexec_b64 s[6:7], s[6:7]
	v_mov_b32_e32 v14, s10
	s_xor_b64 exec, exec, s[6:7]
	s_cbranch_execnz .LBB20_3672
.LBB20_1622:
	s_or_b64 exec, exec, s[6:7]
	s_and_saveexec_b64 s[6:7], s[4:5]
	s_cbranch_execz .LBB20_1624
.LBB20_1623:
	v_bfe_u32 v11, v12, 16, 3
	v_ffbh_u32_e32 v20, v11
	v_min_u32_e32 v20, 32, v20
	v_lshrrev_b32_e32 v14, 19, v12
	v_subrev_u32_e32 v21, 28, v20
	v_and_b32_e32 v14, 15, v14
	v_lshlrev_b32_sdwa v21, v21, v12 dst_sel:DWORD dst_unused:UNUSED_PAD src0_sel:DWORD src1_sel:WORD_1
	v_bfe_u32 v15, v12, 19, 4
	v_sub_u32_e32 v20, 29, v20
	v_and_b32_e32 v21, 7, v21
	v_cmp_eq_u16_e32 vcc, 0, v14
	v_cndmask_b32_e32 v11, v11, v21, vcc
	v_cndmask_b32_e32 v14, v15, v20, vcc
	v_lshlrev_b32_e32 v15, 8, v12
	v_mov_b32_e32 v20, 0x3b800000
	v_lshlrev_b32_e32 v11, 20, v11
	v_and_b32_e32 v15, 0x80000000, v15
	v_lshl_add_u32 v14, v14, 23, v20
	v_or3_b32 v14, v15, v14, v11
.LBB20_1624:
	s_or_b64 exec, exec, s[6:7]
	s_nop 0
	v_mfma_f32_16x16x4f32 a[0:3], v10, v14, a[0:3]
	s_movk_i32 s4, 0x7f
	v_cmp_gt_i16_sdwa s[6:7], v16, s4 src0_sel:BYTE_3 src1_sel:DWORD
	s_mov_b64 s[4:5], 0
                                        ; implicit-def: $sgpr10
	s_and_saveexec_b64 s[8:9], s[6:7]
	s_xor_b64 s[6:7], exec, s[8:9]
	s_cbranch_execnz .LBB20_3673
; %bb.1625:
	s_or_saveexec_b64 s[6:7], s[6:7]
	v_mov_b32_e32 v10, s10
	s_xor_b64 exec, exec, s[6:7]
	s_cbranch_execnz .LBB20_3676
.LBB20_1626:
	s_or_b64 exec, exec, s[6:7]
	s_and_saveexec_b64 s[6:7], s[4:5]
	s_cbranch_execz .LBB20_1628
.LBB20_1627:
	v_bfe_u32 v10, v16, 24, 3
	v_ffbh_u32_e32 v20, v10
	v_min_u32_e32 v20, 32, v20
	v_lshrrev_b32_e32 v14, 27, v16
	v_subrev_u32_e32 v21, 28, v20
	v_and_b32_e32 v11, 0x80000000, v16
	v_and_b32_e32 v14, 15, v14
	v_bfe_u32 v15, v16, 27, 4
	v_lshlrev_b32_sdwa v16, v21, v16 dst_sel:DWORD dst_unused:UNUSED_PAD src0_sel:DWORD src1_sel:BYTE_3
	v_sub_u32_e32 v20, 29, v20
	v_and_b32_e32 v16, 7, v16
	v_cmp_eq_u16_e32 vcc, 0, v14
	v_cndmask_b32_e32 v10, v10, v16, vcc
	v_cndmask_b32_e32 v14, v15, v20, vcc
	v_mov_b32_e32 v15, 0x3b800000
	v_lshlrev_b32_e32 v10, 20, v10
	v_lshl_add_u32 v14, v14, 23, v15
	v_or3_b32 v10, v11, v14, v10
.LBB20_1628:
	s_or_b64 exec, exec, s[6:7]
	s_movk_i32 s4, 0x7f
	v_cmp_gt_i16_sdwa s[6:7], v12, s4 src0_sel:BYTE_3 src1_sel:DWORD
	s_mov_b64 s[4:5], 0
                                        ; implicit-def: $sgpr10
	s_and_saveexec_b64 s[8:9], s[6:7]
	s_xor_b64 s[6:7], exec, s[8:9]
	s_cbranch_execnz .LBB20_3677
; %bb.1629:
	s_or_saveexec_b64 s[6:7], s[6:7]
	v_mov_b32_e32 v11, s10
	s_xor_b64 exec, exec, s[6:7]
	s_cbranch_execnz .LBB20_3680
.LBB20_1630:
	s_or_b64 exec, exec, s[6:7]
	s_and_saveexec_b64 s[6:7], s[4:5]
	s_cbranch_execz .LBB20_1632
.LBB20_1631:
	v_bfe_u32 v11, v12, 24, 3
	v_ffbh_u32_e32 v20, v11
	v_min_u32_e32 v20, 32, v20
	v_lshrrev_b32_e32 v15, 27, v12
	v_subrev_u32_e32 v21, 28, v20
	v_and_b32_e32 v14, 0x80000000, v12
	v_and_b32_e32 v15, 15, v15
	v_bfe_u32 v16, v12, 27, 4
	v_lshlrev_b32_sdwa v12, v21, v12 dst_sel:DWORD dst_unused:UNUSED_PAD src0_sel:DWORD src1_sel:BYTE_3
	v_sub_u32_e32 v20, 29, v20
	v_and_b32_e32 v12, 7, v12
	v_cmp_eq_u16_e32 vcc, 0, v15
	v_cndmask_b32_e32 v11, v11, v12, vcc
	v_cndmask_b32_e32 v12, v16, v20, vcc
	v_mov_b32_e32 v15, 0x3b800000
	v_lshlrev_b32_e32 v11, 20, v11
	v_lshl_add_u32 v12, v12, 23, v15
	v_or3_b32 v11, v14, v12, v11
.LBB20_1632:
	s_or_b64 exec, exec, s[6:7]
	s_nop 0
	v_mfma_f32_16x16x4f32 a[0:3], v10, v11, a[0:3]
	s_movk_i32 s4, 0x7f
	v_cmp_gt_i16_sdwa s[6:7], v17, s4 src0_sel:BYTE_0 src1_sel:DWORD
	s_mov_b64 s[4:5], 0
                                        ; implicit-def: $sgpr10
	s_and_saveexec_b64 s[8:9], s[6:7]
	s_xor_b64 s[6:7], exec, s[8:9]
	s_cbranch_execnz .LBB20_3681
; %bb.1633:
	s_or_saveexec_b64 s[6:7], s[6:7]
	v_mov_b32_e32 v10, s10
	s_xor_b64 exec, exec, s[6:7]
	s_cbranch_execnz .LBB20_3684
.LBB20_1634:
	s_or_b64 exec, exec, s[6:7]
	s_and_saveexec_b64 s[6:7], s[4:5]
	s_cbranch_execz .LBB20_1636
.LBB20_1635:
	v_and_b32_e32 v10, 7, v17
	v_ffbh_u32_e32 v12, v10
	v_min_u32_e32 v12, 32, v12
	v_lshrrev_b16_e32 v11, 3, v17
	v_subrev_u32_e32 v14, 28, v12
	v_and_b32_e32 v11, 15, v11
	v_lshlrev_b32_e32 v14, v14, v17
	v_sub_u32_e32 v12, 29, v12
	v_and_b32_e32 v14, 7, v14
	v_cmp_eq_u16_e32 vcc, 0, v11
	v_cndmask_b32_e32 v10, v10, v14, vcc
	v_cndmask_b32_e32 v11, v11, v12, vcc
	v_lshlrev_b32_e32 v12, 24, v17
	v_mov_b32_e32 v14, 0x3b800000
	v_lshlrev_b32_e32 v10, 20, v10
	v_and_b32_e32 v12, 0x80000000, v12
	v_lshl_add_u32 v11, v11, 23, v14
	v_or3_b32 v10, v12, v11, v10
.LBB20_1636:
	s_or_b64 exec, exec, s[6:7]
	s_movk_i32 s4, 0x7f
	v_cmp_gt_i16_sdwa s[6:7], v13, s4 src0_sel:BYTE_0 src1_sel:DWORD
	s_mov_b64 s[4:5], 0
                                        ; implicit-def: $sgpr10
	s_and_saveexec_b64 s[8:9], s[6:7]
	s_xor_b64 s[6:7], exec, s[8:9]
	s_cbranch_execnz .LBB20_3685
; %bb.1637:
	s_or_saveexec_b64 s[6:7], s[6:7]
	v_mov_b32_e32 v11, s10
	s_xor_b64 exec, exec, s[6:7]
	s_cbranch_execnz .LBB20_3688
.LBB20_1638:
	s_or_b64 exec, exec, s[6:7]
	s_and_saveexec_b64 s[6:7], s[4:5]
	s_cbranch_execz .LBB20_1640
.LBB20_1639:
	v_and_b32_e32 v11, 7, v13
	v_ffbh_u32_e32 v14, v11
	v_min_u32_e32 v14, 32, v14
	v_lshrrev_b16_e32 v12, 3, v13
	v_subrev_u32_e32 v15, 28, v14
	v_and_b32_e32 v12, 15, v12
	v_lshlrev_b32_e32 v15, v15, v13
	v_sub_u32_e32 v14, 29, v14
	v_and_b32_e32 v15, 7, v15
	v_cmp_eq_u16_e32 vcc, 0, v12
	v_cndmask_b32_e32 v11, v11, v15, vcc
	v_cndmask_b32_e32 v12, v12, v14, vcc
	v_lshlrev_b32_e32 v14, 24, v13
	v_mov_b32_e32 v15, 0x3b800000
	v_lshlrev_b32_e32 v11, 20, v11
	v_and_b32_e32 v14, 0x80000000, v14
	v_lshl_add_u32 v12, v12, 23, v15
	v_or3_b32 v11, v14, v12, v11
.LBB20_1640:
	s_or_b64 exec, exec, s[6:7]
	s_nop 0
	v_mfma_f32_16x16x4f32 a[0:3], v10, v11, a[0:3]
	v_lshrrev_b32_e32 v11, 8, v17
	s_movk_i32 s4, 0x7f
	v_cmp_gt_i16_sdwa s[6:7], v11, s4 src0_sel:BYTE_0 src1_sel:DWORD
	s_mov_b64 s[4:5], 0
                                        ; implicit-def: $sgpr10
	s_and_saveexec_b64 s[8:9], s[6:7]
	s_xor_b64 s[6:7], exec, s[8:9]
	s_cbranch_execnz .LBB20_3689
; %bb.1641:
	s_or_saveexec_b64 s[6:7], s[6:7]
	v_mov_b32_e32 v10, s10
	s_xor_b64 exec, exec, s[6:7]
	s_cbranch_execnz .LBB20_3692
.LBB20_1642:
	s_or_b64 exec, exec, s[6:7]
	s_and_saveexec_b64 s[6:7], s[4:5]
	s_cbranch_execz .LBB20_1644
.LBB20_1643:
	v_bfe_u32 v10, v17, 8, 3
	v_ffbh_u32_e32 v14, v10
	v_min_u32_e32 v14, 32, v14
	v_lshrrev_b16_e32 v12, 3, v11
	v_subrev_u32_e32 v15, 28, v14
	v_and_b32_e32 v12, 15, v12
	v_lshlrev_b32_e32 v11, v15, v11
	v_sub_u32_e32 v14, 29, v14
	v_and_b32_e32 v11, 7, v11
	v_cmp_eq_u16_e32 vcc, 0, v12
	v_cndmask_b32_e32 v10, v10, v11, vcc
	v_cndmask_b32_e32 v11, v12, v14, vcc
	v_lshlrev_b32_e32 v12, 16, v17
	v_mov_b32_e32 v14, 0x3b800000
	v_lshlrev_b32_e32 v10, 20, v10
	v_and_b32_e32 v12, 0x80000000, v12
	v_lshl_add_u32 v11, v11, 23, v14
	v_or3_b32 v10, v12, v11, v10
.LBB20_1644:
	s_or_b64 exec, exec, s[6:7]
	v_lshrrev_b32_e32 v11, 8, v13
	s_movk_i32 s4, 0x7f
	v_cmp_gt_i16_sdwa s[6:7], v11, s4 src0_sel:BYTE_0 src1_sel:DWORD
	s_mov_b64 s[4:5], 0
                                        ; implicit-def: $sgpr10
	s_and_saveexec_b64 s[8:9], s[6:7]
	s_xor_b64 s[6:7], exec, s[8:9]
	s_cbranch_execnz .LBB20_3693
; %bb.1645:
	s_or_saveexec_b64 s[6:7], s[6:7]
	v_mov_b32_e32 v12, s10
	s_xor_b64 exec, exec, s[6:7]
	s_cbranch_execnz .LBB20_3696
.LBB20_1646:
	s_or_b64 exec, exec, s[6:7]
	s_and_saveexec_b64 s[6:7], s[4:5]
	s_cbranch_execz .LBB20_1648
.LBB20_1647:
	v_bfe_u32 v12, v13, 8, 3
	v_ffbh_u32_e32 v15, v12
	v_min_u32_e32 v15, 32, v15
	v_lshrrev_b16_e32 v14, 3, v11
	v_subrev_u32_e32 v16, 28, v15
	v_and_b32_e32 v14, 15, v14
	v_lshlrev_b32_e32 v11, v16, v11
	v_sub_u32_e32 v15, 29, v15
	v_and_b32_e32 v11, 7, v11
	v_cmp_eq_u16_e32 vcc, 0, v14
	v_cndmask_b32_e32 v11, v12, v11, vcc
	v_cndmask_b32_e32 v12, v14, v15, vcc
	v_lshlrev_b32_e32 v14, 16, v13
	v_mov_b32_e32 v15, 0x3b800000
	v_lshlrev_b32_e32 v11, 20, v11
	v_and_b32_e32 v14, 0x80000000, v14
	v_lshl_add_u32 v12, v12, 23, v15
	v_or3_b32 v12, v14, v12, v11
.LBB20_1648:
	s_or_b64 exec, exec, s[6:7]
	s_nop 0
	v_mfma_f32_16x16x4f32 a[0:3], v10, v12, a[0:3]
	s_movk_i32 s4, 0xff
	v_and_b32_sdwa v11, v17, s4 dst_sel:DWORD dst_unused:UNUSED_PAD src0_sel:WORD_1 src1_sel:DWORD
	s_movk_i32 s4, 0x7f
	v_cmp_lt_i16_e32 vcc, s4, v11
	s_mov_b64 s[4:5], 0
                                        ; implicit-def: $sgpr10
	s_and_saveexec_b64 s[6:7], vcc
	s_xor_b64 s[6:7], exec, s[6:7]
	s_cbranch_execnz .LBB20_3697
; %bb.1649:
	s_or_saveexec_b64 s[6:7], s[6:7]
	v_mov_b32_e32 v10, s10
	s_xor_b64 exec, exec, s[6:7]
	s_cbranch_execnz .LBB20_3700
.LBB20_1650:
	s_or_b64 exec, exec, s[6:7]
	s_and_saveexec_b64 s[6:7], s[4:5]
	s_cbranch_execz .LBB20_1652
.LBB20_1651:
	v_bfe_u32 v10, v17, 16, 3
	v_ffbh_u32_e32 v14, v10
	v_min_u32_e32 v14, 32, v14
	v_lshrrev_b32_e32 v11, 19, v17
	v_subrev_u32_e32 v15, 28, v14
	v_and_b32_e32 v11, 15, v11
	v_lshlrev_b32_sdwa v15, v15, v17 dst_sel:DWORD dst_unused:UNUSED_PAD src0_sel:DWORD src1_sel:WORD_1
	v_bfe_u32 v12, v17, 19, 4
	v_sub_u32_e32 v14, 29, v14
	v_and_b32_e32 v15, 7, v15
	v_cmp_eq_u16_e32 vcc, 0, v11
	v_cndmask_b32_e32 v10, v10, v15, vcc
	v_cndmask_b32_e32 v11, v12, v14, vcc
	v_lshlrev_b32_e32 v12, 8, v17
	v_mov_b32_e32 v14, 0x3b800000
	v_lshlrev_b32_e32 v10, 20, v10
	v_and_b32_e32 v12, 0x80000000, v12
	v_lshl_add_u32 v11, v11, 23, v14
	v_or3_b32 v10, v12, v11, v10
.LBB20_1652:
	s_or_b64 exec, exec, s[6:7]
	s_movk_i32 s4, 0xff
	v_and_b32_sdwa v11, v13, s4 dst_sel:DWORD dst_unused:UNUSED_PAD src0_sel:WORD_1 src1_sel:DWORD
	s_movk_i32 s4, 0x7f
	v_cmp_lt_i16_e32 vcc, s4, v11
	s_mov_b64 s[4:5], 0
                                        ; implicit-def: $sgpr10
	s_and_saveexec_b64 s[6:7], vcc
	s_xor_b64 s[6:7], exec, s[6:7]
	s_cbranch_execnz .LBB20_3701
; %bb.1653:
	s_or_saveexec_b64 s[6:7], s[6:7]
	v_mov_b32_e32 v12, s10
	s_xor_b64 exec, exec, s[6:7]
	s_cbranch_execnz .LBB20_3704
.LBB20_1654:
	s_or_b64 exec, exec, s[6:7]
	s_and_saveexec_b64 s[6:7], s[4:5]
	s_cbranch_execz .LBB20_1656
.LBB20_1655:
	v_bfe_u32 v11, v13, 16, 3
	v_ffbh_u32_e32 v15, v11
	v_min_u32_e32 v15, 32, v15
	v_lshrrev_b32_e32 v12, 19, v13
	v_subrev_u32_e32 v16, 28, v15
	v_and_b32_e32 v12, 15, v12
	v_lshlrev_b32_sdwa v16, v16, v13 dst_sel:DWORD dst_unused:UNUSED_PAD src0_sel:DWORD src1_sel:WORD_1
	v_bfe_u32 v14, v13, 19, 4
	v_sub_u32_e32 v15, 29, v15
	v_and_b32_e32 v16, 7, v16
	v_cmp_eq_u16_e32 vcc, 0, v12
	v_cndmask_b32_e32 v11, v11, v16, vcc
	v_cndmask_b32_e32 v12, v14, v15, vcc
	v_lshlrev_b32_e32 v14, 8, v13
	v_mov_b32_e32 v15, 0x3b800000
	v_lshlrev_b32_e32 v11, 20, v11
	v_and_b32_e32 v14, 0x80000000, v14
	v_lshl_add_u32 v12, v12, 23, v15
	v_or3_b32 v12, v14, v12, v11
.LBB20_1656:
	s_or_b64 exec, exec, s[6:7]
	s_nop 0
	v_mfma_f32_16x16x4f32 a[0:3], v10, v12, a[0:3]
	s_movk_i32 s4, 0x7f
	v_cmp_gt_i16_sdwa s[6:7], v17, s4 src0_sel:BYTE_3 src1_sel:DWORD
	s_mov_b64 s[4:5], 0
                                        ; implicit-def: $sgpr10
	s_and_saveexec_b64 s[8:9], s[6:7]
	s_xor_b64 s[6:7], exec, s[8:9]
	s_cbranch_execnz .LBB20_3705
; %bb.1657:
	s_or_saveexec_b64 s[6:7], s[6:7]
	v_mov_b32_e32 v10, s10
	s_xor_b64 exec, exec, s[6:7]
	s_cbranch_execnz .LBB20_3708
.LBB20_1658:
	s_or_b64 exec, exec, s[6:7]
	s_and_saveexec_b64 s[6:7], s[4:5]
	s_cbranch_execz .LBB20_1660
.LBB20_1659:
	v_bfe_u32 v10, v17, 24, 3
	v_ffbh_u32_e32 v15, v10
	v_min_u32_e32 v15, 32, v15
	v_lshrrev_b32_e32 v12, 27, v17
	v_subrev_u32_e32 v16, 28, v15
	v_and_b32_e32 v12, 15, v12
	v_lshlrev_b32_sdwa v16, v16, v17 dst_sel:DWORD dst_unused:UNUSED_PAD src0_sel:DWORD src1_sel:BYTE_3
	v_bfe_u32 v14, v17, 27, 4
	v_sub_u32_e32 v15, 29, v15
	v_and_b32_e32 v16, 7, v16
	v_cmp_eq_u16_e32 vcc, 0, v12
	v_cndmask_b32_e32 v10, v10, v16, vcc
	v_cndmask_b32_e32 v12, v14, v15, vcc
	v_mov_b32_e32 v14, 0x3b800000
	v_and_b32_e32 v11, 0x80000000, v17
	v_lshlrev_b32_e32 v10, 20, v10
	v_lshl_add_u32 v12, v12, 23, v14
	v_or3_b32 v10, v11, v12, v10
.LBB20_1660:
	s_or_b64 exec, exec, s[6:7]
	s_movk_i32 s4, 0x7f
	v_cmp_gt_i16_sdwa s[6:7], v13, s4 src0_sel:BYTE_3 src1_sel:DWORD
	s_mov_b64 s[4:5], 0
                                        ; implicit-def: $sgpr10
	s_and_saveexec_b64 s[8:9], s[6:7]
	s_xor_b64 s[6:7], exec, s[8:9]
	s_cbranch_execnz .LBB20_3709
; %bb.1661:
	s_or_saveexec_b64 s[6:7], s[6:7]
	v_mov_b32_e32 v11, s10
	s_xor_b64 exec, exec, s[6:7]
	s_cbranch_execnz .LBB20_3712
.LBB20_1662:
	s_or_b64 exec, exec, s[6:7]
	s_and_saveexec_b64 s[6:7], s[4:5]
	s_cbranch_execz .LBB20_1664
.LBB20_1663:
	v_bfe_u32 v11, v13, 24, 3
	v_ffbh_u32_e32 v16, v11
	v_min_u32_e32 v16, 32, v16
	v_lshrrev_b32_e32 v14, 27, v13
	v_subrev_u32_e32 v17, 28, v16
	v_and_b32_e32 v12, 0x80000000, v13
	v_and_b32_e32 v14, 15, v14
	v_bfe_u32 v15, v13, 27, 4
	v_lshlrev_b32_sdwa v13, v17, v13 dst_sel:DWORD dst_unused:UNUSED_PAD src0_sel:DWORD src1_sel:BYTE_3
	v_sub_u32_e32 v16, 29, v16
	v_and_b32_e32 v13, 7, v13
	v_cmp_eq_u16_e32 vcc, 0, v14
	v_cndmask_b32_e32 v11, v11, v13, vcc
	v_cndmask_b32_e32 v13, v15, v16, vcc
	v_mov_b32_e32 v14, 0x3b800000
	v_lshlrev_b32_e32 v11, 20, v11
	v_lshl_add_u32 v13, v13, 23, v14
	v_or3_b32 v11, v12, v13, v11
.LBB20_1664:
	s_or_b64 exec, exec, s[6:7]
	s_nop 0
	v_mfma_f32_16x16x4f32 a[0:3], v10, v11, a[0:3]
	s_movk_i32 s4, 0x7f
	v_cmp_gt_i16_sdwa s[6:7], v6, s4 src0_sel:BYTE_0 src1_sel:DWORD
	s_mov_b64 s[4:5], 0
                                        ; implicit-def: $sgpr10
	s_and_saveexec_b64 s[8:9], s[6:7]
	s_xor_b64 s[6:7], exec, s[8:9]
	s_cbranch_execnz .LBB20_3713
; %bb.1665:
	s_or_saveexec_b64 s[6:7], s[6:7]
	v_mov_b32_e32 v10, s10
	s_xor_b64 exec, exec, s[6:7]
	s_cbranch_execnz .LBB20_3716
.LBB20_1666:
	s_or_b64 exec, exec, s[6:7]
	s_and_saveexec_b64 s[6:7], s[4:5]
	s_cbranch_execz .LBB20_1668
.LBB20_1667:
	v_and_b32_e32 v10, 7, v6
	v_ffbh_u32_e32 v12, v10
	v_min_u32_e32 v12, 32, v12
	v_lshrrev_b16_e32 v11, 3, v6
	v_subrev_u32_e32 v13, 28, v12
	v_and_b32_e32 v11, 15, v11
	v_lshlrev_b32_e32 v13, v13, v6
	v_sub_u32_e32 v12, 29, v12
	v_and_b32_e32 v13, 7, v13
	v_cmp_eq_u16_e32 vcc, 0, v11
	v_cndmask_b32_e32 v10, v10, v13, vcc
	v_cndmask_b32_e32 v11, v11, v12, vcc
	v_lshlrev_b32_e32 v12, 24, v6
	v_mov_b32_e32 v13, 0x3b800000
	v_lshlrev_b32_e32 v10, 20, v10
	v_and_b32_e32 v12, 0x80000000, v12
	v_lshl_add_u32 v11, v11, 23, v13
	v_or3_b32 v10, v12, v11, v10
.LBB20_1668:
	s_or_b64 exec, exec, s[6:7]
	s_movk_i32 s4, 0x7f
	v_cmp_gt_i16_sdwa s[6:7], v2, s4 src0_sel:BYTE_0 src1_sel:DWORD
	s_mov_b64 s[4:5], 0
                                        ; implicit-def: $sgpr10
	s_and_saveexec_b64 s[8:9], s[6:7]
	s_xor_b64 s[6:7], exec, s[8:9]
	s_cbranch_execnz .LBB20_3717
; %bb.1669:
	s_or_saveexec_b64 s[6:7], s[6:7]
	v_mov_b32_e32 v11, s10
	s_xor_b64 exec, exec, s[6:7]
	s_cbranch_execnz .LBB20_3720
.LBB20_1670:
	s_or_b64 exec, exec, s[6:7]
	s_and_saveexec_b64 s[6:7], s[4:5]
	s_cbranch_execz .LBB20_1672
.LBB20_1671:
	v_and_b32_e32 v11, 7, v2
	v_ffbh_u32_e32 v13, v11
	v_min_u32_e32 v13, 32, v13
	v_lshrrev_b16_e32 v12, 3, v2
	v_subrev_u32_e32 v14, 28, v13
	v_and_b32_e32 v12, 15, v12
	v_lshlrev_b32_e32 v14, v14, v2
	v_sub_u32_e32 v13, 29, v13
	v_and_b32_e32 v14, 7, v14
	v_cmp_eq_u16_e32 vcc, 0, v12
	v_cndmask_b32_e32 v11, v11, v14, vcc
	v_cndmask_b32_e32 v12, v12, v13, vcc
	v_lshlrev_b32_e32 v13, 24, v2
	v_mov_b32_e32 v14, 0x3b800000
	v_lshlrev_b32_e32 v11, 20, v11
	v_and_b32_e32 v13, 0x80000000, v13
	v_lshl_add_u32 v12, v12, 23, v14
	v_or3_b32 v11, v13, v12, v11
.LBB20_1672:
	s_or_b64 exec, exec, s[6:7]
	s_nop 0
	v_mfma_f32_16x16x4f32 a[0:3], v10, v11, a[0:3]
	v_lshrrev_b32_e32 v11, 8, v6
	s_movk_i32 s4, 0x7f
	v_cmp_gt_i16_sdwa s[6:7], v11, s4 src0_sel:BYTE_0 src1_sel:DWORD
	s_mov_b64 s[4:5], 0
                                        ; implicit-def: $sgpr10
	s_and_saveexec_b64 s[8:9], s[6:7]
	s_xor_b64 s[6:7], exec, s[8:9]
	s_cbranch_execnz .LBB20_3721
; %bb.1673:
	s_or_saveexec_b64 s[6:7], s[6:7]
	v_mov_b32_e32 v10, s10
	s_xor_b64 exec, exec, s[6:7]
	s_cbranch_execnz .LBB20_3724
.LBB20_1674:
	s_or_b64 exec, exec, s[6:7]
	s_and_saveexec_b64 s[6:7], s[4:5]
	s_cbranch_execz .LBB20_1676
.LBB20_1675:
	v_bfe_u32 v10, v6, 8, 3
	v_ffbh_u32_e32 v13, v10
	v_min_u32_e32 v13, 32, v13
	v_lshrrev_b16_e32 v12, 3, v11
	v_subrev_u32_e32 v14, 28, v13
	v_and_b32_e32 v12, 15, v12
	v_lshlrev_b32_e32 v11, v14, v11
	v_sub_u32_e32 v13, 29, v13
	v_and_b32_e32 v11, 7, v11
	v_cmp_eq_u16_e32 vcc, 0, v12
	v_cndmask_b32_e32 v10, v10, v11, vcc
	v_cndmask_b32_e32 v11, v12, v13, vcc
	v_lshlrev_b32_e32 v12, 16, v6
	v_mov_b32_e32 v13, 0x3b800000
	v_lshlrev_b32_e32 v10, 20, v10
	v_and_b32_e32 v12, 0x80000000, v12
	v_lshl_add_u32 v11, v11, 23, v13
	v_or3_b32 v10, v12, v11, v10
.LBB20_1676:
	s_or_b64 exec, exec, s[6:7]
	v_lshrrev_b32_e32 v11, 8, v2
	s_movk_i32 s4, 0x7f
	v_cmp_gt_i16_sdwa s[6:7], v11, s4 src0_sel:BYTE_0 src1_sel:DWORD
	s_mov_b64 s[4:5], 0
                                        ; implicit-def: $sgpr10
	s_and_saveexec_b64 s[8:9], s[6:7]
	s_xor_b64 s[6:7], exec, s[8:9]
	s_cbranch_execnz .LBB20_3725
; %bb.1677:
	s_or_saveexec_b64 s[6:7], s[6:7]
	v_mov_b32_e32 v12, s10
	s_xor_b64 exec, exec, s[6:7]
	s_cbranch_execnz .LBB20_3728
.LBB20_1678:
	s_or_b64 exec, exec, s[6:7]
	s_and_saveexec_b64 s[6:7], s[4:5]
	s_cbranch_execz .LBB20_1680
.LBB20_1679:
	v_bfe_u32 v12, v2, 8, 3
	v_ffbh_u32_e32 v14, v12
	v_min_u32_e32 v14, 32, v14
	v_lshrrev_b16_e32 v13, 3, v11
	v_subrev_u32_e32 v15, 28, v14
	v_and_b32_e32 v13, 15, v13
	v_lshlrev_b32_e32 v11, v15, v11
	v_sub_u32_e32 v14, 29, v14
	v_and_b32_e32 v11, 7, v11
	v_cmp_eq_u16_e32 vcc, 0, v13
	v_cndmask_b32_e32 v11, v12, v11, vcc
	v_cndmask_b32_e32 v12, v13, v14, vcc
	v_lshlrev_b32_e32 v13, 16, v2
	v_mov_b32_e32 v14, 0x3b800000
	v_lshlrev_b32_e32 v11, 20, v11
	v_and_b32_e32 v13, 0x80000000, v13
	v_lshl_add_u32 v12, v12, 23, v14
	v_or3_b32 v12, v13, v12, v11
.LBB20_1680:
	s_or_b64 exec, exec, s[6:7]
	s_nop 0
	v_mfma_f32_16x16x4f32 a[0:3], v10, v12, a[0:3]
	s_movk_i32 s4, 0xff
	v_and_b32_sdwa v11, v6, s4 dst_sel:DWORD dst_unused:UNUSED_PAD src0_sel:WORD_1 src1_sel:DWORD
	s_movk_i32 s4, 0x7f
	v_cmp_lt_i16_e32 vcc, s4, v11
	s_mov_b64 s[4:5], 0
                                        ; implicit-def: $sgpr10
	s_and_saveexec_b64 s[6:7], vcc
	s_xor_b64 s[6:7], exec, s[6:7]
	s_cbranch_execnz .LBB20_3729
; %bb.1681:
	s_or_saveexec_b64 s[6:7], s[6:7]
	v_mov_b32_e32 v10, s10
	s_xor_b64 exec, exec, s[6:7]
	s_cbranch_execnz .LBB20_3732
.LBB20_1682:
	s_or_b64 exec, exec, s[6:7]
	s_and_saveexec_b64 s[6:7], s[4:5]
	s_cbranch_execz .LBB20_1684
.LBB20_1683:
	v_bfe_u32 v10, v6, 16, 3
	v_ffbh_u32_e32 v13, v10
	v_min_u32_e32 v13, 32, v13
	v_lshrrev_b32_e32 v11, 19, v6
	v_subrev_u32_e32 v14, 28, v13
	v_and_b32_e32 v11, 15, v11
	v_lshlrev_b32_sdwa v14, v14, v6 dst_sel:DWORD dst_unused:UNUSED_PAD src0_sel:DWORD src1_sel:WORD_1
	v_bfe_u32 v12, v6, 19, 4
	v_sub_u32_e32 v13, 29, v13
	v_and_b32_e32 v14, 7, v14
	v_cmp_eq_u16_e32 vcc, 0, v11
	v_cndmask_b32_e32 v10, v10, v14, vcc
	v_cndmask_b32_e32 v11, v12, v13, vcc
	v_lshlrev_b32_e32 v12, 8, v6
	v_mov_b32_e32 v13, 0x3b800000
	v_lshlrev_b32_e32 v10, 20, v10
	v_and_b32_e32 v12, 0x80000000, v12
	v_lshl_add_u32 v11, v11, 23, v13
	v_or3_b32 v10, v12, v11, v10
.LBB20_1684:
	s_or_b64 exec, exec, s[6:7]
	s_movk_i32 s4, 0xff
	v_and_b32_sdwa v11, v2, s4 dst_sel:DWORD dst_unused:UNUSED_PAD src0_sel:WORD_1 src1_sel:DWORD
	s_movk_i32 s4, 0x7f
	v_cmp_lt_i16_e32 vcc, s4, v11
	s_mov_b64 s[4:5], 0
                                        ; implicit-def: $sgpr10
	s_and_saveexec_b64 s[6:7], vcc
	s_xor_b64 s[6:7], exec, s[6:7]
	s_cbranch_execnz .LBB20_3733
; %bb.1685:
	s_or_saveexec_b64 s[6:7], s[6:7]
	v_mov_b32_e32 v12, s10
	s_xor_b64 exec, exec, s[6:7]
	s_cbranch_execnz .LBB20_3736
.LBB20_1686:
	s_or_b64 exec, exec, s[6:7]
	s_and_saveexec_b64 s[6:7], s[4:5]
	s_cbranch_execz .LBB20_1688
.LBB20_1687:
	v_bfe_u32 v11, v2, 16, 3
	v_ffbh_u32_e32 v14, v11
	v_min_u32_e32 v14, 32, v14
	v_lshrrev_b32_e32 v12, 19, v2
	v_subrev_u32_e32 v15, 28, v14
	v_and_b32_e32 v12, 15, v12
	v_lshlrev_b32_sdwa v15, v15, v2 dst_sel:DWORD dst_unused:UNUSED_PAD src0_sel:DWORD src1_sel:WORD_1
	v_bfe_u32 v13, v2, 19, 4
	v_sub_u32_e32 v14, 29, v14
	v_and_b32_e32 v15, 7, v15
	v_cmp_eq_u16_e32 vcc, 0, v12
	v_cndmask_b32_e32 v11, v11, v15, vcc
	v_cndmask_b32_e32 v12, v13, v14, vcc
	v_lshlrev_b32_e32 v13, 8, v2
	v_mov_b32_e32 v14, 0x3b800000
	v_lshlrev_b32_e32 v11, 20, v11
	v_and_b32_e32 v13, 0x80000000, v13
	v_lshl_add_u32 v12, v12, 23, v14
	v_or3_b32 v12, v13, v12, v11
.LBB20_1688:
	s_or_b64 exec, exec, s[6:7]
	s_nop 0
	v_mfma_f32_16x16x4f32 a[0:3], v10, v12, a[0:3]
	s_movk_i32 s4, 0x7f
	v_cmp_gt_i16_sdwa s[6:7], v6, s4 src0_sel:BYTE_3 src1_sel:DWORD
	s_mov_b64 s[4:5], 0
                                        ; implicit-def: $sgpr10
	s_and_saveexec_b64 s[8:9], s[6:7]
	s_xor_b64 s[6:7], exec, s[8:9]
	s_cbranch_execnz .LBB20_3737
; %bb.1689:
	s_or_saveexec_b64 s[6:7], s[6:7]
	v_mov_b32_e32 v10, s10
	s_xor_b64 exec, exec, s[6:7]
	s_cbranch_execnz .LBB20_3740
.LBB20_1690:
	s_or_b64 exec, exec, s[6:7]
	s_and_saveexec_b64 s[6:7], s[4:5]
	s_cbranch_execz .LBB20_1692
.LBB20_1691:
	v_bfe_u32 v10, v6, 24, 3
	v_ffbh_u32_e32 v14, v10
	v_min_u32_e32 v14, 32, v14
	v_lshrrev_b32_e32 v12, 27, v6
	v_subrev_u32_e32 v15, 28, v14
	v_and_b32_e32 v11, 0x80000000, v6
	v_and_b32_e32 v12, 15, v12
	v_bfe_u32 v13, v6, 27, 4
	v_lshlrev_b32_sdwa v6, v15, v6 dst_sel:DWORD dst_unused:UNUSED_PAD src0_sel:DWORD src1_sel:BYTE_3
	v_sub_u32_e32 v14, 29, v14
	v_and_b32_e32 v6, 7, v6
	v_cmp_eq_u16_e32 vcc, 0, v12
	v_cndmask_b32_e32 v6, v10, v6, vcc
	v_cndmask_b32_e32 v10, v13, v14, vcc
	v_mov_b32_e32 v12, 0x3b800000
	v_lshlrev_b32_e32 v6, 20, v6
	v_lshl_add_u32 v10, v10, 23, v12
	v_or3_b32 v10, v11, v10, v6
.LBB20_1692:
	s_or_b64 exec, exec, s[6:7]
	s_movk_i32 s4, 0x7f
	v_cmp_gt_i16_sdwa s[6:7], v2, s4 src0_sel:BYTE_3 src1_sel:DWORD
	s_mov_b64 s[4:5], 0
                                        ; implicit-def: $sgpr10
	s_and_saveexec_b64 s[8:9], s[6:7]
	s_xor_b64 s[6:7], exec, s[8:9]
	s_cbranch_execnz .LBB20_3741
; %bb.1693:
	s_or_saveexec_b64 s[6:7], s[6:7]
	v_mov_b32_e32 v6, s10
	s_xor_b64 exec, exec, s[6:7]
	s_cbranch_execnz .LBB20_3744
.LBB20_1694:
	s_or_b64 exec, exec, s[6:7]
	s_and_saveexec_b64 s[6:7], s[4:5]
	s_cbranch_execz .LBB20_1696
.LBB20_1695:
	v_bfe_u32 v6, v2, 24, 3
	v_ffbh_u32_e32 v14, v6
	v_min_u32_e32 v14, 32, v14
	v_lshrrev_b32_e32 v12, 27, v2
	v_subrev_u32_e32 v15, 28, v14
	v_and_b32_e32 v11, 0x80000000, v2
	v_and_b32_e32 v12, 15, v12
	v_bfe_u32 v13, v2, 27, 4
	v_lshlrev_b32_sdwa v2, v15, v2 dst_sel:DWORD dst_unused:UNUSED_PAD src0_sel:DWORD src1_sel:BYTE_3
	v_sub_u32_e32 v14, 29, v14
	v_and_b32_e32 v2, 7, v2
	v_cmp_eq_u16_e32 vcc, 0, v12
	v_cndmask_b32_e32 v2, v6, v2, vcc
	v_cndmask_b32_e32 v6, v13, v14, vcc
	v_mov_b32_e32 v12, 0x3b800000
	v_lshlrev_b32_e32 v2, 20, v2
	v_lshl_add_u32 v6, v6, 23, v12
	v_or3_b32 v6, v11, v6, v2
.LBB20_1696:
	s_or_b64 exec, exec, s[6:7]
	s_nop 0
	v_mfma_f32_16x16x4f32 a[0:3], v10, v6, a[0:3]
	s_movk_i32 s4, 0x7f
	v_cmp_gt_i16_sdwa s[6:7], v7, s4 src0_sel:BYTE_0 src1_sel:DWORD
	s_mov_b64 s[4:5], 0
                                        ; implicit-def: $sgpr10
	s_and_saveexec_b64 s[8:9], s[6:7]
	s_xor_b64 s[6:7], exec, s[8:9]
	s_cbranch_execnz .LBB20_3745
; %bb.1697:
	s_or_saveexec_b64 s[6:7], s[6:7]
	v_mov_b32_e32 v2, s10
	s_xor_b64 exec, exec, s[6:7]
	s_cbranch_execnz .LBB20_3748
.LBB20_1698:
	s_or_b64 exec, exec, s[6:7]
	s_and_saveexec_b64 s[6:7], s[4:5]
	s_cbranch_execz .LBB20_1700
.LBB20_1699:
	v_and_b32_e32 v2, 7, v7
	v_ffbh_u32_e32 v10, v2
	v_min_u32_e32 v10, 32, v10
	v_lshrrev_b16_e32 v6, 3, v7
	v_subrev_u32_e32 v11, 28, v10
	v_and_b32_e32 v6, 15, v6
	v_lshlrev_b32_e32 v11, v11, v7
	v_sub_u32_e32 v10, 29, v10
	v_and_b32_e32 v11, 7, v11
	v_cmp_eq_u16_e32 vcc, 0, v6
	v_cndmask_b32_e32 v2, v2, v11, vcc
	v_cndmask_b32_e32 v6, v6, v10, vcc
	v_lshlrev_b32_e32 v10, 24, v7
	v_mov_b32_e32 v11, 0x3b800000
	v_lshlrev_b32_e32 v2, 20, v2
	v_and_b32_e32 v10, 0x80000000, v10
	v_lshl_add_u32 v6, v6, 23, v11
	v_or3_b32 v2, v10, v6, v2
.LBB20_1700:
	s_or_b64 exec, exec, s[6:7]
	s_movk_i32 s4, 0x7f
	v_cmp_gt_i16_sdwa s[6:7], v3, s4 src0_sel:BYTE_0 src1_sel:DWORD
	s_mov_b64 s[4:5], 0
                                        ; implicit-def: $sgpr10
	s_and_saveexec_b64 s[8:9], s[6:7]
	s_xor_b64 s[6:7], exec, s[8:9]
	s_cbranch_execnz .LBB20_3749
; %bb.1701:
	s_or_saveexec_b64 s[6:7], s[6:7]
	v_mov_b32_e32 v6, s10
	s_xor_b64 exec, exec, s[6:7]
	s_cbranch_execnz .LBB20_3752
.LBB20_1702:
	s_or_b64 exec, exec, s[6:7]
	s_and_saveexec_b64 s[6:7], s[4:5]
	s_cbranch_execz .LBB20_1704
.LBB20_1703:
	v_and_b32_e32 v6, 7, v3
	v_ffbh_u32_e32 v11, v6
	v_min_u32_e32 v11, 32, v11
	v_lshrrev_b16_e32 v10, 3, v3
	v_subrev_u32_e32 v12, 28, v11
	v_and_b32_e32 v10, 15, v10
	v_lshlrev_b32_e32 v12, v12, v3
	v_sub_u32_e32 v11, 29, v11
	v_and_b32_e32 v12, 7, v12
	v_cmp_eq_u16_e32 vcc, 0, v10
	v_cndmask_b32_e32 v6, v6, v12, vcc
	v_cndmask_b32_e32 v10, v10, v11, vcc
	v_lshlrev_b32_e32 v11, 24, v3
	v_mov_b32_e32 v12, 0x3b800000
	v_lshlrev_b32_e32 v6, 20, v6
	v_and_b32_e32 v11, 0x80000000, v11
	v_lshl_add_u32 v10, v10, 23, v12
	v_or3_b32 v6, v11, v10, v6
.LBB20_1704:
	s_or_b64 exec, exec, s[6:7]
	s_nop 0
	v_mfma_f32_16x16x4f32 a[0:3], v2, v6, a[0:3]
	v_lshrrev_b32_e32 v6, 8, v7
	s_movk_i32 s4, 0x7f
	v_cmp_gt_i16_sdwa s[6:7], v6, s4 src0_sel:BYTE_0 src1_sel:DWORD
	s_mov_b64 s[4:5], 0
                                        ; implicit-def: $sgpr10
	s_and_saveexec_b64 s[8:9], s[6:7]
	s_xor_b64 s[6:7], exec, s[8:9]
	s_cbranch_execnz .LBB20_3753
; %bb.1705:
	s_or_saveexec_b64 s[6:7], s[6:7]
	v_mov_b32_e32 v2, s10
	s_xor_b64 exec, exec, s[6:7]
	s_cbranch_execnz .LBB20_3756
.LBB20_1706:
	s_or_b64 exec, exec, s[6:7]
	s_and_saveexec_b64 s[6:7], s[4:5]
	s_cbranch_execz .LBB20_1708
.LBB20_1707:
	v_bfe_u32 v2, v7, 8, 3
	v_ffbh_u32_e32 v11, v2
	v_min_u32_e32 v11, 32, v11
	v_lshrrev_b16_e32 v10, 3, v6
	v_subrev_u32_e32 v12, 28, v11
	v_and_b32_e32 v10, 15, v10
	v_lshlrev_b32_e32 v6, v12, v6
	v_sub_u32_e32 v11, 29, v11
	v_and_b32_e32 v6, 7, v6
	v_cmp_eq_u16_e32 vcc, 0, v10
	v_cndmask_b32_e32 v2, v2, v6, vcc
	v_cndmask_b32_e32 v6, v10, v11, vcc
	v_lshlrev_b32_e32 v10, 16, v7
	v_mov_b32_e32 v11, 0x3b800000
	v_lshlrev_b32_e32 v2, 20, v2
	v_and_b32_e32 v10, 0x80000000, v10
	v_lshl_add_u32 v6, v6, 23, v11
	v_or3_b32 v2, v10, v6, v2
.LBB20_1708:
	s_or_b64 exec, exec, s[6:7]
	v_lshrrev_b32_e32 v6, 8, v3
	s_movk_i32 s4, 0x7f
	v_cmp_gt_i16_sdwa s[6:7], v6, s4 src0_sel:BYTE_0 src1_sel:DWORD
	s_mov_b64 s[4:5], 0
                                        ; implicit-def: $sgpr10
	s_and_saveexec_b64 s[8:9], s[6:7]
	s_xor_b64 s[6:7], exec, s[8:9]
	s_cbranch_execnz .LBB20_3757
; %bb.1709:
	s_or_saveexec_b64 s[6:7], s[6:7]
	v_mov_b32_e32 v10, s10
	s_xor_b64 exec, exec, s[6:7]
	s_cbranch_execnz .LBB20_3760
.LBB20_1710:
	s_or_b64 exec, exec, s[6:7]
	s_and_saveexec_b64 s[6:7], s[4:5]
	s_cbranch_execz .LBB20_1712
.LBB20_1711:
	v_bfe_u32 v10, v3, 8, 3
	v_ffbh_u32_e32 v12, v10
	v_min_u32_e32 v12, 32, v12
	v_lshrrev_b16_e32 v11, 3, v6
	v_subrev_u32_e32 v13, 28, v12
	v_and_b32_e32 v11, 15, v11
	v_lshlrev_b32_e32 v6, v13, v6
	v_sub_u32_e32 v12, 29, v12
	v_and_b32_e32 v6, 7, v6
	v_cmp_eq_u16_e32 vcc, 0, v11
	v_cndmask_b32_e32 v6, v10, v6, vcc
	v_cndmask_b32_e32 v10, v11, v12, vcc
	v_lshlrev_b32_e32 v11, 16, v3
	v_mov_b32_e32 v12, 0x3b800000
	v_lshlrev_b32_e32 v6, 20, v6
	v_and_b32_e32 v11, 0x80000000, v11
	v_lshl_add_u32 v10, v10, 23, v12
	v_or3_b32 v10, v11, v10, v6
.LBB20_1712:
	s_or_b64 exec, exec, s[6:7]
	s_nop 0
	v_mfma_f32_16x16x4f32 a[0:3], v2, v10, a[0:3]
	s_movk_i32 s4, 0xff
	v_and_b32_sdwa v6, v7, s4 dst_sel:DWORD dst_unused:UNUSED_PAD src0_sel:WORD_1 src1_sel:DWORD
	s_movk_i32 s4, 0x7f
	v_cmp_lt_i16_e32 vcc, s4, v6
	s_mov_b64 s[4:5], 0
                                        ; implicit-def: $sgpr10
	s_and_saveexec_b64 s[6:7], vcc
	s_xor_b64 s[6:7], exec, s[6:7]
	s_cbranch_execnz .LBB20_3761
; %bb.1713:
	s_or_saveexec_b64 s[6:7], s[6:7]
	v_mov_b32_e32 v2, s10
	s_xor_b64 exec, exec, s[6:7]
	s_cbranch_execnz .LBB20_3764
.LBB20_1714:
	s_or_b64 exec, exec, s[6:7]
	s_and_saveexec_b64 s[6:7], s[4:5]
	s_cbranch_execz .LBB20_1716
.LBB20_1715:
	v_bfe_u32 v2, v7, 16, 3
	v_ffbh_u32_e32 v11, v2
	v_min_u32_e32 v11, 32, v11
	v_lshrrev_b32_e32 v6, 19, v7
	v_subrev_u32_e32 v12, 28, v11
	v_and_b32_e32 v6, 15, v6
	v_lshlrev_b32_sdwa v12, v12, v7 dst_sel:DWORD dst_unused:UNUSED_PAD src0_sel:DWORD src1_sel:WORD_1
	v_bfe_u32 v10, v7, 19, 4
	v_sub_u32_e32 v11, 29, v11
	v_and_b32_e32 v12, 7, v12
	v_cmp_eq_u16_e32 vcc, 0, v6
	v_cndmask_b32_e32 v2, v2, v12, vcc
	v_cndmask_b32_e32 v6, v10, v11, vcc
	v_lshlrev_b32_e32 v10, 8, v7
	v_mov_b32_e32 v11, 0x3b800000
	v_lshlrev_b32_e32 v2, 20, v2
	v_and_b32_e32 v10, 0x80000000, v10
	v_lshl_add_u32 v6, v6, 23, v11
	v_or3_b32 v2, v10, v6, v2
.LBB20_1716:
	s_or_b64 exec, exec, s[6:7]
	s_movk_i32 s4, 0xff
	v_and_b32_sdwa v6, v3, s4 dst_sel:DWORD dst_unused:UNUSED_PAD src0_sel:WORD_1 src1_sel:DWORD
	s_movk_i32 s4, 0x7f
	v_cmp_lt_i16_e32 vcc, s4, v6
	s_mov_b64 s[4:5], 0
                                        ; implicit-def: $sgpr10
	s_and_saveexec_b64 s[6:7], vcc
	s_xor_b64 s[6:7], exec, s[6:7]
	s_cbranch_execnz .LBB20_3765
; %bb.1717:
	s_or_saveexec_b64 s[6:7], s[6:7]
	v_mov_b32_e32 v10, s10
	s_xor_b64 exec, exec, s[6:7]
	s_cbranch_execnz .LBB20_3768
.LBB20_1718:
	s_or_b64 exec, exec, s[6:7]
	s_and_saveexec_b64 s[6:7], s[4:5]
	s_cbranch_execz .LBB20_1720
.LBB20_1719:
	v_bfe_u32 v6, v3, 16, 3
	v_ffbh_u32_e32 v12, v6
	v_min_u32_e32 v12, 32, v12
	v_lshrrev_b32_e32 v10, 19, v3
	v_subrev_u32_e32 v13, 28, v12
	v_and_b32_e32 v10, 15, v10
	v_lshlrev_b32_sdwa v13, v13, v3 dst_sel:DWORD dst_unused:UNUSED_PAD src0_sel:DWORD src1_sel:WORD_1
	v_bfe_u32 v11, v3, 19, 4
	v_sub_u32_e32 v12, 29, v12
	v_and_b32_e32 v13, 7, v13
	v_cmp_eq_u16_e32 vcc, 0, v10
	v_cndmask_b32_e32 v6, v6, v13, vcc
	v_cndmask_b32_e32 v10, v11, v12, vcc
	v_lshlrev_b32_e32 v11, 8, v3
	v_mov_b32_e32 v12, 0x3b800000
	v_lshlrev_b32_e32 v6, 20, v6
	v_and_b32_e32 v11, 0x80000000, v11
	v_lshl_add_u32 v10, v10, 23, v12
	v_or3_b32 v10, v11, v10, v6
.LBB20_1720:
	s_or_b64 exec, exec, s[6:7]
	s_nop 0
	v_mfma_f32_16x16x4f32 a[0:3], v2, v10, a[0:3]
	s_movk_i32 s4, 0x7f
	v_cmp_gt_i16_sdwa s[6:7], v7, s4 src0_sel:BYTE_3 src1_sel:DWORD
	s_mov_b64 s[4:5], 0
                                        ; implicit-def: $sgpr10
	s_and_saveexec_b64 s[8:9], s[6:7]
	s_xor_b64 s[6:7], exec, s[8:9]
	s_cbranch_execnz .LBB20_3769
; %bb.1721:
	s_or_saveexec_b64 s[6:7], s[6:7]
	v_mov_b32_e32 v2, s10
	s_xor_b64 exec, exec, s[6:7]
	s_cbranch_execnz .LBB20_3772
.LBB20_1722:
	s_or_b64 exec, exec, s[6:7]
	s_and_saveexec_b64 s[6:7], s[4:5]
	s_cbranch_execz .LBB20_1724
.LBB20_1723:
	v_bfe_u32 v2, v7, 24, 3
	v_ffbh_u32_e32 v12, v2
	v_min_u32_e32 v12, 32, v12
	v_lshrrev_b32_e32 v10, 27, v7
	v_subrev_u32_e32 v13, 28, v12
	v_and_b32_e32 v6, 0x80000000, v7
	v_and_b32_e32 v10, 15, v10
	v_bfe_u32 v11, v7, 27, 4
	v_lshlrev_b32_sdwa v7, v13, v7 dst_sel:DWORD dst_unused:UNUSED_PAD src0_sel:DWORD src1_sel:BYTE_3
	v_sub_u32_e32 v12, 29, v12
	v_and_b32_e32 v7, 7, v7
	v_cmp_eq_u16_e32 vcc, 0, v10
	v_cndmask_b32_e32 v2, v2, v7, vcc
	v_cndmask_b32_e32 v7, v11, v12, vcc
	v_mov_b32_e32 v10, 0x3b800000
	v_lshlrev_b32_e32 v2, 20, v2
	v_lshl_add_u32 v7, v7, 23, v10
	v_or3_b32 v2, v6, v7, v2
.LBB20_1724:
	s_or_b64 exec, exec, s[6:7]
	s_movk_i32 s4, 0x7f
	v_cmp_gt_i16_sdwa s[6:7], v3, s4 src0_sel:BYTE_3 src1_sel:DWORD
	s_mov_b64 s[4:5], 0
                                        ; implicit-def: $sgpr10
	s_and_saveexec_b64 s[8:9], s[6:7]
	s_xor_b64 s[6:7], exec, s[8:9]
	s_cbranch_execnz .LBB20_3773
; %bb.1725:
	s_or_saveexec_b64 s[6:7], s[6:7]
	v_mov_b32_e32 v6, s10
	s_xor_b64 exec, exec, s[6:7]
	s_cbranch_execnz .LBB20_3776
.LBB20_1726:
	s_or_b64 exec, exec, s[6:7]
	s_and_saveexec_b64 s[6:7], s[4:5]
	s_cbranch_execz .LBB20_1728
.LBB20_1727:
	v_bfe_u32 v6, v3, 24, 3
	v_ffbh_u32_e32 v12, v6
	v_min_u32_e32 v12, 32, v12
	v_lshrrev_b32_e32 v10, 27, v3
	v_subrev_u32_e32 v13, 28, v12
	v_and_b32_e32 v7, 0x80000000, v3
	v_and_b32_e32 v10, 15, v10
	v_bfe_u32 v11, v3, 27, 4
	v_lshlrev_b32_sdwa v3, v13, v3 dst_sel:DWORD dst_unused:UNUSED_PAD src0_sel:DWORD src1_sel:BYTE_3
	v_sub_u32_e32 v12, 29, v12
	v_and_b32_e32 v3, 7, v3
	v_cmp_eq_u16_e32 vcc, 0, v10
	v_cndmask_b32_e32 v3, v6, v3, vcc
	v_cndmask_b32_e32 v6, v11, v12, vcc
	v_mov_b32_e32 v10, 0x3b800000
	v_lshlrev_b32_e32 v3, 20, v3
	v_lshl_add_u32 v6, v6, 23, v10
	v_or3_b32 v6, v7, v6, v3
.LBB20_1728:
	s_or_b64 exec, exec, s[6:7]
	s_nop 0
	v_mfma_f32_16x16x4f32 a[0:3], v2, v6, a[0:3]
	s_movk_i32 s4, 0x7f
	v_cmp_gt_i16_sdwa s[6:7], v8, s4 src0_sel:BYTE_0 src1_sel:DWORD
	s_mov_b64 s[4:5], 0
                                        ; implicit-def: $sgpr10
	s_and_saveexec_b64 s[8:9], s[6:7]
	s_xor_b64 s[6:7], exec, s[8:9]
	s_cbranch_execnz .LBB20_3777
; %bb.1729:
	s_or_saveexec_b64 s[6:7], s[6:7]
	v_mov_b32_e32 v2, s10
	s_xor_b64 exec, exec, s[6:7]
	s_cbranch_execnz .LBB20_3780
.LBB20_1730:
	s_or_b64 exec, exec, s[6:7]
	s_and_saveexec_b64 s[6:7], s[4:5]
	s_cbranch_execz .LBB20_1732
.LBB20_1731:
	v_and_b32_e32 v2, 7, v8
	v_ffbh_u32_e32 v6, v2
	v_min_u32_e32 v6, 32, v6
	v_lshrrev_b16_e32 v3, 3, v8
	v_subrev_u32_e32 v7, 28, v6
	v_and_b32_e32 v3, 15, v3
	v_lshlrev_b32_e32 v7, v7, v8
	v_sub_u32_e32 v6, 29, v6
	v_and_b32_e32 v7, 7, v7
	v_cmp_eq_u16_e32 vcc, 0, v3
	v_cndmask_b32_e32 v2, v2, v7, vcc
	v_cndmask_b32_e32 v3, v3, v6, vcc
	v_lshlrev_b32_e32 v6, 24, v8
	v_mov_b32_e32 v7, 0x3b800000
	v_lshlrev_b32_e32 v2, 20, v2
	v_and_b32_e32 v6, 0x80000000, v6
	v_lshl_add_u32 v3, v3, 23, v7
	v_or3_b32 v2, v6, v3, v2
.LBB20_1732:
	s_or_b64 exec, exec, s[6:7]
	s_movk_i32 s4, 0x7f
	v_cmp_gt_i16_sdwa s[6:7], v4, s4 src0_sel:BYTE_0 src1_sel:DWORD
	s_mov_b64 s[4:5], 0
                                        ; implicit-def: $sgpr10
	s_and_saveexec_b64 s[8:9], s[6:7]
	s_xor_b64 s[6:7], exec, s[8:9]
	s_cbranch_execnz .LBB20_3781
; %bb.1733:
	s_or_saveexec_b64 s[6:7], s[6:7]
	v_mov_b32_e32 v3, s10
	s_xor_b64 exec, exec, s[6:7]
	s_cbranch_execnz .LBB20_3784
.LBB20_1734:
	s_or_b64 exec, exec, s[6:7]
	s_and_saveexec_b64 s[6:7], s[4:5]
	s_cbranch_execz .LBB20_1736
.LBB20_1735:
	v_and_b32_e32 v3, 7, v4
	v_ffbh_u32_e32 v7, v3
	v_min_u32_e32 v7, 32, v7
	v_lshrrev_b16_e32 v6, 3, v4
	v_subrev_u32_e32 v10, 28, v7
	v_and_b32_e32 v6, 15, v6
	v_lshlrev_b32_e32 v10, v10, v4
	v_sub_u32_e32 v7, 29, v7
	v_and_b32_e32 v10, 7, v10
	v_cmp_eq_u16_e32 vcc, 0, v6
	v_cndmask_b32_e32 v3, v3, v10, vcc
	v_cndmask_b32_e32 v6, v6, v7, vcc
	v_lshlrev_b32_e32 v7, 24, v4
	v_mov_b32_e32 v10, 0x3b800000
	v_lshlrev_b32_e32 v3, 20, v3
	v_and_b32_e32 v7, 0x80000000, v7
	v_lshl_add_u32 v6, v6, 23, v10
	v_or3_b32 v3, v7, v6, v3
.LBB20_1736:
	s_or_b64 exec, exec, s[6:7]
	s_nop 0
	v_mfma_f32_16x16x4f32 a[0:3], v2, v3, a[0:3]
	v_lshrrev_b32_e32 v3, 8, v8
	s_movk_i32 s4, 0x7f
	v_cmp_gt_i16_sdwa s[6:7], v3, s4 src0_sel:BYTE_0 src1_sel:DWORD
	s_mov_b64 s[4:5], 0
                                        ; implicit-def: $sgpr10
	s_and_saveexec_b64 s[8:9], s[6:7]
	s_xor_b64 s[6:7], exec, s[8:9]
	s_cbranch_execnz .LBB20_3785
; %bb.1737:
	s_or_saveexec_b64 s[6:7], s[6:7]
	v_mov_b32_e32 v2, s10
	s_xor_b64 exec, exec, s[6:7]
	s_cbranch_execnz .LBB20_3788
.LBB20_1738:
	s_or_b64 exec, exec, s[6:7]
	s_and_saveexec_b64 s[6:7], s[4:5]
	s_cbranch_execz .LBB20_1740
.LBB20_1739:
	v_bfe_u32 v2, v8, 8, 3
	v_ffbh_u32_e32 v7, v2
	v_min_u32_e32 v7, 32, v7
	v_lshrrev_b16_e32 v6, 3, v3
	v_subrev_u32_e32 v10, 28, v7
	v_and_b32_e32 v6, 15, v6
	v_lshlrev_b32_e32 v3, v10, v3
	v_sub_u32_e32 v7, 29, v7
	v_and_b32_e32 v3, 7, v3
	v_cmp_eq_u16_e32 vcc, 0, v6
	v_cndmask_b32_e32 v2, v2, v3, vcc
	v_cndmask_b32_e32 v3, v6, v7, vcc
	v_lshlrev_b32_e32 v6, 16, v8
	v_mov_b32_e32 v7, 0x3b800000
	v_lshlrev_b32_e32 v2, 20, v2
	v_and_b32_e32 v6, 0x80000000, v6
	v_lshl_add_u32 v3, v3, 23, v7
	v_or3_b32 v2, v6, v3, v2
.LBB20_1740:
	s_or_b64 exec, exec, s[6:7]
	v_lshrrev_b32_e32 v3, 8, v4
	s_movk_i32 s4, 0x7f
	v_cmp_gt_i16_sdwa s[6:7], v3, s4 src0_sel:BYTE_0 src1_sel:DWORD
	s_mov_b64 s[4:5], 0
                                        ; implicit-def: $sgpr10
	s_and_saveexec_b64 s[8:9], s[6:7]
	s_xor_b64 s[6:7], exec, s[8:9]
	s_cbranch_execnz .LBB20_3789
; %bb.1741:
	s_or_saveexec_b64 s[6:7], s[6:7]
	v_mov_b32_e32 v6, s10
	s_xor_b64 exec, exec, s[6:7]
	s_cbranch_execnz .LBB20_3792
.LBB20_1742:
	s_or_b64 exec, exec, s[6:7]
	s_and_saveexec_b64 s[6:7], s[4:5]
	s_cbranch_execz .LBB20_1744
.LBB20_1743:
	v_bfe_u32 v6, v4, 8, 3
	v_ffbh_u32_e32 v10, v6
	v_min_u32_e32 v10, 32, v10
	v_lshrrev_b16_e32 v7, 3, v3
	v_subrev_u32_e32 v11, 28, v10
	v_and_b32_e32 v7, 15, v7
	v_lshlrev_b32_e32 v3, v11, v3
	v_sub_u32_e32 v10, 29, v10
	v_and_b32_e32 v3, 7, v3
	v_cmp_eq_u16_e32 vcc, 0, v7
	v_cndmask_b32_e32 v3, v6, v3, vcc
	v_cndmask_b32_e32 v6, v7, v10, vcc
	v_lshlrev_b32_e32 v7, 16, v4
	v_mov_b32_e32 v10, 0x3b800000
	v_lshlrev_b32_e32 v3, 20, v3
	v_and_b32_e32 v7, 0x80000000, v7
	v_lshl_add_u32 v6, v6, 23, v10
	v_or3_b32 v6, v7, v6, v3
.LBB20_1744:
	s_or_b64 exec, exec, s[6:7]
	s_nop 0
	v_mfma_f32_16x16x4f32 a[0:3], v2, v6, a[0:3]
	s_movk_i32 s4, 0xff
	v_and_b32_sdwa v3, v8, s4 dst_sel:DWORD dst_unused:UNUSED_PAD src0_sel:WORD_1 src1_sel:DWORD
	s_movk_i32 s4, 0x7f
	v_cmp_lt_i16_e32 vcc, s4, v3
	s_mov_b64 s[4:5], 0
                                        ; implicit-def: $sgpr10
	s_and_saveexec_b64 s[6:7], vcc
	s_xor_b64 s[6:7], exec, s[6:7]
	s_cbranch_execnz .LBB20_3793
; %bb.1745:
	s_or_saveexec_b64 s[6:7], s[6:7]
	v_mov_b32_e32 v2, s10
	s_xor_b64 exec, exec, s[6:7]
	s_cbranch_execnz .LBB20_3796
.LBB20_1746:
	s_or_b64 exec, exec, s[6:7]
	s_and_saveexec_b64 s[6:7], s[4:5]
	s_cbranch_execz .LBB20_1748
.LBB20_1747:
	v_bfe_u32 v2, v8, 16, 3
	v_ffbh_u32_e32 v7, v2
	v_min_u32_e32 v7, 32, v7
	v_lshrrev_b32_e32 v3, 19, v8
	v_subrev_u32_e32 v10, 28, v7
	v_and_b32_e32 v3, 15, v3
	v_lshlrev_b32_sdwa v10, v10, v8 dst_sel:DWORD dst_unused:UNUSED_PAD src0_sel:DWORD src1_sel:WORD_1
	v_bfe_u32 v6, v8, 19, 4
	v_sub_u32_e32 v7, 29, v7
	v_and_b32_e32 v10, 7, v10
	v_cmp_eq_u16_e32 vcc, 0, v3
	v_cndmask_b32_e32 v2, v2, v10, vcc
	v_cndmask_b32_e32 v3, v6, v7, vcc
	v_lshlrev_b32_e32 v6, 8, v8
	v_mov_b32_e32 v7, 0x3b800000
	v_lshlrev_b32_e32 v2, 20, v2
	v_and_b32_e32 v6, 0x80000000, v6
	v_lshl_add_u32 v3, v3, 23, v7
	v_or3_b32 v2, v6, v3, v2
.LBB20_1748:
	s_or_b64 exec, exec, s[6:7]
	s_movk_i32 s4, 0xff
	v_and_b32_sdwa v3, v4, s4 dst_sel:DWORD dst_unused:UNUSED_PAD src0_sel:WORD_1 src1_sel:DWORD
	s_movk_i32 s4, 0x7f
	v_cmp_lt_i16_e32 vcc, s4, v3
	s_mov_b64 s[4:5], 0
                                        ; implicit-def: $sgpr10
	s_and_saveexec_b64 s[6:7], vcc
	s_xor_b64 s[6:7], exec, s[6:7]
	s_cbranch_execnz .LBB20_3797
; %bb.1749:
	s_or_saveexec_b64 s[6:7], s[6:7]
	v_mov_b32_e32 v6, s10
	s_xor_b64 exec, exec, s[6:7]
	s_cbranch_execnz .LBB20_3800
.LBB20_1750:
	s_or_b64 exec, exec, s[6:7]
	s_and_saveexec_b64 s[6:7], s[4:5]
	s_cbranch_execz .LBB20_1752
.LBB20_1751:
	v_bfe_u32 v3, v4, 16, 3
	v_ffbh_u32_e32 v10, v3
	v_min_u32_e32 v10, 32, v10
	v_lshrrev_b32_e32 v6, 19, v4
	v_subrev_u32_e32 v11, 28, v10
	v_and_b32_e32 v6, 15, v6
	v_lshlrev_b32_sdwa v11, v11, v4 dst_sel:DWORD dst_unused:UNUSED_PAD src0_sel:DWORD src1_sel:WORD_1
	v_bfe_u32 v7, v4, 19, 4
	v_sub_u32_e32 v10, 29, v10
	v_and_b32_e32 v11, 7, v11
	v_cmp_eq_u16_e32 vcc, 0, v6
	v_cndmask_b32_e32 v3, v3, v11, vcc
	v_cndmask_b32_e32 v6, v7, v10, vcc
	v_lshlrev_b32_e32 v7, 8, v4
	v_mov_b32_e32 v10, 0x3b800000
	v_lshlrev_b32_e32 v3, 20, v3
	v_and_b32_e32 v7, 0x80000000, v7
	v_lshl_add_u32 v6, v6, 23, v10
	v_or3_b32 v6, v7, v6, v3
.LBB20_1752:
	s_or_b64 exec, exec, s[6:7]
	s_nop 0
	v_mfma_f32_16x16x4f32 a[0:3], v2, v6, a[0:3]
	s_movk_i32 s4, 0x7f
	v_cmp_gt_i16_sdwa s[6:7], v8, s4 src0_sel:BYTE_3 src1_sel:DWORD
	s_mov_b64 s[4:5], 0
                                        ; implicit-def: $sgpr10
	s_and_saveexec_b64 s[8:9], s[6:7]
	s_xor_b64 s[6:7], exec, s[8:9]
	s_cbranch_execnz .LBB20_3801
; %bb.1753:
	s_or_saveexec_b64 s[6:7], s[6:7]
	v_mov_b32_e32 v2, s10
	s_xor_b64 exec, exec, s[6:7]
	s_cbranch_execnz .LBB20_3804
.LBB20_1754:
	s_or_b64 exec, exec, s[6:7]
	s_and_saveexec_b64 s[6:7], s[4:5]
	s_cbranch_execz .LBB20_1756
.LBB20_1755:
	v_bfe_u32 v2, v8, 24, 3
	v_ffbh_u32_e32 v10, v2
	v_min_u32_e32 v10, 32, v10
	v_lshrrev_b32_e32 v6, 27, v8
	v_subrev_u32_e32 v11, 28, v10
	v_and_b32_e32 v3, 0x80000000, v8
	v_and_b32_e32 v6, 15, v6
	v_bfe_u32 v7, v8, 27, 4
	v_lshlrev_b32_sdwa v8, v11, v8 dst_sel:DWORD dst_unused:UNUSED_PAD src0_sel:DWORD src1_sel:BYTE_3
	v_sub_u32_e32 v10, 29, v10
	v_and_b32_e32 v8, 7, v8
	v_cmp_eq_u16_e32 vcc, 0, v6
	v_cndmask_b32_e32 v2, v2, v8, vcc
	v_cndmask_b32_e32 v6, v7, v10, vcc
	v_mov_b32_e32 v7, 0x3b800000
	v_lshlrev_b32_e32 v2, 20, v2
	v_lshl_add_u32 v6, v6, 23, v7
	v_or3_b32 v2, v3, v6, v2
.LBB20_1756:
	s_or_b64 exec, exec, s[6:7]
	s_movk_i32 s4, 0x7f
	v_cmp_gt_i16_sdwa s[6:7], v4, s4 src0_sel:BYTE_3 src1_sel:DWORD
	s_mov_b64 s[4:5], 0
                                        ; implicit-def: $sgpr10
	s_and_saveexec_b64 s[8:9], s[6:7]
	s_xor_b64 s[6:7], exec, s[8:9]
	s_cbranch_execnz .LBB20_3805
; %bb.1757:
	s_or_saveexec_b64 s[6:7], s[6:7]
	v_mov_b32_e32 v3, s10
	s_xor_b64 exec, exec, s[6:7]
	s_cbranch_execnz .LBB20_3808
.LBB20_1758:
	s_or_b64 exec, exec, s[6:7]
	s_and_saveexec_b64 s[6:7], s[4:5]
	s_cbranch_execz .LBB20_1760
.LBB20_1759:
	v_bfe_u32 v3, v4, 24, 3
	v_ffbh_u32_e32 v10, v3
	v_min_u32_e32 v10, 32, v10
	v_lshrrev_b32_e32 v7, 27, v4
	v_subrev_u32_e32 v11, 28, v10
	v_and_b32_e32 v6, 0x80000000, v4
	v_and_b32_e32 v7, 15, v7
	v_bfe_u32 v8, v4, 27, 4
	v_lshlrev_b32_sdwa v4, v11, v4 dst_sel:DWORD dst_unused:UNUSED_PAD src0_sel:DWORD src1_sel:BYTE_3
	v_sub_u32_e32 v10, 29, v10
	v_and_b32_e32 v4, 7, v4
	v_cmp_eq_u16_e32 vcc, 0, v7
	v_cndmask_b32_e32 v3, v3, v4, vcc
	v_cndmask_b32_e32 v4, v8, v10, vcc
	v_mov_b32_e32 v7, 0x3b800000
	v_lshlrev_b32_e32 v3, 20, v3
	v_lshl_add_u32 v4, v4, 23, v7
	v_or3_b32 v3, v6, v4, v3
.LBB20_1760:
	s_or_b64 exec, exec, s[6:7]
	s_nop 0
	v_mfma_f32_16x16x4f32 a[0:3], v2, v3, a[0:3]
	s_movk_i32 s4, 0x7f
	v_cmp_gt_i16_sdwa s[6:7], v9, s4 src0_sel:BYTE_0 src1_sel:DWORD
	s_mov_b64 s[4:5], 0
                                        ; implicit-def: $sgpr10
	s_and_saveexec_b64 s[8:9], s[6:7]
	s_xor_b64 s[6:7], exec, s[8:9]
	s_cbranch_execnz .LBB20_3809
; %bb.1761:
	s_or_saveexec_b64 s[6:7], s[6:7]
	v_mov_b32_e32 v2, s10
	s_xor_b64 exec, exec, s[6:7]
	s_cbranch_execnz .LBB20_3812
.LBB20_1762:
	s_or_b64 exec, exec, s[6:7]
	s_and_saveexec_b64 s[6:7], s[4:5]
	s_cbranch_execz .LBB20_1764
.LBB20_1763:
	v_mov_b32_e32 v2, 8
	v_and_b32_e32 v3, 7, v9
	v_lshrrev_b32_sdwa v2, v2, v9 dst_sel:BYTE_1 dst_unused:UNUSED_PAD src0_sel:DWORD src1_sel:DWORD
	v_ffbh_u32_e32 v4, v3
	v_or_b32_sdwa v2, v9, v2 dst_sel:DWORD dst_unused:UNUSED_PAD src0_sel:BYTE_0 src1_sel:DWORD
	v_min_u32_e32 v4, 32, v4
	v_lshrrev_b16_e32 v2, 3, v2
	v_subrev_u32_e32 v6, 28, v4
	v_and_b32_e32 v2, 15, v2
	v_lshlrev_b32_e32 v6, v6, v9
	v_sub_u32_e32 v4, 29, v4
	v_and_b32_e32 v6, 7, v6
	v_cmp_eq_u16_e32 vcc, 0, v2
	v_cndmask_b32_e32 v3, v3, v6, vcc
	v_cndmask_b32_e32 v2, v2, v4, vcc
	v_lshlrev_b32_e32 v4, 24, v9
	v_mov_b32_e32 v6, 0x3b800000
	v_lshlrev_b32_e32 v3, 20, v3
	v_and_b32_e32 v4, 0x80000000, v4
	v_lshl_add_u32 v2, v2, 23, v6
	v_or3_b32 v2, v4, v2, v3
.LBB20_1764:
	s_or_b64 exec, exec, s[6:7]
	s_movk_i32 s4, 0x7f
	v_cmp_gt_i16_sdwa s[6:7], v5, s4 src0_sel:BYTE_0 src1_sel:DWORD
	s_mov_b64 s[4:5], 0
                                        ; implicit-def: $sgpr10
	s_and_saveexec_b64 s[8:9], s[6:7]
	s_xor_b64 s[6:7], exec, s[8:9]
	s_cbranch_execnz .LBB20_3813
; %bb.1765:
	s_or_saveexec_b64 s[6:7], s[6:7]
	v_mov_b32_e32 v3, s10
	s_xor_b64 exec, exec, s[6:7]
	s_cbranch_execnz .LBB20_3816
.LBB20_1766:
	s_or_b64 exec, exec, s[6:7]
	s_and_saveexec_b64 s[6:7], s[4:5]
	s_cbranch_execz .LBB20_1768
.LBB20_1767:
	v_mov_b32_e32 v3, 8
	v_and_b32_e32 v4, 7, v5
	v_lshrrev_b32_sdwa v3, v3, v5 dst_sel:BYTE_1 dst_unused:UNUSED_PAD src0_sel:DWORD src1_sel:DWORD
	v_ffbh_u32_e32 v6, v4
	v_or_b32_sdwa v3, v5, v3 dst_sel:DWORD dst_unused:UNUSED_PAD src0_sel:BYTE_0 src1_sel:DWORD
	v_min_u32_e32 v6, 32, v6
	v_lshrrev_b16_e32 v3, 3, v3
	v_subrev_u32_e32 v7, 28, v6
	v_and_b32_e32 v3, 15, v3
	v_lshlrev_b32_e32 v7, v7, v5
	v_sub_u32_e32 v6, 29, v6
	v_and_b32_e32 v7, 7, v7
	v_cmp_eq_u16_e32 vcc, 0, v3
	v_cndmask_b32_e32 v4, v4, v7, vcc
	v_cndmask_b32_e32 v3, v3, v6, vcc
	v_lshlrev_b32_e32 v6, 24, v5
	v_mov_b32_e32 v7, 0x3b800000
	v_lshlrev_b32_e32 v4, 20, v4
	v_and_b32_e32 v6, 0x80000000, v6
	v_lshl_add_u32 v3, v3, 23, v7
	v_or3_b32 v3, v6, v3, v4
.LBB20_1768:
	s_or_b64 exec, exec, s[6:7]
	s_nop 0
	v_mfma_f32_16x16x4f32 a[0:3], v2, v3, a[0:3]
	v_lshrrev_b32_e32 v3, 8, v9
	s_movk_i32 s4, 0x7f
	v_cmp_gt_i16_sdwa s[6:7], v3, s4 src0_sel:BYTE_0 src1_sel:DWORD
	s_mov_b64 s[4:5], 0
                                        ; implicit-def: $sgpr10
	s_and_saveexec_b64 s[8:9], s[6:7]
	s_xor_b64 s[6:7], exec, s[8:9]
	s_cbranch_execnz .LBB20_3817
; %bb.1769:
	s_or_saveexec_b64 s[6:7], s[6:7]
	v_mov_b32_e32 v2, s10
	s_xor_b64 exec, exec, s[6:7]
	s_cbranch_execnz .LBB20_3820
.LBB20_1770:
	s_or_b64 exec, exec, s[6:7]
	s_and_saveexec_b64 s[6:7], s[4:5]
	s_cbranch_execz .LBB20_1772
.LBB20_1771:
	v_bfe_u32 v2, v9, 8, 3
	v_ffbh_u32_e32 v6, v2
	v_min_u32_e32 v6, 32, v6
	v_lshrrev_b16_e32 v4, 3, v3
	v_subrev_u32_e32 v7, 28, v6
	v_and_b32_e32 v4, 15, v4
	v_lshlrev_b32_e32 v3, v7, v3
	v_sub_u32_e32 v6, 29, v6
	v_and_b32_e32 v3, 7, v3
	v_cmp_eq_u16_e32 vcc, 0, v4
	v_cndmask_b32_e32 v2, v2, v3, vcc
	v_cndmask_b32_e32 v3, v4, v6, vcc
	v_lshlrev_b32_e32 v4, 16, v9
	v_mov_b32_e32 v6, 0x3b800000
	v_lshlrev_b32_e32 v2, 20, v2
	v_and_b32_e32 v4, 0x80000000, v4
	v_lshl_add_u32 v3, v3, 23, v6
	v_or3_b32 v2, v4, v3, v2
.LBB20_1772:
	s_or_b64 exec, exec, s[6:7]
	v_lshrrev_b32_e32 v3, 8, v5
	s_movk_i32 s4, 0x7f
	v_cmp_gt_i16_sdwa s[6:7], v3, s4 src0_sel:BYTE_0 src1_sel:DWORD
	s_mov_b64 s[4:5], 0
                                        ; implicit-def: $sgpr10
	s_and_saveexec_b64 s[8:9], s[6:7]
	s_xor_b64 s[6:7], exec, s[8:9]
	s_cbranch_execnz .LBB20_3821
; %bb.1773:
	s_or_saveexec_b64 s[6:7], s[6:7]
	v_mov_b32_e32 v4, s10
	s_xor_b64 exec, exec, s[6:7]
	s_cbranch_execnz .LBB20_3824
.LBB20_1774:
	s_or_b64 exec, exec, s[6:7]
	s_and_saveexec_b64 s[6:7], s[4:5]
	s_cbranch_execz .LBB20_1776
.LBB20_1775:
	v_bfe_u32 v4, v5, 8, 3
	v_ffbh_u32_e32 v7, v4
	v_min_u32_e32 v7, 32, v7
	v_lshrrev_b16_e32 v6, 3, v3
	v_subrev_u32_e32 v8, 28, v7
	v_and_b32_e32 v6, 15, v6
	v_lshlrev_b32_e32 v3, v8, v3
	v_sub_u32_e32 v7, 29, v7
	v_and_b32_e32 v3, 7, v3
	v_cmp_eq_u16_e32 vcc, 0, v6
	v_cndmask_b32_e32 v3, v4, v3, vcc
	v_cndmask_b32_e32 v4, v6, v7, vcc
	v_lshlrev_b32_e32 v6, 16, v5
	v_mov_b32_e32 v7, 0x3b800000
	v_lshlrev_b32_e32 v3, 20, v3
	v_and_b32_e32 v6, 0x80000000, v6
	v_lshl_add_u32 v4, v4, 23, v7
	v_or3_b32 v4, v6, v4, v3
.LBB20_1776:
	s_or_b64 exec, exec, s[6:7]
	s_nop 0
	v_mfma_f32_16x16x4f32 a[0:3], v2, v4, a[0:3]
	s_movk_i32 s4, 0xff
	v_and_b32_sdwa v3, v9, s4 dst_sel:DWORD dst_unused:UNUSED_PAD src0_sel:WORD_1 src1_sel:DWORD
	s_movk_i32 s4, 0x7f
	v_cmp_lt_i16_e32 vcc, s4, v3
	s_mov_b64 s[4:5], 0
                                        ; implicit-def: $sgpr10
	s_and_saveexec_b64 s[6:7], vcc
	s_xor_b64 s[6:7], exec, s[6:7]
	s_cbranch_execnz .LBB20_3825
; %bb.1777:
	s_or_saveexec_b64 s[6:7], s[6:7]
	v_mov_b32_e32 v2, s10
	s_xor_b64 exec, exec, s[6:7]
	s_cbranch_execnz .LBB20_3828
.LBB20_1778:
	s_or_b64 exec, exec, s[6:7]
	s_and_saveexec_b64 s[6:7], s[4:5]
	s_cbranch_execz .LBB20_1780
.LBB20_1779:
	v_bfe_u32 v2, v9, 16, 3
	v_ffbh_u32_e32 v6, v2
	v_min_u32_e32 v6, 32, v6
	v_lshrrev_b32_e32 v3, 19, v9
	v_subrev_u32_e32 v7, 28, v6
	v_and_b32_e32 v3, 15, v3
	v_lshlrev_b32_sdwa v7, v7, v9 dst_sel:DWORD dst_unused:UNUSED_PAD src0_sel:DWORD src1_sel:WORD_1
	v_bfe_u32 v4, v9, 19, 4
	v_sub_u32_e32 v6, 29, v6
	v_and_b32_e32 v7, 7, v7
	v_cmp_eq_u16_e32 vcc, 0, v3
	v_cndmask_b32_e32 v2, v2, v7, vcc
	v_cndmask_b32_e32 v3, v4, v6, vcc
	v_lshlrev_b32_e32 v4, 8, v9
	v_mov_b32_e32 v6, 0x3b800000
	v_lshlrev_b32_e32 v2, 20, v2
	v_and_b32_e32 v4, 0x80000000, v4
	v_lshl_add_u32 v3, v3, 23, v6
	v_or3_b32 v2, v4, v3, v2
.LBB20_1780:
	s_or_b64 exec, exec, s[6:7]
	s_movk_i32 s4, 0xff
	v_and_b32_sdwa v3, v5, s4 dst_sel:DWORD dst_unused:UNUSED_PAD src0_sel:WORD_1 src1_sel:DWORD
	s_movk_i32 s4, 0x7f
	v_cmp_lt_i16_e32 vcc, s4, v3
	s_mov_b64 s[4:5], 0
                                        ; implicit-def: $sgpr10
	s_and_saveexec_b64 s[6:7], vcc
	s_xor_b64 s[6:7], exec, s[6:7]
	s_cbranch_execnz .LBB20_3829
; %bb.1781:
	s_or_saveexec_b64 s[6:7], s[6:7]
	v_mov_b32_e32 v4, s10
	s_xor_b64 exec, exec, s[6:7]
	s_cbranch_execnz .LBB20_3832
.LBB20_1782:
	s_or_b64 exec, exec, s[6:7]
	s_and_saveexec_b64 s[6:7], s[4:5]
	s_cbranch_execz .LBB20_1784
.LBB20_1783:
	v_bfe_u32 v3, v5, 16, 3
	v_ffbh_u32_e32 v7, v3
	v_min_u32_e32 v7, 32, v7
	v_lshrrev_b32_e32 v4, 19, v5
	v_subrev_u32_e32 v8, 28, v7
	v_and_b32_e32 v4, 15, v4
	v_lshlrev_b32_sdwa v8, v8, v5 dst_sel:DWORD dst_unused:UNUSED_PAD src0_sel:DWORD src1_sel:WORD_1
	v_bfe_u32 v6, v5, 19, 4
	v_sub_u32_e32 v7, 29, v7
	v_and_b32_e32 v8, 7, v8
	v_cmp_eq_u16_e32 vcc, 0, v4
	v_cndmask_b32_e32 v3, v3, v8, vcc
	v_cndmask_b32_e32 v4, v6, v7, vcc
	v_lshlrev_b32_e32 v6, 8, v5
	v_mov_b32_e32 v7, 0x3b800000
	v_lshlrev_b32_e32 v3, 20, v3
	v_and_b32_e32 v6, 0x80000000, v6
	v_lshl_add_u32 v4, v4, 23, v7
	v_or3_b32 v4, v6, v4, v3
.LBB20_1784:
	s_or_b64 exec, exec, s[6:7]
	s_nop 0
	v_mfma_f32_16x16x4f32 a[0:3], v2, v4, a[0:3]
	s_movk_i32 s4, 0x7f
	v_cmp_gt_i16_sdwa s[6:7], v9, s4 src0_sel:BYTE_3 src1_sel:DWORD
	s_mov_b64 s[4:5], 0
                                        ; implicit-def: $sgpr10
	s_and_saveexec_b64 s[8:9], s[6:7]
	s_xor_b64 s[6:7], exec, s[8:9]
	s_cbranch_execnz .LBB20_3833
; %bb.1785:
	s_or_saveexec_b64 s[6:7], s[6:7]
	v_mov_b32_e32 v2, s10
	s_xor_b64 exec, exec, s[6:7]
	s_cbranch_execnz .LBB20_3836
.LBB20_1786:
	s_or_b64 exec, exec, s[6:7]
	s_and_saveexec_b64 s[6:7], s[4:5]
	s_cbranch_execz .LBB20_1788
.LBB20_1787:
	v_bfe_u32 v2, v9, 24, 3
	v_ffbh_u32_e32 v7, v2
	v_min_u32_e32 v7, 32, v7
	v_lshrrev_b32_e32 v4, 27, v9
	v_subrev_u32_e32 v8, 28, v7
	v_and_b32_e32 v4, 15, v4
	v_lshlrev_b32_sdwa v8, v8, v9 dst_sel:DWORD dst_unused:UNUSED_PAD src0_sel:DWORD src1_sel:BYTE_3
	v_bfe_u32 v6, v9, 27, 4
	v_sub_u32_e32 v7, 29, v7
	v_and_b32_e32 v8, 7, v8
	v_cmp_eq_u16_e32 vcc, 0, v4
	v_cndmask_b32_e32 v2, v2, v8, vcc
	v_cndmask_b32_e32 v4, v6, v7, vcc
	v_mov_b32_e32 v6, 0x3b800000
	v_and_b32_e32 v3, 0x80000000, v9
	v_lshlrev_b32_e32 v2, 20, v2
	v_lshl_add_u32 v4, v4, 23, v6
	v_or3_b32 v2, v3, v4, v2
.LBB20_1788:
	s_or_b64 exec, exec, s[6:7]
	s_movk_i32 s4, 0x7f
	v_cmp_gt_i16_sdwa s[6:7], v5, s4 src0_sel:BYTE_3 src1_sel:DWORD
	s_mov_b64 s[4:5], 0
                                        ; implicit-def: $sgpr10
	s_and_saveexec_b64 s[8:9], s[6:7]
	s_xor_b64 s[6:7], exec, s[8:9]
	s_cbranch_execnz .LBB20_3837
; %bb.1789:
	s_or_saveexec_b64 s[6:7], s[6:7]
	v_mov_b32_e32 v3, s10
	s_xor_b64 exec, exec, s[6:7]
	s_cbranch_execnz .LBB20_3840
.LBB20_1790:
	s_or_b64 exec, exec, s[6:7]
	s_and_saveexec_b64 s[6:7], s[4:5]
	s_cbranch_execz .LBB20_1792
.LBB20_1791:
	v_bfe_u32 v3, v5, 24, 3
	v_ffbh_u32_e32 v8, v3
	v_min_u32_e32 v8, 32, v8
	v_lshrrev_b32_e32 v6, 27, v5
	v_subrev_u32_e32 v9, 28, v8
	v_and_b32_e32 v4, 0x80000000, v5
	v_and_b32_e32 v6, 15, v6
	v_bfe_u32 v7, v5, 27, 4
	v_lshlrev_b32_sdwa v5, v9, v5 dst_sel:DWORD dst_unused:UNUSED_PAD src0_sel:DWORD src1_sel:BYTE_3
	v_sub_u32_e32 v8, 29, v8
	v_and_b32_e32 v5, 7, v5
	v_cmp_eq_u16_e32 vcc, 0, v6
	v_cndmask_b32_e32 v3, v3, v5, vcc
	v_cndmask_b32_e32 v5, v7, v8, vcc
	v_mov_b32_e32 v6, 0x3b800000
	v_lshlrev_b32_e32 v3, 20, v3
	v_lshl_add_u32 v5, v5, 23, v6
	v_or3_b32 v3, v4, v5, v3
.LBB20_1792:
	s_or_b64 exec, exec, s[6:7]
	s_nop 0
	v_mfma_f32_16x16x4f32 a[0:3], v2, v3, a[0:3]
	s_movk_i32 s4, 0x7f
                                        ; implicit-def: $sgpr10
	s_nop 7
	s_nop 1
	flat_store_dwordx4 v[18:19], a[0:3] offset:352
	flat_load_dwordx4 v[18:21], v[0:1] offset:8
	s_nop 0
	flat_load_dwordx2 v[16:17], v[0:1] offset:24
	s_waitcnt vmcnt(0) lgkmcnt(0)
	flat_load_dwordx4 v[12:15], v[18:19]
	flat_load_dwordx4 v[4:7], v[18:19] offset:16
	flat_load_dwordx4 v[8:11], v[20:21] offset:224
	;; [unrolled: 1-line block ×3, first 2 shown]
	s_waitcnt vmcnt(0) lgkmcnt(0)
	v_cmp_gt_i16_sdwa s[6:7], v12, s4 src0_sel:BYTE_0 src1_sel:DWORD
	s_mov_b64 s[4:5], 0
	s_and_saveexec_b64 s[8:9], s[6:7]
	s_xor_b64 s[6:7], exec, s[8:9]
	s_cbranch_execnz .LBB20_3841
; %bb.1793:
	s_or_saveexec_b64 s[6:7], s[6:7]
	v_mov_b32_e32 v18, s10
	s_xor_b64 exec, exec, s[6:7]
	s_cbranch_execnz .LBB20_3844
.LBB20_1794:
	s_or_b64 exec, exec, s[6:7]
	s_and_saveexec_b64 s[6:7], s[4:5]
	s_cbranch_execz .LBB20_1796
.LBB20_1795:
	v_and_b32_e32 v18, 7, v12
	v_ffbh_u32_e32 v20, v18
	v_min_u32_e32 v20, 32, v20
	v_lshrrev_b16_e32 v19, 3, v12
	v_subrev_u32_e32 v21, 28, v20
	v_and_b32_e32 v19, 15, v19
	v_lshlrev_b32_e32 v21, v21, v12
	v_sub_u32_e32 v20, 29, v20
	v_and_b32_e32 v21, 7, v21
	v_cmp_eq_u16_e32 vcc, 0, v19
	v_cndmask_b32_e32 v18, v18, v21, vcc
	v_cndmask_b32_e32 v19, v19, v20, vcc
	v_lshlrev_b32_e32 v20, 24, v12
	v_mov_b32_e32 v21, 0x3b800000
	v_lshlrev_b32_e32 v18, 20, v18
	v_and_b32_e32 v20, 0x80000000, v20
	v_lshl_add_u32 v19, v19, 23, v21
	v_or3_b32 v18, v20, v19, v18
.LBB20_1796:
	s_or_b64 exec, exec, s[6:7]
	s_movk_i32 s4, 0x7f
	v_cmp_gt_i16_sdwa s[6:7], v8, s4 src0_sel:BYTE_0 src1_sel:DWORD
	s_mov_b64 s[4:5], 0
                                        ; implicit-def: $sgpr10
	s_and_saveexec_b64 s[8:9], s[6:7]
	s_xor_b64 s[6:7], exec, s[8:9]
	s_cbranch_execnz .LBB20_3845
; %bb.1797:
	s_or_saveexec_b64 s[6:7], s[6:7]
	v_mov_b32_e32 v19, s10
	s_xor_b64 exec, exec, s[6:7]
	s_cbranch_execnz .LBB20_3848
.LBB20_1798:
	s_or_b64 exec, exec, s[6:7]
	s_and_saveexec_b64 s[6:7], s[4:5]
	s_cbranch_execz .LBB20_1800
.LBB20_1799:
	v_and_b32_e32 v19, 7, v8
	v_ffbh_u32_e32 v21, v19
	v_min_u32_e32 v21, 32, v21
	v_lshrrev_b16_e32 v20, 3, v8
	v_subrev_u32_e32 v22, 28, v21
	v_and_b32_e32 v20, 15, v20
	v_lshlrev_b32_e32 v22, v22, v8
	v_sub_u32_e32 v21, 29, v21
	v_and_b32_e32 v22, 7, v22
	v_cmp_eq_u16_e32 vcc, 0, v20
	v_cndmask_b32_e32 v19, v19, v22, vcc
	v_cndmask_b32_e32 v20, v20, v21, vcc
	v_lshlrev_b32_e32 v21, 24, v8
	v_mov_b32_e32 v22, 0x3b800000
	v_lshlrev_b32_e32 v19, 20, v19
	v_and_b32_e32 v21, 0x80000000, v21
	v_lshl_add_u32 v20, v20, 23, v22
	v_or3_b32 v19, v21, v20, v19
.LBB20_1800:
	s_or_b64 exec, exec, s[6:7]
	flat_load_dwordx4 a[0:3], v[16:17] offset:368
	s_movk_i32 s4, 0x7f
                                        ; implicit-def: $sgpr10
	s_waitcnt vmcnt(0) lgkmcnt(0)
	v_mfma_f32_16x16x4f32 a[0:3], v18, v19, a[0:3]
	v_lshrrev_b32_e32 v19, 8, v12
	v_cmp_gt_i16_sdwa s[6:7], v19, s4 src0_sel:BYTE_0 src1_sel:DWORD
	s_mov_b64 s[4:5], 0
	s_and_saveexec_b64 s[8:9], s[6:7]
	s_xor_b64 s[6:7], exec, s[8:9]
	s_cbranch_execnz .LBB20_3849
; %bb.1801:
	s_or_saveexec_b64 s[6:7], s[6:7]
	v_mov_b32_e32 v18, s10
	s_xor_b64 exec, exec, s[6:7]
	s_cbranch_execnz .LBB20_3852
.LBB20_1802:
	s_or_b64 exec, exec, s[6:7]
	s_and_saveexec_b64 s[6:7], s[4:5]
	s_cbranch_execz .LBB20_1804
.LBB20_1803:
	v_bfe_u32 v18, v12, 8, 3
	v_ffbh_u32_e32 v21, v18
	v_min_u32_e32 v21, 32, v21
	v_lshrrev_b16_e32 v20, 3, v19
	v_subrev_u32_e32 v22, 28, v21
	v_and_b32_e32 v20, 15, v20
	v_lshlrev_b32_e32 v19, v22, v19
	v_sub_u32_e32 v21, 29, v21
	v_and_b32_e32 v19, 7, v19
	v_cmp_eq_u16_e32 vcc, 0, v20
	v_cndmask_b32_e32 v18, v18, v19, vcc
	v_cndmask_b32_e32 v19, v20, v21, vcc
	v_lshlrev_b32_e32 v20, 16, v12
	v_mov_b32_e32 v21, 0x3b800000
	v_lshlrev_b32_e32 v18, 20, v18
	v_and_b32_e32 v20, 0x80000000, v20
	v_lshl_add_u32 v19, v19, 23, v21
	v_or3_b32 v18, v20, v19, v18
.LBB20_1804:
	s_or_b64 exec, exec, s[6:7]
	v_lshrrev_b32_e32 v19, 8, v8
	s_movk_i32 s4, 0x7f
	v_cmp_gt_i16_sdwa s[6:7], v19, s4 src0_sel:BYTE_0 src1_sel:DWORD
	s_mov_b64 s[4:5], 0
                                        ; implicit-def: $sgpr10
	s_and_saveexec_b64 s[8:9], s[6:7]
	s_xor_b64 s[6:7], exec, s[8:9]
	s_cbranch_execnz .LBB20_3853
; %bb.1805:
	s_or_saveexec_b64 s[6:7], s[6:7]
	v_mov_b32_e32 v20, s10
	s_xor_b64 exec, exec, s[6:7]
	s_cbranch_execnz .LBB20_3856
.LBB20_1806:
	s_or_b64 exec, exec, s[6:7]
	s_and_saveexec_b64 s[6:7], s[4:5]
	s_cbranch_execz .LBB20_1808
.LBB20_1807:
	v_bfe_u32 v20, v8, 8, 3
	v_ffbh_u32_e32 v22, v20
	v_min_u32_e32 v22, 32, v22
	v_lshrrev_b16_e32 v21, 3, v19
	v_subrev_u32_e32 v23, 28, v22
	v_and_b32_e32 v21, 15, v21
	v_lshlrev_b32_e32 v19, v23, v19
	v_sub_u32_e32 v22, 29, v22
	v_and_b32_e32 v19, 7, v19
	v_cmp_eq_u16_e32 vcc, 0, v21
	v_cndmask_b32_e32 v19, v20, v19, vcc
	v_cndmask_b32_e32 v20, v21, v22, vcc
	v_lshlrev_b32_e32 v21, 16, v8
	v_mov_b32_e32 v22, 0x3b800000
	v_lshlrev_b32_e32 v19, 20, v19
	v_and_b32_e32 v21, 0x80000000, v21
	v_lshl_add_u32 v20, v20, 23, v22
	v_or3_b32 v20, v21, v20, v19
.LBB20_1808:
	s_or_b64 exec, exec, s[6:7]
	s_nop 0
	v_mfma_f32_16x16x4f32 a[0:3], v18, v20, a[0:3]
	s_movk_i32 s4, 0xff
	v_and_b32_sdwa v19, v12, s4 dst_sel:DWORD dst_unused:UNUSED_PAD src0_sel:WORD_1 src1_sel:DWORD
	s_movk_i32 s4, 0x7f
	v_cmp_lt_i16_e32 vcc, s4, v19
	s_mov_b64 s[4:5], 0
                                        ; implicit-def: $sgpr10
	s_and_saveexec_b64 s[6:7], vcc
	s_xor_b64 s[6:7], exec, s[6:7]
	s_cbranch_execnz .LBB20_3857
; %bb.1809:
	s_or_saveexec_b64 s[6:7], s[6:7]
	v_mov_b32_e32 v18, s10
	s_xor_b64 exec, exec, s[6:7]
	s_cbranch_execnz .LBB20_3860
.LBB20_1810:
	s_or_b64 exec, exec, s[6:7]
	s_and_saveexec_b64 s[6:7], s[4:5]
	s_cbranch_execz .LBB20_1812
.LBB20_1811:
	v_bfe_u32 v18, v12, 16, 3
	v_ffbh_u32_e32 v21, v18
	v_min_u32_e32 v21, 32, v21
	v_lshrrev_b32_e32 v19, 19, v12
	v_subrev_u32_e32 v22, 28, v21
	v_and_b32_e32 v19, 15, v19
	v_lshlrev_b32_sdwa v22, v22, v12 dst_sel:DWORD dst_unused:UNUSED_PAD src0_sel:DWORD src1_sel:WORD_1
	v_bfe_u32 v20, v12, 19, 4
	v_sub_u32_e32 v21, 29, v21
	v_and_b32_e32 v22, 7, v22
	v_cmp_eq_u16_e32 vcc, 0, v19
	v_cndmask_b32_e32 v18, v18, v22, vcc
	v_cndmask_b32_e32 v19, v20, v21, vcc
	v_lshlrev_b32_e32 v20, 8, v12
	v_mov_b32_e32 v21, 0x3b800000
	v_lshlrev_b32_e32 v18, 20, v18
	v_and_b32_e32 v20, 0x80000000, v20
	v_lshl_add_u32 v19, v19, 23, v21
	v_or3_b32 v18, v20, v19, v18
.LBB20_1812:
	s_or_b64 exec, exec, s[6:7]
	s_movk_i32 s4, 0xff
	v_and_b32_sdwa v19, v8, s4 dst_sel:DWORD dst_unused:UNUSED_PAD src0_sel:WORD_1 src1_sel:DWORD
	s_movk_i32 s4, 0x7f
	v_cmp_lt_i16_e32 vcc, s4, v19
	s_mov_b64 s[4:5], 0
                                        ; implicit-def: $sgpr10
	s_and_saveexec_b64 s[6:7], vcc
	s_xor_b64 s[6:7], exec, s[6:7]
	s_cbranch_execnz .LBB20_3861
; %bb.1813:
	s_or_saveexec_b64 s[6:7], s[6:7]
	v_mov_b32_e32 v20, s10
	s_xor_b64 exec, exec, s[6:7]
	s_cbranch_execnz .LBB20_3864
.LBB20_1814:
	s_or_b64 exec, exec, s[6:7]
	s_and_saveexec_b64 s[6:7], s[4:5]
	s_cbranch_execz .LBB20_1816
.LBB20_1815:
	v_bfe_u32 v19, v8, 16, 3
	v_ffbh_u32_e32 v22, v19
	v_min_u32_e32 v22, 32, v22
	v_lshrrev_b32_e32 v20, 19, v8
	v_subrev_u32_e32 v23, 28, v22
	v_and_b32_e32 v20, 15, v20
	v_lshlrev_b32_sdwa v23, v23, v8 dst_sel:DWORD dst_unused:UNUSED_PAD src0_sel:DWORD src1_sel:WORD_1
	v_bfe_u32 v21, v8, 19, 4
	v_sub_u32_e32 v22, 29, v22
	v_and_b32_e32 v23, 7, v23
	v_cmp_eq_u16_e32 vcc, 0, v20
	v_cndmask_b32_e32 v19, v19, v23, vcc
	v_cndmask_b32_e32 v20, v21, v22, vcc
	v_lshlrev_b32_e32 v21, 8, v8
	v_mov_b32_e32 v22, 0x3b800000
	v_lshlrev_b32_e32 v19, 20, v19
	v_and_b32_e32 v21, 0x80000000, v21
	v_lshl_add_u32 v20, v20, 23, v22
	v_or3_b32 v20, v21, v20, v19
.LBB20_1816:
	s_or_b64 exec, exec, s[6:7]
	s_nop 0
	v_mfma_f32_16x16x4f32 a[0:3], v18, v20, a[0:3]
	s_movk_i32 s4, 0x7f
	v_cmp_gt_i16_sdwa s[6:7], v12, s4 src0_sel:BYTE_3 src1_sel:DWORD
	s_mov_b64 s[4:5], 0
                                        ; implicit-def: $sgpr10
	s_and_saveexec_b64 s[8:9], s[6:7]
	s_xor_b64 s[6:7], exec, s[8:9]
	s_cbranch_execnz .LBB20_3865
; %bb.1817:
	s_or_saveexec_b64 s[6:7], s[6:7]
	v_mov_b32_e32 v18, s10
	s_xor_b64 exec, exec, s[6:7]
	s_cbranch_execnz .LBB20_3868
.LBB20_1818:
	s_or_b64 exec, exec, s[6:7]
	s_and_saveexec_b64 s[6:7], s[4:5]
	s_cbranch_execz .LBB20_1820
.LBB20_1819:
	v_bfe_u32 v18, v12, 24, 3
	v_ffbh_u32_e32 v22, v18
	v_min_u32_e32 v22, 32, v22
	v_lshrrev_b32_e32 v20, 27, v12
	v_subrev_u32_e32 v23, 28, v22
	v_and_b32_e32 v19, 0x80000000, v12
	v_and_b32_e32 v20, 15, v20
	v_bfe_u32 v21, v12, 27, 4
	v_lshlrev_b32_sdwa v12, v23, v12 dst_sel:DWORD dst_unused:UNUSED_PAD src0_sel:DWORD src1_sel:BYTE_3
	v_sub_u32_e32 v22, 29, v22
	v_and_b32_e32 v12, 7, v12
	v_cmp_eq_u16_e32 vcc, 0, v20
	v_cndmask_b32_e32 v12, v18, v12, vcc
	v_cndmask_b32_e32 v18, v21, v22, vcc
	v_mov_b32_e32 v20, 0x3b800000
	v_lshlrev_b32_e32 v12, 20, v12
	v_lshl_add_u32 v18, v18, 23, v20
	v_or3_b32 v18, v19, v18, v12
.LBB20_1820:
	s_or_b64 exec, exec, s[6:7]
	s_movk_i32 s4, 0x7f
	v_cmp_gt_i16_sdwa s[6:7], v8, s4 src0_sel:BYTE_3 src1_sel:DWORD
	s_mov_b64 s[4:5], 0
                                        ; implicit-def: $sgpr10
	s_and_saveexec_b64 s[8:9], s[6:7]
	s_xor_b64 s[6:7], exec, s[8:9]
	s_cbranch_execnz .LBB20_3869
; %bb.1821:
	s_or_saveexec_b64 s[6:7], s[6:7]
	v_mov_b32_e32 v12, s10
	s_xor_b64 exec, exec, s[6:7]
	s_cbranch_execnz .LBB20_3872
.LBB20_1822:
	s_or_b64 exec, exec, s[6:7]
	s_and_saveexec_b64 s[6:7], s[4:5]
	s_cbranch_execz .LBB20_1824
.LBB20_1823:
	v_bfe_u32 v12, v8, 24, 3
	v_ffbh_u32_e32 v22, v12
	v_min_u32_e32 v22, 32, v22
	v_lshrrev_b32_e32 v20, 27, v8
	v_subrev_u32_e32 v23, 28, v22
	v_and_b32_e32 v19, 0x80000000, v8
	v_and_b32_e32 v20, 15, v20
	v_bfe_u32 v21, v8, 27, 4
	v_lshlrev_b32_sdwa v8, v23, v8 dst_sel:DWORD dst_unused:UNUSED_PAD src0_sel:DWORD src1_sel:BYTE_3
	v_sub_u32_e32 v22, 29, v22
	v_and_b32_e32 v8, 7, v8
	v_cmp_eq_u16_e32 vcc, 0, v20
	v_cndmask_b32_e32 v8, v12, v8, vcc
	v_cndmask_b32_e32 v12, v21, v22, vcc
	v_mov_b32_e32 v20, 0x3b800000
	v_lshlrev_b32_e32 v8, 20, v8
	v_lshl_add_u32 v12, v12, 23, v20
	v_or3_b32 v12, v19, v12, v8
.LBB20_1824:
	s_or_b64 exec, exec, s[6:7]
	s_nop 0
	v_mfma_f32_16x16x4f32 a[0:3], v18, v12, a[0:3]
	s_movk_i32 s4, 0x7f
	v_cmp_gt_i16_sdwa s[6:7], v13, s4 src0_sel:BYTE_0 src1_sel:DWORD
	s_mov_b64 s[4:5], 0
                                        ; implicit-def: $sgpr10
	s_and_saveexec_b64 s[8:9], s[6:7]
	s_xor_b64 s[6:7], exec, s[8:9]
	s_cbranch_execnz .LBB20_3873
; %bb.1825:
	s_or_saveexec_b64 s[6:7], s[6:7]
	v_mov_b32_e32 v8, s10
	s_xor_b64 exec, exec, s[6:7]
	s_cbranch_execnz .LBB20_3876
.LBB20_1826:
	s_or_b64 exec, exec, s[6:7]
	s_and_saveexec_b64 s[6:7], s[4:5]
	s_cbranch_execz .LBB20_1828
.LBB20_1827:
	v_and_b32_e32 v8, 7, v13
	v_ffbh_u32_e32 v18, v8
	v_min_u32_e32 v18, 32, v18
	v_lshrrev_b16_e32 v12, 3, v13
	v_subrev_u32_e32 v19, 28, v18
	v_and_b32_e32 v12, 15, v12
	v_lshlrev_b32_e32 v19, v19, v13
	v_sub_u32_e32 v18, 29, v18
	v_and_b32_e32 v19, 7, v19
	v_cmp_eq_u16_e32 vcc, 0, v12
	v_cndmask_b32_e32 v8, v8, v19, vcc
	v_cndmask_b32_e32 v12, v12, v18, vcc
	v_lshlrev_b32_e32 v18, 24, v13
	v_mov_b32_e32 v19, 0x3b800000
	v_lshlrev_b32_e32 v8, 20, v8
	v_and_b32_e32 v18, 0x80000000, v18
	v_lshl_add_u32 v12, v12, 23, v19
	v_or3_b32 v8, v18, v12, v8
.LBB20_1828:
	s_or_b64 exec, exec, s[6:7]
	s_movk_i32 s4, 0x7f
	v_cmp_gt_i16_sdwa s[6:7], v9, s4 src0_sel:BYTE_0 src1_sel:DWORD
	s_mov_b64 s[4:5], 0
                                        ; implicit-def: $sgpr10
	s_and_saveexec_b64 s[8:9], s[6:7]
	s_xor_b64 s[6:7], exec, s[8:9]
	s_cbranch_execnz .LBB20_3877
; %bb.1829:
	s_or_saveexec_b64 s[6:7], s[6:7]
	v_mov_b32_e32 v12, s10
	s_xor_b64 exec, exec, s[6:7]
	s_cbranch_execnz .LBB20_3880
.LBB20_1830:
	s_or_b64 exec, exec, s[6:7]
	s_and_saveexec_b64 s[6:7], s[4:5]
	s_cbranch_execz .LBB20_1832
.LBB20_1831:
	v_and_b32_e32 v12, 7, v9
	v_ffbh_u32_e32 v19, v12
	v_min_u32_e32 v19, 32, v19
	v_lshrrev_b16_e32 v18, 3, v9
	v_subrev_u32_e32 v20, 28, v19
	v_and_b32_e32 v18, 15, v18
	v_lshlrev_b32_e32 v20, v20, v9
	v_sub_u32_e32 v19, 29, v19
	v_and_b32_e32 v20, 7, v20
	v_cmp_eq_u16_e32 vcc, 0, v18
	v_cndmask_b32_e32 v12, v12, v20, vcc
	v_cndmask_b32_e32 v18, v18, v19, vcc
	v_lshlrev_b32_e32 v19, 24, v9
	v_mov_b32_e32 v20, 0x3b800000
	v_lshlrev_b32_e32 v12, 20, v12
	v_and_b32_e32 v19, 0x80000000, v19
	v_lshl_add_u32 v18, v18, 23, v20
	v_or3_b32 v12, v19, v18, v12
.LBB20_1832:
	s_or_b64 exec, exec, s[6:7]
	s_nop 0
	v_mfma_f32_16x16x4f32 a[0:3], v8, v12, a[0:3]
	v_lshrrev_b32_e32 v12, 8, v13
	s_movk_i32 s4, 0x7f
	v_cmp_gt_i16_sdwa s[6:7], v12, s4 src0_sel:BYTE_0 src1_sel:DWORD
	s_mov_b64 s[4:5], 0
                                        ; implicit-def: $sgpr10
	s_and_saveexec_b64 s[8:9], s[6:7]
	s_xor_b64 s[6:7], exec, s[8:9]
	s_cbranch_execnz .LBB20_3881
; %bb.1833:
	s_or_saveexec_b64 s[6:7], s[6:7]
	v_mov_b32_e32 v8, s10
	s_xor_b64 exec, exec, s[6:7]
	s_cbranch_execnz .LBB20_3884
.LBB20_1834:
	s_or_b64 exec, exec, s[6:7]
	s_and_saveexec_b64 s[6:7], s[4:5]
	s_cbranch_execz .LBB20_1836
.LBB20_1835:
	v_bfe_u32 v8, v13, 8, 3
	v_ffbh_u32_e32 v19, v8
	v_min_u32_e32 v19, 32, v19
	v_lshrrev_b16_e32 v18, 3, v12
	v_subrev_u32_e32 v20, 28, v19
	v_and_b32_e32 v18, 15, v18
	v_lshlrev_b32_e32 v12, v20, v12
	v_sub_u32_e32 v19, 29, v19
	v_and_b32_e32 v12, 7, v12
	v_cmp_eq_u16_e32 vcc, 0, v18
	v_cndmask_b32_e32 v8, v8, v12, vcc
	v_cndmask_b32_e32 v12, v18, v19, vcc
	v_lshlrev_b32_e32 v18, 16, v13
	v_mov_b32_e32 v19, 0x3b800000
	v_lshlrev_b32_e32 v8, 20, v8
	v_and_b32_e32 v18, 0x80000000, v18
	v_lshl_add_u32 v12, v12, 23, v19
	v_or3_b32 v8, v18, v12, v8
.LBB20_1836:
	s_or_b64 exec, exec, s[6:7]
	v_lshrrev_b32_e32 v12, 8, v9
	s_movk_i32 s4, 0x7f
	v_cmp_gt_i16_sdwa s[6:7], v12, s4 src0_sel:BYTE_0 src1_sel:DWORD
	s_mov_b64 s[4:5], 0
                                        ; implicit-def: $sgpr10
	s_and_saveexec_b64 s[8:9], s[6:7]
	s_xor_b64 s[6:7], exec, s[8:9]
	s_cbranch_execnz .LBB20_3885
; %bb.1837:
	s_or_saveexec_b64 s[6:7], s[6:7]
	v_mov_b32_e32 v18, s10
	s_xor_b64 exec, exec, s[6:7]
	s_cbranch_execnz .LBB20_3888
.LBB20_1838:
	s_or_b64 exec, exec, s[6:7]
	s_and_saveexec_b64 s[6:7], s[4:5]
	s_cbranch_execz .LBB20_1840
.LBB20_1839:
	v_bfe_u32 v18, v9, 8, 3
	v_ffbh_u32_e32 v20, v18
	v_min_u32_e32 v20, 32, v20
	v_lshrrev_b16_e32 v19, 3, v12
	v_subrev_u32_e32 v21, 28, v20
	v_and_b32_e32 v19, 15, v19
	v_lshlrev_b32_e32 v12, v21, v12
	v_sub_u32_e32 v20, 29, v20
	v_and_b32_e32 v12, 7, v12
	v_cmp_eq_u16_e32 vcc, 0, v19
	v_cndmask_b32_e32 v12, v18, v12, vcc
	v_cndmask_b32_e32 v18, v19, v20, vcc
	v_lshlrev_b32_e32 v19, 16, v9
	v_mov_b32_e32 v20, 0x3b800000
	v_lshlrev_b32_e32 v12, 20, v12
	v_and_b32_e32 v19, 0x80000000, v19
	v_lshl_add_u32 v18, v18, 23, v20
	v_or3_b32 v18, v19, v18, v12
.LBB20_1840:
	s_or_b64 exec, exec, s[6:7]
	s_nop 0
	v_mfma_f32_16x16x4f32 a[0:3], v8, v18, a[0:3]
	s_movk_i32 s4, 0xff
	v_and_b32_sdwa v12, v13, s4 dst_sel:DWORD dst_unused:UNUSED_PAD src0_sel:WORD_1 src1_sel:DWORD
	s_movk_i32 s4, 0x7f
	v_cmp_lt_i16_e32 vcc, s4, v12
	s_mov_b64 s[4:5], 0
                                        ; implicit-def: $sgpr10
	s_and_saveexec_b64 s[6:7], vcc
	s_xor_b64 s[6:7], exec, s[6:7]
	s_cbranch_execnz .LBB20_3889
; %bb.1841:
	s_or_saveexec_b64 s[6:7], s[6:7]
	v_mov_b32_e32 v8, s10
	s_xor_b64 exec, exec, s[6:7]
	s_cbranch_execnz .LBB20_3892
.LBB20_1842:
	s_or_b64 exec, exec, s[6:7]
	s_and_saveexec_b64 s[6:7], s[4:5]
	s_cbranch_execz .LBB20_1844
.LBB20_1843:
	v_bfe_u32 v8, v13, 16, 3
	v_ffbh_u32_e32 v19, v8
	v_min_u32_e32 v19, 32, v19
	v_lshrrev_b32_e32 v12, 19, v13
	v_subrev_u32_e32 v20, 28, v19
	v_and_b32_e32 v12, 15, v12
	v_lshlrev_b32_sdwa v20, v20, v13 dst_sel:DWORD dst_unused:UNUSED_PAD src0_sel:DWORD src1_sel:WORD_1
	v_bfe_u32 v18, v13, 19, 4
	v_sub_u32_e32 v19, 29, v19
	v_and_b32_e32 v20, 7, v20
	v_cmp_eq_u16_e32 vcc, 0, v12
	v_cndmask_b32_e32 v8, v8, v20, vcc
	v_cndmask_b32_e32 v12, v18, v19, vcc
	v_lshlrev_b32_e32 v18, 8, v13
	v_mov_b32_e32 v19, 0x3b800000
	v_lshlrev_b32_e32 v8, 20, v8
	v_and_b32_e32 v18, 0x80000000, v18
	v_lshl_add_u32 v12, v12, 23, v19
	v_or3_b32 v8, v18, v12, v8
.LBB20_1844:
	s_or_b64 exec, exec, s[6:7]
	s_movk_i32 s4, 0xff
	v_and_b32_sdwa v12, v9, s4 dst_sel:DWORD dst_unused:UNUSED_PAD src0_sel:WORD_1 src1_sel:DWORD
	s_movk_i32 s4, 0x7f
	v_cmp_lt_i16_e32 vcc, s4, v12
	s_mov_b64 s[4:5], 0
                                        ; implicit-def: $sgpr10
	s_and_saveexec_b64 s[6:7], vcc
	s_xor_b64 s[6:7], exec, s[6:7]
	s_cbranch_execnz .LBB20_3893
; %bb.1845:
	s_or_saveexec_b64 s[6:7], s[6:7]
	v_mov_b32_e32 v18, s10
	s_xor_b64 exec, exec, s[6:7]
	s_cbranch_execnz .LBB20_3896
.LBB20_1846:
	s_or_b64 exec, exec, s[6:7]
	s_and_saveexec_b64 s[6:7], s[4:5]
	s_cbranch_execz .LBB20_1848
.LBB20_1847:
	v_bfe_u32 v12, v9, 16, 3
	v_ffbh_u32_e32 v20, v12
	v_min_u32_e32 v20, 32, v20
	v_lshrrev_b32_e32 v18, 19, v9
	v_subrev_u32_e32 v21, 28, v20
	v_and_b32_e32 v18, 15, v18
	v_lshlrev_b32_sdwa v21, v21, v9 dst_sel:DWORD dst_unused:UNUSED_PAD src0_sel:DWORD src1_sel:WORD_1
	v_bfe_u32 v19, v9, 19, 4
	v_sub_u32_e32 v20, 29, v20
	v_and_b32_e32 v21, 7, v21
	v_cmp_eq_u16_e32 vcc, 0, v18
	v_cndmask_b32_e32 v12, v12, v21, vcc
	v_cndmask_b32_e32 v18, v19, v20, vcc
	v_lshlrev_b32_e32 v19, 8, v9
	v_mov_b32_e32 v20, 0x3b800000
	v_lshlrev_b32_e32 v12, 20, v12
	v_and_b32_e32 v19, 0x80000000, v19
	v_lshl_add_u32 v18, v18, 23, v20
	v_or3_b32 v18, v19, v18, v12
.LBB20_1848:
	s_or_b64 exec, exec, s[6:7]
	s_nop 0
	v_mfma_f32_16x16x4f32 a[0:3], v8, v18, a[0:3]
	s_movk_i32 s4, 0x7f
	v_cmp_gt_i16_sdwa s[6:7], v13, s4 src0_sel:BYTE_3 src1_sel:DWORD
	s_mov_b64 s[4:5], 0
                                        ; implicit-def: $sgpr10
	s_and_saveexec_b64 s[8:9], s[6:7]
	s_xor_b64 s[6:7], exec, s[8:9]
	s_cbranch_execnz .LBB20_3897
; %bb.1849:
	s_or_saveexec_b64 s[6:7], s[6:7]
	v_mov_b32_e32 v8, s10
	s_xor_b64 exec, exec, s[6:7]
	s_cbranch_execnz .LBB20_3900
.LBB20_1850:
	s_or_b64 exec, exec, s[6:7]
	s_and_saveexec_b64 s[6:7], s[4:5]
	s_cbranch_execz .LBB20_1852
.LBB20_1851:
	v_bfe_u32 v8, v13, 24, 3
	v_ffbh_u32_e32 v20, v8
	v_min_u32_e32 v20, 32, v20
	v_lshrrev_b32_e32 v18, 27, v13
	v_subrev_u32_e32 v21, 28, v20
	v_and_b32_e32 v12, 0x80000000, v13
	v_and_b32_e32 v18, 15, v18
	v_bfe_u32 v19, v13, 27, 4
	v_lshlrev_b32_sdwa v13, v21, v13 dst_sel:DWORD dst_unused:UNUSED_PAD src0_sel:DWORD src1_sel:BYTE_3
	v_sub_u32_e32 v20, 29, v20
	v_and_b32_e32 v13, 7, v13
	v_cmp_eq_u16_e32 vcc, 0, v18
	v_cndmask_b32_e32 v8, v8, v13, vcc
	v_cndmask_b32_e32 v13, v19, v20, vcc
	v_mov_b32_e32 v18, 0x3b800000
	v_lshlrev_b32_e32 v8, 20, v8
	v_lshl_add_u32 v13, v13, 23, v18
	v_or3_b32 v8, v12, v13, v8
.LBB20_1852:
	s_or_b64 exec, exec, s[6:7]
	s_movk_i32 s4, 0x7f
	v_cmp_gt_i16_sdwa s[6:7], v9, s4 src0_sel:BYTE_3 src1_sel:DWORD
	s_mov_b64 s[4:5], 0
                                        ; implicit-def: $sgpr10
	s_and_saveexec_b64 s[8:9], s[6:7]
	s_xor_b64 s[6:7], exec, s[8:9]
	s_cbranch_execnz .LBB20_3901
; %bb.1853:
	s_or_saveexec_b64 s[6:7], s[6:7]
	v_mov_b32_e32 v12, s10
	s_xor_b64 exec, exec, s[6:7]
	s_cbranch_execnz .LBB20_3904
.LBB20_1854:
	s_or_b64 exec, exec, s[6:7]
	s_and_saveexec_b64 s[6:7], s[4:5]
	s_cbranch_execz .LBB20_1856
.LBB20_1855:
	v_bfe_u32 v12, v9, 24, 3
	v_ffbh_u32_e32 v20, v12
	v_min_u32_e32 v20, 32, v20
	v_lshrrev_b32_e32 v18, 27, v9
	v_subrev_u32_e32 v21, 28, v20
	v_and_b32_e32 v13, 0x80000000, v9
	v_and_b32_e32 v18, 15, v18
	v_bfe_u32 v19, v9, 27, 4
	v_lshlrev_b32_sdwa v9, v21, v9 dst_sel:DWORD dst_unused:UNUSED_PAD src0_sel:DWORD src1_sel:BYTE_3
	v_sub_u32_e32 v20, 29, v20
	v_and_b32_e32 v9, 7, v9
	v_cmp_eq_u16_e32 vcc, 0, v18
	v_cndmask_b32_e32 v9, v12, v9, vcc
	v_cndmask_b32_e32 v12, v19, v20, vcc
	v_mov_b32_e32 v18, 0x3b800000
	v_lshlrev_b32_e32 v9, 20, v9
	v_lshl_add_u32 v12, v12, 23, v18
	v_or3_b32 v12, v13, v12, v9
.LBB20_1856:
	s_or_b64 exec, exec, s[6:7]
	s_nop 0
	v_mfma_f32_16x16x4f32 a[0:3], v8, v12, a[0:3]
	s_movk_i32 s4, 0x7f
	v_cmp_gt_i16_sdwa s[6:7], v14, s4 src0_sel:BYTE_0 src1_sel:DWORD
	s_mov_b64 s[4:5], 0
                                        ; implicit-def: $sgpr10
	s_and_saveexec_b64 s[8:9], s[6:7]
	s_xor_b64 s[6:7], exec, s[8:9]
	s_cbranch_execnz .LBB20_3905
; %bb.1857:
	s_or_saveexec_b64 s[6:7], s[6:7]
	v_mov_b32_e32 v8, s10
	s_xor_b64 exec, exec, s[6:7]
	s_cbranch_execnz .LBB20_3908
.LBB20_1858:
	s_or_b64 exec, exec, s[6:7]
	s_and_saveexec_b64 s[6:7], s[4:5]
	s_cbranch_execz .LBB20_1860
.LBB20_1859:
	v_and_b32_e32 v8, 7, v14
	v_ffbh_u32_e32 v12, v8
	v_min_u32_e32 v12, 32, v12
	v_lshrrev_b16_e32 v9, 3, v14
	v_subrev_u32_e32 v13, 28, v12
	v_and_b32_e32 v9, 15, v9
	v_lshlrev_b32_e32 v13, v13, v14
	v_sub_u32_e32 v12, 29, v12
	v_and_b32_e32 v13, 7, v13
	v_cmp_eq_u16_e32 vcc, 0, v9
	v_cndmask_b32_e32 v8, v8, v13, vcc
	v_cndmask_b32_e32 v9, v9, v12, vcc
	v_lshlrev_b32_e32 v12, 24, v14
	v_mov_b32_e32 v13, 0x3b800000
	v_lshlrev_b32_e32 v8, 20, v8
	v_and_b32_e32 v12, 0x80000000, v12
	v_lshl_add_u32 v9, v9, 23, v13
	v_or3_b32 v8, v12, v9, v8
.LBB20_1860:
	s_or_b64 exec, exec, s[6:7]
	s_movk_i32 s4, 0x7f
	v_cmp_gt_i16_sdwa s[6:7], v10, s4 src0_sel:BYTE_0 src1_sel:DWORD
	s_mov_b64 s[4:5], 0
                                        ; implicit-def: $sgpr10
	s_and_saveexec_b64 s[8:9], s[6:7]
	s_xor_b64 s[6:7], exec, s[8:9]
	s_cbranch_execnz .LBB20_3909
; %bb.1861:
	s_or_saveexec_b64 s[6:7], s[6:7]
	v_mov_b32_e32 v9, s10
	s_xor_b64 exec, exec, s[6:7]
	s_cbranch_execnz .LBB20_3912
.LBB20_1862:
	s_or_b64 exec, exec, s[6:7]
	s_and_saveexec_b64 s[6:7], s[4:5]
	s_cbranch_execz .LBB20_1864
.LBB20_1863:
	v_and_b32_e32 v9, 7, v10
	v_ffbh_u32_e32 v13, v9
	v_min_u32_e32 v13, 32, v13
	v_lshrrev_b16_e32 v12, 3, v10
	v_subrev_u32_e32 v18, 28, v13
	v_and_b32_e32 v12, 15, v12
	v_lshlrev_b32_e32 v18, v18, v10
	v_sub_u32_e32 v13, 29, v13
	v_and_b32_e32 v18, 7, v18
	v_cmp_eq_u16_e32 vcc, 0, v12
	v_cndmask_b32_e32 v9, v9, v18, vcc
	v_cndmask_b32_e32 v12, v12, v13, vcc
	v_lshlrev_b32_e32 v13, 24, v10
	v_mov_b32_e32 v18, 0x3b800000
	v_lshlrev_b32_e32 v9, 20, v9
	v_and_b32_e32 v13, 0x80000000, v13
	v_lshl_add_u32 v12, v12, 23, v18
	v_or3_b32 v9, v13, v12, v9
.LBB20_1864:
	s_or_b64 exec, exec, s[6:7]
	s_nop 0
	v_mfma_f32_16x16x4f32 a[0:3], v8, v9, a[0:3]
	v_lshrrev_b32_e32 v9, 8, v14
	s_movk_i32 s4, 0x7f
	v_cmp_gt_i16_sdwa s[6:7], v9, s4 src0_sel:BYTE_0 src1_sel:DWORD
	s_mov_b64 s[4:5], 0
                                        ; implicit-def: $sgpr10
	s_and_saveexec_b64 s[8:9], s[6:7]
	s_xor_b64 s[6:7], exec, s[8:9]
	s_cbranch_execnz .LBB20_3913
; %bb.1865:
	s_or_saveexec_b64 s[6:7], s[6:7]
	v_mov_b32_e32 v8, s10
	s_xor_b64 exec, exec, s[6:7]
	s_cbranch_execnz .LBB20_3916
.LBB20_1866:
	s_or_b64 exec, exec, s[6:7]
	s_and_saveexec_b64 s[6:7], s[4:5]
	s_cbranch_execz .LBB20_1868
.LBB20_1867:
	v_bfe_u32 v8, v14, 8, 3
	v_ffbh_u32_e32 v13, v8
	v_min_u32_e32 v13, 32, v13
	v_lshrrev_b16_e32 v12, 3, v9
	v_subrev_u32_e32 v18, 28, v13
	v_and_b32_e32 v12, 15, v12
	v_lshlrev_b32_e32 v9, v18, v9
	v_sub_u32_e32 v13, 29, v13
	v_and_b32_e32 v9, 7, v9
	v_cmp_eq_u16_e32 vcc, 0, v12
	v_cndmask_b32_e32 v8, v8, v9, vcc
	v_cndmask_b32_e32 v9, v12, v13, vcc
	v_lshlrev_b32_e32 v12, 16, v14
	v_mov_b32_e32 v13, 0x3b800000
	v_lshlrev_b32_e32 v8, 20, v8
	v_and_b32_e32 v12, 0x80000000, v12
	v_lshl_add_u32 v9, v9, 23, v13
	v_or3_b32 v8, v12, v9, v8
.LBB20_1868:
	s_or_b64 exec, exec, s[6:7]
	v_lshrrev_b32_e32 v9, 8, v10
	s_movk_i32 s4, 0x7f
	v_cmp_gt_i16_sdwa s[6:7], v9, s4 src0_sel:BYTE_0 src1_sel:DWORD
	s_mov_b64 s[4:5], 0
                                        ; implicit-def: $sgpr10
	s_and_saveexec_b64 s[8:9], s[6:7]
	s_xor_b64 s[6:7], exec, s[8:9]
	s_cbranch_execnz .LBB20_3917
; %bb.1869:
	s_or_saveexec_b64 s[6:7], s[6:7]
	v_mov_b32_e32 v12, s10
	s_xor_b64 exec, exec, s[6:7]
	s_cbranch_execnz .LBB20_3920
.LBB20_1870:
	s_or_b64 exec, exec, s[6:7]
	s_and_saveexec_b64 s[6:7], s[4:5]
	s_cbranch_execz .LBB20_1872
.LBB20_1871:
	v_bfe_u32 v12, v10, 8, 3
	v_ffbh_u32_e32 v18, v12
	v_min_u32_e32 v18, 32, v18
	v_lshrrev_b16_e32 v13, 3, v9
	v_subrev_u32_e32 v19, 28, v18
	v_and_b32_e32 v13, 15, v13
	v_lshlrev_b32_e32 v9, v19, v9
	v_sub_u32_e32 v18, 29, v18
	v_and_b32_e32 v9, 7, v9
	v_cmp_eq_u16_e32 vcc, 0, v13
	v_cndmask_b32_e32 v9, v12, v9, vcc
	v_cndmask_b32_e32 v12, v13, v18, vcc
	v_lshlrev_b32_e32 v13, 16, v10
	v_mov_b32_e32 v18, 0x3b800000
	v_lshlrev_b32_e32 v9, 20, v9
	v_and_b32_e32 v13, 0x80000000, v13
	v_lshl_add_u32 v12, v12, 23, v18
	v_or3_b32 v12, v13, v12, v9
.LBB20_1872:
	s_or_b64 exec, exec, s[6:7]
	s_nop 0
	v_mfma_f32_16x16x4f32 a[0:3], v8, v12, a[0:3]
	s_movk_i32 s4, 0xff
	v_and_b32_sdwa v9, v14, s4 dst_sel:DWORD dst_unused:UNUSED_PAD src0_sel:WORD_1 src1_sel:DWORD
	s_movk_i32 s4, 0x7f
	v_cmp_lt_i16_e32 vcc, s4, v9
	s_mov_b64 s[4:5], 0
                                        ; implicit-def: $sgpr10
	s_and_saveexec_b64 s[6:7], vcc
	s_xor_b64 s[6:7], exec, s[6:7]
	s_cbranch_execnz .LBB20_3921
; %bb.1873:
	s_or_saveexec_b64 s[6:7], s[6:7]
	v_mov_b32_e32 v8, s10
	s_xor_b64 exec, exec, s[6:7]
	s_cbranch_execnz .LBB20_3924
.LBB20_1874:
	s_or_b64 exec, exec, s[6:7]
	s_and_saveexec_b64 s[6:7], s[4:5]
	s_cbranch_execz .LBB20_1876
.LBB20_1875:
	v_bfe_u32 v8, v14, 16, 3
	v_ffbh_u32_e32 v13, v8
	v_min_u32_e32 v13, 32, v13
	v_lshrrev_b32_e32 v9, 19, v14
	v_subrev_u32_e32 v18, 28, v13
	v_and_b32_e32 v9, 15, v9
	v_lshlrev_b32_sdwa v18, v18, v14 dst_sel:DWORD dst_unused:UNUSED_PAD src0_sel:DWORD src1_sel:WORD_1
	v_bfe_u32 v12, v14, 19, 4
	v_sub_u32_e32 v13, 29, v13
	v_and_b32_e32 v18, 7, v18
	v_cmp_eq_u16_e32 vcc, 0, v9
	v_cndmask_b32_e32 v8, v8, v18, vcc
	v_cndmask_b32_e32 v9, v12, v13, vcc
	v_lshlrev_b32_e32 v12, 8, v14
	v_mov_b32_e32 v13, 0x3b800000
	v_lshlrev_b32_e32 v8, 20, v8
	v_and_b32_e32 v12, 0x80000000, v12
	v_lshl_add_u32 v9, v9, 23, v13
	v_or3_b32 v8, v12, v9, v8
.LBB20_1876:
	s_or_b64 exec, exec, s[6:7]
	s_movk_i32 s4, 0xff
	v_and_b32_sdwa v9, v10, s4 dst_sel:DWORD dst_unused:UNUSED_PAD src0_sel:WORD_1 src1_sel:DWORD
	s_movk_i32 s4, 0x7f
	v_cmp_lt_i16_e32 vcc, s4, v9
	s_mov_b64 s[4:5], 0
                                        ; implicit-def: $sgpr10
	s_and_saveexec_b64 s[6:7], vcc
	s_xor_b64 s[6:7], exec, s[6:7]
	s_cbranch_execnz .LBB20_3925
; %bb.1877:
	s_or_saveexec_b64 s[6:7], s[6:7]
	v_mov_b32_e32 v12, s10
	s_xor_b64 exec, exec, s[6:7]
	s_cbranch_execnz .LBB20_3928
.LBB20_1878:
	s_or_b64 exec, exec, s[6:7]
	s_and_saveexec_b64 s[6:7], s[4:5]
	s_cbranch_execz .LBB20_1880
.LBB20_1879:
	v_bfe_u32 v9, v10, 16, 3
	v_ffbh_u32_e32 v18, v9
	v_min_u32_e32 v18, 32, v18
	v_lshrrev_b32_e32 v12, 19, v10
	v_subrev_u32_e32 v19, 28, v18
	v_and_b32_e32 v12, 15, v12
	v_lshlrev_b32_sdwa v19, v19, v10 dst_sel:DWORD dst_unused:UNUSED_PAD src0_sel:DWORD src1_sel:WORD_1
	v_bfe_u32 v13, v10, 19, 4
	v_sub_u32_e32 v18, 29, v18
	v_and_b32_e32 v19, 7, v19
	v_cmp_eq_u16_e32 vcc, 0, v12
	v_cndmask_b32_e32 v9, v9, v19, vcc
	v_cndmask_b32_e32 v12, v13, v18, vcc
	v_lshlrev_b32_e32 v13, 8, v10
	v_mov_b32_e32 v18, 0x3b800000
	v_lshlrev_b32_e32 v9, 20, v9
	v_and_b32_e32 v13, 0x80000000, v13
	v_lshl_add_u32 v12, v12, 23, v18
	v_or3_b32 v12, v13, v12, v9
.LBB20_1880:
	s_or_b64 exec, exec, s[6:7]
	s_nop 0
	v_mfma_f32_16x16x4f32 a[0:3], v8, v12, a[0:3]
	s_movk_i32 s4, 0x7f
	v_cmp_gt_i16_sdwa s[6:7], v14, s4 src0_sel:BYTE_3 src1_sel:DWORD
	s_mov_b64 s[4:5], 0
                                        ; implicit-def: $sgpr10
	s_and_saveexec_b64 s[8:9], s[6:7]
	s_xor_b64 s[6:7], exec, s[8:9]
	s_cbranch_execnz .LBB20_3929
; %bb.1881:
	s_or_saveexec_b64 s[6:7], s[6:7]
	v_mov_b32_e32 v8, s10
	s_xor_b64 exec, exec, s[6:7]
	s_cbranch_execnz .LBB20_3932
.LBB20_1882:
	s_or_b64 exec, exec, s[6:7]
	s_and_saveexec_b64 s[6:7], s[4:5]
	s_cbranch_execz .LBB20_1884
.LBB20_1883:
	v_bfe_u32 v8, v14, 24, 3
	v_ffbh_u32_e32 v18, v8
	v_min_u32_e32 v18, 32, v18
	v_lshrrev_b32_e32 v12, 27, v14
	v_subrev_u32_e32 v19, 28, v18
	v_and_b32_e32 v9, 0x80000000, v14
	v_and_b32_e32 v12, 15, v12
	v_bfe_u32 v13, v14, 27, 4
	v_lshlrev_b32_sdwa v14, v19, v14 dst_sel:DWORD dst_unused:UNUSED_PAD src0_sel:DWORD src1_sel:BYTE_3
	v_sub_u32_e32 v18, 29, v18
	v_and_b32_e32 v14, 7, v14
	v_cmp_eq_u16_e32 vcc, 0, v12
	v_cndmask_b32_e32 v8, v8, v14, vcc
	v_cndmask_b32_e32 v12, v13, v18, vcc
	v_mov_b32_e32 v13, 0x3b800000
	v_lshlrev_b32_e32 v8, 20, v8
	v_lshl_add_u32 v12, v12, 23, v13
	v_or3_b32 v8, v9, v12, v8
.LBB20_1884:
	s_or_b64 exec, exec, s[6:7]
	s_movk_i32 s4, 0x7f
	v_cmp_gt_i16_sdwa s[6:7], v10, s4 src0_sel:BYTE_3 src1_sel:DWORD
	s_mov_b64 s[4:5], 0
                                        ; implicit-def: $sgpr10
	s_and_saveexec_b64 s[8:9], s[6:7]
	s_xor_b64 s[6:7], exec, s[8:9]
	s_cbranch_execnz .LBB20_3933
; %bb.1885:
	s_or_saveexec_b64 s[6:7], s[6:7]
	v_mov_b32_e32 v9, s10
	s_xor_b64 exec, exec, s[6:7]
	s_cbranch_execnz .LBB20_3936
.LBB20_1886:
	s_or_b64 exec, exec, s[6:7]
	s_and_saveexec_b64 s[6:7], s[4:5]
	s_cbranch_execz .LBB20_1888
.LBB20_1887:
	v_bfe_u32 v9, v10, 24, 3
	v_ffbh_u32_e32 v18, v9
	v_min_u32_e32 v18, 32, v18
	v_lshrrev_b32_e32 v13, 27, v10
	v_subrev_u32_e32 v19, 28, v18
	v_and_b32_e32 v12, 0x80000000, v10
	v_and_b32_e32 v13, 15, v13
	v_bfe_u32 v14, v10, 27, 4
	v_lshlrev_b32_sdwa v10, v19, v10 dst_sel:DWORD dst_unused:UNUSED_PAD src0_sel:DWORD src1_sel:BYTE_3
	v_sub_u32_e32 v18, 29, v18
	v_and_b32_e32 v10, 7, v10
	v_cmp_eq_u16_e32 vcc, 0, v13
	v_cndmask_b32_e32 v9, v9, v10, vcc
	v_cndmask_b32_e32 v10, v14, v18, vcc
	v_mov_b32_e32 v13, 0x3b800000
	v_lshlrev_b32_e32 v9, 20, v9
	v_lshl_add_u32 v10, v10, 23, v13
	v_or3_b32 v9, v12, v10, v9
.LBB20_1888:
	s_or_b64 exec, exec, s[6:7]
	s_nop 0
	v_mfma_f32_16x16x4f32 a[0:3], v8, v9, a[0:3]
	s_movk_i32 s4, 0x7f
	v_cmp_gt_i16_sdwa s[6:7], v15, s4 src0_sel:BYTE_0 src1_sel:DWORD
	s_mov_b64 s[4:5], 0
                                        ; implicit-def: $sgpr10
	s_and_saveexec_b64 s[8:9], s[6:7]
	s_xor_b64 s[6:7], exec, s[8:9]
	s_cbranch_execnz .LBB20_3937
; %bb.1889:
	s_or_saveexec_b64 s[6:7], s[6:7]
	v_mov_b32_e32 v8, s10
	s_xor_b64 exec, exec, s[6:7]
	s_cbranch_execnz .LBB20_3940
.LBB20_1890:
	s_or_b64 exec, exec, s[6:7]
	s_and_saveexec_b64 s[6:7], s[4:5]
	s_cbranch_execz .LBB20_1892
.LBB20_1891:
	v_and_b32_e32 v8, 7, v15
	v_ffbh_u32_e32 v10, v8
	v_min_u32_e32 v10, 32, v10
	v_lshrrev_b16_e32 v9, 3, v15
	v_subrev_u32_e32 v12, 28, v10
	v_and_b32_e32 v9, 15, v9
	v_lshlrev_b32_e32 v12, v12, v15
	v_sub_u32_e32 v10, 29, v10
	v_and_b32_e32 v12, 7, v12
	v_cmp_eq_u16_e32 vcc, 0, v9
	v_cndmask_b32_e32 v8, v8, v12, vcc
	v_cndmask_b32_e32 v9, v9, v10, vcc
	v_lshlrev_b32_e32 v10, 24, v15
	v_mov_b32_e32 v12, 0x3b800000
	v_lshlrev_b32_e32 v8, 20, v8
	v_and_b32_e32 v10, 0x80000000, v10
	v_lshl_add_u32 v9, v9, 23, v12
	v_or3_b32 v8, v10, v9, v8
.LBB20_1892:
	s_or_b64 exec, exec, s[6:7]
	s_movk_i32 s4, 0x7f
	v_cmp_gt_i16_sdwa s[6:7], v11, s4 src0_sel:BYTE_0 src1_sel:DWORD
	s_mov_b64 s[4:5], 0
                                        ; implicit-def: $sgpr10
	s_and_saveexec_b64 s[8:9], s[6:7]
	s_xor_b64 s[6:7], exec, s[8:9]
	s_cbranch_execnz .LBB20_3941
; %bb.1893:
	s_or_saveexec_b64 s[6:7], s[6:7]
	v_mov_b32_e32 v9, s10
	s_xor_b64 exec, exec, s[6:7]
	s_cbranch_execnz .LBB20_3944
.LBB20_1894:
	s_or_b64 exec, exec, s[6:7]
	s_and_saveexec_b64 s[6:7], s[4:5]
	s_cbranch_execz .LBB20_1896
.LBB20_1895:
	v_and_b32_e32 v9, 7, v11
	v_ffbh_u32_e32 v12, v9
	v_min_u32_e32 v12, 32, v12
	v_lshrrev_b16_e32 v10, 3, v11
	v_subrev_u32_e32 v13, 28, v12
	v_and_b32_e32 v10, 15, v10
	v_lshlrev_b32_e32 v13, v13, v11
	v_sub_u32_e32 v12, 29, v12
	v_and_b32_e32 v13, 7, v13
	v_cmp_eq_u16_e32 vcc, 0, v10
	v_cndmask_b32_e32 v9, v9, v13, vcc
	v_cndmask_b32_e32 v10, v10, v12, vcc
	v_lshlrev_b32_e32 v12, 24, v11
	v_mov_b32_e32 v13, 0x3b800000
	v_lshlrev_b32_e32 v9, 20, v9
	v_and_b32_e32 v12, 0x80000000, v12
	v_lshl_add_u32 v10, v10, 23, v13
	v_or3_b32 v9, v12, v10, v9
.LBB20_1896:
	s_or_b64 exec, exec, s[6:7]
	s_nop 0
	v_mfma_f32_16x16x4f32 a[0:3], v8, v9, a[0:3]
	v_lshrrev_b32_e32 v9, 8, v15
	s_movk_i32 s4, 0x7f
	v_cmp_gt_i16_sdwa s[6:7], v9, s4 src0_sel:BYTE_0 src1_sel:DWORD
	s_mov_b64 s[4:5], 0
                                        ; implicit-def: $sgpr10
	s_and_saveexec_b64 s[8:9], s[6:7]
	s_xor_b64 s[6:7], exec, s[8:9]
	s_cbranch_execnz .LBB20_3945
; %bb.1897:
	s_or_saveexec_b64 s[6:7], s[6:7]
	v_mov_b32_e32 v8, s10
	s_xor_b64 exec, exec, s[6:7]
	s_cbranch_execnz .LBB20_3948
.LBB20_1898:
	s_or_b64 exec, exec, s[6:7]
	s_and_saveexec_b64 s[6:7], s[4:5]
	s_cbranch_execz .LBB20_1900
.LBB20_1899:
	v_bfe_u32 v8, v15, 8, 3
	v_ffbh_u32_e32 v12, v8
	v_min_u32_e32 v12, 32, v12
	v_lshrrev_b16_e32 v10, 3, v9
	v_subrev_u32_e32 v13, 28, v12
	v_and_b32_e32 v10, 15, v10
	v_lshlrev_b32_e32 v9, v13, v9
	v_sub_u32_e32 v12, 29, v12
	v_and_b32_e32 v9, 7, v9
	v_cmp_eq_u16_e32 vcc, 0, v10
	v_cndmask_b32_e32 v8, v8, v9, vcc
	v_cndmask_b32_e32 v9, v10, v12, vcc
	v_lshlrev_b32_e32 v10, 16, v15
	v_mov_b32_e32 v12, 0x3b800000
	v_lshlrev_b32_e32 v8, 20, v8
	v_and_b32_e32 v10, 0x80000000, v10
	v_lshl_add_u32 v9, v9, 23, v12
	v_or3_b32 v8, v10, v9, v8
.LBB20_1900:
	s_or_b64 exec, exec, s[6:7]
	v_lshrrev_b32_e32 v9, 8, v11
	s_movk_i32 s4, 0x7f
	v_cmp_gt_i16_sdwa s[6:7], v9, s4 src0_sel:BYTE_0 src1_sel:DWORD
	s_mov_b64 s[4:5], 0
                                        ; implicit-def: $sgpr10
	s_and_saveexec_b64 s[8:9], s[6:7]
	s_xor_b64 s[6:7], exec, s[8:9]
	s_cbranch_execnz .LBB20_3949
; %bb.1901:
	s_or_saveexec_b64 s[6:7], s[6:7]
	v_mov_b32_e32 v10, s10
	s_xor_b64 exec, exec, s[6:7]
	s_cbranch_execnz .LBB20_3952
.LBB20_1902:
	s_or_b64 exec, exec, s[6:7]
	s_and_saveexec_b64 s[6:7], s[4:5]
	s_cbranch_execz .LBB20_1904
.LBB20_1903:
	v_bfe_u32 v10, v11, 8, 3
	v_ffbh_u32_e32 v13, v10
	v_min_u32_e32 v13, 32, v13
	v_lshrrev_b16_e32 v12, 3, v9
	v_subrev_u32_e32 v14, 28, v13
	v_and_b32_e32 v12, 15, v12
	v_lshlrev_b32_e32 v9, v14, v9
	v_sub_u32_e32 v13, 29, v13
	v_and_b32_e32 v9, 7, v9
	v_cmp_eq_u16_e32 vcc, 0, v12
	v_cndmask_b32_e32 v9, v10, v9, vcc
	v_cndmask_b32_e32 v10, v12, v13, vcc
	v_lshlrev_b32_e32 v12, 16, v11
	v_mov_b32_e32 v13, 0x3b800000
	v_lshlrev_b32_e32 v9, 20, v9
	v_and_b32_e32 v12, 0x80000000, v12
	v_lshl_add_u32 v10, v10, 23, v13
	v_or3_b32 v10, v12, v10, v9
.LBB20_1904:
	s_or_b64 exec, exec, s[6:7]
	s_nop 0
	v_mfma_f32_16x16x4f32 a[0:3], v8, v10, a[0:3]
	s_movk_i32 s4, 0xff
	v_and_b32_sdwa v9, v15, s4 dst_sel:DWORD dst_unused:UNUSED_PAD src0_sel:WORD_1 src1_sel:DWORD
	s_movk_i32 s4, 0x7f
	v_cmp_lt_i16_e32 vcc, s4, v9
	s_mov_b64 s[4:5], 0
                                        ; implicit-def: $sgpr10
	s_and_saveexec_b64 s[6:7], vcc
	s_xor_b64 s[6:7], exec, s[6:7]
	s_cbranch_execnz .LBB20_3953
; %bb.1905:
	s_or_saveexec_b64 s[6:7], s[6:7]
	v_mov_b32_e32 v8, s10
	s_xor_b64 exec, exec, s[6:7]
	s_cbranch_execnz .LBB20_3956
.LBB20_1906:
	s_or_b64 exec, exec, s[6:7]
	s_and_saveexec_b64 s[6:7], s[4:5]
	s_cbranch_execz .LBB20_1908
.LBB20_1907:
	v_bfe_u32 v8, v15, 16, 3
	v_ffbh_u32_e32 v12, v8
	v_min_u32_e32 v12, 32, v12
	v_lshrrev_b32_e32 v9, 19, v15
	v_subrev_u32_e32 v13, 28, v12
	v_and_b32_e32 v9, 15, v9
	v_lshlrev_b32_sdwa v13, v13, v15 dst_sel:DWORD dst_unused:UNUSED_PAD src0_sel:DWORD src1_sel:WORD_1
	v_bfe_u32 v10, v15, 19, 4
	v_sub_u32_e32 v12, 29, v12
	v_and_b32_e32 v13, 7, v13
	v_cmp_eq_u16_e32 vcc, 0, v9
	v_cndmask_b32_e32 v8, v8, v13, vcc
	v_cndmask_b32_e32 v9, v10, v12, vcc
	v_lshlrev_b32_e32 v10, 8, v15
	v_mov_b32_e32 v12, 0x3b800000
	v_lshlrev_b32_e32 v8, 20, v8
	v_and_b32_e32 v10, 0x80000000, v10
	v_lshl_add_u32 v9, v9, 23, v12
	v_or3_b32 v8, v10, v9, v8
.LBB20_1908:
	s_or_b64 exec, exec, s[6:7]
	s_movk_i32 s4, 0xff
	v_and_b32_sdwa v9, v11, s4 dst_sel:DWORD dst_unused:UNUSED_PAD src0_sel:WORD_1 src1_sel:DWORD
	s_movk_i32 s4, 0x7f
	v_cmp_lt_i16_e32 vcc, s4, v9
	s_mov_b64 s[4:5], 0
                                        ; implicit-def: $sgpr10
	s_and_saveexec_b64 s[6:7], vcc
	s_xor_b64 s[6:7], exec, s[6:7]
	s_cbranch_execnz .LBB20_3957
; %bb.1909:
	s_or_saveexec_b64 s[6:7], s[6:7]
	v_mov_b32_e32 v10, s10
	s_xor_b64 exec, exec, s[6:7]
	s_cbranch_execnz .LBB20_3960
.LBB20_1910:
	s_or_b64 exec, exec, s[6:7]
	s_and_saveexec_b64 s[6:7], s[4:5]
	s_cbranch_execz .LBB20_1912
.LBB20_1911:
	v_bfe_u32 v9, v11, 16, 3
	v_ffbh_u32_e32 v13, v9
	v_min_u32_e32 v13, 32, v13
	v_lshrrev_b32_e32 v10, 19, v11
	v_subrev_u32_e32 v14, 28, v13
	v_and_b32_e32 v10, 15, v10
	v_lshlrev_b32_sdwa v14, v14, v11 dst_sel:DWORD dst_unused:UNUSED_PAD src0_sel:DWORD src1_sel:WORD_1
	v_bfe_u32 v12, v11, 19, 4
	v_sub_u32_e32 v13, 29, v13
	v_and_b32_e32 v14, 7, v14
	v_cmp_eq_u16_e32 vcc, 0, v10
	v_cndmask_b32_e32 v9, v9, v14, vcc
	v_cndmask_b32_e32 v10, v12, v13, vcc
	v_lshlrev_b32_e32 v12, 8, v11
	v_mov_b32_e32 v13, 0x3b800000
	v_lshlrev_b32_e32 v9, 20, v9
	v_and_b32_e32 v12, 0x80000000, v12
	v_lshl_add_u32 v10, v10, 23, v13
	v_or3_b32 v10, v12, v10, v9
.LBB20_1912:
	s_or_b64 exec, exec, s[6:7]
	s_nop 0
	v_mfma_f32_16x16x4f32 a[0:3], v8, v10, a[0:3]
	s_movk_i32 s4, 0x7f
	v_cmp_gt_i16_sdwa s[6:7], v15, s4 src0_sel:BYTE_3 src1_sel:DWORD
	s_mov_b64 s[4:5], 0
                                        ; implicit-def: $sgpr10
	s_and_saveexec_b64 s[8:9], s[6:7]
	s_xor_b64 s[6:7], exec, s[8:9]
	s_cbranch_execnz .LBB20_3961
; %bb.1913:
	s_or_saveexec_b64 s[6:7], s[6:7]
	v_mov_b32_e32 v8, s10
	s_xor_b64 exec, exec, s[6:7]
	s_cbranch_execnz .LBB20_3964
.LBB20_1914:
	s_or_b64 exec, exec, s[6:7]
	s_and_saveexec_b64 s[6:7], s[4:5]
	s_cbranch_execz .LBB20_1916
.LBB20_1915:
	v_bfe_u32 v8, v15, 24, 3
	v_ffbh_u32_e32 v13, v8
	v_min_u32_e32 v13, 32, v13
	v_lshrrev_b32_e32 v10, 27, v15
	v_subrev_u32_e32 v14, 28, v13
	v_and_b32_e32 v10, 15, v10
	v_lshlrev_b32_sdwa v14, v14, v15 dst_sel:DWORD dst_unused:UNUSED_PAD src0_sel:DWORD src1_sel:BYTE_3
	v_bfe_u32 v12, v15, 27, 4
	v_sub_u32_e32 v13, 29, v13
	v_and_b32_e32 v14, 7, v14
	v_cmp_eq_u16_e32 vcc, 0, v10
	v_cndmask_b32_e32 v8, v8, v14, vcc
	v_cndmask_b32_e32 v10, v12, v13, vcc
	v_mov_b32_e32 v12, 0x3b800000
	v_and_b32_e32 v9, 0x80000000, v15
	v_lshlrev_b32_e32 v8, 20, v8
	v_lshl_add_u32 v10, v10, 23, v12
	v_or3_b32 v8, v9, v10, v8
.LBB20_1916:
	s_or_b64 exec, exec, s[6:7]
	s_movk_i32 s4, 0x7f
	v_cmp_gt_i16_sdwa s[6:7], v11, s4 src0_sel:BYTE_3 src1_sel:DWORD
	s_mov_b64 s[4:5], 0
                                        ; implicit-def: $sgpr10
	s_and_saveexec_b64 s[8:9], s[6:7]
	s_xor_b64 s[6:7], exec, s[8:9]
	s_cbranch_execnz .LBB20_3965
; %bb.1917:
	s_or_saveexec_b64 s[6:7], s[6:7]
	v_mov_b32_e32 v9, s10
	s_xor_b64 exec, exec, s[6:7]
	s_cbranch_execnz .LBB20_3968
.LBB20_1918:
	s_or_b64 exec, exec, s[6:7]
	s_and_saveexec_b64 s[6:7], s[4:5]
	s_cbranch_execz .LBB20_1920
.LBB20_1919:
	v_bfe_u32 v9, v11, 24, 3
	v_ffbh_u32_e32 v14, v9
	v_min_u32_e32 v14, 32, v14
	v_lshrrev_b32_e32 v12, 27, v11
	v_subrev_u32_e32 v15, 28, v14
	v_and_b32_e32 v10, 0x80000000, v11
	v_and_b32_e32 v12, 15, v12
	v_bfe_u32 v13, v11, 27, 4
	v_lshlrev_b32_sdwa v11, v15, v11 dst_sel:DWORD dst_unused:UNUSED_PAD src0_sel:DWORD src1_sel:BYTE_3
	v_sub_u32_e32 v14, 29, v14
	v_and_b32_e32 v11, 7, v11
	v_cmp_eq_u16_e32 vcc, 0, v12
	v_cndmask_b32_e32 v9, v9, v11, vcc
	v_cndmask_b32_e32 v11, v13, v14, vcc
	v_mov_b32_e32 v12, 0x3b800000
	v_lshlrev_b32_e32 v9, 20, v9
	v_lshl_add_u32 v11, v11, 23, v12
	v_or3_b32 v9, v10, v11, v9
.LBB20_1920:
	s_or_b64 exec, exec, s[6:7]
	s_nop 0
	v_mfma_f32_16x16x4f32 a[0:3], v8, v9, a[0:3]
	s_movk_i32 s4, 0x7f
	v_cmp_gt_i16_sdwa s[6:7], v4, s4 src0_sel:BYTE_0 src1_sel:DWORD
	s_mov_b64 s[4:5], 0
                                        ; implicit-def: $sgpr10
	s_and_saveexec_b64 s[8:9], s[6:7]
	s_xor_b64 s[6:7], exec, s[8:9]
	s_cbranch_execnz .LBB20_3969
; %bb.1921:
	s_or_saveexec_b64 s[6:7], s[6:7]
	v_mov_b32_e32 v8, s10
	s_xor_b64 exec, exec, s[6:7]
	s_cbranch_execnz .LBB20_3972
.LBB20_1922:
	s_or_b64 exec, exec, s[6:7]
	s_and_saveexec_b64 s[6:7], s[4:5]
	s_cbranch_execz .LBB20_1924
.LBB20_1923:
	v_and_b32_e32 v8, 7, v4
	v_ffbh_u32_e32 v10, v8
	v_min_u32_e32 v10, 32, v10
	v_lshrrev_b16_e32 v9, 3, v4
	v_subrev_u32_e32 v11, 28, v10
	v_and_b32_e32 v9, 15, v9
	v_lshlrev_b32_e32 v11, v11, v4
	v_sub_u32_e32 v10, 29, v10
	v_and_b32_e32 v11, 7, v11
	v_cmp_eq_u16_e32 vcc, 0, v9
	v_cndmask_b32_e32 v8, v8, v11, vcc
	v_cndmask_b32_e32 v9, v9, v10, vcc
	v_lshlrev_b32_e32 v10, 24, v4
	v_mov_b32_e32 v11, 0x3b800000
	v_lshlrev_b32_e32 v8, 20, v8
	v_and_b32_e32 v10, 0x80000000, v10
	v_lshl_add_u32 v9, v9, 23, v11
	v_or3_b32 v8, v10, v9, v8
.LBB20_1924:
	s_or_b64 exec, exec, s[6:7]
	s_movk_i32 s4, 0x7f
	v_cmp_gt_i16_sdwa s[6:7], v0, s4 src0_sel:BYTE_0 src1_sel:DWORD
	s_mov_b64 s[4:5], 0
                                        ; implicit-def: $sgpr10
	s_and_saveexec_b64 s[8:9], s[6:7]
	s_xor_b64 s[6:7], exec, s[8:9]
	s_cbranch_execnz .LBB20_3973
; %bb.1925:
	s_or_saveexec_b64 s[6:7], s[6:7]
	v_mov_b32_e32 v9, s10
	s_xor_b64 exec, exec, s[6:7]
	s_cbranch_execnz .LBB20_3976
.LBB20_1926:
	s_or_b64 exec, exec, s[6:7]
	s_and_saveexec_b64 s[6:7], s[4:5]
	s_cbranch_execz .LBB20_1928
.LBB20_1927:
	v_and_b32_e32 v9, 7, v0
	v_ffbh_u32_e32 v11, v9
	v_min_u32_e32 v11, 32, v11
	v_lshrrev_b16_e32 v10, 3, v0
	v_subrev_u32_e32 v12, 28, v11
	v_and_b32_e32 v10, 15, v10
	v_lshlrev_b32_e32 v12, v12, v0
	v_sub_u32_e32 v11, 29, v11
	v_and_b32_e32 v12, 7, v12
	v_cmp_eq_u16_e32 vcc, 0, v10
	v_cndmask_b32_e32 v9, v9, v12, vcc
	v_cndmask_b32_e32 v10, v10, v11, vcc
	v_lshlrev_b32_e32 v11, 24, v0
	v_mov_b32_e32 v12, 0x3b800000
	v_lshlrev_b32_e32 v9, 20, v9
	v_and_b32_e32 v11, 0x80000000, v11
	v_lshl_add_u32 v10, v10, 23, v12
	v_or3_b32 v9, v11, v10, v9
.LBB20_1928:
	s_or_b64 exec, exec, s[6:7]
	s_nop 0
	v_mfma_f32_16x16x4f32 a[0:3], v8, v9, a[0:3]
	v_lshrrev_b32_e32 v9, 8, v4
	s_movk_i32 s4, 0x7f
	v_cmp_gt_i16_sdwa s[6:7], v9, s4 src0_sel:BYTE_0 src1_sel:DWORD
	s_mov_b64 s[4:5], 0
                                        ; implicit-def: $sgpr10
	s_and_saveexec_b64 s[8:9], s[6:7]
	s_xor_b64 s[6:7], exec, s[8:9]
	s_cbranch_execnz .LBB20_3977
; %bb.1929:
	s_or_saveexec_b64 s[6:7], s[6:7]
	v_mov_b32_e32 v8, s10
	s_xor_b64 exec, exec, s[6:7]
	s_cbranch_execnz .LBB20_3980
.LBB20_1930:
	s_or_b64 exec, exec, s[6:7]
	s_and_saveexec_b64 s[6:7], s[4:5]
	s_cbranch_execz .LBB20_1932
.LBB20_1931:
	v_bfe_u32 v8, v4, 8, 3
	v_ffbh_u32_e32 v11, v8
	v_min_u32_e32 v11, 32, v11
	v_lshrrev_b16_e32 v10, 3, v9
	v_subrev_u32_e32 v12, 28, v11
	v_and_b32_e32 v10, 15, v10
	v_lshlrev_b32_e32 v9, v12, v9
	v_sub_u32_e32 v11, 29, v11
	v_and_b32_e32 v9, 7, v9
	v_cmp_eq_u16_e32 vcc, 0, v10
	v_cndmask_b32_e32 v8, v8, v9, vcc
	v_cndmask_b32_e32 v9, v10, v11, vcc
	v_lshlrev_b32_e32 v10, 16, v4
	v_mov_b32_e32 v11, 0x3b800000
	v_lshlrev_b32_e32 v8, 20, v8
	v_and_b32_e32 v10, 0x80000000, v10
	v_lshl_add_u32 v9, v9, 23, v11
	v_or3_b32 v8, v10, v9, v8
.LBB20_1932:
	s_or_b64 exec, exec, s[6:7]
	v_lshrrev_b32_e32 v9, 8, v0
	s_movk_i32 s4, 0x7f
	v_cmp_gt_i16_sdwa s[6:7], v9, s4 src0_sel:BYTE_0 src1_sel:DWORD
	s_mov_b64 s[4:5], 0
                                        ; implicit-def: $sgpr10
	s_and_saveexec_b64 s[8:9], s[6:7]
	s_xor_b64 s[6:7], exec, s[8:9]
	s_cbranch_execnz .LBB20_3981
; %bb.1933:
	s_or_saveexec_b64 s[6:7], s[6:7]
	v_mov_b32_e32 v10, s10
	s_xor_b64 exec, exec, s[6:7]
	s_cbranch_execnz .LBB20_3984
.LBB20_1934:
	s_or_b64 exec, exec, s[6:7]
	s_and_saveexec_b64 s[6:7], s[4:5]
	s_cbranch_execz .LBB20_1936
.LBB20_1935:
	v_bfe_u32 v10, v0, 8, 3
	v_ffbh_u32_e32 v12, v10
	v_min_u32_e32 v12, 32, v12
	v_lshrrev_b16_e32 v11, 3, v9
	v_subrev_u32_e32 v13, 28, v12
	v_and_b32_e32 v11, 15, v11
	v_lshlrev_b32_e32 v9, v13, v9
	v_sub_u32_e32 v12, 29, v12
	v_and_b32_e32 v9, 7, v9
	v_cmp_eq_u16_e32 vcc, 0, v11
	v_cndmask_b32_e32 v9, v10, v9, vcc
	v_cndmask_b32_e32 v10, v11, v12, vcc
	v_lshlrev_b32_e32 v11, 16, v0
	v_mov_b32_e32 v12, 0x3b800000
	v_lshlrev_b32_e32 v9, 20, v9
	v_and_b32_e32 v11, 0x80000000, v11
	v_lshl_add_u32 v10, v10, 23, v12
	v_or3_b32 v10, v11, v10, v9
.LBB20_1936:
	s_or_b64 exec, exec, s[6:7]
	s_nop 0
	v_mfma_f32_16x16x4f32 a[0:3], v8, v10, a[0:3]
	s_movk_i32 s4, 0xff
	v_and_b32_sdwa v9, v4, s4 dst_sel:DWORD dst_unused:UNUSED_PAD src0_sel:WORD_1 src1_sel:DWORD
	s_movk_i32 s4, 0x7f
	v_cmp_lt_i16_e32 vcc, s4, v9
	s_mov_b64 s[4:5], 0
                                        ; implicit-def: $sgpr10
	s_and_saveexec_b64 s[6:7], vcc
	s_xor_b64 s[6:7], exec, s[6:7]
	s_cbranch_execnz .LBB20_3985
; %bb.1937:
	s_or_saveexec_b64 s[6:7], s[6:7]
	v_mov_b32_e32 v8, s10
	s_xor_b64 exec, exec, s[6:7]
	s_cbranch_execnz .LBB20_3988
.LBB20_1938:
	s_or_b64 exec, exec, s[6:7]
	s_and_saveexec_b64 s[6:7], s[4:5]
	s_cbranch_execz .LBB20_1940
.LBB20_1939:
	v_bfe_u32 v8, v4, 16, 3
	v_ffbh_u32_e32 v11, v8
	v_min_u32_e32 v11, 32, v11
	v_lshrrev_b32_e32 v9, 19, v4
	v_subrev_u32_e32 v12, 28, v11
	v_and_b32_e32 v9, 15, v9
	v_lshlrev_b32_sdwa v12, v12, v4 dst_sel:DWORD dst_unused:UNUSED_PAD src0_sel:DWORD src1_sel:WORD_1
	v_bfe_u32 v10, v4, 19, 4
	v_sub_u32_e32 v11, 29, v11
	v_and_b32_e32 v12, 7, v12
	v_cmp_eq_u16_e32 vcc, 0, v9
	v_cndmask_b32_e32 v8, v8, v12, vcc
	v_cndmask_b32_e32 v9, v10, v11, vcc
	v_lshlrev_b32_e32 v10, 8, v4
	v_mov_b32_e32 v11, 0x3b800000
	v_lshlrev_b32_e32 v8, 20, v8
	v_and_b32_e32 v10, 0x80000000, v10
	v_lshl_add_u32 v9, v9, 23, v11
	v_or3_b32 v8, v10, v9, v8
.LBB20_1940:
	s_or_b64 exec, exec, s[6:7]
	s_movk_i32 s4, 0xff
	v_and_b32_sdwa v9, v0, s4 dst_sel:DWORD dst_unused:UNUSED_PAD src0_sel:WORD_1 src1_sel:DWORD
	s_movk_i32 s4, 0x7f
	v_cmp_lt_i16_e32 vcc, s4, v9
	s_mov_b64 s[4:5], 0
                                        ; implicit-def: $sgpr10
	s_and_saveexec_b64 s[6:7], vcc
	s_xor_b64 s[6:7], exec, s[6:7]
	s_cbranch_execnz .LBB20_3989
; %bb.1941:
	s_or_saveexec_b64 s[6:7], s[6:7]
	v_mov_b32_e32 v10, s10
	s_xor_b64 exec, exec, s[6:7]
	s_cbranch_execnz .LBB20_3992
.LBB20_1942:
	s_or_b64 exec, exec, s[6:7]
	s_and_saveexec_b64 s[6:7], s[4:5]
	s_cbranch_execz .LBB20_1944
.LBB20_1943:
	v_bfe_u32 v9, v0, 16, 3
	v_ffbh_u32_e32 v12, v9
	v_min_u32_e32 v12, 32, v12
	v_lshrrev_b32_e32 v10, 19, v0
	v_subrev_u32_e32 v13, 28, v12
	v_and_b32_e32 v10, 15, v10
	v_lshlrev_b32_sdwa v13, v13, v0 dst_sel:DWORD dst_unused:UNUSED_PAD src0_sel:DWORD src1_sel:WORD_1
	v_bfe_u32 v11, v0, 19, 4
	v_sub_u32_e32 v12, 29, v12
	v_and_b32_e32 v13, 7, v13
	v_cmp_eq_u16_e32 vcc, 0, v10
	v_cndmask_b32_e32 v9, v9, v13, vcc
	v_cndmask_b32_e32 v10, v11, v12, vcc
	v_lshlrev_b32_e32 v11, 8, v0
	v_mov_b32_e32 v12, 0x3b800000
	v_lshlrev_b32_e32 v9, 20, v9
	v_and_b32_e32 v11, 0x80000000, v11
	v_lshl_add_u32 v10, v10, 23, v12
	v_or3_b32 v10, v11, v10, v9
.LBB20_1944:
	s_or_b64 exec, exec, s[6:7]
	s_nop 0
	v_mfma_f32_16x16x4f32 a[0:3], v8, v10, a[0:3]
	s_movk_i32 s4, 0x7f
	v_cmp_gt_i16_sdwa s[6:7], v4, s4 src0_sel:BYTE_3 src1_sel:DWORD
	s_mov_b64 s[4:5], 0
                                        ; implicit-def: $sgpr10
	s_and_saveexec_b64 s[8:9], s[6:7]
	s_xor_b64 s[6:7], exec, s[8:9]
	s_cbranch_execnz .LBB20_3993
; %bb.1945:
	s_or_saveexec_b64 s[6:7], s[6:7]
	v_mov_b32_e32 v8, s10
	s_xor_b64 exec, exec, s[6:7]
	s_cbranch_execnz .LBB20_3996
.LBB20_1946:
	s_or_b64 exec, exec, s[6:7]
	s_and_saveexec_b64 s[6:7], s[4:5]
	s_cbranch_execz .LBB20_1948
.LBB20_1947:
	v_bfe_u32 v8, v4, 24, 3
	v_ffbh_u32_e32 v12, v8
	v_min_u32_e32 v12, 32, v12
	v_lshrrev_b32_e32 v10, 27, v4
	v_subrev_u32_e32 v13, 28, v12
	v_and_b32_e32 v9, 0x80000000, v4
	v_and_b32_e32 v10, 15, v10
	v_bfe_u32 v11, v4, 27, 4
	v_lshlrev_b32_sdwa v4, v13, v4 dst_sel:DWORD dst_unused:UNUSED_PAD src0_sel:DWORD src1_sel:BYTE_3
	v_sub_u32_e32 v12, 29, v12
	v_and_b32_e32 v4, 7, v4
	v_cmp_eq_u16_e32 vcc, 0, v10
	v_cndmask_b32_e32 v4, v8, v4, vcc
	v_cndmask_b32_e32 v8, v11, v12, vcc
	v_mov_b32_e32 v10, 0x3b800000
	v_lshlrev_b32_e32 v4, 20, v4
	v_lshl_add_u32 v8, v8, 23, v10
	v_or3_b32 v8, v9, v8, v4
.LBB20_1948:
	s_or_b64 exec, exec, s[6:7]
	s_movk_i32 s4, 0x7f
	v_cmp_gt_i16_sdwa s[6:7], v0, s4 src0_sel:BYTE_3 src1_sel:DWORD
	s_mov_b64 s[4:5], 0
                                        ; implicit-def: $sgpr10
	s_and_saveexec_b64 s[8:9], s[6:7]
	s_xor_b64 s[6:7], exec, s[8:9]
	s_cbranch_execnz .LBB20_3997
; %bb.1949:
	s_or_saveexec_b64 s[6:7], s[6:7]
	v_mov_b32_e32 v4, s10
	s_xor_b64 exec, exec, s[6:7]
	s_cbranch_execnz .LBB20_4000
.LBB20_1950:
	s_or_b64 exec, exec, s[6:7]
	s_and_saveexec_b64 s[6:7], s[4:5]
	s_cbranch_execz .LBB20_1952
.LBB20_1951:
	v_bfe_u32 v4, v0, 24, 3
	v_ffbh_u32_e32 v12, v4
	v_min_u32_e32 v12, 32, v12
	v_lshrrev_b32_e32 v10, 27, v0
	v_subrev_u32_e32 v13, 28, v12
	v_and_b32_e32 v9, 0x80000000, v0
	v_and_b32_e32 v10, 15, v10
	v_bfe_u32 v11, v0, 27, 4
	v_lshlrev_b32_sdwa v0, v13, v0 dst_sel:DWORD dst_unused:UNUSED_PAD src0_sel:DWORD src1_sel:BYTE_3
	v_sub_u32_e32 v12, 29, v12
	v_and_b32_e32 v0, 7, v0
	v_cmp_eq_u16_e32 vcc, 0, v10
	v_cndmask_b32_e32 v0, v4, v0, vcc
	v_cndmask_b32_e32 v4, v11, v12, vcc
	v_mov_b32_e32 v10, 0x3b800000
	v_lshlrev_b32_e32 v0, 20, v0
	v_lshl_add_u32 v4, v4, 23, v10
	v_or3_b32 v4, v9, v4, v0
.LBB20_1952:
	s_or_b64 exec, exec, s[6:7]
	s_nop 0
	v_mfma_f32_16x16x4f32 a[0:3], v8, v4, a[0:3]
	s_movk_i32 s4, 0x7f
	v_cmp_gt_i16_sdwa s[6:7], v5, s4 src0_sel:BYTE_0 src1_sel:DWORD
	s_mov_b64 s[4:5], 0
                                        ; implicit-def: $sgpr10
	s_and_saveexec_b64 s[8:9], s[6:7]
	s_xor_b64 s[6:7], exec, s[8:9]
	s_cbranch_execnz .LBB20_4001
; %bb.1953:
	s_or_saveexec_b64 s[6:7], s[6:7]
	v_mov_b32_e32 v0, s10
	s_xor_b64 exec, exec, s[6:7]
	s_cbranch_execnz .LBB20_4004
.LBB20_1954:
	s_or_b64 exec, exec, s[6:7]
	s_and_saveexec_b64 s[6:7], s[4:5]
	s_cbranch_execz .LBB20_1956
.LBB20_1955:
	v_and_b32_e32 v0, 7, v5
	v_ffbh_u32_e32 v8, v0
	v_min_u32_e32 v8, 32, v8
	v_lshrrev_b16_e32 v4, 3, v5
	v_subrev_u32_e32 v9, 28, v8
	v_and_b32_e32 v4, 15, v4
	v_lshlrev_b32_e32 v9, v9, v5
	v_sub_u32_e32 v8, 29, v8
	v_and_b32_e32 v9, 7, v9
	v_cmp_eq_u16_e32 vcc, 0, v4
	v_cndmask_b32_e32 v0, v0, v9, vcc
	v_cndmask_b32_e32 v4, v4, v8, vcc
	v_lshlrev_b32_e32 v8, 24, v5
	v_mov_b32_e32 v9, 0x3b800000
	v_lshlrev_b32_e32 v0, 20, v0
	v_and_b32_e32 v8, 0x80000000, v8
	v_lshl_add_u32 v4, v4, 23, v9
	v_or3_b32 v0, v8, v4, v0
.LBB20_1956:
	s_or_b64 exec, exec, s[6:7]
	s_movk_i32 s4, 0x7f
	v_cmp_gt_i16_sdwa s[6:7], v1, s4 src0_sel:BYTE_0 src1_sel:DWORD
	s_mov_b64 s[4:5], 0
                                        ; implicit-def: $sgpr10
	s_and_saveexec_b64 s[8:9], s[6:7]
	s_xor_b64 s[6:7], exec, s[8:9]
	s_cbranch_execnz .LBB20_4005
; %bb.1957:
	s_or_saveexec_b64 s[6:7], s[6:7]
	v_mov_b32_e32 v4, s10
	s_xor_b64 exec, exec, s[6:7]
	s_cbranch_execnz .LBB20_4008
.LBB20_1958:
	s_or_b64 exec, exec, s[6:7]
	s_and_saveexec_b64 s[6:7], s[4:5]
	s_cbranch_execz .LBB20_1960
.LBB20_1959:
	v_and_b32_e32 v4, 7, v1
	v_ffbh_u32_e32 v9, v4
	v_min_u32_e32 v9, 32, v9
	v_lshrrev_b16_e32 v8, 3, v1
	v_subrev_u32_e32 v10, 28, v9
	v_and_b32_e32 v8, 15, v8
	v_lshlrev_b32_e32 v10, v10, v1
	v_sub_u32_e32 v9, 29, v9
	v_and_b32_e32 v10, 7, v10
	v_cmp_eq_u16_e32 vcc, 0, v8
	v_cndmask_b32_e32 v4, v4, v10, vcc
	v_cndmask_b32_e32 v8, v8, v9, vcc
	v_lshlrev_b32_e32 v9, 24, v1
	v_mov_b32_e32 v10, 0x3b800000
	v_lshlrev_b32_e32 v4, 20, v4
	v_and_b32_e32 v9, 0x80000000, v9
	v_lshl_add_u32 v8, v8, 23, v10
	v_or3_b32 v4, v9, v8, v4
.LBB20_1960:
	s_or_b64 exec, exec, s[6:7]
	s_nop 0
	v_mfma_f32_16x16x4f32 a[0:3], v0, v4, a[0:3]
	v_lshrrev_b32_e32 v4, 8, v5
	s_movk_i32 s4, 0x7f
	v_cmp_gt_i16_sdwa s[6:7], v4, s4 src0_sel:BYTE_0 src1_sel:DWORD
	s_mov_b64 s[4:5], 0
                                        ; implicit-def: $sgpr10
	s_and_saveexec_b64 s[8:9], s[6:7]
	s_xor_b64 s[6:7], exec, s[8:9]
	s_cbranch_execnz .LBB20_4009
; %bb.1961:
	s_or_saveexec_b64 s[6:7], s[6:7]
	v_mov_b32_e32 v0, s10
	s_xor_b64 exec, exec, s[6:7]
	s_cbranch_execnz .LBB20_4012
.LBB20_1962:
	s_or_b64 exec, exec, s[6:7]
	s_and_saveexec_b64 s[6:7], s[4:5]
	s_cbranch_execz .LBB20_1964
.LBB20_1963:
	v_bfe_u32 v0, v5, 8, 3
	v_ffbh_u32_e32 v9, v0
	v_min_u32_e32 v9, 32, v9
	v_lshrrev_b16_e32 v8, 3, v4
	v_subrev_u32_e32 v10, 28, v9
	v_and_b32_e32 v8, 15, v8
	v_lshlrev_b32_e32 v4, v10, v4
	v_sub_u32_e32 v9, 29, v9
	v_and_b32_e32 v4, 7, v4
	v_cmp_eq_u16_e32 vcc, 0, v8
	v_cndmask_b32_e32 v0, v0, v4, vcc
	v_cndmask_b32_e32 v4, v8, v9, vcc
	v_lshlrev_b32_e32 v8, 16, v5
	v_mov_b32_e32 v9, 0x3b800000
	v_lshlrev_b32_e32 v0, 20, v0
	v_and_b32_e32 v8, 0x80000000, v8
	v_lshl_add_u32 v4, v4, 23, v9
	v_or3_b32 v0, v8, v4, v0
.LBB20_1964:
	s_or_b64 exec, exec, s[6:7]
	v_lshrrev_b32_e32 v4, 8, v1
	s_movk_i32 s4, 0x7f
	v_cmp_gt_i16_sdwa s[6:7], v4, s4 src0_sel:BYTE_0 src1_sel:DWORD
	s_mov_b64 s[4:5], 0
                                        ; implicit-def: $sgpr10
	s_and_saveexec_b64 s[8:9], s[6:7]
	s_xor_b64 s[6:7], exec, s[8:9]
	s_cbranch_execnz .LBB20_4013
; %bb.1965:
	s_or_saveexec_b64 s[6:7], s[6:7]
	v_mov_b32_e32 v8, s10
	s_xor_b64 exec, exec, s[6:7]
	s_cbranch_execnz .LBB20_4016
.LBB20_1966:
	s_or_b64 exec, exec, s[6:7]
	s_and_saveexec_b64 s[6:7], s[4:5]
	s_cbranch_execz .LBB20_1968
.LBB20_1967:
	v_bfe_u32 v8, v1, 8, 3
	v_ffbh_u32_e32 v10, v8
	v_min_u32_e32 v10, 32, v10
	v_lshrrev_b16_e32 v9, 3, v4
	v_subrev_u32_e32 v11, 28, v10
	v_and_b32_e32 v9, 15, v9
	v_lshlrev_b32_e32 v4, v11, v4
	v_sub_u32_e32 v10, 29, v10
	v_and_b32_e32 v4, 7, v4
	v_cmp_eq_u16_e32 vcc, 0, v9
	v_cndmask_b32_e32 v4, v8, v4, vcc
	v_cndmask_b32_e32 v8, v9, v10, vcc
	v_lshlrev_b32_e32 v9, 16, v1
	v_mov_b32_e32 v10, 0x3b800000
	v_lshlrev_b32_e32 v4, 20, v4
	v_and_b32_e32 v9, 0x80000000, v9
	v_lshl_add_u32 v8, v8, 23, v10
	v_or3_b32 v8, v9, v8, v4
.LBB20_1968:
	s_or_b64 exec, exec, s[6:7]
	s_nop 0
	v_mfma_f32_16x16x4f32 a[0:3], v0, v8, a[0:3]
	s_movk_i32 s4, 0xff
	v_and_b32_sdwa v4, v5, s4 dst_sel:DWORD dst_unused:UNUSED_PAD src0_sel:WORD_1 src1_sel:DWORD
	s_movk_i32 s4, 0x7f
	v_cmp_lt_i16_e32 vcc, s4, v4
	s_mov_b64 s[4:5], 0
                                        ; implicit-def: $sgpr10
	s_and_saveexec_b64 s[6:7], vcc
	s_xor_b64 s[6:7], exec, s[6:7]
	s_cbranch_execnz .LBB20_4017
; %bb.1969:
	s_or_saveexec_b64 s[6:7], s[6:7]
	v_mov_b32_e32 v0, s10
	s_xor_b64 exec, exec, s[6:7]
	s_cbranch_execnz .LBB20_4020
.LBB20_1970:
	s_or_b64 exec, exec, s[6:7]
	s_and_saveexec_b64 s[6:7], s[4:5]
	s_cbranch_execz .LBB20_1972
.LBB20_1971:
	v_bfe_u32 v0, v5, 16, 3
	v_ffbh_u32_e32 v9, v0
	v_min_u32_e32 v9, 32, v9
	v_lshrrev_b32_e32 v4, 19, v5
	v_subrev_u32_e32 v10, 28, v9
	v_and_b32_e32 v4, 15, v4
	v_lshlrev_b32_sdwa v10, v10, v5 dst_sel:DWORD dst_unused:UNUSED_PAD src0_sel:DWORD src1_sel:WORD_1
	v_bfe_u32 v8, v5, 19, 4
	v_sub_u32_e32 v9, 29, v9
	v_and_b32_e32 v10, 7, v10
	v_cmp_eq_u16_e32 vcc, 0, v4
	v_cndmask_b32_e32 v0, v0, v10, vcc
	v_cndmask_b32_e32 v4, v8, v9, vcc
	v_lshlrev_b32_e32 v8, 8, v5
	v_mov_b32_e32 v9, 0x3b800000
	v_lshlrev_b32_e32 v0, 20, v0
	v_and_b32_e32 v8, 0x80000000, v8
	v_lshl_add_u32 v4, v4, 23, v9
	v_or3_b32 v0, v8, v4, v0
.LBB20_1972:
	s_or_b64 exec, exec, s[6:7]
	s_movk_i32 s4, 0xff
	v_and_b32_sdwa v4, v1, s4 dst_sel:DWORD dst_unused:UNUSED_PAD src0_sel:WORD_1 src1_sel:DWORD
	s_movk_i32 s4, 0x7f
	v_cmp_lt_i16_e32 vcc, s4, v4
	s_mov_b64 s[4:5], 0
                                        ; implicit-def: $sgpr10
	s_and_saveexec_b64 s[6:7], vcc
	s_xor_b64 s[6:7], exec, s[6:7]
	s_cbranch_execnz .LBB20_4021
; %bb.1973:
	s_or_saveexec_b64 s[6:7], s[6:7]
	v_mov_b32_e32 v8, s10
	s_xor_b64 exec, exec, s[6:7]
	s_cbranch_execnz .LBB20_4024
.LBB20_1974:
	s_or_b64 exec, exec, s[6:7]
	s_and_saveexec_b64 s[6:7], s[4:5]
	s_cbranch_execz .LBB20_1976
.LBB20_1975:
	v_bfe_u32 v4, v1, 16, 3
	v_ffbh_u32_e32 v10, v4
	v_min_u32_e32 v10, 32, v10
	v_lshrrev_b32_e32 v8, 19, v1
	v_subrev_u32_e32 v11, 28, v10
	v_and_b32_e32 v8, 15, v8
	v_lshlrev_b32_sdwa v11, v11, v1 dst_sel:DWORD dst_unused:UNUSED_PAD src0_sel:DWORD src1_sel:WORD_1
	v_bfe_u32 v9, v1, 19, 4
	v_sub_u32_e32 v10, 29, v10
	v_and_b32_e32 v11, 7, v11
	v_cmp_eq_u16_e32 vcc, 0, v8
	v_cndmask_b32_e32 v4, v4, v11, vcc
	v_cndmask_b32_e32 v8, v9, v10, vcc
	v_lshlrev_b32_e32 v9, 8, v1
	v_mov_b32_e32 v10, 0x3b800000
	v_lshlrev_b32_e32 v4, 20, v4
	v_and_b32_e32 v9, 0x80000000, v9
	v_lshl_add_u32 v8, v8, 23, v10
	v_or3_b32 v8, v9, v8, v4
.LBB20_1976:
	s_or_b64 exec, exec, s[6:7]
	s_nop 0
	v_mfma_f32_16x16x4f32 a[0:3], v0, v8, a[0:3]
	s_movk_i32 s4, 0x7f
	v_cmp_gt_i16_sdwa s[6:7], v5, s4 src0_sel:BYTE_3 src1_sel:DWORD
	s_mov_b64 s[4:5], 0
                                        ; implicit-def: $sgpr10
	s_and_saveexec_b64 s[8:9], s[6:7]
	s_xor_b64 s[6:7], exec, s[8:9]
	s_cbranch_execnz .LBB20_4025
; %bb.1977:
	s_or_saveexec_b64 s[6:7], s[6:7]
	v_mov_b32_e32 v0, s10
	s_xor_b64 exec, exec, s[6:7]
	s_cbranch_execnz .LBB20_4028
.LBB20_1978:
	s_or_b64 exec, exec, s[6:7]
	s_and_saveexec_b64 s[6:7], s[4:5]
	s_cbranch_execz .LBB20_1980
.LBB20_1979:
	v_bfe_u32 v0, v5, 24, 3
	v_ffbh_u32_e32 v10, v0
	v_min_u32_e32 v10, 32, v10
	v_lshrrev_b32_e32 v8, 27, v5
	v_subrev_u32_e32 v11, 28, v10
	v_and_b32_e32 v4, 0x80000000, v5
	v_and_b32_e32 v8, 15, v8
	v_bfe_u32 v9, v5, 27, 4
	v_lshlrev_b32_sdwa v5, v11, v5 dst_sel:DWORD dst_unused:UNUSED_PAD src0_sel:DWORD src1_sel:BYTE_3
	v_sub_u32_e32 v10, 29, v10
	v_and_b32_e32 v5, 7, v5
	v_cmp_eq_u16_e32 vcc, 0, v8
	v_cndmask_b32_e32 v0, v0, v5, vcc
	v_cndmask_b32_e32 v5, v9, v10, vcc
	v_mov_b32_e32 v8, 0x3b800000
	v_lshlrev_b32_e32 v0, 20, v0
	v_lshl_add_u32 v5, v5, 23, v8
	v_or3_b32 v0, v4, v5, v0
.LBB20_1980:
	s_or_b64 exec, exec, s[6:7]
	s_movk_i32 s4, 0x7f
	v_cmp_gt_i16_sdwa s[6:7], v1, s4 src0_sel:BYTE_3 src1_sel:DWORD
	s_mov_b64 s[4:5], 0
                                        ; implicit-def: $sgpr10
	s_and_saveexec_b64 s[8:9], s[6:7]
	s_xor_b64 s[6:7], exec, s[8:9]
	s_cbranch_execnz .LBB20_4029
; %bb.1981:
	s_or_saveexec_b64 s[6:7], s[6:7]
	v_mov_b32_e32 v4, s10
	s_xor_b64 exec, exec, s[6:7]
	s_cbranch_execnz .LBB20_4032
.LBB20_1982:
	s_or_b64 exec, exec, s[6:7]
	s_and_saveexec_b64 s[6:7], s[4:5]
	s_cbranch_execz .LBB20_1984
.LBB20_1983:
	v_bfe_u32 v4, v1, 24, 3
	v_ffbh_u32_e32 v10, v4
	v_min_u32_e32 v10, 32, v10
	v_lshrrev_b32_e32 v8, 27, v1
	v_subrev_u32_e32 v11, 28, v10
	v_and_b32_e32 v5, 0x80000000, v1
	v_and_b32_e32 v8, 15, v8
	v_bfe_u32 v9, v1, 27, 4
	v_lshlrev_b32_sdwa v1, v11, v1 dst_sel:DWORD dst_unused:UNUSED_PAD src0_sel:DWORD src1_sel:BYTE_3
	v_sub_u32_e32 v10, 29, v10
	v_and_b32_e32 v1, 7, v1
	v_cmp_eq_u16_e32 vcc, 0, v8
	v_cndmask_b32_e32 v1, v4, v1, vcc
	v_cndmask_b32_e32 v4, v9, v10, vcc
	v_mov_b32_e32 v8, 0x3b800000
	v_lshlrev_b32_e32 v1, 20, v1
	v_lshl_add_u32 v4, v4, 23, v8
	v_or3_b32 v4, v5, v4, v1
.LBB20_1984:
	s_or_b64 exec, exec, s[6:7]
	s_nop 0
	v_mfma_f32_16x16x4f32 a[0:3], v0, v4, a[0:3]
	s_movk_i32 s4, 0x7f
	v_cmp_gt_i16_sdwa s[6:7], v6, s4 src0_sel:BYTE_0 src1_sel:DWORD
	s_mov_b64 s[4:5], 0
                                        ; implicit-def: $sgpr10
	s_and_saveexec_b64 s[8:9], s[6:7]
	s_xor_b64 s[6:7], exec, s[8:9]
	s_cbranch_execnz .LBB20_4033
; %bb.1985:
	s_or_saveexec_b64 s[6:7], s[6:7]
	v_mov_b32_e32 v0, s10
	s_xor_b64 exec, exec, s[6:7]
	s_cbranch_execnz .LBB20_4036
.LBB20_1986:
	s_or_b64 exec, exec, s[6:7]
	s_and_saveexec_b64 s[6:7], s[4:5]
	s_cbranch_execz .LBB20_1988
.LBB20_1987:
	v_and_b32_e32 v0, 7, v6
	v_ffbh_u32_e32 v4, v0
	v_min_u32_e32 v4, 32, v4
	v_lshrrev_b16_e32 v1, 3, v6
	v_subrev_u32_e32 v5, 28, v4
	v_and_b32_e32 v1, 15, v1
	v_lshlrev_b32_e32 v5, v5, v6
	v_sub_u32_e32 v4, 29, v4
	v_and_b32_e32 v5, 7, v5
	v_cmp_eq_u16_e32 vcc, 0, v1
	v_cndmask_b32_e32 v0, v0, v5, vcc
	v_cndmask_b32_e32 v1, v1, v4, vcc
	v_lshlrev_b32_e32 v4, 24, v6
	v_mov_b32_e32 v5, 0x3b800000
	v_lshlrev_b32_e32 v0, 20, v0
	v_and_b32_e32 v4, 0x80000000, v4
	v_lshl_add_u32 v1, v1, 23, v5
	v_or3_b32 v0, v4, v1, v0
.LBB20_1988:
	s_or_b64 exec, exec, s[6:7]
	s_movk_i32 s4, 0x7f
	v_cmp_gt_i16_sdwa s[6:7], v2, s4 src0_sel:BYTE_0 src1_sel:DWORD
	s_mov_b64 s[4:5], 0
                                        ; implicit-def: $sgpr10
	s_and_saveexec_b64 s[8:9], s[6:7]
	s_xor_b64 s[6:7], exec, s[8:9]
	s_cbranch_execnz .LBB20_4037
; %bb.1989:
	s_or_saveexec_b64 s[6:7], s[6:7]
	v_mov_b32_e32 v1, s10
	s_xor_b64 exec, exec, s[6:7]
	s_cbranch_execnz .LBB20_4040
.LBB20_1990:
	s_or_b64 exec, exec, s[6:7]
	s_and_saveexec_b64 s[6:7], s[4:5]
	s_cbranch_execz .LBB20_1992
.LBB20_1991:
	v_and_b32_e32 v1, 7, v2
	v_ffbh_u32_e32 v5, v1
	v_min_u32_e32 v5, 32, v5
	v_lshrrev_b16_e32 v4, 3, v2
	v_subrev_u32_e32 v8, 28, v5
	v_and_b32_e32 v4, 15, v4
	v_lshlrev_b32_e32 v8, v8, v2
	v_sub_u32_e32 v5, 29, v5
	v_and_b32_e32 v8, 7, v8
	v_cmp_eq_u16_e32 vcc, 0, v4
	v_cndmask_b32_e32 v1, v1, v8, vcc
	v_cndmask_b32_e32 v4, v4, v5, vcc
	v_lshlrev_b32_e32 v5, 24, v2
	v_mov_b32_e32 v8, 0x3b800000
	v_lshlrev_b32_e32 v1, 20, v1
	v_and_b32_e32 v5, 0x80000000, v5
	v_lshl_add_u32 v4, v4, 23, v8
	v_or3_b32 v1, v5, v4, v1
.LBB20_1992:
	s_or_b64 exec, exec, s[6:7]
	s_nop 0
	v_mfma_f32_16x16x4f32 a[0:3], v0, v1, a[0:3]
	v_lshrrev_b32_e32 v1, 8, v6
	s_movk_i32 s4, 0x7f
	v_cmp_gt_i16_sdwa s[6:7], v1, s4 src0_sel:BYTE_0 src1_sel:DWORD
	s_mov_b64 s[4:5], 0
                                        ; implicit-def: $sgpr10
	s_and_saveexec_b64 s[8:9], s[6:7]
	s_xor_b64 s[6:7], exec, s[8:9]
	s_cbranch_execnz .LBB20_4041
; %bb.1993:
	s_or_saveexec_b64 s[6:7], s[6:7]
	v_mov_b32_e32 v0, s10
	s_xor_b64 exec, exec, s[6:7]
	s_cbranch_execnz .LBB20_4044
.LBB20_1994:
	s_or_b64 exec, exec, s[6:7]
	s_and_saveexec_b64 s[6:7], s[4:5]
	s_cbranch_execz .LBB20_1996
.LBB20_1995:
	v_bfe_u32 v0, v6, 8, 3
	v_ffbh_u32_e32 v5, v0
	v_min_u32_e32 v5, 32, v5
	v_lshrrev_b16_e32 v4, 3, v1
	v_subrev_u32_e32 v8, 28, v5
	v_and_b32_e32 v4, 15, v4
	v_lshlrev_b32_e32 v1, v8, v1
	v_sub_u32_e32 v5, 29, v5
	v_and_b32_e32 v1, 7, v1
	v_cmp_eq_u16_e32 vcc, 0, v4
	v_cndmask_b32_e32 v0, v0, v1, vcc
	v_cndmask_b32_e32 v1, v4, v5, vcc
	v_lshlrev_b32_e32 v4, 16, v6
	v_mov_b32_e32 v5, 0x3b800000
	v_lshlrev_b32_e32 v0, 20, v0
	v_and_b32_e32 v4, 0x80000000, v4
	v_lshl_add_u32 v1, v1, 23, v5
	v_or3_b32 v0, v4, v1, v0
.LBB20_1996:
	s_or_b64 exec, exec, s[6:7]
	v_lshrrev_b32_e32 v1, 8, v2
	s_movk_i32 s4, 0x7f
	v_cmp_gt_i16_sdwa s[6:7], v1, s4 src0_sel:BYTE_0 src1_sel:DWORD
	s_mov_b64 s[4:5], 0
                                        ; implicit-def: $sgpr10
	s_and_saveexec_b64 s[8:9], s[6:7]
	s_xor_b64 s[6:7], exec, s[8:9]
	s_cbranch_execnz .LBB20_4045
; %bb.1997:
	s_or_saveexec_b64 s[6:7], s[6:7]
	v_mov_b32_e32 v4, s10
	s_xor_b64 exec, exec, s[6:7]
	s_cbranch_execnz .LBB20_4048
.LBB20_1998:
	s_or_b64 exec, exec, s[6:7]
	s_and_saveexec_b64 s[6:7], s[4:5]
	s_cbranch_execz .LBB20_2000
.LBB20_1999:
	v_bfe_u32 v4, v2, 8, 3
	v_ffbh_u32_e32 v8, v4
	v_min_u32_e32 v8, 32, v8
	v_lshrrev_b16_e32 v5, 3, v1
	v_subrev_u32_e32 v9, 28, v8
	v_and_b32_e32 v5, 15, v5
	v_lshlrev_b32_e32 v1, v9, v1
	v_sub_u32_e32 v8, 29, v8
	v_and_b32_e32 v1, 7, v1
	v_cmp_eq_u16_e32 vcc, 0, v5
	v_cndmask_b32_e32 v1, v4, v1, vcc
	v_cndmask_b32_e32 v4, v5, v8, vcc
	v_lshlrev_b32_e32 v5, 16, v2
	v_mov_b32_e32 v8, 0x3b800000
	v_lshlrev_b32_e32 v1, 20, v1
	v_and_b32_e32 v5, 0x80000000, v5
	v_lshl_add_u32 v4, v4, 23, v8
	v_or3_b32 v4, v5, v4, v1
.LBB20_2000:
	s_or_b64 exec, exec, s[6:7]
	s_nop 0
	v_mfma_f32_16x16x4f32 a[0:3], v0, v4, a[0:3]
	s_movk_i32 s4, 0xff
	v_and_b32_sdwa v1, v6, s4 dst_sel:DWORD dst_unused:UNUSED_PAD src0_sel:WORD_1 src1_sel:DWORD
	s_movk_i32 s4, 0x7f
	v_cmp_lt_i16_e32 vcc, s4, v1
	s_mov_b64 s[4:5], 0
                                        ; implicit-def: $sgpr10
	s_and_saveexec_b64 s[6:7], vcc
	s_xor_b64 s[6:7], exec, s[6:7]
	s_cbranch_execnz .LBB20_4049
; %bb.2001:
	s_or_saveexec_b64 s[6:7], s[6:7]
	v_mov_b32_e32 v0, s10
	s_xor_b64 exec, exec, s[6:7]
	s_cbranch_execnz .LBB20_4052
.LBB20_2002:
	s_or_b64 exec, exec, s[6:7]
	s_and_saveexec_b64 s[6:7], s[4:5]
	s_cbranch_execz .LBB20_2004
.LBB20_2003:
	v_bfe_u32 v0, v6, 16, 3
	v_ffbh_u32_e32 v5, v0
	v_min_u32_e32 v5, 32, v5
	v_lshrrev_b32_e32 v1, 19, v6
	v_subrev_u32_e32 v8, 28, v5
	v_and_b32_e32 v1, 15, v1
	v_lshlrev_b32_sdwa v8, v8, v6 dst_sel:DWORD dst_unused:UNUSED_PAD src0_sel:DWORD src1_sel:WORD_1
	v_bfe_u32 v4, v6, 19, 4
	v_sub_u32_e32 v5, 29, v5
	v_and_b32_e32 v8, 7, v8
	v_cmp_eq_u16_e32 vcc, 0, v1
	v_cndmask_b32_e32 v0, v0, v8, vcc
	v_cndmask_b32_e32 v1, v4, v5, vcc
	v_lshlrev_b32_e32 v4, 8, v6
	v_mov_b32_e32 v5, 0x3b800000
	v_lshlrev_b32_e32 v0, 20, v0
	v_and_b32_e32 v4, 0x80000000, v4
	v_lshl_add_u32 v1, v1, 23, v5
	v_or3_b32 v0, v4, v1, v0
.LBB20_2004:
	s_or_b64 exec, exec, s[6:7]
	s_movk_i32 s4, 0xff
	v_and_b32_sdwa v1, v2, s4 dst_sel:DWORD dst_unused:UNUSED_PAD src0_sel:WORD_1 src1_sel:DWORD
	s_movk_i32 s4, 0x7f
	v_cmp_lt_i16_e32 vcc, s4, v1
	s_mov_b64 s[4:5], 0
                                        ; implicit-def: $sgpr10
	s_and_saveexec_b64 s[6:7], vcc
	s_xor_b64 s[6:7], exec, s[6:7]
	s_cbranch_execnz .LBB20_4053
; %bb.2005:
	s_or_saveexec_b64 s[6:7], s[6:7]
	v_mov_b32_e32 v4, s10
	s_xor_b64 exec, exec, s[6:7]
	s_cbranch_execnz .LBB20_4056
.LBB20_2006:
	s_or_b64 exec, exec, s[6:7]
	s_and_saveexec_b64 s[6:7], s[4:5]
	s_cbranch_execz .LBB20_2008
.LBB20_2007:
	v_bfe_u32 v1, v2, 16, 3
	v_ffbh_u32_e32 v8, v1
	v_min_u32_e32 v8, 32, v8
	v_lshrrev_b32_e32 v4, 19, v2
	v_subrev_u32_e32 v9, 28, v8
	v_and_b32_e32 v4, 15, v4
	v_lshlrev_b32_sdwa v9, v9, v2 dst_sel:DWORD dst_unused:UNUSED_PAD src0_sel:DWORD src1_sel:WORD_1
	v_bfe_u32 v5, v2, 19, 4
	v_sub_u32_e32 v8, 29, v8
	v_and_b32_e32 v9, 7, v9
	v_cmp_eq_u16_e32 vcc, 0, v4
	v_cndmask_b32_e32 v1, v1, v9, vcc
	v_cndmask_b32_e32 v4, v5, v8, vcc
	v_lshlrev_b32_e32 v5, 8, v2
	v_mov_b32_e32 v8, 0x3b800000
	v_lshlrev_b32_e32 v1, 20, v1
	v_and_b32_e32 v5, 0x80000000, v5
	v_lshl_add_u32 v4, v4, 23, v8
	v_or3_b32 v4, v5, v4, v1
.LBB20_2008:
	s_or_b64 exec, exec, s[6:7]
	s_nop 0
	v_mfma_f32_16x16x4f32 a[0:3], v0, v4, a[0:3]
	s_movk_i32 s4, 0x7f
	v_cmp_gt_i16_sdwa s[6:7], v6, s4 src0_sel:BYTE_3 src1_sel:DWORD
	s_mov_b64 s[4:5], 0
                                        ; implicit-def: $sgpr10
	s_and_saveexec_b64 s[8:9], s[6:7]
	s_xor_b64 s[6:7], exec, s[8:9]
	s_cbranch_execnz .LBB20_4057
; %bb.2009:
	s_or_saveexec_b64 s[6:7], s[6:7]
	v_mov_b32_e32 v0, s10
	s_xor_b64 exec, exec, s[6:7]
	s_cbranch_execnz .LBB20_4060
.LBB20_2010:
	s_or_b64 exec, exec, s[6:7]
	s_and_saveexec_b64 s[6:7], s[4:5]
	s_cbranch_execz .LBB20_2012
.LBB20_2011:
	v_bfe_u32 v0, v6, 24, 3
	v_ffbh_u32_e32 v8, v0
	v_min_u32_e32 v8, 32, v8
	v_lshrrev_b32_e32 v4, 27, v6
	v_subrev_u32_e32 v9, 28, v8
	v_and_b32_e32 v1, 0x80000000, v6
	v_and_b32_e32 v4, 15, v4
	v_bfe_u32 v5, v6, 27, 4
	v_lshlrev_b32_sdwa v6, v9, v6 dst_sel:DWORD dst_unused:UNUSED_PAD src0_sel:DWORD src1_sel:BYTE_3
	v_sub_u32_e32 v8, 29, v8
	v_and_b32_e32 v6, 7, v6
	v_cmp_eq_u16_e32 vcc, 0, v4
	v_cndmask_b32_e32 v0, v0, v6, vcc
	v_cndmask_b32_e32 v4, v5, v8, vcc
	v_mov_b32_e32 v5, 0x3b800000
	v_lshlrev_b32_e32 v0, 20, v0
	v_lshl_add_u32 v4, v4, 23, v5
	v_or3_b32 v0, v1, v4, v0
.LBB20_2012:
	s_or_b64 exec, exec, s[6:7]
	s_movk_i32 s4, 0x7f
	v_cmp_gt_i16_sdwa s[6:7], v2, s4 src0_sel:BYTE_3 src1_sel:DWORD
	s_mov_b64 s[4:5], 0
                                        ; implicit-def: $sgpr10
	s_and_saveexec_b64 s[8:9], s[6:7]
	s_xor_b64 s[6:7], exec, s[8:9]
	s_cbranch_execnz .LBB20_4061
; %bb.2013:
	s_or_saveexec_b64 s[6:7], s[6:7]
	v_mov_b32_e32 v1, s10
	s_xor_b64 exec, exec, s[6:7]
	s_cbranch_execnz .LBB20_4064
.LBB20_2014:
	s_or_b64 exec, exec, s[6:7]
	s_and_saveexec_b64 s[6:7], s[4:5]
	s_cbranch_execz .LBB20_2016
.LBB20_2015:
	v_bfe_u32 v1, v2, 24, 3
	v_ffbh_u32_e32 v8, v1
	v_min_u32_e32 v8, 32, v8
	v_lshrrev_b32_e32 v5, 27, v2
	v_subrev_u32_e32 v9, 28, v8
	v_and_b32_e32 v4, 0x80000000, v2
	v_and_b32_e32 v5, 15, v5
	v_bfe_u32 v6, v2, 27, 4
	v_lshlrev_b32_sdwa v2, v9, v2 dst_sel:DWORD dst_unused:UNUSED_PAD src0_sel:DWORD src1_sel:BYTE_3
	v_sub_u32_e32 v8, 29, v8
	v_and_b32_e32 v2, 7, v2
	v_cmp_eq_u16_e32 vcc, 0, v5
	v_cndmask_b32_e32 v1, v1, v2, vcc
	v_cndmask_b32_e32 v2, v6, v8, vcc
	v_mov_b32_e32 v5, 0x3b800000
	v_lshlrev_b32_e32 v1, 20, v1
	v_lshl_add_u32 v2, v2, 23, v5
	v_or3_b32 v1, v4, v2, v1
.LBB20_2016:
	s_or_b64 exec, exec, s[6:7]
	s_nop 0
	v_mfma_f32_16x16x4f32 a[0:3], v0, v1, a[0:3]
	s_movk_i32 s4, 0x7f
	v_cmp_gt_i16_sdwa s[6:7], v7, s4 src0_sel:BYTE_0 src1_sel:DWORD
	s_mov_b64 s[4:5], 0
                                        ; implicit-def: $sgpr10
	s_and_saveexec_b64 s[8:9], s[6:7]
	s_xor_b64 s[6:7], exec, s[8:9]
	s_cbranch_execnz .LBB20_4065
; %bb.2017:
	s_or_saveexec_b64 s[6:7], s[6:7]
	v_mov_b32_e32 v0, s10
	s_xor_b64 exec, exec, s[6:7]
	s_cbranch_execnz .LBB20_4068
.LBB20_2018:
	s_or_b64 exec, exec, s[6:7]
	s_and_saveexec_b64 s[6:7], s[4:5]
	s_cbranch_execz .LBB20_2020
.LBB20_2019:
	v_mov_b32_e32 v0, 8
	v_and_b32_e32 v1, 7, v7
	v_lshrrev_b32_sdwa v0, v0, v7 dst_sel:BYTE_1 dst_unused:UNUSED_PAD src0_sel:DWORD src1_sel:DWORD
	v_ffbh_u32_e32 v2, v1
	v_or_b32_sdwa v0, v7, v0 dst_sel:DWORD dst_unused:UNUSED_PAD src0_sel:BYTE_0 src1_sel:DWORD
	v_min_u32_e32 v2, 32, v2
	v_lshrrev_b16_e32 v0, 3, v0
	v_subrev_u32_e32 v4, 28, v2
	v_and_b32_e32 v0, 15, v0
	v_lshlrev_b32_e32 v4, v4, v7
	v_sub_u32_e32 v2, 29, v2
	v_and_b32_e32 v4, 7, v4
	v_cmp_eq_u16_e32 vcc, 0, v0
	v_cndmask_b32_e32 v1, v1, v4, vcc
	v_cndmask_b32_e32 v0, v0, v2, vcc
	v_lshlrev_b32_e32 v2, 24, v7
	v_mov_b32_e32 v4, 0x3b800000
	v_lshlrev_b32_e32 v1, 20, v1
	v_and_b32_e32 v2, 0x80000000, v2
	v_lshl_add_u32 v0, v0, 23, v4
	v_or3_b32 v0, v2, v0, v1
.LBB20_2020:
	s_or_b64 exec, exec, s[6:7]
	s_movk_i32 s4, 0x7f
	v_cmp_gt_i16_sdwa s[6:7], v3, s4 src0_sel:BYTE_0 src1_sel:DWORD
	s_mov_b64 s[4:5], 0
                                        ; implicit-def: $sgpr10
	s_and_saveexec_b64 s[8:9], s[6:7]
	s_xor_b64 s[6:7], exec, s[8:9]
	s_cbranch_execnz .LBB20_4069
; %bb.2021:
	s_or_saveexec_b64 s[6:7], s[6:7]
	v_mov_b32_e32 v1, s10
	s_xor_b64 exec, exec, s[6:7]
	s_cbranch_execnz .LBB20_4072
.LBB20_2022:
	s_or_b64 exec, exec, s[6:7]
	s_and_saveexec_b64 s[6:7], s[4:5]
	s_cbranch_execz .LBB20_2024
.LBB20_2023:
	v_mov_b32_e32 v1, 8
	v_and_b32_e32 v2, 7, v3
	v_lshrrev_b32_sdwa v1, v1, v3 dst_sel:BYTE_1 dst_unused:UNUSED_PAD src0_sel:DWORD src1_sel:DWORD
	v_ffbh_u32_e32 v4, v2
	v_or_b32_sdwa v1, v3, v1 dst_sel:DWORD dst_unused:UNUSED_PAD src0_sel:BYTE_0 src1_sel:DWORD
	v_min_u32_e32 v4, 32, v4
	v_lshrrev_b16_e32 v1, 3, v1
	v_subrev_u32_e32 v5, 28, v4
	v_and_b32_e32 v1, 15, v1
	v_lshlrev_b32_e32 v5, v5, v3
	v_sub_u32_e32 v4, 29, v4
	v_and_b32_e32 v5, 7, v5
	v_cmp_eq_u16_e32 vcc, 0, v1
	v_cndmask_b32_e32 v2, v2, v5, vcc
	v_cndmask_b32_e32 v1, v1, v4, vcc
	v_lshlrev_b32_e32 v4, 24, v3
	v_mov_b32_e32 v5, 0x3b800000
	v_lshlrev_b32_e32 v2, 20, v2
	v_and_b32_e32 v4, 0x80000000, v4
	v_lshl_add_u32 v1, v1, 23, v5
	v_or3_b32 v1, v4, v1, v2
.LBB20_2024:
	s_or_b64 exec, exec, s[6:7]
	s_nop 0
	v_mfma_f32_16x16x4f32 a[0:3], v0, v1, a[0:3]
	v_lshrrev_b32_e32 v1, 8, v7
	s_movk_i32 s4, 0x7f
	v_cmp_gt_i16_sdwa s[6:7], v1, s4 src0_sel:BYTE_0 src1_sel:DWORD
	s_mov_b64 s[4:5], 0
                                        ; implicit-def: $sgpr10
	s_and_saveexec_b64 s[8:9], s[6:7]
	s_xor_b64 s[6:7], exec, s[8:9]
	s_cbranch_execnz .LBB20_4073
; %bb.2025:
	s_or_saveexec_b64 s[6:7], s[6:7]
	v_mov_b32_e32 v0, s10
	s_xor_b64 exec, exec, s[6:7]
	s_cbranch_execnz .LBB20_4076
.LBB20_2026:
	s_or_b64 exec, exec, s[6:7]
	s_and_saveexec_b64 s[6:7], s[4:5]
	s_cbranch_execz .LBB20_2028
.LBB20_2027:
	v_bfe_u32 v0, v7, 8, 3
	v_ffbh_u32_e32 v4, v0
	v_min_u32_e32 v4, 32, v4
	v_lshrrev_b16_e32 v2, 3, v1
	v_subrev_u32_e32 v5, 28, v4
	v_and_b32_e32 v2, 15, v2
	v_lshlrev_b32_e32 v1, v5, v1
	v_sub_u32_e32 v4, 29, v4
	v_and_b32_e32 v1, 7, v1
	v_cmp_eq_u16_e32 vcc, 0, v2
	v_cndmask_b32_e32 v0, v0, v1, vcc
	v_cndmask_b32_e32 v1, v2, v4, vcc
	v_lshlrev_b32_e32 v2, 16, v7
	v_mov_b32_e32 v4, 0x3b800000
	v_lshlrev_b32_e32 v0, 20, v0
	v_and_b32_e32 v2, 0x80000000, v2
	v_lshl_add_u32 v1, v1, 23, v4
	v_or3_b32 v0, v2, v1, v0
.LBB20_2028:
	s_or_b64 exec, exec, s[6:7]
	v_lshrrev_b32_e32 v1, 8, v3
	s_movk_i32 s4, 0x7f
	v_cmp_gt_i16_sdwa s[6:7], v1, s4 src0_sel:BYTE_0 src1_sel:DWORD
	s_mov_b64 s[4:5], 0
                                        ; implicit-def: $sgpr10
	s_and_saveexec_b64 s[8:9], s[6:7]
	s_xor_b64 s[6:7], exec, s[8:9]
	s_cbranch_execnz .LBB20_4077
; %bb.2029:
	s_or_saveexec_b64 s[6:7], s[6:7]
	v_mov_b32_e32 v2, s10
	s_xor_b64 exec, exec, s[6:7]
	s_cbranch_execnz .LBB20_4080
.LBB20_2030:
	s_or_b64 exec, exec, s[6:7]
	s_and_saveexec_b64 s[6:7], s[4:5]
	s_cbranch_execz .LBB20_2032
.LBB20_2031:
	v_bfe_u32 v2, v3, 8, 3
	v_ffbh_u32_e32 v5, v2
	v_min_u32_e32 v5, 32, v5
	v_lshrrev_b16_e32 v4, 3, v1
	v_subrev_u32_e32 v6, 28, v5
	v_and_b32_e32 v4, 15, v4
	v_lshlrev_b32_e32 v1, v6, v1
	v_sub_u32_e32 v5, 29, v5
	v_and_b32_e32 v1, 7, v1
	v_cmp_eq_u16_e32 vcc, 0, v4
	v_cndmask_b32_e32 v1, v2, v1, vcc
	v_cndmask_b32_e32 v2, v4, v5, vcc
	v_lshlrev_b32_e32 v4, 16, v3
	v_mov_b32_e32 v5, 0x3b800000
	v_lshlrev_b32_e32 v1, 20, v1
	v_and_b32_e32 v4, 0x80000000, v4
	v_lshl_add_u32 v2, v2, 23, v5
	v_or3_b32 v2, v4, v2, v1
.LBB20_2032:
	s_or_b64 exec, exec, s[6:7]
	s_nop 0
	v_mfma_f32_16x16x4f32 a[0:3], v0, v2, a[0:3]
	s_movk_i32 s4, 0xff
	v_and_b32_sdwa v1, v7, s4 dst_sel:DWORD dst_unused:UNUSED_PAD src0_sel:WORD_1 src1_sel:DWORD
	s_movk_i32 s4, 0x7f
	v_cmp_lt_i16_e32 vcc, s4, v1
	s_mov_b64 s[4:5], 0
                                        ; implicit-def: $sgpr10
	s_and_saveexec_b64 s[6:7], vcc
	s_xor_b64 s[6:7], exec, s[6:7]
	s_cbranch_execnz .LBB20_4081
; %bb.2033:
	s_or_saveexec_b64 s[6:7], s[6:7]
	v_mov_b32_e32 v0, s10
	s_xor_b64 exec, exec, s[6:7]
	s_cbranch_execnz .LBB20_4084
.LBB20_2034:
	s_or_b64 exec, exec, s[6:7]
	s_and_saveexec_b64 s[6:7], s[4:5]
	s_cbranch_execz .LBB20_2036
.LBB20_2035:
	v_bfe_u32 v0, v7, 16, 3
	v_ffbh_u32_e32 v4, v0
	v_min_u32_e32 v4, 32, v4
	v_lshrrev_b32_e32 v1, 19, v7
	v_subrev_u32_e32 v5, 28, v4
	v_and_b32_e32 v1, 15, v1
	v_lshlrev_b32_sdwa v5, v5, v7 dst_sel:DWORD dst_unused:UNUSED_PAD src0_sel:DWORD src1_sel:WORD_1
	v_bfe_u32 v2, v7, 19, 4
	v_sub_u32_e32 v4, 29, v4
	v_and_b32_e32 v5, 7, v5
	v_cmp_eq_u16_e32 vcc, 0, v1
	v_cndmask_b32_e32 v0, v0, v5, vcc
	v_cndmask_b32_e32 v1, v2, v4, vcc
	v_lshlrev_b32_e32 v2, 8, v7
	v_mov_b32_e32 v4, 0x3b800000
	v_lshlrev_b32_e32 v0, 20, v0
	v_and_b32_e32 v2, 0x80000000, v2
	v_lshl_add_u32 v1, v1, 23, v4
	v_or3_b32 v0, v2, v1, v0
.LBB20_2036:
	s_or_b64 exec, exec, s[6:7]
	s_movk_i32 s4, 0xff
	v_and_b32_sdwa v1, v3, s4 dst_sel:DWORD dst_unused:UNUSED_PAD src0_sel:WORD_1 src1_sel:DWORD
	s_movk_i32 s4, 0x7f
	v_cmp_lt_i16_e32 vcc, s4, v1
	s_mov_b64 s[4:5], 0
                                        ; implicit-def: $sgpr10
	s_and_saveexec_b64 s[6:7], vcc
	s_xor_b64 s[6:7], exec, s[6:7]
	s_cbranch_execnz .LBB20_4085
; %bb.2037:
	s_or_saveexec_b64 s[6:7], s[6:7]
	v_mov_b32_e32 v2, s10
	s_xor_b64 exec, exec, s[6:7]
	s_cbranch_execnz .LBB20_4088
.LBB20_2038:
	s_or_b64 exec, exec, s[6:7]
	s_and_saveexec_b64 s[6:7], s[4:5]
	s_cbranch_execz .LBB20_2040
.LBB20_2039:
	v_bfe_u32 v1, v3, 16, 3
	v_ffbh_u32_e32 v5, v1
	v_min_u32_e32 v5, 32, v5
	v_lshrrev_b32_e32 v2, 19, v3
	v_subrev_u32_e32 v6, 28, v5
	v_and_b32_e32 v2, 15, v2
	v_lshlrev_b32_sdwa v6, v6, v3 dst_sel:DWORD dst_unused:UNUSED_PAD src0_sel:DWORD src1_sel:WORD_1
	v_bfe_u32 v4, v3, 19, 4
	v_sub_u32_e32 v5, 29, v5
	v_and_b32_e32 v6, 7, v6
	v_cmp_eq_u16_e32 vcc, 0, v2
	v_cndmask_b32_e32 v1, v1, v6, vcc
	v_cndmask_b32_e32 v2, v4, v5, vcc
	v_lshlrev_b32_e32 v4, 8, v3
	v_mov_b32_e32 v5, 0x3b800000
	v_lshlrev_b32_e32 v1, 20, v1
	v_and_b32_e32 v4, 0x80000000, v4
	v_lshl_add_u32 v2, v2, 23, v5
	v_or3_b32 v2, v4, v2, v1
.LBB20_2040:
	s_or_b64 exec, exec, s[6:7]
	s_nop 0
	v_mfma_f32_16x16x4f32 a[0:3], v0, v2, a[0:3]
	s_movk_i32 s4, 0x7f
	v_cmp_gt_i16_sdwa s[6:7], v7, s4 src0_sel:BYTE_3 src1_sel:DWORD
	s_mov_b64 s[4:5], 0
                                        ; implicit-def: $sgpr10
	s_and_saveexec_b64 s[8:9], s[6:7]
	s_xor_b64 s[6:7], exec, s[8:9]
	s_cbranch_execnz .LBB20_4089
; %bb.2041:
	s_or_saveexec_b64 s[6:7], s[6:7]
	v_mov_b32_e32 v0, s10
	s_xor_b64 exec, exec, s[6:7]
	s_cbranch_execnz .LBB20_4092
.LBB20_2042:
	s_or_b64 exec, exec, s[6:7]
	s_and_saveexec_b64 s[6:7], s[4:5]
	s_cbranch_execz .LBB20_2044
.LBB20_2043:
	v_bfe_u32 v0, v7, 24, 3
	v_ffbh_u32_e32 v5, v0
	v_min_u32_e32 v5, 32, v5
	v_lshrrev_b32_e32 v2, 27, v7
	v_subrev_u32_e32 v6, 28, v5
	v_and_b32_e32 v2, 15, v2
	v_lshlrev_b32_sdwa v6, v6, v7 dst_sel:DWORD dst_unused:UNUSED_PAD src0_sel:DWORD src1_sel:BYTE_3
	v_bfe_u32 v4, v7, 27, 4
	v_sub_u32_e32 v5, 29, v5
	v_and_b32_e32 v6, 7, v6
	v_cmp_eq_u16_e32 vcc, 0, v2
	v_cndmask_b32_e32 v0, v0, v6, vcc
	v_cndmask_b32_e32 v2, v4, v5, vcc
	v_mov_b32_e32 v4, 0x3b800000
	v_and_b32_e32 v1, 0x80000000, v7
	v_lshlrev_b32_e32 v0, 20, v0
	v_lshl_add_u32 v2, v2, 23, v4
	v_or3_b32 v0, v1, v2, v0
.LBB20_2044:
	s_or_b64 exec, exec, s[6:7]
	s_movk_i32 s4, 0x7f
	v_cmp_gt_i16_sdwa s[6:7], v3, s4 src0_sel:BYTE_3 src1_sel:DWORD
	s_mov_b64 s[4:5], 0
                                        ; implicit-def: $sgpr10
	s_and_saveexec_b64 s[8:9], s[6:7]
	s_xor_b64 s[6:7], exec, s[8:9]
	s_cbranch_execnz .LBB20_4093
; %bb.2045:
	s_or_saveexec_b64 s[6:7], s[6:7]
	v_mov_b32_e32 v1, s10
	s_xor_b64 exec, exec, s[6:7]
	s_cbranch_execnz .LBB20_4096
.LBB20_2046:
	s_or_b64 exec, exec, s[6:7]
	s_and_saveexec_b64 s[6:7], s[4:5]
	s_cbranch_execz .LBB20_2048
.LBB20_2047:
	v_bfe_u32 v1, v3, 24, 3
	v_ffbh_u32_e32 v6, v1
	v_min_u32_e32 v6, 32, v6
	v_lshrrev_b32_e32 v4, 27, v3
	v_subrev_u32_e32 v7, 28, v6
	v_and_b32_e32 v2, 0x80000000, v3
	v_and_b32_e32 v4, 15, v4
	v_bfe_u32 v5, v3, 27, 4
	v_lshlrev_b32_sdwa v3, v7, v3 dst_sel:DWORD dst_unused:UNUSED_PAD src0_sel:DWORD src1_sel:BYTE_3
	v_sub_u32_e32 v6, 29, v6
	v_and_b32_e32 v3, 7, v3
	v_cmp_eq_u16_e32 vcc, 0, v4
	v_cndmask_b32_e32 v1, v1, v3, vcc
	v_cndmask_b32_e32 v3, v5, v6, vcc
	v_mov_b32_e32 v4, 0x3b800000
	v_lshlrev_b32_e32 v1, 20, v1
	v_lshl_add_u32 v3, v3, 23, v4
	v_or3_b32 v1, v2, v3, v1
.LBB20_2048:
	s_or_b64 exec, exec, s[6:7]
	s_nop 0
	v_mfma_f32_16x16x4f32 a[0:3], v0, v1, a[0:3]
	s_nop 7
	s_nop 2
	flat_store_dwordx4 v[16:17], a[0:3] offset:368
	s_waitcnt vmcnt(0) lgkmcnt(0)
	s_setpc_b64 s[30:31]
.LBB20_2049:
	s_movk_i32 s4, 0x80
	v_cmp_eq_u16_sdwa s[12:13], v14, s4 src0_sel:BYTE_0 src1_sel:DWORD
	s_mov_b64 s[4:5], -1
                                        ; implicit-def: $sgpr10
	s_and_saveexec_b64 s[8:9], s[12:13]
; %bb.2050:
	s_mov_b32 s10, 0x7f800001
	s_xor_b64 s[4:5], exec, -1
; %bb.2051:
	s_or_b64 exec, exec, s[8:9]
	s_and_b64 s[4:5], s[4:5], exec
	s_or_saveexec_b64 s[6:7], s[6:7]
	v_mov_b32_e32 v20, s10
	s_xor_b64 exec, exec, s[6:7]
	s_cbranch_execz .LBB20_2
.LBB20_2052:
	v_mov_b32_e32 v20, 0
	v_cmp_ne_u16_sdwa s[8:9], v14, v20 src0_sel:BYTE_0 src1_sel:DWORD
	s_andn2_b64 s[4:5], s[4:5], exec
	s_and_b64 s[8:9], s[8:9], exec
	s_or_b64 s[4:5], s[4:5], s[8:9]
	s_or_b64 exec, exec, s[6:7]
	s_and_saveexec_b64 s[6:7], s[4:5]
	s_cbranch_execnz .LBB20_3
	s_branch .LBB20_4
.LBB20_2053:
	s_movk_i32 s4, 0x80
	v_cmp_eq_u16_sdwa s[12:13], v10, s4 src0_sel:BYTE_0 src1_sel:DWORD
	s_mov_b64 s[4:5], -1
                                        ; implicit-def: $sgpr10
	s_and_saveexec_b64 s[8:9], s[12:13]
; %bb.2054:
	s_mov_b32 s10, 0x7f800001
	s_xor_b64 s[4:5], exec, -1
; %bb.2055:
	s_or_b64 exec, exec, s[8:9]
	s_and_b64 s[4:5], s[4:5], exec
	s_or_saveexec_b64 s[6:7], s[6:7]
	v_mov_b32_e32 v21, s10
	s_xor_b64 exec, exec, s[6:7]
	s_cbranch_execz .LBB20_6
.LBB20_2056:
	v_mov_b32_e32 v21, 0
	v_cmp_ne_u16_sdwa s[8:9], v10, v21 src0_sel:BYTE_0 src1_sel:DWORD
	s_andn2_b64 s[4:5], s[4:5], exec
	s_and_b64 s[8:9], s[8:9], exec
	s_or_b64 s[4:5], s[4:5], s[8:9]
	s_or_b64 exec, exec, s[6:7]
	s_and_saveexec_b64 s[6:7], s[4:5]
	s_cbranch_execnz .LBB20_7
	s_branch .LBB20_8
.LBB20_2057:
	s_movk_i32 s4, 0x80
	v_cmp_eq_u16_sdwa s[12:13], v21, s4 src0_sel:BYTE_0 src1_sel:DWORD
	s_mov_b64 s[4:5], -1
                                        ; implicit-def: $sgpr10
	s_and_saveexec_b64 s[8:9], s[12:13]
; %bb.2058:
	s_mov_b32 s10, 0x7f800001
	s_xor_b64 s[4:5], exec, -1
; %bb.2059:
	s_or_b64 exec, exec, s[8:9]
	s_and_b64 s[4:5], s[4:5], exec
	s_or_saveexec_b64 s[6:7], s[6:7]
	v_mov_b32_e32 v20, s10
	s_xor_b64 exec, exec, s[6:7]
	s_cbranch_execz .LBB20_10
.LBB20_2060:
	v_mov_b32_e32 v20, 0
	v_cmp_ne_u16_sdwa s[8:9], v21, v20 src0_sel:BYTE_0 src1_sel:DWORD
	s_andn2_b64 s[4:5], s[4:5], exec
	s_and_b64 s[8:9], s[8:9], exec
	s_or_b64 s[4:5], s[4:5], s[8:9]
	s_or_b64 exec, exec, s[6:7]
	s_and_saveexec_b64 s[6:7], s[4:5]
	s_cbranch_execnz .LBB20_11
	s_branch .LBB20_12
.LBB20_2061:
	s_movk_i32 s4, 0x80
	v_cmp_eq_u16_sdwa s[12:13], v21, s4 src0_sel:BYTE_0 src1_sel:DWORD
	s_mov_b64 s[4:5], -1
                                        ; implicit-def: $sgpr10
	s_and_saveexec_b64 s[8:9], s[12:13]
; %bb.2062:
	s_mov_b32 s10, 0x7f800001
	s_xor_b64 s[4:5], exec, -1
; %bb.2063:
	s_or_b64 exec, exec, s[8:9]
	s_and_b64 s[4:5], s[4:5], exec
	s_or_saveexec_b64 s[6:7], s[6:7]
	v_mov_b32_e32 v22, s10
	s_xor_b64 exec, exec, s[6:7]
	s_cbranch_execz .LBB20_14
.LBB20_2064:
	v_mov_b32_e32 v22, 0
	v_cmp_ne_u16_sdwa s[8:9], v21, v22 src0_sel:BYTE_0 src1_sel:DWORD
	s_andn2_b64 s[4:5], s[4:5], exec
	s_and_b64 s[8:9], s[8:9], exec
	s_or_b64 s[4:5], s[4:5], s[8:9]
	s_or_b64 exec, exec, s[6:7]
	s_and_saveexec_b64 s[6:7], s[4:5]
	s_cbranch_execnz .LBB20_15
	s_branch .LBB20_16
.LBB20_2065:
	s_movk_i32 s4, 0x80
	v_cmp_eq_u16_e32 vcc, s4, v21
	s_mov_b64 s[4:5], -1
                                        ; implicit-def: $sgpr10
	s_and_saveexec_b64 s[8:9], vcc
; %bb.2066:
	s_mov_b32 s10, 0x7f800001
	s_xor_b64 s[4:5], exec, -1
; %bb.2067:
	s_or_b64 exec, exec, s[8:9]
	s_and_b64 s[4:5], s[4:5], exec
                                        ; implicit-def: $vgpr21
	s_or_saveexec_b64 s[6:7], s[6:7]
	v_mov_b32_e32 v20, s10
	s_xor_b64 exec, exec, s[6:7]
	s_cbranch_execz .LBB20_18
.LBB20_2068:
	v_cmp_ne_u16_e32 vcc, 0, v21
	s_andn2_b64 s[4:5], s[4:5], exec
	s_and_b64 s[8:9], vcc, exec
	v_mov_b32_e32 v20, 0
	s_or_b64 s[4:5], s[4:5], s[8:9]
	s_or_b64 exec, exec, s[6:7]
	s_and_saveexec_b64 s[6:7], s[4:5]
	s_cbranch_execnz .LBB20_19
	s_branch .LBB20_20
.LBB20_2069:
	s_movk_i32 s4, 0x80
	v_cmp_eq_u16_e32 vcc, s4, v21
	s_mov_b64 s[4:5], -1
                                        ; implicit-def: $sgpr10
	s_and_saveexec_b64 s[8:9], vcc
; %bb.2070:
	s_mov_b32 s10, 0x7f800001
	s_xor_b64 s[4:5], exec, -1
; %bb.2071:
	s_or_b64 exec, exec, s[8:9]
	s_and_b64 s[4:5], s[4:5], exec
                                        ; implicit-def: $vgpr21
	s_or_saveexec_b64 s[6:7], s[6:7]
	v_mov_b32_e32 v22, s10
	s_xor_b64 exec, exec, s[6:7]
	s_cbranch_execz .LBB20_22
.LBB20_2072:
	v_cmp_ne_u16_e32 vcc, 0, v21
	s_andn2_b64 s[4:5], s[4:5], exec
	s_and_b64 s[8:9], vcc, exec
	v_mov_b32_e32 v22, 0
	s_or_b64 s[4:5], s[4:5], s[8:9]
	s_or_b64 exec, exec, s[6:7]
	s_and_saveexec_b64 s[6:7], s[4:5]
	s_cbranch_execnz .LBB20_23
	s_branch .LBB20_24
.LBB20_2073:
	s_movk_i32 s4, 0x80
	v_cmp_eq_u16_sdwa s[12:13], v14, s4 src0_sel:BYTE_3 src1_sel:DWORD
	s_mov_b64 s[4:5], -1
                                        ; implicit-def: $sgpr10
	s_and_saveexec_b64 s[8:9], s[12:13]
; %bb.2074:
	s_mov_b32 s10, 0x7f800001
	s_xor_b64 s[4:5], exec, -1
; %bb.2075:
	s_or_b64 exec, exec, s[8:9]
	s_and_b64 s[4:5], s[4:5], exec
	s_or_saveexec_b64 s[6:7], s[6:7]
	v_mov_b32_e32 v20, s10
	s_xor_b64 exec, exec, s[6:7]
	s_cbranch_execz .LBB20_26
.LBB20_2076:
	v_mov_b32_e32 v20, 0
	v_cmp_ne_u16_sdwa s[8:9], v14, v20 src0_sel:BYTE_3 src1_sel:DWORD
	s_andn2_b64 s[4:5], s[4:5], exec
	s_and_b64 s[8:9], s[8:9], exec
	s_or_b64 s[4:5], s[4:5], s[8:9]
	s_or_b64 exec, exec, s[6:7]
	s_and_saveexec_b64 s[6:7], s[4:5]
	s_cbranch_execnz .LBB20_27
	s_branch .LBB20_28
.LBB20_2077:
	s_movk_i32 s4, 0x80
	v_cmp_eq_u16_sdwa s[12:13], v10, s4 src0_sel:BYTE_3 src1_sel:DWORD
	s_mov_b64 s[4:5], -1
                                        ; implicit-def: $sgpr10
	s_and_saveexec_b64 s[8:9], s[12:13]
; %bb.2078:
	s_mov_b32 s10, 0x7f800001
	s_xor_b64 s[4:5], exec, -1
; %bb.2079:
	s_or_b64 exec, exec, s[8:9]
	s_and_b64 s[4:5], s[4:5], exec
	s_or_saveexec_b64 s[6:7], s[6:7]
	v_mov_b32_e32 v14, s10
	s_xor_b64 exec, exec, s[6:7]
	s_cbranch_execz .LBB20_30
.LBB20_2080:
	v_mov_b32_e32 v14, 0
	v_cmp_ne_u16_sdwa s[8:9], v10, v14 src0_sel:BYTE_3 src1_sel:DWORD
	s_andn2_b64 s[4:5], s[4:5], exec
	s_and_b64 s[8:9], s[8:9], exec
	s_or_b64 s[4:5], s[4:5], s[8:9]
	s_or_b64 exec, exec, s[6:7]
	s_and_saveexec_b64 s[6:7], s[4:5]
	s_cbranch_execnz .LBB20_31
	s_branch .LBB20_32
.LBB20_2081:
	s_movk_i32 s4, 0x80
	v_cmp_eq_u16_sdwa s[12:13], v15, s4 src0_sel:BYTE_0 src1_sel:DWORD
	s_mov_b64 s[4:5], -1
                                        ; implicit-def: $sgpr10
	s_and_saveexec_b64 s[8:9], s[12:13]
; %bb.2082:
	s_mov_b32 s10, 0x7f800001
	s_xor_b64 s[4:5], exec, -1
; %bb.2083:
	s_or_b64 exec, exec, s[8:9]
	s_and_b64 s[4:5], s[4:5], exec
	s_or_saveexec_b64 s[6:7], s[6:7]
	v_mov_b32_e32 v10, s10
	s_xor_b64 exec, exec, s[6:7]
	s_cbranch_execz .LBB20_34
.LBB20_2084:
	v_mov_b32_e32 v10, 0
	v_cmp_ne_u16_sdwa s[8:9], v15, v10 src0_sel:BYTE_0 src1_sel:DWORD
	s_andn2_b64 s[4:5], s[4:5], exec
	s_and_b64 s[8:9], s[8:9], exec
	s_or_b64 s[4:5], s[4:5], s[8:9]
	s_or_b64 exec, exec, s[6:7]
	s_and_saveexec_b64 s[6:7], s[4:5]
	s_cbranch_execnz .LBB20_35
	s_branch .LBB20_36
.LBB20_2085:
	s_movk_i32 s4, 0x80
	v_cmp_eq_u16_sdwa s[12:13], v11, s4 src0_sel:BYTE_0 src1_sel:DWORD
	s_mov_b64 s[4:5], -1
                                        ; implicit-def: $sgpr10
	s_and_saveexec_b64 s[8:9], s[12:13]
; %bb.2086:
	s_mov_b32 s10, 0x7f800001
	s_xor_b64 s[4:5], exec, -1
; %bb.2087:
	s_or_b64 exec, exec, s[8:9]
	s_and_b64 s[4:5], s[4:5], exec
	s_or_saveexec_b64 s[6:7], s[6:7]
	v_mov_b32_e32 v14, s10
	s_xor_b64 exec, exec, s[6:7]
	s_cbranch_execz .LBB20_38
.LBB20_2088:
	v_mov_b32_e32 v14, 0
	v_cmp_ne_u16_sdwa s[8:9], v11, v14 src0_sel:BYTE_0 src1_sel:DWORD
	s_andn2_b64 s[4:5], s[4:5], exec
	s_and_b64 s[8:9], s[8:9], exec
	s_or_b64 s[4:5], s[4:5], s[8:9]
	s_or_b64 exec, exec, s[6:7]
	s_and_saveexec_b64 s[6:7], s[4:5]
	s_cbranch_execnz .LBB20_39
	s_branch .LBB20_40
.LBB20_2089:
	s_movk_i32 s4, 0x80
	v_cmp_eq_u16_sdwa s[12:13], v14, s4 src0_sel:BYTE_0 src1_sel:DWORD
	s_mov_b64 s[4:5], -1
                                        ; implicit-def: $sgpr10
	s_and_saveexec_b64 s[8:9], s[12:13]
; %bb.2090:
	s_mov_b32 s10, 0x7f800001
	s_xor_b64 s[4:5], exec, -1
; %bb.2091:
	s_or_b64 exec, exec, s[8:9]
	s_and_b64 s[4:5], s[4:5], exec
	s_or_saveexec_b64 s[6:7], s[6:7]
	v_mov_b32_e32 v10, s10
	s_xor_b64 exec, exec, s[6:7]
	s_cbranch_execz .LBB20_42
.LBB20_2092:
	v_mov_b32_e32 v10, 0
	v_cmp_ne_u16_sdwa s[8:9], v14, v10 src0_sel:BYTE_0 src1_sel:DWORD
	s_andn2_b64 s[4:5], s[4:5], exec
	s_and_b64 s[8:9], s[8:9], exec
	s_or_b64 s[4:5], s[4:5], s[8:9]
	s_or_b64 exec, exec, s[6:7]
	s_and_saveexec_b64 s[6:7], s[4:5]
	s_cbranch_execnz .LBB20_43
	s_branch .LBB20_44
.LBB20_2093:
	s_movk_i32 s4, 0x80
	v_cmp_eq_u16_sdwa s[12:13], v14, s4 src0_sel:BYTE_0 src1_sel:DWORD
	s_mov_b64 s[4:5], -1
                                        ; implicit-def: $sgpr10
	s_and_saveexec_b64 s[8:9], s[12:13]
; %bb.2094:
	s_mov_b32 s10, 0x7f800001
	s_xor_b64 s[4:5], exec, -1
; %bb.2095:
	s_or_b64 exec, exec, s[8:9]
	s_and_b64 s[4:5], s[4:5], exec
	s_or_saveexec_b64 s[6:7], s[6:7]
	v_mov_b32_e32 v20, s10
	s_xor_b64 exec, exec, s[6:7]
	s_cbranch_execz .LBB20_46
.LBB20_2096:
	v_mov_b32_e32 v20, 0
	v_cmp_ne_u16_sdwa s[8:9], v14, v20 src0_sel:BYTE_0 src1_sel:DWORD
	s_andn2_b64 s[4:5], s[4:5], exec
	s_and_b64 s[8:9], s[8:9], exec
	s_or_b64 s[4:5], s[4:5], s[8:9]
	s_or_b64 exec, exec, s[6:7]
	s_and_saveexec_b64 s[6:7], s[4:5]
	s_cbranch_execnz .LBB20_47
	s_branch .LBB20_48
.LBB20_2097:
	s_movk_i32 s4, 0x80
	v_cmp_eq_u16_e32 vcc, s4, v14
	s_mov_b64 s[4:5], -1
                                        ; implicit-def: $sgpr10
	s_and_saveexec_b64 s[8:9], vcc
; %bb.2098:
	s_mov_b32 s10, 0x7f800001
	s_xor_b64 s[4:5], exec, -1
; %bb.2099:
	s_or_b64 exec, exec, s[8:9]
	s_and_b64 s[4:5], s[4:5], exec
                                        ; implicit-def: $vgpr14
	s_or_saveexec_b64 s[6:7], s[6:7]
	v_mov_b32_e32 v10, s10
	s_xor_b64 exec, exec, s[6:7]
	s_cbranch_execz .LBB20_50
.LBB20_2100:
	v_cmp_ne_u16_e32 vcc, 0, v14
	s_andn2_b64 s[4:5], s[4:5], exec
	s_and_b64 s[8:9], vcc, exec
	v_mov_b32_e32 v10, 0
	s_or_b64 s[4:5], s[4:5], s[8:9]
	s_or_b64 exec, exec, s[6:7]
	s_and_saveexec_b64 s[6:7], s[4:5]
	s_cbranch_execnz .LBB20_51
	s_branch .LBB20_52
.LBB20_2101:
	s_movk_i32 s4, 0x80
	v_cmp_eq_u16_e32 vcc, s4, v14
	s_mov_b64 s[4:5], -1
                                        ; implicit-def: $sgpr10
	s_and_saveexec_b64 s[8:9], vcc
; %bb.2102:
	s_mov_b32 s10, 0x7f800001
	s_xor_b64 s[4:5], exec, -1
; %bb.2103:
	s_or_b64 exec, exec, s[8:9]
	s_and_b64 s[4:5], s[4:5], exec
                                        ; implicit-def: $vgpr14
	s_or_saveexec_b64 s[6:7], s[6:7]
	v_mov_b32_e32 v20, s10
	s_xor_b64 exec, exec, s[6:7]
	s_cbranch_execz .LBB20_54
.LBB20_2104:
	v_cmp_ne_u16_e32 vcc, 0, v14
	s_andn2_b64 s[4:5], s[4:5], exec
	s_and_b64 s[8:9], vcc, exec
	v_mov_b32_e32 v20, 0
	s_or_b64 s[4:5], s[4:5], s[8:9]
	s_or_b64 exec, exec, s[6:7]
	s_and_saveexec_b64 s[6:7], s[4:5]
	s_cbranch_execnz .LBB20_55
	s_branch .LBB20_56
.LBB20_2105:
	s_movk_i32 s4, 0x80
	v_cmp_eq_u16_sdwa s[12:13], v15, s4 src0_sel:BYTE_3 src1_sel:DWORD
	s_mov_b64 s[4:5], -1
                                        ; implicit-def: $sgpr10
	s_and_saveexec_b64 s[8:9], s[12:13]
; %bb.2106:
	s_mov_b32 s10, 0x7f800001
	s_xor_b64 s[4:5], exec, -1
; %bb.2107:
	s_or_b64 exec, exec, s[8:9]
	s_and_b64 s[4:5], s[4:5], exec
	s_or_saveexec_b64 s[6:7], s[6:7]
	v_mov_b32_e32 v10, s10
	s_xor_b64 exec, exec, s[6:7]
	s_cbranch_execz .LBB20_58
.LBB20_2108:
	v_mov_b32_e32 v10, 0
	v_cmp_ne_u16_sdwa s[8:9], v15, v10 src0_sel:BYTE_3 src1_sel:DWORD
	s_andn2_b64 s[4:5], s[4:5], exec
	s_and_b64 s[8:9], s[8:9], exec
	s_or_b64 s[4:5], s[4:5], s[8:9]
	s_or_b64 exec, exec, s[6:7]
	s_and_saveexec_b64 s[6:7], s[4:5]
	s_cbranch_execnz .LBB20_59
	s_branch .LBB20_60
.LBB20_2109:
	s_movk_i32 s4, 0x80
	v_cmp_eq_u16_sdwa s[12:13], v11, s4 src0_sel:BYTE_3 src1_sel:DWORD
	s_mov_b64 s[4:5], -1
                                        ; implicit-def: $sgpr10
	s_and_saveexec_b64 s[8:9], s[12:13]
; %bb.2110:
	s_mov_b32 s10, 0x7f800001
	s_xor_b64 s[4:5], exec, -1
; %bb.2111:
	s_or_b64 exec, exec, s[8:9]
	s_and_b64 s[4:5], s[4:5], exec
	s_or_saveexec_b64 s[6:7], s[6:7]
	v_mov_b32_e32 v14, s10
	s_xor_b64 exec, exec, s[6:7]
	s_cbranch_execz .LBB20_62
.LBB20_2112:
	v_mov_b32_e32 v14, 0
	v_cmp_ne_u16_sdwa s[8:9], v11, v14 src0_sel:BYTE_3 src1_sel:DWORD
	s_andn2_b64 s[4:5], s[4:5], exec
	s_and_b64 s[8:9], s[8:9], exec
	s_or_b64 s[4:5], s[4:5], s[8:9]
	s_or_b64 exec, exec, s[6:7]
	s_and_saveexec_b64 s[6:7], s[4:5]
	s_cbranch_execnz .LBB20_63
	s_branch .LBB20_64
.LBB20_2113:
	s_movk_i32 s4, 0x80
	v_cmp_eq_u16_sdwa s[12:13], v16, s4 src0_sel:BYTE_0 src1_sel:DWORD
	s_mov_b64 s[4:5], -1
                                        ; implicit-def: $sgpr10
	s_and_saveexec_b64 s[8:9], s[12:13]
; %bb.2114:
	s_mov_b32 s10, 0x7f800001
	s_xor_b64 s[4:5], exec, -1
; %bb.2115:
	s_or_b64 exec, exec, s[8:9]
	s_and_b64 s[4:5], s[4:5], exec
	s_or_saveexec_b64 s[6:7], s[6:7]
	v_mov_b32_e32 v10, s10
	s_xor_b64 exec, exec, s[6:7]
	s_cbranch_execz .LBB20_66
.LBB20_2116:
	v_mov_b32_e32 v10, 0
	v_cmp_ne_u16_sdwa s[8:9], v16, v10 src0_sel:BYTE_0 src1_sel:DWORD
	s_andn2_b64 s[4:5], s[4:5], exec
	s_and_b64 s[8:9], s[8:9], exec
	s_or_b64 s[4:5], s[4:5], s[8:9]
	s_or_b64 exec, exec, s[6:7]
	s_and_saveexec_b64 s[6:7], s[4:5]
	s_cbranch_execnz .LBB20_67
	s_branch .LBB20_68
.LBB20_2117:
	s_movk_i32 s4, 0x80
	v_cmp_eq_u16_sdwa s[12:13], v12, s4 src0_sel:BYTE_0 src1_sel:DWORD
	s_mov_b64 s[4:5], -1
                                        ; implicit-def: $sgpr10
	s_and_saveexec_b64 s[8:9], s[12:13]
; %bb.2118:
	s_mov_b32 s10, 0x7f800001
	s_xor_b64 s[4:5], exec, -1
; %bb.2119:
	s_or_b64 exec, exec, s[8:9]
	s_and_b64 s[4:5], s[4:5], exec
	s_or_saveexec_b64 s[6:7], s[6:7]
	v_mov_b32_e32 v11, s10
	s_xor_b64 exec, exec, s[6:7]
	s_cbranch_execz .LBB20_70
.LBB20_2120:
	v_mov_b32_e32 v11, 0
	v_cmp_ne_u16_sdwa s[8:9], v12, v11 src0_sel:BYTE_0 src1_sel:DWORD
	s_andn2_b64 s[4:5], s[4:5], exec
	s_and_b64 s[8:9], s[8:9], exec
	s_or_b64 s[4:5], s[4:5], s[8:9]
	s_or_b64 exec, exec, s[6:7]
	s_and_saveexec_b64 s[6:7], s[4:5]
	s_cbranch_execnz .LBB20_71
	s_branch .LBB20_72
.LBB20_2121:
	s_movk_i32 s4, 0x80
	v_cmp_eq_u16_sdwa s[12:13], v11, s4 src0_sel:BYTE_0 src1_sel:DWORD
	s_mov_b64 s[4:5], -1
                                        ; implicit-def: $sgpr10
	s_and_saveexec_b64 s[8:9], s[12:13]
; %bb.2122:
	s_mov_b32 s10, 0x7f800001
	s_xor_b64 s[4:5], exec, -1
; %bb.2123:
	s_or_b64 exec, exec, s[8:9]
	s_and_b64 s[4:5], s[4:5], exec
	s_or_saveexec_b64 s[6:7], s[6:7]
	v_mov_b32_e32 v10, s10
	s_xor_b64 exec, exec, s[6:7]
	s_cbranch_execz .LBB20_74
.LBB20_2124:
	v_mov_b32_e32 v10, 0
	v_cmp_ne_u16_sdwa s[8:9], v11, v10 src0_sel:BYTE_0 src1_sel:DWORD
	s_andn2_b64 s[4:5], s[4:5], exec
	s_and_b64 s[8:9], s[8:9], exec
	s_or_b64 s[4:5], s[4:5], s[8:9]
	s_or_b64 exec, exec, s[6:7]
	s_and_saveexec_b64 s[6:7], s[4:5]
	s_cbranch_execnz .LBB20_75
	s_branch .LBB20_76
.LBB20_2125:
	s_movk_i32 s4, 0x80
	v_cmp_eq_u16_sdwa s[12:13], v11, s4 src0_sel:BYTE_0 src1_sel:DWORD
	s_mov_b64 s[4:5], -1
                                        ; implicit-def: $sgpr10
	s_and_saveexec_b64 s[8:9], s[12:13]
; %bb.2126:
	s_mov_b32 s10, 0x7f800001
	s_xor_b64 s[4:5], exec, -1
; %bb.2127:
	s_or_b64 exec, exec, s[8:9]
	s_and_b64 s[4:5], s[4:5], exec
	s_or_saveexec_b64 s[6:7], s[6:7]
	v_mov_b32_e32 v14, s10
	s_xor_b64 exec, exec, s[6:7]
	s_cbranch_execz .LBB20_78
.LBB20_2128:
	v_mov_b32_e32 v14, 0
	v_cmp_ne_u16_sdwa s[8:9], v11, v14 src0_sel:BYTE_0 src1_sel:DWORD
	s_andn2_b64 s[4:5], s[4:5], exec
	s_and_b64 s[8:9], s[8:9], exec
	s_or_b64 s[4:5], s[4:5], s[8:9]
	s_or_b64 exec, exec, s[6:7]
	s_and_saveexec_b64 s[6:7], s[4:5]
	s_cbranch_execnz .LBB20_79
	s_branch .LBB20_80
.LBB20_2129:
	s_movk_i32 s4, 0x80
	v_cmp_eq_u16_e32 vcc, s4, v11
	s_mov_b64 s[4:5], -1
                                        ; implicit-def: $sgpr10
	s_and_saveexec_b64 s[8:9], vcc
; %bb.2130:
	s_mov_b32 s10, 0x7f800001
	s_xor_b64 s[4:5], exec, -1
; %bb.2131:
	s_or_b64 exec, exec, s[8:9]
	s_and_b64 s[4:5], s[4:5], exec
                                        ; implicit-def: $vgpr11
	s_or_saveexec_b64 s[6:7], s[6:7]
	v_mov_b32_e32 v10, s10
	s_xor_b64 exec, exec, s[6:7]
	s_cbranch_execz .LBB20_82
.LBB20_2132:
	v_cmp_ne_u16_e32 vcc, 0, v11
	s_andn2_b64 s[4:5], s[4:5], exec
	s_and_b64 s[8:9], vcc, exec
	v_mov_b32_e32 v10, 0
	s_or_b64 s[4:5], s[4:5], s[8:9]
	s_or_b64 exec, exec, s[6:7]
	s_and_saveexec_b64 s[6:7], s[4:5]
	s_cbranch_execnz .LBB20_83
	s_branch .LBB20_84
.LBB20_2133:
	s_movk_i32 s4, 0x80
	v_cmp_eq_u16_e32 vcc, s4, v11
	s_mov_b64 s[4:5], -1
                                        ; implicit-def: $sgpr10
	s_and_saveexec_b64 s[8:9], vcc
; %bb.2134:
	s_mov_b32 s10, 0x7f800001
	s_xor_b64 s[4:5], exec, -1
; %bb.2135:
	s_or_b64 exec, exec, s[8:9]
	s_and_b64 s[4:5], s[4:5], exec
                                        ; implicit-def: $vgpr11
	s_or_saveexec_b64 s[6:7], s[6:7]
	v_mov_b32_e32 v14, s10
	s_xor_b64 exec, exec, s[6:7]
	s_cbranch_execz .LBB20_86
.LBB20_2136:
	v_cmp_ne_u16_e32 vcc, 0, v11
	s_andn2_b64 s[4:5], s[4:5], exec
	s_and_b64 s[8:9], vcc, exec
	v_mov_b32_e32 v14, 0
	s_or_b64 s[4:5], s[4:5], s[8:9]
	s_or_b64 exec, exec, s[6:7]
	s_and_saveexec_b64 s[6:7], s[4:5]
	s_cbranch_execnz .LBB20_87
	s_branch .LBB20_88
.LBB20_2137:
	s_movk_i32 s4, 0x80
	v_cmp_eq_u16_sdwa s[12:13], v16, s4 src0_sel:BYTE_3 src1_sel:DWORD
	s_mov_b64 s[4:5], -1
                                        ; implicit-def: $sgpr10
	s_and_saveexec_b64 s[8:9], s[12:13]
; %bb.2138:
	s_mov_b32 s10, 0x7f800001
	s_xor_b64 s[4:5], exec, -1
; %bb.2139:
	s_or_b64 exec, exec, s[8:9]
	s_and_b64 s[4:5], s[4:5], exec
	s_or_saveexec_b64 s[6:7], s[6:7]
	v_mov_b32_e32 v10, s10
	s_xor_b64 exec, exec, s[6:7]
	s_cbranch_execz .LBB20_90
.LBB20_2140:
	v_mov_b32_e32 v10, 0
	v_cmp_ne_u16_sdwa s[8:9], v16, v10 src0_sel:BYTE_3 src1_sel:DWORD
	s_andn2_b64 s[4:5], s[4:5], exec
	s_and_b64 s[8:9], s[8:9], exec
	s_or_b64 s[4:5], s[4:5], s[8:9]
	s_or_b64 exec, exec, s[6:7]
	s_and_saveexec_b64 s[6:7], s[4:5]
	s_cbranch_execnz .LBB20_91
	s_branch .LBB20_92
.LBB20_2141:
	s_movk_i32 s4, 0x80
	v_cmp_eq_u16_sdwa s[12:13], v12, s4 src0_sel:BYTE_3 src1_sel:DWORD
	s_mov_b64 s[4:5], -1
                                        ; implicit-def: $sgpr10
	s_and_saveexec_b64 s[8:9], s[12:13]
; %bb.2142:
	s_mov_b32 s10, 0x7f800001
	s_xor_b64 s[4:5], exec, -1
; %bb.2143:
	s_or_b64 exec, exec, s[8:9]
	s_and_b64 s[4:5], s[4:5], exec
	s_or_saveexec_b64 s[6:7], s[6:7]
	v_mov_b32_e32 v11, s10
	s_xor_b64 exec, exec, s[6:7]
	s_cbranch_execz .LBB20_94
.LBB20_2144:
	v_mov_b32_e32 v11, 0
	v_cmp_ne_u16_sdwa s[8:9], v12, v11 src0_sel:BYTE_3 src1_sel:DWORD
	s_andn2_b64 s[4:5], s[4:5], exec
	s_and_b64 s[8:9], s[8:9], exec
	s_or_b64 s[4:5], s[4:5], s[8:9]
	s_or_b64 exec, exec, s[6:7]
	s_and_saveexec_b64 s[6:7], s[4:5]
	s_cbranch_execnz .LBB20_95
	s_branch .LBB20_96
.LBB20_2145:
	s_movk_i32 s4, 0x80
	v_cmp_eq_u16_sdwa s[12:13], v17, s4 src0_sel:BYTE_0 src1_sel:DWORD
	s_mov_b64 s[4:5], -1
                                        ; implicit-def: $sgpr10
	s_and_saveexec_b64 s[8:9], s[12:13]
; %bb.2146:
	s_mov_b32 s10, 0x7f800001
	s_xor_b64 s[4:5], exec, -1
; %bb.2147:
	s_or_b64 exec, exec, s[8:9]
	s_and_b64 s[4:5], s[4:5], exec
	s_or_saveexec_b64 s[6:7], s[6:7]
	v_mov_b32_e32 v10, s10
	s_xor_b64 exec, exec, s[6:7]
	s_cbranch_execz .LBB20_98
.LBB20_2148:
	v_mov_b32_e32 v10, 0
	v_cmp_ne_u16_sdwa s[8:9], v17, v10 src0_sel:BYTE_0 src1_sel:DWORD
	s_andn2_b64 s[4:5], s[4:5], exec
	s_and_b64 s[8:9], s[8:9], exec
	s_or_b64 s[4:5], s[4:5], s[8:9]
	s_or_b64 exec, exec, s[6:7]
	s_and_saveexec_b64 s[6:7], s[4:5]
	s_cbranch_execnz .LBB20_99
	s_branch .LBB20_100
.LBB20_2149:
	s_movk_i32 s4, 0x80
	v_cmp_eq_u16_sdwa s[12:13], v13, s4 src0_sel:BYTE_0 src1_sel:DWORD
	s_mov_b64 s[4:5], -1
                                        ; implicit-def: $sgpr10
	s_and_saveexec_b64 s[8:9], s[12:13]
; %bb.2150:
	s_mov_b32 s10, 0x7f800001
	s_xor_b64 s[4:5], exec, -1
; %bb.2151:
	s_or_b64 exec, exec, s[8:9]
	s_and_b64 s[4:5], s[4:5], exec
	s_or_saveexec_b64 s[6:7], s[6:7]
	v_mov_b32_e32 v11, s10
	s_xor_b64 exec, exec, s[6:7]
	s_cbranch_execz .LBB20_102
.LBB20_2152:
	v_mov_b32_e32 v11, 0
	v_cmp_ne_u16_sdwa s[8:9], v13, v11 src0_sel:BYTE_0 src1_sel:DWORD
	s_andn2_b64 s[4:5], s[4:5], exec
	s_and_b64 s[8:9], s[8:9], exec
	s_or_b64 s[4:5], s[4:5], s[8:9]
	s_or_b64 exec, exec, s[6:7]
	s_and_saveexec_b64 s[6:7], s[4:5]
	s_cbranch_execnz .LBB20_103
	s_branch .LBB20_104
.LBB20_2153:
	s_movk_i32 s4, 0x80
	v_cmp_eq_u16_sdwa s[12:13], v11, s4 src0_sel:BYTE_0 src1_sel:DWORD
	s_mov_b64 s[4:5], -1
                                        ; implicit-def: $sgpr10
	s_and_saveexec_b64 s[8:9], s[12:13]
; %bb.2154:
	s_mov_b32 s10, 0x7f800001
	s_xor_b64 s[4:5], exec, -1
; %bb.2155:
	s_or_b64 exec, exec, s[8:9]
	s_and_b64 s[4:5], s[4:5], exec
	s_or_saveexec_b64 s[6:7], s[6:7]
	v_mov_b32_e32 v10, s10
	s_xor_b64 exec, exec, s[6:7]
	s_cbranch_execz .LBB20_106
.LBB20_2156:
	v_mov_b32_e32 v10, 0
	v_cmp_ne_u16_sdwa s[8:9], v11, v10 src0_sel:BYTE_0 src1_sel:DWORD
	s_andn2_b64 s[4:5], s[4:5], exec
	s_and_b64 s[8:9], s[8:9], exec
	s_or_b64 s[4:5], s[4:5], s[8:9]
	s_or_b64 exec, exec, s[6:7]
	s_and_saveexec_b64 s[6:7], s[4:5]
	s_cbranch_execnz .LBB20_107
	s_branch .LBB20_108
.LBB20_2157:
	s_movk_i32 s4, 0x80
	v_cmp_eq_u16_sdwa s[12:13], v11, s4 src0_sel:BYTE_0 src1_sel:DWORD
	s_mov_b64 s[4:5], -1
                                        ; implicit-def: $sgpr10
	s_and_saveexec_b64 s[8:9], s[12:13]
; %bb.2158:
	s_mov_b32 s10, 0x7f800001
	s_xor_b64 s[4:5], exec, -1
; %bb.2159:
	s_or_b64 exec, exec, s[8:9]
	s_and_b64 s[4:5], s[4:5], exec
	s_or_saveexec_b64 s[6:7], s[6:7]
	v_mov_b32_e32 v12, s10
	s_xor_b64 exec, exec, s[6:7]
	s_cbranch_execz .LBB20_110
.LBB20_2160:
	v_mov_b32_e32 v12, 0
	v_cmp_ne_u16_sdwa s[8:9], v11, v12 src0_sel:BYTE_0 src1_sel:DWORD
	s_andn2_b64 s[4:5], s[4:5], exec
	s_and_b64 s[8:9], s[8:9], exec
	s_or_b64 s[4:5], s[4:5], s[8:9]
	s_or_b64 exec, exec, s[6:7]
	s_and_saveexec_b64 s[6:7], s[4:5]
	s_cbranch_execnz .LBB20_111
	s_branch .LBB20_112
.LBB20_2161:
	s_movk_i32 s4, 0x80
	v_cmp_eq_u16_e32 vcc, s4, v11
	s_mov_b64 s[4:5], -1
                                        ; implicit-def: $sgpr10
	s_and_saveexec_b64 s[8:9], vcc
; %bb.2162:
	s_mov_b32 s10, 0x7f800001
	s_xor_b64 s[4:5], exec, -1
; %bb.2163:
	s_or_b64 exec, exec, s[8:9]
	s_and_b64 s[4:5], s[4:5], exec
                                        ; implicit-def: $vgpr11
	s_or_saveexec_b64 s[6:7], s[6:7]
	v_mov_b32_e32 v10, s10
	s_xor_b64 exec, exec, s[6:7]
	s_cbranch_execz .LBB20_114
.LBB20_2164:
	v_cmp_ne_u16_e32 vcc, 0, v11
	s_andn2_b64 s[4:5], s[4:5], exec
	s_and_b64 s[8:9], vcc, exec
	v_mov_b32_e32 v10, 0
	s_or_b64 s[4:5], s[4:5], s[8:9]
	s_or_b64 exec, exec, s[6:7]
	s_and_saveexec_b64 s[6:7], s[4:5]
	s_cbranch_execnz .LBB20_115
	s_branch .LBB20_116
.LBB20_2165:
	s_movk_i32 s4, 0x80
	v_cmp_eq_u16_e32 vcc, s4, v11
	s_mov_b64 s[4:5], -1
                                        ; implicit-def: $sgpr10
	s_and_saveexec_b64 s[8:9], vcc
; %bb.2166:
	s_mov_b32 s10, 0x7f800001
	s_xor_b64 s[4:5], exec, -1
; %bb.2167:
	s_or_b64 exec, exec, s[8:9]
	s_and_b64 s[4:5], s[4:5], exec
                                        ; implicit-def: $vgpr11
	s_or_saveexec_b64 s[6:7], s[6:7]
	v_mov_b32_e32 v12, s10
	s_xor_b64 exec, exec, s[6:7]
	s_cbranch_execz .LBB20_118
.LBB20_2168:
	v_cmp_ne_u16_e32 vcc, 0, v11
	s_andn2_b64 s[4:5], s[4:5], exec
	s_and_b64 s[8:9], vcc, exec
	v_mov_b32_e32 v12, 0
	s_or_b64 s[4:5], s[4:5], s[8:9]
	s_or_b64 exec, exec, s[6:7]
	s_and_saveexec_b64 s[6:7], s[4:5]
	s_cbranch_execnz .LBB20_119
	s_branch .LBB20_120
.LBB20_2169:
	s_movk_i32 s4, 0x80
	v_cmp_eq_u16_sdwa s[12:13], v17, s4 src0_sel:BYTE_3 src1_sel:DWORD
	s_mov_b64 s[4:5], -1
                                        ; implicit-def: $sgpr10
	s_and_saveexec_b64 s[8:9], s[12:13]
; %bb.2170:
	s_mov_b32 s10, 0x7f800001
	s_xor_b64 s[4:5], exec, -1
; %bb.2171:
	s_or_b64 exec, exec, s[8:9]
	s_and_b64 s[4:5], s[4:5], exec
	s_or_saveexec_b64 s[6:7], s[6:7]
	v_mov_b32_e32 v10, s10
	s_xor_b64 exec, exec, s[6:7]
	s_cbranch_execz .LBB20_122
.LBB20_2172:
	v_mov_b32_e32 v10, 0
	v_cmp_ne_u16_sdwa s[8:9], v17, v10 src0_sel:BYTE_3 src1_sel:DWORD
	s_andn2_b64 s[4:5], s[4:5], exec
	s_and_b64 s[8:9], s[8:9], exec
	s_or_b64 s[4:5], s[4:5], s[8:9]
	s_or_b64 exec, exec, s[6:7]
	s_and_saveexec_b64 s[6:7], s[4:5]
	s_cbranch_execnz .LBB20_123
	s_branch .LBB20_124
.LBB20_2173:
	s_movk_i32 s4, 0x80
	v_cmp_eq_u16_sdwa s[12:13], v13, s4 src0_sel:BYTE_3 src1_sel:DWORD
	s_mov_b64 s[4:5], -1
                                        ; implicit-def: $sgpr10
	s_and_saveexec_b64 s[8:9], s[12:13]
; %bb.2174:
	s_mov_b32 s10, 0x7f800001
	s_xor_b64 s[4:5], exec, -1
; %bb.2175:
	s_or_b64 exec, exec, s[8:9]
	s_and_b64 s[4:5], s[4:5], exec
	s_or_saveexec_b64 s[6:7], s[6:7]
	v_mov_b32_e32 v11, s10
	s_xor_b64 exec, exec, s[6:7]
	s_cbranch_execz .LBB20_126
.LBB20_2176:
	v_mov_b32_e32 v11, 0
	v_cmp_ne_u16_sdwa s[8:9], v13, v11 src0_sel:BYTE_3 src1_sel:DWORD
	s_andn2_b64 s[4:5], s[4:5], exec
	s_and_b64 s[8:9], s[8:9], exec
	s_or_b64 s[4:5], s[4:5], s[8:9]
	s_or_b64 exec, exec, s[6:7]
	s_and_saveexec_b64 s[6:7], s[4:5]
	s_cbranch_execnz .LBB20_127
	s_branch .LBB20_128
.LBB20_2177:
	s_movk_i32 s4, 0x80
	v_cmp_eq_u16_sdwa s[12:13], v6, s4 src0_sel:BYTE_0 src1_sel:DWORD
	s_mov_b64 s[4:5], -1
                                        ; implicit-def: $sgpr10
	s_and_saveexec_b64 s[8:9], s[12:13]
; %bb.2178:
	s_mov_b32 s10, 0x7f800001
	s_xor_b64 s[4:5], exec, -1
; %bb.2179:
	s_or_b64 exec, exec, s[8:9]
	s_and_b64 s[4:5], s[4:5], exec
	s_or_saveexec_b64 s[6:7], s[6:7]
	v_mov_b32_e32 v10, s10
	s_xor_b64 exec, exec, s[6:7]
	s_cbranch_execz .LBB20_130
.LBB20_2180:
	v_mov_b32_e32 v10, 0
	v_cmp_ne_u16_sdwa s[8:9], v6, v10 src0_sel:BYTE_0 src1_sel:DWORD
	s_andn2_b64 s[4:5], s[4:5], exec
	s_and_b64 s[8:9], s[8:9], exec
	s_or_b64 s[4:5], s[4:5], s[8:9]
	s_or_b64 exec, exec, s[6:7]
	s_and_saveexec_b64 s[6:7], s[4:5]
	s_cbranch_execnz .LBB20_131
	s_branch .LBB20_132
.LBB20_2181:
	s_movk_i32 s4, 0x80
	v_cmp_eq_u16_sdwa s[12:13], v2, s4 src0_sel:BYTE_0 src1_sel:DWORD
	s_mov_b64 s[4:5], -1
                                        ; implicit-def: $sgpr10
	s_and_saveexec_b64 s[8:9], s[12:13]
; %bb.2182:
	s_mov_b32 s10, 0x7f800001
	s_xor_b64 s[4:5], exec, -1
; %bb.2183:
	s_or_b64 exec, exec, s[8:9]
	s_and_b64 s[4:5], s[4:5], exec
	s_or_saveexec_b64 s[6:7], s[6:7]
	v_mov_b32_e32 v11, s10
	s_xor_b64 exec, exec, s[6:7]
	s_cbranch_execz .LBB20_134
.LBB20_2184:
	v_mov_b32_e32 v11, 0
	v_cmp_ne_u16_sdwa s[8:9], v2, v11 src0_sel:BYTE_0 src1_sel:DWORD
	s_andn2_b64 s[4:5], s[4:5], exec
	s_and_b64 s[8:9], s[8:9], exec
	s_or_b64 s[4:5], s[4:5], s[8:9]
	s_or_b64 exec, exec, s[6:7]
	s_and_saveexec_b64 s[6:7], s[4:5]
	s_cbranch_execnz .LBB20_135
	s_branch .LBB20_136
.LBB20_2185:
	s_movk_i32 s4, 0x80
	v_cmp_eq_u16_sdwa s[12:13], v11, s4 src0_sel:BYTE_0 src1_sel:DWORD
	s_mov_b64 s[4:5], -1
                                        ; implicit-def: $sgpr10
	s_and_saveexec_b64 s[8:9], s[12:13]
; %bb.2186:
	s_mov_b32 s10, 0x7f800001
	s_xor_b64 s[4:5], exec, -1
; %bb.2187:
	s_or_b64 exec, exec, s[8:9]
	s_and_b64 s[4:5], s[4:5], exec
	s_or_saveexec_b64 s[6:7], s[6:7]
	v_mov_b32_e32 v10, s10
	s_xor_b64 exec, exec, s[6:7]
	s_cbranch_execz .LBB20_138
.LBB20_2188:
	v_mov_b32_e32 v10, 0
	v_cmp_ne_u16_sdwa s[8:9], v11, v10 src0_sel:BYTE_0 src1_sel:DWORD
	s_andn2_b64 s[4:5], s[4:5], exec
	s_and_b64 s[8:9], s[8:9], exec
	s_or_b64 s[4:5], s[4:5], s[8:9]
	s_or_b64 exec, exec, s[6:7]
	s_and_saveexec_b64 s[6:7], s[4:5]
	s_cbranch_execnz .LBB20_139
	s_branch .LBB20_140
.LBB20_2189:
	s_movk_i32 s4, 0x80
	v_cmp_eq_u16_sdwa s[12:13], v11, s4 src0_sel:BYTE_0 src1_sel:DWORD
	s_mov_b64 s[4:5], -1
                                        ; implicit-def: $sgpr10
	s_and_saveexec_b64 s[8:9], s[12:13]
; %bb.2190:
	s_mov_b32 s10, 0x7f800001
	s_xor_b64 s[4:5], exec, -1
; %bb.2191:
	s_or_b64 exec, exec, s[8:9]
	s_and_b64 s[4:5], s[4:5], exec
	s_or_saveexec_b64 s[6:7], s[6:7]
	v_mov_b32_e32 v12, s10
	s_xor_b64 exec, exec, s[6:7]
	s_cbranch_execz .LBB20_142
.LBB20_2192:
	v_mov_b32_e32 v12, 0
	v_cmp_ne_u16_sdwa s[8:9], v11, v12 src0_sel:BYTE_0 src1_sel:DWORD
	s_andn2_b64 s[4:5], s[4:5], exec
	s_and_b64 s[8:9], s[8:9], exec
	s_or_b64 s[4:5], s[4:5], s[8:9]
	s_or_b64 exec, exec, s[6:7]
	s_and_saveexec_b64 s[6:7], s[4:5]
	s_cbranch_execnz .LBB20_143
	s_branch .LBB20_144
.LBB20_2193:
	s_movk_i32 s4, 0x80
	v_cmp_eq_u16_e32 vcc, s4, v11
	s_mov_b64 s[4:5], -1
                                        ; implicit-def: $sgpr10
	s_and_saveexec_b64 s[8:9], vcc
; %bb.2194:
	s_mov_b32 s10, 0x7f800001
	s_xor_b64 s[4:5], exec, -1
; %bb.2195:
	s_or_b64 exec, exec, s[8:9]
	s_and_b64 s[4:5], s[4:5], exec
                                        ; implicit-def: $vgpr11
	s_or_saveexec_b64 s[6:7], s[6:7]
	v_mov_b32_e32 v10, s10
	s_xor_b64 exec, exec, s[6:7]
	s_cbranch_execz .LBB20_146
.LBB20_2196:
	v_cmp_ne_u16_e32 vcc, 0, v11
	s_andn2_b64 s[4:5], s[4:5], exec
	s_and_b64 s[8:9], vcc, exec
	v_mov_b32_e32 v10, 0
	s_or_b64 s[4:5], s[4:5], s[8:9]
	s_or_b64 exec, exec, s[6:7]
	s_and_saveexec_b64 s[6:7], s[4:5]
	s_cbranch_execnz .LBB20_147
	s_branch .LBB20_148
.LBB20_2197:
	s_movk_i32 s4, 0x80
	v_cmp_eq_u16_e32 vcc, s4, v11
	s_mov_b64 s[4:5], -1
                                        ; implicit-def: $sgpr10
	s_and_saveexec_b64 s[8:9], vcc
; %bb.2198:
	s_mov_b32 s10, 0x7f800001
	s_xor_b64 s[4:5], exec, -1
; %bb.2199:
	s_or_b64 exec, exec, s[8:9]
	s_and_b64 s[4:5], s[4:5], exec
                                        ; implicit-def: $vgpr11
	s_or_saveexec_b64 s[6:7], s[6:7]
	v_mov_b32_e32 v12, s10
	s_xor_b64 exec, exec, s[6:7]
	s_cbranch_execz .LBB20_150
.LBB20_2200:
	v_cmp_ne_u16_e32 vcc, 0, v11
	s_andn2_b64 s[4:5], s[4:5], exec
	s_and_b64 s[8:9], vcc, exec
	v_mov_b32_e32 v12, 0
	s_or_b64 s[4:5], s[4:5], s[8:9]
	s_or_b64 exec, exec, s[6:7]
	s_and_saveexec_b64 s[6:7], s[4:5]
	s_cbranch_execnz .LBB20_151
	s_branch .LBB20_152
.LBB20_2201:
	s_movk_i32 s4, 0x80
	v_cmp_eq_u16_sdwa s[12:13], v6, s4 src0_sel:BYTE_3 src1_sel:DWORD
	s_mov_b64 s[4:5], -1
                                        ; implicit-def: $sgpr10
	s_and_saveexec_b64 s[8:9], s[12:13]
; %bb.2202:
	s_mov_b32 s10, 0x7f800001
	s_xor_b64 s[4:5], exec, -1
; %bb.2203:
	s_or_b64 exec, exec, s[8:9]
	s_and_b64 s[4:5], s[4:5], exec
	s_or_saveexec_b64 s[6:7], s[6:7]
	v_mov_b32_e32 v10, s10
	s_xor_b64 exec, exec, s[6:7]
	s_cbranch_execz .LBB20_154
.LBB20_2204:
	v_mov_b32_e32 v10, 0
	v_cmp_ne_u16_sdwa s[8:9], v6, v10 src0_sel:BYTE_3 src1_sel:DWORD
	s_andn2_b64 s[4:5], s[4:5], exec
	s_and_b64 s[8:9], s[8:9], exec
	s_or_b64 s[4:5], s[4:5], s[8:9]
	s_or_b64 exec, exec, s[6:7]
	s_and_saveexec_b64 s[6:7], s[4:5]
	s_cbranch_execnz .LBB20_155
	s_branch .LBB20_156
.LBB20_2205:
	s_movk_i32 s4, 0x80
	v_cmp_eq_u16_sdwa s[12:13], v2, s4 src0_sel:BYTE_3 src1_sel:DWORD
	s_mov_b64 s[4:5], -1
                                        ; implicit-def: $sgpr10
	s_and_saveexec_b64 s[8:9], s[12:13]
; %bb.2206:
	s_mov_b32 s10, 0x7f800001
	s_xor_b64 s[4:5], exec, -1
; %bb.2207:
	s_or_b64 exec, exec, s[8:9]
	s_and_b64 s[4:5], s[4:5], exec
	s_or_saveexec_b64 s[6:7], s[6:7]
	v_mov_b32_e32 v6, s10
	s_xor_b64 exec, exec, s[6:7]
	s_cbranch_execz .LBB20_158
.LBB20_2208:
	v_mov_b32_e32 v6, 0
	v_cmp_ne_u16_sdwa s[8:9], v2, v6 src0_sel:BYTE_3 src1_sel:DWORD
	s_andn2_b64 s[4:5], s[4:5], exec
	s_and_b64 s[8:9], s[8:9], exec
	s_or_b64 s[4:5], s[4:5], s[8:9]
	s_or_b64 exec, exec, s[6:7]
	s_and_saveexec_b64 s[6:7], s[4:5]
	s_cbranch_execnz .LBB20_159
	s_branch .LBB20_160
.LBB20_2209:
	s_movk_i32 s4, 0x80
	v_cmp_eq_u16_sdwa s[12:13], v7, s4 src0_sel:BYTE_0 src1_sel:DWORD
	s_mov_b64 s[4:5], -1
                                        ; implicit-def: $sgpr10
	s_and_saveexec_b64 s[8:9], s[12:13]
; %bb.2210:
	s_mov_b32 s10, 0x7f800001
	s_xor_b64 s[4:5], exec, -1
; %bb.2211:
	s_or_b64 exec, exec, s[8:9]
	s_and_b64 s[4:5], s[4:5], exec
	s_or_saveexec_b64 s[6:7], s[6:7]
	v_mov_b32_e32 v2, s10
	s_xor_b64 exec, exec, s[6:7]
	s_cbranch_execz .LBB20_162
.LBB20_2212:
	v_mov_b32_e32 v2, 0
	v_cmp_ne_u16_sdwa s[8:9], v7, v2 src0_sel:BYTE_0 src1_sel:DWORD
	s_andn2_b64 s[4:5], s[4:5], exec
	s_and_b64 s[8:9], s[8:9], exec
	s_or_b64 s[4:5], s[4:5], s[8:9]
	s_or_b64 exec, exec, s[6:7]
	s_and_saveexec_b64 s[6:7], s[4:5]
	s_cbranch_execnz .LBB20_163
	s_branch .LBB20_164
.LBB20_2213:
	s_movk_i32 s4, 0x80
	v_cmp_eq_u16_sdwa s[12:13], v3, s4 src0_sel:BYTE_0 src1_sel:DWORD
	s_mov_b64 s[4:5], -1
                                        ; implicit-def: $sgpr10
	s_and_saveexec_b64 s[8:9], s[12:13]
; %bb.2214:
	s_mov_b32 s10, 0x7f800001
	s_xor_b64 s[4:5], exec, -1
; %bb.2215:
	s_or_b64 exec, exec, s[8:9]
	s_and_b64 s[4:5], s[4:5], exec
	s_or_saveexec_b64 s[6:7], s[6:7]
	v_mov_b32_e32 v6, s10
	s_xor_b64 exec, exec, s[6:7]
	s_cbranch_execz .LBB20_166
.LBB20_2216:
	v_mov_b32_e32 v6, 0
	v_cmp_ne_u16_sdwa s[8:9], v3, v6 src0_sel:BYTE_0 src1_sel:DWORD
	s_andn2_b64 s[4:5], s[4:5], exec
	s_and_b64 s[8:9], s[8:9], exec
	s_or_b64 s[4:5], s[4:5], s[8:9]
	s_or_b64 exec, exec, s[6:7]
	s_and_saveexec_b64 s[6:7], s[4:5]
	s_cbranch_execnz .LBB20_167
	s_branch .LBB20_168
.LBB20_2217:
	s_movk_i32 s4, 0x80
	v_cmp_eq_u16_sdwa s[12:13], v6, s4 src0_sel:BYTE_0 src1_sel:DWORD
	s_mov_b64 s[4:5], -1
                                        ; implicit-def: $sgpr10
	s_and_saveexec_b64 s[8:9], s[12:13]
; %bb.2218:
	s_mov_b32 s10, 0x7f800001
	s_xor_b64 s[4:5], exec, -1
; %bb.2219:
	s_or_b64 exec, exec, s[8:9]
	s_and_b64 s[4:5], s[4:5], exec
	s_or_saveexec_b64 s[6:7], s[6:7]
	v_mov_b32_e32 v2, s10
	s_xor_b64 exec, exec, s[6:7]
	s_cbranch_execz .LBB20_170
.LBB20_2220:
	v_mov_b32_e32 v2, 0
	v_cmp_ne_u16_sdwa s[8:9], v6, v2 src0_sel:BYTE_0 src1_sel:DWORD
	s_andn2_b64 s[4:5], s[4:5], exec
	s_and_b64 s[8:9], s[8:9], exec
	s_or_b64 s[4:5], s[4:5], s[8:9]
	s_or_b64 exec, exec, s[6:7]
	s_and_saveexec_b64 s[6:7], s[4:5]
	s_cbranch_execnz .LBB20_171
	s_branch .LBB20_172
.LBB20_2221:
	s_movk_i32 s4, 0x80
	v_cmp_eq_u16_sdwa s[12:13], v6, s4 src0_sel:BYTE_0 src1_sel:DWORD
	s_mov_b64 s[4:5], -1
                                        ; implicit-def: $sgpr10
	s_and_saveexec_b64 s[8:9], s[12:13]
; %bb.2222:
	s_mov_b32 s10, 0x7f800001
	s_xor_b64 s[4:5], exec, -1
; %bb.2223:
	s_or_b64 exec, exec, s[8:9]
	s_and_b64 s[4:5], s[4:5], exec
	s_or_saveexec_b64 s[6:7], s[6:7]
	v_mov_b32_e32 v10, s10
	s_xor_b64 exec, exec, s[6:7]
	s_cbranch_execz .LBB20_174
.LBB20_2224:
	v_mov_b32_e32 v10, 0
	v_cmp_ne_u16_sdwa s[8:9], v6, v10 src0_sel:BYTE_0 src1_sel:DWORD
	s_andn2_b64 s[4:5], s[4:5], exec
	s_and_b64 s[8:9], s[8:9], exec
	s_or_b64 s[4:5], s[4:5], s[8:9]
	s_or_b64 exec, exec, s[6:7]
	s_and_saveexec_b64 s[6:7], s[4:5]
	s_cbranch_execnz .LBB20_175
	s_branch .LBB20_176
.LBB20_2225:
	s_movk_i32 s4, 0x80
	v_cmp_eq_u16_e32 vcc, s4, v6
	s_mov_b64 s[4:5], -1
                                        ; implicit-def: $sgpr10
	s_and_saveexec_b64 s[8:9], vcc
; %bb.2226:
	s_mov_b32 s10, 0x7f800001
	s_xor_b64 s[4:5], exec, -1
; %bb.2227:
	s_or_b64 exec, exec, s[8:9]
	s_and_b64 s[4:5], s[4:5], exec
                                        ; implicit-def: $vgpr6
	s_or_saveexec_b64 s[6:7], s[6:7]
	v_mov_b32_e32 v2, s10
	s_xor_b64 exec, exec, s[6:7]
	s_cbranch_execz .LBB20_178
.LBB20_2228:
	v_cmp_ne_u16_e32 vcc, 0, v6
	s_andn2_b64 s[4:5], s[4:5], exec
	s_and_b64 s[8:9], vcc, exec
	v_mov_b32_e32 v2, 0
	s_or_b64 s[4:5], s[4:5], s[8:9]
	s_or_b64 exec, exec, s[6:7]
	s_and_saveexec_b64 s[6:7], s[4:5]
	s_cbranch_execnz .LBB20_179
	s_branch .LBB20_180
.LBB20_2229:
	s_movk_i32 s4, 0x80
	v_cmp_eq_u16_e32 vcc, s4, v6
	s_mov_b64 s[4:5], -1
                                        ; implicit-def: $sgpr10
	s_and_saveexec_b64 s[8:9], vcc
; %bb.2230:
	s_mov_b32 s10, 0x7f800001
	s_xor_b64 s[4:5], exec, -1
; %bb.2231:
	s_or_b64 exec, exec, s[8:9]
	s_and_b64 s[4:5], s[4:5], exec
                                        ; implicit-def: $vgpr6
	s_or_saveexec_b64 s[6:7], s[6:7]
	v_mov_b32_e32 v10, s10
	s_xor_b64 exec, exec, s[6:7]
	s_cbranch_execz .LBB20_182
.LBB20_2232:
	v_cmp_ne_u16_e32 vcc, 0, v6
	s_andn2_b64 s[4:5], s[4:5], exec
	s_and_b64 s[8:9], vcc, exec
	v_mov_b32_e32 v10, 0
	s_or_b64 s[4:5], s[4:5], s[8:9]
	s_or_b64 exec, exec, s[6:7]
	s_and_saveexec_b64 s[6:7], s[4:5]
	s_cbranch_execnz .LBB20_183
	s_branch .LBB20_184
.LBB20_2233:
	s_movk_i32 s4, 0x80
	v_cmp_eq_u16_sdwa s[12:13], v7, s4 src0_sel:BYTE_3 src1_sel:DWORD
	s_mov_b64 s[4:5], -1
                                        ; implicit-def: $sgpr10
	s_and_saveexec_b64 s[8:9], s[12:13]
; %bb.2234:
	s_mov_b32 s10, 0x7f800001
	s_xor_b64 s[4:5], exec, -1
; %bb.2235:
	s_or_b64 exec, exec, s[8:9]
	s_and_b64 s[4:5], s[4:5], exec
	s_or_saveexec_b64 s[6:7], s[6:7]
	v_mov_b32_e32 v2, s10
	s_xor_b64 exec, exec, s[6:7]
	s_cbranch_execz .LBB20_186
.LBB20_2236:
	v_mov_b32_e32 v2, 0
	v_cmp_ne_u16_sdwa s[8:9], v7, v2 src0_sel:BYTE_3 src1_sel:DWORD
	s_andn2_b64 s[4:5], s[4:5], exec
	s_and_b64 s[8:9], s[8:9], exec
	s_or_b64 s[4:5], s[4:5], s[8:9]
	s_or_b64 exec, exec, s[6:7]
	s_and_saveexec_b64 s[6:7], s[4:5]
	s_cbranch_execnz .LBB20_187
	s_branch .LBB20_188
.LBB20_2237:
	s_movk_i32 s4, 0x80
	v_cmp_eq_u16_sdwa s[12:13], v3, s4 src0_sel:BYTE_3 src1_sel:DWORD
	s_mov_b64 s[4:5], -1
                                        ; implicit-def: $sgpr10
	s_and_saveexec_b64 s[8:9], s[12:13]
; %bb.2238:
	s_mov_b32 s10, 0x7f800001
	s_xor_b64 s[4:5], exec, -1
; %bb.2239:
	s_or_b64 exec, exec, s[8:9]
	s_and_b64 s[4:5], s[4:5], exec
	s_or_saveexec_b64 s[6:7], s[6:7]
	v_mov_b32_e32 v6, s10
	s_xor_b64 exec, exec, s[6:7]
	s_cbranch_execz .LBB20_190
.LBB20_2240:
	v_mov_b32_e32 v6, 0
	v_cmp_ne_u16_sdwa s[8:9], v3, v6 src0_sel:BYTE_3 src1_sel:DWORD
	s_andn2_b64 s[4:5], s[4:5], exec
	s_and_b64 s[8:9], s[8:9], exec
	s_or_b64 s[4:5], s[4:5], s[8:9]
	s_or_b64 exec, exec, s[6:7]
	s_and_saveexec_b64 s[6:7], s[4:5]
	s_cbranch_execnz .LBB20_191
	s_branch .LBB20_192
.LBB20_2241:
	s_movk_i32 s4, 0x80
	v_cmp_eq_u16_sdwa s[12:13], v8, s4 src0_sel:BYTE_0 src1_sel:DWORD
	s_mov_b64 s[4:5], -1
                                        ; implicit-def: $sgpr10
	s_and_saveexec_b64 s[8:9], s[12:13]
; %bb.2242:
	s_mov_b32 s10, 0x7f800001
	s_xor_b64 s[4:5], exec, -1
; %bb.2243:
	s_or_b64 exec, exec, s[8:9]
	s_and_b64 s[4:5], s[4:5], exec
	s_or_saveexec_b64 s[6:7], s[6:7]
	v_mov_b32_e32 v2, s10
	s_xor_b64 exec, exec, s[6:7]
	s_cbranch_execz .LBB20_194
.LBB20_2244:
	v_mov_b32_e32 v2, 0
	v_cmp_ne_u16_sdwa s[8:9], v8, v2 src0_sel:BYTE_0 src1_sel:DWORD
	s_andn2_b64 s[4:5], s[4:5], exec
	s_and_b64 s[8:9], s[8:9], exec
	s_or_b64 s[4:5], s[4:5], s[8:9]
	s_or_b64 exec, exec, s[6:7]
	s_and_saveexec_b64 s[6:7], s[4:5]
	s_cbranch_execnz .LBB20_195
	s_branch .LBB20_196
.LBB20_2245:
	s_movk_i32 s4, 0x80
	v_cmp_eq_u16_sdwa s[12:13], v4, s4 src0_sel:BYTE_0 src1_sel:DWORD
	s_mov_b64 s[4:5], -1
                                        ; implicit-def: $sgpr10
	s_and_saveexec_b64 s[8:9], s[12:13]
; %bb.2246:
	s_mov_b32 s10, 0x7f800001
	s_xor_b64 s[4:5], exec, -1
; %bb.2247:
	s_or_b64 exec, exec, s[8:9]
	s_and_b64 s[4:5], s[4:5], exec
	s_or_saveexec_b64 s[6:7], s[6:7]
	v_mov_b32_e32 v3, s10
	s_xor_b64 exec, exec, s[6:7]
	s_cbranch_execz .LBB20_198
.LBB20_2248:
	v_mov_b32_e32 v3, 0
	v_cmp_ne_u16_sdwa s[8:9], v4, v3 src0_sel:BYTE_0 src1_sel:DWORD
	s_andn2_b64 s[4:5], s[4:5], exec
	s_and_b64 s[8:9], s[8:9], exec
	s_or_b64 s[4:5], s[4:5], s[8:9]
	s_or_b64 exec, exec, s[6:7]
	s_and_saveexec_b64 s[6:7], s[4:5]
	s_cbranch_execnz .LBB20_199
	s_branch .LBB20_200
.LBB20_2249:
	s_movk_i32 s4, 0x80
	v_cmp_eq_u16_sdwa s[12:13], v3, s4 src0_sel:BYTE_0 src1_sel:DWORD
	s_mov_b64 s[4:5], -1
                                        ; implicit-def: $sgpr10
	s_and_saveexec_b64 s[8:9], s[12:13]
; %bb.2250:
	s_mov_b32 s10, 0x7f800001
	s_xor_b64 s[4:5], exec, -1
; %bb.2251:
	s_or_b64 exec, exec, s[8:9]
	s_and_b64 s[4:5], s[4:5], exec
	s_or_saveexec_b64 s[6:7], s[6:7]
	v_mov_b32_e32 v2, s10
	s_xor_b64 exec, exec, s[6:7]
	s_cbranch_execz .LBB20_202
.LBB20_2252:
	v_mov_b32_e32 v2, 0
	v_cmp_ne_u16_sdwa s[8:9], v3, v2 src0_sel:BYTE_0 src1_sel:DWORD
	s_andn2_b64 s[4:5], s[4:5], exec
	s_and_b64 s[8:9], s[8:9], exec
	s_or_b64 s[4:5], s[4:5], s[8:9]
	s_or_b64 exec, exec, s[6:7]
	s_and_saveexec_b64 s[6:7], s[4:5]
	s_cbranch_execnz .LBB20_203
	s_branch .LBB20_204
.LBB20_2253:
	s_movk_i32 s4, 0x80
	v_cmp_eq_u16_sdwa s[12:13], v3, s4 src0_sel:BYTE_0 src1_sel:DWORD
	s_mov_b64 s[4:5], -1
                                        ; implicit-def: $sgpr10
	s_and_saveexec_b64 s[8:9], s[12:13]
; %bb.2254:
	s_mov_b32 s10, 0x7f800001
	s_xor_b64 s[4:5], exec, -1
; %bb.2255:
	s_or_b64 exec, exec, s[8:9]
	s_and_b64 s[4:5], s[4:5], exec
	s_or_saveexec_b64 s[6:7], s[6:7]
	v_mov_b32_e32 v6, s10
	s_xor_b64 exec, exec, s[6:7]
	s_cbranch_execz .LBB20_206
.LBB20_2256:
	v_mov_b32_e32 v6, 0
	v_cmp_ne_u16_sdwa s[8:9], v3, v6 src0_sel:BYTE_0 src1_sel:DWORD
	s_andn2_b64 s[4:5], s[4:5], exec
	s_and_b64 s[8:9], s[8:9], exec
	s_or_b64 s[4:5], s[4:5], s[8:9]
	s_or_b64 exec, exec, s[6:7]
	s_and_saveexec_b64 s[6:7], s[4:5]
	s_cbranch_execnz .LBB20_207
	s_branch .LBB20_208
.LBB20_2257:
	s_movk_i32 s4, 0x80
	v_cmp_eq_u16_e32 vcc, s4, v3
	s_mov_b64 s[4:5], -1
                                        ; implicit-def: $sgpr10
	s_and_saveexec_b64 s[8:9], vcc
; %bb.2258:
	s_mov_b32 s10, 0x7f800001
	s_xor_b64 s[4:5], exec, -1
; %bb.2259:
	s_or_b64 exec, exec, s[8:9]
	s_and_b64 s[4:5], s[4:5], exec
                                        ; implicit-def: $vgpr3
	s_or_saveexec_b64 s[6:7], s[6:7]
	v_mov_b32_e32 v2, s10
	s_xor_b64 exec, exec, s[6:7]
	s_cbranch_execz .LBB20_210
.LBB20_2260:
	v_cmp_ne_u16_e32 vcc, 0, v3
	s_andn2_b64 s[4:5], s[4:5], exec
	s_and_b64 s[8:9], vcc, exec
	v_mov_b32_e32 v2, 0
	s_or_b64 s[4:5], s[4:5], s[8:9]
	s_or_b64 exec, exec, s[6:7]
	s_and_saveexec_b64 s[6:7], s[4:5]
	s_cbranch_execnz .LBB20_211
	s_branch .LBB20_212
.LBB20_2261:
	s_movk_i32 s4, 0x80
	v_cmp_eq_u16_e32 vcc, s4, v3
	s_mov_b64 s[4:5], -1
                                        ; implicit-def: $sgpr10
	s_and_saveexec_b64 s[8:9], vcc
; %bb.2262:
	s_mov_b32 s10, 0x7f800001
	s_xor_b64 s[4:5], exec, -1
; %bb.2263:
	s_or_b64 exec, exec, s[8:9]
	s_and_b64 s[4:5], s[4:5], exec
                                        ; implicit-def: $vgpr3
	s_or_saveexec_b64 s[6:7], s[6:7]
	v_mov_b32_e32 v6, s10
	s_xor_b64 exec, exec, s[6:7]
	s_cbranch_execz .LBB20_214
.LBB20_2264:
	v_cmp_ne_u16_e32 vcc, 0, v3
	s_andn2_b64 s[4:5], s[4:5], exec
	s_and_b64 s[8:9], vcc, exec
	v_mov_b32_e32 v6, 0
	s_or_b64 s[4:5], s[4:5], s[8:9]
	s_or_b64 exec, exec, s[6:7]
	s_and_saveexec_b64 s[6:7], s[4:5]
	s_cbranch_execnz .LBB20_215
	s_branch .LBB20_216
.LBB20_2265:
	s_movk_i32 s4, 0x80
	v_cmp_eq_u16_sdwa s[12:13], v8, s4 src0_sel:BYTE_3 src1_sel:DWORD
	s_mov_b64 s[4:5], -1
                                        ; implicit-def: $sgpr10
	s_and_saveexec_b64 s[8:9], s[12:13]
; %bb.2266:
	s_mov_b32 s10, 0x7f800001
	s_xor_b64 s[4:5], exec, -1
; %bb.2267:
	s_or_b64 exec, exec, s[8:9]
	s_and_b64 s[4:5], s[4:5], exec
	s_or_saveexec_b64 s[6:7], s[6:7]
	v_mov_b32_e32 v2, s10
	s_xor_b64 exec, exec, s[6:7]
	s_cbranch_execz .LBB20_218
.LBB20_2268:
	v_mov_b32_e32 v2, 0
	v_cmp_ne_u16_sdwa s[8:9], v8, v2 src0_sel:BYTE_3 src1_sel:DWORD
	s_andn2_b64 s[4:5], s[4:5], exec
	s_and_b64 s[8:9], s[8:9], exec
	s_or_b64 s[4:5], s[4:5], s[8:9]
	s_or_b64 exec, exec, s[6:7]
	s_and_saveexec_b64 s[6:7], s[4:5]
	s_cbranch_execnz .LBB20_219
	s_branch .LBB20_220
.LBB20_2269:
	s_movk_i32 s4, 0x80
	v_cmp_eq_u16_sdwa s[12:13], v4, s4 src0_sel:BYTE_3 src1_sel:DWORD
	s_mov_b64 s[4:5], -1
                                        ; implicit-def: $sgpr10
	s_and_saveexec_b64 s[8:9], s[12:13]
; %bb.2270:
	s_mov_b32 s10, 0x7f800001
	s_xor_b64 s[4:5], exec, -1
; %bb.2271:
	s_or_b64 exec, exec, s[8:9]
	s_and_b64 s[4:5], s[4:5], exec
	s_or_saveexec_b64 s[6:7], s[6:7]
	v_mov_b32_e32 v3, s10
	s_xor_b64 exec, exec, s[6:7]
	s_cbranch_execz .LBB20_222
.LBB20_2272:
	v_mov_b32_e32 v3, 0
	v_cmp_ne_u16_sdwa s[8:9], v4, v3 src0_sel:BYTE_3 src1_sel:DWORD
	s_andn2_b64 s[4:5], s[4:5], exec
	s_and_b64 s[8:9], s[8:9], exec
	s_or_b64 s[4:5], s[4:5], s[8:9]
	s_or_b64 exec, exec, s[6:7]
	s_and_saveexec_b64 s[6:7], s[4:5]
	s_cbranch_execnz .LBB20_223
	s_branch .LBB20_224
.LBB20_2273:
	s_movk_i32 s4, 0x80
	v_cmp_eq_u16_sdwa s[12:13], v9, s4 src0_sel:BYTE_0 src1_sel:DWORD
	s_mov_b64 s[4:5], -1
                                        ; implicit-def: $sgpr10
	s_and_saveexec_b64 s[8:9], s[12:13]
; %bb.2274:
	s_mov_b32 s10, 0x7f800001
	s_xor_b64 s[4:5], exec, -1
; %bb.2275:
	s_or_b64 exec, exec, s[8:9]
	s_and_b64 s[4:5], s[4:5], exec
	s_or_saveexec_b64 s[6:7], s[6:7]
	v_mov_b32_e32 v2, s10
	s_xor_b64 exec, exec, s[6:7]
	s_cbranch_execz .LBB20_226
.LBB20_2276:
	v_mov_b32_e32 v2, 0
	v_cmp_ne_u16_sdwa s[8:9], v9, v2 src0_sel:BYTE_0 src1_sel:DWORD
	s_andn2_b64 s[4:5], s[4:5], exec
	s_and_b64 s[8:9], s[8:9], exec
	s_or_b64 s[4:5], s[4:5], s[8:9]
	s_or_b64 exec, exec, s[6:7]
	s_and_saveexec_b64 s[6:7], s[4:5]
	s_cbranch_execnz .LBB20_227
	s_branch .LBB20_228
.LBB20_2277:
	s_movk_i32 s4, 0x80
	v_cmp_eq_u16_sdwa s[12:13], v5, s4 src0_sel:BYTE_0 src1_sel:DWORD
	s_mov_b64 s[4:5], -1
                                        ; implicit-def: $sgpr10
	s_and_saveexec_b64 s[8:9], s[12:13]
; %bb.2278:
	s_mov_b32 s10, 0x7f800001
	s_xor_b64 s[4:5], exec, -1
; %bb.2279:
	s_or_b64 exec, exec, s[8:9]
	s_and_b64 s[4:5], s[4:5], exec
	s_or_saveexec_b64 s[6:7], s[6:7]
	v_mov_b32_e32 v3, s10
	s_xor_b64 exec, exec, s[6:7]
	s_cbranch_execz .LBB20_230
.LBB20_2280:
	v_mov_b32_e32 v3, 0
	v_cmp_ne_u16_sdwa s[8:9], v5, v3 src0_sel:BYTE_0 src1_sel:DWORD
	s_andn2_b64 s[4:5], s[4:5], exec
	s_and_b64 s[8:9], s[8:9], exec
	s_or_b64 s[4:5], s[4:5], s[8:9]
	s_or_b64 exec, exec, s[6:7]
	s_and_saveexec_b64 s[6:7], s[4:5]
	s_cbranch_execnz .LBB20_231
	s_branch .LBB20_232
.LBB20_2281:
	s_movk_i32 s4, 0x80
	v_cmp_eq_u16_sdwa s[12:13], v3, s4 src0_sel:BYTE_0 src1_sel:DWORD
	s_mov_b64 s[4:5], -1
                                        ; implicit-def: $sgpr10
	s_and_saveexec_b64 s[8:9], s[12:13]
; %bb.2282:
	s_mov_b32 s10, 0x7f800001
	s_xor_b64 s[4:5], exec, -1
; %bb.2283:
	s_or_b64 exec, exec, s[8:9]
	s_and_b64 s[4:5], s[4:5], exec
	s_or_saveexec_b64 s[6:7], s[6:7]
	v_mov_b32_e32 v2, s10
	s_xor_b64 exec, exec, s[6:7]
	s_cbranch_execz .LBB20_234
.LBB20_2284:
	v_mov_b32_e32 v2, 0
	v_cmp_ne_u16_sdwa s[8:9], v3, v2 src0_sel:BYTE_0 src1_sel:DWORD
	s_andn2_b64 s[4:5], s[4:5], exec
	s_and_b64 s[8:9], s[8:9], exec
	s_or_b64 s[4:5], s[4:5], s[8:9]
	s_or_b64 exec, exec, s[6:7]
	s_and_saveexec_b64 s[6:7], s[4:5]
	s_cbranch_execnz .LBB20_235
	s_branch .LBB20_236
.LBB20_2285:
	s_movk_i32 s4, 0x80
	v_cmp_eq_u16_sdwa s[12:13], v3, s4 src0_sel:BYTE_0 src1_sel:DWORD
	s_mov_b64 s[4:5], -1
                                        ; implicit-def: $sgpr10
	s_and_saveexec_b64 s[8:9], s[12:13]
; %bb.2286:
	s_mov_b32 s10, 0x7f800001
	s_xor_b64 s[4:5], exec, -1
; %bb.2287:
	s_or_b64 exec, exec, s[8:9]
	s_and_b64 s[4:5], s[4:5], exec
	s_or_saveexec_b64 s[6:7], s[6:7]
	v_mov_b32_e32 v4, s10
	s_xor_b64 exec, exec, s[6:7]
	s_cbranch_execz .LBB20_238
.LBB20_2288:
	v_mov_b32_e32 v4, 0
	v_cmp_ne_u16_sdwa s[8:9], v3, v4 src0_sel:BYTE_0 src1_sel:DWORD
	s_andn2_b64 s[4:5], s[4:5], exec
	s_and_b64 s[8:9], s[8:9], exec
	s_or_b64 s[4:5], s[4:5], s[8:9]
	s_or_b64 exec, exec, s[6:7]
	s_and_saveexec_b64 s[6:7], s[4:5]
	s_cbranch_execnz .LBB20_239
	s_branch .LBB20_240
.LBB20_2289:
	s_movk_i32 s4, 0x80
	v_cmp_eq_u16_e32 vcc, s4, v3
	s_mov_b64 s[4:5], -1
                                        ; implicit-def: $sgpr10
	s_and_saveexec_b64 s[8:9], vcc
; %bb.2290:
	s_mov_b32 s10, 0x7f800001
	s_xor_b64 s[4:5], exec, -1
; %bb.2291:
	s_or_b64 exec, exec, s[8:9]
	s_and_b64 s[4:5], s[4:5], exec
                                        ; implicit-def: $vgpr3
	s_or_saveexec_b64 s[6:7], s[6:7]
	v_mov_b32_e32 v2, s10
	s_xor_b64 exec, exec, s[6:7]
	s_cbranch_execz .LBB20_242
.LBB20_2292:
	v_cmp_ne_u16_e32 vcc, 0, v3
	s_andn2_b64 s[4:5], s[4:5], exec
	s_and_b64 s[8:9], vcc, exec
	v_mov_b32_e32 v2, 0
	s_or_b64 s[4:5], s[4:5], s[8:9]
	s_or_b64 exec, exec, s[6:7]
	s_and_saveexec_b64 s[6:7], s[4:5]
	s_cbranch_execnz .LBB20_243
	s_branch .LBB20_244
.LBB20_2293:
	s_movk_i32 s4, 0x80
	v_cmp_eq_u16_e32 vcc, s4, v3
	s_mov_b64 s[4:5], -1
                                        ; implicit-def: $sgpr10
	s_and_saveexec_b64 s[8:9], vcc
; %bb.2294:
	s_mov_b32 s10, 0x7f800001
	s_xor_b64 s[4:5], exec, -1
; %bb.2295:
	s_or_b64 exec, exec, s[8:9]
	s_and_b64 s[4:5], s[4:5], exec
                                        ; implicit-def: $vgpr3
	s_or_saveexec_b64 s[6:7], s[6:7]
	v_mov_b32_e32 v4, s10
	s_xor_b64 exec, exec, s[6:7]
	s_cbranch_execz .LBB20_246
.LBB20_2296:
	v_cmp_ne_u16_e32 vcc, 0, v3
	s_andn2_b64 s[4:5], s[4:5], exec
	s_and_b64 s[8:9], vcc, exec
	v_mov_b32_e32 v4, 0
	s_or_b64 s[4:5], s[4:5], s[8:9]
	s_or_b64 exec, exec, s[6:7]
	s_and_saveexec_b64 s[6:7], s[4:5]
	s_cbranch_execnz .LBB20_247
	s_branch .LBB20_248
.LBB20_2297:
	s_movk_i32 s4, 0x80
	v_cmp_eq_u16_sdwa s[12:13], v9, s4 src0_sel:BYTE_3 src1_sel:DWORD
	s_mov_b64 s[4:5], -1
                                        ; implicit-def: $sgpr10
	s_and_saveexec_b64 s[8:9], s[12:13]
; %bb.2298:
	s_mov_b32 s10, 0x7f800001
	s_xor_b64 s[4:5], exec, -1
; %bb.2299:
	s_or_b64 exec, exec, s[8:9]
	s_and_b64 s[4:5], s[4:5], exec
	s_or_saveexec_b64 s[6:7], s[6:7]
	v_mov_b32_e32 v2, s10
	s_xor_b64 exec, exec, s[6:7]
	s_cbranch_execz .LBB20_250
.LBB20_2300:
	v_mov_b32_e32 v2, 0
	v_cmp_ne_u16_sdwa s[8:9], v9, v2 src0_sel:BYTE_3 src1_sel:DWORD
	s_andn2_b64 s[4:5], s[4:5], exec
	s_and_b64 s[8:9], s[8:9], exec
	s_or_b64 s[4:5], s[4:5], s[8:9]
	s_or_b64 exec, exec, s[6:7]
	s_and_saveexec_b64 s[6:7], s[4:5]
	s_cbranch_execnz .LBB20_251
	s_branch .LBB20_252
.LBB20_2301:
	s_movk_i32 s4, 0x80
	v_cmp_eq_u16_sdwa s[12:13], v5, s4 src0_sel:BYTE_3 src1_sel:DWORD
	s_mov_b64 s[4:5], -1
                                        ; implicit-def: $sgpr10
	s_and_saveexec_b64 s[8:9], s[12:13]
; %bb.2302:
	s_mov_b32 s10, 0x7f800001
	s_xor_b64 s[4:5], exec, -1
; %bb.2303:
	s_or_b64 exec, exec, s[8:9]
	s_and_b64 s[4:5], s[4:5], exec
	s_or_saveexec_b64 s[6:7], s[6:7]
	v_mov_b32_e32 v3, s10
	s_xor_b64 exec, exec, s[6:7]
	s_cbranch_execz .LBB20_254
.LBB20_2304:
	v_mov_b32_e32 v3, 0
	v_cmp_ne_u16_sdwa s[8:9], v5, v3 src0_sel:BYTE_3 src1_sel:DWORD
	s_andn2_b64 s[4:5], s[4:5], exec
	s_and_b64 s[8:9], s[8:9], exec
	s_or_b64 s[4:5], s[4:5], s[8:9]
	s_or_b64 exec, exec, s[6:7]
	s_and_saveexec_b64 s[6:7], s[4:5]
	s_cbranch_execnz .LBB20_255
	s_branch .LBB20_256
.LBB20_2305:
	s_movk_i32 s4, 0x80
	v_cmp_eq_u16_sdwa s[12:13], v14, s4 src0_sel:BYTE_0 src1_sel:DWORD
	s_mov_b64 s[4:5], -1
                                        ; implicit-def: $sgpr10
	s_and_saveexec_b64 s[8:9], s[12:13]
; %bb.2306:
	s_mov_b32 s10, 0x7f800001
	s_xor_b64 s[4:5], exec, -1
; %bb.2307:
	s_or_b64 exec, exec, s[8:9]
	s_and_b64 s[4:5], s[4:5], exec
	s_or_saveexec_b64 s[6:7], s[6:7]
	v_mov_b32_e32 v20, s10
	s_xor_b64 exec, exec, s[6:7]
	s_cbranch_execz .LBB20_258
.LBB20_2308:
	v_mov_b32_e32 v20, 0
	v_cmp_ne_u16_sdwa s[8:9], v14, v20 src0_sel:BYTE_0 src1_sel:DWORD
	s_andn2_b64 s[4:5], s[4:5], exec
	s_and_b64 s[8:9], s[8:9], exec
	s_or_b64 s[4:5], s[4:5], s[8:9]
	s_or_b64 exec, exec, s[6:7]
	s_and_saveexec_b64 s[6:7], s[4:5]
	s_cbranch_execnz .LBB20_259
	s_branch .LBB20_260
.LBB20_2309:
	s_movk_i32 s4, 0x80
	v_cmp_eq_u16_sdwa s[12:13], v10, s4 src0_sel:BYTE_0 src1_sel:DWORD
	s_mov_b64 s[4:5], -1
                                        ; implicit-def: $sgpr10
	s_and_saveexec_b64 s[8:9], s[12:13]
; %bb.2310:
	s_mov_b32 s10, 0x7f800001
	s_xor_b64 s[4:5], exec, -1
; %bb.2311:
	s_or_b64 exec, exec, s[8:9]
	s_and_b64 s[4:5], s[4:5], exec
	s_or_saveexec_b64 s[6:7], s[6:7]
	v_mov_b32_e32 v21, s10
	s_xor_b64 exec, exec, s[6:7]
	s_cbranch_execz .LBB20_262
.LBB20_2312:
	v_mov_b32_e32 v21, 0
	v_cmp_ne_u16_sdwa s[8:9], v10, v21 src0_sel:BYTE_0 src1_sel:DWORD
	s_andn2_b64 s[4:5], s[4:5], exec
	s_and_b64 s[8:9], s[8:9], exec
	s_or_b64 s[4:5], s[4:5], s[8:9]
	s_or_b64 exec, exec, s[6:7]
	s_and_saveexec_b64 s[6:7], s[4:5]
	s_cbranch_execnz .LBB20_263
	s_branch .LBB20_264
.LBB20_2313:
	s_movk_i32 s4, 0x80
	v_cmp_eq_u16_sdwa s[12:13], v21, s4 src0_sel:BYTE_0 src1_sel:DWORD
	s_mov_b64 s[4:5], -1
                                        ; implicit-def: $sgpr10
	s_and_saveexec_b64 s[8:9], s[12:13]
; %bb.2314:
	s_mov_b32 s10, 0x7f800001
	s_xor_b64 s[4:5], exec, -1
; %bb.2315:
	s_or_b64 exec, exec, s[8:9]
	s_and_b64 s[4:5], s[4:5], exec
	s_or_saveexec_b64 s[6:7], s[6:7]
	v_mov_b32_e32 v20, s10
	s_xor_b64 exec, exec, s[6:7]
	s_cbranch_execz .LBB20_266
.LBB20_2316:
	v_mov_b32_e32 v20, 0
	v_cmp_ne_u16_sdwa s[8:9], v21, v20 src0_sel:BYTE_0 src1_sel:DWORD
	s_andn2_b64 s[4:5], s[4:5], exec
	s_and_b64 s[8:9], s[8:9], exec
	s_or_b64 s[4:5], s[4:5], s[8:9]
	s_or_b64 exec, exec, s[6:7]
	s_and_saveexec_b64 s[6:7], s[4:5]
	s_cbranch_execnz .LBB20_267
	s_branch .LBB20_268
.LBB20_2317:
	s_movk_i32 s4, 0x80
	v_cmp_eq_u16_sdwa s[12:13], v21, s4 src0_sel:BYTE_0 src1_sel:DWORD
	s_mov_b64 s[4:5], -1
                                        ; implicit-def: $sgpr10
	s_and_saveexec_b64 s[8:9], s[12:13]
; %bb.2318:
	s_mov_b32 s10, 0x7f800001
	s_xor_b64 s[4:5], exec, -1
; %bb.2319:
	s_or_b64 exec, exec, s[8:9]
	s_and_b64 s[4:5], s[4:5], exec
	s_or_saveexec_b64 s[6:7], s[6:7]
	v_mov_b32_e32 v22, s10
	s_xor_b64 exec, exec, s[6:7]
	s_cbranch_execz .LBB20_270
.LBB20_2320:
	v_mov_b32_e32 v22, 0
	v_cmp_ne_u16_sdwa s[8:9], v21, v22 src0_sel:BYTE_0 src1_sel:DWORD
	s_andn2_b64 s[4:5], s[4:5], exec
	s_and_b64 s[8:9], s[8:9], exec
	s_or_b64 s[4:5], s[4:5], s[8:9]
	s_or_b64 exec, exec, s[6:7]
	s_and_saveexec_b64 s[6:7], s[4:5]
	s_cbranch_execnz .LBB20_271
	s_branch .LBB20_272
.LBB20_2321:
	s_movk_i32 s4, 0x80
	v_cmp_eq_u16_e32 vcc, s4, v21
	s_mov_b64 s[4:5], -1
                                        ; implicit-def: $sgpr10
	s_and_saveexec_b64 s[8:9], vcc
; %bb.2322:
	s_mov_b32 s10, 0x7f800001
	s_xor_b64 s[4:5], exec, -1
; %bb.2323:
	s_or_b64 exec, exec, s[8:9]
	s_and_b64 s[4:5], s[4:5], exec
                                        ; implicit-def: $vgpr21
	s_or_saveexec_b64 s[6:7], s[6:7]
	v_mov_b32_e32 v20, s10
	s_xor_b64 exec, exec, s[6:7]
	s_cbranch_execz .LBB20_274
.LBB20_2324:
	v_cmp_ne_u16_e32 vcc, 0, v21
	s_andn2_b64 s[4:5], s[4:5], exec
	s_and_b64 s[8:9], vcc, exec
	v_mov_b32_e32 v20, 0
	s_or_b64 s[4:5], s[4:5], s[8:9]
	s_or_b64 exec, exec, s[6:7]
	s_and_saveexec_b64 s[6:7], s[4:5]
	s_cbranch_execnz .LBB20_275
	s_branch .LBB20_276
.LBB20_2325:
	s_movk_i32 s4, 0x80
	v_cmp_eq_u16_e32 vcc, s4, v21
	s_mov_b64 s[4:5], -1
                                        ; implicit-def: $sgpr10
	s_and_saveexec_b64 s[8:9], vcc
; %bb.2326:
	s_mov_b32 s10, 0x7f800001
	s_xor_b64 s[4:5], exec, -1
; %bb.2327:
	s_or_b64 exec, exec, s[8:9]
	s_and_b64 s[4:5], s[4:5], exec
                                        ; implicit-def: $vgpr21
	s_or_saveexec_b64 s[6:7], s[6:7]
	v_mov_b32_e32 v22, s10
	s_xor_b64 exec, exec, s[6:7]
	s_cbranch_execz .LBB20_278
.LBB20_2328:
	v_cmp_ne_u16_e32 vcc, 0, v21
	s_andn2_b64 s[4:5], s[4:5], exec
	s_and_b64 s[8:9], vcc, exec
	v_mov_b32_e32 v22, 0
	s_or_b64 s[4:5], s[4:5], s[8:9]
	s_or_b64 exec, exec, s[6:7]
	s_and_saveexec_b64 s[6:7], s[4:5]
	s_cbranch_execnz .LBB20_279
	s_branch .LBB20_280
.LBB20_2329:
	s_movk_i32 s4, 0x80
	v_cmp_eq_u16_sdwa s[12:13], v14, s4 src0_sel:BYTE_3 src1_sel:DWORD
	s_mov_b64 s[4:5], -1
                                        ; implicit-def: $sgpr10
	s_and_saveexec_b64 s[8:9], s[12:13]
; %bb.2330:
	s_mov_b32 s10, 0x7f800001
	s_xor_b64 s[4:5], exec, -1
; %bb.2331:
	s_or_b64 exec, exec, s[8:9]
	s_and_b64 s[4:5], s[4:5], exec
	s_or_saveexec_b64 s[6:7], s[6:7]
	v_mov_b32_e32 v20, s10
	s_xor_b64 exec, exec, s[6:7]
	s_cbranch_execz .LBB20_282
.LBB20_2332:
	v_mov_b32_e32 v20, 0
	v_cmp_ne_u16_sdwa s[8:9], v14, v20 src0_sel:BYTE_3 src1_sel:DWORD
	s_andn2_b64 s[4:5], s[4:5], exec
	s_and_b64 s[8:9], s[8:9], exec
	s_or_b64 s[4:5], s[4:5], s[8:9]
	s_or_b64 exec, exec, s[6:7]
	s_and_saveexec_b64 s[6:7], s[4:5]
	s_cbranch_execnz .LBB20_283
	s_branch .LBB20_284
.LBB20_2333:
	s_movk_i32 s4, 0x80
	v_cmp_eq_u16_sdwa s[12:13], v10, s4 src0_sel:BYTE_3 src1_sel:DWORD
	s_mov_b64 s[4:5], -1
                                        ; implicit-def: $sgpr10
	s_and_saveexec_b64 s[8:9], s[12:13]
; %bb.2334:
	s_mov_b32 s10, 0x7f800001
	s_xor_b64 s[4:5], exec, -1
; %bb.2335:
	s_or_b64 exec, exec, s[8:9]
	s_and_b64 s[4:5], s[4:5], exec
	s_or_saveexec_b64 s[6:7], s[6:7]
	v_mov_b32_e32 v14, s10
	s_xor_b64 exec, exec, s[6:7]
	s_cbranch_execz .LBB20_286
.LBB20_2336:
	v_mov_b32_e32 v14, 0
	v_cmp_ne_u16_sdwa s[8:9], v10, v14 src0_sel:BYTE_3 src1_sel:DWORD
	s_andn2_b64 s[4:5], s[4:5], exec
	s_and_b64 s[8:9], s[8:9], exec
	s_or_b64 s[4:5], s[4:5], s[8:9]
	s_or_b64 exec, exec, s[6:7]
	s_and_saveexec_b64 s[6:7], s[4:5]
	s_cbranch_execnz .LBB20_287
	s_branch .LBB20_288
.LBB20_2337:
	s_movk_i32 s4, 0x80
	v_cmp_eq_u16_sdwa s[12:13], v15, s4 src0_sel:BYTE_0 src1_sel:DWORD
	s_mov_b64 s[4:5], -1
                                        ; implicit-def: $sgpr10
	s_and_saveexec_b64 s[8:9], s[12:13]
; %bb.2338:
	s_mov_b32 s10, 0x7f800001
	s_xor_b64 s[4:5], exec, -1
; %bb.2339:
	s_or_b64 exec, exec, s[8:9]
	s_and_b64 s[4:5], s[4:5], exec
	s_or_saveexec_b64 s[6:7], s[6:7]
	v_mov_b32_e32 v10, s10
	s_xor_b64 exec, exec, s[6:7]
	s_cbranch_execz .LBB20_290
.LBB20_2340:
	v_mov_b32_e32 v10, 0
	v_cmp_ne_u16_sdwa s[8:9], v15, v10 src0_sel:BYTE_0 src1_sel:DWORD
	s_andn2_b64 s[4:5], s[4:5], exec
	s_and_b64 s[8:9], s[8:9], exec
	s_or_b64 s[4:5], s[4:5], s[8:9]
	s_or_b64 exec, exec, s[6:7]
	s_and_saveexec_b64 s[6:7], s[4:5]
	s_cbranch_execnz .LBB20_291
	s_branch .LBB20_292
.LBB20_2341:
	s_movk_i32 s4, 0x80
	v_cmp_eq_u16_sdwa s[12:13], v11, s4 src0_sel:BYTE_0 src1_sel:DWORD
	s_mov_b64 s[4:5], -1
                                        ; implicit-def: $sgpr10
	s_and_saveexec_b64 s[8:9], s[12:13]
; %bb.2342:
	s_mov_b32 s10, 0x7f800001
	s_xor_b64 s[4:5], exec, -1
; %bb.2343:
	s_or_b64 exec, exec, s[8:9]
	s_and_b64 s[4:5], s[4:5], exec
	s_or_saveexec_b64 s[6:7], s[6:7]
	v_mov_b32_e32 v14, s10
	s_xor_b64 exec, exec, s[6:7]
	s_cbranch_execz .LBB20_294
.LBB20_2344:
	v_mov_b32_e32 v14, 0
	v_cmp_ne_u16_sdwa s[8:9], v11, v14 src0_sel:BYTE_0 src1_sel:DWORD
	s_andn2_b64 s[4:5], s[4:5], exec
	s_and_b64 s[8:9], s[8:9], exec
	s_or_b64 s[4:5], s[4:5], s[8:9]
	s_or_b64 exec, exec, s[6:7]
	s_and_saveexec_b64 s[6:7], s[4:5]
	s_cbranch_execnz .LBB20_295
	s_branch .LBB20_296
.LBB20_2345:
	s_movk_i32 s4, 0x80
	v_cmp_eq_u16_sdwa s[12:13], v14, s4 src0_sel:BYTE_0 src1_sel:DWORD
	s_mov_b64 s[4:5], -1
                                        ; implicit-def: $sgpr10
	s_and_saveexec_b64 s[8:9], s[12:13]
; %bb.2346:
	s_mov_b32 s10, 0x7f800001
	s_xor_b64 s[4:5], exec, -1
; %bb.2347:
	s_or_b64 exec, exec, s[8:9]
	s_and_b64 s[4:5], s[4:5], exec
	s_or_saveexec_b64 s[6:7], s[6:7]
	v_mov_b32_e32 v10, s10
	s_xor_b64 exec, exec, s[6:7]
	s_cbranch_execz .LBB20_298
.LBB20_2348:
	v_mov_b32_e32 v10, 0
	v_cmp_ne_u16_sdwa s[8:9], v14, v10 src0_sel:BYTE_0 src1_sel:DWORD
	s_andn2_b64 s[4:5], s[4:5], exec
	s_and_b64 s[8:9], s[8:9], exec
	s_or_b64 s[4:5], s[4:5], s[8:9]
	s_or_b64 exec, exec, s[6:7]
	s_and_saveexec_b64 s[6:7], s[4:5]
	s_cbranch_execnz .LBB20_299
	s_branch .LBB20_300
.LBB20_2349:
	s_movk_i32 s4, 0x80
	v_cmp_eq_u16_sdwa s[12:13], v14, s4 src0_sel:BYTE_0 src1_sel:DWORD
	s_mov_b64 s[4:5], -1
                                        ; implicit-def: $sgpr10
	s_and_saveexec_b64 s[8:9], s[12:13]
; %bb.2350:
	s_mov_b32 s10, 0x7f800001
	s_xor_b64 s[4:5], exec, -1
; %bb.2351:
	s_or_b64 exec, exec, s[8:9]
	s_and_b64 s[4:5], s[4:5], exec
	s_or_saveexec_b64 s[6:7], s[6:7]
	v_mov_b32_e32 v20, s10
	s_xor_b64 exec, exec, s[6:7]
	s_cbranch_execz .LBB20_302
.LBB20_2352:
	v_mov_b32_e32 v20, 0
	v_cmp_ne_u16_sdwa s[8:9], v14, v20 src0_sel:BYTE_0 src1_sel:DWORD
	s_andn2_b64 s[4:5], s[4:5], exec
	s_and_b64 s[8:9], s[8:9], exec
	s_or_b64 s[4:5], s[4:5], s[8:9]
	s_or_b64 exec, exec, s[6:7]
	s_and_saveexec_b64 s[6:7], s[4:5]
	s_cbranch_execnz .LBB20_303
	s_branch .LBB20_304
.LBB20_2353:
	s_movk_i32 s4, 0x80
	v_cmp_eq_u16_e32 vcc, s4, v14
	s_mov_b64 s[4:5], -1
                                        ; implicit-def: $sgpr10
	s_and_saveexec_b64 s[8:9], vcc
; %bb.2354:
	s_mov_b32 s10, 0x7f800001
	s_xor_b64 s[4:5], exec, -1
; %bb.2355:
	s_or_b64 exec, exec, s[8:9]
	s_and_b64 s[4:5], s[4:5], exec
                                        ; implicit-def: $vgpr14
	s_or_saveexec_b64 s[6:7], s[6:7]
	v_mov_b32_e32 v10, s10
	s_xor_b64 exec, exec, s[6:7]
	s_cbranch_execz .LBB20_306
.LBB20_2356:
	v_cmp_ne_u16_e32 vcc, 0, v14
	s_andn2_b64 s[4:5], s[4:5], exec
	s_and_b64 s[8:9], vcc, exec
	v_mov_b32_e32 v10, 0
	s_or_b64 s[4:5], s[4:5], s[8:9]
	s_or_b64 exec, exec, s[6:7]
	s_and_saveexec_b64 s[6:7], s[4:5]
	s_cbranch_execnz .LBB20_307
	s_branch .LBB20_308
.LBB20_2357:
	s_movk_i32 s4, 0x80
	v_cmp_eq_u16_e32 vcc, s4, v14
	s_mov_b64 s[4:5], -1
                                        ; implicit-def: $sgpr10
	s_and_saveexec_b64 s[8:9], vcc
; %bb.2358:
	s_mov_b32 s10, 0x7f800001
	s_xor_b64 s[4:5], exec, -1
; %bb.2359:
	s_or_b64 exec, exec, s[8:9]
	s_and_b64 s[4:5], s[4:5], exec
                                        ; implicit-def: $vgpr14
	s_or_saveexec_b64 s[6:7], s[6:7]
	v_mov_b32_e32 v20, s10
	s_xor_b64 exec, exec, s[6:7]
	s_cbranch_execz .LBB20_310
.LBB20_2360:
	v_cmp_ne_u16_e32 vcc, 0, v14
	s_andn2_b64 s[4:5], s[4:5], exec
	s_and_b64 s[8:9], vcc, exec
	v_mov_b32_e32 v20, 0
	s_or_b64 s[4:5], s[4:5], s[8:9]
	s_or_b64 exec, exec, s[6:7]
	s_and_saveexec_b64 s[6:7], s[4:5]
	s_cbranch_execnz .LBB20_311
	s_branch .LBB20_312
.LBB20_2361:
	s_movk_i32 s4, 0x80
	v_cmp_eq_u16_sdwa s[12:13], v15, s4 src0_sel:BYTE_3 src1_sel:DWORD
	s_mov_b64 s[4:5], -1
                                        ; implicit-def: $sgpr10
	s_and_saveexec_b64 s[8:9], s[12:13]
; %bb.2362:
	s_mov_b32 s10, 0x7f800001
	s_xor_b64 s[4:5], exec, -1
; %bb.2363:
	s_or_b64 exec, exec, s[8:9]
	s_and_b64 s[4:5], s[4:5], exec
	s_or_saveexec_b64 s[6:7], s[6:7]
	v_mov_b32_e32 v10, s10
	s_xor_b64 exec, exec, s[6:7]
	s_cbranch_execz .LBB20_314
.LBB20_2364:
	v_mov_b32_e32 v10, 0
	v_cmp_ne_u16_sdwa s[8:9], v15, v10 src0_sel:BYTE_3 src1_sel:DWORD
	s_andn2_b64 s[4:5], s[4:5], exec
	s_and_b64 s[8:9], s[8:9], exec
	s_or_b64 s[4:5], s[4:5], s[8:9]
	s_or_b64 exec, exec, s[6:7]
	s_and_saveexec_b64 s[6:7], s[4:5]
	s_cbranch_execnz .LBB20_315
	s_branch .LBB20_316
.LBB20_2365:
	s_movk_i32 s4, 0x80
	v_cmp_eq_u16_sdwa s[12:13], v11, s4 src0_sel:BYTE_3 src1_sel:DWORD
	s_mov_b64 s[4:5], -1
                                        ; implicit-def: $sgpr10
	s_and_saveexec_b64 s[8:9], s[12:13]
; %bb.2366:
	s_mov_b32 s10, 0x7f800001
	s_xor_b64 s[4:5], exec, -1
; %bb.2367:
	s_or_b64 exec, exec, s[8:9]
	s_and_b64 s[4:5], s[4:5], exec
	s_or_saveexec_b64 s[6:7], s[6:7]
	v_mov_b32_e32 v14, s10
	s_xor_b64 exec, exec, s[6:7]
	s_cbranch_execz .LBB20_318
.LBB20_2368:
	v_mov_b32_e32 v14, 0
	v_cmp_ne_u16_sdwa s[8:9], v11, v14 src0_sel:BYTE_3 src1_sel:DWORD
	s_andn2_b64 s[4:5], s[4:5], exec
	s_and_b64 s[8:9], s[8:9], exec
	s_or_b64 s[4:5], s[4:5], s[8:9]
	s_or_b64 exec, exec, s[6:7]
	s_and_saveexec_b64 s[6:7], s[4:5]
	s_cbranch_execnz .LBB20_319
	s_branch .LBB20_320
.LBB20_2369:
	s_movk_i32 s4, 0x80
	v_cmp_eq_u16_sdwa s[12:13], v16, s4 src0_sel:BYTE_0 src1_sel:DWORD
	s_mov_b64 s[4:5], -1
                                        ; implicit-def: $sgpr10
	s_and_saveexec_b64 s[8:9], s[12:13]
; %bb.2370:
	s_mov_b32 s10, 0x7f800001
	s_xor_b64 s[4:5], exec, -1
; %bb.2371:
	s_or_b64 exec, exec, s[8:9]
	s_and_b64 s[4:5], s[4:5], exec
	s_or_saveexec_b64 s[6:7], s[6:7]
	v_mov_b32_e32 v10, s10
	s_xor_b64 exec, exec, s[6:7]
	s_cbranch_execz .LBB20_322
.LBB20_2372:
	v_mov_b32_e32 v10, 0
	v_cmp_ne_u16_sdwa s[8:9], v16, v10 src0_sel:BYTE_0 src1_sel:DWORD
	s_andn2_b64 s[4:5], s[4:5], exec
	s_and_b64 s[8:9], s[8:9], exec
	s_or_b64 s[4:5], s[4:5], s[8:9]
	s_or_b64 exec, exec, s[6:7]
	s_and_saveexec_b64 s[6:7], s[4:5]
	s_cbranch_execnz .LBB20_323
	s_branch .LBB20_324
.LBB20_2373:
	s_movk_i32 s4, 0x80
	v_cmp_eq_u16_sdwa s[12:13], v12, s4 src0_sel:BYTE_0 src1_sel:DWORD
	s_mov_b64 s[4:5], -1
                                        ; implicit-def: $sgpr10
	s_and_saveexec_b64 s[8:9], s[12:13]
; %bb.2374:
	s_mov_b32 s10, 0x7f800001
	s_xor_b64 s[4:5], exec, -1
; %bb.2375:
	s_or_b64 exec, exec, s[8:9]
	s_and_b64 s[4:5], s[4:5], exec
	s_or_saveexec_b64 s[6:7], s[6:7]
	v_mov_b32_e32 v11, s10
	s_xor_b64 exec, exec, s[6:7]
	s_cbranch_execz .LBB20_326
.LBB20_2376:
	v_mov_b32_e32 v11, 0
	v_cmp_ne_u16_sdwa s[8:9], v12, v11 src0_sel:BYTE_0 src1_sel:DWORD
	s_andn2_b64 s[4:5], s[4:5], exec
	s_and_b64 s[8:9], s[8:9], exec
	s_or_b64 s[4:5], s[4:5], s[8:9]
	s_or_b64 exec, exec, s[6:7]
	s_and_saveexec_b64 s[6:7], s[4:5]
	s_cbranch_execnz .LBB20_327
	s_branch .LBB20_328
.LBB20_2377:
	s_movk_i32 s4, 0x80
	v_cmp_eq_u16_sdwa s[12:13], v11, s4 src0_sel:BYTE_0 src1_sel:DWORD
	s_mov_b64 s[4:5], -1
                                        ; implicit-def: $sgpr10
	s_and_saveexec_b64 s[8:9], s[12:13]
; %bb.2378:
	s_mov_b32 s10, 0x7f800001
	s_xor_b64 s[4:5], exec, -1
; %bb.2379:
	s_or_b64 exec, exec, s[8:9]
	s_and_b64 s[4:5], s[4:5], exec
	s_or_saveexec_b64 s[6:7], s[6:7]
	v_mov_b32_e32 v10, s10
	s_xor_b64 exec, exec, s[6:7]
	s_cbranch_execz .LBB20_330
.LBB20_2380:
	v_mov_b32_e32 v10, 0
	v_cmp_ne_u16_sdwa s[8:9], v11, v10 src0_sel:BYTE_0 src1_sel:DWORD
	s_andn2_b64 s[4:5], s[4:5], exec
	s_and_b64 s[8:9], s[8:9], exec
	s_or_b64 s[4:5], s[4:5], s[8:9]
	s_or_b64 exec, exec, s[6:7]
	s_and_saveexec_b64 s[6:7], s[4:5]
	s_cbranch_execnz .LBB20_331
	s_branch .LBB20_332
.LBB20_2381:
	s_movk_i32 s4, 0x80
	v_cmp_eq_u16_sdwa s[12:13], v11, s4 src0_sel:BYTE_0 src1_sel:DWORD
	s_mov_b64 s[4:5], -1
                                        ; implicit-def: $sgpr10
	s_and_saveexec_b64 s[8:9], s[12:13]
; %bb.2382:
	s_mov_b32 s10, 0x7f800001
	s_xor_b64 s[4:5], exec, -1
; %bb.2383:
	s_or_b64 exec, exec, s[8:9]
	s_and_b64 s[4:5], s[4:5], exec
	s_or_saveexec_b64 s[6:7], s[6:7]
	v_mov_b32_e32 v14, s10
	s_xor_b64 exec, exec, s[6:7]
	s_cbranch_execz .LBB20_334
.LBB20_2384:
	v_mov_b32_e32 v14, 0
	v_cmp_ne_u16_sdwa s[8:9], v11, v14 src0_sel:BYTE_0 src1_sel:DWORD
	s_andn2_b64 s[4:5], s[4:5], exec
	s_and_b64 s[8:9], s[8:9], exec
	s_or_b64 s[4:5], s[4:5], s[8:9]
	s_or_b64 exec, exec, s[6:7]
	s_and_saveexec_b64 s[6:7], s[4:5]
	s_cbranch_execnz .LBB20_335
	s_branch .LBB20_336
.LBB20_2385:
	s_movk_i32 s4, 0x80
	v_cmp_eq_u16_e32 vcc, s4, v11
	s_mov_b64 s[4:5], -1
                                        ; implicit-def: $sgpr10
	s_and_saveexec_b64 s[8:9], vcc
; %bb.2386:
	s_mov_b32 s10, 0x7f800001
	s_xor_b64 s[4:5], exec, -1
; %bb.2387:
	s_or_b64 exec, exec, s[8:9]
	s_and_b64 s[4:5], s[4:5], exec
                                        ; implicit-def: $vgpr11
	s_or_saveexec_b64 s[6:7], s[6:7]
	v_mov_b32_e32 v10, s10
	s_xor_b64 exec, exec, s[6:7]
	s_cbranch_execz .LBB20_338
.LBB20_2388:
	v_cmp_ne_u16_e32 vcc, 0, v11
	s_andn2_b64 s[4:5], s[4:5], exec
	s_and_b64 s[8:9], vcc, exec
	v_mov_b32_e32 v10, 0
	s_or_b64 s[4:5], s[4:5], s[8:9]
	s_or_b64 exec, exec, s[6:7]
	s_and_saveexec_b64 s[6:7], s[4:5]
	s_cbranch_execnz .LBB20_339
	s_branch .LBB20_340
.LBB20_2389:
	s_movk_i32 s4, 0x80
	v_cmp_eq_u16_e32 vcc, s4, v11
	s_mov_b64 s[4:5], -1
                                        ; implicit-def: $sgpr10
	s_and_saveexec_b64 s[8:9], vcc
; %bb.2390:
	s_mov_b32 s10, 0x7f800001
	s_xor_b64 s[4:5], exec, -1
; %bb.2391:
	s_or_b64 exec, exec, s[8:9]
	s_and_b64 s[4:5], s[4:5], exec
                                        ; implicit-def: $vgpr11
	s_or_saveexec_b64 s[6:7], s[6:7]
	v_mov_b32_e32 v14, s10
	s_xor_b64 exec, exec, s[6:7]
	s_cbranch_execz .LBB20_342
.LBB20_2392:
	v_cmp_ne_u16_e32 vcc, 0, v11
	s_andn2_b64 s[4:5], s[4:5], exec
	s_and_b64 s[8:9], vcc, exec
	v_mov_b32_e32 v14, 0
	s_or_b64 s[4:5], s[4:5], s[8:9]
	s_or_b64 exec, exec, s[6:7]
	s_and_saveexec_b64 s[6:7], s[4:5]
	s_cbranch_execnz .LBB20_343
	s_branch .LBB20_344
.LBB20_2393:
	s_movk_i32 s4, 0x80
	v_cmp_eq_u16_sdwa s[12:13], v16, s4 src0_sel:BYTE_3 src1_sel:DWORD
	s_mov_b64 s[4:5], -1
                                        ; implicit-def: $sgpr10
	s_and_saveexec_b64 s[8:9], s[12:13]
; %bb.2394:
	s_mov_b32 s10, 0x7f800001
	s_xor_b64 s[4:5], exec, -1
; %bb.2395:
	s_or_b64 exec, exec, s[8:9]
	s_and_b64 s[4:5], s[4:5], exec
	s_or_saveexec_b64 s[6:7], s[6:7]
	v_mov_b32_e32 v10, s10
	s_xor_b64 exec, exec, s[6:7]
	s_cbranch_execz .LBB20_346
.LBB20_2396:
	v_mov_b32_e32 v10, 0
	v_cmp_ne_u16_sdwa s[8:9], v16, v10 src0_sel:BYTE_3 src1_sel:DWORD
	s_andn2_b64 s[4:5], s[4:5], exec
	s_and_b64 s[8:9], s[8:9], exec
	s_or_b64 s[4:5], s[4:5], s[8:9]
	s_or_b64 exec, exec, s[6:7]
	s_and_saveexec_b64 s[6:7], s[4:5]
	s_cbranch_execnz .LBB20_347
	s_branch .LBB20_348
.LBB20_2397:
	s_movk_i32 s4, 0x80
	v_cmp_eq_u16_sdwa s[12:13], v12, s4 src0_sel:BYTE_3 src1_sel:DWORD
	s_mov_b64 s[4:5], -1
                                        ; implicit-def: $sgpr10
	s_and_saveexec_b64 s[8:9], s[12:13]
; %bb.2398:
	s_mov_b32 s10, 0x7f800001
	s_xor_b64 s[4:5], exec, -1
; %bb.2399:
	s_or_b64 exec, exec, s[8:9]
	s_and_b64 s[4:5], s[4:5], exec
	s_or_saveexec_b64 s[6:7], s[6:7]
	v_mov_b32_e32 v11, s10
	s_xor_b64 exec, exec, s[6:7]
	s_cbranch_execz .LBB20_350
.LBB20_2400:
	v_mov_b32_e32 v11, 0
	v_cmp_ne_u16_sdwa s[8:9], v12, v11 src0_sel:BYTE_3 src1_sel:DWORD
	s_andn2_b64 s[4:5], s[4:5], exec
	s_and_b64 s[8:9], s[8:9], exec
	s_or_b64 s[4:5], s[4:5], s[8:9]
	s_or_b64 exec, exec, s[6:7]
	s_and_saveexec_b64 s[6:7], s[4:5]
	s_cbranch_execnz .LBB20_351
	s_branch .LBB20_352
.LBB20_2401:
	s_movk_i32 s4, 0x80
	v_cmp_eq_u16_sdwa s[12:13], v17, s4 src0_sel:BYTE_0 src1_sel:DWORD
	s_mov_b64 s[4:5], -1
                                        ; implicit-def: $sgpr10
	s_and_saveexec_b64 s[8:9], s[12:13]
; %bb.2402:
	s_mov_b32 s10, 0x7f800001
	s_xor_b64 s[4:5], exec, -1
; %bb.2403:
	s_or_b64 exec, exec, s[8:9]
	s_and_b64 s[4:5], s[4:5], exec
	s_or_saveexec_b64 s[6:7], s[6:7]
	v_mov_b32_e32 v10, s10
	s_xor_b64 exec, exec, s[6:7]
	s_cbranch_execz .LBB20_354
.LBB20_2404:
	v_mov_b32_e32 v10, 0
	v_cmp_ne_u16_sdwa s[8:9], v17, v10 src0_sel:BYTE_0 src1_sel:DWORD
	s_andn2_b64 s[4:5], s[4:5], exec
	s_and_b64 s[8:9], s[8:9], exec
	s_or_b64 s[4:5], s[4:5], s[8:9]
	s_or_b64 exec, exec, s[6:7]
	s_and_saveexec_b64 s[6:7], s[4:5]
	s_cbranch_execnz .LBB20_355
	s_branch .LBB20_356
.LBB20_2405:
	s_movk_i32 s4, 0x80
	v_cmp_eq_u16_sdwa s[12:13], v13, s4 src0_sel:BYTE_0 src1_sel:DWORD
	s_mov_b64 s[4:5], -1
                                        ; implicit-def: $sgpr10
	s_and_saveexec_b64 s[8:9], s[12:13]
; %bb.2406:
	s_mov_b32 s10, 0x7f800001
	s_xor_b64 s[4:5], exec, -1
; %bb.2407:
	s_or_b64 exec, exec, s[8:9]
	s_and_b64 s[4:5], s[4:5], exec
	s_or_saveexec_b64 s[6:7], s[6:7]
	v_mov_b32_e32 v11, s10
	s_xor_b64 exec, exec, s[6:7]
	s_cbranch_execz .LBB20_358
.LBB20_2408:
	v_mov_b32_e32 v11, 0
	v_cmp_ne_u16_sdwa s[8:9], v13, v11 src0_sel:BYTE_0 src1_sel:DWORD
	s_andn2_b64 s[4:5], s[4:5], exec
	s_and_b64 s[8:9], s[8:9], exec
	s_or_b64 s[4:5], s[4:5], s[8:9]
	s_or_b64 exec, exec, s[6:7]
	s_and_saveexec_b64 s[6:7], s[4:5]
	s_cbranch_execnz .LBB20_359
	s_branch .LBB20_360
.LBB20_2409:
	s_movk_i32 s4, 0x80
	v_cmp_eq_u16_sdwa s[12:13], v11, s4 src0_sel:BYTE_0 src1_sel:DWORD
	s_mov_b64 s[4:5], -1
                                        ; implicit-def: $sgpr10
	s_and_saveexec_b64 s[8:9], s[12:13]
; %bb.2410:
	s_mov_b32 s10, 0x7f800001
	s_xor_b64 s[4:5], exec, -1
; %bb.2411:
	s_or_b64 exec, exec, s[8:9]
	s_and_b64 s[4:5], s[4:5], exec
	s_or_saveexec_b64 s[6:7], s[6:7]
	v_mov_b32_e32 v10, s10
	s_xor_b64 exec, exec, s[6:7]
	s_cbranch_execz .LBB20_362
.LBB20_2412:
	v_mov_b32_e32 v10, 0
	v_cmp_ne_u16_sdwa s[8:9], v11, v10 src0_sel:BYTE_0 src1_sel:DWORD
	s_andn2_b64 s[4:5], s[4:5], exec
	s_and_b64 s[8:9], s[8:9], exec
	s_or_b64 s[4:5], s[4:5], s[8:9]
	s_or_b64 exec, exec, s[6:7]
	s_and_saveexec_b64 s[6:7], s[4:5]
	s_cbranch_execnz .LBB20_363
	s_branch .LBB20_364
.LBB20_2413:
	s_movk_i32 s4, 0x80
	v_cmp_eq_u16_sdwa s[12:13], v11, s4 src0_sel:BYTE_0 src1_sel:DWORD
	s_mov_b64 s[4:5], -1
                                        ; implicit-def: $sgpr10
	s_and_saveexec_b64 s[8:9], s[12:13]
; %bb.2414:
	s_mov_b32 s10, 0x7f800001
	s_xor_b64 s[4:5], exec, -1
; %bb.2415:
	s_or_b64 exec, exec, s[8:9]
	s_and_b64 s[4:5], s[4:5], exec
	s_or_saveexec_b64 s[6:7], s[6:7]
	v_mov_b32_e32 v12, s10
	s_xor_b64 exec, exec, s[6:7]
	s_cbranch_execz .LBB20_366
.LBB20_2416:
	v_mov_b32_e32 v12, 0
	v_cmp_ne_u16_sdwa s[8:9], v11, v12 src0_sel:BYTE_0 src1_sel:DWORD
	s_andn2_b64 s[4:5], s[4:5], exec
	s_and_b64 s[8:9], s[8:9], exec
	s_or_b64 s[4:5], s[4:5], s[8:9]
	s_or_b64 exec, exec, s[6:7]
	s_and_saveexec_b64 s[6:7], s[4:5]
	s_cbranch_execnz .LBB20_367
	s_branch .LBB20_368
.LBB20_2417:
	s_movk_i32 s4, 0x80
	v_cmp_eq_u16_e32 vcc, s4, v11
	s_mov_b64 s[4:5], -1
                                        ; implicit-def: $sgpr10
	s_and_saveexec_b64 s[8:9], vcc
; %bb.2418:
	s_mov_b32 s10, 0x7f800001
	s_xor_b64 s[4:5], exec, -1
; %bb.2419:
	s_or_b64 exec, exec, s[8:9]
	s_and_b64 s[4:5], s[4:5], exec
                                        ; implicit-def: $vgpr11
	s_or_saveexec_b64 s[6:7], s[6:7]
	v_mov_b32_e32 v10, s10
	s_xor_b64 exec, exec, s[6:7]
	s_cbranch_execz .LBB20_370
.LBB20_2420:
	v_cmp_ne_u16_e32 vcc, 0, v11
	s_andn2_b64 s[4:5], s[4:5], exec
	s_and_b64 s[8:9], vcc, exec
	v_mov_b32_e32 v10, 0
	s_or_b64 s[4:5], s[4:5], s[8:9]
	s_or_b64 exec, exec, s[6:7]
	s_and_saveexec_b64 s[6:7], s[4:5]
	s_cbranch_execnz .LBB20_371
	s_branch .LBB20_372
.LBB20_2421:
	s_movk_i32 s4, 0x80
	v_cmp_eq_u16_e32 vcc, s4, v11
	s_mov_b64 s[4:5], -1
                                        ; implicit-def: $sgpr10
	s_and_saveexec_b64 s[8:9], vcc
; %bb.2422:
	s_mov_b32 s10, 0x7f800001
	s_xor_b64 s[4:5], exec, -1
; %bb.2423:
	s_or_b64 exec, exec, s[8:9]
	s_and_b64 s[4:5], s[4:5], exec
                                        ; implicit-def: $vgpr11
	s_or_saveexec_b64 s[6:7], s[6:7]
	v_mov_b32_e32 v12, s10
	s_xor_b64 exec, exec, s[6:7]
	s_cbranch_execz .LBB20_374
.LBB20_2424:
	v_cmp_ne_u16_e32 vcc, 0, v11
	s_andn2_b64 s[4:5], s[4:5], exec
	s_and_b64 s[8:9], vcc, exec
	v_mov_b32_e32 v12, 0
	s_or_b64 s[4:5], s[4:5], s[8:9]
	s_or_b64 exec, exec, s[6:7]
	s_and_saveexec_b64 s[6:7], s[4:5]
	s_cbranch_execnz .LBB20_375
	s_branch .LBB20_376
.LBB20_2425:
	s_movk_i32 s4, 0x80
	v_cmp_eq_u16_sdwa s[12:13], v17, s4 src0_sel:BYTE_3 src1_sel:DWORD
	s_mov_b64 s[4:5], -1
                                        ; implicit-def: $sgpr10
	s_and_saveexec_b64 s[8:9], s[12:13]
; %bb.2426:
	s_mov_b32 s10, 0x7f800001
	s_xor_b64 s[4:5], exec, -1
; %bb.2427:
	s_or_b64 exec, exec, s[8:9]
	s_and_b64 s[4:5], s[4:5], exec
	s_or_saveexec_b64 s[6:7], s[6:7]
	v_mov_b32_e32 v10, s10
	s_xor_b64 exec, exec, s[6:7]
	s_cbranch_execz .LBB20_378
.LBB20_2428:
	v_mov_b32_e32 v10, 0
	v_cmp_ne_u16_sdwa s[8:9], v17, v10 src0_sel:BYTE_3 src1_sel:DWORD
	s_andn2_b64 s[4:5], s[4:5], exec
	s_and_b64 s[8:9], s[8:9], exec
	s_or_b64 s[4:5], s[4:5], s[8:9]
	s_or_b64 exec, exec, s[6:7]
	s_and_saveexec_b64 s[6:7], s[4:5]
	s_cbranch_execnz .LBB20_379
	s_branch .LBB20_380
.LBB20_2429:
	s_movk_i32 s4, 0x80
	v_cmp_eq_u16_sdwa s[12:13], v13, s4 src0_sel:BYTE_3 src1_sel:DWORD
	s_mov_b64 s[4:5], -1
                                        ; implicit-def: $sgpr10
	s_and_saveexec_b64 s[8:9], s[12:13]
; %bb.2430:
	s_mov_b32 s10, 0x7f800001
	s_xor_b64 s[4:5], exec, -1
; %bb.2431:
	s_or_b64 exec, exec, s[8:9]
	s_and_b64 s[4:5], s[4:5], exec
	s_or_saveexec_b64 s[6:7], s[6:7]
	v_mov_b32_e32 v11, s10
	s_xor_b64 exec, exec, s[6:7]
	s_cbranch_execz .LBB20_382
.LBB20_2432:
	v_mov_b32_e32 v11, 0
	v_cmp_ne_u16_sdwa s[8:9], v13, v11 src0_sel:BYTE_3 src1_sel:DWORD
	s_andn2_b64 s[4:5], s[4:5], exec
	s_and_b64 s[8:9], s[8:9], exec
	s_or_b64 s[4:5], s[4:5], s[8:9]
	s_or_b64 exec, exec, s[6:7]
	s_and_saveexec_b64 s[6:7], s[4:5]
	s_cbranch_execnz .LBB20_383
	s_branch .LBB20_384
.LBB20_2433:
	s_movk_i32 s4, 0x80
	v_cmp_eq_u16_sdwa s[12:13], v6, s4 src0_sel:BYTE_0 src1_sel:DWORD
	s_mov_b64 s[4:5], -1
                                        ; implicit-def: $sgpr10
	s_and_saveexec_b64 s[8:9], s[12:13]
; %bb.2434:
	s_mov_b32 s10, 0x7f800001
	s_xor_b64 s[4:5], exec, -1
; %bb.2435:
	s_or_b64 exec, exec, s[8:9]
	s_and_b64 s[4:5], s[4:5], exec
	s_or_saveexec_b64 s[6:7], s[6:7]
	v_mov_b32_e32 v10, s10
	s_xor_b64 exec, exec, s[6:7]
	s_cbranch_execz .LBB20_386
.LBB20_2436:
	v_mov_b32_e32 v10, 0
	v_cmp_ne_u16_sdwa s[8:9], v6, v10 src0_sel:BYTE_0 src1_sel:DWORD
	s_andn2_b64 s[4:5], s[4:5], exec
	s_and_b64 s[8:9], s[8:9], exec
	s_or_b64 s[4:5], s[4:5], s[8:9]
	s_or_b64 exec, exec, s[6:7]
	s_and_saveexec_b64 s[6:7], s[4:5]
	s_cbranch_execnz .LBB20_387
	s_branch .LBB20_388
.LBB20_2437:
	s_movk_i32 s4, 0x80
	v_cmp_eq_u16_sdwa s[12:13], v2, s4 src0_sel:BYTE_0 src1_sel:DWORD
	s_mov_b64 s[4:5], -1
                                        ; implicit-def: $sgpr10
	s_and_saveexec_b64 s[8:9], s[12:13]
; %bb.2438:
	s_mov_b32 s10, 0x7f800001
	s_xor_b64 s[4:5], exec, -1
; %bb.2439:
	s_or_b64 exec, exec, s[8:9]
	s_and_b64 s[4:5], s[4:5], exec
	s_or_saveexec_b64 s[6:7], s[6:7]
	v_mov_b32_e32 v11, s10
	s_xor_b64 exec, exec, s[6:7]
	s_cbranch_execz .LBB20_390
.LBB20_2440:
	v_mov_b32_e32 v11, 0
	v_cmp_ne_u16_sdwa s[8:9], v2, v11 src0_sel:BYTE_0 src1_sel:DWORD
	s_andn2_b64 s[4:5], s[4:5], exec
	s_and_b64 s[8:9], s[8:9], exec
	s_or_b64 s[4:5], s[4:5], s[8:9]
	s_or_b64 exec, exec, s[6:7]
	s_and_saveexec_b64 s[6:7], s[4:5]
	s_cbranch_execnz .LBB20_391
	s_branch .LBB20_392
.LBB20_2441:
	s_movk_i32 s4, 0x80
	v_cmp_eq_u16_sdwa s[12:13], v11, s4 src0_sel:BYTE_0 src1_sel:DWORD
	s_mov_b64 s[4:5], -1
                                        ; implicit-def: $sgpr10
	s_and_saveexec_b64 s[8:9], s[12:13]
; %bb.2442:
	s_mov_b32 s10, 0x7f800001
	s_xor_b64 s[4:5], exec, -1
; %bb.2443:
	s_or_b64 exec, exec, s[8:9]
	s_and_b64 s[4:5], s[4:5], exec
	s_or_saveexec_b64 s[6:7], s[6:7]
	v_mov_b32_e32 v10, s10
	s_xor_b64 exec, exec, s[6:7]
	s_cbranch_execz .LBB20_394
.LBB20_2444:
	v_mov_b32_e32 v10, 0
	v_cmp_ne_u16_sdwa s[8:9], v11, v10 src0_sel:BYTE_0 src1_sel:DWORD
	s_andn2_b64 s[4:5], s[4:5], exec
	s_and_b64 s[8:9], s[8:9], exec
	s_or_b64 s[4:5], s[4:5], s[8:9]
	s_or_b64 exec, exec, s[6:7]
	s_and_saveexec_b64 s[6:7], s[4:5]
	s_cbranch_execnz .LBB20_395
	s_branch .LBB20_396
.LBB20_2445:
	s_movk_i32 s4, 0x80
	v_cmp_eq_u16_sdwa s[12:13], v11, s4 src0_sel:BYTE_0 src1_sel:DWORD
	s_mov_b64 s[4:5], -1
                                        ; implicit-def: $sgpr10
	s_and_saveexec_b64 s[8:9], s[12:13]
; %bb.2446:
	s_mov_b32 s10, 0x7f800001
	s_xor_b64 s[4:5], exec, -1
; %bb.2447:
	s_or_b64 exec, exec, s[8:9]
	s_and_b64 s[4:5], s[4:5], exec
	s_or_saveexec_b64 s[6:7], s[6:7]
	v_mov_b32_e32 v12, s10
	s_xor_b64 exec, exec, s[6:7]
	s_cbranch_execz .LBB20_398
.LBB20_2448:
	v_mov_b32_e32 v12, 0
	v_cmp_ne_u16_sdwa s[8:9], v11, v12 src0_sel:BYTE_0 src1_sel:DWORD
	s_andn2_b64 s[4:5], s[4:5], exec
	s_and_b64 s[8:9], s[8:9], exec
	s_or_b64 s[4:5], s[4:5], s[8:9]
	s_or_b64 exec, exec, s[6:7]
	s_and_saveexec_b64 s[6:7], s[4:5]
	s_cbranch_execnz .LBB20_399
	s_branch .LBB20_400
.LBB20_2449:
	s_movk_i32 s4, 0x80
	v_cmp_eq_u16_e32 vcc, s4, v11
	s_mov_b64 s[4:5], -1
                                        ; implicit-def: $sgpr10
	s_and_saveexec_b64 s[8:9], vcc
; %bb.2450:
	s_mov_b32 s10, 0x7f800001
	s_xor_b64 s[4:5], exec, -1
; %bb.2451:
	s_or_b64 exec, exec, s[8:9]
	s_and_b64 s[4:5], s[4:5], exec
                                        ; implicit-def: $vgpr11
	s_or_saveexec_b64 s[6:7], s[6:7]
	v_mov_b32_e32 v10, s10
	s_xor_b64 exec, exec, s[6:7]
	s_cbranch_execz .LBB20_402
.LBB20_2452:
	v_cmp_ne_u16_e32 vcc, 0, v11
	s_andn2_b64 s[4:5], s[4:5], exec
	s_and_b64 s[8:9], vcc, exec
	v_mov_b32_e32 v10, 0
	s_or_b64 s[4:5], s[4:5], s[8:9]
	s_or_b64 exec, exec, s[6:7]
	s_and_saveexec_b64 s[6:7], s[4:5]
	s_cbranch_execnz .LBB20_403
	s_branch .LBB20_404
.LBB20_2453:
	s_movk_i32 s4, 0x80
	v_cmp_eq_u16_e32 vcc, s4, v11
	s_mov_b64 s[4:5], -1
                                        ; implicit-def: $sgpr10
	s_and_saveexec_b64 s[8:9], vcc
; %bb.2454:
	s_mov_b32 s10, 0x7f800001
	s_xor_b64 s[4:5], exec, -1
; %bb.2455:
	s_or_b64 exec, exec, s[8:9]
	s_and_b64 s[4:5], s[4:5], exec
                                        ; implicit-def: $vgpr11
	s_or_saveexec_b64 s[6:7], s[6:7]
	v_mov_b32_e32 v12, s10
	s_xor_b64 exec, exec, s[6:7]
	s_cbranch_execz .LBB20_406
.LBB20_2456:
	v_cmp_ne_u16_e32 vcc, 0, v11
	s_andn2_b64 s[4:5], s[4:5], exec
	s_and_b64 s[8:9], vcc, exec
	v_mov_b32_e32 v12, 0
	s_or_b64 s[4:5], s[4:5], s[8:9]
	s_or_b64 exec, exec, s[6:7]
	s_and_saveexec_b64 s[6:7], s[4:5]
	s_cbranch_execnz .LBB20_407
	s_branch .LBB20_408
.LBB20_2457:
	s_movk_i32 s4, 0x80
	v_cmp_eq_u16_sdwa s[12:13], v6, s4 src0_sel:BYTE_3 src1_sel:DWORD
	s_mov_b64 s[4:5], -1
                                        ; implicit-def: $sgpr10
	s_and_saveexec_b64 s[8:9], s[12:13]
; %bb.2458:
	s_mov_b32 s10, 0x7f800001
	s_xor_b64 s[4:5], exec, -1
; %bb.2459:
	s_or_b64 exec, exec, s[8:9]
	s_and_b64 s[4:5], s[4:5], exec
	s_or_saveexec_b64 s[6:7], s[6:7]
	v_mov_b32_e32 v10, s10
	s_xor_b64 exec, exec, s[6:7]
	s_cbranch_execz .LBB20_410
.LBB20_2460:
	v_mov_b32_e32 v10, 0
	v_cmp_ne_u16_sdwa s[8:9], v6, v10 src0_sel:BYTE_3 src1_sel:DWORD
	s_andn2_b64 s[4:5], s[4:5], exec
	s_and_b64 s[8:9], s[8:9], exec
	s_or_b64 s[4:5], s[4:5], s[8:9]
	s_or_b64 exec, exec, s[6:7]
	s_and_saveexec_b64 s[6:7], s[4:5]
	s_cbranch_execnz .LBB20_411
	s_branch .LBB20_412
.LBB20_2461:
	s_movk_i32 s4, 0x80
	v_cmp_eq_u16_sdwa s[12:13], v2, s4 src0_sel:BYTE_3 src1_sel:DWORD
	s_mov_b64 s[4:5], -1
                                        ; implicit-def: $sgpr10
	s_and_saveexec_b64 s[8:9], s[12:13]
; %bb.2462:
	s_mov_b32 s10, 0x7f800001
	s_xor_b64 s[4:5], exec, -1
; %bb.2463:
	s_or_b64 exec, exec, s[8:9]
	s_and_b64 s[4:5], s[4:5], exec
	s_or_saveexec_b64 s[6:7], s[6:7]
	v_mov_b32_e32 v6, s10
	s_xor_b64 exec, exec, s[6:7]
	s_cbranch_execz .LBB20_414
.LBB20_2464:
	v_mov_b32_e32 v6, 0
	v_cmp_ne_u16_sdwa s[8:9], v2, v6 src0_sel:BYTE_3 src1_sel:DWORD
	s_andn2_b64 s[4:5], s[4:5], exec
	s_and_b64 s[8:9], s[8:9], exec
	s_or_b64 s[4:5], s[4:5], s[8:9]
	s_or_b64 exec, exec, s[6:7]
	s_and_saveexec_b64 s[6:7], s[4:5]
	s_cbranch_execnz .LBB20_415
	s_branch .LBB20_416
.LBB20_2465:
	s_movk_i32 s4, 0x80
	v_cmp_eq_u16_sdwa s[12:13], v7, s4 src0_sel:BYTE_0 src1_sel:DWORD
	s_mov_b64 s[4:5], -1
                                        ; implicit-def: $sgpr10
	s_and_saveexec_b64 s[8:9], s[12:13]
; %bb.2466:
	s_mov_b32 s10, 0x7f800001
	s_xor_b64 s[4:5], exec, -1
; %bb.2467:
	s_or_b64 exec, exec, s[8:9]
	s_and_b64 s[4:5], s[4:5], exec
	s_or_saveexec_b64 s[6:7], s[6:7]
	v_mov_b32_e32 v2, s10
	s_xor_b64 exec, exec, s[6:7]
	s_cbranch_execz .LBB20_418
.LBB20_2468:
	v_mov_b32_e32 v2, 0
	v_cmp_ne_u16_sdwa s[8:9], v7, v2 src0_sel:BYTE_0 src1_sel:DWORD
	s_andn2_b64 s[4:5], s[4:5], exec
	s_and_b64 s[8:9], s[8:9], exec
	s_or_b64 s[4:5], s[4:5], s[8:9]
	s_or_b64 exec, exec, s[6:7]
	s_and_saveexec_b64 s[6:7], s[4:5]
	s_cbranch_execnz .LBB20_419
	s_branch .LBB20_420
.LBB20_2469:
	s_movk_i32 s4, 0x80
	v_cmp_eq_u16_sdwa s[12:13], v3, s4 src0_sel:BYTE_0 src1_sel:DWORD
	s_mov_b64 s[4:5], -1
                                        ; implicit-def: $sgpr10
	s_and_saveexec_b64 s[8:9], s[12:13]
; %bb.2470:
	s_mov_b32 s10, 0x7f800001
	s_xor_b64 s[4:5], exec, -1
; %bb.2471:
	s_or_b64 exec, exec, s[8:9]
	s_and_b64 s[4:5], s[4:5], exec
	s_or_saveexec_b64 s[6:7], s[6:7]
	v_mov_b32_e32 v6, s10
	s_xor_b64 exec, exec, s[6:7]
	s_cbranch_execz .LBB20_422
.LBB20_2472:
	v_mov_b32_e32 v6, 0
	v_cmp_ne_u16_sdwa s[8:9], v3, v6 src0_sel:BYTE_0 src1_sel:DWORD
	s_andn2_b64 s[4:5], s[4:5], exec
	s_and_b64 s[8:9], s[8:9], exec
	s_or_b64 s[4:5], s[4:5], s[8:9]
	s_or_b64 exec, exec, s[6:7]
	s_and_saveexec_b64 s[6:7], s[4:5]
	s_cbranch_execnz .LBB20_423
	s_branch .LBB20_424
.LBB20_2473:
	s_movk_i32 s4, 0x80
	v_cmp_eq_u16_sdwa s[12:13], v6, s4 src0_sel:BYTE_0 src1_sel:DWORD
	s_mov_b64 s[4:5], -1
                                        ; implicit-def: $sgpr10
	s_and_saveexec_b64 s[8:9], s[12:13]
; %bb.2474:
	s_mov_b32 s10, 0x7f800001
	s_xor_b64 s[4:5], exec, -1
; %bb.2475:
	s_or_b64 exec, exec, s[8:9]
	s_and_b64 s[4:5], s[4:5], exec
	s_or_saveexec_b64 s[6:7], s[6:7]
	v_mov_b32_e32 v2, s10
	s_xor_b64 exec, exec, s[6:7]
	s_cbranch_execz .LBB20_426
.LBB20_2476:
	v_mov_b32_e32 v2, 0
	v_cmp_ne_u16_sdwa s[8:9], v6, v2 src0_sel:BYTE_0 src1_sel:DWORD
	s_andn2_b64 s[4:5], s[4:5], exec
	s_and_b64 s[8:9], s[8:9], exec
	s_or_b64 s[4:5], s[4:5], s[8:9]
	s_or_b64 exec, exec, s[6:7]
	s_and_saveexec_b64 s[6:7], s[4:5]
	s_cbranch_execnz .LBB20_427
	s_branch .LBB20_428
.LBB20_2477:
	s_movk_i32 s4, 0x80
	v_cmp_eq_u16_sdwa s[12:13], v6, s4 src0_sel:BYTE_0 src1_sel:DWORD
	s_mov_b64 s[4:5], -1
                                        ; implicit-def: $sgpr10
	s_and_saveexec_b64 s[8:9], s[12:13]
; %bb.2478:
	s_mov_b32 s10, 0x7f800001
	s_xor_b64 s[4:5], exec, -1
; %bb.2479:
	s_or_b64 exec, exec, s[8:9]
	s_and_b64 s[4:5], s[4:5], exec
	s_or_saveexec_b64 s[6:7], s[6:7]
	v_mov_b32_e32 v10, s10
	s_xor_b64 exec, exec, s[6:7]
	s_cbranch_execz .LBB20_430
.LBB20_2480:
	v_mov_b32_e32 v10, 0
	v_cmp_ne_u16_sdwa s[8:9], v6, v10 src0_sel:BYTE_0 src1_sel:DWORD
	s_andn2_b64 s[4:5], s[4:5], exec
	s_and_b64 s[8:9], s[8:9], exec
	s_or_b64 s[4:5], s[4:5], s[8:9]
	s_or_b64 exec, exec, s[6:7]
	s_and_saveexec_b64 s[6:7], s[4:5]
	s_cbranch_execnz .LBB20_431
	s_branch .LBB20_432
.LBB20_2481:
	s_movk_i32 s4, 0x80
	v_cmp_eq_u16_e32 vcc, s4, v6
	s_mov_b64 s[4:5], -1
                                        ; implicit-def: $sgpr10
	s_and_saveexec_b64 s[8:9], vcc
; %bb.2482:
	s_mov_b32 s10, 0x7f800001
	s_xor_b64 s[4:5], exec, -1
; %bb.2483:
	s_or_b64 exec, exec, s[8:9]
	s_and_b64 s[4:5], s[4:5], exec
                                        ; implicit-def: $vgpr6
	s_or_saveexec_b64 s[6:7], s[6:7]
	v_mov_b32_e32 v2, s10
	s_xor_b64 exec, exec, s[6:7]
	s_cbranch_execz .LBB20_434
.LBB20_2484:
	v_cmp_ne_u16_e32 vcc, 0, v6
	s_andn2_b64 s[4:5], s[4:5], exec
	s_and_b64 s[8:9], vcc, exec
	v_mov_b32_e32 v2, 0
	s_or_b64 s[4:5], s[4:5], s[8:9]
	s_or_b64 exec, exec, s[6:7]
	s_and_saveexec_b64 s[6:7], s[4:5]
	s_cbranch_execnz .LBB20_435
	s_branch .LBB20_436
.LBB20_2485:
	s_movk_i32 s4, 0x80
	v_cmp_eq_u16_e32 vcc, s4, v6
	s_mov_b64 s[4:5], -1
                                        ; implicit-def: $sgpr10
	s_and_saveexec_b64 s[8:9], vcc
; %bb.2486:
	s_mov_b32 s10, 0x7f800001
	s_xor_b64 s[4:5], exec, -1
; %bb.2487:
	s_or_b64 exec, exec, s[8:9]
	s_and_b64 s[4:5], s[4:5], exec
                                        ; implicit-def: $vgpr6
	s_or_saveexec_b64 s[6:7], s[6:7]
	v_mov_b32_e32 v10, s10
	s_xor_b64 exec, exec, s[6:7]
	s_cbranch_execz .LBB20_438
.LBB20_2488:
	v_cmp_ne_u16_e32 vcc, 0, v6
	s_andn2_b64 s[4:5], s[4:5], exec
	s_and_b64 s[8:9], vcc, exec
	v_mov_b32_e32 v10, 0
	s_or_b64 s[4:5], s[4:5], s[8:9]
	s_or_b64 exec, exec, s[6:7]
	s_and_saveexec_b64 s[6:7], s[4:5]
	s_cbranch_execnz .LBB20_439
	s_branch .LBB20_440
.LBB20_2489:
	s_movk_i32 s4, 0x80
	v_cmp_eq_u16_sdwa s[12:13], v7, s4 src0_sel:BYTE_3 src1_sel:DWORD
	s_mov_b64 s[4:5], -1
                                        ; implicit-def: $sgpr10
	s_and_saveexec_b64 s[8:9], s[12:13]
; %bb.2490:
	s_mov_b32 s10, 0x7f800001
	s_xor_b64 s[4:5], exec, -1
; %bb.2491:
	s_or_b64 exec, exec, s[8:9]
	s_and_b64 s[4:5], s[4:5], exec
	s_or_saveexec_b64 s[6:7], s[6:7]
	v_mov_b32_e32 v2, s10
	s_xor_b64 exec, exec, s[6:7]
	s_cbranch_execz .LBB20_442
.LBB20_2492:
	v_mov_b32_e32 v2, 0
	v_cmp_ne_u16_sdwa s[8:9], v7, v2 src0_sel:BYTE_3 src1_sel:DWORD
	s_andn2_b64 s[4:5], s[4:5], exec
	s_and_b64 s[8:9], s[8:9], exec
	s_or_b64 s[4:5], s[4:5], s[8:9]
	s_or_b64 exec, exec, s[6:7]
	s_and_saveexec_b64 s[6:7], s[4:5]
	s_cbranch_execnz .LBB20_443
	s_branch .LBB20_444
.LBB20_2493:
	s_movk_i32 s4, 0x80
	v_cmp_eq_u16_sdwa s[12:13], v3, s4 src0_sel:BYTE_3 src1_sel:DWORD
	s_mov_b64 s[4:5], -1
                                        ; implicit-def: $sgpr10
	s_and_saveexec_b64 s[8:9], s[12:13]
; %bb.2494:
	s_mov_b32 s10, 0x7f800001
	s_xor_b64 s[4:5], exec, -1
; %bb.2495:
	s_or_b64 exec, exec, s[8:9]
	s_and_b64 s[4:5], s[4:5], exec
	s_or_saveexec_b64 s[6:7], s[6:7]
	v_mov_b32_e32 v6, s10
	s_xor_b64 exec, exec, s[6:7]
	s_cbranch_execz .LBB20_446
.LBB20_2496:
	v_mov_b32_e32 v6, 0
	v_cmp_ne_u16_sdwa s[8:9], v3, v6 src0_sel:BYTE_3 src1_sel:DWORD
	s_andn2_b64 s[4:5], s[4:5], exec
	s_and_b64 s[8:9], s[8:9], exec
	s_or_b64 s[4:5], s[4:5], s[8:9]
	s_or_b64 exec, exec, s[6:7]
	s_and_saveexec_b64 s[6:7], s[4:5]
	s_cbranch_execnz .LBB20_447
	s_branch .LBB20_448
.LBB20_2497:
	s_movk_i32 s4, 0x80
	v_cmp_eq_u16_sdwa s[12:13], v8, s4 src0_sel:BYTE_0 src1_sel:DWORD
	s_mov_b64 s[4:5], -1
                                        ; implicit-def: $sgpr10
	s_and_saveexec_b64 s[8:9], s[12:13]
; %bb.2498:
	s_mov_b32 s10, 0x7f800001
	s_xor_b64 s[4:5], exec, -1
; %bb.2499:
	s_or_b64 exec, exec, s[8:9]
	s_and_b64 s[4:5], s[4:5], exec
	s_or_saveexec_b64 s[6:7], s[6:7]
	v_mov_b32_e32 v2, s10
	s_xor_b64 exec, exec, s[6:7]
	s_cbranch_execz .LBB20_450
.LBB20_2500:
	v_mov_b32_e32 v2, 0
	v_cmp_ne_u16_sdwa s[8:9], v8, v2 src0_sel:BYTE_0 src1_sel:DWORD
	s_andn2_b64 s[4:5], s[4:5], exec
	s_and_b64 s[8:9], s[8:9], exec
	s_or_b64 s[4:5], s[4:5], s[8:9]
	s_or_b64 exec, exec, s[6:7]
	s_and_saveexec_b64 s[6:7], s[4:5]
	s_cbranch_execnz .LBB20_451
	s_branch .LBB20_452
.LBB20_2501:
	s_movk_i32 s4, 0x80
	v_cmp_eq_u16_sdwa s[12:13], v4, s4 src0_sel:BYTE_0 src1_sel:DWORD
	s_mov_b64 s[4:5], -1
                                        ; implicit-def: $sgpr10
	s_and_saveexec_b64 s[8:9], s[12:13]
; %bb.2502:
	s_mov_b32 s10, 0x7f800001
	s_xor_b64 s[4:5], exec, -1
; %bb.2503:
	s_or_b64 exec, exec, s[8:9]
	s_and_b64 s[4:5], s[4:5], exec
	s_or_saveexec_b64 s[6:7], s[6:7]
	v_mov_b32_e32 v3, s10
	s_xor_b64 exec, exec, s[6:7]
	s_cbranch_execz .LBB20_454
.LBB20_2504:
	v_mov_b32_e32 v3, 0
	v_cmp_ne_u16_sdwa s[8:9], v4, v3 src0_sel:BYTE_0 src1_sel:DWORD
	s_andn2_b64 s[4:5], s[4:5], exec
	s_and_b64 s[8:9], s[8:9], exec
	s_or_b64 s[4:5], s[4:5], s[8:9]
	s_or_b64 exec, exec, s[6:7]
	s_and_saveexec_b64 s[6:7], s[4:5]
	s_cbranch_execnz .LBB20_455
	s_branch .LBB20_456
.LBB20_2505:
	s_movk_i32 s4, 0x80
	v_cmp_eq_u16_sdwa s[12:13], v3, s4 src0_sel:BYTE_0 src1_sel:DWORD
	s_mov_b64 s[4:5], -1
                                        ; implicit-def: $sgpr10
	s_and_saveexec_b64 s[8:9], s[12:13]
; %bb.2506:
	s_mov_b32 s10, 0x7f800001
	s_xor_b64 s[4:5], exec, -1
; %bb.2507:
	s_or_b64 exec, exec, s[8:9]
	s_and_b64 s[4:5], s[4:5], exec
	s_or_saveexec_b64 s[6:7], s[6:7]
	v_mov_b32_e32 v2, s10
	s_xor_b64 exec, exec, s[6:7]
	s_cbranch_execz .LBB20_458
.LBB20_2508:
	v_mov_b32_e32 v2, 0
	v_cmp_ne_u16_sdwa s[8:9], v3, v2 src0_sel:BYTE_0 src1_sel:DWORD
	s_andn2_b64 s[4:5], s[4:5], exec
	s_and_b64 s[8:9], s[8:9], exec
	s_or_b64 s[4:5], s[4:5], s[8:9]
	s_or_b64 exec, exec, s[6:7]
	s_and_saveexec_b64 s[6:7], s[4:5]
	s_cbranch_execnz .LBB20_459
	s_branch .LBB20_460
.LBB20_2509:
	s_movk_i32 s4, 0x80
	v_cmp_eq_u16_sdwa s[12:13], v3, s4 src0_sel:BYTE_0 src1_sel:DWORD
	s_mov_b64 s[4:5], -1
                                        ; implicit-def: $sgpr10
	s_and_saveexec_b64 s[8:9], s[12:13]
; %bb.2510:
	s_mov_b32 s10, 0x7f800001
	s_xor_b64 s[4:5], exec, -1
; %bb.2511:
	s_or_b64 exec, exec, s[8:9]
	s_and_b64 s[4:5], s[4:5], exec
	s_or_saveexec_b64 s[6:7], s[6:7]
	v_mov_b32_e32 v6, s10
	s_xor_b64 exec, exec, s[6:7]
	s_cbranch_execz .LBB20_462
.LBB20_2512:
	v_mov_b32_e32 v6, 0
	v_cmp_ne_u16_sdwa s[8:9], v3, v6 src0_sel:BYTE_0 src1_sel:DWORD
	s_andn2_b64 s[4:5], s[4:5], exec
	s_and_b64 s[8:9], s[8:9], exec
	s_or_b64 s[4:5], s[4:5], s[8:9]
	s_or_b64 exec, exec, s[6:7]
	s_and_saveexec_b64 s[6:7], s[4:5]
	s_cbranch_execnz .LBB20_463
	s_branch .LBB20_464
.LBB20_2513:
	s_movk_i32 s4, 0x80
	v_cmp_eq_u16_e32 vcc, s4, v3
	s_mov_b64 s[4:5], -1
                                        ; implicit-def: $sgpr10
	s_and_saveexec_b64 s[8:9], vcc
; %bb.2514:
	s_mov_b32 s10, 0x7f800001
	s_xor_b64 s[4:5], exec, -1
; %bb.2515:
	s_or_b64 exec, exec, s[8:9]
	s_and_b64 s[4:5], s[4:5], exec
                                        ; implicit-def: $vgpr3
	s_or_saveexec_b64 s[6:7], s[6:7]
	v_mov_b32_e32 v2, s10
	s_xor_b64 exec, exec, s[6:7]
	s_cbranch_execz .LBB20_466
.LBB20_2516:
	v_cmp_ne_u16_e32 vcc, 0, v3
	s_andn2_b64 s[4:5], s[4:5], exec
	s_and_b64 s[8:9], vcc, exec
	v_mov_b32_e32 v2, 0
	s_or_b64 s[4:5], s[4:5], s[8:9]
	s_or_b64 exec, exec, s[6:7]
	s_and_saveexec_b64 s[6:7], s[4:5]
	s_cbranch_execnz .LBB20_467
	s_branch .LBB20_468
.LBB20_2517:
	s_movk_i32 s4, 0x80
	v_cmp_eq_u16_e32 vcc, s4, v3
	s_mov_b64 s[4:5], -1
                                        ; implicit-def: $sgpr10
	s_and_saveexec_b64 s[8:9], vcc
; %bb.2518:
	s_mov_b32 s10, 0x7f800001
	s_xor_b64 s[4:5], exec, -1
; %bb.2519:
	s_or_b64 exec, exec, s[8:9]
	s_and_b64 s[4:5], s[4:5], exec
                                        ; implicit-def: $vgpr3
	s_or_saveexec_b64 s[6:7], s[6:7]
	v_mov_b32_e32 v6, s10
	s_xor_b64 exec, exec, s[6:7]
	s_cbranch_execz .LBB20_470
.LBB20_2520:
	v_cmp_ne_u16_e32 vcc, 0, v3
	s_andn2_b64 s[4:5], s[4:5], exec
	s_and_b64 s[8:9], vcc, exec
	v_mov_b32_e32 v6, 0
	s_or_b64 s[4:5], s[4:5], s[8:9]
	s_or_b64 exec, exec, s[6:7]
	s_and_saveexec_b64 s[6:7], s[4:5]
	s_cbranch_execnz .LBB20_471
	s_branch .LBB20_472
.LBB20_2521:
	s_movk_i32 s4, 0x80
	v_cmp_eq_u16_sdwa s[12:13], v8, s4 src0_sel:BYTE_3 src1_sel:DWORD
	s_mov_b64 s[4:5], -1
                                        ; implicit-def: $sgpr10
	s_and_saveexec_b64 s[8:9], s[12:13]
; %bb.2522:
	s_mov_b32 s10, 0x7f800001
	s_xor_b64 s[4:5], exec, -1
; %bb.2523:
	s_or_b64 exec, exec, s[8:9]
	s_and_b64 s[4:5], s[4:5], exec
	s_or_saveexec_b64 s[6:7], s[6:7]
	v_mov_b32_e32 v2, s10
	s_xor_b64 exec, exec, s[6:7]
	s_cbranch_execz .LBB20_474
.LBB20_2524:
	v_mov_b32_e32 v2, 0
	v_cmp_ne_u16_sdwa s[8:9], v8, v2 src0_sel:BYTE_3 src1_sel:DWORD
	s_andn2_b64 s[4:5], s[4:5], exec
	s_and_b64 s[8:9], s[8:9], exec
	s_or_b64 s[4:5], s[4:5], s[8:9]
	s_or_b64 exec, exec, s[6:7]
	s_and_saveexec_b64 s[6:7], s[4:5]
	s_cbranch_execnz .LBB20_475
	s_branch .LBB20_476
.LBB20_2525:
	s_movk_i32 s4, 0x80
	v_cmp_eq_u16_sdwa s[12:13], v4, s4 src0_sel:BYTE_3 src1_sel:DWORD
	s_mov_b64 s[4:5], -1
                                        ; implicit-def: $sgpr10
	s_and_saveexec_b64 s[8:9], s[12:13]
; %bb.2526:
	s_mov_b32 s10, 0x7f800001
	s_xor_b64 s[4:5], exec, -1
; %bb.2527:
	s_or_b64 exec, exec, s[8:9]
	s_and_b64 s[4:5], s[4:5], exec
	s_or_saveexec_b64 s[6:7], s[6:7]
	v_mov_b32_e32 v3, s10
	s_xor_b64 exec, exec, s[6:7]
	s_cbranch_execz .LBB20_478
.LBB20_2528:
	v_mov_b32_e32 v3, 0
	v_cmp_ne_u16_sdwa s[8:9], v4, v3 src0_sel:BYTE_3 src1_sel:DWORD
	s_andn2_b64 s[4:5], s[4:5], exec
	s_and_b64 s[8:9], s[8:9], exec
	s_or_b64 s[4:5], s[4:5], s[8:9]
	s_or_b64 exec, exec, s[6:7]
	s_and_saveexec_b64 s[6:7], s[4:5]
	s_cbranch_execnz .LBB20_479
	s_branch .LBB20_480
.LBB20_2529:
	s_movk_i32 s4, 0x80
	v_cmp_eq_u16_sdwa s[12:13], v9, s4 src0_sel:BYTE_0 src1_sel:DWORD
	s_mov_b64 s[4:5], -1
                                        ; implicit-def: $sgpr10
	s_and_saveexec_b64 s[8:9], s[12:13]
; %bb.2530:
	s_mov_b32 s10, 0x7f800001
	s_xor_b64 s[4:5], exec, -1
; %bb.2531:
	s_or_b64 exec, exec, s[8:9]
	s_and_b64 s[4:5], s[4:5], exec
	s_or_saveexec_b64 s[6:7], s[6:7]
	v_mov_b32_e32 v2, s10
	s_xor_b64 exec, exec, s[6:7]
	s_cbranch_execz .LBB20_482
.LBB20_2532:
	v_mov_b32_e32 v2, 0
	v_cmp_ne_u16_sdwa s[8:9], v9, v2 src0_sel:BYTE_0 src1_sel:DWORD
	s_andn2_b64 s[4:5], s[4:5], exec
	s_and_b64 s[8:9], s[8:9], exec
	s_or_b64 s[4:5], s[4:5], s[8:9]
	s_or_b64 exec, exec, s[6:7]
	s_and_saveexec_b64 s[6:7], s[4:5]
	s_cbranch_execnz .LBB20_483
	s_branch .LBB20_484
.LBB20_2533:
	s_movk_i32 s4, 0x80
	v_cmp_eq_u16_sdwa s[12:13], v5, s4 src0_sel:BYTE_0 src1_sel:DWORD
	s_mov_b64 s[4:5], -1
                                        ; implicit-def: $sgpr10
	s_and_saveexec_b64 s[8:9], s[12:13]
; %bb.2534:
	s_mov_b32 s10, 0x7f800001
	s_xor_b64 s[4:5], exec, -1
; %bb.2535:
	s_or_b64 exec, exec, s[8:9]
	s_and_b64 s[4:5], s[4:5], exec
	s_or_saveexec_b64 s[6:7], s[6:7]
	v_mov_b32_e32 v3, s10
	s_xor_b64 exec, exec, s[6:7]
	s_cbranch_execz .LBB20_486
.LBB20_2536:
	v_mov_b32_e32 v3, 0
	v_cmp_ne_u16_sdwa s[8:9], v5, v3 src0_sel:BYTE_0 src1_sel:DWORD
	s_andn2_b64 s[4:5], s[4:5], exec
	s_and_b64 s[8:9], s[8:9], exec
	s_or_b64 s[4:5], s[4:5], s[8:9]
	s_or_b64 exec, exec, s[6:7]
	s_and_saveexec_b64 s[6:7], s[4:5]
	s_cbranch_execnz .LBB20_487
	s_branch .LBB20_488
.LBB20_2537:
	s_movk_i32 s4, 0x80
	v_cmp_eq_u16_sdwa s[12:13], v3, s4 src0_sel:BYTE_0 src1_sel:DWORD
	s_mov_b64 s[4:5], -1
                                        ; implicit-def: $sgpr10
	s_and_saveexec_b64 s[8:9], s[12:13]
; %bb.2538:
	s_mov_b32 s10, 0x7f800001
	s_xor_b64 s[4:5], exec, -1
; %bb.2539:
	s_or_b64 exec, exec, s[8:9]
	s_and_b64 s[4:5], s[4:5], exec
	s_or_saveexec_b64 s[6:7], s[6:7]
	v_mov_b32_e32 v2, s10
	s_xor_b64 exec, exec, s[6:7]
	s_cbranch_execz .LBB20_490
.LBB20_2540:
	v_mov_b32_e32 v2, 0
	v_cmp_ne_u16_sdwa s[8:9], v3, v2 src0_sel:BYTE_0 src1_sel:DWORD
	s_andn2_b64 s[4:5], s[4:5], exec
	s_and_b64 s[8:9], s[8:9], exec
	s_or_b64 s[4:5], s[4:5], s[8:9]
	s_or_b64 exec, exec, s[6:7]
	s_and_saveexec_b64 s[6:7], s[4:5]
	s_cbranch_execnz .LBB20_491
	s_branch .LBB20_492
.LBB20_2541:
	s_movk_i32 s4, 0x80
	v_cmp_eq_u16_sdwa s[12:13], v3, s4 src0_sel:BYTE_0 src1_sel:DWORD
	s_mov_b64 s[4:5], -1
                                        ; implicit-def: $sgpr10
	s_and_saveexec_b64 s[8:9], s[12:13]
; %bb.2542:
	s_mov_b32 s10, 0x7f800001
	s_xor_b64 s[4:5], exec, -1
; %bb.2543:
	s_or_b64 exec, exec, s[8:9]
	s_and_b64 s[4:5], s[4:5], exec
	s_or_saveexec_b64 s[6:7], s[6:7]
	v_mov_b32_e32 v4, s10
	s_xor_b64 exec, exec, s[6:7]
	s_cbranch_execz .LBB20_494
.LBB20_2544:
	v_mov_b32_e32 v4, 0
	v_cmp_ne_u16_sdwa s[8:9], v3, v4 src0_sel:BYTE_0 src1_sel:DWORD
	s_andn2_b64 s[4:5], s[4:5], exec
	s_and_b64 s[8:9], s[8:9], exec
	s_or_b64 s[4:5], s[4:5], s[8:9]
	s_or_b64 exec, exec, s[6:7]
	s_and_saveexec_b64 s[6:7], s[4:5]
	s_cbranch_execnz .LBB20_495
	s_branch .LBB20_496
.LBB20_2545:
	s_movk_i32 s4, 0x80
	v_cmp_eq_u16_e32 vcc, s4, v3
	s_mov_b64 s[4:5], -1
                                        ; implicit-def: $sgpr10
	s_and_saveexec_b64 s[8:9], vcc
; %bb.2546:
	s_mov_b32 s10, 0x7f800001
	s_xor_b64 s[4:5], exec, -1
; %bb.2547:
	s_or_b64 exec, exec, s[8:9]
	s_and_b64 s[4:5], s[4:5], exec
                                        ; implicit-def: $vgpr3
	s_or_saveexec_b64 s[6:7], s[6:7]
	v_mov_b32_e32 v2, s10
	s_xor_b64 exec, exec, s[6:7]
	s_cbranch_execz .LBB20_498
.LBB20_2548:
	v_cmp_ne_u16_e32 vcc, 0, v3
	s_andn2_b64 s[4:5], s[4:5], exec
	s_and_b64 s[8:9], vcc, exec
	v_mov_b32_e32 v2, 0
	s_or_b64 s[4:5], s[4:5], s[8:9]
	s_or_b64 exec, exec, s[6:7]
	s_and_saveexec_b64 s[6:7], s[4:5]
	s_cbranch_execnz .LBB20_499
	s_branch .LBB20_500
.LBB20_2549:
	s_movk_i32 s4, 0x80
	v_cmp_eq_u16_e32 vcc, s4, v3
	s_mov_b64 s[4:5], -1
                                        ; implicit-def: $sgpr10
	s_and_saveexec_b64 s[8:9], vcc
; %bb.2550:
	s_mov_b32 s10, 0x7f800001
	s_xor_b64 s[4:5], exec, -1
; %bb.2551:
	s_or_b64 exec, exec, s[8:9]
	s_and_b64 s[4:5], s[4:5], exec
                                        ; implicit-def: $vgpr3
	s_or_saveexec_b64 s[6:7], s[6:7]
	v_mov_b32_e32 v4, s10
	s_xor_b64 exec, exec, s[6:7]
	s_cbranch_execz .LBB20_502
.LBB20_2552:
	v_cmp_ne_u16_e32 vcc, 0, v3
	s_andn2_b64 s[4:5], s[4:5], exec
	s_and_b64 s[8:9], vcc, exec
	v_mov_b32_e32 v4, 0
	s_or_b64 s[4:5], s[4:5], s[8:9]
	s_or_b64 exec, exec, s[6:7]
	s_and_saveexec_b64 s[6:7], s[4:5]
	s_cbranch_execnz .LBB20_503
	s_branch .LBB20_504
.LBB20_2553:
	s_movk_i32 s4, 0x80
	v_cmp_eq_u16_sdwa s[12:13], v9, s4 src0_sel:BYTE_3 src1_sel:DWORD
	s_mov_b64 s[4:5], -1
                                        ; implicit-def: $sgpr10
	s_and_saveexec_b64 s[8:9], s[12:13]
; %bb.2554:
	s_mov_b32 s10, 0x7f800001
	s_xor_b64 s[4:5], exec, -1
; %bb.2555:
	s_or_b64 exec, exec, s[8:9]
	s_and_b64 s[4:5], s[4:5], exec
	s_or_saveexec_b64 s[6:7], s[6:7]
	v_mov_b32_e32 v2, s10
	s_xor_b64 exec, exec, s[6:7]
	s_cbranch_execz .LBB20_506
.LBB20_2556:
	v_mov_b32_e32 v2, 0
	v_cmp_ne_u16_sdwa s[8:9], v9, v2 src0_sel:BYTE_3 src1_sel:DWORD
	s_andn2_b64 s[4:5], s[4:5], exec
	s_and_b64 s[8:9], s[8:9], exec
	s_or_b64 s[4:5], s[4:5], s[8:9]
	s_or_b64 exec, exec, s[6:7]
	s_and_saveexec_b64 s[6:7], s[4:5]
	s_cbranch_execnz .LBB20_507
	s_branch .LBB20_508
.LBB20_2557:
	s_movk_i32 s4, 0x80
	v_cmp_eq_u16_sdwa s[12:13], v5, s4 src0_sel:BYTE_3 src1_sel:DWORD
	s_mov_b64 s[4:5], -1
                                        ; implicit-def: $sgpr10
	s_and_saveexec_b64 s[8:9], s[12:13]
; %bb.2558:
	s_mov_b32 s10, 0x7f800001
	s_xor_b64 s[4:5], exec, -1
; %bb.2559:
	s_or_b64 exec, exec, s[8:9]
	s_and_b64 s[4:5], s[4:5], exec
	s_or_saveexec_b64 s[6:7], s[6:7]
	v_mov_b32_e32 v3, s10
	s_xor_b64 exec, exec, s[6:7]
	s_cbranch_execz .LBB20_510
.LBB20_2560:
	v_mov_b32_e32 v3, 0
	v_cmp_ne_u16_sdwa s[8:9], v5, v3 src0_sel:BYTE_3 src1_sel:DWORD
	s_andn2_b64 s[4:5], s[4:5], exec
	s_and_b64 s[8:9], s[8:9], exec
	s_or_b64 s[4:5], s[4:5], s[8:9]
	s_or_b64 exec, exec, s[6:7]
	s_and_saveexec_b64 s[6:7], s[4:5]
	s_cbranch_execnz .LBB20_511
	s_branch .LBB20_512
.LBB20_2561:
	s_movk_i32 s4, 0x80
	v_cmp_eq_u16_sdwa s[12:13], v14, s4 src0_sel:BYTE_0 src1_sel:DWORD
	s_mov_b64 s[4:5], -1
                                        ; implicit-def: $sgpr10
	s_and_saveexec_b64 s[8:9], s[12:13]
; %bb.2562:
	s_mov_b32 s10, 0x7f800001
	s_xor_b64 s[4:5], exec, -1
; %bb.2563:
	s_or_b64 exec, exec, s[8:9]
	s_and_b64 s[4:5], s[4:5], exec
	s_or_saveexec_b64 s[6:7], s[6:7]
	v_mov_b32_e32 v20, s10
	s_xor_b64 exec, exec, s[6:7]
	s_cbranch_execz .LBB20_514
.LBB20_2564:
	v_mov_b32_e32 v20, 0
	v_cmp_ne_u16_sdwa s[8:9], v14, v20 src0_sel:BYTE_0 src1_sel:DWORD
	s_andn2_b64 s[4:5], s[4:5], exec
	s_and_b64 s[8:9], s[8:9], exec
	s_or_b64 s[4:5], s[4:5], s[8:9]
	s_or_b64 exec, exec, s[6:7]
	s_and_saveexec_b64 s[6:7], s[4:5]
	s_cbranch_execnz .LBB20_515
	s_branch .LBB20_516
.LBB20_2565:
	s_movk_i32 s4, 0x80
	v_cmp_eq_u16_sdwa s[12:13], v10, s4 src0_sel:BYTE_0 src1_sel:DWORD
	s_mov_b64 s[4:5], -1
                                        ; implicit-def: $sgpr10
	s_and_saveexec_b64 s[8:9], s[12:13]
; %bb.2566:
	s_mov_b32 s10, 0x7f800001
	s_xor_b64 s[4:5], exec, -1
; %bb.2567:
	s_or_b64 exec, exec, s[8:9]
	s_and_b64 s[4:5], s[4:5], exec
	s_or_saveexec_b64 s[6:7], s[6:7]
	v_mov_b32_e32 v21, s10
	s_xor_b64 exec, exec, s[6:7]
	s_cbranch_execz .LBB20_518
.LBB20_2568:
	v_mov_b32_e32 v21, 0
	v_cmp_ne_u16_sdwa s[8:9], v10, v21 src0_sel:BYTE_0 src1_sel:DWORD
	s_andn2_b64 s[4:5], s[4:5], exec
	s_and_b64 s[8:9], s[8:9], exec
	s_or_b64 s[4:5], s[4:5], s[8:9]
	s_or_b64 exec, exec, s[6:7]
	s_and_saveexec_b64 s[6:7], s[4:5]
	s_cbranch_execnz .LBB20_519
	s_branch .LBB20_520
.LBB20_2569:
	s_movk_i32 s4, 0x80
	v_cmp_eq_u16_sdwa s[12:13], v21, s4 src0_sel:BYTE_0 src1_sel:DWORD
	s_mov_b64 s[4:5], -1
                                        ; implicit-def: $sgpr10
	s_and_saveexec_b64 s[8:9], s[12:13]
; %bb.2570:
	s_mov_b32 s10, 0x7f800001
	s_xor_b64 s[4:5], exec, -1
; %bb.2571:
	s_or_b64 exec, exec, s[8:9]
	s_and_b64 s[4:5], s[4:5], exec
	s_or_saveexec_b64 s[6:7], s[6:7]
	v_mov_b32_e32 v20, s10
	s_xor_b64 exec, exec, s[6:7]
	s_cbranch_execz .LBB20_522
.LBB20_2572:
	v_mov_b32_e32 v20, 0
	v_cmp_ne_u16_sdwa s[8:9], v21, v20 src0_sel:BYTE_0 src1_sel:DWORD
	s_andn2_b64 s[4:5], s[4:5], exec
	s_and_b64 s[8:9], s[8:9], exec
	s_or_b64 s[4:5], s[4:5], s[8:9]
	s_or_b64 exec, exec, s[6:7]
	s_and_saveexec_b64 s[6:7], s[4:5]
	s_cbranch_execnz .LBB20_523
	s_branch .LBB20_524
.LBB20_2573:
	s_movk_i32 s4, 0x80
	v_cmp_eq_u16_sdwa s[12:13], v21, s4 src0_sel:BYTE_0 src1_sel:DWORD
	s_mov_b64 s[4:5], -1
                                        ; implicit-def: $sgpr10
	s_and_saveexec_b64 s[8:9], s[12:13]
; %bb.2574:
	s_mov_b32 s10, 0x7f800001
	s_xor_b64 s[4:5], exec, -1
; %bb.2575:
	s_or_b64 exec, exec, s[8:9]
	s_and_b64 s[4:5], s[4:5], exec
	s_or_saveexec_b64 s[6:7], s[6:7]
	v_mov_b32_e32 v22, s10
	s_xor_b64 exec, exec, s[6:7]
	s_cbranch_execz .LBB20_526
.LBB20_2576:
	v_mov_b32_e32 v22, 0
	v_cmp_ne_u16_sdwa s[8:9], v21, v22 src0_sel:BYTE_0 src1_sel:DWORD
	s_andn2_b64 s[4:5], s[4:5], exec
	s_and_b64 s[8:9], s[8:9], exec
	s_or_b64 s[4:5], s[4:5], s[8:9]
	s_or_b64 exec, exec, s[6:7]
	s_and_saveexec_b64 s[6:7], s[4:5]
	s_cbranch_execnz .LBB20_527
	s_branch .LBB20_528
.LBB20_2577:
	s_movk_i32 s4, 0x80
	v_cmp_eq_u16_e32 vcc, s4, v21
	s_mov_b64 s[4:5], -1
                                        ; implicit-def: $sgpr10
	s_and_saveexec_b64 s[8:9], vcc
; %bb.2578:
	s_mov_b32 s10, 0x7f800001
	s_xor_b64 s[4:5], exec, -1
; %bb.2579:
	s_or_b64 exec, exec, s[8:9]
	s_and_b64 s[4:5], s[4:5], exec
                                        ; implicit-def: $vgpr21
	s_or_saveexec_b64 s[6:7], s[6:7]
	v_mov_b32_e32 v20, s10
	s_xor_b64 exec, exec, s[6:7]
	s_cbranch_execz .LBB20_530
.LBB20_2580:
	v_cmp_ne_u16_e32 vcc, 0, v21
	s_andn2_b64 s[4:5], s[4:5], exec
	s_and_b64 s[8:9], vcc, exec
	v_mov_b32_e32 v20, 0
	s_or_b64 s[4:5], s[4:5], s[8:9]
	s_or_b64 exec, exec, s[6:7]
	s_and_saveexec_b64 s[6:7], s[4:5]
	s_cbranch_execnz .LBB20_531
	s_branch .LBB20_532
.LBB20_2581:
	s_movk_i32 s4, 0x80
	v_cmp_eq_u16_e32 vcc, s4, v21
	s_mov_b64 s[4:5], -1
                                        ; implicit-def: $sgpr10
	s_and_saveexec_b64 s[8:9], vcc
; %bb.2582:
	s_mov_b32 s10, 0x7f800001
	s_xor_b64 s[4:5], exec, -1
; %bb.2583:
	s_or_b64 exec, exec, s[8:9]
	s_and_b64 s[4:5], s[4:5], exec
                                        ; implicit-def: $vgpr21
	s_or_saveexec_b64 s[6:7], s[6:7]
	v_mov_b32_e32 v22, s10
	s_xor_b64 exec, exec, s[6:7]
	s_cbranch_execz .LBB20_534
.LBB20_2584:
	v_cmp_ne_u16_e32 vcc, 0, v21
	s_andn2_b64 s[4:5], s[4:5], exec
	s_and_b64 s[8:9], vcc, exec
	v_mov_b32_e32 v22, 0
	s_or_b64 s[4:5], s[4:5], s[8:9]
	s_or_b64 exec, exec, s[6:7]
	s_and_saveexec_b64 s[6:7], s[4:5]
	s_cbranch_execnz .LBB20_535
	s_branch .LBB20_536
.LBB20_2585:
	s_movk_i32 s4, 0x80
	v_cmp_eq_u16_sdwa s[12:13], v14, s4 src0_sel:BYTE_3 src1_sel:DWORD
	s_mov_b64 s[4:5], -1
                                        ; implicit-def: $sgpr10
	s_and_saveexec_b64 s[8:9], s[12:13]
; %bb.2586:
	s_mov_b32 s10, 0x7f800001
	s_xor_b64 s[4:5], exec, -1
; %bb.2587:
	s_or_b64 exec, exec, s[8:9]
	s_and_b64 s[4:5], s[4:5], exec
	s_or_saveexec_b64 s[6:7], s[6:7]
	v_mov_b32_e32 v20, s10
	s_xor_b64 exec, exec, s[6:7]
	s_cbranch_execz .LBB20_538
.LBB20_2588:
	v_mov_b32_e32 v20, 0
	v_cmp_ne_u16_sdwa s[8:9], v14, v20 src0_sel:BYTE_3 src1_sel:DWORD
	s_andn2_b64 s[4:5], s[4:5], exec
	s_and_b64 s[8:9], s[8:9], exec
	s_or_b64 s[4:5], s[4:5], s[8:9]
	s_or_b64 exec, exec, s[6:7]
	s_and_saveexec_b64 s[6:7], s[4:5]
	s_cbranch_execnz .LBB20_539
	s_branch .LBB20_540
.LBB20_2589:
	s_movk_i32 s4, 0x80
	v_cmp_eq_u16_sdwa s[12:13], v10, s4 src0_sel:BYTE_3 src1_sel:DWORD
	s_mov_b64 s[4:5], -1
                                        ; implicit-def: $sgpr10
	s_and_saveexec_b64 s[8:9], s[12:13]
; %bb.2590:
	s_mov_b32 s10, 0x7f800001
	s_xor_b64 s[4:5], exec, -1
; %bb.2591:
	s_or_b64 exec, exec, s[8:9]
	s_and_b64 s[4:5], s[4:5], exec
	s_or_saveexec_b64 s[6:7], s[6:7]
	v_mov_b32_e32 v14, s10
	s_xor_b64 exec, exec, s[6:7]
	s_cbranch_execz .LBB20_542
.LBB20_2592:
	v_mov_b32_e32 v14, 0
	v_cmp_ne_u16_sdwa s[8:9], v10, v14 src0_sel:BYTE_3 src1_sel:DWORD
	s_andn2_b64 s[4:5], s[4:5], exec
	s_and_b64 s[8:9], s[8:9], exec
	s_or_b64 s[4:5], s[4:5], s[8:9]
	s_or_b64 exec, exec, s[6:7]
	s_and_saveexec_b64 s[6:7], s[4:5]
	s_cbranch_execnz .LBB20_543
	s_branch .LBB20_544
.LBB20_2593:
	s_movk_i32 s4, 0x80
	v_cmp_eq_u16_sdwa s[12:13], v15, s4 src0_sel:BYTE_0 src1_sel:DWORD
	s_mov_b64 s[4:5], -1
                                        ; implicit-def: $sgpr10
	s_and_saveexec_b64 s[8:9], s[12:13]
; %bb.2594:
	s_mov_b32 s10, 0x7f800001
	s_xor_b64 s[4:5], exec, -1
; %bb.2595:
	s_or_b64 exec, exec, s[8:9]
	s_and_b64 s[4:5], s[4:5], exec
	s_or_saveexec_b64 s[6:7], s[6:7]
	v_mov_b32_e32 v10, s10
	s_xor_b64 exec, exec, s[6:7]
	s_cbranch_execz .LBB20_546
.LBB20_2596:
	v_mov_b32_e32 v10, 0
	v_cmp_ne_u16_sdwa s[8:9], v15, v10 src0_sel:BYTE_0 src1_sel:DWORD
	s_andn2_b64 s[4:5], s[4:5], exec
	s_and_b64 s[8:9], s[8:9], exec
	s_or_b64 s[4:5], s[4:5], s[8:9]
	s_or_b64 exec, exec, s[6:7]
	s_and_saveexec_b64 s[6:7], s[4:5]
	s_cbranch_execnz .LBB20_547
	s_branch .LBB20_548
.LBB20_2597:
	s_movk_i32 s4, 0x80
	v_cmp_eq_u16_sdwa s[12:13], v11, s4 src0_sel:BYTE_0 src1_sel:DWORD
	s_mov_b64 s[4:5], -1
                                        ; implicit-def: $sgpr10
	s_and_saveexec_b64 s[8:9], s[12:13]
; %bb.2598:
	s_mov_b32 s10, 0x7f800001
	s_xor_b64 s[4:5], exec, -1
; %bb.2599:
	s_or_b64 exec, exec, s[8:9]
	s_and_b64 s[4:5], s[4:5], exec
	s_or_saveexec_b64 s[6:7], s[6:7]
	v_mov_b32_e32 v14, s10
	s_xor_b64 exec, exec, s[6:7]
	s_cbranch_execz .LBB20_550
.LBB20_2600:
	v_mov_b32_e32 v14, 0
	v_cmp_ne_u16_sdwa s[8:9], v11, v14 src0_sel:BYTE_0 src1_sel:DWORD
	s_andn2_b64 s[4:5], s[4:5], exec
	s_and_b64 s[8:9], s[8:9], exec
	s_or_b64 s[4:5], s[4:5], s[8:9]
	s_or_b64 exec, exec, s[6:7]
	s_and_saveexec_b64 s[6:7], s[4:5]
	s_cbranch_execnz .LBB20_551
	s_branch .LBB20_552
.LBB20_2601:
	s_movk_i32 s4, 0x80
	v_cmp_eq_u16_sdwa s[12:13], v14, s4 src0_sel:BYTE_0 src1_sel:DWORD
	s_mov_b64 s[4:5], -1
                                        ; implicit-def: $sgpr10
	s_and_saveexec_b64 s[8:9], s[12:13]
; %bb.2602:
	s_mov_b32 s10, 0x7f800001
	s_xor_b64 s[4:5], exec, -1
; %bb.2603:
	s_or_b64 exec, exec, s[8:9]
	s_and_b64 s[4:5], s[4:5], exec
	s_or_saveexec_b64 s[6:7], s[6:7]
	v_mov_b32_e32 v10, s10
	s_xor_b64 exec, exec, s[6:7]
	s_cbranch_execz .LBB20_554
.LBB20_2604:
	v_mov_b32_e32 v10, 0
	v_cmp_ne_u16_sdwa s[8:9], v14, v10 src0_sel:BYTE_0 src1_sel:DWORD
	s_andn2_b64 s[4:5], s[4:5], exec
	s_and_b64 s[8:9], s[8:9], exec
	s_or_b64 s[4:5], s[4:5], s[8:9]
	s_or_b64 exec, exec, s[6:7]
	s_and_saveexec_b64 s[6:7], s[4:5]
	s_cbranch_execnz .LBB20_555
	s_branch .LBB20_556
.LBB20_2605:
	s_movk_i32 s4, 0x80
	v_cmp_eq_u16_sdwa s[12:13], v14, s4 src0_sel:BYTE_0 src1_sel:DWORD
	s_mov_b64 s[4:5], -1
                                        ; implicit-def: $sgpr10
	s_and_saveexec_b64 s[8:9], s[12:13]
; %bb.2606:
	s_mov_b32 s10, 0x7f800001
	s_xor_b64 s[4:5], exec, -1
; %bb.2607:
	s_or_b64 exec, exec, s[8:9]
	s_and_b64 s[4:5], s[4:5], exec
	s_or_saveexec_b64 s[6:7], s[6:7]
	v_mov_b32_e32 v20, s10
	s_xor_b64 exec, exec, s[6:7]
	s_cbranch_execz .LBB20_558
.LBB20_2608:
	v_mov_b32_e32 v20, 0
	v_cmp_ne_u16_sdwa s[8:9], v14, v20 src0_sel:BYTE_0 src1_sel:DWORD
	s_andn2_b64 s[4:5], s[4:5], exec
	s_and_b64 s[8:9], s[8:9], exec
	s_or_b64 s[4:5], s[4:5], s[8:9]
	s_or_b64 exec, exec, s[6:7]
	s_and_saveexec_b64 s[6:7], s[4:5]
	s_cbranch_execnz .LBB20_559
	s_branch .LBB20_560
.LBB20_2609:
	s_movk_i32 s4, 0x80
	v_cmp_eq_u16_e32 vcc, s4, v14
	s_mov_b64 s[4:5], -1
                                        ; implicit-def: $sgpr10
	s_and_saveexec_b64 s[8:9], vcc
; %bb.2610:
	s_mov_b32 s10, 0x7f800001
	s_xor_b64 s[4:5], exec, -1
; %bb.2611:
	s_or_b64 exec, exec, s[8:9]
	s_and_b64 s[4:5], s[4:5], exec
                                        ; implicit-def: $vgpr14
	s_or_saveexec_b64 s[6:7], s[6:7]
	v_mov_b32_e32 v10, s10
	s_xor_b64 exec, exec, s[6:7]
	s_cbranch_execz .LBB20_562
.LBB20_2612:
	v_cmp_ne_u16_e32 vcc, 0, v14
	s_andn2_b64 s[4:5], s[4:5], exec
	s_and_b64 s[8:9], vcc, exec
	v_mov_b32_e32 v10, 0
	s_or_b64 s[4:5], s[4:5], s[8:9]
	s_or_b64 exec, exec, s[6:7]
	s_and_saveexec_b64 s[6:7], s[4:5]
	s_cbranch_execnz .LBB20_563
	s_branch .LBB20_564
.LBB20_2613:
	s_movk_i32 s4, 0x80
	v_cmp_eq_u16_e32 vcc, s4, v14
	s_mov_b64 s[4:5], -1
                                        ; implicit-def: $sgpr10
	s_and_saveexec_b64 s[8:9], vcc
; %bb.2614:
	s_mov_b32 s10, 0x7f800001
	s_xor_b64 s[4:5], exec, -1
; %bb.2615:
	s_or_b64 exec, exec, s[8:9]
	s_and_b64 s[4:5], s[4:5], exec
                                        ; implicit-def: $vgpr14
	s_or_saveexec_b64 s[6:7], s[6:7]
	v_mov_b32_e32 v20, s10
	s_xor_b64 exec, exec, s[6:7]
	s_cbranch_execz .LBB20_566
.LBB20_2616:
	v_cmp_ne_u16_e32 vcc, 0, v14
	s_andn2_b64 s[4:5], s[4:5], exec
	s_and_b64 s[8:9], vcc, exec
	v_mov_b32_e32 v20, 0
	s_or_b64 s[4:5], s[4:5], s[8:9]
	s_or_b64 exec, exec, s[6:7]
	s_and_saveexec_b64 s[6:7], s[4:5]
	s_cbranch_execnz .LBB20_567
	s_branch .LBB20_568
.LBB20_2617:
	s_movk_i32 s4, 0x80
	v_cmp_eq_u16_sdwa s[12:13], v15, s4 src0_sel:BYTE_3 src1_sel:DWORD
	s_mov_b64 s[4:5], -1
                                        ; implicit-def: $sgpr10
	s_and_saveexec_b64 s[8:9], s[12:13]
; %bb.2618:
	s_mov_b32 s10, 0x7f800001
	s_xor_b64 s[4:5], exec, -1
; %bb.2619:
	s_or_b64 exec, exec, s[8:9]
	s_and_b64 s[4:5], s[4:5], exec
	s_or_saveexec_b64 s[6:7], s[6:7]
	v_mov_b32_e32 v10, s10
	s_xor_b64 exec, exec, s[6:7]
	s_cbranch_execz .LBB20_570
.LBB20_2620:
	v_mov_b32_e32 v10, 0
	v_cmp_ne_u16_sdwa s[8:9], v15, v10 src0_sel:BYTE_3 src1_sel:DWORD
	s_andn2_b64 s[4:5], s[4:5], exec
	s_and_b64 s[8:9], s[8:9], exec
	s_or_b64 s[4:5], s[4:5], s[8:9]
	s_or_b64 exec, exec, s[6:7]
	s_and_saveexec_b64 s[6:7], s[4:5]
	s_cbranch_execnz .LBB20_571
	s_branch .LBB20_572
.LBB20_2621:
	s_movk_i32 s4, 0x80
	v_cmp_eq_u16_sdwa s[12:13], v11, s4 src0_sel:BYTE_3 src1_sel:DWORD
	s_mov_b64 s[4:5], -1
                                        ; implicit-def: $sgpr10
	s_and_saveexec_b64 s[8:9], s[12:13]
; %bb.2622:
	s_mov_b32 s10, 0x7f800001
	s_xor_b64 s[4:5], exec, -1
; %bb.2623:
	s_or_b64 exec, exec, s[8:9]
	s_and_b64 s[4:5], s[4:5], exec
	s_or_saveexec_b64 s[6:7], s[6:7]
	v_mov_b32_e32 v14, s10
	s_xor_b64 exec, exec, s[6:7]
	s_cbranch_execz .LBB20_574
.LBB20_2624:
	v_mov_b32_e32 v14, 0
	v_cmp_ne_u16_sdwa s[8:9], v11, v14 src0_sel:BYTE_3 src1_sel:DWORD
	s_andn2_b64 s[4:5], s[4:5], exec
	s_and_b64 s[8:9], s[8:9], exec
	s_or_b64 s[4:5], s[4:5], s[8:9]
	s_or_b64 exec, exec, s[6:7]
	s_and_saveexec_b64 s[6:7], s[4:5]
	s_cbranch_execnz .LBB20_575
	s_branch .LBB20_576
.LBB20_2625:
	s_movk_i32 s4, 0x80
	v_cmp_eq_u16_sdwa s[12:13], v16, s4 src0_sel:BYTE_0 src1_sel:DWORD
	s_mov_b64 s[4:5], -1
                                        ; implicit-def: $sgpr10
	s_and_saveexec_b64 s[8:9], s[12:13]
; %bb.2626:
	s_mov_b32 s10, 0x7f800001
	s_xor_b64 s[4:5], exec, -1
; %bb.2627:
	s_or_b64 exec, exec, s[8:9]
	s_and_b64 s[4:5], s[4:5], exec
	s_or_saveexec_b64 s[6:7], s[6:7]
	v_mov_b32_e32 v10, s10
	s_xor_b64 exec, exec, s[6:7]
	s_cbranch_execz .LBB20_578
.LBB20_2628:
	v_mov_b32_e32 v10, 0
	v_cmp_ne_u16_sdwa s[8:9], v16, v10 src0_sel:BYTE_0 src1_sel:DWORD
	s_andn2_b64 s[4:5], s[4:5], exec
	s_and_b64 s[8:9], s[8:9], exec
	s_or_b64 s[4:5], s[4:5], s[8:9]
	s_or_b64 exec, exec, s[6:7]
	s_and_saveexec_b64 s[6:7], s[4:5]
	s_cbranch_execnz .LBB20_579
	s_branch .LBB20_580
.LBB20_2629:
	s_movk_i32 s4, 0x80
	v_cmp_eq_u16_sdwa s[12:13], v12, s4 src0_sel:BYTE_0 src1_sel:DWORD
	s_mov_b64 s[4:5], -1
                                        ; implicit-def: $sgpr10
	s_and_saveexec_b64 s[8:9], s[12:13]
; %bb.2630:
	s_mov_b32 s10, 0x7f800001
	s_xor_b64 s[4:5], exec, -1
; %bb.2631:
	s_or_b64 exec, exec, s[8:9]
	s_and_b64 s[4:5], s[4:5], exec
	s_or_saveexec_b64 s[6:7], s[6:7]
	v_mov_b32_e32 v11, s10
	s_xor_b64 exec, exec, s[6:7]
	s_cbranch_execz .LBB20_582
.LBB20_2632:
	v_mov_b32_e32 v11, 0
	v_cmp_ne_u16_sdwa s[8:9], v12, v11 src0_sel:BYTE_0 src1_sel:DWORD
	s_andn2_b64 s[4:5], s[4:5], exec
	s_and_b64 s[8:9], s[8:9], exec
	s_or_b64 s[4:5], s[4:5], s[8:9]
	s_or_b64 exec, exec, s[6:7]
	s_and_saveexec_b64 s[6:7], s[4:5]
	s_cbranch_execnz .LBB20_583
	s_branch .LBB20_584
.LBB20_2633:
	s_movk_i32 s4, 0x80
	v_cmp_eq_u16_sdwa s[12:13], v11, s4 src0_sel:BYTE_0 src1_sel:DWORD
	s_mov_b64 s[4:5], -1
                                        ; implicit-def: $sgpr10
	s_and_saveexec_b64 s[8:9], s[12:13]
; %bb.2634:
	s_mov_b32 s10, 0x7f800001
	s_xor_b64 s[4:5], exec, -1
; %bb.2635:
	s_or_b64 exec, exec, s[8:9]
	s_and_b64 s[4:5], s[4:5], exec
	s_or_saveexec_b64 s[6:7], s[6:7]
	v_mov_b32_e32 v10, s10
	s_xor_b64 exec, exec, s[6:7]
	s_cbranch_execz .LBB20_586
.LBB20_2636:
	v_mov_b32_e32 v10, 0
	v_cmp_ne_u16_sdwa s[8:9], v11, v10 src0_sel:BYTE_0 src1_sel:DWORD
	s_andn2_b64 s[4:5], s[4:5], exec
	s_and_b64 s[8:9], s[8:9], exec
	s_or_b64 s[4:5], s[4:5], s[8:9]
	s_or_b64 exec, exec, s[6:7]
	s_and_saveexec_b64 s[6:7], s[4:5]
	s_cbranch_execnz .LBB20_587
	s_branch .LBB20_588
.LBB20_2637:
	s_movk_i32 s4, 0x80
	v_cmp_eq_u16_sdwa s[12:13], v11, s4 src0_sel:BYTE_0 src1_sel:DWORD
	s_mov_b64 s[4:5], -1
                                        ; implicit-def: $sgpr10
	s_and_saveexec_b64 s[8:9], s[12:13]
; %bb.2638:
	s_mov_b32 s10, 0x7f800001
	s_xor_b64 s[4:5], exec, -1
; %bb.2639:
	s_or_b64 exec, exec, s[8:9]
	s_and_b64 s[4:5], s[4:5], exec
	s_or_saveexec_b64 s[6:7], s[6:7]
	v_mov_b32_e32 v14, s10
	s_xor_b64 exec, exec, s[6:7]
	s_cbranch_execz .LBB20_590
.LBB20_2640:
	v_mov_b32_e32 v14, 0
	v_cmp_ne_u16_sdwa s[8:9], v11, v14 src0_sel:BYTE_0 src1_sel:DWORD
	s_andn2_b64 s[4:5], s[4:5], exec
	s_and_b64 s[8:9], s[8:9], exec
	s_or_b64 s[4:5], s[4:5], s[8:9]
	s_or_b64 exec, exec, s[6:7]
	s_and_saveexec_b64 s[6:7], s[4:5]
	s_cbranch_execnz .LBB20_591
	s_branch .LBB20_592
.LBB20_2641:
	s_movk_i32 s4, 0x80
	v_cmp_eq_u16_e32 vcc, s4, v11
	s_mov_b64 s[4:5], -1
                                        ; implicit-def: $sgpr10
	s_and_saveexec_b64 s[8:9], vcc
; %bb.2642:
	s_mov_b32 s10, 0x7f800001
	s_xor_b64 s[4:5], exec, -1
; %bb.2643:
	s_or_b64 exec, exec, s[8:9]
	s_and_b64 s[4:5], s[4:5], exec
                                        ; implicit-def: $vgpr11
	s_or_saveexec_b64 s[6:7], s[6:7]
	v_mov_b32_e32 v10, s10
	s_xor_b64 exec, exec, s[6:7]
	s_cbranch_execz .LBB20_594
.LBB20_2644:
	v_cmp_ne_u16_e32 vcc, 0, v11
	s_andn2_b64 s[4:5], s[4:5], exec
	s_and_b64 s[8:9], vcc, exec
	v_mov_b32_e32 v10, 0
	s_or_b64 s[4:5], s[4:5], s[8:9]
	s_or_b64 exec, exec, s[6:7]
	s_and_saveexec_b64 s[6:7], s[4:5]
	s_cbranch_execnz .LBB20_595
	s_branch .LBB20_596
.LBB20_2645:
	s_movk_i32 s4, 0x80
	v_cmp_eq_u16_e32 vcc, s4, v11
	s_mov_b64 s[4:5], -1
                                        ; implicit-def: $sgpr10
	s_and_saveexec_b64 s[8:9], vcc
; %bb.2646:
	s_mov_b32 s10, 0x7f800001
	s_xor_b64 s[4:5], exec, -1
; %bb.2647:
	s_or_b64 exec, exec, s[8:9]
	s_and_b64 s[4:5], s[4:5], exec
                                        ; implicit-def: $vgpr11
	s_or_saveexec_b64 s[6:7], s[6:7]
	v_mov_b32_e32 v14, s10
	s_xor_b64 exec, exec, s[6:7]
	s_cbranch_execz .LBB20_598
.LBB20_2648:
	v_cmp_ne_u16_e32 vcc, 0, v11
	s_andn2_b64 s[4:5], s[4:5], exec
	s_and_b64 s[8:9], vcc, exec
	v_mov_b32_e32 v14, 0
	s_or_b64 s[4:5], s[4:5], s[8:9]
	s_or_b64 exec, exec, s[6:7]
	s_and_saveexec_b64 s[6:7], s[4:5]
	s_cbranch_execnz .LBB20_599
	s_branch .LBB20_600
.LBB20_2649:
	s_movk_i32 s4, 0x80
	v_cmp_eq_u16_sdwa s[12:13], v16, s4 src0_sel:BYTE_3 src1_sel:DWORD
	s_mov_b64 s[4:5], -1
                                        ; implicit-def: $sgpr10
	s_and_saveexec_b64 s[8:9], s[12:13]
; %bb.2650:
	s_mov_b32 s10, 0x7f800001
	s_xor_b64 s[4:5], exec, -1
; %bb.2651:
	s_or_b64 exec, exec, s[8:9]
	s_and_b64 s[4:5], s[4:5], exec
	s_or_saveexec_b64 s[6:7], s[6:7]
	v_mov_b32_e32 v10, s10
	s_xor_b64 exec, exec, s[6:7]
	s_cbranch_execz .LBB20_602
.LBB20_2652:
	v_mov_b32_e32 v10, 0
	v_cmp_ne_u16_sdwa s[8:9], v16, v10 src0_sel:BYTE_3 src1_sel:DWORD
	s_andn2_b64 s[4:5], s[4:5], exec
	s_and_b64 s[8:9], s[8:9], exec
	s_or_b64 s[4:5], s[4:5], s[8:9]
	s_or_b64 exec, exec, s[6:7]
	s_and_saveexec_b64 s[6:7], s[4:5]
	s_cbranch_execnz .LBB20_603
	s_branch .LBB20_604
.LBB20_2653:
	s_movk_i32 s4, 0x80
	v_cmp_eq_u16_sdwa s[12:13], v12, s4 src0_sel:BYTE_3 src1_sel:DWORD
	s_mov_b64 s[4:5], -1
                                        ; implicit-def: $sgpr10
	s_and_saveexec_b64 s[8:9], s[12:13]
; %bb.2654:
	s_mov_b32 s10, 0x7f800001
	s_xor_b64 s[4:5], exec, -1
; %bb.2655:
	s_or_b64 exec, exec, s[8:9]
	s_and_b64 s[4:5], s[4:5], exec
	s_or_saveexec_b64 s[6:7], s[6:7]
	v_mov_b32_e32 v11, s10
	s_xor_b64 exec, exec, s[6:7]
	s_cbranch_execz .LBB20_606
.LBB20_2656:
	v_mov_b32_e32 v11, 0
	v_cmp_ne_u16_sdwa s[8:9], v12, v11 src0_sel:BYTE_3 src1_sel:DWORD
	s_andn2_b64 s[4:5], s[4:5], exec
	s_and_b64 s[8:9], s[8:9], exec
	s_or_b64 s[4:5], s[4:5], s[8:9]
	s_or_b64 exec, exec, s[6:7]
	s_and_saveexec_b64 s[6:7], s[4:5]
	s_cbranch_execnz .LBB20_607
	s_branch .LBB20_608
.LBB20_2657:
	s_movk_i32 s4, 0x80
	v_cmp_eq_u16_sdwa s[12:13], v17, s4 src0_sel:BYTE_0 src1_sel:DWORD
	s_mov_b64 s[4:5], -1
                                        ; implicit-def: $sgpr10
	s_and_saveexec_b64 s[8:9], s[12:13]
; %bb.2658:
	s_mov_b32 s10, 0x7f800001
	s_xor_b64 s[4:5], exec, -1
; %bb.2659:
	s_or_b64 exec, exec, s[8:9]
	s_and_b64 s[4:5], s[4:5], exec
	s_or_saveexec_b64 s[6:7], s[6:7]
	v_mov_b32_e32 v10, s10
	s_xor_b64 exec, exec, s[6:7]
	s_cbranch_execz .LBB20_610
.LBB20_2660:
	v_mov_b32_e32 v10, 0
	v_cmp_ne_u16_sdwa s[8:9], v17, v10 src0_sel:BYTE_0 src1_sel:DWORD
	s_andn2_b64 s[4:5], s[4:5], exec
	s_and_b64 s[8:9], s[8:9], exec
	s_or_b64 s[4:5], s[4:5], s[8:9]
	s_or_b64 exec, exec, s[6:7]
	s_and_saveexec_b64 s[6:7], s[4:5]
	s_cbranch_execnz .LBB20_611
	s_branch .LBB20_612
.LBB20_2661:
	s_movk_i32 s4, 0x80
	v_cmp_eq_u16_sdwa s[12:13], v13, s4 src0_sel:BYTE_0 src1_sel:DWORD
	s_mov_b64 s[4:5], -1
                                        ; implicit-def: $sgpr10
	s_and_saveexec_b64 s[8:9], s[12:13]
; %bb.2662:
	s_mov_b32 s10, 0x7f800001
	s_xor_b64 s[4:5], exec, -1
; %bb.2663:
	s_or_b64 exec, exec, s[8:9]
	s_and_b64 s[4:5], s[4:5], exec
	s_or_saveexec_b64 s[6:7], s[6:7]
	v_mov_b32_e32 v11, s10
	s_xor_b64 exec, exec, s[6:7]
	s_cbranch_execz .LBB20_614
.LBB20_2664:
	v_mov_b32_e32 v11, 0
	v_cmp_ne_u16_sdwa s[8:9], v13, v11 src0_sel:BYTE_0 src1_sel:DWORD
	s_andn2_b64 s[4:5], s[4:5], exec
	s_and_b64 s[8:9], s[8:9], exec
	s_or_b64 s[4:5], s[4:5], s[8:9]
	s_or_b64 exec, exec, s[6:7]
	s_and_saveexec_b64 s[6:7], s[4:5]
	s_cbranch_execnz .LBB20_615
	s_branch .LBB20_616
.LBB20_2665:
	s_movk_i32 s4, 0x80
	v_cmp_eq_u16_sdwa s[12:13], v11, s4 src0_sel:BYTE_0 src1_sel:DWORD
	s_mov_b64 s[4:5], -1
                                        ; implicit-def: $sgpr10
	s_and_saveexec_b64 s[8:9], s[12:13]
; %bb.2666:
	s_mov_b32 s10, 0x7f800001
	s_xor_b64 s[4:5], exec, -1
; %bb.2667:
	s_or_b64 exec, exec, s[8:9]
	s_and_b64 s[4:5], s[4:5], exec
	s_or_saveexec_b64 s[6:7], s[6:7]
	v_mov_b32_e32 v10, s10
	s_xor_b64 exec, exec, s[6:7]
	s_cbranch_execz .LBB20_618
.LBB20_2668:
	v_mov_b32_e32 v10, 0
	v_cmp_ne_u16_sdwa s[8:9], v11, v10 src0_sel:BYTE_0 src1_sel:DWORD
	s_andn2_b64 s[4:5], s[4:5], exec
	s_and_b64 s[8:9], s[8:9], exec
	s_or_b64 s[4:5], s[4:5], s[8:9]
	s_or_b64 exec, exec, s[6:7]
	s_and_saveexec_b64 s[6:7], s[4:5]
	s_cbranch_execnz .LBB20_619
	s_branch .LBB20_620
.LBB20_2669:
	s_movk_i32 s4, 0x80
	v_cmp_eq_u16_sdwa s[12:13], v11, s4 src0_sel:BYTE_0 src1_sel:DWORD
	s_mov_b64 s[4:5], -1
                                        ; implicit-def: $sgpr10
	s_and_saveexec_b64 s[8:9], s[12:13]
; %bb.2670:
	s_mov_b32 s10, 0x7f800001
	s_xor_b64 s[4:5], exec, -1
; %bb.2671:
	s_or_b64 exec, exec, s[8:9]
	s_and_b64 s[4:5], s[4:5], exec
	s_or_saveexec_b64 s[6:7], s[6:7]
	v_mov_b32_e32 v12, s10
	s_xor_b64 exec, exec, s[6:7]
	s_cbranch_execz .LBB20_622
.LBB20_2672:
	v_mov_b32_e32 v12, 0
	v_cmp_ne_u16_sdwa s[8:9], v11, v12 src0_sel:BYTE_0 src1_sel:DWORD
	s_andn2_b64 s[4:5], s[4:5], exec
	s_and_b64 s[8:9], s[8:9], exec
	s_or_b64 s[4:5], s[4:5], s[8:9]
	s_or_b64 exec, exec, s[6:7]
	s_and_saveexec_b64 s[6:7], s[4:5]
	s_cbranch_execnz .LBB20_623
	s_branch .LBB20_624
.LBB20_2673:
	s_movk_i32 s4, 0x80
	v_cmp_eq_u16_e32 vcc, s4, v11
	s_mov_b64 s[4:5], -1
                                        ; implicit-def: $sgpr10
	s_and_saveexec_b64 s[8:9], vcc
; %bb.2674:
	s_mov_b32 s10, 0x7f800001
	s_xor_b64 s[4:5], exec, -1
; %bb.2675:
	s_or_b64 exec, exec, s[8:9]
	s_and_b64 s[4:5], s[4:5], exec
                                        ; implicit-def: $vgpr11
	s_or_saveexec_b64 s[6:7], s[6:7]
	v_mov_b32_e32 v10, s10
	s_xor_b64 exec, exec, s[6:7]
	s_cbranch_execz .LBB20_626
.LBB20_2676:
	v_cmp_ne_u16_e32 vcc, 0, v11
	s_andn2_b64 s[4:5], s[4:5], exec
	s_and_b64 s[8:9], vcc, exec
	v_mov_b32_e32 v10, 0
	s_or_b64 s[4:5], s[4:5], s[8:9]
	s_or_b64 exec, exec, s[6:7]
	s_and_saveexec_b64 s[6:7], s[4:5]
	s_cbranch_execnz .LBB20_627
	s_branch .LBB20_628
.LBB20_2677:
	s_movk_i32 s4, 0x80
	v_cmp_eq_u16_e32 vcc, s4, v11
	s_mov_b64 s[4:5], -1
                                        ; implicit-def: $sgpr10
	s_and_saveexec_b64 s[8:9], vcc
; %bb.2678:
	s_mov_b32 s10, 0x7f800001
	s_xor_b64 s[4:5], exec, -1
; %bb.2679:
	s_or_b64 exec, exec, s[8:9]
	s_and_b64 s[4:5], s[4:5], exec
                                        ; implicit-def: $vgpr11
	s_or_saveexec_b64 s[6:7], s[6:7]
	v_mov_b32_e32 v12, s10
	s_xor_b64 exec, exec, s[6:7]
	s_cbranch_execz .LBB20_630
.LBB20_2680:
	v_cmp_ne_u16_e32 vcc, 0, v11
	s_andn2_b64 s[4:5], s[4:5], exec
	s_and_b64 s[8:9], vcc, exec
	v_mov_b32_e32 v12, 0
	s_or_b64 s[4:5], s[4:5], s[8:9]
	s_or_b64 exec, exec, s[6:7]
	s_and_saveexec_b64 s[6:7], s[4:5]
	s_cbranch_execnz .LBB20_631
	s_branch .LBB20_632
.LBB20_2681:
	s_movk_i32 s4, 0x80
	v_cmp_eq_u16_sdwa s[12:13], v17, s4 src0_sel:BYTE_3 src1_sel:DWORD
	s_mov_b64 s[4:5], -1
                                        ; implicit-def: $sgpr10
	s_and_saveexec_b64 s[8:9], s[12:13]
; %bb.2682:
	s_mov_b32 s10, 0x7f800001
	s_xor_b64 s[4:5], exec, -1
; %bb.2683:
	s_or_b64 exec, exec, s[8:9]
	s_and_b64 s[4:5], s[4:5], exec
	s_or_saveexec_b64 s[6:7], s[6:7]
	v_mov_b32_e32 v10, s10
	s_xor_b64 exec, exec, s[6:7]
	s_cbranch_execz .LBB20_634
.LBB20_2684:
	v_mov_b32_e32 v10, 0
	v_cmp_ne_u16_sdwa s[8:9], v17, v10 src0_sel:BYTE_3 src1_sel:DWORD
	s_andn2_b64 s[4:5], s[4:5], exec
	s_and_b64 s[8:9], s[8:9], exec
	s_or_b64 s[4:5], s[4:5], s[8:9]
	s_or_b64 exec, exec, s[6:7]
	s_and_saveexec_b64 s[6:7], s[4:5]
	s_cbranch_execnz .LBB20_635
	s_branch .LBB20_636
.LBB20_2685:
	s_movk_i32 s4, 0x80
	v_cmp_eq_u16_sdwa s[12:13], v13, s4 src0_sel:BYTE_3 src1_sel:DWORD
	s_mov_b64 s[4:5], -1
                                        ; implicit-def: $sgpr10
	s_and_saveexec_b64 s[8:9], s[12:13]
; %bb.2686:
	s_mov_b32 s10, 0x7f800001
	s_xor_b64 s[4:5], exec, -1
; %bb.2687:
	s_or_b64 exec, exec, s[8:9]
	s_and_b64 s[4:5], s[4:5], exec
	s_or_saveexec_b64 s[6:7], s[6:7]
	v_mov_b32_e32 v11, s10
	s_xor_b64 exec, exec, s[6:7]
	s_cbranch_execz .LBB20_638
.LBB20_2688:
	v_mov_b32_e32 v11, 0
	v_cmp_ne_u16_sdwa s[8:9], v13, v11 src0_sel:BYTE_3 src1_sel:DWORD
	s_andn2_b64 s[4:5], s[4:5], exec
	s_and_b64 s[8:9], s[8:9], exec
	s_or_b64 s[4:5], s[4:5], s[8:9]
	s_or_b64 exec, exec, s[6:7]
	s_and_saveexec_b64 s[6:7], s[4:5]
	s_cbranch_execnz .LBB20_639
	s_branch .LBB20_640
.LBB20_2689:
	s_movk_i32 s4, 0x80
	v_cmp_eq_u16_sdwa s[12:13], v6, s4 src0_sel:BYTE_0 src1_sel:DWORD
	s_mov_b64 s[4:5], -1
                                        ; implicit-def: $sgpr10
	s_and_saveexec_b64 s[8:9], s[12:13]
; %bb.2690:
	s_mov_b32 s10, 0x7f800001
	s_xor_b64 s[4:5], exec, -1
; %bb.2691:
	s_or_b64 exec, exec, s[8:9]
	s_and_b64 s[4:5], s[4:5], exec
	s_or_saveexec_b64 s[6:7], s[6:7]
	v_mov_b32_e32 v10, s10
	s_xor_b64 exec, exec, s[6:7]
	s_cbranch_execz .LBB20_642
.LBB20_2692:
	v_mov_b32_e32 v10, 0
	v_cmp_ne_u16_sdwa s[8:9], v6, v10 src0_sel:BYTE_0 src1_sel:DWORD
	s_andn2_b64 s[4:5], s[4:5], exec
	s_and_b64 s[8:9], s[8:9], exec
	s_or_b64 s[4:5], s[4:5], s[8:9]
	s_or_b64 exec, exec, s[6:7]
	s_and_saveexec_b64 s[6:7], s[4:5]
	s_cbranch_execnz .LBB20_643
	s_branch .LBB20_644
.LBB20_2693:
	s_movk_i32 s4, 0x80
	v_cmp_eq_u16_sdwa s[12:13], v2, s4 src0_sel:BYTE_0 src1_sel:DWORD
	s_mov_b64 s[4:5], -1
                                        ; implicit-def: $sgpr10
	s_and_saveexec_b64 s[8:9], s[12:13]
; %bb.2694:
	s_mov_b32 s10, 0x7f800001
	s_xor_b64 s[4:5], exec, -1
; %bb.2695:
	s_or_b64 exec, exec, s[8:9]
	s_and_b64 s[4:5], s[4:5], exec
	s_or_saveexec_b64 s[6:7], s[6:7]
	v_mov_b32_e32 v11, s10
	s_xor_b64 exec, exec, s[6:7]
	s_cbranch_execz .LBB20_646
.LBB20_2696:
	v_mov_b32_e32 v11, 0
	v_cmp_ne_u16_sdwa s[8:9], v2, v11 src0_sel:BYTE_0 src1_sel:DWORD
	s_andn2_b64 s[4:5], s[4:5], exec
	s_and_b64 s[8:9], s[8:9], exec
	s_or_b64 s[4:5], s[4:5], s[8:9]
	s_or_b64 exec, exec, s[6:7]
	s_and_saveexec_b64 s[6:7], s[4:5]
	s_cbranch_execnz .LBB20_647
	s_branch .LBB20_648
.LBB20_2697:
	s_movk_i32 s4, 0x80
	v_cmp_eq_u16_sdwa s[12:13], v11, s4 src0_sel:BYTE_0 src1_sel:DWORD
	s_mov_b64 s[4:5], -1
                                        ; implicit-def: $sgpr10
	s_and_saveexec_b64 s[8:9], s[12:13]
; %bb.2698:
	s_mov_b32 s10, 0x7f800001
	s_xor_b64 s[4:5], exec, -1
; %bb.2699:
	s_or_b64 exec, exec, s[8:9]
	s_and_b64 s[4:5], s[4:5], exec
	s_or_saveexec_b64 s[6:7], s[6:7]
	v_mov_b32_e32 v10, s10
	s_xor_b64 exec, exec, s[6:7]
	s_cbranch_execz .LBB20_650
.LBB20_2700:
	v_mov_b32_e32 v10, 0
	v_cmp_ne_u16_sdwa s[8:9], v11, v10 src0_sel:BYTE_0 src1_sel:DWORD
	s_andn2_b64 s[4:5], s[4:5], exec
	s_and_b64 s[8:9], s[8:9], exec
	s_or_b64 s[4:5], s[4:5], s[8:9]
	s_or_b64 exec, exec, s[6:7]
	s_and_saveexec_b64 s[6:7], s[4:5]
	s_cbranch_execnz .LBB20_651
	s_branch .LBB20_652
.LBB20_2701:
	s_movk_i32 s4, 0x80
	v_cmp_eq_u16_sdwa s[12:13], v11, s4 src0_sel:BYTE_0 src1_sel:DWORD
	s_mov_b64 s[4:5], -1
                                        ; implicit-def: $sgpr10
	s_and_saveexec_b64 s[8:9], s[12:13]
; %bb.2702:
	s_mov_b32 s10, 0x7f800001
	s_xor_b64 s[4:5], exec, -1
; %bb.2703:
	s_or_b64 exec, exec, s[8:9]
	s_and_b64 s[4:5], s[4:5], exec
	s_or_saveexec_b64 s[6:7], s[6:7]
	v_mov_b32_e32 v12, s10
	s_xor_b64 exec, exec, s[6:7]
	s_cbranch_execz .LBB20_654
.LBB20_2704:
	v_mov_b32_e32 v12, 0
	v_cmp_ne_u16_sdwa s[8:9], v11, v12 src0_sel:BYTE_0 src1_sel:DWORD
	s_andn2_b64 s[4:5], s[4:5], exec
	s_and_b64 s[8:9], s[8:9], exec
	s_or_b64 s[4:5], s[4:5], s[8:9]
	s_or_b64 exec, exec, s[6:7]
	s_and_saveexec_b64 s[6:7], s[4:5]
	s_cbranch_execnz .LBB20_655
	s_branch .LBB20_656
.LBB20_2705:
	s_movk_i32 s4, 0x80
	v_cmp_eq_u16_e32 vcc, s4, v11
	s_mov_b64 s[4:5], -1
                                        ; implicit-def: $sgpr10
	s_and_saveexec_b64 s[8:9], vcc
; %bb.2706:
	s_mov_b32 s10, 0x7f800001
	s_xor_b64 s[4:5], exec, -1
; %bb.2707:
	s_or_b64 exec, exec, s[8:9]
	s_and_b64 s[4:5], s[4:5], exec
                                        ; implicit-def: $vgpr11
	s_or_saveexec_b64 s[6:7], s[6:7]
	v_mov_b32_e32 v10, s10
	s_xor_b64 exec, exec, s[6:7]
	s_cbranch_execz .LBB20_658
.LBB20_2708:
	v_cmp_ne_u16_e32 vcc, 0, v11
	s_andn2_b64 s[4:5], s[4:5], exec
	s_and_b64 s[8:9], vcc, exec
	v_mov_b32_e32 v10, 0
	s_or_b64 s[4:5], s[4:5], s[8:9]
	s_or_b64 exec, exec, s[6:7]
	s_and_saveexec_b64 s[6:7], s[4:5]
	s_cbranch_execnz .LBB20_659
	s_branch .LBB20_660
.LBB20_2709:
	s_movk_i32 s4, 0x80
	v_cmp_eq_u16_e32 vcc, s4, v11
	s_mov_b64 s[4:5], -1
                                        ; implicit-def: $sgpr10
	s_and_saveexec_b64 s[8:9], vcc
; %bb.2710:
	s_mov_b32 s10, 0x7f800001
	s_xor_b64 s[4:5], exec, -1
; %bb.2711:
	s_or_b64 exec, exec, s[8:9]
	s_and_b64 s[4:5], s[4:5], exec
                                        ; implicit-def: $vgpr11
	s_or_saveexec_b64 s[6:7], s[6:7]
	v_mov_b32_e32 v12, s10
	s_xor_b64 exec, exec, s[6:7]
	s_cbranch_execz .LBB20_662
.LBB20_2712:
	v_cmp_ne_u16_e32 vcc, 0, v11
	s_andn2_b64 s[4:5], s[4:5], exec
	s_and_b64 s[8:9], vcc, exec
	v_mov_b32_e32 v12, 0
	s_or_b64 s[4:5], s[4:5], s[8:9]
	s_or_b64 exec, exec, s[6:7]
	s_and_saveexec_b64 s[6:7], s[4:5]
	s_cbranch_execnz .LBB20_663
	s_branch .LBB20_664
.LBB20_2713:
	s_movk_i32 s4, 0x80
	v_cmp_eq_u16_sdwa s[12:13], v6, s4 src0_sel:BYTE_3 src1_sel:DWORD
	s_mov_b64 s[4:5], -1
                                        ; implicit-def: $sgpr10
	s_and_saveexec_b64 s[8:9], s[12:13]
; %bb.2714:
	s_mov_b32 s10, 0x7f800001
	s_xor_b64 s[4:5], exec, -1
; %bb.2715:
	s_or_b64 exec, exec, s[8:9]
	s_and_b64 s[4:5], s[4:5], exec
	s_or_saveexec_b64 s[6:7], s[6:7]
	v_mov_b32_e32 v10, s10
	s_xor_b64 exec, exec, s[6:7]
	s_cbranch_execz .LBB20_666
.LBB20_2716:
	v_mov_b32_e32 v10, 0
	v_cmp_ne_u16_sdwa s[8:9], v6, v10 src0_sel:BYTE_3 src1_sel:DWORD
	s_andn2_b64 s[4:5], s[4:5], exec
	s_and_b64 s[8:9], s[8:9], exec
	s_or_b64 s[4:5], s[4:5], s[8:9]
	s_or_b64 exec, exec, s[6:7]
	s_and_saveexec_b64 s[6:7], s[4:5]
	s_cbranch_execnz .LBB20_667
	s_branch .LBB20_668
.LBB20_2717:
	s_movk_i32 s4, 0x80
	v_cmp_eq_u16_sdwa s[12:13], v2, s4 src0_sel:BYTE_3 src1_sel:DWORD
	s_mov_b64 s[4:5], -1
                                        ; implicit-def: $sgpr10
	s_and_saveexec_b64 s[8:9], s[12:13]
; %bb.2718:
	s_mov_b32 s10, 0x7f800001
	s_xor_b64 s[4:5], exec, -1
; %bb.2719:
	s_or_b64 exec, exec, s[8:9]
	s_and_b64 s[4:5], s[4:5], exec
	s_or_saveexec_b64 s[6:7], s[6:7]
	v_mov_b32_e32 v6, s10
	s_xor_b64 exec, exec, s[6:7]
	s_cbranch_execz .LBB20_670
.LBB20_2720:
	v_mov_b32_e32 v6, 0
	v_cmp_ne_u16_sdwa s[8:9], v2, v6 src0_sel:BYTE_3 src1_sel:DWORD
	s_andn2_b64 s[4:5], s[4:5], exec
	s_and_b64 s[8:9], s[8:9], exec
	s_or_b64 s[4:5], s[4:5], s[8:9]
	s_or_b64 exec, exec, s[6:7]
	s_and_saveexec_b64 s[6:7], s[4:5]
	s_cbranch_execnz .LBB20_671
	s_branch .LBB20_672
.LBB20_2721:
	s_movk_i32 s4, 0x80
	v_cmp_eq_u16_sdwa s[12:13], v7, s4 src0_sel:BYTE_0 src1_sel:DWORD
	s_mov_b64 s[4:5], -1
                                        ; implicit-def: $sgpr10
	s_and_saveexec_b64 s[8:9], s[12:13]
; %bb.2722:
	s_mov_b32 s10, 0x7f800001
	s_xor_b64 s[4:5], exec, -1
; %bb.2723:
	s_or_b64 exec, exec, s[8:9]
	s_and_b64 s[4:5], s[4:5], exec
	s_or_saveexec_b64 s[6:7], s[6:7]
	v_mov_b32_e32 v2, s10
	s_xor_b64 exec, exec, s[6:7]
	s_cbranch_execz .LBB20_674
.LBB20_2724:
	v_mov_b32_e32 v2, 0
	v_cmp_ne_u16_sdwa s[8:9], v7, v2 src0_sel:BYTE_0 src1_sel:DWORD
	s_andn2_b64 s[4:5], s[4:5], exec
	s_and_b64 s[8:9], s[8:9], exec
	s_or_b64 s[4:5], s[4:5], s[8:9]
	s_or_b64 exec, exec, s[6:7]
	s_and_saveexec_b64 s[6:7], s[4:5]
	s_cbranch_execnz .LBB20_675
	s_branch .LBB20_676
.LBB20_2725:
	s_movk_i32 s4, 0x80
	v_cmp_eq_u16_sdwa s[12:13], v3, s4 src0_sel:BYTE_0 src1_sel:DWORD
	s_mov_b64 s[4:5], -1
                                        ; implicit-def: $sgpr10
	s_and_saveexec_b64 s[8:9], s[12:13]
; %bb.2726:
	s_mov_b32 s10, 0x7f800001
	s_xor_b64 s[4:5], exec, -1
; %bb.2727:
	s_or_b64 exec, exec, s[8:9]
	s_and_b64 s[4:5], s[4:5], exec
	s_or_saveexec_b64 s[6:7], s[6:7]
	v_mov_b32_e32 v6, s10
	s_xor_b64 exec, exec, s[6:7]
	s_cbranch_execz .LBB20_678
.LBB20_2728:
	v_mov_b32_e32 v6, 0
	v_cmp_ne_u16_sdwa s[8:9], v3, v6 src0_sel:BYTE_0 src1_sel:DWORD
	s_andn2_b64 s[4:5], s[4:5], exec
	s_and_b64 s[8:9], s[8:9], exec
	s_or_b64 s[4:5], s[4:5], s[8:9]
	s_or_b64 exec, exec, s[6:7]
	s_and_saveexec_b64 s[6:7], s[4:5]
	s_cbranch_execnz .LBB20_679
	s_branch .LBB20_680
.LBB20_2729:
	s_movk_i32 s4, 0x80
	v_cmp_eq_u16_sdwa s[12:13], v6, s4 src0_sel:BYTE_0 src1_sel:DWORD
	s_mov_b64 s[4:5], -1
                                        ; implicit-def: $sgpr10
	s_and_saveexec_b64 s[8:9], s[12:13]
; %bb.2730:
	s_mov_b32 s10, 0x7f800001
	s_xor_b64 s[4:5], exec, -1
; %bb.2731:
	s_or_b64 exec, exec, s[8:9]
	s_and_b64 s[4:5], s[4:5], exec
	s_or_saveexec_b64 s[6:7], s[6:7]
	v_mov_b32_e32 v2, s10
	s_xor_b64 exec, exec, s[6:7]
	s_cbranch_execz .LBB20_682
.LBB20_2732:
	v_mov_b32_e32 v2, 0
	v_cmp_ne_u16_sdwa s[8:9], v6, v2 src0_sel:BYTE_0 src1_sel:DWORD
	s_andn2_b64 s[4:5], s[4:5], exec
	s_and_b64 s[8:9], s[8:9], exec
	s_or_b64 s[4:5], s[4:5], s[8:9]
	s_or_b64 exec, exec, s[6:7]
	s_and_saveexec_b64 s[6:7], s[4:5]
	s_cbranch_execnz .LBB20_683
	s_branch .LBB20_684
.LBB20_2733:
	s_movk_i32 s4, 0x80
	v_cmp_eq_u16_sdwa s[12:13], v6, s4 src0_sel:BYTE_0 src1_sel:DWORD
	s_mov_b64 s[4:5], -1
                                        ; implicit-def: $sgpr10
	s_and_saveexec_b64 s[8:9], s[12:13]
; %bb.2734:
	s_mov_b32 s10, 0x7f800001
	s_xor_b64 s[4:5], exec, -1
; %bb.2735:
	s_or_b64 exec, exec, s[8:9]
	s_and_b64 s[4:5], s[4:5], exec
	s_or_saveexec_b64 s[6:7], s[6:7]
	v_mov_b32_e32 v10, s10
	s_xor_b64 exec, exec, s[6:7]
	s_cbranch_execz .LBB20_686
.LBB20_2736:
	v_mov_b32_e32 v10, 0
	v_cmp_ne_u16_sdwa s[8:9], v6, v10 src0_sel:BYTE_0 src1_sel:DWORD
	s_andn2_b64 s[4:5], s[4:5], exec
	s_and_b64 s[8:9], s[8:9], exec
	s_or_b64 s[4:5], s[4:5], s[8:9]
	s_or_b64 exec, exec, s[6:7]
	s_and_saveexec_b64 s[6:7], s[4:5]
	s_cbranch_execnz .LBB20_687
	s_branch .LBB20_688
.LBB20_2737:
	s_movk_i32 s4, 0x80
	v_cmp_eq_u16_e32 vcc, s4, v6
	s_mov_b64 s[4:5], -1
                                        ; implicit-def: $sgpr10
	s_and_saveexec_b64 s[8:9], vcc
; %bb.2738:
	s_mov_b32 s10, 0x7f800001
	s_xor_b64 s[4:5], exec, -1
; %bb.2739:
	s_or_b64 exec, exec, s[8:9]
	s_and_b64 s[4:5], s[4:5], exec
                                        ; implicit-def: $vgpr6
	s_or_saveexec_b64 s[6:7], s[6:7]
	v_mov_b32_e32 v2, s10
	s_xor_b64 exec, exec, s[6:7]
	s_cbranch_execz .LBB20_690
.LBB20_2740:
	v_cmp_ne_u16_e32 vcc, 0, v6
	s_andn2_b64 s[4:5], s[4:5], exec
	s_and_b64 s[8:9], vcc, exec
	v_mov_b32_e32 v2, 0
	s_or_b64 s[4:5], s[4:5], s[8:9]
	s_or_b64 exec, exec, s[6:7]
	s_and_saveexec_b64 s[6:7], s[4:5]
	s_cbranch_execnz .LBB20_691
	s_branch .LBB20_692
.LBB20_2741:
	s_movk_i32 s4, 0x80
	v_cmp_eq_u16_e32 vcc, s4, v6
	s_mov_b64 s[4:5], -1
                                        ; implicit-def: $sgpr10
	s_and_saveexec_b64 s[8:9], vcc
; %bb.2742:
	s_mov_b32 s10, 0x7f800001
	s_xor_b64 s[4:5], exec, -1
; %bb.2743:
	s_or_b64 exec, exec, s[8:9]
	s_and_b64 s[4:5], s[4:5], exec
                                        ; implicit-def: $vgpr6
	s_or_saveexec_b64 s[6:7], s[6:7]
	v_mov_b32_e32 v10, s10
	s_xor_b64 exec, exec, s[6:7]
	s_cbranch_execz .LBB20_694
.LBB20_2744:
	v_cmp_ne_u16_e32 vcc, 0, v6
	s_andn2_b64 s[4:5], s[4:5], exec
	s_and_b64 s[8:9], vcc, exec
	v_mov_b32_e32 v10, 0
	s_or_b64 s[4:5], s[4:5], s[8:9]
	s_or_b64 exec, exec, s[6:7]
	s_and_saveexec_b64 s[6:7], s[4:5]
	s_cbranch_execnz .LBB20_695
	s_branch .LBB20_696
.LBB20_2745:
	s_movk_i32 s4, 0x80
	v_cmp_eq_u16_sdwa s[12:13], v7, s4 src0_sel:BYTE_3 src1_sel:DWORD
	s_mov_b64 s[4:5], -1
                                        ; implicit-def: $sgpr10
	s_and_saveexec_b64 s[8:9], s[12:13]
; %bb.2746:
	s_mov_b32 s10, 0x7f800001
	s_xor_b64 s[4:5], exec, -1
; %bb.2747:
	s_or_b64 exec, exec, s[8:9]
	s_and_b64 s[4:5], s[4:5], exec
	s_or_saveexec_b64 s[6:7], s[6:7]
	v_mov_b32_e32 v2, s10
	s_xor_b64 exec, exec, s[6:7]
	s_cbranch_execz .LBB20_698
.LBB20_2748:
	v_mov_b32_e32 v2, 0
	v_cmp_ne_u16_sdwa s[8:9], v7, v2 src0_sel:BYTE_3 src1_sel:DWORD
	s_andn2_b64 s[4:5], s[4:5], exec
	s_and_b64 s[8:9], s[8:9], exec
	s_or_b64 s[4:5], s[4:5], s[8:9]
	s_or_b64 exec, exec, s[6:7]
	s_and_saveexec_b64 s[6:7], s[4:5]
	s_cbranch_execnz .LBB20_699
	s_branch .LBB20_700
.LBB20_2749:
	s_movk_i32 s4, 0x80
	v_cmp_eq_u16_sdwa s[12:13], v3, s4 src0_sel:BYTE_3 src1_sel:DWORD
	s_mov_b64 s[4:5], -1
                                        ; implicit-def: $sgpr10
	s_and_saveexec_b64 s[8:9], s[12:13]
; %bb.2750:
	s_mov_b32 s10, 0x7f800001
	s_xor_b64 s[4:5], exec, -1
; %bb.2751:
	s_or_b64 exec, exec, s[8:9]
	s_and_b64 s[4:5], s[4:5], exec
	s_or_saveexec_b64 s[6:7], s[6:7]
	v_mov_b32_e32 v6, s10
	s_xor_b64 exec, exec, s[6:7]
	s_cbranch_execz .LBB20_702
.LBB20_2752:
	v_mov_b32_e32 v6, 0
	v_cmp_ne_u16_sdwa s[8:9], v3, v6 src0_sel:BYTE_3 src1_sel:DWORD
	s_andn2_b64 s[4:5], s[4:5], exec
	s_and_b64 s[8:9], s[8:9], exec
	s_or_b64 s[4:5], s[4:5], s[8:9]
	s_or_b64 exec, exec, s[6:7]
	s_and_saveexec_b64 s[6:7], s[4:5]
	s_cbranch_execnz .LBB20_703
	s_branch .LBB20_704
.LBB20_2753:
	s_movk_i32 s4, 0x80
	v_cmp_eq_u16_sdwa s[12:13], v8, s4 src0_sel:BYTE_0 src1_sel:DWORD
	s_mov_b64 s[4:5], -1
                                        ; implicit-def: $sgpr10
	s_and_saveexec_b64 s[8:9], s[12:13]
; %bb.2754:
	s_mov_b32 s10, 0x7f800001
	s_xor_b64 s[4:5], exec, -1
; %bb.2755:
	s_or_b64 exec, exec, s[8:9]
	s_and_b64 s[4:5], s[4:5], exec
	s_or_saveexec_b64 s[6:7], s[6:7]
	v_mov_b32_e32 v2, s10
	s_xor_b64 exec, exec, s[6:7]
	s_cbranch_execz .LBB20_706
.LBB20_2756:
	v_mov_b32_e32 v2, 0
	v_cmp_ne_u16_sdwa s[8:9], v8, v2 src0_sel:BYTE_0 src1_sel:DWORD
	s_andn2_b64 s[4:5], s[4:5], exec
	s_and_b64 s[8:9], s[8:9], exec
	s_or_b64 s[4:5], s[4:5], s[8:9]
	s_or_b64 exec, exec, s[6:7]
	s_and_saveexec_b64 s[6:7], s[4:5]
	s_cbranch_execnz .LBB20_707
	s_branch .LBB20_708
.LBB20_2757:
	s_movk_i32 s4, 0x80
	v_cmp_eq_u16_sdwa s[12:13], v4, s4 src0_sel:BYTE_0 src1_sel:DWORD
	s_mov_b64 s[4:5], -1
                                        ; implicit-def: $sgpr10
	s_and_saveexec_b64 s[8:9], s[12:13]
; %bb.2758:
	s_mov_b32 s10, 0x7f800001
	s_xor_b64 s[4:5], exec, -1
; %bb.2759:
	s_or_b64 exec, exec, s[8:9]
	s_and_b64 s[4:5], s[4:5], exec
	s_or_saveexec_b64 s[6:7], s[6:7]
	v_mov_b32_e32 v3, s10
	s_xor_b64 exec, exec, s[6:7]
	s_cbranch_execz .LBB20_710
.LBB20_2760:
	v_mov_b32_e32 v3, 0
	v_cmp_ne_u16_sdwa s[8:9], v4, v3 src0_sel:BYTE_0 src1_sel:DWORD
	s_andn2_b64 s[4:5], s[4:5], exec
	s_and_b64 s[8:9], s[8:9], exec
	s_or_b64 s[4:5], s[4:5], s[8:9]
	s_or_b64 exec, exec, s[6:7]
	s_and_saveexec_b64 s[6:7], s[4:5]
	s_cbranch_execnz .LBB20_711
	s_branch .LBB20_712
.LBB20_2761:
	s_movk_i32 s4, 0x80
	v_cmp_eq_u16_sdwa s[12:13], v3, s4 src0_sel:BYTE_0 src1_sel:DWORD
	s_mov_b64 s[4:5], -1
                                        ; implicit-def: $sgpr10
	s_and_saveexec_b64 s[8:9], s[12:13]
; %bb.2762:
	s_mov_b32 s10, 0x7f800001
	s_xor_b64 s[4:5], exec, -1
; %bb.2763:
	s_or_b64 exec, exec, s[8:9]
	s_and_b64 s[4:5], s[4:5], exec
	s_or_saveexec_b64 s[6:7], s[6:7]
	v_mov_b32_e32 v2, s10
	s_xor_b64 exec, exec, s[6:7]
	s_cbranch_execz .LBB20_714
.LBB20_2764:
	v_mov_b32_e32 v2, 0
	v_cmp_ne_u16_sdwa s[8:9], v3, v2 src0_sel:BYTE_0 src1_sel:DWORD
	s_andn2_b64 s[4:5], s[4:5], exec
	s_and_b64 s[8:9], s[8:9], exec
	s_or_b64 s[4:5], s[4:5], s[8:9]
	s_or_b64 exec, exec, s[6:7]
	s_and_saveexec_b64 s[6:7], s[4:5]
	s_cbranch_execnz .LBB20_715
	s_branch .LBB20_716
.LBB20_2765:
	s_movk_i32 s4, 0x80
	v_cmp_eq_u16_sdwa s[12:13], v3, s4 src0_sel:BYTE_0 src1_sel:DWORD
	s_mov_b64 s[4:5], -1
                                        ; implicit-def: $sgpr10
	s_and_saveexec_b64 s[8:9], s[12:13]
; %bb.2766:
	s_mov_b32 s10, 0x7f800001
	s_xor_b64 s[4:5], exec, -1
; %bb.2767:
	s_or_b64 exec, exec, s[8:9]
	s_and_b64 s[4:5], s[4:5], exec
	s_or_saveexec_b64 s[6:7], s[6:7]
	v_mov_b32_e32 v6, s10
	s_xor_b64 exec, exec, s[6:7]
	s_cbranch_execz .LBB20_718
.LBB20_2768:
	v_mov_b32_e32 v6, 0
	v_cmp_ne_u16_sdwa s[8:9], v3, v6 src0_sel:BYTE_0 src1_sel:DWORD
	s_andn2_b64 s[4:5], s[4:5], exec
	s_and_b64 s[8:9], s[8:9], exec
	s_or_b64 s[4:5], s[4:5], s[8:9]
	s_or_b64 exec, exec, s[6:7]
	s_and_saveexec_b64 s[6:7], s[4:5]
	s_cbranch_execnz .LBB20_719
	s_branch .LBB20_720
.LBB20_2769:
	s_movk_i32 s4, 0x80
	v_cmp_eq_u16_e32 vcc, s4, v3
	s_mov_b64 s[4:5], -1
                                        ; implicit-def: $sgpr10
	s_and_saveexec_b64 s[8:9], vcc
; %bb.2770:
	s_mov_b32 s10, 0x7f800001
	s_xor_b64 s[4:5], exec, -1
; %bb.2771:
	s_or_b64 exec, exec, s[8:9]
	s_and_b64 s[4:5], s[4:5], exec
                                        ; implicit-def: $vgpr3
	s_or_saveexec_b64 s[6:7], s[6:7]
	v_mov_b32_e32 v2, s10
	s_xor_b64 exec, exec, s[6:7]
	s_cbranch_execz .LBB20_722
.LBB20_2772:
	v_cmp_ne_u16_e32 vcc, 0, v3
	s_andn2_b64 s[4:5], s[4:5], exec
	s_and_b64 s[8:9], vcc, exec
	v_mov_b32_e32 v2, 0
	s_or_b64 s[4:5], s[4:5], s[8:9]
	s_or_b64 exec, exec, s[6:7]
	s_and_saveexec_b64 s[6:7], s[4:5]
	s_cbranch_execnz .LBB20_723
	s_branch .LBB20_724
.LBB20_2773:
	s_movk_i32 s4, 0x80
	v_cmp_eq_u16_e32 vcc, s4, v3
	s_mov_b64 s[4:5], -1
                                        ; implicit-def: $sgpr10
	s_and_saveexec_b64 s[8:9], vcc
; %bb.2774:
	s_mov_b32 s10, 0x7f800001
	s_xor_b64 s[4:5], exec, -1
; %bb.2775:
	s_or_b64 exec, exec, s[8:9]
	s_and_b64 s[4:5], s[4:5], exec
                                        ; implicit-def: $vgpr3
	s_or_saveexec_b64 s[6:7], s[6:7]
	v_mov_b32_e32 v6, s10
	s_xor_b64 exec, exec, s[6:7]
	s_cbranch_execz .LBB20_726
.LBB20_2776:
	v_cmp_ne_u16_e32 vcc, 0, v3
	s_andn2_b64 s[4:5], s[4:5], exec
	s_and_b64 s[8:9], vcc, exec
	v_mov_b32_e32 v6, 0
	s_or_b64 s[4:5], s[4:5], s[8:9]
	s_or_b64 exec, exec, s[6:7]
	s_and_saveexec_b64 s[6:7], s[4:5]
	s_cbranch_execnz .LBB20_727
	s_branch .LBB20_728
.LBB20_2777:
	s_movk_i32 s4, 0x80
	v_cmp_eq_u16_sdwa s[12:13], v8, s4 src0_sel:BYTE_3 src1_sel:DWORD
	s_mov_b64 s[4:5], -1
                                        ; implicit-def: $sgpr10
	s_and_saveexec_b64 s[8:9], s[12:13]
; %bb.2778:
	s_mov_b32 s10, 0x7f800001
	s_xor_b64 s[4:5], exec, -1
; %bb.2779:
	s_or_b64 exec, exec, s[8:9]
	s_and_b64 s[4:5], s[4:5], exec
	s_or_saveexec_b64 s[6:7], s[6:7]
	v_mov_b32_e32 v2, s10
	s_xor_b64 exec, exec, s[6:7]
	s_cbranch_execz .LBB20_730
.LBB20_2780:
	v_mov_b32_e32 v2, 0
	v_cmp_ne_u16_sdwa s[8:9], v8, v2 src0_sel:BYTE_3 src1_sel:DWORD
	s_andn2_b64 s[4:5], s[4:5], exec
	s_and_b64 s[8:9], s[8:9], exec
	s_or_b64 s[4:5], s[4:5], s[8:9]
	s_or_b64 exec, exec, s[6:7]
	s_and_saveexec_b64 s[6:7], s[4:5]
	s_cbranch_execnz .LBB20_731
	s_branch .LBB20_732
.LBB20_2781:
	s_movk_i32 s4, 0x80
	v_cmp_eq_u16_sdwa s[12:13], v4, s4 src0_sel:BYTE_3 src1_sel:DWORD
	s_mov_b64 s[4:5], -1
                                        ; implicit-def: $sgpr10
	s_and_saveexec_b64 s[8:9], s[12:13]
; %bb.2782:
	s_mov_b32 s10, 0x7f800001
	s_xor_b64 s[4:5], exec, -1
; %bb.2783:
	s_or_b64 exec, exec, s[8:9]
	s_and_b64 s[4:5], s[4:5], exec
	s_or_saveexec_b64 s[6:7], s[6:7]
	v_mov_b32_e32 v3, s10
	s_xor_b64 exec, exec, s[6:7]
	s_cbranch_execz .LBB20_734
.LBB20_2784:
	v_mov_b32_e32 v3, 0
	v_cmp_ne_u16_sdwa s[8:9], v4, v3 src0_sel:BYTE_3 src1_sel:DWORD
	s_andn2_b64 s[4:5], s[4:5], exec
	s_and_b64 s[8:9], s[8:9], exec
	s_or_b64 s[4:5], s[4:5], s[8:9]
	s_or_b64 exec, exec, s[6:7]
	s_and_saveexec_b64 s[6:7], s[4:5]
	s_cbranch_execnz .LBB20_735
	s_branch .LBB20_736
.LBB20_2785:
	s_movk_i32 s4, 0x80
	v_cmp_eq_u16_sdwa s[12:13], v9, s4 src0_sel:BYTE_0 src1_sel:DWORD
	s_mov_b64 s[4:5], -1
                                        ; implicit-def: $sgpr10
	s_and_saveexec_b64 s[8:9], s[12:13]
; %bb.2786:
	s_mov_b32 s10, 0x7f800001
	s_xor_b64 s[4:5], exec, -1
; %bb.2787:
	s_or_b64 exec, exec, s[8:9]
	s_and_b64 s[4:5], s[4:5], exec
	s_or_saveexec_b64 s[6:7], s[6:7]
	v_mov_b32_e32 v2, s10
	s_xor_b64 exec, exec, s[6:7]
	s_cbranch_execz .LBB20_738
.LBB20_2788:
	v_mov_b32_e32 v2, 0
	v_cmp_ne_u16_sdwa s[8:9], v9, v2 src0_sel:BYTE_0 src1_sel:DWORD
	s_andn2_b64 s[4:5], s[4:5], exec
	s_and_b64 s[8:9], s[8:9], exec
	s_or_b64 s[4:5], s[4:5], s[8:9]
	s_or_b64 exec, exec, s[6:7]
	s_and_saveexec_b64 s[6:7], s[4:5]
	s_cbranch_execnz .LBB20_739
	s_branch .LBB20_740
.LBB20_2789:
	s_movk_i32 s4, 0x80
	v_cmp_eq_u16_sdwa s[12:13], v5, s4 src0_sel:BYTE_0 src1_sel:DWORD
	s_mov_b64 s[4:5], -1
                                        ; implicit-def: $sgpr10
	s_and_saveexec_b64 s[8:9], s[12:13]
; %bb.2790:
	s_mov_b32 s10, 0x7f800001
	s_xor_b64 s[4:5], exec, -1
; %bb.2791:
	s_or_b64 exec, exec, s[8:9]
	s_and_b64 s[4:5], s[4:5], exec
	s_or_saveexec_b64 s[6:7], s[6:7]
	v_mov_b32_e32 v3, s10
	s_xor_b64 exec, exec, s[6:7]
	s_cbranch_execz .LBB20_742
.LBB20_2792:
	v_mov_b32_e32 v3, 0
	v_cmp_ne_u16_sdwa s[8:9], v5, v3 src0_sel:BYTE_0 src1_sel:DWORD
	s_andn2_b64 s[4:5], s[4:5], exec
	s_and_b64 s[8:9], s[8:9], exec
	s_or_b64 s[4:5], s[4:5], s[8:9]
	s_or_b64 exec, exec, s[6:7]
	s_and_saveexec_b64 s[6:7], s[4:5]
	s_cbranch_execnz .LBB20_743
	s_branch .LBB20_744
.LBB20_2793:
	s_movk_i32 s4, 0x80
	v_cmp_eq_u16_sdwa s[12:13], v3, s4 src0_sel:BYTE_0 src1_sel:DWORD
	s_mov_b64 s[4:5], -1
                                        ; implicit-def: $sgpr10
	s_and_saveexec_b64 s[8:9], s[12:13]
; %bb.2794:
	s_mov_b32 s10, 0x7f800001
	s_xor_b64 s[4:5], exec, -1
; %bb.2795:
	s_or_b64 exec, exec, s[8:9]
	s_and_b64 s[4:5], s[4:5], exec
	s_or_saveexec_b64 s[6:7], s[6:7]
	v_mov_b32_e32 v2, s10
	s_xor_b64 exec, exec, s[6:7]
	s_cbranch_execz .LBB20_746
.LBB20_2796:
	v_mov_b32_e32 v2, 0
	v_cmp_ne_u16_sdwa s[8:9], v3, v2 src0_sel:BYTE_0 src1_sel:DWORD
	s_andn2_b64 s[4:5], s[4:5], exec
	s_and_b64 s[8:9], s[8:9], exec
	s_or_b64 s[4:5], s[4:5], s[8:9]
	s_or_b64 exec, exec, s[6:7]
	s_and_saveexec_b64 s[6:7], s[4:5]
	s_cbranch_execnz .LBB20_747
	s_branch .LBB20_748
.LBB20_2797:
	s_movk_i32 s4, 0x80
	v_cmp_eq_u16_sdwa s[12:13], v3, s4 src0_sel:BYTE_0 src1_sel:DWORD
	s_mov_b64 s[4:5], -1
                                        ; implicit-def: $sgpr10
	s_and_saveexec_b64 s[8:9], s[12:13]
; %bb.2798:
	s_mov_b32 s10, 0x7f800001
	s_xor_b64 s[4:5], exec, -1
; %bb.2799:
	s_or_b64 exec, exec, s[8:9]
	s_and_b64 s[4:5], s[4:5], exec
	s_or_saveexec_b64 s[6:7], s[6:7]
	v_mov_b32_e32 v4, s10
	s_xor_b64 exec, exec, s[6:7]
	s_cbranch_execz .LBB20_750
.LBB20_2800:
	v_mov_b32_e32 v4, 0
	v_cmp_ne_u16_sdwa s[8:9], v3, v4 src0_sel:BYTE_0 src1_sel:DWORD
	s_andn2_b64 s[4:5], s[4:5], exec
	s_and_b64 s[8:9], s[8:9], exec
	s_or_b64 s[4:5], s[4:5], s[8:9]
	s_or_b64 exec, exec, s[6:7]
	s_and_saveexec_b64 s[6:7], s[4:5]
	s_cbranch_execnz .LBB20_751
	s_branch .LBB20_752
.LBB20_2801:
	s_movk_i32 s4, 0x80
	v_cmp_eq_u16_e32 vcc, s4, v3
	s_mov_b64 s[4:5], -1
                                        ; implicit-def: $sgpr10
	s_and_saveexec_b64 s[8:9], vcc
; %bb.2802:
	s_mov_b32 s10, 0x7f800001
	s_xor_b64 s[4:5], exec, -1
; %bb.2803:
	s_or_b64 exec, exec, s[8:9]
	s_and_b64 s[4:5], s[4:5], exec
                                        ; implicit-def: $vgpr3
	s_or_saveexec_b64 s[6:7], s[6:7]
	v_mov_b32_e32 v2, s10
	s_xor_b64 exec, exec, s[6:7]
	s_cbranch_execz .LBB20_754
.LBB20_2804:
	v_cmp_ne_u16_e32 vcc, 0, v3
	s_andn2_b64 s[4:5], s[4:5], exec
	s_and_b64 s[8:9], vcc, exec
	v_mov_b32_e32 v2, 0
	s_or_b64 s[4:5], s[4:5], s[8:9]
	s_or_b64 exec, exec, s[6:7]
	s_and_saveexec_b64 s[6:7], s[4:5]
	s_cbranch_execnz .LBB20_755
	s_branch .LBB20_756
.LBB20_2805:
	s_movk_i32 s4, 0x80
	v_cmp_eq_u16_e32 vcc, s4, v3
	s_mov_b64 s[4:5], -1
                                        ; implicit-def: $sgpr10
	s_and_saveexec_b64 s[8:9], vcc
; %bb.2806:
	s_mov_b32 s10, 0x7f800001
	s_xor_b64 s[4:5], exec, -1
; %bb.2807:
	s_or_b64 exec, exec, s[8:9]
	s_and_b64 s[4:5], s[4:5], exec
                                        ; implicit-def: $vgpr3
	s_or_saveexec_b64 s[6:7], s[6:7]
	v_mov_b32_e32 v4, s10
	s_xor_b64 exec, exec, s[6:7]
	s_cbranch_execz .LBB20_758
.LBB20_2808:
	v_cmp_ne_u16_e32 vcc, 0, v3
	s_andn2_b64 s[4:5], s[4:5], exec
	s_and_b64 s[8:9], vcc, exec
	v_mov_b32_e32 v4, 0
	s_or_b64 s[4:5], s[4:5], s[8:9]
	s_or_b64 exec, exec, s[6:7]
	s_and_saveexec_b64 s[6:7], s[4:5]
	s_cbranch_execnz .LBB20_759
	s_branch .LBB20_760
.LBB20_2809:
	s_movk_i32 s4, 0x80
	v_cmp_eq_u16_sdwa s[12:13], v9, s4 src0_sel:BYTE_3 src1_sel:DWORD
	s_mov_b64 s[4:5], -1
                                        ; implicit-def: $sgpr10
	s_and_saveexec_b64 s[8:9], s[12:13]
; %bb.2810:
	s_mov_b32 s10, 0x7f800001
	s_xor_b64 s[4:5], exec, -1
; %bb.2811:
	s_or_b64 exec, exec, s[8:9]
	s_and_b64 s[4:5], s[4:5], exec
	s_or_saveexec_b64 s[6:7], s[6:7]
	v_mov_b32_e32 v2, s10
	s_xor_b64 exec, exec, s[6:7]
	s_cbranch_execz .LBB20_762
.LBB20_2812:
	v_mov_b32_e32 v2, 0
	v_cmp_ne_u16_sdwa s[8:9], v9, v2 src0_sel:BYTE_3 src1_sel:DWORD
	s_andn2_b64 s[4:5], s[4:5], exec
	s_and_b64 s[8:9], s[8:9], exec
	s_or_b64 s[4:5], s[4:5], s[8:9]
	s_or_b64 exec, exec, s[6:7]
	s_and_saveexec_b64 s[6:7], s[4:5]
	s_cbranch_execnz .LBB20_763
	s_branch .LBB20_764
.LBB20_2813:
	s_movk_i32 s4, 0x80
	v_cmp_eq_u16_sdwa s[12:13], v5, s4 src0_sel:BYTE_3 src1_sel:DWORD
	s_mov_b64 s[4:5], -1
                                        ; implicit-def: $sgpr10
	s_and_saveexec_b64 s[8:9], s[12:13]
; %bb.2814:
	s_mov_b32 s10, 0x7f800001
	s_xor_b64 s[4:5], exec, -1
; %bb.2815:
	s_or_b64 exec, exec, s[8:9]
	s_and_b64 s[4:5], s[4:5], exec
	s_or_saveexec_b64 s[6:7], s[6:7]
	v_mov_b32_e32 v3, s10
	s_xor_b64 exec, exec, s[6:7]
	s_cbranch_execz .LBB20_766
.LBB20_2816:
	v_mov_b32_e32 v3, 0
	v_cmp_ne_u16_sdwa s[8:9], v5, v3 src0_sel:BYTE_3 src1_sel:DWORD
	s_andn2_b64 s[4:5], s[4:5], exec
	s_and_b64 s[8:9], s[8:9], exec
	s_or_b64 s[4:5], s[4:5], s[8:9]
	s_or_b64 exec, exec, s[6:7]
	s_and_saveexec_b64 s[6:7], s[4:5]
	s_cbranch_execnz .LBB20_767
	s_branch .LBB20_768
.LBB20_2817:
	s_movk_i32 s4, 0x80
	v_cmp_eq_u16_sdwa s[12:13], v14, s4 src0_sel:BYTE_0 src1_sel:DWORD
	s_mov_b64 s[4:5], -1
                                        ; implicit-def: $sgpr10
	s_and_saveexec_b64 s[8:9], s[12:13]
; %bb.2818:
	s_mov_b32 s10, 0x7f800001
	s_xor_b64 s[4:5], exec, -1
; %bb.2819:
	s_or_b64 exec, exec, s[8:9]
	s_and_b64 s[4:5], s[4:5], exec
	s_or_saveexec_b64 s[6:7], s[6:7]
	v_mov_b32_e32 v20, s10
	s_xor_b64 exec, exec, s[6:7]
	s_cbranch_execz .LBB20_770
.LBB20_2820:
	v_mov_b32_e32 v20, 0
	v_cmp_ne_u16_sdwa s[8:9], v14, v20 src0_sel:BYTE_0 src1_sel:DWORD
	s_andn2_b64 s[4:5], s[4:5], exec
	s_and_b64 s[8:9], s[8:9], exec
	s_or_b64 s[4:5], s[4:5], s[8:9]
	s_or_b64 exec, exec, s[6:7]
	s_and_saveexec_b64 s[6:7], s[4:5]
	s_cbranch_execnz .LBB20_771
	s_branch .LBB20_772
.LBB20_2821:
	s_movk_i32 s4, 0x80
	v_cmp_eq_u16_sdwa s[12:13], v10, s4 src0_sel:BYTE_0 src1_sel:DWORD
	s_mov_b64 s[4:5], -1
                                        ; implicit-def: $sgpr10
	s_and_saveexec_b64 s[8:9], s[12:13]
; %bb.2822:
	s_mov_b32 s10, 0x7f800001
	s_xor_b64 s[4:5], exec, -1
; %bb.2823:
	s_or_b64 exec, exec, s[8:9]
	s_and_b64 s[4:5], s[4:5], exec
	s_or_saveexec_b64 s[6:7], s[6:7]
	v_mov_b32_e32 v21, s10
	s_xor_b64 exec, exec, s[6:7]
	s_cbranch_execz .LBB20_774
.LBB20_2824:
	v_mov_b32_e32 v21, 0
	v_cmp_ne_u16_sdwa s[8:9], v10, v21 src0_sel:BYTE_0 src1_sel:DWORD
	s_andn2_b64 s[4:5], s[4:5], exec
	s_and_b64 s[8:9], s[8:9], exec
	s_or_b64 s[4:5], s[4:5], s[8:9]
	s_or_b64 exec, exec, s[6:7]
	s_and_saveexec_b64 s[6:7], s[4:5]
	s_cbranch_execnz .LBB20_775
	s_branch .LBB20_776
.LBB20_2825:
	s_movk_i32 s4, 0x80
	v_cmp_eq_u16_sdwa s[12:13], v21, s4 src0_sel:BYTE_0 src1_sel:DWORD
	s_mov_b64 s[4:5], -1
                                        ; implicit-def: $sgpr10
	s_and_saveexec_b64 s[8:9], s[12:13]
; %bb.2826:
	s_mov_b32 s10, 0x7f800001
	s_xor_b64 s[4:5], exec, -1
; %bb.2827:
	s_or_b64 exec, exec, s[8:9]
	s_and_b64 s[4:5], s[4:5], exec
	s_or_saveexec_b64 s[6:7], s[6:7]
	v_mov_b32_e32 v20, s10
	s_xor_b64 exec, exec, s[6:7]
	s_cbranch_execz .LBB20_778
.LBB20_2828:
	v_mov_b32_e32 v20, 0
	v_cmp_ne_u16_sdwa s[8:9], v21, v20 src0_sel:BYTE_0 src1_sel:DWORD
	s_andn2_b64 s[4:5], s[4:5], exec
	s_and_b64 s[8:9], s[8:9], exec
	s_or_b64 s[4:5], s[4:5], s[8:9]
	s_or_b64 exec, exec, s[6:7]
	s_and_saveexec_b64 s[6:7], s[4:5]
	s_cbranch_execnz .LBB20_779
	s_branch .LBB20_780
.LBB20_2829:
	s_movk_i32 s4, 0x80
	v_cmp_eq_u16_sdwa s[12:13], v21, s4 src0_sel:BYTE_0 src1_sel:DWORD
	s_mov_b64 s[4:5], -1
                                        ; implicit-def: $sgpr10
	s_and_saveexec_b64 s[8:9], s[12:13]
; %bb.2830:
	s_mov_b32 s10, 0x7f800001
	s_xor_b64 s[4:5], exec, -1
; %bb.2831:
	s_or_b64 exec, exec, s[8:9]
	s_and_b64 s[4:5], s[4:5], exec
	s_or_saveexec_b64 s[6:7], s[6:7]
	v_mov_b32_e32 v22, s10
	s_xor_b64 exec, exec, s[6:7]
	s_cbranch_execz .LBB20_782
.LBB20_2832:
	v_mov_b32_e32 v22, 0
	v_cmp_ne_u16_sdwa s[8:9], v21, v22 src0_sel:BYTE_0 src1_sel:DWORD
	s_andn2_b64 s[4:5], s[4:5], exec
	s_and_b64 s[8:9], s[8:9], exec
	s_or_b64 s[4:5], s[4:5], s[8:9]
	s_or_b64 exec, exec, s[6:7]
	s_and_saveexec_b64 s[6:7], s[4:5]
	s_cbranch_execnz .LBB20_783
	s_branch .LBB20_784
.LBB20_2833:
	s_movk_i32 s4, 0x80
	v_cmp_eq_u16_e32 vcc, s4, v21
	s_mov_b64 s[4:5], -1
                                        ; implicit-def: $sgpr10
	s_and_saveexec_b64 s[8:9], vcc
; %bb.2834:
	s_mov_b32 s10, 0x7f800001
	s_xor_b64 s[4:5], exec, -1
; %bb.2835:
	s_or_b64 exec, exec, s[8:9]
	s_and_b64 s[4:5], s[4:5], exec
                                        ; implicit-def: $vgpr21
	s_or_saveexec_b64 s[6:7], s[6:7]
	v_mov_b32_e32 v20, s10
	s_xor_b64 exec, exec, s[6:7]
	s_cbranch_execz .LBB20_786
.LBB20_2836:
	v_cmp_ne_u16_e32 vcc, 0, v21
	s_andn2_b64 s[4:5], s[4:5], exec
	s_and_b64 s[8:9], vcc, exec
	v_mov_b32_e32 v20, 0
	s_or_b64 s[4:5], s[4:5], s[8:9]
	s_or_b64 exec, exec, s[6:7]
	s_and_saveexec_b64 s[6:7], s[4:5]
	s_cbranch_execnz .LBB20_787
	s_branch .LBB20_788
.LBB20_2837:
	s_movk_i32 s4, 0x80
	v_cmp_eq_u16_e32 vcc, s4, v21
	s_mov_b64 s[4:5], -1
                                        ; implicit-def: $sgpr10
	s_and_saveexec_b64 s[8:9], vcc
; %bb.2838:
	s_mov_b32 s10, 0x7f800001
	s_xor_b64 s[4:5], exec, -1
; %bb.2839:
	s_or_b64 exec, exec, s[8:9]
	s_and_b64 s[4:5], s[4:5], exec
                                        ; implicit-def: $vgpr21
	s_or_saveexec_b64 s[6:7], s[6:7]
	v_mov_b32_e32 v22, s10
	s_xor_b64 exec, exec, s[6:7]
	s_cbranch_execz .LBB20_790
.LBB20_2840:
	v_cmp_ne_u16_e32 vcc, 0, v21
	s_andn2_b64 s[4:5], s[4:5], exec
	s_and_b64 s[8:9], vcc, exec
	v_mov_b32_e32 v22, 0
	s_or_b64 s[4:5], s[4:5], s[8:9]
	s_or_b64 exec, exec, s[6:7]
	s_and_saveexec_b64 s[6:7], s[4:5]
	s_cbranch_execnz .LBB20_791
	s_branch .LBB20_792
.LBB20_2841:
	s_movk_i32 s4, 0x80
	v_cmp_eq_u16_sdwa s[12:13], v14, s4 src0_sel:BYTE_3 src1_sel:DWORD
	s_mov_b64 s[4:5], -1
                                        ; implicit-def: $sgpr10
	s_and_saveexec_b64 s[8:9], s[12:13]
; %bb.2842:
	s_mov_b32 s10, 0x7f800001
	s_xor_b64 s[4:5], exec, -1
; %bb.2843:
	s_or_b64 exec, exec, s[8:9]
	s_and_b64 s[4:5], s[4:5], exec
	s_or_saveexec_b64 s[6:7], s[6:7]
	v_mov_b32_e32 v20, s10
	s_xor_b64 exec, exec, s[6:7]
	s_cbranch_execz .LBB20_794
.LBB20_2844:
	v_mov_b32_e32 v20, 0
	v_cmp_ne_u16_sdwa s[8:9], v14, v20 src0_sel:BYTE_3 src1_sel:DWORD
	s_andn2_b64 s[4:5], s[4:5], exec
	s_and_b64 s[8:9], s[8:9], exec
	s_or_b64 s[4:5], s[4:5], s[8:9]
	s_or_b64 exec, exec, s[6:7]
	s_and_saveexec_b64 s[6:7], s[4:5]
	s_cbranch_execnz .LBB20_795
	s_branch .LBB20_796
.LBB20_2845:
	s_movk_i32 s4, 0x80
	v_cmp_eq_u16_sdwa s[12:13], v10, s4 src0_sel:BYTE_3 src1_sel:DWORD
	s_mov_b64 s[4:5], -1
                                        ; implicit-def: $sgpr10
	s_and_saveexec_b64 s[8:9], s[12:13]
; %bb.2846:
	s_mov_b32 s10, 0x7f800001
	s_xor_b64 s[4:5], exec, -1
; %bb.2847:
	s_or_b64 exec, exec, s[8:9]
	s_and_b64 s[4:5], s[4:5], exec
	s_or_saveexec_b64 s[6:7], s[6:7]
	v_mov_b32_e32 v14, s10
	s_xor_b64 exec, exec, s[6:7]
	s_cbranch_execz .LBB20_798
.LBB20_2848:
	v_mov_b32_e32 v14, 0
	v_cmp_ne_u16_sdwa s[8:9], v10, v14 src0_sel:BYTE_3 src1_sel:DWORD
	s_andn2_b64 s[4:5], s[4:5], exec
	s_and_b64 s[8:9], s[8:9], exec
	s_or_b64 s[4:5], s[4:5], s[8:9]
	s_or_b64 exec, exec, s[6:7]
	s_and_saveexec_b64 s[6:7], s[4:5]
	s_cbranch_execnz .LBB20_799
	s_branch .LBB20_800
.LBB20_2849:
	s_movk_i32 s4, 0x80
	v_cmp_eq_u16_sdwa s[12:13], v15, s4 src0_sel:BYTE_0 src1_sel:DWORD
	s_mov_b64 s[4:5], -1
                                        ; implicit-def: $sgpr10
	s_and_saveexec_b64 s[8:9], s[12:13]
; %bb.2850:
	s_mov_b32 s10, 0x7f800001
	s_xor_b64 s[4:5], exec, -1
; %bb.2851:
	s_or_b64 exec, exec, s[8:9]
	s_and_b64 s[4:5], s[4:5], exec
	s_or_saveexec_b64 s[6:7], s[6:7]
	v_mov_b32_e32 v10, s10
	s_xor_b64 exec, exec, s[6:7]
	s_cbranch_execz .LBB20_802
.LBB20_2852:
	v_mov_b32_e32 v10, 0
	v_cmp_ne_u16_sdwa s[8:9], v15, v10 src0_sel:BYTE_0 src1_sel:DWORD
	s_andn2_b64 s[4:5], s[4:5], exec
	s_and_b64 s[8:9], s[8:9], exec
	s_or_b64 s[4:5], s[4:5], s[8:9]
	s_or_b64 exec, exec, s[6:7]
	s_and_saveexec_b64 s[6:7], s[4:5]
	s_cbranch_execnz .LBB20_803
	s_branch .LBB20_804
.LBB20_2853:
	s_movk_i32 s4, 0x80
	v_cmp_eq_u16_sdwa s[12:13], v11, s4 src0_sel:BYTE_0 src1_sel:DWORD
	s_mov_b64 s[4:5], -1
                                        ; implicit-def: $sgpr10
	s_and_saveexec_b64 s[8:9], s[12:13]
; %bb.2854:
	s_mov_b32 s10, 0x7f800001
	s_xor_b64 s[4:5], exec, -1
; %bb.2855:
	s_or_b64 exec, exec, s[8:9]
	s_and_b64 s[4:5], s[4:5], exec
	s_or_saveexec_b64 s[6:7], s[6:7]
	v_mov_b32_e32 v14, s10
	s_xor_b64 exec, exec, s[6:7]
	s_cbranch_execz .LBB20_806
.LBB20_2856:
	v_mov_b32_e32 v14, 0
	v_cmp_ne_u16_sdwa s[8:9], v11, v14 src0_sel:BYTE_0 src1_sel:DWORD
	s_andn2_b64 s[4:5], s[4:5], exec
	s_and_b64 s[8:9], s[8:9], exec
	s_or_b64 s[4:5], s[4:5], s[8:9]
	s_or_b64 exec, exec, s[6:7]
	s_and_saveexec_b64 s[6:7], s[4:5]
	s_cbranch_execnz .LBB20_807
	s_branch .LBB20_808
.LBB20_2857:
	s_movk_i32 s4, 0x80
	v_cmp_eq_u16_sdwa s[12:13], v14, s4 src0_sel:BYTE_0 src1_sel:DWORD
	s_mov_b64 s[4:5], -1
                                        ; implicit-def: $sgpr10
	s_and_saveexec_b64 s[8:9], s[12:13]
; %bb.2858:
	s_mov_b32 s10, 0x7f800001
	s_xor_b64 s[4:5], exec, -1
; %bb.2859:
	s_or_b64 exec, exec, s[8:9]
	s_and_b64 s[4:5], s[4:5], exec
	s_or_saveexec_b64 s[6:7], s[6:7]
	v_mov_b32_e32 v10, s10
	s_xor_b64 exec, exec, s[6:7]
	s_cbranch_execz .LBB20_810
.LBB20_2860:
	v_mov_b32_e32 v10, 0
	v_cmp_ne_u16_sdwa s[8:9], v14, v10 src0_sel:BYTE_0 src1_sel:DWORD
	s_andn2_b64 s[4:5], s[4:5], exec
	s_and_b64 s[8:9], s[8:9], exec
	s_or_b64 s[4:5], s[4:5], s[8:9]
	s_or_b64 exec, exec, s[6:7]
	s_and_saveexec_b64 s[6:7], s[4:5]
	s_cbranch_execnz .LBB20_811
	s_branch .LBB20_812
.LBB20_2861:
	s_movk_i32 s4, 0x80
	v_cmp_eq_u16_sdwa s[12:13], v14, s4 src0_sel:BYTE_0 src1_sel:DWORD
	s_mov_b64 s[4:5], -1
                                        ; implicit-def: $sgpr10
	s_and_saveexec_b64 s[8:9], s[12:13]
; %bb.2862:
	s_mov_b32 s10, 0x7f800001
	s_xor_b64 s[4:5], exec, -1
; %bb.2863:
	s_or_b64 exec, exec, s[8:9]
	s_and_b64 s[4:5], s[4:5], exec
	s_or_saveexec_b64 s[6:7], s[6:7]
	v_mov_b32_e32 v20, s10
	s_xor_b64 exec, exec, s[6:7]
	s_cbranch_execz .LBB20_814
.LBB20_2864:
	v_mov_b32_e32 v20, 0
	v_cmp_ne_u16_sdwa s[8:9], v14, v20 src0_sel:BYTE_0 src1_sel:DWORD
	s_andn2_b64 s[4:5], s[4:5], exec
	s_and_b64 s[8:9], s[8:9], exec
	s_or_b64 s[4:5], s[4:5], s[8:9]
	s_or_b64 exec, exec, s[6:7]
	s_and_saveexec_b64 s[6:7], s[4:5]
	s_cbranch_execnz .LBB20_815
	s_branch .LBB20_816
.LBB20_2865:
	s_movk_i32 s4, 0x80
	v_cmp_eq_u16_e32 vcc, s4, v14
	s_mov_b64 s[4:5], -1
                                        ; implicit-def: $sgpr10
	s_and_saveexec_b64 s[8:9], vcc
; %bb.2866:
	s_mov_b32 s10, 0x7f800001
	s_xor_b64 s[4:5], exec, -1
; %bb.2867:
	s_or_b64 exec, exec, s[8:9]
	s_and_b64 s[4:5], s[4:5], exec
                                        ; implicit-def: $vgpr14
	s_or_saveexec_b64 s[6:7], s[6:7]
	v_mov_b32_e32 v10, s10
	s_xor_b64 exec, exec, s[6:7]
	s_cbranch_execz .LBB20_818
.LBB20_2868:
	v_cmp_ne_u16_e32 vcc, 0, v14
	s_andn2_b64 s[4:5], s[4:5], exec
	s_and_b64 s[8:9], vcc, exec
	v_mov_b32_e32 v10, 0
	s_or_b64 s[4:5], s[4:5], s[8:9]
	s_or_b64 exec, exec, s[6:7]
	s_and_saveexec_b64 s[6:7], s[4:5]
	s_cbranch_execnz .LBB20_819
	s_branch .LBB20_820
.LBB20_2869:
	s_movk_i32 s4, 0x80
	v_cmp_eq_u16_e32 vcc, s4, v14
	s_mov_b64 s[4:5], -1
                                        ; implicit-def: $sgpr10
	s_and_saveexec_b64 s[8:9], vcc
; %bb.2870:
	s_mov_b32 s10, 0x7f800001
	s_xor_b64 s[4:5], exec, -1
; %bb.2871:
	s_or_b64 exec, exec, s[8:9]
	s_and_b64 s[4:5], s[4:5], exec
                                        ; implicit-def: $vgpr14
	s_or_saveexec_b64 s[6:7], s[6:7]
	v_mov_b32_e32 v20, s10
	s_xor_b64 exec, exec, s[6:7]
	s_cbranch_execz .LBB20_822
.LBB20_2872:
	v_cmp_ne_u16_e32 vcc, 0, v14
	s_andn2_b64 s[4:5], s[4:5], exec
	s_and_b64 s[8:9], vcc, exec
	v_mov_b32_e32 v20, 0
	s_or_b64 s[4:5], s[4:5], s[8:9]
	s_or_b64 exec, exec, s[6:7]
	s_and_saveexec_b64 s[6:7], s[4:5]
	s_cbranch_execnz .LBB20_823
	s_branch .LBB20_824
.LBB20_2873:
	s_movk_i32 s4, 0x80
	v_cmp_eq_u16_sdwa s[12:13], v15, s4 src0_sel:BYTE_3 src1_sel:DWORD
	s_mov_b64 s[4:5], -1
                                        ; implicit-def: $sgpr10
	s_and_saveexec_b64 s[8:9], s[12:13]
; %bb.2874:
	s_mov_b32 s10, 0x7f800001
	s_xor_b64 s[4:5], exec, -1
; %bb.2875:
	s_or_b64 exec, exec, s[8:9]
	s_and_b64 s[4:5], s[4:5], exec
	s_or_saveexec_b64 s[6:7], s[6:7]
	v_mov_b32_e32 v10, s10
	s_xor_b64 exec, exec, s[6:7]
	s_cbranch_execz .LBB20_826
.LBB20_2876:
	v_mov_b32_e32 v10, 0
	v_cmp_ne_u16_sdwa s[8:9], v15, v10 src0_sel:BYTE_3 src1_sel:DWORD
	s_andn2_b64 s[4:5], s[4:5], exec
	s_and_b64 s[8:9], s[8:9], exec
	s_or_b64 s[4:5], s[4:5], s[8:9]
	s_or_b64 exec, exec, s[6:7]
	s_and_saveexec_b64 s[6:7], s[4:5]
	s_cbranch_execnz .LBB20_827
	s_branch .LBB20_828
.LBB20_2877:
	s_movk_i32 s4, 0x80
	v_cmp_eq_u16_sdwa s[12:13], v11, s4 src0_sel:BYTE_3 src1_sel:DWORD
	s_mov_b64 s[4:5], -1
                                        ; implicit-def: $sgpr10
	s_and_saveexec_b64 s[8:9], s[12:13]
; %bb.2878:
	s_mov_b32 s10, 0x7f800001
	s_xor_b64 s[4:5], exec, -1
; %bb.2879:
	s_or_b64 exec, exec, s[8:9]
	s_and_b64 s[4:5], s[4:5], exec
	s_or_saveexec_b64 s[6:7], s[6:7]
	v_mov_b32_e32 v14, s10
	s_xor_b64 exec, exec, s[6:7]
	s_cbranch_execz .LBB20_830
.LBB20_2880:
	v_mov_b32_e32 v14, 0
	v_cmp_ne_u16_sdwa s[8:9], v11, v14 src0_sel:BYTE_3 src1_sel:DWORD
	s_andn2_b64 s[4:5], s[4:5], exec
	s_and_b64 s[8:9], s[8:9], exec
	s_or_b64 s[4:5], s[4:5], s[8:9]
	s_or_b64 exec, exec, s[6:7]
	s_and_saveexec_b64 s[6:7], s[4:5]
	s_cbranch_execnz .LBB20_831
	s_branch .LBB20_832
.LBB20_2881:
	s_movk_i32 s4, 0x80
	v_cmp_eq_u16_sdwa s[12:13], v16, s4 src0_sel:BYTE_0 src1_sel:DWORD
	s_mov_b64 s[4:5], -1
                                        ; implicit-def: $sgpr10
	s_and_saveexec_b64 s[8:9], s[12:13]
; %bb.2882:
	s_mov_b32 s10, 0x7f800001
	s_xor_b64 s[4:5], exec, -1
; %bb.2883:
	s_or_b64 exec, exec, s[8:9]
	s_and_b64 s[4:5], s[4:5], exec
	s_or_saveexec_b64 s[6:7], s[6:7]
	v_mov_b32_e32 v10, s10
	s_xor_b64 exec, exec, s[6:7]
	s_cbranch_execz .LBB20_834
.LBB20_2884:
	v_mov_b32_e32 v10, 0
	v_cmp_ne_u16_sdwa s[8:9], v16, v10 src0_sel:BYTE_0 src1_sel:DWORD
	s_andn2_b64 s[4:5], s[4:5], exec
	s_and_b64 s[8:9], s[8:9], exec
	s_or_b64 s[4:5], s[4:5], s[8:9]
	s_or_b64 exec, exec, s[6:7]
	s_and_saveexec_b64 s[6:7], s[4:5]
	s_cbranch_execnz .LBB20_835
	s_branch .LBB20_836
.LBB20_2885:
	s_movk_i32 s4, 0x80
	v_cmp_eq_u16_sdwa s[12:13], v12, s4 src0_sel:BYTE_0 src1_sel:DWORD
	s_mov_b64 s[4:5], -1
                                        ; implicit-def: $sgpr10
	s_and_saveexec_b64 s[8:9], s[12:13]
; %bb.2886:
	s_mov_b32 s10, 0x7f800001
	s_xor_b64 s[4:5], exec, -1
; %bb.2887:
	s_or_b64 exec, exec, s[8:9]
	s_and_b64 s[4:5], s[4:5], exec
	s_or_saveexec_b64 s[6:7], s[6:7]
	v_mov_b32_e32 v11, s10
	s_xor_b64 exec, exec, s[6:7]
	s_cbranch_execz .LBB20_838
.LBB20_2888:
	v_mov_b32_e32 v11, 0
	v_cmp_ne_u16_sdwa s[8:9], v12, v11 src0_sel:BYTE_0 src1_sel:DWORD
	s_andn2_b64 s[4:5], s[4:5], exec
	s_and_b64 s[8:9], s[8:9], exec
	s_or_b64 s[4:5], s[4:5], s[8:9]
	s_or_b64 exec, exec, s[6:7]
	s_and_saveexec_b64 s[6:7], s[4:5]
	s_cbranch_execnz .LBB20_839
	s_branch .LBB20_840
.LBB20_2889:
	s_movk_i32 s4, 0x80
	v_cmp_eq_u16_sdwa s[12:13], v11, s4 src0_sel:BYTE_0 src1_sel:DWORD
	s_mov_b64 s[4:5], -1
                                        ; implicit-def: $sgpr10
	s_and_saveexec_b64 s[8:9], s[12:13]
; %bb.2890:
	s_mov_b32 s10, 0x7f800001
	s_xor_b64 s[4:5], exec, -1
; %bb.2891:
	s_or_b64 exec, exec, s[8:9]
	s_and_b64 s[4:5], s[4:5], exec
	s_or_saveexec_b64 s[6:7], s[6:7]
	v_mov_b32_e32 v10, s10
	s_xor_b64 exec, exec, s[6:7]
	s_cbranch_execz .LBB20_842
.LBB20_2892:
	v_mov_b32_e32 v10, 0
	v_cmp_ne_u16_sdwa s[8:9], v11, v10 src0_sel:BYTE_0 src1_sel:DWORD
	s_andn2_b64 s[4:5], s[4:5], exec
	s_and_b64 s[8:9], s[8:9], exec
	s_or_b64 s[4:5], s[4:5], s[8:9]
	s_or_b64 exec, exec, s[6:7]
	s_and_saveexec_b64 s[6:7], s[4:5]
	s_cbranch_execnz .LBB20_843
	s_branch .LBB20_844
.LBB20_2893:
	s_movk_i32 s4, 0x80
	v_cmp_eq_u16_sdwa s[12:13], v11, s4 src0_sel:BYTE_0 src1_sel:DWORD
	s_mov_b64 s[4:5], -1
                                        ; implicit-def: $sgpr10
	s_and_saveexec_b64 s[8:9], s[12:13]
; %bb.2894:
	s_mov_b32 s10, 0x7f800001
	s_xor_b64 s[4:5], exec, -1
; %bb.2895:
	s_or_b64 exec, exec, s[8:9]
	s_and_b64 s[4:5], s[4:5], exec
	s_or_saveexec_b64 s[6:7], s[6:7]
	v_mov_b32_e32 v14, s10
	s_xor_b64 exec, exec, s[6:7]
	s_cbranch_execz .LBB20_846
.LBB20_2896:
	v_mov_b32_e32 v14, 0
	v_cmp_ne_u16_sdwa s[8:9], v11, v14 src0_sel:BYTE_0 src1_sel:DWORD
	s_andn2_b64 s[4:5], s[4:5], exec
	s_and_b64 s[8:9], s[8:9], exec
	s_or_b64 s[4:5], s[4:5], s[8:9]
	s_or_b64 exec, exec, s[6:7]
	s_and_saveexec_b64 s[6:7], s[4:5]
	s_cbranch_execnz .LBB20_847
	s_branch .LBB20_848
.LBB20_2897:
	s_movk_i32 s4, 0x80
	v_cmp_eq_u16_e32 vcc, s4, v11
	s_mov_b64 s[4:5], -1
                                        ; implicit-def: $sgpr10
	s_and_saveexec_b64 s[8:9], vcc
; %bb.2898:
	s_mov_b32 s10, 0x7f800001
	s_xor_b64 s[4:5], exec, -1
; %bb.2899:
	s_or_b64 exec, exec, s[8:9]
	s_and_b64 s[4:5], s[4:5], exec
                                        ; implicit-def: $vgpr11
	s_or_saveexec_b64 s[6:7], s[6:7]
	v_mov_b32_e32 v10, s10
	s_xor_b64 exec, exec, s[6:7]
	s_cbranch_execz .LBB20_850
.LBB20_2900:
	v_cmp_ne_u16_e32 vcc, 0, v11
	s_andn2_b64 s[4:5], s[4:5], exec
	s_and_b64 s[8:9], vcc, exec
	v_mov_b32_e32 v10, 0
	s_or_b64 s[4:5], s[4:5], s[8:9]
	s_or_b64 exec, exec, s[6:7]
	s_and_saveexec_b64 s[6:7], s[4:5]
	s_cbranch_execnz .LBB20_851
	s_branch .LBB20_852
.LBB20_2901:
	s_movk_i32 s4, 0x80
	v_cmp_eq_u16_e32 vcc, s4, v11
	s_mov_b64 s[4:5], -1
                                        ; implicit-def: $sgpr10
	s_and_saveexec_b64 s[8:9], vcc
; %bb.2902:
	s_mov_b32 s10, 0x7f800001
	s_xor_b64 s[4:5], exec, -1
; %bb.2903:
	s_or_b64 exec, exec, s[8:9]
	s_and_b64 s[4:5], s[4:5], exec
                                        ; implicit-def: $vgpr11
	s_or_saveexec_b64 s[6:7], s[6:7]
	v_mov_b32_e32 v14, s10
	s_xor_b64 exec, exec, s[6:7]
	s_cbranch_execz .LBB20_854
.LBB20_2904:
	v_cmp_ne_u16_e32 vcc, 0, v11
	s_andn2_b64 s[4:5], s[4:5], exec
	s_and_b64 s[8:9], vcc, exec
	v_mov_b32_e32 v14, 0
	s_or_b64 s[4:5], s[4:5], s[8:9]
	s_or_b64 exec, exec, s[6:7]
	s_and_saveexec_b64 s[6:7], s[4:5]
	s_cbranch_execnz .LBB20_855
	s_branch .LBB20_856
.LBB20_2905:
	s_movk_i32 s4, 0x80
	v_cmp_eq_u16_sdwa s[12:13], v16, s4 src0_sel:BYTE_3 src1_sel:DWORD
	s_mov_b64 s[4:5], -1
                                        ; implicit-def: $sgpr10
	s_and_saveexec_b64 s[8:9], s[12:13]
; %bb.2906:
	s_mov_b32 s10, 0x7f800001
	s_xor_b64 s[4:5], exec, -1
; %bb.2907:
	s_or_b64 exec, exec, s[8:9]
	s_and_b64 s[4:5], s[4:5], exec
	s_or_saveexec_b64 s[6:7], s[6:7]
	v_mov_b32_e32 v10, s10
	s_xor_b64 exec, exec, s[6:7]
	s_cbranch_execz .LBB20_858
.LBB20_2908:
	v_mov_b32_e32 v10, 0
	v_cmp_ne_u16_sdwa s[8:9], v16, v10 src0_sel:BYTE_3 src1_sel:DWORD
	s_andn2_b64 s[4:5], s[4:5], exec
	s_and_b64 s[8:9], s[8:9], exec
	s_or_b64 s[4:5], s[4:5], s[8:9]
	s_or_b64 exec, exec, s[6:7]
	s_and_saveexec_b64 s[6:7], s[4:5]
	s_cbranch_execnz .LBB20_859
	s_branch .LBB20_860
.LBB20_2909:
	s_movk_i32 s4, 0x80
	v_cmp_eq_u16_sdwa s[12:13], v12, s4 src0_sel:BYTE_3 src1_sel:DWORD
	s_mov_b64 s[4:5], -1
                                        ; implicit-def: $sgpr10
	s_and_saveexec_b64 s[8:9], s[12:13]
; %bb.2910:
	s_mov_b32 s10, 0x7f800001
	s_xor_b64 s[4:5], exec, -1
; %bb.2911:
	s_or_b64 exec, exec, s[8:9]
	s_and_b64 s[4:5], s[4:5], exec
	s_or_saveexec_b64 s[6:7], s[6:7]
	v_mov_b32_e32 v11, s10
	s_xor_b64 exec, exec, s[6:7]
	s_cbranch_execz .LBB20_862
.LBB20_2912:
	v_mov_b32_e32 v11, 0
	v_cmp_ne_u16_sdwa s[8:9], v12, v11 src0_sel:BYTE_3 src1_sel:DWORD
	s_andn2_b64 s[4:5], s[4:5], exec
	s_and_b64 s[8:9], s[8:9], exec
	s_or_b64 s[4:5], s[4:5], s[8:9]
	s_or_b64 exec, exec, s[6:7]
	s_and_saveexec_b64 s[6:7], s[4:5]
	s_cbranch_execnz .LBB20_863
	s_branch .LBB20_864
.LBB20_2913:
	s_movk_i32 s4, 0x80
	v_cmp_eq_u16_sdwa s[12:13], v17, s4 src0_sel:BYTE_0 src1_sel:DWORD
	s_mov_b64 s[4:5], -1
                                        ; implicit-def: $sgpr10
	s_and_saveexec_b64 s[8:9], s[12:13]
; %bb.2914:
	s_mov_b32 s10, 0x7f800001
	s_xor_b64 s[4:5], exec, -1
; %bb.2915:
	s_or_b64 exec, exec, s[8:9]
	s_and_b64 s[4:5], s[4:5], exec
	s_or_saveexec_b64 s[6:7], s[6:7]
	v_mov_b32_e32 v10, s10
	s_xor_b64 exec, exec, s[6:7]
	s_cbranch_execz .LBB20_866
.LBB20_2916:
	v_mov_b32_e32 v10, 0
	v_cmp_ne_u16_sdwa s[8:9], v17, v10 src0_sel:BYTE_0 src1_sel:DWORD
	s_andn2_b64 s[4:5], s[4:5], exec
	s_and_b64 s[8:9], s[8:9], exec
	s_or_b64 s[4:5], s[4:5], s[8:9]
	s_or_b64 exec, exec, s[6:7]
	s_and_saveexec_b64 s[6:7], s[4:5]
	s_cbranch_execnz .LBB20_867
	s_branch .LBB20_868
.LBB20_2917:
	s_movk_i32 s4, 0x80
	v_cmp_eq_u16_sdwa s[12:13], v13, s4 src0_sel:BYTE_0 src1_sel:DWORD
	s_mov_b64 s[4:5], -1
                                        ; implicit-def: $sgpr10
	s_and_saveexec_b64 s[8:9], s[12:13]
; %bb.2918:
	s_mov_b32 s10, 0x7f800001
	s_xor_b64 s[4:5], exec, -1
; %bb.2919:
	s_or_b64 exec, exec, s[8:9]
	s_and_b64 s[4:5], s[4:5], exec
	s_or_saveexec_b64 s[6:7], s[6:7]
	v_mov_b32_e32 v11, s10
	s_xor_b64 exec, exec, s[6:7]
	s_cbranch_execz .LBB20_870
.LBB20_2920:
	v_mov_b32_e32 v11, 0
	v_cmp_ne_u16_sdwa s[8:9], v13, v11 src0_sel:BYTE_0 src1_sel:DWORD
	s_andn2_b64 s[4:5], s[4:5], exec
	s_and_b64 s[8:9], s[8:9], exec
	s_or_b64 s[4:5], s[4:5], s[8:9]
	s_or_b64 exec, exec, s[6:7]
	s_and_saveexec_b64 s[6:7], s[4:5]
	s_cbranch_execnz .LBB20_871
	s_branch .LBB20_872
.LBB20_2921:
	s_movk_i32 s4, 0x80
	v_cmp_eq_u16_sdwa s[12:13], v11, s4 src0_sel:BYTE_0 src1_sel:DWORD
	s_mov_b64 s[4:5], -1
                                        ; implicit-def: $sgpr10
	s_and_saveexec_b64 s[8:9], s[12:13]
; %bb.2922:
	s_mov_b32 s10, 0x7f800001
	s_xor_b64 s[4:5], exec, -1
; %bb.2923:
	s_or_b64 exec, exec, s[8:9]
	s_and_b64 s[4:5], s[4:5], exec
	s_or_saveexec_b64 s[6:7], s[6:7]
	v_mov_b32_e32 v10, s10
	s_xor_b64 exec, exec, s[6:7]
	s_cbranch_execz .LBB20_874
.LBB20_2924:
	v_mov_b32_e32 v10, 0
	v_cmp_ne_u16_sdwa s[8:9], v11, v10 src0_sel:BYTE_0 src1_sel:DWORD
	s_andn2_b64 s[4:5], s[4:5], exec
	s_and_b64 s[8:9], s[8:9], exec
	s_or_b64 s[4:5], s[4:5], s[8:9]
	s_or_b64 exec, exec, s[6:7]
	s_and_saveexec_b64 s[6:7], s[4:5]
	s_cbranch_execnz .LBB20_875
	s_branch .LBB20_876
.LBB20_2925:
	s_movk_i32 s4, 0x80
	v_cmp_eq_u16_sdwa s[12:13], v11, s4 src0_sel:BYTE_0 src1_sel:DWORD
	s_mov_b64 s[4:5], -1
                                        ; implicit-def: $sgpr10
	s_and_saveexec_b64 s[8:9], s[12:13]
; %bb.2926:
	s_mov_b32 s10, 0x7f800001
	s_xor_b64 s[4:5], exec, -1
; %bb.2927:
	s_or_b64 exec, exec, s[8:9]
	s_and_b64 s[4:5], s[4:5], exec
	s_or_saveexec_b64 s[6:7], s[6:7]
	v_mov_b32_e32 v12, s10
	s_xor_b64 exec, exec, s[6:7]
	s_cbranch_execz .LBB20_878
.LBB20_2928:
	v_mov_b32_e32 v12, 0
	v_cmp_ne_u16_sdwa s[8:9], v11, v12 src0_sel:BYTE_0 src1_sel:DWORD
	s_andn2_b64 s[4:5], s[4:5], exec
	s_and_b64 s[8:9], s[8:9], exec
	s_or_b64 s[4:5], s[4:5], s[8:9]
	s_or_b64 exec, exec, s[6:7]
	s_and_saveexec_b64 s[6:7], s[4:5]
	s_cbranch_execnz .LBB20_879
	s_branch .LBB20_880
.LBB20_2929:
	s_movk_i32 s4, 0x80
	v_cmp_eq_u16_e32 vcc, s4, v11
	s_mov_b64 s[4:5], -1
                                        ; implicit-def: $sgpr10
	s_and_saveexec_b64 s[8:9], vcc
; %bb.2930:
	s_mov_b32 s10, 0x7f800001
	s_xor_b64 s[4:5], exec, -1
; %bb.2931:
	s_or_b64 exec, exec, s[8:9]
	s_and_b64 s[4:5], s[4:5], exec
                                        ; implicit-def: $vgpr11
	s_or_saveexec_b64 s[6:7], s[6:7]
	v_mov_b32_e32 v10, s10
	s_xor_b64 exec, exec, s[6:7]
	s_cbranch_execz .LBB20_882
.LBB20_2932:
	v_cmp_ne_u16_e32 vcc, 0, v11
	s_andn2_b64 s[4:5], s[4:5], exec
	s_and_b64 s[8:9], vcc, exec
	v_mov_b32_e32 v10, 0
	s_or_b64 s[4:5], s[4:5], s[8:9]
	s_or_b64 exec, exec, s[6:7]
	s_and_saveexec_b64 s[6:7], s[4:5]
	s_cbranch_execnz .LBB20_883
	s_branch .LBB20_884
.LBB20_2933:
	s_movk_i32 s4, 0x80
	v_cmp_eq_u16_e32 vcc, s4, v11
	s_mov_b64 s[4:5], -1
                                        ; implicit-def: $sgpr10
	s_and_saveexec_b64 s[8:9], vcc
; %bb.2934:
	s_mov_b32 s10, 0x7f800001
	s_xor_b64 s[4:5], exec, -1
; %bb.2935:
	s_or_b64 exec, exec, s[8:9]
	s_and_b64 s[4:5], s[4:5], exec
                                        ; implicit-def: $vgpr11
	s_or_saveexec_b64 s[6:7], s[6:7]
	v_mov_b32_e32 v12, s10
	s_xor_b64 exec, exec, s[6:7]
	s_cbranch_execz .LBB20_886
.LBB20_2936:
	v_cmp_ne_u16_e32 vcc, 0, v11
	s_andn2_b64 s[4:5], s[4:5], exec
	s_and_b64 s[8:9], vcc, exec
	v_mov_b32_e32 v12, 0
	s_or_b64 s[4:5], s[4:5], s[8:9]
	s_or_b64 exec, exec, s[6:7]
	s_and_saveexec_b64 s[6:7], s[4:5]
	s_cbranch_execnz .LBB20_887
	s_branch .LBB20_888
.LBB20_2937:
	s_movk_i32 s4, 0x80
	v_cmp_eq_u16_sdwa s[12:13], v17, s4 src0_sel:BYTE_3 src1_sel:DWORD
	s_mov_b64 s[4:5], -1
                                        ; implicit-def: $sgpr10
	s_and_saveexec_b64 s[8:9], s[12:13]
; %bb.2938:
	s_mov_b32 s10, 0x7f800001
	s_xor_b64 s[4:5], exec, -1
; %bb.2939:
	s_or_b64 exec, exec, s[8:9]
	s_and_b64 s[4:5], s[4:5], exec
	s_or_saveexec_b64 s[6:7], s[6:7]
	v_mov_b32_e32 v10, s10
	s_xor_b64 exec, exec, s[6:7]
	s_cbranch_execz .LBB20_890
.LBB20_2940:
	v_mov_b32_e32 v10, 0
	v_cmp_ne_u16_sdwa s[8:9], v17, v10 src0_sel:BYTE_3 src1_sel:DWORD
	s_andn2_b64 s[4:5], s[4:5], exec
	s_and_b64 s[8:9], s[8:9], exec
	s_or_b64 s[4:5], s[4:5], s[8:9]
	s_or_b64 exec, exec, s[6:7]
	s_and_saveexec_b64 s[6:7], s[4:5]
	s_cbranch_execnz .LBB20_891
	s_branch .LBB20_892
.LBB20_2941:
	s_movk_i32 s4, 0x80
	v_cmp_eq_u16_sdwa s[12:13], v13, s4 src0_sel:BYTE_3 src1_sel:DWORD
	s_mov_b64 s[4:5], -1
                                        ; implicit-def: $sgpr10
	s_and_saveexec_b64 s[8:9], s[12:13]
; %bb.2942:
	s_mov_b32 s10, 0x7f800001
	s_xor_b64 s[4:5], exec, -1
; %bb.2943:
	s_or_b64 exec, exec, s[8:9]
	s_and_b64 s[4:5], s[4:5], exec
	s_or_saveexec_b64 s[6:7], s[6:7]
	v_mov_b32_e32 v11, s10
	s_xor_b64 exec, exec, s[6:7]
	s_cbranch_execz .LBB20_894
.LBB20_2944:
	v_mov_b32_e32 v11, 0
	v_cmp_ne_u16_sdwa s[8:9], v13, v11 src0_sel:BYTE_3 src1_sel:DWORD
	s_andn2_b64 s[4:5], s[4:5], exec
	s_and_b64 s[8:9], s[8:9], exec
	s_or_b64 s[4:5], s[4:5], s[8:9]
	s_or_b64 exec, exec, s[6:7]
	s_and_saveexec_b64 s[6:7], s[4:5]
	s_cbranch_execnz .LBB20_895
	s_branch .LBB20_896
.LBB20_2945:
	s_movk_i32 s4, 0x80
	v_cmp_eq_u16_sdwa s[12:13], v6, s4 src0_sel:BYTE_0 src1_sel:DWORD
	s_mov_b64 s[4:5], -1
                                        ; implicit-def: $sgpr10
	s_and_saveexec_b64 s[8:9], s[12:13]
; %bb.2946:
	s_mov_b32 s10, 0x7f800001
	s_xor_b64 s[4:5], exec, -1
; %bb.2947:
	s_or_b64 exec, exec, s[8:9]
	s_and_b64 s[4:5], s[4:5], exec
	s_or_saveexec_b64 s[6:7], s[6:7]
	v_mov_b32_e32 v10, s10
	s_xor_b64 exec, exec, s[6:7]
	s_cbranch_execz .LBB20_898
.LBB20_2948:
	v_mov_b32_e32 v10, 0
	v_cmp_ne_u16_sdwa s[8:9], v6, v10 src0_sel:BYTE_0 src1_sel:DWORD
	s_andn2_b64 s[4:5], s[4:5], exec
	s_and_b64 s[8:9], s[8:9], exec
	s_or_b64 s[4:5], s[4:5], s[8:9]
	s_or_b64 exec, exec, s[6:7]
	s_and_saveexec_b64 s[6:7], s[4:5]
	s_cbranch_execnz .LBB20_899
	s_branch .LBB20_900
.LBB20_2949:
	s_movk_i32 s4, 0x80
	v_cmp_eq_u16_sdwa s[12:13], v2, s4 src0_sel:BYTE_0 src1_sel:DWORD
	s_mov_b64 s[4:5], -1
                                        ; implicit-def: $sgpr10
	s_and_saveexec_b64 s[8:9], s[12:13]
; %bb.2950:
	s_mov_b32 s10, 0x7f800001
	s_xor_b64 s[4:5], exec, -1
; %bb.2951:
	s_or_b64 exec, exec, s[8:9]
	s_and_b64 s[4:5], s[4:5], exec
	s_or_saveexec_b64 s[6:7], s[6:7]
	v_mov_b32_e32 v11, s10
	s_xor_b64 exec, exec, s[6:7]
	s_cbranch_execz .LBB20_902
.LBB20_2952:
	v_mov_b32_e32 v11, 0
	v_cmp_ne_u16_sdwa s[8:9], v2, v11 src0_sel:BYTE_0 src1_sel:DWORD
	s_andn2_b64 s[4:5], s[4:5], exec
	s_and_b64 s[8:9], s[8:9], exec
	s_or_b64 s[4:5], s[4:5], s[8:9]
	s_or_b64 exec, exec, s[6:7]
	s_and_saveexec_b64 s[6:7], s[4:5]
	s_cbranch_execnz .LBB20_903
	s_branch .LBB20_904
.LBB20_2953:
	s_movk_i32 s4, 0x80
	v_cmp_eq_u16_sdwa s[12:13], v11, s4 src0_sel:BYTE_0 src1_sel:DWORD
	s_mov_b64 s[4:5], -1
                                        ; implicit-def: $sgpr10
	s_and_saveexec_b64 s[8:9], s[12:13]
; %bb.2954:
	s_mov_b32 s10, 0x7f800001
	s_xor_b64 s[4:5], exec, -1
; %bb.2955:
	s_or_b64 exec, exec, s[8:9]
	s_and_b64 s[4:5], s[4:5], exec
	s_or_saveexec_b64 s[6:7], s[6:7]
	v_mov_b32_e32 v10, s10
	s_xor_b64 exec, exec, s[6:7]
	s_cbranch_execz .LBB20_906
.LBB20_2956:
	v_mov_b32_e32 v10, 0
	v_cmp_ne_u16_sdwa s[8:9], v11, v10 src0_sel:BYTE_0 src1_sel:DWORD
	s_andn2_b64 s[4:5], s[4:5], exec
	s_and_b64 s[8:9], s[8:9], exec
	s_or_b64 s[4:5], s[4:5], s[8:9]
	s_or_b64 exec, exec, s[6:7]
	s_and_saveexec_b64 s[6:7], s[4:5]
	s_cbranch_execnz .LBB20_907
	s_branch .LBB20_908
.LBB20_2957:
	s_movk_i32 s4, 0x80
	v_cmp_eq_u16_sdwa s[12:13], v11, s4 src0_sel:BYTE_0 src1_sel:DWORD
	s_mov_b64 s[4:5], -1
                                        ; implicit-def: $sgpr10
	s_and_saveexec_b64 s[8:9], s[12:13]
; %bb.2958:
	s_mov_b32 s10, 0x7f800001
	s_xor_b64 s[4:5], exec, -1
; %bb.2959:
	s_or_b64 exec, exec, s[8:9]
	s_and_b64 s[4:5], s[4:5], exec
	s_or_saveexec_b64 s[6:7], s[6:7]
	v_mov_b32_e32 v12, s10
	s_xor_b64 exec, exec, s[6:7]
	s_cbranch_execz .LBB20_910
.LBB20_2960:
	v_mov_b32_e32 v12, 0
	v_cmp_ne_u16_sdwa s[8:9], v11, v12 src0_sel:BYTE_0 src1_sel:DWORD
	s_andn2_b64 s[4:5], s[4:5], exec
	s_and_b64 s[8:9], s[8:9], exec
	s_or_b64 s[4:5], s[4:5], s[8:9]
	s_or_b64 exec, exec, s[6:7]
	s_and_saveexec_b64 s[6:7], s[4:5]
	s_cbranch_execnz .LBB20_911
	s_branch .LBB20_912
.LBB20_2961:
	s_movk_i32 s4, 0x80
	v_cmp_eq_u16_e32 vcc, s4, v11
	s_mov_b64 s[4:5], -1
                                        ; implicit-def: $sgpr10
	s_and_saveexec_b64 s[8:9], vcc
; %bb.2962:
	s_mov_b32 s10, 0x7f800001
	s_xor_b64 s[4:5], exec, -1
; %bb.2963:
	s_or_b64 exec, exec, s[8:9]
	s_and_b64 s[4:5], s[4:5], exec
                                        ; implicit-def: $vgpr11
	s_or_saveexec_b64 s[6:7], s[6:7]
	v_mov_b32_e32 v10, s10
	s_xor_b64 exec, exec, s[6:7]
	s_cbranch_execz .LBB20_914
.LBB20_2964:
	v_cmp_ne_u16_e32 vcc, 0, v11
	s_andn2_b64 s[4:5], s[4:5], exec
	s_and_b64 s[8:9], vcc, exec
	v_mov_b32_e32 v10, 0
	s_or_b64 s[4:5], s[4:5], s[8:9]
	s_or_b64 exec, exec, s[6:7]
	s_and_saveexec_b64 s[6:7], s[4:5]
	s_cbranch_execnz .LBB20_915
	s_branch .LBB20_916
.LBB20_2965:
	s_movk_i32 s4, 0x80
	v_cmp_eq_u16_e32 vcc, s4, v11
	s_mov_b64 s[4:5], -1
                                        ; implicit-def: $sgpr10
	s_and_saveexec_b64 s[8:9], vcc
; %bb.2966:
	s_mov_b32 s10, 0x7f800001
	s_xor_b64 s[4:5], exec, -1
; %bb.2967:
	s_or_b64 exec, exec, s[8:9]
	s_and_b64 s[4:5], s[4:5], exec
                                        ; implicit-def: $vgpr11
	s_or_saveexec_b64 s[6:7], s[6:7]
	v_mov_b32_e32 v12, s10
	s_xor_b64 exec, exec, s[6:7]
	s_cbranch_execz .LBB20_918
.LBB20_2968:
	v_cmp_ne_u16_e32 vcc, 0, v11
	s_andn2_b64 s[4:5], s[4:5], exec
	s_and_b64 s[8:9], vcc, exec
	v_mov_b32_e32 v12, 0
	s_or_b64 s[4:5], s[4:5], s[8:9]
	s_or_b64 exec, exec, s[6:7]
	s_and_saveexec_b64 s[6:7], s[4:5]
	s_cbranch_execnz .LBB20_919
	s_branch .LBB20_920
.LBB20_2969:
	s_movk_i32 s4, 0x80
	v_cmp_eq_u16_sdwa s[12:13], v6, s4 src0_sel:BYTE_3 src1_sel:DWORD
	s_mov_b64 s[4:5], -1
                                        ; implicit-def: $sgpr10
	s_and_saveexec_b64 s[8:9], s[12:13]
; %bb.2970:
	s_mov_b32 s10, 0x7f800001
	s_xor_b64 s[4:5], exec, -1
; %bb.2971:
	s_or_b64 exec, exec, s[8:9]
	s_and_b64 s[4:5], s[4:5], exec
	s_or_saveexec_b64 s[6:7], s[6:7]
	v_mov_b32_e32 v10, s10
	s_xor_b64 exec, exec, s[6:7]
	s_cbranch_execz .LBB20_922
.LBB20_2972:
	v_mov_b32_e32 v10, 0
	v_cmp_ne_u16_sdwa s[8:9], v6, v10 src0_sel:BYTE_3 src1_sel:DWORD
	s_andn2_b64 s[4:5], s[4:5], exec
	s_and_b64 s[8:9], s[8:9], exec
	s_or_b64 s[4:5], s[4:5], s[8:9]
	s_or_b64 exec, exec, s[6:7]
	s_and_saveexec_b64 s[6:7], s[4:5]
	s_cbranch_execnz .LBB20_923
	s_branch .LBB20_924
.LBB20_2973:
	s_movk_i32 s4, 0x80
	v_cmp_eq_u16_sdwa s[12:13], v2, s4 src0_sel:BYTE_3 src1_sel:DWORD
	s_mov_b64 s[4:5], -1
                                        ; implicit-def: $sgpr10
	s_and_saveexec_b64 s[8:9], s[12:13]
; %bb.2974:
	s_mov_b32 s10, 0x7f800001
	s_xor_b64 s[4:5], exec, -1
; %bb.2975:
	s_or_b64 exec, exec, s[8:9]
	s_and_b64 s[4:5], s[4:5], exec
	s_or_saveexec_b64 s[6:7], s[6:7]
	v_mov_b32_e32 v6, s10
	s_xor_b64 exec, exec, s[6:7]
	s_cbranch_execz .LBB20_926
.LBB20_2976:
	v_mov_b32_e32 v6, 0
	v_cmp_ne_u16_sdwa s[8:9], v2, v6 src0_sel:BYTE_3 src1_sel:DWORD
	s_andn2_b64 s[4:5], s[4:5], exec
	s_and_b64 s[8:9], s[8:9], exec
	s_or_b64 s[4:5], s[4:5], s[8:9]
	s_or_b64 exec, exec, s[6:7]
	s_and_saveexec_b64 s[6:7], s[4:5]
	s_cbranch_execnz .LBB20_927
	s_branch .LBB20_928
.LBB20_2977:
	s_movk_i32 s4, 0x80
	v_cmp_eq_u16_sdwa s[12:13], v7, s4 src0_sel:BYTE_0 src1_sel:DWORD
	s_mov_b64 s[4:5], -1
                                        ; implicit-def: $sgpr10
	s_and_saveexec_b64 s[8:9], s[12:13]
; %bb.2978:
	s_mov_b32 s10, 0x7f800001
	s_xor_b64 s[4:5], exec, -1
; %bb.2979:
	s_or_b64 exec, exec, s[8:9]
	s_and_b64 s[4:5], s[4:5], exec
	s_or_saveexec_b64 s[6:7], s[6:7]
	v_mov_b32_e32 v2, s10
	s_xor_b64 exec, exec, s[6:7]
	s_cbranch_execz .LBB20_930
.LBB20_2980:
	v_mov_b32_e32 v2, 0
	v_cmp_ne_u16_sdwa s[8:9], v7, v2 src0_sel:BYTE_0 src1_sel:DWORD
	s_andn2_b64 s[4:5], s[4:5], exec
	s_and_b64 s[8:9], s[8:9], exec
	s_or_b64 s[4:5], s[4:5], s[8:9]
	s_or_b64 exec, exec, s[6:7]
	s_and_saveexec_b64 s[6:7], s[4:5]
	s_cbranch_execnz .LBB20_931
	s_branch .LBB20_932
.LBB20_2981:
	s_movk_i32 s4, 0x80
	v_cmp_eq_u16_sdwa s[12:13], v3, s4 src0_sel:BYTE_0 src1_sel:DWORD
	s_mov_b64 s[4:5], -1
                                        ; implicit-def: $sgpr10
	s_and_saveexec_b64 s[8:9], s[12:13]
; %bb.2982:
	s_mov_b32 s10, 0x7f800001
	s_xor_b64 s[4:5], exec, -1
; %bb.2983:
	s_or_b64 exec, exec, s[8:9]
	s_and_b64 s[4:5], s[4:5], exec
	s_or_saveexec_b64 s[6:7], s[6:7]
	v_mov_b32_e32 v6, s10
	s_xor_b64 exec, exec, s[6:7]
	s_cbranch_execz .LBB20_934
.LBB20_2984:
	v_mov_b32_e32 v6, 0
	v_cmp_ne_u16_sdwa s[8:9], v3, v6 src0_sel:BYTE_0 src1_sel:DWORD
	s_andn2_b64 s[4:5], s[4:5], exec
	s_and_b64 s[8:9], s[8:9], exec
	s_or_b64 s[4:5], s[4:5], s[8:9]
	s_or_b64 exec, exec, s[6:7]
	s_and_saveexec_b64 s[6:7], s[4:5]
	s_cbranch_execnz .LBB20_935
	s_branch .LBB20_936
.LBB20_2985:
	s_movk_i32 s4, 0x80
	v_cmp_eq_u16_sdwa s[12:13], v6, s4 src0_sel:BYTE_0 src1_sel:DWORD
	s_mov_b64 s[4:5], -1
                                        ; implicit-def: $sgpr10
	s_and_saveexec_b64 s[8:9], s[12:13]
; %bb.2986:
	s_mov_b32 s10, 0x7f800001
	s_xor_b64 s[4:5], exec, -1
; %bb.2987:
	s_or_b64 exec, exec, s[8:9]
	s_and_b64 s[4:5], s[4:5], exec
	s_or_saveexec_b64 s[6:7], s[6:7]
	v_mov_b32_e32 v2, s10
	s_xor_b64 exec, exec, s[6:7]
	s_cbranch_execz .LBB20_938
.LBB20_2988:
	v_mov_b32_e32 v2, 0
	v_cmp_ne_u16_sdwa s[8:9], v6, v2 src0_sel:BYTE_0 src1_sel:DWORD
	s_andn2_b64 s[4:5], s[4:5], exec
	s_and_b64 s[8:9], s[8:9], exec
	s_or_b64 s[4:5], s[4:5], s[8:9]
	s_or_b64 exec, exec, s[6:7]
	s_and_saveexec_b64 s[6:7], s[4:5]
	s_cbranch_execnz .LBB20_939
	s_branch .LBB20_940
.LBB20_2989:
	s_movk_i32 s4, 0x80
	v_cmp_eq_u16_sdwa s[12:13], v6, s4 src0_sel:BYTE_0 src1_sel:DWORD
	s_mov_b64 s[4:5], -1
                                        ; implicit-def: $sgpr10
	s_and_saveexec_b64 s[8:9], s[12:13]
; %bb.2990:
	s_mov_b32 s10, 0x7f800001
	s_xor_b64 s[4:5], exec, -1
; %bb.2991:
	s_or_b64 exec, exec, s[8:9]
	s_and_b64 s[4:5], s[4:5], exec
	s_or_saveexec_b64 s[6:7], s[6:7]
	v_mov_b32_e32 v10, s10
	s_xor_b64 exec, exec, s[6:7]
	s_cbranch_execz .LBB20_942
.LBB20_2992:
	v_mov_b32_e32 v10, 0
	v_cmp_ne_u16_sdwa s[8:9], v6, v10 src0_sel:BYTE_0 src1_sel:DWORD
	s_andn2_b64 s[4:5], s[4:5], exec
	s_and_b64 s[8:9], s[8:9], exec
	s_or_b64 s[4:5], s[4:5], s[8:9]
	s_or_b64 exec, exec, s[6:7]
	s_and_saveexec_b64 s[6:7], s[4:5]
	s_cbranch_execnz .LBB20_943
	s_branch .LBB20_944
.LBB20_2993:
	s_movk_i32 s4, 0x80
	v_cmp_eq_u16_e32 vcc, s4, v6
	s_mov_b64 s[4:5], -1
                                        ; implicit-def: $sgpr10
	s_and_saveexec_b64 s[8:9], vcc
; %bb.2994:
	s_mov_b32 s10, 0x7f800001
	s_xor_b64 s[4:5], exec, -1
; %bb.2995:
	s_or_b64 exec, exec, s[8:9]
	s_and_b64 s[4:5], s[4:5], exec
                                        ; implicit-def: $vgpr6
	s_or_saveexec_b64 s[6:7], s[6:7]
	v_mov_b32_e32 v2, s10
	s_xor_b64 exec, exec, s[6:7]
	s_cbranch_execz .LBB20_946
.LBB20_2996:
	v_cmp_ne_u16_e32 vcc, 0, v6
	s_andn2_b64 s[4:5], s[4:5], exec
	s_and_b64 s[8:9], vcc, exec
	v_mov_b32_e32 v2, 0
	s_or_b64 s[4:5], s[4:5], s[8:9]
	s_or_b64 exec, exec, s[6:7]
	s_and_saveexec_b64 s[6:7], s[4:5]
	s_cbranch_execnz .LBB20_947
	s_branch .LBB20_948
.LBB20_2997:
	s_movk_i32 s4, 0x80
	v_cmp_eq_u16_e32 vcc, s4, v6
	s_mov_b64 s[4:5], -1
                                        ; implicit-def: $sgpr10
	s_and_saveexec_b64 s[8:9], vcc
; %bb.2998:
	s_mov_b32 s10, 0x7f800001
	s_xor_b64 s[4:5], exec, -1
; %bb.2999:
	s_or_b64 exec, exec, s[8:9]
	s_and_b64 s[4:5], s[4:5], exec
                                        ; implicit-def: $vgpr6
	s_or_saveexec_b64 s[6:7], s[6:7]
	v_mov_b32_e32 v10, s10
	s_xor_b64 exec, exec, s[6:7]
	s_cbranch_execz .LBB20_950
.LBB20_3000:
	v_cmp_ne_u16_e32 vcc, 0, v6
	s_andn2_b64 s[4:5], s[4:5], exec
	s_and_b64 s[8:9], vcc, exec
	v_mov_b32_e32 v10, 0
	s_or_b64 s[4:5], s[4:5], s[8:9]
	s_or_b64 exec, exec, s[6:7]
	s_and_saveexec_b64 s[6:7], s[4:5]
	s_cbranch_execnz .LBB20_951
	s_branch .LBB20_952
.LBB20_3001:
	s_movk_i32 s4, 0x80
	v_cmp_eq_u16_sdwa s[12:13], v7, s4 src0_sel:BYTE_3 src1_sel:DWORD
	s_mov_b64 s[4:5], -1
                                        ; implicit-def: $sgpr10
	s_and_saveexec_b64 s[8:9], s[12:13]
; %bb.3002:
	s_mov_b32 s10, 0x7f800001
	s_xor_b64 s[4:5], exec, -1
; %bb.3003:
	s_or_b64 exec, exec, s[8:9]
	s_and_b64 s[4:5], s[4:5], exec
	s_or_saveexec_b64 s[6:7], s[6:7]
	v_mov_b32_e32 v2, s10
	s_xor_b64 exec, exec, s[6:7]
	s_cbranch_execz .LBB20_954
.LBB20_3004:
	v_mov_b32_e32 v2, 0
	v_cmp_ne_u16_sdwa s[8:9], v7, v2 src0_sel:BYTE_3 src1_sel:DWORD
	s_andn2_b64 s[4:5], s[4:5], exec
	s_and_b64 s[8:9], s[8:9], exec
	s_or_b64 s[4:5], s[4:5], s[8:9]
	s_or_b64 exec, exec, s[6:7]
	s_and_saveexec_b64 s[6:7], s[4:5]
	s_cbranch_execnz .LBB20_955
	s_branch .LBB20_956
.LBB20_3005:
	s_movk_i32 s4, 0x80
	v_cmp_eq_u16_sdwa s[12:13], v3, s4 src0_sel:BYTE_3 src1_sel:DWORD
	s_mov_b64 s[4:5], -1
                                        ; implicit-def: $sgpr10
	s_and_saveexec_b64 s[8:9], s[12:13]
; %bb.3006:
	s_mov_b32 s10, 0x7f800001
	s_xor_b64 s[4:5], exec, -1
; %bb.3007:
	s_or_b64 exec, exec, s[8:9]
	s_and_b64 s[4:5], s[4:5], exec
	s_or_saveexec_b64 s[6:7], s[6:7]
	v_mov_b32_e32 v6, s10
	s_xor_b64 exec, exec, s[6:7]
	s_cbranch_execz .LBB20_958
.LBB20_3008:
	v_mov_b32_e32 v6, 0
	v_cmp_ne_u16_sdwa s[8:9], v3, v6 src0_sel:BYTE_3 src1_sel:DWORD
	s_andn2_b64 s[4:5], s[4:5], exec
	s_and_b64 s[8:9], s[8:9], exec
	s_or_b64 s[4:5], s[4:5], s[8:9]
	s_or_b64 exec, exec, s[6:7]
	s_and_saveexec_b64 s[6:7], s[4:5]
	s_cbranch_execnz .LBB20_959
	s_branch .LBB20_960
.LBB20_3009:
	s_movk_i32 s4, 0x80
	v_cmp_eq_u16_sdwa s[12:13], v8, s4 src0_sel:BYTE_0 src1_sel:DWORD
	s_mov_b64 s[4:5], -1
                                        ; implicit-def: $sgpr10
	s_and_saveexec_b64 s[8:9], s[12:13]
; %bb.3010:
	s_mov_b32 s10, 0x7f800001
	s_xor_b64 s[4:5], exec, -1
; %bb.3011:
	s_or_b64 exec, exec, s[8:9]
	s_and_b64 s[4:5], s[4:5], exec
	s_or_saveexec_b64 s[6:7], s[6:7]
	v_mov_b32_e32 v2, s10
	s_xor_b64 exec, exec, s[6:7]
	s_cbranch_execz .LBB20_962
.LBB20_3012:
	v_mov_b32_e32 v2, 0
	v_cmp_ne_u16_sdwa s[8:9], v8, v2 src0_sel:BYTE_0 src1_sel:DWORD
	s_andn2_b64 s[4:5], s[4:5], exec
	s_and_b64 s[8:9], s[8:9], exec
	s_or_b64 s[4:5], s[4:5], s[8:9]
	s_or_b64 exec, exec, s[6:7]
	s_and_saveexec_b64 s[6:7], s[4:5]
	s_cbranch_execnz .LBB20_963
	s_branch .LBB20_964
.LBB20_3013:
	s_movk_i32 s4, 0x80
	v_cmp_eq_u16_sdwa s[12:13], v4, s4 src0_sel:BYTE_0 src1_sel:DWORD
	s_mov_b64 s[4:5], -1
                                        ; implicit-def: $sgpr10
	s_and_saveexec_b64 s[8:9], s[12:13]
; %bb.3014:
	s_mov_b32 s10, 0x7f800001
	s_xor_b64 s[4:5], exec, -1
; %bb.3015:
	s_or_b64 exec, exec, s[8:9]
	s_and_b64 s[4:5], s[4:5], exec
	s_or_saveexec_b64 s[6:7], s[6:7]
	v_mov_b32_e32 v3, s10
	s_xor_b64 exec, exec, s[6:7]
	s_cbranch_execz .LBB20_966
.LBB20_3016:
	v_mov_b32_e32 v3, 0
	v_cmp_ne_u16_sdwa s[8:9], v4, v3 src0_sel:BYTE_0 src1_sel:DWORD
	s_andn2_b64 s[4:5], s[4:5], exec
	s_and_b64 s[8:9], s[8:9], exec
	s_or_b64 s[4:5], s[4:5], s[8:9]
	s_or_b64 exec, exec, s[6:7]
	s_and_saveexec_b64 s[6:7], s[4:5]
	s_cbranch_execnz .LBB20_967
	s_branch .LBB20_968
.LBB20_3017:
	s_movk_i32 s4, 0x80
	v_cmp_eq_u16_sdwa s[12:13], v3, s4 src0_sel:BYTE_0 src1_sel:DWORD
	s_mov_b64 s[4:5], -1
                                        ; implicit-def: $sgpr10
	s_and_saveexec_b64 s[8:9], s[12:13]
; %bb.3018:
	s_mov_b32 s10, 0x7f800001
	s_xor_b64 s[4:5], exec, -1
; %bb.3019:
	s_or_b64 exec, exec, s[8:9]
	s_and_b64 s[4:5], s[4:5], exec
	s_or_saveexec_b64 s[6:7], s[6:7]
	v_mov_b32_e32 v2, s10
	s_xor_b64 exec, exec, s[6:7]
	s_cbranch_execz .LBB20_970
.LBB20_3020:
	v_mov_b32_e32 v2, 0
	v_cmp_ne_u16_sdwa s[8:9], v3, v2 src0_sel:BYTE_0 src1_sel:DWORD
	s_andn2_b64 s[4:5], s[4:5], exec
	s_and_b64 s[8:9], s[8:9], exec
	s_or_b64 s[4:5], s[4:5], s[8:9]
	s_or_b64 exec, exec, s[6:7]
	s_and_saveexec_b64 s[6:7], s[4:5]
	s_cbranch_execnz .LBB20_971
	s_branch .LBB20_972
.LBB20_3021:
	s_movk_i32 s4, 0x80
	v_cmp_eq_u16_sdwa s[12:13], v3, s4 src0_sel:BYTE_0 src1_sel:DWORD
	s_mov_b64 s[4:5], -1
                                        ; implicit-def: $sgpr10
	s_and_saveexec_b64 s[8:9], s[12:13]
; %bb.3022:
	s_mov_b32 s10, 0x7f800001
	s_xor_b64 s[4:5], exec, -1
; %bb.3023:
	s_or_b64 exec, exec, s[8:9]
	s_and_b64 s[4:5], s[4:5], exec
	s_or_saveexec_b64 s[6:7], s[6:7]
	v_mov_b32_e32 v6, s10
	s_xor_b64 exec, exec, s[6:7]
	s_cbranch_execz .LBB20_974
.LBB20_3024:
	v_mov_b32_e32 v6, 0
	v_cmp_ne_u16_sdwa s[8:9], v3, v6 src0_sel:BYTE_0 src1_sel:DWORD
	s_andn2_b64 s[4:5], s[4:5], exec
	s_and_b64 s[8:9], s[8:9], exec
	s_or_b64 s[4:5], s[4:5], s[8:9]
	s_or_b64 exec, exec, s[6:7]
	s_and_saveexec_b64 s[6:7], s[4:5]
	s_cbranch_execnz .LBB20_975
	s_branch .LBB20_976
.LBB20_3025:
	s_movk_i32 s4, 0x80
	v_cmp_eq_u16_e32 vcc, s4, v3
	s_mov_b64 s[4:5], -1
                                        ; implicit-def: $sgpr10
	s_and_saveexec_b64 s[8:9], vcc
; %bb.3026:
	s_mov_b32 s10, 0x7f800001
	s_xor_b64 s[4:5], exec, -1
; %bb.3027:
	s_or_b64 exec, exec, s[8:9]
	s_and_b64 s[4:5], s[4:5], exec
                                        ; implicit-def: $vgpr3
	s_or_saveexec_b64 s[6:7], s[6:7]
	v_mov_b32_e32 v2, s10
	s_xor_b64 exec, exec, s[6:7]
	s_cbranch_execz .LBB20_978
.LBB20_3028:
	v_cmp_ne_u16_e32 vcc, 0, v3
	s_andn2_b64 s[4:5], s[4:5], exec
	s_and_b64 s[8:9], vcc, exec
	v_mov_b32_e32 v2, 0
	s_or_b64 s[4:5], s[4:5], s[8:9]
	s_or_b64 exec, exec, s[6:7]
	s_and_saveexec_b64 s[6:7], s[4:5]
	s_cbranch_execnz .LBB20_979
	s_branch .LBB20_980
.LBB20_3029:
	s_movk_i32 s4, 0x80
	v_cmp_eq_u16_e32 vcc, s4, v3
	s_mov_b64 s[4:5], -1
                                        ; implicit-def: $sgpr10
	s_and_saveexec_b64 s[8:9], vcc
; %bb.3030:
	s_mov_b32 s10, 0x7f800001
	s_xor_b64 s[4:5], exec, -1
; %bb.3031:
	s_or_b64 exec, exec, s[8:9]
	s_and_b64 s[4:5], s[4:5], exec
                                        ; implicit-def: $vgpr3
	s_or_saveexec_b64 s[6:7], s[6:7]
	v_mov_b32_e32 v6, s10
	s_xor_b64 exec, exec, s[6:7]
	s_cbranch_execz .LBB20_982
.LBB20_3032:
	v_cmp_ne_u16_e32 vcc, 0, v3
	s_andn2_b64 s[4:5], s[4:5], exec
	s_and_b64 s[8:9], vcc, exec
	v_mov_b32_e32 v6, 0
	s_or_b64 s[4:5], s[4:5], s[8:9]
	s_or_b64 exec, exec, s[6:7]
	s_and_saveexec_b64 s[6:7], s[4:5]
	s_cbranch_execnz .LBB20_983
	s_branch .LBB20_984
.LBB20_3033:
	s_movk_i32 s4, 0x80
	v_cmp_eq_u16_sdwa s[12:13], v8, s4 src0_sel:BYTE_3 src1_sel:DWORD
	s_mov_b64 s[4:5], -1
                                        ; implicit-def: $sgpr10
	s_and_saveexec_b64 s[8:9], s[12:13]
; %bb.3034:
	s_mov_b32 s10, 0x7f800001
	s_xor_b64 s[4:5], exec, -1
; %bb.3035:
	s_or_b64 exec, exec, s[8:9]
	s_and_b64 s[4:5], s[4:5], exec
	s_or_saveexec_b64 s[6:7], s[6:7]
	v_mov_b32_e32 v2, s10
	s_xor_b64 exec, exec, s[6:7]
	s_cbranch_execz .LBB20_986
.LBB20_3036:
	v_mov_b32_e32 v2, 0
	v_cmp_ne_u16_sdwa s[8:9], v8, v2 src0_sel:BYTE_3 src1_sel:DWORD
	s_andn2_b64 s[4:5], s[4:5], exec
	s_and_b64 s[8:9], s[8:9], exec
	s_or_b64 s[4:5], s[4:5], s[8:9]
	s_or_b64 exec, exec, s[6:7]
	s_and_saveexec_b64 s[6:7], s[4:5]
	s_cbranch_execnz .LBB20_987
	s_branch .LBB20_988
.LBB20_3037:
	s_movk_i32 s4, 0x80
	v_cmp_eq_u16_sdwa s[12:13], v4, s4 src0_sel:BYTE_3 src1_sel:DWORD
	s_mov_b64 s[4:5], -1
                                        ; implicit-def: $sgpr10
	s_and_saveexec_b64 s[8:9], s[12:13]
; %bb.3038:
	s_mov_b32 s10, 0x7f800001
	s_xor_b64 s[4:5], exec, -1
; %bb.3039:
	s_or_b64 exec, exec, s[8:9]
	s_and_b64 s[4:5], s[4:5], exec
	s_or_saveexec_b64 s[6:7], s[6:7]
	v_mov_b32_e32 v3, s10
	s_xor_b64 exec, exec, s[6:7]
	s_cbranch_execz .LBB20_990
.LBB20_3040:
	v_mov_b32_e32 v3, 0
	v_cmp_ne_u16_sdwa s[8:9], v4, v3 src0_sel:BYTE_3 src1_sel:DWORD
	s_andn2_b64 s[4:5], s[4:5], exec
	s_and_b64 s[8:9], s[8:9], exec
	s_or_b64 s[4:5], s[4:5], s[8:9]
	s_or_b64 exec, exec, s[6:7]
	s_and_saveexec_b64 s[6:7], s[4:5]
	s_cbranch_execnz .LBB20_991
	s_branch .LBB20_992
.LBB20_3041:
	s_movk_i32 s4, 0x80
	v_cmp_eq_u16_sdwa s[12:13], v9, s4 src0_sel:BYTE_0 src1_sel:DWORD
	s_mov_b64 s[4:5], -1
                                        ; implicit-def: $sgpr10
	s_and_saveexec_b64 s[8:9], s[12:13]
; %bb.3042:
	s_mov_b32 s10, 0x7f800001
	s_xor_b64 s[4:5], exec, -1
; %bb.3043:
	s_or_b64 exec, exec, s[8:9]
	s_and_b64 s[4:5], s[4:5], exec
	s_or_saveexec_b64 s[6:7], s[6:7]
	v_mov_b32_e32 v2, s10
	s_xor_b64 exec, exec, s[6:7]
	s_cbranch_execz .LBB20_994
.LBB20_3044:
	v_mov_b32_e32 v2, 0
	v_cmp_ne_u16_sdwa s[8:9], v9, v2 src0_sel:BYTE_0 src1_sel:DWORD
	s_andn2_b64 s[4:5], s[4:5], exec
	s_and_b64 s[8:9], s[8:9], exec
	s_or_b64 s[4:5], s[4:5], s[8:9]
	s_or_b64 exec, exec, s[6:7]
	s_and_saveexec_b64 s[6:7], s[4:5]
	s_cbranch_execnz .LBB20_995
	s_branch .LBB20_996
.LBB20_3045:
	s_movk_i32 s4, 0x80
	v_cmp_eq_u16_sdwa s[12:13], v5, s4 src0_sel:BYTE_0 src1_sel:DWORD
	s_mov_b64 s[4:5], -1
                                        ; implicit-def: $sgpr10
	s_and_saveexec_b64 s[8:9], s[12:13]
; %bb.3046:
	s_mov_b32 s10, 0x7f800001
	s_xor_b64 s[4:5], exec, -1
; %bb.3047:
	s_or_b64 exec, exec, s[8:9]
	s_and_b64 s[4:5], s[4:5], exec
	s_or_saveexec_b64 s[6:7], s[6:7]
	v_mov_b32_e32 v3, s10
	s_xor_b64 exec, exec, s[6:7]
	s_cbranch_execz .LBB20_998
.LBB20_3048:
	v_mov_b32_e32 v3, 0
	v_cmp_ne_u16_sdwa s[8:9], v5, v3 src0_sel:BYTE_0 src1_sel:DWORD
	s_andn2_b64 s[4:5], s[4:5], exec
	s_and_b64 s[8:9], s[8:9], exec
	s_or_b64 s[4:5], s[4:5], s[8:9]
	s_or_b64 exec, exec, s[6:7]
	s_and_saveexec_b64 s[6:7], s[4:5]
	s_cbranch_execnz .LBB20_999
	s_branch .LBB20_1000
.LBB20_3049:
	s_movk_i32 s4, 0x80
	v_cmp_eq_u16_sdwa s[12:13], v3, s4 src0_sel:BYTE_0 src1_sel:DWORD
	s_mov_b64 s[4:5], -1
                                        ; implicit-def: $sgpr10
	s_and_saveexec_b64 s[8:9], s[12:13]
; %bb.3050:
	s_mov_b32 s10, 0x7f800001
	s_xor_b64 s[4:5], exec, -1
; %bb.3051:
	s_or_b64 exec, exec, s[8:9]
	s_and_b64 s[4:5], s[4:5], exec
	s_or_saveexec_b64 s[6:7], s[6:7]
	v_mov_b32_e32 v2, s10
	s_xor_b64 exec, exec, s[6:7]
	s_cbranch_execz .LBB20_1002
.LBB20_3052:
	v_mov_b32_e32 v2, 0
	v_cmp_ne_u16_sdwa s[8:9], v3, v2 src0_sel:BYTE_0 src1_sel:DWORD
	s_andn2_b64 s[4:5], s[4:5], exec
	s_and_b64 s[8:9], s[8:9], exec
	s_or_b64 s[4:5], s[4:5], s[8:9]
	s_or_b64 exec, exec, s[6:7]
	s_and_saveexec_b64 s[6:7], s[4:5]
	s_cbranch_execnz .LBB20_1003
	s_branch .LBB20_1004
.LBB20_3053:
	s_movk_i32 s4, 0x80
	v_cmp_eq_u16_sdwa s[12:13], v3, s4 src0_sel:BYTE_0 src1_sel:DWORD
	s_mov_b64 s[4:5], -1
                                        ; implicit-def: $sgpr10
	s_and_saveexec_b64 s[8:9], s[12:13]
; %bb.3054:
	s_mov_b32 s10, 0x7f800001
	s_xor_b64 s[4:5], exec, -1
; %bb.3055:
	s_or_b64 exec, exec, s[8:9]
	s_and_b64 s[4:5], s[4:5], exec
	s_or_saveexec_b64 s[6:7], s[6:7]
	v_mov_b32_e32 v4, s10
	s_xor_b64 exec, exec, s[6:7]
	s_cbranch_execz .LBB20_1006
.LBB20_3056:
	v_mov_b32_e32 v4, 0
	v_cmp_ne_u16_sdwa s[8:9], v3, v4 src0_sel:BYTE_0 src1_sel:DWORD
	s_andn2_b64 s[4:5], s[4:5], exec
	s_and_b64 s[8:9], s[8:9], exec
	s_or_b64 s[4:5], s[4:5], s[8:9]
	s_or_b64 exec, exec, s[6:7]
	s_and_saveexec_b64 s[6:7], s[4:5]
	s_cbranch_execnz .LBB20_1007
	s_branch .LBB20_1008
.LBB20_3057:
	s_movk_i32 s4, 0x80
	v_cmp_eq_u16_e32 vcc, s4, v3
	s_mov_b64 s[4:5], -1
                                        ; implicit-def: $sgpr10
	s_and_saveexec_b64 s[8:9], vcc
; %bb.3058:
	s_mov_b32 s10, 0x7f800001
	s_xor_b64 s[4:5], exec, -1
; %bb.3059:
	s_or_b64 exec, exec, s[8:9]
	s_and_b64 s[4:5], s[4:5], exec
                                        ; implicit-def: $vgpr3
	s_or_saveexec_b64 s[6:7], s[6:7]
	v_mov_b32_e32 v2, s10
	s_xor_b64 exec, exec, s[6:7]
	s_cbranch_execz .LBB20_1010
.LBB20_3060:
	v_cmp_ne_u16_e32 vcc, 0, v3
	s_andn2_b64 s[4:5], s[4:5], exec
	s_and_b64 s[8:9], vcc, exec
	v_mov_b32_e32 v2, 0
	s_or_b64 s[4:5], s[4:5], s[8:9]
	s_or_b64 exec, exec, s[6:7]
	s_and_saveexec_b64 s[6:7], s[4:5]
	s_cbranch_execnz .LBB20_1011
	s_branch .LBB20_1012
.LBB20_3061:
	s_movk_i32 s4, 0x80
	v_cmp_eq_u16_e32 vcc, s4, v3
	s_mov_b64 s[4:5], -1
                                        ; implicit-def: $sgpr10
	s_and_saveexec_b64 s[8:9], vcc
; %bb.3062:
	s_mov_b32 s10, 0x7f800001
	s_xor_b64 s[4:5], exec, -1
; %bb.3063:
	s_or_b64 exec, exec, s[8:9]
	s_and_b64 s[4:5], s[4:5], exec
                                        ; implicit-def: $vgpr3
	s_or_saveexec_b64 s[6:7], s[6:7]
	v_mov_b32_e32 v4, s10
	s_xor_b64 exec, exec, s[6:7]
	s_cbranch_execz .LBB20_1014
.LBB20_3064:
	v_cmp_ne_u16_e32 vcc, 0, v3
	s_andn2_b64 s[4:5], s[4:5], exec
	s_and_b64 s[8:9], vcc, exec
	v_mov_b32_e32 v4, 0
	s_or_b64 s[4:5], s[4:5], s[8:9]
	s_or_b64 exec, exec, s[6:7]
	s_and_saveexec_b64 s[6:7], s[4:5]
	s_cbranch_execnz .LBB20_1015
	s_branch .LBB20_1016
.LBB20_3065:
	s_movk_i32 s4, 0x80
	v_cmp_eq_u16_sdwa s[12:13], v9, s4 src0_sel:BYTE_3 src1_sel:DWORD
	s_mov_b64 s[4:5], -1
                                        ; implicit-def: $sgpr10
	s_and_saveexec_b64 s[8:9], s[12:13]
; %bb.3066:
	s_mov_b32 s10, 0x7f800001
	s_xor_b64 s[4:5], exec, -1
; %bb.3067:
	s_or_b64 exec, exec, s[8:9]
	s_and_b64 s[4:5], s[4:5], exec
	s_or_saveexec_b64 s[6:7], s[6:7]
	v_mov_b32_e32 v2, s10
	s_xor_b64 exec, exec, s[6:7]
	s_cbranch_execz .LBB20_1018
.LBB20_3068:
	v_mov_b32_e32 v2, 0
	v_cmp_ne_u16_sdwa s[8:9], v9, v2 src0_sel:BYTE_3 src1_sel:DWORD
	s_andn2_b64 s[4:5], s[4:5], exec
	s_and_b64 s[8:9], s[8:9], exec
	s_or_b64 s[4:5], s[4:5], s[8:9]
	s_or_b64 exec, exec, s[6:7]
	s_and_saveexec_b64 s[6:7], s[4:5]
	s_cbranch_execnz .LBB20_1019
	s_branch .LBB20_1020
.LBB20_3069:
	s_movk_i32 s4, 0x80
	v_cmp_eq_u16_sdwa s[12:13], v5, s4 src0_sel:BYTE_3 src1_sel:DWORD
	s_mov_b64 s[4:5], -1
                                        ; implicit-def: $sgpr10
	s_and_saveexec_b64 s[8:9], s[12:13]
; %bb.3070:
	s_mov_b32 s10, 0x7f800001
	s_xor_b64 s[4:5], exec, -1
; %bb.3071:
	s_or_b64 exec, exec, s[8:9]
	s_and_b64 s[4:5], s[4:5], exec
	s_or_saveexec_b64 s[6:7], s[6:7]
	v_mov_b32_e32 v3, s10
	s_xor_b64 exec, exec, s[6:7]
	s_cbranch_execz .LBB20_1022
.LBB20_3072:
	v_mov_b32_e32 v3, 0
	v_cmp_ne_u16_sdwa s[8:9], v5, v3 src0_sel:BYTE_3 src1_sel:DWORD
	s_andn2_b64 s[4:5], s[4:5], exec
	s_and_b64 s[8:9], s[8:9], exec
	s_or_b64 s[4:5], s[4:5], s[8:9]
	s_or_b64 exec, exec, s[6:7]
	s_and_saveexec_b64 s[6:7], s[4:5]
	s_cbranch_execnz .LBB20_1023
	s_branch .LBB20_1024
.LBB20_3073:
	s_movk_i32 s4, 0x80
	v_cmp_eq_u16_sdwa s[12:13], v14, s4 src0_sel:BYTE_0 src1_sel:DWORD
	s_mov_b64 s[4:5], -1
                                        ; implicit-def: $sgpr10
	s_and_saveexec_b64 s[8:9], s[12:13]
; %bb.3074:
	s_mov_b32 s10, 0x7f800001
	s_xor_b64 s[4:5], exec, -1
; %bb.3075:
	s_or_b64 exec, exec, s[8:9]
	s_and_b64 s[4:5], s[4:5], exec
	s_or_saveexec_b64 s[6:7], s[6:7]
	v_mov_b32_e32 v20, s10
	s_xor_b64 exec, exec, s[6:7]
	s_cbranch_execz .LBB20_1026
.LBB20_3076:
	v_mov_b32_e32 v20, 0
	v_cmp_ne_u16_sdwa s[8:9], v14, v20 src0_sel:BYTE_0 src1_sel:DWORD
	s_andn2_b64 s[4:5], s[4:5], exec
	s_and_b64 s[8:9], s[8:9], exec
	s_or_b64 s[4:5], s[4:5], s[8:9]
	s_or_b64 exec, exec, s[6:7]
	s_and_saveexec_b64 s[6:7], s[4:5]
	s_cbranch_execnz .LBB20_1027
	s_branch .LBB20_1028
.LBB20_3077:
	s_movk_i32 s4, 0x80
	v_cmp_eq_u16_sdwa s[12:13], v10, s4 src0_sel:BYTE_0 src1_sel:DWORD
	s_mov_b64 s[4:5], -1
                                        ; implicit-def: $sgpr10
	s_and_saveexec_b64 s[8:9], s[12:13]
; %bb.3078:
	s_mov_b32 s10, 0x7f800001
	s_xor_b64 s[4:5], exec, -1
; %bb.3079:
	s_or_b64 exec, exec, s[8:9]
	s_and_b64 s[4:5], s[4:5], exec
	s_or_saveexec_b64 s[6:7], s[6:7]
	v_mov_b32_e32 v21, s10
	s_xor_b64 exec, exec, s[6:7]
	s_cbranch_execz .LBB20_1030
.LBB20_3080:
	v_mov_b32_e32 v21, 0
	v_cmp_ne_u16_sdwa s[8:9], v10, v21 src0_sel:BYTE_0 src1_sel:DWORD
	s_andn2_b64 s[4:5], s[4:5], exec
	s_and_b64 s[8:9], s[8:9], exec
	s_or_b64 s[4:5], s[4:5], s[8:9]
	s_or_b64 exec, exec, s[6:7]
	s_and_saveexec_b64 s[6:7], s[4:5]
	s_cbranch_execnz .LBB20_1031
	s_branch .LBB20_1032
.LBB20_3081:
	s_movk_i32 s4, 0x80
	v_cmp_eq_u16_sdwa s[12:13], v21, s4 src0_sel:BYTE_0 src1_sel:DWORD
	s_mov_b64 s[4:5], -1
                                        ; implicit-def: $sgpr10
	s_and_saveexec_b64 s[8:9], s[12:13]
; %bb.3082:
	s_mov_b32 s10, 0x7f800001
	s_xor_b64 s[4:5], exec, -1
; %bb.3083:
	s_or_b64 exec, exec, s[8:9]
	s_and_b64 s[4:5], s[4:5], exec
	s_or_saveexec_b64 s[6:7], s[6:7]
	v_mov_b32_e32 v20, s10
	s_xor_b64 exec, exec, s[6:7]
	s_cbranch_execz .LBB20_1034
.LBB20_3084:
	v_mov_b32_e32 v20, 0
	v_cmp_ne_u16_sdwa s[8:9], v21, v20 src0_sel:BYTE_0 src1_sel:DWORD
	s_andn2_b64 s[4:5], s[4:5], exec
	s_and_b64 s[8:9], s[8:9], exec
	s_or_b64 s[4:5], s[4:5], s[8:9]
	s_or_b64 exec, exec, s[6:7]
	s_and_saveexec_b64 s[6:7], s[4:5]
	s_cbranch_execnz .LBB20_1035
	s_branch .LBB20_1036
.LBB20_3085:
	s_movk_i32 s4, 0x80
	v_cmp_eq_u16_sdwa s[12:13], v21, s4 src0_sel:BYTE_0 src1_sel:DWORD
	s_mov_b64 s[4:5], -1
                                        ; implicit-def: $sgpr10
	s_and_saveexec_b64 s[8:9], s[12:13]
; %bb.3086:
	s_mov_b32 s10, 0x7f800001
	s_xor_b64 s[4:5], exec, -1
; %bb.3087:
	s_or_b64 exec, exec, s[8:9]
	s_and_b64 s[4:5], s[4:5], exec
	s_or_saveexec_b64 s[6:7], s[6:7]
	v_mov_b32_e32 v22, s10
	s_xor_b64 exec, exec, s[6:7]
	s_cbranch_execz .LBB20_1038
.LBB20_3088:
	v_mov_b32_e32 v22, 0
	v_cmp_ne_u16_sdwa s[8:9], v21, v22 src0_sel:BYTE_0 src1_sel:DWORD
	s_andn2_b64 s[4:5], s[4:5], exec
	s_and_b64 s[8:9], s[8:9], exec
	s_or_b64 s[4:5], s[4:5], s[8:9]
	s_or_b64 exec, exec, s[6:7]
	s_and_saveexec_b64 s[6:7], s[4:5]
	s_cbranch_execnz .LBB20_1039
	s_branch .LBB20_1040
.LBB20_3089:
	s_movk_i32 s4, 0x80
	v_cmp_eq_u16_e32 vcc, s4, v21
	s_mov_b64 s[4:5], -1
                                        ; implicit-def: $sgpr10
	s_and_saveexec_b64 s[8:9], vcc
; %bb.3090:
	s_mov_b32 s10, 0x7f800001
	s_xor_b64 s[4:5], exec, -1
; %bb.3091:
	s_or_b64 exec, exec, s[8:9]
	s_and_b64 s[4:5], s[4:5], exec
                                        ; implicit-def: $vgpr21
	s_or_saveexec_b64 s[6:7], s[6:7]
	v_mov_b32_e32 v20, s10
	s_xor_b64 exec, exec, s[6:7]
	s_cbranch_execz .LBB20_1042
.LBB20_3092:
	v_cmp_ne_u16_e32 vcc, 0, v21
	s_andn2_b64 s[4:5], s[4:5], exec
	s_and_b64 s[8:9], vcc, exec
	v_mov_b32_e32 v20, 0
	s_or_b64 s[4:5], s[4:5], s[8:9]
	s_or_b64 exec, exec, s[6:7]
	s_and_saveexec_b64 s[6:7], s[4:5]
	s_cbranch_execnz .LBB20_1043
	s_branch .LBB20_1044
.LBB20_3093:
	s_movk_i32 s4, 0x80
	v_cmp_eq_u16_e32 vcc, s4, v21
	s_mov_b64 s[4:5], -1
                                        ; implicit-def: $sgpr10
	s_and_saveexec_b64 s[8:9], vcc
; %bb.3094:
	s_mov_b32 s10, 0x7f800001
	s_xor_b64 s[4:5], exec, -1
; %bb.3095:
	s_or_b64 exec, exec, s[8:9]
	s_and_b64 s[4:5], s[4:5], exec
                                        ; implicit-def: $vgpr21
	s_or_saveexec_b64 s[6:7], s[6:7]
	v_mov_b32_e32 v22, s10
	s_xor_b64 exec, exec, s[6:7]
	s_cbranch_execz .LBB20_1046
.LBB20_3096:
	v_cmp_ne_u16_e32 vcc, 0, v21
	s_andn2_b64 s[4:5], s[4:5], exec
	s_and_b64 s[8:9], vcc, exec
	v_mov_b32_e32 v22, 0
	s_or_b64 s[4:5], s[4:5], s[8:9]
	s_or_b64 exec, exec, s[6:7]
	s_and_saveexec_b64 s[6:7], s[4:5]
	s_cbranch_execnz .LBB20_1047
	s_branch .LBB20_1048
.LBB20_3097:
	s_movk_i32 s4, 0x80
	v_cmp_eq_u16_sdwa s[12:13], v14, s4 src0_sel:BYTE_3 src1_sel:DWORD
	s_mov_b64 s[4:5], -1
                                        ; implicit-def: $sgpr10
	s_and_saveexec_b64 s[8:9], s[12:13]
; %bb.3098:
	s_mov_b32 s10, 0x7f800001
	s_xor_b64 s[4:5], exec, -1
; %bb.3099:
	s_or_b64 exec, exec, s[8:9]
	s_and_b64 s[4:5], s[4:5], exec
	s_or_saveexec_b64 s[6:7], s[6:7]
	v_mov_b32_e32 v20, s10
	s_xor_b64 exec, exec, s[6:7]
	s_cbranch_execz .LBB20_1050
.LBB20_3100:
	v_mov_b32_e32 v20, 0
	v_cmp_ne_u16_sdwa s[8:9], v14, v20 src0_sel:BYTE_3 src1_sel:DWORD
	s_andn2_b64 s[4:5], s[4:5], exec
	s_and_b64 s[8:9], s[8:9], exec
	s_or_b64 s[4:5], s[4:5], s[8:9]
	s_or_b64 exec, exec, s[6:7]
	s_and_saveexec_b64 s[6:7], s[4:5]
	s_cbranch_execnz .LBB20_1051
	s_branch .LBB20_1052
.LBB20_3101:
	s_movk_i32 s4, 0x80
	v_cmp_eq_u16_sdwa s[12:13], v10, s4 src0_sel:BYTE_3 src1_sel:DWORD
	s_mov_b64 s[4:5], -1
                                        ; implicit-def: $sgpr10
	s_and_saveexec_b64 s[8:9], s[12:13]
; %bb.3102:
	s_mov_b32 s10, 0x7f800001
	s_xor_b64 s[4:5], exec, -1
; %bb.3103:
	s_or_b64 exec, exec, s[8:9]
	s_and_b64 s[4:5], s[4:5], exec
	s_or_saveexec_b64 s[6:7], s[6:7]
	v_mov_b32_e32 v14, s10
	s_xor_b64 exec, exec, s[6:7]
	s_cbranch_execz .LBB20_1054
.LBB20_3104:
	v_mov_b32_e32 v14, 0
	v_cmp_ne_u16_sdwa s[8:9], v10, v14 src0_sel:BYTE_3 src1_sel:DWORD
	s_andn2_b64 s[4:5], s[4:5], exec
	s_and_b64 s[8:9], s[8:9], exec
	s_or_b64 s[4:5], s[4:5], s[8:9]
	s_or_b64 exec, exec, s[6:7]
	s_and_saveexec_b64 s[6:7], s[4:5]
	s_cbranch_execnz .LBB20_1055
	s_branch .LBB20_1056
.LBB20_3105:
	s_movk_i32 s4, 0x80
	v_cmp_eq_u16_sdwa s[12:13], v15, s4 src0_sel:BYTE_0 src1_sel:DWORD
	s_mov_b64 s[4:5], -1
                                        ; implicit-def: $sgpr10
	s_and_saveexec_b64 s[8:9], s[12:13]
; %bb.3106:
	s_mov_b32 s10, 0x7f800001
	s_xor_b64 s[4:5], exec, -1
; %bb.3107:
	s_or_b64 exec, exec, s[8:9]
	s_and_b64 s[4:5], s[4:5], exec
	s_or_saveexec_b64 s[6:7], s[6:7]
	v_mov_b32_e32 v10, s10
	s_xor_b64 exec, exec, s[6:7]
	s_cbranch_execz .LBB20_1058
.LBB20_3108:
	v_mov_b32_e32 v10, 0
	v_cmp_ne_u16_sdwa s[8:9], v15, v10 src0_sel:BYTE_0 src1_sel:DWORD
	s_andn2_b64 s[4:5], s[4:5], exec
	s_and_b64 s[8:9], s[8:9], exec
	s_or_b64 s[4:5], s[4:5], s[8:9]
	s_or_b64 exec, exec, s[6:7]
	s_and_saveexec_b64 s[6:7], s[4:5]
	s_cbranch_execnz .LBB20_1059
	s_branch .LBB20_1060
.LBB20_3109:
	s_movk_i32 s4, 0x80
	v_cmp_eq_u16_sdwa s[12:13], v11, s4 src0_sel:BYTE_0 src1_sel:DWORD
	s_mov_b64 s[4:5], -1
                                        ; implicit-def: $sgpr10
	s_and_saveexec_b64 s[8:9], s[12:13]
; %bb.3110:
	s_mov_b32 s10, 0x7f800001
	s_xor_b64 s[4:5], exec, -1
; %bb.3111:
	s_or_b64 exec, exec, s[8:9]
	s_and_b64 s[4:5], s[4:5], exec
	s_or_saveexec_b64 s[6:7], s[6:7]
	v_mov_b32_e32 v14, s10
	s_xor_b64 exec, exec, s[6:7]
	s_cbranch_execz .LBB20_1062
.LBB20_3112:
	v_mov_b32_e32 v14, 0
	v_cmp_ne_u16_sdwa s[8:9], v11, v14 src0_sel:BYTE_0 src1_sel:DWORD
	s_andn2_b64 s[4:5], s[4:5], exec
	s_and_b64 s[8:9], s[8:9], exec
	s_or_b64 s[4:5], s[4:5], s[8:9]
	s_or_b64 exec, exec, s[6:7]
	s_and_saveexec_b64 s[6:7], s[4:5]
	s_cbranch_execnz .LBB20_1063
	s_branch .LBB20_1064
.LBB20_3113:
	s_movk_i32 s4, 0x80
	v_cmp_eq_u16_sdwa s[12:13], v14, s4 src0_sel:BYTE_0 src1_sel:DWORD
	s_mov_b64 s[4:5], -1
                                        ; implicit-def: $sgpr10
	s_and_saveexec_b64 s[8:9], s[12:13]
; %bb.3114:
	s_mov_b32 s10, 0x7f800001
	s_xor_b64 s[4:5], exec, -1
; %bb.3115:
	s_or_b64 exec, exec, s[8:9]
	s_and_b64 s[4:5], s[4:5], exec
	s_or_saveexec_b64 s[6:7], s[6:7]
	v_mov_b32_e32 v10, s10
	s_xor_b64 exec, exec, s[6:7]
	s_cbranch_execz .LBB20_1066
.LBB20_3116:
	v_mov_b32_e32 v10, 0
	v_cmp_ne_u16_sdwa s[8:9], v14, v10 src0_sel:BYTE_0 src1_sel:DWORD
	s_andn2_b64 s[4:5], s[4:5], exec
	s_and_b64 s[8:9], s[8:9], exec
	s_or_b64 s[4:5], s[4:5], s[8:9]
	s_or_b64 exec, exec, s[6:7]
	s_and_saveexec_b64 s[6:7], s[4:5]
	s_cbranch_execnz .LBB20_1067
	s_branch .LBB20_1068
.LBB20_3117:
	s_movk_i32 s4, 0x80
	v_cmp_eq_u16_sdwa s[12:13], v14, s4 src0_sel:BYTE_0 src1_sel:DWORD
	s_mov_b64 s[4:5], -1
                                        ; implicit-def: $sgpr10
	s_and_saveexec_b64 s[8:9], s[12:13]
; %bb.3118:
	s_mov_b32 s10, 0x7f800001
	s_xor_b64 s[4:5], exec, -1
; %bb.3119:
	s_or_b64 exec, exec, s[8:9]
	s_and_b64 s[4:5], s[4:5], exec
	s_or_saveexec_b64 s[6:7], s[6:7]
	v_mov_b32_e32 v20, s10
	s_xor_b64 exec, exec, s[6:7]
	s_cbranch_execz .LBB20_1070
.LBB20_3120:
	v_mov_b32_e32 v20, 0
	v_cmp_ne_u16_sdwa s[8:9], v14, v20 src0_sel:BYTE_0 src1_sel:DWORD
	s_andn2_b64 s[4:5], s[4:5], exec
	s_and_b64 s[8:9], s[8:9], exec
	s_or_b64 s[4:5], s[4:5], s[8:9]
	s_or_b64 exec, exec, s[6:7]
	s_and_saveexec_b64 s[6:7], s[4:5]
	s_cbranch_execnz .LBB20_1071
	s_branch .LBB20_1072
.LBB20_3121:
	s_movk_i32 s4, 0x80
	v_cmp_eq_u16_e32 vcc, s4, v14
	s_mov_b64 s[4:5], -1
                                        ; implicit-def: $sgpr10
	s_and_saveexec_b64 s[8:9], vcc
; %bb.3122:
	s_mov_b32 s10, 0x7f800001
	s_xor_b64 s[4:5], exec, -1
; %bb.3123:
	s_or_b64 exec, exec, s[8:9]
	s_and_b64 s[4:5], s[4:5], exec
                                        ; implicit-def: $vgpr14
	s_or_saveexec_b64 s[6:7], s[6:7]
	v_mov_b32_e32 v10, s10
	s_xor_b64 exec, exec, s[6:7]
	s_cbranch_execz .LBB20_1074
.LBB20_3124:
	v_cmp_ne_u16_e32 vcc, 0, v14
	s_andn2_b64 s[4:5], s[4:5], exec
	s_and_b64 s[8:9], vcc, exec
	v_mov_b32_e32 v10, 0
	s_or_b64 s[4:5], s[4:5], s[8:9]
	s_or_b64 exec, exec, s[6:7]
	s_and_saveexec_b64 s[6:7], s[4:5]
	s_cbranch_execnz .LBB20_1075
	s_branch .LBB20_1076
.LBB20_3125:
	s_movk_i32 s4, 0x80
	v_cmp_eq_u16_e32 vcc, s4, v14
	s_mov_b64 s[4:5], -1
                                        ; implicit-def: $sgpr10
	s_and_saveexec_b64 s[8:9], vcc
; %bb.3126:
	s_mov_b32 s10, 0x7f800001
	s_xor_b64 s[4:5], exec, -1
; %bb.3127:
	s_or_b64 exec, exec, s[8:9]
	s_and_b64 s[4:5], s[4:5], exec
                                        ; implicit-def: $vgpr14
	s_or_saveexec_b64 s[6:7], s[6:7]
	v_mov_b32_e32 v20, s10
	s_xor_b64 exec, exec, s[6:7]
	s_cbranch_execz .LBB20_1078
.LBB20_3128:
	v_cmp_ne_u16_e32 vcc, 0, v14
	s_andn2_b64 s[4:5], s[4:5], exec
	s_and_b64 s[8:9], vcc, exec
	v_mov_b32_e32 v20, 0
	s_or_b64 s[4:5], s[4:5], s[8:9]
	s_or_b64 exec, exec, s[6:7]
	s_and_saveexec_b64 s[6:7], s[4:5]
	s_cbranch_execnz .LBB20_1079
	s_branch .LBB20_1080
.LBB20_3129:
	s_movk_i32 s4, 0x80
	v_cmp_eq_u16_sdwa s[12:13], v15, s4 src0_sel:BYTE_3 src1_sel:DWORD
	s_mov_b64 s[4:5], -1
                                        ; implicit-def: $sgpr10
	s_and_saveexec_b64 s[8:9], s[12:13]
; %bb.3130:
	s_mov_b32 s10, 0x7f800001
	s_xor_b64 s[4:5], exec, -1
; %bb.3131:
	s_or_b64 exec, exec, s[8:9]
	s_and_b64 s[4:5], s[4:5], exec
	s_or_saveexec_b64 s[6:7], s[6:7]
	v_mov_b32_e32 v10, s10
	s_xor_b64 exec, exec, s[6:7]
	s_cbranch_execz .LBB20_1082
.LBB20_3132:
	v_mov_b32_e32 v10, 0
	v_cmp_ne_u16_sdwa s[8:9], v15, v10 src0_sel:BYTE_3 src1_sel:DWORD
	s_andn2_b64 s[4:5], s[4:5], exec
	s_and_b64 s[8:9], s[8:9], exec
	s_or_b64 s[4:5], s[4:5], s[8:9]
	s_or_b64 exec, exec, s[6:7]
	s_and_saveexec_b64 s[6:7], s[4:5]
	s_cbranch_execnz .LBB20_1083
	s_branch .LBB20_1084
.LBB20_3133:
	s_movk_i32 s4, 0x80
	v_cmp_eq_u16_sdwa s[12:13], v11, s4 src0_sel:BYTE_3 src1_sel:DWORD
	s_mov_b64 s[4:5], -1
                                        ; implicit-def: $sgpr10
	s_and_saveexec_b64 s[8:9], s[12:13]
; %bb.3134:
	s_mov_b32 s10, 0x7f800001
	s_xor_b64 s[4:5], exec, -1
; %bb.3135:
	s_or_b64 exec, exec, s[8:9]
	s_and_b64 s[4:5], s[4:5], exec
	s_or_saveexec_b64 s[6:7], s[6:7]
	v_mov_b32_e32 v14, s10
	s_xor_b64 exec, exec, s[6:7]
	s_cbranch_execz .LBB20_1086
.LBB20_3136:
	v_mov_b32_e32 v14, 0
	v_cmp_ne_u16_sdwa s[8:9], v11, v14 src0_sel:BYTE_3 src1_sel:DWORD
	s_andn2_b64 s[4:5], s[4:5], exec
	s_and_b64 s[8:9], s[8:9], exec
	s_or_b64 s[4:5], s[4:5], s[8:9]
	s_or_b64 exec, exec, s[6:7]
	s_and_saveexec_b64 s[6:7], s[4:5]
	s_cbranch_execnz .LBB20_1087
	s_branch .LBB20_1088
.LBB20_3137:
	s_movk_i32 s4, 0x80
	v_cmp_eq_u16_sdwa s[12:13], v16, s4 src0_sel:BYTE_0 src1_sel:DWORD
	s_mov_b64 s[4:5], -1
                                        ; implicit-def: $sgpr10
	s_and_saveexec_b64 s[8:9], s[12:13]
; %bb.3138:
	s_mov_b32 s10, 0x7f800001
	s_xor_b64 s[4:5], exec, -1
; %bb.3139:
	s_or_b64 exec, exec, s[8:9]
	s_and_b64 s[4:5], s[4:5], exec
	s_or_saveexec_b64 s[6:7], s[6:7]
	v_mov_b32_e32 v10, s10
	s_xor_b64 exec, exec, s[6:7]
	s_cbranch_execz .LBB20_1090
.LBB20_3140:
	v_mov_b32_e32 v10, 0
	v_cmp_ne_u16_sdwa s[8:9], v16, v10 src0_sel:BYTE_0 src1_sel:DWORD
	s_andn2_b64 s[4:5], s[4:5], exec
	s_and_b64 s[8:9], s[8:9], exec
	s_or_b64 s[4:5], s[4:5], s[8:9]
	s_or_b64 exec, exec, s[6:7]
	s_and_saveexec_b64 s[6:7], s[4:5]
	s_cbranch_execnz .LBB20_1091
	s_branch .LBB20_1092
.LBB20_3141:
	s_movk_i32 s4, 0x80
	v_cmp_eq_u16_sdwa s[12:13], v12, s4 src0_sel:BYTE_0 src1_sel:DWORD
	s_mov_b64 s[4:5], -1
                                        ; implicit-def: $sgpr10
	s_and_saveexec_b64 s[8:9], s[12:13]
; %bb.3142:
	s_mov_b32 s10, 0x7f800001
	s_xor_b64 s[4:5], exec, -1
; %bb.3143:
	s_or_b64 exec, exec, s[8:9]
	s_and_b64 s[4:5], s[4:5], exec
	s_or_saveexec_b64 s[6:7], s[6:7]
	v_mov_b32_e32 v11, s10
	s_xor_b64 exec, exec, s[6:7]
	s_cbranch_execz .LBB20_1094
.LBB20_3144:
	v_mov_b32_e32 v11, 0
	v_cmp_ne_u16_sdwa s[8:9], v12, v11 src0_sel:BYTE_0 src1_sel:DWORD
	s_andn2_b64 s[4:5], s[4:5], exec
	s_and_b64 s[8:9], s[8:9], exec
	s_or_b64 s[4:5], s[4:5], s[8:9]
	s_or_b64 exec, exec, s[6:7]
	s_and_saveexec_b64 s[6:7], s[4:5]
	s_cbranch_execnz .LBB20_1095
	s_branch .LBB20_1096
.LBB20_3145:
	s_movk_i32 s4, 0x80
	v_cmp_eq_u16_sdwa s[12:13], v11, s4 src0_sel:BYTE_0 src1_sel:DWORD
	s_mov_b64 s[4:5], -1
                                        ; implicit-def: $sgpr10
	s_and_saveexec_b64 s[8:9], s[12:13]
; %bb.3146:
	s_mov_b32 s10, 0x7f800001
	s_xor_b64 s[4:5], exec, -1
; %bb.3147:
	s_or_b64 exec, exec, s[8:9]
	s_and_b64 s[4:5], s[4:5], exec
	s_or_saveexec_b64 s[6:7], s[6:7]
	v_mov_b32_e32 v10, s10
	s_xor_b64 exec, exec, s[6:7]
	s_cbranch_execz .LBB20_1098
.LBB20_3148:
	v_mov_b32_e32 v10, 0
	v_cmp_ne_u16_sdwa s[8:9], v11, v10 src0_sel:BYTE_0 src1_sel:DWORD
	s_andn2_b64 s[4:5], s[4:5], exec
	s_and_b64 s[8:9], s[8:9], exec
	s_or_b64 s[4:5], s[4:5], s[8:9]
	s_or_b64 exec, exec, s[6:7]
	s_and_saveexec_b64 s[6:7], s[4:5]
	s_cbranch_execnz .LBB20_1099
	s_branch .LBB20_1100
.LBB20_3149:
	s_movk_i32 s4, 0x80
	v_cmp_eq_u16_sdwa s[12:13], v11, s4 src0_sel:BYTE_0 src1_sel:DWORD
	s_mov_b64 s[4:5], -1
                                        ; implicit-def: $sgpr10
	s_and_saveexec_b64 s[8:9], s[12:13]
; %bb.3150:
	s_mov_b32 s10, 0x7f800001
	s_xor_b64 s[4:5], exec, -1
; %bb.3151:
	s_or_b64 exec, exec, s[8:9]
	s_and_b64 s[4:5], s[4:5], exec
	s_or_saveexec_b64 s[6:7], s[6:7]
	v_mov_b32_e32 v14, s10
	s_xor_b64 exec, exec, s[6:7]
	s_cbranch_execz .LBB20_1102
.LBB20_3152:
	v_mov_b32_e32 v14, 0
	v_cmp_ne_u16_sdwa s[8:9], v11, v14 src0_sel:BYTE_0 src1_sel:DWORD
	s_andn2_b64 s[4:5], s[4:5], exec
	s_and_b64 s[8:9], s[8:9], exec
	s_or_b64 s[4:5], s[4:5], s[8:9]
	s_or_b64 exec, exec, s[6:7]
	s_and_saveexec_b64 s[6:7], s[4:5]
	s_cbranch_execnz .LBB20_1103
	s_branch .LBB20_1104
.LBB20_3153:
	s_movk_i32 s4, 0x80
	v_cmp_eq_u16_e32 vcc, s4, v11
	s_mov_b64 s[4:5], -1
                                        ; implicit-def: $sgpr10
	s_and_saveexec_b64 s[8:9], vcc
; %bb.3154:
	s_mov_b32 s10, 0x7f800001
	s_xor_b64 s[4:5], exec, -1
; %bb.3155:
	s_or_b64 exec, exec, s[8:9]
	s_and_b64 s[4:5], s[4:5], exec
                                        ; implicit-def: $vgpr11
	s_or_saveexec_b64 s[6:7], s[6:7]
	v_mov_b32_e32 v10, s10
	s_xor_b64 exec, exec, s[6:7]
	s_cbranch_execz .LBB20_1106
.LBB20_3156:
	v_cmp_ne_u16_e32 vcc, 0, v11
	s_andn2_b64 s[4:5], s[4:5], exec
	s_and_b64 s[8:9], vcc, exec
	v_mov_b32_e32 v10, 0
	s_or_b64 s[4:5], s[4:5], s[8:9]
	s_or_b64 exec, exec, s[6:7]
	s_and_saveexec_b64 s[6:7], s[4:5]
	s_cbranch_execnz .LBB20_1107
	s_branch .LBB20_1108
.LBB20_3157:
	s_movk_i32 s4, 0x80
	v_cmp_eq_u16_e32 vcc, s4, v11
	s_mov_b64 s[4:5], -1
                                        ; implicit-def: $sgpr10
	s_and_saveexec_b64 s[8:9], vcc
; %bb.3158:
	s_mov_b32 s10, 0x7f800001
	s_xor_b64 s[4:5], exec, -1
; %bb.3159:
	s_or_b64 exec, exec, s[8:9]
	s_and_b64 s[4:5], s[4:5], exec
                                        ; implicit-def: $vgpr11
	s_or_saveexec_b64 s[6:7], s[6:7]
	v_mov_b32_e32 v14, s10
	s_xor_b64 exec, exec, s[6:7]
	s_cbranch_execz .LBB20_1110
.LBB20_3160:
	v_cmp_ne_u16_e32 vcc, 0, v11
	s_andn2_b64 s[4:5], s[4:5], exec
	s_and_b64 s[8:9], vcc, exec
	v_mov_b32_e32 v14, 0
	s_or_b64 s[4:5], s[4:5], s[8:9]
	s_or_b64 exec, exec, s[6:7]
	s_and_saveexec_b64 s[6:7], s[4:5]
	s_cbranch_execnz .LBB20_1111
	s_branch .LBB20_1112
.LBB20_3161:
	s_movk_i32 s4, 0x80
	v_cmp_eq_u16_sdwa s[12:13], v16, s4 src0_sel:BYTE_3 src1_sel:DWORD
	s_mov_b64 s[4:5], -1
                                        ; implicit-def: $sgpr10
	s_and_saveexec_b64 s[8:9], s[12:13]
; %bb.3162:
	s_mov_b32 s10, 0x7f800001
	s_xor_b64 s[4:5], exec, -1
; %bb.3163:
	s_or_b64 exec, exec, s[8:9]
	s_and_b64 s[4:5], s[4:5], exec
	s_or_saveexec_b64 s[6:7], s[6:7]
	v_mov_b32_e32 v10, s10
	s_xor_b64 exec, exec, s[6:7]
	s_cbranch_execz .LBB20_1114
.LBB20_3164:
	v_mov_b32_e32 v10, 0
	v_cmp_ne_u16_sdwa s[8:9], v16, v10 src0_sel:BYTE_3 src1_sel:DWORD
	s_andn2_b64 s[4:5], s[4:5], exec
	s_and_b64 s[8:9], s[8:9], exec
	s_or_b64 s[4:5], s[4:5], s[8:9]
	s_or_b64 exec, exec, s[6:7]
	s_and_saveexec_b64 s[6:7], s[4:5]
	s_cbranch_execnz .LBB20_1115
	s_branch .LBB20_1116
.LBB20_3165:
	s_movk_i32 s4, 0x80
	v_cmp_eq_u16_sdwa s[12:13], v12, s4 src0_sel:BYTE_3 src1_sel:DWORD
	s_mov_b64 s[4:5], -1
                                        ; implicit-def: $sgpr10
	s_and_saveexec_b64 s[8:9], s[12:13]
; %bb.3166:
	s_mov_b32 s10, 0x7f800001
	s_xor_b64 s[4:5], exec, -1
; %bb.3167:
	s_or_b64 exec, exec, s[8:9]
	s_and_b64 s[4:5], s[4:5], exec
	s_or_saveexec_b64 s[6:7], s[6:7]
	v_mov_b32_e32 v11, s10
	s_xor_b64 exec, exec, s[6:7]
	s_cbranch_execz .LBB20_1118
.LBB20_3168:
	v_mov_b32_e32 v11, 0
	v_cmp_ne_u16_sdwa s[8:9], v12, v11 src0_sel:BYTE_3 src1_sel:DWORD
	s_andn2_b64 s[4:5], s[4:5], exec
	s_and_b64 s[8:9], s[8:9], exec
	s_or_b64 s[4:5], s[4:5], s[8:9]
	s_or_b64 exec, exec, s[6:7]
	s_and_saveexec_b64 s[6:7], s[4:5]
	s_cbranch_execnz .LBB20_1119
	s_branch .LBB20_1120
.LBB20_3169:
	s_movk_i32 s4, 0x80
	v_cmp_eq_u16_sdwa s[12:13], v17, s4 src0_sel:BYTE_0 src1_sel:DWORD
	s_mov_b64 s[4:5], -1
                                        ; implicit-def: $sgpr10
	s_and_saveexec_b64 s[8:9], s[12:13]
; %bb.3170:
	s_mov_b32 s10, 0x7f800001
	s_xor_b64 s[4:5], exec, -1
; %bb.3171:
	s_or_b64 exec, exec, s[8:9]
	s_and_b64 s[4:5], s[4:5], exec
	s_or_saveexec_b64 s[6:7], s[6:7]
	v_mov_b32_e32 v10, s10
	s_xor_b64 exec, exec, s[6:7]
	s_cbranch_execz .LBB20_1122
.LBB20_3172:
	v_mov_b32_e32 v10, 0
	v_cmp_ne_u16_sdwa s[8:9], v17, v10 src0_sel:BYTE_0 src1_sel:DWORD
	s_andn2_b64 s[4:5], s[4:5], exec
	s_and_b64 s[8:9], s[8:9], exec
	s_or_b64 s[4:5], s[4:5], s[8:9]
	s_or_b64 exec, exec, s[6:7]
	s_and_saveexec_b64 s[6:7], s[4:5]
	s_cbranch_execnz .LBB20_1123
	s_branch .LBB20_1124
.LBB20_3173:
	s_movk_i32 s4, 0x80
	v_cmp_eq_u16_sdwa s[12:13], v13, s4 src0_sel:BYTE_0 src1_sel:DWORD
	s_mov_b64 s[4:5], -1
                                        ; implicit-def: $sgpr10
	s_and_saveexec_b64 s[8:9], s[12:13]
; %bb.3174:
	s_mov_b32 s10, 0x7f800001
	s_xor_b64 s[4:5], exec, -1
; %bb.3175:
	s_or_b64 exec, exec, s[8:9]
	s_and_b64 s[4:5], s[4:5], exec
	s_or_saveexec_b64 s[6:7], s[6:7]
	v_mov_b32_e32 v11, s10
	s_xor_b64 exec, exec, s[6:7]
	s_cbranch_execz .LBB20_1126
.LBB20_3176:
	v_mov_b32_e32 v11, 0
	v_cmp_ne_u16_sdwa s[8:9], v13, v11 src0_sel:BYTE_0 src1_sel:DWORD
	s_andn2_b64 s[4:5], s[4:5], exec
	s_and_b64 s[8:9], s[8:9], exec
	s_or_b64 s[4:5], s[4:5], s[8:9]
	s_or_b64 exec, exec, s[6:7]
	s_and_saveexec_b64 s[6:7], s[4:5]
	s_cbranch_execnz .LBB20_1127
	s_branch .LBB20_1128
.LBB20_3177:
	s_movk_i32 s4, 0x80
	v_cmp_eq_u16_sdwa s[12:13], v11, s4 src0_sel:BYTE_0 src1_sel:DWORD
	s_mov_b64 s[4:5], -1
                                        ; implicit-def: $sgpr10
	s_and_saveexec_b64 s[8:9], s[12:13]
; %bb.3178:
	s_mov_b32 s10, 0x7f800001
	s_xor_b64 s[4:5], exec, -1
; %bb.3179:
	s_or_b64 exec, exec, s[8:9]
	s_and_b64 s[4:5], s[4:5], exec
	s_or_saveexec_b64 s[6:7], s[6:7]
	v_mov_b32_e32 v10, s10
	s_xor_b64 exec, exec, s[6:7]
	s_cbranch_execz .LBB20_1130
.LBB20_3180:
	v_mov_b32_e32 v10, 0
	v_cmp_ne_u16_sdwa s[8:9], v11, v10 src0_sel:BYTE_0 src1_sel:DWORD
	s_andn2_b64 s[4:5], s[4:5], exec
	s_and_b64 s[8:9], s[8:9], exec
	s_or_b64 s[4:5], s[4:5], s[8:9]
	s_or_b64 exec, exec, s[6:7]
	s_and_saveexec_b64 s[6:7], s[4:5]
	s_cbranch_execnz .LBB20_1131
	s_branch .LBB20_1132
.LBB20_3181:
	s_movk_i32 s4, 0x80
	v_cmp_eq_u16_sdwa s[12:13], v11, s4 src0_sel:BYTE_0 src1_sel:DWORD
	s_mov_b64 s[4:5], -1
                                        ; implicit-def: $sgpr10
	s_and_saveexec_b64 s[8:9], s[12:13]
; %bb.3182:
	s_mov_b32 s10, 0x7f800001
	s_xor_b64 s[4:5], exec, -1
; %bb.3183:
	s_or_b64 exec, exec, s[8:9]
	s_and_b64 s[4:5], s[4:5], exec
	s_or_saveexec_b64 s[6:7], s[6:7]
	v_mov_b32_e32 v12, s10
	s_xor_b64 exec, exec, s[6:7]
	s_cbranch_execz .LBB20_1134
.LBB20_3184:
	v_mov_b32_e32 v12, 0
	v_cmp_ne_u16_sdwa s[8:9], v11, v12 src0_sel:BYTE_0 src1_sel:DWORD
	s_andn2_b64 s[4:5], s[4:5], exec
	s_and_b64 s[8:9], s[8:9], exec
	s_or_b64 s[4:5], s[4:5], s[8:9]
	s_or_b64 exec, exec, s[6:7]
	s_and_saveexec_b64 s[6:7], s[4:5]
	s_cbranch_execnz .LBB20_1135
	s_branch .LBB20_1136
.LBB20_3185:
	s_movk_i32 s4, 0x80
	v_cmp_eq_u16_e32 vcc, s4, v11
	s_mov_b64 s[4:5], -1
                                        ; implicit-def: $sgpr10
	s_and_saveexec_b64 s[8:9], vcc
; %bb.3186:
	s_mov_b32 s10, 0x7f800001
	s_xor_b64 s[4:5], exec, -1
; %bb.3187:
	s_or_b64 exec, exec, s[8:9]
	s_and_b64 s[4:5], s[4:5], exec
                                        ; implicit-def: $vgpr11
	s_or_saveexec_b64 s[6:7], s[6:7]
	v_mov_b32_e32 v10, s10
	s_xor_b64 exec, exec, s[6:7]
	s_cbranch_execz .LBB20_1138
.LBB20_3188:
	v_cmp_ne_u16_e32 vcc, 0, v11
	s_andn2_b64 s[4:5], s[4:5], exec
	s_and_b64 s[8:9], vcc, exec
	v_mov_b32_e32 v10, 0
	s_or_b64 s[4:5], s[4:5], s[8:9]
	s_or_b64 exec, exec, s[6:7]
	s_and_saveexec_b64 s[6:7], s[4:5]
	s_cbranch_execnz .LBB20_1139
	s_branch .LBB20_1140
.LBB20_3189:
	s_movk_i32 s4, 0x80
	v_cmp_eq_u16_e32 vcc, s4, v11
	s_mov_b64 s[4:5], -1
                                        ; implicit-def: $sgpr10
	s_and_saveexec_b64 s[8:9], vcc
; %bb.3190:
	s_mov_b32 s10, 0x7f800001
	s_xor_b64 s[4:5], exec, -1
; %bb.3191:
	s_or_b64 exec, exec, s[8:9]
	s_and_b64 s[4:5], s[4:5], exec
                                        ; implicit-def: $vgpr11
	s_or_saveexec_b64 s[6:7], s[6:7]
	v_mov_b32_e32 v12, s10
	s_xor_b64 exec, exec, s[6:7]
	s_cbranch_execz .LBB20_1142
.LBB20_3192:
	v_cmp_ne_u16_e32 vcc, 0, v11
	s_andn2_b64 s[4:5], s[4:5], exec
	s_and_b64 s[8:9], vcc, exec
	v_mov_b32_e32 v12, 0
	s_or_b64 s[4:5], s[4:5], s[8:9]
	s_or_b64 exec, exec, s[6:7]
	s_and_saveexec_b64 s[6:7], s[4:5]
	s_cbranch_execnz .LBB20_1143
	s_branch .LBB20_1144
.LBB20_3193:
	s_movk_i32 s4, 0x80
	v_cmp_eq_u16_sdwa s[12:13], v17, s4 src0_sel:BYTE_3 src1_sel:DWORD
	s_mov_b64 s[4:5], -1
                                        ; implicit-def: $sgpr10
	s_and_saveexec_b64 s[8:9], s[12:13]
; %bb.3194:
	s_mov_b32 s10, 0x7f800001
	s_xor_b64 s[4:5], exec, -1
; %bb.3195:
	s_or_b64 exec, exec, s[8:9]
	s_and_b64 s[4:5], s[4:5], exec
	s_or_saveexec_b64 s[6:7], s[6:7]
	v_mov_b32_e32 v10, s10
	s_xor_b64 exec, exec, s[6:7]
	s_cbranch_execz .LBB20_1146
.LBB20_3196:
	v_mov_b32_e32 v10, 0
	v_cmp_ne_u16_sdwa s[8:9], v17, v10 src0_sel:BYTE_3 src1_sel:DWORD
	s_andn2_b64 s[4:5], s[4:5], exec
	s_and_b64 s[8:9], s[8:9], exec
	s_or_b64 s[4:5], s[4:5], s[8:9]
	s_or_b64 exec, exec, s[6:7]
	s_and_saveexec_b64 s[6:7], s[4:5]
	s_cbranch_execnz .LBB20_1147
	s_branch .LBB20_1148
.LBB20_3197:
	s_movk_i32 s4, 0x80
	v_cmp_eq_u16_sdwa s[12:13], v13, s4 src0_sel:BYTE_3 src1_sel:DWORD
	s_mov_b64 s[4:5], -1
                                        ; implicit-def: $sgpr10
	s_and_saveexec_b64 s[8:9], s[12:13]
; %bb.3198:
	s_mov_b32 s10, 0x7f800001
	s_xor_b64 s[4:5], exec, -1
; %bb.3199:
	s_or_b64 exec, exec, s[8:9]
	s_and_b64 s[4:5], s[4:5], exec
	s_or_saveexec_b64 s[6:7], s[6:7]
	v_mov_b32_e32 v11, s10
	s_xor_b64 exec, exec, s[6:7]
	s_cbranch_execz .LBB20_1150
.LBB20_3200:
	v_mov_b32_e32 v11, 0
	v_cmp_ne_u16_sdwa s[8:9], v13, v11 src0_sel:BYTE_3 src1_sel:DWORD
	s_andn2_b64 s[4:5], s[4:5], exec
	s_and_b64 s[8:9], s[8:9], exec
	s_or_b64 s[4:5], s[4:5], s[8:9]
	s_or_b64 exec, exec, s[6:7]
	s_and_saveexec_b64 s[6:7], s[4:5]
	s_cbranch_execnz .LBB20_1151
	s_branch .LBB20_1152
.LBB20_3201:
	s_movk_i32 s4, 0x80
	v_cmp_eq_u16_sdwa s[12:13], v6, s4 src0_sel:BYTE_0 src1_sel:DWORD
	s_mov_b64 s[4:5], -1
                                        ; implicit-def: $sgpr10
	s_and_saveexec_b64 s[8:9], s[12:13]
; %bb.3202:
	s_mov_b32 s10, 0x7f800001
	s_xor_b64 s[4:5], exec, -1
; %bb.3203:
	s_or_b64 exec, exec, s[8:9]
	s_and_b64 s[4:5], s[4:5], exec
	s_or_saveexec_b64 s[6:7], s[6:7]
	v_mov_b32_e32 v10, s10
	s_xor_b64 exec, exec, s[6:7]
	s_cbranch_execz .LBB20_1154
.LBB20_3204:
	v_mov_b32_e32 v10, 0
	v_cmp_ne_u16_sdwa s[8:9], v6, v10 src0_sel:BYTE_0 src1_sel:DWORD
	s_andn2_b64 s[4:5], s[4:5], exec
	s_and_b64 s[8:9], s[8:9], exec
	s_or_b64 s[4:5], s[4:5], s[8:9]
	s_or_b64 exec, exec, s[6:7]
	s_and_saveexec_b64 s[6:7], s[4:5]
	s_cbranch_execnz .LBB20_1155
	s_branch .LBB20_1156
.LBB20_3205:
	s_movk_i32 s4, 0x80
	v_cmp_eq_u16_sdwa s[12:13], v2, s4 src0_sel:BYTE_0 src1_sel:DWORD
	s_mov_b64 s[4:5], -1
                                        ; implicit-def: $sgpr10
	s_and_saveexec_b64 s[8:9], s[12:13]
; %bb.3206:
	s_mov_b32 s10, 0x7f800001
	s_xor_b64 s[4:5], exec, -1
; %bb.3207:
	s_or_b64 exec, exec, s[8:9]
	s_and_b64 s[4:5], s[4:5], exec
	s_or_saveexec_b64 s[6:7], s[6:7]
	v_mov_b32_e32 v11, s10
	s_xor_b64 exec, exec, s[6:7]
	s_cbranch_execz .LBB20_1158
.LBB20_3208:
	v_mov_b32_e32 v11, 0
	v_cmp_ne_u16_sdwa s[8:9], v2, v11 src0_sel:BYTE_0 src1_sel:DWORD
	s_andn2_b64 s[4:5], s[4:5], exec
	s_and_b64 s[8:9], s[8:9], exec
	s_or_b64 s[4:5], s[4:5], s[8:9]
	s_or_b64 exec, exec, s[6:7]
	s_and_saveexec_b64 s[6:7], s[4:5]
	s_cbranch_execnz .LBB20_1159
	s_branch .LBB20_1160
.LBB20_3209:
	s_movk_i32 s4, 0x80
	v_cmp_eq_u16_sdwa s[12:13], v11, s4 src0_sel:BYTE_0 src1_sel:DWORD
	s_mov_b64 s[4:5], -1
                                        ; implicit-def: $sgpr10
	s_and_saveexec_b64 s[8:9], s[12:13]
; %bb.3210:
	s_mov_b32 s10, 0x7f800001
	s_xor_b64 s[4:5], exec, -1
; %bb.3211:
	s_or_b64 exec, exec, s[8:9]
	s_and_b64 s[4:5], s[4:5], exec
	s_or_saveexec_b64 s[6:7], s[6:7]
	v_mov_b32_e32 v10, s10
	s_xor_b64 exec, exec, s[6:7]
	s_cbranch_execz .LBB20_1162
.LBB20_3212:
	v_mov_b32_e32 v10, 0
	v_cmp_ne_u16_sdwa s[8:9], v11, v10 src0_sel:BYTE_0 src1_sel:DWORD
	s_andn2_b64 s[4:5], s[4:5], exec
	s_and_b64 s[8:9], s[8:9], exec
	s_or_b64 s[4:5], s[4:5], s[8:9]
	s_or_b64 exec, exec, s[6:7]
	s_and_saveexec_b64 s[6:7], s[4:5]
	s_cbranch_execnz .LBB20_1163
	s_branch .LBB20_1164
.LBB20_3213:
	s_movk_i32 s4, 0x80
	v_cmp_eq_u16_sdwa s[12:13], v11, s4 src0_sel:BYTE_0 src1_sel:DWORD
	s_mov_b64 s[4:5], -1
                                        ; implicit-def: $sgpr10
	s_and_saveexec_b64 s[8:9], s[12:13]
; %bb.3214:
	s_mov_b32 s10, 0x7f800001
	s_xor_b64 s[4:5], exec, -1
; %bb.3215:
	s_or_b64 exec, exec, s[8:9]
	s_and_b64 s[4:5], s[4:5], exec
	s_or_saveexec_b64 s[6:7], s[6:7]
	v_mov_b32_e32 v12, s10
	s_xor_b64 exec, exec, s[6:7]
	s_cbranch_execz .LBB20_1166
.LBB20_3216:
	v_mov_b32_e32 v12, 0
	v_cmp_ne_u16_sdwa s[8:9], v11, v12 src0_sel:BYTE_0 src1_sel:DWORD
	s_andn2_b64 s[4:5], s[4:5], exec
	s_and_b64 s[8:9], s[8:9], exec
	s_or_b64 s[4:5], s[4:5], s[8:9]
	s_or_b64 exec, exec, s[6:7]
	s_and_saveexec_b64 s[6:7], s[4:5]
	s_cbranch_execnz .LBB20_1167
	s_branch .LBB20_1168
.LBB20_3217:
	s_movk_i32 s4, 0x80
	v_cmp_eq_u16_e32 vcc, s4, v11
	s_mov_b64 s[4:5], -1
                                        ; implicit-def: $sgpr10
	s_and_saveexec_b64 s[8:9], vcc
; %bb.3218:
	s_mov_b32 s10, 0x7f800001
	s_xor_b64 s[4:5], exec, -1
; %bb.3219:
	s_or_b64 exec, exec, s[8:9]
	s_and_b64 s[4:5], s[4:5], exec
                                        ; implicit-def: $vgpr11
	s_or_saveexec_b64 s[6:7], s[6:7]
	v_mov_b32_e32 v10, s10
	s_xor_b64 exec, exec, s[6:7]
	s_cbranch_execz .LBB20_1170
.LBB20_3220:
	v_cmp_ne_u16_e32 vcc, 0, v11
	s_andn2_b64 s[4:5], s[4:5], exec
	s_and_b64 s[8:9], vcc, exec
	v_mov_b32_e32 v10, 0
	s_or_b64 s[4:5], s[4:5], s[8:9]
	s_or_b64 exec, exec, s[6:7]
	s_and_saveexec_b64 s[6:7], s[4:5]
	s_cbranch_execnz .LBB20_1171
	s_branch .LBB20_1172
.LBB20_3221:
	s_movk_i32 s4, 0x80
	v_cmp_eq_u16_e32 vcc, s4, v11
	s_mov_b64 s[4:5], -1
                                        ; implicit-def: $sgpr10
	s_and_saveexec_b64 s[8:9], vcc
; %bb.3222:
	s_mov_b32 s10, 0x7f800001
	s_xor_b64 s[4:5], exec, -1
; %bb.3223:
	s_or_b64 exec, exec, s[8:9]
	s_and_b64 s[4:5], s[4:5], exec
                                        ; implicit-def: $vgpr11
	s_or_saveexec_b64 s[6:7], s[6:7]
	v_mov_b32_e32 v12, s10
	s_xor_b64 exec, exec, s[6:7]
	s_cbranch_execz .LBB20_1174
.LBB20_3224:
	v_cmp_ne_u16_e32 vcc, 0, v11
	s_andn2_b64 s[4:5], s[4:5], exec
	s_and_b64 s[8:9], vcc, exec
	v_mov_b32_e32 v12, 0
	s_or_b64 s[4:5], s[4:5], s[8:9]
	s_or_b64 exec, exec, s[6:7]
	s_and_saveexec_b64 s[6:7], s[4:5]
	s_cbranch_execnz .LBB20_1175
	s_branch .LBB20_1176
.LBB20_3225:
	s_movk_i32 s4, 0x80
	v_cmp_eq_u16_sdwa s[12:13], v6, s4 src0_sel:BYTE_3 src1_sel:DWORD
	s_mov_b64 s[4:5], -1
                                        ; implicit-def: $sgpr10
	s_and_saveexec_b64 s[8:9], s[12:13]
; %bb.3226:
	s_mov_b32 s10, 0x7f800001
	s_xor_b64 s[4:5], exec, -1
; %bb.3227:
	s_or_b64 exec, exec, s[8:9]
	s_and_b64 s[4:5], s[4:5], exec
	s_or_saveexec_b64 s[6:7], s[6:7]
	v_mov_b32_e32 v10, s10
	s_xor_b64 exec, exec, s[6:7]
	s_cbranch_execz .LBB20_1178
.LBB20_3228:
	v_mov_b32_e32 v10, 0
	v_cmp_ne_u16_sdwa s[8:9], v6, v10 src0_sel:BYTE_3 src1_sel:DWORD
	s_andn2_b64 s[4:5], s[4:5], exec
	s_and_b64 s[8:9], s[8:9], exec
	s_or_b64 s[4:5], s[4:5], s[8:9]
	s_or_b64 exec, exec, s[6:7]
	s_and_saveexec_b64 s[6:7], s[4:5]
	s_cbranch_execnz .LBB20_1179
	s_branch .LBB20_1180
.LBB20_3229:
	s_movk_i32 s4, 0x80
	v_cmp_eq_u16_sdwa s[12:13], v2, s4 src0_sel:BYTE_3 src1_sel:DWORD
	s_mov_b64 s[4:5], -1
                                        ; implicit-def: $sgpr10
	s_and_saveexec_b64 s[8:9], s[12:13]
; %bb.3230:
	s_mov_b32 s10, 0x7f800001
	s_xor_b64 s[4:5], exec, -1
; %bb.3231:
	s_or_b64 exec, exec, s[8:9]
	s_and_b64 s[4:5], s[4:5], exec
	s_or_saveexec_b64 s[6:7], s[6:7]
	v_mov_b32_e32 v6, s10
	s_xor_b64 exec, exec, s[6:7]
	s_cbranch_execz .LBB20_1182
.LBB20_3232:
	v_mov_b32_e32 v6, 0
	v_cmp_ne_u16_sdwa s[8:9], v2, v6 src0_sel:BYTE_3 src1_sel:DWORD
	s_andn2_b64 s[4:5], s[4:5], exec
	s_and_b64 s[8:9], s[8:9], exec
	s_or_b64 s[4:5], s[4:5], s[8:9]
	s_or_b64 exec, exec, s[6:7]
	s_and_saveexec_b64 s[6:7], s[4:5]
	s_cbranch_execnz .LBB20_1183
	s_branch .LBB20_1184
.LBB20_3233:
	s_movk_i32 s4, 0x80
	v_cmp_eq_u16_sdwa s[12:13], v7, s4 src0_sel:BYTE_0 src1_sel:DWORD
	s_mov_b64 s[4:5], -1
                                        ; implicit-def: $sgpr10
	s_and_saveexec_b64 s[8:9], s[12:13]
; %bb.3234:
	s_mov_b32 s10, 0x7f800001
	s_xor_b64 s[4:5], exec, -1
; %bb.3235:
	s_or_b64 exec, exec, s[8:9]
	s_and_b64 s[4:5], s[4:5], exec
	s_or_saveexec_b64 s[6:7], s[6:7]
	v_mov_b32_e32 v2, s10
	s_xor_b64 exec, exec, s[6:7]
	s_cbranch_execz .LBB20_1186
.LBB20_3236:
	v_mov_b32_e32 v2, 0
	v_cmp_ne_u16_sdwa s[8:9], v7, v2 src0_sel:BYTE_0 src1_sel:DWORD
	s_andn2_b64 s[4:5], s[4:5], exec
	s_and_b64 s[8:9], s[8:9], exec
	s_or_b64 s[4:5], s[4:5], s[8:9]
	s_or_b64 exec, exec, s[6:7]
	s_and_saveexec_b64 s[6:7], s[4:5]
	s_cbranch_execnz .LBB20_1187
	s_branch .LBB20_1188
.LBB20_3237:
	s_movk_i32 s4, 0x80
	v_cmp_eq_u16_sdwa s[12:13], v3, s4 src0_sel:BYTE_0 src1_sel:DWORD
	s_mov_b64 s[4:5], -1
                                        ; implicit-def: $sgpr10
	s_and_saveexec_b64 s[8:9], s[12:13]
; %bb.3238:
	s_mov_b32 s10, 0x7f800001
	s_xor_b64 s[4:5], exec, -1
; %bb.3239:
	s_or_b64 exec, exec, s[8:9]
	s_and_b64 s[4:5], s[4:5], exec
	s_or_saveexec_b64 s[6:7], s[6:7]
	v_mov_b32_e32 v6, s10
	s_xor_b64 exec, exec, s[6:7]
	s_cbranch_execz .LBB20_1190
.LBB20_3240:
	v_mov_b32_e32 v6, 0
	v_cmp_ne_u16_sdwa s[8:9], v3, v6 src0_sel:BYTE_0 src1_sel:DWORD
	s_andn2_b64 s[4:5], s[4:5], exec
	s_and_b64 s[8:9], s[8:9], exec
	s_or_b64 s[4:5], s[4:5], s[8:9]
	s_or_b64 exec, exec, s[6:7]
	s_and_saveexec_b64 s[6:7], s[4:5]
	s_cbranch_execnz .LBB20_1191
	s_branch .LBB20_1192
.LBB20_3241:
	s_movk_i32 s4, 0x80
	v_cmp_eq_u16_sdwa s[12:13], v6, s4 src0_sel:BYTE_0 src1_sel:DWORD
	s_mov_b64 s[4:5], -1
                                        ; implicit-def: $sgpr10
	s_and_saveexec_b64 s[8:9], s[12:13]
; %bb.3242:
	s_mov_b32 s10, 0x7f800001
	s_xor_b64 s[4:5], exec, -1
; %bb.3243:
	s_or_b64 exec, exec, s[8:9]
	s_and_b64 s[4:5], s[4:5], exec
	s_or_saveexec_b64 s[6:7], s[6:7]
	v_mov_b32_e32 v2, s10
	s_xor_b64 exec, exec, s[6:7]
	s_cbranch_execz .LBB20_1194
.LBB20_3244:
	v_mov_b32_e32 v2, 0
	v_cmp_ne_u16_sdwa s[8:9], v6, v2 src0_sel:BYTE_0 src1_sel:DWORD
	s_andn2_b64 s[4:5], s[4:5], exec
	s_and_b64 s[8:9], s[8:9], exec
	s_or_b64 s[4:5], s[4:5], s[8:9]
	s_or_b64 exec, exec, s[6:7]
	s_and_saveexec_b64 s[6:7], s[4:5]
	s_cbranch_execnz .LBB20_1195
	s_branch .LBB20_1196
.LBB20_3245:
	s_movk_i32 s4, 0x80
	v_cmp_eq_u16_sdwa s[12:13], v6, s4 src0_sel:BYTE_0 src1_sel:DWORD
	s_mov_b64 s[4:5], -1
                                        ; implicit-def: $sgpr10
	s_and_saveexec_b64 s[8:9], s[12:13]
; %bb.3246:
	s_mov_b32 s10, 0x7f800001
	s_xor_b64 s[4:5], exec, -1
; %bb.3247:
	s_or_b64 exec, exec, s[8:9]
	s_and_b64 s[4:5], s[4:5], exec
	s_or_saveexec_b64 s[6:7], s[6:7]
	v_mov_b32_e32 v10, s10
	s_xor_b64 exec, exec, s[6:7]
	s_cbranch_execz .LBB20_1198
.LBB20_3248:
	v_mov_b32_e32 v10, 0
	v_cmp_ne_u16_sdwa s[8:9], v6, v10 src0_sel:BYTE_0 src1_sel:DWORD
	s_andn2_b64 s[4:5], s[4:5], exec
	s_and_b64 s[8:9], s[8:9], exec
	s_or_b64 s[4:5], s[4:5], s[8:9]
	s_or_b64 exec, exec, s[6:7]
	s_and_saveexec_b64 s[6:7], s[4:5]
	s_cbranch_execnz .LBB20_1199
	s_branch .LBB20_1200
.LBB20_3249:
	s_movk_i32 s4, 0x80
	v_cmp_eq_u16_e32 vcc, s4, v6
	s_mov_b64 s[4:5], -1
                                        ; implicit-def: $sgpr10
	s_and_saveexec_b64 s[8:9], vcc
; %bb.3250:
	s_mov_b32 s10, 0x7f800001
	s_xor_b64 s[4:5], exec, -1
; %bb.3251:
	s_or_b64 exec, exec, s[8:9]
	s_and_b64 s[4:5], s[4:5], exec
                                        ; implicit-def: $vgpr6
	s_or_saveexec_b64 s[6:7], s[6:7]
	v_mov_b32_e32 v2, s10
	s_xor_b64 exec, exec, s[6:7]
	s_cbranch_execz .LBB20_1202
.LBB20_3252:
	v_cmp_ne_u16_e32 vcc, 0, v6
	s_andn2_b64 s[4:5], s[4:5], exec
	s_and_b64 s[8:9], vcc, exec
	v_mov_b32_e32 v2, 0
	s_or_b64 s[4:5], s[4:5], s[8:9]
	s_or_b64 exec, exec, s[6:7]
	s_and_saveexec_b64 s[6:7], s[4:5]
	s_cbranch_execnz .LBB20_1203
	s_branch .LBB20_1204
.LBB20_3253:
	s_movk_i32 s4, 0x80
	v_cmp_eq_u16_e32 vcc, s4, v6
	s_mov_b64 s[4:5], -1
                                        ; implicit-def: $sgpr10
	s_and_saveexec_b64 s[8:9], vcc
; %bb.3254:
	s_mov_b32 s10, 0x7f800001
	s_xor_b64 s[4:5], exec, -1
; %bb.3255:
	s_or_b64 exec, exec, s[8:9]
	s_and_b64 s[4:5], s[4:5], exec
                                        ; implicit-def: $vgpr6
	s_or_saveexec_b64 s[6:7], s[6:7]
	v_mov_b32_e32 v10, s10
	s_xor_b64 exec, exec, s[6:7]
	s_cbranch_execz .LBB20_1206
.LBB20_3256:
	v_cmp_ne_u16_e32 vcc, 0, v6
	s_andn2_b64 s[4:5], s[4:5], exec
	s_and_b64 s[8:9], vcc, exec
	v_mov_b32_e32 v10, 0
	s_or_b64 s[4:5], s[4:5], s[8:9]
	s_or_b64 exec, exec, s[6:7]
	s_and_saveexec_b64 s[6:7], s[4:5]
	s_cbranch_execnz .LBB20_1207
	s_branch .LBB20_1208
.LBB20_3257:
	s_movk_i32 s4, 0x80
	v_cmp_eq_u16_sdwa s[12:13], v7, s4 src0_sel:BYTE_3 src1_sel:DWORD
	s_mov_b64 s[4:5], -1
                                        ; implicit-def: $sgpr10
	s_and_saveexec_b64 s[8:9], s[12:13]
; %bb.3258:
	s_mov_b32 s10, 0x7f800001
	s_xor_b64 s[4:5], exec, -1
; %bb.3259:
	s_or_b64 exec, exec, s[8:9]
	s_and_b64 s[4:5], s[4:5], exec
	s_or_saveexec_b64 s[6:7], s[6:7]
	v_mov_b32_e32 v2, s10
	s_xor_b64 exec, exec, s[6:7]
	s_cbranch_execz .LBB20_1210
.LBB20_3260:
	v_mov_b32_e32 v2, 0
	v_cmp_ne_u16_sdwa s[8:9], v7, v2 src0_sel:BYTE_3 src1_sel:DWORD
	s_andn2_b64 s[4:5], s[4:5], exec
	s_and_b64 s[8:9], s[8:9], exec
	s_or_b64 s[4:5], s[4:5], s[8:9]
	s_or_b64 exec, exec, s[6:7]
	s_and_saveexec_b64 s[6:7], s[4:5]
	s_cbranch_execnz .LBB20_1211
	s_branch .LBB20_1212
.LBB20_3261:
	s_movk_i32 s4, 0x80
	v_cmp_eq_u16_sdwa s[12:13], v3, s4 src0_sel:BYTE_3 src1_sel:DWORD
	s_mov_b64 s[4:5], -1
                                        ; implicit-def: $sgpr10
	s_and_saveexec_b64 s[8:9], s[12:13]
; %bb.3262:
	s_mov_b32 s10, 0x7f800001
	s_xor_b64 s[4:5], exec, -1
; %bb.3263:
	s_or_b64 exec, exec, s[8:9]
	s_and_b64 s[4:5], s[4:5], exec
	s_or_saveexec_b64 s[6:7], s[6:7]
	v_mov_b32_e32 v6, s10
	s_xor_b64 exec, exec, s[6:7]
	s_cbranch_execz .LBB20_1214
.LBB20_3264:
	v_mov_b32_e32 v6, 0
	v_cmp_ne_u16_sdwa s[8:9], v3, v6 src0_sel:BYTE_3 src1_sel:DWORD
	s_andn2_b64 s[4:5], s[4:5], exec
	s_and_b64 s[8:9], s[8:9], exec
	s_or_b64 s[4:5], s[4:5], s[8:9]
	s_or_b64 exec, exec, s[6:7]
	s_and_saveexec_b64 s[6:7], s[4:5]
	s_cbranch_execnz .LBB20_1215
	s_branch .LBB20_1216
.LBB20_3265:
	s_movk_i32 s4, 0x80
	v_cmp_eq_u16_sdwa s[12:13], v8, s4 src0_sel:BYTE_0 src1_sel:DWORD
	s_mov_b64 s[4:5], -1
                                        ; implicit-def: $sgpr10
	s_and_saveexec_b64 s[8:9], s[12:13]
; %bb.3266:
	s_mov_b32 s10, 0x7f800001
	s_xor_b64 s[4:5], exec, -1
; %bb.3267:
	s_or_b64 exec, exec, s[8:9]
	s_and_b64 s[4:5], s[4:5], exec
	s_or_saveexec_b64 s[6:7], s[6:7]
	v_mov_b32_e32 v2, s10
	s_xor_b64 exec, exec, s[6:7]
	s_cbranch_execz .LBB20_1218
.LBB20_3268:
	v_mov_b32_e32 v2, 0
	v_cmp_ne_u16_sdwa s[8:9], v8, v2 src0_sel:BYTE_0 src1_sel:DWORD
	s_andn2_b64 s[4:5], s[4:5], exec
	s_and_b64 s[8:9], s[8:9], exec
	s_or_b64 s[4:5], s[4:5], s[8:9]
	s_or_b64 exec, exec, s[6:7]
	s_and_saveexec_b64 s[6:7], s[4:5]
	s_cbranch_execnz .LBB20_1219
	s_branch .LBB20_1220
.LBB20_3269:
	s_movk_i32 s4, 0x80
	v_cmp_eq_u16_sdwa s[12:13], v4, s4 src0_sel:BYTE_0 src1_sel:DWORD
	s_mov_b64 s[4:5], -1
                                        ; implicit-def: $sgpr10
	s_and_saveexec_b64 s[8:9], s[12:13]
; %bb.3270:
	s_mov_b32 s10, 0x7f800001
	s_xor_b64 s[4:5], exec, -1
; %bb.3271:
	s_or_b64 exec, exec, s[8:9]
	s_and_b64 s[4:5], s[4:5], exec
	s_or_saveexec_b64 s[6:7], s[6:7]
	v_mov_b32_e32 v3, s10
	s_xor_b64 exec, exec, s[6:7]
	s_cbranch_execz .LBB20_1222
.LBB20_3272:
	v_mov_b32_e32 v3, 0
	v_cmp_ne_u16_sdwa s[8:9], v4, v3 src0_sel:BYTE_0 src1_sel:DWORD
	s_andn2_b64 s[4:5], s[4:5], exec
	s_and_b64 s[8:9], s[8:9], exec
	s_or_b64 s[4:5], s[4:5], s[8:9]
	s_or_b64 exec, exec, s[6:7]
	s_and_saveexec_b64 s[6:7], s[4:5]
	s_cbranch_execnz .LBB20_1223
	s_branch .LBB20_1224
.LBB20_3273:
	s_movk_i32 s4, 0x80
	v_cmp_eq_u16_sdwa s[12:13], v3, s4 src0_sel:BYTE_0 src1_sel:DWORD
	s_mov_b64 s[4:5], -1
                                        ; implicit-def: $sgpr10
	s_and_saveexec_b64 s[8:9], s[12:13]
; %bb.3274:
	s_mov_b32 s10, 0x7f800001
	s_xor_b64 s[4:5], exec, -1
; %bb.3275:
	s_or_b64 exec, exec, s[8:9]
	s_and_b64 s[4:5], s[4:5], exec
	s_or_saveexec_b64 s[6:7], s[6:7]
	v_mov_b32_e32 v2, s10
	s_xor_b64 exec, exec, s[6:7]
	s_cbranch_execz .LBB20_1226
.LBB20_3276:
	v_mov_b32_e32 v2, 0
	v_cmp_ne_u16_sdwa s[8:9], v3, v2 src0_sel:BYTE_0 src1_sel:DWORD
	s_andn2_b64 s[4:5], s[4:5], exec
	s_and_b64 s[8:9], s[8:9], exec
	s_or_b64 s[4:5], s[4:5], s[8:9]
	s_or_b64 exec, exec, s[6:7]
	s_and_saveexec_b64 s[6:7], s[4:5]
	s_cbranch_execnz .LBB20_1227
	s_branch .LBB20_1228
.LBB20_3277:
	s_movk_i32 s4, 0x80
	v_cmp_eq_u16_sdwa s[12:13], v3, s4 src0_sel:BYTE_0 src1_sel:DWORD
	s_mov_b64 s[4:5], -1
                                        ; implicit-def: $sgpr10
	s_and_saveexec_b64 s[8:9], s[12:13]
; %bb.3278:
	s_mov_b32 s10, 0x7f800001
	s_xor_b64 s[4:5], exec, -1
; %bb.3279:
	s_or_b64 exec, exec, s[8:9]
	s_and_b64 s[4:5], s[4:5], exec
	s_or_saveexec_b64 s[6:7], s[6:7]
	v_mov_b32_e32 v6, s10
	s_xor_b64 exec, exec, s[6:7]
	s_cbranch_execz .LBB20_1230
.LBB20_3280:
	v_mov_b32_e32 v6, 0
	v_cmp_ne_u16_sdwa s[8:9], v3, v6 src0_sel:BYTE_0 src1_sel:DWORD
	s_andn2_b64 s[4:5], s[4:5], exec
	s_and_b64 s[8:9], s[8:9], exec
	s_or_b64 s[4:5], s[4:5], s[8:9]
	s_or_b64 exec, exec, s[6:7]
	s_and_saveexec_b64 s[6:7], s[4:5]
	s_cbranch_execnz .LBB20_1231
	s_branch .LBB20_1232
.LBB20_3281:
	s_movk_i32 s4, 0x80
	v_cmp_eq_u16_e32 vcc, s4, v3
	s_mov_b64 s[4:5], -1
                                        ; implicit-def: $sgpr10
	s_and_saveexec_b64 s[8:9], vcc
; %bb.3282:
	s_mov_b32 s10, 0x7f800001
	s_xor_b64 s[4:5], exec, -1
; %bb.3283:
	s_or_b64 exec, exec, s[8:9]
	s_and_b64 s[4:5], s[4:5], exec
                                        ; implicit-def: $vgpr3
	s_or_saveexec_b64 s[6:7], s[6:7]
	v_mov_b32_e32 v2, s10
	s_xor_b64 exec, exec, s[6:7]
	s_cbranch_execz .LBB20_1234
.LBB20_3284:
	v_cmp_ne_u16_e32 vcc, 0, v3
	s_andn2_b64 s[4:5], s[4:5], exec
	s_and_b64 s[8:9], vcc, exec
	v_mov_b32_e32 v2, 0
	s_or_b64 s[4:5], s[4:5], s[8:9]
	s_or_b64 exec, exec, s[6:7]
	s_and_saveexec_b64 s[6:7], s[4:5]
	s_cbranch_execnz .LBB20_1235
	s_branch .LBB20_1236
.LBB20_3285:
	s_movk_i32 s4, 0x80
	v_cmp_eq_u16_e32 vcc, s4, v3
	s_mov_b64 s[4:5], -1
                                        ; implicit-def: $sgpr10
	s_and_saveexec_b64 s[8:9], vcc
; %bb.3286:
	s_mov_b32 s10, 0x7f800001
	s_xor_b64 s[4:5], exec, -1
; %bb.3287:
	s_or_b64 exec, exec, s[8:9]
	s_and_b64 s[4:5], s[4:5], exec
                                        ; implicit-def: $vgpr3
	s_or_saveexec_b64 s[6:7], s[6:7]
	v_mov_b32_e32 v6, s10
	s_xor_b64 exec, exec, s[6:7]
	s_cbranch_execz .LBB20_1238
.LBB20_3288:
	v_cmp_ne_u16_e32 vcc, 0, v3
	s_andn2_b64 s[4:5], s[4:5], exec
	s_and_b64 s[8:9], vcc, exec
	v_mov_b32_e32 v6, 0
	s_or_b64 s[4:5], s[4:5], s[8:9]
	s_or_b64 exec, exec, s[6:7]
	s_and_saveexec_b64 s[6:7], s[4:5]
	s_cbranch_execnz .LBB20_1239
	s_branch .LBB20_1240
.LBB20_3289:
	s_movk_i32 s4, 0x80
	v_cmp_eq_u16_sdwa s[12:13], v8, s4 src0_sel:BYTE_3 src1_sel:DWORD
	s_mov_b64 s[4:5], -1
                                        ; implicit-def: $sgpr10
	s_and_saveexec_b64 s[8:9], s[12:13]
; %bb.3290:
	s_mov_b32 s10, 0x7f800001
	s_xor_b64 s[4:5], exec, -1
; %bb.3291:
	s_or_b64 exec, exec, s[8:9]
	s_and_b64 s[4:5], s[4:5], exec
	s_or_saveexec_b64 s[6:7], s[6:7]
	v_mov_b32_e32 v2, s10
	s_xor_b64 exec, exec, s[6:7]
	s_cbranch_execz .LBB20_1242
.LBB20_3292:
	v_mov_b32_e32 v2, 0
	v_cmp_ne_u16_sdwa s[8:9], v8, v2 src0_sel:BYTE_3 src1_sel:DWORD
	s_andn2_b64 s[4:5], s[4:5], exec
	s_and_b64 s[8:9], s[8:9], exec
	s_or_b64 s[4:5], s[4:5], s[8:9]
	s_or_b64 exec, exec, s[6:7]
	s_and_saveexec_b64 s[6:7], s[4:5]
	s_cbranch_execnz .LBB20_1243
	s_branch .LBB20_1244
.LBB20_3293:
	s_movk_i32 s4, 0x80
	v_cmp_eq_u16_sdwa s[12:13], v4, s4 src0_sel:BYTE_3 src1_sel:DWORD
	s_mov_b64 s[4:5], -1
                                        ; implicit-def: $sgpr10
	s_and_saveexec_b64 s[8:9], s[12:13]
; %bb.3294:
	s_mov_b32 s10, 0x7f800001
	s_xor_b64 s[4:5], exec, -1
; %bb.3295:
	s_or_b64 exec, exec, s[8:9]
	s_and_b64 s[4:5], s[4:5], exec
	s_or_saveexec_b64 s[6:7], s[6:7]
	v_mov_b32_e32 v3, s10
	s_xor_b64 exec, exec, s[6:7]
	s_cbranch_execz .LBB20_1246
.LBB20_3296:
	v_mov_b32_e32 v3, 0
	v_cmp_ne_u16_sdwa s[8:9], v4, v3 src0_sel:BYTE_3 src1_sel:DWORD
	s_andn2_b64 s[4:5], s[4:5], exec
	s_and_b64 s[8:9], s[8:9], exec
	s_or_b64 s[4:5], s[4:5], s[8:9]
	s_or_b64 exec, exec, s[6:7]
	s_and_saveexec_b64 s[6:7], s[4:5]
	s_cbranch_execnz .LBB20_1247
	s_branch .LBB20_1248
.LBB20_3297:
	s_movk_i32 s4, 0x80
	v_cmp_eq_u16_sdwa s[12:13], v9, s4 src0_sel:BYTE_0 src1_sel:DWORD
	s_mov_b64 s[4:5], -1
                                        ; implicit-def: $sgpr10
	s_and_saveexec_b64 s[8:9], s[12:13]
; %bb.3298:
	s_mov_b32 s10, 0x7f800001
	s_xor_b64 s[4:5], exec, -1
; %bb.3299:
	s_or_b64 exec, exec, s[8:9]
	s_and_b64 s[4:5], s[4:5], exec
	s_or_saveexec_b64 s[6:7], s[6:7]
	v_mov_b32_e32 v2, s10
	s_xor_b64 exec, exec, s[6:7]
	s_cbranch_execz .LBB20_1250
.LBB20_3300:
	v_mov_b32_e32 v2, 0
	v_cmp_ne_u16_sdwa s[8:9], v9, v2 src0_sel:BYTE_0 src1_sel:DWORD
	s_andn2_b64 s[4:5], s[4:5], exec
	s_and_b64 s[8:9], s[8:9], exec
	s_or_b64 s[4:5], s[4:5], s[8:9]
	s_or_b64 exec, exec, s[6:7]
	s_and_saveexec_b64 s[6:7], s[4:5]
	s_cbranch_execnz .LBB20_1251
	s_branch .LBB20_1252
.LBB20_3301:
	s_movk_i32 s4, 0x80
	v_cmp_eq_u16_sdwa s[12:13], v5, s4 src0_sel:BYTE_0 src1_sel:DWORD
	s_mov_b64 s[4:5], -1
                                        ; implicit-def: $sgpr10
	s_and_saveexec_b64 s[8:9], s[12:13]
; %bb.3302:
	s_mov_b32 s10, 0x7f800001
	s_xor_b64 s[4:5], exec, -1
; %bb.3303:
	s_or_b64 exec, exec, s[8:9]
	s_and_b64 s[4:5], s[4:5], exec
	s_or_saveexec_b64 s[6:7], s[6:7]
	v_mov_b32_e32 v3, s10
	s_xor_b64 exec, exec, s[6:7]
	s_cbranch_execz .LBB20_1254
.LBB20_3304:
	v_mov_b32_e32 v3, 0
	v_cmp_ne_u16_sdwa s[8:9], v5, v3 src0_sel:BYTE_0 src1_sel:DWORD
	s_andn2_b64 s[4:5], s[4:5], exec
	s_and_b64 s[8:9], s[8:9], exec
	s_or_b64 s[4:5], s[4:5], s[8:9]
	s_or_b64 exec, exec, s[6:7]
	s_and_saveexec_b64 s[6:7], s[4:5]
	s_cbranch_execnz .LBB20_1255
	s_branch .LBB20_1256
.LBB20_3305:
	s_movk_i32 s4, 0x80
	v_cmp_eq_u16_sdwa s[12:13], v3, s4 src0_sel:BYTE_0 src1_sel:DWORD
	s_mov_b64 s[4:5], -1
                                        ; implicit-def: $sgpr10
	s_and_saveexec_b64 s[8:9], s[12:13]
; %bb.3306:
	s_mov_b32 s10, 0x7f800001
	s_xor_b64 s[4:5], exec, -1
; %bb.3307:
	s_or_b64 exec, exec, s[8:9]
	s_and_b64 s[4:5], s[4:5], exec
	s_or_saveexec_b64 s[6:7], s[6:7]
	v_mov_b32_e32 v2, s10
	s_xor_b64 exec, exec, s[6:7]
	s_cbranch_execz .LBB20_1258
.LBB20_3308:
	v_mov_b32_e32 v2, 0
	v_cmp_ne_u16_sdwa s[8:9], v3, v2 src0_sel:BYTE_0 src1_sel:DWORD
	s_andn2_b64 s[4:5], s[4:5], exec
	s_and_b64 s[8:9], s[8:9], exec
	s_or_b64 s[4:5], s[4:5], s[8:9]
	s_or_b64 exec, exec, s[6:7]
	s_and_saveexec_b64 s[6:7], s[4:5]
	s_cbranch_execnz .LBB20_1259
	s_branch .LBB20_1260
.LBB20_3309:
	s_movk_i32 s4, 0x80
	v_cmp_eq_u16_sdwa s[12:13], v3, s4 src0_sel:BYTE_0 src1_sel:DWORD
	s_mov_b64 s[4:5], -1
                                        ; implicit-def: $sgpr10
	s_and_saveexec_b64 s[8:9], s[12:13]
; %bb.3310:
	s_mov_b32 s10, 0x7f800001
	s_xor_b64 s[4:5], exec, -1
; %bb.3311:
	s_or_b64 exec, exec, s[8:9]
	s_and_b64 s[4:5], s[4:5], exec
	s_or_saveexec_b64 s[6:7], s[6:7]
	v_mov_b32_e32 v4, s10
	s_xor_b64 exec, exec, s[6:7]
	s_cbranch_execz .LBB20_1262
.LBB20_3312:
	v_mov_b32_e32 v4, 0
	v_cmp_ne_u16_sdwa s[8:9], v3, v4 src0_sel:BYTE_0 src1_sel:DWORD
	s_andn2_b64 s[4:5], s[4:5], exec
	s_and_b64 s[8:9], s[8:9], exec
	s_or_b64 s[4:5], s[4:5], s[8:9]
	s_or_b64 exec, exec, s[6:7]
	s_and_saveexec_b64 s[6:7], s[4:5]
	s_cbranch_execnz .LBB20_1263
	s_branch .LBB20_1264
.LBB20_3313:
	s_movk_i32 s4, 0x80
	v_cmp_eq_u16_e32 vcc, s4, v3
	s_mov_b64 s[4:5], -1
                                        ; implicit-def: $sgpr10
	s_and_saveexec_b64 s[8:9], vcc
; %bb.3314:
	s_mov_b32 s10, 0x7f800001
	s_xor_b64 s[4:5], exec, -1
; %bb.3315:
	s_or_b64 exec, exec, s[8:9]
	s_and_b64 s[4:5], s[4:5], exec
                                        ; implicit-def: $vgpr3
	s_or_saveexec_b64 s[6:7], s[6:7]
	v_mov_b32_e32 v2, s10
	s_xor_b64 exec, exec, s[6:7]
	s_cbranch_execz .LBB20_1266
.LBB20_3316:
	v_cmp_ne_u16_e32 vcc, 0, v3
	s_andn2_b64 s[4:5], s[4:5], exec
	s_and_b64 s[8:9], vcc, exec
	v_mov_b32_e32 v2, 0
	s_or_b64 s[4:5], s[4:5], s[8:9]
	s_or_b64 exec, exec, s[6:7]
	s_and_saveexec_b64 s[6:7], s[4:5]
	s_cbranch_execnz .LBB20_1267
	s_branch .LBB20_1268
.LBB20_3317:
	s_movk_i32 s4, 0x80
	v_cmp_eq_u16_e32 vcc, s4, v3
	s_mov_b64 s[4:5], -1
                                        ; implicit-def: $sgpr10
	s_and_saveexec_b64 s[8:9], vcc
; %bb.3318:
	s_mov_b32 s10, 0x7f800001
	s_xor_b64 s[4:5], exec, -1
; %bb.3319:
	s_or_b64 exec, exec, s[8:9]
	s_and_b64 s[4:5], s[4:5], exec
                                        ; implicit-def: $vgpr3
	s_or_saveexec_b64 s[6:7], s[6:7]
	v_mov_b32_e32 v4, s10
	s_xor_b64 exec, exec, s[6:7]
	s_cbranch_execz .LBB20_1270
.LBB20_3320:
	v_cmp_ne_u16_e32 vcc, 0, v3
	s_andn2_b64 s[4:5], s[4:5], exec
	s_and_b64 s[8:9], vcc, exec
	v_mov_b32_e32 v4, 0
	s_or_b64 s[4:5], s[4:5], s[8:9]
	s_or_b64 exec, exec, s[6:7]
	s_and_saveexec_b64 s[6:7], s[4:5]
	s_cbranch_execnz .LBB20_1271
	s_branch .LBB20_1272
.LBB20_3321:
	s_movk_i32 s4, 0x80
	v_cmp_eq_u16_sdwa s[12:13], v9, s4 src0_sel:BYTE_3 src1_sel:DWORD
	s_mov_b64 s[4:5], -1
                                        ; implicit-def: $sgpr10
	s_and_saveexec_b64 s[8:9], s[12:13]
; %bb.3322:
	s_mov_b32 s10, 0x7f800001
	s_xor_b64 s[4:5], exec, -1
; %bb.3323:
	s_or_b64 exec, exec, s[8:9]
	s_and_b64 s[4:5], s[4:5], exec
	s_or_saveexec_b64 s[6:7], s[6:7]
	v_mov_b32_e32 v2, s10
	s_xor_b64 exec, exec, s[6:7]
	s_cbranch_execz .LBB20_1274
.LBB20_3324:
	v_mov_b32_e32 v2, 0
	v_cmp_ne_u16_sdwa s[8:9], v9, v2 src0_sel:BYTE_3 src1_sel:DWORD
	s_andn2_b64 s[4:5], s[4:5], exec
	s_and_b64 s[8:9], s[8:9], exec
	s_or_b64 s[4:5], s[4:5], s[8:9]
	s_or_b64 exec, exec, s[6:7]
	s_and_saveexec_b64 s[6:7], s[4:5]
	s_cbranch_execnz .LBB20_1275
	s_branch .LBB20_1276
.LBB20_3325:
	s_movk_i32 s4, 0x80
	v_cmp_eq_u16_sdwa s[12:13], v5, s4 src0_sel:BYTE_3 src1_sel:DWORD
	s_mov_b64 s[4:5], -1
                                        ; implicit-def: $sgpr10
	s_and_saveexec_b64 s[8:9], s[12:13]
; %bb.3326:
	s_mov_b32 s10, 0x7f800001
	s_xor_b64 s[4:5], exec, -1
; %bb.3327:
	s_or_b64 exec, exec, s[8:9]
	s_and_b64 s[4:5], s[4:5], exec
	s_or_saveexec_b64 s[6:7], s[6:7]
	v_mov_b32_e32 v3, s10
	s_xor_b64 exec, exec, s[6:7]
	s_cbranch_execz .LBB20_1278
.LBB20_3328:
	v_mov_b32_e32 v3, 0
	v_cmp_ne_u16_sdwa s[8:9], v5, v3 src0_sel:BYTE_3 src1_sel:DWORD
	s_andn2_b64 s[4:5], s[4:5], exec
	s_and_b64 s[8:9], s[8:9], exec
	s_or_b64 s[4:5], s[4:5], s[8:9]
	s_or_b64 exec, exec, s[6:7]
	s_and_saveexec_b64 s[6:7], s[4:5]
	s_cbranch_execnz .LBB20_1279
	s_branch .LBB20_1280
.LBB20_3329:
	s_movk_i32 s4, 0x80
	v_cmp_eq_u16_sdwa s[12:13], v14, s4 src0_sel:BYTE_0 src1_sel:DWORD
	s_mov_b64 s[4:5], -1
                                        ; implicit-def: $sgpr10
	s_and_saveexec_b64 s[8:9], s[12:13]
; %bb.3330:
	s_mov_b32 s10, 0x7f800001
	s_xor_b64 s[4:5], exec, -1
; %bb.3331:
	s_or_b64 exec, exec, s[8:9]
	s_and_b64 s[4:5], s[4:5], exec
	s_or_saveexec_b64 s[6:7], s[6:7]
	v_mov_b32_e32 v20, s10
	s_xor_b64 exec, exec, s[6:7]
	s_cbranch_execz .LBB20_1282
.LBB20_3332:
	v_mov_b32_e32 v20, 0
	v_cmp_ne_u16_sdwa s[8:9], v14, v20 src0_sel:BYTE_0 src1_sel:DWORD
	s_andn2_b64 s[4:5], s[4:5], exec
	s_and_b64 s[8:9], s[8:9], exec
	s_or_b64 s[4:5], s[4:5], s[8:9]
	s_or_b64 exec, exec, s[6:7]
	s_and_saveexec_b64 s[6:7], s[4:5]
	s_cbranch_execnz .LBB20_1283
	s_branch .LBB20_1284
.LBB20_3333:
	s_movk_i32 s4, 0x80
	v_cmp_eq_u16_sdwa s[12:13], v10, s4 src0_sel:BYTE_0 src1_sel:DWORD
	s_mov_b64 s[4:5], -1
                                        ; implicit-def: $sgpr10
	s_and_saveexec_b64 s[8:9], s[12:13]
; %bb.3334:
	s_mov_b32 s10, 0x7f800001
	s_xor_b64 s[4:5], exec, -1
; %bb.3335:
	s_or_b64 exec, exec, s[8:9]
	s_and_b64 s[4:5], s[4:5], exec
	s_or_saveexec_b64 s[6:7], s[6:7]
	v_mov_b32_e32 v21, s10
	s_xor_b64 exec, exec, s[6:7]
	s_cbranch_execz .LBB20_1286
.LBB20_3336:
	v_mov_b32_e32 v21, 0
	v_cmp_ne_u16_sdwa s[8:9], v10, v21 src0_sel:BYTE_0 src1_sel:DWORD
	s_andn2_b64 s[4:5], s[4:5], exec
	s_and_b64 s[8:9], s[8:9], exec
	s_or_b64 s[4:5], s[4:5], s[8:9]
	s_or_b64 exec, exec, s[6:7]
	s_and_saveexec_b64 s[6:7], s[4:5]
	s_cbranch_execnz .LBB20_1287
	s_branch .LBB20_1288
.LBB20_3337:
	s_movk_i32 s4, 0x80
	v_cmp_eq_u16_sdwa s[12:13], v21, s4 src0_sel:BYTE_0 src1_sel:DWORD
	s_mov_b64 s[4:5], -1
                                        ; implicit-def: $sgpr10
	s_and_saveexec_b64 s[8:9], s[12:13]
; %bb.3338:
	s_mov_b32 s10, 0x7f800001
	s_xor_b64 s[4:5], exec, -1
; %bb.3339:
	s_or_b64 exec, exec, s[8:9]
	s_and_b64 s[4:5], s[4:5], exec
	s_or_saveexec_b64 s[6:7], s[6:7]
	v_mov_b32_e32 v20, s10
	s_xor_b64 exec, exec, s[6:7]
	s_cbranch_execz .LBB20_1290
.LBB20_3340:
	v_mov_b32_e32 v20, 0
	v_cmp_ne_u16_sdwa s[8:9], v21, v20 src0_sel:BYTE_0 src1_sel:DWORD
	s_andn2_b64 s[4:5], s[4:5], exec
	s_and_b64 s[8:9], s[8:9], exec
	s_or_b64 s[4:5], s[4:5], s[8:9]
	s_or_b64 exec, exec, s[6:7]
	s_and_saveexec_b64 s[6:7], s[4:5]
	s_cbranch_execnz .LBB20_1291
	s_branch .LBB20_1292
.LBB20_3341:
	s_movk_i32 s4, 0x80
	v_cmp_eq_u16_sdwa s[12:13], v21, s4 src0_sel:BYTE_0 src1_sel:DWORD
	s_mov_b64 s[4:5], -1
                                        ; implicit-def: $sgpr10
	s_and_saveexec_b64 s[8:9], s[12:13]
; %bb.3342:
	s_mov_b32 s10, 0x7f800001
	s_xor_b64 s[4:5], exec, -1
; %bb.3343:
	s_or_b64 exec, exec, s[8:9]
	s_and_b64 s[4:5], s[4:5], exec
	s_or_saveexec_b64 s[6:7], s[6:7]
	v_mov_b32_e32 v22, s10
	s_xor_b64 exec, exec, s[6:7]
	s_cbranch_execz .LBB20_1294
.LBB20_3344:
	v_mov_b32_e32 v22, 0
	v_cmp_ne_u16_sdwa s[8:9], v21, v22 src0_sel:BYTE_0 src1_sel:DWORD
	s_andn2_b64 s[4:5], s[4:5], exec
	s_and_b64 s[8:9], s[8:9], exec
	s_or_b64 s[4:5], s[4:5], s[8:9]
	s_or_b64 exec, exec, s[6:7]
	s_and_saveexec_b64 s[6:7], s[4:5]
	s_cbranch_execnz .LBB20_1295
	s_branch .LBB20_1296
.LBB20_3345:
	s_movk_i32 s4, 0x80
	v_cmp_eq_u16_e32 vcc, s4, v21
	s_mov_b64 s[4:5], -1
                                        ; implicit-def: $sgpr10
	s_and_saveexec_b64 s[8:9], vcc
; %bb.3346:
	s_mov_b32 s10, 0x7f800001
	s_xor_b64 s[4:5], exec, -1
; %bb.3347:
	s_or_b64 exec, exec, s[8:9]
	s_and_b64 s[4:5], s[4:5], exec
                                        ; implicit-def: $vgpr21
	s_or_saveexec_b64 s[6:7], s[6:7]
	v_mov_b32_e32 v20, s10
	s_xor_b64 exec, exec, s[6:7]
	s_cbranch_execz .LBB20_1298
.LBB20_3348:
	v_cmp_ne_u16_e32 vcc, 0, v21
	s_andn2_b64 s[4:5], s[4:5], exec
	s_and_b64 s[8:9], vcc, exec
	v_mov_b32_e32 v20, 0
	s_or_b64 s[4:5], s[4:5], s[8:9]
	s_or_b64 exec, exec, s[6:7]
	s_and_saveexec_b64 s[6:7], s[4:5]
	s_cbranch_execnz .LBB20_1299
	s_branch .LBB20_1300
.LBB20_3349:
	s_movk_i32 s4, 0x80
	v_cmp_eq_u16_e32 vcc, s4, v21
	s_mov_b64 s[4:5], -1
                                        ; implicit-def: $sgpr10
	s_and_saveexec_b64 s[8:9], vcc
; %bb.3350:
	s_mov_b32 s10, 0x7f800001
	s_xor_b64 s[4:5], exec, -1
; %bb.3351:
	s_or_b64 exec, exec, s[8:9]
	s_and_b64 s[4:5], s[4:5], exec
                                        ; implicit-def: $vgpr21
	s_or_saveexec_b64 s[6:7], s[6:7]
	v_mov_b32_e32 v22, s10
	s_xor_b64 exec, exec, s[6:7]
	s_cbranch_execz .LBB20_1302
.LBB20_3352:
	v_cmp_ne_u16_e32 vcc, 0, v21
	s_andn2_b64 s[4:5], s[4:5], exec
	s_and_b64 s[8:9], vcc, exec
	v_mov_b32_e32 v22, 0
	s_or_b64 s[4:5], s[4:5], s[8:9]
	s_or_b64 exec, exec, s[6:7]
	s_and_saveexec_b64 s[6:7], s[4:5]
	s_cbranch_execnz .LBB20_1303
	s_branch .LBB20_1304
.LBB20_3353:
	s_movk_i32 s4, 0x80
	v_cmp_eq_u16_sdwa s[12:13], v14, s4 src0_sel:BYTE_3 src1_sel:DWORD
	s_mov_b64 s[4:5], -1
                                        ; implicit-def: $sgpr10
	s_and_saveexec_b64 s[8:9], s[12:13]
; %bb.3354:
	s_mov_b32 s10, 0x7f800001
	s_xor_b64 s[4:5], exec, -1
; %bb.3355:
	s_or_b64 exec, exec, s[8:9]
	s_and_b64 s[4:5], s[4:5], exec
	s_or_saveexec_b64 s[6:7], s[6:7]
	v_mov_b32_e32 v20, s10
	s_xor_b64 exec, exec, s[6:7]
	s_cbranch_execz .LBB20_1306
.LBB20_3356:
	v_mov_b32_e32 v20, 0
	v_cmp_ne_u16_sdwa s[8:9], v14, v20 src0_sel:BYTE_3 src1_sel:DWORD
	s_andn2_b64 s[4:5], s[4:5], exec
	s_and_b64 s[8:9], s[8:9], exec
	s_or_b64 s[4:5], s[4:5], s[8:9]
	s_or_b64 exec, exec, s[6:7]
	s_and_saveexec_b64 s[6:7], s[4:5]
	s_cbranch_execnz .LBB20_1307
	s_branch .LBB20_1308
.LBB20_3357:
	s_movk_i32 s4, 0x80
	v_cmp_eq_u16_sdwa s[12:13], v10, s4 src0_sel:BYTE_3 src1_sel:DWORD
	s_mov_b64 s[4:5], -1
                                        ; implicit-def: $sgpr10
	s_and_saveexec_b64 s[8:9], s[12:13]
; %bb.3358:
	s_mov_b32 s10, 0x7f800001
	s_xor_b64 s[4:5], exec, -1
; %bb.3359:
	s_or_b64 exec, exec, s[8:9]
	s_and_b64 s[4:5], s[4:5], exec
	s_or_saveexec_b64 s[6:7], s[6:7]
	v_mov_b32_e32 v14, s10
	s_xor_b64 exec, exec, s[6:7]
	s_cbranch_execz .LBB20_1310
.LBB20_3360:
	v_mov_b32_e32 v14, 0
	v_cmp_ne_u16_sdwa s[8:9], v10, v14 src0_sel:BYTE_3 src1_sel:DWORD
	s_andn2_b64 s[4:5], s[4:5], exec
	s_and_b64 s[8:9], s[8:9], exec
	s_or_b64 s[4:5], s[4:5], s[8:9]
	s_or_b64 exec, exec, s[6:7]
	s_and_saveexec_b64 s[6:7], s[4:5]
	s_cbranch_execnz .LBB20_1311
	s_branch .LBB20_1312
.LBB20_3361:
	s_movk_i32 s4, 0x80
	v_cmp_eq_u16_sdwa s[12:13], v15, s4 src0_sel:BYTE_0 src1_sel:DWORD
	s_mov_b64 s[4:5], -1
                                        ; implicit-def: $sgpr10
	s_and_saveexec_b64 s[8:9], s[12:13]
; %bb.3362:
	s_mov_b32 s10, 0x7f800001
	s_xor_b64 s[4:5], exec, -1
; %bb.3363:
	s_or_b64 exec, exec, s[8:9]
	s_and_b64 s[4:5], s[4:5], exec
	s_or_saveexec_b64 s[6:7], s[6:7]
	v_mov_b32_e32 v10, s10
	s_xor_b64 exec, exec, s[6:7]
	s_cbranch_execz .LBB20_1314
.LBB20_3364:
	v_mov_b32_e32 v10, 0
	v_cmp_ne_u16_sdwa s[8:9], v15, v10 src0_sel:BYTE_0 src1_sel:DWORD
	s_andn2_b64 s[4:5], s[4:5], exec
	s_and_b64 s[8:9], s[8:9], exec
	s_or_b64 s[4:5], s[4:5], s[8:9]
	s_or_b64 exec, exec, s[6:7]
	s_and_saveexec_b64 s[6:7], s[4:5]
	s_cbranch_execnz .LBB20_1315
	s_branch .LBB20_1316
.LBB20_3365:
	s_movk_i32 s4, 0x80
	v_cmp_eq_u16_sdwa s[12:13], v11, s4 src0_sel:BYTE_0 src1_sel:DWORD
	s_mov_b64 s[4:5], -1
                                        ; implicit-def: $sgpr10
	s_and_saveexec_b64 s[8:9], s[12:13]
; %bb.3366:
	s_mov_b32 s10, 0x7f800001
	s_xor_b64 s[4:5], exec, -1
; %bb.3367:
	s_or_b64 exec, exec, s[8:9]
	s_and_b64 s[4:5], s[4:5], exec
	s_or_saveexec_b64 s[6:7], s[6:7]
	v_mov_b32_e32 v14, s10
	s_xor_b64 exec, exec, s[6:7]
	s_cbranch_execz .LBB20_1318
.LBB20_3368:
	v_mov_b32_e32 v14, 0
	v_cmp_ne_u16_sdwa s[8:9], v11, v14 src0_sel:BYTE_0 src1_sel:DWORD
	s_andn2_b64 s[4:5], s[4:5], exec
	s_and_b64 s[8:9], s[8:9], exec
	s_or_b64 s[4:5], s[4:5], s[8:9]
	s_or_b64 exec, exec, s[6:7]
	s_and_saveexec_b64 s[6:7], s[4:5]
	s_cbranch_execnz .LBB20_1319
	s_branch .LBB20_1320
.LBB20_3369:
	s_movk_i32 s4, 0x80
	v_cmp_eq_u16_sdwa s[12:13], v14, s4 src0_sel:BYTE_0 src1_sel:DWORD
	s_mov_b64 s[4:5], -1
                                        ; implicit-def: $sgpr10
	s_and_saveexec_b64 s[8:9], s[12:13]
; %bb.3370:
	s_mov_b32 s10, 0x7f800001
	s_xor_b64 s[4:5], exec, -1
; %bb.3371:
	s_or_b64 exec, exec, s[8:9]
	s_and_b64 s[4:5], s[4:5], exec
	s_or_saveexec_b64 s[6:7], s[6:7]
	v_mov_b32_e32 v10, s10
	s_xor_b64 exec, exec, s[6:7]
	s_cbranch_execz .LBB20_1322
.LBB20_3372:
	v_mov_b32_e32 v10, 0
	v_cmp_ne_u16_sdwa s[8:9], v14, v10 src0_sel:BYTE_0 src1_sel:DWORD
	s_andn2_b64 s[4:5], s[4:5], exec
	s_and_b64 s[8:9], s[8:9], exec
	s_or_b64 s[4:5], s[4:5], s[8:9]
	s_or_b64 exec, exec, s[6:7]
	s_and_saveexec_b64 s[6:7], s[4:5]
	s_cbranch_execnz .LBB20_1323
	s_branch .LBB20_1324
.LBB20_3373:
	s_movk_i32 s4, 0x80
	v_cmp_eq_u16_sdwa s[12:13], v14, s4 src0_sel:BYTE_0 src1_sel:DWORD
	s_mov_b64 s[4:5], -1
                                        ; implicit-def: $sgpr10
	s_and_saveexec_b64 s[8:9], s[12:13]
; %bb.3374:
	s_mov_b32 s10, 0x7f800001
	s_xor_b64 s[4:5], exec, -1
; %bb.3375:
	s_or_b64 exec, exec, s[8:9]
	s_and_b64 s[4:5], s[4:5], exec
	s_or_saveexec_b64 s[6:7], s[6:7]
	v_mov_b32_e32 v20, s10
	s_xor_b64 exec, exec, s[6:7]
	s_cbranch_execz .LBB20_1326
.LBB20_3376:
	v_mov_b32_e32 v20, 0
	v_cmp_ne_u16_sdwa s[8:9], v14, v20 src0_sel:BYTE_0 src1_sel:DWORD
	s_andn2_b64 s[4:5], s[4:5], exec
	s_and_b64 s[8:9], s[8:9], exec
	s_or_b64 s[4:5], s[4:5], s[8:9]
	s_or_b64 exec, exec, s[6:7]
	s_and_saveexec_b64 s[6:7], s[4:5]
	s_cbranch_execnz .LBB20_1327
	s_branch .LBB20_1328
.LBB20_3377:
	s_movk_i32 s4, 0x80
	v_cmp_eq_u16_e32 vcc, s4, v14
	s_mov_b64 s[4:5], -1
                                        ; implicit-def: $sgpr10
	s_and_saveexec_b64 s[8:9], vcc
; %bb.3378:
	s_mov_b32 s10, 0x7f800001
	s_xor_b64 s[4:5], exec, -1
; %bb.3379:
	s_or_b64 exec, exec, s[8:9]
	s_and_b64 s[4:5], s[4:5], exec
                                        ; implicit-def: $vgpr14
	s_or_saveexec_b64 s[6:7], s[6:7]
	v_mov_b32_e32 v10, s10
	s_xor_b64 exec, exec, s[6:7]
	s_cbranch_execz .LBB20_1330
.LBB20_3380:
	v_cmp_ne_u16_e32 vcc, 0, v14
	s_andn2_b64 s[4:5], s[4:5], exec
	s_and_b64 s[8:9], vcc, exec
	v_mov_b32_e32 v10, 0
	s_or_b64 s[4:5], s[4:5], s[8:9]
	s_or_b64 exec, exec, s[6:7]
	s_and_saveexec_b64 s[6:7], s[4:5]
	s_cbranch_execnz .LBB20_1331
	s_branch .LBB20_1332
.LBB20_3381:
	s_movk_i32 s4, 0x80
	v_cmp_eq_u16_e32 vcc, s4, v14
	s_mov_b64 s[4:5], -1
                                        ; implicit-def: $sgpr10
	s_and_saveexec_b64 s[8:9], vcc
; %bb.3382:
	s_mov_b32 s10, 0x7f800001
	s_xor_b64 s[4:5], exec, -1
; %bb.3383:
	s_or_b64 exec, exec, s[8:9]
	s_and_b64 s[4:5], s[4:5], exec
                                        ; implicit-def: $vgpr14
	s_or_saveexec_b64 s[6:7], s[6:7]
	v_mov_b32_e32 v20, s10
	s_xor_b64 exec, exec, s[6:7]
	s_cbranch_execz .LBB20_1334
.LBB20_3384:
	v_cmp_ne_u16_e32 vcc, 0, v14
	s_andn2_b64 s[4:5], s[4:5], exec
	s_and_b64 s[8:9], vcc, exec
	v_mov_b32_e32 v20, 0
	s_or_b64 s[4:5], s[4:5], s[8:9]
	s_or_b64 exec, exec, s[6:7]
	s_and_saveexec_b64 s[6:7], s[4:5]
	s_cbranch_execnz .LBB20_1335
	s_branch .LBB20_1336
.LBB20_3385:
	s_movk_i32 s4, 0x80
	v_cmp_eq_u16_sdwa s[12:13], v15, s4 src0_sel:BYTE_3 src1_sel:DWORD
	s_mov_b64 s[4:5], -1
                                        ; implicit-def: $sgpr10
	s_and_saveexec_b64 s[8:9], s[12:13]
; %bb.3386:
	s_mov_b32 s10, 0x7f800001
	s_xor_b64 s[4:5], exec, -1
; %bb.3387:
	s_or_b64 exec, exec, s[8:9]
	s_and_b64 s[4:5], s[4:5], exec
	s_or_saveexec_b64 s[6:7], s[6:7]
	v_mov_b32_e32 v10, s10
	s_xor_b64 exec, exec, s[6:7]
	s_cbranch_execz .LBB20_1338
.LBB20_3388:
	v_mov_b32_e32 v10, 0
	v_cmp_ne_u16_sdwa s[8:9], v15, v10 src0_sel:BYTE_3 src1_sel:DWORD
	s_andn2_b64 s[4:5], s[4:5], exec
	s_and_b64 s[8:9], s[8:9], exec
	s_or_b64 s[4:5], s[4:5], s[8:9]
	s_or_b64 exec, exec, s[6:7]
	s_and_saveexec_b64 s[6:7], s[4:5]
	s_cbranch_execnz .LBB20_1339
	s_branch .LBB20_1340
.LBB20_3389:
	s_movk_i32 s4, 0x80
	v_cmp_eq_u16_sdwa s[12:13], v11, s4 src0_sel:BYTE_3 src1_sel:DWORD
	s_mov_b64 s[4:5], -1
                                        ; implicit-def: $sgpr10
	s_and_saveexec_b64 s[8:9], s[12:13]
; %bb.3390:
	s_mov_b32 s10, 0x7f800001
	s_xor_b64 s[4:5], exec, -1
; %bb.3391:
	s_or_b64 exec, exec, s[8:9]
	s_and_b64 s[4:5], s[4:5], exec
	s_or_saveexec_b64 s[6:7], s[6:7]
	v_mov_b32_e32 v14, s10
	s_xor_b64 exec, exec, s[6:7]
	s_cbranch_execz .LBB20_1342
.LBB20_3392:
	v_mov_b32_e32 v14, 0
	v_cmp_ne_u16_sdwa s[8:9], v11, v14 src0_sel:BYTE_3 src1_sel:DWORD
	s_andn2_b64 s[4:5], s[4:5], exec
	s_and_b64 s[8:9], s[8:9], exec
	s_or_b64 s[4:5], s[4:5], s[8:9]
	s_or_b64 exec, exec, s[6:7]
	s_and_saveexec_b64 s[6:7], s[4:5]
	s_cbranch_execnz .LBB20_1343
	s_branch .LBB20_1344
.LBB20_3393:
	s_movk_i32 s4, 0x80
	v_cmp_eq_u16_sdwa s[12:13], v16, s4 src0_sel:BYTE_0 src1_sel:DWORD
	s_mov_b64 s[4:5], -1
                                        ; implicit-def: $sgpr10
	s_and_saveexec_b64 s[8:9], s[12:13]
; %bb.3394:
	s_mov_b32 s10, 0x7f800001
	s_xor_b64 s[4:5], exec, -1
; %bb.3395:
	s_or_b64 exec, exec, s[8:9]
	s_and_b64 s[4:5], s[4:5], exec
	s_or_saveexec_b64 s[6:7], s[6:7]
	v_mov_b32_e32 v10, s10
	s_xor_b64 exec, exec, s[6:7]
	s_cbranch_execz .LBB20_1346
.LBB20_3396:
	v_mov_b32_e32 v10, 0
	v_cmp_ne_u16_sdwa s[8:9], v16, v10 src0_sel:BYTE_0 src1_sel:DWORD
	s_andn2_b64 s[4:5], s[4:5], exec
	s_and_b64 s[8:9], s[8:9], exec
	s_or_b64 s[4:5], s[4:5], s[8:9]
	s_or_b64 exec, exec, s[6:7]
	s_and_saveexec_b64 s[6:7], s[4:5]
	s_cbranch_execnz .LBB20_1347
	s_branch .LBB20_1348
.LBB20_3397:
	s_movk_i32 s4, 0x80
	v_cmp_eq_u16_sdwa s[12:13], v12, s4 src0_sel:BYTE_0 src1_sel:DWORD
	s_mov_b64 s[4:5], -1
                                        ; implicit-def: $sgpr10
	s_and_saveexec_b64 s[8:9], s[12:13]
; %bb.3398:
	s_mov_b32 s10, 0x7f800001
	s_xor_b64 s[4:5], exec, -1
; %bb.3399:
	s_or_b64 exec, exec, s[8:9]
	s_and_b64 s[4:5], s[4:5], exec
	s_or_saveexec_b64 s[6:7], s[6:7]
	v_mov_b32_e32 v11, s10
	s_xor_b64 exec, exec, s[6:7]
	s_cbranch_execz .LBB20_1350
.LBB20_3400:
	v_mov_b32_e32 v11, 0
	v_cmp_ne_u16_sdwa s[8:9], v12, v11 src0_sel:BYTE_0 src1_sel:DWORD
	s_andn2_b64 s[4:5], s[4:5], exec
	s_and_b64 s[8:9], s[8:9], exec
	s_or_b64 s[4:5], s[4:5], s[8:9]
	s_or_b64 exec, exec, s[6:7]
	s_and_saveexec_b64 s[6:7], s[4:5]
	s_cbranch_execnz .LBB20_1351
	s_branch .LBB20_1352
.LBB20_3401:
	s_movk_i32 s4, 0x80
	v_cmp_eq_u16_sdwa s[12:13], v11, s4 src0_sel:BYTE_0 src1_sel:DWORD
	s_mov_b64 s[4:5], -1
                                        ; implicit-def: $sgpr10
	s_and_saveexec_b64 s[8:9], s[12:13]
; %bb.3402:
	s_mov_b32 s10, 0x7f800001
	s_xor_b64 s[4:5], exec, -1
; %bb.3403:
	s_or_b64 exec, exec, s[8:9]
	s_and_b64 s[4:5], s[4:5], exec
	s_or_saveexec_b64 s[6:7], s[6:7]
	v_mov_b32_e32 v10, s10
	s_xor_b64 exec, exec, s[6:7]
	s_cbranch_execz .LBB20_1354
.LBB20_3404:
	v_mov_b32_e32 v10, 0
	v_cmp_ne_u16_sdwa s[8:9], v11, v10 src0_sel:BYTE_0 src1_sel:DWORD
	s_andn2_b64 s[4:5], s[4:5], exec
	s_and_b64 s[8:9], s[8:9], exec
	s_or_b64 s[4:5], s[4:5], s[8:9]
	s_or_b64 exec, exec, s[6:7]
	s_and_saveexec_b64 s[6:7], s[4:5]
	s_cbranch_execnz .LBB20_1355
	s_branch .LBB20_1356
.LBB20_3405:
	s_movk_i32 s4, 0x80
	v_cmp_eq_u16_sdwa s[12:13], v11, s4 src0_sel:BYTE_0 src1_sel:DWORD
	s_mov_b64 s[4:5], -1
                                        ; implicit-def: $sgpr10
	s_and_saveexec_b64 s[8:9], s[12:13]
; %bb.3406:
	s_mov_b32 s10, 0x7f800001
	s_xor_b64 s[4:5], exec, -1
; %bb.3407:
	s_or_b64 exec, exec, s[8:9]
	s_and_b64 s[4:5], s[4:5], exec
	s_or_saveexec_b64 s[6:7], s[6:7]
	v_mov_b32_e32 v14, s10
	s_xor_b64 exec, exec, s[6:7]
	s_cbranch_execz .LBB20_1358
.LBB20_3408:
	v_mov_b32_e32 v14, 0
	v_cmp_ne_u16_sdwa s[8:9], v11, v14 src0_sel:BYTE_0 src1_sel:DWORD
	s_andn2_b64 s[4:5], s[4:5], exec
	s_and_b64 s[8:9], s[8:9], exec
	s_or_b64 s[4:5], s[4:5], s[8:9]
	s_or_b64 exec, exec, s[6:7]
	s_and_saveexec_b64 s[6:7], s[4:5]
	s_cbranch_execnz .LBB20_1359
	s_branch .LBB20_1360
.LBB20_3409:
	s_movk_i32 s4, 0x80
	v_cmp_eq_u16_e32 vcc, s4, v11
	s_mov_b64 s[4:5], -1
                                        ; implicit-def: $sgpr10
	s_and_saveexec_b64 s[8:9], vcc
; %bb.3410:
	s_mov_b32 s10, 0x7f800001
	s_xor_b64 s[4:5], exec, -1
; %bb.3411:
	s_or_b64 exec, exec, s[8:9]
	s_and_b64 s[4:5], s[4:5], exec
                                        ; implicit-def: $vgpr11
	s_or_saveexec_b64 s[6:7], s[6:7]
	v_mov_b32_e32 v10, s10
	s_xor_b64 exec, exec, s[6:7]
	s_cbranch_execz .LBB20_1362
.LBB20_3412:
	v_cmp_ne_u16_e32 vcc, 0, v11
	s_andn2_b64 s[4:5], s[4:5], exec
	s_and_b64 s[8:9], vcc, exec
	v_mov_b32_e32 v10, 0
	s_or_b64 s[4:5], s[4:5], s[8:9]
	s_or_b64 exec, exec, s[6:7]
	s_and_saveexec_b64 s[6:7], s[4:5]
	s_cbranch_execnz .LBB20_1363
	s_branch .LBB20_1364
.LBB20_3413:
	s_movk_i32 s4, 0x80
	v_cmp_eq_u16_e32 vcc, s4, v11
	s_mov_b64 s[4:5], -1
                                        ; implicit-def: $sgpr10
	s_and_saveexec_b64 s[8:9], vcc
; %bb.3414:
	s_mov_b32 s10, 0x7f800001
	s_xor_b64 s[4:5], exec, -1
; %bb.3415:
	s_or_b64 exec, exec, s[8:9]
	s_and_b64 s[4:5], s[4:5], exec
                                        ; implicit-def: $vgpr11
	s_or_saveexec_b64 s[6:7], s[6:7]
	v_mov_b32_e32 v14, s10
	s_xor_b64 exec, exec, s[6:7]
	s_cbranch_execz .LBB20_1366
.LBB20_3416:
	v_cmp_ne_u16_e32 vcc, 0, v11
	s_andn2_b64 s[4:5], s[4:5], exec
	s_and_b64 s[8:9], vcc, exec
	v_mov_b32_e32 v14, 0
	s_or_b64 s[4:5], s[4:5], s[8:9]
	s_or_b64 exec, exec, s[6:7]
	s_and_saveexec_b64 s[6:7], s[4:5]
	s_cbranch_execnz .LBB20_1367
	s_branch .LBB20_1368
.LBB20_3417:
	s_movk_i32 s4, 0x80
	v_cmp_eq_u16_sdwa s[12:13], v16, s4 src0_sel:BYTE_3 src1_sel:DWORD
	s_mov_b64 s[4:5], -1
                                        ; implicit-def: $sgpr10
	s_and_saveexec_b64 s[8:9], s[12:13]
; %bb.3418:
	s_mov_b32 s10, 0x7f800001
	s_xor_b64 s[4:5], exec, -1
; %bb.3419:
	s_or_b64 exec, exec, s[8:9]
	s_and_b64 s[4:5], s[4:5], exec
	s_or_saveexec_b64 s[6:7], s[6:7]
	v_mov_b32_e32 v10, s10
	s_xor_b64 exec, exec, s[6:7]
	s_cbranch_execz .LBB20_1370
.LBB20_3420:
	v_mov_b32_e32 v10, 0
	v_cmp_ne_u16_sdwa s[8:9], v16, v10 src0_sel:BYTE_3 src1_sel:DWORD
	s_andn2_b64 s[4:5], s[4:5], exec
	s_and_b64 s[8:9], s[8:9], exec
	s_or_b64 s[4:5], s[4:5], s[8:9]
	s_or_b64 exec, exec, s[6:7]
	s_and_saveexec_b64 s[6:7], s[4:5]
	s_cbranch_execnz .LBB20_1371
	s_branch .LBB20_1372
.LBB20_3421:
	s_movk_i32 s4, 0x80
	v_cmp_eq_u16_sdwa s[12:13], v12, s4 src0_sel:BYTE_3 src1_sel:DWORD
	s_mov_b64 s[4:5], -1
                                        ; implicit-def: $sgpr10
	s_and_saveexec_b64 s[8:9], s[12:13]
; %bb.3422:
	s_mov_b32 s10, 0x7f800001
	s_xor_b64 s[4:5], exec, -1
; %bb.3423:
	s_or_b64 exec, exec, s[8:9]
	s_and_b64 s[4:5], s[4:5], exec
	s_or_saveexec_b64 s[6:7], s[6:7]
	v_mov_b32_e32 v11, s10
	s_xor_b64 exec, exec, s[6:7]
	s_cbranch_execz .LBB20_1374
.LBB20_3424:
	v_mov_b32_e32 v11, 0
	v_cmp_ne_u16_sdwa s[8:9], v12, v11 src0_sel:BYTE_3 src1_sel:DWORD
	s_andn2_b64 s[4:5], s[4:5], exec
	s_and_b64 s[8:9], s[8:9], exec
	s_or_b64 s[4:5], s[4:5], s[8:9]
	s_or_b64 exec, exec, s[6:7]
	s_and_saveexec_b64 s[6:7], s[4:5]
	s_cbranch_execnz .LBB20_1375
	s_branch .LBB20_1376
.LBB20_3425:
	s_movk_i32 s4, 0x80
	v_cmp_eq_u16_sdwa s[12:13], v17, s4 src0_sel:BYTE_0 src1_sel:DWORD
	s_mov_b64 s[4:5], -1
                                        ; implicit-def: $sgpr10
	s_and_saveexec_b64 s[8:9], s[12:13]
; %bb.3426:
	s_mov_b32 s10, 0x7f800001
	s_xor_b64 s[4:5], exec, -1
; %bb.3427:
	s_or_b64 exec, exec, s[8:9]
	s_and_b64 s[4:5], s[4:5], exec
	s_or_saveexec_b64 s[6:7], s[6:7]
	v_mov_b32_e32 v10, s10
	s_xor_b64 exec, exec, s[6:7]
	s_cbranch_execz .LBB20_1378
.LBB20_3428:
	v_mov_b32_e32 v10, 0
	v_cmp_ne_u16_sdwa s[8:9], v17, v10 src0_sel:BYTE_0 src1_sel:DWORD
	s_andn2_b64 s[4:5], s[4:5], exec
	s_and_b64 s[8:9], s[8:9], exec
	s_or_b64 s[4:5], s[4:5], s[8:9]
	s_or_b64 exec, exec, s[6:7]
	s_and_saveexec_b64 s[6:7], s[4:5]
	s_cbranch_execnz .LBB20_1379
	s_branch .LBB20_1380
.LBB20_3429:
	s_movk_i32 s4, 0x80
	v_cmp_eq_u16_sdwa s[12:13], v13, s4 src0_sel:BYTE_0 src1_sel:DWORD
	s_mov_b64 s[4:5], -1
                                        ; implicit-def: $sgpr10
	s_and_saveexec_b64 s[8:9], s[12:13]
; %bb.3430:
	s_mov_b32 s10, 0x7f800001
	s_xor_b64 s[4:5], exec, -1
; %bb.3431:
	s_or_b64 exec, exec, s[8:9]
	s_and_b64 s[4:5], s[4:5], exec
	s_or_saveexec_b64 s[6:7], s[6:7]
	v_mov_b32_e32 v11, s10
	s_xor_b64 exec, exec, s[6:7]
	s_cbranch_execz .LBB20_1382
.LBB20_3432:
	v_mov_b32_e32 v11, 0
	v_cmp_ne_u16_sdwa s[8:9], v13, v11 src0_sel:BYTE_0 src1_sel:DWORD
	s_andn2_b64 s[4:5], s[4:5], exec
	s_and_b64 s[8:9], s[8:9], exec
	s_or_b64 s[4:5], s[4:5], s[8:9]
	s_or_b64 exec, exec, s[6:7]
	s_and_saveexec_b64 s[6:7], s[4:5]
	s_cbranch_execnz .LBB20_1383
	s_branch .LBB20_1384
.LBB20_3433:
	s_movk_i32 s4, 0x80
	v_cmp_eq_u16_sdwa s[12:13], v11, s4 src0_sel:BYTE_0 src1_sel:DWORD
	s_mov_b64 s[4:5], -1
                                        ; implicit-def: $sgpr10
	s_and_saveexec_b64 s[8:9], s[12:13]
; %bb.3434:
	s_mov_b32 s10, 0x7f800001
	s_xor_b64 s[4:5], exec, -1
; %bb.3435:
	s_or_b64 exec, exec, s[8:9]
	s_and_b64 s[4:5], s[4:5], exec
	s_or_saveexec_b64 s[6:7], s[6:7]
	v_mov_b32_e32 v10, s10
	s_xor_b64 exec, exec, s[6:7]
	s_cbranch_execz .LBB20_1386
.LBB20_3436:
	v_mov_b32_e32 v10, 0
	v_cmp_ne_u16_sdwa s[8:9], v11, v10 src0_sel:BYTE_0 src1_sel:DWORD
	s_andn2_b64 s[4:5], s[4:5], exec
	s_and_b64 s[8:9], s[8:9], exec
	s_or_b64 s[4:5], s[4:5], s[8:9]
	s_or_b64 exec, exec, s[6:7]
	s_and_saveexec_b64 s[6:7], s[4:5]
	s_cbranch_execnz .LBB20_1387
	s_branch .LBB20_1388
.LBB20_3437:
	s_movk_i32 s4, 0x80
	v_cmp_eq_u16_sdwa s[12:13], v11, s4 src0_sel:BYTE_0 src1_sel:DWORD
	s_mov_b64 s[4:5], -1
                                        ; implicit-def: $sgpr10
	s_and_saveexec_b64 s[8:9], s[12:13]
; %bb.3438:
	s_mov_b32 s10, 0x7f800001
	s_xor_b64 s[4:5], exec, -1
; %bb.3439:
	s_or_b64 exec, exec, s[8:9]
	s_and_b64 s[4:5], s[4:5], exec
	s_or_saveexec_b64 s[6:7], s[6:7]
	v_mov_b32_e32 v12, s10
	s_xor_b64 exec, exec, s[6:7]
	s_cbranch_execz .LBB20_1390
.LBB20_3440:
	v_mov_b32_e32 v12, 0
	v_cmp_ne_u16_sdwa s[8:9], v11, v12 src0_sel:BYTE_0 src1_sel:DWORD
	s_andn2_b64 s[4:5], s[4:5], exec
	s_and_b64 s[8:9], s[8:9], exec
	s_or_b64 s[4:5], s[4:5], s[8:9]
	s_or_b64 exec, exec, s[6:7]
	s_and_saveexec_b64 s[6:7], s[4:5]
	s_cbranch_execnz .LBB20_1391
	s_branch .LBB20_1392
.LBB20_3441:
	s_movk_i32 s4, 0x80
	v_cmp_eq_u16_e32 vcc, s4, v11
	s_mov_b64 s[4:5], -1
                                        ; implicit-def: $sgpr10
	s_and_saveexec_b64 s[8:9], vcc
; %bb.3442:
	s_mov_b32 s10, 0x7f800001
	s_xor_b64 s[4:5], exec, -1
; %bb.3443:
	s_or_b64 exec, exec, s[8:9]
	s_and_b64 s[4:5], s[4:5], exec
                                        ; implicit-def: $vgpr11
	s_or_saveexec_b64 s[6:7], s[6:7]
	v_mov_b32_e32 v10, s10
	s_xor_b64 exec, exec, s[6:7]
	s_cbranch_execz .LBB20_1394
.LBB20_3444:
	v_cmp_ne_u16_e32 vcc, 0, v11
	s_andn2_b64 s[4:5], s[4:5], exec
	s_and_b64 s[8:9], vcc, exec
	v_mov_b32_e32 v10, 0
	s_or_b64 s[4:5], s[4:5], s[8:9]
	s_or_b64 exec, exec, s[6:7]
	s_and_saveexec_b64 s[6:7], s[4:5]
	s_cbranch_execnz .LBB20_1395
	s_branch .LBB20_1396
.LBB20_3445:
	s_movk_i32 s4, 0x80
	v_cmp_eq_u16_e32 vcc, s4, v11
	s_mov_b64 s[4:5], -1
                                        ; implicit-def: $sgpr10
	s_and_saveexec_b64 s[8:9], vcc
; %bb.3446:
	s_mov_b32 s10, 0x7f800001
	s_xor_b64 s[4:5], exec, -1
; %bb.3447:
	s_or_b64 exec, exec, s[8:9]
	s_and_b64 s[4:5], s[4:5], exec
                                        ; implicit-def: $vgpr11
	s_or_saveexec_b64 s[6:7], s[6:7]
	v_mov_b32_e32 v12, s10
	s_xor_b64 exec, exec, s[6:7]
	s_cbranch_execz .LBB20_1398
.LBB20_3448:
	v_cmp_ne_u16_e32 vcc, 0, v11
	s_andn2_b64 s[4:5], s[4:5], exec
	s_and_b64 s[8:9], vcc, exec
	v_mov_b32_e32 v12, 0
	s_or_b64 s[4:5], s[4:5], s[8:9]
	s_or_b64 exec, exec, s[6:7]
	s_and_saveexec_b64 s[6:7], s[4:5]
	s_cbranch_execnz .LBB20_1399
	s_branch .LBB20_1400
.LBB20_3449:
	s_movk_i32 s4, 0x80
	v_cmp_eq_u16_sdwa s[12:13], v17, s4 src0_sel:BYTE_3 src1_sel:DWORD
	s_mov_b64 s[4:5], -1
                                        ; implicit-def: $sgpr10
	s_and_saveexec_b64 s[8:9], s[12:13]
; %bb.3450:
	s_mov_b32 s10, 0x7f800001
	s_xor_b64 s[4:5], exec, -1
; %bb.3451:
	s_or_b64 exec, exec, s[8:9]
	s_and_b64 s[4:5], s[4:5], exec
	s_or_saveexec_b64 s[6:7], s[6:7]
	v_mov_b32_e32 v10, s10
	s_xor_b64 exec, exec, s[6:7]
	s_cbranch_execz .LBB20_1402
.LBB20_3452:
	v_mov_b32_e32 v10, 0
	v_cmp_ne_u16_sdwa s[8:9], v17, v10 src0_sel:BYTE_3 src1_sel:DWORD
	s_andn2_b64 s[4:5], s[4:5], exec
	s_and_b64 s[8:9], s[8:9], exec
	s_or_b64 s[4:5], s[4:5], s[8:9]
	s_or_b64 exec, exec, s[6:7]
	s_and_saveexec_b64 s[6:7], s[4:5]
	s_cbranch_execnz .LBB20_1403
	s_branch .LBB20_1404
.LBB20_3453:
	s_movk_i32 s4, 0x80
	v_cmp_eq_u16_sdwa s[12:13], v13, s4 src0_sel:BYTE_3 src1_sel:DWORD
	s_mov_b64 s[4:5], -1
                                        ; implicit-def: $sgpr10
	s_and_saveexec_b64 s[8:9], s[12:13]
; %bb.3454:
	s_mov_b32 s10, 0x7f800001
	s_xor_b64 s[4:5], exec, -1
; %bb.3455:
	s_or_b64 exec, exec, s[8:9]
	s_and_b64 s[4:5], s[4:5], exec
	s_or_saveexec_b64 s[6:7], s[6:7]
	v_mov_b32_e32 v11, s10
	s_xor_b64 exec, exec, s[6:7]
	s_cbranch_execz .LBB20_1406
.LBB20_3456:
	v_mov_b32_e32 v11, 0
	v_cmp_ne_u16_sdwa s[8:9], v13, v11 src0_sel:BYTE_3 src1_sel:DWORD
	s_andn2_b64 s[4:5], s[4:5], exec
	s_and_b64 s[8:9], s[8:9], exec
	s_or_b64 s[4:5], s[4:5], s[8:9]
	s_or_b64 exec, exec, s[6:7]
	s_and_saveexec_b64 s[6:7], s[4:5]
	s_cbranch_execnz .LBB20_1407
	s_branch .LBB20_1408
.LBB20_3457:
	s_movk_i32 s4, 0x80
	v_cmp_eq_u16_sdwa s[12:13], v6, s4 src0_sel:BYTE_0 src1_sel:DWORD
	s_mov_b64 s[4:5], -1
                                        ; implicit-def: $sgpr10
	s_and_saveexec_b64 s[8:9], s[12:13]
; %bb.3458:
	s_mov_b32 s10, 0x7f800001
	s_xor_b64 s[4:5], exec, -1
; %bb.3459:
	s_or_b64 exec, exec, s[8:9]
	s_and_b64 s[4:5], s[4:5], exec
	s_or_saveexec_b64 s[6:7], s[6:7]
	v_mov_b32_e32 v10, s10
	s_xor_b64 exec, exec, s[6:7]
	s_cbranch_execz .LBB20_1410
.LBB20_3460:
	v_mov_b32_e32 v10, 0
	v_cmp_ne_u16_sdwa s[8:9], v6, v10 src0_sel:BYTE_0 src1_sel:DWORD
	s_andn2_b64 s[4:5], s[4:5], exec
	s_and_b64 s[8:9], s[8:9], exec
	s_or_b64 s[4:5], s[4:5], s[8:9]
	s_or_b64 exec, exec, s[6:7]
	s_and_saveexec_b64 s[6:7], s[4:5]
	s_cbranch_execnz .LBB20_1411
	s_branch .LBB20_1412
.LBB20_3461:
	s_movk_i32 s4, 0x80
	v_cmp_eq_u16_sdwa s[12:13], v2, s4 src0_sel:BYTE_0 src1_sel:DWORD
	s_mov_b64 s[4:5], -1
                                        ; implicit-def: $sgpr10
	s_and_saveexec_b64 s[8:9], s[12:13]
; %bb.3462:
	s_mov_b32 s10, 0x7f800001
	s_xor_b64 s[4:5], exec, -1
; %bb.3463:
	s_or_b64 exec, exec, s[8:9]
	s_and_b64 s[4:5], s[4:5], exec
	s_or_saveexec_b64 s[6:7], s[6:7]
	v_mov_b32_e32 v11, s10
	s_xor_b64 exec, exec, s[6:7]
	s_cbranch_execz .LBB20_1414
.LBB20_3464:
	v_mov_b32_e32 v11, 0
	v_cmp_ne_u16_sdwa s[8:9], v2, v11 src0_sel:BYTE_0 src1_sel:DWORD
	s_andn2_b64 s[4:5], s[4:5], exec
	s_and_b64 s[8:9], s[8:9], exec
	s_or_b64 s[4:5], s[4:5], s[8:9]
	s_or_b64 exec, exec, s[6:7]
	s_and_saveexec_b64 s[6:7], s[4:5]
	s_cbranch_execnz .LBB20_1415
	s_branch .LBB20_1416
.LBB20_3465:
	s_movk_i32 s4, 0x80
	v_cmp_eq_u16_sdwa s[12:13], v11, s4 src0_sel:BYTE_0 src1_sel:DWORD
	s_mov_b64 s[4:5], -1
                                        ; implicit-def: $sgpr10
	s_and_saveexec_b64 s[8:9], s[12:13]
; %bb.3466:
	s_mov_b32 s10, 0x7f800001
	s_xor_b64 s[4:5], exec, -1
; %bb.3467:
	s_or_b64 exec, exec, s[8:9]
	s_and_b64 s[4:5], s[4:5], exec
	s_or_saveexec_b64 s[6:7], s[6:7]
	v_mov_b32_e32 v10, s10
	s_xor_b64 exec, exec, s[6:7]
	s_cbranch_execz .LBB20_1418
.LBB20_3468:
	v_mov_b32_e32 v10, 0
	v_cmp_ne_u16_sdwa s[8:9], v11, v10 src0_sel:BYTE_0 src1_sel:DWORD
	s_andn2_b64 s[4:5], s[4:5], exec
	s_and_b64 s[8:9], s[8:9], exec
	s_or_b64 s[4:5], s[4:5], s[8:9]
	s_or_b64 exec, exec, s[6:7]
	s_and_saveexec_b64 s[6:7], s[4:5]
	s_cbranch_execnz .LBB20_1419
	s_branch .LBB20_1420
.LBB20_3469:
	s_movk_i32 s4, 0x80
	v_cmp_eq_u16_sdwa s[12:13], v11, s4 src0_sel:BYTE_0 src1_sel:DWORD
	s_mov_b64 s[4:5], -1
                                        ; implicit-def: $sgpr10
	s_and_saveexec_b64 s[8:9], s[12:13]
; %bb.3470:
	s_mov_b32 s10, 0x7f800001
	s_xor_b64 s[4:5], exec, -1
; %bb.3471:
	s_or_b64 exec, exec, s[8:9]
	s_and_b64 s[4:5], s[4:5], exec
	s_or_saveexec_b64 s[6:7], s[6:7]
	v_mov_b32_e32 v12, s10
	s_xor_b64 exec, exec, s[6:7]
	s_cbranch_execz .LBB20_1422
.LBB20_3472:
	v_mov_b32_e32 v12, 0
	v_cmp_ne_u16_sdwa s[8:9], v11, v12 src0_sel:BYTE_0 src1_sel:DWORD
	s_andn2_b64 s[4:5], s[4:5], exec
	s_and_b64 s[8:9], s[8:9], exec
	s_or_b64 s[4:5], s[4:5], s[8:9]
	s_or_b64 exec, exec, s[6:7]
	s_and_saveexec_b64 s[6:7], s[4:5]
	s_cbranch_execnz .LBB20_1423
	s_branch .LBB20_1424
.LBB20_3473:
	s_movk_i32 s4, 0x80
	v_cmp_eq_u16_e32 vcc, s4, v11
	s_mov_b64 s[4:5], -1
                                        ; implicit-def: $sgpr10
	s_and_saveexec_b64 s[8:9], vcc
; %bb.3474:
	s_mov_b32 s10, 0x7f800001
	s_xor_b64 s[4:5], exec, -1
; %bb.3475:
	s_or_b64 exec, exec, s[8:9]
	s_and_b64 s[4:5], s[4:5], exec
                                        ; implicit-def: $vgpr11
	s_or_saveexec_b64 s[6:7], s[6:7]
	v_mov_b32_e32 v10, s10
	s_xor_b64 exec, exec, s[6:7]
	s_cbranch_execz .LBB20_1426
.LBB20_3476:
	v_cmp_ne_u16_e32 vcc, 0, v11
	s_andn2_b64 s[4:5], s[4:5], exec
	s_and_b64 s[8:9], vcc, exec
	v_mov_b32_e32 v10, 0
	s_or_b64 s[4:5], s[4:5], s[8:9]
	s_or_b64 exec, exec, s[6:7]
	s_and_saveexec_b64 s[6:7], s[4:5]
	s_cbranch_execnz .LBB20_1427
	s_branch .LBB20_1428
.LBB20_3477:
	s_movk_i32 s4, 0x80
	v_cmp_eq_u16_e32 vcc, s4, v11
	s_mov_b64 s[4:5], -1
                                        ; implicit-def: $sgpr10
	s_and_saveexec_b64 s[8:9], vcc
; %bb.3478:
	s_mov_b32 s10, 0x7f800001
	s_xor_b64 s[4:5], exec, -1
; %bb.3479:
	s_or_b64 exec, exec, s[8:9]
	s_and_b64 s[4:5], s[4:5], exec
                                        ; implicit-def: $vgpr11
	s_or_saveexec_b64 s[6:7], s[6:7]
	v_mov_b32_e32 v12, s10
	s_xor_b64 exec, exec, s[6:7]
	s_cbranch_execz .LBB20_1430
.LBB20_3480:
	v_cmp_ne_u16_e32 vcc, 0, v11
	s_andn2_b64 s[4:5], s[4:5], exec
	s_and_b64 s[8:9], vcc, exec
	v_mov_b32_e32 v12, 0
	s_or_b64 s[4:5], s[4:5], s[8:9]
	s_or_b64 exec, exec, s[6:7]
	s_and_saveexec_b64 s[6:7], s[4:5]
	s_cbranch_execnz .LBB20_1431
	s_branch .LBB20_1432
.LBB20_3481:
	s_movk_i32 s4, 0x80
	v_cmp_eq_u16_sdwa s[12:13], v6, s4 src0_sel:BYTE_3 src1_sel:DWORD
	s_mov_b64 s[4:5], -1
                                        ; implicit-def: $sgpr10
	s_and_saveexec_b64 s[8:9], s[12:13]
; %bb.3482:
	s_mov_b32 s10, 0x7f800001
	s_xor_b64 s[4:5], exec, -1
; %bb.3483:
	s_or_b64 exec, exec, s[8:9]
	s_and_b64 s[4:5], s[4:5], exec
	s_or_saveexec_b64 s[6:7], s[6:7]
	v_mov_b32_e32 v10, s10
	s_xor_b64 exec, exec, s[6:7]
	s_cbranch_execz .LBB20_1434
.LBB20_3484:
	v_mov_b32_e32 v10, 0
	v_cmp_ne_u16_sdwa s[8:9], v6, v10 src0_sel:BYTE_3 src1_sel:DWORD
	s_andn2_b64 s[4:5], s[4:5], exec
	s_and_b64 s[8:9], s[8:9], exec
	s_or_b64 s[4:5], s[4:5], s[8:9]
	s_or_b64 exec, exec, s[6:7]
	s_and_saveexec_b64 s[6:7], s[4:5]
	s_cbranch_execnz .LBB20_1435
	s_branch .LBB20_1436
.LBB20_3485:
	s_movk_i32 s4, 0x80
	v_cmp_eq_u16_sdwa s[12:13], v2, s4 src0_sel:BYTE_3 src1_sel:DWORD
	s_mov_b64 s[4:5], -1
                                        ; implicit-def: $sgpr10
	s_and_saveexec_b64 s[8:9], s[12:13]
; %bb.3486:
	s_mov_b32 s10, 0x7f800001
	s_xor_b64 s[4:5], exec, -1
; %bb.3487:
	s_or_b64 exec, exec, s[8:9]
	s_and_b64 s[4:5], s[4:5], exec
	s_or_saveexec_b64 s[6:7], s[6:7]
	v_mov_b32_e32 v6, s10
	s_xor_b64 exec, exec, s[6:7]
	s_cbranch_execz .LBB20_1438
.LBB20_3488:
	v_mov_b32_e32 v6, 0
	v_cmp_ne_u16_sdwa s[8:9], v2, v6 src0_sel:BYTE_3 src1_sel:DWORD
	s_andn2_b64 s[4:5], s[4:5], exec
	s_and_b64 s[8:9], s[8:9], exec
	s_or_b64 s[4:5], s[4:5], s[8:9]
	s_or_b64 exec, exec, s[6:7]
	s_and_saveexec_b64 s[6:7], s[4:5]
	s_cbranch_execnz .LBB20_1439
	s_branch .LBB20_1440
.LBB20_3489:
	s_movk_i32 s4, 0x80
	v_cmp_eq_u16_sdwa s[12:13], v7, s4 src0_sel:BYTE_0 src1_sel:DWORD
	s_mov_b64 s[4:5], -1
                                        ; implicit-def: $sgpr10
	s_and_saveexec_b64 s[8:9], s[12:13]
; %bb.3490:
	s_mov_b32 s10, 0x7f800001
	s_xor_b64 s[4:5], exec, -1
; %bb.3491:
	s_or_b64 exec, exec, s[8:9]
	s_and_b64 s[4:5], s[4:5], exec
	s_or_saveexec_b64 s[6:7], s[6:7]
	v_mov_b32_e32 v2, s10
	s_xor_b64 exec, exec, s[6:7]
	s_cbranch_execz .LBB20_1442
.LBB20_3492:
	v_mov_b32_e32 v2, 0
	v_cmp_ne_u16_sdwa s[8:9], v7, v2 src0_sel:BYTE_0 src1_sel:DWORD
	s_andn2_b64 s[4:5], s[4:5], exec
	s_and_b64 s[8:9], s[8:9], exec
	s_or_b64 s[4:5], s[4:5], s[8:9]
	s_or_b64 exec, exec, s[6:7]
	s_and_saveexec_b64 s[6:7], s[4:5]
	s_cbranch_execnz .LBB20_1443
	s_branch .LBB20_1444
.LBB20_3493:
	s_movk_i32 s4, 0x80
	v_cmp_eq_u16_sdwa s[12:13], v3, s4 src0_sel:BYTE_0 src1_sel:DWORD
	s_mov_b64 s[4:5], -1
                                        ; implicit-def: $sgpr10
	s_and_saveexec_b64 s[8:9], s[12:13]
; %bb.3494:
	s_mov_b32 s10, 0x7f800001
	s_xor_b64 s[4:5], exec, -1
; %bb.3495:
	s_or_b64 exec, exec, s[8:9]
	s_and_b64 s[4:5], s[4:5], exec
	s_or_saveexec_b64 s[6:7], s[6:7]
	v_mov_b32_e32 v6, s10
	s_xor_b64 exec, exec, s[6:7]
	s_cbranch_execz .LBB20_1446
.LBB20_3496:
	v_mov_b32_e32 v6, 0
	v_cmp_ne_u16_sdwa s[8:9], v3, v6 src0_sel:BYTE_0 src1_sel:DWORD
	s_andn2_b64 s[4:5], s[4:5], exec
	s_and_b64 s[8:9], s[8:9], exec
	s_or_b64 s[4:5], s[4:5], s[8:9]
	s_or_b64 exec, exec, s[6:7]
	s_and_saveexec_b64 s[6:7], s[4:5]
	s_cbranch_execnz .LBB20_1447
	s_branch .LBB20_1448
.LBB20_3497:
	s_movk_i32 s4, 0x80
	v_cmp_eq_u16_sdwa s[12:13], v6, s4 src0_sel:BYTE_0 src1_sel:DWORD
	s_mov_b64 s[4:5], -1
                                        ; implicit-def: $sgpr10
	s_and_saveexec_b64 s[8:9], s[12:13]
; %bb.3498:
	s_mov_b32 s10, 0x7f800001
	s_xor_b64 s[4:5], exec, -1
; %bb.3499:
	s_or_b64 exec, exec, s[8:9]
	s_and_b64 s[4:5], s[4:5], exec
	s_or_saveexec_b64 s[6:7], s[6:7]
	v_mov_b32_e32 v2, s10
	s_xor_b64 exec, exec, s[6:7]
	s_cbranch_execz .LBB20_1450
.LBB20_3500:
	v_mov_b32_e32 v2, 0
	v_cmp_ne_u16_sdwa s[8:9], v6, v2 src0_sel:BYTE_0 src1_sel:DWORD
	s_andn2_b64 s[4:5], s[4:5], exec
	s_and_b64 s[8:9], s[8:9], exec
	s_or_b64 s[4:5], s[4:5], s[8:9]
	s_or_b64 exec, exec, s[6:7]
	s_and_saveexec_b64 s[6:7], s[4:5]
	s_cbranch_execnz .LBB20_1451
	s_branch .LBB20_1452
.LBB20_3501:
	s_movk_i32 s4, 0x80
	v_cmp_eq_u16_sdwa s[12:13], v6, s4 src0_sel:BYTE_0 src1_sel:DWORD
	s_mov_b64 s[4:5], -1
                                        ; implicit-def: $sgpr10
	s_and_saveexec_b64 s[8:9], s[12:13]
; %bb.3502:
	s_mov_b32 s10, 0x7f800001
	s_xor_b64 s[4:5], exec, -1
; %bb.3503:
	s_or_b64 exec, exec, s[8:9]
	s_and_b64 s[4:5], s[4:5], exec
	s_or_saveexec_b64 s[6:7], s[6:7]
	v_mov_b32_e32 v10, s10
	s_xor_b64 exec, exec, s[6:7]
	s_cbranch_execz .LBB20_1454
.LBB20_3504:
	v_mov_b32_e32 v10, 0
	v_cmp_ne_u16_sdwa s[8:9], v6, v10 src0_sel:BYTE_0 src1_sel:DWORD
	s_andn2_b64 s[4:5], s[4:5], exec
	s_and_b64 s[8:9], s[8:9], exec
	s_or_b64 s[4:5], s[4:5], s[8:9]
	s_or_b64 exec, exec, s[6:7]
	s_and_saveexec_b64 s[6:7], s[4:5]
	s_cbranch_execnz .LBB20_1455
	s_branch .LBB20_1456
.LBB20_3505:
	s_movk_i32 s4, 0x80
	v_cmp_eq_u16_e32 vcc, s4, v6
	s_mov_b64 s[4:5], -1
                                        ; implicit-def: $sgpr10
	s_and_saveexec_b64 s[8:9], vcc
; %bb.3506:
	s_mov_b32 s10, 0x7f800001
	s_xor_b64 s[4:5], exec, -1
; %bb.3507:
	s_or_b64 exec, exec, s[8:9]
	s_and_b64 s[4:5], s[4:5], exec
                                        ; implicit-def: $vgpr6
	s_or_saveexec_b64 s[6:7], s[6:7]
	v_mov_b32_e32 v2, s10
	s_xor_b64 exec, exec, s[6:7]
	s_cbranch_execz .LBB20_1458
.LBB20_3508:
	v_cmp_ne_u16_e32 vcc, 0, v6
	s_andn2_b64 s[4:5], s[4:5], exec
	s_and_b64 s[8:9], vcc, exec
	v_mov_b32_e32 v2, 0
	s_or_b64 s[4:5], s[4:5], s[8:9]
	s_or_b64 exec, exec, s[6:7]
	s_and_saveexec_b64 s[6:7], s[4:5]
	s_cbranch_execnz .LBB20_1459
	s_branch .LBB20_1460
.LBB20_3509:
	s_movk_i32 s4, 0x80
	v_cmp_eq_u16_e32 vcc, s4, v6
	s_mov_b64 s[4:5], -1
                                        ; implicit-def: $sgpr10
	s_and_saveexec_b64 s[8:9], vcc
; %bb.3510:
	s_mov_b32 s10, 0x7f800001
	s_xor_b64 s[4:5], exec, -1
; %bb.3511:
	s_or_b64 exec, exec, s[8:9]
	s_and_b64 s[4:5], s[4:5], exec
                                        ; implicit-def: $vgpr6
	s_or_saveexec_b64 s[6:7], s[6:7]
	v_mov_b32_e32 v10, s10
	s_xor_b64 exec, exec, s[6:7]
	s_cbranch_execz .LBB20_1462
.LBB20_3512:
	v_cmp_ne_u16_e32 vcc, 0, v6
	s_andn2_b64 s[4:5], s[4:5], exec
	s_and_b64 s[8:9], vcc, exec
	v_mov_b32_e32 v10, 0
	s_or_b64 s[4:5], s[4:5], s[8:9]
	s_or_b64 exec, exec, s[6:7]
	s_and_saveexec_b64 s[6:7], s[4:5]
	s_cbranch_execnz .LBB20_1463
	s_branch .LBB20_1464
.LBB20_3513:
	s_movk_i32 s4, 0x80
	v_cmp_eq_u16_sdwa s[12:13], v7, s4 src0_sel:BYTE_3 src1_sel:DWORD
	s_mov_b64 s[4:5], -1
                                        ; implicit-def: $sgpr10
	s_and_saveexec_b64 s[8:9], s[12:13]
; %bb.3514:
	s_mov_b32 s10, 0x7f800001
	s_xor_b64 s[4:5], exec, -1
; %bb.3515:
	s_or_b64 exec, exec, s[8:9]
	s_and_b64 s[4:5], s[4:5], exec
	s_or_saveexec_b64 s[6:7], s[6:7]
	v_mov_b32_e32 v2, s10
	s_xor_b64 exec, exec, s[6:7]
	s_cbranch_execz .LBB20_1466
.LBB20_3516:
	v_mov_b32_e32 v2, 0
	v_cmp_ne_u16_sdwa s[8:9], v7, v2 src0_sel:BYTE_3 src1_sel:DWORD
	s_andn2_b64 s[4:5], s[4:5], exec
	s_and_b64 s[8:9], s[8:9], exec
	s_or_b64 s[4:5], s[4:5], s[8:9]
	s_or_b64 exec, exec, s[6:7]
	s_and_saveexec_b64 s[6:7], s[4:5]
	s_cbranch_execnz .LBB20_1467
	s_branch .LBB20_1468
.LBB20_3517:
	s_movk_i32 s4, 0x80
	v_cmp_eq_u16_sdwa s[12:13], v3, s4 src0_sel:BYTE_3 src1_sel:DWORD
	s_mov_b64 s[4:5], -1
                                        ; implicit-def: $sgpr10
	s_and_saveexec_b64 s[8:9], s[12:13]
; %bb.3518:
	s_mov_b32 s10, 0x7f800001
	s_xor_b64 s[4:5], exec, -1
; %bb.3519:
	s_or_b64 exec, exec, s[8:9]
	s_and_b64 s[4:5], s[4:5], exec
	s_or_saveexec_b64 s[6:7], s[6:7]
	v_mov_b32_e32 v6, s10
	s_xor_b64 exec, exec, s[6:7]
	s_cbranch_execz .LBB20_1470
.LBB20_3520:
	v_mov_b32_e32 v6, 0
	v_cmp_ne_u16_sdwa s[8:9], v3, v6 src0_sel:BYTE_3 src1_sel:DWORD
	s_andn2_b64 s[4:5], s[4:5], exec
	s_and_b64 s[8:9], s[8:9], exec
	s_or_b64 s[4:5], s[4:5], s[8:9]
	s_or_b64 exec, exec, s[6:7]
	s_and_saveexec_b64 s[6:7], s[4:5]
	s_cbranch_execnz .LBB20_1471
	s_branch .LBB20_1472
.LBB20_3521:
	s_movk_i32 s4, 0x80
	v_cmp_eq_u16_sdwa s[12:13], v8, s4 src0_sel:BYTE_0 src1_sel:DWORD
	s_mov_b64 s[4:5], -1
                                        ; implicit-def: $sgpr10
	s_and_saveexec_b64 s[8:9], s[12:13]
; %bb.3522:
	s_mov_b32 s10, 0x7f800001
	s_xor_b64 s[4:5], exec, -1
; %bb.3523:
	s_or_b64 exec, exec, s[8:9]
	s_and_b64 s[4:5], s[4:5], exec
	s_or_saveexec_b64 s[6:7], s[6:7]
	v_mov_b32_e32 v2, s10
	s_xor_b64 exec, exec, s[6:7]
	s_cbranch_execz .LBB20_1474
.LBB20_3524:
	v_mov_b32_e32 v2, 0
	v_cmp_ne_u16_sdwa s[8:9], v8, v2 src0_sel:BYTE_0 src1_sel:DWORD
	s_andn2_b64 s[4:5], s[4:5], exec
	s_and_b64 s[8:9], s[8:9], exec
	s_or_b64 s[4:5], s[4:5], s[8:9]
	s_or_b64 exec, exec, s[6:7]
	s_and_saveexec_b64 s[6:7], s[4:5]
	s_cbranch_execnz .LBB20_1475
	s_branch .LBB20_1476
.LBB20_3525:
	s_movk_i32 s4, 0x80
	v_cmp_eq_u16_sdwa s[12:13], v4, s4 src0_sel:BYTE_0 src1_sel:DWORD
	s_mov_b64 s[4:5], -1
                                        ; implicit-def: $sgpr10
	s_and_saveexec_b64 s[8:9], s[12:13]
; %bb.3526:
	s_mov_b32 s10, 0x7f800001
	s_xor_b64 s[4:5], exec, -1
; %bb.3527:
	s_or_b64 exec, exec, s[8:9]
	s_and_b64 s[4:5], s[4:5], exec
	s_or_saveexec_b64 s[6:7], s[6:7]
	v_mov_b32_e32 v3, s10
	s_xor_b64 exec, exec, s[6:7]
	s_cbranch_execz .LBB20_1478
.LBB20_3528:
	v_mov_b32_e32 v3, 0
	v_cmp_ne_u16_sdwa s[8:9], v4, v3 src0_sel:BYTE_0 src1_sel:DWORD
	s_andn2_b64 s[4:5], s[4:5], exec
	s_and_b64 s[8:9], s[8:9], exec
	s_or_b64 s[4:5], s[4:5], s[8:9]
	s_or_b64 exec, exec, s[6:7]
	s_and_saveexec_b64 s[6:7], s[4:5]
	s_cbranch_execnz .LBB20_1479
	s_branch .LBB20_1480
.LBB20_3529:
	s_movk_i32 s4, 0x80
	v_cmp_eq_u16_sdwa s[12:13], v3, s4 src0_sel:BYTE_0 src1_sel:DWORD
	s_mov_b64 s[4:5], -1
                                        ; implicit-def: $sgpr10
	s_and_saveexec_b64 s[8:9], s[12:13]
; %bb.3530:
	s_mov_b32 s10, 0x7f800001
	s_xor_b64 s[4:5], exec, -1
; %bb.3531:
	s_or_b64 exec, exec, s[8:9]
	s_and_b64 s[4:5], s[4:5], exec
	s_or_saveexec_b64 s[6:7], s[6:7]
	v_mov_b32_e32 v2, s10
	s_xor_b64 exec, exec, s[6:7]
	s_cbranch_execz .LBB20_1482
.LBB20_3532:
	v_mov_b32_e32 v2, 0
	v_cmp_ne_u16_sdwa s[8:9], v3, v2 src0_sel:BYTE_0 src1_sel:DWORD
	s_andn2_b64 s[4:5], s[4:5], exec
	s_and_b64 s[8:9], s[8:9], exec
	s_or_b64 s[4:5], s[4:5], s[8:9]
	s_or_b64 exec, exec, s[6:7]
	s_and_saveexec_b64 s[6:7], s[4:5]
	s_cbranch_execnz .LBB20_1483
	s_branch .LBB20_1484
.LBB20_3533:
	s_movk_i32 s4, 0x80
	v_cmp_eq_u16_sdwa s[12:13], v3, s4 src0_sel:BYTE_0 src1_sel:DWORD
	s_mov_b64 s[4:5], -1
                                        ; implicit-def: $sgpr10
	s_and_saveexec_b64 s[8:9], s[12:13]
; %bb.3534:
	s_mov_b32 s10, 0x7f800001
	s_xor_b64 s[4:5], exec, -1
; %bb.3535:
	s_or_b64 exec, exec, s[8:9]
	s_and_b64 s[4:5], s[4:5], exec
	s_or_saveexec_b64 s[6:7], s[6:7]
	v_mov_b32_e32 v6, s10
	s_xor_b64 exec, exec, s[6:7]
	s_cbranch_execz .LBB20_1486
.LBB20_3536:
	v_mov_b32_e32 v6, 0
	v_cmp_ne_u16_sdwa s[8:9], v3, v6 src0_sel:BYTE_0 src1_sel:DWORD
	s_andn2_b64 s[4:5], s[4:5], exec
	s_and_b64 s[8:9], s[8:9], exec
	s_or_b64 s[4:5], s[4:5], s[8:9]
	s_or_b64 exec, exec, s[6:7]
	s_and_saveexec_b64 s[6:7], s[4:5]
	s_cbranch_execnz .LBB20_1487
	s_branch .LBB20_1488
.LBB20_3537:
	s_movk_i32 s4, 0x80
	v_cmp_eq_u16_e32 vcc, s4, v3
	s_mov_b64 s[4:5], -1
                                        ; implicit-def: $sgpr10
	s_and_saveexec_b64 s[8:9], vcc
; %bb.3538:
	s_mov_b32 s10, 0x7f800001
	s_xor_b64 s[4:5], exec, -1
; %bb.3539:
	s_or_b64 exec, exec, s[8:9]
	s_and_b64 s[4:5], s[4:5], exec
                                        ; implicit-def: $vgpr3
	s_or_saveexec_b64 s[6:7], s[6:7]
	v_mov_b32_e32 v2, s10
	s_xor_b64 exec, exec, s[6:7]
	s_cbranch_execz .LBB20_1490
.LBB20_3540:
	v_cmp_ne_u16_e32 vcc, 0, v3
	s_andn2_b64 s[4:5], s[4:5], exec
	s_and_b64 s[8:9], vcc, exec
	v_mov_b32_e32 v2, 0
	s_or_b64 s[4:5], s[4:5], s[8:9]
	s_or_b64 exec, exec, s[6:7]
	s_and_saveexec_b64 s[6:7], s[4:5]
	s_cbranch_execnz .LBB20_1491
	s_branch .LBB20_1492
.LBB20_3541:
	s_movk_i32 s4, 0x80
	v_cmp_eq_u16_e32 vcc, s4, v3
	s_mov_b64 s[4:5], -1
                                        ; implicit-def: $sgpr10
	s_and_saveexec_b64 s[8:9], vcc
; %bb.3542:
	s_mov_b32 s10, 0x7f800001
	s_xor_b64 s[4:5], exec, -1
; %bb.3543:
	s_or_b64 exec, exec, s[8:9]
	s_and_b64 s[4:5], s[4:5], exec
                                        ; implicit-def: $vgpr3
	s_or_saveexec_b64 s[6:7], s[6:7]
	v_mov_b32_e32 v6, s10
	s_xor_b64 exec, exec, s[6:7]
	s_cbranch_execz .LBB20_1494
.LBB20_3544:
	v_cmp_ne_u16_e32 vcc, 0, v3
	s_andn2_b64 s[4:5], s[4:5], exec
	s_and_b64 s[8:9], vcc, exec
	v_mov_b32_e32 v6, 0
	s_or_b64 s[4:5], s[4:5], s[8:9]
	s_or_b64 exec, exec, s[6:7]
	s_and_saveexec_b64 s[6:7], s[4:5]
	s_cbranch_execnz .LBB20_1495
	s_branch .LBB20_1496
.LBB20_3545:
	s_movk_i32 s4, 0x80
	v_cmp_eq_u16_sdwa s[12:13], v8, s4 src0_sel:BYTE_3 src1_sel:DWORD
	s_mov_b64 s[4:5], -1
                                        ; implicit-def: $sgpr10
	s_and_saveexec_b64 s[8:9], s[12:13]
; %bb.3546:
	s_mov_b32 s10, 0x7f800001
	s_xor_b64 s[4:5], exec, -1
; %bb.3547:
	s_or_b64 exec, exec, s[8:9]
	s_and_b64 s[4:5], s[4:5], exec
	s_or_saveexec_b64 s[6:7], s[6:7]
	v_mov_b32_e32 v2, s10
	s_xor_b64 exec, exec, s[6:7]
	s_cbranch_execz .LBB20_1498
.LBB20_3548:
	v_mov_b32_e32 v2, 0
	v_cmp_ne_u16_sdwa s[8:9], v8, v2 src0_sel:BYTE_3 src1_sel:DWORD
	s_andn2_b64 s[4:5], s[4:5], exec
	s_and_b64 s[8:9], s[8:9], exec
	s_or_b64 s[4:5], s[4:5], s[8:9]
	s_or_b64 exec, exec, s[6:7]
	s_and_saveexec_b64 s[6:7], s[4:5]
	s_cbranch_execnz .LBB20_1499
	s_branch .LBB20_1500
.LBB20_3549:
	s_movk_i32 s4, 0x80
	v_cmp_eq_u16_sdwa s[12:13], v4, s4 src0_sel:BYTE_3 src1_sel:DWORD
	s_mov_b64 s[4:5], -1
                                        ; implicit-def: $sgpr10
	s_and_saveexec_b64 s[8:9], s[12:13]
; %bb.3550:
	s_mov_b32 s10, 0x7f800001
	s_xor_b64 s[4:5], exec, -1
; %bb.3551:
	s_or_b64 exec, exec, s[8:9]
	s_and_b64 s[4:5], s[4:5], exec
	s_or_saveexec_b64 s[6:7], s[6:7]
	v_mov_b32_e32 v3, s10
	s_xor_b64 exec, exec, s[6:7]
	s_cbranch_execz .LBB20_1502
.LBB20_3552:
	v_mov_b32_e32 v3, 0
	v_cmp_ne_u16_sdwa s[8:9], v4, v3 src0_sel:BYTE_3 src1_sel:DWORD
	s_andn2_b64 s[4:5], s[4:5], exec
	s_and_b64 s[8:9], s[8:9], exec
	s_or_b64 s[4:5], s[4:5], s[8:9]
	s_or_b64 exec, exec, s[6:7]
	s_and_saveexec_b64 s[6:7], s[4:5]
	s_cbranch_execnz .LBB20_1503
	s_branch .LBB20_1504
.LBB20_3553:
	s_movk_i32 s4, 0x80
	v_cmp_eq_u16_sdwa s[12:13], v9, s4 src0_sel:BYTE_0 src1_sel:DWORD
	s_mov_b64 s[4:5], -1
                                        ; implicit-def: $sgpr10
	s_and_saveexec_b64 s[8:9], s[12:13]
; %bb.3554:
	s_mov_b32 s10, 0x7f800001
	s_xor_b64 s[4:5], exec, -1
; %bb.3555:
	s_or_b64 exec, exec, s[8:9]
	s_and_b64 s[4:5], s[4:5], exec
	s_or_saveexec_b64 s[6:7], s[6:7]
	v_mov_b32_e32 v2, s10
	s_xor_b64 exec, exec, s[6:7]
	s_cbranch_execz .LBB20_1506
.LBB20_3556:
	v_mov_b32_e32 v2, 0
	v_cmp_ne_u16_sdwa s[8:9], v9, v2 src0_sel:BYTE_0 src1_sel:DWORD
	s_andn2_b64 s[4:5], s[4:5], exec
	s_and_b64 s[8:9], s[8:9], exec
	s_or_b64 s[4:5], s[4:5], s[8:9]
	s_or_b64 exec, exec, s[6:7]
	s_and_saveexec_b64 s[6:7], s[4:5]
	s_cbranch_execnz .LBB20_1507
	s_branch .LBB20_1508
.LBB20_3557:
	s_movk_i32 s4, 0x80
	v_cmp_eq_u16_sdwa s[12:13], v5, s4 src0_sel:BYTE_0 src1_sel:DWORD
	s_mov_b64 s[4:5], -1
                                        ; implicit-def: $sgpr10
	s_and_saveexec_b64 s[8:9], s[12:13]
; %bb.3558:
	s_mov_b32 s10, 0x7f800001
	s_xor_b64 s[4:5], exec, -1
; %bb.3559:
	s_or_b64 exec, exec, s[8:9]
	s_and_b64 s[4:5], s[4:5], exec
	s_or_saveexec_b64 s[6:7], s[6:7]
	v_mov_b32_e32 v3, s10
	s_xor_b64 exec, exec, s[6:7]
	s_cbranch_execz .LBB20_1510
.LBB20_3560:
	v_mov_b32_e32 v3, 0
	v_cmp_ne_u16_sdwa s[8:9], v5, v3 src0_sel:BYTE_0 src1_sel:DWORD
	s_andn2_b64 s[4:5], s[4:5], exec
	s_and_b64 s[8:9], s[8:9], exec
	s_or_b64 s[4:5], s[4:5], s[8:9]
	s_or_b64 exec, exec, s[6:7]
	s_and_saveexec_b64 s[6:7], s[4:5]
	s_cbranch_execnz .LBB20_1511
	s_branch .LBB20_1512
.LBB20_3561:
	s_movk_i32 s4, 0x80
	v_cmp_eq_u16_sdwa s[12:13], v3, s4 src0_sel:BYTE_0 src1_sel:DWORD
	s_mov_b64 s[4:5], -1
                                        ; implicit-def: $sgpr10
	s_and_saveexec_b64 s[8:9], s[12:13]
; %bb.3562:
	s_mov_b32 s10, 0x7f800001
	s_xor_b64 s[4:5], exec, -1
; %bb.3563:
	s_or_b64 exec, exec, s[8:9]
	s_and_b64 s[4:5], s[4:5], exec
	s_or_saveexec_b64 s[6:7], s[6:7]
	v_mov_b32_e32 v2, s10
	s_xor_b64 exec, exec, s[6:7]
	s_cbranch_execz .LBB20_1514
.LBB20_3564:
	v_mov_b32_e32 v2, 0
	v_cmp_ne_u16_sdwa s[8:9], v3, v2 src0_sel:BYTE_0 src1_sel:DWORD
	s_andn2_b64 s[4:5], s[4:5], exec
	s_and_b64 s[8:9], s[8:9], exec
	s_or_b64 s[4:5], s[4:5], s[8:9]
	s_or_b64 exec, exec, s[6:7]
	s_and_saveexec_b64 s[6:7], s[4:5]
	s_cbranch_execnz .LBB20_1515
	s_branch .LBB20_1516
.LBB20_3565:
	s_movk_i32 s4, 0x80
	v_cmp_eq_u16_sdwa s[12:13], v3, s4 src0_sel:BYTE_0 src1_sel:DWORD
	s_mov_b64 s[4:5], -1
                                        ; implicit-def: $sgpr10
	s_and_saveexec_b64 s[8:9], s[12:13]
; %bb.3566:
	s_mov_b32 s10, 0x7f800001
	s_xor_b64 s[4:5], exec, -1
; %bb.3567:
	s_or_b64 exec, exec, s[8:9]
	s_and_b64 s[4:5], s[4:5], exec
	s_or_saveexec_b64 s[6:7], s[6:7]
	v_mov_b32_e32 v4, s10
	s_xor_b64 exec, exec, s[6:7]
	s_cbranch_execz .LBB20_1518
.LBB20_3568:
	v_mov_b32_e32 v4, 0
	v_cmp_ne_u16_sdwa s[8:9], v3, v4 src0_sel:BYTE_0 src1_sel:DWORD
	s_andn2_b64 s[4:5], s[4:5], exec
	s_and_b64 s[8:9], s[8:9], exec
	s_or_b64 s[4:5], s[4:5], s[8:9]
	s_or_b64 exec, exec, s[6:7]
	s_and_saveexec_b64 s[6:7], s[4:5]
	s_cbranch_execnz .LBB20_1519
	s_branch .LBB20_1520
.LBB20_3569:
	s_movk_i32 s4, 0x80
	v_cmp_eq_u16_e32 vcc, s4, v3
	s_mov_b64 s[4:5], -1
                                        ; implicit-def: $sgpr10
	s_and_saveexec_b64 s[8:9], vcc
; %bb.3570:
	s_mov_b32 s10, 0x7f800001
	s_xor_b64 s[4:5], exec, -1
; %bb.3571:
	s_or_b64 exec, exec, s[8:9]
	s_and_b64 s[4:5], s[4:5], exec
                                        ; implicit-def: $vgpr3
	s_or_saveexec_b64 s[6:7], s[6:7]
	v_mov_b32_e32 v2, s10
	s_xor_b64 exec, exec, s[6:7]
	s_cbranch_execz .LBB20_1522
.LBB20_3572:
	v_cmp_ne_u16_e32 vcc, 0, v3
	s_andn2_b64 s[4:5], s[4:5], exec
	s_and_b64 s[8:9], vcc, exec
	v_mov_b32_e32 v2, 0
	s_or_b64 s[4:5], s[4:5], s[8:9]
	s_or_b64 exec, exec, s[6:7]
	s_and_saveexec_b64 s[6:7], s[4:5]
	s_cbranch_execnz .LBB20_1523
	s_branch .LBB20_1524
.LBB20_3573:
	s_movk_i32 s4, 0x80
	v_cmp_eq_u16_e32 vcc, s4, v3
	s_mov_b64 s[4:5], -1
                                        ; implicit-def: $sgpr10
	s_and_saveexec_b64 s[8:9], vcc
; %bb.3574:
	s_mov_b32 s10, 0x7f800001
	s_xor_b64 s[4:5], exec, -1
; %bb.3575:
	s_or_b64 exec, exec, s[8:9]
	s_and_b64 s[4:5], s[4:5], exec
                                        ; implicit-def: $vgpr3
	s_or_saveexec_b64 s[6:7], s[6:7]
	v_mov_b32_e32 v4, s10
	s_xor_b64 exec, exec, s[6:7]
	s_cbranch_execz .LBB20_1526
.LBB20_3576:
	v_cmp_ne_u16_e32 vcc, 0, v3
	s_andn2_b64 s[4:5], s[4:5], exec
	s_and_b64 s[8:9], vcc, exec
	v_mov_b32_e32 v4, 0
	s_or_b64 s[4:5], s[4:5], s[8:9]
	s_or_b64 exec, exec, s[6:7]
	s_and_saveexec_b64 s[6:7], s[4:5]
	s_cbranch_execnz .LBB20_1527
	s_branch .LBB20_1528
.LBB20_3577:
	s_movk_i32 s4, 0x80
	v_cmp_eq_u16_sdwa s[12:13], v9, s4 src0_sel:BYTE_3 src1_sel:DWORD
	s_mov_b64 s[4:5], -1
                                        ; implicit-def: $sgpr10
	s_and_saveexec_b64 s[8:9], s[12:13]
; %bb.3578:
	s_mov_b32 s10, 0x7f800001
	s_xor_b64 s[4:5], exec, -1
; %bb.3579:
	s_or_b64 exec, exec, s[8:9]
	s_and_b64 s[4:5], s[4:5], exec
	s_or_saveexec_b64 s[6:7], s[6:7]
	v_mov_b32_e32 v2, s10
	s_xor_b64 exec, exec, s[6:7]
	s_cbranch_execz .LBB20_1530
.LBB20_3580:
	v_mov_b32_e32 v2, 0
	v_cmp_ne_u16_sdwa s[8:9], v9, v2 src0_sel:BYTE_3 src1_sel:DWORD
	s_andn2_b64 s[4:5], s[4:5], exec
	s_and_b64 s[8:9], s[8:9], exec
	s_or_b64 s[4:5], s[4:5], s[8:9]
	s_or_b64 exec, exec, s[6:7]
	s_and_saveexec_b64 s[6:7], s[4:5]
	s_cbranch_execnz .LBB20_1531
	s_branch .LBB20_1532
.LBB20_3581:
	s_movk_i32 s4, 0x80
	v_cmp_eq_u16_sdwa s[12:13], v5, s4 src0_sel:BYTE_3 src1_sel:DWORD
	s_mov_b64 s[4:5], -1
                                        ; implicit-def: $sgpr10
	s_and_saveexec_b64 s[8:9], s[12:13]
; %bb.3582:
	s_mov_b32 s10, 0x7f800001
	s_xor_b64 s[4:5], exec, -1
; %bb.3583:
	s_or_b64 exec, exec, s[8:9]
	s_and_b64 s[4:5], s[4:5], exec
	s_or_saveexec_b64 s[6:7], s[6:7]
	v_mov_b32_e32 v3, s10
	s_xor_b64 exec, exec, s[6:7]
	s_cbranch_execz .LBB20_1534
.LBB20_3584:
	v_mov_b32_e32 v3, 0
	v_cmp_ne_u16_sdwa s[8:9], v5, v3 src0_sel:BYTE_3 src1_sel:DWORD
	s_andn2_b64 s[4:5], s[4:5], exec
	s_and_b64 s[8:9], s[8:9], exec
	s_or_b64 s[4:5], s[4:5], s[8:9]
	s_or_b64 exec, exec, s[6:7]
	s_and_saveexec_b64 s[6:7], s[4:5]
	s_cbranch_execnz .LBB20_1535
	s_branch .LBB20_1536
.LBB20_3585:
	s_movk_i32 s4, 0x80
	v_cmp_eq_u16_sdwa s[12:13], v14, s4 src0_sel:BYTE_0 src1_sel:DWORD
	s_mov_b64 s[4:5], -1
                                        ; implicit-def: $sgpr10
	s_and_saveexec_b64 s[8:9], s[12:13]
; %bb.3586:
	s_mov_b32 s10, 0x7f800001
	s_xor_b64 s[4:5], exec, -1
; %bb.3587:
	s_or_b64 exec, exec, s[8:9]
	s_and_b64 s[4:5], s[4:5], exec
	s_or_saveexec_b64 s[6:7], s[6:7]
	v_mov_b32_e32 v20, s10
	s_xor_b64 exec, exec, s[6:7]
	s_cbranch_execz .LBB20_1538
.LBB20_3588:
	v_mov_b32_e32 v20, 0
	v_cmp_ne_u16_sdwa s[8:9], v14, v20 src0_sel:BYTE_0 src1_sel:DWORD
	s_andn2_b64 s[4:5], s[4:5], exec
	s_and_b64 s[8:9], s[8:9], exec
	s_or_b64 s[4:5], s[4:5], s[8:9]
	s_or_b64 exec, exec, s[6:7]
	s_and_saveexec_b64 s[6:7], s[4:5]
	s_cbranch_execnz .LBB20_1539
	s_branch .LBB20_1540
.LBB20_3589:
	s_movk_i32 s4, 0x80
	v_cmp_eq_u16_sdwa s[12:13], v10, s4 src0_sel:BYTE_0 src1_sel:DWORD
	s_mov_b64 s[4:5], -1
                                        ; implicit-def: $sgpr10
	s_and_saveexec_b64 s[8:9], s[12:13]
; %bb.3590:
	s_mov_b32 s10, 0x7f800001
	s_xor_b64 s[4:5], exec, -1
; %bb.3591:
	s_or_b64 exec, exec, s[8:9]
	s_and_b64 s[4:5], s[4:5], exec
	s_or_saveexec_b64 s[6:7], s[6:7]
	v_mov_b32_e32 v21, s10
	s_xor_b64 exec, exec, s[6:7]
	s_cbranch_execz .LBB20_1542
.LBB20_3592:
	v_mov_b32_e32 v21, 0
	v_cmp_ne_u16_sdwa s[8:9], v10, v21 src0_sel:BYTE_0 src1_sel:DWORD
	s_andn2_b64 s[4:5], s[4:5], exec
	s_and_b64 s[8:9], s[8:9], exec
	s_or_b64 s[4:5], s[4:5], s[8:9]
	s_or_b64 exec, exec, s[6:7]
	s_and_saveexec_b64 s[6:7], s[4:5]
	s_cbranch_execnz .LBB20_1543
	s_branch .LBB20_1544
.LBB20_3593:
	s_movk_i32 s4, 0x80
	v_cmp_eq_u16_sdwa s[12:13], v21, s4 src0_sel:BYTE_0 src1_sel:DWORD
	s_mov_b64 s[4:5], -1
                                        ; implicit-def: $sgpr10
	s_and_saveexec_b64 s[8:9], s[12:13]
; %bb.3594:
	s_mov_b32 s10, 0x7f800001
	s_xor_b64 s[4:5], exec, -1
; %bb.3595:
	s_or_b64 exec, exec, s[8:9]
	s_and_b64 s[4:5], s[4:5], exec
	s_or_saveexec_b64 s[6:7], s[6:7]
	v_mov_b32_e32 v20, s10
	s_xor_b64 exec, exec, s[6:7]
	s_cbranch_execz .LBB20_1546
.LBB20_3596:
	v_mov_b32_e32 v20, 0
	v_cmp_ne_u16_sdwa s[8:9], v21, v20 src0_sel:BYTE_0 src1_sel:DWORD
	s_andn2_b64 s[4:5], s[4:5], exec
	s_and_b64 s[8:9], s[8:9], exec
	s_or_b64 s[4:5], s[4:5], s[8:9]
	s_or_b64 exec, exec, s[6:7]
	s_and_saveexec_b64 s[6:7], s[4:5]
	s_cbranch_execnz .LBB20_1547
	s_branch .LBB20_1548
.LBB20_3597:
	s_movk_i32 s4, 0x80
	v_cmp_eq_u16_sdwa s[12:13], v21, s4 src0_sel:BYTE_0 src1_sel:DWORD
	s_mov_b64 s[4:5], -1
                                        ; implicit-def: $sgpr10
	s_and_saveexec_b64 s[8:9], s[12:13]
; %bb.3598:
	s_mov_b32 s10, 0x7f800001
	s_xor_b64 s[4:5], exec, -1
; %bb.3599:
	s_or_b64 exec, exec, s[8:9]
	s_and_b64 s[4:5], s[4:5], exec
	s_or_saveexec_b64 s[6:7], s[6:7]
	v_mov_b32_e32 v22, s10
	s_xor_b64 exec, exec, s[6:7]
	s_cbranch_execz .LBB20_1550
.LBB20_3600:
	v_mov_b32_e32 v22, 0
	v_cmp_ne_u16_sdwa s[8:9], v21, v22 src0_sel:BYTE_0 src1_sel:DWORD
	s_andn2_b64 s[4:5], s[4:5], exec
	s_and_b64 s[8:9], s[8:9], exec
	s_or_b64 s[4:5], s[4:5], s[8:9]
	s_or_b64 exec, exec, s[6:7]
	s_and_saveexec_b64 s[6:7], s[4:5]
	s_cbranch_execnz .LBB20_1551
	s_branch .LBB20_1552
.LBB20_3601:
	s_movk_i32 s4, 0x80
	v_cmp_eq_u16_e32 vcc, s4, v21
	s_mov_b64 s[4:5], -1
                                        ; implicit-def: $sgpr10
	s_and_saveexec_b64 s[8:9], vcc
; %bb.3602:
	s_mov_b32 s10, 0x7f800001
	s_xor_b64 s[4:5], exec, -1
; %bb.3603:
	s_or_b64 exec, exec, s[8:9]
	s_and_b64 s[4:5], s[4:5], exec
                                        ; implicit-def: $vgpr21
	s_or_saveexec_b64 s[6:7], s[6:7]
	v_mov_b32_e32 v20, s10
	s_xor_b64 exec, exec, s[6:7]
	s_cbranch_execz .LBB20_1554
.LBB20_3604:
	v_cmp_ne_u16_e32 vcc, 0, v21
	s_andn2_b64 s[4:5], s[4:5], exec
	s_and_b64 s[8:9], vcc, exec
	v_mov_b32_e32 v20, 0
	s_or_b64 s[4:5], s[4:5], s[8:9]
	s_or_b64 exec, exec, s[6:7]
	s_and_saveexec_b64 s[6:7], s[4:5]
	s_cbranch_execnz .LBB20_1555
	s_branch .LBB20_1556
.LBB20_3605:
	s_movk_i32 s4, 0x80
	v_cmp_eq_u16_e32 vcc, s4, v21
	s_mov_b64 s[4:5], -1
                                        ; implicit-def: $sgpr10
	s_and_saveexec_b64 s[8:9], vcc
; %bb.3606:
	s_mov_b32 s10, 0x7f800001
	s_xor_b64 s[4:5], exec, -1
; %bb.3607:
	s_or_b64 exec, exec, s[8:9]
	s_and_b64 s[4:5], s[4:5], exec
                                        ; implicit-def: $vgpr21
	s_or_saveexec_b64 s[6:7], s[6:7]
	v_mov_b32_e32 v22, s10
	s_xor_b64 exec, exec, s[6:7]
	s_cbranch_execz .LBB20_1558
.LBB20_3608:
	v_cmp_ne_u16_e32 vcc, 0, v21
	s_andn2_b64 s[4:5], s[4:5], exec
	s_and_b64 s[8:9], vcc, exec
	v_mov_b32_e32 v22, 0
	s_or_b64 s[4:5], s[4:5], s[8:9]
	s_or_b64 exec, exec, s[6:7]
	s_and_saveexec_b64 s[6:7], s[4:5]
	s_cbranch_execnz .LBB20_1559
	s_branch .LBB20_1560
.LBB20_3609:
	s_movk_i32 s4, 0x80
	v_cmp_eq_u16_sdwa s[12:13], v14, s4 src0_sel:BYTE_3 src1_sel:DWORD
	s_mov_b64 s[4:5], -1
                                        ; implicit-def: $sgpr10
	s_and_saveexec_b64 s[8:9], s[12:13]
; %bb.3610:
	s_mov_b32 s10, 0x7f800001
	s_xor_b64 s[4:5], exec, -1
; %bb.3611:
	s_or_b64 exec, exec, s[8:9]
	s_and_b64 s[4:5], s[4:5], exec
	s_or_saveexec_b64 s[6:7], s[6:7]
	v_mov_b32_e32 v20, s10
	s_xor_b64 exec, exec, s[6:7]
	s_cbranch_execz .LBB20_1562
.LBB20_3612:
	v_mov_b32_e32 v20, 0
	v_cmp_ne_u16_sdwa s[8:9], v14, v20 src0_sel:BYTE_3 src1_sel:DWORD
	s_andn2_b64 s[4:5], s[4:5], exec
	s_and_b64 s[8:9], s[8:9], exec
	s_or_b64 s[4:5], s[4:5], s[8:9]
	s_or_b64 exec, exec, s[6:7]
	s_and_saveexec_b64 s[6:7], s[4:5]
	s_cbranch_execnz .LBB20_1563
	s_branch .LBB20_1564
.LBB20_3613:
	s_movk_i32 s4, 0x80
	v_cmp_eq_u16_sdwa s[12:13], v10, s4 src0_sel:BYTE_3 src1_sel:DWORD
	s_mov_b64 s[4:5], -1
                                        ; implicit-def: $sgpr10
	s_and_saveexec_b64 s[8:9], s[12:13]
; %bb.3614:
	s_mov_b32 s10, 0x7f800001
	s_xor_b64 s[4:5], exec, -1
; %bb.3615:
	s_or_b64 exec, exec, s[8:9]
	s_and_b64 s[4:5], s[4:5], exec
	s_or_saveexec_b64 s[6:7], s[6:7]
	v_mov_b32_e32 v14, s10
	s_xor_b64 exec, exec, s[6:7]
	s_cbranch_execz .LBB20_1566
.LBB20_3616:
	v_mov_b32_e32 v14, 0
	v_cmp_ne_u16_sdwa s[8:9], v10, v14 src0_sel:BYTE_3 src1_sel:DWORD
	s_andn2_b64 s[4:5], s[4:5], exec
	s_and_b64 s[8:9], s[8:9], exec
	s_or_b64 s[4:5], s[4:5], s[8:9]
	s_or_b64 exec, exec, s[6:7]
	s_and_saveexec_b64 s[6:7], s[4:5]
	s_cbranch_execnz .LBB20_1567
	s_branch .LBB20_1568
.LBB20_3617:
	s_movk_i32 s4, 0x80
	v_cmp_eq_u16_sdwa s[12:13], v15, s4 src0_sel:BYTE_0 src1_sel:DWORD
	s_mov_b64 s[4:5], -1
                                        ; implicit-def: $sgpr10
	s_and_saveexec_b64 s[8:9], s[12:13]
; %bb.3618:
	s_mov_b32 s10, 0x7f800001
	s_xor_b64 s[4:5], exec, -1
; %bb.3619:
	s_or_b64 exec, exec, s[8:9]
	s_and_b64 s[4:5], s[4:5], exec
	s_or_saveexec_b64 s[6:7], s[6:7]
	v_mov_b32_e32 v10, s10
	s_xor_b64 exec, exec, s[6:7]
	s_cbranch_execz .LBB20_1570
.LBB20_3620:
	v_mov_b32_e32 v10, 0
	v_cmp_ne_u16_sdwa s[8:9], v15, v10 src0_sel:BYTE_0 src1_sel:DWORD
	s_andn2_b64 s[4:5], s[4:5], exec
	s_and_b64 s[8:9], s[8:9], exec
	s_or_b64 s[4:5], s[4:5], s[8:9]
	s_or_b64 exec, exec, s[6:7]
	s_and_saveexec_b64 s[6:7], s[4:5]
	s_cbranch_execnz .LBB20_1571
	s_branch .LBB20_1572
.LBB20_3621:
	s_movk_i32 s4, 0x80
	v_cmp_eq_u16_sdwa s[12:13], v11, s4 src0_sel:BYTE_0 src1_sel:DWORD
	s_mov_b64 s[4:5], -1
                                        ; implicit-def: $sgpr10
	s_and_saveexec_b64 s[8:9], s[12:13]
; %bb.3622:
	s_mov_b32 s10, 0x7f800001
	s_xor_b64 s[4:5], exec, -1
; %bb.3623:
	s_or_b64 exec, exec, s[8:9]
	s_and_b64 s[4:5], s[4:5], exec
	s_or_saveexec_b64 s[6:7], s[6:7]
	v_mov_b32_e32 v14, s10
	s_xor_b64 exec, exec, s[6:7]
	s_cbranch_execz .LBB20_1574
.LBB20_3624:
	v_mov_b32_e32 v14, 0
	v_cmp_ne_u16_sdwa s[8:9], v11, v14 src0_sel:BYTE_0 src1_sel:DWORD
	s_andn2_b64 s[4:5], s[4:5], exec
	s_and_b64 s[8:9], s[8:9], exec
	s_or_b64 s[4:5], s[4:5], s[8:9]
	s_or_b64 exec, exec, s[6:7]
	s_and_saveexec_b64 s[6:7], s[4:5]
	s_cbranch_execnz .LBB20_1575
	s_branch .LBB20_1576
.LBB20_3625:
	s_movk_i32 s4, 0x80
	v_cmp_eq_u16_sdwa s[12:13], v14, s4 src0_sel:BYTE_0 src1_sel:DWORD
	s_mov_b64 s[4:5], -1
                                        ; implicit-def: $sgpr10
	s_and_saveexec_b64 s[8:9], s[12:13]
; %bb.3626:
	s_mov_b32 s10, 0x7f800001
	s_xor_b64 s[4:5], exec, -1
; %bb.3627:
	s_or_b64 exec, exec, s[8:9]
	s_and_b64 s[4:5], s[4:5], exec
	s_or_saveexec_b64 s[6:7], s[6:7]
	v_mov_b32_e32 v10, s10
	s_xor_b64 exec, exec, s[6:7]
	s_cbranch_execz .LBB20_1578
.LBB20_3628:
	v_mov_b32_e32 v10, 0
	v_cmp_ne_u16_sdwa s[8:9], v14, v10 src0_sel:BYTE_0 src1_sel:DWORD
	s_andn2_b64 s[4:5], s[4:5], exec
	s_and_b64 s[8:9], s[8:9], exec
	s_or_b64 s[4:5], s[4:5], s[8:9]
	s_or_b64 exec, exec, s[6:7]
	s_and_saveexec_b64 s[6:7], s[4:5]
	s_cbranch_execnz .LBB20_1579
	s_branch .LBB20_1580
.LBB20_3629:
	s_movk_i32 s4, 0x80
	v_cmp_eq_u16_sdwa s[12:13], v14, s4 src0_sel:BYTE_0 src1_sel:DWORD
	s_mov_b64 s[4:5], -1
                                        ; implicit-def: $sgpr10
	s_and_saveexec_b64 s[8:9], s[12:13]
; %bb.3630:
	s_mov_b32 s10, 0x7f800001
	s_xor_b64 s[4:5], exec, -1
; %bb.3631:
	s_or_b64 exec, exec, s[8:9]
	s_and_b64 s[4:5], s[4:5], exec
	s_or_saveexec_b64 s[6:7], s[6:7]
	v_mov_b32_e32 v20, s10
	s_xor_b64 exec, exec, s[6:7]
	s_cbranch_execz .LBB20_1582
.LBB20_3632:
	v_mov_b32_e32 v20, 0
	v_cmp_ne_u16_sdwa s[8:9], v14, v20 src0_sel:BYTE_0 src1_sel:DWORD
	s_andn2_b64 s[4:5], s[4:5], exec
	s_and_b64 s[8:9], s[8:9], exec
	s_or_b64 s[4:5], s[4:5], s[8:9]
	s_or_b64 exec, exec, s[6:7]
	s_and_saveexec_b64 s[6:7], s[4:5]
	s_cbranch_execnz .LBB20_1583
	s_branch .LBB20_1584
.LBB20_3633:
	s_movk_i32 s4, 0x80
	v_cmp_eq_u16_e32 vcc, s4, v14
	s_mov_b64 s[4:5], -1
                                        ; implicit-def: $sgpr10
	s_and_saveexec_b64 s[8:9], vcc
; %bb.3634:
	s_mov_b32 s10, 0x7f800001
	s_xor_b64 s[4:5], exec, -1
; %bb.3635:
	s_or_b64 exec, exec, s[8:9]
	s_and_b64 s[4:5], s[4:5], exec
                                        ; implicit-def: $vgpr14
	s_or_saveexec_b64 s[6:7], s[6:7]
	v_mov_b32_e32 v10, s10
	s_xor_b64 exec, exec, s[6:7]
	s_cbranch_execz .LBB20_1586
.LBB20_3636:
	v_cmp_ne_u16_e32 vcc, 0, v14
	s_andn2_b64 s[4:5], s[4:5], exec
	s_and_b64 s[8:9], vcc, exec
	v_mov_b32_e32 v10, 0
	s_or_b64 s[4:5], s[4:5], s[8:9]
	s_or_b64 exec, exec, s[6:7]
	s_and_saveexec_b64 s[6:7], s[4:5]
	s_cbranch_execnz .LBB20_1587
	s_branch .LBB20_1588
.LBB20_3637:
	s_movk_i32 s4, 0x80
	v_cmp_eq_u16_e32 vcc, s4, v14
	s_mov_b64 s[4:5], -1
                                        ; implicit-def: $sgpr10
	s_and_saveexec_b64 s[8:9], vcc
; %bb.3638:
	s_mov_b32 s10, 0x7f800001
	s_xor_b64 s[4:5], exec, -1
; %bb.3639:
	s_or_b64 exec, exec, s[8:9]
	s_and_b64 s[4:5], s[4:5], exec
                                        ; implicit-def: $vgpr14
	s_or_saveexec_b64 s[6:7], s[6:7]
	v_mov_b32_e32 v20, s10
	s_xor_b64 exec, exec, s[6:7]
	s_cbranch_execz .LBB20_1590
.LBB20_3640:
	v_cmp_ne_u16_e32 vcc, 0, v14
	s_andn2_b64 s[4:5], s[4:5], exec
	s_and_b64 s[8:9], vcc, exec
	v_mov_b32_e32 v20, 0
	s_or_b64 s[4:5], s[4:5], s[8:9]
	s_or_b64 exec, exec, s[6:7]
	s_and_saveexec_b64 s[6:7], s[4:5]
	s_cbranch_execnz .LBB20_1591
	s_branch .LBB20_1592
.LBB20_3641:
	s_movk_i32 s4, 0x80
	v_cmp_eq_u16_sdwa s[12:13], v15, s4 src0_sel:BYTE_3 src1_sel:DWORD
	s_mov_b64 s[4:5], -1
                                        ; implicit-def: $sgpr10
	s_and_saveexec_b64 s[8:9], s[12:13]
; %bb.3642:
	s_mov_b32 s10, 0x7f800001
	s_xor_b64 s[4:5], exec, -1
; %bb.3643:
	s_or_b64 exec, exec, s[8:9]
	s_and_b64 s[4:5], s[4:5], exec
	s_or_saveexec_b64 s[6:7], s[6:7]
	v_mov_b32_e32 v10, s10
	s_xor_b64 exec, exec, s[6:7]
	s_cbranch_execz .LBB20_1594
.LBB20_3644:
	v_mov_b32_e32 v10, 0
	v_cmp_ne_u16_sdwa s[8:9], v15, v10 src0_sel:BYTE_3 src1_sel:DWORD
	s_andn2_b64 s[4:5], s[4:5], exec
	s_and_b64 s[8:9], s[8:9], exec
	s_or_b64 s[4:5], s[4:5], s[8:9]
	s_or_b64 exec, exec, s[6:7]
	s_and_saveexec_b64 s[6:7], s[4:5]
	s_cbranch_execnz .LBB20_1595
	s_branch .LBB20_1596
.LBB20_3645:
	s_movk_i32 s4, 0x80
	v_cmp_eq_u16_sdwa s[12:13], v11, s4 src0_sel:BYTE_3 src1_sel:DWORD
	s_mov_b64 s[4:5], -1
                                        ; implicit-def: $sgpr10
	s_and_saveexec_b64 s[8:9], s[12:13]
; %bb.3646:
	s_mov_b32 s10, 0x7f800001
	s_xor_b64 s[4:5], exec, -1
; %bb.3647:
	s_or_b64 exec, exec, s[8:9]
	s_and_b64 s[4:5], s[4:5], exec
	s_or_saveexec_b64 s[6:7], s[6:7]
	v_mov_b32_e32 v14, s10
	s_xor_b64 exec, exec, s[6:7]
	s_cbranch_execz .LBB20_1598
.LBB20_3648:
	v_mov_b32_e32 v14, 0
	v_cmp_ne_u16_sdwa s[8:9], v11, v14 src0_sel:BYTE_3 src1_sel:DWORD
	s_andn2_b64 s[4:5], s[4:5], exec
	s_and_b64 s[8:9], s[8:9], exec
	s_or_b64 s[4:5], s[4:5], s[8:9]
	s_or_b64 exec, exec, s[6:7]
	s_and_saveexec_b64 s[6:7], s[4:5]
	s_cbranch_execnz .LBB20_1599
	s_branch .LBB20_1600
.LBB20_3649:
	s_movk_i32 s4, 0x80
	v_cmp_eq_u16_sdwa s[12:13], v16, s4 src0_sel:BYTE_0 src1_sel:DWORD
	s_mov_b64 s[4:5], -1
                                        ; implicit-def: $sgpr10
	s_and_saveexec_b64 s[8:9], s[12:13]
; %bb.3650:
	s_mov_b32 s10, 0x7f800001
	s_xor_b64 s[4:5], exec, -1
; %bb.3651:
	s_or_b64 exec, exec, s[8:9]
	s_and_b64 s[4:5], s[4:5], exec
	s_or_saveexec_b64 s[6:7], s[6:7]
	v_mov_b32_e32 v10, s10
	s_xor_b64 exec, exec, s[6:7]
	s_cbranch_execz .LBB20_1602
.LBB20_3652:
	v_mov_b32_e32 v10, 0
	v_cmp_ne_u16_sdwa s[8:9], v16, v10 src0_sel:BYTE_0 src1_sel:DWORD
	s_andn2_b64 s[4:5], s[4:5], exec
	s_and_b64 s[8:9], s[8:9], exec
	s_or_b64 s[4:5], s[4:5], s[8:9]
	s_or_b64 exec, exec, s[6:7]
	s_and_saveexec_b64 s[6:7], s[4:5]
	s_cbranch_execnz .LBB20_1603
	s_branch .LBB20_1604
.LBB20_3653:
	s_movk_i32 s4, 0x80
	v_cmp_eq_u16_sdwa s[12:13], v12, s4 src0_sel:BYTE_0 src1_sel:DWORD
	s_mov_b64 s[4:5], -1
                                        ; implicit-def: $sgpr10
	s_and_saveexec_b64 s[8:9], s[12:13]
; %bb.3654:
	s_mov_b32 s10, 0x7f800001
	s_xor_b64 s[4:5], exec, -1
; %bb.3655:
	s_or_b64 exec, exec, s[8:9]
	s_and_b64 s[4:5], s[4:5], exec
	s_or_saveexec_b64 s[6:7], s[6:7]
	v_mov_b32_e32 v11, s10
	s_xor_b64 exec, exec, s[6:7]
	s_cbranch_execz .LBB20_1606
.LBB20_3656:
	v_mov_b32_e32 v11, 0
	v_cmp_ne_u16_sdwa s[8:9], v12, v11 src0_sel:BYTE_0 src1_sel:DWORD
	s_andn2_b64 s[4:5], s[4:5], exec
	s_and_b64 s[8:9], s[8:9], exec
	s_or_b64 s[4:5], s[4:5], s[8:9]
	s_or_b64 exec, exec, s[6:7]
	s_and_saveexec_b64 s[6:7], s[4:5]
	s_cbranch_execnz .LBB20_1607
	s_branch .LBB20_1608
.LBB20_3657:
	s_movk_i32 s4, 0x80
	v_cmp_eq_u16_sdwa s[12:13], v11, s4 src0_sel:BYTE_0 src1_sel:DWORD
	s_mov_b64 s[4:5], -1
                                        ; implicit-def: $sgpr10
	s_and_saveexec_b64 s[8:9], s[12:13]
; %bb.3658:
	s_mov_b32 s10, 0x7f800001
	s_xor_b64 s[4:5], exec, -1
; %bb.3659:
	s_or_b64 exec, exec, s[8:9]
	s_and_b64 s[4:5], s[4:5], exec
	s_or_saveexec_b64 s[6:7], s[6:7]
	v_mov_b32_e32 v10, s10
	s_xor_b64 exec, exec, s[6:7]
	s_cbranch_execz .LBB20_1610
.LBB20_3660:
	v_mov_b32_e32 v10, 0
	v_cmp_ne_u16_sdwa s[8:9], v11, v10 src0_sel:BYTE_0 src1_sel:DWORD
	s_andn2_b64 s[4:5], s[4:5], exec
	s_and_b64 s[8:9], s[8:9], exec
	s_or_b64 s[4:5], s[4:5], s[8:9]
	s_or_b64 exec, exec, s[6:7]
	s_and_saveexec_b64 s[6:7], s[4:5]
	s_cbranch_execnz .LBB20_1611
	s_branch .LBB20_1612
.LBB20_3661:
	s_movk_i32 s4, 0x80
	v_cmp_eq_u16_sdwa s[12:13], v11, s4 src0_sel:BYTE_0 src1_sel:DWORD
	s_mov_b64 s[4:5], -1
                                        ; implicit-def: $sgpr10
	s_and_saveexec_b64 s[8:9], s[12:13]
; %bb.3662:
	s_mov_b32 s10, 0x7f800001
	s_xor_b64 s[4:5], exec, -1
; %bb.3663:
	s_or_b64 exec, exec, s[8:9]
	s_and_b64 s[4:5], s[4:5], exec
	s_or_saveexec_b64 s[6:7], s[6:7]
	v_mov_b32_e32 v14, s10
	s_xor_b64 exec, exec, s[6:7]
	s_cbranch_execz .LBB20_1614
.LBB20_3664:
	v_mov_b32_e32 v14, 0
	v_cmp_ne_u16_sdwa s[8:9], v11, v14 src0_sel:BYTE_0 src1_sel:DWORD
	s_andn2_b64 s[4:5], s[4:5], exec
	s_and_b64 s[8:9], s[8:9], exec
	s_or_b64 s[4:5], s[4:5], s[8:9]
	s_or_b64 exec, exec, s[6:7]
	s_and_saveexec_b64 s[6:7], s[4:5]
	s_cbranch_execnz .LBB20_1615
	s_branch .LBB20_1616
.LBB20_3665:
	s_movk_i32 s4, 0x80
	v_cmp_eq_u16_e32 vcc, s4, v11
	s_mov_b64 s[4:5], -1
                                        ; implicit-def: $sgpr10
	s_and_saveexec_b64 s[8:9], vcc
; %bb.3666:
	s_mov_b32 s10, 0x7f800001
	s_xor_b64 s[4:5], exec, -1
; %bb.3667:
	s_or_b64 exec, exec, s[8:9]
	s_and_b64 s[4:5], s[4:5], exec
                                        ; implicit-def: $vgpr11
	s_or_saveexec_b64 s[6:7], s[6:7]
	v_mov_b32_e32 v10, s10
	s_xor_b64 exec, exec, s[6:7]
	s_cbranch_execz .LBB20_1618
.LBB20_3668:
	v_cmp_ne_u16_e32 vcc, 0, v11
	s_andn2_b64 s[4:5], s[4:5], exec
	s_and_b64 s[8:9], vcc, exec
	v_mov_b32_e32 v10, 0
	s_or_b64 s[4:5], s[4:5], s[8:9]
	s_or_b64 exec, exec, s[6:7]
	s_and_saveexec_b64 s[6:7], s[4:5]
	s_cbranch_execnz .LBB20_1619
	s_branch .LBB20_1620
.LBB20_3669:
	s_movk_i32 s4, 0x80
	v_cmp_eq_u16_e32 vcc, s4, v11
	s_mov_b64 s[4:5], -1
                                        ; implicit-def: $sgpr10
	s_and_saveexec_b64 s[8:9], vcc
; %bb.3670:
	s_mov_b32 s10, 0x7f800001
	s_xor_b64 s[4:5], exec, -1
; %bb.3671:
	s_or_b64 exec, exec, s[8:9]
	s_and_b64 s[4:5], s[4:5], exec
                                        ; implicit-def: $vgpr11
	s_or_saveexec_b64 s[6:7], s[6:7]
	v_mov_b32_e32 v14, s10
	s_xor_b64 exec, exec, s[6:7]
	s_cbranch_execz .LBB20_1622
.LBB20_3672:
	v_cmp_ne_u16_e32 vcc, 0, v11
	s_andn2_b64 s[4:5], s[4:5], exec
	s_and_b64 s[8:9], vcc, exec
	v_mov_b32_e32 v14, 0
	s_or_b64 s[4:5], s[4:5], s[8:9]
	s_or_b64 exec, exec, s[6:7]
	s_and_saveexec_b64 s[6:7], s[4:5]
	s_cbranch_execnz .LBB20_1623
	s_branch .LBB20_1624
.LBB20_3673:
	s_movk_i32 s4, 0x80
	v_cmp_eq_u16_sdwa s[12:13], v16, s4 src0_sel:BYTE_3 src1_sel:DWORD
	s_mov_b64 s[4:5], -1
                                        ; implicit-def: $sgpr10
	s_and_saveexec_b64 s[8:9], s[12:13]
; %bb.3674:
	s_mov_b32 s10, 0x7f800001
	s_xor_b64 s[4:5], exec, -1
; %bb.3675:
	s_or_b64 exec, exec, s[8:9]
	s_and_b64 s[4:5], s[4:5], exec
	s_or_saveexec_b64 s[6:7], s[6:7]
	v_mov_b32_e32 v10, s10
	s_xor_b64 exec, exec, s[6:7]
	s_cbranch_execz .LBB20_1626
.LBB20_3676:
	v_mov_b32_e32 v10, 0
	v_cmp_ne_u16_sdwa s[8:9], v16, v10 src0_sel:BYTE_3 src1_sel:DWORD
	s_andn2_b64 s[4:5], s[4:5], exec
	s_and_b64 s[8:9], s[8:9], exec
	s_or_b64 s[4:5], s[4:5], s[8:9]
	s_or_b64 exec, exec, s[6:7]
	s_and_saveexec_b64 s[6:7], s[4:5]
	s_cbranch_execnz .LBB20_1627
	s_branch .LBB20_1628
.LBB20_3677:
	s_movk_i32 s4, 0x80
	v_cmp_eq_u16_sdwa s[12:13], v12, s4 src0_sel:BYTE_3 src1_sel:DWORD
	s_mov_b64 s[4:5], -1
                                        ; implicit-def: $sgpr10
	s_and_saveexec_b64 s[8:9], s[12:13]
; %bb.3678:
	s_mov_b32 s10, 0x7f800001
	s_xor_b64 s[4:5], exec, -1
; %bb.3679:
	s_or_b64 exec, exec, s[8:9]
	s_and_b64 s[4:5], s[4:5], exec
	s_or_saveexec_b64 s[6:7], s[6:7]
	v_mov_b32_e32 v11, s10
	s_xor_b64 exec, exec, s[6:7]
	s_cbranch_execz .LBB20_1630
.LBB20_3680:
	v_mov_b32_e32 v11, 0
	v_cmp_ne_u16_sdwa s[8:9], v12, v11 src0_sel:BYTE_3 src1_sel:DWORD
	s_andn2_b64 s[4:5], s[4:5], exec
	s_and_b64 s[8:9], s[8:9], exec
	s_or_b64 s[4:5], s[4:5], s[8:9]
	s_or_b64 exec, exec, s[6:7]
	s_and_saveexec_b64 s[6:7], s[4:5]
	s_cbranch_execnz .LBB20_1631
	s_branch .LBB20_1632
.LBB20_3681:
	s_movk_i32 s4, 0x80
	v_cmp_eq_u16_sdwa s[12:13], v17, s4 src0_sel:BYTE_0 src1_sel:DWORD
	s_mov_b64 s[4:5], -1
                                        ; implicit-def: $sgpr10
	s_and_saveexec_b64 s[8:9], s[12:13]
; %bb.3682:
	s_mov_b32 s10, 0x7f800001
	s_xor_b64 s[4:5], exec, -1
; %bb.3683:
	s_or_b64 exec, exec, s[8:9]
	s_and_b64 s[4:5], s[4:5], exec
	s_or_saveexec_b64 s[6:7], s[6:7]
	v_mov_b32_e32 v10, s10
	s_xor_b64 exec, exec, s[6:7]
	s_cbranch_execz .LBB20_1634
.LBB20_3684:
	v_mov_b32_e32 v10, 0
	v_cmp_ne_u16_sdwa s[8:9], v17, v10 src0_sel:BYTE_0 src1_sel:DWORD
	s_andn2_b64 s[4:5], s[4:5], exec
	s_and_b64 s[8:9], s[8:9], exec
	s_or_b64 s[4:5], s[4:5], s[8:9]
	s_or_b64 exec, exec, s[6:7]
	s_and_saveexec_b64 s[6:7], s[4:5]
	s_cbranch_execnz .LBB20_1635
	s_branch .LBB20_1636
.LBB20_3685:
	s_movk_i32 s4, 0x80
	v_cmp_eq_u16_sdwa s[12:13], v13, s4 src0_sel:BYTE_0 src1_sel:DWORD
	s_mov_b64 s[4:5], -1
                                        ; implicit-def: $sgpr10
	s_and_saveexec_b64 s[8:9], s[12:13]
; %bb.3686:
	s_mov_b32 s10, 0x7f800001
	s_xor_b64 s[4:5], exec, -1
; %bb.3687:
	s_or_b64 exec, exec, s[8:9]
	s_and_b64 s[4:5], s[4:5], exec
	s_or_saveexec_b64 s[6:7], s[6:7]
	v_mov_b32_e32 v11, s10
	s_xor_b64 exec, exec, s[6:7]
	s_cbranch_execz .LBB20_1638
.LBB20_3688:
	v_mov_b32_e32 v11, 0
	v_cmp_ne_u16_sdwa s[8:9], v13, v11 src0_sel:BYTE_0 src1_sel:DWORD
	s_andn2_b64 s[4:5], s[4:5], exec
	s_and_b64 s[8:9], s[8:9], exec
	s_or_b64 s[4:5], s[4:5], s[8:9]
	s_or_b64 exec, exec, s[6:7]
	s_and_saveexec_b64 s[6:7], s[4:5]
	s_cbranch_execnz .LBB20_1639
	s_branch .LBB20_1640
.LBB20_3689:
	s_movk_i32 s4, 0x80
	v_cmp_eq_u16_sdwa s[12:13], v11, s4 src0_sel:BYTE_0 src1_sel:DWORD
	s_mov_b64 s[4:5], -1
                                        ; implicit-def: $sgpr10
	s_and_saveexec_b64 s[8:9], s[12:13]
; %bb.3690:
	s_mov_b32 s10, 0x7f800001
	s_xor_b64 s[4:5], exec, -1
; %bb.3691:
	s_or_b64 exec, exec, s[8:9]
	s_and_b64 s[4:5], s[4:5], exec
	s_or_saveexec_b64 s[6:7], s[6:7]
	v_mov_b32_e32 v10, s10
	s_xor_b64 exec, exec, s[6:7]
	s_cbranch_execz .LBB20_1642
.LBB20_3692:
	v_mov_b32_e32 v10, 0
	v_cmp_ne_u16_sdwa s[8:9], v11, v10 src0_sel:BYTE_0 src1_sel:DWORD
	s_andn2_b64 s[4:5], s[4:5], exec
	s_and_b64 s[8:9], s[8:9], exec
	s_or_b64 s[4:5], s[4:5], s[8:9]
	s_or_b64 exec, exec, s[6:7]
	s_and_saveexec_b64 s[6:7], s[4:5]
	s_cbranch_execnz .LBB20_1643
	s_branch .LBB20_1644
.LBB20_3693:
	s_movk_i32 s4, 0x80
	v_cmp_eq_u16_sdwa s[12:13], v11, s4 src0_sel:BYTE_0 src1_sel:DWORD
	s_mov_b64 s[4:5], -1
                                        ; implicit-def: $sgpr10
	s_and_saveexec_b64 s[8:9], s[12:13]
; %bb.3694:
	s_mov_b32 s10, 0x7f800001
	s_xor_b64 s[4:5], exec, -1
; %bb.3695:
	s_or_b64 exec, exec, s[8:9]
	s_and_b64 s[4:5], s[4:5], exec
	s_or_saveexec_b64 s[6:7], s[6:7]
	v_mov_b32_e32 v12, s10
	s_xor_b64 exec, exec, s[6:7]
	s_cbranch_execz .LBB20_1646
.LBB20_3696:
	v_mov_b32_e32 v12, 0
	v_cmp_ne_u16_sdwa s[8:9], v11, v12 src0_sel:BYTE_0 src1_sel:DWORD
	s_andn2_b64 s[4:5], s[4:5], exec
	s_and_b64 s[8:9], s[8:9], exec
	s_or_b64 s[4:5], s[4:5], s[8:9]
	s_or_b64 exec, exec, s[6:7]
	s_and_saveexec_b64 s[6:7], s[4:5]
	s_cbranch_execnz .LBB20_1647
	s_branch .LBB20_1648
.LBB20_3697:
	s_movk_i32 s4, 0x80
	v_cmp_eq_u16_e32 vcc, s4, v11
	s_mov_b64 s[4:5], -1
                                        ; implicit-def: $sgpr10
	s_and_saveexec_b64 s[8:9], vcc
; %bb.3698:
	s_mov_b32 s10, 0x7f800001
	s_xor_b64 s[4:5], exec, -1
; %bb.3699:
	s_or_b64 exec, exec, s[8:9]
	s_and_b64 s[4:5], s[4:5], exec
                                        ; implicit-def: $vgpr11
	s_or_saveexec_b64 s[6:7], s[6:7]
	v_mov_b32_e32 v10, s10
	s_xor_b64 exec, exec, s[6:7]
	s_cbranch_execz .LBB20_1650
.LBB20_3700:
	v_cmp_ne_u16_e32 vcc, 0, v11
	s_andn2_b64 s[4:5], s[4:5], exec
	s_and_b64 s[8:9], vcc, exec
	v_mov_b32_e32 v10, 0
	s_or_b64 s[4:5], s[4:5], s[8:9]
	s_or_b64 exec, exec, s[6:7]
	s_and_saveexec_b64 s[6:7], s[4:5]
	s_cbranch_execnz .LBB20_1651
	s_branch .LBB20_1652
.LBB20_3701:
	s_movk_i32 s4, 0x80
	v_cmp_eq_u16_e32 vcc, s4, v11
	s_mov_b64 s[4:5], -1
                                        ; implicit-def: $sgpr10
	s_and_saveexec_b64 s[8:9], vcc
; %bb.3702:
	s_mov_b32 s10, 0x7f800001
	s_xor_b64 s[4:5], exec, -1
; %bb.3703:
	s_or_b64 exec, exec, s[8:9]
	s_and_b64 s[4:5], s[4:5], exec
                                        ; implicit-def: $vgpr11
	s_or_saveexec_b64 s[6:7], s[6:7]
	v_mov_b32_e32 v12, s10
	s_xor_b64 exec, exec, s[6:7]
	s_cbranch_execz .LBB20_1654
.LBB20_3704:
	v_cmp_ne_u16_e32 vcc, 0, v11
	s_andn2_b64 s[4:5], s[4:5], exec
	s_and_b64 s[8:9], vcc, exec
	v_mov_b32_e32 v12, 0
	s_or_b64 s[4:5], s[4:5], s[8:9]
	s_or_b64 exec, exec, s[6:7]
	s_and_saveexec_b64 s[6:7], s[4:5]
	s_cbranch_execnz .LBB20_1655
	s_branch .LBB20_1656
.LBB20_3705:
	s_movk_i32 s4, 0x80
	v_cmp_eq_u16_sdwa s[12:13], v17, s4 src0_sel:BYTE_3 src1_sel:DWORD
	s_mov_b64 s[4:5], -1
                                        ; implicit-def: $sgpr10
	s_and_saveexec_b64 s[8:9], s[12:13]
; %bb.3706:
	s_mov_b32 s10, 0x7f800001
	s_xor_b64 s[4:5], exec, -1
; %bb.3707:
	s_or_b64 exec, exec, s[8:9]
	s_and_b64 s[4:5], s[4:5], exec
	s_or_saveexec_b64 s[6:7], s[6:7]
	v_mov_b32_e32 v10, s10
	s_xor_b64 exec, exec, s[6:7]
	s_cbranch_execz .LBB20_1658
.LBB20_3708:
	v_mov_b32_e32 v10, 0
	v_cmp_ne_u16_sdwa s[8:9], v17, v10 src0_sel:BYTE_3 src1_sel:DWORD
	s_andn2_b64 s[4:5], s[4:5], exec
	s_and_b64 s[8:9], s[8:9], exec
	s_or_b64 s[4:5], s[4:5], s[8:9]
	s_or_b64 exec, exec, s[6:7]
	s_and_saveexec_b64 s[6:7], s[4:5]
	s_cbranch_execnz .LBB20_1659
	s_branch .LBB20_1660
.LBB20_3709:
	s_movk_i32 s4, 0x80
	v_cmp_eq_u16_sdwa s[12:13], v13, s4 src0_sel:BYTE_3 src1_sel:DWORD
	s_mov_b64 s[4:5], -1
                                        ; implicit-def: $sgpr10
	s_and_saveexec_b64 s[8:9], s[12:13]
; %bb.3710:
	s_mov_b32 s10, 0x7f800001
	s_xor_b64 s[4:5], exec, -1
; %bb.3711:
	s_or_b64 exec, exec, s[8:9]
	s_and_b64 s[4:5], s[4:5], exec
	s_or_saveexec_b64 s[6:7], s[6:7]
	v_mov_b32_e32 v11, s10
	s_xor_b64 exec, exec, s[6:7]
	s_cbranch_execz .LBB20_1662
.LBB20_3712:
	v_mov_b32_e32 v11, 0
	v_cmp_ne_u16_sdwa s[8:9], v13, v11 src0_sel:BYTE_3 src1_sel:DWORD
	s_andn2_b64 s[4:5], s[4:5], exec
	s_and_b64 s[8:9], s[8:9], exec
	s_or_b64 s[4:5], s[4:5], s[8:9]
	s_or_b64 exec, exec, s[6:7]
	s_and_saveexec_b64 s[6:7], s[4:5]
	s_cbranch_execnz .LBB20_1663
	s_branch .LBB20_1664
.LBB20_3713:
	s_movk_i32 s4, 0x80
	v_cmp_eq_u16_sdwa s[12:13], v6, s4 src0_sel:BYTE_0 src1_sel:DWORD
	s_mov_b64 s[4:5], -1
                                        ; implicit-def: $sgpr10
	s_and_saveexec_b64 s[8:9], s[12:13]
; %bb.3714:
	s_mov_b32 s10, 0x7f800001
	s_xor_b64 s[4:5], exec, -1
; %bb.3715:
	s_or_b64 exec, exec, s[8:9]
	s_and_b64 s[4:5], s[4:5], exec
	s_or_saveexec_b64 s[6:7], s[6:7]
	v_mov_b32_e32 v10, s10
	s_xor_b64 exec, exec, s[6:7]
	s_cbranch_execz .LBB20_1666
.LBB20_3716:
	v_mov_b32_e32 v10, 0
	v_cmp_ne_u16_sdwa s[8:9], v6, v10 src0_sel:BYTE_0 src1_sel:DWORD
	s_andn2_b64 s[4:5], s[4:5], exec
	s_and_b64 s[8:9], s[8:9], exec
	s_or_b64 s[4:5], s[4:5], s[8:9]
	s_or_b64 exec, exec, s[6:7]
	s_and_saveexec_b64 s[6:7], s[4:5]
	s_cbranch_execnz .LBB20_1667
	s_branch .LBB20_1668
.LBB20_3717:
	s_movk_i32 s4, 0x80
	v_cmp_eq_u16_sdwa s[12:13], v2, s4 src0_sel:BYTE_0 src1_sel:DWORD
	s_mov_b64 s[4:5], -1
                                        ; implicit-def: $sgpr10
	s_and_saveexec_b64 s[8:9], s[12:13]
; %bb.3718:
	s_mov_b32 s10, 0x7f800001
	s_xor_b64 s[4:5], exec, -1
; %bb.3719:
	s_or_b64 exec, exec, s[8:9]
	s_and_b64 s[4:5], s[4:5], exec
	s_or_saveexec_b64 s[6:7], s[6:7]
	v_mov_b32_e32 v11, s10
	s_xor_b64 exec, exec, s[6:7]
	s_cbranch_execz .LBB20_1670
.LBB20_3720:
	v_mov_b32_e32 v11, 0
	v_cmp_ne_u16_sdwa s[8:9], v2, v11 src0_sel:BYTE_0 src1_sel:DWORD
	s_andn2_b64 s[4:5], s[4:5], exec
	s_and_b64 s[8:9], s[8:9], exec
	s_or_b64 s[4:5], s[4:5], s[8:9]
	s_or_b64 exec, exec, s[6:7]
	s_and_saveexec_b64 s[6:7], s[4:5]
	s_cbranch_execnz .LBB20_1671
	s_branch .LBB20_1672
.LBB20_3721:
	s_movk_i32 s4, 0x80
	v_cmp_eq_u16_sdwa s[12:13], v11, s4 src0_sel:BYTE_0 src1_sel:DWORD
	s_mov_b64 s[4:5], -1
                                        ; implicit-def: $sgpr10
	s_and_saveexec_b64 s[8:9], s[12:13]
; %bb.3722:
	s_mov_b32 s10, 0x7f800001
	s_xor_b64 s[4:5], exec, -1
; %bb.3723:
	s_or_b64 exec, exec, s[8:9]
	s_and_b64 s[4:5], s[4:5], exec
	s_or_saveexec_b64 s[6:7], s[6:7]
	v_mov_b32_e32 v10, s10
	s_xor_b64 exec, exec, s[6:7]
	s_cbranch_execz .LBB20_1674
.LBB20_3724:
	v_mov_b32_e32 v10, 0
	v_cmp_ne_u16_sdwa s[8:9], v11, v10 src0_sel:BYTE_0 src1_sel:DWORD
	s_andn2_b64 s[4:5], s[4:5], exec
	s_and_b64 s[8:9], s[8:9], exec
	s_or_b64 s[4:5], s[4:5], s[8:9]
	s_or_b64 exec, exec, s[6:7]
	s_and_saveexec_b64 s[6:7], s[4:5]
	s_cbranch_execnz .LBB20_1675
	s_branch .LBB20_1676
.LBB20_3725:
	s_movk_i32 s4, 0x80
	v_cmp_eq_u16_sdwa s[12:13], v11, s4 src0_sel:BYTE_0 src1_sel:DWORD
	s_mov_b64 s[4:5], -1
                                        ; implicit-def: $sgpr10
	s_and_saveexec_b64 s[8:9], s[12:13]
; %bb.3726:
	s_mov_b32 s10, 0x7f800001
	s_xor_b64 s[4:5], exec, -1
; %bb.3727:
	s_or_b64 exec, exec, s[8:9]
	s_and_b64 s[4:5], s[4:5], exec
	s_or_saveexec_b64 s[6:7], s[6:7]
	v_mov_b32_e32 v12, s10
	s_xor_b64 exec, exec, s[6:7]
	s_cbranch_execz .LBB20_1678
.LBB20_3728:
	v_mov_b32_e32 v12, 0
	v_cmp_ne_u16_sdwa s[8:9], v11, v12 src0_sel:BYTE_0 src1_sel:DWORD
	s_andn2_b64 s[4:5], s[4:5], exec
	s_and_b64 s[8:9], s[8:9], exec
	s_or_b64 s[4:5], s[4:5], s[8:9]
	s_or_b64 exec, exec, s[6:7]
	s_and_saveexec_b64 s[6:7], s[4:5]
	s_cbranch_execnz .LBB20_1679
	s_branch .LBB20_1680
.LBB20_3729:
	s_movk_i32 s4, 0x80
	v_cmp_eq_u16_e32 vcc, s4, v11
	s_mov_b64 s[4:5], -1
                                        ; implicit-def: $sgpr10
	s_and_saveexec_b64 s[8:9], vcc
; %bb.3730:
	s_mov_b32 s10, 0x7f800001
	s_xor_b64 s[4:5], exec, -1
; %bb.3731:
	s_or_b64 exec, exec, s[8:9]
	s_and_b64 s[4:5], s[4:5], exec
                                        ; implicit-def: $vgpr11
	s_or_saveexec_b64 s[6:7], s[6:7]
	v_mov_b32_e32 v10, s10
	s_xor_b64 exec, exec, s[6:7]
	s_cbranch_execz .LBB20_1682
.LBB20_3732:
	v_cmp_ne_u16_e32 vcc, 0, v11
	s_andn2_b64 s[4:5], s[4:5], exec
	s_and_b64 s[8:9], vcc, exec
	v_mov_b32_e32 v10, 0
	s_or_b64 s[4:5], s[4:5], s[8:9]
	s_or_b64 exec, exec, s[6:7]
	s_and_saveexec_b64 s[6:7], s[4:5]
	s_cbranch_execnz .LBB20_1683
	s_branch .LBB20_1684
.LBB20_3733:
	s_movk_i32 s4, 0x80
	v_cmp_eq_u16_e32 vcc, s4, v11
	s_mov_b64 s[4:5], -1
                                        ; implicit-def: $sgpr10
	s_and_saveexec_b64 s[8:9], vcc
; %bb.3734:
	s_mov_b32 s10, 0x7f800001
	s_xor_b64 s[4:5], exec, -1
; %bb.3735:
	s_or_b64 exec, exec, s[8:9]
	s_and_b64 s[4:5], s[4:5], exec
                                        ; implicit-def: $vgpr11
	s_or_saveexec_b64 s[6:7], s[6:7]
	v_mov_b32_e32 v12, s10
	s_xor_b64 exec, exec, s[6:7]
	s_cbranch_execz .LBB20_1686
.LBB20_3736:
	v_cmp_ne_u16_e32 vcc, 0, v11
	s_andn2_b64 s[4:5], s[4:5], exec
	s_and_b64 s[8:9], vcc, exec
	v_mov_b32_e32 v12, 0
	s_or_b64 s[4:5], s[4:5], s[8:9]
	s_or_b64 exec, exec, s[6:7]
	s_and_saveexec_b64 s[6:7], s[4:5]
	s_cbranch_execnz .LBB20_1687
	s_branch .LBB20_1688
.LBB20_3737:
	s_movk_i32 s4, 0x80
	v_cmp_eq_u16_sdwa s[12:13], v6, s4 src0_sel:BYTE_3 src1_sel:DWORD
	s_mov_b64 s[4:5], -1
                                        ; implicit-def: $sgpr10
	s_and_saveexec_b64 s[8:9], s[12:13]
; %bb.3738:
	s_mov_b32 s10, 0x7f800001
	s_xor_b64 s[4:5], exec, -1
; %bb.3739:
	s_or_b64 exec, exec, s[8:9]
	s_and_b64 s[4:5], s[4:5], exec
	s_or_saveexec_b64 s[6:7], s[6:7]
	v_mov_b32_e32 v10, s10
	s_xor_b64 exec, exec, s[6:7]
	s_cbranch_execz .LBB20_1690
.LBB20_3740:
	v_mov_b32_e32 v10, 0
	v_cmp_ne_u16_sdwa s[8:9], v6, v10 src0_sel:BYTE_3 src1_sel:DWORD
	s_andn2_b64 s[4:5], s[4:5], exec
	s_and_b64 s[8:9], s[8:9], exec
	s_or_b64 s[4:5], s[4:5], s[8:9]
	s_or_b64 exec, exec, s[6:7]
	s_and_saveexec_b64 s[6:7], s[4:5]
	s_cbranch_execnz .LBB20_1691
	s_branch .LBB20_1692
.LBB20_3741:
	s_movk_i32 s4, 0x80
	v_cmp_eq_u16_sdwa s[12:13], v2, s4 src0_sel:BYTE_3 src1_sel:DWORD
	s_mov_b64 s[4:5], -1
                                        ; implicit-def: $sgpr10
	s_and_saveexec_b64 s[8:9], s[12:13]
; %bb.3742:
	s_mov_b32 s10, 0x7f800001
	s_xor_b64 s[4:5], exec, -1
; %bb.3743:
	s_or_b64 exec, exec, s[8:9]
	s_and_b64 s[4:5], s[4:5], exec
	s_or_saveexec_b64 s[6:7], s[6:7]
	v_mov_b32_e32 v6, s10
	s_xor_b64 exec, exec, s[6:7]
	s_cbranch_execz .LBB20_1694
.LBB20_3744:
	v_mov_b32_e32 v6, 0
	v_cmp_ne_u16_sdwa s[8:9], v2, v6 src0_sel:BYTE_3 src1_sel:DWORD
	s_andn2_b64 s[4:5], s[4:5], exec
	s_and_b64 s[8:9], s[8:9], exec
	s_or_b64 s[4:5], s[4:5], s[8:9]
	s_or_b64 exec, exec, s[6:7]
	s_and_saveexec_b64 s[6:7], s[4:5]
	s_cbranch_execnz .LBB20_1695
	s_branch .LBB20_1696
.LBB20_3745:
	s_movk_i32 s4, 0x80
	v_cmp_eq_u16_sdwa s[12:13], v7, s4 src0_sel:BYTE_0 src1_sel:DWORD
	s_mov_b64 s[4:5], -1
                                        ; implicit-def: $sgpr10
	s_and_saveexec_b64 s[8:9], s[12:13]
; %bb.3746:
	s_mov_b32 s10, 0x7f800001
	s_xor_b64 s[4:5], exec, -1
; %bb.3747:
	s_or_b64 exec, exec, s[8:9]
	s_and_b64 s[4:5], s[4:5], exec
	s_or_saveexec_b64 s[6:7], s[6:7]
	v_mov_b32_e32 v2, s10
	s_xor_b64 exec, exec, s[6:7]
	s_cbranch_execz .LBB20_1698
.LBB20_3748:
	v_mov_b32_e32 v2, 0
	v_cmp_ne_u16_sdwa s[8:9], v7, v2 src0_sel:BYTE_0 src1_sel:DWORD
	s_andn2_b64 s[4:5], s[4:5], exec
	s_and_b64 s[8:9], s[8:9], exec
	s_or_b64 s[4:5], s[4:5], s[8:9]
	s_or_b64 exec, exec, s[6:7]
	s_and_saveexec_b64 s[6:7], s[4:5]
	s_cbranch_execnz .LBB20_1699
	s_branch .LBB20_1700
.LBB20_3749:
	s_movk_i32 s4, 0x80
	v_cmp_eq_u16_sdwa s[12:13], v3, s4 src0_sel:BYTE_0 src1_sel:DWORD
	s_mov_b64 s[4:5], -1
                                        ; implicit-def: $sgpr10
	s_and_saveexec_b64 s[8:9], s[12:13]
; %bb.3750:
	s_mov_b32 s10, 0x7f800001
	s_xor_b64 s[4:5], exec, -1
; %bb.3751:
	s_or_b64 exec, exec, s[8:9]
	s_and_b64 s[4:5], s[4:5], exec
	s_or_saveexec_b64 s[6:7], s[6:7]
	v_mov_b32_e32 v6, s10
	s_xor_b64 exec, exec, s[6:7]
	s_cbranch_execz .LBB20_1702
.LBB20_3752:
	v_mov_b32_e32 v6, 0
	v_cmp_ne_u16_sdwa s[8:9], v3, v6 src0_sel:BYTE_0 src1_sel:DWORD
	s_andn2_b64 s[4:5], s[4:5], exec
	s_and_b64 s[8:9], s[8:9], exec
	s_or_b64 s[4:5], s[4:5], s[8:9]
	s_or_b64 exec, exec, s[6:7]
	s_and_saveexec_b64 s[6:7], s[4:5]
	s_cbranch_execnz .LBB20_1703
	s_branch .LBB20_1704
.LBB20_3753:
	s_movk_i32 s4, 0x80
	v_cmp_eq_u16_sdwa s[12:13], v6, s4 src0_sel:BYTE_0 src1_sel:DWORD
	s_mov_b64 s[4:5], -1
                                        ; implicit-def: $sgpr10
	s_and_saveexec_b64 s[8:9], s[12:13]
; %bb.3754:
	s_mov_b32 s10, 0x7f800001
	s_xor_b64 s[4:5], exec, -1
; %bb.3755:
	s_or_b64 exec, exec, s[8:9]
	s_and_b64 s[4:5], s[4:5], exec
	s_or_saveexec_b64 s[6:7], s[6:7]
	v_mov_b32_e32 v2, s10
	s_xor_b64 exec, exec, s[6:7]
	s_cbranch_execz .LBB20_1706
.LBB20_3756:
	v_mov_b32_e32 v2, 0
	v_cmp_ne_u16_sdwa s[8:9], v6, v2 src0_sel:BYTE_0 src1_sel:DWORD
	s_andn2_b64 s[4:5], s[4:5], exec
	s_and_b64 s[8:9], s[8:9], exec
	s_or_b64 s[4:5], s[4:5], s[8:9]
	s_or_b64 exec, exec, s[6:7]
	s_and_saveexec_b64 s[6:7], s[4:5]
	s_cbranch_execnz .LBB20_1707
	s_branch .LBB20_1708
.LBB20_3757:
	s_movk_i32 s4, 0x80
	v_cmp_eq_u16_sdwa s[12:13], v6, s4 src0_sel:BYTE_0 src1_sel:DWORD
	s_mov_b64 s[4:5], -1
                                        ; implicit-def: $sgpr10
	s_and_saveexec_b64 s[8:9], s[12:13]
; %bb.3758:
	s_mov_b32 s10, 0x7f800001
	s_xor_b64 s[4:5], exec, -1
; %bb.3759:
	s_or_b64 exec, exec, s[8:9]
	s_and_b64 s[4:5], s[4:5], exec
	s_or_saveexec_b64 s[6:7], s[6:7]
	v_mov_b32_e32 v10, s10
	s_xor_b64 exec, exec, s[6:7]
	s_cbranch_execz .LBB20_1710
.LBB20_3760:
	v_mov_b32_e32 v10, 0
	v_cmp_ne_u16_sdwa s[8:9], v6, v10 src0_sel:BYTE_0 src1_sel:DWORD
	s_andn2_b64 s[4:5], s[4:5], exec
	s_and_b64 s[8:9], s[8:9], exec
	s_or_b64 s[4:5], s[4:5], s[8:9]
	s_or_b64 exec, exec, s[6:7]
	s_and_saveexec_b64 s[6:7], s[4:5]
	s_cbranch_execnz .LBB20_1711
	s_branch .LBB20_1712
.LBB20_3761:
	s_movk_i32 s4, 0x80
	v_cmp_eq_u16_e32 vcc, s4, v6
	s_mov_b64 s[4:5], -1
                                        ; implicit-def: $sgpr10
	s_and_saveexec_b64 s[8:9], vcc
; %bb.3762:
	s_mov_b32 s10, 0x7f800001
	s_xor_b64 s[4:5], exec, -1
; %bb.3763:
	s_or_b64 exec, exec, s[8:9]
	s_and_b64 s[4:5], s[4:5], exec
                                        ; implicit-def: $vgpr6
	s_or_saveexec_b64 s[6:7], s[6:7]
	v_mov_b32_e32 v2, s10
	s_xor_b64 exec, exec, s[6:7]
	s_cbranch_execz .LBB20_1714
.LBB20_3764:
	v_cmp_ne_u16_e32 vcc, 0, v6
	s_andn2_b64 s[4:5], s[4:5], exec
	s_and_b64 s[8:9], vcc, exec
	v_mov_b32_e32 v2, 0
	s_or_b64 s[4:5], s[4:5], s[8:9]
	s_or_b64 exec, exec, s[6:7]
	s_and_saveexec_b64 s[6:7], s[4:5]
	s_cbranch_execnz .LBB20_1715
	s_branch .LBB20_1716
.LBB20_3765:
	s_movk_i32 s4, 0x80
	v_cmp_eq_u16_e32 vcc, s4, v6
	s_mov_b64 s[4:5], -1
                                        ; implicit-def: $sgpr10
	s_and_saveexec_b64 s[8:9], vcc
; %bb.3766:
	s_mov_b32 s10, 0x7f800001
	s_xor_b64 s[4:5], exec, -1
; %bb.3767:
	s_or_b64 exec, exec, s[8:9]
	s_and_b64 s[4:5], s[4:5], exec
                                        ; implicit-def: $vgpr6
	s_or_saveexec_b64 s[6:7], s[6:7]
	v_mov_b32_e32 v10, s10
	s_xor_b64 exec, exec, s[6:7]
	s_cbranch_execz .LBB20_1718
.LBB20_3768:
	v_cmp_ne_u16_e32 vcc, 0, v6
	s_andn2_b64 s[4:5], s[4:5], exec
	s_and_b64 s[8:9], vcc, exec
	v_mov_b32_e32 v10, 0
	s_or_b64 s[4:5], s[4:5], s[8:9]
	s_or_b64 exec, exec, s[6:7]
	s_and_saveexec_b64 s[6:7], s[4:5]
	s_cbranch_execnz .LBB20_1719
	s_branch .LBB20_1720
.LBB20_3769:
	s_movk_i32 s4, 0x80
	v_cmp_eq_u16_sdwa s[12:13], v7, s4 src0_sel:BYTE_3 src1_sel:DWORD
	s_mov_b64 s[4:5], -1
                                        ; implicit-def: $sgpr10
	s_and_saveexec_b64 s[8:9], s[12:13]
; %bb.3770:
	s_mov_b32 s10, 0x7f800001
	s_xor_b64 s[4:5], exec, -1
; %bb.3771:
	s_or_b64 exec, exec, s[8:9]
	s_and_b64 s[4:5], s[4:5], exec
	s_or_saveexec_b64 s[6:7], s[6:7]
	v_mov_b32_e32 v2, s10
	s_xor_b64 exec, exec, s[6:7]
	s_cbranch_execz .LBB20_1722
.LBB20_3772:
	v_mov_b32_e32 v2, 0
	v_cmp_ne_u16_sdwa s[8:9], v7, v2 src0_sel:BYTE_3 src1_sel:DWORD
	s_andn2_b64 s[4:5], s[4:5], exec
	s_and_b64 s[8:9], s[8:9], exec
	s_or_b64 s[4:5], s[4:5], s[8:9]
	s_or_b64 exec, exec, s[6:7]
	s_and_saveexec_b64 s[6:7], s[4:5]
	s_cbranch_execnz .LBB20_1723
	s_branch .LBB20_1724
.LBB20_3773:
	s_movk_i32 s4, 0x80
	v_cmp_eq_u16_sdwa s[12:13], v3, s4 src0_sel:BYTE_3 src1_sel:DWORD
	s_mov_b64 s[4:5], -1
                                        ; implicit-def: $sgpr10
	s_and_saveexec_b64 s[8:9], s[12:13]
; %bb.3774:
	s_mov_b32 s10, 0x7f800001
	s_xor_b64 s[4:5], exec, -1
; %bb.3775:
	s_or_b64 exec, exec, s[8:9]
	s_and_b64 s[4:5], s[4:5], exec
	s_or_saveexec_b64 s[6:7], s[6:7]
	v_mov_b32_e32 v6, s10
	s_xor_b64 exec, exec, s[6:7]
	s_cbranch_execz .LBB20_1726
.LBB20_3776:
	v_mov_b32_e32 v6, 0
	v_cmp_ne_u16_sdwa s[8:9], v3, v6 src0_sel:BYTE_3 src1_sel:DWORD
	s_andn2_b64 s[4:5], s[4:5], exec
	s_and_b64 s[8:9], s[8:9], exec
	s_or_b64 s[4:5], s[4:5], s[8:9]
	s_or_b64 exec, exec, s[6:7]
	s_and_saveexec_b64 s[6:7], s[4:5]
	s_cbranch_execnz .LBB20_1727
	s_branch .LBB20_1728
.LBB20_3777:
	s_movk_i32 s4, 0x80
	v_cmp_eq_u16_sdwa s[12:13], v8, s4 src0_sel:BYTE_0 src1_sel:DWORD
	s_mov_b64 s[4:5], -1
                                        ; implicit-def: $sgpr10
	s_and_saveexec_b64 s[8:9], s[12:13]
; %bb.3778:
	s_mov_b32 s10, 0x7f800001
	s_xor_b64 s[4:5], exec, -1
; %bb.3779:
	s_or_b64 exec, exec, s[8:9]
	s_and_b64 s[4:5], s[4:5], exec
	s_or_saveexec_b64 s[6:7], s[6:7]
	v_mov_b32_e32 v2, s10
	s_xor_b64 exec, exec, s[6:7]
	s_cbranch_execz .LBB20_1730
.LBB20_3780:
	v_mov_b32_e32 v2, 0
	v_cmp_ne_u16_sdwa s[8:9], v8, v2 src0_sel:BYTE_0 src1_sel:DWORD
	s_andn2_b64 s[4:5], s[4:5], exec
	s_and_b64 s[8:9], s[8:9], exec
	s_or_b64 s[4:5], s[4:5], s[8:9]
	s_or_b64 exec, exec, s[6:7]
	s_and_saveexec_b64 s[6:7], s[4:5]
	s_cbranch_execnz .LBB20_1731
	s_branch .LBB20_1732
.LBB20_3781:
	s_movk_i32 s4, 0x80
	v_cmp_eq_u16_sdwa s[12:13], v4, s4 src0_sel:BYTE_0 src1_sel:DWORD
	s_mov_b64 s[4:5], -1
                                        ; implicit-def: $sgpr10
	s_and_saveexec_b64 s[8:9], s[12:13]
; %bb.3782:
	s_mov_b32 s10, 0x7f800001
	s_xor_b64 s[4:5], exec, -1
; %bb.3783:
	s_or_b64 exec, exec, s[8:9]
	s_and_b64 s[4:5], s[4:5], exec
	s_or_saveexec_b64 s[6:7], s[6:7]
	v_mov_b32_e32 v3, s10
	s_xor_b64 exec, exec, s[6:7]
	s_cbranch_execz .LBB20_1734
.LBB20_3784:
	v_mov_b32_e32 v3, 0
	v_cmp_ne_u16_sdwa s[8:9], v4, v3 src0_sel:BYTE_0 src1_sel:DWORD
	s_andn2_b64 s[4:5], s[4:5], exec
	s_and_b64 s[8:9], s[8:9], exec
	s_or_b64 s[4:5], s[4:5], s[8:9]
	s_or_b64 exec, exec, s[6:7]
	s_and_saveexec_b64 s[6:7], s[4:5]
	s_cbranch_execnz .LBB20_1735
	s_branch .LBB20_1736
.LBB20_3785:
	s_movk_i32 s4, 0x80
	v_cmp_eq_u16_sdwa s[12:13], v3, s4 src0_sel:BYTE_0 src1_sel:DWORD
	s_mov_b64 s[4:5], -1
                                        ; implicit-def: $sgpr10
	s_and_saveexec_b64 s[8:9], s[12:13]
; %bb.3786:
	s_mov_b32 s10, 0x7f800001
	s_xor_b64 s[4:5], exec, -1
; %bb.3787:
	s_or_b64 exec, exec, s[8:9]
	s_and_b64 s[4:5], s[4:5], exec
	s_or_saveexec_b64 s[6:7], s[6:7]
	v_mov_b32_e32 v2, s10
	s_xor_b64 exec, exec, s[6:7]
	s_cbranch_execz .LBB20_1738
.LBB20_3788:
	v_mov_b32_e32 v2, 0
	v_cmp_ne_u16_sdwa s[8:9], v3, v2 src0_sel:BYTE_0 src1_sel:DWORD
	s_andn2_b64 s[4:5], s[4:5], exec
	s_and_b64 s[8:9], s[8:9], exec
	s_or_b64 s[4:5], s[4:5], s[8:9]
	s_or_b64 exec, exec, s[6:7]
	s_and_saveexec_b64 s[6:7], s[4:5]
	s_cbranch_execnz .LBB20_1739
	s_branch .LBB20_1740
.LBB20_3789:
	s_movk_i32 s4, 0x80
	v_cmp_eq_u16_sdwa s[12:13], v3, s4 src0_sel:BYTE_0 src1_sel:DWORD
	s_mov_b64 s[4:5], -1
                                        ; implicit-def: $sgpr10
	s_and_saveexec_b64 s[8:9], s[12:13]
; %bb.3790:
	s_mov_b32 s10, 0x7f800001
	s_xor_b64 s[4:5], exec, -1
; %bb.3791:
	s_or_b64 exec, exec, s[8:9]
	s_and_b64 s[4:5], s[4:5], exec
	s_or_saveexec_b64 s[6:7], s[6:7]
	v_mov_b32_e32 v6, s10
	s_xor_b64 exec, exec, s[6:7]
	s_cbranch_execz .LBB20_1742
.LBB20_3792:
	v_mov_b32_e32 v6, 0
	v_cmp_ne_u16_sdwa s[8:9], v3, v6 src0_sel:BYTE_0 src1_sel:DWORD
	s_andn2_b64 s[4:5], s[4:5], exec
	s_and_b64 s[8:9], s[8:9], exec
	s_or_b64 s[4:5], s[4:5], s[8:9]
	s_or_b64 exec, exec, s[6:7]
	s_and_saveexec_b64 s[6:7], s[4:5]
	s_cbranch_execnz .LBB20_1743
	s_branch .LBB20_1744
.LBB20_3793:
	s_movk_i32 s4, 0x80
	v_cmp_eq_u16_e32 vcc, s4, v3
	s_mov_b64 s[4:5], -1
                                        ; implicit-def: $sgpr10
	s_and_saveexec_b64 s[8:9], vcc
; %bb.3794:
	s_mov_b32 s10, 0x7f800001
	s_xor_b64 s[4:5], exec, -1
; %bb.3795:
	s_or_b64 exec, exec, s[8:9]
	s_and_b64 s[4:5], s[4:5], exec
                                        ; implicit-def: $vgpr3
	s_or_saveexec_b64 s[6:7], s[6:7]
	v_mov_b32_e32 v2, s10
	s_xor_b64 exec, exec, s[6:7]
	s_cbranch_execz .LBB20_1746
.LBB20_3796:
	v_cmp_ne_u16_e32 vcc, 0, v3
	s_andn2_b64 s[4:5], s[4:5], exec
	s_and_b64 s[8:9], vcc, exec
	v_mov_b32_e32 v2, 0
	s_or_b64 s[4:5], s[4:5], s[8:9]
	s_or_b64 exec, exec, s[6:7]
	s_and_saveexec_b64 s[6:7], s[4:5]
	s_cbranch_execnz .LBB20_1747
	s_branch .LBB20_1748
.LBB20_3797:
	s_movk_i32 s4, 0x80
	v_cmp_eq_u16_e32 vcc, s4, v3
	s_mov_b64 s[4:5], -1
                                        ; implicit-def: $sgpr10
	s_and_saveexec_b64 s[8:9], vcc
; %bb.3798:
	s_mov_b32 s10, 0x7f800001
	s_xor_b64 s[4:5], exec, -1
; %bb.3799:
	s_or_b64 exec, exec, s[8:9]
	s_and_b64 s[4:5], s[4:5], exec
                                        ; implicit-def: $vgpr3
	s_or_saveexec_b64 s[6:7], s[6:7]
	v_mov_b32_e32 v6, s10
	s_xor_b64 exec, exec, s[6:7]
	s_cbranch_execz .LBB20_1750
.LBB20_3800:
	v_cmp_ne_u16_e32 vcc, 0, v3
	s_andn2_b64 s[4:5], s[4:5], exec
	s_and_b64 s[8:9], vcc, exec
	v_mov_b32_e32 v6, 0
	s_or_b64 s[4:5], s[4:5], s[8:9]
	s_or_b64 exec, exec, s[6:7]
	s_and_saveexec_b64 s[6:7], s[4:5]
	s_cbranch_execnz .LBB20_1751
	s_branch .LBB20_1752
.LBB20_3801:
	s_movk_i32 s4, 0x80
	v_cmp_eq_u16_sdwa s[12:13], v8, s4 src0_sel:BYTE_3 src1_sel:DWORD
	s_mov_b64 s[4:5], -1
                                        ; implicit-def: $sgpr10
	s_and_saveexec_b64 s[8:9], s[12:13]
; %bb.3802:
	s_mov_b32 s10, 0x7f800001
	s_xor_b64 s[4:5], exec, -1
; %bb.3803:
	s_or_b64 exec, exec, s[8:9]
	s_and_b64 s[4:5], s[4:5], exec
	s_or_saveexec_b64 s[6:7], s[6:7]
	v_mov_b32_e32 v2, s10
	s_xor_b64 exec, exec, s[6:7]
	s_cbranch_execz .LBB20_1754
.LBB20_3804:
	v_mov_b32_e32 v2, 0
	v_cmp_ne_u16_sdwa s[8:9], v8, v2 src0_sel:BYTE_3 src1_sel:DWORD
	s_andn2_b64 s[4:5], s[4:5], exec
	s_and_b64 s[8:9], s[8:9], exec
	s_or_b64 s[4:5], s[4:5], s[8:9]
	s_or_b64 exec, exec, s[6:7]
	s_and_saveexec_b64 s[6:7], s[4:5]
	s_cbranch_execnz .LBB20_1755
	s_branch .LBB20_1756
.LBB20_3805:
	s_movk_i32 s4, 0x80
	v_cmp_eq_u16_sdwa s[12:13], v4, s4 src0_sel:BYTE_3 src1_sel:DWORD
	s_mov_b64 s[4:5], -1
                                        ; implicit-def: $sgpr10
	s_and_saveexec_b64 s[8:9], s[12:13]
; %bb.3806:
	s_mov_b32 s10, 0x7f800001
	s_xor_b64 s[4:5], exec, -1
; %bb.3807:
	s_or_b64 exec, exec, s[8:9]
	s_and_b64 s[4:5], s[4:5], exec
	s_or_saveexec_b64 s[6:7], s[6:7]
	v_mov_b32_e32 v3, s10
	s_xor_b64 exec, exec, s[6:7]
	s_cbranch_execz .LBB20_1758
.LBB20_3808:
	v_mov_b32_e32 v3, 0
	v_cmp_ne_u16_sdwa s[8:9], v4, v3 src0_sel:BYTE_3 src1_sel:DWORD
	s_andn2_b64 s[4:5], s[4:5], exec
	s_and_b64 s[8:9], s[8:9], exec
	s_or_b64 s[4:5], s[4:5], s[8:9]
	s_or_b64 exec, exec, s[6:7]
	s_and_saveexec_b64 s[6:7], s[4:5]
	s_cbranch_execnz .LBB20_1759
	s_branch .LBB20_1760
.LBB20_3809:
	s_movk_i32 s4, 0x80
	v_cmp_eq_u16_sdwa s[12:13], v9, s4 src0_sel:BYTE_0 src1_sel:DWORD
	s_mov_b64 s[4:5], -1
                                        ; implicit-def: $sgpr10
	s_and_saveexec_b64 s[8:9], s[12:13]
; %bb.3810:
	s_mov_b32 s10, 0x7f800001
	s_xor_b64 s[4:5], exec, -1
; %bb.3811:
	s_or_b64 exec, exec, s[8:9]
	s_and_b64 s[4:5], s[4:5], exec
	s_or_saveexec_b64 s[6:7], s[6:7]
	v_mov_b32_e32 v2, s10
	s_xor_b64 exec, exec, s[6:7]
	s_cbranch_execz .LBB20_1762
.LBB20_3812:
	v_mov_b32_e32 v2, 0
	v_cmp_ne_u16_sdwa s[8:9], v9, v2 src0_sel:BYTE_0 src1_sel:DWORD
	s_andn2_b64 s[4:5], s[4:5], exec
	s_and_b64 s[8:9], s[8:9], exec
	s_or_b64 s[4:5], s[4:5], s[8:9]
	s_or_b64 exec, exec, s[6:7]
	s_and_saveexec_b64 s[6:7], s[4:5]
	s_cbranch_execnz .LBB20_1763
	s_branch .LBB20_1764
.LBB20_3813:
	s_movk_i32 s4, 0x80
	v_cmp_eq_u16_sdwa s[12:13], v5, s4 src0_sel:BYTE_0 src1_sel:DWORD
	s_mov_b64 s[4:5], -1
                                        ; implicit-def: $sgpr10
	s_and_saveexec_b64 s[8:9], s[12:13]
; %bb.3814:
	s_mov_b32 s10, 0x7f800001
	s_xor_b64 s[4:5], exec, -1
; %bb.3815:
	s_or_b64 exec, exec, s[8:9]
	s_and_b64 s[4:5], s[4:5], exec
	s_or_saveexec_b64 s[6:7], s[6:7]
	v_mov_b32_e32 v3, s10
	s_xor_b64 exec, exec, s[6:7]
	s_cbranch_execz .LBB20_1766
.LBB20_3816:
	v_mov_b32_e32 v3, 0
	v_cmp_ne_u16_sdwa s[8:9], v5, v3 src0_sel:BYTE_0 src1_sel:DWORD
	s_andn2_b64 s[4:5], s[4:5], exec
	s_and_b64 s[8:9], s[8:9], exec
	s_or_b64 s[4:5], s[4:5], s[8:9]
	s_or_b64 exec, exec, s[6:7]
	s_and_saveexec_b64 s[6:7], s[4:5]
	s_cbranch_execnz .LBB20_1767
	s_branch .LBB20_1768
.LBB20_3817:
	s_movk_i32 s4, 0x80
	v_cmp_eq_u16_sdwa s[12:13], v3, s4 src0_sel:BYTE_0 src1_sel:DWORD
	s_mov_b64 s[4:5], -1
                                        ; implicit-def: $sgpr10
	s_and_saveexec_b64 s[8:9], s[12:13]
; %bb.3818:
	s_mov_b32 s10, 0x7f800001
	s_xor_b64 s[4:5], exec, -1
; %bb.3819:
	s_or_b64 exec, exec, s[8:9]
	s_and_b64 s[4:5], s[4:5], exec
	s_or_saveexec_b64 s[6:7], s[6:7]
	v_mov_b32_e32 v2, s10
	s_xor_b64 exec, exec, s[6:7]
	s_cbranch_execz .LBB20_1770
.LBB20_3820:
	v_mov_b32_e32 v2, 0
	v_cmp_ne_u16_sdwa s[8:9], v3, v2 src0_sel:BYTE_0 src1_sel:DWORD
	s_andn2_b64 s[4:5], s[4:5], exec
	s_and_b64 s[8:9], s[8:9], exec
	s_or_b64 s[4:5], s[4:5], s[8:9]
	s_or_b64 exec, exec, s[6:7]
	s_and_saveexec_b64 s[6:7], s[4:5]
	s_cbranch_execnz .LBB20_1771
	s_branch .LBB20_1772
.LBB20_3821:
	s_movk_i32 s4, 0x80
	v_cmp_eq_u16_sdwa s[12:13], v3, s4 src0_sel:BYTE_0 src1_sel:DWORD
	s_mov_b64 s[4:5], -1
                                        ; implicit-def: $sgpr10
	s_and_saveexec_b64 s[8:9], s[12:13]
; %bb.3822:
	s_mov_b32 s10, 0x7f800001
	s_xor_b64 s[4:5], exec, -1
; %bb.3823:
	s_or_b64 exec, exec, s[8:9]
	s_and_b64 s[4:5], s[4:5], exec
	s_or_saveexec_b64 s[6:7], s[6:7]
	v_mov_b32_e32 v4, s10
	s_xor_b64 exec, exec, s[6:7]
	s_cbranch_execz .LBB20_1774
.LBB20_3824:
	v_mov_b32_e32 v4, 0
	v_cmp_ne_u16_sdwa s[8:9], v3, v4 src0_sel:BYTE_0 src1_sel:DWORD
	s_andn2_b64 s[4:5], s[4:5], exec
	s_and_b64 s[8:9], s[8:9], exec
	s_or_b64 s[4:5], s[4:5], s[8:9]
	s_or_b64 exec, exec, s[6:7]
	s_and_saveexec_b64 s[6:7], s[4:5]
	s_cbranch_execnz .LBB20_1775
	s_branch .LBB20_1776
.LBB20_3825:
	s_movk_i32 s4, 0x80
	v_cmp_eq_u16_e32 vcc, s4, v3
	s_mov_b64 s[4:5], -1
                                        ; implicit-def: $sgpr10
	s_and_saveexec_b64 s[8:9], vcc
; %bb.3826:
	s_mov_b32 s10, 0x7f800001
	s_xor_b64 s[4:5], exec, -1
; %bb.3827:
	s_or_b64 exec, exec, s[8:9]
	s_and_b64 s[4:5], s[4:5], exec
                                        ; implicit-def: $vgpr3
	s_or_saveexec_b64 s[6:7], s[6:7]
	v_mov_b32_e32 v2, s10
	s_xor_b64 exec, exec, s[6:7]
	s_cbranch_execz .LBB20_1778
.LBB20_3828:
	v_cmp_ne_u16_e32 vcc, 0, v3
	s_andn2_b64 s[4:5], s[4:5], exec
	s_and_b64 s[8:9], vcc, exec
	v_mov_b32_e32 v2, 0
	s_or_b64 s[4:5], s[4:5], s[8:9]
	s_or_b64 exec, exec, s[6:7]
	s_and_saveexec_b64 s[6:7], s[4:5]
	s_cbranch_execnz .LBB20_1779
	s_branch .LBB20_1780
.LBB20_3829:
	s_movk_i32 s4, 0x80
	v_cmp_eq_u16_e32 vcc, s4, v3
	s_mov_b64 s[4:5], -1
                                        ; implicit-def: $sgpr10
	s_and_saveexec_b64 s[8:9], vcc
; %bb.3830:
	s_mov_b32 s10, 0x7f800001
	s_xor_b64 s[4:5], exec, -1
; %bb.3831:
	s_or_b64 exec, exec, s[8:9]
	s_and_b64 s[4:5], s[4:5], exec
                                        ; implicit-def: $vgpr3
	s_or_saveexec_b64 s[6:7], s[6:7]
	v_mov_b32_e32 v4, s10
	s_xor_b64 exec, exec, s[6:7]
	s_cbranch_execz .LBB20_1782
.LBB20_3832:
	v_cmp_ne_u16_e32 vcc, 0, v3
	s_andn2_b64 s[4:5], s[4:5], exec
	s_and_b64 s[8:9], vcc, exec
	v_mov_b32_e32 v4, 0
	s_or_b64 s[4:5], s[4:5], s[8:9]
	s_or_b64 exec, exec, s[6:7]
	s_and_saveexec_b64 s[6:7], s[4:5]
	s_cbranch_execnz .LBB20_1783
	s_branch .LBB20_1784
.LBB20_3833:
	s_movk_i32 s4, 0x80
	v_cmp_eq_u16_sdwa s[12:13], v9, s4 src0_sel:BYTE_3 src1_sel:DWORD
	s_mov_b64 s[4:5], -1
                                        ; implicit-def: $sgpr10
	s_and_saveexec_b64 s[8:9], s[12:13]
; %bb.3834:
	s_mov_b32 s10, 0x7f800001
	s_xor_b64 s[4:5], exec, -1
; %bb.3835:
	s_or_b64 exec, exec, s[8:9]
	s_and_b64 s[4:5], s[4:5], exec
	s_or_saveexec_b64 s[6:7], s[6:7]
	v_mov_b32_e32 v2, s10
	s_xor_b64 exec, exec, s[6:7]
	s_cbranch_execz .LBB20_1786
.LBB20_3836:
	v_mov_b32_e32 v2, 0
	v_cmp_ne_u16_sdwa s[8:9], v9, v2 src0_sel:BYTE_3 src1_sel:DWORD
	s_andn2_b64 s[4:5], s[4:5], exec
	s_and_b64 s[8:9], s[8:9], exec
	s_or_b64 s[4:5], s[4:5], s[8:9]
	s_or_b64 exec, exec, s[6:7]
	s_and_saveexec_b64 s[6:7], s[4:5]
	s_cbranch_execnz .LBB20_1787
	s_branch .LBB20_1788
.LBB20_3837:
	s_movk_i32 s4, 0x80
	v_cmp_eq_u16_sdwa s[12:13], v5, s4 src0_sel:BYTE_3 src1_sel:DWORD
	s_mov_b64 s[4:5], -1
                                        ; implicit-def: $sgpr10
	s_and_saveexec_b64 s[8:9], s[12:13]
; %bb.3838:
	s_mov_b32 s10, 0x7f800001
	s_xor_b64 s[4:5], exec, -1
; %bb.3839:
	s_or_b64 exec, exec, s[8:9]
	s_and_b64 s[4:5], s[4:5], exec
	s_or_saveexec_b64 s[6:7], s[6:7]
	v_mov_b32_e32 v3, s10
	s_xor_b64 exec, exec, s[6:7]
	s_cbranch_execz .LBB20_1790
.LBB20_3840:
	v_mov_b32_e32 v3, 0
	v_cmp_ne_u16_sdwa s[8:9], v5, v3 src0_sel:BYTE_3 src1_sel:DWORD
	s_andn2_b64 s[4:5], s[4:5], exec
	s_and_b64 s[8:9], s[8:9], exec
	s_or_b64 s[4:5], s[4:5], s[8:9]
	s_or_b64 exec, exec, s[6:7]
	s_and_saveexec_b64 s[6:7], s[4:5]
	s_cbranch_execnz .LBB20_1791
	s_branch .LBB20_1792
.LBB20_3841:
	s_movk_i32 s4, 0x80
	v_cmp_eq_u16_sdwa s[12:13], v12, s4 src0_sel:BYTE_0 src1_sel:DWORD
	s_mov_b64 s[4:5], -1
                                        ; implicit-def: $sgpr10
	s_and_saveexec_b64 s[8:9], s[12:13]
; %bb.3842:
	s_mov_b32 s10, 0x7f800001
	s_xor_b64 s[4:5], exec, -1
; %bb.3843:
	s_or_b64 exec, exec, s[8:9]
	s_and_b64 s[4:5], s[4:5], exec
	s_or_saveexec_b64 s[6:7], s[6:7]
	v_mov_b32_e32 v18, s10
	s_xor_b64 exec, exec, s[6:7]
	s_cbranch_execz .LBB20_1794
.LBB20_3844:
	v_mov_b32_e32 v18, 0
	v_cmp_ne_u16_sdwa s[8:9], v12, v18 src0_sel:BYTE_0 src1_sel:DWORD
	s_andn2_b64 s[4:5], s[4:5], exec
	s_and_b64 s[8:9], s[8:9], exec
	s_or_b64 s[4:5], s[4:5], s[8:9]
	s_or_b64 exec, exec, s[6:7]
	s_and_saveexec_b64 s[6:7], s[4:5]
	s_cbranch_execnz .LBB20_1795
	s_branch .LBB20_1796
.LBB20_3845:
	s_movk_i32 s4, 0x80
	v_cmp_eq_u16_sdwa s[12:13], v8, s4 src0_sel:BYTE_0 src1_sel:DWORD
	s_mov_b64 s[4:5], -1
                                        ; implicit-def: $sgpr10
	s_and_saveexec_b64 s[8:9], s[12:13]
; %bb.3846:
	s_mov_b32 s10, 0x7f800001
	s_xor_b64 s[4:5], exec, -1
; %bb.3847:
	s_or_b64 exec, exec, s[8:9]
	s_and_b64 s[4:5], s[4:5], exec
	s_or_saveexec_b64 s[6:7], s[6:7]
	v_mov_b32_e32 v19, s10
	s_xor_b64 exec, exec, s[6:7]
	s_cbranch_execz .LBB20_1798
.LBB20_3848:
	v_mov_b32_e32 v19, 0
	v_cmp_ne_u16_sdwa s[8:9], v8, v19 src0_sel:BYTE_0 src1_sel:DWORD
	s_andn2_b64 s[4:5], s[4:5], exec
	s_and_b64 s[8:9], s[8:9], exec
	s_or_b64 s[4:5], s[4:5], s[8:9]
	s_or_b64 exec, exec, s[6:7]
	s_and_saveexec_b64 s[6:7], s[4:5]
	s_cbranch_execnz .LBB20_1799
	s_branch .LBB20_1800
.LBB20_3849:
	s_movk_i32 s4, 0x80
	v_cmp_eq_u16_sdwa s[12:13], v19, s4 src0_sel:BYTE_0 src1_sel:DWORD
	s_mov_b64 s[4:5], -1
                                        ; implicit-def: $sgpr10
	s_and_saveexec_b64 s[8:9], s[12:13]
; %bb.3850:
	s_mov_b32 s10, 0x7f800001
	s_xor_b64 s[4:5], exec, -1
; %bb.3851:
	s_or_b64 exec, exec, s[8:9]
	s_and_b64 s[4:5], s[4:5], exec
	s_or_saveexec_b64 s[6:7], s[6:7]
	v_mov_b32_e32 v18, s10
	s_xor_b64 exec, exec, s[6:7]
	s_cbranch_execz .LBB20_1802
.LBB20_3852:
	v_mov_b32_e32 v18, 0
	v_cmp_ne_u16_sdwa s[8:9], v19, v18 src0_sel:BYTE_0 src1_sel:DWORD
	s_andn2_b64 s[4:5], s[4:5], exec
	s_and_b64 s[8:9], s[8:9], exec
	s_or_b64 s[4:5], s[4:5], s[8:9]
	s_or_b64 exec, exec, s[6:7]
	s_and_saveexec_b64 s[6:7], s[4:5]
	s_cbranch_execnz .LBB20_1803
	s_branch .LBB20_1804
.LBB20_3853:
	s_movk_i32 s4, 0x80
	v_cmp_eq_u16_sdwa s[12:13], v19, s4 src0_sel:BYTE_0 src1_sel:DWORD
	s_mov_b64 s[4:5], -1
                                        ; implicit-def: $sgpr10
	s_and_saveexec_b64 s[8:9], s[12:13]
; %bb.3854:
	s_mov_b32 s10, 0x7f800001
	s_xor_b64 s[4:5], exec, -1
; %bb.3855:
	s_or_b64 exec, exec, s[8:9]
	s_and_b64 s[4:5], s[4:5], exec
	s_or_saveexec_b64 s[6:7], s[6:7]
	v_mov_b32_e32 v20, s10
	s_xor_b64 exec, exec, s[6:7]
	s_cbranch_execz .LBB20_1806
.LBB20_3856:
	v_mov_b32_e32 v20, 0
	v_cmp_ne_u16_sdwa s[8:9], v19, v20 src0_sel:BYTE_0 src1_sel:DWORD
	s_andn2_b64 s[4:5], s[4:5], exec
	s_and_b64 s[8:9], s[8:9], exec
	s_or_b64 s[4:5], s[4:5], s[8:9]
	s_or_b64 exec, exec, s[6:7]
	s_and_saveexec_b64 s[6:7], s[4:5]
	s_cbranch_execnz .LBB20_1807
	s_branch .LBB20_1808
.LBB20_3857:
	s_movk_i32 s4, 0x80
	v_cmp_eq_u16_e32 vcc, s4, v19
	s_mov_b64 s[4:5], -1
                                        ; implicit-def: $sgpr10
	s_and_saveexec_b64 s[8:9], vcc
; %bb.3858:
	s_mov_b32 s10, 0x7f800001
	s_xor_b64 s[4:5], exec, -1
; %bb.3859:
	s_or_b64 exec, exec, s[8:9]
	s_and_b64 s[4:5], s[4:5], exec
                                        ; implicit-def: $vgpr19
	s_or_saveexec_b64 s[6:7], s[6:7]
	v_mov_b32_e32 v18, s10
	s_xor_b64 exec, exec, s[6:7]
	s_cbranch_execz .LBB20_1810
.LBB20_3860:
	v_cmp_ne_u16_e32 vcc, 0, v19
	s_andn2_b64 s[4:5], s[4:5], exec
	s_and_b64 s[8:9], vcc, exec
	v_mov_b32_e32 v18, 0
	s_or_b64 s[4:5], s[4:5], s[8:9]
	s_or_b64 exec, exec, s[6:7]
	s_and_saveexec_b64 s[6:7], s[4:5]
	s_cbranch_execnz .LBB20_1811
	s_branch .LBB20_1812
.LBB20_3861:
	s_movk_i32 s4, 0x80
	v_cmp_eq_u16_e32 vcc, s4, v19
	s_mov_b64 s[4:5], -1
                                        ; implicit-def: $sgpr10
	s_and_saveexec_b64 s[8:9], vcc
; %bb.3862:
	s_mov_b32 s10, 0x7f800001
	s_xor_b64 s[4:5], exec, -1
; %bb.3863:
	s_or_b64 exec, exec, s[8:9]
	s_and_b64 s[4:5], s[4:5], exec
                                        ; implicit-def: $vgpr19
	s_or_saveexec_b64 s[6:7], s[6:7]
	v_mov_b32_e32 v20, s10
	s_xor_b64 exec, exec, s[6:7]
	s_cbranch_execz .LBB20_1814
.LBB20_3864:
	v_cmp_ne_u16_e32 vcc, 0, v19
	s_andn2_b64 s[4:5], s[4:5], exec
	s_and_b64 s[8:9], vcc, exec
	v_mov_b32_e32 v20, 0
	s_or_b64 s[4:5], s[4:5], s[8:9]
	s_or_b64 exec, exec, s[6:7]
	s_and_saveexec_b64 s[6:7], s[4:5]
	s_cbranch_execnz .LBB20_1815
	s_branch .LBB20_1816
.LBB20_3865:
	s_movk_i32 s4, 0x80
	v_cmp_eq_u16_sdwa s[12:13], v12, s4 src0_sel:BYTE_3 src1_sel:DWORD
	s_mov_b64 s[4:5], -1
                                        ; implicit-def: $sgpr10
	s_and_saveexec_b64 s[8:9], s[12:13]
; %bb.3866:
	s_mov_b32 s10, 0x7f800001
	s_xor_b64 s[4:5], exec, -1
; %bb.3867:
	s_or_b64 exec, exec, s[8:9]
	s_and_b64 s[4:5], s[4:5], exec
	s_or_saveexec_b64 s[6:7], s[6:7]
	v_mov_b32_e32 v18, s10
	s_xor_b64 exec, exec, s[6:7]
	s_cbranch_execz .LBB20_1818
.LBB20_3868:
	v_mov_b32_e32 v18, 0
	v_cmp_ne_u16_sdwa s[8:9], v12, v18 src0_sel:BYTE_3 src1_sel:DWORD
	s_andn2_b64 s[4:5], s[4:5], exec
	s_and_b64 s[8:9], s[8:9], exec
	s_or_b64 s[4:5], s[4:5], s[8:9]
	s_or_b64 exec, exec, s[6:7]
	s_and_saveexec_b64 s[6:7], s[4:5]
	s_cbranch_execnz .LBB20_1819
	s_branch .LBB20_1820
.LBB20_3869:
	s_movk_i32 s4, 0x80
	v_cmp_eq_u16_sdwa s[12:13], v8, s4 src0_sel:BYTE_3 src1_sel:DWORD
	s_mov_b64 s[4:5], -1
                                        ; implicit-def: $sgpr10
	s_and_saveexec_b64 s[8:9], s[12:13]
; %bb.3870:
	s_mov_b32 s10, 0x7f800001
	s_xor_b64 s[4:5], exec, -1
; %bb.3871:
	s_or_b64 exec, exec, s[8:9]
	s_and_b64 s[4:5], s[4:5], exec
	s_or_saveexec_b64 s[6:7], s[6:7]
	v_mov_b32_e32 v12, s10
	s_xor_b64 exec, exec, s[6:7]
	s_cbranch_execz .LBB20_1822
.LBB20_3872:
	v_mov_b32_e32 v12, 0
	v_cmp_ne_u16_sdwa s[8:9], v8, v12 src0_sel:BYTE_3 src1_sel:DWORD
	s_andn2_b64 s[4:5], s[4:5], exec
	s_and_b64 s[8:9], s[8:9], exec
	s_or_b64 s[4:5], s[4:5], s[8:9]
	s_or_b64 exec, exec, s[6:7]
	s_and_saveexec_b64 s[6:7], s[4:5]
	s_cbranch_execnz .LBB20_1823
	s_branch .LBB20_1824
.LBB20_3873:
	s_movk_i32 s4, 0x80
	v_cmp_eq_u16_sdwa s[12:13], v13, s4 src0_sel:BYTE_0 src1_sel:DWORD
	s_mov_b64 s[4:5], -1
                                        ; implicit-def: $sgpr10
	s_and_saveexec_b64 s[8:9], s[12:13]
; %bb.3874:
	s_mov_b32 s10, 0x7f800001
	s_xor_b64 s[4:5], exec, -1
; %bb.3875:
	s_or_b64 exec, exec, s[8:9]
	s_and_b64 s[4:5], s[4:5], exec
	s_or_saveexec_b64 s[6:7], s[6:7]
	v_mov_b32_e32 v8, s10
	s_xor_b64 exec, exec, s[6:7]
	s_cbranch_execz .LBB20_1826
.LBB20_3876:
	v_mov_b32_e32 v8, 0
	v_cmp_ne_u16_sdwa s[8:9], v13, v8 src0_sel:BYTE_0 src1_sel:DWORD
	s_andn2_b64 s[4:5], s[4:5], exec
	s_and_b64 s[8:9], s[8:9], exec
	s_or_b64 s[4:5], s[4:5], s[8:9]
	s_or_b64 exec, exec, s[6:7]
	s_and_saveexec_b64 s[6:7], s[4:5]
	s_cbranch_execnz .LBB20_1827
	s_branch .LBB20_1828
.LBB20_3877:
	s_movk_i32 s4, 0x80
	v_cmp_eq_u16_sdwa s[12:13], v9, s4 src0_sel:BYTE_0 src1_sel:DWORD
	s_mov_b64 s[4:5], -1
                                        ; implicit-def: $sgpr10
	s_and_saveexec_b64 s[8:9], s[12:13]
; %bb.3878:
	s_mov_b32 s10, 0x7f800001
	s_xor_b64 s[4:5], exec, -1
; %bb.3879:
	s_or_b64 exec, exec, s[8:9]
	s_and_b64 s[4:5], s[4:5], exec
	s_or_saveexec_b64 s[6:7], s[6:7]
	v_mov_b32_e32 v12, s10
	s_xor_b64 exec, exec, s[6:7]
	s_cbranch_execz .LBB20_1830
.LBB20_3880:
	v_mov_b32_e32 v12, 0
	v_cmp_ne_u16_sdwa s[8:9], v9, v12 src0_sel:BYTE_0 src1_sel:DWORD
	s_andn2_b64 s[4:5], s[4:5], exec
	s_and_b64 s[8:9], s[8:9], exec
	s_or_b64 s[4:5], s[4:5], s[8:9]
	s_or_b64 exec, exec, s[6:7]
	s_and_saveexec_b64 s[6:7], s[4:5]
	s_cbranch_execnz .LBB20_1831
	s_branch .LBB20_1832
.LBB20_3881:
	s_movk_i32 s4, 0x80
	v_cmp_eq_u16_sdwa s[12:13], v12, s4 src0_sel:BYTE_0 src1_sel:DWORD
	s_mov_b64 s[4:5], -1
                                        ; implicit-def: $sgpr10
	s_and_saveexec_b64 s[8:9], s[12:13]
; %bb.3882:
	s_mov_b32 s10, 0x7f800001
	s_xor_b64 s[4:5], exec, -1
; %bb.3883:
	s_or_b64 exec, exec, s[8:9]
	s_and_b64 s[4:5], s[4:5], exec
	s_or_saveexec_b64 s[6:7], s[6:7]
	v_mov_b32_e32 v8, s10
	s_xor_b64 exec, exec, s[6:7]
	s_cbranch_execz .LBB20_1834
.LBB20_3884:
	v_mov_b32_e32 v8, 0
	v_cmp_ne_u16_sdwa s[8:9], v12, v8 src0_sel:BYTE_0 src1_sel:DWORD
	s_andn2_b64 s[4:5], s[4:5], exec
	s_and_b64 s[8:9], s[8:9], exec
	s_or_b64 s[4:5], s[4:5], s[8:9]
	s_or_b64 exec, exec, s[6:7]
	s_and_saveexec_b64 s[6:7], s[4:5]
	s_cbranch_execnz .LBB20_1835
	s_branch .LBB20_1836
.LBB20_3885:
	s_movk_i32 s4, 0x80
	v_cmp_eq_u16_sdwa s[12:13], v12, s4 src0_sel:BYTE_0 src1_sel:DWORD
	s_mov_b64 s[4:5], -1
                                        ; implicit-def: $sgpr10
	s_and_saveexec_b64 s[8:9], s[12:13]
; %bb.3886:
	s_mov_b32 s10, 0x7f800001
	s_xor_b64 s[4:5], exec, -1
; %bb.3887:
	s_or_b64 exec, exec, s[8:9]
	s_and_b64 s[4:5], s[4:5], exec
	s_or_saveexec_b64 s[6:7], s[6:7]
	v_mov_b32_e32 v18, s10
	s_xor_b64 exec, exec, s[6:7]
	s_cbranch_execz .LBB20_1838
.LBB20_3888:
	v_mov_b32_e32 v18, 0
	v_cmp_ne_u16_sdwa s[8:9], v12, v18 src0_sel:BYTE_0 src1_sel:DWORD
	s_andn2_b64 s[4:5], s[4:5], exec
	s_and_b64 s[8:9], s[8:9], exec
	s_or_b64 s[4:5], s[4:5], s[8:9]
	s_or_b64 exec, exec, s[6:7]
	s_and_saveexec_b64 s[6:7], s[4:5]
	s_cbranch_execnz .LBB20_1839
	s_branch .LBB20_1840
.LBB20_3889:
	s_movk_i32 s4, 0x80
	v_cmp_eq_u16_e32 vcc, s4, v12
	s_mov_b64 s[4:5], -1
                                        ; implicit-def: $sgpr10
	s_and_saveexec_b64 s[8:9], vcc
; %bb.3890:
	s_mov_b32 s10, 0x7f800001
	s_xor_b64 s[4:5], exec, -1
; %bb.3891:
	s_or_b64 exec, exec, s[8:9]
	s_and_b64 s[4:5], s[4:5], exec
                                        ; implicit-def: $vgpr12
	s_or_saveexec_b64 s[6:7], s[6:7]
	v_mov_b32_e32 v8, s10
	s_xor_b64 exec, exec, s[6:7]
	s_cbranch_execz .LBB20_1842
.LBB20_3892:
	v_cmp_ne_u16_e32 vcc, 0, v12
	s_andn2_b64 s[4:5], s[4:5], exec
	s_and_b64 s[8:9], vcc, exec
	v_mov_b32_e32 v8, 0
	s_or_b64 s[4:5], s[4:5], s[8:9]
	s_or_b64 exec, exec, s[6:7]
	s_and_saveexec_b64 s[6:7], s[4:5]
	s_cbranch_execnz .LBB20_1843
	s_branch .LBB20_1844
.LBB20_3893:
	s_movk_i32 s4, 0x80
	v_cmp_eq_u16_e32 vcc, s4, v12
	s_mov_b64 s[4:5], -1
                                        ; implicit-def: $sgpr10
	s_and_saveexec_b64 s[8:9], vcc
; %bb.3894:
	s_mov_b32 s10, 0x7f800001
	s_xor_b64 s[4:5], exec, -1
; %bb.3895:
	s_or_b64 exec, exec, s[8:9]
	s_and_b64 s[4:5], s[4:5], exec
                                        ; implicit-def: $vgpr12
	s_or_saveexec_b64 s[6:7], s[6:7]
	v_mov_b32_e32 v18, s10
	s_xor_b64 exec, exec, s[6:7]
	s_cbranch_execz .LBB20_1846
.LBB20_3896:
	v_cmp_ne_u16_e32 vcc, 0, v12
	s_andn2_b64 s[4:5], s[4:5], exec
	s_and_b64 s[8:9], vcc, exec
	v_mov_b32_e32 v18, 0
	s_or_b64 s[4:5], s[4:5], s[8:9]
	s_or_b64 exec, exec, s[6:7]
	s_and_saveexec_b64 s[6:7], s[4:5]
	s_cbranch_execnz .LBB20_1847
	s_branch .LBB20_1848
.LBB20_3897:
	s_movk_i32 s4, 0x80
	v_cmp_eq_u16_sdwa s[12:13], v13, s4 src0_sel:BYTE_3 src1_sel:DWORD
	s_mov_b64 s[4:5], -1
                                        ; implicit-def: $sgpr10
	s_and_saveexec_b64 s[8:9], s[12:13]
; %bb.3898:
	s_mov_b32 s10, 0x7f800001
	s_xor_b64 s[4:5], exec, -1
; %bb.3899:
	s_or_b64 exec, exec, s[8:9]
	s_and_b64 s[4:5], s[4:5], exec
	s_or_saveexec_b64 s[6:7], s[6:7]
	v_mov_b32_e32 v8, s10
	s_xor_b64 exec, exec, s[6:7]
	s_cbranch_execz .LBB20_1850
.LBB20_3900:
	v_mov_b32_e32 v8, 0
	v_cmp_ne_u16_sdwa s[8:9], v13, v8 src0_sel:BYTE_3 src1_sel:DWORD
	s_andn2_b64 s[4:5], s[4:5], exec
	s_and_b64 s[8:9], s[8:9], exec
	s_or_b64 s[4:5], s[4:5], s[8:9]
	s_or_b64 exec, exec, s[6:7]
	s_and_saveexec_b64 s[6:7], s[4:5]
	s_cbranch_execnz .LBB20_1851
	s_branch .LBB20_1852
.LBB20_3901:
	s_movk_i32 s4, 0x80
	v_cmp_eq_u16_sdwa s[12:13], v9, s4 src0_sel:BYTE_3 src1_sel:DWORD
	s_mov_b64 s[4:5], -1
                                        ; implicit-def: $sgpr10
	s_and_saveexec_b64 s[8:9], s[12:13]
; %bb.3902:
	s_mov_b32 s10, 0x7f800001
	s_xor_b64 s[4:5], exec, -1
; %bb.3903:
	s_or_b64 exec, exec, s[8:9]
	s_and_b64 s[4:5], s[4:5], exec
	s_or_saveexec_b64 s[6:7], s[6:7]
	v_mov_b32_e32 v12, s10
	s_xor_b64 exec, exec, s[6:7]
	s_cbranch_execz .LBB20_1854
.LBB20_3904:
	v_mov_b32_e32 v12, 0
	v_cmp_ne_u16_sdwa s[8:9], v9, v12 src0_sel:BYTE_3 src1_sel:DWORD
	s_andn2_b64 s[4:5], s[4:5], exec
	s_and_b64 s[8:9], s[8:9], exec
	s_or_b64 s[4:5], s[4:5], s[8:9]
	s_or_b64 exec, exec, s[6:7]
	s_and_saveexec_b64 s[6:7], s[4:5]
	s_cbranch_execnz .LBB20_1855
	s_branch .LBB20_1856
.LBB20_3905:
	s_movk_i32 s4, 0x80
	v_cmp_eq_u16_sdwa s[12:13], v14, s4 src0_sel:BYTE_0 src1_sel:DWORD
	s_mov_b64 s[4:5], -1
                                        ; implicit-def: $sgpr10
	s_and_saveexec_b64 s[8:9], s[12:13]
; %bb.3906:
	s_mov_b32 s10, 0x7f800001
	s_xor_b64 s[4:5], exec, -1
; %bb.3907:
	s_or_b64 exec, exec, s[8:9]
	s_and_b64 s[4:5], s[4:5], exec
	s_or_saveexec_b64 s[6:7], s[6:7]
	v_mov_b32_e32 v8, s10
	s_xor_b64 exec, exec, s[6:7]
	s_cbranch_execz .LBB20_1858
.LBB20_3908:
	v_mov_b32_e32 v8, 0
	v_cmp_ne_u16_sdwa s[8:9], v14, v8 src0_sel:BYTE_0 src1_sel:DWORD
	s_andn2_b64 s[4:5], s[4:5], exec
	s_and_b64 s[8:9], s[8:9], exec
	s_or_b64 s[4:5], s[4:5], s[8:9]
	s_or_b64 exec, exec, s[6:7]
	s_and_saveexec_b64 s[6:7], s[4:5]
	s_cbranch_execnz .LBB20_1859
	s_branch .LBB20_1860
.LBB20_3909:
	s_movk_i32 s4, 0x80
	v_cmp_eq_u16_sdwa s[12:13], v10, s4 src0_sel:BYTE_0 src1_sel:DWORD
	s_mov_b64 s[4:5], -1
                                        ; implicit-def: $sgpr10
	s_and_saveexec_b64 s[8:9], s[12:13]
; %bb.3910:
	s_mov_b32 s10, 0x7f800001
	s_xor_b64 s[4:5], exec, -1
; %bb.3911:
	s_or_b64 exec, exec, s[8:9]
	s_and_b64 s[4:5], s[4:5], exec
	s_or_saveexec_b64 s[6:7], s[6:7]
	v_mov_b32_e32 v9, s10
	s_xor_b64 exec, exec, s[6:7]
	s_cbranch_execz .LBB20_1862
.LBB20_3912:
	v_mov_b32_e32 v9, 0
	v_cmp_ne_u16_sdwa s[8:9], v10, v9 src0_sel:BYTE_0 src1_sel:DWORD
	s_andn2_b64 s[4:5], s[4:5], exec
	s_and_b64 s[8:9], s[8:9], exec
	s_or_b64 s[4:5], s[4:5], s[8:9]
	s_or_b64 exec, exec, s[6:7]
	s_and_saveexec_b64 s[6:7], s[4:5]
	s_cbranch_execnz .LBB20_1863
	s_branch .LBB20_1864
.LBB20_3913:
	s_movk_i32 s4, 0x80
	v_cmp_eq_u16_sdwa s[12:13], v9, s4 src0_sel:BYTE_0 src1_sel:DWORD
	s_mov_b64 s[4:5], -1
                                        ; implicit-def: $sgpr10
	s_and_saveexec_b64 s[8:9], s[12:13]
; %bb.3914:
	s_mov_b32 s10, 0x7f800001
	s_xor_b64 s[4:5], exec, -1
; %bb.3915:
	s_or_b64 exec, exec, s[8:9]
	s_and_b64 s[4:5], s[4:5], exec
	s_or_saveexec_b64 s[6:7], s[6:7]
	v_mov_b32_e32 v8, s10
	s_xor_b64 exec, exec, s[6:7]
	s_cbranch_execz .LBB20_1866
.LBB20_3916:
	v_mov_b32_e32 v8, 0
	v_cmp_ne_u16_sdwa s[8:9], v9, v8 src0_sel:BYTE_0 src1_sel:DWORD
	s_andn2_b64 s[4:5], s[4:5], exec
	s_and_b64 s[8:9], s[8:9], exec
	s_or_b64 s[4:5], s[4:5], s[8:9]
	s_or_b64 exec, exec, s[6:7]
	s_and_saveexec_b64 s[6:7], s[4:5]
	s_cbranch_execnz .LBB20_1867
	s_branch .LBB20_1868
.LBB20_3917:
	s_movk_i32 s4, 0x80
	v_cmp_eq_u16_sdwa s[12:13], v9, s4 src0_sel:BYTE_0 src1_sel:DWORD
	s_mov_b64 s[4:5], -1
                                        ; implicit-def: $sgpr10
	s_and_saveexec_b64 s[8:9], s[12:13]
; %bb.3918:
	s_mov_b32 s10, 0x7f800001
	s_xor_b64 s[4:5], exec, -1
; %bb.3919:
	s_or_b64 exec, exec, s[8:9]
	s_and_b64 s[4:5], s[4:5], exec
	s_or_saveexec_b64 s[6:7], s[6:7]
	v_mov_b32_e32 v12, s10
	s_xor_b64 exec, exec, s[6:7]
	s_cbranch_execz .LBB20_1870
.LBB20_3920:
	v_mov_b32_e32 v12, 0
	v_cmp_ne_u16_sdwa s[8:9], v9, v12 src0_sel:BYTE_0 src1_sel:DWORD
	s_andn2_b64 s[4:5], s[4:5], exec
	s_and_b64 s[8:9], s[8:9], exec
	s_or_b64 s[4:5], s[4:5], s[8:9]
	s_or_b64 exec, exec, s[6:7]
	s_and_saveexec_b64 s[6:7], s[4:5]
	s_cbranch_execnz .LBB20_1871
	s_branch .LBB20_1872
.LBB20_3921:
	s_movk_i32 s4, 0x80
	v_cmp_eq_u16_e32 vcc, s4, v9
	s_mov_b64 s[4:5], -1
                                        ; implicit-def: $sgpr10
	s_and_saveexec_b64 s[8:9], vcc
; %bb.3922:
	s_mov_b32 s10, 0x7f800001
	s_xor_b64 s[4:5], exec, -1
; %bb.3923:
	s_or_b64 exec, exec, s[8:9]
	s_and_b64 s[4:5], s[4:5], exec
                                        ; implicit-def: $vgpr9
	s_or_saveexec_b64 s[6:7], s[6:7]
	v_mov_b32_e32 v8, s10
	s_xor_b64 exec, exec, s[6:7]
	s_cbranch_execz .LBB20_1874
.LBB20_3924:
	v_cmp_ne_u16_e32 vcc, 0, v9
	s_andn2_b64 s[4:5], s[4:5], exec
	s_and_b64 s[8:9], vcc, exec
	v_mov_b32_e32 v8, 0
	s_or_b64 s[4:5], s[4:5], s[8:9]
	s_or_b64 exec, exec, s[6:7]
	s_and_saveexec_b64 s[6:7], s[4:5]
	s_cbranch_execnz .LBB20_1875
	s_branch .LBB20_1876
.LBB20_3925:
	s_movk_i32 s4, 0x80
	v_cmp_eq_u16_e32 vcc, s4, v9
	s_mov_b64 s[4:5], -1
                                        ; implicit-def: $sgpr10
	s_and_saveexec_b64 s[8:9], vcc
; %bb.3926:
	s_mov_b32 s10, 0x7f800001
	s_xor_b64 s[4:5], exec, -1
; %bb.3927:
	s_or_b64 exec, exec, s[8:9]
	s_and_b64 s[4:5], s[4:5], exec
                                        ; implicit-def: $vgpr9
	s_or_saveexec_b64 s[6:7], s[6:7]
	v_mov_b32_e32 v12, s10
	s_xor_b64 exec, exec, s[6:7]
	s_cbranch_execz .LBB20_1878
.LBB20_3928:
	v_cmp_ne_u16_e32 vcc, 0, v9
	s_andn2_b64 s[4:5], s[4:5], exec
	s_and_b64 s[8:9], vcc, exec
	v_mov_b32_e32 v12, 0
	s_or_b64 s[4:5], s[4:5], s[8:9]
	s_or_b64 exec, exec, s[6:7]
	s_and_saveexec_b64 s[6:7], s[4:5]
	s_cbranch_execnz .LBB20_1879
	s_branch .LBB20_1880
.LBB20_3929:
	s_movk_i32 s4, 0x80
	v_cmp_eq_u16_sdwa s[12:13], v14, s4 src0_sel:BYTE_3 src1_sel:DWORD
	s_mov_b64 s[4:5], -1
                                        ; implicit-def: $sgpr10
	s_and_saveexec_b64 s[8:9], s[12:13]
; %bb.3930:
	s_mov_b32 s10, 0x7f800001
	s_xor_b64 s[4:5], exec, -1
; %bb.3931:
	s_or_b64 exec, exec, s[8:9]
	s_and_b64 s[4:5], s[4:5], exec
	s_or_saveexec_b64 s[6:7], s[6:7]
	v_mov_b32_e32 v8, s10
	s_xor_b64 exec, exec, s[6:7]
	s_cbranch_execz .LBB20_1882
.LBB20_3932:
	v_mov_b32_e32 v8, 0
	v_cmp_ne_u16_sdwa s[8:9], v14, v8 src0_sel:BYTE_3 src1_sel:DWORD
	s_andn2_b64 s[4:5], s[4:5], exec
	s_and_b64 s[8:9], s[8:9], exec
	s_or_b64 s[4:5], s[4:5], s[8:9]
	s_or_b64 exec, exec, s[6:7]
	s_and_saveexec_b64 s[6:7], s[4:5]
	s_cbranch_execnz .LBB20_1883
	s_branch .LBB20_1884
.LBB20_3933:
	s_movk_i32 s4, 0x80
	v_cmp_eq_u16_sdwa s[12:13], v10, s4 src0_sel:BYTE_3 src1_sel:DWORD
	s_mov_b64 s[4:5], -1
                                        ; implicit-def: $sgpr10
	s_and_saveexec_b64 s[8:9], s[12:13]
; %bb.3934:
	s_mov_b32 s10, 0x7f800001
	s_xor_b64 s[4:5], exec, -1
; %bb.3935:
	s_or_b64 exec, exec, s[8:9]
	s_and_b64 s[4:5], s[4:5], exec
	s_or_saveexec_b64 s[6:7], s[6:7]
	v_mov_b32_e32 v9, s10
	s_xor_b64 exec, exec, s[6:7]
	s_cbranch_execz .LBB20_1886
.LBB20_3936:
	v_mov_b32_e32 v9, 0
	v_cmp_ne_u16_sdwa s[8:9], v10, v9 src0_sel:BYTE_3 src1_sel:DWORD
	s_andn2_b64 s[4:5], s[4:5], exec
	s_and_b64 s[8:9], s[8:9], exec
	s_or_b64 s[4:5], s[4:5], s[8:9]
	s_or_b64 exec, exec, s[6:7]
	s_and_saveexec_b64 s[6:7], s[4:5]
	s_cbranch_execnz .LBB20_1887
	s_branch .LBB20_1888
.LBB20_3937:
	s_movk_i32 s4, 0x80
	v_cmp_eq_u16_sdwa s[12:13], v15, s4 src0_sel:BYTE_0 src1_sel:DWORD
	s_mov_b64 s[4:5], -1
                                        ; implicit-def: $sgpr10
	s_and_saveexec_b64 s[8:9], s[12:13]
; %bb.3938:
	s_mov_b32 s10, 0x7f800001
	s_xor_b64 s[4:5], exec, -1
; %bb.3939:
	s_or_b64 exec, exec, s[8:9]
	s_and_b64 s[4:5], s[4:5], exec
	s_or_saveexec_b64 s[6:7], s[6:7]
	v_mov_b32_e32 v8, s10
	s_xor_b64 exec, exec, s[6:7]
	s_cbranch_execz .LBB20_1890
.LBB20_3940:
	v_mov_b32_e32 v8, 0
	v_cmp_ne_u16_sdwa s[8:9], v15, v8 src0_sel:BYTE_0 src1_sel:DWORD
	s_andn2_b64 s[4:5], s[4:5], exec
	s_and_b64 s[8:9], s[8:9], exec
	s_or_b64 s[4:5], s[4:5], s[8:9]
	s_or_b64 exec, exec, s[6:7]
	s_and_saveexec_b64 s[6:7], s[4:5]
	s_cbranch_execnz .LBB20_1891
	s_branch .LBB20_1892
.LBB20_3941:
	s_movk_i32 s4, 0x80
	v_cmp_eq_u16_sdwa s[12:13], v11, s4 src0_sel:BYTE_0 src1_sel:DWORD
	s_mov_b64 s[4:5], -1
                                        ; implicit-def: $sgpr10
	s_and_saveexec_b64 s[8:9], s[12:13]
; %bb.3942:
	s_mov_b32 s10, 0x7f800001
	s_xor_b64 s[4:5], exec, -1
; %bb.3943:
	s_or_b64 exec, exec, s[8:9]
	s_and_b64 s[4:5], s[4:5], exec
	s_or_saveexec_b64 s[6:7], s[6:7]
	v_mov_b32_e32 v9, s10
	s_xor_b64 exec, exec, s[6:7]
	s_cbranch_execz .LBB20_1894
.LBB20_3944:
	v_mov_b32_e32 v9, 0
	v_cmp_ne_u16_sdwa s[8:9], v11, v9 src0_sel:BYTE_0 src1_sel:DWORD
	s_andn2_b64 s[4:5], s[4:5], exec
	s_and_b64 s[8:9], s[8:9], exec
	s_or_b64 s[4:5], s[4:5], s[8:9]
	s_or_b64 exec, exec, s[6:7]
	s_and_saveexec_b64 s[6:7], s[4:5]
	s_cbranch_execnz .LBB20_1895
	s_branch .LBB20_1896
.LBB20_3945:
	s_movk_i32 s4, 0x80
	v_cmp_eq_u16_sdwa s[12:13], v9, s4 src0_sel:BYTE_0 src1_sel:DWORD
	s_mov_b64 s[4:5], -1
                                        ; implicit-def: $sgpr10
	s_and_saveexec_b64 s[8:9], s[12:13]
; %bb.3946:
	s_mov_b32 s10, 0x7f800001
	s_xor_b64 s[4:5], exec, -1
; %bb.3947:
	s_or_b64 exec, exec, s[8:9]
	s_and_b64 s[4:5], s[4:5], exec
	s_or_saveexec_b64 s[6:7], s[6:7]
	v_mov_b32_e32 v8, s10
	s_xor_b64 exec, exec, s[6:7]
	s_cbranch_execz .LBB20_1898
.LBB20_3948:
	v_mov_b32_e32 v8, 0
	v_cmp_ne_u16_sdwa s[8:9], v9, v8 src0_sel:BYTE_0 src1_sel:DWORD
	s_andn2_b64 s[4:5], s[4:5], exec
	s_and_b64 s[8:9], s[8:9], exec
	s_or_b64 s[4:5], s[4:5], s[8:9]
	s_or_b64 exec, exec, s[6:7]
	s_and_saveexec_b64 s[6:7], s[4:5]
	s_cbranch_execnz .LBB20_1899
	s_branch .LBB20_1900
.LBB20_3949:
	s_movk_i32 s4, 0x80
	v_cmp_eq_u16_sdwa s[12:13], v9, s4 src0_sel:BYTE_0 src1_sel:DWORD
	s_mov_b64 s[4:5], -1
                                        ; implicit-def: $sgpr10
	s_and_saveexec_b64 s[8:9], s[12:13]
; %bb.3950:
	s_mov_b32 s10, 0x7f800001
	s_xor_b64 s[4:5], exec, -1
; %bb.3951:
	s_or_b64 exec, exec, s[8:9]
	s_and_b64 s[4:5], s[4:5], exec
	s_or_saveexec_b64 s[6:7], s[6:7]
	v_mov_b32_e32 v10, s10
	s_xor_b64 exec, exec, s[6:7]
	s_cbranch_execz .LBB20_1902
.LBB20_3952:
	v_mov_b32_e32 v10, 0
	v_cmp_ne_u16_sdwa s[8:9], v9, v10 src0_sel:BYTE_0 src1_sel:DWORD
	s_andn2_b64 s[4:5], s[4:5], exec
	s_and_b64 s[8:9], s[8:9], exec
	s_or_b64 s[4:5], s[4:5], s[8:9]
	s_or_b64 exec, exec, s[6:7]
	s_and_saveexec_b64 s[6:7], s[4:5]
	s_cbranch_execnz .LBB20_1903
	s_branch .LBB20_1904
.LBB20_3953:
	s_movk_i32 s4, 0x80
	v_cmp_eq_u16_e32 vcc, s4, v9
	s_mov_b64 s[4:5], -1
                                        ; implicit-def: $sgpr10
	s_and_saveexec_b64 s[8:9], vcc
; %bb.3954:
	s_mov_b32 s10, 0x7f800001
	s_xor_b64 s[4:5], exec, -1
; %bb.3955:
	s_or_b64 exec, exec, s[8:9]
	s_and_b64 s[4:5], s[4:5], exec
                                        ; implicit-def: $vgpr9
	s_or_saveexec_b64 s[6:7], s[6:7]
	v_mov_b32_e32 v8, s10
	s_xor_b64 exec, exec, s[6:7]
	s_cbranch_execz .LBB20_1906
.LBB20_3956:
	v_cmp_ne_u16_e32 vcc, 0, v9
	s_andn2_b64 s[4:5], s[4:5], exec
	s_and_b64 s[8:9], vcc, exec
	v_mov_b32_e32 v8, 0
	s_or_b64 s[4:5], s[4:5], s[8:9]
	s_or_b64 exec, exec, s[6:7]
	s_and_saveexec_b64 s[6:7], s[4:5]
	s_cbranch_execnz .LBB20_1907
	s_branch .LBB20_1908
.LBB20_3957:
	s_movk_i32 s4, 0x80
	v_cmp_eq_u16_e32 vcc, s4, v9
	s_mov_b64 s[4:5], -1
                                        ; implicit-def: $sgpr10
	s_and_saveexec_b64 s[8:9], vcc
; %bb.3958:
	s_mov_b32 s10, 0x7f800001
	s_xor_b64 s[4:5], exec, -1
; %bb.3959:
	s_or_b64 exec, exec, s[8:9]
	s_and_b64 s[4:5], s[4:5], exec
                                        ; implicit-def: $vgpr9
	s_or_saveexec_b64 s[6:7], s[6:7]
	v_mov_b32_e32 v10, s10
	s_xor_b64 exec, exec, s[6:7]
	s_cbranch_execz .LBB20_1910
.LBB20_3960:
	v_cmp_ne_u16_e32 vcc, 0, v9
	s_andn2_b64 s[4:5], s[4:5], exec
	s_and_b64 s[8:9], vcc, exec
	v_mov_b32_e32 v10, 0
	s_or_b64 s[4:5], s[4:5], s[8:9]
	s_or_b64 exec, exec, s[6:7]
	s_and_saveexec_b64 s[6:7], s[4:5]
	s_cbranch_execnz .LBB20_1911
	s_branch .LBB20_1912
.LBB20_3961:
	s_movk_i32 s4, 0x80
	v_cmp_eq_u16_sdwa s[12:13], v15, s4 src0_sel:BYTE_3 src1_sel:DWORD
	s_mov_b64 s[4:5], -1
                                        ; implicit-def: $sgpr10
	s_and_saveexec_b64 s[8:9], s[12:13]
; %bb.3962:
	s_mov_b32 s10, 0x7f800001
	s_xor_b64 s[4:5], exec, -1
; %bb.3963:
	s_or_b64 exec, exec, s[8:9]
	s_and_b64 s[4:5], s[4:5], exec
	s_or_saveexec_b64 s[6:7], s[6:7]
	v_mov_b32_e32 v8, s10
	s_xor_b64 exec, exec, s[6:7]
	s_cbranch_execz .LBB20_1914
.LBB20_3964:
	v_mov_b32_e32 v8, 0
	v_cmp_ne_u16_sdwa s[8:9], v15, v8 src0_sel:BYTE_3 src1_sel:DWORD
	s_andn2_b64 s[4:5], s[4:5], exec
	s_and_b64 s[8:9], s[8:9], exec
	s_or_b64 s[4:5], s[4:5], s[8:9]
	s_or_b64 exec, exec, s[6:7]
	s_and_saveexec_b64 s[6:7], s[4:5]
	s_cbranch_execnz .LBB20_1915
	s_branch .LBB20_1916
.LBB20_3965:
	s_movk_i32 s4, 0x80
	v_cmp_eq_u16_sdwa s[12:13], v11, s4 src0_sel:BYTE_3 src1_sel:DWORD
	s_mov_b64 s[4:5], -1
                                        ; implicit-def: $sgpr10
	s_and_saveexec_b64 s[8:9], s[12:13]
; %bb.3966:
	s_mov_b32 s10, 0x7f800001
	s_xor_b64 s[4:5], exec, -1
; %bb.3967:
	s_or_b64 exec, exec, s[8:9]
	s_and_b64 s[4:5], s[4:5], exec
	s_or_saveexec_b64 s[6:7], s[6:7]
	v_mov_b32_e32 v9, s10
	s_xor_b64 exec, exec, s[6:7]
	s_cbranch_execz .LBB20_1918
.LBB20_3968:
	v_mov_b32_e32 v9, 0
	v_cmp_ne_u16_sdwa s[8:9], v11, v9 src0_sel:BYTE_3 src1_sel:DWORD
	s_andn2_b64 s[4:5], s[4:5], exec
	s_and_b64 s[8:9], s[8:9], exec
	s_or_b64 s[4:5], s[4:5], s[8:9]
	s_or_b64 exec, exec, s[6:7]
	s_and_saveexec_b64 s[6:7], s[4:5]
	s_cbranch_execnz .LBB20_1919
	s_branch .LBB20_1920
.LBB20_3969:
	s_movk_i32 s4, 0x80
	v_cmp_eq_u16_sdwa s[12:13], v4, s4 src0_sel:BYTE_0 src1_sel:DWORD
	s_mov_b64 s[4:5], -1
                                        ; implicit-def: $sgpr10
	s_and_saveexec_b64 s[8:9], s[12:13]
; %bb.3970:
	s_mov_b32 s10, 0x7f800001
	s_xor_b64 s[4:5], exec, -1
; %bb.3971:
	s_or_b64 exec, exec, s[8:9]
	s_and_b64 s[4:5], s[4:5], exec
	s_or_saveexec_b64 s[6:7], s[6:7]
	v_mov_b32_e32 v8, s10
	s_xor_b64 exec, exec, s[6:7]
	s_cbranch_execz .LBB20_1922
.LBB20_3972:
	v_mov_b32_e32 v8, 0
	v_cmp_ne_u16_sdwa s[8:9], v4, v8 src0_sel:BYTE_0 src1_sel:DWORD
	s_andn2_b64 s[4:5], s[4:5], exec
	s_and_b64 s[8:9], s[8:9], exec
	s_or_b64 s[4:5], s[4:5], s[8:9]
	s_or_b64 exec, exec, s[6:7]
	s_and_saveexec_b64 s[6:7], s[4:5]
	s_cbranch_execnz .LBB20_1923
	s_branch .LBB20_1924
.LBB20_3973:
	s_movk_i32 s4, 0x80
	v_cmp_eq_u16_sdwa s[12:13], v0, s4 src0_sel:BYTE_0 src1_sel:DWORD
	s_mov_b64 s[4:5], -1
                                        ; implicit-def: $sgpr10
	s_and_saveexec_b64 s[8:9], s[12:13]
; %bb.3974:
	s_mov_b32 s10, 0x7f800001
	s_xor_b64 s[4:5], exec, -1
; %bb.3975:
	s_or_b64 exec, exec, s[8:9]
	s_and_b64 s[4:5], s[4:5], exec
	s_or_saveexec_b64 s[6:7], s[6:7]
	v_mov_b32_e32 v9, s10
	s_xor_b64 exec, exec, s[6:7]
	s_cbranch_execz .LBB20_1926
.LBB20_3976:
	v_mov_b32_e32 v9, 0
	v_cmp_ne_u16_sdwa s[8:9], v0, v9 src0_sel:BYTE_0 src1_sel:DWORD
	s_andn2_b64 s[4:5], s[4:5], exec
	s_and_b64 s[8:9], s[8:9], exec
	s_or_b64 s[4:5], s[4:5], s[8:9]
	s_or_b64 exec, exec, s[6:7]
	s_and_saveexec_b64 s[6:7], s[4:5]
	s_cbranch_execnz .LBB20_1927
	s_branch .LBB20_1928
.LBB20_3977:
	s_movk_i32 s4, 0x80
	v_cmp_eq_u16_sdwa s[12:13], v9, s4 src0_sel:BYTE_0 src1_sel:DWORD
	s_mov_b64 s[4:5], -1
                                        ; implicit-def: $sgpr10
	s_and_saveexec_b64 s[8:9], s[12:13]
; %bb.3978:
	s_mov_b32 s10, 0x7f800001
	s_xor_b64 s[4:5], exec, -1
; %bb.3979:
	s_or_b64 exec, exec, s[8:9]
	s_and_b64 s[4:5], s[4:5], exec
	s_or_saveexec_b64 s[6:7], s[6:7]
	v_mov_b32_e32 v8, s10
	s_xor_b64 exec, exec, s[6:7]
	s_cbranch_execz .LBB20_1930
.LBB20_3980:
	v_mov_b32_e32 v8, 0
	v_cmp_ne_u16_sdwa s[8:9], v9, v8 src0_sel:BYTE_0 src1_sel:DWORD
	s_andn2_b64 s[4:5], s[4:5], exec
	s_and_b64 s[8:9], s[8:9], exec
	s_or_b64 s[4:5], s[4:5], s[8:9]
	s_or_b64 exec, exec, s[6:7]
	s_and_saveexec_b64 s[6:7], s[4:5]
	s_cbranch_execnz .LBB20_1931
	s_branch .LBB20_1932
.LBB20_3981:
	s_movk_i32 s4, 0x80
	v_cmp_eq_u16_sdwa s[12:13], v9, s4 src0_sel:BYTE_0 src1_sel:DWORD
	s_mov_b64 s[4:5], -1
                                        ; implicit-def: $sgpr10
	s_and_saveexec_b64 s[8:9], s[12:13]
; %bb.3982:
	s_mov_b32 s10, 0x7f800001
	s_xor_b64 s[4:5], exec, -1
; %bb.3983:
	s_or_b64 exec, exec, s[8:9]
	s_and_b64 s[4:5], s[4:5], exec
	s_or_saveexec_b64 s[6:7], s[6:7]
	v_mov_b32_e32 v10, s10
	s_xor_b64 exec, exec, s[6:7]
	s_cbranch_execz .LBB20_1934
.LBB20_3984:
	v_mov_b32_e32 v10, 0
	v_cmp_ne_u16_sdwa s[8:9], v9, v10 src0_sel:BYTE_0 src1_sel:DWORD
	s_andn2_b64 s[4:5], s[4:5], exec
	s_and_b64 s[8:9], s[8:9], exec
	s_or_b64 s[4:5], s[4:5], s[8:9]
	s_or_b64 exec, exec, s[6:7]
	s_and_saveexec_b64 s[6:7], s[4:5]
	s_cbranch_execnz .LBB20_1935
	s_branch .LBB20_1936
.LBB20_3985:
	s_movk_i32 s4, 0x80
	v_cmp_eq_u16_e32 vcc, s4, v9
	s_mov_b64 s[4:5], -1
                                        ; implicit-def: $sgpr10
	s_and_saveexec_b64 s[8:9], vcc
; %bb.3986:
	s_mov_b32 s10, 0x7f800001
	s_xor_b64 s[4:5], exec, -1
; %bb.3987:
	s_or_b64 exec, exec, s[8:9]
	s_and_b64 s[4:5], s[4:5], exec
                                        ; implicit-def: $vgpr9
	s_or_saveexec_b64 s[6:7], s[6:7]
	v_mov_b32_e32 v8, s10
	s_xor_b64 exec, exec, s[6:7]
	s_cbranch_execz .LBB20_1938
.LBB20_3988:
	v_cmp_ne_u16_e32 vcc, 0, v9
	s_andn2_b64 s[4:5], s[4:5], exec
	s_and_b64 s[8:9], vcc, exec
	v_mov_b32_e32 v8, 0
	s_or_b64 s[4:5], s[4:5], s[8:9]
	s_or_b64 exec, exec, s[6:7]
	s_and_saveexec_b64 s[6:7], s[4:5]
	s_cbranch_execnz .LBB20_1939
	s_branch .LBB20_1940
.LBB20_3989:
	s_movk_i32 s4, 0x80
	v_cmp_eq_u16_e32 vcc, s4, v9
	s_mov_b64 s[4:5], -1
                                        ; implicit-def: $sgpr10
	s_and_saveexec_b64 s[8:9], vcc
; %bb.3990:
	s_mov_b32 s10, 0x7f800001
	s_xor_b64 s[4:5], exec, -1
; %bb.3991:
	s_or_b64 exec, exec, s[8:9]
	s_and_b64 s[4:5], s[4:5], exec
                                        ; implicit-def: $vgpr9
	s_or_saveexec_b64 s[6:7], s[6:7]
	v_mov_b32_e32 v10, s10
	s_xor_b64 exec, exec, s[6:7]
	s_cbranch_execz .LBB20_1942
.LBB20_3992:
	v_cmp_ne_u16_e32 vcc, 0, v9
	s_andn2_b64 s[4:5], s[4:5], exec
	s_and_b64 s[8:9], vcc, exec
	v_mov_b32_e32 v10, 0
	s_or_b64 s[4:5], s[4:5], s[8:9]
	s_or_b64 exec, exec, s[6:7]
	s_and_saveexec_b64 s[6:7], s[4:5]
	s_cbranch_execnz .LBB20_1943
	s_branch .LBB20_1944
.LBB20_3993:
	s_movk_i32 s4, 0x80
	v_cmp_eq_u16_sdwa s[12:13], v4, s4 src0_sel:BYTE_3 src1_sel:DWORD
	s_mov_b64 s[4:5], -1
                                        ; implicit-def: $sgpr10
	s_and_saveexec_b64 s[8:9], s[12:13]
; %bb.3994:
	s_mov_b32 s10, 0x7f800001
	s_xor_b64 s[4:5], exec, -1
; %bb.3995:
	s_or_b64 exec, exec, s[8:9]
	s_and_b64 s[4:5], s[4:5], exec
	s_or_saveexec_b64 s[6:7], s[6:7]
	v_mov_b32_e32 v8, s10
	s_xor_b64 exec, exec, s[6:7]
	s_cbranch_execz .LBB20_1946
.LBB20_3996:
	v_mov_b32_e32 v8, 0
	v_cmp_ne_u16_sdwa s[8:9], v4, v8 src0_sel:BYTE_3 src1_sel:DWORD
	s_andn2_b64 s[4:5], s[4:5], exec
	s_and_b64 s[8:9], s[8:9], exec
	s_or_b64 s[4:5], s[4:5], s[8:9]
	s_or_b64 exec, exec, s[6:7]
	s_and_saveexec_b64 s[6:7], s[4:5]
	s_cbranch_execnz .LBB20_1947
	s_branch .LBB20_1948
.LBB20_3997:
	s_movk_i32 s4, 0x80
	v_cmp_eq_u16_sdwa s[12:13], v0, s4 src0_sel:BYTE_3 src1_sel:DWORD
	s_mov_b64 s[4:5], -1
                                        ; implicit-def: $sgpr10
	s_and_saveexec_b64 s[8:9], s[12:13]
; %bb.3998:
	s_mov_b32 s10, 0x7f800001
	s_xor_b64 s[4:5], exec, -1
; %bb.3999:
	s_or_b64 exec, exec, s[8:9]
	s_and_b64 s[4:5], s[4:5], exec
	s_or_saveexec_b64 s[6:7], s[6:7]
	v_mov_b32_e32 v4, s10
	s_xor_b64 exec, exec, s[6:7]
	s_cbranch_execz .LBB20_1950
.LBB20_4000:
	v_mov_b32_e32 v4, 0
	v_cmp_ne_u16_sdwa s[8:9], v0, v4 src0_sel:BYTE_3 src1_sel:DWORD
	s_andn2_b64 s[4:5], s[4:5], exec
	s_and_b64 s[8:9], s[8:9], exec
	s_or_b64 s[4:5], s[4:5], s[8:9]
	s_or_b64 exec, exec, s[6:7]
	s_and_saveexec_b64 s[6:7], s[4:5]
	s_cbranch_execnz .LBB20_1951
	s_branch .LBB20_1952
.LBB20_4001:
	s_movk_i32 s4, 0x80
	v_cmp_eq_u16_sdwa s[12:13], v5, s4 src0_sel:BYTE_0 src1_sel:DWORD
	s_mov_b64 s[4:5], -1
                                        ; implicit-def: $sgpr10
	s_and_saveexec_b64 s[8:9], s[12:13]
; %bb.4002:
	s_mov_b32 s10, 0x7f800001
	s_xor_b64 s[4:5], exec, -1
; %bb.4003:
	s_or_b64 exec, exec, s[8:9]
	s_and_b64 s[4:5], s[4:5], exec
	s_or_saveexec_b64 s[6:7], s[6:7]
	v_mov_b32_e32 v0, s10
	s_xor_b64 exec, exec, s[6:7]
	s_cbranch_execz .LBB20_1954
.LBB20_4004:
	v_mov_b32_e32 v0, 0
	v_cmp_ne_u16_sdwa s[8:9], v5, v0 src0_sel:BYTE_0 src1_sel:DWORD
	s_andn2_b64 s[4:5], s[4:5], exec
	s_and_b64 s[8:9], s[8:9], exec
	s_or_b64 s[4:5], s[4:5], s[8:9]
	s_or_b64 exec, exec, s[6:7]
	s_and_saveexec_b64 s[6:7], s[4:5]
	s_cbranch_execnz .LBB20_1955
	s_branch .LBB20_1956
.LBB20_4005:
	s_movk_i32 s4, 0x80
	v_cmp_eq_u16_sdwa s[12:13], v1, s4 src0_sel:BYTE_0 src1_sel:DWORD
	s_mov_b64 s[4:5], -1
                                        ; implicit-def: $sgpr10
	s_and_saveexec_b64 s[8:9], s[12:13]
; %bb.4006:
	s_mov_b32 s10, 0x7f800001
	s_xor_b64 s[4:5], exec, -1
; %bb.4007:
	s_or_b64 exec, exec, s[8:9]
	s_and_b64 s[4:5], s[4:5], exec
	s_or_saveexec_b64 s[6:7], s[6:7]
	v_mov_b32_e32 v4, s10
	s_xor_b64 exec, exec, s[6:7]
	s_cbranch_execz .LBB20_1958
.LBB20_4008:
	v_mov_b32_e32 v4, 0
	v_cmp_ne_u16_sdwa s[8:9], v1, v4 src0_sel:BYTE_0 src1_sel:DWORD
	s_andn2_b64 s[4:5], s[4:5], exec
	s_and_b64 s[8:9], s[8:9], exec
	s_or_b64 s[4:5], s[4:5], s[8:9]
	s_or_b64 exec, exec, s[6:7]
	s_and_saveexec_b64 s[6:7], s[4:5]
	s_cbranch_execnz .LBB20_1959
	s_branch .LBB20_1960
.LBB20_4009:
	s_movk_i32 s4, 0x80
	v_cmp_eq_u16_sdwa s[12:13], v4, s4 src0_sel:BYTE_0 src1_sel:DWORD
	s_mov_b64 s[4:5], -1
                                        ; implicit-def: $sgpr10
	s_and_saveexec_b64 s[8:9], s[12:13]
; %bb.4010:
	s_mov_b32 s10, 0x7f800001
	s_xor_b64 s[4:5], exec, -1
; %bb.4011:
	s_or_b64 exec, exec, s[8:9]
	s_and_b64 s[4:5], s[4:5], exec
	s_or_saveexec_b64 s[6:7], s[6:7]
	v_mov_b32_e32 v0, s10
	s_xor_b64 exec, exec, s[6:7]
	s_cbranch_execz .LBB20_1962
.LBB20_4012:
	v_mov_b32_e32 v0, 0
	v_cmp_ne_u16_sdwa s[8:9], v4, v0 src0_sel:BYTE_0 src1_sel:DWORD
	s_andn2_b64 s[4:5], s[4:5], exec
	s_and_b64 s[8:9], s[8:9], exec
	s_or_b64 s[4:5], s[4:5], s[8:9]
	s_or_b64 exec, exec, s[6:7]
	s_and_saveexec_b64 s[6:7], s[4:5]
	s_cbranch_execnz .LBB20_1963
	s_branch .LBB20_1964
.LBB20_4013:
	s_movk_i32 s4, 0x80
	v_cmp_eq_u16_sdwa s[12:13], v4, s4 src0_sel:BYTE_0 src1_sel:DWORD
	s_mov_b64 s[4:5], -1
                                        ; implicit-def: $sgpr10
	s_and_saveexec_b64 s[8:9], s[12:13]
; %bb.4014:
	s_mov_b32 s10, 0x7f800001
	s_xor_b64 s[4:5], exec, -1
; %bb.4015:
	s_or_b64 exec, exec, s[8:9]
	s_and_b64 s[4:5], s[4:5], exec
	s_or_saveexec_b64 s[6:7], s[6:7]
	v_mov_b32_e32 v8, s10
	s_xor_b64 exec, exec, s[6:7]
	s_cbranch_execz .LBB20_1966
.LBB20_4016:
	v_mov_b32_e32 v8, 0
	v_cmp_ne_u16_sdwa s[8:9], v4, v8 src0_sel:BYTE_0 src1_sel:DWORD
	s_andn2_b64 s[4:5], s[4:5], exec
	s_and_b64 s[8:9], s[8:9], exec
	s_or_b64 s[4:5], s[4:5], s[8:9]
	s_or_b64 exec, exec, s[6:7]
	s_and_saveexec_b64 s[6:7], s[4:5]
	s_cbranch_execnz .LBB20_1967
	s_branch .LBB20_1968
.LBB20_4017:
	s_movk_i32 s4, 0x80
	v_cmp_eq_u16_e32 vcc, s4, v4
	s_mov_b64 s[4:5], -1
                                        ; implicit-def: $sgpr10
	s_and_saveexec_b64 s[8:9], vcc
; %bb.4018:
	s_mov_b32 s10, 0x7f800001
	s_xor_b64 s[4:5], exec, -1
; %bb.4019:
	s_or_b64 exec, exec, s[8:9]
	s_and_b64 s[4:5], s[4:5], exec
                                        ; implicit-def: $vgpr4
	s_or_saveexec_b64 s[6:7], s[6:7]
	v_mov_b32_e32 v0, s10
	s_xor_b64 exec, exec, s[6:7]
	s_cbranch_execz .LBB20_1970
.LBB20_4020:
	v_cmp_ne_u16_e32 vcc, 0, v4
	s_andn2_b64 s[4:5], s[4:5], exec
	s_and_b64 s[8:9], vcc, exec
	v_mov_b32_e32 v0, 0
	s_or_b64 s[4:5], s[4:5], s[8:9]
	s_or_b64 exec, exec, s[6:7]
	s_and_saveexec_b64 s[6:7], s[4:5]
	s_cbranch_execnz .LBB20_1971
	s_branch .LBB20_1972
.LBB20_4021:
	s_movk_i32 s4, 0x80
	v_cmp_eq_u16_e32 vcc, s4, v4
	s_mov_b64 s[4:5], -1
                                        ; implicit-def: $sgpr10
	s_and_saveexec_b64 s[8:9], vcc
; %bb.4022:
	s_mov_b32 s10, 0x7f800001
	s_xor_b64 s[4:5], exec, -1
; %bb.4023:
	s_or_b64 exec, exec, s[8:9]
	s_and_b64 s[4:5], s[4:5], exec
                                        ; implicit-def: $vgpr4
	s_or_saveexec_b64 s[6:7], s[6:7]
	v_mov_b32_e32 v8, s10
	s_xor_b64 exec, exec, s[6:7]
	s_cbranch_execz .LBB20_1974
.LBB20_4024:
	v_cmp_ne_u16_e32 vcc, 0, v4
	s_andn2_b64 s[4:5], s[4:5], exec
	s_and_b64 s[8:9], vcc, exec
	v_mov_b32_e32 v8, 0
	s_or_b64 s[4:5], s[4:5], s[8:9]
	s_or_b64 exec, exec, s[6:7]
	s_and_saveexec_b64 s[6:7], s[4:5]
	s_cbranch_execnz .LBB20_1975
	s_branch .LBB20_1976
.LBB20_4025:
	s_movk_i32 s4, 0x80
	v_cmp_eq_u16_sdwa s[12:13], v5, s4 src0_sel:BYTE_3 src1_sel:DWORD
	s_mov_b64 s[4:5], -1
                                        ; implicit-def: $sgpr10
	s_and_saveexec_b64 s[8:9], s[12:13]
; %bb.4026:
	s_mov_b32 s10, 0x7f800001
	s_xor_b64 s[4:5], exec, -1
; %bb.4027:
	s_or_b64 exec, exec, s[8:9]
	s_and_b64 s[4:5], s[4:5], exec
	s_or_saveexec_b64 s[6:7], s[6:7]
	v_mov_b32_e32 v0, s10
	s_xor_b64 exec, exec, s[6:7]
	s_cbranch_execz .LBB20_1978
.LBB20_4028:
	v_mov_b32_e32 v0, 0
	v_cmp_ne_u16_sdwa s[8:9], v5, v0 src0_sel:BYTE_3 src1_sel:DWORD
	s_andn2_b64 s[4:5], s[4:5], exec
	s_and_b64 s[8:9], s[8:9], exec
	s_or_b64 s[4:5], s[4:5], s[8:9]
	s_or_b64 exec, exec, s[6:7]
	s_and_saveexec_b64 s[6:7], s[4:5]
	s_cbranch_execnz .LBB20_1979
	s_branch .LBB20_1980
.LBB20_4029:
	s_movk_i32 s4, 0x80
	v_cmp_eq_u16_sdwa s[12:13], v1, s4 src0_sel:BYTE_3 src1_sel:DWORD
	s_mov_b64 s[4:5], -1
                                        ; implicit-def: $sgpr10
	s_and_saveexec_b64 s[8:9], s[12:13]
; %bb.4030:
	s_mov_b32 s10, 0x7f800001
	s_xor_b64 s[4:5], exec, -1
; %bb.4031:
	s_or_b64 exec, exec, s[8:9]
	s_and_b64 s[4:5], s[4:5], exec
	s_or_saveexec_b64 s[6:7], s[6:7]
	v_mov_b32_e32 v4, s10
	s_xor_b64 exec, exec, s[6:7]
	s_cbranch_execz .LBB20_1982
.LBB20_4032:
	v_mov_b32_e32 v4, 0
	v_cmp_ne_u16_sdwa s[8:9], v1, v4 src0_sel:BYTE_3 src1_sel:DWORD
	s_andn2_b64 s[4:5], s[4:5], exec
	s_and_b64 s[8:9], s[8:9], exec
	s_or_b64 s[4:5], s[4:5], s[8:9]
	s_or_b64 exec, exec, s[6:7]
	s_and_saveexec_b64 s[6:7], s[4:5]
	s_cbranch_execnz .LBB20_1983
	s_branch .LBB20_1984
.LBB20_4033:
	s_movk_i32 s4, 0x80
	v_cmp_eq_u16_sdwa s[12:13], v6, s4 src0_sel:BYTE_0 src1_sel:DWORD
	s_mov_b64 s[4:5], -1
                                        ; implicit-def: $sgpr10
	s_and_saveexec_b64 s[8:9], s[12:13]
; %bb.4034:
	s_mov_b32 s10, 0x7f800001
	s_xor_b64 s[4:5], exec, -1
; %bb.4035:
	s_or_b64 exec, exec, s[8:9]
	s_and_b64 s[4:5], s[4:5], exec
	s_or_saveexec_b64 s[6:7], s[6:7]
	v_mov_b32_e32 v0, s10
	s_xor_b64 exec, exec, s[6:7]
	s_cbranch_execz .LBB20_1986
.LBB20_4036:
	v_mov_b32_e32 v0, 0
	v_cmp_ne_u16_sdwa s[8:9], v6, v0 src0_sel:BYTE_0 src1_sel:DWORD
	s_andn2_b64 s[4:5], s[4:5], exec
	s_and_b64 s[8:9], s[8:9], exec
	s_or_b64 s[4:5], s[4:5], s[8:9]
	s_or_b64 exec, exec, s[6:7]
	s_and_saveexec_b64 s[6:7], s[4:5]
	s_cbranch_execnz .LBB20_1987
	s_branch .LBB20_1988
.LBB20_4037:
	s_movk_i32 s4, 0x80
	v_cmp_eq_u16_sdwa s[12:13], v2, s4 src0_sel:BYTE_0 src1_sel:DWORD
	s_mov_b64 s[4:5], -1
                                        ; implicit-def: $sgpr10
	s_and_saveexec_b64 s[8:9], s[12:13]
; %bb.4038:
	s_mov_b32 s10, 0x7f800001
	s_xor_b64 s[4:5], exec, -1
; %bb.4039:
	s_or_b64 exec, exec, s[8:9]
	s_and_b64 s[4:5], s[4:5], exec
	s_or_saveexec_b64 s[6:7], s[6:7]
	v_mov_b32_e32 v1, s10
	s_xor_b64 exec, exec, s[6:7]
	s_cbranch_execz .LBB20_1990
.LBB20_4040:
	v_mov_b32_e32 v1, 0
	v_cmp_ne_u16_sdwa s[8:9], v2, v1 src0_sel:BYTE_0 src1_sel:DWORD
	s_andn2_b64 s[4:5], s[4:5], exec
	s_and_b64 s[8:9], s[8:9], exec
	s_or_b64 s[4:5], s[4:5], s[8:9]
	s_or_b64 exec, exec, s[6:7]
	s_and_saveexec_b64 s[6:7], s[4:5]
	s_cbranch_execnz .LBB20_1991
	s_branch .LBB20_1992
.LBB20_4041:
	s_movk_i32 s4, 0x80
	v_cmp_eq_u16_sdwa s[12:13], v1, s4 src0_sel:BYTE_0 src1_sel:DWORD
	s_mov_b64 s[4:5], -1
                                        ; implicit-def: $sgpr10
	s_and_saveexec_b64 s[8:9], s[12:13]
; %bb.4042:
	s_mov_b32 s10, 0x7f800001
	s_xor_b64 s[4:5], exec, -1
; %bb.4043:
	s_or_b64 exec, exec, s[8:9]
	s_and_b64 s[4:5], s[4:5], exec
	s_or_saveexec_b64 s[6:7], s[6:7]
	v_mov_b32_e32 v0, s10
	s_xor_b64 exec, exec, s[6:7]
	s_cbranch_execz .LBB20_1994
.LBB20_4044:
	v_mov_b32_e32 v0, 0
	v_cmp_ne_u16_sdwa s[8:9], v1, v0 src0_sel:BYTE_0 src1_sel:DWORD
	s_andn2_b64 s[4:5], s[4:5], exec
	s_and_b64 s[8:9], s[8:9], exec
	s_or_b64 s[4:5], s[4:5], s[8:9]
	s_or_b64 exec, exec, s[6:7]
	s_and_saveexec_b64 s[6:7], s[4:5]
	s_cbranch_execnz .LBB20_1995
	s_branch .LBB20_1996
.LBB20_4045:
	s_movk_i32 s4, 0x80
	v_cmp_eq_u16_sdwa s[12:13], v1, s4 src0_sel:BYTE_0 src1_sel:DWORD
	s_mov_b64 s[4:5], -1
                                        ; implicit-def: $sgpr10
	s_and_saveexec_b64 s[8:9], s[12:13]
; %bb.4046:
	s_mov_b32 s10, 0x7f800001
	s_xor_b64 s[4:5], exec, -1
; %bb.4047:
	s_or_b64 exec, exec, s[8:9]
	s_and_b64 s[4:5], s[4:5], exec
	s_or_saveexec_b64 s[6:7], s[6:7]
	v_mov_b32_e32 v4, s10
	s_xor_b64 exec, exec, s[6:7]
	s_cbranch_execz .LBB20_1998
.LBB20_4048:
	v_mov_b32_e32 v4, 0
	v_cmp_ne_u16_sdwa s[8:9], v1, v4 src0_sel:BYTE_0 src1_sel:DWORD
	s_andn2_b64 s[4:5], s[4:5], exec
	s_and_b64 s[8:9], s[8:9], exec
	s_or_b64 s[4:5], s[4:5], s[8:9]
	s_or_b64 exec, exec, s[6:7]
	s_and_saveexec_b64 s[6:7], s[4:5]
	s_cbranch_execnz .LBB20_1999
	s_branch .LBB20_2000
.LBB20_4049:
	s_movk_i32 s4, 0x80
	v_cmp_eq_u16_e32 vcc, s4, v1
	s_mov_b64 s[4:5], -1
                                        ; implicit-def: $sgpr10
	s_and_saveexec_b64 s[8:9], vcc
; %bb.4050:
	s_mov_b32 s10, 0x7f800001
	s_xor_b64 s[4:5], exec, -1
; %bb.4051:
	s_or_b64 exec, exec, s[8:9]
	s_and_b64 s[4:5], s[4:5], exec
                                        ; implicit-def: $vgpr1
	s_or_saveexec_b64 s[6:7], s[6:7]
	v_mov_b32_e32 v0, s10
	s_xor_b64 exec, exec, s[6:7]
	s_cbranch_execz .LBB20_2002
.LBB20_4052:
	v_cmp_ne_u16_e32 vcc, 0, v1
	s_andn2_b64 s[4:5], s[4:5], exec
	s_and_b64 s[8:9], vcc, exec
	v_mov_b32_e32 v0, 0
	s_or_b64 s[4:5], s[4:5], s[8:9]
	s_or_b64 exec, exec, s[6:7]
	s_and_saveexec_b64 s[6:7], s[4:5]
	s_cbranch_execnz .LBB20_2003
	s_branch .LBB20_2004
.LBB20_4053:
	s_movk_i32 s4, 0x80
	v_cmp_eq_u16_e32 vcc, s4, v1
	s_mov_b64 s[4:5], -1
                                        ; implicit-def: $sgpr10
	s_and_saveexec_b64 s[8:9], vcc
; %bb.4054:
	s_mov_b32 s10, 0x7f800001
	s_xor_b64 s[4:5], exec, -1
; %bb.4055:
	s_or_b64 exec, exec, s[8:9]
	s_and_b64 s[4:5], s[4:5], exec
                                        ; implicit-def: $vgpr1
	s_or_saveexec_b64 s[6:7], s[6:7]
	v_mov_b32_e32 v4, s10
	s_xor_b64 exec, exec, s[6:7]
	s_cbranch_execz .LBB20_2006
.LBB20_4056:
	v_cmp_ne_u16_e32 vcc, 0, v1
	s_andn2_b64 s[4:5], s[4:5], exec
	s_and_b64 s[8:9], vcc, exec
	v_mov_b32_e32 v4, 0
	s_or_b64 s[4:5], s[4:5], s[8:9]
	s_or_b64 exec, exec, s[6:7]
	s_and_saveexec_b64 s[6:7], s[4:5]
	s_cbranch_execnz .LBB20_2007
	s_branch .LBB20_2008
.LBB20_4057:
	s_movk_i32 s4, 0x80
	v_cmp_eq_u16_sdwa s[12:13], v6, s4 src0_sel:BYTE_3 src1_sel:DWORD
	s_mov_b64 s[4:5], -1
                                        ; implicit-def: $sgpr10
	s_and_saveexec_b64 s[8:9], s[12:13]
; %bb.4058:
	s_mov_b32 s10, 0x7f800001
	s_xor_b64 s[4:5], exec, -1
; %bb.4059:
	s_or_b64 exec, exec, s[8:9]
	s_and_b64 s[4:5], s[4:5], exec
	s_or_saveexec_b64 s[6:7], s[6:7]
	v_mov_b32_e32 v0, s10
	s_xor_b64 exec, exec, s[6:7]
	s_cbranch_execz .LBB20_2010
.LBB20_4060:
	v_mov_b32_e32 v0, 0
	v_cmp_ne_u16_sdwa s[8:9], v6, v0 src0_sel:BYTE_3 src1_sel:DWORD
	s_andn2_b64 s[4:5], s[4:5], exec
	s_and_b64 s[8:9], s[8:9], exec
	s_or_b64 s[4:5], s[4:5], s[8:9]
	s_or_b64 exec, exec, s[6:7]
	s_and_saveexec_b64 s[6:7], s[4:5]
	s_cbranch_execnz .LBB20_2011
	s_branch .LBB20_2012
.LBB20_4061:
	s_movk_i32 s4, 0x80
	v_cmp_eq_u16_sdwa s[12:13], v2, s4 src0_sel:BYTE_3 src1_sel:DWORD
	s_mov_b64 s[4:5], -1
                                        ; implicit-def: $sgpr10
	s_and_saveexec_b64 s[8:9], s[12:13]
; %bb.4062:
	s_mov_b32 s10, 0x7f800001
	s_xor_b64 s[4:5], exec, -1
; %bb.4063:
	s_or_b64 exec, exec, s[8:9]
	s_and_b64 s[4:5], s[4:5], exec
	s_or_saveexec_b64 s[6:7], s[6:7]
	v_mov_b32_e32 v1, s10
	s_xor_b64 exec, exec, s[6:7]
	s_cbranch_execz .LBB20_2014
.LBB20_4064:
	v_mov_b32_e32 v1, 0
	v_cmp_ne_u16_sdwa s[8:9], v2, v1 src0_sel:BYTE_3 src1_sel:DWORD
	s_andn2_b64 s[4:5], s[4:5], exec
	s_and_b64 s[8:9], s[8:9], exec
	s_or_b64 s[4:5], s[4:5], s[8:9]
	s_or_b64 exec, exec, s[6:7]
	s_and_saveexec_b64 s[6:7], s[4:5]
	s_cbranch_execnz .LBB20_2015
	s_branch .LBB20_2016
.LBB20_4065:
	s_movk_i32 s4, 0x80
	v_cmp_eq_u16_sdwa s[12:13], v7, s4 src0_sel:BYTE_0 src1_sel:DWORD
	s_mov_b64 s[4:5], -1
                                        ; implicit-def: $sgpr10
	s_and_saveexec_b64 s[8:9], s[12:13]
; %bb.4066:
	s_mov_b32 s10, 0x7f800001
	s_xor_b64 s[4:5], exec, -1
; %bb.4067:
	s_or_b64 exec, exec, s[8:9]
	s_and_b64 s[4:5], s[4:5], exec
	s_or_saveexec_b64 s[6:7], s[6:7]
	v_mov_b32_e32 v0, s10
	s_xor_b64 exec, exec, s[6:7]
	s_cbranch_execz .LBB20_2018
.LBB20_4068:
	v_mov_b32_e32 v0, 0
	v_cmp_ne_u16_sdwa s[8:9], v7, v0 src0_sel:BYTE_0 src1_sel:DWORD
	s_andn2_b64 s[4:5], s[4:5], exec
	s_and_b64 s[8:9], s[8:9], exec
	s_or_b64 s[4:5], s[4:5], s[8:9]
	s_or_b64 exec, exec, s[6:7]
	s_and_saveexec_b64 s[6:7], s[4:5]
	s_cbranch_execnz .LBB20_2019
	s_branch .LBB20_2020
.LBB20_4069:
	s_movk_i32 s4, 0x80
	v_cmp_eq_u16_sdwa s[12:13], v3, s4 src0_sel:BYTE_0 src1_sel:DWORD
	s_mov_b64 s[4:5], -1
                                        ; implicit-def: $sgpr10
	s_and_saveexec_b64 s[8:9], s[12:13]
; %bb.4070:
	s_mov_b32 s10, 0x7f800001
	s_xor_b64 s[4:5], exec, -1
; %bb.4071:
	s_or_b64 exec, exec, s[8:9]
	s_and_b64 s[4:5], s[4:5], exec
	s_or_saveexec_b64 s[6:7], s[6:7]
	v_mov_b32_e32 v1, s10
	s_xor_b64 exec, exec, s[6:7]
	s_cbranch_execz .LBB20_2022
.LBB20_4072:
	v_mov_b32_e32 v1, 0
	v_cmp_ne_u16_sdwa s[8:9], v3, v1 src0_sel:BYTE_0 src1_sel:DWORD
	s_andn2_b64 s[4:5], s[4:5], exec
	s_and_b64 s[8:9], s[8:9], exec
	s_or_b64 s[4:5], s[4:5], s[8:9]
	s_or_b64 exec, exec, s[6:7]
	s_and_saveexec_b64 s[6:7], s[4:5]
	s_cbranch_execnz .LBB20_2023
	s_branch .LBB20_2024
.LBB20_4073:
	s_movk_i32 s4, 0x80
	v_cmp_eq_u16_sdwa s[12:13], v1, s4 src0_sel:BYTE_0 src1_sel:DWORD
	s_mov_b64 s[4:5], -1
                                        ; implicit-def: $sgpr10
	s_and_saveexec_b64 s[8:9], s[12:13]
; %bb.4074:
	s_mov_b32 s10, 0x7f800001
	s_xor_b64 s[4:5], exec, -1
; %bb.4075:
	s_or_b64 exec, exec, s[8:9]
	s_and_b64 s[4:5], s[4:5], exec
	s_or_saveexec_b64 s[6:7], s[6:7]
	v_mov_b32_e32 v0, s10
	s_xor_b64 exec, exec, s[6:7]
	s_cbranch_execz .LBB20_2026
.LBB20_4076:
	v_mov_b32_e32 v0, 0
	v_cmp_ne_u16_sdwa s[8:9], v1, v0 src0_sel:BYTE_0 src1_sel:DWORD
	s_andn2_b64 s[4:5], s[4:5], exec
	s_and_b64 s[8:9], s[8:9], exec
	s_or_b64 s[4:5], s[4:5], s[8:9]
	s_or_b64 exec, exec, s[6:7]
	s_and_saveexec_b64 s[6:7], s[4:5]
	s_cbranch_execnz .LBB20_2027
	s_branch .LBB20_2028
.LBB20_4077:
	s_movk_i32 s4, 0x80
	v_cmp_eq_u16_sdwa s[12:13], v1, s4 src0_sel:BYTE_0 src1_sel:DWORD
	s_mov_b64 s[4:5], -1
                                        ; implicit-def: $sgpr10
	s_and_saveexec_b64 s[8:9], s[12:13]
; %bb.4078:
	s_mov_b32 s10, 0x7f800001
	s_xor_b64 s[4:5], exec, -1
; %bb.4079:
	s_or_b64 exec, exec, s[8:9]
	s_and_b64 s[4:5], s[4:5], exec
	s_or_saveexec_b64 s[6:7], s[6:7]
	v_mov_b32_e32 v2, s10
	s_xor_b64 exec, exec, s[6:7]
	s_cbranch_execz .LBB20_2030
.LBB20_4080:
	v_mov_b32_e32 v2, 0
	v_cmp_ne_u16_sdwa s[8:9], v1, v2 src0_sel:BYTE_0 src1_sel:DWORD
	s_andn2_b64 s[4:5], s[4:5], exec
	s_and_b64 s[8:9], s[8:9], exec
	s_or_b64 s[4:5], s[4:5], s[8:9]
	s_or_b64 exec, exec, s[6:7]
	s_and_saveexec_b64 s[6:7], s[4:5]
	s_cbranch_execnz .LBB20_2031
	s_branch .LBB20_2032
.LBB20_4081:
	s_movk_i32 s4, 0x80
	v_cmp_eq_u16_e32 vcc, s4, v1
	s_mov_b64 s[4:5], -1
                                        ; implicit-def: $sgpr10
	s_and_saveexec_b64 s[8:9], vcc
; %bb.4082:
	s_mov_b32 s10, 0x7f800001
	s_xor_b64 s[4:5], exec, -1
; %bb.4083:
	s_or_b64 exec, exec, s[8:9]
	s_and_b64 s[4:5], s[4:5], exec
                                        ; implicit-def: $vgpr1
	s_or_saveexec_b64 s[6:7], s[6:7]
	v_mov_b32_e32 v0, s10
	s_xor_b64 exec, exec, s[6:7]
	s_cbranch_execz .LBB20_2034
.LBB20_4084:
	v_cmp_ne_u16_e32 vcc, 0, v1
	s_andn2_b64 s[4:5], s[4:5], exec
	s_and_b64 s[8:9], vcc, exec
	v_mov_b32_e32 v0, 0
	s_or_b64 s[4:5], s[4:5], s[8:9]
	s_or_b64 exec, exec, s[6:7]
	s_and_saveexec_b64 s[6:7], s[4:5]
	s_cbranch_execnz .LBB20_2035
	s_branch .LBB20_2036
.LBB20_4085:
	s_movk_i32 s4, 0x80
	v_cmp_eq_u16_e32 vcc, s4, v1
	s_mov_b64 s[4:5], -1
                                        ; implicit-def: $sgpr10
	s_and_saveexec_b64 s[8:9], vcc
; %bb.4086:
	s_mov_b32 s10, 0x7f800001
	s_xor_b64 s[4:5], exec, -1
; %bb.4087:
	s_or_b64 exec, exec, s[8:9]
	s_and_b64 s[4:5], s[4:5], exec
                                        ; implicit-def: $vgpr1
	s_or_saveexec_b64 s[6:7], s[6:7]
	v_mov_b32_e32 v2, s10
	s_xor_b64 exec, exec, s[6:7]
	s_cbranch_execz .LBB20_2038
.LBB20_4088:
	v_cmp_ne_u16_e32 vcc, 0, v1
	s_andn2_b64 s[4:5], s[4:5], exec
	s_and_b64 s[8:9], vcc, exec
	v_mov_b32_e32 v2, 0
	s_or_b64 s[4:5], s[4:5], s[8:9]
	s_or_b64 exec, exec, s[6:7]
	s_and_saveexec_b64 s[6:7], s[4:5]
	s_cbranch_execnz .LBB20_2039
	s_branch .LBB20_2040
.LBB20_4089:
	s_movk_i32 s4, 0x80
	v_cmp_eq_u16_sdwa s[12:13], v7, s4 src0_sel:BYTE_3 src1_sel:DWORD
	s_mov_b64 s[4:5], -1
                                        ; implicit-def: $sgpr10
	s_and_saveexec_b64 s[8:9], s[12:13]
; %bb.4090:
	s_mov_b32 s10, 0x7f800001
	s_xor_b64 s[4:5], exec, -1
; %bb.4091:
	s_or_b64 exec, exec, s[8:9]
	s_and_b64 s[4:5], s[4:5], exec
	s_or_saveexec_b64 s[6:7], s[6:7]
	v_mov_b32_e32 v0, s10
	s_xor_b64 exec, exec, s[6:7]
	s_cbranch_execz .LBB20_2042
.LBB20_4092:
	v_mov_b32_e32 v0, 0
	v_cmp_ne_u16_sdwa s[8:9], v7, v0 src0_sel:BYTE_3 src1_sel:DWORD
	s_andn2_b64 s[4:5], s[4:5], exec
	s_and_b64 s[8:9], s[8:9], exec
	s_or_b64 s[4:5], s[4:5], s[8:9]
	s_or_b64 exec, exec, s[6:7]
	s_and_saveexec_b64 s[6:7], s[4:5]
	s_cbranch_execnz .LBB20_2043
	s_branch .LBB20_2044
.LBB20_4093:
	s_movk_i32 s4, 0x80
	v_cmp_eq_u16_sdwa s[12:13], v3, s4 src0_sel:BYTE_3 src1_sel:DWORD
	s_mov_b64 s[4:5], -1
                                        ; implicit-def: $sgpr10
	s_and_saveexec_b64 s[8:9], s[12:13]
; %bb.4094:
	s_mov_b32 s10, 0x7f800001
	s_xor_b64 s[4:5], exec, -1
; %bb.4095:
	s_or_b64 exec, exec, s[8:9]
	s_and_b64 s[4:5], s[4:5], exec
	s_or_saveexec_b64 s[6:7], s[6:7]
	v_mov_b32_e32 v1, s10
	s_xor_b64 exec, exec, s[6:7]
	s_cbranch_execz .LBB20_2046
.LBB20_4096:
	v_mov_b32_e32 v1, 0
	v_cmp_ne_u16_sdwa s[8:9], v3, v1 src0_sel:BYTE_3 src1_sel:DWORD
	s_andn2_b64 s[4:5], s[4:5], exec
	s_and_b64 s[8:9], s[8:9], exec
	s_or_b64 s[4:5], s[4:5], s[8:9]
	s_or_b64 exec, exec, s[6:7]
	s_and_saveexec_b64 s[6:7], s[4:5]
	s_cbranch_execnz .LBB20_2047
	s_branch .LBB20_2048
.Lfunc_end20:
	.size	_ZNK2ck6detail7applierIiJLi0ELi1ELi2ELi3ELi4ELi5ELi6ELi7EEEclIZNKS_11static_fordINS_8SequenceIJLi1ELi8EEEENS5_IJLi0ELi1EEEEEclIZZNKS_52BlockwiseGemmXdlops_pipeline_bpreshuffle_bdequant_v3ILNS_26BlockGemmPipelineSchedulerE0ELi256ENS_9f8_fnuz_tENS_7pk_i4_tESC_fNS_16TensorDescriptorINS_5TupleIJNS_5EmbedINSF_IJNS_17integral_constantIiLi8EEENSH_IiLi256EEENSH_IiLi16EEEEEENSF_IJSK_NSH_IiLi128EEENSH_IiLi1EEEEEELb0EEENS_3XorINSF_IJSJ_SI_EEELb1EEENS_11PassThroughISK_EENS_7UnMergeINSF_IJSI_SN_EEELb0EEENST_ISJ_EESU_NST_ISI_EENS_21Merge_v3_division_modINSF_IJSJ_SN_EEEEESU_EEENSF_IJNS5_IJLi0EEEENS5_IJLi2ELi1EEEENS5_IJLi3EEEENS5_IJLi5EEEENS5_IJLi4EEEENS5_IJLi6EEEENS5_IJLi7EEEENS5_IJLi9ELi8EEEENS5_IJLi10EEEEEEENSF_IJNS5_IJLi1ELi2ELi3EEEENS5_IJLi4ELi5EEEES19_NS5_IJLi7ELi8EEEENS5_IJLi9EEEES1C_NS5_IJLi11EEEENS5_IJLi12EEEENS5_IJLi13EEEEEEENS5_IJLi11ELi12ELi13EEEENSH_IlLl32768EEEEENSE_INSF_IJNSV_INSF_IJSI_SN_SN_NSH_IiLi32EEEEEELb0EEEEEENSF_IJS14_EEENSF_IJNS5_IJLi1ELi2ELi3ELi4EEEEEEES1U_NSH_IlLl256EEEEENSE_INSF_IJSP_SS_SU_SX_SY_SU_SZ_S12_SU_NS10_INSF_IJSI_SK_EEEEENSV_INSF_IJSI_NSH_IiLi2EEESK_EEELb0EEEEEENSF_IJS14_S15_S16_S17_S18_S19_S1A_S1B_S1C_NS5_IJLi11ELi13EEEES1J_EEENSF_IJS1E_S1F_S19_S1G_S1H_S1C_S1I_S1J_S1K_NS5_IJLi14EEEENS5_IJLi15ELi16ELi17EEEEEEENS5_IJLi15ELi16ELi17ELi14EEEES1N_EENSE_INSF_IJS1R_NS10_ISW_EES22_EEENSF_IJS14_NS5_IJLi1ELi3EEEENS5_IJLi2EEEEEEENSF_IJS1U_S17_NS5_IJLi6ELi7ELi8EEEEEEENS5_IJLi6ELi7ELi8ELi5EEEES1W_EELi16ELi32ELi256ELi256ELi128ELi16ELi16ELi8ELi8ELi32ELb0EE3RunILb1ELNS_10TailNumberE0ENSE_INSF_IJNSG_INSF_IJiiEEENSF_IJiSN_EEELb0EEENSV_IS2N_Lb0EEENST_IiEEEEENSF_IJS14_S2E_NS5_IJLi1EEEEEEENSF_IJNS5_IJLi1ELi2EEEENS5_IJLi3ELi4EEEES17_EEENS5_IJLi3ELi5ELi4EEEElEES1O_NS_35ThreadGroupTensorSliceTransfer_v4r1INS_15ThisThreadBlockILi256EEENS_16tensor_operation12element_wise11PassThroughES35_LNS_25InMemoryDataOperationEnumE0ENS5_IJLi8ELi256ELi16EEEENS5_IJLi8ELi32ELi1EEEENS5_IJLi1ELi0ELi2EEEESC_SC_RKS2Z_KS1O_S39_NS5_IJLi0ELi1ELi2EEEELi2ELi2ELi16ELi16ELi1ELi1ELb0ELb1ELi2EiEENS_13DynamicBufferILNS_16AddressSpaceEnumE1EKSC_lLb1ELNS_22AmdBufferCoherenceEnumE0EiEENSF_IJNS3F_ILS3G_2ESC_S1N_Lb1ELS3I_0EiEES3K_EEENSF_IJiiiEEENSE_INSF_IJNSG_INSF_IJiiiiEEENSF_IJiiiSN_EEELb0EEEEEES1T_S1V_S1U_lEENS_32ThreadwiseTensorSliceTransfer_v2ISD_SD_RKS3R_KS1X_NS5_IJLi8ELi1ELi1ELi32EEEENS5_IJLi1ELi2ELi0ELi3EEEELi3ELi32ELi0ELb1ELb0ELb0EEENS3F_ILS3G_1EKSD_lLb1ELS3I_0EiEENSF_IJNS_12StaticBufferILS3G_4ESD_Li256ELb1EEES42_EEES3N_NS_25StaticBufferTupleOfVectorILS3G_4EfLi64ELi4ELb1ELb0EEEEEvRKT1_RKT2_RT3_RKT4_RT5_RKT6_RKT7_RT8_RKT9_RT10_RKT11_RT12_iENKUlT_E0_clIS20_EEDaS51_EUlS51_E_EEvS51_EUlS51_E_EEvS51_, .Lfunc_end20-_ZNK2ck6detail7applierIiJLi0ELi1ELi2ELi3ELi4ELi5ELi6ELi7EEEclIZNKS_11static_fordINS_8SequenceIJLi1ELi8EEEENS5_IJLi0ELi1EEEEEclIZZNKS_52BlockwiseGemmXdlops_pipeline_bpreshuffle_bdequant_v3ILNS_26BlockGemmPipelineSchedulerE0ELi256ENS_9f8_fnuz_tENS_7pk_i4_tESC_fNS_16TensorDescriptorINS_5TupleIJNS_5EmbedINSF_IJNS_17integral_constantIiLi8EEENSH_IiLi256EEENSH_IiLi16EEEEEENSF_IJSK_NSH_IiLi128EEENSH_IiLi1EEEEEELb0EEENS_3XorINSF_IJSJ_SI_EEELb1EEENS_11PassThroughISK_EENS_7UnMergeINSF_IJSI_SN_EEELb0EEENST_ISJ_EESU_NST_ISI_EENS_21Merge_v3_division_modINSF_IJSJ_SN_EEEEESU_EEENSF_IJNS5_IJLi0EEEENS5_IJLi2ELi1EEEENS5_IJLi3EEEENS5_IJLi5EEEENS5_IJLi4EEEENS5_IJLi6EEEENS5_IJLi7EEEENS5_IJLi9ELi8EEEENS5_IJLi10EEEEEEENSF_IJNS5_IJLi1ELi2ELi3EEEENS5_IJLi4ELi5EEEES19_NS5_IJLi7ELi8EEEENS5_IJLi9EEEES1C_NS5_IJLi11EEEENS5_IJLi12EEEENS5_IJLi13EEEEEEENS5_IJLi11ELi12ELi13EEEENSH_IlLl32768EEEEENSE_INSF_IJNSV_INSF_IJSI_SN_SN_NSH_IiLi32EEEEEELb0EEEEEENSF_IJS14_EEENSF_IJNS5_IJLi1ELi2ELi3ELi4EEEEEEES1U_NSH_IlLl256EEEEENSE_INSF_IJSP_SS_SU_SX_SY_SU_SZ_S12_SU_NS10_INSF_IJSI_SK_EEEEENSV_INSF_IJSI_NSH_IiLi2EEESK_EEELb0EEEEEENSF_IJS14_S15_S16_S17_S18_S19_S1A_S1B_S1C_NS5_IJLi11ELi13EEEES1J_EEENSF_IJS1E_S1F_S19_S1G_S1H_S1C_S1I_S1J_S1K_NS5_IJLi14EEEENS5_IJLi15ELi16ELi17EEEEEEENS5_IJLi15ELi16ELi17ELi14EEEES1N_EENSE_INSF_IJS1R_NS10_ISW_EES22_EEENSF_IJS14_NS5_IJLi1ELi3EEEENS5_IJLi2EEEEEEENSF_IJS1U_S17_NS5_IJLi6ELi7ELi8EEEEEEENS5_IJLi6ELi7ELi8ELi5EEEES1W_EELi16ELi32ELi256ELi256ELi128ELi16ELi16ELi8ELi8ELi32ELb0EE3RunILb1ELNS_10TailNumberE0ENSE_INSF_IJNSG_INSF_IJiiEEENSF_IJiSN_EEELb0EEENSV_IS2N_Lb0EEENST_IiEEEEENSF_IJS14_S2E_NS5_IJLi1EEEEEEENSF_IJNS5_IJLi1ELi2EEEENS5_IJLi3ELi4EEEES17_EEENS5_IJLi3ELi5ELi4EEEElEES1O_NS_35ThreadGroupTensorSliceTransfer_v4r1INS_15ThisThreadBlockILi256EEENS_16tensor_operation12element_wise11PassThroughES35_LNS_25InMemoryDataOperationEnumE0ENS5_IJLi8ELi256ELi16EEEENS5_IJLi8ELi32ELi1EEEENS5_IJLi1ELi0ELi2EEEESC_SC_RKS2Z_KS1O_S39_NS5_IJLi0ELi1ELi2EEEELi2ELi2ELi16ELi16ELi1ELi1ELb0ELb1ELi2EiEENS_13DynamicBufferILNS_16AddressSpaceEnumE1EKSC_lLb1ELNS_22AmdBufferCoherenceEnumE0EiEENSF_IJNS3F_ILS3G_2ESC_S1N_Lb1ELS3I_0EiEES3K_EEENSF_IJiiiEEENSE_INSF_IJNSG_INSF_IJiiiiEEENSF_IJiiiSN_EEELb0EEEEEES1T_S1V_S1U_lEENS_32ThreadwiseTensorSliceTransfer_v2ISD_SD_RKS3R_KS1X_NS5_IJLi8ELi1ELi1ELi32EEEENS5_IJLi1ELi2ELi0ELi3EEEELi3ELi32ELi0ELb1ELb0ELb0EEENS3F_ILS3G_1EKSD_lLb1ELS3I_0EiEENSF_IJNS_12StaticBufferILS3G_4ESD_Li256ELb1EEES42_EEES3N_NS_25StaticBufferTupleOfVectorILS3G_4EfLi64ELi4ELb1ELb0EEEEEvRKT1_RKT2_RT3_RKT4_RT5_RKT6_RKT7_RT8_RKT9_RT10_RKT11_RT12_iENKUlT_E0_clIS20_EEDaS51_EUlS51_E_EEvS51_EUlS51_E_EEvS51_
                                        ; -- End function
	.section	.AMDGPU.csdata,"",@progbits
; Function info:
; codeLenInByte = 133608
; NumSgprs: 36
; NumVgprs: 26
; NumAgprs: 4
; TotalNumVgprs: 32
; ScratchSize: 0
; MemoryBound: 1
	.text
	.p2align	2                               ; -- Begin function _ZNK2ck6detail7applierIiJLi0ELi1ELi2ELi3ELi4ELi5ELi6ELi7EEEclIZNKS_11static_fordINS_8SequenceIJLi1ELi8EEEENS5_IJLi0ELi1EEEEEclIZZNKS_52BlockwiseGemmXdlops_pipeline_bpreshuffle_bdequant_v3ILNS_26BlockGemmPipelineSchedulerE0ELi256ENS_9f8_fnuz_tENS_7pk_i4_tESC_fNS_16TensorDescriptorINS_5TupleIJNS_5EmbedINSF_IJNS_17integral_constantIiLi8EEENSH_IiLi256EEENSH_IiLi16EEEEEENSF_IJSK_NSH_IiLi128EEENSH_IiLi1EEEEEELb0EEENS_3XorINSF_IJSJ_SI_EEELb1EEENS_11PassThroughISK_EENS_7UnMergeINSF_IJSI_SN_EEELb0EEENST_ISJ_EESU_NST_ISI_EENS_21Merge_v3_division_modINSF_IJSJ_SN_EEEEESU_EEENSF_IJNS5_IJLi0EEEENS5_IJLi2ELi1EEEENS5_IJLi3EEEENS5_IJLi5EEEENS5_IJLi4EEEENS5_IJLi6EEEENS5_IJLi7EEEENS5_IJLi9ELi8EEEENS5_IJLi10EEEEEEENSF_IJNS5_IJLi1ELi2ELi3EEEENS5_IJLi4ELi5EEEES19_NS5_IJLi7ELi8EEEENS5_IJLi9EEEES1C_NS5_IJLi11EEEENS5_IJLi12EEEENS5_IJLi13EEEEEEENS5_IJLi11ELi12ELi13EEEENSH_IlLl32768EEEEENSE_INSF_IJNSV_INSF_IJSI_SN_SN_NSH_IiLi32EEEEEELb0EEEEEENSF_IJS14_EEENSF_IJNS5_IJLi1ELi2ELi3ELi4EEEEEEES1U_NSH_IlLl256EEEEENSE_INSF_IJSP_SS_SU_SX_SY_SU_SZ_S12_SU_NS10_INSF_IJSI_SK_EEEEENSV_INSF_IJSI_NSH_IiLi2EEESK_EEELb0EEEEEENSF_IJS14_S15_S16_S17_S18_S19_S1A_S1B_S1C_NS5_IJLi11ELi13EEEES1J_EEENSF_IJS1E_S1F_S19_S1G_S1H_S1C_S1I_S1J_S1K_NS5_IJLi14EEEENS5_IJLi15ELi16ELi17EEEEEEENS5_IJLi15ELi16ELi17ELi14EEEES1N_EENSE_INSF_IJS1R_NS10_ISW_EES22_EEENSF_IJS14_NS5_IJLi1ELi3EEEENS5_IJLi2EEEEEEENSF_IJS1U_S17_NS5_IJLi6ELi7ELi8EEEEEEENS5_IJLi6ELi7ELi8ELi5EEEES1W_EELi16ELi32ELi256ELi256ELi128ELi16ELi16ELi8ELi8ELi32ELb0EE3RunILb1ELNS_10TailNumberE0ENSE_INSF_IJNSG_INSF_IJiiEEENSF_IJiSN_EEELb0EEENSV_IS2N_Lb0EEENST_IiEEEEENSF_IJS14_S2E_NS5_IJLi1EEEEEEENSF_IJNS5_IJLi1ELi2EEEENS5_IJLi3ELi4EEEES17_EEENS5_IJLi3ELi5ELi4EEEElEES1O_NS_35ThreadGroupTensorSliceTransfer_v4r1INS_15ThisThreadBlockILi256EEENS_16tensor_operation12element_wise11PassThroughES35_LNS_25InMemoryDataOperationEnumE0ENS5_IJLi8ELi256ELi16EEEENS5_IJLi8ELi32ELi1EEEENS5_IJLi1ELi0ELi2EEEESC_SC_RKS2Z_KS1O_S39_NS5_IJLi0ELi1ELi2EEEELi2ELi2ELi16ELi16ELi1ELi1ELb0ELb1ELi2EiEENS_13DynamicBufferILNS_16AddressSpaceEnumE1EKSC_lLb1ELNS_22AmdBufferCoherenceEnumE0EiEENSF_IJNS3F_ILS3G_2ESC_S1N_Lb1ELS3I_0EiEES3K_EEENSF_IJiiiEEENSE_INSF_IJNSG_INSF_IJiiiiEEENSF_IJiiiSN_EEELb0EEEEEES1T_S1V_S1U_lEENS_32ThreadwiseTensorSliceTransfer_v2ISD_SD_RKS3R_KS1X_NS5_IJLi8ELi1ELi1ELi32EEEENS5_IJLi1ELi2ELi0ELi3EEEELi3ELi32ELi0ELb1ELb0ELb0EEENS3F_ILS3G_1EKSD_lLb1ELS3I_0EiEENSF_IJNS_12StaticBufferILS3G_4ESD_Li256ELb1EEES42_EEES3N_NS_25StaticBufferTupleOfVectorILS3G_4EfLi64ELi4ELb1ELb0EEEEEvRKT1_RKT2_RT3_RKT4_RT5_RKT6_RKT7_RT8_RKT9_RT10_RKT11_RT12_iENKUlT_E0_clINSH_IiLi3EEEEEDaS51_EUlS51_E_EEvS51_EUlS51_E_EEvS51_
	.type	_ZNK2ck6detail7applierIiJLi0ELi1ELi2ELi3ELi4ELi5ELi6ELi7EEEclIZNKS_11static_fordINS_8SequenceIJLi1ELi8EEEENS5_IJLi0ELi1EEEEEclIZZNKS_52BlockwiseGemmXdlops_pipeline_bpreshuffle_bdequant_v3ILNS_26BlockGemmPipelineSchedulerE0ELi256ENS_9f8_fnuz_tENS_7pk_i4_tESC_fNS_16TensorDescriptorINS_5TupleIJNS_5EmbedINSF_IJNS_17integral_constantIiLi8EEENSH_IiLi256EEENSH_IiLi16EEEEEENSF_IJSK_NSH_IiLi128EEENSH_IiLi1EEEEEELb0EEENS_3XorINSF_IJSJ_SI_EEELb1EEENS_11PassThroughISK_EENS_7UnMergeINSF_IJSI_SN_EEELb0EEENST_ISJ_EESU_NST_ISI_EENS_21Merge_v3_division_modINSF_IJSJ_SN_EEEEESU_EEENSF_IJNS5_IJLi0EEEENS5_IJLi2ELi1EEEENS5_IJLi3EEEENS5_IJLi5EEEENS5_IJLi4EEEENS5_IJLi6EEEENS5_IJLi7EEEENS5_IJLi9ELi8EEEENS5_IJLi10EEEEEEENSF_IJNS5_IJLi1ELi2ELi3EEEENS5_IJLi4ELi5EEEES19_NS5_IJLi7ELi8EEEENS5_IJLi9EEEES1C_NS5_IJLi11EEEENS5_IJLi12EEEENS5_IJLi13EEEEEEENS5_IJLi11ELi12ELi13EEEENSH_IlLl32768EEEEENSE_INSF_IJNSV_INSF_IJSI_SN_SN_NSH_IiLi32EEEEEELb0EEEEEENSF_IJS14_EEENSF_IJNS5_IJLi1ELi2ELi3ELi4EEEEEEES1U_NSH_IlLl256EEEEENSE_INSF_IJSP_SS_SU_SX_SY_SU_SZ_S12_SU_NS10_INSF_IJSI_SK_EEEEENSV_INSF_IJSI_NSH_IiLi2EEESK_EEELb0EEEEEENSF_IJS14_S15_S16_S17_S18_S19_S1A_S1B_S1C_NS5_IJLi11ELi13EEEES1J_EEENSF_IJS1E_S1F_S19_S1G_S1H_S1C_S1I_S1J_S1K_NS5_IJLi14EEEENS5_IJLi15ELi16ELi17EEEEEEENS5_IJLi15ELi16ELi17ELi14EEEES1N_EENSE_INSF_IJS1R_NS10_ISW_EES22_EEENSF_IJS14_NS5_IJLi1ELi3EEEENS5_IJLi2EEEEEEENSF_IJS1U_S17_NS5_IJLi6ELi7ELi8EEEEEEENS5_IJLi6ELi7ELi8ELi5EEEES1W_EELi16ELi32ELi256ELi256ELi128ELi16ELi16ELi8ELi8ELi32ELb0EE3RunILb1ELNS_10TailNumberE0ENSE_INSF_IJNSG_INSF_IJiiEEENSF_IJiSN_EEELb0EEENSV_IS2N_Lb0EEENST_IiEEEEENSF_IJS14_S2E_NS5_IJLi1EEEEEEENSF_IJNS5_IJLi1ELi2EEEENS5_IJLi3ELi4EEEES17_EEENS5_IJLi3ELi5ELi4EEEElEES1O_NS_35ThreadGroupTensorSliceTransfer_v4r1INS_15ThisThreadBlockILi256EEENS_16tensor_operation12element_wise11PassThroughES35_LNS_25InMemoryDataOperationEnumE0ENS5_IJLi8ELi256ELi16EEEENS5_IJLi8ELi32ELi1EEEENS5_IJLi1ELi0ELi2EEEESC_SC_RKS2Z_KS1O_S39_NS5_IJLi0ELi1ELi2EEEELi2ELi2ELi16ELi16ELi1ELi1ELb0ELb1ELi2EiEENS_13DynamicBufferILNS_16AddressSpaceEnumE1EKSC_lLb1ELNS_22AmdBufferCoherenceEnumE0EiEENSF_IJNS3F_ILS3G_2ESC_S1N_Lb1ELS3I_0EiEES3K_EEENSF_IJiiiEEENSE_INSF_IJNSG_INSF_IJiiiiEEENSF_IJiiiSN_EEELb0EEEEEES1T_S1V_S1U_lEENS_32ThreadwiseTensorSliceTransfer_v2ISD_SD_RKS3R_KS1X_NS5_IJLi8ELi1ELi1ELi32EEEENS5_IJLi1ELi2ELi0ELi3EEEELi3ELi32ELi0ELb1ELb0ELb0EEENS3F_ILS3G_1EKSD_lLb1ELS3I_0EiEENSF_IJNS_12StaticBufferILS3G_4ESD_Li256ELb1EEES42_EEES3N_NS_25StaticBufferTupleOfVectorILS3G_4EfLi64ELi4ELb1ELb0EEEEEvRKT1_RKT2_RT3_RKT4_RT5_RKT6_RKT7_RT8_RKT9_RT10_RKT11_RT12_iENKUlT_E0_clINSH_IiLi3EEEEEDaS51_EUlS51_E_EEvS51_EUlS51_E_EEvS51_,@function
_ZNK2ck6detail7applierIiJLi0ELi1ELi2ELi3ELi4ELi5ELi6ELi7EEEclIZNKS_11static_fordINS_8SequenceIJLi1ELi8EEEENS5_IJLi0ELi1EEEEEclIZZNKS_52BlockwiseGemmXdlops_pipeline_bpreshuffle_bdequant_v3ILNS_26BlockGemmPipelineSchedulerE0ELi256ENS_9f8_fnuz_tENS_7pk_i4_tESC_fNS_16TensorDescriptorINS_5TupleIJNS_5EmbedINSF_IJNS_17integral_constantIiLi8EEENSH_IiLi256EEENSH_IiLi16EEEEEENSF_IJSK_NSH_IiLi128EEENSH_IiLi1EEEEEELb0EEENS_3XorINSF_IJSJ_SI_EEELb1EEENS_11PassThroughISK_EENS_7UnMergeINSF_IJSI_SN_EEELb0EEENST_ISJ_EESU_NST_ISI_EENS_21Merge_v3_division_modINSF_IJSJ_SN_EEEEESU_EEENSF_IJNS5_IJLi0EEEENS5_IJLi2ELi1EEEENS5_IJLi3EEEENS5_IJLi5EEEENS5_IJLi4EEEENS5_IJLi6EEEENS5_IJLi7EEEENS5_IJLi9ELi8EEEENS5_IJLi10EEEEEEENSF_IJNS5_IJLi1ELi2ELi3EEEENS5_IJLi4ELi5EEEES19_NS5_IJLi7ELi8EEEENS5_IJLi9EEEES1C_NS5_IJLi11EEEENS5_IJLi12EEEENS5_IJLi13EEEEEEENS5_IJLi11ELi12ELi13EEEENSH_IlLl32768EEEEENSE_INSF_IJNSV_INSF_IJSI_SN_SN_NSH_IiLi32EEEEEELb0EEEEEENSF_IJS14_EEENSF_IJNS5_IJLi1ELi2ELi3ELi4EEEEEEES1U_NSH_IlLl256EEEEENSE_INSF_IJSP_SS_SU_SX_SY_SU_SZ_S12_SU_NS10_INSF_IJSI_SK_EEEEENSV_INSF_IJSI_NSH_IiLi2EEESK_EEELb0EEEEEENSF_IJS14_S15_S16_S17_S18_S19_S1A_S1B_S1C_NS5_IJLi11ELi13EEEES1J_EEENSF_IJS1E_S1F_S19_S1G_S1H_S1C_S1I_S1J_S1K_NS5_IJLi14EEEENS5_IJLi15ELi16ELi17EEEEEEENS5_IJLi15ELi16ELi17ELi14EEEES1N_EENSE_INSF_IJS1R_NS10_ISW_EES22_EEENSF_IJS14_NS5_IJLi1ELi3EEEENS5_IJLi2EEEEEEENSF_IJS1U_S17_NS5_IJLi6ELi7ELi8EEEEEEENS5_IJLi6ELi7ELi8ELi5EEEES1W_EELi16ELi32ELi256ELi256ELi128ELi16ELi16ELi8ELi8ELi32ELb0EE3RunILb1ELNS_10TailNumberE0ENSE_INSF_IJNSG_INSF_IJiiEEENSF_IJiSN_EEELb0EEENSV_IS2N_Lb0EEENST_IiEEEEENSF_IJS14_S2E_NS5_IJLi1EEEEEEENSF_IJNS5_IJLi1ELi2EEEENS5_IJLi3ELi4EEEES17_EEENS5_IJLi3ELi5ELi4EEEElEES1O_NS_35ThreadGroupTensorSliceTransfer_v4r1INS_15ThisThreadBlockILi256EEENS_16tensor_operation12element_wise11PassThroughES35_LNS_25InMemoryDataOperationEnumE0ENS5_IJLi8ELi256ELi16EEEENS5_IJLi8ELi32ELi1EEEENS5_IJLi1ELi0ELi2EEEESC_SC_RKS2Z_KS1O_S39_NS5_IJLi0ELi1ELi2EEEELi2ELi2ELi16ELi16ELi1ELi1ELb0ELb1ELi2EiEENS_13DynamicBufferILNS_16AddressSpaceEnumE1EKSC_lLb1ELNS_22AmdBufferCoherenceEnumE0EiEENSF_IJNS3F_ILS3G_2ESC_S1N_Lb1ELS3I_0EiEES3K_EEENSF_IJiiiEEENSE_INSF_IJNSG_INSF_IJiiiiEEENSF_IJiiiSN_EEELb0EEEEEES1T_S1V_S1U_lEENS_32ThreadwiseTensorSliceTransfer_v2ISD_SD_RKS3R_KS1X_NS5_IJLi8ELi1ELi1ELi32EEEENS5_IJLi1ELi2ELi0ELi3EEEELi3ELi32ELi0ELb1ELb0ELb0EEENS3F_ILS3G_1EKSD_lLb1ELS3I_0EiEENSF_IJNS_12StaticBufferILS3G_4ESD_Li256ELb1EEES42_EEES3N_NS_25StaticBufferTupleOfVectorILS3G_4EfLi64ELi4ELb1ELb0EEEEEvRKT1_RKT2_RT3_RKT4_RT5_RKT6_RKT7_RT8_RKT9_RT10_RKT11_RT12_iENKUlT_E0_clINSH_IiLi3EEEEEDaS51_EUlS51_E_EEvS51_EUlS51_E_EEvS51_: ; @_ZNK2ck6detail7applierIiJLi0ELi1ELi2ELi3ELi4ELi5ELi6ELi7EEEclIZNKS_11static_fordINS_8SequenceIJLi1ELi8EEEENS5_IJLi0ELi1EEEEEclIZZNKS_52BlockwiseGemmXdlops_pipeline_bpreshuffle_bdequant_v3ILNS_26BlockGemmPipelineSchedulerE0ELi256ENS_9f8_fnuz_tENS_7pk_i4_tESC_fNS_16TensorDescriptorINS_5TupleIJNS_5EmbedINSF_IJNS_17integral_constantIiLi8EEENSH_IiLi256EEENSH_IiLi16EEEEEENSF_IJSK_NSH_IiLi128EEENSH_IiLi1EEEEEELb0EEENS_3XorINSF_IJSJ_SI_EEELb1EEENS_11PassThroughISK_EENS_7UnMergeINSF_IJSI_SN_EEELb0EEENST_ISJ_EESU_NST_ISI_EENS_21Merge_v3_division_modINSF_IJSJ_SN_EEEEESU_EEENSF_IJNS5_IJLi0EEEENS5_IJLi2ELi1EEEENS5_IJLi3EEEENS5_IJLi5EEEENS5_IJLi4EEEENS5_IJLi6EEEENS5_IJLi7EEEENS5_IJLi9ELi8EEEENS5_IJLi10EEEEEEENSF_IJNS5_IJLi1ELi2ELi3EEEENS5_IJLi4ELi5EEEES19_NS5_IJLi7ELi8EEEENS5_IJLi9EEEES1C_NS5_IJLi11EEEENS5_IJLi12EEEENS5_IJLi13EEEEEEENS5_IJLi11ELi12ELi13EEEENSH_IlLl32768EEEEENSE_INSF_IJNSV_INSF_IJSI_SN_SN_NSH_IiLi32EEEEEELb0EEEEEENSF_IJS14_EEENSF_IJNS5_IJLi1ELi2ELi3ELi4EEEEEEES1U_NSH_IlLl256EEEEENSE_INSF_IJSP_SS_SU_SX_SY_SU_SZ_S12_SU_NS10_INSF_IJSI_SK_EEEEENSV_INSF_IJSI_NSH_IiLi2EEESK_EEELb0EEEEEENSF_IJS14_S15_S16_S17_S18_S19_S1A_S1B_S1C_NS5_IJLi11ELi13EEEES1J_EEENSF_IJS1E_S1F_S19_S1G_S1H_S1C_S1I_S1J_S1K_NS5_IJLi14EEEENS5_IJLi15ELi16ELi17EEEEEEENS5_IJLi15ELi16ELi17ELi14EEEES1N_EENSE_INSF_IJS1R_NS10_ISW_EES22_EEENSF_IJS14_NS5_IJLi1ELi3EEEENS5_IJLi2EEEEEEENSF_IJS1U_S17_NS5_IJLi6ELi7ELi8EEEEEEENS5_IJLi6ELi7ELi8ELi5EEEES1W_EELi16ELi32ELi256ELi256ELi128ELi16ELi16ELi8ELi8ELi32ELb0EE3RunILb1ELNS_10TailNumberE0ENSE_INSF_IJNSG_INSF_IJiiEEENSF_IJiSN_EEELb0EEENSV_IS2N_Lb0EEENST_IiEEEEENSF_IJS14_S2E_NS5_IJLi1EEEEEEENSF_IJNS5_IJLi1ELi2EEEENS5_IJLi3ELi4EEEES17_EEENS5_IJLi3ELi5ELi4EEEElEES1O_NS_35ThreadGroupTensorSliceTransfer_v4r1INS_15ThisThreadBlockILi256EEENS_16tensor_operation12element_wise11PassThroughES35_LNS_25InMemoryDataOperationEnumE0ENS5_IJLi8ELi256ELi16EEEENS5_IJLi8ELi32ELi1EEEENS5_IJLi1ELi0ELi2EEEESC_SC_RKS2Z_KS1O_S39_NS5_IJLi0ELi1ELi2EEEELi2ELi2ELi16ELi16ELi1ELi1ELb0ELb1ELi2EiEENS_13DynamicBufferILNS_16AddressSpaceEnumE1EKSC_lLb1ELNS_22AmdBufferCoherenceEnumE0EiEENSF_IJNS3F_ILS3G_2ESC_S1N_Lb1ELS3I_0EiEES3K_EEENSF_IJiiiEEENSE_INSF_IJNSG_INSF_IJiiiiEEENSF_IJiiiSN_EEELb0EEEEEES1T_S1V_S1U_lEENS_32ThreadwiseTensorSliceTransfer_v2ISD_SD_RKS3R_KS1X_NS5_IJLi8ELi1ELi1ELi32EEEENS5_IJLi1ELi2ELi0ELi3EEEELi3ELi32ELi0ELb1ELb0ELb0EEENS3F_ILS3G_1EKSD_lLb1ELS3I_0EiEENSF_IJNS_12StaticBufferILS3G_4ESD_Li256ELb1EEES42_EEES3N_NS_25StaticBufferTupleOfVectorILS3G_4EfLi64ELi4ELb1ELb0EEEEEvRKT1_RKT2_RT3_RKT4_RT5_RKT6_RKT7_RT8_RKT9_RT10_RKT11_RT12_iENKUlT_E0_clINSH_IiLi3EEEEEDaS51_EUlS51_E_EEvS51_EUlS51_E_EEvS51_
; %bb.0:
	s_waitcnt vmcnt(0) expcnt(0) lgkmcnt(0)
	flat_load_dwordx4 v[20:23], v[0:1] offset:8
	flat_load_dwordx2 v[18:19], v[0:1] offset:24
	s_movk_i32 s4, 0x7f
                                        ; implicit-def: $sgpr10
	s_waitcnt vmcnt(0) lgkmcnt(0)
	flat_load_dwordx4 v[14:17], v[20:21] offset:32
	flat_load_dwordx4 v[6:9], v[20:21] offset:48
	flat_load_dwordx4 v[10:13], v[22:23]
	flat_load_dwordx4 v[2:5], v[22:23] offset:16
	s_waitcnt vmcnt(0) lgkmcnt(0)
	v_cmp_gt_i16_sdwa s[6:7], v14, s4 src0_sel:BYTE_0 src1_sel:DWORD
	s_mov_b64 s[4:5], 0
	s_and_saveexec_b64 s[8:9], s[6:7]
	s_xor_b64 s[6:7], exec, s[8:9]
	s_cbranch_execnz .LBB21_2049
; %bb.1:
	s_or_saveexec_b64 s[6:7], s[6:7]
	v_mov_b32_e32 v20, s10
	s_xor_b64 exec, exec, s[6:7]
	s_cbranch_execnz .LBB21_2052
.LBB21_2:
	s_or_b64 exec, exec, s[6:7]
	s_and_saveexec_b64 s[6:7], s[4:5]
	s_cbranch_execz .LBB21_4
.LBB21_3:
	v_and_b32_e32 v20, 7, v14
	v_ffbh_u32_e32 v22, v20
	v_min_u32_e32 v22, 32, v22
	v_lshrrev_b16_e32 v21, 3, v14
	v_subrev_u32_e32 v23, 28, v22
	v_and_b32_e32 v21, 15, v21
	v_lshlrev_b32_e32 v23, v23, v14
	v_sub_u32_e32 v22, 29, v22
	v_and_b32_e32 v23, 7, v23
	v_cmp_eq_u16_e32 vcc, 0, v21
	v_cndmask_b32_e32 v20, v20, v23, vcc
	v_cndmask_b32_e32 v21, v21, v22, vcc
	v_lshlrev_b32_e32 v22, 24, v14
	v_mov_b32_e32 v23, 0x3b800000
	v_lshlrev_b32_e32 v20, 20, v20
	v_and_b32_e32 v22, 0x80000000, v22
	v_lshl_add_u32 v21, v21, 23, v23
	v_or3_b32 v20, v22, v21, v20
.LBB21_4:
	s_or_b64 exec, exec, s[6:7]
	s_movk_i32 s4, 0x7f
	v_cmp_gt_i16_sdwa s[6:7], v10, s4 src0_sel:BYTE_0 src1_sel:DWORD
	s_mov_b64 s[4:5], 0
                                        ; implicit-def: $sgpr10
	s_and_saveexec_b64 s[8:9], s[6:7]
	s_xor_b64 s[6:7], exec, s[8:9]
	s_cbranch_execnz .LBB21_2053
; %bb.5:
	s_or_saveexec_b64 s[6:7], s[6:7]
	v_mov_b32_e32 v21, s10
	s_xor_b64 exec, exec, s[6:7]
	s_cbranch_execnz .LBB21_2056
.LBB21_6:
	s_or_b64 exec, exec, s[6:7]
	s_and_saveexec_b64 s[6:7], s[4:5]
	s_cbranch_execz .LBB21_8
.LBB21_7:
	v_and_b32_e32 v21, 7, v10
	v_ffbh_u32_e32 v23, v21
	v_min_u32_e32 v23, 32, v23
	v_lshrrev_b16_e32 v22, 3, v10
	v_subrev_u32_e32 v24, 28, v23
	v_and_b32_e32 v22, 15, v22
	v_lshlrev_b32_e32 v24, v24, v10
	v_sub_u32_e32 v23, 29, v23
	v_and_b32_e32 v24, 7, v24
	v_cmp_eq_u16_e32 vcc, 0, v22
	v_cndmask_b32_e32 v21, v21, v24, vcc
	v_cndmask_b32_e32 v22, v22, v23, vcc
	v_lshlrev_b32_e32 v23, 24, v10
	v_mov_b32_e32 v24, 0x3b800000
	v_lshlrev_b32_e32 v21, 20, v21
	v_and_b32_e32 v23, 0x80000000, v23
	v_lshl_add_u32 v22, v22, 23, v24
	v_or3_b32 v21, v23, v22, v21
.LBB21_8:
	s_or_b64 exec, exec, s[6:7]
	flat_load_dwordx4 a[0:3], v[18:19] offset:384
	s_movk_i32 s4, 0x7f
                                        ; implicit-def: $sgpr10
	s_waitcnt vmcnt(0) lgkmcnt(0)
	v_mfma_f32_16x16x4f32 a[0:3], v20, v21, a[0:3]
	v_lshrrev_b32_e32 v21, 8, v14
	v_cmp_gt_i16_sdwa s[6:7], v21, s4 src0_sel:BYTE_0 src1_sel:DWORD
	s_mov_b64 s[4:5], 0
	s_and_saveexec_b64 s[8:9], s[6:7]
	s_xor_b64 s[6:7], exec, s[8:9]
	s_cbranch_execnz .LBB21_2057
; %bb.9:
	s_or_saveexec_b64 s[6:7], s[6:7]
	v_mov_b32_e32 v20, s10
	s_xor_b64 exec, exec, s[6:7]
	s_cbranch_execnz .LBB21_2060
.LBB21_10:
	s_or_b64 exec, exec, s[6:7]
	s_and_saveexec_b64 s[6:7], s[4:5]
	s_cbranch_execz .LBB21_12
.LBB21_11:
	v_bfe_u32 v20, v14, 8, 3
	v_ffbh_u32_e32 v23, v20
	v_min_u32_e32 v23, 32, v23
	v_lshrrev_b16_e32 v22, 3, v21
	v_subrev_u32_e32 v24, 28, v23
	v_and_b32_e32 v22, 15, v22
	v_lshlrev_b32_e32 v21, v24, v21
	v_sub_u32_e32 v23, 29, v23
	v_and_b32_e32 v21, 7, v21
	v_cmp_eq_u16_e32 vcc, 0, v22
	v_cndmask_b32_e32 v20, v20, v21, vcc
	v_cndmask_b32_e32 v21, v22, v23, vcc
	v_lshlrev_b32_e32 v22, 16, v14
	v_mov_b32_e32 v23, 0x3b800000
	v_lshlrev_b32_e32 v20, 20, v20
	v_and_b32_e32 v22, 0x80000000, v22
	v_lshl_add_u32 v21, v21, 23, v23
	v_or3_b32 v20, v22, v21, v20
.LBB21_12:
	s_or_b64 exec, exec, s[6:7]
	v_lshrrev_b32_e32 v21, 8, v10
	s_movk_i32 s4, 0x7f
	v_cmp_gt_i16_sdwa s[6:7], v21, s4 src0_sel:BYTE_0 src1_sel:DWORD
	s_mov_b64 s[4:5], 0
                                        ; implicit-def: $sgpr10
	s_and_saveexec_b64 s[8:9], s[6:7]
	s_xor_b64 s[6:7], exec, s[8:9]
	s_cbranch_execnz .LBB21_2061
; %bb.13:
	s_or_saveexec_b64 s[6:7], s[6:7]
	v_mov_b32_e32 v22, s10
	s_xor_b64 exec, exec, s[6:7]
	s_cbranch_execnz .LBB21_2064
.LBB21_14:
	s_or_b64 exec, exec, s[6:7]
	s_and_saveexec_b64 s[6:7], s[4:5]
	s_cbranch_execz .LBB21_16
.LBB21_15:
	v_bfe_u32 v22, v10, 8, 3
	v_ffbh_u32_e32 v24, v22
	v_min_u32_e32 v24, 32, v24
	v_lshrrev_b16_e32 v23, 3, v21
	v_subrev_u32_e32 v25, 28, v24
	v_and_b32_e32 v23, 15, v23
	v_lshlrev_b32_e32 v21, v25, v21
	v_sub_u32_e32 v24, 29, v24
	v_and_b32_e32 v21, 7, v21
	v_cmp_eq_u16_e32 vcc, 0, v23
	v_cndmask_b32_e32 v21, v22, v21, vcc
	v_cndmask_b32_e32 v22, v23, v24, vcc
	v_lshlrev_b32_e32 v23, 16, v10
	v_mov_b32_e32 v24, 0x3b800000
	v_lshlrev_b32_e32 v21, 20, v21
	v_and_b32_e32 v23, 0x80000000, v23
	v_lshl_add_u32 v22, v22, 23, v24
	v_or3_b32 v22, v23, v22, v21
.LBB21_16:
	s_or_b64 exec, exec, s[6:7]
	s_nop 0
	v_mfma_f32_16x16x4f32 a[0:3], v20, v22, a[0:3]
	s_movk_i32 s4, 0xff
	v_and_b32_sdwa v21, v14, s4 dst_sel:DWORD dst_unused:UNUSED_PAD src0_sel:WORD_1 src1_sel:DWORD
	s_movk_i32 s4, 0x7f
	v_cmp_lt_i16_e32 vcc, s4, v21
	s_mov_b64 s[4:5], 0
                                        ; implicit-def: $sgpr10
	s_and_saveexec_b64 s[6:7], vcc
	s_xor_b64 s[6:7], exec, s[6:7]
	s_cbranch_execnz .LBB21_2065
; %bb.17:
	s_or_saveexec_b64 s[6:7], s[6:7]
	v_mov_b32_e32 v20, s10
	s_xor_b64 exec, exec, s[6:7]
	s_cbranch_execnz .LBB21_2068
.LBB21_18:
	s_or_b64 exec, exec, s[6:7]
	s_and_saveexec_b64 s[6:7], s[4:5]
	s_cbranch_execz .LBB21_20
.LBB21_19:
	v_bfe_u32 v20, v14, 16, 3
	v_ffbh_u32_e32 v23, v20
	v_min_u32_e32 v23, 32, v23
	v_lshrrev_b32_e32 v21, 19, v14
	v_subrev_u32_e32 v24, 28, v23
	v_and_b32_e32 v21, 15, v21
	v_lshlrev_b32_sdwa v24, v24, v14 dst_sel:DWORD dst_unused:UNUSED_PAD src0_sel:DWORD src1_sel:WORD_1
	v_bfe_u32 v22, v14, 19, 4
	v_sub_u32_e32 v23, 29, v23
	v_and_b32_e32 v24, 7, v24
	v_cmp_eq_u16_e32 vcc, 0, v21
	v_cndmask_b32_e32 v20, v20, v24, vcc
	v_cndmask_b32_e32 v21, v22, v23, vcc
	v_lshlrev_b32_e32 v22, 8, v14
	v_mov_b32_e32 v23, 0x3b800000
	v_lshlrev_b32_e32 v20, 20, v20
	v_and_b32_e32 v22, 0x80000000, v22
	v_lshl_add_u32 v21, v21, 23, v23
	v_or3_b32 v20, v22, v21, v20
.LBB21_20:
	s_or_b64 exec, exec, s[6:7]
	s_movk_i32 s4, 0xff
	v_and_b32_sdwa v21, v10, s4 dst_sel:DWORD dst_unused:UNUSED_PAD src0_sel:WORD_1 src1_sel:DWORD
	s_movk_i32 s4, 0x7f
	v_cmp_lt_i16_e32 vcc, s4, v21
	s_mov_b64 s[4:5], 0
                                        ; implicit-def: $sgpr10
	s_and_saveexec_b64 s[6:7], vcc
	s_xor_b64 s[6:7], exec, s[6:7]
	s_cbranch_execnz .LBB21_2069
; %bb.21:
	s_or_saveexec_b64 s[6:7], s[6:7]
	v_mov_b32_e32 v22, s10
	s_xor_b64 exec, exec, s[6:7]
	s_cbranch_execnz .LBB21_2072
.LBB21_22:
	s_or_b64 exec, exec, s[6:7]
	s_and_saveexec_b64 s[6:7], s[4:5]
	s_cbranch_execz .LBB21_24
.LBB21_23:
	v_bfe_u32 v21, v10, 16, 3
	v_ffbh_u32_e32 v24, v21
	v_min_u32_e32 v24, 32, v24
	v_lshrrev_b32_e32 v22, 19, v10
	v_subrev_u32_e32 v25, 28, v24
	v_and_b32_e32 v22, 15, v22
	v_lshlrev_b32_sdwa v25, v25, v10 dst_sel:DWORD dst_unused:UNUSED_PAD src0_sel:DWORD src1_sel:WORD_1
	v_bfe_u32 v23, v10, 19, 4
	v_sub_u32_e32 v24, 29, v24
	v_and_b32_e32 v25, 7, v25
	v_cmp_eq_u16_e32 vcc, 0, v22
	v_cndmask_b32_e32 v21, v21, v25, vcc
	v_cndmask_b32_e32 v22, v23, v24, vcc
	v_lshlrev_b32_e32 v23, 8, v10
	v_mov_b32_e32 v24, 0x3b800000
	v_lshlrev_b32_e32 v21, 20, v21
	v_and_b32_e32 v23, 0x80000000, v23
	v_lshl_add_u32 v22, v22, 23, v24
	v_or3_b32 v22, v23, v22, v21
.LBB21_24:
	s_or_b64 exec, exec, s[6:7]
	s_nop 0
	v_mfma_f32_16x16x4f32 a[0:3], v20, v22, a[0:3]
	s_movk_i32 s4, 0x7f
	v_cmp_gt_i16_sdwa s[6:7], v14, s4 src0_sel:BYTE_3 src1_sel:DWORD
	s_mov_b64 s[4:5], 0
                                        ; implicit-def: $sgpr10
	s_and_saveexec_b64 s[8:9], s[6:7]
	s_xor_b64 s[6:7], exec, s[8:9]
	s_cbranch_execnz .LBB21_2073
; %bb.25:
	s_or_saveexec_b64 s[6:7], s[6:7]
	v_mov_b32_e32 v20, s10
	s_xor_b64 exec, exec, s[6:7]
	s_cbranch_execnz .LBB21_2076
.LBB21_26:
	s_or_b64 exec, exec, s[6:7]
	s_and_saveexec_b64 s[6:7], s[4:5]
	s_cbranch_execz .LBB21_28
.LBB21_27:
	v_bfe_u32 v20, v14, 24, 3
	v_ffbh_u32_e32 v24, v20
	v_min_u32_e32 v24, 32, v24
	v_lshrrev_b32_e32 v22, 27, v14
	v_subrev_u32_e32 v25, 28, v24
	v_and_b32_e32 v21, 0x80000000, v14
	v_and_b32_e32 v22, 15, v22
	v_bfe_u32 v23, v14, 27, 4
	v_lshlrev_b32_sdwa v14, v25, v14 dst_sel:DWORD dst_unused:UNUSED_PAD src0_sel:DWORD src1_sel:BYTE_3
	v_sub_u32_e32 v24, 29, v24
	v_and_b32_e32 v14, 7, v14
	v_cmp_eq_u16_e32 vcc, 0, v22
	v_cndmask_b32_e32 v14, v20, v14, vcc
	v_cndmask_b32_e32 v20, v23, v24, vcc
	v_mov_b32_e32 v22, 0x3b800000
	v_lshlrev_b32_e32 v14, 20, v14
	v_lshl_add_u32 v20, v20, 23, v22
	v_or3_b32 v20, v21, v20, v14
.LBB21_28:
	s_or_b64 exec, exec, s[6:7]
	s_movk_i32 s4, 0x7f
	v_cmp_gt_i16_sdwa s[6:7], v10, s4 src0_sel:BYTE_3 src1_sel:DWORD
	s_mov_b64 s[4:5], 0
                                        ; implicit-def: $sgpr10
	s_and_saveexec_b64 s[8:9], s[6:7]
	s_xor_b64 s[6:7], exec, s[8:9]
	s_cbranch_execnz .LBB21_2077
; %bb.29:
	s_or_saveexec_b64 s[6:7], s[6:7]
	v_mov_b32_e32 v14, s10
	s_xor_b64 exec, exec, s[6:7]
	s_cbranch_execnz .LBB21_2080
.LBB21_30:
	s_or_b64 exec, exec, s[6:7]
	s_and_saveexec_b64 s[6:7], s[4:5]
	s_cbranch_execz .LBB21_32
.LBB21_31:
	v_bfe_u32 v14, v10, 24, 3
	v_ffbh_u32_e32 v24, v14
	v_min_u32_e32 v24, 32, v24
	v_lshrrev_b32_e32 v22, 27, v10
	v_subrev_u32_e32 v25, 28, v24
	v_and_b32_e32 v21, 0x80000000, v10
	v_and_b32_e32 v22, 15, v22
	v_bfe_u32 v23, v10, 27, 4
	v_lshlrev_b32_sdwa v10, v25, v10 dst_sel:DWORD dst_unused:UNUSED_PAD src0_sel:DWORD src1_sel:BYTE_3
	v_sub_u32_e32 v24, 29, v24
	v_and_b32_e32 v10, 7, v10
	v_cmp_eq_u16_e32 vcc, 0, v22
	v_cndmask_b32_e32 v10, v14, v10, vcc
	v_cndmask_b32_e32 v14, v23, v24, vcc
	v_mov_b32_e32 v22, 0x3b800000
	v_lshlrev_b32_e32 v10, 20, v10
	v_lshl_add_u32 v14, v14, 23, v22
	v_or3_b32 v14, v21, v14, v10
.LBB21_32:
	s_or_b64 exec, exec, s[6:7]
	s_nop 0
	v_mfma_f32_16x16x4f32 a[0:3], v20, v14, a[0:3]
	s_movk_i32 s4, 0x7f
	v_cmp_gt_i16_sdwa s[6:7], v15, s4 src0_sel:BYTE_0 src1_sel:DWORD
	s_mov_b64 s[4:5], 0
                                        ; implicit-def: $sgpr10
	s_and_saveexec_b64 s[8:9], s[6:7]
	s_xor_b64 s[6:7], exec, s[8:9]
	s_cbranch_execnz .LBB21_2081
; %bb.33:
	s_or_saveexec_b64 s[6:7], s[6:7]
	v_mov_b32_e32 v10, s10
	s_xor_b64 exec, exec, s[6:7]
	s_cbranch_execnz .LBB21_2084
.LBB21_34:
	s_or_b64 exec, exec, s[6:7]
	s_and_saveexec_b64 s[6:7], s[4:5]
	s_cbranch_execz .LBB21_36
.LBB21_35:
	v_and_b32_e32 v10, 7, v15
	v_ffbh_u32_e32 v20, v10
	v_min_u32_e32 v20, 32, v20
	v_lshrrev_b16_e32 v14, 3, v15
	v_subrev_u32_e32 v21, 28, v20
	v_and_b32_e32 v14, 15, v14
	v_lshlrev_b32_e32 v21, v21, v15
	v_sub_u32_e32 v20, 29, v20
	v_and_b32_e32 v21, 7, v21
	v_cmp_eq_u16_e32 vcc, 0, v14
	v_cndmask_b32_e32 v10, v10, v21, vcc
	v_cndmask_b32_e32 v14, v14, v20, vcc
	v_lshlrev_b32_e32 v20, 24, v15
	v_mov_b32_e32 v21, 0x3b800000
	v_lshlrev_b32_e32 v10, 20, v10
	v_and_b32_e32 v20, 0x80000000, v20
	v_lshl_add_u32 v14, v14, 23, v21
	v_or3_b32 v10, v20, v14, v10
.LBB21_36:
	s_or_b64 exec, exec, s[6:7]
	s_movk_i32 s4, 0x7f
	v_cmp_gt_i16_sdwa s[6:7], v11, s4 src0_sel:BYTE_0 src1_sel:DWORD
	s_mov_b64 s[4:5], 0
                                        ; implicit-def: $sgpr10
	s_and_saveexec_b64 s[8:9], s[6:7]
	s_xor_b64 s[6:7], exec, s[8:9]
	s_cbranch_execnz .LBB21_2085
; %bb.37:
	s_or_saveexec_b64 s[6:7], s[6:7]
	v_mov_b32_e32 v14, s10
	s_xor_b64 exec, exec, s[6:7]
	s_cbranch_execnz .LBB21_2088
.LBB21_38:
	s_or_b64 exec, exec, s[6:7]
	s_and_saveexec_b64 s[6:7], s[4:5]
	s_cbranch_execz .LBB21_40
.LBB21_39:
	v_and_b32_e32 v14, 7, v11
	v_ffbh_u32_e32 v21, v14
	v_min_u32_e32 v21, 32, v21
	v_lshrrev_b16_e32 v20, 3, v11
	v_subrev_u32_e32 v22, 28, v21
	v_and_b32_e32 v20, 15, v20
	v_lshlrev_b32_e32 v22, v22, v11
	v_sub_u32_e32 v21, 29, v21
	v_and_b32_e32 v22, 7, v22
	v_cmp_eq_u16_e32 vcc, 0, v20
	v_cndmask_b32_e32 v14, v14, v22, vcc
	v_cndmask_b32_e32 v20, v20, v21, vcc
	v_lshlrev_b32_e32 v21, 24, v11
	v_mov_b32_e32 v22, 0x3b800000
	v_lshlrev_b32_e32 v14, 20, v14
	v_and_b32_e32 v21, 0x80000000, v21
	v_lshl_add_u32 v20, v20, 23, v22
	v_or3_b32 v14, v21, v20, v14
.LBB21_40:
	s_or_b64 exec, exec, s[6:7]
	s_nop 0
	v_mfma_f32_16x16x4f32 a[0:3], v10, v14, a[0:3]
	v_lshrrev_b32_e32 v14, 8, v15
	s_movk_i32 s4, 0x7f
	v_cmp_gt_i16_sdwa s[6:7], v14, s4 src0_sel:BYTE_0 src1_sel:DWORD
	s_mov_b64 s[4:5], 0
                                        ; implicit-def: $sgpr10
	s_and_saveexec_b64 s[8:9], s[6:7]
	s_xor_b64 s[6:7], exec, s[8:9]
	s_cbranch_execnz .LBB21_2089
; %bb.41:
	s_or_saveexec_b64 s[6:7], s[6:7]
	v_mov_b32_e32 v10, s10
	s_xor_b64 exec, exec, s[6:7]
	s_cbranch_execnz .LBB21_2092
.LBB21_42:
	s_or_b64 exec, exec, s[6:7]
	s_and_saveexec_b64 s[6:7], s[4:5]
	s_cbranch_execz .LBB21_44
.LBB21_43:
	v_bfe_u32 v10, v15, 8, 3
	v_ffbh_u32_e32 v21, v10
	v_min_u32_e32 v21, 32, v21
	v_lshrrev_b16_e32 v20, 3, v14
	v_subrev_u32_e32 v22, 28, v21
	v_and_b32_e32 v20, 15, v20
	v_lshlrev_b32_e32 v14, v22, v14
	v_sub_u32_e32 v21, 29, v21
	v_and_b32_e32 v14, 7, v14
	v_cmp_eq_u16_e32 vcc, 0, v20
	v_cndmask_b32_e32 v10, v10, v14, vcc
	v_cndmask_b32_e32 v14, v20, v21, vcc
	v_lshlrev_b32_e32 v20, 16, v15
	v_mov_b32_e32 v21, 0x3b800000
	v_lshlrev_b32_e32 v10, 20, v10
	v_and_b32_e32 v20, 0x80000000, v20
	v_lshl_add_u32 v14, v14, 23, v21
	v_or3_b32 v10, v20, v14, v10
.LBB21_44:
	s_or_b64 exec, exec, s[6:7]
	v_lshrrev_b32_e32 v14, 8, v11
	s_movk_i32 s4, 0x7f
	v_cmp_gt_i16_sdwa s[6:7], v14, s4 src0_sel:BYTE_0 src1_sel:DWORD
	s_mov_b64 s[4:5], 0
                                        ; implicit-def: $sgpr10
	s_and_saveexec_b64 s[8:9], s[6:7]
	s_xor_b64 s[6:7], exec, s[8:9]
	s_cbranch_execnz .LBB21_2093
; %bb.45:
	s_or_saveexec_b64 s[6:7], s[6:7]
	v_mov_b32_e32 v20, s10
	s_xor_b64 exec, exec, s[6:7]
	s_cbranch_execnz .LBB21_2096
.LBB21_46:
	s_or_b64 exec, exec, s[6:7]
	s_and_saveexec_b64 s[6:7], s[4:5]
	s_cbranch_execz .LBB21_48
.LBB21_47:
	v_bfe_u32 v20, v11, 8, 3
	v_ffbh_u32_e32 v22, v20
	v_min_u32_e32 v22, 32, v22
	v_lshrrev_b16_e32 v21, 3, v14
	v_subrev_u32_e32 v23, 28, v22
	v_and_b32_e32 v21, 15, v21
	v_lshlrev_b32_e32 v14, v23, v14
	v_sub_u32_e32 v22, 29, v22
	v_and_b32_e32 v14, 7, v14
	v_cmp_eq_u16_e32 vcc, 0, v21
	v_cndmask_b32_e32 v14, v20, v14, vcc
	v_cndmask_b32_e32 v20, v21, v22, vcc
	v_lshlrev_b32_e32 v21, 16, v11
	v_mov_b32_e32 v22, 0x3b800000
	v_lshlrev_b32_e32 v14, 20, v14
	v_and_b32_e32 v21, 0x80000000, v21
	v_lshl_add_u32 v20, v20, 23, v22
	v_or3_b32 v20, v21, v20, v14
.LBB21_48:
	s_or_b64 exec, exec, s[6:7]
	s_nop 0
	v_mfma_f32_16x16x4f32 a[0:3], v10, v20, a[0:3]
	s_movk_i32 s4, 0xff
	v_and_b32_sdwa v14, v15, s4 dst_sel:DWORD dst_unused:UNUSED_PAD src0_sel:WORD_1 src1_sel:DWORD
	s_movk_i32 s4, 0x7f
	v_cmp_lt_i16_e32 vcc, s4, v14
	s_mov_b64 s[4:5], 0
                                        ; implicit-def: $sgpr10
	s_and_saveexec_b64 s[6:7], vcc
	s_xor_b64 s[6:7], exec, s[6:7]
	s_cbranch_execnz .LBB21_2097
; %bb.49:
	s_or_saveexec_b64 s[6:7], s[6:7]
	v_mov_b32_e32 v10, s10
	s_xor_b64 exec, exec, s[6:7]
	s_cbranch_execnz .LBB21_2100
.LBB21_50:
	s_or_b64 exec, exec, s[6:7]
	s_and_saveexec_b64 s[6:7], s[4:5]
	s_cbranch_execz .LBB21_52
.LBB21_51:
	v_bfe_u32 v10, v15, 16, 3
	v_ffbh_u32_e32 v21, v10
	v_min_u32_e32 v21, 32, v21
	v_lshrrev_b32_e32 v14, 19, v15
	v_subrev_u32_e32 v22, 28, v21
	v_and_b32_e32 v14, 15, v14
	v_lshlrev_b32_sdwa v22, v22, v15 dst_sel:DWORD dst_unused:UNUSED_PAD src0_sel:DWORD src1_sel:WORD_1
	v_bfe_u32 v20, v15, 19, 4
	v_sub_u32_e32 v21, 29, v21
	v_and_b32_e32 v22, 7, v22
	v_cmp_eq_u16_e32 vcc, 0, v14
	v_cndmask_b32_e32 v10, v10, v22, vcc
	v_cndmask_b32_e32 v14, v20, v21, vcc
	v_lshlrev_b32_e32 v20, 8, v15
	v_mov_b32_e32 v21, 0x3b800000
	v_lshlrev_b32_e32 v10, 20, v10
	v_and_b32_e32 v20, 0x80000000, v20
	v_lshl_add_u32 v14, v14, 23, v21
	v_or3_b32 v10, v20, v14, v10
.LBB21_52:
	s_or_b64 exec, exec, s[6:7]
	s_movk_i32 s4, 0xff
	v_and_b32_sdwa v14, v11, s4 dst_sel:DWORD dst_unused:UNUSED_PAD src0_sel:WORD_1 src1_sel:DWORD
	s_movk_i32 s4, 0x7f
	v_cmp_lt_i16_e32 vcc, s4, v14
	s_mov_b64 s[4:5], 0
                                        ; implicit-def: $sgpr10
	s_and_saveexec_b64 s[6:7], vcc
	s_xor_b64 s[6:7], exec, s[6:7]
	s_cbranch_execnz .LBB21_2101
; %bb.53:
	s_or_saveexec_b64 s[6:7], s[6:7]
	v_mov_b32_e32 v20, s10
	s_xor_b64 exec, exec, s[6:7]
	s_cbranch_execnz .LBB21_2104
.LBB21_54:
	s_or_b64 exec, exec, s[6:7]
	s_and_saveexec_b64 s[6:7], s[4:5]
	s_cbranch_execz .LBB21_56
.LBB21_55:
	v_bfe_u32 v14, v11, 16, 3
	v_ffbh_u32_e32 v22, v14
	v_min_u32_e32 v22, 32, v22
	v_lshrrev_b32_e32 v20, 19, v11
	v_subrev_u32_e32 v23, 28, v22
	v_and_b32_e32 v20, 15, v20
	v_lshlrev_b32_sdwa v23, v23, v11 dst_sel:DWORD dst_unused:UNUSED_PAD src0_sel:DWORD src1_sel:WORD_1
	v_bfe_u32 v21, v11, 19, 4
	v_sub_u32_e32 v22, 29, v22
	v_and_b32_e32 v23, 7, v23
	v_cmp_eq_u16_e32 vcc, 0, v20
	v_cndmask_b32_e32 v14, v14, v23, vcc
	v_cndmask_b32_e32 v20, v21, v22, vcc
	v_lshlrev_b32_e32 v21, 8, v11
	v_mov_b32_e32 v22, 0x3b800000
	v_lshlrev_b32_e32 v14, 20, v14
	v_and_b32_e32 v21, 0x80000000, v21
	v_lshl_add_u32 v20, v20, 23, v22
	v_or3_b32 v20, v21, v20, v14
.LBB21_56:
	s_or_b64 exec, exec, s[6:7]
	s_nop 0
	v_mfma_f32_16x16x4f32 a[0:3], v10, v20, a[0:3]
	s_movk_i32 s4, 0x7f
	v_cmp_gt_i16_sdwa s[6:7], v15, s4 src0_sel:BYTE_3 src1_sel:DWORD
	s_mov_b64 s[4:5], 0
                                        ; implicit-def: $sgpr10
	s_and_saveexec_b64 s[8:9], s[6:7]
	s_xor_b64 s[6:7], exec, s[8:9]
	s_cbranch_execnz .LBB21_2105
; %bb.57:
	s_or_saveexec_b64 s[6:7], s[6:7]
	v_mov_b32_e32 v10, s10
	s_xor_b64 exec, exec, s[6:7]
	s_cbranch_execnz .LBB21_2108
.LBB21_58:
	s_or_b64 exec, exec, s[6:7]
	s_and_saveexec_b64 s[6:7], s[4:5]
	s_cbranch_execz .LBB21_60
.LBB21_59:
	v_bfe_u32 v10, v15, 24, 3
	v_ffbh_u32_e32 v22, v10
	v_min_u32_e32 v22, 32, v22
	v_lshrrev_b32_e32 v20, 27, v15
	v_subrev_u32_e32 v23, 28, v22
	v_and_b32_e32 v14, 0x80000000, v15
	v_and_b32_e32 v20, 15, v20
	v_bfe_u32 v21, v15, 27, 4
	v_lshlrev_b32_sdwa v15, v23, v15 dst_sel:DWORD dst_unused:UNUSED_PAD src0_sel:DWORD src1_sel:BYTE_3
	v_sub_u32_e32 v22, 29, v22
	v_and_b32_e32 v15, 7, v15
	v_cmp_eq_u16_e32 vcc, 0, v20
	v_cndmask_b32_e32 v10, v10, v15, vcc
	v_cndmask_b32_e32 v15, v21, v22, vcc
	v_mov_b32_e32 v20, 0x3b800000
	v_lshlrev_b32_e32 v10, 20, v10
	v_lshl_add_u32 v15, v15, 23, v20
	v_or3_b32 v10, v14, v15, v10
.LBB21_60:
	s_or_b64 exec, exec, s[6:7]
	s_movk_i32 s4, 0x7f
	v_cmp_gt_i16_sdwa s[6:7], v11, s4 src0_sel:BYTE_3 src1_sel:DWORD
	s_mov_b64 s[4:5], 0
                                        ; implicit-def: $sgpr10
	s_and_saveexec_b64 s[8:9], s[6:7]
	s_xor_b64 s[6:7], exec, s[8:9]
	s_cbranch_execnz .LBB21_2109
; %bb.61:
	s_or_saveexec_b64 s[6:7], s[6:7]
	v_mov_b32_e32 v14, s10
	s_xor_b64 exec, exec, s[6:7]
	s_cbranch_execnz .LBB21_2112
.LBB21_62:
	s_or_b64 exec, exec, s[6:7]
	s_and_saveexec_b64 s[6:7], s[4:5]
	s_cbranch_execz .LBB21_64
.LBB21_63:
	v_bfe_u32 v14, v11, 24, 3
	v_ffbh_u32_e32 v22, v14
	v_min_u32_e32 v22, 32, v22
	v_lshrrev_b32_e32 v20, 27, v11
	v_subrev_u32_e32 v23, 28, v22
	v_and_b32_e32 v15, 0x80000000, v11
	v_and_b32_e32 v20, 15, v20
	v_bfe_u32 v21, v11, 27, 4
	v_lshlrev_b32_sdwa v11, v23, v11 dst_sel:DWORD dst_unused:UNUSED_PAD src0_sel:DWORD src1_sel:BYTE_3
	v_sub_u32_e32 v22, 29, v22
	v_and_b32_e32 v11, 7, v11
	v_cmp_eq_u16_e32 vcc, 0, v20
	v_cndmask_b32_e32 v11, v14, v11, vcc
	v_cndmask_b32_e32 v14, v21, v22, vcc
	v_mov_b32_e32 v20, 0x3b800000
	v_lshlrev_b32_e32 v11, 20, v11
	v_lshl_add_u32 v14, v14, 23, v20
	v_or3_b32 v14, v15, v14, v11
.LBB21_64:
	s_or_b64 exec, exec, s[6:7]
	s_nop 0
	v_mfma_f32_16x16x4f32 a[0:3], v10, v14, a[0:3]
	s_movk_i32 s4, 0x7f
	v_cmp_gt_i16_sdwa s[6:7], v16, s4 src0_sel:BYTE_0 src1_sel:DWORD
	s_mov_b64 s[4:5], 0
                                        ; implicit-def: $sgpr10
	s_and_saveexec_b64 s[8:9], s[6:7]
	s_xor_b64 s[6:7], exec, s[8:9]
	s_cbranch_execnz .LBB21_2113
; %bb.65:
	s_or_saveexec_b64 s[6:7], s[6:7]
	v_mov_b32_e32 v10, s10
	s_xor_b64 exec, exec, s[6:7]
	s_cbranch_execnz .LBB21_2116
.LBB21_66:
	s_or_b64 exec, exec, s[6:7]
	s_and_saveexec_b64 s[6:7], s[4:5]
	s_cbranch_execz .LBB21_68
.LBB21_67:
	v_and_b32_e32 v10, 7, v16
	v_ffbh_u32_e32 v14, v10
	v_min_u32_e32 v14, 32, v14
	v_lshrrev_b16_e32 v11, 3, v16
	v_subrev_u32_e32 v15, 28, v14
	v_and_b32_e32 v11, 15, v11
	v_lshlrev_b32_e32 v15, v15, v16
	v_sub_u32_e32 v14, 29, v14
	v_and_b32_e32 v15, 7, v15
	v_cmp_eq_u16_e32 vcc, 0, v11
	v_cndmask_b32_e32 v10, v10, v15, vcc
	v_cndmask_b32_e32 v11, v11, v14, vcc
	v_lshlrev_b32_e32 v14, 24, v16
	v_mov_b32_e32 v15, 0x3b800000
	v_lshlrev_b32_e32 v10, 20, v10
	v_and_b32_e32 v14, 0x80000000, v14
	v_lshl_add_u32 v11, v11, 23, v15
	v_or3_b32 v10, v14, v11, v10
.LBB21_68:
	s_or_b64 exec, exec, s[6:7]
	s_movk_i32 s4, 0x7f
	v_cmp_gt_i16_sdwa s[6:7], v12, s4 src0_sel:BYTE_0 src1_sel:DWORD
	s_mov_b64 s[4:5], 0
                                        ; implicit-def: $sgpr10
	s_and_saveexec_b64 s[8:9], s[6:7]
	s_xor_b64 s[6:7], exec, s[8:9]
	s_cbranch_execnz .LBB21_2117
; %bb.69:
	s_or_saveexec_b64 s[6:7], s[6:7]
	v_mov_b32_e32 v11, s10
	s_xor_b64 exec, exec, s[6:7]
	s_cbranch_execnz .LBB21_2120
.LBB21_70:
	s_or_b64 exec, exec, s[6:7]
	s_and_saveexec_b64 s[6:7], s[4:5]
	s_cbranch_execz .LBB21_72
.LBB21_71:
	v_and_b32_e32 v11, 7, v12
	v_ffbh_u32_e32 v15, v11
	v_min_u32_e32 v15, 32, v15
	v_lshrrev_b16_e32 v14, 3, v12
	v_subrev_u32_e32 v20, 28, v15
	v_and_b32_e32 v14, 15, v14
	v_lshlrev_b32_e32 v20, v20, v12
	v_sub_u32_e32 v15, 29, v15
	v_and_b32_e32 v20, 7, v20
	v_cmp_eq_u16_e32 vcc, 0, v14
	v_cndmask_b32_e32 v11, v11, v20, vcc
	v_cndmask_b32_e32 v14, v14, v15, vcc
	v_lshlrev_b32_e32 v15, 24, v12
	v_mov_b32_e32 v20, 0x3b800000
	v_lshlrev_b32_e32 v11, 20, v11
	v_and_b32_e32 v15, 0x80000000, v15
	v_lshl_add_u32 v14, v14, 23, v20
	v_or3_b32 v11, v15, v14, v11
.LBB21_72:
	s_or_b64 exec, exec, s[6:7]
	s_nop 0
	v_mfma_f32_16x16x4f32 a[0:3], v10, v11, a[0:3]
	v_lshrrev_b32_e32 v11, 8, v16
	s_movk_i32 s4, 0x7f
	v_cmp_gt_i16_sdwa s[6:7], v11, s4 src0_sel:BYTE_0 src1_sel:DWORD
	s_mov_b64 s[4:5], 0
                                        ; implicit-def: $sgpr10
	s_and_saveexec_b64 s[8:9], s[6:7]
	s_xor_b64 s[6:7], exec, s[8:9]
	s_cbranch_execnz .LBB21_2121
; %bb.73:
	s_or_saveexec_b64 s[6:7], s[6:7]
	v_mov_b32_e32 v10, s10
	s_xor_b64 exec, exec, s[6:7]
	s_cbranch_execnz .LBB21_2124
.LBB21_74:
	s_or_b64 exec, exec, s[6:7]
	s_and_saveexec_b64 s[6:7], s[4:5]
	s_cbranch_execz .LBB21_76
.LBB21_75:
	v_bfe_u32 v10, v16, 8, 3
	v_ffbh_u32_e32 v15, v10
	v_min_u32_e32 v15, 32, v15
	v_lshrrev_b16_e32 v14, 3, v11
	v_subrev_u32_e32 v20, 28, v15
	v_and_b32_e32 v14, 15, v14
	v_lshlrev_b32_e32 v11, v20, v11
	v_sub_u32_e32 v15, 29, v15
	v_and_b32_e32 v11, 7, v11
	v_cmp_eq_u16_e32 vcc, 0, v14
	v_cndmask_b32_e32 v10, v10, v11, vcc
	v_cndmask_b32_e32 v11, v14, v15, vcc
	v_lshlrev_b32_e32 v14, 16, v16
	v_mov_b32_e32 v15, 0x3b800000
	v_lshlrev_b32_e32 v10, 20, v10
	v_and_b32_e32 v14, 0x80000000, v14
	v_lshl_add_u32 v11, v11, 23, v15
	v_or3_b32 v10, v14, v11, v10
.LBB21_76:
	s_or_b64 exec, exec, s[6:7]
	v_lshrrev_b32_e32 v11, 8, v12
	s_movk_i32 s4, 0x7f
	v_cmp_gt_i16_sdwa s[6:7], v11, s4 src0_sel:BYTE_0 src1_sel:DWORD
	s_mov_b64 s[4:5], 0
                                        ; implicit-def: $sgpr10
	s_and_saveexec_b64 s[8:9], s[6:7]
	s_xor_b64 s[6:7], exec, s[8:9]
	s_cbranch_execnz .LBB21_2125
; %bb.77:
	s_or_saveexec_b64 s[6:7], s[6:7]
	v_mov_b32_e32 v14, s10
	s_xor_b64 exec, exec, s[6:7]
	s_cbranch_execnz .LBB21_2128
.LBB21_78:
	s_or_b64 exec, exec, s[6:7]
	s_and_saveexec_b64 s[6:7], s[4:5]
	s_cbranch_execz .LBB21_80
.LBB21_79:
	v_bfe_u32 v14, v12, 8, 3
	v_ffbh_u32_e32 v20, v14
	v_min_u32_e32 v20, 32, v20
	v_lshrrev_b16_e32 v15, 3, v11
	v_subrev_u32_e32 v21, 28, v20
	v_and_b32_e32 v15, 15, v15
	v_lshlrev_b32_e32 v11, v21, v11
	v_sub_u32_e32 v20, 29, v20
	v_and_b32_e32 v11, 7, v11
	v_cmp_eq_u16_e32 vcc, 0, v15
	v_cndmask_b32_e32 v11, v14, v11, vcc
	v_cndmask_b32_e32 v14, v15, v20, vcc
	v_lshlrev_b32_e32 v15, 16, v12
	v_mov_b32_e32 v20, 0x3b800000
	v_lshlrev_b32_e32 v11, 20, v11
	v_and_b32_e32 v15, 0x80000000, v15
	v_lshl_add_u32 v14, v14, 23, v20
	v_or3_b32 v14, v15, v14, v11
.LBB21_80:
	s_or_b64 exec, exec, s[6:7]
	s_nop 0
	v_mfma_f32_16x16x4f32 a[0:3], v10, v14, a[0:3]
	s_movk_i32 s4, 0xff
	v_and_b32_sdwa v11, v16, s4 dst_sel:DWORD dst_unused:UNUSED_PAD src0_sel:WORD_1 src1_sel:DWORD
	s_movk_i32 s4, 0x7f
	v_cmp_lt_i16_e32 vcc, s4, v11
	s_mov_b64 s[4:5], 0
                                        ; implicit-def: $sgpr10
	s_and_saveexec_b64 s[6:7], vcc
	s_xor_b64 s[6:7], exec, s[6:7]
	s_cbranch_execnz .LBB21_2129
; %bb.81:
	s_or_saveexec_b64 s[6:7], s[6:7]
	v_mov_b32_e32 v10, s10
	s_xor_b64 exec, exec, s[6:7]
	s_cbranch_execnz .LBB21_2132
.LBB21_82:
	s_or_b64 exec, exec, s[6:7]
	s_and_saveexec_b64 s[6:7], s[4:5]
	s_cbranch_execz .LBB21_84
.LBB21_83:
	v_bfe_u32 v10, v16, 16, 3
	v_ffbh_u32_e32 v15, v10
	v_min_u32_e32 v15, 32, v15
	v_lshrrev_b32_e32 v11, 19, v16
	v_subrev_u32_e32 v20, 28, v15
	v_and_b32_e32 v11, 15, v11
	v_lshlrev_b32_sdwa v20, v20, v16 dst_sel:DWORD dst_unused:UNUSED_PAD src0_sel:DWORD src1_sel:WORD_1
	v_bfe_u32 v14, v16, 19, 4
	v_sub_u32_e32 v15, 29, v15
	v_and_b32_e32 v20, 7, v20
	v_cmp_eq_u16_e32 vcc, 0, v11
	v_cndmask_b32_e32 v10, v10, v20, vcc
	v_cndmask_b32_e32 v11, v14, v15, vcc
	v_lshlrev_b32_e32 v14, 8, v16
	v_mov_b32_e32 v15, 0x3b800000
	v_lshlrev_b32_e32 v10, 20, v10
	v_and_b32_e32 v14, 0x80000000, v14
	v_lshl_add_u32 v11, v11, 23, v15
	v_or3_b32 v10, v14, v11, v10
.LBB21_84:
	s_or_b64 exec, exec, s[6:7]
	s_movk_i32 s4, 0xff
	v_and_b32_sdwa v11, v12, s4 dst_sel:DWORD dst_unused:UNUSED_PAD src0_sel:WORD_1 src1_sel:DWORD
	s_movk_i32 s4, 0x7f
	v_cmp_lt_i16_e32 vcc, s4, v11
	s_mov_b64 s[4:5], 0
                                        ; implicit-def: $sgpr10
	s_and_saveexec_b64 s[6:7], vcc
	s_xor_b64 s[6:7], exec, s[6:7]
	s_cbranch_execnz .LBB21_2133
; %bb.85:
	s_or_saveexec_b64 s[6:7], s[6:7]
	v_mov_b32_e32 v14, s10
	s_xor_b64 exec, exec, s[6:7]
	s_cbranch_execnz .LBB21_2136
.LBB21_86:
	s_or_b64 exec, exec, s[6:7]
	s_and_saveexec_b64 s[6:7], s[4:5]
	s_cbranch_execz .LBB21_88
.LBB21_87:
	v_bfe_u32 v11, v12, 16, 3
	v_ffbh_u32_e32 v20, v11
	v_min_u32_e32 v20, 32, v20
	v_lshrrev_b32_e32 v14, 19, v12
	v_subrev_u32_e32 v21, 28, v20
	v_and_b32_e32 v14, 15, v14
	v_lshlrev_b32_sdwa v21, v21, v12 dst_sel:DWORD dst_unused:UNUSED_PAD src0_sel:DWORD src1_sel:WORD_1
	v_bfe_u32 v15, v12, 19, 4
	v_sub_u32_e32 v20, 29, v20
	v_and_b32_e32 v21, 7, v21
	v_cmp_eq_u16_e32 vcc, 0, v14
	v_cndmask_b32_e32 v11, v11, v21, vcc
	v_cndmask_b32_e32 v14, v15, v20, vcc
	v_lshlrev_b32_e32 v15, 8, v12
	v_mov_b32_e32 v20, 0x3b800000
	v_lshlrev_b32_e32 v11, 20, v11
	v_and_b32_e32 v15, 0x80000000, v15
	v_lshl_add_u32 v14, v14, 23, v20
	v_or3_b32 v14, v15, v14, v11
.LBB21_88:
	s_or_b64 exec, exec, s[6:7]
	s_nop 0
	v_mfma_f32_16x16x4f32 a[0:3], v10, v14, a[0:3]
	s_movk_i32 s4, 0x7f
	v_cmp_gt_i16_sdwa s[6:7], v16, s4 src0_sel:BYTE_3 src1_sel:DWORD
	s_mov_b64 s[4:5], 0
                                        ; implicit-def: $sgpr10
	s_and_saveexec_b64 s[8:9], s[6:7]
	s_xor_b64 s[6:7], exec, s[8:9]
	s_cbranch_execnz .LBB21_2137
; %bb.89:
	s_or_saveexec_b64 s[6:7], s[6:7]
	v_mov_b32_e32 v10, s10
	s_xor_b64 exec, exec, s[6:7]
	s_cbranch_execnz .LBB21_2140
.LBB21_90:
	s_or_b64 exec, exec, s[6:7]
	s_and_saveexec_b64 s[6:7], s[4:5]
	s_cbranch_execz .LBB21_92
.LBB21_91:
	v_bfe_u32 v10, v16, 24, 3
	v_ffbh_u32_e32 v20, v10
	v_min_u32_e32 v20, 32, v20
	v_lshrrev_b32_e32 v14, 27, v16
	v_subrev_u32_e32 v21, 28, v20
	v_and_b32_e32 v11, 0x80000000, v16
	v_and_b32_e32 v14, 15, v14
	v_bfe_u32 v15, v16, 27, 4
	v_lshlrev_b32_sdwa v16, v21, v16 dst_sel:DWORD dst_unused:UNUSED_PAD src0_sel:DWORD src1_sel:BYTE_3
	v_sub_u32_e32 v20, 29, v20
	v_and_b32_e32 v16, 7, v16
	v_cmp_eq_u16_e32 vcc, 0, v14
	v_cndmask_b32_e32 v10, v10, v16, vcc
	v_cndmask_b32_e32 v14, v15, v20, vcc
	v_mov_b32_e32 v15, 0x3b800000
	v_lshlrev_b32_e32 v10, 20, v10
	v_lshl_add_u32 v14, v14, 23, v15
	v_or3_b32 v10, v11, v14, v10
.LBB21_92:
	s_or_b64 exec, exec, s[6:7]
	s_movk_i32 s4, 0x7f
	v_cmp_gt_i16_sdwa s[6:7], v12, s4 src0_sel:BYTE_3 src1_sel:DWORD
	s_mov_b64 s[4:5], 0
                                        ; implicit-def: $sgpr10
	s_and_saveexec_b64 s[8:9], s[6:7]
	s_xor_b64 s[6:7], exec, s[8:9]
	s_cbranch_execnz .LBB21_2141
; %bb.93:
	s_or_saveexec_b64 s[6:7], s[6:7]
	v_mov_b32_e32 v11, s10
	s_xor_b64 exec, exec, s[6:7]
	s_cbranch_execnz .LBB21_2144
.LBB21_94:
	s_or_b64 exec, exec, s[6:7]
	s_and_saveexec_b64 s[6:7], s[4:5]
	s_cbranch_execz .LBB21_96
.LBB21_95:
	v_bfe_u32 v11, v12, 24, 3
	v_ffbh_u32_e32 v20, v11
	v_min_u32_e32 v20, 32, v20
	v_lshrrev_b32_e32 v15, 27, v12
	v_subrev_u32_e32 v21, 28, v20
	v_and_b32_e32 v14, 0x80000000, v12
	v_and_b32_e32 v15, 15, v15
	v_bfe_u32 v16, v12, 27, 4
	v_lshlrev_b32_sdwa v12, v21, v12 dst_sel:DWORD dst_unused:UNUSED_PAD src0_sel:DWORD src1_sel:BYTE_3
	v_sub_u32_e32 v20, 29, v20
	v_and_b32_e32 v12, 7, v12
	v_cmp_eq_u16_e32 vcc, 0, v15
	v_cndmask_b32_e32 v11, v11, v12, vcc
	v_cndmask_b32_e32 v12, v16, v20, vcc
	v_mov_b32_e32 v15, 0x3b800000
	v_lshlrev_b32_e32 v11, 20, v11
	v_lshl_add_u32 v12, v12, 23, v15
	v_or3_b32 v11, v14, v12, v11
.LBB21_96:
	s_or_b64 exec, exec, s[6:7]
	s_nop 0
	v_mfma_f32_16x16x4f32 a[0:3], v10, v11, a[0:3]
	s_movk_i32 s4, 0x7f
	v_cmp_gt_i16_sdwa s[6:7], v17, s4 src0_sel:BYTE_0 src1_sel:DWORD
	s_mov_b64 s[4:5], 0
                                        ; implicit-def: $sgpr10
	s_and_saveexec_b64 s[8:9], s[6:7]
	s_xor_b64 s[6:7], exec, s[8:9]
	s_cbranch_execnz .LBB21_2145
; %bb.97:
	s_or_saveexec_b64 s[6:7], s[6:7]
	v_mov_b32_e32 v10, s10
	s_xor_b64 exec, exec, s[6:7]
	s_cbranch_execnz .LBB21_2148
.LBB21_98:
	s_or_b64 exec, exec, s[6:7]
	s_and_saveexec_b64 s[6:7], s[4:5]
	s_cbranch_execz .LBB21_100
.LBB21_99:
	v_and_b32_e32 v10, 7, v17
	v_ffbh_u32_e32 v12, v10
	v_min_u32_e32 v12, 32, v12
	v_lshrrev_b16_e32 v11, 3, v17
	v_subrev_u32_e32 v14, 28, v12
	v_and_b32_e32 v11, 15, v11
	v_lshlrev_b32_e32 v14, v14, v17
	v_sub_u32_e32 v12, 29, v12
	v_and_b32_e32 v14, 7, v14
	v_cmp_eq_u16_e32 vcc, 0, v11
	v_cndmask_b32_e32 v10, v10, v14, vcc
	v_cndmask_b32_e32 v11, v11, v12, vcc
	v_lshlrev_b32_e32 v12, 24, v17
	v_mov_b32_e32 v14, 0x3b800000
	v_lshlrev_b32_e32 v10, 20, v10
	v_and_b32_e32 v12, 0x80000000, v12
	v_lshl_add_u32 v11, v11, 23, v14
	v_or3_b32 v10, v12, v11, v10
.LBB21_100:
	s_or_b64 exec, exec, s[6:7]
	s_movk_i32 s4, 0x7f
	v_cmp_gt_i16_sdwa s[6:7], v13, s4 src0_sel:BYTE_0 src1_sel:DWORD
	s_mov_b64 s[4:5], 0
                                        ; implicit-def: $sgpr10
	s_and_saveexec_b64 s[8:9], s[6:7]
	s_xor_b64 s[6:7], exec, s[8:9]
	s_cbranch_execnz .LBB21_2149
; %bb.101:
	s_or_saveexec_b64 s[6:7], s[6:7]
	v_mov_b32_e32 v11, s10
	s_xor_b64 exec, exec, s[6:7]
	s_cbranch_execnz .LBB21_2152
.LBB21_102:
	s_or_b64 exec, exec, s[6:7]
	s_and_saveexec_b64 s[6:7], s[4:5]
	s_cbranch_execz .LBB21_104
.LBB21_103:
	v_and_b32_e32 v11, 7, v13
	v_ffbh_u32_e32 v14, v11
	v_min_u32_e32 v14, 32, v14
	v_lshrrev_b16_e32 v12, 3, v13
	v_subrev_u32_e32 v15, 28, v14
	v_and_b32_e32 v12, 15, v12
	v_lshlrev_b32_e32 v15, v15, v13
	v_sub_u32_e32 v14, 29, v14
	v_and_b32_e32 v15, 7, v15
	v_cmp_eq_u16_e32 vcc, 0, v12
	v_cndmask_b32_e32 v11, v11, v15, vcc
	v_cndmask_b32_e32 v12, v12, v14, vcc
	v_lshlrev_b32_e32 v14, 24, v13
	v_mov_b32_e32 v15, 0x3b800000
	v_lshlrev_b32_e32 v11, 20, v11
	v_and_b32_e32 v14, 0x80000000, v14
	v_lshl_add_u32 v12, v12, 23, v15
	v_or3_b32 v11, v14, v12, v11
.LBB21_104:
	s_or_b64 exec, exec, s[6:7]
	s_nop 0
	v_mfma_f32_16x16x4f32 a[0:3], v10, v11, a[0:3]
	v_lshrrev_b32_e32 v11, 8, v17
	s_movk_i32 s4, 0x7f
	v_cmp_gt_i16_sdwa s[6:7], v11, s4 src0_sel:BYTE_0 src1_sel:DWORD
	s_mov_b64 s[4:5], 0
                                        ; implicit-def: $sgpr10
	s_and_saveexec_b64 s[8:9], s[6:7]
	s_xor_b64 s[6:7], exec, s[8:9]
	s_cbranch_execnz .LBB21_2153
; %bb.105:
	s_or_saveexec_b64 s[6:7], s[6:7]
	v_mov_b32_e32 v10, s10
	s_xor_b64 exec, exec, s[6:7]
	s_cbranch_execnz .LBB21_2156
.LBB21_106:
	s_or_b64 exec, exec, s[6:7]
	s_and_saveexec_b64 s[6:7], s[4:5]
	s_cbranch_execz .LBB21_108
.LBB21_107:
	v_bfe_u32 v10, v17, 8, 3
	v_ffbh_u32_e32 v14, v10
	v_min_u32_e32 v14, 32, v14
	v_lshrrev_b16_e32 v12, 3, v11
	v_subrev_u32_e32 v15, 28, v14
	v_and_b32_e32 v12, 15, v12
	v_lshlrev_b32_e32 v11, v15, v11
	v_sub_u32_e32 v14, 29, v14
	v_and_b32_e32 v11, 7, v11
	v_cmp_eq_u16_e32 vcc, 0, v12
	v_cndmask_b32_e32 v10, v10, v11, vcc
	v_cndmask_b32_e32 v11, v12, v14, vcc
	v_lshlrev_b32_e32 v12, 16, v17
	v_mov_b32_e32 v14, 0x3b800000
	v_lshlrev_b32_e32 v10, 20, v10
	v_and_b32_e32 v12, 0x80000000, v12
	v_lshl_add_u32 v11, v11, 23, v14
	v_or3_b32 v10, v12, v11, v10
.LBB21_108:
	s_or_b64 exec, exec, s[6:7]
	v_lshrrev_b32_e32 v11, 8, v13
	s_movk_i32 s4, 0x7f
	v_cmp_gt_i16_sdwa s[6:7], v11, s4 src0_sel:BYTE_0 src1_sel:DWORD
	s_mov_b64 s[4:5], 0
                                        ; implicit-def: $sgpr10
	s_and_saveexec_b64 s[8:9], s[6:7]
	s_xor_b64 s[6:7], exec, s[8:9]
	s_cbranch_execnz .LBB21_2157
; %bb.109:
	s_or_saveexec_b64 s[6:7], s[6:7]
	v_mov_b32_e32 v12, s10
	s_xor_b64 exec, exec, s[6:7]
	s_cbranch_execnz .LBB21_2160
.LBB21_110:
	s_or_b64 exec, exec, s[6:7]
	s_and_saveexec_b64 s[6:7], s[4:5]
	s_cbranch_execz .LBB21_112
.LBB21_111:
	v_bfe_u32 v12, v13, 8, 3
	v_ffbh_u32_e32 v15, v12
	v_min_u32_e32 v15, 32, v15
	v_lshrrev_b16_e32 v14, 3, v11
	v_subrev_u32_e32 v16, 28, v15
	v_and_b32_e32 v14, 15, v14
	v_lshlrev_b32_e32 v11, v16, v11
	v_sub_u32_e32 v15, 29, v15
	v_and_b32_e32 v11, 7, v11
	v_cmp_eq_u16_e32 vcc, 0, v14
	v_cndmask_b32_e32 v11, v12, v11, vcc
	v_cndmask_b32_e32 v12, v14, v15, vcc
	v_lshlrev_b32_e32 v14, 16, v13
	v_mov_b32_e32 v15, 0x3b800000
	v_lshlrev_b32_e32 v11, 20, v11
	v_and_b32_e32 v14, 0x80000000, v14
	v_lshl_add_u32 v12, v12, 23, v15
	v_or3_b32 v12, v14, v12, v11
.LBB21_112:
	s_or_b64 exec, exec, s[6:7]
	s_nop 0
	v_mfma_f32_16x16x4f32 a[0:3], v10, v12, a[0:3]
	s_movk_i32 s4, 0xff
	v_and_b32_sdwa v11, v17, s4 dst_sel:DWORD dst_unused:UNUSED_PAD src0_sel:WORD_1 src1_sel:DWORD
	s_movk_i32 s4, 0x7f
	v_cmp_lt_i16_e32 vcc, s4, v11
	s_mov_b64 s[4:5], 0
                                        ; implicit-def: $sgpr10
	s_and_saveexec_b64 s[6:7], vcc
	s_xor_b64 s[6:7], exec, s[6:7]
	s_cbranch_execnz .LBB21_2161
; %bb.113:
	s_or_saveexec_b64 s[6:7], s[6:7]
	v_mov_b32_e32 v10, s10
	s_xor_b64 exec, exec, s[6:7]
	s_cbranch_execnz .LBB21_2164
.LBB21_114:
	s_or_b64 exec, exec, s[6:7]
	s_and_saveexec_b64 s[6:7], s[4:5]
	s_cbranch_execz .LBB21_116
.LBB21_115:
	v_bfe_u32 v10, v17, 16, 3
	v_ffbh_u32_e32 v14, v10
	v_min_u32_e32 v14, 32, v14
	v_lshrrev_b32_e32 v11, 19, v17
	v_subrev_u32_e32 v15, 28, v14
	v_and_b32_e32 v11, 15, v11
	v_lshlrev_b32_sdwa v15, v15, v17 dst_sel:DWORD dst_unused:UNUSED_PAD src0_sel:DWORD src1_sel:WORD_1
	v_bfe_u32 v12, v17, 19, 4
	v_sub_u32_e32 v14, 29, v14
	v_and_b32_e32 v15, 7, v15
	v_cmp_eq_u16_e32 vcc, 0, v11
	v_cndmask_b32_e32 v10, v10, v15, vcc
	v_cndmask_b32_e32 v11, v12, v14, vcc
	v_lshlrev_b32_e32 v12, 8, v17
	v_mov_b32_e32 v14, 0x3b800000
	v_lshlrev_b32_e32 v10, 20, v10
	v_and_b32_e32 v12, 0x80000000, v12
	v_lshl_add_u32 v11, v11, 23, v14
	v_or3_b32 v10, v12, v11, v10
.LBB21_116:
	s_or_b64 exec, exec, s[6:7]
	s_movk_i32 s4, 0xff
	v_and_b32_sdwa v11, v13, s4 dst_sel:DWORD dst_unused:UNUSED_PAD src0_sel:WORD_1 src1_sel:DWORD
	s_movk_i32 s4, 0x7f
	v_cmp_lt_i16_e32 vcc, s4, v11
	s_mov_b64 s[4:5], 0
                                        ; implicit-def: $sgpr10
	s_and_saveexec_b64 s[6:7], vcc
	s_xor_b64 s[6:7], exec, s[6:7]
	s_cbranch_execnz .LBB21_2165
; %bb.117:
	s_or_saveexec_b64 s[6:7], s[6:7]
	v_mov_b32_e32 v12, s10
	s_xor_b64 exec, exec, s[6:7]
	s_cbranch_execnz .LBB21_2168
.LBB21_118:
	s_or_b64 exec, exec, s[6:7]
	s_and_saveexec_b64 s[6:7], s[4:5]
	s_cbranch_execz .LBB21_120
.LBB21_119:
	v_bfe_u32 v11, v13, 16, 3
	v_ffbh_u32_e32 v15, v11
	v_min_u32_e32 v15, 32, v15
	v_lshrrev_b32_e32 v12, 19, v13
	v_subrev_u32_e32 v16, 28, v15
	v_and_b32_e32 v12, 15, v12
	v_lshlrev_b32_sdwa v16, v16, v13 dst_sel:DWORD dst_unused:UNUSED_PAD src0_sel:DWORD src1_sel:WORD_1
	v_bfe_u32 v14, v13, 19, 4
	v_sub_u32_e32 v15, 29, v15
	v_and_b32_e32 v16, 7, v16
	v_cmp_eq_u16_e32 vcc, 0, v12
	v_cndmask_b32_e32 v11, v11, v16, vcc
	v_cndmask_b32_e32 v12, v14, v15, vcc
	v_lshlrev_b32_e32 v14, 8, v13
	v_mov_b32_e32 v15, 0x3b800000
	v_lshlrev_b32_e32 v11, 20, v11
	v_and_b32_e32 v14, 0x80000000, v14
	v_lshl_add_u32 v12, v12, 23, v15
	v_or3_b32 v12, v14, v12, v11
.LBB21_120:
	s_or_b64 exec, exec, s[6:7]
	s_nop 0
	v_mfma_f32_16x16x4f32 a[0:3], v10, v12, a[0:3]
	s_movk_i32 s4, 0x7f
	v_cmp_gt_i16_sdwa s[6:7], v17, s4 src0_sel:BYTE_3 src1_sel:DWORD
	s_mov_b64 s[4:5], 0
                                        ; implicit-def: $sgpr10
	s_and_saveexec_b64 s[8:9], s[6:7]
	s_xor_b64 s[6:7], exec, s[8:9]
	s_cbranch_execnz .LBB21_2169
; %bb.121:
	s_or_saveexec_b64 s[6:7], s[6:7]
	v_mov_b32_e32 v10, s10
	s_xor_b64 exec, exec, s[6:7]
	s_cbranch_execnz .LBB21_2172
.LBB21_122:
	s_or_b64 exec, exec, s[6:7]
	s_and_saveexec_b64 s[6:7], s[4:5]
	s_cbranch_execz .LBB21_124
.LBB21_123:
	v_bfe_u32 v10, v17, 24, 3
	v_ffbh_u32_e32 v15, v10
	v_min_u32_e32 v15, 32, v15
	v_lshrrev_b32_e32 v12, 27, v17
	v_subrev_u32_e32 v16, 28, v15
	v_and_b32_e32 v12, 15, v12
	v_lshlrev_b32_sdwa v16, v16, v17 dst_sel:DWORD dst_unused:UNUSED_PAD src0_sel:DWORD src1_sel:BYTE_3
	v_bfe_u32 v14, v17, 27, 4
	v_sub_u32_e32 v15, 29, v15
	v_and_b32_e32 v16, 7, v16
	v_cmp_eq_u16_e32 vcc, 0, v12
	v_cndmask_b32_e32 v10, v10, v16, vcc
	v_cndmask_b32_e32 v12, v14, v15, vcc
	v_mov_b32_e32 v14, 0x3b800000
	v_and_b32_e32 v11, 0x80000000, v17
	v_lshlrev_b32_e32 v10, 20, v10
	v_lshl_add_u32 v12, v12, 23, v14
	v_or3_b32 v10, v11, v12, v10
.LBB21_124:
	s_or_b64 exec, exec, s[6:7]
	s_movk_i32 s4, 0x7f
	v_cmp_gt_i16_sdwa s[6:7], v13, s4 src0_sel:BYTE_3 src1_sel:DWORD
	s_mov_b64 s[4:5], 0
                                        ; implicit-def: $sgpr10
	s_and_saveexec_b64 s[8:9], s[6:7]
	s_xor_b64 s[6:7], exec, s[8:9]
	s_cbranch_execnz .LBB21_2173
; %bb.125:
	s_or_saveexec_b64 s[6:7], s[6:7]
	v_mov_b32_e32 v11, s10
	s_xor_b64 exec, exec, s[6:7]
	s_cbranch_execnz .LBB21_2176
.LBB21_126:
	s_or_b64 exec, exec, s[6:7]
	s_and_saveexec_b64 s[6:7], s[4:5]
	s_cbranch_execz .LBB21_128
.LBB21_127:
	v_bfe_u32 v11, v13, 24, 3
	v_ffbh_u32_e32 v16, v11
	v_min_u32_e32 v16, 32, v16
	v_lshrrev_b32_e32 v14, 27, v13
	v_subrev_u32_e32 v17, 28, v16
	v_and_b32_e32 v12, 0x80000000, v13
	v_and_b32_e32 v14, 15, v14
	v_bfe_u32 v15, v13, 27, 4
	v_lshlrev_b32_sdwa v13, v17, v13 dst_sel:DWORD dst_unused:UNUSED_PAD src0_sel:DWORD src1_sel:BYTE_3
	v_sub_u32_e32 v16, 29, v16
	v_and_b32_e32 v13, 7, v13
	v_cmp_eq_u16_e32 vcc, 0, v14
	v_cndmask_b32_e32 v11, v11, v13, vcc
	v_cndmask_b32_e32 v13, v15, v16, vcc
	v_mov_b32_e32 v14, 0x3b800000
	v_lshlrev_b32_e32 v11, 20, v11
	v_lshl_add_u32 v13, v13, 23, v14
	v_or3_b32 v11, v12, v13, v11
.LBB21_128:
	s_or_b64 exec, exec, s[6:7]
	s_nop 0
	v_mfma_f32_16x16x4f32 a[0:3], v10, v11, a[0:3]
	s_movk_i32 s4, 0x7f
	v_cmp_gt_i16_sdwa s[6:7], v6, s4 src0_sel:BYTE_0 src1_sel:DWORD
	s_mov_b64 s[4:5], 0
                                        ; implicit-def: $sgpr10
	s_and_saveexec_b64 s[8:9], s[6:7]
	s_xor_b64 s[6:7], exec, s[8:9]
	s_cbranch_execnz .LBB21_2177
; %bb.129:
	s_or_saveexec_b64 s[6:7], s[6:7]
	v_mov_b32_e32 v10, s10
	s_xor_b64 exec, exec, s[6:7]
	s_cbranch_execnz .LBB21_2180
.LBB21_130:
	s_or_b64 exec, exec, s[6:7]
	s_and_saveexec_b64 s[6:7], s[4:5]
	s_cbranch_execz .LBB21_132
.LBB21_131:
	v_and_b32_e32 v10, 7, v6
	v_ffbh_u32_e32 v12, v10
	v_min_u32_e32 v12, 32, v12
	v_lshrrev_b16_e32 v11, 3, v6
	v_subrev_u32_e32 v13, 28, v12
	v_and_b32_e32 v11, 15, v11
	v_lshlrev_b32_e32 v13, v13, v6
	v_sub_u32_e32 v12, 29, v12
	v_and_b32_e32 v13, 7, v13
	v_cmp_eq_u16_e32 vcc, 0, v11
	v_cndmask_b32_e32 v10, v10, v13, vcc
	v_cndmask_b32_e32 v11, v11, v12, vcc
	v_lshlrev_b32_e32 v12, 24, v6
	v_mov_b32_e32 v13, 0x3b800000
	v_lshlrev_b32_e32 v10, 20, v10
	v_and_b32_e32 v12, 0x80000000, v12
	v_lshl_add_u32 v11, v11, 23, v13
	v_or3_b32 v10, v12, v11, v10
.LBB21_132:
	s_or_b64 exec, exec, s[6:7]
	s_movk_i32 s4, 0x7f
	v_cmp_gt_i16_sdwa s[6:7], v2, s4 src0_sel:BYTE_0 src1_sel:DWORD
	s_mov_b64 s[4:5], 0
                                        ; implicit-def: $sgpr10
	s_and_saveexec_b64 s[8:9], s[6:7]
	s_xor_b64 s[6:7], exec, s[8:9]
	s_cbranch_execnz .LBB21_2181
; %bb.133:
	s_or_saveexec_b64 s[6:7], s[6:7]
	v_mov_b32_e32 v11, s10
	s_xor_b64 exec, exec, s[6:7]
	s_cbranch_execnz .LBB21_2184
.LBB21_134:
	s_or_b64 exec, exec, s[6:7]
	s_and_saveexec_b64 s[6:7], s[4:5]
	s_cbranch_execz .LBB21_136
.LBB21_135:
	v_and_b32_e32 v11, 7, v2
	v_ffbh_u32_e32 v13, v11
	v_min_u32_e32 v13, 32, v13
	v_lshrrev_b16_e32 v12, 3, v2
	v_subrev_u32_e32 v14, 28, v13
	v_and_b32_e32 v12, 15, v12
	v_lshlrev_b32_e32 v14, v14, v2
	v_sub_u32_e32 v13, 29, v13
	v_and_b32_e32 v14, 7, v14
	v_cmp_eq_u16_e32 vcc, 0, v12
	v_cndmask_b32_e32 v11, v11, v14, vcc
	v_cndmask_b32_e32 v12, v12, v13, vcc
	v_lshlrev_b32_e32 v13, 24, v2
	v_mov_b32_e32 v14, 0x3b800000
	v_lshlrev_b32_e32 v11, 20, v11
	v_and_b32_e32 v13, 0x80000000, v13
	v_lshl_add_u32 v12, v12, 23, v14
	v_or3_b32 v11, v13, v12, v11
.LBB21_136:
	s_or_b64 exec, exec, s[6:7]
	s_nop 0
	v_mfma_f32_16x16x4f32 a[0:3], v10, v11, a[0:3]
	v_lshrrev_b32_e32 v11, 8, v6
	s_movk_i32 s4, 0x7f
	v_cmp_gt_i16_sdwa s[6:7], v11, s4 src0_sel:BYTE_0 src1_sel:DWORD
	s_mov_b64 s[4:5], 0
                                        ; implicit-def: $sgpr10
	s_and_saveexec_b64 s[8:9], s[6:7]
	s_xor_b64 s[6:7], exec, s[8:9]
	s_cbranch_execnz .LBB21_2185
; %bb.137:
	s_or_saveexec_b64 s[6:7], s[6:7]
	v_mov_b32_e32 v10, s10
	s_xor_b64 exec, exec, s[6:7]
	s_cbranch_execnz .LBB21_2188
.LBB21_138:
	s_or_b64 exec, exec, s[6:7]
	s_and_saveexec_b64 s[6:7], s[4:5]
	s_cbranch_execz .LBB21_140
.LBB21_139:
	v_bfe_u32 v10, v6, 8, 3
	v_ffbh_u32_e32 v13, v10
	v_min_u32_e32 v13, 32, v13
	v_lshrrev_b16_e32 v12, 3, v11
	v_subrev_u32_e32 v14, 28, v13
	v_and_b32_e32 v12, 15, v12
	v_lshlrev_b32_e32 v11, v14, v11
	v_sub_u32_e32 v13, 29, v13
	v_and_b32_e32 v11, 7, v11
	v_cmp_eq_u16_e32 vcc, 0, v12
	v_cndmask_b32_e32 v10, v10, v11, vcc
	v_cndmask_b32_e32 v11, v12, v13, vcc
	v_lshlrev_b32_e32 v12, 16, v6
	v_mov_b32_e32 v13, 0x3b800000
	v_lshlrev_b32_e32 v10, 20, v10
	v_and_b32_e32 v12, 0x80000000, v12
	v_lshl_add_u32 v11, v11, 23, v13
	v_or3_b32 v10, v12, v11, v10
.LBB21_140:
	s_or_b64 exec, exec, s[6:7]
	v_lshrrev_b32_e32 v11, 8, v2
	s_movk_i32 s4, 0x7f
	v_cmp_gt_i16_sdwa s[6:7], v11, s4 src0_sel:BYTE_0 src1_sel:DWORD
	s_mov_b64 s[4:5], 0
                                        ; implicit-def: $sgpr10
	s_and_saveexec_b64 s[8:9], s[6:7]
	s_xor_b64 s[6:7], exec, s[8:9]
	s_cbranch_execnz .LBB21_2189
; %bb.141:
	s_or_saveexec_b64 s[6:7], s[6:7]
	v_mov_b32_e32 v12, s10
	s_xor_b64 exec, exec, s[6:7]
	s_cbranch_execnz .LBB21_2192
.LBB21_142:
	s_or_b64 exec, exec, s[6:7]
	s_and_saveexec_b64 s[6:7], s[4:5]
	s_cbranch_execz .LBB21_144
.LBB21_143:
	v_bfe_u32 v12, v2, 8, 3
	v_ffbh_u32_e32 v14, v12
	v_min_u32_e32 v14, 32, v14
	v_lshrrev_b16_e32 v13, 3, v11
	v_subrev_u32_e32 v15, 28, v14
	v_and_b32_e32 v13, 15, v13
	v_lshlrev_b32_e32 v11, v15, v11
	v_sub_u32_e32 v14, 29, v14
	v_and_b32_e32 v11, 7, v11
	v_cmp_eq_u16_e32 vcc, 0, v13
	v_cndmask_b32_e32 v11, v12, v11, vcc
	v_cndmask_b32_e32 v12, v13, v14, vcc
	v_lshlrev_b32_e32 v13, 16, v2
	v_mov_b32_e32 v14, 0x3b800000
	v_lshlrev_b32_e32 v11, 20, v11
	v_and_b32_e32 v13, 0x80000000, v13
	v_lshl_add_u32 v12, v12, 23, v14
	v_or3_b32 v12, v13, v12, v11
.LBB21_144:
	s_or_b64 exec, exec, s[6:7]
	s_nop 0
	v_mfma_f32_16x16x4f32 a[0:3], v10, v12, a[0:3]
	s_movk_i32 s4, 0xff
	v_and_b32_sdwa v11, v6, s4 dst_sel:DWORD dst_unused:UNUSED_PAD src0_sel:WORD_1 src1_sel:DWORD
	s_movk_i32 s4, 0x7f
	v_cmp_lt_i16_e32 vcc, s4, v11
	s_mov_b64 s[4:5], 0
                                        ; implicit-def: $sgpr10
	s_and_saveexec_b64 s[6:7], vcc
	s_xor_b64 s[6:7], exec, s[6:7]
	s_cbranch_execnz .LBB21_2193
; %bb.145:
	s_or_saveexec_b64 s[6:7], s[6:7]
	v_mov_b32_e32 v10, s10
	s_xor_b64 exec, exec, s[6:7]
	s_cbranch_execnz .LBB21_2196
.LBB21_146:
	s_or_b64 exec, exec, s[6:7]
	s_and_saveexec_b64 s[6:7], s[4:5]
	s_cbranch_execz .LBB21_148
.LBB21_147:
	v_bfe_u32 v10, v6, 16, 3
	v_ffbh_u32_e32 v13, v10
	v_min_u32_e32 v13, 32, v13
	v_lshrrev_b32_e32 v11, 19, v6
	v_subrev_u32_e32 v14, 28, v13
	v_and_b32_e32 v11, 15, v11
	v_lshlrev_b32_sdwa v14, v14, v6 dst_sel:DWORD dst_unused:UNUSED_PAD src0_sel:DWORD src1_sel:WORD_1
	v_bfe_u32 v12, v6, 19, 4
	v_sub_u32_e32 v13, 29, v13
	v_and_b32_e32 v14, 7, v14
	v_cmp_eq_u16_e32 vcc, 0, v11
	v_cndmask_b32_e32 v10, v10, v14, vcc
	v_cndmask_b32_e32 v11, v12, v13, vcc
	v_lshlrev_b32_e32 v12, 8, v6
	v_mov_b32_e32 v13, 0x3b800000
	v_lshlrev_b32_e32 v10, 20, v10
	v_and_b32_e32 v12, 0x80000000, v12
	v_lshl_add_u32 v11, v11, 23, v13
	v_or3_b32 v10, v12, v11, v10
.LBB21_148:
	s_or_b64 exec, exec, s[6:7]
	s_movk_i32 s4, 0xff
	v_and_b32_sdwa v11, v2, s4 dst_sel:DWORD dst_unused:UNUSED_PAD src0_sel:WORD_1 src1_sel:DWORD
	s_movk_i32 s4, 0x7f
	v_cmp_lt_i16_e32 vcc, s4, v11
	s_mov_b64 s[4:5], 0
                                        ; implicit-def: $sgpr10
	s_and_saveexec_b64 s[6:7], vcc
	s_xor_b64 s[6:7], exec, s[6:7]
	s_cbranch_execnz .LBB21_2197
; %bb.149:
	s_or_saveexec_b64 s[6:7], s[6:7]
	v_mov_b32_e32 v12, s10
	s_xor_b64 exec, exec, s[6:7]
	s_cbranch_execnz .LBB21_2200
.LBB21_150:
	s_or_b64 exec, exec, s[6:7]
	s_and_saveexec_b64 s[6:7], s[4:5]
	s_cbranch_execz .LBB21_152
.LBB21_151:
	v_bfe_u32 v11, v2, 16, 3
	v_ffbh_u32_e32 v14, v11
	v_min_u32_e32 v14, 32, v14
	v_lshrrev_b32_e32 v12, 19, v2
	v_subrev_u32_e32 v15, 28, v14
	v_and_b32_e32 v12, 15, v12
	v_lshlrev_b32_sdwa v15, v15, v2 dst_sel:DWORD dst_unused:UNUSED_PAD src0_sel:DWORD src1_sel:WORD_1
	v_bfe_u32 v13, v2, 19, 4
	v_sub_u32_e32 v14, 29, v14
	v_and_b32_e32 v15, 7, v15
	v_cmp_eq_u16_e32 vcc, 0, v12
	v_cndmask_b32_e32 v11, v11, v15, vcc
	v_cndmask_b32_e32 v12, v13, v14, vcc
	v_lshlrev_b32_e32 v13, 8, v2
	v_mov_b32_e32 v14, 0x3b800000
	v_lshlrev_b32_e32 v11, 20, v11
	v_and_b32_e32 v13, 0x80000000, v13
	v_lshl_add_u32 v12, v12, 23, v14
	v_or3_b32 v12, v13, v12, v11
.LBB21_152:
	s_or_b64 exec, exec, s[6:7]
	s_nop 0
	v_mfma_f32_16x16x4f32 a[0:3], v10, v12, a[0:3]
	s_movk_i32 s4, 0x7f
	v_cmp_gt_i16_sdwa s[6:7], v6, s4 src0_sel:BYTE_3 src1_sel:DWORD
	s_mov_b64 s[4:5], 0
                                        ; implicit-def: $sgpr10
	s_and_saveexec_b64 s[8:9], s[6:7]
	s_xor_b64 s[6:7], exec, s[8:9]
	s_cbranch_execnz .LBB21_2201
; %bb.153:
	s_or_saveexec_b64 s[6:7], s[6:7]
	v_mov_b32_e32 v10, s10
	s_xor_b64 exec, exec, s[6:7]
	s_cbranch_execnz .LBB21_2204
.LBB21_154:
	s_or_b64 exec, exec, s[6:7]
	s_and_saveexec_b64 s[6:7], s[4:5]
	s_cbranch_execz .LBB21_156
.LBB21_155:
	v_bfe_u32 v10, v6, 24, 3
	v_ffbh_u32_e32 v14, v10
	v_min_u32_e32 v14, 32, v14
	v_lshrrev_b32_e32 v12, 27, v6
	v_subrev_u32_e32 v15, 28, v14
	v_and_b32_e32 v11, 0x80000000, v6
	v_and_b32_e32 v12, 15, v12
	v_bfe_u32 v13, v6, 27, 4
	v_lshlrev_b32_sdwa v6, v15, v6 dst_sel:DWORD dst_unused:UNUSED_PAD src0_sel:DWORD src1_sel:BYTE_3
	v_sub_u32_e32 v14, 29, v14
	v_and_b32_e32 v6, 7, v6
	v_cmp_eq_u16_e32 vcc, 0, v12
	v_cndmask_b32_e32 v6, v10, v6, vcc
	v_cndmask_b32_e32 v10, v13, v14, vcc
	v_mov_b32_e32 v12, 0x3b800000
	v_lshlrev_b32_e32 v6, 20, v6
	v_lshl_add_u32 v10, v10, 23, v12
	v_or3_b32 v10, v11, v10, v6
.LBB21_156:
	s_or_b64 exec, exec, s[6:7]
	s_movk_i32 s4, 0x7f
	v_cmp_gt_i16_sdwa s[6:7], v2, s4 src0_sel:BYTE_3 src1_sel:DWORD
	s_mov_b64 s[4:5], 0
                                        ; implicit-def: $sgpr10
	s_and_saveexec_b64 s[8:9], s[6:7]
	s_xor_b64 s[6:7], exec, s[8:9]
	s_cbranch_execnz .LBB21_2205
; %bb.157:
	s_or_saveexec_b64 s[6:7], s[6:7]
	v_mov_b32_e32 v6, s10
	s_xor_b64 exec, exec, s[6:7]
	s_cbranch_execnz .LBB21_2208
.LBB21_158:
	s_or_b64 exec, exec, s[6:7]
	s_and_saveexec_b64 s[6:7], s[4:5]
	s_cbranch_execz .LBB21_160
.LBB21_159:
	v_bfe_u32 v6, v2, 24, 3
	v_ffbh_u32_e32 v14, v6
	v_min_u32_e32 v14, 32, v14
	v_lshrrev_b32_e32 v12, 27, v2
	v_subrev_u32_e32 v15, 28, v14
	v_and_b32_e32 v11, 0x80000000, v2
	v_and_b32_e32 v12, 15, v12
	v_bfe_u32 v13, v2, 27, 4
	v_lshlrev_b32_sdwa v2, v15, v2 dst_sel:DWORD dst_unused:UNUSED_PAD src0_sel:DWORD src1_sel:BYTE_3
	v_sub_u32_e32 v14, 29, v14
	v_and_b32_e32 v2, 7, v2
	v_cmp_eq_u16_e32 vcc, 0, v12
	v_cndmask_b32_e32 v2, v6, v2, vcc
	v_cndmask_b32_e32 v6, v13, v14, vcc
	v_mov_b32_e32 v12, 0x3b800000
	v_lshlrev_b32_e32 v2, 20, v2
	v_lshl_add_u32 v6, v6, 23, v12
	v_or3_b32 v6, v11, v6, v2
.LBB21_160:
	s_or_b64 exec, exec, s[6:7]
	s_nop 0
	v_mfma_f32_16x16x4f32 a[0:3], v10, v6, a[0:3]
	s_movk_i32 s4, 0x7f
	v_cmp_gt_i16_sdwa s[6:7], v7, s4 src0_sel:BYTE_0 src1_sel:DWORD
	s_mov_b64 s[4:5], 0
                                        ; implicit-def: $sgpr10
	s_and_saveexec_b64 s[8:9], s[6:7]
	s_xor_b64 s[6:7], exec, s[8:9]
	s_cbranch_execnz .LBB21_2209
; %bb.161:
	s_or_saveexec_b64 s[6:7], s[6:7]
	v_mov_b32_e32 v2, s10
	s_xor_b64 exec, exec, s[6:7]
	s_cbranch_execnz .LBB21_2212
.LBB21_162:
	s_or_b64 exec, exec, s[6:7]
	s_and_saveexec_b64 s[6:7], s[4:5]
	s_cbranch_execz .LBB21_164
.LBB21_163:
	v_and_b32_e32 v2, 7, v7
	v_ffbh_u32_e32 v10, v2
	v_min_u32_e32 v10, 32, v10
	v_lshrrev_b16_e32 v6, 3, v7
	v_subrev_u32_e32 v11, 28, v10
	v_and_b32_e32 v6, 15, v6
	v_lshlrev_b32_e32 v11, v11, v7
	v_sub_u32_e32 v10, 29, v10
	v_and_b32_e32 v11, 7, v11
	v_cmp_eq_u16_e32 vcc, 0, v6
	v_cndmask_b32_e32 v2, v2, v11, vcc
	v_cndmask_b32_e32 v6, v6, v10, vcc
	v_lshlrev_b32_e32 v10, 24, v7
	v_mov_b32_e32 v11, 0x3b800000
	v_lshlrev_b32_e32 v2, 20, v2
	v_and_b32_e32 v10, 0x80000000, v10
	v_lshl_add_u32 v6, v6, 23, v11
	v_or3_b32 v2, v10, v6, v2
.LBB21_164:
	s_or_b64 exec, exec, s[6:7]
	s_movk_i32 s4, 0x7f
	v_cmp_gt_i16_sdwa s[6:7], v3, s4 src0_sel:BYTE_0 src1_sel:DWORD
	s_mov_b64 s[4:5], 0
                                        ; implicit-def: $sgpr10
	s_and_saveexec_b64 s[8:9], s[6:7]
	s_xor_b64 s[6:7], exec, s[8:9]
	s_cbranch_execnz .LBB21_2213
; %bb.165:
	s_or_saveexec_b64 s[6:7], s[6:7]
	v_mov_b32_e32 v6, s10
	s_xor_b64 exec, exec, s[6:7]
	s_cbranch_execnz .LBB21_2216
.LBB21_166:
	s_or_b64 exec, exec, s[6:7]
	s_and_saveexec_b64 s[6:7], s[4:5]
	s_cbranch_execz .LBB21_168
.LBB21_167:
	v_and_b32_e32 v6, 7, v3
	v_ffbh_u32_e32 v11, v6
	v_min_u32_e32 v11, 32, v11
	v_lshrrev_b16_e32 v10, 3, v3
	v_subrev_u32_e32 v12, 28, v11
	v_and_b32_e32 v10, 15, v10
	v_lshlrev_b32_e32 v12, v12, v3
	v_sub_u32_e32 v11, 29, v11
	v_and_b32_e32 v12, 7, v12
	v_cmp_eq_u16_e32 vcc, 0, v10
	v_cndmask_b32_e32 v6, v6, v12, vcc
	v_cndmask_b32_e32 v10, v10, v11, vcc
	v_lshlrev_b32_e32 v11, 24, v3
	v_mov_b32_e32 v12, 0x3b800000
	v_lshlrev_b32_e32 v6, 20, v6
	v_and_b32_e32 v11, 0x80000000, v11
	v_lshl_add_u32 v10, v10, 23, v12
	v_or3_b32 v6, v11, v10, v6
.LBB21_168:
	s_or_b64 exec, exec, s[6:7]
	s_nop 0
	v_mfma_f32_16x16x4f32 a[0:3], v2, v6, a[0:3]
	v_lshrrev_b32_e32 v6, 8, v7
	s_movk_i32 s4, 0x7f
	v_cmp_gt_i16_sdwa s[6:7], v6, s4 src0_sel:BYTE_0 src1_sel:DWORD
	s_mov_b64 s[4:5], 0
                                        ; implicit-def: $sgpr10
	s_and_saveexec_b64 s[8:9], s[6:7]
	s_xor_b64 s[6:7], exec, s[8:9]
	s_cbranch_execnz .LBB21_2217
; %bb.169:
	s_or_saveexec_b64 s[6:7], s[6:7]
	v_mov_b32_e32 v2, s10
	s_xor_b64 exec, exec, s[6:7]
	s_cbranch_execnz .LBB21_2220
.LBB21_170:
	s_or_b64 exec, exec, s[6:7]
	s_and_saveexec_b64 s[6:7], s[4:5]
	s_cbranch_execz .LBB21_172
.LBB21_171:
	v_bfe_u32 v2, v7, 8, 3
	v_ffbh_u32_e32 v11, v2
	v_min_u32_e32 v11, 32, v11
	v_lshrrev_b16_e32 v10, 3, v6
	v_subrev_u32_e32 v12, 28, v11
	v_and_b32_e32 v10, 15, v10
	v_lshlrev_b32_e32 v6, v12, v6
	v_sub_u32_e32 v11, 29, v11
	v_and_b32_e32 v6, 7, v6
	v_cmp_eq_u16_e32 vcc, 0, v10
	v_cndmask_b32_e32 v2, v2, v6, vcc
	v_cndmask_b32_e32 v6, v10, v11, vcc
	v_lshlrev_b32_e32 v10, 16, v7
	v_mov_b32_e32 v11, 0x3b800000
	v_lshlrev_b32_e32 v2, 20, v2
	v_and_b32_e32 v10, 0x80000000, v10
	v_lshl_add_u32 v6, v6, 23, v11
	v_or3_b32 v2, v10, v6, v2
.LBB21_172:
	s_or_b64 exec, exec, s[6:7]
	v_lshrrev_b32_e32 v6, 8, v3
	s_movk_i32 s4, 0x7f
	v_cmp_gt_i16_sdwa s[6:7], v6, s4 src0_sel:BYTE_0 src1_sel:DWORD
	s_mov_b64 s[4:5], 0
                                        ; implicit-def: $sgpr10
	s_and_saveexec_b64 s[8:9], s[6:7]
	s_xor_b64 s[6:7], exec, s[8:9]
	s_cbranch_execnz .LBB21_2221
; %bb.173:
	s_or_saveexec_b64 s[6:7], s[6:7]
	v_mov_b32_e32 v10, s10
	s_xor_b64 exec, exec, s[6:7]
	s_cbranch_execnz .LBB21_2224
.LBB21_174:
	s_or_b64 exec, exec, s[6:7]
	s_and_saveexec_b64 s[6:7], s[4:5]
	s_cbranch_execz .LBB21_176
.LBB21_175:
	v_bfe_u32 v10, v3, 8, 3
	v_ffbh_u32_e32 v12, v10
	v_min_u32_e32 v12, 32, v12
	v_lshrrev_b16_e32 v11, 3, v6
	v_subrev_u32_e32 v13, 28, v12
	v_and_b32_e32 v11, 15, v11
	v_lshlrev_b32_e32 v6, v13, v6
	v_sub_u32_e32 v12, 29, v12
	v_and_b32_e32 v6, 7, v6
	v_cmp_eq_u16_e32 vcc, 0, v11
	v_cndmask_b32_e32 v6, v10, v6, vcc
	v_cndmask_b32_e32 v10, v11, v12, vcc
	v_lshlrev_b32_e32 v11, 16, v3
	v_mov_b32_e32 v12, 0x3b800000
	v_lshlrev_b32_e32 v6, 20, v6
	v_and_b32_e32 v11, 0x80000000, v11
	v_lshl_add_u32 v10, v10, 23, v12
	v_or3_b32 v10, v11, v10, v6
.LBB21_176:
	s_or_b64 exec, exec, s[6:7]
	s_nop 0
	v_mfma_f32_16x16x4f32 a[0:3], v2, v10, a[0:3]
	s_movk_i32 s4, 0xff
	v_and_b32_sdwa v6, v7, s4 dst_sel:DWORD dst_unused:UNUSED_PAD src0_sel:WORD_1 src1_sel:DWORD
	s_movk_i32 s4, 0x7f
	v_cmp_lt_i16_e32 vcc, s4, v6
	s_mov_b64 s[4:5], 0
                                        ; implicit-def: $sgpr10
	s_and_saveexec_b64 s[6:7], vcc
	s_xor_b64 s[6:7], exec, s[6:7]
	s_cbranch_execnz .LBB21_2225
; %bb.177:
	s_or_saveexec_b64 s[6:7], s[6:7]
	v_mov_b32_e32 v2, s10
	s_xor_b64 exec, exec, s[6:7]
	s_cbranch_execnz .LBB21_2228
.LBB21_178:
	s_or_b64 exec, exec, s[6:7]
	s_and_saveexec_b64 s[6:7], s[4:5]
	s_cbranch_execz .LBB21_180
.LBB21_179:
	v_bfe_u32 v2, v7, 16, 3
	v_ffbh_u32_e32 v11, v2
	v_min_u32_e32 v11, 32, v11
	v_lshrrev_b32_e32 v6, 19, v7
	v_subrev_u32_e32 v12, 28, v11
	v_and_b32_e32 v6, 15, v6
	v_lshlrev_b32_sdwa v12, v12, v7 dst_sel:DWORD dst_unused:UNUSED_PAD src0_sel:DWORD src1_sel:WORD_1
	v_bfe_u32 v10, v7, 19, 4
	v_sub_u32_e32 v11, 29, v11
	v_and_b32_e32 v12, 7, v12
	v_cmp_eq_u16_e32 vcc, 0, v6
	v_cndmask_b32_e32 v2, v2, v12, vcc
	v_cndmask_b32_e32 v6, v10, v11, vcc
	v_lshlrev_b32_e32 v10, 8, v7
	v_mov_b32_e32 v11, 0x3b800000
	v_lshlrev_b32_e32 v2, 20, v2
	v_and_b32_e32 v10, 0x80000000, v10
	v_lshl_add_u32 v6, v6, 23, v11
	v_or3_b32 v2, v10, v6, v2
.LBB21_180:
	s_or_b64 exec, exec, s[6:7]
	s_movk_i32 s4, 0xff
	v_and_b32_sdwa v6, v3, s4 dst_sel:DWORD dst_unused:UNUSED_PAD src0_sel:WORD_1 src1_sel:DWORD
	s_movk_i32 s4, 0x7f
	v_cmp_lt_i16_e32 vcc, s4, v6
	s_mov_b64 s[4:5], 0
                                        ; implicit-def: $sgpr10
	s_and_saveexec_b64 s[6:7], vcc
	s_xor_b64 s[6:7], exec, s[6:7]
	s_cbranch_execnz .LBB21_2229
; %bb.181:
	s_or_saveexec_b64 s[6:7], s[6:7]
	v_mov_b32_e32 v10, s10
	s_xor_b64 exec, exec, s[6:7]
	s_cbranch_execnz .LBB21_2232
.LBB21_182:
	s_or_b64 exec, exec, s[6:7]
	s_and_saveexec_b64 s[6:7], s[4:5]
	s_cbranch_execz .LBB21_184
.LBB21_183:
	v_bfe_u32 v6, v3, 16, 3
	v_ffbh_u32_e32 v12, v6
	v_min_u32_e32 v12, 32, v12
	v_lshrrev_b32_e32 v10, 19, v3
	v_subrev_u32_e32 v13, 28, v12
	v_and_b32_e32 v10, 15, v10
	v_lshlrev_b32_sdwa v13, v13, v3 dst_sel:DWORD dst_unused:UNUSED_PAD src0_sel:DWORD src1_sel:WORD_1
	v_bfe_u32 v11, v3, 19, 4
	v_sub_u32_e32 v12, 29, v12
	v_and_b32_e32 v13, 7, v13
	v_cmp_eq_u16_e32 vcc, 0, v10
	v_cndmask_b32_e32 v6, v6, v13, vcc
	v_cndmask_b32_e32 v10, v11, v12, vcc
	v_lshlrev_b32_e32 v11, 8, v3
	v_mov_b32_e32 v12, 0x3b800000
	v_lshlrev_b32_e32 v6, 20, v6
	v_and_b32_e32 v11, 0x80000000, v11
	v_lshl_add_u32 v10, v10, 23, v12
	v_or3_b32 v10, v11, v10, v6
.LBB21_184:
	s_or_b64 exec, exec, s[6:7]
	s_nop 0
	v_mfma_f32_16x16x4f32 a[0:3], v2, v10, a[0:3]
	s_movk_i32 s4, 0x7f
	v_cmp_gt_i16_sdwa s[6:7], v7, s4 src0_sel:BYTE_3 src1_sel:DWORD
	s_mov_b64 s[4:5], 0
                                        ; implicit-def: $sgpr10
	s_and_saveexec_b64 s[8:9], s[6:7]
	s_xor_b64 s[6:7], exec, s[8:9]
	s_cbranch_execnz .LBB21_2233
; %bb.185:
	s_or_saveexec_b64 s[6:7], s[6:7]
	v_mov_b32_e32 v2, s10
	s_xor_b64 exec, exec, s[6:7]
	s_cbranch_execnz .LBB21_2236
.LBB21_186:
	s_or_b64 exec, exec, s[6:7]
	s_and_saveexec_b64 s[6:7], s[4:5]
	s_cbranch_execz .LBB21_188
.LBB21_187:
	v_bfe_u32 v2, v7, 24, 3
	v_ffbh_u32_e32 v12, v2
	v_min_u32_e32 v12, 32, v12
	v_lshrrev_b32_e32 v10, 27, v7
	v_subrev_u32_e32 v13, 28, v12
	v_and_b32_e32 v6, 0x80000000, v7
	v_and_b32_e32 v10, 15, v10
	v_bfe_u32 v11, v7, 27, 4
	v_lshlrev_b32_sdwa v7, v13, v7 dst_sel:DWORD dst_unused:UNUSED_PAD src0_sel:DWORD src1_sel:BYTE_3
	v_sub_u32_e32 v12, 29, v12
	v_and_b32_e32 v7, 7, v7
	v_cmp_eq_u16_e32 vcc, 0, v10
	v_cndmask_b32_e32 v2, v2, v7, vcc
	v_cndmask_b32_e32 v7, v11, v12, vcc
	v_mov_b32_e32 v10, 0x3b800000
	v_lshlrev_b32_e32 v2, 20, v2
	v_lshl_add_u32 v7, v7, 23, v10
	v_or3_b32 v2, v6, v7, v2
.LBB21_188:
	s_or_b64 exec, exec, s[6:7]
	s_movk_i32 s4, 0x7f
	v_cmp_gt_i16_sdwa s[6:7], v3, s4 src0_sel:BYTE_3 src1_sel:DWORD
	s_mov_b64 s[4:5], 0
                                        ; implicit-def: $sgpr10
	s_and_saveexec_b64 s[8:9], s[6:7]
	s_xor_b64 s[6:7], exec, s[8:9]
	s_cbranch_execnz .LBB21_2237
; %bb.189:
	s_or_saveexec_b64 s[6:7], s[6:7]
	v_mov_b32_e32 v6, s10
	s_xor_b64 exec, exec, s[6:7]
	s_cbranch_execnz .LBB21_2240
.LBB21_190:
	s_or_b64 exec, exec, s[6:7]
	s_and_saveexec_b64 s[6:7], s[4:5]
	s_cbranch_execz .LBB21_192
.LBB21_191:
	v_bfe_u32 v6, v3, 24, 3
	v_ffbh_u32_e32 v12, v6
	v_min_u32_e32 v12, 32, v12
	v_lshrrev_b32_e32 v10, 27, v3
	v_subrev_u32_e32 v13, 28, v12
	v_and_b32_e32 v7, 0x80000000, v3
	v_and_b32_e32 v10, 15, v10
	v_bfe_u32 v11, v3, 27, 4
	v_lshlrev_b32_sdwa v3, v13, v3 dst_sel:DWORD dst_unused:UNUSED_PAD src0_sel:DWORD src1_sel:BYTE_3
	v_sub_u32_e32 v12, 29, v12
	v_and_b32_e32 v3, 7, v3
	v_cmp_eq_u16_e32 vcc, 0, v10
	v_cndmask_b32_e32 v3, v6, v3, vcc
	v_cndmask_b32_e32 v6, v11, v12, vcc
	v_mov_b32_e32 v10, 0x3b800000
	v_lshlrev_b32_e32 v3, 20, v3
	v_lshl_add_u32 v6, v6, 23, v10
	v_or3_b32 v6, v7, v6, v3
.LBB21_192:
	s_or_b64 exec, exec, s[6:7]
	s_nop 0
	v_mfma_f32_16x16x4f32 a[0:3], v2, v6, a[0:3]
	s_movk_i32 s4, 0x7f
	v_cmp_gt_i16_sdwa s[6:7], v8, s4 src0_sel:BYTE_0 src1_sel:DWORD
	s_mov_b64 s[4:5], 0
                                        ; implicit-def: $sgpr10
	s_and_saveexec_b64 s[8:9], s[6:7]
	s_xor_b64 s[6:7], exec, s[8:9]
	s_cbranch_execnz .LBB21_2241
; %bb.193:
	s_or_saveexec_b64 s[6:7], s[6:7]
	v_mov_b32_e32 v2, s10
	s_xor_b64 exec, exec, s[6:7]
	s_cbranch_execnz .LBB21_2244
.LBB21_194:
	s_or_b64 exec, exec, s[6:7]
	s_and_saveexec_b64 s[6:7], s[4:5]
	s_cbranch_execz .LBB21_196
.LBB21_195:
	v_and_b32_e32 v2, 7, v8
	v_ffbh_u32_e32 v6, v2
	v_min_u32_e32 v6, 32, v6
	v_lshrrev_b16_e32 v3, 3, v8
	v_subrev_u32_e32 v7, 28, v6
	v_and_b32_e32 v3, 15, v3
	v_lshlrev_b32_e32 v7, v7, v8
	v_sub_u32_e32 v6, 29, v6
	v_and_b32_e32 v7, 7, v7
	v_cmp_eq_u16_e32 vcc, 0, v3
	v_cndmask_b32_e32 v2, v2, v7, vcc
	v_cndmask_b32_e32 v3, v3, v6, vcc
	v_lshlrev_b32_e32 v6, 24, v8
	v_mov_b32_e32 v7, 0x3b800000
	v_lshlrev_b32_e32 v2, 20, v2
	v_and_b32_e32 v6, 0x80000000, v6
	v_lshl_add_u32 v3, v3, 23, v7
	v_or3_b32 v2, v6, v3, v2
.LBB21_196:
	s_or_b64 exec, exec, s[6:7]
	s_movk_i32 s4, 0x7f
	v_cmp_gt_i16_sdwa s[6:7], v4, s4 src0_sel:BYTE_0 src1_sel:DWORD
	s_mov_b64 s[4:5], 0
                                        ; implicit-def: $sgpr10
	s_and_saveexec_b64 s[8:9], s[6:7]
	s_xor_b64 s[6:7], exec, s[8:9]
	s_cbranch_execnz .LBB21_2245
; %bb.197:
	s_or_saveexec_b64 s[6:7], s[6:7]
	v_mov_b32_e32 v3, s10
	s_xor_b64 exec, exec, s[6:7]
	s_cbranch_execnz .LBB21_2248
.LBB21_198:
	s_or_b64 exec, exec, s[6:7]
	s_and_saveexec_b64 s[6:7], s[4:5]
	s_cbranch_execz .LBB21_200
.LBB21_199:
	v_and_b32_e32 v3, 7, v4
	v_ffbh_u32_e32 v7, v3
	v_min_u32_e32 v7, 32, v7
	v_lshrrev_b16_e32 v6, 3, v4
	v_subrev_u32_e32 v10, 28, v7
	v_and_b32_e32 v6, 15, v6
	v_lshlrev_b32_e32 v10, v10, v4
	v_sub_u32_e32 v7, 29, v7
	v_and_b32_e32 v10, 7, v10
	v_cmp_eq_u16_e32 vcc, 0, v6
	v_cndmask_b32_e32 v3, v3, v10, vcc
	v_cndmask_b32_e32 v6, v6, v7, vcc
	v_lshlrev_b32_e32 v7, 24, v4
	v_mov_b32_e32 v10, 0x3b800000
	v_lshlrev_b32_e32 v3, 20, v3
	v_and_b32_e32 v7, 0x80000000, v7
	v_lshl_add_u32 v6, v6, 23, v10
	v_or3_b32 v3, v7, v6, v3
.LBB21_200:
	s_or_b64 exec, exec, s[6:7]
	s_nop 0
	v_mfma_f32_16x16x4f32 a[0:3], v2, v3, a[0:3]
	v_lshrrev_b32_e32 v3, 8, v8
	s_movk_i32 s4, 0x7f
	v_cmp_gt_i16_sdwa s[6:7], v3, s4 src0_sel:BYTE_0 src1_sel:DWORD
	s_mov_b64 s[4:5], 0
                                        ; implicit-def: $sgpr10
	s_and_saveexec_b64 s[8:9], s[6:7]
	s_xor_b64 s[6:7], exec, s[8:9]
	s_cbranch_execnz .LBB21_2249
; %bb.201:
	s_or_saveexec_b64 s[6:7], s[6:7]
	v_mov_b32_e32 v2, s10
	s_xor_b64 exec, exec, s[6:7]
	s_cbranch_execnz .LBB21_2252
.LBB21_202:
	s_or_b64 exec, exec, s[6:7]
	s_and_saveexec_b64 s[6:7], s[4:5]
	s_cbranch_execz .LBB21_204
.LBB21_203:
	v_bfe_u32 v2, v8, 8, 3
	v_ffbh_u32_e32 v7, v2
	v_min_u32_e32 v7, 32, v7
	v_lshrrev_b16_e32 v6, 3, v3
	v_subrev_u32_e32 v10, 28, v7
	v_and_b32_e32 v6, 15, v6
	v_lshlrev_b32_e32 v3, v10, v3
	v_sub_u32_e32 v7, 29, v7
	v_and_b32_e32 v3, 7, v3
	v_cmp_eq_u16_e32 vcc, 0, v6
	v_cndmask_b32_e32 v2, v2, v3, vcc
	v_cndmask_b32_e32 v3, v6, v7, vcc
	v_lshlrev_b32_e32 v6, 16, v8
	v_mov_b32_e32 v7, 0x3b800000
	v_lshlrev_b32_e32 v2, 20, v2
	v_and_b32_e32 v6, 0x80000000, v6
	v_lshl_add_u32 v3, v3, 23, v7
	v_or3_b32 v2, v6, v3, v2
.LBB21_204:
	s_or_b64 exec, exec, s[6:7]
	v_lshrrev_b32_e32 v3, 8, v4
	s_movk_i32 s4, 0x7f
	v_cmp_gt_i16_sdwa s[6:7], v3, s4 src0_sel:BYTE_0 src1_sel:DWORD
	s_mov_b64 s[4:5], 0
                                        ; implicit-def: $sgpr10
	s_and_saveexec_b64 s[8:9], s[6:7]
	s_xor_b64 s[6:7], exec, s[8:9]
	s_cbranch_execnz .LBB21_2253
; %bb.205:
	s_or_saveexec_b64 s[6:7], s[6:7]
	v_mov_b32_e32 v6, s10
	s_xor_b64 exec, exec, s[6:7]
	s_cbranch_execnz .LBB21_2256
.LBB21_206:
	s_or_b64 exec, exec, s[6:7]
	s_and_saveexec_b64 s[6:7], s[4:5]
	s_cbranch_execz .LBB21_208
.LBB21_207:
	v_bfe_u32 v6, v4, 8, 3
	v_ffbh_u32_e32 v10, v6
	v_min_u32_e32 v10, 32, v10
	v_lshrrev_b16_e32 v7, 3, v3
	v_subrev_u32_e32 v11, 28, v10
	v_and_b32_e32 v7, 15, v7
	v_lshlrev_b32_e32 v3, v11, v3
	v_sub_u32_e32 v10, 29, v10
	v_and_b32_e32 v3, 7, v3
	v_cmp_eq_u16_e32 vcc, 0, v7
	v_cndmask_b32_e32 v3, v6, v3, vcc
	v_cndmask_b32_e32 v6, v7, v10, vcc
	v_lshlrev_b32_e32 v7, 16, v4
	v_mov_b32_e32 v10, 0x3b800000
	v_lshlrev_b32_e32 v3, 20, v3
	v_and_b32_e32 v7, 0x80000000, v7
	v_lshl_add_u32 v6, v6, 23, v10
	v_or3_b32 v6, v7, v6, v3
.LBB21_208:
	s_or_b64 exec, exec, s[6:7]
	s_nop 0
	v_mfma_f32_16x16x4f32 a[0:3], v2, v6, a[0:3]
	s_movk_i32 s4, 0xff
	v_and_b32_sdwa v3, v8, s4 dst_sel:DWORD dst_unused:UNUSED_PAD src0_sel:WORD_1 src1_sel:DWORD
	s_movk_i32 s4, 0x7f
	v_cmp_lt_i16_e32 vcc, s4, v3
	s_mov_b64 s[4:5], 0
                                        ; implicit-def: $sgpr10
	s_and_saveexec_b64 s[6:7], vcc
	s_xor_b64 s[6:7], exec, s[6:7]
	s_cbranch_execnz .LBB21_2257
; %bb.209:
	s_or_saveexec_b64 s[6:7], s[6:7]
	v_mov_b32_e32 v2, s10
	s_xor_b64 exec, exec, s[6:7]
	s_cbranch_execnz .LBB21_2260
.LBB21_210:
	s_or_b64 exec, exec, s[6:7]
	s_and_saveexec_b64 s[6:7], s[4:5]
	s_cbranch_execz .LBB21_212
.LBB21_211:
	v_bfe_u32 v2, v8, 16, 3
	v_ffbh_u32_e32 v7, v2
	v_min_u32_e32 v7, 32, v7
	v_lshrrev_b32_e32 v3, 19, v8
	v_subrev_u32_e32 v10, 28, v7
	v_and_b32_e32 v3, 15, v3
	v_lshlrev_b32_sdwa v10, v10, v8 dst_sel:DWORD dst_unused:UNUSED_PAD src0_sel:DWORD src1_sel:WORD_1
	v_bfe_u32 v6, v8, 19, 4
	v_sub_u32_e32 v7, 29, v7
	v_and_b32_e32 v10, 7, v10
	v_cmp_eq_u16_e32 vcc, 0, v3
	v_cndmask_b32_e32 v2, v2, v10, vcc
	v_cndmask_b32_e32 v3, v6, v7, vcc
	v_lshlrev_b32_e32 v6, 8, v8
	v_mov_b32_e32 v7, 0x3b800000
	v_lshlrev_b32_e32 v2, 20, v2
	v_and_b32_e32 v6, 0x80000000, v6
	v_lshl_add_u32 v3, v3, 23, v7
	v_or3_b32 v2, v6, v3, v2
.LBB21_212:
	s_or_b64 exec, exec, s[6:7]
	s_movk_i32 s4, 0xff
	v_and_b32_sdwa v3, v4, s4 dst_sel:DWORD dst_unused:UNUSED_PAD src0_sel:WORD_1 src1_sel:DWORD
	s_movk_i32 s4, 0x7f
	v_cmp_lt_i16_e32 vcc, s4, v3
	s_mov_b64 s[4:5], 0
                                        ; implicit-def: $sgpr10
	s_and_saveexec_b64 s[6:7], vcc
	s_xor_b64 s[6:7], exec, s[6:7]
	s_cbranch_execnz .LBB21_2261
; %bb.213:
	s_or_saveexec_b64 s[6:7], s[6:7]
	v_mov_b32_e32 v6, s10
	s_xor_b64 exec, exec, s[6:7]
	s_cbranch_execnz .LBB21_2264
.LBB21_214:
	s_or_b64 exec, exec, s[6:7]
	s_and_saveexec_b64 s[6:7], s[4:5]
	s_cbranch_execz .LBB21_216
.LBB21_215:
	v_bfe_u32 v3, v4, 16, 3
	v_ffbh_u32_e32 v10, v3
	v_min_u32_e32 v10, 32, v10
	v_lshrrev_b32_e32 v6, 19, v4
	v_subrev_u32_e32 v11, 28, v10
	v_and_b32_e32 v6, 15, v6
	v_lshlrev_b32_sdwa v11, v11, v4 dst_sel:DWORD dst_unused:UNUSED_PAD src0_sel:DWORD src1_sel:WORD_1
	v_bfe_u32 v7, v4, 19, 4
	v_sub_u32_e32 v10, 29, v10
	v_and_b32_e32 v11, 7, v11
	v_cmp_eq_u16_e32 vcc, 0, v6
	v_cndmask_b32_e32 v3, v3, v11, vcc
	v_cndmask_b32_e32 v6, v7, v10, vcc
	v_lshlrev_b32_e32 v7, 8, v4
	v_mov_b32_e32 v10, 0x3b800000
	v_lshlrev_b32_e32 v3, 20, v3
	v_and_b32_e32 v7, 0x80000000, v7
	v_lshl_add_u32 v6, v6, 23, v10
	v_or3_b32 v6, v7, v6, v3
.LBB21_216:
	s_or_b64 exec, exec, s[6:7]
	s_nop 0
	v_mfma_f32_16x16x4f32 a[0:3], v2, v6, a[0:3]
	s_movk_i32 s4, 0x7f
	v_cmp_gt_i16_sdwa s[6:7], v8, s4 src0_sel:BYTE_3 src1_sel:DWORD
	s_mov_b64 s[4:5], 0
                                        ; implicit-def: $sgpr10
	s_and_saveexec_b64 s[8:9], s[6:7]
	s_xor_b64 s[6:7], exec, s[8:9]
	s_cbranch_execnz .LBB21_2265
; %bb.217:
	s_or_saveexec_b64 s[6:7], s[6:7]
	v_mov_b32_e32 v2, s10
	s_xor_b64 exec, exec, s[6:7]
	s_cbranch_execnz .LBB21_2268
.LBB21_218:
	s_or_b64 exec, exec, s[6:7]
	s_and_saveexec_b64 s[6:7], s[4:5]
	s_cbranch_execz .LBB21_220
.LBB21_219:
	v_bfe_u32 v2, v8, 24, 3
	v_ffbh_u32_e32 v10, v2
	v_min_u32_e32 v10, 32, v10
	v_lshrrev_b32_e32 v6, 27, v8
	v_subrev_u32_e32 v11, 28, v10
	v_and_b32_e32 v3, 0x80000000, v8
	v_and_b32_e32 v6, 15, v6
	v_bfe_u32 v7, v8, 27, 4
	v_lshlrev_b32_sdwa v8, v11, v8 dst_sel:DWORD dst_unused:UNUSED_PAD src0_sel:DWORD src1_sel:BYTE_3
	v_sub_u32_e32 v10, 29, v10
	v_and_b32_e32 v8, 7, v8
	v_cmp_eq_u16_e32 vcc, 0, v6
	v_cndmask_b32_e32 v2, v2, v8, vcc
	v_cndmask_b32_e32 v6, v7, v10, vcc
	v_mov_b32_e32 v7, 0x3b800000
	v_lshlrev_b32_e32 v2, 20, v2
	v_lshl_add_u32 v6, v6, 23, v7
	v_or3_b32 v2, v3, v6, v2
.LBB21_220:
	s_or_b64 exec, exec, s[6:7]
	s_movk_i32 s4, 0x7f
	v_cmp_gt_i16_sdwa s[6:7], v4, s4 src0_sel:BYTE_3 src1_sel:DWORD
	s_mov_b64 s[4:5], 0
                                        ; implicit-def: $sgpr10
	s_and_saveexec_b64 s[8:9], s[6:7]
	s_xor_b64 s[6:7], exec, s[8:9]
	s_cbranch_execnz .LBB21_2269
; %bb.221:
	s_or_saveexec_b64 s[6:7], s[6:7]
	v_mov_b32_e32 v3, s10
	s_xor_b64 exec, exec, s[6:7]
	s_cbranch_execnz .LBB21_2272
.LBB21_222:
	s_or_b64 exec, exec, s[6:7]
	s_and_saveexec_b64 s[6:7], s[4:5]
	s_cbranch_execz .LBB21_224
.LBB21_223:
	v_bfe_u32 v3, v4, 24, 3
	v_ffbh_u32_e32 v10, v3
	v_min_u32_e32 v10, 32, v10
	v_lshrrev_b32_e32 v7, 27, v4
	v_subrev_u32_e32 v11, 28, v10
	v_and_b32_e32 v6, 0x80000000, v4
	v_and_b32_e32 v7, 15, v7
	v_bfe_u32 v8, v4, 27, 4
	v_lshlrev_b32_sdwa v4, v11, v4 dst_sel:DWORD dst_unused:UNUSED_PAD src0_sel:DWORD src1_sel:BYTE_3
	v_sub_u32_e32 v10, 29, v10
	v_and_b32_e32 v4, 7, v4
	v_cmp_eq_u16_e32 vcc, 0, v7
	v_cndmask_b32_e32 v3, v3, v4, vcc
	v_cndmask_b32_e32 v4, v8, v10, vcc
	v_mov_b32_e32 v7, 0x3b800000
	v_lshlrev_b32_e32 v3, 20, v3
	v_lshl_add_u32 v4, v4, 23, v7
	v_or3_b32 v3, v6, v4, v3
.LBB21_224:
	s_or_b64 exec, exec, s[6:7]
	s_nop 0
	v_mfma_f32_16x16x4f32 a[0:3], v2, v3, a[0:3]
	s_movk_i32 s4, 0x7f
	v_cmp_gt_i16_sdwa s[6:7], v9, s4 src0_sel:BYTE_0 src1_sel:DWORD
	s_mov_b64 s[4:5], 0
                                        ; implicit-def: $sgpr10
	s_and_saveexec_b64 s[8:9], s[6:7]
	s_xor_b64 s[6:7], exec, s[8:9]
	s_cbranch_execnz .LBB21_2273
; %bb.225:
	s_or_saveexec_b64 s[6:7], s[6:7]
	v_mov_b32_e32 v2, s10
	s_xor_b64 exec, exec, s[6:7]
	s_cbranch_execnz .LBB21_2276
.LBB21_226:
	s_or_b64 exec, exec, s[6:7]
	s_and_saveexec_b64 s[6:7], s[4:5]
	s_cbranch_execz .LBB21_228
.LBB21_227:
	v_mov_b32_e32 v2, 8
	v_and_b32_e32 v3, 7, v9
	v_lshrrev_b32_sdwa v2, v2, v9 dst_sel:BYTE_1 dst_unused:UNUSED_PAD src0_sel:DWORD src1_sel:DWORD
	v_ffbh_u32_e32 v4, v3
	v_or_b32_sdwa v2, v9, v2 dst_sel:DWORD dst_unused:UNUSED_PAD src0_sel:BYTE_0 src1_sel:DWORD
	v_min_u32_e32 v4, 32, v4
	v_lshrrev_b16_e32 v2, 3, v2
	v_subrev_u32_e32 v6, 28, v4
	v_and_b32_e32 v2, 15, v2
	v_lshlrev_b32_e32 v6, v6, v9
	v_sub_u32_e32 v4, 29, v4
	v_and_b32_e32 v6, 7, v6
	v_cmp_eq_u16_e32 vcc, 0, v2
	v_cndmask_b32_e32 v3, v3, v6, vcc
	v_cndmask_b32_e32 v2, v2, v4, vcc
	v_lshlrev_b32_e32 v4, 24, v9
	v_mov_b32_e32 v6, 0x3b800000
	v_lshlrev_b32_e32 v3, 20, v3
	v_and_b32_e32 v4, 0x80000000, v4
	v_lshl_add_u32 v2, v2, 23, v6
	v_or3_b32 v2, v4, v2, v3
.LBB21_228:
	s_or_b64 exec, exec, s[6:7]
	s_movk_i32 s4, 0x7f
	v_cmp_gt_i16_sdwa s[6:7], v5, s4 src0_sel:BYTE_0 src1_sel:DWORD
	s_mov_b64 s[4:5], 0
                                        ; implicit-def: $sgpr10
	s_and_saveexec_b64 s[8:9], s[6:7]
	s_xor_b64 s[6:7], exec, s[8:9]
	s_cbranch_execnz .LBB21_2277
; %bb.229:
	s_or_saveexec_b64 s[6:7], s[6:7]
	v_mov_b32_e32 v3, s10
	s_xor_b64 exec, exec, s[6:7]
	s_cbranch_execnz .LBB21_2280
.LBB21_230:
	s_or_b64 exec, exec, s[6:7]
	s_and_saveexec_b64 s[6:7], s[4:5]
	s_cbranch_execz .LBB21_232
.LBB21_231:
	v_mov_b32_e32 v3, 8
	v_and_b32_e32 v4, 7, v5
	v_lshrrev_b32_sdwa v3, v3, v5 dst_sel:BYTE_1 dst_unused:UNUSED_PAD src0_sel:DWORD src1_sel:DWORD
	v_ffbh_u32_e32 v6, v4
	v_or_b32_sdwa v3, v5, v3 dst_sel:DWORD dst_unused:UNUSED_PAD src0_sel:BYTE_0 src1_sel:DWORD
	v_min_u32_e32 v6, 32, v6
	v_lshrrev_b16_e32 v3, 3, v3
	v_subrev_u32_e32 v7, 28, v6
	v_and_b32_e32 v3, 15, v3
	v_lshlrev_b32_e32 v7, v7, v5
	v_sub_u32_e32 v6, 29, v6
	v_and_b32_e32 v7, 7, v7
	v_cmp_eq_u16_e32 vcc, 0, v3
	v_cndmask_b32_e32 v4, v4, v7, vcc
	v_cndmask_b32_e32 v3, v3, v6, vcc
	v_lshlrev_b32_e32 v6, 24, v5
	v_mov_b32_e32 v7, 0x3b800000
	v_lshlrev_b32_e32 v4, 20, v4
	v_and_b32_e32 v6, 0x80000000, v6
	v_lshl_add_u32 v3, v3, 23, v7
	v_or3_b32 v3, v6, v3, v4
.LBB21_232:
	s_or_b64 exec, exec, s[6:7]
	s_nop 0
	v_mfma_f32_16x16x4f32 a[0:3], v2, v3, a[0:3]
	v_lshrrev_b32_e32 v3, 8, v9
	s_movk_i32 s4, 0x7f
	v_cmp_gt_i16_sdwa s[6:7], v3, s4 src0_sel:BYTE_0 src1_sel:DWORD
	s_mov_b64 s[4:5], 0
                                        ; implicit-def: $sgpr10
	s_and_saveexec_b64 s[8:9], s[6:7]
	s_xor_b64 s[6:7], exec, s[8:9]
	s_cbranch_execnz .LBB21_2281
; %bb.233:
	s_or_saveexec_b64 s[6:7], s[6:7]
	v_mov_b32_e32 v2, s10
	s_xor_b64 exec, exec, s[6:7]
	s_cbranch_execnz .LBB21_2284
.LBB21_234:
	s_or_b64 exec, exec, s[6:7]
	s_and_saveexec_b64 s[6:7], s[4:5]
	s_cbranch_execz .LBB21_236
.LBB21_235:
	v_bfe_u32 v2, v9, 8, 3
	v_ffbh_u32_e32 v6, v2
	v_min_u32_e32 v6, 32, v6
	v_lshrrev_b16_e32 v4, 3, v3
	v_subrev_u32_e32 v7, 28, v6
	v_and_b32_e32 v4, 15, v4
	v_lshlrev_b32_e32 v3, v7, v3
	v_sub_u32_e32 v6, 29, v6
	v_and_b32_e32 v3, 7, v3
	v_cmp_eq_u16_e32 vcc, 0, v4
	v_cndmask_b32_e32 v2, v2, v3, vcc
	v_cndmask_b32_e32 v3, v4, v6, vcc
	v_lshlrev_b32_e32 v4, 16, v9
	v_mov_b32_e32 v6, 0x3b800000
	v_lshlrev_b32_e32 v2, 20, v2
	v_and_b32_e32 v4, 0x80000000, v4
	v_lshl_add_u32 v3, v3, 23, v6
	v_or3_b32 v2, v4, v3, v2
.LBB21_236:
	s_or_b64 exec, exec, s[6:7]
	v_lshrrev_b32_e32 v3, 8, v5
	s_movk_i32 s4, 0x7f
	v_cmp_gt_i16_sdwa s[6:7], v3, s4 src0_sel:BYTE_0 src1_sel:DWORD
	s_mov_b64 s[4:5], 0
                                        ; implicit-def: $sgpr10
	s_and_saveexec_b64 s[8:9], s[6:7]
	s_xor_b64 s[6:7], exec, s[8:9]
	s_cbranch_execnz .LBB21_2285
; %bb.237:
	s_or_saveexec_b64 s[6:7], s[6:7]
	v_mov_b32_e32 v4, s10
	s_xor_b64 exec, exec, s[6:7]
	s_cbranch_execnz .LBB21_2288
.LBB21_238:
	s_or_b64 exec, exec, s[6:7]
	s_and_saveexec_b64 s[6:7], s[4:5]
	s_cbranch_execz .LBB21_240
.LBB21_239:
	v_bfe_u32 v4, v5, 8, 3
	v_ffbh_u32_e32 v7, v4
	v_min_u32_e32 v7, 32, v7
	v_lshrrev_b16_e32 v6, 3, v3
	v_subrev_u32_e32 v8, 28, v7
	v_and_b32_e32 v6, 15, v6
	v_lshlrev_b32_e32 v3, v8, v3
	v_sub_u32_e32 v7, 29, v7
	v_and_b32_e32 v3, 7, v3
	v_cmp_eq_u16_e32 vcc, 0, v6
	v_cndmask_b32_e32 v3, v4, v3, vcc
	v_cndmask_b32_e32 v4, v6, v7, vcc
	v_lshlrev_b32_e32 v6, 16, v5
	v_mov_b32_e32 v7, 0x3b800000
	v_lshlrev_b32_e32 v3, 20, v3
	v_and_b32_e32 v6, 0x80000000, v6
	v_lshl_add_u32 v4, v4, 23, v7
	v_or3_b32 v4, v6, v4, v3
.LBB21_240:
	s_or_b64 exec, exec, s[6:7]
	s_nop 0
	v_mfma_f32_16x16x4f32 a[0:3], v2, v4, a[0:3]
	s_movk_i32 s4, 0xff
	v_and_b32_sdwa v3, v9, s4 dst_sel:DWORD dst_unused:UNUSED_PAD src0_sel:WORD_1 src1_sel:DWORD
	s_movk_i32 s4, 0x7f
	v_cmp_lt_i16_e32 vcc, s4, v3
	s_mov_b64 s[4:5], 0
                                        ; implicit-def: $sgpr10
	s_and_saveexec_b64 s[6:7], vcc
	s_xor_b64 s[6:7], exec, s[6:7]
	s_cbranch_execnz .LBB21_2289
; %bb.241:
	s_or_saveexec_b64 s[6:7], s[6:7]
	v_mov_b32_e32 v2, s10
	s_xor_b64 exec, exec, s[6:7]
	s_cbranch_execnz .LBB21_2292
.LBB21_242:
	s_or_b64 exec, exec, s[6:7]
	s_and_saveexec_b64 s[6:7], s[4:5]
	s_cbranch_execz .LBB21_244
.LBB21_243:
	v_bfe_u32 v2, v9, 16, 3
	v_ffbh_u32_e32 v6, v2
	v_min_u32_e32 v6, 32, v6
	v_lshrrev_b32_e32 v3, 19, v9
	v_subrev_u32_e32 v7, 28, v6
	v_and_b32_e32 v3, 15, v3
	v_lshlrev_b32_sdwa v7, v7, v9 dst_sel:DWORD dst_unused:UNUSED_PAD src0_sel:DWORD src1_sel:WORD_1
	v_bfe_u32 v4, v9, 19, 4
	v_sub_u32_e32 v6, 29, v6
	v_and_b32_e32 v7, 7, v7
	v_cmp_eq_u16_e32 vcc, 0, v3
	v_cndmask_b32_e32 v2, v2, v7, vcc
	v_cndmask_b32_e32 v3, v4, v6, vcc
	v_lshlrev_b32_e32 v4, 8, v9
	v_mov_b32_e32 v6, 0x3b800000
	v_lshlrev_b32_e32 v2, 20, v2
	v_and_b32_e32 v4, 0x80000000, v4
	v_lshl_add_u32 v3, v3, 23, v6
	v_or3_b32 v2, v4, v3, v2
.LBB21_244:
	s_or_b64 exec, exec, s[6:7]
	s_movk_i32 s4, 0xff
	v_and_b32_sdwa v3, v5, s4 dst_sel:DWORD dst_unused:UNUSED_PAD src0_sel:WORD_1 src1_sel:DWORD
	s_movk_i32 s4, 0x7f
	v_cmp_lt_i16_e32 vcc, s4, v3
	s_mov_b64 s[4:5], 0
                                        ; implicit-def: $sgpr10
	s_and_saveexec_b64 s[6:7], vcc
	s_xor_b64 s[6:7], exec, s[6:7]
	s_cbranch_execnz .LBB21_2293
; %bb.245:
	s_or_saveexec_b64 s[6:7], s[6:7]
	v_mov_b32_e32 v4, s10
	s_xor_b64 exec, exec, s[6:7]
	s_cbranch_execnz .LBB21_2296
.LBB21_246:
	s_or_b64 exec, exec, s[6:7]
	s_and_saveexec_b64 s[6:7], s[4:5]
	s_cbranch_execz .LBB21_248
.LBB21_247:
	v_bfe_u32 v3, v5, 16, 3
	v_ffbh_u32_e32 v7, v3
	v_min_u32_e32 v7, 32, v7
	v_lshrrev_b32_e32 v4, 19, v5
	v_subrev_u32_e32 v8, 28, v7
	v_and_b32_e32 v4, 15, v4
	v_lshlrev_b32_sdwa v8, v8, v5 dst_sel:DWORD dst_unused:UNUSED_PAD src0_sel:DWORD src1_sel:WORD_1
	v_bfe_u32 v6, v5, 19, 4
	v_sub_u32_e32 v7, 29, v7
	v_and_b32_e32 v8, 7, v8
	v_cmp_eq_u16_e32 vcc, 0, v4
	v_cndmask_b32_e32 v3, v3, v8, vcc
	v_cndmask_b32_e32 v4, v6, v7, vcc
	v_lshlrev_b32_e32 v6, 8, v5
	v_mov_b32_e32 v7, 0x3b800000
	v_lshlrev_b32_e32 v3, 20, v3
	v_and_b32_e32 v6, 0x80000000, v6
	v_lshl_add_u32 v4, v4, 23, v7
	v_or3_b32 v4, v6, v4, v3
.LBB21_248:
	s_or_b64 exec, exec, s[6:7]
	s_nop 0
	v_mfma_f32_16x16x4f32 a[0:3], v2, v4, a[0:3]
	s_movk_i32 s4, 0x7f
	v_cmp_gt_i16_sdwa s[6:7], v9, s4 src0_sel:BYTE_3 src1_sel:DWORD
	s_mov_b64 s[4:5], 0
                                        ; implicit-def: $sgpr10
	s_and_saveexec_b64 s[8:9], s[6:7]
	s_xor_b64 s[6:7], exec, s[8:9]
	s_cbranch_execnz .LBB21_2297
; %bb.249:
	s_or_saveexec_b64 s[6:7], s[6:7]
	v_mov_b32_e32 v2, s10
	s_xor_b64 exec, exec, s[6:7]
	s_cbranch_execnz .LBB21_2300
.LBB21_250:
	s_or_b64 exec, exec, s[6:7]
	s_and_saveexec_b64 s[6:7], s[4:5]
	s_cbranch_execz .LBB21_252
.LBB21_251:
	v_bfe_u32 v2, v9, 24, 3
	v_ffbh_u32_e32 v7, v2
	v_min_u32_e32 v7, 32, v7
	v_lshrrev_b32_e32 v4, 27, v9
	v_subrev_u32_e32 v8, 28, v7
	v_and_b32_e32 v4, 15, v4
	v_lshlrev_b32_sdwa v8, v8, v9 dst_sel:DWORD dst_unused:UNUSED_PAD src0_sel:DWORD src1_sel:BYTE_3
	v_bfe_u32 v6, v9, 27, 4
	v_sub_u32_e32 v7, 29, v7
	v_and_b32_e32 v8, 7, v8
	v_cmp_eq_u16_e32 vcc, 0, v4
	v_cndmask_b32_e32 v2, v2, v8, vcc
	v_cndmask_b32_e32 v4, v6, v7, vcc
	v_mov_b32_e32 v6, 0x3b800000
	v_and_b32_e32 v3, 0x80000000, v9
	v_lshlrev_b32_e32 v2, 20, v2
	v_lshl_add_u32 v4, v4, 23, v6
	v_or3_b32 v2, v3, v4, v2
.LBB21_252:
	s_or_b64 exec, exec, s[6:7]
	s_movk_i32 s4, 0x7f
	v_cmp_gt_i16_sdwa s[6:7], v5, s4 src0_sel:BYTE_3 src1_sel:DWORD
	s_mov_b64 s[4:5], 0
                                        ; implicit-def: $sgpr10
	s_and_saveexec_b64 s[8:9], s[6:7]
	s_xor_b64 s[6:7], exec, s[8:9]
	s_cbranch_execnz .LBB21_2301
; %bb.253:
	s_or_saveexec_b64 s[6:7], s[6:7]
	v_mov_b32_e32 v3, s10
	s_xor_b64 exec, exec, s[6:7]
	s_cbranch_execnz .LBB21_2304
.LBB21_254:
	s_or_b64 exec, exec, s[6:7]
	s_and_saveexec_b64 s[6:7], s[4:5]
	s_cbranch_execz .LBB21_256
.LBB21_255:
	v_bfe_u32 v3, v5, 24, 3
	v_ffbh_u32_e32 v8, v3
	v_min_u32_e32 v8, 32, v8
	v_lshrrev_b32_e32 v6, 27, v5
	v_subrev_u32_e32 v9, 28, v8
	v_and_b32_e32 v4, 0x80000000, v5
	v_and_b32_e32 v6, 15, v6
	v_bfe_u32 v7, v5, 27, 4
	v_lshlrev_b32_sdwa v5, v9, v5 dst_sel:DWORD dst_unused:UNUSED_PAD src0_sel:DWORD src1_sel:BYTE_3
	v_sub_u32_e32 v8, 29, v8
	v_and_b32_e32 v5, 7, v5
	v_cmp_eq_u16_e32 vcc, 0, v6
	v_cndmask_b32_e32 v3, v3, v5, vcc
	v_cndmask_b32_e32 v5, v7, v8, vcc
	v_mov_b32_e32 v6, 0x3b800000
	v_lshlrev_b32_e32 v3, 20, v3
	v_lshl_add_u32 v5, v5, 23, v6
	v_or3_b32 v3, v4, v5, v3
.LBB21_256:
	s_or_b64 exec, exec, s[6:7]
	s_nop 0
	v_mfma_f32_16x16x4f32 a[0:3], v2, v3, a[0:3]
	s_movk_i32 s4, 0x7f
                                        ; implicit-def: $sgpr10
	s_nop 7
	s_nop 1
	flat_store_dwordx4 v[18:19], a[0:3] offset:384
	flat_load_dwordx4 v[20:23], v[0:1] offset:8
	s_nop 0
	flat_load_dwordx2 v[18:19], v[0:1] offset:24
	s_waitcnt vmcnt(0) lgkmcnt(0)
	flat_load_dwordx4 v[14:17], v[20:21] offset:32
	flat_load_dwordx4 v[10:13], v[22:23] offset:32
	;; [unrolled: 1-line block ×4, first 2 shown]
	s_waitcnt vmcnt(0) lgkmcnt(0)
	v_cmp_gt_i16_sdwa s[6:7], v14, s4 src0_sel:BYTE_0 src1_sel:DWORD
	s_mov_b64 s[4:5], 0
	s_and_saveexec_b64 s[8:9], s[6:7]
	s_xor_b64 s[6:7], exec, s[8:9]
	s_cbranch_execnz .LBB21_2305
; %bb.257:
	s_or_saveexec_b64 s[6:7], s[6:7]
	v_mov_b32_e32 v20, s10
	s_xor_b64 exec, exec, s[6:7]
	s_cbranch_execnz .LBB21_2308
.LBB21_258:
	s_or_b64 exec, exec, s[6:7]
	s_and_saveexec_b64 s[6:7], s[4:5]
	s_cbranch_execz .LBB21_260
.LBB21_259:
	v_and_b32_e32 v20, 7, v14
	v_ffbh_u32_e32 v22, v20
	v_min_u32_e32 v22, 32, v22
	v_lshrrev_b16_e32 v21, 3, v14
	v_subrev_u32_e32 v23, 28, v22
	v_and_b32_e32 v21, 15, v21
	v_lshlrev_b32_e32 v23, v23, v14
	v_sub_u32_e32 v22, 29, v22
	v_and_b32_e32 v23, 7, v23
	v_cmp_eq_u16_e32 vcc, 0, v21
	v_cndmask_b32_e32 v20, v20, v23, vcc
	v_cndmask_b32_e32 v21, v21, v22, vcc
	v_lshlrev_b32_e32 v22, 24, v14
	v_mov_b32_e32 v23, 0x3b800000
	v_lshlrev_b32_e32 v20, 20, v20
	v_and_b32_e32 v22, 0x80000000, v22
	v_lshl_add_u32 v21, v21, 23, v23
	v_or3_b32 v20, v22, v21, v20
.LBB21_260:
	s_or_b64 exec, exec, s[6:7]
	s_movk_i32 s4, 0x7f
	v_cmp_gt_i16_sdwa s[6:7], v10, s4 src0_sel:BYTE_0 src1_sel:DWORD
	s_mov_b64 s[4:5], 0
                                        ; implicit-def: $sgpr10
	s_and_saveexec_b64 s[8:9], s[6:7]
	s_xor_b64 s[6:7], exec, s[8:9]
	s_cbranch_execnz .LBB21_2309
; %bb.261:
	s_or_saveexec_b64 s[6:7], s[6:7]
	v_mov_b32_e32 v21, s10
	s_xor_b64 exec, exec, s[6:7]
	s_cbranch_execnz .LBB21_2312
.LBB21_262:
	s_or_b64 exec, exec, s[6:7]
	s_and_saveexec_b64 s[6:7], s[4:5]
	s_cbranch_execz .LBB21_264
.LBB21_263:
	v_and_b32_e32 v21, 7, v10
	v_ffbh_u32_e32 v23, v21
	v_min_u32_e32 v23, 32, v23
	v_lshrrev_b16_e32 v22, 3, v10
	v_subrev_u32_e32 v24, 28, v23
	v_and_b32_e32 v22, 15, v22
	v_lshlrev_b32_e32 v24, v24, v10
	v_sub_u32_e32 v23, 29, v23
	v_and_b32_e32 v24, 7, v24
	v_cmp_eq_u16_e32 vcc, 0, v22
	v_cndmask_b32_e32 v21, v21, v24, vcc
	v_cndmask_b32_e32 v22, v22, v23, vcc
	v_lshlrev_b32_e32 v23, 24, v10
	v_mov_b32_e32 v24, 0x3b800000
	v_lshlrev_b32_e32 v21, 20, v21
	v_and_b32_e32 v23, 0x80000000, v23
	v_lshl_add_u32 v22, v22, 23, v24
	v_or3_b32 v21, v23, v22, v21
.LBB21_264:
	s_or_b64 exec, exec, s[6:7]
	flat_load_dwordx4 a[0:3], v[18:19] offset:400
	s_movk_i32 s4, 0x7f
                                        ; implicit-def: $sgpr10
	s_waitcnt vmcnt(0) lgkmcnt(0)
	v_mfma_f32_16x16x4f32 a[0:3], v20, v21, a[0:3]
	v_lshrrev_b32_e32 v21, 8, v14
	v_cmp_gt_i16_sdwa s[6:7], v21, s4 src0_sel:BYTE_0 src1_sel:DWORD
	s_mov_b64 s[4:5], 0
	s_and_saveexec_b64 s[8:9], s[6:7]
	s_xor_b64 s[6:7], exec, s[8:9]
	s_cbranch_execnz .LBB21_2313
; %bb.265:
	s_or_saveexec_b64 s[6:7], s[6:7]
	v_mov_b32_e32 v20, s10
	s_xor_b64 exec, exec, s[6:7]
	s_cbranch_execnz .LBB21_2316
.LBB21_266:
	s_or_b64 exec, exec, s[6:7]
	s_and_saveexec_b64 s[6:7], s[4:5]
	s_cbranch_execz .LBB21_268
.LBB21_267:
	v_bfe_u32 v20, v14, 8, 3
	v_ffbh_u32_e32 v23, v20
	v_min_u32_e32 v23, 32, v23
	v_lshrrev_b16_e32 v22, 3, v21
	v_subrev_u32_e32 v24, 28, v23
	v_and_b32_e32 v22, 15, v22
	v_lshlrev_b32_e32 v21, v24, v21
	v_sub_u32_e32 v23, 29, v23
	v_and_b32_e32 v21, 7, v21
	v_cmp_eq_u16_e32 vcc, 0, v22
	v_cndmask_b32_e32 v20, v20, v21, vcc
	v_cndmask_b32_e32 v21, v22, v23, vcc
	v_lshlrev_b32_e32 v22, 16, v14
	v_mov_b32_e32 v23, 0x3b800000
	v_lshlrev_b32_e32 v20, 20, v20
	v_and_b32_e32 v22, 0x80000000, v22
	v_lshl_add_u32 v21, v21, 23, v23
	v_or3_b32 v20, v22, v21, v20
.LBB21_268:
	s_or_b64 exec, exec, s[6:7]
	v_lshrrev_b32_e32 v21, 8, v10
	s_movk_i32 s4, 0x7f
	v_cmp_gt_i16_sdwa s[6:7], v21, s4 src0_sel:BYTE_0 src1_sel:DWORD
	s_mov_b64 s[4:5], 0
                                        ; implicit-def: $sgpr10
	s_and_saveexec_b64 s[8:9], s[6:7]
	s_xor_b64 s[6:7], exec, s[8:9]
	s_cbranch_execnz .LBB21_2317
; %bb.269:
	s_or_saveexec_b64 s[6:7], s[6:7]
	v_mov_b32_e32 v22, s10
	s_xor_b64 exec, exec, s[6:7]
	s_cbranch_execnz .LBB21_2320
.LBB21_270:
	s_or_b64 exec, exec, s[6:7]
	s_and_saveexec_b64 s[6:7], s[4:5]
	s_cbranch_execz .LBB21_272
.LBB21_271:
	v_bfe_u32 v22, v10, 8, 3
	v_ffbh_u32_e32 v24, v22
	v_min_u32_e32 v24, 32, v24
	v_lshrrev_b16_e32 v23, 3, v21
	v_subrev_u32_e32 v25, 28, v24
	v_and_b32_e32 v23, 15, v23
	v_lshlrev_b32_e32 v21, v25, v21
	v_sub_u32_e32 v24, 29, v24
	v_and_b32_e32 v21, 7, v21
	v_cmp_eq_u16_e32 vcc, 0, v23
	v_cndmask_b32_e32 v21, v22, v21, vcc
	v_cndmask_b32_e32 v22, v23, v24, vcc
	v_lshlrev_b32_e32 v23, 16, v10
	v_mov_b32_e32 v24, 0x3b800000
	v_lshlrev_b32_e32 v21, 20, v21
	v_and_b32_e32 v23, 0x80000000, v23
	v_lshl_add_u32 v22, v22, 23, v24
	v_or3_b32 v22, v23, v22, v21
.LBB21_272:
	s_or_b64 exec, exec, s[6:7]
	s_nop 0
	v_mfma_f32_16x16x4f32 a[0:3], v20, v22, a[0:3]
	s_movk_i32 s4, 0xff
	v_and_b32_sdwa v21, v14, s4 dst_sel:DWORD dst_unused:UNUSED_PAD src0_sel:WORD_1 src1_sel:DWORD
	s_movk_i32 s4, 0x7f
	v_cmp_lt_i16_e32 vcc, s4, v21
	s_mov_b64 s[4:5], 0
                                        ; implicit-def: $sgpr10
	s_and_saveexec_b64 s[6:7], vcc
	s_xor_b64 s[6:7], exec, s[6:7]
	s_cbranch_execnz .LBB21_2321
; %bb.273:
	s_or_saveexec_b64 s[6:7], s[6:7]
	v_mov_b32_e32 v20, s10
	s_xor_b64 exec, exec, s[6:7]
	s_cbranch_execnz .LBB21_2324
.LBB21_274:
	s_or_b64 exec, exec, s[6:7]
	s_and_saveexec_b64 s[6:7], s[4:5]
	s_cbranch_execz .LBB21_276
.LBB21_275:
	v_bfe_u32 v20, v14, 16, 3
	v_ffbh_u32_e32 v23, v20
	v_min_u32_e32 v23, 32, v23
	v_lshrrev_b32_e32 v21, 19, v14
	v_subrev_u32_e32 v24, 28, v23
	v_and_b32_e32 v21, 15, v21
	v_lshlrev_b32_sdwa v24, v24, v14 dst_sel:DWORD dst_unused:UNUSED_PAD src0_sel:DWORD src1_sel:WORD_1
	v_bfe_u32 v22, v14, 19, 4
	v_sub_u32_e32 v23, 29, v23
	v_and_b32_e32 v24, 7, v24
	v_cmp_eq_u16_e32 vcc, 0, v21
	v_cndmask_b32_e32 v20, v20, v24, vcc
	v_cndmask_b32_e32 v21, v22, v23, vcc
	v_lshlrev_b32_e32 v22, 8, v14
	v_mov_b32_e32 v23, 0x3b800000
	v_lshlrev_b32_e32 v20, 20, v20
	v_and_b32_e32 v22, 0x80000000, v22
	v_lshl_add_u32 v21, v21, 23, v23
	v_or3_b32 v20, v22, v21, v20
.LBB21_276:
	s_or_b64 exec, exec, s[6:7]
	s_movk_i32 s4, 0xff
	v_and_b32_sdwa v21, v10, s4 dst_sel:DWORD dst_unused:UNUSED_PAD src0_sel:WORD_1 src1_sel:DWORD
	s_movk_i32 s4, 0x7f
	v_cmp_lt_i16_e32 vcc, s4, v21
	s_mov_b64 s[4:5], 0
                                        ; implicit-def: $sgpr10
	s_and_saveexec_b64 s[6:7], vcc
	s_xor_b64 s[6:7], exec, s[6:7]
	s_cbranch_execnz .LBB21_2325
; %bb.277:
	s_or_saveexec_b64 s[6:7], s[6:7]
	v_mov_b32_e32 v22, s10
	s_xor_b64 exec, exec, s[6:7]
	s_cbranch_execnz .LBB21_2328
.LBB21_278:
	s_or_b64 exec, exec, s[6:7]
	s_and_saveexec_b64 s[6:7], s[4:5]
	s_cbranch_execz .LBB21_280
.LBB21_279:
	v_bfe_u32 v21, v10, 16, 3
	v_ffbh_u32_e32 v24, v21
	v_min_u32_e32 v24, 32, v24
	v_lshrrev_b32_e32 v22, 19, v10
	v_subrev_u32_e32 v25, 28, v24
	v_and_b32_e32 v22, 15, v22
	v_lshlrev_b32_sdwa v25, v25, v10 dst_sel:DWORD dst_unused:UNUSED_PAD src0_sel:DWORD src1_sel:WORD_1
	v_bfe_u32 v23, v10, 19, 4
	v_sub_u32_e32 v24, 29, v24
	v_and_b32_e32 v25, 7, v25
	v_cmp_eq_u16_e32 vcc, 0, v22
	v_cndmask_b32_e32 v21, v21, v25, vcc
	v_cndmask_b32_e32 v22, v23, v24, vcc
	v_lshlrev_b32_e32 v23, 8, v10
	v_mov_b32_e32 v24, 0x3b800000
	v_lshlrev_b32_e32 v21, 20, v21
	v_and_b32_e32 v23, 0x80000000, v23
	v_lshl_add_u32 v22, v22, 23, v24
	v_or3_b32 v22, v23, v22, v21
.LBB21_280:
	s_or_b64 exec, exec, s[6:7]
	s_nop 0
	v_mfma_f32_16x16x4f32 a[0:3], v20, v22, a[0:3]
	s_movk_i32 s4, 0x7f
	v_cmp_gt_i16_sdwa s[6:7], v14, s4 src0_sel:BYTE_3 src1_sel:DWORD
	s_mov_b64 s[4:5], 0
                                        ; implicit-def: $sgpr10
	s_and_saveexec_b64 s[8:9], s[6:7]
	s_xor_b64 s[6:7], exec, s[8:9]
	s_cbranch_execnz .LBB21_2329
; %bb.281:
	s_or_saveexec_b64 s[6:7], s[6:7]
	v_mov_b32_e32 v20, s10
	s_xor_b64 exec, exec, s[6:7]
	s_cbranch_execnz .LBB21_2332
.LBB21_282:
	s_or_b64 exec, exec, s[6:7]
	s_and_saveexec_b64 s[6:7], s[4:5]
	s_cbranch_execz .LBB21_284
.LBB21_283:
	v_bfe_u32 v20, v14, 24, 3
	v_ffbh_u32_e32 v24, v20
	v_min_u32_e32 v24, 32, v24
	v_lshrrev_b32_e32 v22, 27, v14
	v_subrev_u32_e32 v25, 28, v24
	v_and_b32_e32 v21, 0x80000000, v14
	v_and_b32_e32 v22, 15, v22
	v_bfe_u32 v23, v14, 27, 4
	v_lshlrev_b32_sdwa v14, v25, v14 dst_sel:DWORD dst_unused:UNUSED_PAD src0_sel:DWORD src1_sel:BYTE_3
	v_sub_u32_e32 v24, 29, v24
	v_and_b32_e32 v14, 7, v14
	v_cmp_eq_u16_e32 vcc, 0, v22
	v_cndmask_b32_e32 v14, v20, v14, vcc
	v_cndmask_b32_e32 v20, v23, v24, vcc
	v_mov_b32_e32 v22, 0x3b800000
	v_lshlrev_b32_e32 v14, 20, v14
	v_lshl_add_u32 v20, v20, 23, v22
	v_or3_b32 v20, v21, v20, v14
.LBB21_284:
	s_or_b64 exec, exec, s[6:7]
	s_movk_i32 s4, 0x7f
	v_cmp_gt_i16_sdwa s[6:7], v10, s4 src0_sel:BYTE_3 src1_sel:DWORD
	s_mov_b64 s[4:5], 0
                                        ; implicit-def: $sgpr10
	s_and_saveexec_b64 s[8:9], s[6:7]
	s_xor_b64 s[6:7], exec, s[8:9]
	s_cbranch_execnz .LBB21_2333
; %bb.285:
	s_or_saveexec_b64 s[6:7], s[6:7]
	v_mov_b32_e32 v14, s10
	s_xor_b64 exec, exec, s[6:7]
	s_cbranch_execnz .LBB21_2336
.LBB21_286:
	s_or_b64 exec, exec, s[6:7]
	s_and_saveexec_b64 s[6:7], s[4:5]
	s_cbranch_execz .LBB21_288
.LBB21_287:
	v_bfe_u32 v14, v10, 24, 3
	v_ffbh_u32_e32 v24, v14
	v_min_u32_e32 v24, 32, v24
	v_lshrrev_b32_e32 v22, 27, v10
	v_subrev_u32_e32 v25, 28, v24
	v_and_b32_e32 v21, 0x80000000, v10
	v_and_b32_e32 v22, 15, v22
	v_bfe_u32 v23, v10, 27, 4
	v_lshlrev_b32_sdwa v10, v25, v10 dst_sel:DWORD dst_unused:UNUSED_PAD src0_sel:DWORD src1_sel:BYTE_3
	v_sub_u32_e32 v24, 29, v24
	v_and_b32_e32 v10, 7, v10
	v_cmp_eq_u16_e32 vcc, 0, v22
	v_cndmask_b32_e32 v10, v14, v10, vcc
	v_cndmask_b32_e32 v14, v23, v24, vcc
	v_mov_b32_e32 v22, 0x3b800000
	v_lshlrev_b32_e32 v10, 20, v10
	v_lshl_add_u32 v14, v14, 23, v22
	v_or3_b32 v14, v21, v14, v10
.LBB21_288:
	s_or_b64 exec, exec, s[6:7]
	s_nop 0
	v_mfma_f32_16x16x4f32 a[0:3], v20, v14, a[0:3]
	s_movk_i32 s4, 0x7f
	v_cmp_gt_i16_sdwa s[6:7], v15, s4 src0_sel:BYTE_0 src1_sel:DWORD
	s_mov_b64 s[4:5], 0
                                        ; implicit-def: $sgpr10
	s_and_saveexec_b64 s[8:9], s[6:7]
	s_xor_b64 s[6:7], exec, s[8:9]
	s_cbranch_execnz .LBB21_2337
; %bb.289:
	s_or_saveexec_b64 s[6:7], s[6:7]
	v_mov_b32_e32 v10, s10
	s_xor_b64 exec, exec, s[6:7]
	s_cbranch_execnz .LBB21_2340
.LBB21_290:
	s_or_b64 exec, exec, s[6:7]
	s_and_saveexec_b64 s[6:7], s[4:5]
	s_cbranch_execz .LBB21_292
.LBB21_291:
	v_and_b32_e32 v10, 7, v15
	v_ffbh_u32_e32 v20, v10
	v_min_u32_e32 v20, 32, v20
	v_lshrrev_b16_e32 v14, 3, v15
	v_subrev_u32_e32 v21, 28, v20
	v_and_b32_e32 v14, 15, v14
	v_lshlrev_b32_e32 v21, v21, v15
	v_sub_u32_e32 v20, 29, v20
	v_and_b32_e32 v21, 7, v21
	v_cmp_eq_u16_e32 vcc, 0, v14
	v_cndmask_b32_e32 v10, v10, v21, vcc
	v_cndmask_b32_e32 v14, v14, v20, vcc
	v_lshlrev_b32_e32 v20, 24, v15
	v_mov_b32_e32 v21, 0x3b800000
	v_lshlrev_b32_e32 v10, 20, v10
	v_and_b32_e32 v20, 0x80000000, v20
	v_lshl_add_u32 v14, v14, 23, v21
	v_or3_b32 v10, v20, v14, v10
.LBB21_292:
	s_or_b64 exec, exec, s[6:7]
	s_movk_i32 s4, 0x7f
	v_cmp_gt_i16_sdwa s[6:7], v11, s4 src0_sel:BYTE_0 src1_sel:DWORD
	s_mov_b64 s[4:5], 0
                                        ; implicit-def: $sgpr10
	s_and_saveexec_b64 s[8:9], s[6:7]
	s_xor_b64 s[6:7], exec, s[8:9]
	s_cbranch_execnz .LBB21_2341
; %bb.293:
	s_or_saveexec_b64 s[6:7], s[6:7]
	v_mov_b32_e32 v14, s10
	s_xor_b64 exec, exec, s[6:7]
	s_cbranch_execnz .LBB21_2344
.LBB21_294:
	s_or_b64 exec, exec, s[6:7]
	s_and_saveexec_b64 s[6:7], s[4:5]
	s_cbranch_execz .LBB21_296
.LBB21_295:
	v_and_b32_e32 v14, 7, v11
	v_ffbh_u32_e32 v21, v14
	v_min_u32_e32 v21, 32, v21
	v_lshrrev_b16_e32 v20, 3, v11
	v_subrev_u32_e32 v22, 28, v21
	v_and_b32_e32 v20, 15, v20
	v_lshlrev_b32_e32 v22, v22, v11
	v_sub_u32_e32 v21, 29, v21
	v_and_b32_e32 v22, 7, v22
	v_cmp_eq_u16_e32 vcc, 0, v20
	v_cndmask_b32_e32 v14, v14, v22, vcc
	v_cndmask_b32_e32 v20, v20, v21, vcc
	v_lshlrev_b32_e32 v21, 24, v11
	v_mov_b32_e32 v22, 0x3b800000
	v_lshlrev_b32_e32 v14, 20, v14
	v_and_b32_e32 v21, 0x80000000, v21
	v_lshl_add_u32 v20, v20, 23, v22
	v_or3_b32 v14, v21, v20, v14
.LBB21_296:
	s_or_b64 exec, exec, s[6:7]
	s_nop 0
	v_mfma_f32_16x16x4f32 a[0:3], v10, v14, a[0:3]
	v_lshrrev_b32_e32 v14, 8, v15
	s_movk_i32 s4, 0x7f
	v_cmp_gt_i16_sdwa s[6:7], v14, s4 src0_sel:BYTE_0 src1_sel:DWORD
	s_mov_b64 s[4:5], 0
                                        ; implicit-def: $sgpr10
	s_and_saveexec_b64 s[8:9], s[6:7]
	s_xor_b64 s[6:7], exec, s[8:9]
	s_cbranch_execnz .LBB21_2345
; %bb.297:
	s_or_saveexec_b64 s[6:7], s[6:7]
	v_mov_b32_e32 v10, s10
	s_xor_b64 exec, exec, s[6:7]
	s_cbranch_execnz .LBB21_2348
.LBB21_298:
	s_or_b64 exec, exec, s[6:7]
	s_and_saveexec_b64 s[6:7], s[4:5]
	s_cbranch_execz .LBB21_300
.LBB21_299:
	v_bfe_u32 v10, v15, 8, 3
	v_ffbh_u32_e32 v21, v10
	v_min_u32_e32 v21, 32, v21
	v_lshrrev_b16_e32 v20, 3, v14
	v_subrev_u32_e32 v22, 28, v21
	v_and_b32_e32 v20, 15, v20
	v_lshlrev_b32_e32 v14, v22, v14
	v_sub_u32_e32 v21, 29, v21
	v_and_b32_e32 v14, 7, v14
	v_cmp_eq_u16_e32 vcc, 0, v20
	v_cndmask_b32_e32 v10, v10, v14, vcc
	v_cndmask_b32_e32 v14, v20, v21, vcc
	v_lshlrev_b32_e32 v20, 16, v15
	v_mov_b32_e32 v21, 0x3b800000
	v_lshlrev_b32_e32 v10, 20, v10
	v_and_b32_e32 v20, 0x80000000, v20
	v_lshl_add_u32 v14, v14, 23, v21
	v_or3_b32 v10, v20, v14, v10
.LBB21_300:
	s_or_b64 exec, exec, s[6:7]
	v_lshrrev_b32_e32 v14, 8, v11
	s_movk_i32 s4, 0x7f
	v_cmp_gt_i16_sdwa s[6:7], v14, s4 src0_sel:BYTE_0 src1_sel:DWORD
	s_mov_b64 s[4:5], 0
                                        ; implicit-def: $sgpr10
	s_and_saveexec_b64 s[8:9], s[6:7]
	s_xor_b64 s[6:7], exec, s[8:9]
	s_cbranch_execnz .LBB21_2349
; %bb.301:
	s_or_saveexec_b64 s[6:7], s[6:7]
	v_mov_b32_e32 v20, s10
	s_xor_b64 exec, exec, s[6:7]
	s_cbranch_execnz .LBB21_2352
.LBB21_302:
	s_or_b64 exec, exec, s[6:7]
	s_and_saveexec_b64 s[6:7], s[4:5]
	s_cbranch_execz .LBB21_304
.LBB21_303:
	v_bfe_u32 v20, v11, 8, 3
	v_ffbh_u32_e32 v22, v20
	v_min_u32_e32 v22, 32, v22
	v_lshrrev_b16_e32 v21, 3, v14
	v_subrev_u32_e32 v23, 28, v22
	v_and_b32_e32 v21, 15, v21
	v_lshlrev_b32_e32 v14, v23, v14
	v_sub_u32_e32 v22, 29, v22
	v_and_b32_e32 v14, 7, v14
	v_cmp_eq_u16_e32 vcc, 0, v21
	v_cndmask_b32_e32 v14, v20, v14, vcc
	v_cndmask_b32_e32 v20, v21, v22, vcc
	v_lshlrev_b32_e32 v21, 16, v11
	v_mov_b32_e32 v22, 0x3b800000
	v_lshlrev_b32_e32 v14, 20, v14
	v_and_b32_e32 v21, 0x80000000, v21
	v_lshl_add_u32 v20, v20, 23, v22
	v_or3_b32 v20, v21, v20, v14
.LBB21_304:
	s_or_b64 exec, exec, s[6:7]
	s_nop 0
	v_mfma_f32_16x16x4f32 a[0:3], v10, v20, a[0:3]
	s_movk_i32 s4, 0xff
	v_and_b32_sdwa v14, v15, s4 dst_sel:DWORD dst_unused:UNUSED_PAD src0_sel:WORD_1 src1_sel:DWORD
	s_movk_i32 s4, 0x7f
	v_cmp_lt_i16_e32 vcc, s4, v14
	s_mov_b64 s[4:5], 0
                                        ; implicit-def: $sgpr10
	s_and_saveexec_b64 s[6:7], vcc
	s_xor_b64 s[6:7], exec, s[6:7]
	s_cbranch_execnz .LBB21_2353
; %bb.305:
	s_or_saveexec_b64 s[6:7], s[6:7]
	v_mov_b32_e32 v10, s10
	s_xor_b64 exec, exec, s[6:7]
	s_cbranch_execnz .LBB21_2356
.LBB21_306:
	s_or_b64 exec, exec, s[6:7]
	s_and_saveexec_b64 s[6:7], s[4:5]
	s_cbranch_execz .LBB21_308
.LBB21_307:
	v_bfe_u32 v10, v15, 16, 3
	v_ffbh_u32_e32 v21, v10
	v_min_u32_e32 v21, 32, v21
	v_lshrrev_b32_e32 v14, 19, v15
	v_subrev_u32_e32 v22, 28, v21
	v_and_b32_e32 v14, 15, v14
	v_lshlrev_b32_sdwa v22, v22, v15 dst_sel:DWORD dst_unused:UNUSED_PAD src0_sel:DWORD src1_sel:WORD_1
	v_bfe_u32 v20, v15, 19, 4
	v_sub_u32_e32 v21, 29, v21
	v_and_b32_e32 v22, 7, v22
	v_cmp_eq_u16_e32 vcc, 0, v14
	v_cndmask_b32_e32 v10, v10, v22, vcc
	v_cndmask_b32_e32 v14, v20, v21, vcc
	v_lshlrev_b32_e32 v20, 8, v15
	v_mov_b32_e32 v21, 0x3b800000
	v_lshlrev_b32_e32 v10, 20, v10
	v_and_b32_e32 v20, 0x80000000, v20
	v_lshl_add_u32 v14, v14, 23, v21
	v_or3_b32 v10, v20, v14, v10
.LBB21_308:
	s_or_b64 exec, exec, s[6:7]
	s_movk_i32 s4, 0xff
	v_and_b32_sdwa v14, v11, s4 dst_sel:DWORD dst_unused:UNUSED_PAD src0_sel:WORD_1 src1_sel:DWORD
	s_movk_i32 s4, 0x7f
	v_cmp_lt_i16_e32 vcc, s4, v14
	s_mov_b64 s[4:5], 0
                                        ; implicit-def: $sgpr10
	s_and_saveexec_b64 s[6:7], vcc
	s_xor_b64 s[6:7], exec, s[6:7]
	s_cbranch_execnz .LBB21_2357
; %bb.309:
	s_or_saveexec_b64 s[6:7], s[6:7]
	v_mov_b32_e32 v20, s10
	s_xor_b64 exec, exec, s[6:7]
	s_cbranch_execnz .LBB21_2360
.LBB21_310:
	s_or_b64 exec, exec, s[6:7]
	s_and_saveexec_b64 s[6:7], s[4:5]
	s_cbranch_execz .LBB21_312
.LBB21_311:
	v_bfe_u32 v14, v11, 16, 3
	v_ffbh_u32_e32 v22, v14
	v_min_u32_e32 v22, 32, v22
	v_lshrrev_b32_e32 v20, 19, v11
	v_subrev_u32_e32 v23, 28, v22
	v_and_b32_e32 v20, 15, v20
	v_lshlrev_b32_sdwa v23, v23, v11 dst_sel:DWORD dst_unused:UNUSED_PAD src0_sel:DWORD src1_sel:WORD_1
	v_bfe_u32 v21, v11, 19, 4
	v_sub_u32_e32 v22, 29, v22
	v_and_b32_e32 v23, 7, v23
	v_cmp_eq_u16_e32 vcc, 0, v20
	v_cndmask_b32_e32 v14, v14, v23, vcc
	v_cndmask_b32_e32 v20, v21, v22, vcc
	v_lshlrev_b32_e32 v21, 8, v11
	v_mov_b32_e32 v22, 0x3b800000
	v_lshlrev_b32_e32 v14, 20, v14
	v_and_b32_e32 v21, 0x80000000, v21
	v_lshl_add_u32 v20, v20, 23, v22
	v_or3_b32 v20, v21, v20, v14
.LBB21_312:
	s_or_b64 exec, exec, s[6:7]
	s_nop 0
	v_mfma_f32_16x16x4f32 a[0:3], v10, v20, a[0:3]
	s_movk_i32 s4, 0x7f
	v_cmp_gt_i16_sdwa s[6:7], v15, s4 src0_sel:BYTE_3 src1_sel:DWORD
	s_mov_b64 s[4:5], 0
                                        ; implicit-def: $sgpr10
	s_and_saveexec_b64 s[8:9], s[6:7]
	s_xor_b64 s[6:7], exec, s[8:9]
	s_cbranch_execnz .LBB21_2361
; %bb.313:
	s_or_saveexec_b64 s[6:7], s[6:7]
	v_mov_b32_e32 v10, s10
	s_xor_b64 exec, exec, s[6:7]
	s_cbranch_execnz .LBB21_2364
.LBB21_314:
	s_or_b64 exec, exec, s[6:7]
	s_and_saveexec_b64 s[6:7], s[4:5]
	s_cbranch_execz .LBB21_316
.LBB21_315:
	v_bfe_u32 v10, v15, 24, 3
	v_ffbh_u32_e32 v22, v10
	v_min_u32_e32 v22, 32, v22
	v_lshrrev_b32_e32 v20, 27, v15
	v_subrev_u32_e32 v23, 28, v22
	v_and_b32_e32 v14, 0x80000000, v15
	v_and_b32_e32 v20, 15, v20
	v_bfe_u32 v21, v15, 27, 4
	v_lshlrev_b32_sdwa v15, v23, v15 dst_sel:DWORD dst_unused:UNUSED_PAD src0_sel:DWORD src1_sel:BYTE_3
	v_sub_u32_e32 v22, 29, v22
	v_and_b32_e32 v15, 7, v15
	v_cmp_eq_u16_e32 vcc, 0, v20
	v_cndmask_b32_e32 v10, v10, v15, vcc
	v_cndmask_b32_e32 v15, v21, v22, vcc
	v_mov_b32_e32 v20, 0x3b800000
	v_lshlrev_b32_e32 v10, 20, v10
	v_lshl_add_u32 v15, v15, 23, v20
	v_or3_b32 v10, v14, v15, v10
.LBB21_316:
	s_or_b64 exec, exec, s[6:7]
	s_movk_i32 s4, 0x7f
	v_cmp_gt_i16_sdwa s[6:7], v11, s4 src0_sel:BYTE_3 src1_sel:DWORD
	s_mov_b64 s[4:5], 0
                                        ; implicit-def: $sgpr10
	s_and_saveexec_b64 s[8:9], s[6:7]
	s_xor_b64 s[6:7], exec, s[8:9]
	s_cbranch_execnz .LBB21_2365
; %bb.317:
	s_or_saveexec_b64 s[6:7], s[6:7]
	v_mov_b32_e32 v14, s10
	s_xor_b64 exec, exec, s[6:7]
	s_cbranch_execnz .LBB21_2368
.LBB21_318:
	s_or_b64 exec, exec, s[6:7]
	s_and_saveexec_b64 s[6:7], s[4:5]
	s_cbranch_execz .LBB21_320
.LBB21_319:
	v_bfe_u32 v14, v11, 24, 3
	v_ffbh_u32_e32 v22, v14
	v_min_u32_e32 v22, 32, v22
	v_lshrrev_b32_e32 v20, 27, v11
	v_subrev_u32_e32 v23, 28, v22
	v_and_b32_e32 v15, 0x80000000, v11
	v_and_b32_e32 v20, 15, v20
	v_bfe_u32 v21, v11, 27, 4
	v_lshlrev_b32_sdwa v11, v23, v11 dst_sel:DWORD dst_unused:UNUSED_PAD src0_sel:DWORD src1_sel:BYTE_3
	v_sub_u32_e32 v22, 29, v22
	v_and_b32_e32 v11, 7, v11
	v_cmp_eq_u16_e32 vcc, 0, v20
	v_cndmask_b32_e32 v11, v14, v11, vcc
	v_cndmask_b32_e32 v14, v21, v22, vcc
	v_mov_b32_e32 v20, 0x3b800000
	v_lshlrev_b32_e32 v11, 20, v11
	v_lshl_add_u32 v14, v14, 23, v20
	v_or3_b32 v14, v15, v14, v11
.LBB21_320:
	s_or_b64 exec, exec, s[6:7]
	s_nop 0
	v_mfma_f32_16x16x4f32 a[0:3], v10, v14, a[0:3]
	s_movk_i32 s4, 0x7f
	v_cmp_gt_i16_sdwa s[6:7], v16, s4 src0_sel:BYTE_0 src1_sel:DWORD
	s_mov_b64 s[4:5], 0
                                        ; implicit-def: $sgpr10
	s_and_saveexec_b64 s[8:9], s[6:7]
	s_xor_b64 s[6:7], exec, s[8:9]
	s_cbranch_execnz .LBB21_2369
; %bb.321:
	s_or_saveexec_b64 s[6:7], s[6:7]
	v_mov_b32_e32 v10, s10
	s_xor_b64 exec, exec, s[6:7]
	s_cbranch_execnz .LBB21_2372
.LBB21_322:
	s_or_b64 exec, exec, s[6:7]
	s_and_saveexec_b64 s[6:7], s[4:5]
	s_cbranch_execz .LBB21_324
.LBB21_323:
	v_and_b32_e32 v10, 7, v16
	v_ffbh_u32_e32 v14, v10
	v_min_u32_e32 v14, 32, v14
	v_lshrrev_b16_e32 v11, 3, v16
	v_subrev_u32_e32 v15, 28, v14
	v_and_b32_e32 v11, 15, v11
	v_lshlrev_b32_e32 v15, v15, v16
	v_sub_u32_e32 v14, 29, v14
	v_and_b32_e32 v15, 7, v15
	v_cmp_eq_u16_e32 vcc, 0, v11
	v_cndmask_b32_e32 v10, v10, v15, vcc
	v_cndmask_b32_e32 v11, v11, v14, vcc
	v_lshlrev_b32_e32 v14, 24, v16
	v_mov_b32_e32 v15, 0x3b800000
	v_lshlrev_b32_e32 v10, 20, v10
	v_and_b32_e32 v14, 0x80000000, v14
	v_lshl_add_u32 v11, v11, 23, v15
	v_or3_b32 v10, v14, v11, v10
.LBB21_324:
	s_or_b64 exec, exec, s[6:7]
	s_movk_i32 s4, 0x7f
	v_cmp_gt_i16_sdwa s[6:7], v12, s4 src0_sel:BYTE_0 src1_sel:DWORD
	s_mov_b64 s[4:5], 0
                                        ; implicit-def: $sgpr10
	s_and_saveexec_b64 s[8:9], s[6:7]
	s_xor_b64 s[6:7], exec, s[8:9]
	s_cbranch_execnz .LBB21_2373
; %bb.325:
	s_or_saveexec_b64 s[6:7], s[6:7]
	v_mov_b32_e32 v11, s10
	s_xor_b64 exec, exec, s[6:7]
	s_cbranch_execnz .LBB21_2376
.LBB21_326:
	s_or_b64 exec, exec, s[6:7]
	s_and_saveexec_b64 s[6:7], s[4:5]
	s_cbranch_execz .LBB21_328
.LBB21_327:
	v_and_b32_e32 v11, 7, v12
	v_ffbh_u32_e32 v15, v11
	v_min_u32_e32 v15, 32, v15
	v_lshrrev_b16_e32 v14, 3, v12
	v_subrev_u32_e32 v20, 28, v15
	v_and_b32_e32 v14, 15, v14
	v_lshlrev_b32_e32 v20, v20, v12
	v_sub_u32_e32 v15, 29, v15
	v_and_b32_e32 v20, 7, v20
	v_cmp_eq_u16_e32 vcc, 0, v14
	v_cndmask_b32_e32 v11, v11, v20, vcc
	v_cndmask_b32_e32 v14, v14, v15, vcc
	v_lshlrev_b32_e32 v15, 24, v12
	v_mov_b32_e32 v20, 0x3b800000
	v_lshlrev_b32_e32 v11, 20, v11
	v_and_b32_e32 v15, 0x80000000, v15
	v_lshl_add_u32 v14, v14, 23, v20
	v_or3_b32 v11, v15, v14, v11
.LBB21_328:
	s_or_b64 exec, exec, s[6:7]
	s_nop 0
	v_mfma_f32_16x16x4f32 a[0:3], v10, v11, a[0:3]
	v_lshrrev_b32_e32 v11, 8, v16
	s_movk_i32 s4, 0x7f
	v_cmp_gt_i16_sdwa s[6:7], v11, s4 src0_sel:BYTE_0 src1_sel:DWORD
	s_mov_b64 s[4:5], 0
                                        ; implicit-def: $sgpr10
	s_and_saveexec_b64 s[8:9], s[6:7]
	s_xor_b64 s[6:7], exec, s[8:9]
	s_cbranch_execnz .LBB21_2377
; %bb.329:
	s_or_saveexec_b64 s[6:7], s[6:7]
	v_mov_b32_e32 v10, s10
	s_xor_b64 exec, exec, s[6:7]
	s_cbranch_execnz .LBB21_2380
.LBB21_330:
	s_or_b64 exec, exec, s[6:7]
	s_and_saveexec_b64 s[6:7], s[4:5]
	s_cbranch_execz .LBB21_332
.LBB21_331:
	v_bfe_u32 v10, v16, 8, 3
	v_ffbh_u32_e32 v15, v10
	v_min_u32_e32 v15, 32, v15
	v_lshrrev_b16_e32 v14, 3, v11
	v_subrev_u32_e32 v20, 28, v15
	v_and_b32_e32 v14, 15, v14
	v_lshlrev_b32_e32 v11, v20, v11
	v_sub_u32_e32 v15, 29, v15
	v_and_b32_e32 v11, 7, v11
	v_cmp_eq_u16_e32 vcc, 0, v14
	v_cndmask_b32_e32 v10, v10, v11, vcc
	v_cndmask_b32_e32 v11, v14, v15, vcc
	v_lshlrev_b32_e32 v14, 16, v16
	v_mov_b32_e32 v15, 0x3b800000
	v_lshlrev_b32_e32 v10, 20, v10
	v_and_b32_e32 v14, 0x80000000, v14
	v_lshl_add_u32 v11, v11, 23, v15
	v_or3_b32 v10, v14, v11, v10
.LBB21_332:
	s_or_b64 exec, exec, s[6:7]
	v_lshrrev_b32_e32 v11, 8, v12
	s_movk_i32 s4, 0x7f
	v_cmp_gt_i16_sdwa s[6:7], v11, s4 src0_sel:BYTE_0 src1_sel:DWORD
	s_mov_b64 s[4:5], 0
                                        ; implicit-def: $sgpr10
	s_and_saveexec_b64 s[8:9], s[6:7]
	s_xor_b64 s[6:7], exec, s[8:9]
	s_cbranch_execnz .LBB21_2381
; %bb.333:
	s_or_saveexec_b64 s[6:7], s[6:7]
	v_mov_b32_e32 v14, s10
	s_xor_b64 exec, exec, s[6:7]
	s_cbranch_execnz .LBB21_2384
.LBB21_334:
	s_or_b64 exec, exec, s[6:7]
	s_and_saveexec_b64 s[6:7], s[4:5]
	s_cbranch_execz .LBB21_336
.LBB21_335:
	v_bfe_u32 v14, v12, 8, 3
	v_ffbh_u32_e32 v20, v14
	v_min_u32_e32 v20, 32, v20
	v_lshrrev_b16_e32 v15, 3, v11
	v_subrev_u32_e32 v21, 28, v20
	v_and_b32_e32 v15, 15, v15
	v_lshlrev_b32_e32 v11, v21, v11
	v_sub_u32_e32 v20, 29, v20
	v_and_b32_e32 v11, 7, v11
	v_cmp_eq_u16_e32 vcc, 0, v15
	v_cndmask_b32_e32 v11, v14, v11, vcc
	v_cndmask_b32_e32 v14, v15, v20, vcc
	v_lshlrev_b32_e32 v15, 16, v12
	v_mov_b32_e32 v20, 0x3b800000
	v_lshlrev_b32_e32 v11, 20, v11
	v_and_b32_e32 v15, 0x80000000, v15
	v_lshl_add_u32 v14, v14, 23, v20
	v_or3_b32 v14, v15, v14, v11
.LBB21_336:
	s_or_b64 exec, exec, s[6:7]
	s_nop 0
	v_mfma_f32_16x16x4f32 a[0:3], v10, v14, a[0:3]
	s_movk_i32 s4, 0xff
	v_and_b32_sdwa v11, v16, s4 dst_sel:DWORD dst_unused:UNUSED_PAD src0_sel:WORD_1 src1_sel:DWORD
	s_movk_i32 s4, 0x7f
	v_cmp_lt_i16_e32 vcc, s4, v11
	s_mov_b64 s[4:5], 0
                                        ; implicit-def: $sgpr10
	s_and_saveexec_b64 s[6:7], vcc
	s_xor_b64 s[6:7], exec, s[6:7]
	s_cbranch_execnz .LBB21_2385
; %bb.337:
	s_or_saveexec_b64 s[6:7], s[6:7]
	v_mov_b32_e32 v10, s10
	s_xor_b64 exec, exec, s[6:7]
	s_cbranch_execnz .LBB21_2388
.LBB21_338:
	s_or_b64 exec, exec, s[6:7]
	s_and_saveexec_b64 s[6:7], s[4:5]
	s_cbranch_execz .LBB21_340
.LBB21_339:
	v_bfe_u32 v10, v16, 16, 3
	v_ffbh_u32_e32 v15, v10
	v_min_u32_e32 v15, 32, v15
	v_lshrrev_b32_e32 v11, 19, v16
	v_subrev_u32_e32 v20, 28, v15
	v_and_b32_e32 v11, 15, v11
	v_lshlrev_b32_sdwa v20, v20, v16 dst_sel:DWORD dst_unused:UNUSED_PAD src0_sel:DWORD src1_sel:WORD_1
	v_bfe_u32 v14, v16, 19, 4
	v_sub_u32_e32 v15, 29, v15
	v_and_b32_e32 v20, 7, v20
	v_cmp_eq_u16_e32 vcc, 0, v11
	v_cndmask_b32_e32 v10, v10, v20, vcc
	v_cndmask_b32_e32 v11, v14, v15, vcc
	v_lshlrev_b32_e32 v14, 8, v16
	v_mov_b32_e32 v15, 0x3b800000
	v_lshlrev_b32_e32 v10, 20, v10
	v_and_b32_e32 v14, 0x80000000, v14
	v_lshl_add_u32 v11, v11, 23, v15
	v_or3_b32 v10, v14, v11, v10
.LBB21_340:
	s_or_b64 exec, exec, s[6:7]
	s_movk_i32 s4, 0xff
	v_and_b32_sdwa v11, v12, s4 dst_sel:DWORD dst_unused:UNUSED_PAD src0_sel:WORD_1 src1_sel:DWORD
	s_movk_i32 s4, 0x7f
	v_cmp_lt_i16_e32 vcc, s4, v11
	s_mov_b64 s[4:5], 0
                                        ; implicit-def: $sgpr10
	s_and_saveexec_b64 s[6:7], vcc
	s_xor_b64 s[6:7], exec, s[6:7]
	s_cbranch_execnz .LBB21_2389
; %bb.341:
	s_or_saveexec_b64 s[6:7], s[6:7]
	v_mov_b32_e32 v14, s10
	s_xor_b64 exec, exec, s[6:7]
	s_cbranch_execnz .LBB21_2392
.LBB21_342:
	s_or_b64 exec, exec, s[6:7]
	s_and_saveexec_b64 s[6:7], s[4:5]
	s_cbranch_execz .LBB21_344
.LBB21_343:
	v_bfe_u32 v11, v12, 16, 3
	v_ffbh_u32_e32 v20, v11
	v_min_u32_e32 v20, 32, v20
	v_lshrrev_b32_e32 v14, 19, v12
	v_subrev_u32_e32 v21, 28, v20
	v_and_b32_e32 v14, 15, v14
	v_lshlrev_b32_sdwa v21, v21, v12 dst_sel:DWORD dst_unused:UNUSED_PAD src0_sel:DWORD src1_sel:WORD_1
	v_bfe_u32 v15, v12, 19, 4
	v_sub_u32_e32 v20, 29, v20
	v_and_b32_e32 v21, 7, v21
	v_cmp_eq_u16_e32 vcc, 0, v14
	v_cndmask_b32_e32 v11, v11, v21, vcc
	v_cndmask_b32_e32 v14, v15, v20, vcc
	v_lshlrev_b32_e32 v15, 8, v12
	v_mov_b32_e32 v20, 0x3b800000
	v_lshlrev_b32_e32 v11, 20, v11
	v_and_b32_e32 v15, 0x80000000, v15
	v_lshl_add_u32 v14, v14, 23, v20
	v_or3_b32 v14, v15, v14, v11
.LBB21_344:
	s_or_b64 exec, exec, s[6:7]
	s_nop 0
	v_mfma_f32_16x16x4f32 a[0:3], v10, v14, a[0:3]
	s_movk_i32 s4, 0x7f
	v_cmp_gt_i16_sdwa s[6:7], v16, s4 src0_sel:BYTE_3 src1_sel:DWORD
	s_mov_b64 s[4:5], 0
                                        ; implicit-def: $sgpr10
	s_and_saveexec_b64 s[8:9], s[6:7]
	s_xor_b64 s[6:7], exec, s[8:9]
	s_cbranch_execnz .LBB21_2393
; %bb.345:
	s_or_saveexec_b64 s[6:7], s[6:7]
	v_mov_b32_e32 v10, s10
	s_xor_b64 exec, exec, s[6:7]
	s_cbranch_execnz .LBB21_2396
.LBB21_346:
	s_or_b64 exec, exec, s[6:7]
	s_and_saveexec_b64 s[6:7], s[4:5]
	s_cbranch_execz .LBB21_348
.LBB21_347:
	v_bfe_u32 v10, v16, 24, 3
	v_ffbh_u32_e32 v20, v10
	v_min_u32_e32 v20, 32, v20
	v_lshrrev_b32_e32 v14, 27, v16
	v_subrev_u32_e32 v21, 28, v20
	v_and_b32_e32 v11, 0x80000000, v16
	v_and_b32_e32 v14, 15, v14
	v_bfe_u32 v15, v16, 27, 4
	v_lshlrev_b32_sdwa v16, v21, v16 dst_sel:DWORD dst_unused:UNUSED_PAD src0_sel:DWORD src1_sel:BYTE_3
	v_sub_u32_e32 v20, 29, v20
	v_and_b32_e32 v16, 7, v16
	v_cmp_eq_u16_e32 vcc, 0, v14
	v_cndmask_b32_e32 v10, v10, v16, vcc
	v_cndmask_b32_e32 v14, v15, v20, vcc
	v_mov_b32_e32 v15, 0x3b800000
	v_lshlrev_b32_e32 v10, 20, v10
	v_lshl_add_u32 v14, v14, 23, v15
	v_or3_b32 v10, v11, v14, v10
.LBB21_348:
	s_or_b64 exec, exec, s[6:7]
	s_movk_i32 s4, 0x7f
	v_cmp_gt_i16_sdwa s[6:7], v12, s4 src0_sel:BYTE_3 src1_sel:DWORD
	s_mov_b64 s[4:5], 0
                                        ; implicit-def: $sgpr10
	s_and_saveexec_b64 s[8:9], s[6:7]
	s_xor_b64 s[6:7], exec, s[8:9]
	s_cbranch_execnz .LBB21_2397
; %bb.349:
	s_or_saveexec_b64 s[6:7], s[6:7]
	v_mov_b32_e32 v11, s10
	s_xor_b64 exec, exec, s[6:7]
	s_cbranch_execnz .LBB21_2400
.LBB21_350:
	s_or_b64 exec, exec, s[6:7]
	s_and_saveexec_b64 s[6:7], s[4:5]
	s_cbranch_execz .LBB21_352
.LBB21_351:
	v_bfe_u32 v11, v12, 24, 3
	v_ffbh_u32_e32 v20, v11
	v_min_u32_e32 v20, 32, v20
	v_lshrrev_b32_e32 v15, 27, v12
	v_subrev_u32_e32 v21, 28, v20
	v_and_b32_e32 v14, 0x80000000, v12
	v_and_b32_e32 v15, 15, v15
	v_bfe_u32 v16, v12, 27, 4
	v_lshlrev_b32_sdwa v12, v21, v12 dst_sel:DWORD dst_unused:UNUSED_PAD src0_sel:DWORD src1_sel:BYTE_3
	v_sub_u32_e32 v20, 29, v20
	v_and_b32_e32 v12, 7, v12
	v_cmp_eq_u16_e32 vcc, 0, v15
	v_cndmask_b32_e32 v11, v11, v12, vcc
	v_cndmask_b32_e32 v12, v16, v20, vcc
	v_mov_b32_e32 v15, 0x3b800000
	v_lshlrev_b32_e32 v11, 20, v11
	v_lshl_add_u32 v12, v12, 23, v15
	v_or3_b32 v11, v14, v12, v11
.LBB21_352:
	s_or_b64 exec, exec, s[6:7]
	s_nop 0
	v_mfma_f32_16x16x4f32 a[0:3], v10, v11, a[0:3]
	s_movk_i32 s4, 0x7f
	v_cmp_gt_i16_sdwa s[6:7], v17, s4 src0_sel:BYTE_0 src1_sel:DWORD
	s_mov_b64 s[4:5], 0
                                        ; implicit-def: $sgpr10
	s_and_saveexec_b64 s[8:9], s[6:7]
	s_xor_b64 s[6:7], exec, s[8:9]
	s_cbranch_execnz .LBB21_2401
; %bb.353:
	s_or_saveexec_b64 s[6:7], s[6:7]
	v_mov_b32_e32 v10, s10
	s_xor_b64 exec, exec, s[6:7]
	s_cbranch_execnz .LBB21_2404
.LBB21_354:
	s_or_b64 exec, exec, s[6:7]
	s_and_saveexec_b64 s[6:7], s[4:5]
	s_cbranch_execz .LBB21_356
.LBB21_355:
	v_and_b32_e32 v10, 7, v17
	v_ffbh_u32_e32 v12, v10
	v_min_u32_e32 v12, 32, v12
	v_lshrrev_b16_e32 v11, 3, v17
	v_subrev_u32_e32 v14, 28, v12
	v_and_b32_e32 v11, 15, v11
	v_lshlrev_b32_e32 v14, v14, v17
	v_sub_u32_e32 v12, 29, v12
	v_and_b32_e32 v14, 7, v14
	v_cmp_eq_u16_e32 vcc, 0, v11
	v_cndmask_b32_e32 v10, v10, v14, vcc
	v_cndmask_b32_e32 v11, v11, v12, vcc
	v_lshlrev_b32_e32 v12, 24, v17
	v_mov_b32_e32 v14, 0x3b800000
	v_lshlrev_b32_e32 v10, 20, v10
	v_and_b32_e32 v12, 0x80000000, v12
	v_lshl_add_u32 v11, v11, 23, v14
	v_or3_b32 v10, v12, v11, v10
.LBB21_356:
	s_or_b64 exec, exec, s[6:7]
	s_movk_i32 s4, 0x7f
	v_cmp_gt_i16_sdwa s[6:7], v13, s4 src0_sel:BYTE_0 src1_sel:DWORD
	s_mov_b64 s[4:5], 0
                                        ; implicit-def: $sgpr10
	s_and_saveexec_b64 s[8:9], s[6:7]
	s_xor_b64 s[6:7], exec, s[8:9]
	s_cbranch_execnz .LBB21_2405
; %bb.357:
	s_or_saveexec_b64 s[6:7], s[6:7]
	v_mov_b32_e32 v11, s10
	s_xor_b64 exec, exec, s[6:7]
	s_cbranch_execnz .LBB21_2408
.LBB21_358:
	s_or_b64 exec, exec, s[6:7]
	s_and_saveexec_b64 s[6:7], s[4:5]
	s_cbranch_execz .LBB21_360
.LBB21_359:
	v_and_b32_e32 v11, 7, v13
	v_ffbh_u32_e32 v14, v11
	v_min_u32_e32 v14, 32, v14
	v_lshrrev_b16_e32 v12, 3, v13
	v_subrev_u32_e32 v15, 28, v14
	v_and_b32_e32 v12, 15, v12
	v_lshlrev_b32_e32 v15, v15, v13
	v_sub_u32_e32 v14, 29, v14
	v_and_b32_e32 v15, 7, v15
	v_cmp_eq_u16_e32 vcc, 0, v12
	v_cndmask_b32_e32 v11, v11, v15, vcc
	v_cndmask_b32_e32 v12, v12, v14, vcc
	v_lshlrev_b32_e32 v14, 24, v13
	v_mov_b32_e32 v15, 0x3b800000
	v_lshlrev_b32_e32 v11, 20, v11
	v_and_b32_e32 v14, 0x80000000, v14
	v_lshl_add_u32 v12, v12, 23, v15
	v_or3_b32 v11, v14, v12, v11
.LBB21_360:
	s_or_b64 exec, exec, s[6:7]
	s_nop 0
	v_mfma_f32_16x16x4f32 a[0:3], v10, v11, a[0:3]
	v_lshrrev_b32_e32 v11, 8, v17
	s_movk_i32 s4, 0x7f
	v_cmp_gt_i16_sdwa s[6:7], v11, s4 src0_sel:BYTE_0 src1_sel:DWORD
	s_mov_b64 s[4:5], 0
                                        ; implicit-def: $sgpr10
	s_and_saveexec_b64 s[8:9], s[6:7]
	s_xor_b64 s[6:7], exec, s[8:9]
	s_cbranch_execnz .LBB21_2409
; %bb.361:
	s_or_saveexec_b64 s[6:7], s[6:7]
	v_mov_b32_e32 v10, s10
	s_xor_b64 exec, exec, s[6:7]
	s_cbranch_execnz .LBB21_2412
.LBB21_362:
	s_or_b64 exec, exec, s[6:7]
	s_and_saveexec_b64 s[6:7], s[4:5]
	s_cbranch_execz .LBB21_364
.LBB21_363:
	v_bfe_u32 v10, v17, 8, 3
	v_ffbh_u32_e32 v14, v10
	v_min_u32_e32 v14, 32, v14
	v_lshrrev_b16_e32 v12, 3, v11
	v_subrev_u32_e32 v15, 28, v14
	v_and_b32_e32 v12, 15, v12
	v_lshlrev_b32_e32 v11, v15, v11
	v_sub_u32_e32 v14, 29, v14
	v_and_b32_e32 v11, 7, v11
	v_cmp_eq_u16_e32 vcc, 0, v12
	v_cndmask_b32_e32 v10, v10, v11, vcc
	v_cndmask_b32_e32 v11, v12, v14, vcc
	v_lshlrev_b32_e32 v12, 16, v17
	v_mov_b32_e32 v14, 0x3b800000
	v_lshlrev_b32_e32 v10, 20, v10
	v_and_b32_e32 v12, 0x80000000, v12
	v_lshl_add_u32 v11, v11, 23, v14
	v_or3_b32 v10, v12, v11, v10
.LBB21_364:
	s_or_b64 exec, exec, s[6:7]
	v_lshrrev_b32_e32 v11, 8, v13
	s_movk_i32 s4, 0x7f
	v_cmp_gt_i16_sdwa s[6:7], v11, s4 src0_sel:BYTE_0 src1_sel:DWORD
	s_mov_b64 s[4:5], 0
                                        ; implicit-def: $sgpr10
	s_and_saveexec_b64 s[8:9], s[6:7]
	s_xor_b64 s[6:7], exec, s[8:9]
	s_cbranch_execnz .LBB21_2413
; %bb.365:
	s_or_saveexec_b64 s[6:7], s[6:7]
	v_mov_b32_e32 v12, s10
	s_xor_b64 exec, exec, s[6:7]
	s_cbranch_execnz .LBB21_2416
.LBB21_366:
	s_or_b64 exec, exec, s[6:7]
	s_and_saveexec_b64 s[6:7], s[4:5]
	s_cbranch_execz .LBB21_368
.LBB21_367:
	v_bfe_u32 v12, v13, 8, 3
	v_ffbh_u32_e32 v15, v12
	v_min_u32_e32 v15, 32, v15
	v_lshrrev_b16_e32 v14, 3, v11
	v_subrev_u32_e32 v16, 28, v15
	v_and_b32_e32 v14, 15, v14
	v_lshlrev_b32_e32 v11, v16, v11
	v_sub_u32_e32 v15, 29, v15
	v_and_b32_e32 v11, 7, v11
	v_cmp_eq_u16_e32 vcc, 0, v14
	v_cndmask_b32_e32 v11, v12, v11, vcc
	v_cndmask_b32_e32 v12, v14, v15, vcc
	v_lshlrev_b32_e32 v14, 16, v13
	v_mov_b32_e32 v15, 0x3b800000
	v_lshlrev_b32_e32 v11, 20, v11
	v_and_b32_e32 v14, 0x80000000, v14
	v_lshl_add_u32 v12, v12, 23, v15
	v_or3_b32 v12, v14, v12, v11
.LBB21_368:
	s_or_b64 exec, exec, s[6:7]
	s_nop 0
	v_mfma_f32_16x16x4f32 a[0:3], v10, v12, a[0:3]
	s_movk_i32 s4, 0xff
	v_and_b32_sdwa v11, v17, s4 dst_sel:DWORD dst_unused:UNUSED_PAD src0_sel:WORD_1 src1_sel:DWORD
	s_movk_i32 s4, 0x7f
	v_cmp_lt_i16_e32 vcc, s4, v11
	s_mov_b64 s[4:5], 0
                                        ; implicit-def: $sgpr10
	s_and_saveexec_b64 s[6:7], vcc
	s_xor_b64 s[6:7], exec, s[6:7]
	s_cbranch_execnz .LBB21_2417
; %bb.369:
	s_or_saveexec_b64 s[6:7], s[6:7]
	v_mov_b32_e32 v10, s10
	s_xor_b64 exec, exec, s[6:7]
	s_cbranch_execnz .LBB21_2420
.LBB21_370:
	s_or_b64 exec, exec, s[6:7]
	s_and_saveexec_b64 s[6:7], s[4:5]
	s_cbranch_execz .LBB21_372
.LBB21_371:
	v_bfe_u32 v10, v17, 16, 3
	v_ffbh_u32_e32 v14, v10
	v_min_u32_e32 v14, 32, v14
	v_lshrrev_b32_e32 v11, 19, v17
	v_subrev_u32_e32 v15, 28, v14
	v_and_b32_e32 v11, 15, v11
	v_lshlrev_b32_sdwa v15, v15, v17 dst_sel:DWORD dst_unused:UNUSED_PAD src0_sel:DWORD src1_sel:WORD_1
	v_bfe_u32 v12, v17, 19, 4
	v_sub_u32_e32 v14, 29, v14
	v_and_b32_e32 v15, 7, v15
	v_cmp_eq_u16_e32 vcc, 0, v11
	v_cndmask_b32_e32 v10, v10, v15, vcc
	v_cndmask_b32_e32 v11, v12, v14, vcc
	v_lshlrev_b32_e32 v12, 8, v17
	v_mov_b32_e32 v14, 0x3b800000
	v_lshlrev_b32_e32 v10, 20, v10
	v_and_b32_e32 v12, 0x80000000, v12
	v_lshl_add_u32 v11, v11, 23, v14
	v_or3_b32 v10, v12, v11, v10
.LBB21_372:
	s_or_b64 exec, exec, s[6:7]
	s_movk_i32 s4, 0xff
	v_and_b32_sdwa v11, v13, s4 dst_sel:DWORD dst_unused:UNUSED_PAD src0_sel:WORD_1 src1_sel:DWORD
	s_movk_i32 s4, 0x7f
	v_cmp_lt_i16_e32 vcc, s4, v11
	s_mov_b64 s[4:5], 0
                                        ; implicit-def: $sgpr10
	s_and_saveexec_b64 s[6:7], vcc
	s_xor_b64 s[6:7], exec, s[6:7]
	s_cbranch_execnz .LBB21_2421
; %bb.373:
	s_or_saveexec_b64 s[6:7], s[6:7]
	v_mov_b32_e32 v12, s10
	s_xor_b64 exec, exec, s[6:7]
	s_cbranch_execnz .LBB21_2424
.LBB21_374:
	s_or_b64 exec, exec, s[6:7]
	s_and_saveexec_b64 s[6:7], s[4:5]
	s_cbranch_execz .LBB21_376
.LBB21_375:
	v_bfe_u32 v11, v13, 16, 3
	v_ffbh_u32_e32 v15, v11
	v_min_u32_e32 v15, 32, v15
	v_lshrrev_b32_e32 v12, 19, v13
	v_subrev_u32_e32 v16, 28, v15
	v_and_b32_e32 v12, 15, v12
	v_lshlrev_b32_sdwa v16, v16, v13 dst_sel:DWORD dst_unused:UNUSED_PAD src0_sel:DWORD src1_sel:WORD_1
	v_bfe_u32 v14, v13, 19, 4
	v_sub_u32_e32 v15, 29, v15
	v_and_b32_e32 v16, 7, v16
	v_cmp_eq_u16_e32 vcc, 0, v12
	v_cndmask_b32_e32 v11, v11, v16, vcc
	v_cndmask_b32_e32 v12, v14, v15, vcc
	v_lshlrev_b32_e32 v14, 8, v13
	v_mov_b32_e32 v15, 0x3b800000
	v_lshlrev_b32_e32 v11, 20, v11
	v_and_b32_e32 v14, 0x80000000, v14
	v_lshl_add_u32 v12, v12, 23, v15
	v_or3_b32 v12, v14, v12, v11
.LBB21_376:
	s_or_b64 exec, exec, s[6:7]
	s_nop 0
	v_mfma_f32_16x16x4f32 a[0:3], v10, v12, a[0:3]
	s_movk_i32 s4, 0x7f
	v_cmp_gt_i16_sdwa s[6:7], v17, s4 src0_sel:BYTE_3 src1_sel:DWORD
	s_mov_b64 s[4:5], 0
                                        ; implicit-def: $sgpr10
	s_and_saveexec_b64 s[8:9], s[6:7]
	s_xor_b64 s[6:7], exec, s[8:9]
	s_cbranch_execnz .LBB21_2425
; %bb.377:
	s_or_saveexec_b64 s[6:7], s[6:7]
	v_mov_b32_e32 v10, s10
	s_xor_b64 exec, exec, s[6:7]
	s_cbranch_execnz .LBB21_2428
.LBB21_378:
	s_or_b64 exec, exec, s[6:7]
	s_and_saveexec_b64 s[6:7], s[4:5]
	s_cbranch_execz .LBB21_380
.LBB21_379:
	v_bfe_u32 v10, v17, 24, 3
	v_ffbh_u32_e32 v15, v10
	v_min_u32_e32 v15, 32, v15
	v_lshrrev_b32_e32 v12, 27, v17
	v_subrev_u32_e32 v16, 28, v15
	v_and_b32_e32 v12, 15, v12
	v_lshlrev_b32_sdwa v16, v16, v17 dst_sel:DWORD dst_unused:UNUSED_PAD src0_sel:DWORD src1_sel:BYTE_3
	v_bfe_u32 v14, v17, 27, 4
	v_sub_u32_e32 v15, 29, v15
	v_and_b32_e32 v16, 7, v16
	v_cmp_eq_u16_e32 vcc, 0, v12
	v_cndmask_b32_e32 v10, v10, v16, vcc
	v_cndmask_b32_e32 v12, v14, v15, vcc
	v_mov_b32_e32 v14, 0x3b800000
	v_and_b32_e32 v11, 0x80000000, v17
	v_lshlrev_b32_e32 v10, 20, v10
	v_lshl_add_u32 v12, v12, 23, v14
	v_or3_b32 v10, v11, v12, v10
.LBB21_380:
	s_or_b64 exec, exec, s[6:7]
	s_movk_i32 s4, 0x7f
	v_cmp_gt_i16_sdwa s[6:7], v13, s4 src0_sel:BYTE_3 src1_sel:DWORD
	s_mov_b64 s[4:5], 0
                                        ; implicit-def: $sgpr10
	s_and_saveexec_b64 s[8:9], s[6:7]
	s_xor_b64 s[6:7], exec, s[8:9]
	s_cbranch_execnz .LBB21_2429
; %bb.381:
	s_or_saveexec_b64 s[6:7], s[6:7]
	v_mov_b32_e32 v11, s10
	s_xor_b64 exec, exec, s[6:7]
	s_cbranch_execnz .LBB21_2432
.LBB21_382:
	s_or_b64 exec, exec, s[6:7]
	s_and_saveexec_b64 s[6:7], s[4:5]
	s_cbranch_execz .LBB21_384
.LBB21_383:
	v_bfe_u32 v11, v13, 24, 3
	v_ffbh_u32_e32 v16, v11
	v_min_u32_e32 v16, 32, v16
	v_lshrrev_b32_e32 v14, 27, v13
	v_subrev_u32_e32 v17, 28, v16
	v_and_b32_e32 v12, 0x80000000, v13
	v_and_b32_e32 v14, 15, v14
	v_bfe_u32 v15, v13, 27, 4
	v_lshlrev_b32_sdwa v13, v17, v13 dst_sel:DWORD dst_unused:UNUSED_PAD src0_sel:DWORD src1_sel:BYTE_3
	v_sub_u32_e32 v16, 29, v16
	v_and_b32_e32 v13, 7, v13
	v_cmp_eq_u16_e32 vcc, 0, v14
	v_cndmask_b32_e32 v11, v11, v13, vcc
	v_cndmask_b32_e32 v13, v15, v16, vcc
	v_mov_b32_e32 v14, 0x3b800000
	v_lshlrev_b32_e32 v11, 20, v11
	v_lshl_add_u32 v13, v13, 23, v14
	v_or3_b32 v11, v12, v13, v11
.LBB21_384:
	s_or_b64 exec, exec, s[6:7]
	s_nop 0
	v_mfma_f32_16x16x4f32 a[0:3], v10, v11, a[0:3]
	s_movk_i32 s4, 0x7f
	v_cmp_gt_i16_sdwa s[6:7], v6, s4 src0_sel:BYTE_0 src1_sel:DWORD
	s_mov_b64 s[4:5], 0
                                        ; implicit-def: $sgpr10
	s_and_saveexec_b64 s[8:9], s[6:7]
	s_xor_b64 s[6:7], exec, s[8:9]
	s_cbranch_execnz .LBB21_2433
; %bb.385:
	s_or_saveexec_b64 s[6:7], s[6:7]
	v_mov_b32_e32 v10, s10
	s_xor_b64 exec, exec, s[6:7]
	s_cbranch_execnz .LBB21_2436
.LBB21_386:
	s_or_b64 exec, exec, s[6:7]
	s_and_saveexec_b64 s[6:7], s[4:5]
	s_cbranch_execz .LBB21_388
.LBB21_387:
	v_and_b32_e32 v10, 7, v6
	v_ffbh_u32_e32 v12, v10
	v_min_u32_e32 v12, 32, v12
	v_lshrrev_b16_e32 v11, 3, v6
	v_subrev_u32_e32 v13, 28, v12
	v_and_b32_e32 v11, 15, v11
	v_lshlrev_b32_e32 v13, v13, v6
	v_sub_u32_e32 v12, 29, v12
	v_and_b32_e32 v13, 7, v13
	v_cmp_eq_u16_e32 vcc, 0, v11
	v_cndmask_b32_e32 v10, v10, v13, vcc
	v_cndmask_b32_e32 v11, v11, v12, vcc
	v_lshlrev_b32_e32 v12, 24, v6
	v_mov_b32_e32 v13, 0x3b800000
	v_lshlrev_b32_e32 v10, 20, v10
	v_and_b32_e32 v12, 0x80000000, v12
	v_lshl_add_u32 v11, v11, 23, v13
	v_or3_b32 v10, v12, v11, v10
.LBB21_388:
	s_or_b64 exec, exec, s[6:7]
	s_movk_i32 s4, 0x7f
	v_cmp_gt_i16_sdwa s[6:7], v2, s4 src0_sel:BYTE_0 src1_sel:DWORD
	s_mov_b64 s[4:5], 0
                                        ; implicit-def: $sgpr10
	s_and_saveexec_b64 s[8:9], s[6:7]
	s_xor_b64 s[6:7], exec, s[8:9]
	s_cbranch_execnz .LBB21_2437
; %bb.389:
	s_or_saveexec_b64 s[6:7], s[6:7]
	v_mov_b32_e32 v11, s10
	s_xor_b64 exec, exec, s[6:7]
	s_cbranch_execnz .LBB21_2440
.LBB21_390:
	s_or_b64 exec, exec, s[6:7]
	s_and_saveexec_b64 s[6:7], s[4:5]
	s_cbranch_execz .LBB21_392
.LBB21_391:
	v_and_b32_e32 v11, 7, v2
	v_ffbh_u32_e32 v13, v11
	v_min_u32_e32 v13, 32, v13
	v_lshrrev_b16_e32 v12, 3, v2
	v_subrev_u32_e32 v14, 28, v13
	v_and_b32_e32 v12, 15, v12
	v_lshlrev_b32_e32 v14, v14, v2
	v_sub_u32_e32 v13, 29, v13
	v_and_b32_e32 v14, 7, v14
	v_cmp_eq_u16_e32 vcc, 0, v12
	v_cndmask_b32_e32 v11, v11, v14, vcc
	v_cndmask_b32_e32 v12, v12, v13, vcc
	v_lshlrev_b32_e32 v13, 24, v2
	v_mov_b32_e32 v14, 0x3b800000
	v_lshlrev_b32_e32 v11, 20, v11
	v_and_b32_e32 v13, 0x80000000, v13
	v_lshl_add_u32 v12, v12, 23, v14
	v_or3_b32 v11, v13, v12, v11
.LBB21_392:
	s_or_b64 exec, exec, s[6:7]
	s_nop 0
	v_mfma_f32_16x16x4f32 a[0:3], v10, v11, a[0:3]
	v_lshrrev_b32_e32 v11, 8, v6
	s_movk_i32 s4, 0x7f
	v_cmp_gt_i16_sdwa s[6:7], v11, s4 src0_sel:BYTE_0 src1_sel:DWORD
	s_mov_b64 s[4:5], 0
                                        ; implicit-def: $sgpr10
	s_and_saveexec_b64 s[8:9], s[6:7]
	s_xor_b64 s[6:7], exec, s[8:9]
	s_cbranch_execnz .LBB21_2441
; %bb.393:
	s_or_saveexec_b64 s[6:7], s[6:7]
	v_mov_b32_e32 v10, s10
	s_xor_b64 exec, exec, s[6:7]
	s_cbranch_execnz .LBB21_2444
.LBB21_394:
	s_or_b64 exec, exec, s[6:7]
	s_and_saveexec_b64 s[6:7], s[4:5]
	s_cbranch_execz .LBB21_396
.LBB21_395:
	v_bfe_u32 v10, v6, 8, 3
	v_ffbh_u32_e32 v13, v10
	v_min_u32_e32 v13, 32, v13
	v_lshrrev_b16_e32 v12, 3, v11
	v_subrev_u32_e32 v14, 28, v13
	v_and_b32_e32 v12, 15, v12
	v_lshlrev_b32_e32 v11, v14, v11
	v_sub_u32_e32 v13, 29, v13
	v_and_b32_e32 v11, 7, v11
	v_cmp_eq_u16_e32 vcc, 0, v12
	v_cndmask_b32_e32 v10, v10, v11, vcc
	v_cndmask_b32_e32 v11, v12, v13, vcc
	v_lshlrev_b32_e32 v12, 16, v6
	v_mov_b32_e32 v13, 0x3b800000
	v_lshlrev_b32_e32 v10, 20, v10
	v_and_b32_e32 v12, 0x80000000, v12
	v_lshl_add_u32 v11, v11, 23, v13
	v_or3_b32 v10, v12, v11, v10
.LBB21_396:
	s_or_b64 exec, exec, s[6:7]
	v_lshrrev_b32_e32 v11, 8, v2
	s_movk_i32 s4, 0x7f
	v_cmp_gt_i16_sdwa s[6:7], v11, s4 src0_sel:BYTE_0 src1_sel:DWORD
	s_mov_b64 s[4:5], 0
                                        ; implicit-def: $sgpr10
	s_and_saveexec_b64 s[8:9], s[6:7]
	s_xor_b64 s[6:7], exec, s[8:9]
	s_cbranch_execnz .LBB21_2445
; %bb.397:
	s_or_saveexec_b64 s[6:7], s[6:7]
	v_mov_b32_e32 v12, s10
	s_xor_b64 exec, exec, s[6:7]
	s_cbranch_execnz .LBB21_2448
.LBB21_398:
	s_or_b64 exec, exec, s[6:7]
	s_and_saveexec_b64 s[6:7], s[4:5]
	s_cbranch_execz .LBB21_400
.LBB21_399:
	v_bfe_u32 v12, v2, 8, 3
	v_ffbh_u32_e32 v14, v12
	v_min_u32_e32 v14, 32, v14
	v_lshrrev_b16_e32 v13, 3, v11
	v_subrev_u32_e32 v15, 28, v14
	v_and_b32_e32 v13, 15, v13
	v_lshlrev_b32_e32 v11, v15, v11
	v_sub_u32_e32 v14, 29, v14
	v_and_b32_e32 v11, 7, v11
	v_cmp_eq_u16_e32 vcc, 0, v13
	v_cndmask_b32_e32 v11, v12, v11, vcc
	v_cndmask_b32_e32 v12, v13, v14, vcc
	v_lshlrev_b32_e32 v13, 16, v2
	v_mov_b32_e32 v14, 0x3b800000
	v_lshlrev_b32_e32 v11, 20, v11
	v_and_b32_e32 v13, 0x80000000, v13
	v_lshl_add_u32 v12, v12, 23, v14
	v_or3_b32 v12, v13, v12, v11
.LBB21_400:
	s_or_b64 exec, exec, s[6:7]
	s_nop 0
	v_mfma_f32_16x16x4f32 a[0:3], v10, v12, a[0:3]
	s_movk_i32 s4, 0xff
	v_and_b32_sdwa v11, v6, s4 dst_sel:DWORD dst_unused:UNUSED_PAD src0_sel:WORD_1 src1_sel:DWORD
	s_movk_i32 s4, 0x7f
	v_cmp_lt_i16_e32 vcc, s4, v11
	s_mov_b64 s[4:5], 0
                                        ; implicit-def: $sgpr10
	s_and_saveexec_b64 s[6:7], vcc
	s_xor_b64 s[6:7], exec, s[6:7]
	s_cbranch_execnz .LBB21_2449
; %bb.401:
	s_or_saveexec_b64 s[6:7], s[6:7]
	v_mov_b32_e32 v10, s10
	s_xor_b64 exec, exec, s[6:7]
	s_cbranch_execnz .LBB21_2452
.LBB21_402:
	s_or_b64 exec, exec, s[6:7]
	s_and_saveexec_b64 s[6:7], s[4:5]
	s_cbranch_execz .LBB21_404
.LBB21_403:
	v_bfe_u32 v10, v6, 16, 3
	v_ffbh_u32_e32 v13, v10
	v_min_u32_e32 v13, 32, v13
	v_lshrrev_b32_e32 v11, 19, v6
	v_subrev_u32_e32 v14, 28, v13
	v_and_b32_e32 v11, 15, v11
	v_lshlrev_b32_sdwa v14, v14, v6 dst_sel:DWORD dst_unused:UNUSED_PAD src0_sel:DWORD src1_sel:WORD_1
	v_bfe_u32 v12, v6, 19, 4
	v_sub_u32_e32 v13, 29, v13
	v_and_b32_e32 v14, 7, v14
	v_cmp_eq_u16_e32 vcc, 0, v11
	v_cndmask_b32_e32 v10, v10, v14, vcc
	v_cndmask_b32_e32 v11, v12, v13, vcc
	v_lshlrev_b32_e32 v12, 8, v6
	v_mov_b32_e32 v13, 0x3b800000
	v_lshlrev_b32_e32 v10, 20, v10
	v_and_b32_e32 v12, 0x80000000, v12
	v_lshl_add_u32 v11, v11, 23, v13
	v_or3_b32 v10, v12, v11, v10
.LBB21_404:
	s_or_b64 exec, exec, s[6:7]
	s_movk_i32 s4, 0xff
	v_and_b32_sdwa v11, v2, s4 dst_sel:DWORD dst_unused:UNUSED_PAD src0_sel:WORD_1 src1_sel:DWORD
	s_movk_i32 s4, 0x7f
	v_cmp_lt_i16_e32 vcc, s4, v11
	s_mov_b64 s[4:5], 0
                                        ; implicit-def: $sgpr10
	s_and_saveexec_b64 s[6:7], vcc
	s_xor_b64 s[6:7], exec, s[6:7]
	s_cbranch_execnz .LBB21_2453
; %bb.405:
	s_or_saveexec_b64 s[6:7], s[6:7]
	v_mov_b32_e32 v12, s10
	s_xor_b64 exec, exec, s[6:7]
	s_cbranch_execnz .LBB21_2456
.LBB21_406:
	s_or_b64 exec, exec, s[6:7]
	s_and_saveexec_b64 s[6:7], s[4:5]
	s_cbranch_execz .LBB21_408
.LBB21_407:
	v_bfe_u32 v11, v2, 16, 3
	v_ffbh_u32_e32 v14, v11
	v_min_u32_e32 v14, 32, v14
	v_lshrrev_b32_e32 v12, 19, v2
	v_subrev_u32_e32 v15, 28, v14
	v_and_b32_e32 v12, 15, v12
	v_lshlrev_b32_sdwa v15, v15, v2 dst_sel:DWORD dst_unused:UNUSED_PAD src0_sel:DWORD src1_sel:WORD_1
	v_bfe_u32 v13, v2, 19, 4
	v_sub_u32_e32 v14, 29, v14
	v_and_b32_e32 v15, 7, v15
	v_cmp_eq_u16_e32 vcc, 0, v12
	v_cndmask_b32_e32 v11, v11, v15, vcc
	v_cndmask_b32_e32 v12, v13, v14, vcc
	v_lshlrev_b32_e32 v13, 8, v2
	v_mov_b32_e32 v14, 0x3b800000
	v_lshlrev_b32_e32 v11, 20, v11
	v_and_b32_e32 v13, 0x80000000, v13
	v_lshl_add_u32 v12, v12, 23, v14
	v_or3_b32 v12, v13, v12, v11
.LBB21_408:
	s_or_b64 exec, exec, s[6:7]
	s_nop 0
	v_mfma_f32_16x16x4f32 a[0:3], v10, v12, a[0:3]
	s_movk_i32 s4, 0x7f
	v_cmp_gt_i16_sdwa s[6:7], v6, s4 src0_sel:BYTE_3 src1_sel:DWORD
	s_mov_b64 s[4:5], 0
                                        ; implicit-def: $sgpr10
	s_and_saveexec_b64 s[8:9], s[6:7]
	s_xor_b64 s[6:7], exec, s[8:9]
	s_cbranch_execnz .LBB21_2457
; %bb.409:
	s_or_saveexec_b64 s[6:7], s[6:7]
	v_mov_b32_e32 v10, s10
	s_xor_b64 exec, exec, s[6:7]
	s_cbranch_execnz .LBB21_2460
.LBB21_410:
	s_or_b64 exec, exec, s[6:7]
	s_and_saveexec_b64 s[6:7], s[4:5]
	s_cbranch_execz .LBB21_412
.LBB21_411:
	v_bfe_u32 v10, v6, 24, 3
	v_ffbh_u32_e32 v14, v10
	v_min_u32_e32 v14, 32, v14
	v_lshrrev_b32_e32 v12, 27, v6
	v_subrev_u32_e32 v15, 28, v14
	v_and_b32_e32 v11, 0x80000000, v6
	v_and_b32_e32 v12, 15, v12
	v_bfe_u32 v13, v6, 27, 4
	v_lshlrev_b32_sdwa v6, v15, v6 dst_sel:DWORD dst_unused:UNUSED_PAD src0_sel:DWORD src1_sel:BYTE_3
	v_sub_u32_e32 v14, 29, v14
	v_and_b32_e32 v6, 7, v6
	v_cmp_eq_u16_e32 vcc, 0, v12
	v_cndmask_b32_e32 v6, v10, v6, vcc
	v_cndmask_b32_e32 v10, v13, v14, vcc
	v_mov_b32_e32 v12, 0x3b800000
	v_lshlrev_b32_e32 v6, 20, v6
	v_lshl_add_u32 v10, v10, 23, v12
	v_or3_b32 v10, v11, v10, v6
.LBB21_412:
	s_or_b64 exec, exec, s[6:7]
	s_movk_i32 s4, 0x7f
	v_cmp_gt_i16_sdwa s[6:7], v2, s4 src0_sel:BYTE_3 src1_sel:DWORD
	s_mov_b64 s[4:5], 0
                                        ; implicit-def: $sgpr10
	s_and_saveexec_b64 s[8:9], s[6:7]
	s_xor_b64 s[6:7], exec, s[8:9]
	s_cbranch_execnz .LBB21_2461
; %bb.413:
	s_or_saveexec_b64 s[6:7], s[6:7]
	v_mov_b32_e32 v6, s10
	s_xor_b64 exec, exec, s[6:7]
	s_cbranch_execnz .LBB21_2464
.LBB21_414:
	s_or_b64 exec, exec, s[6:7]
	s_and_saveexec_b64 s[6:7], s[4:5]
	s_cbranch_execz .LBB21_416
.LBB21_415:
	v_bfe_u32 v6, v2, 24, 3
	v_ffbh_u32_e32 v14, v6
	v_min_u32_e32 v14, 32, v14
	v_lshrrev_b32_e32 v12, 27, v2
	v_subrev_u32_e32 v15, 28, v14
	v_and_b32_e32 v11, 0x80000000, v2
	v_and_b32_e32 v12, 15, v12
	v_bfe_u32 v13, v2, 27, 4
	v_lshlrev_b32_sdwa v2, v15, v2 dst_sel:DWORD dst_unused:UNUSED_PAD src0_sel:DWORD src1_sel:BYTE_3
	v_sub_u32_e32 v14, 29, v14
	v_and_b32_e32 v2, 7, v2
	v_cmp_eq_u16_e32 vcc, 0, v12
	v_cndmask_b32_e32 v2, v6, v2, vcc
	v_cndmask_b32_e32 v6, v13, v14, vcc
	v_mov_b32_e32 v12, 0x3b800000
	v_lshlrev_b32_e32 v2, 20, v2
	v_lshl_add_u32 v6, v6, 23, v12
	v_or3_b32 v6, v11, v6, v2
.LBB21_416:
	s_or_b64 exec, exec, s[6:7]
	s_nop 0
	v_mfma_f32_16x16x4f32 a[0:3], v10, v6, a[0:3]
	s_movk_i32 s4, 0x7f
	v_cmp_gt_i16_sdwa s[6:7], v7, s4 src0_sel:BYTE_0 src1_sel:DWORD
	s_mov_b64 s[4:5], 0
                                        ; implicit-def: $sgpr10
	s_and_saveexec_b64 s[8:9], s[6:7]
	s_xor_b64 s[6:7], exec, s[8:9]
	s_cbranch_execnz .LBB21_2465
; %bb.417:
	s_or_saveexec_b64 s[6:7], s[6:7]
	v_mov_b32_e32 v2, s10
	s_xor_b64 exec, exec, s[6:7]
	s_cbranch_execnz .LBB21_2468
.LBB21_418:
	s_or_b64 exec, exec, s[6:7]
	s_and_saveexec_b64 s[6:7], s[4:5]
	s_cbranch_execz .LBB21_420
.LBB21_419:
	v_and_b32_e32 v2, 7, v7
	v_ffbh_u32_e32 v10, v2
	v_min_u32_e32 v10, 32, v10
	v_lshrrev_b16_e32 v6, 3, v7
	v_subrev_u32_e32 v11, 28, v10
	v_and_b32_e32 v6, 15, v6
	v_lshlrev_b32_e32 v11, v11, v7
	v_sub_u32_e32 v10, 29, v10
	v_and_b32_e32 v11, 7, v11
	v_cmp_eq_u16_e32 vcc, 0, v6
	v_cndmask_b32_e32 v2, v2, v11, vcc
	v_cndmask_b32_e32 v6, v6, v10, vcc
	v_lshlrev_b32_e32 v10, 24, v7
	v_mov_b32_e32 v11, 0x3b800000
	v_lshlrev_b32_e32 v2, 20, v2
	v_and_b32_e32 v10, 0x80000000, v10
	v_lshl_add_u32 v6, v6, 23, v11
	v_or3_b32 v2, v10, v6, v2
.LBB21_420:
	s_or_b64 exec, exec, s[6:7]
	s_movk_i32 s4, 0x7f
	v_cmp_gt_i16_sdwa s[6:7], v3, s4 src0_sel:BYTE_0 src1_sel:DWORD
	s_mov_b64 s[4:5], 0
                                        ; implicit-def: $sgpr10
	s_and_saveexec_b64 s[8:9], s[6:7]
	s_xor_b64 s[6:7], exec, s[8:9]
	s_cbranch_execnz .LBB21_2469
; %bb.421:
	s_or_saveexec_b64 s[6:7], s[6:7]
	v_mov_b32_e32 v6, s10
	s_xor_b64 exec, exec, s[6:7]
	s_cbranch_execnz .LBB21_2472
.LBB21_422:
	s_or_b64 exec, exec, s[6:7]
	s_and_saveexec_b64 s[6:7], s[4:5]
	s_cbranch_execz .LBB21_424
.LBB21_423:
	v_and_b32_e32 v6, 7, v3
	v_ffbh_u32_e32 v11, v6
	v_min_u32_e32 v11, 32, v11
	v_lshrrev_b16_e32 v10, 3, v3
	v_subrev_u32_e32 v12, 28, v11
	v_and_b32_e32 v10, 15, v10
	v_lshlrev_b32_e32 v12, v12, v3
	v_sub_u32_e32 v11, 29, v11
	v_and_b32_e32 v12, 7, v12
	v_cmp_eq_u16_e32 vcc, 0, v10
	v_cndmask_b32_e32 v6, v6, v12, vcc
	v_cndmask_b32_e32 v10, v10, v11, vcc
	v_lshlrev_b32_e32 v11, 24, v3
	v_mov_b32_e32 v12, 0x3b800000
	v_lshlrev_b32_e32 v6, 20, v6
	v_and_b32_e32 v11, 0x80000000, v11
	v_lshl_add_u32 v10, v10, 23, v12
	v_or3_b32 v6, v11, v10, v6
.LBB21_424:
	s_or_b64 exec, exec, s[6:7]
	s_nop 0
	v_mfma_f32_16x16x4f32 a[0:3], v2, v6, a[0:3]
	v_lshrrev_b32_e32 v6, 8, v7
	s_movk_i32 s4, 0x7f
	v_cmp_gt_i16_sdwa s[6:7], v6, s4 src0_sel:BYTE_0 src1_sel:DWORD
	s_mov_b64 s[4:5], 0
                                        ; implicit-def: $sgpr10
	s_and_saveexec_b64 s[8:9], s[6:7]
	s_xor_b64 s[6:7], exec, s[8:9]
	s_cbranch_execnz .LBB21_2473
; %bb.425:
	s_or_saveexec_b64 s[6:7], s[6:7]
	v_mov_b32_e32 v2, s10
	s_xor_b64 exec, exec, s[6:7]
	s_cbranch_execnz .LBB21_2476
.LBB21_426:
	s_or_b64 exec, exec, s[6:7]
	s_and_saveexec_b64 s[6:7], s[4:5]
	s_cbranch_execz .LBB21_428
.LBB21_427:
	v_bfe_u32 v2, v7, 8, 3
	v_ffbh_u32_e32 v11, v2
	v_min_u32_e32 v11, 32, v11
	v_lshrrev_b16_e32 v10, 3, v6
	v_subrev_u32_e32 v12, 28, v11
	v_and_b32_e32 v10, 15, v10
	v_lshlrev_b32_e32 v6, v12, v6
	v_sub_u32_e32 v11, 29, v11
	v_and_b32_e32 v6, 7, v6
	v_cmp_eq_u16_e32 vcc, 0, v10
	v_cndmask_b32_e32 v2, v2, v6, vcc
	v_cndmask_b32_e32 v6, v10, v11, vcc
	v_lshlrev_b32_e32 v10, 16, v7
	v_mov_b32_e32 v11, 0x3b800000
	v_lshlrev_b32_e32 v2, 20, v2
	v_and_b32_e32 v10, 0x80000000, v10
	v_lshl_add_u32 v6, v6, 23, v11
	v_or3_b32 v2, v10, v6, v2
.LBB21_428:
	s_or_b64 exec, exec, s[6:7]
	v_lshrrev_b32_e32 v6, 8, v3
	s_movk_i32 s4, 0x7f
	v_cmp_gt_i16_sdwa s[6:7], v6, s4 src0_sel:BYTE_0 src1_sel:DWORD
	s_mov_b64 s[4:5], 0
                                        ; implicit-def: $sgpr10
	s_and_saveexec_b64 s[8:9], s[6:7]
	s_xor_b64 s[6:7], exec, s[8:9]
	s_cbranch_execnz .LBB21_2477
; %bb.429:
	s_or_saveexec_b64 s[6:7], s[6:7]
	v_mov_b32_e32 v10, s10
	s_xor_b64 exec, exec, s[6:7]
	s_cbranch_execnz .LBB21_2480
.LBB21_430:
	s_or_b64 exec, exec, s[6:7]
	s_and_saveexec_b64 s[6:7], s[4:5]
	s_cbranch_execz .LBB21_432
.LBB21_431:
	v_bfe_u32 v10, v3, 8, 3
	v_ffbh_u32_e32 v12, v10
	v_min_u32_e32 v12, 32, v12
	v_lshrrev_b16_e32 v11, 3, v6
	v_subrev_u32_e32 v13, 28, v12
	v_and_b32_e32 v11, 15, v11
	v_lshlrev_b32_e32 v6, v13, v6
	v_sub_u32_e32 v12, 29, v12
	v_and_b32_e32 v6, 7, v6
	v_cmp_eq_u16_e32 vcc, 0, v11
	v_cndmask_b32_e32 v6, v10, v6, vcc
	v_cndmask_b32_e32 v10, v11, v12, vcc
	v_lshlrev_b32_e32 v11, 16, v3
	v_mov_b32_e32 v12, 0x3b800000
	v_lshlrev_b32_e32 v6, 20, v6
	v_and_b32_e32 v11, 0x80000000, v11
	v_lshl_add_u32 v10, v10, 23, v12
	v_or3_b32 v10, v11, v10, v6
.LBB21_432:
	s_or_b64 exec, exec, s[6:7]
	s_nop 0
	v_mfma_f32_16x16x4f32 a[0:3], v2, v10, a[0:3]
	s_movk_i32 s4, 0xff
	v_and_b32_sdwa v6, v7, s4 dst_sel:DWORD dst_unused:UNUSED_PAD src0_sel:WORD_1 src1_sel:DWORD
	s_movk_i32 s4, 0x7f
	v_cmp_lt_i16_e32 vcc, s4, v6
	s_mov_b64 s[4:5], 0
                                        ; implicit-def: $sgpr10
	s_and_saveexec_b64 s[6:7], vcc
	s_xor_b64 s[6:7], exec, s[6:7]
	s_cbranch_execnz .LBB21_2481
; %bb.433:
	s_or_saveexec_b64 s[6:7], s[6:7]
	v_mov_b32_e32 v2, s10
	s_xor_b64 exec, exec, s[6:7]
	s_cbranch_execnz .LBB21_2484
.LBB21_434:
	s_or_b64 exec, exec, s[6:7]
	s_and_saveexec_b64 s[6:7], s[4:5]
	s_cbranch_execz .LBB21_436
.LBB21_435:
	v_bfe_u32 v2, v7, 16, 3
	v_ffbh_u32_e32 v11, v2
	v_min_u32_e32 v11, 32, v11
	v_lshrrev_b32_e32 v6, 19, v7
	v_subrev_u32_e32 v12, 28, v11
	v_and_b32_e32 v6, 15, v6
	v_lshlrev_b32_sdwa v12, v12, v7 dst_sel:DWORD dst_unused:UNUSED_PAD src0_sel:DWORD src1_sel:WORD_1
	v_bfe_u32 v10, v7, 19, 4
	v_sub_u32_e32 v11, 29, v11
	v_and_b32_e32 v12, 7, v12
	v_cmp_eq_u16_e32 vcc, 0, v6
	v_cndmask_b32_e32 v2, v2, v12, vcc
	v_cndmask_b32_e32 v6, v10, v11, vcc
	v_lshlrev_b32_e32 v10, 8, v7
	v_mov_b32_e32 v11, 0x3b800000
	v_lshlrev_b32_e32 v2, 20, v2
	v_and_b32_e32 v10, 0x80000000, v10
	v_lshl_add_u32 v6, v6, 23, v11
	v_or3_b32 v2, v10, v6, v2
.LBB21_436:
	s_or_b64 exec, exec, s[6:7]
	s_movk_i32 s4, 0xff
	v_and_b32_sdwa v6, v3, s4 dst_sel:DWORD dst_unused:UNUSED_PAD src0_sel:WORD_1 src1_sel:DWORD
	s_movk_i32 s4, 0x7f
	v_cmp_lt_i16_e32 vcc, s4, v6
	s_mov_b64 s[4:5], 0
                                        ; implicit-def: $sgpr10
	s_and_saveexec_b64 s[6:7], vcc
	s_xor_b64 s[6:7], exec, s[6:7]
	s_cbranch_execnz .LBB21_2485
; %bb.437:
	s_or_saveexec_b64 s[6:7], s[6:7]
	v_mov_b32_e32 v10, s10
	s_xor_b64 exec, exec, s[6:7]
	s_cbranch_execnz .LBB21_2488
.LBB21_438:
	s_or_b64 exec, exec, s[6:7]
	s_and_saveexec_b64 s[6:7], s[4:5]
	s_cbranch_execz .LBB21_440
.LBB21_439:
	v_bfe_u32 v6, v3, 16, 3
	v_ffbh_u32_e32 v12, v6
	v_min_u32_e32 v12, 32, v12
	v_lshrrev_b32_e32 v10, 19, v3
	v_subrev_u32_e32 v13, 28, v12
	v_and_b32_e32 v10, 15, v10
	v_lshlrev_b32_sdwa v13, v13, v3 dst_sel:DWORD dst_unused:UNUSED_PAD src0_sel:DWORD src1_sel:WORD_1
	v_bfe_u32 v11, v3, 19, 4
	v_sub_u32_e32 v12, 29, v12
	v_and_b32_e32 v13, 7, v13
	v_cmp_eq_u16_e32 vcc, 0, v10
	v_cndmask_b32_e32 v6, v6, v13, vcc
	v_cndmask_b32_e32 v10, v11, v12, vcc
	v_lshlrev_b32_e32 v11, 8, v3
	v_mov_b32_e32 v12, 0x3b800000
	v_lshlrev_b32_e32 v6, 20, v6
	v_and_b32_e32 v11, 0x80000000, v11
	v_lshl_add_u32 v10, v10, 23, v12
	v_or3_b32 v10, v11, v10, v6
.LBB21_440:
	s_or_b64 exec, exec, s[6:7]
	s_nop 0
	v_mfma_f32_16x16x4f32 a[0:3], v2, v10, a[0:3]
	s_movk_i32 s4, 0x7f
	v_cmp_gt_i16_sdwa s[6:7], v7, s4 src0_sel:BYTE_3 src1_sel:DWORD
	s_mov_b64 s[4:5], 0
                                        ; implicit-def: $sgpr10
	s_and_saveexec_b64 s[8:9], s[6:7]
	s_xor_b64 s[6:7], exec, s[8:9]
	s_cbranch_execnz .LBB21_2489
; %bb.441:
	s_or_saveexec_b64 s[6:7], s[6:7]
	v_mov_b32_e32 v2, s10
	s_xor_b64 exec, exec, s[6:7]
	s_cbranch_execnz .LBB21_2492
.LBB21_442:
	s_or_b64 exec, exec, s[6:7]
	s_and_saveexec_b64 s[6:7], s[4:5]
	s_cbranch_execz .LBB21_444
.LBB21_443:
	v_bfe_u32 v2, v7, 24, 3
	v_ffbh_u32_e32 v12, v2
	v_min_u32_e32 v12, 32, v12
	v_lshrrev_b32_e32 v10, 27, v7
	v_subrev_u32_e32 v13, 28, v12
	v_and_b32_e32 v6, 0x80000000, v7
	v_and_b32_e32 v10, 15, v10
	v_bfe_u32 v11, v7, 27, 4
	v_lshlrev_b32_sdwa v7, v13, v7 dst_sel:DWORD dst_unused:UNUSED_PAD src0_sel:DWORD src1_sel:BYTE_3
	v_sub_u32_e32 v12, 29, v12
	v_and_b32_e32 v7, 7, v7
	v_cmp_eq_u16_e32 vcc, 0, v10
	v_cndmask_b32_e32 v2, v2, v7, vcc
	v_cndmask_b32_e32 v7, v11, v12, vcc
	v_mov_b32_e32 v10, 0x3b800000
	v_lshlrev_b32_e32 v2, 20, v2
	v_lshl_add_u32 v7, v7, 23, v10
	v_or3_b32 v2, v6, v7, v2
.LBB21_444:
	s_or_b64 exec, exec, s[6:7]
	s_movk_i32 s4, 0x7f
	v_cmp_gt_i16_sdwa s[6:7], v3, s4 src0_sel:BYTE_3 src1_sel:DWORD
	s_mov_b64 s[4:5], 0
                                        ; implicit-def: $sgpr10
	s_and_saveexec_b64 s[8:9], s[6:7]
	s_xor_b64 s[6:7], exec, s[8:9]
	s_cbranch_execnz .LBB21_2493
; %bb.445:
	s_or_saveexec_b64 s[6:7], s[6:7]
	v_mov_b32_e32 v6, s10
	s_xor_b64 exec, exec, s[6:7]
	s_cbranch_execnz .LBB21_2496
.LBB21_446:
	s_or_b64 exec, exec, s[6:7]
	s_and_saveexec_b64 s[6:7], s[4:5]
	s_cbranch_execz .LBB21_448
.LBB21_447:
	v_bfe_u32 v6, v3, 24, 3
	v_ffbh_u32_e32 v12, v6
	v_min_u32_e32 v12, 32, v12
	v_lshrrev_b32_e32 v10, 27, v3
	v_subrev_u32_e32 v13, 28, v12
	v_and_b32_e32 v7, 0x80000000, v3
	v_and_b32_e32 v10, 15, v10
	v_bfe_u32 v11, v3, 27, 4
	v_lshlrev_b32_sdwa v3, v13, v3 dst_sel:DWORD dst_unused:UNUSED_PAD src0_sel:DWORD src1_sel:BYTE_3
	v_sub_u32_e32 v12, 29, v12
	v_and_b32_e32 v3, 7, v3
	v_cmp_eq_u16_e32 vcc, 0, v10
	v_cndmask_b32_e32 v3, v6, v3, vcc
	v_cndmask_b32_e32 v6, v11, v12, vcc
	v_mov_b32_e32 v10, 0x3b800000
	v_lshlrev_b32_e32 v3, 20, v3
	v_lshl_add_u32 v6, v6, 23, v10
	v_or3_b32 v6, v7, v6, v3
.LBB21_448:
	s_or_b64 exec, exec, s[6:7]
	s_nop 0
	v_mfma_f32_16x16x4f32 a[0:3], v2, v6, a[0:3]
	s_movk_i32 s4, 0x7f
	v_cmp_gt_i16_sdwa s[6:7], v8, s4 src0_sel:BYTE_0 src1_sel:DWORD
	s_mov_b64 s[4:5], 0
                                        ; implicit-def: $sgpr10
	s_and_saveexec_b64 s[8:9], s[6:7]
	s_xor_b64 s[6:7], exec, s[8:9]
	s_cbranch_execnz .LBB21_2497
; %bb.449:
	s_or_saveexec_b64 s[6:7], s[6:7]
	v_mov_b32_e32 v2, s10
	s_xor_b64 exec, exec, s[6:7]
	s_cbranch_execnz .LBB21_2500
.LBB21_450:
	s_or_b64 exec, exec, s[6:7]
	s_and_saveexec_b64 s[6:7], s[4:5]
	s_cbranch_execz .LBB21_452
.LBB21_451:
	v_and_b32_e32 v2, 7, v8
	v_ffbh_u32_e32 v6, v2
	v_min_u32_e32 v6, 32, v6
	v_lshrrev_b16_e32 v3, 3, v8
	v_subrev_u32_e32 v7, 28, v6
	v_and_b32_e32 v3, 15, v3
	v_lshlrev_b32_e32 v7, v7, v8
	v_sub_u32_e32 v6, 29, v6
	v_and_b32_e32 v7, 7, v7
	v_cmp_eq_u16_e32 vcc, 0, v3
	v_cndmask_b32_e32 v2, v2, v7, vcc
	v_cndmask_b32_e32 v3, v3, v6, vcc
	v_lshlrev_b32_e32 v6, 24, v8
	v_mov_b32_e32 v7, 0x3b800000
	v_lshlrev_b32_e32 v2, 20, v2
	v_and_b32_e32 v6, 0x80000000, v6
	v_lshl_add_u32 v3, v3, 23, v7
	v_or3_b32 v2, v6, v3, v2
.LBB21_452:
	s_or_b64 exec, exec, s[6:7]
	s_movk_i32 s4, 0x7f
	v_cmp_gt_i16_sdwa s[6:7], v4, s4 src0_sel:BYTE_0 src1_sel:DWORD
	s_mov_b64 s[4:5], 0
                                        ; implicit-def: $sgpr10
	s_and_saveexec_b64 s[8:9], s[6:7]
	s_xor_b64 s[6:7], exec, s[8:9]
	s_cbranch_execnz .LBB21_2501
; %bb.453:
	s_or_saveexec_b64 s[6:7], s[6:7]
	v_mov_b32_e32 v3, s10
	s_xor_b64 exec, exec, s[6:7]
	s_cbranch_execnz .LBB21_2504
.LBB21_454:
	s_or_b64 exec, exec, s[6:7]
	s_and_saveexec_b64 s[6:7], s[4:5]
	s_cbranch_execz .LBB21_456
.LBB21_455:
	v_and_b32_e32 v3, 7, v4
	v_ffbh_u32_e32 v7, v3
	v_min_u32_e32 v7, 32, v7
	v_lshrrev_b16_e32 v6, 3, v4
	v_subrev_u32_e32 v10, 28, v7
	v_and_b32_e32 v6, 15, v6
	v_lshlrev_b32_e32 v10, v10, v4
	v_sub_u32_e32 v7, 29, v7
	v_and_b32_e32 v10, 7, v10
	v_cmp_eq_u16_e32 vcc, 0, v6
	v_cndmask_b32_e32 v3, v3, v10, vcc
	v_cndmask_b32_e32 v6, v6, v7, vcc
	v_lshlrev_b32_e32 v7, 24, v4
	v_mov_b32_e32 v10, 0x3b800000
	v_lshlrev_b32_e32 v3, 20, v3
	v_and_b32_e32 v7, 0x80000000, v7
	v_lshl_add_u32 v6, v6, 23, v10
	v_or3_b32 v3, v7, v6, v3
.LBB21_456:
	s_or_b64 exec, exec, s[6:7]
	s_nop 0
	v_mfma_f32_16x16x4f32 a[0:3], v2, v3, a[0:3]
	v_lshrrev_b32_e32 v3, 8, v8
	s_movk_i32 s4, 0x7f
	v_cmp_gt_i16_sdwa s[6:7], v3, s4 src0_sel:BYTE_0 src1_sel:DWORD
	s_mov_b64 s[4:5], 0
                                        ; implicit-def: $sgpr10
	s_and_saveexec_b64 s[8:9], s[6:7]
	s_xor_b64 s[6:7], exec, s[8:9]
	s_cbranch_execnz .LBB21_2505
; %bb.457:
	s_or_saveexec_b64 s[6:7], s[6:7]
	v_mov_b32_e32 v2, s10
	s_xor_b64 exec, exec, s[6:7]
	s_cbranch_execnz .LBB21_2508
.LBB21_458:
	s_or_b64 exec, exec, s[6:7]
	s_and_saveexec_b64 s[6:7], s[4:5]
	s_cbranch_execz .LBB21_460
.LBB21_459:
	v_bfe_u32 v2, v8, 8, 3
	v_ffbh_u32_e32 v7, v2
	v_min_u32_e32 v7, 32, v7
	v_lshrrev_b16_e32 v6, 3, v3
	v_subrev_u32_e32 v10, 28, v7
	v_and_b32_e32 v6, 15, v6
	v_lshlrev_b32_e32 v3, v10, v3
	v_sub_u32_e32 v7, 29, v7
	v_and_b32_e32 v3, 7, v3
	v_cmp_eq_u16_e32 vcc, 0, v6
	v_cndmask_b32_e32 v2, v2, v3, vcc
	v_cndmask_b32_e32 v3, v6, v7, vcc
	v_lshlrev_b32_e32 v6, 16, v8
	v_mov_b32_e32 v7, 0x3b800000
	v_lshlrev_b32_e32 v2, 20, v2
	v_and_b32_e32 v6, 0x80000000, v6
	v_lshl_add_u32 v3, v3, 23, v7
	v_or3_b32 v2, v6, v3, v2
.LBB21_460:
	s_or_b64 exec, exec, s[6:7]
	v_lshrrev_b32_e32 v3, 8, v4
	s_movk_i32 s4, 0x7f
	v_cmp_gt_i16_sdwa s[6:7], v3, s4 src0_sel:BYTE_0 src1_sel:DWORD
	s_mov_b64 s[4:5], 0
                                        ; implicit-def: $sgpr10
	s_and_saveexec_b64 s[8:9], s[6:7]
	s_xor_b64 s[6:7], exec, s[8:9]
	s_cbranch_execnz .LBB21_2509
; %bb.461:
	s_or_saveexec_b64 s[6:7], s[6:7]
	v_mov_b32_e32 v6, s10
	s_xor_b64 exec, exec, s[6:7]
	s_cbranch_execnz .LBB21_2512
.LBB21_462:
	s_or_b64 exec, exec, s[6:7]
	s_and_saveexec_b64 s[6:7], s[4:5]
	s_cbranch_execz .LBB21_464
.LBB21_463:
	v_bfe_u32 v6, v4, 8, 3
	v_ffbh_u32_e32 v10, v6
	v_min_u32_e32 v10, 32, v10
	v_lshrrev_b16_e32 v7, 3, v3
	v_subrev_u32_e32 v11, 28, v10
	v_and_b32_e32 v7, 15, v7
	v_lshlrev_b32_e32 v3, v11, v3
	v_sub_u32_e32 v10, 29, v10
	v_and_b32_e32 v3, 7, v3
	v_cmp_eq_u16_e32 vcc, 0, v7
	v_cndmask_b32_e32 v3, v6, v3, vcc
	v_cndmask_b32_e32 v6, v7, v10, vcc
	v_lshlrev_b32_e32 v7, 16, v4
	v_mov_b32_e32 v10, 0x3b800000
	v_lshlrev_b32_e32 v3, 20, v3
	v_and_b32_e32 v7, 0x80000000, v7
	v_lshl_add_u32 v6, v6, 23, v10
	v_or3_b32 v6, v7, v6, v3
.LBB21_464:
	s_or_b64 exec, exec, s[6:7]
	s_nop 0
	v_mfma_f32_16x16x4f32 a[0:3], v2, v6, a[0:3]
	s_movk_i32 s4, 0xff
	v_and_b32_sdwa v3, v8, s4 dst_sel:DWORD dst_unused:UNUSED_PAD src0_sel:WORD_1 src1_sel:DWORD
	s_movk_i32 s4, 0x7f
	v_cmp_lt_i16_e32 vcc, s4, v3
	s_mov_b64 s[4:5], 0
                                        ; implicit-def: $sgpr10
	s_and_saveexec_b64 s[6:7], vcc
	s_xor_b64 s[6:7], exec, s[6:7]
	s_cbranch_execnz .LBB21_2513
; %bb.465:
	s_or_saveexec_b64 s[6:7], s[6:7]
	v_mov_b32_e32 v2, s10
	s_xor_b64 exec, exec, s[6:7]
	s_cbranch_execnz .LBB21_2516
.LBB21_466:
	s_or_b64 exec, exec, s[6:7]
	s_and_saveexec_b64 s[6:7], s[4:5]
	s_cbranch_execz .LBB21_468
.LBB21_467:
	v_bfe_u32 v2, v8, 16, 3
	v_ffbh_u32_e32 v7, v2
	v_min_u32_e32 v7, 32, v7
	v_lshrrev_b32_e32 v3, 19, v8
	v_subrev_u32_e32 v10, 28, v7
	v_and_b32_e32 v3, 15, v3
	v_lshlrev_b32_sdwa v10, v10, v8 dst_sel:DWORD dst_unused:UNUSED_PAD src0_sel:DWORD src1_sel:WORD_1
	v_bfe_u32 v6, v8, 19, 4
	v_sub_u32_e32 v7, 29, v7
	v_and_b32_e32 v10, 7, v10
	v_cmp_eq_u16_e32 vcc, 0, v3
	v_cndmask_b32_e32 v2, v2, v10, vcc
	v_cndmask_b32_e32 v3, v6, v7, vcc
	v_lshlrev_b32_e32 v6, 8, v8
	v_mov_b32_e32 v7, 0x3b800000
	v_lshlrev_b32_e32 v2, 20, v2
	v_and_b32_e32 v6, 0x80000000, v6
	v_lshl_add_u32 v3, v3, 23, v7
	v_or3_b32 v2, v6, v3, v2
.LBB21_468:
	s_or_b64 exec, exec, s[6:7]
	s_movk_i32 s4, 0xff
	v_and_b32_sdwa v3, v4, s4 dst_sel:DWORD dst_unused:UNUSED_PAD src0_sel:WORD_1 src1_sel:DWORD
	s_movk_i32 s4, 0x7f
	v_cmp_lt_i16_e32 vcc, s4, v3
	s_mov_b64 s[4:5], 0
                                        ; implicit-def: $sgpr10
	s_and_saveexec_b64 s[6:7], vcc
	s_xor_b64 s[6:7], exec, s[6:7]
	s_cbranch_execnz .LBB21_2517
; %bb.469:
	s_or_saveexec_b64 s[6:7], s[6:7]
	v_mov_b32_e32 v6, s10
	s_xor_b64 exec, exec, s[6:7]
	s_cbranch_execnz .LBB21_2520
.LBB21_470:
	s_or_b64 exec, exec, s[6:7]
	s_and_saveexec_b64 s[6:7], s[4:5]
	s_cbranch_execz .LBB21_472
.LBB21_471:
	v_bfe_u32 v3, v4, 16, 3
	v_ffbh_u32_e32 v10, v3
	v_min_u32_e32 v10, 32, v10
	v_lshrrev_b32_e32 v6, 19, v4
	v_subrev_u32_e32 v11, 28, v10
	v_and_b32_e32 v6, 15, v6
	v_lshlrev_b32_sdwa v11, v11, v4 dst_sel:DWORD dst_unused:UNUSED_PAD src0_sel:DWORD src1_sel:WORD_1
	v_bfe_u32 v7, v4, 19, 4
	v_sub_u32_e32 v10, 29, v10
	v_and_b32_e32 v11, 7, v11
	v_cmp_eq_u16_e32 vcc, 0, v6
	v_cndmask_b32_e32 v3, v3, v11, vcc
	v_cndmask_b32_e32 v6, v7, v10, vcc
	v_lshlrev_b32_e32 v7, 8, v4
	v_mov_b32_e32 v10, 0x3b800000
	v_lshlrev_b32_e32 v3, 20, v3
	v_and_b32_e32 v7, 0x80000000, v7
	v_lshl_add_u32 v6, v6, 23, v10
	v_or3_b32 v6, v7, v6, v3
.LBB21_472:
	s_or_b64 exec, exec, s[6:7]
	s_nop 0
	v_mfma_f32_16x16x4f32 a[0:3], v2, v6, a[0:3]
	s_movk_i32 s4, 0x7f
	v_cmp_gt_i16_sdwa s[6:7], v8, s4 src0_sel:BYTE_3 src1_sel:DWORD
	s_mov_b64 s[4:5], 0
                                        ; implicit-def: $sgpr10
	s_and_saveexec_b64 s[8:9], s[6:7]
	s_xor_b64 s[6:7], exec, s[8:9]
	s_cbranch_execnz .LBB21_2521
; %bb.473:
	s_or_saveexec_b64 s[6:7], s[6:7]
	v_mov_b32_e32 v2, s10
	s_xor_b64 exec, exec, s[6:7]
	s_cbranch_execnz .LBB21_2524
.LBB21_474:
	s_or_b64 exec, exec, s[6:7]
	s_and_saveexec_b64 s[6:7], s[4:5]
	s_cbranch_execz .LBB21_476
.LBB21_475:
	v_bfe_u32 v2, v8, 24, 3
	v_ffbh_u32_e32 v10, v2
	v_min_u32_e32 v10, 32, v10
	v_lshrrev_b32_e32 v6, 27, v8
	v_subrev_u32_e32 v11, 28, v10
	v_and_b32_e32 v3, 0x80000000, v8
	v_and_b32_e32 v6, 15, v6
	v_bfe_u32 v7, v8, 27, 4
	v_lshlrev_b32_sdwa v8, v11, v8 dst_sel:DWORD dst_unused:UNUSED_PAD src0_sel:DWORD src1_sel:BYTE_3
	v_sub_u32_e32 v10, 29, v10
	v_and_b32_e32 v8, 7, v8
	v_cmp_eq_u16_e32 vcc, 0, v6
	v_cndmask_b32_e32 v2, v2, v8, vcc
	v_cndmask_b32_e32 v6, v7, v10, vcc
	v_mov_b32_e32 v7, 0x3b800000
	v_lshlrev_b32_e32 v2, 20, v2
	v_lshl_add_u32 v6, v6, 23, v7
	v_or3_b32 v2, v3, v6, v2
.LBB21_476:
	s_or_b64 exec, exec, s[6:7]
	s_movk_i32 s4, 0x7f
	v_cmp_gt_i16_sdwa s[6:7], v4, s4 src0_sel:BYTE_3 src1_sel:DWORD
	s_mov_b64 s[4:5], 0
                                        ; implicit-def: $sgpr10
	s_and_saveexec_b64 s[8:9], s[6:7]
	s_xor_b64 s[6:7], exec, s[8:9]
	s_cbranch_execnz .LBB21_2525
; %bb.477:
	s_or_saveexec_b64 s[6:7], s[6:7]
	v_mov_b32_e32 v3, s10
	s_xor_b64 exec, exec, s[6:7]
	s_cbranch_execnz .LBB21_2528
.LBB21_478:
	s_or_b64 exec, exec, s[6:7]
	s_and_saveexec_b64 s[6:7], s[4:5]
	s_cbranch_execz .LBB21_480
.LBB21_479:
	v_bfe_u32 v3, v4, 24, 3
	v_ffbh_u32_e32 v10, v3
	v_min_u32_e32 v10, 32, v10
	v_lshrrev_b32_e32 v7, 27, v4
	v_subrev_u32_e32 v11, 28, v10
	v_and_b32_e32 v6, 0x80000000, v4
	v_and_b32_e32 v7, 15, v7
	v_bfe_u32 v8, v4, 27, 4
	v_lshlrev_b32_sdwa v4, v11, v4 dst_sel:DWORD dst_unused:UNUSED_PAD src0_sel:DWORD src1_sel:BYTE_3
	v_sub_u32_e32 v10, 29, v10
	v_and_b32_e32 v4, 7, v4
	v_cmp_eq_u16_e32 vcc, 0, v7
	v_cndmask_b32_e32 v3, v3, v4, vcc
	v_cndmask_b32_e32 v4, v8, v10, vcc
	v_mov_b32_e32 v7, 0x3b800000
	v_lshlrev_b32_e32 v3, 20, v3
	v_lshl_add_u32 v4, v4, 23, v7
	v_or3_b32 v3, v6, v4, v3
.LBB21_480:
	s_or_b64 exec, exec, s[6:7]
	s_nop 0
	v_mfma_f32_16x16x4f32 a[0:3], v2, v3, a[0:3]
	s_movk_i32 s4, 0x7f
	v_cmp_gt_i16_sdwa s[6:7], v9, s4 src0_sel:BYTE_0 src1_sel:DWORD
	s_mov_b64 s[4:5], 0
                                        ; implicit-def: $sgpr10
	s_and_saveexec_b64 s[8:9], s[6:7]
	s_xor_b64 s[6:7], exec, s[8:9]
	s_cbranch_execnz .LBB21_2529
; %bb.481:
	s_or_saveexec_b64 s[6:7], s[6:7]
	v_mov_b32_e32 v2, s10
	s_xor_b64 exec, exec, s[6:7]
	s_cbranch_execnz .LBB21_2532
.LBB21_482:
	s_or_b64 exec, exec, s[6:7]
	s_and_saveexec_b64 s[6:7], s[4:5]
	s_cbranch_execz .LBB21_484
.LBB21_483:
	v_mov_b32_e32 v2, 8
	v_and_b32_e32 v3, 7, v9
	v_lshrrev_b32_sdwa v2, v2, v9 dst_sel:BYTE_1 dst_unused:UNUSED_PAD src0_sel:DWORD src1_sel:DWORD
	v_ffbh_u32_e32 v4, v3
	v_or_b32_sdwa v2, v9, v2 dst_sel:DWORD dst_unused:UNUSED_PAD src0_sel:BYTE_0 src1_sel:DWORD
	v_min_u32_e32 v4, 32, v4
	v_lshrrev_b16_e32 v2, 3, v2
	v_subrev_u32_e32 v6, 28, v4
	v_and_b32_e32 v2, 15, v2
	v_lshlrev_b32_e32 v6, v6, v9
	v_sub_u32_e32 v4, 29, v4
	v_and_b32_e32 v6, 7, v6
	v_cmp_eq_u16_e32 vcc, 0, v2
	v_cndmask_b32_e32 v3, v3, v6, vcc
	v_cndmask_b32_e32 v2, v2, v4, vcc
	v_lshlrev_b32_e32 v4, 24, v9
	v_mov_b32_e32 v6, 0x3b800000
	v_lshlrev_b32_e32 v3, 20, v3
	v_and_b32_e32 v4, 0x80000000, v4
	v_lshl_add_u32 v2, v2, 23, v6
	v_or3_b32 v2, v4, v2, v3
.LBB21_484:
	s_or_b64 exec, exec, s[6:7]
	s_movk_i32 s4, 0x7f
	v_cmp_gt_i16_sdwa s[6:7], v5, s4 src0_sel:BYTE_0 src1_sel:DWORD
	s_mov_b64 s[4:5], 0
                                        ; implicit-def: $sgpr10
	s_and_saveexec_b64 s[8:9], s[6:7]
	s_xor_b64 s[6:7], exec, s[8:9]
	s_cbranch_execnz .LBB21_2533
; %bb.485:
	s_or_saveexec_b64 s[6:7], s[6:7]
	v_mov_b32_e32 v3, s10
	s_xor_b64 exec, exec, s[6:7]
	s_cbranch_execnz .LBB21_2536
.LBB21_486:
	s_or_b64 exec, exec, s[6:7]
	s_and_saveexec_b64 s[6:7], s[4:5]
	s_cbranch_execz .LBB21_488
.LBB21_487:
	v_mov_b32_e32 v3, 8
	v_and_b32_e32 v4, 7, v5
	v_lshrrev_b32_sdwa v3, v3, v5 dst_sel:BYTE_1 dst_unused:UNUSED_PAD src0_sel:DWORD src1_sel:DWORD
	v_ffbh_u32_e32 v6, v4
	v_or_b32_sdwa v3, v5, v3 dst_sel:DWORD dst_unused:UNUSED_PAD src0_sel:BYTE_0 src1_sel:DWORD
	v_min_u32_e32 v6, 32, v6
	v_lshrrev_b16_e32 v3, 3, v3
	v_subrev_u32_e32 v7, 28, v6
	v_and_b32_e32 v3, 15, v3
	v_lshlrev_b32_e32 v7, v7, v5
	v_sub_u32_e32 v6, 29, v6
	v_and_b32_e32 v7, 7, v7
	v_cmp_eq_u16_e32 vcc, 0, v3
	v_cndmask_b32_e32 v4, v4, v7, vcc
	v_cndmask_b32_e32 v3, v3, v6, vcc
	v_lshlrev_b32_e32 v6, 24, v5
	v_mov_b32_e32 v7, 0x3b800000
	v_lshlrev_b32_e32 v4, 20, v4
	v_and_b32_e32 v6, 0x80000000, v6
	v_lshl_add_u32 v3, v3, 23, v7
	v_or3_b32 v3, v6, v3, v4
.LBB21_488:
	s_or_b64 exec, exec, s[6:7]
	s_nop 0
	v_mfma_f32_16x16x4f32 a[0:3], v2, v3, a[0:3]
	v_lshrrev_b32_e32 v3, 8, v9
	s_movk_i32 s4, 0x7f
	v_cmp_gt_i16_sdwa s[6:7], v3, s4 src0_sel:BYTE_0 src1_sel:DWORD
	s_mov_b64 s[4:5], 0
                                        ; implicit-def: $sgpr10
	s_and_saveexec_b64 s[8:9], s[6:7]
	s_xor_b64 s[6:7], exec, s[8:9]
	s_cbranch_execnz .LBB21_2537
; %bb.489:
	s_or_saveexec_b64 s[6:7], s[6:7]
	v_mov_b32_e32 v2, s10
	s_xor_b64 exec, exec, s[6:7]
	s_cbranch_execnz .LBB21_2540
.LBB21_490:
	s_or_b64 exec, exec, s[6:7]
	s_and_saveexec_b64 s[6:7], s[4:5]
	s_cbranch_execz .LBB21_492
.LBB21_491:
	v_bfe_u32 v2, v9, 8, 3
	v_ffbh_u32_e32 v6, v2
	v_min_u32_e32 v6, 32, v6
	v_lshrrev_b16_e32 v4, 3, v3
	v_subrev_u32_e32 v7, 28, v6
	v_and_b32_e32 v4, 15, v4
	v_lshlrev_b32_e32 v3, v7, v3
	v_sub_u32_e32 v6, 29, v6
	v_and_b32_e32 v3, 7, v3
	v_cmp_eq_u16_e32 vcc, 0, v4
	v_cndmask_b32_e32 v2, v2, v3, vcc
	v_cndmask_b32_e32 v3, v4, v6, vcc
	v_lshlrev_b32_e32 v4, 16, v9
	v_mov_b32_e32 v6, 0x3b800000
	v_lshlrev_b32_e32 v2, 20, v2
	v_and_b32_e32 v4, 0x80000000, v4
	v_lshl_add_u32 v3, v3, 23, v6
	v_or3_b32 v2, v4, v3, v2
.LBB21_492:
	s_or_b64 exec, exec, s[6:7]
	v_lshrrev_b32_e32 v3, 8, v5
	s_movk_i32 s4, 0x7f
	v_cmp_gt_i16_sdwa s[6:7], v3, s4 src0_sel:BYTE_0 src1_sel:DWORD
	s_mov_b64 s[4:5], 0
                                        ; implicit-def: $sgpr10
	s_and_saveexec_b64 s[8:9], s[6:7]
	s_xor_b64 s[6:7], exec, s[8:9]
	s_cbranch_execnz .LBB21_2541
; %bb.493:
	s_or_saveexec_b64 s[6:7], s[6:7]
	v_mov_b32_e32 v4, s10
	s_xor_b64 exec, exec, s[6:7]
	s_cbranch_execnz .LBB21_2544
.LBB21_494:
	s_or_b64 exec, exec, s[6:7]
	s_and_saveexec_b64 s[6:7], s[4:5]
	s_cbranch_execz .LBB21_496
.LBB21_495:
	v_bfe_u32 v4, v5, 8, 3
	v_ffbh_u32_e32 v7, v4
	v_min_u32_e32 v7, 32, v7
	v_lshrrev_b16_e32 v6, 3, v3
	v_subrev_u32_e32 v8, 28, v7
	v_and_b32_e32 v6, 15, v6
	v_lshlrev_b32_e32 v3, v8, v3
	v_sub_u32_e32 v7, 29, v7
	v_and_b32_e32 v3, 7, v3
	v_cmp_eq_u16_e32 vcc, 0, v6
	v_cndmask_b32_e32 v3, v4, v3, vcc
	v_cndmask_b32_e32 v4, v6, v7, vcc
	v_lshlrev_b32_e32 v6, 16, v5
	v_mov_b32_e32 v7, 0x3b800000
	v_lshlrev_b32_e32 v3, 20, v3
	v_and_b32_e32 v6, 0x80000000, v6
	v_lshl_add_u32 v4, v4, 23, v7
	v_or3_b32 v4, v6, v4, v3
.LBB21_496:
	s_or_b64 exec, exec, s[6:7]
	s_nop 0
	v_mfma_f32_16x16x4f32 a[0:3], v2, v4, a[0:3]
	s_movk_i32 s4, 0xff
	v_and_b32_sdwa v3, v9, s4 dst_sel:DWORD dst_unused:UNUSED_PAD src0_sel:WORD_1 src1_sel:DWORD
	s_movk_i32 s4, 0x7f
	v_cmp_lt_i16_e32 vcc, s4, v3
	s_mov_b64 s[4:5], 0
                                        ; implicit-def: $sgpr10
	s_and_saveexec_b64 s[6:7], vcc
	s_xor_b64 s[6:7], exec, s[6:7]
	s_cbranch_execnz .LBB21_2545
; %bb.497:
	s_or_saveexec_b64 s[6:7], s[6:7]
	v_mov_b32_e32 v2, s10
	s_xor_b64 exec, exec, s[6:7]
	s_cbranch_execnz .LBB21_2548
.LBB21_498:
	s_or_b64 exec, exec, s[6:7]
	s_and_saveexec_b64 s[6:7], s[4:5]
	s_cbranch_execz .LBB21_500
.LBB21_499:
	v_bfe_u32 v2, v9, 16, 3
	v_ffbh_u32_e32 v6, v2
	v_min_u32_e32 v6, 32, v6
	v_lshrrev_b32_e32 v3, 19, v9
	v_subrev_u32_e32 v7, 28, v6
	v_and_b32_e32 v3, 15, v3
	v_lshlrev_b32_sdwa v7, v7, v9 dst_sel:DWORD dst_unused:UNUSED_PAD src0_sel:DWORD src1_sel:WORD_1
	v_bfe_u32 v4, v9, 19, 4
	v_sub_u32_e32 v6, 29, v6
	v_and_b32_e32 v7, 7, v7
	v_cmp_eq_u16_e32 vcc, 0, v3
	v_cndmask_b32_e32 v2, v2, v7, vcc
	v_cndmask_b32_e32 v3, v4, v6, vcc
	v_lshlrev_b32_e32 v4, 8, v9
	v_mov_b32_e32 v6, 0x3b800000
	v_lshlrev_b32_e32 v2, 20, v2
	v_and_b32_e32 v4, 0x80000000, v4
	v_lshl_add_u32 v3, v3, 23, v6
	v_or3_b32 v2, v4, v3, v2
.LBB21_500:
	s_or_b64 exec, exec, s[6:7]
	s_movk_i32 s4, 0xff
	v_and_b32_sdwa v3, v5, s4 dst_sel:DWORD dst_unused:UNUSED_PAD src0_sel:WORD_1 src1_sel:DWORD
	s_movk_i32 s4, 0x7f
	v_cmp_lt_i16_e32 vcc, s4, v3
	s_mov_b64 s[4:5], 0
                                        ; implicit-def: $sgpr10
	s_and_saveexec_b64 s[6:7], vcc
	s_xor_b64 s[6:7], exec, s[6:7]
	s_cbranch_execnz .LBB21_2549
; %bb.501:
	s_or_saveexec_b64 s[6:7], s[6:7]
	v_mov_b32_e32 v4, s10
	s_xor_b64 exec, exec, s[6:7]
	s_cbranch_execnz .LBB21_2552
.LBB21_502:
	s_or_b64 exec, exec, s[6:7]
	s_and_saveexec_b64 s[6:7], s[4:5]
	s_cbranch_execz .LBB21_504
.LBB21_503:
	v_bfe_u32 v3, v5, 16, 3
	v_ffbh_u32_e32 v7, v3
	v_min_u32_e32 v7, 32, v7
	v_lshrrev_b32_e32 v4, 19, v5
	v_subrev_u32_e32 v8, 28, v7
	v_and_b32_e32 v4, 15, v4
	v_lshlrev_b32_sdwa v8, v8, v5 dst_sel:DWORD dst_unused:UNUSED_PAD src0_sel:DWORD src1_sel:WORD_1
	v_bfe_u32 v6, v5, 19, 4
	v_sub_u32_e32 v7, 29, v7
	v_and_b32_e32 v8, 7, v8
	v_cmp_eq_u16_e32 vcc, 0, v4
	v_cndmask_b32_e32 v3, v3, v8, vcc
	v_cndmask_b32_e32 v4, v6, v7, vcc
	v_lshlrev_b32_e32 v6, 8, v5
	v_mov_b32_e32 v7, 0x3b800000
	v_lshlrev_b32_e32 v3, 20, v3
	v_and_b32_e32 v6, 0x80000000, v6
	v_lshl_add_u32 v4, v4, 23, v7
	v_or3_b32 v4, v6, v4, v3
.LBB21_504:
	s_or_b64 exec, exec, s[6:7]
	s_nop 0
	v_mfma_f32_16x16x4f32 a[0:3], v2, v4, a[0:3]
	s_movk_i32 s4, 0x7f
	v_cmp_gt_i16_sdwa s[6:7], v9, s4 src0_sel:BYTE_3 src1_sel:DWORD
	s_mov_b64 s[4:5], 0
                                        ; implicit-def: $sgpr10
	s_and_saveexec_b64 s[8:9], s[6:7]
	s_xor_b64 s[6:7], exec, s[8:9]
	s_cbranch_execnz .LBB21_2553
; %bb.505:
	s_or_saveexec_b64 s[6:7], s[6:7]
	v_mov_b32_e32 v2, s10
	s_xor_b64 exec, exec, s[6:7]
	s_cbranch_execnz .LBB21_2556
.LBB21_506:
	s_or_b64 exec, exec, s[6:7]
	s_and_saveexec_b64 s[6:7], s[4:5]
	s_cbranch_execz .LBB21_508
.LBB21_507:
	v_bfe_u32 v2, v9, 24, 3
	v_ffbh_u32_e32 v7, v2
	v_min_u32_e32 v7, 32, v7
	v_lshrrev_b32_e32 v4, 27, v9
	v_subrev_u32_e32 v8, 28, v7
	v_and_b32_e32 v4, 15, v4
	v_lshlrev_b32_sdwa v8, v8, v9 dst_sel:DWORD dst_unused:UNUSED_PAD src0_sel:DWORD src1_sel:BYTE_3
	v_bfe_u32 v6, v9, 27, 4
	v_sub_u32_e32 v7, 29, v7
	v_and_b32_e32 v8, 7, v8
	v_cmp_eq_u16_e32 vcc, 0, v4
	v_cndmask_b32_e32 v2, v2, v8, vcc
	v_cndmask_b32_e32 v4, v6, v7, vcc
	v_mov_b32_e32 v6, 0x3b800000
	v_and_b32_e32 v3, 0x80000000, v9
	v_lshlrev_b32_e32 v2, 20, v2
	v_lshl_add_u32 v4, v4, 23, v6
	v_or3_b32 v2, v3, v4, v2
.LBB21_508:
	s_or_b64 exec, exec, s[6:7]
	s_movk_i32 s4, 0x7f
	v_cmp_gt_i16_sdwa s[6:7], v5, s4 src0_sel:BYTE_3 src1_sel:DWORD
	s_mov_b64 s[4:5], 0
                                        ; implicit-def: $sgpr10
	s_and_saveexec_b64 s[8:9], s[6:7]
	s_xor_b64 s[6:7], exec, s[8:9]
	s_cbranch_execnz .LBB21_2557
; %bb.509:
	s_or_saveexec_b64 s[6:7], s[6:7]
	v_mov_b32_e32 v3, s10
	s_xor_b64 exec, exec, s[6:7]
	s_cbranch_execnz .LBB21_2560
.LBB21_510:
	s_or_b64 exec, exec, s[6:7]
	s_and_saveexec_b64 s[6:7], s[4:5]
	s_cbranch_execz .LBB21_512
.LBB21_511:
	v_bfe_u32 v3, v5, 24, 3
	v_ffbh_u32_e32 v8, v3
	v_min_u32_e32 v8, 32, v8
	v_lshrrev_b32_e32 v6, 27, v5
	v_subrev_u32_e32 v9, 28, v8
	v_and_b32_e32 v4, 0x80000000, v5
	v_and_b32_e32 v6, 15, v6
	v_bfe_u32 v7, v5, 27, 4
	v_lshlrev_b32_sdwa v5, v9, v5 dst_sel:DWORD dst_unused:UNUSED_PAD src0_sel:DWORD src1_sel:BYTE_3
	v_sub_u32_e32 v8, 29, v8
	v_and_b32_e32 v5, 7, v5
	v_cmp_eq_u16_e32 vcc, 0, v6
	v_cndmask_b32_e32 v3, v3, v5, vcc
	v_cndmask_b32_e32 v5, v7, v8, vcc
	v_mov_b32_e32 v6, 0x3b800000
	v_lshlrev_b32_e32 v3, 20, v3
	v_lshl_add_u32 v5, v5, 23, v6
	v_or3_b32 v3, v4, v5, v3
.LBB21_512:
	s_or_b64 exec, exec, s[6:7]
	s_nop 0
	v_mfma_f32_16x16x4f32 a[0:3], v2, v3, a[0:3]
	s_movk_i32 s4, 0x7f
                                        ; implicit-def: $sgpr10
	s_nop 7
	s_nop 1
	flat_store_dwordx4 v[18:19], a[0:3] offset:400
	flat_load_dwordx4 v[20:23], v[0:1] offset:8
	s_nop 0
	flat_load_dwordx2 v[18:19], v[0:1] offset:24
	s_waitcnt vmcnt(0) lgkmcnt(0)
	flat_load_dwordx4 v[14:17], v[20:21] offset:32
	flat_load_dwordx4 v[6:9], v[20:21] offset:48
	;; [unrolled: 1-line block ×4, first 2 shown]
	s_waitcnt vmcnt(0) lgkmcnt(0)
	v_cmp_gt_i16_sdwa s[6:7], v14, s4 src0_sel:BYTE_0 src1_sel:DWORD
	s_mov_b64 s[4:5], 0
	s_and_saveexec_b64 s[8:9], s[6:7]
	s_xor_b64 s[6:7], exec, s[8:9]
	s_cbranch_execnz .LBB21_2561
; %bb.513:
	s_or_saveexec_b64 s[6:7], s[6:7]
	v_mov_b32_e32 v20, s10
	s_xor_b64 exec, exec, s[6:7]
	s_cbranch_execnz .LBB21_2564
.LBB21_514:
	s_or_b64 exec, exec, s[6:7]
	s_and_saveexec_b64 s[6:7], s[4:5]
	s_cbranch_execz .LBB21_516
.LBB21_515:
	v_and_b32_e32 v20, 7, v14
	v_ffbh_u32_e32 v22, v20
	v_min_u32_e32 v22, 32, v22
	v_lshrrev_b16_e32 v21, 3, v14
	v_subrev_u32_e32 v23, 28, v22
	v_and_b32_e32 v21, 15, v21
	v_lshlrev_b32_e32 v23, v23, v14
	v_sub_u32_e32 v22, 29, v22
	v_and_b32_e32 v23, 7, v23
	v_cmp_eq_u16_e32 vcc, 0, v21
	v_cndmask_b32_e32 v20, v20, v23, vcc
	v_cndmask_b32_e32 v21, v21, v22, vcc
	v_lshlrev_b32_e32 v22, 24, v14
	v_mov_b32_e32 v23, 0x3b800000
	v_lshlrev_b32_e32 v20, 20, v20
	v_and_b32_e32 v22, 0x80000000, v22
	v_lshl_add_u32 v21, v21, 23, v23
	v_or3_b32 v20, v22, v21, v20
.LBB21_516:
	s_or_b64 exec, exec, s[6:7]
	s_movk_i32 s4, 0x7f
	v_cmp_gt_i16_sdwa s[6:7], v10, s4 src0_sel:BYTE_0 src1_sel:DWORD
	s_mov_b64 s[4:5], 0
                                        ; implicit-def: $sgpr10
	s_and_saveexec_b64 s[8:9], s[6:7]
	s_xor_b64 s[6:7], exec, s[8:9]
	s_cbranch_execnz .LBB21_2565
; %bb.517:
	s_or_saveexec_b64 s[6:7], s[6:7]
	v_mov_b32_e32 v21, s10
	s_xor_b64 exec, exec, s[6:7]
	s_cbranch_execnz .LBB21_2568
.LBB21_518:
	s_or_b64 exec, exec, s[6:7]
	s_and_saveexec_b64 s[6:7], s[4:5]
	s_cbranch_execz .LBB21_520
.LBB21_519:
	v_and_b32_e32 v21, 7, v10
	v_ffbh_u32_e32 v23, v21
	v_min_u32_e32 v23, 32, v23
	v_lshrrev_b16_e32 v22, 3, v10
	v_subrev_u32_e32 v24, 28, v23
	v_and_b32_e32 v22, 15, v22
	v_lshlrev_b32_e32 v24, v24, v10
	v_sub_u32_e32 v23, 29, v23
	v_and_b32_e32 v24, 7, v24
	v_cmp_eq_u16_e32 vcc, 0, v22
	v_cndmask_b32_e32 v21, v21, v24, vcc
	v_cndmask_b32_e32 v22, v22, v23, vcc
	v_lshlrev_b32_e32 v23, 24, v10
	v_mov_b32_e32 v24, 0x3b800000
	v_lshlrev_b32_e32 v21, 20, v21
	v_and_b32_e32 v23, 0x80000000, v23
	v_lshl_add_u32 v22, v22, 23, v24
	v_or3_b32 v21, v23, v22, v21
.LBB21_520:
	s_or_b64 exec, exec, s[6:7]
	flat_load_dwordx4 a[0:3], v[18:19] offset:416
	s_movk_i32 s4, 0x7f
                                        ; implicit-def: $sgpr10
	s_waitcnt vmcnt(0) lgkmcnt(0)
	v_mfma_f32_16x16x4f32 a[0:3], v20, v21, a[0:3]
	v_lshrrev_b32_e32 v21, 8, v14
	v_cmp_gt_i16_sdwa s[6:7], v21, s4 src0_sel:BYTE_0 src1_sel:DWORD
	s_mov_b64 s[4:5], 0
	s_and_saveexec_b64 s[8:9], s[6:7]
	s_xor_b64 s[6:7], exec, s[8:9]
	s_cbranch_execnz .LBB21_2569
; %bb.521:
	s_or_saveexec_b64 s[6:7], s[6:7]
	v_mov_b32_e32 v20, s10
	s_xor_b64 exec, exec, s[6:7]
	s_cbranch_execnz .LBB21_2572
.LBB21_522:
	s_or_b64 exec, exec, s[6:7]
	s_and_saveexec_b64 s[6:7], s[4:5]
	s_cbranch_execz .LBB21_524
.LBB21_523:
	v_bfe_u32 v20, v14, 8, 3
	v_ffbh_u32_e32 v23, v20
	v_min_u32_e32 v23, 32, v23
	v_lshrrev_b16_e32 v22, 3, v21
	v_subrev_u32_e32 v24, 28, v23
	v_and_b32_e32 v22, 15, v22
	v_lshlrev_b32_e32 v21, v24, v21
	v_sub_u32_e32 v23, 29, v23
	v_and_b32_e32 v21, 7, v21
	v_cmp_eq_u16_e32 vcc, 0, v22
	v_cndmask_b32_e32 v20, v20, v21, vcc
	v_cndmask_b32_e32 v21, v22, v23, vcc
	v_lshlrev_b32_e32 v22, 16, v14
	v_mov_b32_e32 v23, 0x3b800000
	v_lshlrev_b32_e32 v20, 20, v20
	v_and_b32_e32 v22, 0x80000000, v22
	v_lshl_add_u32 v21, v21, 23, v23
	v_or3_b32 v20, v22, v21, v20
.LBB21_524:
	s_or_b64 exec, exec, s[6:7]
	v_lshrrev_b32_e32 v21, 8, v10
	s_movk_i32 s4, 0x7f
	v_cmp_gt_i16_sdwa s[6:7], v21, s4 src0_sel:BYTE_0 src1_sel:DWORD
	s_mov_b64 s[4:5], 0
                                        ; implicit-def: $sgpr10
	s_and_saveexec_b64 s[8:9], s[6:7]
	s_xor_b64 s[6:7], exec, s[8:9]
	s_cbranch_execnz .LBB21_2573
; %bb.525:
	s_or_saveexec_b64 s[6:7], s[6:7]
	v_mov_b32_e32 v22, s10
	s_xor_b64 exec, exec, s[6:7]
	s_cbranch_execnz .LBB21_2576
.LBB21_526:
	s_or_b64 exec, exec, s[6:7]
	s_and_saveexec_b64 s[6:7], s[4:5]
	s_cbranch_execz .LBB21_528
.LBB21_527:
	v_bfe_u32 v22, v10, 8, 3
	v_ffbh_u32_e32 v24, v22
	v_min_u32_e32 v24, 32, v24
	v_lshrrev_b16_e32 v23, 3, v21
	v_subrev_u32_e32 v25, 28, v24
	v_and_b32_e32 v23, 15, v23
	v_lshlrev_b32_e32 v21, v25, v21
	v_sub_u32_e32 v24, 29, v24
	v_and_b32_e32 v21, 7, v21
	v_cmp_eq_u16_e32 vcc, 0, v23
	v_cndmask_b32_e32 v21, v22, v21, vcc
	v_cndmask_b32_e32 v22, v23, v24, vcc
	v_lshlrev_b32_e32 v23, 16, v10
	v_mov_b32_e32 v24, 0x3b800000
	v_lshlrev_b32_e32 v21, 20, v21
	v_and_b32_e32 v23, 0x80000000, v23
	v_lshl_add_u32 v22, v22, 23, v24
	v_or3_b32 v22, v23, v22, v21
.LBB21_528:
	s_or_b64 exec, exec, s[6:7]
	s_nop 0
	v_mfma_f32_16x16x4f32 a[0:3], v20, v22, a[0:3]
	s_movk_i32 s4, 0xff
	v_and_b32_sdwa v21, v14, s4 dst_sel:DWORD dst_unused:UNUSED_PAD src0_sel:WORD_1 src1_sel:DWORD
	s_movk_i32 s4, 0x7f
	v_cmp_lt_i16_e32 vcc, s4, v21
	s_mov_b64 s[4:5], 0
                                        ; implicit-def: $sgpr10
	s_and_saveexec_b64 s[6:7], vcc
	s_xor_b64 s[6:7], exec, s[6:7]
	s_cbranch_execnz .LBB21_2577
; %bb.529:
	s_or_saveexec_b64 s[6:7], s[6:7]
	v_mov_b32_e32 v20, s10
	s_xor_b64 exec, exec, s[6:7]
	s_cbranch_execnz .LBB21_2580
.LBB21_530:
	s_or_b64 exec, exec, s[6:7]
	s_and_saveexec_b64 s[6:7], s[4:5]
	s_cbranch_execz .LBB21_532
.LBB21_531:
	v_bfe_u32 v20, v14, 16, 3
	v_ffbh_u32_e32 v23, v20
	v_min_u32_e32 v23, 32, v23
	v_lshrrev_b32_e32 v21, 19, v14
	v_subrev_u32_e32 v24, 28, v23
	v_and_b32_e32 v21, 15, v21
	v_lshlrev_b32_sdwa v24, v24, v14 dst_sel:DWORD dst_unused:UNUSED_PAD src0_sel:DWORD src1_sel:WORD_1
	v_bfe_u32 v22, v14, 19, 4
	v_sub_u32_e32 v23, 29, v23
	v_and_b32_e32 v24, 7, v24
	v_cmp_eq_u16_e32 vcc, 0, v21
	v_cndmask_b32_e32 v20, v20, v24, vcc
	v_cndmask_b32_e32 v21, v22, v23, vcc
	v_lshlrev_b32_e32 v22, 8, v14
	v_mov_b32_e32 v23, 0x3b800000
	v_lshlrev_b32_e32 v20, 20, v20
	v_and_b32_e32 v22, 0x80000000, v22
	v_lshl_add_u32 v21, v21, 23, v23
	v_or3_b32 v20, v22, v21, v20
.LBB21_532:
	s_or_b64 exec, exec, s[6:7]
	s_movk_i32 s4, 0xff
	v_and_b32_sdwa v21, v10, s4 dst_sel:DWORD dst_unused:UNUSED_PAD src0_sel:WORD_1 src1_sel:DWORD
	s_movk_i32 s4, 0x7f
	v_cmp_lt_i16_e32 vcc, s4, v21
	s_mov_b64 s[4:5], 0
                                        ; implicit-def: $sgpr10
	s_and_saveexec_b64 s[6:7], vcc
	s_xor_b64 s[6:7], exec, s[6:7]
	s_cbranch_execnz .LBB21_2581
; %bb.533:
	s_or_saveexec_b64 s[6:7], s[6:7]
	v_mov_b32_e32 v22, s10
	s_xor_b64 exec, exec, s[6:7]
	s_cbranch_execnz .LBB21_2584
.LBB21_534:
	s_or_b64 exec, exec, s[6:7]
	s_and_saveexec_b64 s[6:7], s[4:5]
	s_cbranch_execz .LBB21_536
.LBB21_535:
	v_bfe_u32 v21, v10, 16, 3
	v_ffbh_u32_e32 v24, v21
	v_min_u32_e32 v24, 32, v24
	v_lshrrev_b32_e32 v22, 19, v10
	v_subrev_u32_e32 v25, 28, v24
	v_and_b32_e32 v22, 15, v22
	v_lshlrev_b32_sdwa v25, v25, v10 dst_sel:DWORD dst_unused:UNUSED_PAD src0_sel:DWORD src1_sel:WORD_1
	v_bfe_u32 v23, v10, 19, 4
	v_sub_u32_e32 v24, 29, v24
	v_and_b32_e32 v25, 7, v25
	v_cmp_eq_u16_e32 vcc, 0, v22
	v_cndmask_b32_e32 v21, v21, v25, vcc
	v_cndmask_b32_e32 v22, v23, v24, vcc
	v_lshlrev_b32_e32 v23, 8, v10
	v_mov_b32_e32 v24, 0x3b800000
	v_lshlrev_b32_e32 v21, 20, v21
	v_and_b32_e32 v23, 0x80000000, v23
	v_lshl_add_u32 v22, v22, 23, v24
	v_or3_b32 v22, v23, v22, v21
.LBB21_536:
	s_or_b64 exec, exec, s[6:7]
	s_nop 0
	v_mfma_f32_16x16x4f32 a[0:3], v20, v22, a[0:3]
	s_movk_i32 s4, 0x7f
	v_cmp_gt_i16_sdwa s[6:7], v14, s4 src0_sel:BYTE_3 src1_sel:DWORD
	s_mov_b64 s[4:5], 0
                                        ; implicit-def: $sgpr10
	s_and_saveexec_b64 s[8:9], s[6:7]
	s_xor_b64 s[6:7], exec, s[8:9]
	s_cbranch_execnz .LBB21_2585
; %bb.537:
	s_or_saveexec_b64 s[6:7], s[6:7]
	v_mov_b32_e32 v20, s10
	s_xor_b64 exec, exec, s[6:7]
	s_cbranch_execnz .LBB21_2588
.LBB21_538:
	s_or_b64 exec, exec, s[6:7]
	s_and_saveexec_b64 s[6:7], s[4:5]
	s_cbranch_execz .LBB21_540
.LBB21_539:
	v_bfe_u32 v20, v14, 24, 3
	v_ffbh_u32_e32 v24, v20
	v_min_u32_e32 v24, 32, v24
	v_lshrrev_b32_e32 v22, 27, v14
	v_subrev_u32_e32 v25, 28, v24
	v_and_b32_e32 v21, 0x80000000, v14
	v_and_b32_e32 v22, 15, v22
	v_bfe_u32 v23, v14, 27, 4
	v_lshlrev_b32_sdwa v14, v25, v14 dst_sel:DWORD dst_unused:UNUSED_PAD src0_sel:DWORD src1_sel:BYTE_3
	v_sub_u32_e32 v24, 29, v24
	v_and_b32_e32 v14, 7, v14
	v_cmp_eq_u16_e32 vcc, 0, v22
	v_cndmask_b32_e32 v14, v20, v14, vcc
	v_cndmask_b32_e32 v20, v23, v24, vcc
	v_mov_b32_e32 v22, 0x3b800000
	v_lshlrev_b32_e32 v14, 20, v14
	v_lshl_add_u32 v20, v20, 23, v22
	v_or3_b32 v20, v21, v20, v14
.LBB21_540:
	s_or_b64 exec, exec, s[6:7]
	s_movk_i32 s4, 0x7f
	v_cmp_gt_i16_sdwa s[6:7], v10, s4 src0_sel:BYTE_3 src1_sel:DWORD
	s_mov_b64 s[4:5], 0
                                        ; implicit-def: $sgpr10
	s_and_saveexec_b64 s[8:9], s[6:7]
	s_xor_b64 s[6:7], exec, s[8:9]
	s_cbranch_execnz .LBB21_2589
; %bb.541:
	s_or_saveexec_b64 s[6:7], s[6:7]
	v_mov_b32_e32 v14, s10
	s_xor_b64 exec, exec, s[6:7]
	s_cbranch_execnz .LBB21_2592
.LBB21_542:
	s_or_b64 exec, exec, s[6:7]
	s_and_saveexec_b64 s[6:7], s[4:5]
	s_cbranch_execz .LBB21_544
.LBB21_543:
	v_bfe_u32 v14, v10, 24, 3
	v_ffbh_u32_e32 v24, v14
	v_min_u32_e32 v24, 32, v24
	v_lshrrev_b32_e32 v22, 27, v10
	v_subrev_u32_e32 v25, 28, v24
	v_and_b32_e32 v21, 0x80000000, v10
	v_and_b32_e32 v22, 15, v22
	v_bfe_u32 v23, v10, 27, 4
	v_lshlrev_b32_sdwa v10, v25, v10 dst_sel:DWORD dst_unused:UNUSED_PAD src0_sel:DWORD src1_sel:BYTE_3
	v_sub_u32_e32 v24, 29, v24
	v_and_b32_e32 v10, 7, v10
	v_cmp_eq_u16_e32 vcc, 0, v22
	v_cndmask_b32_e32 v10, v14, v10, vcc
	v_cndmask_b32_e32 v14, v23, v24, vcc
	v_mov_b32_e32 v22, 0x3b800000
	v_lshlrev_b32_e32 v10, 20, v10
	v_lshl_add_u32 v14, v14, 23, v22
	v_or3_b32 v14, v21, v14, v10
.LBB21_544:
	s_or_b64 exec, exec, s[6:7]
	s_nop 0
	v_mfma_f32_16x16x4f32 a[0:3], v20, v14, a[0:3]
	s_movk_i32 s4, 0x7f
	v_cmp_gt_i16_sdwa s[6:7], v15, s4 src0_sel:BYTE_0 src1_sel:DWORD
	s_mov_b64 s[4:5], 0
                                        ; implicit-def: $sgpr10
	s_and_saveexec_b64 s[8:9], s[6:7]
	s_xor_b64 s[6:7], exec, s[8:9]
	s_cbranch_execnz .LBB21_2593
; %bb.545:
	s_or_saveexec_b64 s[6:7], s[6:7]
	v_mov_b32_e32 v10, s10
	s_xor_b64 exec, exec, s[6:7]
	s_cbranch_execnz .LBB21_2596
.LBB21_546:
	s_or_b64 exec, exec, s[6:7]
	s_and_saveexec_b64 s[6:7], s[4:5]
	s_cbranch_execz .LBB21_548
.LBB21_547:
	v_and_b32_e32 v10, 7, v15
	v_ffbh_u32_e32 v20, v10
	v_min_u32_e32 v20, 32, v20
	v_lshrrev_b16_e32 v14, 3, v15
	v_subrev_u32_e32 v21, 28, v20
	v_and_b32_e32 v14, 15, v14
	v_lshlrev_b32_e32 v21, v21, v15
	v_sub_u32_e32 v20, 29, v20
	v_and_b32_e32 v21, 7, v21
	v_cmp_eq_u16_e32 vcc, 0, v14
	v_cndmask_b32_e32 v10, v10, v21, vcc
	v_cndmask_b32_e32 v14, v14, v20, vcc
	v_lshlrev_b32_e32 v20, 24, v15
	v_mov_b32_e32 v21, 0x3b800000
	v_lshlrev_b32_e32 v10, 20, v10
	v_and_b32_e32 v20, 0x80000000, v20
	v_lshl_add_u32 v14, v14, 23, v21
	v_or3_b32 v10, v20, v14, v10
.LBB21_548:
	s_or_b64 exec, exec, s[6:7]
	s_movk_i32 s4, 0x7f
	v_cmp_gt_i16_sdwa s[6:7], v11, s4 src0_sel:BYTE_0 src1_sel:DWORD
	s_mov_b64 s[4:5], 0
                                        ; implicit-def: $sgpr10
	s_and_saveexec_b64 s[8:9], s[6:7]
	s_xor_b64 s[6:7], exec, s[8:9]
	s_cbranch_execnz .LBB21_2597
; %bb.549:
	s_or_saveexec_b64 s[6:7], s[6:7]
	v_mov_b32_e32 v14, s10
	s_xor_b64 exec, exec, s[6:7]
	s_cbranch_execnz .LBB21_2600
.LBB21_550:
	s_or_b64 exec, exec, s[6:7]
	s_and_saveexec_b64 s[6:7], s[4:5]
	s_cbranch_execz .LBB21_552
.LBB21_551:
	v_and_b32_e32 v14, 7, v11
	v_ffbh_u32_e32 v21, v14
	v_min_u32_e32 v21, 32, v21
	v_lshrrev_b16_e32 v20, 3, v11
	v_subrev_u32_e32 v22, 28, v21
	v_and_b32_e32 v20, 15, v20
	v_lshlrev_b32_e32 v22, v22, v11
	v_sub_u32_e32 v21, 29, v21
	v_and_b32_e32 v22, 7, v22
	v_cmp_eq_u16_e32 vcc, 0, v20
	v_cndmask_b32_e32 v14, v14, v22, vcc
	v_cndmask_b32_e32 v20, v20, v21, vcc
	v_lshlrev_b32_e32 v21, 24, v11
	v_mov_b32_e32 v22, 0x3b800000
	v_lshlrev_b32_e32 v14, 20, v14
	v_and_b32_e32 v21, 0x80000000, v21
	v_lshl_add_u32 v20, v20, 23, v22
	v_or3_b32 v14, v21, v20, v14
.LBB21_552:
	s_or_b64 exec, exec, s[6:7]
	s_nop 0
	v_mfma_f32_16x16x4f32 a[0:3], v10, v14, a[0:3]
	v_lshrrev_b32_e32 v14, 8, v15
	s_movk_i32 s4, 0x7f
	v_cmp_gt_i16_sdwa s[6:7], v14, s4 src0_sel:BYTE_0 src1_sel:DWORD
	s_mov_b64 s[4:5], 0
                                        ; implicit-def: $sgpr10
	s_and_saveexec_b64 s[8:9], s[6:7]
	s_xor_b64 s[6:7], exec, s[8:9]
	s_cbranch_execnz .LBB21_2601
; %bb.553:
	s_or_saveexec_b64 s[6:7], s[6:7]
	v_mov_b32_e32 v10, s10
	s_xor_b64 exec, exec, s[6:7]
	s_cbranch_execnz .LBB21_2604
.LBB21_554:
	s_or_b64 exec, exec, s[6:7]
	s_and_saveexec_b64 s[6:7], s[4:5]
	s_cbranch_execz .LBB21_556
.LBB21_555:
	v_bfe_u32 v10, v15, 8, 3
	v_ffbh_u32_e32 v21, v10
	v_min_u32_e32 v21, 32, v21
	v_lshrrev_b16_e32 v20, 3, v14
	v_subrev_u32_e32 v22, 28, v21
	v_and_b32_e32 v20, 15, v20
	v_lshlrev_b32_e32 v14, v22, v14
	v_sub_u32_e32 v21, 29, v21
	v_and_b32_e32 v14, 7, v14
	v_cmp_eq_u16_e32 vcc, 0, v20
	v_cndmask_b32_e32 v10, v10, v14, vcc
	v_cndmask_b32_e32 v14, v20, v21, vcc
	v_lshlrev_b32_e32 v20, 16, v15
	v_mov_b32_e32 v21, 0x3b800000
	v_lshlrev_b32_e32 v10, 20, v10
	v_and_b32_e32 v20, 0x80000000, v20
	v_lshl_add_u32 v14, v14, 23, v21
	v_or3_b32 v10, v20, v14, v10
.LBB21_556:
	s_or_b64 exec, exec, s[6:7]
	v_lshrrev_b32_e32 v14, 8, v11
	s_movk_i32 s4, 0x7f
	v_cmp_gt_i16_sdwa s[6:7], v14, s4 src0_sel:BYTE_0 src1_sel:DWORD
	s_mov_b64 s[4:5], 0
                                        ; implicit-def: $sgpr10
	s_and_saveexec_b64 s[8:9], s[6:7]
	s_xor_b64 s[6:7], exec, s[8:9]
	s_cbranch_execnz .LBB21_2605
; %bb.557:
	s_or_saveexec_b64 s[6:7], s[6:7]
	v_mov_b32_e32 v20, s10
	s_xor_b64 exec, exec, s[6:7]
	s_cbranch_execnz .LBB21_2608
.LBB21_558:
	s_or_b64 exec, exec, s[6:7]
	s_and_saveexec_b64 s[6:7], s[4:5]
	s_cbranch_execz .LBB21_560
.LBB21_559:
	v_bfe_u32 v20, v11, 8, 3
	v_ffbh_u32_e32 v22, v20
	v_min_u32_e32 v22, 32, v22
	v_lshrrev_b16_e32 v21, 3, v14
	v_subrev_u32_e32 v23, 28, v22
	v_and_b32_e32 v21, 15, v21
	v_lshlrev_b32_e32 v14, v23, v14
	v_sub_u32_e32 v22, 29, v22
	v_and_b32_e32 v14, 7, v14
	v_cmp_eq_u16_e32 vcc, 0, v21
	v_cndmask_b32_e32 v14, v20, v14, vcc
	v_cndmask_b32_e32 v20, v21, v22, vcc
	v_lshlrev_b32_e32 v21, 16, v11
	v_mov_b32_e32 v22, 0x3b800000
	v_lshlrev_b32_e32 v14, 20, v14
	v_and_b32_e32 v21, 0x80000000, v21
	v_lshl_add_u32 v20, v20, 23, v22
	v_or3_b32 v20, v21, v20, v14
.LBB21_560:
	s_or_b64 exec, exec, s[6:7]
	s_nop 0
	v_mfma_f32_16x16x4f32 a[0:3], v10, v20, a[0:3]
	s_movk_i32 s4, 0xff
	v_and_b32_sdwa v14, v15, s4 dst_sel:DWORD dst_unused:UNUSED_PAD src0_sel:WORD_1 src1_sel:DWORD
	s_movk_i32 s4, 0x7f
	v_cmp_lt_i16_e32 vcc, s4, v14
	s_mov_b64 s[4:5], 0
                                        ; implicit-def: $sgpr10
	s_and_saveexec_b64 s[6:7], vcc
	s_xor_b64 s[6:7], exec, s[6:7]
	s_cbranch_execnz .LBB21_2609
; %bb.561:
	s_or_saveexec_b64 s[6:7], s[6:7]
	v_mov_b32_e32 v10, s10
	s_xor_b64 exec, exec, s[6:7]
	s_cbranch_execnz .LBB21_2612
.LBB21_562:
	s_or_b64 exec, exec, s[6:7]
	s_and_saveexec_b64 s[6:7], s[4:5]
	s_cbranch_execz .LBB21_564
.LBB21_563:
	v_bfe_u32 v10, v15, 16, 3
	v_ffbh_u32_e32 v21, v10
	v_min_u32_e32 v21, 32, v21
	v_lshrrev_b32_e32 v14, 19, v15
	v_subrev_u32_e32 v22, 28, v21
	v_and_b32_e32 v14, 15, v14
	v_lshlrev_b32_sdwa v22, v22, v15 dst_sel:DWORD dst_unused:UNUSED_PAD src0_sel:DWORD src1_sel:WORD_1
	v_bfe_u32 v20, v15, 19, 4
	v_sub_u32_e32 v21, 29, v21
	v_and_b32_e32 v22, 7, v22
	v_cmp_eq_u16_e32 vcc, 0, v14
	v_cndmask_b32_e32 v10, v10, v22, vcc
	v_cndmask_b32_e32 v14, v20, v21, vcc
	v_lshlrev_b32_e32 v20, 8, v15
	v_mov_b32_e32 v21, 0x3b800000
	v_lshlrev_b32_e32 v10, 20, v10
	v_and_b32_e32 v20, 0x80000000, v20
	v_lshl_add_u32 v14, v14, 23, v21
	v_or3_b32 v10, v20, v14, v10
.LBB21_564:
	s_or_b64 exec, exec, s[6:7]
	s_movk_i32 s4, 0xff
	v_and_b32_sdwa v14, v11, s4 dst_sel:DWORD dst_unused:UNUSED_PAD src0_sel:WORD_1 src1_sel:DWORD
	s_movk_i32 s4, 0x7f
	v_cmp_lt_i16_e32 vcc, s4, v14
	s_mov_b64 s[4:5], 0
                                        ; implicit-def: $sgpr10
	s_and_saveexec_b64 s[6:7], vcc
	s_xor_b64 s[6:7], exec, s[6:7]
	s_cbranch_execnz .LBB21_2613
; %bb.565:
	s_or_saveexec_b64 s[6:7], s[6:7]
	v_mov_b32_e32 v20, s10
	s_xor_b64 exec, exec, s[6:7]
	s_cbranch_execnz .LBB21_2616
.LBB21_566:
	s_or_b64 exec, exec, s[6:7]
	s_and_saveexec_b64 s[6:7], s[4:5]
	s_cbranch_execz .LBB21_568
.LBB21_567:
	v_bfe_u32 v14, v11, 16, 3
	v_ffbh_u32_e32 v22, v14
	v_min_u32_e32 v22, 32, v22
	v_lshrrev_b32_e32 v20, 19, v11
	v_subrev_u32_e32 v23, 28, v22
	v_and_b32_e32 v20, 15, v20
	v_lshlrev_b32_sdwa v23, v23, v11 dst_sel:DWORD dst_unused:UNUSED_PAD src0_sel:DWORD src1_sel:WORD_1
	v_bfe_u32 v21, v11, 19, 4
	v_sub_u32_e32 v22, 29, v22
	v_and_b32_e32 v23, 7, v23
	v_cmp_eq_u16_e32 vcc, 0, v20
	v_cndmask_b32_e32 v14, v14, v23, vcc
	v_cndmask_b32_e32 v20, v21, v22, vcc
	v_lshlrev_b32_e32 v21, 8, v11
	v_mov_b32_e32 v22, 0x3b800000
	v_lshlrev_b32_e32 v14, 20, v14
	v_and_b32_e32 v21, 0x80000000, v21
	v_lshl_add_u32 v20, v20, 23, v22
	v_or3_b32 v20, v21, v20, v14
.LBB21_568:
	s_or_b64 exec, exec, s[6:7]
	s_nop 0
	v_mfma_f32_16x16x4f32 a[0:3], v10, v20, a[0:3]
	s_movk_i32 s4, 0x7f
	v_cmp_gt_i16_sdwa s[6:7], v15, s4 src0_sel:BYTE_3 src1_sel:DWORD
	s_mov_b64 s[4:5], 0
                                        ; implicit-def: $sgpr10
	s_and_saveexec_b64 s[8:9], s[6:7]
	s_xor_b64 s[6:7], exec, s[8:9]
	s_cbranch_execnz .LBB21_2617
; %bb.569:
	s_or_saveexec_b64 s[6:7], s[6:7]
	v_mov_b32_e32 v10, s10
	s_xor_b64 exec, exec, s[6:7]
	s_cbranch_execnz .LBB21_2620
.LBB21_570:
	s_or_b64 exec, exec, s[6:7]
	s_and_saveexec_b64 s[6:7], s[4:5]
	s_cbranch_execz .LBB21_572
.LBB21_571:
	v_bfe_u32 v10, v15, 24, 3
	v_ffbh_u32_e32 v22, v10
	v_min_u32_e32 v22, 32, v22
	v_lshrrev_b32_e32 v20, 27, v15
	v_subrev_u32_e32 v23, 28, v22
	v_and_b32_e32 v14, 0x80000000, v15
	v_and_b32_e32 v20, 15, v20
	v_bfe_u32 v21, v15, 27, 4
	v_lshlrev_b32_sdwa v15, v23, v15 dst_sel:DWORD dst_unused:UNUSED_PAD src0_sel:DWORD src1_sel:BYTE_3
	v_sub_u32_e32 v22, 29, v22
	v_and_b32_e32 v15, 7, v15
	v_cmp_eq_u16_e32 vcc, 0, v20
	v_cndmask_b32_e32 v10, v10, v15, vcc
	v_cndmask_b32_e32 v15, v21, v22, vcc
	v_mov_b32_e32 v20, 0x3b800000
	v_lshlrev_b32_e32 v10, 20, v10
	v_lshl_add_u32 v15, v15, 23, v20
	v_or3_b32 v10, v14, v15, v10
.LBB21_572:
	s_or_b64 exec, exec, s[6:7]
	s_movk_i32 s4, 0x7f
	v_cmp_gt_i16_sdwa s[6:7], v11, s4 src0_sel:BYTE_3 src1_sel:DWORD
	s_mov_b64 s[4:5], 0
                                        ; implicit-def: $sgpr10
	s_and_saveexec_b64 s[8:9], s[6:7]
	s_xor_b64 s[6:7], exec, s[8:9]
	s_cbranch_execnz .LBB21_2621
; %bb.573:
	s_or_saveexec_b64 s[6:7], s[6:7]
	v_mov_b32_e32 v14, s10
	s_xor_b64 exec, exec, s[6:7]
	s_cbranch_execnz .LBB21_2624
.LBB21_574:
	s_or_b64 exec, exec, s[6:7]
	s_and_saveexec_b64 s[6:7], s[4:5]
	s_cbranch_execz .LBB21_576
.LBB21_575:
	v_bfe_u32 v14, v11, 24, 3
	v_ffbh_u32_e32 v22, v14
	v_min_u32_e32 v22, 32, v22
	v_lshrrev_b32_e32 v20, 27, v11
	v_subrev_u32_e32 v23, 28, v22
	v_and_b32_e32 v15, 0x80000000, v11
	v_and_b32_e32 v20, 15, v20
	v_bfe_u32 v21, v11, 27, 4
	v_lshlrev_b32_sdwa v11, v23, v11 dst_sel:DWORD dst_unused:UNUSED_PAD src0_sel:DWORD src1_sel:BYTE_3
	v_sub_u32_e32 v22, 29, v22
	v_and_b32_e32 v11, 7, v11
	v_cmp_eq_u16_e32 vcc, 0, v20
	v_cndmask_b32_e32 v11, v14, v11, vcc
	v_cndmask_b32_e32 v14, v21, v22, vcc
	v_mov_b32_e32 v20, 0x3b800000
	v_lshlrev_b32_e32 v11, 20, v11
	v_lshl_add_u32 v14, v14, 23, v20
	v_or3_b32 v14, v15, v14, v11
.LBB21_576:
	s_or_b64 exec, exec, s[6:7]
	s_nop 0
	v_mfma_f32_16x16x4f32 a[0:3], v10, v14, a[0:3]
	s_movk_i32 s4, 0x7f
	v_cmp_gt_i16_sdwa s[6:7], v16, s4 src0_sel:BYTE_0 src1_sel:DWORD
	s_mov_b64 s[4:5], 0
                                        ; implicit-def: $sgpr10
	s_and_saveexec_b64 s[8:9], s[6:7]
	s_xor_b64 s[6:7], exec, s[8:9]
	s_cbranch_execnz .LBB21_2625
; %bb.577:
	s_or_saveexec_b64 s[6:7], s[6:7]
	v_mov_b32_e32 v10, s10
	s_xor_b64 exec, exec, s[6:7]
	s_cbranch_execnz .LBB21_2628
.LBB21_578:
	s_or_b64 exec, exec, s[6:7]
	s_and_saveexec_b64 s[6:7], s[4:5]
	s_cbranch_execz .LBB21_580
.LBB21_579:
	v_and_b32_e32 v10, 7, v16
	v_ffbh_u32_e32 v14, v10
	v_min_u32_e32 v14, 32, v14
	v_lshrrev_b16_e32 v11, 3, v16
	v_subrev_u32_e32 v15, 28, v14
	v_and_b32_e32 v11, 15, v11
	v_lshlrev_b32_e32 v15, v15, v16
	v_sub_u32_e32 v14, 29, v14
	v_and_b32_e32 v15, 7, v15
	v_cmp_eq_u16_e32 vcc, 0, v11
	v_cndmask_b32_e32 v10, v10, v15, vcc
	v_cndmask_b32_e32 v11, v11, v14, vcc
	v_lshlrev_b32_e32 v14, 24, v16
	v_mov_b32_e32 v15, 0x3b800000
	v_lshlrev_b32_e32 v10, 20, v10
	v_and_b32_e32 v14, 0x80000000, v14
	v_lshl_add_u32 v11, v11, 23, v15
	v_or3_b32 v10, v14, v11, v10
.LBB21_580:
	s_or_b64 exec, exec, s[6:7]
	s_movk_i32 s4, 0x7f
	v_cmp_gt_i16_sdwa s[6:7], v12, s4 src0_sel:BYTE_0 src1_sel:DWORD
	s_mov_b64 s[4:5], 0
                                        ; implicit-def: $sgpr10
	s_and_saveexec_b64 s[8:9], s[6:7]
	s_xor_b64 s[6:7], exec, s[8:9]
	s_cbranch_execnz .LBB21_2629
; %bb.581:
	s_or_saveexec_b64 s[6:7], s[6:7]
	v_mov_b32_e32 v11, s10
	s_xor_b64 exec, exec, s[6:7]
	s_cbranch_execnz .LBB21_2632
.LBB21_582:
	s_or_b64 exec, exec, s[6:7]
	s_and_saveexec_b64 s[6:7], s[4:5]
	s_cbranch_execz .LBB21_584
.LBB21_583:
	v_and_b32_e32 v11, 7, v12
	v_ffbh_u32_e32 v15, v11
	v_min_u32_e32 v15, 32, v15
	v_lshrrev_b16_e32 v14, 3, v12
	v_subrev_u32_e32 v20, 28, v15
	v_and_b32_e32 v14, 15, v14
	v_lshlrev_b32_e32 v20, v20, v12
	v_sub_u32_e32 v15, 29, v15
	v_and_b32_e32 v20, 7, v20
	v_cmp_eq_u16_e32 vcc, 0, v14
	v_cndmask_b32_e32 v11, v11, v20, vcc
	v_cndmask_b32_e32 v14, v14, v15, vcc
	v_lshlrev_b32_e32 v15, 24, v12
	v_mov_b32_e32 v20, 0x3b800000
	v_lshlrev_b32_e32 v11, 20, v11
	v_and_b32_e32 v15, 0x80000000, v15
	v_lshl_add_u32 v14, v14, 23, v20
	v_or3_b32 v11, v15, v14, v11
.LBB21_584:
	s_or_b64 exec, exec, s[6:7]
	s_nop 0
	v_mfma_f32_16x16x4f32 a[0:3], v10, v11, a[0:3]
	v_lshrrev_b32_e32 v11, 8, v16
	s_movk_i32 s4, 0x7f
	v_cmp_gt_i16_sdwa s[6:7], v11, s4 src0_sel:BYTE_0 src1_sel:DWORD
	s_mov_b64 s[4:5], 0
                                        ; implicit-def: $sgpr10
	s_and_saveexec_b64 s[8:9], s[6:7]
	s_xor_b64 s[6:7], exec, s[8:9]
	s_cbranch_execnz .LBB21_2633
; %bb.585:
	s_or_saveexec_b64 s[6:7], s[6:7]
	v_mov_b32_e32 v10, s10
	s_xor_b64 exec, exec, s[6:7]
	s_cbranch_execnz .LBB21_2636
.LBB21_586:
	s_or_b64 exec, exec, s[6:7]
	s_and_saveexec_b64 s[6:7], s[4:5]
	s_cbranch_execz .LBB21_588
.LBB21_587:
	v_bfe_u32 v10, v16, 8, 3
	v_ffbh_u32_e32 v15, v10
	v_min_u32_e32 v15, 32, v15
	v_lshrrev_b16_e32 v14, 3, v11
	v_subrev_u32_e32 v20, 28, v15
	v_and_b32_e32 v14, 15, v14
	v_lshlrev_b32_e32 v11, v20, v11
	v_sub_u32_e32 v15, 29, v15
	v_and_b32_e32 v11, 7, v11
	v_cmp_eq_u16_e32 vcc, 0, v14
	v_cndmask_b32_e32 v10, v10, v11, vcc
	v_cndmask_b32_e32 v11, v14, v15, vcc
	v_lshlrev_b32_e32 v14, 16, v16
	v_mov_b32_e32 v15, 0x3b800000
	v_lshlrev_b32_e32 v10, 20, v10
	v_and_b32_e32 v14, 0x80000000, v14
	v_lshl_add_u32 v11, v11, 23, v15
	v_or3_b32 v10, v14, v11, v10
.LBB21_588:
	s_or_b64 exec, exec, s[6:7]
	v_lshrrev_b32_e32 v11, 8, v12
	s_movk_i32 s4, 0x7f
	v_cmp_gt_i16_sdwa s[6:7], v11, s4 src0_sel:BYTE_0 src1_sel:DWORD
	s_mov_b64 s[4:5], 0
                                        ; implicit-def: $sgpr10
	s_and_saveexec_b64 s[8:9], s[6:7]
	s_xor_b64 s[6:7], exec, s[8:9]
	s_cbranch_execnz .LBB21_2637
; %bb.589:
	s_or_saveexec_b64 s[6:7], s[6:7]
	v_mov_b32_e32 v14, s10
	s_xor_b64 exec, exec, s[6:7]
	s_cbranch_execnz .LBB21_2640
.LBB21_590:
	s_or_b64 exec, exec, s[6:7]
	s_and_saveexec_b64 s[6:7], s[4:5]
	s_cbranch_execz .LBB21_592
.LBB21_591:
	v_bfe_u32 v14, v12, 8, 3
	v_ffbh_u32_e32 v20, v14
	v_min_u32_e32 v20, 32, v20
	v_lshrrev_b16_e32 v15, 3, v11
	v_subrev_u32_e32 v21, 28, v20
	v_and_b32_e32 v15, 15, v15
	v_lshlrev_b32_e32 v11, v21, v11
	v_sub_u32_e32 v20, 29, v20
	v_and_b32_e32 v11, 7, v11
	v_cmp_eq_u16_e32 vcc, 0, v15
	v_cndmask_b32_e32 v11, v14, v11, vcc
	v_cndmask_b32_e32 v14, v15, v20, vcc
	v_lshlrev_b32_e32 v15, 16, v12
	v_mov_b32_e32 v20, 0x3b800000
	v_lshlrev_b32_e32 v11, 20, v11
	v_and_b32_e32 v15, 0x80000000, v15
	v_lshl_add_u32 v14, v14, 23, v20
	v_or3_b32 v14, v15, v14, v11
.LBB21_592:
	s_or_b64 exec, exec, s[6:7]
	s_nop 0
	v_mfma_f32_16x16x4f32 a[0:3], v10, v14, a[0:3]
	s_movk_i32 s4, 0xff
	v_and_b32_sdwa v11, v16, s4 dst_sel:DWORD dst_unused:UNUSED_PAD src0_sel:WORD_1 src1_sel:DWORD
	s_movk_i32 s4, 0x7f
	v_cmp_lt_i16_e32 vcc, s4, v11
	s_mov_b64 s[4:5], 0
                                        ; implicit-def: $sgpr10
	s_and_saveexec_b64 s[6:7], vcc
	s_xor_b64 s[6:7], exec, s[6:7]
	s_cbranch_execnz .LBB21_2641
; %bb.593:
	s_or_saveexec_b64 s[6:7], s[6:7]
	v_mov_b32_e32 v10, s10
	s_xor_b64 exec, exec, s[6:7]
	s_cbranch_execnz .LBB21_2644
.LBB21_594:
	s_or_b64 exec, exec, s[6:7]
	s_and_saveexec_b64 s[6:7], s[4:5]
	s_cbranch_execz .LBB21_596
.LBB21_595:
	v_bfe_u32 v10, v16, 16, 3
	v_ffbh_u32_e32 v15, v10
	v_min_u32_e32 v15, 32, v15
	v_lshrrev_b32_e32 v11, 19, v16
	v_subrev_u32_e32 v20, 28, v15
	v_and_b32_e32 v11, 15, v11
	v_lshlrev_b32_sdwa v20, v20, v16 dst_sel:DWORD dst_unused:UNUSED_PAD src0_sel:DWORD src1_sel:WORD_1
	v_bfe_u32 v14, v16, 19, 4
	v_sub_u32_e32 v15, 29, v15
	v_and_b32_e32 v20, 7, v20
	v_cmp_eq_u16_e32 vcc, 0, v11
	v_cndmask_b32_e32 v10, v10, v20, vcc
	v_cndmask_b32_e32 v11, v14, v15, vcc
	v_lshlrev_b32_e32 v14, 8, v16
	v_mov_b32_e32 v15, 0x3b800000
	v_lshlrev_b32_e32 v10, 20, v10
	v_and_b32_e32 v14, 0x80000000, v14
	v_lshl_add_u32 v11, v11, 23, v15
	v_or3_b32 v10, v14, v11, v10
.LBB21_596:
	s_or_b64 exec, exec, s[6:7]
	s_movk_i32 s4, 0xff
	v_and_b32_sdwa v11, v12, s4 dst_sel:DWORD dst_unused:UNUSED_PAD src0_sel:WORD_1 src1_sel:DWORD
	s_movk_i32 s4, 0x7f
	v_cmp_lt_i16_e32 vcc, s4, v11
	s_mov_b64 s[4:5], 0
                                        ; implicit-def: $sgpr10
	s_and_saveexec_b64 s[6:7], vcc
	s_xor_b64 s[6:7], exec, s[6:7]
	s_cbranch_execnz .LBB21_2645
; %bb.597:
	s_or_saveexec_b64 s[6:7], s[6:7]
	v_mov_b32_e32 v14, s10
	s_xor_b64 exec, exec, s[6:7]
	s_cbranch_execnz .LBB21_2648
.LBB21_598:
	s_or_b64 exec, exec, s[6:7]
	s_and_saveexec_b64 s[6:7], s[4:5]
	s_cbranch_execz .LBB21_600
.LBB21_599:
	v_bfe_u32 v11, v12, 16, 3
	v_ffbh_u32_e32 v20, v11
	v_min_u32_e32 v20, 32, v20
	v_lshrrev_b32_e32 v14, 19, v12
	v_subrev_u32_e32 v21, 28, v20
	v_and_b32_e32 v14, 15, v14
	v_lshlrev_b32_sdwa v21, v21, v12 dst_sel:DWORD dst_unused:UNUSED_PAD src0_sel:DWORD src1_sel:WORD_1
	v_bfe_u32 v15, v12, 19, 4
	v_sub_u32_e32 v20, 29, v20
	v_and_b32_e32 v21, 7, v21
	v_cmp_eq_u16_e32 vcc, 0, v14
	v_cndmask_b32_e32 v11, v11, v21, vcc
	v_cndmask_b32_e32 v14, v15, v20, vcc
	v_lshlrev_b32_e32 v15, 8, v12
	v_mov_b32_e32 v20, 0x3b800000
	v_lshlrev_b32_e32 v11, 20, v11
	v_and_b32_e32 v15, 0x80000000, v15
	v_lshl_add_u32 v14, v14, 23, v20
	v_or3_b32 v14, v15, v14, v11
.LBB21_600:
	s_or_b64 exec, exec, s[6:7]
	s_nop 0
	v_mfma_f32_16x16x4f32 a[0:3], v10, v14, a[0:3]
	s_movk_i32 s4, 0x7f
	v_cmp_gt_i16_sdwa s[6:7], v16, s4 src0_sel:BYTE_3 src1_sel:DWORD
	s_mov_b64 s[4:5], 0
                                        ; implicit-def: $sgpr10
	s_and_saveexec_b64 s[8:9], s[6:7]
	s_xor_b64 s[6:7], exec, s[8:9]
	s_cbranch_execnz .LBB21_2649
; %bb.601:
	s_or_saveexec_b64 s[6:7], s[6:7]
	v_mov_b32_e32 v10, s10
	s_xor_b64 exec, exec, s[6:7]
	s_cbranch_execnz .LBB21_2652
.LBB21_602:
	s_or_b64 exec, exec, s[6:7]
	s_and_saveexec_b64 s[6:7], s[4:5]
	s_cbranch_execz .LBB21_604
.LBB21_603:
	v_bfe_u32 v10, v16, 24, 3
	v_ffbh_u32_e32 v20, v10
	v_min_u32_e32 v20, 32, v20
	v_lshrrev_b32_e32 v14, 27, v16
	v_subrev_u32_e32 v21, 28, v20
	v_and_b32_e32 v11, 0x80000000, v16
	v_and_b32_e32 v14, 15, v14
	v_bfe_u32 v15, v16, 27, 4
	v_lshlrev_b32_sdwa v16, v21, v16 dst_sel:DWORD dst_unused:UNUSED_PAD src0_sel:DWORD src1_sel:BYTE_3
	v_sub_u32_e32 v20, 29, v20
	v_and_b32_e32 v16, 7, v16
	v_cmp_eq_u16_e32 vcc, 0, v14
	v_cndmask_b32_e32 v10, v10, v16, vcc
	v_cndmask_b32_e32 v14, v15, v20, vcc
	v_mov_b32_e32 v15, 0x3b800000
	v_lshlrev_b32_e32 v10, 20, v10
	v_lshl_add_u32 v14, v14, 23, v15
	v_or3_b32 v10, v11, v14, v10
.LBB21_604:
	s_or_b64 exec, exec, s[6:7]
	s_movk_i32 s4, 0x7f
	v_cmp_gt_i16_sdwa s[6:7], v12, s4 src0_sel:BYTE_3 src1_sel:DWORD
	s_mov_b64 s[4:5], 0
                                        ; implicit-def: $sgpr10
	s_and_saveexec_b64 s[8:9], s[6:7]
	s_xor_b64 s[6:7], exec, s[8:9]
	s_cbranch_execnz .LBB21_2653
; %bb.605:
	s_or_saveexec_b64 s[6:7], s[6:7]
	v_mov_b32_e32 v11, s10
	s_xor_b64 exec, exec, s[6:7]
	s_cbranch_execnz .LBB21_2656
.LBB21_606:
	s_or_b64 exec, exec, s[6:7]
	s_and_saveexec_b64 s[6:7], s[4:5]
	s_cbranch_execz .LBB21_608
.LBB21_607:
	v_bfe_u32 v11, v12, 24, 3
	v_ffbh_u32_e32 v20, v11
	v_min_u32_e32 v20, 32, v20
	v_lshrrev_b32_e32 v15, 27, v12
	v_subrev_u32_e32 v21, 28, v20
	v_and_b32_e32 v14, 0x80000000, v12
	v_and_b32_e32 v15, 15, v15
	v_bfe_u32 v16, v12, 27, 4
	v_lshlrev_b32_sdwa v12, v21, v12 dst_sel:DWORD dst_unused:UNUSED_PAD src0_sel:DWORD src1_sel:BYTE_3
	v_sub_u32_e32 v20, 29, v20
	v_and_b32_e32 v12, 7, v12
	v_cmp_eq_u16_e32 vcc, 0, v15
	v_cndmask_b32_e32 v11, v11, v12, vcc
	v_cndmask_b32_e32 v12, v16, v20, vcc
	v_mov_b32_e32 v15, 0x3b800000
	v_lshlrev_b32_e32 v11, 20, v11
	v_lshl_add_u32 v12, v12, 23, v15
	v_or3_b32 v11, v14, v12, v11
.LBB21_608:
	s_or_b64 exec, exec, s[6:7]
	s_nop 0
	v_mfma_f32_16x16x4f32 a[0:3], v10, v11, a[0:3]
	s_movk_i32 s4, 0x7f
	v_cmp_gt_i16_sdwa s[6:7], v17, s4 src0_sel:BYTE_0 src1_sel:DWORD
	s_mov_b64 s[4:5], 0
                                        ; implicit-def: $sgpr10
	s_and_saveexec_b64 s[8:9], s[6:7]
	s_xor_b64 s[6:7], exec, s[8:9]
	s_cbranch_execnz .LBB21_2657
; %bb.609:
	s_or_saveexec_b64 s[6:7], s[6:7]
	v_mov_b32_e32 v10, s10
	s_xor_b64 exec, exec, s[6:7]
	s_cbranch_execnz .LBB21_2660
.LBB21_610:
	s_or_b64 exec, exec, s[6:7]
	s_and_saveexec_b64 s[6:7], s[4:5]
	s_cbranch_execz .LBB21_612
.LBB21_611:
	v_and_b32_e32 v10, 7, v17
	v_ffbh_u32_e32 v12, v10
	v_min_u32_e32 v12, 32, v12
	v_lshrrev_b16_e32 v11, 3, v17
	v_subrev_u32_e32 v14, 28, v12
	v_and_b32_e32 v11, 15, v11
	v_lshlrev_b32_e32 v14, v14, v17
	v_sub_u32_e32 v12, 29, v12
	v_and_b32_e32 v14, 7, v14
	v_cmp_eq_u16_e32 vcc, 0, v11
	v_cndmask_b32_e32 v10, v10, v14, vcc
	v_cndmask_b32_e32 v11, v11, v12, vcc
	v_lshlrev_b32_e32 v12, 24, v17
	v_mov_b32_e32 v14, 0x3b800000
	v_lshlrev_b32_e32 v10, 20, v10
	v_and_b32_e32 v12, 0x80000000, v12
	v_lshl_add_u32 v11, v11, 23, v14
	v_or3_b32 v10, v12, v11, v10
.LBB21_612:
	s_or_b64 exec, exec, s[6:7]
	s_movk_i32 s4, 0x7f
	v_cmp_gt_i16_sdwa s[6:7], v13, s4 src0_sel:BYTE_0 src1_sel:DWORD
	s_mov_b64 s[4:5], 0
                                        ; implicit-def: $sgpr10
	s_and_saveexec_b64 s[8:9], s[6:7]
	s_xor_b64 s[6:7], exec, s[8:9]
	s_cbranch_execnz .LBB21_2661
; %bb.613:
	s_or_saveexec_b64 s[6:7], s[6:7]
	v_mov_b32_e32 v11, s10
	s_xor_b64 exec, exec, s[6:7]
	s_cbranch_execnz .LBB21_2664
.LBB21_614:
	s_or_b64 exec, exec, s[6:7]
	s_and_saveexec_b64 s[6:7], s[4:5]
	s_cbranch_execz .LBB21_616
.LBB21_615:
	v_and_b32_e32 v11, 7, v13
	v_ffbh_u32_e32 v14, v11
	v_min_u32_e32 v14, 32, v14
	v_lshrrev_b16_e32 v12, 3, v13
	v_subrev_u32_e32 v15, 28, v14
	v_and_b32_e32 v12, 15, v12
	v_lshlrev_b32_e32 v15, v15, v13
	v_sub_u32_e32 v14, 29, v14
	v_and_b32_e32 v15, 7, v15
	v_cmp_eq_u16_e32 vcc, 0, v12
	v_cndmask_b32_e32 v11, v11, v15, vcc
	v_cndmask_b32_e32 v12, v12, v14, vcc
	v_lshlrev_b32_e32 v14, 24, v13
	v_mov_b32_e32 v15, 0x3b800000
	v_lshlrev_b32_e32 v11, 20, v11
	v_and_b32_e32 v14, 0x80000000, v14
	v_lshl_add_u32 v12, v12, 23, v15
	v_or3_b32 v11, v14, v12, v11
.LBB21_616:
	s_or_b64 exec, exec, s[6:7]
	s_nop 0
	v_mfma_f32_16x16x4f32 a[0:3], v10, v11, a[0:3]
	v_lshrrev_b32_e32 v11, 8, v17
	s_movk_i32 s4, 0x7f
	v_cmp_gt_i16_sdwa s[6:7], v11, s4 src0_sel:BYTE_0 src1_sel:DWORD
	s_mov_b64 s[4:5], 0
                                        ; implicit-def: $sgpr10
	s_and_saveexec_b64 s[8:9], s[6:7]
	s_xor_b64 s[6:7], exec, s[8:9]
	s_cbranch_execnz .LBB21_2665
; %bb.617:
	s_or_saveexec_b64 s[6:7], s[6:7]
	v_mov_b32_e32 v10, s10
	s_xor_b64 exec, exec, s[6:7]
	s_cbranch_execnz .LBB21_2668
.LBB21_618:
	s_or_b64 exec, exec, s[6:7]
	s_and_saveexec_b64 s[6:7], s[4:5]
	s_cbranch_execz .LBB21_620
.LBB21_619:
	v_bfe_u32 v10, v17, 8, 3
	v_ffbh_u32_e32 v14, v10
	v_min_u32_e32 v14, 32, v14
	v_lshrrev_b16_e32 v12, 3, v11
	v_subrev_u32_e32 v15, 28, v14
	v_and_b32_e32 v12, 15, v12
	v_lshlrev_b32_e32 v11, v15, v11
	v_sub_u32_e32 v14, 29, v14
	v_and_b32_e32 v11, 7, v11
	v_cmp_eq_u16_e32 vcc, 0, v12
	v_cndmask_b32_e32 v10, v10, v11, vcc
	v_cndmask_b32_e32 v11, v12, v14, vcc
	v_lshlrev_b32_e32 v12, 16, v17
	v_mov_b32_e32 v14, 0x3b800000
	v_lshlrev_b32_e32 v10, 20, v10
	v_and_b32_e32 v12, 0x80000000, v12
	v_lshl_add_u32 v11, v11, 23, v14
	v_or3_b32 v10, v12, v11, v10
.LBB21_620:
	s_or_b64 exec, exec, s[6:7]
	v_lshrrev_b32_e32 v11, 8, v13
	s_movk_i32 s4, 0x7f
	v_cmp_gt_i16_sdwa s[6:7], v11, s4 src0_sel:BYTE_0 src1_sel:DWORD
	s_mov_b64 s[4:5], 0
                                        ; implicit-def: $sgpr10
	s_and_saveexec_b64 s[8:9], s[6:7]
	s_xor_b64 s[6:7], exec, s[8:9]
	s_cbranch_execnz .LBB21_2669
; %bb.621:
	s_or_saveexec_b64 s[6:7], s[6:7]
	v_mov_b32_e32 v12, s10
	s_xor_b64 exec, exec, s[6:7]
	s_cbranch_execnz .LBB21_2672
.LBB21_622:
	s_or_b64 exec, exec, s[6:7]
	s_and_saveexec_b64 s[6:7], s[4:5]
	s_cbranch_execz .LBB21_624
.LBB21_623:
	v_bfe_u32 v12, v13, 8, 3
	v_ffbh_u32_e32 v15, v12
	v_min_u32_e32 v15, 32, v15
	v_lshrrev_b16_e32 v14, 3, v11
	v_subrev_u32_e32 v16, 28, v15
	v_and_b32_e32 v14, 15, v14
	v_lshlrev_b32_e32 v11, v16, v11
	v_sub_u32_e32 v15, 29, v15
	v_and_b32_e32 v11, 7, v11
	v_cmp_eq_u16_e32 vcc, 0, v14
	v_cndmask_b32_e32 v11, v12, v11, vcc
	v_cndmask_b32_e32 v12, v14, v15, vcc
	v_lshlrev_b32_e32 v14, 16, v13
	v_mov_b32_e32 v15, 0x3b800000
	v_lshlrev_b32_e32 v11, 20, v11
	v_and_b32_e32 v14, 0x80000000, v14
	v_lshl_add_u32 v12, v12, 23, v15
	v_or3_b32 v12, v14, v12, v11
.LBB21_624:
	s_or_b64 exec, exec, s[6:7]
	s_nop 0
	v_mfma_f32_16x16x4f32 a[0:3], v10, v12, a[0:3]
	s_movk_i32 s4, 0xff
	v_and_b32_sdwa v11, v17, s4 dst_sel:DWORD dst_unused:UNUSED_PAD src0_sel:WORD_1 src1_sel:DWORD
	s_movk_i32 s4, 0x7f
	v_cmp_lt_i16_e32 vcc, s4, v11
	s_mov_b64 s[4:5], 0
                                        ; implicit-def: $sgpr10
	s_and_saveexec_b64 s[6:7], vcc
	s_xor_b64 s[6:7], exec, s[6:7]
	s_cbranch_execnz .LBB21_2673
; %bb.625:
	s_or_saveexec_b64 s[6:7], s[6:7]
	v_mov_b32_e32 v10, s10
	s_xor_b64 exec, exec, s[6:7]
	s_cbranch_execnz .LBB21_2676
.LBB21_626:
	s_or_b64 exec, exec, s[6:7]
	s_and_saveexec_b64 s[6:7], s[4:5]
	s_cbranch_execz .LBB21_628
.LBB21_627:
	v_bfe_u32 v10, v17, 16, 3
	v_ffbh_u32_e32 v14, v10
	v_min_u32_e32 v14, 32, v14
	v_lshrrev_b32_e32 v11, 19, v17
	v_subrev_u32_e32 v15, 28, v14
	v_and_b32_e32 v11, 15, v11
	v_lshlrev_b32_sdwa v15, v15, v17 dst_sel:DWORD dst_unused:UNUSED_PAD src0_sel:DWORD src1_sel:WORD_1
	v_bfe_u32 v12, v17, 19, 4
	v_sub_u32_e32 v14, 29, v14
	v_and_b32_e32 v15, 7, v15
	v_cmp_eq_u16_e32 vcc, 0, v11
	v_cndmask_b32_e32 v10, v10, v15, vcc
	v_cndmask_b32_e32 v11, v12, v14, vcc
	v_lshlrev_b32_e32 v12, 8, v17
	v_mov_b32_e32 v14, 0x3b800000
	v_lshlrev_b32_e32 v10, 20, v10
	v_and_b32_e32 v12, 0x80000000, v12
	v_lshl_add_u32 v11, v11, 23, v14
	v_or3_b32 v10, v12, v11, v10
.LBB21_628:
	s_or_b64 exec, exec, s[6:7]
	s_movk_i32 s4, 0xff
	v_and_b32_sdwa v11, v13, s4 dst_sel:DWORD dst_unused:UNUSED_PAD src0_sel:WORD_1 src1_sel:DWORD
	s_movk_i32 s4, 0x7f
	v_cmp_lt_i16_e32 vcc, s4, v11
	s_mov_b64 s[4:5], 0
                                        ; implicit-def: $sgpr10
	s_and_saveexec_b64 s[6:7], vcc
	s_xor_b64 s[6:7], exec, s[6:7]
	s_cbranch_execnz .LBB21_2677
; %bb.629:
	s_or_saveexec_b64 s[6:7], s[6:7]
	v_mov_b32_e32 v12, s10
	s_xor_b64 exec, exec, s[6:7]
	s_cbranch_execnz .LBB21_2680
.LBB21_630:
	s_or_b64 exec, exec, s[6:7]
	s_and_saveexec_b64 s[6:7], s[4:5]
	s_cbranch_execz .LBB21_632
.LBB21_631:
	v_bfe_u32 v11, v13, 16, 3
	v_ffbh_u32_e32 v15, v11
	v_min_u32_e32 v15, 32, v15
	v_lshrrev_b32_e32 v12, 19, v13
	v_subrev_u32_e32 v16, 28, v15
	v_and_b32_e32 v12, 15, v12
	v_lshlrev_b32_sdwa v16, v16, v13 dst_sel:DWORD dst_unused:UNUSED_PAD src0_sel:DWORD src1_sel:WORD_1
	v_bfe_u32 v14, v13, 19, 4
	v_sub_u32_e32 v15, 29, v15
	v_and_b32_e32 v16, 7, v16
	v_cmp_eq_u16_e32 vcc, 0, v12
	v_cndmask_b32_e32 v11, v11, v16, vcc
	v_cndmask_b32_e32 v12, v14, v15, vcc
	v_lshlrev_b32_e32 v14, 8, v13
	v_mov_b32_e32 v15, 0x3b800000
	v_lshlrev_b32_e32 v11, 20, v11
	v_and_b32_e32 v14, 0x80000000, v14
	v_lshl_add_u32 v12, v12, 23, v15
	v_or3_b32 v12, v14, v12, v11
.LBB21_632:
	s_or_b64 exec, exec, s[6:7]
	s_nop 0
	v_mfma_f32_16x16x4f32 a[0:3], v10, v12, a[0:3]
	s_movk_i32 s4, 0x7f
	v_cmp_gt_i16_sdwa s[6:7], v17, s4 src0_sel:BYTE_3 src1_sel:DWORD
	s_mov_b64 s[4:5], 0
                                        ; implicit-def: $sgpr10
	s_and_saveexec_b64 s[8:9], s[6:7]
	s_xor_b64 s[6:7], exec, s[8:9]
	s_cbranch_execnz .LBB21_2681
; %bb.633:
	s_or_saveexec_b64 s[6:7], s[6:7]
	v_mov_b32_e32 v10, s10
	s_xor_b64 exec, exec, s[6:7]
	s_cbranch_execnz .LBB21_2684
.LBB21_634:
	s_or_b64 exec, exec, s[6:7]
	s_and_saveexec_b64 s[6:7], s[4:5]
	s_cbranch_execz .LBB21_636
.LBB21_635:
	v_bfe_u32 v10, v17, 24, 3
	v_ffbh_u32_e32 v15, v10
	v_min_u32_e32 v15, 32, v15
	v_lshrrev_b32_e32 v12, 27, v17
	v_subrev_u32_e32 v16, 28, v15
	v_and_b32_e32 v12, 15, v12
	v_lshlrev_b32_sdwa v16, v16, v17 dst_sel:DWORD dst_unused:UNUSED_PAD src0_sel:DWORD src1_sel:BYTE_3
	v_bfe_u32 v14, v17, 27, 4
	v_sub_u32_e32 v15, 29, v15
	v_and_b32_e32 v16, 7, v16
	v_cmp_eq_u16_e32 vcc, 0, v12
	v_cndmask_b32_e32 v10, v10, v16, vcc
	v_cndmask_b32_e32 v12, v14, v15, vcc
	v_mov_b32_e32 v14, 0x3b800000
	v_and_b32_e32 v11, 0x80000000, v17
	v_lshlrev_b32_e32 v10, 20, v10
	v_lshl_add_u32 v12, v12, 23, v14
	v_or3_b32 v10, v11, v12, v10
.LBB21_636:
	s_or_b64 exec, exec, s[6:7]
	s_movk_i32 s4, 0x7f
	v_cmp_gt_i16_sdwa s[6:7], v13, s4 src0_sel:BYTE_3 src1_sel:DWORD
	s_mov_b64 s[4:5], 0
                                        ; implicit-def: $sgpr10
	s_and_saveexec_b64 s[8:9], s[6:7]
	s_xor_b64 s[6:7], exec, s[8:9]
	s_cbranch_execnz .LBB21_2685
; %bb.637:
	s_or_saveexec_b64 s[6:7], s[6:7]
	v_mov_b32_e32 v11, s10
	s_xor_b64 exec, exec, s[6:7]
	s_cbranch_execnz .LBB21_2688
.LBB21_638:
	s_or_b64 exec, exec, s[6:7]
	s_and_saveexec_b64 s[6:7], s[4:5]
	s_cbranch_execz .LBB21_640
.LBB21_639:
	v_bfe_u32 v11, v13, 24, 3
	v_ffbh_u32_e32 v16, v11
	v_min_u32_e32 v16, 32, v16
	v_lshrrev_b32_e32 v14, 27, v13
	v_subrev_u32_e32 v17, 28, v16
	v_and_b32_e32 v12, 0x80000000, v13
	v_and_b32_e32 v14, 15, v14
	v_bfe_u32 v15, v13, 27, 4
	v_lshlrev_b32_sdwa v13, v17, v13 dst_sel:DWORD dst_unused:UNUSED_PAD src0_sel:DWORD src1_sel:BYTE_3
	v_sub_u32_e32 v16, 29, v16
	v_and_b32_e32 v13, 7, v13
	v_cmp_eq_u16_e32 vcc, 0, v14
	v_cndmask_b32_e32 v11, v11, v13, vcc
	v_cndmask_b32_e32 v13, v15, v16, vcc
	v_mov_b32_e32 v14, 0x3b800000
	v_lshlrev_b32_e32 v11, 20, v11
	v_lshl_add_u32 v13, v13, 23, v14
	v_or3_b32 v11, v12, v13, v11
.LBB21_640:
	s_or_b64 exec, exec, s[6:7]
	s_nop 0
	v_mfma_f32_16x16x4f32 a[0:3], v10, v11, a[0:3]
	s_movk_i32 s4, 0x7f
	v_cmp_gt_i16_sdwa s[6:7], v6, s4 src0_sel:BYTE_0 src1_sel:DWORD
	s_mov_b64 s[4:5], 0
                                        ; implicit-def: $sgpr10
	s_and_saveexec_b64 s[8:9], s[6:7]
	s_xor_b64 s[6:7], exec, s[8:9]
	s_cbranch_execnz .LBB21_2689
; %bb.641:
	s_or_saveexec_b64 s[6:7], s[6:7]
	v_mov_b32_e32 v10, s10
	s_xor_b64 exec, exec, s[6:7]
	s_cbranch_execnz .LBB21_2692
.LBB21_642:
	s_or_b64 exec, exec, s[6:7]
	s_and_saveexec_b64 s[6:7], s[4:5]
	s_cbranch_execz .LBB21_644
.LBB21_643:
	v_and_b32_e32 v10, 7, v6
	v_ffbh_u32_e32 v12, v10
	v_min_u32_e32 v12, 32, v12
	v_lshrrev_b16_e32 v11, 3, v6
	v_subrev_u32_e32 v13, 28, v12
	v_and_b32_e32 v11, 15, v11
	v_lshlrev_b32_e32 v13, v13, v6
	v_sub_u32_e32 v12, 29, v12
	v_and_b32_e32 v13, 7, v13
	v_cmp_eq_u16_e32 vcc, 0, v11
	v_cndmask_b32_e32 v10, v10, v13, vcc
	v_cndmask_b32_e32 v11, v11, v12, vcc
	v_lshlrev_b32_e32 v12, 24, v6
	v_mov_b32_e32 v13, 0x3b800000
	v_lshlrev_b32_e32 v10, 20, v10
	v_and_b32_e32 v12, 0x80000000, v12
	v_lshl_add_u32 v11, v11, 23, v13
	v_or3_b32 v10, v12, v11, v10
.LBB21_644:
	s_or_b64 exec, exec, s[6:7]
	s_movk_i32 s4, 0x7f
	v_cmp_gt_i16_sdwa s[6:7], v2, s4 src0_sel:BYTE_0 src1_sel:DWORD
	s_mov_b64 s[4:5], 0
                                        ; implicit-def: $sgpr10
	s_and_saveexec_b64 s[8:9], s[6:7]
	s_xor_b64 s[6:7], exec, s[8:9]
	s_cbranch_execnz .LBB21_2693
; %bb.645:
	s_or_saveexec_b64 s[6:7], s[6:7]
	v_mov_b32_e32 v11, s10
	s_xor_b64 exec, exec, s[6:7]
	s_cbranch_execnz .LBB21_2696
.LBB21_646:
	s_or_b64 exec, exec, s[6:7]
	s_and_saveexec_b64 s[6:7], s[4:5]
	s_cbranch_execz .LBB21_648
.LBB21_647:
	v_and_b32_e32 v11, 7, v2
	v_ffbh_u32_e32 v13, v11
	v_min_u32_e32 v13, 32, v13
	v_lshrrev_b16_e32 v12, 3, v2
	v_subrev_u32_e32 v14, 28, v13
	v_and_b32_e32 v12, 15, v12
	v_lshlrev_b32_e32 v14, v14, v2
	v_sub_u32_e32 v13, 29, v13
	v_and_b32_e32 v14, 7, v14
	v_cmp_eq_u16_e32 vcc, 0, v12
	v_cndmask_b32_e32 v11, v11, v14, vcc
	v_cndmask_b32_e32 v12, v12, v13, vcc
	v_lshlrev_b32_e32 v13, 24, v2
	v_mov_b32_e32 v14, 0x3b800000
	v_lshlrev_b32_e32 v11, 20, v11
	v_and_b32_e32 v13, 0x80000000, v13
	v_lshl_add_u32 v12, v12, 23, v14
	v_or3_b32 v11, v13, v12, v11
.LBB21_648:
	s_or_b64 exec, exec, s[6:7]
	s_nop 0
	v_mfma_f32_16x16x4f32 a[0:3], v10, v11, a[0:3]
	v_lshrrev_b32_e32 v11, 8, v6
	s_movk_i32 s4, 0x7f
	v_cmp_gt_i16_sdwa s[6:7], v11, s4 src0_sel:BYTE_0 src1_sel:DWORD
	s_mov_b64 s[4:5], 0
                                        ; implicit-def: $sgpr10
	s_and_saveexec_b64 s[8:9], s[6:7]
	s_xor_b64 s[6:7], exec, s[8:9]
	s_cbranch_execnz .LBB21_2697
; %bb.649:
	s_or_saveexec_b64 s[6:7], s[6:7]
	v_mov_b32_e32 v10, s10
	s_xor_b64 exec, exec, s[6:7]
	s_cbranch_execnz .LBB21_2700
.LBB21_650:
	s_or_b64 exec, exec, s[6:7]
	s_and_saveexec_b64 s[6:7], s[4:5]
	s_cbranch_execz .LBB21_652
.LBB21_651:
	v_bfe_u32 v10, v6, 8, 3
	v_ffbh_u32_e32 v13, v10
	v_min_u32_e32 v13, 32, v13
	v_lshrrev_b16_e32 v12, 3, v11
	v_subrev_u32_e32 v14, 28, v13
	v_and_b32_e32 v12, 15, v12
	v_lshlrev_b32_e32 v11, v14, v11
	v_sub_u32_e32 v13, 29, v13
	v_and_b32_e32 v11, 7, v11
	v_cmp_eq_u16_e32 vcc, 0, v12
	v_cndmask_b32_e32 v10, v10, v11, vcc
	v_cndmask_b32_e32 v11, v12, v13, vcc
	v_lshlrev_b32_e32 v12, 16, v6
	v_mov_b32_e32 v13, 0x3b800000
	v_lshlrev_b32_e32 v10, 20, v10
	v_and_b32_e32 v12, 0x80000000, v12
	v_lshl_add_u32 v11, v11, 23, v13
	v_or3_b32 v10, v12, v11, v10
.LBB21_652:
	s_or_b64 exec, exec, s[6:7]
	v_lshrrev_b32_e32 v11, 8, v2
	s_movk_i32 s4, 0x7f
	v_cmp_gt_i16_sdwa s[6:7], v11, s4 src0_sel:BYTE_0 src1_sel:DWORD
	s_mov_b64 s[4:5], 0
                                        ; implicit-def: $sgpr10
	s_and_saveexec_b64 s[8:9], s[6:7]
	s_xor_b64 s[6:7], exec, s[8:9]
	s_cbranch_execnz .LBB21_2701
; %bb.653:
	s_or_saveexec_b64 s[6:7], s[6:7]
	v_mov_b32_e32 v12, s10
	s_xor_b64 exec, exec, s[6:7]
	s_cbranch_execnz .LBB21_2704
.LBB21_654:
	s_or_b64 exec, exec, s[6:7]
	s_and_saveexec_b64 s[6:7], s[4:5]
	s_cbranch_execz .LBB21_656
.LBB21_655:
	v_bfe_u32 v12, v2, 8, 3
	v_ffbh_u32_e32 v14, v12
	v_min_u32_e32 v14, 32, v14
	v_lshrrev_b16_e32 v13, 3, v11
	v_subrev_u32_e32 v15, 28, v14
	v_and_b32_e32 v13, 15, v13
	v_lshlrev_b32_e32 v11, v15, v11
	v_sub_u32_e32 v14, 29, v14
	v_and_b32_e32 v11, 7, v11
	v_cmp_eq_u16_e32 vcc, 0, v13
	v_cndmask_b32_e32 v11, v12, v11, vcc
	v_cndmask_b32_e32 v12, v13, v14, vcc
	v_lshlrev_b32_e32 v13, 16, v2
	v_mov_b32_e32 v14, 0x3b800000
	v_lshlrev_b32_e32 v11, 20, v11
	v_and_b32_e32 v13, 0x80000000, v13
	v_lshl_add_u32 v12, v12, 23, v14
	v_or3_b32 v12, v13, v12, v11
.LBB21_656:
	s_or_b64 exec, exec, s[6:7]
	s_nop 0
	v_mfma_f32_16x16x4f32 a[0:3], v10, v12, a[0:3]
	s_movk_i32 s4, 0xff
	v_and_b32_sdwa v11, v6, s4 dst_sel:DWORD dst_unused:UNUSED_PAD src0_sel:WORD_1 src1_sel:DWORD
	s_movk_i32 s4, 0x7f
	v_cmp_lt_i16_e32 vcc, s4, v11
	s_mov_b64 s[4:5], 0
                                        ; implicit-def: $sgpr10
	s_and_saveexec_b64 s[6:7], vcc
	s_xor_b64 s[6:7], exec, s[6:7]
	s_cbranch_execnz .LBB21_2705
; %bb.657:
	s_or_saveexec_b64 s[6:7], s[6:7]
	v_mov_b32_e32 v10, s10
	s_xor_b64 exec, exec, s[6:7]
	s_cbranch_execnz .LBB21_2708
.LBB21_658:
	s_or_b64 exec, exec, s[6:7]
	s_and_saveexec_b64 s[6:7], s[4:5]
	s_cbranch_execz .LBB21_660
.LBB21_659:
	v_bfe_u32 v10, v6, 16, 3
	v_ffbh_u32_e32 v13, v10
	v_min_u32_e32 v13, 32, v13
	v_lshrrev_b32_e32 v11, 19, v6
	v_subrev_u32_e32 v14, 28, v13
	v_and_b32_e32 v11, 15, v11
	v_lshlrev_b32_sdwa v14, v14, v6 dst_sel:DWORD dst_unused:UNUSED_PAD src0_sel:DWORD src1_sel:WORD_1
	v_bfe_u32 v12, v6, 19, 4
	v_sub_u32_e32 v13, 29, v13
	v_and_b32_e32 v14, 7, v14
	v_cmp_eq_u16_e32 vcc, 0, v11
	v_cndmask_b32_e32 v10, v10, v14, vcc
	v_cndmask_b32_e32 v11, v12, v13, vcc
	v_lshlrev_b32_e32 v12, 8, v6
	v_mov_b32_e32 v13, 0x3b800000
	v_lshlrev_b32_e32 v10, 20, v10
	v_and_b32_e32 v12, 0x80000000, v12
	v_lshl_add_u32 v11, v11, 23, v13
	v_or3_b32 v10, v12, v11, v10
.LBB21_660:
	s_or_b64 exec, exec, s[6:7]
	s_movk_i32 s4, 0xff
	v_and_b32_sdwa v11, v2, s4 dst_sel:DWORD dst_unused:UNUSED_PAD src0_sel:WORD_1 src1_sel:DWORD
	s_movk_i32 s4, 0x7f
	v_cmp_lt_i16_e32 vcc, s4, v11
	s_mov_b64 s[4:5], 0
                                        ; implicit-def: $sgpr10
	s_and_saveexec_b64 s[6:7], vcc
	s_xor_b64 s[6:7], exec, s[6:7]
	s_cbranch_execnz .LBB21_2709
; %bb.661:
	s_or_saveexec_b64 s[6:7], s[6:7]
	v_mov_b32_e32 v12, s10
	s_xor_b64 exec, exec, s[6:7]
	s_cbranch_execnz .LBB21_2712
.LBB21_662:
	s_or_b64 exec, exec, s[6:7]
	s_and_saveexec_b64 s[6:7], s[4:5]
	s_cbranch_execz .LBB21_664
.LBB21_663:
	v_bfe_u32 v11, v2, 16, 3
	v_ffbh_u32_e32 v14, v11
	v_min_u32_e32 v14, 32, v14
	v_lshrrev_b32_e32 v12, 19, v2
	v_subrev_u32_e32 v15, 28, v14
	v_and_b32_e32 v12, 15, v12
	v_lshlrev_b32_sdwa v15, v15, v2 dst_sel:DWORD dst_unused:UNUSED_PAD src0_sel:DWORD src1_sel:WORD_1
	v_bfe_u32 v13, v2, 19, 4
	v_sub_u32_e32 v14, 29, v14
	v_and_b32_e32 v15, 7, v15
	v_cmp_eq_u16_e32 vcc, 0, v12
	v_cndmask_b32_e32 v11, v11, v15, vcc
	v_cndmask_b32_e32 v12, v13, v14, vcc
	v_lshlrev_b32_e32 v13, 8, v2
	v_mov_b32_e32 v14, 0x3b800000
	v_lshlrev_b32_e32 v11, 20, v11
	v_and_b32_e32 v13, 0x80000000, v13
	v_lshl_add_u32 v12, v12, 23, v14
	v_or3_b32 v12, v13, v12, v11
.LBB21_664:
	s_or_b64 exec, exec, s[6:7]
	s_nop 0
	v_mfma_f32_16x16x4f32 a[0:3], v10, v12, a[0:3]
	s_movk_i32 s4, 0x7f
	v_cmp_gt_i16_sdwa s[6:7], v6, s4 src0_sel:BYTE_3 src1_sel:DWORD
	s_mov_b64 s[4:5], 0
                                        ; implicit-def: $sgpr10
	s_and_saveexec_b64 s[8:9], s[6:7]
	s_xor_b64 s[6:7], exec, s[8:9]
	s_cbranch_execnz .LBB21_2713
; %bb.665:
	s_or_saveexec_b64 s[6:7], s[6:7]
	v_mov_b32_e32 v10, s10
	s_xor_b64 exec, exec, s[6:7]
	s_cbranch_execnz .LBB21_2716
.LBB21_666:
	s_or_b64 exec, exec, s[6:7]
	s_and_saveexec_b64 s[6:7], s[4:5]
	s_cbranch_execz .LBB21_668
.LBB21_667:
	v_bfe_u32 v10, v6, 24, 3
	v_ffbh_u32_e32 v14, v10
	v_min_u32_e32 v14, 32, v14
	v_lshrrev_b32_e32 v12, 27, v6
	v_subrev_u32_e32 v15, 28, v14
	v_and_b32_e32 v11, 0x80000000, v6
	v_and_b32_e32 v12, 15, v12
	v_bfe_u32 v13, v6, 27, 4
	v_lshlrev_b32_sdwa v6, v15, v6 dst_sel:DWORD dst_unused:UNUSED_PAD src0_sel:DWORD src1_sel:BYTE_3
	v_sub_u32_e32 v14, 29, v14
	v_and_b32_e32 v6, 7, v6
	v_cmp_eq_u16_e32 vcc, 0, v12
	v_cndmask_b32_e32 v6, v10, v6, vcc
	v_cndmask_b32_e32 v10, v13, v14, vcc
	v_mov_b32_e32 v12, 0x3b800000
	v_lshlrev_b32_e32 v6, 20, v6
	v_lshl_add_u32 v10, v10, 23, v12
	v_or3_b32 v10, v11, v10, v6
.LBB21_668:
	s_or_b64 exec, exec, s[6:7]
	s_movk_i32 s4, 0x7f
	v_cmp_gt_i16_sdwa s[6:7], v2, s4 src0_sel:BYTE_3 src1_sel:DWORD
	s_mov_b64 s[4:5], 0
                                        ; implicit-def: $sgpr10
	s_and_saveexec_b64 s[8:9], s[6:7]
	s_xor_b64 s[6:7], exec, s[8:9]
	s_cbranch_execnz .LBB21_2717
; %bb.669:
	s_or_saveexec_b64 s[6:7], s[6:7]
	v_mov_b32_e32 v6, s10
	s_xor_b64 exec, exec, s[6:7]
	s_cbranch_execnz .LBB21_2720
.LBB21_670:
	s_or_b64 exec, exec, s[6:7]
	s_and_saveexec_b64 s[6:7], s[4:5]
	s_cbranch_execz .LBB21_672
.LBB21_671:
	v_bfe_u32 v6, v2, 24, 3
	v_ffbh_u32_e32 v14, v6
	v_min_u32_e32 v14, 32, v14
	v_lshrrev_b32_e32 v12, 27, v2
	v_subrev_u32_e32 v15, 28, v14
	v_and_b32_e32 v11, 0x80000000, v2
	v_and_b32_e32 v12, 15, v12
	v_bfe_u32 v13, v2, 27, 4
	v_lshlrev_b32_sdwa v2, v15, v2 dst_sel:DWORD dst_unused:UNUSED_PAD src0_sel:DWORD src1_sel:BYTE_3
	v_sub_u32_e32 v14, 29, v14
	v_and_b32_e32 v2, 7, v2
	v_cmp_eq_u16_e32 vcc, 0, v12
	v_cndmask_b32_e32 v2, v6, v2, vcc
	v_cndmask_b32_e32 v6, v13, v14, vcc
	v_mov_b32_e32 v12, 0x3b800000
	v_lshlrev_b32_e32 v2, 20, v2
	v_lshl_add_u32 v6, v6, 23, v12
	v_or3_b32 v6, v11, v6, v2
.LBB21_672:
	s_or_b64 exec, exec, s[6:7]
	s_nop 0
	v_mfma_f32_16x16x4f32 a[0:3], v10, v6, a[0:3]
	s_movk_i32 s4, 0x7f
	v_cmp_gt_i16_sdwa s[6:7], v7, s4 src0_sel:BYTE_0 src1_sel:DWORD
	s_mov_b64 s[4:5], 0
                                        ; implicit-def: $sgpr10
	s_and_saveexec_b64 s[8:9], s[6:7]
	s_xor_b64 s[6:7], exec, s[8:9]
	s_cbranch_execnz .LBB21_2721
; %bb.673:
	s_or_saveexec_b64 s[6:7], s[6:7]
	v_mov_b32_e32 v2, s10
	s_xor_b64 exec, exec, s[6:7]
	s_cbranch_execnz .LBB21_2724
.LBB21_674:
	s_or_b64 exec, exec, s[6:7]
	s_and_saveexec_b64 s[6:7], s[4:5]
	s_cbranch_execz .LBB21_676
.LBB21_675:
	v_and_b32_e32 v2, 7, v7
	v_ffbh_u32_e32 v10, v2
	v_min_u32_e32 v10, 32, v10
	v_lshrrev_b16_e32 v6, 3, v7
	v_subrev_u32_e32 v11, 28, v10
	v_and_b32_e32 v6, 15, v6
	v_lshlrev_b32_e32 v11, v11, v7
	v_sub_u32_e32 v10, 29, v10
	v_and_b32_e32 v11, 7, v11
	v_cmp_eq_u16_e32 vcc, 0, v6
	v_cndmask_b32_e32 v2, v2, v11, vcc
	v_cndmask_b32_e32 v6, v6, v10, vcc
	v_lshlrev_b32_e32 v10, 24, v7
	v_mov_b32_e32 v11, 0x3b800000
	v_lshlrev_b32_e32 v2, 20, v2
	v_and_b32_e32 v10, 0x80000000, v10
	v_lshl_add_u32 v6, v6, 23, v11
	v_or3_b32 v2, v10, v6, v2
.LBB21_676:
	s_or_b64 exec, exec, s[6:7]
	s_movk_i32 s4, 0x7f
	v_cmp_gt_i16_sdwa s[6:7], v3, s4 src0_sel:BYTE_0 src1_sel:DWORD
	s_mov_b64 s[4:5], 0
                                        ; implicit-def: $sgpr10
	s_and_saveexec_b64 s[8:9], s[6:7]
	s_xor_b64 s[6:7], exec, s[8:9]
	s_cbranch_execnz .LBB21_2725
; %bb.677:
	s_or_saveexec_b64 s[6:7], s[6:7]
	v_mov_b32_e32 v6, s10
	s_xor_b64 exec, exec, s[6:7]
	s_cbranch_execnz .LBB21_2728
.LBB21_678:
	s_or_b64 exec, exec, s[6:7]
	s_and_saveexec_b64 s[6:7], s[4:5]
	s_cbranch_execz .LBB21_680
.LBB21_679:
	v_and_b32_e32 v6, 7, v3
	v_ffbh_u32_e32 v11, v6
	v_min_u32_e32 v11, 32, v11
	v_lshrrev_b16_e32 v10, 3, v3
	v_subrev_u32_e32 v12, 28, v11
	v_and_b32_e32 v10, 15, v10
	v_lshlrev_b32_e32 v12, v12, v3
	v_sub_u32_e32 v11, 29, v11
	v_and_b32_e32 v12, 7, v12
	v_cmp_eq_u16_e32 vcc, 0, v10
	v_cndmask_b32_e32 v6, v6, v12, vcc
	v_cndmask_b32_e32 v10, v10, v11, vcc
	v_lshlrev_b32_e32 v11, 24, v3
	v_mov_b32_e32 v12, 0x3b800000
	v_lshlrev_b32_e32 v6, 20, v6
	v_and_b32_e32 v11, 0x80000000, v11
	v_lshl_add_u32 v10, v10, 23, v12
	v_or3_b32 v6, v11, v10, v6
.LBB21_680:
	s_or_b64 exec, exec, s[6:7]
	s_nop 0
	v_mfma_f32_16x16x4f32 a[0:3], v2, v6, a[0:3]
	v_lshrrev_b32_e32 v6, 8, v7
	s_movk_i32 s4, 0x7f
	v_cmp_gt_i16_sdwa s[6:7], v6, s4 src0_sel:BYTE_0 src1_sel:DWORD
	s_mov_b64 s[4:5], 0
                                        ; implicit-def: $sgpr10
	s_and_saveexec_b64 s[8:9], s[6:7]
	s_xor_b64 s[6:7], exec, s[8:9]
	s_cbranch_execnz .LBB21_2729
; %bb.681:
	s_or_saveexec_b64 s[6:7], s[6:7]
	v_mov_b32_e32 v2, s10
	s_xor_b64 exec, exec, s[6:7]
	s_cbranch_execnz .LBB21_2732
.LBB21_682:
	s_or_b64 exec, exec, s[6:7]
	s_and_saveexec_b64 s[6:7], s[4:5]
	s_cbranch_execz .LBB21_684
.LBB21_683:
	v_bfe_u32 v2, v7, 8, 3
	v_ffbh_u32_e32 v11, v2
	v_min_u32_e32 v11, 32, v11
	v_lshrrev_b16_e32 v10, 3, v6
	v_subrev_u32_e32 v12, 28, v11
	v_and_b32_e32 v10, 15, v10
	v_lshlrev_b32_e32 v6, v12, v6
	v_sub_u32_e32 v11, 29, v11
	v_and_b32_e32 v6, 7, v6
	v_cmp_eq_u16_e32 vcc, 0, v10
	v_cndmask_b32_e32 v2, v2, v6, vcc
	v_cndmask_b32_e32 v6, v10, v11, vcc
	v_lshlrev_b32_e32 v10, 16, v7
	v_mov_b32_e32 v11, 0x3b800000
	v_lshlrev_b32_e32 v2, 20, v2
	v_and_b32_e32 v10, 0x80000000, v10
	v_lshl_add_u32 v6, v6, 23, v11
	v_or3_b32 v2, v10, v6, v2
.LBB21_684:
	s_or_b64 exec, exec, s[6:7]
	v_lshrrev_b32_e32 v6, 8, v3
	s_movk_i32 s4, 0x7f
	v_cmp_gt_i16_sdwa s[6:7], v6, s4 src0_sel:BYTE_0 src1_sel:DWORD
	s_mov_b64 s[4:5], 0
                                        ; implicit-def: $sgpr10
	s_and_saveexec_b64 s[8:9], s[6:7]
	s_xor_b64 s[6:7], exec, s[8:9]
	s_cbranch_execnz .LBB21_2733
; %bb.685:
	s_or_saveexec_b64 s[6:7], s[6:7]
	v_mov_b32_e32 v10, s10
	s_xor_b64 exec, exec, s[6:7]
	s_cbranch_execnz .LBB21_2736
.LBB21_686:
	s_or_b64 exec, exec, s[6:7]
	s_and_saveexec_b64 s[6:7], s[4:5]
	s_cbranch_execz .LBB21_688
.LBB21_687:
	v_bfe_u32 v10, v3, 8, 3
	v_ffbh_u32_e32 v12, v10
	v_min_u32_e32 v12, 32, v12
	v_lshrrev_b16_e32 v11, 3, v6
	v_subrev_u32_e32 v13, 28, v12
	v_and_b32_e32 v11, 15, v11
	v_lshlrev_b32_e32 v6, v13, v6
	v_sub_u32_e32 v12, 29, v12
	v_and_b32_e32 v6, 7, v6
	v_cmp_eq_u16_e32 vcc, 0, v11
	v_cndmask_b32_e32 v6, v10, v6, vcc
	v_cndmask_b32_e32 v10, v11, v12, vcc
	v_lshlrev_b32_e32 v11, 16, v3
	v_mov_b32_e32 v12, 0x3b800000
	v_lshlrev_b32_e32 v6, 20, v6
	v_and_b32_e32 v11, 0x80000000, v11
	v_lshl_add_u32 v10, v10, 23, v12
	v_or3_b32 v10, v11, v10, v6
.LBB21_688:
	s_or_b64 exec, exec, s[6:7]
	s_nop 0
	v_mfma_f32_16x16x4f32 a[0:3], v2, v10, a[0:3]
	s_movk_i32 s4, 0xff
	v_and_b32_sdwa v6, v7, s4 dst_sel:DWORD dst_unused:UNUSED_PAD src0_sel:WORD_1 src1_sel:DWORD
	s_movk_i32 s4, 0x7f
	v_cmp_lt_i16_e32 vcc, s4, v6
	s_mov_b64 s[4:5], 0
                                        ; implicit-def: $sgpr10
	s_and_saveexec_b64 s[6:7], vcc
	s_xor_b64 s[6:7], exec, s[6:7]
	s_cbranch_execnz .LBB21_2737
; %bb.689:
	s_or_saveexec_b64 s[6:7], s[6:7]
	v_mov_b32_e32 v2, s10
	s_xor_b64 exec, exec, s[6:7]
	s_cbranch_execnz .LBB21_2740
.LBB21_690:
	s_or_b64 exec, exec, s[6:7]
	s_and_saveexec_b64 s[6:7], s[4:5]
	s_cbranch_execz .LBB21_692
.LBB21_691:
	v_bfe_u32 v2, v7, 16, 3
	v_ffbh_u32_e32 v11, v2
	v_min_u32_e32 v11, 32, v11
	v_lshrrev_b32_e32 v6, 19, v7
	v_subrev_u32_e32 v12, 28, v11
	v_and_b32_e32 v6, 15, v6
	v_lshlrev_b32_sdwa v12, v12, v7 dst_sel:DWORD dst_unused:UNUSED_PAD src0_sel:DWORD src1_sel:WORD_1
	v_bfe_u32 v10, v7, 19, 4
	v_sub_u32_e32 v11, 29, v11
	v_and_b32_e32 v12, 7, v12
	v_cmp_eq_u16_e32 vcc, 0, v6
	v_cndmask_b32_e32 v2, v2, v12, vcc
	v_cndmask_b32_e32 v6, v10, v11, vcc
	v_lshlrev_b32_e32 v10, 8, v7
	v_mov_b32_e32 v11, 0x3b800000
	v_lshlrev_b32_e32 v2, 20, v2
	v_and_b32_e32 v10, 0x80000000, v10
	v_lshl_add_u32 v6, v6, 23, v11
	v_or3_b32 v2, v10, v6, v2
.LBB21_692:
	s_or_b64 exec, exec, s[6:7]
	s_movk_i32 s4, 0xff
	v_and_b32_sdwa v6, v3, s4 dst_sel:DWORD dst_unused:UNUSED_PAD src0_sel:WORD_1 src1_sel:DWORD
	s_movk_i32 s4, 0x7f
	v_cmp_lt_i16_e32 vcc, s4, v6
	s_mov_b64 s[4:5], 0
                                        ; implicit-def: $sgpr10
	s_and_saveexec_b64 s[6:7], vcc
	s_xor_b64 s[6:7], exec, s[6:7]
	s_cbranch_execnz .LBB21_2741
; %bb.693:
	s_or_saveexec_b64 s[6:7], s[6:7]
	v_mov_b32_e32 v10, s10
	s_xor_b64 exec, exec, s[6:7]
	s_cbranch_execnz .LBB21_2744
.LBB21_694:
	s_or_b64 exec, exec, s[6:7]
	s_and_saveexec_b64 s[6:7], s[4:5]
	s_cbranch_execz .LBB21_696
.LBB21_695:
	v_bfe_u32 v6, v3, 16, 3
	v_ffbh_u32_e32 v12, v6
	v_min_u32_e32 v12, 32, v12
	v_lshrrev_b32_e32 v10, 19, v3
	v_subrev_u32_e32 v13, 28, v12
	v_and_b32_e32 v10, 15, v10
	v_lshlrev_b32_sdwa v13, v13, v3 dst_sel:DWORD dst_unused:UNUSED_PAD src0_sel:DWORD src1_sel:WORD_1
	v_bfe_u32 v11, v3, 19, 4
	v_sub_u32_e32 v12, 29, v12
	v_and_b32_e32 v13, 7, v13
	v_cmp_eq_u16_e32 vcc, 0, v10
	v_cndmask_b32_e32 v6, v6, v13, vcc
	v_cndmask_b32_e32 v10, v11, v12, vcc
	v_lshlrev_b32_e32 v11, 8, v3
	v_mov_b32_e32 v12, 0x3b800000
	v_lshlrev_b32_e32 v6, 20, v6
	v_and_b32_e32 v11, 0x80000000, v11
	v_lshl_add_u32 v10, v10, 23, v12
	v_or3_b32 v10, v11, v10, v6
.LBB21_696:
	s_or_b64 exec, exec, s[6:7]
	s_nop 0
	v_mfma_f32_16x16x4f32 a[0:3], v2, v10, a[0:3]
	s_movk_i32 s4, 0x7f
	v_cmp_gt_i16_sdwa s[6:7], v7, s4 src0_sel:BYTE_3 src1_sel:DWORD
	s_mov_b64 s[4:5], 0
                                        ; implicit-def: $sgpr10
	s_and_saveexec_b64 s[8:9], s[6:7]
	s_xor_b64 s[6:7], exec, s[8:9]
	s_cbranch_execnz .LBB21_2745
; %bb.697:
	s_or_saveexec_b64 s[6:7], s[6:7]
	v_mov_b32_e32 v2, s10
	s_xor_b64 exec, exec, s[6:7]
	s_cbranch_execnz .LBB21_2748
.LBB21_698:
	s_or_b64 exec, exec, s[6:7]
	s_and_saveexec_b64 s[6:7], s[4:5]
	s_cbranch_execz .LBB21_700
.LBB21_699:
	v_bfe_u32 v2, v7, 24, 3
	v_ffbh_u32_e32 v12, v2
	v_min_u32_e32 v12, 32, v12
	v_lshrrev_b32_e32 v10, 27, v7
	v_subrev_u32_e32 v13, 28, v12
	v_and_b32_e32 v6, 0x80000000, v7
	v_and_b32_e32 v10, 15, v10
	v_bfe_u32 v11, v7, 27, 4
	v_lshlrev_b32_sdwa v7, v13, v7 dst_sel:DWORD dst_unused:UNUSED_PAD src0_sel:DWORD src1_sel:BYTE_3
	v_sub_u32_e32 v12, 29, v12
	v_and_b32_e32 v7, 7, v7
	v_cmp_eq_u16_e32 vcc, 0, v10
	v_cndmask_b32_e32 v2, v2, v7, vcc
	v_cndmask_b32_e32 v7, v11, v12, vcc
	v_mov_b32_e32 v10, 0x3b800000
	v_lshlrev_b32_e32 v2, 20, v2
	v_lshl_add_u32 v7, v7, 23, v10
	v_or3_b32 v2, v6, v7, v2
.LBB21_700:
	s_or_b64 exec, exec, s[6:7]
	s_movk_i32 s4, 0x7f
	v_cmp_gt_i16_sdwa s[6:7], v3, s4 src0_sel:BYTE_3 src1_sel:DWORD
	s_mov_b64 s[4:5], 0
                                        ; implicit-def: $sgpr10
	s_and_saveexec_b64 s[8:9], s[6:7]
	s_xor_b64 s[6:7], exec, s[8:9]
	s_cbranch_execnz .LBB21_2749
; %bb.701:
	s_or_saveexec_b64 s[6:7], s[6:7]
	v_mov_b32_e32 v6, s10
	s_xor_b64 exec, exec, s[6:7]
	s_cbranch_execnz .LBB21_2752
.LBB21_702:
	s_or_b64 exec, exec, s[6:7]
	s_and_saveexec_b64 s[6:7], s[4:5]
	s_cbranch_execz .LBB21_704
.LBB21_703:
	v_bfe_u32 v6, v3, 24, 3
	v_ffbh_u32_e32 v12, v6
	v_min_u32_e32 v12, 32, v12
	v_lshrrev_b32_e32 v10, 27, v3
	v_subrev_u32_e32 v13, 28, v12
	v_and_b32_e32 v7, 0x80000000, v3
	v_and_b32_e32 v10, 15, v10
	v_bfe_u32 v11, v3, 27, 4
	v_lshlrev_b32_sdwa v3, v13, v3 dst_sel:DWORD dst_unused:UNUSED_PAD src0_sel:DWORD src1_sel:BYTE_3
	v_sub_u32_e32 v12, 29, v12
	v_and_b32_e32 v3, 7, v3
	v_cmp_eq_u16_e32 vcc, 0, v10
	v_cndmask_b32_e32 v3, v6, v3, vcc
	v_cndmask_b32_e32 v6, v11, v12, vcc
	v_mov_b32_e32 v10, 0x3b800000
	v_lshlrev_b32_e32 v3, 20, v3
	v_lshl_add_u32 v6, v6, 23, v10
	v_or3_b32 v6, v7, v6, v3
.LBB21_704:
	s_or_b64 exec, exec, s[6:7]
	s_nop 0
	v_mfma_f32_16x16x4f32 a[0:3], v2, v6, a[0:3]
	s_movk_i32 s4, 0x7f
	v_cmp_gt_i16_sdwa s[6:7], v8, s4 src0_sel:BYTE_0 src1_sel:DWORD
	s_mov_b64 s[4:5], 0
                                        ; implicit-def: $sgpr10
	s_and_saveexec_b64 s[8:9], s[6:7]
	s_xor_b64 s[6:7], exec, s[8:9]
	s_cbranch_execnz .LBB21_2753
; %bb.705:
	s_or_saveexec_b64 s[6:7], s[6:7]
	v_mov_b32_e32 v2, s10
	s_xor_b64 exec, exec, s[6:7]
	s_cbranch_execnz .LBB21_2756
.LBB21_706:
	s_or_b64 exec, exec, s[6:7]
	s_and_saveexec_b64 s[6:7], s[4:5]
	s_cbranch_execz .LBB21_708
.LBB21_707:
	v_and_b32_e32 v2, 7, v8
	v_ffbh_u32_e32 v6, v2
	v_min_u32_e32 v6, 32, v6
	v_lshrrev_b16_e32 v3, 3, v8
	v_subrev_u32_e32 v7, 28, v6
	v_and_b32_e32 v3, 15, v3
	v_lshlrev_b32_e32 v7, v7, v8
	v_sub_u32_e32 v6, 29, v6
	v_and_b32_e32 v7, 7, v7
	v_cmp_eq_u16_e32 vcc, 0, v3
	v_cndmask_b32_e32 v2, v2, v7, vcc
	v_cndmask_b32_e32 v3, v3, v6, vcc
	v_lshlrev_b32_e32 v6, 24, v8
	v_mov_b32_e32 v7, 0x3b800000
	v_lshlrev_b32_e32 v2, 20, v2
	v_and_b32_e32 v6, 0x80000000, v6
	v_lshl_add_u32 v3, v3, 23, v7
	v_or3_b32 v2, v6, v3, v2
.LBB21_708:
	s_or_b64 exec, exec, s[6:7]
	s_movk_i32 s4, 0x7f
	v_cmp_gt_i16_sdwa s[6:7], v4, s4 src0_sel:BYTE_0 src1_sel:DWORD
	s_mov_b64 s[4:5], 0
                                        ; implicit-def: $sgpr10
	s_and_saveexec_b64 s[8:9], s[6:7]
	s_xor_b64 s[6:7], exec, s[8:9]
	s_cbranch_execnz .LBB21_2757
; %bb.709:
	s_or_saveexec_b64 s[6:7], s[6:7]
	v_mov_b32_e32 v3, s10
	s_xor_b64 exec, exec, s[6:7]
	s_cbranch_execnz .LBB21_2760
.LBB21_710:
	s_or_b64 exec, exec, s[6:7]
	s_and_saveexec_b64 s[6:7], s[4:5]
	s_cbranch_execz .LBB21_712
.LBB21_711:
	v_and_b32_e32 v3, 7, v4
	v_ffbh_u32_e32 v7, v3
	v_min_u32_e32 v7, 32, v7
	v_lshrrev_b16_e32 v6, 3, v4
	v_subrev_u32_e32 v10, 28, v7
	v_and_b32_e32 v6, 15, v6
	v_lshlrev_b32_e32 v10, v10, v4
	v_sub_u32_e32 v7, 29, v7
	v_and_b32_e32 v10, 7, v10
	v_cmp_eq_u16_e32 vcc, 0, v6
	v_cndmask_b32_e32 v3, v3, v10, vcc
	v_cndmask_b32_e32 v6, v6, v7, vcc
	v_lshlrev_b32_e32 v7, 24, v4
	v_mov_b32_e32 v10, 0x3b800000
	v_lshlrev_b32_e32 v3, 20, v3
	v_and_b32_e32 v7, 0x80000000, v7
	v_lshl_add_u32 v6, v6, 23, v10
	v_or3_b32 v3, v7, v6, v3
.LBB21_712:
	s_or_b64 exec, exec, s[6:7]
	s_nop 0
	v_mfma_f32_16x16x4f32 a[0:3], v2, v3, a[0:3]
	v_lshrrev_b32_e32 v3, 8, v8
	s_movk_i32 s4, 0x7f
	v_cmp_gt_i16_sdwa s[6:7], v3, s4 src0_sel:BYTE_0 src1_sel:DWORD
	s_mov_b64 s[4:5], 0
                                        ; implicit-def: $sgpr10
	s_and_saveexec_b64 s[8:9], s[6:7]
	s_xor_b64 s[6:7], exec, s[8:9]
	s_cbranch_execnz .LBB21_2761
; %bb.713:
	s_or_saveexec_b64 s[6:7], s[6:7]
	v_mov_b32_e32 v2, s10
	s_xor_b64 exec, exec, s[6:7]
	s_cbranch_execnz .LBB21_2764
.LBB21_714:
	s_or_b64 exec, exec, s[6:7]
	s_and_saveexec_b64 s[6:7], s[4:5]
	s_cbranch_execz .LBB21_716
.LBB21_715:
	v_bfe_u32 v2, v8, 8, 3
	v_ffbh_u32_e32 v7, v2
	v_min_u32_e32 v7, 32, v7
	v_lshrrev_b16_e32 v6, 3, v3
	v_subrev_u32_e32 v10, 28, v7
	v_and_b32_e32 v6, 15, v6
	v_lshlrev_b32_e32 v3, v10, v3
	v_sub_u32_e32 v7, 29, v7
	v_and_b32_e32 v3, 7, v3
	v_cmp_eq_u16_e32 vcc, 0, v6
	v_cndmask_b32_e32 v2, v2, v3, vcc
	v_cndmask_b32_e32 v3, v6, v7, vcc
	v_lshlrev_b32_e32 v6, 16, v8
	v_mov_b32_e32 v7, 0x3b800000
	v_lshlrev_b32_e32 v2, 20, v2
	v_and_b32_e32 v6, 0x80000000, v6
	v_lshl_add_u32 v3, v3, 23, v7
	v_or3_b32 v2, v6, v3, v2
.LBB21_716:
	s_or_b64 exec, exec, s[6:7]
	v_lshrrev_b32_e32 v3, 8, v4
	s_movk_i32 s4, 0x7f
	v_cmp_gt_i16_sdwa s[6:7], v3, s4 src0_sel:BYTE_0 src1_sel:DWORD
	s_mov_b64 s[4:5], 0
                                        ; implicit-def: $sgpr10
	s_and_saveexec_b64 s[8:9], s[6:7]
	s_xor_b64 s[6:7], exec, s[8:9]
	s_cbranch_execnz .LBB21_2765
; %bb.717:
	s_or_saveexec_b64 s[6:7], s[6:7]
	v_mov_b32_e32 v6, s10
	s_xor_b64 exec, exec, s[6:7]
	s_cbranch_execnz .LBB21_2768
.LBB21_718:
	s_or_b64 exec, exec, s[6:7]
	s_and_saveexec_b64 s[6:7], s[4:5]
	s_cbranch_execz .LBB21_720
.LBB21_719:
	v_bfe_u32 v6, v4, 8, 3
	v_ffbh_u32_e32 v10, v6
	v_min_u32_e32 v10, 32, v10
	v_lshrrev_b16_e32 v7, 3, v3
	v_subrev_u32_e32 v11, 28, v10
	v_and_b32_e32 v7, 15, v7
	v_lshlrev_b32_e32 v3, v11, v3
	v_sub_u32_e32 v10, 29, v10
	v_and_b32_e32 v3, 7, v3
	v_cmp_eq_u16_e32 vcc, 0, v7
	v_cndmask_b32_e32 v3, v6, v3, vcc
	v_cndmask_b32_e32 v6, v7, v10, vcc
	v_lshlrev_b32_e32 v7, 16, v4
	v_mov_b32_e32 v10, 0x3b800000
	v_lshlrev_b32_e32 v3, 20, v3
	v_and_b32_e32 v7, 0x80000000, v7
	v_lshl_add_u32 v6, v6, 23, v10
	v_or3_b32 v6, v7, v6, v3
.LBB21_720:
	s_or_b64 exec, exec, s[6:7]
	s_nop 0
	v_mfma_f32_16x16x4f32 a[0:3], v2, v6, a[0:3]
	s_movk_i32 s4, 0xff
	v_and_b32_sdwa v3, v8, s4 dst_sel:DWORD dst_unused:UNUSED_PAD src0_sel:WORD_1 src1_sel:DWORD
	s_movk_i32 s4, 0x7f
	v_cmp_lt_i16_e32 vcc, s4, v3
	s_mov_b64 s[4:5], 0
                                        ; implicit-def: $sgpr10
	s_and_saveexec_b64 s[6:7], vcc
	s_xor_b64 s[6:7], exec, s[6:7]
	s_cbranch_execnz .LBB21_2769
; %bb.721:
	s_or_saveexec_b64 s[6:7], s[6:7]
	v_mov_b32_e32 v2, s10
	s_xor_b64 exec, exec, s[6:7]
	s_cbranch_execnz .LBB21_2772
.LBB21_722:
	s_or_b64 exec, exec, s[6:7]
	s_and_saveexec_b64 s[6:7], s[4:5]
	s_cbranch_execz .LBB21_724
.LBB21_723:
	v_bfe_u32 v2, v8, 16, 3
	v_ffbh_u32_e32 v7, v2
	v_min_u32_e32 v7, 32, v7
	v_lshrrev_b32_e32 v3, 19, v8
	v_subrev_u32_e32 v10, 28, v7
	v_and_b32_e32 v3, 15, v3
	v_lshlrev_b32_sdwa v10, v10, v8 dst_sel:DWORD dst_unused:UNUSED_PAD src0_sel:DWORD src1_sel:WORD_1
	v_bfe_u32 v6, v8, 19, 4
	v_sub_u32_e32 v7, 29, v7
	v_and_b32_e32 v10, 7, v10
	v_cmp_eq_u16_e32 vcc, 0, v3
	v_cndmask_b32_e32 v2, v2, v10, vcc
	v_cndmask_b32_e32 v3, v6, v7, vcc
	v_lshlrev_b32_e32 v6, 8, v8
	v_mov_b32_e32 v7, 0x3b800000
	v_lshlrev_b32_e32 v2, 20, v2
	v_and_b32_e32 v6, 0x80000000, v6
	v_lshl_add_u32 v3, v3, 23, v7
	v_or3_b32 v2, v6, v3, v2
.LBB21_724:
	s_or_b64 exec, exec, s[6:7]
	s_movk_i32 s4, 0xff
	v_and_b32_sdwa v3, v4, s4 dst_sel:DWORD dst_unused:UNUSED_PAD src0_sel:WORD_1 src1_sel:DWORD
	s_movk_i32 s4, 0x7f
	v_cmp_lt_i16_e32 vcc, s4, v3
	s_mov_b64 s[4:5], 0
                                        ; implicit-def: $sgpr10
	s_and_saveexec_b64 s[6:7], vcc
	s_xor_b64 s[6:7], exec, s[6:7]
	s_cbranch_execnz .LBB21_2773
; %bb.725:
	s_or_saveexec_b64 s[6:7], s[6:7]
	v_mov_b32_e32 v6, s10
	s_xor_b64 exec, exec, s[6:7]
	s_cbranch_execnz .LBB21_2776
.LBB21_726:
	s_or_b64 exec, exec, s[6:7]
	s_and_saveexec_b64 s[6:7], s[4:5]
	s_cbranch_execz .LBB21_728
.LBB21_727:
	v_bfe_u32 v3, v4, 16, 3
	v_ffbh_u32_e32 v10, v3
	v_min_u32_e32 v10, 32, v10
	v_lshrrev_b32_e32 v6, 19, v4
	v_subrev_u32_e32 v11, 28, v10
	v_and_b32_e32 v6, 15, v6
	v_lshlrev_b32_sdwa v11, v11, v4 dst_sel:DWORD dst_unused:UNUSED_PAD src0_sel:DWORD src1_sel:WORD_1
	v_bfe_u32 v7, v4, 19, 4
	v_sub_u32_e32 v10, 29, v10
	v_and_b32_e32 v11, 7, v11
	v_cmp_eq_u16_e32 vcc, 0, v6
	v_cndmask_b32_e32 v3, v3, v11, vcc
	v_cndmask_b32_e32 v6, v7, v10, vcc
	v_lshlrev_b32_e32 v7, 8, v4
	v_mov_b32_e32 v10, 0x3b800000
	v_lshlrev_b32_e32 v3, 20, v3
	v_and_b32_e32 v7, 0x80000000, v7
	v_lshl_add_u32 v6, v6, 23, v10
	v_or3_b32 v6, v7, v6, v3
.LBB21_728:
	s_or_b64 exec, exec, s[6:7]
	s_nop 0
	v_mfma_f32_16x16x4f32 a[0:3], v2, v6, a[0:3]
	s_movk_i32 s4, 0x7f
	v_cmp_gt_i16_sdwa s[6:7], v8, s4 src0_sel:BYTE_3 src1_sel:DWORD
	s_mov_b64 s[4:5], 0
                                        ; implicit-def: $sgpr10
	s_and_saveexec_b64 s[8:9], s[6:7]
	s_xor_b64 s[6:7], exec, s[8:9]
	s_cbranch_execnz .LBB21_2777
; %bb.729:
	s_or_saveexec_b64 s[6:7], s[6:7]
	v_mov_b32_e32 v2, s10
	s_xor_b64 exec, exec, s[6:7]
	s_cbranch_execnz .LBB21_2780
.LBB21_730:
	s_or_b64 exec, exec, s[6:7]
	s_and_saveexec_b64 s[6:7], s[4:5]
	s_cbranch_execz .LBB21_732
.LBB21_731:
	v_bfe_u32 v2, v8, 24, 3
	v_ffbh_u32_e32 v10, v2
	v_min_u32_e32 v10, 32, v10
	v_lshrrev_b32_e32 v6, 27, v8
	v_subrev_u32_e32 v11, 28, v10
	v_and_b32_e32 v3, 0x80000000, v8
	v_and_b32_e32 v6, 15, v6
	v_bfe_u32 v7, v8, 27, 4
	v_lshlrev_b32_sdwa v8, v11, v8 dst_sel:DWORD dst_unused:UNUSED_PAD src0_sel:DWORD src1_sel:BYTE_3
	v_sub_u32_e32 v10, 29, v10
	v_and_b32_e32 v8, 7, v8
	v_cmp_eq_u16_e32 vcc, 0, v6
	v_cndmask_b32_e32 v2, v2, v8, vcc
	v_cndmask_b32_e32 v6, v7, v10, vcc
	v_mov_b32_e32 v7, 0x3b800000
	v_lshlrev_b32_e32 v2, 20, v2
	v_lshl_add_u32 v6, v6, 23, v7
	v_or3_b32 v2, v3, v6, v2
.LBB21_732:
	s_or_b64 exec, exec, s[6:7]
	s_movk_i32 s4, 0x7f
	v_cmp_gt_i16_sdwa s[6:7], v4, s4 src0_sel:BYTE_3 src1_sel:DWORD
	s_mov_b64 s[4:5], 0
                                        ; implicit-def: $sgpr10
	s_and_saveexec_b64 s[8:9], s[6:7]
	s_xor_b64 s[6:7], exec, s[8:9]
	s_cbranch_execnz .LBB21_2781
; %bb.733:
	s_or_saveexec_b64 s[6:7], s[6:7]
	v_mov_b32_e32 v3, s10
	s_xor_b64 exec, exec, s[6:7]
	s_cbranch_execnz .LBB21_2784
.LBB21_734:
	s_or_b64 exec, exec, s[6:7]
	s_and_saveexec_b64 s[6:7], s[4:5]
	s_cbranch_execz .LBB21_736
.LBB21_735:
	v_bfe_u32 v3, v4, 24, 3
	v_ffbh_u32_e32 v10, v3
	v_min_u32_e32 v10, 32, v10
	v_lshrrev_b32_e32 v7, 27, v4
	v_subrev_u32_e32 v11, 28, v10
	v_and_b32_e32 v6, 0x80000000, v4
	v_and_b32_e32 v7, 15, v7
	v_bfe_u32 v8, v4, 27, 4
	v_lshlrev_b32_sdwa v4, v11, v4 dst_sel:DWORD dst_unused:UNUSED_PAD src0_sel:DWORD src1_sel:BYTE_3
	v_sub_u32_e32 v10, 29, v10
	v_and_b32_e32 v4, 7, v4
	v_cmp_eq_u16_e32 vcc, 0, v7
	v_cndmask_b32_e32 v3, v3, v4, vcc
	v_cndmask_b32_e32 v4, v8, v10, vcc
	v_mov_b32_e32 v7, 0x3b800000
	v_lshlrev_b32_e32 v3, 20, v3
	v_lshl_add_u32 v4, v4, 23, v7
	v_or3_b32 v3, v6, v4, v3
.LBB21_736:
	s_or_b64 exec, exec, s[6:7]
	s_nop 0
	v_mfma_f32_16x16x4f32 a[0:3], v2, v3, a[0:3]
	s_movk_i32 s4, 0x7f
	v_cmp_gt_i16_sdwa s[6:7], v9, s4 src0_sel:BYTE_0 src1_sel:DWORD
	s_mov_b64 s[4:5], 0
                                        ; implicit-def: $sgpr10
	s_and_saveexec_b64 s[8:9], s[6:7]
	s_xor_b64 s[6:7], exec, s[8:9]
	s_cbranch_execnz .LBB21_2785
; %bb.737:
	s_or_saveexec_b64 s[6:7], s[6:7]
	v_mov_b32_e32 v2, s10
	s_xor_b64 exec, exec, s[6:7]
	s_cbranch_execnz .LBB21_2788
.LBB21_738:
	s_or_b64 exec, exec, s[6:7]
	s_and_saveexec_b64 s[6:7], s[4:5]
	s_cbranch_execz .LBB21_740
.LBB21_739:
	v_mov_b32_e32 v2, 8
	v_and_b32_e32 v3, 7, v9
	v_lshrrev_b32_sdwa v2, v2, v9 dst_sel:BYTE_1 dst_unused:UNUSED_PAD src0_sel:DWORD src1_sel:DWORD
	v_ffbh_u32_e32 v4, v3
	v_or_b32_sdwa v2, v9, v2 dst_sel:DWORD dst_unused:UNUSED_PAD src0_sel:BYTE_0 src1_sel:DWORD
	v_min_u32_e32 v4, 32, v4
	v_lshrrev_b16_e32 v2, 3, v2
	v_subrev_u32_e32 v6, 28, v4
	v_and_b32_e32 v2, 15, v2
	v_lshlrev_b32_e32 v6, v6, v9
	v_sub_u32_e32 v4, 29, v4
	v_and_b32_e32 v6, 7, v6
	v_cmp_eq_u16_e32 vcc, 0, v2
	v_cndmask_b32_e32 v3, v3, v6, vcc
	v_cndmask_b32_e32 v2, v2, v4, vcc
	v_lshlrev_b32_e32 v4, 24, v9
	v_mov_b32_e32 v6, 0x3b800000
	v_lshlrev_b32_e32 v3, 20, v3
	v_and_b32_e32 v4, 0x80000000, v4
	v_lshl_add_u32 v2, v2, 23, v6
	v_or3_b32 v2, v4, v2, v3
.LBB21_740:
	s_or_b64 exec, exec, s[6:7]
	s_movk_i32 s4, 0x7f
	v_cmp_gt_i16_sdwa s[6:7], v5, s4 src0_sel:BYTE_0 src1_sel:DWORD
	s_mov_b64 s[4:5], 0
                                        ; implicit-def: $sgpr10
	s_and_saveexec_b64 s[8:9], s[6:7]
	s_xor_b64 s[6:7], exec, s[8:9]
	s_cbranch_execnz .LBB21_2789
; %bb.741:
	s_or_saveexec_b64 s[6:7], s[6:7]
	v_mov_b32_e32 v3, s10
	s_xor_b64 exec, exec, s[6:7]
	s_cbranch_execnz .LBB21_2792
.LBB21_742:
	s_or_b64 exec, exec, s[6:7]
	s_and_saveexec_b64 s[6:7], s[4:5]
	s_cbranch_execz .LBB21_744
.LBB21_743:
	v_mov_b32_e32 v3, 8
	v_and_b32_e32 v4, 7, v5
	v_lshrrev_b32_sdwa v3, v3, v5 dst_sel:BYTE_1 dst_unused:UNUSED_PAD src0_sel:DWORD src1_sel:DWORD
	v_ffbh_u32_e32 v6, v4
	v_or_b32_sdwa v3, v5, v3 dst_sel:DWORD dst_unused:UNUSED_PAD src0_sel:BYTE_0 src1_sel:DWORD
	v_min_u32_e32 v6, 32, v6
	v_lshrrev_b16_e32 v3, 3, v3
	v_subrev_u32_e32 v7, 28, v6
	v_and_b32_e32 v3, 15, v3
	v_lshlrev_b32_e32 v7, v7, v5
	v_sub_u32_e32 v6, 29, v6
	v_and_b32_e32 v7, 7, v7
	v_cmp_eq_u16_e32 vcc, 0, v3
	v_cndmask_b32_e32 v4, v4, v7, vcc
	v_cndmask_b32_e32 v3, v3, v6, vcc
	v_lshlrev_b32_e32 v6, 24, v5
	v_mov_b32_e32 v7, 0x3b800000
	v_lshlrev_b32_e32 v4, 20, v4
	v_and_b32_e32 v6, 0x80000000, v6
	v_lshl_add_u32 v3, v3, 23, v7
	v_or3_b32 v3, v6, v3, v4
.LBB21_744:
	s_or_b64 exec, exec, s[6:7]
	s_nop 0
	v_mfma_f32_16x16x4f32 a[0:3], v2, v3, a[0:3]
	v_lshrrev_b32_e32 v3, 8, v9
	s_movk_i32 s4, 0x7f
	v_cmp_gt_i16_sdwa s[6:7], v3, s4 src0_sel:BYTE_0 src1_sel:DWORD
	s_mov_b64 s[4:5], 0
                                        ; implicit-def: $sgpr10
	s_and_saveexec_b64 s[8:9], s[6:7]
	s_xor_b64 s[6:7], exec, s[8:9]
	s_cbranch_execnz .LBB21_2793
; %bb.745:
	s_or_saveexec_b64 s[6:7], s[6:7]
	v_mov_b32_e32 v2, s10
	s_xor_b64 exec, exec, s[6:7]
	s_cbranch_execnz .LBB21_2796
.LBB21_746:
	s_or_b64 exec, exec, s[6:7]
	s_and_saveexec_b64 s[6:7], s[4:5]
	s_cbranch_execz .LBB21_748
.LBB21_747:
	v_bfe_u32 v2, v9, 8, 3
	v_ffbh_u32_e32 v6, v2
	v_min_u32_e32 v6, 32, v6
	v_lshrrev_b16_e32 v4, 3, v3
	v_subrev_u32_e32 v7, 28, v6
	v_and_b32_e32 v4, 15, v4
	v_lshlrev_b32_e32 v3, v7, v3
	v_sub_u32_e32 v6, 29, v6
	v_and_b32_e32 v3, 7, v3
	v_cmp_eq_u16_e32 vcc, 0, v4
	v_cndmask_b32_e32 v2, v2, v3, vcc
	v_cndmask_b32_e32 v3, v4, v6, vcc
	v_lshlrev_b32_e32 v4, 16, v9
	v_mov_b32_e32 v6, 0x3b800000
	v_lshlrev_b32_e32 v2, 20, v2
	v_and_b32_e32 v4, 0x80000000, v4
	v_lshl_add_u32 v3, v3, 23, v6
	v_or3_b32 v2, v4, v3, v2
.LBB21_748:
	s_or_b64 exec, exec, s[6:7]
	v_lshrrev_b32_e32 v3, 8, v5
	s_movk_i32 s4, 0x7f
	v_cmp_gt_i16_sdwa s[6:7], v3, s4 src0_sel:BYTE_0 src1_sel:DWORD
	s_mov_b64 s[4:5], 0
                                        ; implicit-def: $sgpr10
	s_and_saveexec_b64 s[8:9], s[6:7]
	s_xor_b64 s[6:7], exec, s[8:9]
	s_cbranch_execnz .LBB21_2797
; %bb.749:
	s_or_saveexec_b64 s[6:7], s[6:7]
	v_mov_b32_e32 v4, s10
	s_xor_b64 exec, exec, s[6:7]
	s_cbranch_execnz .LBB21_2800
.LBB21_750:
	s_or_b64 exec, exec, s[6:7]
	s_and_saveexec_b64 s[6:7], s[4:5]
	s_cbranch_execz .LBB21_752
.LBB21_751:
	v_bfe_u32 v4, v5, 8, 3
	v_ffbh_u32_e32 v7, v4
	v_min_u32_e32 v7, 32, v7
	v_lshrrev_b16_e32 v6, 3, v3
	v_subrev_u32_e32 v8, 28, v7
	v_and_b32_e32 v6, 15, v6
	v_lshlrev_b32_e32 v3, v8, v3
	v_sub_u32_e32 v7, 29, v7
	v_and_b32_e32 v3, 7, v3
	v_cmp_eq_u16_e32 vcc, 0, v6
	v_cndmask_b32_e32 v3, v4, v3, vcc
	v_cndmask_b32_e32 v4, v6, v7, vcc
	v_lshlrev_b32_e32 v6, 16, v5
	v_mov_b32_e32 v7, 0x3b800000
	v_lshlrev_b32_e32 v3, 20, v3
	v_and_b32_e32 v6, 0x80000000, v6
	v_lshl_add_u32 v4, v4, 23, v7
	v_or3_b32 v4, v6, v4, v3
.LBB21_752:
	s_or_b64 exec, exec, s[6:7]
	s_nop 0
	v_mfma_f32_16x16x4f32 a[0:3], v2, v4, a[0:3]
	s_movk_i32 s4, 0xff
	v_and_b32_sdwa v3, v9, s4 dst_sel:DWORD dst_unused:UNUSED_PAD src0_sel:WORD_1 src1_sel:DWORD
	s_movk_i32 s4, 0x7f
	v_cmp_lt_i16_e32 vcc, s4, v3
	s_mov_b64 s[4:5], 0
                                        ; implicit-def: $sgpr10
	s_and_saveexec_b64 s[6:7], vcc
	s_xor_b64 s[6:7], exec, s[6:7]
	s_cbranch_execnz .LBB21_2801
; %bb.753:
	s_or_saveexec_b64 s[6:7], s[6:7]
	v_mov_b32_e32 v2, s10
	s_xor_b64 exec, exec, s[6:7]
	s_cbranch_execnz .LBB21_2804
.LBB21_754:
	s_or_b64 exec, exec, s[6:7]
	s_and_saveexec_b64 s[6:7], s[4:5]
	s_cbranch_execz .LBB21_756
.LBB21_755:
	v_bfe_u32 v2, v9, 16, 3
	v_ffbh_u32_e32 v6, v2
	v_min_u32_e32 v6, 32, v6
	v_lshrrev_b32_e32 v3, 19, v9
	v_subrev_u32_e32 v7, 28, v6
	v_and_b32_e32 v3, 15, v3
	v_lshlrev_b32_sdwa v7, v7, v9 dst_sel:DWORD dst_unused:UNUSED_PAD src0_sel:DWORD src1_sel:WORD_1
	v_bfe_u32 v4, v9, 19, 4
	v_sub_u32_e32 v6, 29, v6
	v_and_b32_e32 v7, 7, v7
	v_cmp_eq_u16_e32 vcc, 0, v3
	v_cndmask_b32_e32 v2, v2, v7, vcc
	v_cndmask_b32_e32 v3, v4, v6, vcc
	v_lshlrev_b32_e32 v4, 8, v9
	v_mov_b32_e32 v6, 0x3b800000
	v_lshlrev_b32_e32 v2, 20, v2
	v_and_b32_e32 v4, 0x80000000, v4
	v_lshl_add_u32 v3, v3, 23, v6
	v_or3_b32 v2, v4, v3, v2
.LBB21_756:
	s_or_b64 exec, exec, s[6:7]
	s_movk_i32 s4, 0xff
	v_and_b32_sdwa v3, v5, s4 dst_sel:DWORD dst_unused:UNUSED_PAD src0_sel:WORD_1 src1_sel:DWORD
	s_movk_i32 s4, 0x7f
	v_cmp_lt_i16_e32 vcc, s4, v3
	s_mov_b64 s[4:5], 0
                                        ; implicit-def: $sgpr10
	s_and_saveexec_b64 s[6:7], vcc
	s_xor_b64 s[6:7], exec, s[6:7]
	s_cbranch_execnz .LBB21_2805
; %bb.757:
	s_or_saveexec_b64 s[6:7], s[6:7]
	v_mov_b32_e32 v4, s10
	s_xor_b64 exec, exec, s[6:7]
	s_cbranch_execnz .LBB21_2808
.LBB21_758:
	s_or_b64 exec, exec, s[6:7]
	s_and_saveexec_b64 s[6:7], s[4:5]
	s_cbranch_execz .LBB21_760
.LBB21_759:
	v_bfe_u32 v3, v5, 16, 3
	v_ffbh_u32_e32 v7, v3
	v_min_u32_e32 v7, 32, v7
	v_lshrrev_b32_e32 v4, 19, v5
	v_subrev_u32_e32 v8, 28, v7
	v_and_b32_e32 v4, 15, v4
	v_lshlrev_b32_sdwa v8, v8, v5 dst_sel:DWORD dst_unused:UNUSED_PAD src0_sel:DWORD src1_sel:WORD_1
	v_bfe_u32 v6, v5, 19, 4
	v_sub_u32_e32 v7, 29, v7
	v_and_b32_e32 v8, 7, v8
	v_cmp_eq_u16_e32 vcc, 0, v4
	v_cndmask_b32_e32 v3, v3, v8, vcc
	v_cndmask_b32_e32 v4, v6, v7, vcc
	v_lshlrev_b32_e32 v6, 8, v5
	v_mov_b32_e32 v7, 0x3b800000
	v_lshlrev_b32_e32 v3, 20, v3
	v_and_b32_e32 v6, 0x80000000, v6
	v_lshl_add_u32 v4, v4, 23, v7
	v_or3_b32 v4, v6, v4, v3
.LBB21_760:
	s_or_b64 exec, exec, s[6:7]
	s_nop 0
	v_mfma_f32_16x16x4f32 a[0:3], v2, v4, a[0:3]
	s_movk_i32 s4, 0x7f
	v_cmp_gt_i16_sdwa s[6:7], v9, s4 src0_sel:BYTE_3 src1_sel:DWORD
	s_mov_b64 s[4:5], 0
                                        ; implicit-def: $sgpr10
	s_and_saveexec_b64 s[8:9], s[6:7]
	s_xor_b64 s[6:7], exec, s[8:9]
	s_cbranch_execnz .LBB21_2809
; %bb.761:
	s_or_saveexec_b64 s[6:7], s[6:7]
	v_mov_b32_e32 v2, s10
	s_xor_b64 exec, exec, s[6:7]
	s_cbranch_execnz .LBB21_2812
.LBB21_762:
	s_or_b64 exec, exec, s[6:7]
	s_and_saveexec_b64 s[6:7], s[4:5]
	s_cbranch_execz .LBB21_764
.LBB21_763:
	v_bfe_u32 v2, v9, 24, 3
	v_ffbh_u32_e32 v7, v2
	v_min_u32_e32 v7, 32, v7
	v_lshrrev_b32_e32 v4, 27, v9
	v_subrev_u32_e32 v8, 28, v7
	v_and_b32_e32 v4, 15, v4
	v_lshlrev_b32_sdwa v8, v8, v9 dst_sel:DWORD dst_unused:UNUSED_PAD src0_sel:DWORD src1_sel:BYTE_3
	v_bfe_u32 v6, v9, 27, 4
	v_sub_u32_e32 v7, 29, v7
	v_and_b32_e32 v8, 7, v8
	v_cmp_eq_u16_e32 vcc, 0, v4
	v_cndmask_b32_e32 v2, v2, v8, vcc
	v_cndmask_b32_e32 v4, v6, v7, vcc
	v_mov_b32_e32 v6, 0x3b800000
	v_and_b32_e32 v3, 0x80000000, v9
	v_lshlrev_b32_e32 v2, 20, v2
	v_lshl_add_u32 v4, v4, 23, v6
	v_or3_b32 v2, v3, v4, v2
.LBB21_764:
	s_or_b64 exec, exec, s[6:7]
	s_movk_i32 s4, 0x7f
	v_cmp_gt_i16_sdwa s[6:7], v5, s4 src0_sel:BYTE_3 src1_sel:DWORD
	s_mov_b64 s[4:5], 0
                                        ; implicit-def: $sgpr10
	s_and_saveexec_b64 s[8:9], s[6:7]
	s_xor_b64 s[6:7], exec, s[8:9]
	s_cbranch_execnz .LBB21_2813
; %bb.765:
	s_or_saveexec_b64 s[6:7], s[6:7]
	v_mov_b32_e32 v3, s10
	s_xor_b64 exec, exec, s[6:7]
	s_cbranch_execnz .LBB21_2816
.LBB21_766:
	s_or_b64 exec, exec, s[6:7]
	s_and_saveexec_b64 s[6:7], s[4:5]
	s_cbranch_execz .LBB21_768
.LBB21_767:
	v_bfe_u32 v3, v5, 24, 3
	v_ffbh_u32_e32 v8, v3
	v_min_u32_e32 v8, 32, v8
	v_lshrrev_b32_e32 v6, 27, v5
	v_subrev_u32_e32 v9, 28, v8
	v_and_b32_e32 v4, 0x80000000, v5
	v_and_b32_e32 v6, 15, v6
	v_bfe_u32 v7, v5, 27, 4
	v_lshlrev_b32_sdwa v5, v9, v5 dst_sel:DWORD dst_unused:UNUSED_PAD src0_sel:DWORD src1_sel:BYTE_3
	v_sub_u32_e32 v8, 29, v8
	v_and_b32_e32 v5, 7, v5
	v_cmp_eq_u16_e32 vcc, 0, v6
	v_cndmask_b32_e32 v3, v3, v5, vcc
	v_cndmask_b32_e32 v5, v7, v8, vcc
	v_mov_b32_e32 v6, 0x3b800000
	v_lshlrev_b32_e32 v3, 20, v3
	v_lshl_add_u32 v5, v5, 23, v6
	v_or3_b32 v3, v4, v5, v3
.LBB21_768:
	s_or_b64 exec, exec, s[6:7]
	s_nop 0
	v_mfma_f32_16x16x4f32 a[0:3], v2, v3, a[0:3]
	s_movk_i32 s4, 0x7f
                                        ; implicit-def: $sgpr10
	s_nop 7
	s_nop 1
	flat_store_dwordx4 v[18:19], a[0:3] offset:416
	flat_load_dwordx4 v[20:23], v[0:1] offset:8
	s_nop 0
	flat_load_dwordx2 v[18:19], v[0:1] offset:24
	s_waitcnt vmcnt(0) lgkmcnt(0)
	flat_load_dwordx4 v[14:17], v[20:21] offset:32
	flat_load_dwordx4 v[6:9], v[20:21] offset:48
	;; [unrolled: 1-line block ×4, first 2 shown]
	s_waitcnt vmcnt(0) lgkmcnt(0)
	v_cmp_gt_i16_sdwa s[6:7], v14, s4 src0_sel:BYTE_0 src1_sel:DWORD
	s_mov_b64 s[4:5], 0
	s_and_saveexec_b64 s[8:9], s[6:7]
	s_xor_b64 s[6:7], exec, s[8:9]
	s_cbranch_execnz .LBB21_2817
; %bb.769:
	s_or_saveexec_b64 s[6:7], s[6:7]
	v_mov_b32_e32 v20, s10
	s_xor_b64 exec, exec, s[6:7]
	s_cbranch_execnz .LBB21_2820
.LBB21_770:
	s_or_b64 exec, exec, s[6:7]
	s_and_saveexec_b64 s[6:7], s[4:5]
	s_cbranch_execz .LBB21_772
.LBB21_771:
	v_and_b32_e32 v20, 7, v14
	v_ffbh_u32_e32 v22, v20
	v_min_u32_e32 v22, 32, v22
	v_lshrrev_b16_e32 v21, 3, v14
	v_subrev_u32_e32 v23, 28, v22
	v_and_b32_e32 v21, 15, v21
	v_lshlrev_b32_e32 v23, v23, v14
	v_sub_u32_e32 v22, 29, v22
	v_and_b32_e32 v23, 7, v23
	v_cmp_eq_u16_e32 vcc, 0, v21
	v_cndmask_b32_e32 v20, v20, v23, vcc
	v_cndmask_b32_e32 v21, v21, v22, vcc
	v_lshlrev_b32_e32 v22, 24, v14
	v_mov_b32_e32 v23, 0x3b800000
	v_lshlrev_b32_e32 v20, 20, v20
	v_and_b32_e32 v22, 0x80000000, v22
	v_lshl_add_u32 v21, v21, 23, v23
	v_or3_b32 v20, v22, v21, v20
.LBB21_772:
	s_or_b64 exec, exec, s[6:7]
	s_movk_i32 s4, 0x7f
	v_cmp_gt_i16_sdwa s[6:7], v10, s4 src0_sel:BYTE_0 src1_sel:DWORD
	s_mov_b64 s[4:5], 0
                                        ; implicit-def: $sgpr10
	s_and_saveexec_b64 s[8:9], s[6:7]
	s_xor_b64 s[6:7], exec, s[8:9]
	s_cbranch_execnz .LBB21_2821
; %bb.773:
	s_or_saveexec_b64 s[6:7], s[6:7]
	v_mov_b32_e32 v21, s10
	s_xor_b64 exec, exec, s[6:7]
	s_cbranch_execnz .LBB21_2824
.LBB21_774:
	s_or_b64 exec, exec, s[6:7]
	s_and_saveexec_b64 s[6:7], s[4:5]
	s_cbranch_execz .LBB21_776
.LBB21_775:
	v_and_b32_e32 v21, 7, v10
	v_ffbh_u32_e32 v23, v21
	v_min_u32_e32 v23, 32, v23
	v_lshrrev_b16_e32 v22, 3, v10
	v_subrev_u32_e32 v24, 28, v23
	v_and_b32_e32 v22, 15, v22
	v_lshlrev_b32_e32 v24, v24, v10
	v_sub_u32_e32 v23, 29, v23
	v_and_b32_e32 v24, 7, v24
	v_cmp_eq_u16_e32 vcc, 0, v22
	v_cndmask_b32_e32 v21, v21, v24, vcc
	v_cndmask_b32_e32 v22, v22, v23, vcc
	v_lshlrev_b32_e32 v23, 24, v10
	v_mov_b32_e32 v24, 0x3b800000
	v_lshlrev_b32_e32 v21, 20, v21
	v_and_b32_e32 v23, 0x80000000, v23
	v_lshl_add_u32 v22, v22, 23, v24
	v_or3_b32 v21, v23, v22, v21
.LBB21_776:
	s_or_b64 exec, exec, s[6:7]
	flat_load_dwordx4 a[0:3], v[18:19] offset:432
	s_movk_i32 s4, 0x7f
                                        ; implicit-def: $sgpr10
	s_waitcnt vmcnt(0) lgkmcnt(0)
	v_mfma_f32_16x16x4f32 a[0:3], v20, v21, a[0:3]
	v_lshrrev_b32_e32 v21, 8, v14
	v_cmp_gt_i16_sdwa s[6:7], v21, s4 src0_sel:BYTE_0 src1_sel:DWORD
	s_mov_b64 s[4:5], 0
	s_and_saveexec_b64 s[8:9], s[6:7]
	s_xor_b64 s[6:7], exec, s[8:9]
	s_cbranch_execnz .LBB21_2825
; %bb.777:
	s_or_saveexec_b64 s[6:7], s[6:7]
	v_mov_b32_e32 v20, s10
	s_xor_b64 exec, exec, s[6:7]
	s_cbranch_execnz .LBB21_2828
.LBB21_778:
	s_or_b64 exec, exec, s[6:7]
	s_and_saveexec_b64 s[6:7], s[4:5]
	s_cbranch_execz .LBB21_780
.LBB21_779:
	v_bfe_u32 v20, v14, 8, 3
	v_ffbh_u32_e32 v23, v20
	v_min_u32_e32 v23, 32, v23
	v_lshrrev_b16_e32 v22, 3, v21
	v_subrev_u32_e32 v24, 28, v23
	v_and_b32_e32 v22, 15, v22
	v_lshlrev_b32_e32 v21, v24, v21
	v_sub_u32_e32 v23, 29, v23
	v_and_b32_e32 v21, 7, v21
	v_cmp_eq_u16_e32 vcc, 0, v22
	v_cndmask_b32_e32 v20, v20, v21, vcc
	v_cndmask_b32_e32 v21, v22, v23, vcc
	v_lshlrev_b32_e32 v22, 16, v14
	v_mov_b32_e32 v23, 0x3b800000
	v_lshlrev_b32_e32 v20, 20, v20
	v_and_b32_e32 v22, 0x80000000, v22
	v_lshl_add_u32 v21, v21, 23, v23
	v_or3_b32 v20, v22, v21, v20
.LBB21_780:
	s_or_b64 exec, exec, s[6:7]
	v_lshrrev_b32_e32 v21, 8, v10
	s_movk_i32 s4, 0x7f
	v_cmp_gt_i16_sdwa s[6:7], v21, s4 src0_sel:BYTE_0 src1_sel:DWORD
	s_mov_b64 s[4:5], 0
                                        ; implicit-def: $sgpr10
	s_and_saveexec_b64 s[8:9], s[6:7]
	s_xor_b64 s[6:7], exec, s[8:9]
	s_cbranch_execnz .LBB21_2829
; %bb.781:
	s_or_saveexec_b64 s[6:7], s[6:7]
	v_mov_b32_e32 v22, s10
	s_xor_b64 exec, exec, s[6:7]
	s_cbranch_execnz .LBB21_2832
.LBB21_782:
	s_or_b64 exec, exec, s[6:7]
	s_and_saveexec_b64 s[6:7], s[4:5]
	s_cbranch_execz .LBB21_784
.LBB21_783:
	v_bfe_u32 v22, v10, 8, 3
	v_ffbh_u32_e32 v24, v22
	v_min_u32_e32 v24, 32, v24
	v_lshrrev_b16_e32 v23, 3, v21
	v_subrev_u32_e32 v25, 28, v24
	v_and_b32_e32 v23, 15, v23
	v_lshlrev_b32_e32 v21, v25, v21
	v_sub_u32_e32 v24, 29, v24
	v_and_b32_e32 v21, 7, v21
	v_cmp_eq_u16_e32 vcc, 0, v23
	v_cndmask_b32_e32 v21, v22, v21, vcc
	v_cndmask_b32_e32 v22, v23, v24, vcc
	v_lshlrev_b32_e32 v23, 16, v10
	v_mov_b32_e32 v24, 0x3b800000
	v_lshlrev_b32_e32 v21, 20, v21
	v_and_b32_e32 v23, 0x80000000, v23
	v_lshl_add_u32 v22, v22, 23, v24
	v_or3_b32 v22, v23, v22, v21
.LBB21_784:
	s_or_b64 exec, exec, s[6:7]
	s_nop 0
	v_mfma_f32_16x16x4f32 a[0:3], v20, v22, a[0:3]
	s_movk_i32 s4, 0xff
	v_and_b32_sdwa v21, v14, s4 dst_sel:DWORD dst_unused:UNUSED_PAD src0_sel:WORD_1 src1_sel:DWORD
	s_movk_i32 s4, 0x7f
	v_cmp_lt_i16_e32 vcc, s4, v21
	s_mov_b64 s[4:5], 0
                                        ; implicit-def: $sgpr10
	s_and_saveexec_b64 s[6:7], vcc
	s_xor_b64 s[6:7], exec, s[6:7]
	s_cbranch_execnz .LBB21_2833
; %bb.785:
	s_or_saveexec_b64 s[6:7], s[6:7]
	v_mov_b32_e32 v20, s10
	s_xor_b64 exec, exec, s[6:7]
	s_cbranch_execnz .LBB21_2836
.LBB21_786:
	s_or_b64 exec, exec, s[6:7]
	s_and_saveexec_b64 s[6:7], s[4:5]
	s_cbranch_execz .LBB21_788
.LBB21_787:
	v_bfe_u32 v20, v14, 16, 3
	v_ffbh_u32_e32 v23, v20
	v_min_u32_e32 v23, 32, v23
	v_lshrrev_b32_e32 v21, 19, v14
	v_subrev_u32_e32 v24, 28, v23
	v_and_b32_e32 v21, 15, v21
	v_lshlrev_b32_sdwa v24, v24, v14 dst_sel:DWORD dst_unused:UNUSED_PAD src0_sel:DWORD src1_sel:WORD_1
	v_bfe_u32 v22, v14, 19, 4
	v_sub_u32_e32 v23, 29, v23
	v_and_b32_e32 v24, 7, v24
	v_cmp_eq_u16_e32 vcc, 0, v21
	v_cndmask_b32_e32 v20, v20, v24, vcc
	v_cndmask_b32_e32 v21, v22, v23, vcc
	v_lshlrev_b32_e32 v22, 8, v14
	v_mov_b32_e32 v23, 0x3b800000
	v_lshlrev_b32_e32 v20, 20, v20
	v_and_b32_e32 v22, 0x80000000, v22
	v_lshl_add_u32 v21, v21, 23, v23
	v_or3_b32 v20, v22, v21, v20
.LBB21_788:
	s_or_b64 exec, exec, s[6:7]
	s_movk_i32 s4, 0xff
	v_and_b32_sdwa v21, v10, s4 dst_sel:DWORD dst_unused:UNUSED_PAD src0_sel:WORD_1 src1_sel:DWORD
	s_movk_i32 s4, 0x7f
	v_cmp_lt_i16_e32 vcc, s4, v21
	s_mov_b64 s[4:5], 0
                                        ; implicit-def: $sgpr10
	s_and_saveexec_b64 s[6:7], vcc
	s_xor_b64 s[6:7], exec, s[6:7]
	s_cbranch_execnz .LBB21_2837
; %bb.789:
	s_or_saveexec_b64 s[6:7], s[6:7]
	v_mov_b32_e32 v22, s10
	s_xor_b64 exec, exec, s[6:7]
	s_cbranch_execnz .LBB21_2840
.LBB21_790:
	s_or_b64 exec, exec, s[6:7]
	s_and_saveexec_b64 s[6:7], s[4:5]
	s_cbranch_execz .LBB21_792
.LBB21_791:
	v_bfe_u32 v21, v10, 16, 3
	v_ffbh_u32_e32 v24, v21
	v_min_u32_e32 v24, 32, v24
	v_lshrrev_b32_e32 v22, 19, v10
	v_subrev_u32_e32 v25, 28, v24
	v_and_b32_e32 v22, 15, v22
	v_lshlrev_b32_sdwa v25, v25, v10 dst_sel:DWORD dst_unused:UNUSED_PAD src0_sel:DWORD src1_sel:WORD_1
	v_bfe_u32 v23, v10, 19, 4
	v_sub_u32_e32 v24, 29, v24
	v_and_b32_e32 v25, 7, v25
	v_cmp_eq_u16_e32 vcc, 0, v22
	v_cndmask_b32_e32 v21, v21, v25, vcc
	v_cndmask_b32_e32 v22, v23, v24, vcc
	v_lshlrev_b32_e32 v23, 8, v10
	v_mov_b32_e32 v24, 0x3b800000
	v_lshlrev_b32_e32 v21, 20, v21
	v_and_b32_e32 v23, 0x80000000, v23
	v_lshl_add_u32 v22, v22, 23, v24
	v_or3_b32 v22, v23, v22, v21
.LBB21_792:
	s_or_b64 exec, exec, s[6:7]
	s_nop 0
	v_mfma_f32_16x16x4f32 a[0:3], v20, v22, a[0:3]
	s_movk_i32 s4, 0x7f
	v_cmp_gt_i16_sdwa s[6:7], v14, s4 src0_sel:BYTE_3 src1_sel:DWORD
	s_mov_b64 s[4:5], 0
                                        ; implicit-def: $sgpr10
	s_and_saveexec_b64 s[8:9], s[6:7]
	s_xor_b64 s[6:7], exec, s[8:9]
	s_cbranch_execnz .LBB21_2841
; %bb.793:
	s_or_saveexec_b64 s[6:7], s[6:7]
	v_mov_b32_e32 v20, s10
	s_xor_b64 exec, exec, s[6:7]
	s_cbranch_execnz .LBB21_2844
.LBB21_794:
	s_or_b64 exec, exec, s[6:7]
	s_and_saveexec_b64 s[6:7], s[4:5]
	s_cbranch_execz .LBB21_796
.LBB21_795:
	v_bfe_u32 v20, v14, 24, 3
	v_ffbh_u32_e32 v24, v20
	v_min_u32_e32 v24, 32, v24
	v_lshrrev_b32_e32 v22, 27, v14
	v_subrev_u32_e32 v25, 28, v24
	v_and_b32_e32 v21, 0x80000000, v14
	v_and_b32_e32 v22, 15, v22
	v_bfe_u32 v23, v14, 27, 4
	v_lshlrev_b32_sdwa v14, v25, v14 dst_sel:DWORD dst_unused:UNUSED_PAD src0_sel:DWORD src1_sel:BYTE_3
	v_sub_u32_e32 v24, 29, v24
	v_and_b32_e32 v14, 7, v14
	v_cmp_eq_u16_e32 vcc, 0, v22
	v_cndmask_b32_e32 v14, v20, v14, vcc
	v_cndmask_b32_e32 v20, v23, v24, vcc
	v_mov_b32_e32 v22, 0x3b800000
	v_lshlrev_b32_e32 v14, 20, v14
	v_lshl_add_u32 v20, v20, 23, v22
	v_or3_b32 v20, v21, v20, v14
.LBB21_796:
	s_or_b64 exec, exec, s[6:7]
	s_movk_i32 s4, 0x7f
	v_cmp_gt_i16_sdwa s[6:7], v10, s4 src0_sel:BYTE_3 src1_sel:DWORD
	s_mov_b64 s[4:5], 0
                                        ; implicit-def: $sgpr10
	s_and_saveexec_b64 s[8:9], s[6:7]
	s_xor_b64 s[6:7], exec, s[8:9]
	s_cbranch_execnz .LBB21_2845
; %bb.797:
	s_or_saveexec_b64 s[6:7], s[6:7]
	v_mov_b32_e32 v14, s10
	s_xor_b64 exec, exec, s[6:7]
	s_cbranch_execnz .LBB21_2848
.LBB21_798:
	s_or_b64 exec, exec, s[6:7]
	s_and_saveexec_b64 s[6:7], s[4:5]
	s_cbranch_execz .LBB21_800
.LBB21_799:
	v_bfe_u32 v14, v10, 24, 3
	v_ffbh_u32_e32 v24, v14
	v_min_u32_e32 v24, 32, v24
	v_lshrrev_b32_e32 v22, 27, v10
	v_subrev_u32_e32 v25, 28, v24
	v_and_b32_e32 v21, 0x80000000, v10
	v_and_b32_e32 v22, 15, v22
	v_bfe_u32 v23, v10, 27, 4
	v_lshlrev_b32_sdwa v10, v25, v10 dst_sel:DWORD dst_unused:UNUSED_PAD src0_sel:DWORD src1_sel:BYTE_3
	v_sub_u32_e32 v24, 29, v24
	v_and_b32_e32 v10, 7, v10
	v_cmp_eq_u16_e32 vcc, 0, v22
	v_cndmask_b32_e32 v10, v14, v10, vcc
	v_cndmask_b32_e32 v14, v23, v24, vcc
	v_mov_b32_e32 v22, 0x3b800000
	v_lshlrev_b32_e32 v10, 20, v10
	v_lshl_add_u32 v14, v14, 23, v22
	v_or3_b32 v14, v21, v14, v10
.LBB21_800:
	s_or_b64 exec, exec, s[6:7]
	s_nop 0
	v_mfma_f32_16x16x4f32 a[0:3], v20, v14, a[0:3]
	s_movk_i32 s4, 0x7f
	v_cmp_gt_i16_sdwa s[6:7], v15, s4 src0_sel:BYTE_0 src1_sel:DWORD
	s_mov_b64 s[4:5], 0
                                        ; implicit-def: $sgpr10
	s_and_saveexec_b64 s[8:9], s[6:7]
	s_xor_b64 s[6:7], exec, s[8:9]
	s_cbranch_execnz .LBB21_2849
; %bb.801:
	s_or_saveexec_b64 s[6:7], s[6:7]
	v_mov_b32_e32 v10, s10
	s_xor_b64 exec, exec, s[6:7]
	s_cbranch_execnz .LBB21_2852
.LBB21_802:
	s_or_b64 exec, exec, s[6:7]
	s_and_saveexec_b64 s[6:7], s[4:5]
	s_cbranch_execz .LBB21_804
.LBB21_803:
	v_and_b32_e32 v10, 7, v15
	v_ffbh_u32_e32 v20, v10
	v_min_u32_e32 v20, 32, v20
	v_lshrrev_b16_e32 v14, 3, v15
	v_subrev_u32_e32 v21, 28, v20
	v_and_b32_e32 v14, 15, v14
	v_lshlrev_b32_e32 v21, v21, v15
	v_sub_u32_e32 v20, 29, v20
	v_and_b32_e32 v21, 7, v21
	v_cmp_eq_u16_e32 vcc, 0, v14
	v_cndmask_b32_e32 v10, v10, v21, vcc
	v_cndmask_b32_e32 v14, v14, v20, vcc
	v_lshlrev_b32_e32 v20, 24, v15
	v_mov_b32_e32 v21, 0x3b800000
	v_lshlrev_b32_e32 v10, 20, v10
	v_and_b32_e32 v20, 0x80000000, v20
	v_lshl_add_u32 v14, v14, 23, v21
	v_or3_b32 v10, v20, v14, v10
.LBB21_804:
	s_or_b64 exec, exec, s[6:7]
	s_movk_i32 s4, 0x7f
	v_cmp_gt_i16_sdwa s[6:7], v11, s4 src0_sel:BYTE_0 src1_sel:DWORD
	s_mov_b64 s[4:5], 0
                                        ; implicit-def: $sgpr10
	s_and_saveexec_b64 s[8:9], s[6:7]
	s_xor_b64 s[6:7], exec, s[8:9]
	s_cbranch_execnz .LBB21_2853
; %bb.805:
	s_or_saveexec_b64 s[6:7], s[6:7]
	v_mov_b32_e32 v14, s10
	s_xor_b64 exec, exec, s[6:7]
	s_cbranch_execnz .LBB21_2856
.LBB21_806:
	s_or_b64 exec, exec, s[6:7]
	s_and_saveexec_b64 s[6:7], s[4:5]
	s_cbranch_execz .LBB21_808
.LBB21_807:
	v_and_b32_e32 v14, 7, v11
	v_ffbh_u32_e32 v21, v14
	v_min_u32_e32 v21, 32, v21
	v_lshrrev_b16_e32 v20, 3, v11
	v_subrev_u32_e32 v22, 28, v21
	v_and_b32_e32 v20, 15, v20
	v_lshlrev_b32_e32 v22, v22, v11
	v_sub_u32_e32 v21, 29, v21
	v_and_b32_e32 v22, 7, v22
	v_cmp_eq_u16_e32 vcc, 0, v20
	v_cndmask_b32_e32 v14, v14, v22, vcc
	v_cndmask_b32_e32 v20, v20, v21, vcc
	v_lshlrev_b32_e32 v21, 24, v11
	v_mov_b32_e32 v22, 0x3b800000
	v_lshlrev_b32_e32 v14, 20, v14
	v_and_b32_e32 v21, 0x80000000, v21
	v_lshl_add_u32 v20, v20, 23, v22
	v_or3_b32 v14, v21, v20, v14
.LBB21_808:
	s_or_b64 exec, exec, s[6:7]
	s_nop 0
	v_mfma_f32_16x16x4f32 a[0:3], v10, v14, a[0:3]
	v_lshrrev_b32_e32 v14, 8, v15
	s_movk_i32 s4, 0x7f
	v_cmp_gt_i16_sdwa s[6:7], v14, s4 src0_sel:BYTE_0 src1_sel:DWORD
	s_mov_b64 s[4:5], 0
                                        ; implicit-def: $sgpr10
	s_and_saveexec_b64 s[8:9], s[6:7]
	s_xor_b64 s[6:7], exec, s[8:9]
	s_cbranch_execnz .LBB21_2857
; %bb.809:
	s_or_saveexec_b64 s[6:7], s[6:7]
	v_mov_b32_e32 v10, s10
	s_xor_b64 exec, exec, s[6:7]
	s_cbranch_execnz .LBB21_2860
.LBB21_810:
	s_or_b64 exec, exec, s[6:7]
	s_and_saveexec_b64 s[6:7], s[4:5]
	s_cbranch_execz .LBB21_812
.LBB21_811:
	v_bfe_u32 v10, v15, 8, 3
	v_ffbh_u32_e32 v21, v10
	v_min_u32_e32 v21, 32, v21
	v_lshrrev_b16_e32 v20, 3, v14
	v_subrev_u32_e32 v22, 28, v21
	v_and_b32_e32 v20, 15, v20
	v_lshlrev_b32_e32 v14, v22, v14
	v_sub_u32_e32 v21, 29, v21
	v_and_b32_e32 v14, 7, v14
	v_cmp_eq_u16_e32 vcc, 0, v20
	v_cndmask_b32_e32 v10, v10, v14, vcc
	v_cndmask_b32_e32 v14, v20, v21, vcc
	v_lshlrev_b32_e32 v20, 16, v15
	v_mov_b32_e32 v21, 0x3b800000
	v_lshlrev_b32_e32 v10, 20, v10
	v_and_b32_e32 v20, 0x80000000, v20
	v_lshl_add_u32 v14, v14, 23, v21
	v_or3_b32 v10, v20, v14, v10
.LBB21_812:
	s_or_b64 exec, exec, s[6:7]
	v_lshrrev_b32_e32 v14, 8, v11
	s_movk_i32 s4, 0x7f
	v_cmp_gt_i16_sdwa s[6:7], v14, s4 src0_sel:BYTE_0 src1_sel:DWORD
	s_mov_b64 s[4:5], 0
                                        ; implicit-def: $sgpr10
	s_and_saveexec_b64 s[8:9], s[6:7]
	s_xor_b64 s[6:7], exec, s[8:9]
	s_cbranch_execnz .LBB21_2861
; %bb.813:
	s_or_saveexec_b64 s[6:7], s[6:7]
	v_mov_b32_e32 v20, s10
	s_xor_b64 exec, exec, s[6:7]
	s_cbranch_execnz .LBB21_2864
.LBB21_814:
	s_or_b64 exec, exec, s[6:7]
	s_and_saveexec_b64 s[6:7], s[4:5]
	s_cbranch_execz .LBB21_816
.LBB21_815:
	v_bfe_u32 v20, v11, 8, 3
	v_ffbh_u32_e32 v22, v20
	v_min_u32_e32 v22, 32, v22
	v_lshrrev_b16_e32 v21, 3, v14
	v_subrev_u32_e32 v23, 28, v22
	v_and_b32_e32 v21, 15, v21
	v_lshlrev_b32_e32 v14, v23, v14
	v_sub_u32_e32 v22, 29, v22
	v_and_b32_e32 v14, 7, v14
	v_cmp_eq_u16_e32 vcc, 0, v21
	v_cndmask_b32_e32 v14, v20, v14, vcc
	v_cndmask_b32_e32 v20, v21, v22, vcc
	v_lshlrev_b32_e32 v21, 16, v11
	v_mov_b32_e32 v22, 0x3b800000
	v_lshlrev_b32_e32 v14, 20, v14
	v_and_b32_e32 v21, 0x80000000, v21
	v_lshl_add_u32 v20, v20, 23, v22
	v_or3_b32 v20, v21, v20, v14
.LBB21_816:
	s_or_b64 exec, exec, s[6:7]
	s_nop 0
	v_mfma_f32_16x16x4f32 a[0:3], v10, v20, a[0:3]
	s_movk_i32 s4, 0xff
	v_and_b32_sdwa v14, v15, s4 dst_sel:DWORD dst_unused:UNUSED_PAD src0_sel:WORD_1 src1_sel:DWORD
	s_movk_i32 s4, 0x7f
	v_cmp_lt_i16_e32 vcc, s4, v14
	s_mov_b64 s[4:5], 0
                                        ; implicit-def: $sgpr10
	s_and_saveexec_b64 s[6:7], vcc
	s_xor_b64 s[6:7], exec, s[6:7]
	s_cbranch_execnz .LBB21_2865
; %bb.817:
	s_or_saveexec_b64 s[6:7], s[6:7]
	v_mov_b32_e32 v10, s10
	s_xor_b64 exec, exec, s[6:7]
	s_cbranch_execnz .LBB21_2868
.LBB21_818:
	s_or_b64 exec, exec, s[6:7]
	s_and_saveexec_b64 s[6:7], s[4:5]
	s_cbranch_execz .LBB21_820
.LBB21_819:
	v_bfe_u32 v10, v15, 16, 3
	v_ffbh_u32_e32 v21, v10
	v_min_u32_e32 v21, 32, v21
	v_lshrrev_b32_e32 v14, 19, v15
	v_subrev_u32_e32 v22, 28, v21
	v_and_b32_e32 v14, 15, v14
	v_lshlrev_b32_sdwa v22, v22, v15 dst_sel:DWORD dst_unused:UNUSED_PAD src0_sel:DWORD src1_sel:WORD_1
	v_bfe_u32 v20, v15, 19, 4
	v_sub_u32_e32 v21, 29, v21
	v_and_b32_e32 v22, 7, v22
	v_cmp_eq_u16_e32 vcc, 0, v14
	v_cndmask_b32_e32 v10, v10, v22, vcc
	v_cndmask_b32_e32 v14, v20, v21, vcc
	v_lshlrev_b32_e32 v20, 8, v15
	v_mov_b32_e32 v21, 0x3b800000
	v_lshlrev_b32_e32 v10, 20, v10
	v_and_b32_e32 v20, 0x80000000, v20
	v_lshl_add_u32 v14, v14, 23, v21
	v_or3_b32 v10, v20, v14, v10
.LBB21_820:
	s_or_b64 exec, exec, s[6:7]
	s_movk_i32 s4, 0xff
	v_and_b32_sdwa v14, v11, s4 dst_sel:DWORD dst_unused:UNUSED_PAD src0_sel:WORD_1 src1_sel:DWORD
	s_movk_i32 s4, 0x7f
	v_cmp_lt_i16_e32 vcc, s4, v14
	s_mov_b64 s[4:5], 0
                                        ; implicit-def: $sgpr10
	s_and_saveexec_b64 s[6:7], vcc
	s_xor_b64 s[6:7], exec, s[6:7]
	s_cbranch_execnz .LBB21_2869
; %bb.821:
	s_or_saveexec_b64 s[6:7], s[6:7]
	v_mov_b32_e32 v20, s10
	s_xor_b64 exec, exec, s[6:7]
	s_cbranch_execnz .LBB21_2872
.LBB21_822:
	s_or_b64 exec, exec, s[6:7]
	s_and_saveexec_b64 s[6:7], s[4:5]
	s_cbranch_execz .LBB21_824
.LBB21_823:
	v_bfe_u32 v14, v11, 16, 3
	v_ffbh_u32_e32 v22, v14
	v_min_u32_e32 v22, 32, v22
	v_lshrrev_b32_e32 v20, 19, v11
	v_subrev_u32_e32 v23, 28, v22
	v_and_b32_e32 v20, 15, v20
	v_lshlrev_b32_sdwa v23, v23, v11 dst_sel:DWORD dst_unused:UNUSED_PAD src0_sel:DWORD src1_sel:WORD_1
	v_bfe_u32 v21, v11, 19, 4
	v_sub_u32_e32 v22, 29, v22
	v_and_b32_e32 v23, 7, v23
	v_cmp_eq_u16_e32 vcc, 0, v20
	v_cndmask_b32_e32 v14, v14, v23, vcc
	v_cndmask_b32_e32 v20, v21, v22, vcc
	v_lshlrev_b32_e32 v21, 8, v11
	v_mov_b32_e32 v22, 0x3b800000
	v_lshlrev_b32_e32 v14, 20, v14
	v_and_b32_e32 v21, 0x80000000, v21
	v_lshl_add_u32 v20, v20, 23, v22
	v_or3_b32 v20, v21, v20, v14
.LBB21_824:
	s_or_b64 exec, exec, s[6:7]
	s_nop 0
	v_mfma_f32_16x16x4f32 a[0:3], v10, v20, a[0:3]
	s_movk_i32 s4, 0x7f
	v_cmp_gt_i16_sdwa s[6:7], v15, s4 src0_sel:BYTE_3 src1_sel:DWORD
	s_mov_b64 s[4:5], 0
                                        ; implicit-def: $sgpr10
	s_and_saveexec_b64 s[8:9], s[6:7]
	s_xor_b64 s[6:7], exec, s[8:9]
	s_cbranch_execnz .LBB21_2873
; %bb.825:
	s_or_saveexec_b64 s[6:7], s[6:7]
	v_mov_b32_e32 v10, s10
	s_xor_b64 exec, exec, s[6:7]
	s_cbranch_execnz .LBB21_2876
.LBB21_826:
	s_or_b64 exec, exec, s[6:7]
	s_and_saveexec_b64 s[6:7], s[4:5]
	s_cbranch_execz .LBB21_828
.LBB21_827:
	v_bfe_u32 v10, v15, 24, 3
	v_ffbh_u32_e32 v22, v10
	v_min_u32_e32 v22, 32, v22
	v_lshrrev_b32_e32 v20, 27, v15
	v_subrev_u32_e32 v23, 28, v22
	v_and_b32_e32 v14, 0x80000000, v15
	v_and_b32_e32 v20, 15, v20
	v_bfe_u32 v21, v15, 27, 4
	v_lshlrev_b32_sdwa v15, v23, v15 dst_sel:DWORD dst_unused:UNUSED_PAD src0_sel:DWORD src1_sel:BYTE_3
	v_sub_u32_e32 v22, 29, v22
	v_and_b32_e32 v15, 7, v15
	v_cmp_eq_u16_e32 vcc, 0, v20
	v_cndmask_b32_e32 v10, v10, v15, vcc
	v_cndmask_b32_e32 v15, v21, v22, vcc
	v_mov_b32_e32 v20, 0x3b800000
	v_lshlrev_b32_e32 v10, 20, v10
	v_lshl_add_u32 v15, v15, 23, v20
	v_or3_b32 v10, v14, v15, v10
.LBB21_828:
	s_or_b64 exec, exec, s[6:7]
	s_movk_i32 s4, 0x7f
	v_cmp_gt_i16_sdwa s[6:7], v11, s4 src0_sel:BYTE_3 src1_sel:DWORD
	s_mov_b64 s[4:5], 0
                                        ; implicit-def: $sgpr10
	s_and_saveexec_b64 s[8:9], s[6:7]
	s_xor_b64 s[6:7], exec, s[8:9]
	s_cbranch_execnz .LBB21_2877
; %bb.829:
	s_or_saveexec_b64 s[6:7], s[6:7]
	v_mov_b32_e32 v14, s10
	s_xor_b64 exec, exec, s[6:7]
	s_cbranch_execnz .LBB21_2880
.LBB21_830:
	s_or_b64 exec, exec, s[6:7]
	s_and_saveexec_b64 s[6:7], s[4:5]
	s_cbranch_execz .LBB21_832
.LBB21_831:
	v_bfe_u32 v14, v11, 24, 3
	v_ffbh_u32_e32 v22, v14
	v_min_u32_e32 v22, 32, v22
	v_lshrrev_b32_e32 v20, 27, v11
	v_subrev_u32_e32 v23, 28, v22
	v_and_b32_e32 v15, 0x80000000, v11
	v_and_b32_e32 v20, 15, v20
	v_bfe_u32 v21, v11, 27, 4
	v_lshlrev_b32_sdwa v11, v23, v11 dst_sel:DWORD dst_unused:UNUSED_PAD src0_sel:DWORD src1_sel:BYTE_3
	v_sub_u32_e32 v22, 29, v22
	v_and_b32_e32 v11, 7, v11
	v_cmp_eq_u16_e32 vcc, 0, v20
	v_cndmask_b32_e32 v11, v14, v11, vcc
	v_cndmask_b32_e32 v14, v21, v22, vcc
	v_mov_b32_e32 v20, 0x3b800000
	v_lshlrev_b32_e32 v11, 20, v11
	v_lshl_add_u32 v14, v14, 23, v20
	v_or3_b32 v14, v15, v14, v11
.LBB21_832:
	s_or_b64 exec, exec, s[6:7]
	s_nop 0
	v_mfma_f32_16x16x4f32 a[0:3], v10, v14, a[0:3]
	s_movk_i32 s4, 0x7f
	v_cmp_gt_i16_sdwa s[6:7], v16, s4 src0_sel:BYTE_0 src1_sel:DWORD
	s_mov_b64 s[4:5], 0
                                        ; implicit-def: $sgpr10
	s_and_saveexec_b64 s[8:9], s[6:7]
	s_xor_b64 s[6:7], exec, s[8:9]
	s_cbranch_execnz .LBB21_2881
; %bb.833:
	s_or_saveexec_b64 s[6:7], s[6:7]
	v_mov_b32_e32 v10, s10
	s_xor_b64 exec, exec, s[6:7]
	s_cbranch_execnz .LBB21_2884
.LBB21_834:
	s_or_b64 exec, exec, s[6:7]
	s_and_saveexec_b64 s[6:7], s[4:5]
	s_cbranch_execz .LBB21_836
.LBB21_835:
	v_and_b32_e32 v10, 7, v16
	v_ffbh_u32_e32 v14, v10
	v_min_u32_e32 v14, 32, v14
	v_lshrrev_b16_e32 v11, 3, v16
	v_subrev_u32_e32 v15, 28, v14
	v_and_b32_e32 v11, 15, v11
	v_lshlrev_b32_e32 v15, v15, v16
	v_sub_u32_e32 v14, 29, v14
	v_and_b32_e32 v15, 7, v15
	v_cmp_eq_u16_e32 vcc, 0, v11
	v_cndmask_b32_e32 v10, v10, v15, vcc
	v_cndmask_b32_e32 v11, v11, v14, vcc
	v_lshlrev_b32_e32 v14, 24, v16
	v_mov_b32_e32 v15, 0x3b800000
	v_lshlrev_b32_e32 v10, 20, v10
	v_and_b32_e32 v14, 0x80000000, v14
	v_lshl_add_u32 v11, v11, 23, v15
	v_or3_b32 v10, v14, v11, v10
.LBB21_836:
	s_or_b64 exec, exec, s[6:7]
	s_movk_i32 s4, 0x7f
	v_cmp_gt_i16_sdwa s[6:7], v12, s4 src0_sel:BYTE_0 src1_sel:DWORD
	s_mov_b64 s[4:5], 0
                                        ; implicit-def: $sgpr10
	s_and_saveexec_b64 s[8:9], s[6:7]
	s_xor_b64 s[6:7], exec, s[8:9]
	s_cbranch_execnz .LBB21_2885
; %bb.837:
	s_or_saveexec_b64 s[6:7], s[6:7]
	v_mov_b32_e32 v11, s10
	s_xor_b64 exec, exec, s[6:7]
	s_cbranch_execnz .LBB21_2888
.LBB21_838:
	s_or_b64 exec, exec, s[6:7]
	s_and_saveexec_b64 s[6:7], s[4:5]
	s_cbranch_execz .LBB21_840
.LBB21_839:
	v_and_b32_e32 v11, 7, v12
	v_ffbh_u32_e32 v15, v11
	v_min_u32_e32 v15, 32, v15
	v_lshrrev_b16_e32 v14, 3, v12
	v_subrev_u32_e32 v20, 28, v15
	v_and_b32_e32 v14, 15, v14
	v_lshlrev_b32_e32 v20, v20, v12
	v_sub_u32_e32 v15, 29, v15
	v_and_b32_e32 v20, 7, v20
	v_cmp_eq_u16_e32 vcc, 0, v14
	v_cndmask_b32_e32 v11, v11, v20, vcc
	v_cndmask_b32_e32 v14, v14, v15, vcc
	v_lshlrev_b32_e32 v15, 24, v12
	v_mov_b32_e32 v20, 0x3b800000
	v_lshlrev_b32_e32 v11, 20, v11
	v_and_b32_e32 v15, 0x80000000, v15
	v_lshl_add_u32 v14, v14, 23, v20
	v_or3_b32 v11, v15, v14, v11
.LBB21_840:
	s_or_b64 exec, exec, s[6:7]
	s_nop 0
	v_mfma_f32_16x16x4f32 a[0:3], v10, v11, a[0:3]
	v_lshrrev_b32_e32 v11, 8, v16
	s_movk_i32 s4, 0x7f
	v_cmp_gt_i16_sdwa s[6:7], v11, s4 src0_sel:BYTE_0 src1_sel:DWORD
	s_mov_b64 s[4:5], 0
                                        ; implicit-def: $sgpr10
	s_and_saveexec_b64 s[8:9], s[6:7]
	s_xor_b64 s[6:7], exec, s[8:9]
	s_cbranch_execnz .LBB21_2889
; %bb.841:
	s_or_saveexec_b64 s[6:7], s[6:7]
	v_mov_b32_e32 v10, s10
	s_xor_b64 exec, exec, s[6:7]
	s_cbranch_execnz .LBB21_2892
.LBB21_842:
	s_or_b64 exec, exec, s[6:7]
	s_and_saveexec_b64 s[6:7], s[4:5]
	s_cbranch_execz .LBB21_844
.LBB21_843:
	v_bfe_u32 v10, v16, 8, 3
	v_ffbh_u32_e32 v15, v10
	v_min_u32_e32 v15, 32, v15
	v_lshrrev_b16_e32 v14, 3, v11
	v_subrev_u32_e32 v20, 28, v15
	v_and_b32_e32 v14, 15, v14
	v_lshlrev_b32_e32 v11, v20, v11
	v_sub_u32_e32 v15, 29, v15
	v_and_b32_e32 v11, 7, v11
	v_cmp_eq_u16_e32 vcc, 0, v14
	v_cndmask_b32_e32 v10, v10, v11, vcc
	v_cndmask_b32_e32 v11, v14, v15, vcc
	v_lshlrev_b32_e32 v14, 16, v16
	v_mov_b32_e32 v15, 0x3b800000
	v_lshlrev_b32_e32 v10, 20, v10
	v_and_b32_e32 v14, 0x80000000, v14
	v_lshl_add_u32 v11, v11, 23, v15
	v_or3_b32 v10, v14, v11, v10
.LBB21_844:
	s_or_b64 exec, exec, s[6:7]
	v_lshrrev_b32_e32 v11, 8, v12
	s_movk_i32 s4, 0x7f
	v_cmp_gt_i16_sdwa s[6:7], v11, s4 src0_sel:BYTE_0 src1_sel:DWORD
	s_mov_b64 s[4:5], 0
                                        ; implicit-def: $sgpr10
	s_and_saveexec_b64 s[8:9], s[6:7]
	s_xor_b64 s[6:7], exec, s[8:9]
	s_cbranch_execnz .LBB21_2893
; %bb.845:
	s_or_saveexec_b64 s[6:7], s[6:7]
	v_mov_b32_e32 v14, s10
	s_xor_b64 exec, exec, s[6:7]
	s_cbranch_execnz .LBB21_2896
.LBB21_846:
	s_or_b64 exec, exec, s[6:7]
	s_and_saveexec_b64 s[6:7], s[4:5]
	s_cbranch_execz .LBB21_848
.LBB21_847:
	v_bfe_u32 v14, v12, 8, 3
	v_ffbh_u32_e32 v20, v14
	v_min_u32_e32 v20, 32, v20
	v_lshrrev_b16_e32 v15, 3, v11
	v_subrev_u32_e32 v21, 28, v20
	v_and_b32_e32 v15, 15, v15
	v_lshlrev_b32_e32 v11, v21, v11
	v_sub_u32_e32 v20, 29, v20
	v_and_b32_e32 v11, 7, v11
	v_cmp_eq_u16_e32 vcc, 0, v15
	v_cndmask_b32_e32 v11, v14, v11, vcc
	v_cndmask_b32_e32 v14, v15, v20, vcc
	v_lshlrev_b32_e32 v15, 16, v12
	v_mov_b32_e32 v20, 0x3b800000
	v_lshlrev_b32_e32 v11, 20, v11
	v_and_b32_e32 v15, 0x80000000, v15
	v_lshl_add_u32 v14, v14, 23, v20
	v_or3_b32 v14, v15, v14, v11
.LBB21_848:
	s_or_b64 exec, exec, s[6:7]
	s_nop 0
	v_mfma_f32_16x16x4f32 a[0:3], v10, v14, a[0:3]
	s_movk_i32 s4, 0xff
	v_and_b32_sdwa v11, v16, s4 dst_sel:DWORD dst_unused:UNUSED_PAD src0_sel:WORD_1 src1_sel:DWORD
	s_movk_i32 s4, 0x7f
	v_cmp_lt_i16_e32 vcc, s4, v11
	s_mov_b64 s[4:5], 0
                                        ; implicit-def: $sgpr10
	s_and_saveexec_b64 s[6:7], vcc
	s_xor_b64 s[6:7], exec, s[6:7]
	s_cbranch_execnz .LBB21_2897
; %bb.849:
	s_or_saveexec_b64 s[6:7], s[6:7]
	v_mov_b32_e32 v10, s10
	s_xor_b64 exec, exec, s[6:7]
	s_cbranch_execnz .LBB21_2900
.LBB21_850:
	s_or_b64 exec, exec, s[6:7]
	s_and_saveexec_b64 s[6:7], s[4:5]
	s_cbranch_execz .LBB21_852
.LBB21_851:
	v_bfe_u32 v10, v16, 16, 3
	v_ffbh_u32_e32 v15, v10
	v_min_u32_e32 v15, 32, v15
	v_lshrrev_b32_e32 v11, 19, v16
	v_subrev_u32_e32 v20, 28, v15
	v_and_b32_e32 v11, 15, v11
	v_lshlrev_b32_sdwa v20, v20, v16 dst_sel:DWORD dst_unused:UNUSED_PAD src0_sel:DWORD src1_sel:WORD_1
	v_bfe_u32 v14, v16, 19, 4
	v_sub_u32_e32 v15, 29, v15
	v_and_b32_e32 v20, 7, v20
	v_cmp_eq_u16_e32 vcc, 0, v11
	v_cndmask_b32_e32 v10, v10, v20, vcc
	v_cndmask_b32_e32 v11, v14, v15, vcc
	v_lshlrev_b32_e32 v14, 8, v16
	v_mov_b32_e32 v15, 0x3b800000
	v_lshlrev_b32_e32 v10, 20, v10
	v_and_b32_e32 v14, 0x80000000, v14
	v_lshl_add_u32 v11, v11, 23, v15
	v_or3_b32 v10, v14, v11, v10
.LBB21_852:
	s_or_b64 exec, exec, s[6:7]
	s_movk_i32 s4, 0xff
	v_and_b32_sdwa v11, v12, s4 dst_sel:DWORD dst_unused:UNUSED_PAD src0_sel:WORD_1 src1_sel:DWORD
	s_movk_i32 s4, 0x7f
	v_cmp_lt_i16_e32 vcc, s4, v11
	s_mov_b64 s[4:5], 0
                                        ; implicit-def: $sgpr10
	s_and_saveexec_b64 s[6:7], vcc
	s_xor_b64 s[6:7], exec, s[6:7]
	s_cbranch_execnz .LBB21_2901
; %bb.853:
	s_or_saveexec_b64 s[6:7], s[6:7]
	v_mov_b32_e32 v14, s10
	s_xor_b64 exec, exec, s[6:7]
	s_cbranch_execnz .LBB21_2904
.LBB21_854:
	s_or_b64 exec, exec, s[6:7]
	s_and_saveexec_b64 s[6:7], s[4:5]
	s_cbranch_execz .LBB21_856
.LBB21_855:
	v_bfe_u32 v11, v12, 16, 3
	v_ffbh_u32_e32 v20, v11
	v_min_u32_e32 v20, 32, v20
	v_lshrrev_b32_e32 v14, 19, v12
	v_subrev_u32_e32 v21, 28, v20
	v_and_b32_e32 v14, 15, v14
	v_lshlrev_b32_sdwa v21, v21, v12 dst_sel:DWORD dst_unused:UNUSED_PAD src0_sel:DWORD src1_sel:WORD_1
	v_bfe_u32 v15, v12, 19, 4
	v_sub_u32_e32 v20, 29, v20
	v_and_b32_e32 v21, 7, v21
	v_cmp_eq_u16_e32 vcc, 0, v14
	v_cndmask_b32_e32 v11, v11, v21, vcc
	v_cndmask_b32_e32 v14, v15, v20, vcc
	v_lshlrev_b32_e32 v15, 8, v12
	v_mov_b32_e32 v20, 0x3b800000
	v_lshlrev_b32_e32 v11, 20, v11
	v_and_b32_e32 v15, 0x80000000, v15
	v_lshl_add_u32 v14, v14, 23, v20
	v_or3_b32 v14, v15, v14, v11
.LBB21_856:
	s_or_b64 exec, exec, s[6:7]
	s_nop 0
	v_mfma_f32_16x16x4f32 a[0:3], v10, v14, a[0:3]
	s_movk_i32 s4, 0x7f
	v_cmp_gt_i16_sdwa s[6:7], v16, s4 src0_sel:BYTE_3 src1_sel:DWORD
	s_mov_b64 s[4:5], 0
                                        ; implicit-def: $sgpr10
	s_and_saveexec_b64 s[8:9], s[6:7]
	s_xor_b64 s[6:7], exec, s[8:9]
	s_cbranch_execnz .LBB21_2905
; %bb.857:
	s_or_saveexec_b64 s[6:7], s[6:7]
	v_mov_b32_e32 v10, s10
	s_xor_b64 exec, exec, s[6:7]
	s_cbranch_execnz .LBB21_2908
.LBB21_858:
	s_or_b64 exec, exec, s[6:7]
	s_and_saveexec_b64 s[6:7], s[4:5]
	s_cbranch_execz .LBB21_860
.LBB21_859:
	v_bfe_u32 v10, v16, 24, 3
	v_ffbh_u32_e32 v20, v10
	v_min_u32_e32 v20, 32, v20
	v_lshrrev_b32_e32 v14, 27, v16
	v_subrev_u32_e32 v21, 28, v20
	v_and_b32_e32 v11, 0x80000000, v16
	v_and_b32_e32 v14, 15, v14
	v_bfe_u32 v15, v16, 27, 4
	v_lshlrev_b32_sdwa v16, v21, v16 dst_sel:DWORD dst_unused:UNUSED_PAD src0_sel:DWORD src1_sel:BYTE_3
	v_sub_u32_e32 v20, 29, v20
	v_and_b32_e32 v16, 7, v16
	v_cmp_eq_u16_e32 vcc, 0, v14
	v_cndmask_b32_e32 v10, v10, v16, vcc
	v_cndmask_b32_e32 v14, v15, v20, vcc
	v_mov_b32_e32 v15, 0x3b800000
	v_lshlrev_b32_e32 v10, 20, v10
	v_lshl_add_u32 v14, v14, 23, v15
	v_or3_b32 v10, v11, v14, v10
.LBB21_860:
	s_or_b64 exec, exec, s[6:7]
	s_movk_i32 s4, 0x7f
	v_cmp_gt_i16_sdwa s[6:7], v12, s4 src0_sel:BYTE_3 src1_sel:DWORD
	s_mov_b64 s[4:5], 0
                                        ; implicit-def: $sgpr10
	s_and_saveexec_b64 s[8:9], s[6:7]
	s_xor_b64 s[6:7], exec, s[8:9]
	s_cbranch_execnz .LBB21_2909
; %bb.861:
	s_or_saveexec_b64 s[6:7], s[6:7]
	v_mov_b32_e32 v11, s10
	s_xor_b64 exec, exec, s[6:7]
	s_cbranch_execnz .LBB21_2912
.LBB21_862:
	s_or_b64 exec, exec, s[6:7]
	s_and_saveexec_b64 s[6:7], s[4:5]
	s_cbranch_execz .LBB21_864
.LBB21_863:
	v_bfe_u32 v11, v12, 24, 3
	v_ffbh_u32_e32 v20, v11
	v_min_u32_e32 v20, 32, v20
	v_lshrrev_b32_e32 v15, 27, v12
	v_subrev_u32_e32 v21, 28, v20
	v_and_b32_e32 v14, 0x80000000, v12
	v_and_b32_e32 v15, 15, v15
	v_bfe_u32 v16, v12, 27, 4
	v_lshlrev_b32_sdwa v12, v21, v12 dst_sel:DWORD dst_unused:UNUSED_PAD src0_sel:DWORD src1_sel:BYTE_3
	v_sub_u32_e32 v20, 29, v20
	v_and_b32_e32 v12, 7, v12
	v_cmp_eq_u16_e32 vcc, 0, v15
	v_cndmask_b32_e32 v11, v11, v12, vcc
	v_cndmask_b32_e32 v12, v16, v20, vcc
	v_mov_b32_e32 v15, 0x3b800000
	v_lshlrev_b32_e32 v11, 20, v11
	v_lshl_add_u32 v12, v12, 23, v15
	v_or3_b32 v11, v14, v12, v11
.LBB21_864:
	s_or_b64 exec, exec, s[6:7]
	s_nop 0
	v_mfma_f32_16x16x4f32 a[0:3], v10, v11, a[0:3]
	s_movk_i32 s4, 0x7f
	v_cmp_gt_i16_sdwa s[6:7], v17, s4 src0_sel:BYTE_0 src1_sel:DWORD
	s_mov_b64 s[4:5], 0
                                        ; implicit-def: $sgpr10
	s_and_saveexec_b64 s[8:9], s[6:7]
	s_xor_b64 s[6:7], exec, s[8:9]
	s_cbranch_execnz .LBB21_2913
; %bb.865:
	s_or_saveexec_b64 s[6:7], s[6:7]
	v_mov_b32_e32 v10, s10
	s_xor_b64 exec, exec, s[6:7]
	s_cbranch_execnz .LBB21_2916
.LBB21_866:
	s_or_b64 exec, exec, s[6:7]
	s_and_saveexec_b64 s[6:7], s[4:5]
	s_cbranch_execz .LBB21_868
.LBB21_867:
	v_and_b32_e32 v10, 7, v17
	v_ffbh_u32_e32 v12, v10
	v_min_u32_e32 v12, 32, v12
	v_lshrrev_b16_e32 v11, 3, v17
	v_subrev_u32_e32 v14, 28, v12
	v_and_b32_e32 v11, 15, v11
	v_lshlrev_b32_e32 v14, v14, v17
	v_sub_u32_e32 v12, 29, v12
	v_and_b32_e32 v14, 7, v14
	v_cmp_eq_u16_e32 vcc, 0, v11
	v_cndmask_b32_e32 v10, v10, v14, vcc
	v_cndmask_b32_e32 v11, v11, v12, vcc
	v_lshlrev_b32_e32 v12, 24, v17
	v_mov_b32_e32 v14, 0x3b800000
	v_lshlrev_b32_e32 v10, 20, v10
	v_and_b32_e32 v12, 0x80000000, v12
	v_lshl_add_u32 v11, v11, 23, v14
	v_or3_b32 v10, v12, v11, v10
.LBB21_868:
	s_or_b64 exec, exec, s[6:7]
	s_movk_i32 s4, 0x7f
	v_cmp_gt_i16_sdwa s[6:7], v13, s4 src0_sel:BYTE_0 src1_sel:DWORD
	s_mov_b64 s[4:5], 0
                                        ; implicit-def: $sgpr10
	s_and_saveexec_b64 s[8:9], s[6:7]
	s_xor_b64 s[6:7], exec, s[8:9]
	s_cbranch_execnz .LBB21_2917
; %bb.869:
	s_or_saveexec_b64 s[6:7], s[6:7]
	v_mov_b32_e32 v11, s10
	s_xor_b64 exec, exec, s[6:7]
	s_cbranch_execnz .LBB21_2920
.LBB21_870:
	s_or_b64 exec, exec, s[6:7]
	s_and_saveexec_b64 s[6:7], s[4:5]
	s_cbranch_execz .LBB21_872
.LBB21_871:
	v_and_b32_e32 v11, 7, v13
	v_ffbh_u32_e32 v14, v11
	v_min_u32_e32 v14, 32, v14
	v_lshrrev_b16_e32 v12, 3, v13
	v_subrev_u32_e32 v15, 28, v14
	v_and_b32_e32 v12, 15, v12
	v_lshlrev_b32_e32 v15, v15, v13
	v_sub_u32_e32 v14, 29, v14
	v_and_b32_e32 v15, 7, v15
	v_cmp_eq_u16_e32 vcc, 0, v12
	v_cndmask_b32_e32 v11, v11, v15, vcc
	v_cndmask_b32_e32 v12, v12, v14, vcc
	v_lshlrev_b32_e32 v14, 24, v13
	v_mov_b32_e32 v15, 0x3b800000
	v_lshlrev_b32_e32 v11, 20, v11
	v_and_b32_e32 v14, 0x80000000, v14
	v_lshl_add_u32 v12, v12, 23, v15
	v_or3_b32 v11, v14, v12, v11
.LBB21_872:
	s_or_b64 exec, exec, s[6:7]
	s_nop 0
	v_mfma_f32_16x16x4f32 a[0:3], v10, v11, a[0:3]
	v_lshrrev_b32_e32 v11, 8, v17
	s_movk_i32 s4, 0x7f
	v_cmp_gt_i16_sdwa s[6:7], v11, s4 src0_sel:BYTE_0 src1_sel:DWORD
	s_mov_b64 s[4:5], 0
                                        ; implicit-def: $sgpr10
	s_and_saveexec_b64 s[8:9], s[6:7]
	s_xor_b64 s[6:7], exec, s[8:9]
	s_cbranch_execnz .LBB21_2921
; %bb.873:
	s_or_saveexec_b64 s[6:7], s[6:7]
	v_mov_b32_e32 v10, s10
	s_xor_b64 exec, exec, s[6:7]
	s_cbranch_execnz .LBB21_2924
.LBB21_874:
	s_or_b64 exec, exec, s[6:7]
	s_and_saveexec_b64 s[6:7], s[4:5]
	s_cbranch_execz .LBB21_876
.LBB21_875:
	v_bfe_u32 v10, v17, 8, 3
	v_ffbh_u32_e32 v14, v10
	v_min_u32_e32 v14, 32, v14
	v_lshrrev_b16_e32 v12, 3, v11
	v_subrev_u32_e32 v15, 28, v14
	v_and_b32_e32 v12, 15, v12
	v_lshlrev_b32_e32 v11, v15, v11
	v_sub_u32_e32 v14, 29, v14
	v_and_b32_e32 v11, 7, v11
	v_cmp_eq_u16_e32 vcc, 0, v12
	v_cndmask_b32_e32 v10, v10, v11, vcc
	v_cndmask_b32_e32 v11, v12, v14, vcc
	v_lshlrev_b32_e32 v12, 16, v17
	v_mov_b32_e32 v14, 0x3b800000
	v_lshlrev_b32_e32 v10, 20, v10
	v_and_b32_e32 v12, 0x80000000, v12
	v_lshl_add_u32 v11, v11, 23, v14
	v_or3_b32 v10, v12, v11, v10
.LBB21_876:
	s_or_b64 exec, exec, s[6:7]
	v_lshrrev_b32_e32 v11, 8, v13
	s_movk_i32 s4, 0x7f
	v_cmp_gt_i16_sdwa s[6:7], v11, s4 src0_sel:BYTE_0 src1_sel:DWORD
	s_mov_b64 s[4:5], 0
                                        ; implicit-def: $sgpr10
	s_and_saveexec_b64 s[8:9], s[6:7]
	s_xor_b64 s[6:7], exec, s[8:9]
	s_cbranch_execnz .LBB21_2925
; %bb.877:
	s_or_saveexec_b64 s[6:7], s[6:7]
	v_mov_b32_e32 v12, s10
	s_xor_b64 exec, exec, s[6:7]
	s_cbranch_execnz .LBB21_2928
.LBB21_878:
	s_or_b64 exec, exec, s[6:7]
	s_and_saveexec_b64 s[6:7], s[4:5]
	s_cbranch_execz .LBB21_880
.LBB21_879:
	v_bfe_u32 v12, v13, 8, 3
	v_ffbh_u32_e32 v15, v12
	v_min_u32_e32 v15, 32, v15
	v_lshrrev_b16_e32 v14, 3, v11
	v_subrev_u32_e32 v16, 28, v15
	v_and_b32_e32 v14, 15, v14
	v_lshlrev_b32_e32 v11, v16, v11
	v_sub_u32_e32 v15, 29, v15
	v_and_b32_e32 v11, 7, v11
	v_cmp_eq_u16_e32 vcc, 0, v14
	v_cndmask_b32_e32 v11, v12, v11, vcc
	v_cndmask_b32_e32 v12, v14, v15, vcc
	v_lshlrev_b32_e32 v14, 16, v13
	v_mov_b32_e32 v15, 0x3b800000
	v_lshlrev_b32_e32 v11, 20, v11
	v_and_b32_e32 v14, 0x80000000, v14
	v_lshl_add_u32 v12, v12, 23, v15
	v_or3_b32 v12, v14, v12, v11
.LBB21_880:
	s_or_b64 exec, exec, s[6:7]
	s_nop 0
	v_mfma_f32_16x16x4f32 a[0:3], v10, v12, a[0:3]
	s_movk_i32 s4, 0xff
	v_and_b32_sdwa v11, v17, s4 dst_sel:DWORD dst_unused:UNUSED_PAD src0_sel:WORD_1 src1_sel:DWORD
	s_movk_i32 s4, 0x7f
	v_cmp_lt_i16_e32 vcc, s4, v11
	s_mov_b64 s[4:5], 0
                                        ; implicit-def: $sgpr10
	s_and_saveexec_b64 s[6:7], vcc
	s_xor_b64 s[6:7], exec, s[6:7]
	s_cbranch_execnz .LBB21_2929
; %bb.881:
	s_or_saveexec_b64 s[6:7], s[6:7]
	v_mov_b32_e32 v10, s10
	s_xor_b64 exec, exec, s[6:7]
	s_cbranch_execnz .LBB21_2932
.LBB21_882:
	s_or_b64 exec, exec, s[6:7]
	s_and_saveexec_b64 s[6:7], s[4:5]
	s_cbranch_execz .LBB21_884
.LBB21_883:
	v_bfe_u32 v10, v17, 16, 3
	v_ffbh_u32_e32 v14, v10
	v_min_u32_e32 v14, 32, v14
	v_lshrrev_b32_e32 v11, 19, v17
	v_subrev_u32_e32 v15, 28, v14
	v_and_b32_e32 v11, 15, v11
	v_lshlrev_b32_sdwa v15, v15, v17 dst_sel:DWORD dst_unused:UNUSED_PAD src0_sel:DWORD src1_sel:WORD_1
	v_bfe_u32 v12, v17, 19, 4
	v_sub_u32_e32 v14, 29, v14
	v_and_b32_e32 v15, 7, v15
	v_cmp_eq_u16_e32 vcc, 0, v11
	v_cndmask_b32_e32 v10, v10, v15, vcc
	v_cndmask_b32_e32 v11, v12, v14, vcc
	v_lshlrev_b32_e32 v12, 8, v17
	v_mov_b32_e32 v14, 0x3b800000
	v_lshlrev_b32_e32 v10, 20, v10
	v_and_b32_e32 v12, 0x80000000, v12
	v_lshl_add_u32 v11, v11, 23, v14
	v_or3_b32 v10, v12, v11, v10
.LBB21_884:
	s_or_b64 exec, exec, s[6:7]
	s_movk_i32 s4, 0xff
	v_and_b32_sdwa v11, v13, s4 dst_sel:DWORD dst_unused:UNUSED_PAD src0_sel:WORD_1 src1_sel:DWORD
	s_movk_i32 s4, 0x7f
	v_cmp_lt_i16_e32 vcc, s4, v11
	s_mov_b64 s[4:5], 0
                                        ; implicit-def: $sgpr10
	s_and_saveexec_b64 s[6:7], vcc
	s_xor_b64 s[6:7], exec, s[6:7]
	s_cbranch_execnz .LBB21_2933
; %bb.885:
	s_or_saveexec_b64 s[6:7], s[6:7]
	v_mov_b32_e32 v12, s10
	s_xor_b64 exec, exec, s[6:7]
	s_cbranch_execnz .LBB21_2936
.LBB21_886:
	s_or_b64 exec, exec, s[6:7]
	s_and_saveexec_b64 s[6:7], s[4:5]
	s_cbranch_execz .LBB21_888
.LBB21_887:
	v_bfe_u32 v11, v13, 16, 3
	v_ffbh_u32_e32 v15, v11
	v_min_u32_e32 v15, 32, v15
	v_lshrrev_b32_e32 v12, 19, v13
	v_subrev_u32_e32 v16, 28, v15
	v_and_b32_e32 v12, 15, v12
	v_lshlrev_b32_sdwa v16, v16, v13 dst_sel:DWORD dst_unused:UNUSED_PAD src0_sel:DWORD src1_sel:WORD_1
	v_bfe_u32 v14, v13, 19, 4
	v_sub_u32_e32 v15, 29, v15
	v_and_b32_e32 v16, 7, v16
	v_cmp_eq_u16_e32 vcc, 0, v12
	v_cndmask_b32_e32 v11, v11, v16, vcc
	v_cndmask_b32_e32 v12, v14, v15, vcc
	v_lshlrev_b32_e32 v14, 8, v13
	v_mov_b32_e32 v15, 0x3b800000
	v_lshlrev_b32_e32 v11, 20, v11
	v_and_b32_e32 v14, 0x80000000, v14
	v_lshl_add_u32 v12, v12, 23, v15
	v_or3_b32 v12, v14, v12, v11
.LBB21_888:
	s_or_b64 exec, exec, s[6:7]
	s_nop 0
	v_mfma_f32_16x16x4f32 a[0:3], v10, v12, a[0:3]
	s_movk_i32 s4, 0x7f
	v_cmp_gt_i16_sdwa s[6:7], v17, s4 src0_sel:BYTE_3 src1_sel:DWORD
	s_mov_b64 s[4:5], 0
                                        ; implicit-def: $sgpr10
	s_and_saveexec_b64 s[8:9], s[6:7]
	s_xor_b64 s[6:7], exec, s[8:9]
	s_cbranch_execnz .LBB21_2937
; %bb.889:
	s_or_saveexec_b64 s[6:7], s[6:7]
	v_mov_b32_e32 v10, s10
	s_xor_b64 exec, exec, s[6:7]
	s_cbranch_execnz .LBB21_2940
.LBB21_890:
	s_or_b64 exec, exec, s[6:7]
	s_and_saveexec_b64 s[6:7], s[4:5]
	s_cbranch_execz .LBB21_892
.LBB21_891:
	v_bfe_u32 v10, v17, 24, 3
	v_ffbh_u32_e32 v15, v10
	v_min_u32_e32 v15, 32, v15
	v_lshrrev_b32_e32 v12, 27, v17
	v_subrev_u32_e32 v16, 28, v15
	v_and_b32_e32 v12, 15, v12
	v_lshlrev_b32_sdwa v16, v16, v17 dst_sel:DWORD dst_unused:UNUSED_PAD src0_sel:DWORD src1_sel:BYTE_3
	v_bfe_u32 v14, v17, 27, 4
	v_sub_u32_e32 v15, 29, v15
	v_and_b32_e32 v16, 7, v16
	v_cmp_eq_u16_e32 vcc, 0, v12
	v_cndmask_b32_e32 v10, v10, v16, vcc
	v_cndmask_b32_e32 v12, v14, v15, vcc
	v_mov_b32_e32 v14, 0x3b800000
	v_and_b32_e32 v11, 0x80000000, v17
	v_lshlrev_b32_e32 v10, 20, v10
	v_lshl_add_u32 v12, v12, 23, v14
	v_or3_b32 v10, v11, v12, v10
.LBB21_892:
	s_or_b64 exec, exec, s[6:7]
	s_movk_i32 s4, 0x7f
	v_cmp_gt_i16_sdwa s[6:7], v13, s4 src0_sel:BYTE_3 src1_sel:DWORD
	s_mov_b64 s[4:5], 0
                                        ; implicit-def: $sgpr10
	s_and_saveexec_b64 s[8:9], s[6:7]
	s_xor_b64 s[6:7], exec, s[8:9]
	s_cbranch_execnz .LBB21_2941
; %bb.893:
	s_or_saveexec_b64 s[6:7], s[6:7]
	v_mov_b32_e32 v11, s10
	s_xor_b64 exec, exec, s[6:7]
	s_cbranch_execnz .LBB21_2944
.LBB21_894:
	s_or_b64 exec, exec, s[6:7]
	s_and_saveexec_b64 s[6:7], s[4:5]
	s_cbranch_execz .LBB21_896
.LBB21_895:
	v_bfe_u32 v11, v13, 24, 3
	v_ffbh_u32_e32 v16, v11
	v_min_u32_e32 v16, 32, v16
	v_lshrrev_b32_e32 v14, 27, v13
	v_subrev_u32_e32 v17, 28, v16
	v_and_b32_e32 v12, 0x80000000, v13
	v_and_b32_e32 v14, 15, v14
	v_bfe_u32 v15, v13, 27, 4
	v_lshlrev_b32_sdwa v13, v17, v13 dst_sel:DWORD dst_unused:UNUSED_PAD src0_sel:DWORD src1_sel:BYTE_3
	v_sub_u32_e32 v16, 29, v16
	v_and_b32_e32 v13, 7, v13
	v_cmp_eq_u16_e32 vcc, 0, v14
	v_cndmask_b32_e32 v11, v11, v13, vcc
	v_cndmask_b32_e32 v13, v15, v16, vcc
	v_mov_b32_e32 v14, 0x3b800000
	v_lshlrev_b32_e32 v11, 20, v11
	v_lshl_add_u32 v13, v13, 23, v14
	v_or3_b32 v11, v12, v13, v11
.LBB21_896:
	s_or_b64 exec, exec, s[6:7]
	s_nop 0
	v_mfma_f32_16x16x4f32 a[0:3], v10, v11, a[0:3]
	s_movk_i32 s4, 0x7f
	v_cmp_gt_i16_sdwa s[6:7], v6, s4 src0_sel:BYTE_0 src1_sel:DWORD
	s_mov_b64 s[4:5], 0
                                        ; implicit-def: $sgpr10
	s_and_saveexec_b64 s[8:9], s[6:7]
	s_xor_b64 s[6:7], exec, s[8:9]
	s_cbranch_execnz .LBB21_2945
; %bb.897:
	s_or_saveexec_b64 s[6:7], s[6:7]
	v_mov_b32_e32 v10, s10
	s_xor_b64 exec, exec, s[6:7]
	s_cbranch_execnz .LBB21_2948
.LBB21_898:
	s_or_b64 exec, exec, s[6:7]
	s_and_saveexec_b64 s[6:7], s[4:5]
	s_cbranch_execz .LBB21_900
.LBB21_899:
	v_and_b32_e32 v10, 7, v6
	v_ffbh_u32_e32 v12, v10
	v_min_u32_e32 v12, 32, v12
	v_lshrrev_b16_e32 v11, 3, v6
	v_subrev_u32_e32 v13, 28, v12
	v_and_b32_e32 v11, 15, v11
	v_lshlrev_b32_e32 v13, v13, v6
	v_sub_u32_e32 v12, 29, v12
	v_and_b32_e32 v13, 7, v13
	v_cmp_eq_u16_e32 vcc, 0, v11
	v_cndmask_b32_e32 v10, v10, v13, vcc
	v_cndmask_b32_e32 v11, v11, v12, vcc
	v_lshlrev_b32_e32 v12, 24, v6
	v_mov_b32_e32 v13, 0x3b800000
	v_lshlrev_b32_e32 v10, 20, v10
	v_and_b32_e32 v12, 0x80000000, v12
	v_lshl_add_u32 v11, v11, 23, v13
	v_or3_b32 v10, v12, v11, v10
.LBB21_900:
	s_or_b64 exec, exec, s[6:7]
	s_movk_i32 s4, 0x7f
	v_cmp_gt_i16_sdwa s[6:7], v2, s4 src0_sel:BYTE_0 src1_sel:DWORD
	s_mov_b64 s[4:5], 0
                                        ; implicit-def: $sgpr10
	s_and_saveexec_b64 s[8:9], s[6:7]
	s_xor_b64 s[6:7], exec, s[8:9]
	s_cbranch_execnz .LBB21_2949
; %bb.901:
	s_or_saveexec_b64 s[6:7], s[6:7]
	v_mov_b32_e32 v11, s10
	s_xor_b64 exec, exec, s[6:7]
	s_cbranch_execnz .LBB21_2952
.LBB21_902:
	s_or_b64 exec, exec, s[6:7]
	s_and_saveexec_b64 s[6:7], s[4:5]
	s_cbranch_execz .LBB21_904
.LBB21_903:
	v_and_b32_e32 v11, 7, v2
	v_ffbh_u32_e32 v13, v11
	v_min_u32_e32 v13, 32, v13
	v_lshrrev_b16_e32 v12, 3, v2
	v_subrev_u32_e32 v14, 28, v13
	v_and_b32_e32 v12, 15, v12
	v_lshlrev_b32_e32 v14, v14, v2
	v_sub_u32_e32 v13, 29, v13
	v_and_b32_e32 v14, 7, v14
	v_cmp_eq_u16_e32 vcc, 0, v12
	v_cndmask_b32_e32 v11, v11, v14, vcc
	v_cndmask_b32_e32 v12, v12, v13, vcc
	v_lshlrev_b32_e32 v13, 24, v2
	v_mov_b32_e32 v14, 0x3b800000
	v_lshlrev_b32_e32 v11, 20, v11
	v_and_b32_e32 v13, 0x80000000, v13
	v_lshl_add_u32 v12, v12, 23, v14
	v_or3_b32 v11, v13, v12, v11
.LBB21_904:
	s_or_b64 exec, exec, s[6:7]
	s_nop 0
	v_mfma_f32_16x16x4f32 a[0:3], v10, v11, a[0:3]
	v_lshrrev_b32_e32 v11, 8, v6
	s_movk_i32 s4, 0x7f
	v_cmp_gt_i16_sdwa s[6:7], v11, s4 src0_sel:BYTE_0 src1_sel:DWORD
	s_mov_b64 s[4:5], 0
                                        ; implicit-def: $sgpr10
	s_and_saveexec_b64 s[8:9], s[6:7]
	s_xor_b64 s[6:7], exec, s[8:9]
	s_cbranch_execnz .LBB21_2953
; %bb.905:
	s_or_saveexec_b64 s[6:7], s[6:7]
	v_mov_b32_e32 v10, s10
	s_xor_b64 exec, exec, s[6:7]
	s_cbranch_execnz .LBB21_2956
.LBB21_906:
	s_or_b64 exec, exec, s[6:7]
	s_and_saveexec_b64 s[6:7], s[4:5]
	s_cbranch_execz .LBB21_908
.LBB21_907:
	v_bfe_u32 v10, v6, 8, 3
	v_ffbh_u32_e32 v13, v10
	v_min_u32_e32 v13, 32, v13
	v_lshrrev_b16_e32 v12, 3, v11
	v_subrev_u32_e32 v14, 28, v13
	v_and_b32_e32 v12, 15, v12
	v_lshlrev_b32_e32 v11, v14, v11
	v_sub_u32_e32 v13, 29, v13
	v_and_b32_e32 v11, 7, v11
	v_cmp_eq_u16_e32 vcc, 0, v12
	v_cndmask_b32_e32 v10, v10, v11, vcc
	v_cndmask_b32_e32 v11, v12, v13, vcc
	v_lshlrev_b32_e32 v12, 16, v6
	v_mov_b32_e32 v13, 0x3b800000
	v_lshlrev_b32_e32 v10, 20, v10
	v_and_b32_e32 v12, 0x80000000, v12
	v_lshl_add_u32 v11, v11, 23, v13
	v_or3_b32 v10, v12, v11, v10
.LBB21_908:
	s_or_b64 exec, exec, s[6:7]
	v_lshrrev_b32_e32 v11, 8, v2
	s_movk_i32 s4, 0x7f
	v_cmp_gt_i16_sdwa s[6:7], v11, s4 src0_sel:BYTE_0 src1_sel:DWORD
	s_mov_b64 s[4:5], 0
                                        ; implicit-def: $sgpr10
	s_and_saveexec_b64 s[8:9], s[6:7]
	s_xor_b64 s[6:7], exec, s[8:9]
	s_cbranch_execnz .LBB21_2957
; %bb.909:
	s_or_saveexec_b64 s[6:7], s[6:7]
	v_mov_b32_e32 v12, s10
	s_xor_b64 exec, exec, s[6:7]
	s_cbranch_execnz .LBB21_2960
.LBB21_910:
	s_or_b64 exec, exec, s[6:7]
	s_and_saveexec_b64 s[6:7], s[4:5]
	s_cbranch_execz .LBB21_912
.LBB21_911:
	v_bfe_u32 v12, v2, 8, 3
	v_ffbh_u32_e32 v14, v12
	v_min_u32_e32 v14, 32, v14
	v_lshrrev_b16_e32 v13, 3, v11
	v_subrev_u32_e32 v15, 28, v14
	v_and_b32_e32 v13, 15, v13
	v_lshlrev_b32_e32 v11, v15, v11
	v_sub_u32_e32 v14, 29, v14
	v_and_b32_e32 v11, 7, v11
	v_cmp_eq_u16_e32 vcc, 0, v13
	v_cndmask_b32_e32 v11, v12, v11, vcc
	v_cndmask_b32_e32 v12, v13, v14, vcc
	v_lshlrev_b32_e32 v13, 16, v2
	v_mov_b32_e32 v14, 0x3b800000
	v_lshlrev_b32_e32 v11, 20, v11
	v_and_b32_e32 v13, 0x80000000, v13
	v_lshl_add_u32 v12, v12, 23, v14
	v_or3_b32 v12, v13, v12, v11
.LBB21_912:
	s_or_b64 exec, exec, s[6:7]
	s_nop 0
	v_mfma_f32_16x16x4f32 a[0:3], v10, v12, a[0:3]
	s_movk_i32 s4, 0xff
	v_and_b32_sdwa v11, v6, s4 dst_sel:DWORD dst_unused:UNUSED_PAD src0_sel:WORD_1 src1_sel:DWORD
	s_movk_i32 s4, 0x7f
	v_cmp_lt_i16_e32 vcc, s4, v11
	s_mov_b64 s[4:5], 0
                                        ; implicit-def: $sgpr10
	s_and_saveexec_b64 s[6:7], vcc
	s_xor_b64 s[6:7], exec, s[6:7]
	s_cbranch_execnz .LBB21_2961
; %bb.913:
	s_or_saveexec_b64 s[6:7], s[6:7]
	v_mov_b32_e32 v10, s10
	s_xor_b64 exec, exec, s[6:7]
	s_cbranch_execnz .LBB21_2964
.LBB21_914:
	s_or_b64 exec, exec, s[6:7]
	s_and_saveexec_b64 s[6:7], s[4:5]
	s_cbranch_execz .LBB21_916
.LBB21_915:
	v_bfe_u32 v10, v6, 16, 3
	v_ffbh_u32_e32 v13, v10
	v_min_u32_e32 v13, 32, v13
	v_lshrrev_b32_e32 v11, 19, v6
	v_subrev_u32_e32 v14, 28, v13
	v_and_b32_e32 v11, 15, v11
	v_lshlrev_b32_sdwa v14, v14, v6 dst_sel:DWORD dst_unused:UNUSED_PAD src0_sel:DWORD src1_sel:WORD_1
	v_bfe_u32 v12, v6, 19, 4
	v_sub_u32_e32 v13, 29, v13
	v_and_b32_e32 v14, 7, v14
	v_cmp_eq_u16_e32 vcc, 0, v11
	v_cndmask_b32_e32 v10, v10, v14, vcc
	v_cndmask_b32_e32 v11, v12, v13, vcc
	v_lshlrev_b32_e32 v12, 8, v6
	v_mov_b32_e32 v13, 0x3b800000
	v_lshlrev_b32_e32 v10, 20, v10
	v_and_b32_e32 v12, 0x80000000, v12
	v_lshl_add_u32 v11, v11, 23, v13
	v_or3_b32 v10, v12, v11, v10
.LBB21_916:
	s_or_b64 exec, exec, s[6:7]
	s_movk_i32 s4, 0xff
	v_and_b32_sdwa v11, v2, s4 dst_sel:DWORD dst_unused:UNUSED_PAD src0_sel:WORD_1 src1_sel:DWORD
	s_movk_i32 s4, 0x7f
	v_cmp_lt_i16_e32 vcc, s4, v11
	s_mov_b64 s[4:5], 0
                                        ; implicit-def: $sgpr10
	s_and_saveexec_b64 s[6:7], vcc
	s_xor_b64 s[6:7], exec, s[6:7]
	s_cbranch_execnz .LBB21_2965
; %bb.917:
	s_or_saveexec_b64 s[6:7], s[6:7]
	v_mov_b32_e32 v12, s10
	s_xor_b64 exec, exec, s[6:7]
	s_cbranch_execnz .LBB21_2968
.LBB21_918:
	s_or_b64 exec, exec, s[6:7]
	s_and_saveexec_b64 s[6:7], s[4:5]
	s_cbranch_execz .LBB21_920
.LBB21_919:
	v_bfe_u32 v11, v2, 16, 3
	v_ffbh_u32_e32 v14, v11
	v_min_u32_e32 v14, 32, v14
	v_lshrrev_b32_e32 v12, 19, v2
	v_subrev_u32_e32 v15, 28, v14
	v_and_b32_e32 v12, 15, v12
	v_lshlrev_b32_sdwa v15, v15, v2 dst_sel:DWORD dst_unused:UNUSED_PAD src0_sel:DWORD src1_sel:WORD_1
	v_bfe_u32 v13, v2, 19, 4
	v_sub_u32_e32 v14, 29, v14
	v_and_b32_e32 v15, 7, v15
	v_cmp_eq_u16_e32 vcc, 0, v12
	v_cndmask_b32_e32 v11, v11, v15, vcc
	v_cndmask_b32_e32 v12, v13, v14, vcc
	v_lshlrev_b32_e32 v13, 8, v2
	v_mov_b32_e32 v14, 0x3b800000
	v_lshlrev_b32_e32 v11, 20, v11
	v_and_b32_e32 v13, 0x80000000, v13
	v_lshl_add_u32 v12, v12, 23, v14
	v_or3_b32 v12, v13, v12, v11
.LBB21_920:
	s_or_b64 exec, exec, s[6:7]
	s_nop 0
	v_mfma_f32_16x16x4f32 a[0:3], v10, v12, a[0:3]
	s_movk_i32 s4, 0x7f
	v_cmp_gt_i16_sdwa s[6:7], v6, s4 src0_sel:BYTE_3 src1_sel:DWORD
	s_mov_b64 s[4:5], 0
                                        ; implicit-def: $sgpr10
	s_and_saveexec_b64 s[8:9], s[6:7]
	s_xor_b64 s[6:7], exec, s[8:9]
	s_cbranch_execnz .LBB21_2969
; %bb.921:
	s_or_saveexec_b64 s[6:7], s[6:7]
	v_mov_b32_e32 v10, s10
	s_xor_b64 exec, exec, s[6:7]
	s_cbranch_execnz .LBB21_2972
.LBB21_922:
	s_or_b64 exec, exec, s[6:7]
	s_and_saveexec_b64 s[6:7], s[4:5]
	s_cbranch_execz .LBB21_924
.LBB21_923:
	v_bfe_u32 v10, v6, 24, 3
	v_ffbh_u32_e32 v14, v10
	v_min_u32_e32 v14, 32, v14
	v_lshrrev_b32_e32 v12, 27, v6
	v_subrev_u32_e32 v15, 28, v14
	v_and_b32_e32 v11, 0x80000000, v6
	v_and_b32_e32 v12, 15, v12
	v_bfe_u32 v13, v6, 27, 4
	v_lshlrev_b32_sdwa v6, v15, v6 dst_sel:DWORD dst_unused:UNUSED_PAD src0_sel:DWORD src1_sel:BYTE_3
	v_sub_u32_e32 v14, 29, v14
	v_and_b32_e32 v6, 7, v6
	v_cmp_eq_u16_e32 vcc, 0, v12
	v_cndmask_b32_e32 v6, v10, v6, vcc
	v_cndmask_b32_e32 v10, v13, v14, vcc
	v_mov_b32_e32 v12, 0x3b800000
	v_lshlrev_b32_e32 v6, 20, v6
	v_lshl_add_u32 v10, v10, 23, v12
	v_or3_b32 v10, v11, v10, v6
.LBB21_924:
	s_or_b64 exec, exec, s[6:7]
	s_movk_i32 s4, 0x7f
	v_cmp_gt_i16_sdwa s[6:7], v2, s4 src0_sel:BYTE_3 src1_sel:DWORD
	s_mov_b64 s[4:5], 0
                                        ; implicit-def: $sgpr10
	s_and_saveexec_b64 s[8:9], s[6:7]
	s_xor_b64 s[6:7], exec, s[8:9]
	s_cbranch_execnz .LBB21_2973
; %bb.925:
	s_or_saveexec_b64 s[6:7], s[6:7]
	v_mov_b32_e32 v6, s10
	s_xor_b64 exec, exec, s[6:7]
	s_cbranch_execnz .LBB21_2976
.LBB21_926:
	s_or_b64 exec, exec, s[6:7]
	s_and_saveexec_b64 s[6:7], s[4:5]
	s_cbranch_execz .LBB21_928
.LBB21_927:
	v_bfe_u32 v6, v2, 24, 3
	v_ffbh_u32_e32 v14, v6
	v_min_u32_e32 v14, 32, v14
	v_lshrrev_b32_e32 v12, 27, v2
	v_subrev_u32_e32 v15, 28, v14
	v_and_b32_e32 v11, 0x80000000, v2
	v_and_b32_e32 v12, 15, v12
	v_bfe_u32 v13, v2, 27, 4
	v_lshlrev_b32_sdwa v2, v15, v2 dst_sel:DWORD dst_unused:UNUSED_PAD src0_sel:DWORD src1_sel:BYTE_3
	v_sub_u32_e32 v14, 29, v14
	v_and_b32_e32 v2, 7, v2
	v_cmp_eq_u16_e32 vcc, 0, v12
	v_cndmask_b32_e32 v2, v6, v2, vcc
	v_cndmask_b32_e32 v6, v13, v14, vcc
	v_mov_b32_e32 v12, 0x3b800000
	v_lshlrev_b32_e32 v2, 20, v2
	v_lshl_add_u32 v6, v6, 23, v12
	v_or3_b32 v6, v11, v6, v2
.LBB21_928:
	s_or_b64 exec, exec, s[6:7]
	s_nop 0
	v_mfma_f32_16x16x4f32 a[0:3], v10, v6, a[0:3]
	s_movk_i32 s4, 0x7f
	v_cmp_gt_i16_sdwa s[6:7], v7, s4 src0_sel:BYTE_0 src1_sel:DWORD
	s_mov_b64 s[4:5], 0
                                        ; implicit-def: $sgpr10
	s_and_saveexec_b64 s[8:9], s[6:7]
	s_xor_b64 s[6:7], exec, s[8:9]
	s_cbranch_execnz .LBB21_2977
; %bb.929:
	s_or_saveexec_b64 s[6:7], s[6:7]
	v_mov_b32_e32 v2, s10
	s_xor_b64 exec, exec, s[6:7]
	s_cbranch_execnz .LBB21_2980
.LBB21_930:
	s_or_b64 exec, exec, s[6:7]
	s_and_saveexec_b64 s[6:7], s[4:5]
	s_cbranch_execz .LBB21_932
.LBB21_931:
	v_and_b32_e32 v2, 7, v7
	v_ffbh_u32_e32 v10, v2
	v_min_u32_e32 v10, 32, v10
	v_lshrrev_b16_e32 v6, 3, v7
	v_subrev_u32_e32 v11, 28, v10
	v_and_b32_e32 v6, 15, v6
	v_lshlrev_b32_e32 v11, v11, v7
	v_sub_u32_e32 v10, 29, v10
	v_and_b32_e32 v11, 7, v11
	v_cmp_eq_u16_e32 vcc, 0, v6
	v_cndmask_b32_e32 v2, v2, v11, vcc
	v_cndmask_b32_e32 v6, v6, v10, vcc
	v_lshlrev_b32_e32 v10, 24, v7
	v_mov_b32_e32 v11, 0x3b800000
	v_lshlrev_b32_e32 v2, 20, v2
	v_and_b32_e32 v10, 0x80000000, v10
	v_lshl_add_u32 v6, v6, 23, v11
	v_or3_b32 v2, v10, v6, v2
.LBB21_932:
	s_or_b64 exec, exec, s[6:7]
	s_movk_i32 s4, 0x7f
	v_cmp_gt_i16_sdwa s[6:7], v3, s4 src0_sel:BYTE_0 src1_sel:DWORD
	s_mov_b64 s[4:5], 0
                                        ; implicit-def: $sgpr10
	s_and_saveexec_b64 s[8:9], s[6:7]
	s_xor_b64 s[6:7], exec, s[8:9]
	s_cbranch_execnz .LBB21_2981
; %bb.933:
	s_or_saveexec_b64 s[6:7], s[6:7]
	v_mov_b32_e32 v6, s10
	s_xor_b64 exec, exec, s[6:7]
	s_cbranch_execnz .LBB21_2984
.LBB21_934:
	s_or_b64 exec, exec, s[6:7]
	s_and_saveexec_b64 s[6:7], s[4:5]
	s_cbranch_execz .LBB21_936
.LBB21_935:
	v_and_b32_e32 v6, 7, v3
	v_ffbh_u32_e32 v11, v6
	v_min_u32_e32 v11, 32, v11
	v_lshrrev_b16_e32 v10, 3, v3
	v_subrev_u32_e32 v12, 28, v11
	v_and_b32_e32 v10, 15, v10
	v_lshlrev_b32_e32 v12, v12, v3
	v_sub_u32_e32 v11, 29, v11
	v_and_b32_e32 v12, 7, v12
	v_cmp_eq_u16_e32 vcc, 0, v10
	v_cndmask_b32_e32 v6, v6, v12, vcc
	v_cndmask_b32_e32 v10, v10, v11, vcc
	v_lshlrev_b32_e32 v11, 24, v3
	v_mov_b32_e32 v12, 0x3b800000
	v_lshlrev_b32_e32 v6, 20, v6
	v_and_b32_e32 v11, 0x80000000, v11
	v_lshl_add_u32 v10, v10, 23, v12
	v_or3_b32 v6, v11, v10, v6
.LBB21_936:
	s_or_b64 exec, exec, s[6:7]
	s_nop 0
	v_mfma_f32_16x16x4f32 a[0:3], v2, v6, a[0:3]
	v_lshrrev_b32_e32 v6, 8, v7
	s_movk_i32 s4, 0x7f
	v_cmp_gt_i16_sdwa s[6:7], v6, s4 src0_sel:BYTE_0 src1_sel:DWORD
	s_mov_b64 s[4:5], 0
                                        ; implicit-def: $sgpr10
	s_and_saveexec_b64 s[8:9], s[6:7]
	s_xor_b64 s[6:7], exec, s[8:9]
	s_cbranch_execnz .LBB21_2985
; %bb.937:
	s_or_saveexec_b64 s[6:7], s[6:7]
	v_mov_b32_e32 v2, s10
	s_xor_b64 exec, exec, s[6:7]
	s_cbranch_execnz .LBB21_2988
.LBB21_938:
	s_or_b64 exec, exec, s[6:7]
	s_and_saveexec_b64 s[6:7], s[4:5]
	s_cbranch_execz .LBB21_940
.LBB21_939:
	v_bfe_u32 v2, v7, 8, 3
	v_ffbh_u32_e32 v11, v2
	v_min_u32_e32 v11, 32, v11
	v_lshrrev_b16_e32 v10, 3, v6
	v_subrev_u32_e32 v12, 28, v11
	v_and_b32_e32 v10, 15, v10
	v_lshlrev_b32_e32 v6, v12, v6
	v_sub_u32_e32 v11, 29, v11
	v_and_b32_e32 v6, 7, v6
	v_cmp_eq_u16_e32 vcc, 0, v10
	v_cndmask_b32_e32 v2, v2, v6, vcc
	v_cndmask_b32_e32 v6, v10, v11, vcc
	v_lshlrev_b32_e32 v10, 16, v7
	v_mov_b32_e32 v11, 0x3b800000
	v_lshlrev_b32_e32 v2, 20, v2
	v_and_b32_e32 v10, 0x80000000, v10
	v_lshl_add_u32 v6, v6, 23, v11
	v_or3_b32 v2, v10, v6, v2
.LBB21_940:
	s_or_b64 exec, exec, s[6:7]
	v_lshrrev_b32_e32 v6, 8, v3
	s_movk_i32 s4, 0x7f
	v_cmp_gt_i16_sdwa s[6:7], v6, s4 src0_sel:BYTE_0 src1_sel:DWORD
	s_mov_b64 s[4:5], 0
                                        ; implicit-def: $sgpr10
	s_and_saveexec_b64 s[8:9], s[6:7]
	s_xor_b64 s[6:7], exec, s[8:9]
	s_cbranch_execnz .LBB21_2989
; %bb.941:
	s_or_saveexec_b64 s[6:7], s[6:7]
	v_mov_b32_e32 v10, s10
	s_xor_b64 exec, exec, s[6:7]
	s_cbranch_execnz .LBB21_2992
.LBB21_942:
	s_or_b64 exec, exec, s[6:7]
	s_and_saveexec_b64 s[6:7], s[4:5]
	s_cbranch_execz .LBB21_944
.LBB21_943:
	v_bfe_u32 v10, v3, 8, 3
	v_ffbh_u32_e32 v12, v10
	v_min_u32_e32 v12, 32, v12
	v_lshrrev_b16_e32 v11, 3, v6
	v_subrev_u32_e32 v13, 28, v12
	v_and_b32_e32 v11, 15, v11
	v_lshlrev_b32_e32 v6, v13, v6
	v_sub_u32_e32 v12, 29, v12
	v_and_b32_e32 v6, 7, v6
	v_cmp_eq_u16_e32 vcc, 0, v11
	v_cndmask_b32_e32 v6, v10, v6, vcc
	v_cndmask_b32_e32 v10, v11, v12, vcc
	v_lshlrev_b32_e32 v11, 16, v3
	v_mov_b32_e32 v12, 0x3b800000
	v_lshlrev_b32_e32 v6, 20, v6
	v_and_b32_e32 v11, 0x80000000, v11
	v_lshl_add_u32 v10, v10, 23, v12
	v_or3_b32 v10, v11, v10, v6
.LBB21_944:
	s_or_b64 exec, exec, s[6:7]
	s_nop 0
	v_mfma_f32_16x16x4f32 a[0:3], v2, v10, a[0:3]
	s_movk_i32 s4, 0xff
	v_and_b32_sdwa v6, v7, s4 dst_sel:DWORD dst_unused:UNUSED_PAD src0_sel:WORD_1 src1_sel:DWORD
	s_movk_i32 s4, 0x7f
	v_cmp_lt_i16_e32 vcc, s4, v6
	s_mov_b64 s[4:5], 0
                                        ; implicit-def: $sgpr10
	s_and_saveexec_b64 s[6:7], vcc
	s_xor_b64 s[6:7], exec, s[6:7]
	s_cbranch_execnz .LBB21_2993
; %bb.945:
	s_or_saveexec_b64 s[6:7], s[6:7]
	v_mov_b32_e32 v2, s10
	s_xor_b64 exec, exec, s[6:7]
	s_cbranch_execnz .LBB21_2996
.LBB21_946:
	s_or_b64 exec, exec, s[6:7]
	s_and_saveexec_b64 s[6:7], s[4:5]
	s_cbranch_execz .LBB21_948
.LBB21_947:
	v_bfe_u32 v2, v7, 16, 3
	v_ffbh_u32_e32 v11, v2
	v_min_u32_e32 v11, 32, v11
	v_lshrrev_b32_e32 v6, 19, v7
	v_subrev_u32_e32 v12, 28, v11
	v_and_b32_e32 v6, 15, v6
	v_lshlrev_b32_sdwa v12, v12, v7 dst_sel:DWORD dst_unused:UNUSED_PAD src0_sel:DWORD src1_sel:WORD_1
	v_bfe_u32 v10, v7, 19, 4
	v_sub_u32_e32 v11, 29, v11
	v_and_b32_e32 v12, 7, v12
	v_cmp_eq_u16_e32 vcc, 0, v6
	v_cndmask_b32_e32 v2, v2, v12, vcc
	v_cndmask_b32_e32 v6, v10, v11, vcc
	v_lshlrev_b32_e32 v10, 8, v7
	v_mov_b32_e32 v11, 0x3b800000
	v_lshlrev_b32_e32 v2, 20, v2
	v_and_b32_e32 v10, 0x80000000, v10
	v_lshl_add_u32 v6, v6, 23, v11
	v_or3_b32 v2, v10, v6, v2
.LBB21_948:
	s_or_b64 exec, exec, s[6:7]
	s_movk_i32 s4, 0xff
	v_and_b32_sdwa v6, v3, s4 dst_sel:DWORD dst_unused:UNUSED_PAD src0_sel:WORD_1 src1_sel:DWORD
	s_movk_i32 s4, 0x7f
	v_cmp_lt_i16_e32 vcc, s4, v6
	s_mov_b64 s[4:5], 0
                                        ; implicit-def: $sgpr10
	s_and_saveexec_b64 s[6:7], vcc
	s_xor_b64 s[6:7], exec, s[6:7]
	s_cbranch_execnz .LBB21_2997
; %bb.949:
	s_or_saveexec_b64 s[6:7], s[6:7]
	v_mov_b32_e32 v10, s10
	s_xor_b64 exec, exec, s[6:7]
	s_cbranch_execnz .LBB21_3000
.LBB21_950:
	s_or_b64 exec, exec, s[6:7]
	s_and_saveexec_b64 s[6:7], s[4:5]
	s_cbranch_execz .LBB21_952
.LBB21_951:
	v_bfe_u32 v6, v3, 16, 3
	v_ffbh_u32_e32 v12, v6
	v_min_u32_e32 v12, 32, v12
	v_lshrrev_b32_e32 v10, 19, v3
	v_subrev_u32_e32 v13, 28, v12
	v_and_b32_e32 v10, 15, v10
	v_lshlrev_b32_sdwa v13, v13, v3 dst_sel:DWORD dst_unused:UNUSED_PAD src0_sel:DWORD src1_sel:WORD_1
	v_bfe_u32 v11, v3, 19, 4
	v_sub_u32_e32 v12, 29, v12
	v_and_b32_e32 v13, 7, v13
	v_cmp_eq_u16_e32 vcc, 0, v10
	v_cndmask_b32_e32 v6, v6, v13, vcc
	v_cndmask_b32_e32 v10, v11, v12, vcc
	v_lshlrev_b32_e32 v11, 8, v3
	v_mov_b32_e32 v12, 0x3b800000
	v_lshlrev_b32_e32 v6, 20, v6
	v_and_b32_e32 v11, 0x80000000, v11
	v_lshl_add_u32 v10, v10, 23, v12
	v_or3_b32 v10, v11, v10, v6
.LBB21_952:
	s_or_b64 exec, exec, s[6:7]
	s_nop 0
	v_mfma_f32_16x16x4f32 a[0:3], v2, v10, a[0:3]
	s_movk_i32 s4, 0x7f
	v_cmp_gt_i16_sdwa s[6:7], v7, s4 src0_sel:BYTE_3 src1_sel:DWORD
	s_mov_b64 s[4:5], 0
                                        ; implicit-def: $sgpr10
	s_and_saveexec_b64 s[8:9], s[6:7]
	s_xor_b64 s[6:7], exec, s[8:9]
	s_cbranch_execnz .LBB21_3001
; %bb.953:
	s_or_saveexec_b64 s[6:7], s[6:7]
	v_mov_b32_e32 v2, s10
	s_xor_b64 exec, exec, s[6:7]
	s_cbranch_execnz .LBB21_3004
.LBB21_954:
	s_or_b64 exec, exec, s[6:7]
	s_and_saveexec_b64 s[6:7], s[4:5]
	s_cbranch_execz .LBB21_956
.LBB21_955:
	v_bfe_u32 v2, v7, 24, 3
	v_ffbh_u32_e32 v12, v2
	v_min_u32_e32 v12, 32, v12
	v_lshrrev_b32_e32 v10, 27, v7
	v_subrev_u32_e32 v13, 28, v12
	v_and_b32_e32 v6, 0x80000000, v7
	v_and_b32_e32 v10, 15, v10
	v_bfe_u32 v11, v7, 27, 4
	v_lshlrev_b32_sdwa v7, v13, v7 dst_sel:DWORD dst_unused:UNUSED_PAD src0_sel:DWORD src1_sel:BYTE_3
	v_sub_u32_e32 v12, 29, v12
	v_and_b32_e32 v7, 7, v7
	v_cmp_eq_u16_e32 vcc, 0, v10
	v_cndmask_b32_e32 v2, v2, v7, vcc
	v_cndmask_b32_e32 v7, v11, v12, vcc
	v_mov_b32_e32 v10, 0x3b800000
	v_lshlrev_b32_e32 v2, 20, v2
	v_lshl_add_u32 v7, v7, 23, v10
	v_or3_b32 v2, v6, v7, v2
.LBB21_956:
	s_or_b64 exec, exec, s[6:7]
	s_movk_i32 s4, 0x7f
	v_cmp_gt_i16_sdwa s[6:7], v3, s4 src0_sel:BYTE_3 src1_sel:DWORD
	s_mov_b64 s[4:5], 0
                                        ; implicit-def: $sgpr10
	s_and_saveexec_b64 s[8:9], s[6:7]
	s_xor_b64 s[6:7], exec, s[8:9]
	s_cbranch_execnz .LBB21_3005
; %bb.957:
	s_or_saveexec_b64 s[6:7], s[6:7]
	v_mov_b32_e32 v6, s10
	s_xor_b64 exec, exec, s[6:7]
	s_cbranch_execnz .LBB21_3008
.LBB21_958:
	s_or_b64 exec, exec, s[6:7]
	s_and_saveexec_b64 s[6:7], s[4:5]
	s_cbranch_execz .LBB21_960
.LBB21_959:
	v_bfe_u32 v6, v3, 24, 3
	v_ffbh_u32_e32 v12, v6
	v_min_u32_e32 v12, 32, v12
	v_lshrrev_b32_e32 v10, 27, v3
	v_subrev_u32_e32 v13, 28, v12
	v_and_b32_e32 v7, 0x80000000, v3
	v_and_b32_e32 v10, 15, v10
	v_bfe_u32 v11, v3, 27, 4
	v_lshlrev_b32_sdwa v3, v13, v3 dst_sel:DWORD dst_unused:UNUSED_PAD src0_sel:DWORD src1_sel:BYTE_3
	v_sub_u32_e32 v12, 29, v12
	v_and_b32_e32 v3, 7, v3
	v_cmp_eq_u16_e32 vcc, 0, v10
	v_cndmask_b32_e32 v3, v6, v3, vcc
	v_cndmask_b32_e32 v6, v11, v12, vcc
	v_mov_b32_e32 v10, 0x3b800000
	v_lshlrev_b32_e32 v3, 20, v3
	v_lshl_add_u32 v6, v6, 23, v10
	v_or3_b32 v6, v7, v6, v3
.LBB21_960:
	s_or_b64 exec, exec, s[6:7]
	s_nop 0
	v_mfma_f32_16x16x4f32 a[0:3], v2, v6, a[0:3]
	s_movk_i32 s4, 0x7f
	v_cmp_gt_i16_sdwa s[6:7], v8, s4 src0_sel:BYTE_0 src1_sel:DWORD
	s_mov_b64 s[4:5], 0
                                        ; implicit-def: $sgpr10
	s_and_saveexec_b64 s[8:9], s[6:7]
	s_xor_b64 s[6:7], exec, s[8:9]
	s_cbranch_execnz .LBB21_3009
; %bb.961:
	s_or_saveexec_b64 s[6:7], s[6:7]
	v_mov_b32_e32 v2, s10
	s_xor_b64 exec, exec, s[6:7]
	s_cbranch_execnz .LBB21_3012
.LBB21_962:
	s_or_b64 exec, exec, s[6:7]
	s_and_saveexec_b64 s[6:7], s[4:5]
	s_cbranch_execz .LBB21_964
.LBB21_963:
	v_and_b32_e32 v2, 7, v8
	v_ffbh_u32_e32 v6, v2
	v_min_u32_e32 v6, 32, v6
	v_lshrrev_b16_e32 v3, 3, v8
	v_subrev_u32_e32 v7, 28, v6
	v_and_b32_e32 v3, 15, v3
	v_lshlrev_b32_e32 v7, v7, v8
	v_sub_u32_e32 v6, 29, v6
	v_and_b32_e32 v7, 7, v7
	v_cmp_eq_u16_e32 vcc, 0, v3
	v_cndmask_b32_e32 v2, v2, v7, vcc
	v_cndmask_b32_e32 v3, v3, v6, vcc
	v_lshlrev_b32_e32 v6, 24, v8
	v_mov_b32_e32 v7, 0x3b800000
	v_lshlrev_b32_e32 v2, 20, v2
	v_and_b32_e32 v6, 0x80000000, v6
	v_lshl_add_u32 v3, v3, 23, v7
	v_or3_b32 v2, v6, v3, v2
.LBB21_964:
	s_or_b64 exec, exec, s[6:7]
	s_movk_i32 s4, 0x7f
	v_cmp_gt_i16_sdwa s[6:7], v4, s4 src0_sel:BYTE_0 src1_sel:DWORD
	s_mov_b64 s[4:5], 0
                                        ; implicit-def: $sgpr10
	s_and_saveexec_b64 s[8:9], s[6:7]
	s_xor_b64 s[6:7], exec, s[8:9]
	s_cbranch_execnz .LBB21_3013
; %bb.965:
	s_or_saveexec_b64 s[6:7], s[6:7]
	v_mov_b32_e32 v3, s10
	s_xor_b64 exec, exec, s[6:7]
	s_cbranch_execnz .LBB21_3016
.LBB21_966:
	s_or_b64 exec, exec, s[6:7]
	s_and_saveexec_b64 s[6:7], s[4:5]
	s_cbranch_execz .LBB21_968
.LBB21_967:
	v_and_b32_e32 v3, 7, v4
	v_ffbh_u32_e32 v7, v3
	v_min_u32_e32 v7, 32, v7
	v_lshrrev_b16_e32 v6, 3, v4
	v_subrev_u32_e32 v10, 28, v7
	v_and_b32_e32 v6, 15, v6
	v_lshlrev_b32_e32 v10, v10, v4
	v_sub_u32_e32 v7, 29, v7
	v_and_b32_e32 v10, 7, v10
	v_cmp_eq_u16_e32 vcc, 0, v6
	v_cndmask_b32_e32 v3, v3, v10, vcc
	v_cndmask_b32_e32 v6, v6, v7, vcc
	v_lshlrev_b32_e32 v7, 24, v4
	v_mov_b32_e32 v10, 0x3b800000
	v_lshlrev_b32_e32 v3, 20, v3
	v_and_b32_e32 v7, 0x80000000, v7
	v_lshl_add_u32 v6, v6, 23, v10
	v_or3_b32 v3, v7, v6, v3
.LBB21_968:
	s_or_b64 exec, exec, s[6:7]
	s_nop 0
	v_mfma_f32_16x16x4f32 a[0:3], v2, v3, a[0:3]
	v_lshrrev_b32_e32 v3, 8, v8
	s_movk_i32 s4, 0x7f
	v_cmp_gt_i16_sdwa s[6:7], v3, s4 src0_sel:BYTE_0 src1_sel:DWORD
	s_mov_b64 s[4:5], 0
                                        ; implicit-def: $sgpr10
	s_and_saveexec_b64 s[8:9], s[6:7]
	s_xor_b64 s[6:7], exec, s[8:9]
	s_cbranch_execnz .LBB21_3017
; %bb.969:
	s_or_saveexec_b64 s[6:7], s[6:7]
	v_mov_b32_e32 v2, s10
	s_xor_b64 exec, exec, s[6:7]
	s_cbranch_execnz .LBB21_3020
.LBB21_970:
	s_or_b64 exec, exec, s[6:7]
	s_and_saveexec_b64 s[6:7], s[4:5]
	s_cbranch_execz .LBB21_972
.LBB21_971:
	v_bfe_u32 v2, v8, 8, 3
	v_ffbh_u32_e32 v7, v2
	v_min_u32_e32 v7, 32, v7
	v_lshrrev_b16_e32 v6, 3, v3
	v_subrev_u32_e32 v10, 28, v7
	v_and_b32_e32 v6, 15, v6
	v_lshlrev_b32_e32 v3, v10, v3
	v_sub_u32_e32 v7, 29, v7
	v_and_b32_e32 v3, 7, v3
	v_cmp_eq_u16_e32 vcc, 0, v6
	v_cndmask_b32_e32 v2, v2, v3, vcc
	v_cndmask_b32_e32 v3, v6, v7, vcc
	v_lshlrev_b32_e32 v6, 16, v8
	v_mov_b32_e32 v7, 0x3b800000
	v_lshlrev_b32_e32 v2, 20, v2
	v_and_b32_e32 v6, 0x80000000, v6
	v_lshl_add_u32 v3, v3, 23, v7
	v_or3_b32 v2, v6, v3, v2
.LBB21_972:
	s_or_b64 exec, exec, s[6:7]
	v_lshrrev_b32_e32 v3, 8, v4
	s_movk_i32 s4, 0x7f
	v_cmp_gt_i16_sdwa s[6:7], v3, s4 src0_sel:BYTE_0 src1_sel:DWORD
	s_mov_b64 s[4:5], 0
                                        ; implicit-def: $sgpr10
	s_and_saveexec_b64 s[8:9], s[6:7]
	s_xor_b64 s[6:7], exec, s[8:9]
	s_cbranch_execnz .LBB21_3021
; %bb.973:
	s_or_saveexec_b64 s[6:7], s[6:7]
	v_mov_b32_e32 v6, s10
	s_xor_b64 exec, exec, s[6:7]
	s_cbranch_execnz .LBB21_3024
.LBB21_974:
	s_or_b64 exec, exec, s[6:7]
	s_and_saveexec_b64 s[6:7], s[4:5]
	s_cbranch_execz .LBB21_976
.LBB21_975:
	v_bfe_u32 v6, v4, 8, 3
	v_ffbh_u32_e32 v10, v6
	v_min_u32_e32 v10, 32, v10
	v_lshrrev_b16_e32 v7, 3, v3
	v_subrev_u32_e32 v11, 28, v10
	v_and_b32_e32 v7, 15, v7
	v_lshlrev_b32_e32 v3, v11, v3
	v_sub_u32_e32 v10, 29, v10
	v_and_b32_e32 v3, 7, v3
	v_cmp_eq_u16_e32 vcc, 0, v7
	v_cndmask_b32_e32 v3, v6, v3, vcc
	v_cndmask_b32_e32 v6, v7, v10, vcc
	v_lshlrev_b32_e32 v7, 16, v4
	v_mov_b32_e32 v10, 0x3b800000
	v_lshlrev_b32_e32 v3, 20, v3
	v_and_b32_e32 v7, 0x80000000, v7
	v_lshl_add_u32 v6, v6, 23, v10
	v_or3_b32 v6, v7, v6, v3
.LBB21_976:
	s_or_b64 exec, exec, s[6:7]
	s_nop 0
	v_mfma_f32_16x16x4f32 a[0:3], v2, v6, a[0:3]
	s_movk_i32 s4, 0xff
	v_and_b32_sdwa v3, v8, s4 dst_sel:DWORD dst_unused:UNUSED_PAD src0_sel:WORD_1 src1_sel:DWORD
	s_movk_i32 s4, 0x7f
	v_cmp_lt_i16_e32 vcc, s4, v3
	s_mov_b64 s[4:5], 0
                                        ; implicit-def: $sgpr10
	s_and_saveexec_b64 s[6:7], vcc
	s_xor_b64 s[6:7], exec, s[6:7]
	s_cbranch_execnz .LBB21_3025
; %bb.977:
	s_or_saveexec_b64 s[6:7], s[6:7]
	v_mov_b32_e32 v2, s10
	s_xor_b64 exec, exec, s[6:7]
	s_cbranch_execnz .LBB21_3028
.LBB21_978:
	s_or_b64 exec, exec, s[6:7]
	s_and_saveexec_b64 s[6:7], s[4:5]
	s_cbranch_execz .LBB21_980
.LBB21_979:
	v_bfe_u32 v2, v8, 16, 3
	v_ffbh_u32_e32 v7, v2
	v_min_u32_e32 v7, 32, v7
	v_lshrrev_b32_e32 v3, 19, v8
	v_subrev_u32_e32 v10, 28, v7
	v_and_b32_e32 v3, 15, v3
	v_lshlrev_b32_sdwa v10, v10, v8 dst_sel:DWORD dst_unused:UNUSED_PAD src0_sel:DWORD src1_sel:WORD_1
	v_bfe_u32 v6, v8, 19, 4
	v_sub_u32_e32 v7, 29, v7
	v_and_b32_e32 v10, 7, v10
	v_cmp_eq_u16_e32 vcc, 0, v3
	v_cndmask_b32_e32 v2, v2, v10, vcc
	v_cndmask_b32_e32 v3, v6, v7, vcc
	v_lshlrev_b32_e32 v6, 8, v8
	v_mov_b32_e32 v7, 0x3b800000
	v_lshlrev_b32_e32 v2, 20, v2
	v_and_b32_e32 v6, 0x80000000, v6
	v_lshl_add_u32 v3, v3, 23, v7
	v_or3_b32 v2, v6, v3, v2
.LBB21_980:
	s_or_b64 exec, exec, s[6:7]
	s_movk_i32 s4, 0xff
	v_and_b32_sdwa v3, v4, s4 dst_sel:DWORD dst_unused:UNUSED_PAD src0_sel:WORD_1 src1_sel:DWORD
	s_movk_i32 s4, 0x7f
	v_cmp_lt_i16_e32 vcc, s4, v3
	s_mov_b64 s[4:5], 0
                                        ; implicit-def: $sgpr10
	s_and_saveexec_b64 s[6:7], vcc
	s_xor_b64 s[6:7], exec, s[6:7]
	s_cbranch_execnz .LBB21_3029
; %bb.981:
	s_or_saveexec_b64 s[6:7], s[6:7]
	v_mov_b32_e32 v6, s10
	s_xor_b64 exec, exec, s[6:7]
	s_cbranch_execnz .LBB21_3032
.LBB21_982:
	s_or_b64 exec, exec, s[6:7]
	s_and_saveexec_b64 s[6:7], s[4:5]
	s_cbranch_execz .LBB21_984
.LBB21_983:
	v_bfe_u32 v3, v4, 16, 3
	v_ffbh_u32_e32 v10, v3
	v_min_u32_e32 v10, 32, v10
	v_lshrrev_b32_e32 v6, 19, v4
	v_subrev_u32_e32 v11, 28, v10
	v_and_b32_e32 v6, 15, v6
	v_lshlrev_b32_sdwa v11, v11, v4 dst_sel:DWORD dst_unused:UNUSED_PAD src0_sel:DWORD src1_sel:WORD_1
	v_bfe_u32 v7, v4, 19, 4
	v_sub_u32_e32 v10, 29, v10
	v_and_b32_e32 v11, 7, v11
	v_cmp_eq_u16_e32 vcc, 0, v6
	v_cndmask_b32_e32 v3, v3, v11, vcc
	v_cndmask_b32_e32 v6, v7, v10, vcc
	v_lshlrev_b32_e32 v7, 8, v4
	v_mov_b32_e32 v10, 0x3b800000
	v_lshlrev_b32_e32 v3, 20, v3
	v_and_b32_e32 v7, 0x80000000, v7
	v_lshl_add_u32 v6, v6, 23, v10
	v_or3_b32 v6, v7, v6, v3
.LBB21_984:
	s_or_b64 exec, exec, s[6:7]
	s_nop 0
	v_mfma_f32_16x16x4f32 a[0:3], v2, v6, a[0:3]
	s_movk_i32 s4, 0x7f
	v_cmp_gt_i16_sdwa s[6:7], v8, s4 src0_sel:BYTE_3 src1_sel:DWORD
	s_mov_b64 s[4:5], 0
                                        ; implicit-def: $sgpr10
	s_and_saveexec_b64 s[8:9], s[6:7]
	s_xor_b64 s[6:7], exec, s[8:9]
	s_cbranch_execnz .LBB21_3033
; %bb.985:
	s_or_saveexec_b64 s[6:7], s[6:7]
	v_mov_b32_e32 v2, s10
	s_xor_b64 exec, exec, s[6:7]
	s_cbranch_execnz .LBB21_3036
.LBB21_986:
	s_or_b64 exec, exec, s[6:7]
	s_and_saveexec_b64 s[6:7], s[4:5]
	s_cbranch_execz .LBB21_988
.LBB21_987:
	v_bfe_u32 v2, v8, 24, 3
	v_ffbh_u32_e32 v10, v2
	v_min_u32_e32 v10, 32, v10
	v_lshrrev_b32_e32 v6, 27, v8
	v_subrev_u32_e32 v11, 28, v10
	v_and_b32_e32 v3, 0x80000000, v8
	v_and_b32_e32 v6, 15, v6
	v_bfe_u32 v7, v8, 27, 4
	v_lshlrev_b32_sdwa v8, v11, v8 dst_sel:DWORD dst_unused:UNUSED_PAD src0_sel:DWORD src1_sel:BYTE_3
	v_sub_u32_e32 v10, 29, v10
	v_and_b32_e32 v8, 7, v8
	v_cmp_eq_u16_e32 vcc, 0, v6
	v_cndmask_b32_e32 v2, v2, v8, vcc
	v_cndmask_b32_e32 v6, v7, v10, vcc
	v_mov_b32_e32 v7, 0x3b800000
	v_lshlrev_b32_e32 v2, 20, v2
	v_lshl_add_u32 v6, v6, 23, v7
	v_or3_b32 v2, v3, v6, v2
.LBB21_988:
	s_or_b64 exec, exec, s[6:7]
	s_movk_i32 s4, 0x7f
	v_cmp_gt_i16_sdwa s[6:7], v4, s4 src0_sel:BYTE_3 src1_sel:DWORD
	s_mov_b64 s[4:5], 0
                                        ; implicit-def: $sgpr10
	s_and_saveexec_b64 s[8:9], s[6:7]
	s_xor_b64 s[6:7], exec, s[8:9]
	s_cbranch_execnz .LBB21_3037
; %bb.989:
	s_or_saveexec_b64 s[6:7], s[6:7]
	v_mov_b32_e32 v3, s10
	s_xor_b64 exec, exec, s[6:7]
	s_cbranch_execnz .LBB21_3040
.LBB21_990:
	s_or_b64 exec, exec, s[6:7]
	s_and_saveexec_b64 s[6:7], s[4:5]
	s_cbranch_execz .LBB21_992
.LBB21_991:
	v_bfe_u32 v3, v4, 24, 3
	v_ffbh_u32_e32 v10, v3
	v_min_u32_e32 v10, 32, v10
	v_lshrrev_b32_e32 v7, 27, v4
	v_subrev_u32_e32 v11, 28, v10
	v_and_b32_e32 v6, 0x80000000, v4
	v_and_b32_e32 v7, 15, v7
	v_bfe_u32 v8, v4, 27, 4
	v_lshlrev_b32_sdwa v4, v11, v4 dst_sel:DWORD dst_unused:UNUSED_PAD src0_sel:DWORD src1_sel:BYTE_3
	v_sub_u32_e32 v10, 29, v10
	v_and_b32_e32 v4, 7, v4
	v_cmp_eq_u16_e32 vcc, 0, v7
	v_cndmask_b32_e32 v3, v3, v4, vcc
	v_cndmask_b32_e32 v4, v8, v10, vcc
	v_mov_b32_e32 v7, 0x3b800000
	v_lshlrev_b32_e32 v3, 20, v3
	v_lshl_add_u32 v4, v4, 23, v7
	v_or3_b32 v3, v6, v4, v3
.LBB21_992:
	s_or_b64 exec, exec, s[6:7]
	s_nop 0
	v_mfma_f32_16x16x4f32 a[0:3], v2, v3, a[0:3]
	s_movk_i32 s4, 0x7f
	v_cmp_gt_i16_sdwa s[6:7], v9, s4 src0_sel:BYTE_0 src1_sel:DWORD
	s_mov_b64 s[4:5], 0
                                        ; implicit-def: $sgpr10
	s_and_saveexec_b64 s[8:9], s[6:7]
	s_xor_b64 s[6:7], exec, s[8:9]
	s_cbranch_execnz .LBB21_3041
; %bb.993:
	s_or_saveexec_b64 s[6:7], s[6:7]
	v_mov_b32_e32 v2, s10
	s_xor_b64 exec, exec, s[6:7]
	s_cbranch_execnz .LBB21_3044
.LBB21_994:
	s_or_b64 exec, exec, s[6:7]
	s_and_saveexec_b64 s[6:7], s[4:5]
	s_cbranch_execz .LBB21_996
.LBB21_995:
	v_mov_b32_e32 v2, 8
	v_and_b32_e32 v3, 7, v9
	v_lshrrev_b32_sdwa v2, v2, v9 dst_sel:BYTE_1 dst_unused:UNUSED_PAD src0_sel:DWORD src1_sel:DWORD
	v_ffbh_u32_e32 v4, v3
	v_or_b32_sdwa v2, v9, v2 dst_sel:DWORD dst_unused:UNUSED_PAD src0_sel:BYTE_0 src1_sel:DWORD
	v_min_u32_e32 v4, 32, v4
	v_lshrrev_b16_e32 v2, 3, v2
	v_subrev_u32_e32 v6, 28, v4
	v_and_b32_e32 v2, 15, v2
	v_lshlrev_b32_e32 v6, v6, v9
	v_sub_u32_e32 v4, 29, v4
	v_and_b32_e32 v6, 7, v6
	v_cmp_eq_u16_e32 vcc, 0, v2
	v_cndmask_b32_e32 v3, v3, v6, vcc
	v_cndmask_b32_e32 v2, v2, v4, vcc
	v_lshlrev_b32_e32 v4, 24, v9
	v_mov_b32_e32 v6, 0x3b800000
	v_lshlrev_b32_e32 v3, 20, v3
	v_and_b32_e32 v4, 0x80000000, v4
	v_lshl_add_u32 v2, v2, 23, v6
	v_or3_b32 v2, v4, v2, v3
.LBB21_996:
	s_or_b64 exec, exec, s[6:7]
	s_movk_i32 s4, 0x7f
	v_cmp_gt_i16_sdwa s[6:7], v5, s4 src0_sel:BYTE_0 src1_sel:DWORD
	s_mov_b64 s[4:5], 0
                                        ; implicit-def: $sgpr10
	s_and_saveexec_b64 s[8:9], s[6:7]
	s_xor_b64 s[6:7], exec, s[8:9]
	s_cbranch_execnz .LBB21_3045
; %bb.997:
	s_or_saveexec_b64 s[6:7], s[6:7]
	v_mov_b32_e32 v3, s10
	s_xor_b64 exec, exec, s[6:7]
	s_cbranch_execnz .LBB21_3048
.LBB21_998:
	s_or_b64 exec, exec, s[6:7]
	s_and_saveexec_b64 s[6:7], s[4:5]
	s_cbranch_execz .LBB21_1000
.LBB21_999:
	v_mov_b32_e32 v3, 8
	v_and_b32_e32 v4, 7, v5
	v_lshrrev_b32_sdwa v3, v3, v5 dst_sel:BYTE_1 dst_unused:UNUSED_PAD src0_sel:DWORD src1_sel:DWORD
	v_ffbh_u32_e32 v6, v4
	v_or_b32_sdwa v3, v5, v3 dst_sel:DWORD dst_unused:UNUSED_PAD src0_sel:BYTE_0 src1_sel:DWORD
	v_min_u32_e32 v6, 32, v6
	v_lshrrev_b16_e32 v3, 3, v3
	v_subrev_u32_e32 v7, 28, v6
	v_and_b32_e32 v3, 15, v3
	v_lshlrev_b32_e32 v7, v7, v5
	v_sub_u32_e32 v6, 29, v6
	v_and_b32_e32 v7, 7, v7
	v_cmp_eq_u16_e32 vcc, 0, v3
	v_cndmask_b32_e32 v4, v4, v7, vcc
	v_cndmask_b32_e32 v3, v3, v6, vcc
	v_lshlrev_b32_e32 v6, 24, v5
	v_mov_b32_e32 v7, 0x3b800000
	v_lshlrev_b32_e32 v4, 20, v4
	v_and_b32_e32 v6, 0x80000000, v6
	v_lshl_add_u32 v3, v3, 23, v7
	v_or3_b32 v3, v6, v3, v4
.LBB21_1000:
	s_or_b64 exec, exec, s[6:7]
	s_nop 0
	v_mfma_f32_16x16x4f32 a[0:3], v2, v3, a[0:3]
	v_lshrrev_b32_e32 v3, 8, v9
	s_movk_i32 s4, 0x7f
	v_cmp_gt_i16_sdwa s[6:7], v3, s4 src0_sel:BYTE_0 src1_sel:DWORD
	s_mov_b64 s[4:5], 0
                                        ; implicit-def: $sgpr10
	s_and_saveexec_b64 s[8:9], s[6:7]
	s_xor_b64 s[6:7], exec, s[8:9]
	s_cbranch_execnz .LBB21_3049
; %bb.1001:
	s_or_saveexec_b64 s[6:7], s[6:7]
	v_mov_b32_e32 v2, s10
	s_xor_b64 exec, exec, s[6:7]
	s_cbranch_execnz .LBB21_3052
.LBB21_1002:
	s_or_b64 exec, exec, s[6:7]
	s_and_saveexec_b64 s[6:7], s[4:5]
	s_cbranch_execz .LBB21_1004
.LBB21_1003:
	v_bfe_u32 v2, v9, 8, 3
	v_ffbh_u32_e32 v6, v2
	v_min_u32_e32 v6, 32, v6
	v_lshrrev_b16_e32 v4, 3, v3
	v_subrev_u32_e32 v7, 28, v6
	v_and_b32_e32 v4, 15, v4
	v_lshlrev_b32_e32 v3, v7, v3
	v_sub_u32_e32 v6, 29, v6
	v_and_b32_e32 v3, 7, v3
	v_cmp_eq_u16_e32 vcc, 0, v4
	v_cndmask_b32_e32 v2, v2, v3, vcc
	v_cndmask_b32_e32 v3, v4, v6, vcc
	v_lshlrev_b32_e32 v4, 16, v9
	v_mov_b32_e32 v6, 0x3b800000
	v_lshlrev_b32_e32 v2, 20, v2
	v_and_b32_e32 v4, 0x80000000, v4
	v_lshl_add_u32 v3, v3, 23, v6
	v_or3_b32 v2, v4, v3, v2
.LBB21_1004:
	s_or_b64 exec, exec, s[6:7]
	v_lshrrev_b32_e32 v3, 8, v5
	s_movk_i32 s4, 0x7f
	v_cmp_gt_i16_sdwa s[6:7], v3, s4 src0_sel:BYTE_0 src1_sel:DWORD
	s_mov_b64 s[4:5], 0
                                        ; implicit-def: $sgpr10
	s_and_saveexec_b64 s[8:9], s[6:7]
	s_xor_b64 s[6:7], exec, s[8:9]
	s_cbranch_execnz .LBB21_3053
; %bb.1005:
	s_or_saveexec_b64 s[6:7], s[6:7]
	v_mov_b32_e32 v4, s10
	s_xor_b64 exec, exec, s[6:7]
	s_cbranch_execnz .LBB21_3056
.LBB21_1006:
	s_or_b64 exec, exec, s[6:7]
	s_and_saveexec_b64 s[6:7], s[4:5]
	s_cbranch_execz .LBB21_1008
.LBB21_1007:
	v_bfe_u32 v4, v5, 8, 3
	v_ffbh_u32_e32 v7, v4
	v_min_u32_e32 v7, 32, v7
	v_lshrrev_b16_e32 v6, 3, v3
	v_subrev_u32_e32 v8, 28, v7
	v_and_b32_e32 v6, 15, v6
	v_lshlrev_b32_e32 v3, v8, v3
	v_sub_u32_e32 v7, 29, v7
	v_and_b32_e32 v3, 7, v3
	v_cmp_eq_u16_e32 vcc, 0, v6
	v_cndmask_b32_e32 v3, v4, v3, vcc
	v_cndmask_b32_e32 v4, v6, v7, vcc
	v_lshlrev_b32_e32 v6, 16, v5
	v_mov_b32_e32 v7, 0x3b800000
	v_lshlrev_b32_e32 v3, 20, v3
	v_and_b32_e32 v6, 0x80000000, v6
	v_lshl_add_u32 v4, v4, 23, v7
	v_or3_b32 v4, v6, v4, v3
.LBB21_1008:
	s_or_b64 exec, exec, s[6:7]
	s_nop 0
	v_mfma_f32_16x16x4f32 a[0:3], v2, v4, a[0:3]
	s_movk_i32 s4, 0xff
	v_and_b32_sdwa v3, v9, s4 dst_sel:DWORD dst_unused:UNUSED_PAD src0_sel:WORD_1 src1_sel:DWORD
	s_movk_i32 s4, 0x7f
	v_cmp_lt_i16_e32 vcc, s4, v3
	s_mov_b64 s[4:5], 0
                                        ; implicit-def: $sgpr10
	s_and_saveexec_b64 s[6:7], vcc
	s_xor_b64 s[6:7], exec, s[6:7]
	s_cbranch_execnz .LBB21_3057
; %bb.1009:
	s_or_saveexec_b64 s[6:7], s[6:7]
	v_mov_b32_e32 v2, s10
	s_xor_b64 exec, exec, s[6:7]
	s_cbranch_execnz .LBB21_3060
.LBB21_1010:
	s_or_b64 exec, exec, s[6:7]
	s_and_saveexec_b64 s[6:7], s[4:5]
	s_cbranch_execz .LBB21_1012
.LBB21_1011:
	v_bfe_u32 v2, v9, 16, 3
	v_ffbh_u32_e32 v6, v2
	v_min_u32_e32 v6, 32, v6
	v_lshrrev_b32_e32 v3, 19, v9
	v_subrev_u32_e32 v7, 28, v6
	v_and_b32_e32 v3, 15, v3
	v_lshlrev_b32_sdwa v7, v7, v9 dst_sel:DWORD dst_unused:UNUSED_PAD src0_sel:DWORD src1_sel:WORD_1
	v_bfe_u32 v4, v9, 19, 4
	v_sub_u32_e32 v6, 29, v6
	v_and_b32_e32 v7, 7, v7
	v_cmp_eq_u16_e32 vcc, 0, v3
	v_cndmask_b32_e32 v2, v2, v7, vcc
	v_cndmask_b32_e32 v3, v4, v6, vcc
	v_lshlrev_b32_e32 v4, 8, v9
	v_mov_b32_e32 v6, 0x3b800000
	v_lshlrev_b32_e32 v2, 20, v2
	v_and_b32_e32 v4, 0x80000000, v4
	v_lshl_add_u32 v3, v3, 23, v6
	v_or3_b32 v2, v4, v3, v2
.LBB21_1012:
	s_or_b64 exec, exec, s[6:7]
	s_movk_i32 s4, 0xff
	v_and_b32_sdwa v3, v5, s4 dst_sel:DWORD dst_unused:UNUSED_PAD src0_sel:WORD_1 src1_sel:DWORD
	s_movk_i32 s4, 0x7f
	v_cmp_lt_i16_e32 vcc, s4, v3
	s_mov_b64 s[4:5], 0
                                        ; implicit-def: $sgpr10
	s_and_saveexec_b64 s[6:7], vcc
	s_xor_b64 s[6:7], exec, s[6:7]
	s_cbranch_execnz .LBB21_3061
; %bb.1013:
	s_or_saveexec_b64 s[6:7], s[6:7]
	v_mov_b32_e32 v4, s10
	s_xor_b64 exec, exec, s[6:7]
	s_cbranch_execnz .LBB21_3064
.LBB21_1014:
	s_or_b64 exec, exec, s[6:7]
	s_and_saveexec_b64 s[6:7], s[4:5]
	s_cbranch_execz .LBB21_1016
.LBB21_1015:
	v_bfe_u32 v3, v5, 16, 3
	v_ffbh_u32_e32 v7, v3
	v_min_u32_e32 v7, 32, v7
	v_lshrrev_b32_e32 v4, 19, v5
	v_subrev_u32_e32 v8, 28, v7
	v_and_b32_e32 v4, 15, v4
	v_lshlrev_b32_sdwa v8, v8, v5 dst_sel:DWORD dst_unused:UNUSED_PAD src0_sel:DWORD src1_sel:WORD_1
	v_bfe_u32 v6, v5, 19, 4
	v_sub_u32_e32 v7, 29, v7
	v_and_b32_e32 v8, 7, v8
	v_cmp_eq_u16_e32 vcc, 0, v4
	v_cndmask_b32_e32 v3, v3, v8, vcc
	v_cndmask_b32_e32 v4, v6, v7, vcc
	v_lshlrev_b32_e32 v6, 8, v5
	v_mov_b32_e32 v7, 0x3b800000
	v_lshlrev_b32_e32 v3, 20, v3
	v_and_b32_e32 v6, 0x80000000, v6
	v_lshl_add_u32 v4, v4, 23, v7
	v_or3_b32 v4, v6, v4, v3
.LBB21_1016:
	s_or_b64 exec, exec, s[6:7]
	s_nop 0
	v_mfma_f32_16x16x4f32 a[0:3], v2, v4, a[0:3]
	s_movk_i32 s4, 0x7f
	v_cmp_gt_i16_sdwa s[6:7], v9, s4 src0_sel:BYTE_3 src1_sel:DWORD
	s_mov_b64 s[4:5], 0
                                        ; implicit-def: $sgpr10
	s_and_saveexec_b64 s[8:9], s[6:7]
	s_xor_b64 s[6:7], exec, s[8:9]
	s_cbranch_execnz .LBB21_3065
; %bb.1017:
	s_or_saveexec_b64 s[6:7], s[6:7]
	v_mov_b32_e32 v2, s10
	s_xor_b64 exec, exec, s[6:7]
	s_cbranch_execnz .LBB21_3068
.LBB21_1018:
	s_or_b64 exec, exec, s[6:7]
	s_and_saveexec_b64 s[6:7], s[4:5]
	s_cbranch_execz .LBB21_1020
.LBB21_1019:
	v_bfe_u32 v2, v9, 24, 3
	v_ffbh_u32_e32 v7, v2
	v_min_u32_e32 v7, 32, v7
	v_lshrrev_b32_e32 v4, 27, v9
	v_subrev_u32_e32 v8, 28, v7
	v_and_b32_e32 v4, 15, v4
	v_lshlrev_b32_sdwa v8, v8, v9 dst_sel:DWORD dst_unused:UNUSED_PAD src0_sel:DWORD src1_sel:BYTE_3
	v_bfe_u32 v6, v9, 27, 4
	v_sub_u32_e32 v7, 29, v7
	v_and_b32_e32 v8, 7, v8
	v_cmp_eq_u16_e32 vcc, 0, v4
	v_cndmask_b32_e32 v2, v2, v8, vcc
	v_cndmask_b32_e32 v4, v6, v7, vcc
	v_mov_b32_e32 v6, 0x3b800000
	v_and_b32_e32 v3, 0x80000000, v9
	v_lshlrev_b32_e32 v2, 20, v2
	v_lshl_add_u32 v4, v4, 23, v6
	v_or3_b32 v2, v3, v4, v2
.LBB21_1020:
	s_or_b64 exec, exec, s[6:7]
	s_movk_i32 s4, 0x7f
	v_cmp_gt_i16_sdwa s[6:7], v5, s4 src0_sel:BYTE_3 src1_sel:DWORD
	s_mov_b64 s[4:5], 0
                                        ; implicit-def: $sgpr10
	s_and_saveexec_b64 s[8:9], s[6:7]
	s_xor_b64 s[6:7], exec, s[8:9]
	s_cbranch_execnz .LBB21_3069
; %bb.1021:
	s_or_saveexec_b64 s[6:7], s[6:7]
	v_mov_b32_e32 v3, s10
	s_xor_b64 exec, exec, s[6:7]
	s_cbranch_execnz .LBB21_3072
.LBB21_1022:
	s_or_b64 exec, exec, s[6:7]
	s_and_saveexec_b64 s[6:7], s[4:5]
	s_cbranch_execz .LBB21_1024
.LBB21_1023:
	v_bfe_u32 v3, v5, 24, 3
	v_ffbh_u32_e32 v8, v3
	v_min_u32_e32 v8, 32, v8
	v_lshrrev_b32_e32 v6, 27, v5
	v_subrev_u32_e32 v9, 28, v8
	v_and_b32_e32 v4, 0x80000000, v5
	v_and_b32_e32 v6, 15, v6
	v_bfe_u32 v7, v5, 27, 4
	v_lshlrev_b32_sdwa v5, v9, v5 dst_sel:DWORD dst_unused:UNUSED_PAD src0_sel:DWORD src1_sel:BYTE_3
	v_sub_u32_e32 v8, 29, v8
	v_and_b32_e32 v5, 7, v5
	v_cmp_eq_u16_e32 vcc, 0, v6
	v_cndmask_b32_e32 v3, v3, v5, vcc
	v_cndmask_b32_e32 v5, v7, v8, vcc
	v_mov_b32_e32 v6, 0x3b800000
	v_lshlrev_b32_e32 v3, 20, v3
	v_lshl_add_u32 v5, v5, 23, v6
	v_or3_b32 v3, v4, v5, v3
.LBB21_1024:
	s_or_b64 exec, exec, s[6:7]
	s_nop 0
	v_mfma_f32_16x16x4f32 a[0:3], v2, v3, a[0:3]
	s_movk_i32 s4, 0x7f
                                        ; implicit-def: $sgpr10
	s_nop 7
	s_nop 1
	flat_store_dwordx4 v[18:19], a[0:3] offset:432
	flat_load_dwordx4 v[20:23], v[0:1] offset:8
	s_nop 0
	flat_load_dwordx2 v[18:19], v[0:1] offset:24
	s_waitcnt vmcnt(0) lgkmcnt(0)
	flat_load_dwordx4 v[14:17], v[20:21] offset:32
	flat_load_dwordx4 v[6:9], v[20:21] offset:48
	;; [unrolled: 1-line block ×4, first 2 shown]
	s_waitcnt vmcnt(0) lgkmcnt(0)
	v_cmp_gt_i16_sdwa s[6:7], v14, s4 src0_sel:BYTE_0 src1_sel:DWORD
	s_mov_b64 s[4:5], 0
	s_and_saveexec_b64 s[8:9], s[6:7]
	s_xor_b64 s[6:7], exec, s[8:9]
	s_cbranch_execnz .LBB21_3073
; %bb.1025:
	s_or_saveexec_b64 s[6:7], s[6:7]
	v_mov_b32_e32 v20, s10
	s_xor_b64 exec, exec, s[6:7]
	s_cbranch_execnz .LBB21_3076
.LBB21_1026:
	s_or_b64 exec, exec, s[6:7]
	s_and_saveexec_b64 s[6:7], s[4:5]
	s_cbranch_execz .LBB21_1028
.LBB21_1027:
	v_and_b32_e32 v20, 7, v14
	v_ffbh_u32_e32 v22, v20
	v_min_u32_e32 v22, 32, v22
	v_lshrrev_b16_e32 v21, 3, v14
	v_subrev_u32_e32 v23, 28, v22
	v_and_b32_e32 v21, 15, v21
	v_lshlrev_b32_e32 v23, v23, v14
	v_sub_u32_e32 v22, 29, v22
	v_and_b32_e32 v23, 7, v23
	v_cmp_eq_u16_e32 vcc, 0, v21
	v_cndmask_b32_e32 v20, v20, v23, vcc
	v_cndmask_b32_e32 v21, v21, v22, vcc
	v_lshlrev_b32_e32 v22, 24, v14
	v_mov_b32_e32 v23, 0x3b800000
	v_lshlrev_b32_e32 v20, 20, v20
	v_and_b32_e32 v22, 0x80000000, v22
	v_lshl_add_u32 v21, v21, 23, v23
	v_or3_b32 v20, v22, v21, v20
.LBB21_1028:
	s_or_b64 exec, exec, s[6:7]
	s_movk_i32 s4, 0x7f
	v_cmp_gt_i16_sdwa s[6:7], v10, s4 src0_sel:BYTE_0 src1_sel:DWORD
	s_mov_b64 s[4:5], 0
                                        ; implicit-def: $sgpr10
	s_and_saveexec_b64 s[8:9], s[6:7]
	s_xor_b64 s[6:7], exec, s[8:9]
	s_cbranch_execnz .LBB21_3077
; %bb.1029:
	s_or_saveexec_b64 s[6:7], s[6:7]
	v_mov_b32_e32 v21, s10
	s_xor_b64 exec, exec, s[6:7]
	s_cbranch_execnz .LBB21_3080
.LBB21_1030:
	s_or_b64 exec, exec, s[6:7]
	s_and_saveexec_b64 s[6:7], s[4:5]
	s_cbranch_execz .LBB21_1032
.LBB21_1031:
	v_and_b32_e32 v21, 7, v10
	v_ffbh_u32_e32 v23, v21
	v_min_u32_e32 v23, 32, v23
	v_lshrrev_b16_e32 v22, 3, v10
	v_subrev_u32_e32 v24, 28, v23
	v_and_b32_e32 v22, 15, v22
	v_lshlrev_b32_e32 v24, v24, v10
	v_sub_u32_e32 v23, 29, v23
	v_and_b32_e32 v24, 7, v24
	v_cmp_eq_u16_e32 vcc, 0, v22
	v_cndmask_b32_e32 v21, v21, v24, vcc
	v_cndmask_b32_e32 v22, v22, v23, vcc
	v_lshlrev_b32_e32 v23, 24, v10
	v_mov_b32_e32 v24, 0x3b800000
	v_lshlrev_b32_e32 v21, 20, v21
	v_and_b32_e32 v23, 0x80000000, v23
	v_lshl_add_u32 v22, v22, 23, v24
	v_or3_b32 v21, v23, v22, v21
.LBB21_1032:
	s_or_b64 exec, exec, s[6:7]
	flat_load_dwordx4 a[0:3], v[18:19] offset:448
	s_movk_i32 s4, 0x7f
                                        ; implicit-def: $sgpr10
	s_waitcnt vmcnt(0) lgkmcnt(0)
	v_mfma_f32_16x16x4f32 a[0:3], v20, v21, a[0:3]
	v_lshrrev_b32_e32 v21, 8, v14
	v_cmp_gt_i16_sdwa s[6:7], v21, s4 src0_sel:BYTE_0 src1_sel:DWORD
	s_mov_b64 s[4:5], 0
	s_and_saveexec_b64 s[8:9], s[6:7]
	s_xor_b64 s[6:7], exec, s[8:9]
	s_cbranch_execnz .LBB21_3081
; %bb.1033:
	s_or_saveexec_b64 s[6:7], s[6:7]
	v_mov_b32_e32 v20, s10
	s_xor_b64 exec, exec, s[6:7]
	s_cbranch_execnz .LBB21_3084
.LBB21_1034:
	s_or_b64 exec, exec, s[6:7]
	s_and_saveexec_b64 s[6:7], s[4:5]
	s_cbranch_execz .LBB21_1036
.LBB21_1035:
	v_bfe_u32 v20, v14, 8, 3
	v_ffbh_u32_e32 v23, v20
	v_min_u32_e32 v23, 32, v23
	v_lshrrev_b16_e32 v22, 3, v21
	v_subrev_u32_e32 v24, 28, v23
	v_and_b32_e32 v22, 15, v22
	v_lshlrev_b32_e32 v21, v24, v21
	v_sub_u32_e32 v23, 29, v23
	v_and_b32_e32 v21, 7, v21
	v_cmp_eq_u16_e32 vcc, 0, v22
	v_cndmask_b32_e32 v20, v20, v21, vcc
	v_cndmask_b32_e32 v21, v22, v23, vcc
	v_lshlrev_b32_e32 v22, 16, v14
	v_mov_b32_e32 v23, 0x3b800000
	v_lshlrev_b32_e32 v20, 20, v20
	v_and_b32_e32 v22, 0x80000000, v22
	v_lshl_add_u32 v21, v21, 23, v23
	v_or3_b32 v20, v22, v21, v20
.LBB21_1036:
	s_or_b64 exec, exec, s[6:7]
	v_lshrrev_b32_e32 v21, 8, v10
	s_movk_i32 s4, 0x7f
	v_cmp_gt_i16_sdwa s[6:7], v21, s4 src0_sel:BYTE_0 src1_sel:DWORD
	s_mov_b64 s[4:5], 0
                                        ; implicit-def: $sgpr10
	s_and_saveexec_b64 s[8:9], s[6:7]
	s_xor_b64 s[6:7], exec, s[8:9]
	s_cbranch_execnz .LBB21_3085
; %bb.1037:
	s_or_saveexec_b64 s[6:7], s[6:7]
	v_mov_b32_e32 v22, s10
	s_xor_b64 exec, exec, s[6:7]
	s_cbranch_execnz .LBB21_3088
.LBB21_1038:
	s_or_b64 exec, exec, s[6:7]
	s_and_saveexec_b64 s[6:7], s[4:5]
	s_cbranch_execz .LBB21_1040
.LBB21_1039:
	v_bfe_u32 v22, v10, 8, 3
	v_ffbh_u32_e32 v24, v22
	v_min_u32_e32 v24, 32, v24
	v_lshrrev_b16_e32 v23, 3, v21
	v_subrev_u32_e32 v25, 28, v24
	v_and_b32_e32 v23, 15, v23
	v_lshlrev_b32_e32 v21, v25, v21
	v_sub_u32_e32 v24, 29, v24
	v_and_b32_e32 v21, 7, v21
	v_cmp_eq_u16_e32 vcc, 0, v23
	v_cndmask_b32_e32 v21, v22, v21, vcc
	v_cndmask_b32_e32 v22, v23, v24, vcc
	v_lshlrev_b32_e32 v23, 16, v10
	v_mov_b32_e32 v24, 0x3b800000
	v_lshlrev_b32_e32 v21, 20, v21
	v_and_b32_e32 v23, 0x80000000, v23
	v_lshl_add_u32 v22, v22, 23, v24
	v_or3_b32 v22, v23, v22, v21
.LBB21_1040:
	s_or_b64 exec, exec, s[6:7]
	s_nop 0
	v_mfma_f32_16x16x4f32 a[0:3], v20, v22, a[0:3]
	s_movk_i32 s4, 0xff
	v_and_b32_sdwa v21, v14, s4 dst_sel:DWORD dst_unused:UNUSED_PAD src0_sel:WORD_1 src1_sel:DWORD
	s_movk_i32 s4, 0x7f
	v_cmp_lt_i16_e32 vcc, s4, v21
	s_mov_b64 s[4:5], 0
                                        ; implicit-def: $sgpr10
	s_and_saveexec_b64 s[6:7], vcc
	s_xor_b64 s[6:7], exec, s[6:7]
	s_cbranch_execnz .LBB21_3089
; %bb.1041:
	s_or_saveexec_b64 s[6:7], s[6:7]
	v_mov_b32_e32 v20, s10
	s_xor_b64 exec, exec, s[6:7]
	s_cbranch_execnz .LBB21_3092
.LBB21_1042:
	s_or_b64 exec, exec, s[6:7]
	s_and_saveexec_b64 s[6:7], s[4:5]
	s_cbranch_execz .LBB21_1044
.LBB21_1043:
	v_bfe_u32 v20, v14, 16, 3
	v_ffbh_u32_e32 v23, v20
	v_min_u32_e32 v23, 32, v23
	v_lshrrev_b32_e32 v21, 19, v14
	v_subrev_u32_e32 v24, 28, v23
	v_and_b32_e32 v21, 15, v21
	v_lshlrev_b32_sdwa v24, v24, v14 dst_sel:DWORD dst_unused:UNUSED_PAD src0_sel:DWORD src1_sel:WORD_1
	v_bfe_u32 v22, v14, 19, 4
	v_sub_u32_e32 v23, 29, v23
	v_and_b32_e32 v24, 7, v24
	v_cmp_eq_u16_e32 vcc, 0, v21
	v_cndmask_b32_e32 v20, v20, v24, vcc
	v_cndmask_b32_e32 v21, v22, v23, vcc
	v_lshlrev_b32_e32 v22, 8, v14
	v_mov_b32_e32 v23, 0x3b800000
	v_lshlrev_b32_e32 v20, 20, v20
	v_and_b32_e32 v22, 0x80000000, v22
	v_lshl_add_u32 v21, v21, 23, v23
	v_or3_b32 v20, v22, v21, v20
.LBB21_1044:
	s_or_b64 exec, exec, s[6:7]
	s_movk_i32 s4, 0xff
	v_and_b32_sdwa v21, v10, s4 dst_sel:DWORD dst_unused:UNUSED_PAD src0_sel:WORD_1 src1_sel:DWORD
	s_movk_i32 s4, 0x7f
	v_cmp_lt_i16_e32 vcc, s4, v21
	s_mov_b64 s[4:5], 0
                                        ; implicit-def: $sgpr10
	s_and_saveexec_b64 s[6:7], vcc
	s_xor_b64 s[6:7], exec, s[6:7]
	s_cbranch_execnz .LBB21_3093
; %bb.1045:
	s_or_saveexec_b64 s[6:7], s[6:7]
	v_mov_b32_e32 v22, s10
	s_xor_b64 exec, exec, s[6:7]
	s_cbranch_execnz .LBB21_3096
.LBB21_1046:
	s_or_b64 exec, exec, s[6:7]
	s_and_saveexec_b64 s[6:7], s[4:5]
	s_cbranch_execz .LBB21_1048
.LBB21_1047:
	v_bfe_u32 v21, v10, 16, 3
	v_ffbh_u32_e32 v24, v21
	v_min_u32_e32 v24, 32, v24
	v_lshrrev_b32_e32 v22, 19, v10
	v_subrev_u32_e32 v25, 28, v24
	v_and_b32_e32 v22, 15, v22
	v_lshlrev_b32_sdwa v25, v25, v10 dst_sel:DWORD dst_unused:UNUSED_PAD src0_sel:DWORD src1_sel:WORD_1
	v_bfe_u32 v23, v10, 19, 4
	v_sub_u32_e32 v24, 29, v24
	v_and_b32_e32 v25, 7, v25
	v_cmp_eq_u16_e32 vcc, 0, v22
	v_cndmask_b32_e32 v21, v21, v25, vcc
	v_cndmask_b32_e32 v22, v23, v24, vcc
	v_lshlrev_b32_e32 v23, 8, v10
	v_mov_b32_e32 v24, 0x3b800000
	v_lshlrev_b32_e32 v21, 20, v21
	v_and_b32_e32 v23, 0x80000000, v23
	v_lshl_add_u32 v22, v22, 23, v24
	v_or3_b32 v22, v23, v22, v21
.LBB21_1048:
	s_or_b64 exec, exec, s[6:7]
	s_nop 0
	v_mfma_f32_16x16x4f32 a[0:3], v20, v22, a[0:3]
	s_movk_i32 s4, 0x7f
	v_cmp_gt_i16_sdwa s[6:7], v14, s4 src0_sel:BYTE_3 src1_sel:DWORD
	s_mov_b64 s[4:5], 0
                                        ; implicit-def: $sgpr10
	s_and_saveexec_b64 s[8:9], s[6:7]
	s_xor_b64 s[6:7], exec, s[8:9]
	s_cbranch_execnz .LBB21_3097
; %bb.1049:
	s_or_saveexec_b64 s[6:7], s[6:7]
	v_mov_b32_e32 v20, s10
	s_xor_b64 exec, exec, s[6:7]
	s_cbranch_execnz .LBB21_3100
.LBB21_1050:
	s_or_b64 exec, exec, s[6:7]
	s_and_saveexec_b64 s[6:7], s[4:5]
	s_cbranch_execz .LBB21_1052
.LBB21_1051:
	v_bfe_u32 v20, v14, 24, 3
	v_ffbh_u32_e32 v24, v20
	v_min_u32_e32 v24, 32, v24
	v_lshrrev_b32_e32 v22, 27, v14
	v_subrev_u32_e32 v25, 28, v24
	v_and_b32_e32 v21, 0x80000000, v14
	v_and_b32_e32 v22, 15, v22
	v_bfe_u32 v23, v14, 27, 4
	v_lshlrev_b32_sdwa v14, v25, v14 dst_sel:DWORD dst_unused:UNUSED_PAD src0_sel:DWORD src1_sel:BYTE_3
	v_sub_u32_e32 v24, 29, v24
	v_and_b32_e32 v14, 7, v14
	v_cmp_eq_u16_e32 vcc, 0, v22
	v_cndmask_b32_e32 v14, v20, v14, vcc
	v_cndmask_b32_e32 v20, v23, v24, vcc
	v_mov_b32_e32 v22, 0x3b800000
	v_lshlrev_b32_e32 v14, 20, v14
	v_lshl_add_u32 v20, v20, 23, v22
	v_or3_b32 v20, v21, v20, v14
.LBB21_1052:
	s_or_b64 exec, exec, s[6:7]
	s_movk_i32 s4, 0x7f
	v_cmp_gt_i16_sdwa s[6:7], v10, s4 src0_sel:BYTE_3 src1_sel:DWORD
	s_mov_b64 s[4:5], 0
                                        ; implicit-def: $sgpr10
	s_and_saveexec_b64 s[8:9], s[6:7]
	s_xor_b64 s[6:7], exec, s[8:9]
	s_cbranch_execnz .LBB21_3101
; %bb.1053:
	s_or_saveexec_b64 s[6:7], s[6:7]
	v_mov_b32_e32 v14, s10
	s_xor_b64 exec, exec, s[6:7]
	s_cbranch_execnz .LBB21_3104
.LBB21_1054:
	s_or_b64 exec, exec, s[6:7]
	s_and_saveexec_b64 s[6:7], s[4:5]
	s_cbranch_execz .LBB21_1056
.LBB21_1055:
	v_bfe_u32 v14, v10, 24, 3
	v_ffbh_u32_e32 v24, v14
	v_min_u32_e32 v24, 32, v24
	v_lshrrev_b32_e32 v22, 27, v10
	v_subrev_u32_e32 v25, 28, v24
	v_and_b32_e32 v21, 0x80000000, v10
	v_and_b32_e32 v22, 15, v22
	v_bfe_u32 v23, v10, 27, 4
	v_lshlrev_b32_sdwa v10, v25, v10 dst_sel:DWORD dst_unused:UNUSED_PAD src0_sel:DWORD src1_sel:BYTE_3
	v_sub_u32_e32 v24, 29, v24
	v_and_b32_e32 v10, 7, v10
	v_cmp_eq_u16_e32 vcc, 0, v22
	v_cndmask_b32_e32 v10, v14, v10, vcc
	v_cndmask_b32_e32 v14, v23, v24, vcc
	v_mov_b32_e32 v22, 0x3b800000
	v_lshlrev_b32_e32 v10, 20, v10
	v_lshl_add_u32 v14, v14, 23, v22
	v_or3_b32 v14, v21, v14, v10
.LBB21_1056:
	s_or_b64 exec, exec, s[6:7]
	s_nop 0
	v_mfma_f32_16x16x4f32 a[0:3], v20, v14, a[0:3]
	s_movk_i32 s4, 0x7f
	v_cmp_gt_i16_sdwa s[6:7], v15, s4 src0_sel:BYTE_0 src1_sel:DWORD
	s_mov_b64 s[4:5], 0
                                        ; implicit-def: $sgpr10
	s_and_saveexec_b64 s[8:9], s[6:7]
	s_xor_b64 s[6:7], exec, s[8:9]
	s_cbranch_execnz .LBB21_3105
; %bb.1057:
	s_or_saveexec_b64 s[6:7], s[6:7]
	v_mov_b32_e32 v10, s10
	s_xor_b64 exec, exec, s[6:7]
	s_cbranch_execnz .LBB21_3108
.LBB21_1058:
	s_or_b64 exec, exec, s[6:7]
	s_and_saveexec_b64 s[6:7], s[4:5]
	s_cbranch_execz .LBB21_1060
.LBB21_1059:
	v_and_b32_e32 v10, 7, v15
	v_ffbh_u32_e32 v20, v10
	v_min_u32_e32 v20, 32, v20
	v_lshrrev_b16_e32 v14, 3, v15
	v_subrev_u32_e32 v21, 28, v20
	v_and_b32_e32 v14, 15, v14
	v_lshlrev_b32_e32 v21, v21, v15
	v_sub_u32_e32 v20, 29, v20
	v_and_b32_e32 v21, 7, v21
	v_cmp_eq_u16_e32 vcc, 0, v14
	v_cndmask_b32_e32 v10, v10, v21, vcc
	v_cndmask_b32_e32 v14, v14, v20, vcc
	v_lshlrev_b32_e32 v20, 24, v15
	v_mov_b32_e32 v21, 0x3b800000
	v_lshlrev_b32_e32 v10, 20, v10
	v_and_b32_e32 v20, 0x80000000, v20
	v_lshl_add_u32 v14, v14, 23, v21
	v_or3_b32 v10, v20, v14, v10
.LBB21_1060:
	s_or_b64 exec, exec, s[6:7]
	s_movk_i32 s4, 0x7f
	v_cmp_gt_i16_sdwa s[6:7], v11, s4 src0_sel:BYTE_0 src1_sel:DWORD
	s_mov_b64 s[4:5], 0
                                        ; implicit-def: $sgpr10
	s_and_saveexec_b64 s[8:9], s[6:7]
	s_xor_b64 s[6:7], exec, s[8:9]
	s_cbranch_execnz .LBB21_3109
; %bb.1061:
	s_or_saveexec_b64 s[6:7], s[6:7]
	v_mov_b32_e32 v14, s10
	s_xor_b64 exec, exec, s[6:7]
	s_cbranch_execnz .LBB21_3112
.LBB21_1062:
	s_or_b64 exec, exec, s[6:7]
	s_and_saveexec_b64 s[6:7], s[4:5]
	s_cbranch_execz .LBB21_1064
.LBB21_1063:
	v_and_b32_e32 v14, 7, v11
	v_ffbh_u32_e32 v21, v14
	v_min_u32_e32 v21, 32, v21
	v_lshrrev_b16_e32 v20, 3, v11
	v_subrev_u32_e32 v22, 28, v21
	v_and_b32_e32 v20, 15, v20
	v_lshlrev_b32_e32 v22, v22, v11
	v_sub_u32_e32 v21, 29, v21
	v_and_b32_e32 v22, 7, v22
	v_cmp_eq_u16_e32 vcc, 0, v20
	v_cndmask_b32_e32 v14, v14, v22, vcc
	v_cndmask_b32_e32 v20, v20, v21, vcc
	v_lshlrev_b32_e32 v21, 24, v11
	v_mov_b32_e32 v22, 0x3b800000
	v_lshlrev_b32_e32 v14, 20, v14
	v_and_b32_e32 v21, 0x80000000, v21
	v_lshl_add_u32 v20, v20, 23, v22
	v_or3_b32 v14, v21, v20, v14
.LBB21_1064:
	s_or_b64 exec, exec, s[6:7]
	s_nop 0
	v_mfma_f32_16x16x4f32 a[0:3], v10, v14, a[0:3]
	v_lshrrev_b32_e32 v14, 8, v15
	s_movk_i32 s4, 0x7f
	v_cmp_gt_i16_sdwa s[6:7], v14, s4 src0_sel:BYTE_0 src1_sel:DWORD
	s_mov_b64 s[4:5], 0
                                        ; implicit-def: $sgpr10
	s_and_saveexec_b64 s[8:9], s[6:7]
	s_xor_b64 s[6:7], exec, s[8:9]
	s_cbranch_execnz .LBB21_3113
; %bb.1065:
	s_or_saveexec_b64 s[6:7], s[6:7]
	v_mov_b32_e32 v10, s10
	s_xor_b64 exec, exec, s[6:7]
	s_cbranch_execnz .LBB21_3116
.LBB21_1066:
	s_or_b64 exec, exec, s[6:7]
	s_and_saveexec_b64 s[6:7], s[4:5]
	s_cbranch_execz .LBB21_1068
.LBB21_1067:
	v_bfe_u32 v10, v15, 8, 3
	v_ffbh_u32_e32 v21, v10
	v_min_u32_e32 v21, 32, v21
	v_lshrrev_b16_e32 v20, 3, v14
	v_subrev_u32_e32 v22, 28, v21
	v_and_b32_e32 v20, 15, v20
	v_lshlrev_b32_e32 v14, v22, v14
	v_sub_u32_e32 v21, 29, v21
	v_and_b32_e32 v14, 7, v14
	v_cmp_eq_u16_e32 vcc, 0, v20
	v_cndmask_b32_e32 v10, v10, v14, vcc
	v_cndmask_b32_e32 v14, v20, v21, vcc
	v_lshlrev_b32_e32 v20, 16, v15
	v_mov_b32_e32 v21, 0x3b800000
	v_lshlrev_b32_e32 v10, 20, v10
	v_and_b32_e32 v20, 0x80000000, v20
	v_lshl_add_u32 v14, v14, 23, v21
	v_or3_b32 v10, v20, v14, v10
.LBB21_1068:
	s_or_b64 exec, exec, s[6:7]
	v_lshrrev_b32_e32 v14, 8, v11
	s_movk_i32 s4, 0x7f
	v_cmp_gt_i16_sdwa s[6:7], v14, s4 src0_sel:BYTE_0 src1_sel:DWORD
	s_mov_b64 s[4:5], 0
                                        ; implicit-def: $sgpr10
	s_and_saveexec_b64 s[8:9], s[6:7]
	s_xor_b64 s[6:7], exec, s[8:9]
	s_cbranch_execnz .LBB21_3117
; %bb.1069:
	s_or_saveexec_b64 s[6:7], s[6:7]
	v_mov_b32_e32 v20, s10
	s_xor_b64 exec, exec, s[6:7]
	s_cbranch_execnz .LBB21_3120
.LBB21_1070:
	s_or_b64 exec, exec, s[6:7]
	s_and_saveexec_b64 s[6:7], s[4:5]
	s_cbranch_execz .LBB21_1072
.LBB21_1071:
	v_bfe_u32 v20, v11, 8, 3
	v_ffbh_u32_e32 v22, v20
	v_min_u32_e32 v22, 32, v22
	v_lshrrev_b16_e32 v21, 3, v14
	v_subrev_u32_e32 v23, 28, v22
	v_and_b32_e32 v21, 15, v21
	v_lshlrev_b32_e32 v14, v23, v14
	v_sub_u32_e32 v22, 29, v22
	v_and_b32_e32 v14, 7, v14
	v_cmp_eq_u16_e32 vcc, 0, v21
	v_cndmask_b32_e32 v14, v20, v14, vcc
	v_cndmask_b32_e32 v20, v21, v22, vcc
	v_lshlrev_b32_e32 v21, 16, v11
	v_mov_b32_e32 v22, 0x3b800000
	v_lshlrev_b32_e32 v14, 20, v14
	v_and_b32_e32 v21, 0x80000000, v21
	v_lshl_add_u32 v20, v20, 23, v22
	v_or3_b32 v20, v21, v20, v14
.LBB21_1072:
	s_or_b64 exec, exec, s[6:7]
	s_nop 0
	v_mfma_f32_16x16x4f32 a[0:3], v10, v20, a[0:3]
	s_movk_i32 s4, 0xff
	v_and_b32_sdwa v14, v15, s4 dst_sel:DWORD dst_unused:UNUSED_PAD src0_sel:WORD_1 src1_sel:DWORD
	s_movk_i32 s4, 0x7f
	v_cmp_lt_i16_e32 vcc, s4, v14
	s_mov_b64 s[4:5], 0
                                        ; implicit-def: $sgpr10
	s_and_saveexec_b64 s[6:7], vcc
	s_xor_b64 s[6:7], exec, s[6:7]
	s_cbranch_execnz .LBB21_3121
; %bb.1073:
	s_or_saveexec_b64 s[6:7], s[6:7]
	v_mov_b32_e32 v10, s10
	s_xor_b64 exec, exec, s[6:7]
	s_cbranch_execnz .LBB21_3124
.LBB21_1074:
	s_or_b64 exec, exec, s[6:7]
	s_and_saveexec_b64 s[6:7], s[4:5]
	s_cbranch_execz .LBB21_1076
.LBB21_1075:
	v_bfe_u32 v10, v15, 16, 3
	v_ffbh_u32_e32 v21, v10
	v_min_u32_e32 v21, 32, v21
	v_lshrrev_b32_e32 v14, 19, v15
	v_subrev_u32_e32 v22, 28, v21
	v_and_b32_e32 v14, 15, v14
	v_lshlrev_b32_sdwa v22, v22, v15 dst_sel:DWORD dst_unused:UNUSED_PAD src0_sel:DWORD src1_sel:WORD_1
	v_bfe_u32 v20, v15, 19, 4
	v_sub_u32_e32 v21, 29, v21
	v_and_b32_e32 v22, 7, v22
	v_cmp_eq_u16_e32 vcc, 0, v14
	v_cndmask_b32_e32 v10, v10, v22, vcc
	v_cndmask_b32_e32 v14, v20, v21, vcc
	v_lshlrev_b32_e32 v20, 8, v15
	v_mov_b32_e32 v21, 0x3b800000
	v_lshlrev_b32_e32 v10, 20, v10
	v_and_b32_e32 v20, 0x80000000, v20
	v_lshl_add_u32 v14, v14, 23, v21
	v_or3_b32 v10, v20, v14, v10
.LBB21_1076:
	s_or_b64 exec, exec, s[6:7]
	s_movk_i32 s4, 0xff
	v_and_b32_sdwa v14, v11, s4 dst_sel:DWORD dst_unused:UNUSED_PAD src0_sel:WORD_1 src1_sel:DWORD
	s_movk_i32 s4, 0x7f
	v_cmp_lt_i16_e32 vcc, s4, v14
	s_mov_b64 s[4:5], 0
                                        ; implicit-def: $sgpr10
	s_and_saveexec_b64 s[6:7], vcc
	s_xor_b64 s[6:7], exec, s[6:7]
	s_cbranch_execnz .LBB21_3125
; %bb.1077:
	s_or_saveexec_b64 s[6:7], s[6:7]
	v_mov_b32_e32 v20, s10
	s_xor_b64 exec, exec, s[6:7]
	s_cbranch_execnz .LBB21_3128
.LBB21_1078:
	s_or_b64 exec, exec, s[6:7]
	s_and_saveexec_b64 s[6:7], s[4:5]
	s_cbranch_execz .LBB21_1080
.LBB21_1079:
	v_bfe_u32 v14, v11, 16, 3
	v_ffbh_u32_e32 v22, v14
	v_min_u32_e32 v22, 32, v22
	v_lshrrev_b32_e32 v20, 19, v11
	v_subrev_u32_e32 v23, 28, v22
	v_and_b32_e32 v20, 15, v20
	v_lshlrev_b32_sdwa v23, v23, v11 dst_sel:DWORD dst_unused:UNUSED_PAD src0_sel:DWORD src1_sel:WORD_1
	v_bfe_u32 v21, v11, 19, 4
	v_sub_u32_e32 v22, 29, v22
	v_and_b32_e32 v23, 7, v23
	v_cmp_eq_u16_e32 vcc, 0, v20
	v_cndmask_b32_e32 v14, v14, v23, vcc
	v_cndmask_b32_e32 v20, v21, v22, vcc
	v_lshlrev_b32_e32 v21, 8, v11
	v_mov_b32_e32 v22, 0x3b800000
	v_lshlrev_b32_e32 v14, 20, v14
	v_and_b32_e32 v21, 0x80000000, v21
	v_lshl_add_u32 v20, v20, 23, v22
	v_or3_b32 v20, v21, v20, v14
.LBB21_1080:
	s_or_b64 exec, exec, s[6:7]
	s_nop 0
	v_mfma_f32_16x16x4f32 a[0:3], v10, v20, a[0:3]
	s_movk_i32 s4, 0x7f
	v_cmp_gt_i16_sdwa s[6:7], v15, s4 src0_sel:BYTE_3 src1_sel:DWORD
	s_mov_b64 s[4:5], 0
                                        ; implicit-def: $sgpr10
	s_and_saveexec_b64 s[8:9], s[6:7]
	s_xor_b64 s[6:7], exec, s[8:9]
	s_cbranch_execnz .LBB21_3129
; %bb.1081:
	s_or_saveexec_b64 s[6:7], s[6:7]
	v_mov_b32_e32 v10, s10
	s_xor_b64 exec, exec, s[6:7]
	s_cbranch_execnz .LBB21_3132
.LBB21_1082:
	s_or_b64 exec, exec, s[6:7]
	s_and_saveexec_b64 s[6:7], s[4:5]
	s_cbranch_execz .LBB21_1084
.LBB21_1083:
	v_bfe_u32 v10, v15, 24, 3
	v_ffbh_u32_e32 v22, v10
	v_min_u32_e32 v22, 32, v22
	v_lshrrev_b32_e32 v20, 27, v15
	v_subrev_u32_e32 v23, 28, v22
	v_and_b32_e32 v14, 0x80000000, v15
	v_and_b32_e32 v20, 15, v20
	v_bfe_u32 v21, v15, 27, 4
	v_lshlrev_b32_sdwa v15, v23, v15 dst_sel:DWORD dst_unused:UNUSED_PAD src0_sel:DWORD src1_sel:BYTE_3
	v_sub_u32_e32 v22, 29, v22
	v_and_b32_e32 v15, 7, v15
	v_cmp_eq_u16_e32 vcc, 0, v20
	v_cndmask_b32_e32 v10, v10, v15, vcc
	v_cndmask_b32_e32 v15, v21, v22, vcc
	v_mov_b32_e32 v20, 0x3b800000
	v_lshlrev_b32_e32 v10, 20, v10
	v_lshl_add_u32 v15, v15, 23, v20
	v_or3_b32 v10, v14, v15, v10
.LBB21_1084:
	s_or_b64 exec, exec, s[6:7]
	s_movk_i32 s4, 0x7f
	v_cmp_gt_i16_sdwa s[6:7], v11, s4 src0_sel:BYTE_3 src1_sel:DWORD
	s_mov_b64 s[4:5], 0
                                        ; implicit-def: $sgpr10
	s_and_saveexec_b64 s[8:9], s[6:7]
	s_xor_b64 s[6:7], exec, s[8:9]
	s_cbranch_execnz .LBB21_3133
; %bb.1085:
	s_or_saveexec_b64 s[6:7], s[6:7]
	v_mov_b32_e32 v14, s10
	s_xor_b64 exec, exec, s[6:7]
	s_cbranch_execnz .LBB21_3136
.LBB21_1086:
	s_or_b64 exec, exec, s[6:7]
	s_and_saveexec_b64 s[6:7], s[4:5]
	s_cbranch_execz .LBB21_1088
.LBB21_1087:
	v_bfe_u32 v14, v11, 24, 3
	v_ffbh_u32_e32 v22, v14
	v_min_u32_e32 v22, 32, v22
	v_lshrrev_b32_e32 v20, 27, v11
	v_subrev_u32_e32 v23, 28, v22
	v_and_b32_e32 v15, 0x80000000, v11
	v_and_b32_e32 v20, 15, v20
	v_bfe_u32 v21, v11, 27, 4
	v_lshlrev_b32_sdwa v11, v23, v11 dst_sel:DWORD dst_unused:UNUSED_PAD src0_sel:DWORD src1_sel:BYTE_3
	v_sub_u32_e32 v22, 29, v22
	v_and_b32_e32 v11, 7, v11
	v_cmp_eq_u16_e32 vcc, 0, v20
	v_cndmask_b32_e32 v11, v14, v11, vcc
	v_cndmask_b32_e32 v14, v21, v22, vcc
	v_mov_b32_e32 v20, 0x3b800000
	v_lshlrev_b32_e32 v11, 20, v11
	v_lshl_add_u32 v14, v14, 23, v20
	v_or3_b32 v14, v15, v14, v11
.LBB21_1088:
	s_or_b64 exec, exec, s[6:7]
	s_nop 0
	v_mfma_f32_16x16x4f32 a[0:3], v10, v14, a[0:3]
	s_movk_i32 s4, 0x7f
	v_cmp_gt_i16_sdwa s[6:7], v16, s4 src0_sel:BYTE_0 src1_sel:DWORD
	s_mov_b64 s[4:5], 0
                                        ; implicit-def: $sgpr10
	s_and_saveexec_b64 s[8:9], s[6:7]
	s_xor_b64 s[6:7], exec, s[8:9]
	s_cbranch_execnz .LBB21_3137
; %bb.1089:
	s_or_saveexec_b64 s[6:7], s[6:7]
	v_mov_b32_e32 v10, s10
	s_xor_b64 exec, exec, s[6:7]
	s_cbranch_execnz .LBB21_3140
.LBB21_1090:
	s_or_b64 exec, exec, s[6:7]
	s_and_saveexec_b64 s[6:7], s[4:5]
	s_cbranch_execz .LBB21_1092
.LBB21_1091:
	v_and_b32_e32 v10, 7, v16
	v_ffbh_u32_e32 v14, v10
	v_min_u32_e32 v14, 32, v14
	v_lshrrev_b16_e32 v11, 3, v16
	v_subrev_u32_e32 v15, 28, v14
	v_and_b32_e32 v11, 15, v11
	v_lshlrev_b32_e32 v15, v15, v16
	v_sub_u32_e32 v14, 29, v14
	v_and_b32_e32 v15, 7, v15
	v_cmp_eq_u16_e32 vcc, 0, v11
	v_cndmask_b32_e32 v10, v10, v15, vcc
	v_cndmask_b32_e32 v11, v11, v14, vcc
	v_lshlrev_b32_e32 v14, 24, v16
	v_mov_b32_e32 v15, 0x3b800000
	v_lshlrev_b32_e32 v10, 20, v10
	v_and_b32_e32 v14, 0x80000000, v14
	v_lshl_add_u32 v11, v11, 23, v15
	v_or3_b32 v10, v14, v11, v10
.LBB21_1092:
	s_or_b64 exec, exec, s[6:7]
	s_movk_i32 s4, 0x7f
	v_cmp_gt_i16_sdwa s[6:7], v12, s4 src0_sel:BYTE_0 src1_sel:DWORD
	s_mov_b64 s[4:5], 0
                                        ; implicit-def: $sgpr10
	s_and_saveexec_b64 s[8:9], s[6:7]
	s_xor_b64 s[6:7], exec, s[8:9]
	s_cbranch_execnz .LBB21_3141
; %bb.1093:
	s_or_saveexec_b64 s[6:7], s[6:7]
	v_mov_b32_e32 v11, s10
	s_xor_b64 exec, exec, s[6:7]
	s_cbranch_execnz .LBB21_3144
.LBB21_1094:
	s_or_b64 exec, exec, s[6:7]
	s_and_saveexec_b64 s[6:7], s[4:5]
	s_cbranch_execz .LBB21_1096
.LBB21_1095:
	v_and_b32_e32 v11, 7, v12
	v_ffbh_u32_e32 v15, v11
	v_min_u32_e32 v15, 32, v15
	v_lshrrev_b16_e32 v14, 3, v12
	v_subrev_u32_e32 v20, 28, v15
	v_and_b32_e32 v14, 15, v14
	v_lshlrev_b32_e32 v20, v20, v12
	v_sub_u32_e32 v15, 29, v15
	v_and_b32_e32 v20, 7, v20
	v_cmp_eq_u16_e32 vcc, 0, v14
	v_cndmask_b32_e32 v11, v11, v20, vcc
	v_cndmask_b32_e32 v14, v14, v15, vcc
	v_lshlrev_b32_e32 v15, 24, v12
	v_mov_b32_e32 v20, 0x3b800000
	v_lshlrev_b32_e32 v11, 20, v11
	v_and_b32_e32 v15, 0x80000000, v15
	v_lshl_add_u32 v14, v14, 23, v20
	v_or3_b32 v11, v15, v14, v11
.LBB21_1096:
	s_or_b64 exec, exec, s[6:7]
	s_nop 0
	v_mfma_f32_16x16x4f32 a[0:3], v10, v11, a[0:3]
	v_lshrrev_b32_e32 v11, 8, v16
	s_movk_i32 s4, 0x7f
	v_cmp_gt_i16_sdwa s[6:7], v11, s4 src0_sel:BYTE_0 src1_sel:DWORD
	s_mov_b64 s[4:5], 0
                                        ; implicit-def: $sgpr10
	s_and_saveexec_b64 s[8:9], s[6:7]
	s_xor_b64 s[6:7], exec, s[8:9]
	s_cbranch_execnz .LBB21_3145
; %bb.1097:
	s_or_saveexec_b64 s[6:7], s[6:7]
	v_mov_b32_e32 v10, s10
	s_xor_b64 exec, exec, s[6:7]
	s_cbranch_execnz .LBB21_3148
.LBB21_1098:
	s_or_b64 exec, exec, s[6:7]
	s_and_saveexec_b64 s[6:7], s[4:5]
	s_cbranch_execz .LBB21_1100
.LBB21_1099:
	v_bfe_u32 v10, v16, 8, 3
	v_ffbh_u32_e32 v15, v10
	v_min_u32_e32 v15, 32, v15
	v_lshrrev_b16_e32 v14, 3, v11
	v_subrev_u32_e32 v20, 28, v15
	v_and_b32_e32 v14, 15, v14
	v_lshlrev_b32_e32 v11, v20, v11
	v_sub_u32_e32 v15, 29, v15
	v_and_b32_e32 v11, 7, v11
	v_cmp_eq_u16_e32 vcc, 0, v14
	v_cndmask_b32_e32 v10, v10, v11, vcc
	v_cndmask_b32_e32 v11, v14, v15, vcc
	v_lshlrev_b32_e32 v14, 16, v16
	v_mov_b32_e32 v15, 0x3b800000
	v_lshlrev_b32_e32 v10, 20, v10
	v_and_b32_e32 v14, 0x80000000, v14
	v_lshl_add_u32 v11, v11, 23, v15
	v_or3_b32 v10, v14, v11, v10
.LBB21_1100:
	s_or_b64 exec, exec, s[6:7]
	v_lshrrev_b32_e32 v11, 8, v12
	s_movk_i32 s4, 0x7f
	v_cmp_gt_i16_sdwa s[6:7], v11, s4 src0_sel:BYTE_0 src1_sel:DWORD
	s_mov_b64 s[4:5], 0
                                        ; implicit-def: $sgpr10
	s_and_saveexec_b64 s[8:9], s[6:7]
	s_xor_b64 s[6:7], exec, s[8:9]
	s_cbranch_execnz .LBB21_3149
; %bb.1101:
	s_or_saveexec_b64 s[6:7], s[6:7]
	v_mov_b32_e32 v14, s10
	s_xor_b64 exec, exec, s[6:7]
	s_cbranch_execnz .LBB21_3152
.LBB21_1102:
	s_or_b64 exec, exec, s[6:7]
	s_and_saveexec_b64 s[6:7], s[4:5]
	s_cbranch_execz .LBB21_1104
.LBB21_1103:
	v_bfe_u32 v14, v12, 8, 3
	v_ffbh_u32_e32 v20, v14
	v_min_u32_e32 v20, 32, v20
	v_lshrrev_b16_e32 v15, 3, v11
	v_subrev_u32_e32 v21, 28, v20
	v_and_b32_e32 v15, 15, v15
	v_lshlrev_b32_e32 v11, v21, v11
	v_sub_u32_e32 v20, 29, v20
	v_and_b32_e32 v11, 7, v11
	v_cmp_eq_u16_e32 vcc, 0, v15
	v_cndmask_b32_e32 v11, v14, v11, vcc
	v_cndmask_b32_e32 v14, v15, v20, vcc
	v_lshlrev_b32_e32 v15, 16, v12
	v_mov_b32_e32 v20, 0x3b800000
	v_lshlrev_b32_e32 v11, 20, v11
	v_and_b32_e32 v15, 0x80000000, v15
	v_lshl_add_u32 v14, v14, 23, v20
	v_or3_b32 v14, v15, v14, v11
.LBB21_1104:
	s_or_b64 exec, exec, s[6:7]
	s_nop 0
	v_mfma_f32_16x16x4f32 a[0:3], v10, v14, a[0:3]
	s_movk_i32 s4, 0xff
	v_and_b32_sdwa v11, v16, s4 dst_sel:DWORD dst_unused:UNUSED_PAD src0_sel:WORD_1 src1_sel:DWORD
	s_movk_i32 s4, 0x7f
	v_cmp_lt_i16_e32 vcc, s4, v11
	s_mov_b64 s[4:5], 0
                                        ; implicit-def: $sgpr10
	s_and_saveexec_b64 s[6:7], vcc
	s_xor_b64 s[6:7], exec, s[6:7]
	s_cbranch_execnz .LBB21_3153
; %bb.1105:
	s_or_saveexec_b64 s[6:7], s[6:7]
	v_mov_b32_e32 v10, s10
	s_xor_b64 exec, exec, s[6:7]
	s_cbranch_execnz .LBB21_3156
.LBB21_1106:
	s_or_b64 exec, exec, s[6:7]
	s_and_saveexec_b64 s[6:7], s[4:5]
	s_cbranch_execz .LBB21_1108
.LBB21_1107:
	v_bfe_u32 v10, v16, 16, 3
	v_ffbh_u32_e32 v15, v10
	v_min_u32_e32 v15, 32, v15
	v_lshrrev_b32_e32 v11, 19, v16
	v_subrev_u32_e32 v20, 28, v15
	v_and_b32_e32 v11, 15, v11
	v_lshlrev_b32_sdwa v20, v20, v16 dst_sel:DWORD dst_unused:UNUSED_PAD src0_sel:DWORD src1_sel:WORD_1
	v_bfe_u32 v14, v16, 19, 4
	v_sub_u32_e32 v15, 29, v15
	v_and_b32_e32 v20, 7, v20
	v_cmp_eq_u16_e32 vcc, 0, v11
	v_cndmask_b32_e32 v10, v10, v20, vcc
	v_cndmask_b32_e32 v11, v14, v15, vcc
	v_lshlrev_b32_e32 v14, 8, v16
	v_mov_b32_e32 v15, 0x3b800000
	v_lshlrev_b32_e32 v10, 20, v10
	v_and_b32_e32 v14, 0x80000000, v14
	v_lshl_add_u32 v11, v11, 23, v15
	v_or3_b32 v10, v14, v11, v10
.LBB21_1108:
	s_or_b64 exec, exec, s[6:7]
	s_movk_i32 s4, 0xff
	v_and_b32_sdwa v11, v12, s4 dst_sel:DWORD dst_unused:UNUSED_PAD src0_sel:WORD_1 src1_sel:DWORD
	s_movk_i32 s4, 0x7f
	v_cmp_lt_i16_e32 vcc, s4, v11
	s_mov_b64 s[4:5], 0
                                        ; implicit-def: $sgpr10
	s_and_saveexec_b64 s[6:7], vcc
	s_xor_b64 s[6:7], exec, s[6:7]
	s_cbranch_execnz .LBB21_3157
; %bb.1109:
	s_or_saveexec_b64 s[6:7], s[6:7]
	v_mov_b32_e32 v14, s10
	s_xor_b64 exec, exec, s[6:7]
	s_cbranch_execnz .LBB21_3160
.LBB21_1110:
	s_or_b64 exec, exec, s[6:7]
	s_and_saveexec_b64 s[6:7], s[4:5]
	s_cbranch_execz .LBB21_1112
.LBB21_1111:
	v_bfe_u32 v11, v12, 16, 3
	v_ffbh_u32_e32 v20, v11
	v_min_u32_e32 v20, 32, v20
	v_lshrrev_b32_e32 v14, 19, v12
	v_subrev_u32_e32 v21, 28, v20
	v_and_b32_e32 v14, 15, v14
	v_lshlrev_b32_sdwa v21, v21, v12 dst_sel:DWORD dst_unused:UNUSED_PAD src0_sel:DWORD src1_sel:WORD_1
	v_bfe_u32 v15, v12, 19, 4
	v_sub_u32_e32 v20, 29, v20
	v_and_b32_e32 v21, 7, v21
	v_cmp_eq_u16_e32 vcc, 0, v14
	v_cndmask_b32_e32 v11, v11, v21, vcc
	v_cndmask_b32_e32 v14, v15, v20, vcc
	v_lshlrev_b32_e32 v15, 8, v12
	v_mov_b32_e32 v20, 0x3b800000
	v_lshlrev_b32_e32 v11, 20, v11
	v_and_b32_e32 v15, 0x80000000, v15
	v_lshl_add_u32 v14, v14, 23, v20
	v_or3_b32 v14, v15, v14, v11
.LBB21_1112:
	s_or_b64 exec, exec, s[6:7]
	s_nop 0
	v_mfma_f32_16x16x4f32 a[0:3], v10, v14, a[0:3]
	s_movk_i32 s4, 0x7f
	v_cmp_gt_i16_sdwa s[6:7], v16, s4 src0_sel:BYTE_3 src1_sel:DWORD
	s_mov_b64 s[4:5], 0
                                        ; implicit-def: $sgpr10
	s_and_saveexec_b64 s[8:9], s[6:7]
	s_xor_b64 s[6:7], exec, s[8:9]
	s_cbranch_execnz .LBB21_3161
; %bb.1113:
	s_or_saveexec_b64 s[6:7], s[6:7]
	v_mov_b32_e32 v10, s10
	s_xor_b64 exec, exec, s[6:7]
	s_cbranch_execnz .LBB21_3164
.LBB21_1114:
	s_or_b64 exec, exec, s[6:7]
	s_and_saveexec_b64 s[6:7], s[4:5]
	s_cbranch_execz .LBB21_1116
.LBB21_1115:
	v_bfe_u32 v10, v16, 24, 3
	v_ffbh_u32_e32 v20, v10
	v_min_u32_e32 v20, 32, v20
	v_lshrrev_b32_e32 v14, 27, v16
	v_subrev_u32_e32 v21, 28, v20
	v_and_b32_e32 v11, 0x80000000, v16
	v_and_b32_e32 v14, 15, v14
	v_bfe_u32 v15, v16, 27, 4
	v_lshlrev_b32_sdwa v16, v21, v16 dst_sel:DWORD dst_unused:UNUSED_PAD src0_sel:DWORD src1_sel:BYTE_3
	v_sub_u32_e32 v20, 29, v20
	v_and_b32_e32 v16, 7, v16
	v_cmp_eq_u16_e32 vcc, 0, v14
	v_cndmask_b32_e32 v10, v10, v16, vcc
	v_cndmask_b32_e32 v14, v15, v20, vcc
	v_mov_b32_e32 v15, 0x3b800000
	v_lshlrev_b32_e32 v10, 20, v10
	v_lshl_add_u32 v14, v14, 23, v15
	v_or3_b32 v10, v11, v14, v10
.LBB21_1116:
	s_or_b64 exec, exec, s[6:7]
	s_movk_i32 s4, 0x7f
	v_cmp_gt_i16_sdwa s[6:7], v12, s4 src0_sel:BYTE_3 src1_sel:DWORD
	s_mov_b64 s[4:5], 0
                                        ; implicit-def: $sgpr10
	s_and_saveexec_b64 s[8:9], s[6:7]
	s_xor_b64 s[6:7], exec, s[8:9]
	s_cbranch_execnz .LBB21_3165
; %bb.1117:
	s_or_saveexec_b64 s[6:7], s[6:7]
	v_mov_b32_e32 v11, s10
	s_xor_b64 exec, exec, s[6:7]
	s_cbranch_execnz .LBB21_3168
.LBB21_1118:
	s_or_b64 exec, exec, s[6:7]
	s_and_saveexec_b64 s[6:7], s[4:5]
	s_cbranch_execz .LBB21_1120
.LBB21_1119:
	v_bfe_u32 v11, v12, 24, 3
	v_ffbh_u32_e32 v20, v11
	v_min_u32_e32 v20, 32, v20
	v_lshrrev_b32_e32 v15, 27, v12
	v_subrev_u32_e32 v21, 28, v20
	v_and_b32_e32 v14, 0x80000000, v12
	v_and_b32_e32 v15, 15, v15
	v_bfe_u32 v16, v12, 27, 4
	v_lshlrev_b32_sdwa v12, v21, v12 dst_sel:DWORD dst_unused:UNUSED_PAD src0_sel:DWORD src1_sel:BYTE_3
	v_sub_u32_e32 v20, 29, v20
	v_and_b32_e32 v12, 7, v12
	v_cmp_eq_u16_e32 vcc, 0, v15
	v_cndmask_b32_e32 v11, v11, v12, vcc
	v_cndmask_b32_e32 v12, v16, v20, vcc
	v_mov_b32_e32 v15, 0x3b800000
	v_lshlrev_b32_e32 v11, 20, v11
	v_lshl_add_u32 v12, v12, 23, v15
	v_or3_b32 v11, v14, v12, v11
.LBB21_1120:
	s_or_b64 exec, exec, s[6:7]
	s_nop 0
	v_mfma_f32_16x16x4f32 a[0:3], v10, v11, a[0:3]
	s_movk_i32 s4, 0x7f
	v_cmp_gt_i16_sdwa s[6:7], v17, s4 src0_sel:BYTE_0 src1_sel:DWORD
	s_mov_b64 s[4:5], 0
                                        ; implicit-def: $sgpr10
	s_and_saveexec_b64 s[8:9], s[6:7]
	s_xor_b64 s[6:7], exec, s[8:9]
	s_cbranch_execnz .LBB21_3169
; %bb.1121:
	s_or_saveexec_b64 s[6:7], s[6:7]
	v_mov_b32_e32 v10, s10
	s_xor_b64 exec, exec, s[6:7]
	s_cbranch_execnz .LBB21_3172
.LBB21_1122:
	s_or_b64 exec, exec, s[6:7]
	s_and_saveexec_b64 s[6:7], s[4:5]
	s_cbranch_execz .LBB21_1124
.LBB21_1123:
	v_and_b32_e32 v10, 7, v17
	v_ffbh_u32_e32 v12, v10
	v_min_u32_e32 v12, 32, v12
	v_lshrrev_b16_e32 v11, 3, v17
	v_subrev_u32_e32 v14, 28, v12
	v_and_b32_e32 v11, 15, v11
	v_lshlrev_b32_e32 v14, v14, v17
	v_sub_u32_e32 v12, 29, v12
	v_and_b32_e32 v14, 7, v14
	v_cmp_eq_u16_e32 vcc, 0, v11
	v_cndmask_b32_e32 v10, v10, v14, vcc
	v_cndmask_b32_e32 v11, v11, v12, vcc
	v_lshlrev_b32_e32 v12, 24, v17
	v_mov_b32_e32 v14, 0x3b800000
	v_lshlrev_b32_e32 v10, 20, v10
	v_and_b32_e32 v12, 0x80000000, v12
	v_lshl_add_u32 v11, v11, 23, v14
	v_or3_b32 v10, v12, v11, v10
.LBB21_1124:
	s_or_b64 exec, exec, s[6:7]
	s_movk_i32 s4, 0x7f
	v_cmp_gt_i16_sdwa s[6:7], v13, s4 src0_sel:BYTE_0 src1_sel:DWORD
	s_mov_b64 s[4:5], 0
                                        ; implicit-def: $sgpr10
	s_and_saveexec_b64 s[8:9], s[6:7]
	s_xor_b64 s[6:7], exec, s[8:9]
	s_cbranch_execnz .LBB21_3173
; %bb.1125:
	s_or_saveexec_b64 s[6:7], s[6:7]
	v_mov_b32_e32 v11, s10
	s_xor_b64 exec, exec, s[6:7]
	s_cbranch_execnz .LBB21_3176
.LBB21_1126:
	s_or_b64 exec, exec, s[6:7]
	s_and_saveexec_b64 s[6:7], s[4:5]
	s_cbranch_execz .LBB21_1128
.LBB21_1127:
	v_and_b32_e32 v11, 7, v13
	v_ffbh_u32_e32 v14, v11
	v_min_u32_e32 v14, 32, v14
	v_lshrrev_b16_e32 v12, 3, v13
	v_subrev_u32_e32 v15, 28, v14
	v_and_b32_e32 v12, 15, v12
	v_lshlrev_b32_e32 v15, v15, v13
	v_sub_u32_e32 v14, 29, v14
	v_and_b32_e32 v15, 7, v15
	v_cmp_eq_u16_e32 vcc, 0, v12
	v_cndmask_b32_e32 v11, v11, v15, vcc
	v_cndmask_b32_e32 v12, v12, v14, vcc
	v_lshlrev_b32_e32 v14, 24, v13
	v_mov_b32_e32 v15, 0x3b800000
	v_lshlrev_b32_e32 v11, 20, v11
	v_and_b32_e32 v14, 0x80000000, v14
	v_lshl_add_u32 v12, v12, 23, v15
	v_or3_b32 v11, v14, v12, v11
.LBB21_1128:
	s_or_b64 exec, exec, s[6:7]
	s_nop 0
	v_mfma_f32_16x16x4f32 a[0:3], v10, v11, a[0:3]
	v_lshrrev_b32_e32 v11, 8, v17
	s_movk_i32 s4, 0x7f
	v_cmp_gt_i16_sdwa s[6:7], v11, s4 src0_sel:BYTE_0 src1_sel:DWORD
	s_mov_b64 s[4:5], 0
                                        ; implicit-def: $sgpr10
	s_and_saveexec_b64 s[8:9], s[6:7]
	s_xor_b64 s[6:7], exec, s[8:9]
	s_cbranch_execnz .LBB21_3177
; %bb.1129:
	s_or_saveexec_b64 s[6:7], s[6:7]
	v_mov_b32_e32 v10, s10
	s_xor_b64 exec, exec, s[6:7]
	s_cbranch_execnz .LBB21_3180
.LBB21_1130:
	s_or_b64 exec, exec, s[6:7]
	s_and_saveexec_b64 s[6:7], s[4:5]
	s_cbranch_execz .LBB21_1132
.LBB21_1131:
	v_bfe_u32 v10, v17, 8, 3
	v_ffbh_u32_e32 v14, v10
	v_min_u32_e32 v14, 32, v14
	v_lshrrev_b16_e32 v12, 3, v11
	v_subrev_u32_e32 v15, 28, v14
	v_and_b32_e32 v12, 15, v12
	v_lshlrev_b32_e32 v11, v15, v11
	v_sub_u32_e32 v14, 29, v14
	v_and_b32_e32 v11, 7, v11
	v_cmp_eq_u16_e32 vcc, 0, v12
	v_cndmask_b32_e32 v10, v10, v11, vcc
	v_cndmask_b32_e32 v11, v12, v14, vcc
	v_lshlrev_b32_e32 v12, 16, v17
	v_mov_b32_e32 v14, 0x3b800000
	v_lshlrev_b32_e32 v10, 20, v10
	v_and_b32_e32 v12, 0x80000000, v12
	v_lshl_add_u32 v11, v11, 23, v14
	v_or3_b32 v10, v12, v11, v10
.LBB21_1132:
	s_or_b64 exec, exec, s[6:7]
	v_lshrrev_b32_e32 v11, 8, v13
	s_movk_i32 s4, 0x7f
	v_cmp_gt_i16_sdwa s[6:7], v11, s4 src0_sel:BYTE_0 src1_sel:DWORD
	s_mov_b64 s[4:5], 0
                                        ; implicit-def: $sgpr10
	s_and_saveexec_b64 s[8:9], s[6:7]
	s_xor_b64 s[6:7], exec, s[8:9]
	s_cbranch_execnz .LBB21_3181
; %bb.1133:
	s_or_saveexec_b64 s[6:7], s[6:7]
	v_mov_b32_e32 v12, s10
	s_xor_b64 exec, exec, s[6:7]
	s_cbranch_execnz .LBB21_3184
.LBB21_1134:
	s_or_b64 exec, exec, s[6:7]
	s_and_saveexec_b64 s[6:7], s[4:5]
	s_cbranch_execz .LBB21_1136
.LBB21_1135:
	v_bfe_u32 v12, v13, 8, 3
	v_ffbh_u32_e32 v15, v12
	v_min_u32_e32 v15, 32, v15
	v_lshrrev_b16_e32 v14, 3, v11
	v_subrev_u32_e32 v16, 28, v15
	v_and_b32_e32 v14, 15, v14
	v_lshlrev_b32_e32 v11, v16, v11
	v_sub_u32_e32 v15, 29, v15
	v_and_b32_e32 v11, 7, v11
	v_cmp_eq_u16_e32 vcc, 0, v14
	v_cndmask_b32_e32 v11, v12, v11, vcc
	v_cndmask_b32_e32 v12, v14, v15, vcc
	v_lshlrev_b32_e32 v14, 16, v13
	v_mov_b32_e32 v15, 0x3b800000
	v_lshlrev_b32_e32 v11, 20, v11
	v_and_b32_e32 v14, 0x80000000, v14
	v_lshl_add_u32 v12, v12, 23, v15
	v_or3_b32 v12, v14, v12, v11
.LBB21_1136:
	s_or_b64 exec, exec, s[6:7]
	s_nop 0
	v_mfma_f32_16x16x4f32 a[0:3], v10, v12, a[0:3]
	s_movk_i32 s4, 0xff
	v_and_b32_sdwa v11, v17, s4 dst_sel:DWORD dst_unused:UNUSED_PAD src0_sel:WORD_1 src1_sel:DWORD
	s_movk_i32 s4, 0x7f
	v_cmp_lt_i16_e32 vcc, s4, v11
	s_mov_b64 s[4:5], 0
                                        ; implicit-def: $sgpr10
	s_and_saveexec_b64 s[6:7], vcc
	s_xor_b64 s[6:7], exec, s[6:7]
	s_cbranch_execnz .LBB21_3185
; %bb.1137:
	s_or_saveexec_b64 s[6:7], s[6:7]
	v_mov_b32_e32 v10, s10
	s_xor_b64 exec, exec, s[6:7]
	s_cbranch_execnz .LBB21_3188
.LBB21_1138:
	s_or_b64 exec, exec, s[6:7]
	s_and_saveexec_b64 s[6:7], s[4:5]
	s_cbranch_execz .LBB21_1140
.LBB21_1139:
	v_bfe_u32 v10, v17, 16, 3
	v_ffbh_u32_e32 v14, v10
	v_min_u32_e32 v14, 32, v14
	v_lshrrev_b32_e32 v11, 19, v17
	v_subrev_u32_e32 v15, 28, v14
	v_and_b32_e32 v11, 15, v11
	v_lshlrev_b32_sdwa v15, v15, v17 dst_sel:DWORD dst_unused:UNUSED_PAD src0_sel:DWORD src1_sel:WORD_1
	v_bfe_u32 v12, v17, 19, 4
	v_sub_u32_e32 v14, 29, v14
	v_and_b32_e32 v15, 7, v15
	v_cmp_eq_u16_e32 vcc, 0, v11
	v_cndmask_b32_e32 v10, v10, v15, vcc
	v_cndmask_b32_e32 v11, v12, v14, vcc
	v_lshlrev_b32_e32 v12, 8, v17
	v_mov_b32_e32 v14, 0x3b800000
	v_lshlrev_b32_e32 v10, 20, v10
	v_and_b32_e32 v12, 0x80000000, v12
	v_lshl_add_u32 v11, v11, 23, v14
	v_or3_b32 v10, v12, v11, v10
.LBB21_1140:
	s_or_b64 exec, exec, s[6:7]
	s_movk_i32 s4, 0xff
	v_and_b32_sdwa v11, v13, s4 dst_sel:DWORD dst_unused:UNUSED_PAD src0_sel:WORD_1 src1_sel:DWORD
	s_movk_i32 s4, 0x7f
	v_cmp_lt_i16_e32 vcc, s4, v11
	s_mov_b64 s[4:5], 0
                                        ; implicit-def: $sgpr10
	s_and_saveexec_b64 s[6:7], vcc
	s_xor_b64 s[6:7], exec, s[6:7]
	s_cbranch_execnz .LBB21_3189
; %bb.1141:
	s_or_saveexec_b64 s[6:7], s[6:7]
	v_mov_b32_e32 v12, s10
	s_xor_b64 exec, exec, s[6:7]
	s_cbranch_execnz .LBB21_3192
.LBB21_1142:
	s_or_b64 exec, exec, s[6:7]
	s_and_saveexec_b64 s[6:7], s[4:5]
	s_cbranch_execz .LBB21_1144
.LBB21_1143:
	v_bfe_u32 v11, v13, 16, 3
	v_ffbh_u32_e32 v15, v11
	v_min_u32_e32 v15, 32, v15
	v_lshrrev_b32_e32 v12, 19, v13
	v_subrev_u32_e32 v16, 28, v15
	v_and_b32_e32 v12, 15, v12
	v_lshlrev_b32_sdwa v16, v16, v13 dst_sel:DWORD dst_unused:UNUSED_PAD src0_sel:DWORD src1_sel:WORD_1
	v_bfe_u32 v14, v13, 19, 4
	v_sub_u32_e32 v15, 29, v15
	v_and_b32_e32 v16, 7, v16
	v_cmp_eq_u16_e32 vcc, 0, v12
	v_cndmask_b32_e32 v11, v11, v16, vcc
	v_cndmask_b32_e32 v12, v14, v15, vcc
	v_lshlrev_b32_e32 v14, 8, v13
	v_mov_b32_e32 v15, 0x3b800000
	v_lshlrev_b32_e32 v11, 20, v11
	v_and_b32_e32 v14, 0x80000000, v14
	v_lshl_add_u32 v12, v12, 23, v15
	v_or3_b32 v12, v14, v12, v11
.LBB21_1144:
	s_or_b64 exec, exec, s[6:7]
	s_nop 0
	v_mfma_f32_16x16x4f32 a[0:3], v10, v12, a[0:3]
	s_movk_i32 s4, 0x7f
	v_cmp_gt_i16_sdwa s[6:7], v17, s4 src0_sel:BYTE_3 src1_sel:DWORD
	s_mov_b64 s[4:5], 0
                                        ; implicit-def: $sgpr10
	s_and_saveexec_b64 s[8:9], s[6:7]
	s_xor_b64 s[6:7], exec, s[8:9]
	s_cbranch_execnz .LBB21_3193
; %bb.1145:
	s_or_saveexec_b64 s[6:7], s[6:7]
	v_mov_b32_e32 v10, s10
	s_xor_b64 exec, exec, s[6:7]
	s_cbranch_execnz .LBB21_3196
.LBB21_1146:
	s_or_b64 exec, exec, s[6:7]
	s_and_saveexec_b64 s[6:7], s[4:5]
	s_cbranch_execz .LBB21_1148
.LBB21_1147:
	v_bfe_u32 v10, v17, 24, 3
	v_ffbh_u32_e32 v15, v10
	v_min_u32_e32 v15, 32, v15
	v_lshrrev_b32_e32 v12, 27, v17
	v_subrev_u32_e32 v16, 28, v15
	v_and_b32_e32 v12, 15, v12
	v_lshlrev_b32_sdwa v16, v16, v17 dst_sel:DWORD dst_unused:UNUSED_PAD src0_sel:DWORD src1_sel:BYTE_3
	v_bfe_u32 v14, v17, 27, 4
	v_sub_u32_e32 v15, 29, v15
	v_and_b32_e32 v16, 7, v16
	v_cmp_eq_u16_e32 vcc, 0, v12
	v_cndmask_b32_e32 v10, v10, v16, vcc
	v_cndmask_b32_e32 v12, v14, v15, vcc
	v_mov_b32_e32 v14, 0x3b800000
	v_and_b32_e32 v11, 0x80000000, v17
	v_lshlrev_b32_e32 v10, 20, v10
	v_lshl_add_u32 v12, v12, 23, v14
	v_or3_b32 v10, v11, v12, v10
.LBB21_1148:
	s_or_b64 exec, exec, s[6:7]
	s_movk_i32 s4, 0x7f
	v_cmp_gt_i16_sdwa s[6:7], v13, s4 src0_sel:BYTE_3 src1_sel:DWORD
	s_mov_b64 s[4:5], 0
                                        ; implicit-def: $sgpr10
	s_and_saveexec_b64 s[8:9], s[6:7]
	s_xor_b64 s[6:7], exec, s[8:9]
	s_cbranch_execnz .LBB21_3197
; %bb.1149:
	s_or_saveexec_b64 s[6:7], s[6:7]
	v_mov_b32_e32 v11, s10
	s_xor_b64 exec, exec, s[6:7]
	s_cbranch_execnz .LBB21_3200
.LBB21_1150:
	s_or_b64 exec, exec, s[6:7]
	s_and_saveexec_b64 s[6:7], s[4:5]
	s_cbranch_execz .LBB21_1152
.LBB21_1151:
	v_bfe_u32 v11, v13, 24, 3
	v_ffbh_u32_e32 v16, v11
	v_min_u32_e32 v16, 32, v16
	v_lshrrev_b32_e32 v14, 27, v13
	v_subrev_u32_e32 v17, 28, v16
	v_and_b32_e32 v12, 0x80000000, v13
	v_and_b32_e32 v14, 15, v14
	v_bfe_u32 v15, v13, 27, 4
	v_lshlrev_b32_sdwa v13, v17, v13 dst_sel:DWORD dst_unused:UNUSED_PAD src0_sel:DWORD src1_sel:BYTE_3
	v_sub_u32_e32 v16, 29, v16
	v_and_b32_e32 v13, 7, v13
	v_cmp_eq_u16_e32 vcc, 0, v14
	v_cndmask_b32_e32 v11, v11, v13, vcc
	v_cndmask_b32_e32 v13, v15, v16, vcc
	v_mov_b32_e32 v14, 0x3b800000
	v_lshlrev_b32_e32 v11, 20, v11
	v_lshl_add_u32 v13, v13, 23, v14
	v_or3_b32 v11, v12, v13, v11
.LBB21_1152:
	s_or_b64 exec, exec, s[6:7]
	s_nop 0
	v_mfma_f32_16x16x4f32 a[0:3], v10, v11, a[0:3]
	s_movk_i32 s4, 0x7f
	v_cmp_gt_i16_sdwa s[6:7], v6, s4 src0_sel:BYTE_0 src1_sel:DWORD
	s_mov_b64 s[4:5], 0
                                        ; implicit-def: $sgpr10
	s_and_saveexec_b64 s[8:9], s[6:7]
	s_xor_b64 s[6:7], exec, s[8:9]
	s_cbranch_execnz .LBB21_3201
; %bb.1153:
	s_or_saveexec_b64 s[6:7], s[6:7]
	v_mov_b32_e32 v10, s10
	s_xor_b64 exec, exec, s[6:7]
	s_cbranch_execnz .LBB21_3204
.LBB21_1154:
	s_or_b64 exec, exec, s[6:7]
	s_and_saveexec_b64 s[6:7], s[4:5]
	s_cbranch_execz .LBB21_1156
.LBB21_1155:
	v_and_b32_e32 v10, 7, v6
	v_ffbh_u32_e32 v12, v10
	v_min_u32_e32 v12, 32, v12
	v_lshrrev_b16_e32 v11, 3, v6
	v_subrev_u32_e32 v13, 28, v12
	v_and_b32_e32 v11, 15, v11
	v_lshlrev_b32_e32 v13, v13, v6
	v_sub_u32_e32 v12, 29, v12
	v_and_b32_e32 v13, 7, v13
	v_cmp_eq_u16_e32 vcc, 0, v11
	v_cndmask_b32_e32 v10, v10, v13, vcc
	v_cndmask_b32_e32 v11, v11, v12, vcc
	v_lshlrev_b32_e32 v12, 24, v6
	v_mov_b32_e32 v13, 0x3b800000
	v_lshlrev_b32_e32 v10, 20, v10
	v_and_b32_e32 v12, 0x80000000, v12
	v_lshl_add_u32 v11, v11, 23, v13
	v_or3_b32 v10, v12, v11, v10
.LBB21_1156:
	s_or_b64 exec, exec, s[6:7]
	s_movk_i32 s4, 0x7f
	v_cmp_gt_i16_sdwa s[6:7], v2, s4 src0_sel:BYTE_0 src1_sel:DWORD
	s_mov_b64 s[4:5], 0
                                        ; implicit-def: $sgpr10
	s_and_saveexec_b64 s[8:9], s[6:7]
	s_xor_b64 s[6:7], exec, s[8:9]
	s_cbranch_execnz .LBB21_3205
; %bb.1157:
	s_or_saveexec_b64 s[6:7], s[6:7]
	v_mov_b32_e32 v11, s10
	s_xor_b64 exec, exec, s[6:7]
	s_cbranch_execnz .LBB21_3208
.LBB21_1158:
	s_or_b64 exec, exec, s[6:7]
	s_and_saveexec_b64 s[6:7], s[4:5]
	s_cbranch_execz .LBB21_1160
.LBB21_1159:
	v_and_b32_e32 v11, 7, v2
	v_ffbh_u32_e32 v13, v11
	v_min_u32_e32 v13, 32, v13
	v_lshrrev_b16_e32 v12, 3, v2
	v_subrev_u32_e32 v14, 28, v13
	v_and_b32_e32 v12, 15, v12
	v_lshlrev_b32_e32 v14, v14, v2
	v_sub_u32_e32 v13, 29, v13
	v_and_b32_e32 v14, 7, v14
	v_cmp_eq_u16_e32 vcc, 0, v12
	v_cndmask_b32_e32 v11, v11, v14, vcc
	v_cndmask_b32_e32 v12, v12, v13, vcc
	v_lshlrev_b32_e32 v13, 24, v2
	v_mov_b32_e32 v14, 0x3b800000
	v_lshlrev_b32_e32 v11, 20, v11
	v_and_b32_e32 v13, 0x80000000, v13
	v_lshl_add_u32 v12, v12, 23, v14
	v_or3_b32 v11, v13, v12, v11
.LBB21_1160:
	s_or_b64 exec, exec, s[6:7]
	s_nop 0
	v_mfma_f32_16x16x4f32 a[0:3], v10, v11, a[0:3]
	v_lshrrev_b32_e32 v11, 8, v6
	s_movk_i32 s4, 0x7f
	v_cmp_gt_i16_sdwa s[6:7], v11, s4 src0_sel:BYTE_0 src1_sel:DWORD
	s_mov_b64 s[4:5], 0
                                        ; implicit-def: $sgpr10
	s_and_saveexec_b64 s[8:9], s[6:7]
	s_xor_b64 s[6:7], exec, s[8:9]
	s_cbranch_execnz .LBB21_3209
; %bb.1161:
	s_or_saveexec_b64 s[6:7], s[6:7]
	v_mov_b32_e32 v10, s10
	s_xor_b64 exec, exec, s[6:7]
	s_cbranch_execnz .LBB21_3212
.LBB21_1162:
	s_or_b64 exec, exec, s[6:7]
	s_and_saveexec_b64 s[6:7], s[4:5]
	s_cbranch_execz .LBB21_1164
.LBB21_1163:
	v_bfe_u32 v10, v6, 8, 3
	v_ffbh_u32_e32 v13, v10
	v_min_u32_e32 v13, 32, v13
	v_lshrrev_b16_e32 v12, 3, v11
	v_subrev_u32_e32 v14, 28, v13
	v_and_b32_e32 v12, 15, v12
	v_lshlrev_b32_e32 v11, v14, v11
	v_sub_u32_e32 v13, 29, v13
	v_and_b32_e32 v11, 7, v11
	v_cmp_eq_u16_e32 vcc, 0, v12
	v_cndmask_b32_e32 v10, v10, v11, vcc
	v_cndmask_b32_e32 v11, v12, v13, vcc
	v_lshlrev_b32_e32 v12, 16, v6
	v_mov_b32_e32 v13, 0x3b800000
	v_lshlrev_b32_e32 v10, 20, v10
	v_and_b32_e32 v12, 0x80000000, v12
	v_lshl_add_u32 v11, v11, 23, v13
	v_or3_b32 v10, v12, v11, v10
.LBB21_1164:
	s_or_b64 exec, exec, s[6:7]
	v_lshrrev_b32_e32 v11, 8, v2
	s_movk_i32 s4, 0x7f
	v_cmp_gt_i16_sdwa s[6:7], v11, s4 src0_sel:BYTE_0 src1_sel:DWORD
	s_mov_b64 s[4:5], 0
                                        ; implicit-def: $sgpr10
	s_and_saveexec_b64 s[8:9], s[6:7]
	s_xor_b64 s[6:7], exec, s[8:9]
	s_cbranch_execnz .LBB21_3213
; %bb.1165:
	s_or_saveexec_b64 s[6:7], s[6:7]
	v_mov_b32_e32 v12, s10
	s_xor_b64 exec, exec, s[6:7]
	s_cbranch_execnz .LBB21_3216
.LBB21_1166:
	s_or_b64 exec, exec, s[6:7]
	s_and_saveexec_b64 s[6:7], s[4:5]
	s_cbranch_execz .LBB21_1168
.LBB21_1167:
	v_bfe_u32 v12, v2, 8, 3
	v_ffbh_u32_e32 v14, v12
	v_min_u32_e32 v14, 32, v14
	v_lshrrev_b16_e32 v13, 3, v11
	v_subrev_u32_e32 v15, 28, v14
	v_and_b32_e32 v13, 15, v13
	v_lshlrev_b32_e32 v11, v15, v11
	v_sub_u32_e32 v14, 29, v14
	v_and_b32_e32 v11, 7, v11
	v_cmp_eq_u16_e32 vcc, 0, v13
	v_cndmask_b32_e32 v11, v12, v11, vcc
	v_cndmask_b32_e32 v12, v13, v14, vcc
	v_lshlrev_b32_e32 v13, 16, v2
	v_mov_b32_e32 v14, 0x3b800000
	v_lshlrev_b32_e32 v11, 20, v11
	v_and_b32_e32 v13, 0x80000000, v13
	v_lshl_add_u32 v12, v12, 23, v14
	v_or3_b32 v12, v13, v12, v11
.LBB21_1168:
	s_or_b64 exec, exec, s[6:7]
	s_nop 0
	v_mfma_f32_16x16x4f32 a[0:3], v10, v12, a[0:3]
	s_movk_i32 s4, 0xff
	v_and_b32_sdwa v11, v6, s4 dst_sel:DWORD dst_unused:UNUSED_PAD src0_sel:WORD_1 src1_sel:DWORD
	s_movk_i32 s4, 0x7f
	v_cmp_lt_i16_e32 vcc, s4, v11
	s_mov_b64 s[4:5], 0
                                        ; implicit-def: $sgpr10
	s_and_saveexec_b64 s[6:7], vcc
	s_xor_b64 s[6:7], exec, s[6:7]
	s_cbranch_execnz .LBB21_3217
; %bb.1169:
	s_or_saveexec_b64 s[6:7], s[6:7]
	v_mov_b32_e32 v10, s10
	s_xor_b64 exec, exec, s[6:7]
	s_cbranch_execnz .LBB21_3220
.LBB21_1170:
	s_or_b64 exec, exec, s[6:7]
	s_and_saveexec_b64 s[6:7], s[4:5]
	s_cbranch_execz .LBB21_1172
.LBB21_1171:
	v_bfe_u32 v10, v6, 16, 3
	v_ffbh_u32_e32 v13, v10
	v_min_u32_e32 v13, 32, v13
	v_lshrrev_b32_e32 v11, 19, v6
	v_subrev_u32_e32 v14, 28, v13
	v_and_b32_e32 v11, 15, v11
	v_lshlrev_b32_sdwa v14, v14, v6 dst_sel:DWORD dst_unused:UNUSED_PAD src0_sel:DWORD src1_sel:WORD_1
	v_bfe_u32 v12, v6, 19, 4
	v_sub_u32_e32 v13, 29, v13
	v_and_b32_e32 v14, 7, v14
	v_cmp_eq_u16_e32 vcc, 0, v11
	v_cndmask_b32_e32 v10, v10, v14, vcc
	v_cndmask_b32_e32 v11, v12, v13, vcc
	v_lshlrev_b32_e32 v12, 8, v6
	v_mov_b32_e32 v13, 0x3b800000
	v_lshlrev_b32_e32 v10, 20, v10
	v_and_b32_e32 v12, 0x80000000, v12
	v_lshl_add_u32 v11, v11, 23, v13
	v_or3_b32 v10, v12, v11, v10
.LBB21_1172:
	s_or_b64 exec, exec, s[6:7]
	s_movk_i32 s4, 0xff
	v_and_b32_sdwa v11, v2, s4 dst_sel:DWORD dst_unused:UNUSED_PAD src0_sel:WORD_1 src1_sel:DWORD
	s_movk_i32 s4, 0x7f
	v_cmp_lt_i16_e32 vcc, s4, v11
	s_mov_b64 s[4:5], 0
                                        ; implicit-def: $sgpr10
	s_and_saveexec_b64 s[6:7], vcc
	s_xor_b64 s[6:7], exec, s[6:7]
	s_cbranch_execnz .LBB21_3221
; %bb.1173:
	s_or_saveexec_b64 s[6:7], s[6:7]
	v_mov_b32_e32 v12, s10
	s_xor_b64 exec, exec, s[6:7]
	s_cbranch_execnz .LBB21_3224
.LBB21_1174:
	s_or_b64 exec, exec, s[6:7]
	s_and_saveexec_b64 s[6:7], s[4:5]
	s_cbranch_execz .LBB21_1176
.LBB21_1175:
	v_bfe_u32 v11, v2, 16, 3
	v_ffbh_u32_e32 v14, v11
	v_min_u32_e32 v14, 32, v14
	v_lshrrev_b32_e32 v12, 19, v2
	v_subrev_u32_e32 v15, 28, v14
	v_and_b32_e32 v12, 15, v12
	v_lshlrev_b32_sdwa v15, v15, v2 dst_sel:DWORD dst_unused:UNUSED_PAD src0_sel:DWORD src1_sel:WORD_1
	v_bfe_u32 v13, v2, 19, 4
	v_sub_u32_e32 v14, 29, v14
	v_and_b32_e32 v15, 7, v15
	v_cmp_eq_u16_e32 vcc, 0, v12
	v_cndmask_b32_e32 v11, v11, v15, vcc
	v_cndmask_b32_e32 v12, v13, v14, vcc
	v_lshlrev_b32_e32 v13, 8, v2
	v_mov_b32_e32 v14, 0x3b800000
	v_lshlrev_b32_e32 v11, 20, v11
	v_and_b32_e32 v13, 0x80000000, v13
	v_lshl_add_u32 v12, v12, 23, v14
	v_or3_b32 v12, v13, v12, v11
.LBB21_1176:
	s_or_b64 exec, exec, s[6:7]
	s_nop 0
	v_mfma_f32_16x16x4f32 a[0:3], v10, v12, a[0:3]
	s_movk_i32 s4, 0x7f
	v_cmp_gt_i16_sdwa s[6:7], v6, s4 src0_sel:BYTE_3 src1_sel:DWORD
	s_mov_b64 s[4:5], 0
                                        ; implicit-def: $sgpr10
	s_and_saveexec_b64 s[8:9], s[6:7]
	s_xor_b64 s[6:7], exec, s[8:9]
	s_cbranch_execnz .LBB21_3225
; %bb.1177:
	s_or_saveexec_b64 s[6:7], s[6:7]
	v_mov_b32_e32 v10, s10
	s_xor_b64 exec, exec, s[6:7]
	s_cbranch_execnz .LBB21_3228
.LBB21_1178:
	s_or_b64 exec, exec, s[6:7]
	s_and_saveexec_b64 s[6:7], s[4:5]
	s_cbranch_execz .LBB21_1180
.LBB21_1179:
	v_bfe_u32 v10, v6, 24, 3
	v_ffbh_u32_e32 v14, v10
	v_min_u32_e32 v14, 32, v14
	v_lshrrev_b32_e32 v12, 27, v6
	v_subrev_u32_e32 v15, 28, v14
	v_and_b32_e32 v11, 0x80000000, v6
	v_and_b32_e32 v12, 15, v12
	v_bfe_u32 v13, v6, 27, 4
	v_lshlrev_b32_sdwa v6, v15, v6 dst_sel:DWORD dst_unused:UNUSED_PAD src0_sel:DWORD src1_sel:BYTE_3
	v_sub_u32_e32 v14, 29, v14
	v_and_b32_e32 v6, 7, v6
	v_cmp_eq_u16_e32 vcc, 0, v12
	v_cndmask_b32_e32 v6, v10, v6, vcc
	v_cndmask_b32_e32 v10, v13, v14, vcc
	v_mov_b32_e32 v12, 0x3b800000
	v_lshlrev_b32_e32 v6, 20, v6
	v_lshl_add_u32 v10, v10, 23, v12
	v_or3_b32 v10, v11, v10, v6
.LBB21_1180:
	s_or_b64 exec, exec, s[6:7]
	s_movk_i32 s4, 0x7f
	v_cmp_gt_i16_sdwa s[6:7], v2, s4 src0_sel:BYTE_3 src1_sel:DWORD
	s_mov_b64 s[4:5], 0
                                        ; implicit-def: $sgpr10
	s_and_saveexec_b64 s[8:9], s[6:7]
	s_xor_b64 s[6:7], exec, s[8:9]
	s_cbranch_execnz .LBB21_3229
; %bb.1181:
	s_or_saveexec_b64 s[6:7], s[6:7]
	v_mov_b32_e32 v6, s10
	s_xor_b64 exec, exec, s[6:7]
	s_cbranch_execnz .LBB21_3232
.LBB21_1182:
	s_or_b64 exec, exec, s[6:7]
	s_and_saveexec_b64 s[6:7], s[4:5]
	s_cbranch_execz .LBB21_1184
.LBB21_1183:
	v_bfe_u32 v6, v2, 24, 3
	v_ffbh_u32_e32 v14, v6
	v_min_u32_e32 v14, 32, v14
	v_lshrrev_b32_e32 v12, 27, v2
	v_subrev_u32_e32 v15, 28, v14
	v_and_b32_e32 v11, 0x80000000, v2
	v_and_b32_e32 v12, 15, v12
	v_bfe_u32 v13, v2, 27, 4
	v_lshlrev_b32_sdwa v2, v15, v2 dst_sel:DWORD dst_unused:UNUSED_PAD src0_sel:DWORD src1_sel:BYTE_3
	v_sub_u32_e32 v14, 29, v14
	v_and_b32_e32 v2, 7, v2
	v_cmp_eq_u16_e32 vcc, 0, v12
	v_cndmask_b32_e32 v2, v6, v2, vcc
	v_cndmask_b32_e32 v6, v13, v14, vcc
	v_mov_b32_e32 v12, 0x3b800000
	v_lshlrev_b32_e32 v2, 20, v2
	v_lshl_add_u32 v6, v6, 23, v12
	v_or3_b32 v6, v11, v6, v2
.LBB21_1184:
	s_or_b64 exec, exec, s[6:7]
	s_nop 0
	v_mfma_f32_16x16x4f32 a[0:3], v10, v6, a[0:3]
	s_movk_i32 s4, 0x7f
	v_cmp_gt_i16_sdwa s[6:7], v7, s4 src0_sel:BYTE_0 src1_sel:DWORD
	s_mov_b64 s[4:5], 0
                                        ; implicit-def: $sgpr10
	s_and_saveexec_b64 s[8:9], s[6:7]
	s_xor_b64 s[6:7], exec, s[8:9]
	s_cbranch_execnz .LBB21_3233
; %bb.1185:
	s_or_saveexec_b64 s[6:7], s[6:7]
	v_mov_b32_e32 v2, s10
	s_xor_b64 exec, exec, s[6:7]
	s_cbranch_execnz .LBB21_3236
.LBB21_1186:
	s_or_b64 exec, exec, s[6:7]
	s_and_saveexec_b64 s[6:7], s[4:5]
	s_cbranch_execz .LBB21_1188
.LBB21_1187:
	v_and_b32_e32 v2, 7, v7
	v_ffbh_u32_e32 v10, v2
	v_min_u32_e32 v10, 32, v10
	v_lshrrev_b16_e32 v6, 3, v7
	v_subrev_u32_e32 v11, 28, v10
	v_and_b32_e32 v6, 15, v6
	v_lshlrev_b32_e32 v11, v11, v7
	v_sub_u32_e32 v10, 29, v10
	v_and_b32_e32 v11, 7, v11
	v_cmp_eq_u16_e32 vcc, 0, v6
	v_cndmask_b32_e32 v2, v2, v11, vcc
	v_cndmask_b32_e32 v6, v6, v10, vcc
	v_lshlrev_b32_e32 v10, 24, v7
	v_mov_b32_e32 v11, 0x3b800000
	v_lshlrev_b32_e32 v2, 20, v2
	v_and_b32_e32 v10, 0x80000000, v10
	v_lshl_add_u32 v6, v6, 23, v11
	v_or3_b32 v2, v10, v6, v2
.LBB21_1188:
	s_or_b64 exec, exec, s[6:7]
	s_movk_i32 s4, 0x7f
	v_cmp_gt_i16_sdwa s[6:7], v3, s4 src0_sel:BYTE_0 src1_sel:DWORD
	s_mov_b64 s[4:5], 0
                                        ; implicit-def: $sgpr10
	s_and_saveexec_b64 s[8:9], s[6:7]
	s_xor_b64 s[6:7], exec, s[8:9]
	s_cbranch_execnz .LBB21_3237
; %bb.1189:
	s_or_saveexec_b64 s[6:7], s[6:7]
	v_mov_b32_e32 v6, s10
	s_xor_b64 exec, exec, s[6:7]
	s_cbranch_execnz .LBB21_3240
.LBB21_1190:
	s_or_b64 exec, exec, s[6:7]
	s_and_saveexec_b64 s[6:7], s[4:5]
	s_cbranch_execz .LBB21_1192
.LBB21_1191:
	v_and_b32_e32 v6, 7, v3
	v_ffbh_u32_e32 v11, v6
	v_min_u32_e32 v11, 32, v11
	v_lshrrev_b16_e32 v10, 3, v3
	v_subrev_u32_e32 v12, 28, v11
	v_and_b32_e32 v10, 15, v10
	v_lshlrev_b32_e32 v12, v12, v3
	v_sub_u32_e32 v11, 29, v11
	v_and_b32_e32 v12, 7, v12
	v_cmp_eq_u16_e32 vcc, 0, v10
	v_cndmask_b32_e32 v6, v6, v12, vcc
	v_cndmask_b32_e32 v10, v10, v11, vcc
	v_lshlrev_b32_e32 v11, 24, v3
	v_mov_b32_e32 v12, 0x3b800000
	v_lshlrev_b32_e32 v6, 20, v6
	v_and_b32_e32 v11, 0x80000000, v11
	v_lshl_add_u32 v10, v10, 23, v12
	v_or3_b32 v6, v11, v10, v6
.LBB21_1192:
	s_or_b64 exec, exec, s[6:7]
	s_nop 0
	v_mfma_f32_16x16x4f32 a[0:3], v2, v6, a[0:3]
	v_lshrrev_b32_e32 v6, 8, v7
	s_movk_i32 s4, 0x7f
	v_cmp_gt_i16_sdwa s[6:7], v6, s4 src0_sel:BYTE_0 src1_sel:DWORD
	s_mov_b64 s[4:5], 0
                                        ; implicit-def: $sgpr10
	s_and_saveexec_b64 s[8:9], s[6:7]
	s_xor_b64 s[6:7], exec, s[8:9]
	s_cbranch_execnz .LBB21_3241
; %bb.1193:
	s_or_saveexec_b64 s[6:7], s[6:7]
	v_mov_b32_e32 v2, s10
	s_xor_b64 exec, exec, s[6:7]
	s_cbranch_execnz .LBB21_3244
.LBB21_1194:
	s_or_b64 exec, exec, s[6:7]
	s_and_saveexec_b64 s[6:7], s[4:5]
	s_cbranch_execz .LBB21_1196
.LBB21_1195:
	v_bfe_u32 v2, v7, 8, 3
	v_ffbh_u32_e32 v11, v2
	v_min_u32_e32 v11, 32, v11
	v_lshrrev_b16_e32 v10, 3, v6
	v_subrev_u32_e32 v12, 28, v11
	v_and_b32_e32 v10, 15, v10
	v_lshlrev_b32_e32 v6, v12, v6
	v_sub_u32_e32 v11, 29, v11
	v_and_b32_e32 v6, 7, v6
	v_cmp_eq_u16_e32 vcc, 0, v10
	v_cndmask_b32_e32 v2, v2, v6, vcc
	v_cndmask_b32_e32 v6, v10, v11, vcc
	v_lshlrev_b32_e32 v10, 16, v7
	v_mov_b32_e32 v11, 0x3b800000
	v_lshlrev_b32_e32 v2, 20, v2
	v_and_b32_e32 v10, 0x80000000, v10
	v_lshl_add_u32 v6, v6, 23, v11
	v_or3_b32 v2, v10, v6, v2
.LBB21_1196:
	s_or_b64 exec, exec, s[6:7]
	v_lshrrev_b32_e32 v6, 8, v3
	s_movk_i32 s4, 0x7f
	v_cmp_gt_i16_sdwa s[6:7], v6, s4 src0_sel:BYTE_0 src1_sel:DWORD
	s_mov_b64 s[4:5], 0
                                        ; implicit-def: $sgpr10
	s_and_saveexec_b64 s[8:9], s[6:7]
	s_xor_b64 s[6:7], exec, s[8:9]
	s_cbranch_execnz .LBB21_3245
; %bb.1197:
	s_or_saveexec_b64 s[6:7], s[6:7]
	v_mov_b32_e32 v10, s10
	s_xor_b64 exec, exec, s[6:7]
	s_cbranch_execnz .LBB21_3248
.LBB21_1198:
	s_or_b64 exec, exec, s[6:7]
	s_and_saveexec_b64 s[6:7], s[4:5]
	s_cbranch_execz .LBB21_1200
.LBB21_1199:
	v_bfe_u32 v10, v3, 8, 3
	v_ffbh_u32_e32 v12, v10
	v_min_u32_e32 v12, 32, v12
	v_lshrrev_b16_e32 v11, 3, v6
	v_subrev_u32_e32 v13, 28, v12
	v_and_b32_e32 v11, 15, v11
	v_lshlrev_b32_e32 v6, v13, v6
	v_sub_u32_e32 v12, 29, v12
	v_and_b32_e32 v6, 7, v6
	v_cmp_eq_u16_e32 vcc, 0, v11
	v_cndmask_b32_e32 v6, v10, v6, vcc
	v_cndmask_b32_e32 v10, v11, v12, vcc
	v_lshlrev_b32_e32 v11, 16, v3
	v_mov_b32_e32 v12, 0x3b800000
	v_lshlrev_b32_e32 v6, 20, v6
	v_and_b32_e32 v11, 0x80000000, v11
	v_lshl_add_u32 v10, v10, 23, v12
	v_or3_b32 v10, v11, v10, v6
.LBB21_1200:
	s_or_b64 exec, exec, s[6:7]
	s_nop 0
	v_mfma_f32_16x16x4f32 a[0:3], v2, v10, a[0:3]
	s_movk_i32 s4, 0xff
	v_and_b32_sdwa v6, v7, s4 dst_sel:DWORD dst_unused:UNUSED_PAD src0_sel:WORD_1 src1_sel:DWORD
	s_movk_i32 s4, 0x7f
	v_cmp_lt_i16_e32 vcc, s4, v6
	s_mov_b64 s[4:5], 0
                                        ; implicit-def: $sgpr10
	s_and_saveexec_b64 s[6:7], vcc
	s_xor_b64 s[6:7], exec, s[6:7]
	s_cbranch_execnz .LBB21_3249
; %bb.1201:
	s_or_saveexec_b64 s[6:7], s[6:7]
	v_mov_b32_e32 v2, s10
	s_xor_b64 exec, exec, s[6:7]
	s_cbranch_execnz .LBB21_3252
.LBB21_1202:
	s_or_b64 exec, exec, s[6:7]
	s_and_saveexec_b64 s[6:7], s[4:5]
	s_cbranch_execz .LBB21_1204
.LBB21_1203:
	v_bfe_u32 v2, v7, 16, 3
	v_ffbh_u32_e32 v11, v2
	v_min_u32_e32 v11, 32, v11
	v_lshrrev_b32_e32 v6, 19, v7
	v_subrev_u32_e32 v12, 28, v11
	v_and_b32_e32 v6, 15, v6
	v_lshlrev_b32_sdwa v12, v12, v7 dst_sel:DWORD dst_unused:UNUSED_PAD src0_sel:DWORD src1_sel:WORD_1
	v_bfe_u32 v10, v7, 19, 4
	v_sub_u32_e32 v11, 29, v11
	v_and_b32_e32 v12, 7, v12
	v_cmp_eq_u16_e32 vcc, 0, v6
	v_cndmask_b32_e32 v2, v2, v12, vcc
	v_cndmask_b32_e32 v6, v10, v11, vcc
	v_lshlrev_b32_e32 v10, 8, v7
	v_mov_b32_e32 v11, 0x3b800000
	v_lshlrev_b32_e32 v2, 20, v2
	v_and_b32_e32 v10, 0x80000000, v10
	v_lshl_add_u32 v6, v6, 23, v11
	v_or3_b32 v2, v10, v6, v2
.LBB21_1204:
	s_or_b64 exec, exec, s[6:7]
	s_movk_i32 s4, 0xff
	v_and_b32_sdwa v6, v3, s4 dst_sel:DWORD dst_unused:UNUSED_PAD src0_sel:WORD_1 src1_sel:DWORD
	s_movk_i32 s4, 0x7f
	v_cmp_lt_i16_e32 vcc, s4, v6
	s_mov_b64 s[4:5], 0
                                        ; implicit-def: $sgpr10
	s_and_saveexec_b64 s[6:7], vcc
	s_xor_b64 s[6:7], exec, s[6:7]
	s_cbranch_execnz .LBB21_3253
; %bb.1205:
	s_or_saveexec_b64 s[6:7], s[6:7]
	v_mov_b32_e32 v10, s10
	s_xor_b64 exec, exec, s[6:7]
	s_cbranch_execnz .LBB21_3256
.LBB21_1206:
	s_or_b64 exec, exec, s[6:7]
	s_and_saveexec_b64 s[6:7], s[4:5]
	s_cbranch_execz .LBB21_1208
.LBB21_1207:
	v_bfe_u32 v6, v3, 16, 3
	v_ffbh_u32_e32 v12, v6
	v_min_u32_e32 v12, 32, v12
	v_lshrrev_b32_e32 v10, 19, v3
	v_subrev_u32_e32 v13, 28, v12
	v_and_b32_e32 v10, 15, v10
	v_lshlrev_b32_sdwa v13, v13, v3 dst_sel:DWORD dst_unused:UNUSED_PAD src0_sel:DWORD src1_sel:WORD_1
	v_bfe_u32 v11, v3, 19, 4
	v_sub_u32_e32 v12, 29, v12
	v_and_b32_e32 v13, 7, v13
	v_cmp_eq_u16_e32 vcc, 0, v10
	v_cndmask_b32_e32 v6, v6, v13, vcc
	v_cndmask_b32_e32 v10, v11, v12, vcc
	v_lshlrev_b32_e32 v11, 8, v3
	v_mov_b32_e32 v12, 0x3b800000
	v_lshlrev_b32_e32 v6, 20, v6
	v_and_b32_e32 v11, 0x80000000, v11
	v_lshl_add_u32 v10, v10, 23, v12
	v_or3_b32 v10, v11, v10, v6
.LBB21_1208:
	s_or_b64 exec, exec, s[6:7]
	s_nop 0
	v_mfma_f32_16x16x4f32 a[0:3], v2, v10, a[0:3]
	s_movk_i32 s4, 0x7f
	v_cmp_gt_i16_sdwa s[6:7], v7, s4 src0_sel:BYTE_3 src1_sel:DWORD
	s_mov_b64 s[4:5], 0
                                        ; implicit-def: $sgpr10
	s_and_saveexec_b64 s[8:9], s[6:7]
	s_xor_b64 s[6:7], exec, s[8:9]
	s_cbranch_execnz .LBB21_3257
; %bb.1209:
	s_or_saveexec_b64 s[6:7], s[6:7]
	v_mov_b32_e32 v2, s10
	s_xor_b64 exec, exec, s[6:7]
	s_cbranch_execnz .LBB21_3260
.LBB21_1210:
	s_or_b64 exec, exec, s[6:7]
	s_and_saveexec_b64 s[6:7], s[4:5]
	s_cbranch_execz .LBB21_1212
.LBB21_1211:
	v_bfe_u32 v2, v7, 24, 3
	v_ffbh_u32_e32 v12, v2
	v_min_u32_e32 v12, 32, v12
	v_lshrrev_b32_e32 v10, 27, v7
	v_subrev_u32_e32 v13, 28, v12
	v_and_b32_e32 v6, 0x80000000, v7
	v_and_b32_e32 v10, 15, v10
	v_bfe_u32 v11, v7, 27, 4
	v_lshlrev_b32_sdwa v7, v13, v7 dst_sel:DWORD dst_unused:UNUSED_PAD src0_sel:DWORD src1_sel:BYTE_3
	v_sub_u32_e32 v12, 29, v12
	v_and_b32_e32 v7, 7, v7
	v_cmp_eq_u16_e32 vcc, 0, v10
	v_cndmask_b32_e32 v2, v2, v7, vcc
	v_cndmask_b32_e32 v7, v11, v12, vcc
	v_mov_b32_e32 v10, 0x3b800000
	v_lshlrev_b32_e32 v2, 20, v2
	v_lshl_add_u32 v7, v7, 23, v10
	v_or3_b32 v2, v6, v7, v2
.LBB21_1212:
	s_or_b64 exec, exec, s[6:7]
	s_movk_i32 s4, 0x7f
	v_cmp_gt_i16_sdwa s[6:7], v3, s4 src0_sel:BYTE_3 src1_sel:DWORD
	s_mov_b64 s[4:5], 0
                                        ; implicit-def: $sgpr10
	s_and_saveexec_b64 s[8:9], s[6:7]
	s_xor_b64 s[6:7], exec, s[8:9]
	s_cbranch_execnz .LBB21_3261
; %bb.1213:
	s_or_saveexec_b64 s[6:7], s[6:7]
	v_mov_b32_e32 v6, s10
	s_xor_b64 exec, exec, s[6:7]
	s_cbranch_execnz .LBB21_3264
.LBB21_1214:
	s_or_b64 exec, exec, s[6:7]
	s_and_saveexec_b64 s[6:7], s[4:5]
	s_cbranch_execz .LBB21_1216
.LBB21_1215:
	v_bfe_u32 v6, v3, 24, 3
	v_ffbh_u32_e32 v12, v6
	v_min_u32_e32 v12, 32, v12
	v_lshrrev_b32_e32 v10, 27, v3
	v_subrev_u32_e32 v13, 28, v12
	v_and_b32_e32 v7, 0x80000000, v3
	v_and_b32_e32 v10, 15, v10
	v_bfe_u32 v11, v3, 27, 4
	v_lshlrev_b32_sdwa v3, v13, v3 dst_sel:DWORD dst_unused:UNUSED_PAD src0_sel:DWORD src1_sel:BYTE_3
	v_sub_u32_e32 v12, 29, v12
	v_and_b32_e32 v3, 7, v3
	v_cmp_eq_u16_e32 vcc, 0, v10
	v_cndmask_b32_e32 v3, v6, v3, vcc
	v_cndmask_b32_e32 v6, v11, v12, vcc
	v_mov_b32_e32 v10, 0x3b800000
	v_lshlrev_b32_e32 v3, 20, v3
	v_lshl_add_u32 v6, v6, 23, v10
	v_or3_b32 v6, v7, v6, v3
.LBB21_1216:
	s_or_b64 exec, exec, s[6:7]
	s_nop 0
	v_mfma_f32_16x16x4f32 a[0:3], v2, v6, a[0:3]
	s_movk_i32 s4, 0x7f
	v_cmp_gt_i16_sdwa s[6:7], v8, s4 src0_sel:BYTE_0 src1_sel:DWORD
	s_mov_b64 s[4:5], 0
                                        ; implicit-def: $sgpr10
	s_and_saveexec_b64 s[8:9], s[6:7]
	s_xor_b64 s[6:7], exec, s[8:9]
	s_cbranch_execnz .LBB21_3265
; %bb.1217:
	s_or_saveexec_b64 s[6:7], s[6:7]
	v_mov_b32_e32 v2, s10
	s_xor_b64 exec, exec, s[6:7]
	s_cbranch_execnz .LBB21_3268
.LBB21_1218:
	s_or_b64 exec, exec, s[6:7]
	s_and_saveexec_b64 s[6:7], s[4:5]
	s_cbranch_execz .LBB21_1220
.LBB21_1219:
	v_and_b32_e32 v2, 7, v8
	v_ffbh_u32_e32 v6, v2
	v_min_u32_e32 v6, 32, v6
	v_lshrrev_b16_e32 v3, 3, v8
	v_subrev_u32_e32 v7, 28, v6
	v_and_b32_e32 v3, 15, v3
	v_lshlrev_b32_e32 v7, v7, v8
	v_sub_u32_e32 v6, 29, v6
	v_and_b32_e32 v7, 7, v7
	v_cmp_eq_u16_e32 vcc, 0, v3
	v_cndmask_b32_e32 v2, v2, v7, vcc
	v_cndmask_b32_e32 v3, v3, v6, vcc
	v_lshlrev_b32_e32 v6, 24, v8
	v_mov_b32_e32 v7, 0x3b800000
	v_lshlrev_b32_e32 v2, 20, v2
	v_and_b32_e32 v6, 0x80000000, v6
	v_lshl_add_u32 v3, v3, 23, v7
	v_or3_b32 v2, v6, v3, v2
.LBB21_1220:
	s_or_b64 exec, exec, s[6:7]
	s_movk_i32 s4, 0x7f
	v_cmp_gt_i16_sdwa s[6:7], v4, s4 src0_sel:BYTE_0 src1_sel:DWORD
	s_mov_b64 s[4:5], 0
                                        ; implicit-def: $sgpr10
	s_and_saveexec_b64 s[8:9], s[6:7]
	s_xor_b64 s[6:7], exec, s[8:9]
	s_cbranch_execnz .LBB21_3269
; %bb.1221:
	s_or_saveexec_b64 s[6:7], s[6:7]
	v_mov_b32_e32 v3, s10
	s_xor_b64 exec, exec, s[6:7]
	s_cbranch_execnz .LBB21_3272
.LBB21_1222:
	s_or_b64 exec, exec, s[6:7]
	s_and_saveexec_b64 s[6:7], s[4:5]
	s_cbranch_execz .LBB21_1224
.LBB21_1223:
	v_and_b32_e32 v3, 7, v4
	v_ffbh_u32_e32 v7, v3
	v_min_u32_e32 v7, 32, v7
	v_lshrrev_b16_e32 v6, 3, v4
	v_subrev_u32_e32 v10, 28, v7
	v_and_b32_e32 v6, 15, v6
	v_lshlrev_b32_e32 v10, v10, v4
	v_sub_u32_e32 v7, 29, v7
	v_and_b32_e32 v10, 7, v10
	v_cmp_eq_u16_e32 vcc, 0, v6
	v_cndmask_b32_e32 v3, v3, v10, vcc
	v_cndmask_b32_e32 v6, v6, v7, vcc
	v_lshlrev_b32_e32 v7, 24, v4
	v_mov_b32_e32 v10, 0x3b800000
	v_lshlrev_b32_e32 v3, 20, v3
	v_and_b32_e32 v7, 0x80000000, v7
	v_lshl_add_u32 v6, v6, 23, v10
	v_or3_b32 v3, v7, v6, v3
.LBB21_1224:
	s_or_b64 exec, exec, s[6:7]
	s_nop 0
	v_mfma_f32_16x16x4f32 a[0:3], v2, v3, a[0:3]
	v_lshrrev_b32_e32 v3, 8, v8
	s_movk_i32 s4, 0x7f
	v_cmp_gt_i16_sdwa s[6:7], v3, s4 src0_sel:BYTE_0 src1_sel:DWORD
	s_mov_b64 s[4:5], 0
                                        ; implicit-def: $sgpr10
	s_and_saveexec_b64 s[8:9], s[6:7]
	s_xor_b64 s[6:7], exec, s[8:9]
	s_cbranch_execnz .LBB21_3273
; %bb.1225:
	s_or_saveexec_b64 s[6:7], s[6:7]
	v_mov_b32_e32 v2, s10
	s_xor_b64 exec, exec, s[6:7]
	s_cbranch_execnz .LBB21_3276
.LBB21_1226:
	s_or_b64 exec, exec, s[6:7]
	s_and_saveexec_b64 s[6:7], s[4:5]
	s_cbranch_execz .LBB21_1228
.LBB21_1227:
	v_bfe_u32 v2, v8, 8, 3
	v_ffbh_u32_e32 v7, v2
	v_min_u32_e32 v7, 32, v7
	v_lshrrev_b16_e32 v6, 3, v3
	v_subrev_u32_e32 v10, 28, v7
	v_and_b32_e32 v6, 15, v6
	v_lshlrev_b32_e32 v3, v10, v3
	v_sub_u32_e32 v7, 29, v7
	v_and_b32_e32 v3, 7, v3
	v_cmp_eq_u16_e32 vcc, 0, v6
	v_cndmask_b32_e32 v2, v2, v3, vcc
	v_cndmask_b32_e32 v3, v6, v7, vcc
	v_lshlrev_b32_e32 v6, 16, v8
	v_mov_b32_e32 v7, 0x3b800000
	v_lshlrev_b32_e32 v2, 20, v2
	v_and_b32_e32 v6, 0x80000000, v6
	v_lshl_add_u32 v3, v3, 23, v7
	v_or3_b32 v2, v6, v3, v2
.LBB21_1228:
	s_or_b64 exec, exec, s[6:7]
	v_lshrrev_b32_e32 v3, 8, v4
	s_movk_i32 s4, 0x7f
	v_cmp_gt_i16_sdwa s[6:7], v3, s4 src0_sel:BYTE_0 src1_sel:DWORD
	s_mov_b64 s[4:5], 0
                                        ; implicit-def: $sgpr10
	s_and_saveexec_b64 s[8:9], s[6:7]
	s_xor_b64 s[6:7], exec, s[8:9]
	s_cbranch_execnz .LBB21_3277
; %bb.1229:
	s_or_saveexec_b64 s[6:7], s[6:7]
	v_mov_b32_e32 v6, s10
	s_xor_b64 exec, exec, s[6:7]
	s_cbranch_execnz .LBB21_3280
.LBB21_1230:
	s_or_b64 exec, exec, s[6:7]
	s_and_saveexec_b64 s[6:7], s[4:5]
	s_cbranch_execz .LBB21_1232
.LBB21_1231:
	v_bfe_u32 v6, v4, 8, 3
	v_ffbh_u32_e32 v10, v6
	v_min_u32_e32 v10, 32, v10
	v_lshrrev_b16_e32 v7, 3, v3
	v_subrev_u32_e32 v11, 28, v10
	v_and_b32_e32 v7, 15, v7
	v_lshlrev_b32_e32 v3, v11, v3
	v_sub_u32_e32 v10, 29, v10
	v_and_b32_e32 v3, 7, v3
	v_cmp_eq_u16_e32 vcc, 0, v7
	v_cndmask_b32_e32 v3, v6, v3, vcc
	v_cndmask_b32_e32 v6, v7, v10, vcc
	v_lshlrev_b32_e32 v7, 16, v4
	v_mov_b32_e32 v10, 0x3b800000
	v_lshlrev_b32_e32 v3, 20, v3
	v_and_b32_e32 v7, 0x80000000, v7
	v_lshl_add_u32 v6, v6, 23, v10
	v_or3_b32 v6, v7, v6, v3
.LBB21_1232:
	s_or_b64 exec, exec, s[6:7]
	s_nop 0
	v_mfma_f32_16x16x4f32 a[0:3], v2, v6, a[0:3]
	s_movk_i32 s4, 0xff
	v_and_b32_sdwa v3, v8, s4 dst_sel:DWORD dst_unused:UNUSED_PAD src0_sel:WORD_1 src1_sel:DWORD
	s_movk_i32 s4, 0x7f
	v_cmp_lt_i16_e32 vcc, s4, v3
	s_mov_b64 s[4:5], 0
                                        ; implicit-def: $sgpr10
	s_and_saveexec_b64 s[6:7], vcc
	s_xor_b64 s[6:7], exec, s[6:7]
	s_cbranch_execnz .LBB21_3281
; %bb.1233:
	s_or_saveexec_b64 s[6:7], s[6:7]
	v_mov_b32_e32 v2, s10
	s_xor_b64 exec, exec, s[6:7]
	s_cbranch_execnz .LBB21_3284
.LBB21_1234:
	s_or_b64 exec, exec, s[6:7]
	s_and_saveexec_b64 s[6:7], s[4:5]
	s_cbranch_execz .LBB21_1236
.LBB21_1235:
	v_bfe_u32 v2, v8, 16, 3
	v_ffbh_u32_e32 v7, v2
	v_min_u32_e32 v7, 32, v7
	v_lshrrev_b32_e32 v3, 19, v8
	v_subrev_u32_e32 v10, 28, v7
	v_and_b32_e32 v3, 15, v3
	v_lshlrev_b32_sdwa v10, v10, v8 dst_sel:DWORD dst_unused:UNUSED_PAD src0_sel:DWORD src1_sel:WORD_1
	v_bfe_u32 v6, v8, 19, 4
	v_sub_u32_e32 v7, 29, v7
	v_and_b32_e32 v10, 7, v10
	v_cmp_eq_u16_e32 vcc, 0, v3
	v_cndmask_b32_e32 v2, v2, v10, vcc
	v_cndmask_b32_e32 v3, v6, v7, vcc
	v_lshlrev_b32_e32 v6, 8, v8
	v_mov_b32_e32 v7, 0x3b800000
	v_lshlrev_b32_e32 v2, 20, v2
	v_and_b32_e32 v6, 0x80000000, v6
	v_lshl_add_u32 v3, v3, 23, v7
	v_or3_b32 v2, v6, v3, v2
.LBB21_1236:
	s_or_b64 exec, exec, s[6:7]
	s_movk_i32 s4, 0xff
	v_and_b32_sdwa v3, v4, s4 dst_sel:DWORD dst_unused:UNUSED_PAD src0_sel:WORD_1 src1_sel:DWORD
	s_movk_i32 s4, 0x7f
	v_cmp_lt_i16_e32 vcc, s4, v3
	s_mov_b64 s[4:5], 0
                                        ; implicit-def: $sgpr10
	s_and_saveexec_b64 s[6:7], vcc
	s_xor_b64 s[6:7], exec, s[6:7]
	s_cbranch_execnz .LBB21_3285
; %bb.1237:
	s_or_saveexec_b64 s[6:7], s[6:7]
	v_mov_b32_e32 v6, s10
	s_xor_b64 exec, exec, s[6:7]
	s_cbranch_execnz .LBB21_3288
.LBB21_1238:
	s_or_b64 exec, exec, s[6:7]
	s_and_saveexec_b64 s[6:7], s[4:5]
	s_cbranch_execz .LBB21_1240
.LBB21_1239:
	v_bfe_u32 v3, v4, 16, 3
	v_ffbh_u32_e32 v10, v3
	v_min_u32_e32 v10, 32, v10
	v_lshrrev_b32_e32 v6, 19, v4
	v_subrev_u32_e32 v11, 28, v10
	v_and_b32_e32 v6, 15, v6
	v_lshlrev_b32_sdwa v11, v11, v4 dst_sel:DWORD dst_unused:UNUSED_PAD src0_sel:DWORD src1_sel:WORD_1
	v_bfe_u32 v7, v4, 19, 4
	v_sub_u32_e32 v10, 29, v10
	v_and_b32_e32 v11, 7, v11
	v_cmp_eq_u16_e32 vcc, 0, v6
	v_cndmask_b32_e32 v3, v3, v11, vcc
	v_cndmask_b32_e32 v6, v7, v10, vcc
	v_lshlrev_b32_e32 v7, 8, v4
	v_mov_b32_e32 v10, 0x3b800000
	v_lshlrev_b32_e32 v3, 20, v3
	v_and_b32_e32 v7, 0x80000000, v7
	v_lshl_add_u32 v6, v6, 23, v10
	v_or3_b32 v6, v7, v6, v3
.LBB21_1240:
	s_or_b64 exec, exec, s[6:7]
	s_nop 0
	v_mfma_f32_16x16x4f32 a[0:3], v2, v6, a[0:3]
	s_movk_i32 s4, 0x7f
	v_cmp_gt_i16_sdwa s[6:7], v8, s4 src0_sel:BYTE_3 src1_sel:DWORD
	s_mov_b64 s[4:5], 0
                                        ; implicit-def: $sgpr10
	s_and_saveexec_b64 s[8:9], s[6:7]
	s_xor_b64 s[6:7], exec, s[8:9]
	s_cbranch_execnz .LBB21_3289
; %bb.1241:
	s_or_saveexec_b64 s[6:7], s[6:7]
	v_mov_b32_e32 v2, s10
	s_xor_b64 exec, exec, s[6:7]
	s_cbranch_execnz .LBB21_3292
.LBB21_1242:
	s_or_b64 exec, exec, s[6:7]
	s_and_saveexec_b64 s[6:7], s[4:5]
	s_cbranch_execz .LBB21_1244
.LBB21_1243:
	v_bfe_u32 v2, v8, 24, 3
	v_ffbh_u32_e32 v10, v2
	v_min_u32_e32 v10, 32, v10
	v_lshrrev_b32_e32 v6, 27, v8
	v_subrev_u32_e32 v11, 28, v10
	v_and_b32_e32 v3, 0x80000000, v8
	v_and_b32_e32 v6, 15, v6
	v_bfe_u32 v7, v8, 27, 4
	v_lshlrev_b32_sdwa v8, v11, v8 dst_sel:DWORD dst_unused:UNUSED_PAD src0_sel:DWORD src1_sel:BYTE_3
	v_sub_u32_e32 v10, 29, v10
	v_and_b32_e32 v8, 7, v8
	v_cmp_eq_u16_e32 vcc, 0, v6
	v_cndmask_b32_e32 v2, v2, v8, vcc
	v_cndmask_b32_e32 v6, v7, v10, vcc
	v_mov_b32_e32 v7, 0x3b800000
	v_lshlrev_b32_e32 v2, 20, v2
	v_lshl_add_u32 v6, v6, 23, v7
	v_or3_b32 v2, v3, v6, v2
.LBB21_1244:
	s_or_b64 exec, exec, s[6:7]
	s_movk_i32 s4, 0x7f
	v_cmp_gt_i16_sdwa s[6:7], v4, s4 src0_sel:BYTE_3 src1_sel:DWORD
	s_mov_b64 s[4:5], 0
                                        ; implicit-def: $sgpr10
	s_and_saveexec_b64 s[8:9], s[6:7]
	s_xor_b64 s[6:7], exec, s[8:9]
	s_cbranch_execnz .LBB21_3293
; %bb.1245:
	s_or_saveexec_b64 s[6:7], s[6:7]
	v_mov_b32_e32 v3, s10
	s_xor_b64 exec, exec, s[6:7]
	s_cbranch_execnz .LBB21_3296
.LBB21_1246:
	s_or_b64 exec, exec, s[6:7]
	s_and_saveexec_b64 s[6:7], s[4:5]
	s_cbranch_execz .LBB21_1248
.LBB21_1247:
	v_bfe_u32 v3, v4, 24, 3
	v_ffbh_u32_e32 v10, v3
	v_min_u32_e32 v10, 32, v10
	v_lshrrev_b32_e32 v7, 27, v4
	v_subrev_u32_e32 v11, 28, v10
	v_and_b32_e32 v6, 0x80000000, v4
	v_and_b32_e32 v7, 15, v7
	v_bfe_u32 v8, v4, 27, 4
	v_lshlrev_b32_sdwa v4, v11, v4 dst_sel:DWORD dst_unused:UNUSED_PAD src0_sel:DWORD src1_sel:BYTE_3
	v_sub_u32_e32 v10, 29, v10
	v_and_b32_e32 v4, 7, v4
	v_cmp_eq_u16_e32 vcc, 0, v7
	v_cndmask_b32_e32 v3, v3, v4, vcc
	v_cndmask_b32_e32 v4, v8, v10, vcc
	v_mov_b32_e32 v7, 0x3b800000
	v_lshlrev_b32_e32 v3, 20, v3
	v_lshl_add_u32 v4, v4, 23, v7
	v_or3_b32 v3, v6, v4, v3
.LBB21_1248:
	s_or_b64 exec, exec, s[6:7]
	s_nop 0
	v_mfma_f32_16x16x4f32 a[0:3], v2, v3, a[0:3]
	s_movk_i32 s4, 0x7f
	v_cmp_gt_i16_sdwa s[6:7], v9, s4 src0_sel:BYTE_0 src1_sel:DWORD
	s_mov_b64 s[4:5], 0
                                        ; implicit-def: $sgpr10
	s_and_saveexec_b64 s[8:9], s[6:7]
	s_xor_b64 s[6:7], exec, s[8:9]
	s_cbranch_execnz .LBB21_3297
; %bb.1249:
	s_or_saveexec_b64 s[6:7], s[6:7]
	v_mov_b32_e32 v2, s10
	s_xor_b64 exec, exec, s[6:7]
	s_cbranch_execnz .LBB21_3300
.LBB21_1250:
	s_or_b64 exec, exec, s[6:7]
	s_and_saveexec_b64 s[6:7], s[4:5]
	s_cbranch_execz .LBB21_1252
.LBB21_1251:
	v_mov_b32_e32 v2, 8
	v_and_b32_e32 v3, 7, v9
	v_lshrrev_b32_sdwa v2, v2, v9 dst_sel:BYTE_1 dst_unused:UNUSED_PAD src0_sel:DWORD src1_sel:DWORD
	v_ffbh_u32_e32 v4, v3
	v_or_b32_sdwa v2, v9, v2 dst_sel:DWORD dst_unused:UNUSED_PAD src0_sel:BYTE_0 src1_sel:DWORD
	v_min_u32_e32 v4, 32, v4
	v_lshrrev_b16_e32 v2, 3, v2
	v_subrev_u32_e32 v6, 28, v4
	v_and_b32_e32 v2, 15, v2
	v_lshlrev_b32_e32 v6, v6, v9
	v_sub_u32_e32 v4, 29, v4
	v_and_b32_e32 v6, 7, v6
	v_cmp_eq_u16_e32 vcc, 0, v2
	v_cndmask_b32_e32 v3, v3, v6, vcc
	v_cndmask_b32_e32 v2, v2, v4, vcc
	v_lshlrev_b32_e32 v4, 24, v9
	v_mov_b32_e32 v6, 0x3b800000
	v_lshlrev_b32_e32 v3, 20, v3
	v_and_b32_e32 v4, 0x80000000, v4
	v_lshl_add_u32 v2, v2, 23, v6
	v_or3_b32 v2, v4, v2, v3
.LBB21_1252:
	s_or_b64 exec, exec, s[6:7]
	s_movk_i32 s4, 0x7f
	v_cmp_gt_i16_sdwa s[6:7], v5, s4 src0_sel:BYTE_0 src1_sel:DWORD
	s_mov_b64 s[4:5], 0
                                        ; implicit-def: $sgpr10
	s_and_saveexec_b64 s[8:9], s[6:7]
	s_xor_b64 s[6:7], exec, s[8:9]
	s_cbranch_execnz .LBB21_3301
; %bb.1253:
	s_or_saveexec_b64 s[6:7], s[6:7]
	v_mov_b32_e32 v3, s10
	s_xor_b64 exec, exec, s[6:7]
	s_cbranch_execnz .LBB21_3304
.LBB21_1254:
	s_or_b64 exec, exec, s[6:7]
	s_and_saveexec_b64 s[6:7], s[4:5]
	s_cbranch_execz .LBB21_1256
.LBB21_1255:
	v_mov_b32_e32 v3, 8
	v_and_b32_e32 v4, 7, v5
	v_lshrrev_b32_sdwa v3, v3, v5 dst_sel:BYTE_1 dst_unused:UNUSED_PAD src0_sel:DWORD src1_sel:DWORD
	v_ffbh_u32_e32 v6, v4
	v_or_b32_sdwa v3, v5, v3 dst_sel:DWORD dst_unused:UNUSED_PAD src0_sel:BYTE_0 src1_sel:DWORD
	v_min_u32_e32 v6, 32, v6
	v_lshrrev_b16_e32 v3, 3, v3
	v_subrev_u32_e32 v7, 28, v6
	v_and_b32_e32 v3, 15, v3
	v_lshlrev_b32_e32 v7, v7, v5
	v_sub_u32_e32 v6, 29, v6
	v_and_b32_e32 v7, 7, v7
	v_cmp_eq_u16_e32 vcc, 0, v3
	v_cndmask_b32_e32 v4, v4, v7, vcc
	v_cndmask_b32_e32 v3, v3, v6, vcc
	v_lshlrev_b32_e32 v6, 24, v5
	v_mov_b32_e32 v7, 0x3b800000
	v_lshlrev_b32_e32 v4, 20, v4
	v_and_b32_e32 v6, 0x80000000, v6
	v_lshl_add_u32 v3, v3, 23, v7
	v_or3_b32 v3, v6, v3, v4
.LBB21_1256:
	s_or_b64 exec, exec, s[6:7]
	s_nop 0
	v_mfma_f32_16x16x4f32 a[0:3], v2, v3, a[0:3]
	v_lshrrev_b32_e32 v3, 8, v9
	s_movk_i32 s4, 0x7f
	v_cmp_gt_i16_sdwa s[6:7], v3, s4 src0_sel:BYTE_0 src1_sel:DWORD
	s_mov_b64 s[4:5], 0
                                        ; implicit-def: $sgpr10
	s_and_saveexec_b64 s[8:9], s[6:7]
	s_xor_b64 s[6:7], exec, s[8:9]
	s_cbranch_execnz .LBB21_3305
; %bb.1257:
	s_or_saveexec_b64 s[6:7], s[6:7]
	v_mov_b32_e32 v2, s10
	s_xor_b64 exec, exec, s[6:7]
	s_cbranch_execnz .LBB21_3308
.LBB21_1258:
	s_or_b64 exec, exec, s[6:7]
	s_and_saveexec_b64 s[6:7], s[4:5]
	s_cbranch_execz .LBB21_1260
.LBB21_1259:
	v_bfe_u32 v2, v9, 8, 3
	v_ffbh_u32_e32 v6, v2
	v_min_u32_e32 v6, 32, v6
	v_lshrrev_b16_e32 v4, 3, v3
	v_subrev_u32_e32 v7, 28, v6
	v_and_b32_e32 v4, 15, v4
	v_lshlrev_b32_e32 v3, v7, v3
	v_sub_u32_e32 v6, 29, v6
	v_and_b32_e32 v3, 7, v3
	v_cmp_eq_u16_e32 vcc, 0, v4
	v_cndmask_b32_e32 v2, v2, v3, vcc
	v_cndmask_b32_e32 v3, v4, v6, vcc
	v_lshlrev_b32_e32 v4, 16, v9
	v_mov_b32_e32 v6, 0x3b800000
	v_lshlrev_b32_e32 v2, 20, v2
	v_and_b32_e32 v4, 0x80000000, v4
	v_lshl_add_u32 v3, v3, 23, v6
	v_or3_b32 v2, v4, v3, v2
.LBB21_1260:
	s_or_b64 exec, exec, s[6:7]
	v_lshrrev_b32_e32 v3, 8, v5
	s_movk_i32 s4, 0x7f
	v_cmp_gt_i16_sdwa s[6:7], v3, s4 src0_sel:BYTE_0 src1_sel:DWORD
	s_mov_b64 s[4:5], 0
                                        ; implicit-def: $sgpr10
	s_and_saveexec_b64 s[8:9], s[6:7]
	s_xor_b64 s[6:7], exec, s[8:9]
	s_cbranch_execnz .LBB21_3309
; %bb.1261:
	s_or_saveexec_b64 s[6:7], s[6:7]
	v_mov_b32_e32 v4, s10
	s_xor_b64 exec, exec, s[6:7]
	s_cbranch_execnz .LBB21_3312
.LBB21_1262:
	s_or_b64 exec, exec, s[6:7]
	s_and_saveexec_b64 s[6:7], s[4:5]
	s_cbranch_execz .LBB21_1264
.LBB21_1263:
	v_bfe_u32 v4, v5, 8, 3
	v_ffbh_u32_e32 v7, v4
	v_min_u32_e32 v7, 32, v7
	v_lshrrev_b16_e32 v6, 3, v3
	v_subrev_u32_e32 v8, 28, v7
	v_and_b32_e32 v6, 15, v6
	v_lshlrev_b32_e32 v3, v8, v3
	v_sub_u32_e32 v7, 29, v7
	v_and_b32_e32 v3, 7, v3
	v_cmp_eq_u16_e32 vcc, 0, v6
	v_cndmask_b32_e32 v3, v4, v3, vcc
	v_cndmask_b32_e32 v4, v6, v7, vcc
	v_lshlrev_b32_e32 v6, 16, v5
	v_mov_b32_e32 v7, 0x3b800000
	v_lshlrev_b32_e32 v3, 20, v3
	v_and_b32_e32 v6, 0x80000000, v6
	v_lshl_add_u32 v4, v4, 23, v7
	v_or3_b32 v4, v6, v4, v3
.LBB21_1264:
	s_or_b64 exec, exec, s[6:7]
	s_nop 0
	v_mfma_f32_16x16x4f32 a[0:3], v2, v4, a[0:3]
	s_movk_i32 s4, 0xff
	v_and_b32_sdwa v3, v9, s4 dst_sel:DWORD dst_unused:UNUSED_PAD src0_sel:WORD_1 src1_sel:DWORD
	s_movk_i32 s4, 0x7f
	v_cmp_lt_i16_e32 vcc, s4, v3
	s_mov_b64 s[4:5], 0
                                        ; implicit-def: $sgpr10
	s_and_saveexec_b64 s[6:7], vcc
	s_xor_b64 s[6:7], exec, s[6:7]
	s_cbranch_execnz .LBB21_3313
; %bb.1265:
	s_or_saveexec_b64 s[6:7], s[6:7]
	v_mov_b32_e32 v2, s10
	s_xor_b64 exec, exec, s[6:7]
	s_cbranch_execnz .LBB21_3316
.LBB21_1266:
	s_or_b64 exec, exec, s[6:7]
	s_and_saveexec_b64 s[6:7], s[4:5]
	s_cbranch_execz .LBB21_1268
.LBB21_1267:
	v_bfe_u32 v2, v9, 16, 3
	v_ffbh_u32_e32 v6, v2
	v_min_u32_e32 v6, 32, v6
	v_lshrrev_b32_e32 v3, 19, v9
	v_subrev_u32_e32 v7, 28, v6
	v_and_b32_e32 v3, 15, v3
	v_lshlrev_b32_sdwa v7, v7, v9 dst_sel:DWORD dst_unused:UNUSED_PAD src0_sel:DWORD src1_sel:WORD_1
	v_bfe_u32 v4, v9, 19, 4
	v_sub_u32_e32 v6, 29, v6
	v_and_b32_e32 v7, 7, v7
	v_cmp_eq_u16_e32 vcc, 0, v3
	v_cndmask_b32_e32 v2, v2, v7, vcc
	v_cndmask_b32_e32 v3, v4, v6, vcc
	v_lshlrev_b32_e32 v4, 8, v9
	v_mov_b32_e32 v6, 0x3b800000
	v_lshlrev_b32_e32 v2, 20, v2
	v_and_b32_e32 v4, 0x80000000, v4
	v_lshl_add_u32 v3, v3, 23, v6
	v_or3_b32 v2, v4, v3, v2
.LBB21_1268:
	s_or_b64 exec, exec, s[6:7]
	s_movk_i32 s4, 0xff
	v_and_b32_sdwa v3, v5, s4 dst_sel:DWORD dst_unused:UNUSED_PAD src0_sel:WORD_1 src1_sel:DWORD
	s_movk_i32 s4, 0x7f
	v_cmp_lt_i16_e32 vcc, s4, v3
	s_mov_b64 s[4:5], 0
                                        ; implicit-def: $sgpr10
	s_and_saveexec_b64 s[6:7], vcc
	s_xor_b64 s[6:7], exec, s[6:7]
	s_cbranch_execnz .LBB21_3317
; %bb.1269:
	s_or_saveexec_b64 s[6:7], s[6:7]
	v_mov_b32_e32 v4, s10
	s_xor_b64 exec, exec, s[6:7]
	s_cbranch_execnz .LBB21_3320
.LBB21_1270:
	s_or_b64 exec, exec, s[6:7]
	s_and_saveexec_b64 s[6:7], s[4:5]
	s_cbranch_execz .LBB21_1272
.LBB21_1271:
	v_bfe_u32 v3, v5, 16, 3
	v_ffbh_u32_e32 v7, v3
	v_min_u32_e32 v7, 32, v7
	v_lshrrev_b32_e32 v4, 19, v5
	v_subrev_u32_e32 v8, 28, v7
	v_and_b32_e32 v4, 15, v4
	v_lshlrev_b32_sdwa v8, v8, v5 dst_sel:DWORD dst_unused:UNUSED_PAD src0_sel:DWORD src1_sel:WORD_1
	v_bfe_u32 v6, v5, 19, 4
	v_sub_u32_e32 v7, 29, v7
	v_and_b32_e32 v8, 7, v8
	v_cmp_eq_u16_e32 vcc, 0, v4
	v_cndmask_b32_e32 v3, v3, v8, vcc
	v_cndmask_b32_e32 v4, v6, v7, vcc
	v_lshlrev_b32_e32 v6, 8, v5
	v_mov_b32_e32 v7, 0x3b800000
	v_lshlrev_b32_e32 v3, 20, v3
	v_and_b32_e32 v6, 0x80000000, v6
	v_lshl_add_u32 v4, v4, 23, v7
	v_or3_b32 v4, v6, v4, v3
.LBB21_1272:
	s_or_b64 exec, exec, s[6:7]
	s_nop 0
	v_mfma_f32_16x16x4f32 a[0:3], v2, v4, a[0:3]
	s_movk_i32 s4, 0x7f
	v_cmp_gt_i16_sdwa s[6:7], v9, s4 src0_sel:BYTE_3 src1_sel:DWORD
	s_mov_b64 s[4:5], 0
                                        ; implicit-def: $sgpr10
	s_and_saveexec_b64 s[8:9], s[6:7]
	s_xor_b64 s[6:7], exec, s[8:9]
	s_cbranch_execnz .LBB21_3321
; %bb.1273:
	s_or_saveexec_b64 s[6:7], s[6:7]
	v_mov_b32_e32 v2, s10
	s_xor_b64 exec, exec, s[6:7]
	s_cbranch_execnz .LBB21_3324
.LBB21_1274:
	s_or_b64 exec, exec, s[6:7]
	s_and_saveexec_b64 s[6:7], s[4:5]
	s_cbranch_execz .LBB21_1276
.LBB21_1275:
	v_bfe_u32 v2, v9, 24, 3
	v_ffbh_u32_e32 v7, v2
	v_min_u32_e32 v7, 32, v7
	v_lshrrev_b32_e32 v4, 27, v9
	v_subrev_u32_e32 v8, 28, v7
	v_and_b32_e32 v4, 15, v4
	v_lshlrev_b32_sdwa v8, v8, v9 dst_sel:DWORD dst_unused:UNUSED_PAD src0_sel:DWORD src1_sel:BYTE_3
	v_bfe_u32 v6, v9, 27, 4
	v_sub_u32_e32 v7, 29, v7
	v_and_b32_e32 v8, 7, v8
	v_cmp_eq_u16_e32 vcc, 0, v4
	v_cndmask_b32_e32 v2, v2, v8, vcc
	v_cndmask_b32_e32 v4, v6, v7, vcc
	v_mov_b32_e32 v6, 0x3b800000
	v_and_b32_e32 v3, 0x80000000, v9
	v_lshlrev_b32_e32 v2, 20, v2
	v_lshl_add_u32 v4, v4, 23, v6
	v_or3_b32 v2, v3, v4, v2
.LBB21_1276:
	s_or_b64 exec, exec, s[6:7]
	s_movk_i32 s4, 0x7f
	v_cmp_gt_i16_sdwa s[6:7], v5, s4 src0_sel:BYTE_3 src1_sel:DWORD
	s_mov_b64 s[4:5], 0
                                        ; implicit-def: $sgpr10
	s_and_saveexec_b64 s[8:9], s[6:7]
	s_xor_b64 s[6:7], exec, s[8:9]
	s_cbranch_execnz .LBB21_3325
; %bb.1277:
	s_or_saveexec_b64 s[6:7], s[6:7]
	v_mov_b32_e32 v3, s10
	s_xor_b64 exec, exec, s[6:7]
	s_cbranch_execnz .LBB21_3328
.LBB21_1278:
	s_or_b64 exec, exec, s[6:7]
	s_and_saveexec_b64 s[6:7], s[4:5]
	s_cbranch_execz .LBB21_1280
.LBB21_1279:
	v_bfe_u32 v3, v5, 24, 3
	v_ffbh_u32_e32 v8, v3
	v_min_u32_e32 v8, 32, v8
	v_lshrrev_b32_e32 v6, 27, v5
	v_subrev_u32_e32 v9, 28, v8
	v_and_b32_e32 v4, 0x80000000, v5
	v_and_b32_e32 v6, 15, v6
	v_bfe_u32 v7, v5, 27, 4
	v_lshlrev_b32_sdwa v5, v9, v5 dst_sel:DWORD dst_unused:UNUSED_PAD src0_sel:DWORD src1_sel:BYTE_3
	v_sub_u32_e32 v8, 29, v8
	v_and_b32_e32 v5, 7, v5
	v_cmp_eq_u16_e32 vcc, 0, v6
	v_cndmask_b32_e32 v3, v3, v5, vcc
	v_cndmask_b32_e32 v5, v7, v8, vcc
	v_mov_b32_e32 v6, 0x3b800000
	v_lshlrev_b32_e32 v3, 20, v3
	v_lshl_add_u32 v5, v5, 23, v6
	v_or3_b32 v3, v4, v5, v3
.LBB21_1280:
	s_or_b64 exec, exec, s[6:7]
	s_nop 0
	v_mfma_f32_16x16x4f32 a[0:3], v2, v3, a[0:3]
	s_movk_i32 s4, 0x7f
                                        ; implicit-def: $sgpr10
	s_nop 7
	s_nop 1
	flat_store_dwordx4 v[18:19], a[0:3] offset:448
	flat_load_dwordx4 v[20:23], v[0:1] offset:8
	s_nop 0
	flat_load_dwordx2 v[18:19], v[0:1] offset:24
	s_waitcnt vmcnt(0) lgkmcnt(0)
	flat_load_dwordx4 v[14:17], v[20:21] offset:32
	flat_load_dwordx4 v[6:9], v[20:21] offset:48
	;; [unrolled: 1-line block ×4, first 2 shown]
	s_waitcnt vmcnt(0) lgkmcnt(0)
	v_cmp_gt_i16_sdwa s[6:7], v14, s4 src0_sel:BYTE_0 src1_sel:DWORD
	s_mov_b64 s[4:5], 0
	s_and_saveexec_b64 s[8:9], s[6:7]
	s_xor_b64 s[6:7], exec, s[8:9]
	s_cbranch_execnz .LBB21_3329
; %bb.1281:
	s_or_saveexec_b64 s[6:7], s[6:7]
	v_mov_b32_e32 v20, s10
	s_xor_b64 exec, exec, s[6:7]
	s_cbranch_execnz .LBB21_3332
.LBB21_1282:
	s_or_b64 exec, exec, s[6:7]
	s_and_saveexec_b64 s[6:7], s[4:5]
	s_cbranch_execz .LBB21_1284
.LBB21_1283:
	v_and_b32_e32 v20, 7, v14
	v_ffbh_u32_e32 v22, v20
	v_min_u32_e32 v22, 32, v22
	v_lshrrev_b16_e32 v21, 3, v14
	v_subrev_u32_e32 v23, 28, v22
	v_and_b32_e32 v21, 15, v21
	v_lshlrev_b32_e32 v23, v23, v14
	v_sub_u32_e32 v22, 29, v22
	v_and_b32_e32 v23, 7, v23
	v_cmp_eq_u16_e32 vcc, 0, v21
	v_cndmask_b32_e32 v20, v20, v23, vcc
	v_cndmask_b32_e32 v21, v21, v22, vcc
	v_lshlrev_b32_e32 v22, 24, v14
	v_mov_b32_e32 v23, 0x3b800000
	v_lshlrev_b32_e32 v20, 20, v20
	v_and_b32_e32 v22, 0x80000000, v22
	v_lshl_add_u32 v21, v21, 23, v23
	v_or3_b32 v20, v22, v21, v20
.LBB21_1284:
	s_or_b64 exec, exec, s[6:7]
	s_movk_i32 s4, 0x7f
	v_cmp_gt_i16_sdwa s[6:7], v10, s4 src0_sel:BYTE_0 src1_sel:DWORD
	s_mov_b64 s[4:5], 0
                                        ; implicit-def: $sgpr10
	s_and_saveexec_b64 s[8:9], s[6:7]
	s_xor_b64 s[6:7], exec, s[8:9]
	s_cbranch_execnz .LBB21_3333
; %bb.1285:
	s_or_saveexec_b64 s[6:7], s[6:7]
	v_mov_b32_e32 v21, s10
	s_xor_b64 exec, exec, s[6:7]
	s_cbranch_execnz .LBB21_3336
.LBB21_1286:
	s_or_b64 exec, exec, s[6:7]
	s_and_saveexec_b64 s[6:7], s[4:5]
	s_cbranch_execz .LBB21_1288
.LBB21_1287:
	v_and_b32_e32 v21, 7, v10
	v_ffbh_u32_e32 v23, v21
	v_min_u32_e32 v23, 32, v23
	v_lshrrev_b16_e32 v22, 3, v10
	v_subrev_u32_e32 v24, 28, v23
	v_and_b32_e32 v22, 15, v22
	v_lshlrev_b32_e32 v24, v24, v10
	v_sub_u32_e32 v23, 29, v23
	v_and_b32_e32 v24, 7, v24
	v_cmp_eq_u16_e32 vcc, 0, v22
	v_cndmask_b32_e32 v21, v21, v24, vcc
	v_cndmask_b32_e32 v22, v22, v23, vcc
	v_lshlrev_b32_e32 v23, 24, v10
	v_mov_b32_e32 v24, 0x3b800000
	v_lshlrev_b32_e32 v21, 20, v21
	v_and_b32_e32 v23, 0x80000000, v23
	v_lshl_add_u32 v22, v22, 23, v24
	v_or3_b32 v21, v23, v22, v21
.LBB21_1288:
	s_or_b64 exec, exec, s[6:7]
	flat_load_dwordx4 a[0:3], v[18:19] offset:464
	s_movk_i32 s4, 0x7f
                                        ; implicit-def: $sgpr10
	s_waitcnt vmcnt(0) lgkmcnt(0)
	v_mfma_f32_16x16x4f32 a[0:3], v20, v21, a[0:3]
	v_lshrrev_b32_e32 v21, 8, v14
	v_cmp_gt_i16_sdwa s[6:7], v21, s4 src0_sel:BYTE_0 src1_sel:DWORD
	s_mov_b64 s[4:5], 0
	s_and_saveexec_b64 s[8:9], s[6:7]
	s_xor_b64 s[6:7], exec, s[8:9]
	s_cbranch_execnz .LBB21_3337
; %bb.1289:
	s_or_saveexec_b64 s[6:7], s[6:7]
	v_mov_b32_e32 v20, s10
	s_xor_b64 exec, exec, s[6:7]
	s_cbranch_execnz .LBB21_3340
.LBB21_1290:
	s_or_b64 exec, exec, s[6:7]
	s_and_saveexec_b64 s[6:7], s[4:5]
	s_cbranch_execz .LBB21_1292
.LBB21_1291:
	v_bfe_u32 v20, v14, 8, 3
	v_ffbh_u32_e32 v23, v20
	v_min_u32_e32 v23, 32, v23
	v_lshrrev_b16_e32 v22, 3, v21
	v_subrev_u32_e32 v24, 28, v23
	v_and_b32_e32 v22, 15, v22
	v_lshlrev_b32_e32 v21, v24, v21
	v_sub_u32_e32 v23, 29, v23
	v_and_b32_e32 v21, 7, v21
	v_cmp_eq_u16_e32 vcc, 0, v22
	v_cndmask_b32_e32 v20, v20, v21, vcc
	v_cndmask_b32_e32 v21, v22, v23, vcc
	v_lshlrev_b32_e32 v22, 16, v14
	v_mov_b32_e32 v23, 0x3b800000
	v_lshlrev_b32_e32 v20, 20, v20
	v_and_b32_e32 v22, 0x80000000, v22
	v_lshl_add_u32 v21, v21, 23, v23
	v_or3_b32 v20, v22, v21, v20
.LBB21_1292:
	s_or_b64 exec, exec, s[6:7]
	v_lshrrev_b32_e32 v21, 8, v10
	s_movk_i32 s4, 0x7f
	v_cmp_gt_i16_sdwa s[6:7], v21, s4 src0_sel:BYTE_0 src1_sel:DWORD
	s_mov_b64 s[4:5], 0
                                        ; implicit-def: $sgpr10
	s_and_saveexec_b64 s[8:9], s[6:7]
	s_xor_b64 s[6:7], exec, s[8:9]
	s_cbranch_execnz .LBB21_3341
; %bb.1293:
	s_or_saveexec_b64 s[6:7], s[6:7]
	v_mov_b32_e32 v22, s10
	s_xor_b64 exec, exec, s[6:7]
	s_cbranch_execnz .LBB21_3344
.LBB21_1294:
	s_or_b64 exec, exec, s[6:7]
	s_and_saveexec_b64 s[6:7], s[4:5]
	s_cbranch_execz .LBB21_1296
.LBB21_1295:
	v_bfe_u32 v22, v10, 8, 3
	v_ffbh_u32_e32 v24, v22
	v_min_u32_e32 v24, 32, v24
	v_lshrrev_b16_e32 v23, 3, v21
	v_subrev_u32_e32 v25, 28, v24
	v_and_b32_e32 v23, 15, v23
	v_lshlrev_b32_e32 v21, v25, v21
	v_sub_u32_e32 v24, 29, v24
	v_and_b32_e32 v21, 7, v21
	v_cmp_eq_u16_e32 vcc, 0, v23
	v_cndmask_b32_e32 v21, v22, v21, vcc
	v_cndmask_b32_e32 v22, v23, v24, vcc
	v_lshlrev_b32_e32 v23, 16, v10
	v_mov_b32_e32 v24, 0x3b800000
	v_lshlrev_b32_e32 v21, 20, v21
	v_and_b32_e32 v23, 0x80000000, v23
	v_lshl_add_u32 v22, v22, 23, v24
	v_or3_b32 v22, v23, v22, v21
.LBB21_1296:
	s_or_b64 exec, exec, s[6:7]
	s_nop 0
	v_mfma_f32_16x16x4f32 a[0:3], v20, v22, a[0:3]
	s_movk_i32 s4, 0xff
	v_and_b32_sdwa v21, v14, s4 dst_sel:DWORD dst_unused:UNUSED_PAD src0_sel:WORD_1 src1_sel:DWORD
	s_movk_i32 s4, 0x7f
	v_cmp_lt_i16_e32 vcc, s4, v21
	s_mov_b64 s[4:5], 0
                                        ; implicit-def: $sgpr10
	s_and_saveexec_b64 s[6:7], vcc
	s_xor_b64 s[6:7], exec, s[6:7]
	s_cbranch_execnz .LBB21_3345
; %bb.1297:
	s_or_saveexec_b64 s[6:7], s[6:7]
	v_mov_b32_e32 v20, s10
	s_xor_b64 exec, exec, s[6:7]
	s_cbranch_execnz .LBB21_3348
.LBB21_1298:
	s_or_b64 exec, exec, s[6:7]
	s_and_saveexec_b64 s[6:7], s[4:5]
	s_cbranch_execz .LBB21_1300
.LBB21_1299:
	v_bfe_u32 v20, v14, 16, 3
	v_ffbh_u32_e32 v23, v20
	v_min_u32_e32 v23, 32, v23
	v_lshrrev_b32_e32 v21, 19, v14
	v_subrev_u32_e32 v24, 28, v23
	v_and_b32_e32 v21, 15, v21
	v_lshlrev_b32_sdwa v24, v24, v14 dst_sel:DWORD dst_unused:UNUSED_PAD src0_sel:DWORD src1_sel:WORD_1
	v_bfe_u32 v22, v14, 19, 4
	v_sub_u32_e32 v23, 29, v23
	v_and_b32_e32 v24, 7, v24
	v_cmp_eq_u16_e32 vcc, 0, v21
	v_cndmask_b32_e32 v20, v20, v24, vcc
	v_cndmask_b32_e32 v21, v22, v23, vcc
	v_lshlrev_b32_e32 v22, 8, v14
	v_mov_b32_e32 v23, 0x3b800000
	v_lshlrev_b32_e32 v20, 20, v20
	v_and_b32_e32 v22, 0x80000000, v22
	v_lshl_add_u32 v21, v21, 23, v23
	v_or3_b32 v20, v22, v21, v20
.LBB21_1300:
	s_or_b64 exec, exec, s[6:7]
	s_movk_i32 s4, 0xff
	v_and_b32_sdwa v21, v10, s4 dst_sel:DWORD dst_unused:UNUSED_PAD src0_sel:WORD_1 src1_sel:DWORD
	s_movk_i32 s4, 0x7f
	v_cmp_lt_i16_e32 vcc, s4, v21
	s_mov_b64 s[4:5], 0
                                        ; implicit-def: $sgpr10
	s_and_saveexec_b64 s[6:7], vcc
	s_xor_b64 s[6:7], exec, s[6:7]
	s_cbranch_execnz .LBB21_3349
; %bb.1301:
	s_or_saveexec_b64 s[6:7], s[6:7]
	v_mov_b32_e32 v22, s10
	s_xor_b64 exec, exec, s[6:7]
	s_cbranch_execnz .LBB21_3352
.LBB21_1302:
	s_or_b64 exec, exec, s[6:7]
	s_and_saveexec_b64 s[6:7], s[4:5]
	s_cbranch_execz .LBB21_1304
.LBB21_1303:
	v_bfe_u32 v21, v10, 16, 3
	v_ffbh_u32_e32 v24, v21
	v_min_u32_e32 v24, 32, v24
	v_lshrrev_b32_e32 v22, 19, v10
	v_subrev_u32_e32 v25, 28, v24
	v_and_b32_e32 v22, 15, v22
	v_lshlrev_b32_sdwa v25, v25, v10 dst_sel:DWORD dst_unused:UNUSED_PAD src0_sel:DWORD src1_sel:WORD_1
	v_bfe_u32 v23, v10, 19, 4
	v_sub_u32_e32 v24, 29, v24
	v_and_b32_e32 v25, 7, v25
	v_cmp_eq_u16_e32 vcc, 0, v22
	v_cndmask_b32_e32 v21, v21, v25, vcc
	v_cndmask_b32_e32 v22, v23, v24, vcc
	v_lshlrev_b32_e32 v23, 8, v10
	v_mov_b32_e32 v24, 0x3b800000
	v_lshlrev_b32_e32 v21, 20, v21
	v_and_b32_e32 v23, 0x80000000, v23
	v_lshl_add_u32 v22, v22, 23, v24
	v_or3_b32 v22, v23, v22, v21
.LBB21_1304:
	s_or_b64 exec, exec, s[6:7]
	s_nop 0
	v_mfma_f32_16x16x4f32 a[0:3], v20, v22, a[0:3]
	s_movk_i32 s4, 0x7f
	v_cmp_gt_i16_sdwa s[6:7], v14, s4 src0_sel:BYTE_3 src1_sel:DWORD
	s_mov_b64 s[4:5], 0
                                        ; implicit-def: $sgpr10
	s_and_saveexec_b64 s[8:9], s[6:7]
	s_xor_b64 s[6:7], exec, s[8:9]
	s_cbranch_execnz .LBB21_3353
; %bb.1305:
	s_or_saveexec_b64 s[6:7], s[6:7]
	v_mov_b32_e32 v20, s10
	s_xor_b64 exec, exec, s[6:7]
	s_cbranch_execnz .LBB21_3356
.LBB21_1306:
	s_or_b64 exec, exec, s[6:7]
	s_and_saveexec_b64 s[6:7], s[4:5]
	s_cbranch_execz .LBB21_1308
.LBB21_1307:
	v_bfe_u32 v20, v14, 24, 3
	v_ffbh_u32_e32 v24, v20
	v_min_u32_e32 v24, 32, v24
	v_lshrrev_b32_e32 v22, 27, v14
	v_subrev_u32_e32 v25, 28, v24
	v_and_b32_e32 v21, 0x80000000, v14
	v_and_b32_e32 v22, 15, v22
	v_bfe_u32 v23, v14, 27, 4
	v_lshlrev_b32_sdwa v14, v25, v14 dst_sel:DWORD dst_unused:UNUSED_PAD src0_sel:DWORD src1_sel:BYTE_3
	v_sub_u32_e32 v24, 29, v24
	v_and_b32_e32 v14, 7, v14
	v_cmp_eq_u16_e32 vcc, 0, v22
	v_cndmask_b32_e32 v14, v20, v14, vcc
	v_cndmask_b32_e32 v20, v23, v24, vcc
	v_mov_b32_e32 v22, 0x3b800000
	v_lshlrev_b32_e32 v14, 20, v14
	v_lshl_add_u32 v20, v20, 23, v22
	v_or3_b32 v20, v21, v20, v14
.LBB21_1308:
	s_or_b64 exec, exec, s[6:7]
	s_movk_i32 s4, 0x7f
	v_cmp_gt_i16_sdwa s[6:7], v10, s4 src0_sel:BYTE_3 src1_sel:DWORD
	s_mov_b64 s[4:5], 0
                                        ; implicit-def: $sgpr10
	s_and_saveexec_b64 s[8:9], s[6:7]
	s_xor_b64 s[6:7], exec, s[8:9]
	s_cbranch_execnz .LBB21_3357
; %bb.1309:
	s_or_saveexec_b64 s[6:7], s[6:7]
	v_mov_b32_e32 v14, s10
	s_xor_b64 exec, exec, s[6:7]
	s_cbranch_execnz .LBB21_3360
.LBB21_1310:
	s_or_b64 exec, exec, s[6:7]
	s_and_saveexec_b64 s[6:7], s[4:5]
	s_cbranch_execz .LBB21_1312
.LBB21_1311:
	v_bfe_u32 v14, v10, 24, 3
	v_ffbh_u32_e32 v24, v14
	v_min_u32_e32 v24, 32, v24
	v_lshrrev_b32_e32 v22, 27, v10
	v_subrev_u32_e32 v25, 28, v24
	v_and_b32_e32 v21, 0x80000000, v10
	v_and_b32_e32 v22, 15, v22
	v_bfe_u32 v23, v10, 27, 4
	v_lshlrev_b32_sdwa v10, v25, v10 dst_sel:DWORD dst_unused:UNUSED_PAD src0_sel:DWORD src1_sel:BYTE_3
	v_sub_u32_e32 v24, 29, v24
	v_and_b32_e32 v10, 7, v10
	v_cmp_eq_u16_e32 vcc, 0, v22
	v_cndmask_b32_e32 v10, v14, v10, vcc
	v_cndmask_b32_e32 v14, v23, v24, vcc
	v_mov_b32_e32 v22, 0x3b800000
	v_lshlrev_b32_e32 v10, 20, v10
	v_lshl_add_u32 v14, v14, 23, v22
	v_or3_b32 v14, v21, v14, v10
.LBB21_1312:
	s_or_b64 exec, exec, s[6:7]
	s_nop 0
	v_mfma_f32_16x16x4f32 a[0:3], v20, v14, a[0:3]
	s_movk_i32 s4, 0x7f
	v_cmp_gt_i16_sdwa s[6:7], v15, s4 src0_sel:BYTE_0 src1_sel:DWORD
	s_mov_b64 s[4:5], 0
                                        ; implicit-def: $sgpr10
	s_and_saveexec_b64 s[8:9], s[6:7]
	s_xor_b64 s[6:7], exec, s[8:9]
	s_cbranch_execnz .LBB21_3361
; %bb.1313:
	s_or_saveexec_b64 s[6:7], s[6:7]
	v_mov_b32_e32 v10, s10
	s_xor_b64 exec, exec, s[6:7]
	s_cbranch_execnz .LBB21_3364
.LBB21_1314:
	s_or_b64 exec, exec, s[6:7]
	s_and_saveexec_b64 s[6:7], s[4:5]
	s_cbranch_execz .LBB21_1316
.LBB21_1315:
	v_and_b32_e32 v10, 7, v15
	v_ffbh_u32_e32 v20, v10
	v_min_u32_e32 v20, 32, v20
	v_lshrrev_b16_e32 v14, 3, v15
	v_subrev_u32_e32 v21, 28, v20
	v_and_b32_e32 v14, 15, v14
	v_lshlrev_b32_e32 v21, v21, v15
	v_sub_u32_e32 v20, 29, v20
	v_and_b32_e32 v21, 7, v21
	v_cmp_eq_u16_e32 vcc, 0, v14
	v_cndmask_b32_e32 v10, v10, v21, vcc
	v_cndmask_b32_e32 v14, v14, v20, vcc
	v_lshlrev_b32_e32 v20, 24, v15
	v_mov_b32_e32 v21, 0x3b800000
	v_lshlrev_b32_e32 v10, 20, v10
	v_and_b32_e32 v20, 0x80000000, v20
	v_lshl_add_u32 v14, v14, 23, v21
	v_or3_b32 v10, v20, v14, v10
.LBB21_1316:
	s_or_b64 exec, exec, s[6:7]
	s_movk_i32 s4, 0x7f
	v_cmp_gt_i16_sdwa s[6:7], v11, s4 src0_sel:BYTE_0 src1_sel:DWORD
	s_mov_b64 s[4:5], 0
                                        ; implicit-def: $sgpr10
	s_and_saveexec_b64 s[8:9], s[6:7]
	s_xor_b64 s[6:7], exec, s[8:9]
	s_cbranch_execnz .LBB21_3365
; %bb.1317:
	s_or_saveexec_b64 s[6:7], s[6:7]
	v_mov_b32_e32 v14, s10
	s_xor_b64 exec, exec, s[6:7]
	s_cbranch_execnz .LBB21_3368
.LBB21_1318:
	s_or_b64 exec, exec, s[6:7]
	s_and_saveexec_b64 s[6:7], s[4:5]
	s_cbranch_execz .LBB21_1320
.LBB21_1319:
	v_and_b32_e32 v14, 7, v11
	v_ffbh_u32_e32 v21, v14
	v_min_u32_e32 v21, 32, v21
	v_lshrrev_b16_e32 v20, 3, v11
	v_subrev_u32_e32 v22, 28, v21
	v_and_b32_e32 v20, 15, v20
	v_lshlrev_b32_e32 v22, v22, v11
	v_sub_u32_e32 v21, 29, v21
	v_and_b32_e32 v22, 7, v22
	v_cmp_eq_u16_e32 vcc, 0, v20
	v_cndmask_b32_e32 v14, v14, v22, vcc
	v_cndmask_b32_e32 v20, v20, v21, vcc
	v_lshlrev_b32_e32 v21, 24, v11
	v_mov_b32_e32 v22, 0x3b800000
	v_lshlrev_b32_e32 v14, 20, v14
	v_and_b32_e32 v21, 0x80000000, v21
	v_lshl_add_u32 v20, v20, 23, v22
	v_or3_b32 v14, v21, v20, v14
.LBB21_1320:
	s_or_b64 exec, exec, s[6:7]
	s_nop 0
	v_mfma_f32_16x16x4f32 a[0:3], v10, v14, a[0:3]
	v_lshrrev_b32_e32 v14, 8, v15
	s_movk_i32 s4, 0x7f
	v_cmp_gt_i16_sdwa s[6:7], v14, s4 src0_sel:BYTE_0 src1_sel:DWORD
	s_mov_b64 s[4:5], 0
                                        ; implicit-def: $sgpr10
	s_and_saveexec_b64 s[8:9], s[6:7]
	s_xor_b64 s[6:7], exec, s[8:9]
	s_cbranch_execnz .LBB21_3369
; %bb.1321:
	s_or_saveexec_b64 s[6:7], s[6:7]
	v_mov_b32_e32 v10, s10
	s_xor_b64 exec, exec, s[6:7]
	s_cbranch_execnz .LBB21_3372
.LBB21_1322:
	s_or_b64 exec, exec, s[6:7]
	s_and_saveexec_b64 s[6:7], s[4:5]
	s_cbranch_execz .LBB21_1324
.LBB21_1323:
	v_bfe_u32 v10, v15, 8, 3
	v_ffbh_u32_e32 v21, v10
	v_min_u32_e32 v21, 32, v21
	v_lshrrev_b16_e32 v20, 3, v14
	v_subrev_u32_e32 v22, 28, v21
	v_and_b32_e32 v20, 15, v20
	v_lshlrev_b32_e32 v14, v22, v14
	v_sub_u32_e32 v21, 29, v21
	v_and_b32_e32 v14, 7, v14
	v_cmp_eq_u16_e32 vcc, 0, v20
	v_cndmask_b32_e32 v10, v10, v14, vcc
	v_cndmask_b32_e32 v14, v20, v21, vcc
	v_lshlrev_b32_e32 v20, 16, v15
	v_mov_b32_e32 v21, 0x3b800000
	v_lshlrev_b32_e32 v10, 20, v10
	v_and_b32_e32 v20, 0x80000000, v20
	v_lshl_add_u32 v14, v14, 23, v21
	v_or3_b32 v10, v20, v14, v10
.LBB21_1324:
	s_or_b64 exec, exec, s[6:7]
	v_lshrrev_b32_e32 v14, 8, v11
	s_movk_i32 s4, 0x7f
	v_cmp_gt_i16_sdwa s[6:7], v14, s4 src0_sel:BYTE_0 src1_sel:DWORD
	s_mov_b64 s[4:5], 0
                                        ; implicit-def: $sgpr10
	s_and_saveexec_b64 s[8:9], s[6:7]
	s_xor_b64 s[6:7], exec, s[8:9]
	s_cbranch_execnz .LBB21_3373
; %bb.1325:
	s_or_saveexec_b64 s[6:7], s[6:7]
	v_mov_b32_e32 v20, s10
	s_xor_b64 exec, exec, s[6:7]
	s_cbranch_execnz .LBB21_3376
.LBB21_1326:
	s_or_b64 exec, exec, s[6:7]
	s_and_saveexec_b64 s[6:7], s[4:5]
	s_cbranch_execz .LBB21_1328
.LBB21_1327:
	v_bfe_u32 v20, v11, 8, 3
	v_ffbh_u32_e32 v22, v20
	v_min_u32_e32 v22, 32, v22
	v_lshrrev_b16_e32 v21, 3, v14
	v_subrev_u32_e32 v23, 28, v22
	v_and_b32_e32 v21, 15, v21
	v_lshlrev_b32_e32 v14, v23, v14
	v_sub_u32_e32 v22, 29, v22
	v_and_b32_e32 v14, 7, v14
	v_cmp_eq_u16_e32 vcc, 0, v21
	v_cndmask_b32_e32 v14, v20, v14, vcc
	v_cndmask_b32_e32 v20, v21, v22, vcc
	v_lshlrev_b32_e32 v21, 16, v11
	v_mov_b32_e32 v22, 0x3b800000
	v_lshlrev_b32_e32 v14, 20, v14
	v_and_b32_e32 v21, 0x80000000, v21
	v_lshl_add_u32 v20, v20, 23, v22
	v_or3_b32 v20, v21, v20, v14
.LBB21_1328:
	s_or_b64 exec, exec, s[6:7]
	s_nop 0
	v_mfma_f32_16x16x4f32 a[0:3], v10, v20, a[0:3]
	s_movk_i32 s4, 0xff
	v_and_b32_sdwa v14, v15, s4 dst_sel:DWORD dst_unused:UNUSED_PAD src0_sel:WORD_1 src1_sel:DWORD
	s_movk_i32 s4, 0x7f
	v_cmp_lt_i16_e32 vcc, s4, v14
	s_mov_b64 s[4:5], 0
                                        ; implicit-def: $sgpr10
	s_and_saveexec_b64 s[6:7], vcc
	s_xor_b64 s[6:7], exec, s[6:7]
	s_cbranch_execnz .LBB21_3377
; %bb.1329:
	s_or_saveexec_b64 s[6:7], s[6:7]
	v_mov_b32_e32 v10, s10
	s_xor_b64 exec, exec, s[6:7]
	s_cbranch_execnz .LBB21_3380
.LBB21_1330:
	s_or_b64 exec, exec, s[6:7]
	s_and_saveexec_b64 s[6:7], s[4:5]
	s_cbranch_execz .LBB21_1332
.LBB21_1331:
	v_bfe_u32 v10, v15, 16, 3
	v_ffbh_u32_e32 v21, v10
	v_min_u32_e32 v21, 32, v21
	v_lshrrev_b32_e32 v14, 19, v15
	v_subrev_u32_e32 v22, 28, v21
	v_and_b32_e32 v14, 15, v14
	v_lshlrev_b32_sdwa v22, v22, v15 dst_sel:DWORD dst_unused:UNUSED_PAD src0_sel:DWORD src1_sel:WORD_1
	v_bfe_u32 v20, v15, 19, 4
	v_sub_u32_e32 v21, 29, v21
	v_and_b32_e32 v22, 7, v22
	v_cmp_eq_u16_e32 vcc, 0, v14
	v_cndmask_b32_e32 v10, v10, v22, vcc
	v_cndmask_b32_e32 v14, v20, v21, vcc
	v_lshlrev_b32_e32 v20, 8, v15
	v_mov_b32_e32 v21, 0x3b800000
	v_lshlrev_b32_e32 v10, 20, v10
	v_and_b32_e32 v20, 0x80000000, v20
	v_lshl_add_u32 v14, v14, 23, v21
	v_or3_b32 v10, v20, v14, v10
.LBB21_1332:
	s_or_b64 exec, exec, s[6:7]
	s_movk_i32 s4, 0xff
	v_and_b32_sdwa v14, v11, s4 dst_sel:DWORD dst_unused:UNUSED_PAD src0_sel:WORD_1 src1_sel:DWORD
	s_movk_i32 s4, 0x7f
	v_cmp_lt_i16_e32 vcc, s4, v14
	s_mov_b64 s[4:5], 0
                                        ; implicit-def: $sgpr10
	s_and_saveexec_b64 s[6:7], vcc
	s_xor_b64 s[6:7], exec, s[6:7]
	s_cbranch_execnz .LBB21_3381
; %bb.1333:
	s_or_saveexec_b64 s[6:7], s[6:7]
	v_mov_b32_e32 v20, s10
	s_xor_b64 exec, exec, s[6:7]
	s_cbranch_execnz .LBB21_3384
.LBB21_1334:
	s_or_b64 exec, exec, s[6:7]
	s_and_saveexec_b64 s[6:7], s[4:5]
	s_cbranch_execz .LBB21_1336
.LBB21_1335:
	v_bfe_u32 v14, v11, 16, 3
	v_ffbh_u32_e32 v22, v14
	v_min_u32_e32 v22, 32, v22
	v_lshrrev_b32_e32 v20, 19, v11
	v_subrev_u32_e32 v23, 28, v22
	v_and_b32_e32 v20, 15, v20
	v_lshlrev_b32_sdwa v23, v23, v11 dst_sel:DWORD dst_unused:UNUSED_PAD src0_sel:DWORD src1_sel:WORD_1
	v_bfe_u32 v21, v11, 19, 4
	v_sub_u32_e32 v22, 29, v22
	v_and_b32_e32 v23, 7, v23
	v_cmp_eq_u16_e32 vcc, 0, v20
	v_cndmask_b32_e32 v14, v14, v23, vcc
	v_cndmask_b32_e32 v20, v21, v22, vcc
	v_lshlrev_b32_e32 v21, 8, v11
	v_mov_b32_e32 v22, 0x3b800000
	v_lshlrev_b32_e32 v14, 20, v14
	v_and_b32_e32 v21, 0x80000000, v21
	v_lshl_add_u32 v20, v20, 23, v22
	v_or3_b32 v20, v21, v20, v14
.LBB21_1336:
	s_or_b64 exec, exec, s[6:7]
	s_nop 0
	v_mfma_f32_16x16x4f32 a[0:3], v10, v20, a[0:3]
	s_movk_i32 s4, 0x7f
	v_cmp_gt_i16_sdwa s[6:7], v15, s4 src0_sel:BYTE_3 src1_sel:DWORD
	s_mov_b64 s[4:5], 0
                                        ; implicit-def: $sgpr10
	s_and_saveexec_b64 s[8:9], s[6:7]
	s_xor_b64 s[6:7], exec, s[8:9]
	s_cbranch_execnz .LBB21_3385
; %bb.1337:
	s_or_saveexec_b64 s[6:7], s[6:7]
	v_mov_b32_e32 v10, s10
	s_xor_b64 exec, exec, s[6:7]
	s_cbranch_execnz .LBB21_3388
.LBB21_1338:
	s_or_b64 exec, exec, s[6:7]
	s_and_saveexec_b64 s[6:7], s[4:5]
	s_cbranch_execz .LBB21_1340
.LBB21_1339:
	v_bfe_u32 v10, v15, 24, 3
	v_ffbh_u32_e32 v22, v10
	v_min_u32_e32 v22, 32, v22
	v_lshrrev_b32_e32 v20, 27, v15
	v_subrev_u32_e32 v23, 28, v22
	v_and_b32_e32 v14, 0x80000000, v15
	v_and_b32_e32 v20, 15, v20
	v_bfe_u32 v21, v15, 27, 4
	v_lshlrev_b32_sdwa v15, v23, v15 dst_sel:DWORD dst_unused:UNUSED_PAD src0_sel:DWORD src1_sel:BYTE_3
	v_sub_u32_e32 v22, 29, v22
	v_and_b32_e32 v15, 7, v15
	v_cmp_eq_u16_e32 vcc, 0, v20
	v_cndmask_b32_e32 v10, v10, v15, vcc
	v_cndmask_b32_e32 v15, v21, v22, vcc
	v_mov_b32_e32 v20, 0x3b800000
	v_lshlrev_b32_e32 v10, 20, v10
	v_lshl_add_u32 v15, v15, 23, v20
	v_or3_b32 v10, v14, v15, v10
.LBB21_1340:
	s_or_b64 exec, exec, s[6:7]
	s_movk_i32 s4, 0x7f
	v_cmp_gt_i16_sdwa s[6:7], v11, s4 src0_sel:BYTE_3 src1_sel:DWORD
	s_mov_b64 s[4:5], 0
                                        ; implicit-def: $sgpr10
	s_and_saveexec_b64 s[8:9], s[6:7]
	s_xor_b64 s[6:7], exec, s[8:9]
	s_cbranch_execnz .LBB21_3389
; %bb.1341:
	s_or_saveexec_b64 s[6:7], s[6:7]
	v_mov_b32_e32 v14, s10
	s_xor_b64 exec, exec, s[6:7]
	s_cbranch_execnz .LBB21_3392
.LBB21_1342:
	s_or_b64 exec, exec, s[6:7]
	s_and_saveexec_b64 s[6:7], s[4:5]
	s_cbranch_execz .LBB21_1344
.LBB21_1343:
	v_bfe_u32 v14, v11, 24, 3
	v_ffbh_u32_e32 v22, v14
	v_min_u32_e32 v22, 32, v22
	v_lshrrev_b32_e32 v20, 27, v11
	v_subrev_u32_e32 v23, 28, v22
	v_and_b32_e32 v15, 0x80000000, v11
	v_and_b32_e32 v20, 15, v20
	v_bfe_u32 v21, v11, 27, 4
	v_lshlrev_b32_sdwa v11, v23, v11 dst_sel:DWORD dst_unused:UNUSED_PAD src0_sel:DWORD src1_sel:BYTE_3
	v_sub_u32_e32 v22, 29, v22
	v_and_b32_e32 v11, 7, v11
	v_cmp_eq_u16_e32 vcc, 0, v20
	v_cndmask_b32_e32 v11, v14, v11, vcc
	v_cndmask_b32_e32 v14, v21, v22, vcc
	v_mov_b32_e32 v20, 0x3b800000
	v_lshlrev_b32_e32 v11, 20, v11
	v_lshl_add_u32 v14, v14, 23, v20
	v_or3_b32 v14, v15, v14, v11
.LBB21_1344:
	s_or_b64 exec, exec, s[6:7]
	s_nop 0
	v_mfma_f32_16x16x4f32 a[0:3], v10, v14, a[0:3]
	s_movk_i32 s4, 0x7f
	v_cmp_gt_i16_sdwa s[6:7], v16, s4 src0_sel:BYTE_0 src1_sel:DWORD
	s_mov_b64 s[4:5], 0
                                        ; implicit-def: $sgpr10
	s_and_saveexec_b64 s[8:9], s[6:7]
	s_xor_b64 s[6:7], exec, s[8:9]
	s_cbranch_execnz .LBB21_3393
; %bb.1345:
	s_or_saveexec_b64 s[6:7], s[6:7]
	v_mov_b32_e32 v10, s10
	s_xor_b64 exec, exec, s[6:7]
	s_cbranch_execnz .LBB21_3396
.LBB21_1346:
	s_or_b64 exec, exec, s[6:7]
	s_and_saveexec_b64 s[6:7], s[4:5]
	s_cbranch_execz .LBB21_1348
.LBB21_1347:
	v_and_b32_e32 v10, 7, v16
	v_ffbh_u32_e32 v14, v10
	v_min_u32_e32 v14, 32, v14
	v_lshrrev_b16_e32 v11, 3, v16
	v_subrev_u32_e32 v15, 28, v14
	v_and_b32_e32 v11, 15, v11
	v_lshlrev_b32_e32 v15, v15, v16
	v_sub_u32_e32 v14, 29, v14
	v_and_b32_e32 v15, 7, v15
	v_cmp_eq_u16_e32 vcc, 0, v11
	v_cndmask_b32_e32 v10, v10, v15, vcc
	v_cndmask_b32_e32 v11, v11, v14, vcc
	v_lshlrev_b32_e32 v14, 24, v16
	v_mov_b32_e32 v15, 0x3b800000
	v_lshlrev_b32_e32 v10, 20, v10
	v_and_b32_e32 v14, 0x80000000, v14
	v_lshl_add_u32 v11, v11, 23, v15
	v_or3_b32 v10, v14, v11, v10
.LBB21_1348:
	s_or_b64 exec, exec, s[6:7]
	s_movk_i32 s4, 0x7f
	v_cmp_gt_i16_sdwa s[6:7], v12, s4 src0_sel:BYTE_0 src1_sel:DWORD
	s_mov_b64 s[4:5], 0
                                        ; implicit-def: $sgpr10
	s_and_saveexec_b64 s[8:9], s[6:7]
	s_xor_b64 s[6:7], exec, s[8:9]
	s_cbranch_execnz .LBB21_3397
; %bb.1349:
	s_or_saveexec_b64 s[6:7], s[6:7]
	v_mov_b32_e32 v11, s10
	s_xor_b64 exec, exec, s[6:7]
	s_cbranch_execnz .LBB21_3400
.LBB21_1350:
	s_or_b64 exec, exec, s[6:7]
	s_and_saveexec_b64 s[6:7], s[4:5]
	s_cbranch_execz .LBB21_1352
.LBB21_1351:
	v_and_b32_e32 v11, 7, v12
	v_ffbh_u32_e32 v15, v11
	v_min_u32_e32 v15, 32, v15
	v_lshrrev_b16_e32 v14, 3, v12
	v_subrev_u32_e32 v20, 28, v15
	v_and_b32_e32 v14, 15, v14
	v_lshlrev_b32_e32 v20, v20, v12
	v_sub_u32_e32 v15, 29, v15
	v_and_b32_e32 v20, 7, v20
	v_cmp_eq_u16_e32 vcc, 0, v14
	v_cndmask_b32_e32 v11, v11, v20, vcc
	v_cndmask_b32_e32 v14, v14, v15, vcc
	v_lshlrev_b32_e32 v15, 24, v12
	v_mov_b32_e32 v20, 0x3b800000
	v_lshlrev_b32_e32 v11, 20, v11
	v_and_b32_e32 v15, 0x80000000, v15
	v_lshl_add_u32 v14, v14, 23, v20
	v_or3_b32 v11, v15, v14, v11
.LBB21_1352:
	s_or_b64 exec, exec, s[6:7]
	s_nop 0
	v_mfma_f32_16x16x4f32 a[0:3], v10, v11, a[0:3]
	v_lshrrev_b32_e32 v11, 8, v16
	s_movk_i32 s4, 0x7f
	v_cmp_gt_i16_sdwa s[6:7], v11, s4 src0_sel:BYTE_0 src1_sel:DWORD
	s_mov_b64 s[4:5], 0
                                        ; implicit-def: $sgpr10
	s_and_saveexec_b64 s[8:9], s[6:7]
	s_xor_b64 s[6:7], exec, s[8:9]
	s_cbranch_execnz .LBB21_3401
; %bb.1353:
	s_or_saveexec_b64 s[6:7], s[6:7]
	v_mov_b32_e32 v10, s10
	s_xor_b64 exec, exec, s[6:7]
	s_cbranch_execnz .LBB21_3404
.LBB21_1354:
	s_or_b64 exec, exec, s[6:7]
	s_and_saveexec_b64 s[6:7], s[4:5]
	s_cbranch_execz .LBB21_1356
.LBB21_1355:
	v_bfe_u32 v10, v16, 8, 3
	v_ffbh_u32_e32 v15, v10
	v_min_u32_e32 v15, 32, v15
	v_lshrrev_b16_e32 v14, 3, v11
	v_subrev_u32_e32 v20, 28, v15
	v_and_b32_e32 v14, 15, v14
	v_lshlrev_b32_e32 v11, v20, v11
	v_sub_u32_e32 v15, 29, v15
	v_and_b32_e32 v11, 7, v11
	v_cmp_eq_u16_e32 vcc, 0, v14
	v_cndmask_b32_e32 v10, v10, v11, vcc
	v_cndmask_b32_e32 v11, v14, v15, vcc
	v_lshlrev_b32_e32 v14, 16, v16
	v_mov_b32_e32 v15, 0x3b800000
	v_lshlrev_b32_e32 v10, 20, v10
	v_and_b32_e32 v14, 0x80000000, v14
	v_lshl_add_u32 v11, v11, 23, v15
	v_or3_b32 v10, v14, v11, v10
.LBB21_1356:
	s_or_b64 exec, exec, s[6:7]
	v_lshrrev_b32_e32 v11, 8, v12
	s_movk_i32 s4, 0x7f
	v_cmp_gt_i16_sdwa s[6:7], v11, s4 src0_sel:BYTE_0 src1_sel:DWORD
	s_mov_b64 s[4:5], 0
                                        ; implicit-def: $sgpr10
	s_and_saveexec_b64 s[8:9], s[6:7]
	s_xor_b64 s[6:7], exec, s[8:9]
	s_cbranch_execnz .LBB21_3405
; %bb.1357:
	s_or_saveexec_b64 s[6:7], s[6:7]
	v_mov_b32_e32 v14, s10
	s_xor_b64 exec, exec, s[6:7]
	s_cbranch_execnz .LBB21_3408
.LBB21_1358:
	s_or_b64 exec, exec, s[6:7]
	s_and_saveexec_b64 s[6:7], s[4:5]
	s_cbranch_execz .LBB21_1360
.LBB21_1359:
	v_bfe_u32 v14, v12, 8, 3
	v_ffbh_u32_e32 v20, v14
	v_min_u32_e32 v20, 32, v20
	v_lshrrev_b16_e32 v15, 3, v11
	v_subrev_u32_e32 v21, 28, v20
	v_and_b32_e32 v15, 15, v15
	v_lshlrev_b32_e32 v11, v21, v11
	v_sub_u32_e32 v20, 29, v20
	v_and_b32_e32 v11, 7, v11
	v_cmp_eq_u16_e32 vcc, 0, v15
	v_cndmask_b32_e32 v11, v14, v11, vcc
	v_cndmask_b32_e32 v14, v15, v20, vcc
	v_lshlrev_b32_e32 v15, 16, v12
	v_mov_b32_e32 v20, 0x3b800000
	v_lshlrev_b32_e32 v11, 20, v11
	v_and_b32_e32 v15, 0x80000000, v15
	v_lshl_add_u32 v14, v14, 23, v20
	v_or3_b32 v14, v15, v14, v11
.LBB21_1360:
	s_or_b64 exec, exec, s[6:7]
	s_nop 0
	v_mfma_f32_16x16x4f32 a[0:3], v10, v14, a[0:3]
	s_movk_i32 s4, 0xff
	v_and_b32_sdwa v11, v16, s4 dst_sel:DWORD dst_unused:UNUSED_PAD src0_sel:WORD_1 src1_sel:DWORD
	s_movk_i32 s4, 0x7f
	v_cmp_lt_i16_e32 vcc, s4, v11
	s_mov_b64 s[4:5], 0
                                        ; implicit-def: $sgpr10
	s_and_saveexec_b64 s[6:7], vcc
	s_xor_b64 s[6:7], exec, s[6:7]
	s_cbranch_execnz .LBB21_3409
; %bb.1361:
	s_or_saveexec_b64 s[6:7], s[6:7]
	v_mov_b32_e32 v10, s10
	s_xor_b64 exec, exec, s[6:7]
	s_cbranch_execnz .LBB21_3412
.LBB21_1362:
	s_or_b64 exec, exec, s[6:7]
	s_and_saveexec_b64 s[6:7], s[4:5]
	s_cbranch_execz .LBB21_1364
.LBB21_1363:
	v_bfe_u32 v10, v16, 16, 3
	v_ffbh_u32_e32 v15, v10
	v_min_u32_e32 v15, 32, v15
	v_lshrrev_b32_e32 v11, 19, v16
	v_subrev_u32_e32 v20, 28, v15
	v_and_b32_e32 v11, 15, v11
	v_lshlrev_b32_sdwa v20, v20, v16 dst_sel:DWORD dst_unused:UNUSED_PAD src0_sel:DWORD src1_sel:WORD_1
	v_bfe_u32 v14, v16, 19, 4
	v_sub_u32_e32 v15, 29, v15
	v_and_b32_e32 v20, 7, v20
	v_cmp_eq_u16_e32 vcc, 0, v11
	v_cndmask_b32_e32 v10, v10, v20, vcc
	v_cndmask_b32_e32 v11, v14, v15, vcc
	v_lshlrev_b32_e32 v14, 8, v16
	v_mov_b32_e32 v15, 0x3b800000
	v_lshlrev_b32_e32 v10, 20, v10
	v_and_b32_e32 v14, 0x80000000, v14
	v_lshl_add_u32 v11, v11, 23, v15
	v_or3_b32 v10, v14, v11, v10
.LBB21_1364:
	s_or_b64 exec, exec, s[6:7]
	s_movk_i32 s4, 0xff
	v_and_b32_sdwa v11, v12, s4 dst_sel:DWORD dst_unused:UNUSED_PAD src0_sel:WORD_1 src1_sel:DWORD
	s_movk_i32 s4, 0x7f
	v_cmp_lt_i16_e32 vcc, s4, v11
	s_mov_b64 s[4:5], 0
                                        ; implicit-def: $sgpr10
	s_and_saveexec_b64 s[6:7], vcc
	s_xor_b64 s[6:7], exec, s[6:7]
	s_cbranch_execnz .LBB21_3413
; %bb.1365:
	s_or_saveexec_b64 s[6:7], s[6:7]
	v_mov_b32_e32 v14, s10
	s_xor_b64 exec, exec, s[6:7]
	s_cbranch_execnz .LBB21_3416
.LBB21_1366:
	s_or_b64 exec, exec, s[6:7]
	s_and_saveexec_b64 s[6:7], s[4:5]
	s_cbranch_execz .LBB21_1368
.LBB21_1367:
	v_bfe_u32 v11, v12, 16, 3
	v_ffbh_u32_e32 v20, v11
	v_min_u32_e32 v20, 32, v20
	v_lshrrev_b32_e32 v14, 19, v12
	v_subrev_u32_e32 v21, 28, v20
	v_and_b32_e32 v14, 15, v14
	v_lshlrev_b32_sdwa v21, v21, v12 dst_sel:DWORD dst_unused:UNUSED_PAD src0_sel:DWORD src1_sel:WORD_1
	v_bfe_u32 v15, v12, 19, 4
	v_sub_u32_e32 v20, 29, v20
	v_and_b32_e32 v21, 7, v21
	v_cmp_eq_u16_e32 vcc, 0, v14
	v_cndmask_b32_e32 v11, v11, v21, vcc
	v_cndmask_b32_e32 v14, v15, v20, vcc
	v_lshlrev_b32_e32 v15, 8, v12
	v_mov_b32_e32 v20, 0x3b800000
	v_lshlrev_b32_e32 v11, 20, v11
	v_and_b32_e32 v15, 0x80000000, v15
	v_lshl_add_u32 v14, v14, 23, v20
	v_or3_b32 v14, v15, v14, v11
.LBB21_1368:
	s_or_b64 exec, exec, s[6:7]
	s_nop 0
	v_mfma_f32_16x16x4f32 a[0:3], v10, v14, a[0:3]
	s_movk_i32 s4, 0x7f
	v_cmp_gt_i16_sdwa s[6:7], v16, s4 src0_sel:BYTE_3 src1_sel:DWORD
	s_mov_b64 s[4:5], 0
                                        ; implicit-def: $sgpr10
	s_and_saveexec_b64 s[8:9], s[6:7]
	s_xor_b64 s[6:7], exec, s[8:9]
	s_cbranch_execnz .LBB21_3417
; %bb.1369:
	s_or_saveexec_b64 s[6:7], s[6:7]
	v_mov_b32_e32 v10, s10
	s_xor_b64 exec, exec, s[6:7]
	s_cbranch_execnz .LBB21_3420
.LBB21_1370:
	s_or_b64 exec, exec, s[6:7]
	s_and_saveexec_b64 s[6:7], s[4:5]
	s_cbranch_execz .LBB21_1372
.LBB21_1371:
	v_bfe_u32 v10, v16, 24, 3
	v_ffbh_u32_e32 v20, v10
	v_min_u32_e32 v20, 32, v20
	v_lshrrev_b32_e32 v14, 27, v16
	v_subrev_u32_e32 v21, 28, v20
	v_and_b32_e32 v11, 0x80000000, v16
	v_and_b32_e32 v14, 15, v14
	v_bfe_u32 v15, v16, 27, 4
	v_lshlrev_b32_sdwa v16, v21, v16 dst_sel:DWORD dst_unused:UNUSED_PAD src0_sel:DWORD src1_sel:BYTE_3
	v_sub_u32_e32 v20, 29, v20
	v_and_b32_e32 v16, 7, v16
	v_cmp_eq_u16_e32 vcc, 0, v14
	v_cndmask_b32_e32 v10, v10, v16, vcc
	v_cndmask_b32_e32 v14, v15, v20, vcc
	v_mov_b32_e32 v15, 0x3b800000
	v_lshlrev_b32_e32 v10, 20, v10
	v_lshl_add_u32 v14, v14, 23, v15
	v_or3_b32 v10, v11, v14, v10
.LBB21_1372:
	s_or_b64 exec, exec, s[6:7]
	s_movk_i32 s4, 0x7f
	v_cmp_gt_i16_sdwa s[6:7], v12, s4 src0_sel:BYTE_3 src1_sel:DWORD
	s_mov_b64 s[4:5], 0
                                        ; implicit-def: $sgpr10
	s_and_saveexec_b64 s[8:9], s[6:7]
	s_xor_b64 s[6:7], exec, s[8:9]
	s_cbranch_execnz .LBB21_3421
; %bb.1373:
	s_or_saveexec_b64 s[6:7], s[6:7]
	v_mov_b32_e32 v11, s10
	s_xor_b64 exec, exec, s[6:7]
	s_cbranch_execnz .LBB21_3424
.LBB21_1374:
	s_or_b64 exec, exec, s[6:7]
	s_and_saveexec_b64 s[6:7], s[4:5]
	s_cbranch_execz .LBB21_1376
.LBB21_1375:
	v_bfe_u32 v11, v12, 24, 3
	v_ffbh_u32_e32 v20, v11
	v_min_u32_e32 v20, 32, v20
	v_lshrrev_b32_e32 v15, 27, v12
	v_subrev_u32_e32 v21, 28, v20
	v_and_b32_e32 v14, 0x80000000, v12
	v_and_b32_e32 v15, 15, v15
	v_bfe_u32 v16, v12, 27, 4
	v_lshlrev_b32_sdwa v12, v21, v12 dst_sel:DWORD dst_unused:UNUSED_PAD src0_sel:DWORD src1_sel:BYTE_3
	v_sub_u32_e32 v20, 29, v20
	v_and_b32_e32 v12, 7, v12
	v_cmp_eq_u16_e32 vcc, 0, v15
	v_cndmask_b32_e32 v11, v11, v12, vcc
	v_cndmask_b32_e32 v12, v16, v20, vcc
	v_mov_b32_e32 v15, 0x3b800000
	v_lshlrev_b32_e32 v11, 20, v11
	v_lshl_add_u32 v12, v12, 23, v15
	v_or3_b32 v11, v14, v12, v11
.LBB21_1376:
	s_or_b64 exec, exec, s[6:7]
	s_nop 0
	v_mfma_f32_16x16x4f32 a[0:3], v10, v11, a[0:3]
	s_movk_i32 s4, 0x7f
	v_cmp_gt_i16_sdwa s[6:7], v17, s4 src0_sel:BYTE_0 src1_sel:DWORD
	s_mov_b64 s[4:5], 0
                                        ; implicit-def: $sgpr10
	s_and_saveexec_b64 s[8:9], s[6:7]
	s_xor_b64 s[6:7], exec, s[8:9]
	s_cbranch_execnz .LBB21_3425
; %bb.1377:
	s_or_saveexec_b64 s[6:7], s[6:7]
	v_mov_b32_e32 v10, s10
	s_xor_b64 exec, exec, s[6:7]
	s_cbranch_execnz .LBB21_3428
.LBB21_1378:
	s_or_b64 exec, exec, s[6:7]
	s_and_saveexec_b64 s[6:7], s[4:5]
	s_cbranch_execz .LBB21_1380
.LBB21_1379:
	v_and_b32_e32 v10, 7, v17
	v_ffbh_u32_e32 v12, v10
	v_min_u32_e32 v12, 32, v12
	v_lshrrev_b16_e32 v11, 3, v17
	v_subrev_u32_e32 v14, 28, v12
	v_and_b32_e32 v11, 15, v11
	v_lshlrev_b32_e32 v14, v14, v17
	v_sub_u32_e32 v12, 29, v12
	v_and_b32_e32 v14, 7, v14
	v_cmp_eq_u16_e32 vcc, 0, v11
	v_cndmask_b32_e32 v10, v10, v14, vcc
	v_cndmask_b32_e32 v11, v11, v12, vcc
	v_lshlrev_b32_e32 v12, 24, v17
	v_mov_b32_e32 v14, 0x3b800000
	v_lshlrev_b32_e32 v10, 20, v10
	v_and_b32_e32 v12, 0x80000000, v12
	v_lshl_add_u32 v11, v11, 23, v14
	v_or3_b32 v10, v12, v11, v10
.LBB21_1380:
	s_or_b64 exec, exec, s[6:7]
	s_movk_i32 s4, 0x7f
	v_cmp_gt_i16_sdwa s[6:7], v13, s4 src0_sel:BYTE_0 src1_sel:DWORD
	s_mov_b64 s[4:5], 0
                                        ; implicit-def: $sgpr10
	s_and_saveexec_b64 s[8:9], s[6:7]
	s_xor_b64 s[6:7], exec, s[8:9]
	s_cbranch_execnz .LBB21_3429
; %bb.1381:
	s_or_saveexec_b64 s[6:7], s[6:7]
	v_mov_b32_e32 v11, s10
	s_xor_b64 exec, exec, s[6:7]
	s_cbranch_execnz .LBB21_3432
.LBB21_1382:
	s_or_b64 exec, exec, s[6:7]
	s_and_saveexec_b64 s[6:7], s[4:5]
	s_cbranch_execz .LBB21_1384
.LBB21_1383:
	v_and_b32_e32 v11, 7, v13
	v_ffbh_u32_e32 v14, v11
	v_min_u32_e32 v14, 32, v14
	v_lshrrev_b16_e32 v12, 3, v13
	v_subrev_u32_e32 v15, 28, v14
	v_and_b32_e32 v12, 15, v12
	v_lshlrev_b32_e32 v15, v15, v13
	v_sub_u32_e32 v14, 29, v14
	v_and_b32_e32 v15, 7, v15
	v_cmp_eq_u16_e32 vcc, 0, v12
	v_cndmask_b32_e32 v11, v11, v15, vcc
	v_cndmask_b32_e32 v12, v12, v14, vcc
	v_lshlrev_b32_e32 v14, 24, v13
	v_mov_b32_e32 v15, 0x3b800000
	v_lshlrev_b32_e32 v11, 20, v11
	v_and_b32_e32 v14, 0x80000000, v14
	v_lshl_add_u32 v12, v12, 23, v15
	v_or3_b32 v11, v14, v12, v11
.LBB21_1384:
	s_or_b64 exec, exec, s[6:7]
	s_nop 0
	v_mfma_f32_16x16x4f32 a[0:3], v10, v11, a[0:3]
	v_lshrrev_b32_e32 v11, 8, v17
	s_movk_i32 s4, 0x7f
	v_cmp_gt_i16_sdwa s[6:7], v11, s4 src0_sel:BYTE_0 src1_sel:DWORD
	s_mov_b64 s[4:5], 0
                                        ; implicit-def: $sgpr10
	s_and_saveexec_b64 s[8:9], s[6:7]
	s_xor_b64 s[6:7], exec, s[8:9]
	s_cbranch_execnz .LBB21_3433
; %bb.1385:
	s_or_saveexec_b64 s[6:7], s[6:7]
	v_mov_b32_e32 v10, s10
	s_xor_b64 exec, exec, s[6:7]
	s_cbranch_execnz .LBB21_3436
.LBB21_1386:
	s_or_b64 exec, exec, s[6:7]
	s_and_saveexec_b64 s[6:7], s[4:5]
	s_cbranch_execz .LBB21_1388
.LBB21_1387:
	v_bfe_u32 v10, v17, 8, 3
	v_ffbh_u32_e32 v14, v10
	v_min_u32_e32 v14, 32, v14
	v_lshrrev_b16_e32 v12, 3, v11
	v_subrev_u32_e32 v15, 28, v14
	v_and_b32_e32 v12, 15, v12
	v_lshlrev_b32_e32 v11, v15, v11
	v_sub_u32_e32 v14, 29, v14
	v_and_b32_e32 v11, 7, v11
	v_cmp_eq_u16_e32 vcc, 0, v12
	v_cndmask_b32_e32 v10, v10, v11, vcc
	v_cndmask_b32_e32 v11, v12, v14, vcc
	v_lshlrev_b32_e32 v12, 16, v17
	v_mov_b32_e32 v14, 0x3b800000
	v_lshlrev_b32_e32 v10, 20, v10
	v_and_b32_e32 v12, 0x80000000, v12
	v_lshl_add_u32 v11, v11, 23, v14
	v_or3_b32 v10, v12, v11, v10
.LBB21_1388:
	s_or_b64 exec, exec, s[6:7]
	v_lshrrev_b32_e32 v11, 8, v13
	s_movk_i32 s4, 0x7f
	v_cmp_gt_i16_sdwa s[6:7], v11, s4 src0_sel:BYTE_0 src1_sel:DWORD
	s_mov_b64 s[4:5], 0
                                        ; implicit-def: $sgpr10
	s_and_saveexec_b64 s[8:9], s[6:7]
	s_xor_b64 s[6:7], exec, s[8:9]
	s_cbranch_execnz .LBB21_3437
; %bb.1389:
	s_or_saveexec_b64 s[6:7], s[6:7]
	v_mov_b32_e32 v12, s10
	s_xor_b64 exec, exec, s[6:7]
	s_cbranch_execnz .LBB21_3440
.LBB21_1390:
	s_or_b64 exec, exec, s[6:7]
	s_and_saveexec_b64 s[6:7], s[4:5]
	s_cbranch_execz .LBB21_1392
.LBB21_1391:
	v_bfe_u32 v12, v13, 8, 3
	v_ffbh_u32_e32 v15, v12
	v_min_u32_e32 v15, 32, v15
	v_lshrrev_b16_e32 v14, 3, v11
	v_subrev_u32_e32 v16, 28, v15
	v_and_b32_e32 v14, 15, v14
	v_lshlrev_b32_e32 v11, v16, v11
	v_sub_u32_e32 v15, 29, v15
	v_and_b32_e32 v11, 7, v11
	v_cmp_eq_u16_e32 vcc, 0, v14
	v_cndmask_b32_e32 v11, v12, v11, vcc
	v_cndmask_b32_e32 v12, v14, v15, vcc
	v_lshlrev_b32_e32 v14, 16, v13
	v_mov_b32_e32 v15, 0x3b800000
	v_lshlrev_b32_e32 v11, 20, v11
	v_and_b32_e32 v14, 0x80000000, v14
	v_lshl_add_u32 v12, v12, 23, v15
	v_or3_b32 v12, v14, v12, v11
.LBB21_1392:
	s_or_b64 exec, exec, s[6:7]
	s_nop 0
	v_mfma_f32_16x16x4f32 a[0:3], v10, v12, a[0:3]
	s_movk_i32 s4, 0xff
	v_and_b32_sdwa v11, v17, s4 dst_sel:DWORD dst_unused:UNUSED_PAD src0_sel:WORD_1 src1_sel:DWORD
	s_movk_i32 s4, 0x7f
	v_cmp_lt_i16_e32 vcc, s4, v11
	s_mov_b64 s[4:5], 0
                                        ; implicit-def: $sgpr10
	s_and_saveexec_b64 s[6:7], vcc
	s_xor_b64 s[6:7], exec, s[6:7]
	s_cbranch_execnz .LBB21_3441
; %bb.1393:
	s_or_saveexec_b64 s[6:7], s[6:7]
	v_mov_b32_e32 v10, s10
	s_xor_b64 exec, exec, s[6:7]
	s_cbranch_execnz .LBB21_3444
.LBB21_1394:
	s_or_b64 exec, exec, s[6:7]
	s_and_saveexec_b64 s[6:7], s[4:5]
	s_cbranch_execz .LBB21_1396
.LBB21_1395:
	v_bfe_u32 v10, v17, 16, 3
	v_ffbh_u32_e32 v14, v10
	v_min_u32_e32 v14, 32, v14
	v_lshrrev_b32_e32 v11, 19, v17
	v_subrev_u32_e32 v15, 28, v14
	v_and_b32_e32 v11, 15, v11
	v_lshlrev_b32_sdwa v15, v15, v17 dst_sel:DWORD dst_unused:UNUSED_PAD src0_sel:DWORD src1_sel:WORD_1
	v_bfe_u32 v12, v17, 19, 4
	v_sub_u32_e32 v14, 29, v14
	v_and_b32_e32 v15, 7, v15
	v_cmp_eq_u16_e32 vcc, 0, v11
	v_cndmask_b32_e32 v10, v10, v15, vcc
	v_cndmask_b32_e32 v11, v12, v14, vcc
	v_lshlrev_b32_e32 v12, 8, v17
	v_mov_b32_e32 v14, 0x3b800000
	v_lshlrev_b32_e32 v10, 20, v10
	v_and_b32_e32 v12, 0x80000000, v12
	v_lshl_add_u32 v11, v11, 23, v14
	v_or3_b32 v10, v12, v11, v10
.LBB21_1396:
	s_or_b64 exec, exec, s[6:7]
	s_movk_i32 s4, 0xff
	v_and_b32_sdwa v11, v13, s4 dst_sel:DWORD dst_unused:UNUSED_PAD src0_sel:WORD_1 src1_sel:DWORD
	s_movk_i32 s4, 0x7f
	v_cmp_lt_i16_e32 vcc, s4, v11
	s_mov_b64 s[4:5], 0
                                        ; implicit-def: $sgpr10
	s_and_saveexec_b64 s[6:7], vcc
	s_xor_b64 s[6:7], exec, s[6:7]
	s_cbranch_execnz .LBB21_3445
; %bb.1397:
	s_or_saveexec_b64 s[6:7], s[6:7]
	v_mov_b32_e32 v12, s10
	s_xor_b64 exec, exec, s[6:7]
	s_cbranch_execnz .LBB21_3448
.LBB21_1398:
	s_or_b64 exec, exec, s[6:7]
	s_and_saveexec_b64 s[6:7], s[4:5]
	s_cbranch_execz .LBB21_1400
.LBB21_1399:
	v_bfe_u32 v11, v13, 16, 3
	v_ffbh_u32_e32 v15, v11
	v_min_u32_e32 v15, 32, v15
	v_lshrrev_b32_e32 v12, 19, v13
	v_subrev_u32_e32 v16, 28, v15
	v_and_b32_e32 v12, 15, v12
	v_lshlrev_b32_sdwa v16, v16, v13 dst_sel:DWORD dst_unused:UNUSED_PAD src0_sel:DWORD src1_sel:WORD_1
	v_bfe_u32 v14, v13, 19, 4
	v_sub_u32_e32 v15, 29, v15
	v_and_b32_e32 v16, 7, v16
	v_cmp_eq_u16_e32 vcc, 0, v12
	v_cndmask_b32_e32 v11, v11, v16, vcc
	v_cndmask_b32_e32 v12, v14, v15, vcc
	v_lshlrev_b32_e32 v14, 8, v13
	v_mov_b32_e32 v15, 0x3b800000
	v_lshlrev_b32_e32 v11, 20, v11
	v_and_b32_e32 v14, 0x80000000, v14
	v_lshl_add_u32 v12, v12, 23, v15
	v_or3_b32 v12, v14, v12, v11
.LBB21_1400:
	s_or_b64 exec, exec, s[6:7]
	s_nop 0
	v_mfma_f32_16x16x4f32 a[0:3], v10, v12, a[0:3]
	s_movk_i32 s4, 0x7f
	v_cmp_gt_i16_sdwa s[6:7], v17, s4 src0_sel:BYTE_3 src1_sel:DWORD
	s_mov_b64 s[4:5], 0
                                        ; implicit-def: $sgpr10
	s_and_saveexec_b64 s[8:9], s[6:7]
	s_xor_b64 s[6:7], exec, s[8:9]
	s_cbranch_execnz .LBB21_3449
; %bb.1401:
	s_or_saveexec_b64 s[6:7], s[6:7]
	v_mov_b32_e32 v10, s10
	s_xor_b64 exec, exec, s[6:7]
	s_cbranch_execnz .LBB21_3452
.LBB21_1402:
	s_or_b64 exec, exec, s[6:7]
	s_and_saveexec_b64 s[6:7], s[4:5]
	s_cbranch_execz .LBB21_1404
.LBB21_1403:
	v_bfe_u32 v10, v17, 24, 3
	v_ffbh_u32_e32 v15, v10
	v_min_u32_e32 v15, 32, v15
	v_lshrrev_b32_e32 v12, 27, v17
	v_subrev_u32_e32 v16, 28, v15
	v_and_b32_e32 v12, 15, v12
	v_lshlrev_b32_sdwa v16, v16, v17 dst_sel:DWORD dst_unused:UNUSED_PAD src0_sel:DWORD src1_sel:BYTE_3
	v_bfe_u32 v14, v17, 27, 4
	v_sub_u32_e32 v15, 29, v15
	v_and_b32_e32 v16, 7, v16
	v_cmp_eq_u16_e32 vcc, 0, v12
	v_cndmask_b32_e32 v10, v10, v16, vcc
	v_cndmask_b32_e32 v12, v14, v15, vcc
	v_mov_b32_e32 v14, 0x3b800000
	v_and_b32_e32 v11, 0x80000000, v17
	v_lshlrev_b32_e32 v10, 20, v10
	v_lshl_add_u32 v12, v12, 23, v14
	v_or3_b32 v10, v11, v12, v10
.LBB21_1404:
	s_or_b64 exec, exec, s[6:7]
	s_movk_i32 s4, 0x7f
	v_cmp_gt_i16_sdwa s[6:7], v13, s4 src0_sel:BYTE_3 src1_sel:DWORD
	s_mov_b64 s[4:5], 0
                                        ; implicit-def: $sgpr10
	s_and_saveexec_b64 s[8:9], s[6:7]
	s_xor_b64 s[6:7], exec, s[8:9]
	s_cbranch_execnz .LBB21_3453
; %bb.1405:
	s_or_saveexec_b64 s[6:7], s[6:7]
	v_mov_b32_e32 v11, s10
	s_xor_b64 exec, exec, s[6:7]
	s_cbranch_execnz .LBB21_3456
.LBB21_1406:
	s_or_b64 exec, exec, s[6:7]
	s_and_saveexec_b64 s[6:7], s[4:5]
	s_cbranch_execz .LBB21_1408
.LBB21_1407:
	v_bfe_u32 v11, v13, 24, 3
	v_ffbh_u32_e32 v16, v11
	v_min_u32_e32 v16, 32, v16
	v_lshrrev_b32_e32 v14, 27, v13
	v_subrev_u32_e32 v17, 28, v16
	v_and_b32_e32 v12, 0x80000000, v13
	v_and_b32_e32 v14, 15, v14
	v_bfe_u32 v15, v13, 27, 4
	v_lshlrev_b32_sdwa v13, v17, v13 dst_sel:DWORD dst_unused:UNUSED_PAD src0_sel:DWORD src1_sel:BYTE_3
	v_sub_u32_e32 v16, 29, v16
	v_and_b32_e32 v13, 7, v13
	v_cmp_eq_u16_e32 vcc, 0, v14
	v_cndmask_b32_e32 v11, v11, v13, vcc
	v_cndmask_b32_e32 v13, v15, v16, vcc
	v_mov_b32_e32 v14, 0x3b800000
	v_lshlrev_b32_e32 v11, 20, v11
	v_lshl_add_u32 v13, v13, 23, v14
	v_or3_b32 v11, v12, v13, v11
.LBB21_1408:
	s_or_b64 exec, exec, s[6:7]
	s_nop 0
	v_mfma_f32_16x16x4f32 a[0:3], v10, v11, a[0:3]
	s_movk_i32 s4, 0x7f
	v_cmp_gt_i16_sdwa s[6:7], v6, s4 src0_sel:BYTE_0 src1_sel:DWORD
	s_mov_b64 s[4:5], 0
                                        ; implicit-def: $sgpr10
	s_and_saveexec_b64 s[8:9], s[6:7]
	s_xor_b64 s[6:7], exec, s[8:9]
	s_cbranch_execnz .LBB21_3457
; %bb.1409:
	s_or_saveexec_b64 s[6:7], s[6:7]
	v_mov_b32_e32 v10, s10
	s_xor_b64 exec, exec, s[6:7]
	s_cbranch_execnz .LBB21_3460
.LBB21_1410:
	s_or_b64 exec, exec, s[6:7]
	s_and_saveexec_b64 s[6:7], s[4:5]
	s_cbranch_execz .LBB21_1412
.LBB21_1411:
	v_and_b32_e32 v10, 7, v6
	v_ffbh_u32_e32 v12, v10
	v_min_u32_e32 v12, 32, v12
	v_lshrrev_b16_e32 v11, 3, v6
	v_subrev_u32_e32 v13, 28, v12
	v_and_b32_e32 v11, 15, v11
	v_lshlrev_b32_e32 v13, v13, v6
	v_sub_u32_e32 v12, 29, v12
	v_and_b32_e32 v13, 7, v13
	v_cmp_eq_u16_e32 vcc, 0, v11
	v_cndmask_b32_e32 v10, v10, v13, vcc
	v_cndmask_b32_e32 v11, v11, v12, vcc
	v_lshlrev_b32_e32 v12, 24, v6
	v_mov_b32_e32 v13, 0x3b800000
	v_lshlrev_b32_e32 v10, 20, v10
	v_and_b32_e32 v12, 0x80000000, v12
	v_lshl_add_u32 v11, v11, 23, v13
	v_or3_b32 v10, v12, v11, v10
.LBB21_1412:
	s_or_b64 exec, exec, s[6:7]
	s_movk_i32 s4, 0x7f
	v_cmp_gt_i16_sdwa s[6:7], v2, s4 src0_sel:BYTE_0 src1_sel:DWORD
	s_mov_b64 s[4:5], 0
                                        ; implicit-def: $sgpr10
	s_and_saveexec_b64 s[8:9], s[6:7]
	s_xor_b64 s[6:7], exec, s[8:9]
	s_cbranch_execnz .LBB21_3461
; %bb.1413:
	s_or_saveexec_b64 s[6:7], s[6:7]
	v_mov_b32_e32 v11, s10
	s_xor_b64 exec, exec, s[6:7]
	s_cbranch_execnz .LBB21_3464
.LBB21_1414:
	s_or_b64 exec, exec, s[6:7]
	s_and_saveexec_b64 s[6:7], s[4:5]
	s_cbranch_execz .LBB21_1416
.LBB21_1415:
	v_and_b32_e32 v11, 7, v2
	v_ffbh_u32_e32 v13, v11
	v_min_u32_e32 v13, 32, v13
	v_lshrrev_b16_e32 v12, 3, v2
	v_subrev_u32_e32 v14, 28, v13
	v_and_b32_e32 v12, 15, v12
	v_lshlrev_b32_e32 v14, v14, v2
	v_sub_u32_e32 v13, 29, v13
	v_and_b32_e32 v14, 7, v14
	v_cmp_eq_u16_e32 vcc, 0, v12
	v_cndmask_b32_e32 v11, v11, v14, vcc
	v_cndmask_b32_e32 v12, v12, v13, vcc
	v_lshlrev_b32_e32 v13, 24, v2
	v_mov_b32_e32 v14, 0x3b800000
	v_lshlrev_b32_e32 v11, 20, v11
	v_and_b32_e32 v13, 0x80000000, v13
	v_lshl_add_u32 v12, v12, 23, v14
	v_or3_b32 v11, v13, v12, v11
.LBB21_1416:
	s_or_b64 exec, exec, s[6:7]
	s_nop 0
	v_mfma_f32_16x16x4f32 a[0:3], v10, v11, a[0:3]
	v_lshrrev_b32_e32 v11, 8, v6
	s_movk_i32 s4, 0x7f
	v_cmp_gt_i16_sdwa s[6:7], v11, s4 src0_sel:BYTE_0 src1_sel:DWORD
	s_mov_b64 s[4:5], 0
                                        ; implicit-def: $sgpr10
	s_and_saveexec_b64 s[8:9], s[6:7]
	s_xor_b64 s[6:7], exec, s[8:9]
	s_cbranch_execnz .LBB21_3465
; %bb.1417:
	s_or_saveexec_b64 s[6:7], s[6:7]
	v_mov_b32_e32 v10, s10
	s_xor_b64 exec, exec, s[6:7]
	s_cbranch_execnz .LBB21_3468
.LBB21_1418:
	s_or_b64 exec, exec, s[6:7]
	s_and_saveexec_b64 s[6:7], s[4:5]
	s_cbranch_execz .LBB21_1420
.LBB21_1419:
	v_bfe_u32 v10, v6, 8, 3
	v_ffbh_u32_e32 v13, v10
	v_min_u32_e32 v13, 32, v13
	v_lshrrev_b16_e32 v12, 3, v11
	v_subrev_u32_e32 v14, 28, v13
	v_and_b32_e32 v12, 15, v12
	v_lshlrev_b32_e32 v11, v14, v11
	v_sub_u32_e32 v13, 29, v13
	v_and_b32_e32 v11, 7, v11
	v_cmp_eq_u16_e32 vcc, 0, v12
	v_cndmask_b32_e32 v10, v10, v11, vcc
	v_cndmask_b32_e32 v11, v12, v13, vcc
	v_lshlrev_b32_e32 v12, 16, v6
	v_mov_b32_e32 v13, 0x3b800000
	v_lshlrev_b32_e32 v10, 20, v10
	v_and_b32_e32 v12, 0x80000000, v12
	v_lshl_add_u32 v11, v11, 23, v13
	v_or3_b32 v10, v12, v11, v10
.LBB21_1420:
	s_or_b64 exec, exec, s[6:7]
	v_lshrrev_b32_e32 v11, 8, v2
	s_movk_i32 s4, 0x7f
	v_cmp_gt_i16_sdwa s[6:7], v11, s4 src0_sel:BYTE_0 src1_sel:DWORD
	s_mov_b64 s[4:5], 0
                                        ; implicit-def: $sgpr10
	s_and_saveexec_b64 s[8:9], s[6:7]
	s_xor_b64 s[6:7], exec, s[8:9]
	s_cbranch_execnz .LBB21_3469
; %bb.1421:
	s_or_saveexec_b64 s[6:7], s[6:7]
	v_mov_b32_e32 v12, s10
	s_xor_b64 exec, exec, s[6:7]
	s_cbranch_execnz .LBB21_3472
.LBB21_1422:
	s_or_b64 exec, exec, s[6:7]
	s_and_saveexec_b64 s[6:7], s[4:5]
	s_cbranch_execz .LBB21_1424
.LBB21_1423:
	v_bfe_u32 v12, v2, 8, 3
	v_ffbh_u32_e32 v14, v12
	v_min_u32_e32 v14, 32, v14
	v_lshrrev_b16_e32 v13, 3, v11
	v_subrev_u32_e32 v15, 28, v14
	v_and_b32_e32 v13, 15, v13
	v_lshlrev_b32_e32 v11, v15, v11
	v_sub_u32_e32 v14, 29, v14
	v_and_b32_e32 v11, 7, v11
	v_cmp_eq_u16_e32 vcc, 0, v13
	v_cndmask_b32_e32 v11, v12, v11, vcc
	v_cndmask_b32_e32 v12, v13, v14, vcc
	v_lshlrev_b32_e32 v13, 16, v2
	v_mov_b32_e32 v14, 0x3b800000
	v_lshlrev_b32_e32 v11, 20, v11
	v_and_b32_e32 v13, 0x80000000, v13
	v_lshl_add_u32 v12, v12, 23, v14
	v_or3_b32 v12, v13, v12, v11
.LBB21_1424:
	s_or_b64 exec, exec, s[6:7]
	s_nop 0
	v_mfma_f32_16x16x4f32 a[0:3], v10, v12, a[0:3]
	s_movk_i32 s4, 0xff
	v_and_b32_sdwa v11, v6, s4 dst_sel:DWORD dst_unused:UNUSED_PAD src0_sel:WORD_1 src1_sel:DWORD
	s_movk_i32 s4, 0x7f
	v_cmp_lt_i16_e32 vcc, s4, v11
	s_mov_b64 s[4:5], 0
                                        ; implicit-def: $sgpr10
	s_and_saveexec_b64 s[6:7], vcc
	s_xor_b64 s[6:7], exec, s[6:7]
	s_cbranch_execnz .LBB21_3473
; %bb.1425:
	s_or_saveexec_b64 s[6:7], s[6:7]
	v_mov_b32_e32 v10, s10
	s_xor_b64 exec, exec, s[6:7]
	s_cbranch_execnz .LBB21_3476
.LBB21_1426:
	s_or_b64 exec, exec, s[6:7]
	s_and_saveexec_b64 s[6:7], s[4:5]
	s_cbranch_execz .LBB21_1428
.LBB21_1427:
	v_bfe_u32 v10, v6, 16, 3
	v_ffbh_u32_e32 v13, v10
	v_min_u32_e32 v13, 32, v13
	v_lshrrev_b32_e32 v11, 19, v6
	v_subrev_u32_e32 v14, 28, v13
	v_and_b32_e32 v11, 15, v11
	v_lshlrev_b32_sdwa v14, v14, v6 dst_sel:DWORD dst_unused:UNUSED_PAD src0_sel:DWORD src1_sel:WORD_1
	v_bfe_u32 v12, v6, 19, 4
	v_sub_u32_e32 v13, 29, v13
	v_and_b32_e32 v14, 7, v14
	v_cmp_eq_u16_e32 vcc, 0, v11
	v_cndmask_b32_e32 v10, v10, v14, vcc
	v_cndmask_b32_e32 v11, v12, v13, vcc
	v_lshlrev_b32_e32 v12, 8, v6
	v_mov_b32_e32 v13, 0x3b800000
	v_lshlrev_b32_e32 v10, 20, v10
	v_and_b32_e32 v12, 0x80000000, v12
	v_lshl_add_u32 v11, v11, 23, v13
	v_or3_b32 v10, v12, v11, v10
.LBB21_1428:
	s_or_b64 exec, exec, s[6:7]
	s_movk_i32 s4, 0xff
	v_and_b32_sdwa v11, v2, s4 dst_sel:DWORD dst_unused:UNUSED_PAD src0_sel:WORD_1 src1_sel:DWORD
	s_movk_i32 s4, 0x7f
	v_cmp_lt_i16_e32 vcc, s4, v11
	s_mov_b64 s[4:5], 0
                                        ; implicit-def: $sgpr10
	s_and_saveexec_b64 s[6:7], vcc
	s_xor_b64 s[6:7], exec, s[6:7]
	s_cbranch_execnz .LBB21_3477
; %bb.1429:
	s_or_saveexec_b64 s[6:7], s[6:7]
	v_mov_b32_e32 v12, s10
	s_xor_b64 exec, exec, s[6:7]
	s_cbranch_execnz .LBB21_3480
.LBB21_1430:
	s_or_b64 exec, exec, s[6:7]
	s_and_saveexec_b64 s[6:7], s[4:5]
	s_cbranch_execz .LBB21_1432
.LBB21_1431:
	v_bfe_u32 v11, v2, 16, 3
	v_ffbh_u32_e32 v14, v11
	v_min_u32_e32 v14, 32, v14
	v_lshrrev_b32_e32 v12, 19, v2
	v_subrev_u32_e32 v15, 28, v14
	v_and_b32_e32 v12, 15, v12
	v_lshlrev_b32_sdwa v15, v15, v2 dst_sel:DWORD dst_unused:UNUSED_PAD src0_sel:DWORD src1_sel:WORD_1
	v_bfe_u32 v13, v2, 19, 4
	v_sub_u32_e32 v14, 29, v14
	v_and_b32_e32 v15, 7, v15
	v_cmp_eq_u16_e32 vcc, 0, v12
	v_cndmask_b32_e32 v11, v11, v15, vcc
	v_cndmask_b32_e32 v12, v13, v14, vcc
	v_lshlrev_b32_e32 v13, 8, v2
	v_mov_b32_e32 v14, 0x3b800000
	v_lshlrev_b32_e32 v11, 20, v11
	v_and_b32_e32 v13, 0x80000000, v13
	v_lshl_add_u32 v12, v12, 23, v14
	v_or3_b32 v12, v13, v12, v11
.LBB21_1432:
	s_or_b64 exec, exec, s[6:7]
	s_nop 0
	v_mfma_f32_16x16x4f32 a[0:3], v10, v12, a[0:3]
	s_movk_i32 s4, 0x7f
	v_cmp_gt_i16_sdwa s[6:7], v6, s4 src0_sel:BYTE_3 src1_sel:DWORD
	s_mov_b64 s[4:5], 0
                                        ; implicit-def: $sgpr10
	s_and_saveexec_b64 s[8:9], s[6:7]
	s_xor_b64 s[6:7], exec, s[8:9]
	s_cbranch_execnz .LBB21_3481
; %bb.1433:
	s_or_saveexec_b64 s[6:7], s[6:7]
	v_mov_b32_e32 v10, s10
	s_xor_b64 exec, exec, s[6:7]
	s_cbranch_execnz .LBB21_3484
.LBB21_1434:
	s_or_b64 exec, exec, s[6:7]
	s_and_saveexec_b64 s[6:7], s[4:5]
	s_cbranch_execz .LBB21_1436
.LBB21_1435:
	v_bfe_u32 v10, v6, 24, 3
	v_ffbh_u32_e32 v14, v10
	v_min_u32_e32 v14, 32, v14
	v_lshrrev_b32_e32 v12, 27, v6
	v_subrev_u32_e32 v15, 28, v14
	v_and_b32_e32 v11, 0x80000000, v6
	v_and_b32_e32 v12, 15, v12
	v_bfe_u32 v13, v6, 27, 4
	v_lshlrev_b32_sdwa v6, v15, v6 dst_sel:DWORD dst_unused:UNUSED_PAD src0_sel:DWORD src1_sel:BYTE_3
	v_sub_u32_e32 v14, 29, v14
	v_and_b32_e32 v6, 7, v6
	v_cmp_eq_u16_e32 vcc, 0, v12
	v_cndmask_b32_e32 v6, v10, v6, vcc
	v_cndmask_b32_e32 v10, v13, v14, vcc
	v_mov_b32_e32 v12, 0x3b800000
	v_lshlrev_b32_e32 v6, 20, v6
	v_lshl_add_u32 v10, v10, 23, v12
	v_or3_b32 v10, v11, v10, v6
.LBB21_1436:
	s_or_b64 exec, exec, s[6:7]
	s_movk_i32 s4, 0x7f
	v_cmp_gt_i16_sdwa s[6:7], v2, s4 src0_sel:BYTE_3 src1_sel:DWORD
	s_mov_b64 s[4:5], 0
                                        ; implicit-def: $sgpr10
	s_and_saveexec_b64 s[8:9], s[6:7]
	s_xor_b64 s[6:7], exec, s[8:9]
	s_cbranch_execnz .LBB21_3485
; %bb.1437:
	s_or_saveexec_b64 s[6:7], s[6:7]
	v_mov_b32_e32 v6, s10
	s_xor_b64 exec, exec, s[6:7]
	s_cbranch_execnz .LBB21_3488
.LBB21_1438:
	s_or_b64 exec, exec, s[6:7]
	s_and_saveexec_b64 s[6:7], s[4:5]
	s_cbranch_execz .LBB21_1440
.LBB21_1439:
	v_bfe_u32 v6, v2, 24, 3
	v_ffbh_u32_e32 v14, v6
	v_min_u32_e32 v14, 32, v14
	v_lshrrev_b32_e32 v12, 27, v2
	v_subrev_u32_e32 v15, 28, v14
	v_and_b32_e32 v11, 0x80000000, v2
	v_and_b32_e32 v12, 15, v12
	v_bfe_u32 v13, v2, 27, 4
	v_lshlrev_b32_sdwa v2, v15, v2 dst_sel:DWORD dst_unused:UNUSED_PAD src0_sel:DWORD src1_sel:BYTE_3
	v_sub_u32_e32 v14, 29, v14
	v_and_b32_e32 v2, 7, v2
	v_cmp_eq_u16_e32 vcc, 0, v12
	v_cndmask_b32_e32 v2, v6, v2, vcc
	v_cndmask_b32_e32 v6, v13, v14, vcc
	v_mov_b32_e32 v12, 0x3b800000
	v_lshlrev_b32_e32 v2, 20, v2
	v_lshl_add_u32 v6, v6, 23, v12
	v_or3_b32 v6, v11, v6, v2
.LBB21_1440:
	s_or_b64 exec, exec, s[6:7]
	s_nop 0
	v_mfma_f32_16x16x4f32 a[0:3], v10, v6, a[0:3]
	s_movk_i32 s4, 0x7f
	v_cmp_gt_i16_sdwa s[6:7], v7, s4 src0_sel:BYTE_0 src1_sel:DWORD
	s_mov_b64 s[4:5], 0
                                        ; implicit-def: $sgpr10
	s_and_saveexec_b64 s[8:9], s[6:7]
	s_xor_b64 s[6:7], exec, s[8:9]
	s_cbranch_execnz .LBB21_3489
; %bb.1441:
	s_or_saveexec_b64 s[6:7], s[6:7]
	v_mov_b32_e32 v2, s10
	s_xor_b64 exec, exec, s[6:7]
	s_cbranch_execnz .LBB21_3492
.LBB21_1442:
	s_or_b64 exec, exec, s[6:7]
	s_and_saveexec_b64 s[6:7], s[4:5]
	s_cbranch_execz .LBB21_1444
.LBB21_1443:
	v_and_b32_e32 v2, 7, v7
	v_ffbh_u32_e32 v10, v2
	v_min_u32_e32 v10, 32, v10
	v_lshrrev_b16_e32 v6, 3, v7
	v_subrev_u32_e32 v11, 28, v10
	v_and_b32_e32 v6, 15, v6
	v_lshlrev_b32_e32 v11, v11, v7
	v_sub_u32_e32 v10, 29, v10
	v_and_b32_e32 v11, 7, v11
	v_cmp_eq_u16_e32 vcc, 0, v6
	v_cndmask_b32_e32 v2, v2, v11, vcc
	v_cndmask_b32_e32 v6, v6, v10, vcc
	v_lshlrev_b32_e32 v10, 24, v7
	v_mov_b32_e32 v11, 0x3b800000
	v_lshlrev_b32_e32 v2, 20, v2
	v_and_b32_e32 v10, 0x80000000, v10
	v_lshl_add_u32 v6, v6, 23, v11
	v_or3_b32 v2, v10, v6, v2
.LBB21_1444:
	s_or_b64 exec, exec, s[6:7]
	s_movk_i32 s4, 0x7f
	v_cmp_gt_i16_sdwa s[6:7], v3, s4 src0_sel:BYTE_0 src1_sel:DWORD
	s_mov_b64 s[4:5], 0
                                        ; implicit-def: $sgpr10
	s_and_saveexec_b64 s[8:9], s[6:7]
	s_xor_b64 s[6:7], exec, s[8:9]
	s_cbranch_execnz .LBB21_3493
; %bb.1445:
	s_or_saveexec_b64 s[6:7], s[6:7]
	v_mov_b32_e32 v6, s10
	s_xor_b64 exec, exec, s[6:7]
	s_cbranch_execnz .LBB21_3496
.LBB21_1446:
	s_or_b64 exec, exec, s[6:7]
	s_and_saveexec_b64 s[6:7], s[4:5]
	s_cbranch_execz .LBB21_1448
.LBB21_1447:
	v_and_b32_e32 v6, 7, v3
	v_ffbh_u32_e32 v11, v6
	v_min_u32_e32 v11, 32, v11
	v_lshrrev_b16_e32 v10, 3, v3
	v_subrev_u32_e32 v12, 28, v11
	v_and_b32_e32 v10, 15, v10
	v_lshlrev_b32_e32 v12, v12, v3
	v_sub_u32_e32 v11, 29, v11
	v_and_b32_e32 v12, 7, v12
	v_cmp_eq_u16_e32 vcc, 0, v10
	v_cndmask_b32_e32 v6, v6, v12, vcc
	v_cndmask_b32_e32 v10, v10, v11, vcc
	v_lshlrev_b32_e32 v11, 24, v3
	v_mov_b32_e32 v12, 0x3b800000
	v_lshlrev_b32_e32 v6, 20, v6
	v_and_b32_e32 v11, 0x80000000, v11
	v_lshl_add_u32 v10, v10, 23, v12
	v_or3_b32 v6, v11, v10, v6
.LBB21_1448:
	s_or_b64 exec, exec, s[6:7]
	s_nop 0
	v_mfma_f32_16x16x4f32 a[0:3], v2, v6, a[0:3]
	v_lshrrev_b32_e32 v6, 8, v7
	s_movk_i32 s4, 0x7f
	v_cmp_gt_i16_sdwa s[6:7], v6, s4 src0_sel:BYTE_0 src1_sel:DWORD
	s_mov_b64 s[4:5], 0
                                        ; implicit-def: $sgpr10
	s_and_saveexec_b64 s[8:9], s[6:7]
	s_xor_b64 s[6:7], exec, s[8:9]
	s_cbranch_execnz .LBB21_3497
; %bb.1449:
	s_or_saveexec_b64 s[6:7], s[6:7]
	v_mov_b32_e32 v2, s10
	s_xor_b64 exec, exec, s[6:7]
	s_cbranch_execnz .LBB21_3500
.LBB21_1450:
	s_or_b64 exec, exec, s[6:7]
	s_and_saveexec_b64 s[6:7], s[4:5]
	s_cbranch_execz .LBB21_1452
.LBB21_1451:
	v_bfe_u32 v2, v7, 8, 3
	v_ffbh_u32_e32 v11, v2
	v_min_u32_e32 v11, 32, v11
	v_lshrrev_b16_e32 v10, 3, v6
	v_subrev_u32_e32 v12, 28, v11
	v_and_b32_e32 v10, 15, v10
	v_lshlrev_b32_e32 v6, v12, v6
	v_sub_u32_e32 v11, 29, v11
	v_and_b32_e32 v6, 7, v6
	v_cmp_eq_u16_e32 vcc, 0, v10
	v_cndmask_b32_e32 v2, v2, v6, vcc
	v_cndmask_b32_e32 v6, v10, v11, vcc
	v_lshlrev_b32_e32 v10, 16, v7
	v_mov_b32_e32 v11, 0x3b800000
	v_lshlrev_b32_e32 v2, 20, v2
	v_and_b32_e32 v10, 0x80000000, v10
	v_lshl_add_u32 v6, v6, 23, v11
	v_or3_b32 v2, v10, v6, v2
.LBB21_1452:
	s_or_b64 exec, exec, s[6:7]
	v_lshrrev_b32_e32 v6, 8, v3
	s_movk_i32 s4, 0x7f
	v_cmp_gt_i16_sdwa s[6:7], v6, s4 src0_sel:BYTE_0 src1_sel:DWORD
	s_mov_b64 s[4:5], 0
                                        ; implicit-def: $sgpr10
	s_and_saveexec_b64 s[8:9], s[6:7]
	s_xor_b64 s[6:7], exec, s[8:9]
	s_cbranch_execnz .LBB21_3501
; %bb.1453:
	s_or_saveexec_b64 s[6:7], s[6:7]
	v_mov_b32_e32 v10, s10
	s_xor_b64 exec, exec, s[6:7]
	s_cbranch_execnz .LBB21_3504
.LBB21_1454:
	s_or_b64 exec, exec, s[6:7]
	s_and_saveexec_b64 s[6:7], s[4:5]
	s_cbranch_execz .LBB21_1456
.LBB21_1455:
	v_bfe_u32 v10, v3, 8, 3
	v_ffbh_u32_e32 v12, v10
	v_min_u32_e32 v12, 32, v12
	v_lshrrev_b16_e32 v11, 3, v6
	v_subrev_u32_e32 v13, 28, v12
	v_and_b32_e32 v11, 15, v11
	v_lshlrev_b32_e32 v6, v13, v6
	v_sub_u32_e32 v12, 29, v12
	v_and_b32_e32 v6, 7, v6
	v_cmp_eq_u16_e32 vcc, 0, v11
	v_cndmask_b32_e32 v6, v10, v6, vcc
	v_cndmask_b32_e32 v10, v11, v12, vcc
	v_lshlrev_b32_e32 v11, 16, v3
	v_mov_b32_e32 v12, 0x3b800000
	v_lshlrev_b32_e32 v6, 20, v6
	v_and_b32_e32 v11, 0x80000000, v11
	v_lshl_add_u32 v10, v10, 23, v12
	v_or3_b32 v10, v11, v10, v6
.LBB21_1456:
	s_or_b64 exec, exec, s[6:7]
	s_nop 0
	v_mfma_f32_16x16x4f32 a[0:3], v2, v10, a[0:3]
	s_movk_i32 s4, 0xff
	v_and_b32_sdwa v6, v7, s4 dst_sel:DWORD dst_unused:UNUSED_PAD src0_sel:WORD_1 src1_sel:DWORD
	s_movk_i32 s4, 0x7f
	v_cmp_lt_i16_e32 vcc, s4, v6
	s_mov_b64 s[4:5], 0
                                        ; implicit-def: $sgpr10
	s_and_saveexec_b64 s[6:7], vcc
	s_xor_b64 s[6:7], exec, s[6:7]
	s_cbranch_execnz .LBB21_3505
; %bb.1457:
	s_or_saveexec_b64 s[6:7], s[6:7]
	v_mov_b32_e32 v2, s10
	s_xor_b64 exec, exec, s[6:7]
	s_cbranch_execnz .LBB21_3508
.LBB21_1458:
	s_or_b64 exec, exec, s[6:7]
	s_and_saveexec_b64 s[6:7], s[4:5]
	s_cbranch_execz .LBB21_1460
.LBB21_1459:
	v_bfe_u32 v2, v7, 16, 3
	v_ffbh_u32_e32 v11, v2
	v_min_u32_e32 v11, 32, v11
	v_lshrrev_b32_e32 v6, 19, v7
	v_subrev_u32_e32 v12, 28, v11
	v_and_b32_e32 v6, 15, v6
	v_lshlrev_b32_sdwa v12, v12, v7 dst_sel:DWORD dst_unused:UNUSED_PAD src0_sel:DWORD src1_sel:WORD_1
	v_bfe_u32 v10, v7, 19, 4
	v_sub_u32_e32 v11, 29, v11
	v_and_b32_e32 v12, 7, v12
	v_cmp_eq_u16_e32 vcc, 0, v6
	v_cndmask_b32_e32 v2, v2, v12, vcc
	v_cndmask_b32_e32 v6, v10, v11, vcc
	v_lshlrev_b32_e32 v10, 8, v7
	v_mov_b32_e32 v11, 0x3b800000
	v_lshlrev_b32_e32 v2, 20, v2
	v_and_b32_e32 v10, 0x80000000, v10
	v_lshl_add_u32 v6, v6, 23, v11
	v_or3_b32 v2, v10, v6, v2
.LBB21_1460:
	s_or_b64 exec, exec, s[6:7]
	s_movk_i32 s4, 0xff
	v_and_b32_sdwa v6, v3, s4 dst_sel:DWORD dst_unused:UNUSED_PAD src0_sel:WORD_1 src1_sel:DWORD
	s_movk_i32 s4, 0x7f
	v_cmp_lt_i16_e32 vcc, s4, v6
	s_mov_b64 s[4:5], 0
                                        ; implicit-def: $sgpr10
	s_and_saveexec_b64 s[6:7], vcc
	s_xor_b64 s[6:7], exec, s[6:7]
	s_cbranch_execnz .LBB21_3509
; %bb.1461:
	s_or_saveexec_b64 s[6:7], s[6:7]
	v_mov_b32_e32 v10, s10
	s_xor_b64 exec, exec, s[6:7]
	s_cbranch_execnz .LBB21_3512
.LBB21_1462:
	s_or_b64 exec, exec, s[6:7]
	s_and_saveexec_b64 s[6:7], s[4:5]
	s_cbranch_execz .LBB21_1464
.LBB21_1463:
	v_bfe_u32 v6, v3, 16, 3
	v_ffbh_u32_e32 v12, v6
	v_min_u32_e32 v12, 32, v12
	v_lshrrev_b32_e32 v10, 19, v3
	v_subrev_u32_e32 v13, 28, v12
	v_and_b32_e32 v10, 15, v10
	v_lshlrev_b32_sdwa v13, v13, v3 dst_sel:DWORD dst_unused:UNUSED_PAD src0_sel:DWORD src1_sel:WORD_1
	v_bfe_u32 v11, v3, 19, 4
	v_sub_u32_e32 v12, 29, v12
	v_and_b32_e32 v13, 7, v13
	v_cmp_eq_u16_e32 vcc, 0, v10
	v_cndmask_b32_e32 v6, v6, v13, vcc
	v_cndmask_b32_e32 v10, v11, v12, vcc
	v_lshlrev_b32_e32 v11, 8, v3
	v_mov_b32_e32 v12, 0x3b800000
	v_lshlrev_b32_e32 v6, 20, v6
	v_and_b32_e32 v11, 0x80000000, v11
	v_lshl_add_u32 v10, v10, 23, v12
	v_or3_b32 v10, v11, v10, v6
.LBB21_1464:
	s_or_b64 exec, exec, s[6:7]
	s_nop 0
	v_mfma_f32_16x16x4f32 a[0:3], v2, v10, a[0:3]
	s_movk_i32 s4, 0x7f
	v_cmp_gt_i16_sdwa s[6:7], v7, s4 src0_sel:BYTE_3 src1_sel:DWORD
	s_mov_b64 s[4:5], 0
                                        ; implicit-def: $sgpr10
	s_and_saveexec_b64 s[8:9], s[6:7]
	s_xor_b64 s[6:7], exec, s[8:9]
	s_cbranch_execnz .LBB21_3513
; %bb.1465:
	s_or_saveexec_b64 s[6:7], s[6:7]
	v_mov_b32_e32 v2, s10
	s_xor_b64 exec, exec, s[6:7]
	s_cbranch_execnz .LBB21_3516
.LBB21_1466:
	s_or_b64 exec, exec, s[6:7]
	s_and_saveexec_b64 s[6:7], s[4:5]
	s_cbranch_execz .LBB21_1468
.LBB21_1467:
	v_bfe_u32 v2, v7, 24, 3
	v_ffbh_u32_e32 v12, v2
	v_min_u32_e32 v12, 32, v12
	v_lshrrev_b32_e32 v10, 27, v7
	v_subrev_u32_e32 v13, 28, v12
	v_and_b32_e32 v6, 0x80000000, v7
	v_and_b32_e32 v10, 15, v10
	v_bfe_u32 v11, v7, 27, 4
	v_lshlrev_b32_sdwa v7, v13, v7 dst_sel:DWORD dst_unused:UNUSED_PAD src0_sel:DWORD src1_sel:BYTE_3
	v_sub_u32_e32 v12, 29, v12
	v_and_b32_e32 v7, 7, v7
	v_cmp_eq_u16_e32 vcc, 0, v10
	v_cndmask_b32_e32 v2, v2, v7, vcc
	v_cndmask_b32_e32 v7, v11, v12, vcc
	v_mov_b32_e32 v10, 0x3b800000
	v_lshlrev_b32_e32 v2, 20, v2
	v_lshl_add_u32 v7, v7, 23, v10
	v_or3_b32 v2, v6, v7, v2
.LBB21_1468:
	s_or_b64 exec, exec, s[6:7]
	s_movk_i32 s4, 0x7f
	v_cmp_gt_i16_sdwa s[6:7], v3, s4 src0_sel:BYTE_3 src1_sel:DWORD
	s_mov_b64 s[4:5], 0
                                        ; implicit-def: $sgpr10
	s_and_saveexec_b64 s[8:9], s[6:7]
	s_xor_b64 s[6:7], exec, s[8:9]
	s_cbranch_execnz .LBB21_3517
; %bb.1469:
	s_or_saveexec_b64 s[6:7], s[6:7]
	v_mov_b32_e32 v6, s10
	s_xor_b64 exec, exec, s[6:7]
	s_cbranch_execnz .LBB21_3520
.LBB21_1470:
	s_or_b64 exec, exec, s[6:7]
	s_and_saveexec_b64 s[6:7], s[4:5]
	s_cbranch_execz .LBB21_1472
.LBB21_1471:
	v_bfe_u32 v6, v3, 24, 3
	v_ffbh_u32_e32 v12, v6
	v_min_u32_e32 v12, 32, v12
	v_lshrrev_b32_e32 v10, 27, v3
	v_subrev_u32_e32 v13, 28, v12
	v_and_b32_e32 v7, 0x80000000, v3
	v_and_b32_e32 v10, 15, v10
	v_bfe_u32 v11, v3, 27, 4
	v_lshlrev_b32_sdwa v3, v13, v3 dst_sel:DWORD dst_unused:UNUSED_PAD src0_sel:DWORD src1_sel:BYTE_3
	v_sub_u32_e32 v12, 29, v12
	v_and_b32_e32 v3, 7, v3
	v_cmp_eq_u16_e32 vcc, 0, v10
	v_cndmask_b32_e32 v3, v6, v3, vcc
	v_cndmask_b32_e32 v6, v11, v12, vcc
	v_mov_b32_e32 v10, 0x3b800000
	v_lshlrev_b32_e32 v3, 20, v3
	v_lshl_add_u32 v6, v6, 23, v10
	v_or3_b32 v6, v7, v6, v3
.LBB21_1472:
	s_or_b64 exec, exec, s[6:7]
	s_nop 0
	v_mfma_f32_16x16x4f32 a[0:3], v2, v6, a[0:3]
	s_movk_i32 s4, 0x7f
	v_cmp_gt_i16_sdwa s[6:7], v8, s4 src0_sel:BYTE_0 src1_sel:DWORD
	s_mov_b64 s[4:5], 0
                                        ; implicit-def: $sgpr10
	s_and_saveexec_b64 s[8:9], s[6:7]
	s_xor_b64 s[6:7], exec, s[8:9]
	s_cbranch_execnz .LBB21_3521
; %bb.1473:
	s_or_saveexec_b64 s[6:7], s[6:7]
	v_mov_b32_e32 v2, s10
	s_xor_b64 exec, exec, s[6:7]
	s_cbranch_execnz .LBB21_3524
.LBB21_1474:
	s_or_b64 exec, exec, s[6:7]
	s_and_saveexec_b64 s[6:7], s[4:5]
	s_cbranch_execz .LBB21_1476
.LBB21_1475:
	v_and_b32_e32 v2, 7, v8
	v_ffbh_u32_e32 v6, v2
	v_min_u32_e32 v6, 32, v6
	v_lshrrev_b16_e32 v3, 3, v8
	v_subrev_u32_e32 v7, 28, v6
	v_and_b32_e32 v3, 15, v3
	v_lshlrev_b32_e32 v7, v7, v8
	v_sub_u32_e32 v6, 29, v6
	v_and_b32_e32 v7, 7, v7
	v_cmp_eq_u16_e32 vcc, 0, v3
	v_cndmask_b32_e32 v2, v2, v7, vcc
	v_cndmask_b32_e32 v3, v3, v6, vcc
	v_lshlrev_b32_e32 v6, 24, v8
	v_mov_b32_e32 v7, 0x3b800000
	v_lshlrev_b32_e32 v2, 20, v2
	v_and_b32_e32 v6, 0x80000000, v6
	v_lshl_add_u32 v3, v3, 23, v7
	v_or3_b32 v2, v6, v3, v2
.LBB21_1476:
	s_or_b64 exec, exec, s[6:7]
	s_movk_i32 s4, 0x7f
	v_cmp_gt_i16_sdwa s[6:7], v4, s4 src0_sel:BYTE_0 src1_sel:DWORD
	s_mov_b64 s[4:5], 0
                                        ; implicit-def: $sgpr10
	s_and_saveexec_b64 s[8:9], s[6:7]
	s_xor_b64 s[6:7], exec, s[8:9]
	s_cbranch_execnz .LBB21_3525
; %bb.1477:
	s_or_saveexec_b64 s[6:7], s[6:7]
	v_mov_b32_e32 v3, s10
	s_xor_b64 exec, exec, s[6:7]
	s_cbranch_execnz .LBB21_3528
.LBB21_1478:
	s_or_b64 exec, exec, s[6:7]
	s_and_saveexec_b64 s[6:7], s[4:5]
	s_cbranch_execz .LBB21_1480
.LBB21_1479:
	v_and_b32_e32 v3, 7, v4
	v_ffbh_u32_e32 v7, v3
	v_min_u32_e32 v7, 32, v7
	v_lshrrev_b16_e32 v6, 3, v4
	v_subrev_u32_e32 v10, 28, v7
	v_and_b32_e32 v6, 15, v6
	v_lshlrev_b32_e32 v10, v10, v4
	v_sub_u32_e32 v7, 29, v7
	v_and_b32_e32 v10, 7, v10
	v_cmp_eq_u16_e32 vcc, 0, v6
	v_cndmask_b32_e32 v3, v3, v10, vcc
	v_cndmask_b32_e32 v6, v6, v7, vcc
	v_lshlrev_b32_e32 v7, 24, v4
	v_mov_b32_e32 v10, 0x3b800000
	v_lshlrev_b32_e32 v3, 20, v3
	v_and_b32_e32 v7, 0x80000000, v7
	v_lshl_add_u32 v6, v6, 23, v10
	v_or3_b32 v3, v7, v6, v3
.LBB21_1480:
	s_or_b64 exec, exec, s[6:7]
	s_nop 0
	v_mfma_f32_16x16x4f32 a[0:3], v2, v3, a[0:3]
	v_lshrrev_b32_e32 v3, 8, v8
	s_movk_i32 s4, 0x7f
	v_cmp_gt_i16_sdwa s[6:7], v3, s4 src0_sel:BYTE_0 src1_sel:DWORD
	s_mov_b64 s[4:5], 0
                                        ; implicit-def: $sgpr10
	s_and_saveexec_b64 s[8:9], s[6:7]
	s_xor_b64 s[6:7], exec, s[8:9]
	s_cbranch_execnz .LBB21_3529
; %bb.1481:
	s_or_saveexec_b64 s[6:7], s[6:7]
	v_mov_b32_e32 v2, s10
	s_xor_b64 exec, exec, s[6:7]
	s_cbranch_execnz .LBB21_3532
.LBB21_1482:
	s_or_b64 exec, exec, s[6:7]
	s_and_saveexec_b64 s[6:7], s[4:5]
	s_cbranch_execz .LBB21_1484
.LBB21_1483:
	v_bfe_u32 v2, v8, 8, 3
	v_ffbh_u32_e32 v7, v2
	v_min_u32_e32 v7, 32, v7
	v_lshrrev_b16_e32 v6, 3, v3
	v_subrev_u32_e32 v10, 28, v7
	v_and_b32_e32 v6, 15, v6
	v_lshlrev_b32_e32 v3, v10, v3
	v_sub_u32_e32 v7, 29, v7
	v_and_b32_e32 v3, 7, v3
	v_cmp_eq_u16_e32 vcc, 0, v6
	v_cndmask_b32_e32 v2, v2, v3, vcc
	v_cndmask_b32_e32 v3, v6, v7, vcc
	v_lshlrev_b32_e32 v6, 16, v8
	v_mov_b32_e32 v7, 0x3b800000
	v_lshlrev_b32_e32 v2, 20, v2
	v_and_b32_e32 v6, 0x80000000, v6
	v_lshl_add_u32 v3, v3, 23, v7
	v_or3_b32 v2, v6, v3, v2
.LBB21_1484:
	s_or_b64 exec, exec, s[6:7]
	v_lshrrev_b32_e32 v3, 8, v4
	s_movk_i32 s4, 0x7f
	v_cmp_gt_i16_sdwa s[6:7], v3, s4 src0_sel:BYTE_0 src1_sel:DWORD
	s_mov_b64 s[4:5], 0
                                        ; implicit-def: $sgpr10
	s_and_saveexec_b64 s[8:9], s[6:7]
	s_xor_b64 s[6:7], exec, s[8:9]
	s_cbranch_execnz .LBB21_3533
; %bb.1485:
	s_or_saveexec_b64 s[6:7], s[6:7]
	v_mov_b32_e32 v6, s10
	s_xor_b64 exec, exec, s[6:7]
	s_cbranch_execnz .LBB21_3536
.LBB21_1486:
	s_or_b64 exec, exec, s[6:7]
	s_and_saveexec_b64 s[6:7], s[4:5]
	s_cbranch_execz .LBB21_1488
.LBB21_1487:
	v_bfe_u32 v6, v4, 8, 3
	v_ffbh_u32_e32 v10, v6
	v_min_u32_e32 v10, 32, v10
	v_lshrrev_b16_e32 v7, 3, v3
	v_subrev_u32_e32 v11, 28, v10
	v_and_b32_e32 v7, 15, v7
	v_lshlrev_b32_e32 v3, v11, v3
	v_sub_u32_e32 v10, 29, v10
	v_and_b32_e32 v3, 7, v3
	v_cmp_eq_u16_e32 vcc, 0, v7
	v_cndmask_b32_e32 v3, v6, v3, vcc
	v_cndmask_b32_e32 v6, v7, v10, vcc
	v_lshlrev_b32_e32 v7, 16, v4
	v_mov_b32_e32 v10, 0x3b800000
	v_lshlrev_b32_e32 v3, 20, v3
	v_and_b32_e32 v7, 0x80000000, v7
	v_lshl_add_u32 v6, v6, 23, v10
	v_or3_b32 v6, v7, v6, v3
.LBB21_1488:
	s_or_b64 exec, exec, s[6:7]
	s_nop 0
	v_mfma_f32_16x16x4f32 a[0:3], v2, v6, a[0:3]
	s_movk_i32 s4, 0xff
	v_and_b32_sdwa v3, v8, s4 dst_sel:DWORD dst_unused:UNUSED_PAD src0_sel:WORD_1 src1_sel:DWORD
	s_movk_i32 s4, 0x7f
	v_cmp_lt_i16_e32 vcc, s4, v3
	s_mov_b64 s[4:5], 0
                                        ; implicit-def: $sgpr10
	s_and_saveexec_b64 s[6:7], vcc
	s_xor_b64 s[6:7], exec, s[6:7]
	s_cbranch_execnz .LBB21_3537
; %bb.1489:
	s_or_saveexec_b64 s[6:7], s[6:7]
	v_mov_b32_e32 v2, s10
	s_xor_b64 exec, exec, s[6:7]
	s_cbranch_execnz .LBB21_3540
.LBB21_1490:
	s_or_b64 exec, exec, s[6:7]
	s_and_saveexec_b64 s[6:7], s[4:5]
	s_cbranch_execz .LBB21_1492
.LBB21_1491:
	v_bfe_u32 v2, v8, 16, 3
	v_ffbh_u32_e32 v7, v2
	v_min_u32_e32 v7, 32, v7
	v_lshrrev_b32_e32 v3, 19, v8
	v_subrev_u32_e32 v10, 28, v7
	v_and_b32_e32 v3, 15, v3
	v_lshlrev_b32_sdwa v10, v10, v8 dst_sel:DWORD dst_unused:UNUSED_PAD src0_sel:DWORD src1_sel:WORD_1
	v_bfe_u32 v6, v8, 19, 4
	v_sub_u32_e32 v7, 29, v7
	v_and_b32_e32 v10, 7, v10
	v_cmp_eq_u16_e32 vcc, 0, v3
	v_cndmask_b32_e32 v2, v2, v10, vcc
	v_cndmask_b32_e32 v3, v6, v7, vcc
	v_lshlrev_b32_e32 v6, 8, v8
	v_mov_b32_e32 v7, 0x3b800000
	v_lshlrev_b32_e32 v2, 20, v2
	v_and_b32_e32 v6, 0x80000000, v6
	v_lshl_add_u32 v3, v3, 23, v7
	v_or3_b32 v2, v6, v3, v2
.LBB21_1492:
	s_or_b64 exec, exec, s[6:7]
	s_movk_i32 s4, 0xff
	v_and_b32_sdwa v3, v4, s4 dst_sel:DWORD dst_unused:UNUSED_PAD src0_sel:WORD_1 src1_sel:DWORD
	s_movk_i32 s4, 0x7f
	v_cmp_lt_i16_e32 vcc, s4, v3
	s_mov_b64 s[4:5], 0
                                        ; implicit-def: $sgpr10
	s_and_saveexec_b64 s[6:7], vcc
	s_xor_b64 s[6:7], exec, s[6:7]
	s_cbranch_execnz .LBB21_3541
; %bb.1493:
	s_or_saveexec_b64 s[6:7], s[6:7]
	v_mov_b32_e32 v6, s10
	s_xor_b64 exec, exec, s[6:7]
	s_cbranch_execnz .LBB21_3544
.LBB21_1494:
	s_or_b64 exec, exec, s[6:7]
	s_and_saveexec_b64 s[6:7], s[4:5]
	s_cbranch_execz .LBB21_1496
.LBB21_1495:
	v_bfe_u32 v3, v4, 16, 3
	v_ffbh_u32_e32 v10, v3
	v_min_u32_e32 v10, 32, v10
	v_lshrrev_b32_e32 v6, 19, v4
	v_subrev_u32_e32 v11, 28, v10
	v_and_b32_e32 v6, 15, v6
	v_lshlrev_b32_sdwa v11, v11, v4 dst_sel:DWORD dst_unused:UNUSED_PAD src0_sel:DWORD src1_sel:WORD_1
	v_bfe_u32 v7, v4, 19, 4
	v_sub_u32_e32 v10, 29, v10
	v_and_b32_e32 v11, 7, v11
	v_cmp_eq_u16_e32 vcc, 0, v6
	v_cndmask_b32_e32 v3, v3, v11, vcc
	v_cndmask_b32_e32 v6, v7, v10, vcc
	v_lshlrev_b32_e32 v7, 8, v4
	v_mov_b32_e32 v10, 0x3b800000
	v_lshlrev_b32_e32 v3, 20, v3
	v_and_b32_e32 v7, 0x80000000, v7
	v_lshl_add_u32 v6, v6, 23, v10
	v_or3_b32 v6, v7, v6, v3
.LBB21_1496:
	s_or_b64 exec, exec, s[6:7]
	s_nop 0
	v_mfma_f32_16x16x4f32 a[0:3], v2, v6, a[0:3]
	s_movk_i32 s4, 0x7f
	v_cmp_gt_i16_sdwa s[6:7], v8, s4 src0_sel:BYTE_3 src1_sel:DWORD
	s_mov_b64 s[4:5], 0
                                        ; implicit-def: $sgpr10
	s_and_saveexec_b64 s[8:9], s[6:7]
	s_xor_b64 s[6:7], exec, s[8:9]
	s_cbranch_execnz .LBB21_3545
; %bb.1497:
	s_or_saveexec_b64 s[6:7], s[6:7]
	v_mov_b32_e32 v2, s10
	s_xor_b64 exec, exec, s[6:7]
	s_cbranch_execnz .LBB21_3548
.LBB21_1498:
	s_or_b64 exec, exec, s[6:7]
	s_and_saveexec_b64 s[6:7], s[4:5]
	s_cbranch_execz .LBB21_1500
.LBB21_1499:
	v_bfe_u32 v2, v8, 24, 3
	v_ffbh_u32_e32 v10, v2
	v_min_u32_e32 v10, 32, v10
	v_lshrrev_b32_e32 v6, 27, v8
	v_subrev_u32_e32 v11, 28, v10
	v_and_b32_e32 v3, 0x80000000, v8
	v_and_b32_e32 v6, 15, v6
	v_bfe_u32 v7, v8, 27, 4
	v_lshlrev_b32_sdwa v8, v11, v8 dst_sel:DWORD dst_unused:UNUSED_PAD src0_sel:DWORD src1_sel:BYTE_3
	v_sub_u32_e32 v10, 29, v10
	v_and_b32_e32 v8, 7, v8
	v_cmp_eq_u16_e32 vcc, 0, v6
	v_cndmask_b32_e32 v2, v2, v8, vcc
	v_cndmask_b32_e32 v6, v7, v10, vcc
	v_mov_b32_e32 v7, 0x3b800000
	v_lshlrev_b32_e32 v2, 20, v2
	v_lshl_add_u32 v6, v6, 23, v7
	v_or3_b32 v2, v3, v6, v2
.LBB21_1500:
	s_or_b64 exec, exec, s[6:7]
	s_movk_i32 s4, 0x7f
	v_cmp_gt_i16_sdwa s[6:7], v4, s4 src0_sel:BYTE_3 src1_sel:DWORD
	s_mov_b64 s[4:5], 0
                                        ; implicit-def: $sgpr10
	s_and_saveexec_b64 s[8:9], s[6:7]
	s_xor_b64 s[6:7], exec, s[8:9]
	s_cbranch_execnz .LBB21_3549
; %bb.1501:
	s_or_saveexec_b64 s[6:7], s[6:7]
	v_mov_b32_e32 v3, s10
	s_xor_b64 exec, exec, s[6:7]
	s_cbranch_execnz .LBB21_3552
.LBB21_1502:
	s_or_b64 exec, exec, s[6:7]
	s_and_saveexec_b64 s[6:7], s[4:5]
	s_cbranch_execz .LBB21_1504
.LBB21_1503:
	v_bfe_u32 v3, v4, 24, 3
	v_ffbh_u32_e32 v10, v3
	v_min_u32_e32 v10, 32, v10
	v_lshrrev_b32_e32 v7, 27, v4
	v_subrev_u32_e32 v11, 28, v10
	v_and_b32_e32 v6, 0x80000000, v4
	v_and_b32_e32 v7, 15, v7
	v_bfe_u32 v8, v4, 27, 4
	v_lshlrev_b32_sdwa v4, v11, v4 dst_sel:DWORD dst_unused:UNUSED_PAD src0_sel:DWORD src1_sel:BYTE_3
	v_sub_u32_e32 v10, 29, v10
	v_and_b32_e32 v4, 7, v4
	v_cmp_eq_u16_e32 vcc, 0, v7
	v_cndmask_b32_e32 v3, v3, v4, vcc
	v_cndmask_b32_e32 v4, v8, v10, vcc
	v_mov_b32_e32 v7, 0x3b800000
	v_lshlrev_b32_e32 v3, 20, v3
	v_lshl_add_u32 v4, v4, 23, v7
	v_or3_b32 v3, v6, v4, v3
.LBB21_1504:
	s_or_b64 exec, exec, s[6:7]
	s_nop 0
	v_mfma_f32_16x16x4f32 a[0:3], v2, v3, a[0:3]
	s_movk_i32 s4, 0x7f
	v_cmp_gt_i16_sdwa s[6:7], v9, s4 src0_sel:BYTE_0 src1_sel:DWORD
	s_mov_b64 s[4:5], 0
                                        ; implicit-def: $sgpr10
	s_and_saveexec_b64 s[8:9], s[6:7]
	s_xor_b64 s[6:7], exec, s[8:9]
	s_cbranch_execnz .LBB21_3553
; %bb.1505:
	s_or_saveexec_b64 s[6:7], s[6:7]
	v_mov_b32_e32 v2, s10
	s_xor_b64 exec, exec, s[6:7]
	s_cbranch_execnz .LBB21_3556
.LBB21_1506:
	s_or_b64 exec, exec, s[6:7]
	s_and_saveexec_b64 s[6:7], s[4:5]
	s_cbranch_execz .LBB21_1508
.LBB21_1507:
	v_mov_b32_e32 v2, 8
	v_and_b32_e32 v3, 7, v9
	v_lshrrev_b32_sdwa v2, v2, v9 dst_sel:BYTE_1 dst_unused:UNUSED_PAD src0_sel:DWORD src1_sel:DWORD
	v_ffbh_u32_e32 v4, v3
	v_or_b32_sdwa v2, v9, v2 dst_sel:DWORD dst_unused:UNUSED_PAD src0_sel:BYTE_0 src1_sel:DWORD
	v_min_u32_e32 v4, 32, v4
	v_lshrrev_b16_e32 v2, 3, v2
	v_subrev_u32_e32 v6, 28, v4
	v_and_b32_e32 v2, 15, v2
	v_lshlrev_b32_e32 v6, v6, v9
	v_sub_u32_e32 v4, 29, v4
	v_and_b32_e32 v6, 7, v6
	v_cmp_eq_u16_e32 vcc, 0, v2
	v_cndmask_b32_e32 v3, v3, v6, vcc
	v_cndmask_b32_e32 v2, v2, v4, vcc
	v_lshlrev_b32_e32 v4, 24, v9
	v_mov_b32_e32 v6, 0x3b800000
	v_lshlrev_b32_e32 v3, 20, v3
	v_and_b32_e32 v4, 0x80000000, v4
	v_lshl_add_u32 v2, v2, 23, v6
	v_or3_b32 v2, v4, v2, v3
.LBB21_1508:
	s_or_b64 exec, exec, s[6:7]
	s_movk_i32 s4, 0x7f
	v_cmp_gt_i16_sdwa s[6:7], v5, s4 src0_sel:BYTE_0 src1_sel:DWORD
	s_mov_b64 s[4:5], 0
                                        ; implicit-def: $sgpr10
	s_and_saveexec_b64 s[8:9], s[6:7]
	s_xor_b64 s[6:7], exec, s[8:9]
	s_cbranch_execnz .LBB21_3557
; %bb.1509:
	s_or_saveexec_b64 s[6:7], s[6:7]
	v_mov_b32_e32 v3, s10
	s_xor_b64 exec, exec, s[6:7]
	s_cbranch_execnz .LBB21_3560
.LBB21_1510:
	s_or_b64 exec, exec, s[6:7]
	s_and_saveexec_b64 s[6:7], s[4:5]
	s_cbranch_execz .LBB21_1512
.LBB21_1511:
	v_mov_b32_e32 v3, 8
	v_and_b32_e32 v4, 7, v5
	v_lshrrev_b32_sdwa v3, v3, v5 dst_sel:BYTE_1 dst_unused:UNUSED_PAD src0_sel:DWORD src1_sel:DWORD
	v_ffbh_u32_e32 v6, v4
	v_or_b32_sdwa v3, v5, v3 dst_sel:DWORD dst_unused:UNUSED_PAD src0_sel:BYTE_0 src1_sel:DWORD
	v_min_u32_e32 v6, 32, v6
	v_lshrrev_b16_e32 v3, 3, v3
	v_subrev_u32_e32 v7, 28, v6
	v_and_b32_e32 v3, 15, v3
	v_lshlrev_b32_e32 v7, v7, v5
	v_sub_u32_e32 v6, 29, v6
	v_and_b32_e32 v7, 7, v7
	v_cmp_eq_u16_e32 vcc, 0, v3
	v_cndmask_b32_e32 v4, v4, v7, vcc
	v_cndmask_b32_e32 v3, v3, v6, vcc
	v_lshlrev_b32_e32 v6, 24, v5
	v_mov_b32_e32 v7, 0x3b800000
	v_lshlrev_b32_e32 v4, 20, v4
	v_and_b32_e32 v6, 0x80000000, v6
	v_lshl_add_u32 v3, v3, 23, v7
	v_or3_b32 v3, v6, v3, v4
.LBB21_1512:
	s_or_b64 exec, exec, s[6:7]
	s_nop 0
	v_mfma_f32_16x16x4f32 a[0:3], v2, v3, a[0:3]
	v_lshrrev_b32_e32 v3, 8, v9
	s_movk_i32 s4, 0x7f
	v_cmp_gt_i16_sdwa s[6:7], v3, s4 src0_sel:BYTE_0 src1_sel:DWORD
	s_mov_b64 s[4:5], 0
                                        ; implicit-def: $sgpr10
	s_and_saveexec_b64 s[8:9], s[6:7]
	s_xor_b64 s[6:7], exec, s[8:9]
	s_cbranch_execnz .LBB21_3561
; %bb.1513:
	s_or_saveexec_b64 s[6:7], s[6:7]
	v_mov_b32_e32 v2, s10
	s_xor_b64 exec, exec, s[6:7]
	s_cbranch_execnz .LBB21_3564
.LBB21_1514:
	s_or_b64 exec, exec, s[6:7]
	s_and_saveexec_b64 s[6:7], s[4:5]
	s_cbranch_execz .LBB21_1516
.LBB21_1515:
	v_bfe_u32 v2, v9, 8, 3
	v_ffbh_u32_e32 v6, v2
	v_min_u32_e32 v6, 32, v6
	v_lshrrev_b16_e32 v4, 3, v3
	v_subrev_u32_e32 v7, 28, v6
	v_and_b32_e32 v4, 15, v4
	v_lshlrev_b32_e32 v3, v7, v3
	v_sub_u32_e32 v6, 29, v6
	v_and_b32_e32 v3, 7, v3
	v_cmp_eq_u16_e32 vcc, 0, v4
	v_cndmask_b32_e32 v2, v2, v3, vcc
	v_cndmask_b32_e32 v3, v4, v6, vcc
	v_lshlrev_b32_e32 v4, 16, v9
	v_mov_b32_e32 v6, 0x3b800000
	v_lshlrev_b32_e32 v2, 20, v2
	v_and_b32_e32 v4, 0x80000000, v4
	v_lshl_add_u32 v3, v3, 23, v6
	v_or3_b32 v2, v4, v3, v2
.LBB21_1516:
	s_or_b64 exec, exec, s[6:7]
	v_lshrrev_b32_e32 v3, 8, v5
	s_movk_i32 s4, 0x7f
	v_cmp_gt_i16_sdwa s[6:7], v3, s4 src0_sel:BYTE_0 src1_sel:DWORD
	s_mov_b64 s[4:5], 0
                                        ; implicit-def: $sgpr10
	s_and_saveexec_b64 s[8:9], s[6:7]
	s_xor_b64 s[6:7], exec, s[8:9]
	s_cbranch_execnz .LBB21_3565
; %bb.1517:
	s_or_saveexec_b64 s[6:7], s[6:7]
	v_mov_b32_e32 v4, s10
	s_xor_b64 exec, exec, s[6:7]
	s_cbranch_execnz .LBB21_3568
.LBB21_1518:
	s_or_b64 exec, exec, s[6:7]
	s_and_saveexec_b64 s[6:7], s[4:5]
	s_cbranch_execz .LBB21_1520
.LBB21_1519:
	v_bfe_u32 v4, v5, 8, 3
	v_ffbh_u32_e32 v7, v4
	v_min_u32_e32 v7, 32, v7
	v_lshrrev_b16_e32 v6, 3, v3
	v_subrev_u32_e32 v8, 28, v7
	v_and_b32_e32 v6, 15, v6
	v_lshlrev_b32_e32 v3, v8, v3
	v_sub_u32_e32 v7, 29, v7
	v_and_b32_e32 v3, 7, v3
	v_cmp_eq_u16_e32 vcc, 0, v6
	v_cndmask_b32_e32 v3, v4, v3, vcc
	v_cndmask_b32_e32 v4, v6, v7, vcc
	v_lshlrev_b32_e32 v6, 16, v5
	v_mov_b32_e32 v7, 0x3b800000
	v_lshlrev_b32_e32 v3, 20, v3
	v_and_b32_e32 v6, 0x80000000, v6
	v_lshl_add_u32 v4, v4, 23, v7
	v_or3_b32 v4, v6, v4, v3
.LBB21_1520:
	s_or_b64 exec, exec, s[6:7]
	s_nop 0
	v_mfma_f32_16x16x4f32 a[0:3], v2, v4, a[0:3]
	s_movk_i32 s4, 0xff
	v_and_b32_sdwa v3, v9, s4 dst_sel:DWORD dst_unused:UNUSED_PAD src0_sel:WORD_1 src1_sel:DWORD
	s_movk_i32 s4, 0x7f
	v_cmp_lt_i16_e32 vcc, s4, v3
	s_mov_b64 s[4:5], 0
                                        ; implicit-def: $sgpr10
	s_and_saveexec_b64 s[6:7], vcc
	s_xor_b64 s[6:7], exec, s[6:7]
	s_cbranch_execnz .LBB21_3569
; %bb.1521:
	s_or_saveexec_b64 s[6:7], s[6:7]
	v_mov_b32_e32 v2, s10
	s_xor_b64 exec, exec, s[6:7]
	s_cbranch_execnz .LBB21_3572
.LBB21_1522:
	s_or_b64 exec, exec, s[6:7]
	s_and_saveexec_b64 s[6:7], s[4:5]
	s_cbranch_execz .LBB21_1524
.LBB21_1523:
	v_bfe_u32 v2, v9, 16, 3
	v_ffbh_u32_e32 v6, v2
	v_min_u32_e32 v6, 32, v6
	v_lshrrev_b32_e32 v3, 19, v9
	v_subrev_u32_e32 v7, 28, v6
	v_and_b32_e32 v3, 15, v3
	v_lshlrev_b32_sdwa v7, v7, v9 dst_sel:DWORD dst_unused:UNUSED_PAD src0_sel:DWORD src1_sel:WORD_1
	v_bfe_u32 v4, v9, 19, 4
	v_sub_u32_e32 v6, 29, v6
	v_and_b32_e32 v7, 7, v7
	v_cmp_eq_u16_e32 vcc, 0, v3
	v_cndmask_b32_e32 v2, v2, v7, vcc
	v_cndmask_b32_e32 v3, v4, v6, vcc
	v_lshlrev_b32_e32 v4, 8, v9
	v_mov_b32_e32 v6, 0x3b800000
	v_lshlrev_b32_e32 v2, 20, v2
	v_and_b32_e32 v4, 0x80000000, v4
	v_lshl_add_u32 v3, v3, 23, v6
	v_or3_b32 v2, v4, v3, v2
.LBB21_1524:
	s_or_b64 exec, exec, s[6:7]
	s_movk_i32 s4, 0xff
	v_and_b32_sdwa v3, v5, s4 dst_sel:DWORD dst_unused:UNUSED_PAD src0_sel:WORD_1 src1_sel:DWORD
	s_movk_i32 s4, 0x7f
	v_cmp_lt_i16_e32 vcc, s4, v3
	s_mov_b64 s[4:5], 0
                                        ; implicit-def: $sgpr10
	s_and_saveexec_b64 s[6:7], vcc
	s_xor_b64 s[6:7], exec, s[6:7]
	s_cbranch_execnz .LBB21_3573
; %bb.1525:
	s_or_saveexec_b64 s[6:7], s[6:7]
	v_mov_b32_e32 v4, s10
	s_xor_b64 exec, exec, s[6:7]
	s_cbranch_execnz .LBB21_3576
.LBB21_1526:
	s_or_b64 exec, exec, s[6:7]
	s_and_saveexec_b64 s[6:7], s[4:5]
	s_cbranch_execz .LBB21_1528
.LBB21_1527:
	v_bfe_u32 v3, v5, 16, 3
	v_ffbh_u32_e32 v7, v3
	v_min_u32_e32 v7, 32, v7
	v_lshrrev_b32_e32 v4, 19, v5
	v_subrev_u32_e32 v8, 28, v7
	v_and_b32_e32 v4, 15, v4
	v_lshlrev_b32_sdwa v8, v8, v5 dst_sel:DWORD dst_unused:UNUSED_PAD src0_sel:DWORD src1_sel:WORD_1
	v_bfe_u32 v6, v5, 19, 4
	v_sub_u32_e32 v7, 29, v7
	v_and_b32_e32 v8, 7, v8
	v_cmp_eq_u16_e32 vcc, 0, v4
	v_cndmask_b32_e32 v3, v3, v8, vcc
	v_cndmask_b32_e32 v4, v6, v7, vcc
	v_lshlrev_b32_e32 v6, 8, v5
	v_mov_b32_e32 v7, 0x3b800000
	v_lshlrev_b32_e32 v3, 20, v3
	v_and_b32_e32 v6, 0x80000000, v6
	v_lshl_add_u32 v4, v4, 23, v7
	v_or3_b32 v4, v6, v4, v3
.LBB21_1528:
	s_or_b64 exec, exec, s[6:7]
	s_nop 0
	v_mfma_f32_16x16x4f32 a[0:3], v2, v4, a[0:3]
	s_movk_i32 s4, 0x7f
	v_cmp_gt_i16_sdwa s[6:7], v9, s4 src0_sel:BYTE_3 src1_sel:DWORD
	s_mov_b64 s[4:5], 0
                                        ; implicit-def: $sgpr10
	s_and_saveexec_b64 s[8:9], s[6:7]
	s_xor_b64 s[6:7], exec, s[8:9]
	s_cbranch_execnz .LBB21_3577
; %bb.1529:
	s_or_saveexec_b64 s[6:7], s[6:7]
	v_mov_b32_e32 v2, s10
	s_xor_b64 exec, exec, s[6:7]
	s_cbranch_execnz .LBB21_3580
.LBB21_1530:
	s_or_b64 exec, exec, s[6:7]
	s_and_saveexec_b64 s[6:7], s[4:5]
	s_cbranch_execz .LBB21_1532
.LBB21_1531:
	v_bfe_u32 v2, v9, 24, 3
	v_ffbh_u32_e32 v7, v2
	v_min_u32_e32 v7, 32, v7
	v_lshrrev_b32_e32 v4, 27, v9
	v_subrev_u32_e32 v8, 28, v7
	v_and_b32_e32 v4, 15, v4
	v_lshlrev_b32_sdwa v8, v8, v9 dst_sel:DWORD dst_unused:UNUSED_PAD src0_sel:DWORD src1_sel:BYTE_3
	v_bfe_u32 v6, v9, 27, 4
	v_sub_u32_e32 v7, 29, v7
	v_and_b32_e32 v8, 7, v8
	v_cmp_eq_u16_e32 vcc, 0, v4
	v_cndmask_b32_e32 v2, v2, v8, vcc
	v_cndmask_b32_e32 v4, v6, v7, vcc
	v_mov_b32_e32 v6, 0x3b800000
	v_and_b32_e32 v3, 0x80000000, v9
	v_lshlrev_b32_e32 v2, 20, v2
	v_lshl_add_u32 v4, v4, 23, v6
	v_or3_b32 v2, v3, v4, v2
.LBB21_1532:
	s_or_b64 exec, exec, s[6:7]
	s_movk_i32 s4, 0x7f
	v_cmp_gt_i16_sdwa s[6:7], v5, s4 src0_sel:BYTE_3 src1_sel:DWORD
	s_mov_b64 s[4:5], 0
                                        ; implicit-def: $sgpr10
	s_and_saveexec_b64 s[8:9], s[6:7]
	s_xor_b64 s[6:7], exec, s[8:9]
	s_cbranch_execnz .LBB21_3581
; %bb.1533:
	s_or_saveexec_b64 s[6:7], s[6:7]
	v_mov_b32_e32 v3, s10
	s_xor_b64 exec, exec, s[6:7]
	s_cbranch_execnz .LBB21_3584
.LBB21_1534:
	s_or_b64 exec, exec, s[6:7]
	s_and_saveexec_b64 s[6:7], s[4:5]
	s_cbranch_execz .LBB21_1536
.LBB21_1535:
	v_bfe_u32 v3, v5, 24, 3
	v_ffbh_u32_e32 v8, v3
	v_min_u32_e32 v8, 32, v8
	v_lshrrev_b32_e32 v6, 27, v5
	v_subrev_u32_e32 v9, 28, v8
	v_and_b32_e32 v4, 0x80000000, v5
	v_and_b32_e32 v6, 15, v6
	v_bfe_u32 v7, v5, 27, 4
	v_lshlrev_b32_sdwa v5, v9, v5 dst_sel:DWORD dst_unused:UNUSED_PAD src0_sel:DWORD src1_sel:BYTE_3
	v_sub_u32_e32 v8, 29, v8
	v_and_b32_e32 v5, 7, v5
	v_cmp_eq_u16_e32 vcc, 0, v6
	v_cndmask_b32_e32 v3, v3, v5, vcc
	v_cndmask_b32_e32 v5, v7, v8, vcc
	v_mov_b32_e32 v6, 0x3b800000
	v_lshlrev_b32_e32 v3, 20, v3
	v_lshl_add_u32 v5, v5, 23, v6
	v_or3_b32 v3, v4, v5, v3
.LBB21_1536:
	s_or_b64 exec, exec, s[6:7]
	s_nop 0
	v_mfma_f32_16x16x4f32 a[0:3], v2, v3, a[0:3]
	s_movk_i32 s4, 0x7f
                                        ; implicit-def: $sgpr10
	s_nop 7
	s_nop 1
	flat_store_dwordx4 v[18:19], a[0:3] offset:464
	flat_load_dwordx4 v[20:23], v[0:1] offset:8
	s_nop 0
	flat_load_dwordx2 v[18:19], v[0:1] offset:24
	s_waitcnt vmcnt(0) lgkmcnt(0)
	flat_load_dwordx4 v[14:17], v[20:21] offset:32
	flat_load_dwordx4 v[6:9], v[20:21] offset:48
	;; [unrolled: 1-line block ×4, first 2 shown]
	s_waitcnt vmcnt(0) lgkmcnt(0)
	v_cmp_gt_i16_sdwa s[6:7], v14, s4 src0_sel:BYTE_0 src1_sel:DWORD
	s_mov_b64 s[4:5], 0
	s_and_saveexec_b64 s[8:9], s[6:7]
	s_xor_b64 s[6:7], exec, s[8:9]
	s_cbranch_execnz .LBB21_3585
; %bb.1537:
	s_or_saveexec_b64 s[6:7], s[6:7]
	v_mov_b32_e32 v20, s10
	s_xor_b64 exec, exec, s[6:7]
	s_cbranch_execnz .LBB21_3588
.LBB21_1538:
	s_or_b64 exec, exec, s[6:7]
	s_and_saveexec_b64 s[6:7], s[4:5]
	s_cbranch_execz .LBB21_1540
.LBB21_1539:
	v_and_b32_e32 v20, 7, v14
	v_ffbh_u32_e32 v22, v20
	v_min_u32_e32 v22, 32, v22
	v_lshrrev_b16_e32 v21, 3, v14
	v_subrev_u32_e32 v23, 28, v22
	v_and_b32_e32 v21, 15, v21
	v_lshlrev_b32_e32 v23, v23, v14
	v_sub_u32_e32 v22, 29, v22
	v_and_b32_e32 v23, 7, v23
	v_cmp_eq_u16_e32 vcc, 0, v21
	v_cndmask_b32_e32 v20, v20, v23, vcc
	v_cndmask_b32_e32 v21, v21, v22, vcc
	v_lshlrev_b32_e32 v22, 24, v14
	v_mov_b32_e32 v23, 0x3b800000
	v_lshlrev_b32_e32 v20, 20, v20
	v_and_b32_e32 v22, 0x80000000, v22
	v_lshl_add_u32 v21, v21, 23, v23
	v_or3_b32 v20, v22, v21, v20
.LBB21_1540:
	s_or_b64 exec, exec, s[6:7]
	s_movk_i32 s4, 0x7f
	v_cmp_gt_i16_sdwa s[6:7], v10, s4 src0_sel:BYTE_0 src1_sel:DWORD
	s_mov_b64 s[4:5], 0
                                        ; implicit-def: $sgpr10
	s_and_saveexec_b64 s[8:9], s[6:7]
	s_xor_b64 s[6:7], exec, s[8:9]
	s_cbranch_execnz .LBB21_3589
; %bb.1541:
	s_or_saveexec_b64 s[6:7], s[6:7]
	v_mov_b32_e32 v21, s10
	s_xor_b64 exec, exec, s[6:7]
	s_cbranch_execnz .LBB21_3592
.LBB21_1542:
	s_or_b64 exec, exec, s[6:7]
	s_and_saveexec_b64 s[6:7], s[4:5]
	s_cbranch_execz .LBB21_1544
.LBB21_1543:
	v_and_b32_e32 v21, 7, v10
	v_ffbh_u32_e32 v23, v21
	v_min_u32_e32 v23, 32, v23
	v_lshrrev_b16_e32 v22, 3, v10
	v_subrev_u32_e32 v24, 28, v23
	v_and_b32_e32 v22, 15, v22
	v_lshlrev_b32_e32 v24, v24, v10
	v_sub_u32_e32 v23, 29, v23
	v_and_b32_e32 v24, 7, v24
	v_cmp_eq_u16_e32 vcc, 0, v22
	v_cndmask_b32_e32 v21, v21, v24, vcc
	v_cndmask_b32_e32 v22, v22, v23, vcc
	v_lshlrev_b32_e32 v23, 24, v10
	v_mov_b32_e32 v24, 0x3b800000
	v_lshlrev_b32_e32 v21, 20, v21
	v_and_b32_e32 v23, 0x80000000, v23
	v_lshl_add_u32 v22, v22, 23, v24
	v_or3_b32 v21, v23, v22, v21
.LBB21_1544:
	s_or_b64 exec, exec, s[6:7]
	flat_load_dwordx4 a[0:3], v[18:19] offset:480
	s_movk_i32 s4, 0x7f
                                        ; implicit-def: $sgpr10
	s_waitcnt vmcnt(0) lgkmcnt(0)
	v_mfma_f32_16x16x4f32 a[0:3], v20, v21, a[0:3]
	v_lshrrev_b32_e32 v21, 8, v14
	v_cmp_gt_i16_sdwa s[6:7], v21, s4 src0_sel:BYTE_0 src1_sel:DWORD
	s_mov_b64 s[4:5], 0
	s_and_saveexec_b64 s[8:9], s[6:7]
	s_xor_b64 s[6:7], exec, s[8:9]
	s_cbranch_execnz .LBB21_3593
; %bb.1545:
	s_or_saveexec_b64 s[6:7], s[6:7]
	v_mov_b32_e32 v20, s10
	s_xor_b64 exec, exec, s[6:7]
	s_cbranch_execnz .LBB21_3596
.LBB21_1546:
	s_or_b64 exec, exec, s[6:7]
	s_and_saveexec_b64 s[6:7], s[4:5]
	s_cbranch_execz .LBB21_1548
.LBB21_1547:
	v_bfe_u32 v20, v14, 8, 3
	v_ffbh_u32_e32 v23, v20
	v_min_u32_e32 v23, 32, v23
	v_lshrrev_b16_e32 v22, 3, v21
	v_subrev_u32_e32 v24, 28, v23
	v_and_b32_e32 v22, 15, v22
	v_lshlrev_b32_e32 v21, v24, v21
	v_sub_u32_e32 v23, 29, v23
	v_and_b32_e32 v21, 7, v21
	v_cmp_eq_u16_e32 vcc, 0, v22
	v_cndmask_b32_e32 v20, v20, v21, vcc
	v_cndmask_b32_e32 v21, v22, v23, vcc
	v_lshlrev_b32_e32 v22, 16, v14
	v_mov_b32_e32 v23, 0x3b800000
	v_lshlrev_b32_e32 v20, 20, v20
	v_and_b32_e32 v22, 0x80000000, v22
	v_lshl_add_u32 v21, v21, 23, v23
	v_or3_b32 v20, v22, v21, v20
.LBB21_1548:
	s_or_b64 exec, exec, s[6:7]
	v_lshrrev_b32_e32 v21, 8, v10
	s_movk_i32 s4, 0x7f
	v_cmp_gt_i16_sdwa s[6:7], v21, s4 src0_sel:BYTE_0 src1_sel:DWORD
	s_mov_b64 s[4:5], 0
                                        ; implicit-def: $sgpr10
	s_and_saveexec_b64 s[8:9], s[6:7]
	s_xor_b64 s[6:7], exec, s[8:9]
	s_cbranch_execnz .LBB21_3597
; %bb.1549:
	s_or_saveexec_b64 s[6:7], s[6:7]
	v_mov_b32_e32 v22, s10
	s_xor_b64 exec, exec, s[6:7]
	s_cbranch_execnz .LBB21_3600
.LBB21_1550:
	s_or_b64 exec, exec, s[6:7]
	s_and_saveexec_b64 s[6:7], s[4:5]
	s_cbranch_execz .LBB21_1552
.LBB21_1551:
	v_bfe_u32 v22, v10, 8, 3
	v_ffbh_u32_e32 v24, v22
	v_min_u32_e32 v24, 32, v24
	v_lshrrev_b16_e32 v23, 3, v21
	v_subrev_u32_e32 v25, 28, v24
	v_and_b32_e32 v23, 15, v23
	v_lshlrev_b32_e32 v21, v25, v21
	v_sub_u32_e32 v24, 29, v24
	v_and_b32_e32 v21, 7, v21
	v_cmp_eq_u16_e32 vcc, 0, v23
	v_cndmask_b32_e32 v21, v22, v21, vcc
	v_cndmask_b32_e32 v22, v23, v24, vcc
	v_lshlrev_b32_e32 v23, 16, v10
	v_mov_b32_e32 v24, 0x3b800000
	v_lshlrev_b32_e32 v21, 20, v21
	v_and_b32_e32 v23, 0x80000000, v23
	v_lshl_add_u32 v22, v22, 23, v24
	v_or3_b32 v22, v23, v22, v21
.LBB21_1552:
	s_or_b64 exec, exec, s[6:7]
	s_nop 0
	v_mfma_f32_16x16x4f32 a[0:3], v20, v22, a[0:3]
	s_movk_i32 s4, 0xff
	v_and_b32_sdwa v21, v14, s4 dst_sel:DWORD dst_unused:UNUSED_PAD src0_sel:WORD_1 src1_sel:DWORD
	s_movk_i32 s4, 0x7f
	v_cmp_lt_i16_e32 vcc, s4, v21
	s_mov_b64 s[4:5], 0
                                        ; implicit-def: $sgpr10
	s_and_saveexec_b64 s[6:7], vcc
	s_xor_b64 s[6:7], exec, s[6:7]
	s_cbranch_execnz .LBB21_3601
; %bb.1553:
	s_or_saveexec_b64 s[6:7], s[6:7]
	v_mov_b32_e32 v20, s10
	s_xor_b64 exec, exec, s[6:7]
	s_cbranch_execnz .LBB21_3604
.LBB21_1554:
	s_or_b64 exec, exec, s[6:7]
	s_and_saveexec_b64 s[6:7], s[4:5]
	s_cbranch_execz .LBB21_1556
.LBB21_1555:
	v_bfe_u32 v20, v14, 16, 3
	v_ffbh_u32_e32 v23, v20
	v_min_u32_e32 v23, 32, v23
	v_lshrrev_b32_e32 v21, 19, v14
	v_subrev_u32_e32 v24, 28, v23
	v_and_b32_e32 v21, 15, v21
	v_lshlrev_b32_sdwa v24, v24, v14 dst_sel:DWORD dst_unused:UNUSED_PAD src0_sel:DWORD src1_sel:WORD_1
	v_bfe_u32 v22, v14, 19, 4
	v_sub_u32_e32 v23, 29, v23
	v_and_b32_e32 v24, 7, v24
	v_cmp_eq_u16_e32 vcc, 0, v21
	v_cndmask_b32_e32 v20, v20, v24, vcc
	v_cndmask_b32_e32 v21, v22, v23, vcc
	v_lshlrev_b32_e32 v22, 8, v14
	v_mov_b32_e32 v23, 0x3b800000
	v_lshlrev_b32_e32 v20, 20, v20
	v_and_b32_e32 v22, 0x80000000, v22
	v_lshl_add_u32 v21, v21, 23, v23
	v_or3_b32 v20, v22, v21, v20
.LBB21_1556:
	s_or_b64 exec, exec, s[6:7]
	s_movk_i32 s4, 0xff
	v_and_b32_sdwa v21, v10, s4 dst_sel:DWORD dst_unused:UNUSED_PAD src0_sel:WORD_1 src1_sel:DWORD
	s_movk_i32 s4, 0x7f
	v_cmp_lt_i16_e32 vcc, s4, v21
	s_mov_b64 s[4:5], 0
                                        ; implicit-def: $sgpr10
	s_and_saveexec_b64 s[6:7], vcc
	s_xor_b64 s[6:7], exec, s[6:7]
	s_cbranch_execnz .LBB21_3605
; %bb.1557:
	s_or_saveexec_b64 s[6:7], s[6:7]
	v_mov_b32_e32 v22, s10
	s_xor_b64 exec, exec, s[6:7]
	s_cbranch_execnz .LBB21_3608
.LBB21_1558:
	s_or_b64 exec, exec, s[6:7]
	s_and_saveexec_b64 s[6:7], s[4:5]
	s_cbranch_execz .LBB21_1560
.LBB21_1559:
	v_bfe_u32 v21, v10, 16, 3
	v_ffbh_u32_e32 v24, v21
	v_min_u32_e32 v24, 32, v24
	v_lshrrev_b32_e32 v22, 19, v10
	v_subrev_u32_e32 v25, 28, v24
	v_and_b32_e32 v22, 15, v22
	v_lshlrev_b32_sdwa v25, v25, v10 dst_sel:DWORD dst_unused:UNUSED_PAD src0_sel:DWORD src1_sel:WORD_1
	v_bfe_u32 v23, v10, 19, 4
	v_sub_u32_e32 v24, 29, v24
	v_and_b32_e32 v25, 7, v25
	v_cmp_eq_u16_e32 vcc, 0, v22
	v_cndmask_b32_e32 v21, v21, v25, vcc
	v_cndmask_b32_e32 v22, v23, v24, vcc
	v_lshlrev_b32_e32 v23, 8, v10
	v_mov_b32_e32 v24, 0x3b800000
	v_lshlrev_b32_e32 v21, 20, v21
	v_and_b32_e32 v23, 0x80000000, v23
	v_lshl_add_u32 v22, v22, 23, v24
	v_or3_b32 v22, v23, v22, v21
.LBB21_1560:
	s_or_b64 exec, exec, s[6:7]
	s_nop 0
	v_mfma_f32_16x16x4f32 a[0:3], v20, v22, a[0:3]
	s_movk_i32 s4, 0x7f
	v_cmp_gt_i16_sdwa s[6:7], v14, s4 src0_sel:BYTE_3 src1_sel:DWORD
	s_mov_b64 s[4:5], 0
                                        ; implicit-def: $sgpr10
	s_and_saveexec_b64 s[8:9], s[6:7]
	s_xor_b64 s[6:7], exec, s[8:9]
	s_cbranch_execnz .LBB21_3609
; %bb.1561:
	s_or_saveexec_b64 s[6:7], s[6:7]
	v_mov_b32_e32 v20, s10
	s_xor_b64 exec, exec, s[6:7]
	s_cbranch_execnz .LBB21_3612
.LBB21_1562:
	s_or_b64 exec, exec, s[6:7]
	s_and_saveexec_b64 s[6:7], s[4:5]
	s_cbranch_execz .LBB21_1564
.LBB21_1563:
	v_bfe_u32 v20, v14, 24, 3
	v_ffbh_u32_e32 v24, v20
	v_min_u32_e32 v24, 32, v24
	v_lshrrev_b32_e32 v22, 27, v14
	v_subrev_u32_e32 v25, 28, v24
	v_and_b32_e32 v21, 0x80000000, v14
	v_and_b32_e32 v22, 15, v22
	v_bfe_u32 v23, v14, 27, 4
	v_lshlrev_b32_sdwa v14, v25, v14 dst_sel:DWORD dst_unused:UNUSED_PAD src0_sel:DWORD src1_sel:BYTE_3
	v_sub_u32_e32 v24, 29, v24
	v_and_b32_e32 v14, 7, v14
	v_cmp_eq_u16_e32 vcc, 0, v22
	v_cndmask_b32_e32 v14, v20, v14, vcc
	v_cndmask_b32_e32 v20, v23, v24, vcc
	v_mov_b32_e32 v22, 0x3b800000
	v_lshlrev_b32_e32 v14, 20, v14
	v_lshl_add_u32 v20, v20, 23, v22
	v_or3_b32 v20, v21, v20, v14
.LBB21_1564:
	s_or_b64 exec, exec, s[6:7]
	s_movk_i32 s4, 0x7f
	v_cmp_gt_i16_sdwa s[6:7], v10, s4 src0_sel:BYTE_3 src1_sel:DWORD
	s_mov_b64 s[4:5], 0
                                        ; implicit-def: $sgpr10
	s_and_saveexec_b64 s[8:9], s[6:7]
	s_xor_b64 s[6:7], exec, s[8:9]
	s_cbranch_execnz .LBB21_3613
; %bb.1565:
	s_or_saveexec_b64 s[6:7], s[6:7]
	v_mov_b32_e32 v14, s10
	s_xor_b64 exec, exec, s[6:7]
	s_cbranch_execnz .LBB21_3616
.LBB21_1566:
	s_or_b64 exec, exec, s[6:7]
	s_and_saveexec_b64 s[6:7], s[4:5]
	s_cbranch_execz .LBB21_1568
.LBB21_1567:
	v_bfe_u32 v14, v10, 24, 3
	v_ffbh_u32_e32 v24, v14
	v_min_u32_e32 v24, 32, v24
	v_lshrrev_b32_e32 v22, 27, v10
	v_subrev_u32_e32 v25, 28, v24
	v_and_b32_e32 v21, 0x80000000, v10
	v_and_b32_e32 v22, 15, v22
	v_bfe_u32 v23, v10, 27, 4
	v_lshlrev_b32_sdwa v10, v25, v10 dst_sel:DWORD dst_unused:UNUSED_PAD src0_sel:DWORD src1_sel:BYTE_3
	v_sub_u32_e32 v24, 29, v24
	v_and_b32_e32 v10, 7, v10
	v_cmp_eq_u16_e32 vcc, 0, v22
	v_cndmask_b32_e32 v10, v14, v10, vcc
	v_cndmask_b32_e32 v14, v23, v24, vcc
	v_mov_b32_e32 v22, 0x3b800000
	v_lshlrev_b32_e32 v10, 20, v10
	v_lshl_add_u32 v14, v14, 23, v22
	v_or3_b32 v14, v21, v14, v10
.LBB21_1568:
	s_or_b64 exec, exec, s[6:7]
	s_nop 0
	v_mfma_f32_16x16x4f32 a[0:3], v20, v14, a[0:3]
	s_movk_i32 s4, 0x7f
	v_cmp_gt_i16_sdwa s[6:7], v15, s4 src0_sel:BYTE_0 src1_sel:DWORD
	s_mov_b64 s[4:5], 0
                                        ; implicit-def: $sgpr10
	s_and_saveexec_b64 s[8:9], s[6:7]
	s_xor_b64 s[6:7], exec, s[8:9]
	s_cbranch_execnz .LBB21_3617
; %bb.1569:
	s_or_saveexec_b64 s[6:7], s[6:7]
	v_mov_b32_e32 v10, s10
	s_xor_b64 exec, exec, s[6:7]
	s_cbranch_execnz .LBB21_3620
.LBB21_1570:
	s_or_b64 exec, exec, s[6:7]
	s_and_saveexec_b64 s[6:7], s[4:5]
	s_cbranch_execz .LBB21_1572
.LBB21_1571:
	v_and_b32_e32 v10, 7, v15
	v_ffbh_u32_e32 v20, v10
	v_min_u32_e32 v20, 32, v20
	v_lshrrev_b16_e32 v14, 3, v15
	v_subrev_u32_e32 v21, 28, v20
	v_and_b32_e32 v14, 15, v14
	v_lshlrev_b32_e32 v21, v21, v15
	v_sub_u32_e32 v20, 29, v20
	v_and_b32_e32 v21, 7, v21
	v_cmp_eq_u16_e32 vcc, 0, v14
	v_cndmask_b32_e32 v10, v10, v21, vcc
	v_cndmask_b32_e32 v14, v14, v20, vcc
	v_lshlrev_b32_e32 v20, 24, v15
	v_mov_b32_e32 v21, 0x3b800000
	v_lshlrev_b32_e32 v10, 20, v10
	v_and_b32_e32 v20, 0x80000000, v20
	v_lshl_add_u32 v14, v14, 23, v21
	v_or3_b32 v10, v20, v14, v10
.LBB21_1572:
	s_or_b64 exec, exec, s[6:7]
	s_movk_i32 s4, 0x7f
	v_cmp_gt_i16_sdwa s[6:7], v11, s4 src0_sel:BYTE_0 src1_sel:DWORD
	s_mov_b64 s[4:5], 0
                                        ; implicit-def: $sgpr10
	s_and_saveexec_b64 s[8:9], s[6:7]
	s_xor_b64 s[6:7], exec, s[8:9]
	s_cbranch_execnz .LBB21_3621
; %bb.1573:
	s_or_saveexec_b64 s[6:7], s[6:7]
	v_mov_b32_e32 v14, s10
	s_xor_b64 exec, exec, s[6:7]
	s_cbranch_execnz .LBB21_3624
.LBB21_1574:
	s_or_b64 exec, exec, s[6:7]
	s_and_saveexec_b64 s[6:7], s[4:5]
	s_cbranch_execz .LBB21_1576
.LBB21_1575:
	v_and_b32_e32 v14, 7, v11
	v_ffbh_u32_e32 v21, v14
	v_min_u32_e32 v21, 32, v21
	v_lshrrev_b16_e32 v20, 3, v11
	v_subrev_u32_e32 v22, 28, v21
	v_and_b32_e32 v20, 15, v20
	v_lshlrev_b32_e32 v22, v22, v11
	v_sub_u32_e32 v21, 29, v21
	v_and_b32_e32 v22, 7, v22
	v_cmp_eq_u16_e32 vcc, 0, v20
	v_cndmask_b32_e32 v14, v14, v22, vcc
	v_cndmask_b32_e32 v20, v20, v21, vcc
	v_lshlrev_b32_e32 v21, 24, v11
	v_mov_b32_e32 v22, 0x3b800000
	v_lshlrev_b32_e32 v14, 20, v14
	v_and_b32_e32 v21, 0x80000000, v21
	v_lshl_add_u32 v20, v20, 23, v22
	v_or3_b32 v14, v21, v20, v14
.LBB21_1576:
	s_or_b64 exec, exec, s[6:7]
	s_nop 0
	v_mfma_f32_16x16x4f32 a[0:3], v10, v14, a[0:3]
	v_lshrrev_b32_e32 v14, 8, v15
	s_movk_i32 s4, 0x7f
	v_cmp_gt_i16_sdwa s[6:7], v14, s4 src0_sel:BYTE_0 src1_sel:DWORD
	s_mov_b64 s[4:5], 0
                                        ; implicit-def: $sgpr10
	s_and_saveexec_b64 s[8:9], s[6:7]
	s_xor_b64 s[6:7], exec, s[8:9]
	s_cbranch_execnz .LBB21_3625
; %bb.1577:
	s_or_saveexec_b64 s[6:7], s[6:7]
	v_mov_b32_e32 v10, s10
	s_xor_b64 exec, exec, s[6:7]
	s_cbranch_execnz .LBB21_3628
.LBB21_1578:
	s_or_b64 exec, exec, s[6:7]
	s_and_saveexec_b64 s[6:7], s[4:5]
	s_cbranch_execz .LBB21_1580
.LBB21_1579:
	v_bfe_u32 v10, v15, 8, 3
	v_ffbh_u32_e32 v21, v10
	v_min_u32_e32 v21, 32, v21
	v_lshrrev_b16_e32 v20, 3, v14
	v_subrev_u32_e32 v22, 28, v21
	v_and_b32_e32 v20, 15, v20
	v_lshlrev_b32_e32 v14, v22, v14
	v_sub_u32_e32 v21, 29, v21
	v_and_b32_e32 v14, 7, v14
	v_cmp_eq_u16_e32 vcc, 0, v20
	v_cndmask_b32_e32 v10, v10, v14, vcc
	v_cndmask_b32_e32 v14, v20, v21, vcc
	v_lshlrev_b32_e32 v20, 16, v15
	v_mov_b32_e32 v21, 0x3b800000
	v_lshlrev_b32_e32 v10, 20, v10
	v_and_b32_e32 v20, 0x80000000, v20
	v_lshl_add_u32 v14, v14, 23, v21
	v_or3_b32 v10, v20, v14, v10
.LBB21_1580:
	s_or_b64 exec, exec, s[6:7]
	v_lshrrev_b32_e32 v14, 8, v11
	s_movk_i32 s4, 0x7f
	v_cmp_gt_i16_sdwa s[6:7], v14, s4 src0_sel:BYTE_0 src1_sel:DWORD
	s_mov_b64 s[4:5], 0
                                        ; implicit-def: $sgpr10
	s_and_saveexec_b64 s[8:9], s[6:7]
	s_xor_b64 s[6:7], exec, s[8:9]
	s_cbranch_execnz .LBB21_3629
; %bb.1581:
	s_or_saveexec_b64 s[6:7], s[6:7]
	v_mov_b32_e32 v20, s10
	s_xor_b64 exec, exec, s[6:7]
	s_cbranch_execnz .LBB21_3632
.LBB21_1582:
	s_or_b64 exec, exec, s[6:7]
	s_and_saveexec_b64 s[6:7], s[4:5]
	s_cbranch_execz .LBB21_1584
.LBB21_1583:
	v_bfe_u32 v20, v11, 8, 3
	v_ffbh_u32_e32 v22, v20
	v_min_u32_e32 v22, 32, v22
	v_lshrrev_b16_e32 v21, 3, v14
	v_subrev_u32_e32 v23, 28, v22
	v_and_b32_e32 v21, 15, v21
	v_lshlrev_b32_e32 v14, v23, v14
	v_sub_u32_e32 v22, 29, v22
	v_and_b32_e32 v14, 7, v14
	v_cmp_eq_u16_e32 vcc, 0, v21
	v_cndmask_b32_e32 v14, v20, v14, vcc
	v_cndmask_b32_e32 v20, v21, v22, vcc
	v_lshlrev_b32_e32 v21, 16, v11
	v_mov_b32_e32 v22, 0x3b800000
	v_lshlrev_b32_e32 v14, 20, v14
	v_and_b32_e32 v21, 0x80000000, v21
	v_lshl_add_u32 v20, v20, 23, v22
	v_or3_b32 v20, v21, v20, v14
.LBB21_1584:
	s_or_b64 exec, exec, s[6:7]
	s_nop 0
	v_mfma_f32_16x16x4f32 a[0:3], v10, v20, a[0:3]
	s_movk_i32 s4, 0xff
	v_and_b32_sdwa v14, v15, s4 dst_sel:DWORD dst_unused:UNUSED_PAD src0_sel:WORD_1 src1_sel:DWORD
	s_movk_i32 s4, 0x7f
	v_cmp_lt_i16_e32 vcc, s4, v14
	s_mov_b64 s[4:5], 0
                                        ; implicit-def: $sgpr10
	s_and_saveexec_b64 s[6:7], vcc
	s_xor_b64 s[6:7], exec, s[6:7]
	s_cbranch_execnz .LBB21_3633
; %bb.1585:
	s_or_saveexec_b64 s[6:7], s[6:7]
	v_mov_b32_e32 v10, s10
	s_xor_b64 exec, exec, s[6:7]
	s_cbranch_execnz .LBB21_3636
.LBB21_1586:
	s_or_b64 exec, exec, s[6:7]
	s_and_saveexec_b64 s[6:7], s[4:5]
	s_cbranch_execz .LBB21_1588
.LBB21_1587:
	v_bfe_u32 v10, v15, 16, 3
	v_ffbh_u32_e32 v21, v10
	v_min_u32_e32 v21, 32, v21
	v_lshrrev_b32_e32 v14, 19, v15
	v_subrev_u32_e32 v22, 28, v21
	v_and_b32_e32 v14, 15, v14
	v_lshlrev_b32_sdwa v22, v22, v15 dst_sel:DWORD dst_unused:UNUSED_PAD src0_sel:DWORD src1_sel:WORD_1
	v_bfe_u32 v20, v15, 19, 4
	v_sub_u32_e32 v21, 29, v21
	v_and_b32_e32 v22, 7, v22
	v_cmp_eq_u16_e32 vcc, 0, v14
	v_cndmask_b32_e32 v10, v10, v22, vcc
	v_cndmask_b32_e32 v14, v20, v21, vcc
	v_lshlrev_b32_e32 v20, 8, v15
	v_mov_b32_e32 v21, 0x3b800000
	v_lshlrev_b32_e32 v10, 20, v10
	v_and_b32_e32 v20, 0x80000000, v20
	v_lshl_add_u32 v14, v14, 23, v21
	v_or3_b32 v10, v20, v14, v10
.LBB21_1588:
	s_or_b64 exec, exec, s[6:7]
	s_movk_i32 s4, 0xff
	v_and_b32_sdwa v14, v11, s4 dst_sel:DWORD dst_unused:UNUSED_PAD src0_sel:WORD_1 src1_sel:DWORD
	s_movk_i32 s4, 0x7f
	v_cmp_lt_i16_e32 vcc, s4, v14
	s_mov_b64 s[4:5], 0
                                        ; implicit-def: $sgpr10
	s_and_saveexec_b64 s[6:7], vcc
	s_xor_b64 s[6:7], exec, s[6:7]
	s_cbranch_execnz .LBB21_3637
; %bb.1589:
	s_or_saveexec_b64 s[6:7], s[6:7]
	v_mov_b32_e32 v20, s10
	s_xor_b64 exec, exec, s[6:7]
	s_cbranch_execnz .LBB21_3640
.LBB21_1590:
	s_or_b64 exec, exec, s[6:7]
	s_and_saveexec_b64 s[6:7], s[4:5]
	s_cbranch_execz .LBB21_1592
.LBB21_1591:
	v_bfe_u32 v14, v11, 16, 3
	v_ffbh_u32_e32 v22, v14
	v_min_u32_e32 v22, 32, v22
	v_lshrrev_b32_e32 v20, 19, v11
	v_subrev_u32_e32 v23, 28, v22
	v_and_b32_e32 v20, 15, v20
	v_lshlrev_b32_sdwa v23, v23, v11 dst_sel:DWORD dst_unused:UNUSED_PAD src0_sel:DWORD src1_sel:WORD_1
	v_bfe_u32 v21, v11, 19, 4
	v_sub_u32_e32 v22, 29, v22
	v_and_b32_e32 v23, 7, v23
	v_cmp_eq_u16_e32 vcc, 0, v20
	v_cndmask_b32_e32 v14, v14, v23, vcc
	v_cndmask_b32_e32 v20, v21, v22, vcc
	v_lshlrev_b32_e32 v21, 8, v11
	v_mov_b32_e32 v22, 0x3b800000
	v_lshlrev_b32_e32 v14, 20, v14
	v_and_b32_e32 v21, 0x80000000, v21
	v_lshl_add_u32 v20, v20, 23, v22
	v_or3_b32 v20, v21, v20, v14
.LBB21_1592:
	s_or_b64 exec, exec, s[6:7]
	s_nop 0
	v_mfma_f32_16x16x4f32 a[0:3], v10, v20, a[0:3]
	s_movk_i32 s4, 0x7f
	v_cmp_gt_i16_sdwa s[6:7], v15, s4 src0_sel:BYTE_3 src1_sel:DWORD
	s_mov_b64 s[4:5], 0
                                        ; implicit-def: $sgpr10
	s_and_saveexec_b64 s[8:9], s[6:7]
	s_xor_b64 s[6:7], exec, s[8:9]
	s_cbranch_execnz .LBB21_3641
; %bb.1593:
	s_or_saveexec_b64 s[6:7], s[6:7]
	v_mov_b32_e32 v10, s10
	s_xor_b64 exec, exec, s[6:7]
	s_cbranch_execnz .LBB21_3644
.LBB21_1594:
	s_or_b64 exec, exec, s[6:7]
	s_and_saveexec_b64 s[6:7], s[4:5]
	s_cbranch_execz .LBB21_1596
.LBB21_1595:
	v_bfe_u32 v10, v15, 24, 3
	v_ffbh_u32_e32 v22, v10
	v_min_u32_e32 v22, 32, v22
	v_lshrrev_b32_e32 v20, 27, v15
	v_subrev_u32_e32 v23, 28, v22
	v_and_b32_e32 v14, 0x80000000, v15
	v_and_b32_e32 v20, 15, v20
	v_bfe_u32 v21, v15, 27, 4
	v_lshlrev_b32_sdwa v15, v23, v15 dst_sel:DWORD dst_unused:UNUSED_PAD src0_sel:DWORD src1_sel:BYTE_3
	v_sub_u32_e32 v22, 29, v22
	v_and_b32_e32 v15, 7, v15
	v_cmp_eq_u16_e32 vcc, 0, v20
	v_cndmask_b32_e32 v10, v10, v15, vcc
	v_cndmask_b32_e32 v15, v21, v22, vcc
	v_mov_b32_e32 v20, 0x3b800000
	v_lshlrev_b32_e32 v10, 20, v10
	v_lshl_add_u32 v15, v15, 23, v20
	v_or3_b32 v10, v14, v15, v10
.LBB21_1596:
	s_or_b64 exec, exec, s[6:7]
	s_movk_i32 s4, 0x7f
	v_cmp_gt_i16_sdwa s[6:7], v11, s4 src0_sel:BYTE_3 src1_sel:DWORD
	s_mov_b64 s[4:5], 0
                                        ; implicit-def: $sgpr10
	s_and_saveexec_b64 s[8:9], s[6:7]
	s_xor_b64 s[6:7], exec, s[8:9]
	s_cbranch_execnz .LBB21_3645
; %bb.1597:
	s_or_saveexec_b64 s[6:7], s[6:7]
	v_mov_b32_e32 v14, s10
	s_xor_b64 exec, exec, s[6:7]
	s_cbranch_execnz .LBB21_3648
.LBB21_1598:
	s_or_b64 exec, exec, s[6:7]
	s_and_saveexec_b64 s[6:7], s[4:5]
	s_cbranch_execz .LBB21_1600
.LBB21_1599:
	v_bfe_u32 v14, v11, 24, 3
	v_ffbh_u32_e32 v22, v14
	v_min_u32_e32 v22, 32, v22
	v_lshrrev_b32_e32 v20, 27, v11
	v_subrev_u32_e32 v23, 28, v22
	v_and_b32_e32 v15, 0x80000000, v11
	v_and_b32_e32 v20, 15, v20
	v_bfe_u32 v21, v11, 27, 4
	v_lshlrev_b32_sdwa v11, v23, v11 dst_sel:DWORD dst_unused:UNUSED_PAD src0_sel:DWORD src1_sel:BYTE_3
	v_sub_u32_e32 v22, 29, v22
	v_and_b32_e32 v11, 7, v11
	v_cmp_eq_u16_e32 vcc, 0, v20
	v_cndmask_b32_e32 v11, v14, v11, vcc
	v_cndmask_b32_e32 v14, v21, v22, vcc
	v_mov_b32_e32 v20, 0x3b800000
	v_lshlrev_b32_e32 v11, 20, v11
	v_lshl_add_u32 v14, v14, 23, v20
	v_or3_b32 v14, v15, v14, v11
.LBB21_1600:
	s_or_b64 exec, exec, s[6:7]
	s_nop 0
	v_mfma_f32_16x16x4f32 a[0:3], v10, v14, a[0:3]
	s_movk_i32 s4, 0x7f
	v_cmp_gt_i16_sdwa s[6:7], v16, s4 src0_sel:BYTE_0 src1_sel:DWORD
	s_mov_b64 s[4:5], 0
                                        ; implicit-def: $sgpr10
	s_and_saveexec_b64 s[8:9], s[6:7]
	s_xor_b64 s[6:7], exec, s[8:9]
	s_cbranch_execnz .LBB21_3649
; %bb.1601:
	s_or_saveexec_b64 s[6:7], s[6:7]
	v_mov_b32_e32 v10, s10
	s_xor_b64 exec, exec, s[6:7]
	s_cbranch_execnz .LBB21_3652
.LBB21_1602:
	s_or_b64 exec, exec, s[6:7]
	s_and_saveexec_b64 s[6:7], s[4:5]
	s_cbranch_execz .LBB21_1604
.LBB21_1603:
	v_and_b32_e32 v10, 7, v16
	v_ffbh_u32_e32 v14, v10
	v_min_u32_e32 v14, 32, v14
	v_lshrrev_b16_e32 v11, 3, v16
	v_subrev_u32_e32 v15, 28, v14
	v_and_b32_e32 v11, 15, v11
	v_lshlrev_b32_e32 v15, v15, v16
	v_sub_u32_e32 v14, 29, v14
	v_and_b32_e32 v15, 7, v15
	v_cmp_eq_u16_e32 vcc, 0, v11
	v_cndmask_b32_e32 v10, v10, v15, vcc
	v_cndmask_b32_e32 v11, v11, v14, vcc
	v_lshlrev_b32_e32 v14, 24, v16
	v_mov_b32_e32 v15, 0x3b800000
	v_lshlrev_b32_e32 v10, 20, v10
	v_and_b32_e32 v14, 0x80000000, v14
	v_lshl_add_u32 v11, v11, 23, v15
	v_or3_b32 v10, v14, v11, v10
.LBB21_1604:
	s_or_b64 exec, exec, s[6:7]
	s_movk_i32 s4, 0x7f
	v_cmp_gt_i16_sdwa s[6:7], v12, s4 src0_sel:BYTE_0 src1_sel:DWORD
	s_mov_b64 s[4:5], 0
                                        ; implicit-def: $sgpr10
	s_and_saveexec_b64 s[8:9], s[6:7]
	s_xor_b64 s[6:7], exec, s[8:9]
	s_cbranch_execnz .LBB21_3653
; %bb.1605:
	s_or_saveexec_b64 s[6:7], s[6:7]
	v_mov_b32_e32 v11, s10
	s_xor_b64 exec, exec, s[6:7]
	s_cbranch_execnz .LBB21_3656
.LBB21_1606:
	s_or_b64 exec, exec, s[6:7]
	s_and_saveexec_b64 s[6:7], s[4:5]
	s_cbranch_execz .LBB21_1608
.LBB21_1607:
	v_and_b32_e32 v11, 7, v12
	v_ffbh_u32_e32 v15, v11
	v_min_u32_e32 v15, 32, v15
	v_lshrrev_b16_e32 v14, 3, v12
	v_subrev_u32_e32 v20, 28, v15
	v_and_b32_e32 v14, 15, v14
	v_lshlrev_b32_e32 v20, v20, v12
	v_sub_u32_e32 v15, 29, v15
	v_and_b32_e32 v20, 7, v20
	v_cmp_eq_u16_e32 vcc, 0, v14
	v_cndmask_b32_e32 v11, v11, v20, vcc
	v_cndmask_b32_e32 v14, v14, v15, vcc
	v_lshlrev_b32_e32 v15, 24, v12
	v_mov_b32_e32 v20, 0x3b800000
	v_lshlrev_b32_e32 v11, 20, v11
	v_and_b32_e32 v15, 0x80000000, v15
	v_lshl_add_u32 v14, v14, 23, v20
	v_or3_b32 v11, v15, v14, v11
.LBB21_1608:
	s_or_b64 exec, exec, s[6:7]
	s_nop 0
	v_mfma_f32_16x16x4f32 a[0:3], v10, v11, a[0:3]
	v_lshrrev_b32_e32 v11, 8, v16
	s_movk_i32 s4, 0x7f
	v_cmp_gt_i16_sdwa s[6:7], v11, s4 src0_sel:BYTE_0 src1_sel:DWORD
	s_mov_b64 s[4:5], 0
                                        ; implicit-def: $sgpr10
	s_and_saveexec_b64 s[8:9], s[6:7]
	s_xor_b64 s[6:7], exec, s[8:9]
	s_cbranch_execnz .LBB21_3657
; %bb.1609:
	s_or_saveexec_b64 s[6:7], s[6:7]
	v_mov_b32_e32 v10, s10
	s_xor_b64 exec, exec, s[6:7]
	s_cbranch_execnz .LBB21_3660
.LBB21_1610:
	s_or_b64 exec, exec, s[6:7]
	s_and_saveexec_b64 s[6:7], s[4:5]
	s_cbranch_execz .LBB21_1612
.LBB21_1611:
	v_bfe_u32 v10, v16, 8, 3
	v_ffbh_u32_e32 v15, v10
	v_min_u32_e32 v15, 32, v15
	v_lshrrev_b16_e32 v14, 3, v11
	v_subrev_u32_e32 v20, 28, v15
	v_and_b32_e32 v14, 15, v14
	v_lshlrev_b32_e32 v11, v20, v11
	v_sub_u32_e32 v15, 29, v15
	v_and_b32_e32 v11, 7, v11
	v_cmp_eq_u16_e32 vcc, 0, v14
	v_cndmask_b32_e32 v10, v10, v11, vcc
	v_cndmask_b32_e32 v11, v14, v15, vcc
	v_lshlrev_b32_e32 v14, 16, v16
	v_mov_b32_e32 v15, 0x3b800000
	v_lshlrev_b32_e32 v10, 20, v10
	v_and_b32_e32 v14, 0x80000000, v14
	v_lshl_add_u32 v11, v11, 23, v15
	v_or3_b32 v10, v14, v11, v10
.LBB21_1612:
	s_or_b64 exec, exec, s[6:7]
	v_lshrrev_b32_e32 v11, 8, v12
	s_movk_i32 s4, 0x7f
	v_cmp_gt_i16_sdwa s[6:7], v11, s4 src0_sel:BYTE_0 src1_sel:DWORD
	s_mov_b64 s[4:5], 0
                                        ; implicit-def: $sgpr10
	s_and_saveexec_b64 s[8:9], s[6:7]
	s_xor_b64 s[6:7], exec, s[8:9]
	s_cbranch_execnz .LBB21_3661
; %bb.1613:
	s_or_saveexec_b64 s[6:7], s[6:7]
	v_mov_b32_e32 v14, s10
	s_xor_b64 exec, exec, s[6:7]
	s_cbranch_execnz .LBB21_3664
.LBB21_1614:
	s_or_b64 exec, exec, s[6:7]
	s_and_saveexec_b64 s[6:7], s[4:5]
	s_cbranch_execz .LBB21_1616
.LBB21_1615:
	v_bfe_u32 v14, v12, 8, 3
	v_ffbh_u32_e32 v20, v14
	v_min_u32_e32 v20, 32, v20
	v_lshrrev_b16_e32 v15, 3, v11
	v_subrev_u32_e32 v21, 28, v20
	v_and_b32_e32 v15, 15, v15
	v_lshlrev_b32_e32 v11, v21, v11
	v_sub_u32_e32 v20, 29, v20
	v_and_b32_e32 v11, 7, v11
	v_cmp_eq_u16_e32 vcc, 0, v15
	v_cndmask_b32_e32 v11, v14, v11, vcc
	v_cndmask_b32_e32 v14, v15, v20, vcc
	v_lshlrev_b32_e32 v15, 16, v12
	v_mov_b32_e32 v20, 0x3b800000
	v_lshlrev_b32_e32 v11, 20, v11
	v_and_b32_e32 v15, 0x80000000, v15
	v_lshl_add_u32 v14, v14, 23, v20
	v_or3_b32 v14, v15, v14, v11
.LBB21_1616:
	s_or_b64 exec, exec, s[6:7]
	s_nop 0
	v_mfma_f32_16x16x4f32 a[0:3], v10, v14, a[0:3]
	s_movk_i32 s4, 0xff
	v_and_b32_sdwa v11, v16, s4 dst_sel:DWORD dst_unused:UNUSED_PAD src0_sel:WORD_1 src1_sel:DWORD
	s_movk_i32 s4, 0x7f
	v_cmp_lt_i16_e32 vcc, s4, v11
	s_mov_b64 s[4:5], 0
                                        ; implicit-def: $sgpr10
	s_and_saveexec_b64 s[6:7], vcc
	s_xor_b64 s[6:7], exec, s[6:7]
	s_cbranch_execnz .LBB21_3665
; %bb.1617:
	s_or_saveexec_b64 s[6:7], s[6:7]
	v_mov_b32_e32 v10, s10
	s_xor_b64 exec, exec, s[6:7]
	s_cbranch_execnz .LBB21_3668
.LBB21_1618:
	s_or_b64 exec, exec, s[6:7]
	s_and_saveexec_b64 s[6:7], s[4:5]
	s_cbranch_execz .LBB21_1620
.LBB21_1619:
	v_bfe_u32 v10, v16, 16, 3
	v_ffbh_u32_e32 v15, v10
	v_min_u32_e32 v15, 32, v15
	v_lshrrev_b32_e32 v11, 19, v16
	v_subrev_u32_e32 v20, 28, v15
	v_and_b32_e32 v11, 15, v11
	v_lshlrev_b32_sdwa v20, v20, v16 dst_sel:DWORD dst_unused:UNUSED_PAD src0_sel:DWORD src1_sel:WORD_1
	v_bfe_u32 v14, v16, 19, 4
	v_sub_u32_e32 v15, 29, v15
	v_and_b32_e32 v20, 7, v20
	v_cmp_eq_u16_e32 vcc, 0, v11
	v_cndmask_b32_e32 v10, v10, v20, vcc
	v_cndmask_b32_e32 v11, v14, v15, vcc
	v_lshlrev_b32_e32 v14, 8, v16
	v_mov_b32_e32 v15, 0x3b800000
	v_lshlrev_b32_e32 v10, 20, v10
	v_and_b32_e32 v14, 0x80000000, v14
	v_lshl_add_u32 v11, v11, 23, v15
	v_or3_b32 v10, v14, v11, v10
.LBB21_1620:
	s_or_b64 exec, exec, s[6:7]
	s_movk_i32 s4, 0xff
	v_and_b32_sdwa v11, v12, s4 dst_sel:DWORD dst_unused:UNUSED_PAD src0_sel:WORD_1 src1_sel:DWORD
	s_movk_i32 s4, 0x7f
	v_cmp_lt_i16_e32 vcc, s4, v11
	s_mov_b64 s[4:5], 0
                                        ; implicit-def: $sgpr10
	s_and_saveexec_b64 s[6:7], vcc
	s_xor_b64 s[6:7], exec, s[6:7]
	s_cbranch_execnz .LBB21_3669
; %bb.1621:
	s_or_saveexec_b64 s[6:7], s[6:7]
	v_mov_b32_e32 v14, s10
	s_xor_b64 exec, exec, s[6:7]
	s_cbranch_execnz .LBB21_3672
.LBB21_1622:
	s_or_b64 exec, exec, s[6:7]
	s_and_saveexec_b64 s[6:7], s[4:5]
	s_cbranch_execz .LBB21_1624
.LBB21_1623:
	v_bfe_u32 v11, v12, 16, 3
	v_ffbh_u32_e32 v20, v11
	v_min_u32_e32 v20, 32, v20
	v_lshrrev_b32_e32 v14, 19, v12
	v_subrev_u32_e32 v21, 28, v20
	v_and_b32_e32 v14, 15, v14
	v_lshlrev_b32_sdwa v21, v21, v12 dst_sel:DWORD dst_unused:UNUSED_PAD src0_sel:DWORD src1_sel:WORD_1
	v_bfe_u32 v15, v12, 19, 4
	v_sub_u32_e32 v20, 29, v20
	v_and_b32_e32 v21, 7, v21
	v_cmp_eq_u16_e32 vcc, 0, v14
	v_cndmask_b32_e32 v11, v11, v21, vcc
	v_cndmask_b32_e32 v14, v15, v20, vcc
	v_lshlrev_b32_e32 v15, 8, v12
	v_mov_b32_e32 v20, 0x3b800000
	v_lshlrev_b32_e32 v11, 20, v11
	v_and_b32_e32 v15, 0x80000000, v15
	v_lshl_add_u32 v14, v14, 23, v20
	v_or3_b32 v14, v15, v14, v11
.LBB21_1624:
	s_or_b64 exec, exec, s[6:7]
	s_nop 0
	v_mfma_f32_16x16x4f32 a[0:3], v10, v14, a[0:3]
	s_movk_i32 s4, 0x7f
	v_cmp_gt_i16_sdwa s[6:7], v16, s4 src0_sel:BYTE_3 src1_sel:DWORD
	s_mov_b64 s[4:5], 0
                                        ; implicit-def: $sgpr10
	s_and_saveexec_b64 s[8:9], s[6:7]
	s_xor_b64 s[6:7], exec, s[8:9]
	s_cbranch_execnz .LBB21_3673
; %bb.1625:
	s_or_saveexec_b64 s[6:7], s[6:7]
	v_mov_b32_e32 v10, s10
	s_xor_b64 exec, exec, s[6:7]
	s_cbranch_execnz .LBB21_3676
.LBB21_1626:
	s_or_b64 exec, exec, s[6:7]
	s_and_saveexec_b64 s[6:7], s[4:5]
	s_cbranch_execz .LBB21_1628
.LBB21_1627:
	v_bfe_u32 v10, v16, 24, 3
	v_ffbh_u32_e32 v20, v10
	v_min_u32_e32 v20, 32, v20
	v_lshrrev_b32_e32 v14, 27, v16
	v_subrev_u32_e32 v21, 28, v20
	v_and_b32_e32 v11, 0x80000000, v16
	v_and_b32_e32 v14, 15, v14
	v_bfe_u32 v15, v16, 27, 4
	v_lshlrev_b32_sdwa v16, v21, v16 dst_sel:DWORD dst_unused:UNUSED_PAD src0_sel:DWORD src1_sel:BYTE_3
	v_sub_u32_e32 v20, 29, v20
	v_and_b32_e32 v16, 7, v16
	v_cmp_eq_u16_e32 vcc, 0, v14
	v_cndmask_b32_e32 v10, v10, v16, vcc
	v_cndmask_b32_e32 v14, v15, v20, vcc
	v_mov_b32_e32 v15, 0x3b800000
	v_lshlrev_b32_e32 v10, 20, v10
	v_lshl_add_u32 v14, v14, 23, v15
	v_or3_b32 v10, v11, v14, v10
.LBB21_1628:
	s_or_b64 exec, exec, s[6:7]
	s_movk_i32 s4, 0x7f
	v_cmp_gt_i16_sdwa s[6:7], v12, s4 src0_sel:BYTE_3 src1_sel:DWORD
	s_mov_b64 s[4:5], 0
                                        ; implicit-def: $sgpr10
	s_and_saveexec_b64 s[8:9], s[6:7]
	s_xor_b64 s[6:7], exec, s[8:9]
	s_cbranch_execnz .LBB21_3677
; %bb.1629:
	s_or_saveexec_b64 s[6:7], s[6:7]
	v_mov_b32_e32 v11, s10
	s_xor_b64 exec, exec, s[6:7]
	s_cbranch_execnz .LBB21_3680
.LBB21_1630:
	s_or_b64 exec, exec, s[6:7]
	s_and_saveexec_b64 s[6:7], s[4:5]
	s_cbranch_execz .LBB21_1632
.LBB21_1631:
	v_bfe_u32 v11, v12, 24, 3
	v_ffbh_u32_e32 v20, v11
	v_min_u32_e32 v20, 32, v20
	v_lshrrev_b32_e32 v15, 27, v12
	v_subrev_u32_e32 v21, 28, v20
	v_and_b32_e32 v14, 0x80000000, v12
	v_and_b32_e32 v15, 15, v15
	v_bfe_u32 v16, v12, 27, 4
	v_lshlrev_b32_sdwa v12, v21, v12 dst_sel:DWORD dst_unused:UNUSED_PAD src0_sel:DWORD src1_sel:BYTE_3
	v_sub_u32_e32 v20, 29, v20
	v_and_b32_e32 v12, 7, v12
	v_cmp_eq_u16_e32 vcc, 0, v15
	v_cndmask_b32_e32 v11, v11, v12, vcc
	v_cndmask_b32_e32 v12, v16, v20, vcc
	v_mov_b32_e32 v15, 0x3b800000
	v_lshlrev_b32_e32 v11, 20, v11
	v_lshl_add_u32 v12, v12, 23, v15
	v_or3_b32 v11, v14, v12, v11
.LBB21_1632:
	s_or_b64 exec, exec, s[6:7]
	s_nop 0
	v_mfma_f32_16x16x4f32 a[0:3], v10, v11, a[0:3]
	s_movk_i32 s4, 0x7f
	v_cmp_gt_i16_sdwa s[6:7], v17, s4 src0_sel:BYTE_0 src1_sel:DWORD
	s_mov_b64 s[4:5], 0
                                        ; implicit-def: $sgpr10
	s_and_saveexec_b64 s[8:9], s[6:7]
	s_xor_b64 s[6:7], exec, s[8:9]
	s_cbranch_execnz .LBB21_3681
; %bb.1633:
	s_or_saveexec_b64 s[6:7], s[6:7]
	v_mov_b32_e32 v10, s10
	s_xor_b64 exec, exec, s[6:7]
	s_cbranch_execnz .LBB21_3684
.LBB21_1634:
	s_or_b64 exec, exec, s[6:7]
	s_and_saveexec_b64 s[6:7], s[4:5]
	s_cbranch_execz .LBB21_1636
.LBB21_1635:
	v_and_b32_e32 v10, 7, v17
	v_ffbh_u32_e32 v12, v10
	v_min_u32_e32 v12, 32, v12
	v_lshrrev_b16_e32 v11, 3, v17
	v_subrev_u32_e32 v14, 28, v12
	v_and_b32_e32 v11, 15, v11
	v_lshlrev_b32_e32 v14, v14, v17
	v_sub_u32_e32 v12, 29, v12
	v_and_b32_e32 v14, 7, v14
	v_cmp_eq_u16_e32 vcc, 0, v11
	v_cndmask_b32_e32 v10, v10, v14, vcc
	v_cndmask_b32_e32 v11, v11, v12, vcc
	v_lshlrev_b32_e32 v12, 24, v17
	v_mov_b32_e32 v14, 0x3b800000
	v_lshlrev_b32_e32 v10, 20, v10
	v_and_b32_e32 v12, 0x80000000, v12
	v_lshl_add_u32 v11, v11, 23, v14
	v_or3_b32 v10, v12, v11, v10
.LBB21_1636:
	s_or_b64 exec, exec, s[6:7]
	s_movk_i32 s4, 0x7f
	v_cmp_gt_i16_sdwa s[6:7], v13, s4 src0_sel:BYTE_0 src1_sel:DWORD
	s_mov_b64 s[4:5], 0
                                        ; implicit-def: $sgpr10
	s_and_saveexec_b64 s[8:9], s[6:7]
	s_xor_b64 s[6:7], exec, s[8:9]
	s_cbranch_execnz .LBB21_3685
; %bb.1637:
	s_or_saveexec_b64 s[6:7], s[6:7]
	v_mov_b32_e32 v11, s10
	s_xor_b64 exec, exec, s[6:7]
	s_cbranch_execnz .LBB21_3688
.LBB21_1638:
	s_or_b64 exec, exec, s[6:7]
	s_and_saveexec_b64 s[6:7], s[4:5]
	s_cbranch_execz .LBB21_1640
.LBB21_1639:
	v_and_b32_e32 v11, 7, v13
	v_ffbh_u32_e32 v14, v11
	v_min_u32_e32 v14, 32, v14
	v_lshrrev_b16_e32 v12, 3, v13
	v_subrev_u32_e32 v15, 28, v14
	v_and_b32_e32 v12, 15, v12
	v_lshlrev_b32_e32 v15, v15, v13
	v_sub_u32_e32 v14, 29, v14
	v_and_b32_e32 v15, 7, v15
	v_cmp_eq_u16_e32 vcc, 0, v12
	v_cndmask_b32_e32 v11, v11, v15, vcc
	v_cndmask_b32_e32 v12, v12, v14, vcc
	v_lshlrev_b32_e32 v14, 24, v13
	v_mov_b32_e32 v15, 0x3b800000
	v_lshlrev_b32_e32 v11, 20, v11
	v_and_b32_e32 v14, 0x80000000, v14
	v_lshl_add_u32 v12, v12, 23, v15
	v_or3_b32 v11, v14, v12, v11
.LBB21_1640:
	s_or_b64 exec, exec, s[6:7]
	s_nop 0
	v_mfma_f32_16x16x4f32 a[0:3], v10, v11, a[0:3]
	v_lshrrev_b32_e32 v11, 8, v17
	s_movk_i32 s4, 0x7f
	v_cmp_gt_i16_sdwa s[6:7], v11, s4 src0_sel:BYTE_0 src1_sel:DWORD
	s_mov_b64 s[4:5], 0
                                        ; implicit-def: $sgpr10
	s_and_saveexec_b64 s[8:9], s[6:7]
	s_xor_b64 s[6:7], exec, s[8:9]
	s_cbranch_execnz .LBB21_3689
; %bb.1641:
	s_or_saveexec_b64 s[6:7], s[6:7]
	v_mov_b32_e32 v10, s10
	s_xor_b64 exec, exec, s[6:7]
	s_cbranch_execnz .LBB21_3692
.LBB21_1642:
	s_or_b64 exec, exec, s[6:7]
	s_and_saveexec_b64 s[6:7], s[4:5]
	s_cbranch_execz .LBB21_1644
.LBB21_1643:
	v_bfe_u32 v10, v17, 8, 3
	v_ffbh_u32_e32 v14, v10
	v_min_u32_e32 v14, 32, v14
	v_lshrrev_b16_e32 v12, 3, v11
	v_subrev_u32_e32 v15, 28, v14
	v_and_b32_e32 v12, 15, v12
	v_lshlrev_b32_e32 v11, v15, v11
	v_sub_u32_e32 v14, 29, v14
	v_and_b32_e32 v11, 7, v11
	v_cmp_eq_u16_e32 vcc, 0, v12
	v_cndmask_b32_e32 v10, v10, v11, vcc
	v_cndmask_b32_e32 v11, v12, v14, vcc
	v_lshlrev_b32_e32 v12, 16, v17
	v_mov_b32_e32 v14, 0x3b800000
	v_lshlrev_b32_e32 v10, 20, v10
	v_and_b32_e32 v12, 0x80000000, v12
	v_lshl_add_u32 v11, v11, 23, v14
	v_or3_b32 v10, v12, v11, v10
.LBB21_1644:
	s_or_b64 exec, exec, s[6:7]
	v_lshrrev_b32_e32 v11, 8, v13
	s_movk_i32 s4, 0x7f
	v_cmp_gt_i16_sdwa s[6:7], v11, s4 src0_sel:BYTE_0 src1_sel:DWORD
	s_mov_b64 s[4:5], 0
                                        ; implicit-def: $sgpr10
	s_and_saveexec_b64 s[8:9], s[6:7]
	s_xor_b64 s[6:7], exec, s[8:9]
	s_cbranch_execnz .LBB21_3693
; %bb.1645:
	s_or_saveexec_b64 s[6:7], s[6:7]
	v_mov_b32_e32 v12, s10
	s_xor_b64 exec, exec, s[6:7]
	s_cbranch_execnz .LBB21_3696
.LBB21_1646:
	s_or_b64 exec, exec, s[6:7]
	s_and_saveexec_b64 s[6:7], s[4:5]
	s_cbranch_execz .LBB21_1648
.LBB21_1647:
	v_bfe_u32 v12, v13, 8, 3
	v_ffbh_u32_e32 v15, v12
	v_min_u32_e32 v15, 32, v15
	v_lshrrev_b16_e32 v14, 3, v11
	v_subrev_u32_e32 v16, 28, v15
	v_and_b32_e32 v14, 15, v14
	v_lshlrev_b32_e32 v11, v16, v11
	v_sub_u32_e32 v15, 29, v15
	v_and_b32_e32 v11, 7, v11
	v_cmp_eq_u16_e32 vcc, 0, v14
	v_cndmask_b32_e32 v11, v12, v11, vcc
	v_cndmask_b32_e32 v12, v14, v15, vcc
	v_lshlrev_b32_e32 v14, 16, v13
	v_mov_b32_e32 v15, 0x3b800000
	v_lshlrev_b32_e32 v11, 20, v11
	v_and_b32_e32 v14, 0x80000000, v14
	v_lshl_add_u32 v12, v12, 23, v15
	v_or3_b32 v12, v14, v12, v11
.LBB21_1648:
	s_or_b64 exec, exec, s[6:7]
	s_nop 0
	v_mfma_f32_16x16x4f32 a[0:3], v10, v12, a[0:3]
	s_movk_i32 s4, 0xff
	v_and_b32_sdwa v11, v17, s4 dst_sel:DWORD dst_unused:UNUSED_PAD src0_sel:WORD_1 src1_sel:DWORD
	s_movk_i32 s4, 0x7f
	v_cmp_lt_i16_e32 vcc, s4, v11
	s_mov_b64 s[4:5], 0
                                        ; implicit-def: $sgpr10
	s_and_saveexec_b64 s[6:7], vcc
	s_xor_b64 s[6:7], exec, s[6:7]
	s_cbranch_execnz .LBB21_3697
; %bb.1649:
	s_or_saveexec_b64 s[6:7], s[6:7]
	v_mov_b32_e32 v10, s10
	s_xor_b64 exec, exec, s[6:7]
	s_cbranch_execnz .LBB21_3700
.LBB21_1650:
	s_or_b64 exec, exec, s[6:7]
	s_and_saveexec_b64 s[6:7], s[4:5]
	s_cbranch_execz .LBB21_1652
.LBB21_1651:
	v_bfe_u32 v10, v17, 16, 3
	v_ffbh_u32_e32 v14, v10
	v_min_u32_e32 v14, 32, v14
	v_lshrrev_b32_e32 v11, 19, v17
	v_subrev_u32_e32 v15, 28, v14
	v_and_b32_e32 v11, 15, v11
	v_lshlrev_b32_sdwa v15, v15, v17 dst_sel:DWORD dst_unused:UNUSED_PAD src0_sel:DWORD src1_sel:WORD_1
	v_bfe_u32 v12, v17, 19, 4
	v_sub_u32_e32 v14, 29, v14
	v_and_b32_e32 v15, 7, v15
	v_cmp_eq_u16_e32 vcc, 0, v11
	v_cndmask_b32_e32 v10, v10, v15, vcc
	v_cndmask_b32_e32 v11, v12, v14, vcc
	v_lshlrev_b32_e32 v12, 8, v17
	v_mov_b32_e32 v14, 0x3b800000
	v_lshlrev_b32_e32 v10, 20, v10
	v_and_b32_e32 v12, 0x80000000, v12
	v_lshl_add_u32 v11, v11, 23, v14
	v_or3_b32 v10, v12, v11, v10
.LBB21_1652:
	s_or_b64 exec, exec, s[6:7]
	s_movk_i32 s4, 0xff
	v_and_b32_sdwa v11, v13, s4 dst_sel:DWORD dst_unused:UNUSED_PAD src0_sel:WORD_1 src1_sel:DWORD
	s_movk_i32 s4, 0x7f
	v_cmp_lt_i16_e32 vcc, s4, v11
	s_mov_b64 s[4:5], 0
                                        ; implicit-def: $sgpr10
	s_and_saveexec_b64 s[6:7], vcc
	s_xor_b64 s[6:7], exec, s[6:7]
	s_cbranch_execnz .LBB21_3701
; %bb.1653:
	s_or_saveexec_b64 s[6:7], s[6:7]
	v_mov_b32_e32 v12, s10
	s_xor_b64 exec, exec, s[6:7]
	s_cbranch_execnz .LBB21_3704
.LBB21_1654:
	s_or_b64 exec, exec, s[6:7]
	s_and_saveexec_b64 s[6:7], s[4:5]
	s_cbranch_execz .LBB21_1656
.LBB21_1655:
	v_bfe_u32 v11, v13, 16, 3
	v_ffbh_u32_e32 v15, v11
	v_min_u32_e32 v15, 32, v15
	v_lshrrev_b32_e32 v12, 19, v13
	v_subrev_u32_e32 v16, 28, v15
	v_and_b32_e32 v12, 15, v12
	v_lshlrev_b32_sdwa v16, v16, v13 dst_sel:DWORD dst_unused:UNUSED_PAD src0_sel:DWORD src1_sel:WORD_1
	v_bfe_u32 v14, v13, 19, 4
	v_sub_u32_e32 v15, 29, v15
	v_and_b32_e32 v16, 7, v16
	v_cmp_eq_u16_e32 vcc, 0, v12
	v_cndmask_b32_e32 v11, v11, v16, vcc
	v_cndmask_b32_e32 v12, v14, v15, vcc
	v_lshlrev_b32_e32 v14, 8, v13
	v_mov_b32_e32 v15, 0x3b800000
	v_lshlrev_b32_e32 v11, 20, v11
	v_and_b32_e32 v14, 0x80000000, v14
	v_lshl_add_u32 v12, v12, 23, v15
	v_or3_b32 v12, v14, v12, v11
.LBB21_1656:
	s_or_b64 exec, exec, s[6:7]
	s_nop 0
	v_mfma_f32_16x16x4f32 a[0:3], v10, v12, a[0:3]
	s_movk_i32 s4, 0x7f
	v_cmp_gt_i16_sdwa s[6:7], v17, s4 src0_sel:BYTE_3 src1_sel:DWORD
	s_mov_b64 s[4:5], 0
                                        ; implicit-def: $sgpr10
	s_and_saveexec_b64 s[8:9], s[6:7]
	s_xor_b64 s[6:7], exec, s[8:9]
	s_cbranch_execnz .LBB21_3705
; %bb.1657:
	s_or_saveexec_b64 s[6:7], s[6:7]
	v_mov_b32_e32 v10, s10
	s_xor_b64 exec, exec, s[6:7]
	s_cbranch_execnz .LBB21_3708
.LBB21_1658:
	s_or_b64 exec, exec, s[6:7]
	s_and_saveexec_b64 s[6:7], s[4:5]
	s_cbranch_execz .LBB21_1660
.LBB21_1659:
	v_bfe_u32 v10, v17, 24, 3
	v_ffbh_u32_e32 v15, v10
	v_min_u32_e32 v15, 32, v15
	v_lshrrev_b32_e32 v12, 27, v17
	v_subrev_u32_e32 v16, 28, v15
	v_and_b32_e32 v12, 15, v12
	v_lshlrev_b32_sdwa v16, v16, v17 dst_sel:DWORD dst_unused:UNUSED_PAD src0_sel:DWORD src1_sel:BYTE_3
	v_bfe_u32 v14, v17, 27, 4
	v_sub_u32_e32 v15, 29, v15
	v_and_b32_e32 v16, 7, v16
	v_cmp_eq_u16_e32 vcc, 0, v12
	v_cndmask_b32_e32 v10, v10, v16, vcc
	v_cndmask_b32_e32 v12, v14, v15, vcc
	v_mov_b32_e32 v14, 0x3b800000
	v_and_b32_e32 v11, 0x80000000, v17
	v_lshlrev_b32_e32 v10, 20, v10
	v_lshl_add_u32 v12, v12, 23, v14
	v_or3_b32 v10, v11, v12, v10
.LBB21_1660:
	s_or_b64 exec, exec, s[6:7]
	s_movk_i32 s4, 0x7f
	v_cmp_gt_i16_sdwa s[6:7], v13, s4 src0_sel:BYTE_3 src1_sel:DWORD
	s_mov_b64 s[4:5], 0
                                        ; implicit-def: $sgpr10
	s_and_saveexec_b64 s[8:9], s[6:7]
	s_xor_b64 s[6:7], exec, s[8:9]
	s_cbranch_execnz .LBB21_3709
; %bb.1661:
	s_or_saveexec_b64 s[6:7], s[6:7]
	v_mov_b32_e32 v11, s10
	s_xor_b64 exec, exec, s[6:7]
	s_cbranch_execnz .LBB21_3712
.LBB21_1662:
	s_or_b64 exec, exec, s[6:7]
	s_and_saveexec_b64 s[6:7], s[4:5]
	s_cbranch_execz .LBB21_1664
.LBB21_1663:
	v_bfe_u32 v11, v13, 24, 3
	v_ffbh_u32_e32 v16, v11
	v_min_u32_e32 v16, 32, v16
	v_lshrrev_b32_e32 v14, 27, v13
	v_subrev_u32_e32 v17, 28, v16
	v_and_b32_e32 v12, 0x80000000, v13
	v_and_b32_e32 v14, 15, v14
	v_bfe_u32 v15, v13, 27, 4
	v_lshlrev_b32_sdwa v13, v17, v13 dst_sel:DWORD dst_unused:UNUSED_PAD src0_sel:DWORD src1_sel:BYTE_3
	v_sub_u32_e32 v16, 29, v16
	v_and_b32_e32 v13, 7, v13
	v_cmp_eq_u16_e32 vcc, 0, v14
	v_cndmask_b32_e32 v11, v11, v13, vcc
	v_cndmask_b32_e32 v13, v15, v16, vcc
	v_mov_b32_e32 v14, 0x3b800000
	v_lshlrev_b32_e32 v11, 20, v11
	v_lshl_add_u32 v13, v13, 23, v14
	v_or3_b32 v11, v12, v13, v11
.LBB21_1664:
	s_or_b64 exec, exec, s[6:7]
	s_nop 0
	v_mfma_f32_16x16x4f32 a[0:3], v10, v11, a[0:3]
	s_movk_i32 s4, 0x7f
	v_cmp_gt_i16_sdwa s[6:7], v6, s4 src0_sel:BYTE_0 src1_sel:DWORD
	s_mov_b64 s[4:5], 0
                                        ; implicit-def: $sgpr10
	s_and_saveexec_b64 s[8:9], s[6:7]
	s_xor_b64 s[6:7], exec, s[8:9]
	s_cbranch_execnz .LBB21_3713
; %bb.1665:
	s_or_saveexec_b64 s[6:7], s[6:7]
	v_mov_b32_e32 v10, s10
	s_xor_b64 exec, exec, s[6:7]
	s_cbranch_execnz .LBB21_3716
.LBB21_1666:
	s_or_b64 exec, exec, s[6:7]
	s_and_saveexec_b64 s[6:7], s[4:5]
	s_cbranch_execz .LBB21_1668
.LBB21_1667:
	v_and_b32_e32 v10, 7, v6
	v_ffbh_u32_e32 v12, v10
	v_min_u32_e32 v12, 32, v12
	v_lshrrev_b16_e32 v11, 3, v6
	v_subrev_u32_e32 v13, 28, v12
	v_and_b32_e32 v11, 15, v11
	v_lshlrev_b32_e32 v13, v13, v6
	v_sub_u32_e32 v12, 29, v12
	v_and_b32_e32 v13, 7, v13
	v_cmp_eq_u16_e32 vcc, 0, v11
	v_cndmask_b32_e32 v10, v10, v13, vcc
	v_cndmask_b32_e32 v11, v11, v12, vcc
	v_lshlrev_b32_e32 v12, 24, v6
	v_mov_b32_e32 v13, 0x3b800000
	v_lshlrev_b32_e32 v10, 20, v10
	v_and_b32_e32 v12, 0x80000000, v12
	v_lshl_add_u32 v11, v11, 23, v13
	v_or3_b32 v10, v12, v11, v10
.LBB21_1668:
	s_or_b64 exec, exec, s[6:7]
	s_movk_i32 s4, 0x7f
	v_cmp_gt_i16_sdwa s[6:7], v2, s4 src0_sel:BYTE_0 src1_sel:DWORD
	s_mov_b64 s[4:5], 0
                                        ; implicit-def: $sgpr10
	s_and_saveexec_b64 s[8:9], s[6:7]
	s_xor_b64 s[6:7], exec, s[8:9]
	s_cbranch_execnz .LBB21_3717
; %bb.1669:
	s_or_saveexec_b64 s[6:7], s[6:7]
	v_mov_b32_e32 v11, s10
	s_xor_b64 exec, exec, s[6:7]
	s_cbranch_execnz .LBB21_3720
.LBB21_1670:
	s_or_b64 exec, exec, s[6:7]
	s_and_saveexec_b64 s[6:7], s[4:5]
	s_cbranch_execz .LBB21_1672
.LBB21_1671:
	v_and_b32_e32 v11, 7, v2
	v_ffbh_u32_e32 v13, v11
	v_min_u32_e32 v13, 32, v13
	v_lshrrev_b16_e32 v12, 3, v2
	v_subrev_u32_e32 v14, 28, v13
	v_and_b32_e32 v12, 15, v12
	v_lshlrev_b32_e32 v14, v14, v2
	v_sub_u32_e32 v13, 29, v13
	v_and_b32_e32 v14, 7, v14
	v_cmp_eq_u16_e32 vcc, 0, v12
	v_cndmask_b32_e32 v11, v11, v14, vcc
	v_cndmask_b32_e32 v12, v12, v13, vcc
	v_lshlrev_b32_e32 v13, 24, v2
	v_mov_b32_e32 v14, 0x3b800000
	v_lshlrev_b32_e32 v11, 20, v11
	v_and_b32_e32 v13, 0x80000000, v13
	v_lshl_add_u32 v12, v12, 23, v14
	v_or3_b32 v11, v13, v12, v11
.LBB21_1672:
	s_or_b64 exec, exec, s[6:7]
	s_nop 0
	v_mfma_f32_16x16x4f32 a[0:3], v10, v11, a[0:3]
	v_lshrrev_b32_e32 v11, 8, v6
	s_movk_i32 s4, 0x7f
	v_cmp_gt_i16_sdwa s[6:7], v11, s4 src0_sel:BYTE_0 src1_sel:DWORD
	s_mov_b64 s[4:5], 0
                                        ; implicit-def: $sgpr10
	s_and_saveexec_b64 s[8:9], s[6:7]
	s_xor_b64 s[6:7], exec, s[8:9]
	s_cbranch_execnz .LBB21_3721
; %bb.1673:
	s_or_saveexec_b64 s[6:7], s[6:7]
	v_mov_b32_e32 v10, s10
	s_xor_b64 exec, exec, s[6:7]
	s_cbranch_execnz .LBB21_3724
.LBB21_1674:
	s_or_b64 exec, exec, s[6:7]
	s_and_saveexec_b64 s[6:7], s[4:5]
	s_cbranch_execz .LBB21_1676
.LBB21_1675:
	v_bfe_u32 v10, v6, 8, 3
	v_ffbh_u32_e32 v13, v10
	v_min_u32_e32 v13, 32, v13
	v_lshrrev_b16_e32 v12, 3, v11
	v_subrev_u32_e32 v14, 28, v13
	v_and_b32_e32 v12, 15, v12
	v_lshlrev_b32_e32 v11, v14, v11
	v_sub_u32_e32 v13, 29, v13
	v_and_b32_e32 v11, 7, v11
	v_cmp_eq_u16_e32 vcc, 0, v12
	v_cndmask_b32_e32 v10, v10, v11, vcc
	v_cndmask_b32_e32 v11, v12, v13, vcc
	v_lshlrev_b32_e32 v12, 16, v6
	v_mov_b32_e32 v13, 0x3b800000
	v_lshlrev_b32_e32 v10, 20, v10
	v_and_b32_e32 v12, 0x80000000, v12
	v_lshl_add_u32 v11, v11, 23, v13
	v_or3_b32 v10, v12, v11, v10
.LBB21_1676:
	s_or_b64 exec, exec, s[6:7]
	v_lshrrev_b32_e32 v11, 8, v2
	s_movk_i32 s4, 0x7f
	v_cmp_gt_i16_sdwa s[6:7], v11, s4 src0_sel:BYTE_0 src1_sel:DWORD
	s_mov_b64 s[4:5], 0
                                        ; implicit-def: $sgpr10
	s_and_saveexec_b64 s[8:9], s[6:7]
	s_xor_b64 s[6:7], exec, s[8:9]
	s_cbranch_execnz .LBB21_3725
; %bb.1677:
	s_or_saveexec_b64 s[6:7], s[6:7]
	v_mov_b32_e32 v12, s10
	s_xor_b64 exec, exec, s[6:7]
	s_cbranch_execnz .LBB21_3728
.LBB21_1678:
	s_or_b64 exec, exec, s[6:7]
	s_and_saveexec_b64 s[6:7], s[4:5]
	s_cbranch_execz .LBB21_1680
.LBB21_1679:
	v_bfe_u32 v12, v2, 8, 3
	v_ffbh_u32_e32 v14, v12
	v_min_u32_e32 v14, 32, v14
	v_lshrrev_b16_e32 v13, 3, v11
	v_subrev_u32_e32 v15, 28, v14
	v_and_b32_e32 v13, 15, v13
	v_lshlrev_b32_e32 v11, v15, v11
	v_sub_u32_e32 v14, 29, v14
	v_and_b32_e32 v11, 7, v11
	v_cmp_eq_u16_e32 vcc, 0, v13
	v_cndmask_b32_e32 v11, v12, v11, vcc
	v_cndmask_b32_e32 v12, v13, v14, vcc
	v_lshlrev_b32_e32 v13, 16, v2
	v_mov_b32_e32 v14, 0x3b800000
	v_lshlrev_b32_e32 v11, 20, v11
	v_and_b32_e32 v13, 0x80000000, v13
	v_lshl_add_u32 v12, v12, 23, v14
	v_or3_b32 v12, v13, v12, v11
.LBB21_1680:
	s_or_b64 exec, exec, s[6:7]
	s_nop 0
	v_mfma_f32_16x16x4f32 a[0:3], v10, v12, a[0:3]
	s_movk_i32 s4, 0xff
	v_and_b32_sdwa v11, v6, s4 dst_sel:DWORD dst_unused:UNUSED_PAD src0_sel:WORD_1 src1_sel:DWORD
	s_movk_i32 s4, 0x7f
	v_cmp_lt_i16_e32 vcc, s4, v11
	s_mov_b64 s[4:5], 0
                                        ; implicit-def: $sgpr10
	s_and_saveexec_b64 s[6:7], vcc
	s_xor_b64 s[6:7], exec, s[6:7]
	s_cbranch_execnz .LBB21_3729
; %bb.1681:
	s_or_saveexec_b64 s[6:7], s[6:7]
	v_mov_b32_e32 v10, s10
	s_xor_b64 exec, exec, s[6:7]
	s_cbranch_execnz .LBB21_3732
.LBB21_1682:
	s_or_b64 exec, exec, s[6:7]
	s_and_saveexec_b64 s[6:7], s[4:5]
	s_cbranch_execz .LBB21_1684
.LBB21_1683:
	v_bfe_u32 v10, v6, 16, 3
	v_ffbh_u32_e32 v13, v10
	v_min_u32_e32 v13, 32, v13
	v_lshrrev_b32_e32 v11, 19, v6
	v_subrev_u32_e32 v14, 28, v13
	v_and_b32_e32 v11, 15, v11
	v_lshlrev_b32_sdwa v14, v14, v6 dst_sel:DWORD dst_unused:UNUSED_PAD src0_sel:DWORD src1_sel:WORD_1
	v_bfe_u32 v12, v6, 19, 4
	v_sub_u32_e32 v13, 29, v13
	v_and_b32_e32 v14, 7, v14
	v_cmp_eq_u16_e32 vcc, 0, v11
	v_cndmask_b32_e32 v10, v10, v14, vcc
	v_cndmask_b32_e32 v11, v12, v13, vcc
	v_lshlrev_b32_e32 v12, 8, v6
	v_mov_b32_e32 v13, 0x3b800000
	v_lshlrev_b32_e32 v10, 20, v10
	v_and_b32_e32 v12, 0x80000000, v12
	v_lshl_add_u32 v11, v11, 23, v13
	v_or3_b32 v10, v12, v11, v10
.LBB21_1684:
	s_or_b64 exec, exec, s[6:7]
	s_movk_i32 s4, 0xff
	v_and_b32_sdwa v11, v2, s4 dst_sel:DWORD dst_unused:UNUSED_PAD src0_sel:WORD_1 src1_sel:DWORD
	s_movk_i32 s4, 0x7f
	v_cmp_lt_i16_e32 vcc, s4, v11
	s_mov_b64 s[4:5], 0
                                        ; implicit-def: $sgpr10
	s_and_saveexec_b64 s[6:7], vcc
	s_xor_b64 s[6:7], exec, s[6:7]
	s_cbranch_execnz .LBB21_3733
; %bb.1685:
	s_or_saveexec_b64 s[6:7], s[6:7]
	v_mov_b32_e32 v12, s10
	s_xor_b64 exec, exec, s[6:7]
	s_cbranch_execnz .LBB21_3736
.LBB21_1686:
	s_or_b64 exec, exec, s[6:7]
	s_and_saveexec_b64 s[6:7], s[4:5]
	s_cbranch_execz .LBB21_1688
.LBB21_1687:
	v_bfe_u32 v11, v2, 16, 3
	v_ffbh_u32_e32 v14, v11
	v_min_u32_e32 v14, 32, v14
	v_lshrrev_b32_e32 v12, 19, v2
	v_subrev_u32_e32 v15, 28, v14
	v_and_b32_e32 v12, 15, v12
	v_lshlrev_b32_sdwa v15, v15, v2 dst_sel:DWORD dst_unused:UNUSED_PAD src0_sel:DWORD src1_sel:WORD_1
	v_bfe_u32 v13, v2, 19, 4
	v_sub_u32_e32 v14, 29, v14
	v_and_b32_e32 v15, 7, v15
	v_cmp_eq_u16_e32 vcc, 0, v12
	v_cndmask_b32_e32 v11, v11, v15, vcc
	v_cndmask_b32_e32 v12, v13, v14, vcc
	v_lshlrev_b32_e32 v13, 8, v2
	v_mov_b32_e32 v14, 0x3b800000
	v_lshlrev_b32_e32 v11, 20, v11
	v_and_b32_e32 v13, 0x80000000, v13
	v_lshl_add_u32 v12, v12, 23, v14
	v_or3_b32 v12, v13, v12, v11
.LBB21_1688:
	s_or_b64 exec, exec, s[6:7]
	s_nop 0
	v_mfma_f32_16x16x4f32 a[0:3], v10, v12, a[0:3]
	s_movk_i32 s4, 0x7f
	v_cmp_gt_i16_sdwa s[6:7], v6, s4 src0_sel:BYTE_3 src1_sel:DWORD
	s_mov_b64 s[4:5], 0
                                        ; implicit-def: $sgpr10
	s_and_saveexec_b64 s[8:9], s[6:7]
	s_xor_b64 s[6:7], exec, s[8:9]
	s_cbranch_execnz .LBB21_3737
; %bb.1689:
	s_or_saveexec_b64 s[6:7], s[6:7]
	v_mov_b32_e32 v10, s10
	s_xor_b64 exec, exec, s[6:7]
	s_cbranch_execnz .LBB21_3740
.LBB21_1690:
	s_or_b64 exec, exec, s[6:7]
	s_and_saveexec_b64 s[6:7], s[4:5]
	s_cbranch_execz .LBB21_1692
.LBB21_1691:
	v_bfe_u32 v10, v6, 24, 3
	v_ffbh_u32_e32 v14, v10
	v_min_u32_e32 v14, 32, v14
	v_lshrrev_b32_e32 v12, 27, v6
	v_subrev_u32_e32 v15, 28, v14
	v_and_b32_e32 v11, 0x80000000, v6
	v_and_b32_e32 v12, 15, v12
	v_bfe_u32 v13, v6, 27, 4
	v_lshlrev_b32_sdwa v6, v15, v6 dst_sel:DWORD dst_unused:UNUSED_PAD src0_sel:DWORD src1_sel:BYTE_3
	v_sub_u32_e32 v14, 29, v14
	v_and_b32_e32 v6, 7, v6
	v_cmp_eq_u16_e32 vcc, 0, v12
	v_cndmask_b32_e32 v6, v10, v6, vcc
	v_cndmask_b32_e32 v10, v13, v14, vcc
	v_mov_b32_e32 v12, 0x3b800000
	v_lshlrev_b32_e32 v6, 20, v6
	v_lshl_add_u32 v10, v10, 23, v12
	v_or3_b32 v10, v11, v10, v6
.LBB21_1692:
	s_or_b64 exec, exec, s[6:7]
	s_movk_i32 s4, 0x7f
	v_cmp_gt_i16_sdwa s[6:7], v2, s4 src0_sel:BYTE_3 src1_sel:DWORD
	s_mov_b64 s[4:5], 0
                                        ; implicit-def: $sgpr10
	s_and_saveexec_b64 s[8:9], s[6:7]
	s_xor_b64 s[6:7], exec, s[8:9]
	s_cbranch_execnz .LBB21_3741
; %bb.1693:
	s_or_saveexec_b64 s[6:7], s[6:7]
	v_mov_b32_e32 v6, s10
	s_xor_b64 exec, exec, s[6:7]
	s_cbranch_execnz .LBB21_3744
.LBB21_1694:
	s_or_b64 exec, exec, s[6:7]
	s_and_saveexec_b64 s[6:7], s[4:5]
	s_cbranch_execz .LBB21_1696
.LBB21_1695:
	v_bfe_u32 v6, v2, 24, 3
	v_ffbh_u32_e32 v14, v6
	v_min_u32_e32 v14, 32, v14
	v_lshrrev_b32_e32 v12, 27, v2
	v_subrev_u32_e32 v15, 28, v14
	v_and_b32_e32 v11, 0x80000000, v2
	v_and_b32_e32 v12, 15, v12
	v_bfe_u32 v13, v2, 27, 4
	v_lshlrev_b32_sdwa v2, v15, v2 dst_sel:DWORD dst_unused:UNUSED_PAD src0_sel:DWORD src1_sel:BYTE_3
	v_sub_u32_e32 v14, 29, v14
	v_and_b32_e32 v2, 7, v2
	v_cmp_eq_u16_e32 vcc, 0, v12
	v_cndmask_b32_e32 v2, v6, v2, vcc
	v_cndmask_b32_e32 v6, v13, v14, vcc
	v_mov_b32_e32 v12, 0x3b800000
	v_lshlrev_b32_e32 v2, 20, v2
	v_lshl_add_u32 v6, v6, 23, v12
	v_or3_b32 v6, v11, v6, v2
.LBB21_1696:
	s_or_b64 exec, exec, s[6:7]
	s_nop 0
	v_mfma_f32_16x16x4f32 a[0:3], v10, v6, a[0:3]
	s_movk_i32 s4, 0x7f
	v_cmp_gt_i16_sdwa s[6:7], v7, s4 src0_sel:BYTE_0 src1_sel:DWORD
	s_mov_b64 s[4:5], 0
                                        ; implicit-def: $sgpr10
	s_and_saveexec_b64 s[8:9], s[6:7]
	s_xor_b64 s[6:7], exec, s[8:9]
	s_cbranch_execnz .LBB21_3745
; %bb.1697:
	s_or_saveexec_b64 s[6:7], s[6:7]
	v_mov_b32_e32 v2, s10
	s_xor_b64 exec, exec, s[6:7]
	s_cbranch_execnz .LBB21_3748
.LBB21_1698:
	s_or_b64 exec, exec, s[6:7]
	s_and_saveexec_b64 s[6:7], s[4:5]
	s_cbranch_execz .LBB21_1700
.LBB21_1699:
	v_and_b32_e32 v2, 7, v7
	v_ffbh_u32_e32 v10, v2
	v_min_u32_e32 v10, 32, v10
	v_lshrrev_b16_e32 v6, 3, v7
	v_subrev_u32_e32 v11, 28, v10
	v_and_b32_e32 v6, 15, v6
	v_lshlrev_b32_e32 v11, v11, v7
	v_sub_u32_e32 v10, 29, v10
	v_and_b32_e32 v11, 7, v11
	v_cmp_eq_u16_e32 vcc, 0, v6
	v_cndmask_b32_e32 v2, v2, v11, vcc
	v_cndmask_b32_e32 v6, v6, v10, vcc
	v_lshlrev_b32_e32 v10, 24, v7
	v_mov_b32_e32 v11, 0x3b800000
	v_lshlrev_b32_e32 v2, 20, v2
	v_and_b32_e32 v10, 0x80000000, v10
	v_lshl_add_u32 v6, v6, 23, v11
	v_or3_b32 v2, v10, v6, v2
.LBB21_1700:
	s_or_b64 exec, exec, s[6:7]
	s_movk_i32 s4, 0x7f
	v_cmp_gt_i16_sdwa s[6:7], v3, s4 src0_sel:BYTE_0 src1_sel:DWORD
	s_mov_b64 s[4:5], 0
                                        ; implicit-def: $sgpr10
	s_and_saveexec_b64 s[8:9], s[6:7]
	s_xor_b64 s[6:7], exec, s[8:9]
	s_cbranch_execnz .LBB21_3749
; %bb.1701:
	s_or_saveexec_b64 s[6:7], s[6:7]
	v_mov_b32_e32 v6, s10
	s_xor_b64 exec, exec, s[6:7]
	s_cbranch_execnz .LBB21_3752
.LBB21_1702:
	s_or_b64 exec, exec, s[6:7]
	s_and_saveexec_b64 s[6:7], s[4:5]
	s_cbranch_execz .LBB21_1704
.LBB21_1703:
	v_and_b32_e32 v6, 7, v3
	v_ffbh_u32_e32 v11, v6
	v_min_u32_e32 v11, 32, v11
	v_lshrrev_b16_e32 v10, 3, v3
	v_subrev_u32_e32 v12, 28, v11
	v_and_b32_e32 v10, 15, v10
	v_lshlrev_b32_e32 v12, v12, v3
	v_sub_u32_e32 v11, 29, v11
	v_and_b32_e32 v12, 7, v12
	v_cmp_eq_u16_e32 vcc, 0, v10
	v_cndmask_b32_e32 v6, v6, v12, vcc
	v_cndmask_b32_e32 v10, v10, v11, vcc
	v_lshlrev_b32_e32 v11, 24, v3
	v_mov_b32_e32 v12, 0x3b800000
	v_lshlrev_b32_e32 v6, 20, v6
	v_and_b32_e32 v11, 0x80000000, v11
	v_lshl_add_u32 v10, v10, 23, v12
	v_or3_b32 v6, v11, v10, v6
.LBB21_1704:
	s_or_b64 exec, exec, s[6:7]
	s_nop 0
	v_mfma_f32_16x16x4f32 a[0:3], v2, v6, a[0:3]
	v_lshrrev_b32_e32 v6, 8, v7
	s_movk_i32 s4, 0x7f
	v_cmp_gt_i16_sdwa s[6:7], v6, s4 src0_sel:BYTE_0 src1_sel:DWORD
	s_mov_b64 s[4:5], 0
                                        ; implicit-def: $sgpr10
	s_and_saveexec_b64 s[8:9], s[6:7]
	s_xor_b64 s[6:7], exec, s[8:9]
	s_cbranch_execnz .LBB21_3753
; %bb.1705:
	s_or_saveexec_b64 s[6:7], s[6:7]
	v_mov_b32_e32 v2, s10
	s_xor_b64 exec, exec, s[6:7]
	s_cbranch_execnz .LBB21_3756
.LBB21_1706:
	s_or_b64 exec, exec, s[6:7]
	s_and_saveexec_b64 s[6:7], s[4:5]
	s_cbranch_execz .LBB21_1708
.LBB21_1707:
	v_bfe_u32 v2, v7, 8, 3
	v_ffbh_u32_e32 v11, v2
	v_min_u32_e32 v11, 32, v11
	v_lshrrev_b16_e32 v10, 3, v6
	v_subrev_u32_e32 v12, 28, v11
	v_and_b32_e32 v10, 15, v10
	v_lshlrev_b32_e32 v6, v12, v6
	v_sub_u32_e32 v11, 29, v11
	v_and_b32_e32 v6, 7, v6
	v_cmp_eq_u16_e32 vcc, 0, v10
	v_cndmask_b32_e32 v2, v2, v6, vcc
	v_cndmask_b32_e32 v6, v10, v11, vcc
	v_lshlrev_b32_e32 v10, 16, v7
	v_mov_b32_e32 v11, 0x3b800000
	v_lshlrev_b32_e32 v2, 20, v2
	v_and_b32_e32 v10, 0x80000000, v10
	v_lshl_add_u32 v6, v6, 23, v11
	v_or3_b32 v2, v10, v6, v2
.LBB21_1708:
	s_or_b64 exec, exec, s[6:7]
	v_lshrrev_b32_e32 v6, 8, v3
	s_movk_i32 s4, 0x7f
	v_cmp_gt_i16_sdwa s[6:7], v6, s4 src0_sel:BYTE_0 src1_sel:DWORD
	s_mov_b64 s[4:5], 0
                                        ; implicit-def: $sgpr10
	s_and_saveexec_b64 s[8:9], s[6:7]
	s_xor_b64 s[6:7], exec, s[8:9]
	s_cbranch_execnz .LBB21_3757
; %bb.1709:
	s_or_saveexec_b64 s[6:7], s[6:7]
	v_mov_b32_e32 v10, s10
	s_xor_b64 exec, exec, s[6:7]
	s_cbranch_execnz .LBB21_3760
.LBB21_1710:
	s_or_b64 exec, exec, s[6:7]
	s_and_saveexec_b64 s[6:7], s[4:5]
	s_cbranch_execz .LBB21_1712
.LBB21_1711:
	v_bfe_u32 v10, v3, 8, 3
	v_ffbh_u32_e32 v12, v10
	v_min_u32_e32 v12, 32, v12
	v_lshrrev_b16_e32 v11, 3, v6
	v_subrev_u32_e32 v13, 28, v12
	v_and_b32_e32 v11, 15, v11
	v_lshlrev_b32_e32 v6, v13, v6
	v_sub_u32_e32 v12, 29, v12
	v_and_b32_e32 v6, 7, v6
	v_cmp_eq_u16_e32 vcc, 0, v11
	v_cndmask_b32_e32 v6, v10, v6, vcc
	v_cndmask_b32_e32 v10, v11, v12, vcc
	v_lshlrev_b32_e32 v11, 16, v3
	v_mov_b32_e32 v12, 0x3b800000
	v_lshlrev_b32_e32 v6, 20, v6
	v_and_b32_e32 v11, 0x80000000, v11
	v_lshl_add_u32 v10, v10, 23, v12
	v_or3_b32 v10, v11, v10, v6
.LBB21_1712:
	s_or_b64 exec, exec, s[6:7]
	s_nop 0
	v_mfma_f32_16x16x4f32 a[0:3], v2, v10, a[0:3]
	s_movk_i32 s4, 0xff
	v_and_b32_sdwa v6, v7, s4 dst_sel:DWORD dst_unused:UNUSED_PAD src0_sel:WORD_1 src1_sel:DWORD
	s_movk_i32 s4, 0x7f
	v_cmp_lt_i16_e32 vcc, s4, v6
	s_mov_b64 s[4:5], 0
                                        ; implicit-def: $sgpr10
	s_and_saveexec_b64 s[6:7], vcc
	s_xor_b64 s[6:7], exec, s[6:7]
	s_cbranch_execnz .LBB21_3761
; %bb.1713:
	s_or_saveexec_b64 s[6:7], s[6:7]
	v_mov_b32_e32 v2, s10
	s_xor_b64 exec, exec, s[6:7]
	s_cbranch_execnz .LBB21_3764
.LBB21_1714:
	s_or_b64 exec, exec, s[6:7]
	s_and_saveexec_b64 s[6:7], s[4:5]
	s_cbranch_execz .LBB21_1716
.LBB21_1715:
	v_bfe_u32 v2, v7, 16, 3
	v_ffbh_u32_e32 v11, v2
	v_min_u32_e32 v11, 32, v11
	v_lshrrev_b32_e32 v6, 19, v7
	v_subrev_u32_e32 v12, 28, v11
	v_and_b32_e32 v6, 15, v6
	v_lshlrev_b32_sdwa v12, v12, v7 dst_sel:DWORD dst_unused:UNUSED_PAD src0_sel:DWORD src1_sel:WORD_1
	v_bfe_u32 v10, v7, 19, 4
	v_sub_u32_e32 v11, 29, v11
	v_and_b32_e32 v12, 7, v12
	v_cmp_eq_u16_e32 vcc, 0, v6
	v_cndmask_b32_e32 v2, v2, v12, vcc
	v_cndmask_b32_e32 v6, v10, v11, vcc
	v_lshlrev_b32_e32 v10, 8, v7
	v_mov_b32_e32 v11, 0x3b800000
	v_lshlrev_b32_e32 v2, 20, v2
	v_and_b32_e32 v10, 0x80000000, v10
	v_lshl_add_u32 v6, v6, 23, v11
	v_or3_b32 v2, v10, v6, v2
.LBB21_1716:
	s_or_b64 exec, exec, s[6:7]
	s_movk_i32 s4, 0xff
	v_and_b32_sdwa v6, v3, s4 dst_sel:DWORD dst_unused:UNUSED_PAD src0_sel:WORD_1 src1_sel:DWORD
	s_movk_i32 s4, 0x7f
	v_cmp_lt_i16_e32 vcc, s4, v6
	s_mov_b64 s[4:5], 0
                                        ; implicit-def: $sgpr10
	s_and_saveexec_b64 s[6:7], vcc
	s_xor_b64 s[6:7], exec, s[6:7]
	s_cbranch_execnz .LBB21_3765
; %bb.1717:
	s_or_saveexec_b64 s[6:7], s[6:7]
	v_mov_b32_e32 v10, s10
	s_xor_b64 exec, exec, s[6:7]
	s_cbranch_execnz .LBB21_3768
.LBB21_1718:
	s_or_b64 exec, exec, s[6:7]
	s_and_saveexec_b64 s[6:7], s[4:5]
	s_cbranch_execz .LBB21_1720
.LBB21_1719:
	v_bfe_u32 v6, v3, 16, 3
	v_ffbh_u32_e32 v12, v6
	v_min_u32_e32 v12, 32, v12
	v_lshrrev_b32_e32 v10, 19, v3
	v_subrev_u32_e32 v13, 28, v12
	v_and_b32_e32 v10, 15, v10
	v_lshlrev_b32_sdwa v13, v13, v3 dst_sel:DWORD dst_unused:UNUSED_PAD src0_sel:DWORD src1_sel:WORD_1
	v_bfe_u32 v11, v3, 19, 4
	v_sub_u32_e32 v12, 29, v12
	v_and_b32_e32 v13, 7, v13
	v_cmp_eq_u16_e32 vcc, 0, v10
	v_cndmask_b32_e32 v6, v6, v13, vcc
	v_cndmask_b32_e32 v10, v11, v12, vcc
	v_lshlrev_b32_e32 v11, 8, v3
	v_mov_b32_e32 v12, 0x3b800000
	v_lshlrev_b32_e32 v6, 20, v6
	v_and_b32_e32 v11, 0x80000000, v11
	v_lshl_add_u32 v10, v10, 23, v12
	v_or3_b32 v10, v11, v10, v6
.LBB21_1720:
	s_or_b64 exec, exec, s[6:7]
	s_nop 0
	v_mfma_f32_16x16x4f32 a[0:3], v2, v10, a[0:3]
	s_movk_i32 s4, 0x7f
	v_cmp_gt_i16_sdwa s[6:7], v7, s4 src0_sel:BYTE_3 src1_sel:DWORD
	s_mov_b64 s[4:5], 0
                                        ; implicit-def: $sgpr10
	s_and_saveexec_b64 s[8:9], s[6:7]
	s_xor_b64 s[6:7], exec, s[8:9]
	s_cbranch_execnz .LBB21_3769
; %bb.1721:
	s_or_saveexec_b64 s[6:7], s[6:7]
	v_mov_b32_e32 v2, s10
	s_xor_b64 exec, exec, s[6:7]
	s_cbranch_execnz .LBB21_3772
.LBB21_1722:
	s_or_b64 exec, exec, s[6:7]
	s_and_saveexec_b64 s[6:7], s[4:5]
	s_cbranch_execz .LBB21_1724
.LBB21_1723:
	v_bfe_u32 v2, v7, 24, 3
	v_ffbh_u32_e32 v12, v2
	v_min_u32_e32 v12, 32, v12
	v_lshrrev_b32_e32 v10, 27, v7
	v_subrev_u32_e32 v13, 28, v12
	v_and_b32_e32 v6, 0x80000000, v7
	v_and_b32_e32 v10, 15, v10
	v_bfe_u32 v11, v7, 27, 4
	v_lshlrev_b32_sdwa v7, v13, v7 dst_sel:DWORD dst_unused:UNUSED_PAD src0_sel:DWORD src1_sel:BYTE_3
	v_sub_u32_e32 v12, 29, v12
	v_and_b32_e32 v7, 7, v7
	v_cmp_eq_u16_e32 vcc, 0, v10
	v_cndmask_b32_e32 v2, v2, v7, vcc
	v_cndmask_b32_e32 v7, v11, v12, vcc
	v_mov_b32_e32 v10, 0x3b800000
	v_lshlrev_b32_e32 v2, 20, v2
	v_lshl_add_u32 v7, v7, 23, v10
	v_or3_b32 v2, v6, v7, v2
.LBB21_1724:
	s_or_b64 exec, exec, s[6:7]
	s_movk_i32 s4, 0x7f
	v_cmp_gt_i16_sdwa s[6:7], v3, s4 src0_sel:BYTE_3 src1_sel:DWORD
	s_mov_b64 s[4:5], 0
                                        ; implicit-def: $sgpr10
	s_and_saveexec_b64 s[8:9], s[6:7]
	s_xor_b64 s[6:7], exec, s[8:9]
	s_cbranch_execnz .LBB21_3773
; %bb.1725:
	s_or_saveexec_b64 s[6:7], s[6:7]
	v_mov_b32_e32 v6, s10
	s_xor_b64 exec, exec, s[6:7]
	s_cbranch_execnz .LBB21_3776
.LBB21_1726:
	s_or_b64 exec, exec, s[6:7]
	s_and_saveexec_b64 s[6:7], s[4:5]
	s_cbranch_execz .LBB21_1728
.LBB21_1727:
	v_bfe_u32 v6, v3, 24, 3
	v_ffbh_u32_e32 v12, v6
	v_min_u32_e32 v12, 32, v12
	v_lshrrev_b32_e32 v10, 27, v3
	v_subrev_u32_e32 v13, 28, v12
	v_and_b32_e32 v7, 0x80000000, v3
	v_and_b32_e32 v10, 15, v10
	v_bfe_u32 v11, v3, 27, 4
	v_lshlrev_b32_sdwa v3, v13, v3 dst_sel:DWORD dst_unused:UNUSED_PAD src0_sel:DWORD src1_sel:BYTE_3
	v_sub_u32_e32 v12, 29, v12
	v_and_b32_e32 v3, 7, v3
	v_cmp_eq_u16_e32 vcc, 0, v10
	v_cndmask_b32_e32 v3, v6, v3, vcc
	v_cndmask_b32_e32 v6, v11, v12, vcc
	v_mov_b32_e32 v10, 0x3b800000
	v_lshlrev_b32_e32 v3, 20, v3
	v_lshl_add_u32 v6, v6, 23, v10
	v_or3_b32 v6, v7, v6, v3
.LBB21_1728:
	s_or_b64 exec, exec, s[6:7]
	s_nop 0
	v_mfma_f32_16x16x4f32 a[0:3], v2, v6, a[0:3]
	s_movk_i32 s4, 0x7f
	v_cmp_gt_i16_sdwa s[6:7], v8, s4 src0_sel:BYTE_0 src1_sel:DWORD
	s_mov_b64 s[4:5], 0
                                        ; implicit-def: $sgpr10
	s_and_saveexec_b64 s[8:9], s[6:7]
	s_xor_b64 s[6:7], exec, s[8:9]
	s_cbranch_execnz .LBB21_3777
; %bb.1729:
	s_or_saveexec_b64 s[6:7], s[6:7]
	v_mov_b32_e32 v2, s10
	s_xor_b64 exec, exec, s[6:7]
	s_cbranch_execnz .LBB21_3780
.LBB21_1730:
	s_or_b64 exec, exec, s[6:7]
	s_and_saveexec_b64 s[6:7], s[4:5]
	s_cbranch_execz .LBB21_1732
.LBB21_1731:
	v_and_b32_e32 v2, 7, v8
	v_ffbh_u32_e32 v6, v2
	v_min_u32_e32 v6, 32, v6
	v_lshrrev_b16_e32 v3, 3, v8
	v_subrev_u32_e32 v7, 28, v6
	v_and_b32_e32 v3, 15, v3
	v_lshlrev_b32_e32 v7, v7, v8
	v_sub_u32_e32 v6, 29, v6
	v_and_b32_e32 v7, 7, v7
	v_cmp_eq_u16_e32 vcc, 0, v3
	v_cndmask_b32_e32 v2, v2, v7, vcc
	v_cndmask_b32_e32 v3, v3, v6, vcc
	v_lshlrev_b32_e32 v6, 24, v8
	v_mov_b32_e32 v7, 0x3b800000
	v_lshlrev_b32_e32 v2, 20, v2
	v_and_b32_e32 v6, 0x80000000, v6
	v_lshl_add_u32 v3, v3, 23, v7
	v_or3_b32 v2, v6, v3, v2
.LBB21_1732:
	s_or_b64 exec, exec, s[6:7]
	s_movk_i32 s4, 0x7f
	v_cmp_gt_i16_sdwa s[6:7], v4, s4 src0_sel:BYTE_0 src1_sel:DWORD
	s_mov_b64 s[4:5], 0
                                        ; implicit-def: $sgpr10
	s_and_saveexec_b64 s[8:9], s[6:7]
	s_xor_b64 s[6:7], exec, s[8:9]
	s_cbranch_execnz .LBB21_3781
; %bb.1733:
	s_or_saveexec_b64 s[6:7], s[6:7]
	v_mov_b32_e32 v3, s10
	s_xor_b64 exec, exec, s[6:7]
	s_cbranch_execnz .LBB21_3784
.LBB21_1734:
	s_or_b64 exec, exec, s[6:7]
	s_and_saveexec_b64 s[6:7], s[4:5]
	s_cbranch_execz .LBB21_1736
.LBB21_1735:
	v_and_b32_e32 v3, 7, v4
	v_ffbh_u32_e32 v7, v3
	v_min_u32_e32 v7, 32, v7
	v_lshrrev_b16_e32 v6, 3, v4
	v_subrev_u32_e32 v10, 28, v7
	v_and_b32_e32 v6, 15, v6
	v_lshlrev_b32_e32 v10, v10, v4
	v_sub_u32_e32 v7, 29, v7
	v_and_b32_e32 v10, 7, v10
	v_cmp_eq_u16_e32 vcc, 0, v6
	v_cndmask_b32_e32 v3, v3, v10, vcc
	v_cndmask_b32_e32 v6, v6, v7, vcc
	v_lshlrev_b32_e32 v7, 24, v4
	v_mov_b32_e32 v10, 0x3b800000
	v_lshlrev_b32_e32 v3, 20, v3
	v_and_b32_e32 v7, 0x80000000, v7
	v_lshl_add_u32 v6, v6, 23, v10
	v_or3_b32 v3, v7, v6, v3
.LBB21_1736:
	s_or_b64 exec, exec, s[6:7]
	s_nop 0
	v_mfma_f32_16x16x4f32 a[0:3], v2, v3, a[0:3]
	v_lshrrev_b32_e32 v3, 8, v8
	s_movk_i32 s4, 0x7f
	v_cmp_gt_i16_sdwa s[6:7], v3, s4 src0_sel:BYTE_0 src1_sel:DWORD
	s_mov_b64 s[4:5], 0
                                        ; implicit-def: $sgpr10
	s_and_saveexec_b64 s[8:9], s[6:7]
	s_xor_b64 s[6:7], exec, s[8:9]
	s_cbranch_execnz .LBB21_3785
; %bb.1737:
	s_or_saveexec_b64 s[6:7], s[6:7]
	v_mov_b32_e32 v2, s10
	s_xor_b64 exec, exec, s[6:7]
	s_cbranch_execnz .LBB21_3788
.LBB21_1738:
	s_or_b64 exec, exec, s[6:7]
	s_and_saveexec_b64 s[6:7], s[4:5]
	s_cbranch_execz .LBB21_1740
.LBB21_1739:
	v_bfe_u32 v2, v8, 8, 3
	v_ffbh_u32_e32 v7, v2
	v_min_u32_e32 v7, 32, v7
	v_lshrrev_b16_e32 v6, 3, v3
	v_subrev_u32_e32 v10, 28, v7
	v_and_b32_e32 v6, 15, v6
	v_lshlrev_b32_e32 v3, v10, v3
	v_sub_u32_e32 v7, 29, v7
	v_and_b32_e32 v3, 7, v3
	v_cmp_eq_u16_e32 vcc, 0, v6
	v_cndmask_b32_e32 v2, v2, v3, vcc
	v_cndmask_b32_e32 v3, v6, v7, vcc
	v_lshlrev_b32_e32 v6, 16, v8
	v_mov_b32_e32 v7, 0x3b800000
	v_lshlrev_b32_e32 v2, 20, v2
	v_and_b32_e32 v6, 0x80000000, v6
	v_lshl_add_u32 v3, v3, 23, v7
	v_or3_b32 v2, v6, v3, v2
.LBB21_1740:
	s_or_b64 exec, exec, s[6:7]
	v_lshrrev_b32_e32 v3, 8, v4
	s_movk_i32 s4, 0x7f
	v_cmp_gt_i16_sdwa s[6:7], v3, s4 src0_sel:BYTE_0 src1_sel:DWORD
	s_mov_b64 s[4:5], 0
                                        ; implicit-def: $sgpr10
	s_and_saveexec_b64 s[8:9], s[6:7]
	s_xor_b64 s[6:7], exec, s[8:9]
	s_cbranch_execnz .LBB21_3789
; %bb.1741:
	s_or_saveexec_b64 s[6:7], s[6:7]
	v_mov_b32_e32 v6, s10
	s_xor_b64 exec, exec, s[6:7]
	s_cbranch_execnz .LBB21_3792
.LBB21_1742:
	s_or_b64 exec, exec, s[6:7]
	s_and_saveexec_b64 s[6:7], s[4:5]
	s_cbranch_execz .LBB21_1744
.LBB21_1743:
	v_bfe_u32 v6, v4, 8, 3
	v_ffbh_u32_e32 v10, v6
	v_min_u32_e32 v10, 32, v10
	v_lshrrev_b16_e32 v7, 3, v3
	v_subrev_u32_e32 v11, 28, v10
	v_and_b32_e32 v7, 15, v7
	v_lshlrev_b32_e32 v3, v11, v3
	v_sub_u32_e32 v10, 29, v10
	v_and_b32_e32 v3, 7, v3
	v_cmp_eq_u16_e32 vcc, 0, v7
	v_cndmask_b32_e32 v3, v6, v3, vcc
	v_cndmask_b32_e32 v6, v7, v10, vcc
	v_lshlrev_b32_e32 v7, 16, v4
	v_mov_b32_e32 v10, 0x3b800000
	v_lshlrev_b32_e32 v3, 20, v3
	v_and_b32_e32 v7, 0x80000000, v7
	v_lshl_add_u32 v6, v6, 23, v10
	v_or3_b32 v6, v7, v6, v3
.LBB21_1744:
	s_or_b64 exec, exec, s[6:7]
	s_nop 0
	v_mfma_f32_16x16x4f32 a[0:3], v2, v6, a[0:3]
	s_movk_i32 s4, 0xff
	v_and_b32_sdwa v3, v8, s4 dst_sel:DWORD dst_unused:UNUSED_PAD src0_sel:WORD_1 src1_sel:DWORD
	s_movk_i32 s4, 0x7f
	v_cmp_lt_i16_e32 vcc, s4, v3
	s_mov_b64 s[4:5], 0
                                        ; implicit-def: $sgpr10
	s_and_saveexec_b64 s[6:7], vcc
	s_xor_b64 s[6:7], exec, s[6:7]
	s_cbranch_execnz .LBB21_3793
; %bb.1745:
	s_or_saveexec_b64 s[6:7], s[6:7]
	v_mov_b32_e32 v2, s10
	s_xor_b64 exec, exec, s[6:7]
	s_cbranch_execnz .LBB21_3796
.LBB21_1746:
	s_or_b64 exec, exec, s[6:7]
	s_and_saveexec_b64 s[6:7], s[4:5]
	s_cbranch_execz .LBB21_1748
.LBB21_1747:
	v_bfe_u32 v2, v8, 16, 3
	v_ffbh_u32_e32 v7, v2
	v_min_u32_e32 v7, 32, v7
	v_lshrrev_b32_e32 v3, 19, v8
	v_subrev_u32_e32 v10, 28, v7
	v_and_b32_e32 v3, 15, v3
	v_lshlrev_b32_sdwa v10, v10, v8 dst_sel:DWORD dst_unused:UNUSED_PAD src0_sel:DWORD src1_sel:WORD_1
	v_bfe_u32 v6, v8, 19, 4
	v_sub_u32_e32 v7, 29, v7
	v_and_b32_e32 v10, 7, v10
	v_cmp_eq_u16_e32 vcc, 0, v3
	v_cndmask_b32_e32 v2, v2, v10, vcc
	v_cndmask_b32_e32 v3, v6, v7, vcc
	v_lshlrev_b32_e32 v6, 8, v8
	v_mov_b32_e32 v7, 0x3b800000
	v_lshlrev_b32_e32 v2, 20, v2
	v_and_b32_e32 v6, 0x80000000, v6
	v_lshl_add_u32 v3, v3, 23, v7
	v_or3_b32 v2, v6, v3, v2
.LBB21_1748:
	s_or_b64 exec, exec, s[6:7]
	s_movk_i32 s4, 0xff
	v_and_b32_sdwa v3, v4, s4 dst_sel:DWORD dst_unused:UNUSED_PAD src0_sel:WORD_1 src1_sel:DWORD
	s_movk_i32 s4, 0x7f
	v_cmp_lt_i16_e32 vcc, s4, v3
	s_mov_b64 s[4:5], 0
                                        ; implicit-def: $sgpr10
	s_and_saveexec_b64 s[6:7], vcc
	s_xor_b64 s[6:7], exec, s[6:7]
	s_cbranch_execnz .LBB21_3797
; %bb.1749:
	s_or_saveexec_b64 s[6:7], s[6:7]
	v_mov_b32_e32 v6, s10
	s_xor_b64 exec, exec, s[6:7]
	s_cbranch_execnz .LBB21_3800
.LBB21_1750:
	s_or_b64 exec, exec, s[6:7]
	s_and_saveexec_b64 s[6:7], s[4:5]
	s_cbranch_execz .LBB21_1752
.LBB21_1751:
	v_bfe_u32 v3, v4, 16, 3
	v_ffbh_u32_e32 v10, v3
	v_min_u32_e32 v10, 32, v10
	v_lshrrev_b32_e32 v6, 19, v4
	v_subrev_u32_e32 v11, 28, v10
	v_and_b32_e32 v6, 15, v6
	v_lshlrev_b32_sdwa v11, v11, v4 dst_sel:DWORD dst_unused:UNUSED_PAD src0_sel:DWORD src1_sel:WORD_1
	v_bfe_u32 v7, v4, 19, 4
	v_sub_u32_e32 v10, 29, v10
	v_and_b32_e32 v11, 7, v11
	v_cmp_eq_u16_e32 vcc, 0, v6
	v_cndmask_b32_e32 v3, v3, v11, vcc
	v_cndmask_b32_e32 v6, v7, v10, vcc
	v_lshlrev_b32_e32 v7, 8, v4
	v_mov_b32_e32 v10, 0x3b800000
	v_lshlrev_b32_e32 v3, 20, v3
	v_and_b32_e32 v7, 0x80000000, v7
	v_lshl_add_u32 v6, v6, 23, v10
	v_or3_b32 v6, v7, v6, v3
.LBB21_1752:
	s_or_b64 exec, exec, s[6:7]
	s_nop 0
	v_mfma_f32_16x16x4f32 a[0:3], v2, v6, a[0:3]
	s_movk_i32 s4, 0x7f
	v_cmp_gt_i16_sdwa s[6:7], v8, s4 src0_sel:BYTE_3 src1_sel:DWORD
	s_mov_b64 s[4:5], 0
                                        ; implicit-def: $sgpr10
	s_and_saveexec_b64 s[8:9], s[6:7]
	s_xor_b64 s[6:7], exec, s[8:9]
	s_cbranch_execnz .LBB21_3801
; %bb.1753:
	s_or_saveexec_b64 s[6:7], s[6:7]
	v_mov_b32_e32 v2, s10
	s_xor_b64 exec, exec, s[6:7]
	s_cbranch_execnz .LBB21_3804
.LBB21_1754:
	s_or_b64 exec, exec, s[6:7]
	s_and_saveexec_b64 s[6:7], s[4:5]
	s_cbranch_execz .LBB21_1756
.LBB21_1755:
	v_bfe_u32 v2, v8, 24, 3
	v_ffbh_u32_e32 v10, v2
	v_min_u32_e32 v10, 32, v10
	v_lshrrev_b32_e32 v6, 27, v8
	v_subrev_u32_e32 v11, 28, v10
	v_and_b32_e32 v3, 0x80000000, v8
	v_and_b32_e32 v6, 15, v6
	v_bfe_u32 v7, v8, 27, 4
	v_lshlrev_b32_sdwa v8, v11, v8 dst_sel:DWORD dst_unused:UNUSED_PAD src0_sel:DWORD src1_sel:BYTE_3
	v_sub_u32_e32 v10, 29, v10
	v_and_b32_e32 v8, 7, v8
	v_cmp_eq_u16_e32 vcc, 0, v6
	v_cndmask_b32_e32 v2, v2, v8, vcc
	v_cndmask_b32_e32 v6, v7, v10, vcc
	v_mov_b32_e32 v7, 0x3b800000
	v_lshlrev_b32_e32 v2, 20, v2
	v_lshl_add_u32 v6, v6, 23, v7
	v_or3_b32 v2, v3, v6, v2
.LBB21_1756:
	s_or_b64 exec, exec, s[6:7]
	s_movk_i32 s4, 0x7f
	v_cmp_gt_i16_sdwa s[6:7], v4, s4 src0_sel:BYTE_3 src1_sel:DWORD
	s_mov_b64 s[4:5], 0
                                        ; implicit-def: $sgpr10
	s_and_saveexec_b64 s[8:9], s[6:7]
	s_xor_b64 s[6:7], exec, s[8:9]
	s_cbranch_execnz .LBB21_3805
; %bb.1757:
	s_or_saveexec_b64 s[6:7], s[6:7]
	v_mov_b32_e32 v3, s10
	s_xor_b64 exec, exec, s[6:7]
	s_cbranch_execnz .LBB21_3808
.LBB21_1758:
	s_or_b64 exec, exec, s[6:7]
	s_and_saveexec_b64 s[6:7], s[4:5]
	s_cbranch_execz .LBB21_1760
.LBB21_1759:
	v_bfe_u32 v3, v4, 24, 3
	v_ffbh_u32_e32 v10, v3
	v_min_u32_e32 v10, 32, v10
	v_lshrrev_b32_e32 v7, 27, v4
	v_subrev_u32_e32 v11, 28, v10
	v_and_b32_e32 v6, 0x80000000, v4
	v_and_b32_e32 v7, 15, v7
	v_bfe_u32 v8, v4, 27, 4
	v_lshlrev_b32_sdwa v4, v11, v4 dst_sel:DWORD dst_unused:UNUSED_PAD src0_sel:DWORD src1_sel:BYTE_3
	v_sub_u32_e32 v10, 29, v10
	v_and_b32_e32 v4, 7, v4
	v_cmp_eq_u16_e32 vcc, 0, v7
	v_cndmask_b32_e32 v3, v3, v4, vcc
	v_cndmask_b32_e32 v4, v8, v10, vcc
	v_mov_b32_e32 v7, 0x3b800000
	v_lshlrev_b32_e32 v3, 20, v3
	v_lshl_add_u32 v4, v4, 23, v7
	v_or3_b32 v3, v6, v4, v3
.LBB21_1760:
	s_or_b64 exec, exec, s[6:7]
	s_nop 0
	v_mfma_f32_16x16x4f32 a[0:3], v2, v3, a[0:3]
	s_movk_i32 s4, 0x7f
	v_cmp_gt_i16_sdwa s[6:7], v9, s4 src0_sel:BYTE_0 src1_sel:DWORD
	s_mov_b64 s[4:5], 0
                                        ; implicit-def: $sgpr10
	s_and_saveexec_b64 s[8:9], s[6:7]
	s_xor_b64 s[6:7], exec, s[8:9]
	s_cbranch_execnz .LBB21_3809
; %bb.1761:
	s_or_saveexec_b64 s[6:7], s[6:7]
	v_mov_b32_e32 v2, s10
	s_xor_b64 exec, exec, s[6:7]
	s_cbranch_execnz .LBB21_3812
.LBB21_1762:
	s_or_b64 exec, exec, s[6:7]
	s_and_saveexec_b64 s[6:7], s[4:5]
	s_cbranch_execz .LBB21_1764
.LBB21_1763:
	v_mov_b32_e32 v2, 8
	v_and_b32_e32 v3, 7, v9
	v_lshrrev_b32_sdwa v2, v2, v9 dst_sel:BYTE_1 dst_unused:UNUSED_PAD src0_sel:DWORD src1_sel:DWORD
	v_ffbh_u32_e32 v4, v3
	v_or_b32_sdwa v2, v9, v2 dst_sel:DWORD dst_unused:UNUSED_PAD src0_sel:BYTE_0 src1_sel:DWORD
	v_min_u32_e32 v4, 32, v4
	v_lshrrev_b16_e32 v2, 3, v2
	v_subrev_u32_e32 v6, 28, v4
	v_and_b32_e32 v2, 15, v2
	v_lshlrev_b32_e32 v6, v6, v9
	v_sub_u32_e32 v4, 29, v4
	v_and_b32_e32 v6, 7, v6
	v_cmp_eq_u16_e32 vcc, 0, v2
	v_cndmask_b32_e32 v3, v3, v6, vcc
	v_cndmask_b32_e32 v2, v2, v4, vcc
	v_lshlrev_b32_e32 v4, 24, v9
	v_mov_b32_e32 v6, 0x3b800000
	v_lshlrev_b32_e32 v3, 20, v3
	v_and_b32_e32 v4, 0x80000000, v4
	v_lshl_add_u32 v2, v2, 23, v6
	v_or3_b32 v2, v4, v2, v3
.LBB21_1764:
	s_or_b64 exec, exec, s[6:7]
	s_movk_i32 s4, 0x7f
	v_cmp_gt_i16_sdwa s[6:7], v5, s4 src0_sel:BYTE_0 src1_sel:DWORD
	s_mov_b64 s[4:5], 0
                                        ; implicit-def: $sgpr10
	s_and_saveexec_b64 s[8:9], s[6:7]
	s_xor_b64 s[6:7], exec, s[8:9]
	s_cbranch_execnz .LBB21_3813
; %bb.1765:
	s_or_saveexec_b64 s[6:7], s[6:7]
	v_mov_b32_e32 v3, s10
	s_xor_b64 exec, exec, s[6:7]
	s_cbranch_execnz .LBB21_3816
.LBB21_1766:
	s_or_b64 exec, exec, s[6:7]
	s_and_saveexec_b64 s[6:7], s[4:5]
	s_cbranch_execz .LBB21_1768
.LBB21_1767:
	v_mov_b32_e32 v3, 8
	v_and_b32_e32 v4, 7, v5
	v_lshrrev_b32_sdwa v3, v3, v5 dst_sel:BYTE_1 dst_unused:UNUSED_PAD src0_sel:DWORD src1_sel:DWORD
	v_ffbh_u32_e32 v6, v4
	v_or_b32_sdwa v3, v5, v3 dst_sel:DWORD dst_unused:UNUSED_PAD src0_sel:BYTE_0 src1_sel:DWORD
	v_min_u32_e32 v6, 32, v6
	v_lshrrev_b16_e32 v3, 3, v3
	v_subrev_u32_e32 v7, 28, v6
	v_and_b32_e32 v3, 15, v3
	v_lshlrev_b32_e32 v7, v7, v5
	v_sub_u32_e32 v6, 29, v6
	v_and_b32_e32 v7, 7, v7
	v_cmp_eq_u16_e32 vcc, 0, v3
	v_cndmask_b32_e32 v4, v4, v7, vcc
	v_cndmask_b32_e32 v3, v3, v6, vcc
	v_lshlrev_b32_e32 v6, 24, v5
	v_mov_b32_e32 v7, 0x3b800000
	v_lshlrev_b32_e32 v4, 20, v4
	v_and_b32_e32 v6, 0x80000000, v6
	v_lshl_add_u32 v3, v3, 23, v7
	v_or3_b32 v3, v6, v3, v4
.LBB21_1768:
	s_or_b64 exec, exec, s[6:7]
	s_nop 0
	v_mfma_f32_16x16x4f32 a[0:3], v2, v3, a[0:3]
	v_lshrrev_b32_e32 v3, 8, v9
	s_movk_i32 s4, 0x7f
	v_cmp_gt_i16_sdwa s[6:7], v3, s4 src0_sel:BYTE_0 src1_sel:DWORD
	s_mov_b64 s[4:5], 0
                                        ; implicit-def: $sgpr10
	s_and_saveexec_b64 s[8:9], s[6:7]
	s_xor_b64 s[6:7], exec, s[8:9]
	s_cbranch_execnz .LBB21_3817
; %bb.1769:
	s_or_saveexec_b64 s[6:7], s[6:7]
	v_mov_b32_e32 v2, s10
	s_xor_b64 exec, exec, s[6:7]
	s_cbranch_execnz .LBB21_3820
.LBB21_1770:
	s_or_b64 exec, exec, s[6:7]
	s_and_saveexec_b64 s[6:7], s[4:5]
	s_cbranch_execz .LBB21_1772
.LBB21_1771:
	v_bfe_u32 v2, v9, 8, 3
	v_ffbh_u32_e32 v6, v2
	v_min_u32_e32 v6, 32, v6
	v_lshrrev_b16_e32 v4, 3, v3
	v_subrev_u32_e32 v7, 28, v6
	v_and_b32_e32 v4, 15, v4
	v_lshlrev_b32_e32 v3, v7, v3
	v_sub_u32_e32 v6, 29, v6
	v_and_b32_e32 v3, 7, v3
	v_cmp_eq_u16_e32 vcc, 0, v4
	v_cndmask_b32_e32 v2, v2, v3, vcc
	v_cndmask_b32_e32 v3, v4, v6, vcc
	v_lshlrev_b32_e32 v4, 16, v9
	v_mov_b32_e32 v6, 0x3b800000
	v_lshlrev_b32_e32 v2, 20, v2
	v_and_b32_e32 v4, 0x80000000, v4
	v_lshl_add_u32 v3, v3, 23, v6
	v_or3_b32 v2, v4, v3, v2
.LBB21_1772:
	s_or_b64 exec, exec, s[6:7]
	v_lshrrev_b32_e32 v3, 8, v5
	s_movk_i32 s4, 0x7f
	v_cmp_gt_i16_sdwa s[6:7], v3, s4 src0_sel:BYTE_0 src1_sel:DWORD
	s_mov_b64 s[4:5], 0
                                        ; implicit-def: $sgpr10
	s_and_saveexec_b64 s[8:9], s[6:7]
	s_xor_b64 s[6:7], exec, s[8:9]
	s_cbranch_execnz .LBB21_3821
; %bb.1773:
	s_or_saveexec_b64 s[6:7], s[6:7]
	v_mov_b32_e32 v4, s10
	s_xor_b64 exec, exec, s[6:7]
	s_cbranch_execnz .LBB21_3824
.LBB21_1774:
	s_or_b64 exec, exec, s[6:7]
	s_and_saveexec_b64 s[6:7], s[4:5]
	s_cbranch_execz .LBB21_1776
.LBB21_1775:
	v_bfe_u32 v4, v5, 8, 3
	v_ffbh_u32_e32 v7, v4
	v_min_u32_e32 v7, 32, v7
	v_lshrrev_b16_e32 v6, 3, v3
	v_subrev_u32_e32 v8, 28, v7
	v_and_b32_e32 v6, 15, v6
	v_lshlrev_b32_e32 v3, v8, v3
	v_sub_u32_e32 v7, 29, v7
	v_and_b32_e32 v3, 7, v3
	v_cmp_eq_u16_e32 vcc, 0, v6
	v_cndmask_b32_e32 v3, v4, v3, vcc
	v_cndmask_b32_e32 v4, v6, v7, vcc
	v_lshlrev_b32_e32 v6, 16, v5
	v_mov_b32_e32 v7, 0x3b800000
	v_lshlrev_b32_e32 v3, 20, v3
	v_and_b32_e32 v6, 0x80000000, v6
	v_lshl_add_u32 v4, v4, 23, v7
	v_or3_b32 v4, v6, v4, v3
.LBB21_1776:
	s_or_b64 exec, exec, s[6:7]
	s_nop 0
	v_mfma_f32_16x16x4f32 a[0:3], v2, v4, a[0:3]
	s_movk_i32 s4, 0xff
	v_and_b32_sdwa v3, v9, s4 dst_sel:DWORD dst_unused:UNUSED_PAD src0_sel:WORD_1 src1_sel:DWORD
	s_movk_i32 s4, 0x7f
	v_cmp_lt_i16_e32 vcc, s4, v3
	s_mov_b64 s[4:5], 0
                                        ; implicit-def: $sgpr10
	s_and_saveexec_b64 s[6:7], vcc
	s_xor_b64 s[6:7], exec, s[6:7]
	s_cbranch_execnz .LBB21_3825
; %bb.1777:
	s_or_saveexec_b64 s[6:7], s[6:7]
	v_mov_b32_e32 v2, s10
	s_xor_b64 exec, exec, s[6:7]
	s_cbranch_execnz .LBB21_3828
.LBB21_1778:
	s_or_b64 exec, exec, s[6:7]
	s_and_saveexec_b64 s[6:7], s[4:5]
	s_cbranch_execz .LBB21_1780
.LBB21_1779:
	v_bfe_u32 v2, v9, 16, 3
	v_ffbh_u32_e32 v6, v2
	v_min_u32_e32 v6, 32, v6
	v_lshrrev_b32_e32 v3, 19, v9
	v_subrev_u32_e32 v7, 28, v6
	v_and_b32_e32 v3, 15, v3
	v_lshlrev_b32_sdwa v7, v7, v9 dst_sel:DWORD dst_unused:UNUSED_PAD src0_sel:DWORD src1_sel:WORD_1
	v_bfe_u32 v4, v9, 19, 4
	v_sub_u32_e32 v6, 29, v6
	v_and_b32_e32 v7, 7, v7
	v_cmp_eq_u16_e32 vcc, 0, v3
	v_cndmask_b32_e32 v2, v2, v7, vcc
	v_cndmask_b32_e32 v3, v4, v6, vcc
	v_lshlrev_b32_e32 v4, 8, v9
	v_mov_b32_e32 v6, 0x3b800000
	v_lshlrev_b32_e32 v2, 20, v2
	v_and_b32_e32 v4, 0x80000000, v4
	v_lshl_add_u32 v3, v3, 23, v6
	v_or3_b32 v2, v4, v3, v2
.LBB21_1780:
	s_or_b64 exec, exec, s[6:7]
	s_movk_i32 s4, 0xff
	v_and_b32_sdwa v3, v5, s4 dst_sel:DWORD dst_unused:UNUSED_PAD src0_sel:WORD_1 src1_sel:DWORD
	s_movk_i32 s4, 0x7f
	v_cmp_lt_i16_e32 vcc, s4, v3
	s_mov_b64 s[4:5], 0
                                        ; implicit-def: $sgpr10
	s_and_saveexec_b64 s[6:7], vcc
	s_xor_b64 s[6:7], exec, s[6:7]
	s_cbranch_execnz .LBB21_3829
; %bb.1781:
	s_or_saveexec_b64 s[6:7], s[6:7]
	v_mov_b32_e32 v4, s10
	s_xor_b64 exec, exec, s[6:7]
	s_cbranch_execnz .LBB21_3832
.LBB21_1782:
	s_or_b64 exec, exec, s[6:7]
	s_and_saveexec_b64 s[6:7], s[4:5]
	s_cbranch_execz .LBB21_1784
.LBB21_1783:
	v_bfe_u32 v3, v5, 16, 3
	v_ffbh_u32_e32 v7, v3
	v_min_u32_e32 v7, 32, v7
	v_lshrrev_b32_e32 v4, 19, v5
	v_subrev_u32_e32 v8, 28, v7
	v_and_b32_e32 v4, 15, v4
	v_lshlrev_b32_sdwa v8, v8, v5 dst_sel:DWORD dst_unused:UNUSED_PAD src0_sel:DWORD src1_sel:WORD_1
	v_bfe_u32 v6, v5, 19, 4
	v_sub_u32_e32 v7, 29, v7
	v_and_b32_e32 v8, 7, v8
	v_cmp_eq_u16_e32 vcc, 0, v4
	v_cndmask_b32_e32 v3, v3, v8, vcc
	v_cndmask_b32_e32 v4, v6, v7, vcc
	v_lshlrev_b32_e32 v6, 8, v5
	v_mov_b32_e32 v7, 0x3b800000
	v_lshlrev_b32_e32 v3, 20, v3
	v_and_b32_e32 v6, 0x80000000, v6
	v_lshl_add_u32 v4, v4, 23, v7
	v_or3_b32 v4, v6, v4, v3
.LBB21_1784:
	s_or_b64 exec, exec, s[6:7]
	s_nop 0
	v_mfma_f32_16x16x4f32 a[0:3], v2, v4, a[0:3]
	s_movk_i32 s4, 0x7f
	v_cmp_gt_i16_sdwa s[6:7], v9, s4 src0_sel:BYTE_3 src1_sel:DWORD
	s_mov_b64 s[4:5], 0
                                        ; implicit-def: $sgpr10
	s_and_saveexec_b64 s[8:9], s[6:7]
	s_xor_b64 s[6:7], exec, s[8:9]
	s_cbranch_execnz .LBB21_3833
; %bb.1785:
	s_or_saveexec_b64 s[6:7], s[6:7]
	v_mov_b32_e32 v2, s10
	s_xor_b64 exec, exec, s[6:7]
	s_cbranch_execnz .LBB21_3836
.LBB21_1786:
	s_or_b64 exec, exec, s[6:7]
	s_and_saveexec_b64 s[6:7], s[4:5]
	s_cbranch_execz .LBB21_1788
.LBB21_1787:
	v_bfe_u32 v2, v9, 24, 3
	v_ffbh_u32_e32 v7, v2
	v_min_u32_e32 v7, 32, v7
	v_lshrrev_b32_e32 v4, 27, v9
	v_subrev_u32_e32 v8, 28, v7
	v_and_b32_e32 v4, 15, v4
	v_lshlrev_b32_sdwa v8, v8, v9 dst_sel:DWORD dst_unused:UNUSED_PAD src0_sel:DWORD src1_sel:BYTE_3
	v_bfe_u32 v6, v9, 27, 4
	v_sub_u32_e32 v7, 29, v7
	v_and_b32_e32 v8, 7, v8
	v_cmp_eq_u16_e32 vcc, 0, v4
	v_cndmask_b32_e32 v2, v2, v8, vcc
	v_cndmask_b32_e32 v4, v6, v7, vcc
	v_mov_b32_e32 v6, 0x3b800000
	v_and_b32_e32 v3, 0x80000000, v9
	v_lshlrev_b32_e32 v2, 20, v2
	v_lshl_add_u32 v4, v4, 23, v6
	v_or3_b32 v2, v3, v4, v2
.LBB21_1788:
	s_or_b64 exec, exec, s[6:7]
	s_movk_i32 s4, 0x7f
	v_cmp_gt_i16_sdwa s[6:7], v5, s4 src0_sel:BYTE_3 src1_sel:DWORD
	s_mov_b64 s[4:5], 0
                                        ; implicit-def: $sgpr10
	s_and_saveexec_b64 s[8:9], s[6:7]
	s_xor_b64 s[6:7], exec, s[8:9]
	s_cbranch_execnz .LBB21_3837
; %bb.1789:
	s_or_saveexec_b64 s[6:7], s[6:7]
	v_mov_b32_e32 v3, s10
	s_xor_b64 exec, exec, s[6:7]
	s_cbranch_execnz .LBB21_3840
.LBB21_1790:
	s_or_b64 exec, exec, s[6:7]
	s_and_saveexec_b64 s[6:7], s[4:5]
	s_cbranch_execz .LBB21_1792
.LBB21_1791:
	v_bfe_u32 v3, v5, 24, 3
	v_ffbh_u32_e32 v8, v3
	v_min_u32_e32 v8, 32, v8
	v_lshrrev_b32_e32 v6, 27, v5
	v_subrev_u32_e32 v9, 28, v8
	v_and_b32_e32 v4, 0x80000000, v5
	v_and_b32_e32 v6, 15, v6
	v_bfe_u32 v7, v5, 27, 4
	v_lshlrev_b32_sdwa v5, v9, v5 dst_sel:DWORD dst_unused:UNUSED_PAD src0_sel:DWORD src1_sel:BYTE_3
	v_sub_u32_e32 v8, 29, v8
	v_and_b32_e32 v5, 7, v5
	v_cmp_eq_u16_e32 vcc, 0, v6
	v_cndmask_b32_e32 v3, v3, v5, vcc
	v_cndmask_b32_e32 v5, v7, v8, vcc
	v_mov_b32_e32 v6, 0x3b800000
	v_lshlrev_b32_e32 v3, 20, v3
	v_lshl_add_u32 v5, v5, 23, v6
	v_or3_b32 v3, v4, v5, v3
.LBB21_1792:
	s_or_b64 exec, exec, s[6:7]
	s_nop 0
	v_mfma_f32_16x16x4f32 a[0:3], v2, v3, a[0:3]
	s_movk_i32 s4, 0x7f
                                        ; implicit-def: $sgpr10
	s_nop 7
	s_nop 1
	flat_store_dwordx4 v[18:19], a[0:3] offset:480
	flat_load_dwordx4 v[18:21], v[0:1] offset:8
	s_nop 0
	flat_load_dwordx2 v[16:17], v[0:1] offset:24
	s_waitcnt vmcnt(0) lgkmcnt(0)
	flat_load_dwordx4 v[12:15], v[18:19] offset:32
	flat_load_dwordx4 v[4:7], v[18:19] offset:48
	;; [unrolled: 1-line block ×4, first 2 shown]
	s_waitcnt vmcnt(0) lgkmcnt(0)
	v_cmp_gt_i16_sdwa s[6:7], v12, s4 src0_sel:BYTE_0 src1_sel:DWORD
	s_mov_b64 s[4:5], 0
	s_and_saveexec_b64 s[8:9], s[6:7]
	s_xor_b64 s[6:7], exec, s[8:9]
	s_cbranch_execnz .LBB21_3841
; %bb.1793:
	s_or_saveexec_b64 s[6:7], s[6:7]
	v_mov_b32_e32 v18, s10
	s_xor_b64 exec, exec, s[6:7]
	s_cbranch_execnz .LBB21_3844
.LBB21_1794:
	s_or_b64 exec, exec, s[6:7]
	s_and_saveexec_b64 s[6:7], s[4:5]
	s_cbranch_execz .LBB21_1796
.LBB21_1795:
	v_and_b32_e32 v18, 7, v12
	v_ffbh_u32_e32 v20, v18
	v_min_u32_e32 v20, 32, v20
	v_lshrrev_b16_e32 v19, 3, v12
	v_subrev_u32_e32 v21, 28, v20
	v_and_b32_e32 v19, 15, v19
	v_lshlrev_b32_e32 v21, v21, v12
	v_sub_u32_e32 v20, 29, v20
	v_and_b32_e32 v21, 7, v21
	v_cmp_eq_u16_e32 vcc, 0, v19
	v_cndmask_b32_e32 v18, v18, v21, vcc
	v_cndmask_b32_e32 v19, v19, v20, vcc
	v_lshlrev_b32_e32 v20, 24, v12
	v_mov_b32_e32 v21, 0x3b800000
	v_lshlrev_b32_e32 v18, 20, v18
	v_and_b32_e32 v20, 0x80000000, v20
	v_lshl_add_u32 v19, v19, 23, v21
	v_or3_b32 v18, v20, v19, v18
.LBB21_1796:
	s_or_b64 exec, exec, s[6:7]
	s_movk_i32 s4, 0x7f
	v_cmp_gt_i16_sdwa s[6:7], v8, s4 src0_sel:BYTE_0 src1_sel:DWORD
	s_mov_b64 s[4:5], 0
                                        ; implicit-def: $sgpr10
	s_and_saveexec_b64 s[8:9], s[6:7]
	s_xor_b64 s[6:7], exec, s[8:9]
	s_cbranch_execnz .LBB21_3845
; %bb.1797:
	s_or_saveexec_b64 s[6:7], s[6:7]
	v_mov_b32_e32 v19, s10
	s_xor_b64 exec, exec, s[6:7]
	s_cbranch_execnz .LBB21_3848
.LBB21_1798:
	s_or_b64 exec, exec, s[6:7]
	s_and_saveexec_b64 s[6:7], s[4:5]
	s_cbranch_execz .LBB21_1800
.LBB21_1799:
	v_and_b32_e32 v19, 7, v8
	v_ffbh_u32_e32 v21, v19
	v_min_u32_e32 v21, 32, v21
	v_lshrrev_b16_e32 v20, 3, v8
	v_subrev_u32_e32 v22, 28, v21
	v_and_b32_e32 v20, 15, v20
	v_lshlrev_b32_e32 v22, v22, v8
	v_sub_u32_e32 v21, 29, v21
	v_and_b32_e32 v22, 7, v22
	v_cmp_eq_u16_e32 vcc, 0, v20
	v_cndmask_b32_e32 v19, v19, v22, vcc
	v_cndmask_b32_e32 v20, v20, v21, vcc
	v_lshlrev_b32_e32 v21, 24, v8
	v_mov_b32_e32 v22, 0x3b800000
	v_lshlrev_b32_e32 v19, 20, v19
	v_and_b32_e32 v21, 0x80000000, v21
	v_lshl_add_u32 v20, v20, 23, v22
	v_or3_b32 v19, v21, v20, v19
.LBB21_1800:
	s_or_b64 exec, exec, s[6:7]
	flat_load_dwordx4 a[0:3], v[16:17] offset:496
	s_movk_i32 s4, 0x7f
                                        ; implicit-def: $sgpr10
	s_waitcnt vmcnt(0) lgkmcnt(0)
	v_mfma_f32_16x16x4f32 a[0:3], v18, v19, a[0:3]
	v_lshrrev_b32_e32 v19, 8, v12
	v_cmp_gt_i16_sdwa s[6:7], v19, s4 src0_sel:BYTE_0 src1_sel:DWORD
	s_mov_b64 s[4:5], 0
	s_and_saveexec_b64 s[8:9], s[6:7]
	s_xor_b64 s[6:7], exec, s[8:9]
	s_cbranch_execnz .LBB21_3849
; %bb.1801:
	s_or_saveexec_b64 s[6:7], s[6:7]
	v_mov_b32_e32 v18, s10
	s_xor_b64 exec, exec, s[6:7]
	s_cbranch_execnz .LBB21_3852
.LBB21_1802:
	s_or_b64 exec, exec, s[6:7]
	s_and_saveexec_b64 s[6:7], s[4:5]
	s_cbranch_execz .LBB21_1804
.LBB21_1803:
	v_bfe_u32 v18, v12, 8, 3
	v_ffbh_u32_e32 v21, v18
	v_min_u32_e32 v21, 32, v21
	v_lshrrev_b16_e32 v20, 3, v19
	v_subrev_u32_e32 v22, 28, v21
	v_and_b32_e32 v20, 15, v20
	v_lshlrev_b32_e32 v19, v22, v19
	v_sub_u32_e32 v21, 29, v21
	v_and_b32_e32 v19, 7, v19
	v_cmp_eq_u16_e32 vcc, 0, v20
	v_cndmask_b32_e32 v18, v18, v19, vcc
	v_cndmask_b32_e32 v19, v20, v21, vcc
	v_lshlrev_b32_e32 v20, 16, v12
	v_mov_b32_e32 v21, 0x3b800000
	v_lshlrev_b32_e32 v18, 20, v18
	v_and_b32_e32 v20, 0x80000000, v20
	v_lshl_add_u32 v19, v19, 23, v21
	v_or3_b32 v18, v20, v19, v18
.LBB21_1804:
	s_or_b64 exec, exec, s[6:7]
	v_lshrrev_b32_e32 v19, 8, v8
	s_movk_i32 s4, 0x7f
	v_cmp_gt_i16_sdwa s[6:7], v19, s4 src0_sel:BYTE_0 src1_sel:DWORD
	s_mov_b64 s[4:5], 0
                                        ; implicit-def: $sgpr10
	s_and_saveexec_b64 s[8:9], s[6:7]
	s_xor_b64 s[6:7], exec, s[8:9]
	s_cbranch_execnz .LBB21_3853
; %bb.1805:
	s_or_saveexec_b64 s[6:7], s[6:7]
	v_mov_b32_e32 v20, s10
	s_xor_b64 exec, exec, s[6:7]
	s_cbranch_execnz .LBB21_3856
.LBB21_1806:
	s_or_b64 exec, exec, s[6:7]
	s_and_saveexec_b64 s[6:7], s[4:5]
	s_cbranch_execz .LBB21_1808
.LBB21_1807:
	v_bfe_u32 v20, v8, 8, 3
	v_ffbh_u32_e32 v22, v20
	v_min_u32_e32 v22, 32, v22
	v_lshrrev_b16_e32 v21, 3, v19
	v_subrev_u32_e32 v23, 28, v22
	v_and_b32_e32 v21, 15, v21
	v_lshlrev_b32_e32 v19, v23, v19
	v_sub_u32_e32 v22, 29, v22
	v_and_b32_e32 v19, 7, v19
	v_cmp_eq_u16_e32 vcc, 0, v21
	v_cndmask_b32_e32 v19, v20, v19, vcc
	v_cndmask_b32_e32 v20, v21, v22, vcc
	v_lshlrev_b32_e32 v21, 16, v8
	v_mov_b32_e32 v22, 0x3b800000
	v_lshlrev_b32_e32 v19, 20, v19
	v_and_b32_e32 v21, 0x80000000, v21
	v_lshl_add_u32 v20, v20, 23, v22
	v_or3_b32 v20, v21, v20, v19
.LBB21_1808:
	s_or_b64 exec, exec, s[6:7]
	s_nop 0
	v_mfma_f32_16x16x4f32 a[0:3], v18, v20, a[0:3]
	s_movk_i32 s4, 0xff
	v_and_b32_sdwa v19, v12, s4 dst_sel:DWORD dst_unused:UNUSED_PAD src0_sel:WORD_1 src1_sel:DWORD
	s_movk_i32 s4, 0x7f
	v_cmp_lt_i16_e32 vcc, s4, v19
	s_mov_b64 s[4:5], 0
                                        ; implicit-def: $sgpr10
	s_and_saveexec_b64 s[6:7], vcc
	s_xor_b64 s[6:7], exec, s[6:7]
	s_cbranch_execnz .LBB21_3857
; %bb.1809:
	s_or_saveexec_b64 s[6:7], s[6:7]
	v_mov_b32_e32 v18, s10
	s_xor_b64 exec, exec, s[6:7]
	s_cbranch_execnz .LBB21_3860
.LBB21_1810:
	s_or_b64 exec, exec, s[6:7]
	s_and_saveexec_b64 s[6:7], s[4:5]
	s_cbranch_execz .LBB21_1812
.LBB21_1811:
	v_bfe_u32 v18, v12, 16, 3
	v_ffbh_u32_e32 v21, v18
	v_min_u32_e32 v21, 32, v21
	v_lshrrev_b32_e32 v19, 19, v12
	v_subrev_u32_e32 v22, 28, v21
	v_and_b32_e32 v19, 15, v19
	v_lshlrev_b32_sdwa v22, v22, v12 dst_sel:DWORD dst_unused:UNUSED_PAD src0_sel:DWORD src1_sel:WORD_1
	v_bfe_u32 v20, v12, 19, 4
	v_sub_u32_e32 v21, 29, v21
	v_and_b32_e32 v22, 7, v22
	v_cmp_eq_u16_e32 vcc, 0, v19
	v_cndmask_b32_e32 v18, v18, v22, vcc
	v_cndmask_b32_e32 v19, v20, v21, vcc
	v_lshlrev_b32_e32 v20, 8, v12
	v_mov_b32_e32 v21, 0x3b800000
	v_lshlrev_b32_e32 v18, 20, v18
	v_and_b32_e32 v20, 0x80000000, v20
	v_lshl_add_u32 v19, v19, 23, v21
	v_or3_b32 v18, v20, v19, v18
.LBB21_1812:
	s_or_b64 exec, exec, s[6:7]
	s_movk_i32 s4, 0xff
	v_and_b32_sdwa v19, v8, s4 dst_sel:DWORD dst_unused:UNUSED_PAD src0_sel:WORD_1 src1_sel:DWORD
	s_movk_i32 s4, 0x7f
	v_cmp_lt_i16_e32 vcc, s4, v19
	s_mov_b64 s[4:5], 0
                                        ; implicit-def: $sgpr10
	s_and_saveexec_b64 s[6:7], vcc
	s_xor_b64 s[6:7], exec, s[6:7]
	s_cbranch_execnz .LBB21_3861
; %bb.1813:
	s_or_saveexec_b64 s[6:7], s[6:7]
	v_mov_b32_e32 v20, s10
	s_xor_b64 exec, exec, s[6:7]
	s_cbranch_execnz .LBB21_3864
.LBB21_1814:
	s_or_b64 exec, exec, s[6:7]
	s_and_saveexec_b64 s[6:7], s[4:5]
	s_cbranch_execz .LBB21_1816
.LBB21_1815:
	v_bfe_u32 v19, v8, 16, 3
	v_ffbh_u32_e32 v22, v19
	v_min_u32_e32 v22, 32, v22
	v_lshrrev_b32_e32 v20, 19, v8
	v_subrev_u32_e32 v23, 28, v22
	v_and_b32_e32 v20, 15, v20
	v_lshlrev_b32_sdwa v23, v23, v8 dst_sel:DWORD dst_unused:UNUSED_PAD src0_sel:DWORD src1_sel:WORD_1
	v_bfe_u32 v21, v8, 19, 4
	v_sub_u32_e32 v22, 29, v22
	v_and_b32_e32 v23, 7, v23
	v_cmp_eq_u16_e32 vcc, 0, v20
	v_cndmask_b32_e32 v19, v19, v23, vcc
	v_cndmask_b32_e32 v20, v21, v22, vcc
	v_lshlrev_b32_e32 v21, 8, v8
	v_mov_b32_e32 v22, 0x3b800000
	v_lshlrev_b32_e32 v19, 20, v19
	v_and_b32_e32 v21, 0x80000000, v21
	v_lshl_add_u32 v20, v20, 23, v22
	v_or3_b32 v20, v21, v20, v19
.LBB21_1816:
	s_or_b64 exec, exec, s[6:7]
	s_nop 0
	v_mfma_f32_16x16x4f32 a[0:3], v18, v20, a[0:3]
	s_movk_i32 s4, 0x7f
	v_cmp_gt_i16_sdwa s[6:7], v12, s4 src0_sel:BYTE_3 src1_sel:DWORD
	s_mov_b64 s[4:5], 0
                                        ; implicit-def: $sgpr10
	s_and_saveexec_b64 s[8:9], s[6:7]
	s_xor_b64 s[6:7], exec, s[8:9]
	s_cbranch_execnz .LBB21_3865
; %bb.1817:
	s_or_saveexec_b64 s[6:7], s[6:7]
	v_mov_b32_e32 v18, s10
	s_xor_b64 exec, exec, s[6:7]
	s_cbranch_execnz .LBB21_3868
.LBB21_1818:
	s_or_b64 exec, exec, s[6:7]
	s_and_saveexec_b64 s[6:7], s[4:5]
	s_cbranch_execz .LBB21_1820
.LBB21_1819:
	v_bfe_u32 v18, v12, 24, 3
	v_ffbh_u32_e32 v22, v18
	v_min_u32_e32 v22, 32, v22
	v_lshrrev_b32_e32 v20, 27, v12
	v_subrev_u32_e32 v23, 28, v22
	v_and_b32_e32 v19, 0x80000000, v12
	v_and_b32_e32 v20, 15, v20
	v_bfe_u32 v21, v12, 27, 4
	v_lshlrev_b32_sdwa v12, v23, v12 dst_sel:DWORD dst_unused:UNUSED_PAD src0_sel:DWORD src1_sel:BYTE_3
	v_sub_u32_e32 v22, 29, v22
	v_and_b32_e32 v12, 7, v12
	v_cmp_eq_u16_e32 vcc, 0, v20
	v_cndmask_b32_e32 v12, v18, v12, vcc
	v_cndmask_b32_e32 v18, v21, v22, vcc
	v_mov_b32_e32 v20, 0x3b800000
	v_lshlrev_b32_e32 v12, 20, v12
	v_lshl_add_u32 v18, v18, 23, v20
	v_or3_b32 v18, v19, v18, v12
.LBB21_1820:
	s_or_b64 exec, exec, s[6:7]
	s_movk_i32 s4, 0x7f
	v_cmp_gt_i16_sdwa s[6:7], v8, s4 src0_sel:BYTE_3 src1_sel:DWORD
	s_mov_b64 s[4:5], 0
                                        ; implicit-def: $sgpr10
	s_and_saveexec_b64 s[8:9], s[6:7]
	s_xor_b64 s[6:7], exec, s[8:9]
	s_cbranch_execnz .LBB21_3869
; %bb.1821:
	s_or_saveexec_b64 s[6:7], s[6:7]
	v_mov_b32_e32 v12, s10
	s_xor_b64 exec, exec, s[6:7]
	s_cbranch_execnz .LBB21_3872
.LBB21_1822:
	s_or_b64 exec, exec, s[6:7]
	s_and_saveexec_b64 s[6:7], s[4:5]
	s_cbranch_execz .LBB21_1824
.LBB21_1823:
	v_bfe_u32 v12, v8, 24, 3
	v_ffbh_u32_e32 v22, v12
	v_min_u32_e32 v22, 32, v22
	v_lshrrev_b32_e32 v20, 27, v8
	v_subrev_u32_e32 v23, 28, v22
	v_and_b32_e32 v19, 0x80000000, v8
	v_and_b32_e32 v20, 15, v20
	v_bfe_u32 v21, v8, 27, 4
	v_lshlrev_b32_sdwa v8, v23, v8 dst_sel:DWORD dst_unused:UNUSED_PAD src0_sel:DWORD src1_sel:BYTE_3
	v_sub_u32_e32 v22, 29, v22
	v_and_b32_e32 v8, 7, v8
	v_cmp_eq_u16_e32 vcc, 0, v20
	v_cndmask_b32_e32 v8, v12, v8, vcc
	v_cndmask_b32_e32 v12, v21, v22, vcc
	v_mov_b32_e32 v20, 0x3b800000
	v_lshlrev_b32_e32 v8, 20, v8
	v_lshl_add_u32 v12, v12, 23, v20
	v_or3_b32 v12, v19, v12, v8
.LBB21_1824:
	s_or_b64 exec, exec, s[6:7]
	s_nop 0
	v_mfma_f32_16x16x4f32 a[0:3], v18, v12, a[0:3]
	s_movk_i32 s4, 0x7f
	v_cmp_gt_i16_sdwa s[6:7], v13, s4 src0_sel:BYTE_0 src1_sel:DWORD
	s_mov_b64 s[4:5], 0
                                        ; implicit-def: $sgpr10
	s_and_saveexec_b64 s[8:9], s[6:7]
	s_xor_b64 s[6:7], exec, s[8:9]
	s_cbranch_execnz .LBB21_3873
; %bb.1825:
	s_or_saveexec_b64 s[6:7], s[6:7]
	v_mov_b32_e32 v8, s10
	s_xor_b64 exec, exec, s[6:7]
	s_cbranch_execnz .LBB21_3876
.LBB21_1826:
	s_or_b64 exec, exec, s[6:7]
	s_and_saveexec_b64 s[6:7], s[4:5]
	s_cbranch_execz .LBB21_1828
.LBB21_1827:
	v_and_b32_e32 v8, 7, v13
	v_ffbh_u32_e32 v18, v8
	v_min_u32_e32 v18, 32, v18
	v_lshrrev_b16_e32 v12, 3, v13
	v_subrev_u32_e32 v19, 28, v18
	v_and_b32_e32 v12, 15, v12
	v_lshlrev_b32_e32 v19, v19, v13
	v_sub_u32_e32 v18, 29, v18
	v_and_b32_e32 v19, 7, v19
	v_cmp_eq_u16_e32 vcc, 0, v12
	v_cndmask_b32_e32 v8, v8, v19, vcc
	v_cndmask_b32_e32 v12, v12, v18, vcc
	v_lshlrev_b32_e32 v18, 24, v13
	v_mov_b32_e32 v19, 0x3b800000
	v_lshlrev_b32_e32 v8, 20, v8
	v_and_b32_e32 v18, 0x80000000, v18
	v_lshl_add_u32 v12, v12, 23, v19
	v_or3_b32 v8, v18, v12, v8
.LBB21_1828:
	s_or_b64 exec, exec, s[6:7]
	s_movk_i32 s4, 0x7f
	v_cmp_gt_i16_sdwa s[6:7], v9, s4 src0_sel:BYTE_0 src1_sel:DWORD
	s_mov_b64 s[4:5], 0
                                        ; implicit-def: $sgpr10
	s_and_saveexec_b64 s[8:9], s[6:7]
	s_xor_b64 s[6:7], exec, s[8:9]
	s_cbranch_execnz .LBB21_3877
; %bb.1829:
	s_or_saveexec_b64 s[6:7], s[6:7]
	v_mov_b32_e32 v12, s10
	s_xor_b64 exec, exec, s[6:7]
	s_cbranch_execnz .LBB21_3880
.LBB21_1830:
	s_or_b64 exec, exec, s[6:7]
	s_and_saveexec_b64 s[6:7], s[4:5]
	s_cbranch_execz .LBB21_1832
.LBB21_1831:
	v_and_b32_e32 v12, 7, v9
	v_ffbh_u32_e32 v19, v12
	v_min_u32_e32 v19, 32, v19
	v_lshrrev_b16_e32 v18, 3, v9
	v_subrev_u32_e32 v20, 28, v19
	v_and_b32_e32 v18, 15, v18
	v_lshlrev_b32_e32 v20, v20, v9
	v_sub_u32_e32 v19, 29, v19
	v_and_b32_e32 v20, 7, v20
	v_cmp_eq_u16_e32 vcc, 0, v18
	v_cndmask_b32_e32 v12, v12, v20, vcc
	v_cndmask_b32_e32 v18, v18, v19, vcc
	v_lshlrev_b32_e32 v19, 24, v9
	v_mov_b32_e32 v20, 0x3b800000
	v_lshlrev_b32_e32 v12, 20, v12
	v_and_b32_e32 v19, 0x80000000, v19
	v_lshl_add_u32 v18, v18, 23, v20
	v_or3_b32 v12, v19, v18, v12
.LBB21_1832:
	s_or_b64 exec, exec, s[6:7]
	s_nop 0
	v_mfma_f32_16x16x4f32 a[0:3], v8, v12, a[0:3]
	v_lshrrev_b32_e32 v12, 8, v13
	s_movk_i32 s4, 0x7f
	v_cmp_gt_i16_sdwa s[6:7], v12, s4 src0_sel:BYTE_0 src1_sel:DWORD
	s_mov_b64 s[4:5], 0
                                        ; implicit-def: $sgpr10
	s_and_saveexec_b64 s[8:9], s[6:7]
	s_xor_b64 s[6:7], exec, s[8:9]
	s_cbranch_execnz .LBB21_3881
; %bb.1833:
	s_or_saveexec_b64 s[6:7], s[6:7]
	v_mov_b32_e32 v8, s10
	s_xor_b64 exec, exec, s[6:7]
	s_cbranch_execnz .LBB21_3884
.LBB21_1834:
	s_or_b64 exec, exec, s[6:7]
	s_and_saveexec_b64 s[6:7], s[4:5]
	s_cbranch_execz .LBB21_1836
.LBB21_1835:
	v_bfe_u32 v8, v13, 8, 3
	v_ffbh_u32_e32 v19, v8
	v_min_u32_e32 v19, 32, v19
	v_lshrrev_b16_e32 v18, 3, v12
	v_subrev_u32_e32 v20, 28, v19
	v_and_b32_e32 v18, 15, v18
	v_lshlrev_b32_e32 v12, v20, v12
	v_sub_u32_e32 v19, 29, v19
	v_and_b32_e32 v12, 7, v12
	v_cmp_eq_u16_e32 vcc, 0, v18
	v_cndmask_b32_e32 v8, v8, v12, vcc
	v_cndmask_b32_e32 v12, v18, v19, vcc
	v_lshlrev_b32_e32 v18, 16, v13
	v_mov_b32_e32 v19, 0x3b800000
	v_lshlrev_b32_e32 v8, 20, v8
	v_and_b32_e32 v18, 0x80000000, v18
	v_lshl_add_u32 v12, v12, 23, v19
	v_or3_b32 v8, v18, v12, v8
.LBB21_1836:
	s_or_b64 exec, exec, s[6:7]
	v_lshrrev_b32_e32 v12, 8, v9
	s_movk_i32 s4, 0x7f
	v_cmp_gt_i16_sdwa s[6:7], v12, s4 src0_sel:BYTE_0 src1_sel:DWORD
	s_mov_b64 s[4:5], 0
                                        ; implicit-def: $sgpr10
	s_and_saveexec_b64 s[8:9], s[6:7]
	s_xor_b64 s[6:7], exec, s[8:9]
	s_cbranch_execnz .LBB21_3885
; %bb.1837:
	s_or_saveexec_b64 s[6:7], s[6:7]
	v_mov_b32_e32 v18, s10
	s_xor_b64 exec, exec, s[6:7]
	s_cbranch_execnz .LBB21_3888
.LBB21_1838:
	s_or_b64 exec, exec, s[6:7]
	s_and_saveexec_b64 s[6:7], s[4:5]
	s_cbranch_execz .LBB21_1840
.LBB21_1839:
	v_bfe_u32 v18, v9, 8, 3
	v_ffbh_u32_e32 v20, v18
	v_min_u32_e32 v20, 32, v20
	v_lshrrev_b16_e32 v19, 3, v12
	v_subrev_u32_e32 v21, 28, v20
	v_and_b32_e32 v19, 15, v19
	v_lshlrev_b32_e32 v12, v21, v12
	v_sub_u32_e32 v20, 29, v20
	v_and_b32_e32 v12, 7, v12
	v_cmp_eq_u16_e32 vcc, 0, v19
	v_cndmask_b32_e32 v12, v18, v12, vcc
	v_cndmask_b32_e32 v18, v19, v20, vcc
	v_lshlrev_b32_e32 v19, 16, v9
	v_mov_b32_e32 v20, 0x3b800000
	v_lshlrev_b32_e32 v12, 20, v12
	v_and_b32_e32 v19, 0x80000000, v19
	v_lshl_add_u32 v18, v18, 23, v20
	v_or3_b32 v18, v19, v18, v12
.LBB21_1840:
	s_or_b64 exec, exec, s[6:7]
	s_nop 0
	v_mfma_f32_16x16x4f32 a[0:3], v8, v18, a[0:3]
	s_movk_i32 s4, 0xff
	v_and_b32_sdwa v12, v13, s4 dst_sel:DWORD dst_unused:UNUSED_PAD src0_sel:WORD_1 src1_sel:DWORD
	s_movk_i32 s4, 0x7f
	v_cmp_lt_i16_e32 vcc, s4, v12
	s_mov_b64 s[4:5], 0
                                        ; implicit-def: $sgpr10
	s_and_saveexec_b64 s[6:7], vcc
	s_xor_b64 s[6:7], exec, s[6:7]
	s_cbranch_execnz .LBB21_3889
; %bb.1841:
	s_or_saveexec_b64 s[6:7], s[6:7]
	v_mov_b32_e32 v8, s10
	s_xor_b64 exec, exec, s[6:7]
	s_cbranch_execnz .LBB21_3892
.LBB21_1842:
	s_or_b64 exec, exec, s[6:7]
	s_and_saveexec_b64 s[6:7], s[4:5]
	s_cbranch_execz .LBB21_1844
.LBB21_1843:
	v_bfe_u32 v8, v13, 16, 3
	v_ffbh_u32_e32 v19, v8
	v_min_u32_e32 v19, 32, v19
	v_lshrrev_b32_e32 v12, 19, v13
	v_subrev_u32_e32 v20, 28, v19
	v_and_b32_e32 v12, 15, v12
	v_lshlrev_b32_sdwa v20, v20, v13 dst_sel:DWORD dst_unused:UNUSED_PAD src0_sel:DWORD src1_sel:WORD_1
	v_bfe_u32 v18, v13, 19, 4
	v_sub_u32_e32 v19, 29, v19
	v_and_b32_e32 v20, 7, v20
	v_cmp_eq_u16_e32 vcc, 0, v12
	v_cndmask_b32_e32 v8, v8, v20, vcc
	v_cndmask_b32_e32 v12, v18, v19, vcc
	v_lshlrev_b32_e32 v18, 8, v13
	v_mov_b32_e32 v19, 0x3b800000
	v_lshlrev_b32_e32 v8, 20, v8
	v_and_b32_e32 v18, 0x80000000, v18
	v_lshl_add_u32 v12, v12, 23, v19
	v_or3_b32 v8, v18, v12, v8
.LBB21_1844:
	s_or_b64 exec, exec, s[6:7]
	s_movk_i32 s4, 0xff
	v_and_b32_sdwa v12, v9, s4 dst_sel:DWORD dst_unused:UNUSED_PAD src0_sel:WORD_1 src1_sel:DWORD
	s_movk_i32 s4, 0x7f
	v_cmp_lt_i16_e32 vcc, s4, v12
	s_mov_b64 s[4:5], 0
                                        ; implicit-def: $sgpr10
	s_and_saveexec_b64 s[6:7], vcc
	s_xor_b64 s[6:7], exec, s[6:7]
	s_cbranch_execnz .LBB21_3893
; %bb.1845:
	s_or_saveexec_b64 s[6:7], s[6:7]
	v_mov_b32_e32 v18, s10
	s_xor_b64 exec, exec, s[6:7]
	s_cbranch_execnz .LBB21_3896
.LBB21_1846:
	s_or_b64 exec, exec, s[6:7]
	s_and_saveexec_b64 s[6:7], s[4:5]
	s_cbranch_execz .LBB21_1848
.LBB21_1847:
	v_bfe_u32 v12, v9, 16, 3
	v_ffbh_u32_e32 v20, v12
	v_min_u32_e32 v20, 32, v20
	v_lshrrev_b32_e32 v18, 19, v9
	v_subrev_u32_e32 v21, 28, v20
	v_and_b32_e32 v18, 15, v18
	v_lshlrev_b32_sdwa v21, v21, v9 dst_sel:DWORD dst_unused:UNUSED_PAD src0_sel:DWORD src1_sel:WORD_1
	v_bfe_u32 v19, v9, 19, 4
	v_sub_u32_e32 v20, 29, v20
	v_and_b32_e32 v21, 7, v21
	v_cmp_eq_u16_e32 vcc, 0, v18
	v_cndmask_b32_e32 v12, v12, v21, vcc
	v_cndmask_b32_e32 v18, v19, v20, vcc
	v_lshlrev_b32_e32 v19, 8, v9
	v_mov_b32_e32 v20, 0x3b800000
	v_lshlrev_b32_e32 v12, 20, v12
	v_and_b32_e32 v19, 0x80000000, v19
	v_lshl_add_u32 v18, v18, 23, v20
	v_or3_b32 v18, v19, v18, v12
.LBB21_1848:
	s_or_b64 exec, exec, s[6:7]
	s_nop 0
	v_mfma_f32_16x16x4f32 a[0:3], v8, v18, a[0:3]
	s_movk_i32 s4, 0x7f
	v_cmp_gt_i16_sdwa s[6:7], v13, s4 src0_sel:BYTE_3 src1_sel:DWORD
	s_mov_b64 s[4:5], 0
                                        ; implicit-def: $sgpr10
	s_and_saveexec_b64 s[8:9], s[6:7]
	s_xor_b64 s[6:7], exec, s[8:9]
	s_cbranch_execnz .LBB21_3897
; %bb.1849:
	s_or_saveexec_b64 s[6:7], s[6:7]
	v_mov_b32_e32 v8, s10
	s_xor_b64 exec, exec, s[6:7]
	s_cbranch_execnz .LBB21_3900
.LBB21_1850:
	s_or_b64 exec, exec, s[6:7]
	s_and_saveexec_b64 s[6:7], s[4:5]
	s_cbranch_execz .LBB21_1852
.LBB21_1851:
	v_bfe_u32 v8, v13, 24, 3
	v_ffbh_u32_e32 v20, v8
	v_min_u32_e32 v20, 32, v20
	v_lshrrev_b32_e32 v18, 27, v13
	v_subrev_u32_e32 v21, 28, v20
	v_and_b32_e32 v12, 0x80000000, v13
	v_and_b32_e32 v18, 15, v18
	v_bfe_u32 v19, v13, 27, 4
	v_lshlrev_b32_sdwa v13, v21, v13 dst_sel:DWORD dst_unused:UNUSED_PAD src0_sel:DWORD src1_sel:BYTE_3
	v_sub_u32_e32 v20, 29, v20
	v_and_b32_e32 v13, 7, v13
	v_cmp_eq_u16_e32 vcc, 0, v18
	v_cndmask_b32_e32 v8, v8, v13, vcc
	v_cndmask_b32_e32 v13, v19, v20, vcc
	v_mov_b32_e32 v18, 0x3b800000
	v_lshlrev_b32_e32 v8, 20, v8
	v_lshl_add_u32 v13, v13, 23, v18
	v_or3_b32 v8, v12, v13, v8
.LBB21_1852:
	s_or_b64 exec, exec, s[6:7]
	s_movk_i32 s4, 0x7f
	v_cmp_gt_i16_sdwa s[6:7], v9, s4 src0_sel:BYTE_3 src1_sel:DWORD
	s_mov_b64 s[4:5], 0
                                        ; implicit-def: $sgpr10
	s_and_saveexec_b64 s[8:9], s[6:7]
	s_xor_b64 s[6:7], exec, s[8:9]
	s_cbranch_execnz .LBB21_3901
; %bb.1853:
	s_or_saveexec_b64 s[6:7], s[6:7]
	v_mov_b32_e32 v12, s10
	s_xor_b64 exec, exec, s[6:7]
	s_cbranch_execnz .LBB21_3904
.LBB21_1854:
	s_or_b64 exec, exec, s[6:7]
	s_and_saveexec_b64 s[6:7], s[4:5]
	s_cbranch_execz .LBB21_1856
.LBB21_1855:
	v_bfe_u32 v12, v9, 24, 3
	v_ffbh_u32_e32 v20, v12
	v_min_u32_e32 v20, 32, v20
	v_lshrrev_b32_e32 v18, 27, v9
	v_subrev_u32_e32 v21, 28, v20
	v_and_b32_e32 v13, 0x80000000, v9
	v_and_b32_e32 v18, 15, v18
	v_bfe_u32 v19, v9, 27, 4
	v_lshlrev_b32_sdwa v9, v21, v9 dst_sel:DWORD dst_unused:UNUSED_PAD src0_sel:DWORD src1_sel:BYTE_3
	v_sub_u32_e32 v20, 29, v20
	v_and_b32_e32 v9, 7, v9
	v_cmp_eq_u16_e32 vcc, 0, v18
	v_cndmask_b32_e32 v9, v12, v9, vcc
	v_cndmask_b32_e32 v12, v19, v20, vcc
	v_mov_b32_e32 v18, 0x3b800000
	v_lshlrev_b32_e32 v9, 20, v9
	v_lshl_add_u32 v12, v12, 23, v18
	v_or3_b32 v12, v13, v12, v9
.LBB21_1856:
	s_or_b64 exec, exec, s[6:7]
	s_nop 0
	v_mfma_f32_16x16x4f32 a[0:3], v8, v12, a[0:3]
	s_movk_i32 s4, 0x7f
	v_cmp_gt_i16_sdwa s[6:7], v14, s4 src0_sel:BYTE_0 src1_sel:DWORD
	s_mov_b64 s[4:5], 0
                                        ; implicit-def: $sgpr10
	s_and_saveexec_b64 s[8:9], s[6:7]
	s_xor_b64 s[6:7], exec, s[8:9]
	s_cbranch_execnz .LBB21_3905
; %bb.1857:
	s_or_saveexec_b64 s[6:7], s[6:7]
	v_mov_b32_e32 v8, s10
	s_xor_b64 exec, exec, s[6:7]
	s_cbranch_execnz .LBB21_3908
.LBB21_1858:
	s_or_b64 exec, exec, s[6:7]
	s_and_saveexec_b64 s[6:7], s[4:5]
	s_cbranch_execz .LBB21_1860
.LBB21_1859:
	v_and_b32_e32 v8, 7, v14
	v_ffbh_u32_e32 v12, v8
	v_min_u32_e32 v12, 32, v12
	v_lshrrev_b16_e32 v9, 3, v14
	v_subrev_u32_e32 v13, 28, v12
	v_and_b32_e32 v9, 15, v9
	v_lshlrev_b32_e32 v13, v13, v14
	v_sub_u32_e32 v12, 29, v12
	v_and_b32_e32 v13, 7, v13
	v_cmp_eq_u16_e32 vcc, 0, v9
	v_cndmask_b32_e32 v8, v8, v13, vcc
	v_cndmask_b32_e32 v9, v9, v12, vcc
	v_lshlrev_b32_e32 v12, 24, v14
	v_mov_b32_e32 v13, 0x3b800000
	v_lshlrev_b32_e32 v8, 20, v8
	v_and_b32_e32 v12, 0x80000000, v12
	v_lshl_add_u32 v9, v9, 23, v13
	v_or3_b32 v8, v12, v9, v8
.LBB21_1860:
	s_or_b64 exec, exec, s[6:7]
	s_movk_i32 s4, 0x7f
	v_cmp_gt_i16_sdwa s[6:7], v10, s4 src0_sel:BYTE_0 src1_sel:DWORD
	s_mov_b64 s[4:5], 0
                                        ; implicit-def: $sgpr10
	s_and_saveexec_b64 s[8:9], s[6:7]
	s_xor_b64 s[6:7], exec, s[8:9]
	s_cbranch_execnz .LBB21_3909
; %bb.1861:
	s_or_saveexec_b64 s[6:7], s[6:7]
	v_mov_b32_e32 v9, s10
	s_xor_b64 exec, exec, s[6:7]
	s_cbranch_execnz .LBB21_3912
.LBB21_1862:
	s_or_b64 exec, exec, s[6:7]
	s_and_saveexec_b64 s[6:7], s[4:5]
	s_cbranch_execz .LBB21_1864
.LBB21_1863:
	v_and_b32_e32 v9, 7, v10
	v_ffbh_u32_e32 v13, v9
	v_min_u32_e32 v13, 32, v13
	v_lshrrev_b16_e32 v12, 3, v10
	v_subrev_u32_e32 v18, 28, v13
	v_and_b32_e32 v12, 15, v12
	v_lshlrev_b32_e32 v18, v18, v10
	v_sub_u32_e32 v13, 29, v13
	v_and_b32_e32 v18, 7, v18
	v_cmp_eq_u16_e32 vcc, 0, v12
	v_cndmask_b32_e32 v9, v9, v18, vcc
	v_cndmask_b32_e32 v12, v12, v13, vcc
	v_lshlrev_b32_e32 v13, 24, v10
	v_mov_b32_e32 v18, 0x3b800000
	v_lshlrev_b32_e32 v9, 20, v9
	v_and_b32_e32 v13, 0x80000000, v13
	v_lshl_add_u32 v12, v12, 23, v18
	v_or3_b32 v9, v13, v12, v9
.LBB21_1864:
	s_or_b64 exec, exec, s[6:7]
	s_nop 0
	v_mfma_f32_16x16x4f32 a[0:3], v8, v9, a[0:3]
	v_lshrrev_b32_e32 v9, 8, v14
	s_movk_i32 s4, 0x7f
	v_cmp_gt_i16_sdwa s[6:7], v9, s4 src0_sel:BYTE_0 src1_sel:DWORD
	s_mov_b64 s[4:5], 0
                                        ; implicit-def: $sgpr10
	s_and_saveexec_b64 s[8:9], s[6:7]
	s_xor_b64 s[6:7], exec, s[8:9]
	s_cbranch_execnz .LBB21_3913
; %bb.1865:
	s_or_saveexec_b64 s[6:7], s[6:7]
	v_mov_b32_e32 v8, s10
	s_xor_b64 exec, exec, s[6:7]
	s_cbranch_execnz .LBB21_3916
.LBB21_1866:
	s_or_b64 exec, exec, s[6:7]
	s_and_saveexec_b64 s[6:7], s[4:5]
	s_cbranch_execz .LBB21_1868
.LBB21_1867:
	v_bfe_u32 v8, v14, 8, 3
	v_ffbh_u32_e32 v13, v8
	v_min_u32_e32 v13, 32, v13
	v_lshrrev_b16_e32 v12, 3, v9
	v_subrev_u32_e32 v18, 28, v13
	v_and_b32_e32 v12, 15, v12
	v_lshlrev_b32_e32 v9, v18, v9
	v_sub_u32_e32 v13, 29, v13
	v_and_b32_e32 v9, 7, v9
	v_cmp_eq_u16_e32 vcc, 0, v12
	v_cndmask_b32_e32 v8, v8, v9, vcc
	v_cndmask_b32_e32 v9, v12, v13, vcc
	v_lshlrev_b32_e32 v12, 16, v14
	v_mov_b32_e32 v13, 0x3b800000
	v_lshlrev_b32_e32 v8, 20, v8
	v_and_b32_e32 v12, 0x80000000, v12
	v_lshl_add_u32 v9, v9, 23, v13
	v_or3_b32 v8, v12, v9, v8
.LBB21_1868:
	s_or_b64 exec, exec, s[6:7]
	v_lshrrev_b32_e32 v9, 8, v10
	s_movk_i32 s4, 0x7f
	v_cmp_gt_i16_sdwa s[6:7], v9, s4 src0_sel:BYTE_0 src1_sel:DWORD
	s_mov_b64 s[4:5], 0
                                        ; implicit-def: $sgpr10
	s_and_saveexec_b64 s[8:9], s[6:7]
	s_xor_b64 s[6:7], exec, s[8:9]
	s_cbranch_execnz .LBB21_3917
; %bb.1869:
	s_or_saveexec_b64 s[6:7], s[6:7]
	v_mov_b32_e32 v12, s10
	s_xor_b64 exec, exec, s[6:7]
	s_cbranch_execnz .LBB21_3920
.LBB21_1870:
	s_or_b64 exec, exec, s[6:7]
	s_and_saveexec_b64 s[6:7], s[4:5]
	s_cbranch_execz .LBB21_1872
.LBB21_1871:
	v_bfe_u32 v12, v10, 8, 3
	v_ffbh_u32_e32 v18, v12
	v_min_u32_e32 v18, 32, v18
	v_lshrrev_b16_e32 v13, 3, v9
	v_subrev_u32_e32 v19, 28, v18
	v_and_b32_e32 v13, 15, v13
	v_lshlrev_b32_e32 v9, v19, v9
	v_sub_u32_e32 v18, 29, v18
	v_and_b32_e32 v9, 7, v9
	v_cmp_eq_u16_e32 vcc, 0, v13
	v_cndmask_b32_e32 v9, v12, v9, vcc
	v_cndmask_b32_e32 v12, v13, v18, vcc
	v_lshlrev_b32_e32 v13, 16, v10
	v_mov_b32_e32 v18, 0x3b800000
	v_lshlrev_b32_e32 v9, 20, v9
	v_and_b32_e32 v13, 0x80000000, v13
	v_lshl_add_u32 v12, v12, 23, v18
	v_or3_b32 v12, v13, v12, v9
.LBB21_1872:
	s_or_b64 exec, exec, s[6:7]
	s_nop 0
	v_mfma_f32_16x16x4f32 a[0:3], v8, v12, a[0:3]
	s_movk_i32 s4, 0xff
	v_and_b32_sdwa v9, v14, s4 dst_sel:DWORD dst_unused:UNUSED_PAD src0_sel:WORD_1 src1_sel:DWORD
	s_movk_i32 s4, 0x7f
	v_cmp_lt_i16_e32 vcc, s4, v9
	s_mov_b64 s[4:5], 0
                                        ; implicit-def: $sgpr10
	s_and_saveexec_b64 s[6:7], vcc
	s_xor_b64 s[6:7], exec, s[6:7]
	s_cbranch_execnz .LBB21_3921
; %bb.1873:
	s_or_saveexec_b64 s[6:7], s[6:7]
	v_mov_b32_e32 v8, s10
	s_xor_b64 exec, exec, s[6:7]
	s_cbranch_execnz .LBB21_3924
.LBB21_1874:
	s_or_b64 exec, exec, s[6:7]
	s_and_saveexec_b64 s[6:7], s[4:5]
	s_cbranch_execz .LBB21_1876
.LBB21_1875:
	v_bfe_u32 v8, v14, 16, 3
	v_ffbh_u32_e32 v13, v8
	v_min_u32_e32 v13, 32, v13
	v_lshrrev_b32_e32 v9, 19, v14
	v_subrev_u32_e32 v18, 28, v13
	v_and_b32_e32 v9, 15, v9
	v_lshlrev_b32_sdwa v18, v18, v14 dst_sel:DWORD dst_unused:UNUSED_PAD src0_sel:DWORD src1_sel:WORD_1
	v_bfe_u32 v12, v14, 19, 4
	v_sub_u32_e32 v13, 29, v13
	v_and_b32_e32 v18, 7, v18
	v_cmp_eq_u16_e32 vcc, 0, v9
	v_cndmask_b32_e32 v8, v8, v18, vcc
	v_cndmask_b32_e32 v9, v12, v13, vcc
	v_lshlrev_b32_e32 v12, 8, v14
	v_mov_b32_e32 v13, 0x3b800000
	v_lshlrev_b32_e32 v8, 20, v8
	v_and_b32_e32 v12, 0x80000000, v12
	v_lshl_add_u32 v9, v9, 23, v13
	v_or3_b32 v8, v12, v9, v8
.LBB21_1876:
	s_or_b64 exec, exec, s[6:7]
	s_movk_i32 s4, 0xff
	v_and_b32_sdwa v9, v10, s4 dst_sel:DWORD dst_unused:UNUSED_PAD src0_sel:WORD_1 src1_sel:DWORD
	s_movk_i32 s4, 0x7f
	v_cmp_lt_i16_e32 vcc, s4, v9
	s_mov_b64 s[4:5], 0
                                        ; implicit-def: $sgpr10
	s_and_saveexec_b64 s[6:7], vcc
	s_xor_b64 s[6:7], exec, s[6:7]
	s_cbranch_execnz .LBB21_3925
; %bb.1877:
	s_or_saveexec_b64 s[6:7], s[6:7]
	v_mov_b32_e32 v12, s10
	s_xor_b64 exec, exec, s[6:7]
	s_cbranch_execnz .LBB21_3928
.LBB21_1878:
	s_or_b64 exec, exec, s[6:7]
	s_and_saveexec_b64 s[6:7], s[4:5]
	s_cbranch_execz .LBB21_1880
.LBB21_1879:
	v_bfe_u32 v9, v10, 16, 3
	v_ffbh_u32_e32 v18, v9
	v_min_u32_e32 v18, 32, v18
	v_lshrrev_b32_e32 v12, 19, v10
	v_subrev_u32_e32 v19, 28, v18
	v_and_b32_e32 v12, 15, v12
	v_lshlrev_b32_sdwa v19, v19, v10 dst_sel:DWORD dst_unused:UNUSED_PAD src0_sel:DWORD src1_sel:WORD_1
	v_bfe_u32 v13, v10, 19, 4
	v_sub_u32_e32 v18, 29, v18
	v_and_b32_e32 v19, 7, v19
	v_cmp_eq_u16_e32 vcc, 0, v12
	v_cndmask_b32_e32 v9, v9, v19, vcc
	v_cndmask_b32_e32 v12, v13, v18, vcc
	v_lshlrev_b32_e32 v13, 8, v10
	v_mov_b32_e32 v18, 0x3b800000
	v_lshlrev_b32_e32 v9, 20, v9
	v_and_b32_e32 v13, 0x80000000, v13
	v_lshl_add_u32 v12, v12, 23, v18
	v_or3_b32 v12, v13, v12, v9
.LBB21_1880:
	s_or_b64 exec, exec, s[6:7]
	s_nop 0
	v_mfma_f32_16x16x4f32 a[0:3], v8, v12, a[0:3]
	s_movk_i32 s4, 0x7f
	v_cmp_gt_i16_sdwa s[6:7], v14, s4 src0_sel:BYTE_3 src1_sel:DWORD
	s_mov_b64 s[4:5], 0
                                        ; implicit-def: $sgpr10
	s_and_saveexec_b64 s[8:9], s[6:7]
	s_xor_b64 s[6:7], exec, s[8:9]
	s_cbranch_execnz .LBB21_3929
; %bb.1881:
	s_or_saveexec_b64 s[6:7], s[6:7]
	v_mov_b32_e32 v8, s10
	s_xor_b64 exec, exec, s[6:7]
	s_cbranch_execnz .LBB21_3932
.LBB21_1882:
	s_or_b64 exec, exec, s[6:7]
	s_and_saveexec_b64 s[6:7], s[4:5]
	s_cbranch_execz .LBB21_1884
.LBB21_1883:
	v_bfe_u32 v8, v14, 24, 3
	v_ffbh_u32_e32 v18, v8
	v_min_u32_e32 v18, 32, v18
	v_lshrrev_b32_e32 v12, 27, v14
	v_subrev_u32_e32 v19, 28, v18
	v_and_b32_e32 v9, 0x80000000, v14
	v_and_b32_e32 v12, 15, v12
	v_bfe_u32 v13, v14, 27, 4
	v_lshlrev_b32_sdwa v14, v19, v14 dst_sel:DWORD dst_unused:UNUSED_PAD src0_sel:DWORD src1_sel:BYTE_3
	v_sub_u32_e32 v18, 29, v18
	v_and_b32_e32 v14, 7, v14
	v_cmp_eq_u16_e32 vcc, 0, v12
	v_cndmask_b32_e32 v8, v8, v14, vcc
	v_cndmask_b32_e32 v12, v13, v18, vcc
	v_mov_b32_e32 v13, 0x3b800000
	v_lshlrev_b32_e32 v8, 20, v8
	v_lshl_add_u32 v12, v12, 23, v13
	v_or3_b32 v8, v9, v12, v8
.LBB21_1884:
	s_or_b64 exec, exec, s[6:7]
	s_movk_i32 s4, 0x7f
	v_cmp_gt_i16_sdwa s[6:7], v10, s4 src0_sel:BYTE_3 src1_sel:DWORD
	s_mov_b64 s[4:5], 0
                                        ; implicit-def: $sgpr10
	s_and_saveexec_b64 s[8:9], s[6:7]
	s_xor_b64 s[6:7], exec, s[8:9]
	s_cbranch_execnz .LBB21_3933
; %bb.1885:
	s_or_saveexec_b64 s[6:7], s[6:7]
	v_mov_b32_e32 v9, s10
	s_xor_b64 exec, exec, s[6:7]
	s_cbranch_execnz .LBB21_3936
.LBB21_1886:
	s_or_b64 exec, exec, s[6:7]
	s_and_saveexec_b64 s[6:7], s[4:5]
	s_cbranch_execz .LBB21_1888
.LBB21_1887:
	v_bfe_u32 v9, v10, 24, 3
	v_ffbh_u32_e32 v18, v9
	v_min_u32_e32 v18, 32, v18
	v_lshrrev_b32_e32 v13, 27, v10
	v_subrev_u32_e32 v19, 28, v18
	v_and_b32_e32 v12, 0x80000000, v10
	v_and_b32_e32 v13, 15, v13
	v_bfe_u32 v14, v10, 27, 4
	v_lshlrev_b32_sdwa v10, v19, v10 dst_sel:DWORD dst_unused:UNUSED_PAD src0_sel:DWORD src1_sel:BYTE_3
	v_sub_u32_e32 v18, 29, v18
	v_and_b32_e32 v10, 7, v10
	v_cmp_eq_u16_e32 vcc, 0, v13
	v_cndmask_b32_e32 v9, v9, v10, vcc
	v_cndmask_b32_e32 v10, v14, v18, vcc
	v_mov_b32_e32 v13, 0x3b800000
	v_lshlrev_b32_e32 v9, 20, v9
	v_lshl_add_u32 v10, v10, 23, v13
	v_or3_b32 v9, v12, v10, v9
.LBB21_1888:
	s_or_b64 exec, exec, s[6:7]
	s_nop 0
	v_mfma_f32_16x16x4f32 a[0:3], v8, v9, a[0:3]
	s_movk_i32 s4, 0x7f
	v_cmp_gt_i16_sdwa s[6:7], v15, s4 src0_sel:BYTE_0 src1_sel:DWORD
	s_mov_b64 s[4:5], 0
                                        ; implicit-def: $sgpr10
	s_and_saveexec_b64 s[8:9], s[6:7]
	s_xor_b64 s[6:7], exec, s[8:9]
	s_cbranch_execnz .LBB21_3937
; %bb.1889:
	s_or_saveexec_b64 s[6:7], s[6:7]
	v_mov_b32_e32 v8, s10
	s_xor_b64 exec, exec, s[6:7]
	s_cbranch_execnz .LBB21_3940
.LBB21_1890:
	s_or_b64 exec, exec, s[6:7]
	s_and_saveexec_b64 s[6:7], s[4:5]
	s_cbranch_execz .LBB21_1892
.LBB21_1891:
	v_and_b32_e32 v8, 7, v15
	v_ffbh_u32_e32 v10, v8
	v_min_u32_e32 v10, 32, v10
	v_lshrrev_b16_e32 v9, 3, v15
	v_subrev_u32_e32 v12, 28, v10
	v_and_b32_e32 v9, 15, v9
	v_lshlrev_b32_e32 v12, v12, v15
	v_sub_u32_e32 v10, 29, v10
	v_and_b32_e32 v12, 7, v12
	v_cmp_eq_u16_e32 vcc, 0, v9
	v_cndmask_b32_e32 v8, v8, v12, vcc
	v_cndmask_b32_e32 v9, v9, v10, vcc
	v_lshlrev_b32_e32 v10, 24, v15
	v_mov_b32_e32 v12, 0x3b800000
	v_lshlrev_b32_e32 v8, 20, v8
	v_and_b32_e32 v10, 0x80000000, v10
	v_lshl_add_u32 v9, v9, 23, v12
	v_or3_b32 v8, v10, v9, v8
.LBB21_1892:
	s_or_b64 exec, exec, s[6:7]
	s_movk_i32 s4, 0x7f
	v_cmp_gt_i16_sdwa s[6:7], v11, s4 src0_sel:BYTE_0 src1_sel:DWORD
	s_mov_b64 s[4:5], 0
                                        ; implicit-def: $sgpr10
	s_and_saveexec_b64 s[8:9], s[6:7]
	s_xor_b64 s[6:7], exec, s[8:9]
	s_cbranch_execnz .LBB21_3941
; %bb.1893:
	s_or_saveexec_b64 s[6:7], s[6:7]
	v_mov_b32_e32 v9, s10
	s_xor_b64 exec, exec, s[6:7]
	s_cbranch_execnz .LBB21_3944
.LBB21_1894:
	s_or_b64 exec, exec, s[6:7]
	s_and_saveexec_b64 s[6:7], s[4:5]
	s_cbranch_execz .LBB21_1896
.LBB21_1895:
	v_and_b32_e32 v9, 7, v11
	v_ffbh_u32_e32 v12, v9
	v_min_u32_e32 v12, 32, v12
	v_lshrrev_b16_e32 v10, 3, v11
	v_subrev_u32_e32 v13, 28, v12
	v_and_b32_e32 v10, 15, v10
	v_lshlrev_b32_e32 v13, v13, v11
	v_sub_u32_e32 v12, 29, v12
	v_and_b32_e32 v13, 7, v13
	v_cmp_eq_u16_e32 vcc, 0, v10
	v_cndmask_b32_e32 v9, v9, v13, vcc
	v_cndmask_b32_e32 v10, v10, v12, vcc
	v_lshlrev_b32_e32 v12, 24, v11
	v_mov_b32_e32 v13, 0x3b800000
	v_lshlrev_b32_e32 v9, 20, v9
	v_and_b32_e32 v12, 0x80000000, v12
	v_lshl_add_u32 v10, v10, 23, v13
	v_or3_b32 v9, v12, v10, v9
.LBB21_1896:
	s_or_b64 exec, exec, s[6:7]
	s_nop 0
	v_mfma_f32_16x16x4f32 a[0:3], v8, v9, a[0:3]
	v_lshrrev_b32_e32 v9, 8, v15
	s_movk_i32 s4, 0x7f
	v_cmp_gt_i16_sdwa s[6:7], v9, s4 src0_sel:BYTE_0 src1_sel:DWORD
	s_mov_b64 s[4:5], 0
                                        ; implicit-def: $sgpr10
	s_and_saveexec_b64 s[8:9], s[6:7]
	s_xor_b64 s[6:7], exec, s[8:9]
	s_cbranch_execnz .LBB21_3945
; %bb.1897:
	s_or_saveexec_b64 s[6:7], s[6:7]
	v_mov_b32_e32 v8, s10
	s_xor_b64 exec, exec, s[6:7]
	s_cbranch_execnz .LBB21_3948
.LBB21_1898:
	s_or_b64 exec, exec, s[6:7]
	s_and_saveexec_b64 s[6:7], s[4:5]
	s_cbranch_execz .LBB21_1900
.LBB21_1899:
	v_bfe_u32 v8, v15, 8, 3
	v_ffbh_u32_e32 v12, v8
	v_min_u32_e32 v12, 32, v12
	v_lshrrev_b16_e32 v10, 3, v9
	v_subrev_u32_e32 v13, 28, v12
	v_and_b32_e32 v10, 15, v10
	v_lshlrev_b32_e32 v9, v13, v9
	v_sub_u32_e32 v12, 29, v12
	v_and_b32_e32 v9, 7, v9
	v_cmp_eq_u16_e32 vcc, 0, v10
	v_cndmask_b32_e32 v8, v8, v9, vcc
	v_cndmask_b32_e32 v9, v10, v12, vcc
	v_lshlrev_b32_e32 v10, 16, v15
	v_mov_b32_e32 v12, 0x3b800000
	v_lshlrev_b32_e32 v8, 20, v8
	v_and_b32_e32 v10, 0x80000000, v10
	v_lshl_add_u32 v9, v9, 23, v12
	v_or3_b32 v8, v10, v9, v8
.LBB21_1900:
	s_or_b64 exec, exec, s[6:7]
	v_lshrrev_b32_e32 v9, 8, v11
	s_movk_i32 s4, 0x7f
	v_cmp_gt_i16_sdwa s[6:7], v9, s4 src0_sel:BYTE_0 src1_sel:DWORD
	s_mov_b64 s[4:5], 0
                                        ; implicit-def: $sgpr10
	s_and_saveexec_b64 s[8:9], s[6:7]
	s_xor_b64 s[6:7], exec, s[8:9]
	s_cbranch_execnz .LBB21_3949
; %bb.1901:
	s_or_saveexec_b64 s[6:7], s[6:7]
	v_mov_b32_e32 v10, s10
	s_xor_b64 exec, exec, s[6:7]
	s_cbranch_execnz .LBB21_3952
.LBB21_1902:
	s_or_b64 exec, exec, s[6:7]
	s_and_saveexec_b64 s[6:7], s[4:5]
	s_cbranch_execz .LBB21_1904
.LBB21_1903:
	v_bfe_u32 v10, v11, 8, 3
	v_ffbh_u32_e32 v13, v10
	v_min_u32_e32 v13, 32, v13
	v_lshrrev_b16_e32 v12, 3, v9
	v_subrev_u32_e32 v14, 28, v13
	v_and_b32_e32 v12, 15, v12
	v_lshlrev_b32_e32 v9, v14, v9
	v_sub_u32_e32 v13, 29, v13
	v_and_b32_e32 v9, 7, v9
	v_cmp_eq_u16_e32 vcc, 0, v12
	v_cndmask_b32_e32 v9, v10, v9, vcc
	v_cndmask_b32_e32 v10, v12, v13, vcc
	v_lshlrev_b32_e32 v12, 16, v11
	v_mov_b32_e32 v13, 0x3b800000
	v_lshlrev_b32_e32 v9, 20, v9
	v_and_b32_e32 v12, 0x80000000, v12
	v_lshl_add_u32 v10, v10, 23, v13
	v_or3_b32 v10, v12, v10, v9
.LBB21_1904:
	s_or_b64 exec, exec, s[6:7]
	s_nop 0
	v_mfma_f32_16x16x4f32 a[0:3], v8, v10, a[0:3]
	s_movk_i32 s4, 0xff
	v_and_b32_sdwa v9, v15, s4 dst_sel:DWORD dst_unused:UNUSED_PAD src0_sel:WORD_1 src1_sel:DWORD
	s_movk_i32 s4, 0x7f
	v_cmp_lt_i16_e32 vcc, s4, v9
	s_mov_b64 s[4:5], 0
                                        ; implicit-def: $sgpr10
	s_and_saveexec_b64 s[6:7], vcc
	s_xor_b64 s[6:7], exec, s[6:7]
	s_cbranch_execnz .LBB21_3953
; %bb.1905:
	s_or_saveexec_b64 s[6:7], s[6:7]
	v_mov_b32_e32 v8, s10
	s_xor_b64 exec, exec, s[6:7]
	s_cbranch_execnz .LBB21_3956
.LBB21_1906:
	s_or_b64 exec, exec, s[6:7]
	s_and_saveexec_b64 s[6:7], s[4:5]
	s_cbranch_execz .LBB21_1908
.LBB21_1907:
	v_bfe_u32 v8, v15, 16, 3
	v_ffbh_u32_e32 v12, v8
	v_min_u32_e32 v12, 32, v12
	v_lshrrev_b32_e32 v9, 19, v15
	v_subrev_u32_e32 v13, 28, v12
	v_and_b32_e32 v9, 15, v9
	v_lshlrev_b32_sdwa v13, v13, v15 dst_sel:DWORD dst_unused:UNUSED_PAD src0_sel:DWORD src1_sel:WORD_1
	v_bfe_u32 v10, v15, 19, 4
	v_sub_u32_e32 v12, 29, v12
	v_and_b32_e32 v13, 7, v13
	v_cmp_eq_u16_e32 vcc, 0, v9
	v_cndmask_b32_e32 v8, v8, v13, vcc
	v_cndmask_b32_e32 v9, v10, v12, vcc
	v_lshlrev_b32_e32 v10, 8, v15
	v_mov_b32_e32 v12, 0x3b800000
	v_lshlrev_b32_e32 v8, 20, v8
	v_and_b32_e32 v10, 0x80000000, v10
	v_lshl_add_u32 v9, v9, 23, v12
	v_or3_b32 v8, v10, v9, v8
.LBB21_1908:
	s_or_b64 exec, exec, s[6:7]
	s_movk_i32 s4, 0xff
	v_and_b32_sdwa v9, v11, s4 dst_sel:DWORD dst_unused:UNUSED_PAD src0_sel:WORD_1 src1_sel:DWORD
	s_movk_i32 s4, 0x7f
	v_cmp_lt_i16_e32 vcc, s4, v9
	s_mov_b64 s[4:5], 0
                                        ; implicit-def: $sgpr10
	s_and_saveexec_b64 s[6:7], vcc
	s_xor_b64 s[6:7], exec, s[6:7]
	s_cbranch_execnz .LBB21_3957
; %bb.1909:
	s_or_saveexec_b64 s[6:7], s[6:7]
	v_mov_b32_e32 v10, s10
	s_xor_b64 exec, exec, s[6:7]
	s_cbranch_execnz .LBB21_3960
.LBB21_1910:
	s_or_b64 exec, exec, s[6:7]
	s_and_saveexec_b64 s[6:7], s[4:5]
	s_cbranch_execz .LBB21_1912
.LBB21_1911:
	v_bfe_u32 v9, v11, 16, 3
	v_ffbh_u32_e32 v13, v9
	v_min_u32_e32 v13, 32, v13
	v_lshrrev_b32_e32 v10, 19, v11
	v_subrev_u32_e32 v14, 28, v13
	v_and_b32_e32 v10, 15, v10
	v_lshlrev_b32_sdwa v14, v14, v11 dst_sel:DWORD dst_unused:UNUSED_PAD src0_sel:DWORD src1_sel:WORD_1
	v_bfe_u32 v12, v11, 19, 4
	v_sub_u32_e32 v13, 29, v13
	v_and_b32_e32 v14, 7, v14
	v_cmp_eq_u16_e32 vcc, 0, v10
	v_cndmask_b32_e32 v9, v9, v14, vcc
	v_cndmask_b32_e32 v10, v12, v13, vcc
	v_lshlrev_b32_e32 v12, 8, v11
	v_mov_b32_e32 v13, 0x3b800000
	v_lshlrev_b32_e32 v9, 20, v9
	v_and_b32_e32 v12, 0x80000000, v12
	v_lshl_add_u32 v10, v10, 23, v13
	v_or3_b32 v10, v12, v10, v9
.LBB21_1912:
	s_or_b64 exec, exec, s[6:7]
	s_nop 0
	v_mfma_f32_16x16x4f32 a[0:3], v8, v10, a[0:3]
	s_movk_i32 s4, 0x7f
	v_cmp_gt_i16_sdwa s[6:7], v15, s4 src0_sel:BYTE_3 src1_sel:DWORD
	s_mov_b64 s[4:5], 0
                                        ; implicit-def: $sgpr10
	s_and_saveexec_b64 s[8:9], s[6:7]
	s_xor_b64 s[6:7], exec, s[8:9]
	s_cbranch_execnz .LBB21_3961
; %bb.1913:
	s_or_saveexec_b64 s[6:7], s[6:7]
	v_mov_b32_e32 v8, s10
	s_xor_b64 exec, exec, s[6:7]
	s_cbranch_execnz .LBB21_3964
.LBB21_1914:
	s_or_b64 exec, exec, s[6:7]
	s_and_saveexec_b64 s[6:7], s[4:5]
	s_cbranch_execz .LBB21_1916
.LBB21_1915:
	v_bfe_u32 v8, v15, 24, 3
	v_ffbh_u32_e32 v13, v8
	v_min_u32_e32 v13, 32, v13
	v_lshrrev_b32_e32 v10, 27, v15
	v_subrev_u32_e32 v14, 28, v13
	v_and_b32_e32 v10, 15, v10
	v_lshlrev_b32_sdwa v14, v14, v15 dst_sel:DWORD dst_unused:UNUSED_PAD src0_sel:DWORD src1_sel:BYTE_3
	v_bfe_u32 v12, v15, 27, 4
	v_sub_u32_e32 v13, 29, v13
	v_and_b32_e32 v14, 7, v14
	v_cmp_eq_u16_e32 vcc, 0, v10
	v_cndmask_b32_e32 v8, v8, v14, vcc
	v_cndmask_b32_e32 v10, v12, v13, vcc
	v_mov_b32_e32 v12, 0x3b800000
	v_and_b32_e32 v9, 0x80000000, v15
	v_lshlrev_b32_e32 v8, 20, v8
	v_lshl_add_u32 v10, v10, 23, v12
	v_or3_b32 v8, v9, v10, v8
.LBB21_1916:
	s_or_b64 exec, exec, s[6:7]
	s_movk_i32 s4, 0x7f
	v_cmp_gt_i16_sdwa s[6:7], v11, s4 src0_sel:BYTE_3 src1_sel:DWORD
	s_mov_b64 s[4:5], 0
                                        ; implicit-def: $sgpr10
	s_and_saveexec_b64 s[8:9], s[6:7]
	s_xor_b64 s[6:7], exec, s[8:9]
	s_cbranch_execnz .LBB21_3965
; %bb.1917:
	s_or_saveexec_b64 s[6:7], s[6:7]
	v_mov_b32_e32 v9, s10
	s_xor_b64 exec, exec, s[6:7]
	s_cbranch_execnz .LBB21_3968
.LBB21_1918:
	s_or_b64 exec, exec, s[6:7]
	s_and_saveexec_b64 s[6:7], s[4:5]
	s_cbranch_execz .LBB21_1920
.LBB21_1919:
	v_bfe_u32 v9, v11, 24, 3
	v_ffbh_u32_e32 v14, v9
	v_min_u32_e32 v14, 32, v14
	v_lshrrev_b32_e32 v12, 27, v11
	v_subrev_u32_e32 v15, 28, v14
	v_and_b32_e32 v10, 0x80000000, v11
	v_and_b32_e32 v12, 15, v12
	v_bfe_u32 v13, v11, 27, 4
	v_lshlrev_b32_sdwa v11, v15, v11 dst_sel:DWORD dst_unused:UNUSED_PAD src0_sel:DWORD src1_sel:BYTE_3
	v_sub_u32_e32 v14, 29, v14
	v_and_b32_e32 v11, 7, v11
	v_cmp_eq_u16_e32 vcc, 0, v12
	v_cndmask_b32_e32 v9, v9, v11, vcc
	v_cndmask_b32_e32 v11, v13, v14, vcc
	v_mov_b32_e32 v12, 0x3b800000
	v_lshlrev_b32_e32 v9, 20, v9
	v_lshl_add_u32 v11, v11, 23, v12
	v_or3_b32 v9, v10, v11, v9
.LBB21_1920:
	s_or_b64 exec, exec, s[6:7]
	s_nop 0
	v_mfma_f32_16x16x4f32 a[0:3], v8, v9, a[0:3]
	s_movk_i32 s4, 0x7f
	v_cmp_gt_i16_sdwa s[6:7], v4, s4 src0_sel:BYTE_0 src1_sel:DWORD
	s_mov_b64 s[4:5], 0
                                        ; implicit-def: $sgpr10
	s_and_saveexec_b64 s[8:9], s[6:7]
	s_xor_b64 s[6:7], exec, s[8:9]
	s_cbranch_execnz .LBB21_3969
; %bb.1921:
	s_or_saveexec_b64 s[6:7], s[6:7]
	v_mov_b32_e32 v8, s10
	s_xor_b64 exec, exec, s[6:7]
	s_cbranch_execnz .LBB21_3972
.LBB21_1922:
	s_or_b64 exec, exec, s[6:7]
	s_and_saveexec_b64 s[6:7], s[4:5]
	s_cbranch_execz .LBB21_1924
.LBB21_1923:
	v_and_b32_e32 v8, 7, v4
	v_ffbh_u32_e32 v10, v8
	v_min_u32_e32 v10, 32, v10
	v_lshrrev_b16_e32 v9, 3, v4
	v_subrev_u32_e32 v11, 28, v10
	v_and_b32_e32 v9, 15, v9
	v_lshlrev_b32_e32 v11, v11, v4
	v_sub_u32_e32 v10, 29, v10
	v_and_b32_e32 v11, 7, v11
	v_cmp_eq_u16_e32 vcc, 0, v9
	v_cndmask_b32_e32 v8, v8, v11, vcc
	v_cndmask_b32_e32 v9, v9, v10, vcc
	v_lshlrev_b32_e32 v10, 24, v4
	v_mov_b32_e32 v11, 0x3b800000
	v_lshlrev_b32_e32 v8, 20, v8
	v_and_b32_e32 v10, 0x80000000, v10
	v_lshl_add_u32 v9, v9, 23, v11
	v_or3_b32 v8, v10, v9, v8
.LBB21_1924:
	s_or_b64 exec, exec, s[6:7]
	s_movk_i32 s4, 0x7f
	v_cmp_gt_i16_sdwa s[6:7], v0, s4 src0_sel:BYTE_0 src1_sel:DWORD
	s_mov_b64 s[4:5], 0
                                        ; implicit-def: $sgpr10
	s_and_saveexec_b64 s[8:9], s[6:7]
	s_xor_b64 s[6:7], exec, s[8:9]
	s_cbranch_execnz .LBB21_3973
; %bb.1925:
	s_or_saveexec_b64 s[6:7], s[6:7]
	v_mov_b32_e32 v9, s10
	s_xor_b64 exec, exec, s[6:7]
	s_cbranch_execnz .LBB21_3976
.LBB21_1926:
	s_or_b64 exec, exec, s[6:7]
	s_and_saveexec_b64 s[6:7], s[4:5]
	s_cbranch_execz .LBB21_1928
.LBB21_1927:
	v_and_b32_e32 v9, 7, v0
	v_ffbh_u32_e32 v11, v9
	v_min_u32_e32 v11, 32, v11
	v_lshrrev_b16_e32 v10, 3, v0
	v_subrev_u32_e32 v12, 28, v11
	v_and_b32_e32 v10, 15, v10
	v_lshlrev_b32_e32 v12, v12, v0
	v_sub_u32_e32 v11, 29, v11
	v_and_b32_e32 v12, 7, v12
	v_cmp_eq_u16_e32 vcc, 0, v10
	v_cndmask_b32_e32 v9, v9, v12, vcc
	v_cndmask_b32_e32 v10, v10, v11, vcc
	v_lshlrev_b32_e32 v11, 24, v0
	v_mov_b32_e32 v12, 0x3b800000
	v_lshlrev_b32_e32 v9, 20, v9
	v_and_b32_e32 v11, 0x80000000, v11
	v_lshl_add_u32 v10, v10, 23, v12
	v_or3_b32 v9, v11, v10, v9
.LBB21_1928:
	s_or_b64 exec, exec, s[6:7]
	s_nop 0
	v_mfma_f32_16x16x4f32 a[0:3], v8, v9, a[0:3]
	v_lshrrev_b32_e32 v9, 8, v4
	s_movk_i32 s4, 0x7f
	v_cmp_gt_i16_sdwa s[6:7], v9, s4 src0_sel:BYTE_0 src1_sel:DWORD
	s_mov_b64 s[4:5], 0
                                        ; implicit-def: $sgpr10
	s_and_saveexec_b64 s[8:9], s[6:7]
	s_xor_b64 s[6:7], exec, s[8:9]
	s_cbranch_execnz .LBB21_3977
; %bb.1929:
	s_or_saveexec_b64 s[6:7], s[6:7]
	v_mov_b32_e32 v8, s10
	s_xor_b64 exec, exec, s[6:7]
	s_cbranch_execnz .LBB21_3980
.LBB21_1930:
	s_or_b64 exec, exec, s[6:7]
	s_and_saveexec_b64 s[6:7], s[4:5]
	s_cbranch_execz .LBB21_1932
.LBB21_1931:
	v_bfe_u32 v8, v4, 8, 3
	v_ffbh_u32_e32 v11, v8
	v_min_u32_e32 v11, 32, v11
	v_lshrrev_b16_e32 v10, 3, v9
	v_subrev_u32_e32 v12, 28, v11
	v_and_b32_e32 v10, 15, v10
	v_lshlrev_b32_e32 v9, v12, v9
	v_sub_u32_e32 v11, 29, v11
	v_and_b32_e32 v9, 7, v9
	v_cmp_eq_u16_e32 vcc, 0, v10
	v_cndmask_b32_e32 v8, v8, v9, vcc
	v_cndmask_b32_e32 v9, v10, v11, vcc
	v_lshlrev_b32_e32 v10, 16, v4
	v_mov_b32_e32 v11, 0x3b800000
	v_lshlrev_b32_e32 v8, 20, v8
	v_and_b32_e32 v10, 0x80000000, v10
	v_lshl_add_u32 v9, v9, 23, v11
	v_or3_b32 v8, v10, v9, v8
.LBB21_1932:
	s_or_b64 exec, exec, s[6:7]
	v_lshrrev_b32_e32 v9, 8, v0
	s_movk_i32 s4, 0x7f
	v_cmp_gt_i16_sdwa s[6:7], v9, s4 src0_sel:BYTE_0 src1_sel:DWORD
	s_mov_b64 s[4:5], 0
                                        ; implicit-def: $sgpr10
	s_and_saveexec_b64 s[8:9], s[6:7]
	s_xor_b64 s[6:7], exec, s[8:9]
	s_cbranch_execnz .LBB21_3981
; %bb.1933:
	s_or_saveexec_b64 s[6:7], s[6:7]
	v_mov_b32_e32 v10, s10
	s_xor_b64 exec, exec, s[6:7]
	s_cbranch_execnz .LBB21_3984
.LBB21_1934:
	s_or_b64 exec, exec, s[6:7]
	s_and_saveexec_b64 s[6:7], s[4:5]
	s_cbranch_execz .LBB21_1936
.LBB21_1935:
	v_bfe_u32 v10, v0, 8, 3
	v_ffbh_u32_e32 v12, v10
	v_min_u32_e32 v12, 32, v12
	v_lshrrev_b16_e32 v11, 3, v9
	v_subrev_u32_e32 v13, 28, v12
	v_and_b32_e32 v11, 15, v11
	v_lshlrev_b32_e32 v9, v13, v9
	v_sub_u32_e32 v12, 29, v12
	v_and_b32_e32 v9, 7, v9
	v_cmp_eq_u16_e32 vcc, 0, v11
	v_cndmask_b32_e32 v9, v10, v9, vcc
	v_cndmask_b32_e32 v10, v11, v12, vcc
	v_lshlrev_b32_e32 v11, 16, v0
	v_mov_b32_e32 v12, 0x3b800000
	v_lshlrev_b32_e32 v9, 20, v9
	v_and_b32_e32 v11, 0x80000000, v11
	v_lshl_add_u32 v10, v10, 23, v12
	v_or3_b32 v10, v11, v10, v9
.LBB21_1936:
	s_or_b64 exec, exec, s[6:7]
	s_nop 0
	v_mfma_f32_16x16x4f32 a[0:3], v8, v10, a[0:3]
	s_movk_i32 s4, 0xff
	v_and_b32_sdwa v9, v4, s4 dst_sel:DWORD dst_unused:UNUSED_PAD src0_sel:WORD_1 src1_sel:DWORD
	s_movk_i32 s4, 0x7f
	v_cmp_lt_i16_e32 vcc, s4, v9
	s_mov_b64 s[4:5], 0
                                        ; implicit-def: $sgpr10
	s_and_saveexec_b64 s[6:7], vcc
	s_xor_b64 s[6:7], exec, s[6:7]
	s_cbranch_execnz .LBB21_3985
; %bb.1937:
	s_or_saveexec_b64 s[6:7], s[6:7]
	v_mov_b32_e32 v8, s10
	s_xor_b64 exec, exec, s[6:7]
	s_cbranch_execnz .LBB21_3988
.LBB21_1938:
	s_or_b64 exec, exec, s[6:7]
	s_and_saveexec_b64 s[6:7], s[4:5]
	s_cbranch_execz .LBB21_1940
.LBB21_1939:
	v_bfe_u32 v8, v4, 16, 3
	v_ffbh_u32_e32 v11, v8
	v_min_u32_e32 v11, 32, v11
	v_lshrrev_b32_e32 v9, 19, v4
	v_subrev_u32_e32 v12, 28, v11
	v_and_b32_e32 v9, 15, v9
	v_lshlrev_b32_sdwa v12, v12, v4 dst_sel:DWORD dst_unused:UNUSED_PAD src0_sel:DWORD src1_sel:WORD_1
	v_bfe_u32 v10, v4, 19, 4
	v_sub_u32_e32 v11, 29, v11
	v_and_b32_e32 v12, 7, v12
	v_cmp_eq_u16_e32 vcc, 0, v9
	v_cndmask_b32_e32 v8, v8, v12, vcc
	v_cndmask_b32_e32 v9, v10, v11, vcc
	v_lshlrev_b32_e32 v10, 8, v4
	v_mov_b32_e32 v11, 0x3b800000
	v_lshlrev_b32_e32 v8, 20, v8
	v_and_b32_e32 v10, 0x80000000, v10
	v_lshl_add_u32 v9, v9, 23, v11
	v_or3_b32 v8, v10, v9, v8
.LBB21_1940:
	s_or_b64 exec, exec, s[6:7]
	s_movk_i32 s4, 0xff
	v_and_b32_sdwa v9, v0, s4 dst_sel:DWORD dst_unused:UNUSED_PAD src0_sel:WORD_1 src1_sel:DWORD
	s_movk_i32 s4, 0x7f
	v_cmp_lt_i16_e32 vcc, s4, v9
	s_mov_b64 s[4:5], 0
                                        ; implicit-def: $sgpr10
	s_and_saveexec_b64 s[6:7], vcc
	s_xor_b64 s[6:7], exec, s[6:7]
	s_cbranch_execnz .LBB21_3989
; %bb.1941:
	s_or_saveexec_b64 s[6:7], s[6:7]
	v_mov_b32_e32 v10, s10
	s_xor_b64 exec, exec, s[6:7]
	s_cbranch_execnz .LBB21_3992
.LBB21_1942:
	s_or_b64 exec, exec, s[6:7]
	s_and_saveexec_b64 s[6:7], s[4:5]
	s_cbranch_execz .LBB21_1944
.LBB21_1943:
	v_bfe_u32 v9, v0, 16, 3
	v_ffbh_u32_e32 v12, v9
	v_min_u32_e32 v12, 32, v12
	v_lshrrev_b32_e32 v10, 19, v0
	v_subrev_u32_e32 v13, 28, v12
	v_and_b32_e32 v10, 15, v10
	v_lshlrev_b32_sdwa v13, v13, v0 dst_sel:DWORD dst_unused:UNUSED_PAD src0_sel:DWORD src1_sel:WORD_1
	v_bfe_u32 v11, v0, 19, 4
	v_sub_u32_e32 v12, 29, v12
	v_and_b32_e32 v13, 7, v13
	v_cmp_eq_u16_e32 vcc, 0, v10
	v_cndmask_b32_e32 v9, v9, v13, vcc
	v_cndmask_b32_e32 v10, v11, v12, vcc
	v_lshlrev_b32_e32 v11, 8, v0
	v_mov_b32_e32 v12, 0x3b800000
	v_lshlrev_b32_e32 v9, 20, v9
	v_and_b32_e32 v11, 0x80000000, v11
	v_lshl_add_u32 v10, v10, 23, v12
	v_or3_b32 v10, v11, v10, v9
.LBB21_1944:
	s_or_b64 exec, exec, s[6:7]
	s_nop 0
	v_mfma_f32_16x16x4f32 a[0:3], v8, v10, a[0:3]
	s_movk_i32 s4, 0x7f
	v_cmp_gt_i16_sdwa s[6:7], v4, s4 src0_sel:BYTE_3 src1_sel:DWORD
	s_mov_b64 s[4:5], 0
                                        ; implicit-def: $sgpr10
	s_and_saveexec_b64 s[8:9], s[6:7]
	s_xor_b64 s[6:7], exec, s[8:9]
	s_cbranch_execnz .LBB21_3993
; %bb.1945:
	s_or_saveexec_b64 s[6:7], s[6:7]
	v_mov_b32_e32 v8, s10
	s_xor_b64 exec, exec, s[6:7]
	s_cbranch_execnz .LBB21_3996
.LBB21_1946:
	s_or_b64 exec, exec, s[6:7]
	s_and_saveexec_b64 s[6:7], s[4:5]
	s_cbranch_execz .LBB21_1948
.LBB21_1947:
	v_bfe_u32 v8, v4, 24, 3
	v_ffbh_u32_e32 v12, v8
	v_min_u32_e32 v12, 32, v12
	v_lshrrev_b32_e32 v10, 27, v4
	v_subrev_u32_e32 v13, 28, v12
	v_and_b32_e32 v9, 0x80000000, v4
	v_and_b32_e32 v10, 15, v10
	v_bfe_u32 v11, v4, 27, 4
	v_lshlrev_b32_sdwa v4, v13, v4 dst_sel:DWORD dst_unused:UNUSED_PAD src0_sel:DWORD src1_sel:BYTE_3
	v_sub_u32_e32 v12, 29, v12
	v_and_b32_e32 v4, 7, v4
	v_cmp_eq_u16_e32 vcc, 0, v10
	v_cndmask_b32_e32 v4, v8, v4, vcc
	v_cndmask_b32_e32 v8, v11, v12, vcc
	v_mov_b32_e32 v10, 0x3b800000
	v_lshlrev_b32_e32 v4, 20, v4
	v_lshl_add_u32 v8, v8, 23, v10
	v_or3_b32 v8, v9, v8, v4
.LBB21_1948:
	s_or_b64 exec, exec, s[6:7]
	s_movk_i32 s4, 0x7f
	v_cmp_gt_i16_sdwa s[6:7], v0, s4 src0_sel:BYTE_3 src1_sel:DWORD
	s_mov_b64 s[4:5], 0
                                        ; implicit-def: $sgpr10
	s_and_saveexec_b64 s[8:9], s[6:7]
	s_xor_b64 s[6:7], exec, s[8:9]
	s_cbranch_execnz .LBB21_3997
; %bb.1949:
	s_or_saveexec_b64 s[6:7], s[6:7]
	v_mov_b32_e32 v4, s10
	s_xor_b64 exec, exec, s[6:7]
	s_cbranch_execnz .LBB21_4000
.LBB21_1950:
	s_or_b64 exec, exec, s[6:7]
	s_and_saveexec_b64 s[6:7], s[4:5]
	s_cbranch_execz .LBB21_1952
.LBB21_1951:
	v_bfe_u32 v4, v0, 24, 3
	v_ffbh_u32_e32 v12, v4
	v_min_u32_e32 v12, 32, v12
	v_lshrrev_b32_e32 v10, 27, v0
	v_subrev_u32_e32 v13, 28, v12
	v_and_b32_e32 v9, 0x80000000, v0
	v_and_b32_e32 v10, 15, v10
	v_bfe_u32 v11, v0, 27, 4
	v_lshlrev_b32_sdwa v0, v13, v0 dst_sel:DWORD dst_unused:UNUSED_PAD src0_sel:DWORD src1_sel:BYTE_3
	v_sub_u32_e32 v12, 29, v12
	v_and_b32_e32 v0, 7, v0
	v_cmp_eq_u16_e32 vcc, 0, v10
	v_cndmask_b32_e32 v0, v4, v0, vcc
	v_cndmask_b32_e32 v4, v11, v12, vcc
	v_mov_b32_e32 v10, 0x3b800000
	v_lshlrev_b32_e32 v0, 20, v0
	v_lshl_add_u32 v4, v4, 23, v10
	v_or3_b32 v4, v9, v4, v0
.LBB21_1952:
	s_or_b64 exec, exec, s[6:7]
	s_nop 0
	v_mfma_f32_16x16x4f32 a[0:3], v8, v4, a[0:3]
	s_movk_i32 s4, 0x7f
	v_cmp_gt_i16_sdwa s[6:7], v5, s4 src0_sel:BYTE_0 src1_sel:DWORD
	s_mov_b64 s[4:5], 0
                                        ; implicit-def: $sgpr10
	s_and_saveexec_b64 s[8:9], s[6:7]
	s_xor_b64 s[6:7], exec, s[8:9]
	s_cbranch_execnz .LBB21_4001
; %bb.1953:
	s_or_saveexec_b64 s[6:7], s[6:7]
	v_mov_b32_e32 v0, s10
	s_xor_b64 exec, exec, s[6:7]
	s_cbranch_execnz .LBB21_4004
.LBB21_1954:
	s_or_b64 exec, exec, s[6:7]
	s_and_saveexec_b64 s[6:7], s[4:5]
	s_cbranch_execz .LBB21_1956
.LBB21_1955:
	v_and_b32_e32 v0, 7, v5
	v_ffbh_u32_e32 v8, v0
	v_min_u32_e32 v8, 32, v8
	v_lshrrev_b16_e32 v4, 3, v5
	v_subrev_u32_e32 v9, 28, v8
	v_and_b32_e32 v4, 15, v4
	v_lshlrev_b32_e32 v9, v9, v5
	v_sub_u32_e32 v8, 29, v8
	v_and_b32_e32 v9, 7, v9
	v_cmp_eq_u16_e32 vcc, 0, v4
	v_cndmask_b32_e32 v0, v0, v9, vcc
	v_cndmask_b32_e32 v4, v4, v8, vcc
	v_lshlrev_b32_e32 v8, 24, v5
	v_mov_b32_e32 v9, 0x3b800000
	v_lshlrev_b32_e32 v0, 20, v0
	v_and_b32_e32 v8, 0x80000000, v8
	v_lshl_add_u32 v4, v4, 23, v9
	v_or3_b32 v0, v8, v4, v0
.LBB21_1956:
	s_or_b64 exec, exec, s[6:7]
	s_movk_i32 s4, 0x7f
	v_cmp_gt_i16_sdwa s[6:7], v1, s4 src0_sel:BYTE_0 src1_sel:DWORD
	s_mov_b64 s[4:5], 0
                                        ; implicit-def: $sgpr10
	s_and_saveexec_b64 s[8:9], s[6:7]
	s_xor_b64 s[6:7], exec, s[8:9]
	s_cbranch_execnz .LBB21_4005
; %bb.1957:
	s_or_saveexec_b64 s[6:7], s[6:7]
	v_mov_b32_e32 v4, s10
	s_xor_b64 exec, exec, s[6:7]
	s_cbranch_execnz .LBB21_4008
.LBB21_1958:
	s_or_b64 exec, exec, s[6:7]
	s_and_saveexec_b64 s[6:7], s[4:5]
	s_cbranch_execz .LBB21_1960
.LBB21_1959:
	v_and_b32_e32 v4, 7, v1
	v_ffbh_u32_e32 v9, v4
	v_min_u32_e32 v9, 32, v9
	v_lshrrev_b16_e32 v8, 3, v1
	v_subrev_u32_e32 v10, 28, v9
	v_and_b32_e32 v8, 15, v8
	v_lshlrev_b32_e32 v10, v10, v1
	v_sub_u32_e32 v9, 29, v9
	v_and_b32_e32 v10, 7, v10
	v_cmp_eq_u16_e32 vcc, 0, v8
	v_cndmask_b32_e32 v4, v4, v10, vcc
	v_cndmask_b32_e32 v8, v8, v9, vcc
	v_lshlrev_b32_e32 v9, 24, v1
	v_mov_b32_e32 v10, 0x3b800000
	v_lshlrev_b32_e32 v4, 20, v4
	v_and_b32_e32 v9, 0x80000000, v9
	v_lshl_add_u32 v8, v8, 23, v10
	v_or3_b32 v4, v9, v8, v4
.LBB21_1960:
	s_or_b64 exec, exec, s[6:7]
	s_nop 0
	v_mfma_f32_16x16x4f32 a[0:3], v0, v4, a[0:3]
	v_lshrrev_b32_e32 v4, 8, v5
	s_movk_i32 s4, 0x7f
	v_cmp_gt_i16_sdwa s[6:7], v4, s4 src0_sel:BYTE_0 src1_sel:DWORD
	s_mov_b64 s[4:5], 0
                                        ; implicit-def: $sgpr10
	s_and_saveexec_b64 s[8:9], s[6:7]
	s_xor_b64 s[6:7], exec, s[8:9]
	s_cbranch_execnz .LBB21_4009
; %bb.1961:
	s_or_saveexec_b64 s[6:7], s[6:7]
	v_mov_b32_e32 v0, s10
	s_xor_b64 exec, exec, s[6:7]
	s_cbranch_execnz .LBB21_4012
.LBB21_1962:
	s_or_b64 exec, exec, s[6:7]
	s_and_saveexec_b64 s[6:7], s[4:5]
	s_cbranch_execz .LBB21_1964
.LBB21_1963:
	v_bfe_u32 v0, v5, 8, 3
	v_ffbh_u32_e32 v9, v0
	v_min_u32_e32 v9, 32, v9
	v_lshrrev_b16_e32 v8, 3, v4
	v_subrev_u32_e32 v10, 28, v9
	v_and_b32_e32 v8, 15, v8
	v_lshlrev_b32_e32 v4, v10, v4
	v_sub_u32_e32 v9, 29, v9
	v_and_b32_e32 v4, 7, v4
	v_cmp_eq_u16_e32 vcc, 0, v8
	v_cndmask_b32_e32 v0, v0, v4, vcc
	v_cndmask_b32_e32 v4, v8, v9, vcc
	v_lshlrev_b32_e32 v8, 16, v5
	v_mov_b32_e32 v9, 0x3b800000
	v_lshlrev_b32_e32 v0, 20, v0
	v_and_b32_e32 v8, 0x80000000, v8
	v_lshl_add_u32 v4, v4, 23, v9
	v_or3_b32 v0, v8, v4, v0
.LBB21_1964:
	s_or_b64 exec, exec, s[6:7]
	v_lshrrev_b32_e32 v4, 8, v1
	s_movk_i32 s4, 0x7f
	v_cmp_gt_i16_sdwa s[6:7], v4, s4 src0_sel:BYTE_0 src1_sel:DWORD
	s_mov_b64 s[4:5], 0
                                        ; implicit-def: $sgpr10
	s_and_saveexec_b64 s[8:9], s[6:7]
	s_xor_b64 s[6:7], exec, s[8:9]
	s_cbranch_execnz .LBB21_4013
; %bb.1965:
	s_or_saveexec_b64 s[6:7], s[6:7]
	v_mov_b32_e32 v8, s10
	s_xor_b64 exec, exec, s[6:7]
	s_cbranch_execnz .LBB21_4016
.LBB21_1966:
	s_or_b64 exec, exec, s[6:7]
	s_and_saveexec_b64 s[6:7], s[4:5]
	s_cbranch_execz .LBB21_1968
.LBB21_1967:
	v_bfe_u32 v8, v1, 8, 3
	v_ffbh_u32_e32 v10, v8
	v_min_u32_e32 v10, 32, v10
	v_lshrrev_b16_e32 v9, 3, v4
	v_subrev_u32_e32 v11, 28, v10
	v_and_b32_e32 v9, 15, v9
	v_lshlrev_b32_e32 v4, v11, v4
	v_sub_u32_e32 v10, 29, v10
	v_and_b32_e32 v4, 7, v4
	v_cmp_eq_u16_e32 vcc, 0, v9
	v_cndmask_b32_e32 v4, v8, v4, vcc
	v_cndmask_b32_e32 v8, v9, v10, vcc
	v_lshlrev_b32_e32 v9, 16, v1
	v_mov_b32_e32 v10, 0x3b800000
	v_lshlrev_b32_e32 v4, 20, v4
	v_and_b32_e32 v9, 0x80000000, v9
	v_lshl_add_u32 v8, v8, 23, v10
	v_or3_b32 v8, v9, v8, v4
.LBB21_1968:
	s_or_b64 exec, exec, s[6:7]
	s_nop 0
	v_mfma_f32_16x16x4f32 a[0:3], v0, v8, a[0:3]
	s_movk_i32 s4, 0xff
	v_and_b32_sdwa v4, v5, s4 dst_sel:DWORD dst_unused:UNUSED_PAD src0_sel:WORD_1 src1_sel:DWORD
	s_movk_i32 s4, 0x7f
	v_cmp_lt_i16_e32 vcc, s4, v4
	s_mov_b64 s[4:5], 0
                                        ; implicit-def: $sgpr10
	s_and_saveexec_b64 s[6:7], vcc
	s_xor_b64 s[6:7], exec, s[6:7]
	s_cbranch_execnz .LBB21_4017
; %bb.1969:
	s_or_saveexec_b64 s[6:7], s[6:7]
	v_mov_b32_e32 v0, s10
	s_xor_b64 exec, exec, s[6:7]
	s_cbranch_execnz .LBB21_4020
.LBB21_1970:
	s_or_b64 exec, exec, s[6:7]
	s_and_saveexec_b64 s[6:7], s[4:5]
	s_cbranch_execz .LBB21_1972
.LBB21_1971:
	v_bfe_u32 v0, v5, 16, 3
	v_ffbh_u32_e32 v9, v0
	v_min_u32_e32 v9, 32, v9
	v_lshrrev_b32_e32 v4, 19, v5
	v_subrev_u32_e32 v10, 28, v9
	v_and_b32_e32 v4, 15, v4
	v_lshlrev_b32_sdwa v10, v10, v5 dst_sel:DWORD dst_unused:UNUSED_PAD src0_sel:DWORD src1_sel:WORD_1
	v_bfe_u32 v8, v5, 19, 4
	v_sub_u32_e32 v9, 29, v9
	v_and_b32_e32 v10, 7, v10
	v_cmp_eq_u16_e32 vcc, 0, v4
	v_cndmask_b32_e32 v0, v0, v10, vcc
	v_cndmask_b32_e32 v4, v8, v9, vcc
	v_lshlrev_b32_e32 v8, 8, v5
	v_mov_b32_e32 v9, 0x3b800000
	v_lshlrev_b32_e32 v0, 20, v0
	v_and_b32_e32 v8, 0x80000000, v8
	v_lshl_add_u32 v4, v4, 23, v9
	v_or3_b32 v0, v8, v4, v0
.LBB21_1972:
	s_or_b64 exec, exec, s[6:7]
	s_movk_i32 s4, 0xff
	v_and_b32_sdwa v4, v1, s4 dst_sel:DWORD dst_unused:UNUSED_PAD src0_sel:WORD_1 src1_sel:DWORD
	s_movk_i32 s4, 0x7f
	v_cmp_lt_i16_e32 vcc, s4, v4
	s_mov_b64 s[4:5], 0
                                        ; implicit-def: $sgpr10
	s_and_saveexec_b64 s[6:7], vcc
	s_xor_b64 s[6:7], exec, s[6:7]
	s_cbranch_execnz .LBB21_4021
; %bb.1973:
	s_or_saveexec_b64 s[6:7], s[6:7]
	v_mov_b32_e32 v8, s10
	s_xor_b64 exec, exec, s[6:7]
	s_cbranch_execnz .LBB21_4024
.LBB21_1974:
	s_or_b64 exec, exec, s[6:7]
	s_and_saveexec_b64 s[6:7], s[4:5]
	s_cbranch_execz .LBB21_1976
.LBB21_1975:
	v_bfe_u32 v4, v1, 16, 3
	v_ffbh_u32_e32 v10, v4
	v_min_u32_e32 v10, 32, v10
	v_lshrrev_b32_e32 v8, 19, v1
	v_subrev_u32_e32 v11, 28, v10
	v_and_b32_e32 v8, 15, v8
	v_lshlrev_b32_sdwa v11, v11, v1 dst_sel:DWORD dst_unused:UNUSED_PAD src0_sel:DWORD src1_sel:WORD_1
	v_bfe_u32 v9, v1, 19, 4
	v_sub_u32_e32 v10, 29, v10
	v_and_b32_e32 v11, 7, v11
	v_cmp_eq_u16_e32 vcc, 0, v8
	v_cndmask_b32_e32 v4, v4, v11, vcc
	v_cndmask_b32_e32 v8, v9, v10, vcc
	v_lshlrev_b32_e32 v9, 8, v1
	v_mov_b32_e32 v10, 0x3b800000
	v_lshlrev_b32_e32 v4, 20, v4
	v_and_b32_e32 v9, 0x80000000, v9
	v_lshl_add_u32 v8, v8, 23, v10
	v_or3_b32 v8, v9, v8, v4
.LBB21_1976:
	s_or_b64 exec, exec, s[6:7]
	s_nop 0
	v_mfma_f32_16x16x4f32 a[0:3], v0, v8, a[0:3]
	s_movk_i32 s4, 0x7f
	v_cmp_gt_i16_sdwa s[6:7], v5, s4 src0_sel:BYTE_3 src1_sel:DWORD
	s_mov_b64 s[4:5], 0
                                        ; implicit-def: $sgpr10
	s_and_saveexec_b64 s[8:9], s[6:7]
	s_xor_b64 s[6:7], exec, s[8:9]
	s_cbranch_execnz .LBB21_4025
; %bb.1977:
	s_or_saveexec_b64 s[6:7], s[6:7]
	v_mov_b32_e32 v0, s10
	s_xor_b64 exec, exec, s[6:7]
	s_cbranch_execnz .LBB21_4028
.LBB21_1978:
	s_or_b64 exec, exec, s[6:7]
	s_and_saveexec_b64 s[6:7], s[4:5]
	s_cbranch_execz .LBB21_1980
.LBB21_1979:
	v_bfe_u32 v0, v5, 24, 3
	v_ffbh_u32_e32 v10, v0
	v_min_u32_e32 v10, 32, v10
	v_lshrrev_b32_e32 v8, 27, v5
	v_subrev_u32_e32 v11, 28, v10
	v_and_b32_e32 v4, 0x80000000, v5
	v_and_b32_e32 v8, 15, v8
	v_bfe_u32 v9, v5, 27, 4
	v_lshlrev_b32_sdwa v5, v11, v5 dst_sel:DWORD dst_unused:UNUSED_PAD src0_sel:DWORD src1_sel:BYTE_3
	v_sub_u32_e32 v10, 29, v10
	v_and_b32_e32 v5, 7, v5
	v_cmp_eq_u16_e32 vcc, 0, v8
	v_cndmask_b32_e32 v0, v0, v5, vcc
	v_cndmask_b32_e32 v5, v9, v10, vcc
	v_mov_b32_e32 v8, 0x3b800000
	v_lshlrev_b32_e32 v0, 20, v0
	v_lshl_add_u32 v5, v5, 23, v8
	v_or3_b32 v0, v4, v5, v0
.LBB21_1980:
	s_or_b64 exec, exec, s[6:7]
	s_movk_i32 s4, 0x7f
	v_cmp_gt_i16_sdwa s[6:7], v1, s4 src0_sel:BYTE_3 src1_sel:DWORD
	s_mov_b64 s[4:5], 0
                                        ; implicit-def: $sgpr10
	s_and_saveexec_b64 s[8:9], s[6:7]
	s_xor_b64 s[6:7], exec, s[8:9]
	s_cbranch_execnz .LBB21_4029
; %bb.1981:
	s_or_saveexec_b64 s[6:7], s[6:7]
	v_mov_b32_e32 v4, s10
	s_xor_b64 exec, exec, s[6:7]
	s_cbranch_execnz .LBB21_4032
.LBB21_1982:
	s_or_b64 exec, exec, s[6:7]
	s_and_saveexec_b64 s[6:7], s[4:5]
	s_cbranch_execz .LBB21_1984
.LBB21_1983:
	v_bfe_u32 v4, v1, 24, 3
	v_ffbh_u32_e32 v10, v4
	v_min_u32_e32 v10, 32, v10
	v_lshrrev_b32_e32 v8, 27, v1
	v_subrev_u32_e32 v11, 28, v10
	v_and_b32_e32 v5, 0x80000000, v1
	v_and_b32_e32 v8, 15, v8
	v_bfe_u32 v9, v1, 27, 4
	v_lshlrev_b32_sdwa v1, v11, v1 dst_sel:DWORD dst_unused:UNUSED_PAD src0_sel:DWORD src1_sel:BYTE_3
	v_sub_u32_e32 v10, 29, v10
	v_and_b32_e32 v1, 7, v1
	v_cmp_eq_u16_e32 vcc, 0, v8
	v_cndmask_b32_e32 v1, v4, v1, vcc
	v_cndmask_b32_e32 v4, v9, v10, vcc
	v_mov_b32_e32 v8, 0x3b800000
	v_lshlrev_b32_e32 v1, 20, v1
	v_lshl_add_u32 v4, v4, 23, v8
	v_or3_b32 v4, v5, v4, v1
.LBB21_1984:
	s_or_b64 exec, exec, s[6:7]
	s_nop 0
	v_mfma_f32_16x16x4f32 a[0:3], v0, v4, a[0:3]
	s_movk_i32 s4, 0x7f
	v_cmp_gt_i16_sdwa s[6:7], v6, s4 src0_sel:BYTE_0 src1_sel:DWORD
	s_mov_b64 s[4:5], 0
                                        ; implicit-def: $sgpr10
	s_and_saveexec_b64 s[8:9], s[6:7]
	s_xor_b64 s[6:7], exec, s[8:9]
	s_cbranch_execnz .LBB21_4033
; %bb.1985:
	s_or_saveexec_b64 s[6:7], s[6:7]
	v_mov_b32_e32 v0, s10
	s_xor_b64 exec, exec, s[6:7]
	s_cbranch_execnz .LBB21_4036
.LBB21_1986:
	s_or_b64 exec, exec, s[6:7]
	s_and_saveexec_b64 s[6:7], s[4:5]
	s_cbranch_execz .LBB21_1988
.LBB21_1987:
	v_and_b32_e32 v0, 7, v6
	v_ffbh_u32_e32 v4, v0
	v_min_u32_e32 v4, 32, v4
	v_lshrrev_b16_e32 v1, 3, v6
	v_subrev_u32_e32 v5, 28, v4
	v_and_b32_e32 v1, 15, v1
	v_lshlrev_b32_e32 v5, v5, v6
	v_sub_u32_e32 v4, 29, v4
	v_and_b32_e32 v5, 7, v5
	v_cmp_eq_u16_e32 vcc, 0, v1
	v_cndmask_b32_e32 v0, v0, v5, vcc
	v_cndmask_b32_e32 v1, v1, v4, vcc
	v_lshlrev_b32_e32 v4, 24, v6
	v_mov_b32_e32 v5, 0x3b800000
	v_lshlrev_b32_e32 v0, 20, v0
	v_and_b32_e32 v4, 0x80000000, v4
	v_lshl_add_u32 v1, v1, 23, v5
	v_or3_b32 v0, v4, v1, v0
.LBB21_1988:
	s_or_b64 exec, exec, s[6:7]
	s_movk_i32 s4, 0x7f
	v_cmp_gt_i16_sdwa s[6:7], v2, s4 src0_sel:BYTE_0 src1_sel:DWORD
	s_mov_b64 s[4:5], 0
                                        ; implicit-def: $sgpr10
	s_and_saveexec_b64 s[8:9], s[6:7]
	s_xor_b64 s[6:7], exec, s[8:9]
	s_cbranch_execnz .LBB21_4037
; %bb.1989:
	s_or_saveexec_b64 s[6:7], s[6:7]
	v_mov_b32_e32 v1, s10
	s_xor_b64 exec, exec, s[6:7]
	s_cbranch_execnz .LBB21_4040
.LBB21_1990:
	s_or_b64 exec, exec, s[6:7]
	s_and_saveexec_b64 s[6:7], s[4:5]
	s_cbranch_execz .LBB21_1992
.LBB21_1991:
	v_and_b32_e32 v1, 7, v2
	v_ffbh_u32_e32 v5, v1
	v_min_u32_e32 v5, 32, v5
	v_lshrrev_b16_e32 v4, 3, v2
	v_subrev_u32_e32 v8, 28, v5
	v_and_b32_e32 v4, 15, v4
	v_lshlrev_b32_e32 v8, v8, v2
	v_sub_u32_e32 v5, 29, v5
	v_and_b32_e32 v8, 7, v8
	v_cmp_eq_u16_e32 vcc, 0, v4
	v_cndmask_b32_e32 v1, v1, v8, vcc
	v_cndmask_b32_e32 v4, v4, v5, vcc
	v_lshlrev_b32_e32 v5, 24, v2
	v_mov_b32_e32 v8, 0x3b800000
	v_lshlrev_b32_e32 v1, 20, v1
	v_and_b32_e32 v5, 0x80000000, v5
	v_lshl_add_u32 v4, v4, 23, v8
	v_or3_b32 v1, v5, v4, v1
.LBB21_1992:
	s_or_b64 exec, exec, s[6:7]
	s_nop 0
	v_mfma_f32_16x16x4f32 a[0:3], v0, v1, a[0:3]
	v_lshrrev_b32_e32 v1, 8, v6
	s_movk_i32 s4, 0x7f
	v_cmp_gt_i16_sdwa s[6:7], v1, s4 src0_sel:BYTE_0 src1_sel:DWORD
	s_mov_b64 s[4:5], 0
                                        ; implicit-def: $sgpr10
	s_and_saveexec_b64 s[8:9], s[6:7]
	s_xor_b64 s[6:7], exec, s[8:9]
	s_cbranch_execnz .LBB21_4041
; %bb.1993:
	s_or_saveexec_b64 s[6:7], s[6:7]
	v_mov_b32_e32 v0, s10
	s_xor_b64 exec, exec, s[6:7]
	s_cbranch_execnz .LBB21_4044
.LBB21_1994:
	s_or_b64 exec, exec, s[6:7]
	s_and_saveexec_b64 s[6:7], s[4:5]
	s_cbranch_execz .LBB21_1996
.LBB21_1995:
	v_bfe_u32 v0, v6, 8, 3
	v_ffbh_u32_e32 v5, v0
	v_min_u32_e32 v5, 32, v5
	v_lshrrev_b16_e32 v4, 3, v1
	v_subrev_u32_e32 v8, 28, v5
	v_and_b32_e32 v4, 15, v4
	v_lshlrev_b32_e32 v1, v8, v1
	v_sub_u32_e32 v5, 29, v5
	v_and_b32_e32 v1, 7, v1
	v_cmp_eq_u16_e32 vcc, 0, v4
	v_cndmask_b32_e32 v0, v0, v1, vcc
	v_cndmask_b32_e32 v1, v4, v5, vcc
	v_lshlrev_b32_e32 v4, 16, v6
	v_mov_b32_e32 v5, 0x3b800000
	v_lshlrev_b32_e32 v0, 20, v0
	v_and_b32_e32 v4, 0x80000000, v4
	v_lshl_add_u32 v1, v1, 23, v5
	v_or3_b32 v0, v4, v1, v0
.LBB21_1996:
	s_or_b64 exec, exec, s[6:7]
	v_lshrrev_b32_e32 v1, 8, v2
	s_movk_i32 s4, 0x7f
	v_cmp_gt_i16_sdwa s[6:7], v1, s4 src0_sel:BYTE_0 src1_sel:DWORD
	s_mov_b64 s[4:5], 0
                                        ; implicit-def: $sgpr10
	s_and_saveexec_b64 s[8:9], s[6:7]
	s_xor_b64 s[6:7], exec, s[8:9]
	s_cbranch_execnz .LBB21_4045
; %bb.1997:
	s_or_saveexec_b64 s[6:7], s[6:7]
	v_mov_b32_e32 v4, s10
	s_xor_b64 exec, exec, s[6:7]
	s_cbranch_execnz .LBB21_4048
.LBB21_1998:
	s_or_b64 exec, exec, s[6:7]
	s_and_saveexec_b64 s[6:7], s[4:5]
	s_cbranch_execz .LBB21_2000
.LBB21_1999:
	v_bfe_u32 v4, v2, 8, 3
	v_ffbh_u32_e32 v8, v4
	v_min_u32_e32 v8, 32, v8
	v_lshrrev_b16_e32 v5, 3, v1
	v_subrev_u32_e32 v9, 28, v8
	v_and_b32_e32 v5, 15, v5
	v_lshlrev_b32_e32 v1, v9, v1
	v_sub_u32_e32 v8, 29, v8
	v_and_b32_e32 v1, 7, v1
	v_cmp_eq_u16_e32 vcc, 0, v5
	v_cndmask_b32_e32 v1, v4, v1, vcc
	v_cndmask_b32_e32 v4, v5, v8, vcc
	v_lshlrev_b32_e32 v5, 16, v2
	v_mov_b32_e32 v8, 0x3b800000
	v_lshlrev_b32_e32 v1, 20, v1
	v_and_b32_e32 v5, 0x80000000, v5
	v_lshl_add_u32 v4, v4, 23, v8
	v_or3_b32 v4, v5, v4, v1
.LBB21_2000:
	s_or_b64 exec, exec, s[6:7]
	s_nop 0
	v_mfma_f32_16x16x4f32 a[0:3], v0, v4, a[0:3]
	s_movk_i32 s4, 0xff
	v_and_b32_sdwa v1, v6, s4 dst_sel:DWORD dst_unused:UNUSED_PAD src0_sel:WORD_1 src1_sel:DWORD
	s_movk_i32 s4, 0x7f
	v_cmp_lt_i16_e32 vcc, s4, v1
	s_mov_b64 s[4:5], 0
                                        ; implicit-def: $sgpr10
	s_and_saveexec_b64 s[6:7], vcc
	s_xor_b64 s[6:7], exec, s[6:7]
	s_cbranch_execnz .LBB21_4049
; %bb.2001:
	s_or_saveexec_b64 s[6:7], s[6:7]
	v_mov_b32_e32 v0, s10
	s_xor_b64 exec, exec, s[6:7]
	s_cbranch_execnz .LBB21_4052
.LBB21_2002:
	s_or_b64 exec, exec, s[6:7]
	s_and_saveexec_b64 s[6:7], s[4:5]
	s_cbranch_execz .LBB21_2004
.LBB21_2003:
	v_bfe_u32 v0, v6, 16, 3
	v_ffbh_u32_e32 v5, v0
	v_min_u32_e32 v5, 32, v5
	v_lshrrev_b32_e32 v1, 19, v6
	v_subrev_u32_e32 v8, 28, v5
	v_and_b32_e32 v1, 15, v1
	v_lshlrev_b32_sdwa v8, v8, v6 dst_sel:DWORD dst_unused:UNUSED_PAD src0_sel:DWORD src1_sel:WORD_1
	v_bfe_u32 v4, v6, 19, 4
	v_sub_u32_e32 v5, 29, v5
	v_and_b32_e32 v8, 7, v8
	v_cmp_eq_u16_e32 vcc, 0, v1
	v_cndmask_b32_e32 v0, v0, v8, vcc
	v_cndmask_b32_e32 v1, v4, v5, vcc
	v_lshlrev_b32_e32 v4, 8, v6
	v_mov_b32_e32 v5, 0x3b800000
	v_lshlrev_b32_e32 v0, 20, v0
	v_and_b32_e32 v4, 0x80000000, v4
	v_lshl_add_u32 v1, v1, 23, v5
	v_or3_b32 v0, v4, v1, v0
.LBB21_2004:
	s_or_b64 exec, exec, s[6:7]
	s_movk_i32 s4, 0xff
	v_and_b32_sdwa v1, v2, s4 dst_sel:DWORD dst_unused:UNUSED_PAD src0_sel:WORD_1 src1_sel:DWORD
	s_movk_i32 s4, 0x7f
	v_cmp_lt_i16_e32 vcc, s4, v1
	s_mov_b64 s[4:5], 0
                                        ; implicit-def: $sgpr10
	s_and_saveexec_b64 s[6:7], vcc
	s_xor_b64 s[6:7], exec, s[6:7]
	s_cbranch_execnz .LBB21_4053
; %bb.2005:
	s_or_saveexec_b64 s[6:7], s[6:7]
	v_mov_b32_e32 v4, s10
	s_xor_b64 exec, exec, s[6:7]
	s_cbranch_execnz .LBB21_4056
.LBB21_2006:
	s_or_b64 exec, exec, s[6:7]
	s_and_saveexec_b64 s[6:7], s[4:5]
	s_cbranch_execz .LBB21_2008
.LBB21_2007:
	v_bfe_u32 v1, v2, 16, 3
	v_ffbh_u32_e32 v8, v1
	v_min_u32_e32 v8, 32, v8
	v_lshrrev_b32_e32 v4, 19, v2
	v_subrev_u32_e32 v9, 28, v8
	v_and_b32_e32 v4, 15, v4
	v_lshlrev_b32_sdwa v9, v9, v2 dst_sel:DWORD dst_unused:UNUSED_PAD src0_sel:DWORD src1_sel:WORD_1
	v_bfe_u32 v5, v2, 19, 4
	v_sub_u32_e32 v8, 29, v8
	v_and_b32_e32 v9, 7, v9
	v_cmp_eq_u16_e32 vcc, 0, v4
	v_cndmask_b32_e32 v1, v1, v9, vcc
	v_cndmask_b32_e32 v4, v5, v8, vcc
	v_lshlrev_b32_e32 v5, 8, v2
	v_mov_b32_e32 v8, 0x3b800000
	v_lshlrev_b32_e32 v1, 20, v1
	v_and_b32_e32 v5, 0x80000000, v5
	v_lshl_add_u32 v4, v4, 23, v8
	v_or3_b32 v4, v5, v4, v1
.LBB21_2008:
	s_or_b64 exec, exec, s[6:7]
	s_nop 0
	v_mfma_f32_16x16x4f32 a[0:3], v0, v4, a[0:3]
	s_movk_i32 s4, 0x7f
	v_cmp_gt_i16_sdwa s[6:7], v6, s4 src0_sel:BYTE_3 src1_sel:DWORD
	s_mov_b64 s[4:5], 0
                                        ; implicit-def: $sgpr10
	s_and_saveexec_b64 s[8:9], s[6:7]
	s_xor_b64 s[6:7], exec, s[8:9]
	s_cbranch_execnz .LBB21_4057
; %bb.2009:
	s_or_saveexec_b64 s[6:7], s[6:7]
	v_mov_b32_e32 v0, s10
	s_xor_b64 exec, exec, s[6:7]
	s_cbranch_execnz .LBB21_4060
.LBB21_2010:
	s_or_b64 exec, exec, s[6:7]
	s_and_saveexec_b64 s[6:7], s[4:5]
	s_cbranch_execz .LBB21_2012
.LBB21_2011:
	v_bfe_u32 v0, v6, 24, 3
	v_ffbh_u32_e32 v8, v0
	v_min_u32_e32 v8, 32, v8
	v_lshrrev_b32_e32 v4, 27, v6
	v_subrev_u32_e32 v9, 28, v8
	v_and_b32_e32 v1, 0x80000000, v6
	v_and_b32_e32 v4, 15, v4
	v_bfe_u32 v5, v6, 27, 4
	v_lshlrev_b32_sdwa v6, v9, v6 dst_sel:DWORD dst_unused:UNUSED_PAD src0_sel:DWORD src1_sel:BYTE_3
	v_sub_u32_e32 v8, 29, v8
	v_and_b32_e32 v6, 7, v6
	v_cmp_eq_u16_e32 vcc, 0, v4
	v_cndmask_b32_e32 v0, v0, v6, vcc
	v_cndmask_b32_e32 v4, v5, v8, vcc
	v_mov_b32_e32 v5, 0x3b800000
	v_lshlrev_b32_e32 v0, 20, v0
	v_lshl_add_u32 v4, v4, 23, v5
	v_or3_b32 v0, v1, v4, v0
.LBB21_2012:
	s_or_b64 exec, exec, s[6:7]
	s_movk_i32 s4, 0x7f
	v_cmp_gt_i16_sdwa s[6:7], v2, s4 src0_sel:BYTE_3 src1_sel:DWORD
	s_mov_b64 s[4:5], 0
                                        ; implicit-def: $sgpr10
	s_and_saveexec_b64 s[8:9], s[6:7]
	s_xor_b64 s[6:7], exec, s[8:9]
	s_cbranch_execnz .LBB21_4061
; %bb.2013:
	s_or_saveexec_b64 s[6:7], s[6:7]
	v_mov_b32_e32 v1, s10
	s_xor_b64 exec, exec, s[6:7]
	s_cbranch_execnz .LBB21_4064
.LBB21_2014:
	s_or_b64 exec, exec, s[6:7]
	s_and_saveexec_b64 s[6:7], s[4:5]
	s_cbranch_execz .LBB21_2016
.LBB21_2015:
	v_bfe_u32 v1, v2, 24, 3
	v_ffbh_u32_e32 v8, v1
	v_min_u32_e32 v8, 32, v8
	v_lshrrev_b32_e32 v5, 27, v2
	v_subrev_u32_e32 v9, 28, v8
	v_and_b32_e32 v4, 0x80000000, v2
	v_and_b32_e32 v5, 15, v5
	v_bfe_u32 v6, v2, 27, 4
	v_lshlrev_b32_sdwa v2, v9, v2 dst_sel:DWORD dst_unused:UNUSED_PAD src0_sel:DWORD src1_sel:BYTE_3
	v_sub_u32_e32 v8, 29, v8
	v_and_b32_e32 v2, 7, v2
	v_cmp_eq_u16_e32 vcc, 0, v5
	v_cndmask_b32_e32 v1, v1, v2, vcc
	v_cndmask_b32_e32 v2, v6, v8, vcc
	v_mov_b32_e32 v5, 0x3b800000
	v_lshlrev_b32_e32 v1, 20, v1
	v_lshl_add_u32 v2, v2, 23, v5
	v_or3_b32 v1, v4, v2, v1
.LBB21_2016:
	s_or_b64 exec, exec, s[6:7]
	s_nop 0
	v_mfma_f32_16x16x4f32 a[0:3], v0, v1, a[0:3]
	s_movk_i32 s4, 0x7f
	v_cmp_gt_i16_sdwa s[6:7], v7, s4 src0_sel:BYTE_0 src1_sel:DWORD
	s_mov_b64 s[4:5], 0
                                        ; implicit-def: $sgpr10
	s_and_saveexec_b64 s[8:9], s[6:7]
	s_xor_b64 s[6:7], exec, s[8:9]
	s_cbranch_execnz .LBB21_4065
; %bb.2017:
	s_or_saveexec_b64 s[6:7], s[6:7]
	v_mov_b32_e32 v0, s10
	s_xor_b64 exec, exec, s[6:7]
	s_cbranch_execnz .LBB21_4068
.LBB21_2018:
	s_or_b64 exec, exec, s[6:7]
	s_and_saveexec_b64 s[6:7], s[4:5]
	s_cbranch_execz .LBB21_2020
.LBB21_2019:
	v_mov_b32_e32 v0, 8
	v_and_b32_e32 v1, 7, v7
	v_lshrrev_b32_sdwa v0, v0, v7 dst_sel:BYTE_1 dst_unused:UNUSED_PAD src0_sel:DWORD src1_sel:DWORD
	v_ffbh_u32_e32 v2, v1
	v_or_b32_sdwa v0, v7, v0 dst_sel:DWORD dst_unused:UNUSED_PAD src0_sel:BYTE_0 src1_sel:DWORD
	v_min_u32_e32 v2, 32, v2
	v_lshrrev_b16_e32 v0, 3, v0
	v_subrev_u32_e32 v4, 28, v2
	v_and_b32_e32 v0, 15, v0
	v_lshlrev_b32_e32 v4, v4, v7
	v_sub_u32_e32 v2, 29, v2
	v_and_b32_e32 v4, 7, v4
	v_cmp_eq_u16_e32 vcc, 0, v0
	v_cndmask_b32_e32 v1, v1, v4, vcc
	v_cndmask_b32_e32 v0, v0, v2, vcc
	v_lshlrev_b32_e32 v2, 24, v7
	v_mov_b32_e32 v4, 0x3b800000
	v_lshlrev_b32_e32 v1, 20, v1
	v_and_b32_e32 v2, 0x80000000, v2
	v_lshl_add_u32 v0, v0, 23, v4
	v_or3_b32 v0, v2, v0, v1
.LBB21_2020:
	s_or_b64 exec, exec, s[6:7]
	s_movk_i32 s4, 0x7f
	v_cmp_gt_i16_sdwa s[6:7], v3, s4 src0_sel:BYTE_0 src1_sel:DWORD
	s_mov_b64 s[4:5], 0
                                        ; implicit-def: $sgpr10
	s_and_saveexec_b64 s[8:9], s[6:7]
	s_xor_b64 s[6:7], exec, s[8:9]
	s_cbranch_execnz .LBB21_4069
; %bb.2021:
	s_or_saveexec_b64 s[6:7], s[6:7]
	v_mov_b32_e32 v1, s10
	s_xor_b64 exec, exec, s[6:7]
	s_cbranch_execnz .LBB21_4072
.LBB21_2022:
	s_or_b64 exec, exec, s[6:7]
	s_and_saveexec_b64 s[6:7], s[4:5]
	s_cbranch_execz .LBB21_2024
.LBB21_2023:
	v_mov_b32_e32 v1, 8
	v_and_b32_e32 v2, 7, v3
	v_lshrrev_b32_sdwa v1, v1, v3 dst_sel:BYTE_1 dst_unused:UNUSED_PAD src0_sel:DWORD src1_sel:DWORD
	v_ffbh_u32_e32 v4, v2
	v_or_b32_sdwa v1, v3, v1 dst_sel:DWORD dst_unused:UNUSED_PAD src0_sel:BYTE_0 src1_sel:DWORD
	v_min_u32_e32 v4, 32, v4
	v_lshrrev_b16_e32 v1, 3, v1
	v_subrev_u32_e32 v5, 28, v4
	v_and_b32_e32 v1, 15, v1
	v_lshlrev_b32_e32 v5, v5, v3
	v_sub_u32_e32 v4, 29, v4
	v_and_b32_e32 v5, 7, v5
	v_cmp_eq_u16_e32 vcc, 0, v1
	v_cndmask_b32_e32 v2, v2, v5, vcc
	v_cndmask_b32_e32 v1, v1, v4, vcc
	v_lshlrev_b32_e32 v4, 24, v3
	v_mov_b32_e32 v5, 0x3b800000
	v_lshlrev_b32_e32 v2, 20, v2
	v_and_b32_e32 v4, 0x80000000, v4
	v_lshl_add_u32 v1, v1, 23, v5
	v_or3_b32 v1, v4, v1, v2
.LBB21_2024:
	s_or_b64 exec, exec, s[6:7]
	s_nop 0
	v_mfma_f32_16x16x4f32 a[0:3], v0, v1, a[0:3]
	v_lshrrev_b32_e32 v1, 8, v7
	s_movk_i32 s4, 0x7f
	v_cmp_gt_i16_sdwa s[6:7], v1, s4 src0_sel:BYTE_0 src1_sel:DWORD
	s_mov_b64 s[4:5], 0
                                        ; implicit-def: $sgpr10
	s_and_saveexec_b64 s[8:9], s[6:7]
	s_xor_b64 s[6:7], exec, s[8:9]
	s_cbranch_execnz .LBB21_4073
; %bb.2025:
	s_or_saveexec_b64 s[6:7], s[6:7]
	v_mov_b32_e32 v0, s10
	s_xor_b64 exec, exec, s[6:7]
	s_cbranch_execnz .LBB21_4076
.LBB21_2026:
	s_or_b64 exec, exec, s[6:7]
	s_and_saveexec_b64 s[6:7], s[4:5]
	s_cbranch_execz .LBB21_2028
.LBB21_2027:
	v_bfe_u32 v0, v7, 8, 3
	v_ffbh_u32_e32 v4, v0
	v_min_u32_e32 v4, 32, v4
	v_lshrrev_b16_e32 v2, 3, v1
	v_subrev_u32_e32 v5, 28, v4
	v_and_b32_e32 v2, 15, v2
	v_lshlrev_b32_e32 v1, v5, v1
	v_sub_u32_e32 v4, 29, v4
	v_and_b32_e32 v1, 7, v1
	v_cmp_eq_u16_e32 vcc, 0, v2
	v_cndmask_b32_e32 v0, v0, v1, vcc
	v_cndmask_b32_e32 v1, v2, v4, vcc
	v_lshlrev_b32_e32 v2, 16, v7
	v_mov_b32_e32 v4, 0x3b800000
	v_lshlrev_b32_e32 v0, 20, v0
	v_and_b32_e32 v2, 0x80000000, v2
	v_lshl_add_u32 v1, v1, 23, v4
	v_or3_b32 v0, v2, v1, v0
.LBB21_2028:
	s_or_b64 exec, exec, s[6:7]
	v_lshrrev_b32_e32 v1, 8, v3
	s_movk_i32 s4, 0x7f
	v_cmp_gt_i16_sdwa s[6:7], v1, s4 src0_sel:BYTE_0 src1_sel:DWORD
	s_mov_b64 s[4:5], 0
                                        ; implicit-def: $sgpr10
	s_and_saveexec_b64 s[8:9], s[6:7]
	s_xor_b64 s[6:7], exec, s[8:9]
	s_cbranch_execnz .LBB21_4077
; %bb.2029:
	s_or_saveexec_b64 s[6:7], s[6:7]
	v_mov_b32_e32 v2, s10
	s_xor_b64 exec, exec, s[6:7]
	s_cbranch_execnz .LBB21_4080
.LBB21_2030:
	s_or_b64 exec, exec, s[6:7]
	s_and_saveexec_b64 s[6:7], s[4:5]
	s_cbranch_execz .LBB21_2032
.LBB21_2031:
	v_bfe_u32 v2, v3, 8, 3
	v_ffbh_u32_e32 v5, v2
	v_min_u32_e32 v5, 32, v5
	v_lshrrev_b16_e32 v4, 3, v1
	v_subrev_u32_e32 v6, 28, v5
	v_and_b32_e32 v4, 15, v4
	v_lshlrev_b32_e32 v1, v6, v1
	v_sub_u32_e32 v5, 29, v5
	v_and_b32_e32 v1, 7, v1
	v_cmp_eq_u16_e32 vcc, 0, v4
	v_cndmask_b32_e32 v1, v2, v1, vcc
	v_cndmask_b32_e32 v2, v4, v5, vcc
	v_lshlrev_b32_e32 v4, 16, v3
	v_mov_b32_e32 v5, 0x3b800000
	v_lshlrev_b32_e32 v1, 20, v1
	v_and_b32_e32 v4, 0x80000000, v4
	v_lshl_add_u32 v2, v2, 23, v5
	v_or3_b32 v2, v4, v2, v1
.LBB21_2032:
	s_or_b64 exec, exec, s[6:7]
	s_nop 0
	v_mfma_f32_16x16x4f32 a[0:3], v0, v2, a[0:3]
	s_movk_i32 s4, 0xff
	v_and_b32_sdwa v1, v7, s4 dst_sel:DWORD dst_unused:UNUSED_PAD src0_sel:WORD_1 src1_sel:DWORD
	s_movk_i32 s4, 0x7f
	v_cmp_lt_i16_e32 vcc, s4, v1
	s_mov_b64 s[4:5], 0
                                        ; implicit-def: $sgpr10
	s_and_saveexec_b64 s[6:7], vcc
	s_xor_b64 s[6:7], exec, s[6:7]
	s_cbranch_execnz .LBB21_4081
; %bb.2033:
	s_or_saveexec_b64 s[6:7], s[6:7]
	v_mov_b32_e32 v0, s10
	s_xor_b64 exec, exec, s[6:7]
	s_cbranch_execnz .LBB21_4084
.LBB21_2034:
	s_or_b64 exec, exec, s[6:7]
	s_and_saveexec_b64 s[6:7], s[4:5]
	s_cbranch_execz .LBB21_2036
.LBB21_2035:
	v_bfe_u32 v0, v7, 16, 3
	v_ffbh_u32_e32 v4, v0
	v_min_u32_e32 v4, 32, v4
	v_lshrrev_b32_e32 v1, 19, v7
	v_subrev_u32_e32 v5, 28, v4
	v_and_b32_e32 v1, 15, v1
	v_lshlrev_b32_sdwa v5, v5, v7 dst_sel:DWORD dst_unused:UNUSED_PAD src0_sel:DWORD src1_sel:WORD_1
	v_bfe_u32 v2, v7, 19, 4
	v_sub_u32_e32 v4, 29, v4
	v_and_b32_e32 v5, 7, v5
	v_cmp_eq_u16_e32 vcc, 0, v1
	v_cndmask_b32_e32 v0, v0, v5, vcc
	v_cndmask_b32_e32 v1, v2, v4, vcc
	v_lshlrev_b32_e32 v2, 8, v7
	v_mov_b32_e32 v4, 0x3b800000
	v_lshlrev_b32_e32 v0, 20, v0
	v_and_b32_e32 v2, 0x80000000, v2
	v_lshl_add_u32 v1, v1, 23, v4
	v_or3_b32 v0, v2, v1, v0
.LBB21_2036:
	s_or_b64 exec, exec, s[6:7]
	s_movk_i32 s4, 0xff
	v_and_b32_sdwa v1, v3, s4 dst_sel:DWORD dst_unused:UNUSED_PAD src0_sel:WORD_1 src1_sel:DWORD
	s_movk_i32 s4, 0x7f
	v_cmp_lt_i16_e32 vcc, s4, v1
	s_mov_b64 s[4:5], 0
                                        ; implicit-def: $sgpr10
	s_and_saveexec_b64 s[6:7], vcc
	s_xor_b64 s[6:7], exec, s[6:7]
	s_cbranch_execnz .LBB21_4085
; %bb.2037:
	s_or_saveexec_b64 s[6:7], s[6:7]
	v_mov_b32_e32 v2, s10
	s_xor_b64 exec, exec, s[6:7]
	s_cbranch_execnz .LBB21_4088
.LBB21_2038:
	s_or_b64 exec, exec, s[6:7]
	s_and_saveexec_b64 s[6:7], s[4:5]
	s_cbranch_execz .LBB21_2040
.LBB21_2039:
	v_bfe_u32 v1, v3, 16, 3
	v_ffbh_u32_e32 v5, v1
	v_min_u32_e32 v5, 32, v5
	v_lshrrev_b32_e32 v2, 19, v3
	v_subrev_u32_e32 v6, 28, v5
	v_and_b32_e32 v2, 15, v2
	v_lshlrev_b32_sdwa v6, v6, v3 dst_sel:DWORD dst_unused:UNUSED_PAD src0_sel:DWORD src1_sel:WORD_1
	v_bfe_u32 v4, v3, 19, 4
	v_sub_u32_e32 v5, 29, v5
	v_and_b32_e32 v6, 7, v6
	v_cmp_eq_u16_e32 vcc, 0, v2
	v_cndmask_b32_e32 v1, v1, v6, vcc
	v_cndmask_b32_e32 v2, v4, v5, vcc
	v_lshlrev_b32_e32 v4, 8, v3
	v_mov_b32_e32 v5, 0x3b800000
	v_lshlrev_b32_e32 v1, 20, v1
	v_and_b32_e32 v4, 0x80000000, v4
	v_lshl_add_u32 v2, v2, 23, v5
	v_or3_b32 v2, v4, v2, v1
.LBB21_2040:
	s_or_b64 exec, exec, s[6:7]
	s_nop 0
	v_mfma_f32_16x16x4f32 a[0:3], v0, v2, a[0:3]
	s_movk_i32 s4, 0x7f
	v_cmp_gt_i16_sdwa s[6:7], v7, s4 src0_sel:BYTE_3 src1_sel:DWORD
	s_mov_b64 s[4:5], 0
                                        ; implicit-def: $sgpr10
	s_and_saveexec_b64 s[8:9], s[6:7]
	s_xor_b64 s[6:7], exec, s[8:9]
	s_cbranch_execnz .LBB21_4089
; %bb.2041:
	s_or_saveexec_b64 s[6:7], s[6:7]
	v_mov_b32_e32 v0, s10
	s_xor_b64 exec, exec, s[6:7]
	s_cbranch_execnz .LBB21_4092
.LBB21_2042:
	s_or_b64 exec, exec, s[6:7]
	s_and_saveexec_b64 s[6:7], s[4:5]
	s_cbranch_execz .LBB21_2044
.LBB21_2043:
	v_bfe_u32 v0, v7, 24, 3
	v_ffbh_u32_e32 v5, v0
	v_min_u32_e32 v5, 32, v5
	v_lshrrev_b32_e32 v2, 27, v7
	v_subrev_u32_e32 v6, 28, v5
	v_and_b32_e32 v2, 15, v2
	v_lshlrev_b32_sdwa v6, v6, v7 dst_sel:DWORD dst_unused:UNUSED_PAD src0_sel:DWORD src1_sel:BYTE_3
	v_bfe_u32 v4, v7, 27, 4
	v_sub_u32_e32 v5, 29, v5
	v_and_b32_e32 v6, 7, v6
	v_cmp_eq_u16_e32 vcc, 0, v2
	v_cndmask_b32_e32 v0, v0, v6, vcc
	v_cndmask_b32_e32 v2, v4, v5, vcc
	v_mov_b32_e32 v4, 0x3b800000
	v_and_b32_e32 v1, 0x80000000, v7
	v_lshlrev_b32_e32 v0, 20, v0
	v_lshl_add_u32 v2, v2, 23, v4
	v_or3_b32 v0, v1, v2, v0
.LBB21_2044:
	s_or_b64 exec, exec, s[6:7]
	s_movk_i32 s4, 0x7f
	v_cmp_gt_i16_sdwa s[6:7], v3, s4 src0_sel:BYTE_3 src1_sel:DWORD
	s_mov_b64 s[4:5], 0
                                        ; implicit-def: $sgpr10
	s_and_saveexec_b64 s[8:9], s[6:7]
	s_xor_b64 s[6:7], exec, s[8:9]
	s_cbranch_execnz .LBB21_4093
; %bb.2045:
	s_or_saveexec_b64 s[6:7], s[6:7]
	v_mov_b32_e32 v1, s10
	s_xor_b64 exec, exec, s[6:7]
	s_cbranch_execnz .LBB21_4096
.LBB21_2046:
	s_or_b64 exec, exec, s[6:7]
	s_and_saveexec_b64 s[6:7], s[4:5]
	s_cbranch_execz .LBB21_2048
.LBB21_2047:
	v_bfe_u32 v1, v3, 24, 3
	v_ffbh_u32_e32 v6, v1
	v_min_u32_e32 v6, 32, v6
	v_lshrrev_b32_e32 v4, 27, v3
	v_subrev_u32_e32 v7, 28, v6
	v_and_b32_e32 v2, 0x80000000, v3
	v_and_b32_e32 v4, 15, v4
	v_bfe_u32 v5, v3, 27, 4
	v_lshlrev_b32_sdwa v3, v7, v3 dst_sel:DWORD dst_unused:UNUSED_PAD src0_sel:DWORD src1_sel:BYTE_3
	v_sub_u32_e32 v6, 29, v6
	v_and_b32_e32 v3, 7, v3
	v_cmp_eq_u16_e32 vcc, 0, v4
	v_cndmask_b32_e32 v1, v1, v3, vcc
	v_cndmask_b32_e32 v3, v5, v6, vcc
	v_mov_b32_e32 v4, 0x3b800000
	v_lshlrev_b32_e32 v1, 20, v1
	v_lshl_add_u32 v3, v3, 23, v4
	v_or3_b32 v1, v2, v3, v1
.LBB21_2048:
	s_or_b64 exec, exec, s[6:7]
	s_nop 0
	v_mfma_f32_16x16x4f32 a[0:3], v0, v1, a[0:3]
	s_nop 7
	s_nop 2
	flat_store_dwordx4 v[16:17], a[0:3] offset:496
	s_waitcnt vmcnt(0) lgkmcnt(0)
	s_setpc_b64 s[30:31]
.LBB21_2049:
	s_movk_i32 s4, 0x80
	v_cmp_eq_u16_sdwa s[12:13], v14, s4 src0_sel:BYTE_0 src1_sel:DWORD
	s_mov_b64 s[4:5], -1
                                        ; implicit-def: $sgpr10
	s_and_saveexec_b64 s[8:9], s[12:13]
; %bb.2050:
	s_mov_b32 s10, 0x7f800001
	s_xor_b64 s[4:5], exec, -1
; %bb.2051:
	s_or_b64 exec, exec, s[8:9]
	s_and_b64 s[4:5], s[4:5], exec
	s_or_saveexec_b64 s[6:7], s[6:7]
	v_mov_b32_e32 v20, s10
	s_xor_b64 exec, exec, s[6:7]
	s_cbranch_execz .LBB21_2
.LBB21_2052:
	v_mov_b32_e32 v20, 0
	v_cmp_ne_u16_sdwa s[8:9], v14, v20 src0_sel:BYTE_0 src1_sel:DWORD
	s_andn2_b64 s[4:5], s[4:5], exec
	s_and_b64 s[8:9], s[8:9], exec
	s_or_b64 s[4:5], s[4:5], s[8:9]
	s_or_b64 exec, exec, s[6:7]
	s_and_saveexec_b64 s[6:7], s[4:5]
	s_cbranch_execnz .LBB21_3
	s_branch .LBB21_4
.LBB21_2053:
	s_movk_i32 s4, 0x80
	v_cmp_eq_u16_sdwa s[12:13], v10, s4 src0_sel:BYTE_0 src1_sel:DWORD
	s_mov_b64 s[4:5], -1
                                        ; implicit-def: $sgpr10
	s_and_saveexec_b64 s[8:9], s[12:13]
; %bb.2054:
	s_mov_b32 s10, 0x7f800001
	s_xor_b64 s[4:5], exec, -1
; %bb.2055:
	s_or_b64 exec, exec, s[8:9]
	s_and_b64 s[4:5], s[4:5], exec
	s_or_saveexec_b64 s[6:7], s[6:7]
	v_mov_b32_e32 v21, s10
	s_xor_b64 exec, exec, s[6:7]
	s_cbranch_execz .LBB21_6
.LBB21_2056:
	v_mov_b32_e32 v21, 0
	v_cmp_ne_u16_sdwa s[8:9], v10, v21 src0_sel:BYTE_0 src1_sel:DWORD
	s_andn2_b64 s[4:5], s[4:5], exec
	s_and_b64 s[8:9], s[8:9], exec
	s_or_b64 s[4:5], s[4:5], s[8:9]
	s_or_b64 exec, exec, s[6:7]
	s_and_saveexec_b64 s[6:7], s[4:5]
	s_cbranch_execnz .LBB21_7
	s_branch .LBB21_8
.LBB21_2057:
	s_movk_i32 s4, 0x80
	v_cmp_eq_u16_sdwa s[12:13], v21, s4 src0_sel:BYTE_0 src1_sel:DWORD
	s_mov_b64 s[4:5], -1
                                        ; implicit-def: $sgpr10
	s_and_saveexec_b64 s[8:9], s[12:13]
; %bb.2058:
	s_mov_b32 s10, 0x7f800001
	s_xor_b64 s[4:5], exec, -1
; %bb.2059:
	s_or_b64 exec, exec, s[8:9]
	s_and_b64 s[4:5], s[4:5], exec
	s_or_saveexec_b64 s[6:7], s[6:7]
	v_mov_b32_e32 v20, s10
	s_xor_b64 exec, exec, s[6:7]
	s_cbranch_execz .LBB21_10
.LBB21_2060:
	v_mov_b32_e32 v20, 0
	v_cmp_ne_u16_sdwa s[8:9], v21, v20 src0_sel:BYTE_0 src1_sel:DWORD
	s_andn2_b64 s[4:5], s[4:5], exec
	s_and_b64 s[8:9], s[8:9], exec
	s_or_b64 s[4:5], s[4:5], s[8:9]
	s_or_b64 exec, exec, s[6:7]
	s_and_saveexec_b64 s[6:7], s[4:5]
	s_cbranch_execnz .LBB21_11
	s_branch .LBB21_12
.LBB21_2061:
	s_movk_i32 s4, 0x80
	v_cmp_eq_u16_sdwa s[12:13], v21, s4 src0_sel:BYTE_0 src1_sel:DWORD
	s_mov_b64 s[4:5], -1
                                        ; implicit-def: $sgpr10
	s_and_saveexec_b64 s[8:9], s[12:13]
; %bb.2062:
	s_mov_b32 s10, 0x7f800001
	s_xor_b64 s[4:5], exec, -1
; %bb.2063:
	s_or_b64 exec, exec, s[8:9]
	s_and_b64 s[4:5], s[4:5], exec
	s_or_saveexec_b64 s[6:7], s[6:7]
	v_mov_b32_e32 v22, s10
	s_xor_b64 exec, exec, s[6:7]
	s_cbranch_execz .LBB21_14
.LBB21_2064:
	v_mov_b32_e32 v22, 0
	v_cmp_ne_u16_sdwa s[8:9], v21, v22 src0_sel:BYTE_0 src1_sel:DWORD
	s_andn2_b64 s[4:5], s[4:5], exec
	s_and_b64 s[8:9], s[8:9], exec
	s_or_b64 s[4:5], s[4:5], s[8:9]
	s_or_b64 exec, exec, s[6:7]
	s_and_saveexec_b64 s[6:7], s[4:5]
	s_cbranch_execnz .LBB21_15
	s_branch .LBB21_16
.LBB21_2065:
	s_movk_i32 s4, 0x80
	v_cmp_eq_u16_e32 vcc, s4, v21
	s_mov_b64 s[4:5], -1
                                        ; implicit-def: $sgpr10
	s_and_saveexec_b64 s[8:9], vcc
; %bb.2066:
	s_mov_b32 s10, 0x7f800001
	s_xor_b64 s[4:5], exec, -1
; %bb.2067:
	s_or_b64 exec, exec, s[8:9]
	s_and_b64 s[4:5], s[4:5], exec
                                        ; implicit-def: $vgpr21
	s_or_saveexec_b64 s[6:7], s[6:7]
	v_mov_b32_e32 v20, s10
	s_xor_b64 exec, exec, s[6:7]
	s_cbranch_execz .LBB21_18
.LBB21_2068:
	v_cmp_ne_u16_e32 vcc, 0, v21
	s_andn2_b64 s[4:5], s[4:5], exec
	s_and_b64 s[8:9], vcc, exec
	v_mov_b32_e32 v20, 0
	s_or_b64 s[4:5], s[4:5], s[8:9]
	s_or_b64 exec, exec, s[6:7]
	s_and_saveexec_b64 s[6:7], s[4:5]
	s_cbranch_execnz .LBB21_19
	s_branch .LBB21_20
.LBB21_2069:
	s_movk_i32 s4, 0x80
	v_cmp_eq_u16_e32 vcc, s4, v21
	s_mov_b64 s[4:5], -1
                                        ; implicit-def: $sgpr10
	s_and_saveexec_b64 s[8:9], vcc
; %bb.2070:
	s_mov_b32 s10, 0x7f800001
	s_xor_b64 s[4:5], exec, -1
; %bb.2071:
	s_or_b64 exec, exec, s[8:9]
	s_and_b64 s[4:5], s[4:5], exec
                                        ; implicit-def: $vgpr21
	s_or_saveexec_b64 s[6:7], s[6:7]
	v_mov_b32_e32 v22, s10
	s_xor_b64 exec, exec, s[6:7]
	s_cbranch_execz .LBB21_22
.LBB21_2072:
	v_cmp_ne_u16_e32 vcc, 0, v21
	s_andn2_b64 s[4:5], s[4:5], exec
	s_and_b64 s[8:9], vcc, exec
	v_mov_b32_e32 v22, 0
	s_or_b64 s[4:5], s[4:5], s[8:9]
	s_or_b64 exec, exec, s[6:7]
	s_and_saveexec_b64 s[6:7], s[4:5]
	s_cbranch_execnz .LBB21_23
	s_branch .LBB21_24
.LBB21_2073:
	s_movk_i32 s4, 0x80
	v_cmp_eq_u16_sdwa s[12:13], v14, s4 src0_sel:BYTE_3 src1_sel:DWORD
	s_mov_b64 s[4:5], -1
                                        ; implicit-def: $sgpr10
	s_and_saveexec_b64 s[8:9], s[12:13]
; %bb.2074:
	s_mov_b32 s10, 0x7f800001
	s_xor_b64 s[4:5], exec, -1
; %bb.2075:
	s_or_b64 exec, exec, s[8:9]
	s_and_b64 s[4:5], s[4:5], exec
	s_or_saveexec_b64 s[6:7], s[6:7]
	v_mov_b32_e32 v20, s10
	s_xor_b64 exec, exec, s[6:7]
	s_cbranch_execz .LBB21_26
.LBB21_2076:
	v_mov_b32_e32 v20, 0
	v_cmp_ne_u16_sdwa s[8:9], v14, v20 src0_sel:BYTE_3 src1_sel:DWORD
	s_andn2_b64 s[4:5], s[4:5], exec
	s_and_b64 s[8:9], s[8:9], exec
	s_or_b64 s[4:5], s[4:5], s[8:9]
	s_or_b64 exec, exec, s[6:7]
	s_and_saveexec_b64 s[6:7], s[4:5]
	s_cbranch_execnz .LBB21_27
	s_branch .LBB21_28
.LBB21_2077:
	s_movk_i32 s4, 0x80
	v_cmp_eq_u16_sdwa s[12:13], v10, s4 src0_sel:BYTE_3 src1_sel:DWORD
	s_mov_b64 s[4:5], -1
                                        ; implicit-def: $sgpr10
	s_and_saveexec_b64 s[8:9], s[12:13]
; %bb.2078:
	s_mov_b32 s10, 0x7f800001
	s_xor_b64 s[4:5], exec, -1
; %bb.2079:
	s_or_b64 exec, exec, s[8:9]
	s_and_b64 s[4:5], s[4:5], exec
	s_or_saveexec_b64 s[6:7], s[6:7]
	v_mov_b32_e32 v14, s10
	s_xor_b64 exec, exec, s[6:7]
	s_cbranch_execz .LBB21_30
.LBB21_2080:
	v_mov_b32_e32 v14, 0
	v_cmp_ne_u16_sdwa s[8:9], v10, v14 src0_sel:BYTE_3 src1_sel:DWORD
	s_andn2_b64 s[4:5], s[4:5], exec
	s_and_b64 s[8:9], s[8:9], exec
	s_or_b64 s[4:5], s[4:5], s[8:9]
	s_or_b64 exec, exec, s[6:7]
	s_and_saveexec_b64 s[6:7], s[4:5]
	s_cbranch_execnz .LBB21_31
	s_branch .LBB21_32
.LBB21_2081:
	s_movk_i32 s4, 0x80
	v_cmp_eq_u16_sdwa s[12:13], v15, s4 src0_sel:BYTE_0 src1_sel:DWORD
	s_mov_b64 s[4:5], -1
                                        ; implicit-def: $sgpr10
	s_and_saveexec_b64 s[8:9], s[12:13]
; %bb.2082:
	s_mov_b32 s10, 0x7f800001
	s_xor_b64 s[4:5], exec, -1
; %bb.2083:
	s_or_b64 exec, exec, s[8:9]
	s_and_b64 s[4:5], s[4:5], exec
	s_or_saveexec_b64 s[6:7], s[6:7]
	v_mov_b32_e32 v10, s10
	s_xor_b64 exec, exec, s[6:7]
	s_cbranch_execz .LBB21_34
.LBB21_2084:
	v_mov_b32_e32 v10, 0
	v_cmp_ne_u16_sdwa s[8:9], v15, v10 src0_sel:BYTE_0 src1_sel:DWORD
	s_andn2_b64 s[4:5], s[4:5], exec
	s_and_b64 s[8:9], s[8:9], exec
	s_or_b64 s[4:5], s[4:5], s[8:9]
	s_or_b64 exec, exec, s[6:7]
	s_and_saveexec_b64 s[6:7], s[4:5]
	s_cbranch_execnz .LBB21_35
	s_branch .LBB21_36
.LBB21_2085:
	s_movk_i32 s4, 0x80
	v_cmp_eq_u16_sdwa s[12:13], v11, s4 src0_sel:BYTE_0 src1_sel:DWORD
	s_mov_b64 s[4:5], -1
                                        ; implicit-def: $sgpr10
	s_and_saveexec_b64 s[8:9], s[12:13]
; %bb.2086:
	s_mov_b32 s10, 0x7f800001
	s_xor_b64 s[4:5], exec, -1
; %bb.2087:
	s_or_b64 exec, exec, s[8:9]
	s_and_b64 s[4:5], s[4:5], exec
	s_or_saveexec_b64 s[6:7], s[6:7]
	v_mov_b32_e32 v14, s10
	s_xor_b64 exec, exec, s[6:7]
	s_cbranch_execz .LBB21_38
.LBB21_2088:
	v_mov_b32_e32 v14, 0
	v_cmp_ne_u16_sdwa s[8:9], v11, v14 src0_sel:BYTE_0 src1_sel:DWORD
	s_andn2_b64 s[4:5], s[4:5], exec
	s_and_b64 s[8:9], s[8:9], exec
	s_or_b64 s[4:5], s[4:5], s[8:9]
	s_or_b64 exec, exec, s[6:7]
	s_and_saveexec_b64 s[6:7], s[4:5]
	s_cbranch_execnz .LBB21_39
	s_branch .LBB21_40
.LBB21_2089:
	s_movk_i32 s4, 0x80
	v_cmp_eq_u16_sdwa s[12:13], v14, s4 src0_sel:BYTE_0 src1_sel:DWORD
	s_mov_b64 s[4:5], -1
                                        ; implicit-def: $sgpr10
	s_and_saveexec_b64 s[8:9], s[12:13]
; %bb.2090:
	s_mov_b32 s10, 0x7f800001
	s_xor_b64 s[4:5], exec, -1
; %bb.2091:
	s_or_b64 exec, exec, s[8:9]
	s_and_b64 s[4:5], s[4:5], exec
	s_or_saveexec_b64 s[6:7], s[6:7]
	v_mov_b32_e32 v10, s10
	s_xor_b64 exec, exec, s[6:7]
	s_cbranch_execz .LBB21_42
.LBB21_2092:
	v_mov_b32_e32 v10, 0
	v_cmp_ne_u16_sdwa s[8:9], v14, v10 src0_sel:BYTE_0 src1_sel:DWORD
	s_andn2_b64 s[4:5], s[4:5], exec
	s_and_b64 s[8:9], s[8:9], exec
	s_or_b64 s[4:5], s[4:5], s[8:9]
	s_or_b64 exec, exec, s[6:7]
	s_and_saveexec_b64 s[6:7], s[4:5]
	s_cbranch_execnz .LBB21_43
	s_branch .LBB21_44
.LBB21_2093:
	s_movk_i32 s4, 0x80
	v_cmp_eq_u16_sdwa s[12:13], v14, s4 src0_sel:BYTE_0 src1_sel:DWORD
	s_mov_b64 s[4:5], -1
                                        ; implicit-def: $sgpr10
	s_and_saveexec_b64 s[8:9], s[12:13]
; %bb.2094:
	s_mov_b32 s10, 0x7f800001
	s_xor_b64 s[4:5], exec, -1
; %bb.2095:
	s_or_b64 exec, exec, s[8:9]
	s_and_b64 s[4:5], s[4:5], exec
	s_or_saveexec_b64 s[6:7], s[6:7]
	v_mov_b32_e32 v20, s10
	s_xor_b64 exec, exec, s[6:7]
	s_cbranch_execz .LBB21_46
.LBB21_2096:
	v_mov_b32_e32 v20, 0
	v_cmp_ne_u16_sdwa s[8:9], v14, v20 src0_sel:BYTE_0 src1_sel:DWORD
	s_andn2_b64 s[4:5], s[4:5], exec
	s_and_b64 s[8:9], s[8:9], exec
	s_or_b64 s[4:5], s[4:5], s[8:9]
	s_or_b64 exec, exec, s[6:7]
	s_and_saveexec_b64 s[6:7], s[4:5]
	s_cbranch_execnz .LBB21_47
	s_branch .LBB21_48
.LBB21_2097:
	s_movk_i32 s4, 0x80
	v_cmp_eq_u16_e32 vcc, s4, v14
	s_mov_b64 s[4:5], -1
                                        ; implicit-def: $sgpr10
	s_and_saveexec_b64 s[8:9], vcc
; %bb.2098:
	s_mov_b32 s10, 0x7f800001
	s_xor_b64 s[4:5], exec, -1
; %bb.2099:
	s_or_b64 exec, exec, s[8:9]
	s_and_b64 s[4:5], s[4:5], exec
                                        ; implicit-def: $vgpr14
	s_or_saveexec_b64 s[6:7], s[6:7]
	v_mov_b32_e32 v10, s10
	s_xor_b64 exec, exec, s[6:7]
	s_cbranch_execz .LBB21_50
.LBB21_2100:
	v_cmp_ne_u16_e32 vcc, 0, v14
	s_andn2_b64 s[4:5], s[4:5], exec
	s_and_b64 s[8:9], vcc, exec
	v_mov_b32_e32 v10, 0
	s_or_b64 s[4:5], s[4:5], s[8:9]
	s_or_b64 exec, exec, s[6:7]
	s_and_saveexec_b64 s[6:7], s[4:5]
	s_cbranch_execnz .LBB21_51
	s_branch .LBB21_52
.LBB21_2101:
	s_movk_i32 s4, 0x80
	v_cmp_eq_u16_e32 vcc, s4, v14
	s_mov_b64 s[4:5], -1
                                        ; implicit-def: $sgpr10
	s_and_saveexec_b64 s[8:9], vcc
; %bb.2102:
	s_mov_b32 s10, 0x7f800001
	s_xor_b64 s[4:5], exec, -1
; %bb.2103:
	s_or_b64 exec, exec, s[8:9]
	s_and_b64 s[4:5], s[4:5], exec
                                        ; implicit-def: $vgpr14
	s_or_saveexec_b64 s[6:7], s[6:7]
	v_mov_b32_e32 v20, s10
	s_xor_b64 exec, exec, s[6:7]
	s_cbranch_execz .LBB21_54
.LBB21_2104:
	v_cmp_ne_u16_e32 vcc, 0, v14
	s_andn2_b64 s[4:5], s[4:5], exec
	s_and_b64 s[8:9], vcc, exec
	v_mov_b32_e32 v20, 0
	s_or_b64 s[4:5], s[4:5], s[8:9]
	s_or_b64 exec, exec, s[6:7]
	s_and_saveexec_b64 s[6:7], s[4:5]
	s_cbranch_execnz .LBB21_55
	s_branch .LBB21_56
.LBB21_2105:
	s_movk_i32 s4, 0x80
	v_cmp_eq_u16_sdwa s[12:13], v15, s4 src0_sel:BYTE_3 src1_sel:DWORD
	s_mov_b64 s[4:5], -1
                                        ; implicit-def: $sgpr10
	s_and_saveexec_b64 s[8:9], s[12:13]
; %bb.2106:
	s_mov_b32 s10, 0x7f800001
	s_xor_b64 s[4:5], exec, -1
; %bb.2107:
	s_or_b64 exec, exec, s[8:9]
	s_and_b64 s[4:5], s[4:5], exec
	s_or_saveexec_b64 s[6:7], s[6:7]
	v_mov_b32_e32 v10, s10
	s_xor_b64 exec, exec, s[6:7]
	s_cbranch_execz .LBB21_58
.LBB21_2108:
	v_mov_b32_e32 v10, 0
	v_cmp_ne_u16_sdwa s[8:9], v15, v10 src0_sel:BYTE_3 src1_sel:DWORD
	s_andn2_b64 s[4:5], s[4:5], exec
	s_and_b64 s[8:9], s[8:9], exec
	s_or_b64 s[4:5], s[4:5], s[8:9]
	s_or_b64 exec, exec, s[6:7]
	s_and_saveexec_b64 s[6:7], s[4:5]
	s_cbranch_execnz .LBB21_59
	s_branch .LBB21_60
.LBB21_2109:
	s_movk_i32 s4, 0x80
	v_cmp_eq_u16_sdwa s[12:13], v11, s4 src0_sel:BYTE_3 src1_sel:DWORD
	s_mov_b64 s[4:5], -1
                                        ; implicit-def: $sgpr10
	s_and_saveexec_b64 s[8:9], s[12:13]
; %bb.2110:
	s_mov_b32 s10, 0x7f800001
	s_xor_b64 s[4:5], exec, -1
; %bb.2111:
	s_or_b64 exec, exec, s[8:9]
	s_and_b64 s[4:5], s[4:5], exec
	s_or_saveexec_b64 s[6:7], s[6:7]
	v_mov_b32_e32 v14, s10
	s_xor_b64 exec, exec, s[6:7]
	s_cbranch_execz .LBB21_62
.LBB21_2112:
	v_mov_b32_e32 v14, 0
	v_cmp_ne_u16_sdwa s[8:9], v11, v14 src0_sel:BYTE_3 src1_sel:DWORD
	s_andn2_b64 s[4:5], s[4:5], exec
	s_and_b64 s[8:9], s[8:9], exec
	s_or_b64 s[4:5], s[4:5], s[8:9]
	s_or_b64 exec, exec, s[6:7]
	s_and_saveexec_b64 s[6:7], s[4:5]
	s_cbranch_execnz .LBB21_63
	s_branch .LBB21_64
.LBB21_2113:
	s_movk_i32 s4, 0x80
	v_cmp_eq_u16_sdwa s[12:13], v16, s4 src0_sel:BYTE_0 src1_sel:DWORD
	s_mov_b64 s[4:5], -1
                                        ; implicit-def: $sgpr10
	s_and_saveexec_b64 s[8:9], s[12:13]
; %bb.2114:
	s_mov_b32 s10, 0x7f800001
	s_xor_b64 s[4:5], exec, -1
; %bb.2115:
	s_or_b64 exec, exec, s[8:9]
	s_and_b64 s[4:5], s[4:5], exec
	s_or_saveexec_b64 s[6:7], s[6:7]
	v_mov_b32_e32 v10, s10
	s_xor_b64 exec, exec, s[6:7]
	s_cbranch_execz .LBB21_66
.LBB21_2116:
	v_mov_b32_e32 v10, 0
	v_cmp_ne_u16_sdwa s[8:9], v16, v10 src0_sel:BYTE_0 src1_sel:DWORD
	s_andn2_b64 s[4:5], s[4:5], exec
	s_and_b64 s[8:9], s[8:9], exec
	s_or_b64 s[4:5], s[4:5], s[8:9]
	s_or_b64 exec, exec, s[6:7]
	s_and_saveexec_b64 s[6:7], s[4:5]
	s_cbranch_execnz .LBB21_67
	s_branch .LBB21_68
.LBB21_2117:
	s_movk_i32 s4, 0x80
	v_cmp_eq_u16_sdwa s[12:13], v12, s4 src0_sel:BYTE_0 src1_sel:DWORD
	s_mov_b64 s[4:5], -1
                                        ; implicit-def: $sgpr10
	s_and_saveexec_b64 s[8:9], s[12:13]
; %bb.2118:
	s_mov_b32 s10, 0x7f800001
	s_xor_b64 s[4:5], exec, -1
; %bb.2119:
	s_or_b64 exec, exec, s[8:9]
	s_and_b64 s[4:5], s[4:5], exec
	s_or_saveexec_b64 s[6:7], s[6:7]
	v_mov_b32_e32 v11, s10
	s_xor_b64 exec, exec, s[6:7]
	s_cbranch_execz .LBB21_70
.LBB21_2120:
	v_mov_b32_e32 v11, 0
	v_cmp_ne_u16_sdwa s[8:9], v12, v11 src0_sel:BYTE_0 src1_sel:DWORD
	s_andn2_b64 s[4:5], s[4:5], exec
	s_and_b64 s[8:9], s[8:9], exec
	s_or_b64 s[4:5], s[4:5], s[8:9]
	s_or_b64 exec, exec, s[6:7]
	s_and_saveexec_b64 s[6:7], s[4:5]
	s_cbranch_execnz .LBB21_71
	s_branch .LBB21_72
.LBB21_2121:
	s_movk_i32 s4, 0x80
	v_cmp_eq_u16_sdwa s[12:13], v11, s4 src0_sel:BYTE_0 src1_sel:DWORD
	s_mov_b64 s[4:5], -1
                                        ; implicit-def: $sgpr10
	s_and_saveexec_b64 s[8:9], s[12:13]
; %bb.2122:
	s_mov_b32 s10, 0x7f800001
	s_xor_b64 s[4:5], exec, -1
; %bb.2123:
	s_or_b64 exec, exec, s[8:9]
	s_and_b64 s[4:5], s[4:5], exec
	s_or_saveexec_b64 s[6:7], s[6:7]
	v_mov_b32_e32 v10, s10
	s_xor_b64 exec, exec, s[6:7]
	s_cbranch_execz .LBB21_74
.LBB21_2124:
	v_mov_b32_e32 v10, 0
	v_cmp_ne_u16_sdwa s[8:9], v11, v10 src0_sel:BYTE_0 src1_sel:DWORD
	s_andn2_b64 s[4:5], s[4:5], exec
	s_and_b64 s[8:9], s[8:9], exec
	s_or_b64 s[4:5], s[4:5], s[8:9]
	s_or_b64 exec, exec, s[6:7]
	s_and_saveexec_b64 s[6:7], s[4:5]
	s_cbranch_execnz .LBB21_75
	s_branch .LBB21_76
.LBB21_2125:
	s_movk_i32 s4, 0x80
	v_cmp_eq_u16_sdwa s[12:13], v11, s4 src0_sel:BYTE_0 src1_sel:DWORD
	s_mov_b64 s[4:5], -1
                                        ; implicit-def: $sgpr10
	s_and_saveexec_b64 s[8:9], s[12:13]
; %bb.2126:
	s_mov_b32 s10, 0x7f800001
	s_xor_b64 s[4:5], exec, -1
; %bb.2127:
	s_or_b64 exec, exec, s[8:9]
	s_and_b64 s[4:5], s[4:5], exec
	s_or_saveexec_b64 s[6:7], s[6:7]
	v_mov_b32_e32 v14, s10
	s_xor_b64 exec, exec, s[6:7]
	s_cbranch_execz .LBB21_78
.LBB21_2128:
	v_mov_b32_e32 v14, 0
	v_cmp_ne_u16_sdwa s[8:9], v11, v14 src0_sel:BYTE_0 src1_sel:DWORD
	s_andn2_b64 s[4:5], s[4:5], exec
	s_and_b64 s[8:9], s[8:9], exec
	s_or_b64 s[4:5], s[4:5], s[8:9]
	s_or_b64 exec, exec, s[6:7]
	s_and_saveexec_b64 s[6:7], s[4:5]
	s_cbranch_execnz .LBB21_79
	s_branch .LBB21_80
.LBB21_2129:
	s_movk_i32 s4, 0x80
	v_cmp_eq_u16_e32 vcc, s4, v11
	s_mov_b64 s[4:5], -1
                                        ; implicit-def: $sgpr10
	s_and_saveexec_b64 s[8:9], vcc
; %bb.2130:
	s_mov_b32 s10, 0x7f800001
	s_xor_b64 s[4:5], exec, -1
; %bb.2131:
	s_or_b64 exec, exec, s[8:9]
	s_and_b64 s[4:5], s[4:5], exec
                                        ; implicit-def: $vgpr11
	s_or_saveexec_b64 s[6:7], s[6:7]
	v_mov_b32_e32 v10, s10
	s_xor_b64 exec, exec, s[6:7]
	s_cbranch_execz .LBB21_82
.LBB21_2132:
	v_cmp_ne_u16_e32 vcc, 0, v11
	s_andn2_b64 s[4:5], s[4:5], exec
	s_and_b64 s[8:9], vcc, exec
	v_mov_b32_e32 v10, 0
	s_or_b64 s[4:5], s[4:5], s[8:9]
	s_or_b64 exec, exec, s[6:7]
	s_and_saveexec_b64 s[6:7], s[4:5]
	s_cbranch_execnz .LBB21_83
	s_branch .LBB21_84
.LBB21_2133:
	s_movk_i32 s4, 0x80
	v_cmp_eq_u16_e32 vcc, s4, v11
	s_mov_b64 s[4:5], -1
                                        ; implicit-def: $sgpr10
	s_and_saveexec_b64 s[8:9], vcc
; %bb.2134:
	s_mov_b32 s10, 0x7f800001
	s_xor_b64 s[4:5], exec, -1
; %bb.2135:
	s_or_b64 exec, exec, s[8:9]
	s_and_b64 s[4:5], s[4:5], exec
                                        ; implicit-def: $vgpr11
	s_or_saveexec_b64 s[6:7], s[6:7]
	v_mov_b32_e32 v14, s10
	s_xor_b64 exec, exec, s[6:7]
	s_cbranch_execz .LBB21_86
.LBB21_2136:
	v_cmp_ne_u16_e32 vcc, 0, v11
	s_andn2_b64 s[4:5], s[4:5], exec
	s_and_b64 s[8:9], vcc, exec
	v_mov_b32_e32 v14, 0
	s_or_b64 s[4:5], s[4:5], s[8:9]
	s_or_b64 exec, exec, s[6:7]
	s_and_saveexec_b64 s[6:7], s[4:5]
	s_cbranch_execnz .LBB21_87
	s_branch .LBB21_88
.LBB21_2137:
	s_movk_i32 s4, 0x80
	v_cmp_eq_u16_sdwa s[12:13], v16, s4 src0_sel:BYTE_3 src1_sel:DWORD
	s_mov_b64 s[4:5], -1
                                        ; implicit-def: $sgpr10
	s_and_saveexec_b64 s[8:9], s[12:13]
; %bb.2138:
	s_mov_b32 s10, 0x7f800001
	s_xor_b64 s[4:5], exec, -1
; %bb.2139:
	s_or_b64 exec, exec, s[8:9]
	s_and_b64 s[4:5], s[4:5], exec
	s_or_saveexec_b64 s[6:7], s[6:7]
	v_mov_b32_e32 v10, s10
	s_xor_b64 exec, exec, s[6:7]
	s_cbranch_execz .LBB21_90
.LBB21_2140:
	v_mov_b32_e32 v10, 0
	v_cmp_ne_u16_sdwa s[8:9], v16, v10 src0_sel:BYTE_3 src1_sel:DWORD
	s_andn2_b64 s[4:5], s[4:5], exec
	s_and_b64 s[8:9], s[8:9], exec
	s_or_b64 s[4:5], s[4:5], s[8:9]
	s_or_b64 exec, exec, s[6:7]
	s_and_saveexec_b64 s[6:7], s[4:5]
	s_cbranch_execnz .LBB21_91
	s_branch .LBB21_92
.LBB21_2141:
	s_movk_i32 s4, 0x80
	v_cmp_eq_u16_sdwa s[12:13], v12, s4 src0_sel:BYTE_3 src1_sel:DWORD
	s_mov_b64 s[4:5], -1
                                        ; implicit-def: $sgpr10
	s_and_saveexec_b64 s[8:9], s[12:13]
; %bb.2142:
	s_mov_b32 s10, 0x7f800001
	s_xor_b64 s[4:5], exec, -1
; %bb.2143:
	s_or_b64 exec, exec, s[8:9]
	s_and_b64 s[4:5], s[4:5], exec
	s_or_saveexec_b64 s[6:7], s[6:7]
	v_mov_b32_e32 v11, s10
	s_xor_b64 exec, exec, s[6:7]
	s_cbranch_execz .LBB21_94
.LBB21_2144:
	v_mov_b32_e32 v11, 0
	v_cmp_ne_u16_sdwa s[8:9], v12, v11 src0_sel:BYTE_3 src1_sel:DWORD
	s_andn2_b64 s[4:5], s[4:5], exec
	s_and_b64 s[8:9], s[8:9], exec
	s_or_b64 s[4:5], s[4:5], s[8:9]
	s_or_b64 exec, exec, s[6:7]
	s_and_saveexec_b64 s[6:7], s[4:5]
	s_cbranch_execnz .LBB21_95
	s_branch .LBB21_96
.LBB21_2145:
	s_movk_i32 s4, 0x80
	v_cmp_eq_u16_sdwa s[12:13], v17, s4 src0_sel:BYTE_0 src1_sel:DWORD
	s_mov_b64 s[4:5], -1
                                        ; implicit-def: $sgpr10
	s_and_saveexec_b64 s[8:9], s[12:13]
; %bb.2146:
	s_mov_b32 s10, 0x7f800001
	s_xor_b64 s[4:5], exec, -1
; %bb.2147:
	s_or_b64 exec, exec, s[8:9]
	s_and_b64 s[4:5], s[4:5], exec
	s_or_saveexec_b64 s[6:7], s[6:7]
	v_mov_b32_e32 v10, s10
	s_xor_b64 exec, exec, s[6:7]
	s_cbranch_execz .LBB21_98
.LBB21_2148:
	v_mov_b32_e32 v10, 0
	v_cmp_ne_u16_sdwa s[8:9], v17, v10 src0_sel:BYTE_0 src1_sel:DWORD
	s_andn2_b64 s[4:5], s[4:5], exec
	s_and_b64 s[8:9], s[8:9], exec
	s_or_b64 s[4:5], s[4:5], s[8:9]
	s_or_b64 exec, exec, s[6:7]
	s_and_saveexec_b64 s[6:7], s[4:5]
	s_cbranch_execnz .LBB21_99
	s_branch .LBB21_100
.LBB21_2149:
	s_movk_i32 s4, 0x80
	v_cmp_eq_u16_sdwa s[12:13], v13, s4 src0_sel:BYTE_0 src1_sel:DWORD
	s_mov_b64 s[4:5], -1
                                        ; implicit-def: $sgpr10
	s_and_saveexec_b64 s[8:9], s[12:13]
; %bb.2150:
	s_mov_b32 s10, 0x7f800001
	s_xor_b64 s[4:5], exec, -1
; %bb.2151:
	s_or_b64 exec, exec, s[8:9]
	s_and_b64 s[4:5], s[4:5], exec
	s_or_saveexec_b64 s[6:7], s[6:7]
	v_mov_b32_e32 v11, s10
	s_xor_b64 exec, exec, s[6:7]
	s_cbranch_execz .LBB21_102
.LBB21_2152:
	v_mov_b32_e32 v11, 0
	v_cmp_ne_u16_sdwa s[8:9], v13, v11 src0_sel:BYTE_0 src1_sel:DWORD
	s_andn2_b64 s[4:5], s[4:5], exec
	s_and_b64 s[8:9], s[8:9], exec
	s_or_b64 s[4:5], s[4:5], s[8:9]
	s_or_b64 exec, exec, s[6:7]
	s_and_saveexec_b64 s[6:7], s[4:5]
	s_cbranch_execnz .LBB21_103
	s_branch .LBB21_104
.LBB21_2153:
	s_movk_i32 s4, 0x80
	v_cmp_eq_u16_sdwa s[12:13], v11, s4 src0_sel:BYTE_0 src1_sel:DWORD
	s_mov_b64 s[4:5], -1
                                        ; implicit-def: $sgpr10
	s_and_saveexec_b64 s[8:9], s[12:13]
; %bb.2154:
	s_mov_b32 s10, 0x7f800001
	s_xor_b64 s[4:5], exec, -1
; %bb.2155:
	s_or_b64 exec, exec, s[8:9]
	s_and_b64 s[4:5], s[4:5], exec
	s_or_saveexec_b64 s[6:7], s[6:7]
	v_mov_b32_e32 v10, s10
	s_xor_b64 exec, exec, s[6:7]
	s_cbranch_execz .LBB21_106
.LBB21_2156:
	v_mov_b32_e32 v10, 0
	v_cmp_ne_u16_sdwa s[8:9], v11, v10 src0_sel:BYTE_0 src1_sel:DWORD
	s_andn2_b64 s[4:5], s[4:5], exec
	s_and_b64 s[8:9], s[8:9], exec
	s_or_b64 s[4:5], s[4:5], s[8:9]
	s_or_b64 exec, exec, s[6:7]
	s_and_saveexec_b64 s[6:7], s[4:5]
	s_cbranch_execnz .LBB21_107
	s_branch .LBB21_108
.LBB21_2157:
	s_movk_i32 s4, 0x80
	v_cmp_eq_u16_sdwa s[12:13], v11, s4 src0_sel:BYTE_0 src1_sel:DWORD
	s_mov_b64 s[4:5], -1
                                        ; implicit-def: $sgpr10
	s_and_saveexec_b64 s[8:9], s[12:13]
; %bb.2158:
	s_mov_b32 s10, 0x7f800001
	s_xor_b64 s[4:5], exec, -1
; %bb.2159:
	s_or_b64 exec, exec, s[8:9]
	s_and_b64 s[4:5], s[4:5], exec
	s_or_saveexec_b64 s[6:7], s[6:7]
	v_mov_b32_e32 v12, s10
	s_xor_b64 exec, exec, s[6:7]
	s_cbranch_execz .LBB21_110
.LBB21_2160:
	v_mov_b32_e32 v12, 0
	v_cmp_ne_u16_sdwa s[8:9], v11, v12 src0_sel:BYTE_0 src1_sel:DWORD
	s_andn2_b64 s[4:5], s[4:5], exec
	s_and_b64 s[8:9], s[8:9], exec
	s_or_b64 s[4:5], s[4:5], s[8:9]
	s_or_b64 exec, exec, s[6:7]
	s_and_saveexec_b64 s[6:7], s[4:5]
	s_cbranch_execnz .LBB21_111
	s_branch .LBB21_112
.LBB21_2161:
	s_movk_i32 s4, 0x80
	v_cmp_eq_u16_e32 vcc, s4, v11
	s_mov_b64 s[4:5], -1
                                        ; implicit-def: $sgpr10
	s_and_saveexec_b64 s[8:9], vcc
; %bb.2162:
	s_mov_b32 s10, 0x7f800001
	s_xor_b64 s[4:5], exec, -1
; %bb.2163:
	s_or_b64 exec, exec, s[8:9]
	s_and_b64 s[4:5], s[4:5], exec
                                        ; implicit-def: $vgpr11
	s_or_saveexec_b64 s[6:7], s[6:7]
	v_mov_b32_e32 v10, s10
	s_xor_b64 exec, exec, s[6:7]
	s_cbranch_execz .LBB21_114
.LBB21_2164:
	v_cmp_ne_u16_e32 vcc, 0, v11
	s_andn2_b64 s[4:5], s[4:5], exec
	s_and_b64 s[8:9], vcc, exec
	v_mov_b32_e32 v10, 0
	s_or_b64 s[4:5], s[4:5], s[8:9]
	s_or_b64 exec, exec, s[6:7]
	s_and_saveexec_b64 s[6:7], s[4:5]
	s_cbranch_execnz .LBB21_115
	s_branch .LBB21_116
.LBB21_2165:
	s_movk_i32 s4, 0x80
	v_cmp_eq_u16_e32 vcc, s4, v11
	s_mov_b64 s[4:5], -1
                                        ; implicit-def: $sgpr10
	s_and_saveexec_b64 s[8:9], vcc
; %bb.2166:
	s_mov_b32 s10, 0x7f800001
	s_xor_b64 s[4:5], exec, -1
; %bb.2167:
	s_or_b64 exec, exec, s[8:9]
	s_and_b64 s[4:5], s[4:5], exec
                                        ; implicit-def: $vgpr11
	s_or_saveexec_b64 s[6:7], s[6:7]
	v_mov_b32_e32 v12, s10
	s_xor_b64 exec, exec, s[6:7]
	s_cbranch_execz .LBB21_118
.LBB21_2168:
	v_cmp_ne_u16_e32 vcc, 0, v11
	s_andn2_b64 s[4:5], s[4:5], exec
	s_and_b64 s[8:9], vcc, exec
	v_mov_b32_e32 v12, 0
	s_or_b64 s[4:5], s[4:5], s[8:9]
	s_or_b64 exec, exec, s[6:7]
	s_and_saveexec_b64 s[6:7], s[4:5]
	s_cbranch_execnz .LBB21_119
	s_branch .LBB21_120
.LBB21_2169:
	s_movk_i32 s4, 0x80
	v_cmp_eq_u16_sdwa s[12:13], v17, s4 src0_sel:BYTE_3 src1_sel:DWORD
	s_mov_b64 s[4:5], -1
                                        ; implicit-def: $sgpr10
	s_and_saveexec_b64 s[8:9], s[12:13]
; %bb.2170:
	s_mov_b32 s10, 0x7f800001
	s_xor_b64 s[4:5], exec, -1
; %bb.2171:
	s_or_b64 exec, exec, s[8:9]
	s_and_b64 s[4:5], s[4:5], exec
	s_or_saveexec_b64 s[6:7], s[6:7]
	v_mov_b32_e32 v10, s10
	s_xor_b64 exec, exec, s[6:7]
	s_cbranch_execz .LBB21_122
.LBB21_2172:
	v_mov_b32_e32 v10, 0
	v_cmp_ne_u16_sdwa s[8:9], v17, v10 src0_sel:BYTE_3 src1_sel:DWORD
	s_andn2_b64 s[4:5], s[4:5], exec
	s_and_b64 s[8:9], s[8:9], exec
	s_or_b64 s[4:5], s[4:5], s[8:9]
	s_or_b64 exec, exec, s[6:7]
	s_and_saveexec_b64 s[6:7], s[4:5]
	s_cbranch_execnz .LBB21_123
	s_branch .LBB21_124
.LBB21_2173:
	s_movk_i32 s4, 0x80
	v_cmp_eq_u16_sdwa s[12:13], v13, s4 src0_sel:BYTE_3 src1_sel:DWORD
	s_mov_b64 s[4:5], -1
                                        ; implicit-def: $sgpr10
	s_and_saveexec_b64 s[8:9], s[12:13]
; %bb.2174:
	s_mov_b32 s10, 0x7f800001
	s_xor_b64 s[4:5], exec, -1
; %bb.2175:
	s_or_b64 exec, exec, s[8:9]
	s_and_b64 s[4:5], s[4:5], exec
	s_or_saveexec_b64 s[6:7], s[6:7]
	v_mov_b32_e32 v11, s10
	s_xor_b64 exec, exec, s[6:7]
	s_cbranch_execz .LBB21_126
.LBB21_2176:
	v_mov_b32_e32 v11, 0
	v_cmp_ne_u16_sdwa s[8:9], v13, v11 src0_sel:BYTE_3 src1_sel:DWORD
	s_andn2_b64 s[4:5], s[4:5], exec
	s_and_b64 s[8:9], s[8:9], exec
	s_or_b64 s[4:5], s[4:5], s[8:9]
	s_or_b64 exec, exec, s[6:7]
	s_and_saveexec_b64 s[6:7], s[4:5]
	s_cbranch_execnz .LBB21_127
	s_branch .LBB21_128
.LBB21_2177:
	s_movk_i32 s4, 0x80
	v_cmp_eq_u16_sdwa s[12:13], v6, s4 src0_sel:BYTE_0 src1_sel:DWORD
	s_mov_b64 s[4:5], -1
                                        ; implicit-def: $sgpr10
	s_and_saveexec_b64 s[8:9], s[12:13]
; %bb.2178:
	s_mov_b32 s10, 0x7f800001
	s_xor_b64 s[4:5], exec, -1
; %bb.2179:
	s_or_b64 exec, exec, s[8:9]
	s_and_b64 s[4:5], s[4:5], exec
	s_or_saveexec_b64 s[6:7], s[6:7]
	v_mov_b32_e32 v10, s10
	s_xor_b64 exec, exec, s[6:7]
	s_cbranch_execz .LBB21_130
.LBB21_2180:
	v_mov_b32_e32 v10, 0
	v_cmp_ne_u16_sdwa s[8:9], v6, v10 src0_sel:BYTE_0 src1_sel:DWORD
	s_andn2_b64 s[4:5], s[4:5], exec
	s_and_b64 s[8:9], s[8:9], exec
	s_or_b64 s[4:5], s[4:5], s[8:9]
	s_or_b64 exec, exec, s[6:7]
	s_and_saveexec_b64 s[6:7], s[4:5]
	s_cbranch_execnz .LBB21_131
	s_branch .LBB21_132
.LBB21_2181:
	s_movk_i32 s4, 0x80
	v_cmp_eq_u16_sdwa s[12:13], v2, s4 src0_sel:BYTE_0 src1_sel:DWORD
	s_mov_b64 s[4:5], -1
                                        ; implicit-def: $sgpr10
	s_and_saveexec_b64 s[8:9], s[12:13]
; %bb.2182:
	s_mov_b32 s10, 0x7f800001
	s_xor_b64 s[4:5], exec, -1
; %bb.2183:
	s_or_b64 exec, exec, s[8:9]
	s_and_b64 s[4:5], s[4:5], exec
	s_or_saveexec_b64 s[6:7], s[6:7]
	v_mov_b32_e32 v11, s10
	s_xor_b64 exec, exec, s[6:7]
	s_cbranch_execz .LBB21_134
.LBB21_2184:
	v_mov_b32_e32 v11, 0
	v_cmp_ne_u16_sdwa s[8:9], v2, v11 src0_sel:BYTE_0 src1_sel:DWORD
	s_andn2_b64 s[4:5], s[4:5], exec
	s_and_b64 s[8:9], s[8:9], exec
	s_or_b64 s[4:5], s[4:5], s[8:9]
	s_or_b64 exec, exec, s[6:7]
	s_and_saveexec_b64 s[6:7], s[4:5]
	s_cbranch_execnz .LBB21_135
	s_branch .LBB21_136
.LBB21_2185:
	s_movk_i32 s4, 0x80
	v_cmp_eq_u16_sdwa s[12:13], v11, s4 src0_sel:BYTE_0 src1_sel:DWORD
	s_mov_b64 s[4:5], -1
                                        ; implicit-def: $sgpr10
	s_and_saveexec_b64 s[8:9], s[12:13]
; %bb.2186:
	s_mov_b32 s10, 0x7f800001
	s_xor_b64 s[4:5], exec, -1
; %bb.2187:
	s_or_b64 exec, exec, s[8:9]
	s_and_b64 s[4:5], s[4:5], exec
	s_or_saveexec_b64 s[6:7], s[6:7]
	v_mov_b32_e32 v10, s10
	s_xor_b64 exec, exec, s[6:7]
	s_cbranch_execz .LBB21_138
.LBB21_2188:
	v_mov_b32_e32 v10, 0
	v_cmp_ne_u16_sdwa s[8:9], v11, v10 src0_sel:BYTE_0 src1_sel:DWORD
	s_andn2_b64 s[4:5], s[4:5], exec
	s_and_b64 s[8:9], s[8:9], exec
	s_or_b64 s[4:5], s[4:5], s[8:9]
	s_or_b64 exec, exec, s[6:7]
	s_and_saveexec_b64 s[6:7], s[4:5]
	s_cbranch_execnz .LBB21_139
	s_branch .LBB21_140
.LBB21_2189:
	s_movk_i32 s4, 0x80
	v_cmp_eq_u16_sdwa s[12:13], v11, s4 src0_sel:BYTE_0 src1_sel:DWORD
	s_mov_b64 s[4:5], -1
                                        ; implicit-def: $sgpr10
	s_and_saveexec_b64 s[8:9], s[12:13]
; %bb.2190:
	s_mov_b32 s10, 0x7f800001
	s_xor_b64 s[4:5], exec, -1
; %bb.2191:
	s_or_b64 exec, exec, s[8:9]
	s_and_b64 s[4:5], s[4:5], exec
	s_or_saveexec_b64 s[6:7], s[6:7]
	v_mov_b32_e32 v12, s10
	s_xor_b64 exec, exec, s[6:7]
	s_cbranch_execz .LBB21_142
.LBB21_2192:
	v_mov_b32_e32 v12, 0
	v_cmp_ne_u16_sdwa s[8:9], v11, v12 src0_sel:BYTE_0 src1_sel:DWORD
	s_andn2_b64 s[4:5], s[4:5], exec
	s_and_b64 s[8:9], s[8:9], exec
	s_or_b64 s[4:5], s[4:5], s[8:9]
	s_or_b64 exec, exec, s[6:7]
	s_and_saveexec_b64 s[6:7], s[4:5]
	s_cbranch_execnz .LBB21_143
	s_branch .LBB21_144
.LBB21_2193:
	s_movk_i32 s4, 0x80
	v_cmp_eq_u16_e32 vcc, s4, v11
	s_mov_b64 s[4:5], -1
                                        ; implicit-def: $sgpr10
	s_and_saveexec_b64 s[8:9], vcc
; %bb.2194:
	s_mov_b32 s10, 0x7f800001
	s_xor_b64 s[4:5], exec, -1
; %bb.2195:
	s_or_b64 exec, exec, s[8:9]
	s_and_b64 s[4:5], s[4:5], exec
                                        ; implicit-def: $vgpr11
	s_or_saveexec_b64 s[6:7], s[6:7]
	v_mov_b32_e32 v10, s10
	s_xor_b64 exec, exec, s[6:7]
	s_cbranch_execz .LBB21_146
.LBB21_2196:
	v_cmp_ne_u16_e32 vcc, 0, v11
	s_andn2_b64 s[4:5], s[4:5], exec
	s_and_b64 s[8:9], vcc, exec
	v_mov_b32_e32 v10, 0
	s_or_b64 s[4:5], s[4:5], s[8:9]
	s_or_b64 exec, exec, s[6:7]
	s_and_saveexec_b64 s[6:7], s[4:5]
	s_cbranch_execnz .LBB21_147
	s_branch .LBB21_148
.LBB21_2197:
	s_movk_i32 s4, 0x80
	v_cmp_eq_u16_e32 vcc, s4, v11
	s_mov_b64 s[4:5], -1
                                        ; implicit-def: $sgpr10
	s_and_saveexec_b64 s[8:9], vcc
; %bb.2198:
	s_mov_b32 s10, 0x7f800001
	s_xor_b64 s[4:5], exec, -1
; %bb.2199:
	s_or_b64 exec, exec, s[8:9]
	s_and_b64 s[4:5], s[4:5], exec
                                        ; implicit-def: $vgpr11
	s_or_saveexec_b64 s[6:7], s[6:7]
	v_mov_b32_e32 v12, s10
	s_xor_b64 exec, exec, s[6:7]
	s_cbranch_execz .LBB21_150
.LBB21_2200:
	v_cmp_ne_u16_e32 vcc, 0, v11
	s_andn2_b64 s[4:5], s[4:5], exec
	s_and_b64 s[8:9], vcc, exec
	v_mov_b32_e32 v12, 0
	s_or_b64 s[4:5], s[4:5], s[8:9]
	s_or_b64 exec, exec, s[6:7]
	s_and_saveexec_b64 s[6:7], s[4:5]
	s_cbranch_execnz .LBB21_151
	s_branch .LBB21_152
.LBB21_2201:
	s_movk_i32 s4, 0x80
	v_cmp_eq_u16_sdwa s[12:13], v6, s4 src0_sel:BYTE_3 src1_sel:DWORD
	s_mov_b64 s[4:5], -1
                                        ; implicit-def: $sgpr10
	s_and_saveexec_b64 s[8:9], s[12:13]
; %bb.2202:
	s_mov_b32 s10, 0x7f800001
	s_xor_b64 s[4:5], exec, -1
; %bb.2203:
	s_or_b64 exec, exec, s[8:9]
	s_and_b64 s[4:5], s[4:5], exec
	s_or_saveexec_b64 s[6:7], s[6:7]
	v_mov_b32_e32 v10, s10
	s_xor_b64 exec, exec, s[6:7]
	s_cbranch_execz .LBB21_154
.LBB21_2204:
	v_mov_b32_e32 v10, 0
	v_cmp_ne_u16_sdwa s[8:9], v6, v10 src0_sel:BYTE_3 src1_sel:DWORD
	s_andn2_b64 s[4:5], s[4:5], exec
	s_and_b64 s[8:9], s[8:9], exec
	s_or_b64 s[4:5], s[4:5], s[8:9]
	s_or_b64 exec, exec, s[6:7]
	s_and_saveexec_b64 s[6:7], s[4:5]
	s_cbranch_execnz .LBB21_155
	s_branch .LBB21_156
.LBB21_2205:
	s_movk_i32 s4, 0x80
	v_cmp_eq_u16_sdwa s[12:13], v2, s4 src0_sel:BYTE_3 src1_sel:DWORD
	s_mov_b64 s[4:5], -1
                                        ; implicit-def: $sgpr10
	s_and_saveexec_b64 s[8:9], s[12:13]
; %bb.2206:
	s_mov_b32 s10, 0x7f800001
	s_xor_b64 s[4:5], exec, -1
; %bb.2207:
	s_or_b64 exec, exec, s[8:9]
	s_and_b64 s[4:5], s[4:5], exec
	s_or_saveexec_b64 s[6:7], s[6:7]
	v_mov_b32_e32 v6, s10
	s_xor_b64 exec, exec, s[6:7]
	s_cbranch_execz .LBB21_158
.LBB21_2208:
	v_mov_b32_e32 v6, 0
	v_cmp_ne_u16_sdwa s[8:9], v2, v6 src0_sel:BYTE_3 src1_sel:DWORD
	s_andn2_b64 s[4:5], s[4:5], exec
	s_and_b64 s[8:9], s[8:9], exec
	s_or_b64 s[4:5], s[4:5], s[8:9]
	s_or_b64 exec, exec, s[6:7]
	s_and_saveexec_b64 s[6:7], s[4:5]
	s_cbranch_execnz .LBB21_159
	s_branch .LBB21_160
.LBB21_2209:
	s_movk_i32 s4, 0x80
	v_cmp_eq_u16_sdwa s[12:13], v7, s4 src0_sel:BYTE_0 src1_sel:DWORD
	s_mov_b64 s[4:5], -1
                                        ; implicit-def: $sgpr10
	s_and_saveexec_b64 s[8:9], s[12:13]
; %bb.2210:
	s_mov_b32 s10, 0x7f800001
	s_xor_b64 s[4:5], exec, -1
; %bb.2211:
	s_or_b64 exec, exec, s[8:9]
	s_and_b64 s[4:5], s[4:5], exec
	s_or_saveexec_b64 s[6:7], s[6:7]
	v_mov_b32_e32 v2, s10
	s_xor_b64 exec, exec, s[6:7]
	s_cbranch_execz .LBB21_162
.LBB21_2212:
	v_mov_b32_e32 v2, 0
	v_cmp_ne_u16_sdwa s[8:9], v7, v2 src0_sel:BYTE_0 src1_sel:DWORD
	s_andn2_b64 s[4:5], s[4:5], exec
	s_and_b64 s[8:9], s[8:9], exec
	s_or_b64 s[4:5], s[4:5], s[8:9]
	s_or_b64 exec, exec, s[6:7]
	s_and_saveexec_b64 s[6:7], s[4:5]
	s_cbranch_execnz .LBB21_163
	s_branch .LBB21_164
.LBB21_2213:
	s_movk_i32 s4, 0x80
	v_cmp_eq_u16_sdwa s[12:13], v3, s4 src0_sel:BYTE_0 src1_sel:DWORD
	s_mov_b64 s[4:5], -1
                                        ; implicit-def: $sgpr10
	s_and_saveexec_b64 s[8:9], s[12:13]
; %bb.2214:
	s_mov_b32 s10, 0x7f800001
	s_xor_b64 s[4:5], exec, -1
; %bb.2215:
	s_or_b64 exec, exec, s[8:9]
	s_and_b64 s[4:5], s[4:5], exec
	s_or_saveexec_b64 s[6:7], s[6:7]
	v_mov_b32_e32 v6, s10
	s_xor_b64 exec, exec, s[6:7]
	s_cbranch_execz .LBB21_166
.LBB21_2216:
	v_mov_b32_e32 v6, 0
	v_cmp_ne_u16_sdwa s[8:9], v3, v6 src0_sel:BYTE_0 src1_sel:DWORD
	s_andn2_b64 s[4:5], s[4:5], exec
	s_and_b64 s[8:9], s[8:9], exec
	s_or_b64 s[4:5], s[4:5], s[8:9]
	s_or_b64 exec, exec, s[6:7]
	s_and_saveexec_b64 s[6:7], s[4:5]
	s_cbranch_execnz .LBB21_167
	s_branch .LBB21_168
.LBB21_2217:
	s_movk_i32 s4, 0x80
	v_cmp_eq_u16_sdwa s[12:13], v6, s4 src0_sel:BYTE_0 src1_sel:DWORD
	s_mov_b64 s[4:5], -1
                                        ; implicit-def: $sgpr10
	s_and_saveexec_b64 s[8:9], s[12:13]
; %bb.2218:
	s_mov_b32 s10, 0x7f800001
	s_xor_b64 s[4:5], exec, -1
; %bb.2219:
	s_or_b64 exec, exec, s[8:9]
	s_and_b64 s[4:5], s[4:5], exec
	s_or_saveexec_b64 s[6:7], s[6:7]
	v_mov_b32_e32 v2, s10
	s_xor_b64 exec, exec, s[6:7]
	s_cbranch_execz .LBB21_170
.LBB21_2220:
	v_mov_b32_e32 v2, 0
	v_cmp_ne_u16_sdwa s[8:9], v6, v2 src0_sel:BYTE_0 src1_sel:DWORD
	s_andn2_b64 s[4:5], s[4:5], exec
	s_and_b64 s[8:9], s[8:9], exec
	s_or_b64 s[4:5], s[4:5], s[8:9]
	s_or_b64 exec, exec, s[6:7]
	s_and_saveexec_b64 s[6:7], s[4:5]
	s_cbranch_execnz .LBB21_171
	s_branch .LBB21_172
.LBB21_2221:
	s_movk_i32 s4, 0x80
	v_cmp_eq_u16_sdwa s[12:13], v6, s4 src0_sel:BYTE_0 src1_sel:DWORD
	s_mov_b64 s[4:5], -1
                                        ; implicit-def: $sgpr10
	s_and_saveexec_b64 s[8:9], s[12:13]
; %bb.2222:
	s_mov_b32 s10, 0x7f800001
	s_xor_b64 s[4:5], exec, -1
; %bb.2223:
	s_or_b64 exec, exec, s[8:9]
	s_and_b64 s[4:5], s[4:5], exec
	s_or_saveexec_b64 s[6:7], s[6:7]
	v_mov_b32_e32 v10, s10
	s_xor_b64 exec, exec, s[6:7]
	s_cbranch_execz .LBB21_174
.LBB21_2224:
	v_mov_b32_e32 v10, 0
	v_cmp_ne_u16_sdwa s[8:9], v6, v10 src0_sel:BYTE_0 src1_sel:DWORD
	s_andn2_b64 s[4:5], s[4:5], exec
	s_and_b64 s[8:9], s[8:9], exec
	s_or_b64 s[4:5], s[4:5], s[8:9]
	s_or_b64 exec, exec, s[6:7]
	s_and_saveexec_b64 s[6:7], s[4:5]
	s_cbranch_execnz .LBB21_175
	s_branch .LBB21_176
.LBB21_2225:
	s_movk_i32 s4, 0x80
	v_cmp_eq_u16_e32 vcc, s4, v6
	s_mov_b64 s[4:5], -1
                                        ; implicit-def: $sgpr10
	s_and_saveexec_b64 s[8:9], vcc
; %bb.2226:
	s_mov_b32 s10, 0x7f800001
	s_xor_b64 s[4:5], exec, -1
; %bb.2227:
	s_or_b64 exec, exec, s[8:9]
	s_and_b64 s[4:5], s[4:5], exec
                                        ; implicit-def: $vgpr6
	s_or_saveexec_b64 s[6:7], s[6:7]
	v_mov_b32_e32 v2, s10
	s_xor_b64 exec, exec, s[6:7]
	s_cbranch_execz .LBB21_178
.LBB21_2228:
	v_cmp_ne_u16_e32 vcc, 0, v6
	s_andn2_b64 s[4:5], s[4:5], exec
	s_and_b64 s[8:9], vcc, exec
	v_mov_b32_e32 v2, 0
	s_or_b64 s[4:5], s[4:5], s[8:9]
	s_or_b64 exec, exec, s[6:7]
	s_and_saveexec_b64 s[6:7], s[4:5]
	s_cbranch_execnz .LBB21_179
	s_branch .LBB21_180
.LBB21_2229:
	s_movk_i32 s4, 0x80
	v_cmp_eq_u16_e32 vcc, s4, v6
	s_mov_b64 s[4:5], -1
                                        ; implicit-def: $sgpr10
	s_and_saveexec_b64 s[8:9], vcc
; %bb.2230:
	s_mov_b32 s10, 0x7f800001
	s_xor_b64 s[4:5], exec, -1
; %bb.2231:
	s_or_b64 exec, exec, s[8:9]
	s_and_b64 s[4:5], s[4:5], exec
                                        ; implicit-def: $vgpr6
	s_or_saveexec_b64 s[6:7], s[6:7]
	v_mov_b32_e32 v10, s10
	s_xor_b64 exec, exec, s[6:7]
	s_cbranch_execz .LBB21_182
.LBB21_2232:
	v_cmp_ne_u16_e32 vcc, 0, v6
	s_andn2_b64 s[4:5], s[4:5], exec
	s_and_b64 s[8:9], vcc, exec
	v_mov_b32_e32 v10, 0
	s_or_b64 s[4:5], s[4:5], s[8:9]
	s_or_b64 exec, exec, s[6:7]
	s_and_saveexec_b64 s[6:7], s[4:5]
	s_cbranch_execnz .LBB21_183
	s_branch .LBB21_184
.LBB21_2233:
	s_movk_i32 s4, 0x80
	v_cmp_eq_u16_sdwa s[12:13], v7, s4 src0_sel:BYTE_3 src1_sel:DWORD
	s_mov_b64 s[4:5], -1
                                        ; implicit-def: $sgpr10
	s_and_saveexec_b64 s[8:9], s[12:13]
; %bb.2234:
	s_mov_b32 s10, 0x7f800001
	s_xor_b64 s[4:5], exec, -1
; %bb.2235:
	s_or_b64 exec, exec, s[8:9]
	s_and_b64 s[4:5], s[4:5], exec
	s_or_saveexec_b64 s[6:7], s[6:7]
	v_mov_b32_e32 v2, s10
	s_xor_b64 exec, exec, s[6:7]
	s_cbranch_execz .LBB21_186
.LBB21_2236:
	v_mov_b32_e32 v2, 0
	v_cmp_ne_u16_sdwa s[8:9], v7, v2 src0_sel:BYTE_3 src1_sel:DWORD
	s_andn2_b64 s[4:5], s[4:5], exec
	s_and_b64 s[8:9], s[8:9], exec
	s_or_b64 s[4:5], s[4:5], s[8:9]
	s_or_b64 exec, exec, s[6:7]
	s_and_saveexec_b64 s[6:7], s[4:5]
	s_cbranch_execnz .LBB21_187
	s_branch .LBB21_188
.LBB21_2237:
	s_movk_i32 s4, 0x80
	v_cmp_eq_u16_sdwa s[12:13], v3, s4 src0_sel:BYTE_3 src1_sel:DWORD
	s_mov_b64 s[4:5], -1
                                        ; implicit-def: $sgpr10
	s_and_saveexec_b64 s[8:9], s[12:13]
; %bb.2238:
	s_mov_b32 s10, 0x7f800001
	s_xor_b64 s[4:5], exec, -1
; %bb.2239:
	s_or_b64 exec, exec, s[8:9]
	s_and_b64 s[4:5], s[4:5], exec
	s_or_saveexec_b64 s[6:7], s[6:7]
	v_mov_b32_e32 v6, s10
	s_xor_b64 exec, exec, s[6:7]
	s_cbranch_execz .LBB21_190
.LBB21_2240:
	v_mov_b32_e32 v6, 0
	v_cmp_ne_u16_sdwa s[8:9], v3, v6 src0_sel:BYTE_3 src1_sel:DWORD
	s_andn2_b64 s[4:5], s[4:5], exec
	s_and_b64 s[8:9], s[8:9], exec
	s_or_b64 s[4:5], s[4:5], s[8:9]
	s_or_b64 exec, exec, s[6:7]
	s_and_saveexec_b64 s[6:7], s[4:5]
	s_cbranch_execnz .LBB21_191
	s_branch .LBB21_192
.LBB21_2241:
	s_movk_i32 s4, 0x80
	v_cmp_eq_u16_sdwa s[12:13], v8, s4 src0_sel:BYTE_0 src1_sel:DWORD
	s_mov_b64 s[4:5], -1
                                        ; implicit-def: $sgpr10
	s_and_saveexec_b64 s[8:9], s[12:13]
; %bb.2242:
	s_mov_b32 s10, 0x7f800001
	s_xor_b64 s[4:5], exec, -1
; %bb.2243:
	s_or_b64 exec, exec, s[8:9]
	s_and_b64 s[4:5], s[4:5], exec
	s_or_saveexec_b64 s[6:7], s[6:7]
	v_mov_b32_e32 v2, s10
	s_xor_b64 exec, exec, s[6:7]
	s_cbranch_execz .LBB21_194
.LBB21_2244:
	v_mov_b32_e32 v2, 0
	v_cmp_ne_u16_sdwa s[8:9], v8, v2 src0_sel:BYTE_0 src1_sel:DWORD
	s_andn2_b64 s[4:5], s[4:5], exec
	s_and_b64 s[8:9], s[8:9], exec
	s_or_b64 s[4:5], s[4:5], s[8:9]
	s_or_b64 exec, exec, s[6:7]
	s_and_saveexec_b64 s[6:7], s[4:5]
	s_cbranch_execnz .LBB21_195
	s_branch .LBB21_196
.LBB21_2245:
	s_movk_i32 s4, 0x80
	v_cmp_eq_u16_sdwa s[12:13], v4, s4 src0_sel:BYTE_0 src1_sel:DWORD
	s_mov_b64 s[4:5], -1
                                        ; implicit-def: $sgpr10
	s_and_saveexec_b64 s[8:9], s[12:13]
; %bb.2246:
	s_mov_b32 s10, 0x7f800001
	s_xor_b64 s[4:5], exec, -1
; %bb.2247:
	s_or_b64 exec, exec, s[8:9]
	s_and_b64 s[4:5], s[4:5], exec
	s_or_saveexec_b64 s[6:7], s[6:7]
	v_mov_b32_e32 v3, s10
	s_xor_b64 exec, exec, s[6:7]
	s_cbranch_execz .LBB21_198
.LBB21_2248:
	v_mov_b32_e32 v3, 0
	v_cmp_ne_u16_sdwa s[8:9], v4, v3 src0_sel:BYTE_0 src1_sel:DWORD
	s_andn2_b64 s[4:5], s[4:5], exec
	s_and_b64 s[8:9], s[8:9], exec
	s_or_b64 s[4:5], s[4:5], s[8:9]
	s_or_b64 exec, exec, s[6:7]
	s_and_saveexec_b64 s[6:7], s[4:5]
	s_cbranch_execnz .LBB21_199
	s_branch .LBB21_200
.LBB21_2249:
	s_movk_i32 s4, 0x80
	v_cmp_eq_u16_sdwa s[12:13], v3, s4 src0_sel:BYTE_0 src1_sel:DWORD
	s_mov_b64 s[4:5], -1
                                        ; implicit-def: $sgpr10
	s_and_saveexec_b64 s[8:9], s[12:13]
; %bb.2250:
	s_mov_b32 s10, 0x7f800001
	s_xor_b64 s[4:5], exec, -1
; %bb.2251:
	s_or_b64 exec, exec, s[8:9]
	s_and_b64 s[4:5], s[4:5], exec
	s_or_saveexec_b64 s[6:7], s[6:7]
	v_mov_b32_e32 v2, s10
	s_xor_b64 exec, exec, s[6:7]
	s_cbranch_execz .LBB21_202
.LBB21_2252:
	v_mov_b32_e32 v2, 0
	v_cmp_ne_u16_sdwa s[8:9], v3, v2 src0_sel:BYTE_0 src1_sel:DWORD
	s_andn2_b64 s[4:5], s[4:5], exec
	s_and_b64 s[8:9], s[8:9], exec
	s_or_b64 s[4:5], s[4:5], s[8:9]
	s_or_b64 exec, exec, s[6:7]
	s_and_saveexec_b64 s[6:7], s[4:5]
	s_cbranch_execnz .LBB21_203
	s_branch .LBB21_204
.LBB21_2253:
	s_movk_i32 s4, 0x80
	v_cmp_eq_u16_sdwa s[12:13], v3, s4 src0_sel:BYTE_0 src1_sel:DWORD
	s_mov_b64 s[4:5], -1
                                        ; implicit-def: $sgpr10
	s_and_saveexec_b64 s[8:9], s[12:13]
; %bb.2254:
	s_mov_b32 s10, 0x7f800001
	s_xor_b64 s[4:5], exec, -1
; %bb.2255:
	s_or_b64 exec, exec, s[8:9]
	s_and_b64 s[4:5], s[4:5], exec
	s_or_saveexec_b64 s[6:7], s[6:7]
	v_mov_b32_e32 v6, s10
	s_xor_b64 exec, exec, s[6:7]
	s_cbranch_execz .LBB21_206
.LBB21_2256:
	v_mov_b32_e32 v6, 0
	v_cmp_ne_u16_sdwa s[8:9], v3, v6 src0_sel:BYTE_0 src1_sel:DWORD
	s_andn2_b64 s[4:5], s[4:5], exec
	s_and_b64 s[8:9], s[8:9], exec
	s_or_b64 s[4:5], s[4:5], s[8:9]
	s_or_b64 exec, exec, s[6:7]
	s_and_saveexec_b64 s[6:7], s[4:5]
	s_cbranch_execnz .LBB21_207
	s_branch .LBB21_208
.LBB21_2257:
	s_movk_i32 s4, 0x80
	v_cmp_eq_u16_e32 vcc, s4, v3
	s_mov_b64 s[4:5], -1
                                        ; implicit-def: $sgpr10
	s_and_saveexec_b64 s[8:9], vcc
; %bb.2258:
	s_mov_b32 s10, 0x7f800001
	s_xor_b64 s[4:5], exec, -1
; %bb.2259:
	s_or_b64 exec, exec, s[8:9]
	s_and_b64 s[4:5], s[4:5], exec
                                        ; implicit-def: $vgpr3
	s_or_saveexec_b64 s[6:7], s[6:7]
	v_mov_b32_e32 v2, s10
	s_xor_b64 exec, exec, s[6:7]
	s_cbranch_execz .LBB21_210
.LBB21_2260:
	v_cmp_ne_u16_e32 vcc, 0, v3
	s_andn2_b64 s[4:5], s[4:5], exec
	s_and_b64 s[8:9], vcc, exec
	v_mov_b32_e32 v2, 0
	s_or_b64 s[4:5], s[4:5], s[8:9]
	s_or_b64 exec, exec, s[6:7]
	s_and_saveexec_b64 s[6:7], s[4:5]
	s_cbranch_execnz .LBB21_211
	s_branch .LBB21_212
.LBB21_2261:
	s_movk_i32 s4, 0x80
	v_cmp_eq_u16_e32 vcc, s4, v3
	s_mov_b64 s[4:5], -1
                                        ; implicit-def: $sgpr10
	s_and_saveexec_b64 s[8:9], vcc
; %bb.2262:
	s_mov_b32 s10, 0x7f800001
	s_xor_b64 s[4:5], exec, -1
; %bb.2263:
	s_or_b64 exec, exec, s[8:9]
	s_and_b64 s[4:5], s[4:5], exec
                                        ; implicit-def: $vgpr3
	s_or_saveexec_b64 s[6:7], s[6:7]
	v_mov_b32_e32 v6, s10
	s_xor_b64 exec, exec, s[6:7]
	s_cbranch_execz .LBB21_214
.LBB21_2264:
	v_cmp_ne_u16_e32 vcc, 0, v3
	s_andn2_b64 s[4:5], s[4:5], exec
	s_and_b64 s[8:9], vcc, exec
	v_mov_b32_e32 v6, 0
	s_or_b64 s[4:5], s[4:5], s[8:9]
	s_or_b64 exec, exec, s[6:7]
	s_and_saveexec_b64 s[6:7], s[4:5]
	s_cbranch_execnz .LBB21_215
	s_branch .LBB21_216
.LBB21_2265:
	s_movk_i32 s4, 0x80
	v_cmp_eq_u16_sdwa s[12:13], v8, s4 src0_sel:BYTE_3 src1_sel:DWORD
	s_mov_b64 s[4:5], -1
                                        ; implicit-def: $sgpr10
	s_and_saveexec_b64 s[8:9], s[12:13]
; %bb.2266:
	s_mov_b32 s10, 0x7f800001
	s_xor_b64 s[4:5], exec, -1
; %bb.2267:
	s_or_b64 exec, exec, s[8:9]
	s_and_b64 s[4:5], s[4:5], exec
	s_or_saveexec_b64 s[6:7], s[6:7]
	v_mov_b32_e32 v2, s10
	s_xor_b64 exec, exec, s[6:7]
	s_cbranch_execz .LBB21_218
.LBB21_2268:
	v_mov_b32_e32 v2, 0
	v_cmp_ne_u16_sdwa s[8:9], v8, v2 src0_sel:BYTE_3 src1_sel:DWORD
	s_andn2_b64 s[4:5], s[4:5], exec
	s_and_b64 s[8:9], s[8:9], exec
	s_or_b64 s[4:5], s[4:5], s[8:9]
	s_or_b64 exec, exec, s[6:7]
	s_and_saveexec_b64 s[6:7], s[4:5]
	s_cbranch_execnz .LBB21_219
	s_branch .LBB21_220
.LBB21_2269:
	s_movk_i32 s4, 0x80
	v_cmp_eq_u16_sdwa s[12:13], v4, s4 src0_sel:BYTE_3 src1_sel:DWORD
	s_mov_b64 s[4:5], -1
                                        ; implicit-def: $sgpr10
	s_and_saveexec_b64 s[8:9], s[12:13]
; %bb.2270:
	s_mov_b32 s10, 0x7f800001
	s_xor_b64 s[4:5], exec, -1
; %bb.2271:
	s_or_b64 exec, exec, s[8:9]
	s_and_b64 s[4:5], s[4:5], exec
	s_or_saveexec_b64 s[6:7], s[6:7]
	v_mov_b32_e32 v3, s10
	s_xor_b64 exec, exec, s[6:7]
	s_cbranch_execz .LBB21_222
.LBB21_2272:
	v_mov_b32_e32 v3, 0
	v_cmp_ne_u16_sdwa s[8:9], v4, v3 src0_sel:BYTE_3 src1_sel:DWORD
	s_andn2_b64 s[4:5], s[4:5], exec
	s_and_b64 s[8:9], s[8:9], exec
	s_or_b64 s[4:5], s[4:5], s[8:9]
	s_or_b64 exec, exec, s[6:7]
	s_and_saveexec_b64 s[6:7], s[4:5]
	s_cbranch_execnz .LBB21_223
	s_branch .LBB21_224
.LBB21_2273:
	s_movk_i32 s4, 0x80
	v_cmp_eq_u16_sdwa s[12:13], v9, s4 src0_sel:BYTE_0 src1_sel:DWORD
	s_mov_b64 s[4:5], -1
                                        ; implicit-def: $sgpr10
	s_and_saveexec_b64 s[8:9], s[12:13]
; %bb.2274:
	s_mov_b32 s10, 0x7f800001
	s_xor_b64 s[4:5], exec, -1
; %bb.2275:
	s_or_b64 exec, exec, s[8:9]
	s_and_b64 s[4:5], s[4:5], exec
	s_or_saveexec_b64 s[6:7], s[6:7]
	v_mov_b32_e32 v2, s10
	s_xor_b64 exec, exec, s[6:7]
	s_cbranch_execz .LBB21_226
.LBB21_2276:
	v_mov_b32_e32 v2, 0
	v_cmp_ne_u16_sdwa s[8:9], v9, v2 src0_sel:BYTE_0 src1_sel:DWORD
	s_andn2_b64 s[4:5], s[4:5], exec
	s_and_b64 s[8:9], s[8:9], exec
	s_or_b64 s[4:5], s[4:5], s[8:9]
	s_or_b64 exec, exec, s[6:7]
	s_and_saveexec_b64 s[6:7], s[4:5]
	s_cbranch_execnz .LBB21_227
	s_branch .LBB21_228
.LBB21_2277:
	s_movk_i32 s4, 0x80
	v_cmp_eq_u16_sdwa s[12:13], v5, s4 src0_sel:BYTE_0 src1_sel:DWORD
	s_mov_b64 s[4:5], -1
                                        ; implicit-def: $sgpr10
	s_and_saveexec_b64 s[8:9], s[12:13]
; %bb.2278:
	s_mov_b32 s10, 0x7f800001
	s_xor_b64 s[4:5], exec, -1
; %bb.2279:
	s_or_b64 exec, exec, s[8:9]
	s_and_b64 s[4:5], s[4:5], exec
	s_or_saveexec_b64 s[6:7], s[6:7]
	v_mov_b32_e32 v3, s10
	s_xor_b64 exec, exec, s[6:7]
	s_cbranch_execz .LBB21_230
.LBB21_2280:
	v_mov_b32_e32 v3, 0
	v_cmp_ne_u16_sdwa s[8:9], v5, v3 src0_sel:BYTE_0 src1_sel:DWORD
	s_andn2_b64 s[4:5], s[4:5], exec
	s_and_b64 s[8:9], s[8:9], exec
	s_or_b64 s[4:5], s[4:5], s[8:9]
	s_or_b64 exec, exec, s[6:7]
	s_and_saveexec_b64 s[6:7], s[4:5]
	s_cbranch_execnz .LBB21_231
	s_branch .LBB21_232
.LBB21_2281:
	s_movk_i32 s4, 0x80
	v_cmp_eq_u16_sdwa s[12:13], v3, s4 src0_sel:BYTE_0 src1_sel:DWORD
	s_mov_b64 s[4:5], -1
                                        ; implicit-def: $sgpr10
	s_and_saveexec_b64 s[8:9], s[12:13]
; %bb.2282:
	s_mov_b32 s10, 0x7f800001
	s_xor_b64 s[4:5], exec, -1
; %bb.2283:
	s_or_b64 exec, exec, s[8:9]
	s_and_b64 s[4:5], s[4:5], exec
	s_or_saveexec_b64 s[6:7], s[6:7]
	v_mov_b32_e32 v2, s10
	s_xor_b64 exec, exec, s[6:7]
	s_cbranch_execz .LBB21_234
.LBB21_2284:
	v_mov_b32_e32 v2, 0
	v_cmp_ne_u16_sdwa s[8:9], v3, v2 src0_sel:BYTE_0 src1_sel:DWORD
	s_andn2_b64 s[4:5], s[4:5], exec
	s_and_b64 s[8:9], s[8:9], exec
	s_or_b64 s[4:5], s[4:5], s[8:9]
	s_or_b64 exec, exec, s[6:7]
	s_and_saveexec_b64 s[6:7], s[4:5]
	s_cbranch_execnz .LBB21_235
	s_branch .LBB21_236
.LBB21_2285:
	s_movk_i32 s4, 0x80
	v_cmp_eq_u16_sdwa s[12:13], v3, s4 src0_sel:BYTE_0 src1_sel:DWORD
	s_mov_b64 s[4:5], -1
                                        ; implicit-def: $sgpr10
	s_and_saveexec_b64 s[8:9], s[12:13]
; %bb.2286:
	s_mov_b32 s10, 0x7f800001
	s_xor_b64 s[4:5], exec, -1
; %bb.2287:
	s_or_b64 exec, exec, s[8:9]
	s_and_b64 s[4:5], s[4:5], exec
	s_or_saveexec_b64 s[6:7], s[6:7]
	v_mov_b32_e32 v4, s10
	s_xor_b64 exec, exec, s[6:7]
	s_cbranch_execz .LBB21_238
.LBB21_2288:
	v_mov_b32_e32 v4, 0
	v_cmp_ne_u16_sdwa s[8:9], v3, v4 src0_sel:BYTE_0 src1_sel:DWORD
	s_andn2_b64 s[4:5], s[4:5], exec
	s_and_b64 s[8:9], s[8:9], exec
	s_or_b64 s[4:5], s[4:5], s[8:9]
	s_or_b64 exec, exec, s[6:7]
	s_and_saveexec_b64 s[6:7], s[4:5]
	s_cbranch_execnz .LBB21_239
	s_branch .LBB21_240
.LBB21_2289:
	s_movk_i32 s4, 0x80
	v_cmp_eq_u16_e32 vcc, s4, v3
	s_mov_b64 s[4:5], -1
                                        ; implicit-def: $sgpr10
	s_and_saveexec_b64 s[8:9], vcc
; %bb.2290:
	s_mov_b32 s10, 0x7f800001
	s_xor_b64 s[4:5], exec, -1
; %bb.2291:
	s_or_b64 exec, exec, s[8:9]
	s_and_b64 s[4:5], s[4:5], exec
                                        ; implicit-def: $vgpr3
	s_or_saveexec_b64 s[6:7], s[6:7]
	v_mov_b32_e32 v2, s10
	s_xor_b64 exec, exec, s[6:7]
	s_cbranch_execz .LBB21_242
.LBB21_2292:
	v_cmp_ne_u16_e32 vcc, 0, v3
	s_andn2_b64 s[4:5], s[4:5], exec
	s_and_b64 s[8:9], vcc, exec
	v_mov_b32_e32 v2, 0
	s_or_b64 s[4:5], s[4:5], s[8:9]
	s_or_b64 exec, exec, s[6:7]
	s_and_saveexec_b64 s[6:7], s[4:5]
	s_cbranch_execnz .LBB21_243
	s_branch .LBB21_244
.LBB21_2293:
	s_movk_i32 s4, 0x80
	v_cmp_eq_u16_e32 vcc, s4, v3
	s_mov_b64 s[4:5], -1
                                        ; implicit-def: $sgpr10
	s_and_saveexec_b64 s[8:9], vcc
; %bb.2294:
	s_mov_b32 s10, 0x7f800001
	s_xor_b64 s[4:5], exec, -1
; %bb.2295:
	s_or_b64 exec, exec, s[8:9]
	s_and_b64 s[4:5], s[4:5], exec
                                        ; implicit-def: $vgpr3
	s_or_saveexec_b64 s[6:7], s[6:7]
	v_mov_b32_e32 v4, s10
	s_xor_b64 exec, exec, s[6:7]
	s_cbranch_execz .LBB21_246
.LBB21_2296:
	v_cmp_ne_u16_e32 vcc, 0, v3
	s_andn2_b64 s[4:5], s[4:5], exec
	s_and_b64 s[8:9], vcc, exec
	v_mov_b32_e32 v4, 0
	s_or_b64 s[4:5], s[4:5], s[8:9]
	s_or_b64 exec, exec, s[6:7]
	s_and_saveexec_b64 s[6:7], s[4:5]
	s_cbranch_execnz .LBB21_247
	s_branch .LBB21_248
.LBB21_2297:
	s_movk_i32 s4, 0x80
	v_cmp_eq_u16_sdwa s[12:13], v9, s4 src0_sel:BYTE_3 src1_sel:DWORD
	s_mov_b64 s[4:5], -1
                                        ; implicit-def: $sgpr10
	s_and_saveexec_b64 s[8:9], s[12:13]
; %bb.2298:
	s_mov_b32 s10, 0x7f800001
	s_xor_b64 s[4:5], exec, -1
; %bb.2299:
	s_or_b64 exec, exec, s[8:9]
	s_and_b64 s[4:5], s[4:5], exec
	s_or_saveexec_b64 s[6:7], s[6:7]
	v_mov_b32_e32 v2, s10
	s_xor_b64 exec, exec, s[6:7]
	s_cbranch_execz .LBB21_250
.LBB21_2300:
	v_mov_b32_e32 v2, 0
	v_cmp_ne_u16_sdwa s[8:9], v9, v2 src0_sel:BYTE_3 src1_sel:DWORD
	s_andn2_b64 s[4:5], s[4:5], exec
	s_and_b64 s[8:9], s[8:9], exec
	s_or_b64 s[4:5], s[4:5], s[8:9]
	s_or_b64 exec, exec, s[6:7]
	s_and_saveexec_b64 s[6:7], s[4:5]
	s_cbranch_execnz .LBB21_251
	s_branch .LBB21_252
.LBB21_2301:
	s_movk_i32 s4, 0x80
	v_cmp_eq_u16_sdwa s[12:13], v5, s4 src0_sel:BYTE_3 src1_sel:DWORD
	s_mov_b64 s[4:5], -1
                                        ; implicit-def: $sgpr10
	s_and_saveexec_b64 s[8:9], s[12:13]
; %bb.2302:
	s_mov_b32 s10, 0x7f800001
	s_xor_b64 s[4:5], exec, -1
; %bb.2303:
	s_or_b64 exec, exec, s[8:9]
	s_and_b64 s[4:5], s[4:5], exec
	s_or_saveexec_b64 s[6:7], s[6:7]
	v_mov_b32_e32 v3, s10
	s_xor_b64 exec, exec, s[6:7]
	s_cbranch_execz .LBB21_254
.LBB21_2304:
	v_mov_b32_e32 v3, 0
	v_cmp_ne_u16_sdwa s[8:9], v5, v3 src0_sel:BYTE_3 src1_sel:DWORD
	s_andn2_b64 s[4:5], s[4:5], exec
	s_and_b64 s[8:9], s[8:9], exec
	s_or_b64 s[4:5], s[4:5], s[8:9]
	s_or_b64 exec, exec, s[6:7]
	s_and_saveexec_b64 s[6:7], s[4:5]
	s_cbranch_execnz .LBB21_255
	s_branch .LBB21_256
.LBB21_2305:
	s_movk_i32 s4, 0x80
	v_cmp_eq_u16_sdwa s[12:13], v14, s4 src0_sel:BYTE_0 src1_sel:DWORD
	s_mov_b64 s[4:5], -1
                                        ; implicit-def: $sgpr10
	s_and_saveexec_b64 s[8:9], s[12:13]
; %bb.2306:
	s_mov_b32 s10, 0x7f800001
	s_xor_b64 s[4:5], exec, -1
; %bb.2307:
	s_or_b64 exec, exec, s[8:9]
	s_and_b64 s[4:5], s[4:5], exec
	s_or_saveexec_b64 s[6:7], s[6:7]
	v_mov_b32_e32 v20, s10
	s_xor_b64 exec, exec, s[6:7]
	s_cbranch_execz .LBB21_258
.LBB21_2308:
	v_mov_b32_e32 v20, 0
	v_cmp_ne_u16_sdwa s[8:9], v14, v20 src0_sel:BYTE_0 src1_sel:DWORD
	s_andn2_b64 s[4:5], s[4:5], exec
	s_and_b64 s[8:9], s[8:9], exec
	s_or_b64 s[4:5], s[4:5], s[8:9]
	s_or_b64 exec, exec, s[6:7]
	s_and_saveexec_b64 s[6:7], s[4:5]
	s_cbranch_execnz .LBB21_259
	s_branch .LBB21_260
.LBB21_2309:
	s_movk_i32 s4, 0x80
	v_cmp_eq_u16_sdwa s[12:13], v10, s4 src0_sel:BYTE_0 src1_sel:DWORD
	s_mov_b64 s[4:5], -1
                                        ; implicit-def: $sgpr10
	s_and_saveexec_b64 s[8:9], s[12:13]
; %bb.2310:
	s_mov_b32 s10, 0x7f800001
	s_xor_b64 s[4:5], exec, -1
; %bb.2311:
	s_or_b64 exec, exec, s[8:9]
	s_and_b64 s[4:5], s[4:5], exec
	s_or_saveexec_b64 s[6:7], s[6:7]
	v_mov_b32_e32 v21, s10
	s_xor_b64 exec, exec, s[6:7]
	s_cbranch_execz .LBB21_262
.LBB21_2312:
	v_mov_b32_e32 v21, 0
	v_cmp_ne_u16_sdwa s[8:9], v10, v21 src0_sel:BYTE_0 src1_sel:DWORD
	s_andn2_b64 s[4:5], s[4:5], exec
	s_and_b64 s[8:9], s[8:9], exec
	s_or_b64 s[4:5], s[4:5], s[8:9]
	s_or_b64 exec, exec, s[6:7]
	s_and_saveexec_b64 s[6:7], s[4:5]
	s_cbranch_execnz .LBB21_263
	s_branch .LBB21_264
.LBB21_2313:
	s_movk_i32 s4, 0x80
	v_cmp_eq_u16_sdwa s[12:13], v21, s4 src0_sel:BYTE_0 src1_sel:DWORD
	s_mov_b64 s[4:5], -1
                                        ; implicit-def: $sgpr10
	s_and_saveexec_b64 s[8:9], s[12:13]
; %bb.2314:
	s_mov_b32 s10, 0x7f800001
	s_xor_b64 s[4:5], exec, -1
; %bb.2315:
	s_or_b64 exec, exec, s[8:9]
	s_and_b64 s[4:5], s[4:5], exec
	s_or_saveexec_b64 s[6:7], s[6:7]
	v_mov_b32_e32 v20, s10
	s_xor_b64 exec, exec, s[6:7]
	s_cbranch_execz .LBB21_266
.LBB21_2316:
	v_mov_b32_e32 v20, 0
	v_cmp_ne_u16_sdwa s[8:9], v21, v20 src0_sel:BYTE_0 src1_sel:DWORD
	s_andn2_b64 s[4:5], s[4:5], exec
	s_and_b64 s[8:9], s[8:9], exec
	s_or_b64 s[4:5], s[4:5], s[8:9]
	s_or_b64 exec, exec, s[6:7]
	s_and_saveexec_b64 s[6:7], s[4:5]
	s_cbranch_execnz .LBB21_267
	s_branch .LBB21_268
.LBB21_2317:
	s_movk_i32 s4, 0x80
	v_cmp_eq_u16_sdwa s[12:13], v21, s4 src0_sel:BYTE_0 src1_sel:DWORD
	s_mov_b64 s[4:5], -1
                                        ; implicit-def: $sgpr10
	s_and_saveexec_b64 s[8:9], s[12:13]
; %bb.2318:
	s_mov_b32 s10, 0x7f800001
	s_xor_b64 s[4:5], exec, -1
; %bb.2319:
	s_or_b64 exec, exec, s[8:9]
	s_and_b64 s[4:5], s[4:5], exec
	s_or_saveexec_b64 s[6:7], s[6:7]
	v_mov_b32_e32 v22, s10
	s_xor_b64 exec, exec, s[6:7]
	s_cbranch_execz .LBB21_270
.LBB21_2320:
	v_mov_b32_e32 v22, 0
	v_cmp_ne_u16_sdwa s[8:9], v21, v22 src0_sel:BYTE_0 src1_sel:DWORD
	s_andn2_b64 s[4:5], s[4:5], exec
	s_and_b64 s[8:9], s[8:9], exec
	s_or_b64 s[4:5], s[4:5], s[8:9]
	s_or_b64 exec, exec, s[6:7]
	s_and_saveexec_b64 s[6:7], s[4:5]
	s_cbranch_execnz .LBB21_271
	s_branch .LBB21_272
.LBB21_2321:
	s_movk_i32 s4, 0x80
	v_cmp_eq_u16_e32 vcc, s4, v21
	s_mov_b64 s[4:5], -1
                                        ; implicit-def: $sgpr10
	s_and_saveexec_b64 s[8:9], vcc
; %bb.2322:
	s_mov_b32 s10, 0x7f800001
	s_xor_b64 s[4:5], exec, -1
; %bb.2323:
	s_or_b64 exec, exec, s[8:9]
	s_and_b64 s[4:5], s[4:5], exec
                                        ; implicit-def: $vgpr21
	s_or_saveexec_b64 s[6:7], s[6:7]
	v_mov_b32_e32 v20, s10
	s_xor_b64 exec, exec, s[6:7]
	s_cbranch_execz .LBB21_274
.LBB21_2324:
	v_cmp_ne_u16_e32 vcc, 0, v21
	s_andn2_b64 s[4:5], s[4:5], exec
	s_and_b64 s[8:9], vcc, exec
	v_mov_b32_e32 v20, 0
	s_or_b64 s[4:5], s[4:5], s[8:9]
	s_or_b64 exec, exec, s[6:7]
	s_and_saveexec_b64 s[6:7], s[4:5]
	s_cbranch_execnz .LBB21_275
	s_branch .LBB21_276
.LBB21_2325:
	s_movk_i32 s4, 0x80
	v_cmp_eq_u16_e32 vcc, s4, v21
	s_mov_b64 s[4:5], -1
                                        ; implicit-def: $sgpr10
	s_and_saveexec_b64 s[8:9], vcc
; %bb.2326:
	s_mov_b32 s10, 0x7f800001
	s_xor_b64 s[4:5], exec, -1
; %bb.2327:
	s_or_b64 exec, exec, s[8:9]
	s_and_b64 s[4:5], s[4:5], exec
                                        ; implicit-def: $vgpr21
	s_or_saveexec_b64 s[6:7], s[6:7]
	v_mov_b32_e32 v22, s10
	s_xor_b64 exec, exec, s[6:7]
	s_cbranch_execz .LBB21_278
.LBB21_2328:
	v_cmp_ne_u16_e32 vcc, 0, v21
	s_andn2_b64 s[4:5], s[4:5], exec
	s_and_b64 s[8:9], vcc, exec
	v_mov_b32_e32 v22, 0
	s_or_b64 s[4:5], s[4:5], s[8:9]
	s_or_b64 exec, exec, s[6:7]
	s_and_saveexec_b64 s[6:7], s[4:5]
	s_cbranch_execnz .LBB21_279
	s_branch .LBB21_280
.LBB21_2329:
	s_movk_i32 s4, 0x80
	v_cmp_eq_u16_sdwa s[12:13], v14, s4 src0_sel:BYTE_3 src1_sel:DWORD
	s_mov_b64 s[4:5], -1
                                        ; implicit-def: $sgpr10
	s_and_saveexec_b64 s[8:9], s[12:13]
; %bb.2330:
	s_mov_b32 s10, 0x7f800001
	s_xor_b64 s[4:5], exec, -1
; %bb.2331:
	s_or_b64 exec, exec, s[8:9]
	s_and_b64 s[4:5], s[4:5], exec
	s_or_saveexec_b64 s[6:7], s[6:7]
	v_mov_b32_e32 v20, s10
	s_xor_b64 exec, exec, s[6:7]
	s_cbranch_execz .LBB21_282
.LBB21_2332:
	v_mov_b32_e32 v20, 0
	v_cmp_ne_u16_sdwa s[8:9], v14, v20 src0_sel:BYTE_3 src1_sel:DWORD
	s_andn2_b64 s[4:5], s[4:5], exec
	s_and_b64 s[8:9], s[8:9], exec
	s_or_b64 s[4:5], s[4:5], s[8:9]
	s_or_b64 exec, exec, s[6:7]
	s_and_saveexec_b64 s[6:7], s[4:5]
	s_cbranch_execnz .LBB21_283
	s_branch .LBB21_284
.LBB21_2333:
	s_movk_i32 s4, 0x80
	v_cmp_eq_u16_sdwa s[12:13], v10, s4 src0_sel:BYTE_3 src1_sel:DWORD
	s_mov_b64 s[4:5], -1
                                        ; implicit-def: $sgpr10
	s_and_saveexec_b64 s[8:9], s[12:13]
; %bb.2334:
	s_mov_b32 s10, 0x7f800001
	s_xor_b64 s[4:5], exec, -1
; %bb.2335:
	s_or_b64 exec, exec, s[8:9]
	s_and_b64 s[4:5], s[4:5], exec
	s_or_saveexec_b64 s[6:7], s[6:7]
	v_mov_b32_e32 v14, s10
	s_xor_b64 exec, exec, s[6:7]
	s_cbranch_execz .LBB21_286
.LBB21_2336:
	v_mov_b32_e32 v14, 0
	v_cmp_ne_u16_sdwa s[8:9], v10, v14 src0_sel:BYTE_3 src1_sel:DWORD
	s_andn2_b64 s[4:5], s[4:5], exec
	s_and_b64 s[8:9], s[8:9], exec
	s_or_b64 s[4:5], s[4:5], s[8:9]
	s_or_b64 exec, exec, s[6:7]
	s_and_saveexec_b64 s[6:7], s[4:5]
	s_cbranch_execnz .LBB21_287
	s_branch .LBB21_288
.LBB21_2337:
	s_movk_i32 s4, 0x80
	v_cmp_eq_u16_sdwa s[12:13], v15, s4 src0_sel:BYTE_0 src1_sel:DWORD
	s_mov_b64 s[4:5], -1
                                        ; implicit-def: $sgpr10
	s_and_saveexec_b64 s[8:9], s[12:13]
; %bb.2338:
	s_mov_b32 s10, 0x7f800001
	s_xor_b64 s[4:5], exec, -1
; %bb.2339:
	s_or_b64 exec, exec, s[8:9]
	s_and_b64 s[4:5], s[4:5], exec
	s_or_saveexec_b64 s[6:7], s[6:7]
	v_mov_b32_e32 v10, s10
	s_xor_b64 exec, exec, s[6:7]
	s_cbranch_execz .LBB21_290
.LBB21_2340:
	v_mov_b32_e32 v10, 0
	v_cmp_ne_u16_sdwa s[8:9], v15, v10 src0_sel:BYTE_0 src1_sel:DWORD
	s_andn2_b64 s[4:5], s[4:5], exec
	s_and_b64 s[8:9], s[8:9], exec
	s_or_b64 s[4:5], s[4:5], s[8:9]
	s_or_b64 exec, exec, s[6:7]
	s_and_saveexec_b64 s[6:7], s[4:5]
	s_cbranch_execnz .LBB21_291
	s_branch .LBB21_292
.LBB21_2341:
	s_movk_i32 s4, 0x80
	v_cmp_eq_u16_sdwa s[12:13], v11, s4 src0_sel:BYTE_0 src1_sel:DWORD
	s_mov_b64 s[4:5], -1
                                        ; implicit-def: $sgpr10
	s_and_saveexec_b64 s[8:9], s[12:13]
; %bb.2342:
	s_mov_b32 s10, 0x7f800001
	s_xor_b64 s[4:5], exec, -1
; %bb.2343:
	s_or_b64 exec, exec, s[8:9]
	s_and_b64 s[4:5], s[4:5], exec
	s_or_saveexec_b64 s[6:7], s[6:7]
	v_mov_b32_e32 v14, s10
	s_xor_b64 exec, exec, s[6:7]
	s_cbranch_execz .LBB21_294
.LBB21_2344:
	v_mov_b32_e32 v14, 0
	v_cmp_ne_u16_sdwa s[8:9], v11, v14 src0_sel:BYTE_0 src1_sel:DWORD
	s_andn2_b64 s[4:5], s[4:5], exec
	s_and_b64 s[8:9], s[8:9], exec
	s_or_b64 s[4:5], s[4:5], s[8:9]
	s_or_b64 exec, exec, s[6:7]
	s_and_saveexec_b64 s[6:7], s[4:5]
	s_cbranch_execnz .LBB21_295
	s_branch .LBB21_296
.LBB21_2345:
	s_movk_i32 s4, 0x80
	v_cmp_eq_u16_sdwa s[12:13], v14, s4 src0_sel:BYTE_0 src1_sel:DWORD
	s_mov_b64 s[4:5], -1
                                        ; implicit-def: $sgpr10
	s_and_saveexec_b64 s[8:9], s[12:13]
; %bb.2346:
	s_mov_b32 s10, 0x7f800001
	s_xor_b64 s[4:5], exec, -1
; %bb.2347:
	s_or_b64 exec, exec, s[8:9]
	s_and_b64 s[4:5], s[4:5], exec
	s_or_saveexec_b64 s[6:7], s[6:7]
	v_mov_b32_e32 v10, s10
	s_xor_b64 exec, exec, s[6:7]
	s_cbranch_execz .LBB21_298
.LBB21_2348:
	v_mov_b32_e32 v10, 0
	v_cmp_ne_u16_sdwa s[8:9], v14, v10 src0_sel:BYTE_0 src1_sel:DWORD
	s_andn2_b64 s[4:5], s[4:5], exec
	s_and_b64 s[8:9], s[8:9], exec
	s_or_b64 s[4:5], s[4:5], s[8:9]
	s_or_b64 exec, exec, s[6:7]
	s_and_saveexec_b64 s[6:7], s[4:5]
	s_cbranch_execnz .LBB21_299
	s_branch .LBB21_300
.LBB21_2349:
	s_movk_i32 s4, 0x80
	v_cmp_eq_u16_sdwa s[12:13], v14, s4 src0_sel:BYTE_0 src1_sel:DWORD
	s_mov_b64 s[4:5], -1
                                        ; implicit-def: $sgpr10
	s_and_saveexec_b64 s[8:9], s[12:13]
; %bb.2350:
	s_mov_b32 s10, 0x7f800001
	s_xor_b64 s[4:5], exec, -1
; %bb.2351:
	s_or_b64 exec, exec, s[8:9]
	s_and_b64 s[4:5], s[4:5], exec
	s_or_saveexec_b64 s[6:7], s[6:7]
	v_mov_b32_e32 v20, s10
	s_xor_b64 exec, exec, s[6:7]
	s_cbranch_execz .LBB21_302
.LBB21_2352:
	v_mov_b32_e32 v20, 0
	v_cmp_ne_u16_sdwa s[8:9], v14, v20 src0_sel:BYTE_0 src1_sel:DWORD
	s_andn2_b64 s[4:5], s[4:5], exec
	s_and_b64 s[8:9], s[8:9], exec
	s_or_b64 s[4:5], s[4:5], s[8:9]
	s_or_b64 exec, exec, s[6:7]
	s_and_saveexec_b64 s[6:7], s[4:5]
	s_cbranch_execnz .LBB21_303
	s_branch .LBB21_304
.LBB21_2353:
	s_movk_i32 s4, 0x80
	v_cmp_eq_u16_e32 vcc, s4, v14
	s_mov_b64 s[4:5], -1
                                        ; implicit-def: $sgpr10
	s_and_saveexec_b64 s[8:9], vcc
; %bb.2354:
	s_mov_b32 s10, 0x7f800001
	s_xor_b64 s[4:5], exec, -1
; %bb.2355:
	s_or_b64 exec, exec, s[8:9]
	s_and_b64 s[4:5], s[4:5], exec
                                        ; implicit-def: $vgpr14
	s_or_saveexec_b64 s[6:7], s[6:7]
	v_mov_b32_e32 v10, s10
	s_xor_b64 exec, exec, s[6:7]
	s_cbranch_execz .LBB21_306
.LBB21_2356:
	v_cmp_ne_u16_e32 vcc, 0, v14
	s_andn2_b64 s[4:5], s[4:5], exec
	s_and_b64 s[8:9], vcc, exec
	v_mov_b32_e32 v10, 0
	s_or_b64 s[4:5], s[4:5], s[8:9]
	s_or_b64 exec, exec, s[6:7]
	s_and_saveexec_b64 s[6:7], s[4:5]
	s_cbranch_execnz .LBB21_307
	s_branch .LBB21_308
.LBB21_2357:
	s_movk_i32 s4, 0x80
	v_cmp_eq_u16_e32 vcc, s4, v14
	s_mov_b64 s[4:5], -1
                                        ; implicit-def: $sgpr10
	s_and_saveexec_b64 s[8:9], vcc
; %bb.2358:
	s_mov_b32 s10, 0x7f800001
	s_xor_b64 s[4:5], exec, -1
; %bb.2359:
	s_or_b64 exec, exec, s[8:9]
	s_and_b64 s[4:5], s[4:5], exec
                                        ; implicit-def: $vgpr14
	s_or_saveexec_b64 s[6:7], s[6:7]
	v_mov_b32_e32 v20, s10
	s_xor_b64 exec, exec, s[6:7]
	s_cbranch_execz .LBB21_310
.LBB21_2360:
	v_cmp_ne_u16_e32 vcc, 0, v14
	s_andn2_b64 s[4:5], s[4:5], exec
	s_and_b64 s[8:9], vcc, exec
	v_mov_b32_e32 v20, 0
	s_or_b64 s[4:5], s[4:5], s[8:9]
	s_or_b64 exec, exec, s[6:7]
	s_and_saveexec_b64 s[6:7], s[4:5]
	s_cbranch_execnz .LBB21_311
	s_branch .LBB21_312
.LBB21_2361:
	s_movk_i32 s4, 0x80
	v_cmp_eq_u16_sdwa s[12:13], v15, s4 src0_sel:BYTE_3 src1_sel:DWORD
	s_mov_b64 s[4:5], -1
                                        ; implicit-def: $sgpr10
	s_and_saveexec_b64 s[8:9], s[12:13]
; %bb.2362:
	s_mov_b32 s10, 0x7f800001
	s_xor_b64 s[4:5], exec, -1
; %bb.2363:
	s_or_b64 exec, exec, s[8:9]
	s_and_b64 s[4:5], s[4:5], exec
	s_or_saveexec_b64 s[6:7], s[6:7]
	v_mov_b32_e32 v10, s10
	s_xor_b64 exec, exec, s[6:7]
	s_cbranch_execz .LBB21_314
.LBB21_2364:
	v_mov_b32_e32 v10, 0
	v_cmp_ne_u16_sdwa s[8:9], v15, v10 src0_sel:BYTE_3 src1_sel:DWORD
	s_andn2_b64 s[4:5], s[4:5], exec
	s_and_b64 s[8:9], s[8:9], exec
	s_or_b64 s[4:5], s[4:5], s[8:9]
	s_or_b64 exec, exec, s[6:7]
	s_and_saveexec_b64 s[6:7], s[4:5]
	s_cbranch_execnz .LBB21_315
	s_branch .LBB21_316
.LBB21_2365:
	s_movk_i32 s4, 0x80
	v_cmp_eq_u16_sdwa s[12:13], v11, s4 src0_sel:BYTE_3 src1_sel:DWORD
	s_mov_b64 s[4:5], -1
                                        ; implicit-def: $sgpr10
	s_and_saveexec_b64 s[8:9], s[12:13]
; %bb.2366:
	s_mov_b32 s10, 0x7f800001
	s_xor_b64 s[4:5], exec, -1
; %bb.2367:
	s_or_b64 exec, exec, s[8:9]
	s_and_b64 s[4:5], s[4:5], exec
	s_or_saveexec_b64 s[6:7], s[6:7]
	v_mov_b32_e32 v14, s10
	s_xor_b64 exec, exec, s[6:7]
	s_cbranch_execz .LBB21_318
.LBB21_2368:
	v_mov_b32_e32 v14, 0
	v_cmp_ne_u16_sdwa s[8:9], v11, v14 src0_sel:BYTE_3 src1_sel:DWORD
	s_andn2_b64 s[4:5], s[4:5], exec
	s_and_b64 s[8:9], s[8:9], exec
	s_or_b64 s[4:5], s[4:5], s[8:9]
	s_or_b64 exec, exec, s[6:7]
	s_and_saveexec_b64 s[6:7], s[4:5]
	s_cbranch_execnz .LBB21_319
	s_branch .LBB21_320
.LBB21_2369:
	s_movk_i32 s4, 0x80
	v_cmp_eq_u16_sdwa s[12:13], v16, s4 src0_sel:BYTE_0 src1_sel:DWORD
	s_mov_b64 s[4:5], -1
                                        ; implicit-def: $sgpr10
	s_and_saveexec_b64 s[8:9], s[12:13]
; %bb.2370:
	s_mov_b32 s10, 0x7f800001
	s_xor_b64 s[4:5], exec, -1
; %bb.2371:
	s_or_b64 exec, exec, s[8:9]
	s_and_b64 s[4:5], s[4:5], exec
	s_or_saveexec_b64 s[6:7], s[6:7]
	v_mov_b32_e32 v10, s10
	s_xor_b64 exec, exec, s[6:7]
	s_cbranch_execz .LBB21_322
.LBB21_2372:
	v_mov_b32_e32 v10, 0
	v_cmp_ne_u16_sdwa s[8:9], v16, v10 src0_sel:BYTE_0 src1_sel:DWORD
	s_andn2_b64 s[4:5], s[4:5], exec
	s_and_b64 s[8:9], s[8:9], exec
	s_or_b64 s[4:5], s[4:5], s[8:9]
	s_or_b64 exec, exec, s[6:7]
	s_and_saveexec_b64 s[6:7], s[4:5]
	s_cbranch_execnz .LBB21_323
	s_branch .LBB21_324
.LBB21_2373:
	s_movk_i32 s4, 0x80
	v_cmp_eq_u16_sdwa s[12:13], v12, s4 src0_sel:BYTE_0 src1_sel:DWORD
	s_mov_b64 s[4:5], -1
                                        ; implicit-def: $sgpr10
	s_and_saveexec_b64 s[8:9], s[12:13]
; %bb.2374:
	s_mov_b32 s10, 0x7f800001
	s_xor_b64 s[4:5], exec, -1
; %bb.2375:
	s_or_b64 exec, exec, s[8:9]
	s_and_b64 s[4:5], s[4:5], exec
	s_or_saveexec_b64 s[6:7], s[6:7]
	v_mov_b32_e32 v11, s10
	s_xor_b64 exec, exec, s[6:7]
	s_cbranch_execz .LBB21_326
.LBB21_2376:
	v_mov_b32_e32 v11, 0
	v_cmp_ne_u16_sdwa s[8:9], v12, v11 src0_sel:BYTE_0 src1_sel:DWORD
	s_andn2_b64 s[4:5], s[4:5], exec
	s_and_b64 s[8:9], s[8:9], exec
	s_or_b64 s[4:5], s[4:5], s[8:9]
	s_or_b64 exec, exec, s[6:7]
	s_and_saveexec_b64 s[6:7], s[4:5]
	s_cbranch_execnz .LBB21_327
	s_branch .LBB21_328
.LBB21_2377:
	s_movk_i32 s4, 0x80
	v_cmp_eq_u16_sdwa s[12:13], v11, s4 src0_sel:BYTE_0 src1_sel:DWORD
	s_mov_b64 s[4:5], -1
                                        ; implicit-def: $sgpr10
	s_and_saveexec_b64 s[8:9], s[12:13]
; %bb.2378:
	s_mov_b32 s10, 0x7f800001
	s_xor_b64 s[4:5], exec, -1
; %bb.2379:
	s_or_b64 exec, exec, s[8:9]
	s_and_b64 s[4:5], s[4:5], exec
	s_or_saveexec_b64 s[6:7], s[6:7]
	v_mov_b32_e32 v10, s10
	s_xor_b64 exec, exec, s[6:7]
	s_cbranch_execz .LBB21_330
.LBB21_2380:
	v_mov_b32_e32 v10, 0
	v_cmp_ne_u16_sdwa s[8:9], v11, v10 src0_sel:BYTE_0 src1_sel:DWORD
	s_andn2_b64 s[4:5], s[4:5], exec
	s_and_b64 s[8:9], s[8:9], exec
	s_or_b64 s[4:5], s[4:5], s[8:9]
	s_or_b64 exec, exec, s[6:7]
	s_and_saveexec_b64 s[6:7], s[4:5]
	s_cbranch_execnz .LBB21_331
	s_branch .LBB21_332
.LBB21_2381:
	s_movk_i32 s4, 0x80
	v_cmp_eq_u16_sdwa s[12:13], v11, s4 src0_sel:BYTE_0 src1_sel:DWORD
	s_mov_b64 s[4:5], -1
                                        ; implicit-def: $sgpr10
	s_and_saveexec_b64 s[8:9], s[12:13]
; %bb.2382:
	s_mov_b32 s10, 0x7f800001
	s_xor_b64 s[4:5], exec, -1
; %bb.2383:
	s_or_b64 exec, exec, s[8:9]
	s_and_b64 s[4:5], s[4:5], exec
	s_or_saveexec_b64 s[6:7], s[6:7]
	v_mov_b32_e32 v14, s10
	s_xor_b64 exec, exec, s[6:7]
	s_cbranch_execz .LBB21_334
.LBB21_2384:
	v_mov_b32_e32 v14, 0
	v_cmp_ne_u16_sdwa s[8:9], v11, v14 src0_sel:BYTE_0 src1_sel:DWORD
	s_andn2_b64 s[4:5], s[4:5], exec
	s_and_b64 s[8:9], s[8:9], exec
	s_or_b64 s[4:5], s[4:5], s[8:9]
	s_or_b64 exec, exec, s[6:7]
	s_and_saveexec_b64 s[6:7], s[4:5]
	s_cbranch_execnz .LBB21_335
	s_branch .LBB21_336
.LBB21_2385:
	s_movk_i32 s4, 0x80
	v_cmp_eq_u16_e32 vcc, s4, v11
	s_mov_b64 s[4:5], -1
                                        ; implicit-def: $sgpr10
	s_and_saveexec_b64 s[8:9], vcc
; %bb.2386:
	s_mov_b32 s10, 0x7f800001
	s_xor_b64 s[4:5], exec, -1
; %bb.2387:
	s_or_b64 exec, exec, s[8:9]
	s_and_b64 s[4:5], s[4:5], exec
                                        ; implicit-def: $vgpr11
	s_or_saveexec_b64 s[6:7], s[6:7]
	v_mov_b32_e32 v10, s10
	s_xor_b64 exec, exec, s[6:7]
	s_cbranch_execz .LBB21_338
.LBB21_2388:
	v_cmp_ne_u16_e32 vcc, 0, v11
	s_andn2_b64 s[4:5], s[4:5], exec
	s_and_b64 s[8:9], vcc, exec
	v_mov_b32_e32 v10, 0
	s_or_b64 s[4:5], s[4:5], s[8:9]
	s_or_b64 exec, exec, s[6:7]
	s_and_saveexec_b64 s[6:7], s[4:5]
	s_cbranch_execnz .LBB21_339
	s_branch .LBB21_340
.LBB21_2389:
	s_movk_i32 s4, 0x80
	v_cmp_eq_u16_e32 vcc, s4, v11
	s_mov_b64 s[4:5], -1
                                        ; implicit-def: $sgpr10
	s_and_saveexec_b64 s[8:9], vcc
; %bb.2390:
	s_mov_b32 s10, 0x7f800001
	s_xor_b64 s[4:5], exec, -1
; %bb.2391:
	s_or_b64 exec, exec, s[8:9]
	s_and_b64 s[4:5], s[4:5], exec
                                        ; implicit-def: $vgpr11
	s_or_saveexec_b64 s[6:7], s[6:7]
	v_mov_b32_e32 v14, s10
	s_xor_b64 exec, exec, s[6:7]
	s_cbranch_execz .LBB21_342
.LBB21_2392:
	v_cmp_ne_u16_e32 vcc, 0, v11
	s_andn2_b64 s[4:5], s[4:5], exec
	s_and_b64 s[8:9], vcc, exec
	v_mov_b32_e32 v14, 0
	s_or_b64 s[4:5], s[4:5], s[8:9]
	s_or_b64 exec, exec, s[6:7]
	s_and_saveexec_b64 s[6:7], s[4:5]
	s_cbranch_execnz .LBB21_343
	s_branch .LBB21_344
.LBB21_2393:
	s_movk_i32 s4, 0x80
	v_cmp_eq_u16_sdwa s[12:13], v16, s4 src0_sel:BYTE_3 src1_sel:DWORD
	s_mov_b64 s[4:5], -1
                                        ; implicit-def: $sgpr10
	s_and_saveexec_b64 s[8:9], s[12:13]
; %bb.2394:
	s_mov_b32 s10, 0x7f800001
	s_xor_b64 s[4:5], exec, -1
; %bb.2395:
	s_or_b64 exec, exec, s[8:9]
	s_and_b64 s[4:5], s[4:5], exec
	s_or_saveexec_b64 s[6:7], s[6:7]
	v_mov_b32_e32 v10, s10
	s_xor_b64 exec, exec, s[6:7]
	s_cbranch_execz .LBB21_346
.LBB21_2396:
	v_mov_b32_e32 v10, 0
	v_cmp_ne_u16_sdwa s[8:9], v16, v10 src0_sel:BYTE_3 src1_sel:DWORD
	s_andn2_b64 s[4:5], s[4:5], exec
	s_and_b64 s[8:9], s[8:9], exec
	s_or_b64 s[4:5], s[4:5], s[8:9]
	s_or_b64 exec, exec, s[6:7]
	s_and_saveexec_b64 s[6:7], s[4:5]
	s_cbranch_execnz .LBB21_347
	s_branch .LBB21_348
.LBB21_2397:
	s_movk_i32 s4, 0x80
	v_cmp_eq_u16_sdwa s[12:13], v12, s4 src0_sel:BYTE_3 src1_sel:DWORD
	s_mov_b64 s[4:5], -1
                                        ; implicit-def: $sgpr10
	s_and_saveexec_b64 s[8:9], s[12:13]
; %bb.2398:
	s_mov_b32 s10, 0x7f800001
	s_xor_b64 s[4:5], exec, -1
; %bb.2399:
	s_or_b64 exec, exec, s[8:9]
	s_and_b64 s[4:5], s[4:5], exec
	s_or_saveexec_b64 s[6:7], s[6:7]
	v_mov_b32_e32 v11, s10
	s_xor_b64 exec, exec, s[6:7]
	s_cbranch_execz .LBB21_350
.LBB21_2400:
	v_mov_b32_e32 v11, 0
	v_cmp_ne_u16_sdwa s[8:9], v12, v11 src0_sel:BYTE_3 src1_sel:DWORD
	s_andn2_b64 s[4:5], s[4:5], exec
	s_and_b64 s[8:9], s[8:9], exec
	s_or_b64 s[4:5], s[4:5], s[8:9]
	s_or_b64 exec, exec, s[6:7]
	s_and_saveexec_b64 s[6:7], s[4:5]
	s_cbranch_execnz .LBB21_351
	s_branch .LBB21_352
.LBB21_2401:
	s_movk_i32 s4, 0x80
	v_cmp_eq_u16_sdwa s[12:13], v17, s4 src0_sel:BYTE_0 src1_sel:DWORD
	s_mov_b64 s[4:5], -1
                                        ; implicit-def: $sgpr10
	s_and_saveexec_b64 s[8:9], s[12:13]
; %bb.2402:
	s_mov_b32 s10, 0x7f800001
	s_xor_b64 s[4:5], exec, -1
; %bb.2403:
	s_or_b64 exec, exec, s[8:9]
	s_and_b64 s[4:5], s[4:5], exec
	s_or_saveexec_b64 s[6:7], s[6:7]
	v_mov_b32_e32 v10, s10
	s_xor_b64 exec, exec, s[6:7]
	s_cbranch_execz .LBB21_354
.LBB21_2404:
	v_mov_b32_e32 v10, 0
	v_cmp_ne_u16_sdwa s[8:9], v17, v10 src0_sel:BYTE_0 src1_sel:DWORD
	s_andn2_b64 s[4:5], s[4:5], exec
	s_and_b64 s[8:9], s[8:9], exec
	s_or_b64 s[4:5], s[4:5], s[8:9]
	s_or_b64 exec, exec, s[6:7]
	s_and_saveexec_b64 s[6:7], s[4:5]
	s_cbranch_execnz .LBB21_355
	s_branch .LBB21_356
.LBB21_2405:
	s_movk_i32 s4, 0x80
	v_cmp_eq_u16_sdwa s[12:13], v13, s4 src0_sel:BYTE_0 src1_sel:DWORD
	s_mov_b64 s[4:5], -1
                                        ; implicit-def: $sgpr10
	s_and_saveexec_b64 s[8:9], s[12:13]
; %bb.2406:
	s_mov_b32 s10, 0x7f800001
	s_xor_b64 s[4:5], exec, -1
; %bb.2407:
	s_or_b64 exec, exec, s[8:9]
	s_and_b64 s[4:5], s[4:5], exec
	s_or_saveexec_b64 s[6:7], s[6:7]
	v_mov_b32_e32 v11, s10
	s_xor_b64 exec, exec, s[6:7]
	s_cbranch_execz .LBB21_358
.LBB21_2408:
	v_mov_b32_e32 v11, 0
	v_cmp_ne_u16_sdwa s[8:9], v13, v11 src0_sel:BYTE_0 src1_sel:DWORD
	s_andn2_b64 s[4:5], s[4:5], exec
	s_and_b64 s[8:9], s[8:9], exec
	s_or_b64 s[4:5], s[4:5], s[8:9]
	s_or_b64 exec, exec, s[6:7]
	s_and_saveexec_b64 s[6:7], s[4:5]
	s_cbranch_execnz .LBB21_359
	s_branch .LBB21_360
.LBB21_2409:
	s_movk_i32 s4, 0x80
	v_cmp_eq_u16_sdwa s[12:13], v11, s4 src0_sel:BYTE_0 src1_sel:DWORD
	s_mov_b64 s[4:5], -1
                                        ; implicit-def: $sgpr10
	s_and_saveexec_b64 s[8:9], s[12:13]
; %bb.2410:
	s_mov_b32 s10, 0x7f800001
	s_xor_b64 s[4:5], exec, -1
; %bb.2411:
	s_or_b64 exec, exec, s[8:9]
	s_and_b64 s[4:5], s[4:5], exec
	s_or_saveexec_b64 s[6:7], s[6:7]
	v_mov_b32_e32 v10, s10
	s_xor_b64 exec, exec, s[6:7]
	s_cbranch_execz .LBB21_362
.LBB21_2412:
	v_mov_b32_e32 v10, 0
	v_cmp_ne_u16_sdwa s[8:9], v11, v10 src0_sel:BYTE_0 src1_sel:DWORD
	s_andn2_b64 s[4:5], s[4:5], exec
	s_and_b64 s[8:9], s[8:9], exec
	s_or_b64 s[4:5], s[4:5], s[8:9]
	s_or_b64 exec, exec, s[6:7]
	s_and_saveexec_b64 s[6:7], s[4:5]
	s_cbranch_execnz .LBB21_363
	s_branch .LBB21_364
.LBB21_2413:
	s_movk_i32 s4, 0x80
	v_cmp_eq_u16_sdwa s[12:13], v11, s4 src0_sel:BYTE_0 src1_sel:DWORD
	s_mov_b64 s[4:5], -1
                                        ; implicit-def: $sgpr10
	s_and_saveexec_b64 s[8:9], s[12:13]
; %bb.2414:
	s_mov_b32 s10, 0x7f800001
	s_xor_b64 s[4:5], exec, -1
; %bb.2415:
	s_or_b64 exec, exec, s[8:9]
	s_and_b64 s[4:5], s[4:5], exec
	s_or_saveexec_b64 s[6:7], s[6:7]
	v_mov_b32_e32 v12, s10
	s_xor_b64 exec, exec, s[6:7]
	s_cbranch_execz .LBB21_366
.LBB21_2416:
	v_mov_b32_e32 v12, 0
	v_cmp_ne_u16_sdwa s[8:9], v11, v12 src0_sel:BYTE_0 src1_sel:DWORD
	s_andn2_b64 s[4:5], s[4:5], exec
	s_and_b64 s[8:9], s[8:9], exec
	s_or_b64 s[4:5], s[4:5], s[8:9]
	s_or_b64 exec, exec, s[6:7]
	s_and_saveexec_b64 s[6:7], s[4:5]
	s_cbranch_execnz .LBB21_367
	s_branch .LBB21_368
.LBB21_2417:
	s_movk_i32 s4, 0x80
	v_cmp_eq_u16_e32 vcc, s4, v11
	s_mov_b64 s[4:5], -1
                                        ; implicit-def: $sgpr10
	s_and_saveexec_b64 s[8:9], vcc
; %bb.2418:
	s_mov_b32 s10, 0x7f800001
	s_xor_b64 s[4:5], exec, -1
; %bb.2419:
	s_or_b64 exec, exec, s[8:9]
	s_and_b64 s[4:5], s[4:5], exec
                                        ; implicit-def: $vgpr11
	s_or_saveexec_b64 s[6:7], s[6:7]
	v_mov_b32_e32 v10, s10
	s_xor_b64 exec, exec, s[6:7]
	s_cbranch_execz .LBB21_370
.LBB21_2420:
	v_cmp_ne_u16_e32 vcc, 0, v11
	s_andn2_b64 s[4:5], s[4:5], exec
	s_and_b64 s[8:9], vcc, exec
	v_mov_b32_e32 v10, 0
	s_or_b64 s[4:5], s[4:5], s[8:9]
	s_or_b64 exec, exec, s[6:7]
	s_and_saveexec_b64 s[6:7], s[4:5]
	s_cbranch_execnz .LBB21_371
	s_branch .LBB21_372
.LBB21_2421:
	s_movk_i32 s4, 0x80
	v_cmp_eq_u16_e32 vcc, s4, v11
	s_mov_b64 s[4:5], -1
                                        ; implicit-def: $sgpr10
	s_and_saveexec_b64 s[8:9], vcc
; %bb.2422:
	s_mov_b32 s10, 0x7f800001
	s_xor_b64 s[4:5], exec, -1
; %bb.2423:
	s_or_b64 exec, exec, s[8:9]
	s_and_b64 s[4:5], s[4:5], exec
                                        ; implicit-def: $vgpr11
	s_or_saveexec_b64 s[6:7], s[6:7]
	v_mov_b32_e32 v12, s10
	s_xor_b64 exec, exec, s[6:7]
	s_cbranch_execz .LBB21_374
.LBB21_2424:
	v_cmp_ne_u16_e32 vcc, 0, v11
	s_andn2_b64 s[4:5], s[4:5], exec
	s_and_b64 s[8:9], vcc, exec
	v_mov_b32_e32 v12, 0
	s_or_b64 s[4:5], s[4:5], s[8:9]
	s_or_b64 exec, exec, s[6:7]
	s_and_saveexec_b64 s[6:7], s[4:5]
	s_cbranch_execnz .LBB21_375
	s_branch .LBB21_376
.LBB21_2425:
	s_movk_i32 s4, 0x80
	v_cmp_eq_u16_sdwa s[12:13], v17, s4 src0_sel:BYTE_3 src1_sel:DWORD
	s_mov_b64 s[4:5], -1
                                        ; implicit-def: $sgpr10
	s_and_saveexec_b64 s[8:9], s[12:13]
; %bb.2426:
	s_mov_b32 s10, 0x7f800001
	s_xor_b64 s[4:5], exec, -1
; %bb.2427:
	s_or_b64 exec, exec, s[8:9]
	s_and_b64 s[4:5], s[4:5], exec
	s_or_saveexec_b64 s[6:7], s[6:7]
	v_mov_b32_e32 v10, s10
	s_xor_b64 exec, exec, s[6:7]
	s_cbranch_execz .LBB21_378
.LBB21_2428:
	v_mov_b32_e32 v10, 0
	v_cmp_ne_u16_sdwa s[8:9], v17, v10 src0_sel:BYTE_3 src1_sel:DWORD
	s_andn2_b64 s[4:5], s[4:5], exec
	s_and_b64 s[8:9], s[8:9], exec
	s_or_b64 s[4:5], s[4:5], s[8:9]
	s_or_b64 exec, exec, s[6:7]
	s_and_saveexec_b64 s[6:7], s[4:5]
	s_cbranch_execnz .LBB21_379
	s_branch .LBB21_380
.LBB21_2429:
	s_movk_i32 s4, 0x80
	v_cmp_eq_u16_sdwa s[12:13], v13, s4 src0_sel:BYTE_3 src1_sel:DWORD
	s_mov_b64 s[4:5], -1
                                        ; implicit-def: $sgpr10
	s_and_saveexec_b64 s[8:9], s[12:13]
; %bb.2430:
	s_mov_b32 s10, 0x7f800001
	s_xor_b64 s[4:5], exec, -1
; %bb.2431:
	s_or_b64 exec, exec, s[8:9]
	s_and_b64 s[4:5], s[4:5], exec
	s_or_saveexec_b64 s[6:7], s[6:7]
	v_mov_b32_e32 v11, s10
	s_xor_b64 exec, exec, s[6:7]
	s_cbranch_execz .LBB21_382
.LBB21_2432:
	v_mov_b32_e32 v11, 0
	v_cmp_ne_u16_sdwa s[8:9], v13, v11 src0_sel:BYTE_3 src1_sel:DWORD
	s_andn2_b64 s[4:5], s[4:5], exec
	s_and_b64 s[8:9], s[8:9], exec
	s_or_b64 s[4:5], s[4:5], s[8:9]
	s_or_b64 exec, exec, s[6:7]
	s_and_saveexec_b64 s[6:7], s[4:5]
	s_cbranch_execnz .LBB21_383
	s_branch .LBB21_384
.LBB21_2433:
	s_movk_i32 s4, 0x80
	v_cmp_eq_u16_sdwa s[12:13], v6, s4 src0_sel:BYTE_0 src1_sel:DWORD
	s_mov_b64 s[4:5], -1
                                        ; implicit-def: $sgpr10
	s_and_saveexec_b64 s[8:9], s[12:13]
; %bb.2434:
	s_mov_b32 s10, 0x7f800001
	s_xor_b64 s[4:5], exec, -1
; %bb.2435:
	s_or_b64 exec, exec, s[8:9]
	s_and_b64 s[4:5], s[4:5], exec
	s_or_saveexec_b64 s[6:7], s[6:7]
	v_mov_b32_e32 v10, s10
	s_xor_b64 exec, exec, s[6:7]
	s_cbranch_execz .LBB21_386
.LBB21_2436:
	v_mov_b32_e32 v10, 0
	v_cmp_ne_u16_sdwa s[8:9], v6, v10 src0_sel:BYTE_0 src1_sel:DWORD
	s_andn2_b64 s[4:5], s[4:5], exec
	s_and_b64 s[8:9], s[8:9], exec
	s_or_b64 s[4:5], s[4:5], s[8:9]
	s_or_b64 exec, exec, s[6:7]
	s_and_saveexec_b64 s[6:7], s[4:5]
	s_cbranch_execnz .LBB21_387
	s_branch .LBB21_388
.LBB21_2437:
	s_movk_i32 s4, 0x80
	v_cmp_eq_u16_sdwa s[12:13], v2, s4 src0_sel:BYTE_0 src1_sel:DWORD
	s_mov_b64 s[4:5], -1
                                        ; implicit-def: $sgpr10
	s_and_saveexec_b64 s[8:9], s[12:13]
; %bb.2438:
	s_mov_b32 s10, 0x7f800001
	s_xor_b64 s[4:5], exec, -1
; %bb.2439:
	s_or_b64 exec, exec, s[8:9]
	s_and_b64 s[4:5], s[4:5], exec
	s_or_saveexec_b64 s[6:7], s[6:7]
	v_mov_b32_e32 v11, s10
	s_xor_b64 exec, exec, s[6:7]
	s_cbranch_execz .LBB21_390
.LBB21_2440:
	v_mov_b32_e32 v11, 0
	v_cmp_ne_u16_sdwa s[8:9], v2, v11 src0_sel:BYTE_0 src1_sel:DWORD
	s_andn2_b64 s[4:5], s[4:5], exec
	s_and_b64 s[8:9], s[8:9], exec
	s_or_b64 s[4:5], s[4:5], s[8:9]
	s_or_b64 exec, exec, s[6:7]
	s_and_saveexec_b64 s[6:7], s[4:5]
	s_cbranch_execnz .LBB21_391
	s_branch .LBB21_392
.LBB21_2441:
	s_movk_i32 s4, 0x80
	v_cmp_eq_u16_sdwa s[12:13], v11, s4 src0_sel:BYTE_0 src1_sel:DWORD
	s_mov_b64 s[4:5], -1
                                        ; implicit-def: $sgpr10
	s_and_saveexec_b64 s[8:9], s[12:13]
; %bb.2442:
	s_mov_b32 s10, 0x7f800001
	s_xor_b64 s[4:5], exec, -1
; %bb.2443:
	s_or_b64 exec, exec, s[8:9]
	s_and_b64 s[4:5], s[4:5], exec
	s_or_saveexec_b64 s[6:7], s[6:7]
	v_mov_b32_e32 v10, s10
	s_xor_b64 exec, exec, s[6:7]
	s_cbranch_execz .LBB21_394
.LBB21_2444:
	v_mov_b32_e32 v10, 0
	v_cmp_ne_u16_sdwa s[8:9], v11, v10 src0_sel:BYTE_0 src1_sel:DWORD
	s_andn2_b64 s[4:5], s[4:5], exec
	s_and_b64 s[8:9], s[8:9], exec
	s_or_b64 s[4:5], s[4:5], s[8:9]
	s_or_b64 exec, exec, s[6:7]
	s_and_saveexec_b64 s[6:7], s[4:5]
	s_cbranch_execnz .LBB21_395
	s_branch .LBB21_396
.LBB21_2445:
	s_movk_i32 s4, 0x80
	v_cmp_eq_u16_sdwa s[12:13], v11, s4 src0_sel:BYTE_0 src1_sel:DWORD
	s_mov_b64 s[4:5], -1
                                        ; implicit-def: $sgpr10
	s_and_saveexec_b64 s[8:9], s[12:13]
; %bb.2446:
	s_mov_b32 s10, 0x7f800001
	s_xor_b64 s[4:5], exec, -1
; %bb.2447:
	s_or_b64 exec, exec, s[8:9]
	s_and_b64 s[4:5], s[4:5], exec
	s_or_saveexec_b64 s[6:7], s[6:7]
	v_mov_b32_e32 v12, s10
	s_xor_b64 exec, exec, s[6:7]
	s_cbranch_execz .LBB21_398
.LBB21_2448:
	v_mov_b32_e32 v12, 0
	v_cmp_ne_u16_sdwa s[8:9], v11, v12 src0_sel:BYTE_0 src1_sel:DWORD
	s_andn2_b64 s[4:5], s[4:5], exec
	s_and_b64 s[8:9], s[8:9], exec
	s_or_b64 s[4:5], s[4:5], s[8:9]
	s_or_b64 exec, exec, s[6:7]
	s_and_saveexec_b64 s[6:7], s[4:5]
	s_cbranch_execnz .LBB21_399
	s_branch .LBB21_400
.LBB21_2449:
	s_movk_i32 s4, 0x80
	v_cmp_eq_u16_e32 vcc, s4, v11
	s_mov_b64 s[4:5], -1
                                        ; implicit-def: $sgpr10
	s_and_saveexec_b64 s[8:9], vcc
; %bb.2450:
	s_mov_b32 s10, 0x7f800001
	s_xor_b64 s[4:5], exec, -1
; %bb.2451:
	s_or_b64 exec, exec, s[8:9]
	s_and_b64 s[4:5], s[4:5], exec
                                        ; implicit-def: $vgpr11
	s_or_saveexec_b64 s[6:7], s[6:7]
	v_mov_b32_e32 v10, s10
	s_xor_b64 exec, exec, s[6:7]
	s_cbranch_execz .LBB21_402
.LBB21_2452:
	v_cmp_ne_u16_e32 vcc, 0, v11
	s_andn2_b64 s[4:5], s[4:5], exec
	s_and_b64 s[8:9], vcc, exec
	v_mov_b32_e32 v10, 0
	s_or_b64 s[4:5], s[4:5], s[8:9]
	s_or_b64 exec, exec, s[6:7]
	s_and_saveexec_b64 s[6:7], s[4:5]
	s_cbranch_execnz .LBB21_403
	s_branch .LBB21_404
.LBB21_2453:
	s_movk_i32 s4, 0x80
	v_cmp_eq_u16_e32 vcc, s4, v11
	s_mov_b64 s[4:5], -1
                                        ; implicit-def: $sgpr10
	s_and_saveexec_b64 s[8:9], vcc
; %bb.2454:
	s_mov_b32 s10, 0x7f800001
	s_xor_b64 s[4:5], exec, -1
; %bb.2455:
	s_or_b64 exec, exec, s[8:9]
	s_and_b64 s[4:5], s[4:5], exec
                                        ; implicit-def: $vgpr11
	s_or_saveexec_b64 s[6:7], s[6:7]
	v_mov_b32_e32 v12, s10
	s_xor_b64 exec, exec, s[6:7]
	s_cbranch_execz .LBB21_406
.LBB21_2456:
	v_cmp_ne_u16_e32 vcc, 0, v11
	s_andn2_b64 s[4:5], s[4:5], exec
	s_and_b64 s[8:9], vcc, exec
	v_mov_b32_e32 v12, 0
	s_or_b64 s[4:5], s[4:5], s[8:9]
	s_or_b64 exec, exec, s[6:7]
	s_and_saveexec_b64 s[6:7], s[4:5]
	s_cbranch_execnz .LBB21_407
	s_branch .LBB21_408
.LBB21_2457:
	s_movk_i32 s4, 0x80
	v_cmp_eq_u16_sdwa s[12:13], v6, s4 src0_sel:BYTE_3 src1_sel:DWORD
	s_mov_b64 s[4:5], -1
                                        ; implicit-def: $sgpr10
	s_and_saveexec_b64 s[8:9], s[12:13]
; %bb.2458:
	s_mov_b32 s10, 0x7f800001
	s_xor_b64 s[4:5], exec, -1
; %bb.2459:
	s_or_b64 exec, exec, s[8:9]
	s_and_b64 s[4:5], s[4:5], exec
	s_or_saveexec_b64 s[6:7], s[6:7]
	v_mov_b32_e32 v10, s10
	s_xor_b64 exec, exec, s[6:7]
	s_cbranch_execz .LBB21_410
.LBB21_2460:
	v_mov_b32_e32 v10, 0
	v_cmp_ne_u16_sdwa s[8:9], v6, v10 src0_sel:BYTE_3 src1_sel:DWORD
	s_andn2_b64 s[4:5], s[4:5], exec
	s_and_b64 s[8:9], s[8:9], exec
	s_or_b64 s[4:5], s[4:5], s[8:9]
	s_or_b64 exec, exec, s[6:7]
	s_and_saveexec_b64 s[6:7], s[4:5]
	s_cbranch_execnz .LBB21_411
	s_branch .LBB21_412
.LBB21_2461:
	s_movk_i32 s4, 0x80
	v_cmp_eq_u16_sdwa s[12:13], v2, s4 src0_sel:BYTE_3 src1_sel:DWORD
	s_mov_b64 s[4:5], -1
                                        ; implicit-def: $sgpr10
	s_and_saveexec_b64 s[8:9], s[12:13]
; %bb.2462:
	s_mov_b32 s10, 0x7f800001
	s_xor_b64 s[4:5], exec, -1
; %bb.2463:
	s_or_b64 exec, exec, s[8:9]
	s_and_b64 s[4:5], s[4:5], exec
	s_or_saveexec_b64 s[6:7], s[6:7]
	v_mov_b32_e32 v6, s10
	s_xor_b64 exec, exec, s[6:7]
	s_cbranch_execz .LBB21_414
.LBB21_2464:
	v_mov_b32_e32 v6, 0
	v_cmp_ne_u16_sdwa s[8:9], v2, v6 src0_sel:BYTE_3 src1_sel:DWORD
	s_andn2_b64 s[4:5], s[4:5], exec
	s_and_b64 s[8:9], s[8:9], exec
	s_or_b64 s[4:5], s[4:5], s[8:9]
	s_or_b64 exec, exec, s[6:7]
	s_and_saveexec_b64 s[6:7], s[4:5]
	s_cbranch_execnz .LBB21_415
	s_branch .LBB21_416
.LBB21_2465:
	s_movk_i32 s4, 0x80
	v_cmp_eq_u16_sdwa s[12:13], v7, s4 src0_sel:BYTE_0 src1_sel:DWORD
	s_mov_b64 s[4:5], -1
                                        ; implicit-def: $sgpr10
	s_and_saveexec_b64 s[8:9], s[12:13]
; %bb.2466:
	s_mov_b32 s10, 0x7f800001
	s_xor_b64 s[4:5], exec, -1
; %bb.2467:
	s_or_b64 exec, exec, s[8:9]
	s_and_b64 s[4:5], s[4:5], exec
	s_or_saveexec_b64 s[6:7], s[6:7]
	v_mov_b32_e32 v2, s10
	s_xor_b64 exec, exec, s[6:7]
	s_cbranch_execz .LBB21_418
.LBB21_2468:
	v_mov_b32_e32 v2, 0
	v_cmp_ne_u16_sdwa s[8:9], v7, v2 src0_sel:BYTE_0 src1_sel:DWORD
	s_andn2_b64 s[4:5], s[4:5], exec
	s_and_b64 s[8:9], s[8:9], exec
	s_or_b64 s[4:5], s[4:5], s[8:9]
	s_or_b64 exec, exec, s[6:7]
	s_and_saveexec_b64 s[6:7], s[4:5]
	s_cbranch_execnz .LBB21_419
	s_branch .LBB21_420
.LBB21_2469:
	s_movk_i32 s4, 0x80
	v_cmp_eq_u16_sdwa s[12:13], v3, s4 src0_sel:BYTE_0 src1_sel:DWORD
	s_mov_b64 s[4:5], -1
                                        ; implicit-def: $sgpr10
	s_and_saveexec_b64 s[8:9], s[12:13]
; %bb.2470:
	s_mov_b32 s10, 0x7f800001
	s_xor_b64 s[4:5], exec, -1
; %bb.2471:
	s_or_b64 exec, exec, s[8:9]
	s_and_b64 s[4:5], s[4:5], exec
	s_or_saveexec_b64 s[6:7], s[6:7]
	v_mov_b32_e32 v6, s10
	s_xor_b64 exec, exec, s[6:7]
	s_cbranch_execz .LBB21_422
.LBB21_2472:
	v_mov_b32_e32 v6, 0
	v_cmp_ne_u16_sdwa s[8:9], v3, v6 src0_sel:BYTE_0 src1_sel:DWORD
	s_andn2_b64 s[4:5], s[4:5], exec
	s_and_b64 s[8:9], s[8:9], exec
	s_or_b64 s[4:5], s[4:5], s[8:9]
	s_or_b64 exec, exec, s[6:7]
	s_and_saveexec_b64 s[6:7], s[4:5]
	s_cbranch_execnz .LBB21_423
	s_branch .LBB21_424
.LBB21_2473:
	s_movk_i32 s4, 0x80
	v_cmp_eq_u16_sdwa s[12:13], v6, s4 src0_sel:BYTE_0 src1_sel:DWORD
	s_mov_b64 s[4:5], -1
                                        ; implicit-def: $sgpr10
	s_and_saveexec_b64 s[8:9], s[12:13]
; %bb.2474:
	s_mov_b32 s10, 0x7f800001
	s_xor_b64 s[4:5], exec, -1
; %bb.2475:
	s_or_b64 exec, exec, s[8:9]
	s_and_b64 s[4:5], s[4:5], exec
	s_or_saveexec_b64 s[6:7], s[6:7]
	v_mov_b32_e32 v2, s10
	s_xor_b64 exec, exec, s[6:7]
	s_cbranch_execz .LBB21_426
.LBB21_2476:
	v_mov_b32_e32 v2, 0
	v_cmp_ne_u16_sdwa s[8:9], v6, v2 src0_sel:BYTE_0 src1_sel:DWORD
	s_andn2_b64 s[4:5], s[4:5], exec
	s_and_b64 s[8:9], s[8:9], exec
	s_or_b64 s[4:5], s[4:5], s[8:9]
	s_or_b64 exec, exec, s[6:7]
	s_and_saveexec_b64 s[6:7], s[4:5]
	s_cbranch_execnz .LBB21_427
	s_branch .LBB21_428
.LBB21_2477:
	s_movk_i32 s4, 0x80
	v_cmp_eq_u16_sdwa s[12:13], v6, s4 src0_sel:BYTE_0 src1_sel:DWORD
	s_mov_b64 s[4:5], -1
                                        ; implicit-def: $sgpr10
	s_and_saveexec_b64 s[8:9], s[12:13]
; %bb.2478:
	s_mov_b32 s10, 0x7f800001
	s_xor_b64 s[4:5], exec, -1
; %bb.2479:
	s_or_b64 exec, exec, s[8:9]
	s_and_b64 s[4:5], s[4:5], exec
	s_or_saveexec_b64 s[6:7], s[6:7]
	v_mov_b32_e32 v10, s10
	s_xor_b64 exec, exec, s[6:7]
	s_cbranch_execz .LBB21_430
.LBB21_2480:
	v_mov_b32_e32 v10, 0
	v_cmp_ne_u16_sdwa s[8:9], v6, v10 src0_sel:BYTE_0 src1_sel:DWORD
	s_andn2_b64 s[4:5], s[4:5], exec
	s_and_b64 s[8:9], s[8:9], exec
	s_or_b64 s[4:5], s[4:5], s[8:9]
	s_or_b64 exec, exec, s[6:7]
	s_and_saveexec_b64 s[6:7], s[4:5]
	s_cbranch_execnz .LBB21_431
	s_branch .LBB21_432
.LBB21_2481:
	s_movk_i32 s4, 0x80
	v_cmp_eq_u16_e32 vcc, s4, v6
	s_mov_b64 s[4:5], -1
                                        ; implicit-def: $sgpr10
	s_and_saveexec_b64 s[8:9], vcc
; %bb.2482:
	s_mov_b32 s10, 0x7f800001
	s_xor_b64 s[4:5], exec, -1
; %bb.2483:
	s_or_b64 exec, exec, s[8:9]
	s_and_b64 s[4:5], s[4:5], exec
                                        ; implicit-def: $vgpr6
	s_or_saveexec_b64 s[6:7], s[6:7]
	v_mov_b32_e32 v2, s10
	s_xor_b64 exec, exec, s[6:7]
	s_cbranch_execz .LBB21_434
.LBB21_2484:
	v_cmp_ne_u16_e32 vcc, 0, v6
	s_andn2_b64 s[4:5], s[4:5], exec
	s_and_b64 s[8:9], vcc, exec
	v_mov_b32_e32 v2, 0
	s_or_b64 s[4:5], s[4:5], s[8:9]
	s_or_b64 exec, exec, s[6:7]
	s_and_saveexec_b64 s[6:7], s[4:5]
	s_cbranch_execnz .LBB21_435
	s_branch .LBB21_436
.LBB21_2485:
	s_movk_i32 s4, 0x80
	v_cmp_eq_u16_e32 vcc, s4, v6
	s_mov_b64 s[4:5], -1
                                        ; implicit-def: $sgpr10
	s_and_saveexec_b64 s[8:9], vcc
; %bb.2486:
	s_mov_b32 s10, 0x7f800001
	s_xor_b64 s[4:5], exec, -1
; %bb.2487:
	s_or_b64 exec, exec, s[8:9]
	s_and_b64 s[4:5], s[4:5], exec
                                        ; implicit-def: $vgpr6
	s_or_saveexec_b64 s[6:7], s[6:7]
	v_mov_b32_e32 v10, s10
	s_xor_b64 exec, exec, s[6:7]
	s_cbranch_execz .LBB21_438
.LBB21_2488:
	v_cmp_ne_u16_e32 vcc, 0, v6
	s_andn2_b64 s[4:5], s[4:5], exec
	s_and_b64 s[8:9], vcc, exec
	v_mov_b32_e32 v10, 0
	s_or_b64 s[4:5], s[4:5], s[8:9]
	s_or_b64 exec, exec, s[6:7]
	s_and_saveexec_b64 s[6:7], s[4:5]
	s_cbranch_execnz .LBB21_439
	s_branch .LBB21_440
.LBB21_2489:
	s_movk_i32 s4, 0x80
	v_cmp_eq_u16_sdwa s[12:13], v7, s4 src0_sel:BYTE_3 src1_sel:DWORD
	s_mov_b64 s[4:5], -1
                                        ; implicit-def: $sgpr10
	s_and_saveexec_b64 s[8:9], s[12:13]
; %bb.2490:
	s_mov_b32 s10, 0x7f800001
	s_xor_b64 s[4:5], exec, -1
; %bb.2491:
	s_or_b64 exec, exec, s[8:9]
	s_and_b64 s[4:5], s[4:5], exec
	s_or_saveexec_b64 s[6:7], s[6:7]
	v_mov_b32_e32 v2, s10
	s_xor_b64 exec, exec, s[6:7]
	s_cbranch_execz .LBB21_442
.LBB21_2492:
	v_mov_b32_e32 v2, 0
	v_cmp_ne_u16_sdwa s[8:9], v7, v2 src0_sel:BYTE_3 src1_sel:DWORD
	s_andn2_b64 s[4:5], s[4:5], exec
	s_and_b64 s[8:9], s[8:9], exec
	s_or_b64 s[4:5], s[4:5], s[8:9]
	s_or_b64 exec, exec, s[6:7]
	s_and_saveexec_b64 s[6:7], s[4:5]
	s_cbranch_execnz .LBB21_443
	s_branch .LBB21_444
.LBB21_2493:
	s_movk_i32 s4, 0x80
	v_cmp_eq_u16_sdwa s[12:13], v3, s4 src0_sel:BYTE_3 src1_sel:DWORD
	s_mov_b64 s[4:5], -1
                                        ; implicit-def: $sgpr10
	s_and_saveexec_b64 s[8:9], s[12:13]
; %bb.2494:
	s_mov_b32 s10, 0x7f800001
	s_xor_b64 s[4:5], exec, -1
; %bb.2495:
	s_or_b64 exec, exec, s[8:9]
	s_and_b64 s[4:5], s[4:5], exec
	s_or_saveexec_b64 s[6:7], s[6:7]
	v_mov_b32_e32 v6, s10
	s_xor_b64 exec, exec, s[6:7]
	s_cbranch_execz .LBB21_446
.LBB21_2496:
	v_mov_b32_e32 v6, 0
	v_cmp_ne_u16_sdwa s[8:9], v3, v6 src0_sel:BYTE_3 src1_sel:DWORD
	s_andn2_b64 s[4:5], s[4:5], exec
	s_and_b64 s[8:9], s[8:9], exec
	s_or_b64 s[4:5], s[4:5], s[8:9]
	s_or_b64 exec, exec, s[6:7]
	s_and_saveexec_b64 s[6:7], s[4:5]
	s_cbranch_execnz .LBB21_447
	s_branch .LBB21_448
.LBB21_2497:
	s_movk_i32 s4, 0x80
	v_cmp_eq_u16_sdwa s[12:13], v8, s4 src0_sel:BYTE_0 src1_sel:DWORD
	s_mov_b64 s[4:5], -1
                                        ; implicit-def: $sgpr10
	s_and_saveexec_b64 s[8:9], s[12:13]
; %bb.2498:
	s_mov_b32 s10, 0x7f800001
	s_xor_b64 s[4:5], exec, -1
; %bb.2499:
	s_or_b64 exec, exec, s[8:9]
	s_and_b64 s[4:5], s[4:5], exec
	s_or_saveexec_b64 s[6:7], s[6:7]
	v_mov_b32_e32 v2, s10
	s_xor_b64 exec, exec, s[6:7]
	s_cbranch_execz .LBB21_450
.LBB21_2500:
	v_mov_b32_e32 v2, 0
	v_cmp_ne_u16_sdwa s[8:9], v8, v2 src0_sel:BYTE_0 src1_sel:DWORD
	s_andn2_b64 s[4:5], s[4:5], exec
	s_and_b64 s[8:9], s[8:9], exec
	s_or_b64 s[4:5], s[4:5], s[8:9]
	s_or_b64 exec, exec, s[6:7]
	s_and_saveexec_b64 s[6:7], s[4:5]
	s_cbranch_execnz .LBB21_451
	s_branch .LBB21_452
.LBB21_2501:
	s_movk_i32 s4, 0x80
	v_cmp_eq_u16_sdwa s[12:13], v4, s4 src0_sel:BYTE_0 src1_sel:DWORD
	s_mov_b64 s[4:5], -1
                                        ; implicit-def: $sgpr10
	s_and_saveexec_b64 s[8:9], s[12:13]
; %bb.2502:
	s_mov_b32 s10, 0x7f800001
	s_xor_b64 s[4:5], exec, -1
; %bb.2503:
	s_or_b64 exec, exec, s[8:9]
	s_and_b64 s[4:5], s[4:5], exec
	s_or_saveexec_b64 s[6:7], s[6:7]
	v_mov_b32_e32 v3, s10
	s_xor_b64 exec, exec, s[6:7]
	s_cbranch_execz .LBB21_454
.LBB21_2504:
	v_mov_b32_e32 v3, 0
	v_cmp_ne_u16_sdwa s[8:9], v4, v3 src0_sel:BYTE_0 src1_sel:DWORD
	s_andn2_b64 s[4:5], s[4:5], exec
	s_and_b64 s[8:9], s[8:9], exec
	s_or_b64 s[4:5], s[4:5], s[8:9]
	s_or_b64 exec, exec, s[6:7]
	s_and_saveexec_b64 s[6:7], s[4:5]
	s_cbranch_execnz .LBB21_455
	s_branch .LBB21_456
.LBB21_2505:
	s_movk_i32 s4, 0x80
	v_cmp_eq_u16_sdwa s[12:13], v3, s4 src0_sel:BYTE_0 src1_sel:DWORD
	s_mov_b64 s[4:5], -1
                                        ; implicit-def: $sgpr10
	s_and_saveexec_b64 s[8:9], s[12:13]
; %bb.2506:
	s_mov_b32 s10, 0x7f800001
	s_xor_b64 s[4:5], exec, -1
; %bb.2507:
	s_or_b64 exec, exec, s[8:9]
	s_and_b64 s[4:5], s[4:5], exec
	s_or_saveexec_b64 s[6:7], s[6:7]
	v_mov_b32_e32 v2, s10
	s_xor_b64 exec, exec, s[6:7]
	s_cbranch_execz .LBB21_458
.LBB21_2508:
	v_mov_b32_e32 v2, 0
	v_cmp_ne_u16_sdwa s[8:9], v3, v2 src0_sel:BYTE_0 src1_sel:DWORD
	s_andn2_b64 s[4:5], s[4:5], exec
	s_and_b64 s[8:9], s[8:9], exec
	s_or_b64 s[4:5], s[4:5], s[8:9]
	s_or_b64 exec, exec, s[6:7]
	s_and_saveexec_b64 s[6:7], s[4:5]
	s_cbranch_execnz .LBB21_459
	s_branch .LBB21_460
.LBB21_2509:
	s_movk_i32 s4, 0x80
	v_cmp_eq_u16_sdwa s[12:13], v3, s4 src0_sel:BYTE_0 src1_sel:DWORD
	s_mov_b64 s[4:5], -1
                                        ; implicit-def: $sgpr10
	s_and_saveexec_b64 s[8:9], s[12:13]
; %bb.2510:
	s_mov_b32 s10, 0x7f800001
	s_xor_b64 s[4:5], exec, -1
; %bb.2511:
	s_or_b64 exec, exec, s[8:9]
	s_and_b64 s[4:5], s[4:5], exec
	s_or_saveexec_b64 s[6:7], s[6:7]
	v_mov_b32_e32 v6, s10
	s_xor_b64 exec, exec, s[6:7]
	s_cbranch_execz .LBB21_462
.LBB21_2512:
	v_mov_b32_e32 v6, 0
	v_cmp_ne_u16_sdwa s[8:9], v3, v6 src0_sel:BYTE_0 src1_sel:DWORD
	s_andn2_b64 s[4:5], s[4:5], exec
	s_and_b64 s[8:9], s[8:9], exec
	s_or_b64 s[4:5], s[4:5], s[8:9]
	s_or_b64 exec, exec, s[6:7]
	s_and_saveexec_b64 s[6:7], s[4:5]
	s_cbranch_execnz .LBB21_463
	s_branch .LBB21_464
.LBB21_2513:
	s_movk_i32 s4, 0x80
	v_cmp_eq_u16_e32 vcc, s4, v3
	s_mov_b64 s[4:5], -1
                                        ; implicit-def: $sgpr10
	s_and_saveexec_b64 s[8:9], vcc
; %bb.2514:
	s_mov_b32 s10, 0x7f800001
	s_xor_b64 s[4:5], exec, -1
; %bb.2515:
	s_or_b64 exec, exec, s[8:9]
	s_and_b64 s[4:5], s[4:5], exec
                                        ; implicit-def: $vgpr3
	s_or_saveexec_b64 s[6:7], s[6:7]
	v_mov_b32_e32 v2, s10
	s_xor_b64 exec, exec, s[6:7]
	s_cbranch_execz .LBB21_466
.LBB21_2516:
	v_cmp_ne_u16_e32 vcc, 0, v3
	s_andn2_b64 s[4:5], s[4:5], exec
	s_and_b64 s[8:9], vcc, exec
	v_mov_b32_e32 v2, 0
	s_or_b64 s[4:5], s[4:5], s[8:9]
	s_or_b64 exec, exec, s[6:7]
	s_and_saveexec_b64 s[6:7], s[4:5]
	s_cbranch_execnz .LBB21_467
	s_branch .LBB21_468
.LBB21_2517:
	s_movk_i32 s4, 0x80
	v_cmp_eq_u16_e32 vcc, s4, v3
	s_mov_b64 s[4:5], -1
                                        ; implicit-def: $sgpr10
	s_and_saveexec_b64 s[8:9], vcc
; %bb.2518:
	s_mov_b32 s10, 0x7f800001
	s_xor_b64 s[4:5], exec, -1
; %bb.2519:
	s_or_b64 exec, exec, s[8:9]
	s_and_b64 s[4:5], s[4:5], exec
                                        ; implicit-def: $vgpr3
	s_or_saveexec_b64 s[6:7], s[6:7]
	v_mov_b32_e32 v6, s10
	s_xor_b64 exec, exec, s[6:7]
	s_cbranch_execz .LBB21_470
.LBB21_2520:
	v_cmp_ne_u16_e32 vcc, 0, v3
	s_andn2_b64 s[4:5], s[4:5], exec
	s_and_b64 s[8:9], vcc, exec
	v_mov_b32_e32 v6, 0
	s_or_b64 s[4:5], s[4:5], s[8:9]
	s_or_b64 exec, exec, s[6:7]
	s_and_saveexec_b64 s[6:7], s[4:5]
	s_cbranch_execnz .LBB21_471
	s_branch .LBB21_472
.LBB21_2521:
	s_movk_i32 s4, 0x80
	v_cmp_eq_u16_sdwa s[12:13], v8, s4 src0_sel:BYTE_3 src1_sel:DWORD
	s_mov_b64 s[4:5], -1
                                        ; implicit-def: $sgpr10
	s_and_saveexec_b64 s[8:9], s[12:13]
; %bb.2522:
	s_mov_b32 s10, 0x7f800001
	s_xor_b64 s[4:5], exec, -1
; %bb.2523:
	s_or_b64 exec, exec, s[8:9]
	s_and_b64 s[4:5], s[4:5], exec
	s_or_saveexec_b64 s[6:7], s[6:7]
	v_mov_b32_e32 v2, s10
	s_xor_b64 exec, exec, s[6:7]
	s_cbranch_execz .LBB21_474
.LBB21_2524:
	v_mov_b32_e32 v2, 0
	v_cmp_ne_u16_sdwa s[8:9], v8, v2 src0_sel:BYTE_3 src1_sel:DWORD
	s_andn2_b64 s[4:5], s[4:5], exec
	s_and_b64 s[8:9], s[8:9], exec
	s_or_b64 s[4:5], s[4:5], s[8:9]
	s_or_b64 exec, exec, s[6:7]
	s_and_saveexec_b64 s[6:7], s[4:5]
	s_cbranch_execnz .LBB21_475
	s_branch .LBB21_476
.LBB21_2525:
	s_movk_i32 s4, 0x80
	v_cmp_eq_u16_sdwa s[12:13], v4, s4 src0_sel:BYTE_3 src1_sel:DWORD
	s_mov_b64 s[4:5], -1
                                        ; implicit-def: $sgpr10
	s_and_saveexec_b64 s[8:9], s[12:13]
; %bb.2526:
	s_mov_b32 s10, 0x7f800001
	s_xor_b64 s[4:5], exec, -1
; %bb.2527:
	s_or_b64 exec, exec, s[8:9]
	s_and_b64 s[4:5], s[4:5], exec
	s_or_saveexec_b64 s[6:7], s[6:7]
	v_mov_b32_e32 v3, s10
	s_xor_b64 exec, exec, s[6:7]
	s_cbranch_execz .LBB21_478
.LBB21_2528:
	v_mov_b32_e32 v3, 0
	v_cmp_ne_u16_sdwa s[8:9], v4, v3 src0_sel:BYTE_3 src1_sel:DWORD
	s_andn2_b64 s[4:5], s[4:5], exec
	s_and_b64 s[8:9], s[8:9], exec
	s_or_b64 s[4:5], s[4:5], s[8:9]
	s_or_b64 exec, exec, s[6:7]
	s_and_saveexec_b64 s[6:7], s[4:5]
	s_cbranch_execnz .LBB21_479
	s_branch .LBB21_480
.LBB21_2529:
	s_movk_i32 s4, 0x80
	v_cmp_eq_u16_sdwa s[12:13], v9, s4 src0_sel:BYTE_0 src1_sel:DWORD
	s_mov_b64 s[4:5], -1
                                        ; implicit-def: $sgpr10
	s_and_saveexec_b64 s[8:9], s[12:13]
; %bb.2530:
	s_mov_b32 s10, 0x7f800001
	s_xor_b64 s[4:5], exec, -1
; %bb.2531:
	s_or_b64 exec, exec, s[8:9]
	s_and_b64 s[4:5], s[4:5], exec
	s_or_saveexec_b64 s[6:7], s[6:7]
	v_mov_b32_e32 v2, s10
	s_xor_b64 exec, exec, s[6:7]
	s_cbranch_execz .LBB21_482
.LBB21_2532:
	v_mov_b32_e32 v2, 0
	v_cmp_ne_u16_sdwa s[8:9], v9, v2 src0_sel:BYTE_0 src1_sel:DWORD
	s_andn2_b64 s[4:5], s[4:5], exec
	s_and_b64 s[8:9], s[8:9], exec
	s_or_b64 s[4:5], s[4:5], s[8:9]
	s_or_b64 exec, exec, s[6:7]
	s_and_saveexec_b64 s[6:7], s[4:5]
	s_cbranch_execnz .LBB21_483
	s_branch .LBB21_484
.LBB21_2533:
	s_movk_i32 s4, 0x80
	v_cmp_eq_u16_sdwa s[12:13], v5, s4 src0_sel:BYTE_0 src1_sel:DWORD
	s_mov_b64 s[4:5], -1
                                        ; implicit-def: $sgpr10
	s_and_saveexec_b64 s[8:9], s[12:13]
; %bb.2534:
	s_mov_b32 s10, 0x7f800001
	s_xor_b64 s[4:5], exec, -1
; %bb.2535:
	s_or_b64 exec, exec, s[8:9]
	s_and_b64 s[4:5], s[4:5], exec
	s_or_saveexec_b64 s[6:7], s[6:7]
	v_mov_b32_e32 v3, s10
	s_xor_b64 exec, exec, s[6:7]
	s_cbranch_execz .LBB21_486
.LBB21_2536:
	v_mov_b32_e32 v3, 0
	v_cmp_ne_u16_sdwa s[8:9], v5, v3 src0_sel:BYTE_0 src1_sel:DWORD
	s_andn2_b64 s[4:5], s[4:5], exec
	s_and_b64 s[8:9], s[8:9], exec
	s_or_b64 s[4:5], s[4:5], s[8:9]
	s_or_b64 exec, exec, s[6:7]
	s_and_saveexec_b64 s[6:7], s[4:5]
	s_cbranch_execnz .LBB21_487
	s_branch .LBB21_488
.LBB21_2537:
	s_movk_i32 s4, 0x80
	v_cmp_eq_u16_sdwa s[12:13], v3, s4 src0_sel:BYTE_0 src1_sel:DWORD
	s_mov_b64 s[4:5], -1
                                        ; implicit-def: $sgpr10
	s_and_saveexec_b64 s[8:9], s[12:13]
; %bb.2538:
	s_mov_b32 s10, 0x7f800001
	s_xor_b64 s[4:5], exec, -1
; %bb.2539:
	s_or_b64 exec, exec, s[8:9]
	s_and_b64 s[4:5], s[4:5], exec
	s_or_saveexec_b64 s[6:7], s[6:7]
	v_mov_b32_e32 v2, s10
	s_xor_b64 exec, exec, s[6:7]
	s_cbranch_execz .LBB21_490
.LBB21_2540:
	v_mov_b32_e32 v2, 0
	v_cmp_ne_u16_sdwa s[8:9], v3, v2 src0_sel:BYTE_0 src1_sel:DWORD
	s_andn2_b64 s[4:5], s[4:5], exec
	s_and_b64 s[8:9], s[8:9], exec
	s_or_b64 s[4:5], s[4:5], s[8:9]
	s_or_b64 exec, exec, s[6:7]
	s_and_saveexec_b64 s[6:7], s[4:5]
	s_cbranch_execnz .LBB21_491
	s_branch .LBB21_492
.LBB21_2541:
	s_movk_i32 s4, 0x80
	v_cmp_eq_u16_sdwa s[12:13], v3, s4 src0_sel:BYTE_0 src1_sel:DWORD
	s_mov_b64 s[4:5], -1
                                        ; implicit-def: $sgpr10
	s_and_saveexec_b64 s[8:9], s[12:13]
; %bb.2542:
	s_mov_b32 s10, 0x7f800001
	s_xor_b64 s[4:5], exec, -1
; %bb.2543:
	s_or_b64 exec, exec, s[8:9]
	s_and_b64 s[4:5], s[4:5], exec
	s_or_saveexec_b64 s[6:7], s[6:7]
	v_mov_b32_e32 v4, s10
	s_xor_b64 exec, exec, s[6:7]
	s_cbranch_execz .LBB21_494
.LBB21_2544:
	v_mov_b32_e32 v4, 0
	v_cmp_ne_u16_sdwa s[8:9], v3, v4 src0_sel:BYTE_0 src1_sel:DWORD
	s_andn2_b64 s[4:5], s[4:5], exec
	s_and_b64 s[8:9], s[8:9], exec
	s_or_b64 s[4:5], s[4:5], s[8:9]
	s_or_b64 exec, exec, s[6:7]
	s_and_saveexec_b64 s[6:7], s[4:5]
	s_cbranch_execnz .LBB21_495
	s_branch .LBB21_496
.LBB21_2545:
	s_movk_i32 s4, 0x80
	v_cmp_eq_u16_e32 vcc, s4, v3
	s_mov_b64 s[4:5], -1
                                        ; implicit-def: $sgpr10
	s_and_saveexec_b64 s[8:9], vcc
; %bb.2546:
	s_mov_b32 s10, 0x7f800001
	s_xor_b64 s[4:5], exec, -1
; %bb.2547:
	s_or_b64 exec, exec, s[8:9]
	s_and_b64 s[4:5], s[4:5], exec
                                        ; implicit-def: $vgpr3
	s_or_saveexec_b64 s[6:7], s[6:7]
	v_mov_b32_e32 v2, s10
	s_xor_b64 exec, exec, s[6:7]
	s_cbranch_execz .LBB21_498
.LBB21_2548:
	v_cmp_ne_u16_e32 vcc, 0, v3
	s_andn2_b64 s[4:5], s[4:5], exec
	s_and_b64 s[8:9], vcc, exec
	v_mov_b32_e32 v2, 0
	s_or_b64 s[4:5], s[4:5], s[8:9]
	s_or_b64 exec, exec, s[6:7]
	s_and_saveexec_b64 s[6:7], s[4:5]
	s_cbranch_execnz .LBB21_499
	s_branch .LBB21_500
.LBB21_2549:
	s_movk_i32 s4, 0x80
	v_cmp_eq_u16_e32 vcc, s4, v3
	s_mov_b64 s[4:5], -1
                                        ; implicit-def: $sgpr10
	s_and_saveexec_b64 s[8:9], vcc
; %bb.2550:
	s_mov_b32 s10, 0x7f800001
	s_xor_b64 s[4:5], exec, -1
; %bb.2551:
	s_or_b64 exec, exec, s[8:9]
	s_and_b64 s[4:5], s[4:5], exec
                                        ; implicit-def: $vgpr3
	s_or_saveexec_b64 s[6:7], s[6:7]
	v_mov_b32_e32 v4, s10
	s_xor_b64 exec, exec, s[6:7]
	s_cbranch_execz .LBB21_502
.LBB21_2552:
	v_cmp_ne_u16_e32 vcc, 0, v3
	s_andn2_b64 s[4:5], s[4:5], exec
	s_and_b64 s[8:9], vcc, exec
	v_mov_b32_e32 v4, 0
	s_or_b64 s[4:5], s[4:5], s[8:9]
	s_or_b64 exec, exec, s[6:7]
	s_and_saveexec_b64 s[6:7], s[4:5]
	s_cbranch_execnz .LBB21_503
	s_branch .LBB21_504
.LBB21_2553:
	s_movk_i32 s4, 0x80
	v_cmp_eq_u16_sdwa s[12:13], v9, s4 src0_sel:BYTE_3 src1_sel:DWORD
	s_mov_b64 s[4:5], -1
                                        ; implicit-def: $sgpr10
	s_and_saveexec_b64 s[8:9], s[12:13]
; %bb.2554:
	s_mov_b32 s10, 0x7f800001
	s_xor_b64 s[4:5], exec, -1
; %bb.2555:
	s_or_b64 exec, exec, s[8:9]
	s_and_b64 s[4:5], s[4:5], exec
	s_or_saveexec_b64 s[6:7], s[6:7]
	v_mov_b32_e32 v2, s10
	s_xor_b64 exec, exec, s[6:7]
	s_cbranch_execz .LBB21_506
.LBB21_2556:
	v_mov_b32_e32 v2, 0
	v_cmp_ne_u16_sdwa s[8:9], v9, v2 src0_sel:BYTE_3 src1_sel:DWORD
	s_andn2_b64 s[4:5], s[4:5], exec
	s_and_b64 s[8:9], s[8:9], exec
	s_or_b64 s[4:5], s[4:5], s[8:9]
	s_or_b64 exec, exec, s[6:7]
	s_and_saveexec_b64 s[6:7], s[4:5]
	s_cbranch_execnz .LBB21_507
	s_branch .LBB21_508
.LBB21_2557:
	s_movk_i32 s4, 0x80
	v_cmp_eq_u16_sdwa s[12:13], v5, s4 src0_sel:BYTE_3 src1_sel:DWORD
	s_mov_b64 s[4:5], -1
                                        ; implicit-def: $sgpr10
	s_and_saveexec_b64 s[8:9], s[12:13]
; %bb.2558:
	s_mov_b32 s10, 0x7f800001
	s_xor_b64 s[4:5], exec, -1
; %bb.2559:
	s_or_b64 exec, exec, s[8:9]
	s_and_b64 s[4:5], s[4:5], exec
	s_or_saveexec_b64 s[6:7], s[6:7]
	v_mov_b32_e32 v3, s10
	s_xor_b64 exec, exec, s[6:7]
	s_cbranch_execz .LBB21_510
.LBB21_2560:
	v_mov_b32_e32 v3, 0
	v_cmp_ne_u16_sdwa s[8:9], v5, v3 src0_sel:BYTE_3 src1_sel:DWORD
	s_andn2_b64 s[4:5], s[4:5], exec
	s_and_b64 s[8:9], s[8:9], exec
	s_or_b64 s[4:5], s[4:5], s[8:9]
	s_or_b64 exec, exec, s[6:7]
	s_and_saveexec_b64 s[6:7], s[4:5]
	s_cbranch_execnz .LBB21_511
	s_branch .LBB21_512
.LBB21_2561:
	s_movk_i32 s4, 0x80
	v_cmp_eq_u16_sdwa s[12:13], v14, s4 src0_sel:BYTE_0 src1_sel:DWORD
	s_mov_b64 s[4:5], -1
                                        ; implicit-def: $sgpr10
	s_and_saveexec_b64 s[8:9], s[12:13]
; %bb.2562:
	s_mov_b32 s10, 0x7f800001
	s_xor_b64 s[4:5], exec, -1
; %bb.2563:
	s_or_b64 exec, exec, s[8:9]
	s_and_b64 s[4:5], s[4:5], exec
	s_or_saveexec_b64 s[6:7], s[6:7]
	v_mov_b32_e32 v20, s10
	s_xor_b64 exec, exec, s[6:7]
	s_cbranch_execz .LBB21_514
.LBB21_2564:
	v_mov_b32_e32 v20, 0
	v_cmp_ne_u16_sdwa s[8:9], v14, v20 src0_sel:BYTE_0 src1_sel:DWORD
	s_andn2_b64 s[4:5], s[4:5], exec
	s_and_b64 s[8:9], s[8:9], exec
	s_or_b64 s[4:5], s[4:5], s[8:9]
	s_or_b64 exec, exec, s[6:7]
	s_and_saveexec_b64 s[6:7], s[4:5]
	s_cbranch_execnz .LBB21_515
	s_branch .LBB21_516
.LBB21_2565:
	s_movk_i32 s4, 0x80
	v_cmp_eq_u16_sdwa s[12:13], v10, s4 src0_sel:BYTE_0 src1_sel:DWORD
	s_mov_b64 s[4:5], -1
                                        ; implicit-def: $sgpr10
	s_and_saveexec_b64 s[8:9], s[12:13]
; %bb.2566:
	s_mov_b32 s10, 0x7f800001
	s_xor_b64 s[4:5], exec, -1
; %bb.2567:
	s_or_b64 exec, exec, s[8:9]
	s_and_b64 s[4:5], s[4:5], exec
	s_or_saveexec_b64 s[6:7], s[6:7]
	v_mov_b32_e32 v21, s10
	s_xor_b64 exec, exec, s[6:7]
	s_cbranch_execz .LBB21_518
.LBB21_2568:
	v_mov_b32_e32 v21, 0
	v_cmp_ne_u16_sdwa s[8:9], v10, v21 src0_sel:BYTE_0 src1_sel:DWORD
	s_andn2_b64 s[4:5], s[4:5], exec
	s_and_b64 s[8:9], s[8:9], exec
	s_or_b64 s[4:5], s[4:5], s[8:9]
	s_or_b64 exec, exec, s[6:7]
	s_and_saveexec_b64 s[6:7], s[4:5]
	s_cbranch_execnz .LBB21_519
	s_branch .LBB21_520
.LBB21_2569:
	s_movk_i32 s4, 0x80
	v_cmp_eq_u16_sdwa s[12:13], v21, s4 src0_sel:BYTE_0 src1_sel:DWORD
	s_mov_b64 s[4:5], -1
                                        ; implicit-def: $sgpr10
	s_and_saveexec_b64 s[8:9], s[12:13]
; %bb.2570:
	s_mov_b32 s10, 0x7f800001
	s_xor_b64 s[4:5], exec, -1
; %bb.2571:
	s_or_b64 exec, exec, s[8:9]
	s_and_b64 s[4:5], s[4:5], exec
	s_or_saveexec_b64 s[6:7], s[6:7]
	v_mov_b32_e32 v20, s10
	s_xor_b64 exec, exec, s[6:7]
	s_cbranch_execz .LBB21_522
.LBB21_2572:
	v_mov_b32_e32 v20, 0
	v_cmp_ne_u16_sdwa s[8:9], v21, v20 src0_sel:BYTE_0 src1_sel:DWORD
	s_andn2_b64 s[4:5], s[4:5], exec
	s_and_b64 s[8:9], s[8:9], exec
	s_or_b64 s[4:5], s[4:5], s[8:9]
	s_or_b64 exec, exec, s[6:7]
	s_and_saveexec_b64 s[6:7], s[4:5]
	s_cbranch_execnz .LBB21_523
	s_branch .LBB21_524
.LBB21_2573:
	s_movk_i32 s4, 0x80
	v_cmp_eq_u16_sdwa s[12:13], v21, s4 src0_sel:BYTE_0 src1_sel:DWORD
	s_mov_b64 s[4:5], -1
                                        ; implicit-def: $sgpr10
	s_and_saveexec_b64 s[8:9], s[12:13]
; %bb.2574:
	s_mov_b32 s10, 0x7f800001
	s_xor_b64 s[4:5], exec, -1
; %bb.2575:
	s_or_b64 exec, exec, s[8:9]
	s_and_b64 s[4:5], s[4:5], exec
	s_or_saveexec_b64 s[6:7], s[6:7]
	v_mov_b32_e32 v22, s10
	s_xor_b64 exec, exec, s[6:7]
	s_cbranch_execz .LBB21_526
.LBB21_2576:
	v_mov_b32_e32 v22, 0
	v_cmp_ne_u16_sdwa s[8:9], v21, v22 src0_sel:BYTE_0 src1_sel:DWORD
	s_andn2_b64 s[4:5], s[4:5], exec
	s_and_b64 s[8:9], s[8:9], exec
	s_or_b64 s[4:5], s[4:5], s[8:9]
	s_or_b64 exec, exec, s[6:7]
	s_and_saveexec_b64 s[6:7], s[4:5]
	s_cbranch_execnz .LBB21_527
	s_branch .LBB21_528
.LBB21_2577:
	s_movk_i32 s4, 0x80
	v_cmp_eq_u16_e32 vcc, s4, v21
	s_mov_b64 s[4:5], -1
                                        ; implicit-def: $sgpr10
	s_and_saveexec_b64 s[8:9], vcc
; %bb.2578:
	s_mov_b32 s10, 0x7f800001
	s_xor_b64 s[4:5], exec, -1
; %bb.2579:
	s_or_b64 exec, exec, s[8:9]
	s_and_b64 s[4:5], s[4:5], exec
                                        ; implicit-def: $vgpr21
	s_or_saveexec_b64 s[6:7], s[6:7]
	v_mov_b32_e32 v20, s10
	s_xor_b64 exec, exec, s[6:7]
	s_cbranch_execz .LBB21_530
.LBB21_2580:
	v_cmp_ne_u16_e32 vcc, 0, v21
	s_andn2_b64 s[4:5], s[4:5], exec
	s_and_b64 s[8:9], vcc, exec
	v_mov_b32_e32 v20, 0
	s_or_b64 s[4:5], s[4:5], s[8:9]
	s_or_b64 exec, exec, s[6:7]
	s_and_saveexec_b64 s[6:7], s[4:5]
	s_cbranch_execnz .LBB21_531
	s_branch .LBB21_532
.LBB21_2581:
	s_movk_i32 s4, 0x80
	v_cmp_eq_u16_e32 vcc, s4, v21
	s_mov_b64 s[4:5], -1
                                        ; implicit-def: $sgpr10
	s_and_saveexec_b64 s[8:9], vcc
; %bb.2582:
	s_mov_b32 s10, 0x7f800001
	s_xor_b64 s[4:5], exec, -1
; %bb.2583:
	s_or_b64 exec, exec, s[8:9]
	s_and_b64 s[4:5], s[4:5], exec
                                        ; implicit-def: $vgpr21
	s_or_saveexec_b64 s[6:7], s[6:7]
	v_mov_b32_e32 v22, s10
	s_xor_b64 exec, exec, s[6:7]
	s_cbranch_execz .LBB21_534
.LBB21_2584:
	v_cmp_ne_u16_e32 vcc, 0, v21
	s_andn2_b64 s[4:5], s[4:5], exec
	s_and_b64 s[8:9], vcc, exec
	v_mov_b32_e32 v22, 0
	s_or_b64 s[4:5], s[4:5], s[8:9]
	s_or_b64 exec, exec, s[6:7]
	s_and_saveexec_b64 s[6:7], s[4:5]
	s_cbranch_execnz .LBB21_535
	s_branch .LBB21_536
.LBB21_2585:
	s_movk_i32 s4, 0x80
	v_cmp_eq_u16_sdwa s[12:13], v14, s4 src0_sel:BYTE_3 src1_sel:DWORD
	s_mov_b64 s[4:5], -1
                                        ; implicit-def: $sgpr10
	s_and_saveexec_b64 s[8:9], s[12:13]
; %bb.2586:
	s_mov_b32 s10, 0x7f800001
	s_xor_b64 s[4:5], exec, -1
; %bb.2587:
	s_or_b64 exec, exec, s[8:9]
	s_and_b64 s[4:5], s[4:5], exec
	s_or_saveexec_b64 s[6:7], s[6:7]
	v_mov_b32_e32 v20, s10
	s_xor_b64 exec, exec, s[6:7]
	s_cbranch_execz .LBB21_538
.LBB21_2588:
	v_mov_b32_e32 v20, 0
	v_cmp_ne_u16_sdwa s[8:9], v14, v20 src0_sel:BYTE_3 src1_sel:DWORD
	s_andn2_b64 s[4:5], s[4:5], exec
	s_and_b64 s[8:9], s[8:9], exec
	s_or_b64 s[4:5], s[4:5], s[8:9]
	s_or_b64 exec, exec, s[6:7]
	s_and_saveexec_b64 s[6:7], s[4:5]
	s_cbranch_execnz .LBB21_539
	s_branch .LBB21_540
.LBB21_2589:
	s_movk_i32 s4, 0x80
	v_cmp_eq_u16_sdwa s[12:13], v10, s4 src0_sel:BYTE_3 src1_sel:DWORD
	s_mov_b64 s[4:5], -1
                                        ; implicit-def: $sgpr10
	s_and_saveexec_b64 s[8:9], s[12:13]
; %bb.2590:
	s_mov_b32 s10, 0x7f800001
	s_xor_b64 s[4:5], exec, -1
; %bb.2591:
	s_or_b64 exec, exec, s[8:9]
	s_and_b64 s[4:5], s[4:5], exec
	s_or_saveexec_b64 s[6:7], s[6:7]
	v_mov_b32_e32 v14, s10
	s_xor_b64 exec, exec, s[6:7]
	s_cbranch_execz .LBB21_542
.LBB21_2592:
	v_mov_b32_e32 v14, 0
	v_cmp_ne_u16_sdwa s[8:9], v10, v14 src0_sel:BYTE_3 src1_sel:DWORD
	s_andn2_b64 s[4:5], s[4:5], exec
	s_and_b64 s[8:9], s[8:9], exec
	s_or_b64 s[4:5], s[4:5], s[8:9]
	s_or_b64 exec, exec, s[6:7]
	s_and_saveexec_b64 s[6:7], s[4:5]
	s_cbranch_execnz .LBB21_543
	s_branch .LBB21_544
.LBB21_2593:
	s_movk_i32 s4, 0x80
	v_cmp_eq_u16_sdwa s[12:13], v15, s4 src0_sel:BYTE_0 src1_sel:DWORD
	s_mov_b64 s[4:5], -1
                                        ; implicit-def: $sgpr10
	s_and_saveexec_b64 s[8:9], s[12:13]
; %bb.2594:
	s_mov_b32 s10, 0x7f800001
	s_xor_b64 s[4:5], exec, -1
; %bb.2595:
	s_or_b64 exec, exec, s[8:9]
	s_and_b64 s[4:5], s[4:5], exec
	s_or_saveexec_b64 s[6:7], s[6:7]
	v_mov_b32_e32 v10, s10
	s_xor_b64 exec, exec, s[6:7]
	s_cbranch_execz .LBB21_546
.LBB21_2596:
	v_mov_b32_e32 v10, 0
	v_cmp_ne_u16_sdwa s[8:9], v15, v10 src0_sel:BYTE_0 src1_sel:DWORD
	s_andn2_b64 s[4:5], s[4:5], exec
	s_and_b64 s[8:9], s[8:9], exec
	s_or_b64 s[4:5], s[4:5], s[8:9]
	s_or_b64 exec, exec, s[6:7]
	s_and_saveexec_b64 s[6:7], s[4:5]
	s_cbranch_execnz .LBB21_547
	s_branch .LBB21_548
.LBB21_2597:
	s_movk_i32 s4, 0x80
	v_cmp_eq_u16_sdwa s[12:13], v11, s4 src0_sel:BYTE_0 src1_sel:DWORD
	s_mov_b64 s[4:5], -1
                                        ; implicit-def: $sgpr10
	s_and_saveexec_b64 s[8:9], s[12:13]
; %bb.2598:
	s_mov_b32 s10, 0x7f800001
	s_xor_b64 s[4:5], exec, -1
; %bb.2599:
	s_or_b64 exec, exec, s[8:9]
	s_and_b64 s[4:5], s[4:5], exec
	s_or_saveexec_b64 s[6:7], s[6:7]
	v_mov_b32_e32 v14, s10
	s_xor_b64 exec, exec, s[6:7]
	s_cbranch_execz .LBB21_550
.LBB21_2600:
	v_mov_b32_e32 v14, 0
	v_cmp_ne_u16_sdwa s[8:9], v11, v14 src0_sel:BYTE_0 src1_sel:DWORD
	s_andn2_b64 s[4:5], s[4:5], exec
	s_and_b64 s[8:9], s[8:9], exec
	s_or_b64 s[4:5], s[4:5], s[8:9]
	s_or_b64 exec, exec, s[6:7]
	s_and_saveexec_b64 s[6:7], s[4:5]
	s_cbranch_execnz .LBB21_551
	s_branch .LBB21_552
.LBB21_2601:
	s_movk_i32 s4, 0x80
	v_cmp_eq_u16_sdwa s[12:13], v14, s4 src0_sel:BYTE_0 src1_sel:DWORD
	s_mov_b64 s[4:5], -1
                                        ; implicit-def: $sgpr10
	s_and_saveexec_b64 s[8:9], s[12:13]
; %bb.2602:
	s_mov_b32 s10, 0x7f800001
	s_xor_b64 s[4:5], exec, -1
; %bb.2603:
	s_or_b64 exec, exec, s[8:9]
	s_and_b64 s[4:5], s[4:5], exec
	s_or_saveexec_b64 s[6:7], s[6:7]
	v_mov_b32_e32 v10, s10
	s_xor_b64 exec, exec, s[6:7]
	s_cbranch_execz .LBB21_554
.LBB21_2604:
	v_mov_b32_e32 v10, 0
	v_cmp_ne_u16_sdwa s[8:9], v14, v10 src0_sel:BYTE_0 src1_sel:DWORD
	s_andn2_b64 s[4:5], s[4:5], exec
	s_and_b64 s[8:9], s[8:9], exec
	s_or_b64 s[4:5], s[4:5], s[8:9]
	s_or_b64 exec, exec, s[6:7]
	s_and_saveexec_b64 s[6:7], s[4:5]
	s_cbranch_execnz .LBB21_555
	s_branch .LBB21_556
.LBB21_2605:
	s_movk_i32 s4, 0x80
	v_cmp_eq_u16_sdwa s[12:13], v14, s4 src0_sel:BYTE_0 src1_sel:DWORD
	s_mov_b64 s[4:5], -1
                                        ; implicit-def: $sgpr10
	s_and_saveexec_b64 s[8:9], s[12:13]
; %bb.2606:
	s_mov_b32 s10, 0x7f800001
	s_xor_b64 s[4:5], exec, -1
; %bb.2607:
	s_or_b64 exec, exec, s[8:9]
	s_and_b64 s[4:5], s[4:5], exec
	s_or_saveexec_b64 s[6:7], s[6:7]
	v_mov_b32_e32 v20, s10
	s_xor_b64 exec, exec, s[6:7]
	s_cbranch_execz .LBB21_558
.LBB21_2608:
	v_mov_b32_e32 v20, 0
	v_cmp_ne_u16_sdwa s[8:9], v14, v20 src0_sel:BYTE_0 src1_sel:DWORD
	s_andn2_b64 s[4:5], s[4:5], exec
	s_and_b64 s[8:9], s[8:9], exec
	s_or_b64 s[4:5], s[4:5], s[8:9]
	s_or_b64 exec, exec, s[6:7]
	s_and_saveexec_b64 s[6:7], s[4:5]
	s_cbranch_execnz .LBB21_559
	s_branch .LBB21_560
.LBB21_2609:
	s_movk_i32 s4, 0x80
	v_cmp_eq_u16_e32 vcc, s4, v14
	s_mov_b64 s[4:5], -1
                                        ; implicit-def: $sgpr10
	s_and_saveexec_b64 s[8:9], vcc
; %bb.2610:
	s_mov_b32 s10, 0x7f800001
	s_xor_b64 s[4:5], exec, -1
; %bb.2611:
	s_or_b64 exec, exec, s[8:9]
	s_and_b64 s[4:5], s[4:5], exec
                                        ; implicit-def: $vgpr14
	s_or_saveexec_b64 s[6:7], s[6:7]
	v_mov_b32_e32 v10, s10
	s_xor_b64 exec, exec, s[6:7]
	s_cbranch_execz .LBB21_562
.LBB21_2612:
	v_cmp_ne_u16_e32 vcc, 0, v14
	s_andn2_b64 s[4:5], s[4:5], exec
	s_and_b64 s[8:9], vcc, exec
	v_mov_b32_e32 v10, 0
	s_or_b64 s[4:5], s[4:5], s[8:9]
	s_or_b64 exec, exec, s[6:7]
	s_and_saveexec_b64 s[6:7], s[4:5]
	s_cbranch_execnz .LBB21_563
	s_branch .LBB21_564
.LBB21_2613:
	s_movk_i32 s4, 0x80
	v_cmp_eq_u16_e32 vcc, s4, v14
	s_mov_b64 s[4:5], -1
                                        ; implicit-def: $sgpr10
	s_and_saveexec_b64 s[8:9], vcc
; %bb.2614:
	s_mov_b32 s10, 0x7f800001
	s_xor_b64 s[4:5], exec, -1
; %bb.2615:
	s_or_b64 exec, exec, s[8:9]
	s_and_b64 s[4:5], s[4:5], exec
                                        ; implicit-def: $vgpr14
	s_or_saveexec_b64 s[6:7], s[6:7]
	v_mov_b32_e32 v20, s10
	s_xor_b64 exec, exec, s[6:7]
	s_cbranch_execz .LBB21_566
.LBB21_2616:
	v_cmp_ne_u16_e32 vcc, 0, v14
	s_andn2_b64 s[4:5], s[4:5], exec
	s_and_b64 s[8:9], vcc, exec
	v_mov_b32_e32 v20, 0
	s_or_b64 s[4:5], s[4:5], s[8:9]
	s_or_b64 exec, exec, s[6:7]
	s_and_saveexec_b64 s[6:7], s[4:5]
	s_cbranch_execnz .LBB21_567
	s_branch .LBB21_568
.LBB21_2617:
	s_movk_i32 s4, 0x80
	v_cmp_eq_u16_sdwa s[12:13], v15, s4 src0_sel:BYTE_3 src1_sel:DWORD
	s_mov_b64 s[4:5], -1
                                        ; implicit-def: $sgpr10
	s_and_saveexec_b64 s[8:9], s[12:13]
; %bb.2618:
	s_mov_b32 s10, 0x7f800001
	s_xor_b64 s[4:5], exec, -1
; %bb.2619:
	s_or_b64 exec, exec, s[8:9]
	s_and_b64 s[4:5], s[4:5], exec
	s_or_saveexec_b64 s[6:7], s[6:7]
	v_mov_b32_e32 v10, s10
	s_xor_b64 exec, exec, s[6:7]
	s_cbranch_execz .LBB21_570
.LBB21_2620:
	v_mov_b32_e32 v10, 0
	v_cmp_ne_u16_sdwa s[8:9], v15, v10 src0_sel:BYTE_3 src1_sel:DWORD
	s_andn2_b64 s[4:5], s[4:5], exec
	s_and_b64 s[8:9], s[8:9], exec
	s_or_b64 s[4:5], s[4:5], s[8:9]
	s_or_b64 exec, exec, s[6:7]
	s_and_saveexec_b64 s[6:7], s[4:5]
	s_cbranch_execnz .LBB21_571
	s_branch .LBB21_572
.LBB21_2621:
	s_movk_i32 s4, 0x80
	v_cmp_eq_u16_sdwa s[12:13], v11, s4 src0_sel:BYTE_3 src1_sel:DWORD
	s_mov_b64 s[4:5], -1
                                        ; implicit-def: $sgpr10
	s_and_saveexec_b64 s[8:9], s[12:13]
; %bb.2622:
	s_mov_b32 s10, 0x7f800001
	s_xor_b64 s[4:5], exec, -1
; %bb.2623:
	s_or_b64 exec, exec, s[8:9]
	s_and_b64 s[4:5], s[4:5], exec
	s_or_saveexec_b64 s[6:7], s[6:7]
	v_mov_b32_e32 v14, s10
	s_xor_b64 exec, exec, s[6:7]
	s_cbranch_execz .LBB21_574
.LBB21_2624:
	v_mov_b32_e32 v14, 0
	v_cmp_ne_u16_sdwa s[8:9], v11, v14 src0_sel:BYTE_3 src1_sel:DWORD
	s_andn2_b64 s[4:5], s[4:5], exec
	s_and_b64 s[8:9], s[8:9], exec
	s_or_b64 s[4:5], s[4:5], s[8:9]
	s_or_b64 exec, exec, s[6:7]
	s_and_saveexec_b64 s[6:7], s[4:5]
	s_cbranch_execnz .LBB21_575
	s_branch .LBB21_576
.LBB21_2625:
	s_movk_i32 s4, 0x80
	v_cmp_eq_u16_sdwa s[12:13], v16, s4 src0_sel:BYTE_0 src1_sel:DWORD
	s_mov_b64 s[4:5], -1
                                        ; implicit-def: $sgpr10
	s_and_saveexec_b64 s[8:9], s[12:13]
; %bb.2626:
	s_mov_b32 s10, 0x7f800001
	s_xor_b64 s[4:5], exec, -1
; %bb.2627:
	s_or_b64 exec, exec, s[8:9]
	s_and_b64 s[4:5], s[4:5], exec
	s_or_saveexec_b64 s[6:7], s[6:7]
	v_mov_b32_e32 v10, s10
	s_xor_b64 exec, exec, s[6:7]
	s_cbranch_execz .LBB21_578
.LBB21_2628:
	v_mov_b32_e32 v10, 0
	v_cmp_ne_u16_sdwa s[8:9], v16, v10 src0_sel:BYTE_0 src1_sel:DWORD
	s_andn2_b64 s[4:5], s[4:5], exec
	s_and_b64 s[8:9], s[8:9], exec
	s_or_b64 s[4:5], s[4:5], s[8:9]
	s_or_b64 exec, exec, s[6:7]
	s_and_saveexec_b64 s[6:7], s[4:5]
	s_cbranch_execnz .LBB21_579
	s_branch .LBB21_580
.LBB21_2629:
	s_movk_i32 s4, 0x80
	v_cmp_eq_u16_sdwa s[12:13], v12, s4 src0_sel:BYTE_0 src1_sel:DWORD
	s_mov_b64 s[4:5], -1
                                        ; implicit-def: $sgpr10
	s_and_saveexec_b64 s[8:9], s[12:13]
; %bb.2630:
	s_mov_b32 s10, 0x7f800001
	s_xor_b64 s[4:5], exec, -1
; %bb.2631:
	s_or_b64 exec, exec, s[8:9]
	s_and_b64 s[4:5], s[4:5], exec
	s_or_saveexec_b64 s[6:7], s[6:7]
	v_mov_b32_e32 v11, s10
	s_xor_b64 exec, exec, s[6:7]
	s_cbranch_execz .LBB21_582
.LBB21_2632:
	v_mov_b32_e32 v11, 0
	v_cmp_ne_u16_sdwa s[8:9], v12, v11 src0_sel:BYTE_0 src1_sel:DWORD
	s_andn2_b64 s[4:5], s[4:5], exec
	s_and_b64 s[8:9], s[8:9], exec
	s_or_b64 s[4:5], s[4:5], s[8:9]
	s_or_b64 exec, exec, s[6:7]
	s_and_saveexec_b64 s[6:7], s[4:5]
	s_cbranch_execnz .LBB21_583
	s_branch .LBB21_584
.LBB21_2633:
	s_movk_i32 s4, 0x80
	v_cmp_eq_u16_sdwa s[12:13], v11, s4 src0_sel:BYTE_0 src1_sel:DWORD
	s_mov_b64 s[4:5], -1
                                        ; implicit-def: $sgpr10
	s_and_saveexec_b64 s[8:9], s[12:13]
; %bb.2634:
	s_mov_b32 s10, 0x7f800001
	s_xor_b64 s[4:5], exec, -1
; %bb.2635:
	s_or_b64 exec, exec, s[8:9]
	s_and_b64 s[4:5], s[4:5], exec
	s_or_saveexec_b64 s[6:7], s[6:7]
	v_mov_b32_e32 v10, s10
	s_xor_b64 exec, exec, s[6:7]
	s_cbranch_execz .LBB21_586
.LBB21_2636:
	v_mov_b32_e32 v10, 0
	v_cmp_ne_u16_sdwa s[8:9], v11, v10 src0_sel:BYTE_0 src1_sel:DWORD
	s_andn2_b64 s[4:5], s[4:5], exec
	s_and_b64 s[8:9], s[8:9], exec
	s_or_b64 s[4:5], s[4:5], s[8:9]
	s_or_b64 exec, exec, s[6:7]
	s_and_saveexec_b64 s[6:7], s[4:5]
	s_cbranch_execnz .LBB21_587
	s_branch .LBB21_588
.LBB21_2637:
	s_movk_i32 s4, 0x80
	v_cmp_eq_u16_sdwa s[12:13], v11, s4 src0_sel:BYTE_0 src1_sel:DWORD
	s_mov_b64 s[4:5], -1
                                        ; implicit-def: $sgpr10
	s_and_saveexec_b64 s[8:9], s[12:13]
; %bb.2638:
	s_mov_b32 s10, 0x7f800001
	s_xor_b64 s[4:5], exec, -1
; %bb.2639:
	s_or_b64 exec, exec, s[8:9]
	s_and_b64 s[4:5], s[4:5], exec
	s_or_saveexec_b64 s[6:7], s[6:7]
	v_mov_b32_e32 v14, s10
	s_xor_b64 exec, exec, s[6:7]
	s_cbranch_execz .LBB21_590
.LBB21_2640:
	v_mov_b32_e32 v14, 0
	v_cmp_ne_u16_sdwa s[8:9], v11, v14 src0_sel:BYTE_0 src1_sel:DWORD
	s_andn2_b64 s[4:5], s[4:5], exec
	s_and_b64 s[8:9], s[8:9], exec
	s_or_b64 s[4:5], s[4:5], s[8:9]
	s_or_b64 exec, exec, s[6:7]
	s_and_saveexec_b64 s[6:7], s[4:5]
	s_cbranch_execnz .LBB21_591
	s_branch .LBB21_592
.LBB21_2641:
	s_movk_i32 s4, 0x80
	v_cmp_eq_u16_e32 vcc, s4, v11
	s_mov_b64 s[4:5], -1
                                        ; implicit-def: $sgpr10
	s_and_saveexec_b64 s[8:9], vcc
; %bb.2642:
	s_mov_b32 s10, 0x7f800001
	s_xor_b64 s[4:5], exec, -1
; %bb.2643:
	s_or_b64 exec, exec, s[8:9]
	s_and_b64 s[4:5], s[4:5], exec
                                        ; implicit-def: $vgpr11
	s_or_saveexec_b64 s[6:7], s[6:7]
	v_mov_b32_e32 v10, s10
	s_xor_b64 exec, exec, s[6:7]
	s_cbranch_execz .LBB21_594
.LBB21_2644:
	v_cmp_ne_u16_e32 vcc, 0, v11
	s_andn2_b64 s[4:5], s[4:5], exec
	s_and_b64 s[8:9], vcc, exec
	v_mov_b32_e32 v10, 0
	s_or_b64 s[4:5], s[4:5], s[8:9]
	s_or_b64 exec, exec, s[6:7]
	s_and_saveexec_b64 s[6:7], s[4:5]
	s_cbranch_execnz .LBB21_595
	s_branch .LBB21_596
.LBB21_2645:
	s_movk_i32 s4, 0x80
	v_cmp_eq_u16_e32 vcc, s4, v11
	s_mov_b64 s[4:5], -1
                                        ; implicit-def: $sgpr10
	s_and_saveexec_b64 s[8:9], vcc
; %bb.2646:
	s_mov_b32 s10, 0x7f800001
	s_xor_b64 s[4:5], exec, -1
; %bb.2647:
	s_or_b64 exec, exec, s[8:9]
	s_and_b64 s[4:5], s[4:5], exec
                                        ; implicit-def: $vgpr11
	s_or_saveexec_b64 s[6:7], s[6:7]
	v_mov_b32_e32 v14, s10
	s_xor_b64 exec, exec, s[6:7]
	s_cbranch_execz .LBB21_598
.LBB21_2648:
	v_cmp_ne_u16_e32 vcc, 0, v11
	s_andn2_b64 s[4:5], s[4:5], exec
	s_and_b64 s[8:9], vcc, exec
	v_mov_b32_e32 v14, 0
	s_or_b64 s[4:5], s[4:5], s[8:9]
	s_or_b64 exec, exec, s[6:7]
	s_and_saveexec_b64 s[6:7], s[4:5]
	s_cbranch_execnz .LBB21_599
	s_branch .LBB21_600
.LBB21_2649:
	s_movk_i32 s4, 0x80
	v_cmp_eq_u16_sdwa s[12:13], v16, s4 src0_sel:BYTE_3 src1_sel:DWORD
	s_mov_b64 s[4:5], -1
                                        ; implicit-def: $sgpr10
	s_and_saveexec_b64 s[8:9], s[12:13]
; %bb.2650:
	s_mov_b32 s10, 0x7f800001
	s_xor_b64 s[4:5], exec, -1
; %bb.2651:
	s_or_b64 exec, exec, s[8:9]
	s_and_b64 s[4:5], s[4:5], exec
	s_or_saveexec_b64 s[6:7], s[6:7]
	v_mov_b32_e32 v10, s10
	s_xor_b64 exec, exec, s[6:7]
	s_cbranch_execz .LBB21_602
.LBB21_2652:
	v_mov_b32_e32 v10, 0
	v_cmp_ne_u16_sdwa s[8:9], v16, v10 src0_sel:BYTE_3 src1_sel:DWORD
	s_andn2_b64 s[4:5], s[4:5], exec
	s_and_b64 s[8:9], s[8:9], exec
	s_or_b64 s[4:5], s[4:5], s[8:9]
	s_or_b64 exec, exec, s[6:7]
	s_and_saveexec_b64 s[6:7], s[4:5]
	s_cbranch_execnz .LBB21_603
	s_branch .LBB21_604
.LBB21_2653:
	s_movk_i32 s4, 0x80
	v_cmp_eq_u16_sdwa s[12:13], v12, s4 src0_sel:BYTE_3 src1_sel:DWORD
	s_mov_b64 s[4:5], -1
                                        ; implicit-def: $sgpr10
	s_and_saveexec_b64 s[8:9], s[12:13]
; %bb.2654:
	s_mov_b32 s10, 0x7f800001
	s_xor_b64 s[4:5], exec, -1
; %bb.2655:
	s_or_b64 exec, exec, s[8:9]
	s_and_b64 s[4:5], s[4:5], exec
	s_or_saveexec_b64 s[6:7], s[6:7]
	v_mov_b32_e32 v11, s10
	s_xor_b64 exec, exec, s[6:7]
	s_cbranch_execz .LBB21_606
.LBB21_2656:
	v_mov_b32_e32 v11, 0
	v_cmp_ne_u16_sdwa s[8:9], v12, v11 src0_sel:BYTE_3 src1_sel:DWORD
	s_andn2_b64 s[4:5], s[4:5], exec
	s_and_b64 s[8:9], s[8:9], exec
	s_or_b64 s[4:5], s[4:5], s[8:9]
	s_or_b64 exec, exec, s[6:7]
	s_and_saveexec_b64 s[6:7], s[4:5]
	s_cbranch_execnz .LBB21_607
	s_branch .LBB21_608
.LBB21_2657:
	s_movk_i32 s4, 0x80
	v_cmp_eq_u16_sdwa s[12:13], v17, s4 src0_sel:BYTE_0 src1_sel:DWORD
	s_mov_b64 s[4:5], -1
                                        ; implicit-def: $sgpr10
	s_and_saveexec_b64 s[8:9], s[12:13]
; %bb.2658:
	s_mov_b32 s10, 0x7f800001
	s_xor_b64 s[4:5], exec, -1
; %bb.2659:
	s_or_b64 exec, exec, s[8:9]
	s_and_b64 s[4:5], s[4:5], exec
	s_or_saveexec_b64 s[6:7], s[6:7]
	v_mov_b32_e32 v10, s10
	s_xor_b64 exec, exec, s[6:7]
	s_cbranch_execz .LBB21_610
.LBB21_2660:
	v_mov_b32_e32 v10, 0
	v_cmp_ne_u16_sdwa s[8:9], v17, v10 src0_sel:BYTE_0 src1_sel:DWORD
	s_andn2_b64 s[4:5], s[4:5], exec
	s_and_b64 s[8:9], s[8:9], exec
	s_or_b64 s[4:5], s[4:5], s[8:9]
	s_or_b64 exec, exec, s[6:7]
	s_and_saveexec_b64 s[6:7], s[4:5]
	s_cbranch_execnz .LBB21_611
	s_branch .LBB21_612
.LBB21_2661:
	s_movk_i32 s4, 0x80
	v_cmp_eq_u16_sdwa s[12:13], v13, s4 src0_sel:BYTE_0 src1_sel:DWORD
	s_mov_b64 s[4:5], -1
                                        ; implicit-def: $sgpr10
	s_and_saveexec_b64 s[8:9], s[12:13]
; %bb.2662:
	s_mov_b32 s10, 0x7f800001
	s_xor_b64 s[4:5], exec, -1
; %bb.2663:
	s_or_b64 exec, exec, s[8:9]
	s_and_b64 s[4:5], s[4:5], exec
	s_or_saveexec_b64 s[6:7], s[6:7]
	v_mov_b32_e32 v11, s10
	s_xor_b64 exec, exec, s[6:7]
	s_cbranch_execz .LBB21_614
.LBB21_2664:
	v_mov_b32_e32 v11, 0
	v_cmp_ne_u16_sdwa s[8:9], v13, v11 src0_sel:BYTE_0 src1_sel:DWORD
	s_andn2_b64 s[4:5], s[4:5], exec
	s_and_b64 s[8:9], s[8:9], exec
	s_or_b64 s[4:5], s[4:5], s[8:9]
	s_or_b64 exec, exec, s[6:7]
	s_and_saveexec_b64 s[6:7], s[4:5]
	s_cbranch_execnz .LBB21_615
	s_branch .LBB21_616
.LBB21_2665:
	s_movk_i32 s4, 0x80
	v_cmp_eq_u16_sdwa s[12:13], v11, s4 src0_sel:BYTE_0 src1_sel:DWORD
	s_mov_b64 s[4:5], -1
                                        ; implicit-def: $sgpr10
	s_and_saveexec_b64 s[8:9], s[12:13]
; %bb.2666:
	s_mov_b32 s10, 0x7f800001
	s_xor_b64 s[4:5], exec, -1
; %bb.2667:
	s_or_b64 exec, exec, s[8:9]
	s_and_b64 s[4:5], s[4:5], exec
	s_or_saveexec_b64 s[6:7], s[6:7]
	v_mov_b32_e32 v10, s10
	s_xor_b64 exec, exec, s[6:7]
	s_cbranch_execz .LBB21_618
.LBB21_2668:
	v_mov_b32_e32 v10, 0
	v_cmp_ne_u16_sdwa s[8:9], v11, v10 src0_sel:BYTE_0 src1_sel:DWORD
	s_andn2_b64 s[4:5], s[4:5], exec
	s_and_b64 s[8:9], s[8:9], exec
	s_or_b64 s[4:5], s[4:5], s[8:9]
	s_or_b64 exec, exec, s[6:7]
	s_and_saveexec_b64 s[6:7], s[4:5]
	s_cbranch_execnz .LBB21_619
	s_branch .LBB21_620
.LBB21_2669:
	s_movk_i32 s4, 0x80
	v_cmp_eq_u16_sdwa s[12:13], v11, s4 src0_sel:BYTE_0 src1_sel:DWORD
	s_mov_b64 s[4:5], -1
                                        ; implicit-def: $sgpr10
	s_and_saveexec_b64 s[8:9], s[12:13]
; %bb.2670:
	s_mov_b32 s10, 0x7f800001
	s_xor_b64 s[4:5], exec, -1
; %bb.2671:
	s_or_b64 exec, exec, s[8:9]
	s_and_b64 s[4:5], s[4:5], exec
	s_or_saveexec_b64 s[6:7], s[6:7]
	v_mov_b32_e32 v12, s10
	s_xor_b64 exec, exec, s[6:7]
	s_cbranch_execz .LBB21_622
.LBB21_2672:
	v_mov_b32_e32 v12, 0
	v_cmp_ne_u16_sdwa s[8:9], v11, v12 src0_sel:BYTE_0 src1_sel:DWORD
	s_andn2_b64 s[4:5], s[4:5], exec
	s_and_b64 s[8:9], s[8:9], exec
	s_or_b64 s[4:5], s[4:5], s[8:9]
	s_or_b64 exec, exec, s[6:7]
	s_and_saveexec_b64 s[6:7], s[4:5]
	s_cbranch_execnz .LBB21_623
	s_branch .LBB21_624
.LBB21_2673:
	s_movk_i32 s4, 0x80
	v_cmp_eq_u16_e32 vcc, s4, v11
	s_mov_b64 s[4:5], -1
                                        ; implicit-def: $sgpr10
	s_and_saveexec_b64 s[8:9], vcc
; %bb.2674:
	s_mov_b32 s10, 0x7f800001
	s_xor_b64 s[4:5], exec, -1
; %bb.2675:
	s_or_b64 exec, exec, s[8:9]
	s_and_b64 s[4:5], s[4:5], exec
                                        ; implicit-def: $vgpr11
	s_or_saveexec_b64 s[6:7], s[6:7]
	v_mov_b32_e32 v10, s10
	s_xor_b64 exec, exec, s[6:7]
	s_cbranch_execz .LBB21_626
.LBB21_2676:
	v_cmp_ne_u16_e32 vcc, 0, v11
	s_andn2_b64 s[4:5], s[4:5], exec
	s_and_b64 s[8:9], vcc, exec
	v_mov_b32_e32 v10, 0
	s_or_b64 s[4:5], s[4:5], s[8:9]
	s_or_b64 exec, exec, s[6:7]
	s_and_saveexec_b64 s[6:7], s[4:5]
	s_cbranch_execnz .LBB21_627
	s_branch .LBB21_628
.LBB21_2677:
	s_movk_i32 s4, 0x80
	v_cmp_eq_u16_e32 vcc, s4, v11
	s_mov_b64 s[4:5], -1
                                        ; implicit-def: $sgpr10
	s_and_saveexec_b64 s[8:9], vcc
; %bb.2678:
	s_mov_b32 s10, 0x7f800001
	s_xor_b64 s[4:5], exec, -1
; %bb.2679:
	s_or_b64 exec, exec, s[8:9]
	s_and_b64 s[4:5], s[4:5], exec
                                        ; implicit-def: $vgpr11
	s_or_saveexec_b64 s[6:7], s[6:7]
	v_mov_b32_e32 v12, s10
	s_xor_b64 exec, exec, s[6:7]
	s_cbranch_execz .LBB21_630
.LBB21_2680:
	v_cmp_ne_u16_e32 vcc, 0, v11
	s_andn2_b64 s[4:5], s[4:5], exec
	s_and_b64 s[8:9], vcc, exec
	v_mov_b32_e32 v12, 0
	s_or_b64 s[4:5], s[4:5], s[8:9]
	s_or_b64 exec, exec, s[6:7]
	s_and_saveexec_b64 s[6:7], s[4:5]
	s_cbranch_execnz .LBB21_631
	s_branch .LBB21_632
.LBB21_2681:
	s_movk_i32 s4, 0x80
	v_cmp_eq_u16_sdwa s[12:13], v17, s4 src0_sel:BYTE_3 src1_sel:DWORD
	s_mov_b64 s[4:5], -1
                                        ; implicit-def: $sgpr10
	s_and_saveexec_b64 s[8:9], s[12:13]
; %bb.2682:
	s_mov_b32 s10, 0x7f800001
	s_xor_b64 s[4:5], exec, -1
; %bb.2683:
	s_or_b64 exec, exec, s[8:9]
	s_and_b64 s[4:5], s[4:5], exec
	s_or_saveexec_b64 s[6:7], s[6:7]
	v_mov_b32_e32 v10, s10
	s_xor_b64 exec, exec, s[6:7]
	s_cbranch_execz .LBB21_634
.LBB21_2684:
	v_mov_b32_e32 v10, 0
	v_cmp_ne_u16_sdwa s[8:9], v17, v10 src0_sel:BYTE_3 src1_sel:DWORD
	s_andn2_b64 s[4:5], s[4:5], exec
	s_and_b64 s[8:9], s[8:9], exec
	s_or_b64 s[4:5], s[4:5], s[8:9]
	s_or_b64 exec, exec, s[6:7]
	s_and_saveexec_b64 s[6:7], s[4:5]
	s_cbranch_execnz .LBB21_635
	s_branch .LBB21_636
.LBB21_2685:
	s_movk_i32 s4, 0x80
	v_cmp_eq_u16_sdwa s[12:13], v13, s4 src0_sel:BYTE_3 src1_sel:DWORD
	s_mov_b64 s[4:5], -1
                                        ; implicit-def: $sgpr10
	s_and_saveexec_b64 s[8:9], s[12:13]
; %bb.2686:
	s_mov_b32 s10, 0x7f800001
	s_xor_b64 s[4:5], exec, -1
; %bb.2687:
	s_or_b64 exec, exec, s[8:9]
	s_and_b64 s[4:5], s[4:5], exec
	s_or_saveexec_b64 s[6:7], s[6:7]
	v_mov_b32_e32 v11, s10
	s_xor_b64 exec, exec, s[6:7]
	s_cbranch_execz .LBB21_638
.LBB21_2688:
	v_mov_b32_e32 v11, 0
	v_cmp_ne_u16_sdwa s[8:9], v13, v11 src0_sel:BYTE_3 src1_sel:DWORD
	s_andn2_b64 s[4:5], s[4:5], exec
	s_and_b64 s[8:9], s[8:9], exec
	s_or_b64 s[4:5], s[4:5], s[8:9]
	s_or_b64 exec, exec, s[6:7]
	s_and_saveexec_b64 s[6:7], s[4:5]
	s_cbranch_execnz .LBB21_639
	s_branch .LBB21_640
.LBB21_2689:
	s_movk_i32 s4, 0x80
	v_cmp_eq_u16_sdwa s[12:13], v6, s4 src0_sel:BYTE_0 src1_sel:DWORD
	s_mov_b64 s[4:5], -1
                                        ; implicit-def: $sgpr10
	s_and_saveexec_b64 s[8:9], s[12:13]
; %bb.2690:
	s_mov_b32 s10, 0x7f800001
	s_xor_b64 s[4:5], exec, -1
; %bb.2691:
	s_or_b64 exec, exec, s[8:9]
	s_and_b64 s[4:5], s[4:5], exec
	s_or_saveexec_b64 s[6:7], s[6:7]
	v_mov_b32_e32 v10, s10
	s_xor_b64 exec, exec, s[6:7]
	s_cbranch_execz .LBB21_642
.LBB21_2692:
	v_mov_b32_e32 v10, 0
	v_cmp_ne_u16_sdwa s[8:9], v6, v10 src0_sel:BYTE_0 src1_sel:DWORD
	s_andn2_b64 s[4:5], s[4:5], exec
	s_and_b64 s[8:9], s[8:9], exec
	s_or_b64 s[4:5], s[4:5], s[8:9]
	s_or_b64 exec, exec, s[6:7]
	s_and_saveexec_b64 s[6:7], s[4:5]
	s_cbranch_execnz .LBB21_643
	s_branch .LBB21_644
.LBB21_2693:
	s_movk_i32 s4, 0x80
	v_cmp_eq_u16_sdwa s[12:13], v2, s4 src0_sel:BYTE_0 src1_sel:DWORD
	s_mov_b64 s[4:5], -1
                                        ; implicit-def: $sgpr10
	s_and_saveexec_b64 s[8:9], s[12:13]
; %bb.2694:
	s_mov_b32 s10, 0x7f800001
	s_xor_b64 s[4:5], exec, -1
; %bb.2695:
	s_or_b64 exec, exec, s[8:9]
	s_and_b64 s[4:5], s[4:5], exec
	s_or_saveexec_b64 s[6:7], s[6:7]
	v_mov_b32_e32 v11, s10
	s_xor_b64 exec, exec, s[6:7]
	s_cbranch_execz .LBB21_646
.LBB21_2696:
	v_mov_b32_e32 v11, 0
	v_cmp_ne_u16_sdwa s[8:9], v2, v11 src0_sel:BYTE_0 src1_sel:DWORD
	s_andn2_b64 s[4:5], s[4:5], exec
	s_and_b64 s[8:9], s[8:9], exec
	s_or_b64 s[4:5], s[4:5], s[8:9]
	s_or_b64 exec, exec, s[6:7]
	s_and_saveexec_b64 s[6:7], s[4:5]
	s_cbranch_execnz .LBB21_647
	s_branch .LBB21_648
.LBB21_2697:
	s_movk_i32 s4, 0x80
	v_cmp_eq_u16_sdwa s[12:13], v11, s4 src0_sel:BYTE_0 src1_sel:DWORD
	s_mov_b64 s[4:5], -1
                                        ; implicit-def: $sgpr10
	s_and_saveexec_b64 s[8:9], s[12:13]
; %bb.2698:
	s_mov_b32 s10, 0x7f800001
	s_xor_b64 s[4:5], exec, -1
; %bb.2699:
	s_or_b64 exec, exec, s[8:9]
	s_and_b64 s[4:5], s[4:5], exec
	s_or_saveexec_b64 s[6:7], s[6:7]
	v_mov_b32_e32 v10, s10
	s_xor_b64 exec, exec, s[6:7]
	s_cbranch_execz .LBB21_650
.LBB21_2700:
	v_mov_b32_e32 v10, 0
	v_cmp_ne_u16_sdwa s[8:9], v11, v10 src0_sel:BYTE_0 src1_sel:DWORD
	s_andn2_b64 s[4:5], s[4:5], exec
	s_and_b64 s[8:9], s[8:9], exec
	s_or_b64 s[4:5], s[4:5], s[8:9]
	s_or_b64 exec, exec, s[6:7]
	s_and_saveexec_b64 s[6:7], s[4:5]
	s_cbranch_execnz .LBB21_651
	s_branch .LBB21_652
.LBB21_2701:
	s_movk_i32 s4, 0x80
	v_cmp_eq_u16_sdwa s[12:13], v11, s4 src0_sel:BYTE_0 src1_sel:DWORD
	s_mov_b64 s[4:5], -1
                                        ; implicit-def: $sgpr10
	s_and_saveexec_b64 s[8:9], s[12:13]
; %bb.2702:
	s_mov_b32 s10, 0x7f800001
	s_xor_b64 s[4:5], exec, -1
; %bb.2703:
	s_or_b64 exec, exec, s[8:9]
	s_and_b64 s[4:5], s[4:5], exec
	s_or_saveexec_b64 s[6:7], s[6:7]
	v_mov_b32_e32 v12, s10
	s_xor_b64 exec, exec, s[6:7]
	s_cbranch_execz .LBB21_654
.LBB21_2704:
	v_mov_b32_e32 v12, 0
	v_cmp_ne_u16_sdwa s[8:9], v11, v12 src0_sel:BYTE_0 src1_sel:DWORD
	s_andn2_b64 s[4:5], s[4:5], exec
	s_and_b64 s[8:9], s[8:9], exec
	s_or_b64 s[4:5], s[4:5], s[8:9]
	s_or_b64 exec, exec, s[6:7]
	s_and_saveexec_b64 s[6:7], s[4:5]
	s_cbranch_execnz .LBB21_655
	s_branch .LBB21_656
.LBB21_2705:
	s_movk_i32 s4, 0x80
	v_cmp_eq_u16_e32 vcc, s4, v11
	s_mov_b64 s[4:5], -1
                                        ; implicit-def: $sgpr10
	s_and_saveexec_b64 s[8:9], vcc
; %bb.2706:
	s_mov_b32 s10, 0x7f800001
	s_xor_b64 s[4:5], exec, -1
; %bb.2707:
	s_or_b64 exec, exec, s[8:9]
	s_and_b64 s[4:5], s[4:5], exec
                                        ; implicit-def: $vgpr11
	s_or_saveexec_b64 s[6:7], s[6:7]
	v_mov_b32_e32 v10, s10
	s_xor_b64 exec, exec, s[6:7]
	s_cbranch_execz .LBB21_658
.LBB21_2708:
	v_cmp_ne_u16_e32 vcc, 0, v11
	s_andn2_b64 s[4:5], s[4:5], exec
	s_and_b64 s[8:9], vcc, exec
	v_mov_b32_e32 v10, 0
	s_or_b64 s[4:5], s[4:5], s[8:9]
	s_or_b64 exec, exec, s[6:7]
	s_and_saveexec_b64 s[6:7], s[4:5]
	s_cbranch_execnz .LBB21_659
	s_branch .LBB21_660
.LBB21_2709:
	s_movk_i32 s4, 0x80
	v_cmp_eq_u16_e32 vcc, s4, v11
	s_mov_b64 s[4:5], -1
                                        ; implicit-def: $sgpr10
	s_and_saveexec_b64 s[8:9], vcc
; %bb.2710:
	s_mov_b32 s10, 0x7f800001
	s_xor_b64 s[4:5], exec, -1
; %bb.2711:
	s_or_b64 exec, exec, s[8:9]
	s_and_b64 s[4:5], s[4:5], exec
                                        ; implicit-def: $vgpr11
	s_or_saveexec_b64 s[6:7], s[6:7]
	v_mov_b32_e32 v12, s10
	s_xor_b64 exec, exec, s[6:7]
	s_cbranch_execz .LBB21_662
.LBB21_2712:
	v_cmp_ne_u16_e32 vcc, 0, v11
	s_andn2_b64 s[4:5], s[4:5], exec
	s_and_b64 s[8:9], vcc, exec
	v_mov_b32_e32 v12, 0
	s_or_b64 s[4:5], s[4:5], s[8:9]
	s_or_b64 exec, exec, s[6:7]
	s_and_saveexec_b64 s[6:7], s[4:5]
	s_cbranch_execnz .LBB21_663
	s_branch .LBB21_664
.LBB21_2713:
	s_movk_i32 s4, 0x80
	v_cmp_eq_u16_sdwa s[12:13], v6, s4 src0_sel:BYTE_3 src1_sel:DWORD
	s_mov_b64 s[4:5], -1
                                        ; implicit-def: $sgpr10
	s_and_saveexec_b64 s[8:9], s[12:13]
; %bb.2714:
	s_mov_b32 s10, 0x7f800001
	s_xor_b64 s[4:5], exec, -1
; %bb.2715:
	s_or_b64 exec, exec, s[8:9]
	s_and_b64 s[4:5], s[4:5], exec
	s_or_saveexec_b64 s[6:7], s[6:7]
	v_mov_b32_e32 v10, s10
	s_xor_b64 exec, exec, s[6:7]
	s_cbranch_execz .LBB21_666
.LBB21_2716:
	v_mov_b32_e32 v10, 0
	v_cmp_ne_u16_sdwa s[8:9], v6, v10 src0_sel:BYTE_3 src1_sel:DWORD
	s_andn2_b64 s[4:5], s[4:5], exec
	s_and_b64 s[8:9], s[8:9], exec
	s_or_b64 s[4:5], s[4:5], s[8:9]
	s_or_b64 exec, exec, s[6:7]
	s_and_saveexec_b64 s[6:7], s[4:5]
	s_cbranch_execnz .LBB21_667
	s_branch .LBB21_668
.LBB21_2717:
	s_movk_i32 s4, 0x80
	v_cmp_eq_u16_sdwa s[12:13], v2, s4 src0_sel:BYTE_3 src1_sel:DWORD
	s_mov_b64 s[4:5], -1
                                        ; implicit-def: $sgpr10
	s_and_saveexec_b64 s[8:9], s[12:13]
; %bb.2718:
	s_mov_b32 s10, 0x7f800001
	s_xor_b64 s[4:5], exec, -1
; %bb.2719:
	s_or_b64 exec, exec, s[8:9]
	s_and_b64 s[4:5], s[4:5], exec
	s_or_saveexec_b64 s[6:7], s[6:7]
	v_mov_b32_e32 v6, s10
	s_xor_b64 exec, exec, s[6:7]
	s_cbranch_execz .LBB21_670
.LBB21_2720:
	v_mov_b32_e32 v6, 0
	v_cmp_ne_u16_sdwa s[8:9], v2, v6 src0_sel:BYTE_3 src1_sel:DWORD
	s_andn2_b64 s[4:5], s[4:5], exec
	s_and_b64 s[8:9], s[8:9], exec
	s_or_b64 s[4:5], s[4:5], s[8:9]
	s_or_b64 exec, exec, s[6:7]
	s_and_saveexec_b64 s[6:7], s[4:5]
	s_cbranch_execnz .LBB21_671
	s_branch .LBB21_672
.LBB21_2721:
	s_movk_i32 s4, 0x80
	v_cmp_eq_u16_sdwa s[12:13], v7, s4 src0_sel:BYTE_0 src1_sel:DWORD
	s_mov_b64 s[4:5], -1
                                        ; implicit-def: $sgpr10
	s_and_saveexec_b64 s[8:9], s[12:13]
; %bb.2722:
	s_mov_b32 s10, 0x7f800001
	s_xor_b64 s[4:5], exec, -1
; %bb.2723:
	s_or_b64 exec, exec, s[8:9]
	s_and_b64 s[4:5], s[4:5], exec
	s_or_saveexec_b64 s[6:7], s[6:7]
	v_mov_b32_e32 v2, s10
	s_xor_b64 exec, exec, s[6:7]
	s_cbranch_execz .LBB21_674
.LBB21_2724:
	v_mov_b32_e32 v2, 0
	v_cmp_ne_u16_sdwa s[8:9], v7, v2 src0_sel:BYTE_0 src1_sel:DWORD
	s_andn2_b64 s[4:5], s[4:5], exec
	s_and_b64 s[8:9], s[8:9], exec
	s_or_b64 s[4:5], s[4:5], s[8:9]
	s_or_b64 exec, exec, s[6:7]
	s_and_saveexec_b64 s[6:7], s[4:5]
	s_cbranch_execnz .LBB21_675
	s_branch .LBB21_676
.LBB21_2725:
	s_movk_i32 s4, 0x80
	v_cmp_eq_u16_sdwa s[12:13], v3, s4 src0_sel:BYTE_0 src1_sel:DWORD
	s_mov_b64 s[4:5], -1
                                        ; implicit-def: $sgpr10
	s_and_saveexec_b64 s[8:9], s[12:13]
; %bb.2726:
	s_mov_b32 s10, 0x7f800001
	s_xor_b64 s[4:5], exec, -1
; %bb.2727:
	s_or_b64 exec, exec, s[8:9]
	s_and_b64 s[4:5], s[4:5], exec
	s_or_saveexec_b64 s[6:7], s[6:7]
	v_mov_b32_e32 v6, s10
	s_xor_b64 exec, exec, s[6:7]
	s_cbranch_execz .LBB21_678
.LBB21_2728:
	v_mov_b32_e32 v6, 0
	v_cmp_ne_u16_sdwa s[8:9], v3, v6 src0_sel:BYTE_0 src1_sel:DWORD
	s_andn2_b64 s[4:5], s[4:5], exec
	s_and_b64 s[8:9], s[8:9], exec
	s_or_b64 s[4:5], s[4:5], s[8:9]
	s_or_b64 exec, exec, s[6:7]
	s_and_saveexec_b64 s[6:7], s[4:5]
	s_cbranch_execnz .LBB21_679
	s_branch .LBB21_680
.LBB21_2729:
	s_movk_i32 s4, 0x80
	v_cmp_eq_u16_sdwa s[12:13], v6, s4 src0_sel:BYTE_0 src1_sel:DWORD
	s_mov_b64 s[4:5], -1
                                        ; implicit-def: $sgpr10
	s_and_saveexec_b64 s[8:9], s[12:13]
; %bb.2730:
	s_mov_b32 s10, 0x7f800001
	s_xor_b64 s[4:5], exec, -1
; %bb.2731:
	s_or_b64 exec, exec, s[8:9]
	s_and_b64 s[4:5], s[4:5], exec
	s_or_saveexec_b64 s[6:7], s[6:7]
	v_mov_b32_e32 v2, s10
	s_xor_b64 exec, exec, s[6:7]
	s_cbranch_execz .LBB21_682
.LBB21_2732:
	v_mov_b32_e32 v2, 0
	v_cmp_ne_u16_sdwa s[8:9], v6, v2 src0_sel:BYTE_0 src1_sel:DWORD
	s_andn2_b64 s[4:5], s[4:5], exec
	s_and_b64 s[8:9], s[8:9], exec
	s_or_b64 s[4:5], s[4:5], s[8:9]
	s_or_b64 exec, exec, s[6:7]
	s_and_saveexec_b64 s[6:7], s[4:5]
	s_cbranch_execnz .LBB21_683
	s_branch .LBB21_684
.LBB21_2733:
	s_movk_i32 s4, 0x80
	v_cmp_eq_u16_sdwa s[12:13], v6, s4 src0_sel:BYTE_0 src1_sel:DWORD
	s_mov_b64 s[4:5], -1
                                        ; implicit-def: $sgpr10
	s_and_saveexec_b64 s[8:9], s[12:13]
; %bb.2734:
	s_mov_b32 s10, 0x7f800001
	s_xor_b64 s[4:5], exec, -1
; %bb.2735:
	s_or_b64 exec, exec, s[8:9]
	s_and_b64 s[4:5], s[4:5], exec
	s_or_saveexec_b64 s[6:7], s[6:7]
	v_mov_b32_e32 v10, s10
	s_xor_b64 exec, exec, s[6:7]
	s_cbranch_execz .LBB21_686
.LBB21_2736:
	v_mov_b32_e32 v10, 0
	v_cmp_ne_u16_sdwa s[8:9], v6, v10 src0_sel:BYTE_0 src1_sel:DWORD
	s_andn2_b64 s[4:5], s[4:5], exec
	s_and_b64 s[8:9], s[8:9], exec
	s_or_b64 s[4:5], s[4:5], s[8:9]
	s_or_b64 exec, exec, s[6:7]
	s_and_saveexec_b64 s[6:7], s[4:5]
	s_cbranch_execnz .LBB21_687
	s_branch .LBB21_688
.LBB21_2737:
	s_movk_i32 s4, 0x80
	v_cmp_eq_u16_e32 vcc, s4, v6
	s_mov_b64 s[4:5], -1
                                        ; implicit-def: $sgpr10
	s_and_saveexec_b64 s[8:9], vcc
; %bb.2738:
	s_mov_b32 s10, 0x7f800001
	s_xor_b64 s[4:5], exec, -1
; %bb.2739:
	s_or_b64 exec, exec, s[8:9]
	s_and_b64 s[4:5], s[4:5], exec
                                        ; implicit-def: $vgpr6
	s_or_saveexec_b64 s[6:7], s[6:7]
	v_mov_b32_e32 v2, s10
	s_xor_b64 exec, exec, s[6:7]
	s_cbranch_execz .LBB21_690
.LBB21_2740:
	v_cmp_ne_u16_e32 vcc, 0, v6
	s_andn2_b64 s[4:5], s[4:5], exec
	s_and_b64 s[8:9], vcc, exec
	v_mov_b32_e32 v2, 0
	s_or_b64 s[4:5], s[4:5], s[8:9]
	s_or_b64 exec, exec, s[6:7]
	s_and_saveexec_b64 s[6:7], s[4:5]
	s_cbranch_execnz .LBB21_691
	s_branch .LBB21_692
.LBB21_2741:
	s_movk_i32 s4, 0x80
	v_cmp_eq_u16_e32 vcc, s4, v6
	s_mov_b64 s[4:5], -1
                                        ; implicit-def: $sgpr10
	s_and_saveexec_b64 s[8:9], vcc
; %bb.2742:
	s_mov_b32 s10, 0x7f800001
	s_xor_b64 s[4:5], exec, -1
; %bb.2743:
	s_or_b64 exec, exec, s[8:9]
	s_and_b64 s[4:5], s[4:5], exec
                                        ; implicit-def: $vgpr6
	s_or_saveexec_b64 s[6:7], s[6:7]
	v_mov_b32_e32 v10, s10
	s_xor_b64 exec, exec, s[6:7]
	s_cbranch_execz .LBB21_694
.LBB21_2744:
	v_cmp_ne_u16_e32 vcc, 0, v6
	s_andn2_b64 s[4:5], s[4:5], exec
	s_and_b64 s[8:9], vcc, exec
	v_mov_b32_e32 v10, 0
	s_or_b64 s[4:5], s[4:5], s[8:9]
	s_or_b64 exec, exec, s[6:7]
	s_and_saveexec_b64 s[6:7], s[4:5]
	s_cbranch_execnz .LBB21_695
	s_branch .LBB21_696
.LBB21_2745:
	s_movk_i32 s4, 0x80
	v_cmp_eq_u16_sdwa s[12:13], v7, s4 src0_sel:BYTE_3 src1_sel:DWORD
	s_mov_b64 s[4:5], -1
                                        ; implicit-def: $sgpr10
	s_and_saveexec_b64 s[8:9], s[12:13]
; %bb.2746:
	s_mov_b32 s10, 0x7f800001
	s_xor_b64 s[4:5], exec, -1
; %bb.2747:
	s_or_b64 exec, exec, s[8:9]
	s_and_b64 s[4:5], s[4:5], exec
	s_or_saveexec_b64 s[6:7], s[6:7]
	v_mov_b32_e32 v2, s10
	s_xor_b64 exec, exec, s[6:7]
	s_cbranch_execz .LBB21_698
.LBB21_2748:
	v_mov_b32_e32 v2, 0
	v_cmp_ne_u16_sdwa s[8:9], v7, v2 src0_sel:BYTE_3 src1_sel:DWORD
	s_andn2_b64 s[4:5], s[4:5], exec
	s_and_b64 s[8:9], s[8:9], exec
	s_or_b64 s[4:5], s[4:5], s[8:9]
	s_or_b64 exec, exec, s[6:7]
	s_and_saveexec_b64 s[6:7], s[4:5]
	s_cbranch_execnz .LBB21_699
	s_branch .LBB21_700
.LBB21_2749:
	s_movk_i32 s4, 0x80
	v_cmp_eq_u16_sdwa s[12:13], v3, s4 src0_sel:BYTE_3 src1_sel:DWORD
	s_mov_b64 s[4:5], -1
                                        ; implicit-def: $sgpr10
	s_and_saveexec_b64 s[8:9], s[12:13]
; %bb.2750:
	s_mov_b32 s10, 0x7f800001
	s_xor_b64 s[4:5], exec, -1
; %bb.2751:
	s_or_b64 exec, exec, s[8:9]
	s_and_b64 s[4:5], s[4:5], exec
	s_or_saveexec_b64 s[6:7], s[6:7]
	v_mov_b32_e32 v6, s10
	s_xor_b64 exec, exec, s[6:7]
	s_cbranch_execz .LBB21_702
.LBB21_2752:
	v_mov_b32_e32 v6, 0
	v_cmp_ne_u16_sdwa s[8:9], v3, v6 src0_sel:BYTE_3 src1_sel:DWORD
	s_andn2_b64 s[4:5], s[4:5], exec
	s_and_b64 s[8:9], s[8:9], exec
	s_or_b64 s[4:5], s[4:5], s[8:9]
	s_or_b64 exec, exec, s[6:7]
	s_and_saveexec_b64 s[6:7], s[4:5]
	s_cbranch_execnz .LBB21_703
	s_branch .LBB21_704
.LBB21_2753:
	s_movk_i32 s4, 0x80
	v_cmp_eq_u16_sdwa s[12:13], v8, s4 src0_sel:BYTE_0 src1_sel:DWORD
	s_mov_b64 s[4:5], -1
                                        ; implicit-def: $sgpr10
	s_and_saveexec_b64 s[8:9], s[12:13]
; %bb.2754:
	s_mov_b32 s10, 0x7f800001
	s_xor_b64 s[4:5], exec, -1
; %bb.2755:
	s_or_b64 exec, exec, s[8:9]
	s_and_b64 s[4:5], s[4:5], exec
	s_or_saveexec_b64 s[6:7], s[6:7]
	v_mov_b32_e32 v2, s10
	s_xor_b64 exec, exec, s[6:7]
	s_cbranch_execz .LBB21_706
.LBB21_2756:
	v_mov_b32_e32 v2, 0
	v_cmp_ne_u16_sdwa s[8:9], v8, v2 src0_sel:BYTE_0 src1_sel:DWORD
	s_andn2_b64 s[4:5], s[4:5], exec
	s_and_b64 s[8:9], s[8:9], exec
	s_or_b64 s[4:5], s[4:5], s[8:9]
	s_or_b64 exec, exec, s[6:7]
	s_and_saveexec_b64 s[6:7], s[4:5]
	s_cbranch_execnz .LBB21_707
	s_branch .LBB21_708
.LBB21_2757:
	s_movk_i32 s4, 0x80
	v_cmp_eq_u16_sdwa s[12:13], v4, s4 src0_sel:BYTE_0 src1_sel:DWORD
	s_mov_b64 s[4:5], -1
                                        ; implicit-def: $sgpr10
	s_and_saveexec_b64 s[8:9], s[12:13]
; %bb.2758:
	s_mov_b32 s10, 0x7f800001
	s_xor_b64 s[4:5], exec, -1
; %bb.2759:
	s_or_b64 exec, exec, s[8:9]
	s_and_b64 s[4:5], s[4:5], exec
	s_or_saveexec_b64 s[6:7], s[6:7]
	v_mov_b32_e32 v3, s10
	s_xor_b64 exec, exec, s[6:7]
	s_cbranch_execz .LBB21_710
.LBB21_2760:
	v_mov_b32_e32 v3, 0
	v_cmp_ne_u16_sdwa s[8:9], v4, v3 src0_sel:BYTE_0 src1_sel:DWORD
	s_andn2_b64 s[4:5], s[4:5], exec
	s_and_b64 s[8:9], s[8:9], exec
	s_or_b64 s[4:5], s[4:5], s[8:9]
	s_or_b64 exec, exec, s[6:7]
	s_and_saveexec_b64 s[6:7], s[4:5]
	s_cbranch_execnz .LBB21_711
	s_branch .LBB21_712
.LBB21_2761:
	s_movk_i32 s4, 0x80
	v_cmp_eq_u16_sdwa s[12:13], v3, s4 src0_sel:BYTE_0 src1_sel:DWORD
	s_mov_b64 s[4:5], -1
                                        ; implicit-def: $sgpr10
	s_and_saveexec_b64 s[8:9], s[12:13]
; %bb.2762:
	s_mov_b32 s10, 0x7f800001
	s_xor_b64 s[4:5], exec, -1
; %bb.2763:
	s_or_b64 exec, exec, s[8:9]
	s_and_b64 s[4:5], s[4:5], exec
	s_or_saveexec_b64 s[6:7], s[6:7]
	v_mov_b32_e32 v2, s10
	s_xor_b64 exec, exec, s[6:7]
	s_cbranch_execz .LBB21_714
.LBB21_2764:
	v_mov_b32_e32 v2, 0
	v_cmp_ne_u16_sdwa s[8:9], v3, v2 src0_sel:BYTE_0 src1_sel:DWORD
	s_andn2_b64 s[4:5], s[4:5], exec
	s_and_b64 s[8:9], s[8:9], exec
	s_or_b64 s[4:5], s[4:5], s[8:9]
	s_or_b64 exec, exec, s[6:7]
	s_and_saveexec_b64 s[6:7], s[4:5]
	s_cbranch_execnz .LBB21_715
	s_branch .LBB21_716
.LBB21_2765:
	s_movk_i32 s4, 0x80
	v_cmp_eq_u16_sdwa s[12:13], v3, s4 src0_sel:BYTE_0 src1_sel:DWORD
	s_mov_b64 s[4:5], -1
                                        ; implicit-def: $sgpr10
	s_and_saveexec_b64 s[8:9], s[12:13]
; %bb.2766:
	s_mov_b32 s10, 0x7f800001
	s_xor_b64 s[4:5], exec, -1
; %bb.2767:
	s_or_b64 exec, exec, s[8:9]
	s_and_b64 s[4:5], s[4:5], exec
	s_or_saveexec_b64 s[6:7], s[6:7]
	v_mov_b32_e32 v6, s10
	s_xor_b64 exec, exec, s[6:7]
	s_cbranch_execz .LBB21_718
.LBB21_2768:
	v_mov_b32_e32 v6, 0
	v_cmp_ne_u16_sdwa s[8:9], v3, v6 src0_sel:BYTE_0 src1_sel:DWORD
	s_andn2_b64 s[4:5], s[4:5], exec
	s_and_b64 s[8:9], s[8:9], exec
	s_or_b64 s[4:5], s[4:5], s[8:9]
	s_or_b64 exec, exec, s[6:7]
	s_and_saveexec_b64 s[6:7], s[4:5]
	s_cbranch_execnz .LBB21_719
	s_branch .LBB21_720
.LBB21_2769:
	s_movk_i32 s4, 0x80
	v_cmp_eq_u16_e32 vcc, s4, v3
	s_mov_b64 s[4:5], -1
                                        ; implicit-def: $sgpr10
	s_and_saveexec_b64 s[8:9], vcc
; %bb.2770:
	s_mov_b32 s10, 0x7f800001
	s_xor_b64 s[4:5], exec, -1
; %bb.2771:
	s_or_b64 exec, exec, s[8:9]
	s_and_b64 s[4:5], s[4:5], exec
                                        ; implicit-def: $vgpr3
	s_or_saveexec_b64 s[6:7], s[6:7]
	v_mov_b32_e32 v2, s10
	s_xor_b64 exec, exec, s[6:7]
	s_cbranch_execz .LBB21_722
.LBB21_2772:
	v_cmp_ne_u16_e32 vcc, 0, v3
	s_andn2_b64 s[4:5], s[4:5], exec
	s_and_b64 s[8:9], vcc, exec
	v_mov_b32_e32 v2, 0
	s_or_b64 s[4:5], s[4:5], s[8:9]
	s_or_b64 exec, exec, s[6:7]
	s_and_saveexec_b64 s[6:7], s[4:5]
	s_cbranch_execnz .LBB21_723
	s_branch .LBB21_724
.LBB21_2773:
	s_movk_i32 s4, 0x80
	v_cmp_eq_u16_e32 vcc, s4, v3
	s_mov_b64 s[4:5], -1
                                        ; implicit-def: $sgpr10
	s_and_saveexec_b64 s[8:9], vcc
; %bb.2774:
	s_mov_b32 s10, 0x7f800001
	s_xor_b64 s[4:5], exec, -1
; %bb.2775:
	s_or_b64 exec, exec, s[8:9]
	s_and_b64 s[4:5], s[4:5], exec
                                        ; implicit-def: $vgpr3
	s_or_saveexec_b64 s[6:7], s[6:7]
	v_mov_b32_e32 v6, s10
	s_xor_b64 exec, exec, s[6:7]
	s_cbranch_execz .LBB21_726
.LBB21_2776:
	v_cmp_ne_u16_e32 vcc, 0, v3
	s_andn2_b64 s[4:5], s[4:5], exec
	s_and_b64 s[8:9], vcc, exec
	v_mov_b32_e32 v6, 0
	s_or_b64 s[4:5], s[4:5], s[8:9]
	s_or_b64 exec, exec, s[6:7]
	s_and_saveexec_b64 s[6:7], s[4:5]
	s_cbranch_execnz .LBB21_727
	s_branch .LBB21_728
.LBB21_2777:
	s_movk_i32 s4, 0x80
	v_cmp_eq_u16_sdwa s[12:13], v8, s4 src0_sel:BYTE_3 src1_sel:DWORD
	s_mov_b64 s[4:5], -1
                                        ; implicit-def: $sgpr10
	s_and_saveexec_b64 s[8:9], s[12:13]
; %bb.2778:
	s_mov_b32 s10, 0x7f800001
	s_xor_b64 s[4:5], exec, -1
; %bb.2779:
	s_or_b64 exec, exec, s[8:9]
	s_and_b64 s[4:5], s[4:5], exec
	s_or_saveexec_b64 s[6:7], s[6:7]
	v_mov_b32_e32 v2, s10
	s_xor_b64 exec, exec, s[6:7]
	s_cbranch_execz .LBB21_730
.LBB21_2780:
	v_mov_b32_e32 v2, 0
	v_cmp_ne_u16_sdwa s[8:9], v8, v2 src0_sel:BYTE_3 src1_sel:DWORD
	s_andn2_b64 s[4:5], s[4:5], exec
	s_and_b64 s[8:9], s[8:9], exec
	s_or_b64 s[4:5], s[4:5], s[8:9]
	s_or_b64 exec, exec, s[6:7]
	s_and_saveexec_b64 s[6:7], s[4:5]
	s_cbranch_execnz .LBB21_731
	s_branch .LBB21_732
.LBB21_2781:
	s_movk_i32 s4, 0x80
	v_cmp_eq_u16_sdwa s[12:13], v4, s4 src0_sel:BYTE_3 src1_sel:DWORD
	s_mov_b64 s[4:5], -1
                                        ; implicit-def: $sgpr10
	s_and_saveexec_b64 s[8:9], s[12:13]
; %bb.2782:
	s_mov_b32 s10, 0x7f800001
	s_xor_b64 s[4:5], exec, -1
; %bb.2783:
	s_or_b64 exec, exec, s[8:9]
	s_and_b64 s[4:5], s[4:5], exec
	s_or_saveexec_b64 s[6:7], s[6:7]
	v_mov_b32_e32 v3, s10
	s_xor_b64 exec, exec, s[6:7]
	s_cbranch_execz .LBB21_734
.LBB21_2784:
	v_mov_b32_e32 v3, 0
	v_cmp_ne_u16_sdwa s[8:9], v4, v3 src0_sel:BYTE_3 src1_sel:DWORD
	s_andn2_b64 s[4:5], s[4:5], exec
	s_and_b64 s[8:9], s[8:9], exec
	s_or_b64 s[4:5], s[4:5], s[8:9]
	s_or_b64 exec, exec, s[6:7]
	s_and_saveexec_b64 s[6:7], s[4:5]
	s_cbranch_execnz .LBB21_735
	s_branch .LBB21_736
.LBB21_2785:
	s_movk_i32 s4, 0x80
	v_cmp_eq_u16_sdwa s[12:13], v9, s4 src0_sel:BYTE_0 src1_sel:DWORD
	s_mov_b64 s[4:5], -1
                                        ; implicit-def: $sgpr10
	s_and_saveexec_b64 s[8:9], s[12:13]
; %bb.2786:
	s_mov_b32 s10, 0x7f800001
	s_xor_b64 s[4:5], exec, -1
; %bb.2787:
	s_or_b64 exec, exec, s[8:9]
	s_and_b64 s[4:5], s[4:5], exec
	s_or_saveexec_b64 s[6:7], s[6:7]
	v_mov_b32_e32 v2, s10
	s_xor_b64 exec, exec, s[6:7]
	s_cbranch_execz .LBB21_738
.LBB21_2788:
	v_mov_b32_e32 v2, 0
	v_cmp_ne_u16_sdwa s[8:9], v9, v2 src0_sel:BYTE_0 src1_sel:DWORD
	s_andn2_b64 s[4:5], s[4:5], exec
	s_and_b64 s[8:9], s[8:9], exec
	s_or_b64 s[4:5], s[4:5], s[8:9]
	s_or_b64 exec, exec, s[6:7]
	s_and_saveexec_b64 s[6:7], s[4:5]
	s_cbranch_execnz .LBB21_739
	s_branch .LBB21_740
.LBB21_2789:
	s_movk_i32 s4, 0x80
	v_cmp_eq_u16_sdwa s[12:13], v5, s4 src0_sel:BYTE_0 src1_sel:DWORD
	s_mov_b64 s[4:5], -1
                                        ; implicit-def: $sgpr10
	s_and_saveexec_b64 s[8:9], s[12:13]
; %bb.2790:
	s_mov_b32 s10, 0x7f800001
	s_xor_b64 s[4:5], exec, -1
; %bb.2791:
	s_or_b64 exec, exec, s[8:9]
	s_and_b64 s[4:5], s[4:5], exec
	s_or_saveexec_b64 s[6:7], s[6:7]
	v_mov_b32_e32 v3, s10
	s_xor_b64 exec, exec, s[6:7]
	s_cbranch_execz .LBB21_742
.LBB21_2792:
	v_mov_b32_e32 v3, 0
	v_cmp_ne_u16_sdwa s[8:9], v5, v3 src0_sel:BYTE_0 src1_sel:DWORD
	s_andn2_b64 s[4:5], s[4:5], exec
	s_and_b64 s[8:9], s[8:9], exec
	s_or_b64 s[4:5], s[4:5], s[8:9]
	s_or_b64 exec, exec, s[6:7]
	s_and_saveexec_b64 s[6:7], s[4:5]
	s_cbranch_execnz .LBB21_743
	s_branch .LBB21_744
.LBB21_2793:
	s_movk_i32 s4, 0x80
	v_cmp_eq_u16_sdwa s[12:13], v3, s4 src0_sel:BYTE_0 src1_sel:DWORD
	s_mov_b64 s[4:5], -1
                                        ; implicit-def: $sgpr10
	s_and_saveexec_b64 s[8:9], s[12:13]
; %bb.2794:
	s_mov_b32 s10, 0x7f800001
	s_xor_b64 s[4:5], exec, -1
; %bb.2795:
	s_or_b64 exec, exec, s[8:9]
	s_and_b64 s[4:5], s[4:5], exec
	s_or_saveexec_b64 s[6:7], s[6:7]
	v_mov_b32_e32 v2, s10
	s_xor_b64 exec, exec, s[6:7]
	s_cbranch_execz .LBB21_746
.LBB21_2796:
	v_mov_b32_e32 v2, 0
	v_cmp_ne_u16_sdwa s[8:9], v3, v2 src0_sel:BYTE_0 src1_sel:DWORD
	s_andn2_b64 s[4:5], s[4:5], exec
	s_and_b64 s[8:9], s[8:9], exec
	s_or_b64 s[4:5], s[4:5], s[8:9]
	s_or_b64 exec, exec, s[6:7]
	s_and_saveexec_b64 s[6:7], s[4:5]
	s_cbranch_execnz .LBB21_747
	s_branch .LBB21_748
.LBB21_2797:
	s_movk_i32 s4, 0x80
	v_cmp_eq_u16_sdwa s[12:13], v3, s4 src0_sel:BYTE_0 src1_sel:DWORD
	s_mov_b64 s[4:5], -1
                                        ; implicit-def: $sgpr10
	s_and_saveexec_b64 s[8:9], s[12:13]
; %bb.2798:
	s_mov_b32 s10, 0x7f800001
	s_xor_b64 s[4:5], exec, -1
; %bb.2799:
	s_or_b64 exec, exec, s[8:9]
	s_and_b64 s[4:5], s[4:5], exec
	s_or_saveexec_b64 s[6:7], s[6:7]
	v_mov_b32_e32 v4, s10
	s_xor_b64 exec, exec, s[6:7]
	s_cbranch_execz .LBB21_750
.LBB21_2800:
	v_mov_b32_e32 v4, 0
	v_cmp_ne_u16_sdwa s[8:9], v3, v4 src0_sel:BYTE_0 src1_sel:DWORD
	s_andn2_b64 s[4:5], s[4:5], exec
	s_and_b64 s[8:9], s[8:9], exec
	s_or_b64 s[4:5], s[4:5], s[8:9]
	s_or_b64 exec, exec, s[6:7]
	s_and_saveexec_b64 s[6:7], s[4:5]
	s_cbranch_execnz .LBB21_751
	s_branch .LBB21_752
.LBB21_2801:
	s_movk_i32 s4, 0x80
	v_cmp_eq_u16_e32 vcc, s4, v3
	s_mov_b64 s[4:5], -1
                                        ; implicit-def: $sgpr10
	s_and_saveexec_b64 s[8:9], vcc
; %bb.2802:
	s_mov_b32 s10, 0x7f800001
	s_xor_b64 s[4:5], exec, -1
; %bb.2803:
	s_or_b64 exec, exec, s[8:9]
	s_and_b64 s[4:5], s[4:5], exec
                                        ; implicit-def: $vgpr3
	s_or_saveexec_b64 s[6:7], s[6:7]
	v_mov_b32_e32 v2, s10
	s_xor_b64 exec, exec, s[6:7]
	s_cbranch_execz .LBB21_754
.LBB21_2804:
	v_cmp_ne_u16_e32 vcc, 0, v3
	s_andn2_b64 s[4:5], s[4:5], exec
	s_and_b64 s[8:9], vcc, exec
	v_mov_b32_e32 v2, 0
	s_or_b64 s[4:5], s[4:5], s[8:9]
	s_or_b64 exec, exec, s[6:7]
	s_and_saveexec_b64 s[6:7], s[4:5]
	s_cbranch_execnz .LBB21_755
	s_branch .LBB21_756
.LBB21_2805:
	s_movk_i32 s4, 0x80
	v_cmp_eq_u16_e32 vcc, s4, v3
	s_mov_b64 s[4:5], -1
                                        ; implicit-def: $sgpr10
	s_and_saveexec_b64 s[8:9], vcc
; %bb.2806:
	s_mov_b32 s10, 0x7f800001
	s_xor_b64 s[4:5], exec, -1
; %bb.2807:
	s_or_b64 exec, exec, s[8:9]
	s_and_b64 s[4:5], s[4:5], exec
                                        ; implicit-def: $vgpr3
	s_or_saveexec_b64 s[6:7], s[6:7]
	v_mov_b32_e32 v4, s10
	s_xor_b64 exec, exec, s[6:7]
	s_cbranch_execz .LBB21_758
.LBB21_2808:
	v_cmp_ne_u16_e32 vcc, 0, v3
	s_andn2_b64 s[4:5], s[4:5], exec
	s_and_b64 s[8:9], vcc, exec
	v_mov_b32_e32 v4, 0
	s_or_b64 s[4:5], s[4:5], s[8:9]
	s_or_b64 exec, exec, s[6:7]
	s_and_saveexec_b64 s[6:7], s[4:5]
	s_cbranch_execnz .LBB21_759
	s_branch .LBB21_760
.LBB21_2809:
	s_movk_i32 s4, 0x80
	v_cmp_eq_u16_sdwa s[12:13], v9, s4 src0_sel:BYTE_3 src1_sel:DWORD
	s_mov_b64 s[4:5], -1
                                        ; implicit-def: $sgpr10
	s_and_saveexec_b64 s[8:9], s[12:13]
; %bb.2810:
	s_mov_b32 s10, 0x7f800001
	s_xor_b64 s[4:5], exec, -1
; %bb.2811:
	s_or_b64 exec, exec, s[8:9]
	s_and_b64 s[4:5], s[4:5], exec
	s_or_saveexec_b64 s[6:7], s[6:7]
	v_mov_b32_e32 v2, s10
	s_xor_b64 exec, exec, s[6:7]
	s_cbranch_execz .LBB21_762
.LBB21_2812:
	v_mov_b32_e32 v2, 0
	v_cmp_ne_u16_sdwa s[8:9], v9, v2 src0_sel:BYTE_3 src1_sel:DWORD
	s_andn2_b64 s[4:5], s[4:5], exec
	s_and_b64 s[8:9], s[8:9], exec
	s_or_b64 s[4:5], s[4:5], s[8:9]
	s_or_b64 exec, exec, s[6:7]
	s_and_saveexec_b64 s[6:7], s[4:5]
	s_cbranch_execnz .LBB21_763
	s_branch .LBB21_764
.LBB21_2813:
	s_movk_i32 s4, 0x80
	v_cmp_eq_u16_sdwa s[12:13], v5, s4 src0_sel:BYTE_3 src1_sel:DWORD
	s_mov_b64 s[4:5], -1
                                        ; implicit-def: $sgpr10
	s_and_saveexec_b64 s[8:9], s[12:13]
; %bb.2814:
	s_mov_b32 s10, 0x7f800001
	s_xor_b64 s[4:5], exec, -1
; %bb.2815:
	s_or_b64 exec, exec, s[8:9]
	s_and_b64 s[4:5], s[4:5], exec
	s_or_saveexec_b64 s[6:7], s[6:7]
	v_mov_b32_e32 v3, s10
	s_xor_b64 exec, exec, s[6:7]
	s_cbranch_execz .LBB21_766
.LBB21_2816:
	v_mov_b32_e32 v3, 0
	v_cmp_ne_u16_sdwa s[8:9], v5, v3 src0_sel:BYTE_3 src1_sel:DWORD
	s_andn2_b64 s[4:5], s[4:5], exec
	s_and_b64 s[8:9], s[8:9], exec
	s_or_b64 s[4:5], s[4:5], s[8:9]
	s_or_b64 exec, exec, s[6:7]
	s_and_saveexec_b64 s[6:7], s[4:5]
	s_cbranch_execnz .LBB21_767
	s_branch .LBB21_768
.LBB21_2817:
	s_movk_i32 s4, 0x80
	v_cmp_eq_u16_sdwa s[12:13], v14, s4 src0_sel:BYTE_0 src1_sel:DWORD
	s_mov_b64 s[4:5], -1
                                        ; implicit-def: $sgpr10
	s_and_saveexec_b64 s[8:9], s[12:13]
; %bb.2818:
	s_mov_b32 s10, 0x7f800001
	s_xor_b64 s[4:5], exec, -1
; %bb.2819:
	s_or_b64 exec, exec, s[8:9]
	s_and_b64 s[4:5], s[4:5], exec
	s_or_saveexec_b64 s[6:7], s[6:7]
	v_mov_b32_e32 v20, s10
	s_xor_b64 exec, exec, s[6:7]
	s_cbranch_execz .LBB21_770
.LBB21_2820:
	v_mov_b32_e32 v20, 0
	v_cmp_ne_u16_sdwa s[8:9], v14, v20 src0_sel:BYTE_0 src1_sel:DWORD
	s_andn2_b64 s[4:5], s[4:5], exec
	s_and_b64 s[8:9], s[8:9], exec
	s_or_b64 s[4:5], s[4:5], s[8:9]
	s_or_b64 exec, exec, s[6:7]
	s_and_saveexec_b64 s[6:7], s[4:5]
	s_cbranch_execnz .LBB21_771
	s_branch .LBB21_772
.LBB21_2821:
	s_movk_i32 s4, 0x80
	v_cmp_eq_u16_sdwa s[12:13], v10, s4 src0_sel:BYTE_0 src1_sel:DWORD
	s_mov_b64 s[4:5], -1
                                        ; implicit-def: $sgpr10
	s_and_saveexec_b64 s[8:9], s[12:13]
; %bb.2822:
	s_mov_b32 s10, 0x7f800001
	s_xor_b64 s[4:5], exec, -1
; %bb.2823:
	s_or_b64 exec, exec, s[8:9]
	s_and_b64 s[4:5], s[4:5], exec
	s_or_saveexec_b64 s[6:7], s[6:7]
	v_mov_b32_e32 v21, s10
	s_xor_b64 exec, exec, s[6:7]
	s_cbranch_execz .LBB21_774
.LBB21_2824:
	v_mov_b32_e32 v21, 0
	v_cmp_ne_u16_sdwa s[8:9], v10, v21 src0_sel:BYTE_0 src1_sel:DWORD
	s_andn2_b64 s[4:5], s[4:5], exec
	s_and_b64 s[8:9], s[8:9], exec
	s_or_b64 s[4:5], s[4:5], s[8:9]
	s_or_b64 exec, exec, s[6:7]
	s_and_saveexec_b64 s[6:7], s[4:5]
	s_cbranch_execnz .LBB21_775
	s_branch .LBB21_776
.LBB21_2825:
	s_movk_i32 s4, 0x80
	v_cmp_eq_u16_sdwa s[12:13], v21, s4 src0_sel:BYTE_0 src1_sel:DWORD
	s_mov_b64 s[4:5], -1
                                        ; implicit-def: $sgpr10
	s_and_saveexec_b64 s[8:9], s[12:13]
; %bb.2826:
	s_mov_b32 s10, 0x7f800001
	s_xor_b64 s[4:5], exec, -1
; %bb.2827:
	s_or_b64 exec, exec, s[8:9]
	s_and_b64 s[4:5], s[4:5], exec
	s_or_saveexec_b64 s[6:7], s[6:7]
	v_mov_b32_e32 v20, s10
	s_xor_b64 exec, exec, s[6:7]
	s_cbranch_execz .LBB21_778
.LBB21_2828:
	v_mov_b32_e32 v20, 0
	v_cmp_ne_u16_sdwa s[8:9], v21, v20 src0_sel:BYTE_0 src1_sel:DWORD
	s_andn2_b64 s[4:5], s[4:5], exec
	s_and_b64 s[8:9], s[8:9], exec
	s_or_b64 s[4:5], s[4:5], s[8:9]
	s_or_b64 exec, exec, s[6:7]
	s_and_saveexec_b64 s[6:7], s[4:5]
	s_cbranch_execnz .LBB21_779
	s_branch .LBB21_780
.LBB21_2829:
	s_movk_i32 s4, 0x80
	v_cmp_eq_u16_sdwa s[12:13], v21, s4 src0_sel:BYTE_0 src1_sel:DWORD
	s_mov_b64 s[4:5], -1
                                        ; implicit-def: $sgpr10
	s_and_saveexec_b64 s[8:9], s[12:13]
; %bb.2830:
	s_mov_b32 s10, 0x7f800001
	s_xor_b64 s[4:5], exec, -1
; %bb.2831:
	s_or_b64 exec, exec, s[8:9]
	s_and_b64 s[4:5], s[4:5], exec
	s_or_saveexec_b64 s[6:7], s[6:7]
	v_mov_b32_e32 v22, s10
	s_xor_b64 exec, exec, s[6:7]
	s_cbranch_execz .LBB21_782
.LBB21_2832:
	v_mov_b32_e32 v22, 0
	v_cmp_ne_u16_sdwa s[8:9], v21, v22 src0_sel:BYTE_0 src1_sel:DWORD
	s_andn2_b64 s[4:5], s[4:5], exec
	s_and_b64 s[8:9], s[8:9], exec
	s_or_b64 s[4:5], s[4:5], s[8:9]
	s_or_b64 exec, exec, s[6:7]
	s_and_saveexec_b64 s[6:7], s[4:5]
	s_cbranch_execnz .LBB21_783
	s_branch .LBB21_784
.LBB21_2833:
	s_movk_i32 s4, 0x80
	v_cmp_eq_u16_e32 vcc, s4, v21
	s_mov_b64 s[4:5], -1
                                        ; implicit-def: $sgpr10
	s_and_saveexec_b64 s[8:9], vcc
; %bb.2834:
	s_mov_b32 s10, 0x7f800001
	s_xor_b64 s[4:5], exec, -1
; %bb.2835:
	s_or_b64 exec, exec, s[8:9]
	s_and_b64 s[4:5], s[4:5], exec
                                        ; implicit-def: $vgpr21
	s_or_saveexec_b64 s[6:7], s[6:7]
	v_mov_b32_e32 v20, s10
	s_xor_b64 exec, exec, s[6:7]
	s_cbranch_execz .LBB21_786
.LBB21_2836:
	v_cmp_ne_u16_e32 vcc, 0, v21
	s_andn2_b64 s[4:5], s[4:5], exec
	s_and_b64 s[8:9], vcc, exec
	v_mov_b32_e32 v20, 0
	s_or_b64 s[4:5], s[4:5], s[8:9]
	s_or_b64 exec, exec, s[6:7]
	s_and_saveexec_b64 s[6:7], s[4:5]
	s_cbranch_execnz .LBB21_787
	s_branch .LBB21_788
.LBB21_2837:
	s_movk_i32 s4, 0x80
	v_cmp_eq_u16_e32 vcc, s4, v21
	s_mov_b64 s[4:5], -1
                                        ; implicit-def: $sgpr10
	s_and_saveexec_b64 s[8:9], vcc
; %bb.2838:
	s_mov_b32 s10, 0x7f800001
	s_xor_b64 s[4:5], exec, -1
; %bb.2839:
	s_or_b64 exec, exec, s[8:9]
	s_and_b64 s[4:5], s[4:5], exec
                                        ; implicit-def: $vgpr21
	s_or_saveexec_b64 s[6:7], s[6:7]
	v_mov_b32_e32 v22, s10
	s_xor_b64 exec, exec, s[6:7]
	s_cbranch_execz .LBB21_790
.LBB21_2840:
	v_cmp_ne_u16_e32 vcc, 0, v21
	s_andn2_b64 s[4:5], s[4:5], exec
	s_and_b64 s[8:9], vcc, exec
	v_mov_b32_e32 v22, 0
	s_or_b64 s[4:5], s[4:5], s[8:9]
	s_or_b64 exec, exec, s[6:7]
	s_and_saveexec_b64 s[6:7], s[4:5]
	s_cbranch_execnz .LBB21_791
	s_branch .LBB21_792
.LBB21_2841:
	s_movk_i32 s4, 0x80
	v_cmp_eq_u16_sdwa s[12:13], v14, s4 src0_sel:BYTE_3 src1_sel:DWORD
	s_mov_b64 s[4:5], -1
                                        ; implicit-def: $sgpr10
	s_and_saveexec_b64 s[8:9], s[12:13]
; %bb.2842:
	s_mov_b32 s10, 0x7f800001
	s_xor_b64 s[4:5], exec, -1
; %bb.2843:
	s_or_b64 exec, exec, s[8:9]
	s_and_b64 s[4:5], s[4:5], exec
	s_or_saveexec_b64 s[6:7], s[6:7]
	v_mov_b32_e32 v20, s10
	s_xor_b64 exec, exec, s[6:7]
	s_cbranch_execz .LBB21_794
.LBB21_2844:
	v_mov_b32_e32 v20, 0
	v_cmp_ne_u16_sdwa s[8:9], v14, v20 src0_sel:BYTE_3 src1_sel:DWORD
	s_andn2_b64 s[4:5], s[4:5], exec
	s_and_b64 s[8:9], s[8:9], exec
	s_or_b64 s[4:5], s[4:5], s[8:9]
	s_or_b64 exec, exec, s[6:7]
	s_and_saveexec_b64 s[6:7], s[4:5]
	s_cbranch_execnz .LBB21_795
	s_branch .LBB21_796
.LBB21_2845:
	s_movk_i32 s4, 0x80
	v_cmp_eq_u16_sdwa s[12:13], v10, s4 src0_sel:BYTE_3 src1_sel:DWORD
	s_mov_b64 s[4:5], -1
                                        ; implicit-def: $sgpr10
	s_and_saveexec_b64 s[8:9], s[12:13]
; %bb.2846:
	s_mov_b32 s10, 0x7f800001
	s_xor_b64 s[4:5], exec, -1
; %bb.2847:
	s_or_b64 exec, exec, s[8:9]
	s_and_b64 s[4:5], s[4:5], exec
	s_or_saveexec_b64 s[6:7], s[6:7]
	v_mov_b32_e32 v14, s10
	s_xor_b64 exec, exec, s[6:7]
	s_cbranch_execz .LBB21_798
.LBB21_2848:
	v_mov_b32_e32 v14, 0
	v_cmp_ne_u16_sdwa s[8:9], v10, v14 src0_sel:BYTE_3 src1_sel:DWORD
	s_andn2_b64 s[4:5], s[4:5], exec
	s_and_b64 s[8:9], s[8:9], exec
	s_or_b64 s[4:5], s[4:5], s[8:9]
	s_or_b64 exec, exec, s[6:7]
	s_and_saveexec_b64 s[6:7], s[4:5]
	s_cbranch_execnz .LBB21_799
	s_branch .LBB21_800
.LBB21_2849:
	s_movk_i32 s4, 0x80
	v_cmp_eq_u16_sdwa s[12:13], v15, s4 src0_sel:BYTE_0 src1_sel:DWORD
	s_mov_b64 s[4:5], -1
                                        ; implicit-def: $sgpr10
	s_and_saveexec_b64 s[8:9], s[12:13]
; %bb.2850:
	s_mov_b32 s10, 0x7f800001
	s_xor_b64 s[4:5], exec, -1
; %bb.2851:
	s_or_b64 exec, exec, s[8:9]
	s_and_b64 s[4:5], s[4:5], exec
	s_or_saveexec_b64 s[6:7], s[6:7]
	v_mov_b32_e32 v10, s10
	s_xor_b64 exec, exec, s[6:7]
	s_cbranch_execz .LBB21_802
.LBB21_2852:
	v_mov_b32_e32 v10, 0
	v_cmp_ne_u16_sdwa s[8:9], v15, v10 src0_sel:BYTE_0 src1_sel:DWORD
	s_andn2_b64 s[4:5], s[4:5], exec
	s_and_b64 s[8:9], s[8:9], exec
	s_or_b64 s[4:5], s[4:5], s[8:9]
	s_or_b64 exec, exec, s[6:7]
	s_and_saveexec_b64 s[6:7], s[4:5]
	s_cbranch_execnz .LBB21_803
	s_branch .LBB21_804
.LBB21_2853:
	s_movk_i32 s4, 0x80
	v_cmp_eq_u16_sdwa s[12:13], v11, s4 src0_sel:BYTE_0 src1_sel:DWORD
	s_mov_b64 s[4:5], -1
                                        ; implicit-def: $sgpr10
	s_and_saveexec_b64 s[8:9], s[12:13]
; %bb.2854:
	s_mov_b32 s10, 0x7f800001
	s_xor_b64 s[4:5], exec, -1
; %bb.2855:
	s_or_b64 exec, exec, s[8:9]
	s_and_b64 s[4:5], s[4:5], exec
	s_or_saveexec_b64 s[6:7], s[6:7]
	v_mov_b32_e32 v14, s10
	s_xor_b64 exec, exec, s[6:7]
	s_cbranch_execz .LBB21_806
.LBB21_2856:
	v_mov_b32_e32 v14, 0
	v_cmp_ne_u16_sdwa s[8:9], v11, v14 src0_sel:BYTE_0 src1_sel:DWORD
	s_andn2_b64 s[4:5], s[4:5], exec
	s_and_b64 s[8:9], s[8:9], exec
	s_or_b64 s[4:5], s[4:5], s[8:9]
	s_or_b64 exec, exec, s[6:7]
	s_and_saveexec_b64 s[6:7], s[4:5]
	s_cbranch_execnz .LBB21_807
	s_branch .LBB21_808
.LBB21_2857:
	s_movk_i32 s4, 0x80
	v_cmp_eq_u16_sdwa s[12:13], v14, s4 src0_sel:BYTE_0 src1_sel:DWORD
	s_mov_b64 s[4:5], -1
                                        ; implicit-def: $sgpr10
	s_and_saveexec_b64 s[8:9], s[12:13]
; %bb.2858:
	s_mov_b32 s10, 0x7f800001
	s_xor_b64 s[4:5], exec, -1
; %bb.2859:
	s_or_b64 exec, exec, s[8:9]
	s_and_b64 s[4:5], s[4:5], exec
	s_or_saveexec_b64 s[6:7], s[6:7]
	v_mov_b32_e32 v10, s10
	s_xor_b64 exec, exec, s[6:7]
	s_cbranch_execz .LBB21_810
.LBB21_2860:
	v_mov_b32_e32 v10, 0
	v_cmp_ne_u16_sdwa s[8:9], v14, v10 src0_sel:BYTE_0 src1_sel:DWORD
	s_andn2_b64 s[4:5], s[4:5], exec
	s_and_b64 s[8:9], s[8:9], exec
	s_or_b64 s[4:5], s[4:5], s[8:9]
	s_or_b64 exec, exec, s[6:7]
	s_and_saveexec_b64 s[6:7], s[4:5]
	s_cbranch_execnz .LBB21_811
	s_branch .LBB21_812
.LBB21_2861:
	s_movk_i32 s4, 0x80
	v_cmp_eq_u16_sdwa s[12:13], v14, s4 src0_sel:BYTE_0 src1_sel:DWORD
	s_mov_b64 s[4:5], -1
                                        ; implicit-def: $sgpr10
	s_and_saveexec_b64 s[8:9], s[12:13]
; %bb.2862:
	s_mov_b32 s10, 0x7f800001
	s_xor_b64 s[4:5], exec, -1
; %bb.2863:
	s_or_b64 exec, exec, s[8:9]
	s_and_b64 s[4:5], s[4:5], exec
	s_or_saveexec_b64 s[6:7], s[6:7]
	v_mov_b32_e32 v20, s10
	s_xor_b64 exec, exec, s[6:7]
	s_cbranch_execz .LBB21_814
.LBB21_2864:
	v_mov_b32_e32 v20, 0
	v_cmp_ne_u16_sdwa s[8:9], v14, v20 src0_sel:BYTE_0 src1_sel:DWORD
	s_andn2_b64 s[4:5], s[4:5], exec
	s_and_b64 s[8:9], s[8:9], exec
	s_or_b64 s[4:5], s[4:5], s[8:9]
	s_or_b64 exec, exec, s[6:7]
	s_and_saveexec_b64 s[6:7], s[4:5]
	s_cbranch_execnz .LBB21_815
	s_branch .LBB21_816
.LBB21_2865:
	s_movk_i32 s4, 0x80
	v_cmp_eq_u16_e32 vcc, s4, v14
	s_mov_b64 s[4:5], -1
                                        ; implicit-def: $sgpr10
	s_and_saveexec_b64 s[8:9], vcc
; %bb.2866:
	s_mov_b32 s10, 0x7f800001
	s_xor_b64 s[4:5], exec, -1
; %bb.2867:
	s_or_b64 exec, exec, s[8:9]
	s_and_b64 s[4:5], s[4:5], exec
                                        ; implicit-def: $vgpr14
	s_or_saveexec_b64 s[6:7], s[6:7]
	v_mov_b32_e32 v10, s10
	s_xor_b64 exec, exec, s[6:7]
	s_cbranch_execz .LBB21_818
.LBB21_2868:
	v_cmp_ne_u16_e32 vcc, 0, v14
	s_andn2_b64 s[4:5], s[4:5], exec
	s_and_b64 s[8:9], vcc, exec
	v_mov_b32_e32 v10, 0
	s_or_b64 s[4:5], s[4:5], s[8:9]
	s_or_b64 exec, exec, s[6:7]
	s_and_saveexec_b64 s[6:7], s[4:5]
	s_cbranch_execnz .LBB21_819
	s_branch .LBB21_820
.LBB21_2869:
	s_movk_i32 s4, 0x80
	v_cmp_eq_u16_e32 vcc, s4, v14
	s_mov_b64 s[4:5], -1
                                        ; implicit-def: $sgpr10
	s_and_saveexec_b64 s[8:9], vcc
; %bb.2870:
	s_mov_b32 s10, 0x7f800001
	s_xor_b64 s[4:5], exec, -1
; %bb.2871:
	s_or_b64 exec, exec, s[8:9]
	s_and_b64 s[4:5], s[4:5], exec
                                        ; implicit-def: $vgpr14
	s_or_saveexec_b64 s[6:7], s[6:7]
	v_mov_b32_e32 v20, s10
	s_xor_b64 exec, exec, s[6:7]
	s_cbranch_execz .LBB21_822
.LBB21_2872:
	v_cmp_ne_u16_e32 vcc, 0, v14
	s_andn2_b64 s[4:5], s[4:5], exec
	s_and_b64 s[8:9], vcc, exec
	v_mov_b32_e32 v20, 0
	s_or_b64 s[4:5], s[4:5], s[8:9]
	s_or_b64 exec, exec, s[6:7]
	s_and_saveexec_b64 s[6:7], s[4:5]
	s_cbranch_execnz .LBB21_823
	s_branch .LBB21_824
.LBB21_2873:
	s_movk_i32 s4, 0x80
	v_cmp_eq_u16_sdwa s[12:13], v15, s4 src0_sel:BYTE_3 src1_sel:DWORD
	s_mov_b64 s[4:5], -1
                                        ; implicit-def: $sgpr10
	s_and_saveexec_b64 s[8:9], s[12:13]
; %bb.2874:
	s_mov_b32 s10, 0x7f800001
	s_xor_b64 s[4:5], exec, -1
; %bb.2875:
	s_or_b64 exec, exec, s[8:9]
	s_and_b64 s[4:5], s[4:5], exec
	s_or_saveexec_b64 s[6:7], s[6:7]
	v_mov_b32_e32 v10, s10
	s_xor_b64 exec, exec, s[6:7]
	s_cbranch_execz .LBB21_826
.LBB21_2876:
	v_mov_b32_e32 v10, 0
	v_cmp_ne_u16_sdwa s[8:9], v15, v10 src0_sel:BYTE_3 src1_sel:DWORD
	s_andn2_b64 s[4:5], s[4:5], exec
	s_and_b64 s[8:9], s[8:9], exec
	s_or_b64 s[4:5], s[4:5], s[8:9]
	s_or_b64 exec, exec, s[6:7]
	s_and_saveexec_b64 s[6:7], s[4:5]
	s_cbranch_execnz .LBB21_827
	s_branch .LBB21_828
.LBB21_2877:
	s_movk_i32 s4, 0x80
	v_cmp_eq_u16_sdwa s[12:13], v11, s4 src0_sel:BYTE_3 src1_sel:DWORD
	s_mov_b64 s[4:5], -1
                                        ; implicit-def: $sgpr10
	s_and_saveexec_b64 s[8:9], s[12:13]
; %bb.2878:
	s_mov_b32 s10, 0x7f800001
	s_xor_b64 s[4:5], exec, -1
; %bb.2879:
	s_or_b64 exec, exec, s[8:9]
	s_and_b64 s[4:5], s[4:5], exec
	s_or_saveexec_b64 s[6:7], s[6:7]
	v_mov_b32_e32 v14, s10
	s_xor_b64 exec, exec, s[6:7]
	s_cbranch_execz .LBB21_830
.LBB21_2880:
	v_mov_b32_e32 v14, 0
	v_cmp_ne_u16_sdwa s[8:9], v11, v14 src0_sel:BYTE_3 src1_sel:DWORD
	s_andn2_b64 s[4:5], s[4:5], exec
	s_and_b64 s[8:9], s[8:9], exec
	s_or_b64 s[4:5], s[4:5], s[8:9]
	s_or_b64 exec, exec, s[6:7]
	s_and_saveexec_b64 s[6:7], s[4:5]
	s_cbranch_execnz .LBB21_831
	s_branch .LBB21_832
.LBB21_2881:
	s_movk_i32 s4, 0x80
	v_cmp_eq_u16_sdwa s[12:13], v16, s4 src0_sel:BYTE_0 src1_sel:DWORD
	s_mov_b64 s[4:5], -1
                                        ; implicit-def: $sgpr10
	s_and_saveexec_b64 s[8:9], s[12:13]
; %bb.2882:
	s_mov_b32 s10, 0x7f800001
	s_xor_b64 s[4:5], exec, -1
; %bb.2883:
	s_or_b64 exec, exec, s[8:9]
	s_and_b64 s[4:5], s[4:5], exec
	s_or_saveexec_b64 s[6:7], s[6:7]
	v_mov_b32_e32 v10, s10
	s_xor_b64 exec, exec, s[6:7]
	s_cbranch_execz .LBB21_834
.LBB21_2884:
	v_mov_b32_e32 v10, 0
	v_cmp_ne_u16_sdwa s[8:9], v16, v10 src0_sel:BYTE_0 src1_sel:DWORD
	s_andn2_b64 s[4:5], s[4:5], exec
	s_and_b64 s[8:9], s[8:9], exec
	s_or_b64 s[4:5], s[4:5], s[8:9]
	s_or_b64 exec, exec, s[6:7]
	s_and_saveexec_b64 s[6:7], s[4:5]
	s_cbranch_execnz .LBB21_835
	s_branch .LBB21_836
.LBB21_2885:
	s_movk_i32 s4, 0x80
	v_cmp_eq_u16_sdwa s[12:13], v12, s4 src0_sel:BYTE_0 src1_sel:DWORD
	s_mov_b64 s[4:5], -1
                                        ; implicit-def: $sgpr10
	s_and_saveexec_b64 s[8:9], s[12:13]
; %bb.2886:
	s_mov_b32 s10, 0x7f800001
	s_xor_b64 s[4:5], exec, -1
; %bb.2887:
	s_or_b64 exec, exec, s[8:9]
	s_and_b64 s[4:5], s[4:5], exec
	s_or_saveexec_b64 s[6:7], s[6:7]
	v_mov_b32_e32 v11, s10
	s_xor_b64 exec, exec, s[6:7]
	s_cbranch_execz .LBB21_838
.LBB21_2888:
	v_mov_b32_e32 v11, 0
	v_cmp_ne_u16_sdwa s[8:9], v12, v11 src0_sel:BYTE_0 src1_sel:DWORD
	s_andn2_b64 s[4:5], s[4:5], exec
	s_and_b64 s[8:9], s[8:9], exec
	s_or_b64 s[4:5], s[4:5], s[8:9]
	s_or_b64 exec, exec, s[6:7]
	s_and_saveexec_b64 s[6:7], s[4:5]
	s_cbranch_execnz .LBB21_839
	s_branch .LBB21_840
.LBB21_2889:
	s_movk_i32 s4, 0x80
	v_cmp_eq_u16_sdwa s[12:13], v11, s4 src0_sel:BYTE_0 src1_sel:DWORD
	s_mov_b64 s[4:5], -1
                                        ; implicit-def: $sgpr10
	s_and_saveexec_b64 s[8:9], s[12:13]
; %bb.2890:
	s_mov_b32 s10, 0x7f800001
	s_xor_b64 s[4:5], exec, -1
; %bb.2891:
	s_or_b64 exec, exec, s[8:9]
	s_and_b64 s[4:5], s[4:5], exec
	s_or_saveexec_b64 s[6:7], s[6:7]
	v_mov_b32_e32 v10, s10
	s_xor_b64 exec, exec, s[6:7]
	s_cbranch_execz .LBB21_842
.LBB21_2892:
	v_mov_b32_e32 v10, 0
	v_cmp_ne_u16_sdwa s[8:9], v11, v10 src0_sel:BYTE_0 src1_sel:DWORD
	s_andn2_b64 s[4:5], s[4:5], exec
	s_and_b64 s[8:9], s[8:9], exec
	s_or_b64 s[4:5], s[4:5], s[8:9]
	s_or_b64 exec, exec, s[6:7]
	s_and_saveexec_b64 s[6:7], s[4:5]
	s_cbranch_execnz .LBB21_843
	s_branch .LBB21_844
.LBB21_2893:
	s_movk_i32 s4, 0x80
	v_cmp_eq_u16_sdwa s[12:13], v11, s4 src0_sel:BYTE_0 src1_sel:DWORD
	s_mov_b64 s[4:5], -1
                                        ; implicit-def: $sgpr10
	s_and_saveexec_b64 s[8:9], s[12:13]
; %bb.2894:
	s_mov_b32 s10, 0x7f800001
	s_xor_b64 s[4:5], exec, -1
; %bb.2895:
	s_or_b64 exec, exec, s[8:9]
	s_and_b64 s[4:5], s[4:5], exec
	s_or_saveexec_b64 s[6:7], s[6:7]
	v_mov_b32_e32 v14, s10
	s_xor_b64 exec, exec, s[6:7]
	s_cbranch_execz .LBB21_846
.LBB21_2896:
	v_mov_b32_e32 v14, 0
	v_cmp_ne_u16_sdwa s[8:9], v11, v14 src0_sel:BYTE_0 src1_sel:DWORD
	s_andn2_b64 s[4:5], s[4:5], exec
	s_and_b64 s[8:9], s[8:9], exec
	s_or_b64 s[4:5], s[4:5], s[8:9]
	s_or_b64 exec, exec, s[6:7]
	s_and_saveexec_b64 s[6:7], s[4:5]
	s_cbranch_execnz .LBB21_847
	s_branch .LBB21_848
.LBB21_2897:
	s_movk_i32 s4, 0x80
	v_cmp_eq_u16_e32 vcc, s4, v11
	s_mov_b64 s[4:5], -1
                                        ; implicit-def: $sgpr10
	s_and_saveexec_b64 s[8:9], vcc
; %bb.2898:
	s_mov_b32 s10, 0x7f800001
	s_xor_b64 s[4:5], exec, -1
; %bb.2899:
	s_or_b64 exec, exec, s[8:9]
	s_and_b64 s[4:5], s[4:5], exec
                                        ; implicit-def: $vgpr11
	s_or_saveexec_b64 s[6:7], s[6:7]
	v_mov_b32_e32 v10, s10
	s_xor_b64 exec, exec, s[6:7]
	s_cbranch_execz .LBB21_850
.LBB21_2900:
	v_cmp_ne_u16_e32 vcc, 0, v11
	s_andn2_b64 s[4:5], s[4:5], exec
	s_and_b64 s[8:9], vcc, exec
	v_mov_b32_e32 v10, 0
	s_or_b64 s[4:5], s[4:5], s[8:9]
	s_or_b64 exec, exec, s[6:7]
	s_and_saveexec_b64 s[6:7], s[4:5]
	s_cbranch_execnz .LBB21_851
	s_branch .LBB21_852
.LBB21_2901:
	s_movk_i32 s4, 0x80
	v_cmp_eq_u16_e32 vcc, s4, v11
	s_mov_b64 s[4:5], -1
                                        ; implicit-def: $sgpr10
	s_and_saveexec_b64 s[8:9], vcc
; %bb.2902:
	s_mov_b32 s10, 0x7f800001
	s_xor_b64 s[4:5], exec, -1
; %bb.2903:
	s_or_b64 exec, exec, s[8:9]
	s_and_b64 s[4:5], s[4:5], exec
                                        ; implicit-def: $vgpr11
	s_or_saveexec_b64 s[6:7], s[6:7]
	v_mov_b32_e32 v14, s10
	s_xor_b64 exec, exec, s[6:7]
	s_cbranch_execz .LBB21_854
.LBB21_2904:
	v_cmp_ne_u16_e32 vcc, 0, v11
	s_andn2_b64 s[4:5], s[4:5], exec
	s_and_b64 s[8:9], vcc, exec
	v_mov_b32_e32 v14, 0
	s_or_b64 s[4:5], s[4:5], s[8:9]
	s_or_b64 exec, exec, s[6:7]
	s_and_saveexec_b64 s[6:7], s[4:5]
	s_cbranch_execnz .LBB21_855
	s_branch .LBB21_856
.LBB21_2905:
	s_movk_i32 s4, 0x80
	v_cmp_eq_u16_sdwa s[12:13], v16, s4 src0_sel:BYTE_3 src1_sel:DWORD
	s_mov_b64 s[4:5], -1
                                        ; implicit-def: $sgpr10
	s_and_saveexec_b64 s[8:9], s[12:13]
; %bb.2906:
	s_mov_b32 s10, 0x7f800001
	s_xor_b64 s[4:5], exec, -1
; %bb.2907:
	s_or_b64 exec, exec, s[8:9]
	s_and_b64 s[4:5], s[4:5], exec
	s_or_saveexec_b64 s[6:7], s[6:7]
	v_mov_b32_e32 v10, s10
	s_xor_b64 exec, exec, s[6:7]
	s_cbranch_execz .LBB21_858
.LBB21_2908:
	v_mov_b32_e32 v10, 0
	v_cmp_ne_u16_sdwa s[8:9], v16, v10 src0_sel:BYTE_3 src1_sel:DWORD
	s_andn2_b64 s[4:5], s[4:5], exec
	s_and_b64 s[8:9], s[8:9], exec
	s_or_b64 s[4:5], s[4:5], s[8:9]
	s_or_b64 exec, exec, s[6:7]
	s_and_saveexec_b64 s[6:7], s[4:5]
	s_cbranch_execnz .LBB21_859
	s_branch .LBB21_860
.LBB21_2909:
	s_movk_i32 s4, 0x80
	v_cmp_eq_u16_sdwa s[12:13], v12, s4 src0_sel:BYTE_3 src1_sel:DWORD
	s_mov_b64 s[4:5], -1
                                        ; implicit-def: $sgpr10
	s_and_saveexec_b64 s[8:9], s[12:13]
; %bb.2910:
	s_mov_b32 s10, 0x7f800001
	s_xor_b64 s[4:5], exec, -1
; %bb.2911:
	s_or_b64 exec, exec, s[8:9]
	s_and_b64 s[4:5], s[4:5], exec
	s_or_saveexec_b64 s[6:7], s[6:7]
	v_mov_b32_e32 v11, s10
	s_xor_b64 exec, exec, s[6:7]
	s_cbranch_execz .LBB21_862
.LBB21_2912:
	v_mov_b32_e32 v11, 0
	v_cmp_ne_u16_sdwa s[8:9], v12, v11 src0_sel:BYTE_3 src1_sel:DWORD
	s_andn2_b64 s[4:5], s[4:5], exec
	s_and_b64 s[8:9], s[8:9], exec
	s_or_b64 s[4:5], s[4:5], s[8:9]
	s_or_b64 exec, exec, s[6:7]
	s_and_saveexec_b64 s[6:7], s[4:5]
	s_cbranch_execnz .LBB21_863
	s_branch .LBB21_864
.LBB21_2913:
	s_movk_i32 s4, 0x80
	v_cmp_eq_u16_sdwa s[12:13], v17, s4 src0_sel:BYTE_0 src1_sel:DWORD
	s_mov_b64 s[4:5], -1
                                        ; implicit-def: $sgpr10
	s_and_saveexec_b64 s[8:9], s[12:13]
; %bb.2914:
	s_mov_b32 s10, 0x7f800001
	s_xor_b64 s[4:5], exec, -1
; %bb.2915:
	s_or_b64 exec, exec, s[8:9]
	s_and_b64 s[4:5], s[4:5], exec
	s_or_saveexec_b64 s[6:7], s[6:7]
	v_mov_b32_e32 v10, s10
	s_xor_b64 exec, exec, s[6:7]
	s_cbranch_execz .LBB21_866
.LBB21_2916:
	v_mov_b32_e32 v10, 0
	v_cmp_ne_u16_sdwa s[8:9], v17, v10 src0_sel:BYTE_0 src1_sel:DWORD
	s_andn2_b64 s[4:5], s[4:5], exec
	s_and_b64 s[8:9], s[8:9], exec
	s_or_b64 s[4:5], s[4:5], s[8:9]
	s_or_b64 exec, exec, s[6:7]
	s_and_saveexec_b64 s[6:7], s[4:5]
	s_cbranch_execnz .LBB21_867
	s_branch .LBB21_868
.LBB21_2917:
	s_movk_i32 s4, 0x80
	v_cmp_eq_u16_sdwa s[12:13], v13, s4 src0_sel:BYTE_0 src1_sel:DWORD
	s_mov_b64 s[4:5], -1
                                        ; implicit-def: $sgpr10
	s_and_saveexec_b64 s[8:9], s[12:13]
; %bb.2918:
	s_mov_b32 s10, 0x7f800001
	s_xor_b64 s[4:5], exec, -1
; %bb.2919:
	s_or_b64 exec, exec, s[8:9]
	s_and_b64 s[4:5], s[4:5], exec
	s_or_saveexec_b64 s[6:7], s[6:7]
	v_mov_b32_e32 v11, s10
	s_xor_b64 exec, exec, s[6:7]
	s_cbranch_execz .LBB21_870
.LBB21_2920:
	v_mov_b32_e32 v11, 0
	v_cmp_ne_u16_sdwa s[8:9], v13, v11 src0_sel:BYTE_0 src1_sel:DWORD
	s_andn2_b64 s[4:5], s[4:5], exec
	s_and_b64 s[8:9], s[8:9], exec
	s_or_b64 s[4:5], s[4:5], s[8:9]
	s_or_b64 exec, exec, s[6:7]
	s_and_saveexec_b64 s[6:7], s[4:5]
	s_cbranch_execnz .LBB21_871
	s_branch .LBB21_872
.LBB21_2921:
	s_movk_i32 s4, 0x80
	v_cmp_eq_u16_sdwa s[12:13], v11, s4 src0_sel:BYTE_0 src1_sel:DWORD
	s_mov_b64 s[4:5], -1
                                        ; implicit-def: $sgpr10
	s_and_saveexec_b64 s[8:9], s[12:13]
; %bb.2922:
	s_mov_b32 s10, 0x7f800001
	s_xor_b64 s[4:5], exec, -1
; %bb.2923:
	s_or_b64 exec, exec, s[8:9]
	s_and_b64 s[4:5], s[4:5], exec
	s_or_saveexec_b64 s[6:7], s[6:7]
	v_mov_b32_e32 v10, s10
	s_xor_b64 exec, exec, s[6:7]
	s_cbranch_execz .LBB21_874
.LBB21_2924:
	v_mov_b32_e32 v10, 0
	v_cmp_ne_u16_sdwa s[8:9], v11, v10 src0_sel:BYTE_0 src1_sel:DWORD
	s_andn2_b64 s[4:5], s[4:5], exec
	s_and_b64 s[8:9], s[8:9], exec
	s_or_b64 s[4:5], s[4:5], s[8:9]
	s_or_b64 exec, exec, s[6:7]
	s_and_saveexec_b64 s[6:7], s[4:5]
	s_cbranch_execnz .LBB21_875
	s_branch .LBB21_876
.LBB21_2925:
	s_movk_i32 s4, 0x80
	v_cmp_eq_u16_sdwa s[12:13], v11, s4 src0_sel:BYTE_0 src1_sel:DWORD
	s_mov_b64 s[4:5], -1
                                        ; implicit-def: $sgpr10
	s_and_saveexec_b64 s[8:9], s[12:13]
; %bb.2926:
	s_mov_b32 s10, 0x7f800001
	s_xor_b64 s[4:5], exec, -1
; %bb.2927:
	s_or_b64 exec, exec, s[8:9]
	s_and_b64 s[4:5], s[4:5], exec
	s_or_saveexec_b64 s[6:7], s[6:7]
	v_mov_b32_e32 v12, s10
	s_xor_b64 exec, exec, s[6:7]
	s_cbranch_execz .LBB21_878
.LBB21_2928:
	v_mov_b32_e32 v12, 0
	v_cmp_ne_u16_sdwa s[8:9], v11, v12 src0_sel:BYTE_0 src1_sel:DWORD
	s_andn2_b64 s[4:5], s[4:5], exec
	s_and_b64 s[8:9], s[8:9], exec
	s_or_b64 s[4:5], s[4:5], s[8:9]
	s_or_b64 exec, exec, s[6:7]
	s_and_saveexec_b64 s[6:7], s[4:5]
	s_cbranch_execnz .LBB21_879
	s_branch .LBB21_880
.LBB21_2929:
	s_movk_i32 s4, 0x80
	v_cmp_eq_u16_e32 vcc, s4, v11
	s_mov_b64 s[4:5], -1
                                        ; implicit-def: $sgpr10
	s_and_saveexec_b64 s[8:9], vcc
; %bb.2930:
	s_mov_b32 s10, 0x7f800001
	s_xor_b64 s[4:5], exec, -1
; %bb.2931:
	s_or_b64 exec, exec, s[8:9]
	s_and_b64 s[4:5], s[4:5], exec
                                        ; implicit-def: $vgpr11
	s_or_saveexec_b64 s[6:7], s[6:7]
	v_mov_b32_e32 v10, s10
	s_xor_b64 exec, exec, s[6:7]
	s_cbranch_execz .LBB21_882
.LBB21_2932:
	v_cmp_ne_u16_e32 vcc, 0, v11
	s_andn2_b64 s[4:5], s[4:5], exec
	s_and_b64 s[8:9], vcc, exec
	v_mov_b32_e32 v10, 0
	s_or_b64 s[4:5], s[4:5], s[8:9]
	s_or_b64 exec, exec, s[6:7]
	s_and_saveexec_b64 s[6:7], s[4:5]
	s_cbranch_execnz .LBB21_883
	s_branch .LBB21_884
.LBB21_2933:
	s_movk_i32 s4, 0x80
	v_cmp_eq_u16_e32 vcc, s4, v11
	s_mov_b64 s[4:5], -1
                                        ; implicit-def: $sgpr10
	s_and_saveexec_b64 s[8:9], vcc
; %bb.2934:
	s_mov_b32 s10, 0x7f800001
	s_xor_b64 s[4:5], exec, -1
; %bb.2935:
	s_or_b64 exec, exec, s[8:9]
	s_and_b64 s[4:5], s[4:5], exec
                                        ; implicit-def: $vgpr11
	s_or_saveexec_b64 s[6:7], s[6:7]
	v_mov_b32_e32 v12, s10
	s_xor_b64 exec, exec, s[6:7]
	s_cbranch_execz .LBB21_886
.LBB21_2936:
	v_cmp_ne_u16_e32 vcc, 0, v11
	s_andn2_b64 s[4:5], s[4:5], exec
	s_and_b64 s[8:9], vcc, exec
	v_mov_b32_e32 v12, 0
	s_or_b64 s[4:5], s[4:5], s[8:9]
	s_or_b64 exec, exec, s[6:7]
	s_and_saveexec_b64 s[6:7], s[4:5]
	s_cbranch_execnz .LBB21_887
	s_branch .LBB21_888
.LBB21_2937:
	s_movk_i32 s4, 0x80
	v_cmp_eq_u16_sdwa s[12:13], v17, s4 src0_sel:BYTE_3 src1_sel:DWORD
	s_mov_b64 s[4:5], -1
                                        ; implicit-def: $sgpr10
	s_and_saveexec_b64 s[8:9], s[12:13]
; %bb.2938:
	s_mov_b32 s10, 0x7f800001
	s_xor_b64 s[4:5], exec, -1
; %bb.2939:
	s_or_b64 exec, exec, s[8:9]
	s_and_b64 s[4:5], s[4:5], exec
	s_or_saveexec_b64 s[6:7], s[6:7]
	v_mov_b32_e32 v10, s10
	s_xor_b64 exec, exec, s[6:7]
	s_cbranch_execz .LBB21_890
.LBB21_2940:
	v_mov_b32_e32 v10, 0
	v_cmp_ne_u16_sdwa s[8:9], v17, v10 src0_sel:BYTE_3 src1_sel:DWORD
	s_andn2_b64 s[4:5], s[4:5], exec
	s_and_b64 s[8:9], s[8:9], exec
	s_or_b64 s[4:5], s[4:5], s[8:9]
	s_or_b64 exec, exec, s[6:7]
	s_and_saveexec_b64 s[6:7], s[4:5]
	s_cbranch_execnz .LBB21_891
	s_branch .LBB21_892
.LBB21_2941:
	s_movk_i32 s4, 0x80
	v_cmp_eq_u16_sdwa s[12:13], v13, s4 src0_sel:BYTE_3 src1_sel:DWORD
	s_mov_b64 s[4:5], -1
                                        ; implicit-def: $sgpr10
	s_and_saveexec_b64 s[8:9], s[12:13]
; %bb.2942:
	s_mov_b32 s10, 0x7f800001
	s_xor_b64 s[4:5], exec, -1
; %bb.2943:
	s_or_b64 exec, exec, s[8:9]
	s_and_b64 s[4:5], s[4:5], exec
	s_or_saveexec_b64 s[6:7], s[6:7]
	v_mov_b32_e32 v11, s10
	s_xor_b64 exec, exec, s[6:7]
	s_cbranch_execz .LBB21_894
.LBB21_2944:
	v_mov_b32_e32 v11, 0
	v_cmp_ne_u16_sdwa s[8:9], v13, v11 src0_sel:BYTE_3 src1_sel:DWORD
	s_andn2_b64 s[4:5], s[4:5], exec
	s_and_b64 s[8:9], s[8:9], exec
	s_or_b64 s[4:5], s[4:5], s[8:9]
	s_or_b64 exec, exec, s[6:7]
	s_and_saveexec_b64 s[6:7], s[4:5]
	s_cbranch_execnz .LBB21_895
	s_branch .LBB21_896
.LBB21_2945:
	s_movk_i32 s4, 0x80
	v_cmp_eq_u16_sdwa s[12:13], v6, s4 src0_sel:BYTE_0 src1_sel:DWORD
	s_mov_b64 s[4:5], -1
                                        ; implicit-def: $sgpr10
	s_and_saveexec_b64 s[8:9], s[12:13]
; %bb.2946:
	s_mov_b32 s10, 0x7f800001
	s_xor_b64 s[4:5], exec, -1
; %bb.2947:
	s_or_b64 exec, exec, s[8:9]
	s_and_b64 s[4:5], s[4:5], exec
	s_or_saveexec_b64 s[6:7], s[6:7]
	v_mov_b32_e32 v10, s10
	s_xor_b64 exec, exec, s[6:7]
	s_cbranch_execz .LBB21_898
.LBB21_2948:
	v_mov_b32_e32 v10, 0
	v_cmp_ne_u16_sdwa s[8:9], v6, v10 src0_sel:BYTE_0 src1_sel:DWORD
	s_andn2_b64 s[4:5], s[4:5], exec
	s_and_b64 s[8:9], s[8:9], exec
	s_or_b64 s[4:5], s[4:5], s[8:9]
	s_or_b64 exec, exec, s[6:7]
	s_and_saveexec_b64 s[6:7], s[4:5]
	s_cbranch_execnz .LBB21_899
	s_branch .LBB21_900
.LBB21_2949:
	s_movk_i32 s4, 0x80
	v_cmp_eq_u16_sdwa s[12:13], v2, s4 src0_sel:BYTE_0 src1_sel:DWORD
	s_mov_b64 s[4:5], -1
                                        ; implicit-def: $sgpr10
	s_and_saveexec_b64 s[8:9], s[12:13]
; %bb.2950:
	s_mov_b32 s10, 0x7f800001
	s_xor_b64 s[4:5], exec, -1
; %bb.2951:
	s_or_b64 exec, exec, s[8:9]
	s_and_b64 s[4:5], s[4:5], exec
	s_or_saveexec_b64 s[6:7], s[6:7]
	v_mov_b32_e32 v11, s10
	s_xor_b64 exec, exec, s[6:7]
	s_cbranch_execz .LBB21_902
.LBB21_2952:
	v_mov_b32_e32 v11, 0
	v_cmp_ne_u16_sdwa s[8:9], v2, v11 src0_sel:BYTE_0 src1_sel:DWORD
	s_andn2_b64 s[4:5], s[4:5], exec
	s_and_b64 s[8:9], s[8:9], exec
	s_or_b64 s[4:5], s[4:5], s[8:9]
	s_or_b64 exec, exec, s[6:7]
	s_and_saveexec_b64 s[6:7], s[4:5]
	s_cbranch_execnz .LBB21_903
	s_branch .LBB21_904
.LBB21_2953:
	s_movk_i32 s4, 0x80
	v_cmp_eq_u16_sdwa s[12:13], v11, s4 src0_sel:BYTE_0 src1_sel:DWORD
	s_mov_b64 s[4:5], -1
                                        ; implicit-def: $sgpr10
	s_and_saveexec_b64 s[8:9], s[12:13]
; %bb.2954:
	s_mov_b32 s10, 0x7f800001
	s_xor_b64 s[4:5], exec, -1
; %bb.2955:
	s_or_b64 exec, exec, s[8:9]
	s_and_b64 s[4:5], s[4:5], exec
	s_or_saveexec_b64 s[6:7], s[6:7]
	v_mov_b32_e32 v10, s10
	s_xor_b64 exec, exec, s[6:7]
	s_cbranch_execz .LBB21_906
.LBB21_2956:
	v_mov_b32_e32 v10, 0
	v_cmp_ne_u16_sdwa s[8:9], v11, v10 src0_sel:BYTE_0 src1_sel:DWORD
	s_andn2_b64 s[4:5], s[4:5], exec
	s_and_b64 s[8:9], s[8:9], exec
	s_or_b64 s[4:5], s[4:5], s[8:9]
	s_or_b64 exec, exec, s[6:7]
	s_and_saveexec_b64 s[6:7], s[4:5]
	s_cbranch_execnz .LBB21_907
	s_branch .LBB21_908
.LBB21_2957:
	s_movk_i32 s4, 0x80
	v_cmp_eq_u16_sdwa s[12:13], v11, s4 src0_sel:BYTE_0 src1_sel:DWORD
	s_mov_b64 s[4:5], -1
                                        ; implicit-def: $sgpr10
	s_and_saveexec_b64 s[8:9], s[12:13]
; %bb.2958:
	s_mov_b32 s10, 0x7f800001
	s_xor_b64 s[4:5], exec, -1
; %bb.2959:
	s_or_b64 exec, exec, s[8:9]
	s_and_b64 s[4:5], s[4:5], exec
	s_or_saveexec_b64 s[6:7], s[6:7]
	v_mov_b32_e32 v12, s10
	s_xor_b64 exec, exec, s[6:7]
	s_cbranch_execz .LBB21_910
.LBB21_2960:
	v_mov_b32_e32 v12, 0
	v_cmp_ne_u16_sdwa s[8:9], v11, v12 src0_sel:BYTE_0 src1_sel:DWORD
	s_andn2_b64 s[4:5], s[4:5], exec
	s_and_b64 s[8:9], s[8:9], exec
	s_or_b64 s[4:5], s[4:5], s[8:9]
	s_or_b64 exec, exec, s[6:7]
	s_and_saveexec_b64 s[6:7], s[4:5]
	s_cbranch_execnz .LBB21_911
	s_branch .LBB21_912
.LBB21_2961:
	s_movk_i32 s4, 0x80
	v_cmp_eq_u16_e32 vcc, s4, v11
	s_mov_b64 s[4:5], -1
                                        ; implicit-def: $sgpr10
	s_and_saveexec_b64 s[8:9], vcc
; %bb.2962:
	s_mov_b32 s10, 0x7f800001
	s_xor_b64 s[4:5], exec, -1
; %bb.2963:
	s_or_b64 exec, exec, s[8:9]
	s_and_b64 s[4:5], s[4:5], exec
                                        ; implicit-def: $vgpr11
	s_or_saveexec_b64 s[6:7], s[6:7]
	v_mov_b32_e32 v10, s10
	s_xor_b64 exec, exec, s[6:7]
	s_cbranch_execz .LBB21_914
.LBB21_2964:
	v_cmp_ne_u16_e32 vcc, 0, v11
	s_andn2_b64 s[4:5], s[4:5], exec
	s_and_b64 s[8:9], vcc, exec
	v_mov_b32_e32 v10, 0
	s_or_b64 s[4:5], s[4:5], s[8:9]
	s_or_b64 exec, exec, s[6:7]
	s_and_saveexec_b64 s[6:7], s[4:5]
	s_cbranch_execnz .LBB21_915
	s_branch .LBB21_916
.LBB21_2965:
	s_movk_i32 s4, 0x80
	v_cmp_eq_u16_e32 vcc, s4, v11
	s_mov_b64 s[4:5], -1
                                        ; implicit-def: $sgpr10
	s_and_saveexec_b64 s[8:9], vcc
; %bb.2966:
	s_mov_b32 s10, 0x7f800001
	s_xor_b64 s[4:5], exec, -1
; %bb.2967:
	s_or_b64 exec, exec, s[8:9]
	s_and_b64 s[4:5], s[4:5], exec
                                        ; implicit-def: $vgpr11
	s_or_saveexec_b64 s[6:7], s[6:7]
	v_mov_b32_e32 v12, s10
	s_xor_b64 exec, exec, s[6:7]
	s_cbranch_execz .LBB21_918
.LBB21_2968:
	v_cmp_ne_u16_e32 vcc, 0, v11
	s_andn2_b64 s[4:5], s[4:5], exec
	s_and_b64 s[8:9], vcc, exec
	v_mov_b32_e32 v12, 0
	s_or_b64 s[4:5], s[4:5], s[8:9]
	s_or_b64 exec, exec, s[6:7]
	s_and_saveexec_b64 s[6:7], s[4:5]
	s_cbranch_execnz .LBB21_919
	s_branch .LBB21_920
.LBB21_2969:
	s_movk_i32 s4, 0x80
	v_cmp_eq_u16_sdwa s[12:13], v6, s4 src0_sel:BYTE_3 src1_sel:DWORD
	s_mov_b64 s[4:5], -1
                                        ; implicit-def: $sgpr10
	s_and_saveexec_b64 s[8:9], s[12:13]
; %bb.2970:
	s_mov_b32 s10, 0x7f800001
	s_xor_b64 s[4:5], exec, -1
; %bb.2971:
	s_or_b64 exec, exec, s[8:9]
	s_and_b64 s[4:5], s[4:5], exec
	s_or_saveexec_b64 s[6:7], s[6:7]
	v_mov_b32_e32 v10, s10
	s_xor_b64 exec, exec, s[6:7]
	s_cbranch_execz .LBB21_922
.LBB21_2972:
	v_mov_b32_e32 v10, 0
	v_cmp_ne_u16_sdwa s[8:9], v6, v10 src0_sel:BYTE_3 src1_sel:DWORD
	s_andn2_b64 s[4:5], s[4:5], exec
	s_and_b64 s[8:9], s[8:9], exec
	s_or_b64 s[4:5], s[4:5], s[8:9]
	s_or_b64 exec, exec, s[6:7]
	s_and_saveexec_b64 s[6:7], s[4:5]
	s_cbranch_execnz .LBB21_923
	s_branch .LBB21_924
.LBB21_2973:
	s_movk_i32 s4, 0x80
	v_cmp_eq_u16_sdwa s[12:13], v2, s4 src0_sel:BYTE_3 src1_sel:DWORD
	s_mov_b64 s[4:5], -1
                                        ; implicit-def: $sgpr10
	s_and_saveexec_b64 s[8:9], s[12:13]
; %bb.2974:
	s_mov_b32 s10, 0x7f800001
	s_xor_b64 s[4:5], exec, -1
; %bb.2975:
	s_or_b64 exec, exec, s[8:9]
	s_and_b64 s[4:5], s[4:5], exec
	s_or_saveexec_b64 s[6:7], s[6:7]
	v_mov_b32_e32 v6, s10
	s_xor_b64 exec, exec, s[6:7]
	s_cbranch_execz .LBB21_926
.LBB21_2976:
	v_mov_b32_e32 v6, 0
	v_cmp_ne_u16_sdwa s[8:9], v2, v6 src0_sel:BYTE_3 src1_sel:DWORD
	s_andn2_b64 s[4:5], s[4:5], exec
	s_and_b64 s[8:9], s[8:9], exec
	s_or_b64 s[4:5], s[4:5], s[8:9]
	s_or_b64 exec, exec, s[6:7]
	s_and_saveexec_b64 s[6:7], s[4:5]
	s_cbranch_execnz .LBB21_927
	s_branch .LBB21_928
.LBB21_2977:
	s_movk_i32 s4, 0x80
	v_cmp_eq_u16_sdwa s[12:13], v7, s4 src0_sel:BYTE_0 src1_sel:DWORD
	s_mov_b64 s[4:5], -1
                                        ; implicit-def: $sgpr10
	s_and_saveexec_b64 s[8:9], s[12:13]
; %bb.2978:
	s_mov_b32 s10, 0x7f800001
	s_xor_b64 s[4:5], exec, -1
; %bb.2979:
	s_or_b64 exec, exec, s[8:9]
	s_and_b64 s[4:5], s[4:5], exec
	s_or_saveexec_b64 s[6:7], s[6:7]
	v_mov_b32_e32 v2, s10
	s_xor_b64 exec, exec, s[6:7]
	s_cbranch_execz .LBB21_930
.LBB21_2980:
	v_mov_b32_e32 v2, 0
	v_cmp_ne_u16_sdwa s[8:9], v7, v2 src0_sel:BYTE_0 src1_sel:DWORD
	s_andn2_b64 s[4:5], s[4:5], exec
	s_and_b64 s[8:9], s[8:9], exec
	s_or_b64 s[4:5], s[4:5], s[8:9]
	s_or_b64 exec, exec, s[6:7]
	s_and_saveexec_b64 s[6:7], s[4:5]
	s_cbranch_execnz .LBB21_931
	s_branch .LBB21_932
.LBB21_2981:
	s_movk_i32 s4, 0x80
	v_cmp_eq_u16_sdwa s[12:13], v3, s4 src0_sel:BYTE_0 src1_sel:DWORD
	s_mov_b64 s[4:5], -1
                                        ; implicit-def: $sgpr10
	s_and_saveexec_b64 s[8:9], s[12:13]
; %bb.2982:
	s_mov_b32 s10, 0x7f800001
	s_xor_b64 s[4:5], exec, -1
; %bb.2983:
	s_or_b64 exec, exec, s[8:9]
	s_and_b64 s[4:5], s[4:5], exec
	s_or_saveexec_b64 s[6:7], s[6:7]
	v_mov_b32_e32 v6, s10
	s_xor_b64 exec, exec, s[6:7]
	s_cbranch_execz .LBB21_934
.LBB21_2984:
	v_mov_b32_e32 v6, 0
	v_cmp_ne_u16_sdwa s[8:9], v3, v6 src0_sel:BYTE_0 src1_sel:DWORD
	s_andn2_b64 s[4:5], s[4:5], exec
	s_and_b64 s[8:9], s[8:9], exec
	s_or_b64 s[4:5], s[4:5], s[8:9]
	s_or_b64 exec, exec, s[6:7]
	s_and_saveexec_b64 s[6:7], s[4:5]
	s_cbranch_execnz .LBB21_935
	s_branch .LBB21_936
.LBB21_2985:
	s_movk_i32 s4, 0x80
	v_cmp_eq_u16_sdwa s[12:13], v6, s4 src0_sel:BYTE_0 src1_sel:DWORD
	s_mov_b64 s[4:5], -1
                                        ; implicit-def: $sgpr10
	s_and_saveexec_b64 s[8:9], s[12:13]
; %bb.2986:
	s_mov_b32 s10, 0x7f800001
	s_xor_b64 s[4:5], exec, -1
; %bb.2987:
	s_or_b64 exec, exec, s[8:9]
	s_and_b64 s[4:5], s[4:5], exec
	s_or_saveexec_b64 s[6:7], s[6:7]
	v_mov_b32_e32 v2, s10
	s_xor_b64 exec, exec, s[6:7]
	s_cbranch_execz .LBB21_938
.LBB21_2988:
	v_mov_b32_e32 v2, 0
	v_cmp_ne_u16_sdwa s[8:9], v6, v2 src0_sel:BYTE_0 src1_sel:DWORD
	s_andn2_b64 s[4:5], s[4:5], exec
	s_and_b64 s[8:9], s[8:9], exec
	s_or_b64 s[4:5], s[4:5], s[8:9]
	s_or_b64 exec, exec, s[6:7]
	s_and_saveexec_b64 s[6:7], s[4:5]
	s_cbranch_execnz .LBB21_939
	s_branch .LBB21_940
.LBB21_2989:
	s_movk_i32 s4, 0x80
	v_cmp_eq_u16_sdwa s[12:13], v6, s4 src0_sel:BYTE_0 src1_sel:DWORD
	s_mov_b64 s[4:5], -1
                                        ; implicit-def: $sgpr10
	s_and_saveexec_b64 s[8:9], s[12:13]
; %bb.2990:
	s_mov_b32 s10, 0x7f800001
	s_xor_b64 s[4:5], exec, -1
; %bb.2991:
	s_or_b64 exec, exec, s[8:9]
	s_and_b64 s[4:5], s[4:5], exec
	s_or_saveexec_b64 s[6:7], s[6:7]
	v_mov_b32_e32 v10, s10
	s_xor_b64 exec, exec, s[6:7]
	s_cbranch_execz .LBB21_942
.LBB21_2992:
	v_mov_b32_e32 v10, 0
	v_cmp_ne_u16_sdwa s[8:9], v6, v10 src0_sel:BYTE_0 src1_sel:DWORD
	s_andn2_b64 s[4:5], s[4:5], exec
	s_and_b64 s[8:9], s[8:9], exec
	s_or_b64 s[4:5], s[4:5], s[8:9]
	s_or_b64 exec, exec, s[6:7]
	s_and_saveexec_b64 s[6:7], s[4:5]
	s_cbranch_execnz .LBB21_943
	s_branch .LBB21_944
.LBB21_2993:
	s_movk_i32 s4, 0x80
	v_cmp_eq_u16_e32 vcc, s4, v6
	s_mov_b64 s[4:5], -1
                                        ; implicit-def: $sgpr10
	s_and_saveexec_b64 s[8:9], vcc
; %bb.2994:
	s_mov_b32 s10, 0x7f800001
	s_xor_b64 s[4:5], exec, -1
; %bb.2995:
	s_or_b64 exec, exec, s[8:9]
	s_and_b64 s[4:5], s[4:5], exec
                                        ; implicit-def: $vgpr6
	s_or_saveexec_b64 s[6:7], s[6:7]
	v_mov_b32_e32 v2, s10
	s_xor_b64 exec, exec, s[6:7]
	s_cbranch_execz .LBB21_946
.LBB21_2996:
	v_cmp_ne_u16_e32 vcc, 0, v6
	s_andn2_b64 s[4:5], s[4:5], exec
	s_and_b64 s[8:9], vcc, exec
	v_mov_b32_e32 v2, 0
	s_or_b64 s[4:5], s[4:5], s[8:9]
	s_or_b64 exec, exec, s[6:7]
	s_and_saveexec_b64 s[6:7], s[4:5]
	s_cbranch_execnz .LBB21_947
	s_branch .LBB21_948
.LBB21_2997:
	s_movk_i32 s4, 0x80
	v_cmp_eq_u16_e32 vcc, s4, v6
	s_mov_b64 s[4:5], -1
                                        ; implicit-def: $sgpr10
	s_and_saveexec_b64 s[8:9], vcc
; %bb.2998:
	s_mov_b32 s10, 0x7f800001
	s_xor_b64 s[4:5], exec, -1
; %bb.2999:
	s_or_b64 exec, exec, s[8:9]
	s_and_b64 s[4:5], s[4:5], exec
                                        ; implicit-def: $vgpr6
	s_or_saveexec_b64 s[6:7], s[6:7]
	v_mov_b32_e32 v10, s10
	s_xor_b64 exec, exec, s[6:7]
	s_cbranch_execz .LBB21_950
.LBB21_3000:
	v_cmp_ne_u16_e32 vcc, 0, v6
	s_andn2_b64 s[4:5], s[4:5], exec
	s_and_b64 s[8:9], vcc, exec
	v_mov_b32_e32 v10, 0
	s_or_b64 s[4:5], s[4:5], s[8:9]
	s_or_b64 exec, exec, s[6:7]
	s_and_saveexec_b64 s[6:7], s[4:5]
	s_cbranch_execnz .LBB21_951
	s_branch .LBB21_952
.LBB21_3001:
	s_movk_i32 s4, 0x80
	v_cmp_eq_u16_sdwa s[12:13], v7, s4 src0_sel:BYTE_3 src1_sel:DWORD
	s_mov_b64 s[4:5], -1
                                        ; implicit-def: $sgpr10
	s_and_saveexec_b64 s[8:9], s[12:13]
; %bb.3002:
	s_mov_b32 s10, 0x7f800001
	s_xor_b64 s[4:5], exec, -1
; %bb.3003:
	s_or_b64 exec, exec, s[8:9]
	s_and_b64 s[4:5], s[4:5], exec
	s_or_saveexec_b64 s[6:7], s[6:7]
	v_mov_b32_e32 v2, s10
	s_xor_b64 exec, exec, s[6:7]
	s_cbranch_execz .LBB21_954
.LBB21_3004:
	v_mov_b32_e32 v2, 0
	v_cmp_ne_u16_sdwa s[8:9], v7, v2 src0_sel:BYTE_3 src1_sel:DWORD
	s_andn2_b64 s[4:5], s[4:5], exec
	s_and_b64 s[8:9], s[8:9], exec
	s_or_b64 s[4:5], s[4:5], s[8:9]
	s_or_b64 exec, exec, s[6:7]
	s_and_saveexec_b64 s[6:7], s[4:5]
	s_cbranch_execnz .LBB21_955
	s_branch .LBB21_956
.LBB21_3005:
	s_movk_i32 s4, 0x80
	v_cmp_eq_u16_sdwa s[12:13], v3, s4 src0_sel:BYTE_3 src1_sel:DWORD
	s_mov_b64 s[4:5], -1
                                        ; implicit-def: $sgpr10
	s_and_saveexec_b64 s[8:9], s[12:13]
; %bb.3006:
	s_mov_b32 s10, 0x7f800001
	s_xor_b64 s[4:5], exec, -1
; %bb.3007:
	s_or_b64 exec, exec, s[8:9]
	s_and_b64 s[4:5], s[4:5], exec
	s_or_saveexec_b64 s[6:7], s[6:7]
	v_mov_b32_e32 v6, s10
	s_xor_b64 exec, exec, s[6:7]
	s_cbranch_execz .LBB21_958
.LBB21_3008:
	v_mov_b32_e32 v6, 0
	v_cmp_ne_u16_sdwa s[8:9], v3, v6 src0_sel:BYTE_3 src1_sel:DWORD
	s_andn2_b64 s[4:5], s[4:5], exec
	s_and_b64 s[8:9], s[8:9], exec
	s_or_b64 s[4:5], s[4:5], s[8:9]
	s_or_b64 exec, exec, s[6:7]
	s_and_saveexec_b64 s[6:7], s[4:5]
	s_cbranch_execnz .LBB21_959
	s_branch .LBB21_960
.LBB21_3009:
	s_movk_i32 s4, 0x80
	v_cmp_eq_u16_sdwa s[12:13], v8, s4 src0_sel:BYTE_0 src1_sel:DWORD
	s_mov_b64 s[4:5], -1
                                        ; implicit-def: $sgpr10
	s_and_saveexec_b64 s[8:9], s[12:13]
; %bb.3010:
	s_mov_b32 s10, 0x7f800001
	s_xor_b64 s[4:5], exec, -1
; %bb.3011:
	s_or_b64 exec, exec, s[8:9]
	s_and_b64 s[4:5], s[4:5], exec
	s_or_saveexec_b64 s[6:7], s[6:7]
	v_mov_b32_e32 v2, s10
	s_xor_b64 exec, exec, s[6:7]
	s_cbranch_execz .LBB21_962
.LBB21_3012:
	v_mov_b32_e32 v2, 0
	v_cmp_ne_u16_sdwa s[8:9], v8, v2 src0_sel:BYTE_0 src1_sel:DWORD
	s_andn2_b64 s[4:5], s[4:5], exec
	s_and_b64 s[8:9], s[8:9], exec
	s_or_b64 s[4:5], s[4:5], s[8:9]
	s_or_b64 exec, exec, s[6:7]
	s_and_saveexec_b64 s[6:7], s[4:5]
	s_cbranch_execnz .LBB21_963
	s_branch .LBB21_964
.LBB21_3013:
	s_movk_i32 s4, 0x80
	v_cmp_eq_u16_sdwa s[12:13], v4, s4 src0_sel:BYTE_0 src1_sel:DWORD
	s_mov_b64 s[4:5], -1
                                        ; implicit-def: $sgpr10
	s_and_saveexec_b64 s[8:9], s[12:13]
; %bb.3014:
	s_mov_b32 s10, 0x7f800001
	s_xor_b64 s[4:5], exec, -1
; %bb.3015:
	s_or_b64 exec, exec, s[8:9]
	s_and_b64 s[4:5], s[4:5], exec
	s_or_saveexec_b64 s[6:7], s[6:7]
	v_mov_b32_e32 v3, s10
	s_xor_b64 exec, exec, s[6:7]
	s_cbranch_execz .LBB21_966
.LBB21_3016:
	v_mov_b32_e32 v3, 0
	v_cmp_ne_u16_sdwa s[8:9], v4, v3 src0_sel:BYTE_0 src1_sel:DWORD
	s_andn2_b64 s[4:5], s[4:5], exec
	s_and_b64 s[8:9], s[8:9], exec
	s_or_b64 s[4:5], s[4:5], s[8:9]
	s_or_b64 exec, exec, s[6:7]
	s_and_saveexec_b64 s[6:7], s[4:5]
	s_cbranch_execnz .LBB21_967
	s_branch .LBB21_968
.LBB21_3017:
	s_movk_i32 s4, 0x80
	v_cmp_eq_u16_sdwa s[12:13], v3, s4 src0_sel:BYTE_0 src1_sel:DWORD
	s_mov_b64 s[4:5], -1
                                        ; implicit-def: $sgpr10
	s_and_saveexec_b64 s[8:9], s[12:13]
; %bb.3018:
	s_mov_b32 s10, 0x7f800001
	s_xor_b64 s[4:5], exec, -1
; %bb.3019:
	s_or_b64 exec, exec, s[8:9]
	s_and_b64 s[4:5], s[4:5], exec
	s_or_saveexec_b64 s[6:7], s[6:7]
	v_mov_b32_e32 v2, s10
	s_xor_b64 exec, exec, s[6:7]
	s_cbranch_execz .LBB21_970
.LBB21_3020:
	v_mov_b32_e32 v2, 0
	v_cmp_ne_u16_sdwa s[8:9], v3, v2 src0_sel:BYTE_0 src1_sel:DWORD
	s_andn2_b64 s[4:5], s[4:5], exec
	s_and_b64 s[8:9], s[8:9], exec
	s_or_b64 s[4:5], s[4:5], s[8:9]
	s_or_b64 exec, exec, s[6:7]
	s_and_saveexec_b64 s[6:7], s[4:5]
	s_cbranch_execnz .LBB21_971
	s_branch .LBB21_972
.LBB21_3021:
	s_movk_i32 s4, 0x80
	v_cmp_eq_u16_sdwa s[12:13], v3, s4 src0_sel:BYTE_0 src1_sel:DWORD
	s_mov_b64 s[4:5], -1
                                        ; implicit-def: $sgpr10
	s_and_saveexec_b64 s[8:9], s[12:13]
; %bb.3022:
	s_mov_b32 s10, 0x7f800001
	s_xor_b64 s[4:5], exec, -1
; %bb.3023:
	s_or_b64 exec, exec, s[8:9]
	s_and_b64 s[4:5], s[4:5], exec
	s_or_saveexec_b64 s[6:7], s[6:7]
	v_mov_b32_e32 v6, s10
	s_xor_b64 exec, exec, s[6:7]
	s_cbranch_execz .LBB21_974
.LBB21_3024:
	v_mov_b32_e32 v6, 0
	v_cmp_ne_u16_sdwa s[8:9], v3, v6 src0_sel:BYTE_0 src1_sel:DWORD
	s_andn2_b64 s[4:5], s[4:5], exec
	s_and_b64 s[8:9], s[8:9], exec
	s_or_b64 s[4:5], s[4:5], s[8:9]
	s_or_b64 exec, exec, s[6:7]
	s_and_saveexec_b64 s[6:7], s[4:5]
	s_cbranch_execnz .LBB21_975
	s_branch .LBB21_976
.LBB21_3025:
	s_movk_i32 s4, 0x80
	v_cmp_eq_u16_e32 vcc, s4, v3
	s_mov_b64 s[4:5], -1
                                        ; implicit-def: $sgpr10
	s_and_saveexec_b64 s[8:9], vcc
; %bb.3026:
	s_mov_b32 s10, 0x7f800001
	s_xor_b64 s[4:5], exec, -1
; %bb.3027:
	s_or_b64 exec, exec, s[8:9]
	s_and_b64 s[4:5], s[4:5], exec
                                        ; implicit-def: $vgpr3
	s_or_saveexec_b64 s[6:7], s[6:7]
	v_mov_b32_e32 v2, s10
	s_xor_b64 exec, exec, s[6:7]
	s_cbranch_execz .LBB21_978
.LBB21_3028:
	v_cmp_ne_u16_e32 vcc, 0, v3
	s_andn2_b64 s[4:5], s[4:5], exec
	s_and_b64 s[8:9], vcc, exec
	v_mov_b32_e32 v2, 0
	s_or_b64 s[4:5], s[4:5], s[8:9]
	s_or_b64 exec, exec, s[6:7]
	s_and_saveexec_b64 s[6:7], s[4:5]
	s_cbranch_execnz .LBB21_979
	s_branch .LBB21_980
.LBB21_3029:
	s_movk_i32 s4, 0x80
	v_cmp_eq_u16_e32 vcc, s4, v3
	s_mov_b64 s[4:5], -1
                                        ; implicit-def: $sgpr10
	s_and_saveexec_b64 s[8:9], vcc
; %bb.3030:
	s_mov_b32 s10, 0x7f800001
	s_xor_b64 s[4:5], exec, -1
; %bb.3031:
	s_or_b64 exec, exec, s[8:9]
	s_and_b64 s[4:5], s[4:5], exec
                                        ; implicit-def: $vgpr3
	s_or_saveexec_b64 s[6:7], s[6:7]
	v_mov_b32_e32 v6, s10
	s_xor_b64 exec, exec, s[6:7]
	s_cbranch_execz .LBB21_982
.LBB21_3032:
	v_cmp_ne_u16_e32 vcc, 0, v3
	s_andn2_b64 s[4:5], s[4:5], exec
	s_and_b64 s[8:9], vcc, exec
	v_mov_b32_e32 v6, 0
	s_or_b64 s[4:5], s[4:5], s[8:9]
	s_or_b64 exec, exec, s[6:7]
	s_and_saveexec_b64 s[6:7], s[4:5]
	s_cbranch_execnz .LBB21_983
	s_branch .LBB21_984
.LBB21_3033:
	s_movk_i32 s4, 0x80
	v_cmp_eq_u16_sdwa s[12:13], v8, s4 src0_sel:BYTE_3 src1_sel:DWORD
	s_mov_b64 s[4:5], -1
                                        ; implicit-def: $sgpr10
	s_and_saveexec_b64 s[8:9], s[12:13]
; %bb.3034:
	s_mov_b32 s10, 0x7f800001
	s_xor_b64 s[4:5], exec, -1
; %bb.3035:
	s_or_b64 exec, exec, s[8:9]
	s_and_b64 s[4:5], s[4:5], exec
	s_or_saveexec_b64 s[6:7], s[6:7]
	v_mov_b32_e32 v2, s10
	s_xor_b64 exec, exec, s[6:7]
	s_cbranch_execz .LBB21_986
.LBB21_3036:
	v_mov_b32_e32 v2, 0
	v_cmp_ne_u16_sdwa s[8:9], v8, v2 src0_sel:BYTE_3 src1_sel:DWORD
	s_andn2_b64 s[4:5], s[4:5], exec
	s_and_b64 s[8:9], s[8:9], exec
	s_or_b64 s[4:5], s[4:5], s[8:9]
	s_or_b64 exec, exec, s[6:7]
	s_and_saveexec_b64 s[6:7], s[4:5]
	s_cbranch_execnz .LBB21_987
	s_branch .LBB21_988
.LBB21_3037:
	s_movk_i32 s4, 0x80
	v_cmp_eq_u16_sdwa s[12:13], v4, s4 src0_sel:BYTE_3 src1_sel:DWORD
	s_mov_b64 s[4:5], -1
                                        ; implicit-def: $sgpr10
	s_and_saveexec_b64 s[8:9], s[12:13]
; %bb.3038:
	s_mov_b32 s10, 0x7f800001
	s_xor_b64 s[4:5], exec, -1
; %bb.3039:
	s_or_b64 exec, exec, s[8:9]
	s_and_b64 s[4:5], s[4:5], exec
	s_or_saveexec_b64 s[6:7], s[6:7]
	v_mov_b32_e32 v3, s10
	s_xor_b64 exec, exec, s[6:7]
	s_cbranch_execz .LBB21_990
.LBB21_3040:
	v_mov_b32_e32 v3, 0
	v_cmp_ne_u16_sdwa s[8:9], v4, v3 src0_sel:BYTE_3 src1_sel:DWORD
	s_andn2_b64 s[4:5], s[4:5], exec
	s_and_b64 s[8:9], s[8:9], exec
	s_or_b64 s[4:5], s[4:5], s[8:9]
	s_or_b64 exec, exec, s[6:7]
	s_and_saveexec_b64 s[6:7], s[4:5]
	s_cbranch_execnz .LBB21_991
	s_branch .LBB21_992
.LBB21_3041:
	s_movk_i32 s4, 0x80
	v_cmp_eq_u16_sdwa s[12:13], v9, s4 src0_sel:BYTE_0 src1_sel:DWORD
	s_mov_b64 s[4:5], -1
                                        ; implicit-def: $sgpr10
	s_and_saveexec_b64 s[8:9], s[12:13]
; %bb.3042:
	s_mov_b32 s10, 0x7f800001
	s_xor_b64 s[4:5], exec, -1
; %bb.3043:
	s_or_b64 exec, exec, s[8:9]
	s_and_b64 s[4:5], s[4:5], exec
	s_or_saveexec_b64 s[6:7], s[6:7]
	v_mov_b32_e32 v2, s10
	s_xor_b64 exec, exec, s[6:7]
	s_cbranch_execz .LBB21_994
.LBB21_3044:
	v_mov_b32_e32 v2, 0
	v_cmp_ne_u16_sdwa s[8:9], v9, v2 src0_sel:BYTE_0 src1_sel:DWORD
	s_andn2_b64 s[4:5], s[4:5], exec
	s_and_b64 s[8:9], s[8:9], exec
	s_or_b64 s[4:5], s[4:5], s[8:9]
	s_or_b64 exec, exec, s[6:7]
	s_and_saveexec_b64 s[6:7], s[4:5]
	s_cbranch_execnz .LBB21_995
	s_branch .LBB21_996
.LBB21_3045:
	s_movk_i32 s4, 0x80
	v_cmp_eq_u16_sdwa s[12:13], v5, s4 src0_sel:BYTE_0 src1_sel:DWORD
	s_mov_b64 s[4:5], -1
                                        ; implicit-def: $sgpr10
	s_and_saveexec_b64 s[8:9], s[12:13]
; %bb.3046:
	s_mov_b32 s10, 0x7f800001
	s_xor_b64 s[4:5], exec, -1
; %bb.3047:
	s_or_b64 exec, exec, s[8:9]
	s_and_b64 s[4:5], s[4:5], exec
	s_or_saveexec_b64 s[6:7], s[6:7]
	v_mov_b32_e32 v3, s10
	s_xor_b64 exec, exec, s[6:7]
	s_cbranch_execz .LBB21_998
.LBB21_3048:
	v_mov_b32_e32 v3, 0
	v_cmp_ne_u16_sdwa s[8:9], v5, v3 src0_sel:BYTE_0 src1_sel:DWORD
	s_andn2_b64 s[4:5], s[4:5], exec
	s_and_b64 s[8:9], s[8:9], exec
	s_or_b64 s[4:5], s[4:5], s[8:9]
	s_or_b64 exec, exec, s[6:7]
	s_and_saveexec_b64 s[6:7], s[4:5]
	s_cbranch_execnz .LBB21_999
	s_branch .LBB21_1000
.LBB21_3049:
	s_movk_i32 s4, 0x80
	v_cmp_eq_u16_sdwa s[12:13], v3, s4 src0_sel:BYTE_0 src1_sel:DWORD
	s_mov_b64 s[4:5], -1
                                        ; implicit-def: $sgpr10
	s_and_saveexec_b64 s[8:9], s[12:13]
; %bb.3050:
	s_mov_b32 s10, 0x7f800001
	s_xor_b64 s[4:5], exec, -1
; %bb.3051:
	s_or_b64 exec, exec, s[8:9]
	s_and_b64 s[4:5], s[4:5], exec
	s_or_saveexec_b64 s[6:7], s[6:7]
	v_mov_b32_e32 v2, s10
	s_xor_b64 exec, exec, s[6:7]
	s_cbranch_execz .LBB21_1002
.LBB21_3052:
	v_mov_b32_e32 v2, 0
	v_cmp_ne_u16_sdwa s[8:9], v3, v2 src0_sel:BYTE_0 src1_sel:DWORD
	s_andn2_b64 s[4:5], s[4:5], exec
	s_and_b64 s[8:9], s[8:9], exec
	s_or_b64 s[4:5], s[4:5], s[8:9]
	s_or_b64 exec, exec, s[6:7]
	s_and_saveexec_b64 s[6:7], s[4:5]
	s_cbranch_execnz .LBB21_1003
	s_branch .LBB21_1004
.LBB21_3053:
	s_movk_i32 s4, 0x80
	v_cmp_eq_u16_sdwa s[12:13], v3, s4 src0_sel:BYTE_0 src1_sel:DWORD
	s_mov_b64 s[4:5], -1
                                        ; implicit-def: $sgpr10
	s_and_saveexec_b64 s[8:9], s[12:13]
; %bb.3054:
	s_mov_b32 s10, 0x7f800001
	s_xor_b64 s[4:5], exec, -1
; %bb.3055:
	s_or_b64 exec, exec, s[8:9]
	s_and_b64 s[4:5], s[4:5], exec
	s_or_saveexec_b64 s[6:7], s[6:7]
	v_mov_b32_e32 v4, s10
	s_xor_b64 exec, exec, s[6:7]
	s_cbranch_execz .LBB21_1006
.LBB21_3056:
	v_mov_b32_e32 v4, 0
	v_cmp_ne_u16_sdwa s[8:9], v3, v4 src0_sel:BYTE_0 src1_sel:DWORD
	s_andn2_b64 s[4:5], s[4:5], exec
	s_and_b64 s[8:9], s[8:9], exec
	s_or_b64 s[4:5], s[4:5], s[8:9]
	s_or_b64 exec, exec, s[6:7]
	s_and_saveexec_b64 s[6:7], s[4:5]
	s_cbranch_execnz .LBB21_1007
	s_branch .LBB21_1008
.LBB21_3057:
	s_movk_i32 s4, 0x80
	v_cmp_eq_u16_e32 vcc, s4, v3
	s_mov_b64 s[4:5], -1
                                        ; implicit-def: $sgpr10
	s_and_saveexec_b64 s[8:9], vcc
; %bb.3058:
	s_mov_b32 s10, 0x7f800001
	s_xor_b64 s[4:5], exec, -1
; %bb.3059:
	s_or_b64 exec, exec, s[8:9]
	s_and_b64 s[4:5], s[4:5], exec
                                        ; implicit-def: $vgpr3
	s_or_saveexec_b64 s[6:7], s[6:7]
	v_mov_b32_e32 v2, s10
	s_xor_b64 exec, exec, s[6:7]
	s_cbranch_execz .LBB21_1010
.LBB21_3060:
	v_cmp_ne_u16_e32 vcc, 0, v3
	s_andn2_b64 s[4:5], s[4:5], exec
	s_and_b64 s[8:9], vcc, exec
	v_mov_b32_e32 v2, 0
	s_or_b64 s[4:5], s[4:5], s[8:9]
	s_or_b64 exec, exec, s[6:7]
	s_and_saveexec_b64 s[6:7], s[4:5]
	s_cbranch_execnz .LBB21_1011
	s_branch .LBB21_1012
.LBB21_3061:
	s_movk_i32 s4, 0x80
	v_cmp_eq_u16_e32 vcc, s4, v3
	s_mov_b64 s[4:5], -1
                                        ; implicit-def: $sgpr10
	s_and_saveexec_b64 s[8:9], vcc
; %bb.3062:
	s_mov_b32 s10, 0x7f800001
	s_xor_b64 s[4:5], exec, -1
; %bb.3063:
	s_or_b64 exec, exec, s[8:9]
	s_and_b64 s[4:5], s[4:5], exec
                                        ; implicit-def: $vgpr3
	s_or_saveexec_b64 s[6:7], s[6:7]
	v_mov_b32_e32 v4, s10
	s_xor_b64 exec, exec, s[6:7]
	s_cbranch_execz .LBB21_1014
.LBB21_3064:
	v_cmp_ne_u16_e32 vcc, 0, v3
	s_andn2_b64 s[4:5], s[4:5], exec
	s_and_b64 s[8:9], vcc, exec
	v_mov_b32_e32 v4, 0
	s_or_b64 s[4:5], s[4:5], s[8:9]
	s_or_b64 exec, exec, s[6:7]
	s_and_saveexec_b64 s[6:7], s[4:5]
	s_cbranch_execnz .LBB21_1015
	s_branch .LBB21_1016
.LBB21_3065:
	s_movk_i32 s4, 0x80
	v_cmp_eq_u16_sdwa s[12:13], v9, s4 src0_sel:BYTE_3 src1_sel:DWORD
	s_mov_b64 s[4:5], -1
                                        ; implicit-def: $sgpr10
	s_and_saveexec_b64 s[8:9], s[12:13]
; %bb.3066:
	s_mov_b32 s10, 0x7f800001
	s_xor_b64 s[4:5], exec, -1
; %bb.3067:
	s_or_b64 exec, exec, s[8:9]
	s_and_b64 s[4:5], s[4:5], exec
	s_or_saveexec_b64 s[6:7], s[6:7]
	v_mov_b32_e32 v2, s10
	s_xor_b64 exec, exec, s[6:7]
	s_cbranch_execz .LBB21_1018
.LBB21_3068:
	v_mov_b32_e32 v2, 0
	v_cmp_ne_u16_sdwa s[8:9], v9, v2 src0_sel:BYTE_3 src1_sel:DWORD
	s_andn2_b64 s[4:5], s[4:5], exec
	s_and_b64 s[8:9], s[8:9], exec
	s_or_b64 s[4:5], s[4:5], s[8:9]
	s_or_b64 exec, exec, s[6:7]
	s_and_saveexec_b64 s[6:7], s[4:5]
	s_cbranch_execnz .LBB21_1019
	s_branch .LBB21_1020
.LBB21_3069:
	s_movk_i32 s4, 0x80
	v_cmp_eq_u16_sdwa s[12:13], v5, s4 src0_sel:BYTE_3 src1_sel:DWORD
	s_mov_b64 s[4:5], -1
                                        ; implicit-def: $sgpr10
	s_and_saveexec_b64 s[8:9], s[12:13]
; %bb.3070:
	s_mov_b32 s10, 0x7f800001
	s_xor_b64 s[4:5], exec, -1
; %bb.3071:
	s_or_b64 exec, exec, s[8:9]
	s_and_b64 s[4:5], s[4:5], exec
	s_or_saveexec_b64 s[6:7], s[6:7]
	v_mov_b32_e32 v3, s10
	s_xor_b64 exec, exec, s[6:7]
	s_cbranch_execz .LBB21_1022
.LBB21_3072:
	v_mov_b32_e32 v3, 0
	v_cmp_ne_u16_sdwa s[8:9], v5, v3 src0_sel:BYTE_3 src1_sel:DWORD
	s_andn2_b64 s[4:5], s[4:5], exec
	s_and_b64 s[8:9], s[8:9], exec
	s_or_b64 s[4:5], s[4:5], s[8:9]
	s_or_b64 exec, exec, s[6:7]
	s_and_saveexec_b64 s[6:7], s[4:5]
	s_cbranch_execnz .LBB21_1023
	s_branch .LBB21_1024
.LBB21_3073:
	s_movk_i32 s4, 0x80
	v_cmp_eq_u16_sdwa s[12:13], v14, s4 src0_sel:BYTE_0 src1_sel:DWORD
	s_mov_b64 s[4:5], -1
                                        ; implicit-def: $sgpr10
	s_and_saveexec_b64 s[8:9], s[12:13]
; %bb.3074:
	s_mov_b32 s10, 0x7f800001
	s_xor_b64 s[4:5], exec, -1
; %bb.3075:
	s_or_b64 exec, exec, s[8:9]
	s_and_b64 s[4:5], s[4:5], exec
	s_or_saveexec_b64 s[6:7], s[6:7]
	v_mov_b32_e32 v20, s10
	s_xor_b64 exec, exec, s[6:7]
	s_cbranch_execz .LBB21_1026
.LBB21_3076:
	v_mov_b32_e32 v20, 0
	v_cmp_ne_u16_sdwa s[8:9], v14, v20 src0_sel:BYTE_0 src1_sel:DWORD
	s_andn2_b64 s[4:5], s[4:5], exec
	s_and_b64 s[8:9], s[8:9], exec
	s_or_b64 s[4:5], s[4:5], s[8:9]
	s_or_b64 exec, exec, s[6:7]
	s_and_saveexec_b64 s[6:7], s[4:5]
	s_cbranch_execnz .LBB21_1027
	s_branch .LBB21_1028
.LBB21_3077:
	s_movk_i32 s4, 0x80
	v_cmp_eq_u16_sdwa s[12:13], v10, s4 src0_sel:BYTE_0 src1_sel:DWORD
	s_mov_b64 s[4:5], -1
                                        ; implicit-def: $sgpr10
	s_and_saveexec_b64 s[8:9], s[12:13]
; %bb.3078:
	s_mov_b32 s10, 0x7f800001
	s_xor_b64 s[4:5], exec, -1
; %bb.3079:
	s_or_b64 exec, exec, s[8:9]
	s_and_b64 s[4:5], s[4:5], exec
	s_or_saveexec_b64 s[6:7], s[6:7]
	v_mov_b32_e32 v21, s10
	s_xor_b64 exec, exec, s[6:7]
	s_cbranch_execz .LBB21_1030
.LBB21_3080:
	v_mov_b32_e32 v21, 0
	v_cmp_ne_u16_sdwa s[8:9], v10, v21 src0_sel:BYTE_0 src1_sel:DWORD
	s_andn2_b64 s[4:5], s[4:5], exec
	s_and_b64 s[8:9], s[8:9], exec
	s_or_b64 s[4:5], s[4:5], s[8:9]
	s_or_b64 exec, exec, s[6:7]
	s_and_saveexec_b64 s[6:7], s[4:5]
	s_cbranch_execnz .LBB21_1031
	s_branch .LBB21_1032
.LBB21_3081:
	s_movk_i32 s4, 0x80
	v_cmp_eq_u16_sdwa s[12:13], v21, s4 src0_sel:BYTE_0 src1_sel:DWORD
	s_mov_b64 s[4:5], -1
                                        ; implicit-def: $sgpr10
	s_and_saveexec_b64 s[8:9], s[12:13]
; %bb.3082:
	s_mov_b32 s10, 0x7f800001
	s_xor_b64 s[4:5], exec, -1
; %bb.3083:
	s_or_b64 exec, exec, s[8:9]
	s_and_b64 s[4:5], s[4:5], exec
	s_or_saveexec_b64 s[6:7], s[6:7]
	v_mov_b32_e32 v20, s10
	s_xor_b64 exec, exec, s[6:7]
	s_cbranch_execz .LBB21_1034
.LBB21_3084:
	v_mov_b32_e32 v20, 0
	v_cmp_ne_u16_sdwa s[8:9], v21, v20 src0_sel:BYTE_0 src1_sel:DWORD
	s_andn2_b64 s[4:5], s[4:5], exec
	s_and_b64 s[8:9], s[8:9], exec
	s_or_b64 s[4:5], s[4:5], s[8:9]
	s_or_b64 exec, exec, s[6:7]
	s_and_saveexec_b64 s[6:7], s[4:5]
	s_cbranch_execnz .LBB21_1035
	s_branch .LBB21_1036
.LBB21_3085:
	s_movk_i32 s4, 0x80
	v_cmp_eq_u16_sdwa s[12:13], v21, s4 src0_sel:BYTE_0 src1_sel:DWORD
	s_mov_b64 s[4:5], -1
                                        ; implicit-def: $sgpr10
	s_and_saveexec_b64 s[8:9], s[12:13]
; %bb.3086:
	s_mov_b32 s10, 0x7f800001
	s_xor_b64 s[4:5], exec, -1
; %bb.3087:
	s_or_b64 exec, exec, s[8:9]
	s_and_b64 s[4:5], s[4:5], exec
	s_or_saveexec_b64 s[6:7], s[6:7]
	v_mov_b32_e32 v22, s10
	s_xor_b64 exec, exec, s[6:7]
	s_cbranch_execz .LBB21_1038
.LBB21_3088:
	v_mov_b32_e32 v22, 0
	v_cmp_ne_u16_sdwa s[8:9], v21, v22 src0_sel:BYTE_0 src1_sel:DWORD
	s_andn2_b64 s[4:5], s[4:5], exec
	s_and_b64 s[8:9], s[8:9], exec
	s_or_b64 s[4:5], s[4:5], s[8:9]
	s_or_b64 exec, exec, s[6:7]
	s_and_saveexec_b64 s[6:7], s[4:5]
	s_cbranch_execnz .LBB21_1039
	s_branch .LBB21_1040
.LBB21_3089:
	s_movk_i32 s4, 0x80
	v_cmp_eq_u16_e32 vcc, s4, v21
	s_mov_b64 s[4:5], -1
                                        ; implicit-def: $sgpr10
	s_and_saveexec_b64 s[8:9], vcc
; %bb.3090:
	s_mov_b32 s10, 0x7f800001
	s_xor_b64 s[4:5], exec, -1
; %bb.3091:
	s_or_b64 exec, exec, s[8:9]
	s_and_b64 s[4:5], s[4:5], exec
                                        ; implicit-def: $vgpr21
	s_or_saveexec_b64 s[6:7], s[6:7]
	v_mov_b32_e32 v20, s10
	s_xor_b64 exec, exec, s[6:7]
	s_cbranch_execz .LBB21_1042
.LBB21_3092:
	v_cmp_ne_u16_e32 vcc, 0, v21
	s_andn2_b64 s[4:5], s[4:5], exec
	s_and_b64 s[8:9], vcc, exec
	v_mov_b32_e32 v20, 0
	s_or_b64 s[4:5], s[4:5], s[8:9]
	s_or_b64 exec, exec, s[6:7]
	s_and_saveexec_b64 s[6:7], s[4:5]
	s_cbranch_execnz .LBB21_1043
	s_branch .LBB21_1044
.LBB21_3093:
	s_movk_i32 s4, 0x80
	v_cmp_eq_u16_e32 vcc, s4, v21
	s_mov_b64 s[4:5], -1
                                        ; implicit-def: $sgpr10
	s_and_saveexec_b64 s[8:9], vcc
; %bb.3094:
	s_mov_b32 s10, 0x7f800001
	s_xor_b64 s[4:5], exec, -1
; %bb.3095:
	s_or_b64 exec, exec, s[8:9]
	s_and_b64 s[4:5], s[4:5], exec
                                        ; implicit-def: $vgpr21
	s_or_saveexec_b64 s[6:7], s[6:7]
	v_mov_b32_e32 v22, s10
	s_xor_b64 exec, exec, s[6:7]
	s_cbranch_execz .LBB21_1046
.LBB21_3096:
	v_cmp_ne_u16_e32 vcc, 0, v21
	s_andn2_b64 s[4:5], s[4:5], exec
	s_and_b64 s[8:9], vcc, exec
	v_mov_b32_e32 v22, 0
	s_or_b64 s[4:5], s[4:5], s[8:9]
	s_or_b64 exec, exec, s[6:7]
	s_and_saveexec_b64 s[6:7], s[4:5]
	s_cbranch_execnz .LBB21_1047
	s_branch .LBB21_1048
.LBB21_3097:
	s_movk_i32 s4, 0x80
	v_cmp_eq_u16_sdwa s[12:13], v14, s4 src0_sel:BYTE_3 src1_sel:DWORD
	s_mov_b64 s[4:5], -1
                                        ; implicit-def: $sgpr10
	s_and_saveexec_b64 s[8:9], s[12:13]
; %bb.3098:
	s_mov_b32 s10, 0x7f800001
	s_xor_b64 s[4:5], exec, -1
; %bb.3099:
	s_or_b64 exec, exec, s[8:9]
	s_and_b64 s[4:5], s[4:5], exec
	s_or_saveexec_b64 s[6:7], s[6:7]
	v_mov_b32_e32 v20, s10
	s_xor_b64 exec, exec, s[6:7]
	s_cbranch_execz .LBB21_1050
.LBB21_3100:
	v_mov_b32_e32 v20, 0
	v_cmp_ne_u16_sdwa s[8:9], v14, v20 src0_sel:BYTE_3 src1_sel:DWORD
	s_andn2_b64 s[4:5], s[4:5], exec
	s_and_b64 s[8:9], s[8:9], exec
	s_or_b64 s[4:5], s[4:5], s[8:9]
	s_or_b64 exec, exec, s[6:7]
	s_and_saveexec_b64 s[6:7], s[4:5]
	s_cbranch_execnz .LBB21_1051
	s_branch .LBB21_1052
.LBB21_3101:
	s_movk_i32 s4, 0x80
	v_cmp_eq_u16_sdwa s[12:13], v10, s4 src0_sel:BYTE_3 src1_sel:DWORD
	s_mov_b64 s[4:5], -1
                                        ; implicit-def: $sgpr10
	s_and_saveexec_b64 s[8:9], s[12:13]
; %bb.3102:
	s_mov_b32 s10, 0x7f800001
	s_xor_b64 s[4:5], exec, -1
; %bb.3103:
	s_or_b64 exec, exec, s[8:9]
	s_and_b64 s[4:5], s[4:5], exec
	s_or_saveexec_b64 s[6:7], s[6:7]
	v_mov_b32_e32 v14, s10
	s_xor_b64 exec, exec, s[6:7]
	s_cbranch_execz .LBB21_1054
.LBB21_3104:
	v_mov_b32_e32 v14, 0
	v_cmp_ne_u16_sdwa s[8:9], v10, v14 src0_sel:BYTE_3 src1_sel:DWORD
	s_andn2_b64 s[4:5], s[4:5], exec
	s_and_b64 s[8:9], s[8:9], exec
	s_or_b64 s[4:5], s[4:5], s[8:9]
	s_or_b64 exec, exec, s[6:7]
	s_and_saveexec_b64 s[6:7], s[4:5]
	s_cbranch_execnz .LBB21_1055
	s_branch .LBB21_1056
.LBB21_3105:
	s_movk_i32 s4, 0x80
	v_cmp_eq_u16_sdwa s[12:13], v15, s4 src0_sel:BYTE_0 src1_sel:DWORD
	s_mov_b64 s[4:5], -1
                                        ; implicit-def: $sgpr10
	s_and_saveexec_b64 s[8:9], s[12:13]
; %bb.3106:
	s_mov_b32 s10, 0x7f800001
	s_xor_b64 s[4:5], exec, -1
; %bb.3107:
	s_or_b64 exec, exec, s[8:9]
	s_and_b64 s[4:5], s[4:5], exec
	s_or_saveexec_b64 s[6:7], s[6:7]
	v_mov_b32_e32 v10, s10
	s_xor_b64 exec, exec, s[6:7]
	s_cbranch_execz .LBB21_1058
.LBB21_3108:
	v_mov_b32_e32 v10, 0
	v_cmp_ne_u16_sdwa s[8:9], v15, v10 src0_sel:BYTE_0 src1_sel:DWORD
	s_andn2_b64 s[4:5], s[4:5], exec
	s_and_b64 s[8:9], s[8:9], exec
	s_or_b64 s[4:5], s[4:5], s[8:9]
	s_or_b64 exec, exec, s[6:7]
	s_and_saveexec_b64 s[6:7], s[4:5]
	s_cbranch_execnz .LBB21_1059
	s_branch .LBB21_1060
.LBB21_3109:
	s_movk_i32 s4, 0x80
	v_cmp_eq_u16_sdwa s[12:13], v11, s4 src0_sel:BYTE_0 src1_sel:DWORD
	s_mov_b64 s[4:5], -1
                                        ; implicit-def: $sgpr10
	s_and_saveexec_b64 s[8:9], s[12:13]
; %bb.3110:
	s_mov_b32 s10, 0x7f800001
	s_xor_b64 s[4:5], exec, -1
; %bb.3111:
	s_or_b64 exec, exec, s[8:9]
	s_and_b64 s[4:5], s[4:5], exec
	s_or_saveexec_b64 s[6:7], s[6:7]
	v_mov_b32_e32 v14, s10
	s_xor_b64 exec, exec, s[6:7]
	s_cbranch_execz .LBB21_1062
.LBB21_3112:
	v_mov_b32_e32 v14, 0
	v_cmp_ne_u16_sdwa s[8:9], v11, v14 src0_sel:BYTE_0 src1_sel:DWORD
	s_andn2_b64 s[4:5], s[4:5], exec
	s_and_b64 s[8:9], s[8:9], exec
	s_or_b64 s[4:5], s[4:5], s[8:9]
	s_or_b64 exec, exec, s[6:7]
	s_and_saveexec_b64 s[6:7], s[4:5]
	s_cbranch_execnz .LBB21_1063
	s_branch .LBB21_1064
.LBB21_3113:
	s_movk_i32 s4, 0x80
	v_cmp_eq_u16_sdwa s[12:13], v14, s4 src0_sel:BYTE_0 src1_sel:DWORD
	s_mov_b64 s[4:5], -1
                                        ; implicit-def: $sgpr10
	s_and_saveexec_b64 s[8:9], s[12:13]
; %bb.3114:
	s_mov_b32 s10, 0x7f800001
	s_xor_b64 s[4:5], exec, -1
; %bb.3115:
	s_or_b64 exec, exec, s[8:9]
	s_and_b64 s[4:5], s[4:5], exec
	s_or_saveexec_b64 s[6:7], s[6:7]
	v_mov_b32_e32 v10, s10
	s_xor_b64 exec, exec, s[6:7]
	s_cbranch_execz .LBB21_1066
.LBB21_3116:
	v_mov_b32_e32 v10, 0
	v_cmp_ne_u16_sdwa s[8:9], v14, v10 src0_sel:BYTE_0 src1_sel:DWORD
	s_andn2_b64 s[4:5], s[4:5], exec
	s_and_b64 s[8:9], s[8:9], exec
	s_or_b64 s[4:5], s[4:5], s[8:9]
	s_or_b64 exec, exec, s[6:7]
	s_and_saveexec_b64 s[6:7], s[4:5]
	s_cbranch_execnz .LBB21_1067
	s_branch .LBB21_1068
.LBB21_3117:
	s_movk_i32 s4, 0x80
	v_cmp_eq_u16_sdwa s[12:13], v14, s4 src0_sel:BYTE_0 src1_sel:DWORD
	s_mov_b64 s[4:5], -1
                                        ; implicit-def: $sgpr10
	s_and_saveexec_b64 s[8:9], s[12:13]
; %bb.3118:
	s_mov_b32 s10, 0x7f800001
	s_xor_b64 s[4:5], exec, -1
; %bb.3119:
	s_or_b64 exec, exec, s[8:9]
	s_and_b64 s[4:5], s[4:5], exec
	s_or_saveexec_b64 s[6:7], s[6:7]
	v_mov_b32_e32 v20, s10
	s_xor_b64 exec, exec, s[6:7]
	s_cbranch_execz .LBB21_1070
.LBB21_3120:
	v_mov_b32_e32 v20, 0
	v_cmp_ne_u16_sdwa s[8:9], v14, v20 src0_sel:BYTE_0 src1_sel:DWORD
	s_andn2_b64 s[4:5], s[4:5], exec
	s_and_b64 s[8:9], s[8:9], exec
	s_or_b64 s[4:5], s[4:5], s[8:9]
	s_or_b64 exec, exec, s[6:7]
	s_and_saveexec_b64 s[6:7], s[4:5]
	s_cbranch_execnz .LBB21_1071
	s_branch .LBB21_1072
.LBB21_3121:
	s_movk_i32 s4, 0x80
	v_cmp_eq_u16_e32 vcc, s4, v14
	s_mov_b64 s[4:5], -1
                                        ; implicit-def: $sgpr10
	s_and_saveexec_b64 s[8:9], vcc
; %bb.3122:
	s_mov_b32 s10, 0x7f800001
	s_xor_b64 s[4:5], exec, -1
; %bb.3123:
	s_or_b64 exec, exec, s[8:9]
	s_and_b64 s[4:5], s[4:5], exec
                                        ; implicit-def: $vgpr14
	s_or_saveexec_b64 s[6:7], s[6:7]
	v_mov_b32_e32 v10, s10
	s_xor_b64 exec, exec, s[6:7]
	s_cbranch_execz .LBB21_1074
.LBB21_3124:
	v_cmp_ne_u16_e32 vcc, 0, v14
	s_andn2_b64 s[4:5], s[4:5], exec
	s_and_b64 s[8:9], vcc, exec
	v_mov_b32_e32 v10, 0
	s_or_b64 s[4:5], s[4:5], s[8:9]
	s_or_b64 exec, exec, s[6:7]
	s_and_saveexec_b64 s[6:7], s[4:5]
	s_cbranch_execnz .LBB21_1075
	s_branch .LBB21_1076
.LBB21_3125:
	s_movk_i32 s4, 0x80
	v_cmp_eq_u16_e32 vcc, s4, v14
	s_mov_b64 s[4:5], -1
                                        ; implicit-def: $sgpr10
	s_and_saveexec_b64 s[8:9], vcc
; %bb.3126:
	s_mov_b32 s10, 0x7f800001
	s_xor_b64 s[4:5], exec, -1
; %bb.3127:
	s_or_b64 exec, exec, s[8:9]
	s_and_b64 s[4:5], s[4:5], exec
                                        ; implicit-def: $vgpr14
	s_or_saveexec_b64 s[6:7], s[6:7]
	v_mov_b32_e32 v20, s10
	s_xor_b64 exec, exec, s[6:7]
	s_cbranch_execz .LBB21_1078
.LBB21_3128:
	v_cmp_ne_u16_e32 vcc, 0, v14
	s_andn2_b64 s[4:5], s[4:5], exec
	s_and_b64 s[8:9], vcc, exec
	v_mov_b32_e32 v20, 0
	s_or_b64 s[4:5], s[4:5], s[8:9]
	s_or_b64 exec, exec, s[6:7]
	s_and_saveexec_b64 s[6:7], s[4:5]
	s_cbranch_execnz .LBB21_1079
	s_branch .LBB21_1080
.LBB21_3129:
	s_movk_i32 s4, 0x80
	v_cmp_eq_u16_sdwa s[12:13], v15, s4 src0_sel:BYTE_3 src1_sel:DWORD
	s_mov_b64 s[4:5], -1
                                        ; implicit-def: $sgpr10
	s_and_saveexec_b64 s[8:9], s[12:13]
; %bb.3130:
	s_mov_b32 s10, 0x7f800001
	s_xor_b64 s[4:5], exec, -1
; %bb.3131:
	s_or_b64 exec, exec, s[8:9]
	s_and_b64 s[4:5], s[4:5], exec
	s_or_saveexec_b64 s[6:7], s[6:7]
	v_mov_b32_e32 v10, s10
	s_xor_b64 exec, exec, s[6:7]
	s_cbranch_execz .LBB21_1082
.LBB21_3132:
	v_mov_b32_e32 v10, 0
	v_cmp_ne_u16_sdwa s[8:9], v15, v10 src0_sel:BYTE_3 src1_sel:DWORD
	s_andn2_b64 s[4:5], s[4:5], exec
	s_and_b64 s[8:9], s[8:9], exec
	s_or_b64 s[4:5], s[4:5], s[8:9]
	s_or_b64 exec, exec, s[6:7]
	s_and_saveexec_b64 s[6:7], s[4:5]
	s_cbranch_execnz .LBB21_1083
	s_branch .LBB21_1084
.LBB21_3133:
	s_movk_i32 s4, 0x80
	v_cmp_eq_u16_sdwa s[12:13], v11, s4 src0_sel:BYTE_3 src1_sel:DWORD
	s_mov_b64 s[4:5], -1
                                        ; implicit-def: $sgpr10
	s_and_saveexec_b64 s[8:9], s[12:13]
; %bb.3134:
	s_mov_b32 s10, 0x7f800001
	s_xor_b64 s[4:5], exec, -1
; %bb.3135:
	s_or_b64 exec, exec, s[8:9]
	s_and_b64 s[4:5], s[4:5], exec
	s_or_saveexec_b64 s[6:7], s[6:7]
	v_mov_b32_e32 v14, s10
	s_xor_b64 exec, exec, s[6:7]
	s_cbranch_execz .LBB21_1086
.LBB21_3136:
	v_mov_b32_e32 v14, 0
	v_cmp_ne_u16_sdwa s[8:9], v11, v14 src0_sel:BYTE_3 src1_sel:DWORD
	s_andn2_b64 s[4:5], s[4:5], exec
	s_and_b64 s[8:9], s[8:9], exec
	s_or_b64 s[4:5], s[4:5], s[8:9]
	s_or_b64 exec, exec, s[6:7]
	s_and_saveexec_b64 s[6:7], s[4:5]
	s_cbranch_execnz .LBB21_1087
	s_branch .LBB21_1088
.LBB21_3137:
	s_movk_i32 s4, 0x80
	v_cmp_eq_u16_sdwa s[12:13], v16, s4 src0_sel:BYTE_0 src1_sel:DWORD
	s_mov_b64 s[4:5], -1
                                        ; implicit-def: $sgpr10
	s_and_saveexec_b64 s[8:9], s[12:13]
; %bb.3138:
	s_mov_b32 s10, 0x7f800001
	s_xor_b64 s[4:5], exec, -1
; %bb.3139:
	s_or_b64 exec, exec, s[8:9]
	s_and_b64 s[4:5], s[4:5], exec
	s_or_saveexec_b64 s[6:7], s[6:7]
	v_mov_b32_e32 v10, s10
	s_xor_b64 exec, exec, s[6:7]
	s_cbranch_execz .LBB21_1090
.LBB21_3140:
	v_mov_b32_e32 v10, 0
	v_cmp_ne_u16_sdwa s[8:9], v16, v10 src0_sel:BYTE_0 src1_sel:DWORD
	s_andn2_b64 s[4:5], s[4:5], exec
	s_and_b64 s[8:9], s[8:9], exec
	s_or_b64 s[4:5], s[4:5], s[8:9]
	s_or_b64 exec, exec, s[6:7]
	s_and_saveexec_b64 s[6:7], s[4:5]
	s_cbranch_execnz .LBB21_1091
	s_branch .LBB21_1092
.LBB21_3141:
	s_movk_i32 s4, 0x80
	v_cmp_eq_u16_sdwa s[12:13], v12, s4 src0_sel:BYTE_0 src1_sel:DWORD
	s_mov_b64 s[4:5], -1
                                        ; implicit-def: $sgpr10
	s_and_saveexec_b64 s[8:9], s[12:13]
; %bb.3142:
	s_mov_b32 s10, 0x7f800001
	s_xor_b64 s[4:5], exec, -1
; %bb.3143:
	s_or_b64 exec, exec, s[8:9]
	s_and_b64 s[4:5], s[4:5], exec
	s_or_saveexec_b64 s[6:7], s[6:7]
	v_mov_b32_e32 v11, s10
	s_xor_b64 exec, exec, s[6:7]
	s_cbranch_execz .LBB21_1094
.LBB21_3144:
	v_mov_b32_e32 v11, 0
	v_cmp_ne_u16_sdwa s[8:9], v12, v11 src0_sel:BYTE_0 src1_sel:DWORD
	s_andn2_b64 s[4:5], s[4:5], exec
	s_and_b64 s[8:9], s[8:9], exec
	s_or_b64 s[4:5], s[4:5], s[8:9]
	s_or_b64 exec, exec, s[6:7]
	s_and_saveexec_b64 s[6:7], s[4:5]
	s_cbranch_execnz .LBB21_1095
	s_branch .LBB21_1096
.LBB21_3145:
	s_movk_i32 s4, 0x80
	v_cmp_eq_u16_sdwa s[12:13], v11, s4 src0_sel:BYTE_0 src1_sel:DWORD
	s_mov_b64 s[4:5], -1
                                        ; implicit-def: $sgpr10
	s_and_saveexec_b64 s[8:9], s[12:13]
; %bb.3146:
	s_mov_b32 s10, 0x7f800001
	s_xor_b64 s[4:5], exec, -1
; %bb.3147:
	s_or_b64 exec, exec, s[8:9]
	s_and_b64 s[4:5], s[4:5], exec
	s_or_saveexec_b64 s[6:7], s[6:7]
	v_mov_b32_e32 v10, s10
	s_xor_b64 exec, exec, s[6:7]
	s_cbranch_execz .LBB21_1098
.LBB21_3148:
	v_mov_b32_e32 v10, 0
	v_cmp_ne_u16_sdwa s[8:9], v11, v10 src0_sel:BYTE_0 src1_sel:DWORD
	s_andn2_b64 s[4:5], s[4:5], exec
	s_and_b64 s[8:9], s[8:9], exec
	s_or_b64 s[4:5], s[4:5], s[8:9]
	s_or_b64 exec, exec, s[6:7]
	s_and_saveexec_b64 s[6:7], s[4:5]
	s_cbranch_execnz .LBB21_1099
	s_branch .LBB21_1100
.LBB21_3149:
	s_movk_i32 s4, 0x80
	v_cmp_eq_u16_sdwa s[12:13], v11, s4 src0_sel:BYTE_0 src1_sel:DWORD
	s_mov_b64 s[4:5], -1
                                        ; implicit-def: $sgpr10
	s_and_saveexec_b64 s[8:9], s[12:13]
; %bb.3150:
	s_mov_b32 s10, 0x7f800001
	s_xor_b64 s[4:5], exec, -1
; %bb.3151:
	s_or_b64 exec, exec, s[8:9]
	s_and_b64 s[4:5], s[4:5], exec
	s_or_saveexec_b64 s[6:7], s[6:7]
	v_mov_b32_e32 v14, s10
	s_xor_b64 exec, exec, s[6:7]
	s_cbranch_execz .LBB21_1102
.LBB21_3152:
	v_mov_b32_e32 v14, 0
	v_cmp_ne_u16_sdwa s[8:9], v11, v14 src0_sel:BYTE_0 src1_sel:DWORD
	s_andn2_b64 s[4:5], s[4:5], exec
	s_and_b64 s[8:9], s[8:9], exec
	s_or_b64 s[4:5], s[4:5], s[8:9]
	s_or_b64 exec, exec, s[6:7]
	s_and_saveexec_b64 s[6:7], s[4:5]
	s_cbranch_execnz .LBB21_1103
	s_branch .LBB21_1104
.LBB21_3153:
	s_movk_i32 s4, 0x80
	v_cmp_eq_u16_e32 vcc, s4, v11
	s_mov_b64 s[4:5], -1
                                        ; implicit-def: $sgpr10
	s_and_saveexec_b64 s[8:9], vcc
; %bb.3154:
	s_mov_b32 s10, 0x7f800001
	s_xor_b64 s[4:5], exec, -1
; %bb.3155:
	s_or_b64 exec, exec, s[8:9]
	s_and_b64 s[4:5], s[4:5], exec
                                        ; implicit-def: $vgpr11
	s_or_saveexec_b64 s[6:7], s[6:7]
	v_mov_b32_e32 v10, s10
	s_xor_b64 exec, exec, s[6:7]
	s_cbranch_execz .LBB21_1106
.LBB21_3156:
	v_cmp_ne_u16_e32 vcc, 0, v11
	s_andn2_b64 s[4:5], s[4:5], exec
	s_and_b64 s[8:9], vcc, exec
	v_mov_b32_e32 v10, 0
	s_or_b64 s[4:5], s[4:5], s[8:9]
	s_or_b64 exec, exec, s[6:7]
	s_and_saveexec_b64 s[6:7], s[4:5]
	s_cbranch_execnz .LBB21_1107
	s_branch .LBB21_1108
.LBB21_3157:
	s_movk_i32 s4, 0x80
	v_cmp_eq_u16_e32 vcc, s4, v11
	s_mov_b64 s[4:5], -1
                                        ; implicit-def: $sgpr10
	s_and_saveexec_b64 s[8:9], vcc
; %bb.3158:
	s_mov_b32 s10, 0x7f800001
	s_xor_b64 s[4:5], exec, -1
; %bb.3159:
	s_or_b64 exec, exec, s[8:9]
	s_and_b64 s[4:5], s[4:5], exec
                                        ; implicit-def: $vgpr11
	s_or_saveexec_b64 s[6:7], s[6:7]
	v_mov_b32_e32 v14, s10
	s_xor_b64 exec, exec, s[6:7]
	s_cbranch_execz .LBB21_1110
.LBB21_3160:
	v_cmp_ne_u16_e32 vcc, 0, v11
	s_andn2_b64 s[4:5], s[4:5], exec
	s_and_b64 s[8:9], vcc, exec
	v_mov_b32_e32 v14, 0
	s_or_b64 s[4:5], s[4:5], s[8:9]
	s_or_b64 exec, exec, s[6:7]
	s_and_saveexec_b64 s[6:7], s[4:5]
	s_cbranch_execnz .LBB21_1111
	s_branch .LBB21_1112
.LBB21_3161:
	s_movk_i32 s4, 0x80
	v_cmp_eq_u16_sdwa s[12:13], v16, s4 src0_sel:BYTE_3 src1_sel:DWORD
	s_mov_b64 s[4:5], -1
                                        ; implicit-def: $sgpr10
	s_and_saveexec_b64 s[8:9], s[12:13]
; %bb.3162:
	s_mov_b32 s10, 0x7f800001
	s_xor_b64 s[4:5], exec, -1
; %bb.3163:
	s_or_b64 exec, exec, s[8:9]
	s_and_b64 s[4:5], s[4:5], exec
	s_or_saveexec_b64 s[6:7], s[6:7]
	v_mov_b32_e32 v10, s10
	s_xor_b64 exec, exec, s[6:7]
	s_cbranch_execz .LBB21_1114
.LBB21_3164:
	v_mov_b32_e32 v10, 0
	v_cmp_ne_u16_sdwa s[8:9], v16, v10 src0_sel:BYTE_3 src1_sel:DWORD
	s_andn2_b64 s[4:5], s[4:5], exec
	s_and_b64 s[8:9], s[8:9], exec
	s_or_b64 s[4:5], s[4:5], s[8:9]
	s_or_b64 exec, exec, s[6:7]
	s_and_saveexec_b64 s[6:7], s[4:5]
	s_cbranch_execnz .LBB21_1115
	s_branch .LBB21_1116
.LBB21_3165:
	s_movk_i32 s4, 0x80
	v_cmp_eq_u16_sdwa s[12:13], v12, s4 src0_sel:BYTE_3 src1_sel:DWORD
	s_mov_b64 s[4:5], -1
                                        ; implicit-def: $sgpr10
	s_and_saveexec_b64 s[8:9], s[12:13]
; %bb.3166:
	s_mov_b32 s10, 0x7f800001
	s_xor_b64 s[4:5], exec, -1
; %bb.3167:
	s_or_b64 exec, exec, s[8:9]
	s_and_b64 s[4:5], s[4:5], exec
	s_or_saveexec_b64 s[6:7], s[6:7]
	v_mov_b32_e32 v11, s10
	s_xor_b64 exec, exec, s[6:7]
	s_cbranch_execz .LBB21_1118
.LBB21_3168:
	v_mov_b32_e32 v11, 0
	v_cmp_ne_u16_sdwa s[8:9], v12, v11 src0_sel:BYTE_3 src1_sel:DWORD
	s_andn2_b64 s[4:5], s[4:5], exec
	s_and_b64 s[8:9], s[8:9], exec
	s_or_b64 s[4:5], s[4:5], s[8:9]
	s_or_b64 exec, exec, s[6:7]
	s_and_saveexec_b64 s[6:7], s[4:5]
	s_cbranch_execnz .LBB21_1119
	s_branch .LBB21_1120
.LBB21_3169:
	s_movk_i32 s4, 0x80
	v_cmp_eq_u16_sdwa s[12:13], v17, s4 src0_sel:BYTE_0 src1_sel:DWORD
	s_mov_b64 s[4:5], -1
                                        ; implicit-def: $sgpr10
	s_and_saveexec_b64 s[8:9], s[12:13]
; %bb.3170:
	s_mov_b32 s10, 0x7f800001
	s_xor_b64 s[4:5], exec, -1
; %bb.3171:
	s_or_b64 exec, exec, s[8:9]
	s_and_b64 s[4:5], s[4:5], exec
	s_or_saveexec_b64 s[6:7], s[6:7]
	v_mov_b32_e32 v10, s10
	s_xor_b64 exec, exec, s[6:7]
	s_cbranch_execz .LBB21_1122
.LBB21_3172:
	v_mov_b32_e32 v10, 0
	v_cmp_ne_u16_sdwa s[8:9], v17, v10 src0_sel:BYTE_0 src1_sel:DWORD
	s_andn2_b64 s[4:5], s[4:5], exec
	s_and_b64 s[8:9], s[8:9], exec
	s_or_b64 s[4:5], s[4:5], s[8:9]
	s_or_b64 exec, exec, s[6:7]
	s_and_saveexec_b64 s[6:7], s[4:5]
	s_cbranch_execnz .LBB21_1123
	s_branch .LBB21_1124
.LBB21_3173:
	s_movk_i32 s4, 0x80
	v_cmp_eq_u16_sdwa s[12:13], v13, s4 src0_sel:BYTE_0 src1_sel:DWORD
	s_mov_b64 s[4:5], -1
                                        ; implicit-def: $sgpr10
	s_and_saveexec_b64 s[8:9], s[12:13]
; %bb.3174:
	s_mov_b32 s10, 0x7f800001
	s_xor_b64 s[4:5], exec, -1
; %bb.3175:
	s_or_b64 exec, exec, s[8:9]
	s_and_b64 s[4:5], s[4:5], exec
	s_or_saveexec_b64 s[6:7], s[6:7]
	v_mov_b32_e32 v11, s10
	s_xor_b64 exec, exec, s[6:7]
	s_cbranch_execz .LBB21_1126
.LBB21_3176:
	v_mov_b32_e32 v11, 0
	v_cmp_ne_u16_sdwa s[8:9], v13, v11 src0_sel:BYTE_0 src1_sel:DWORD
	s_andn2_b64 s[4:5], s[4:5], exec
	s_and_b64 s[8:9], s[8:9], exec
	s_or_b64 s[4:5], s[4:5], s[8:9]
	s_or_b64 exec, exec, s[6:7]
	s_and_saveexec_b64 s[6:7], s[4:5]
	s_cbranch_execnz .LBB21_1127
	s_branch .LBB21_1128
.LBB21_3177:
	s_movk_i32 s4, 0x80
	v_cmp_eq_u16_sdwa s[12:13], v11, s4 src0_sel:BYTE_0 src1_sel:DWORD
	s_mov_b64 s[4:5], -1
                                        ; implicit-def: $sgpr10
	s_and_saveexec_b64 s[8:9], s[12:13]
; %bb.3178:
	s_mov_b32 s10, 0x7f800001
	s_xor_b64 s[4:5], exec, -1
; %bb.3179:
	s_or_b64 exec, exec, s[8:9]
	s_and_b64 s[4:5], s[4:5], exec
	s_or_saveexec_b64 s[6:7], s[6:7]
	v_mov_b32_e32 v10, s10
	s_xor_b64 exec, exec, s[6:7]
	s_cbranch_execz .LBB21_1130
.LBB21_3180:
	v_mov_b32_e32 v10, 0
	v_cmp_ne_u16_sdwa s[8:9], v11, v10 src0_sel:BYTE_0 src1_sel:DWORD
	s_andn2_b64 s[4:5], s[4:5], exec
	s_and_b64 s[8:9], s[8:9], exec
	s_or_b64 s[4:5], s[4:5], s[8:9]
	s_or_b64 exec, exec, s[6:7]
	s_and_saveexec_b64 s[6:7], s[4:5]
	s_cbranch_execnz .LBB21_1131
	s_branch .LBB21_1132
.LBB21_3181:
	s_movk_i32 s4, 0x80
	v_cmp_eq_u16_sdwa s[12:13], v11, s4 src0_sel:BYTE_0 src1_sel:DWORD
	s_mov_b64 s[4:5], -1
                                        ; implicit-def: $sgpr10
	s_and_saveexec_b64 s[8:9], s[12:13]
; %bb.3182:
	s_mov_b32 s10, 0x7f800001
	s_xor_b64 s[4:5], exec, -1
; %bb.3183:
	s_or_b64 exec, exec, s[8:9]
	s_and_b64 s[4:5], s[4:5], exec
	s_or_saveexec_b64 s[6:7], s[6:7]
	v_mov_b32_e32 v12, s10
	s_xor_b64 exec, exec, s[6:7]
	s_cbranch_execz .LBB21_1134
.LBB21_3184:
	v_mov_b32_e32 v12, 0
	v_cmp_ne_u16_sdwa s[8:9], v11, v12 src0_sel:BYTE_0 src1_sel:DWORD
	s_andn2_b64 s[4:5], s[4:5], exec
	s_and_b64 s[8:9], s[8:9], exec
	s_or_b64 s[4:5], s[4:5], s[8:9]
	s_or_b64 exec, exec, s[6:7]
	s_and_saveexec_b64 s[6:7], s[4:5]
	s_cbranch_execnz .LBB21_1135
	s_branch .LBB21_1136
.LBB21_3185:
	s_movk_i32 s4, 0x80
	v_cmp_eq_u16_e32 vcc, s4, v11
	s_mov_b64 s[4:5], -1
                                        ; implicit-def: $sgpr10
	s_and_saveexec_b64 s[8:9], vcc
; %bb.3186:
	s_mov_b32 s10, 0x7f800001
	s_xor_b64 s[4:5], exec, -1
; %bb.3187:
	s_or_b64 exec, exec, s[8:9]
	s_and_b64 s[4:5], s[4:5], exec
                                        ; implicit-def: $vgpr11
	s_or_saveexec_b64 s[6:7], s[6:7]
	v_mov_b32_e32 v10, s10
	s_xor_b64 exec, exec, s[6:7]
	s_cbranch_execz .LBB21_1138
.LBB21_3188:
	v_cmp_ne_u16_e32 vcc, 0, v11
	s_andn2_b64 s[4:5], s[4:5], exec
	s_and_b64 s[8:9], vcc, exec
	v_mov_b32_e32 v10, 0
	s_or_b64 s[4:5], s[4:5], s[8:9]
	s_or_b64 exec, exec, s[6:7]
	s_and_saveexec_b64 s[6:7], s[4:5]
	s_cbranch_execnz .LBB21_1139
	s_branch .LBB21_1140
.LBB21_3189:
	s_movk_i32 s4, 0x80
	v_cmp_eq_u16_e32 vcc, s4, v11
	s_mov_b64 s[4:5], -1
                                        ; implicit-def: $sgpr10
	s_and_saveexec_b64 s[8:9], vcc
; %bb.3190:
	s_mov_b32 s10, 0x7f800001
	s_xor_b64 s[4:5], exec, -1
; %bb.3191:
	s_or_b64 exec, exec, s[8:9]
	s_and_b64 s[4:5], s[4:5], exec
                                        ; implicit-def: $vgpr11
	s_or_saveexec_b64 s[6:7], s[6:7]
	v_mov_b32_e32 v12, s10
	s_xor_b64 exec, exec, s[6:7]
	s_cbranch_execz .LBB21_1142
.LBB21_3192:
	v_cmp_ne_u16_e32 vcc, 0, v11
	s_andn2_b64 s[4:5], s[4:5], exec
	s_and_b64 s[8:9], vcc, exec
	v_mov_b32_e32 v12, 0
	s_or_b64 s[4:5], s[4:5], s[8:9]
	s_or_b64 exec, exec, s[6:7]
	s_and_saveexec_b64 s[6:7], s[4:5]
	s_cbranch_execnz .LBB21_1143
	s_branch .LBB21_1144
.LBB21_3193:
	s_movk_i32 s4, 0x80
	v_cmp_eq_u16_sdwa s[12:13], v17, s4 src0_sel:BYTE_3 src1_sel:DWORD
	s_mov_b64 s[4:5], -1
                                        ; implicit-def: $sgpr10
	s_and_saveexec_b64 s[8:9], s[12:13]
; %bb.3194:
	s_mov_b32 s10, 0x7f800001
	s_xor_b64 s[4:5], exec, -1
; %bb.3195:
	s_or_b64 exec, exec, s[8:9]
	s_and_b64 s[4:5], s[4:5], exec
	s_or_saveexec_b64 s[6:7], s[6:7]
	v_mov_b32_e32 v10, s10
	s_xor_b64 exec, exec, s[6:7]
	s_cbranch_execz .LBB21_1146
.LBB21_3196:
	v_mov_b32_e32 v10, 0
	v_cmp_ne_u16_sdwa s[8:9], v17, v10 src0_sel:BYTE_3 src1_sel:DWORD
	s_andn2_b64 s[4:5], s[4:5], exec
	s_and_b64 s[8:9], s[8:9], exec
	s_or_b64 s[4:5], s[4:5], s[8:9]
	s_or_b64 exec, exec, s[6:7]
	s_and_saveexec_b64 s[6:7], s[4:5]
	s_cbranch_execnz .LBB21_1147
	s_branch .LBB21_1148
.LBB21_3197:
	s_movk_i32 s4, 0x80
	v_cmp_eq_u16_sdwa s[12:13], v13, s4 src0_sel:BYTE_3 src1_sel:DWORD
	s_mov_b64 s[4:5], -1
                                        ; implicit-def: $sgpr10
	s_and_saveexec_b64 s[8:9], s[12:13]
; %bb.3198:
	s_mov_b32 s10, 0x7f800001
	s_xor_b64 s[4:5], exec, -1
; %bb.3199:
	s_or_b64 exec, exec, s[8:9]
	s_and_b64 s[4:5], s[4:5], exec
	s_or_saveexec_b64 s[6:7], s[6:7]
	v_mov_b32_e32 v11, s10
	s_xor_b64 exec, exec, s[6:7]
	s_cbranch_execz .LBB21_1150
.LBB21_3200:
	v_mov_b32_e32 v11, 0
	v_cmp_ne_u16_sdwa s[8:9], v13, v11 src0_sel:BYTE_3 src1_sel:DWORD
	s_andn2_b64 s[4:5], s[4:5], exec
	s_and_b64 s[8:9], s[8:9], exec
	s_or_b64 s[4:5], s[4:5], s[8:9]
	s_or_b64 exec, exec, s[6:7]
	s_and_saveexec_b64 s[6:7], s[4:5]
	s_cbranch_execnz .LBB21_1151
	s_branch .LBB21_1152
.LBB21_3201:
	s_movk_i32 s4, 0x80
	v_cmp_eq_u16_sdwa s[12:13], v6, s4 src0_sel:BYTE_0 src1_sel:DWORD
	s_mov_b64 s[4:5], -1
                                        ; implicit-def: $sgpr10
	s_and_saveexec_b64 s[8:9], s[12:13]
; %bb.3202:
	s_mov_b32 s10, 0x7f800001
	s_xor_b64 s[4:5], exec, -1
; %bb.3203:
	s_or_b64 exec, exec, s[8:9]
	s_and_b64 s[4:5], s[4:5], exec
	s_or_saveexec_b64 s[6:7], s[6:7]
	v_mov_b32_e32 v10, s10
	s_xor_b64 exec, exec, s[6:7]
	s_cbranch_execz .LBB21_1154
.LBB21_3204:
	v_mov_b32_e32 v10, 0
	v_cmp_ne_u16_sdwa s[8:9], v6, v10 src0_sel:BYTE_0 src1_sel:DWORD
	s_andn2_b64 s[4:5], s[4:5], exec
	s_and_b64 s[8:9], s[8:9], exec
	s_or_b64 s[4:5], s[4:5], s[8:9]
	s_or_b64 exec, exec, s[6:7]
	s_and_saveexec_b64 s[6:7], s[4:5]
	s_cbranch_execnz .LBB21_1155
	s_branch .LBB21_1156
.LBB21_3205:
	s_movk_i32 s4, 0x80
	v_cmp_eq_u16_sdwa s[12:13], v2, s4 src0_sel:BYTE_0 src1_sel:DWORD
	s_mov_b64 s[4:5], -1
                                        ; implicit-def: $sgpr10
	s_and_saveexec_b64 s[8:9], s[12:13]
; %bb.3206:
	s_mov_b32 s10, 0x7f800001
	s_xor_b64 s[4:5], exec, -1
; %bb.3207:
	s_or_b64 exec, exec, s[8:9]
	s_and_b64 s[4:5], s[4:5], exec
	s_or_saveexec_b64 s[6:7], s[6:7]
	v_mov_b32_e32 v11, s10
	s_xor_b64 exec, exec, s[6:7]
	s_cbranch_execz .LBB21_1158
.LBB21_3208:
	v_mov_b32_e32 v11, 0
	v_cmp_ne_u16_sdwa s[8:9], v2, v11 src0_sel:BYTE_0 src1_sel:DWORD
	s_andn2_b64 s[4:5], s[4:5], exec
	s_and_b64 s[8:9], s[8:9], exec
	s_or_b64 s[4:5], s[4:5], s[8:9]
	s_or_b64 exec, exec, s[6:7]
	s_and_saveexec_b64 s[6:7], s[4:5]
	s_cbranch_execnz .LBB21_1159
	s_branch .LBB21_1160
.LBB21_3209:
	s_movk_i32 s4, 0x80
	v_cmp_eq_u16_sdwa s[12:13], v11, s4 src0_sel:BYTE_0 src1_sel:DWORD
	s_mov_b64 s[4:5], -1
                                        ; implicit-def: $sgpr10
	s_and_saveexec_b64 s[8:9], s[12:13]
; %bb.3210:
	s_mov_b32 s10, 0x7f800001
	s_xor_b64 s[4:5], exec, -1
; %bb.3211:
	s_or_b64 exec, exec, s[8:9]
	s_and_b64 s[4:5], s[4:5], exec
	s_or_saveexec_b64 s[6:7], s[6:7]
	v_mov_b32_e32 v10, s10
	s_xor_b64 exec, exec, s[6:7]
	s_cbranch_execz .LBB21_1162
.LBB21_3212:
	v_mov_b32_e32 v10, 0
	v_cmp_ne_u16_sdwa s[8:9], v11, v10 src0_sel:BYTE_0 src1_sel:DWORD
	s_andn2_b64 s[4:5], s[4:5], exec
	s_and_b64 s[8:9], s[8:9], exec
	s_or_b64 s[4:5], s[4:5], s[8:9]
	s_or_b64 exec, exec, s[6:7]
	s_and_saveexec_b64 s[6:7], s[4:5]
	s_cbranch_execnz .LBB21_1163
	s_branch .LBB21_1164
.LBB21_3213:
	s_movk_i32 s4, 0x80
	v_cmp_eq_u16_sdwa s[12:13], v11, s4 src0_sel:BYTE_0 src1_sel:DWORD
	s_mov_b64 s[4:5], -1
                                        ; implicit-def: $sgpr10
	s_and_saveexec_b64 s[8:9], s[12:13]
; %bb.3214:
	s_mov_b32 s10, 0x7f800001
	s_xor_b64 s[4:5], exec, -1
; %bb.3215:
	s_or_b64 exec, exec, s[8:9]
	s_and_b64 s[4:5], s[4:5], exec
	s_or_saveexec_b64 s[6:7], s[6:7]
	v_mov_b32_e32 v12, s10
	s_xor_b64 exec, exec, s[6:7]
	s_cbranch_execz .LBB21_1166
.LBB21_3216:
	v_mov_b32_e32 v12, 0
	v_cmp_ne_u16_sdwa s[8:9], v11, v12 src0_sel:BYTE_0 src1_sel:DWORD
	s_andn2_b64 s[4:5], s[4:5], exec
	s_and_b64 s[8:9], s[8:9], exec
	s_or_b64 s[4:5], s[4:5], s[8:9]
	s_or_b64 exec, exec, s[6:7]
	s_and_saveexec_b64 s[6:7], s[4:5]
	s_cbranch_execnz .LBB21_1167
	s_branch .LBB21_1168
.LBB21_3217:
	s_movk_i32 s4, 0x80
	v_cmp_eq_u16_e32 vcc, s4, v11
	s_mov_b64 s[4:5], -1
                                        ; implicit-def: $sgpr10
	s_and_saveexec_b64 s[8:9], vcc
; %bb.3218:
	s_mov_b32 s10, 0x7f800001
	s_xor_b64 s[4:5], exec, -1
; %bb.3219:
	s_or_b64 exec, exec, s[8:9]
	s_and_b64 s[4:5], s[4:5], exec
                                        ; implicit-def: $vgpr11
	s_or_saveexec_b64 s[6:7], s[6:7]
	v_mov_b32_e32 v10, s10
	s_xor_b64 exec, exec, s[6:7]
	s_cbranch_execz .LBB21_1170
.LBB21_3220:
	v_cmp_ne_u16_e32 vcc, 0, v11
	s_andn2_b64 s[4:5], s[4:5], exec
	s_and_b64 s[8:9], vcc, exec
	v_mov_b32_e32 v10, 0
	s_or_b64 s[4:5], s[4:5], s[8:9]
	s_or_b64 exec, exec, s[6:7]
	s_and_saveexec_b64 s[6:7], s[4:5]
	s_cbranch_execnz .LBB21_1171
	s_branch .LBB21_1172
.LBB21_3221:
	s_movk_i32 s4, 0x80
	v_cmp_eq_u16_e32 vcc, s4, v11
	s_mov_b64 s[4:5], -1
                                        ; implicit-def: $sgpr10
	s_and_saveexec_b64 s[8:9], vcc
; %bb.3222:
	s_mov_b32 s10, 0x7f800001
	s_xor_b64 s[4:5], exec, -1
; %bb.3223:
	s_or_b64 exec, exec, s[8:9]
	s_and_b64 s[4:5], s[4:5], exec
                                        ; implicit-def: $vgpr11
	s_or_saveexec_b64 s[6:7], s[6:7]
	v_mov_b32_e32 v12, s10
	s_xor_b64 exec, exec, s[6:7]
	s_cbranch_execz .LBB21_1174
.LBB21_3224:
	v_cmp_ne_u16_e32 vcc, 0, v11
	s_andn2_b64 s[4:5], s[4:5], exec
	s_and_b64 s[8:9], vcc, exec
	v_mov_b32_e32 v12, 0
	s_or_b64 s[4:5], s[4:5], s[8:9]
	s_or_b64 exec, exec, s[6:7]
	s_and_saveexec_b64 s[6:7], s[4:5]
	s_cbranch_execnz .LBB21_1175
	s_branch .LBB21_1176
.LBB21_3225:
	s_movk_i32 s4, 0x80
	v_cmp_eq_u16_sdwa s[12:13], v6, s4 src0_sel:BYTE_3 src1_sel:DWORD
	s_mov_b64 s[4:5], -1
                                        ; implicit-def: $sgpr10
	s_and_saveexec_b64 s[8:9], s[12:13]
; %bb.3226:
	s_mov_b32 s10, 0x7f800001
	s_xor_b64 s[4:5], exec, -1
; %bb.3227:
	s_or_b64 exec, exec, s[8:9]
	s_and_b64 s[4:5], s[4:5], exec
	s_or_saveexec_b64 s[6:7], s[6:7]
	v_mov_b32_e32 v10, s10
	s_xor_b64 exec, exec, s[6:7]
	s_cbranch_execz .LBB21_1178
.LBB21_3228:
	v_mov_b32_e32 v10, 0
	v_cmp_ne_u16_sdwa s[8:9], v6, v10 src0_sel:BYTE_3 src1_sel:DWORD
	s_andn2_b64 s[4:5], s[4:5], exec
	s_and_b64 s[8:9], s[8:9], exec
	s_or_b64 s[4:5], s[4:5], s[8:9]
	s_or_b64 exec, exec, s[6:7]
	s_and_saveexec_b64 s[6:7], s[4:5]
	s_cbranch_execnz .LBB21_1179
	s_branch .LBB21_1180
.LBB21_3229:
	s_movk_i32 s4, 0x80
	v_cmp_eq_u16_sdwa s[12:13], v2, s4 src0_sel:BYTE_3 src1_sel:DWORD
	s_mov_b64 s[4:5], -1
                                        ; implicit-def: $sgpr10
	s_and_saveexec_b64 s[8:9], s[12:13]
; %bb.3230:
	s_mov_b32 s10, 0x7f800001
	s_xor_b64 s[4:5], exec, -1
; %bb.3231:
	s_or_b64 exec, exec, s[8:9]
	s_and_b64 s[4:5], s[4:5], exec
	s_or_saveexec_b64 s[6:7], s[6:7]
	v_mov_b32_e32 v6, s10
	s_xor_b64 exec, exec, s[6:7]
	s_cbranch_execz .LBB21_1182
.LBB21_3232:
	v_mov_b32_e32 v6, 0
	v_cmp_ne_u16_sdwa s[8:9], v2, v6 src0_sel:BYTE_3 src1_sel:DWORD
	s_andn2_b64 s[4:5], s[4:5], exec
	s_and_b64 s[8:9], s[8:9], exec
	s_or_b64 s[4:5], s[4:5], s[8:9]
	s_or_b64 exec, exec, s[6:7]
	s_and_saveexec_b64 s[6:7], s[4:5]
	s_cbranch_execnz .LBB21_1183
	s_branch .LBB21_1184
.LBB21_3233:
	s_movk_i32 s4, 0x80
	v_cmp_eq_u16_sdwa s[12:13], v7, s4 src0_sel:BYTE_0 src1_sel:DWORD
	s_mov_b64 s[4:5], -1
                                        ; implicit-def: $sgpr10
	s_and_saveexec_b64 s[8:9], s[12:13]
; %bb.3234:
	s_mov_b32 s10, 0x7f800001
	s_xor_b64 s[4:5], exec, -1
; %bb.3235:
	s_or_b64 exec, exec, s[8:9]
	s_and_b64 s[4:5], s[4:5], exec
	s_or_saveexec_b64 s[6:7], s[6:7]
	v_mov_b32_e32 v2, s10
	s_xor_b64 exec, exec, s[6:7]
	s_cbranch_execz .LBB21_1186
.LBB21_3236:
	v_mov_b32_e32 v2, 0
	v_cmp_ne_u16_sdwa s[8:9], v7, v2 src0_sel:BYTE_0 src1_sel:DWORD
	s_andn2_b64 s[4:5], s[4:5], exec
	s_and_b64 s[8:9], s[8:9], exec
	s_or_b64 s[4:5], s[4:5], s[8:9]
	s_or_b64 exec, exec, s[6:7]
	s_and_saveexec_b64 s[6:7], s[4:5]
	s_cbranch_execnz .LBB21_1187
	s_branch .LBB21_1188
.LBB21_3237:
	s_movk_i32 s4, 0x80
	v_cmp_eq_u16_sdwa s[12:13], v3, s4 src0_sel:BYTE_0 src1_sel:DWORD
	s_mov_b64 s[4:5], -1
                                        ; implicit-def: $sgpr10
	s_and_saveexec_b64 s[8:9], s[12:13]
; %bb.3238:
	s_mov_b32 s10, 0x7f800001
	s_xor_b64 s[4:5], exec, -1
; %bb.3239:
	s_or_b64 exec, exec, s[8:9]
	s_and_b64 s[4:5], s[4:5], exec
	s_or_saveexec_b64 s[6:7], s[6:7]
	v_mov_b32_e32 v6, s10
	s_xor_b64 exec, exec, s[6:7]
	s_cbranch_execz .LBB21_1190
.LBB21_3240:
	v_mov_b32_e32 v6, 0
	v_cmp_ne_u16_sdwa s[8:9], v3, v6 src0_sel:BYTE_0 src1_sel:DWORD
	s_andn2_b64 s[4:5], s[4:5], exec
	s_and_b64 s[8:9], s[8:9], exec
	s_or_b64 s[4:5], s[4:5], s[8:9]
	s_or_b64 exec, exec, s[6:7]
	s_and_saveexec_b64 s[6:7], s[4:5]
	s_cbranch_execnz .LBB21_1191
	s_branch .LBB21_1192
.LBB21_3241:
	s_movk_i32 s4, 0x80
	v_cmp_eq_u16_sdwa s[12:13], v6, s4 src0_sel:BYTE_0 src1_sel:DWORD
	s_mov_b64 s[4:5], -1
                                        ; implicit-def: $sgpr10
	s_and_saveexec_b64 s[8:9], s[12:13]
; %bb.3242:
	s_mov_b32 s10, 0x7f800001
	s_xor_b64 s[4:5], exec, -1
; %bb.3243:
	s_or_b64 exec, exec, s[8:9]
	s_and_b64 s[4:5], s[4:5], exec
	s_or_saveexec_b64 s[6:7], s[6:7]
	v_mov_b32_e32 v2, s10
	s_xor_b64 exec, exec, s[6:7]
	s_cbranch_execz .LBB21_1194
.LBB21_3244:
	v_mov_b32_e32 v2, 0
	v_cmp_ne_u16_sdwa s[8:9], v6, v2 src0_sel:BYTE_0 src1_sel:DWORD
	s_andn2_b64 s[4:5], s[4:5], exec
	s_and_b64 s[8:9], s[8:9], exec
	s_or_b64 s[4:5], s[4:5], s[8:9]
	s_or_b64 exec, exec, s[6:7]
	s_and_saveexec_b64 s[6:7], s[4:5]
	s_cbranch_execnz .LBB21_1195
	s_branch .LBB21_1196
.LBB21_3245:
	s_movk_i32 s4, 0x80
	v_cmp_eq_u16_sdwa s[12:13], v6, s4 src0_sel:BYTE_0 src1_sel:DWORD
	s_mov_b64 s[4:5], -1
                                        ; implicit-def: $sgpr10
	s_and_saveexec_b64 s[8:9], s[12:13]
; %bb.3246:
	s_mov_b32 s10, 0x7f800001
	s_xor_b64 s[4:5], exec, -1
; %bb.3247:
	s_or_b64 exec, exec, s[8:9]
	s_and_b64 s[4:5], s[4:5], exec
	s_or_saveexec_b64 s[6:7], s[6:7]
	v_mov_b32_e32 v10, s10
	s_xor_b64 exec, exec, s[6:7]
	s_cbranch_execz .LBB21_1198
.LBB21_3248:
	v_mov_b32_e32 v10, 0
	v_cmp_ne_u16_sdwa s[8:9], v6, v10 src0_sel:BYTE_0 src1_sel:DWORD
	s_andn2_b64 s[4:5], s[4:5], exec
	s_and_b64 s[8:9], s[8:9], exec
	s_or_b64 s[4:5], s[4:5], s[8:9]
	s_or_b64 exec, exec, s[6:7]
	s_and_saveexec_b64 s[6:7], s[4:5]
	s_cbranch_execnz .LBB21_1199
	s_branch .LBB21_1200
.LBB21_3249:
	s_movk_i32 s4, 0x80
	v_cmp_eq_u16_e32 vcc, s4, v6
	s_mov_b64 s[4:5], -1
                                        ; implicit-def: $sgpr10
	s_and_saveexec_b64 s[8:9], vcc
; %bb.3250:
	s_mov_b32 s10, 0x7f800001
	s_xor_b64 s[4:5], exec, -1
; %bb.3251:
	s_or_b64 exec, exec, s[8:9]
	s_and_b64 s[4:5], s[4:5], exec
                                        ; implicit-def: $vgpr6
	s_or_saveexec_b64 s[6:7], s[6:7]
	v_mov_b32_e32 v2, s10
	s_xor_b64 exec, exec, s[6:7]
	s_cbranch_execz .LBB21_1202
.LBB21_3252:
	v_cmp_ne_u16_e32 vcc, 0, v6
	s_andn2_b64 s[4:5], s[4:5], exec
	s_and_b64 s[8:9], vcc, exec
	v_mov_b32_e32 v2, 0
	s_or_b64 s[4:5], s[4:5], s[8:9]
	s_or_b64 exec, exec, s[6:7]
	s_and_saveexec_b64 s[6:7], s[4:5]
	s_cbranch_execnz .LBB21_1203
	s_branch .LBB21_1204
.LBB21_3253:
	s_movk_i32 s4, 0x80
	v_cmp_eq_u16_e32 vcc, s4, v6
	s_mov_b64 s[4:5], -1
                                        ; implicit-def: $sgpr10
	s_and_saveexec_b64 s[8:9], vcc
; %bb.3254:
	s_mov_b32 s10, 0x7f800001
	s_xor_b64 s[4:5], exec, -1
; %bb.3255:
	s_or_b64 exec, exec, s[8:9]
	s_and_b64 s[4:5], s[4:5], exec
                                        ; implicit-def: $vgpr6
	s_or_saveexec_b64 s[6:7], s[6:7]
	v_mov_b32_e32 v10, s10
	s_xor_b64 exec, exec, s[6:7]
	s_cbranch_execz .LBB21_1206
.LBB21_3256:
	v_cmp_ne_u16_e32 vcc, 0, v6
	s_andn2_b64 s[4:5], s[4:5], exec
	s_and_b64 s[8:9], vcc, exec
	v_mov_b32_e32 v10, 0
	s_or_b64 s[4:5], s[4:5], s[8:9]
	s_or_b64 exec, exec, s[6:7]
	s_and_saveexec_b64 s[6:7], s[4:5]
	s_cbranch_execnz .LBB21_1207
	s_branch .LBB21_1208
.LBB21_3257:
	s_movk_i32 s4, 0x80
	v_cmp_eq_u16_sdwa s[12:13], v7, s4 src0_sel:BYTE_3 src1_sel:DWORD
	s_mov_b64 s[4:5], -1
                                        ; implicit-def: $sgpr10
	s_and_saveexec_b64 s[8:9], s[12:13]
; %bb.3258:
	s_mov_b32 s10, 0x7f800001
	s_xor_b64 s[4:5], exec, -1
; %bb.3259:
	s_or_b64 exec, exec, s[8:9]
	s_and_b64 s[4:5], s[4:5], exec
	s_or_saveexec_b64 s[6:7], s[6:7]
	v_mov_b32_e32 v2, s10
	s_xor_b64 exec, exec, s[6:7]
	s_cbranch_execz .LBB21_1210
.LBB21_3260:
	v_mov_b32_e32 v2, 0
	v_cmp_ne_u16_sdwa s[8:9], v7, v2 src0_sel:BYTE_3 src1_sel:DWORD
	s_andn2_b64 s[4:5], s[4:5], exec
	s_and_b64 s[8:9], s[8:9], exec
	s_or_b64 s[4:5], s[4:5], s[8:9]
	s_or_b64 exec, exec, s[6:7]
	s_and_saveexec_b64 s[6:7], s[4:5]
	s_cbranch_execnz .LBB21_1211
	s_branch .LBB21_1212
.LBB21_3261:
	s_movk_i32 s4, 0x80
	v_cmp_eq_u16_sdwa s[12:13], v3, s4 src0_sel:BYTE_3 src1_sel:DWORD
	s_mov_b64 s[4:5], -1
                                        ; implicit-def: $sgpr10
	s_and_saveexec_b64 s[8:9], s[12:13]
; %bb.3262:
	s_mov_b32 s10, 0x7f800001
	s_xor_b64 s[4:5], exec, -1
; %bb.3263:
	s_or_b64 exec, exec, s[8:9]
	s_and_b64 s[4:5], s[4:5], exec
	s_or_saveexec_b64 s[6:7], s[6:7]
	v_mov_b32_e32 v6, s10
	s_xor_b64 exec, exec, s[6:7]
	s_cbranch_execz .LBB21_1214
.LBB21_3264:
	v_mov_b32_e32 v6, 0
	v_cmp_ne_u16_sdwa s[8:9], v3, v6 src0_sel:BYTE_3 src1_sel:DWORD
	s_andn2_b64 s[4:5], s[4:5], exec
	s_and_b64 s[8:9], s[8:9], exec
	s_or_b64 s[4:5], s[4:5], s[8:9]
	s_or_b64 exec, exec, s[6:7]
	s_and_saveexec_b64 s[6:7], s[4:5]
	s_cbranch_execnz .LBB21_1215
	s_branch .LBB21_1216
.LBB21_3265:
	s_movk_i32 s4, 0x80
	v_cmp_eq_u16_sdwa s[12:13], v8, s4 src0_sel:BYTE_0 src1_sel:DWORD
	s_mov_b64 s[4:5], -1
                                        ; implicit-def: $sgpr10
	s_and_saveexec_b64 s[8:9], s[12:13]
; %bb.3266:
	s_mov_b32 s10, 0x7f800001
	s_xor_b64 s[4:5], exec, -1
; %bb.3267:
	s_or_b64 exec, exec, s[8:9]
	s_and_b64 s[4:5], s[4:5], exec
	s_or_saveexec_b64 s[6:7], s[6:7]
	v_mov_b32_e32 v2, s10
	s_xor_b64 exec, exec, s[6:7]
	s_cbranch_execz .LBB21_1218
.LBB21_3268:
	v_mov_b32_e32 v2, 0
	v_cmp_ne_u16_sdwa s[8:9], v8, v2 src0_sel:BYTE_0 src1_sel:DWORD
	s_andn2_b64 s[4:5], s[4:5], exec
	s_and_b64 s[8:9], s[8:9], exec
	s_or_b64 s[4:5], s[4:5], s[8:9]
	s_or_b64 exec, exec, s[6:7]
	s_and_saveexec_b64 s[6:7], s[4:5]
	s_cbranch_execnz .LBB21_1219
	s_branch .LBB21_1220
.LBB21_3269:
	s_movk_i32 s4, 0x80
	v_cmp_eq_u16_sdwa s[12:13], v4, s4 src0_sel:BYTE_0 src1_sel:DWORD
	s_mov_b64 s[4:5], -1
                                        ; implicit-def: $sgpr10
	s_and_saveexec_b64 s[8:9], s[12:13]
; %bb.3270:
	s_mov_b32 s10, 0x7f800001
	s_xor_b64 s[4:5], exec, -1
; %bb.3271:
	s_or_b64 exec, exec, s[8:9]
	s_and_b64 s[4:5], s[4:5], exec
	s_or_saveexec_b64 s[6:7], s[6:7]
	v_mov_b32_e32 v3, s10
	s_xor_b64 exec, exec, s[6:7]
	s_cbranch_execz .LBB21_1222
.LBB21_3272:
	v_mov_b32_e32 v3, 0
	v_cmp_ne_u16_sdwa s[8:9], v4, v3 src0_sel:BYTE_0 src1_sel:DWORD
	s_andn2_b64 s[4:5], s[4:5], exec
	s_and_b64 s[8:9], s[8:9], exec
	s_or_b64 s[4:5], s[4:5], s[8:9]
	s_or_b64 exec, exec, s[6:7]
	s_and_saveexec_b64 s[6:7], s[4:5]
	s_cbranch_execnz .LBB21_1223
	s_branch .LBB21_1224
.LBB21_3273:
	s_movk_i32 s4, 0x80
	v_cmp_eq_u16_sdwa s[12:13], v3, s4 src0_sel:BYTE_0 src1_sel:DWORD
	s_mov_b64 s[4:5], -1
                                        ; implicit-def: $sgpr10
	s_and_saveexec_b64 s[8:9], s[12:13]
; %bb.3274:
	s_mov_b32 s10, 0x7f800001
	s_xor_b64 s[4:5], exec, -1
; %bb.3275:
	s_or_b64 exec, exec, s[8:9]
	s_and_b64 s[4:5], s[4:5], exec
	s_or_saveexec_b64 s[6:7], s[6:7]
	v_mov_b32_e32 v2, s10
	s_xor_b64 exec, exec, s[6:7]
	s_cbranch_execz .LBB21_1226
.LBB21_3276:
	v_mov_b32_e32 v2, 0
	v_cmp_ne_u16_sdwa s[8:9], v3, v2 src0_sel:BYTE_0 src1_sel:DWORD
	s_andn2_b64 s[4:5], s[4:5], exec
	s_and_b64 s[8:9], s[8:9], exec
	s_or_b64 s[4:5], s[4:5], s[8:9]
	s_or_b64 exec, exec, s[6:7]
	s_and_saveexec_b64 s[6:7], s[4:5]
	s_cbranch_execnz .LBB21_1227
	s_branch .LBB21_1228
.LBB21_3277:
	s_movk_i32 s4, 0x80
	v_cmp_eq_u16_sdwa s[12:13], v3, s4 src0_sel:BYTE_0 src1_sel:DWORD
	s_mov_b64 s[4:5], -1
                                        ; implicit-def: $sgpr10
	s_and_saveexec_b64 s[8:9], s[12:13]
; %bb.3278:
	s_mov_b32 s10, 0x7f800001
	s_xor_b64 s[4:5], exec, -1
; %bb.3279:
	s_or_b64 exec, exec, s[8:9]
	s_and_b64 s[4:5], s[4:5], exec
	s_or_saveexec_b64 s[6:7], s[6:7]
	v_mov_b32_e32 v6, s10
	s_xor_b64 exec, exec, s[6:7]
	s_cbranch_execz .LBB21_1230
.LBB21_3280:
	v_mov_b32_e32 v6, 0
	v_cmp_ne_u16_sdwa s[8:9], v3, v6 src0_sel:BYTE_0 src1_sel:DWORD
	s_andn2_b64 s[4:5], s[4:5], exec
	s_and_b64 s[8:9], s[8:9], exec
	s_or_b64 s[4:5], s[4:5], s[8:9]
	s_or_b64 exec, exec, s[6:7]
	s_and_saveexec_b64 s[6:7], s[4:5]
	s_cbranch_execnz .LBB21_1231
	s_branch .LBB21_1232
.LBB21_3281:
	s_movk_i32 s4, 0x80
	v_cmp_eq_u16_e32 vcc, s4, v3
	s_mov_b64 s[4:5], -1
                                        ; implicit-def: $sgpr10
	s_and_saveexec_b64 s[8:9], vcc
; %bb.3282:
	s_mov_b32 s10, 0x7f800001
	s_xor_b64 s[4:5], exec, -1
; %bb.3283:
	s_or_b64 exec, exec, s[8:9]
	s_and_b64 s[4:5], s[4:5], exec
                                        ; implicit-def: $vgpr3
	s_or_saveexec_b64 s[6:7], s[6:7]
	v_mov_b32_e32 v2, s10
	s_xor_b64 exec, exec, s[6:7]
	s_cbranch_execz .LBB21_1234
.LBB21_3284:
	v_cmp_ne_u16_e32 vcc, 0, v3
	s_andn2_b64 s[4:5], s[4:5], exec
	s_and_b64 s[8:9], vcc, exec
	v_mov_b32_e32 v2, 0
	s_or_b64 s[4:5], s[4:5], s[8:9]
	s_or_b64 exec, exec, s[6:7]
	s_and_saveexec_b64 s[6:7], s[4:5]
	s_cbranch_execnz .LBB21_1235
	s_branch .LBB21_1236
.LBB21_3285:
	s_movk_i32 s4, 0x80
	v_cmp_eq_u16_e32 vcc, s4, v3
	s_mov_b64 s[4:5], -1
                                        ; implicit-def: $sgpr10
	s_and_saveexec_b64 s[8:9], vcc
; %bb.3286:
	s_mov_b32 s10, 0x7f800001
	s_xor_b64 s[4:5], exec, -1
; %bb.3287:
	s_or_b64 exec, exec, s[8:9]
	s_and_b64 s[4:5], s[4:5], exec
                                        ; implicit-def: $vgpr3
	s_or_saveexec_b64 s[6:7], s[6:7]
	v_mov_b32_e32 v6, s10
	s_xor_b64 exec, exec, s[6:7]
	s_cbranch_execz .LBB21_1238
.LBB21_3288:
	v_cmp_ne_u16_e32 vcc, 0, v3
	s_andn2_b64 s[4:5], s[4:5], exec
	s_and_b64 s[8:9], vcc, exec
	v_mov_b32_e32 v6, 0
	s_or_b64 s[4:5], s[4:5], s[8:9]
	s_or_b64 exec, exec, s[6:7]
	s_and_saveexec_b64 s[6:7], s[4:5]
	s_cbranch_execnz .LBB21_1239
	s_branch .LBB21_1240
.LBB21_3289:
	s_movk_i32 s4, 0x80
	v_cmp_eq_u16_sdwa s[12:13], v8, s4 src0_sel:BYTE_3 src1_sel:DWORD
	s_mov_b64 s[4:5], -1
                                        ; implicit-def: $sgpr10
	s_and_saveexec_b64 s[8:9], s[12:13]
; %bb.3290:
	s_mov_b32 s10, 0x7f800001
	s_xor_b64 s[4:5], exec, -1
; %bb.3291:
	s_or_b64 exec, exec, s[8:9]
	s_and_b64 s[4:5], s[4:5], exec
	s_or_saveexec_b64 s[6:7], s[6:7]
	v_mov_b32_e32 v2, s10
	s_xor_b64 exec, exec, s[6:7]
	s_cbranch_execz .LBB21_1242
.LBB21_3292:
	v_mov_b32_e32 v2, 0
	v_cmp_ne_u16_sdwa s[8:9], v8, v2 src0_sel:BYTE_3 src1_sel:DWORD
	s_andn2_b64 s[4:5], s[4:5], exec
	s_and_b64 s[8:9], s[8:9], exec
	s_or_b64 s[4:5], s[4:5], s[8:9]
	s_or_b64 exec, exec, s[6:7]
	s_and_saveexec_b64 s[6:7], s[4:5]
	s_cbranch_execnz .LBB21_1243
	s_branch .LBB21_1244
.LBB21_3293:
	s_movk_i32 s4, 0x80
	v_cmp_eq_u16_sdwa s[12:13], v4, s4 src0_sel:BYTE_3 src1_sel:DWORD
	s_mov_b64 s[4:5], -1
                                        ; implicit-def: $sgpr10
	s_and_saveexec_b64 s[8:9], s[12:13]
; %bb.3294:
	s_mov_b32 s10, 0x7f800001
	s_xor_b64 s[4:5], exec, -1
; %bb.3295:
	s_or_b64 exec, exec, s[8:9]
	s_and_b64 s[4:5], s[4:5], exec
	s_or_saveexec_b64 s[6:7], s[6:7]
	v_mov_b32_e32 v3, s10
	s_xor_b64 exec, exec, s[6:7]
	s_cbranch_execz .LBB21_1246
.LBB21_3296:
	v_mov_b32_e32 v3, 0
	v_cmp_ne_u16_sdwa s[8:9], v4, v3 src0_sel:BYTE_3 src1_sel:DWORD
	s_andn2_b64 s[4:5], s[4:5], exec
	s_and_b64 s[8:9], s[8:9], exec
	s_or_b64 s[4:5], s[4:5], s[8:9]
	s_or_b64 exec, exec, s[6:7]
	s_and_saveexec_b64 s[6:7], s[4:5]
	s_cbranch_execnz .LBB21_1247
	s_branch .LBB21_1248
.LBB21_3297:
	s_movk_i32 s4, 0x80
	v_cmp_eq_u16_sdwa s[12:13], v9, s4 src0_sel:BYTE_0 src1_sel:DWORD
	s_mov_b64 s[4:5], -1
                                        ; implicit-def: $sgpr10
	s_and_saveexec_b64 s[8:9], s[12:13]
; %bb.3298:
	s_mov_b32 s10, 0x7f800001
	s_xor_b64 s[4:5], exec, -1
; %bb.3299:
	s_or_b64 exec, exec, s[8:9]
	s_and_b64 s[4:5], s[4:5], exec
	s_or_saveexec_b64 s[6:7], s[6:7]
	v_mov_b32_e32 v2, s10
	s_xor_b64 exec, exec, s[6:7]
	s_cbranch_execz .LBB21_1250
.LBB21_3300:
	v_mov_b32_e32 v2, 0
	v_cmp_ne_u16_sdwa s[8:9], v9, v2 src0_sel:BYTE_0 src1_sel:DWORD
	s_andn2_b64 s[4:5], s[4:5], exec
	s_and_b64 s[8:9], s[8:9], exec
	s_or_b64 s[4:5], s[4:5], s[8:9]
	s_or_b64 exec, exec, s[6:7]
	s_and_saveexec_b64 s[6:7], s[4:5]
	s_cbranch_execnz .LBB21_1251
	s_branch .LBB21_1252
.LBB21_3301:
	s_movk_i32 s4, 0x80
	v_cmp_eq_u16_sdwa s[12:13], v5, s4 src0_sel:BYTE_0 src1_sel:DWORD
	s_mov_b64 s[4:5], -1
                                        ; implicit-def: $sgpr10
	s_and_saveexec_b64 s[8:9], s[12:13]
; %bb.3302:
	s_mov_b32 s10, 0x7f800001
	s_xor_b64 s[4:5], exec, -1
; %bb.3303:
	s_or_b64 exec, exec, s[8:9]
	s_and_b64 s[4:5], s[4:5], exec
	s_or_saveexec_b64 s[6:7], s[6:7]
	v_mov_b32_e32 v3, s10
	s_xor_b64 exec, exec, s[6:7]
	s_cbranch_execz .LBB21_1254
.LBB21_3304:
	v_mov_b32_e32 v3, 0
	v_cmp_ne_u16_sdwa s[8:9], v5, v3 src0_sel:BYTE_0 src1_sel:DWORD
	s_andn2_b64 s[4:5], s[4:5], exec
	s_and_b64 s[8:9], s[8:9], exec
	s_or_b64 s[4:5], s[4:5], s[8:9]
	s_or_b64 exec, exec, s[6:7]
	s_and_saveexec_b64 s[6:7], s[4:5]
	s_cbranch_execnz .LBB21_1255
	s_branch .LBB21_1256
.LBB21_3305:
	s_movk_i32 s4, 0x80
	v_cmp_eq_u16_sdwa s[12:13], v3, s4 src0_sel:BYTE_0 src1_sel:DWORD
	s_mov_b64 s[4:5], -1
                                        ; implicit-def: $sgpr10
	s_and_saveexec_b64 s[8:9], s[12:13]
; %bb.3306:
	s_mov_b32 s10, 0x7f800001
	s_xor_b64 s[4:5], exec, -1
; %bb.3307:
	s_or_b64 exec, exec, s[8:9]
	s_and_b64 s[4:5], s[4:5], exec
	s_or_saveexec_b64 s[6:7], s[6:7]
	v_mov_b32_e32 v2, s10
	s_xor_b64 exec, exec, s[6:7]
	s_cbranch_execz .LBB21_1258
.LBB21_3308:
	v_mov_b32_e32 v2, 0
	v_cmp_ne_u16_sdwa s[8:9], v3, v2 src0_sel:BYTE_0 src1_sel:DWORD
	s_andn2_b64 s[4:5], s[4:5], exec
	s_and_b64 s[8:9], s[8:9], exec
	s_or_b64 s[4:5], s[4:5], s[8:9]
	s_or_b64 exec, exec, s[6:7]
	s_and_saveexec_b64 s[6:7], s[4:5]
	s_cbranch_execnz .LBB21_1259
	s_branch .LBB21_1260
.LBB21_3309:
	s_movk_i32 s4, 0x80
	v_cmp_eq_u16_sdwa s[12:13], v3, s4 src0_sel:BYTE_0 src1_sel:DWORD
	s_mov_b64 s[4:5], -1
                                        ; implicit-def: $sgpr10
	s_and_saveexec_b64 s[8:9], s[12:13]
; %bb.3310:
	s_mov_b32 s10, 0x7f800001
	s_xor_b64 s[4:5], exec, -1
; %bb.3311:
	s_or_b64 exec, exec, s[8:9]
	s_and_b64 s[4:5], s[4:5], exec
	s_or_saveexec_b64 s[6:7], s[6:7]
	v_mov_b32_e32 v4, s10
	s_xor_b64 exec, exec, s[6:7]
	s_cbranch_execz .LBB21_1262
.LBB21_3312:
	v_mov_b32_e32 v4, 0
	v_cmp_ne_u16_sdwa s[8:9], v3, v4 src0_sel:BYTE_0 src1_sel:DWORD
	s_andn2_b64 s[4:5], s[4:5], exec
	s_and_b64 s[8:9], s[8:9], exec
	s_or_b64 s[4:5], s[4:5], s[8:9]
	s_or_b64 exec, exec, s[6:7]
	s_and_saveexec_b64 s[6:7], s[4:5]
	s_cbranch_execnz .LBB21_1263
	s_branch .LBB21_1264
.LBB21_3313:
	s_movk_i32 s4, 0x80
	v_cmp_eq_u16_e32 vcc, s4, v3
	s_mov_b64 s[4:5], -1
                                        ; implicit-def: $sgpr10
	s_and_saveexec_b64 s[8:9], vcc
; %bb.3314:
	s_mov_b32 s10, 0x7f800001
	s_xor_b64 s[4:5], exec, -1
; %bb.3315:
	s_or_b64 exec, exec, s[8:9]
	s_and_b64 s[4:5], s[4:5], exec
                                        ; implicit-def: $vgpr3
	s_or_saveexec_b64 s[6:7], s[6:7]
	v_mov_b32_e32 v2, s10
	s_xor_b64 exec, exec, s[6:7]
	s_cbranch_execz .LBB21_1266
.LBB21_3316:
	v_cmp_ne_u16_e32 vcc, 0, v3
	s_andn2_b64 s[4:5], s[4:5], exec
	s_and_b64 s[8:9], vcc, exec
	v_mov_b32_e32 v2, 0
	s_or_b64 s[4:5], s[4:5], s[8:9]
	s_or_b64 exec, exec, s[6:7]
	s_and_saveexec_b64 s[6:7], s[4:5]
	s_cbranch_execnz .LBB21_1267
	s_branch .LBB21_1268
.LBB21_3317:
	s_movk_i32 s4, 0x80
	v_cmp_eq_u16_e32 vcc, s4, v3
	s_mov_b64 s[4:5], -1
                                        ; implicit-def: $sgpr10
	s_and_saveexec_b64 s[8:9], vcc
; %bb.3318:
	s_mov_b32 s10, 0x7f800001
	s_xor_b64 s[4:5], exec, -1
; %bb.3319:
	s_or_b64 exec, exec, s[8:9]
	s_and_b64 s[4:5], s[4:5], exec
                                        ; implicit-def: $vgpr3
	s_or_saveexec_b64 s[6:7], s[6:7]
	v_mov_b32_e32 v4, s10
	s_xor_b64 exec, exec, s[6:7]
	s_cbranch_execz .LBB21_1270
.LBB21_3320:
	v_cmp_ne_u16_e32 vcc, 0, v3
	s_andn2_b64 s[4:5], s[4:5], exec
	s_and_b64 s[8:9], vcc, exec
	v_mov_b32_e32 v4, 0
	s_or_b64 s[4:5], s[4:5], s[8:9]
	s_or_b64 exec, exec, s[6:7]
	s_and_saveexec_b64 s[6:7], s[4:5]
	s_cbranch_execnz .LBB21_1271
	s_branch .LBB21_1272
.LBB21_3321:
	s_movk_i32 s4, 0x80
	v_cmp_eq_u16_sdwa s[12:13], v9, s4 src0_sel:BYTE_3 src1_sel:DWORD
	s_mov_b64 s[4:5], -1
                                        ; implicit-def: $sgpr10
	s_and_saveexec_b64 s[8:9], s[12:13]
; %bb.3322:
	s_mov_b32 s10, 0x7f800001
	s_xor_b64 s[4:5], exec, -1
; %bb.3323:
	s_or_b64 exec, exec, s[8:9]
	s_and_b64 s[4:5], s[4:5], exec
	s_or_saveexec_b64 s[6:7], s[6:7]
	v_mov_b32_e32 v2, s10
	s_xor_b64 exec, exec, s[6:7]
	s_cbranch_execz .LBB21_1274
.LBB21_3324:
	v_mov_b32_e32 v2, 0
	v_cmp_ne_u16_sdwa s[8:9], v9, v2 src0_sel:BYTE_3 src1_sel:DWORD
	s_andn2_b64 s[4:5], s[4:5], exec
	s_and_b64 s[8:9], s[8:9], exec
	s_or_b64 s[4:5], s[4:5], s[8:9]
	s_or_b64 exec, exec, s[6:7]
	s_and_saveexec_b64 s[6:7], s[4:5]
	s_cbranch_execnz .LBB21_1275
	s_branch .LBB21_1276
.LBB21_3325:
	s_movk_i32 s4, 0x80
	v_cmp_eq_u16_sdwa s[12:13], v5, s4 src0_sel:BYTE_3 src1_sel:DWORD
	s_mov_b64 s[4:5], -1
                                        ; implicit-def: $sgpr10
	s_and_saveexec_b64 s[8:9], s[12:13]
; %bb.3326:
	s_mov_b32 s10, 0x7f800001
	s_xor_b64 s[4:5], exec, -1
; %bb.3327:
	s_or_b64 exec, exec, s[8:9]
	s_and_b64 s[4:5], s[4:5], exec
	s_or_saveexec_b64 s[6:7], s[6:7]
	v_mov_b32_e32 v3, s10
	s_xor_b64 exec, exec, s[6:7]
	s_cbranch_execz .LBB21_1278
.LBB21_3328:
	v_mov_b32_e32 v3, 0
	v_cmp_ne_u16_sdwa s[8:9], v5, v3 src0_sel:BYTE_3 src1_sel:DWORD
	s_andn2_b64 s[4:5], s[4:5], exec
	s_and_b64 s[8:9], s[8:9], exec
	s_or_b64 s[4:5], s[4:5], s[8:9]
	s_or_b64 exec, exec, s[6:7]
	s_and_saveexec_b64 s[6:7], s[4:5]
	s_cbranch_execnz .LBB21_1279
	s_branch .LBB21_1280
.LBB21_3329:
	s_movk_i32 s4, 0x80
	v_cmp_eq_u16_sdwa s[12:13], v14, s4 src0_sel:BYTE_0 src1_sel:DWORD
	s_mov_b64 s[4:5], -1
                                        ; implicit-def: $sgpr10
	s_and_saveexec_b64 s[8:9], s[12:13]
; %bb.3330:
	s_mov_b32 s10, 0x7f800001
	s_xor_b64 s[4:5], exec, -1
; %bb.3331:
	s_or_b64 exec, exec, s[8:9]
	s_and_b64 s[4:5], s[4:5], exec
	s_or_saveexec_b64 s[6:7], s[6:7]
	v_mov_b32_e32 v20, s10
	s_xor_b64 exec, exec, s[6:7]
	s_cbranch_execz .LBB21_1282
.LBB21_3332:
	v_mov_b32_e32 v20, 0
	v_cmp_ne_u16_sdwa s[8:9], v14, v20 src0_sel:BYTE_0 src1_sel:DWORD
	s_andn2_b64 s[4:5], s[4:5], exec
	s_and_b64 s[8:9], s[8:9], exec
	s_or_b64 s[4:5], s[4:5], s[8:9]
	s_or_b64 exec, exec, s[6:7]
	s_and_saveexec_b64 s[6:7], s[4:5]
	s_cbranch_execnz .LBB21_1283
	s_branch .LBB21_1284
.LBB21_3333:
	s_movk_i32 s4, 0x80
	v_cmp_eq_u16_sdwa s[12:13], v10, s4 src0_sel:BYTE_0 src1_sel:DWORD
	s_mov_b64 s[4:5], -1
                                        ; implicit-def: $sgpr10
	s_and_saveexec_b64 s[8:9], s[12:13]
; %bb.3334:
	s_mov_b32 s10, 0x7f800001
	s_xor_b64 s[4:5], exec, -1
; %bb.3335:
	s_or_b64 exec, exec, s[8:9]
	s_and_b64 s[4:5], s[4:5], exec
	s_or_saveexec_b64 s[6:7], s[6:7]
	v_mov_b32_e32 v21, s10
	s_xor_b64 exec, exec, s[6:7]
	s_cbranch_execz .LBB21_1286
.LBB21_3336:
	v_mov_b32_e32 v21, 0
	v_cmp_ne_u16_sdwa s[8:9], v10, v21 src0_sel:BYTE_0 src1_sel:DWORD
	s_andn2_b64 s[4:5], s[4:5], exec
	s_and_b64 s[8:9], s[8:9], exec
	s_or_b64 s[4:5], s[4:5], s[8:9]
	s_or_b64 exec, exec, s[6:7]
	s_and_saveexec_b64 s[6:7], s[4:5]
	s_cbranch_execnz .LBB21_1287
	s_branch .LBB21_1288
.LBB21_3337:
	s_movk_i32 s4, 0x80
	v_cmp_eq_u16_sdwa s[12:13], v21, s4 src0_sel:BYTE_0 src1_sel:DWORD
	s_mov_b64 s[4:5], -1
                                        ; implicit-def: $sgpr10
	s_and_saveexec_b64 s[8:9], s[12:13]
; %bb.3338:
	s_mov_b32 s10, 0x7f800001
	s_xor_b64 s[4:5], exec, -1
; %bb.3339:
	s_or_b64 exec, exec, s[8:9]
	s_and_b64 s[4:5], s[4:5], exec
	s_or_saveexec_b64 s[6:7], s[6:7]
	v_mov_b32_e32 v20, s10
	s_xor_b64 exec, exec, s[6:7]
	s_cbranch_execz .LBB21_1290
.LBB21_3340:
	v_mov_b32_e32 v20, 0
	v_cmp_ne_u16_sdwa s[8:9], v21, v20 src0_sel:BYTE_0 src1_sel:DWORD
	s_andn2_b64 s[4:5], s[4:5], exec
	s_and_b64 s[8:9], s[8:9], exec
	s_or_b64 s[4:5], s[4:5], s[8:9]
	s_or_b64 exec, exec, s[6:7]
	s_and_saveexec_b64 s[6:7], s[4:5]
	s_cbranch_execnz .LBB21_1291
	s_branch .LBB21_1292
.LBB21_3341:
	s_movk_i32 s4, 0x80
	v_cmp_eq_u16_sdwa s[12:13], v21, s4 src0_sel:BYTE_0 src1_sel:DWORD
	s_mov_b64 s[4:5], -1
                                        ; implicit-def: $sgpr10
	s_and_saveexec_b64 s[8:9], s[12:13]
; %bb.3342:
	s_mov_b32 s10, 0x7f800001
	s_xor_b64 s[4:5], exec, -1
; %bb.3343:
	s_or_b64 exec, exec, s[8:9]
	s_and_b64 s[4:5], s[4:5], exec
	s_or_saveexec_b64 s[6:7], s[6:7]
	v_mov_b32_e32 v22, s10
	s_xor_b64 exec, exec, s[6:7]
	s_cbranch_execz .LBB21_1294
.LBB21_3344:
	v_mov_b32_e32 v22, 0
	v_cmp_ne_u16_sdwa s[8:9], v21, v22 src0_sel:BYTE_0 src1_sel:DWORD
	s_andn2_b64 s[4:5], s[4:5], exec
	s_and_b64 s[8:9], s[8:9], exec
	s_or_b64 s[4:5], s[4:5], s[8:9]
	s_or_b64 exec, exec, s[6:7]
	s_and_saveexec_b64 s[6:7], s[4:5]
	s_cbranch_execnz .LBB21_1295
	s_branch .LBB21_1296
.LBB21_3345:
	s_movk_i32 s4, 0x80
	v_cmp_eq_u16_e32 vcc, s4, v21
	s_mov_b64 s[4:5], -1
                                        ; implicit-def: $sgpr10
	s_and_saveexec_b64 s[8:9], vcc
; %bb.3346:
	s_mov_b32 s10, 0x7f800001
	s_xor_b64 s[4:5], exec, -1
; %bb.3347:
	s_or_b64 exec, exec, s[8:9]
	s_and_b64 s[4:5], s[4:5], exec
                                        ; implicit-def: $vgpr21
	s_or_saveexec_b64 s[6:7], s[6:7]
	v_mov_b32_e32 v20, s10
	s_xor_b64 exec, exec, s[6:7]
	s_cbranch_execz .LBB21_1298
.LBB21_3348:
	v_cmp_ne_u16_e32 vcc, 0, v21
	s_andn2_b64 s[4:5], s[4:5], exec
	s_and_b64 s[8:9], vcc, exec
	v_mov_b32_e32 v20, 0
	s_or_b64 s[4:5], s[4:5], s[8:9]
	s_or_b64 exec, exec, s[6:7]
	s_and_saveexec_b64 s[6:7], s[4:5]
	s_cbranch_execnz .LBB21_1299
	s_branch .LBB21_1300
.LBB21_3349:
	s_movk_i32 s4, 0x80
	v_cmp_eq_u16_e32 vcc, s4, v21
	s_mov_b64 s[4:5], -1
                                        ; implicit-def: $sgpr10
	s_and_saveexec_b64 s[8:9], vcc
; %bb.3350:
	s_mov_b32 s10, 0x7f800001
	s_xor_b64 s[4:5], exec, -1
; %bb.3351:
	s_or_b64 exec, exec, s[8:9]
	s_and_b64 s[4:5], s[4:5], exec
                                        ; implicit-def: $vgpr21
	s_or_saveexec_b64 s[6:7], s[6:7]
	v_mov_b32_e32 v22, s10
	s_xor_b64 exec, exec, s[6:7]
	s_cbranch_execz .LBB21_1302
.LBB21_3352:
	v_cmp_ne_u16_e32 vcc, 0, v21
	s_andn2_b64 s[4:5], s[4:5], exec
	s_and_b64 s[8:9], vcc, exec
	v_mov_b32_e32 v22, 0
	s_or_b64 s[4:5], s[4:5], s[8:9]
	s_or_b64 exec, exec, s[6:7]
	s_and_saveexec_b64 s[6:7], s[4:5]
	s_cbranch_execnz .LBB21_1303
	s_branch .LBB21_1304
.LBB21_3353:
	s_movk_i32 s4, 0x80
	v_cmp_eq_u16_sdwa s[12:13], v14, s4 src0_sel:BYTE_3 src1_sel:DWORD
	s_mov_b64 s[4:5], -1
                                        ; implicit-def: $sgpr10
	s_and_saveexec_b64 s[8:9], s[12:13]
; %bb.3354:
	s_mov_b32 s10, 0x7f800001
	s_xor_b64 s[4:5], exec, -1
; %bb.3355:
	s_or_b64 exec, exec, s[8:9]
	s_and_b64 s[4:5], s[4:5], exec
	s_or_saveexec_b64 s[6:7], s[6:7]
	v_mov_b32_e32 v20, s10
	s_xor_b64 exec, exec, s[6:7]
	s_cbranch_execz .LBB21_1306
.LBB21_3356:
	v_mov_b32_e32 v20, 0
	v_cmp_ne_u16_sdwa s[8:9], v14, v20 src0_sel:BYTE_3 src1_sel:DWORD
	s_andn2_b64 s[4:5], s[4:5], exec
	s_and_b64 s[8:9], s[8:9], exec
	s_or_b64 s[4:5], s[4:5], s[8:9]
	s_or_b64 exec, exec, s[6:7]
	s_and_saveexec_b64 s[6:7], s[4:5]
	s_cbranch_execnz .LBB21_1307
	s_branch .LBB21_1308
.LBB21_3357:
	s_movk_i32 s4, 0x80
	v_cmp_eq_u16_sdwa s[12:13], v10, s4 src0_sel:BYTE_3 src1_sel:DWORD
	s_mov_b64 s[4:5], -1
                                        ; implicit-def: $sgpr10
	s_and_saveexec_b64 s[8:9], s[12:13]
; %bb.3358:
	s_mov_b32 s10, 0x7f800001
	s_xor_b64 s[4:5], exec, -1
; %bb.3359:
	s_or_b64 exec, exec, s[8:9]
	s_and_b64 s[4:5], s[4:5], exec
	s_or_saveexec_b64 s[6:7], s[6:7]
	v_mov_b32_e32 v14, s10
	s_xor_b64 exec, exec, s[6:7]
	s_cbranch_execz .LBB21_1310
.LBB21_3360:
	v_mov_b32_e32 v14, 0
	v_cmp_ne_u16_sdwa s[8:9], v10, v14 src0_sel:BYTE_3 src1_sel:DWORD
	s_andn2_b64 s[4:5], s[4:5], exec
	s_and_b64 s[8:9], s[8:9], exec
	s_or_b64 s[4:5], s[4:5], s[8:9]
	s_or_b64 exec, exec, s[6:7]
	s_and_saveexec_b64 s[6:7], s[4:5]
	s_cbranch_execnz .LBB21_1311
	s_branch .LBB21_1312
.LBB21_3361:
	s_movk_i32 s4, 0x80
	v_cmp_eq_u16_sdwa s[12:13], v15, s4 src0_sel:BYTE_0 src1_sel:DWORD
	s_mov_b64 s[4:5], -1
                                        ; implicit-def: $sgpr10
	s_and_saveexec_b64 s[8:9], s[12:13]
; %bb.3362:
	s_mov_b32 s10, 0x7f800001
	s_xor_b64 s[4:5], exec, -1
; %bb.3363:
	s_or_b64 exec, exec, s[8:9]
	s_and_b64 s[4:5], s[4:5], exec
	s_or_saveexec_b64 s[6:7], s[6:7]
	v_mov_b32_e32 v10, s10
	s_xor_b64 exec, exec, s[6:7]
	s_cbranch_execz .LBB21_1314
.LBB21_3364:
	v_mov_b32_e32 v10, 0
	v_cmp_ne_u16_sdwa s[8:9], v15, v10 src0_sel:BYTE_0 src1_sel:DWORD
	s_andn2_b64 s[4:5], s[4:5], exec
	s_and_b64 s[8:9], s[8:9], exec
	s_or_b64 s[4:5], s[4:5], s[8:9]
	s_or_b64 exec, exec, s[6:7]
	s_and_saveexec_b64 s[6:7], s[4:5]
	s_cbranch_execnz .LBB21_1315
	s_branch .LBB21_1316
.LBB21_3365:
	s_movk_i32 s4, 0x80
	v_cmp_eq_u16_sdwa s[12:13], v11, s4 src0_sel:BYTE_0 src1_sel:DWORD
	s_mov_b64 s[4:5], -1
                                        ; implicit-def: $sgpr10
	s_and_saveexec_b64 s[8:9], s[12:13]
; %bb.3366:
	s_mov_b32 s10, 0x7f800001
	s_xor_b64 s[4:5], exec, -1
; %bb.3367:
	s_or_b64 exec, exec, s[8:9]
	s_and_b64 s[4:5], s[4:5], exec
	s_or_saveexec_b64 s[6:7], s[6:7]
	v_mov_b32_e32 v14, s10
	s_xor_b64 exec, exec, s[6:7]
	s_cbranch_execz .LBB21_1318
.LBB21_3368:
	v_mov_b32_e32 v14, 0
	v_cmp_ne_u16_sdwa s[8:9], v11, v14 src0_sel:BYTE_0 src1_sel:DWORD
	s_andn2_b64 s[4:5], s[4:5], exec
	s_and_b64 s[8:9], s[8:9], exec
	s_or_b64 s[4:5], s[4:5], s[8:9]
	s_or_b64 exec, exec, s[6:7]
	s_and_saveexec_b64 s[6:7], s[4:5]
	s_cbranch_execnz .LBB21_1319
	s_branch .LBB21_1320
.LBB21_3369:
	s_movk_i32 s4, 0x80
	v_cmp_eq_u16_sdwa s[12:13], v14, s4 src0_sel:BYTE_0 src1_sel:DWORD
	s_mov_b64 s[4:5], -1
                                        ; implicit-def: $sgpr10
	s_and_saveexec_b64 s[8:9], s[12:13]
; %bb.3370:
	s_mov_b32 s10, 0x7f800001
	s_xor_b64 s[4:5], exec, -1
; %bb.3371:
	s_or_b64 exec, exec, s[8:9]
	s_and_b64 s[4:5], s[4:5], exec
	s_or_saveexec_b64 s[6:7], s[6:7]
	v_mov_b32_e32 v10, s10
	s_xor_b64 exec, exec, s[6:7]
	s_cbranch_execz .LBB21_1322
.LBB21_3372:
	v_mov_b32_e32 v10, 0
	v_cmp_ne_u16_sdwa s[8:9], v14, v10 src0_sel:BYTE_0 src1_sel:DWORD
	s_andn2_b64 s[4:5], s[4:5], exec
	s_and_b64 s[8:9], s[8:9], exec
	s_or_b64 s[4:5], s[4:5], s[8:9]
	s_or_b64 exec, exec, s[6:7]
	s_and_saveexec_b64 s[6:7], s[4:5]
	s_cbranch_execnz .LBB21_1323
	s_branch .LBB21_1324
.LBB21_3373:
	s_movk_i32 s4, 0x80
	v_cmp_eq_u16_sdwa s[12:13], v14, s4 src0_sel:BYTE_0 src1_sel:DWORD
	s_mov_b64 s[4:5], -1
                                        ; implicit-def: $sgpr10
	s_and_saveexec_b64 s[8:9], s[12:13]
; %bb.3374:
	s_mov_b32 s10, 0x7f800001
	s_xor_b64 s[4:5], exec, -1
; %bb.3375:
	s_or_b64 exec, exec, s[8:9]
	s_and_b64 s[4:5], s[4:5], exec
	s_or_saveexec_b64 s[6:7], s[6:7]
	v_mov_b32_e32 v20, s10
	s_xor_b64 exec, exec, s[6:7]
	s_cbranch_execz .LBB21_1326
.LBB21_3376:
	v_mov_b32_e32 v20, 0
	v_cmp_ne_u16_sdwa s[8:9], v14, v20 src0_sel:BYTE_0 src1_sel:DWORD
	s_andn2_b64 s[4:5], s[4:5], exec
	s_and_b64 s[8:9], s[8:9], exec
	s_or_b64 s[4:5], s[4:5], s[8:9]
	s_or_b64 exec, exec, s[6:7]
	s_and_saveexec_b64 s[6:7], s[4:5]
	s_cbranch_execnz .LBB21_1327
	s_branch .LBB21_1328
.LBB21_3377:
	s_movk_i32 s4, 0x80
	v_cmp_eq_u16_e32 vcc, s4, v14
	s_mov_b64 s[4:5], -1
                                        ; implicit-def: $sgpr10
	s_and_saveexec_b64 s[8:9], vcc
; %bb.3378:
	s_mov_b32 s10, 0x7f800001
	s_xor_b64 s[4:5], exec, -1
; %bb.3379:
	s_or_b64 exec, exec, s[8:9]
	s_and_b64 s[4:5], s[4:5], exec
                                        ; implicit-def: $vgpr14
	s_or_saveexec_b64 s[6:7], s[6:7]
	v_mov_b32_e32 v10, s10
	s_xor_b64 exec, exec, s[6:7]
	s_cbranch_execz .LBB21_1330
.LBB21_3380:
	v_cmp_ne_u16_e32 vcc, 0, v14
	s_andn2_b64 s[4:5], s[4:5], exec
	s_and_b64 s[8:9], vcc, exec
	v_mov_b32_e32 v10, 0
	s_or_b64 s[4:5], s[4:5], s[8:9]
	s_or_b64 exec, exec, s[6:7]
	s_and_saveexec_b64 s[6:7], s[4:5]
	s_cbranch_execnz .LBB21_1331
	s_branch .LBB21_1332
.LBB21_3381:
	s_movk_i32 s4, 0x80
	v_cmp_eq_u16_e32 vcc, s4, v14
	s_mov_b64 s[4:5], -1
                                        ; implicit-def: $sgpr10
	s_and_saveexec_b64 s[8:9], vcc
; %bb.3382:
	s_mov_b32 s10, 0x7f800001
	s_xor_b64 s[4:5], exec, -1
; %bb.3383:
	s_or_b64 exec, exec, s[8:9]
	s_and_b64 s[4:5], s[4:5], exec
                                        ; implicit-def: $vgpr14
	s_or_saveexec_b64 s[6:7], s[6:7]
	v_mov_b32_e32 v20, s10
	s_xor_b64 exec, exec, s[6:7]
	s_cbranch_execz .LBB21_1334
.LBB21_3384:
	v_cmp_ne_u16_e32 vcc, 0, v14
	s_andn2_b64 s[4:5], s[4:5], exec
	s_and_b64 s[8:9], vcc, exec
	v_mov_b32_e32 v20, 0
	s_or_b64 s[4:5], s[4:5], s[8:9]
	s_or_b64 exec, exec, s[6:7]
	s_and_saveexec_b64 s[6:7], s[4:5]
	s_cbranch_execnz .LBB21_1335
	s_branch .LBB21_1336
.LBB21_3385:
	s_movk_i32 s4, 0x80
	v_cmp_eq_u16_sdwa s[12:13], v15, s4 src0_sel:BYTE_3 src1_sel:DWORD
	s_mov_b64 s[4:5], -1
                                        ; implicit-def: $sgpr10
	s_and_saveexec_b64 s[8:9], s[12:13]
; %bb.3386:
	s_mov_b32 s10, 0x7f800001
	s_xor_b64 s[4:5], exec, -1
; %bb.3387:
	s_or_b64 exec, exec, s[8:9]
	s_and_b64 s[4:5], s[4:5], exec
	s_or_saveexec_b64 s[6:7], s[6:7]
	v_mov_b32_e32 v10, s10
	s_xor_b64 exec, exec, s[6:7]
	s_cbranch_execz .LBB21_1338
.LBB21_3388:
	v_mov_b32_e32 v10, 0
	v_cmp_ne_u16_sdwa s[8:9], v15, v10 src0_sel:BYTE_3 src1_sel:DWORD
	s_andn2_b64 s[4:5], s[4:5], exec
	s_and_b64 s[8:9], s[8:9], exec
	s_or_b64 s[4:5], s[4:5], s[8:9]
	s_or_b64 exec, exec, s[6:7]
	s_and_saveexec_b64 s[6:7], s[4:5]
	s_cbranch_execnz .LBB21_1339
	s_branch .LBB21_1340
.LBB21_3389:
	s_movk_i32 s4, 0x80
	v_cmp_eq_u16_sdwa s[12:13], v11, s4 src0_sel:BYTE_3 src1_sel:DWORD
	s_mov_b64 s[4:5], -1
                                        ; implicit-def: $sgpr10
	s_and_saveexec_b64 s[8:9], s[12:13]
; %bb.3390:
	s_mov_b32 s10, 0x7f800001
	s_xor_b64 s[4:5], exec, -1
; %bb.3391:
	s_or_b64 exec, exec, s[8:9]
	s_and_b64 s[4:5], s[4:5], exec
	s_or_saveexec_b64 s[6:7], s[6:7]
	v_mov_b32_e32 v14, s10
	s_xor_b64 exec, exec, s[6:7]
	s_cbranch_execz .LBB21_1342
.LBB21_3392:
	v_mov_b32_e32 v14, 0
	v_cmp_ne_u16_sdwa s[8:9], v11, v14 src0_sel:BYTE_3 src1_sel:DWORD
	s_andn2_b64 s[4:5], s[4:5], exec
	s_and_b64 s[8:9], s[8:9], exec
	s_or_b64 s[4:5], s[4:5], s[8:9]
	s_or_b64 exec, exec, s[6:7]
	s_and_saveexec_b64 s[6:7], s[4:5]
	s_cbranch_execnz .LBB21_1343
	s_branch .LBB21_1344
.LBB21_3393:
	s_movk_i32 s4, 0x80
	v_cmp_eq_u16_sdwa s[12:13], v16, s4 src0_sel:BYTE_0 src1_sel:DWORD
	s_mov_b64 s[4:5], -1
                                        ; implicit-def: $sgpr10
	s_and_saveexec_b64 s[8:9], s[12:13]
; %bb.3394:
	s_mov_b32 s10, 0x7f800001
	s_xor_b64 s[4:5], exec, -1
; %bb.3395:
	s_or_b64 exec, exec, s[8:9]
	s_and_b64 s[4:5], s[4:5], exec
	s_or_saveexec_b64 s[6:7], s[6:7]
	v_mov_b32_e32 v10, s10
	s_xor_b64 exec, exec, s[6:7]
	s_cbranch_execz .LBB21_1346
.LBB21_3396:
	v_mov_b32_e32 v10, 0
	v_cmp_ne_u16_sdwa s[8:9], v16, v10 src0_sel:BYTE_0 src1_sel:DWORD
	s_andn2_b64 s[4:5], s[4:5], exec
	s_and_b64 s[8:9], s[8:9], exec
	s_or_b64 s[4:5], s[4:5], s[8:9]
	s_or_b64 exec, exec, s[6:7]
	s_and_saveexec_b64 s[6:7], s[4:5]
	s_cbranch_execnz .LBB21_1347
	s_branch .LBB21_1348
.LBB21_3397:
	s_movk_i32 s4, 0x80
	v_cmp_eq_u16_sdwa s[12:13], v12, s4 src0_sel:BYTE_0 src1_sel:DWORD
	s_mov_b64 s[4:5], -1
                                        ; implicit-def: $sgpr10
	s_and_saveexec_b64 s[8:9], s[12:13]
; %bb.3398:
	s_mov_b32 s10, 0x7f800001
	s_xor_b64 s[4:5], exec, -1
; %bb.3399:
	s_or_b64 exec, exec, s[8:9]
	s_and_b64 s[4:5], s[4:5], exec
	s_or_saveexec_b64 s[6:7], s[6:7]
	v_mov_b32_e32 v11, s10
	s_xor_b64 exec, exec, s[6:7]
	s_cbranch_execz .LBB21_1350
.LBB21_3400:
	v_mov_b32_e32 v11, 0
	v_cmp_ne_u16_sdwa s[8:9], v12, v11 src0_sel:BYTE_0 src1_sel:DWORD
	s_andn2_b64 s[4:5], s[4:5], exec
	s_and_b64 s[8:9], s[8:9], exec
	s_or_b64 s[4:5], s[4:5], s[8:9]
	s_or_b64 exec, exec, s[6:7]
	s_and_saveexec_b64 s[6:7], s[4:5]
	s_cbranch_execnz .LBB21_1351
	s_branch .LBB21_1352
.LBB21_3401:
	s_movk_i32 s4, 0x80
	v_cmp_eq_u16_sdwa s[12:13], v11, s4 src0_sel:BYTE_0 src1_sel:DWORD
	s_mov_b64 s[4:5], -1
                                        ; implicit-def: $sgpr10
	s_and_saveexec_b64 s[8:9], s[12:13]
; %bb.3402:
	s_mov_b32 s10, 0x7f800001
	s_xor_b64 s[4:5], exec, -1
; %bb.3403:
	s_or_b64 exec, exec, s[8:9]
	s_and_b64 s[4:5], s[4:5], exec
	s_or_saveexec_b64 s[6:7], s[6:7]
	v_mov_b32_e32 v10, s10
	s_xor_b64 exec, exec, s[6:7]
	s_cbranch_execz .LBB21_1354
.LBB21_3404:
	v_mov_b32_e32 v10, 0
	v_cmp_ne_u16_sdwa s[8:9], v11, v10 src0_sel:BYTE_0 src1_sel:DWORD
	s_andn2_b64 s[4:5], s[4:5], exec
	s_and_b64 s[8:9], s[8:9], exec
	s_or_b64 s[4:5], s[4:5], s[8:9]
	s_or_b64 exec, exec, s[6:7]
	s_and_saveexec_b64 s[6:7], s[4:5]
	s_cbranch_execnz .LBB21_1355
	s_branch .LBB21_1356
.LBB21_3405:
	s_movk_i32 s4, 0x80
	v_cmp_eq_u16_sdwa s[12:13], v11, s4 src0_sel:BYTE_0 src1_sel:DWORD
	s_mov_b64 s[4:5], -1
                                        ; implicit-def: $sgpr10
	s_and_saveexec_b64 s[8:9], s[12:13]
; %bb.3406:
	s_mov_b32 s10, 0x7f800001
	s_xor_b64 s[4:5], exec, -1
; %bb.3407:
	s_or_b64 exec, exec, s[8:9]
	s_and_b64 s[4:5], s[4:5], exec
	s_or_saveexec_b64 s[6:7], s[6:7]
	v_mov_b32_e32 v14, s10
	s_xor_b64 exec, exec, s[6:7]
	s_cbranch_execz .LBB21_1358
.LBB21_3408:
	v_mov_b32_e32 v14, 0
	v_cmp_ne_u16_sdwa s[8:9], v11, v14 src0_sel:BYTE_0 src1_sel:DWORD
	s_andn2_b64 s[4:5], s[4:5], exec
	s_and_b64 s[8:9], s[8:9], exec
	s_or_b64 s[4:5], s[4:5], s[8:9]
	s_or_b64 exec, exec, s[6:7]
	s_and_saveexec_b64 s[6:7], s[4:5]
	s_cbranch_execnz .LBB21_1359
	s_branch .LBB21_1360
.LBB21_3409:
	s_movk_i32 s4, 0x80
	v_cmp_eq_u16_e32 vcc, s4, v11
	s_mov_b64 s[4:5], -1
                                        ; implicit-def: $sgpr10
	s_and_saveexec_b64 s[8:9], vcc
; %bb.3410:
	s_mov_b32 s10, 0x7f800001
	s_xor_b64 s[4:5], exec, -1
; %bb.3411:
	s_or_b64 exec, exec, s[8:9]
	s_and_b64 s[4:5], s[4:5], exec
                                        ; implicit-def: $vgpr11
	s_or_saveexec_b64 s[6:7], s[6:7]
	v_mov_b32_e32 v10, s10
	s_xor_b64 exec, exec, s[6:7]
	s_cbranch_execz .LBB21_1362
.LBB21_3412:
	v_cmp_ne_u16_e32 vcc, 0, v11
	s_andn2_b64 s[4:5], s[4:5], exec
	s_and_b64 s[8:9], vcc, exec
	v_mov_b32_e32 v10, 0
	s_or_b64 s[4:5], s[4:5], s[8:9]
	s_or_b64 exec, exec, s[6:7]
	s_and_saveexec_b64 s[6:7], s[4:5]
	s_cbranch_execnz .LBB21_1363
	s_branch .LBB21_1364
.LBB21_3413:
	s_movk_i32 s4, 0x80
	v_cmp_eq_u16_e32 vcc, s4, v11
	s_mov_b64 s[4:5], -1
                                        ; implicit-def: $sgpr10
	s_and_saveexec_b64 s[8:9], vcc
; %bb.3414:
	s_mov_b32 s10, 0x7f800001
	s_xor_b64 s[4:5], exec, -1
; %bb.3415:
	s_or_b64 exec, exec, s[8:9]
	s_and_b64 s[4:5], s[4:5], exec
                                        ; implicit-def: $vgpr11
	s_or_saveexec_b64 s[6:7], s[6:7]
	v_mov_b32_e32 v14, s10
	s_xor_b64 exec, exec, s[6:7]
	s_cbranch_execz .LBB21_1366
.LBB21_3416:
	v_cmp_ne_u16_e32 vcc, 0, v11
	s_andn2_b64 s[4:5], s[4:5], exec
	s_and_b64 s[8:9], vcc, exec
	v_mov_b32_e32 v14, 0
	s_or_b64 s[4:5], s[4:5], s[8:9]
	s_or_b64 exec, exec, s[6:7]
	s_and_saveexec_b64 s[6:7], s[4:5]
	s_cbranch_execnz .LBB21_1367
	s_branch .LBB21_1368
.LBB21_3417:
	s_movk_i32 s4, 0x80
	v_cmp_eq_u16_sdwa s[12:13], v16, s4 src0_sel:BYTE_3 src1_sel:DWORD
	s_mov_b64 s[4:5], -1
                                        ; implicit-def: $sgpr10
	s_and_saveexec_b64 s[8:9], s[12:13]
; %bb.3418:
	s_mov_b32 s10, 0x7f800001
	s_xor_b64 s[4:5], exec, -1
; %bb.3419:
	s_or_b64 exec, exec, s[8:9]
	s_and_b64 s[4:5], s[4:5], exec
	s_or_saveexec_b64 s[6:7], s[6:7]
	v_mov_b32_e32 v10, s10
	s_xor_b64 exec, exec, s[6:7]
	s_cbranch_execz .LBB21_1370
.LBB21_3420:
	v_mov_b32_e32 v10, 0
	v_cmp_ne_u16_sdwa s[8:9], v16, v10 src0_sel:BYTE_3 src1_sel:DWORD
	s_andn2_b64 s[4:5], s[4:5], exec
	s_and_b64 s[8:9], s[8:9], exec
	s_or_b64 s[4:5], s[4:5], s[8:9]
	s_or_b64 exec, exec, s[6:7]
	s_and_saveexec_b64 s[6:7], s[4:5]
	s_cbranch_execnz .LBB21_1371
	s_branch .LBB21_1372
.LBB21_3421:
	s_movk_i32 s4, 0x80
	v_cmp_eq_u16_sdwa s[12:13], v12, s4 src0_sel:BYTE_3 src1_sel:DWORD
	s_mov_b64 s[4:5], -1
                                        ; implicit-def: $sgpr10
	s_and_saveexec_b64 s[8:9], s[12:13]
; %bb.3422:
	s_mov_b32 s10, 0x7f800001
	s_xor_b64 s[4:5], exec, -1
; %bb.3423:
	s_or_b64 exec, exec, s[8:9]
	s_and_b64 s[4:5], s[4:5], exec
	s_or_saveexec_b64 s[6:7], s[6:7]
	v_mov_b32_e32 v11, s10
	s_xor_b64 exec, exec, s[6:7]
	s_cbranch_execz .LBB21_1374
.LBB21_3424:
	v_mov_b32_e32 v11, 0
	v_cmp_ne_u16_sdwa s[8:9], v12, v11 src0_sel:BYTE_3 src1_sel:DWORD
	s_andn2_b64 s[4:5], s[4:5], exec
	s_and_b64 s[8:9], s[8:9], exec
	s_or_b64 s[4:5], s[4:5], s[8:9]
	s_or_b64 exec, exec, s[6:7]
	s_and_saveexec_b64 s[6:7], s[4:5]
	s_cbranch_execnz .LBB21_1375
	s_branch .LBB21_1376
.LBB21_3425:
	s_movk_i32 s4, 0x80
	v_cmp_eq_u16_sdwa s[12:13], v17, s4 src0_sel:BYTE_0 src1_sel:DWORD
	s_mov_b64 s[4:5], -1
                                        ; implicit-def: $sgpr10
	s_and_saveexec_b64 s[8:9], s[12:13]
; %bb.3426:
	s_mov_b32 s10, 0x7f800001
	s_xor_b64 s[4:5], exec, -1
; %bb.3427:
	s_or_b64 exec, exec, s[8:9]
	s_and_b64 s[4:5], s[4:5], exec
	s_or_saveexec_b64 s[6:7], s[6:7]
	v_mov_b32_e32 v10, s10
	s_xor_b64 exec, exec, s[6:7]
	s_cbranch_execz .LBB21_1378
.LBB21_3428:
	v_mov_b32_e32 v10, 0
	v_cmp_ne_u16_sdwa s[8:9], v17, v10 src0_sel:BYTE_0 src1_sel:DWORD
	s_andn2_b64 s[4:5], s[4:5], exec
	s_and_b64 s[8:9], s[8:9], exec
	s_or_b64 s[4:5], s[4:5], s[8:9]
	s_or_b64 exec, exec, s[6:7]
	s_and_saveexec_b64 s[6:7], s[4:5]
	s_cbranch_execnz .LBB21_1379
	s_branch .LBB21_1380
.LBB21_3429:
	s_movk_i32 s4, 0x80
	v_cmp_eq_u16_sdwa s[12:13], v13, s4 src0_sel:BYTE_0 src1_sel:DWORD
	s_mov_b64 s[4:5], -1
                                        ; implicit-def: $sgpr10
	s_and_saveexec_b64 s[8:9], s[12:13]
; %bb.3430:
	s_mov_b32 s10, 0x7f800001
	s_xor_b64 s[4:5], exec, -1
; %bb.3431:
	s_or_b64 exec, exec, s[8:9]
	s_and_b64 s[4:5], s[4:5], exec
	s_or_saveexec_b64 s[6:7], s[6:7]
	v_mov_b32_e32 v11, s10
	s_xor_b64 exec, exec, s[6:7]
	s_cbranch_execz .LBB21_1382
.LBB21_3432:
	v_mov_b32_e32 v11, 0
	v_cmp_ne_u16_sdwa s[8:9], v13, v11 src0_sel:BYTE_0 src1_sel:DWORD
	s_andn2_b64 s[4:5], s[4:5], exec
	s_and_b64 s[8:9], s[8:9], exec
	s_or_b64 s[4:5], s[4:5], s[8:9]
	s_or_b64 exec, exec, s[6:7]
	s_and_saveexec_b64 s[6:7], s[4:5]
	s_cbranch_execnz .LBB21_1383
	s_branch .LBB21_1384
.LBB21_3433:
	s_movk_i32 s4, 0x80
	v_cmp_eq_u16_sdwa s[12:13], v11, s4 src0_sel:BYTE_0 src1_sel:DWORD
	s_mov_b64 s[4:5], -1
                                        ; implicit-def: $sgpr10
	s_and_saveexec_b64 s[8:9], s[12:13]
; %bb.3434:
	s_mov_b32 s10, 0x7f800001
	s_xor_b64 s[4:5], exec, -1
; %bb.3435:
	s_or_b64 exec, exec, s[8:9]
	s_and_b64 s[4:5], s[4:5], exec
	s_or_saveexec_b64 s[6:7], s[6:7]
	v_mov_b32_e32 v10, s10
	s_xor_b64 exec, exec, s[6:7]
	s_cbranch_execz .LBB21_1386
.LBB21_3436:
	v_mov_b32_e32 v10, 0
	v_cmp_ne_u16_sdwa s[8:9], v11, v10 src0_sel:BYTE_0 src1_sel:DWORD
	s_andn2_b64 s[4:5], s[4:5], exec
	s_and_b64 s[8:9], s[8:9], exec
	s_or_b64 s[4:5], s[4:5], s[8:9]
	s_or_b64 exec, exec, s[6:7]
	s_and_saveexec_b64 s[6:7], s[4:5]
	s_cbranch_execnz .LBB21_1387
	s_branch .LBB21_1388
.LBB21_3437:
	s_movk_i32 s4, 0x80
	v_cmp_eq_u16_sdwa s[12:13], v11, s4 src0_sel:BYTE_0 src1_sel:DWORD
	s_mov_b64 s[4:5], -1
                                        ; implicit-def: $sgpr10
	s_and_saveexec_b64 s[8:9], s[12:13]
; %bb.3438:
	s_mov_b32 s10, 0x7f800001
	s_xor_b64 s[4:5], exec, -1
; %bb.3439:
	s_or_b64 exec, exec, s[8:9]
	s_and_b64 s[4:5], s[4:5], exec
	s_or_saveexec_b64 s[6:7], s[6:7]
	v_mov_b32_e32 v12, s10
	s_xor_b64 exec, exec, s[6:7]
	s_cbranch_execz .LBB21_1390
.LBB21_3440:
	v_mov_b32_e32 v12, 0
	v_cmp_ne_u16_sdwa s[8:9], v11, v12 src0_sel:BYTE_0 src1_sel:DWORD
	s_andn2_b64 s[4:5], s[4:5], exec
	s_and_b64 s[8:9], s[8:9], exec
	s_or_b64 s[4:5], s[4:5], s[8:9]
	s_or_b64 exec, exec, s[6:7]
	s_and_saveexec_b64 s[6:7], s[4:5]
	s_cbranch_execnz .LBB21_1391
	s_branch .LBB21_1392
.LBB21_3441:
	s_movk_i32 s4, 0x80
	v_cmp_eq_u16_e32 vcc, s4, v11
	s_mov_b64 s[4:5], -1
                                        ; implicit-def: $sgpr10
	s_and_saveexec_b64 s[8:9], vcc
; %bb.3442:
	s_mov_b32 s10, 0x7f800001
	s_xor_b64 s[4:5], exec, -1
; %bb.3443:
	s_or_b64 exec, exec, s[8:9]
	s_and_b64 s[4:5], s[4:5], exec
                                        ; implicit-def: $vgpr11
	s_or_saveexec_b64 s[6:7], s[6:7]
	v_mov_b32_e32 v10, s10
	s_xor_b64 exec, exec, s[6:7]
	s_cbranch_execz .LBB21_1394
.LBB21_3444:
	v_cmp_ne_u16_e32 vcc, 0, v11
	s_andn2_b64 s[4:5], s[4:5], exec
	s_and_b64 s[8:9], vcc, exec
	v_mov_b32_e32 v10, 0
	s_or_b64 s[4:5], s[4:5], s[8:9]
	s_or_b64 exec, exec, s[6:7]
	s_and_saveexec_b64 s[6:7], s[4:5]
	s_cbranch_execnz .LBB21_1395
	s_branch .LBB21_1396
.LBB21_3445:
	s_movk_i32 s4, 0x80
	v_cmp_eq_u16_e32 vcc, s4, v11
	s_mov_b64 s[4:5], -1
                                        ; implicit-def: $sgpr10
	s_and_saveexec_b64 s[8:9], vcc
; %bb.3446:
	s_mov_b32 s10, 0x7f800001
	s_xor_b64 s[4:5], exec, -1
; %bb.3447:
	s_or_b64 exec, exec, s[8:9]
	s_and_b64 s[4:5], s[4:5], exec
                                        ; implicit-def: $vgpr11
	s_or_saveexec_b64 s[6:7], s[6:7]
	v_mov_b32_e32 v12, s10
	s_xor_b64 exec, exec, s[6:7]
	s_cbranch_execz .LBB21_1398
.LBB21_3448:
	v_cmp_ne_u16_e32 vcc, 0, v11
	s_andn2_b64 s[4:5], s[4:5], exec
	s_and_b64 s[8:9], vcc, exec
	v_mov_b32_e32 v12, 0
	s_or_b64 s[4:5], s[4:5], s[8:9]
	s_or_b64 exec, exec, s[6:7]
	s_and_saveexec_b64 s[6:7], s[4:5]
	s_cbranch_execnz .LBB21_1399
	s_branch .LBB21_1400
.LBB21_3449:
	s_movk_i32 s4, 0x80
	v_cmp_eq_u16_sdwa s[12:13], v17, s4 src0_sel:BYTE_3 src1_sel:DWORD
	s_mov_b64 s[4:5], -1
                                        ; implicit-def: $sgpr10
	s_and_saveexec_b64 s[8:9], s[12:13]
; %bb.3450:
	s_mov_b32 s10, 0x7f800001
	s_xor_b64 s[4:5], exec, -1
; %bb.3451:
	s_or_b64 exec, exec, s[8:9]
	s_and_b64 s[4:5], s[4:5], exec
	s_or_saveexec_b64 s[6:7], s[6:7]
	v_mov_b32_e32 v10, s10
	s_xor_b64 exec, exec, s[6:7]
	s_cbranch_execz .LBB21_1402
.LBB21_3452:
	v_mov_b32_e32 v10, 0
	v_cmp_ne_u16_sdwa s[8:9], v17, v10 src0_sel:BYTE_3 src1_sel:DWORD
	s_andn2_b64 s[4:5], s[4:5], exec
	s_and_b64 s[8:9], s[8:9], exec
	s_or_b64 s[4:5], s[4:5], s[8:9]
	s_or_b64 exec, exec, s[6:7]
	s_and_saveexec_b64 s[6:7], s[4:5]
	s_cbranch_execnz .LBB21_1403
	s_branch .LBB21_1404
.LBB21_3453:
	s_movk_i32 s4, 0x80
	v_cmp_eq_u16_sdwa s[12:13], v13, s4 src0_sel:BYTE_3 src1_sel:DWORD
	s_mov_b64 s[4:5], -1
                                        ; implicit-def: $sgpr10
	s_and_saveexec_b64 s[8:9], s[12:13]
; %bb.3454:
	s_mov_b32 s10, 0x7f800001
	s_xor_b64 s[4:5], exec, -1
; %bb.3455:
	s_or_b64 exec, exec, s[8:9]
	s_and_b64 s[4:5], s[4:5], exec
	s_or_saveexec_b64 s[6:7], s[6:7]
	v_mov_b32_e32 v11, s10
	s_xor_b64 exec, exec, s[6:7]
	s_cbranch_execz .LBB21_1406
.LBB21_3456:
	v_mov_b32_e32 v11, 0
	v_cmp_ne_u16_sdwa s[8:9], v13, v11 src0_sel:BYTE_3 src1_sel:DWORD
	s_andn2_b64 s[4:5], s[4:5], exec
	s_and_b64 s[8:9], s[8:9], exec
	s_or_b64 s[4:5], s[4:5], s[8:9]
	s_or_b64 exec, exec, s[6:7]
	s_and_saveexec_b64 s[6:7], s[4:5]
	s_cbranch_execnz .LBB21_1407
	s_branch .LBB21_1408
.LBB21_3457:
	s_movk_i32 s4, 0x80
	v_cmp_eq_u16_sdwa s[12:13], v6, s4 src0_sel:BYTE_0 src1_sel:DWORD
	s_mov_b64 s[4:5], -1
                                        ; implicit-def: $sgpr10
	s_and_saveexec_b64 s[8:9], s[12:13]
; %bb.3458:
	s_mov_b32 s10, 0x7f800001
	s_xor_b64 s[4:5], exec, -1
; %bb.3459:
	s_or_b64 exec, exec, s[8:9]
	s_and_b64 s[4:5], s[4:5], exec
	s_or_saveexec_b64 s[6:7], s[6:7]
	v_mov_b32_e32 v10, s10
	s_xor_b64 exec, exec, s[6:7]
	s_cbranch_execz .LBB21_1410
.LBB21_3460:
	v_mov_b32_e32 v10, 0
	v_cmp_ne_u16_sdwa s[8:9], v6, v10 src0_sel:BYTE_0 src1_sel:DWORD
	s_andn2_b64 s[4:5], s[4:5], exec
	s_and_b64 s[8:9], s[8:9], exec
	s_or_b64 s[4:5], s[4:5], s[8:9]
	s_or_b64 exec, exec, s[6:7]
	s_and_saveexec_b64 s[6:7], s[4:5]
	s_cbranch_execnz .LBB21_1411
	s_branch .LBB21_1412
.LBB21_3461:
	s_movk_i32 s4, 0x80
	v_cmp_eq_u16_sdwa s[12:13], v2, s4 src0_sel:BYTE_0 src1_sel:DWORD
	s_mov_b64 s[4:5], -1
                                        ; implicit-def: $sgpr10
	s_and_saveexec_b64 s[8:9], s[12:13]
; %bb.3462:
	s_mov_b32 s10, 0x7f800001
	s_xor_b64 s[4:5], exec, -1
; %bb.3463:
	s_or_b64 exec, exec, s[8:9]
	s_and_b64 s[4:5], s[4:5], exec
	s_or_saveexec_b64 s[6:7], s[6:7]
	v_mov_b32_e32 v11, s10
	s_xor_b64 exec, exec, s[6:7]
	s_cbranch_execz .LBB21_1414
.LBB21_3464:
	v_mov_b32_e32 v11, 0
	v_cmp_ne_u16_sdwa s[8:9], v2, v11 src0_sel:BYTE_0 src1_sel:DWORD
	s_andn2_b64 s[4:5], s[4:5], exec
	s_and_b64 s[8:9], s[8:9], exec
	s_or_b64 s[4:5], s[4:5], s[8:9]
	s_or_b64 exec, exec, s[6:7]
	s_and_saveexec_b64 s[6:7], s[4:5]
	s_cbranch_execnz .LBB21_1415
	s_branch .LBB21_1416
.LBB21_3465:
	s_movk_i32 s4, 0x80
	v_cmp_eq_u16_sdwa s[12:13], v11, s4 src0_sel:BYTE_0 src1_sel:DWORD
	s_mov_b64 s[4:5], -1
                                        ; implicit-def: $sgpr10
	s_and_saveexec_b64 s[8:9], s[12:13]
; %bb.3466:
	s_mov_b32 s10, 0x7f800001
	s_xor_b64 s[4:5], exec, -1
; %bb.3467:
	s_or_b64 exec, exec, s[8:9]
	s_and_b64 s[4:5], s[4:5], exec
	s_or_saveexec_b64 s[6:7], s[6:7]
	v_mov_b32_e32 v10, s10
	s_xor_b64 exec, exec, s[6:7]
	s_cbranch_execz .LBB21_1418
.LBB21_3468:
	v_mov_b32_e32 v10, 0
	v_cmp_ne_u16_sdwa s[8:9], v11, v10 src0_sel:BYTE_0 src1_sel:DWORD
	s_andn2_b64 s[4:5], s[4:5], exec
	s_and_b64 s[8:9], s[8:9], exec
	s_or_b64 s[4:5], s[4:5], s[8:9]
	s_or_b64 exec, exec, s[6:7]
	s_and_saveexec_b64 s[6:7], s[4:5]
	s_cbranch_execnz .LBB21_1419
	s_branch .LBB21_1420
.LBB21_3469:
	s_movk_i32 s4, 0x80
	v_cmp_eq_u16_sdwa s[12:13], v11, s4 src0_sel:BYTE_0 src1_sel:DWORD
	s_mov_b64 s[4:5], -1
                                        ; implicit-def: $sgpr10
	s_and_saveexec_b64 s[8:9], s[12:13]
; %bb.3470:
	s_mov_b32 s10, 0x7f800001
	s_xor_b64 s[4:5], exec, -1
; %bb.3471:
	s_or_b64 exec, exec, s[8:9]
	s_and_b64 s[4:5], s[4:5], exec
	s_or_saveexec_b64 s[6:7], s[6:7]
	v_mov_b32_e32 v12, s10
	s_xor_b64 exec, exec, s[6:7]
	s_cbranch_execz .LBB21_1422
.LBB21_3472:
	v_mov_b32_e32 v12, 0
	v_cmp_ne_u16_sdwa s[8:9], v11, v12 src0_sel:BYTE_0 src1_sel:DWORD
	s_andn2_b64 s[4:5], s[4:5], exec
	s_and_b64 s[8:9], s[8:9], exec
	s_or_b64 s[4:5], s[4:5], s[8:9]
	s_or_b64 exec, exec, s[6:7]
	s_and_saveexec_b64 s[6:7], s[4:5]
	s_cbranch_execnz .LBB21_1423
	s_branch .LBB21_1424
.LBB21_3473:
	s_movk_i32 s4, 0x80
	v_cmp_eq_u16_e32 vcc, s4, v11
	s_mov_b64 s[4:5], -1
                                        ; implicit-def: $sgpr10
	s_and_saveexec_b64 s[8:9], vcc
; %bb.3474:
	s_mov_b32 s10, 0x7f800001
	s_xor_b64 s[4:5], exec, -1
; %bb.3475:
	s_or_b64 exec, exec, s[8:9]
	s_and_b64 s[4:5], s[4:5], exec
                                        ; implicit-def: $vgpr11
	s_or_saveexec_b64 s[6:7], s[6:7]
	v_mov_b32_e32 v10, s10
	s_xor_b64 exec, exec, s[6:7]
	s_cbranch_execz .LBB21_1426
.LBB21_3476:
	v_cmp_ne_u16_e32 vcc, 0, v11
	s_andn2_b64 s[4:5], s[4:5], exec
	s_and_b64 s[8:9], vcc, exec
	v_mov_b32_e32 v10, 0
	s_or_b64 s[4:5], s[4:5], s[8:9]
	s_or_b64 exec, exec, s[6:7]
	s_and_saveexec_b64 s[6:7], s[4:5]
	s_cbranch_execnz .LBB21_1427
	s_branch .LBB21_1428
.LBB21_3477:
	s_movk_i32 s4, 0x80
	v_cmp_eq_u16_e32 vcc, s4, v11
	s_mov_b64 s[4:5], -1
                                        ; implicit-def: $sgpr10
	s_and_saveexec_b64 s[8:9], vcc
; %bb.3478:
	s_mov_b32 s10, 0x7f800001
	s_xor_b64 s[4:5], exec, -1
; %bb.3479:
	s_or_b64 exec, exec, s[8:9]
	s_and_b64 s[4:5], s[4:5], exec
                                        ; implicit-def: $vgpr11
	s_or_saveexec_b64 s[6:7], s[6:7]
	v_mov_b32_e32 v12, s10
	s_xor_b64 exec, exec, s[6:7]
	s_cbranch_execz .LBB21_1430
.LBB21_3480:
	v_cmp_ne_u16_e32 vcc, 0, v11
	s_andn2_b64 s[4:5], s[4:5], exec
	s_and_b64 s[8:9], vcc, exec
	v_mov_b32_e32 v12, 0
	s_or_b64 s[4:5], s[4:5], s[8:9]
	s_or_b64 exec, exec, s[6:7]
	s_and_saveexec_b64 s[6:7], s[4:5]
	s_cbranch_execnz .LBB21_1431
	s_branch .LBB21_1432
.LBB21_3481:
	s_movk_i32 s4, 0x80
	v_cmp_eq_u16_sdwa s[12:13], v6, s4 src0_sel:BYTE_3 src1_sel:DWORD
	s_mov_b64 s[4:5], -1
                                        ; implicit-def: $sgpr10
	s_and_saveexec_b64 s[8:9], s[12:13]
; %bb.3482:
	s_mov_b32 s10, 0x7f800001
	s_xor_b64 s[4:5], exec, -1
; %bb.3483:
	s_or_b64 exec, exec, s[8:9]
	s_and_b64 s[4:5], s[4:5], exec
	s_or_saveexec_b64 s[6:7], s[6:7]
	v_mov_b32_e32 v10, s10
	s_xor_b64 exec, exec, s[6:7]
	s_cbranch_execz .LBB21_1434
.LBB21_3484:
	v_mov_b32_e32 v10, 0
	v_cmp_ne_u16_sdwa s[8:9], v6, v10 src0_sel:BYTE_3 src1_sel:DWORD
	s_andn2_b64 s[4:5], s[4:5], exec
	s_and_b64 s[8:9], s[8:9], exec
	s_or_b64 s[4:5], s[4:5], s[8:9]
	s_or_b64 exec, exec, s[6:7]
	s_and_saveexec_b64 s[6:7], s[4:5]
	s_cbranch_execnz .LBB21_1435
	s_branch .LBB21_1436
.LBB21_3485:
	s_movk_i32 s4, 0x80
	v_cmp_eq_u16_sdwa s[12:13], v2, s4 src0_sel:BYTE_3 src1_sel:DWORD
	s_mov_b64 s[4:5], -1
                                        ; implicit-def: $sgpr10
	s_and_saveexec_b64 s[8:9], s[12:13]
; %bb.3486:
	s_mov_b32 s10, 0x7f800001
	s_xor_b64 s[4:5], exec, -1
; %bb.3487:
	s_or_b64 exec, exec, s[8:9]
	s_and_b64 s[4:5], s[4:5], exec
	s_or_saveexec_b64 s[6:7], s[6:7]
	v_mov_b32_e32 v6, s10
	s_xor_b64 exec, exec, s[6:7]
	s_cbranch_execz .LBB21_1438
.LBB21_3488:
	v_mov_b32_e32 v6, 0
	v_cmp_ne_u16_sdwa s[8:9], v2, v6 src0_sel:BYTE_3 src1_sel:DWORD
	s_andn2_b64 s[4:5], s[4:5], exec
	s_and_b64 s[8:9], s[8:9], exec
	s_or_b64 s[4:5], s[4:5], s[8:9]
	s_or_b64 exec, exec, s[6:7]
	s_and_saveexec_b64 s[6:7], s[4:5]
	s_cbranch_execnz .LBB21_1439
	s_branch .LBB21_1440
.LBB21_3489:
	s_movk_i32 s4, 0x80
	v_cmp_eq_u16_sdwa s[12:13], v7, s4 src0_sel:BYTE_0 src1_sel:DWORD
	s_mov_b64 s[4:5], -1
                                        ; implicit-def: $sgpr10
	s_and_saveexec_b64 s[8:9], s[12:13]
; %bb.3490:
	s_mov_b32 s10, 0x7f800001
	s_xor_b64 s[4:5], exec, -1
; %bb.3491:
	s_or_b64 exec, exec, s[8:9]
	s_and_b64 s[4:5], s[4:5], exec
	s_or_saveexec_b64 s[6:7], s[6:7]
	v_mov_b32_e32 v2, s10
	s_xor_b64 exec, exec, s[6:7]
	s_cbranch_execz .LBB21_1442
.LBB21_3492:
	v_mov_b32_e32 v2, 0
	v_cmp_ne_u16_sdwa s[8:9], v7, v2 src0_sel:BYTE_0 src1_sel:DWORD
	s_andn2_b64 s[4:5], s[4:5], exec
	s_and_b64 s[8:9], s[8:9], exec
	s_or_b64 s[4:5], s[4:5], s[8:9]
	s_or_b64 exec, exec, s[6:7]
	s_and_saveexec_b64 s[6:7], s[4:5]
	s_cbranch_execnz .LBB21_1443
	s_branch .LBB21_1444
.LBB21_3493:
	s_movk_i32 s4, 0x80
	v_cmp_eq_u16_sdwa s[12:13], v3, s4 src0_sel:BYTE_0 src1_sel:DWORD
	s_mov_b64 s[4:5], -1
                                        ; implicit-def: $sgpr10
	s_and_saveexec_b64 s[8:9], s[12:13]
; %bb.3494:
	s_mov_b32 s10, 0x7f800001
	s_xor_b64 s[4:5], exec, -1
; %bb.3495:
	s_or_b64 exec, exec, s[8:9]
	s_and_b64 s[4:5], s[4:5], exec
	s_or_saveexec_b64 s[6:7], s[6:7]
	v_mov_b32_e32 v6, s10
	s_xor_b64 exec, exec, s[6:7]
	s_cbranch_execz .LBB21_1446
.LBB21_3496:
	v_mov_b32_e32 v6, 0
	v_cmp_ne_u16_sdwa s[8:9], v3, v6 src0_sel:BYTE_0 src1_sel:DWORD
	s_andn2_b64 s[4:5], s[4:5], exec
	s_and_b64 s[8:9], s[8:9], exec
	s_or_b64 s[4:5], s[4:5], s[8:9]
	s_or_b64 exec, exec, s[6:7]
	s_and_saveexec_b64 s[6:7], s[4:5]
	s_cbranch_execnz .LBB21_1447
	s_branch .LBB21_1448
.LBB21_3497:
	s_movk_i32 s4, 0x80
	v_cmp_eq_u16_sdwa s[12:13], v6, s4 src0_sel:BYTE_0 src1_sel:DWORD
	s_mov_b64 s[4:5], -1
                                        ; implicit-def: $sgpr10
	s_and_saveexec_b64 s[8:9], s[12:13]
; %bb.3498:
	s_mov_b32 s10, 0x7f800001
	s_xor_b64 s[4:5], exec, -1
; %bb.3499:
	s_or_b64 exec, exec, s[8:9]
	s_and_b64 s[4:5], s[4:5], exec
	s_or_saveexec_b64 s[6:7], s[6:7]
	v_mov_b32_e32 v2, s10
	s_xor_b64 exec, exec, s[6:7]
	s_cbranch_execz .LBB21_1450
.LBB21_3500:
	v_mov_b32_e32 v2, 0
	v_cmp_ne_u16_sdwa s[8:9], v6, v2 src0_sel:BYTE_0 src1_sel:DWORD
	s_andn2_b64 s[4:5], s[4:5], exec
	s_and_b64 s[8:9], s[8:9], exec
	s_or_b64 s[4:5], s[4:5], s[8:9]
	s_or_b64 exec, exec, s[6:7]
	s_and_saveexec_b64 s[6:7], s[4:5]
	s_cbranch_execnz .LBB21_1451
	s_branch .LBB21_1452
.LBB21_3501:
	s_movk_i32 s4, 0x80
	v_cmp_eq_u16_sdwa s[12:13], v6, s4 src0_sel:BYTE_0 src1_sel:DWORD
	s_mov_b64 s[4:5], -1
                                        ; implicit-def: $sgpr10
	s_and_saveexec_b64 s[8:9], s[12:13]
; %bb.3502:
	s_mov_b32 s10, 0x7f800001
	s_xor_b64 s[4:5], exec, -1
; %bb.3503:
	s_or_b64 exec, exec, s[8:9]
	s_and_b64 s[4:5], s[4:5], exec
	s_or_saveexec_b64 s[6:7], s[6:7]
	v_mov_b32_e32 v10, s10
	s_xor_b64 exec, exec, s[6:7]
	s_cbranch_execz .LBB21_1454
.LBB21_3504:
	v_mov_b32_e32 v10, 0
	v_cmp_ne_u16_sdwa s[8:9], v6, v10 src0_sel:BYTE_0 src1_sel:DWORD
	s_andn2_b64 s[4:5], s[4:5], exec
	s_and_b64 s[8:9], s[8:9], exec
	s_or_b64 s[4:5], s[4:5], s[8:9]
	s_or_b64 exec, exec, s[6:7]
	s_and_saveexec_b64 s[6:7], s[4:5]
	s_cbranch_execnz .LBB21_1455
	s_branch .LBB21_1456
.LBB21_3505:
	s_movk_i32 s4, 0x80
	v_cmp_eq_u16_e32 vcc, s4, v6
	s_mov_b64 s[4:5], -1
                                        ; implicit-def: $sgpr10
	s_and_saveexec_b64 s[8:9], vcc
; %bb.3506:
	s_mov_b32 s10, 0x7f800001
	s_xor_b64 s[4:5], exec, -1
; %bb.3507:
	s_or_b64 exec, exec, s[8:9]
	s_and_b64 s[4:5], s[4:5], exec
                                        ; implicit-def: $vgpr6
	s_or_saveexec_b64 s[6:7], s[6:7]
	v_mov_b32_e32 v2, s10
	s_xor_b64 exec, exec, s[6:7]
	s_cbranch_execz .LBB21_1458
.LBB21_3508:
	v_cmp_ne_u16_e32 vcc, 0, v6
	s_andn2_b64 s[4:5], s[4:5], exec
	s_and_b64 s[8:9], vcc, exec
	v_mov_b32_e32 v2, 0
	s_or_b64 s[4:5], s[4:5], s[8:9]
	s_or_b64 exec, exec, s[6:7]
	s_and_saveexec_b64 s[6:7], s[4:5]
	s_cbranch_execnz .LBB21_1459
	s_branch .LBB21_1460
.LBB21_3509:
	s_movk_i32 s4, 0x80
	v_cmp_eq_u16_e32 vcc, s4, v6
	s_mov_b64 s[4:5], -1
                                        ; implicit-def: $sgpr10
	s_and_saveexec_b64 s[8:9], vcc
; %bb.3510:
	s_mov_b32 s10, 0x7f800001
	s_xor_b64 s[4:5], exec, -1
; %bb.3511:
	s_or_b64 exec, exec, s[8:9]
	s_and_b64 s[4:5], s[4:5], exec
                                        ; implicit-def: $vgpr6
	s_or_saveexec_b64 s[6:7], s[6:7]
	v_mov_b32_e32 v10, s10
	s_xor_b64 exec, exec, s[6:7]
	s_cbranch_execz .LBB21_1462
.LBB21_3512:
	v_cmp_ne_u16_e32 vcc, 0, v6
	s_andn2_b64 s[4:5], s[4:5], exec
	s_and_b64 s[8:9], vcc, exec
	v_mov_b32_e32 v10, 0
	s_or_b64 s[4:5], s[4:5], s[8:9]
	s_or_b64 exec, exec, s[6:7]
	s_and_saveexec_b64 s[6:7], s[4:5]
	s_cbranch_execnz .LBB21_1463
	s_branch .LBB21_1464
.LBB21_3513:
	s_movk_i32 s4, 0x80
	v_cmp_eq_u16_sdwa s[12:13], v7, s4 src0_sel:BYTE_3 src1_sel:DWORD
	s_mov_b64 s[4:5], -1
                                        ; implicit-def: $sgpr10
	s_and_saveexec_b64 s[8:9], s[12:13]
; %bb.3514:
	s_mov_b32 s10, 0x7f800001
	s_xor_b64 s[4:5], exec, -1
; %bb.3515:
	s_or_b64 exec, exec, s[8:9]
	s_and_b64 s[4:5], s[4:5], exec
	s_or_saveexec_b64 s[6:7], s[6:7]
	v_mov_b32_e32 v2, s10
	s_xor_b64 exec, exec, s[6:7]
	s_cbranch_execz .LBB21_1466
.LBB21_3516:
	v_mov_b32_e32 v2, 0
	v_cmp_ne_u16_sdwa s[8:9], v7, v2 src0_sel:BYTE_3 src1_sel:DWORD
	s_andn2_b64 s[4:5], s[4:5], exec
	s_and_b64 s[8:9], s[8:9], exec
	s_or_b64 s[4:5], s[4:5], s[8:9]
	s_or_b64 exec, exec, s[6:7]
	s_and_saveexec_b64 s[6:7], s[4:5]
	s_cbranch_execnz .LBB21_1467
	s_branch .LBB21_1468
.LBB21_3517:
	s_movk_i32 s4, 0x80
	v_cmp_eq_u16_sdwa s[12:13], v3, s4 src0_sel:BYTE_3 src1_sel:DWORD
	s_mov_b64 s[4:5], -1
                                        ; implicit-def: $sgpr10
	s_and_saveexec_b64 s[8:9], s[12:13]
; %bb.3518:
	s_mov_b32 s10, 0x7f800001
	s_xor_b64 s[4:5], exec, -1
; %bb.3519:
	s_or_b64 exec, exec, s[8:9]
	s_and_b64 s[4:5], s[4:5], exec
	s_or_saveexec_b64 s[6:7], s[6:7]
	v_mov_b32_e32 v6, s10
	s_xor_b64 exec, exec, s[6:7]
	s_cbranch_execz .LBB21_1470
.LBB21_3520:
	v_mov_b32_e32 v6, 0
	v_cmp_ne_u16_sdwa s[8:9], v3, v6 src0_sel:BYTE_3 src1_sel:DWORD
	s_andn2_b64 s[4:5], s[4:5], exec
	s_and_b64 s[8:9], s[8:9], exec
	s_or_b64 s[4:5], s[4:5], s[8:9]
	s_or_b64 exec, exec, s[6:7]
	s_and_saveexec_b64 s[6:7], s[4:5]
	s_cbranch_execnz .LBB21_1471
	s_branch .LBB21_1472
.LBB21_3521:
	s_movk_i32 s4, 0x80
	v_cmp_eq_u16_sdwa s[12:13], v8, s4 src0_sel:BYTE_0 src1_sel:DWORD
	s_mov_b64 s[4:5], -1
                                        ; implicit-def: $sgpr10
	s_and_saveexec_b64 s[8:9], s[12:13]
; %bb.3522:
	s_mov_b32 s10, 0x7f800001
	s_xor_b64 s[4:5], exec, -1
; %bb.3523:
	s_or_b64 exec, exec, s[8:9]
	s_and_b64 s[4:5], s[4:5], exec
	s_or_saveexec_b64 s[6:7], s[6:7]
	v_mov_b32_e32 v2, s10
	s_xor_b64 exec, exec, s[6:7]
	s_cbranch_execz .LBB21_1474
.LBB21_3524:
	v_mov_b32_e32 v2, 0
	v_cmp_ne_u16_sdwa s[8:9], v8, v2 src0_sel:BYTE_0 src1_sel:DWORD
	s_andn2_b64 s[4:5], s[4:5], exec
	s_and_b64 s[8:9], s[8:9], exec
	s_or_b64 s[4:5], s[4:5], s[8:9]
	s_or_b64 exec, exec, s[6:7]
	s_and_saveexec_b64 s[6:7], s[4:5]
	s_cbranch_execnz .LBB21_1475
	s_branch .LBB21_1476
.LBB21_3525:
	s_movk_i32 s4, 0x80
	v_cmp_eq_u16_sdwa s[12:13], v4, s4 src0_sel:BYTE_0 src1_sel:DWORD
	s_mov_b64 s[4:5], -1
                                        ; implicit-def: $sgpr10
	s_and_saveexec_b64 s[8:9], s[12:13]
; %bb.3526:
	s_mov_b32 s10, 0x7f800001
	s_xor_b64 s[4:5], exec, -1
; %bb.3527:
	s_or_b64 exec, exec, s[8:9]
	s_and_b64 s[4:5], s[4:5], exec
	s_or_saveexec_b64 s[6:7], s[6:7]
	v_mov_b32_e32 v3, s10
	s_xor_b64 exec, exec, s[6:7]
	s_cbranch_execz .LBB21_1478
.LBB21_3528:
	v_mov_b32_e32 v3, 0
	v_cmp_ne_u16_sdwa s[8:9], v4, v3 src0_sel:BYTE_0 src1_sel:DWORD
	s_andn2_b64 s[4:5], s[4:5], exec
	s_and_b64 s[8:9], s[8:9], exec
	s_or_b64 s[4:5], s[4:5], s[8:9]
	s_or_b64 exec, exec, s[6:7]
	s_and_saveexec_b64 s[6:7], s[4:5]
	s_cbranch_execnz .LBB21_1479
	s_branch .LBB21_1480
.LBB21_3529:
	s_movk_i32 s4, 0x80
	v_cmp_eq_u16_sdwa s[12:13], v3, s4 src0_sel:BYTE_0 src1_sel:DWORD
	s_mov_b64 s[4:5], -1
                                        ; implicit-def: $sgpr10
	s_and_saveexec_b64 s[8:9], s[12:13]
; %bb.3530:
	s_mov_b32 s10, 0x7f800001
	s_xor_b64 s[4:5], exec, -1
; %bb.3531:
	s_or_b64 exec, exec, s[8:9]
	s_and_b64 s[4:5], s[4:5], exec
	s_or_saveexec_b64 s[6:7], s[6:7]
	v_mov_b32_e32 v2, s10
	s_xor_b64 exec, exec, s[6:7]
	s_cbranch_execz .LBB21_1482
.LBB21_3532:
	v_mov_b32_e32 v2, 0
	v_cmp_ne_u16_sdwa s[8:9], v3, v2 src0_sel:BYTE_0 src1_sel:DWORD
	s_andn2_b64 s[4:5], s[4:5], exec
	s_and_b64 s[8:9], s[8:9], exec
	s_or_b64 s[4:5], s[4:5], s[8:9]
	s_or_b64 exec, exec, s[6:7]
	s_and_saveexec_b64 s[6:7], s[4:5]
	s_cbranch_execnz .LBB21_1483
	s_branch .LBB21_1484
.LBB21_3533:
	s_movk_i32 s4, 0x80
	v_cmp_eq_u16_sdwa s[12:13], v3, s4 src0_sel:BYTE_0 src1_sel:DWORD
	s_mov_b64 s[4:5], -1
                                        ; implicit-def: $sgpr10
	s_and_saveexec_b64 s[8:9], s[12:13]
; %bb.3534:
	s_mov_b32 s10, 0x7f800001
	s_xor_b64 s[4:5], exec, -1
; %bb.3535:
	s_or_b64 exec, exec, s[8:9]
	s_and_b64 s[4:5], s[4:5], exec
	s_or_saveexec_b64 s[6:7], s[6:7]
	v_mov_b32_e32 v6, s10
	s_xor_b64 exec, exec, s[6:7]
	s_cbranch_execz .LBB21_1486
.LBB21_3536:
	v_mov_b32_e32 v6, 0
	v_cmp_ne_u16_sdwa s[8:9], v3, v6 src0_sel:BYTE_0 src1_sel:DWORD
	s_andn2_b64 s[4:5], s[4:5], exec
	s_and_b64 s[8:9], s[8:9], exec
	s_or_b64 s[4:5], s[4:5], s[8:9]
	s_or_b64 exec, exec, s[6:7]
	s_and_saveexec_b64 s[6:7], s[4:5]
	s_cbranch_execnz .LBB21_1487
	s_branch .LBB21_1488
.LBB21_3537:
	s_movk_i32 s4, 0x80
	v_cmp_eq_u16_e32 vcc, s4, v3
	s_mov_b64 s[4:5], -1
                                        ; implicit-def: $sgpr10
	s_and_saveexec_b64 s[8:9], vcc
; %bb.3538:
	s_mov_b32 s10, 0x7f800001
	s_xor_b64 s[4:5], exec, -1
; %bb.3539:
	s_or_b64 exec, exec, s[8:9]
	s_and_b64 s[4:5], s[4:5], exec
                                        ; implicit-def: $vgpr3
	s_or_saveexec_b64 s[6:7], s[6:7]
	v_mov_b32_e32 v2, s10
	s_xor_b64 exec, exec, s[6:7]
	s_cbranch_execz .LBB21_1490
.LBB21_3540:
	v_cmp_ne_u16_e32 vcc, 0, v3
	s_andn2_b64 s[4:5], s[4:5], exec
	s_and_b64 s[8:9], vcc, exec
	v_mov_b32_e32 v2, 0
	s_or_b64 s[4:5], s[4:5], s[8:9]
	s_or_b64 exec, exec, s[6:7]
	s_and_saveexec_b64 s[6:7], s[4:5]
	s_cbranch_execnz .LBB21_1491
	s_branch .LBB21_1492
.LBB21_3541:
	s_movk_i32 s4, 0x80
	v_cmp_eq_u16_e32 vcc, s4, v3
	s_mov_b64 s[4:5], -1
                                        ; implicit-def: $sgpr10
	s_and_saveexec_b64 s[8:9], vcc
; %bb.3542:
	s_mov_b32 s10, 0x7f800001
	s_xor_b64 s[4:5], exec, -1
; %bb.3543:
	s_or_b64 exec, exec, s[8:9]
	s_and_b64 s[4:5], s[4:5], exec
                                        ; implicit-def: $vgpr3
	s_or_saveexec_b64 s[6:7], s[6:7]
	v_mov_b32_e32 v6, s10
	s_xor_b64 exec, exec, s[6:7]
	s_cbranch_execz .LBB21_1494
.LBB21_3544:
	v_cmp_ne_u16_e32 vcc, 0, v3
	s_andn2_b64 s[4:5], s[4:5], exec
	s_and_b64 s[8:9], vcc, exec
	v_mov_b32_e32 v6, 0
	s_or_b64 s[4:5], s[4:5], s[8:9]
	s_or_b64 exec, exec, s[6:7]
	s_and_saveexec_b64 s[6:7], s[4:5]
	s_cbranch_execnz .LBB21_1495
	s_branch .LBB21_1496
.LBB21_3545:
	s_movk_i32 s4, 0x80
	v_cmp_eq_u16_sdwa s[12:13], v8, s4 src0_sel:BYTE_3 src1_sel:DWORD
	s_mov_b64 s[4:5], -1
                                        ; implicit-def: $sgpr10
	s_and_saveexec_b64 s[8:9], s[12:13]
; %bb.3546:
	s_mov_b32 s10, 0x7f800001
	s_xor_b64 s[4:5], exec, -1
; %bb.3547:
	s_or_b64 exec, exec, s[8:9]
	s_and_b64 s[4:5], s[4:5], exec
	s_or_saveexec_b64 s[6:7], s[6:7]
	v_mov_b32_e32 v2, s10
	s_xor_b64 exec, exec, s[6:7]
	s_cbranch_execz .LBB21_1498
.LBB21_3548:
	v_mov_b32_e32 v2, 0
	v_cmp_ne_u16_sdwa s[8:9], v8, v2 src0_sel:BYTE_3 src1_sel:DWORD
	s_andn2_b64 s[4:5], s[4:5], exec
	s_and_b64 s[8:9], s[8:9], exec
	s_or_b64 s[4:5], s[4:5], s[8:9]
	s_or_b64 exec, exec, s[6:7]
	s_and_saveexec_b64 s[6:7], s[4:5]
	s_cbranch_execnz .LBB21_1499
	s_branch .LBB21_1500
.LBB21_3549:
	s_movk_i32 s4, 0x80
	v_cmp_eq_u16_sdwa s[12:13], v4, s4 src0_sel:BYTE_3 src1_sel:DWORD
	s_mov_b64 s[4:5], -1
                                        ; implicit-def: $sgpr10
	s_and_saveexec_b64 s[8:9], s[12:13]
; %bb.3550:
	s_mov_b32 s10, 0x7f800001
	s_xor_b64 s[4:5], exec, -1
; %bb.3551:
	s_or_b64 exec, exec, s[8:9]
	s_and_b64 s[4:5], s[4:5], exec
	s_or_saveexec_b64 s[6:7], s[6:7]
	v_mov_b32_e32 v3, s10
	s_xor_b64 exec, exec, s[6:7]
	s_cbranch_execz .LBB21_1502
.LBB21_3552:
	v_mov_b32_e32 v3, 0
	v_cmp_ne_u16_sdwa s[8:9], v4, v3 src0_sel:BYTE_3 src1_sel:DWORD
	s_andn2_b64 s[4:5], s[4:5], exec
	s_and_b64 s[8:9], s[8:9], exec
	s_or_b64 s[4:5], s[4:5], s[8:9]
	s_or_b64 exec, exec, s[6:7]
	s_and_saveexec_b64 s[6:7], s[4:5]
	s_cbranch_execnz .LBB21_1503
	s_branch .LBB21_1504
.LBB21_3553:
	s_movk_i32 s4, 0x80
	v_cmp_eq_u16_sdwa s[12:13], v9, s4 src0_sel:BYTE_0 src1_sel:DWORD
	s_mov_b64 s[4:5], -1
                                        ; implicit-def: $sgpr10
	s_and_saveexec_b64 s[8:9], s[12:13]
; %bb.3554:
	s_mov_b32 s10, 0x7f800001
	s_xor_b64 s[4:5], exec, -1
; %bb.3555:
	s_or_b64 exec, exec, s[8:9]
	s_and_b64 s[4:5], s[4:5], exec
	s_or_saveexec_b64 s[6:7], s[6:7]
	v_mov_b32_e32 v2, s10
	s_xor_b64 exec, exec, s[6:7]
	s_cbranch_execz .LBB21_1506
.LBB21_3556:
	v_mov_b32_e32 v2, 0
	v_cmp_ne_u16_sdwa s[8:9], v9, v2 src0_sel:BYTE_0 src1_sel:DWORD
	s_andn2_b64 s[4:5], s[4:5], exec
	s_and_b64 s[8:9], s[8:9], exec
	s_or_b64 s[4:5], s[4:5], s[8:9]
	s_or_b64 exec, exec, s[6:7]
	s_and_saveexec_b64 s[6:7], s[4:5]
	s_cbranch_execnz .LBB21_1507
	s_branch .LBB21_1508
.LBB21_3557:
	s_movk_i32 s4, 0x80
	v_cmp_eq_u16_sdwa s[12:13], v5, s4 src0_sel:BYTE_0 src1_sel:DWORD
	s_mov_b64 s[4:5], -1
                                        ; implicit-def: $sgpr10
	s_and_saveexec_b64 s[8:9], s[12:13]
; %bb.3558:
	s_mov_b32 s10, 0x7f800001
	s_xor_b64 s[4:5], exec, -1
; %bb.3559:
	s_or_b64 exec, exec, s[8:9]
	s_and_b64 s[4:5], s[4:5], exec
	s_or_saveexec_b64 s[6:7], s[6:7]
	v_mov_b32_e32 v3, s10
	s_xor_b64 exec, exec, s[6:7]
	s_cbranch_execz .LBB21_1510
.LBB21_3560:
	v_mov_b32_e32 v3, 0
	v_cmp_ne_u16_sdwa s[8:9], v5, v3 src0_sel:BYTE_0 src1_sel:DWORD
	s_andn2_b64 s[4:5], s[4:5], exec
	s_and_b64 s[8:9], s[8:9], exec
	s_or_b64 s[4:5], s[4:5], s[8:9]
	s_or_b64 exec, exec, s[6:7]
	s_and_saveexec_b64 s[6:7], s[4:5]
	s_cbranch_execnz .LBB21_1511
	s_branch .LBB21_1512
.LBB21_3561:
	s_movk_i32 s4, 0x80
	v_cmp_eq_u16_sdwa s[12:13], v3, s4 src0_sel:BYTE_0 src1_sel:DWORD
	s_mov_b64 s[4:5], -1
                                        ; implicit-def: $sgpr10
	s_and_saveexec_b64 s[8:9], s[12:13]
; %bb.3562:
	s_mov_b32 s10, 0x7f800001
	s_xor_b64 s[4:5], exec, -1
; %bb.3563:
	s_or_b64 exec, exec, s[8:9]
	s_and_b64 s[4:5], s[4:5], exec
	s_or_saveexec_b64 s[6:7], s[6:7]
	v_mov_b32_e32 v2, s10
	s_xor_b64 exec, exec, s[6:7]
	s_cbranch_execz .LBB21_1514
.LBB21_3564:
	v_mov_b32_e32 v2, 0
	v_cmp_ne_u16_sdwa s[8:9], v3, v2 src0_sel:BYTE_0 src1_sel:DWORD
	s_andn2_b64 s[4:5], s[4:5], exec
	s_and_b64 s[8:9], s[8:9], exec
	s_or_b64 s[4:5], s[4:5], s[8:9]
	s_or_b64 exec, exec, s[6:7]
	s_and_saveexec_b64 s[6:7], s[4:5]
	s_cbranch_execnz .LBB21_1515
	s_branch .LBB21_1516
.LBB21_3565:
	s_movk_i32 s4, 0x80
	v_cmp_eq_u16_sdwa s[12:13], v3, s4 src0_sel:BYTE_0 src1_sel:DWORD
	s_mov_b64 s[4:5], -1
                                        ; implicit-def: $sgpr10
	s_and_saveexec_b64 s[8:9], s[12:13]
; %bb.3566:
	s_mov_b32 s10, 0x7f800001
	s_xor_b64 s[4:5], exec, -1
; %bb.3567:
	s_or_b64 exec, exec, s[8:9]
	s_and_b64 s[4:5], s[4:5], exec
	s_or_saveexec_b64 s[6:7], s[6:7]
	v_mov_b32_e32 v4, s10
	s_xor_b64 exec, exec, s[6:7]
	s_cbranch_execz .LBB21_1518
.LBB21_3568:
	v_mov_b32_e32 v4, 0
	v_cmp_ne_u16_sdwa s[8:9], v3, v4 src0_sel:BYTE_0 src1_sel:DWORD
	s_andn2_b64 s[4:5], s[4:5], exec
	s_and_b64 s[8:9], s[8:9], exec
	s_or_b64 s[4:5], s[4:5], s[8:9]
	s_or_b64 exec, exec, s[6:7]
	s_and_saveexec_b64 s[6:7], s[4:5]
	s_cbranch_execnz .LBB21_1519
	s_branch .LBB21_1520
.LBB21_3569:
	s_movk_i32 s4, 0x80
	v_cmp_eq_u16_e32 vcc, s4, v3
	s_mov_b64 s[4:5], -1
                                        ; implicit-def: $sgpr10
	s_and_saveexec_b64 s[8:9], vcc
; %bb.3570:
	s_mov_b32 s10, 0x7f800001
	s_xor_b64 s[4:5], exec, -1
; %bb.3571:
	s_or_b64 exec, exec, s[8:9]
	s_and_b64 s[4:5], s[4:5], exec
                                        ; implicit-def: $vgpr3
	s_or_saveexec_b64 s[6:7], s[6:7]
	v_mov_b32_e32 v2, s10
	s_xor_b64 exec, exec, s[6:7]
	s_cbranch_execz .LBB21_1522
.LBB21_3572:
	v_cmp_ne_u16_e32 vcc, 0, v3
	s_andn2_b64 s[4:5], s[4:5], exec
	s_and_b64 s[8:9], vcc, exec
	v_mov_b32_e32 v2, 0
	s_or_b64 s[4:5], s[4:5], s[8:9]
	s_or_b64 exec, exec, s[6:7]
	s_and_saveexec_b64 s[6:7], s[4:5]
	s_cbranch_execnz .LBB21_1523
	s_branch .LBB21_1524
.LBB21_3573:
	s_movk_i32 s4, 0x80
	v_cmp_eq_u16_e32 vcc, s4, v3
	s_mov_b64 s[4:5], -1
                                        ; implicit-def: $sgpr10
	s_and_saveexec_b64 s[8:9], vcc
; %bb.3574:
	s_mov_b32 s10, 0x7f800001
	s_xor_b64 s[4:5], exec, -1
; %bb.3575:
	s_or_b64 exec, exec, s[8:9]
	s_and_b64 s[4:5], s[4:5], exec
                                        ; implicit-def: $vgpr3
	s_or_saveexec_b64 s[6:7], s[6:7]
	v_mov_b32_e32 v4, s10
	s_xor_b64 exec, exec, s[6:7]
	s_cbranch_execz .LBB21_1526
.LBB21_3576:
	v_cmp_ne_u16_e32 vcc, 0, v3
	s_andn2_b64 s[4:5], s[4:5], exec
	s_and_b64 s[8:9], vcc, exec
	v_mov_b32_e32 v4, 0
	s_or_b64 s[4:5], s[4:5], s[8:9]
	s_or_b64 exec, exec, s[6:7]
	s_and_saveexec_b64 s[6:7], s[4:5]
	s_cbranch_execnz .LBB21_1527
	s_branch .LBB21_1528
.LBB21_3577:
	s_movk_i32 s4, 0x80
	v_cmp_eq_u16_sdwa s[12:13], v9, s4 src0_sel:BYTE_3 src1_sel:DWORD
	s_mov_b64 s[4:5], -1
                                        ; implicit-def: $sgpr10
	s_and_saveexec_b64 s[8:9], s[12:13]
; %bb.3578:
	s_mov_b32 s10, 0x7f800001
	s_xor_b64 s[4:5], exec, -1
; %bb.3579:
	s_or_b64 exec, exec, s[8:9]
	s_and_b64 s[4:5], s[4:5], exec
	s_or_saveexec_b64 s[6:7], s[6:7]
	v_mov_b32_e32 v2, s10
	s_xor_b64 exec, exec, s[6:7]
	s_cbranch_execz .LBB21_1530
.LBB21_3580:
	v_mov_b32_e32 v2, 0
	v_cmp_ne_u16_sdwa s[8:9], v9, v2 src0_sel:BYTE_3 src1_sel:DWORD
	s_andn2_b64 s[4:5], s[4:5], exec
	s_and_b64 s[8:9], s[8:9], exec
	s_or_b64 s[4:5], s[4:5], s[8:9]
	s_or_b64 exec, exec, s[6:7]
	s_and_saveexec_b64 s[6:7], s[4:5]
	s_cbranch_execnz .LBB21_1531
	s_branch .LBB21_1532
.LBB21_3581:
	s_movk_i32 s4, 0x80
	v_cmp_eq_u16_sdwa s[12:13], v5, s4 src0_sel:BYTE_3 src1_sel:DWORD
	s_mov_b64 s[4:5], -1
                                        ; implicit-def: $sgpr10
	s_and_saveexec_b64 s[8:9], s[12:13]
; %bb.3582:
	s_mov_b32 s10, 0x7f800001
	s_xor_b64 s[4:5], exec, -1
; %bb.3583:
	s_or_b64 exec, exec, s[8:9]
	s_and_b64 s[4:5], s[4:5], exec
	s_or_saveexec_b64 s[6:7], s[6:7]
	v_mov_b32_e32 v3, s10
	s_xor_b64 exec, exec, s[6:7]
	s_cbranch_execz .LBB21_1534
.LBB21_3584:
	v_mov_b32_e32 v3, 0
	v_cmp_ne_u16_sdwa s[8:9], v5, v3 src0_sel:BYTE_3 src1_sel:DWORD
	s_andn2_b64 s[4:5], s[4:5], exec
	s_and_b64 s[8:9], s[8:9], exec
	s_or_b64 s[4:5], s[4:5], s[8:9]
	s_or_b64 exec, exec, s[6:7]
	s_and_saveexec_b64 s[6:7], s[4:5]
	s_cbranch_execnz .LBB21_1535
	s_branch .LBB21_1536
.LBB21_3585:
	s_movk_i32 s4, 0x80
	v_cmp_eq_u16_sdwa s[12:13], v14, s4 src0_sel:BYTE_0 src1_sel:DWORD
	s_mov_b64 s[4:5], -1
                                        ; implicit-def: $sgpr10
	s_and_saveexec_b64 s[8:9], s[12:13]
; %bb.3586:
	s_mov_b32 s10, 0x7f800001
	s_xor_b64 s[4:5], exec, -1
; %bb.3587:
	s_or_b64 exec, exec, s[8:9]
	s_and_b64 s[4:5], s[4:5], exec
	s_or_saveexec_b64 s[6:7], s[6:7]
	v_mov_b32_e32 v20, s10
	s_xor_b64 exec, exec, s[6:7]
	s_cbranch_execz .LBB21_1538
.LBB21_3588:
	v_mov_b32_e32 v20, 0
	v_cmp_ne_u16_sdwa s[8:9], v14, v20 src0_sel:BYTE_0 src1_sel:DWORD
	s_andn2_b64 s[4:5], s[4:5], exec
	s_and_b64 s[8:9], s[8:9], exec
	s_or_b64 s[4:5], s[4:5], s[8:9]
	s_or_b64 exec, exec, s[6:7]
	s_and_saveexec_b64 s[6:7], s[4:5]
	s_cbranch_execnz .LBB21_1539
	s_branch .LBB21_1540
.LBB21_3589:
	s_movk_i32 s4, 0x80
	v_cmp_eq_u16_sdwa s[12:13], v10, s4 src0_sel:BYTE_0 src1_sel:DWORD
	s_mov_b64 s[4:5], -1
                                        ; implicit-def: $sgpr10
	s_and_saveexec_b64 s[8:9], s[12:13]
; %bb.3590:
	s_mov_b32 s10, 0x7f800001
	s_xor_b64 s[4:5], exec, -1
; %bb.3591:
	s_or_b64 exec, exec, s[8:9]
	s_and_b64 s[4:5], s[4:5], exec
	s_or_saveexec_b64 s[6:7], s[6:7]
	v_mov_b32_e32 v21, s10
	s_xor_b64 exec, exec, s[6:7]
	s_cbranch_execz .LBB21_1542
.LBB21_3592:
	v_mov_b32_e32 v21, 0
	v_cmp_ne_u16_sdwa s[8:9], v10, v21 src0_sel:BYTE_0 src1_sel:DWORD
	s_andn2_b64 s[4:5], s[4:5], exec
	s_and_b64 s[8:9], s[8:9], exec
	s_or_b64 s[4:5], s[4:5], s[8:9]
	s_or_b64 exec, exec, s[6:7]
	s_and_saveexec_b64 s[6:7], s[4:5]
	s_cbranch_execnz .LBB21_1543
	s_branch .LBB21_1544
.LBB21_3593:
	s_movk_i32 s4, 0x80
	v_cmp_eq_u16_sdwa s[12:13], v21, s4 src0_sel:BYTE_0 src1_sel:DWORD
	s_mov_b64 s[4:5], -1
                                        ; implicit-def: $sgpr10
	s_and_saveexec_b64 s[8:9], s[12:13]
; %bb.3594:
	s_mov_b32 s10, 0x7f800001
	s_xor_b64 s[4:5], exec, -1
; %bb.3595:
	s_or_b64 exec, exec, s[8:9]
	s_and_b64 s[4:5], s[4:5], exec
	s_or_saveexec_b64 s[6:7], s[6:7]
	v_mov_b32_e32 v20, s10
	s_xor_b64 exec, exec, s[6:7]
	s_cbranch_execz .LBB21_1546
.LBB21_3596:
	v_mov_b32_e32 v20, 0
	v_cmp_ne_u16_sdwa s[8:9], v21, v20 src0_sel:BYTE_0 src1_sel:DWORD
	s_andn2_b64 s[4:5], s[4:5], exec
	s_and_b64 s[8:9], s[8:9], exec
	s_or_b64 s[4:5], s[4:5], s[8:9]
	s_or_b64 exec, exec, s[6:7]
	s_and_saveexec_b64 s[6:7], s[4:5]
	s_cbranch_execnz .LBB21_1547
	s_branch .LBB21_1548
.LBB21_3597:
	s_movk_i32 s4, 0x80
	v_cmp_eq_u16_sdwa s[12:13], v21, s4 src0_sel:BYTE_0 src1_sel:DWORD
	s_mov_b64 s[4:5], -1
                                        ; implicit-def: $sgpr10
	s_and_saveexec_b64 s[8:9], s[12:13]
; %bb.3598:
	s_mov_b32 s10, 0x7f800001
	s_xor_b64 s[4:5], exec, -1
; %bb.3599:
	s_or_b64 exec, exec, s[8:9]
	s_and_b64 s[4:5], s[4:5], exec
	s_or_saveexec_b64 s[6:7], s[6:7]
	v_mov_b32_e32 v22, s10
	s_xor_b64 exec, exec, s[6:7]
	s_cbranch_execz .LBB21_1550
.LBB21_3600:
	v_mov_b32_e32 v22, 0
	v_cmp_ne_u16_sdwa s[8:9], v21, v22 src0_sel:BYTE_0 src1_sel:DWORD
	s_andn2_b64 s[4:5], s[4:5], exec
	s_and_b64 s[8:9], s[8:9], exec
	s_or_b64 s[4:5], s[4:5], s[8:9]
	s_or_b64 exec, exec, s[6:7]
	s_and_saveexec_b64 s[6:7], s[4:5]
	s_cbranch_execnz .LBB21_1551
	s_branch .LBB21_1552
.LBB21_3601:
	s_movk_i32 s4, 0x80
	v_cmp_eq_u16_e32 vcc, s4, v21
	s_mov_b64 s[4:5], -1
                                        ; implicit-def: $sgpr10
	s_and_saveexec_b64 s[8:9], vcc
; %bb.3602:
	s_mov_b32 s10, 0x7f800001
	s_xor_b64 s[4:5], exec, -1
; %bb.3603:
	s_or_b64 exec, exec, s[8:9]
	s_and_b64 s[4:5], s[4:5], exec
                                        ; implicit-def: $vgpr21
	s_or_saveexec_b64 s[6:7], s[6:7]
	v_mov_b32_e32 v20, s10
	s_xor_b64 exec, exec, s[6:7]
	s_cbranch_execz .LBB21_1554
.LBB21_3604:
	v_cmp_ne_u16_e32 vcc, 0, v21
	s_andn2_b64 s[4:5], s[4:5], exec
	s_and_b64 s[8:9], vcc, exec
	v_mov_b32_e32 v20, 0
	s_or_b64 s[4:5], s[4:5], s[8:9]
	s_or_b64 exec, exec, s[6:7]
	s_and_saveexec_b64 s[6:7], s[4:5]
	s_cbranch_execnz .LBB21_1555
	s_branch .LBB21_1556
.LBB21_3605:
	s_movk_i32 s4, 0x80
	v_cmp_eq_u16_e32 vcc, s4, v21
	s_mov_b64 s[4:5], -1
                                        ; implicit-def: $sgpr10
	s_and_saveexec_b64 s[8:9], vcc
; %bb.3606:
	s_mov_b32 s10, 0x7f800001
	s_xor_b64 s[4:5], exec, -1
; %bb.3607:
	s_or_b64 exec, exec, s[8:9]
	s_and_b64 s[4:5], s[4:5], exec
                                        ; implicit-def: $vgpr21
	s_or_saveexec_b64 s[6:7], s[6:7]
	v_mov_b32_e32 v22, s10
	s_xor_b64 exec, exec, s[6:7]
	s_cbranch_execz .LBB21_1558
.LBB21_3608:
	v_cmp_ne_u16_e32 vcc, 0, v21
	s_andn2_b64 s[4:5], s[4:5], exec
	s_and_b64 s[8:9], vcc, exec
	v_mov_b32_e32 v22, 0
	s_or_b64 s[4:5], s[4:5], s[8:9]
	s_or_b64 exec, exec, s[6:7]
	s_and_saveexec_b64 s[6:7], s[4:5]
	s_cbranch_execnz .LBB21_1559
	s_branch .LBB21_1560
.LBB21_3609:
	s_movk_i32 s4, 0x80
	v_cmp_eq_u16_sdwa s[12:13], v14, s4 src0_sel:BYTE_3 src1_sel:DWORD
	s_mov_b64 s[4:5], -1
                                        ; implicit-def: $sgpr10
	s_and_saveexec_b64 s[8:9], s[12:13]
; %bb.3610:
	s_mov_b32 s10, 0x7f800001
	s_xor_b64 s[4:5], exec, -1
; %bb.3611:
	s_or_b64 exec, exec, s[8:9]
	s_and_b64 s[4:5], s[4:5], exec
	s_or_saveexec_b64 s[6:7], s[6:7]
	v_mov_b32_e32 v20, s10
	s_xor_b64 exec, exec, s[6:7]
	s_cbranch_execz .LBB21_1562
.LBB21_3612:
	v_mov_b32_e32 v20, 0
	v_cmp_ne_u16_sdwa s[8:9], v14, v20 src0_sel:BYTE_3 src1_sel:DWORD
	s_andn2_b64 s[4:5], s[4:5], exec
	s_and_b64 s[8:9], s[8:9], exec
	s_or_b64 s[4:5], s[4:5], s[8:9]
	s_or_b64 exec, exec, s[6:7]
	s_and_saveexec_b64 s[6:7], s[4:5]
	s_cbranch_execnz .LBB21_1563
	s_branch .LBB21_1564
.LBB21_3613:
	s_movk_i32 s4, 0x80
	v_cmp_eq_u16_sdwa s[12:13], v10, s4 src0_sel:BYTE_3 src1_sel:DWORD
	s_mov_b64 s[4:5], -1
                                        ; implicit-def: $sgpr10
	s_and_saveexec_b64 s[8:9], s[12:13]
; %bb.3614:
	s_mov_b32 s10, 0x7f800001
	s_xor_b64 s[4:5], exec, -1
; %bb.3615:
	s_or_b64 exec, exec, s[8:9]
	s_and_b64 s[4:5], s[4:5], exec
	s_or_saveexec_b64 s[6:7], s[6:7]
	v_mov_b32_e32 v14, s10
	s_xor_b64 exec, exec, s[6:7]
	s_cbranch_execz .LBB21_1566
.LBB21_3616:
	v_mov_b32_e32 v14, 0
	v_cmp_ne_u16_sdwa s[8:9], v10, v14 src0_sel:BYTE_3 src1_sel:DWORD
	s_andn2_b64 s[4:5], s[4:5], exec
	s_and_b64 s[8:9], s[8:9], exec
	s_or_b64 s[4:5], s[4:5], s[8:9]
	s_or_b64 exec, exec, s[6:7]
	s_and_saveexec_b64 s[6:7], s[4:5]
	s_cbranch_execnz .LBB21_1567
	s_branch .LBB21_1568
.LBB21_3617:
	s_movk_i32 s4, 0x80
	v_cmp_eq_u16_sdwa s[12:13], v15, s4 src0_sel:BYTE_0 src1_sel:DWORD
	s_mov_b64 s[4:5], -1
                                        ; implicit-def: $sgpr10
	s_and_saveexec_b64 s[8:9], s[12:13]
; %bb.3618:
	s_mov_b32 s10, 0x7f800001
	s_xor_b64 s[4:5], exec, -1
; %bb.3619:
	s_or_b64 exec, exec, s[8:9]
	s_and_b64 s[4:5], s[4:5], exec
	s_or_saveexec_b64 s[6:7], s[6:7]
	v_mov_b32_e32 v10, s10
	s_xor_b64 exec, exec, s[6:7]
	s_cbranch_execz .LBB21_1570
.LBB21_3620:
	v_mov_b32_e32 v10, 0
	v_cmp_ne_u16_sdwa s[8:9], v15, v10 src0_sel:BYTE_0 src1_sel:DWORD
	s_andn2_b64 s[4:5], s[4:5], exec
	s_and_b64 s[8:9], s[8:9], exec
	s_or_b64 s[4:5], s[4:5], s[8:9]
	s_or_b64 exec, exec, s[6:7]
	s_and_saveexec_b64 s[6:7], s[4:5]
	s_cbranch_execnz .LBB21_1571
	s_branch .LBB21_1572
.LBB21_3621:
	s_movk_i32 s4, 0x80
	v_cmp_eq_u16_sdwa s[12:13], v11, s4 src0_sel:BYTE_0 src1_sel:DWORD
	s_mov_b64 s[4:5], -1
                                        ; implicit-def: $sgpr10
	s_and_saveexec_b64 s[8:9], s[12:13]
; %bb.3622:
	s_mov_b32 s10, 0x7f800001
	s_xor_b64 s[4:5], exec, -1
; %bb.3623:
	s_or_b64 exec, exec, s[8:9]
	s_and_b64 s[4:5], s[4:5], exec
	s_or_saveexec_b64 s[6:7], s[6:7]
	v_mov_b32_e32 v14, s10
	s_xor_b64 exec, exec, s[6:7]
	s_cbranch_execz .LBB21_1574
.LBB21_3624:
	v_mov_b32_e32 v14, 0
	v_cmp_ne_u16_sdwa s[8:9], v11, v14 src0_sel:BYTE_0 src1_sel:DWORD
	s_andn2_b64 s[4:5], s[4:5], exec
	s_and_b64 s[8:9], s[8:9], exec
	s_or_b64 s[4:5], s[4:5], s[8:9]
	s_or_b64 exec, exec, s[6:7]
	s_and_saveexec_b64 s[6:7], s[4:5]
	s_cbranch_execnz .LBB21_1575
	s_branch .LBB21_1576
.LBB21_3625:
	s_movk_i32 s4, 0x80
	v_cmp_eq_u16_sdwa s[12:13], v14, s4 src0_sel:BYTE_0 src1_sel:DWORD
	s_mov_b64 s[4:5], -1
                                        ; implicit-def: $sgpr10
	s_and_saveexec_b64 s[8:9], s[12:13]
; %bb.3626:
	s_mov_b32 s10, 0x7f800001
	s_xor_b64 s[4:5], exec, -1
; %bb.3627:
	s_or_b64 exec, exec, s[8:9]
	s_and_b64 s[4:5], s[4:5], exec
	s_or_saveexec_b64 s[6:7], s[6:7]
	v_mov_b32_e32 v10, s10
	s_xor_b64 exec, exec, s[6:7]
	s_cbranch_execz .LBB21_1578
.LBB21_3628:
	v_mov_b32_e32 v10, 0
	v_cmp_ne_u16_sdwa s[8:9], v14, v10 src0_sel:BYTE_0 src1_sel:DWORD
	s_andn2_b64 s[4:5], s[4:5], exec
	s_and_b64 s[8:9], s[8:9], exec
	s_or_b64 s[4:5], s[4:5], s[8:9]
	s_or_b64 exec, exec, s[6:7]
	s_and_saveexec_b64 s[6:7], s[4:5]
	s_cbranch_execnz .LBB21_1579
	s_branch .LBB21_1580
.LBB21_3629:
	s_movk_i32 s4, 0x80
	v_cmp_eq_u16_sdwa s[12:13], v14, s4 src0_sel:BYTE_0 src1_sel:DWORD
	s_mov_b64 s[4:5], -1
                                        ; implicit-def: $sgpr10
	s_and_saveexec_b64 s[8:9], s[12:13]
; %bb.3630:
	s_mov_b32 s10, 0x7f800001
	s_xor_b64 s[4:5], exec, -1
; %bb.3631:
	s_or_b64 exec, exec, s[8:9]
	s_and_b64 s[4:5], s[4:5], exec
	s_or_saveexec_b64 s[6:7], s[6:7]
	v_mov_b32_e32 v20, s10
	s_xor_b64 exec, exec, s[6:7]
	s_cbranch_execz .LBB21_1582
.LBB21_3632:
	v_mov_b32_e32 v20, 0
	v_cmp_ne_u16_sdwa s[8:9], v14, v20 src0_sel:BYTE_0 src1_sel:DWORD
	s_andn2_b64 s[4:5], s[4:5], exec
	s_and_b64 s[8:9], s[8:9], exec
	s_or_b64 s[4:5], s[4:5], s[8:9]
	s_or_b64 exec, exec, s[6:7]
	s_and_saveexec_b64 s[6:7], s[4:5]
	s_cbranch_execnz .LBB21_1583
	s_branch .LBB21_1584
.LBB21_3633:
	s_movk_i32 s4, 0x80
	v_cmp_eq_u16_e32 vcc, s4, v14
	s_mov_b64 s[4:5], -1
                                        ; implicit-def: $sgpr10
	s_and_saveexec_b64 s[8:9], vcc
; %bb.3634:
	s_mov_b32 s10, 0x7f800001
	s_xor_b64 s[4:5], exec, -1
; %bb.3635:
	s_or_b64 exec, exec, s[8:9]
	s_and_b64 s[4:5], s[4:5], exec
                                        ; implicit-def: $vgpr14
	s_or_saveexec_b64 s[6:7], s[6:7]
	v_mov_b32_e32 v10, s10
	s_xor_b64 exec, exec, s[6:7]
	s_cbranch_execz .LBB21_1586
.LBB21_3636:
	v_cmp_ne_u16_e32 vcc, 0, v14
	s_andn2_b64 s[4:5], s[4:5], exec
	s_and_b64 s[8:9], vcc, exec
	v_mov_b32_e32 v10, 0
	s_or_b64 s[4:5], s[4:5], s[8:9]
	s_or_b64 exec, exec, s[6:7]
	s_and_saveexec_b64 s[6:7], s[4:5]
	s_cbranch_execnz .LBB21_1587
	s_branch .LBB21_1588
.LBB21_3637:
	s_movk_i32 s4, 0x80
	v_cmp_eq_u16_e32 vcc, s4, v14
	s_mov_b64 s[4:5], -1
                                        ; implicit-def: $sgpr10
	s_and_saveexec_b64 s[8:9], vcc
; %bb.3638:
	s_mov_b32 s10, 0x7f800001
	s_xor_b64 s[4:5], exec, -1
; %bb.3639:
	s_or_b64 exec, exec, s[8:9]
	s_and_b64 s[4:5], s[4:5], exec
                                        ; implicit-def: $vgpr14
	s_or_saveexec_b64 s[6:7], s[6:7]
	v_mov_b32_e32 v20, s10
	s_xor_b64 exec, exec, s[6:7]
	s_cbranch_execz .LBB21_1590
.LBB21_3640:
	v_cmp_ne_u16_e32 vcc, 0, v14
	s_andn2_b64 s[4:5], s[4:5], exec
	s_and_b64 s[8:9], vcc, exec
	v_mov_b32_e32 v20, 0
	s_or_b64 s[4:5], s[4:5], s[8:9]
	s_or_b64 exec, exec, s[6:7]
	s_and_saveexec_b64 s[6:7], s[4:5]
	s_cbranch_execnz .LBB21_1591
	s_branch .LBB21_1592
.LBB21_3641:
	s_movk_i32 s4, 0x80
	v_cmp_eq_u16_sdwa s[12:13], v15, s4 src0_sel:BYTE_3 src1_sel:DWORD
	s_mov_b64 s[4:5], -1
                                        ; implicit-def: $sgpr10
	s_and_saveexec_b64 s[8:9], s[12:13]
; %bb.3642:
	s_mov_b32 s10, 0x7f800001
	s_xor_b64 s[4:5], exec, -1
; %bb.3643:
	s_or_b64 exec, exec, s[8:9]
	s_and_b64 s[4:5], s[4:5], exec
	s_or_saveexec_b64 s[6:7], s[6:7]
	v_mov_b32_e32 v10, s10
	s_xor_b64 exec, exec, s[6:7]
	s_cbranch_execz .LBB21_1594
.LBB21_3644:
	v_mov_b32_e32 v10, 0
	v_cmp_ne_u16_sdwa s[8:9], v15, v10 src0_sel:BYTE_3 src1_sel:DWORD
	s_andn2_b64 s[4:5], s[4:5], exec
	s_and_b64 s[8:9], s[8:9], exec
	s_or_b64 s[4:5], s[4:5], s[8:9]
	s_or_b64 exec, exec, s[6:7]
	s_and_saveexec_b64 s[6:7], s[4:5]
	s_cbranch_execnz .LBB21_1595
	s_branch .LBB21_1596
.LBB21_3645:
	s_movk_i32 s4, 0x80
	v_cmp_eq_u16_sdwa s[12:13], v11, s4 src0_sel:BYTE_3 src1_sel:DWORD
	s_mov_b64 s[4:5], -1
                                        ; implicit-def: $sgpr10
	s_and_saveexec_b64 s[8:9], s[12:13]
; %bb.3646:
	s_mov_b32 s10, 0x7f800001
	s_xor_b64 s[4:5], exec, -1
; %bb.3647:
	s_or_b64 exec, exec, s[8:9]
	s_and_b64 s[4:5], s[4:5], exec
	s_or_saveexec_b64 s[6:7], s[6:7]
	v_mov_b32_e32 v14, s10
	s_xor_b64 exec, exec, s[6:7]
	s_cbranch_execz .LBB21_1598
.LBB21_3648:
	v_mov_b32_e32 v14, 0
	v_cmp_ne_u16_sdwa s[8:9], v11, v14 src0_sel:BYTE_3 src1_sel:DWORD
	s_andn2_b64 s[4:5], s[4:5], exec
	s_and_b64 s[8:9], s[8:9], exec
	s_or_b64 s[4:5], s[4:5], s[8:9]
	s_or_b64 exec, exec, s[6:7]
	s_and_saveexec_b64 s[6:7], s[4:5]
	s_cbranch_execnz .LBB21_1599
	s_branch .LBB21_1600
.LBB21_3649:
	s_movk_i32 s4, 0x80
	v_cmp_eq_u16_sdwa s[12:13], v16, s4 src0_sel:BYTE_0 src1_sel:DWORD
	s_mov_b64 s[4:5], -1
                                        ; implicit-def: $sgpr10
	s_and_saveexec_b64 s[8:9], s[12:13]
; %bb.3650:
	s_mov_b32 s10, 0x7f800001
	s_xor_b64 s[4:5], exec, -1
; %bb.3651:
	s_or_b64 exec, exec, s[8:9]
	s_and_b64 s[4:5], s[4:5], exec
	s_or_saveexec_b64 s[6:7], s[6:7]
	v_mov_b32_e32 v10, s10
	s_xor_b64 exec, exec, s[6:7]
	s_cbranch_execz .LBB21_1602
.LBB21_3652:
	v_mov_b32_e32 v10, 0
	v_cmp_ne_u16_sdwa s[8:9], v16, v10 src0_sel:BYTE_0 src1_sel:DWORD
	s_andn2_b64 s[4:5], s[4:5], exec
	s_and_b64 s[8:9], s[8:9], exec
	s_or_b64 s[4:5], s[4:5], s[8:9]
	s_or_b64 exec, exec, s[6:7]
	s_and_saveexec_b64 s[6:7], s[4:5]
	s_cbranch_execnz .LBB21_1603
	s_branch .LBB21_1604
.LBB21_3653:
	s_movk_i32 s4, 0x80
	v_cmp_eq_u16_sdwa s[12:13], v12, s4 src0_sel:BYTE_0 src1_sel:DWORD
	s_mov_b64 s[4:5], -1
                                        ; implicit-def: $sgpr10
	s_and_saveexec_b64 s[8:9], s[12:13]
; %bb.3654:
	s_mov_b32 s10, 0x7f800001
	s_xor_b64 s[4:5], exec, -1
; %bb.3655:
	s_or_b64 exec, exec, s[8:9]
	s_and_b64 s[4:5], s[4:5], exec
	s_or_saveexec_b64 s[6:7], s[6:7]
	v_mov_b32_e32 v11, s10
	s_xor_b64 exec, exec, s[6:7]
	s_cbranch_execz .LBB21_1606
.LBB21_3656:
	v_mov_b32_e32 v11, 0
	v_cmp_ne_u16_sdwa s[8:9], v12, v11 src0_sel:BYTE_0 src1_sel:DWORD
	s_andn2_b64 s[4:5], s[4:5], exec
	s_and_b64 s[8:9], s[8:9], exec
	s_or_b64 s[4:5], s[4:5], s[8:9]
	s_or_b64 exec, exec, s[6:7]
	s_and_saveexec_b64 s[6:7], s[4:5]
	s_cbranch_execnz .LBB21_1607
	s_branch .LBB21_1608
.LBB21_3657:
	s_movk_i32 s4, 0x80
	v_cmp_eq_u16_sdwa s[12:13], v11, s4 src0_sel:BYTE_0 src1_sel:DWORD
	s_mov_b64 s[4:5], -1
                                        ; implicit-def: $sgpr10
	s_and_saveexec_b64 s[8:9], s[12:13]
; %bb.3658:
	s_mov_b32 s10, 0x7f800001
	s_xor_b64 s[4:5], exec, -1
; %bb.3659:
	s_or_b64 exec, exec, s[8:9]
	s_and_b64 s[4:5], s[4:5], exec
	s_or_saveexec_b64 s[6:7], s[6:7]
	v_mov_b32_e32 v10, s10
	s_xor_b64 exec, exec, s[6:7]
	s_cbranch_execz .LBB21_1610
.LBB21_3660:
	v_mov_b32_e32 v10, 0
	v_cmp_ne_u16_sdwa s[8:9], v11, v10 src0_sel:BYTE_0 src1_sel:DWORD
	s_andn2_b64 s[4:5], s[4:5], exec
	s_and_b64 s[8:9], s[8:9], exec
	s_or_b64 s[4:5], s[4:5], s[8:9]
	s_or_b64 exec, exec, s[6:7]
	s_and_saveexec_b64 s[6:7], s[4:5]
	s_cbranch_execnz .LBB21_1611
	s_branch .LBB21_1612
.LBB21_3661:
	s_movk_i32 s4, 0x80
	v_cmp_eq_u16_sdwa s[12:13], v11, s4 src0_sel:BYTE_0 src1_sel:DWORD
	s_mov_b64 s[4:5], -1
                                        ; implicit-def: $sgpr10
	s_and_saveexec_b64 s[8:9], s[12:13]
; %bb.3662:
	s_mov_b32 s10, 0x7f800001
	s_xor_b64 s[4:5], exec, -1
; %bb.3663:
	s_or_b64 exec, exec, s[8:9]
	s_and_b64 s[4:5], s[4:5], exec
	s_or_saveexec_b64 s[6:7], s[6:7]
	v_mov_b32_e32 v14, s10
	s_xor_b64 exec, exec, s[6:7]
	s_cbranch_execz .LBB21_1614
.LBB21_3664:
	v_mov_b32_e32 v14, 0
	v_cmp_ne_u16_sdwa s[8:9], v11, v14 src0_sel:BYTE_0 src1_sel:DWORD
	s_andn2_b64 s[4:5], s[4:5], exec
	s_and_b64 s[8:9], s[8:9], exec
	s_or_b64 s[4:5], s[4:5], s[8:9]
	s_or_b64 exec, exec, s[6:7]
	s_and_saveexec_b64 s[6:7], s[4:5]
	s_cbranch_execnz .LBB21_1615
	s_branch .LBB21_1616
.LBB21_3665:
	s_movk_i32 s4, 0x80
	v_cmp_eq_u16_e32 vcc, s4, v11
	s_mov_b64 s[4:5], -1
                                        ; implicit-def: $sgpr10
	s_and_saveexec_b64 s[8:9], vcc
; %bb.3666:
	s_mov_b32 s10, 0x7f800001
	s_xor_b64 s[4:5], exec, -1
; %bb.3667:
	s_or_b64 exec, exec, s[8:9]
	s_and_b64 s[4:5], s[4:5], exec
                                        ; implicit-def: $vgpr11
	s_or_saveexec_b64 s[6:7], s[6:7]
	v_mov_b32_e32 v10, s10
	s_xor_b64 exec, exec, s[6:7]
	s_cbranch_execz .LBB21_1618
.LBB21_3668:
	v_cmp_ne_u16_e32 vcc, 0, v11
	s_andn2_b64 s[4:5], s[4:5], exec
	s_and_b64 s[8:9], vcc, exec
	v_mov_b32_e32 v10, 0
	s_or_b64 s[4:5], s[4:5], s[8:9]
	s_or_b64 exec, exec, s[6:7]
	s_and_saveexec_b64 s[6:7], s[4:5]
	s_cbranch_execnz .LBB21_1619
	s_branch .LBB21_1620
.LBB21_3669:
	s_movk_i32 s4, 0x80
	v_cmp_eq_u16_e32 vcc, s4, v11
	s_mov_b64 s[4:5], -1
                                        ; implicit-def: $sgpr10
	s_and_saveexec_b64 s[8:9], vcc
; %bb.3670:
	s_mov_b32 s10, 0x7f800001
	s_xor_b64 s[4:5], exec, -1
; %bb.3671:
	s_or_b64 exec, exec, s[8:9]
	s_and_b64 s[4:5], s[4:5], exec
                                        ; implicit-def: $vgpr11
	s_or_saveexec_b64 s[6:7], s[6:7]
	v_mov_b32_e32 v14, s10
	s_xor_b64 exec, exec, s[6:7]
	s_cbranch_execz .LBB21_1622
.LBB21_3672:
	v_cmp_ne_u16_e32 vcc, 0, v11
	s_andn2_b64 s[4:5], s[4:5], exec
	s_and_b64 s[8:9], vcc, exec
	v_mov_b32_e32 v14, 0
	s_or_b64 s[4:5], s[4:5], s[8:9]
	s_or_b64 exec, exec, s[6:7]
	s_and_saveexec_b64 s[6:7], s[4:5]
	s_cbranch_execnz .LBB21_1623
	s_branch .LBB21_1624
.LBB21_3673:
	s_movk_i32 s4, 0x80
	v_cmp_eq_u16_sdwa s[12:13], v16, s4 src0_sel:BYTE_3 src1_sel:DWORD
	s_mov_b64 s[4:5], -1
                                        ; implicit-def: $sgpr10
	s_and_saveexec_b64 s[8:9], s[12:13]
; %bb.3674:
	s_mov_b32 s10, 0x7f800001
	s_xor_b64 s[4:5], exec, -1
; %bb.3675:
	s_or_b64 exec, exec, s[8:9]
	s_and_b64 s[4:5], s[4:5], exec
	s_or_saveexec_b64 s[6:7], s[6:7]
	v_mov_b32_e32 v10, s10
	s_xor_b64 exec, exec, s[6:7]
	s_cbranch_execz .LBB21_1626
.LBB21_3676:
	v_mov_b32_e32 v10, 0
	v_cmp_ne_u16_sdwa s[8:9], v16, v10 src0_sel:BYTE_3 src1_sel:DWORD
	s_andn2_b64 s[4:5], s[4:5], exec
	s_and_b64 s[8:9], s[8:9], exec
	s_or_b64 s[4:5], s[4:5], s[8:9]
	s_or_b64 exec, exec, s[6:7]
	s_and_saveexec_b64 s[6:7], s[4:5]
	s_cbranch_execnz .LBB21_1627
	s_branch .LBB21_1628
.LBB21_3677:
	s_movk_i32 s4, 0x80
	v_cmp_eq_u16_sdwa s[12:13], v12, s4 src0_sel:BYTE_3 src1_sel:DWORD
	s_mov_b64 s[4:5], -1
                                        ; implicit-def: $sgpr10
	s_and_saveexec_b64 s[8:9], s[12:13]
; %bb.3678:
	s_mov_b32 s10, 0x7f800001
	s_xor_b64 s[4:5], exec, -1
; %bb.3679:
	s_or_b64 exec, exec, s[8:9]
	s_and_b64 s[4:5], s[4:5], exec
	s_or_saveexec_b64 s[6:7], s[6:7]
	v_mov_b32_e32 v11, s10
	s_xor_b64 exec, exec, s[6:7]
	s_cbranch_execz .LBB21_1630
.LBB21_3680:
	v_mov_b32_e32 v11, 0
	v_cmp_ne_u16_sdwa s[8:9], v12, v11 src0_sel:BYTE_3 src1_sel:DWORD
	s_andn2_b64 s[4:5], s[4:5], exec
	s_and_b64 s[8:9], s[8:9], exec
	s_or_b64 s[4:5], s[4:5], s[8:9]
	s_or_b64 exec, exec, s[6:7]
	s_and_saveexec_b64 s[6:7], s[4:5]
	s_cbranch_execnz .LBB21_1631
	s_branch .LBB21_1632
.LBB21_3681:
	s_movk_i32 s4, 0x80
	v_cmp_eq_u16_sdwa s[12:13], v17, s4 src0_sel:BYTE_0 src1_sel:DWORD
	s_mov_b64 s[4:5], -1
                                        ; implicit-def: $sgpr10
	s_and_saveexec_b64 s[8:9], s[12:13]
; %bb.3682:
	s_mov_b32 s10, 0x7f800001
	s_xor_b64 s[4:5], exec, -1
; %bb.3683:
	s_or_b64 exec, exec, s[8:9]
	s_and_b64 s[4:5], s[4:5], exec
	s_or_saveexec_b64 s[6:7], s[6:7]
	v_mov_b32_e32 v10, s10
	s_xor_b64 exec, exec, s[6:7]
	s_cbranch_execz .LBB21_1634
.LBB21_3684:
	v_mov_b32_e32 v10, 0
	v_cmp_ne_u16_sdwa s[8:9], v17, v10 src0_sel:BYTE_0 src1_sel:DWORD
	s_andn2_b64 s[4:5], s[4:5], exec
	s_and_b64 s[8:9], s[8:9], exec
	s_or_b64 s[4:5], s[4:5], s[8:9]
	s_or_b64 exec, exec, s[6:7]
	s_and_saveexec_b64 s[6:7], s[4:5]
	s_cbranch_execnz .LBB21_1635
	s_branch .LBB21_1636
.LBB21_3685:
	s_movk_i32 s4, 0x80
	v_cmp_eq_u16_sdwa s[12:13], v13, s4 src0_sel:BYTE_0 src1_sel:DWORD
	s_mov_b64 s[4:5], -1
                                        ; implicit-def: $sgpr10
	s_and_saveexec_b64 s[8:9], s[12:13]
; %bb.3686:
	s_mov_b32 s10, 0x7f800001
	s_xor_b64 s[4:5], exec, -1
; %bb.3687:
	s_or_b64 exec, exec, s[8:9]
	s_and_b64 s[4:5], s[4:5], exec
	s_or_saveexec_b64 s[6:7], s[6:7]
	v_mov_b32_e32 v11, s10
	s_xor_b64 exec, exec, s[6:7]
	s_cbranch_execz .LBB21_1638
.LBB21_3688:
	v_mov_b32_e32 v11, 0
	v_cmp_ne_u16_sdwa s[8:9], v13, v11 src0_sel:BYTE_0 src1_sel:DWORD
	s_andn2_b64 s[4:5], s[4:5], exec
	s_and_b64 s[8:9], s[8:9], exec
	s_or_b64 s[4:5], s[4:5], s[8:9]
	s_or_b64 exec, exec, s[6:7]
	s_and_saveexec_b64 s[6:7], s[4:5]
	s_cbranch_execnz .LBB21_1639
	s_branch .LBB21_1640
.LBB21_3689:
	s_movk_i32 s4, 0x80
	v_cmp_eq_u16_sdwa s[12:13], v11, s4 src0_sel:BYTE_0 src1_sel:DWORD
	s_mov_b64 s[4:5], -1
                                        ; implicit-def: $sgpr10
	s_and_saveexec_b64 s[8:9], s[12:13]
; %bb.3690:
	s_mov_b32 s10, 0x7f800001
	s_xor_b64 s[4:5], exec, -1
; %bb.3691:
	s_or_b64 exec, exec, s[8:9]
	s_and_b64 s[4:5], s[4:5], exec
	s_or_saveexec_b64 s[6:7], s[6:7]
	v_mov_b32_e32 v10, s10
	s_xor_b64 exec, exec, s[6:7]
	s_cbranch_execz .LBB21_1642
.LBB21_3692:
	v_mov_b32_e32 v10, 0
	v_cmp_ne_u16_sdwa s[8:9], v11, v10 src0_sel:BYTE_0 src1_sel:DWORD
	s_andn2_b64 s[4:5], s[4:5], exec
	s_and_b64 s[8:9], s[8:9], exec
	s_or_b64 s[4:5], s[4:5], s[8:9]
	s_or_b64 exec, exec, s[6:7]
	s_and_saveexec_b64 s[6:7], s[4:5]
	s_cbranch_execnz .LBB21_1643
	s_branch .LBB21_1644
.LBB21_3693:
	s_movk_i32 s4, 0x80
	v_cmp_eq_u16_sdwa s[12:13], v11, s4 src0_sel:BYTE_0 src1_sel:DWORD
	s_mov_b64 s[4:5], -1
                                        ; implicit-def: $sgpr10
	s_and_saveexec_b64 s[8:9], s[12:13]
; %bb.3694:
	s_mov_b32 s10, 0x7f800001
	s_xor_b64 s[4:5], exec, -1
; %bb.3695:
	s_or_b64 exec, exec, s[8:9]
	s_and_b64 s[4:5], s[4:5], exec
	s_or_saveexec_b64 s[6:7], s[6:7]
	v_mov_b32_e32 v12, s10
	s_xor_b64 exec, exec, s[6:7]
	s_cbranch_execz .LBB21_1646
.LBB21_3696:
	v_mov_b32_e32 v12, 0
	v_cmp_ne_u16_sdwa s[8:9], v11, v12 src0_sel:BYTE_0 src1_sel:DWORD
	s_andn2_b64 s[4:5], s[4:5], exec
	s_and_b64 s[8:9], s[8:9], exec
	s_or_b64 s[4:5], s[4:5], s[8:9]
	s_or_b64 exec, exec, s[6:7]
	s_and_saveexec_b64 s[6:7], s[4:5]
	s_cbranch_execnz .LBB21_1647
	s_branch .LBB21_1648
.LBB21_3697:
	s_movk_i32 s4, 0x80
	v_cmp_eq_u16_e32 vcc, s4, v11
	s_mov_b64 s[4:5], -1
                                        ; implicit-def: $sgpr10
	s_and_saveexec_b64 s[8:9], vcc
; %bb.3698:
	s_mov_b32 s10, 0x7f800001
	s_xor_b64 s[4:5], exec, -1
; %bb.3699:
	s_or_b64 exec, exec, s[8:9]
	s_and_b64 s[4:5], s[4:5], exec
                                        ; implicit-def: $vgpr11
	s_or_saveexec_b64 s[6:7], s[6:7]
	v_mov_b32_e32 v10, s10
	s_xor_b64 exec, exec, s[6:7]
	s_cbranch_execz .LBB21_1650
.LBB21_3700:
	v_cmp_ne_u16_e32 vcc, 0, v11
	s_andn2_b64 s[4:5], s[4:5], exec
	s_and_b64 s[8:9], vcc, exec
	v_mov_b32_e32 v10, 0
	s_or_b64 s[4:5], s[4:5], s[8:9]
	s_or_b64 exec, exec, s[6:7]
	s_and_saveexec_b64 s[6:7], s[4:5]
	s_cbranch_execnz .LBB21_1651
	s_branch .LBB21_1652
.LBB21_3701:
	s_movk_i32 s4, 0x80
	v_cmp_eq_u16_e32 vcc, s4, v11
	s_mov_b64 s[4:5], -1
                                        ; implicit-def: $sgpr10
	s_and_saveexec_b64 s[8:9], vcc
; %bb.3702:
	s_mov_b32 s10, 0x7f800001
	s_xor_b64 s[4:5], exec, -1
; %bb.3703:
	s_or_b64 exec, exec, s[8:9]
	s_and_b64 s[4:5], s[4:5], exec
                                        ; implicit-def: $vgpr11
	s_or_saveexec_b64 s[6:7], s[6:7]
	v_mov_b32_e32 v12, s10
	s_xor_b64 exec, exec, s[6:7]
	s_cbranch_execz .LBB21_1654
.LBB21_3704:
	v_cmp_ne_u16_e32 vcc, 0, v11
	s_andn2_b64 s[4:5], s[4:5], exec
	s_and_b64 s[8:9], vcc, exec
	v_mov_b32_e32 v12, 0
	s_or_b64 s[4:5], s[4:5], s[8:9]
	s_or_b64 exec, exec, s[6:7]
	s_and_saveexec_b64 s[6:7], s[4:5]
	s_cbranch_execnz .LBB21_1655
	s_branch .LBB21_1656
.LBB21_3705:
	s_movk_i32 s4, 0x80
	v_cmp_eq_u16_sdwa s[12:13], v17, s4 src0_sel:BYTE_3 src1_sel:DWORD
	s_mov_b64 s[4:5], -1
                                        ; implicit-def: $sgpr10
	s_and_saveexec_b64 s[8:9], s[12:13]
; %bb.3706:
	s_mov_b32 s10, 0x7f800001
	s_xor_b64 s[4:5], exec, -1
; %bb.3707:
	s_or_b64 exec, exec, s[8:9]
	s_and_b64 s[4:5], s[4:5], exec
	s_or_saveexec_b64 s[6:7], s[6:7]
	v_mov_b32_e32 v10, s10
	s_xor_b64 exec, exec, s[6:7]
	s_cbranch_execz .LBB21_1658
.LBB21_3708:
	v_mov_b32_e32 v10, 0
	v_cmp_ne_u16_sdwa s[8:9], v17, v10 src0_sel:BYTE_3 src1_sel:DWORD
	s_andn2_b64 s[4:5], s[4:5], exec
	s_and_b64 s[8:9], s[8:9], exec
	s_or_b64 s[4:5], s[4:5], s[8:9]
	s_or_b64 exec, exec, s[6:7]
	s_and_saveexec_b64 s[6:7], s[4:5]
	s_cbranch_execnz .LBB21_1659
	s_branch .LBB21_1660
.LBB21_3709:
	s_movk_i32 s4, 0x80
	v_cmp_eq_u16_sdwa s[12:13], v13, s4 src0_sel:BYTE_3 src1_sel:DWORD
	s_mov_b64 s[4:5], -1
                                        ; implicit-def: $sgpr10
	s_and_saveexec_b64 s[8:9], s[12:13]
; %bb.3710:
	s_mov_b32 s10, 0x7f800001
	s_xor_b64 s[4:5], exec, -1
; %bb.3711:
	s_or_b64 exec, exec, s[8:9]
	s_and_b64 s[4:5], s[4:5], exec
	s_or_saveexec_b64 s[6:7], s[6:7]
	v_mov_b32_e32 v11, s10
	s_xor_b64 exec, exec, s[6:7]
	s_cbranch_execz .LBB21_1662
.LBB21_3712:
	v_mov_b32_e32 v11, 0
	v_cmp_ne_u16_sdwa s[8:9], v13, v11 src0_sel:BYTE_3 src1_sel:DWORD
	s_andn2_b64 s[4:5], s[4:5], exec
	s_and_b64 s[8:9], s[8:9], exec
	s_or_b64 s[4:5], s[4:5], s[8:9]
	s_or_b64 exec, exec, s[6:7]
	s_and_saveexec_b64 s[6:7], s[4:5]
	s_cbranch_execnz .LBB21_1663
	s_branch .LBB21_1664
.LBB21_3713:
	s_movk_i32 s4, 0x80
	v_cmp_eq_u16_sdwa s[12:13], v6, s4 src0_sel:BYTE_0 src1_sel:DWORD
	s_mov_b64 s[4:5], -1
                                        ; implicit-def: $sgpr10
	s_and_saveexec_b64 s[8:9], s[12:13]
; %bb.3714:
	s_mov_b32 s10, 0x7f800001
	s_xor_b64 s[4:5], exec, -1
; %bb.3715:
	s_or_b64 exec, exec, s[8:9]
	s_and_b64 s[4:5], s[4:5], exec
	s_or_saveexec_b64 s[6:7], s[6:7]
	v_mov_b32_e32 v10, s10
	s_xor_b64 exec, exec, s[6:7]
	s_cbranch_execz .LBB21_1666
.LBB21_3716:
	v_mov_b32_e32 v10, 0
	v_cmp_ne_u16_sdwa s[8:9], v6, v10 src0_sel:BYTE_0 src1_sel:DWORD
	s_andn2_b64 s[4:5], s[4:5], exec
	s_and_b64 s[8:9], s[8:9], exec
	s_or_b64 s[4:5], s[4:5], s[8:9]
	s_or_b64 exec, exec, s[6:7]
	s_and_saveexec_b64 s[6:7], s[4:5]
	s_cbranch_execnz .LBB21_1667
	s_branch .LBB21_1668
.LBB21_3717:
	s_movk_i32 s4, 0x80
	v_cmp_eq_u16_sdwa s[12:13], v2, s4 src0_sel:BYTE_0 src1_sel:DWORD
	s_mov_b64 s[4:5], -1
                                        ; implicit-def: $sgpr10
	s_and_saveexec_b64 s[8:9], s[12:13]
; %bb.3718:
	s_mov_b32 s10, 0x7f800001
	s_xor_b64 s[4:5], exec, -1
; %bb.3719:
	s_or_b64 exec, exec, s[8:9]
	s_and_b64 s[4:5], s[4:5], exec
	s_or_saveexec_b64 s[6:7], s[6:7]
	v_mov_b32_e32 v11, s10
	s_xor_b64 exec, exec, s[6:7]
	s_cbranch_execz .LBB21_1670
.LBB21_3720:
	v_mov_b32_e32 v11, 0
	v_cmp_ne_u16_sdwa s[8:9], v2, v11 src0_sel:BYTE_0 src1_sel:DWORD
	s_andn2_b64 s[4:5], s[4:5], exec
	s_and_b64 s[8:9], s[8:9], exec
	s_or_b64 s[4:5], s[4:5], s[8:9]
	s_or_b64 exec, exec, s[6:7]
	s_and_saveexec_b64 s[6:7], s[4:5]
	s_cbranch_execnz .LBB21_1671
	s_branch .LBB21_1672
.LBB21_3721:
	s_movk_i32 s4, 0x80
	v_cmp_eq_u16_sdwa s[12:13], v11, s4 src0_sel:BYTE_0 src1_sel:DWORD
	s_mov_b64 s[4:5], -1
                                        ; implicit-def: $sgpr10
	s_and_saveexec_b64 s[8:9], s[12:13]
; %bb.3722:
	s_mov_b32 s10, 0x7f800001
	s_xor_b64 s[4:5], exec, -1
; %bb.3723:
	s_or_b64 exec, exec, s[8:9]
	s_and_b64 s[4:5], s[4:5], exec
	s_or_saveexec_b64 s[6:7], s[6:7]
	v_mov_b32_e32 v10, s10
	s_xor_b64 exec, exec, s[6:7]
	s_cbranch_execz .LBB21_1674
.LBB21_3724:
	v_mov_b32_e32 v10, 0
	v_cmp_ne_u16_sdwa s[8:9], v11, v10 src0_sel:BYTE_0 src1_sel:DWORD
	s_andn2_b64 s[4:5], s[4:5], exec
	s_and_b64 s[8:9], s[8:9], exec
	s_or_b64 s[4:5], s[4:5], s[8:9]
	s_or_b64 exec, exec, s[6:7]
	s_and_saveexec_b64 s[6:7], s[4:5]
	s_cbranch_execnz .LBB21_1675
	s_branch .LBB21_1676
.LBB21_3725:
	s_movk_i32 s4, 0x80
	v_cmp_eq_u16_sdwa s[12:13], v11, s4 src0_sel:BYTE_0 src1_sel:DWORD
	s_mov_b64 s[4:5], -1
                                        ; implicit-def: $sgpr10
	s_and_saveexec_b64 s[8:9], s[12:13]
; %bb.3726:
	s_mov_b32 s10, 0x7f800001
	s_xor_b64 s[4:5], exec, -1
; %bb.3727:
	s_or_b64 exec, exec, s[8:9]
	s_and_b64 s[4:5], s[4:5], exec
	s_or_saveexec_b64 s[6:7], s[6:7]
	v_mov_b32_e32 v12, s10
	s_xor_b64 exec, exec, s[6:7]
	s_cbranch_execz .LBB21_1678
.LBB21_3728:
	v_mov_b32_e32 v12, 0
	v_cmp_ne_u16_sdwa s[8:9], v11, v12 src0_sel:BYTE_0 src1_sel:DWORD
	s_andn2_b64 s[4:5], s[4:5], exec
	s_and_b64 s[8:9], s[8:9], exec
	s_or_b64 s[4:5], s[4:5], s[8:9]
	s_or_b64 exec, exec, s[6:7]
	s_and_saveexec_b64 s[6:7], s[4:5]
	s_cbranch_execnz .LBB21_1679
	s_branch .LBB21_1680
.LBB21_3729:
	s_movk_i32 s4, 0x80
	v_cmp_eq_u16_e32 vcc, s4, v11
	s_mov_b64 s[4:5], -1
                                        ; implicit-def: $sgpr10
	s_and_saveexec_b64 s[8:9], vcc
; %bb.3730:
	s_mov_b32 s10, 0x7f800001
	s_xor_b64 s[4:5], exec, -1
; %bb.3731:
	s_or_b64 exec, exec, s[8:9]
	s_and_b64 s[4:5], s[4:5], exec
                                        ; implicit-def: $vgpr11
	s_or_saveexec_b64 s[6:7], s[6:7]
	v_mov_b32_e32 v10, s10
	s_xor_b64 exec, exec, s[6:7]
	s_cbranch_execz .LBB21_1682
.LBB21_3732:
	v_cmp_ne_u16_e32 vcc, 0, v11
	s_andn2_b64 s[4:5], s[4:5], exec
	s_and_b64 s[8:9], vcc, exec
	v_mov_b32_e32 v10, 0
	s_or_b64 s[4:5], s[4:5], s[8:9]
	s_or_b64 exec, exec, s[6:7]
	s_and_saveexec_b64 s[6:7], s[4:5]
	s_cbranch_execnz .LBB21_1683
	s_branch .LBB21_1684
.LBB21_3733:
	s_movk_i32 s4, 0x80
	v_cmp_eq_u16_e32 vcc, s4, v11
	s_mov_b64 s[4:5], -1
                                        ; implicit-def: $sgpr10
	s_and_saveexec_b64 s[8:9], vcc
; %bb.3734:
	s_mov_b32 s10, 0x7f800001
	s_xor_b64 s[4:5], exec, -1
; %bb.3735:
	s_or_b64 exec, exec, s[8:9]
	s_and_b64 s[4:5], s[4:5], exec
                                        ; implicit-def: $vgpr11
	s_or_saveexec_b64 s[6:7], s[6:7]
	v_mov_b32_e32 v12, s10
	s_xor_b64 exec, exec, s[6:7]
	s_cbranch_execz .LBB21_1686
.LBB21_3736:
	v_cmp_ne_u16_e32 vcc, 0, v11
	s_andn2_b64 s[4:5], s[4:5], exec
	s_and_b64 s[8:9], vcc, exec
	v_mov_b32_e32 v12, 0
	s_or_b64 s[4:5], s[4:5], s[8:9]
	s_or_b64 exec, exec, s[6:7]
	s_and_saveexec_b64 s[6:7], s[4:5]
	s_cbranch_execnz .LBB21_1687
	s_branch .LBB21_1688
.LBB21_3737:
	s_movk_i32 s4, 0x80
	v_cmp_eq_u16_sdwa s[12:13], v6, s4 src0_sel:BYTE_3 src1_sel:DWORD
	s_mov_b64 s[4:5], -1
                                        ; implicit-def: $sgpr10
	s_and_saveexec_b64 s[8:9], s[12:13]
; %bb.3738:
	s_mov_b32 s10, 0x7f800001
	s_xor_b64 s[4:5], exec, -1
; %bb.3739:
	s_or_b64 exec, exec, s[8:9]
	s_and_b64 s[4:5], s[4:5], exec
	s_or_saveexec_b64 s[6:7], s[6:7]
	v_mov_b32_e32 v10, s10
	s_xor_b64 exec, exec, s[6:7]
	s_cbranch_execz .LBB21_1690
.LBB21_3740:
	v_mov_b32_e32 v10, 0
	v_cmp_ne_u16_sdwa s[8:9], v6, v10 src0_sel:BYTE_3 src1_sel:DWORD
	s_andn2_b64 s[4:5], s[4:5], exec
	s_and_b64 s[8:9], s[8:9], exec
	s_or_b64 s[4:5], s[4:5], s[8:9]
	s_or_b64 exec, exec, s[6:7]
	s_and_saveexec_b64 s[6:7], s[4:5]
	s_cbranch_execnz .LBB21_1691
	s_branch .LBB21_1692
.LBB21_3741:
	s_movk_i32 s4, 0x80
	v_cmp_eq_u16_sdwa s[12:13], v2, s4 src0_sel:BYTE_3 src1_sel:DWORD
	s_mov_b64 s[4:5], -1
                                        ; implicit-def: $sgpr10
	s_and_saveexec_b64 s[8:9], s[12:13]
; %bb.3742:
	s_mov_b32 s10, 0x7f800001
	s_xor_b64 s[4:5], exec, -1
; %bb.3743:
	s_or_b64 exec, exec, s[8:9]
	s_and_b64 s[4:5], s[4:5], exec
	s_or_saveexec_b64 s[6:7], s[6:7]
	v_mov_b32_e32 v6, s10
	s_xor_b64 exec, exec, s[6:7]
	s_cbranch_execz .LBB21_1694
.LBB21_3744:
	v_mov_b32_e32 v6, 0
	v_cmp_ne_u16_sdwa s[8:9], v2, v6 src0_sel:BYTE_3 src1_sel:DWORD
	s_andn2_b64 s[4:5], s[4:5], exec
	s_and_b64 s[8:9], s[8:9], exec
	s_or_b64 s[4:5], s[4:5], s[8:9]
	s_or_b64 exec, exec, s[6:7]
	s_and_saveexec_b64 s[6:7], s[4:5]
	s_cbranch_execnz .LBB21_1695
	s_branch .LBB21_1696
.LBB21_3745:
	s_movk_i32 s4, 0x80
	v_cmp_eq_u16_sdwa s[12:13], v7, s4 src0_sel:BYTE_0 src1_sel:DWORD
	s_mov_b64 s[4:5], -1
                                        ; implicit-def: $sgpr10
	s_and_saveexec_b64 s[8:9], s[12:13]
; %bb.3746:
	s_mov_b32 s10, 0x7f800001
	s_xor_b64 s[4:5], exec, -1
; %bb.3747:
	s_or_b64 exec, exec, s[8:9]
	s_and_b64 s[4:5], s[4:5], exec
	s_or_saveexec_b64 s[6:7], s[6:7]
	v_mov_b32_e32 v2, s10
	s_xor_b64 exec, exec, s[6:7]
	s_cbranch_execz .LBB21_1698
.LBB21_3748:
	v_mov_b32_e32 v2, 0
	v_cmp_ne_u16_sdwa s[8:9], v7, v2 src0_sel:BYTE_0 src1_sel:DWORD
	s_andn2_b64 s[4:5], s[4:5], exec
	s_and_b64 s[8:9], s[8:9], exec
	s_or_b64 s[4:5], s[4:5], s[8:9]
	s_or_b64 exec, exec, s[6:7]
	s_and_saveexec_b64 s[6:7], s[4:5]
	s_cbranch_execnz .LBB21_1699
	s_branch .LBB21_1700
.LBB21_3749:
	s_movk_i32 s4, 0x80
	v_cmp_eq_u16_sdwa s[12:13], v3, s4 src0_sel:BYTE_0 src1_sel:DWORD
	s_mov_b64 s[4:5], -1
                                        ; implicit-def: $sgpr10
	s_and_saveexec_b64 s[8:9], s[12:13]
; %bb.3750:
	s_mov_b32 s10, 0x7f800001
	s_xor_b64 s[4:5], exec, -1
; %bb.3751:
	s_or_b64 exec, exec, s[8:9]
	s_and_b64 s[4:5], s[4:5], exec
	s_or_saveexec_b64 s[6:7], s[6:7]
	v_mov_b32_e32 v6, s10
	s_xor_b64 exec, exec, s[6:7]
	s_cbranch_execz .LBB21_1702
.LBB21_3752:
	v_mov_b32_e32 v6, 0
	v_cmp_ne_u16_sdwa s[8:9], v3, v6 src0_sel:BYTE_0 src1_sel:DWORD
	s_andn2_b64 s[4:5], s[4:5], exec
	s_and_b64 s[8:9], s[8:9], exec
	s_or_b64 s[4:5], s[4:5], s[8:9]
	s_or_b64 exec, exec, s[6:7]
	s_and_saveexec_b64 s[6:7], s[4:5]
	s_cbranch_execnz .LBB21_1703
	s_branch .LBB21_1704
.LBB21_3753:
	s_movk_i32 s4, 0x80
	v_cmp_eq_u16_sdwa s[12:13], v6, s4 src0_sel:BYTE_0 src1_sel:DWORD
	s_mov_b64 s[4:5], -1
                                        ; implicit-def: $sgpr10
	s_and_saveexec_b64 s[8:9], s[12:13]
; %bb.3754:
	s_mov_b32 s10, 0x7f800001
	s_xor_b64 s[4:5], exec, -1
; %bb.3755:
	s_or_b64 exec, exec, s[8:9]
	s_and_b64 s[4:5], s[4:5], exec
	s_or_saveexec_b64 s[6:7], s[6:7]
	v_mov_b32_e32 v2, s10
	s_xor_b64 exec, exec, s[6:7]
	s_cbranch_execz .LBB21_1706
.LBB21_3756:
	v_mov_b32_e32 v2, 0
	v_cmp_ne_u16_sdwa s[8:9], v6, v2 src0_sel:BYTE_0 src1_sel:DWORD
	s_andn2_b64 s[4:5], s[4:5], exec
	s_and_b64 s[8:9], s[8:9], exec
	s_or_b64 s[4:5], s[4:5], s[8:9]
	s_or_b64 exec, exec, s[6:7]
	s_and_saveexec_b64 s[6:7], s[4:5]
	s_cbranch_execnz .LBB21_1707
	s_branch .LBB21_1708
.LBB21_3757:
	s_movk_i32 s4, 0x80
	v_cmp_eq_u16_sdwa s[12:13], v6, s4 src0_sel:BYTE_0 src1_sel:DWORD
	s_mov_b64 s[4:5], -1
                                        ; implicit-def: $sgpr10
	s_and_saveexec_b64 s[8:9], s[12:13]
; %bb.3758:
	s_mov_b32 s10, 0x7f800001
	s_xor_b64 s[4:5], exec, -1
; %bb.3759:
	s_or_b64 exec, exec, s[8:9]
	s_and_b64 s[4:5], s[4:5], exec
	s_or_saveexec_b64 s[6:7], s[6:7]
	v_mov_b32_e32 v10, s10
	s_xor_b64 exec, exec, s[6:7]
	s_cbranch_execz .LBB21_1710
.LBB21_3760:
	v_mov_b32_e32 v10, 0
	v_cmp_ne_u16_sdwa s[8:9], v6, v10 src0_sel:BYTE_0 src1_sel:DWORD
	s_andn2_b64 s[4:5], s[4:5], exec
	s_and_b64 s[8:9], s[8:9], exec
	s_or_b64 s[4:5], s[4:5], s[8:9]
	s_or_b64 exec, exec, s[6:7]
	s_and_saveexec_b64 s[6:7], s[4:5]
	s_cbranch_execnz .LBB21_1711
	s_branch .LBB21_1712
.LBB21_3761:
	s_movk_i32 s4, 0x80
	v_cmp_eq_u16_e32 vcc, s4, v6
	s_mov_b64 s[4:5], -1
                                        ; implicit-def: $sgpr10
	s_and_saveexec_b64 s[8:9], vcc
; %bb.3762:
	s_mov_b32 s10, 0x7f800001
	s_xor_b64 s[4:5], exec, -1
; %bb.3763:
	s_or_b64 exec, exec, s[8:9]
	s_and_b64 s[4:5], s[4:5], exec
                                        ; implicit-def: $vgpr6
	s_or_saveexec_b64 s[6:7], s[6:7]
	v_mov_b32_e32 v2, s10
	s_xor_b64 exec, exec, s[6:7]
	s_cbranch_execz .LBB21_1714
.LBB21_3764:
	v_cmp_ne_u16_e32 vcc, 0, v6
	s_andn2_b64 s[4:5], s[4:5], exec
	s_and_b64 s[8:9], vcc, exec
	v_mov_b32_e32 v2, 0
	s_or_b64 s[4:5], s[4:5], s[8:9]
	s_or_b64 exec, exec, s[6:7]
	s_and_saveexec_b64 s[6:7], s[4:5]
	s_cbranch_execnz .LBB21_1715
	s_branch .LBB21_1716
.LBB21_3765:
	s_movk_i32 s4, 0x80
	v_cmp_eq_u16_e32 vcc, s4, v6
	s_mov_b64 s[4:5], -1
                                        ; implicit-def: $sgpr10
	s_and_saveexec_b64 s[8:9], vcc
; %bb.3766:
	s_mov_b32 s10, 0x7f800001
	s_xor_b64 s[4:5], exec, -1
; %bb.3767:
	s_or_b64 exec, exec, s[8:9]
	s_and_b64 s[4:5], s[4:5], exec
                                        ; implicit-def: $vgpr6
	s_or_saveexec_b64 s[6:7], s[6:7]
	v_mov_b32_e32 v10, s10
	s_xor_b64 exec, exec, s[6:7]
	s_cbranch_execz .LBB21_1718
.LBB21_3768:
	v_cmp_ne_u16_e32 vcc, 0, v6
	s_andn2_b64 s[4:5], s[4:5], exec
	s_and_b64 s[8:9], vcc, exec
	v_mov_b32_e32 v10, 0
	s_or_b64 s[4:5], s[4:5], s[8:9]
	s_or_b64 exec, exec, s[6:7]
	s_and_saveexec_b64 s[6:7], s[4:5]
	s_cbranch_execnz .LBB21_1719
	s_branch .LBB21_1720
.LBB21_3769:
	s_movk_i32 s4, 0x80
	v_cmp_eq_u16_sdwa s[12:13], v7, s4 src0_sel:BYTE_3 src1_sel:DWORD
	s_mov_b64 s[4:5], -1
                                        ; implicit-def: $sgpr10
	s_and_saveexec_b64 s[8:9], s[12:13]
; %bb.3770:
	s_mov_b32 s10, 0x7f800001
	s_xor_b64 s[4:5], exec, -1
; %bb.3771:
	s_or_b64 exec, exec, s[8:9]
	s_and_b64 s[4:5], s[4:5], exec
	s_or_saveexec_b64 s[6:7], s[6:7]
	v_mov_b32_e32 v2, s10
	s_xor_b64 exec, exec, s[6:7]
	s_cbranch_execz .LBB21_1722
.LBB21_3772:
	v_mov_b32_e32 v2, 0
	v_cmp_ne_u16_sdwa s[8:9], v7, v2 src0_sel:BYTE_3 src1_sel:DWORD
	s_andn2_b64 s[4:5], s[4:5], exec
	s_and_b64 s[8:9], s[8:9], exec
	s_or_b64 s[4:5], s[4:5], s[8:9]
	s_or_b64 exec, exec, s[6:7]
	s_and_saveexec_b64 s[6:7], s[4:5]
	s_cbranch_execnz .LBB21_1723
	s_branch .LBB21_1724
.LBB21_3773:
	s_movk_i32 s4, 0x80
	v_cmp_eq_u16_sdwa s[12:13], v3, s4 src0_sel:BYTE_3 src1_sel:DWORD
	s_mov_b64 s[4:5], -1
                                        ; implicit-def: $sgpr10
	s_and_saveexec_b64 s[8:9], s[12:13]
; %bb.3774:
	s_mov_b32 s10, 0x7f800001
	s_xor_b64 s[4:5], exec, -1
; %bb.3775:
	s_or_b64 exec, exec, s[8:9]
	s_and_b64 s[4:5], s[4:5], exec
	s_or_saveexec_b64 s[6:7], s[6:7]
	v_mov_b32_e32 v6, s10
	s_xor_b64 exec, exec, s[6:7]
	s_cbranch_execz .LBB21_1726
.LBB21_3776:
	v_mov_b32_e32 v6, 0
	v_cmp_ne_u16_sdwa s[8:9], v3, v6 src0_sel:BYTE_3 src1_sel:DWORD
	s_andn2_b64 s[4:5], s[4:5], exec
	s_and_b64 s[8:9], s[8:9], exec
	s_or_b64 s[4:5], s[4:5], s[8:9]
	s_or_b64 exec, exec, s[6:7]
	s_and_saveexec_b64 s[6:7], s[4:5]
	s_cbranch_execnz .LBB21_1727
	s_branch .LBB21_1728
.LBB21_3777:
	s_movk_i32 s4, 0x80
	v_cmp_eq_u16_sdwa s[12:13], v8, s4 src0_sel:BYTE_0 src1_sel:DWORD
	s_mov_b64 s[4:5], -1
                                        ; implicit-def: $sgpr10
	s_and_saveexec_b64 s[8:9], s[12:13]
; %bb.3778:
	s_mov_b32 s10, 0x7f800001
	s_xor_b64 s[4:5], exec, -1
; %bb.3779:
	s_or_b64 exec, exec, s[8:9]
	s_and_b64 s[4:5], s[4:5], exec
	s_or_saveexec_b64 s[6:7], s[6:7]
	v_mov_b32_e32 v2, s10
	s_xor_b64 exec, exec, s[6:7]
	s_cbranch_execz .LBB21_1730
.LBB21_3780:
	v_mov_b32_e32 v2, 0
	v_cmp_ne_u16_sdwa s[8:9], v8, v2 src0_sel:BYTE_0 src1_sel:DWORD
	s_andn2_b64 s[4:5], s[4:5], exec
	s_and_b64 s[8:9], s[8:9], exec
	s_or_b64 s[4:5], s[4:5], s[8:9]
	s_or_b64 exec, exec, s[6:7]
	s_and_saveexec_b64 s[6:7], s[4:5]
	s_cbranch_execnz .LBB21_1731
	s_branch .LBB21_1732
.LBB21_3781:
	s_movk_i32 s4, 0x80
	v_cmp_eq_u16_sdwa s[12:13], v4, s4 src0_sel:BYTE_0 src1_sel:DWORD
	s_mov_b64 s[4:5], -1
                                        ; implicit-def: $sgpr10
	s_and_saveexec_b64 s[8:9], s[12:13]
; %bb.3782:
	s_mov_b32 s10, 0x7f800001
	s_xor_b64 s[4:5], exec, -1
; %bb.3783:
	s_or_b64 exec, exec, s[8:9]
	s_and_b64 s[4:5], s[4:5], exec
	s_or_saveexec_b64 s[6:7], s[6:7]
	v_mov_b32_e32 v3, s10
	s_xor_b64 exec, exec, s[6:7]
	s_cbranch_execz .LBB21_1734
.LBB21_3784:
	v_mov_b32_e32 v3, 0
	v_cmp_ne_u16_sdwa s[8:9], v4, v3 src0_sel:BYTE_0 src1_sel:DWORD
	s_andn2_b64 s[4:5], s[4:5], exec
	s_and_b64 s[8:9], s[8:9], exec
	s_or_b64 s[4:5], s[4:5], s[8:9]
	s_or_b64 exec, exec, s[6:7]
	s_and_saveexec_b64 s[6:7], s[4:5]
	s_cbranch_execnz .LBB21_1735
	s_branch .LBB21_1736
.LBB21_3785:
	s_movk_i32 s4, 0x80
	v_cmp_eq_u16_sdwa s[12:13], v3, s4 src0_sel:BYTE_0 src1_sel:DWORD
	s_mov_b64 s[4:5], -1
                                        ; implicit-def: $sgpr10
	s_and_saveexec_b64 s[8:9], s[12:13]
; %bb.3786:
	s_mov_b32 s10, 0x7f800001
	s_xor_b64 s[4:5], exec, -1
; %bb.3787:
	s_or_b64 exec, exec, s[8:9]
	s_and_b64 s[4:5], s[4:5], exec
	s_or_saveexec_b64 s[6:7], s[6:7]
	v_mov_b32_e32 v2, s10
	s_xor_b64 exec, exec, s[6:7]
	s_cbranch_execz .LBB21_1738
.LBB21_3788:
	v_mov_b32_e32 v2, 0
	v_cmp_ne_u16_sdwa s[8:9], v3, v2 src0_sel:BYTE_0 src1_sel:DWORD
	s_andn2_b64 s[4:5], s[4:5], exec
	s_and_b64 s[8:9], s[8:9], exec
	s_or_b64 s[4:5], s[4:5], s[8:9]
	s_or_b64 exec, exec, s[6:7]
	s_and_saveexec_b64 s[6:7], s[4:5]
	s_cbranch_execnz .LBB21_1739
	s_branch .LBB21_1740
.LBB21_3789:
	s_movk_i32 s4, 0x80
	v_cmp_eq_u16_sdwa s[12:13], v3, s4 src0_sel:BYTE_0 src1_sel:DWORD
	s_mov_b64 s[4:5], -1
                                        ; implicit-def: $sgpr10
	s_and_saveexec_b64 s[8:9], s[12:13]
; %bb.3790:
	s_mov_b32 s10, 0x7f800001
	s_xor_b64 s[4:5], exec, -1
; %bb.3791:
	s_or_b64 exec, exec, s[8:9]
	s_and_b64 s[4:5], s[4:5], exec
	s_or_saveexec_b64 s[6:7], s[6:7]
	v_mov_b32_e32 v6, s10
	s_xor_b64 exec, exec, s[6:7]
	s_cbranch_execz .LBB21_1742
.LBB21_3792:
	v_mov_b32_e32 v6, 0
	v_cmp_ne_u16_sdwa s[8:9], v3, v6 src0_sel:BYTE_0 src1_sel:DWORD
	s_andn2_b64 s[4:5], s[4:5], exec
	s_and_b64 s[8:9], s[8:9], exec
	s_or_b64 s[4:5], s[4:5], s[8:9]
	s_or_b64 exec, exec, s[6:7]
	s_and_saveexec_b64 s[6:7], s[4:5]
	s_cbranch_execnz .LBB21_1743
	s_branch .LBB21_1744
.LBB21_3793:
	s_movk_i32 s4, 0x80
	v_cmp_eq_u16_e32 vcc, s4, v3
	s_mov_b64 s[4:5], -1
                                        ; implicit-def: $sgpr10
	s_and_saveexec_b64 s[8:9], vcc
; %bb.3794:
	s_mov_b32 s10, 0x7f800001
	s_xor_b64 s[4:5], exec, -1
; %bb.3795:
	s_or_b64 exec, exec, s[8:9]
	s_and_b64 s[4:5], s[4:5], exec
                                        ; implicit-def: $vgpr3
	s_or_saveexec_b64 s[6:7], s[6:7]
	v_mov_b32_e32 v2, s10
	s_xor_b64 exec, exec, s[6:7]
	s_cbranch_execz .LBB21_1746
.LBB21_3796:
	v_cmp_ne_u16_e32 vcc, 0, v3
	s_andn2_b64 s[4:5], s[4:5], exec
	s_and_b64 s[8:9], vcc, exec
	v_mov_b32_e32 v2, 0
	s_or_b64 s[4:5], s[4:5], s[8:9]
	s_or_b64 exec, exec, s[6:7]
	s_and_saveexec_b64 s[6:7], s[4:5]
	s_cbranch_execnz .LBB21_1747
	s_branch .LBB21_1748
.LBB21_3797:
	s_movk_i32 s4, 0x80
	v_cmp_eq_u16_e32 vcc, s4, v3
	s_mov_b64 s[4:5], -1
                                        ; implicit-def: $sgpr10
	s_and_saveexec_b64 s[8:9], vcc
; %bb.3798:
	s_mov_b32 s10, 0x7f800001
	s_xor_b64 s[4:5], exec, -1
; %bb.3799:
	s_or_b64 exec, exec, s[8:9]
	s_and_b64 s[4:5], s[4:5], exec
                                        ; implicit-def: $vgpr3
	s_or_saveexec_b64 s[6:7], s[6:7]
	v_mov_b32_e32 v6, s10
	s_xor_b64 exec, exec, s[6:7]
	s_cbranch_execz .LBB21_1750
.LBB21_3800:
	v_cmp_ne_u16_e32 vcc, 0, v3
	s_andn2_b64 s[4:5], s[4:5], exec
	s_and_b64 s[8:9], vcc, exec
	v_mov_b32_e32 v6, 0
	s_or_b64 s[4:5], s[4:5], s[8:9]
	s_or_b64 exec, exec, s[6:7]
	s_and_saveexec_b64 s[6:7], s[4:5]
	s_cbranch_execnz .LBB21_1751
	s_branch .LBB21_1752
.LBB21_3801:
	s_movk_i32 s4, 0x80
	v_cmp_eq_u16_sdwa s[12:13], v8, s4 src0_sel:BYTE_3 src1_sel:DWORD
	s_mov_b64 s[4:5], -1
                                        ; implicit-def: $sgpr10
	s_and_saveexec_b64 s[8:9], s[12:13]
; %bb.3802:
	s_mov_b32 s10, 0x7f800001
	s_xor_b64 s[4:5], exec, -1
; %bb.3803:
	s_or_b64 exec, exec, s[8:9]
	s_and_b64 s[4:5], s[4:5], exec
	s_or_saveexec_b64 s[6:7], s[6:7]
	v_mov_b32_e32 v2, s10
	s_xor_b64 exec, exec, s[6:7]
	s_cbranch_execz .LBB21_1754
.LBB21_3804:
	v_mov_b32_e32 v2, 0
	v_cmp_ne_u16_sdwa s[8:9], v8, v2 src0_sel:BYTE_3 src1_sel:DWORD
	s_andn2_b64 s[4:5], s[4:5], exec
	s_and_b64 s[8:9], s[8:9], exec
	s_or_b64 s[4:5], s[4:5], s[8:9]
	s_or_b64 exec, exec, s[6:7]
	s_and_saveexec_b64 s[6:7], s[4:5]
	s_cbranch_execnz .LBB21_1755
	s_branch .LBB21_1756
.LBB21_3805:
	s_movk_i32 s4, 0x80
	v_cmp_eq_u16_sdwa s[12:13], v4, s4 src0_sel:BYTE_3 src1_sel:DWORD
	s_mov_b64 s[4:5], -1
                                        ; implicit-def: $sgpr10
	s_and_saveexec_b64 s[8:9], s[12:13]
; %bb.3806:
	s_mov_b32 s10, 0x7f800001
	s_xor_b64 s[4:5], exec, -1
; %bb.3807:
	s_or_b64 exec, exec, s[8:9]
	s_and_b64 s[4:5], s[4:5], exec
	s_or_saveexec_b64 s[6:7], s[6:7]
	v_mov_b32_e32 v3, s10
	s_xor_b64 exec, exec, s[6:7]
	s_cbranch_execz .LBB21_1758
.LBB21_3808:
	v_mov_b32_e32 v3, 0
	v_cmp_ne_u16_sdwa s[8:9], v4, v3 src0_sel:BYTE_3 src1_sel:DWORD
	s_andn2_b64 s[4:5], s[4:5], exec
	s_and_b64 s[8:9], s[8:9], exec
	s_or_b64 s[4:5], s[4:5], s[8:9]
	s_or_b64 exec, exec, s[6:7]
	s_and_saveexec_b64 s[6:7], s[4:5]
	s_cbranch_execnz .LBB21_1759
	s_branch .LBB21_1760
.LBB21_3809:
	s_movk_i32 s4, 0x80
	v_cmp_eq_u16_sdwa s[12:13], v9, s4 src0_sel:BYTE_0 src1_sel:DWORD
	s_mov_b64 s[4:5], -1
                                        ; implicit-def: $sgpr10
	s_and_saveexec_b64 s[8:9], s[12:13]
; %bb.3810:
	s_mov_b32 s10, 0x7f800001
	s_xor_b64 s[4:5], exec, -1
; %bb.3811:
	s_or_b64 exec, exec, s[8:9]
	s_and_b64 s[4:5], s[4:5], exec
	s_or_saveexec_b64 s[6:7], s[6:7]
	v_mov_b32_e32 v2, s10
	s_xor_b64 exec, exec, s[6:7]
	s_cbranch_execz .LBB21_1762
.LBB21_3812:
	v_mov_b32_e32 v2, 0
	v_cmp_ne_u16_sdwa s[8:9], v9, v2 src0_sel:BYTE_0 src1_sel:DWORD
	s_andn2_b64 s[4:5], s[4:5], exec
	s_and_b64 s[8:9], s[8:9], exec
	s_or_b64 s[4:5], s[4:5], s[8:9]
	s_or_b64 exec, exec, s[6:7]
	s_and_saveexec_b64 s[6:7], s[4:5]
	s_cbranch_execnz .LBB21_1763
	s_branch .LBB21_1764
.LBB21_3813:
	s_movk_i32 s4, 0x80
	v_cmp_eq_u16_sdwa s[12:13], v5, s4 src0_sel:BYTE_0 src1_sel:DWORD
	s_mov_b64 s[4:5], -1
                                        ; implicit-def: $sgpr10
	s_and_saveexec_b64 s[8:9], s[12:13]
; %bb.3814:
	s_mov_b32 s10, 0x7f800001
	s_xor_b64 s[4:5], exec, -1
; %bb.3815:
	s_or_b64 exec, exec, s[8:9]
	s_and_b64 s[4:5], s[4:5], exec
	s_or_saveexec_b64 s[6:7], s[6:7]
	v_mov_b32_e32 v3, s10
	s_xor_b64 exec, exec, s[6:7]
	s_cbranch_execz .LBB21_1766
.LBB21_3816:
	v_mov_b32_e32 v3, 0
	v_cmp_ne_u16_sdwa s[8:9], v5, v3 src0_sel:BYTE_0 src1_sel:DWORD
	s_andn2_b64 s[4:5], s[4:5], exec
	s_and_b64 s[8:9], s[8:9], exec
	s_or_b64 s[4:5], s[4:5], s[8:9]
	s_or_b64 exec, exec, s[6:7]
	s_and_saveexec_b64 s[6:7], s[4:5]
	s_cbranch_execnz .LBB21_1767
	s_branch .LBB21_1768
.LBB21_3817:
	s_movk_i32 s4, 0x80
	v_cmp_eq_u16_sdwa s[12:13], v3, s4 src0_sel:BYTE_0 src1_sel:DWORD
	s_mov_b64 s[4:5], -1
                                        ; implicit-def: $sgpr10
	s_and_saveexec_b64 s[8:9], s[12:13]
; %bb.3818:
	s_mov_b32 s10, 0x7f800001
	s_xor_b64 s[4:5], exec, -1
; %bb.3819:
	s_or_b64 exec, exec, s[8:9]
	s_and_b64 s[4:5], s[4:5], exec
	s_or_saveexec_b64 s[6:7], s[6:7]
	v_mov_b32_e32 v2, s10
	s_xor_b64 exec, exec, s[6:7]
	s_cbranch_execz .LBB21_1770
.LBB21_3820:
	v_mov_b32_e32 v2, 0
	v_cmp_ne_u16_sdwa s[8:9], v3, v2 src0_sel:BYTE_0 src1_sel:DWORD
	s_andn2_b64 s[4:5], s[4:5], exec
	s_and_b64 s[8:9], s[8:9], exec
	s_or_b64 s[4:5], s[4:5], s[8:9]
	s_or_b64 exec, exec, s[6:7]
	s_and_saveexec_b64 s[6:7], s[4:5]
	s_cbranch_execnz .LBB21_1771
	s_branch .LBB21_1772
.LBB21_3821:
	s_movk_i32 s4, 0x80
	v_cmp_eq_u16_sdwa s[12:13], v3, s4 src0_sel:BYTE_0 src1_sel:DWORD
	s_mov_b64 s[4:5], -1
                                        ; implicit-def: $sgpr10
	s_and_saveexec_b64 s[8:9], s[12:13]
; %bb.3822:
	s_mov_b32 s10, 0x7f800001
	s_xor_b64 s[4:5], exec, -1
; %bb.3823:
	s_or_b64 exec, exec, s[8:9]
	s_and_b64 s[4:5], s[4:5], exec
	s_or_saveexec_b64 s[6:7], s[6:7]
	v_mov_b32_e32 v4, s10
	s_xor_b64 exec, exec, s[6:7]
	s_cbranch_execz .LBB21_1774
.LBB21_3824:
	v_mov_b32_e32 v4, 0
	v_cmp_ne_u16_sdwa s[8:9], v3, v4 src0_sel:BYTE_0 src1_sel:DWORD
	s_andn2_b64 s[4:5], s[4:5], exec
	s_and_b64 s[8:9], s[8:9], exec
	s_or_b64 s[4:5], s[4:5], s[8:9]
	s_or_b64 exec, exec, s[6:7]
	s_and_saveexec_b64 s[6:7], s[4:5]
	s_cbranch_execnz .LBB21_1775
	s_branch .LBB21_1776
.LBB21_3825:
	s_movk_i32 s4, 0x80
	v_cmp_eq_u16_e32 vcc, s4, v3
	s_mov_b64 s[4:5], -1
                                        ; implicit-def: $sgpr10
	s_and_saveexec_b64 s[8:9], vcc
; %bb.3826:
	s_mov_b32 s10, 0x7f800001
	s_xor_b64 s[4:5], exec, -1
; %bb.3827:
	s_or_b64 exec, exec, s[8:9]
	s_and_b64 s[4:5], s[4:5], exec
                                        ; implicit-def: $vgpr3
	s_or_saveexec_b64 s[6:7], s[6:7]
	v_mov_b32_e32 v2, s10
	s_xor_b64 exec, exec, s[6:7]
	s_cbranch_execz .LBB21_1778
.LBB21_3828:
	v_cmp_ne_u16_e32 vcc, 0, v3
	s_andn2_b64 s[4:5], s[4:5], exec
	s_and_b64 s[8:9], vcc, exec
	v_mov_b32_e32 v2, 0
	s_or_b64 s[4:5], s[4:5], s[8:9]
	s_or_b64 exec, exec, s[6:7]
	s_and_saveexec_b64 s[6:7], s[4:5]
	s_cbranch_execnz .LBB21_1779
	s_branch .LBB21_1780
.LBB21_3829:
	s_movk_i32 s4, 0x80
	v_cmp_eq_u16_e32 vcc, s4, v3
	s_mov_b64 s[4:5], -1
                                        ; implicit-def: $sgpr10
	s_and_saveexec_b64 s[8:9], vcc
; %bb.3830:
	s_mov_b32 s10, 0x7f800001
	s_xor_b64 s[4:5], exec, -1
; %bb.3831:
	s_or_b64 exec, exec, s[8:9]
	s_and_b64 s[4:5], s[4:5], exec
                                        ; implicit-def: $vgpr3
	s_or_saveexec_b64 s[6:7], s[6:7]
	v_mov_b32_e32 v4, s10
	s_xor_b64 exec, exec, s[6:7]
	s_cbranch_execz .LBB21_1782
.LBB21_3832:
	v_cmp_ne_u16_e32 vcc, 0, v3
	s_andn2_b64 s[4:5], s[4:5], exec
	s_and_b64 s[8:9], vcc, exec
	v_mov_b32_e32 v4, 0
	s_or_b64 s[4:5], s[4:5], s[8:9]
	s_or_b64 exec, exec, s[6:7]
	s_and_saveexec_b64 s[6:7], s[4:5]
	s_cbranch_execnz .LBB21_1783
	s_branch .LBB21_1784
.LBB21_3833:
	s_movk_i32 s4, 0x80
	v_cmp_eq_u16_sdwa s[12:13], v9, s4 src0_sel:BYTE_3 src1_sel:DWORD
	s_mov_b64 s[4:5], -1
                                        ; implicit-def: $sgpr10
	s_and_saveexec_b64 s[8:9], s[12:13]
; %bb.3834:
	s_mov_b32 s10, 0x7f800001
	s_xor_b64 s[4:5], exec, -1
; %bb.3835:
	s_or_b64 exec, exec, s[8:9]
	s_and_b64 s[4:5], s[4:5], exec
	s_or_saveexec_b64 s[6:7], s[6:7]
	v_mov_b32_e32 v2, s10
	s_xor_b64 exec, exec, s[6:7]
	s_cbranch_execz .LBB21_1786
.LBB21_3836:
	v_mov_b32_e32 v2, 0
	v_cmp_ne_u16_sdwa s[8:9], v9, v2 src0_sel:BYTE_3 src1_sel:DWORD
	s_andn2_b64 s[4:5], s[4:5], exec
	s_and_b64 s[8:9], s[8:9], exec
	s_or_b64 s[4:5], s[4:5], s[8:9]
	s_or_b64 exec, exec, s[6:7]
	s_and_saveexec_b64 s[6:7], s[4:5]
	s_cbranch_execnz .LBB21_1787
	s_branch .LBB21_1788
.LBB21_3837:
	s_movk_i32 s4, 0x80
	v_cmp_eq_u16_sdwa s[12:13], v5, s4 src0_sel:BYTE_3 src1_sel:DWORD
	s_mov_b64 s[4:5], -1
                                        ; implicit-def: $sgpr10
	s_and_saveexec_b64 s[8:9], s[12:13]
; %bb.3838:
	s_mov_b32 s10, 0x7f800001
	s_xor_b64 s[4:5], exec, -1
; %bb.3839:
	s_or_b64 exec, exec, s[8:9]
	s_and_b64 s[4:5], s[4:5], exec
	s_or_saveexec_b64 s[6:7], s[6:7]
	v_mov_b32_e32 v3, s10
	s_xor_b64 exec, exec, s[6:7]
	s_cbranch_execz .LBB21_1790
.LBB21_3840:
	v_mov_b32_e32 v3, 0
	v_cmp_ne_u16_sdwa s[8:9], v5, v3 src0_sel:BYTE_3 src1_sel:DWORD
	s_andn2_b64 s[4:5], s[4:5], exec
	s_and_b64 s[8:9], s[8:9], exec
	s_or_b64 s[4:5], s[4:5], s[8:9]
	s_or_b64 exec, exec, s[6:7]
	s_and_saveexec_b64 s[6:7], s[4:5]
	s_cbranch_execnz .LBB21_1791
	s_branch .LBB21_1792
.LBB21_3841:
	s_movk_i32 s4, 0x80
	v_cmp_eq_u16_sdwa s[12:13], v12, s4 src0_sel:BYTE_0 src1_sel:DWORD
	s_mov_b64 s[4:5], -1
                                        ; implicit-def: $sgpr10
	s_and_saveexec_b64 s[8:9], s[12:13]
; %bb.3842:
	s_mov_b32 s10, 0x7f800001
	s_xor_b64 s[4:5], exec, -1
; %bb.3843:
	s_or_b64 exec, exec, s[8:9]
	s_and_b64 s[4:5], s[4:5], exec
	s_or_saveexec_b64 s[6:7], s[6:7]
	v_mov_b32_e32 v18, s10
	s_xor_b64 exec, exec, s[6:7]
	s_cbranch_execz .LBB21_1794
.LBB21_3844:
	v_mov_b32_e32 v18, 0
	v_cmp_ne_u16_sdwa s[8:9], v12, v18 src0_sel:BYTE_0 src1_sel:DWORD
	s_andn2_b64 s[4:5], s[4:5], exec
	s_and_b64 s[8:9], s[8:9], exec
	s_or_b64 s[4:5], s[4:5], s[8:9]
	s_or_b64 exec, exec, s[6:7]
	s_and_saveexec_b64 s[6:7], s[4:5]
	s_cbranch_execnz .LBB21_1795
	s_branch .LBB21_1796
.LBB21_3845:
	s_movk_i32 s4, 0x80
	v_cmp_eq_u16_sdwa s[12:13], v8, s4 src0_sel:BYTE_0 src1_sel:DWORD
	s_mov_b64 s[4:5], -1
                                        ; implicit-def: $sgpr10
	s_and_saveexec_b64 s[8:9], s[12:13]
; %bb.3846:
	s_mov_b32 s10, 0x7f800001
	s_xor_b64 s[4:5], exec, -1
; %bb.3847:
	s_or_b64 exec, exec, s[8:9]
	s_and_b64 s[4:5], s[4:5], exec
	s_or_saveexec_b64 s[6:7], s[6:7]
	v_mov_b32_e32 v19, s10
	s_xor_b64 exec, exec, s[6:7]
	s_cbranch_execz .LBB21_1798
.LBB21_3848:
	v_mov_b32_e32 v19, 0
	v_cmp_ne_u16_sdwa s[8:9], v8, v19 src0_sel:BYTE_0 src1_sel:DWORD
	s_andn2_b64 s[4:5], s[4:5], exec
	s_and_b64 s[8:9], s[8:9], exec
	s_or_b64 s[4:5], s[4:5], s[8:9]
	s_or_b64 exec, exec, s[6:7]
	s_and_saveexec_b64 s[6:7], s[4:5]
	s_cbranch_execnz .LBB21_1799
	s_branch .LBB21_1800
.LBB21_3849:
	s_movk_i32 s4, 0x80
	v_cmp_eq_u16_sdwa s[12:13], v19, s4 src0_sel:BYTE_0 src1_sel:DWORD
	s_mov_b64 s[4:5], -1
                                        ; implicit-def: $sgpr10
	s_and_saveexec_b64 s[8:9], s[12:13]
; %bb.3850:
	s_mov_b32 s10, 0x7f800001
	s_xor_b64 s[4:5], exec, -1
; %bb.3851:
	s_or_b64 exec, exec, s[8:9]
	s_and_b64 s[4:5], s[4:5], exec
	s_or_saveexec_b64 s[6:7], s[6:7]
	v_mov_b32_e32 v18, s10
	s_xor_b64 exec, exec, s[6:7]
	s_cbranch_execz .LBB21_1802
.LBB21_3852:
	v_mov_b32_e32 v18, 0
	v_cmp_ne_u16_sdwa s[8:9], v19, v18 src0_sel:BYTE_0 src1_sel:DWORD
	s_andn2_b64 s[4:5], s[4:5], exec
	s_and_b64 s[8:9], s[8:9], exec
	s_or_b64 s[4:5], s[4:5], s[8:9]
	s_or_b64 exec, exec, s[6:7]
	s_and_saveexec_b64 s[6:7], s[4:5]
	s_cbranch_execnz .LBB21_1803
	s_branch .LBB21_1804
.LBB21_3853:
	s_movk_i32 s4, 0x80
	v_cmp_eq_u16_sdwa s[12:13], v19, s4 src0_sel:BYTE_0 src1_sel:DWORD
	s_mov_b64 s[4:5], -1
                                        ; implicit-def: $sgpr10
	s_and_saveexec_b64 s[8:9], s[12:13]
; %bb.3854:
	s_mov_b32 s10, 0x7f800001
	s_xor_b64 s[4:5], exec, -1
; %bb.3855:
	s_or_b64 exec, exec, s[8:9]
	s_and_b64 s[4:5], s[4:5], exec
	s_or_saveexec_b64 s[6:7], s[6:7]
	v_mov_b32_e32 v20, s10
	s_xor_b64 exec, exec, s[6:7]
	s_cbranch_execz .LBB21_1806
.LBB21_3856:
	v_mov_b32_e32 v20, 0
	v_cmp_ne_u16_sdwa s[8:9], v19, v20 src0_sel:BYTE_0 src1_sel:DWORD
	s_andn2_b64 s[4:5], s[4:5], exec
	s_and_b64 s[8:9], s[8:9], exec
	s_or_b64 s[4:5], s[4:5], s[8:9]
	s_or_b64 exec, exec, s[6:7]
	s_and_saveexec_b64 s[6:7], s[4:5]
	s_cbranch_execnz .LBB21_1807
	s_branch .LBB21_1808
.LBB21_3857:
	s_movk_i32 s4, 0x80
	v_cmp_eq_u16_e32 vcc, s4, v19
	s_mov_b64 s[4:5], -1
                                        ; implicit-def: $sgpr10
	s_and_saveexec_b64 s[8:9], vcc
; %bb.3858:
	s_mov_b32 s10, 0x7f800001
	s_xor_b64 s[4:5], exec, -1
; %bb.3859:
	s_or_b64 exec, exec, s[8:9]
	s_and_b64 s[4:5], s[4:5], exec
                                        ; implicit-def: $vgpr19
	s_or_saveexec_b64 s[6:7], s[6:7]
	v_mov_b32_e32 v18, s10
	s_xor_b64 exec, exec, s[6:7]
	s_cbranch_execz .LBB21_1810
.LBB21_3860:
	v_cmp_ne_u16_e32 vcc, 0, v19
	s_andn2_b64 s[4:5], s[4:5], exec
	s_and_b64 s[8:9], vcc, exec
	v_mov_b32_e32 v18, 0
	s_or_b64 s[4:5], s[4:5], s[8:9]
	s_or_b64 exec, exec, s[6:7]
	s_and_saveexec_b64 s[6:7], s[4:5]
	s_cbranch_execnz .LBB21_1811
	s_branch .LBB21_1812
.LBB21_3861:
	s_movk_i32 s4, 0x80
	v_cmp_eq_u16_e32 vcc, s4, v19
	s_mov_b64 s[4:5], -1
                                        ; implicit-def: $sgpr10
	s_and_saveexec_b64 s[8:9], vcc
; %bb.3862:
	s_mov_b32 s10, 0x7f800001
	s_xor_b64 s[4:5], exec, -1
; %bb.3863:
	s_or_b64 exec, exec, s[8:9]
	s_and_b64 s[4:5], s[4:5], exec
                                        ; implicit-def: $vgpr19
	s_or_saveexec_b64 s[6:7], s[6:7]
	v_mov_b32_e32 v20, s10
	s_xor_b64 exec, exec, s[6:7]
	s_cbranch_execz .LBB21_1814
.LBB21_3864:
	v_cmp_ne_u16_e32 vcc, 0, v19
	s_andn2_b64 s[4:5], s[4:5], exec
	s_and_b64 s[8:9], vcc, exec
	v_mov_b32_e32 v20, 0
	s_or_b64 s[4:5], s[4:5], s[8:9]
	s_or_b64 exec, exec, s[6:7]
	s_and_saveexec_b64 s[6:7], s[4:5]
	s_cbranch_execnz .LBB21_1815
	s_branch .LBB21_1816
.LBB21_3865:
	s_movk_i32 s4, 0x80
	v_cmp_eq_u16_sdwa s[12:13], v12, s4 src0_sel:BYTE_3 src1_sel:DWORD
	s_mov_b64 s[4:5], -1
                                        ; implicit-def: $sgpr10
	s_and_saveexec_b64 s[8:9], s[12:13]
; %bb.3866:
	s_mov_b32 s10, 0x7f800001
	s_xor_b64 s[4:5], exec, -1
; %bb.3867:
	s_or_b64 exec, exec, s[8:9]
	s_and_b64 s[4:5], s[4:5], exec
	s_or_saveexec_b64 s[6:7], s[6:7]
	v_mov_b32_e32 v18, s10
	s_xor_b64 exec, exec, s[6:7]
	s_cbranch_execz .LBB21_1818
.LBB21_3868:
	v_mov_b32_e32 v18, 0
	v_cmp_ne_u16_sdwa s[8:9], v12, v18 src0_sel:BYTE_3 src1_sel:DWORD
	s_andn2_b64 s[4:5], s[4:5], exec
	s_and_b64 s[8:9], s[8:9], exec
	s_or_b64 s[4:5], s[4:5], s[8:9]
	s_or_b64 exec, exec, s[6:7]
	s_and_saveexec_b64 s[6:7], s[4:5]
	s_cbranch_execnz .LBB21_1819
	s_branch .LBB21_1820
.LBB21_3869:
	s_movk_i32 s4, 0x80
	v_cmp_eq_u16_sdwa s[12:13], v8, s4 src0_sel:BYTE_3 src1_sel:DWORD
	s_mov_b64 s[4:5], -1
                                        ; implicit-def: $sgpr10
	s_and_saveexec_b64 s[8:9], s[12:13]
; %bb.3870:
	s_mov_b32 s10, 0x7f800001
	s_xor_b64 s[4:5], exec, -1
; %bb.3871:
	s_or_b64 exec, exec, s[8:9]
	s_and_b64 s[4:5], s[4:5], exec
	s_or_saveexec_b64 s[6:7], s[6:7]
	v_mov_b32_e32 v12, s10
	s_xor_b64 exec, exec, s[6:7]
	s_cbranch_execz .LBB21_1822
.LBB21_3872:
	v_mov_b32_e32 v12, 0
	v_cmp_ne_u16_sdwa s[8:9], v8, v12 src0_sel:BYTE_3 src1_sel:DWORD
	s_andn2_b64 s[4:5], s[4:5], exec
	s_and_b64 s[8:9], s[8:9], exec
	s_or_b64 s[4:5], s[4:5], s[8:9]
	s_or_b64 exec, exec, s[6:7]
	s_and_saveexec_b64 s[6:7], s[4:5]
	s_cbranch_execnz .LBB21_1823
	s_branch .LBB21_1824
.LBB21_3873:
	s_movk_i32 s4, 0x80
	v_cmp_eq_u16_sdwa s[12:13], v13, s4 src0_sel:BYTE_0 src1_sel:DWORD
	s_mov_b64 s[4:5], -1
                                        ; implicit-def: $sgpr10
	s_and_saveexec_b64 s[8:9], s[12:13]
; %bb.3874:
	s_mov_b32 s10, 0x7f800001
	s_xor_b64 s[4:5], exec, -1
; %bb.3875:
	s_or_b64 exec, exec, s[8:9]
	s_and_b64 s[4:5], s[4:5], exec
	s_or_saveexec_b64 s[6:7], s[6:7]
	v_mov_b32_e32 v8, s10
	s_xor_b64 exec, exec, s[6:7]
	s_cbranch_execz .LBB21_1826
.LBB21_3876:
	v_mov_b32_e32 v8, 0
	v_cmp_ne_u16_sdwa s[8:9], v13, v8 src0_sel:BYTE_0 src1_sel:DWORD
	s_andn2_b64 s[4:5], s[4:5], exec
	s_and_b64 s[8:9], s[8:9], exec
	s_or_b64 s[4:5], s[4:5], s[8:9]
	s_or_b64 exec, exec, s[6:7]
	s_and_saveexec_b64 s[6:7], s[4:5]
	s_cbranch_execnz .LBB21_1827
	s_branch .LBB21_1828
.LBB21_3877:
	s_movk_i32 s4, 0x80
	v_cmp_eq_u16_sdwa s[12:13], v9, s4 src0_sel:BYTE_0 src1_sel:DWORD
	s_mov_b64 s[4:5], -1
                                        ; implicit-def: $sgpr10
	s_and_saveexec_b64 s[8:9], s[12:13]
; %bb.3878:
	s_mov_b32 s10, 0x7f800001
	s_xor_b64 s[4:5], exec, -1
; %bb.3879:
	s_or_b64 exec, exec, s[8:9]
	s_and_b64 s[4:5], s[4:5], exec
	s_or_saveexec_b64 s[6:7], s[6:7]
	v_mov_b32_e32 v12, s10
	s_xor_b64 exec, exec, s[6:7]
	s_cbranch_execz .LBB21_1830
.LBB21_3880:
	v_mov_b32_e32 v12, 0
	v_cmp_ne_u16_sdwa s[8:9], v9, v12 src0_sel:BYTE_0 src1_sel:DWORD
	s_andn2_b64 s[4:5], s[4:5], exec
	s_and_b64 s[8:9], s[8:9], exec
	s_or_b64 s[4:5], s[4:5], s[8:9]
	s_or_b64 exec, exec, s[6:7]
	s_and_saveexec_b64 s[6:7], s[4:5]
	s_cbranch_execnz .LBB21_1831
	s_branch .LBB21_1832
.LBB21_3881:
	s_movk_i32 s4, 0x80
	v_cmp_eq_u16_sdwa s[12:13], v12, s4 src0_sel:BYTE_0 src1_sel:DWORD
	s_mov_b64 s[4:5], -1
                                        ; implicit-def: $sgpr10
	s_and_saveexec_b64 s[8:9], s[12:13]
; %bb.3882:
	s_mov_b32 s10, 0x7f800001
	s_xor_b64 s[4:5], exec, -1
; %bb.3883:
	s_or_b64 exec, exec, s[8:9]
	s_and_b64 s[4:5], s[4:5], exec
	s_or_saveexec_b64 s[6:7], s[6:7]
	v_mov_b32_e32 v8, s10
	s_xor_b64 exec, exec, s[6:7]
	s_cbranch_execz .LBB21_1834
.LBB21_3884:
	v_mov_b32_e32 v8, 0
	v_cmp_ne_u16_sdwa s[8:9], v12, v8 src0_sel:BYTE_0 src1_sel:DWORD
	s_andn2_b64 s[4:5], s[4:5], exec
	s_and_b64 s[8:9], s[8:9], exec
	s_or_b64 s[4:5], s[4:5], s[8:9]
	s_or_b64 exec, exec, s[6:7]
	s_and_saveexec_b64 s[6:7], s[4:5]
	s_cbranch_execnz .LBB21_1835
	s_branch .LBB21_1836
.LBB21_3885:
	s_movk_i32 s4, 0x80
	v_cmp_eq_u16_sdwa s[12:13], v12, s4 src0_sel:BYTE_0 src1_sel:DWORD
	s_mov_b64 s[4:5], -1
                                        ; implicit-def: $sgpr10
	s_and_saveexec_b64 s[8:9], s[12:13]
; %bb.3886:
	s_mov_b32 s10, 0x7f800001
	s_xor_b64 s[4:5], exec, -1
; %bb.3887:
	s_or_b64 exec, exec, s[8:9]
	s_and_b64 s[4:5], s[4:5], exec
	s_or_saveexec_b64 s[6:7], s[6:7]
	v_mov_b32_e32 v18, s10
	s_xor_b64 exec, exec, s[6:7]
	s_cbranch_execz .LBB21_1838
.LBB21_3888:
	v_mov_b32_e32 v18, 0
	v_cmp_ne_u16_sdwa s[8:9], v12, v18 src0_sel:BYTE_0 src1_sel:DWORD
	s_andn2_b64 s[4:5], s[4:5], exec
	s_and_b64 s[8:9], s[8:9], exec
	s_or_b64 s[4:5], s[4:5], s[8:9]
	s_or_b64 exec, exec, s[6:7]
	s_and_saveexec_b64 s[6:7], s[4:5]
	s_cbranch_execnz .LBB21_1839
	s_branch .LBB21_1840
.LBB21_3889:
	s_movk_i32 s4, 0x80
	v_cmp_eq_u16_e32 vcc, s4, v12
	s_mov_b64 s[4:5], -1
                                        ; implicit-def: $sgpr10
	s_and_saveexec_b64 s[8:9], vcc
; %bb.3890:
	s_mov_b32 s10, 0x7f800001
	s_xor_b64 s[4:5], exec, -1
; %bb.3891:
	s_or_b64 exec, exec, s[8:9]
	s_and_b64 s[4:5], s[4:5], exec
                                        ; implicit-def: $vgpr12
	s_or_saveexec_b64 s[6:7], s[6:7]
	v_mov_b32_e32 v8, s10
	s_xor_b64 exec, exec, s[6:7]
	s_cbranch_execz .LBB21_1842
.LBB21_3892:
	v_cmp_ne_u16_e32 vcc, 0, v12
	s_andn2_b64 s[4:5], s[4:5], exec
	s_and_b64 s[8:9], vcc, exec
	v_mov_b32_e32 v8, 0
	s_or_b64 s[4:5], s[4:5], s[8:9]
	s_or_b64 exec, exec, s[6:7]
	s_and_saveexec_b64 s[6:7], s[4:5]
	s_cbranch_execnz .LBB21_1843
	s_branch .LBB21_1844
.LBB21_3893:
	s_movk_i32 s4, 0x80
	v_cmp_eq_u16_e32 vcc, s4, v12
	s_mov_b64 s[4:5], -1
                                        ; implicit-def: $sgpr10
	s_and_saveexec_b64 s[8:9], vcc
; %bb.3894:
	s_mov_b32 s10, 0x7f800001
	s_xor_b64 s[4:5], exec, -1
; %bb.3895:
	s_or_b64 exec, exec, s[8:9]
	s_and_b64 s[4:5], s[4:5], exec
                                        ; implicit-def: $vgpr12
	s_or_saveexec_b64 s[6:7], s[6:7]
	v_mov_b32_e32 v18, s10
	s_xor_b64 exec, exec, s[6:7]
	s_cbranch_execz .LBB21_1846
.LBB21_3896:
	v_cmp_ne_u16_e32 vcc, 0, v12
	s_andn2_b64 s[4:5], s[4:5], exec
	s_and_b64 s[8:9], vcc, exec
	v_mov_b32_e32 v18, 0
	s_or_b64 s[4:5], s[4:5], s[8:9]
	s_or_b64 exec, exec, s[6:7]
	s_and_saveexec_b64 s[6:7], s[4:5]
	s_cbranch_execnz .LBB21_1847
	s_branch .LBB21_1848
.LBB21_3897:
	s_movk_i32 s4, 0x80
	v_cmp_eq_u16_sdwa s[12:13], v13, s4 src0_sel:BYTE_3 src1_sel:DWORD
	s_mov_b64 s[4:5], -1
                                        ; implicit-def: $sgpr10
	s_and_saveexec_b64 s[8:9], s[12:13]
; %bb.3898:
	s_mov_b32 s10, 0x7f800001
	s_xor_b64 s[4:5], exec, -1
; %bb.3899:
	s_or_b64 exec, exec, s[8:9]
	s_and_b64 s[4:5], s[4:5], exec
	s_or_saveexec_b64 s[6:7], s[6:7]
	v_mov_b32_e32 v8, s10
	s_xor_b64 exec, exec, s[6:7]
	s_cbranch_execz .LBB21_1850
.LBB21_3900:
	v_mov_b32_e32 v8, 0
	v_cmp_ne_u16_sdwa s[8:9], v13, v8 src0_sel:BYTE_3 src1_sel:DWORD
	s_andn2_b64 s[4:5], s[4:5], exec
	s_and_b64 s[8:9], s[8:9], exec
	s_or_b64 s[4:5], s[4:5], s[8:9]
	s_or_b64 exec, exec, s[6:7]
	s_and_saveexec_b64 s[6:7], s[4:5]
	s_cbranch_execnz .LBB21_1851
	s_branch .LBB21_1852
.LBB21_3901:
	s_movk_i32 s4, 0x80
	v_cmp_eq_u16_sdwa s[12:13], v9, s4 src0_sel:BYTE_3 src1_sel:DWORD
	s_mov_b64 s[4:5], -1
                                        ; implicit-def: $sgpr10
	s_and_saveexec_b64 s[8:9], s[12:13]
; %bb.3902:
	s_mov_b32 s10, 0x7f800001
	s_xor_b64 s[4:5], exec, -1
; %bb.3903:
	s_or_b64 exec, exec, s[8:9]
	s_and_b64 s[4:5], s[4:5], exec
	s_or_saveexec_b64 s[6:7], s[6:7]
	v_mov_b32_e32 v12, s10
	s_xor_b64 exec, exec, s[6:7]
	s_cbranch_execz .LBB21_1854
.LBB21_3904:
	v_mov_b32_e32 v12, 0
	v_cmp_ne_u16_sdwa s[8:9], v9, v12 src0_sel:BYTE_3 src1_sel:DWORD
	s_andn2_b64 s[4:5], s[4:5], exec
	s_and_b64 s[8:9], s[8:9], exec
	s_or_b64 s[4:5], s[4:5], s[8:9]
	s_or_b64 exec, exec, s[6:7]
	s_and_saveexec_b64 s[6:7], s[4:5]
	s_cbranch_execnz .LBB21_1855
	s_branch .LBB21_1856
.LBB21_3905:
	s_movk_i32 s4, 0x80
	v_cmp_eq_u16_sdwa s[12:13], v14, s4 src0_sel:BYTE_0 src1_sel:DWORD
	s_mov_b64 s[4:5], -1
                                        ; implicit-def: $sgpr10
	s_and_saveexec_b64 s[8:9], s[12:13]
; %bb.3906:
	s_mov_b32 s10, 0x7f800001
	s_xor_b64 s[4:5], exec, -1
; %bb.3907:
	s_or_b64 exec, exec, s[8:9]
	s_and_b64 s[4:5], s[4:5], exec
	s_or_saveexec_b64 s[6:7], s[6:7]
	v_mov_b32_e32 v8, s10
	s_xor_b64 exec, exec, s[6:7]
	s_cbranch_execz .LBB21_1858
.LBB21_3908:
	v_mov_b32_e32 v8, 0
	v_cmp_ne_u16_sdwa s[8:9], v14, v8 src0_sel:BYTE_0 src1_sel:DWORD
	s_andn2_b64 s[4:5], s[4:5], exec
	s_and_b64 s[8:9], s[8:9], exec
	s_or_b64 s[4:5], s[4:5], s[8:9]
	s_or_b64 exec, exec, s[6:7]
	s_and_saveexec_b64 s[6:7], s[4:5]
	s_cbranch_execnz .LBB21_1859
	s_branch .LBB21_1860
.LBB21_3909:
	s_movk_i32 s4, 0x80
	v_cmp_eq_u16_sdwa s[12:13], v10, s4 src0_sel:BYTE_0 src1_sel:DWORD
	s_mov_b64 s[4:5], -1
                                        ; implicit-def: $sgpr10
	s_and_saveexec_b64 s[8:9], s[12:13]
; %bb.3910:
	s_mov_b32 s10, 0x7f800001
	s_xor_b64 s[4:5], exec, -1
; %bb.3911:
	s_or_b64 exec, exec, s[8:9]
	s_and_b64 s[4:5], s[4:5], exec
	s_or_saveexec_b64 s[6:7], s[6:7]
	v_mov_b32_e32 v9, s10
	s_xor_b64 exec, exec, s[6:7]
	s_cbranch_execz .LBB21_1862
.LBB21_3912:
	v_mov_b32_e32 v9, 0
	v_cmp_ne_u16_sdwa s[8:9], v10, v9 src0_sel:BYTE_0 src1_sel:DWORD
	s_andn2_b64 s[4:5], s[4:5], exec
	s_and_b64 s[8:9], s[8:9], exec
	s_or_b64 s[4:5], s[4:5], s[8:9]
	s_or_b64 exec, exec, s[6:7]
	s_and_saveexec_b64 s[6:7], s[4:5]
	s_cbranch_execnz .LBB21_1863
	s_branch .LBB21_1864
.LBB21_3913:
	s_movk_i32 s4, 0x80
	v_cmp_eq_u16_sdwa s[12:13], v9, s4 src0_sel:BYTE_0 src1_sel:DWORD
	s_mov_b64 s[4:5], -1
                                        ; implicit-def: $sgpr10
	s_and_saveexec_b64 s[8:9], s[12:13]
; %bb.3914:
	s_mov_b32 s10, 0x7f800001
	s_xor_b64 s[4:5], exec, -1
; %bb.3915:
	s_or_b64 exec, exec, s[8:9]
	s_and_b64 s[4:5], s[4:5], exec
	s_or_saveexec_b64 s[6:7], s[6:7]
	v_mov_b32_e32 v8, s10
	s_xor_b64 exec, exec, s[6:7]
	s_cbranch_execz .LBB21_1866
.LBB21_3916:
	v_mov_b32_e32 v8, 0
	v_cmp_ne_u16_sdwa s[8:9], v9, v8 src0_sel:BYTE_0 src1_sel:DWORD
	s_andn2_b64 s[4:5], s[4:5], exec
	s_and_b64 s[8:9], s[8:9], exec
	s_or_b64 s[4:5], s[4:5], s[8:9]
	s_or_b64 exec, exec, s[6:7]
	s_and_saveexec_b64 s[6:7], s[4:5]
	s_cbranch_execnz .LBB21_1867
	s_branch .LBB21_1868
.LBB21_3917:
	s_movk_i32 s4, 0x80
	v_cmp_eq_u16_sdwa s[12:13], v9, s4 src0_sel:BYTE_0 src1_sel:DWORD
	s_mov_b64 s[4:5], -1
                                        ; implicit-def: $sgpr10
	s_and_saveexec_b64 s[8:9], s[12:13]
; %bb.3918:
	s_mov_b32 s10, 0x7f800001
	s_xor_b64 s[4:5], exec, -1
; %bb.3919:
	s_or_b64 exec, exec, s[8:9]
	s_and_b64 s[4:5], s[4:5], exec
	s_or_saveexec_b64 s[6:7], s[6:7]
	v_mov_b32_e32 v12, s10
	s_xor_b64 exec, exec, s[6:7]
	s_cbranch_execz .LBB21_1870
.LBB21_3920:
	v_mov_b32_e32 v12, 0
	v_cmp_ne_u16_sdwa s[8:9], v9, v12 src0_sel:BYTE_0 src1_sel:DWORD
	s_andn2_b64 s[4:5], s[4:5], exec
	s_and_b64 s[8:9], s[8:9], exec
	s_or_b64 s[4:5], s[4:5], s[8:9]
	s_or_b64 exec, exec, s[6:7]
	s_and_saveexec_b64 s[6:7], s[4:5]
	s_cbranch_execnz .LBB21_1871
	s_branch .LBB21_1872
.LBB21_3921:
	s_movk_i32 s4, 0x80
	v_cmp_eq_u16_e32 vcc, s4, v9
	s_mov_b64 s[4:5], -1
                                        ; implicit-def: $sgpr10
	s_and_saveexec_b64 s[8:9], vcc
; %bb.3922:
	s_mov_b32 s10, 0x7f800001
	s_xor_b64 s[4:5], exec, -1
; %bb.3923:
	s_or_b64 exec, exec, s[8:9]
	s_and_b64 s[4:5], s[4:5], exec
                                        ; implicit-def: $vgpr9
	s_or_saveexec_b64 s[6:7], s[6:7]
	v_mov_b32_e32 v8, s10
	s_xor_b64 exec, exec, s[6:7]
	s_cbranch_execz .LBB21_1874
.LBB21_3924:
	v_cmp_ne_u16_e32 vcc, 0, v9
	s_andn2_b64 s[4:5], s[4:5], exec
	s_and_b64 s[8:9], vcc, exec
	v_mov_b32_e32 v8, 0
	s_or_b64 s[4:5], s[4:5], s[8:9]
	s_or_b64 exec, exec, s[6:7]
	s_and_saveexec_b64 s[6:7], s[4:5]
	s_cbranch_execnz .LBB21_1875
	s_branch .LBB21_1876
.LBB21_3925:
	s_movk_i32 s4, 0x80
	v_cmp_eq_u16_e32 vcc, s4, v9
	s_mov_b64 s[4:5], -1
                                        ; implicit-def: $sgpr10
	s_and_saveexec_b64 s[8:9], vcc
; %bb.3926:
	s_mov_b32 s10, 0x7f800001
	s_xor_b64 s[4:5], exec, -1
; %bb.3927:
	s_or_b64 exec, exec, s[8:9]
	s_and_b64 s[4:5], s[4:5], exec
                                        ; implicit-def: $vgpr9
	s_or_saveexec_b64 s[6:7], s[6:7]
	v_mov_b32_e32 v12, s10
	s_xor_b64 exec, exec, s[6:7]
	s_cbranch_execz .LBB21_1878
.LBB21_3928:
	v_cmp_ne_u16_e32 vcc, 0, v9
	s_andn2_b64 s[4:5], s[4:5], exec
	s_and_b64 s[8:9], vcc, exec
	v_mov_b32_e32 v12, 0
	s_or_b64 s[4:5], s[4:5], s[8:9]
	s_or_b64 exec, exec, s[6:7]
	s_and_saveexec_b64 s[6:7], s[4:5]
	s_cbranch_execnz .LBB21_1879
	s_branch .LBB21_1880
.LBB21_3929:
	s_movk_i32 s4, 0x80
	v_cmp_eq_u16_sdwa s[12:13], v14, s4 src0_sel:BYTE_3 src1_sel:DWORD
	s_mov_b64 s[4:5], -1
                                        ; implicit-def: $sgpr10
	s_and_saveexec_b64 s[8:9], s[12:13]
; %bb.3930:
	s_mov_b32 s10, 0x7f800001
	s_xor_b64 s[4:5], exec, -1
; %bb.3931:
	s_or_b64 exec, exec, s[8:9]
	s_and_b64 s[4:5], s[4:5], exec
	s_or_saveexec_b64 s[6:7], s[6:7]
	v_mov_b32_e32 v8, s10
	s_xor_b64 exec, exec, s[6:7]
	s_cbranch_execz .LBB21_1882
.LBB21_3932:
	v_mov_b32_e32 v8, 0
	v_cmp_ne_u16_sdwa s[8:9], v14, v8 src0_sel:BYTE_3 src1_sel:DWORD
	s_andn2_b64 s[4:5], s[4:5], exec
	s_and_b64 s[8:9], s[8:9], exec
	s_or_b64 s[4:5], s[4:5], s[8:9]
	s_or_b64 exec, exec, s[6:7]
	s_and_saveexec_b64 s[6:7], s[4:5]
	s_cbranch_execnz .LBB21_1883
	s_branch .LBB21_1884
.LBB21_3933:
	s_movk_i32 s4, 0x80
	v_cmp_eq_u16_sdwa s[12:13], v10, s4 src0_sel:BYTE_3 src1_sel:DWORD
	s_mov_b64 s[4:5], -1
                                        ; implicit-def: $sgpr10
	s_and_saveexec_b64 s[8:9], s[12:13]
; %bb.3934:
	s_mov_b32 s10, 0x7f800001
	s_xor_b64 s[4:5], exec, -1
; %bb.3935:
	s_or_b64 exec, exec, s[8:9]
	s_and_b64 s[4:5], s[4:5], exec
	s_or_saveexec_b64 s[6:7], s[6:7]
	v_mov_b32_e32 v9, s10
	s_xor_b64 exec, exec, s[6:7]
	s_cbranch_execz .LBB21_1886
.LBB21_3936:
	v_mov_b32_e32 v9, 0
	v_cmp_ne_u16_sdwa s[8:9], v10, v9 src0_sel:BYTE_3 src1_sel:DWORD
	s_andn2_b64 s[4:5], s[4:5], exec
	s_and_b64 s[8:9], s[8:9], exec
	s_or_b64 s[4:5], s[4:5], s[8:9]
	s_or_b64 exec, exec, s[6:7]
	s_and_saveexec_b64 s[6:7], s[4:5]
	s_cbranch_execnz .LBB21_1887
	s_branch .LBB21_1888
.LBB21_3937:
	s_movk_i32 s4, 0x80
	v_cmp_eq_u16_sdwa s[12:13], v15, s4 src0_sel:BYTE_0 src1_sel:DWORD
	s_mov_b64 s[4:5], -1
                                        ; implicit-def: $sgpr10
	s_and_saveexec_b64 s[8:9], s[12:13]
; %bb.3938:
	s_mov_b32 s10, 0x7f800001
	s_xor_b64 s[4:5], exec, -1
; %bb.3939:
	s_or_b64 exec, exec, s[8:9]
	s_and_b64 s[4:5], s[4:5], exec
	s_or_saveexec_b64 s[6:7], s[6:7]
	v_mov_b32_e32 v8, s10
	s_xor_b64 exec, exec, s[6:7]
	s_cbranch_execz .LBB21_1890
.LBB21_3940:
	v_mov_b32_e32 v8, 0
	v_cmp_ne_u16_sdwa s[8:9], v15, v8 src0_sel:BYTE_0 src1_sel:DWORD
	s_andn2_b64 s[4:5], s[4:5], exec
	s_and_b64 s[8:9], s[8:9], exec
	s_or_b64 s[4:5], s[4:5], s[8:9]
	s_or_b64 exec, exec, s[6:7]
	s_and_saveexec_b64 s[6:7], s[4:5]
	s_cbranch_execnz .LBB21_1891
	s_branch .LBB21_1892
.LBB21_3941:
	s_movk_i32 s4, 0x80
	v_cmp_eq_u16_sdwa s[12:13], v11, s4 src0_sel:BYTE_0 src1_sel:DWORD
	s_mov_b64 s[4:5], -1
                                        ; implicit-def: $sgpr10
	s_and_saveexec_b64 s[8:9], s[12:13]
; %bb.3942:
	s_mov_b32 s10, 0x7f800001
	s_xor_b64 s[4:5], exec, -1
; %bb.3943:
	s_or_b64 exec, exec, s[8:9]
	s_and_b64 s[4:5], s[4:5], exec
	s_or_saveexec_b64 s[6:7], s[6:7]
	v_mov_b32_e32 v9, s10
	s_xor_b64 exec, exec, s[6:7]
	s_cbranch_execz .LBB21_1894
.LBB21_3944:
	v_mov_b32_e32 v9, 0
	v_cmp_ne_u16_sdwa s[8:9], v11, v9 src0_sel:BYTE_0 src1_sel:DWORD
	s_andn2_b64 s[4:5], s[4:5], exec
	s_and_b64 s[8:9], s[8:9], exec
	s_or_b64 s[4:5], s[4:5], s[8:9]
	s_or_b64 exec, exec, s[6:7]
	s_and_saveexec_b64 s[6:7], s[4:5]
	s_cbranch_execnz .LBB21_1895
	s_branch .LBB21_1896
.LBB21_3945:
	s_movk_i32 s4, 0x80
	v_cmp_eq_u16_sdwa s[12:13], v9, s4 src0_sel:BYTE_0 src1_sel:DWORD
	s_mov_b64 s[4:5], -1
                                        ; implicit-def: $sgpr10
	s_and_saveexec_b64 s[8:9], s[12:13]
; %bb.3946:
	s_mov_b32 s10, 0x7f800001
	s_xor_b64 s[4:5], exec, -1
; %bb.3947:
	s_or_b64 exec, exec, s[8:9]
	s_and_b64 s[4:5], s[4:5], exec
	s_or_saveexec_b64 s[6:7], s[6:7]
	v_mov_b32_e32 v8, s10
	s_xor_b64 exec, exec, s[6:7]
	s_cbranch_execz .LBB21_1898
.LBB21_3948:
	v_mov_b32_e32 v8, 0
	v_cmp_ne_u16_sdwa s[8:9], v9, v8 src0_sel:BYTE_0 src1_sel:DWORD
	s_andn2_b64 s[4:5], s[4:5], exec
	s_and_b64 s[8:9], s[8:9], exec
	s_or_b64 s[4:5], s[4:5], s[8:9]
	s_or_b64 exec, exec, s[6:7]
	s_and_saveexec_b64 s[6:7], s[4:5]
	s_cbranch_execnz .LBB21_1899
	s_branch .LBB21_1900
.LBB21_3949:
	s_movk_i32 s4, 0x80
	v_cmp_eq_u16_sdwa s[12:13], v9, s4 src0_sel:BYTE_0 src1_sel:DWORD
	s_mov_b64 s[4:5], -1
                                        ; implicit-def: $sgpr10
	s_and_saveexec_b64 s[8:9], s[12:13]
; %bb.3950:
	s_mov_b32 s10, 0x7f800001
	s_xor_b64 s[4:5], exec, -1
; %bb.3951:
	s_or_b64 exec, exec, s[8:9]
	s_and_b64 s[4:5], s[4:5], exec
	s_or_saveexec_b64 s[6:7], s[6:7]
	v_mov_b32_e32 v10, s10
	s_xor_b64 exec, exec, s[6:7]
	s_cbranch_execz .LBB21_1902
.LBB21_3952:
	v_mov_b32_e32 v10, 0
	v_cmp_ne_u16_sdwa s[8:9], v9, v10 src0_sel:BYTE_0 src1_sel:DWORD
	s_andn2_b64 s[4:5], s[4:5], exec
	s_and_b64 s[8:9], s[8:9], exec
	s_or_b64 s[4:5], s[4:5], s[8:9]
	s_or_b64 exec, exec, s[6:7]
	s_and_saveexec_b64 s[6:7], s[4:5]
	s_cbranch_execnz .LBB21_1903
	s_branch .LBB21_1904
.LBB21_3953:
	s_movk_i32 s4, 0x80
	v_cmp_eq_u16_e32 vcc, s4, v9
	s_mov_b64 s[4:5], -1
                                        ; implicit-def: $sgpr10
	s_and_saveexec_b64 s[8:9], vcc
; %bb.3954:
	s_mov_b32 s10, 0x7f800001
	s_xor_b64 s[4:5], exec, -1
; %bb.3955:
	s_or_b64 exec, exec, s[8:9]
	s_and_b64 s[4:5], s[4:5], exec
                                        ; implicit-def: $vgpr9
	s_or_saveexec_b64 s[6:7], s[6:7]
	v_mov_b32_e32 v8, s10
	s_xor_b64 exec, exec, s[6:7]
	s_cbranch_execz .LBB21_1906
.LBB21_3956:
	v_cmp_ne_u16_e32 vcc, 0, v9
	s_andn2_b64 s[4:5], s[4:5], exec
	s_and_b64 s[8:9], vcc, exec
	v_mov_b32_e32 v8, 0
	s_or_b64 s[4:5], s[4:5], s[8:9]
	s_or_b64 exec, exec, s[6:7]
	s_and_saveexec_b64 s[6:7], s[4:5]
	s_cbranch_execnz .LBB21_1907
	s_branch .LBB21_1908
.LBB21_3957:
	s_movk_i32 s4, 0x80
	v_cmp_eq_u16_e32 vcc, s4, v9
	s_mov_b64 s[4:5], -1
                                        ; implicit-def: $sgpr10
	s_and_saveexec_b64 s[8:9], vcc
; %bb.3958:
	s_mov_b32 s10, 0x7f800001
	s_xor_b64 s[4:5], exec, -1
; %bb.3959:
	s_or_b64 exec, exec, s[8:9]
	s_and_b64 s[4:5], s[4:5], exec
                                        ; implicit-def: $vgpr9
	s_or_saveexec_b64 s[6:7], s[6:7]
	v_mov_b32_e32 v10, s10
	s_xor_b64 exec, exec, s[6:7]
	s_cbranch_execz .LBB21_1910
.LBB21_3960:
	v_cmp_ne_u16_e32 vcc, 0, v9
	s_andn2_b64 s[4:5], s[4:5], exec
	s_and_b64 s[8:9], vcc, exec
	v_mov_b32_e32 v10, 0
	s_or_b64 s[4:5], s[4:5], s[8:9]
	s_or_b64 exec, exec, s[6:7]
	s_and_saveexec_b64 s[6:7], s[4:5]
	s_cbranch_execnz .LBB21_1911
	s_branch .LBB21_1912
.LBB21_3961:
	s_movk_i32 s4, 0x80
	v_cmp_eq_u16_sdwa s[12:13], v15, s4 src0_sel:BYTE_3 src1_sel:DWORD
	s_mov_b64 s[4:5], -1
                                        ; implicit-def: $sgpr10
	s_and_saveexec_b64 s[8:9], s[12:13]
; %bb.3962:
	s_mov_b32 s10, 0x7f800001
	s_xor_b64 s[4:5], exec, -1
; %bb.3963:
	s_or_b64 exec, exec, s[8:9]
	s_and_b64 s[4:5], s[4:5], exec
	s_or_saveexec_b64 s[6:7], s[6:7]
	v_mov_b32_e32 v8, s10
	s_xor_b64 exec, exec, s[6:7]
	s_cbranch_execz .LBB21_1914
.LBB21_3964:
	v_mov_b32_e32 v8, 0
	v_cmp_ne_u16_sdwa s[8:9], v15, v8 src0_sel:BYTE_3 src1_sel:DWORD
	s_andn2_b64 s[4:5], s[4:5], exec
	s_and_b64 s[8:9], s[8:9], exec
	s_or_b64 s[4:5], s[4:5], s[8:9]
	s_or_b64 exec, exec, s[6:7]
	s_and_saveexec_b64 s[6:7], s[4:5]
	s_cbranch_execnz .LBB21_1915
	s_branch .LBB21_1916
.LBB21_3965:
	s_movk_i32 s4, 0x80
	v_cmp_eq_u16_sdwa s[12:13], v11, s4 src0_sel:BYTE_3 src1_sel:DWORD
	s_mov_b64 s[4:5], -1
                                        ; implicit-def: $sgpr10
	s_and_saveexec_b64 s[8:9], s[12:13]
; %bb.3966:
	s_mov_b32 s10, 0x7f800001
	s_xor_b64 s[4:5], exec, -1
; %bb.3967:
	s_or_b64 exec, exec, s[8:9]
	s_and_b64 s[4:5], s[4:5], exec
	s_or_saveexec_b64 s[6:7], s[6:7]
	v_mov_b32_e32 v9, s10
	s_xor_b64 exec, exec, s[6:7]
	s_cbranch_execz .LBB21_1918
.LBB21_3968:
	v_mov_b32_e32 v9, 0
	v_cmp_ne_u16_sdwa s[8:9], v11, v9 src0_sel:BYTE_3 src1_sel:DWORD
	s_andn2_b64 s[4:5], s[4:5], exec
	s_and_b64 s[8:9], s[8:9], exec
	s_or_b64 s[4:5], s[4:5], s[8:9]
	s_or_b64 exec, exec, s[6:7]
	s_and_saveexec_b64 s[6:7], s[4:5]
	s_cbranch_execnz .LBB21_1919
	s_branch .LBB21_1920
.LBB21_3969:
	s_movk_i32 s4, 0x80
	v_cmp_eq_u16_sdwa s[12:13], v4, s4 src0_sel:BYTE_0 src1_sel:DWORD
	s_mov_b64 s[4:5], -1
                                        ; implicit-def: $sgpr10
	s_and_saveexec_b64 s[8:9], s[12:13]
; %bb.3970:
	s_mov_b32 s10, 0x7f800001
	s_xor_b64 s[4:5], exec, -1
; %bb.3971:
	s_or_b64 exec, exec, s[8:9]
	s_and_b64 s[4:5], s[4:5], exec
	s_or_saveexec_b64 s[6:7], s[6:7]
	v_mov_b32_e32 v8, s10
	s_xor_b64 exec, exec, s[6:7]
	s_cbranch_execz .LBB21_1922
.LBB21_3972:
	v_mov_b32_e32 v8, 0
	v_cmp_ne_u16_sdwa s[8:9], v4, v8 src0_sel:BYTE_0 src1_sel:DWORD
	s_andn2_b64 s[4:5], s[4:5], exec
	s_and_b64 s[8:9], s[8:9], exec
	s_or_b64 s[4:5], s[4:5], s[8:9]
	s_or_b64 exec, exec, s[6:7]
	s_and_saveexec_b64 s[6:7], s[4:5]
	s_cbranch_execnz .LBB21_1923
	s_branch .LBB21_1924
.LBB21_3973:
	s_movk_i32 s4, 0x80
	v_cmp_eq_u16_sdwa s[12:13], v0, s4 src0_sel:BYTE_0 src1_sel:DWORD
	s_mov_b64 s[4:5], -1
                                        ; implicit-def: $sgpr10
	s_and_saveexec_b64 s[8:9], s[12:13]
; %bb.3974:
	s_mov_b32 s10, 0x7f800001
	s_xor_b64 s[4:5], exec, -1
; %bb.3975:
	s_or_b64 exec, exec, s[8:9]
	s_and_b64 s[4:5], s[4:5], exec
	s_or_saveexec_b64 s[6:7], s[6:7]
	v_mov_b32_e32 v9, s10
	s_xor_b64 exec, exec, s[6:7]
	s_cbranch_execz .LBB21_1926
.LBB21_3976:
	v_mov_b32_e32 v9, 0
	v_cmp_ne_u16_sdwa s[8:9], v0, v9 src0_sel:BYTE_0 src1_sel:DWORD
	s_andn2_b64 s[4:5], s[4:5], exec
	s_and_b64 s[8:9], s[8:9], exec
	s_or_b64 s[4:5], s[4:5], s[8:9]
	s_or_b64 exec, exec, s[6:7]
	s_and_saveexec_b64 s[6:7], s[4:5]
	s_cbranch_execnz .LBB21_1927
	s_branch .LBB21_1928
.LBB21_3977:
	s_movk_i32 s4, 0x80
	v_cmp_eq_u16_sdwa s[12:13], v9, s4 src0_sel:BYTE_0 src1_sel:DWORD
	s_mov_b64 s[4:5], -1
                                        ; implicit-def: $sgpr10
	s_and_saveexec_b64 s[8:9], s[12:13]
; %bb.3978:
	s_mov_b32 s10, 0x7f800001
	s_xor_b64 s[4:5], exec, -1
; %bb.3979:
	s_or_b64 exec, exec, s[8:9]
	s_and_b64 s[4:5], s[4:5], exec
	s_or_saveexec_b64 s[6:7], s[6:7]
	v_mov_b32_e32 v8, s10
	s_xor_b64 exec, exec, s[6:7]
	s_cbranch_execz .LBB21_1930
.LBB21_3980:
	v_mov_b32_e32 v8, 0
	v_cmp_ne_u16_sdwa s[8:9], v9, v8 src0_sel:BYTE_0 src1_sel:DWORD
	s_andn2_b64 s[4:5], s[4:5], exec
	s_and_b64 s[8:9], s[8:9], exec
	s_or_b64 s[4:5], s[4:5], s[8:9]
	s_or_b64 exec, exec, s[6:7]
	s_and_saveexec_b64 s[6:7], s[4:5]
	s_cbranch_execnz .LBB21_1931
	s_branch .LBB21_1932
.LBB21_3981:
	s_movk_i32 s4, 0x80
	v_cmp_eq_u16_sdwa s[12:13], v9, s4 src0_sel:BYTE_0 src1_sel:DWORD
	s_mov_b64 s[4:5], -1
                                        ; implicit-def: $sgpr10
	s_and_saveexec_b64 s[8:9], s[12:13]
; %bb.3982:
	s_mov_b32 s10, 0x7f800001
	s_xor_b64 s[4:5], exec, -1
; %bb.3983:
	s_or_b64 exec, exec, s[8:9]
	s_and_b64 s[4:5], s[4:5], exec
	s_or_saveexec_b64 s[6:7], s[6:7]
	v_mov_b32_e32 v10, s10
	s_xor_b64 exec, exec, s[6:7]
	s_cbranch_execz .LBB21_1934
.LBB21_3984:
	v_mov_b32_e32 v10, 0
	v_cmp_ne_u16_sdwa s[8:9], v9, v10 src0_sel:BYTE_0 src1_sel:DWORD
	s_andn2_b64 s[4:5], s[4:5], exec
	s_and_b64 s[8:9], s[8:9], exec
	s_or_b64 s[4:5], s[4:5], s[8:9]
	s_or_b64 exec, exec, s[6:7]
	s_and_saveexec_b64 s[6:7], s[4:5]
	s_cbranch_execnz .LBB21_1935
	s_branch .LBB21_1936
.LBB21_3985:
	s_movk_i32 s4, 0x80
	v_cmp_eq_u16_e32 vcc, s4, v9
	s_mov_b64 s[4:5], -1
                                        ; implicit-def: $sgpr10
	s_and_saveexec_b64 s[8:9], vcc
; %bb.3986:
	s_mov_b32 s10, 0x7f800001
	s_xor_b64 s[4:5], exec, -1
; %bb.3987:
	s_or_b64 exec, exec, s[8:9]
	s_and_b64 s[4:5], s[4:5], exec
                                        ; implicit-def: $vgpr9
	s_or_saveexec_b64 s[6:7], s[6:7]
	v_mov_b32_e32 v8, s10
	s_xor_b64 exec, exec, s[6:7]
	s_cbranch_execz .LBB21_1938
.LBB21_3988:
	v_cmp_ne_u16_e32 vcc, 0, v9
	s_andn2_b64 s[4:5], s[4:5], exec
	s_and_b64 s[8:9], vcc, exec
	v_mov_b32_e32 v8, 0
	s_or_b64 s[4:5], s[4:5], s[8:9]
	s_or_b64 exec, exec, s[6:7]
	s_and_saveexec_b64 s[6:7], s[4:5]
	s_cbranch_execnz .LBB21_1939
	s_branch .LBB21_1940
.LBB21_3989:
	s_movk_i32 s4, 0x80
	v_cmp_eq_u16_e32 vcc, s4, v9
	s_mov_b64 s[4:5], -1
                                        ; implicit-def: $sgpr10
	s_and_saveexec_b64 s[8:9], vcc
; %bb.3990:
	s_mov_b32 s10, 0x7f800001
	s_xor_b64 s[4:5], exec, -1
; %bb.3991:
	s_or_b64 exec, exec, s[8:9]
	s_and_b64 s[4:5], s[4:5], exec
                                        ; implicit-def: $vgpr9
	s_or_saveexec_b64 s[6:7], s[6:7]
	v_mov_b32_e32 v10, s10
	s_xor_b64 exec, exec, s[6:7]
	s_cbranch_execz .LBB21_1942
.LBB21_3992:
	v_cmp_ne_u16_e32 vcc, 0, v9
	s_andn2_b64 s[4:5], s[4:5], exec
	s_and_b64 s[8:9], vcc, exec
	v_mov_b32_e32 v10, 0
	s_or_b64 s[4:5], s[4:5], s[8:9]
	s_or_b64 exec, exec, s[6:7]
	s_and_saveexec_b64 s[6:7], s[4:5]
	s_cbranch_execnz .LBB21_1943
	s_branch .LBB21_1944
.LBB21_3993:
	s_movk_i32 s4, 0x80
	v_cmp_eq_u16_sdwa s[12:13], v4, s4 src0_sel:BYTE_3 src1_sel:DWORD
	s_mov_b64 s[4:5], -1
                                        ; implicit-def: $sgpr10
	s_and_saveexec_b64 s[8:9], s[12:13]
; %bb.3994:
	s_mov_b32 s10, 0x7f800001
	s_xor_b64 s[4:5], exec, -1
; %bb.3995:
	s_or_b64 exec, exec, s[8:9]
	s_and_b64 s[4:5], s[4:5], exec
	s_or_saveexec_b64 s[6:7], s[6:7]
	v_mov_b32_e32 v8, s10
	s_xor_b64 exec, exec, s[6:7]
	s_cbranch_execz .LBB21_1946
.LBB21_3996:
	v_mov_b32_e32 v8, 0
	v_cmp_ne_u16_sdwa s[8:9], v4, v8 src0_sel:BYTE_3 src1_sel:DWORD
	s_andn2_b64 s[4:5], s[4:5], exec
	s_and_b64 s[8:9], s[8:9], exec
	s_or_b64 s[4:5], s[4:5], s[8:9]
	s_or_b64 exec, exec, s[6:7]
	s_and_saveexec_b64 s[6:7], s[4:5]
	s_cbranch_execnz .LBB21_1947
	s_branch .LBB21_1948
.LBB21_3997:
	s_movk_i32 s4, 0x80
	v_cmp_eq_u16_sdwa s[12:13], v0, s4 src0_sel:BYTE_3 src1_sel:DWORD
	s_mov_b64 s[4:5], -1
                                        ; implicit-def: $sgpr10
	s_and_saveexec_b64 s[8:9], s[12:13]
; %bb.3998:
	s_mov_b32 s10, 0x7f800001
	s_xor_b64 s[4:5], exec, -1
; %bb.3999:
	s_or_b64 exec, exec, s[8:9]
	s_and_b64 s[4:5], s[4:5], exec
	s_or_saveexec_b64 s[6:7], s[6:7]
	v_mov_b32_e32 v4, s10
	s_xor_b64 exec, exec, s[6:7]
	s_cbranch_execz .LBB21_1950
.LBB21_4000:
	v_mov_b32_e32 v4, 0
	v_cmp_ne_u16_sdwa s[8:9], v0, v4 src0_sel:BYTE_3 src1_sel:DWORD
	s_andn2_b64 s[4:5], s[4:5], exec
	s_and_b64 s[8:9], s[8:9], exec
	s_or_b64 s[4:5], s[4:5], s[8:9]
	s_or_b64 exec, exec, s[6:7]
	s_and_saveexec_b64 s[6:7], s[4:5]
	s_cbranch_execnz .LBB21_1951
	s_branch .LBB21_1952
.LBB21_4001:
	s_movk_i32 s4, 0x80
	v_cmp_eq_u16_sdwa s[12:13], v5, s4 src0_sel:BYTE_0 src1_sel:DWORD
	s_mov_b64 s[4:5], -1
                                        ; implicit-def: $sgpr10
	s_and_saveexec_b64 s[8:9], s[12:13]
; %bb.4002:
	s_mov_b32 s10, 0x7f800001
	s_xor_b64 s[4:5], exec, -1
; %bb.4003:
	s_or_b64 exec, exec, s[8:9]
	s_and_b64 s[4:5], s[4:5], exec
	s_or_saveexec_b64 s[6:7], s[6:7]
	v_mov_b32_e32 v0, s10
	s_xor_b64 exec, exec, s[6:7]
	s_cbranch_execz .LBB21_1954
.LBB21_4004:
	v_mov_b32_e32 v0, 0
	v_cmp_ne_u16_sdwa s[8:9], v5, v0 src0_sel:BYTE_0 src1_sel:DWORD
	s_andn2_b64 s[4:5], s[4:5], exec
	s_and_b64 s[8:9], s[8:9], exec
	s_or_b64 s[4:5], s[4:5], s[8:9]
	s_or_b64 exec, exec, s[6:7]
	s_and_saveexec_b64 s[6:7], s[4:5]
	s_cbranch_execnz .LBB21_1955
	s_branch .LBB21_1956
.LBB21_4005:
	s_movk_i32 s4, 0x80
	v_cmp_eq_u16_sdwa s[12:13], v1, s4 src0_sel:BYTE_0 src1_sel:DWORD
	s_mov_b64 s[4:5], -1
                                        ; implicit-def: $sgpr10
	s_and_saveexec_b64 s[8:9], s[12:13]
; %bb.4006:
	s_mov_b32 s10, 0x7f800001
	s_xor_b64 s[4:5], exec, -1
; %bb.4007:
	s_or_b64 exec, exec, s[8:9]
	s_and_b64 s[4:5], s[4:5], exec
	s_or_saveexec_b64 s[6:7], s[6:7]
	v_mov_b32_e32 v4, s10
	s_xor_b64 exec, exec, s[6:7]
	s_cbranch_execz .LBB21_1958
.LBB21_4008:
	v_mov_b32_e32 v4, 0
	v_cmp_ne_u16_sdwa s[8:9], v1, v4 src0_sel:BYTE_0 src1_sel:DWORD
	s_andn2_b64 s[4:5], s[4:5], exec
	s_and_b64 s[8:9], s[8:9], exec
	s_or_b64 s[4:5], s[4:5], s[8:9]
	s_or_b64 exec, exec, s[6:7]
	s_and_saveexec_b64 s[6:7], s[4:5]
	s_cbranch_execnz .LBB21_1959
	s_branch .LBB21_1960
.LBB21_4009:
	s_movk_i32 s4, 0x80
	v_cmp_eq_u16_sdwa s[12:13], v4, s4 src0_sel:BYTE_0 src1_sel:DWORD
	s_mov_b64 s[4:5], -1
                                        ; implicit-def: $sgpr10
	s_and_saveexec_b64 s[8:9], s[12:13]
; %bb.4010:
	s_mov_b32 s10, 0x7f800001
	s_xor_b64 s[4:5], exec, -1
; %bb.4011:
	s_or_b64 exec, exec, s[8:9]
	s_and_b64 s[4:5], s[4:5], exec
	s_or_saveexec_b64 s[6:7], s[6:7]
	v_mov_b32_e32 v0, s10
	s_xor_b64 exec, exec, s[6:7]
	s_cbranch_execz .LBB21_1962
.LBB21_4012:
	v_mov_b32_e32 v0, 0
	v_cmp_ne_u16_sdwa s[8:9], v4, v0 src0_sel:BYTE_0 src1_sel:DWORD
	s_andn2_b64 s[4:5], s[4:5], exec
	s_and_b64 s[8:9], s[8:9], exec
	s_or_b64 s[4:5], s[4:5], s[8:9]
	s_or_b64 exec, exec, s[6:7]
	s_and_saveexec_b64 s[6:7], s[4:5]
	s_cbranch_execnz .LBB21_1963
	s_branch .LBB21_1964
.LBB21_4013:
	s_movk_i32 s4, 0x80
	v_cmp_eq_u16_sdwa s[12:13], v4, s4 src0_sel:BYTE_0 src1_sel:DWORD
	s_mov_b64 s[4:5], -1
                                        ; implicit-def: $sgpr10
	s_and_saveexec_b64 s[8:9], s[12:13]
; %bb.4014:
	s_mov_b32 s10, 0x7f800001
	s_xor_b64 s[4:5], exec, -1
; %bb.4015:
	s_or_b64 exec, exec, s[8:9]
	s_and_b64 s[4:5], s[4:5], exec
	s_or_saveexec_b64 s[6:7], s[6:7]
	v_mov_b32_e32 v8, s10
	s_xor_b64 exec, exec, s[6:7]
	s_cbranch_execz .LBB21_1966
.LBB21_4016:
	v_mov_b32_e32 v8, 0
	v_cmp_ne_u16_sdwa s[8:9], v4, v8 src0_sel:BYTE_0 src1_sel:DWORD
	s_andn2_b64 s[4:5], s[4:5], exec
	s_and_b64 s[8:9], s[8:9], exec
	s_or_b64 s[4:5], s[4:5], s[8:9]
	s_or_b64 exec, exec, s[6:7]
	s_and_saveexec_b64 s[6:7], s[4:5]
	s_cbranch_execnz .LBB21_1967
	s_branch .LBB21_1968
.LBB21_4017:
	s_movk_i32 s4, 0x80
	v_cmp_eq_u16_e32 vcc, s4, v4
	s_mov_b64 s[4:5], -1
                                        ; implicit-def: $sgpr10
	s_and_saveexec_b64 s[8:9], vcc
; %bb.4018:
	s_mov_b32 s10, 0x7f800001
	s_xor_b64 s[4:5], exec, -1
; %bb.4019:
	s_or_b64 exec, exec, s[8:9]
	s_and_b64 s[4:5], s[4:5], exec
                                        ; implicit-def: $vgpr4
	s_or_saveexec_b64 s[6:7], s[6:7]
	v_mov_b32_e32 v0, s10
	s_xor_b64 exec, exec, s[6:7]
	s_cbranch_execz .LBB21_1970
.LBB21_4020:
	v_cmp_ne_u16_e32 vcc, 0, v4
	s_andn2_b64 s[4:5], s[4:5], exec
	s_and_b64 s[8:9], vcc, exec
	v_mov_b32_e32 v0, 0
	s_or_b64 s[4:5], s[4:5], s[8:9]
	s_or_b64 exec, exec, s[6:7]
	s_and_saveexec_b64 s[6:7], s[4:5]
	s_cbranch_execnz .LBB21_1971
	s_branch .LBB21_1972
.LBB21_4021:
	s_movk_i32 s4, 0x80
	v_cmp_eq_u16_e32 vcc, s4, v4
	s_mov_b64 s[4:5], -1
                                        ; implicit-def: $sgpr10
	s_and_saveexec_b64 s[8:9], vcc
; %bb.4022:
	s_mov_b32 s10, 0x7f800001
	s_xor_b64 s[4:5], exec, -1
; %bb.4023:
	s_or_b64 exec, exec, s[8:9]
	s_and_b64 s[4:5], s[4:5], exec
                                        ; implicit-def: $vgpr4
	s_or_saveexec_b64 s[6:7], s[6:7]
	v_mov_b32_e32 v8, s10
	s_xor_b64 exec, exec, s[6:7]
	s_cbranch_execz .LBB21_1974
.LBB21_4024:
	v_cmp_ne_u16_e32 vcc, 0, v4
	s_andn2_b64 s[4:5], s[4:5], exec
	s_and_b64 s[8:9], vcc, exec
	v_mov_b32_e32 v8, 0
	s_or_b64 s[4:5], s[4:5], s[8:9]
	s_or_b64 exec, exec, s[6:7]
	s_and_saveexec_b64 s[6:7], s[4:5]
	s_cbranch_execnz .LBB21_1975
	s_branch .LBB21_1976
.LBB21_4025:
	s_movk_i32 s4, 0x80
	v_cmp_eq_u16_sdwa s[12:13], v5, s4 src0_sel:BYTE_3 src1_sel:DWORD
	s_mov_b64 s[4:5], -1
                                        ; implicit-def: $sgpr10
	s_and_saveexec_b64 s[8:9], s[12:13]
; %bb.4026:
	s_mov_b32 s10, 0x7f800001
	s_xor_b64 s[4:5], exec, -1
; %bb.4027:
	s_or_b64 exec, exec, s[8:9]
	s_and_b64 s[4:5], s[4:5], exec
	s_or_saveexec_b64 s[6:7], s[6:7]
	v_mov_b32_e32 v0, s10
	s_xor_b64 exec, exec, s[6:7]
	s_cbranch_execz .LBB21_1978
.LBB21_4028:
	v_mov_b32_e32 v0, 0
	v_cmp_ne_u16_sdwa s[8:9], v5, v0 src0_sel:BYTE_3 src1_sel:DWORD
	s_andn2_b64 s[4:5], s[4:5], exec
	s_and_b64 s[8:9], s[8:9], exec
	s_or_b64 s[4:5], s[4:5], s[8:9]
	s_or_b64 exec, exec, s[6:7]
	s_and_saveexec_b64 s[6:7], s[4:5]
	s_cbranch_execnz .LBB21_1979
	s_branch .LBB21_1980
.LBB21_4029:
	s_movk_i32 s4, 0x80
	v_cmp_eq_u16_sdwa s[12:13], v1, s4 src0_sel:BYTE_3 src1_sel:DWORD
	s_mov_b64 s[4:5], -1
                                        ; implicit-def: $sgpr10
	s_and_saveexec_b64 s[8:9], s[12:13]
; %bb.4030:
	s_mov_b32 s10, 0x7f800001
	s_xor_b64 s[4:5], exec, -1
; %bb.4031:
	s_or_b64 exec, exec, s[8:9]
	s_and_b64 s[4:5], s[4:5], exec
	s_or_saveexec_b64 s[6:7], s[6:7]
	v_mov_b32_e32 v4, s10
	s_xor_b64 exec, exec, s[6:7]
	s_cbranch_execz .LBB21_1982
.LBB21_4032:
	v_mov_b32_e32 v4, 0
	v_cmp_ne_u16_sdwa s[8:9], v1, v4 src0_sel:BYTE_3 src1_sel:DWORD
	s_andn2_b64 s[4:5], s[4:5], exec
	s_and_b64 s[8:9], s[8:9], exec
	s_or_b64 s[4:5], s[4:5], s[8:9]
	s_or_b64 exec, exec, s[6:7]
	s_and_saveexec_b64 s[6:7], s[4:5]
	s_cbranch_execnz .LBB21_1983
	s_branch .LBB21_1984
.LBB21_4033:
	s_movk_i32 s4, 0x80
	v_cmp_eq_u16_sdwa s[12:13], v6, s4 src0_sel:BYTE_0 src1_sel:DWORD
	s_mov_b64 s[4:5], -1
                                        ; implicit-def: $sgpr10
	s_and_saveexec_b64 s[8:9], s[12:13]
; %bb.4034:
	s_mov_b32 s10, 0x7f800001
	s_xor_b64 s[4:5], exec, -1
; %bb.4035:
	s_or_b64 exec, exec, s[8:9]
	s_and_b64 s[4:5], s[4:5], exec
	s_or_saveexec_b64 s[6:7], s[6:7]
	v_mov_b32_e32 v0, s10
	s_xor_b64 exec, exec, s[6:7]
	s_cbranch_execz .LBB21_1986
.LBB21_4036:
	v_mov_b32_e32 v0, 0
	v_cmp_ne_u16_sdwa s[8:9], v6, v0 src0_sel:BYTE_0 src1_sel:DWORD
	s_andn2_b64 s[4:5], s[4:5], exec
	s_and_b64 s[8:9], s[8:9], exec
	s_or_b64 s[4:5], s[4:5], s[8:9]
	s_or_b64 exec, exec, s[6:7]
	s_and_saveexec_b64 s[6:7], s[4:5]
	s_cbranch_execnz .LBB21_1987
	s_branch .LBB21_1988
.LBB21_4037:
	s_movk_i32 s4, 0x80
	v_cmp_eq_u16_sdwa s[12:13], v2, s4 src0_sel:BYTE_0 src1_sel:DWORD
	s_mov_b64 s[4:5], -1
                                        ; implicit-def: $sgpr10
	s_and_saveexec_b64 s[8:9], s[12:13]
; %bb.4038:
	s_mov_b32 s10, 0x7f800001
	s_xor_b64 s[4:5], exec, -1
; %bb.4039:
	s_or_b64 exec, exec, s[8:9]
	s_and_b64 s[4:5], s[4:5], exec
	s_or_saveexec_b64 s[6:7], s[6:7]
	v_mov_b32_e32 v1, s10
	s_xor_b64 exec, exec, s[6:7]
	s_cbranch_execz .LBB21_1990
.LBB21_4040:
	v_mov_b32_e32 v1, 0
	v_cmp_ne_u16_sdwa s[8:9], v2, v1 src0_sel:BYTE_0 src1_sel:DWORD
	s_andn2_b64 s[4:5], s[4:5], exec
	s_and_b64 s[8:9], s[8:9], exec
	s_or_b64 s[4:5], s[4:5], s[8:9]
	s_or_b64 exec, exec, s[6:7]
	s_and_saveexec_b64 s[6:7], s[4:5]
	s_cbranch_execnz .LBB21_1991
	s_branch .LBB21_1992
.LBB21_4041:
	s_movk_i32 s4, 0x80
	v_cmp_eq_u16_sdwa s[12:13], v1, s4 src0_sel:BYTE_0 src1_sel:DWORD
	s_mov_b64 s[4:5], -1
                                        ; implicit-def: $sgpr10
	s_and_saveexec_b64 s[8:9], s[12:13]
; %bb.4042:
	s_mov_b32 s10, 0x7f800001
	s_xor_b64 s[4:5], exec, -1
; %bb.4043:
	s_or_b64 exec, exec, s[8:9]
	s_and_b64 s[4:5], s[4:5], exec
	s_or_saveexec_b64 s[6:7], s[6:7]
	v_mov_b32_e32 v0, s10
	s_xor_b64 exec, exec, s[6:7]
	s_cbranch_execz .LBB21_1994
.LBB21_4044:
	v_mov_b32_e32 v0, 0
	v_cmp_ne_u16_sdwa s[8:9], v1, v0 src0_sel:BYTE_0 src1_sel:DWORD
	s_andn2_b64 s[4:5], s[4:5], exec
	s_and_b64 s[8:9], s[8:9], exec
	s_or_b64 s[4:5], s[4:5], s[8:9]
	s_or_b64 exec, exec, s[6:7]
	s_and_saveexec_b64 s[6:7], s[4:5]
	s_cbranch_execnz .LBB21_1995
	s_branch .LBB21_1996
.LBB21_4045:
	s_movk_i32 s4, 0x80
	v_cmp_eq_u16_sdwa s[12:13], v1, s4 src0_sel:BYTE_0 src1_sel:DWORD
	s_mov_b64 s[4:5], -1
                                        ; implicit-def: $sgpr10
	s_and_saveexec_b64 s[8:9], s[12:13]
; %bb.4046:
	s_mov_b32 s10, 0x7f800001
	s_xor_b64 s[4:5], exec, -1
; %bb.4047:
	s_or_b64 exec, exec, s[8:9]
	s_and_b64 s[4:5], s[4:5], exec
	s_or_saveexec_b64 s[6:7], s[6:7]
	v_mov_b32_e32 v4, s10
	s_xor_b64 exec, exec, s[6:7]
	s_cbranch_execz .LBB21_1998
.LBB21_4048:
	v_mov_b32_e32 v4, 0
	v_cmp_ne_u16_sdwa s[8:9], v1, v4 src0_sel:BYTE_0 src1_sel:DWORD
	s_andn2_b64 s[4:5], s[4:5], exec
	s_and_b64 s[8:9], s[8:9], exec
	s_or_b64 s[4:5], s[4:5], s[8:9]
	s_or_b64 exec, exec, s[6:7]
	s_and_saveexec_b64 s[6:7], s[4:5]
	s_cbranch_execnz .LBB21_1999
	s_branch .LBB21_2000
.LBB21_4049:
	s_movk_i32 s4, 0x80
	v_cmp_eq_u16_e32 vcc, s4, v1
	s_mov_b64 s[4:5], -1
                                        ; implicit-def: $sgpr10
	s_and_saveexec_b64 s[8:9], vcc
; %bb.4050:
	s_mov_b32 s10, 0x7f800001
	s_xor_b64 s[4:5], exec, -1
; %bb.4051:
	s_or_b64 exec, exec, s[8:9]
	s_and_b64 s[4:5], s[4:5], exec
                                        ; implicit-def: $vgpr1
	s_or_saveexec_b64 s[6:7], s[6:7]
	v_mov_b32_e32 v0, s10
	s_xor_b64 exec, exec, s[6:7]
	s_cbranch_execz .LBB21_2002
.LBB21_4052:
	v_cmp_ne_u16_e32 vcc, 0, v1
	s_andn2_b64 s[4:5], s[4:5], exec
	s_and_b64 s[8:9], vcc, exec
	v_mov_b32_e32 v0, 0
	s_or_b64 s[4:5], s[4:5], s[8:9]
	s_or_b64 exec, exec, s[6:7]
	s_and_saveexec_b64 s[6:7], s[4:5]
	s_cbranch_execnz .LBB21_2003
	s_branch .LBB21_2004
.LBB21_4053:
	s_movk_i32 s4, 0x80
	v_cmp_eq_u16_e32 vcc, s4, v1
	s_mov_b64 s[4:5], -1
                                        ; implicit-def: $sgpr10
	s_and_saveexec_b64 s[8:9], vcc
; %bb.4054:
	s_mov_b32 s10, 0x7f800001
	s_xor_b64 s[4:5], exec, -1
; %bb.4055:
	s_or_b64 exec, exec, s[8:9]
	s_and_b64 s[4:5], s[4:5], exec
                                        ; implicit-def: $vgpr1
	s_or_saveexec_b64 s[6:7], s[6:7]
	v_mov_b32_e32 v4, s10
	s_xor_b64 exec, exec, s[6:7]
	s_cbranch_execz .LBB21_2006
.LBB21_4056:
	v_cmp_ne_u16_e32 vcc, 0, v1
	s_andn2_b64 s[4:5], s[4:5], exec
	s_and_b64 s[8:9], vcc, exec
	v_mov_b32_e32 v4, 0
	s_or_b64 s[4:5], s[4:5], s[8:9]
	s_or_b64 exec, exec, s[6:7]
	s_and_saveexec_b64 s[6:7], s[4:5]
	s_cbranch_execnz .LBB21_2007
	s_branch .LBB21_2008
.LBB21_4057:
	s_movk_i32 s4, 0x80
	v_cmp_eq_u16_sdwa s[12:13], v6, s4 src0_sel:BYTE_3 src1_sel:DWORD
	s_mov_b64 s[4:5], -1
                                        ; implicit-def: $sgpr10
	s_and_saveexec_b64 s[8:9], s[12:13]
; %bb.4058:
	s_mov_b32 s10, 0x7f800001
	s_xor_b64 s[4:5], exec, -1
; %bb.4059:
	s_or_b64 exec, exec, s[8:9]
	s_and_b64 s[4:5], s[4:5], exec
	s_or_saveexec_b64 s[6:7], s[6:7]
	v_mov_b32_e32 v0, s10
	s_xor_b64 exec, exec, s[6:7]
	s_cbranch_execz .LBB21_2010
.LBB21_4060:
	v_mov_b32_e32 v0, 0
	v_cmp_ne_u16_sdwa s[8:9], v6, v0 src0_sel:BYTE_3 src1_sel:DWORD
	s_andn2_b64 s[4:5], s[4:5], exec
	s_and_b64 s[8:9], s[8:9], exec
	s_or_b64 s[4:5], s[4:5], s[8:9]
	s_or_b64 exec, exec, s[6:7]
	s_and_saveexec_b64 s[6:7], s[4:5]
	s_cbranch_execnz .LBB21_2011
	s_branch .LBB21_2012
.LBB21_4061:
	s_movk_i32 s4, 0x80
	v_cmp_eq_u16_sdwa s[12:13], v2, s4 src0_sel:BYTE_3 src1_sel:DWORD
	s_mov_b64 s[4:5], -1
                                        ; implicit-def: $sgpr10
	s_and_saveexec_b64 s[8:9], s[12:13]
; %bb.4062:
	s_mov_b32 s10, 0x7f800001
	s_xor_b64 s[4:5], exec, -1
; %bb.4063:
	s_or_b64 exec, exec, s[8:9]
	s_and_b64 s[4:5], s[4:5], exec
	s_or_saveexec_b64 s[6:7], s[6:7]
	v_mov_b32_e32 v1, s10
	s_xor_b64 exec, exec, s[6:7]
	s_cbranch_execz .LBB21_2014
.LBB21_4064:
	v_mov_b32_e32 v1, 0
	v_cmp_ne_u16_sdwa s[8:9], v2, v1 src0_sel:BYTE_3 src1_sel:DWORD
	s_andn2_b64 s[4:5], s[4:5], exec
	s_and_b64 s[8:9], s[8:9], exec
	s_or_b64 s[4:5], s[4:5], s[8:9]
	s_or_b64 exec, exec, s[6:7]
	s_and_saveexec_b64 s[6:7], s[4:5]
	s_cbranch_execnz .LBB21_2015
	s_branch .LBB21_2016
.LBB21_4065:
	s_movk_i32 s4, 0x80
	v_cmp_eq_u16_sdwa s[12:13], v7, s4 src0_sel:BYTE_0 src1_sel:DWORD
	s_mov_b64 s[4:5], -1
                                        ; implicit-def: $sgpr10
	s_and_saveexec_b64 s[8:9], s[12:13]
; %bb.4066:
	s_mov_b32 s10, 0x7f800001
	s_xor_b64 s[4:5], exec, -1
; %bb.4067:
	s_or_b64 exec, exec, s[8:9]
	s_and_b64 s[4:5], s[4:5], exec
	s_or_saveexec_b64 s[6:7], s[6:7]
	v_mov_b32_e32 v0, s10
	s_xor_b64 exec, exec, s[6:7]
	s_cbranch_execz .LBB21_2018
.LBB21_4068:
	v_mov_b32_e32 v0, 0
	v_cmp_ne_u16_sdwa s[8:9], v7, v0 src0_sel:BYTE_0 src1_sel:DWORD
	s_andn2_b64 s[4:5], s[4:5], exec
	s_and_b64 s[8:9], s[8:9], exec
	s_or_b64 s[4:5], s[4:5], s[8:9]
	s_or_b64 exec, exec, s[6:7]
	s_and_saveexec_b64 s[6:7], s[4:5]
	s_cbranch_execnz .LBB21_2019
	s_branch .LBB21_2020
.LBB21_4069:
	s_movk_i32 s4, 0x80
	v_cmp_eq_u16_sdwa s[12:13], v3, s4 src0_sel:BYTE_0 src1_sel:DWORD
	s_mov_b64 s[4:5], -1
                                        ; implicit-def: $sgpr10
	s_and_saveexec_b64 s[8:9], s[12:13]
; %bb.4070:
	s_mov_b32 s10, 0x7f800001
	s_xor_b64 s[4:5], exec, -1
; %bb.4071:
	s_or_b64 exec, exec, s[8:9]
	s_and_b64 s[4:5], s[4:5], exec
	s_or_saveexec_b64 s[6:7], s[6:7]
	v_mov_b32_e32 v1, s10
	s_xor_b64 exec, exec, s[6:7]
	s_cbranch_execz .LBB21_2022
.LBB21_4072:
	v_mov_b32_e32 v1, 0
	v_cmp_ne_u16_sdwa s[8:9], v3, v1 src0_sel:BYTE_0 src1_sel:DWORD
	s_andn2_b64 s[4:5], s[4:5], exec
	s_and_b64 s[8:9], s[8:9], exec
	s_or_b64 s[4:5], s[4:5], s[8:9]
	s_or_b64 exec, exec, s[6:7]
	s_and_saveexec_b64 s[6:7], s[4:5]
	s_cbranch_execnz .LBB21_2023
	s_branch .LBB21_2024
.LBB21_4073:
	s_movk_i32 s4, 0x80
	v_cmp_eq_u16_sdwa s[12:13], v1, s4 src0_sel:BYTE_0 src1_sel:DWORD
	s_mov_b64 s[4:5], -1
                                        ; implicit-def: $sgpr10
	s_and_saveexec_b64 s[8:9], s[12:13]
; %bb.4074:
	s_mov_b32 s10, 0x7f800001
	s_xor_b64 s[4:5], exec, -1
; %bb.4075:
	s_or_b64 exec, exec, s[8:9]
	s_and_b64 s[4:5], s[4:5], exec
	s_or_saveexec_b64 s[6:7], s[6:7]
	v_mov_b32_e32 v0, s10
	s_xor_b64 exec, exec, s[6:7]
	s_cbranch_execz .LBB21_2026
.LBB21_4076:
	v_mov_b32_e32 v0, 0
	v_cmp_ne_u16_sdwa s[8:9], v1, v0 src0_sel:BYTE_0 src1_sel:DWORD
	s_andn2_b64 s[4:5], s[4:5], exec
	s_and_b64 s[8:9], s[8:9], exec
	s_or_b64 s[4:5], s[4:5], s[8:9]
	s_or_b64 exec, exec, s[6:7]
	s_and_saveexec_b64 s[6:7], s[4:5]
	s_cbranch_execnz .LBB21_2027
	s_branch .LBB21_2028
.LBB21_4077:
	s_movk_i32 s4, 0x80
	v_cmp_eq_u16_sdwa s[12:13], v1, s4 src0_sel:BYTE_0 src1_sel:DWORD
	s_mov_b64 s[4:5], -1
                                        ; implicit-def: $sgpr10
	s_and_saveexec_b64 s[8:9], s[12:13]
; %bb.4078:
	s_mov_b32 s10, 0x7f800001
	s_xor_b64 s[4:5], exec, -1
; %bb.4079:
	s_or_b64 exec, exec, s[8:9]
	s_and_b64 s[4:5], s[4:5], exec
	s_or_saveexec_b64 s[6:7], s[6:7]
	v_mov_b32_e32 v2, s10
	s_xor_b64 exec, exec, s[6:7]
	s_cbranch_execz .LBB21_2030
.LBB21_4080:
	v_mov_b32_e32 v2, 0
	v_cmp_ne_u16_sdwa s[8:9], v1, v2 src0_sel:BYTE_0 src1_sel:DWORD
	s_andn2_b64 s[4:5], s[4:5], exec
	s_and_b64 s[8:9], s[8:9], exec
	s_or_b64 s[4:5], s[4:5], s[8:9]
	s_or_b64 exec, exec, s[6:7]
	s_and_saveexec_b64 s[6:7], s[4:5]
	s_cbranch_execnz .LBB21_2031
	s_branch .LBB21_2032
.LBB21_4081:
	s_movk_i32 s4, 0x80
	v_cmp_eq_u16_e32 vcc, s4, v1
	s_mov_b64 s[4:5], -1
                                        ; implicit-def: $sgpr10
	s_and_saveexec_b64 s[8:9], vcc
; %bb.4082:
	s_mov_b32 s10, 0x7f800001
	s_xor_b64 s[4:5], exec, -1
; %bb.4083:
	s_or_b64 exec, exec, s[8:9]
	s_and_b64 s[4:5], s[4:5], exec
                                        ; implicit-def: $vgpr1
	s_or_saveexec_b64 s[6:7], s[6:7]
	v_mov_b32_e32 v0, s10
	s_xor_b64 exec, exec, s[6:7]
	s_cbranch_execz .LBB21_2034
.LBB21_4084:
	v_cmp_ne_u16_e32 vcc, 0, v1
	s_andn2_b64 s[4:5], s[4:5], exec
	s_and_b64 s[8:9], vcc, exec
	v_mov_b32_e32 v0, 0
	s_or_b64 s[4:5], s[4:5], s[8:9]
	s_or_b64 exec, exec, s[6:7]
	s_and_saveexec_b64 s[6:7], s[4:5]
	s_cbranch_execnz .LBB21_2035
	s_branch .LBB21_2036
.LBB21_4085:
	s_movk_i32 s4, 0x80
	v_cmp_eq_u16_e32 vcc, s4, v1
	s_mov_b64 s[4:5], -1
                                        ; implicit-def: $sgpr10
	s_and_saveexec_b64 s[8:9], vcc
; %bb.4086:
	s_mov_b32 s10, 0x7f800001
	s_xor_b64 s[4:5], exec, -1
; %bb.4087:
	s_or_b64 exec, exec, s[8:9]
	s_and_b64 s[4:5], s[4:5], exec
                                        ; implicit-def: $vgpr1
	s_or_saveexec_b64 s[6:7], s[6:7]
	v_mov_b32_e32 v2, s10
	s_xor_b64 exec, exec, s[6:7]
	s_cbranch_execz .LBB21_2038
.LBB21_4088:
	v_cmp_ne_u16_e32 vcc, 0, v1
	s_andn2_b64 s[4:5], s[4:5], exec
	s_and_b64 s[8:9], vcc, exec
	v_mov_b32_e32 v2, 0
	s_or_b64 s[4:5], s[4:5], s[8:9]
	s_or_b64 exec, exec, s[6:7]
	s_and_saveexec_b64 s[6:7], s[4:5]
	s_cbranch_execnz .LBB21_2039
	s_branch .LBB21_2040
.LBB21_4089:
	s_movk_i32 s4, 0x80
	v_cmp_eq_u16_sdwa s[12:13], v7, s4 src0_sel:BYTE_3 src1_sel:DWORD
	s_mov_b64 s[4:5], -1
                                        ; implicit-def: $sgpr10
	s_and_saveexec_b64 s[8:9], s[12:13]
; %bb.4090:
	s_mov_b32 s10, 0x7f800001
	s_xor_b64 s[4:5], exec, -1
; %bb.4091:
	s_or_b64 exec, exec, s[8:9]
	s_and_b64 s[4:5], s[4:5], exec
	s_or_saveexec_b64 s[6:7], s[6:7]
	v_mov_b32_e32 v0, s10
	s_xor_b64 exec, exec, s[6:7]
	s_cbranch_execz .LBB21_2042
.LBB21_4092:
	v_mov_b32_e32 v0, 0
	v_cmp_ne_u16_sdwa s[8:9], v7, v0 src0_sel:BYTE_3 src1_sel:DWORD
	s_andn2_b64 s[4:5], s[4:5], exec
	s_and_b64 s[8:9], s[8:9], exec
	s_or_b64 s[4:5], s[4:5], s[8:9]
	s_or_b64 exec, exec, s[6:7]
	s_and_saveexec_b64 s[6:7], s[4:5]
	s_cbranch_execnz .LBB21_2043
	s_branch .LBB21_2044
.LBB21_4093:
	s_movk_i32 s4, 0x80
	v_cmp_eq_u16_sdwa s[12:13], v3, s4 src0_sel:BYTE_3 src1_sel:DWORD
	s_mov_b64 s[4:5], -1
                                        ; implicit-def: $sgpr10
	s_and_saveexec_b64 s[8:9], s[12:13]
; %bb.4094:
	s_mov_b32 s10, 0x7f800001
	s_xor_b64 s[4:5], exec, -1
; %bb.4095:
	s_or_b64 exec, exec, s[8:9]
	s_and_b64 s[4:5], s[4:5], exec
	s_or_saveexec_b64 s[6:7], s[6:7]
	v_mov_b32_e32 v1, s10
	s_xor_b64 exec, exec, s[6:7]
	s_cbranch_execz .LBB21_2046
.LBB21_4096:
	v_mov_b32_e32 v1, 0
	v_cmp_ne_u16_sdwa s[8:9], v3, v1 src0_sel:BYTE_3 src1_sel:DWORD
	s_andn2_b64 s[4:5], s[4:5], exec
	s_and_b64 s[8:9], s[8:9], exec
	s_or_b64 s[4:5], s[4:5], s[8:9]
	s_or_b64 exec, exec, s[6:7]
	s_and_saveexec_b64 s[6:7], s[4:5]
	s_cbranch_execnz .LBB21_2047
	s_branch .LBB21_2048
.Lfunc_end21:
	.size	_ZNK2ck6detail7applierIiJLi0ELi1ELi2ELi3ELi4ELi5ELi6ELi7EEEclIZNKS_11static_fordINS_8SequenceIJLi1ELi8EEEENS5_IJLi0ELi1EEEEEclIZZNKS_52BlockwiseGemmXdlops_pipeline_bpreshuffle_bdequant_v3ILNS_26BlockGemmPipelineSchedulerE0ELi256ENS_9f8_fnuz_tENS_7pk_i4_tESC_fNS_16TensorDescriptorINS_5TupleIJNS_5EmbedINSF_IJNS_17integral_constantIiLi8EEENSH_IiLi256EEENSH_IiLi16EEEEEENSF_IJSK_NSH_IiLi128EEENSH_IiLi1EEEEEELb0EEENS_3XorINSF_IJSJ_SI_EEELb1EEENS_11PassThroughISK_EENS_7UnMergeINSF_IJSI_SN_EEELb0EEENST_ISJ_EESU_NST_ISI_EENS_21Merge_v3_division_modINSF_IJSJ_SN_EEEEESU_EEENSF_IJNS5_IJLi0EEEENS5_IJLi2ELi1EEEENS5_IJLi3EEEENS5_IJLi5EEEENS5_IJLi4EEEENS5_IJLi6EEEENS5_IJLi7EEEENS5_IJLi9ELi8EEEENS5_IJLi10EEEEEEENSF_IJNS5_IJLi1ELi2ELi3EEEENS5_IJLi4ELi5EEEES19_NS5_IJLi7ELi8EEEENS5_IJLi9EEEES1C_NS5_IJLi11EEEENS5_IJLi12EEEENS5_IJLi13EEEEEEENS5_IJLi11ELi12ELi13EEEENSH_IlLl32768EEEEENSE_INSF_IJNSV_INSF_IJSI_SN_SN_NSH_IiLi32EEEEEELb0EEEEEENSF_IJS14_EEENSF_IJNS5_IJLi1ELi2ELi3ELi4EEEEEEES1U_NSH_IlLl256EEEEENSE_INSF_IJSP_SS_SU_SX_SY_SU_SZ_S12_SU_NS10_INSF_IJSI_SK_EEEEENSV_INSF_IJSI_NSH_IiLi2EEESK_EEELb0EEEEEENSF_IJS14_S15_S16_S17_S18_S19_S1A_S1B_S1C_NS5_IJLi11ELi13EEEES1J_EEENSF_IJS1E_S1F_S19_S1G_S1H_S1C_S1I_S1J_S1K_NS5_IJLi14EEEENS5_IJLi15ELi16ELi17EEEEEEENS5_IJLi15ELi16ELi17ELi14EEEES1N_EENSE_INSF_IJS1R_NS10_ISW_EES22_EEENSF_IJS14_NS5_IJLi1ELi3EEEENS5_IJLi2EEEEEEENSF_IJS1U_S17_NS5_IJLi6ELi7ELi8EEEEEEENS5_IJLi6ELi7ELi8ELi5EEEES1W_EELi16ELi32ELi256ELi256ELi128ELi16ELi16ELi8ELi8ELi32ELb0EE3RunILb1ELNS_10TailNumberE0ENSE_INSF_IJNSG_INSF_IJiiEEENSF_IJiSN_EEELb0EEENSV_IS2N_Lb0EEENST_IiEEEEENSF_IJS14_S2E_NS5_IJLi1EEEEEEENSF_IJNS5_IJLi1ELi2EEEENS5_IJLi3ELi4EEEES17_EEENS5_IJLi3ELi5ELi4EEEElEES1O_NS_35ThreadGroupTensorSliceTransfer_v4r1INS_15ThisThreadBlockILi256EEENS_16tensor_operation12element_wise11PassThroughES35_LNS_25InMemoryDataOperationEnumE0ENS5_IJLi8ELi256ELi16EEEENS5_IJLi8ELi32ELi1EEEENS5_IJLi1ELi0ELi2EEEESC_SC_RKS2Z_KS1O_S39_NS5_IJLi0ELi1ELi2EEEELi2ELi2ELi16ELi16ELi1ELi1ELb0ELb1ELi2EiEENS_13DynamicBufferILNS_16AddressSpaceEnumE1EKSC_lLb1ELNS_22AmdBufferCoherenceEnumE0EiEENSF_IJNS3F_ILS3G_2ESC_S1N_Lb1ELS3I_0EiEES3K_EEENSF_IJiiiEEENSE_INSF_IJNSG_INSF_IJiiiiEEENSF_IJiiiSN_EEELb0EEEEEES1T_S1V_S1U_lEENS_32ThreadwiseTensorSliceTransfer_v2ISD_SD_RKS3R_KS1X_NS5_IJLi8ELi1ELi1ELi32EEEENS5_IJLi1ELi2ELi0ELi3EEEELi3ELi32ELi0ELb1ELb0ELb0EEENS3F_ILS3G_1EKSD_lLb1ELS3I_0EiEENSF_IJNS_12StaticBufferILS3G_4ESD_Li256ELb1EEES42_EEES3N_NS_25StaticBufferTupleOfVectorILS3G_4EfLi64ELi4ELb1ELb0EEEEEvRKT1_RKT2_RT3_RKT4_RT5_RKT6_RKT7_RT8_RKT9_RT10_RKT11_RT12_iENKUlT_E0_clINSH_IiLi3EEEEEDaS51_EUlS51_E_EEvS51_EUlS51_E_EEvS51_, .Lfunc_end21-_ZNK2ck6detail7applierIiJLi0ELi1ELi2ELi3ELi4ELi5ELi6ELi7EEEclIZNKS_11static_fordINS_8SequenceIJLi1ELi8EEEENS5_IJLi0ELi1EEEEEclIZZNKS_52BlockwiseGemmXdlops_pipeline_bpreshuffle_bdequant_v3ILNS_26BlockGemmPipelineSchedulerE0ELi256ENS_9f8_fnuz_tENS_7pk_i4_tESC_fNS_16TensorDescriptorINS_5TupleIJNS_5EmbedINSF_IJNS_17integral_constantIiLi8EEENSH_IiLi256EEENSH_IiLi16EEEEEENSF_IJSK_NSH_IiLi128EEENSH_IiLi1EEEEEELb0EEENS_3XorINSF_IJSJ_SI_EEELb1EEENS_11PassThroughISK_EENS_7UnMergeINSF_IJSI_SN_EEELb0EEENST_ISJ_EESU_NST_ISI_EENS_21Merge_v3_division_modINSF_IJSJ_SN_EEEEESU_EEENSF_IJNS5_IJLi0EEEENS5_IJLi2ELi1EEEENS5_IJLi3EEEENS5_IJLi5EEEENS5_IJLi4EEEENS5_IJLi6EEEENS5_IJLi7EEEENS5_IJLi9ELi8EEEENS5_IJLi10EEEEEEENSF_IJNS5_IJLi1ELi2ELi3EEEENS5_IJLi4ELi5EEEES19_NS5_IJLi7ELi8EEEENS5_IJLi9EEEES1C_NS5_IJLi11EEEENS5_IJLi12EEEENS5_IJLi13EEEEEEENS5_IJLi11ELi12ELi13EEEENSH_IlLl32768EEEEENSE_INSF_IJNSV_INSF_IJSI_SN_SN_NSH_IiLi32EEEEEELb0EEEEEENSF_IJS14_EEENSF_IJNS5_IJLi1ELi2ELi3ELi4EEEEEEES1U_NSH_IlLl256EEEEENSE_INSF_IJSP_SS_SU_SX_SY_SU_SZ_S12_SU_NS10_INSF_IJSI_SK_EEEEENSV_INSF_IJSI_NSH_IiLi2EEESK_EEELb0EEEEEENSF_IJS14_S15_S16_S17_S18_S19_S1A_S1B_S1C_NS5_IJLi11ELi13EEEES1J_EEENSF_IJS1E_S1F_S19_S1G_S1H_S1C_S1I_S1J_S1K_NS5_IJLi14EEEENS5_IJLi15ELi16ELi17EEEEEEENS5_IJLi15ELi16ELi17ELi14EEEES1N_EENSE_INSF_IJS1R_NS10_ISW_EES22_EEENSF_IJS14_NS5_IJLi1ELi3EEEENS5_IJLi2EEEEEEENSF_IJS1U_S17_NS5_IJLi6ELi7ELi8EEEEEEENS5_IJLi6ELi7ELi8ELi5EEEES1W_EELi16ELi32ELi256ELi256ELi128ELi16ELi16ELi8ELi8ELi32ELb0EE3RunILb1ELNS_10TailNumberE0ENSE_INSF_IJNSG_INSF_IJiiEEENSF_IJiSN_EEELb0EEENSV_IS2N_Lb0EEENST_IiEEEEENSF_IJS14_S2E_NS5_IJLi1EEEEEEENSF_IJNS5_IJLi1ELi2EEEENS5_IJLi3ELi4EEEES17_EEENS5_IJLi3ELi5ELi4EEEElEES1O_NS_35ThreadGroupTensorSliceTransfer_v4r1INS_15ThisThreadBlockILi256EEENS_16tensor_operation12element_wise11PassThroughES35_LNS_25InMemoryDataOperationEnumE0ENS5_IJLi8ELi256ELi16EEEENS5_IJLi8ELi32ELi1EEEENS5_IJLi1ELi0ELi2EEEESC_SC_RKS2Z_KS1O_S39_NS5_IJLi0ELi1ELi2EEEELi2ELi2ELi16ELi16ELi1ELi1ELb0ELb1ELi2EiEENS_13DynamicBufferILNS_16AddressSpaceEnumE1EKSC_lLb1ELNS_22AmdBufferCoherenceEnumE0EiEENSF_IJNS3F_ILS3G_2ESC_S1N_Lb1ELS3I_0EiEES3K_EEENSF_IJiiiEEENSE_INSF_IJNSG_INSF_IJiiiiEEENSF_IJiiiSN_EEELb0EEEEEES1T_S1V_S1U_lEENS_32ThreadwiseTensorSliceTransfer_v2ISD_SD_RKS3R_KS1X_NS5_IJLi8ELi1ELi1ELi32EEEENS5_IJLi1ELi2ELi0ELi3EEEELi3ELi32ELi0ELb1ELb0ELb0EEENS3F_ILS3G_1EKSD_lLb1ELS3I_0EiEENSF_IJNS_12StaticBufferILS3G_4ESD_Li256ELb1EEES42_EEES3N_NS_25StaticBufferTupleOfVectorILS3G_4EfLi64ELi4ELb1ELb0EEEEEvRKT1_RKT2_RT3_RKT4_RT5_RKT6_RKT7_RT8_RKT9_RT10_RKT11_RT12_iENKUlT_E0_clINSH_IiLi3EEEEEDaS51_EUlS51_E_EEvS51_EUlS51_E_EEvS51_
                                        ; -- End function
	.section	.AMDGPU.csdata,"",@progbits
; Function info:
; codeLenInByte = 133608
; NumSgprs: 36
; NumVgprs: 26
; NumAgprs: 4
; TotalNumVgprs: 32
; ScratchSize: 0
; MemoryBound: 1
	.text
	.p2align	2                               ; -- Begin function _ZNK2ck6detail7applierIiJLi0ELi1ELi2ELi3ELi4ELi5ELi6ELi7EEEclIZNKS_11static_fordINS_8SequenceIJLi1ELi8EEEENS5_IJLi0ELi1EEEEEclIZZNKS_52BlockwiseGemmXdlops_pipeline_bpreshuffle_bdequant_v3ILNS_26BlockGemmPipelineSchedulerE0ELi256ENS_9f8_fnuz_tENS_7pk_i4_tESC_fNS_16TensorDescriptorINS_5TupleIJNS_5EmbedINSF_IJNS_17integral_constantIiLi8EEENSH_IiLi256EEENSH_IiLi16EEEEEENSF_IJSK_NSH_IiLi128EEENSH_IiLi1EEEEEELb0EEENS_3XorINSF_IJSJ_SI_EEELb1EEENS_11PassThroughISK_EENS_7UnMergeINSF_IJSI_SN_EEELb0EEENST_ISJ_EESU_NST_ISI_EENS_21Merge_v3_division_modINSF_IJSJ_SN_EEEEESU_EEENSF_IJNS5_IJLi0EEEENS5_IJLi2ELi1EEEENS5_IJLi3EEEENS5_IJLi5EEEENS5_IJLi4EEEENS5_IJLi6EEEENS5_IJLi7EEEENS5_IJLi9ELi8EEEENS5_IJLi10EEEEEEENSF_IJNS5_IJLi1ELi2ELi3EEEENS5_IJLi4ELi5EEEES19_NS5_IJLi7ELi8EEEENS5_IJLi9EEEES1C_NS5_IJLi11EEEENS5_IJLi12EEEENS5_IJLi13EEEEEEENS5_IJLi11ELi12ELi13EEEENSH_IlLl32768EEEEENSE_INSF_IJNSV_INSF_IJSI_SN_SN_NSH_IiLi32EEEEEELb0EEEEEENSF_IJS14_EEENSF_IJNS5_IJLi1ELi2ELi3ELi4EEEEEEES1U_NSH_IlLl256EEEEENSE_INSF_IJSP_SS_SU_SX_SY_SU_SZ_S12_SU_NS10_INSF_IJSI_SK_EEEEENSV_INSF_IJSI_NSH_IiLi2EEESK_EEELb0EEEEEENSF_IJS14_S15_S16_S17_S18_S19_S1A_S1B_S1C_NS5_IJLi11ELi13EEEES1J_EEENSF_IJS1E_S1F_S19_S1G_S1H_S1C_S1I_S1J_S1K_NS5_IJLi14EEEENS5_IJLi15ELi16ELi17EEEEEEENS5_IJLi15ELi16ELi17ELi14EEEES1N_EENSE_INSF_IJS1R_NS10_ISW_EES22_EEENSF_IJS14_NS5_IJLi1ELi3EEEENS5_IJLi2EEEEEEENSF_IJS1U_S17_NS5_IJLi6ELi7ELi8EEEEEEENS5_IJLi6ELi7ELi8ELi5EEEES1W_EELi16ELi32ELi256ELi256ELi128ELi16ELi16ELi8ELi8ELi32ELb0EE3RunILb1ELNS_10TailNumberE0ENSE_INSF_IJNSG_INSF_IJiiEEENSF_IJiSN_EEELb0EEENSV_IS2N_Lb0EEENST_IiEEEEENSF_IJS14_S2E_NS5_IJLi1EEEEEEENSF_IJNS5_IJLi1ELi2EEEENS5_IJLi3ELi4EEEES17_EEENS5_IJLi3ELi5ELi4EEEElEES1O_NS_35ThreadGroupTensorSliceTransfer_v4r1INS_15ThisThreadBlockILi256EEENS_16tensor_operation12element_wise11PassThroughES35_LNS_25InMemoryDataOperationEnumE0ENS5_IJLi8ELi256ELi16EEEENS5_IJLi8ELi32ELi1EEEENS5_IJLi1ELi0ELi2EEEESC_SC_RKS2Z_KS1O_S39_NS5_IJLi0ELi1ELi2EEEELi2ELi2ELi16ELi16ELi1ELi1ELb0ELb1ELi2EiEENS_13DynamicBufferILNS_16AddressSpaceEnumE1EKSC_lLb1ELNS_22AmdBufferCoherenceEnumE0EiEENSF_IJNS3F_ILS3G_2ESC_S1N_Lb1ELS3I_0EiEES3K_EEENSF_IJiiiEEENSE_INSF_IJNSG_INSF_IJiiiiEEENSF_IJiiiSN_EEELb0EEEEEES1T_S1V_S1U_lEENS_32ThreadwiseTensorSliceTransfer_v2ISD_SD_RKS3R_KS1X_NS5_IJLi8ELi1ELi1ELi32EEEENS5_IJLi1ELi2ELi0ELi3EEEELi3ELi32ELi0ELb1ELb0ELb0EEENS3F_ILS3G_1EKSD_lLb1ELS3I_0EiEENSF_IJNS_12StaticBufferILS3G_4ESD_Li256ELb1EEES42_EEES3N_NS_25StaticBufferTupleOfVectorILS3G_4EfLi64ELi4ELb1ELb0EEEEEvRKT1_RKT2_RT3_RKT4_RT5_RKT6_RKT7_RT8_RKT9_RT10_RKT11_RT12_iENKUlT_E0_clINSH_IiLi4EEEEEDaS51_EUlS51_E_EEvS51_EUlS51_E_EEvS51_
	.type	_ZNK2ck6detail7applierIiJLi0ELi1ELi2ELi3ELi4ELi5ELi6ELi7EEEclIZNKS_11static_fordINS_8SequenceIJLi1ELi8EEEENS5_IJLi0ELi1EEEEEclIZZNKS_52BlockwiseGemmXdlops_pipeline_bpreshuffle_bdequant_v3ILNS_26BlockGemmPipelineSchedulerE0ELi256ENS_9f8_fnuz_tENS_7pk_i4_tESC_fNS_16TensorDescriptorINS_5TupleIJNS_5EmbedINSF_IJNS_17integral_constantIiLi8EEENSH_IiLi256EEENSH_IiLi16EEEEEENSF_IJSK_NSH_IiLi128EEENSH_IiLi1EEEEEELb0EEENS_3XorINSF_IJSJ_SI_EEELb1EEENS_11PassThroughISK_EENS_7UnMergeINSF_IJSI_SN_EEELb0EEENST_ISJ_EESU_NST_ISI_EENS_21Merge_v3_division_modINSF_IJSJ_SN_EEEEESU_EEENSF_IJNS5_IJLi0EEEENS5_IJLi2ELi1EEEENS5_IJLi3EEEENS5_IJLi5EEEENS5_IJLi4EEEENS5_IJLi6EEEENS5_IJLi7EEEENS5_IJLi9ELi8EEEENS5_IJLi10EEEEEEENSF_IJNS5_IJLi1ELi2ELi3EEEENS5_IJLi4ELi5EEEES19_NS5_IJLi7ELi8EEEENS5_IJLi9EEEES1C_NS5_IJLi11EEEENS5_IJLi12EEEENS5_IJLi13EEEEEEENS5_IJLi11ELi12ELi13EEEENSH_IlLl32768EEEEENSE_INSF_IJNSV_INSF_IJSI_SN_SN_NSH_IiLi32EEEEEELb0EEEEEENSF_IJS14_EEENSF_IJNS5_IJLi1ELi2ELi3ELi4EEEEEEES1U_NSH_IlLl256EEEEENSE_INSF_IJSP_SS_SU_SX_SY_SU_SZ_S12_SU_NS10_INSF_IJSI_SK_EEEEENSV_INSF_IJSI_NSH_IiLi2EEESK_EEELb0EEEEEENSF_IJS14_S15_S16_S17_S18_S19_S1A_S1B_S1C_NS5_IJLi11ELi13EEEES1J_EEENSF_IJS1E_S1F_S19_S1G_S1H_S1C_S1I_S1J_S1K_NS5_IJLi14EEEENS5_IJLi15ELi16ELi17EEEEEEENS5_IJLi15ELi16ELi17ELi14EEEES1N_EENSE_INSF_IJS1R_NS10_ISW_EES22_EEENSF_IJS14_NS5_IJLi1ELi3EEEENS5_IJLi2EEEEEEENSF_IJS1U_S17_NS5_IJLi6ELi7ELi8EEEEEEENS5_IJLi6ELi7ELi8ELi5EEEES1W_EELi16ELi32ELi256ELi256ELi128ELi16ELi16ELi8ELi8ELi32ELb0EE3RunILb1ELNS_10TailNumberE0ENSE_INSF_IJNSG_INSF_IJiiEEENSF_IJiSN_EEELb0EEENSV_IS2N_Lb0EEENST_IiEEEEENSF_IJS14_S2E_NS5_IJLi1EEEEEEENSF_IJNS5_IJLi1ELi2EEEENS5_IJLi3ELi4EEEES17_EEENS5_IJLi3ELi5ELi4EEEElEES1O_NS_35ThreadGroupTensorSliceTransfer_v4r1INS_15ThisThreadBlockILi256EEENS_16tensor_operation12element_wise11PassThroughES35_LNS_25InMemoryDataOperationEnumE0ENS5_IJLi8ELi256ELi16EEEENS5_IJLi8ELi32ELi1EEEENS5_IJLi1ELi0ELi2EEEESC_SC_RKS2Z_KS1O_S39_NS5_IJLi0ELi1ELi2EEEELi2ELi2ELi16ELi16ELi1ELi1ELb0ELb1ELi2EiEENS_13DynamicBufferILNS_16AddressSpaceEnumE1EKSC_lLb1ELNS_22AmdBufferCoherenceEnumE0EiEENSF_IJNS3F_ILS3G_2ESC_S1N_Lb1ELS3I_0EiEES3K_EEENSF_IJiiiEEENSE_INSF_IJNSG_INSF_IJiiiiEEENSF_IJiiiSN_EEELb0EEEEEES1T_S1V_S1U_lEENS_32ThreadwiseTensorSliceTransfer_v2ISD_SD_RKS3R_KS1X_NS5_IJLi8ELi1ELi1ELi32EEEENS5_IJLi1ELi2ELi0ELi3EEEELi3ELi32ELi0ELb1ELb0ELb0EEENS3F_ILS3G_1EKSD_lLb1ELS3I_0EiEENSF_IJNS_12StaticBufferILS3G_4ESD_Li256ELb1EEES42_EEES3N_NS_25StaticBufferTupleOfVectorILS3G_4EfLi64ELi4ELb1ELb0EEEEEvRKT1_RKT2_RT3_RKT4_RT5_RKT6_RKT7_RT8_RKT9_RT10_RKT11_RT12_iENKUlT_E0_clINSH_IiLi4EEEEEDaS51_EUlS51_E_EEvS51_EUlS51_E_EEvS51_,@function
_ZNK2ck6detail7applierIiJLi0ELi1ELi2ELi3ELi4ELi5ELi6ELi7EEEclIZNKS_11static_fordINS_8SequenceIJLi1ELi8EEEENS5_IJLi0ELi1EEEEEclIZZNKS_52BlockwiseGemmXdlops_pipeline_bpreshuffle_bdequant_v3ILNS_26BlockGemmPipelineSchedulerE0ELi256ENS_9f8_fnuz_tENS_7pk_i4_tESC_fNS_16TensorDescriptorINS_5TupleIJNS_5EmbedINSF_IJNS_17integral_constantIiLi8EEENSH_IiLi256EEENSH_IiLi16EEEEEENSF_IJSK_NSH_IiLi128EEENSH_IiLi1EEEEEELb0EEENS_3XorINSF_IJSJ_SI_EEELb1EEENS_11PassThroughISK_EENS_7UnMergeINSF_IJSI_SN_EEELb0EEENST_ISJ_EESU_NST_ISI_EENS_21Merge_v3_division_modINSF_IJSJ_SN_EEEEESU_EEENSF_IJNS5_IJLi0EEEENS5_IJLi2ELi1EEEENS5_IJLi3EEEENS5_IJLi5EEEENS5_IJLi4EEEENS5_IJLi6EEEENS5_IJLi7EEEENS5_IJLi9ELi8EEEENS5_IJLi10EEEEEEENSF_IJNS5_IJLi1ELi2ELi3EEEENS5_IJLi4ELi5EEEES19_NS5_IJLi7ELi8EEEENS5_IJLi9EEEES1C_NS5_IJLi11EEEENS5_IJLi12EEEENS5_IJLi13EEEEEEENS5_IJLi11ELi12ELi13EEEENSH_IlLl32768EEEEENSE_INSF_IJNSV_INSF_IJSI_SN_SN_NSH_IiLi32EEEEEELb0EEEEEENSF_IJS14_EEENSF_IJNS5_IJLi1ELi2ELi3ELi4EEEEEEES1U_NSH_IlLl256EEEEENSE_INSF_IJSP_SS_SU_SX_SY_SU_SZ_S12_SU_NS10_INSF_IJSI_SK_EEEEENSV_INSF_IJSI_NSH_IiLi2EEESK_EEELb0EEEEEENSF_IJS14_S15_S16_S17_S18_S19_S1A_S1B_S1C_NS5_IJLi11ELi13EEEES1J_EEENSF_IJS1E_S1F_S19_S1G_S1H_S1C_S1I_S1J_S1K_NS5_IJLi14EEEENS5_IJLi15ELi16ELi17EEEEEEENS5_IJLi15ELi16ELi17ELi14EEEES1N_EENSE_INSF_IJS1R_NS10_ISW_EES22_EEENSF_IJS14_NS5_IJLi1ELi3EEEENS5_IJLi2EEEEEEENSF_IJS1U_S17_NS5_IJLi6ELi7ELi8EEEEEEENS5_IJLi6ELi7ELi8ELi5EEEES1W_EELi16ELi32ELi256ELi256ELi128ELi16ELi16ELi8ELi8ELi32ELb0EE3RunILb1ELNS_10TailNumberE0ENSE_INSF_IJNSG_INSF_IJiiEEENSF_IJiSN_EEELb0EEENSV_IS2N_Lb0EEENST_IiEEEEENSF_IJS14_S2E_NS5_IJLi1EEEEEEENSF_IJNS5_IJLi1ELi2EEEENS5_IJLi3ELi4EEEES17_EEENS5_IJLi3ELi5ELi4EEEElEES1O_NS_35ThreadGroupTensorSliceTransfer_v4r1INS_15ThisThreadBlockILi256EEENS_16tensor_operation12element_wise11PassThroughES35_LNS_25InMemoryDataOperationEnumE0ENS5_IJLi8ELi256ELi16EEEENS5_IJLi8ELi32ELi1EEEENS5_IJLi1ELi0ELi2EEEESC_SC_RKS2Z_KS1O_S39_NS5_IJLi0ELi1ELi2EEEELi2ELi2ELi16ELi16ELi1ELi1ELb0ELb1ELi2EiEENS_13DynamicBufferILNS_16AddressSpaceEnumE1EKSC_lLb1ELNS_22AmdBufferCoherenceEnumE0EiEENSF_IJNS3F_ILS3G_2ESC_S1N_Lb1ELS3I_0EiEES3K_EEENSF_IJiiiEEENSE_INSF_IJNSG_INSF_IJiiiiEEENSF_IJiiiSN_EEELb0EEEEEES1T_S1V_S1U_lEENS_32ThreadwiseTensorSliceTransfer_v2ISD_SD_RKS3R_KS1X_NS5_IJLi8ELi1ELi1ELi32EEEENS5_IJLi1ELi2ELi0ELi3EEEELi3ELi32ELi0ELb1ELb0ELb0EEENS3F_ILS3G_1EKSD_lLb1ELS3I_0EiEENSF_IJNS_12StaticBufferILS3G_4ESD_Li256ELb1EEES42_EEES3N_NS_25StaticBufferTupleOfVectorILS3G_4EfLi64ELi4ELb1ELb0EEEEEvRKT1_RKT2_RT3_RKT4_RT5_RKT6_RKT7_RT8_RKT9_RT10_RKT11_RT12_iENKUlT_E0_clINSH_IiLi4EEEEEDaS51_EUlS51_E_EEvS51_EUlS51_E_EEvS51_: ; @_ZNK2ck6detail7applierIiJLi0ELi1ELi2ELi3ELi4ELi5ELi6ELi7EEEclIZNKS_11static_fordINS_8SequenceIJLi1ELi8EEEENS5_IJLi0ELi1EEEEEclIZZNKS_52BlockwiseGemmXdlops_pipeline_bpreshuffle_bdequant_v3ILNS_26BlockGemmPipelineSchedulerE0ELi256ENS_9f8_fnuz_tENS_7pk_i4_tESC_fNS_16TensorDescriptorINS_5TupleIJNS_5EmbedINSF_IJNS_17integral_constantIiLi8EEENSH_IiLi256EEENSH_IiLi16EEEEEENSF_IJSK_NSH_IiLi128EEENSH_IiLi1EEEEEELb0EEENS_3XorINSF_IJSJ_SI_EEELb1EEENS_11PassThroughISK_EENS_7UnMergeINSF_IJSI_SN_EEELb0EEENST_ISJ_EESU_NST_ISI_EENS_21Merge_v3_division_modINSF_IJSJ_SN_EEEEESU_EEENSF_IJNS5_IJLi0EEEENS5_IJLi2ELi1EEEENS5_IJLi3EEEENS5_IJLi5EEEENS5_IJLi4EEEENS5_IJLi6EEEENS5_IJLi7EEEENS5_IJLi9ELi8EEEENS5_IJLi10EEEEEEENSF_IJNS5_IJLi1ELi2ELi3EEEENS5_IJLi4ELi5EEEES19_NS5_IJLi7ELi8EEEENS5_IJLi9EEEES1C_NS5_IJLi11EEEENS5_IJLi12EEEENS5_IJLi13EEEEEEENS5_IJLi11ELi12ELi13EEEENSH_IlLl32768EEEEENSE_INSF_IJNSV_INSF_IJSI_SN_SN_NSH_IiLi32EEEEEELb0EEEEEENSF_IJS14_EEENSF_IJNS5_IJLi1ELi2ELi3ELi4EEEEEEES1U_NSH_IlLl256EEEEENSE_INSF_IJSP_SS_SU_SX_SY_SU_SZ_S12_SU_NS10_INSF_IJSI_SK_EEEEENSV_INSF_IJSI_NSH_IiLi2EEESK_EEELb0EEEEEENSF_IJS14_S15_S16_S17_S18_S19_S1A_S1B_S1C_NS5_IJLi11ELi13EEEES1J_EEENSF_IJS1E_S1F_S19_S1G_S1H_S1C_S1I_S1J_S1K_NS5_IJLi14EEEENS5_IJLi15ELi16ELi17EEEEEEENS5_IJLi15ELi16ELi17ELi14EEEES1N_EENSE_INSF_IJS1R_NS10_ISW_EES22_EEENSF_IJS14_NS5_IJLi1ELi3EEEENS5_IJLi2EEEEEEENSF_IJS1U_S17_NS5_IJLi6ELi7ELi8EEEEEEENS5_IJLi6ELi7ELi8ELi5EEEES1W_EELi16ELi32ELi256ELi256ELi128ELi16ELi16ELi8ELi8ELi32ELb0EE3RunILb1ELNS_10TailNumberE0ENSE_INSF_IJNSG_INSF_IJiiEEENSF_IJiSN_EEELb0EEENSV_IS2N_Lb0EEENST_IiEEEEENSF_IJS14_S2E_NS5_IJLi1EEEEEEENSF_IJNS5_IJLi1ELi2EEEENS5_IJLi3ELi4EEEES17_EEENS5_IJLi3ELi5ELi4EEEElEES1O_NS_35ThreadGroupTensorSliceTransfer_v4r1INS_15ThisThreadBlockILi256EEENS_16tensor_operation12element_wise11PassThroughES35_LNS_25InMemoryDataOperationEnumE0ENS5_IJLi8ELi256ELi16EEEENS5_IJLi8ELi32ELi1EEEENS5_IJLi1ELi0ELi2EEEESC_SC_RKS2Z_KS1O_S39_NS5_IJLi0ELi1ELi2EEEELi2ELi2ELi16ELi16ELi1ELi1ELb0ELb1ELi2EiEENS_13DynamicBufferILNS_16AddressSpaceEnumE1EKSC_lLb1ELNS_22AmdBufferCoherenceEnumE0EiEENSF_IJNS3F_ILS3G_2ESC_S1N_Lb1ELS3I_0EiEES3K_EEENSF_IJiiiEEENSE_INSF_IJNSG_INSF_IJiiiiEEENSF_IJiiiSN_EEELb0EEEEEES1T_S1V_S1U_lEENS_32ThreadwiseTensorSliceTransfer_v2ISD_SD_RKS3R_KS1X_NS5_IJLi8ELi1ELi1ELi32EEEENS5_IJLi1ELi2ELi0ELi3EEEELi3ELi32ELi0ELb1ELb0ELb0EEENS3F_ILS3G_1EKSD_lLb1ELS3I_0EiEENSF_IJNS_12StaticBufferILS3G_4ESD_Li256ELb1EEES42_EEES3N_NS_25StaticBufferTupleOfVectorILS3G_4EfLi64ELi4ELb1ELb0EEEEEvRKT1_RKT2_RT3_RKT4_RT5_RKT6_RKT7_RT8_RKT9_RT10_RKT11_RT12_iENKUlT_E0_clINSH_IiLi4EEEEEDaS51_EUlS51_E_EEvS51_EUlS51_E_EEvS51_
; %bb.0:
	s_waitcnt vmcnt(0) expcnt(0) lgkmcnt(0)
	flat_load_dwordx4 v[20:23], v[0:1] offset:8
	flat_load_dwordx2 v[18:19], v[0:1] offset:24
	s_movk_i32 s4, 0x7f
                                        ; implicit-def: $sgpr10
	s_waitcnt vmcnt(0) lgkmcnt(0)
	flat_load_dwordx4 v[14:17], v[20:21]
	flat_load_dwordx4 v[10:13], v[22:23]
	flat_load_dwordx4 v[6:9], v[20:21] offset:16
	flat_load_dwordx4 v[2:5], v[22:23] offset:16
	s_waitcnt vmcnt(0) lgkmcnt(0)
	v_cmp_gt_i16_sdwa s[6:7], v14, s4 src0_sel:BYTE_0 src1_sel:DWORD
	s_mov_b64 s[4:5], 0
	s_and_saveexec_b64 s[8:9], s[6:7]
	s_xor_b64 s[6:7], exec, s[8:9]
	s_cbranch_execnz .LBB22_2049
; %bb.1:
	s_or_saveexec_b64 s[6:7], s[6:7]
	v_mov_b32_e32 v20, s10
	s_xor_b64 exec, exec, s[6:7]
	s_cbranch_execnz .LBB22_2052
.LBB22_2:
	s_or_b64 exec, exec, s[6:7]
	s_and_saveexec_b64 s[6:7], s[4:5]
	s_cbranch_execz .LBB22_4
.LBB22_3:
	v_and_b32_e32 v20, 7, v14
	v_ffbh_u32_e32 v22, v20
	v_min_u32_e32 v22, 32, v22
	v_lshrrev_b16_e32 v21, 3, v14
	v_subrev_u32_e32 v23, 28, v22
	v_and_b32_e32 v21, 15, v21
	v_lshlrev_b32_e32 v23, v23, v14
	v_sub_u32_e32 v22, 29, v22
	v_and_b32_e32 v23, 7, v23
	v_cmp_eq_u16_e32 vcc, 0, v21
	v_cndmask_b32_e32 v20, v20, v23, vcc
	v_cndmask_b32_e32 v21, v21, v22, vcc
	v_lshlrev_b32_e32 v22, 24, v14
	v_mov_b32_e32 v23, 0x3b800000
	v_lshlrev_b32_e32 v20, 20, v20
	v_and_b32_e32 v22, 0x80000000, v22
	v_lshl_add_u32 v21, v21, 23, v23
	v_or3_b32 v20, v22, v21, v20
.LBB22_4:
	s_or_b64 exec, exec, s[6:7]
	s_movk_i32 s4, 0x7f
	v_cmp_gt_i16_sdwa s[6:7], v10, s4 src0_sel:BYTE_0 src1_sel:DWORD
	s_mov_b64 s[4:5], 0
                                        ; implicit-def: $sgpr10
	s_and_saveexec_b64 s[8:9], s[6:7]
	s_xor_b64 s[6:7], exec, s[8:9]
	s_cbranch_execnz .LBB22_2053
; %bb.5:
	s_or_saveexec_b64 s[6:7], s[6:7]
	v_mov_b32_e32 v21, s10
	s_xor_b64 exec, exec, s[6:7]
	s_cbranch_execnz .LBB22_2056
.LBB22_6:
	s_or_b64 exec, exec, s[6:7]
	s_and_saveexec_b64 s[6:7], s[4:5]
	s_cbranch_execz .LBB22_8
.LBB22_7:
	v_and_b32_e32 v21, 7, v10
	v_ffbh_u32_e32 v23, v21
	v_min_u32_e32 v23, 32, v23
	v_lshrrev_b16_e32 v22, 3, v10
	v_subrev_u32_e32 v24, 28, v23
	v_and_b32_e32 v22, 15, v22
	v_lshlrev_b32_e32 v24, v24, v10
	v_sub_u32_e32 v23, 29, v23
	v_and_b32_e32 v24, 7, v24
	v_cmp_eq_u16_e32 vcc, 0, v22
	v_cndmask_b32_e32 v21, v21, v24, vcc
	v_cndmask_b32_e32 v22, v22, v23, vcc
	v_lshlrev_b32_e32 v23, 24, v10
	v_mov_b32_e32 v24, 0x3b800000
	v_lshlrev_b32_e32 v21, 20, v21
	v_and_b32_e32 v23, 0x80000000, v23
	v_lshl_add_u32 v22, v22, 23, v24
	v_or3_b32 v21, v23, v22, v21
.LBB22_8:
	s_or_b64 exec, exec, s[6:7]
	flat_load_dwordx4 a[0:3], v[18:19] offset:512
	s_movk_i32 s4, 0x7f
                                        ; implicit-def: $sgpr10
	s_waitcnt vmcnt(0) lgkmcnt(0)
	v_mfma_f32_16x16x4f32 a[0:3], v20, v21, a[0:3]
	v_lshrrev_b32_e32 v21, 8, v14
	v_cmp_gt_i16_sdwa s[6:7], v21, s4 src0_sel:BYTE_0 src1_sel:DWORD
	s_mov_b64 s[4:5], 0
	s_and_saveexec_b64 s[8:9], s[6:7]
	s_xor_b64 s[6:7], exec, s[8:9]
	s_cbranch_execnz .LBB22_2057
; %bb.9:
	s_or_saveexec_b64 s[6:7], s[6:7]
	v_mov_b32_e32 v20, s10
	s_xor_b64 exec, exec, s[6:7]
	s_cbranch_execnz .LBB22_2060
.LBB22_10:
	s_or_b64 exec, exec, s[6:7]
	s_and_saveexec_b64 s[6:7], s[4:5]
	s_cbranch_execz .LBB22_12
.LBB22_11:
	v_bfe_u32 v20, v14, 8, 3
	v_ffbh_u32_e32 v23, v20
	v_min_u32_e32 v23, 32, v23
	v_lshrrev_b16_e32 v22, 3, v21
	v_subrev_u32_e32 v24, 28, v23
	v_and_b32_e32 v22, 15, v22
	v_lshlrev_b32_e32 v21, v24, v21
	v_sub_u32_e32 v23, 29, v23
	v_and_b32_e32 v21, 7, v21
	v_cmp_eq_u16_e32 vcc, 0, v22
	v_cndmask_b32_e32 v20, v20, v21, vcc
	v_cndmask_b32_e32 v21, v22, v23, vcc
	v_lshlrev_b32_e32 v22, 16, v14
	v_mov_b32_e32 v23, 0x3b800000
	v_lshlrev_b32_e32 v20, 20, v20
	v_and_b32_e32 v22, 0x80000000, v22
	v_lshl_add_u32 v21, v21, 23, v23
	v_or3_b32 v20, v22, v21, v20
.LBB22_12:
	s_or_b64 exec, exec, s[6:7]
	v_lshrrev_b32_e32 v21, 8, v10
	s_movk_i32 s4, 0x7f
	v_cmp_gt_i16_sdwa s[6:7], v21, s4 src0_sel:BYTE_0 src1_sel:DWORD
	s_mov_b64 s[4:5], 0
                                        ; implicit-def: $sgpr10
	s_and_saveexec_b64 s[8:9], s[6:7]
	s_xor_b64 s[6:7], exec, s[8:9]
	s_cbranch_execnz .LBB22_2061
; %bb.13:
	s_or_saveexec_b64 s[6:7], s[6:7]
	v_mov_b32_e32 v22, s10
	s_xor_b64 exec, exec, s[6:7]
	s_cbranch_execnz .LBB22_2064
.LBB22_14:
	s_or_b64 exec, exec, s[6:7]
	s_and_saveexec_b64 s[6:7], s[4:5]
	s_cbranch_execz .LBB22_16
.LBB22_15:
	v_bfe_u32 v22, v10, 8, 3
	v_ffbh_u32_e32 v24, v22
	v_min_u32_e32 v24, 32, v24
	v_lshrrev_b16_e32 v23, 3, v21
	v_subrev_u32_e32 v25, 28, v24
	v_and_b32_e32 v23, 15, v23
	v_lshlrev_b32_e32 v21, v25, v21
	v_sub_u32_e32 v24, 29, v24
	v_and_b32_e32 v21, 7, v21
	v_cmp_eq_u16_e32 vcc, 0, v23
	v_cndmask_b32_e32 v21, v22, v21, vcc
	v_cndmask_b32_e32 v22, v23, v24, vcc
	v_lshlrev_b32_e32 v23, 16, v10
	v_mov_b32_e32 v24, 0x3b800000
	v_lshlrev_b32_e32 v21, 20, v21
	v_and_b32_e32 v23, 0x80000000, v23
	v_lshl_add_u32 v22, v22, 23, v24
	v_or3_b32 v22, v23, v22, v21
.LBB22_16:
	s_or_b64 exec, exec, s[6:7]
	s_nop 0
	v_mfma_f32_16x16x4f32 a[0:3], v20, v22, a[0:3]
	s_movk_i32 s4, 0xff
	v_and_b32_sdwa v21, v14, s4 dst_sel:DWORD dst_unused:UNUSED_PAD src0_sel:WORD_1 src1_sel:DWORD
	s_movk_i32 s4, 0x7f
	v_cmp_lt_i16_e32 vcc, s4, v21
	s_mov_b64 s[4:5], 0
                                        ; implicit-def: $sgpr10
	s_and_saveexec_b64 s[6:7], vcc
	s_xor_b64 s[6:7], exec, s[6:7]
	s_cbranch_execnz .LBB22_2065
; %bb.17:
	s_or_saveexec_b64 s[6:7], s[6:7]
	v_mov_b32_e32 v20, s10
	s_xor_b64 exec, exec, s[6:7]
	s_cbranch_execnz .LBB22_2068
.LBB22_18:
	s_or_b64 exec, exec, s[6:7]
	s_and_saveexec_b64 s[6:7], s[4:5]
	s_cbranch_execz .LBB22_20
.LBB22_19:
	v_bfe_u32 v20, v14, 16, 3
	v_ffbh_u32_e32 v23, v20
	v_min_u32_e32 v23, 32, v23
	v_lshrrev_b32_e32 v21, 19, v14
	v_subrev_u32_e32 v24, 28, v23
	v_and_b32_e32 v21, 15, v21
	v_lshlrev_b32_sdwa v24, v24, v14 dst_sel:DWORD dst_unused:UNUSED_PAD src0_sel:DWORD src1_sel:WORD_1
	v_bfe_u32 v22, v14, 19, 4
	v_sub_u32_e32 v23, 29, v23
	v_and_b32_e32 v24, 7, v24
	v_cmp_eq_u16_e32 vcc, 0, v21
	v_cndmask_b32_e32 v20, v20, v24, vcc
	v_cndmask_b32_e32 v21, v22, v23, vcc
	v_lshlrev_b32_e32 v22, 8, v14
	v_mov_b32_e32 v23, 0x3b800000
	v_lshlrev_b32_e32 v20, 20, v20
	v_and_b32_e32 v22, 0x80000000, v22
	v_lshl_add_u32 v21, v21, 23, v23
	v_or3_b32 v20, v22, v21, v20
.LBB22_20:
	s_or_b64 exec, exec, s[6:7]
	s_movk_i32 s4, 0xff
	v_and_b32_sdwa v21, v10, s4 dst_sel:DWORD dst_unused:UNUSED_PAD src0_sel:WORD_1 src1_sel:DWORD
	s_movk_i32 s4, 0x7f
	v_cmp_lt_i16_e32 vcc, s4, v21
	s_mov_b64 s[4:5], 0
                                        ; implicit-def: $sgpr10
	s_and_saveexec_b64 s[6:7], vcc
	s_xor_b64 s[6:7], exec, s[6:7]
	s_cbranch_execnz .LBB22_2069
; %bb.21:
	s_or_saveexec_b64 s[6:7], s[6:7]
	v_mov_b32_e32 v22, s10
	s_xor_b64 exec, exec, s[6:7]
	s_cbranch_execnz .LBB22_2072
.LBB22_22:
	s_or_b64 exec, exec, s[6:7]
	s_and_saveexec_b64 s[6:7], s[4:5]
	s_cbranch_execz .LBB22_24
.LBB22_23:
	v_bfe_u32 v21, v10, 16, 3
	v_ffbh_u32_e32 v24, v21
	v_min_u32_e32 v24, 32, v24
	v_lshrrev_b32_e32 v22, 19, v10
	v_subrev_u32_e32 v25, 28, v24
	v_and_b32_e32 v22, 15, v22
	v_lshlrev_b32_sdwa v25, v25, v10 dst_sel:DWORD dst_unused:UNUSED_PAD src0_sel:DWORD src1_sel:WORD_1
	v_bfe_u32 v23, v10, 19, 4
	v_sub_u32_e32 v24, 29, v24
	v_and_b32_e32 v25, 7, v25
	v_cmp_eq_u16_e32 vcc, 0, v22
	v_cndmask_b32_e32 v21, v21, v25, vcc
	v_cndmask_b32_e32 v22, v23, v24, vcc
	v_lshlrev_b32_e32 v23, 8, v10
	v_mov_b32_e32 v24, 0x3b800000
	v_lshlrev_b32_e32 v21, 20, v21
	v_and_b32_e32 v23, 0x80000000, v23
	v_lshl_add_u32 v22, v22, 23, v24
	v_or3_b32 v22, v23, v22, v21
.LBB22_24:
	s_or_b64 exec, exec, s[6:7]
	s_nop 0
	v_mfma_f32_16x16x4f32 a[0:3], v20, v22, a[0:3]
	s_movk_i32 s4, 0x7f
	v_cmp_gt_i16_sdwa s[6:7], v14, s4 src0_sel:BYTE_3 src1_sel:DWORD
	s_mov_b64 s[4:5], 0
                                        ; implicit-def: $sgpr10
	s_and_saveexec_b64 s[8:9], s[6:7]
	s_xor_b64 s[6:7], exec, s[8:9]
	s_cbranch_execnz .LBB22_2073
; %bb.25:
	s_or_saveexec_b64 s[6:7], s[6:7]
	v_mov_b32_e32 v20, s10
	s_xor_b64 exec, exec, s[6:7]
	s_cbranch_execnz .LBB22_2076
.LBB22_26:
	s_or_b64 exec, exec, s[6:7]
	s_and_saveexec_b64 s[6:7], s[4:5]
	s_cbranch_execz .LBB22_28
.LBB22_27:
	v_bfe_u32 v20, v14, 24, 3
	v_ffbh_u32_e32 v24, v20
	v_min_u32_e32 v24, 32, v24
	v_lshrrev_b32_e32 v22, 27, v14
	v_subrev_u32_e32 v25, 28, v24
	v_and_b32_e32 v21, 0x80000000, v14
	v_and_b32_e32 v22, 15, v22
	v_bfe_u32 v23, v14, 27, 4
	v_lshlrev_b32_sdwa v14, v25, v14 dst_sel:DWORD dst_unused:UNUSED_PAD src0_sel:DWORD src1_sel:BYTE_3
	v_sub_u32_e32 v24, 29, v24
	v_and_b32_e32 v14, 7, v14
	v_cmp_eq_u16_e32 vcc, 0, v22
	v_cndmask_b32_e32 v14, v20, v14, vcc
	v_cndmask_b32_e32 v20, v23, v24, vcc
	v_mov_b32_e32 v22, 0x3b800000
	v_lshlrev_b32_e32 v14, 20, v14
	v_lshl_add_u32 v20, v20, 23, v22
	v_or3_b32 v20, v21, v20, v14
.LBB22_28:
	s_or_b64 exec, exec, s[6:7]
	s_movk_i32 s4, 0x7f
	v_cmp_gt_i16_sdwa s[6:7], v10, s4 src0_sel:BYTE_3 src1_sel:DWORD
	s_mov_b64 s[4:5], 0
                                        ; implicit-def: $sgpr10
	s_and_saveexec_b64 s[8:9], s[6:7]
	s_xor_b64 s[6:7], exec, s[8:9]
	s_cbranch_execnz .LBB22_2077
; %bb.29:
	s_or_saveexec_b64 s[6:7], s[6:7]
	v_mov_b32_e32 v14, s10
	s_xor_b64 exec, exec, s[6:7]
	s_cbranch_execnz .LBB22_2080
.LBB22_30:
	s_or_b64 exec, exec, s[6:7]
	s_and_saveexec_b64 s[6:7], s[4:5]
	s_cbranch_execz .LBB22_32
.LBB22_31:
	v_bfe_u32 v14, v10, 24, 3
	v_ffbh_u32_e32 v24, v14
	v_min_u32_e32 v24, 32, v24
	v_lshrrev_b32_e32 v22, 27, v10
	v_subrev_u32_e32 v25, 28, v24
	v_and_b32_e32 v21, 0x80000000, v10
	v_and_b32_e32 v22, 15, v22
	v_bfe_u32 v23, v10, 27, 4
	v_lshlrev_b32_sdwa v10, v25, v10 dst_sel:DWORD dst_unused:UNUSED_PAD src0_sel:DWORD src1_sel:BYTE_3
	v_sub_u32_e32 v24, 29, v24
	v_and_b32_e32 v10, 7, v10
	v_cmp_eq_u16_e32 vcc, 0, v22
	v_cndmask_b32_e32 v10, v14, v10, vcc
	v_cndmask_b32_e32 v14, v23, v24, vcc
	v_mov_b32_e32 v22, 0x3b800000
	v_lshlrev_b32_e32 v10, 20, v10
	v_lshl_add_u32 v14, v14, 23, v22
	v_or3_b32 v14, v21, v14, v10
.LBB22_32:
	s_or_b64 exec, exec, s[6:7]
	s_nop 0
	v_mfma_f32_16x16x4f32 a[0:3], v20, v14, a[0:3]
	s_movk_i32 s4, 0x7f
	v_cmp_gt_i16_sdwa s[6:7], v15, s4 src0_sel:BYTE_0 src1_sel:DWORD
	s_mov_b64 s[4:5], 0
                                        ; implicit-def: $sgpr10
	s_and_saveexec_b64 s[8:9], s[6:7]
	s_xor_b64 s[6:7], exec, s[8:9]
	s_cbranch_execnz .LBB22_2081
; %bb.33:
	s_or_saveexec_b64 s[6:7], s[6:7]
	v_mov_b32_e32 v10, s10
	s_xor_b64 exec, exec, s[6:7]
	s_cbranch_execnz .LBB22_2084
.LBB22_34:
	s_or_b64 exec, exec, s[6:7]
	s_and_saveexec_b64 s[6:7], s[4:5]
	s_cbranch_execz .LBB22_36
.LBB22_35:
	v_and_b32_e32 v10, 7, v15
	v_ffbh_u32_e32 v20, v10
	v_min_u32_e32 v20, 32, v20
	v_lshrrev_b16_e32 v14, 3, v15
	v_subrev_u32_e32 v21, 28, v20
	v_and_b32_e32 v14, 15, v14
	v_lshlrev_b32_e32 v21, v21, v15
	v_sub_u32_e32 v20, 29, v20
	v_and_b32_e32 v21, 7, v21
	v_cmp_eq_u16_e32 vcc, 0, v14
	v_cndmask_b32_e32 v10, v10, v21, vcc
	v_cndmask_b32_e32 v14, v14, v20, vcc
	v_lshlrev_b32_e32 v20, 24, v15
	v_mov_b32_e32 v21, 0x3b800000
	v_lshlrev_b32_e32 v10, 20, v10
	v_and_b32_e32 v20, 0x80000000, v20
	v_lshl_add_u32 v14, v14, 23, v21
	v_or3_b32 v10, v20, v14, v10
.LBB22_36:
	s_or_b64 exec, exec, s[6:7]
	s_movk_i32 s4, 0x7f
	v_cmp_gt_i16_sdwa s[6:7], v11, s4 src0_sel:BYTE_0 src1_sel:DWORD
	s_mov_b64 s[4:5], 0
                                        ; implicit-def: $sgpr10
	s_and_saveexec_b64 s[8:9], s[6:7]
	s_xor_b64 s[6:7], exec, s[8:9]
	s_cbranch_execnz .LBB22_2085
; %bb.37:
	s_or_saveexec_b64 s[6:7], s[6:7]
	v_mov_b32_e32 v14, s10
	s_xor_b64 exec, exec, s[6:7]
	s_cbranch_execnz .LBB22_2088
.LBB22_38:
	s_or_b64 exec, exec, s[6:7]
	s_and_saveexec_b64 s[6:7], s[4:5]
	s_cbranch_execz .LBB22_40
.LBB22_39:
	v_and_b32_e32 v14, 7, v11
	v_ffbh_u32_e32 v21, v14
	v_min_u32_e32 v21, 32, v21
	v_lshrrev_b16_e32 v20, 3, v11
	v_subrev_u32_e32 v22, 28, v21
	v_and_b32_e32 v20, 15, v20
	v_lshlrev_b32_e32 v22, v22, v11
	v_sub_u32_e32 v21, 29, v21
	v_and_b32_e32 v22, 7, v22
	v_cmp_eq_u16_e32 vcc, 0, v20
	v_cndmask_b32_e32 v14, v14, v22, vcc
	v_cndmask_b32_e32 v20, v20, v21, vcc
	v_lshlrev_b32_e32 v21, 24, v11
	v_mov_b32_e32 v22, 0x3b800000
	v_lshlrev_b32_e32 v14, 20, v14
	v_and_b32_e32 v21, 0x80000000, v21
	v_lshl_add_u32 v20, v20, 23, v22
	v_or3_b32 v14, v21, v20, v14
.LBB22_40:
	s_or_b64 exec, exec, s[6:7]
	s_nop 0
	v_mfma_f32_16x16x4f32 a[0:3], v10, v14, a[0:3]
	v_lshrrev_b32_e32 v14, 8, v15
	s_movk_i32 s4, 0x7f
	v_cmp_gt_i16_sdwa s[6:7], v14, s4 src0_sel:BYTE_0 src1_sel:DWORD
	s_mov_b64 s[4:5], 0
                                        ; implicit-def: $sgpr10
	s_and_saveexec_b64 s[8:9], s[6:7]
	s_xor_b64 s[6:7], exec, s[8:9]
	s_cbranch_execnz .LBB22_2089
; %bb.41:
	s_or_saveexec_b64 s[6:7], s[6:7]
	v_mov_b32_e32 v10, s10
	s_xor_b64 exec, exec, s[6:7]
	s_cbranch_execnz .LBB22_2092
.LBB22_42:
	s_or_b64 exec, exec, s[6:7]
	s_and_saveexec_b64 s[6:7], s[4:5]
	s_cbranch_execz .LBB22_44
.LBB22_43:
	v_bfe_u32 v10, v15, 8, 3
	v_ffbh_u32_e32 v21, v10
	v_min_u32_e32 v21, 32, v21
	v_lshrrev_b16_e32 v20, 3, v14
	v_subrev_u32_e32 v22, 28, v21
	v_and_b32_e32 v20, 15, v20
	v_lshlrev_b32_e32 v14, v22, v14
	v_sub_u32_e32 v21, 29, v21
	v_and_b32_e32 v14, 7, v14
	v_cmp_eq_u16_e32 vcc, 0, v20
	v_cndmask_b32_e32 v10, v10, v14, vcc
	v_cndmask_b32_e32 v14, v20, v21, vcc
	v_lshlrev_b32_e32 v20, 16, v15
	v_mov_b32_e32 v21, 0x3b800000
	v_lshlrev_b32_e32 v10, 20, v10
	v_and_b32_e32 v20, 0x80000000, v20
	v_lshl_add_u32 v14, v14, 23, v21
	v_or3_b32 v10, v20, v14, v10
.LBB22_44:
	s_or_b64 exec, exec, s[6:7]
	v_lshrrev_b32_e32 v14, 8, v11
	s_movk_i32 s4, 0x7f
	v_cmp_gt_i16_sdwa s[6:7], v14, s4 src0_sel:BYTE_0 src1_sel:DWORD
	s_mov_b64 s[4:5], 0
                                        ; implicit-def: $sgpr10
	s_and_saveexec_b64 s[8:9], s[6:7]
	s_xor_b64 s[6:7], exec, s[8:9]
	s_cbranch_execnz .LBB22_2093
; %bb.45:
	s_or_saveexec_b64 s[6:7], s[6:7]
	v_mov_b32_e32 v20, s10
	s_xor_b64 exec, exec, s[6:7]
	s_cbranch_execnz .LBB22_2096
.LBB22_46:
	s_or_b64 exec, exec, s[6:7]
	s_and_saveexec_b64 s[6:7], s[4:5]
	s_cbranch_execz .LBB22_48
.LBB22_47:
	v_bfe_u32 v20, v11, 8, 3
	v_ffbh_u32_e32 v22, v20
	v_min_u32_e32 v22, 32, v22
	v_lshrrev_b16_e32 v21, 3, v14
	v_subrev_u32_e32 v23, 28, v22
	v_and_b32_e32 v21, 15, v21
	v_lshlrev_b32_e32 v14, v23, v14
	v_sub_u32_e32 v22, 29, v22
	v_and_b32_e32 v14, 7, v14
	v_cmp_eq_u16_e32 vcc, 0, v21
	v_cndmask_b32_e32 v14, v20, v14, vcc
	v_cndmask_b32_e32 v20, v21, v22, vcc
	v_lshlrev_b32_e32 v21, 16, v11
	v_mov_b32_e32 v22, 0x3b800000
	v_lshlrev_b32_e32 v14, 20, v14
	v_and_b32_e32 v21, 0x80000000, v21
	v_lshl_add_u32 v20, v20, 23, v22
	v_or3_b32 v20, v21, v20, v14
.LBB22_48:
	s_or_b64 exec, exec, s[6:7]
	s_nop 0
	v_mfma_f32_16x16x4f32 a[0:3], v10, v20, a[0:3]
	s_movk_i32 s4, 0xff
	v_and_b32_sdwa v14, v15, s4 dst_sel:DWORD dst_unused:UNUSED_PAD src0_sel:WORD_1 src1_sel:DWORD
	s_movk_i32 s4, 0x7f
	v_cmp_lt_i16_e32 vcc, s4, v14
	s_mov_b64 s[4:5], 0
                                        ; implicit-def: $sgpr10
	s_and_saveexec_b64 s[6:7], vcc
	s_xor_b64 s[6:7], exec, s[6:7]
	s_cbranch_execnz .LBB22_2097
; %bb.49:
	s_or_saveexec_b64 s[6:7], s[6:7]
	v_mov_b32_e32 v10, s10
	s_xor_b64 exec, exec, s[6:7]
	s_cbranch_execnz .LBB22_2100
.LBB22_50:
	s_or_b64 exec, exec, s[6:7]
	s_and_saveexec_b64 s[6:7], s[4:5]
	s_cbranch_execz .LBB22_52
.LBB22_51:
	v_bfe_u32 v10, v15, 16, 3
	v_ffbh_u32_e32 v21, v10
	v_min_u32_e32 v21, 32, v21
	v_lshrrev_b32_e32 v14, 19, v15
	v_subrev_u32_e32 v22, 28, v21
	v_and_b32_e32 v14, 15, v14
	v_lshlrev_b32_sdwa v22, v22, v15 dst_sel:DWORD dst_unused:UNUSED_PAD src0_sel:DWORD src1_sel:WORD_1
	v_bfe_u32 v20, v15, 19, 4
	v_sub_u32_e32 v21, 29, v21
	v_and_b32_e32 v22, 7, v22
	v_cmp_eq_u16_e32 vcc, 0, v14
	v_cndmask_b32_e32 v10, v10, v22, vcc
	v_cndmask_b32_e32 v14, v20, v21, vcc
	v_lshlrev_b32_e32 v20, 8, v15
	v_mov_b32_e32 v21, 0x3b800000
	v_lshlrev_b32_e32 v10, 20, v10
	v_and_b32_e32 v20, 0x80000000, v20
	v_lshl_add_u32 v14, v14, 23, v21
	v_or3_b32 v10, v20, v14, v10
.LBB22_52:
	s_or_b64 exec, exec, s[6:7]
	s_movk_i32 s4, 0xff
	v_and_b32_sdwa v14, v11, s4 dst_sel:DWORD dst_unused:UNUSED_PAD src0_sel:WORD_1 src1_sel:DWORD
	s_movk_i32 s4, 0x7f
	v_cmp_lt_i16_e32 vcc, s4, v14
	s_mov_b64 s[4:5], 0
                                        ; implicit-def: $sgpr10
	s_and_saveexec_b64 s[6:7], vcc
	s_xor_b64 s[6:7], exec, s[6:7]
	s_cbranch_execnz .LBB22_2101
; %bb.53:
	s_or_saveexec_b64 s[6:7], s[6:7]
	v_mov_b32_e32 v20, s10
	s_xor_b64 exec, exec, s[6:7]
	s_cbranch_execnz .LBB22_2104
.LBB22_54:
	s_or_b64 exec, exec, s[6:7]
	s_and_saveexec_b64 s[6:7], s[4:5]
	s_cbranch_execz .LBB22_56
.LBB22_55:
	v_bfe_u32 v14, v11, 16, 3
	v_ffbh_u32_e32 v22, v14
	v_min_u32_e32 v22, 32, v22
	v_lshrrev_b32_e32 v20, 19, v11
	v_subrev_u32_e32 v23, 28, v22
	v_and_b32_e32 v20, 15, v20
	v_lshlrev_b32_sdwa v23, v23, v11 dst_sel:DWORD dst_unused:UNUSED_PAD src0_sel:DWORD src1_sel:WORD_1
	v_bfe_u32 v21, v11, 19, 4
	v_sub_u32_e32 v22, 29, v22
	v_and_b32_e32 v23, 7, v23
	v_cmp_eq_u16_e32 vcc, 0, v20
	v_cndmask_b32_e32 v14, v14, v23, vcc
	v_cndmask_b32_e32 v20, v21, v22, vcc
	v_lshlrev_b32_e32 v21, 8, v11
	v_mov_b32_e32 v22, 0x3b800000
	v_lshlrev_b32_e32 v14, 20, v14
	v_and_b32_e32 v21, 0x80000000, v21
	v_lshl_add_u32 v20, v20, 23, v22
	v_or3_b32 v20, v21, v20, v14
.LBB22_56:
	s_or_b64 exec, exec, s[6:7]
	s_nop 0
	v_mfma_f32_16x16x4f32 a[0:3], v10, v20, a[0:3]
	s_movk_i32 s4, 0x7f
	v_cmp_gt_i16_sdwa s[6:7], v15, s4 src0_sel:BYTE_3 src1_sel:DWORD
	s_mov_b64 s[4:5], 0
                                        ; implicit-def: $sgpr10
	s_and_saveexec_b64 s[8:9], s[6:7]
	s_xor_b64 s[6:7], exec, s[8:9]
	s_cbranch_execnz .LBB22_2105
; %bb.57:
	s_or_saveexec_b64 s[6:7], s[6:7]
	v_mov_b32_e32 v10, s10
	s_xor_b64 exec, exec, s[6:7]
	s_cbranch_execnz .LBB22_2108
.LBB22_58:
	s_or_b64 exec, exec, s[6:7]
	s_and_saveexec_b64 s[6:7], s[4:5]
	s_cbranch_execz .LBB22_60
.LBB22_59:
	v_bfe_u32 v10, v15, 24, 3
	v_ffbh_u32_e32 v22, v10
	v_min_u32_e32 v22, 32, v22
	v_lshrrev_b32_e32 v20, 27, v15
	v_subrev_u32_e32 v23, 28, v22
	v_and_b32_e32 v14, 0x80000000, v15
	v_and_b32_e32 v20, 15, v20
	v_bfe_u32 v21, v15, 27, 4
	v_lshlrev_b32_sdwa v15, v23, v15 dst_sel:DWORD dst_unused:UNUSED_PAD src0_sel:DWORD src1_sel:BYTE_3
	v_sub_u32_e32 v22, 29, v22
	v_and_b32_e32 v15, 7, v15
	v_cmp_eq_u16_e32 vcc, 0, v20
	v_cndmask_b32_e32 v10, v10, v15, vcc
	v_cndmask_b32_e32 v15, v21, v22, vcc
	v_mov_b32_e32 v20, 0x3b800000
	v_lshlrev_b32_e32 v10, 20, v10
	v_lshl_add_u32 v15, v15, 23, v20
	v_or3_b32 v10, v14, v15, v10
.LBB22_60:
	s_or_b64 exec, exec, s[6:7]
	s_movk_i32 s4, 0x7f
	v_cmp_gt_i16_sdwa s[6:7], v11, s4 src0_sel:BYTE_3 src1_sel:DWORD
	s_mov_b64 s[4:5], 0
                                        ; implicit-def: $sgpr10
	s_and_saveexec_b64 s[8:9], s[6:7]
	s_xor_b64 s[6:7], exec, s[8:9]
	s_cbranch_execnz .LBB22_2109
; %bb.61:
	s_or_saveexec_b64 s[6:7], s[6:7]
	v_mov_b32_e32 v14, s10
	s_xor_b64 exec, exec, s[6:7]
	s_cbranch_execnz .LBB22_2112
.LBB22_62:
	s_or_b64 exec, exec, s[6:7]
	s_and_saveexec_b64 s[6:7], s[4:5]
	s_cbranch_execz .LBB22_64
.LBB22_63:
	v_bfe_u32 v14, v11, 24, 3
	v_ffbh_u32_e32 v22, v14
	v_min_u32_e32 v22, 32, v22
	v_lshrrev_b32_e32 v20, 27, v11
	v_subrev_u32_e32 v23, 28, v22
	v_and_b32_e32 v15, 0x80000000, v11
	v_and_b32_e32 v20, 15, v20
	v_bfe_u32 v21, v11, 27, 4
	v_lshlrev_b32_sdwa v11, v23, v11 dst_sel:DWORD dst_unused:UNUSED_PAD src0_sel:DWORD src1_sel:BYTE_3
	v_sub_u32_e32 v22, 29, v22
	v_and_b32_e32 v11, 7, v11
	v_cmp_eq_u16_e32 vcc, 0, v20
	v_cndmask_b32_e32 v11, v14, v11, vcc
	v_cndmask_b32_e32 v14, v21, v22, vcc
	v_mov_b32_e32 v20, 0x3b800000
	v_lshlrev_b32_e32 v11, 20, v11
	v_lshl_add_u32 v14, v14, 23, v20
	v_or3_b32 v14, v15, v14, v11
.LBB22_64:
	s_or_b64 exec, exec, s[6:7]
	s_nop 0
	v_mfma_f32_16x16x4f32 a[0:3], v10, v14, a[0:3]
	s_movk_i32 s4, 0x7f
	v_cmp_gt_i16_sdwa s[6:7], v16, s4 src0_sel:BYTE_0 src1_sel:DWORD
	s_mov_b64 s[4:5], 0
                                        ; implicit-def: $sgpr10
	s_and_saveexec_b64 s[8:9], s[6:7]
	s_xor_b64 s[6:7], exec, s[8:9]
	s_cbranch_execnz .LBB22_2113
; %bb.65:
	s_or_saveexec_b64 s[6:7], s[6:7]
	v_mov_b32_e32 v10, s10
	s_xor_b64 exec, exec, s[6:7]
	s_cbranch_execnz .LBB22_2116
.LBB22_66:
	s_or_b64 exec, exec, s[6:7]
	s_and_saveexec_b64 s[6:7], s[4:5]
	s_cbranch_execz .LBB22_68
.LBB22_67:
	v_and_b32_e32 v10, 7, v16
	v_ffbh_u32_e32 v14, v10
	v_min_u32_e32 v14, 32, v14
	v_lshrrev_b16_e32 v11, 3, v16
	v_subrev_u32_e32 v15, 28, v14
	v_and_b32_e32 v11, 15, v11
	v_lshlrev_b32_e32 v15, v15, v16
	v_sub_u32_e32 v14, 29, v14
	v_and_b32_e32 v15, 7, v15
	v_cmp_eq_u16_e32 vcc, 0, v11
	v_cndmask_b32_e32 v10, v10, v15, vcc
	v_cndmask_b32_e32 v11, v11, v14, vcc
	v_lshlrev_b32_e32 v14, 24, v16
	v_mov_b32_e32 v15, 0x3b800000
	v_lshlrev_b32_e32 v10, 20, v10
	v_and_b32_e32 v14, 0x80000000, v14
	v_lshl_add_u32 v11, v11, 23, v15
	v_or3_b32 v10, v14, v11, v10
.LBB22_68:
	s_or_b64 exec, exec, s[6:7]
	s_movk_i32 s4, 0x7f
	v_cmp_gt_i16_sdwa s[6:7], v12, s4 src0_sel:BYTE_0 src1_sel:DWORD
	s_mov_b64 s[4:5], 0
                                        ; implicit-def: $sgpr10
	s_and_saveexec_b64 s[8:9], s[6:7]
	s_xor_b64 s[6:7], exec, s[8:9]
	s_cbranch_execnz .LBB22_2117
; %bb.69:
	s_or_saveexec_b64 s[6:7], s[6:7]
	v_mov_b32_e32 v11, s10
	s_xor_b64 exec, exec, s[6:7]
	s_cbranch_execnz .LBB22_2120
.LBB22_70:
	s_or_b64 exec, exec, s[6:7]
	s_and_saveexec_b64 s[6:7], s[4:5]
	s_cbranch_execz .LBB22_72
.LBB22_71:
	v_and_b32_e32 v11, 7, v12
	v_ffbh_u32_e32 v15, v11
	v_min_u32_e32 v15, 32, v15
	v_lshrrev_b16_e32 v14, 3, v12
	v_subrev_u32_e32 v20, 28, v15
	v_and_b32_e32 v14, 15, v14
	v_lshlrev_b32_e32 v20, v20, v12
	v_sub_u32_e32 v15, 29, v15
	v_and_b32_e32 v20, 7, v20
	v_cmp_eq_u16_e32 vcc, 0, v14
	v_cndmask_b32_e32 v11, v11, v20, vcc
	v_cndmask_b32_e32 v14, v14, v15, vcc
	v_lshlrev_b32_e32 v15, 24, v12
	v_mov_b32_e32 v20, 0x3b800000
	v_lshlrev_b32_e32 v11, 20, v11
	v_and_b32_e32 v15, 0x80000000, v15
	v_lshl_add_u32 v14, v14, 23, v20
	v_or3_b32 v11, v15, v14, v11
.LBB22_72:
	s_or_b64 exec, exec, s[6:7]
	s_nop 0
	v_mfma_f32_16x16x4f32 a[0:3], v10, v11, a[0:3]
	v_lshrrev_b32_e32 v11, 8, v16
	s_movk_i32 s4, 0x7f
	v_cmp_gt_i16_sdwa s[6:7], v11, s4 src0_sel:BYTE_0 src1_sel:DWORD
	s_mov_b64 s[4:5], 0
                                        ; implicit-def: $sgpr10
	s_and_saveexec_b64 s[8:9], s[6:7]
	s_xor_b64 s[6:7], exec, s[8:9]
	s_cbranch_execnz .LBB22_2121
; %bb.73:
	s_or_saveexec_b64 s[6:7], s[6:7]
	v_mov_b32_e32 v10, s10
	s_xor_b64 exec, exec, s[6:7]
	s_cbranch_execnz .LBB22_2124
.LBB22_74:
	s_or_b64 exec, exec, s[6:7]
	s_and_saveexec_b64 s[6:7], s[4:5]
	s_cbranch_execz .LBB22_76
.LBB22_75:
	v_bfe_u32 v10, v16, 8, 3
	v_ffbh_u32_e32 v15, v10
	v_min_u32_e32 v15, 32, v15
	v_lshrrev_b16_e32 v14, 3, v11
	v_subrev_u32_e32 v20, 28, v15
	v_and_b32_e32 v14, 15, v14
	v_lshlrev_b32_e32 v11, v20, v11
	v_sub_u32_e32 v15, 29, v15
	v_and_b32_e32 v11, 7, v11
	v_cmp_eq_u16_e32 vcc, 0, v14
	v_cndmask_b32_e32 v10, v10, v11, vcc
	v_cndmask_b32_e32 v11, v14, v15, vcc
	v_lshlrev_b32_e32 v14, 16, v16
	v_mov_b32_e32 v15, 0x3b800000
	v_lshlrev_b32_e32 v10, 20, v10
	v_and_b32_e32 v14, 0x80000000, v14
	v_lshl_add_u32 v11, v11, 23, v15
	v_or3_b32 v10, v14, v11, v10
.LBB22_76:
	s_or_b64 exec, exec, s[6:7]
	v_lshrrev_b32_e32 v11, 8, v12
	s_movk_i32 s4, 0x7f
	v_cmp_gt_i16_sdwa s[6:7], v11, s4 src0_sel:BYTE_0 src1_sel:DWORD
	s_mov_b64 s[4:5], 0
                                        ; implicit-def: $sgpr10
	s_and_saveexec_b64 s[8:9], s[6:7]
	s_xor_b64 s[6:7], exec, s[8:9]
	s_cbranch_execnz .LBB22_2125
; %bb.77:
	s_or_saveexec_b64 s[6:7], s[6:7]
	v_mov_b32_e32 v14, s10
	s_xor_b64 exec, exec, s[6:7]
	s_cbranch_execnz .LBB22_2128
.LBB22_78:
	s_or_b64 exec, exec, s[6:7]
	s_and_saveexec_b64 s[6:7], s[4:5]
	s_cbranch_execz .LBB22_80
.LBB22_79:
	v_bfe_u32 v14, v12, 8, 3
	v_ffbh_u32_e32 v20, v14
	v_min_u32_e32 v20, 32, v20
	v_lshrrev_b16_e32 v15, 3, v11
	v_subrev_u32_e32 v21, 28, v20
	v_and_b32_e32 v15, 15, v15
	v_lshlrev_b32_e32 v11, v21, v11
	v_sub_u32_e32 v20, 29, v20
	v_and_b32_e32 v11, 7, v11
	v_cmp_eq_u16_e32 vcc, 0, v15
	v_cndmask_b32_e32 v11, v14, v11, vcc
	v_cndmask_b32_e32 v14, v15, v20, vcc
	v_lshlrev_b32_e32 v15, 16, v12
	v_mov_b32_e32 v20, 0x3b800000
	v_lshlrev_b32_e32 v11, 20, v11
	v_and_b32_e32 v15, 0x80000000, v15
	v_lshl_add_u32 v14, v14, 23, v20
	v_or3_b32 v14, v15, v14, v11
.LBB22_80:
	s_or_b64 exec, exec, s[6:7]
	s_nop 0
	v_mfma_f32_16x16x4f32 a[0:3], v10, v14, a[0:3]
	s_movk_i32 s4, 0xff
	v_and_b32_sdwa v11, v16, s4 dst_sel:DWORD dst_unused:UNUSED_PAD src0_sel:WORD_1 src1_sel:DWORD
	s_movk_i32 s4, 0x7f
	v_cmp_lt_i16_e32 vcc, s4, v11
	s_mov_b64 s[4:5], 0
                                        ; implicit-def: $sgpr10
	s_and_saveexec_b64 s[6:7], vcc
	s_xor_b64 s[6:7], exec, s[6:7]
	s_cbranch_execnz .LBB22_2129
; %bb.81:
	s_or_saveexec_b64 s[6:7], s[6:7]
	v_mov_b32_e32 v10, s10
	s_xor_b64 exec, exec, s[6:7]
	s_cbranch_execnz .LBB22_2132
.LBB22_82:
	s_or_b64 exec, exec, s[6:7]
	s_and_saveexec_b64 s[6:7], s[4:5]
	s_cbranch_execz .LBB22_84
.LBB22_83:
	v_bfe_u32 v10, v16, 16, 3
	v_ffbh_u32_e32 v15, v10
	v_min_u32_e32 v15, 32, v15
	v_lshrrev_b32_e32 v11, 19, v16
	v_subrev_u32_e32 v20, 28, v15
	v_and_b32_e32 v11, 15, v11
	v_lshlrev_b32_sdwa v20, v20, v16 dst_sel:DWORD dst_unused:UNUSED_PAD src0_sel:DWORD src1_sel:WORD_1
	v_bfe_u32 v14, v16, 19, 4
	v_sub_u32_e32 v15, 29, v15
	v_and_b32_e32 v20, 7, v20
	v_cmp_eq_u16_e32 vcc, 0, v11
	v_cndmask_b32_e32 v10, v10, v20, vcc
	v_cndmask_b32_e32 v11, v14, v15, vcc
	v_lshlrev_b32_e32 v14, 8, v16
	v_mov_b32_e32 v15, 0x3b800000
	v_lshlrev_b32_e32 v10, 20, v10
	v_and_b32_e32 v14, 0x80000000, v14
	v_lshl_add_u32 v11, v11, 23, v15
	v_or3_b32 v10, v14, v11, v10
.LBB22_84:
	s_or_b64 exec, exec, s[6:7]
	s_movk_i32 s4, 0xff
	v_and_b32_sdwa v11, v12, s4 dst_sel:DWORD dst_unused:UNUSED_PAD src0_sel:WORD_1 src1_sel:DWORD
	s_movk_i32 s4, 0x7f
	v_cmp_lt_i16_e32 vcc, s4, v11
	s_mov_b64 s[4:5], 0
                                        ; implicit-def: $sgpr10
	s_and_saveexec_b64 s[6:7], vcc
	s_xor_b64 s[6:7], exec, s[6:7]
	s_cbranch_execnz .LBB22_2133
; %bb.85:
	s_or_saveexec_b64 s[6:7], s[6:7]
	v_mov_b32_e32 v14, s10
	s_xor_b64 exec, exec, s[6:7]
	s_cbranch_execnz .LBB22_2136
.LBB22_86:
	s_or_b64 exec, exec, s[6:7]
	s_and_saveexec_b64 s[6:7], s[4:5]
	s_cbranch_execz .LBB22_88
.LBB22_87:
	v_bfe_u32 v11, v12, 16, 3
	v_ffbh_u32_e32 v20, v11
	v_min_u32_e32 v20, 32, v20
	v_lshrrev_b32_e32 v14, 19, v12
	v_subrev_u32_e32 v21, 28, v20
	v_and_b32_e32 v14, 15, v14
	v_lshlrev_b32_sdwa v21, v21, v12 dst_sel:DWORD dst_unused:UNUSED_PAD src0_sel:DWORD src1_sel:WORD_1
	v_bfe_u32 v15, v12, 19, 4
	v_sub_u32_e32 v20, 29, v20
	v_and_b32_e32 v21, 7, v21
	v_cmp_eq_u16_e32 vcc, 0, v14
	v_cndmask_b32_e32 v11, v11, v21, vcc
	v_cndmask_b32_e32 v14, v15, v20, vcc
	v_lshlrev_b32_e32 v15, 8, v12
	v_mov_b32_e32 v20, 0x3b800000
	v_lshlrev_b32_e32 v11, 20, v11
	v_and_b32_e32 v15, 0x80000000, v15
	v_lshl_add_u32 v14, v14, 23, v20
	v_or3_b32 v14, v15, v14, v11
.LBB22_88:
	s_or_b64 exec, exec, s[6:7]
	s_nop 0
	v_mfma_f32_16x16x4f32 a[0:3], v10, v14, a[0:3]
	s_movk_i32 s4, 0x7f
	v_cmp_gt_i16_sdwa s[6:7], v16, s4 src0_sel:BYTE_3 src1_sel:DWORD
	s_mov_b64 s[4:5], 0
                                        ; implicit-def: $sgpr10
	s_and_saveexec_b64 s[8:9], s[6:7]
	s_xor_b64 s[6:7], exec, s[8:9]
	s_cbranch_execnz .LBB22_2137
; %bb.89:
	s_or_saveexec_b64 s[6:7], s[6:7]
	v_mov_b32_e32 v10, s10
	s_xor_b64 exec, exec, s[6:7]
	s_cbranch_execnz .LBB22_2140
.LBB22_90:
	s_or_b64 exec, exec, s[6:7]
	s_and_saveexec_b64 s[6:7], s[4:5]
	s_cbranch_execz .LBB22_92
.LBB22_91:
	v_bfe_u32 v10, v16, 24, 3
	v_ffbh_u32_e32 v20, v10
	v_min_u32_e32 v20, 32, v20
	v_lshrrev_b32_e32 v14, 27, v16
	v_subrev_u32_e32 v21, 28, v20
	v_and_b32_e32 v11, 0x80000000, v16
	v_and_b32_e32 v14, 15, v14
	v_bfe_u32 v15, v16, 27, 4
	v_lshlrev_b32_sdwa v16, v21, v16 dst_sel:DWORD dst_unused:UNUSED_PAD src0_sel:DWORD src1_sel:BYTE_3
	v_sub_u32_e32 v20, 29, v20
	v_and_b32_e32 v16, 7, v16
	v_cmp_eq_u16_e32 vcc, 0, v14
	v_cndmask_b32_e32 v10, v10, v16, vcc
	v_cndmask_b32_e32 v14, v15, v20, vcc
	v_mov_b32_e32 v15, 0x3b800000
	v_lshlrev_b32_e32 v10, 20, v10
	v_lshl_add_u32 v14, v14, 23, v15
	v_or3_b32 v10, v11, v14, v10
.LBB22_92:
	s_or_b64 exec, exec, s[6:7]
	s_movk_i32 s4, 0x7f
	v_cmp_gt_i16_sdwa s[6:7], v12, s4 src0_sel:BYTE_3 src1_sel:DWORD
	s_mov_b64 s[4:5], 0
                                        ; implicit-def: $sgpr10
	s_and_saveexec_b64 s[8:9], s[6:7]
	s_xor_b64 s[6:7], exec, s[8:9]
	s_cbranch_execnz .LBB22_2141
; %bb.93:
	s_or_saveexec_b64 s[6:7], s[6:7]
	v_mov_b32_e32 v11, s10
	s_xor_b64 exec, exec, s[6:7]
	s_cbranch_execnz .LBB22_2144
.LBB22_94:
	s_or_b64 exec, exec, s[6:7]
	s_and_saveexec_b64 s[6:7], s[4:5]
	s_cbranch_execz .LBB22_96
.LBB22_95:
	v_bfe_u32 v11, v12, 24, 3
	v_ffbh_u32_e32 v20, v11
	v_min_u32_e32 v20, 32, v20
	v_lshrrev_b32_e32 v15, 27, v12
	v_subrev_u32_e32 v21, 28, v20
	v_and_b32_e32 v14, 0x80000000, v12
	v_and_b32_e32 v15, 15, v15
	v_bfe_u32 v16, v12, 27, 4
	v_lshlrev_b32_sdwa v12, v21, v12 dst_sel:DWORD dst_unused:UNUSED_PAD src0_sel:DWORD src1_sel:BYTE_3
	v_sub_u32_e32 v20, 29, v20
	v_and_b32_e32 v12, 7, v12
	v_cmp_eq_u16_e32 vcc, 0, v15
	v_cndmask_b32_e32 v11, v11, v12, vcc
	v_cndmask_b32_e32 v12, v16, v20, vcc
	v_mov_b32_e32 v15, 0x3b800000
	v_lshlrev_b32_e32 v11, 20, v11
	v_lshl_add_u32 v12, v12, 23, v15
	v_or3_b32 v11, v14, v12, v11
.LBB22_96:
	s_or_b64 exec, exec, s[6:7]
	s_nop 0
	v_mfma_f32_16x16x4f32 a[0:3], v10, v11, a[0:3]
	s_movk_i32 s4, 0x7f
	v_cmp_gt_i16_sdwa s[6:7], v17, s4 src0_sel:BYTE_0 src1_sel:DWORD
	s_mov_b64 s[4:5], 0
                                        ; implicit-def: $sgpr10
	s_and_saveexec_b64 s[8:9], s[6:7]
	s_xor_b64 s[6:7], exec, s[8:9]
	s_cbranch_execnz .LBB22_2145
; %bb.97:
	s_or_saveexec_b64 s[6:7], s[6:7]
	v_mov_b32_e32 v10, s10
	s_xor_b64 exec, exec, s[6:7]
	s_cbranch_execnz .LBB22_2148
.LBB22_98:
	s_or_b64 exec, exec, s[6:7]
	s_and_saveexec_b64 s[6:7], s[4:5]
	s_cbranch_execz .LBB22_100
.LBB22_99:
	v_and_b32_e32 v10, 7, v17
	v_ffbh_u32_e32 v12, v10
	v_min_u32_e32 v12, 32, v12
	v_lshrrev_b16_e32 v11, 3, v17
	v_subrev_u32_e32 v14, 28, v12
	v_and_b32_e32 v11, 15, v11
	v_lshlrev_b32_e32 v14, v14, v17
	v_sub_u32_e32 v12, 29, v12
	v_and_b32_e32 v14, 7, v14
	v_cmp_eq_u16_e32 vcc, 0, v11
	v_cndmask_b32_e32 v10, v10, v14, vcc
	v_cndmask_b32_e32 v11, v11, v12, vcc
	v_lshlrev_b32_e32 v12, 24, v17
	v_mov_b32_e32 v14, 0x3b800000
	v_lshlrev_b32_e32 v10, 20, v10
	v_and_b32_e32 v12, 0x80000000, v12
	v_lshl_add_u32 v11, v11, 23, v14
	v_or3_b32 v10, v12, v11, v10
.LBB22_100:
	s_or_b64 exec, exec, s[6:7]
	s_movk_i32 s4, 0x7f
	v_cmp_gt_i16_sdwa s[6:7], v13, s4 src0_sel:BYTE_0 src1_sel:DWORD
	s_mov_b64 s[4:5], 0
                                        ; implicit-def: $sgpr10
	s_and_saveexec_b64 s[8:9], s[6:7]
	s_xor_b64 s[6:7], exec, s[8:9]
	s_cbranch_execnz .LBB22_2149
; %bb.101:
	s_or_saveexec_b64 s[6:7], s[6:7]
	v_mov_b32_e32 v11, s10
	s_xor_b64 exec, exec, s[6:7]
	s_cbranch_execnz .LBB22_2152
.LBB22_102:
	s_or_b64 exec, exec, s[6:7]
	s_and_saveexec_b64 s[6:7], s[4:5]
	s_cbranch_execz .LBB22_104
.LBB22_103:
	v_and_b32_e32 v11, 7, v13
	v_ffbh_u32_e32 v14, v11
	v_min_u32_e32 v14, 32, v14
	v_lshrrev_b16_e32 v12, 3, v13
	v_subrev_u32_e32 v15, 28, v14
	v_and_b32_e32 v12, 15, v12
	v_lshlrev_b32_e32 v15, v15, v13
	v_sub_u32_e32 v14, 29, v14
	v_and_b32_e32 v15, 7, v15
	v_cmp_eq_u16_e32 vcc, 0, v12
	v_cndmask_b32_e32 v11, v11, v15, vcc
	v_cndmask_b32_e32 v12, v12, v14, vcc
	v_lshlrev_b32_e32 v14, 24, v13
	v_mov_b32_e32 v15, 0x3b800000
	v_lshlrev_b32_e32 v11, 20, v11
	v_and_b32_e32 v14, 0x80000000, v14
	v_lshl_add_u32 v12, v12, 23, v15
	v_or3_b32 v11, v14, v12, v11
.LBB22_104:
	s_or_b64 exec, exec, s[6:7]
	s_nop 0
	v_mfma_f32_16x16x4f32 a[0:3], v10, v11, a[0:3]
	v_lshrrev_b32_e32 v11, 8, v17
	s_movk_i32 s4, 0x7f
	v_cmp_gt_i16_sdwa s[6:7], v11, s4 src0_sel:BYTE_0 src1_sel:DWORD
	s_mov_b64 s[4:5], 0
                                        ; implicit-def: $sgpr10
	s_and_saveexec_b64 s[8:9], s[6:7]
	s_xor_b64 s[6:7], exec, s[8:9]
	s_cbranch_execnz .LBB22_2153
; %bb.105:
	s_or_saveexec_b64 s[6:7], s[6:7]
	v_mov_b32_e32 v10, s10
	s_xor_b64 exec, exec, s[6:7]
	s_cbranch_execnz .LBB22_2156
.LBB22_106:
	s_or_b64 exec, exec, s[6:7]
	s_and_saveexec_b64 s[6:7], s[4:5]
	s_cbranch_execz .LBB22_108
.LBB22_107:
	v_bfe_u32 v10, v17, 8, 3
	v_ffbh_u32_e32 v14, v10
	v_min_u32_e32 v14, 32, v14
	v_lshrrev_b16_e32 v12, 3, v11
	v_subrev_u32_e32 v15, 28, v14
	v_and_b32_e32 v12, 15, v12
	v_lshlrev_b32_e32 v11, v15, v11
	v_sub_u32_e32 v14, 29, v14
	v_and_b32_e32 v11, 7, v11
	v_cmp_eq_u16_e32 vcc, 0, v12
	v_cndmask_b32_e32 v10, v10, v11, vcc
	v_cndmask_b32_e32 v11, v12, v14, vcc
	v_lshlrev_b32_e32 v12, 16, v17
	v_mov_b32_e32 v14, 0x3b800000
	v_lshlrev_b32_e32 v10, 20, v10
	v_and_b32_e32 v12, 0x80000000, v12
	v_lshl_add_u32 v11, v11, 23, v14
	v_or3_b32 v10, v12, v11, v10
.LBB22_108:
	s_or_b64 exec, exec, s[6:7]
	v_lshrrev_b32_e32 v11, 8, v13
	s_movk_i32 s4, 0x7f
	v_cmp_gt_i16_sdwa s[6:7], v11, s4 src0_sel:BYTE_0 src1_sel:DWORD
	s_mov_b64 s[4:5], 0
                                        ; implicit-def: $sgpr10
	s_and_saveexec_b64 s[8:9], s[6:7]
	s_xor_b64 s[6:7], exec, s[8:9]
	s_cbranch_execnz .LBB22_2157
; %bb.109:
	s_or_saveexec_b64 s[6:7], s[6:7]
	v_mov_b32_e32 v12, s10
	s_xor_b64 exec, exec, s[6:7]
	s_cbranch_execnz .LBB22_2160
.LBB22_110:
	s_or_b64 exec, exec, s[6:7]
	s_and_saveexec_b64 s[6:7], s[4:5]
	s_cbranch_execz .LBB22_112
.LBB22_111:
	v_bfe_u32 v12, v13, 8, 3
	v_ffbh_u32_e32 v15, v12
	v_min_u32_e32 v15, 32, v15
	v_lshrrev_b16_e32 v14, 3, v11
	v_subrev_u32_e32 v16, 28, v15
	v_and_b32_e32 v14, 15, v14
	v_lshlrev_b32_e32 v11, v16, v11
	v_sub_u32_e32 v15, 29, v15
	v_and_b32_e32 v11, 7, v11
	v_cmp_eq_u16_e32 vcc, 0, v14
	v_cndmask_b32_e32 v11, v12, v11, vcc
	v_cndmask_b32_e32 v12, v14, v15, vcc
	v_lshlrev_b32_e32 v14, 16, v13
	v_mov_b32_e32 v15, 0x3b800000
	v_lshlrev_b32_e32 v11, 20, v11
	v_and_b32_e32 v14, 0x80000000, v14
	v_lshl_add_u32 v12, v12, 23, v15
	v_or3_b32 v12, v14, v12, v11
.LBB22_112:
	s_or_b64 exec, exec, s[6:7]
	s_nop 0
	v_mfma_f32_16x16x4f32 a[0:3], v10, v12, a[0:3]
	s_movk_i32 s4, 0xff
	v_and_b32_sdwa v11, v17, s4 dst_sel:DWORD dst_unused:UNUSED_PAD src0_sel:WORD_1 src1_sel:DWORD
	s_movk_i32 s4, 0x7f
	v_cmp_lt_i16_e32 vcc, s4, v11
	s_mov_b64 s[4:5], 0
                                        ; implicit-def: $sgpr10
	s_and_saveexec_b64 s[6:7], vcc
	s_xor_b64 s[6:7], exec, s[6:7]
	s_cbranch_execnz .LBB22_2161
; %bb.113:
	s_or_saveexec_b64 s[6:7], s[6:7]
	v_mov_b32_e32 v10, s10
	s_xor_b64 exec, exec, s[6:7]
	s_cbranch_execnz .LBB22_2164
.LBB22_114:
	s_or_b64 exec, exec, s[6:7]
	s_and_saveexec_b64 s[6:7], s[4:5]
	s_cbranch_execz .LBB22_116
.LBB22_115:
	v_bfe_u32 v10, v17, 16, 3
	v_ffbh_u32_e32 v14, v10
	v_min_u32_e32 v14, 32, v14
	v_lshrrev_b32_e32 v11, 19, v17
	v_subrev_u32_e32 v15, 28, v14
	v_and_b32_e32 v11, 15, v11
	v_lshlrev_b32_sdwa v15, v15, v17 dst_sel:DWORD dst_unused:UNUSED_PAD src0_sel:DWORD src1_sel:WORD_1
	v_bfe_u32 v12, v17, 19, 4
	v_sub_u32_e32 v14, 29, v14
	v_and_b32_e32 v15, 7, v15
	v_cmp_eq_u16_e32 vcc, 0, v11
	v_cndmask_b32_e32 v10, v10, v15, vcc
	v_cndmask_b32_e32 v11, v12, v14, vcc
	v_lshlrev_b32_e32 v12, 8, v17
	v_mov_b32_e32 v14, 0x3b800000
	v_lshlrev_b32_e32 v10, 20, v10
	v_and_b32_e32 v12, 0x80000000, v12
	v_lshl_add_u32 v11, v11, 23, v14
	v_or3_b32 v10, v12, v11, v10
.LBB22_116:
	s_or_b64 exec, exec, s[6:7]
	s_movk_i32 s4, 0xff
	v_and_b32_sdwa v11, v13, s4 dst_sel:DWORD dst_unused:UNUSED_PAD src0_sel:WORD_1 src1_sel:DWORD
	s_movk_i32 s4, 0x7f
	v_cmp_lt_i16_e32 vcc, s4, v11
	s_mov_b64 s[4:5], 0
                                        ; implicit-def: $sgpr10
	s_and_saveexec_b64 s[6:7], vcc
	s_xor_b64 s[6:7], exec, s[6:7]
	s_cbranch_execnz .LBB22_2165
; %bb.117:
	s_or_saveexec_b64 s[6:7], s[6:7]
	v_mov_b32_e32 v12, s10
	s_xor_b64 exec, exec, s[6:7]
	s_cbranch_execnz .LBB22_2168
.LBB22_118:
	s_or_b64 exec, exec, s[6:7]
	s_and_saveexec_b64 s[6:7], s[4:5]
	s_cbranch_execz .LBB22_120
.LBB22_119:
	v_bfe_u32 v11, v13, 16, 3
	v_ffbh_u32_e32 v15, v11
	v_min_u32_e32 v15, 32, v15
	v_lshrrev_b32_e32 v12, 19, v13
	v_subrev_u32_e32 v16, 28, v15
	v_and_b32_e32 v12, 15, v12
	v_lshlrev_b32_sdwa v16, v16, v13 dst_sel:DWORD dst_unused:UNUSED_PAD src0_sel:DWORD src1_sel:WORD_1
	v_bfe_u32 v14, v13, 19, 4
	v_sub_u32_e32 v15, 29, v15
	v_and_b32_e32 v16, 7, v16
	v_cmp_eq_u16_e32 vcc, 0, v12
	v_cndmask_b32_e32 v11, v11, v16, vcc
	v_cndmask_b32_e32 v12, v14, v15, vcc
	v_lshlrev_b32_e32 v14, 8, v13
	v_mov_b32_e32 v15, 0x3b800000
	v_lshlrev_b32_e32 v11, 20, v11
	v_and_b32_e32 v14, 0x80000000, v14
	v_lshl_add_u32 v12, v12, 23, v15
	v_or3_b32 v12, v14, v12, v11
.LBB22_120:
	s_or_b64 exec, exec, s[6:7]
	s_nop 0
	v_mfma_f32_16x16x4f32 a[0:3], v10, v12, a[0:3]
	s_movk_i32 s4, 0x7f
	v_cmp_gt_i16_sdwa s[6:7], v17, s4 src0_sel:BYTE_3 src1_sel:DWORD
	s_mov_b64 s[4:5], 0
                                        ; implicit-def: $sgpr10
	s_and_saveexec_b64 s[8:9], s[6:7]
	s_xor_b64 s[6:7], exec, s[8:9]
	s_cbranch_execnz .LBB22_2169
; %bb.121:
	s_or_saveexec_b64 s[6:7], s[6:7]
	v_mov_b32_e32 v10, s10
	s_xor_b64 exec, exec, s[6:7]
	s_cbranch_execnz .LBB22_2172
.LBB22_122:
	s_or_b64 exec, exec, s[6:7]
	s_and_saveexec_b64 s[6:7], s[4:5]
	s_cbranch_execz .LBB22_124
.LBB22_123:
	v_bfe_u32 v10, v17, 24, 3
	v_ffbh_u32_e32 v15, v10
	v_min_u32_e32 v15, 32, v15
	v_lshrrev_b32_e32 v12, 27, v17
	v_subrev_u32_e32 v16, 28, v15
	v_and_b32_e32 v12, 15, v12
	v_lshlrev_b32_sdwa v16, v16, v17 dst_sel:DWORD dst_unused:UNUSED_PAD src0_sel:DWORD src1_sel:BYTE_3
	v_bfe_u32 v14, v17, 27, 4
	v_sub_u32_e32 v15, 29, v15
	v_and_b32_e32 v16, 7, v16
	v_cmp_eq_u16_e32 vcc, 0, v12
	v_cndmask_b32_e32 v10, v10, v16, vcc
	v_cndmask_b32_e32 v12, v14, v15, vcc
	v_mov_b32_e32 v14, 0x3b800000
	v_and_b32_e32 v11, 0x80000000, v17
	v_lshlrev_b32_e32 v10, 20, v10
	v_lshl_add_u32 v12, v12, 23, v14
	v_or3_b32 v10, v11, v12, v10
.LBB22_124:
	s_or_b64 exec, exec, s[6:7]
	s_movk_i32 s4, 0x7f
	v_cmp_gt_i16_sdwa s[6:7], v13, s4 src0_sel:BYTE_3 src1_sel:DWORD
	s_mov_b64 s[4:5], 0
                                        ; implicit-def: $sgpr10
	s_and_saveexec_b64 s[8:9], s[6:7]
	s_xor_b64 s[6:7], exec, s[8:9]
	s_cbranch_execnz .LBB22_2173
; %bb.125:
	s_or_saveexec_b64 s[6:7], s[6:7]
	v_mov_b32_e32 v11, s10
	s_xor_b64 exec, exec, s[6:7]
	s_cbranch_execnz .LBB22_2176
.LBB22_126:
	s_or_b64 exec, exec, s[6:7]
	s_and_saveexec_b64 s[6:7], s[4:5]
	s_cbranch_execz .LBB22_128
.LBB22_127:
	v_bfe_u32 v11, v13, 24, 3
	v_ffbh_u32_e32 v16, v11
	v_min_u32_e32 v16, 32, v16
	v_lshrrev_b32_e32 v14, 27, v13
	v_subrev_u32_e32 v17, 28, v16
	v_and_b32_e32 v12, 0x80000000, v13
	v_and_b32_e32 v14, 15, v14
	v_bfe_u32 v15, v13, 27, 4
	v_lshlrev_b32_sdwa v13, v17, v13 dst_sel:DWORD dst_unused:UNUSED_PAD src0_sel:DWORD src1_sel:BYTE_3
	v_sub_u32_e32 v16, 29, v16
	v_and_b32_e32 v13, 7, v13
	v_cmp_eq_u16_e32 vcc, 0, v14
	v_cndmask_b32_e32 v11, v11, v13, vcc
	v_cndmask_b32_e32 v13, v15, v16, vcc
	v_mov_b32_e32 v14, 0x3b800000
	v_lshlrev_b32_e32 v11, 20, v11
	v_lshl_add_u32 v13, v13, 23, v14
	v_or3_b32 v11, v12, v13, v11
.LBB22_128:
	s_or_b64 exec, exec, s[6:7]
	s_nop 0
	v_mfma_f32_16x16x4f32 a[0:3], v10, v11, a[0:3]
	s_movk_i32 s4, 0x7f
	v_cmp_gt_i16_sdwa s[6:7], v6, s4 src0_sel:BYTE_0 src1_sel:DWORD
	s_mov_b64 s[4:5], 0
                                        ; implicit-def: $sgpr10
	s_and_saveexec_b64 s[8:9], s[6:7]
	s_xor_b64 s[6:7], exec, s[8:9]
	s_cbranch_execnz .LBB22_2177
; %bb.129:
	s_or_saveexec_b64 s[6:7], s[6:7]
	v_mov_b32_e32 v10, s10
	s_xor_b64 exec, exec, s[6:7]
	s_cbranch_execnz .LBB22_2180
.LBB22_130:
	s_or_b64 exec, exec, s[6:7]
	s_and_saveexec_b64 s[6:7], s[4:5]
	s_cbranch_execz .LBB22_132
.LBB22_131:
	v_and_b32_e32 v10, 7, v6
	v_ffbh_u32_e32 v12, v10
	v_min_u32_e32 v12, 32, v12
	v_lshrrev_b16_e32 v11, 3, v6
	v_subrev_u32_e32 v13, 28, v12
	v_and_b32_e32 v11, 15, v11
	v_lshlrev_b32_e32 v13, v13, v6
	v_sub_u32_e32 v12, 29, v12
	v_and_b32_e32 v13, 7, v13
	v_cmp_eq_u16_e32 vcc, 0, v11
	v_cndmask_b32_e32 v10, v10, v13, vcc
	v_cndmask_b32_e32 v11, v11, v12, vcc
	v_lshlrev_b32_e32 v12, 24, v6
	v_mov_b32_e32 v13, 0x3b800000
	v_lshlrev_b32_e32 v10, 20, v10
	v_and_b32_e32 v12, 0x80000000, v12
	v_lshl_add_u32 v11, v11, 23, v13
	v_or3_b32 v10, v12, v11, v10
.LBB22_132:
	s_or_b64 exec, exec, s[6:7]
	s_movk_i32 s4, 0x7f
	v_cmp_gt_i16_sdwa s[6:7], v2, s4 src0_sel:BYTE_0 src1_sel:DWORD
	s_mov_b64 s[4:5], 0
                                        ; implicit-def: $sgpr10
	s_and_saveexec_b64 s[8:9], s[6:7]
	s_xor_b64 s[6:7], exec, s[8:9]
	s_cbranch_execnz .LBB22_2181
; %bb.133:
	s_or_saveexec_b64 s[6:7], s[6:7]
	v_mov_b32_e32 v11, s10
	s_xor_b64 exec, exec, s[6:7]
	s_cbranch_execnz .LBB22_2184
.LBB22_134:
	s_or_b64 exec, exec, s[6:7]
	s_and_saveexec_b64 s[6:7], s[4:5]
	s_cbranch_execz .LBB22_136
.LBB22_135:
	v_and_b32_e32 v11, 7, v2
	v_ffbh_u32_e32 v13, v11
	v_min_u32_e32 v13, 32, v13
	v_lshrrev_b16_e32 v12, 3, v2
	v_subrev_u32_e32 v14, 28, v13
	v_and_b32_e32 v12, 15, v12
	v_lshlrev_b32_e32 v14, v14, v2
	v_sub_u32_e32 v13, 29, v13
	v_and_b32_e32 v14, 7, v14
	v_cmp_eq_u16_e32 vcc, 0, v12
	v_cndmask_b32_e32 v11, v11, v14, vcc
	v_cndmask_b32_e32 v12, v12, v13, vcc
	v_lshlrev_b32_e32 v13, 24, v2
	v_mov_b32_e32 v14, 0x3b800000
	v_lshlrev_b32_e32 v11, 20, v11
	v_and_b32_e32 v13, 0x80000000, v13
	v_lshl_add_u32 v12, v12, 23, v14
	v_or3_b32 v11, v13, v12, v11
.LBB22_136:
	s_or_b64 exec, exec, s[6:7]
	s_nop 0
	v_mfma_f32_16x16x4f32 a[0:3], v10, v11, a[0:3]
	v_lshrrev_b32_e32 v11, 8, v6
	s_movk_i32 s4, 0x7f
	v_cmp_gt_i16_sdwa s[6:7], v11, s4 src0_sel:BYTE_0 src1_sel:DWORD
	s_mov_b64 s[4:5], 0
                                        ; implicit-def: $sgpr10
	s_and_saveexec_b64 s[8:9], s[6:7]
	s_xor_b64 s[6:7], exec, s[8:9]
	s_cbranch_execnz .LBB22_2185
; %bb.137:
	s_or_saveexec_b64 s[6:7], s[6:7]
	v_mov_b32_e32 v10, s10
	s_xor_b64 exec, exec, s[6:7]
	s_cbranch_execnz .LBB22_2188
.LBB22_138:
	s_or_b64 exec, exec, s[6:7]
	s_and_saveexec_b64 s[6:7], s[4:5]
	s_cbranch_execz .LBB22_140
.LBB22_139:
	v_bfe_u32 v10, v6, 8, 3
	v_ffbh_u32_e32 v13, v10
	v_min_u32_e32 v13, 32, v13
	v_lshrrev_b16_e32 v12, 3, v11
	v_subrev_u32_e32 v14, 28, v13
	v_and_b32_e32 v12, 15, v12
	v_lshlrev_b32_e32 v11, v14, v11
	v_sub_u32_e32 v13, 29, v13
	v_and_b32_e32 v11, 7, v11
	v_cmp_eq_u16_e32 vcc, 0, v12
	v_cndmask_b32_e32 v10, v10, v11, vcc
	v_cndmask_b32_e32 v11, v12, v13, vcc
	v_lshlrev_b32_e32 v12, 16, v6
	v_mov_b32_e32 v13, 0x3b800000
	v_lshlrev_b32_e32 v10, 20, v10
	v_and_b32_e32 v12, 0x80000000, v12
	v_lshl_add_u32 v11, v11, 23, v13
	v_or3_b32 v10, v12, v11, v10
.LBB22_140:
	s_or_b64 exec, exec, s[6:7]
	v_lshrrev_b32_e32 v11, 8, v2
	s_movk_i32 s4, 0x7f
	v_cmp_gt_i16_sdwa s[6:7], v11, s4 src0_sel:BYTE_0 src1_sel:DWORD
	s_mov_b64 s[4:5], 0
                                        ; implicit-def: $sgpr10
	s_and_saveexec_b64 s[8:9], s[6:7]
	s_xor_b64 s[6:7], exec, s[8:9]
	s_cbranch_execnz .LBB22_2189
; %bb.141:
	s_or_saveexec_b64 s[6:7], s[6:7]
	v_mov_b32_e32 v12, s10
	s_xor_b64 exec, exec, s[6:7]
	s_cbranch_execnz .LBB22_2192
.LBB22_142:
	s_or_b64 exec, exec, s[6:7]
	s_and_saveexec_b64 s[6:7], s[4:5]
	s_cbranch_execz .LBB22_144
.LBB22_143:
	v_bfe_u32 v12, v2, 8, 3
	v_ffbh_u32_e32 v14, v12
	v_min_u32_e32 v14, 32, v14
	v_lshrrev_b16_e32 v13, 3, v11
	v_subrev_u32_e32 v15, 28, v14
	v_and_b32_e32 v13, 15, v13
	v_lshlrev_b32_e32 v11, v15, v11
	v_sub_u32_e32 v14, 29, v14
	v_and_b32_e32 v11, 7, v11
	v_cmp_eq_u16_e32 vcc, 0, v13
	v_cndmask_b32_e32 v11, v12, v11, vcc
	v_cndmask_b32_e32 v12, v13, v14, vcc
	v_lshlrev_b32_e32 v13, 16, v2
	v_mov_b32_e32 v14, 0x3b800000
	v_lshlrev_b32_e32 v11, 20, v11
	v_and_b32_e32 v13, 0x80000000, v13
	v_lshl_add_u32 v12, v12, 23, v14
	v_or3_b32 v12, v13, v12, v11
.LBB22_144:
	s_or_b64 exec, exec, s[6:7]
	s_nop 0
	v_mfma_f32_16x16x4f32 a[0:3], v10, v12, a[0:3]
	s_movk_i32 s4, 0xff
	v_and_b32_sdwa v11, v6, s4 dst_sel:DWORD dst_unused:UNUSED_PAD src0_sel:WORD_1 src1_sel:DWORD
	s_movk_i32 s4, 0x7f
	v_cmp_lt_i16_e32 vcc, s4, v11
	s_mov_b64 s[4:5], 0
                                        ; implicit-def: $sgpr10
	s_and_saveexec_b64 s[6:7], vcc
	s_xor_b64 s[6:7], exec, s[6:7]
	s_cbranch_execnz .LBB22_2193
; %bb.145:
	s_or_saveexec_b64 s[6:7], s[6:7]
	v_mov_b32_e32 v10, s10
	s_xor_b64 exec, exec, s[6:7]
	s_cbranch_execnz .LBB22_2196
.LBB22_146:
	s_or_b64 exec, exec, s[6:7]
	s_and_saveexec_b64 s[6:7], s[4:5]
	s_cbranch_execz .LBB22_148
.LBB22_147:
	v_bfe_u32 v10, v6, 16, 3
	v_ffbh_u32_e32 v13, v10
	v_min_u32_e32 v13, 32, v13
	v_lshrrev_b32_e32 v11, 19, v6
	v_subrev_u32_e32 v14, 28, v13
	v_and_b32_e32 v11, 15, v11
	v_lshlrev_b32_sdwa v14, v14, v6 dst_sel:DWORD dst_unused:UNUSED_PAD src0_sel:DWORD src1_sel:WORD_1
	v_bfe_u32 v12, v6, 19, 4
	v_sub_u32_e32 v13, 29, v13
	v_and_b32_e32 v14, 7, v14
	v_cmp_eq_u16_e32 vcc, 0, v11
	v_cndmask_b32_e32 v10, v10, v14, vcc
	v_cndmask_b32_e32 v11, v12, v13, vcc
	v_lshlrev_b32_e32 v12, 8, v6
	v_mov_b32_e32 v13, 0x3b800000
	v_lshlrev_b32_e32 v10, 20, v10
	v_and_b32_e32 v12, 0x80000000, v12
	v_lshl_add_u32 v11, v11, 23, v13
	v_or3_b32 v10, v12, v11, v10
.LBB22_148:
	s_or_b64 exec, exec, s[6:7]
	s_movk_i32 s4, 0xff
	v_and_b32_sdwa v11, v2, s4 dst_sel:DWORD dst_unused:UNUSED_PAD src0_sel:WORD_1 src1_sel:DWORD
	s_movk_i32 s4, 0x7f
	v_cmp_lt_i16_e32 vcc, s4, v11
	s_mov_b64 s[4:5], 0
                                        ; implicit-def: $sgpr10
	s_and_saveexec_b64 s[6:7], vcc
	s_xor_b64 s[6:7], exec, s[6:7]
	s_cbranch_execnz .LBB22_2197
; %bb.149:
	s_or_saveexec_b64 s[6:7], s[6:7]
	v_mov_b32_e32 v12, s10
	s_xor_b64 exec, exec, s[6:7]
	s_cbranch_execnz .LBB22_2200
.LBB22_150:
	s_or_b64 exec, exec, s[6:7]
	s_and_saveexec_b64 s[6:7], s[4:5]
	s_cbranch_execz .LBB22_152
.LBB22_151:
	v_bfe_u32 v11, v2, 16, 3
	v_ffbh_u32_e32 v14, v11
	v_min_u32_e32 v14, 32, v14
	v_lshrrev_b32_e32 v12, 19, v2
	v_subrev_u32_e32 v15, 28, v14
	v_and_b32_e32 v12, 15, v12
	v_lshlrev_b32_sdwa v15, v15, v2 dst_sel:DWORD dst_unused:UNUSED_PAD src0_sel:DWORD src1_sel:WORD_1
	v_bfe_u32 v13, v2, 19, 4
	v_sub_u32_e32 v14, 29, v14
	v_and_b32_e32 v15, 7, v15
	v_cmp_eq_u16_e32 vcc, 0, v12
	v_cndmask_b32_e32 v11, v11, v15, vcc
	v_cndmask_b32_e32 v12, v13, v14, vcc
	v_lshlrev_b32_e32 v13, 8, v2
	v_mov_b32_e32 v14, 0x3b800000
	v_lshlrev_b32_e32 v11, 20, v11
	v_and_b32_e32 v13, 0x80000000, v13
	v_lshl_add_u32 v12, v12, 23, v14
	v_or3_b32 v12, v13, v12, v11
.LBB22_152:
	s_or_b64 exec, exec, s[6:7]
	s_nop 0
	v_mfma_f32_16x16x4f32 a[0:3], v10, v12, a[0:3]
	s_movk_i32 s4, 0x7f
	v_cmp_gt_i16_sdwa s[6:7], v6, s4 src0_sel:BYTE_3 src1_sel:DWORD
	s_mov_b64 s[4:5], 0
                                        ; implicit-def: $sgpr10
	s_and_saveexec_b64 s[8:9], s[6:7]
	s_xor_b64 s[6:7], exec, s[8:9]
	s_cbranch_execnz .LBB22_2201
; %bb.153:
	s_or_saveexec_b64 s[6:7], s[6:7]
	v_mov_b32_e32 v10, s10
	s_xor_b64 exec, exec, s[6:7]
	s_cbranch_execnz .LBB22_2204
.LBB22_154:
	s_or_b64 exec, exec, s[6:7]
	s_and_saveexec_b64 s[6:7], s[4:5]
	s_cbranch_execz .LBB22_156
.LBB22_155:
	v_bfe_u32 v10, v6, 24, 3
	v_ffbh_u32_e32 v14, v10
	v_min_u32_e32 v14, 32, v14
	v_lshrrev_b32_e32 v12, 27, v6
	v_subrev_u32_e32 v15, 28, v14
	v_and_b32_e32 v11, 0x80000000, v6
	v_and_b32_e32 v12, 15, v12
	v_bfe_u32 v13, v6, 27, 4
	v_lshlrev_b32_sdwa v6, v15, v6 dst_sel:DWORD dst_unused:UNUSED_PAD src0_sel:DWORD src1_sel:BYTE_3
	v_sub_u32_e32 v14, 29, v14
	v_and_b32_e32 v6, 7, v6
	v_cmp_eq_u16_e32 vcc, 0, v12
	v_cndmask_b32_e32 v6, v10, v6, vcc
	v_cndmask_b32_e32 v10, v13, v14, vcc
	v_mov_b32_e32 v12, 0x3b800000
	v_lshlrev_b32_e32 v6, 20, v6
	v_lshl_add_u32 v10, v10, 23, v12
	v_or3_b32 v10, v11, v10, v6
.LBB22_156:
	s_or_b64 exec, exec, s[6:7]
	s_movk_i32 s4, 0x7f
	v_cmp_gt_i16_sdwa s[6:7], v2, s4 src0_sel:BYTE_3 src1_sel:DWORD
	s_mov_b64 s[4:5], 0
                                        ; implicit-def: $sgpr10
	s_and_saveexec_b64 s[8:9], s[6:7]
	s_xor_b64 s[6:7], exec, s[8:9]
	s_cbranch_execnz .LBB22_2205
; %bb.157:
	s_or_saveexec_b64 s[6:7], s[6:7]
	v_mov_b32_e32 v6, s10
	s_xor_b64 exec, exec, s[6:7]
	s_cbranch_execnz .LBB22_2208
.LBB22_158:
	s_or_b64 exec, exec, s[6:7]
	s_and_saveexec_b64 s[6:7], s[4:5]
	s_cbranch_execz .LBB22_160
.LBB22_159:
	v_bfe_u32 v6, v2, 24, 3
	v_ffbh_u32_e32 v14, v6
	v_min_u32_e32 v14, 32, v14
	v_lshrrev_b32_e32 v12, 27, v2
	v_subrev_u32_e32 v15, 28, v14
	v_and_b32_e32 v11, 0x80000000, v2
	v_and_b32_e32 v12, 15, v12
	v_bfe_u32 v13, v2, 27, 4
	v_lshlrev_b32_sdwa v2, v15, v2 dst_sel:DWORD dst_unused:UNUSED_PAD src0_sel:DWORD src1_sel:BYTE_3
	v_sub_u32_e32 v14, 29, v14
	v_and_b32_e32 v2, 7, v2
	v_cmp_eq_u16_e32 vcc, 0, v12
	v_cndmask_b32_e32 v2, v6, v2, vcc
	v_cndmask_b32_e32 v6, v13, v14, vcc
	v_mov_b32_e32 v12, 0x3b800000
	v_lshlrev_b32_e32 v2, 20, v2
	v_lshl_add_u32 v6, v6, 23, v12
	v_or3_b32 v6, v11, v6, v2
.LBB22_160:
	s_or_b64 exec, exec, s[6:7]
	s_nop 0
	v_mfma_f32_16x16x4f32 a[0:3], v10, v6, a[0:3]
	s_movk_i32 s4, 0x7f
	v_cmp_gt_i16_sdwa s[6:7], v7, s4 src0_sel:BYTE_0 src1_sel:DWORD
	s_mov_b64 s[4:5], 0
                                        ; implicit-def: $sgpr10
	s_and_saveexec_b64 s[8:9], s[6:7]
	s_xor_b64 s[6:7], exec, s[8:9]
	s_cbranch_execnz .LBB22_2209
; %bb.161:
	s_or_saveexec_b64 s[6:7], s[6:7]
	v_mov_b32_e32 v2, s10
	s_xor_b64 exec, exec, s[6:7]
	s_cbranch_execnz .LBB22_2212
.LBB22_162:
	s_or_b64 exec, exec, s[6:7]
	s_and_saveexec_b64 s[6:7], s[4:5]
	s_cbranch_execz .LBB22_164
.LBB22_163:
	v_and_b32_e32 v2, 7, v7
	v_ffbh_u32_e32 v10, v2
	v_min_u32_e32 v10, 32, v10
	v_lshrrev_b16_e32 v6, 3, v7
	v_subrev_u32_e32 v11, 28, v10
	v_and_b32_e32 v6, 15, v6
	v_lshlrev_b32_e32 v11, v11, v7
	v_sub_u32_e32 v10, 29, v10
	v_and_b32_e32 v11, 7, v11
	v_cmp_eq_u16_e32 vcc, 0, v6
	v_cndmask_b32_e32 v2, v2, v11, vcc
	v_cndmask_b32_e32 v6, v6, v10, vcc
	v_lshlrev_b32_e32 v10, 24, v7
	v_mov_b32_e32 v11, 0x3b800000
	v_lshlrev_b32_e32 v2, 20, v2
	v_and_b32_e32 v10, 0x80000000, v10
	v_lshl_add_u32 v6, v6, 23, v11
	v_or3_b32 v2, v10, v6, v2
.LBB22_164:
	s_or_b64 exec, exec, s[6:7]
	s_movk_i32 s4, 0x7f
	v_cmp_gt_i16_sdwa s[6:7], v3, s4 src0_sel:BYTE_0 src1_sel:DWORD
	s_mov_b64 s[4:5], 0
                                        ; implicit-def: $sgpr10
	s_and_saveexec_b64 s[8:9], s[6:7]
	s_xor_b64 s[6:7], exec, s[8:9]
	s_cbranch_execnz .LBB22_2213
; %bb.165:
	s_or_saveexec_b64 s[6:7], s[6:7]
	v_mov_b32_e32 v6, s10
	s_xor_b64 exec, exec, s[6:7]
	s_cbranch_execnz .LBB22_2216
.LBB22_166:
	s_or_b64 exec, exec, s[6:7]
	s_and_saveexec_b64 s[6:7], s[4:5]
	s_cbranch_execz .LBB22_168
.LBB22_167:
	v_and_b32_e32 v6, 7, v3
	v_ffbh_u32_e32 v11, v6
	v_min_u32_e32 v11, 32, v11
	v_lshrrev_b16_e32 v10, 3, v3
	v_subrev_u32_e32 v12, 28, v11
	v_and_b32_e32 v10, 15, v10
	v_lshlrev_b32_e32 v12, v12, v3
	v_sub_u32_e32 v11, 29, v11
	v_and_b32_e32 v12, 7, v12
	v_cmp_eq_u16_e32 vcc, 0, v10
	v_cndmask_b32_e32 v6, v6, v12, vcc
	v_cndmask_b32_e32 v10, v10, v11, vcc
	v_lshlrev_b32_e32 v11, 24, v3
	v_mov_b32_e32 v12, 0x3b800000
	v_lshlrev_b32_e32 v6, 20, v6
	v_and_b32_e32 v11, 0x80000000, v11
	v_lshl_add_u32 v10, v10, 23, v12
	v_or3_b32 v6, v11, v10, v6
.LBB22_168:
	s_or_b64 exec, exec, s[6:7]
	s_nop 0
	v_mfma_f32_16x16x4f32 a[0:3], v2, v6, a[0:3]
	v_lshrrev_b32_e32 v6, 8, v7
	s_movk_i32 s4, 0x7f
	v_cmp_gt_i16_sdwa s[6:7], v6, s4 src0_sel:BYTE_0 src1_sel:DWORD
	s_mov_b64 s[4:5], 0
                                        ; implicit-def: $sgpr10
	s_and_saveexec_b64 s[8:9], s[6:7]
	s_xor_b64 s[6:7], exec, s[8:9]
	s_cbranch_execnz .LBB22_2217
; %bb.169:
	s_or_saveexec_b64 s[6:7], s[6:7]
	v_mov_b32_e32 v2, s10
	s_xor_b64 exec, exec, s[6:7]
	s_cbranch_execnz .LBB22_2220
.LBB22_170:
	s_or_b64 exec, exec, s[6:7]
	s_and_saveexec_b64 s[6:7], s[4:5]
	s_cbranch_execz .LBB22_172
.LBB22_171:
	v_bfe_u32 v2, v7, 8, 3
	v_ffbh_u32_e32 v11, v2
	v_min_u32_e32 v11, 32, v11
	v_lshrrev_b16_e32 v10, 3, v6
	v_subrev_u32_e32 v12, 28, v11
	v_and_b32_e32 v10, 15, v10
	v_lshlrev_b32_e32 v6, v12, v6
	v_sub_u32_e32 v11, 29, v11
	v_and_b32_e32 v6, 7, v6
	v_cmp_eq_u16_e32 vcc, 0, v10
	v_cndmask_b32_e32 v2, v2, v6, vcc
	v_cndmask_b32_e32 v6, v10, v11, vcc
	v_lshlrev_b32_e32 v10, 16, v7
	v_mov_b32_e32 v11, 0x3b800000
	v_lshlrev_b32_e32 v2, 20, v2
	v_and_b32_e32 v10, 0x80000000, v10
	v_lshl_add_u32 v6, v6, 23, v11
	v_or3_b32 v2, v10, v6, v2
.LBB22_172:
	s_or_b64 exec, exec, s[6:7]
	v_lshrrev_b32_e32 v6, 8, v3
	s_movk_i32 s4, 0x7f
	v_cmp_gt_i16_sdwa s[6:7], v6, s4 src0_sel:BYTE_0 src1_sel:DWORD
	s_mov_b64 s[4:5], 0
                                        ; implicit-def: $sgpr10
	s_and_saveexec_b64 s[8:9], s[6:7]
	s_xor_b64 s[6:7], exec, s[8:9]
	s_cbranch_execnz .LBB22_2221
; %bb.173:
	s_or_saveexec_b64 s[6:7], s[6:7]
	v_mov_b32_e32 v10, s10
	s_xor_b64 exec, exec, s[6:7]
	s_cbranch_execnz .LBB22_2224
.LBB22_174:
	s_or_b64 exec, exec, s[6:7]
	s_and_saveexec_b64 s[6:7], s[4:5]
	s_cbranch_execz .LBB22_176
.LBB22_175:
	v_bfe_u32 v10, v3, 8, 3
	v_ffbh_u32_e32 v12, v10
	v_min_u32_e32 v12, 32, v12
	v_lshrrev_b16_e32 v11, 3, v6
	v_subrev_u32_e32 v13, 28, v12
	v_and_b32_e32 v11, 15, v11
	v_lshlrev_b32_e32 v6, v13, v6
	v_sub_u32_e32 v12, 29, v12
	v_and_b32_e32 v6, 7, v6
	v_cmp_eq_u16_e32 vcc, 0, v11
	v_cndmask_b32_e32 v6, v10, v6, vcc
	v_cndmask_b32_e32 v10, v11, v12, vcc
	v_lshlrev_b32_e32 v11, 16, v3
	v_mov_b32_e32 v12, 0x3b800000
	v_lshlrev_b32_e32 v6, 20, v6
	v_and_b32_e32 v11, 0x80000000, v11
	v_lshl_add_u32 v10, v10, 23, v12
	v_or3_b32 v10, v11, v10, v6
.LBB22_176:
	s_or_b64 exec, exec, s[6:7]
	s_nop 0
	v_mfma_f32_16x16x4f32 a[0:3], v2, v10, a[0:3]
	s_movk_i32 s4, 0xff
	v_and_b32_sdwa v6, v7, s4 dst_sel:DWORD dst_unused:UNUSED_PAD src0_sel:WORD_1 src1_sel:DWORD
	s_movk_i32 s4, 0x7f
	v_cmp_lt_i16_e32 vcc, s4, v6
	s_mov_b64 s[4:5], 0
                                        ; implicit-def: $sgpr10
	s_and_saveexec_b64 s[6:7], vcc
	s_xor_b64 s[6:7], exec, s[6:7]
	s_cbranch_execnz .LBB22_2225
; %bb.177:
	s_or_saveexec_b64 s[6:7], s[6:7]
	v_mov_b32_e32 v2, s10
	s_xor_b64 exec, exec, s[6:7]
	s_cbranch_execnz .LBB22_2228
.LBB22_178:
	s_or_b64 exec, exec, s[6:7]
	s_and_saveexec_b64 s[6:7], s[4:5]
	s_cbranch_execz .LBB22_180
.LBB22_179:
	v_bfe_u32 v2, v7, 16, 3
	v_ffbh_u32_e32 v11, v2
	v_min_u32_e32 v11, 32, v11
	v_lshrrev_b32_e32 v6, 19, v7
	v_subrev_u32_e32 v12, 28, v11
	v_and_b32_e32 v6, 15, v6
	v_lshlrev_b32_sdwa v12, v12, v7 dst_sel:DWORD dst_unused:UNUSED_PAD src0_sel:DWORD src1_sel:WORD_1
	v_bfe_u32 v10, v7, 19, 4
	v_sub_u32_e32 v11, 29, v11
	v_and_b32_e32 v12, 7, v12
	v_cmp_eq_u16_e32 vcc, 0, v6
	v_cndmask_b32_e32 v2, v2, v12, vcc
	v_cndmask_b32_e32 v6, v10, v11, vcc
	v_lshlrev_b32_e32 v10, 8, v7
	v_mov_b32_e32 v11, 0x3b800000
	v_lshlrev_b32_e32 v2, 20, v2
	v_and_b32_e32 v10, 0x80000000, v10
	v_lshl_add_u32 v6, v6, 23, v11
	v_or3_b32 v2, v10, v6, v2
.LBB22_180:
	s_or_b64 exec, exec, s[6:7]
	s_movk_i32 s4, 0xff
	v_and_b32_sdwa v6, v3, s4 dst_sel:DWORD dst_unused:UNUSED_PAD src0_sel:WORD_1 src1_sel:DWORD
	s_movk_i32 s4, 0x7f
	v_cmp_lt_i16_e32 vcc, s4, v6
	s_mov_b64 s[4:5], 0
                                        ; implicit-def: $sgpr10
	s_and_saveexec_b64 s[6:7], vcc
	s_xor_b64 s[6:7], exec, s[6:7]
	s_cbranch_execnz .LBB22_2229
; %bb.181:
	s_or_saveexec_b64 s[6:7], s[6:7]
	v_mov_b32_e32 v10, s10
	s_xor_b64 exec, exec, s[6:7]
	s_cbranch_execnz .LBB22_2232
.LBB22_182:
	s_or_b64 exec, exec, s[6:7]
	s_and_saveexec_b64 s[6:7], s[4:5]
	s_cbranch_execz .LBB22_184
.LBB22_183:
	v_bfe_u32 v6, v3, 16, 3
	v_ffbh_u32_e32 v12, v6
	v_min_u32_e32 v12, 32, v12
	v_lshrrev_b32_e32 v10, 19, v3
	v_subrev_u32_e32 v13, 28, v12
	v_and_b32_e32 v10, 15, v10
	v_lshlrev_b32_sdwa v13, v13, v3 dst_sel:DWORD dst_unused:UNUSED_PAD src0_sel:DWORD src1_sel:WORD_1
	v_bfe_u32 v11, v3, 19, 4
	v_sub_u32_e32 v12, 29, v12
	v_and_b32_e32 v13, 7, v13
	v_cmp_eq_u16_e32 vcc, 0, v10
	v_cndmask_b32_e32 v6, v6, v13, vcc
	v_cndmask_b32_e32 v10, v11, v12, vcc
	v_lshlrev_b32_e32 v11, 8, v3
	v_mov_b32_e32 v12, 0x3b800000
	v_lshlrev_b32_e32 v6, 20, v6
	v_and_b32_e32 v11, 0x80000000, v11
	v_lshl_add_u32 v10, v10, 23, v12
	v_or3_b32 v10, v11, v10, v6
.LBB22_184:
	s_or_b64 exec, exec, s[6:7]
	s_nop 0
	v_mfma_f32_16x16x4f32 a[0:3], v2, v10, a[0:3]
	s_movk_i32 s4, 0x7f
	v_cmp_gt_i16_sdwa s[6:7], v7, s4 src0_sel:BYTE_3 src1_sel:DWORD
	s_mov_b64 s[4:5], 0
                                        ; implicit-def: $sgpr10
	s_and_saveexec_b64 s[8:9], s[6:7]
	s_xor_b64 s[6:7], exec, s[8:9]
	s_cbranch_execnz .LBB22_2233
; %bb.185:
	s_or_saveexec_b64 s[6:7], s[6:7]
	v_mov_b32_e32 v2, s10
	s_xor_b64 exec, exec, s[6:7]
	s_cbranch_execnz .LBB22_2236
.LBB22_186:
	s_or_b64 exec, exec, s[6:7]
	s_and_saveexec_b64 s[6:7], s[4:5]
	s_cbranch_execz .LBB22_188
.LBB22_187:
	v_bfe_u32 v2, v7, 24, 3
	v_ffbh_u32_e32 v12, v2
	v_min_u32_e32 v12, 32, v12
	v_lshrrev_b32_e32 v10, 27, v7
	v_subrev_u32_e32 v13, 28, v12
	v_and_b32_e32 v6, 0x80000000, v7
	v_and_b32_e32 v10, 15, v10
	v_bfe_u32 v11, v7, 27, 4
	v_lshlrev_b32_sdwa v7, v13, v7 dst_sel:DWORD dst_unused:UNUSED_PAD src0_sel:DWORD src1_sel:BYTE_3
	v_sub_u32_e32 v12, 29, v12
	v_and_b32_e32 v7, 7, v7
	v_cmp_eq_u16_e32 vcc, 0, v10
	v_cndmask_b32_e32 v2, v2, v7, vcc
	v_cndmask_b32_e32 v7, v11, v12, vcc
	v_mov_b32_e32 v10, 0x3b800000
	v_lshlrev_b32_e32 v2, 20, v2
	v_lshl_add_u32 v7, v7, 23, v10
	v_or3_b32 v2, v6, v7, v2
.LBB22_188:
	s_or_b64 exec, exec, s[6:7]
	s_movk_i32 s4, 0x7f
	v_cmp_gt_i16_sdwa s[6:7], v3, s4 src0_sel:BYTE_3 src1_sel:DWORD
	s_mov_b64 s[4:5], 0
                                        ; implicit-def: $sgpr10
	s_and_saveexec_b64 s[8:9], s[6:7]
	s_xor_b64 s[6:7], exec, s[8:9]
	s_cbranch_execnz .LBB22_2237
; %bb.189:
	s_or_saveexec_b64 s[6:7], s[6:7]
	v_mov_b32_e32 v6, s10
	s_xor_b64 exec, exec, s[6:7]
	s_cbranch_execnz .LBB22_2240
.LBB22_190:
	s_or_b64 exec, exec, s[6:7]
	s_and_saveexec_b64 s[6:7], s[4:5]
	s_cbranch_execz .LBB22_192
.LBB22_191:
	v_bfe_u32 v6, v3, 24, 3
	v_ffbh_u32_e32 v12, v6
	v_min_u32_e32 v12, 32, v12
	v_lshrrev_b32_e32 v10, 27, v3
	v_subrev_u32_e32 v13, 28, v12
	v_and_b32_e32 v7, 0x80000000, v3
	v_and_b32_e32 v10, 15, v10
	v_bfe_u32 v11, v3, 27, 4
	v_lshlrev_b32_sdwa v3, v13, v3 dst_sel:DWORD dst_unused:UNUSED_PAD src0_sel:DWORD src1_sel:BYTE_3
	v_sub_u32_e32 v12, 29, v12
	v_and_b32_e32 v3, 7, v3
	v_cmp_eq_u16_e32 vcc, 0, v10
	v_cndmask_b32_e32 v3, v6, v3, vcc
	v_cndmask_b32_e32 v6, v11, v12, vcc
	v_mov_b32_e32 v10, 0x3b800000
	v_lshlrev_b32_e32 v3, 20, v3
	v_lshl_add_u32 v6, v6, 23, v10
	v_or3_b32 v6, v7, v6, v3
.LBB22_192:
	s_or_b64 exec, exec, s[6:7]
	s_nop 0
	v_mfma_f32_16x16x4f32 a[0:3], v2, v6, a[0:3]
	s_movk_i32 s4, 0x7f
	v_cmp_gt_i16_sdwa s[6:7], v8, s4 src0_sel:BYTE_0 src1_sel:DWORD
	s_mov_b64 s[4:5], 0
                                        ; implicit-def: $sgpr10
	s_and_saveexec_b64 s[8:9], s[6:7]
	s_xor_b64 s[6:7], exec, s[8:9]
	s_cbranch_execnz .LBB22_2241
; %bb.193:
	s_or_saveexec_b64 s[6:7], s[6:7]
	v_mov_b32_e32 v2, s10
	s_xor_b64 exec, exec, s[6:7]
	s_cbranch_execnz .LBB22_2244
.LBB22_194:
	s_or_b64 exec, exec, s[6:7]
	s_and_saveexec_b64 s[6:7], s[4:5]
	s_cbranch_execz .LBB22_196
.LBB22_195:
	v_and_b32_e32 v2, 7, v8
	v_ffbh_u32_e32 v6, v2
	v_min_u32_e32 v6, 32, v6
	v_lshrrev_b16_e32 v3, 3, v8
	v_subrev_u32_e32 v7, 28, v6
	v_and_b32_e32 v3, 15, v3
	v_lshlrev_b32_e32 v7, v7, v8
	v_sub_u32_e32 v6, 29, v6
	v_and_b32_e32 v7, 7, v7
	v_cmp_eq_u16_e32 vcc, 0, v3
	v_cndmask_b32_e32 v2, v2, v7, vcc
	v_cndmask_b32_e32 v3, v3, v6, vcc
	v_lshlrev_b32_e32 v6, 24, v8
	v_mov_b32_e32 v7, 0x3b800000
	v_lshlrev_b32_e32 v2, 20, v2
	v_and_b32_e32 v6, 0x80000000, v6
	v_lshl_add_u32 v3, v3, 23, v7
	v_or3_b32 v2, v6, v3, v2
.LBB22_196:
	s_or_b64 exec, exec, s[6:7]
	s_movk_i32 s4, 0x7f
	v_cmp_gt_i16_sdwa s[6:7], v4, s4 src0_sel:BYTE_0 src1_sel:DWORD
	s_mov_b64 s[4:5], 0
                                        ; implicit-def: $sgpr10
	s_and_saveexec_b64 s[8:9], s[6:7]
	s_xor_b64 s[6:7], exec, s[8:9]
	s_cbranch_execnz .LBB22_2245
; %bb.197:
	s_or_saveexec_b64 s[6:7], s[6:7]
	v_mov_b32_e32 v3, s10
	s_xor_b64 exec, exec, s[6:7]
	s_cbranch_execnz .LBB22_2248
.LBB22_198:
	s_or_b64 exec, exec, s[6:7]
	s_and_saveexec_b64 s[6:7], s[4:5]
	s_cbranch_execz .LBB22_200
.LBB22_199:
	v_and_b32_e32 v3, 7, v4
	v_ffbh_u32_e32 v7, v3
	v_min_u32_e32 v7, 32, v7
	v_lshrrev_b16_e32 v6, 3, v4
	v_subrev_u32_e32 v10, 28, v7
	v_and_b32_e32 v6, 15, v6
	v_lshlrev_b32_e32 v10, v10, v4
	v_sub_u32_e32 v7, 29, v7
	v_and_b32_e32 v10, 7, v10
	v_cmp_eq_u16_e32 vcc, 0, v6
	v_cndmask_b32_e32 v3, v3, v10, vcc
	v_cndmask_b32_e32 v6, v6, v7, vcc
	v_lshlrev_b32_e32 v7, 24, v4
	v_mov_b32_e32 v10, 0x3b800000
	v_lshlrev_b32_e32 v3, 20, v3
	v_and_b32_e32 v7, 0x80000000, v7
	v_lshl_add_u32 v6, v6, 23, v10
	v_or3_b32 v3, v7, v6, v3
.LBB22_200:
	s_or_b64 exec, exec, s[6:7]
	s_nop 0
	v_mfma_f32_16x16x4f32 a[0:3], v2, v3, a[0:3]
	v_lshrrev_b32_e32 v3, 8, v8
	s_movk_i32 s4, 0x7f
	v_cmp_gt_i16_sdwa s[6:7], v3, s4 src0_sel:BYTE_0 src1_sel:DWORD
	s_mov_b64 s[4:5], 0
                                        ; implicit-def: $sgpr10
	s_and_saveexec_b64 s[8:9], s[6:7]
	s_xor_b64 s[6:7], exec, s[8:9]
	s_cbranch_execnz .LBB22_2249
; %bb.201:
	s_or_saveexec_b64 s[6:7], s[6:7]
	v_mov_b32_e32 v2, s10
	s_xor_b64 exec, exec, s[6:7]
	s_cbranch_execnz .LBB22_2252
.LBB22_202:
	s_or_b64 exec, exec, s[6:7]
	s_and_saveexec_b64 s[6:7], s[4:5]
	s_cbranch_execz .LBB22_204
.LBB22_203:
	v_bfe_u32 v2, v8, 8, 3
	v_ffbh_u32_e32 v7, v2
	v_min_u32_e32 v7, 32, v7
	v_lshrrev_b16_e32 v6, 3, v3
	v_subrev_u32_e32 v10, 28, v7
	v_and_b32_e32 v6, 15, v6
	v_lshlrev_b32_e32 v3, v10, v3
	v_sub_u32_e32 v7, 29, v7
	v_and_b32_e32 v3, 7, v3
	v_cmp_eq_u16_e32 vcc, 0, v6
	v_cndmask_b32_e32 v2, v2, v3, vcc
	v_cndmask_b32_e32 v3, v6, v7, vcc
	v_lshlrev_b32_e32 v6, 16, v8
	v_mov_b32_e32 v7, 0x3b800000
	v_lshlrev_b32_e32 v2, 20, v2
	v_and_b32_e32 v6, 0x80000000, v6
	v_lshl_add_u32 v3, v3, 23, v7
	v_or3_b32 v2, v6, v3, v2
.LBB22_204:
	s_or_b64 exec, exec, s[6:7]
	v_lshrrev_b32_e32 v3, 8, v4
	s_movk_i32 s4, 0x7f
	v_cmp_gt_i16_sdwa s[6:7], v3, s4 src0_sel:BYTE_0 src1_sel:DWORD
	s_mov_b64 s[4:5], 0
                                        ; implicit-def: $sgpr10
	s_and_saveexec_b64 s[8:9], s[6:7]
	s_xor_b64 s[6:7], exec, s[8:9]
	s_cbranch_execnz .LBB22_2253
; %bb.205:
	s_or_saveexec_b64 s[6:7], s[6:7]
	v_mov_b32_e32 v6, s10
	s_xor_b64 exec, exec, s[6:7]
	s_cbranch_execnz .LBB22_2256
.LBB22_206:
	s_or_b64 exec, exec, s[6:7]
	s_and_saveexec_b64 s[6:7], s[4:5]
	s_cbranch_execz .LBB22_208
.LBB22_207:
	v_bfe_u32 v6, v4, 8, 3
	v_ffbh_u32_e32 v10, v6
	v_min_u32_e32 v10, 32, v10
	v_lshrrev_b16_e32 v7, 3, v3
	v_subrev_u32_e32 v11, 28, v10
	v_and_b32_e32 v7, 15, v7
	v_lshlrev_b32_e32 v3, v11, v3
	v_sub_u32_e32 v10, 29, v10
	v_and_b32_e32 v3, 7, v3
	v_cmp_eq_u16_e32 vcc, 0, v7
	v_cndmask_b32_e32 v3, v6, v3, vcc
	v_cndmask_b32_e32 v6, v7, v10, vcc
	v_lshlrev_b32_e32 v7, 16, v4
	v_mov_b32_e32 v10, 0x3b800000
	v_lshlrev_b32_e32 v3, 20, v3
	v_and_b32_e32 v7, 0x80000000, v7
	v_lshl_add_u32 v6, v6, 23, v10
	v_or3_b32 v6, v7, v6, v3
.LBB22_208:
	s_or_b64 exec, exec, s[6:7]
	s_nop 0
	v_mfma_f32_16x16x4f32 a[0:3], v2, v6, a[0:3]
	s_movk_i32 s4, 0xff
	v_and_b32_sdwa v3, v8, s4 dst_sel:DWORD dst_unused:UNUSED_PAD src0_sel:WORD_1 src1_sel:DWORD
	s_movk_i32 s4, 0x7f
	v_cmp_lt_i16_e32 vcc, s4, v3
	s_mov_b64 s[4:5], 0
                                        ; implicit-def: $sgpr10
	s_and_saveexec_b64 s[6:7], vcc
	s_xor_b64 s[6:7], exec, s[6:7]
	s_cbranch_execnz .LBB22_2257
; %bb.209:
	s_or_saveexec_b64 s[6:7], s[6:7]
	v_mov_b32_e32 v2, s10
	s_xor_b64 exec, exec, s[6:7]
	s_cbranch_execnz .LBB22_2260
.LBB22_210:
	s_or_b64 exec, exec, s[6:7]
	s_and_saveexec_b64 s[6:7], s[4:5]
	s_cbranch_execz .LBB22_212
.LBB22_211:
	v_bfe_u32 v2, v8, 16, 3
	v_ffbh_u32_e32 v7, v2
	v_min_u32_e32 v7, 32, v7
	v_lshrrev_b32_e32 v3, 19, v8
	v_subrev_u32_e32 v10, 28, v7
	v_and_b32_e32 v3, 15, v3
	v_lshlrev_b32_sdwa v10, v10, v8 dst_sel:DWORD dst_unused:UNUSED_PAD src0_sel:DWORD src1_sel:WORD_1
	v_bfe_u32 v6, v8, 19, 4
	v_sub_u32_e32 v7, 29, v7
	v_and_b32_e32 v10, 7, v10
	v_cmp_eq_u16_e32 vcc, 0, v3
	v_cndmask_b32_e32 v2, v2, v10, vcc
	v_cndmask_b32_e32 v3, v6, v7, vcc
	v_lshlrev_b32_e32 v6, 8, v8
	v_mov_b32_e32 v7, 0x3b800000
	v_lshlrev_b32_e32 v2, 20, v2
	v_and_b32_e32 v6, 0x80000000, v6
	v_lshl_add_u32 v3, v3, 23, v7
	v_or3_b32 v2, v6, v3, v2
.LBB22_212:
	s_or_b64 exec, exec, s[6:7]
	s_movk_i32 s4, 0xff
	v_and_b32_sdwa v3, v4, s4 dst_sel:DWORD dst_unused:UNUSED_PAD src0_sel:WORD_1 src1_sel:DWORD
	s_movk_i32 s4, 0x7f
	v_cmp_lt_i16_e32 vcc, s4, v3
	s_mov_b64 s[4:5], 0
                                        ; implicit-def: $sgpr10
	s_and_saveexec_b64 s[6:7], vcc
	s_xor_b64 s[6:7], exec, s[6:7]
	s_cbranch_execnz .LBB22_2261
; %bb.213:
	s_or_saveexec_b64 s[6:7], s[6:7]
	v_mov_b32_e32 v6, s10
	s_xor_b64 exec, exec, s[6:7]
	s_cbranch_execnz .LBB22_2264
.LBB22_214:
	s_or_b64 exec, exec, s[6:7]
	s_and_saveexec_b64 s[6:7], s[4:5]
	s_cbranch_execz .LBB22_216
.LBB22_215:
	v_bfe_u32 v3, v4, 16, 3
	v_ffbh_u32_e32 v10, v3
	v_min_u32_e32 v10, 32, v10
	v_lshrrev_b32_e32 v6, 19, v4
	v_subrev_u32_e32 v11, 28, v10
	v_and_b32_e32 v6, 15, v6
	v_lshlrev_b32_sdwa v11, v11, v4 dst_sel:DWORD dst_unused:UNUSED_PAD src0_sel:DWORD src1_sel:WORD_1
	v_bfe_u32 v7, v4, 19, 4
	v_sub_u32_e32 v10, 29, v10
	v_and_b32_e32 v11, 7, v11
	v_cmp_eq_u16_e32 vcc, 0, v6
	v_cndmask_b32_e32 v3, v3, v11, vcc
	v_cndmask_b32_e32 v6, v7, v10, vcc
	v_lshlrev_b32_e32 v7, 8, v4
	v_mov_b32_e32 v10, 0x3b800000
	v_lshlrev_b32_e32 v3, 20, v3
	v_and_b32_e32 v7, 0x80000000, v7
	v_lshl_add_u32 v6, v6, 23, v10
	v_or3_b32 v6, v7, v6, v3
.LBB22_216:
	s_or_b64 exec, exec, s[6:7]
	s_nop 0
	v_mfma_f32_16x16x4f32 a[0:3], v2, v6, a[0:3]
	s_movk_i32 s4, 0x7f
	v_cmp_gt_i16_sdwa s[6:7], v8, s4 src0_sel:BYTE_3 src1_sel:DWORD
	s_mov_b64 s[4:5], 0
                                        ; implicit-def: $sgpr10
	s_and_saveexec_b64 s[8:9], s[6:7]
	s_xor_b64 s[6:7], exec, s[8:9]
	s_cbranch_execnz .LBB22_2265
; %bb.217:
	s_or_saveexec_b64 s[6:7], s[6:7]
	v_mov_b32_e32 v2, s10
	s_xor_b64 exec, exec, s[6:7]
	s_cbranch_execnz .LBB22_2268
.LBB22_218:
	s_or_b64 exec, exec, s[6:7]
	s_and_saveexec_b64 s[6:7], s[4:5]
	s_cbranch_execz .LBB22_220
.LBB22_219:
	v_bfe_u32 v2, v8, 24, 3
	v_ffbh_u32_e32 v10, v2
	v_min_u32_e32 v10, 32, v10
	v_lshrrev_b32_e32 v6, 27, v8
	v_subrev_u32_e32 v11, 28, v10
	v_and_b32_e32 v3, 0x80000000, v8
	v_and_b32_e32 v6, 15, v6
	v_bfe_u32 v7, v8, 27, 4
	v_lshlrev_b32_sdwa v8, v11, v8 dst_sel:DWORD dst_unused:UNUSED_PAD src0_sel:DWORD src1_sel:BYTE_3
	v_sub_u32_e32 v10, 29, v10
	v_and_b32_e32 v8, 7, v8
	v_cmp_eq_u16_e32 vcc, 0, v6
	v_cndmask_b32_e32 v2, v2, v8, vcc
	v_cndmask_b32_e32 v6, v7, v10, vcc
	v_mov_b32_e32 v7, 0x3b800000
	v_lshlrev_b32_e32 v2, 20, v2
	v_lshl_add_u32 v6, v6, 23, v7
	v_or3_b32 v2, v3, v6, v2
.LBB22_220:
	s_or_b64 exec, exec, s[6:7]
	s_movk_i32 s4, 0x7f
	v_cmp_gt_i16_sdwa s[6:7], v4, s4 src0_sel:BYTE_3 src1_sel:DWORD
	s_mov_b64 s[4:5], 0
                                        ; implicit-def: $sgpr10
	s_and_saveexec_b64 s[8:9], s[6:7]
	s_xor_b64 s[6:7], exec, s[8:9]
	s_cbranch_execnz .LBB22_2269
; %bb.221:
	s_or_saveexec_b64 s[6:7], s[6:7]
	v_mov_b32_e32 v3, s10
	s_xor_b64 exec, exec, s[6:7]
	s_cbranch_execnz .LBB22_2272
.LBB22_222:
	s_or_b64 exec, exec, s[6:7]
	s_and_saveexec_b64 s[6:7], s[4:5]
	s_cbranch_execz .LBB22_224
.LBB22_223:
	v_bfe_u32 v3, v4, 24, 3
	v_ffbh_u32_e32 v10, v3
	v_min_u32_e32 v10, 32, v10
	v_lshrrev_b32_e32 v7, 27, v4
	v_subrev_u32_e32 v11, 28, v10
	v_and_b32_e32 v6, 0x80000000, v4
	v_and_b32_e32 v7, 15, v7
	v_bfe_u32 v8, v4, 27, 4
	v_lshlrev_b32_sdwa v4, v11, v4 dst_sel:DWORD dst_unused:UNUSED_PAD src0_sel:DWORD src1_sel:BYTE_3
	v_sub_u32_e32 v10, 29, v10
	v_and_b32_e32 v4, 7, v4
	v_cmp_eq_u16_e32 vcc, 0, v7
	v_cndmask_b32_e32 v3, v3, v4, vcc
	v_cndmask_b32_e32 v4, v8, v10, vcc
	v_mov_b32_e32 v7, 0x3b800000
	v_lshlrev_b32_e32 v3, 20, v3
	v_lshl_add_u32 v4, v4, 23, v7
	v_or3_b32 v3, v6, v4, v3
.LBB22_224:
	s_or_b64 exec, exec, s[6:7]
	s_nop 0
	v_mfma_f32_16x16x4f32 a[0:3], v2, v3, a[0:3]
	s_movk_i32 s4, 0x7f
	v_cmp_gt_i16_sdwa s[6:7], v9, s4 src0_sel:BYTE_0 src1_sel:DWORD
	s_mov_b64 s[4:5], 0
                                        ; implicit-def: $sgpr10
	s_and_saveexec_b64 s[8:9], s[6:7]
	s_xor_b64 s[6:7], exec, s[8:9]
	s_cbranch_execnz .LBB22_2273
; %bb.225:
	s_or_saveexec_b64 s[6:7], s[6:7]
	v_mov_b32_e32 v2, s10
	s_xor_b64 exec, exec, s[6:7]
	s_cbranch_execnz .LBB22_2276
.LBB22_226:
	s_or_b64 exec, exec, s[6:7]
	s_and_saveexec_b64 s[6:7], s[4:5]
	s_cbranch_execz .LBB22_228
.LBB22_227:
	v_mov_b32_e32 v2, 8
	v_and_b32_e32 v3, 7, v9
	v_lshrrev_b32_sdwa v2, v2, v9 dst_sel:BYTE_1 dst_unused:UNUSED_PAD src0_sel:DWORD src1_sel:DWORD
	v_ffbh_u32_e32 v4, v3
	v_or_b32_sdwa v2, v9, v2 dst_sel:DWORD dst_unused:UNUSED_PAD src0_sel:BYTE_0 src1_sel:DWORD
	v_min_u32_e32 v4, 32, v4
	v_lshrrev_b16_e32 v2, 3, v2
	v_subrev_u32_e32 v6, 28, v4
	v_and_b32_e32 v2, 15, v2
	v_lshlrev_b32_e32 v6, v6, v9
	v_sub_u32_e32 v4, 29, v4
	v_and_b32_e32 v6, 7, v6
	v_cmp_eq_u16_e32 vcc, 0, v2
	v_cndmask_b32_e32 v3, v3, v6, vcc
	v_cndmask_b32_e32 v2, v2, v4, vcc
	v_lshlrev_b32_e32 v4, 24, v9
	v_mov_b32_e32 v6, 0x3b800000
	v_lshlrev_b32_e32 v3, 20, v3
	v_and_b32_e32 v4, 0x80000000, v4
	v_lshl_add_u32 v2, v2, 23, v6
	v_or3_b32 v2, v4, v2, v3
.LBB22_228:
	s_or_b64 exec, exec, s[6:7]
	s_movk_i32 s4, 0x7f
	v_cmp_gt_i16_sdwa s[6:7], v5, s4 src0_sel:BYTE_0 src1_sel:DWORD
	s_mov_b64 s[4:5], 0
                                        ; implicit-def: $sgpr10
	s_and_saveexec_b64 s[8:9], s[6:7]
	s_xor_b64 s[6:7], exec, s[8:9]
	s_cbranch_execnz .LBB22_2277
; %bb.229:
	s_or_saveexec_b64 s[6:7], s[6:7]
	v_mov_b32_e32 v3, s10
	s_xor_b64 exec, exec, s[6:7]
	s_cbranch_execnz .LBB22_2280
.LBB22_230:
	s_or_b64 exec, exec, s[6:7]
	s_and_saveexec_b64 s[6:7], s[4:5]
	s_cbranch_execz .LBB22_232
.LBB22_231:
	v_mov_b32_e32 v3, 8
	v_and_b32_e32 v4, 7, v5
	v_lshrrev_b32_sdwa v3, v3, v5 dst_sel:BYTE_1 dst_unused:UNUSED_PAD src0_sel:DWORD src1_sel:DWORD
	v_ffbh_u32_e32 v6, v4
	v_or_b32_sdwa v3, v5, v3 dst_sel:DWORD dst_unused:UNUSED_PAD src0_sel:BYTE_0 src1_sel:DWORD
	v_min_u32_e32 v6, 32, v6
	v_lshrrev_b16_e32 v3, 3, v3
	v_subrev_u32_e32 v7, 28, v6
	v_and_b32_e32 v3, 15, v3
	v_lshlrev_b32_e32 v7, v7, v5
	v_sub_u32_e32 v6, 29, v6
	v_and_b32_e32 v7, 7, v7
	v_cmp_eq_u16_e32 vcc, 0, v3
	v_cndmask_b32_e32 v4, v4, v7, vcc
	v_cndmask_b32_e32 v3, v3, v6, vcc
	v_lshlrev_b32_e32 v6, 24, v5
	v_mov_b32_e32 v7, 0x3b800000
	v_lshlrev_b32_e32 v4, 20, v4
	v_and_b32_e32 v6, 0x80000000, v6
	v_lshl_add_u32 v3, v3, 23, v7
	v_or3_b32 v3, v6, v3, v4
.LBB22_232:
	s_or_b64 exec, exec, s[6:7]
	s_nop 0
	v_mfma_f32_16x16x4f32 a[0:3], v2, v3, a[0:3]
	v_lshrrev_b32_e32 v3, 8, v9
	s_movk_i32 s4, 0x7f
	v_cmp_gt_i16_sdwa s[6:7], v3, s4 src0_sel:BYTE_0 src1_sel:DWORD
	s_mov_b64 s[4:5], 0
                                        ; implicit-def: $sgpr10
	s_and_saveexec_b64 s[8:9], s[6:7]
	s_xor_b64 s[6:7], exec, s[8:9]
	s_cbranch_execnz .LBB22_2281
; %bb.233:
	s_or_saveexec_b64 s[6:7], s[6:7]
	v_mov_b32_e32 v2, s10
	s_xor_b64 exec, exec, s[6:7]
	s_cbranch_execnz .LBB22_2284
.LBB22_234:
	s_or_b64 exec, exec, s[6:7]
	s_and_saveexec_b64 s[6:7], s[4:5]
	s_cbranch_execz .LBB22_236
.LBB22_235:
	v_bfe_u32 v2, v9, 8, 3
	v_ffbh_u32_e32 v6, v2
	v_min_u32_e32 v6, 32, v6
	v_lshrrev_b16_e32 v4, 3, v3
	v_subrev_u32_e32 v7, 28, v6
	v_and_b32_e32 v4, 15, v4
	v_lshlrev_b32_e32 v3, v7, v3
	v_sub_u32_e32 v6, 29, v6
	v_and_b32_e32 v3, 7, v3
	v_cmp_eq_u16_e32 vcc, 0, v4
	v_cndmask_b32_e32 v2, v2, v3, vcc
	v_cndmask_b32_e32 v3, v4, v6, vcc
	v_lshlrev_b32_e32 v4, 16, v9
	v_mov_b32_e32 v6, 0x3b800000
	v_lshlrev_b32_e32 v2, 20, v2
	v_and_b32_e32 v4, 0x80000000, v4
	v_lshl_add_u32 v3, v3, 23, v6
	v_or3_b32 v2, v4, v3, v2
.LBB22_236:
	s_or_b64 exec, exec, s[6:7]
	v_lshrrev_b32_e32 v3, 8, v5
	s_movk_i32 s4, 0x7f
	v_cmp_gt_i16_sdwa s[6:7], v3, s4 src0_sel:BYTE_0 src1_sel:DWORD
	s_mov_b64 s[4:5], 0
                                        ; implicit-def: $sgpr10
	s_and_saveexec_b64 s[8:9], s[6:7]
	s_xor_b64 s[6:7], exec, s[8:9]
	s_cbranch_execnz .LBB22_2285
; %bb.237:
	s_or_saveexec_b64 s[6:7], s[6:7]
	v_mov_b32_e32 v4, s10
	s_xor_b64 exec, exec, s[6:7]
	s_cbranch_execnz .LBB22_2288
.LBB22_238:
	s_or_b64 exec, exec, s[6:7]
	s_and_saveexec_b64 s[6:7], s[4:5]
	s_cbranch_execz .LBB22_240
.LBB22_239:
	v_bfe_u32 v4, v5, 8, 3
	v_ffbh_u32_e32 v7, v4
	v_min_u32_e32 v7, 32, v7
	v_lshrrev_b16_e32 v6, 3, v3
	v_subrev_u32_e32 v8, 28, v7
	v_and_b32_e32 v6, 15, v6
	v_lshlrev_b32_e32 v3, v8, v3
	v_sub_u32_e32 v7, 29, v7
	v_and_b32_e32 v3, 7, v3
	v_cmp_eq_u16_e32 vcc, 0, v6
	v_cndmask_b32_e32 v3, v4, v3, vcc
	v_cndmask_b32_e32 v4, v6, v7, vcc
	v_lshlrev_b32_e32 v6, 16, v5
	v_mov_b32_e32 v7, 0x3b800000
	v_lshlrev_b32_e32 v3, 20, v3
	v_and_b32_e32 v6, 0x80000000, v6
	v_lshl_add_u32 v4, v4, 23, v7
	v_or3_b32 v4, v6, v4, v3
.LBB22_240:
	s_or_b64 exec, exec, s[6:7]
	s_nop 0
	v_mfma_f32_16x16x4f32 a[0:3], v2, v4, a[0:3]
	s_movk_i32 s4, 0xff
	v_and_b32_sdwa v3, v9, s4 dst_sel:DWORD dst_unused:UNUSED_PAD src0_sel:WORD_1 src1_sel:DWORD
	s_movk_i32 s4, 0x7f
	v_cmp_lt_i16_e32 vcc, s4, v3
	s_mov_b64 s[4:5], 0
                                        ; implicit-def: $sgpr10
	s_and_saveexec_b64 s[6:7], vcc
	s_xor_b64 s[6:7], exec, s[6:7]
	s_cbranch_execnz .LBB22_2289
; %bb.241:
	s_or_saveexec_b64 s[6:7], s[6:7]
	v_mov_b32_e32 v2, s10
	s_xor_b64 exec, exec, s[6:7]
	s_cbranch_execnz .LBB22_2292
.LBB22_242:
	s_or_b64 exec, exec, s[6:7]
	s_and_saveexec_b64 s[6:7], s[4:5]
	s_cbranch_execz .LBB22_244
.LBB22_243:
	v_bfe_u32 v2, v9, 16, 3
	v_ffbh_u32_e32 v6, v2
	v_min_u32_e32 v6, 32, v6
	v_lshrrev_b32_e32 v3, 19, v9
	v_subrev_u32_e32 v7, 28, v6
	v_and_b32_e32 v3, 15, v3
	v_lshlrev_b32_sdwa v7, v7, v9 dst_sel:DWORD dst_unused:UNUSED_PAD src0_sel:DWORD src1_sel:WORD_1
	v_bfe_u32 v4, v9, 19, 4
	v_sub_u32_e32 v6, 29, v6
	v_and_b32_e32 v7, 7, v7
	v_cmp_eq_u16_e32 vcc, 0, v3
	v_cndmask_b32_e32 v2, v2, v7, vcc
	v_cndmask_b32_e32 v3, v4, v6, vcc
	v_lshlrev_b32_e32 v4, 8, v9
	v_mov_b32_e32 v6, 0x3b800000
	v_lshlrev_b32_e32 v2, 20, v2
	v_and_b32_e32 v4, 0x80000000, v4
	v_lshl_add_u32 v3, v3, 23, v6
	v_or3_b32 v2, v4, v3, v2
.LBB22_244:
	s_or_b64 exec, exec, s[6:7]
	s_movk_i32 s4, 0xff
	v_and_b32_sdwa v3, v5, s4 dst_sel:DWORD dst_unused:UNUSED_PAD src0_sel:WORD_1 src1_sel:DWORD
	s_movk_i32 s4, 0x7f
	v_cmp_lt_i16_e32 vcc, s4, v3
	s_mov_b64 s[4:5], 0
                                        ; implicit-def: $sgpr10
	s_and_saveexec_b64 s[6:7], vcc
	s_xor_b64 s[6:7], exec, s[6:7]
	s_cbranch_execnz .LBB22_2293
; %bb.245:
	s_or_saveexec_b64 s[6:7], s[6:7]
	v_mov_b32_e32 v4, s10
	s_xor_b64 exec, exec, s[6:7]
	s_cbranch_execnz .LBB22_2296
.LBB22_246:
	s_or_b64 exec, exec, s[6:7]
	s_and_saveexec_b64 s[6:7], s[4:5]
	s_cbranch_execz .LBB22_248
.LBB22_247:
	v_bfe_u32 v3, v5, 16, 3
	v_ffbh_u32_e32 v7, v3
	v_min_u32_e32 v7, 32, v7
	v_lshrrev_b32_e32 v4, 19, v5
	v_subrev_u32_e32 v8, 28, v7
	v_and_b32_e32 v4, 15, v4
	v_lshlrev_b32_sdwa v8, v8, v5 dst_sel:DWORD dst_unused:UNUSED_PAD src0_sel:DWORD src1_sel:WORD_1
	v_bfe_u32 v6, v5, 19, 4
	v_sub_u32_e32 v7, 29, v7
	v_and_b32_e32 v8, 7, v8
	v_cmp_eq_u16_e32 vcc, 0, v4
	v_cndmask_b32_e32 v3, v3, v8, vcc
	v_cndmask_b32_e32 v4, v6, v7, vcc
	v_lshlrev_b32_e32 v6, 8, v5
	v_mov_b32_e32 v7, 0x3b800000
	v_lshlrev_b32_e32 v3, 20, v3
	v_and_b32_e32 v6, 0x80000000, v6
	v_lshl_add_u32 v4, v4, 23, v7
	v_or3_b32 v4, v6, v4, v3
.LBB22_248:
	s_or_b64 exec, exec, s[6:7]
	s_nop 0
	v_mfma_f32_16x16x4f32 a[0:3], v2, v4, a[0:3]
	s_movk_i32 s4, 0x7f
	v_cmp_gt_i16_sdwa s[6:7], v9, s4 src0_sel:BYTE_3 src1_sel:DWORD
	s_mov_b64 s[4:5], 0
                                        ; implicit-def: $sgpr10
	s_and_saveexec_b64 s[8:9], s[6:7]
	s_xor_b64 s[6:7], exec, s[8:9]
	s_cbranch_execnz .LBB22_2297
; %bb.249:
	s_or_saveexec_b64 s[6:7], s[6:7]
	v_mov_b32_e32 v2, s10
	s_xor_b64 exec, exec, s[6:7]
	s_cbranch_execnz .LBB22_2300
.LBB22_250:
	s_or_b64 exec, exec, s[6:7]
	s_and_saveexec_b64 s[6:7], s[4:5]
	s_cbranch_execz .LBB22_252
.LBB22_251:
	v_bfe_u32 v2, v9, 24, 3
	v_ffbh_u32_e32 v7, v2
	v_min_u32_e32 v7, 32, v7
	v_lshrrev_b32_e32 v4, 27, v9
	v_subrev_u32_e32 v8, 28, v7
	v_and_b32_e32 v4, 15, v4
	v_lshlrev_b32_sdwa v8, v8, v9 dst_sel:DWORD dst_unused:UNUSED_PAD src0_sel:DWORD src1_sel:BYTE_3
	v_bfe_u32 v6, v9, 27, 4
	v_sub_u32_e32 v7, 29, v7
	v_and_b32_e32 v8, 7, v8
	v_cmp_eq_u16_e32 vcc, 0, v4
	v_cndmask_b32_e32 v2, v2, v8, vcc
	v_cndmask_b32_e32 v4, v6, v7, vcc
	v_mov_b32_e32 v6, 0x3b800000
	v_and_b32_e32 v3, 0x80000000, v9
	v_lshlrev_b32_e32 v2, 20, v2
	v_lshl_add_u32 v4, v4, 23, v6
	v_or3_b32 v2, v3, v4, v2
.LBB22_252:
	s_or_b64 exec, exec, s[6:7]
	s_movk_i32 s4, 0x7f
	v_cmp_gt_i16_sdwa s[6:7], v5, s4 src0_sel:BYTE_3 src1_sel:DWORD
	s_mov_b64 s[4:5], 0
                                        ; implicit-def: $sgpr10
	s_and_saveexec_b64 s[8:9], s[6:7]
	s_xor_b64 s[6:7], exec, s[8:9]
	s_cbranch_execnz .LBB22_2301
; %bb.253:
	s_or_saveexec_b64 s[6:7], s[6:7]
	v_mov_b32_e32 v3, s10
	s_xor_b64 exec, exec, s[6:7]
	s_cbranch_execnz .LBB22_2304
.LBB22_254:
	s_or_b64 exec, exec, s[6:7]
	s_and_saveexec_b64 s[6:7], s[4:5]
	s_cbranch_execz .LBB22_256
.LBB22_255:
	v_bfe_u32 v3, v5, 24, 3
	v_ffbh_u32_e32 v8, v3
	v_min_u32_e32 v8, 32, v8
	v_lshrrev_b32_e32 v6, 27, v5
	v_subrev_u32_e32 v9, 28, v8
	v_and_b32_e32 v4, 0x80000000, v5
	v_and_b32_e32 v6, 15, v6
	v_bfe_u32 v7, v5, 27, 4
	v_lshlrev_b32_sdwa v5, v9, v5 dst_sel:DWORD dst_unused:UNUSED_PAD src0_sel:DWORD src1_sel:BYTE_3
	v_sub_u32_e32 v8, 29, v8
	v_and_b32_e32 v5, 7, v5
	v_cmp_eq_u16_e32 vcc, 0, v6
	v_cndmask_b32_e32 v3, v3, v5, vcc
	v_cndmask_b32_e32 v5, v7, v8, vcc
	v_mov_b32_e32 v6, 0x3b800000
	v_lshlrev_b32_e32 v3, 20, v3
	v_lshl_add_u32 v5, v5, 23, v6
	v_or3_b32 v3, v4, v5, v3
.LBB22_256:
	s_or_b64 exec, exec, s[6:7]
	s_nop 0
	v_mfma_f32_16x16x4f32 a[0:3], v2, v3, a[0:3]
	s_movk_i32 s4, 0x7f
                                        ; implicit-def: $sgpr10
	s_nop 7
	s_nop 1
	flat_store_dwordx4 v[18:19], a[0:3] offset:512
	flat_load_dwordx4 v[20:23], v[0:1] offset:8
	s_nop 0
	flat_load_dwordx2 v[18:19], v[0:1] offset:24
	s_waitcnt vmcnt(0) lgkmcnt(0)
	flat_load_dwordx4 v[14:17], v[20:21]
	flat_load_dwordx4 v[6:9], v[20:21] offset:16
	flat_load_dwordx4 v[10:13], v[22:23] offset:32
	;; [unrolled: 1-line block ×3, first 2 shown]
	s_waitcnt vmcnt(0) lgkmcnt(0)
	v_cmp_gt_i16_sdwa s[6:7], v14, s4 src0_sel:BYTE_0 src1_sel:DWORD
	s_mov_b64 s[4:5], 0
	s_and_saveexec_b64 s[8:9], s[6:7]
	s_xor_b64 s[6:7], exec, s[8:9]
	s_cbranch_execnz .LBB22_2305
; %bb.257:
	s_or_saveexec_b64 s[6:7], s[6:7]
	v_mov_b32_e32 v20, s10
	s_xor_b64 exec, exec, s[6:7]
	s_cbranch_execnz .LBB22_2308
.LBB22_258:
	s_or_b64 exec, exec, s[6:7]
	s_and_saveexec_b64 s[6:7], s[4:5]
	s_cbranch_execz .LBB22_260
.LBB22_259:
	v_and_b32_e32 v20, 7, v14
	v_ffbh_u32_e32 v22, v20
	v_min_u32_e32 v22, 32, v22
	v_lshrrev_b16_e32 v21, 3, v14
	v_subrev_u32_e32 v23, 28, v22
	v_and_b32_e32 v21, 15, v21
	v_lshlrev_b32_e32 v23, v23, v14
	v_sub_u32_e32 v22, 29, v22
	v_and_b32_e32 v23, 7, v23
	v_cmp_eq_u16_e32 vcc, 0, v21
	v_cndmask_b32_e32 v20, v20, v23, vcc
	v_cndmask_b32_e32 v21, v21, v22, vcc
	v_lshlrev_b32_e32 v22, 24, v14
	v_mov_b32_e32 v23, 0x3b800000
	v_lshlrev_b32_e32 v20, 20, v20
	v_and_b32_e32 v22, 0x80000000, v22
	v_lshl_add_u32 v21, v21, 23, v23
	v_or3_b32 v20, v22, v21, v20
.LBB22_260:
	s_or_b64 exec, exec, s[6:7]
	s_movk_i32 s4, 0x7f
	v_cmp_gt_i16_sdwa s[6:7], v10, s4 src0_sel:BYTE_0 src1_sel:DWORD
	s_mov_b64 s[4:5], 0
                                        ; implicit-def: $sgpr10
	s_and_saveexec_b64 s[8:9], s[6:7]
	s_xor_b64 s[6:7], exec, s[8:9]
	s_cbranch_execnz .LBB22_2309
; %bb.261:
	s_or_saveexec_b64 s[6:7], s[6:7]
	v_mov_b32_e32 v21, s10
	s_xor_b64 exec, exec, s[6:7]
	s_cbranch_execnz .LBB22_2312
.LBB22_262:
	s_or_b64 exec, exec, s[6:7]
	s_and_saveexec_b64 s[6:7], s[4:5]
	s_cbranch_execz .LBB22_264
.LBB22_263:
	v_and_b32_e32 v21, 7, v10
	v_ffbh_u32_e32 v23, v21
	v_min_u32_e32 v23, 32, v23
	v_lshrrev_b16_e32 v22, 3, v10
	v_subrev_u32_e32 v24, 28, v23
	v_and_b32_e32 v22, 15, v22
	v_lshlrev_b32_e32 v24, v24, v10
	v_sub_u32_e32 v23, 29, v23
	v_and_b32_e32 v24, 7, v24
	v_cmp_eq_u16_e32 vcc, 0, v22
	v_cndmask_b32_e32 v21, v21, v24, vcc
	v_cndmask_b32_e32 v22, v22, v23, vcc
	v_lshlrev_b32_e32 v23, 24, v10
	v_mov_b32_e32 v24, 0x3b800000
	v_lshlrev_b32_e32 v21, 20, v21
	v_and_b32_e32 v23, 0x80000000, v23
	v_lshl_add_u32 v22, v22, 23, v24
	v_or3_b32 v21, v23, v22, v21
.LBB22_264:
	s_or_b64 exec, exec, s[6:7]
	flat_load_dwordx4 a[0:3], v[18:19] offset:528
	s_movk_i32 s4, 0x7f
                                        ; implicit-def: $sgpr10
	s_waitcnt vmcnt(0) lgkmcnt(0)
	v_mfma_f32_16x16x4f32 a[0:3], v20, v21, a[0:3]
	v_lshrrev_b32_e32 v21, 8, v14
	v_cmp_gt_i16_sdwa s[6:7], v21, s4 src0_sel:BYTE_0 src1_sel:DWORD
	s_mov_b64 s[4:5], 0
	s_and_saveexec_b64 s[8:9], s[6:7]
	s_xor_b64 s[6:7], exec, s[8:9]
	s_cbranch_execnz .LBB22_2313
; %bb.265:
	s_or_saveexec_b64 s[6:7], s[6:7]
	v_mov_b32_e32 v20, s10
	s_xor_b64 exec, exec, s[6:7]
	s_cbranch_execnz .LBB22_2316
.LBB22_266:
	s_or_b64 exec, exec, s[6:7]
	s_and_saveexec_b64 s[6:7], s[4:5]
	s_cbranch_execz .LBB22_268
.LBB22_267:
	v_bfe_u32 v20, v14, 8, 3
	v_ffbh_u32_e32 v23, v20
	v_min_u32_e32 v23, 32, v23
	v_lshrrev_b16_e32 v22, 3, v21
	v_subrev_u32_e32 v24, 28, v23
	v_and_b32_e32 v22, 15, v22
	v_lshlrev_b32_e32 v21, v24, v21
	v_sub_u32_e32 v23, 29, v23
	v_and_b32_e32 v21, 7, v21
	v_cmp_eq_u16_e32 vcc, 0, v22
	v_cndmask_b32_e32 v20, v20, v21, vcc
	v_cndmask_b32_e32 v21, v22, v23, vcc
	v_lshlrev_b32_e32 v22, 16, v14
	v_mov_b32_e32 v23, 0x3b800000
	v_lshlrev_b32_e32 v20, 20, v20
	v_and_b32_e32 v22, 0x80000000, v22
	v_lshl_add_u32 v21, v21, 23, v23
	v_or3_b32 v20, v22, v21, v20
.LBB22_268:
	s_or_b64 exec, exec, s[6:7]
	v_lshrrev_b32_e32 v21, 8, v10
	s_movk_i32 s4, 0x7f
	v_cmp_gt_i16_sdwa s[6:7], v21, s4 src0_sel:BYTE_0 src1_sel:DWORD
	s_mov_b64 s[4:5], 0
                                        ; implicit-def: $sgpr10
	s_and_saveexec_b64 s[8:9], s[6:7]
	s_xor_b64 s[6:7], exec, s[8:9]
	s_cbranch_execnz .LBB22_2317
; %bb.269:
	s_or_saveexec_b64 s[6:7], s[6:7]
	v_mov_b32_e32 v22, s10
	s_xor_b64 exec, exec, s[6:7]
	s_cbranch_execnz .LBB22_2320
.LBB22_270:
	s_or_b64 exec, exec, s[6:7]
	s_and_saveexec_b64 s[6:7], s[4:5]
	s_cbranch_execz .LBB22_272
.LBB22_271:
	v_bfe_u32 v22, v10, 8, 3
	v_ffbh_u32_e32 v24, v22
	v_min_u32_e32 v24, 32, v24
	v_lshrrev_b16_e32 v23, 3, v21
	v_subrev_u32_e32 v25, 28, v24
	v_and_b32_e32 v23, 15, v23
	v_lshlrev_b32_e32 v21, v25, v21
	v_sub_u32_e32 v24, 29, v24
	v_and_b32_e32 v21, 7, v21
	v_cmp_eq_u16_e32 vcc, 0, v23
	v_cndmask_b32_e32 v21, v22, v21, vcc
	v_cndmask_b32_e32 v22, v23, v24, vcc
	v_lshlrev_b32_e32 v23, 16, v10
	v_mov_b32_e32 v24, 0x3b800000
	v_lshlrev_b32_e32 v21, 20, v21
	v_and_b32_e32 v23, 0x80000000, v23
	v_lshl_add_u32 v22, v22, 23, v24
	v_or3_b32 v22, v23, v22, v21
.LBB22_272:
	s_or_b64 exec, exec, s[6:7]
	s_nop 0
	v_mfma_f32_16x16x4f32 a[0:3], v20, v22, a[0:3]
	s_movk_i32 s4, 0xff
	v_and_b32_sdwa v21, v14, s4 dst_sel:DWORD dst_unused:UNUSED_PAD src0_sel:WORD_1 src1_sel:DWORD
	s_movk_i32 s4, 0x7f
	v_cmp_lt_i16_e32 vcc, s4, v21
	s_mov_b64 s[4:5], 0
                                        ; implicit-def: $sgpr10
	s_and_saveexec_b64 s[6:7], vcc
	s_xor_b64 s[6:7], exec, s[6:7]
	s_cbranch_execnz .LBB22_2321
; %bb.273:
	s_or_saveexec_b64 s[6:7], s[6:7]
	v_mov_b32_e32 v20, s10
	s_xor_b64 exec, exec, s[6:7]
	s_cbranch_execnz .LBB22_2324
.LBB22_274:
	s_or_b64 exec, exec, s[6:7]
	s_and_saveexec_b64 s[6:7], s[4:5]
	s_cbranch_execz .LBB22_276
.LBB22_275:
	v_bfe_u32 v20, v14, 16, 3
	v_ffbh_u32_e32 v23, v20
	v_min_u32_e32 v23, 32, v23
	v_lshrrev_b32_e32 v21, 19, v14
	v_subrev_u32_e32 v24, 28, v23
	v_and_b32_e32 v21, 15, v21
	v_lshlrev_b32_sdwa v24, v24, v14 dst_sel:DWORD dst_unused:UNUSED_PAD src0_sel:DWORD src1_sel:WORD_1
	v_bfe_u32 v22, v14, 19, 4
	v_sub_u32_e32 v23, 29, v23
	v_and_b32_e32 v24, 7, v24
	v_cmp_eq_u16_e32 vcc, 0, v21
	v_cndmask_b32_e32 v20, v20, v24, vcc
	v_cndmask_b32_e32 v21, v22, v23, vcc
	v_lshlrev_b32_e32 v22, 8, v14
	v_mov_b32_e32 v23, 0x3b800000
	v_lshlrev_b32_e32 v20, 20, v20
	v_and_b32_e32 v22, 0x80000000, v22
	v_lshl_add_u32 v21, v21, 23, v23
	v_or3_b32 v20, v22, v21, v20
.LBB22_276:
	s_or_b64 exec, exec, s[6:7]
	s_movk_i32 s4, 0xff
	v_and_b32_sdwa v21, v10, s4 dst_sel:DWORD dst_unused:UNUSED_PAD src0_sel:WORD_1 src1_sel:DWORD
	s_movk_i32 s4, 0x7f
	v_cmp_lt_i16_e32 vcc, s4, v21
	s_mov_b64 s[4:5], 0
                                        ; implicit-def: $sgpr10
	s_and_saveexec_b64 s[6:7], vcc
	s_xor_b64 s[6:7], exec, s[6:7]
	s_cbranch_execnz .LBB22_2325
; %bb.277:
	s_or_saveexec_b64 s[6:7], s[6:7]
	v_mov_b32_e32 v22, s10
	s_xor_b64 exec, exec, s[6:7]
	s_cbranch_execnz .LBB22_2328
.LBB22_278:
	s_or_b64 exec, exec, s[6:7]
	s_and_saveexec_b64 s[6:7], s[4:5]
	s_cbranch_execz .LBB22_280
.LBB22_279:
	v_bfe_u32 v21, v10, 16, 3
	v_ffbh_u32_e32 v24, v21
	v_min_u32_e32 v24, 32, v24
	v_lshrrev_b32_e32 v22, 19, v10
	v_subrev_u32_e32 v25, 28, v24
	v_and_b32_e32 v22, 15, v22
	v_lshlrev_b32_sdwa v25, v25, v10 dst_sel:DWORD dst_unused:UNUSED_PAD src0_sel:DWORD src1_sel:WORD_1
	v_bfe_u32 v23, v10, 19, 4
	v_sub_u32_e32 v24, 29, v24
	v_and_b32_e32 v25, 7, v25
	v_cmp_eq_u16_e32 vcc, 0, v22
	v_cndmask_b32_e32 v21, v21, v25, vcc
	v_cndmask_b32_e32 v22, v23, v24, vcc
	v_lshlrev_b32_e32 v23, 8, v10
	v_mov_b32_e32 v24, 0x3b800000
	v_lshlrev_b32_e32 v21, 20, v21
	v_and_b32_e32 v23, 0x80000000, v23
	v_lshl_add_u32 v22, v22, 23, v24
	v_or3_b32 v22, v23, v22, v21
.LBB22_280:
	s_or_b64 exec, exec, s[6:7]
	s_nop 0
	v_mfma_f32_16x16x4f32 a[0:3], v20, v22, a[0:3]
	s_movk_i32 s4, 0x7f
	v_cmp_gt_i16_sdwa s[6:7], v14, s4 src0_sel:BYTE_3 src1_sel:DWORD
	s_mov_b64 s[4:5], 0
                                        ; implicit-def: $sgpr10
	s_and_saveexec_b64 s[8:9], s[6:7]
	s_xor_b64 s[6:7], exec, s[8:9]
	s_cbranch_execnz .LBB22_2329
; %bb.281:
	s_or_saveexec_b64 s[6:7], s[6:7]
	v_mov_b32_e32 v20, s10
	s_xor_b64 exec, exec, s[6:7]
	s_cbranch_execnz .LBB22_2332
.LBB22_282:
	s_or_b64 exec, exec, s[6:7]
	s_and_saveexec_b64 s[6:7], s[4:5]
	s_cbranch_execz .LBB22_284
.LBB22_283:
	v_bfe_u32 v20, v14, 24, 3
	v_ffbh_u32_e32 v24, v20
	v_min_u32_e32 v24, 32, v24
	v_lshrrev_b32_e32 v22, 27, v14
	v_subrev_u32_e32 v25, 28, v24
	v_and_b32_e32 v21, 0x80000000, v14
	v_and_b32_e32 v22, 15, v22
	v_bfe_u32 v23, v14, 27, 4
	v_lshlrev_b32_sdwa v14, v25, v14 dst_sel:DWORD dst_unused:UNUSED_PAD src0_sel:DWORD src1_sel:BYTE_3
	v_sub_u32_e32 v24, 29, v24
	v_and_b32_e32 v14, 7, v14
	v_cmp_eq_u16_e32 vcc, 0, v22
	v_cndmask_b32_e32 v14, v20, v14, vcc
	v_cndmask_b32_e32 v20, v23, v24, vcc
	v_mov_b32_e32 v22, 0x3b800000
	v_lshlrev_b32_e32 v14, 20, v14
	v_lshl_add_u32 v20, v20, 23, v22
	v_or3_b32 v20, v21, v20, v14
.LBB22_284:
	s_or_b64 exec, exec, s[6:7]
	s_movk_i32 s4, 0x7f
	v_cmp_gt_i16_sdwa s[6:7], v10, s4 src0_sel:BYTE_3 src1_sel:DWORD
	s_mov_b64 s[4:5], 0
                                        ; implicit-def: $sgpr10
	s_and_saveexec_b64 s[8:9], s[6:7]
	s_xor_b64 s[6:7], exec, s[8:9]
	s_cbranch_execnz .LBB22_2333
; %bb.285:
	s_or_saveexec_b64 s[6:7], s[6:7]
	v_mov_b32_e32 v14, s10
	s_xor_b64 exec, exec, s[6:7]
	s_cbranch_execnz .LBB22_2336
.LBB22_286:
	s_or_b64 exec, exec, s[6:7]
	s_and_saveexec_b64 s[6:7], s[4:5]
	s_cbranch_execz .LBB22_288
.LBB22_287:
	v_bfe_u32 v14, v10, 24, 3
	v_ffbh_u32_e32 v24, v14
	v_min_u32_e32 v24, 32, v24
	v_lshrrev_b32_e32 v22, 27, v10
	v_subrev_u32_e32 v25, 28, v24
	v_and_b32_e32 v21, 0x80000000, v10
	v_and_b32_e32 v22, 15, v22
	v_bfe_u32 v23, v10, 27, 4
	v_lshlrev_b32_sdwa v10, v25, v10 dst_sel:DWORD dst_unused:UNUSED_PAD src0_sel:DWORD src1_sel:BYTE_3
	v_sub_u32_e32 v24, 29, v24
	v_and_b32_e32 v10, 7, v10
	v_cmp_eq_u16_e32 vcc, 0, v22
	v_cndmask_b32_e32 v10, v14, v10, vcc
	v_cndmask_b32_e32 v14, v23, v24, vcc
	v_mov_b32_e32 v22, 0x3b800000
	v_lshlrev_b32_e32 v10, 20, v10
	v_lshl_add_u32 v14, v14, 23, v22
	v_or3_b32 v14, v21, v14, v10
.LBB22_288:
	s_or_b64 exec, exec, s[6:7]
	s_nop 0
	v_mfma_f32_16x16x4f32 a[0:3], v20, v14, a[0:3]
	s_movk_i32 s4, 0x7f
	v_cmp_gt_i16_sdwa s[6:7], v15, s4 src0_sel:BYTE_0 src1_sel:DWORD
	s_mov_b64 s[4:5], 0
                                        ; implicit-def: $sgpr10
	s_and_saveexec_b64 s[8:9], s[6:7]
	s_xor_b64 s[6:7], exec, s[8:9]
	s_cbranch_execnz .LBB22_2337
; %bb.289:
	s_or_saveexec_b64 s[6:7], s[6:7]
	v_mov_b32_e32 v10, s10
	s_xor_b64 exec, exec, s[6:7]
	s_cbranch_execnz .LBB22_2340
.LBB22_290:
	s_or_b64 exec, exec, s[6:7]
	s_and_saveexec_b64 s[6:7], s[4:5]
	s_cbranch_execz .LBB22_292
.LBB22_291:
	v_and_b32_e32 v10, 7, v15
	v_ffbh_u32_e32 v20, v10
	v_min_u32_e32 v20, 32, v20
	v_lshrrev_b16_e32 v14, 3, v15
	v_subrev_u32_e32 v21, 28, v20
	v_and_b32_e32 v14, 15, v14
	v_lshlrev_b32_e32 v21, v21, v15
	v_sub_u32_e32 v20, 29, v20
	v_and_b32_e32 v21, 7, v21
	v_cmp_eq_u16_e32 vcc, 0, v14
	v_cndmask_b32_e32 v10, v10, v21, vcc
	v_cndmask_b32_e32 v14, v14, v20, vcc
	v_lshlrev_b32_e32 v20, 24, v15
	v_mov_b32_e32 v21, 0x3b800000
	v_lshlrev_b32_e32 v10, 20, v10
	v_and_b32_e32 v20, 0x80000000, v20
	v_lshl_add_u32 v14, v14, 23, v21
	v_or3_b32 v10, v20, v14, v10
.LBB22_292:
	s_or_b64 exec, exec, s[6:7]
	s_movk_i32 s4, 0x7f
	v_cmp_gt_i16_sdwa s[6:7], v11, s4 src0_sel:BYTE_0 src1_sel:DWORD
	s_mov_b64 s[4:5], 0
                                        ; implicit-def: $sgpr10
	s_and_saveexec_b64 s[8:9], s[6:7]
	s_xor_b64 s[6:7], exec, s[8:9]
	s_cbranch_execnz .LBB22_2341
; %bb.293:
	s_or_saveexec_b64 s[6:7], s[6:7]
	v_mov_b32_e32 v14, s10
	s_xor_b64 exec, exec, s[6:7]
	s_cbranch_execnz .LBB22_2344
.LBB22_294:
	s_or_b64 exec, exec, s[6:7]
	s_and_saveexec_b64 s[6:7], s[4:5]
	s_cbranch_execz .LBB22_296
.LBB22_295:
	v_and_b32_e32 v14, 7, v11
	v_ffbh_u32_e32 v21, v14
	v_min_u32_e32 v21, 32, v21
	v_lshrrev_b16_e32 v20, 3, v11
	v_subrev_u32_e32 v22, 28, v21
	v_and_b32_e32 v20, 15, v20
	v_lshlrev_b32_e32 v22, v22, v11
	v_sub_u32_e32 v21, 29, v21
	v_and_b32_e32 v22, 7, v22
	v_cmp_eq_u16_e32 vcc, 0, v20
	v_cndmask_b32_e32 v14, v14, v22, vcc
	v_cndmask_b32_e32 v20, v20, v21, vcc
	v_lshlrev_b32_e32 v21, 24, v11
	v_mov_b32_e32 v22, 0x3b800000
	v_lshlrev_b32_e32 v14, 20, v14
	v_and_b32_e32 v21, 0x80000000, v21
	v_lshl_add_u32 v20, v20, 23, v22
	v_or3_b32 v14, v21, v20, v14
.LBB22_296:
	s_or_b64 exec, exec, s[6:7]
	s_nop 0
	v_mfma_f32_16x16x4f32 a[0:3], v10, v14, a[0:3]
	v_lshrrev_b32_e32 v14, 8, v15
	s_movk_i32 s4, 0x7f
	v_cmp_gt_i16_sdwa s[6:7], v14, s4 src0_sel:BYTE_0 src1_sel:DWORD
	s_mov_b64 s[4:5], 0
                                        ; implicit-def: $sgpr10
	s_and_saveexec_b64 s[8:9], s[6:7]
	s_xor_b64 s[6:7], exec, s[8:9]
	s_cbranch_execnz .LBB22_2345
; %bb.297:
	s_or_saveexec_b64 s[6:7], s[6:7]
	v_mov_b32_e32 v10, s10
	s_xor_b64 exec, exec, s[6:7]
	s_cbranch_execnz .LBB22_2348
.LBB22_298:
	s_or_b64 exec, exec, s[6:7]
	s_and_saveexec_b64 s[6:7], s[4:5]
	s_cbranch_execz .LBB22_300
.LBB22_299:
	v_bfe_u32 v10, v15, 8, 3
	v_ffbh_u32_e32 v21, v10
	v_min_u32_e32 v21, 32, v21
	v_lshrrev_b16_e32 v20, 3, v14
	v_subrev_u32_e32 v22, 28, v21
	v_and_b32_e32 v20, 15, v20
	v_lshlrev_b32_e32 v14, v22, v14
	v_sub_u32_e32 v21, 29, v21
	v_and_b32_e32 v14, 7, v14
	v_cmp_eq_u16_e32 vcc, 0, v20
	v_cndmask_b32_e32 v10, v10, v14, vcc
	v_cndmask_b32_e32 v14, v20, v21, vcc
	v_lshlrev_b32_e32 v20, 16, v15
	v_mov_b32_e32 v21, 0x3b800000
	v_lshlrev_b32_e32 v10, 20, v10
	v_and_b32_e32 v20, 0x80000000, v20
	v_lshl_add_u32 v14, v14, 23, v21
	v_or3_b32 v10, v20, v14, v10
.LBB22_300:
	s_or_b64 exec, exec, s[6:7]
	v_lshrrev_b32_e32 v14, 8, v11
	s_movk_i32 s4, 0x7f
	v_cmp_gt_i16_sdwa s[6:7], v14, s4 src0_sel:BYTE_0 src1_sel:DWORD
	s_mov_b64 s[4:5], 0
                                        ; implicit-def: $sgpr10
	s_and_saveexec_b64 s[8:9], s[6:7]
	s_xor_b64 s[6:7], exec, s[8:9]
	s_cbranch_execnz .LBB22_2349
; %bb.301:
	s_or_saveexec_b64 s[6:7], s[6:7]
	v_mov_b32_e32 v20, s10
	s_xor_b64 exec, exec, s[6:7]
	s_cbranch_execnz .LBB22_2352
.LBB22_302:
	s_or_b64 exec, exec, s[6:7]
	s_and_saveexec_b64 s[6:7], s[4:5]
	s_cbranch_execz .LBB22_304
.LBB22_303:
	v_bfe_u32 v20, v11, 8, 3
	v_ffbh_u32_e32 v22, v20
	v_min_u32_e32 v22, 32, v22
	v_lshrrev_b16_e32 v21, 3, v14
	v_subrev_u32_e32 v23, 28, v22
	v_and_b32_e32 v21, 15, v21
	v_lshlrev_b32_e32 v14, v23, v14
	v_sub_u32_e32 v22, 29, v22
	v_and_b32_e32 v14, 7, v14
	v_cmp_eq_u16_e32 vcc, 0, v21
	v_cndmask_b32_e32 v14, v20, v14, vcc
	v_cndmask_b32_e32 v20, v21, v22, vcc
	v_lshlrev_b32_e32 v21, 16, v11
	v_mov_b32_e32 v22, 0x3b800000
	v_lshlrev_b32_e32 v14, 20, v14
	v_and_b32_e32 v21, 0x80000000, v21
	v_lshl_add_u32 v20, v20, 23, v22
	v_or3_b32 v20, v21, v20, v14
.LBB22_304:
	s_or_b64 exec, exec, s[6:7]
	s_nop 0
	v_mfma_f32_16x16x4f32 a[0:3], v10, v20, a[0:3]
	s_movk_i32 s4, 0xff
	v_and_b32_sdwa v14, v15, s4 dst_sel:DWORD dst_unused:UNUSED_PAD src0_sel:WORD_1 src1_sel:DWORD
	s_movk_i32 s4, 0x7f
	v_cmp_lt_i16_e32 vcc, s4, v14
	s_mov_b64 s[4:5], 0
                                        ; implicit-def: $sgpr10
	s_and_saveexec_b64 s[6:7], vcc
	s_xor_b64 s[6:7], exec, s[6:7]
	s_cbranch_execnz .LBB22_2353
; %bb.305:
	s_or_saveexec_b64 s[6:7], s[6:7]
	v_mov_b32_e32 v10, s10
	s_xor_b64 exec, exec, s[6:7]
	s_cbranch_execnz .LBB22_2356
.LBB22_306:
	s_or_b64 exec, exec, s[6:7]
	s_and_saveexec_b64 s[6:7], s[4:5]
	s_cbranch_execz .LBB22_308
.LBB22_307:
	v_bfe_u32 v10, v15, 16, 3
	v_ffbh_u32_e32 v21, v10
	v_min_u32_e32 v21, 32, v21
	v_lshrrev_b32_e32 v14, 19, v15
	v_subrev_u32_e32 v22, 28, v21
	v_and_b32_e32 v14, 15, v14
	v_lshlrev_b32_sdwa v22, v22, v15 dst_sel:DWORD dst_unused:UNUSED_PAD src0_sel:DWORD src1_sel:WORD_1
	v_bfe_u32 v20, v15, 19, 4
	v_sub_u32_e32 v21, 29, v21
	v_and_b32_e32 v22, 7, v22
	v_cmp_eq_u16_e32 vcc, 0, v14
	v_cndmask_b32_e32 v10, v10, v22, vcc
	v_cndmask_b32_e32 v14, v20, v21, vcc
	v_lshlrev_b32_e32 v20, 8, v15
	v_mov_b32_e32 v21, 0x3b800000
	v_lshlrev_b32_e32 v10, 20, v10
	v_and_b32_e32 v20, 0x80000000, v20
	v_lshl_add_u32 v14, v14, 23, v21
	v_or3_b32 v10, v20, v14, v10
.LBB22_308:
	s_or_b64 exec, exec, s[6:7]
	s_movk_i32 s4, 0xff
	v_and_b32_sdwa v14, v11, s4 dst_sel:DWORD dst_unused:UNUSED_PAD src0_sel:WORD_1 src1_sel:DWORD
	s_movk_i32 s4, 0x7f
	v_cmp_lt_i16_e32 vcc, s4, v14
	s_mov_b64 s[4:5], 0
                                        ; implicit-def: $sgpr10
	s_and_saveexec_b64 s[6:7], vcc
	s_xor_b64 s[6:7], exec, s[6:7]
	s_cbranch_execnz .LBB22_2357
; %bb.309:
	s_or_saveexec_b64 s[6:7], s[6:7]
	v_mov_b32_e32 v20, s10
	s_xor_b64 exec, exec, s[6:7]
	s_cbranch_execnz .LBB22_2360
.LBB22_310:
	s_or_b64 exec, exec, s[6:7]
	s_and_saveexec_b64 s[6:7], s[4:5]
	s_cbranch_execz .LBB22_312
.LBB22_311:
	v_bfe_u32 v14, v11, 16, 3
	v_ffbh_u32_e32 v22, v14
	v_min_u32_e32 v22, 32, v22
	v_lshrrev_b32_e32 v20, 19, v11
	v_subrev_u32_e32 v23, 28, v22
	v_and_b32_e32 v20, 15, v20
	v_lshlrev_b32_sdwa v23, v23, v11 dst_sel:DWORD dst_unused:UNUSED_PAD src0_sel:DWORD src1_sel:WORD_1
	v_bfe_u32 v21, v11, 19, 4
	v_sub_u32_e32 v22, 29, v22
	v_and_b32_e32 v23, 7, v23
	v_cmp_eq_u16_e32 vcc, 0, v20
	v_cndmask_b32_e32 v14, v14, v23, vcc
	v_cndmask_b32_e32 v20, v21, v22, vcc
	v_lshlrev_b32_e32 v21, 8, v11
	v_mov_b32_e32 v22, 0x3b800000
	v_lshlrev_b32_e32 v14, 20, v14
	v_and_b32_e32 v21, 0x80000000, v21
	v_lshl_add_u32 v20, v20, 23, v22
	v_or3_b32 v20, v21, v20, v14
.LBB22_312:
	s_or_b64 exec, exec, s[6:7]
	s_nop 0
	v_mfma_f32_16x16x4f32 a[0:3], v10, v20, a[0:3]
	s_movk_i32 s4, 0x7f
	v_cmp_gt_i16_sdwa s[6:7], v15, s4 src0_sel:BYTE_3 src1_sel:DWORD
	s_mov_b64 s[4:5], 0
                                        ; implicit-def: $sgpr10
	s_and_saveexec_b64 s[8:9], s[6:7]
	s_xor_b64 s[6:7], exec, s[8:9]
	s_cbranch_execnz .LBB22_2361
; %bb.313:
	s_or_saveexec_b64 s[6:7], s[6:7]
	v_mov_b32_e32 v10, s10
	s_xor_b64 exec, exec, s[6:7]
	s_cbranch_execnz .LBB22_2364
.LBB22_314:
	s_or_b64 exec, exec, s[6:7]
	s_and_saveexec_b64 s[6:7], s[4:5]
	s_cbranch_execz .LBB22_316
.LBB22_315:
	v_bfe_u32 v10, v15, 24, 3
	v_ffbh_u32_e32 v22, v10
	v_min_u32_e32 v22, 32, v22
	v_lshrrev_b32_e32 v20, 27, v15
	v_subrev_u32_e32 v23, 28, v22
	v_and_b32_e32 v14, 0x80000000, v15
	v_and_b32_e32 v20, 15, v20
	v_bfe_u32 v21, v15, 27, 4
	v_lshlrev_b32_sdwa v15, v23, v15 dst_sel:DWORD dst_unused:UNUSED_PAD src0_sel:DWORD src1_sel:BYTE_3
	v_sub_u32_e32 v22, 29, v22
	v_and_b32_e32 v15, 7, v15
	v_cmp_eq_u16_e32 vcc, 0, v20
	v_cndmask_b32_e32 v10, v10, v15, vcc
	v_cndmask_b32_e32 v15, v21, v22, vcc
	v_mov_b32_e32 v20, 0x3b800000
	v_lshlrev_b32_e32 v10, 20, v10
	v_lshl_add_u32 v15, v15, 23, v20
	v_or3_b32 v10, v14, v15, v10
.LBB22_316:
	s_or_b64 exec, exec, s[6:7]
	s_movk_i32 s4, 0x7f
	v_cmp_gt_i16_sdwa s[6:7], v11, s4 src0_sel:BYTE_3 src1_sel:DWORD
	s_mov_b64 s[4:5], 0
                                        ; implicit-def: $sgpr10
	s_and_saveexec_b64 s[8:9], s[6:7]
	s_xor_b64 s[6:7], exec, s[8:9]
	s_cbranch_execnz .LBB22_2365
; %bb.317:
	s_or_saveexec_b64 s[6:7], s[6:7]
	v_mov_b32_e32 v14, s10
	s_xor_b64 exec, exec, s[6:7]
	s_cbranch_execnz .LBB22_2368
.LBB22_318:
	s_or_b64 exec, exec, s[6:7]
	s_and_saveexec_b64 s[6:7], s[4:5]
	s_cbranch_execz .LBB22_320
.LBB22_319:
	v_bfe_u32 v14, v11, 24, 3
	v_ffbh_u32_e32 v22, v14
	v_min_u32_e32 v22, 32, v22
	v_lshrrev_b32_e32 v20, 27, v11
	v_subrev_u32_e32 v23, 28, v22
	v_and_b32_e32 v15, 0x80000000, v11
	v_and_b32_e32 v20, 15, v20
	v_bfe_u32 v21, v11, 27, 4
	v_lshlrev_b32_sdwa v11, v23, v11 dst_sel:DWORD dst_unused:UNUSED_PAD src0_sel:DWORD src1_sel:BYTE_3
	v_sub_u32_e32 v22, 29, v22
	v_and_b32_e32 v11, 7, v11
	v_cmp_eq_u16_e32 vcc, 0, v20
	v_cndmask_b32_e32 v11, v14, v11, vcc
	v_cndmask_b32_e32 v14, v21, v22, vcc
	v_mov_b32_e32 v20, 0x3b800000
	v_lshlrev_b32_e32 v11, 20, v11
	v_lshl_add_u32 v14, v14, 23, v20
	v_or3_b32 v14, v15, v14, v11
.LBB22_320:
	s_or_b64 exec, exec, s[6:7]
	s_nop 0
	v_mfma_f32_16x16x4f32 a[0:3], v10, v14, a[0:3]
	s_movk_i32 s4, 0x7f
	v_cmp_gt_i16_sdwa s[6:7], v16, s4 src0_sel:BYTE_0 src1_sel:DWORD
	s_mov_b64 s[4:5], 0
                                        ; implicit-def: $sgpr10
	s_and_saveexec_b64 s[8:9], s[6:7]
	s_xor_b64 s[6:7], exec, s[8:9]
	s_cbranch_execnz .LBB22_2369
; %bb.321:
	s_or_saveexec_b64 s[6:7], s[6:7]
	v_mov_b32_e32 v10, s10
	s_xor_b64 exec, exec, s[6:7]
	s_cbranch_execnz .LBB22_2372
.LBB22_322:
	s_or_b64 exec, exec, s[6:7]
	s_and_saveexec_b64 s[6:7], s[4:5]
	s_cbranch_execz .LBB22_324
.LBB22_323:
	v_and_b32_e32 v10, 7, v16
	v_ffbh_u32_e32 v14, v10
	v_min_u32_e32 v14, 32, v14
	v_lshrrev_b16_e32 v11, 3, v16
	v_subrev_u32_e32 v15, 28, v14
	v_and_b32_e32 v11, 15, v11
	v_lshlrev_b32_e32 v15, v15, v16
	v_sub_u32_e32 v14, 29, v14
	v_and_b32_e32 v15, 7, v15
	v_cmp_eq_u16_e32 vcc, 0, v11
	v_cndmask_b32_e32 v10, v10, v15, vcc
	v_cndmask_b32_e32 v11, v11, v14, vcc
	v_lshlrev_b32_e32 v14, 24, v16
	v_mov_b32_e32 v15, 0x3b800000
	v_lshlrev_b32_e32 v10, 20, v10
	v_and_b32_e32 v14, 0x80000000, v14
	v_lshl_add_u32 v11, v11, 23, v15
	v_or3_b32 v10, v14, v11, v10
.LBB22_324:
	s_or_b64 exec, exec, s[6:7]
	s_movk_i32 s4, 0x7f
	v_cmp_gt_i16_sdwa s[6:7], v12, s4 src0_sel:BYTE_0 src1_sel:DWORD
	s_mov_b64 s[4:5], 0
                                        ; implicit-def: $sgpr10
	s_and_saveexec_b64 s[8:9], s[6:7]
	s_xor_b64 s[6:7], exec, s[8:9]
	s_cbranch_execnz .LBB22_2373
; %bb.325:
	s_or_saveexec_b64 s[6:7], s[6:7]
	v_mov_b32_e32 v11, s10
	s_xor_b64 exec, exec, s[6:7]
	s_cbranch_execnz .LBB22_2376
.LBB22_326:
	s_or_b64 exec, exec, s[6:7]
	s_and_saveexec_b64 s[6:7], s[4:5]
	s_cbranch_execz .LBB22_328
.LBB22_327:
	v_and_b32_e32 v11, 7, v12
	v_ffbh_u32_e32 v15, v11
	v_min_u32_e32 v15, 32, v15
	v_lshrrev_b16_e32 v14, 3, v12
	v_subrev_u32_e32 v20, 28, v15
	v_and_b32_e32 v14, 15, v14
	v_lshlrev_b32_e32 v20, v20, v12
	v_sub_u32_e32 v15, 29, v15
	v_and_b32_e32 v20, 7, v20
	v_cmp_eq_u16_e32 vcc, 0, v14
	v_cndmask_b32_e32 v11, v11, v20, vcc
	v_cndmask_b32_e32 v14, v14, v15, vcc
	v_lshlrev_b32_e32 v15, 24, v12
	v_mov_b32_e32 v20, 0x3b800000
	v_lshlrev_b32_e32 v11, 20, v11
	v_and_b32_e32 v15, 0x80000000, v15
	v_lshl_add_u32 v14, v14, 23, v20
	v_or3_b32 v11, v15, v14, v11
.LBB22_328:
	s_or_b64 exec, exec, s[6:7]
	s_nop 0
	v_mfma_f32_16x16x4f32 a[0:3], v10, v11, a[0:3]
	v_lshrrev_b32_e32 v11, 8, v16
	s_movk_i32 s4, 0x7f
	v_cmp_gt_i16_sdwa s[6:7], v11, s4 src0_sel:BYTE_0 src1_sel:DWORD
	s_mov_b64 s[4:5], 0
                                        ; implicit-def: $sgpr10
	s_and_saveexec_b64 s[8:9], s[6:7]
	s_xor_b64 s[6:7], exec, s[8:9]
	s_cbranch_execnz .LBB22_2377
; %bb.329:
	s_or_saveexec_b64 s[6:7], s[6:7]
	v_mov_b32_e32 v10, s10
	s_xor_b64 exec, exec, s[6:7]
	s_cbranch_execnz .LBB22_2380
.LBB22_330:
	s_or_b64 exec, exec, s[6:7]
	s_and_saveexec_b64 s[6:7], s[4:5]
	s_cbranch_execz .LBB22_332
.LBB22_331:
	v_bfe_u32 v10, v16, 8, 3
	v_ffbh_u32_e32 v15, v10
	v_min_u32_e32 v15, 32, v15
	v_lshrrev_b16_e32 v14, 3, v11
	v_subrev_u32_e32 v20, 28, v15
	v_and_b32_e32 v14, 15, v14
	v_lshlrev_b32_e32 v11, v20, v11
	v_sub_u32_e32 v15, 29, v15
	v_and_b32_e32 v11, 7, v11
	v_cmp_eq_u16_e32 vcc, 0, v14
	v_cndmask_b32_e32 v10, v10, v11, vcc
	v_cndmask_b32_e32 v11, v14, v15, vcc
	v_lshlrev_b32_e32 v14, 16, v16
	v_mov_b32_e32 v15, 0x3b800000
	v_lshlrev_b32_e32 v10, 20, v10
	v_and_b32_e32 v14, 0x80000000, v14
	v_lshl_add_u32 v11, v11, 23, v15
	v_or3_b32 v10, v14, v11, v10
.LBB22_332:
	s_or_b64 exec, exec, s[6:7]
	v_lshrrev_b32_e32 v11, 8, v12
	s_movk_i32 s4, 0x7f
	v_cmp_gt_i16_sdwa s[6:7], v11, s4 src0_sel:BYTE_0 src1_sel:DWORD
	s_mov_b64 s[4:5], 0
                                        ; implicit-def: $sgpr10
	s_and_saveexec_b64 s[8:9], s[6:7]
	s_xor_b64 s[6:7], exec, s[8:9]
	s_cbranch_execnz .LBB22_2381
; %bb.333:
	s_or_saveexec_b64 s[6:7], s[6:7]
	v_mov_b32_e32 v14, s10
	s_xor_b64 exec, exec, s[6:7]
	s_cbranch_execnz .LBB22_2384
.LBB22_334:
	s_or_b64 exec, exec, s[6:7]
	s_and_saveexec_b64 s[6:7], s[4:5]
	s_cbranch_execz .LBB22_336
.LBB22_335:
	v_bfe_u32 v14, v12, 8, 3
	v_ffbh_u32_e32 v20, v14
	v_min_u32_e32 v20, 32, v20
	v_lshrrev_b16_e32 v15, 3, v11
	v_subrev_u32_e32 v21, 28, v20
	v_and_b32_e32 v15, 15, v15
	v_lshlrev_b32_e32 v11, v21, v11
	v_sub_u32_e32 v20, 29, v20
	v_and_b32_e32 v11, 7, v11
	v_cmp_eq_u16_e32 vcc, 0, v15
	v_cndmask_b32_e32 v11, v14, v11, vcc
	v_cndmask_b32_e32 v14, v15, v20, vcc
	v_lshlrev_b32_e32 v15, 16, v12
	v_mov_b32_e32 v20, 0x3b800000
	v_lshlrev_b32_e32 v11, 20, v11
	v_and_b32_e32 v15, 0x80000000, v15
	v_lshl_add_u32 v14, v14, 23, v20
	v_or3_b32 v14, v15, v14, v11
.LBB22_336:
	s_or_b64 exec, exec, s[6:7]
	s_nop 0
	v_mfma_f32_16x16x4f32 a[0:3], v10, v14, a[0:3]
	s_movk_i32 s4, 0xff
	v_and_b32_sdwa v11, v16, s4 dst_sel:DWORD dst_unused:UNUSED_PAD src0_sel:WORD_1 src1_sel:DWORD
	s_movk_i32 s4, 0x7f
	v_cmp_lt_i16_e32 vcc, s4, v11
	s_mov_b64 s[4:5], 0
                                        ; implicit-def: $sgpr10
	s_and_saveexec_b64 s[6:7], vcc
	s_xor_b64 s[6:7], exec, s[6:7]
	s_cbranch_execnz .LBB22_2385
; %bb.337:
	s_or_saveexec_b64 s[6:7], s[6:7]
	v_mov_b32_e32 v10, s10
	s_xor_b64 exec, exec, s[6:7]
	s_cbranch_execnz .LBB22_2388
.LBB22_338:
	s_or_b64 exec, exec, s[6:7]
	s_and_saveexec_b64 s[6:7], s[4:5]
	s_cbranch_execz .LBB22_340
.LBB22_339:
	v_bfe_u32 v10, v16, 16, 3
	v_ffbh_u32_e32 v15, v10
	v_min_u32_e32 v15, 32, v15
	v_lshrrev_b32_e32 v11, 19, v16
	v_subrev_u32_e32 v20, 28, v15
	v_and_b32_e32 v11, 15, v11
	v_lshlrev_b32_sdwa v20, v20, v16 dst_sel:DWORD dst_unused:UNUSED_PAD src0_sel:DWORD src1_sel:WORD_1
	v_bfe_u32 v14, v16, 19, 4
	v_sub_u32_e32 v15, 29, v15
	v_and_b32_e32 v20, 7, v20
	v_cmp_eq_u16_e32 vcc, 0, v11
	v_cndmask_b32_e32 v10, v10, v20, vcc
	v_cndmask_b32_e32 v11, v14, v15, vcc
	v_lshlrev_b32_e32 v14, 8, v16
	v_mov_b32_e32 v15, 0x3b800000
	v_lshlrev_b32_e32 v10, 20, v10
	v_and_b32_e32 v14, 0x80000000, v14
	v_lshl_add_u32 v11, v11, 23, v15
	v_or3_b32 v10, v14, v11, v10
.LBB22_340:
	s_or_b64 exec, exec, s[6:7]
	s_movk_i32 s4, 0xff
	v_and_b32_sdwa v11, v12, s4 dst_sel:DWORD dst_unused:UNUSED_PAD src0_sel:WORD_1 src1_sel:DWORD
	s_movk_i32 s4, 0x7f
	v_cmp_lt_i16_e32 vcc, s4, v11
	s_mov_b64 s[4:5], 0
                                        ; implicit-def: $sgpr10
	s_and_saveexec_b64 s[6:7], vcc
	s_xor_b64 s[6:7], exec, s[6:7]
	s_cbranch_execnz .LBB22_2389
; %bb.341:
	s_or_saveexec_b64 s[6:7], s[6:7]
	v_mov_b32_e32 v14, s10
	s_xor_b64 exec, exec, s[6:7]
	s_cbranch_execnz .LBB22_2392
.LBB22_342:
	s_or_b64 exec, exec, s[6:7]
	s_and_saveexec_b64 s[6:7], s[4:5]
	s_cbranch_execz .LBB22_344
.LBB22_343:
	v_bfe_u32 v11, v12, 16, 3
	v_ffbh_u32_e32 v20, v11
	v_min_u32_e32 v20, 32, v20
	v_lshrrev_b32_e32 v14, 19, v12
	v_subrev_u32_e32 v21, 28, v20
	v_and_b32_e32 v14, 15, v14
	v_lshlrev_b32_sdwa v21, v21, v12 dst_sel:DWORD dst_unused:UNUSED_PAD src0_sel:DWORD src1_sel:WORD_1
	v_bfe_u32 v15, v12, 19, 4
	v_sub_u32_e32 v20, 29, v20
	v_and_b32_e32 v21, 7, v21
	v_cmp_eq_u16_e32 vcc, 0, v14
	v_cndmask_b32_e32 v11, v11, v21, vcc
	v_cndmask_b32_e32 v14, v15, v20, vcc
	v_lshlrev_b32_e32 v15, 8, v12
	v_mov_b32_e32 v20, 0x3b800000
	v_lshlrev_b32_e32 v11, 20, v11
	v_and_b32_e32 v15, 0x80000000, v15
	v_lshl_add_u32 v14, v14, 23, v20
	v_or3_b32 v14, v15, v14, v11
.LBB22_344:
	s_or_b64 exec, exec, s[6:7]
	s_nop 0
	v_mfma_f32_16x16x4f32 a[0:3], v10, v14, a[0:3]
	s_movk_i32 s4, 0x7f
	v_cmp_gt_i16_sdwa s[6:7], v16, s4 src0_sel:BYTE_3 src1_sel:DWORD
	s_mov_b64 s[4:5], 0
                                        ; implicit-def: $sgpr10
	s_and_saveexec_b64 s[8:9], s[6:7]
	s_xor_b64 s[6:7], exec, s[8:9]
	s_cbranch_execnz .LBB22_2393
; %bb.345:
	s_or_saveexec_b64 s[6:7], s[6:7]
	v_mov_b32_e32 v10, s10
	s_xor_b64 exec, exec, s[6:7]
	s_cbranch_execnz .LBB22_2396
.LBB22_346:
	s_or_b64 exec, exec, s[6:7]
	s_and_saveexec_b64 s[6:7], s[4:5]
	s_cbranch_execz .LBB22_348
.LBB22_347:
	v_bfe_u32 v10, v16, 24, 3
	v_ffbh_u32_e32 v20, v10
	v_min_u32_e32 v20, 32, v20
	v_lshrrev_b32_e32 v14, 27, v16
	v_subrev_u32_e32 v21, 28, v20
	v_and_b32_e32 v11, 0x80000000, v16
	v_and_b32_e32 v14, 15, v14
	v_bfe_u32 v15, v16, 27, 4
	v_lshlrev_b32_sdwa v16, v21, v16 dst_sel:DWORD dst_unused:UNUSED_PAD src0_sel:DWORD src1_sel:BYTE_3
	v_sub_u32_e32 v20, 29, v20
	v_and_b32_e32 v16, 7, v16
	v_cmp_eq_u16_e32 vcc, 0, v14
	v_cndmask_b32_e32 v10, v10, v16, vcc
	v_cndmask_b32_e32 v14, v15, v20, vcc
	v_mov_b32_e32 v15, 0x3b800000
	v_lshlrev_b32_e32 v10, 20, v10
	v_lshl_add_u32 v14, v14, 23, v15
	v_or3_b32 v10, v11, v14, v10
.LBB22_348:
	s_or_b64 exec, exec, s[6:7]
	s_movk_i32 s4, 0x7f
	v_cmp_gt_i16_sdwa s[6:7], v12, s4 src0_sel:BYTE_3 src1_sel:DWORD
	s_mov_b64 s[4:5], 0
                                        ; implicit-def: $sgpr10
	s_and_saveexec_b64 s[8:9], s[6:7]
	s_xor_b64 s[6:7], exec, s[8:9]
	s_cbranch_execnz .LBB22_2397
; %bb.349:
	s_or_saveexec_b64 s[6:7], s[6:7]
	v_mov_b32_e32 v11, s10
	s_xor_b64 exec, exec, s[6:7]
	s_cbranch_execnz .LBB22_2400
.LBB22_350:
	s_or_b64 exec, exec, s[6:7]
	s_and_saveexec_b64 s[6:7], s[4:5]
	s_cbranch_execz .LBB22_352
.LBB22_351:
	v_bfe_u32 v11, v12, 24, 3
	v_ffbh_u32_e32 v20, v11
	v_min_u32_e32 v20, 32, v20
	v_lshrrev_b32_e32 v15, 27, v12
	v_subrev_u32_e32 v21, 28, v20
	v_and_b32_e32 v14, 0x80000000, v12
	v_and_b32_e32 v15, 15, v15
	v_bfe_u32 v16, v12, 27, 4
	v_lshlrev_b32_sdwa v12, v21, v12 dst_sel:DWORD dst_unused:UNUSED_PAD src0_sel:DWORD src1_sel:BYTE_3
	v_sub_u32_e32 v20, 29, v20
	v_and_b32_e32 v12, 7, v12
	v_cmp_eq_u16_e32 vcc, 0, v15
	v_cndmask_b32_e32 v11, v11, v12, vcc
	v_cndmask_b32_e32 v12, v16, v20, vcc
	v_mov_b32_e32 v15, 0x3b800000
	v_lshlrev_b32_e32 v11, 20, v11
	v_lshl_add_u32 v12, v12, 23, v15
	v_or3_b32 v11, v14, v12, v11
.LBB22_352:
	s_or_b64 exec, exec, s[6:7]
	s_nop 0
	v_mfma_f32_16x16x4f32 a[0:3], v10, v11, a[0:3]
	s_movk_i32 s4, 0x7f
	v_cmp_gt_i16_sdwa s[6:7], v17, s4 src0_sel:BYTE_0 src1_sel:DWORD
	s_mov_b64 s[4:5], 0
                                        ; implicit-def: $sgpr10
	s_and_saveexec_b64 s[8:9], s[6:7]
	s_xor_b64 s[6:7], exec, s[8:9]
	s_cbranch_execnz .LBB22_2401
; %bb.353:
	s_or_saveexec_b64 s[6:7], s[6:7]
	v_mov_b32_e32 v10, s10
	s_xor_b64 exec, exec, s[6:7]
	s_cbranch_execnz .LBB22_2404
.LBB22_354:
	s_or_b64 exec, exec, s[6:7]
	s_and_saveexec_b64 s[6:7], s[4:5]
	s_cbranch_execz .LBB22_356
.LBB22_355:
	v_and_b32_e32 v10, 7, v17
	v_ffbh_u32_e32 v12, v10
	v_min_u32_e32 v12, 32, v12
	v_lshrrev_b16_e32 v11, 3, v17
	v_subrev_u32_e32 v14, 28, v12
	v_and_b32_e32 v11, 15, v11
	v_lshlrev_b32_e32 v14, v14, v17
	v_sub_u32_e32 v12, 29, v12
	v_and_b32_e32 v14, 7, v14
	v_cmp_eq_u16_e32 vcc, 0, v11
	v_cndmask_b32_e32 v10, v10, v14, vcc
	v_cndmask_b32_e32 v11, v11, v12, vcc
	v_lshlrev_b32_e32 v12, 24, v17
	v_mov_b32_e32 v14, 0x3b800000
	v_lshlrev_b32_e32 v10, 20, v10
	v_and_b32_e32 v12, 0x80000000, v12
	v_lshl_add_u32 v11, v11, 23, v14
	v_or3_b32 v10, v12, v11, v10
.LBB22_356:
	s_or_b64 exec, exec, s[6:7]
	s_movk_i32 s4, 0x7f
	v_cmp_gt_i16_sdwa s[6:7], v13, s4 src0_sel:BYTE_0 src1_sel:DWORD
	s_mov_b64 s[4:5], 0
                                        ; implicit-def: $sgpr10
	s_and_saveexec_b64 s[8:9], s[6:7]
	s_xor_b64 s[6:7], exec, s[8:9]
	s_cbranch_execnz .LBB22_2405
; %bb.357:
	s_or_saveexec_b64 s[6:7], s[6:7]
	v_mov_b32_e32 v11, s10
	s_xor_b64 exec, exec, s[6:7]
	s_cbranch_execnz .LBB22_2408
.LBB22_358:
	s_or_b64 exec, exec, s[6:7]
	s_and_saveexec_b64 s[6:7], s[4:5]
	s_cbranch_execz .LBB22_360
.LBB22_359:
	v_and_b32_e32 v11, 7, v13
	v_ffbh_u32_e32 v14, v11
	v_min_u32_e32 v14, 32, v14
	v_lshrrev_b16_e32 v12, 3, v13
	v_subrev_u32_e32 v15, 28, v14
	v_and_b32_e32 v12, 15, v12
	v_lshlrev_b32_e32 v15, v15, v13
	v_sub_u32_e32 v14, 29, v14
	v_and_b32_e32 v15, 7, v15
	v_cmp_eq_u16_e32 vcc, 0, v12
	v_cndmask_b32_e32 v11, v11, v15, vcc
	v_cndmask_b32_e32 v12, v12, v14, vcc
	v_lshlrev_b32_e32 v14, 24, v13
	v_mov_b32_e32 v15, 0x3b800000
	v_lshlrev_b32_e32 v11, 20, v11
	v_and_b32_e32 v14, 0x80000000, v14
	v_lshl_add_u32 v12, v12, 23, v15
	v_or3_b32 v11, v14, v12, v11
.LBB22_360:
	s_or_b64 exec, exec, s[6:7]
	s_nop 0
	v_mfma_f32_16x16x4f32 a[0:3], v10, v11, a[0:3]
	v_lshrrev_b32_e32 v11, 8, v17
	s_movk_i32 s4, 0x7f
	v_cmp_gt_i16_sdwa s[6:7], v11, s4 src0_sel:BYTE_0 src1_sel:DWORD
	s_mov_b64 s[4:5], 0
                                        ; implicit-def: $sgpr10
	s_and_saveexec_b64 s[8:9], s[6:7]
	s_xor_b64 s[6:7], exec, s[8:9]
	s_cbranch_execnz .LBB22_2409
; %bb.361:
	s_or_saveexec_b64 s[6:7], s[6:7]
	v_mov_b32_e32 v10, s10
	s_xor_b64 exec, exec, s[6:7]
	s_cbranch_execnz .LBB22_2412
.LBB22_362:
	s_or_b64 exec, exec, s[6:7]
	s_and_saveexec_b64 s[6:7], s[4:5]
	s_cbranch_execz .LBB22_364
.LBB22_363:
	v_bfe_u32 v10, v17, 8, 3
	v_ffbh_u32_e32 v14, v10
	v_min_u32_e32 v14, 32, v14
	v_lshrrev_b16_e32 v12, 3, v11
	v_subrev_u32_e32 v15, 28, v14
	v_and_b32_e32 v12, 15, v12
	v_lshlrev_b32_e32 v11, v15, v11
	v_sub_u32_e32 v14, 29, v14
	v_and_b32_e32 v11, 7, v11
	v_cmp_eq_u16_e32 vcc, 0, v12
	v_cndmask_b32_e32 v10, v10, v11, vcc
	v_cndmask_b32_e32 v11, v12, v14, vcc
	v_lshlrev_b32_e32 v12, 16, v17
	v_mov_b32_e32 v14, 0x3b800000
	v_lshlrev_b32_e32 v10, 20, v10
	v_and_b32_e32 v12, 0x80000000, v12
	v_lshl_add_u32 v11, v11, 23, v14
	v_or3_b32 v10, v12, v11, v10
.LBB22_364:
	s_or_b64 exec, exec, s[6:7]
	v_lshrrev_b32_e32 v11, 8, v13
	s_movk_i32 s4, 0x7f
	v_cmp_gt_i16_sdwa s[6:7], v11, s4 src0_sel:BYTE_0 src1_sel:DWORD
	s_mov_b64 s[4:5], 0
                                        ; implicit-def: $sgpr10
	s_and_saveexec_b64 s[8:9], s[6:7]
	s_xor_b64 s[6:7], exec, s[8:9]
	s_cbranch_execnz .LBB22_2413
; %bb.365:
	s_or_saveexec_b64 s[6:7], s[6:7]
	v_mov_b32_e32 v12, s10
	s_xor_b64 exec, exec, s[6:7]
	s_cbranch_execnz .LBB22_2416
.LBB22_366:
	s_or_b64 exec, exec, s[6:7]
	s_and_saveexec_b64 s[6:7], s[4:5]
	s_cbranch_execz .LBB22_368
.LBB22_367:
	v_bfe_u32 v12, v13, 8, 3
	v_ffbh_u32_e32 v15, v12
	v_min_u32_e32 v15, 32, v15
	v_lshrrev_b16_e32 v14, 3, v11
	v_subrev_u32_e32 v16, 28, v15
	v_and_b32_e32 v14, 15, v14
	v_lshlrev_b32_e32 v11, v16, v11
	v_sub_u32_e32 v15, 29, v15
	v_and_b32_e32 v11, 7, v11
	v_cmp_eq_u16_e32 vcc, 0, v14
	v_cndmask_b32_e32 v11, v12, v11, vcc
	v_cndmask_b32_e32 v12, v14, v15, vcc
	v_lshlrev_b32_e32 v14, 16, v13
	v_mov_b32_e32 v15, 0x3b800000
	v_lshlrev_b32_e32 v11, 20, v11
	v_and_b32_e32 v14, 0x80000000, v14
	v_lshl_add_u32 v12, v12, 23, v15
	v_or3_b32 v12, v14, v12, v11
.LBB22_368:
	s_or_b64 exec, exec, s[6:7]
	s_nop 0
	v_mfma_f32_16x16x4f32 a[0:3], v10, v12, a[0:3]
	s_movk_i32 s4, 0xff
	v_and_b32_sdwa v11, v17, s4 dst_sel:DWORD dst_unused:UNUSED_PAD src0_sel:WORD_1 src1_sel:DWORD
	s_movk_i32 s4, 0x7f
	v_cmp_lt_i16_e32 vcc, s4, v11
	s_mov_b64 s[4:5], 0
                                        ; implicit-def: $sgpr10
	s_and_saveexec_b64 s[6:7], vcc
	s_xor_b64 s[6:7], exec, s[6:7]
	s_cbranch_execnz .LBB22_2417
; %bb.369:
	s_or_saveexec_b64 s[6:7], s[6:7]
	v_mov_b32_e32 v10, s10
	s_xor_b64 exec, exec, s[6:7]
	s_cbranch_execnz .LBB22_2420
.LBB22_370:
	s_or_b64 exec, exec, s[6:7]
	s_and_saveexec_b64 s[6:7], s[4:5]
	s_cbranch_execz .LBB22_372
.LBB22_371:
	v_bfe_u32 v10, v17, 16, 3
	v_ffbh_u32_e32 v14, v10
	v_min_u32_e32 v14, 32, v14
	v_lshrrev_b32_e32 v11, 19, v17
	v_subrev_u32_e32 v15, 28, v14
	v_and_b32_e32 v11, 15, v11
	v_lshlrev_b32_sdwa v15, v15, v17 dst_sel:DWORD dst_unused:UNUSED_PAD src0_sel:DWORD src1_sel:WORD_1
	v_bfe_u32 v12, v17, 19, 4
	v_sub_u32_e32 v14, 29, v14
	v_and_b32_e32 v15, 7, v15
	v_cmp_eq_u16_e32 vcc, 0, v11
	v_cndmask_b32_e32 v10, v10, v15, vcc
	v_cndmask_b32_e32 v11, v12, v14, vcc
	v_lshlrev_b32_e32 v12, 8, v17
	v_mov_b32_e32 v14, 0x3b800000
	v_lshlrev_b32_e32 v10, 20, v10
	v_and_b32_e32 v12, 0x80000000, v12
	v_lshl_add_u32 v11, v11, 23, v14
	v_or3_b32 v10, v12, v11, v10
.LBB22_372:
	s_or_b64 exec, exec, s[6:7]
	s_movk_i32 s4, 0xff
	v_and_b32_sdwa v11, v13, s4 dst_sel:DWORD dst_unused:UNUSED_PAD src0_sel:WORD_1 src1_sel:DWORD
	s_movk_i32 s4, 0x7f
	v_cmp_lt_i16_e32 vcc, s4, v11
	s_mov_b64 s[4:5], 0
                                        ; implicit-def: $sgpr10
	s_and_saveexec_b64 s[6:7], vcc
	s_xor_b64 s[6:7], exec, s[6:7]
	s_cbranch_execnz .LBB22_2421
; %bb.373:
	s_or_saveexec_b64 s[6:7], s[6:7]
	v_mov_b32_e32 v12, s10
	s_xor_b64 exec, exec, s[6:7]
	s_cbranch_execnz .LBB22_2424
.LBB22_374:
	s_or_b64 exec, exec, s[6:7]
	s_and_saveexec_b64 s[6:7], s[4:5]
	s_cbranch_execz .LBB22_376
.LBB22_375:
	v_bfe_u32 v11, v13, 16, 3
	v_ffbh_u32_e32 v15, v11
	v_min_u32_e32 v15, 32, v15
	v_lshrrev_b32_e32 v12, 19, v13
	v_subrev_u32_e32 v16, 28, v15
	v_and_b32_e32 v12, 15, v12
	v_lshlrev_b32_sdwa v16, v16, v13 dst_sel:DWORD dst_unused:UNUSED_PAD src0_sel:DWORD src1_sel:WORD_1
	v_bfe_u32 v14, v13, 19, 4
	v_sub_u32_e32 v15, 29, v15
	v_and_b32_e32 v16, 7, v16
	v_cmp_eq_u16_e32 vcc, 0, v12
	v_cndmask_b32_e32 v11, v11, v16, vcc
	v_cndmask_b32_e32 v12, v14, v15, vcc
	v_lshlrev_b32_e32 v14, 8, v13
	v_mov_b32_e32 v15, 0x3b800000
	v_lshlrev_b32_e32 v11, 20, v11
	v_and_b32_e32 v14, 0x80000000, v14
	v_lshl_add_u32 v12, v12, 23, v15
	v_or3_b32 v12, v14, v12, v11
.LBB22_376:
	s_or_b64 exec, exec, s[6:7]
	s_nop 0
	v_mfma_f32_16x16x4f32 a[0:3], v10, v12, a[0:3]
	s_movk_i32 s4, 0x7f
	v_cmp_gt_i16_sdwa s[6:7], v17, s4 src0_sel:BYTE_3 src1_sel:DWORD
	s_mov_b64 s[4:5], 0
                                        ; implicit-def: $sgpr10
	s_and_saveexec_b64 s[8:9], s[6:7]
	s_xor_b64 s[6:7], exec, s[8:9]
	s_cbranch_execnz .LBB22_2425
; %bb.377:
	s_or_saveexec_b64 s[6:7], s[6:7]
	v_mov_b32_e32 v10, s10
	s_xor_b64 exec, exec, s[6:7]
	s_cbranch_execnz .LBB22_2428
.LBB22_378:
	s_or_b64 exec, exec, s[6:7]
	s_and_saveexec_b64 s[6:7], s[4:5]
	s_cbranch_execz .LBB22_380
.LBB22_379:
	v_bfe_u32 v10, v17, 24, 3
	v_ffbh_u32_e32 v15, v10
	v_min_u32_e32 v15, 32, v15
	v_lshrrev_b32_e32 v12, 27, v17
	v_subrev_u32_e32 v16, 28, v15
	v_and_b32_e32 v12, 15, v12
	v_lshlrev_b32_sdwa v16, v16, v17 dst_sel:DWORD dst_unused:UNUSED_PAD src0_sel:DWORD src1_sel:BYTE_3
	v_bfe_u32 v14, v17, 27, 4
	v_sub_u32_e32 v15, 29, v15
	v_and_b32_e32 v16, 7, v16
	v_cmp_eq_u16_e32 vcc, 0, v12
	v_cndmask_b32_e32 v10, v10, v16, vcc
	v_cndmask_b32_e32 v12, v14, v15, vcc
	v_mov_b32_e32 v14, 0x3b800000
	v_and_b32_e32 v11, 0x80000000, v17
	v_lshlrev_b32_e32 v10, 20, v10
	v_lshl_add_u32 v12, v12, 23, v14
	v_or3_b32 v10, v11, v12, v10
.LBB22_380:
	s_or_b64 exec, exec, s[6:7]
	s_movk_i32 s4, 0x7f
	v_cmp_gt_i16_sdwa s[6:7], v13, s4 src0_sel:BYTE_3 src1_sel:DWORD
	s_mov_b64 s[4:5], 0
                                        ; implicit-def: $sgpr10
	s_and_saveexec_b64 s[8:9], s[6:7]
	s_xor_b64 s[6:7], exec, s[8:9]
	s_cbranch_execnz .LBB22_2429
; %bb.381:
	s_or_saveexec_b64 s[6:7], s[6:7]
	v_mov_b32_e32 v11, s10
	s_xor_b64 exec, exec, s[6:7]
	s_cbranch_execnz .LBB22_2432
.LBB22_382:
	s_or_b64 exec, exec, s[6:7]
	s_and_saveexec_b64 s[6:7], s[4:5]
	s_cbranch_execz .LBB22_384
.LBB22_383:
	v_bfe_u32 v11, v13, 24, 3
	v_ffbh_u32_e32 v16, v11
	v_min_u32_e32 v16, 32, v16
	v_lshrrev_b32_e32 v14, 27, v13
	v_subrev_u32_e32 v17, 28, v16
	v_and_b32_e32 v12, 0x80000000, v13
	v_and_b32_e32 v14, 15, v14
	v_bfe_u32 v15, v13, 27, 4
	v_lshlrev_b32_sdwa v13, v17, v13 dst_sel:DWORD dst_unused:UNUSED_PAD src0_sel:DWORD src1_sel:BYTE_3
	v_sub_u32_e32 v16, 29, v16
	v_and_b32_e32 v13, 7, v13
	v_cmp_eq_u16_e32 vcc, 0, v14
	v_cndmask_b32_e32 v11, v11, v13, vcc
	v_cndmask_b32_e32 v13, v15, v16, vcc
	v_mov_b32_e32 v14, 0x3b800000
	v_lshlrev_b32_e32 v11, 20, v11
	v_lshl_add_u32 v13, v13, 23, v14
	v_or3_b32 v11, v12, v13, v11
.LBB22_384:
	s_or_b64 exec, exec, s[6:7]
	s_nop 0
	v_mfma_f32_16x16x4f32 a[0:3], v10, v11, a[0:3]
	s_movk_i32 s4, 0x7f
	v_cmp_gt_i16_sdwa s[6:7], v6, s4 src0_sel:BYTE_0 src1_sel:DWORD
	s_mov_b64 s[4:5], 0
                                        ; implicit-def: $sgpr10
	s_and_saveexec_b64 s[8:9], s[6:7]
	s_xor_b64 s[6:7], exec, s[8:9]
	s_cbranch_execnz .LBB22_2433
; %bb.385:
	s_or_saveexec_b64 s[6:7], s[6:7]
	v_mov_b32_e32 v10, s10
	s_xor_b64 exec, exec, s[6:7]
	s_cbranch_execnz .LBB22_2436
.LBB22_386:
	s_or_b64 exec, exec, s[6:7]
	s_and_saveexec_b64 s[6:7], s[4:5]
	s_cbranch_execz .LBB22_388
.LBB22_387:
	v_and_b32_e32 v10, 7, v6
	v_ffbh_u32_e32 v12, v10
	v_min_u32_e32 v12, 32, v12
	v_lshrrev_b16_e32 v11, 3, v6
	v_subrev_u32_e32 v13, 28, v12
	v_and_b32_e32 v11, 15, v11
	v_lshlrev_b32_e32 v13, v13, v6
	v_sub_u32_e32 v12, 29, v12
	v_and_b32_e32 v13, 7, v13
	v_cmp_eq_u16_e32 vcc, 0, v11
	v_cndmask_b32_e32 v10, v10, v13, vcc
	v_cndmask_b32_e32 v11, v11, v12, vcc
	v_lshlrev_b32_e32 v12, 24, v6
	v_mov_b32_e32 v13, 0x3b800000
	v_lshlrev_b32_e32 v10, 20, v10
	v_and_b32_e32 v12, 0x80000000, v12
	v_lshl_add_u32 v11, v11, 23, v13
	v_or3_b32 v10, v12, v11, v10
.LBB22_388:
	s_or_b64 exec, exec, s[6:7]
	s_movk_i32 s4, 0x7f
	v_cmp_gt_i16_sdwa s[6:7], v2, s4 src0_sel:BYTE_0 src1_sel:DWORD
	s_mov_b64 s[4:5], 0
                                        ; implicit-def: $sgpr10
	s_and_saveexec_b64 s[8:9], s[6:7]
	s_xor_b64 s[6:7], exec, s[8:9]
	s_cbranch_execnz .LBB22_2437
; %bb.389:
	s_or_saveexec_b64 s[6:7], s[6:7]
	v_mov_b32_e32 v11, s10
	s_xor_b64 exec, exec, s[6:7]
	s_cbranch_execnz .LBB22_2440
.LBB22_390:
	s_or_b64 exec, exec, s[6:7]
	s_and_saveexec_b64 s[6:7], s[4:5]
	s_cbranch_execz .LBB22_392
.LBB22_391:
	v_and_b32_e32 v11, 7, v2
	v_ffbh_u32_e32 v13, v11
	v_min_u32_e32 v13, 32, v13
	v_lshrrev_b16_e32 v12, 3, v2
	v_subrev_u32_e32 v14, 28, v13
	v_and_b32_e32 v12, 15, v12
	v_lshlrev_b32_e32 v14, v14, v2
	v_sub_u32_e32 v13, 29, v13
	v_and_b32_e32 v14, 7, v14
	v_cmp_eq_u16_e32 vcc, 0, v12
	v_cndmask_b32_e32 v11, v11, v14, vcc
	v_cndmask_b32_e32 v12, v12, v13, vcc
	v_lshlrev_b32_e32 v13, 24, v2
	v_mov_b32_e32 v14, 0x3b800000
	v_lshlrev_b32_e32 v11, 20, v11
	v_and_b32_e32 v13, 0x80000000, v13
	v_lshl_add_u32 v12, v12, 23, v14
	v_or3_b32 v11, v13, v12, v11
.LBB22_392:
	s_or_b64 exec, exec, s[6:7]
	s_nop 0
	v_mfma_f32_16x16x4f32 a[0:3], v10, v11, a[0:3]
	v_lshrrev_b32_e32 v11, 8, v6
	s_movk_i32 s4, 0x7f
	v_cmp_gt_i16_sdwa s[6:7], v11, s4 src0_sel:BYTE_0 src1_sel:DWORD
	s_mov_b64 s[4:5], 0
                                        ; implicit-def: $sgpr10
	s_and_saveexec_b64 s[8:9], s[6:7]
	s_xor_b64 s[6:7], exec, s[8:9]
	s_cbranch_execnz .LBB22_2441
; %bb.393:
	s_or_saveexec_b64 s[6:7], s[6:7]
	v_mov_b32_e32 v10, s10
	s_xor_b64 exec, exec, s[6:7]
	s_cbranch_execnz .LBB22_2444
.LBB22_394:
	s_or_b64 exec, exec, s[6:7]
	s_and_saveexec_b64 s[6:7], s[4:5]
	s_cbranch_execz .LBB22_396
.LBB22_395:
	v_bfe_u32 v10, v6, 8, 3
	v_ffbh_u32_e32 v13, v10
	v_min_u32_e32 v13, 32, v13
	v_lshrrev_b16_e32 v12, 3, v11
	v_subrev_u32_e32 v14, 28, v13
	v_and_b32_e32 v12, 15, v12
	v_lshlrev_b32_e32 v11, v14, v11
	v_sub_u32_e32 v13, 29, v13
	v_and_b32_e32 v11, 7, v11
	v_cmp_eq_u16_e32 vcc, 0, v12
	v_cndmask_b32_e32 v10, v10, v11, vcc
	v_cndmask_b32_e32 v11, v12, v13, vcc
	v_lshlrev_b32_e32 v12, 16, v6
	v_mov_b32_e32 v13, 0x3b800000
	v_lshlrev_b32_e32 v10, 20, v10
	v_and_b32_e32 v12, 0x80000000, v12
	v_lshl_add_u32 v11, v11, 23, v13
	v_or3_b32 v10, v12, v11, v10
.LBB22_396:
	s_or_b64 exec, exec, s[6:7]
	v_lshrrev_b32_e32 v11, 8, v2
	s_movk_i32 s4, 0x7f
	v_cmp_gt_i16_sdwa s[6:7], v11, s4 src0_sel:BYTE_0 src1_sel:DWORD
	s_mov_b64 s[4:5], 0
                                        ; implicit-def: $sgpr10
	s_and_saveexec_b64 s[8:9], s[6:7]
	s_xor_b64 s[6:7], exec, s[8:9]
	s_cbranch_execnz .LBB22_2445
; %bb.397:
	s_or_saveexec_b64 s[6:7], s[6:7]
	v_mov_b32_e32 v12, s10
	s_xor_b64 exec, exec, s[6:7]
	s_cbranch_execnz .LBB22_2448
.LBB22_398:
	s_or_b64 exec, exec, s[6:7]
	s_and_saveexec_b64 s[6:7], s[4:5]
	s_cbranch_execz .LBB22_400
.LBB22_399:
	v_bfe_u32 v12, v2, 8, 3
	v_ffbh_u32_e32 v14, v12
	v_min_u32_e32 v14, 32, v14
	v_lshrrev_b16_e32 v13, 3, v11
	v_subrev_u32_e32 v15, 28, v14
	v_and_b32_e32 v13, 15, v13
	v_lshlrev_b32_e32 v11, v15, v11
	v_sub_u32_e32 v14, 29, v14
	v_and_b32_e32 v11, 7, v11
	v_cmp_eq_u16_e32 vcc, 0, v13
	v_cndmask_b32_e32 v11, v12, v11, vcc
	v_cndmask_b32_e32 v12, v13, v14, vcc
	v_lshlrev_b32_e32 v13, 16, v2
	v_mov_b32_e32 v14, 0x3b800000
	v_lshlrev_b32_e32 v11, 20, v11
	v_and_b32_e32 v13, 0x80000000, v13
	v_lshl_add_u32 v12, v12, 23, v14
	v_or3_b32 v12, v13, v12, v11
.LBB22_400:
	s_or_b64 exec, exec, s[6:7]
	s_nop 0
	v_mfma_f32_16x16x4f32 a[0:3], v10, v12, a[0:3]
	s_movk_i32 s4, 0xff
	v_and_b32_sdwa v11, v6, s4 dst_sel:DWORD dst_unused:UNUSED_PAD src0_sel:WORD_1 src1_sel:DWORD
	s_movk_i32 s4, 0x7f
	v_cmp_lt_i16_e32 vcc, s4, v11
	s_mov_b64 s[4:5], 0
                                        ; implicit-def: $sgpr10
	s_and_saveexec_b64 s[6:7], vcc
	s_xor_b64 s[6:7], exec, s[6:7]
	s_cbranch_execnz .LBB22_2449
; %bb.401:
	s_or_saveexec_b64 s[6:7], s[6:7]
	v_mov_b32_e32 v10, s10
	s_xor_b64 exec, exec, s[6:7]
	s_cbranch_execnz .LBB22_2452
.LBB22_402:
	s_or_b64 exec, exec, s[6:7]
	s_and_saveexec_b64 s[6:7], s[4:5]
	s_cbranch_execz .LBB22_404
.LBB22_403:
	v_bfe_u32 v10, v6, 16, 3
	v_ffbh_u32_e32 v13, v10
	v_min_u32_e32 v13, 32, v13
	v_lshrrev_b32_e32 v11, 19, v6
	v_subrev_u32_e32 v14, 28, v13
	v_and_b32_e32 v11, 15, v11
	v_lshlrev_b32_sdwa v14, v14, v6 dst_sel:DWORD dst_unused:UNUSED_PAD src0_sel:DWORD src1_sel:WORD_1
	v_bfe_u32 v12, v6, 19, 4
	v_sub_u32_e32 v13, 29, v13
	v_and_b32_e32 v14, 7, v14
	v_cmp_eq_u16_e32 vcc, 0, v11
	v_cndmask_b32_e32 v10, v10, v14, vcc
	v_cndmask_b32_e32 v11, v12, v13, vcc
	v_lshlrev_b32_e32 v12, 8, v6
	v_mov_b32_e32 v13, 0x3b800000
	v_lshlrev_b32_e32 v10, 20, v10
	v_and_b32_e32 v12, 0x80000000, v12
	v_lshl_add_u32 v11, v11, 23, v13
	v_or3_b32 v10, v12, v11, v10
.LBB22_404:
	s_or_b64 exec, exec, s[6:7]
	s_movk_i32 s4, 0xff
	v_and_b32_sdwa v11, v2, s4 dst_sel:DWORD dst_unused:UNUSED_PAD src0_sel:WORD_1 src1_sel:DWORD
	s_movk_i32 s4, 0x7f
	v_cmp_lt_i16_e32 vcc, s4, v11
	s_mov_b64 s[4:5], 0
                                        ; implicit-def: $sgpr10
	s_and_saveexec_b64 s[6:7], vcc
	s_xor_b64 s[6:7], exec, s[6:7]
	s_cbranch_execnz .LBB22_2453
; %bb.405:
	s_or_saveexec_b64 s[6:7], s[6:7]
	v_mov_b32_e32 v12, s10
	s_xor_b64 exec, exec, s[6:7]
	s_cbranch_execnz .LBB22_2456
.LBB22_406:
	s_or_b64 exec, exec, s[6:7]
	s_and_saveexec_b64 s[6:7], s[4:5]
	s_cbranch_execz .LBB22_408
.LBB22_407:
	v_bfe_u32 v11, v2, 16, 3
	v_ffbh_u32_e32 v14, v11
	v_min_u32_e32 v14, 32, v14
	v_lshrrev_b32_e32 v12, 19, v2
	v_subrev_u32_e32 v15, 28, v14
	v_and_b32_e32 v12, 15, v12
	v_lshlrev_b32_sdwa v15, v15, v2 dst_sel:DWORD dst_unused:UNUSED_PAD src0_sel:DWORD src1_sel:WORD_1
	v_bfe_u32 v13, v2, 19, 4
	v_sub_u32_e32 v14, 29, v14
	v_and_b32_e32 v15, 7, v15
	v_cmp_eq_u16_e32 vcc, 0, v12
	v_cndmask_b32_e32 v11, v11, v15, vcc
	v_cndmask_b32_e32 v12, v13, v14, vcc
	v_lshlrev_b32_e32 v13, 8, v2
	v_mov_b32_e32 v14, 0x3b800000
	v_lshlrev_b32_e32 v11, 20, v11
	v_and_b32_e32 v13, 0x80000000, v13
	v_lshl_add_u32 v12, v12, 23, v14
	v_or3_b32 v12, v13, v12, v11
.LBB22_408:
	s_or_b64 exec, exec, s[6:7]
	s_nop 0
	v_mfma_f32_16x16x4f32 a[0:3], v10, v12, a[0:3]
	s_movk_i32 s4, 0x7f
	v_cmp_gt_i16_sdwa s[6:7], v6, s4 src0_sel:BYTE_3 src1_sel:DWORD
	s_mov_b64 s[4:5], 0
                                        ; implicit-def: $sgpr10
	s_and_saveexec_b64 s[8:9], s[6:7]
	s_xor_b64 s[6:7], exec, s[8:9]
	s_cbranch_execnz .LBB22_2457
; %bb.409:
	s_or_saveexec_b64 s[6:7], s[6:7]
	v_mov_b32_e32 v10, s10
	s_xor_b64 exec, exec, s[6:7]
	s_cbranch_execnz .LBB22_2460
.LBB22_410:
	s_or_b64 exec, exec, s[6:7]
	s_and_saveexec_b64 s[6:7], s[4:5]
	s_cbranch_execz .LBB22_412
.LBB22_411:
	v_bfe_u32 v10, v6, 24, 3
	v_ffbh_u32_e32 v14, v10
	v_min_u32_e32 v14, 32, v14
	v_lshrrev_b32_e32 v12, 27, v6
	v_subrev_u32_e32 v15, 28, v14
	v_and_b32_e32 v11, 0x80000000, v6
	v_and_b32_e32 v12, 15, v12
	v_bfe_u32 v13, v6, 27, 4
	v_lshlrev_b32_sdwa v6, v15, v6 dst_sel:DWORD dst_unused:UNUSED_PAD src0_sel:DWORD src1_sel:BYTE_3
	v_sub_u32_e32 v14, 29, v14
	v_and_b32_e32 v6, 7, v6
	v_cmp_eq_u16_e32 vcc, 0, v12
	v_cndmask_b32_e32 v6, v10, v6, vcc
	v_cndmask_b32_e32 v10, v13, v14, vcc
	v_mov_b32_e32 v12, 0x3b800000
	v_lshlrev_b32_e32 v6, 20, v6
	v_lshl_add_u32 v10, v10, 23, v12
	v_or3_b32 v10, v11, v10, v6
.LBB22_412:
	s_or_b64 exec, exec, s[6:7]
	s_movk_i32 s4, 0x7f
	v_cmp_gt_i16_sdwa s[6:7], v2, s4 src0_sel:BYTE_3 src1_sel:DWORD
	s_mov_b64 s[4:5], 0
                                        ; implicit-def: $sgpr10
	s_and_saveexec_b64 s[8:9], s[6:7]
	s_xor_b64 s[6:7], exec, s[8:9]
	s_cbranch_execnz .LBB22_2461
; %bb.413:
	s_or_saveexec_b64 s[6:7], s[6:7]
	v_mov_b32_e32 v6, s10
	s_xor_b64 exec, exec, s[6:7]
	s_cbranch_execnz .LBB22_2464
.LBB22_414:
	s_or_b64 exec, exec, s[6:7]
	s_and_saveexec_b64 s[6:7], s[4:5]
	s_cbranch_execz .LBB22_416
.LBB22_415:
	v_bfe_u32 v6, v2, 24, 3
	v_ffbh_u32_e32 v14, v6
	v_min_u32_e32 v14, 32, v14
	v_lshrrev_b32_e32 v12, 27, v2
	v_subrev_u32_e32 v15, 28, v14
	v_and_b32_e32 v11, 0x80000000, v2
	v_and_b32_e32 v12, 15, v12
	v_bfe_u32 v13, v2, 27, 4
	v_lshlrev_b32_sdwa v2, v15, v2 dst_sel:DWORD dst_unused:UNUSED_PAD src0_sel:DWORD src1_sel:BYTE_3
	v_sub_u32_e32 v14, 29, v14
	v_and_b32_e32 v2, 7, v2
	v_cmp_eq_u16_e32 vcc, 0, v12
	v_cndmask_b32_e32 v2, v6, v2, vcc
	v_cndmask_b32_e32 v6, v13, v14, vcc
	v_mov_b32_e32 v12, 0x3b800000
	v_lshlrev_b32_e32 v2, 20, v2
	v_lshl_add_u32 v6, v6, 23, v12
	v_or3_b32 v6, v11, v6, v2
.LBB22_416:
	s_or_b64 exec, exec, s[6:7]
	s_nop 0
	v_mfma_f32_16x16x4f32 a[0:3], v10, v6, a[0:3]
	s_movk_i32 s4, 0x7f
	v_cmp_gt_i16_sdwa s[6:7], v7, s4 src0_sel:BYTE_0 src1_sel:DWORD
	s_mov_b64 s[4:5], 0
                                        ; implicit-def: $sgpr10
	s_and_saveexec_b64 s[8:9], s[6:7]
	s_xor_b64 s[6:7], exec, s[8:9]
	s_cbranch_execnz .LBB22_2465
; %bb.417:
	s_or_saveexec_b64 s[6:7], s[6:7]
	v_mov_b32_e32 v2, s10
	s_xor_b64 exec, exec, s[6:7]
	s_cbranch_execnz .LBB22_2468
.LBB22_418:
	s_or_b64 exec, exec, s[6:7]
	s_and_saveexec_b64 s[6:7], s[4:5]
	s_cbranch_execz .LBB22_420
.LBB22_419:
	v_and_b32_e32 v2, 7, v7
	v_ffbh_u32_e32 v10, v2
	v_min_u32_e32 v10, 32, v10
	v_lshrrev_b16_e32 v6, 3, v7
	v_subrev_u32_e32 v11, 28, v10
	v_and_b32_e32 v6, 15, v6
	v_lshlrev_b32_e32 v11, v11, v7
	v_sub_u32_e32 v10, 29, v10
	v_and_b32_e32 v11, 7, v11
	v_cmp_eq_u16_e32 vcc, 0, v6
	v_cndmask_b32_e32 v2, v2, v11, vcc
	v_cndmask_b32_e32 v6, v6, v10, vcc
	v_lshlrev_b32_e32 v10, 24, v7
	v_mov_b32_e32 v11, 0x3b800000
	v_lshlrev_b32_e32 v2, 20, v2
	v_and_b32_e32 v10, 0x80000000, v10
	v_lshl_add_u32 v6, v6, 23, v11
	v_or3_b32 v2, v10, v6, v2
.LBB22_420:
	s_or_b64 exec, exec, s[6:7]
	s_movk_i32 s4, 0x7f
	v_cmp_gt_i16_sdwa s[6:7], v3, s4 src0_sel:BYTE_0 src1_sel:DWORD
	s_mov_b64 s[4:5], 0
                                        ; implicit-def: $sgpr10
	s_and_saveexec_b64 s[8:9], s[6:7]
	s_xor_b64 s[6:7], exec, s[8:9]
	s_cbranch_execnz .LBB22_2469
; %bb.421:
	s_or_saveexec_b64 s[6:7], s[6:7]
	v_mov_b32_e32 v6, s10
	s_xor_b64 exec, exec, s[6:7]
	s_cbranch_execnz .LBB22_2472
.LBB22_422:
	s_or_b64 exec, exec, s[6:7]
	s_and_saveexec_b64 s[6:7], s[4:5]
	s_cbranch_execz .LBB22_424
.LBB22_423:
	v_and_b32_e32 v6, 7, v3
	v_ffbh_u32_e32 v11, v6
	v_min_u32_e32 v11, 32, v11
	v_lshrrev_b16_e32 v10, 3, v3
	v_subrev_u32_e32 v12, 28, v11
	v_and_b32_e32 v10, 15, v10
	v_lshlrev_b32_e32 v12, v12, v3
	v_sub_u32_e32 v11, 29, v11
	v_and_b32_e32 v12, 7, v12
	v_cmp_eq_u16_e32 vcc, 0, v10
	v_cndmask_b32_e32 v6, v6, v12, vcc
	v_cndmask_b32_e32 v10, v10, v11, vcc
	v_lshlrev_b32_e32 v11, 24, v3
	v_mov_b32_e32 v12, 0x3b800000
	v_lshlrev_b32_e32 v6, 20, v6
	v_and_b32_e32 v11, 0x80000000, v11
	v_lshl_add_u32 v10, v10, 23, v12
	v_or3_b32 v6, v11, v10, v6
.LBB22_424:
	s_or_b64 exec, exec, s[6:7]
	s_nop 0
	v_mfma_f32_16x16x4f32 a[0:3], v2, v6, a[0:3]
	v_lshrrev_b32_e32 v6, 8, v7
	s_movk_i32 s4, 0x7f
	v_cmp_gt_i16_sdwa s[6:7], v6, s4 src0_sel:BYTE_0 src1_sel:DWORD
	s_mov_b64 s[4:5], 0
                                        ; implicit-def: $sgpr10
	s_and_saveexec_b64 s[8:9], s[6:7]
	s_xor_b64 s[6:7], exec, s[8:9]
	s_cbranch_execnz .LBB22_2473
; %bb.425:
	s_or_saveexec_b64 s[6:7], s[6:7]
	v_mov_b32_e32 v2, s10
	s_xor_b64 exec, exec, s[6:7]
	s_cbranch_execnz .LBB22_2476
.LBB22_426:
	s_or_b64 exec, exec, s[6:7]
	s_and_saveexec_b64 s[6:7], s[4:5]
	s_cbranch_execz .LBB22_428
.LBB22_427:
	v_bfe_u32 v2, v7, 8, 3
	v_ffbh_u32_e32 v11, v2
	v_min_u32_e32 v11, 32, v11
	v_lshrrev_b16_e32 v10, 3, v6
	v_subrev_u32_e32 v12, 28, v11
	v_and_b32_e32 v10, 15, v10
	v_lshlrev_b32_e32 v6, v12, v6
	v_sub_u32_e32 v11, 29, v11
	v_and_b32_e32 v6, 7, v6
	v_cmp_eq_u16_e32 vcc, 0, v10
	v_cndmask_b32_e32 v2, v2, v6, vcc
	v_cndmask_b32_e32 v6, v10, v11, vcc
	v_lshlrev_b32_e32 v10, 16, v7
	v_mov_b32_e32 v11, 0x3b800000
	v_lshlrev_b32_e32 v2, 20, v2
	v_and_b32_e32 v10, 0x80000000, v10
	v_lshl_add_u32 v6, v6, 23, v11
	v_or3_b32 v2, v10, v6, v2
.LBB22_428:
	s_or_b64 exec, exec, s[6:7]
	v_lshrrev_b32_e32 v6, 8, v3
	s_movk_i32 s4, 0x7f
	v_cmp_gt_i16_sdwa s[6:7], v6, s4 src0_sel:BYTE_0 src1_sel:DWORD
	s_mov_b64 s[4:5], 0
                                        ; implicit-def: $sgpr10
	s_and_saveexec_b64 s[8:9], s[6:7]
	s_xor_b64 s[6:7], exec, s[8:9]
	s_cbranch_execnz .LBB22_2477
; %bb.429:
	s_or_saveexec_b64 s[6:7], s[6:7]
	v_mov_b32_e32 v10, s10
	s_xor_b64 exec, exec, s[6:7]
	s_cbranch_execnz .LBB22_2480
.LBB22_430:
	s_or_b64 exec, exec, s[6:7]
	s_and_saveexec_b64 s[6:7], s[4:5]
	s_cbranch_execz .LBB22_432
.LBB22_431:
	v_bfe_u32 v10, v3, 8, 3
	v_ffbh_u32_e32 v12, v10
	v_min_u32_e32 v12, 32, v12
	v_lshrrev_b16_e32 v11, 3, v6
	v_subrev_u32_e32 v13, 28, v12
	v_and_b32_e32 v11, 15, v11
	v_lshlrev_b32_e32 v6, v13, v6
	v_sub_u32_e32 v12, 29, v12
	v_and_b32_e32 v6, 7, v6
	v_cmp_eq_u16_e32 vcc, 0, v11
	v_cndmask_b32_e32 v6, v10, v6, vcc
	v_cndmask_b32_e32 v10, v11, v12, vcc
	v_lshlrev_b32_e32 v11, 16, v3
	v_mov_b32_e32 v12, 0x3b800000
	v_lshlrev_b32_e32 v6, 20, v6
	v_and_b32_e32 v11, 0x80000000, v11
	v_lshl_add_u32 v10, v10, 23, v12
	v_or3_b32 v10, v11, v10, v6
.LBB22_432:
	s_or_b64 exec, exec, s[6:7]
	s_nop 0
	v_mfma_f32_16x16x4f32 a[0:3], v2, v10, a[0:3]
	s_movk_i32 s4, 0xff
	v_and_b32_sdwa v6, v7, s4 dst_sel:DWORD dst_unused:UNUSED_PAD src0_sel:WORD_1 src1_sel:DWORD
	s_movk_i32 s4, 0x7f
	v_cmp_lt_i16_e32 vcc, s4, v6
	s_mov_b64 s[4:5], 0
                                        ; implicit-def: $sgpr10
	s_and_saveexec_b64 s[6:7], vcc
	s_xor_b64 s[6:7], exec, s[6:7]
	s_cbranch_execnz .LBB22_2481
; %bb.433:
	s_or_saveexec_b64 s[6:7], s[6:7]
	v_mov_b32_e32 v2, s10
	s_xor_b64 exec, exec, s[6:7]
	s_cbranch_execnz .LBB22_2484
.LBB22_434:
	s_or_b64 exec, exec, s[6:7]
	s_and_saveexec_b64 s[6:7], s[4:5]
	s_cbranch_execz .LBB22_436
.LBB22_435:
	v_bfe_u32 v2, v7, 16, 3
	v_ffbh_u32_e32 v11, v2
	v_min_u32_e32 v11, 32, v11
	v_lshrrev_b32_e32 v6, 19, v7
	v_subrev_u32_e32 v12, 28, v11
	v_and_b32_e32 v6, 15, v6
	v_lshlrev_b32_sdwa v12, v12, v7 dst_sel:DWORD dst_unused:UNUSED_PAD src0_sel:DWORD src1_sel:WORD_1
	v_bfe_u32 v10, v7, 19, 4
	v_sub_u32_e32 v11, 29, v11
	v_and_b32_e32 v12, 7, v12
	v_cmp_eq_u16_e32 vcc, 0, v6
	v_cndmask_b32_e32 v2, v2, v12, vcc
	v_cndmask_b32_e32 v6, v10, v11, vcc
	v_lshlrev_b32_e32 v10, 8, v7
	v_mov_b32_e32 v11, 0x3b800000
	v_lshlrev_b32_e32 v2, 20, v2
	v_and_b32_e32 v10, 0x80000000, v10
	v_lshl_add_u32 v6, v6, 23, v11
	v_or3_b32 v2, v10, v6, v2
.LBB22_436:
	s_or_b64 exec, exec, s[6:7]
	s_movk_i32 s4, 0xff
	v_and_b32_sdwa v6, v3, s4 dst_sel:DWORD dst_unused:UNUSED_PAD src0_sel:WORD_1 src1_sel:DWORD
	s_movk_i32 s4, 0x7f
	v_cmp_lt_i16_e32 vcc, s4, v6
	s_mov_b64 s[4:5], 0
                                        ; implicit-def: $sgpr10
	s_and_saveexec_b64 s[6:7], vcc
	s_xor_b64 s[6:7], exec, s[6:7]
	s_cbranch_execnz .LBB22_2485
; %bb.437:
	s_or_saveexec_b64 s[6:7], s[6:7]
	v_mov_b32_e32 v10, s10
	s_xor_b64 exec, exec, s[6:7]
	s_cbranch_execnz .LBB22_2488
.LBB22_438:
	s_or_b64 exec, exec, s[6:7]
	s_and_saveexec_b64 s[6:7], s[4:5]
	s_cbranch_execz .LBB22_440
.LBB22_439:
	v_bfe_u32 v6, v3, 16, 3
	v_ffbh_u32_e32 v12, v6
	v_min_u32_e32 v12, 32, v12
	v_lshrrev_b32_e32 v10, 19, v3
	v_subrev_u32_e32 v13, 28, v12
	v_and_b32_e32 v10, 15, v10
	v_lshlrev_b32_sdwa v13, v13, v3 dst_sel:DWORD dst_unused:UNUSED_PAD src0_sel:DWORD src1_sel:WORD_1
	v_bfe_u32 v11, v3, 19, 4
	v_sub_u32_e32 v12, 29, v12
	v_and_b32_e32 v13, 7, v13
	v_cmp_eq_u16_e32 vcc, 0, v10
	v_cndmask_b32_e32 v6, v6, v13, vcc
	v_cndmask_b32_e32 v10, v11, v12, vcc
	v_lshlrev_b32_e32 v11, 8, v3
	v_mov_b32_e32 v12, 0x3b800000
	v_lshlrev_b32_e32 v6, 20, v6
	v_and_b32_e32 v11, 0x80000000, v11
	v_lshl_add_u32 v10, v10, 23, v12
	v_or3_b32 v10, v11, v10, v6
.LBB22_440:
	s_or_b64 exec, exec, s[6:7]
	s_nop 0
	v_mfma_f32_16x16x4f32 a[0:3], v2, v10, a[0:3]
	s_movk_i32 s4, 0x7f
	v_cmp_gt_i16_sdwa s[6:7], v7, s4 src0_sel:BYTE_3 src1_sel:DWORD
	s_mov_b64 s[4:5], 0
                                        ; implicit-def: $sgpr10
	s_and_saveexec_b64 s[8:9], s[6:7]
	s_xor_b64 s[6:7], exec, s[8:9]
	s_cbranch_execnz .LBB22_2489
; %bb.441:
	s_or_saveexec_b64 s[6:7], s[6:7]
	v_mov_b32_e32 v2, s10
	s_xor_b64 exec, exec, s[6:7]
	s_cbranch_execnz .LBB22_2492
.LBB22_442:
	s_or_b64 exec, exec, s[6:7]
	s_and_saveexec_b64 s[6:7], s[4:5]
	s_cbranch_execz .LBB22_444
.LBB22_443:
	v_bfe_u32 v2, v7, 24, 3
	v_ffbh_u32_e32 v12, v2
	v_min_u32_e32 v12, 32, v12
	v_lshrrev_b32_e32 v10, 27, v7
	v_subrev_u32_e32 v13, 28, v12
	v_and_b32_e32 v6, 0x80000000, v7
	v_and_b32_e32 v10, 15, v10
	v_bfe_u32 v11, v7, 27, 4
	v_lshlrev_b32_sdwa v7, v13, v7 dst_sel:DWORD dst_unused:UNUSED_PAD src0_sel:DWORD src1_sel:BYTE_3
	v_sub_u32_e32 v12, 29, v12
	v_and_b32_e32 v7, 7, v7
	v_cmp_eq_u16_e32 vcc, 0, v10
	v_cndmask_b32_e32 v2, v2, v7, vcc
	v_cndmask_b32_e32 v7, v11, v12, vcc
	v_mov_b32_e32 v10, 0x3b800000
	v_lshlrev_b32_e32 v2, 20, v2
	v_lshl_add_u32 v7, v7, 23, v10
	v_or3_b32 v2, v6, v7, v2
.LBB22_444:
	s_or_b64 exec, exec, s[6:7]
	s_movk_i32 s4, 0x7f
	v_cmp_gt_i16_sdwa s[6:7], v3, s4 src0_sel:BYTE_3 src1_sel:DWORD
	s_mov_b64 s[4:5], 0
                                        ; implicit-def: $sgpr10
	s_and_saveexec_b64 s[8:9], s[6:7]
	s_xor_b64 s[6:7], exec, s[8:9]
	s_cbranch_execnz .LBB22_2493
; %bb.445:
	s_or_saveexec_b64 s[6:7], s[6:7]
	v_mov_b32_e32 v6, s10
	s_xor_b64 exec, exec, s[6:7]
	s_cbranch_execnz .LBB22_2496
.LBB22_446:
	s_or_b64 exec, exec, s[6:7]
	s_and_saveexec_b64 s[6:7], s[4:5]
	s_cbranch_execz .LBB22_448
.LBB22_447:
	v_bfe_u32 v6, v3, 24, 3
	v_ffbh_u32_e32 v12, v6
	v_min_u32_e32 v12, 32, v12
	v_lshrrev_b32_e32 v10, 27, v3
	v_subrev_u32_e32 v13, 28, v12
	v_and_b32_e32 v7, 0x80000000, v3
	v_and_b32_e32 v10, 15, v10
	v_bfe_u32 v11, v3, 27, 4
	v_lshlrev_b32_sdwa v3, v13, v3 dst_sel:DWORD dst_unused:UNUSED_PAD src0_sel:DWORD src1_sel:BYTE_3
	v_sub_u32_e32 v12, 29, v12
	v_and_b32_e32 v3, 7, v3
	v_cmp_eq_u16_e32 vcc, 0, v10
	v_cndmask_b32_e32 v3, v6, v3, vcc
	v_cndmask_b32_e32 v6, v11, v12, vcc
	v_mov_b32_e32 v10, 0x3b800000
	v_lshlrev_b32_e32 v3, 20, v3
	v_lshl_add_u32 v6, v6, 23, v10
	v_or3_b32 v6, v7, v6, v3
.LBB22_448:
	s_or_b64 exec, exec, s[6:7]
	s_nop 0
	v_mfma_f32_16x16x4f32 a[0:3], v2, v6, a[0:3]
	s_movk_i32 s4, 0x7f
	v_cmp_gt_i16_sdwa s[6:7], v8, s4 src0_sel:BYTE_0 src1_sel:DWORD
	s_mov_b64 s[4:5], 0
                                        ; implicit-def: $sgpr10
	s_and_saveexec_b64 s[8:9], s[6:7]
	s_xor_b64 s[6:7], exec, s[8:9]
	s_cbranch_execnz .LBB22_2497
; %bb.449:
	s_or_saveexec_b64 s[6:7], s[6:7]
	v_mov_b32_e32 v2, s10
	s_xor_b64 exec, exec, s[6:7]
	s_cbranch_execnz .LBB22_2500
.LBB22_450:
	s_or_b64 exec, exec, s[6:7]
	s_and_saveexec_b64 s[6:7], s[4:5]
	s_cbranch_execz .LBB22_452
.LBB22_451:
	v_and_b32_e32 v2, 7, v8
	v_ffbh_u32_e32 v6, v2
	v_min_u32_e32 v6, 32, v6
	v_lshrrev_b16_e32 v3, 3, v8
	v_subrev_u32_e32 v7, 28, v6
	v_and_b32_e32 v3, 15, v3
	v_lshlrev_b32_e32 v7, v7, v8
	v_sub_u32_e32 v6, 29, v6
	v_and_b32_e32 v7, 7, v7
	v_cmp_eq_u16_e32 vcc, 0, v3
	v_cndmask_b32_e32 v2, v2, v7, vcc
	v_cndmask_b32_e32 v3, v3, v6, vcc
	v_lshlrev_b32_e32 v6, 24, v8
	v_mov_b32_e32 v7, 0x3b800000
	v_lshlrev_b32_e32 v2, 20, v2
	v_and_b32_e32 v6, 0x80000000, v6
	v_lshl_add_u32 v3, v3, 23, v7
	v_or3_b32 v2, v6, v3, v2
.LBB22_452:
	s_or_b64 exec, exec, s[6:7]
	s_movk_i32 s4, 0x7f
	v_cmp_gt_i16_sdwa s[6:7], v4, s4 src0_sel:BYTE_0 src1_sel:DWORD
	s_mov_b64 s[4:5], 0
                                        ; implicit-def: $sgpr10
	s_and_saveexec_b64 s[8:9], s[6:7]
	s_xor_b64 s[6:7], exec, s[8:9]
	s_cbranch_execnz .LBB22_2501
; %bb.453:
	s_or_saveexec_b64 s[6:7], s[6:7]
	v_mov_b32_e32 v3, s10
	s_xor_b64 exec, exec, s[6:7]
	s_cbranch_execnz .LBB22_2504
.LBB22_454:
	s_or_b64 exec, exec, s[6:7]
	s_and_saveexec_b64 s[6:7], s[4:5]
	s_cbranch_execz .LBB22_456
.LBB22_455:
	v_and_b32_e32 v3, 7, v4
	v_ffbh_u32_e32 v7, v3
	v_min_u32_e32 v7, 32, v7
	v_lshrrev_b16_e32 v6, 3, v4
	v_subrev_u32_e32 v10, 28, v7
	v_and_b32_e32 v6, 15, v6
	v_lshlrev_b32_e32 v10, v10, v4
	v_sub_u32_e32 v7, 29, v7
	v_and_b32_e32 v10, 7, v10
	v_cmp_eq_u16_e32 vcc, 0, v6
	v_cndmask_b32_e32 v3, v3, v10, vcc
	v_cndmask_b32_e32 v6, v6, v7, vcc
	v_lshlrev_b32_e32 v7, 24, v4
	v_mov_b32_e32 v10, 0x3b800000
	v_lshlrev_b32_e32 v3, 20, v3
	v_and_b32_e32 v7, 0x80000000, v7
	v_lshl_add_u32 v6, v6, 23, v10
	v_or3_b32 v3, v7, v6, v3
.LBB22_456:
	s_or_b64 exec, exec, s[6:7]
	s_nop 0
	v_mfma_f32_16x16x4f32 a[0:3], v2, v3, a[0:3]
	v_lshrrev_b32_e32 v3, 8, v8
	s_movk_i32 s4, 0x7f
	v_cmp_gt_i16_sdwa s[6:7], v3, s4 src0_sel:BYTE_0 src1_sel:DWORD
	s_mov_b64 s[4:5], 0
                                        ; implicit-def: $sgpr10
	s_and_saveexec_b64 s[8:9], s[6:7]
	s_xor_b64 s[6:7], exec, s[8:9]
	s_cbranch_execnz .LBB22_2505
; %bb.457:
	s_or_saveexec_b64 s[6:7], s[6:7]
	v_mov_b32_e32 v2, s10
	s_xor_b64 exec, exec, s[6:7]
	s_cbranch_execnz .LBB22_2508
.LBB22_458:
	s_or_b64 exec, exec, s[6:7]
	s_and_saveexec_b64 s[6:7], s[4:5]
	s_cbranch_execz .LBB22_460
.LBB22_459:
	v_bfe_u32 v2, v8, 8, 3
	v_ffbh_u32_e32 v7, v2
	v_min_u32_e32 v7, 32, v7
	v_lshrrev_b16_e32 v6, 3, v3
	v_subrev_u32_e32 v10, 28, v7
	v_and_b32_e32 v6, 15, v6
	v_lshlrev_b32_e32 v3, v10, v3
	v_sub_u32_e32 v7, 29, v7
	v_and_b32_e32 v3, 7, v3
	v_cmp_eq_u16_e32 vcc, 0, v6
	v_cndmask_b32_e32 v2, v2, v3, vcc
	v_cndmask_b32_e32 v3, v6, v7, vcc
	v_lshlrev_b32_e32 v6, 16, v8
	v_mov_b32_e32 v7, 0x3b800000
	v_lshlrev_b32_e32 v2, 20, v2
	v_and_b32_e32 v6, 0x80000000, v6
	v_lshl_add_u32 v3, v3, 23, v7
	v_or3_b32 v2, v6, v3, v2
.LBB22_460:
	s_or_b64 exec, exec, s[6:7]
	v_lshrrev_b32_e32 v3, 8, v4
	s_movk_i32 s4, 0x7f
	v_cmp_gt_i16_sdwa s[6:7], v3, s4 src0_sel:BYTE_0 src1_sel:DWORD
	s_mov_b64 s[4:5], 0
                                        ; implicit-def: $sgpr10
	s_and_saveexec_b64 s[8:9], s[6:7]
	s_xor_b64 s[6:7], exec, s[8:9]
	s_cbranch_execnz .LBB22_2509
; %bb.461:
	s_or_saveexec_b64 s[6:7], s[6:7]
	v_mov_b32_e32 v6, s10
	s_xor_b64 exec, exec, s[6:7]
	s_cbranch_execnz .LBB22_2512
.LBB22_462:
	s_or_b64 exec, exec, s[6:7]
	s_and_saveexec_b64 s[6:7], s[4:5]
	s_cbranch_execz .LBB22_464
.LBB22_463:
	v_bfe_u32 v6, v4, 8, 3
	v_ffbh_u32_e32 v10, v6
	v_min_u32_e32 v10, 32, v10
	v_lshrrev_b16_e32 v7, 3, v3
	v_subrev_u32_e32 v11, 28, v10
	v_and_b32_e32 v7, 15, v7
	v_lshlrev_b32_e32 v3, v11, v3
	v_sub_u32_e32 v10, 29, v10
	v_and_b32_e32 v3, 7, v3
	v_cmp_eq_u16_e32 vcc, 0, v7
	v_cndmask_b32_e32 v3, v6, v3, vcc
	v_cndmask_b32_e32 v6, v7, v10, vcc
	v_lshlrev_b32_e32 v7, 16, v4
	v_mov_b32_e32 v10, 0x3b800000
	v_lshlrev_b32_e32 v3, 20, v3
	v_and_b32_e32 v7, 0x80000000, v7
	v_lshl_add_u32 v6, v6, 23, v10
	v_or3_b32 v6, v7, v6, v3
.LBB22_464:
	s_or_b64 exec, exec, s[6:7]
	s_nop 0
	v_mfma_f32_16x16x4f32 a[0:3], v2, v6, a[0:3]
	s_movk_i32 s4, 0xff
	v_and_b32_sdwa v3, v8, s4 dst_sel:DWORD dst_unused:UNUSED_PAD src0_sel:WORD_1 src1_sel:DWORD
	s_movk_i32 s4, 0x7f
	v_cmp_lt_i16_e32 vcc, s4, v3
	s_mov_b64 s[4:5], 0
                                        ; implicit-def: $sgpr10
	s_and_saveexec_b64 s[6:7], vcc
	s_xor_b64 s[6:7], exec, s[6:7]
	s_cbranch_execnz .LBB22_2513
; %bb.465:
	s_or_saveexec_b64 s[6:7], s[6:7]
	v_mov_b32_e32 v2, s10
	s_xor_b64 exec, exec, s[6:7]
	s_cbranch_execnz .LBB22_2516
.LBB22_466:
	s_or_b64 exec, exec, s[6:7]
	s_and_saveexec_b64 s[6:7], s[4:5]
	s_cbranch_execz .LBB22_468
.LBB22_467:
	v_bfe_u32 v2, v8, 16, 3
	v_ffbh_u32_e32 v7, v2
	v_min_u32_e32 v7, 32, v7
	v_lshrrev_b32_e32 v3, 19, v8
	v_subrev_u32_e32 v10, 28, v7
	v_and_b32_e32 v3, 15, v3
	v_lshlrev_b32_sdwa v10, v10, v8 dst_sel:DWORD dst_unused:UNUSED_PAD src0_sel:DWORD src1_sel:WORD_1
	v_bfe_u32 v6, v8, 19, 4
	v_sub_u32_e32 v7, 29, v7
	v_and_b32_e32 v10, 7, v10
	v_cmp_eq_u16_e32 vcc, 0, v3
	v_cndmask_b32_e32 v2, v2, v10, vcc
	v_cndmask_b32_e32 v3, v6, v7, vcc
	v_lshlrev_b32_e32 v6, 8, v8
	v_mov_b32_e32 v7, 0x3b800000
	v_lshlrev_b32_e32 v2, 20, v2
	v_and_b32_e32 v6, 0x80000000, v6
	v_lshl_add_u32 v3, v3, 23, v7
	v_or3_b32 v2, v6, v3, v2
.LBB22_468:
	s_or_b64 exec, exec, s[6:7]
	s_movk_i32 s4, 0xff
	v_and_b32_sdwa v3, v4, s4 dst_sel:DWORD dst_unused:UNUSED_PAD src0_sel:WORD_1 src1_sel:DWORD
	s_movk_i32 s4, 0x7f
	v_cmp_lt_i16_e32 vcc, s4, v3
	s_mov_b64 s[4:5], 0
                                        ; implicit-def: $sgpr10
	s_and_saveexec_b64 s[6:7], vcc
	s_xor_b64 s[6:7], exec, s[6:7]
	s_cbranch_execnz .LBB22_2517
; %bb.469:
	s_or_saveexec_b64 s[6:7], s[6:7]
	v_mov_b32_e32 v6, s10
	s_xor_b64 exec, exec, s[6:7]
	s_cbranch_execnz .LBB22_2520
.LBB22_470:
	s_or_b64 exec, exec, s[6:7]
	s_and_saveexec_b64 s[6:7], s[4:5]
	s_cbranch_execz .LBB22_472
.LBB22_471:
	v_bfe_u32 v3, v4, 16, 3
	v_ffbh_u32_e32 v10, v3
	v_min_u32_e32 v10, 32, v10
	v_lshrrev_b32_e32 v6, 19, v4
	v_subrev_u32_e32 v11, 28, v10
	v_and_b32_e32 v6, 15, v6
	v_lshlrev_b32_sdwa v11, v11, v4 dst_sel:DWORD dst_unused:UNUSED_PAD src0_sel:DWORD src1_sel:WORD_1
	v_bfe_u32 v7, v4, 19, 4
	v_sub_u32_e32 v10, 29, v10
	v_and_b32_e32 v11, 7, v11
	v_cmp_eq_u16_e32 vcc, 0, v6
	v_cndmask_b32_e32 v3, v3, v11, vcc
	v_cndmask_b32_e32 v6, v7, v10, vcc
	v_lshlrev_b32_e32 v7, 8, v4
	v_mov_b32_e32 v10, 0x3b800000
	v_lshlrev_b32_e32 v3, 20, v3
	v_and_b32_e32 v7, 0x80000000, v7
	v_lshl_add_u32 v6, v6, 23, v10
	v_or3_b32 v6, v7, v6, v3
.LBB22_472:
	s_or_b64 exec, exec, s[6:7]
	s_nop 0
	v_mfma_f32_16x16x4f32 a[0:3], v2, v6, a[0:3]
	s_movk_i32 s4, 0x7f
	v_cmp_gt_i16_sdwa s[6:7], v8, s4 src0_sel:BYTE_3 src1_sel:DWORD
	s_mov_b64 s[4:5], 0
                                        ; implicit-def: $sgpr10
	s_and_saveexec_b64 s[8:9], s[6:7]
	s_xor_b64 s[6:7], exec, s[8:9]
	s_cbranch_execnz .LBB22_2521
; %bb.473:
	s_or_saveexec_b64 s[6:7], s[6:7]
	v_mov_b32_e32 v2, s10
	s_xor_b64 exec, exec, s[6:7]
	s_cbranch_execnz .LBB22_2524
.LBB22_474:
	s_or_b64 exec, exec, s[6:7]
	s_and_saveexec_b64 s[6:7], s[4:5]
	s_cbranch_execz .LBB22_476
.LBB22_475:
	v_bfe_u32 v2, v8, 24, 3
	v_ffbh_u32_e32 v10, v2
	v_min_u32_e32 v10, 32, v10
	v_lshrrev_b32_e32 v6, 27, v8
	v_subrev_u32_e32 v11, 28, v10
	v_and_b32_e32 v3, 0x80000000, v8
	v_and_b32_e32 v6, 15, v6
	v_bfe_u32 v7, v8, 27, 4
	v_lshlrev_b32_sdwa v8, v11, v8 dst_sel:DWORD dst_unused:UNUSED_PAD src0_sel:DWORD src1_sel:BYTE_3
	v_sub_u32_e32 v10, 29, v10
	v_and_b32_e32 v8, 7, v8
	v_cmp_eq_u16_e32 vcc, 0, v6
	v_cndmask_b32_e32 v2, v2, v8, vcc
	v_cndmask_b32_e32 v6, v7, v10, vcc
	v_mov_b32_e32 v7, 0x3b800000
	v_lshlrev_b32_e32 v2, 20, v2
	v_lshl_add_u32 v6, v6, 23, v7
	v_or3_b32 v2, v3, v6, v2
.LBB22_476:
	s_or_b64 exec, exec, s[6:7]
	s_movk_i32 s4, 0x7f
	v_cmp_gt_i16_sdwa s[6:7], v4, s4 src0_sel:BYTE_3 src1_sel:DWORD
	s_mov_b64 s[4:5], 0
                                        ; implicit-def: $sgpr10
	s_and_saveexec_b64 s[8:9], s[6:7]
	s_xor_b64 s[6:7], exec, s[8:9]
	s_cbranch_execnz .LBB22_2525
; %bb.477:
	s_or_saveexec_b64 s[6:7], s[6:7]
	v_mov_b32_e32 v3, s10
	s_xor_b64 exec, exec, s[6:7]
	s_cbranch_execnz .LBB22_2528
.LBB22_478:
	s_or_b64 exec, exec, s[6:7]
	s_and_saveexec_b64 s[6:7], s[4:5]
	s_cbranch_execz .LBB22_480
.LBB22_479:
	v_bfe_u32 v3, v4, 24, 3
	v_ffbh_u32_e32 v10, v3
	v_min_u32_e32 v10, 32, v10
	v_lshrrev_b32_e32 v7, 27, v4
	v_subrev_u32_e32 v11, 28, v10
	v_and_b32_e32 v6, 0x80000000, v4
	v_and_b32_e32 v7, 15, v7
	v_bfe_u32 v8, v4, 27, 4
	v_lshlrev_b32_sdwa v4, v11, v4 dst_sel:DWORD dst_unused:UNUSED_PAD src0_sel:DWORD src1_sel:BYTE_3
	v_sub_u32_e32 v10, 29, v10
	v_and_b32_e32 v4, 7, v4
	v_cmp_eq_u16_e32 vcc, 0, v7
	v_cndmask_b32_e32 v3, v3, v4, vcc
	v_cndmask_b32_e32 v4, v8, v10, vcc
	v_mov_b32_e32 v7, 0x3b800000
	v_lshlrev_b32_e32 v3, 20, v3
	v_lshl_add_u32 v4, v4, 23, v7
	v_or3_b32 v3, v6, v4, v3
.LBB22_480:
	s_or_b64 exec, exec, s[6:7]
	s_nop 0
	v_mfma_f32_16x16x4f32 a[0:3], v2, v3, a[0:3]
	s_movk_i32 s4, 0x7f
	v_cmp_gt_i16_sdwa s[6:7], v9, s4 src0_sel:BYTE_0 src1_sel:DWORD
	s_mov_b64 s[4:5], 0
                                        ; implicit-def: $sgpr10
	s_and_saveexec_b64 s[8:9], s[6:7]
	s_xor_b64 s[6:7], exec, s[8:9]
	s_cbranch_execnz .LBB22_2529
; %bb.481:
	s_or_saveexec_b64 s[6:7], s[6:7]
	v_mov_b32_e32 v2, s10
	s_xor_b64 exec, exec, s[6:7]
	s_cbranch_execnz .LBB22_2532
.LBB22_482:
	s_or_b64 exec, exec, s[6:7]
	s_and_saveexec_b64 s[6:7], s[4:5]
	s_cbranch_execz .LBB22_484
.LBB22_483:
	v_mov_b32_e32 v2, 8
	v_and_b32_e32 v3, 7, v9
	v_lshrrev_b32_sdwa v2, v2, v9 dst_sel:BYTE_1 dst_unused:UNUSED_PAD src0_sel:DWORD src1_sel:DWORD
	v_ffbh_u32_e32 v4, v3
	v_or_b32_sdwa v2, v9, v2 dst_sel:DWORD dst_unused:UNUSED_PAD src0_sel:BYTE_0 src1_sel:DWORD
	v_min_u32_e32 v4, 32, v4
	v_lshrrev_b16_e32 v2, 3, v2
	v_subrev_u32_e32 v6, 28, v4
	v_and_b32_e32 v2, 15, v2
	v_lshlrev_b32_e32 v6, v6, v9
	v_sub_u32_e32 v4, 29, v4
	v_and_b32_e32 v6, 7, v6
	v_cmp_eq_u16_e32 vcc, 0, v2
	v_cndmask_b32_e32 v3, v3, v6, vcc
	v_cndmask_b32_e32 v2, v2, v4, vcc
	v_lshlrev_b32_e32 v4, 24, v9
	v_mov_b32_e32 v6, 0x3b800000
	v_lshlrev_b32_e32 v3, 20, v3
	v_and_b32_e32 v4, 0x80000000, v4
	v_lshl_add_u32 v2, v2, 23, v6
	v_or3_b32 v2, v4, v2, v3
.LBB22_484:
	s_or_b64 exec, exec, s[6:7]
	s_movk_i32 s4, 0x7f
	v_cmp_gt_i16_sdwa s[6:7], v5, s4 src0_sel:BYTE_0 src1_sel:DWORD
	s_mov_b64 s[4:5], 0
                                        ; implicit-def: $sgpr10
	s_and_saveexec_b64 s[8:9], s[6:7]
	s_xor_b64 s[6:7], exec, s[8:9]
	s_cbranch_execnz .LBB22_2533
; %bb.485:
	s_or_saveexec_b64 s[6:7], s[6:7]
	v_mov_b32_e32 v3, s10
	s_xor_b64 exec, exec, s[6:7]
	s_cbranch_execnz .LBB22_2536
.LBB22_486:
	s_or_b64 exec, exec, s[6:7]
	s_and_saveexec_b64 s[6:7], s[4:5]
	s_cbranch_execz .LBB22_488
.LBB22_487:
	v_mov_b32_e32 v3, 8
	v_and_b32_e32 v4, 7, v5
	v_lshrrev_b32_sdwa v3, v3, v5 dst_sel:BYTE_1 dst_unused:UNUSED_PAD src0_sel:DWORD src1_sel:DWORD
	v_ffbh_u32_e32 v6, v4
	v_or_b32_sdwa v3, v5, v3 dst_sel:DWORD dst_unused:UNUSED_PAD src0_sel:BYTE_0 src1_sel:DWORD
	v_min_u32_e32 v6, 32, v6
	v_lshrrev_b16_e32 v3, 3, v3
	v_subrev_u32_e32 v7, 28, v6
	v_and_b32_e32 v3, 15, v3
	v_lshlrev_b32_e32 v7, v7, v5
	v_sub_u32_e32 v6, 29, v6
	v_and_b32_e32 v7, 7, v7
	v_cmp_eq_u16_e32 vcc, 0, v3
	v_cndmask_b32_e32 v4, v4, v7, vcc
	v_cndmask_b32_e32 v3, v3, v6, vcc
	v_lshlrev_b32_e32 v6, 24, v5
	v_mov_b32_e32 v7, 0x3b800000
	v_lshlrev_b32_e32 v4, 20, v4
	v_and_b32_e32 v6, 0x80000000, v6
	v_lshl_add_u32 v3, v3, 23, v7
	v_or3_b32 v3, v6, v3, v4
.LBB22_488:
	s_or_b64 exec, exec, s[6:7]
	s_nop 0
	v_mfma_f32_16x16x4f32 a[0:3], v2, v3, a[0:3]
	v_lshrrev_b32_e32 v3, 8, v9
	s_movk_i32 s4, 0x7f
	v_cmp_gt_i16_sdwa s[6:7], v3, s4 src0_sel:BYTE_0 src1_sel:DWORD
	s_mov_b64 s[4:5], 0
                                        ; implicit-def: $sgpr10
	s_and_saveexec_b64 s[8:9], s[6:7]
	s_xor_b64 s[6:7], exec, s[8:9]
	s_cbranch_execnz .LBB22_2537
; %bb.489:
	s_or_saveexec_b64 s[6:7], s[6:7]
	v_mov_b32_e32 v2, s10
	s_xor_b64 exec, exec, s[6:7]
	s_cbranch_execnz .LBB22_2540
.LBB22_490:
	s_or_b64 exec, exec, s[6:7]
	s_and_saveexec_b64 s[6:7], s[4:5]
	s_cbranch_execz .LBB22_492
.LBB22_491:
	v_bfe_u32 v2, v9, 8, 3
	v_ffbh_u32_e32 v6, v2
	v_min_u32_e32 v6, 32, v6
	v_lshrrev_b16_e32 v4, 3, v3
	v_subrev_u32_e32 v7, 28, v6
	v_and_b32_e32 v4, 15, v4
	v_lshlrev_b32_e32 v3, v7, v3
	v_sub_u32_e32 v6, 29, v6
	v_and_b32_e32 v3, 7, v3
	v_cmp_eq_u16_e32 vcc, 0, v4
	v_cndmask_b32_e32 v2, v2, v3, vcc
	v_cndmask_b32_e32 v3, v4, v6, vcc
	v_lshlrev_b32_e32 v4, 16, v9
	v_mov_b32_e32 v6, 0x3b800000
	v_lshlrev_b32_e32 v2, 20, v2
	v_and_b32_e32 v4, 0x80000000, v4
	v_lshl_add_u32 v3, v3, 23, v6
	v_or3_b32 v2, v4, v3, v2
.LBB22_492:
	s_or_b64 exec, exec, s[6:7]
	v_lshrrev_b32_e32 v3, 8, v5
	s_movk_i32 s4, 0x7f
	v_cmp_gt_i16_sdwa s[6:7], v3, s4 src0_sel:BYTE_0 src1_sel:DWORD
	s_mov_b64 s[4:5], 0
                                        ; implicit-def: $sgpr10
	s_and_saveexec_b64 s[8:9], s[6:7]
	s_xor_b64 s[6:7], exec, s[8:9]
	s_cbranch_execnz .LBB22_2541
; %bb.493:
	s_or_saveexec_b64 s[6:7], s[6:7]
	v_mov_b32_e32 v4, s10
	s_xor_b64 exec, exec, s[6:7]
	s_cbranch_execnz .LBB22_2544
.LBB22_494:
	s_or_b64 exec, exec, s[6:7]
	s_and_saveexec_b64 s[6:7], s[4:5]
	s_cbranch_execz .LBB22_496
.LBB22_495:
	v_bfe_u32 v4, v5, 8, 3
	v_ffbh_u32_e32 v7, v4
	v_min_u32_e32 v7, 32, v7
	v_lshrrev_b16_e32 v6, 3, v3
	v_subrev_u32_e32 v8, 28, v7
	v_and_b32_e32 v6, 15, v6
	v_lshlrev_b32_e32 v3, v8, v3
	v_sub_u32_e32 v7, 29, v7
	v_and_b32_e32 v3, 7, v3
	v_cmp_eq_u16_e32 vcc, 0, v6
	v_cndmask_b32_e32 v3, v4, v3, vcc
	v_cndmask_b32_e32 v4, v6, v7, vcc
	v_lshlrev_b32_e32 v6, 16, v5
	v_mov_b32_e32 v7, 0x3b800000
	v_lshlrev_b32_e32 v3, 20, v3
	v_and_b32_e32 v6, 0x80000000, v6
	v_lshl_add_u32 v4, v4, 23, v7
	v_or3_b32 v4, v6, v4, v3
.LBB22_496:
	s_or_b64 exec, exec, s[6:7]
	s_nop 0
	v_mfma_f32_16x16x4f32 a[0:3], v2, v4, a[0:3]
	s_movk_i32 s4, 0xff
	v_and_b32_sdwa v3, v9, s4 dst_sel:DWORD dst_unused:UNUSED_PAD src0_sel:WORD_1 src1_sel:DWORD
	s_movk_i32 s4, 0x7f
	v_cmp_lt_i16_e32 vcc, s4, v3
	s_mov_b64 s[4:5], 0
                                        ; implicit-def: $sgpr10
	s_and_saveexec_b64 s[6:7], vcc
	s_xor_b64 s[6:7], exec, s[6:7]
	s_cbranch_execnz .LBB22_2545
; %bb.497:
	s_or_saveexec_b64 s[6:7], s[6:7]
	v_mov_b32_e32 v2, s10
	s_xor_b64 exec, exec, s[6:7]
	s_cbranch_execnz .LBB22_2548
.LBB22_498:
	s_or_b64 exec, exec, s[6:7]
	s_and_saveexec_b64 s[6:7], s[4:5]
	s_cbranch_execz .LBB22_500
.LBB22_499:
	v_bfe_u32 v2, v9, 16, 3
	v_ffbh_u32_e32 v6, v2
	v_min_u32_e32 v6, 32, v6
	v_lshrrev_b32_e32 v3, 19, v9
	v_subrev_u32_e32 v7, 28, v6
	v_and_b32_e32 v3, 15, v3
	v_lshlrev_b32_sdwa v7, v7, v9 dst_sel:DWORD dst_unused:UNUSED_PAD src0_sel:DWORD src1_sel:WORD_1
	v_bfe_u32 v4, v9, 19, 4
	v_sub_u32_e32 v6, 29, v6
	v_and_b32_e32 v7, 7, v7
	v_cmp_eq_u16_e32 vcc, 0, v3
	v_cndmask_b32_e32 v2, v2, v7, vcc
	v_cndmask_b32_e32 v3, v4, v6, vcc
	v_lshlrev_b32_e32 v4, 8, v9
	v_mov_b32_e32 v6, 0x3b800000
	v_lshlrev_b32_e32 v2, 20, v2
	v_and_b32_e32 v4, 0x80000000, v4
	v_lshl_add_u32 v3, v3, 23, v6
	v_or3_b32 v2, v4, v3, v2
.LBB22_500:
	s_or_b64 exec, exec, s[6:7]
	s_movk_i32 s4, 0xff
	v_and_b32_sdwa v3, v5, s4 dst_sel:DWORD dst_unused:UNUSED_PAD src0_sel:WORD_1 src1_sel:DWORD
	s_movk_i32 s4, 0x7f
	v_cmp_lt_i16_e32 vcc, s4, v3
	s_mov_b64 s[4:5], 0
                                        ; implicit-def: $sgpr10
	s_and_saveexec_b64 s[6:7], vcc
	s_xor_b64 s[6:7], exec, s[6:7]
	s_cbranch_execnz .LBB22_2549
; %bb.501:
	s_or_saveexec_b64 s[6:7], s[6:7]
	v_mov_b32_e32 v4, s10
	s_xor_b64 exec, exec, s[6:7]
	s_cbranch_execnz .LBB22_2552
.LBB22_502:
	s_or_b64 exec, exec, s[6:7]
	s_and_saveexec_b64 s[6:7], s[4:5]
	s_cbranch_execz .LBB22_504
.LBB22_503:
	v_bfe_u32 v3, v5, 16, 3
	v_ffbh_u32_e32 v7, v3
	v_min_u32_e32 v7, 32, v7
	v_lshrrev_b32_e32 v4, 19, v5
	v_subrev_u32_e32 v8, 28, v7
	v_and_b32_e32 v4, 15, v4
	v_lshlrev_b32_sdwa v8, v8, v5 dst_sel:DWORD dst_unused:UNUSED_PAD src0_sel:DWORD src1_sel:WORD_1
	v_bfe_u32 v6, v5, 19, 4
	v_sub_u32_e32 v7, 29, v7
	v_and_b32_e32 v8, 7, v8
	v_cmp_eq_u16_e32 vcc, 0, v4
	v_cndmask_b32_e32 v3, v3, v8, vcc
	v_cndmask_b32_e32 v4, v6, v7, vcc
	v_lshlrev_b32_e32 v6, 8, v5
	v_mov_b32_e32 v7, 0x3b800000
	v_lshlrev_b32_e32 v3, 20, v3
	v_and_b32_e32 v6, 0x80000000, v6
	v_lshl_add_u32 v4, v4, 23, v7
	v_or3_b32 v4, v6, v4, v3
.LBB22_504:
	s_or_b64 exec, exec, s[6:7]
	s_nop 0
	v_mfma_f32_16x16x4f32 a[0:3], v2, v4, a[0:3]
	s_movk_i32 s4, 0x7f
	v_cmp_gt_i16_sdwa s[6:7], v9, s4 src0_sel:BYTE_3 src1_sel:DWORD
	s_mov_b64 s[4:5], 0
                                        ; implicit-def: $sgpr10
	s_and_saveexec_b64 s[8:9], s[6:7]
	s_xor_b64 s[6:7], exec, s[8:9]
	s_cbranch_execnz .LBB22_2553
; %bb.505:
	s_or_saveexec_b64 s[6:7], s[6:7]
	v_mov_b32_e32 v2, s10
	s_xor_b64 exec, exec, s[6:7]
	s_cbranch_execnz .LBB22_2556
.LBB22_506:
	s_or_b64 exec, exec, s[6:7]
	s_and_saveexec_b64 s[6:7], s[4:5]
	s_cbranch_execz .LBB22_508
.LBB22_507:
	v_bfe_u32 v2, v9, 24, 3
	v_ffbh_u32_e32 v7, v2
	v_min_u32_e32 v7, 32, v7
	v_lshrrev_b32_e32 v4, 27, v9
	v_subrev_u32_e32 v8, 28, v7
	v_and_b32_e32 v4, 15, v4
	v_lshlrev_b32_sdwa v8, v8, v9 dst_sel:DWORD dst_unused:UNUSED_PAD src0_sel:DWORD src1_sel:BYTE_3
	v_bfe_u32 v6, v9, 27, 4
	v_sub_u32_e32 v7, 29, v7
	v_and_b32_e32 v8, 7, v8
	v_cmp_eq_u16_e32 vcc, 0, v4
	v_cndmask_b32_e32 v2, v2, v8, vcc
	v_cndmask_b32_e32 v4, v6, v7, vcc
	v_mov_b32_e32 v6, 0x3b800000
	v_and_b32_e32 v3, 0x80000000, v9
	v_lshlrev_b32_e32 v2, 20, v2
	v_lshl_add_u32 v4, v4, 23, v6
	v_or3_b32 v2, v3, v4, v2
.LBB22_508:
	s_or_b64 exec, exec, s[6:7]
	s_movk_i32 s4, 0x7f
	v_cmp_gt_i16_sdwa s[6:7], v5, s4 src0_sel:BYTE_3 src1_sel:DWORD
	s_mov_b64 s[4:5], 0
                                        ; implicit-def: $sgpr10
	s_and_saveexec_b64 s[8:9], s[6:7]
	s_xor_b64 s[6:7], exec, s[8:9]
	s_cbranch_execnz .LBB22_2557
; %bb.509:
	s_or_saveexec_b64 s[6:7], s[6:7]
	v_mov_b32_e32 v3, s10
	s_xor_b64 exec, exec, s[6:7]
	s_cbranch_execnz .LBB22_2560
.LBB22_510:
	s_or_b64 exec, exec, s[6:7]
	s_and_saveexec_b64 s[6:7], s[4:5]
	s_cbranch_execz .LBB22_512
.LBB22_511:
	v_bfe_u32 v3, v5, 24, 3
	v_ffbh_u32_e32 v8, v3
	v_min_u32_e32 v8, 32, v8
	v_lshrrev_b32_e32 v6, 27, v5
	v_subrev_u32_e32 v9, 28, v8
	v_and_b32_e32 v4, 0x80000000, v5
	v_and_b32_e32 v6, 15, v6
	v_bfe_u32 v7, v5, 27, 4
	v_lshlrev_b32_sdwa v5, v9, v5 dst_sel:DWORD dst_unused:UNUSED_PAD src0_sel:DWORD src1_sel:BYTE_3
	v_sub_u32_e32 v8, 29, v8
	v_and_b32_e32 v5, 7, v5
	v_cmp_eq_u16_e32 vcc, 0, v6
	v_cndmask_b32_e32 v3, v3, v5, vcc
	v_cndmask_b32_e32 v5, v7, v8, vcc
	v_mov_b32_e32 v6, 0x3b800000
	v_lshlrev_b32_e32 v3, 20, v3
	v_lshl_add_u32 v5, v5, 23, v6
	v_or3_b32 v3, v4, v5, v3
.LBB22_512:
	s_or_b64 exec, exec, s[6:7]
	s_nop 0
	v_mfma_f32_16x16x4f32 a[0:3], v2, v3, a[0:3]
	s_movk_i32 s4, 0x7f
                                        ; implicit-def: $sgpr10
	s_nop 7
	s_nop 1
	flat_store_dwordx4 v[18:19], a[0:3] offset:528
	flat_load_dwordx4 v[20:23], v[0:1] offset:8
	s_nop 0
	flat_load_dwordx2 v[18:19], v[0:1] offset:24
	s_waitcnt vmcnt(0) lgkmcnt(0)
	flat_load_dwordx4 v[14:17], v[20:21]
	flat_load_dwordx4 v[6:9], v[20:21] offset:16
	flat_load_dwordx4 v[10:13], v[22:23] offset:64
	;; [unrolled: 1-line block ×3, first 2 shown]
	s_waitcnt vmcnt(0) lgkmcnt(0)
	v_cmp_gt_i16_sdwa s[6:7], v14, s4 src0_sel:BYTE_0 src1_sel:DWORD
	s_mov_b64 s[4:5], 0
	s_and_saveexec_b64 s[8:9], s[6:7]
	s_xor_b64 s[6:7], exec, s[8:9]
	s_cbranch_execnz .LBB22_2561
; %bb.513:
	s_or_saveexec_b64 s[6:7], s[6:7]
	v_mov_b32_e32 v20, s10
	s_xor_b64 exec, exec, s[6:7]
	s_cbranch_execnz .LBB22_2564
.LBB22_514:
	s_or_b64 exec, exec, s[6:7]
	s_and_saveexec_b64 s[6:7], s[4:5]
	s_cbranch_execz .LBB22_516
.LBB22_515:
	v_and_b32_e32 v20, 7, v14
	v_ffbh_u32_e32 v22, v20
	v_min_u32_e32 v22, 32, v22
	v_lshrrev_b16_e32 v21, 3, v14
	v_subrev_u32_e32 v23, 28, v22
	v_and_b32_e32 v21, 15, v21
	v_lshlrev_b32_e32 v23, v23, v14
	v_sub_u32_e32 v22, 29, v22
	v_and_b32_e32 v23, 7, v23
	v_cmp_eq_u16_e32 vcc, 0, v21
	v_cndmask_b32_e32 v20, v20, v23, vcc
	v_cndmask_b32_e32 v21, v21, v22, vcc
	v_lshlrev_b32_e32 v22, 24, v14
	v_mov_b32_e32 v23, 0x3b800000
	v_lshlrev_b32_e32 v20, 20, v20
	v_and_b32_e32 v22, 0x80000000, v22
	v_lshl_add_u32 v21, v21, 23, v23
	v_or3_b32 v20, v22, v21, v20
.LBB22_516:
	s_or_b64 exec, exec, s[6:7]
	s_movk_i32 s4, 0x7f
	v_cmp_gt_i16_sdwa s[6:7], v10, s4 src0_sel:BYTE_0 src1_sel:DWORD
	s_mov_b64 s[4:5], 0
                                        ; implicit-def: $sgpr10
	s_and_saveexec_b64 s[8:9], s[6:7]
	s_xor_b64 s[6:7], exec, s[8:9]
	s_cbranch_execnz .LBB22_2565
; %bb.517:
	s_or_saveexec_b64 s[6:7], s[6:7]
	v_mov_b32_e32 v21, s10
	s_xor_b64 exec, exec, s[6:7]
	s_cbranch_execnz .LBB22_2568
.LBB22_518:
	s_or_b64 exec, exec, s[6:7]
	s_and_saveexec_b64 s[6:7], s[4:5]
	s_cbranch_execz .LBB22_520
.LBB22_519:
	v_and_b32_e32 v21, 7, v10
	v_ffbh_u32_e32 v23, v21
	v_min_u32_e32 v23, 32, v23
	v_lshrrev_b16_e32 v22, 3, v10
	v_subrev_u32_e32 v24, 28, v23
	v_and_b32_e32 v22, 15, v22
	v_lshlrev_b32_e32 v24, v24, v10
	v_sub_u32_e32 v23, 29, v23
	v_and_b32_e32 v24, 7, v24
	v_cmp_eq_u16_e32 vcc, 0, v22
	v_cndmask_b32_e32 v21, v21, v24, vcc
	v_cndmask_b32_e32 v22, v22, v23, vcc
	v_lshlrev_b32_e32 v23, 24, v10
	v_mov_b32_e32 v24, 0x3b800000
	v_lshlrev_b32_e32 v21, 20, v21
	v_and_b32_e32 v23, 0x80000000, v23
	v_lshl_add_u32 v22, v22, 23, v24
	v_or3_b32 v21, v23, v22, v21
.LBB22_520:
	s_or_b64 exec, exec, s[6:7]
	flat_load_dwordx4 a[0:3], v[18:19] offset:544
	s_movk_i32 s4, 0x7f
                                        ; implicit-def: $sgpr10
	s_waitcnt vmcnt(0) lgkmcnt(0)
	v_mfma_f32_16x16x4f32 a[0:3], v20, v21, a[0:3]
	v_lshrrev_b32_e32 v21, 8, v14
	v_cmp_gt_i16_sdwa s[6:7], v21, s4 src0_sel:BYTE_0 src1_sel:DWORD
	s_mov_b64 s[4:5], 0
	s_and_saveexec_b64 s[8:9], s[6:7]
	s_xor_b64 s[6:7], exec, s[8:9]
	s_cbranch_execnz .LBB22_2569
; %bb.521:
	s_or_saveexec_b64 s[6:7], s[6:7]
	v_mov_b32_e32 v20, s10
	s_xor_b64 exec, exec, s[6:7]
	s_cbranch_execnz .LBB22_2572
.LBB22_522:
	s_or_b64 exec, exec, s[6:7]
	s_and_saveexec_b64 s[6:7], s[4:5]
	s_cbranch_execz .LBB22_524
.LBB22_523:
	v_bfe_u32 v20, v14, 8, 3
	v_ffbh_u32_e32 v23, v20
	v_min_u32_e32 v23, 32, v23
	v_lshrrev_b16_e32 v22, 3, v21
	v_subrev_u32_e32 v24, 28, v23
	v_and_b32_e32 v22, 15, v22
	v_lshlrev_b32_e32 v21, v24, v21
	v_sub_u32_e32 v23, 29, v23
	v_and_b32_e32 v21, 7, v21
	v_cmp_eq_u16_e32 vcc, 0, v22
	v_cndmask_b32_e32 v20, v20, v21, vcc
	v_cndmask_b32_e32 v21, v22, v23, vcc
	v_lshlrev_b32_e32 v22, 16, v14
	v_mov_b32_e32 v23, 0x3b800000
	v_lshlrev_b32_e32 v20, 20, v20
	v_and_b32_e32 v22, 0x80000000, v22
	v_lshl_add_u32 v21, v21, 23, v23
	v_or3_b32 v20, v22, v21, v20
.LBB22_524:
	s_or_b64 exec, exec, s[6:7]
	v_lshrrev_b32_e32 v21, 8, v10
	s_movk_i32 s4, 0x7f
	v_cmp_gt_i16_sdwa s[6:7], v21, s4 src0_sel:BYTE_0 src1_sel:DWORD
	s_mov_b64 s[4:5], 0
                                        ; implicit-def: $sgpr10
	s_and_saveexec_b64 s[8:9], s[6:7]
	s_xor_b64 s[6:7], exec, s[8:9]
	s_cbranch_execnz .LBB22_2573
; %bb.525:
	s_or_saveexec_b64 s[6:7], s[6:7]
	v_mov_b32_e32 v22, s10
	s_xor_b64 exec, exec, s[6:7]
	s_cbranch_execnz .LBB22_2576
.LBB22_526:
	s_or_b64 exec, exec, s[6:7]
	s_and_saveexec_b64 s[6:7], s[4:5]
	s_cbranch_execz .LBB22_528
.LBB22_527:
	v_bfe_u32 v22, v10, 8, 3
	v_ffbh_u32_e32 v24, v22
	v_min_u32_e32 v24, 32, v24
	v_lshrrev_b16_e32 v23, 3, v21
	v_subrev_u32_e32 v25, 28, v24
	v_and_b32_e32 v23, 15, v23
	v_lshlrev_b32_e32 v21, v25, v21
	v_sub_u32_e32 v24, 29, v24
	v_and_b32_e32 v21, 7, v21
	v_cmp_eq_u16_e32 vcc, 0, v23
	v_cndmask_b32_e32 v21, v22, v21, vcc
	v_cndmask_b32_e32 v22, v23, v24, vcc
	v_lshlrev_b32_e32 v23, 16, v10
	v_mov_b32_e32 v24, 0x3b800000
	v_lshlrev_b32_e32 v21, 20, v21
	v_and_b32_e32 v23, 0x80000000, v23
	v_lshl_add_u32 v22, v22, 23, v24
	v_or3_b32 v22, v23, v22, v21
.LBB22_528:
	s_or_b64 exec, exec, s[6:7]
	s_nop 0
	v_mfma_f32_16x16x4f32 a[0:3], v20, v22, a[0:3]
	s_movk_i32 s4, 0xff
	v_and_b32_sdwa v21, v14, s4 dst_sel:DWORD dst_unused:UNUSED_PAD src0_sel:WORD_1 src1_sel:DWORD
	s_movk_i32 s4, 0x7f
	v_cmp_lt_i16_e32 vcc, s4, v21
	s_mov_b64 s[4:5], 0
                                        ; implicit-def: $sgpr10
	s_and_saveexec_b64 s[6:7], vcc
	s_xor_b64 s[6:7], exec, s[6:7]
	s_cbranch_execnz .LBB22_2577
; %bb.529:
	s_or_saveexec_b64 s[6:7], s[6:7]
	v_mov_b32_e32 v20, s10
	s_xor_b64 exec, exec, s[6:7]
	s_cbranch_execnz .LBB22_2580
.LBB22_530:
	s_or_b64 exec, exec, s[6:7]
	s_and_saveexec_b64 s[6:7], s[4:5]
	s_cbranch_execz .LBB22_532
.LBB22_531:
	v_bfe_u32 v20, v14, 16, 3
	v_ffbh_u32_e32 v23, v20
	v_min_u32_e32 v23, 32, v23
	v_lshrrev_b32_e32 v21, 19, v14
	v_subrev_u32_e32 v24, 28, v23
	v_and_b32_e32 v21, 15, v21
	v_lshlrev_b32_sdwa v24, v24, v14 dst_sel:DWORD dst_unused:UNUSED_PAD src0_sel:DWORD src1_sel:WORD_1
	v_bfe_u32 v22, v14, 19, 4
	v_sub_u32_e32 v23, 29, v23
	v_and_b32_e32 v24, 7, v24
	v_cmp_eq_u16_e32 vcc, 0, v21
	v_cndmask_b32_e32 v20, v20, v24, vcc
	v_cndmask_b32_e32 v21, v22, v23, vcc
	v_lshlrev_b32_e32 v22, 8, v14
	v_mov_b32_e32 v23, 0x3b800000
	v_lshlrev_b32_e32 v20, 20, v20
	v_and_b32_e32 v22, 0x80000000, v22
	v_lshl_add_u32 v21, v21, 23, v23
	v_or3_b32 v20, v22, v21, v20
.LBB22_532:
	s_or_b64 exec, exec, s[6:7]
	s_movk_i32 s4, 0xff
	v_and_b32_sdwa v21, v10, s4 dst_sel:DWORD dst_unused:UNUSED_PAD src0_sel:WORD_1 src1_sel:DWORD
	s_movk_i32 s4, 0x7f
	v_cmp_lt_i16_e32 vcc, s4, v21
	s_mov_b64 s[4:5], 0
                                        ; implicit-def: $sgpr10
	s_and_saveexec_b64 s[6:7], vcc
	s_xor_b64 s[6:7], exec, s[6:7]
	s_cbranch_execnz .LBB22_2581
; %bb.533:
	s_or_saveexec_b64 s[6:7], s[6:7]
	v_mov_b32_e32 v22, s10
	s_xor_b64 exec, exec, s[6:7]
	s_cbranch_execnz .LBB22_2584
.LBB22_534:
	s_or_b64 exec, exec, s[6:7]
	s_and_saveexec_b64 s[6:7], s[4:5]
	s_cbranch_execz .LBB22_536
.LBB22_535:
	v_bfe_u32 v21, v10, 16, 3
	v_ffbh_u32_e32 v24, v21
	v_min_u32_e32 v24, 32, v24
	v_lshrrev_b32_e32 v22, 19, v10
	v_subrev_u32_e32 v25, 28, v24
	v_and_b32_e32 v22, 15, v22
	v_lshlrev_b32_sdwa v25, v25, v10 dst_sel:DWORD dst_unused:UNUSED_PAD src0_sel:DWORD src1_sel:WORD_1
	v_bfe_u32 v23, v10, 19, 4
	v_sub_u32_e32 v24, 29, v24
	v_and_b32_e32 v25, 7, v25
	v_cmp_eq_u16_e32 vcc, 0, v22
	v_cndmask_b32_e32 v21, v21, v25, vcc
	v_cndmask_b32_e32 v22, v23, v24, vcc
	v_lshlrev_b32_e32 v23, 8, v10
	v_mov_b32_e32 v24, 0x3b800000
	v_lshlrev_b32_e32 v21, 20, v21
	v_and_b32_e32 v23, 0x80000000, v23
	v_lshl_add_u32 v22, v22, 23, v24
	v_or3_b32 v22, v23, v22, v21
.LBB22_536:
	s_or_b64 exec, exec, s[6:7]
	s_nop 0
	v_mfma_f32_16x16x4f32 a[0:3], v20, v22, a[0:3]
	s_movk_i32 s4, 0x7f
	v_cmp_gt_i16_sdwa s[6:7], v14, s4 src0_sel:BYTE_3 src1_sel:DWORD
	s_mov_b64 s[4:5], 0
                                        ; implicit-def: $sgpr10
	s_and_saveexec_b64 s[8:9], s[6:7]
	s_xor_b64 s[6:7], exec, s[8:9]
	s_cbranch_execnz .LBB22_2585
; %bb.537:
	s_or_saveexec_b64 s[6:7], s[6:7]
	v_mov_b32_e32 v20, s10
	s_xor_b64 exec, exec, s[6:7]
	s_cbranch_execnz .LBB22_2588
.LBB22_538:
	s_or_b64 exec, exec, s[6:7]
	s_and_saveexec_b64 s[6:7], s[4:5]
	s_cbranch_execz .LBB22_540
.LBB22_539:
	v_bfe_u32 v20, v14, 24, 3
	v_ffbh_u32_e32 v24, v20
	v_min_u32_e32 v24, 32, v24
	v_lshrrev_b32_e32 v22, 27, v14
	v_subrev_u32_e32 v25, 28, v24
	v_and_b32_e32 v21, 0x80000000, v14
	v_and_b32_e32 v22, 15, v22
	v_bfe_u32 v23, v14, 27, 4
	v_lshlrev_b32_sdwa v14, v25, v14 dst_sel:DWORD dst_unused:UNUSED_PAD src0_sel:DWORD src1_sel:BYTE_3
	v_sub_u32_e32 v24, 29, v24
	v_and_b32_e32 v14, 7, v14
	v_cmp_eq_u16_e32 vcc, 0, v22
	v_cndmask_b32_e32 v14, v20, v14, vcc
	v_cndmask_b32_e32 v20, v23, v24, vcc
	v_mov_b32_e32 v22, 0x3b800000
	v_lshlrev_b32_e32 v14, 20, v14
	v_lshl_add_u32 v20, v20, 23, v22
	v_or3_b32 v20, v21, v20, v14
.LBB22_540:
	s_or_b64 exec, exec, s[6:7]
	s_movk_i32 s4, 0x7f
	v_cmp_gt_i16_sdwa s[6:7], v10, s4 src0_sel:BYTE_3 src1_sel:DWORD
	s_mov_b64 s[4:5], 0
                                        ; implicit-def: $sgpr10
	s_and_saveexec_b64 s[8:9], s[6:7]
	s_xor_b64 s[6:7], exec, s[8:9]
	s_cbranch_execnz .LBB22_2589
; %bb.541:
	s_or_saveexec_b64 s[6:7], s[6:7]
	v_mov_b32_e32 v14, s10
	s_xor_b64 exec, exec, s[6:7]
	s_cbranch_execnz .LBB22_2592
.LBB22_542:
	s_or_b64 exec, exec, s[6:7]
	s_and_saveexec_b64 s[6:7], s[4:5]
	s_cbranch_execz .LBB22_544
.LBB22_543:
	v_bfe_u32 v14, v10, 24, 3
	v_ffbh_u32_e32 v24, v14
	v_min_u32_e32 v24, 32, v24
	v_lshrrev_b32_e32 v22, 27, v10
	v_subrev_u32_e32 v25, 28, v24
	v_and_b32_e32 v21, 0x80000000, v10
	v_and_b32_e32 v22, 15, v22
	v_bfe_u32 v23, v10, 27, 4
	v_lshlrev_b32_sdwa v10, v25, v10 dst_sel:DWORD dst_unused:UNUSED_PAD src0_sel:DWORD src1_sel:BYTE_3
	v_sub_u32_e32 v24, 29, v24
	v_and_b32_e32 v10, 7, v10
	v_cmp_eq_u16_e32 vcc, 0, v22
	v_cndmask_b32_e32 v10, v14, v10, vcc
	v_cndmask_b32_e32 v14, v23, v24, vcc
	v_mov_b32_e32 v22, 0x3b800000
	v_lshlrev_b32_e32 v10, 20, v10
	v_lshl_add_u32 v14, v14, 23, v22
	v_or3_b32 v14, v21, v14, v10
.LBB22_544:
	s_or_b64 exec, exec, s[6:7]
	s_nop 0
	v_mfma_f32_16x16x4f32 a[0:3], v20, v14, a[0:3]
	s_movk_i32 s4, 0x7f
	v_cmp_gt_i16_sdwa s[6:7], v15, s4 src0_sel:BYTE_0 src1_sel:DWORD
	s_mov_b64 s[4:5], 0
                                        ; implicit-def: $sgpr10
	s_and_saveexec_b64 s[8:9], s[6:7]
	s_xor_b64 s[6:7], exec, s[8:9]
	s_cbranch_execnz .LBB22_2593
; %bb.545:
	s_or_saveexec_b64 s[6:7], s[6:7]
	v_mov_b32_e32 v10, s10
	s_xor_b64 exec, exec, s[6:7]
	s_cbranch_execnz .LBB22_2596
.LBB22_546:
	s_or_b64 exec, exec, s[6:7]
	s_and_saveexec_b64 s[6:7], s[4:5]
	s_cbranch_execz .LBB22_548
.LBB22_547:
	v_and_b32_e32 v10, 7, v15
	v_ffbh_u32_e32 v20, v10
	v_min_u32_e32 v20, 32, v20
	v_lshrrev_b16_e32 v14, 3, v15
	v_subrev_u32_e32 v21, 28, v20
	v_and_b32_e32 v14, 15, v14
	v_lshlrev_b32_e32 v21, v21, v15
	v_sub_u32_e32 v20, 29, v20
	v_and_b32_e32 v21, 7, v21
	v_cmp_eq_u16_e32 vcc, 0, v14
	v_cndmask_b32_e32 v10, v10, v21, vcc
	v_cndmask_b32_e32 v14, v14, v20, vcc
	v_lshlrev_b32_e32 v20, 24, v15
	v_mov_b32_e32 v21, 0x3b800000
	v_lshlrev_b32_e32 v10, 20, v10
	v_and_b32_e32 v20, 0x80000000, v20
	v_lshl_add_u32 v14, v14, 23, v21
	v_or3_b32 v10, v20, v14, v10
.LBB22_548:
	s_or_b64 exec, exec, s[6:7]
	s_movk_i32 s4, 0x7f
	v_cmp_gt_i16_sdwa s[6:7], v11, s4 src0_sel:BYTE_0 src1_sel:DWORD
	s_mov_b64 s[4:5], 0
                                        ; implicit-def: $sgpr10
	s_and_saveexec_b64 s[8:9], s[6:7]
	s_xor_b64 s[6:7], exec, s[8:9]
	s_cbranch_execnz .LBB22_2597
; %bb.549:
	s_or_saveexec_b64 s[6:7], s[6:7]
	v_mov_b32_e32 v14, s10
	s_xor_b64 exec, exec, s[6:7]
	s_cbranch_execnz .LBB22_2600
.LBB22_550:
	s_or_b64 exec, exec, s[6:7]
	s_and_saveexec_b64 s[6:7], s[4:5]
	s_cbranch_execz .LBB22_552
.LBB22_551:
	v_and_b32_e32 v14, 7, v11
	v_ffbh_u32_e32 v21, v14
	v_min_u32_e32 v21, 32, v21
	v_lshrrev_b16_e32 v20, 3, v11
	v_subrev_u32_e32 v22, 28, v21
	v_and_b32_e32 v20, 15, v20
	v_lshlrev_b32_e32 v22, v22, v11
	v_sub_u32_e32 v21, 29, v21
	v_and_b32_e32 v22, 7, v22
	v_cmp_eq_u16_e32 vcc, 0, v20
	v_cndmask_b32_e32 v14, v14, v22, vcc
	v_cndmask_b32_e32 v20, v20, v21, vcc
	v_lshlrev_b32_e32 v21, 24, v11
	v_mov_b32_e32 v22, 0x3b800000
	v_lshlrev_b32_e32 v14, 20, v14
	v_and_b32_e32 v21, 0x80000000, v21
	v_lshl_add_u32 v20, v20, 23, v22
	v_or3_b32 v14, v21, v20, v14
.LBB22_552:
	s_or_b64 exec, exec, s[6:7]
	s_nop 0
	v_mfma_f32_16x16x4f32 a[0:3], v10, v14, a[0:3]
	v_lshrrev_b32_e32 v14, 8, v15
	s_movk_i32 s4, 0x7f
	v_cmp_gt_i16_sdwa s[6:7], v14, s4 src0_sel:BYTE_0 src1_sel:DWORD
	s_mov_b64 s[4:5], 0
                                        ; implicit-def: $sgpr10
	s_and_saveexec_b64 s[8:9], s[6:7]
	s_xor_b64 s[6:7], exec, s[8:9]
	s_cbranch_execnz .LBB22_2601
; %bb.553:
	s_or_saveexec_b64 s[6:7], s[6:7]
	v_mov_b32_e32 v10, s10
	s_xor_b64 exec, exec, s[6:7]
	s_cbranch_execnz .LBB22_2604
.LBB22_554:
	s_or_b64 exec, exec, s[6:7]
	s_and_saveexec_b64 s[6:7], s[4:5]
	s_cbranch_execz .LBB22_556
.LBB22_555:
	v_bfe_u32 v10, v15, 8, 3
	v_ffbh_u32_e32 v21, v10
	v_min_u32_e32 v21, 32, v21
	v_lshrrev_b16_e32 v20, 3, v14
	v_subrev_u32_e32 v22, 28, v21
	v_and_b32_e32 v20, 15, v20
	v_lshlrev_b32_e32 v14, v22, v14
	v_sub_u32_e32 v21, 29, v21
	v_and_b32_e32 v14, 7, v14
	v_cmp_eq_u16_e32 vcc, 0, v20
	v_cndmask_b32_e32 v10, v10, v14, vcc
	v_cndmask_b32_e32 v14, v20, v21, vcc
	v_lshlrev_b32_e32 v20, 16, v15
	v_mov_b32_e32 v21, 0x3b800000
	v_lshlrev_b32_e32 v10, 20, v10
	v_and_b32_e32 v20, 0x80000000, v20
	v_lshl_add_u32 v14, v14, 23, v21
	v_or3_b32 v10, v20, v14, v10
.LBB22_556:
	s_or_b64 exec, exec, s[6:7]
	v_lshrrev_b32_e32 v14, 8, v11
	s_movk_i32 s4, 0x7f
	v_cmp_gt_i16_sdwa s[6:7], v14, s4 src0_sel:BYTE_0 src1_sel:DWORD
	s_mov_b64 s[4:5], 0
                                        ; implicit-def: $sgpr10
	s_and_saveexec_b64 s[8:9], s[6:7]
	s_xor_b64 s[6:7], exec, s[8:9]
	s_cbranch_execnz .LBB22_2605
; %bb.557:
	s_or_saveexec_b64 s[6:7], s[6:7]
	v_mov_b32_e32 v20, s10
	s_xor_b64 exec, exec, s[6:7]
	s_cbranch_execnz .LBB22_2608
.LBB22_558:
	s_or_b64 exec, exec, s[6:7]
	s_and_saveexec_b64 s[6:7], s[4:5]
	s_cbranch_execz .LBB22_560
.LBB22_559:
	v_bfe_u32 v20, v11, 8, 3
	v_ffbh_u32_e32 v22, v20
	v_min_u32_e32 v22, 32, v22
	v_lshrrev_b16_e32 v21, 3, v14
	v_subrev_u32_e32 v23, 28, v22
	v_and_b32_e32 v21, 15, v21
	v_lshlrev_b32_e32 v14, v23, v14
	v_sub_u32_e32 v22, 29, v22
	v_and_b32_e32 v14, 7, v14
	v_cmp_eq_u16_e32 vcc, 0, v21
	v_cndmask_b32_e32 v14, v20, v14, vcc
	v_cndmask_b32_e32 v20, v21, v22, vcc
	v_lshlrev_b32_e32 v21, 16, v11
	v_mov_b32_e32 v22, 0x3b800000
	v_lshlrev_b32_e32 v14, 20, v14
	v_and_b32_e32 v21, 0x80000000, v21
	v_lshl_add_u32 v20, v20, 23, v22
	v_or3_b32 v20, v21, v20, v14
.LBB22_560:
	s_or_b64 exec, exec, s[6:7]
	s_nop 0
	v_mfma_f32_16x16x4f32 a[0:3], v10, v20, a[0:3]
	s_movk_i32 s4, 0xff
	v_and_b32_sdwa v14, v15, s4 dst_sel:DWORD dst_unused:UNUSED_PAD src0_sel:WORD_1 src1_sel:DWORD
	s_movk_i32 s4, 0x7f
	v_cmp_lt_i16_e32 vcc, s4, v14
	s_mov_b64 s[4:5], 0
                                        ; implicit-def: $sgpr10
	s_and_saveexec_b64 s[6:7], vcc
	s_xor_b64 s[6:7], exec, s[6:7]
	s_cbranch_execnz .LBB22_2609
; %bb.561:
	s_or_saveexec_b64 s[6:7], s[6:7]
	v_mov_b32_e32 v10, s10
	s_xor_b64 exec, exec, s[6:7]
	s_cbranch_execnz .LBB22_2612
.LBB22_562:
	s_or_b64 exec, exec, s[6:7]
	s_and_saveexec_b64 s[6:7], s[4:5]
	s_cbranch_execz .LBB22_564
.LBB22_563:
	v_bfe_u32 v10, v15, 16, 3
	v_ffbh_u32_e32 v21, v10
	v_min_u32_e32 v21, 32, v21
	v_lshrrev_b32_e32 v14, 19, v15
	v_subrev_u32_e32 v22, 28, v21
	v_and_b32_e32 v14, 15, v14
	v_lshlrev_b32_sdwa v22, v22, v15 dst_sel:DWORD dst_unused:UNUSED_PAD src0_sel:DWORD src1_sel:WORD_1
	v_bfe_u32 v20, v15, 19, 4
	v_sub_u32_e32 v21, 29, v21
	v_and_b32_e32 v22, 7, v22
	v_cmp_eq_u16_e32 vcc, 0, v14
	v_cndmask_b32_e32 v10, v10, v22, vcc
	v_cndmask_b32_e32 v14, v20, v21, vcc
	v_lshlrev_b32_e32 v20, 8, v15
	v_mov_b32_e32 v21, 0x3b800000
	v_lshlrev_b32_e32 v10, 20, v10
	v_and_b32_e32 v20, 0x80000000, v20
	v_lshl_add_u32 v14, v14, 23, v21
	v_or3_b32 v10, v20, v14, v10
.LBB22_564:
	s_or_b64 exec, exec, s[6:7]
	s_movk_i32 s4, 0xff
	v_and_b32_sdwa v14, v11, s4 dst_sel:DWORD dst_unused:UNUSED_PAD src0_sel:WORD_1 src1_sel:DWORD
	s_movk_i32 s4, 0x7f
	v_cmp_lt_i16_e32 vcc, s4, v14
	s_mov_b64 s[4:5], 0
                                        ; implicit-def: $sgpr10
	s_and_saveexec_b64 s[6:7], vcc
	s_xor_b64 s[6:7], exec, s[6:7]
	s_cbranch_execnz .LBB22_2613
; %bb.565:
	s_or_saveexec_b64 s[6:7], s[6:7]
	v_mov_b32_e32 v20, s10
	s_xor_b64 exec, exec, s[6:7]
	s_cbranch_execnz .LBB22_2616
.LBB22_566:
	s_or_b64 exec, exec, s[6:7]
	s_and_saveexec_b64 s[6:7], s[4:5]
	s_cbranch_execz .LBB22_568
.LBB22_567:
	v_bfe_u32 v14, v11, 16, 3
	v_ffbh_u32_e32 v22, v14
	v_min_u32_e32 v22, 32, v22
	v_lshrrev_b32_e32 v20, 19, v11
	v_subrev_u32_e32 v23, 28, v22
	v_and_b32_e32 v20, 15, v20
	v_lshlrev_b32_sdwa v23, v23, v11 dst_sel:DWORD dst_unused:UNUSED_PAD src0_sel:DWORD src1_sel:WORD_1
	v_bfe_u32 v21, v11, 19, 4
	v_sub_u32_e32 v22, 29, v22
	v_and_b32_e32 v23, 7, v23
	v_cmp_eq_u16_e32 vcc, 0, v20
	v_cndmask_b32_e32 v14, v14, v23, vcc
	v_cndmask_b32_e32 v20, v21, v22, vcc
	v_lshlrev_b32_e32 v21, 8, v11
	v_mov_b32_e32 v22, 0x3b800000
	v_lshlrev_b32_e32 v14, 20, v14
	v_and_b32_e32 v21, 0x80000000, v21
	v_lshl_add_u32 v20, v20, 23, v22
	v_or3_b32 v20, v21, v20, v14
.LBB22_568:
	s_or_b64 exec, exec, s[6:7]
	s_nop 0
	v_mfma_f32_16x16x4f32 a[0:3], v10, v20, a[0:3]
	s_movk_i32 s4, 0x7f
	v_cmp_gt_i16_sdwa s[6:7], v15, s4 src0_sel:BYTE_3 src1_sel:DWORD
	s_mov_b64 s[4:5], 0
                                        ; implicit-def: $sgpr10
	s_and_saveexec_b64 s[8:9], s[6:7]
	s_xor_b64 s[6:7], exec, s[8:9]
	s_cbranch_execnz .LBB22_2617
; %bb.569:
	s_or_saveexec_b64 s[6:7], s[6:7]
	v_mov_b32_e32 v10, s10
	s_xor_b64 exec, exec, s[6:7]
	s_cbranch_execnz .LBB22_2620
.LBB22_570:
	s_or_b64 exec, exec, s[6:7]
	s_and_saveexec_b64 s[6:7], s[4:5]
	s_cbranch_execz .LBB22_572
.LBB22_571:
	v_bfe_u32 v10, v15, 24, 3
	v_ffbh_u32_e32 v22, v10
	v_min_u32_e32 v22, 32, v22
	v_lshrrev_b32_e32 v20, 27, v15
	v_subrev_u32_e32 v23, 28, v22
	v_and_b32_e32 v14, 0x80000000, v15
	v_and_b32_e32 v20, 15, v20
	v_bfe_u32 v21, v15, 27, 4
	v_lshlrev_b32_sdwa v15, v23, v15 dst_sel:DWORD dst_unused:UNUSED_PAD src0_sel:DWORD src1_sel:BYTE_3
	v_sub_u32_e32 v22, 29, v22
	v_and_b32_e32 v15, 7, v15
	v_cmp_eq_u16_e32 vcc, 0, v20
	v_cndmask_b32_e32 v10, v10, v15, vcc
	v_cndmask_b32_e32 v15, v21, v22, vcc
	v_mov_b32_e32 v20, 0x3b800000
	v_lshlrev_b32_e32 v10, 20, v10
	v_lshl_add_u32 v15, v15, 23, v20
	v_or3_b32 v10, v14, v15, v10
.LBB22_572:
	s_or_b64 exec, exec, s[6:7]
	s_movk_i32 s4, 0x7f
	v_cmp_gt_i16_sdwa s[6:7], v11, s4 src0_sel:BYTE_3 src1_sel:DWORD
	s_mov_b64 s[4:5], 0
                                        ; implicit-def: $sgpr10
	s_and_saveexec_b64 s[8:9], s[6:7]
	s_xor_b64 s[6:7], exec, s[8:9]
	s_cbranch_execnz .LBB22_2621
; %bb.573:
	s_or_saveexec_b64 s[6:7], s[6:7]
	v_mov_b32_e32 v14, s10
	s_xor_b64 exec, exec, s[6:7]
	s_cbranch_execnz .LBB22_2624
.LBB22_574:
	s_or_b64 exec, exec, s[6:7]
	s_and_saveexec_b64 s[6:7], s[4:5]
	s_cbranch_execz .LBB22_576
.LBB22_575:
	v_bfe_u32 v14, v11, 24, 3
	v_ffbh_u32_e32 v22, v14
	v_min_u32_e32 v22, 32, v22
	v_lshrrev_b32_e32 v20, 27, v11
	v_subrev_u32_e32 v23, 28, v22
	v_and_b32_e32 v15, 0x80000000, v11
	v_and_b32_e32 v20, 15, v20
	v_bfe_u32 v21, v11, 27, 4
	v_lshlrev_b32_sdwa v11, v23, v11 dst_sel:DWORD dst_unused:UNUSED_PAD src0_sel:DWORD src1_sel:BYTE_3
	v_sub_u32_e32 v22, 29, v22
	v_and_b32_e32 v11, 7, v11
	v_cmp_eq_u16_e32 vcc, 0, v20
	v_cndmask_b32_e32 v11, v14, v11, vcc
	v_cndmask_b32_e32 v14, v21, v22, vcc
	v_mov_b32_e32 v20, 0x3b800000
	v_lshlrev_b32_e32 v11, 20, v11
	v_lshl_add_u32 v14, v14, 23, v20
	v_or3_b32 v14, v15, v14, v11
.LBB22_576:
	s_or_b64 exec, exec, s[6:7]
	s_nop 0
	v_mfma_f32_16x16x4f32 a[0:3], v10, v14, a[0:3]
	s_movk_i32 s4, 0x7f
	v_cmp_gt_i16_sdwa s[6:7], v16, s4 src0_sel:BYTE_0 src1_sel:DWORD
	s_mov_b64 s[4:5], 0
                                        ; implicit-def: $sgpr10
	s_and_saveexec_b64 s[8:9], s[6:7]
	s_xor_b64 s[6:7], exec, s[8:9]
	s_cbranch_execnz .LBB22_2625
; %bb.577:
	s_or_saveexec_b64 s[6:7], s[6:7]
	v_mov_b32_e32 v10, s10
	s_xor_b64 exec, exec, s[6:7]
	s_cbranch_execnz .LBB22_2628
.LBB22_578:
	s_or_b64 exec, exec, s[6:7]
	s_and_saveexec_b64 s[6:7], s[4:5]
	s_cbranch_execz .LBB22_580
.LBB22_579:
	v_and_b32_e32 v10, 7, v16
	v_ffbh_u32_e32 v14, v10
	v_min_u32_e32 v14, 32, v14
	v_lshrrev_b16_e32 v11, 3, v16
	v_subrev_u32_e32 v15, 28, v14
	v_and_b32_e32 v11, 15, v11
	v_lshlrev_b32_e32 v15, v15, v16
	v_sub_u32_e32 v14, 29, v14
	v_and_b32_e32 v15, 7, v15
	v_cmp_eq_u16_e32 vcc, 0, v11
	v_cndmask_b32_e32 v10, v10, v15, vcc
	v_cndmask_b32_e32 v11, v11, v14, vcc
	v_lshlrev_b32_e32 v14, 24, v16
	v_mov_b32_e32 v15, 0x3b800000
	v_lshlrev_b32_e32 v10, 20, v10
	v_and_b32_e32 v14, 0x80000000, v14
	v_lshl_add_u32 v11, v11, 23, v15
	v_or3_b32 v10, v14, v11, v10
.LBB22_580:
	s_or_b64 exec, exec, s[6:7]
	s_movk_i32 s4, 0x7f
	v_cmp_gt_i16_sdwa s[6:7], v12, s4 src0_sel:BYTE_0 src1_sel:DWORD
	s_mov_b64 s[4:5], 0
                                        ; implicit-def: $sgpr10
	s_and_saveexec_b64 s[8:9], s[6:7]
	s_xor_b64 s[6:7], exec, s[8:9]
	s_cbranch_execnz .LBB22_2629
; %bb.581:
	s_or_saveexec_b64 s[6:7], s[6:7]
	v_mov_b32_e32 v11, s10
	s_xor_b64 exec, exec, s[6:7]
	s_cbranch_execnz .LBB22_2632
.LBB22_582:
	s_or_b64 exec, exec, s[6:7]
	s_and_saveexec_b64 s[6:7], s[4:5]
	s_cbranch_execz .LBB22_584
.LBB22_583:
	v_and_b32_e32 v11, 7, v12
	v_ffbh_u32_e32 v15, v11
	v_min_u32_e32 v15, 32, v15
	v_lshrrev_b16_e32 v14, 3, v12
	v_subrev_u32_e32 v20, 28, v15
	v_and_b32_e32 v14, 15, v14
	v_lshlrev_b32_e32 v20, v20, v12
	v_sub_u32_e32 v15, 29, v15
	v_and_b32_e32 v20, 7, v20
	v_cmp_eq_u16_e32 vcc, 0, v14
	v_cndmask_b32_e32 v11, v11, v20, vcc
	v_cndmask_b32_e32 v14, v14, v15, vcc
	v_lshlrev_b32_e32 v15, 24, v12
	v_mov_b32_e32 v20, 0x3b800000
	v_lshlrev_b32_e32 v11, 20, v11
	v_and_b32_e32 v15, 0x80000000, v15
	v_lshl_add_u32 v14, v14, 23, v20
	v_or3_b32 v11, v15, v14, v11
.LBB22_584:
	s_or_b64 exec, exec, s[6:7]
	s_nop 0
	v_mfma_f32_16x16x4f32 a[0:3], v10, v11, a[0:3]
	v_lshrrev_b32_e32 v11, 8, v16
	s_movk_i32 s4, 0x7f
	v_cmp_gt_i16_sdwa s[6:7], v11, s4 src0_sel:BYTE_0 src1_sel:DWORD
	s_mov_b64 s[4:5], 0
                                        ; implicit-def: $sgpr10
	s_and_saveexec_b64 s[8:9], s[6:7]
	s_xor_b64 s[6:7], exec, s[8:9]
	s_cbranch_execnz .LBB22_2633
; %bb.585:
	s_or_saveexec_b64 s[6:7], s[6:7]
	v_mov_b32_e32 v10, s10
	s_xor_b64 exec, exec, s[6:7]
	s_cbranch_execnz .LBB22_2636
.LBB22_586:
	s_or_b64 exec, exec, s[6:7]
	s_and_saveexec_b64 s[6:7], s[4:5]
	s_cbranch_execz .LBB22_588
.LBB22_587:
	v_bfe_u32 v10, v16, 8, 3
	v_ffbh_u32_e32 v15, v10
	v_min_u32_e32 v15, 32, v15
	v_lshrrev_b16_e32 v14, 3, v11
	v_subrev_u32_e32 v20, 28, v15
	v_and_b32_e32 v14, 15, v14
	v_lshlrev_b32_e32 v11, v20, v11
	v_sub_u32_e32 v15, 29, v15
	v_and_b32_e32 v11, 7, v11
	v_cmp_eq_u16_e32 vcc, 0, v14
	v_cndmask_b32_e32 v10, v10, v11, vcc
	v_cndmask_b32_e32 v11, v14, v15, vcc
	v_lshlrev_b32_e32 v14, 16, v16
	v_mov_b32_e32 v15, 0x3b800000
	v_lshlrev_b32_e32 v10, 20, v10
	v_and_b32_e32 v14, 0x80000000, v14
	v_lshl_add_u32 v11, v11, 23, v15
	v_or3_b32 v10, v14, v11, v10
.LBB22_588:
	s_or_b64 exec, exec, s[6:7]
	v_lshrrev_b32_e32 v11, 8, v12
	s_movk_i32 s4, 0x7f
	v_cmp_gt_i16_sdwa s[6:7], v11, s4 src0_sel:BYTE_0 src1_sel:DWORD
	s_mov_b64 s[4:5], 0
                                        ; implicit-def: $sgpr10
	s_and_saveexec_b64 s[8:9], s[6:7]
	s_xor_b64 s[6:7], exec, s[8:9]
	s_cbranch_execnz .LBB22_2637
; %bb.589:
	s_or_saveexec_b64 s[6:7], s[6:7]
	v_mov_b32_e32 v14, s10
	s_xor_b64 exec, exec, s[6:7]
	s_cbranch_execnz .LBB22_2640
.LBB22_590:
	s_or_b64 exec, exec, s[6:7]
	s_and_saveexec_b64 s[6:7], s[4:5]
	s_cbranch_execz .LBB22_592
.LBB22_591:
	v_bfe_u32 v14, v12, 8, 3
	v_ffbh_u32_e32 v20, v14
	v_min_u32_e32 v20, 32, v20
	v_lshrrev_b16_e32 v15, 3, v11
	v_subrev_u32_e32 v21, 28, v20
	v_and_b32_e32 v15, 15, v15
	v_lshlrev_b32_e32 v11, v21, v11
	v_sub_u32_e32 v20, 29, v20
	v_and_b32_e32 v11, 7, v11
	v_cmp_eq_u16_e32 vcc, 0, v15
	v_cndmask_b32_e32 v11, v14, v11, vcc
	v_cndmask_b32_e32 v14, v15, v20, vcc
	v_lshlrev_b32_e32 v15, 16, v12
	v_mov_b32_e32 v20, 0x3b800000
	v_lshlrev_b32_e32 v11, 20, v11
	v_and_b32_e32 v15, 0x80000000, v15
	v_lshl_add_u32 v14, v14, 23, v20
	v_or3_b32 v14, v15, v14, v11
.LBB22_592:
	s_or_b64 exec, exec, s[6:7]
	s_nop 0
	v_mfma_f32_16x16x4f32 a[0:3], v10, v14, a[0:3]
	s_movk_i32 s4, 0xff
	v_and_b32_sdwa v11, v16, s4 dst_sel:DWORD dst_unused:UNUSED_PAD src0_sel:WORD_1 src1_sel:DWORD
	s_movk_i32 s4, 0x7f
	v_cmp_lt_i16_e32 vcc, s4, v11
	s_mov_b64 s[4:5], 0
                                        ; implicit-def: $sgpr10
	s_and_saveexec_b64 s[6:7], vcc
	s_xor_b64 s[6:7], exec, s[6:7]
	s_cbranch_execnz .LBB22_2641
; %bb.593:
	s_or_saveexec_b64 s[6:7], s[6:7]
	v_mov_b32_e32 v10, s10
	s_xor_b64 exec, exec, s[6:7]
	s_cbranch_execnz .LBB22_2644
.LBB22_594:
	s_or_b64 exec, exec, s[6:7]
	s_and_saveexec_b64 s[6:7], s[4:5]
	s_cbranch_execz .LBB22_596
.LBB22_595:
	v_bfe_u32 v10, v16, 16, 3
	v_ffbh_u32_e32 v15, v10
	v_min_u32_e32 v15, 32, v15
	v_lshrrev_b32_e32 v11, 19, v16
	v_subrev_u32_e32 v20, 28, v15
	v_and_b32_e32 v11, 15, v11
	v_lshlrev_b32_sdwa v20, v20, v16 dst_sel:DWORD dst_unused:UNUSED_PAD src0_sel:DWORD src1_sel:WORD_1
	v_bfe_u32 v14, v16, 19, 4
	v_sub_u32_e32 v15, 29, v15
	v_and_b32_e32 v20, 7, v20
	v_cmp_eq_u16_e32 vcc, 0, v11
	v_cndmask_b32_e32 v10, v10, v20, vcc
	v_cndmask_b32_e32 v11, v14, v15, vcc
	v_lshlrev_b32_e32 v14, 8, v16
	v_mov_b32_e32 v15, 0x3b800000
	v_lshlrev_b32_e32 v10, 20, v10
	v_and_b32_e32 v14, 0x80000000, v14
	v_lshl_add_u32 v11, v11, 23, v15
	v_or3_b32 v10, v14, v11, v10
.LBB22_596:
	s_or_b64 exec, exec, s[6:7]
	s_movk_i32 s4, 0xff
	v_and_b32_sdwa v11, v12, s4 dst_sel:DWORD dst_unused:UNUSED_PAD src0_sel:WORD_1 src1_sel:DWORD
	s_movk_i32 s4, 0x7f
	v_cmp_lt_i16_e32 vcc, s4, v11
	s_mov_b64 s[4:5], 0
                                        ; implicit-def: $sgpr10
	s_and_saveexec_b64 s[6:7], vcc
	s_xor_b64 s[6:7], exec, s[6:7]
	s_cbranch_execnz .LBB22_2645
; %bb.597:
	s_or_saveexec_b64 s[6:7], s[6:7]
	v_mov_b32_e32 v14, s10
	s_xor_b64 exec, exec, s[6:7]
	s_cbranch_execnz .LBB22_2648
.LBB22_598:
	s_or_b64 exec, exec, s[6:7]
	s_and_saveexec_b64 s[6:7], s[4:5]
	s_cbranch_execz .LBB22_600
.LBB22_599:
	v_bfe_u32 v11, v12, 16, 3
	v_ffbh_u32_e32 v20, v11
	v_min_u32_e32 v20, 32, v20
	v_lshrrev_b32_e32 v14, 19, v12
	v_subrev_u32_e32 v21, 28, v20
	v_and_b32_e32 v14, 15, v14
	v_lshlrev_b32_sdwa v21, v21, v12 dst_sel:DWORD dst_unused:UNUSED_PAD src0_sel:DWORD src1_sel:WORD_1
	v_bfe_u32 v15, v12, 19, 4
	v_sub_u32_e32 v20, 29, v20
	v_and_b32_e32 v21, 7, v21
	v_cmp_eq_u16_e32 vcc, 0, v14
	v_cndmask_b32_e32 v11, v11, v21, vcc
	v_cndmask_b32_e32 v14, v15, v20, vcc
	v_lshlrev_b32_e32 v15, 8, v12
	v_mov_b32_e32 v20, 0x3b800000
	v_lshlrev_b32_e32 v11, 20, v11
	v_and_b32_e32 v15, 0x80000000, v15
	v_lshl_add_u32 v14, v14, 23, v20
	v_or3_b32 v14, v15, v14, v11
.LBB22_600:
	s_or_b64 exec, exec, s[6:7]
	s_nop 0
	v_mfma_f32_16x16x4f32 a[0:3], v10, v14, a[0:3]
	s_movk_i32 s4, 0x7f
	v_cmp_gt_i16_sdwa s[6:7], v16, s4 src0_sel:BYTE_3 src1_sel:DWORD
	s_mov_b64 s[4:5], 0
                                        ; implicit-def: $sgpr10
	s_and_saveexec_b64 s[8:9], s[6:7]
	s_xor_b64 s[6:7], exec, s[8:9]
	s_cbranch_execnz .LBB22_2649
; %bb.601:
	s_or_saveexec_b64 s[6:7], s[6:7]
	v_mov_b32_e32 v10, s10
	s_xor_b64 exec, exec, s[6:7]
	s_cbranch_execnz .LBB22_2652
.LBB22_602:
	s_or_b64 exec, exec, s[6:7]
	s_and_saveexec_b64 s[6:7], s[4:5]
	s_cbranch_execz .LBB22_604
.LBB22_603:
	v_bfe_u32 v10, v16, 24, 3
	v_ffbh_u32_e32 v20, v10
	v_min_u32_e32 v20, 32, v20
	v_lshrrev_b32_e32 v14, 27, v16
	v_subrev_u32_e32 v21, 28, v20
	v_and_b32_e32 v11, 0x80000000, v16
	v_and_b32_e32 v14, 15, v14
	v_bfe_u32 v15, v16, 27, 4
	v_lshlrev_b32_sdwa v16, v21, v16 dst_sel:DWORD dst_unused:UNUSED_PAD src0_sel:DWORD src1_sel:BYTE_3
	v_sub_u32_e32 v20, 29, v20
	v_and_b32_e32 v16, 7, v16
	v_cmp_eq_u16_e32 vcc, 0, v14
	v_cndmask_b32_e32 v10, v10, v16, vcc
	v_cndmask_b32_e32 v14, v15, v20, vcc
	v_mov_b32_e32 v15, 0x3b800000
	v_lshlrev_b32_e32 v10, 20, v10
	v_lshl_add_u32 v14, v14, 23, v15
	v_or3_b32 v10, v11, v14, v10
.LBB22_604:
	s_or_b64 exec, exec, s[6:7]
	s_movk_i32 s4, 0x7f
	v_cmp_gt_i16_sdwa s[6:7], v12, s4 src0_sel:BYTE_3 src1_sel:DWORD
	s_mov_b64 s[4:5], 0
                                        ; implicit-def: $sgpr10
	s_and_saveexec_b64 s[8:9], s[6:7]
	s_xor_b64 s[6:7], exec, s[8:9]
	s_cbranch_execnz .LBB22_2653
; %bb.605:
	s_or_saveexec_b64 s[6:7], s[6:7]
	v_mov_b32_e32 v11, s10
	s_xor_b64 exec, exec, s[6:7]
	s_cbranch_execnz .LBB22_2656
.LBB22_606:
	s_or_b64 exec, exec, s[6:7]
	s_and_saveexec_b64 s[6:7], s[4:5]
	s_cbranch_execz .LBB22_608
.LBB22_607:
	v_bfe_u32 v11, v12, 24, 3
	v_ffbh_u32_e32 v20, v11
	v_min_u32_e32 v20, 32, v20
	v_lshrrev_b32_e32 v15, 27, v12
	v_subrev_u32_e32 v21, 28, v20
	v_and_b32_e32 v14, 0x80000000, v12
	v_and_b32_e32 v15, 15, v15
	v_bfe_u32 v16, v12, 27, 4
	v_lshlrev_b32_sdwa v12, v21, v12 dst_sel:DWORD dst_unused:UNUSED_PAD src0_sel:DWORD src1_sel:BYTE_3
	v_sub_u32_e32 v20, 29, v20
	v_and_b32_e32 v12, 7, v12
	v_cmp_eq_u16_e32 vcc, 0, v15
	v_cndmask_b32_e32 v11, v11, v12, vcc
	v_cndmask_b32_e32 v12, v16, v20, vcc
	v_mov_b32_e32 v15, 0x3b800000
	v_lshlrev_b32_e32 v11, 20, v11
	v_lshl_add_u32 v12, v12, 23, v15
	v_or3_b32 v11, v14, v12, v11
.LBB22_608:
	s_or_b64 exec, exec, s[6:7]
	s_nop 0
	v_mfma_f32_16x16x4f32 a[0:3], v10, v11, a[0:3]
	s_movk_i32 s4, 0x7f
	v_cmp_gt_i16_sdwa s[6:7], v17, s4 src0_sel:BYTE_0 src1_sel:DWORD
	s_mov_b64 s[4:5], 0
                                        ; implicit-def: $sgpr10
	s_and_saveexec_b64 s[8:9], s[6:7]
	s_xor_b64 s[6:7], exec, s[8:9]
	s_cbranch_execnz .LBB22_2657
; %bb.609:
	s_or_saveexec_b64 s[6:7], s[6:7]
	v_mov_b32_e32 v10, s10
	s_xor_b64 exec, exec, s[6:7]
	s_cbranch_execnz .LBB22_2660
.LBB22_610:
	s_or_b64 exec, exec, s[6:7]
	s_and_saveexec_b64 s[6:7], s[4:5]
	s_cbranch_execz .LBB22_612
.LBB22_611:
	v_and_b32_e32 v10, 7, v17
	v_ffbh_u32_e32 v12, v10
	v_min_u32_e32 v12, 32, v12
	v_lshrrev_b16_e32 v11, 3, v17
	v_subrev_u32_e32 v14, 28, v12
	v_and_b32_e32 v11, 15, v11
	v_lshlrev_b32_e32 v14, v14, v17
	v_sub_u32_e32 v12, 29, v12
	v_and_b32_e32 v14, 7, v14
	v_cmp_eq_u16_e32 vcc, 0, v11
	v_cndmask_b32_e32 v10, v10, v14, vcc
	v_cndmask_b32_e32 v11, v11, v12, vcc
	v_lshlrev_b32_e32 v12, 24, v17
	v_mov_b32_e32 v14, 0x3b800000
	v_lshlrev_b32_e32 v10, 20, v10
	v_and_b32_e32 v12, 0x80000000, v12
	v_lshl_add_u32 v11, v11, 23, v14
	v_or3_b32 v10, v12, v11, v10
.LBB22_612:
	s_or_b64 exec, exec, s[6:7]
	s_movk_i32 s4, 0x7f
	v_cmp_gt_i16_sdwa s[6:7], v13, s4 src0_sel:BYTE_0 src1_sel:DWORD
	s_mov_b64 s[4:5], 0
                                        ; implicit-def: $sgpr10
	s_and_saveexec_b64 s[8:9], s[6:7]
	s_xor_b64 s[6:7], exec, s[8:9]
	s_cbranch_execnz .LBB22_2661
; %bb.613:
	s_or_saveexec_b64 s[6:7], s[6:7]
	v_mov_b32_e32 v11, s10
	s_xor_b64 exec, exec, s[6:7]
	s_cbranch_execnz .LBB22_2664
.LBB22_614:
	s_or_b64 exec, exec, s[6:7]
	s_and_saveexec_b64 s[6:7], s[4:5]
	s_cbranch_execz .LBB22_616
.LBB22_615:
	v_and_b32_e32 v11, 7, v13
	v_ffbh_u32_e32 v14, v11
	v_min_u32_e32 v14, 32, v14
	v_lshrrev_b16_e32 v12, 3, v13
	v_subrev_u32_e32 v15, 28, v14
	v_and_b32_e32 v12, 15, v12
	v_lshlrev_b32_e32 v15, v15, v13
	v_sub_u32_e32 v14, 29, v14
	v_and_b32_e32 v15, 7, v15
	v_cmp_eq_u16_e32 vcc, 0, v12
	v_cndmask_b32_e32 v11, v11, v15, vcc
	v_cndmask_b32_e32 v12, v12, v14, vcc
	v_lshlrev_b32_e32 v14, 24, v13
	v_mov_b32_e32 v15, 0x3b800000
	v_lshlrev_b32_e32 v11, 20, v11
	v_and_b32_e32 v14, 0x80000000, v14
	v_lshl_add_u32 v12, v12, 23, v15
	v_or3_b32 v11, v14, v12, v11
.LBB22_616:
	s_or_b64 exec, exec, s[6:7]
	s_nop 0
	v_mfma_f32_16x16x4f32 a[0:3], v10, v11, a[0:3]
	v_lshrrev_b32_e32 v11, 8, v17
	s_movk_i32 s4, 0x7f
	v_cmp_gt_i16_sdwa s[6:7], v11, s4 src0_sel:BYTE_0 src1_sel:DWORD
	s_mov_b64 s[4:5], 0
                                        ; implicit-def: $sgpr10
	s_and_saveexec_b64 s[8:9], s[6:7]
	s_xor_b64 s[6:7], exec, s[8:9]
	s_cbranch_execnz .LBB22_2665
; %bb.617:
	s_or_saveexec_b64 s[6:7], s[6:7]
	v_mov_b32_e32 v10, s10
	s_xor_b64 exec, exec, s[6:7]
	s_cbranch_execnz .LBB22_2668
.LBB22_618:
	s_or_b64 exec, exec, s[6:7]
	s_and_saveexec_b64 s[6:7], s[4:5]
	s_cbranch_execz .LBB22_620
.LBB22_619:
	v_bfe_u32 v10, v17, 8, 3
	v_ffbh_u32_e32 v14, v10
	v_min_u32_e32 v14, 32, v14
	v_lshrrev_b16_e32 v12, 3, v11
	v_subrev_u32_e32 v15, 28, v14
	v_and_b32_e32 v12, 15, v12
	v_lshlrev_b32_e32 v11, v15, v11
	v_sub_u32_e32 v14, 29, v14
	v_and_b32_e32 v11, 7, v11
	v_cmp_eq_u16_e32 vcc, 0, v12
	v_cndmask_b32_e32 v10, v10, v11, vcc
	v_cndmask_b32_e32 v11, v12, v14, vcc
	v_lshlrev_b32_e32 v12, 16, v17
	v_mov_b32_e32 v14, 0x3b800000
	v_lshlrev_b32_e32 v10, 20, v10
	v_and_b32_e32 v12, 0x80000000, v12
	v_lshl_add_u32 v11, v11, 23, v14
	v_or3_b32 v10, v12, v11, v10
.LBB22_620:
	s_or_b64 exec, exec, s[6:7]
	v_lshrrev_b32_e32 v11, 8, v13
	s_movk_i32 s4, 0x7f
	v_cmp_gt_i16_sdwa s[6:7], v11, s4 src0_sel:BYTE_0 src1_sel:DWORD
	s_mov_b64 s[4:5], 0
                                        ; implicit-def: $sgpr10
	s_and_saveexec_b64 s[8:9], s[6:7]
	s_xor_b64 s[6:7], exec, s[8:9]
	s_cbranch_execnz .LBB22_2669
; %bb.621:
	s_or_saveexec_b64 s[6:7], s[6:7]
	v_mov_b32_e32 v12, s10
	s_xor_b64 exec, exec, s[6:7]
	s_cbranch_execnz .LBB22_2672
.LBB22_622:
	s_or_b64 exec, exec, s[6:7]
	s_and_saveexec_b64 s[6:7], s[4:5]
	s_cbranch_execz .LBB22_624
.LBB22_623:
	v_bfe_u32 v12, v13, 8, 3
	v_ffbh_u32_e32 v15, v12
	v_min_u32_e32 v15, 32, v15
	v_lshrrev_b16_e32 v14, 3, v11
	v_subrev_u32_e32 v16, 28, v15
	v_and_b32_e32 v14, 15, v14
	v_lshlrev_b32_e32 v11, v16, v11
	v_sub_u32_e32 v15, 29, v15
	v_and_b32_e32 v11, 7, v11
	v_cmp_eq_u16_e32 vcc, 0, v14
	v_cndmask_b32_e32 v11, v12, v11, vcc
	v_cndmask_b32_e32 v12, v14, v15, vcc
	v_lshlrev_b32_e32 v14, 16, v13
	v_mov_b32_e32 v15, 0x3b800000
	v_lshlrev_b32_e32 v11, 20, v11
	v_and_b32_e32 v14, 0x80000000, v14
	v_lshl_add_u32 v12, v12, 23, v15
	v_or3_b32 v12, v14, v12, v11
.LBB22_624:
	s_or_b64 exec, exec, s[6:7]
	s_nop 0
	v_mfma_f32_16x16x4f32 a[0:3], v10, v12, a[0:3]
	s_movk_i32 s4, 0xff
	v_and_b32_sdwa v11, v17, s4 dst_sel:DWORD dst_unused:UNUSED_PAD src0_sel:WORD_1 src1_sel:DWORD
	s_movk_i32 s4, 0x7f
	v_cmp_lt_i16_e32 vcc, s4, v11
	s_mov_b64 s[4:5], 0
                                        ; implicit-def: $sgpr10
	s_and_saveexec_b64 s[6:7], vcc
	s_xor_b64 s[6:7], exec, s[6:7]
	s_cbranch_execnz .LBB22_2673
; %bb.625:
	s_or_saveexec_b64 s[6:7], s[6:7]
	v_mov_b32_e32 v10, s10
	s_xor_b64 exec, exec, s[6:7]
	s_cbranch_execnz .LBB22_2676
.LBB22_626:
	s_or_b64 exec, exec, s[6:7]
	s_and_saveexec_b64 s[6:7], s[4:5]
	s_cbranch_execz .LBB22_628
.LBB22_627:
	v_bfe_u32 v10, v17, 16, 3
	v_ffbh_u32_e32 v14, v10
	v_min_u32_e32 v14, 32, v14
	v_lshrrev_b32_e32 v11, 19, v17
	v_subrev_u32_e32 v15, 28, v14
	v_and_b32_e32 v11, 15, v11
	v_lshlrev_b32_sdwa v15, v15, v17 dst_sel:DWORD dst_unused:UNUSED_PAD src0_sel:DWORD src1_sel:WORD_1
	v_bfe_u32 v12, v17, 19, 4
	v_sub_u32_e32 v14, 29, v14
	v_and_b32_e32 v15, 7, v15
	v_cmp_eq_u16_e32 vcc, 0, v11
	v_cndmask_b32_e32 v10, v10, v15, vcc
	v_cndmask_b32_e32 v11, v12, v14, vcc
	v_lshlrev_b32_e32 v12, 8, v17
	v_mov_b32_e32 v14, 0x3b800000
	v_lshlrev_b32_e32 v10, 20, v10
	v_and_b32_e32 v12, 0x80000000, v12
	v_lshl_add_u32 v11, v11, 23, v14
	v_or3_b32 v10, v12, v11, v10
.LBB22_628:
	s_or_b64 exec, exec, s[6:7]
	s_movk_i32 s4, 0xff
	v_and_b32_sdwa v11, v13, s4 dst_sel:DWORD dst_unused:UNUSED_PAD src0_sel:WORD_1 src1_sel:DWORD
	s_movk_i32 s4, 0x7f
	v_cmp_lt_i16_e32 vcc, s4, v11
	s_mov_b64 s[4:5], 0
                                        ; implicit-def: $sgpr10
	s_and_saveexec_b64 s[6:7], vcc
	s_xor_b64 s[6:7], exec, s[6:7]
	s_cbranch_execnz .LBB22_2677
; %bb.629:
	s_or_saveexec_b64 s[6:7], s[6:7]
	v_mov_b32_e32 v12, s10
	s_xor_b64 exec, exec, s[6:7]
	s_cbranch_execnz .LBB22_2680
.LBB22_630:
	s_or_b64 exec, exec, s[6:7]
	s_and_saveexec_b64 s[6:7], s[4:5]
	s_cbranch_execz .LBB22_632
.LBB22_631:
	v_bfe_u32 v11, v13, 16, 3
	v_ffbh_u32_e32 v15, v11
	v_min_u32_e32 v15, 32, v15
	v_lshrrev_b32_e32 v12, 19, v13
	v_subrev_u32_e32 v16, 28, v15
	v_and_b32_e32 v12, 15, v12
	v_lshlrev_b32_sdwa v16, v16, v13 dst_sel:DWORD dst_unused:UNUSED_PAD src0_sel:DWORD src1_sel:WORD_1
	v_bfe_u32 v14, v13, 19, 4
	v_sub_u32_e32 v15, 29, v15
	v_and_b32_e32 v16, 7, v16
	v_cmp_eq_u16_e32 vcc, 0, v12
	v_cndmask_b32_e32 v11, v11, v16, vcc
	v_cndmask_b32_e32 v12, v14, v15, vcc
	v_lshlrev_b32_e32 v14, 8, v13
	v_mov_b32_e32 v15, 0x3b800000
	v_lshlrev_b32_e32 v11, 20, v11
	v_and_b32_e32 v14, 0x80000000, v14
	v_lshl_add_u32 v12, v12, 23, v15
	v_or3_b32 v12, v14, v12, v11
.LBB22_632:
	s_or_b64 exec, exec, s[6:7]
	s_nop 0
	v_mfma_f32_16x16x4f32 a[0:3], v10, v12, a[0:3]
	s_movk_i32 s4, 0x7f
	v_cmp_gt_i16_sdwa s[6:7], v17, s4 src0_sel:BYTE_3 src1_sel:DWORD
	s_mov_b64 s[4:5], 0
                                        ; implicit-def: $sgpr10
	s_and_saveexec_b64 s[8:9], s[6:7]
	s_xor_b64 s[6:7], exec, s[8:9]
	s_cbranch_execnz .LBB22_2681
; %bb.633:
	s_or_saveexec_b64 s[6:7], s[6:7]
	v_mov_b32_e32 v10, s10
	s_xor_b64 exec, exec, s[6:7]
	s_cbranch_execnz .LBB22_2684
.LBB22_634:
	s_or_b64 exec, exec, s[6:7]
	s_and_saveexec_b64 s[6:7], s[4:5]
	s_cbranch_execz .LBB22_636
.LBB22_635:
	v_bfe_u32 v10, v17, 24, 3
	v_ffbh_u32_e32 v15, v10
	v_min_u32_e32 v15, 32, v15
	v_lshrrev_b32_e32 v12, 27, v17
	v_subrev_u32_e32 v16, 28, v15
	v_and_b32_e32 v12, 15, v12
	v_lshlrev_b32_sdwa v16, v16, v17 dst_sel:DWORD dst_unused:UNUSED_PAD src0_sel:DWORD src1_sel:BYTE_3
	v_bfe_u32 v14, v17, 27, 4
	v_sub_u32_e32 v15, 29, v15
	v_and_b32_e32 v16, 7, v16
	v_cmp_eq_u16_e32 vcc, 0, v12
	v_cndmask_b32_e32 v10, v10, v16, vcc
	v_cndmask_b32_e32 v12, v14, v15, vcc
	v_mov_b32_e32 v14, 0x3b800000
	v_and_b32_e32 v11, 0x80000000, v17
	v_lshlrev_b32_e32 v10, 20, v10
	v_lshl_add_u32 v12, v12, 23, v14
	v_or3_b32 v10, v11, v12, v10
.LBB22_636:
	s_or_b64 exec, exec, s[6:7]
	s_movk_i32 s4, 0x7f
	v_cmp_gt_i16_sdwa s[6:7], v13, s4 src0_sel:BYTE_3 src1_sel:DWORD
	s_mov_b64 s[4:5], 0
                                        ; implicit-def: $sgpr10
	s_and_saveexec_b64 s[8:9], s[6:7]
	s_xor_b64 s[6:7], exec, s[8:9]
	s_cbranch_execnz .LBB22_2685
; %bb.637:
	s_or_saveexec_b64 s[6:7], s[6:7]
	v_mov_b32_e32 v11, s10
	s_xor_b64 exec, exec, s[6:7]
	s_cbranch_execnz .LBB22_2688
.LBB22_638:
	s_or_b64 exec, exec, s[6:7]
	s_and_saveexec_b64 s[6:7], s[4:5]
	s_cbranch_execz .LBB22_640
.LBB22_639:
	v_bfe_u32 v11, v13, 24, 3
	v_ffbh_u32_e32 v16, v11
	v_min_u32_e32 v16, 32, v16
	v_lshrrev_b32_e32 v14, 27, v13
	v_subrev_u32_e32 v17, 28, v16
	v_and_b32_e32 v12, 0x80000000, v13
	v_and_b32_e32 v14, 15, v14
	v_bfe_u32 v15, v13, 27, 4
	v_lshlrev_b32_sdwa v13, v17, v13 dst_sel:DWORD dst_unused:UNUSED_PAD src0_sel:DWORD src1_sel:BYTE_3
	v_sub_u32_e32 v16, 29, v16
	v_and_b32_e32 v13, 7, v13
	v_cmp_eq_u16_e32 vcc, 0, v14
	v_cndmask_b32_e32 v11, v11, v13, vcc
	v_cndmask_b32_e32 v13, v15, v16, vcc
	v_mov_b32_e32 v14, 0x3b800000
	v_lshlrev_b32_e32 v11, 20, v11
	v_lshl_add_u32 v13, v13, 23, v14
	v_or3_b32 v11, v12, v13, v11
.LBB22_640:
	s_or_b64 exec, exec, s[6:7]
	s_nop 0
	v_mfma_f32_16x16x4f32 a[0:3], v10, v11, a[0:3]
	s_movk_i32 s4, 0x7f
	v_cmp_gt_i16_sdwa s[6:7], v6, s4 src0_sel:BYTE_0 src1_sel:DWORD
	s_mov_b64 s[4:5], 0
                                        ; implicit-def: $sgpr10
	s_and_saveexec_b64 s[8:9], s[6:7]
	s_xor_b64 s[6:7], exec, s[8:9]
	s_cbranch_execnz .LBB22_2689
; %bb.641:
	s_or_saveexec_b64 s[6:7], s[6:7]
	v_mov_b32_e32 v10, s10
	s_xor_b64 exec, exec, s[6:7]
	s_cbranch_execnz .LBB22_2692
.LBB22_642:
	s_or_b64 exec, exec, s[6:7]
	s_and_saveexec_b64 s[6:7], s[4:5]
	s_cbranch_execz .LBB22_644
.LBB22_643:
	v_and_b32_e32 v10, 7, v6
	v_ffbh_u32_e32 v12, v10
	v_min_u32_e32 v12, 32, v12
	v_lshrrev_b16_e32 v11, 3, v6
	v_subrev_u32_e32 v13, 28, v12
	v_and_b32_e32 v11, 15, v11
	v_lshlrev_b32_e32 v13, v13, v6
	v_sub_u32_e32 v12, 29, v12
	v_and_b32_e32 v13, 7, v13
	v_cmp_eq_u16_e32 vcc, 0, v11
	v_cndmask_b32_e32 v10, v10, v13, vcc
	v_cndmask_b32_e32 v11, v11, v12, vcc
	v_lshlrev_b32_e32 v12, 24, v6
	v_mov_b32_e32 v13, 0x3b800000
	v_lshlrev_b32_e32 v10, 20, v10
	v_and_b32_e32 v12, 0x80000000, v12
	v_lshl_add_u32 v11, v11, 23, v13
	v_or3_b32 v10, v12, v11, v10
.LBB22_644:
	s_or_b64 exec, exec, s[6:7]
	s_movk_i32 s4, 0x7f
	v_cmp_gt_i16_sdwa s[6:7], v2, s4 src0_sel:BYTE_0 src1_sel:DWORD
	s_mov_b64 s[4:5], 0
                                        ; implicit-def: $sgpr10
	s_and_saveexec_b64 s[8:9], s[6:7]
	s_xor_b64 s[6:7], exec, s[8:9]
	s_cbranch_execnz .LBB22_2693
; %bb.645:
	s_or_saveexec_b64 s[6:7], s[6:7]
	v_mov_b32_e32 v11, s10
	s_xor_b64 exec, exec, s[6:7]
	s_cbranch_execnz .LBB22_2696
.LBB22_646:
	s_or_b64 exec, exec, s[6:7]
	s_and_saveexec_b64 s[6:7], s[4:5]
	s_cbranch_execz .LBB22_648
.LBB22_647:
	v_and_b32_e32 v11, 7, v2
	v_ffbh_u32_e32 v13, v11
	v_min_u32_e32 v13, 32, v13
	v_lshrrev_b16_e32 v12, 3, v2
	v_subrev_u32_e32 v14, 28, v13
	v_and_b32_e32 v12, 15, v12
	v_lshlrev_b32_e32 v14, v14, v2
	v_sub_u32_e32 v13, 29, v13
	v_and_b32_e32 v14, 7, v14
	v_cmp_eq_u16_e32 vcc, 0, v12
	v_cndmask_b32_e32 v11, v11, v14, vcc
	v_cndmask_b32_e32 v12, v12, v13, vcc
	v_lshlrev_b32_e32 v13, 24, v2
	v_mov_b32_e32 v14, 0x3b800000
	v_lshlrev_b32_e32 v11, 20, v11
	v_and_b32_e32 v13, 0x80000000, v13
	v_lshl_add_u32 v12, v12, 23, v14
	v_or3_b32 v11, v13, v12, v11
.LBB22_648:
	s_or_b64 exec, exec, s[6:7]
	s_nop 0
	v_mfma_f32_16x16x4f32 a[0:3], v10, v11, a[0:3]
	v_lshrrev_b32_e32 v11, 8, v6
	s_movk_i32 s4, 0x7f
	v_cmp_gt_i16_sdwa s[6:7], v11, s4 src0_sel:BYTE_0 src1_sel:DWORD
	s_mov_b64 s[4:5], 0
                                        ; implicit-def: $sgpr10
	s_and_saveexec_b64 s[8:9], s[6:7]
	s_xor_b64 s[6:7], exec, s[8:9]
	s_cbranch_execnz .LBB22_2697
; %bb.649:
	s_or_saveexec_b64 s[6:7], s[6:7]
	v_mov_b32_e32 v10, s10
	s_xor_b64 exec, exec, s[6:7]
	s_cbranch_execnz .LBB22_2700
.LBB22_650:
	s_or_b64 exec, exec, s[6:7]
	s_and_saveexec_b64 s[6:7], s[4:5]
	s_cbranch_execz .LBB22_652
.LBB22_651:
	v_bfe_u32 v10, v6, 8, 3
	v_ffbh_u32_e32 v13, v10
	v_min_u32_e32 v13, 32, v13
	v_lshrrev_b16_e32 v12, 3, v11
	v_subrev_u32_e32 v14, 28, v13
	v_and_b32_e32 v12, 15, v12
	v_lshlrev_b32_e32 v11, v14, v11
	v_sub_u32_e32 v13, 29, v13
	v_and_b32_e32 v11, 7, v11
	v_cmp_eq_u16_e32 vcc, 0, v12
	v_cndmask_b32_e32 v10, v10, v11, vcc
	v_cndmask_b32_e32 v11, v12, v13, vcc
	v_lshlrev_b32_e32 v12, 16, v6
	v_mov_b32_e32 v13, 0x3b800000
	v_lshlrev_b32_e32 v10, 20, v10
	v_and_b32_e32 v12, 0x80000000, v12
	v_lshl_add_u32 v11, v11, 23, v13
	v_or3_b32 v10, v12, v11, v10
.LBB22_652:
	s_or_b64 exec, exec, s[6:7]
	v_lshrrev_b32_e32 v11, 8, v2
	s_movk_i32 s4, 0x7f
	v_cmp_gt_i16_sdwa s[6:7], v11, s4 src0_sel:BYTE_0 src1_sel:DWORD
	s_mov_b64 s[4:5], 0
                                        ; implicit-def: $sgpr10
	s_and_saveexec_b64 s[8:9], s[6:7]
	s_xor_b64 s[6:7], exec, s[8:9]
	s_cbranch_execnz .LBB22_2701
; %bb.653:
	s_or_saveexec_b64 s[6:7], s[6:7]
	v_mov_b32_e32 v12, s10
	s_xor_b64 exec, exec, s[6:7]
	s_cbranch_execnz .LBB22_2704
.LBB22_654:
	s_or_b64 exec, exec, s[6:7]
	s_and_saveexec_b64 s[6:7], s[4:5]
	s_cbranch_execz .LBB22_656
.LBB22_655:
	v_bfe_u32 v12, v2, 8, 3
	v_ffbh_u32_e32 v14, v12
	v_min_u32_e32 v14, 32, v14
	v_lshrrev_b16_e32 v13, 3, v11
	v_subrev_u32_e32 v15, 28, v14
	v_and_b32_e32 v13, 15, v13
	v_lshlrev_b32_e32 v11, v15, v11
	v_sub_u32_e32 v14, 29, v14
	v_and_b32_e32 v11, 7, v11
	v_cmp_eq_u16_e32 vcc, 0, v13
	v_cndmask_b32_e32 v11, v12, v11, vcc
	v_cndmask_b32_e32 v12, v13, v14, vcc
	v_lshlrev_b32_e32 v13, 16, v2
	v_mov_b32_e32 v14, 0x3b800000
	v_lshlrev_b32_e32 v11, 20, v11
	v_and_b32_e32 v13, 0x80000000, v13
	v_lshl_add_u32 v12, v12, 23, v14
	v_or3_b32 v12, v13, v12, v11
.LBB22_656:
	s_or_b64 exec, exec, s[6:7]
	s_nop 0
	v_mfma_f32_16x16x4f32 a[0:3], v10, v12, a[0:3]
	s_movk_i32 s4, 0xff
	v_and_b32_sdwa v11, v6, s4 dst_sel:DWORD dst_unused:UNUSED_PAD src0_sel:WORD_1 src1_sel:DWORD
	s_movk_i32 s4, 0x7f
	v_cmp_lt_i16_e32 vcc, s4, v11
	s_mov_b64 s[4:5], 0
                                        ; implicit-def: $sgpr10
	s_and_saveexec_b64 s[6:7], vcc
	s_xor_b64 s[6:7], exec, s[6:7]
	s_cbranch_execnz .LBB22_2705
; %bb.657:
	s_or_saveexec_b64 s[6:7], s[6:7]
	v_mov_b32_e32 v10, s10
	s_xor_b64 exec, exec, s[6:7]
	s_cbranch_execnz .LBB22_2708
.LBB22_658:
	s_or_b64 exec, exec, s[6:7]
	s_and_saveexec_b64 s[6:7], s[4:5]
	s_cbranch_execz .LBB22_660
.LBB22_659:
	v_bfe_u32 v10, v6, 16, 3
	v_ffbh_u32_e32 v13, v10
	v_min_u32_e32 v13, 32, v13
	v_lshrrev_b32_e32 v11, 19, v6
	v_subrev_u32_e32 v14, 28, v13
	v_and_b32_e32 v11, 15, v11
	v_lshlrev_b32_sdwa v14, v14, v6 dst_sel:DWORD dst_unused:UNUSED_PAD src0_sel:DWORD src1_sel:WORD_1
	v_bfe_u32 v12, v6, 19, 4
	v_sub_u32_e32 v13, 29, v13
	v_and_b32_e32 v14, 7, v14
	v_cmp_eq_u16_e32 vcc, 0, v11
	v_cndmask_b32_e32 v10, v10, v14, vcc
	v_cndmask_b32_e32 v11, v12, v13, vcc
	v_lshlrev_b32_e32 v12, 8, v6
	v_mov_b32_e32 v13, 0x3b800000
	v_lshlrev_b32_e32 v10, 20, v10
	v_and_b32_e32 v12, 0x80000000, v12
	v_lshl_add_u32 v11, v11, 23, v13
	v_or3_b32 v10, v12, v11, v10
.LBB22_660:
	s_or_b64 exec, exec, s[6:7]
	s_movk_i32 s4, 0xff
	v_and_b32_sdwa v11, v2, s4 dst_sel:DWORD dst_unused:UNUSED_PAD src0_sel:WORD_1 src1_sel:DWORD
	s_movk_i32 s4, 0x7f
	v_cmp_lt_i16_e32 vcc, s4, v11
	s_mov_b64 s[4:5], 0
                                        ; implicit-def: $sgpr10
	s_and_saveexec_b64 s[6:7], vcc
	s_xor_b64 s[6:7], exec, s[6:7]
	s_cbranch_execnz .LBB22_2709
; %bb.661:
	s_or_saveexec_b64 s[6:7], s[6:7]
	v_mov_b32_e32 v12, s10
	s_xor_b64 exec, exec, s[6:7]
	s_cbranch_execnz .LBB22_2712
.LBB22_662:
	s_or_b64 exec, exec, s[6:7]
	s_and_saveexec_b64 s[6:7], s[4:5]
	s_cbranch_execz .LBB22_664
.LBB22_663:
	v_bfe_u32 v11, v2, 16, 3
	v_ffbh_u32_e32 v14, v11
	v_min_u32_e32 v14, 32, v14
	v_lshrrev_b32_e32 v12, 19, v2
	v_subrev_u32_e32 v15, 28, v14
	v_and_b32_e32 v12, 15, v12
	v_lshlrev_b32_sdwa v15, v15, v2 dst_sel:DWORD dst_unused:UNUSED_PAD src0_sel:DWORD src1_sel:WORD_1
	v_bfe_u32 v13, v2, 19, 4
	v_sub_u32_e32 v14, 29, v14
	v_and_b32_e32 v15, 7, v15
	v_cmp_eq_u16_e32 vcc, 0, v12
	v_cndmask_b32_e32 v11, v11, v15, vcc
	v_cndmask_b32_e32 v12, v13, v14, vcc
	v_lshlrev_b32_e32 v13, 8, v2
	v_mov_b32_e32 v14, 0x3b800000
	v_lshlrev_b32_e32 v11, 20, v11
	v_and_b32_e32 v13, 0x80000000, v13
	v_lshl_add_u32 v12, v12, 23, v14
	v_or3_b32 v12, v13, v12, v11
.LBB22_664:
	s_or_b64 exec, exec, s[6:7]
	s_nop 0
	v_mfma_f32_16x16x4f32 a[0:3], v10, v12, a[0:3]
	s_movk_i32 s4, 0x7f
	v_cmp_gt_i16_sdwa s[6:7], v6, s4 src0_sel:BYTE_3 src1_sel:DWORD
	s_mov_b64 s[4:5], 0
                                        ; implicit-def: $sgpr10
	s_and_saveexec_b64 s[8:9], s[6:7]
	s_xor_b64 s[6:7], exec, s[8:9]
	s_cbranch_execnz .LBB22_2713
; %bb.665:
	s_or_saveexec_b64 s[6:7], s[6:7]
	v_mov_b32_e32 v10, s10
	s_xor_b64 exec, exec, s[6:7]
	s_cbranch_execnz .LBB22_2716
.LBB22_666:
	s_or_b64 exec, exec, s[6:7]
	s_and_saveexec_b64 s[6:7], s[4:5]
	s_cbranch_execz .LBB22_668
.LBB22_667:
	v_bfe_u32 v10, v6, 24, 3
	v_ffbh_u32_e32 v14, v10
	v_min_u32_e32 v14, 32, v14
	v_lshrrev_b32_e32 v12, 27, v6
	v_subrev_u32_e32 v15, 28, v14
	v_and_b32_e32 v11, 0x80000000, v6
	v_and_b32_e32 v12, 15, v12
	v_bfe_u32 v13, v6, 27, 4
	v_lshlrev_b32_sdwa v6, v15, v6 dst_sel:DWORD dst_unused:UNUSED_PAD src0_sel:DWORD src1_sel:BYTE_3
	v_sub_u32_e32 v14, 29, v14
	v_and_b32_e32 v6, 7, v6
	v_cmp_eq_u16_e32 vcc, 0, v12
	v_cndmask_b32_e32 v6, v10, v6, vcc
	v_cndmask_b32_e32 v10, v13, v14, vcc
	v_mov_b32_e32 v12, 0x3b800000
	v_lshlrev_b32_e32 v6, 20, v6
	v_lshl_add_u32 v10, v10, 23, v12
	v_or3_b32 v10, v11, v10, v6
.LBB22_668:
	s_or_b64 exec, exec, s[6:7]
	s_movk_i32 s4, 0x7f
	v_cmp_gt_i16_sdwa s[6:7], v2, s4 src0_sel:BYTE_3 src1_sel:DWORD
	s_mov_b64 s[4:5], 0
                                        ; implicit-def: $sgpr10
	s_and_saveexec_b64 s[8:9], s[6:7]
	s_xor_b64 s[6:7], exec, s[8:9]
	s_cbranch_execnz .LBB22_2717
; %bb.669:
	s_or_saveexec_b64 s[6:7], s[6:7]
	v_mov_b32_e32 v6, s10
	s_xor_b64 exec, exec, s[6:7]
	s_cbranch_execnz .LBB22_2720
.LBB22_670:
	s_or_b64 exec, exec, s[6:7]
	s_and_saveexec_b64 s[6:7], s[4:5]
	s_cbranch_execz .LBB22_672
.LBB22_671:
	v_bfe_u32 v6, v2, 24, 3
	v_ffbh_u32_e32 v14, v6
	v_min_u32_e32 v14, 32, v14
	v_lshrrev_b32_e32 v12, 27, v2
	v_subrev_u32_e32 v15, 28, v14
	v_and_b32_e32 v11, 0x80000000, v2
	v_and_b32_e32 v12, 15, v12
	v_bfe_u32 v13, v2, 27, 4
	v_lshlrev_b32_sdwa v2, v15, v2 dst_sel:DWORD dst_unused:UNUSED_PAD src0_sel:DWORD src1_sel:BYTE_3
	v_sub_u32_e32 v14, 29, v14
	v_and_b32_e32 v2, 7, v2
	v_cmp_eq_u16_e32 vcc, 0, v12
	v_cndmask_b32_e32 v2, v6, v2, vcc
	v_cndmask_b32_e32 v6, v13, v14, vcc
	v_mov_b32_e32 v12, 0x3b800000
	v_lshlrev_b32_e32 v2, 20, v2
	v_lshl_add_u32 v6, v6, 23, v12
	v_or3_b32 v6, v11, v6, v2
.LBB22_672:
	s_or_b64 exec, exec, s[6:7]
	s_nop 0
	v_mfma_f32_16x16x4f32 a[0:3], v10, v6, a[0:3]
	s_movk_i32 s4, 0x7f
	v_cmp_gt_i16_sdwa s[6:7], v7, s4 src0_sel:BYTE_0 src1_sel:DWORD
	s_mov_b64 s[4:5], 0
                                        ; implicit-def: $sgpr10
	s_and_saveexec_b64 s[8:9], s[6:7]
	s_xor_b64 s[6:7], exec, s[8:9]
	s_cbranch_execnz .LBB22_2721
; %bb.673:
	s_or_saveexec_b64 s[6:7], s[6:7]
	v_mov_b32_e32 v2, s10
	s_xor_b64 exec, exec, s[6:7]
	s_cbranch_execnz .LBB22_2724
.LBB22_674:
	s_or_b64 exec, exec, s[6:7]
	s_and_saveexec_b64 s[6:7], s[4:5]
	s_cbranch_execz .LBB22_676
.LBB22_675:
	v_and_b32_e32 v2, 7, v7
	v_ffbh_u32_e32 v10, v2
	v_min_u32_e32 v10, 32, v10
	v_lshrrev_b16_e32 v6, 3, v7
	v_subrev_u32_e32 v11, 28, v10
	v_and_b32_e32 v6, 15, v6
	v_lshlrev_b32_e32 v11, v11, v7
	v_sub_u32_e32 v10, 29, v10
	v_and_b32_e32 v11, 7, v11
	v_cmp_eq_u16_e32 vcc, 0, v6
	v_cndmask_b32_e32 v2, v2, v11, vcc
	v_cndmask_b32_e32 v6, v6, v10, vcc
	v_lshlrev_b32_e32 v10, 24, v7
	v_mov_b32_e32 v11, 0x3b800000
	v_lshlrev_b32_e32 v2, 20, v2
	v_and_b32_e32 v10, 0x80000000, v10
	v_lshl_add_u32 v6, v6, 23, v11
	v_or3_b32 v2, v10, v6, v2
.LBB22_676:
	s_or_b64 exec, exec, s[6:7]
	s_movk_i32 s4, 0x7f
	v_cmp_gt_i16_sdwa s[6:7], v3, s4 src0_sel:BYTE_0 src1_sel:DWORD
	s_mov_b64 s[4:5], 0
                                        ; implicit-def: $sgpr10
	s_and_saveexec_b64 s[8:9], s[6:7]
	s_xor_b64 s[6:7], exec, s[8:9]
	s_cbranch_execnz .LBB22_2725
; %bb.677:
	s_or_saveexec_b64 s[6:7], s[6:7]
	v_mov_b32_e32 v6, s10
	s_xor_b64 exec, exec, s[6:7]
	s_cbranch_execnz .LBB22_2728
.LBB22_678:
	s_or_b64 exec, exec, s[6:7]
	s_and_saveexec_b64 s[6:7], s[4:5]
	s_cbranch_execz .LBB22_680
.LBB22_679:
	v_and_b32_e32 v6, 7, v3
	v_ffbh_u32_e32 v11, v6
	v_min_u32_e32 v11, 32, v11
	v_lshrrev_b16_e32 v10, 3, v3
	v_subrev_u32_e32 v12, 28, v11
	v_and_b32_e32 v10, 15, v10
	v_lshlrev_b32_e32 v12, v12, v3
	v_sub_u32_e32 v11, 29, v11
	v_and_b32_e32 v12, 7, v12
	v_cmp_eq_u16_e32 vcc, 0, v10
	v_cndmask_b32_e32 v6, v6, v12, vcc
	v_cndmask_b32_e32 v10, v10, v11, vcc
	v_lshlrev_b32_e32 v11, 24, v3
	v_mov_b32_e32 v12, 0x3b800000
	v_lshlrev_b32_e32 v6, 20, v6
	v_and_b32_e32 v11, 0x80000000, v11
	v_lshl_add_u32 v10, v10, 23, v12
	v_or3_b32 v6, v11, v10, v6
.LBB22_680:
	s_or_b64 exec, exec, s[6:7]
	s_nop 0
	v_mfma_f32_16x16x4f32 a[0:3], v2, v6, a[0:3]
	v_lshrrev_b32_e32 v6, 8, v7
	s_movk_i32 s4, 0x7f
	v_cmp_gt_i16_sdwa s[6:7], v6, s4 src0_sel:BYTE_0 src1_sel:DWORD
	s_mov_b64 s[4:5], 0
                                        ; implicit-def: $sgpr10
	s_and_saveexec_b64 s[8:9], s[6:7]
	s_xor_b64 s[6:7], exec, s[8:9]
	s_cbranch_execnz .LBB22_2729
; %bb.681:
	s_or_saveexec_b64 s[6:7], s[6:7]
	v_mov_b32_e32 v2, s10
	s_xor_b64 exec, exec, s[6:7]
	s_cbranch_execnz .LBB22_2732
.LBB22_682:
	s_or_b64 exec, exec, s[6:7]
	s_and_saveexec_b64 s[6:7], s[4:5]
	s_cbranch_execz .LBB22_684
.LBB22_683:
	v_bfe_u32 v2, v7, 8, 3
	v_ffbh_u32_e32 v11, v2
	v_min_u32_e32 v11, 32, v11
	v_lshrrev_b16_e32 v10, 3, v6
	v_subrev_u32_e32 v12, 28, v11
	v_and_b32_e32 v10, 15, v10
	v_lshlrev_b32_e32 v6, v12, v6
	v_sub_u32_e32 v11, 29, v11
	v_and_b32_e32 v6, 7, v6
	v_cmp_eq_u16_e32 vcc, 0, v10
	v_cndmask_b32_e32 v2, v2, v6, vcc
	v_cndmask_b32_e32 v6, v10, v11, vcc
	v_lshlrev_b32_e32 v10, 16, v7
	v_mov_b32_e32 v11, 0x3b800000
	v_lshlrev_b32_e32 v2, 20, v2
	v_and_b32_e32 v10, 0x80000000, v10
	v_lshl_add_u32 v6, v6, 23, v11
	v_or3_b32 v2, v10, v6, v2
.LBB22_684:
	s_or_b64 exec, exec, s[6:7]
	v_lshrrev_b32_e32 v6, 8, v3
	s_movk_i32 s4, 0x7f
	v_cmp_gt_i16_sdwa s[6:7], v6, s4 src0_sel:BYTE_0 src1_sel:DWORD
	s_mov_b64 s[4:5], 0
                                        ; implicit-def: $sgpr10
	s_and_saveexec_b64 s[8:9], s[6:7]
	s_xor_b64 s[6:7], exec, s[8:9]
	s_cbranch_execnz .LBB22_2733
; %bb.685:
	s_or_saveexec_b64 s[6:7], s[6:7]
	v_mov_b32_e32 v10, s10
	s_xor_b64 exec, exec, s[6:7]
	s_cbranch_execnz .LBB22_2736
.LBB22_686:
	s_or_b64 exec, exec, s[6:7]
	s_and_saveexec_b64 s[6:7], s[4:5]
	s_cbranch_execz .LBB22_688
.LBB22_687:
	v_bfe_u32 v10, v3, 8, 3
	v_ffbh_u32_e32 v12, v10
	v_min_u32_e32 v12, 32, v12
	v_lshrrev_b16_e32 v11, 3, v6
	v_subrev_u32_e32 v13, 28, v12
	v_and_b32_e32 v11, 15, v11
	v_lshlrev_b32_e32 v6, v13, v6
	v_sub_u32_e32 v12, 29, v12
	v_and_b32_e32 v6, 7, v6
	v_cmp_eq_u16_e32 vcc, 0, v11
	v_cndmask_b32_e32 v6, v10, v6, vcc
	v_cndmask_b32_e32 v10, v11, v12, vcc
	v_lshlrev_b32_e32 v11, 16, v3
	v_mov_b32_e32 v12, 0x3b800000
	v_lshlrev_b32_e32 v6, 20, v6
	v_and_b32_e32 v11, 0x80000000, v11
	v_lshl_add_u32 v10, v10, 23, v12
	v_or3_b32 v10, v11, v10, v6
.LBB22_688:
	s_or_b64 exec, exec, s[6:7]
	s_nop 0
	v_mfma_f32_16x16x4f32 a[0:3], v2, v10, a[0:3]
	s_movk_i32 s4, 0xff
	v_and_b32_sdwa v6, v7, s4 dst_sel:DWORD dst_unused:UNUSED_PAD src0_sel:WORD_1 src1_sel:DWORD
	s_movk_i32 s4, 0x7f
	v_cmp_lt_i16_e32 vcc, s4, v6
	s_mov_b64 s[4:5], 0
                                        ; implicit-def: $sgpr10
	s_and_saveexec_b64 s[6:7], vcc
	s_xor_b64 s[6:7], exec, s[6:7]
	s_cbranch_execnz .LBB22_2737
; %bb.689:
	s_or_saveexec_b64 s[6:7], s[6:7]
	v_mov_b32_e32 v2, s10
	s_xor_b64 exec, exec, s[6:7]
	s_cbranch_execnz .LBB22_2740
.LBB22_690:
	s_or_b64 exec, exec, s[6:7]
	s_and_saveexec_b64 s[6:7], s[4:5]
	s_cbranch_execz .LBB22_692
.LBB22_691:
	v_bfe_u32 v2, v7, 16, 3
	v_ffbh_u32_e32 v11, v2
	v_min_u32_e32 v11, 32, v11
	v_lshrrev_b32_e32 v6, 19, v7
	v_subrev_u32_e32 v12, 28, v11
	v_and_b32_e32 v6, 15, v6
	v_lshlrev_b32_sdwa v12, v12, v7 dst_sel:DWORD dst_unused:UNUSED_PAD src0_sel:DWORD src1_sel:WORD_1
	v_bfe_u32 v10, v7, 19, 4
	v_sub_u32_e32 v11, 29, v11
	v_and_b32_e32 v12, 7, v12
	v_cmp_eq_u16_e32 vcc, 0, v6
	v_cndmask_b32_e32 v2, v2, v12, vcc
	v_cndmask_b32_e32 v6, v10, v11, vcc
	v_lshlrev_b32_e32 v10, 8, v7
	v_mov_b32_e32 v11, 0x3b800000
	v_lshlrev_b32_e32 v2, 20, v2
	v_and_b32_e32 v10, 0x80000000, v10
	v_lshl_add_u32 v6, v6, 23, v11
	v_or3_b32 v2, v10, v6, v2
.LBB22_692:
	s_or_b64 exec, exec, s[6:7]
	s_movk_i32 s4, 0xff
	v_and_b32_sdwa v6, v3, s4 dst_sel:DWORD dst_unused:UNUSED_PAD src0_sel:WORD_1 src1_sel:DWORD
	s_movk_i32 s4, 0x7f
	v_cmp_lt_i16_e32 vcc, s4, v6
	s_mov_b64 s[4:5], 0
                                        ; implicit-def: $sgpr10
	s_and_saveexec_b64 s[6:7], vcc
	s_xor_b64 s[6:7], exec, s[6:7]
	s_cbranch_execnz .LBB22_2741
; %bb.693:
	s_or_saveexec_b64 s[6:7], s[6:7]
	v_mov_b32_e32 v10, s10
	s_xor_b64 exec, exec, s[6:7]
	s_cbranch_execnz .LBB22_2744
.LBB22_694:
	s_or_b64 exec, exec, s[6:7]
	s_and_saveexec_b64 s[6:7], s[4:5]
	s_cbranch_execz .LBB22_696
.LBB22_695:
	v_bfe_u32 v6, v3, 16, 3
	v_ffbh_u32_e32 v12, v6
	v_min_u32_e32 v12, 32, v12
	v_lshrrev_b32_e32 v10, 19, v3
	v_subrev_u32_e32 v13, 28, v12
	v_and_b32_e32 v10, 15, v10
	v_lshlrev_b32_sdwa v13, v13, v3 dst_sel:DWORD dst_unused:UNUSED_PAD src0_sel:DWORD src1_sel:WORD_1
	v_bfe_u32 v11, v3, 19, 4
	v_sub_u32_e32 v12, 29, v12
	v_and_b32_e32 v13, 7, v13
	v_cmp_eq_u16_e32 vcc, 0, v10
	v_cndmask_b32_e32 v6, v6, v13, vcc
	v_cndmask_b32_e32 v10, v11, v12, vcc
	v_lshlrev_b32_e32 v11, 8, v3
	v_mov_b32_e32 v12, 0x3b800000
	v_lshlrev_b32_e32 v6, 20, v6
	v_and_b32_e32 v11, 0x80000000, v11
	v_lshl_add_u32 v10, v10, 23, v12
	v_or3_b32 v10, v11, v10, v6
.LBB22_696:
	s_or_b64 exec, exec, s[6:7]
	s_nop 0
	v_mfma_f32_16x16x4f32 a[0:3], v2, v10, a[0:3]
	s_movk_i32 s4, 0x7f
	v_cmp_gt_i16_sdwa s[6:7], v7, s4 src0_sel:BYTE_3 src1_sel:DWORD
	s_mov_b64 s[4:5], 0
                                        ; implicit-def: $sgpr10
	s_and_saveexec_b64 s[8:9], s[6:7]
	s_xor_b64 s[6:7], exec, s[8:9]
	s_cbranch_execnz .LBB22_2745
; %bb.697:
	s_or_saveexec_b64 s[6:7], s[6:7]
	v_mov_b32_e32 v2, s10
	s_xor_b64 exec, exec, s[6:7]
	s_cbranch_execnz .LBB22_2748
.LBB22_698:
	s_or_b64 exec, exec, s[6:7]
	s_and_saveexec_b64 s[6:7], s[4:5]
	s_cbranch_execz .LBB22_700
.LBB22_699:
	v_bfe_u32 v2, v7, 24, 3
	v_ffbh_u32_e32 v12, v2
	v_min_u32_e32 v12, 32, v12
	v_lshrrev_b32_e32 v10, 27, v7
	v_subrev_u32_e32 v13, 28, v12
	v_and_b32_e32 v6, 0x80000000, v7
	v_and_b32_e32 v10, 15, v10
	v_bfe_u32 v11, v7, 27, 4
	v_lshlrev_b32_sdwa v7, v13, v7 dst_sel:DWORD dst_unused:UNUSED_PAD src0_sel:DWORD src1_sel:BYTE_3
	v_sub_u32_e32 v12, 29, v12
	v_and_b32_e32 v7, 7, v7
	v_cmp_eq_u16_e32 vcc, 0, v10
	v_cndmask_b32_e32 v2, v2, v7, vcc
	v_cndmask_b32_e32 v7, v11, v12, vcc
	v_mov_b32_e32 v10, 0x3b800000
	v_lshlrev_b32_e32 v2, 20, v2
	v_lshl_add_u32 v7, v7, 23, v10
	v_or3_b32 v2, v6, v7, v2
.LBB22_700:
	s_or_b64 exec, exec, s[6:7]
	s_movk_i32 s4, 0x7f
	v_cmp_gt_i16_sdwa s[6:7], v3, s4 src0_sel:BYTE_3 src1_sel:DWORD
	s_mov_b64 s[4:5], 0
                                        ; implicit-def: $sgpr10
	s_and_saveexec_b64 s[8:9], s[6:7]
	s_xor_b64 s[6:7], exec, s[8:9]
	s_cbranch_execnz .LBB22_2749
; %bb.701:
	s_or_saveexec_b64 s[6:7], s[6:7]
	v_mov_b32_e32 v6, s10
	s_xor_b64 exec, exec, s[6:7]
	s_cbranch_execnz .LBB22_2752
.LBB22_702:
	s_or_b64 exec, exec, s[6:7]
	s_and_saveexec_b64 s[6:7], s[4:5]
	s_cbranch_execz .LBB22_704
.LBB22_703:
	v_bfe_u32 v6, v3, 24, 3
	v_ffbh_u32_e32 v12, v6
	v_min_u32_e32 v12, 32, v12
	v_lshrrev_b32_e32 v10, 27, v3
	v_subrev_u32_e32 v13, 28, v12
	v_and_b32_e32 v7, 0x80000000, v3
	v_and_b32_e32 v10, 15, v10
	v_bfe_u32 v11, v3, 27, 4
	v_lshlrev_b32_sdwa v3, v13, v3 dst_sel:DWORD dst_unused:UNUSED_PAD src0_sel:DWORD src1_sel:BYTE_3
	v_sub_u32_e32 v12, 29, v12
	v_and_b32_e32 v3, 7, v3
	v_cmp_eq_u16_e32 vcc, 0, v10
	v_cndmask_b32_e32 v3, v6, v3, vcc
	v_cndmask_b32_e32 v6, v11, v12, vcc
	v_mov_b32_e32 v10, 0x3b800000
	v_lshlrev_b32_e32 v3, 20, v3
	v_lshl_add_u32 v6, v6, 23, v10
	v_or3_b32 v6, v7, v6, v3
.LBB22_704:
	s_or_b64 exec, exec, s[6:7]
	s_nop 0
	v_mfma_f32_16x16x4f32 a[0:3], v2, v6, a[0:3]
	s_movk_i32 s4, 0x7f
	v_cmp_gt_i16_sdwa s[6:7], v8, s4 src0_sel:BYTE_0 src1_sel:DWORD
	s_mov_b64 s[4:5], 0
                                        ; implicit-def: $sgpr10
	s_and_saveexec_b64 s[8:9], s[6:7]
	s_xor_b64 s[6:7], exec, s[8:9]
	s_cbranch_execnz .LBB22_2753
; %bb.705:
	s_or_saveexec_b64 s[6:7], s[6:7]
	v_mov_b32_e32 v2, s10
	s_xor_b64 exec, exec, s[6:7]
	s_cbranch_execnz .LBB22_2756
.LBB22_706:
	s_or_b64 exec, exec, s[6:7]
	s_and_saveexec_b64 s[6:7], s[4:5]
	s_cbranch_execz .LBB22_708
.LBB22_707:
	v_and_b32_e32 v2, 7, v8
	v_ffbh_u32_e32 v6, v2
	v_min_u32_e32 v6, 32, v6
	v_lshrrev_b16_e32 v3, 3, v8
	v_subrev_u32_e32 v7, 28, v6
	v_and_b32_e32 v3, 15, v3
	v_lshlrev_b32_e32 v7, v7, v8
	v_sub_u32_e32 v6, 29, v6
	v_and_b32_e32 v7, 7, v7
	v_cmp_eq_u16_e32 vcc, 0, v3
	v_cndmask_b32_e32 v2, v2, v7, vcc
	v_cndmask_b32_e32 v3, v3, v6, vcc
	v_lshlrev_b32_e32 v6, 24, v8
	v_mov_b32_e32 v7, 0x3b800000
	v_lshlrev_b32_e32 v2, 20, v2
	v_and_b32_e32 v6, 0x80000000, v6
	v_lshl_add_u32 v3, v3, 23, v7
	v_or3_b32 v2, v6, v3, v2
.LBB22_708:
	s_or_b64 exec, exec, s[6:7]
	s_movk_i32 s4, 0x7f
	v_cmp_gt_i16_sdwa s[6:7], v4, s4 src0_sel:BYTE_0 src1_sel:DWORD
	s_mov_b64 s[4:5], 0
                                        ; implicit-def: $sgpr10
	s_and_saveexec_b64 s[8:9], s[6:7]
	s_xor_b64 s[6:7], exec, s[8:9]
	s_cbranch_execnz .LBB22_2757
; %bb.709:
	s_or_saveexec_b64 s[6:7], s[6:7]
	v_mov_b32_e32 v3, s10
	s_xor_b64 exec, exec, s[6:7]
	s_cbranch_execnz .LBB22_2760
.LBB22_710:
	s_or_b64 exec, exec, s[6:7]
	s_and_saveexec_b64 s[6:7], s[4:5]
	s_cbranch_execz .LBB22_712
.LBB22_711:
	v_and_b32_e32 v3, 7, v4
	v_ffbh_u32_e32 v7, v3
	v_min_u32_e32 v7, 32, v7
	v_lshrrev_b16_e32 v6, 3, v4
	v_subrev_u32_e32 v10, 28, v7
	v_and_b32_e32 v6, 15, v6
	v_lshlrev_b32_e32 v10, v10, v4
	v_sub_u32_e32 v7, 29, v7
	v_and_b32_e32 v10, 7, v10
	v_cmp_eq_u16_e32 vcc, 0, v6
	v_cndmask_b32_e32 v3, v3, v10, vcc
	v_cndmask_b32_e32 v6, v6, v7, vcc
	v_lshlrev_b32_e32 v7, 24, v4
	v_mov_b32_e32 v10, 0x3b800000
	v_lshlrev_b32_e32 v3, 20, v3
	v_and_b32_e32 v7, 0x80000000, v7
	v_lshl_add_u32 v6, v6, 23, v10
	v_or3_b32 v3, v7, v6, v3
.LBB22_712:
	s_or_b64 exec, exec, s[6:7]
	s_nop 0
	v_mfma_f32_16x16x4f32 a[0:3], v2, v3, a[0:3]
	v_lshrrev_b32_e32 v3, 8, v8
	s_movk_i32 s4, 0x7f
	v_cmp_gt_i16_sdwa s[6:7], v3, s4 src0_sel:BYTE_0 src1_sel:DWORD
	s_mov_b64 s[4:5], 0
                                        ; implicit-def: $sgpr10
	s_and_saveexec_b64 s[8:9], s[6:7]
	s_xor_b64 s[6:7], exec, s[8:9]
	s_cbranch_execnz .LBB22_2761
; %bb.713:
	s_or_saveexec_b64 s[6:7], s[6:7]
	v_mov_b32_e32 v2, s10
	s_xor_b64 exec, exec, s[6:7]
	s_cbranch_execnz .LBB22_2764
.LBB22_714:
	s_or_b64 exec, exec, s[6:7]
	s_and_saveexec_b64 s[6:7], s[4:5]
	s_cbranch_execz .LBB22_716
.LBB22_715:
	v_bfe_u32 v2, v8, 8, 3
	v_ffbh_u32_e32 v7, v2
	v_min_u32_e32 v7, 32, v7
	v_lshrrev_b16_e32 v6, 3, v3
	v_subrev_u32_e32 v10, 28, v7
	v_and_b32_e32 v6, 15, v6
	v_lshlrev_b32_e32 v3, v10, v3
	v_sub_u32_e32 v7, 29, v7
	v_and_b32_e32 v3, 7, v3
	v_cmp_eq_u16_e32 vcc, 0, v6
	v_cndmask_b32_e32 v2, v2, v3, vcc
	v_cndmask_b32_e32 v3, v6, v7, vcc
	v_lshlrev_b32_e32 v6, 16, v8
	v_mov_b32_e32 v7, 0x3b800000
	v_lshlrev_b32_e32 v2, 20, v2
	v_and_b32_e32 v6, 0x80000000, v6
	v_lshl_add_u32 v3, v3, 23, v7
	v_or3_b32 v2, v6, v3, v2
.LBB22_716:
	s_or_b64 exec, exec, s[6:7]
	v_lshrrev_b32_e32 v3, 8, v4
	s_movk_i32 s4, 0x7f
	v_cmp_gt_i16_sdwa s[6:7], v3, s4 src0_sel:BYTE_0 src1_sel:DWORD
	s_mov_b64 s[4:5], 0
                                        ; implicit-def: $sgpr10
	s_and_saveexec_b64 s[8:9], s[6:7]
	s_xor_b64 s[6:7], exec, s[8:9]
	s_cbranch_execnz .LBB22_2765
; %bb.717:
	s_or_saveexec_b64 s[6:7], s[6:7]
	v_mov_b32_e32 v6, s10
	s_xor_b64 exec, exec, s[6:7]
	s_cbranch_execnz .LBB22_2768
.LBB22_718:
	s_or_b64 exec, exec, s[6:7]
	s_and_saveexec_b64 s[6:7], s[4:5]
	s_cbranch_execz .LBB22_720
.LBB22_719:
	v_bfe_u32 v6, v4, 8, 3
	v_ffbh_u32_e32 v10, v6
	v_min_u32_e32 v10, 32, v10
	v_lshrrev_b16_e32 v7, 3, v3
	v_subrev_u32_e32 v11, 28, v10
	v_and_b32_e32 v7, 15, v7
	v_lshlrev_b32_e32 v3, v11, v3
	v_sub_u32_e32 v10, 29, v10
	v_and_b32_e32 v3, 7, v3
	v_cmp_eq_u16_e32 vcc, 0, v7
	v_cndmask_b32_e32 v3, v6, v3, vcc
	v_cndmask_b32_e32 v6, v7, v10, vcc
	v_lshlrev_b32_e32 v7, 16, v4
	v_mov_b32_e32 v10, 0x3b800000
	v_lshlrev_b32_e32 v3, 20, v3
	v_and_b32_e32 v7, 0x80000000, v7
	v_lshl_add_u32 v6, v6, 23, v10
	v_or3_b32 v6, v7, v6, v3
.LBB22_720:
	s_or_b64 exec, exec, s[6:7]
	s_nop 0
	v_mfma_f32_16x16x4f32 a[0:3], v2, v6, a[0:3]
	s_movk_i32 s4, 0xff
	v_and_b32_sdwa v3, v8, s4 dst_sel:DWORD dst_unused:UNUSED_PAD src0_sel:WORD_1 src1_sel:DWORD
	s_movk_i32 s4, 0x7f
	v_cmp_lt_i16_e32 vcc, s4, v3
	s_mov_b64 s[4:5], 0
                                        ; implicit-def: $sgpr10
	s_and_saveexec_b64 s[6:7], vcc
	s_xor_b64 s[6:7], exec, s[6:7]
	s_cbranch_execnz .LBB22_2769
; %bb.721:
	s_or_saveexec_b64 s[6:7], s[6:7]
	v_mov_b32_e32 v2, s10
	s_xor_b64 exec, exec, s[6:7]
	s_cbranch_execnz .LBB22_2772
.LBB22_722:
	s_or_b64 exec, exec, s[6:7]
	s_and_saveexec_b64 s[6:7], s[4:5]
	s_cbranch_execz .LBB22_724
.LBB22_723:
	v_bfe_u32 v2, v8, 16, 3
	v_ffbh_u32_e32 v7, v2
	v_min_u32_e32 v7, 32, v7
	v_lshrrev_b32_e32 v3, 19, v8
	v_subrev_u32_e32 v10, 28, v7
	v_and_b32_e32 v3, 15, v3
	v_lshlrev_b32_sdwa v10, v10, v8 dst_sel:DWORD dst_unused:UNUSED_PAD src0_sel:DWORD src1_sel:WORD_1
	v_bfe_u32 v6, v8, 19, 4
	v_sub_u32_e32 v7, 29, v7
	v_and_b32_e32 v10, 7, v10
	v_cmp_eq_u16_e32 vcc, 0, v3
	v_cndmask_b32_e32 v2, v2, v10, vcc
	v_cndmask_b32_e32 v3, v6, v7, vcc
	v_lshlrev_b32_e32 v6, 8, v8
	v_mov_b32_e32 v7, 0x3b800000
	v_lshlrev_b32_e32 v2, 20, v2
	v_and_b32_e32 v6, 0x80000000, v6
	v_lshl_add_u32 v3, v3, 23, v7
	v_or3_b32 v2, v6, v3, v2
.LBB22_724:
	s_or_b64 exec, exec, s[6:7]
	s_movk_i32 s4, 0xff
	v_and_b32_sdwa v3, v4, s4 dst_sel:DWORD dst_unused:UNUSED_PAD src0_sel:WORD_1 src1_sel:DWORD
	s_movk_i32 s4, 0x7f
	v_cmp_lt_i16_e32 vcc, s4, v3
	s_mov_b64 s[4:5], 0
                                        ; implicit-def: $sgpr10
	s_and_saveexec_b64 s[6:7], vcc
	s_xor_b64 s[6:7], exec, s[6:7]
	s_cbranch_execnz .LBB22_2773
; %bb.725:
	s_or_saveexec_b64 s[6:7], s[6:7]
	v_mov_b32_e32 v6, s10
	s_xor_b64 exec, exec, s[6:7]
	s_cbranch_execnz .LBB22_2776
.LBB22_726:
	s_or_b64 exec, exec, s[6:7]
	s_and_saveexec_b64 s[6:7], s[4:5]
	s_cbranch_execz .LBB22_728
.LBB22_727:
	v_bfe_u32 v3, v4, 16, 3
	v_ffbh_u32_e32 v10, v3
	v_min_u32_e32 v10, 32, v10
	v_lshrrev_b32_e32 v6, 19, v4
	v_subrev_u32_e32 v11, 28, v10
	v_and_b32_e32 v6, 15, v6
	v_lshlrev_b32_sdwa v11, v11, v4 dst_sel:DWORD dst_unused:UNUSED_PAD src0_sel:DWORD src1_sel:WORD_1
	v_bfe_u32 v7, v4, 19, 4
	v_sub_u32_e32 v10, 29, v10
	v_and_b32_e32 v11, 7, v11
	v_cmp_eq_u16_e32 vcc, 0, v6
	v_cndmask_b32_e32 v3, v3, v11, vcc
	v_cndmask_b32_e32 v6, v7, v10, vcc
	v_lshlrev_b32_e32 v7, 8, v4
	v_mov_b32_e32 v10, 0x3b800000
	v_lshlrev_b32_e32 v3, 20, v3
	v_and_b32_e32 v7, 0x80000000, v7
	v_lshl_add_u32 v6, v6, 23, v10
	v_or3_b32 v6, v7, v6, v3
.LBB22_728:
	s_or_b64 exec, exec, s[6:7]
	s_nop 0
	v_mfma_f32_16x16x4f32 a[0:3], v2, v6, a[0:3]
	s_movk_i32 s4, 0x7f
	v_cmp_gt_i16_sdwa s[6:7], v8, s4 src0_sel:BYTE_3 src1_sel:DWORD
	s_mov_b64 s[4:5], 0
                                        ; implicit-def: $sgpr10
	s_and_saveexec_b64 s[8:9], s[6:7]
	s_xor_b64 s[6:7], exec, s[8:9]
	s_cbranch_execnz .LBB22_2777
; %bb.729:
	s_or_saveexec_b64 s[6:7], s[6:7]
	v_mov_b32_e32 v2, s10
	s_xor_b64 exec, exec, s[6:7]
	s_cbranch_execnz .LBB22_2780
.LBB22_730:
	s_or_b64 exec, exec, s[6:7]
	s_and_saveexec_b64 s[6:7], s[4:5]
	s_cbranch_execz .LBB22_732
.LBB22_731:
	v_bfe_u32 v2, v8, 24, 3
	v_ffbh_u32_e32 v10, v2
	v_min_u32_e32 v10, 32, v10
	v_lshrrev_b32_e32 v6, 27, v8
	v_subrev_u32_e32 v11, 28, v10
	v_and_b32_e32 v3, 0x80000000, v8
	v_and_b32_e32 v6, 15, v6
	v_bfe_u32 v7, v8, 27, 4
	v_lshlrev_b32_sdwa v8, v11, v8 dst_sel:DWORD dst_unused:UNUSED_PAD src0_sel:DWORD src1_sel:BYTE_3
	v_sub_u32_e32 v10, 29, v10
	v_and_b32_e32 v8, 7, v8
	v_cmp_eq_u16_e32 vcc, 0, v6
	v_cndmask_b32_e32 v2, v2, v8, vcc
	v_cndmask_b32_e32 v6, v7, v10, vcc
	v_mov_b32_e32 v7, 0x3b800000
	v_lshlrev_b32_e32 v2, 20, v2
	v_lshl_add_u32 v6, v6, 23, v7
	v_or3_b32 v2, v3, v6, v2
.LBB22_732:
	s_or_b64 exec, exec, s[6:7]
	s_movk_i32 s4, 0x7f
	v_cmp_gt_i16_sdwa s[6:7], v4, s4 src0_sel:BYTE_3 src1_sel:DWORD
	s_mov_b64 s[4:5], 0
                                        ; implicit-def: $sgpr10
	s_and_saveexec_b64 s[8:9], s[6:7]
	s_xor_b64 s[6:7], exec, s[8:9]
	s_cbranch_execnz .LBB22_2781
; %bb.733:
	s_or_saveexec_b64 s[6:7], s[6:7]
	v_mov_b32_e32 v3, s10
	s_xor_b64 exec, exec, s[6:7]
	s_cbranch_execnz .LBB22_2784
.LBB22_734:
	s_or_b64 exec, exec, s[6:7]
	s_and_saveexec_b64 s[6:7], s[4:5]
	s_cbranch_execz .LBB22_736
.LBB22_735:
	v_bfe_u32 v3, v4, 24, 3
	v_ffbh_u32_e32 v10, v3
	v_min_u32_e32 v10, 32, v10
	v_lshrrev_b32_e32 v7, 27, v4
	v_subrev_u32_e32 v11, 28, v10
	v_and_b32_e32 v6, 0x80000000, v4
	v_and_b32_e32 v7, 15, v7
	v_bfe_u32 v8, v4, 27, 4
	v_lshlrev_b32_sdwa v4, v11, v4 dst_sel:DWORD dst_unused:UNUSED_PAD src0_sel:DWORD src1_sel:BYTE_3
	v_sub_u32_e32 v10, 29, v10
	v_and_b32_e32 v4, 7, v4
	v_cmp_eq_u16_e32 vcc, 0, v7
	v_cndmask_b32_e32 v3, v3, v4, vcc
	v_cndmask_b32_e32 v4, v8, v10, vcc
	v_mov_b32_e32 v7, 0x3b800000
	v_lshlrev_b32_e32 v3, 20, v3
	v_lshl_add_u32 v4, v4, 23, v7
	v_or3_b32 v3, v6, v4, v3
.LBB22_736:
	s_or_b64 exec, exec, s[6:7]
	s_nop 0
	v_mfma_f32_16x16x4f32 a[0:3], v2, v3, a[0:3]
	s_movk_i32 s4, 0x7f
	v_cmp_gt_i16_sdwa s[6:7], v9, s4 src0_sel:BYTE_0 src1_sel:DWORD
	s_mov_b64 s[4:5], 0
                                        ; implicit-def: $sgpr10
	s_and_saveexec_b64 s[8:9], s[6:7]
	s_xor_b64 s[6:7], exec, s[8:9]
	s_cbranch_execnz .LBB22_2785
; %bb.737:
	s_or_saveexec_b64 s[6:7], s[6:7]
	v_mov_b32_e32 v2, s10
	s_xor_b64 exec, exec, s[6:7]
	s_cbranch_execnz .LBB22_2788
.LBB22_738:
	s_or_b64 exec, exec, s[6:7]
	s_and_saveexec_b64 s[6:7], s[4:5]
	s_cbranch_execz .LBB22_740
.LBB22_739:
	v_mov_b32_e32 v2, 8
	v_and_b32_e32 v3, 7, v9
	v_lshrrev_b32_sdwa v2, v2, v9 dst_sel:BYTE_1 dst_unused:UNUSED_PAD src0_sel:DWORD src1_sel:DWORD
	v_ffbh_u32_e32 v4, v3
	v_or_b32_sdwa v2, v9, v2 dst_sel:DWORD dst_unused:UNUSED_PAD src0_sel:BYTE_0 src1_sel:DWORD
	v_min_u32_e32 v4, 32, v4
	v_lshrrev_b16_e32 v2, 3, v2
	v_subrev_u32_e32 v6, 28, v4
	v_and_b32_e32 v2, 15, v2
	v_lshlrev_b32_e32 v6, v6, v9
	v_sub_u32_e32 v4, 29, v4
	v_and_b32_e32 v6, 7, v6
	v_cmp_eq_u16_e32 vcc, 0, v2
	v_cndmask_b32_e32 v3, v3, v6, vcc
	v_cndmask_b32_e32 v2, v2, v4, vcc
	v_lshlrev_b32_e32 v4, 24, v9
	v_mov_b32_e32 v6, 0x3b800000
	v_lshlrev_b32_e32 v3, 20, v3
	v_and_b32_e32 v4, 0x80000000, v4
	v_lshl_add_u32 v2, v2, 23, v6
	v_or3_b32 v2, v4, v2, v3
.LBB22_740:
	s_or_b64 exec, exec, s[6:7]
	s_movk_i32 s4, 0x7f
	v_cmp_gt_i16_sdwa s[6:7], v5, s4 src0_sel:BYTE_0 src1_sel:DWORD
	s_mov_b64 s[4:5], 0
                                        ; implicit-def: $sgpr10
	s_and_saveexec_b64 s[8:9], s[6:7]
	s_xor_b64 s[6:7], exec, s[8:9]
	s_cbranch_execnz .LBB22_2789
; %bb.741:
	s_or_saveexec_b64 s[6:7], s[6:7]
	v_mov_b32_e32 v3, s10
	s_xor_b64 exec, exec, s[6:7]
	s_cbranch_execnz .LBB22_2792
.LBB22_742:
	s_or_b64 exec, exec, s[6:7]
	s_and_saveexec_b64 s[6:7], s[4:5]
	s_cbranch_execz .LBB22_744
.LBB22_743:
	v_mov_b32_e32 v3, 8
	v_and_b32_e32 v4, 7, v5
	v_lshrrev_b32_sdwa v3, v3, v5 dst_sel:BYTE_1 dst_unused:UNUSED_PAD src0_sel:DWORD src1_sel:DWORD
	v_ffbh_u32_e32 v6, v4
	v_or_b32_sdwa v3, v5, v3 dst_sel:DWORD dst_unused:UNUSED_PAD src0_sel:BYTE_0 src1_sel:DWORD
	v_min_u32_e32 v6, 32, v6
	v_lshrrev_b16_e32 v3, 3, v3
	v_subrev_u32_e32 v7, 28, v6
	v_and_b32_e32 v3, 15, v3
	v_lshlrev_b32_e32 v7, v7, v5
	v_sub_u32_e32 v6, 29, v6
	v_and_b32_e32 v7, 7, v7
	v_cmp_eq_u16_e32 vcc, 0, v3
	v_cndmask_b32_e32 v4, v4, v7, vcc
	v_cndmask_b32_e32 v3, v3, v6, vcc
	v_lshlrev_b32_e32 v6, 24, v5
	v_mov_b32_e32 v7, 0x3b800000
	v_lshlrev_b32_e32 v4, 20, v4
	v_and_b32_e32 v6, 0x80000000, v6
	v_lshl_add_u32 v3, v3, 23, v7
	v_or3_b32 v3, v6, v3, v4
.LBB22_744:
	s_or_b64 exec, exec, s[6:7]
	s_nop 0
	v_mfma_f32_16x16x4f32 a[0:3], v2, v3, a[0:3]
	v_lshrrev_b32_e32 v3, 8, v9
	s_movk_i32 s4, 0x7f
	v_cmp_gt_i16_sdwa s[6:7], v3, s4 src0_sel:BYTE_0 src1_sel:DWORD
	s_mov_b64 s[4:5], 0
                                        ; implicit-def: $sgpr10
	s_and_saveexec_b64 s[8:9], s[6:7]
	s_xor_b64 s[6:7], exec, s[8:9]
	s_cbranch_execnz .LBB22_2793
; %bb.745:
	s_or_saveexec_b64 s[6:7], s[6:7]
	v_mov_b32_e32 v2, s10
	s_xor_b64 exec, exec, s[6:7]
	s_cbranch_execnz .LBB22_2796
.LBB22_746:
	s_or_b64 exec, exec, s[6:7]
	s_and_saveexec_b64 s[6:7], s[4:5]
	s_cbranch_execz .LBB22_748
.LBB22_747:
	v_bfe_u32 v2, v9, 8, 3
	v_ffbh_u32_e32 v6, v2
	v_min_u32_e32 v6, 32, v6
	v_lshrrev_b16_e32 v4, 3, v3
	v_subrev_u32_e32 v7, 28, v6
	v_and_b32_e32 v4, 15, v4
	v_lshlrev_b32_e32 v3, v7, v3
	v_sub_u32_e32 v6, 29, v6
	v_and_b32_e32 v3, 7, v3
	v_cmp_eq_u16_e32 vcc, 0, v4
	v_cndmask_b32_e32 v2, v2, v3, vcc
	v_cndmask_b32_e32 v3, v4, v6, vcc
	v_lshlrev_b32_e32 v4, 16, v9
	v_mov_b32_e32 v6, 0x3b800000
	v_lshlrev_b32_e32 v2, 20, v2
	v_and_b32_e32 v4, 0x80000000, v4
	v_lshl_add_u32 v3, v3, 23, v6
	v_or3_b32 v2, v4, v3, v2
.LBB22_748:
	s_or_b64 exec, exec, s[6:7]
	v_lshrrev_b32_e32 v3, 8, v5
	s_movk_i32 s4, 0x7f
	v_cmp_gt_i16_sdwa s[6:7], v3, s4 src0_sel:BYTE_0 src1_sel:DWORD
	s_mov_b64 s[4:5], 0
                                        ; implicit-def: $sgpr10
	s_and_saveexec_b64 s[8:9], s[6:7]
	s_xor_b64 s[6:7], exec, s[8:9]
	s_cbranch_execnz .LBB22_2797
; %bb.749:
	s_or_saveexec_b64 s[6:7], s[6:7]
	v_mov_b32_e32 v4, s10
	s_xor_b64 exec, exec, s[6:7]
	s_cbranch_execnz .LBB22_2800
.LBB22_750:
	s_or_b64 exec, exec, s[6:7]
	s_and_saveexec_b64 s[6:7], s[4:5]
	s_cbranch_execz .LBB22_752
.LBB22_751:
	v_bfe_u32 v4, v5, 8, 3
	v_ffbh_u32_e32 v7, v4
	v_min_u32_e32 v7, 32, v7
	v_lshrrev_b16_e32 v6, 3, v3
	v_subrev_u32_e32 v8, 28, v7
	v_and_b32_e32 v6, 15, v6
	v_lshlrev_b32_e32 v3, v8, v3
	v_sub_u32_e32 v7, 29, v7
	v_and_b32_e32 v3, 7, v3
	v_cmp_eq_u16_e32 vcc, 0, v6
	v_cndmask_b32_e32 v3, v4, v3, vcc
	v_cndmask_b32_e32 v4, v6, v7, vcc
	v_lshlrev_b32_e32 v6, 16, v5
	v_mov_b32_e32 v7, 0x3b800000
	v_lshlrev_b32_e32 v3, 20, v3
	v_and_b32_e32 v6, 0x80000000, v6
	v_lshl_add_u32 v4, v4, 23, v7
	v_or3_b32 v4, v6, v4, v3
.LBB22_752:
	s_or_b64 exec, exec, s[6:7]
	s_nop 0
	v_mfma_f32_16x16x4f32 a[0:3], v2, v4, a[0:3]
	s_movk_i32 s4, 0xff
	v_and_b32_sdwa v3, v9, s4 dst_sel:DWORD dst_unused:UNUSED_PAD src0_sel:WORD_1 src1_sel:DWORD
	s_movk_i32 s4, 0x7f
	v_cmp_lt_i16_e32 vcc, s4, v3
	s_mov_b64 s[4:5], 0
                                        ; implicit-def: $sgpr10
	s_and_saveexec_b64 s[6:7], vcc
	s_xor_b64 s[6:7], exec, s[6:7]
	s_cbranch_execnz .LBB22_2801
; %bb.753:
	s_or_saveexec_b64 s[6:7], s[6:7]
	v_mov_b32_e32 v2, s10
	s_xor_b64 exec, exec, s[6:7]
	s_cbranch_execnz .LBB22_2804
.LBB22_754:
	s_or_b64 exec, exec, s[6:7]
	s_and_saveexec_b64 s[6:7], s[4:5]
	s_cbranch_execz .LBB22_756
.LBB22_755:
	v_bfe_u32 v2, v9, 16, 3
	v_ffbh_u32_e32 v6, v2
	v_min_u32_e32 v6, 32, v6
	v_lshrrev_b32_e32 v3, 19, v9
	v_subrev_u32_e32 v7, 28, v6
	v_and_b32_e32 v3, 15, v3
	v_lshlrev_b32_sdwa v7, v7, v9 dst_sel:DWORD dst_unused:UNUSED_PAD src0_sel:DWORD src1_sel:WORD_1
	v_bfe_u32 v4, v9, 19, 4
	v_sub_u32_e32 v6, 29, v6
	v_and_b32_e32 v7, 7, v7
	v_cmp_eq_u16_e32 vcc, 0, v3
	v_cndmask_b32_e32 v2, v2, v7, vcc
	v_cndmask_b32_e32 v3, v4, v6, vcc
	v_lshlrev_b32_e32 v4, 8, v9
	v_mov_b32_e32 v6, 0x3b800000
	v_lshlrev_b32_e32 v2, 20, v2
	v_and_b32_e32 v4, 0x80000000, v4
	v_lshl_add_u32 v3, v3, 23, v6
	v_or3_b32 v2, v4, v3, v2
.LBB22_756:
	s_or_b64 exec, exec, s[6:7]
	s_movk_i32 s4, 0xff
	v_and_b32_sdwa v3, v5, s4 dst_sel:DWORD dst_unused:UNUSED_PAD src0_sel:WORD_1 src1_sel:DWORD
	s_movk_i32 s4, 0x7f
	v_cmp_lt_i16_e32 vcc, s4, v3
	s_mov_b64 s[4:5], 0
                                        ; implicit-def: $sgpr10
	s_and_saveexec_b64 s[6:7], vcc
	s_xor_b64 s[6:7], exec, s[6:7]
	s_cbranch_execnz .LBB22_2805
; %bb.757:
	s_or_saveexec_b64 s[6:7], s[6:7]
	v_mov_b32_e32 v4, s10
	s_xor_b64 exec, exec, s[6:7]
	s_cbranch_execnz .LBB22_2808
.LBB22_758:
	s_or_b64 exec, exec, s[6:7]
	s_and_saveexec_b64 s[6:7], s[4:5]
	s_cbranch_execz .LBB22_760
.LBB22_759:
	v_bfe_u32 v3, v5, 16, 3
	v_ffbh_u32_e32 v7, v3
	v_min_u32_e32 v7, 32, v7
	v_lshrrev_b32_e32 v4, 19, v5
	v_subrev_u32_e32 v8, 28, v7
	v_and_b32_e32 v4, 15, v4
	v_lshlrev_b32_sdwa v8, v8, v5 dst_sel:DWORD dst_unused:UNUSED_PAD src0_sel:DWORD src1_sel:WORD_1
	v_bfe_u32 v6, v5, 19, 4
	v_sub_u32_e32 v7, 29, v7
	v_and_b32_e32 v8, 7, v8
	v_cmp_eq_u16_e32 vcc, 0, v4
	v_cndmask_b32_e32 v3, v3, v8, vcc
	v_cndmask_b32_e32 v4, v6, v7, vcc
	v_lshlrev_b32_e32 v6, 8, v5
	v_mov_b32_e32 v7, 0x3b800000
	v_lshlrev_b32_e32 v3, 20, v3
	v_and_b32_e32 v6, 0x80000000, v6
	v_lshl_add_u32 v4, v4, 23, v7
	v_or3_b32 v4, v6, v4, v3
.LBB22_760:
	s_or_b64 exec, exec, s[6:7]
	s_nop 0
	v_mfma_f32_16x16x4f32 a[0:3], v2, v4, a[0:3]
	s_movk_i32 s4, 0x7f
	v_cmp_gt_i16_sdwa s[6:7], v9, s4 src0_sel:BYTE_3 src1_sel:DWORD
	s_mov_b64 s[4:5], 0
                                        ; implicit-def: $sgpr10
	s_and_saveexec_b64 s[8:9], s[6:7]
	s_xor_b64 s[6:7], exec, s[8:9]
	s_cbranch_execnz .LBB22_2809
; %bb.761:
	s_or_saveexec_b64 s[6:7], s[6:7]
	v_mov_b32_e32 v2, s10
	s_xor_b64 exec, exec, s[6:7]
	s_cbranch_execnz .LBB22_2812
.LBB22_762:
	s_or_b64 exec, exec, s[6:7]
	s_and_saveexec_b64 s[6:7], s[4:5]
	s_cbranch_execz .LBB22_764
.LBB22_763:
	v_bfe_u32 v2, v9, 24, 3
	v_ffbh_u32_e32 v7, v2
	v_min_u32_e32 v7, 32, v7
	v_lshrrev_b32_e32 v4, 27, v9
	v_subrev_u32_e32 v8, 28, v7
	v_and_b32_e32 v4, 15, v4
	v_lshlrev_b32_sdwa v8, v8, v9 dst_sel:DWORD dst_unused:UNUSED_PAD src0_sel:DWORD src1_sel:BYTE_3
	v_bfe_u32 v6, v9, 27, 4
	v_sub_u32_e32 v7, 29, v7
	v_and_b32_e32 v8, 7, v8
	v_cmp_eq_u16_e32 vcc, 0, v4
	v_cndmask_b32_e32 v2, v2, v8, vcc
	v_cndmask_b32_e32 v4, v6, v7, vcc
	v_mov_b32_e32 v6, 0x3b800000
	v_and_b32_e32 v3, 0x80000000, v9
	v_lshlrev_b32_e32 v2, 20, v2
	v_lshl_add_u32 v4, v4, 23, v6
	v_or3_b32 v2, v3, v4, v2
.LBB22_764:
	s_or_b64 exec, exec, s[6:7]
	s_movk_i32 s4, 0x7f
	v_cmp_gt_i16_sdwa s[6:7], v5, s4 src0_sel:BYTE_3 src1_sel:DWORD
	s_mov_b64 s[4:5], 0
                                        ; implicit-def: $sgpr10
	s_and_saveexec_b64 s[8:9], s[6:7]
	s_xor_b64 s[6:7], exec, s[8:9]
	s_cbranch_execnz .LBB22_2813
; %bb.765:
	s_or_saveexec_b64 s[6:7], s[6:7]
	v_mov_b32_e32 v3, s10
	s_xor_b64 exec, exec, s[6:7]
	s_cbranch_execnz .LBB22_2816
.LBB22_766:
	s_or_b64 exec, exec, s[6:7]
	s_and_saveexec_b64 s[6:7], s[4:5]
	s_cbranch_execz .LBB22_768
.LBB22_767:
	v_bfe_u32 v3, v5, 24, 3
	v_ffbh_u32_e32 v8, v3
	v_min_u32_e32 v8, 32, v8
	v_lshrrev_b32_e32 v6, 27, v5
	v_subrev_u32_e32 v9, 28, v8
	v_and_b32_e32 v4, 0x80000000, v5
	v_and_b32_e32 v6, 15, v6
	v_bfe_u32 v7, v5, 27, 4
	v_lshlrev_b32_sdwa v5, v9, v5 dst_sel:DWORD dst_unused:UNUSED_PAD src0_sel:DWORD src1_sel:BYTE_3
	v_sub_u32_e32 v8, 29, v8
	v_and_b32_e32 v5, 7, v5
	v_cmp_eq_u16_e32 vcc, 0, v6
	v_cndmask_b32_e32 v3, v3, v5, vcc
	v_cndmask_b32_e32 v5, v7, v8, vcc
	v_mov_b32_e32 v6, 0x3b800000
	v_lshlrev_b32_e32 v3, 20, v3
	v_lshl_add_u32 v5, v5, 23, v6
	v_or3_b32 v3, v4, v5, v3
.LBB22_768:
	s_or_b64 exec, exec, s[6:7]
	s_nop 0
	v_mfma_f32_16x16x4f32 a[0:3], v2, v3, a[0:3]
	s_movk_i32 s4, 0x7f
                                        ; implicit-def: $sgpr10
	s_nop 7
	s_nop 1
	flat_store_dwordx4 v[18:19], a[0:3] offset:544
	flat_load_dwordx4 v[20:23], v[0:1] offset:8
	s_nop 0
	flat_load_dwordx2 v[18:19], v[0:1] offset:24
	s_waitcnt vmcnt(0) lgkmcnt(0)
	flat_load_dwordx4 v[14:17], v[20:21]
	flat_load_dwordx4 v[6:9], v[20:21] offset:16
	flat_load_dwordx4 v[10:13], v[22:23] offset:96
	;; [unrolled: 1-line block ×3, first 2 shown]
	s_waitcnt vmcnt(0) lgkmcnt(0)
	v_cmp_gt_i16_sdwa s[6:7], v14, s4 src0_sel:BYTE_0 src1_sel:DWORD
	s_mov_b64 s[4:5], 0
	s_and_saveexec_b64 s[8:9], s[6:7]
	s_xor_b64 s[6:7], exec, s[8:9]
	s_cbranch_execnz .LBB22_2817
; %bb.769:
	s_or_saveexec_b64 s[6:7], s[6:7]
	v_mov_b32_e32 v20, s10
	s_xor_b64 exec, exec, s[6:7]
	s_cbranch_execnz .LBB22_2820
.LBB22_770:
	s_or_b64 exec, exec, s[6:7]
	s_and_saveexec_b64 s[6:7], s[4:5]
	s_cbranch_execz .LBB22_772
.LBB22_771:
	v_and_b32_e32 v20, 7, v14
	v_ffbh_u32_e32 v22, v20
	v_min_u32_e32 v22, 32, v22
	v_lshrrev_b16_e32 v21, 3, v14
	v_subrev_u32_e32 v23, 28, v22
	v_and_b32_e32 v21, 15, v21
	v_lshlrev_b32_e32 v23, v23, v14
	v_sub_u32_e32 v22, 29, v22
	v_and_b32_e32 v23, 7, v23
	v_cmp_eq_u16_e32 vcc, 0, v21
	v_cndmask_b32_e32 v20, v20, v23, vcc
	v_cndmask_b32_e32 v21, v21, v22, vcc
	v_lshlrev_b32_e32 v22, 24, v14
	v_mov_b32_e32 v23, 0x3b800000
	v_lshlrev_b32_e32 v20, 20, v20
	v_and_b32_e32 v22, 0x80000000, v22
	v_lshl_add_u32 v21, v21, 23, v23
	v_or3_b32 v20, v22, v21, v20
.LBB22_772:
	s_or_b64 exec, exec, s[6:7]
	s_movk_i32 s4, 0x7f
	v_cmp_gt_i16_sdwa s[6:7], v10, s4 src0_sel:BYTE_0 src1_sel:DWORD
	s_mov_b64 s[4:5], 0
                                        ; implicit-def: $sgpr10
	s_and_saveexec_b64 s[8:9], s[6:7]
	s_xor_b64 s[6:7], exec, s[8:9]
	s_cbranch_execnz .LBB22_2821
; %bb.773:
	s_or_saveexec_b64 s[6:7], s[6:7]
	v_mov_b32_e32 v21, s10
	s_xor_b64 exec, exec, s[6:7]
	s_cbranch_execnz .LBB22_2824
.LBB22_774:
	s_or_b64 exec, exec, s[6:7]
	s_and_saveexec_b64 s[6:7], s[4:5]
	s_cbranch_execz .LBB22_776
.LBB22_775:
	v_and_b32_e32 v21, 7, v10
	v_ffbh_u32_e32 v23, v21
	v_min_u32_e32 v23, 32, v23
	v_lshrrev_b16_e32 v22, 3, v10
	v_subrev_u32_e32 v24, 28, v23
	v_and_b32_e32 v22, 15, v22
	v_lshlrev_b32_e32 v24, v24, v10
	v_sub_u32_e32 v23, 29, v23
	v_and_b32_e32 v24, 7, v24
	v_cmp_eq_u16_e32 vcc, 0, v22
	v_cndmask_b32_e32 v21, v21, v24, vcc
	v_cndmask_b32_e32 v22, v22, v23, vcc
	v_lshlrev_b32_e32 v23, 24, v10
	v_mov_b32_e32 v24, 0x3b800000
	v_lshlrev_b32_e32 v21, 20, v21
	v_and_b32_e32 v23, 0x80000000, v23
	v_lshl_add_u32 v22, v22, 23, v24
	v_or3_b32 v21, v23, v22, v21
.LBB22_776:
	s_or_b64 exec, exec, s[6:7]
	flat_load_dwordx4 a[0:3], v[18:19] offset:560
	s_movk_i32 s4, 0x7f
                                        ; implicit-def: $sgpr10
	s_waitcnt vmcnt(0) lgkmcnt(0)
	v_mfma_f32_16x16x4f32 a[0:3], v20, v21, a[0:3]
	v_lshrrev_b32_e32 v21, 8, v14
	v_cmp_gt_i16_sdwa s[6:7], v21, s4 src0_sel:BYTE_0 src1_sel:DWORD
	s_mov_b64 s[4:5], 0
	s_and_saveexec_b64 s[8:9], s[6:7]
	s_xor_b64 s[6:7], exec, s[8:9]
	s_cbranch_execnz .LBB22_2825
; %bb.777:
	s_or_saveexec_b64 s[6:7], s[6:7]
	v_mov_b32_e32 v20, s10
	s_xor_b64 exec, exec, s[6:7]
	s_cbranch_execnz .LBB22_2828
.LBB22_778:
	s_or_b64 exec, exec, s[6:7]
	s_and_saveexec_b64 s[6:7], s[4:5]
	s_cbranch_execz .LBB22_780
.LBB22_779:
	v_bfe_u32 v20, v14, 8, 3
	v_ffbh_u32_e32 v23, v20
	v_min_u32_e32 v23, 32, v23
	v_lshrrev_b16_e32 v22, 3, v21
	v_subrev_u32_e32 v24, 28, v23
	v_and_b32_e32 v22, 15, v22
	v_lshlrev_b32_e32 v21, v24, v21
	v_sub_u32_e32 v23, 29, v23
	v_and_b32_e32 v21, 7, v21
	v_cmp_eq_u16_e32 vcc, 0, v22
	v_cndmask_b32_e32 v20, v20, v21, vcc
	v_cndmask_b32_e32 v21, v22, v23, vcc
	v_lshlrev_b32_e32 v22, 16, v14
	v_mov_b32_e32 v23, 0x3b800000
	v_lshlrev_b32_e32 v20, 20, v20
	v_and_b32_e32 v22, 0x80000000, v22
	v_lshl_add_u32 v21, v21, 23, v23
	v_or3_b32 v20, v22, v21, v20
.LBB22_780:
	s_or_b64 exec, exec, s[6:7]
	v_lshrrev_b32_e32 v21, 8, v10
	s_movk_i32 s4, 0x7f
	v_cmp_gt_i16_sdwa s[6:7], v21, s4 src0_sel:BYTE_0 src1_sel:DWORD
	s_mov_b64 s[4:5], 0
                                        ; implicit-def: $sgpr10
	s_and_saveexec_b64 s[8:9], s[6:7]
	s_xor_b64 s[6:7], exec, s[8:9]
	s_cbranch_execnz .LBB22_2829
; %bb.781:
	s_or_saveexec_b64 s[6:7], s[6:7]
	v_mov_b32_e32 v22, s10
	s_xor_b64 exec, exec, s[6:7]
	s_cbranch_execnz .LBB22_2832
.LBB22_782:
	s_or_b64 exec, exec, s[6:7]
	s_and_saveexec_b64 s[6:7], s[4:5]
	s_cbranch_execz .LBB22_784
.LBB22_783:
	v_bfe_u32 v22, v10, 8, 3
	v_ffbh_u32_e32 v24, v22
	v_min_u32_e32 v24, 32, v24
	v_lshrrev_b16_e32 v23, 3, v21
	v_subrev_u32_e32 v25, 28, v24
	v_and_b32_e32 v23, 15, v23
	v_lshlrev_b32_e32 v21, v25, v21
	v_sub_u32_e32 v24, 29, v24
	v_and_b32_e32 v21, 7, v21
	v_cmp_eq_u16_e32 vcc, 0, v23
	v_cndmask_b32_e32 v21, v22, v21, vcc
	v_cndmask_b32_e32 v22, v23, v24, vcc
	v_lshlrev_b32_e32 v23, 16, v10
	v_mov_b32_e32 v24, 0x3b800000
	v_lshlrev_b32_e32 v21, 20, v21
	v_and_b32_e32 v23, 0x80000000, v23
	v_lshl_add_u32 v22, v22, 23, v24
	v_or3_b32 v22, v23, v22, v21
.LBB22_784:
	s_or_b64 exec, exec, s[6:7]
	s_nop 0
	v_mfma_f32_16x16x4f32 a[0:3], v20, v22, a[0:3]
	s_movk_i32 s4, 0xff
	v_and_b32_sdwa v21, v14, s4 dst_sel:DWORD dst_unused:UNUSED_PAD src0_sel:WORD_1 src1_sel:DWORD
	s_movk_i32 s4, 0x7f
	v_cmp_lt_i16_e32 vcc, s4, v21
	s_mov_b64 s[4:5], 0
                                        ; implicit-def: $sgpr10
	s_and_saveexec_b64 s[6:7], vcc
	s_xor_b64 s[6:7], exec, s[6:7]
	s_cbranch_execnz .LBB22_2833
; %bb.785:
	s_or_saveexec_b64 s[6:7], s[6:7]
	v_mov_b32_e32 v20, s10
	s_xor_b64 exec, exec, s[6:7]
	s_cbranch_execnz .LBB22_2836
.LBB22_786:
	s_or_b64 exec, exec, s[6:7]
	s_and_saveexec_b64 s[6:7], s[4:5]
	s_cbranch_execz .LBB22_788
.LBB22_787:
	v_bfe_u32 v20, v14, 16, 3
	v_ffbh_u32_e32 v23, v20
	v_min_u32_e32 v23, 32, v23
	v_lshrrev_b32_e32 v21, 19, v14
	v_subrev_u32_e32 v24, 28, v23
	v_and_b32_e32 v21, 15, v21
	v_lshlrev_b32_sdwa v24, v24, v14 dst_sel:DWORD dst_unused:UNUSED_PAD src0_sel:DWORD src1_sel:WORD_1
	v_bfe_u32 v22, v14, 19, 4
	v_sub_u32_e32 v23, 29, v23
	v_and_b32_e32 v24, 7, v24
	v_cmp_eq_u16_e32 vcc, 0, v21
	v_cndmask_b32_e32 v20, v20, v24, vcc
	v_cndmask_b32_e32 v21, v22, v23, vcc
	v_lshlrev_b32_e32 v22, 8, v14
	v_mov_b32_e32 v23, 0x3b800000
	v_lshlrev_b32_e32 v20, 20, v20
	v_and_b32_e32 v22, 0x80000000, v22
	v_lshl_add_u32 v21, v21, 23, v23
	v_or3_b32 v20, v22, v21, v20
.LBB22_788:
	s_or_b64 exec, exec, s[6:7]
	s_movk_i32 s4, 0xff
	v_and_b32_sdwa v21, v10, s4 dst_sel:DWORD dst_unused:UNUSED_PAD src0_sel:WORD_1 src1_sel:DWORD
	s_movk_i32 s4, 0x7f
	v_cmp_lt_i16_e32 vcc, s4, v21
	s_mov_b64 s[4:5], 0
                                        ; implicit-def: $sgpr10
	s_and_saveexec_b64 s[6:7], vcc
	s_xor_b64 s[6:7], exec, s[6:7]
	s_cbranch_execnz .LBB22_2837
; %bb.789:
	s_or_saveexec_b64 s[6:7], s[6:7]
	v_mov_b32_e32 v22, s10
	s_xor_b64 exec, exec, s[6:7]
	s_cbranch_execnz .LBB22_2840
.LBB22_790:
	s_or_b64 exec, exec, s[6:7]
	s_and_saveexec_b64 s[6:7], s[4:5]
	s_cbranch_execz .LBB22_792
.LBB22_791:
	v_bfe_u32 v21, v10, 16, 3
	v_ffbh_u32_e32 v24, v21
	v_min_u32_e32 v24, 32, v24
	v_lshrrev_b32_e32 v22, 19, v10
	v_subrev_u32_e32 v25, 28, v24
	v_and_b32_e32 v22, 15, v22
	v_lshlrev_b32_sdwa v25, v25, v10 dst_sel:DWORD dst_unused:UNUSED_PAD src0_sel:DWORD src1_sel:WORD_1
	v_bfe_u32 v23, v10, 19, 4
	v_sub_u32_e32 v24, 29, v24
	v_and_b32_e32 v25, 7, v25
	v_cmp_eq_u16_e32 vcc, 0, v22
	v_cndmask_b32_e32 v21, v21, v25, vcc
	v_cndmask_b32_e32 v22, v23, v24, vcc
	v_lshlrev_b32_e32 v23, 8, v10
	v_mov_b32_e32 v24, 0x3b800000
	v_lshlrev_b32_e32 v21, 20, v21
	v_and_b32_e32 v23, 0x80000000, v23
	v_lshl_add_u32 v22, v22, 23, v24
	v_or3_b32 v22, v23, v22, v21
.LBB22_792:
	s_or_b64 exec, exec, s[6:7]
	s_nop 0
	v_mfma_f32_16x16x4f32 a[0:3], v20, v22, a[0:3]
	s_movk_i32 s4, 0x7f
	v_cmp_gt_i16_sdwa s[6:7], v14, s4 src0_sel:BYTE_3 src1_sel:DWORD
	s_mov_b64 s[4:5], 0
                                        ; implicit-def: $sgpr10
	s_and_saveexec_b64 s[8:9], s[6:7]
	s_xor_b64 s[6:7], exec, s[8:9]
	s_cbranch_execnz .LBB22_2841
; %bb.793:
	s_or_saveexec_b64 s[6:7], s[6:7]
	v_mov_b32_e32 v20, s10
	s_xor_b64 exec, exec, s[6:7]
	s_cbranch_execnz .LBB22_2844
.LBB22_794:
	s_or_b64 exec, exec, s[6:7]
	s_and_saveexec_b64 s[6:7], s[4:5]
	s_cbranch_execz .LBB22_796
.LBB22_795:
	v_bfe_u32 v20, v14, 24, 3
	v_ffbh_u32_e32 v24, v20
	v_min_u32_e32 v24, 32, v24
	v_lshrrev_b32_e32 v22, 27, v14
	v_subrev_u32_e32 v25, 28, v24
	v_and_b32_e32 v21, 0x80000000, v14
	v_and_b32_e32 v22, 15, v22
	v_bfe_u32 v23, v14, 27, 4
	v_lshlrev_b32_sdwa v14, v25, v14 dst_sel:DWORD dst_unused:UNUSED_PAD src0_sel:DWORD src1_sel:BYTE_3
	v_sub_u32_e32 v24, 29, v24
	v_and_b32_e32 v14, 7, v14
	v_cmp_eq_u16_e32 vcc, 0, v22
	v_cndmask_b32_e32 v14, v20, v14, vcc
	v_cndmask_b32_e32 v20, v23, v24, vcc
	v_mov_b32_e32 v22, 0x3b800000
	v_lshlrev_b32_e32 v14, 20, v14
	v_lshl_add_u32 v20, v20, 23, v22
	v_or3_b32 v20, v21, v20, v14
.LBB22_796:
	s_or_b64 exec, exec, s[6:7]
	s_movk_i32 s4, 0x7f
	v_cmp_gt_i16_sdwa s[6:7], v10, s4 src0_sel:BYTE_3 src1_sel:DWORD
	s_mov_b64 s[4:5], 0
                                        ; implicit-def: $sgpr10
	s_and_saveexec_b64 s[8:9], s[6:7]
	s_xor_b64 s[6:7], exec, s[8:9]
	s_cbranch_execnz .LBB22_2845
; %bb.797:
	s_or_saveexec_b64 s[6:7], s[6:7]
	v_mov_b32_e32 v14, s10
	s_xor_b64 exec, exec, s[6:7]
	s_cbranch_execnz .LBB22_2848
.LBB22_798:
	s_or_b64 exec, exec, s[6:7]
	s_and_saveexec_b64 s[6:7], s[4:5]
	s_cbranch_execz .LBB22_800
.LBB22_799:
	v_bfe_u32 v14, v10, 24, 3
	v_ffbh_u32_e32 v24, v14
	v_min_u32_e32 v24, 32, v24
	v_lshrrev_b32_e32 v22, 27, v10
	v_subrev_u32_e32 v25, 28, v24
	v_and_b32_e32 v21, 0x80000000, v10
	v_and_b32_e32 v22, 15, v22
	v_bfe_u32 v23, v10, 27, 4
	v_lshlrev_b32_sdwa v10, v25, v10 dst_sel:DWORD dst_unused:UNUSED_PAD src0_sel:DWORD src1_sel:BYTE_3
	v_sub_u32_e32 v24, 29, v24
	v_and_b32_e32 v10, 7, v10
	v_cmp_eq_u16_e32 vcc, 0, v22
	v_cndmask_b32_e32 v10, v14, v10, vcc
	v_cndmask_b32_e32 v14, v23, v24, vcc
	v_mov_b32_e32 v22, 0x3b800000
	v_lshlrev_b32_e32 v10, 20, v10
	v_lshl_add_u32 v14, v14, 23, v22
	v_or3_b32 v14, v21, v14, v10
.LBB22_800:
	s_or_b64 exec, exec, s[6:7]
	s_nop 0
	v_mfma_f32_16x16x4f32 a[0:3], v20, v14, a[0:3]
	s_movk_i32 s4, 0x7f
	v_cmp_gt_i16_sdwa s[6:7], v15, s4 src0_sel:BYTE_0 src1_sel:DWORD
	s_mov_b64 s[4:5], 0
                                        ; implicit-def: $sgpr10
	s_and_saveexec_b64 s[8:9], s[6:7]
	s_xor_b64 s[6:7], exec, s[8:9]
	s_cbranch_execnz .LBB22_2849
; %bb.801:
	s_or_saveexec_b64 s[6:7], s[6:7]
	v_mov_b32_e32 v10, s10
	s_xor_b64 exec, exec, s[6:7]
	s_cbranch_execnz .LBB22_2852
.LBB22_802:
	s_or_b64 exec, exec, s[6:7]
	s_and_saveexec_b64 s[6:7], s[4:5]
	s_cbranch_execz .LBB22_804
.LBB22_803:
	v_and_b32_e32 v10, 7, v15
	v_ffbh_u32_e32 v20, v10
	v_min_u32_e32 v20, 32, v20
	v_lshrrev_b16_e32 v14, 3, v15
	v_subrev_u32_e32 v21, 28, v20
	v_and_b32_e32 v14, 15, v14
	v_lshlrev_b32_e32 v21, v21, v15
	v_sub_u32_e32 v20, 29, v20
	v_and_b32_e32 v21, 7, v21
	v_cmp_eq_u16_e32 vcc, 0, v14
	v_cndmask_b32_e32 v10, v10, v21, vcc
	v_cndmask_b32_e32 v14, v14, v20, vcc
	v_lshlrev_b32_e32 v20, 24, v15
	v_mov_b32_e32 v21, 0x3b800000
	v_lshlrev_b32_e32 v10, 20, v10
	v_and_b32_e32 v20, 0x80000000, v20
	v_lshl_add_u32 v14, v14, 23, v21
	v_or3_b32 v10, v20, v14, v10
.LBB22_804:
	s_or_b64 exec, exec, s[6:7]
	s_movk_i32 s4, 0x7f
	v_cmp_gt_i16_sdwa s[6:7], v11, s4 src0_sel:BYTE_0 src1_sel:DWORD
	s_mov_b64 s[4:5], 0
                                        ; implicit-def: $sgpr10
	s_and_saveexec_b64 s[8:9], s[6:7]
	s_xor_b64 s[6:7], exec, s[8:9]
	s_cbranch_execnz .LBB22_2853
; %bb.805:
	s_or_saveexec_b64 s[6:7], s[6:7]
	v_mov_b32_e32 v14, s10
	s_xor_b64 exec, exec, s[6:7]
	s_cbranch_execnz .LBB22_2856
.LBB22_806:
	s_or_b64 exec, exec, s[6:7]
	s_and_saveexec_b64 s[6:7], s[4:5]
	s_cbranch_execz .LBB22_808
.LBB22_807:
	v_and_b32_e32 v14, 7, v11
	v_ffbh_u32_e32 v21, v14
	v_min_u32_e32 v21, 32, v21
	v_lshrrev_b16_e32 v20, 3, v11
	v_subrev_u32_e32 v22, 28, v21
	v_and_b32_e32 v20, 15, v20
	v_lshlrev_b32_e32 v22, v22, v11
	v_sub_u32_e32 v21, 29, v21
	v_and_b32_e32 v22, 7, v22
	v_cmp_eq_u16_e32 vcc, 0, v20
	v_cndmask_b32_e32 v14, v14, v22, vcc
	v_cndmask_b32_e32 v20, v20, v21, vcc
	v_lshlrev_b32_e32 v21, 24, v11
	v_mov_b32_e32 v22, 0x3b800000
	v_lshlrev_b32_e32 v14, 20, v14
	v_and_b32_e32 v21, 0x80000000, v21
	v_lshl_add_u32 v20, v20, 23, v22
	v_or3_b32 v14, v21, v20, v14
.LBB22_808:
	s_or_b64 exec, exec, s[6:7]
	s_nop 0
	v_mfma_f32_16x16x4f32 a[0:3], v10, v14, a[0:3]
	v_lshrrev_b32_e32 v14, 8, v15
	s_movk_i32 s4, 0x7f
	v_cmp_gt_i16_sdwa s[6:7], v14, s4 src0_sel:BYTE_0 src1_sel:DWORD
	s_mov_b64 s[4:5], 0
                                        ; implicit-def: $sgpr10
	s_and_saveexec_b64 s[8:9], s[6:7]
	s_xor_b64 s[6:7], exec, s[8:9]
	s_cbranch_execnz .LBB22_2857
; %bb.809:
	s_or_saveexec_b64 s[6:7], s[6:7]
	v_mov_b32_e32 v10, s10
	s_xor_b64 exec, exec, s[6:7]
	s_cbranch_execnz .LBB22_2860
.LBB22_810:
	s_or_b64 exec, exec, s[6:7]
	s_and_saveexec_b64 s[6:7], s[4:5]
	s_cbranch_execz .LBB22_812
.LBB22_811:
	v_bfe_u32 v10, v15, 8, 3
	v_ffbh_u32_e32 v21, v10
	v_min_u32_e32 v21, 32, v21
	v_lshrrev_b16_e32 v20, 3, v14
	v_subrev_u32_e32 v22, 28, v21
	v_and_b32_e32 v20, 15, v20
	v_lshlrev_b32_e32 v14, v22, v14
	v_sub_u32_e32 v21, 29, v21
	v_and_b32_e32 v14, 7, v14
	v_cmp_eq_u16_e32 vcc, 0, v20
	v_cndmask_b32_e32 v10, v10, v14, vcc
	v_cndmask_b32_e32 v14, v20, v21, vcc
	v_lshlrev_b32_e32 v20, 16, v15
	v_mov_b32_e32 v21, 0x3b800000
	v_lshlrev_b32_e32 v10, 20, v10
	v_and_b32_e32 v20, 0x80000000, v20
	v_lshl_add_u32 v14, v14, 23, v21
	v_or3_b32 v10, v20, v14, v10
.LBB22_812:
	s_or_b64 exec, exec, s[6:7]
	v_lshrrev_b32_e32 v14, 8, v11
	s_movk_i32 s4, 0x7f
	v_cmp_gt_i16_sdwa s[6:7], v14, s4 src0_sel:BYTE_0 src1_sel:DWORD
	s_mov_b64 s[4:5], 0
                                        ; implicit-def: $sgpr10
	s_and_saveexec_b64 s[8:9], s[6:7]
	s_xor_b64 s[6:7], exec, s[8:9]
	s_cbranch_execnz .LBB22_2861
; %bb.813:
	s_or_saveexec_b64 s[6:7], s[6:7]
	v_mov_b32_e32 v20, s10
	s_xor_b64 exec, exec, s[6:7]
	s_cbranch_execnz .LBB22_2864
.LBB22_814:
	s_or_b64 exec, exec, s[6:7]
	s_and_saveexec_b64 s[6:7], s[4:5]
	s_cbranch_execz .LBB22_816
.LBB22_815:
	v_bfe_u32 v20, v11, 8, 3
	v_ffbh_u32_e32 v22, v20
	v_min_u32_e32 v22, 32, v22
	v_lshrrev_b16_e32 v21, 3, v14
	v_subrev_u32_e32 v23, 28, v22
	v_and_b32_e32 v21, 15, v21
	v_lshlrev_b32_e32 v14, v23, v14
	v_sub_u32_e32 v22, 29, v22
	v_and_b32_e32 v14, 7, v14
	v_cmp_eq_u16_e32 vcc, 0, v21
	v_cndmask_b32_e32 v14, v20, v14, vcc
	v_cndmask_b32_e32 v20, v21, v22, vcc
	v_lshlrev_b32_e32 v21, 16, v11
	v_mov_b32_e32 v22, 0x3b800000
	v_lshlrev_b32_e32 v14, 20, v14
	v_and_b32_e32 v21, 0x80000000, v21
	v_lshl_add_u32 v20, v20, 23, v22
	v_or3_b32 v20, v21, v20, v14
.LBB22_816:
	s_or_b64 exec, exec, s[6:7]
	s_nop 0
	v_mfma_f32_16x16x4f32 a[0:3], v10, v20, a[0:3]
	s_movk_i32 s4, 0xff
	v_and_b32_sdwa v14, v15, s4 dst_sel:DWORD dst_unused:UNUSED_PAD src0_sel:WORD_1 src1_sel:DWORD
	s_movk_i32 s4, 0x7f
	v_cmp_lt_i16_e32 vcc, s4, v14
	s_mov_b64 s[4:5], 0
                                        ; implicit-def: $sgpr10
	s_and_saveexec_b64 s[6:7], vcc
	s_xor_b64 s[6:7], exec, s[6:7]
	s_cbranch_execnz .LBB22_2865
; %bb.817:
	s_or_saveexec_b64 s[6:7], s[6:7]
	v_mov_b32_e32 v10, s10
	s_xor_b64 exec, exec, s[6:7]
	s_cbranch_execnz .LBB22_2868
.LBB22_818:
	s_or_b64 exec, exec, s[6:7]
	s_and_saveexec_b64 s[6:7], s[4:5]
	s_cbranch_execz .LBB22_820
.LBB22_819:
	v_bfe_u32 v10, v15, 16, 3
	v_ffbh_u32_e32 v21, v10
	v_min_u32_e32 v21, 32, v21
	v_lshrrev_b32_e32 v14, 19, v15
	v_subrev_u32_e32 v22, 28, v21
	v_and_b32_e32 v14, 15, v14
	v_lshlrev_b32_sdwa v22, v22, v15 dst_sel:DWORD dst_unused:UNUSED_PAD src0_sel:DWORD src1_sel:WORD_1
	v_bfe_u32 v20, v15, 19, 4
	v_sub_u32_e32 v21, 29, v21
	v_and_b32_e32 v22, 7, v22
	v_cmp_eq_u16_e32 vcc, 0, v14
	v_cndmask_b32_e32 v10, v10, v22, vcc
	v_cndmask_b32_e32 v14, v20, v21, vcc
	v_lshlrev_b32_e32 v20, 8, v15
	v_mov_b32_e32 v21, 0x3b800000
	v_lshlrev_b32_e32 v10, 20, v10
	v_and_b32_e32 v20, 0x80000000, v20
	v_lshl_add_u32 v14, v14, 23, v21
	v_or3_b32 v10, v20, v14, v10
.LBB22_820:
	s_or_b64 exec, exec, s[6:7]
	s_movk_i32 s4, 0xff
	v_and_b32_sdwa v14, v11, s4 dst_sel:DWORD dst_unused:UNUSED_PAD src0_sel:WORD_1 src1_sel:DWORD
	s_movk_i32 s4, 0x7f
	v_cmp_lt_i16_e32 vcc, s4, v14
	s_mov_b64 s[4:5], 0
                                        ; implicit-def: $sgpr10
	s_and_saveexec_b64 s[6:7], vcc
	s_xor_b64 s[6:7], exec, s[6:7]
	s_cbranch_execnz .LBB22_2869
; %bb.821:
	s_or_saveexec_b64 s[6:7], s[6:7]
	v_mov_b32_e32 v20, s10
	s_xor_b64 exec, exec, s[6:7]
	s_cbranch_execnz .LBB22_2872
.LBB22_822:
	s_or_b64 exec, exec, s[6:7]
	s_and_saveexec_b64 s[6:7], s[4:5]
	s_cbranch_execz .LBB22_824
.LBB22_823:
	v_bfe_u32 v14, v11, 16, 3
	v_ffbh_u32_e32 v22, v14
	v_min_u32_e32 v22, 32, v22
	v_lshrrev_b32_e32 v20, 19, v11
	v_subrev_u32_e32 v23, 28, v22
	v_and_b32_e32 v20, 15, v20
	v_lshlrev_b32_sdwa v23, v23, v11 dst_sel:DWORD dst_unused:UNUSED_PAD src0_sel:DWORD src1_sel:WORD_1
	v_bfe_u32 v21, v11, 19, 4
	v_sub_u32_e32 v22, 29, v22
	v_and_b32_e32 v23, 7, v23
	v_cmp_eq_u16_e32 vcc, 0, v20
	v_cndmask_b32_e32 v14, v14, v23, vcc
	v_cndmask_b32_e32 v20, v21, v22, vcc
	v_lshlrev_b32_e32 v21, 8, v11
	v_mov_b32_e32 v22, 0x3b800000
	v_lshlrev_b32_e32 v14, 20, v14
	v_and_b32_e32 v21, 0x80000000, v21
	v_lshl_add_u32 v20, v20, 23, v22
	v_or3_b32 v20, v21, v20, v14
.LBB22_824:
	s_or_b64 exec, exec, s[6:7]
	s_nop 0
	v_mfma_f32_16x16x4f32 a[0:3], v10, v20, a[0:3]
	s_movk_i32 s4, 0x7f
	v_cmp_gt_i16_sdwa s[6:7], v15, s4 src0_sel:BYTE_3 src1_sel:DWORD
	s_mov_b64 s[4:5], 0
                                        ; implicit-def: $sgpr10
	s_and_saveexec_b64 s[8:9], s[6:7]
	s_xor_b64 s[6:7], exec, s[8:9]
	s_cbranch_execnz .LBB22_2873
; %bb.825:
	s_or_saveexec_b64 s[6:7], s[6:7]
	v_mov_b32_e32 v10, s10
	s_xor_b64 exec, exec, s[6:7]
	s_cbranch_execnz .LBB22_2876
.LBB22_826:
	s_or_b64 exec, exec, s[6:7]
	s_and_saveexec_b64 s[6:7], s[4:5]
	s_cbranch_execz .LBB22_828
.LBB22_827:
	v_bfe_u32 v10, v15, 24, 3
	v_ffbh_u32_e32 v22, v10
	v_min_u32_e32 v22, 32, v22
	v_lshrrev_b32_e32 v20, 27, v15
	v_subrev_u32_e32 v23, 28, v22
	v_and_b32_e32 v14, 0x80000000, v15
	v_and_b32_e32 v20, 15, v20
	v_bfe_u32 v21, v15, 27, 4
	v_lshlrev_b32_sdwa v15, v23, v15 dst_sel:DWORD dst_unused:UNUSED_PAD src0_sel:DWORD src1_sel:BYTE_3
	v_sub_u32_e32 v22, 29, v22
	v_and_b32_e32 v15, 7, v15
	v_cmp_eq_u16_e32 vcc, 0, v20
	v_cndmask_b32_e32 v10, v10, v15, vcc
	v_cndmask_b32_e32 v15, v21, v22, vcc
	v_mov_b32_e32 v20, 0x3b800000
	v_lshlrev_b32_e32 v10, 20, v10
	v_lshl_add_u32 v15, v15, 23, v20
	v_or3_b32 v10, v14, v15, v10
.LBB22_828:
	s_or_b64 exec, exec, s[6:7]
	s_movk_i32 s4, 0x7f
	v_cmp_gt_i16_sdwa s[6:7], v11, s4 src0_sel:BYTE_3 src1_sel:DWORD
	s_mov_b64 s[4:5], 0
                                        ; implicit-def: $sgpr10
	s_and_saveexec_b64 s[8:9], s[6:7]
	s_xor_b64 s[6:7], exec, s[8:9]
	s_cbranch_execnz .LBB22_2877
; %bb.829:
	s_or_saveexec_b64 s[6:7], s[6:7]
	v_mov_b32_e32 v14, s10
	s_xor_b64 exec, exec, s[6:7]
	s_cbranch_execnz .LBB22_2880
.LBB22_830:
	s_or_b64 exec, exec, s[6:7]
	s_and_saveexec_b64 s[6:7], s[4:5]
	s_cbranch_execz .LBB22_832
.LBB22_831:
	v_bfe_u32 v14, v11, 24, 3
	v_ffbh_u32_e32 v22, v14
	v_min_u32_e32 v22, 32, v22
	v_lshrrev_b32_e32 v20, 27, v11
	v_subrev_u32_e32 v23, 28, v22
	v_and_b32_e32 v15, 0x80000000, v11
	v_and_b32_e32 v20, 15, v20
	v_bfe_u32 v21, v11, 27, 4
	v_lshlrev_b32_sdwa v11, v23, v11 dst_sel:DWORD dst_unused:UNUSED_PAD src0_sel:DWORD src1_sel:BYTE_3
	v_sub_u32_e32 v22, 29, v22
	v_and_b32_e32 v11, 7, v11
	v_cmp_eq_u16_e32 vcc, 0, v20
	v_cndmask_b32_e32 v11, v14, v11, vcc
	v_cndmask_b32_e32 v14, v21, v22, vcc
	v_mov_b32_e32 v20, 0x3b800000
	v_lshlrev_b32_e32 v11, 20, v11
	v_lshl_add_u32 v14, v14, 23, v20
	v_or3_b32 v14, v15, v14, v11
.LBB22_832:
	s_or_b64 exec, exec, s[6:7]
	s_nop 0
	v_mfma_f32_16x16x4f32 a[0:3], v10, v14, a[0:3]
	s_movk_i32 s4, 0x7f
	v_cmp_gt_i16_sdwa s[6:7], v16, s4 src0_sel:BYTE_0 src1_sel:DWORD
	s_mov_b64 s[4:5], 0
                                        ; implicit-def: $sgpr10
	s_and_saveexec_b64 s[8:9], s[6:7]
	s_xor_b64 s[6:7], exec, s[8:9]
	s_cbranch_execnz .LBB22_2881
; %bb.833:
	s_or_saveexec_b64 s[6:7], s[6:7]
	v_mov_b32_e32 v10, s10
	s_xor_b64 exec, exec, s[6:7]
	s_cbranch_execnz .LBB22_2884
.LBB22_834:
	s_or_b64 exec, exec, s[6:7]
	s_and_saveexec_b64 s[6:7], s[4:5]
	s_cbranch_execz .LBB22_836
.LBB22_835:
	v_and_b32_e32 v10, 7, v16
	v_ffbh_u32_e32 v14, v10
	v_min_u32_e32 v14, 32, v14
	v_lshrrev_b16_e32 v11, 3, v16
	v_subrev_u32_e32 v15, 28, v14
	v_and_b32_e32 v11, 15, v11
	v_lshlrev_b32_e32 v15, v15, v16
	v_sub_u32_e32 v14, 29, v14
	v_and_b32_e32 v15, 7, v15
	v_cmp_eq_u16_e32 vcc, 0, v11
	v_cndmask_b32_e32 v10, v10, v15, vcc
	v_cndmask_b32_e32 v11, v11, v14, vcc
	v_lshlrev_b32_e32 v14, 24, v16
	v_mov_b32_e32 v15, 0x3b800000
	v_lshlrev_b32_e32 v10, 20, v10
	v_and_b32_e32 v14, 0x80000000, v14
	v_lshl_add_u32 v11, v11, 23, v15
	v_or3_b32 v10, v14, v11, v10
.LBB22_836:
	s_or_b64 exec, exec, s[6:7]
	s_movk_i32 s4, 0x7f
	v_cmp_gt_i16_sdwa s[6:7], v12, s4 src0_sel:BYTE_0 src1_sel:DWORD
	s_mov_b64 s[4:5], 0
                                        ; implicit-def: $sgpr10
	s_and_saveexec_b64 s[8:9], s[6:7]
	s_xor_b64 s[6:7], exec, s[8:9]
	s_cbranch_execnz .LBB22_2885
; %bb.837:
	s_or_saveexec_b64 s[6:7], s[6:7]
	v_mov_b32_e32 v11, s10
	s_xor_b64 exec, exec, s[6:7]
	s_cbranch_execnz .LBB22_2888
.LBB22_838:
	s_or_b64 exec, exec, s[6:7]
	s_and_saveexec_b64 s[6:7], s[4:5]
	s_cbranch_execz .LBB22_840
.LBB22_839:
	v_and_b32_e32 v11, 7, v12
	v_ffbh_u32_e32 v15, v11
	v_min_u32_e32 v15, 32, v15
	v_lshrrev_b16_e32 v14, 3, v12
	v_subrev_u32_e32 v20, 28, v15
	v_and_b32_e32 v14, 15, v14
	v_lshlrev_b32_e32 v20, v20, v12
	v_sub_u32_e32 v15, 29, v15
	v_and_b32_e32 v20, 7, v20
	v_cmp_eq_u16_e32 vcc, 0, v14
	v_cndmask_b32_e32 v11, v11, v20, vcc
	v_cndmask_b32_e32 v14, v14, v15, vcc
	v_lshlrev_b32_e32 v15, 24, v12
	v_mov_b32_e32 v20, 0x3b800000
	v_lshlrev_b32_e32 v11, 20, v11
	v_and_b32_e32 v15, 0x80000000, v15
	v_lshl_add_u32 v14, v14, 23, v20
	v_or3_b32 v11, v15, v14, v11
.LBB22_840:
	s_or_b64 exec, exec, s[6:7]
	s_nop 0
	v_mfma_f32_16x16x4f32 a[0:3], v10, v11, a[0:3]
	v_lshrrev_b32_e32 v11, 8, v16
	s_movk_i32 s4, 0x7f
	v_cmp_gt_i16_sdwa s[6:7], v11, s4 src0_sel:BYTE_0 src1_sel:DWORD
	s_mov_b64 s[4:5], 0
                                        ; implicit-def: $sgpr10
	s_and_saveexec_b64 s[8:9], s[6:7]
	s_xor_b64 s[6:7], exec, s[8:9]
	s_cbranch_execnz .LBB22_2889
; %bb.841:
	s_or_saveexec_b64 s[6:7], s[6:7]
	v_mov_b32_e32 v10, s10
	s_xor_b64 exec, exec, s[6:7]
	s_cbranch_execnz .LBB22_2892
.LBB22_842:
	s_or_b64 exec, exec, s[6:7]
	s_and_saveexec_b64 s[6:7], s[4:5]
	s_cbranch_execz .LBB22_844
.LBB22_843:
	v_bfe_u32 v10, v16, 8, 3
	v_ffbh_u32_e32 v15, v10
	v_min_u32_e32 v15, 32, v15
	v_lshrrev_b16_e32 v14, 3, v11
	v_subrev_u32_e32 v20, 28, v15
	v_and_b32_e32 v14, 15, v14
	v_lshlrev_b32_e32 v11, v20, v11
	v_sub_u32_e32 v15, 29, v15
	v_and_b32_e32 v11, 7, v11
	v_cmp_eq_u16_e32 vcc, 0, v14
	v_cndmask_b32_e32 v10, v10, v11, vcc
	v_cndmask_b32_e32 v11, v14, v15, vcc
	v_lshlrev_b32_e32 v14, 16, v16
	v_mov_b32_e32 v15, 0x3b800000
	v_lshlrev_b32_e32 v10, 20, v10
	v_and_b32_e32 v14, 0x80000000, v14
	v_lshl_add_u32 v11, v11, 23, v15
	v_or3_b32 v10, v14, v11, v10
.LBB22_844:
	s_or_b64 exec, exec, s[6:7]
	v_lshrrev_b32_e32 v11, 8, v12
	s_movk_i32 s4, 0x7f
	v_cmp_gt_i16_sdwa s[6:7], v11, s4 src0_sel:BYTE_0 src1_sel:DWORD
	s_mov_b64 s[4:5], 0
                                        ; implicit-def: $sgpr10
	s_and_saveexec_b64 s[8:9], s[6:7]
	s_xor_b64 s[6:7], exec, s[8:9]
	s_cbranch_execnz .LBB22_2893
; %bb.845:
	s_or_saveexec_b64 s[6:7], s[6:7]
	v_mov_b32_e32 v14, s10
	s_xor_b64 exec, exec, s[6:7]
	s_cbranch_execnz .LBB22_2896
.LBB22_846:
	s_or_b64 exec, exec, s[6:7]
	s_and_saveexec_b64 s[6:7], s[4:5]
	s_cbranch_execz .LBB22_848
.LBB22_847:
	v_bfe_u32 v14, v12, 8, 3
	v_ffbh_u32_e32 v20, v14
	v_min_u32_e32 v20, 32, v20
	v_lshrrev_b16_e32 v15, 3, v11
	v_subrev_u32_e32 v21, 28, v20
	v_and_b32_e32 v15, 15, v15
	v_lshlrev_b32_e32 v11, v21, v11
	v_sub_u32_e32 v20, 29, v20
	v_and_b32_e32 v11, 7, v11
	v_cmp_eq_u16_e32 vcc, 0, v15
	v_cndmask_b32_e32 v11, v14, v11, vcc
	v_cndmask_b32_e32 v14, v15, v20, vcc
	v_lshlrev_b32_e32 v15, 16, v12
	v_mov_b32_e32 v20, 0x3b800000
	v_lshlrev_b32_e32 v11, 20, v11
	v_and_b32_e32 v15, 0x80000000, v15
	v_lshl_add_u32 v14, v14, 23, v20
	v_or3_b32 v14, v15, v14, v11
.LBB22_848:
	s_or_b64 exec, exec, s[6:7]
	s_nop 0
	v_mfma_f32_16x16x4f32 a[0:3], v10, v14, a[0:3]
	s_movk_i32 s4, 0xff
	v_and_b32_sdwa v11, v16, s4 dst_sel:DWORD dst_unused:UNUSED_PAD src0_sel:WORD_1 src1_sel:DWORD
	s_movk_i32 s4, 0x7f
	v_cmp_lt_i16_e32 vcc, s4, v11
	s_mov_b64 s[4:5], 0
                                        ; implicit-def: $sgpr10
	s_and_saveexec_b64 s[6:7], vcc
	s_xor_b64 s[6:7], exec, s[6:7]
	s_cbranch_execnz .LBB22_2897
; %bb.849:
	s_or_saveexec_b64 s[6:7], s[6:7]
	v_mov_b32_e32 v10, s10
	s_xor_b64 exec, exec, s[6:7]
	s_cbranch_execnz .LBB22_2900
.LBB22_850:
	s_or_b64 exec, exec, s[6:7]
	s_and_saveexec_b64 s[6:7], s[4:5]
	s_cbranch_execz .LBB22_852
.LBB22_851:
	v_bfe_u32 v10, v16, 16, 3
	v_ffbh_u32_e32 v15, v10
	v_min_u32_e32 v15, 32, v15
	v_lshrrev_b32_e32 v11, 19, v16
	v_subrev_u32_e32 v20, 28, v15
	v_and_b32_e32 v11, 15, v11
	v_lshlrev_b32_sdwa v20, v20, v16 dst_sel:DWORD dst_unused:UNUSED_PAD src0_sel:DWORD src1_sel:WORD_1
	v_bfe_u32 v14, v16, 19, 4
	v_sub_u32_e32 v15, 29, v15
	v_and_b32_e32 v20, 7, v20
	v_cmp_eq_u16_e32 vcc, 0, v11
	v_cndmask_b32_e32 v10, v10, v20, vcc
	v_cndmask_b32_e32 v11, v14, v15, vcc
	v_lshlrev_b32_e32 v14, 8, v16
	v_mov_b32_e32 v15, 0x3b800000
	v_lshlrev_b32_e32 v10, 20, v10
	v_and_b32_e32 v14, 0x80000000, v14
	v_lshl_add_u32 v11, v11, 23, v15
	v_or3_b32 v10, v14, v11, v10
.LBB22_852:
	s_or_b64 exec, exec, s[6:7]
	s_movk_i32 s4, 0xff
	v_and_b32_sdwa v11, v12, s4 dst_sel:DWORD dst_unused:UNUSED_PAD src0_sel:WORD_1 src1_sel:DWORD
	s_movk_i32 s4, 0x7f
	v_cmp_lt_i16_e32 vcc, s4, v11
	s_mov_b64 s[4:5], 0
                                        ; implicit-def: $sgpr10
	s_and_saveexec_b64 s[6:7], vcc
	s_xor_b64 s[6:7], exec, s[6:7]
	s_cbranch_execnz .LBB22_2901
; %bb.853:
	s_or_saveexec_b64 s[6:7], s[6:7]
	v_mov_b32_e32 v14, s10
	s_xor_b64 exec, exec, s[6:7]
	s_cbranch_execnz .LBB22_2904
.LBB22_854:
	s_or_b64 exec, exec, s[6:7]
	s_and_saveexec_b64 s[6:7], s[4:5]
	s_cbranch_execz .LBB22_856
.LBB22_855:
	v_bfe_u32 v11, v12, 16, 3
	v_ffbh_u32_e32 v20, v11
	v_min_u32_e32 v20, 32, v20
	v_lshrrev_b32_e32 v14, 19, v12
	v_subrev_u32_e32 v21, 28, v20
	v_and_b32_e32 v14, 15, v14
	v_lshlrev_b32_sdwa v21, v21, v12 dst_sel:DWORD dst_unused:UNUSED_PAD src0_sel:DWORD src1_sel:WORD_1
	v_bfe_u32 v15, v12, 19, 4
	v_sub_u32_e32 v20, 29, v20
	v_and_b32_e32 v21, 7, v21
	v_cmp_eq_u16_e32 vcc, 0, v14
	v_cndmask_b32_e32 v11, v11, v21, vcc
	v_cndmask_b32_e32 v14, v15, v20, vcc
	v_lshlrev_b32_e32 v15, 8, v12
	v_mov_b32_e32 v20, 0x3b800000
	v_lshlrev_b32_e32 v11, 20, v11
	v_and_b32_e32 v15, 0x80000000, v15
	v_lshl_add_u32 v14, v14, 23, v20
	v_or3_b32 v14, v15, v14, v11
.LBB22_856:
	s_or_b64 exec, exec, s[6:7]
	s_nop 0
	v_mfma_f32_16x16x4f32 a[0:3], v10, v14, a[0:3]
	s_movk_i32 s4, 0x7f
	v_cmp_gt_i16_sdwa s[6:7], v16, s4 src0_sel:BYTE_3 src1_sel:DWORD
	s_mov_b64 s[4:5], 0
                                        ; implicit-def: $sgpr10
	s_and_saveexec_b64 s[8:9], s[6:7]
	s_xor_b64 s[6:7], exec, s[8:9]
	s_cbranch_execnz .LBB22_2905
; %bb.857:
	s_or_saveexec_b64 s[6:7], s[6:7]
	v_mov_b32_e32 v10, s10
	s_xor_b64 exec, exec, s[6:7]
	s_cbranch_execnz .LBB22_2908
.LBB22_858:
	s_or_b64 exec, exec, s[6:7]
	s_and_saveexec_b64 s[6:7], s[4:5]
	s_cbranch_execz .LBB22_860
.LBB22_859:
	v_bfe_u32 v10, v16, 24, 3
	v_ffbh_u32_e32 v20, v10
	v_min_u32_e32 v20, 32, v20
	v_lshrrev_b32_e32 v14, 27, v16
	v_subrev_u32_e32 v21, 28, v20
	v_and_b32_e32 v11, 0x80000000, v16
	v_and_b32_e32 v14, 15, v14
	v_bfe_u32 v15, v16, 27, 4
	v_lshlrev_b32_sdwa v16, v21, v16 dst_sel:DWORD dst_unused:UNUSED_PAD src0_sel:DWORD src1_sel:BYTE_3
	v_sub_u32_e32 v20, 29, v20
	v_and_b32_e32 v16, 7, v16
	v_cmp_eq_u16_e32 vcc, 0, v14
	v_cndmask_b32_e32 v10, v10, v16, vcc
	v_cndmask_b32_e32 v14, v15, v20, vcc
	v_mov_b32_e32 v15, 0x3b800000
	v_lshlrev_b32_e32 v10, 20, v10
	v_lshl_add_u32 v14, v14, 23, v15
	v_or3_b32 v10, v11, v14, v10
.LBB22_860:
	s_or_b64 exec, exec, s[6:7]
	s_movk_i32 s4, 0x7f
	v_cmp_gt_i16_sdwa s[6:7], v12, s4 src0_sel:BYTE_3 src1_sel:DWORD
	s_mov_b64 s[4:5], 0
                                        ; implicit-def: $sgpr10
	s_and_saveexec_b64 s[8:9], s[6:7]
	s_xor_b64 s[6:7], exec, s[8:9]
	s_cbranch_execnz .LBB22_2909
; %bb.861:
	s_or_saveexec_b64 s[6:7], s[6:7]
	v_mov_b32_e32 v11, s10
	s_xor_b64 exec, exec, s[6:7]
	s_cbranch_execnz .LBB22_2912
.LBB22_862:
	s_or_b64 exec, exec, s[6:7]
	s_and_saveexec_b64 s[6:7], s[4:5]
	s_cbranch_execz .LBB22_864
.LBB22_863:
	v_bfe_u32 v11, v12, 24, 3
	v_ffbh_u32_e32 v20, v11
	v_min_u32_e32 v20, 32, v20
	v_lshrrev_b32_e32 v15, 27, v12
	v_subrev_u32_e32 v21, 28, v20
	v_and_b32_e32 v14, 0x80000000, v12
	v_and_b32_e32 v15, 15, v15
	v_bfe_u32 v16, v12, 27, 4
	v_lshlrev_b32_sdwa v12, v21, v12 dst_sel:DWORD dst_unused:UNUSED_PAD src0_sel:DWORD src1_sel:BYTE_3
	v_sub_u32_e32 v20, 29, v20
	v_and_b32_e32 v12, 7, v12
	v_cmp_eq_u16_e32 vcc, 0, v15
	v_cndmask_b32_e32 v11, v11, v12, vcc
	v_cndmask_b32_e32 v12, v16, v20, vcc
	v_mov_b32_e32 v15, 0x3b800000
	v_lshlrev_b32_e32 v11, 20, v11
	v_lshl_add_u32 v12, v12, 23, v15
	v_or3_b32 v11, v14, v12, v11
.LBB22_864:
	s_or_b64 exec, exec, s[6:7]
	s_nop 0
	v_mfma_f32_16x16x4f32 a[0:3], v10, v11, a[0:3]
	s_movk_i32 s4, 0x7f
	v_cmp_gt_i16_sdwa s[6:7], v17, s4 src0_sel:BYTE_0 src1_sel:DWORD
	s_mov_b64 s[4:5], 0
                                        ; implicit-def: $sgpr10
	s_and_saveexec_b64 s[8:9], s[6:7]
	s_xor_b64 s[6:7], exec, s[8:9]
	s_cbranch_execnz .LBB22_2913
; %bb.865:
	s_or_saveexec_b64 s[6:7], s[6:7]
	v_mov_b32_e32 v10, s10
	s_xor_b64 exec, exec, s[6:7]
	s_cbranch_execnz .LBB22_2916
.LBB22_866:
	s_or_b64 exec, exec, s[6:7]
	s_and_saveexec_b64 s[6:7], s[4:5]
	s_cbranch_execz .LBB22_868
.LBB22_867:
	v_and_b32_e32 v10, 7, v17
	v_ffbh_u32_e32 v12, v10
	v_min_u32_e32 v12, 32, v12
	v_lshrrev_b16_e32 v11, 3, v17
	v_subrev_u32_e32 v14, 28, v12
	v_and_b32_e32 v11, 15, v11
	v_lshlrev_b32_e32 v14, v14, v17
	v_sub_u32_e32 v12, 29, v12
	v_and_b32_e32 v14, 7, v14
	v_cmp_eq_u16_e32 vcc, 0, v11
	v_cndmask_b32_e32 v10, v10, v14, vcc
	v_cndmask_b32_e32 v11, v11, v12, vcc
	v_lshlrev_b32_e32 v12, 24, v17
	v_mov_b32_e32 v14, 0x3b800000
	v_lshlrev_b32_e32 v10, 20, v10
	v_and_b32_e32 v12, 0x80000000, v12
	v_lshl_add_u32 v11, v11, 23, v14
	v_or3_b32 v10, v12, v11, v10
.LBB22_868:
	s_or_b64 exec, exec, s[6:7]
	s_movk_i32 s4, 0x7f
	v_cmp_gt_i16_sdwa s[6:7], v13, s4 src0_sel:BYTE_0 src1_sel:DWORD
	s_mov_b64 s[4:5], 0
                                        ; implicit-def: $sgpr10
	s_and_saveexec_b64 s[8:9], s[6:7]
	s_xor_b64 s[6:7], exec, s[8:9]
	s_cbranch_execnz .LBB22_2917
; %bb.869:
	s_or_saveexec_b64 s[6:7], s[6:7]
	v_mov_b32_e32 v11, s10
	s_xor_b64 exec, exec, s[6:7]
	s_cbranch_execnz .LBB22_2920
.LBB22_870:
	s_or_b64 exec, exec, s[6:7]
	s_and_saveexec_b64 s[6:7], s[4:5]
	s_cbranch_execz .LBB22_872
.LBB22_871:
	v_and_b32_e32 v11, 7, v13
	v_ffbh_u32_e32 v14, v11
	v_min_u32_e32 v14, 32, v14
	v_lshrrev_b16_e32 v12, 3, v13
	v_subrev_u32_e32 v15, 28, v14
	v_and_b32_e32 v12, 15, v12
	v_lshlrev_b32_e32 v15, v15, v13
	v_sub_u32_e32 v14, 29, v14
	v_and_b32_e32 v15, 7, v15
	v_cmp_eq_u16_e32 vcc, 0, v12
	v_cndmask_b32_e32 v11, v11, v15, vcc
	v_cndmask_b32_e32 v12, v12, v14, vcc
	v_lshlrev_b32_e32 v14, 24, v13
	v_mov_b32_e32 v15, 0x3b800000
	v_lshlrev_b32_e32 v11, 20, v11
	v_and_b32_e32 v14, 0x80000000, v14
	v_lshl_add_u32 v12, v12, 23, v15
	v_or3_b32 v11, v14, v12, v11
.LBB22_872:
	s_or_b64 exec, exec, s[6:7]
	s_nop 0
	v_mfma_f32_16x16x4f32 a[0:3], v10, v11, a[0:3]
	v_lshrrev_b32_e32 v11, 8, v17
	s_movk_i32 s4, 0x7f
	v_cmp_gt_i16_sdwa s[6:7], v11, s4 src0_sel:BYTE_0 src1_sel:DWORD
	s_mov_b64 s[4:5], 0
                                        ; implicit-def: $sgpr10
	s_and_saveexec_b64 s[8:9], s[6:7]
	s_xor_b64 s[6:7], exec, s[8:9]
	s_cbranch_execnz .LBB22_2921
; %bb.873:
	s_or_saveexec_b64 s[6:7], s[6:7]
	v_mov_b32_e32 v10, s10
	s_xor_b64 exec, exec, s[6:7]
	s_cbranch_execnz .LBB22_2924
.LBB22_874:
	s_or_b64 exec, exec, s[6:7]
	s_and_saveexec_b64 s[6:7], s[4:5]
	s_cbranch_execz .LBB22_876
.LBB22_875:
	v_bfe_u32 v10, v17, 8, 3
	v_ffbh_u32_e32 v14, v10
	v_min_u32_e32 v14, 32, v14
	v_lshrrev_b16_e32 v12, 3, v11
	v_subrev_u32_e32 v15, 28, v14
	v_and_b32_e32 v12, 15, v12
	v_lshlrev_b32_e32 v11, v15, v11
	v_sub_u32_e32 v14, 29, v14
	v_and_b32_e32 v11, 7, v11
	v_cmp_eq_u16_e32 vcc, 0, v12
	v_cndmask_b32_e32 v10, v10, v11, vcc
	v_cndmask_b32_e32 v11, v12, v14, vcc
	v_lshlrev_b32_e32 v12, 16, v17
	v_mov_b32_e32 v14, 0x3b800000
	v_lshlrev_b32_e32 v10, 20, v10
	v_and_b32_e32 v12, 0x80000000, v12
	v_lshl_add_u32 v11, v11, 23, v14
	v_or3_b32 v10, v12, v11, v10
.LBB22_876:
	s_or_b64 exec, exec, s[6:7]
	v_lshrrev_b32_e32 v11, 8, v13
	s_movk_i32 s4, 0x7f
	v_cmp_gt_i16_sdwa s[6:7], v11, s4 src0_sel:BYTE_0 src1_sel:DWORD
	s_mov_b64 s[4:5], 0
                                        ; implicit-def: $sgpr10
	s_and_saveexec_b64 s[8:9], s[6:7]
	s_xor_b64 s[6:7], exec, s[8:9]
	s_cbranch_execnz .LBB22_2925
; %bb.877:
	s_or_saveexec_b64 s[6:7], s[6:7]
	v_mov_b32_e32 v12, s10
	s_xor_b64 exec, exec, s[6:7]
	s_cbranch_execnz .LBB22_2928
.LBB22_878:
	s_or_b64 exec, exec, s[6:7]
	s_and_saveexec_b64 s[6:7], s[4:5]
	s_cbranch_execz .LBB22_880
.LBB22_879:
	v_bfe_u32 v12, v13, 8, 3
	v_ffbh_u32_e32 v15, v12
	v_min_u32_e32 v15, 32, v15
	v_lshrrev_b16_e32 v14, 3, v11
	v_subrev_u32_e32 v16, 28, v15
	v_and_b32_e32 v14, 15, v14
	v_lshlrev_b32_e32 v11, v16, v11
	v_sub_u32_e32 v15, 29, v15
	v_and_b32_e32 v11, 7, v11
	v_cmp_eq_u16_e32 vcc, 0, v14
	v_cndmask_b32_e32 v11, v12, v11, vcc
	v_cndmask_b32_e32 v12, v14, v15, vcc
	v_lshlrev_b32_e32 v14, 16, v13
	v_mov_b32_e32 v15, 0x3b800000
	v_lshlrev_b32_e32 v11, 20, v11
	v_and_b32_e32 v14, 0x80000000, v14
	v_lshl_add_u32 v12, v12, 23, v15
	v_or3_b32 v12, v14, v12, v11
.LBB22_880:
	s_or_b64 exec, exec, s[6:7]
	s_nop 0
	v_mfma_f32_16x16x4f32 a[0:3], v10, v12, a[0:3]
	s_movk_i32 s4, 0xff
	v_and_b32_sdwa v11, v17, s4 dst_sel:DWORD dst_unused:UNUSED_PAD src0_sel:WORD_1 src1_sel:DWORD
	s_movk_i32 s4, 0x7f
	v_cmp_lt_i16_e32 vcc, s4, v11
	s_mov_b64 s[4:5], 0
                                        ; implicit-def: $sgpr10
	s_and_saveexec_b64 s[6:7], vcc
	s_xor_b64 s[6:7], exec, s[6:7]
	s_cbranch_execnz .LBB22_2929
; %bb.881:
	s_or_saveexec_b64 s[6:7], s[6:7]
	v_mov_b32_e32 v10, s10
	s_xor_b64 exec, exec, s[6:7]
	s_cbranch_execnz .LBB22_2932
.LBB22_882:
	s_or_b64 exec, exec, s[6:7]
	s_and_saveexec_b64 s[6:7], s[4:5]
	s_cbranch_execz .LBB22_884
.LBB22_883:
	v_bfe_u32 v10, v17, 16, 3
	v_ffbh_u32_e32 v14, v10
	v_min_u32_e32 v14, 32, v14
	v_lshrrev_b32_e32 v11, 19, v17
	v_subrev_u32_e32 v15, 28, v14
	v_and_b32_e32 v11, 15, v11
	v_lshlrev_b32_sdwa v15, v15, v17 dst_sel:DWORD dst_unused:UNUSED_PAD src0_sel:DWORD src1_sel:WORD_1
	v_bfe_u32 v12, v17, 19, 4
	v_sub_u32_e32 v14, 29, v14
	v_and_b32_e32 v15, 7, v15
	v_cmp_eq_u16_e32 vcc, 0, v11
	v_cndmask_b32_e32 v10, v10, v15, vcc
	v_cndmask_b32_e32 v11, v12, v14, vcc
	v_lshlrev_b32_e32 v12, 8, v17
	v_mov_b32_e32 v14, 0x3b800000
	v_lshlrev_b32_e32 v10, 20, v10
	v_and_b32_e32 v12, 0x80000000, v12
	v_lshl_add_u32 v11, v11, 23, v14
	v_or3_b32 v10, v12, v11, v10
.LBB22_884:
	s_or_b64 exec, exec, s[6:7]
	s_movk_i32 s4, 0xff
	v_and_b32_sdwa v11, v13, s4 dst_sel:DWORD dst_unused:UNUSED_PAD src0_sel:WORD_1 src1_sel:DWORD
	s_movk_i32 s4, 0x7f
	v_cmp_lt_i16_e32 vcc, s4, v11
	s_mov_b64 s[4:5], 0
                                        ; implicit-def: $sgpr10
	s_and_saveexec_b64 s[6:7], vcc
	s_xor_b64 s[6:7], exec, s[6:7]
	s_cbranch_execnz .LBB22_2933
; %bb.885:
	s_or_saveexec_b64 s[6:7], s[6:7]
	v_mov_b32_e32 v12, s10
	s_xor_b64 exec, exec, s[6:7]
	s_cbranch_execnz .LBB22_2936
.LBB22_886:
	s_or_b64 exec, exec, s[6:7]
	s_and_saveexec_b64 s[6:7], s[4:5]
	s_cbranch_execz .LBB22_888
.LBB22_887:
	v_bfe_u32 v11, v13, 16, 3
	v_ffbh_u32_e32 v15, v11
	v_min_u32_e32 v15, 32, v15
	v_lshrrev_b32_e32 v12, 19, v13
	v_subrev_u32_e32 v16, 28, v15
	v_and_b32_e32 v12, 15, v12
	v_lshlrev_b32_sdwa v16, v16, v13 dst_sel:DWORD dst_unused:UNUSED_PAD src0_sel:DWORD src1_sel:WORD_1
	v_bfe_u32 v14, v13, 19, 4
	v_sub_u32_e32 v15, 29, v15
	v_and_b32_e32 v16, 7, v16
	v_cmp_eq_u16_e32 vcc, 0, v12
	v_cndmask_b32_e32 v11, v11, v16, vcc
	v_cndmask_b32_e32 v12, v14, v15, vcc
	v_lshlrev_b32_e32 v14, 8, v13
	v_mov_b32_e32 v15, 0x3b800000
	v_lshlrev_b32_e32 v11, 20, v11
	v_and_b32_e32 v14, 0x80000000, v14
	v_lshl_add_u32 v12, v12, 23, v15
	v_or3_b32 v12, v14, v12, v11
.LBB22_888:
	s_or_b64 exec, exec, s[6:7]
	s_nop 0
	v_mfma_f32_16x16x4f32 a[0:3], v10, v12, a[0:3]
	s_movk_i32 s4, 0x7f
	v_cmp_gt_i16_sdwa s[6:7], v17, s4 src0_sel:BYTE_3 src1_sel:DWORD
	s_mov_b64 s[4:5], 0
                                        ; implicit-def: $sgpr10
	s_and_saveexec_b64 s[8:9], s[6:7]
	s_xor_b64 s[6:7], exec, s[8:9]
	s_cbranch_execnz .LBB22_2937
; %bb.889:
	s_or_saveexec_b64 s[6:7], s[6:7]
	v_mov_b32_e32 v10, s10
	s_xor_b64 exec, exec, s[6:7]
	s_cbranch_execnz .LBB22_2940
.LBB22_890:
	s_or_b64 exec, exec, s[6:7]
	s_and_saveexec_b64 s[6:7], s[4:5]
	s_cbranch_execz .LBB22_892
.LBB22_891:
	v_bfe_u32 v10, v17, 24, 3
	v_ffbh_u32_e32 v15, v10
	v_min_u32_e32 v15, 32, v15
	v_lshrrev_b32_e32 v12, 27, v17
	v_subrev_u32_e32 v16, 28, v15
	v_and_b32_e32 v12, 15, v12
	v_lshlrev_b32_sdwa v16, v16, v17 dst_sel:DWORD dst_unused:UNUSED_PAD src0_sel:DWORD src1_sel:BYTE_3
	v_bfe_u32 v14, v17, 27, 4
	v_sub_u32_e32 v15, 29, v15
	v_and_b32_e32 v16, 7, v16
	v_cmp_eq_u16_e32 vcc, 0, v12
	v_cndmask_b32_e32 v10, v10, v16, vcc
	v_cndmask_b32_e32 v12, v14, v15, vcc
	v_mov_b32_e32 v14, 0x3b800000
	v_and_b32_e32 v11, 0x80000000, v17
	v_lshlrev_b32_e32 v10, 20, v10
	v_lshl_add_u32 v12, v12, 23, v14
	v_or3_b32 v10, v11, v12, v10
.LBB22_892:
	s_or_b64 exec, exec, s[6:7]
	s_movk_i32 s4, 0x7f
	v_cmp_gt_i16_sdwa s[6:7], v13, s4 src0_sel:BYTE_3 src1_sel:DWORD
	s_mov_b64 s[4:5], 0
                                        ; implicit-def: $sgpr10
	s_and_saveexec_b64 s[8:9], s[6:7]
	s_xor_b64 s[6:7], exec, s[8:9]
	s_cbranch_execnz .LBB22_2941
; %bb.893:
	s_or_saveexec_b64 s[6:7], s[6:7]
	v_mov_b32_e32 v11, s10
	s_xor_b64 exec, exec, s[6:7]
	s_cbranch_execnz .LBB22_2944
.LBB22_894:
	s_or_b64 exec, exec, s[6:7]
	s_and_saveexec_b64 s[6:7], s[4:5]
	s_cbranch_execz .LBB22_896
.LBB22_895:
	v_bfe_u32 v11, v13, 24, 3
	v_ffbh_u32_e32 v16, v11
	v_min_u32_e32 v16, 32, v16
	v_lshrrev_b32_e32 v14, 27, v13
	v_subrev_u32_e32 v17, 28, v16
	v_and_b32_e32 v12, 0x80000000, v13
	v_and_b32_e32 v14, 15, v14
	v_bfe_u32 v15, v13, 27, 4
	v_lshlrev_b32_sdwa v13, v17, v13 dst_sel:DWORD dst_unused:UNUSED_PAD src0_sel:DWORD src1_sel:BYTE_3
	v_sub_u32_e32 v16, 29, v16
	v_and_b32_e32 v13, 7, v13
	v_cmp_eq_u16_e32 vcc, 0, v14
	v_cndmask_b32_e32 v11, v11, v13, vcc
	v_cndmask_b32_e32 v13, v15, v16, vcc
	v_mov_b32_e32 v14, 0x3b800000
	v_lshlrev_b32_e32 v11, 20, v11
	v_lshl_add_u32 v13, v13, 23, v14
	v_or3_b32 v11, v12, v13, v11
.LBB22_896:
	s_or_b64 exec, exec, s[6:7]
	s_nop 0
	v_mfma_f32_16x16x4f32 a[0:3], v10, v11, a[0:3]
	s_movk_i32 s4, 0x7f
	v_cmp_gt_i16_sdwa s[6:7], v6, s4 src0_sel:BYTE_0 src1_sel:DWORD
	s_mov_b64 s[4:5], 0
                                        ; implicit-def: $sgpr10
	s_and_saveexec_b64 s[8:9], s[6:7]
	s_xor_b64 s[6:7], exec, s[8:9]
	s_cbranch_execnz .LBB22_2945
; %bb.897:
	s_or_saveexec_b64 s[6:7], s[6:7]
	v_mov_b32_e32 v10, s10
	s_xor_b64 exec, exec, s[6:7]
	s_cbranch_execnz .LBB22_2948
.LBB22_898:
	s_or_b64 exec, exec, s[6:7]
	s_and_saveexec_b64 s[6:7], s[4:5]
	s_cbranch_execz .LBB22_900
.LBB22_899:
	v_and_b32_e32 v10, 7, v6
	v_ffbh_u32_e32 v12, v10
	v_min_u32_e32 v12, 32, v12
	v_lshrrev_b16_e32 v11, 3, v6
	v_subrev_u32_e32 v13, 28, v12
	v_and_b32_e32 v11, 15, v11
	v_lshlrev_b32_e32 v13, v13, v6
	v_sub_u32_e32 v12, 29, v12
	v_and_b32_e32 v13, 7, v13
	v_cmp_eq_u16_e32 vcc, 0, v11
	v_cndmask_b32_e32 v10, v10, v13, vcc
	v_cndmask_b32_e32 v11, v11, v12, vcc
	v_lshlrev_b32_e32 v12, 24, v6
	v_mov_b32_e32 v13, 0x3b800000
	v_lshlrev_b32_e32 v10, 20, v10
	v_and_b32_e32 v12, 0x80000000, v12
	v_lshl_add_u32 v11, v11, 23, v13
	v_or3_b32 v10, v12, v11, v10
.LBB22_900:
	s_or_b64 exec, exec, s[6:7]
	s_movk_i32 s4, 0x7f
	v_cmp_gt_i16_sdwa s[6:7], v2, s4 src0_sel:BYTE_0 src1_sel:DWORD
	s_mov_b64 s[4:5], 0
                                        ; implicit-def: $sgpr10
	s_and_saveexec_b64 s[8:9], s[6:7]
	s_xor_b64 s[6:7], exec, s[8:9]
	s_cbranch_execnz .LBB22_2949
; %bb.901:
	s_or_saveexec_b64 s[6:7], s[6:7]
	v_mov_b32_e32 v11, s10
	s_xor_b64 exec, exec, s[6:7]
	s_cbranch_execnz .LBB22_2952
.LBB22_902:
	s_or_b64 exec, exec, s[6:7]
	s_and_saveexec_b64 s[6:7], s[4:5]
	s_cbranch_execz .LBB22_904
.LBB22_903:
	v_and_b32_e32 v11, 7, v2
	v_ffbh_u32_e32 v13, v11
	v_min_u32_e32 v13, 32, v13
	v_lshrrev_b16_e32 v12, 3, v2
	v_subrev_u32_e32 v14, 28, v13
	v_and_b32_e32 v12, 15, v12
	v_lshlrev_b32_e32 v14, v14, v2
	v_sub_u32_e32 v13, 29, v13
	v_and_b32_e32 v14, 7, v14
	v_cmp_eq_u16_e32 vcc, 0, v12
	v_cndmask_b32_e32 v11, v11, v14, vcc
	v_cndmask_b32_e32 v12, v12, v13, vcc
	v_lshlrev_b32_e32 v13, 24, v2
	v_mov_b32_e32 v14, 0x3b800000
	v_lshlrev_b32_e32 v11, 20, v11
	v_and_b32_e32 v13, 0x80000000, v13
	v_lshl_add_u32 v12, v12, 23, v14
	v_or3_b32 v11, v13, v12, v11
.LBB22_904:
	s_or_b64 exec, exec, s[6:7]
	s_nop 0
	v_mfma_f32_16x16x4f32 a[0:3], v10, v11, a[0:3]
	v_lshrrev_b32_e32 v11, 8, v6
	s_movk_i32 s4, 0x7f
	v_cmp_gt_i16_sdwa s[6:7], v11, s4 src0_sel:BYTE_0 src1_sel:DWORD
	s_mov_b64 s[4:5], 0
                                        ; implicit-def: $sgpr10
	s_and_saveexec_b64 s[8:9], s[6:7]
	s_xor_b64 s[6:7], exec, s[8:9]
	s_cbranch_execnz .LBB22_2953
; %bb.905:
	s_or_saveexec_b64 s[6:7], s[6:7]
	v_mov_b32_e32 v10, s10
	s_xor_b64 exec, exec, s[6:7]
	s_cbranch_execnz .LBB22_2956
.LBB22_906:
	s_or_b64 exec, exec, s[6:7]
	s_and_saveexec_b64 s[6:7], s[4:5]
	s_cbranch_execz .LBB22_908
.LBB22_907:
	v_bfe_u32 v10, v6, 8, 3
	v_ffbh_u32_e32 v13, v10
	v_min_u32_e32 v13, 32, v13
	v_lshrrev_b16_e32 v12, 3, v11
	v_subrev_u32_e32 v14, 28, v13
	v_and_b32_e32 v12, 15, v12
	v_lshlrev_b32_e32 v11, v14, v11
	v_sub_u32_e32 v13, 29, v13
	v_and_b32_e32 v11, 7, v11
	v_cmp_eq_u16_e32 vcc, 0, v12
	v_cndmask_b32_e32 v10, v10, v11, vcc
	v_cndmask_b32_e32 v11, v12, v13, vcc
	v_lshlrev_b32_e32 v12, 16, v6
	v_mov_b32_e32 v13, 0x3b800000
	v_lshlrev_b32_e32 v10, 20, v10
	v_and_b32_e32 v12, 0x80000000, v12
	v_lshl_add_u32 v11, v11, 23, v13
	v_or3_b32 v10, v12, v11, v10
.LBB22_908:
	s_or_b64 exec, exec, s[6:7]
	v_lshrrev_b32_e32 v11, 8, v2
	s_movk_i32 s4, 0x7f
	v_cmp_gt_i16_sdwa s[6:7], v11, s4 src0_sel:BYTE_0 src1_sel:DWORD
	s_mov_b64 s[4:5], 0
                                        ; implicit-def: $sgpr10
	s_and_saveexec_b64 s[8:9], s[6:7]
	s_xor_b64 s[6:7], exec, s[8:9]
	s_cbranch_execnz .LBB22_2957
; %bb.909:
	s_or_saveexec_b64 s[6:7], s[6:7]
	v_mov_b32_e32 v12, s10
	s_xor_b64 exec, exec, s[6:7]
	s_cbranch_execnz .LBB22_2960
.LBB22_910:
	s_or_b64 exec, exec, s[6:7]
	s_and_saveexec_b64 s[6:7], s[4:5]
	s_cbranch_execz .LBB22_912
.LBB22_911:
	v_bfe_u32 v12, v2, 8, 3
	v_ffbh_u32_e32 v14, v12
	v_min_u32_e32 v14, 32, v14
	v_lshrrev_b16_e32 v13, 3, v11
	v_subrev_u32_e32 v15, 28, v14
	v_and_b32_e32 v13, 15, v13
	v_lshlrev_b32_e32 v11, v15, v11
	v_sub_u32_e32 v14, 29, v14
	v_and_b32_e32 v11, 7, v11
	v_cmp_eq_u16_e32 vcc, 0, v13
	v_cndmask_b32_e32 v11, v12, v11, vcc
	v_cndmask_b32_e32 v12, v13, v14, vcc
	v_lshlrev_b32_e32 v13, 16, v2
	v_mov_b32_e32 v14, 0x3b800000
	v_lshlrev_b32_e32 v11, 20, v11
	v_and_b32_e32 v13, 0x80000000, v13
	v_lshl_add_u32 v12, v12, 23, v14
	v_or3_b32 v12, v13, v12, v11
.LBB22_912:
	s_or_b64 exec, exec, s[6:7]
	s_nop 0
	v_mfma_f32_16x16x4f32 a[0:3], v10, v12, a[0:3]
	s_movk_i32 s4, 0xff
	v_and_b32_sdwa v11, v6, s4 dst_sel:DWORD dst_unused:UNUSED_PAD src0_sel:WORD_1 src1_sel:DWORD
	s_movk_i32 s4, 0x7f
	v_cmp_lt_i16_e32 vcc, s4, v11
	s_mov_b64 s[4:5], 0
                                        ; implicit-def: $sgpr10
	s_and_saveexec_b64 s[6:7], vcc
	s_xor_b64 s[6:7], exec, s[6:7]
	s_cbranch_execnz .LBB22_2961
; %bb.913:
	s_or_saveexec_b64 s[6:7], s[6:7]
	v_mov_b32_e32 v10, s10
	s_xor_b64 exec, exec, s[6:7]
	s_cbranch_execnz .LBB22_2964
.LBB22_914:
	s_or_b64 exec, exec, s[6:7]
	s_and_saveexec_b64 s[6:7], s[4:5]
	s_cbranch_execz .LBB22_916
.LBB22_915:
	v_bfe_u32 v10, v6, 16, 3
	v_ffbh_u32_e32 v13, v10
	v_min_u32_e32 v13, 32, v13
	v_lshrrev_b32_e32 v11, 19, v6
	v_subrev_u32_e32 v14, 28, v13
	v_and_b32_e32 v11, 15, v11
	v_lshlrev_b32_sdwa v14, v14, v6 dst_sel:DWORD dst_unused:UNUSED_PAD src0_sel:DWORD src1_sel:WORD_1
	v_bfe_u32 v12, v6, 19, 4
	v_sub_u32_e32 v13, 29, v13
	v_and_b32_e32 v14, 7, v14
	v_cmp_eq_u16_e32 vcc, 0, v11
	v_cndmask_b32_e32 v10, v10, v14, vcc
	v_cndmask_b32_e32 v11, v12, v13, vcc
	v_lshlrev_b32_e32 v12, 8, v6
	v_mov_b32_e32 v13, 0x3b800000
	v_lshlrev_b32_e32 v10, 20, v10
	v_and_b32_e32 v12, 0x80000000, v12
	v_lshl_add_u32 v11, v11, 23, v13
	v_or3_b32 v10, v12, v11, v10
.LBB22_916:
	s_or_b64 exec, exec, s[6:7]
	s_movk_i32 s4, 0xff
	v_and_b32_sdwa v11, v2, s4 dst_sel:DWORD dst_unused:UNUSED_PAD src0_sel:WORD_1 src1_sel:DWORD
	s_movk_i32 s4, 0x7f
	v_cmp_lt_i16_e32 vcc, s4, v11
	s_mov_b64 s[4:5], 0
                                        ; implicit-def: $sgpr10
	s_and_saveexec_b64 s[6:7], vcc
	s_xor_b64 s[6:7], exec, s[6:7]
	s_cbranch_execnz .LBB22_2965
; %bb.917:
	s_or_saveexec_b64 s[6:7], s[6:7]
	v_mov_b32_e32 v12, s10
	s_xor_b64 exec, exec, s[6:7]
	s_cbranch_execnz .LBB22_2968
.LBB22_918:
	s_or_b64 exec, exec, s[6:7]
	s_and_saveexec_b64 s[6:7], s[4:5]
	s_cbranch_execz .LBB22_920
.LBB22_919:
	v_bfe_u32 v11, v2, 16, 3
	v_ffbh_u32_e32 v14, v11
	v_min_u32_e32 v14, 32, v14
	v_lshrrev_b32_e32 v12, 19, v2
	v_subrev_u32_e32 v15, 28, v14
	v_and_b32_e32 v12, 15, v12
	v_lshlrev_b32_sdwa v15, v15, v2 dst_sel:DWORD dst_unused:UNUSED_PAD src0_sel:DWORD src1_sel:WORD_1
	v_bfe_u32 v13, v2, 19, 4
	v_sub_u32_e32 v14, 29, v14
	v_and_b32_e32 v15, 7, v15
	v_cmp_eq_u16_e32 vcc, 0, v12
	v_cndmask_b32_e32 v11, v11, v15, vcc
	v_cndmask_b32_e32 v12, v13, v14, vcc
	v_lshlrev_b32_e32 v13, 8, v2
	v_mov_b32_e32 v14, 0x3b800000
	v_lshlrev_b32_e32 v11, 20, v11
	v_and_b32_e32 v13, 0x80000000, v13
	v_lshl_add_u32 v12, v12, 23, v14
	v_or3_b32 v12, v13, v12, v11
.LBB22_920:
	s_or_b64 exec, exec, s[6:7]
	s_nop 0
	v_mfma_f32_16x16x4f32 a[0:3], v10, v12, a[0:3]
	s_movk_i32 s4, 0x7f
	v_cmp_gt_i16_sdwa s[6:7], v6, s4 src0_sel:BYTE_3 src1_sel:DWORD
	s_mov_b64 s[4:5], 0
                                        ; implicit-def: $sgpr10
	s_and_saveexec_b64 s[8:9], s[6:7]
	s_xor_b64 s[6:7], exec, s[8:9]
	s_cbranch_execnz .LBB22_2969
; %bb.921:
	s_or_saveexec_b64 s[6:7], s[6:7]
	v_mov_b32_e32 v10, s10
	s_xor_b64 exec, exec, s[6:7]
	s_cbranch_execnz .LBB22_2972
.LBB22_922:
	s_or_b64 exec, exec, s[6:7]
	s_and_saveexec_b64 s[6:7], s[4:5]
	s_cbranch_execz .LBB22_924
.LBB22_923:
	v_bfe_u32 v10, v6, 24, 3
	v_ffbh_u32_e32 v14, v10
	v_min_u32_e32 v14, 32, v14
	v_lshrrev_b32_e32 v12, 27, v6
	v_subrev_u32_e32 v15, 28, v14
	v_and_b32_e32 v11, 0x80000000, v6
	v_and_b32_e32 v12, 15, v12
	v_bfe_u32 v13, v6, 27, 4
	v_lshlrev_b32_sdwa v6, v15, v6 dst_sel:DWORD dst_unused:UNUSED_PAD src0_sel:DWORD src1_sel:BYTE_3
	v_sub_u32_e32 v14, 29, v14
	v_and_b32_e32 v6, 7, v6
	v_cmp_eq_u16_e32 vcc, 0, v12
	v_cndmask_b32_e32 v6, v10, v6, vcc
	v_cndmask_b32_e32 v10, v13, v14, vcc
	v_mov_b32_e32 v12, 0x3b800000
	v_lshlrev_b32_e32 v6, 20, v6
	v_lshl_add_u32 v10, v10, 23, v12
	v_or3_b32 v10, v11, v10, v6
.LBB22_924:
	s_or_b64 exec, exec, s[6:7]
	s_movk_i32 s4, 0x7f
	v_cmp_gt_i16_sdwa s[6:7], v2, s4 src0_sel:BYTE_3 src1_sel:DWORD
	s_mov_b64 s[4:5], 0
                                        ; implicit-def: $sgpr10
	s_and_saveexec_b64 s[8:9], s[6:7]
	s_xor_b64 s[6:7], exec, s[8:9]
	s_cbranch_execnz .LBB22_2973
; %bb.925:
	s_or_saveexec_b64 s[6:7], s[6:7]
	v_mov_b32_e32 v6, s10
	s_xor_b64 exec, exec, s[6:7]
	s_cbranch_execnz .LBB22_2976
.LBB22_926:
	s_or_b64 exec, exec, s[6:7]
	s_and_saveexec_b64 s[6:7], s[4:5]
	s_cbranch_execz .LBB22_928
.LBB22_927:
	v_bfe_u32 v6, v2, 24, 3
	v_ffbh_u32_e32 v14, v6
	v_min_u32_e32 v14, 32, v14
	v_lshrrev_b32_e32 v12, 27, v2
	v_subrev_u32_e32 v15, 28, v14
	v_and_b32_e32 v11, 0x80000000, v2
	v_and_b32_e32 v12, 15, v12
	v_bfe_u32 v13, v2, 27, 4
	v_lshlrev_b32_sdwa v2, v15, v2 dst_sel:DWORD dst_unused:UNUSED_PAD src0_sel:DWORD src1_sel:BYTE_3
	v_sub_u32_e32 v14, 29, v14
	v_and_b32_e32 v2, 7, v2
	v_cmp_eq_u16_e32 vcc, 0, v12
	v_cndmask_b32_e32 v2, v6, v2, vcc
	v_cndmask_b32_e32 v6, v13, v14, vcc
	v_mov_b32_e32 v12, 0x3b800000
	v_lshlrev_b32_e32 v2, 20, v2
	v_lshl_add_u32 v6, v6, 23, v12
	v_or3_b32 v6, v11, v6, v2
.LBB22_928:
	s_or_b64 exec, exec, s[6:7]
	s_nop 0
	v_mfma_f32_16x16x4f32 a[0:3], v10, v6, a[0:3]
	s_movk_i32 s4, 0x7f
	v_cmp_gt_i16_sdwa s[6:7], v7, s4 src0_sel:BYTE_0 src1_sel:DWORD
	s_mov_b64 s[4:5], 0
                                        ; implicit-def: $sgpr10
	s_and_saveexec_b64 s[8:9], s[6:7]
	s_xor_b64 s[6:7], exec, s[8:9]
	s_cbranch_execnz .LBB22_2977
; %bb.929:
	s_or_saveexec_b64 s[6:7], s[6:7]
	v_mov_b32_e32 v2, s10
	s_xor_b64 exec, exec, s[6:7]
	s_cbranch_execnz .LBB22_2980
.LBB22_930:
	s_or_b64 exec, exec, s[6:7]
	s_and_saveexec_b64 s[6:7], s[4:5]
	s_cbranch_execz .LBB22_932
.LBB22_931:
	v_and_b32_e32 v2, 7, v7
	v_ffbh_u32_e32 v10, v2
	v_min_u32_e32 v10, 32, v10
	v_lshrrev_b16_e32 v6, 3, v7
	v_subrev_u32_e32 v11, 28, v10
	v_and_b32_e32 v6, 15, v6
	v_lshlrev_b32_e32 v11, v11, v7
	v_sub_u32_e32 v10, 29, v10
	v_and_b32_e32 v11, 7, v11
	v_cmp_eq_u16_e32 vcc, 0, v6
	v_cndmask_b32_e32 v2, v2, v11, vcc
	v_cndmask_b32_e32 v6, v6, v10, vcc
	v_lshlrev_b32_e32 v10, 24, v7
	v_mov_b32_e32 v11, 0x3b800000
	v_lshlrev_b32_e32 v2, 20, v2
	v_and_b32_e32 v10, 0x80000000, v10
	v_lshl_add_u32 v6, v6, 23, v11
	v_or3_b32 v2, v10, v6, v2
.LBB22_932:
	s_or_b64 exec, exec, s[6:7]
	s_movk_i32 s4, 0x7f
	v_cmp_gt_i16_sdwa s[6:7], v3, s4 src0_sel:BYTE_0 src1_sel:DWORD
	s_mov_b64 s[4:5], 0
                                        ; implicit-def: $sgpr10
	s_and_saveexec_b64 s[8:9], s[6:7]
	s_xor_b64 s[6:7], exec, s[8:9]
	s_cbranch_execnz .LBB22_2981
; %bb.933:
	s_or_saveexec_b64 s[6:7], s[6:7]
	v_mov_b32_e32 v6, s10
	s_xor_b64 exec, exec, s[6:7]
	s_cbranch_execnz .LBB22_2984
.LBB22_934:
	s_or_b64 exec, exec, s[6:7]
	s_and_saveexec_b64 s[6:7], s[4:5]
	s_cbranch_execz .LBB22_936
.LBB22_935:
	v_and_b32_e32 v6, 7, v3
	v_ffbh_u32_e32 v11, v6
	v_min_u32_e32 v11, 32, v11
	v_lshrrev_b16_e32 v10, 3, v3
	v_subrev_u32_e32 v12, 28, v11
	v_and_b32_e32 v10, 15, v10
	v_lshlrev_b32_e32 v12, v12, v3
	v_sub_u32_e32 v11, 29, v11
	v_and_b32_e32 v12, 7, v12
	v_cmp_eq_u16_e32 vcc, 0, v10
	v_cndmask_b32_e32 v6, v6, v12, vcc
	v_cndmask_b32_e32 v10, v10, v11, vcc
	v_lshlrev_b32_e32 v11, 24, v3
	v_mov_b32_e32 v12, 0x3b800000
	v_lshlrev_b32_e32 v6, 20, v6
	v_and_b32_e32 v11, 0x80000000, v11
	v_lshl_add_u32 v10, v10, 23, v12
	v_or3_b32 v6, v11, v10, v6
.LBB22_936:
	s_or_b64 exec, exec, s[6:7]
	s_nop 0
	v_mfma_f32_16x16x4f32 a[0:3], v2, v6, a[0:3]
	v_lshrrev_b32_e32 v6, 8, v7
	s_movk_i32 s4, 0x7f
	v_cmp_gt_i16_sdwa s[6:7], v6, s4 src0_sel:BYTE_0 src1_sel:DWORD
	s_mov_b64 s[4:5], 0
                                        ; implicit-def: $sgpr10
	s_and_saveexec_b64 s[8:9], s[6:7]
	s_xor_b64 s[6:7], exec, s[8:9]
	s_cbranch_execnz .LBB22_2985
; %bb.937:
	s_or_saveexec_b64 s[6:7], s[6:7]
	v_mov_b32_e32 v2, s10
	s_xor_b64 exec, exec, s[6:7]
	s_cbranch_execnz .LBB22_2988
.LBB22_938:
	s_or_b64 exec, exec, s[6:7]
	s_and_saveexec_b64 s[6:7], s[4:5]
	s_cbranch_execz .LBB22_940
.LBB22_939:
	v_bfe_u32 v2, v7, 8, 3
	v_ffbh_u32_e32 v11, v2
	v_min_u32_e32 v11, 32, v11
	v_lshrrev_b16_e32 v10, 3, v6
	v_subrev_u32_e32 v12, 28, v11
	v_and_b32_e32 v10, 15, v10
	v_lshlrev_b32_e32 v6, v12, v6
	v_sub_u32_e32 v11, 29, v11
	v_and_b32_e32 v6, 7, v6
	v_cmp_eq_u16_e32 vcc, 0, v10
	v_cndmask_b32_e32 v2, v2, v6, vcc
	v_cndmask_b32_e32 v6, v10, v11, vcc
	v_lshlrev_b32_e32 v10, 16, v7
	v_mov_b32_e32 v11, 0x3b800000
	v_lshlrev_b32_e32 v2, 20, v2
	v_and_b32_e32 v10, 0x80000000, v10
	v_lshl_add_u32 v6, v6, 23, v11
	v_or3_b32 v2, v10, v6, v2
.LBB22_940:
	s_or_b64 exec, exec, s[6:7]
	v_lshrrev_b32_e32 v6, 8, v3
	s_movk_i32 s4, 0x7f
	v_cmp_gt_i16_sdwa s[6:7], v6, s4 src0_sel:BYTE_0 src1_sel:DWORD
	s_mov_b64 s[4:5], 0
                                        ; implicit-def: $sgpr10
	s_and_saveexec_b64 s[8:9], s[6:7]
	s_xor_b64 s[6:7], exec, s[8:9]
	s_cbranch_execnz .LBB22_2989
; %bb.941:
	s_or_saveexec_b64 s[6:7], s[6:7]
	v_mov_b32_e32 v10, s10
	s_xor_b64 exec, exec, s[6:7]
	s_cbranch_execnz .LBB22_2992
.LBB22_942:
	s_or_b64 exec, exec, s[6:7]
	s_and_saveexec_b64 s[6:7], s[4:5]
	s_cbranch_execz .LBB22_944
.LBB22_943:
	v_bfe_u32 v10, v3, 8, 3
	v_ffbh_u32_e32 v12, v10
	v_min_u32_e32 v12, 32, v12
	v_lshrrev_b16_e32 v11, 3, v6
	v_subrev_u32_e32 v13, 28, v12
	v_and_b32_e32 v11, 15, v11
	v_lshlrev_b32_e32 v6, v13, v6
	v_sub_u32_e32 v12, 29, v12
	v_and_b32_e32 v6, 7, v6
	v_cmp_eq_u16_e32 vcc, 0, v11
	v_cndmask_b32_e32 v6, v10, v6, vcc
	v_cndmask_b32_e32 v10, v11, v12, vcc
	v_lshlrev_b32_e32 v11, 16, v3
	v_mov_b32_e32 v12, 0x3b800000
	v_lshlrev_b32_e32 v6, 20, v6
	v_and_b32_e32 v11, 0x80000000, v11
	v_lshl_add_u32 v10, v10, 23, v12
	v_or3_b32 v10, v11, v10, v6
.LBB22_944:
	s_or_b64 exec, exec, s[6:7]
	s_nop 0
	v_mfma_f32_16x16x4f32 a[0:3], v2, v10, a[0:3]
	s_movk_i32 s4, 0xff
	v_and_b32_sdwa v6, v7, s4 dst_sel:DWORD dst_unused:UNUSED_PAD src0_sel:WORD_1 src1_sel:DWORD
	s_movk_i32 s4, 0x7f
	v_cmp_lt_i16_e32 vcc, s4, v6
	s_mov_b64 s[4:5], 0
                                        ; implicit-def: $sgpr10
	s_and_saveexec_b64 s[6:7], vcc
	s_xor_b64 s[6:7], exec, s[6:7]
	s_cbranch_execnz .LBB22_2993
; %bb.945:
	s_or_saveexec_b64 s[6:7], s[6:7]
	v_mov_b32_e32 v2, s10
	s_xor_b64 exec, exec, s[6:7]
	s_cbranch_execnz .LBB22_2996
.LBB22_946:
	s_or_b64 exec, exec, s[6:7]
	s_and_saveexec_b64 s[6:7], s[4:5]
	s_cbranch_execz .LBB22_948
.LBB22_947:
	v_bfe_u32 v2, v7, 16, 3
	v_ffbh_u32_e32 v11, v2
	v_min_u32_e32 v11, 32, v11
	v_lshrrev_b32_e32 v6, 19, v7
	v_subrev_u32_e32 v12, 28, v11
	v_and_b32_e32 v6, 15, v6
	v_lshlrev_b32_sdwa v12, v12, v7 dst_sel:DWORD dst_unused:UNUSED_PAD src0_sel:DWORD src1_sel:WORD_1
	v_bfe_u32 v10, v7, 19, 4
	v_sub_u32_e32 v11, 29, v11
	v_and_b32_e32 v12, 7, v12
	v_cmp_eq_u16_e32 vcc, 0, v6
	v_cndmask_b32_e32 v2, v2, v12, vcc
	v_cndmask_b32_e32 v6, v10, v11, vcc
	v_lshlrev_b32_e32 v10, 8, v7
	v_mov_b32_e32 v11, 0x3b800000
	v_lshlrev_b32_e32 v2, 20, v2
	v_and_b32_e32 v10, 0x80000000, v10
	v_lshl_add_u32 v6, v6, 23, v11
	v_or3_b32 v2, v10, v6, v2
.LBB22_948:
	s_or_b64 exec, exec, s[6:7]
	s_movk_i32 s4, 0xff
	v_and_b32_sdwa v6, v3, s4 dst_sel:DWORD dst_unused:UNUSED_PAD src0_sel:WORD_1 src1_sel:DWORD
	s_movk_i32 s4, 0x7f
	v_cmp_lt_i16_e32 vcc, s4, v6
	s_mov_b64 s[4:5], 0
                                        ; implicit-def: $sgpr10
	s_and_saveexec_b64 s[6:7], vcc
	s_xor_b64 s[6:7], exec, s[6:7]
	s_cbranch_execnz .LBB22_2997
; %bb.949:
	s_or_saveexec_b64 s[6:7], s[6:7]
	v_mov_b32_e32 v10, s10
	s_xor_b64 exec, exec, s[6:7]
	s_cbranch_execnz .LBB22_3000
.LBB22_950:
	s_or_b64 exec, exec, s[6:7]
	s_and_saveexec_b64 s[6:7], s[4:5]
	s_cbranch_execz .LBB22_952
.LBB22_951:
	v_bfe_u32 v6, v3, 16, 3
	v_ffbh_u32_e32 v12, v6
	v_min_u32_e32 v12, 32, v12
	v_lshrrev_b32_e32 v10, 19, v3
	v_subrev_u32_e32 v13, 28, v12
	v_and_b32_e32 v10, 15, v10
	v_lshlrev_b32_sdwa v13, v13, v3 dst_sel:DWORD dst_unused:UNUSED_PAD src0_sel:DWORD src1_sel:WORD_1
	v_bfe_u32 v11, v3, 19, 4
	v_sub_u32_e32 v12, 29, v12
	v_and_b32_e32 v13, 7, v13
	v_cmp_eq_u16_e32 vcc, 0, v10
	v_cndmask_b32_e32 v6, v6, v13, vcc
	v_cndmask_b32_e32 v10, v11, v12, vcc
	v_lshlrev_b32_e32 v11, 8, v3
	v_mov_b32_e32 v12, 0x3b800000
	v_lshlrev_b32_e32 v6, 20, v6
	v_and_b32_e32 v11, 0x80000000, v11
	v_lshl_add_u32 v10, v10, 23, v12
	v_or3_b32 v10, v11, v10, v6
.LBB22_952:
	s_or_b64 exec, exec, s[6:7]
	s_nop 0
	v_mfma_f32_16x16x4f32 a[0:3], v2, v10, a[0:3]
	s_movk_i32 s4, 0x7f
	v_cmp_gt_i16_sdwa s[6:7], v7, s4 src0_sel:BYTE_3 src1_sel:DWORD
	s_mov_b64 s[4:5], 0
                                        ; implicit-def: $sgpr10
	s_and_saveexec_b64 s[8:9], s[6:7]
	s_xor_b64 s[6:7], exec, s[8:9]
	s_cbranch_execnz .LBB22_3001
; %bb.953:
	s_or_saveexec_b64 s[6:7], s[6:7]
	v_mov_b32_e32 v2, s10
	s_xor_b64 exec, exec, s[6:7]
	s_cbranch_execnz .LBB22_3004
.LBB22_954:
	s_or_b64 exec, exec, s[6:7]
	s_and_saveexec_b64 s[6:7], s[4:5]
	s_cbranch_execz .LBB22_956
.LBB22_955:
	v_bfe_u32 v2, v7, 24, 3
	v_ffbh_u32_e32 v12, v2
	v_min_u32_e32 v12, 32, v12
	v_lshrrev_b32_e32 v10, 27, v7
	v_subrev_u32_e32 v13, 28, v12
	v_and_b32_e32 v6, 0x80000000, v7
	v_and_b32_e32 v10, 15, v10
	v_bfe_u32 v11, v7, 27, 4
	v_lshlrev_b32_sdwa v7, v13, v7 dst_sel:DWORD dst_unused:UNUSED_PAD src0_sel:DWORD src1_sel:BYTE_3
	v_sub_u32_e32 v12, 29, v12
	v_and_b32_e32 v7, 7, v7
	v_cmp_eq_u16_e32 vcc, 0, v10
	v_cndmask_b32_e32 v2, v2, v7, vcc
	v_cndmask_b32_e32 v7, v11, v12, vcc
	v_mov_b32_e32 v10, 0x3b800000
	v_lshlrev_b32_e32 v2, 20, v2
	v_lshl_add_u32 v7, v7, 23, v10
	v_or3_b32 v2, v6, v7, v2
.LBB22_956:
	s_or_b64 exec, exec, s[6:7]
	s_movk_i32 s4, 0x7f
	v_cmp_gt_i16_sdwa s[6:7], v3, s4 src0_sel:BYTE_3 src1_sel:DWORD
	s_mov_b64 s[4:5], 0
                                        ; implicit-def: $sgpr10
	s_and_saveexec_b64 s[8:9], s[6:7]
	s_xor_b64 s[6:7], exec, s[8:9]
	s_cbranch_execnz .LBB22_3005
; %bb.957:
	s_or_saveexec_b64 s[6:7], s[6:7]
	v_mov_b32_e32 v6, s10
	s_xor_b64 exec, exec, s[6:7]
	s_cbranch_execnz .LBB22_3008
.LBB22_958:
	s_or_b64 exec, exec, s[6:7]
	s_and_saveexec_b64 s[6:7], s[4:5]
	s_cbranch_execz .LBB22_960
.LBB22_959:
	v_bfe_u32 v6, v3, 24, 3
	v_ffbh_u32_e32 v12, v6
	v_min_u32_e32 v12, 32, v12
	v_lshrrev_b32_e32 v10, 27, v3
	v_subrev_u32_e32 v13, 28, v12
	v_and_b32_e32 v7, 0x80000000, v3
	v_and_b32_e32 v10, 15, v10
	v_bfe_u32 v11, v3, 27, 4
	v_lshlrev_b32_sdwa v3, v13, v3 dst_sel:DWORD dst_unused:UNUSED_PAD src0_sel:DWORD src1_sel:BYTE_3
	v_sub_u32_e32 v12, 29, v12
	v_and_b32_e32 v3, 7, v3
	v_cmp_eq_u16_e32 vcc, 0, v10
	v_cndmask_b32_e32 v3, v6, v3, vcc
	v_cndmask_b32_e32 v6, v11, v12, vcc
	v_mov_b32_e32 v10, 0x3b800000
	v_lshlrev_b32_e32 v3, 20, v3
	v_lshl_add_u32 v6, v6, 23, v10
	v_or3_b32 v6, v7, v6, v3
.LBB22_960:
	s_or_b64 exec, exec, s[6:7]
	s_nop 0
	v_mfma_f32_16x16x4f32 a[0:3], v2, v6, a[0:3]
	s_movk_i32 s4, 0x7f
	v_cmp_gt_i16_sdwa s[6:7], v8, s4 src0_sel:BYTE_0 src1_sel:DWORD
	s_mov_b64 s[4:5], 0
                                        ; implicit-def: $sgpr10
	s_and_saveexec_b64 s[8:9], s[6:7]
	s_xor_b64 s[6:7], exec, s[8:9]
	s_cbranch_execnz .LBB22_3009
; %bb.961:
	s_or_saveexec_b64 s[6:7], s[6:7]
	v_mov_b32_e32 v2, s10
	s_xor_b64 exec, exec, s[6:7]
	s_cbranch_execnz .LBB22_3012
.LBB22_962:
	s_or_b64 exec, exec, s[6:7]
	s_and_saveexec_b64 s[6:7], s[4:5]
	s_cbranch_execz .LBB22_964
.LBB22_963:
	v_and_b32_e32 v2, 7, v8
	v_ffbh_u32_e32 v6, v2
	v_min_u32_e32 v6, 32, v6
	v_lshrrev_b16_e32 v3, 3, v8
	v_subrev_u32_e32 v7, 28, v6
	v_and_b32_e32 v3, 15, v3
	v_lshlrev_b32_e32 v7, v7, v8
	v_sub_u32_e32 v6, 29, v6
	v_and_b32_e32 v7, 7, v7
	v_cmp_eq_u16_e32 vcc, 0, v3
	v_cndmask_b32_e32 v2, v2, v7, vcc
	v_cndmask_b32_e32 v3, v3, v6, vcc
	v_lshlrev_b32_e32 v6, 24, v8
	v_mov_b32_e32 v7, 0x3b800000
	v_lshlrev_b32_e32 v2, 20, v2
	v_and_b32_e32 v6, 0x80000000, v6
	v_lshl_add_u32 v3, v3, 23, v7
	v_or3_b32 v2, v6, v3, v2
.LBB22_964:
	s_or_b64 exec, exec, s[6:7]
	s_movk_i32 s4, 0x7f
	v_cmp_gt_i16_sdwa s[6:7], v4, s4 src0_sel:BYTE_0 src1_sel:DWORD
	s_mov_b64 s[4:5], 0
                                        ; implicit-def: $sgpr10
	s_and_saveexec_b64 s[8:9], s[6:7]
	s_xor_b64 s[6:7], exec, s[8:9]
	s_cbranch_execnz .LBB22_3013
; %bb.965:
	s_or_saveexec_b64 s[6:7], s[6:7]
	v_mov_b32_e32 v3, s10
	s_xor_b64 exec, exec, s[6:7]
	s_cbranch_execnz .LBB22_3016
.LBB22_966:
	s_or_b64 exec, exec, s[6:7]
	s_and_saveexec_b64 s[6:7], s[4:5]
	s_cbranch_execz .LBB22_968
.LBB22_967:
	v_and_b32_e32 v3, 7, v4
	v_ffbh_u32_e32 v7, v3
	v_min_u32_e32 v7, 32, v7
	v_lshrrev_b16_e32 v6, 3, v4
	v_subrev_u32_e32 v10, 28, v7
	v_and_b32_e32 v6, 15, v6
	v_lshlrev_b32_e32 v10, v10, v4
	v_sub_u32_e32 v7, 29, v7
	v_and_b32_e32 v10, 7, v10
	v_cmp_eq_u16_e32 vcc, 0, v6
	v_cndmask_b32_e32 v3, v3, v10, vcc
	v_cndmask_b32_e32 v6, v6, v7, vcc
	v_lshlrev_b32_e32 v7, 24, v4
	v_mov_b32_e32 v10, 0x3b800000
	v_lshlrev_b32_e32 v3, 20, v3
	v_and_b32_e32 v7, 0x80000000, v7
	v_lshl_add_u32 v6, v6, 23, v10
	v_or3_b32 v3, v7, v6, v3
.LBB22_968:
	s_or_b64 exec, exec, s[6:7]
	s_nop 0
	v_mfma_f32_16x16x4f32 a[0:3], v2, v3, a[0:3]
	v_lshrrev_b32_e32 v3, 8, v8
	s_movk_i32 s4, 0x7f
	v_cmp_gt_i16_sdwa s[6:7], v3, s4 src0_sel:BYTE_0 src1_sel:DWORD
	s_mov_b64 s[4:5], 0
                                        ; implicit-def: $sgpr10
	s_and_saveexec_b64 s[8:9], s[6:7]
	s_xor_b64 s[6:7], exec, s[8:9]
	s_cbranch_execnz .LBB22_3017
; %bb.969:
	s_or_saveexec_b64 s[6:7], s[6:7]
	v_mov_b32_e32 v2, s10
	s_xor_b64 exec, exec, s[6:7]
	s_cbranch_execnz .LBB22_3020
.LBB22_970:
	s_or_b64 exec, exec, s[6:7]
	s_and_saveexec_b64 s[6:7], s[4:5]
	s_cbranch_execz .LBB22_972
.LBB22_971:
	v_bfe_u32 v2, v8, 8, 3
	v_ffbh_u32_e32 v7, v2
	v_min_u32_e32 v7, 32, v7
	v_lshrrev_b16_e32 v6, 3, v3
	v_subrev_u32_e32 v10, 28, v7
	v_and_b32_e32 v6, 15, v6
	v_lshlrev_b32_e32 v3, v10, v3
	v_sub_u32_e32 v7, 29, v7
	v_and_b32_e32 v3, 7, v3
	v_cmp_eq_u16_e32 vcc, 0, v6
	v_cndmask_b32_e32 v2, v2, v3, vcc
	v_cndmask_b32_e32 v3, v6, v7, vcc
	v_lshlrev_b32_e32 v6, 16, v8
	v_mov_b32_e32 v7, 0x3b800000
	v_lshlrev_b32_e32 v2, 20, v2
	v_and_b32_e32 v6, 0x80000000, v6
	v_lshl_add_u32 v3, v3, 23, v7
	v_or3_b32 v2, v6, v3, v2
.LBB22_972:
	s_or_b64 exec, exec, s[6:7]
	v_lshrrev_b32_e32 v3, 8, v4
	s_movk_i32 s4, 0x7f
	v_cmp_gt_i16_sdwa s[6:7], v3, s4 src0_sel:BYTE_0 src1_sel:DWORD
	s_mov_b64 s[4:5], 0
                                        ; implicit-def: $sgpr10
	s_and_saveexec_b64 s[8:9], s[6:7]
	s_xor_b64 s[6:7], exec, s[8:9]
	s_cbranch_execnz .LBB22_3021
; %bb.973:
	s_or_saveexec_b64 s[6:7], s[6:7]
	v_mov_b32_e32 v6, s10
	s_xor_b64 exec, exec, s[6:7]
	s_cbranch_execnz .LBB22_3024
.LBB22_974:
	s_or_b64 exec, exec, s[6:7]
	s_and_saveexec_b64 s[6:7], s[4:5]
	s_cbranch_execz .LBB22_976
.LBB22_975:
	v_bfe_u32 v6, v4, 8, 3
	v_ffbh_u32_e32 v10, v6
	v_min_u32_e32 v10, 32, v10
	v_lshrrev_b16_e32 v7, 3, v3
	v_subrev_u32_e32 v11, 28, v10
	v_and_b32_e32 v7, 15, v7
	v_lshlrev_b32_e32 v3, v11, v3
	v_sub_u32_e32 v10, 29, v10
	v_and_b32_e32 v3, 7, v3
	v_cmp_eq_u16_e32 vcc, 0, v7
	v_cndmask_b32_e32 v3, v6, v3, vcc
	v_cndmask_b32_e32 v6, v7, v10, vcc
	v_lshlrev_b32_e32 v7, 16, v4
	v_mov_b32_e32 v10, 0x3b800000
	v_lshlrev_b32_e32 v3, 20, v3
	v_and_b32_e32 v7, 0x80000000, v7
	v_lshl_add_u32 v6, v6, 23, v10
	v_or3_b32 v6, v7, v6, v3
.LBB22_976:
	s_or_b64 exec, exec, s[6:7]
	s_nop 0
	v_mfma_f32_16x16x4f32 a[0:3], v2, v6, a[0:3]
	s_movk_i32 s4, 0xff
	v_and_b32_sdwa v3, v8, s4 dst_sel:DWORD dst_unused:UNUSED_PAD src0_sel:WORD_1 src1_sel:DWORD
	s_movk_i32 s4, 0x7f
	v_cmp_lt_i16_e32 vcc, s4, v3
	s_mov_b64 s[4:5], 0
                                        ; implicit-def: $sgpr10
	s_and_saveexec_b64 s[6:7], vcc
	s_xor_b64 s[6:7], exec, s[6:7]
	s_cbranch_execnz .LBB22_3025
; %bb.977:
	s_or_saveexec_b64 s[6:7], s[6:7]
	v_mov_b32_e32 v2, s10
	s_xor_b64 exec, exec, s[6:7]
	s_cbranch_execnz .LBB22_3028
.LBB22_978:
	s_or_b64 exec, exec, s[6:7]
	s_and_saveexec_b64 s[6:7], s[4:5]
	s_cbranch_execz .LBB22_980
.LBB22_979:
	v_bfe_u32 v2, v8, 16, 3
	v_ffbh_u32_e32 v7, v2
	v_min_u32_e32 v7, 32, v7
	v_lshrrev_b32_e32 v3, 19, v8
	v_subrev_u32_e32 v10, 28, v7
	v_and_b32_e32 v3, 15, v3
	v_lshlrev_b32_sdwa v10, v10, v8 dst_sel:DWORD dst_unused:UNUSED_PAD src0_sel:DWORD src1_sel:WORD_1
	v_bfe_u32 v6, v8, 19, 4
	v_sub_u32_e32 v7, 29, v7
	v_and_b32_e32 v10, 7, v10
	v_cmp_eq_u16_e32 vcc, 0, v3
	v_cndmask_b32_e32 v2, v2, v10, vcc
	v_cndmask_b32_e32 v3, v6, v7, vcc
	v_lshlrev_b32_e32 v6, 8, v8
	v_mov_b32_e32 v7, 0x3b800000
	v_lshlrev_b32_e32 v2, 20, v2
	v_and_b32_e32 v6, 0x80000000, v6
	v_lshl_add_u32 v3, v3, 23, v7
	v_or3_b32 v2, v6, v3, v2
.LBB22_980:
	s_or_b64 exec, exec, s[6:7]
	s_movk_i32 s4, 0xff
	v_and_b32_sdwa v3, v4, s4 dst_sel:DWORD dst_unused:UNUSED_PAD src0_sel:WORD_1 src1_sel:DWORD
	s_movk_i32 s4, 0x7f
	v_cmp_lt_i16_e32 vcc, s4, v3
	s_mov_b64 s[4:5], 0
                                        ; implicit-def: $sgpr10
	s_and_saveexec_b64 s[6:7], vcc
	s_xor_b64 s[6:7], exec, s[6:7]
	s_cbranch_execnz .LBB22_3029
; %bb.981:
	s_or_saveexec_b64 s[6:7], s[6:7]
	v_mov_b32_e32 v6, s10
	s_xor_b64 exec, exec, s[6:7]
	s_cbranch_execnz .LBB22_3032
.LBB22_982:
	s_or_b64 exec, exec, s[6:7]
	s_and_saveexec_b64 s[6:7], s[4:5]
	s_cbranch_execz .LBB22_984
.LBB22_983:
	v_bfe_u32 v3, v4, 16, 3
	v_ffbh_u32_e32 v10, v3
	v_min_u32_e32 v10, 32, v10
	v_lshrrev_b32_e32 v6, 19, v4
	v_subrev_u32_e32 v11, 28, v10
	v_and_b32_e32 v6, 15, v6
	v_lshlrev_b32_sdwa v11, v11, v4 dst_sel:DWORD dst_unused:UNUSED_PAD src0_sel:DWORD src1_sel:WORD_1
	v_bfe_u32 v7, v4, 19, 4
	v_sub_u32_e32 v10, 29, v10
	v_and_b32_e32 v11, 7, v11
	v_cmp_eq_u16_e32 vcc, 0, v6
	v_cndmask_b32_e32 v3, v3, v11, vcc
	v_cndmask_b32_e32 v6, v7, v10, vcc
	v_lshlrev_b32_e32 v7, 8, v4
	v_mov_b32_e32 v10, 0x3b800000
	v_lshlrev_b32_e32 v3, 20, v3
	v_and_b32_e32 v7, 0x80000000, v7
	v_lshl_add_u32 v6, v6, 23, v10
	v_or3_b32 v6, v7, v6, v3
.LBB22_984:
	s_or_b64 exec, exec, s[6:7]
	s_nop 0
	v_mfma_f32_16x16x4f32 a[0:3], v2, v6, a[0:3]
	s_movk_i32 s4, 0x7f
	v_cmp_gt_i16_sdwa s[6:7], v8, s4 src0_sel:BYTE_3 src1_sel:DWORD
	s_mov_b64 s[4:5], 0
                                        ; implicit-def: $sgpr10
	s_and_saveexec_b64 s[8:9], s[6:7]
	s_xor_b64 s[6:7], exec, s[8:9]
	s_cbranch_execnz .LBB22_3033
; %bb.985:
	s_or_saveexec_b64 s[6:7], s[6:7]
	v_mov_b32_e32 v2, s10
	s_xor_b64 exec, exec, s[6:7]
	s_cbranch_execnz .LBB22_3036
.LBB22_986:
	s_or_b64 exec, exec, s[6:7]
	s_and_saveexec_b64 s[6:7], s[4:5]
	s_cbranch_execz .LBB22_988
.LBB22_987:
	v_bfe_u32 v2, v8, 24, 3
	v_ffbh_u32_e32 v10, v2
	v_min_u32_e32 v10, 32, v10
	v_lshrrev_b32_e32 v6, 27, v8
	v_subrev_u32_e32 v11, 28, v10
	v_and_b32_e32 v3, 0x80000000, v8
	v_and_b32_e32 v6, 15, v6
	v_bfe_u32 v7, v8, 27, 4
	v_lshlrev_b32_sdwa v8, v11, v8 dst_sel:DWORD dst_unused:UNUSED_PAD src0_sel:DWORD src1_sel:BYTE_3
	v_sub_u32_e32 v10, 29, v10
	v_and_b32_e32 v8, 7, v8
	v_cmp_eq_u16_e32 vcc, 0, v6
	v_cndmask_b32_e32 v2, v2, v8, vcc
	v_cndmask_b32_e32 v6, v7, v10, vcc
	v_mov_b32_e32 v7, 0x3b800000
	v_lshlrev_b32_e32 v2, 20, v2
	v_lshl_add_u32 v6, v6, 23, v7
	v_or3_b32 v2, v3, v6, v2
.LBB22_988:
	s_or_b64 exec, exec, s[6:7]
	s_movk_i32 s4, 0x7f
	v_cmp_gt_i16_sdwa s[6:7], v4, s4 src0_sel:BYTE_3 src1_sel:DWORD
	s_mov_b64 s[4:5], 0
                                        ; implicit-def: $sgpr10
	s_and_saveexec_b64 s[8:9], s[6:7]
	s_xor_b64 s[6:7], exec, s[8:9]
	s_cbranch_execnz .LBB22_3037
; %bb.989:
	s_or_saveexec_b64 s[6:7], s[6:7]
	v_mov_b32_e32 v3, s10
	s_xor_b64 exec, exec, s[6:7]
	s_cbranch_execnz .LBB22_3040
.LBB22_990:
	s_or_b64 exec, exec, s[6:7]
	s_and_saveexec_b64 s[6:7], s[4:5]
	s_cbranch_execz .LBB22_992
.LBB22_991:
	v_bfe_u32 v3, v4, 24, 3
	v_ffbh_u32_e32 v10, v3
	v_min_u32_e32 v10, 32, v10
	v_lshrrev_b32_e32 v7, 27, v4
	v_subrev_u32_e32 v11, 28, v10
	v_and_b32_e32 v6, 0x80000000, v4
	v_and_b32_e32 v7, 15, v7
	v_bfe_u32 v8, v4, 27, 4
	v_lshlrev_b32_sdwa v4, v11, v4 dst_sel:DWORD dst_unused:UNUSED_PAD src0_sel:DWORD src1_sel:BYTE_3
	v_sub_u32_e32 v10, 29, v10
	v_and_b32_e32 v4, 7, v4
	v_cmp_eq_u16_e32 vcc, 0, v7
	v_cndmask_b32_e32 v3, v3, v4, vcc
	v_cndmask_b32_e32 v4, v8, v10, vcc
	v_mov_b32_e32 v7, 0x3b800000
	v_lshlrev_b32_e32 v3, 20, v3
	v_lshl_add_u32 v4, v4, 23, v7
	v_or3_b32 v3, v6, v4, v3
.LBB22_992:
	s_or_b64 exec, exec, s[6:7]
	s_nop 0
	v_mfma_f32_16x16x4f32 a[0:3], v2, v3, a[0:3]
	s_movk_i32 s4, 0x7f
	v_cmp_gt_i16_sdwa s[6:7], v9, s4 src0_sel:BYTE_0 src1_sel:DWORD
	s_mov_b64 s[4:5], 0
                                        ; implicit-def: $sgpr10
	s_and_saveexec_b64 s[8:9], s[6:7]
	s_xor_b64 s[6:7], exec, s[8:9]
	s_cbranch_execnz .LBB22_3041
; %bb.993:
	s_or_saveexec_b64 s[6:7], s[6:7]
	v_mov_b32_e32 v2, s10
	s_xor_b64 exec, exec, s[6:7]
	s_cbranch_execnz .LBB22_3044
.LBB22_994:
	s_or_b64 exec, exec, s[6:7]
	s_and_saveexec_b64 s[6:7], s[4:5]
	s_cbranch_execz .LBB22_996
.LBB22_995:
	v_mov_b32_e32 v2, 8
	v_and_b32_e32 v3, 7, v9
	v_lshrrev_b32_sdwa v2, v2, v9 dst_sel:BYTE_1 dst_unused:UNUSED_PAD src0_sel:DWORD src1_sel:DWORD
	v_ffbh_u32_e32 v4, v3
	v_or_b32_sdwa v2, v9, v2 dst_sel:DWORD dst_unused:UNUSED_PAD src0_sel:BYTE_0 src1_sel:DWORD
	v_min_u32_e32 v4, 32, v4
	v_lshrrev_b16_e32 v2, 3, v2
	v_subrev_u32_e32 v6, 28, v4
	v_and_b32_e32 v2, 15, v2
	v_lshlrev_b32_e32 v6, v6, v9
	v_sub_u32_e32 v4, 29, v4
	v_and_b32_e32 v6, 7, v6
	v_cmp_eq_u16_e32 vcc, 0, v2
	v_cndmask_b32_e32 v3, v3, v6, vcc
	v_cndmask_b32_e32 v2, v2, v4, vcc
	v_lshlrev_b32_e32 v4, 24, v9
	v_mov_b32_e32 v6, 0x3b800000
	v_lshlrev_b32_e32 v3, 20, v3
	v_and_b32_e32 v4, 0x80000000, v4
	v_lshl_add_u32 v2, v2, 23, v6
	v_or3_b32 v2, v4, v2, v3
.LBB22_996:
	s_or_b64 exec, exec, s[6:7]
	s_movk_i32 s4, 0x7f
	v_cmp_gt_i16_sdwa s[6:7], v5, s4 src0_sel:BYTE_0 src1_sel:DWORD
	s_mov_b64 s[4:5], 0
                                        ; implicit-def: $sgpr10
	s_and_saveexec_b64 s[8:9], s[6:7]
	s_xor_b64 s[6:7], exec, s[8:9]
	s_cbranch_execnz .LBB22_3045
; %bb.997:
	s_or_saveexec_b64 s[6:7], s[6:7]
	v_mov_b32_e32 v3, s10
	s_xor_b64 exec, exec, s[6:7]
	s_cbranch_execnz .LBB22_3048
.LBB22_998:
	s_or_b64 exec, exec, s[6:7]
	s_and_saveexec_b64 s[6:7], s[4:5]
	s_cbranch_execz .LBB22_1000
.LBB22_999:
	v_mov_b32_e32 v3, 8
	v_and_b32_e32 v4, 7, v5
	v_lshrrev_b32_sdwa v3, v3, v5 dst_sel:BYTE_1 dst_unused:UNUSED_PAD src0_sel:DWORD src1_sel:DWORD
	v_ffbh_u32_e32 v6, v4
	v_or_b32_sdwa v3, v5, v3 dst_sel:DWORD dst_unused:UNUSED_PAD src0_sel:BYTE_0 src1_sel:DWORD
	v_min_u32_e32 v6, 32, v6
	v_lshrrev_b16_e32 v3, 3, v3
	v_subrev_u32_e32 v7, 28, v6
	v_and_b32_e32 v3, 15, v3
	v_lshlrev_b32_e32 v7, v7, v5
	v_sub_u32_e32 v6, 29, v6
	v_and_b32_e32 v7, 7, v7
	v_cmp_eq_u16_e32 vcc, 0, v3
	v_cndmask_b32_e32 v4, v4, v7, vcc
	v_cndmask_b32_e32 v3, v3, v6, vcc
	v_lshlrev_b32_e32 v6, 24, v5
	v_mov_b32_e32 v7, 0x3b800000
	v_lshlrev_b32_e32 v4, 20, v4
	v_and_b32_e32 v6, 0x80000000, v6
	v_lshl_add_u32 v3, v3, 23, v7
	v_or3_b32 v3, v6, v3, v4
.LBB22_1000:
	s_or_b64 exec, exec, s[6:7]
	s_nop 0
	v_mfma_f32_16x16x4f32 a[0:3], v2, v3, a[0:3]
	v_lshrrev_b32_e32 v3, 8, v9
	s_movk_i32 s4, 0x7f
	v_cmp_gt_i16_sdwa s[6:7], v3, s4 src0_sel:BYTE_0 src1_sel:DWORD
	s_mov_b64 s[4:5], 0
                                        ; implicit-def: $sgpr10
	s_and_saveexec_b64 s[8:9], s[6:7]
	s_xor_b64 s[6:7], exec, s[8:9]
	s_cbranch_execnz .LBB22_3049
; %bb.1001:
	s_or_saveexec_b64 s[6:7], s[6:7]
	v_mov_b32_e32 v2, s10
	s_xor_b64 exec, exec, s[6:7]
	s_cbranch_execnz .LBB22_3052
.LBB22_1002:
	s_or_b64 exec, exec, s[6:7]
	s_and_saveexec_b64 s[6:7], s[4:5]
	s_cbranch_execz .LBB22_1004
.LBB22_1003:
	v_bfe_u32 v2, v9, 8, 3
	v_ffbh_u32_e32 v6, v2
	v_min_u32_e32 v6, 32, v6
	v_lshrrev_b16_e32 v4, 3, v3
	v_subrev_u32_e32 v7, 28, v6
	v_and_b32_e32 v4, 15, v4
	v_lshlrev_b32_e32 v3, v7, v3
	v_sub_u32_e32 v6, 29, v6
	v_and_b32_e32 v3, 7, v3
	v_cmp_eq_u16_e32 vcc, 0, v4
	v_cndmask_b32_e32 v2, v2, v3, vcc
	v_cndmask_b32_e32 v3, v4, v6, vcc
	v_lshlrev_b32_e32 v4, 16, v9
	v_mov_b32_e32 v6, 0x3b800000
	v_lshlrev_b32_e32 v2, 20, v2
	v_and_b32_e32 v4, 0x80000000, v4
	v_lshl_add_u32 v3, v3, 23, v6
	v_or3_b32 v2, v4, v3, v2
.LBB22_1004:
	s_or_b64 exec, exec, s[6:7]
	v_lshrrev_b32_e32 v3, 8, v5
	s_movk_i32 s4, 0x7f
	v_cmp_gt_i16_sdwa s[6:7], v3, s4 src0_sel:BYTE_0 src1_sel:DWORD
	s_mov_b64 s[4:5], 0
                                        ; implicit-def: $sgpr10
	s_and_saveexec_b64 s[8:9], s[6:7]
	s_xor_b64 s[6:7], exec, s[8:9]
	s_cbranch_execnz .LBB22_3053
; %bb.1005:
	s_or_saveexec_b64 s[6:7], s[6:7]
	v_mov_b32_e32 v4, s10
	s_xor_b64 exec, exec, s[6:7]
	s_cbranch_execnz .LBB22_3056
.LBB22_1006:
	s_or_b64 exec, exec, s[6:7]
	s_and_saveexec_b64 s[6:7], s[4:5]
	s_cbranch_execz .LBB22_1008
.LBB22_1007:
	v_bfe_u32 v4, v5, 8, 3
	v_ffbh_u32_e32 v7, v4
	v_min_u32_e32 v7, 32, v7
	v_lshrrev_b16_e32 v6, 3, v3
	v_subrev_u32_e32 v8, 28, v7
	v_and_b32_e32 v6, 15, v6
	v_lshlrev_b32_e32 v3, v8, v3
	v_sub_u32_e32 v7, 29, v7
	v_and_b32_e32 v3, 7, v3
	v_cmp_eq_u16_e32 vcc, 0, v6
	v_cndmask_b32_e32 v3, v4, v3, vcc
	v_cndmask_b32_e32 v4, v6, v7, vcc
	v_lshlrev_b32_e32 v6, 16, v5
	v_mov_b32_e32 v7, 0x3b800000
	v_lshlrev_b32_e32 v3, 20, v3
	v_and_b32_e32 v6, 0x80000000, v6
	v_lshl_add_u32 v4, v4, 23, v7
	v_or3_b32 v4, v6, v4, v3
.LBB22_1008:
	s_or_b64 exec, exec, s[6:7]
	s_nop 0
	v_mfma_f32_16x16x4f32 a[0:3], v2, v4, a[0:3]
	s_movk_i32 s4, 0xff
	v_and_b32_sdwa v3, v9, s4 dst_sel:DWORD dst_unused:UNUSED_PAD src0_sel:WORD_1 src1_sel:DWORD
	s_movk_i32 s4, 0x7f
	v_cmp_lt_i16_e32 vcc, s4, v3
	s_mov_b64 s[4:5], 0
                                        ; implicit-def: $sgpr10
	s_and_saveexec_b64 s[6:7], vcc
	s_xor_b64 s[6:7], exec, s[6:7]
	s_cbranch_execnz .LBB22_3057
; %bb.1009:
	s_or_saveexec_b64 s[6:7], s[6:7]
	v_mov_b32_e32 v2, s10
	s_xor_b64 exec, exec, s[6:7]
	s_cbranch_execnz .LBB22_3060
.LBB22_1010:
	s_or_b64 exec, exec, s[6:7]
	s_and_saveexec_b64 s[6:7], s[4:5]
	s_cbranch_execz .LBB22_1012
.LBB22_1011:
	v_bfe_u32 v2, v9, 16, 3
	v_ffbh_u32_e32 v6, v2
	v_min_u32_e32 v6, 32, v6
	v_lshrrev_b32_e32 v3, 19, v9
	v_subrev_u32_e32 v7, 28, v6
	v_and_b32_e32 v3, 15, v3
	v_lshlrev_b32_sdwa v7, v7, v9 dst_sel:DWORD dst_unused:UNUSED_PAD src0_sel:DWORD src1_sel:WORD_1
	v_bfe_u32 v4, v9, 19, 4
	v_sub_u32_e32 v6, 29, v6
	v_and_b32_e32 v7, 7, v7
	v_cmp_eq_u16_e32 vcc, 0, v3
	v_cndmask_b32_e32 v2, v2, v7, vcc
	v_cndmask_b32_e32 v3, v4, v6, vcc
	v_lshlrev_b32_e32 v4, 8, v9
	v_mov_b32_e32 v6, 0x3b800000
	v_lshlrev_b32_e32 v2, 20, v2
	v_and_b32_e32 v4, 0x80000000, v4
	v_lshl_add_u32 v3, v3, 23, v6
	v_or3_b32 v2, v4, v3, v2
.LBB22_1012:
	s_or_b64 exec, exec, s[6:7]
	s_movk_i32 s4, 0xff
	v_and_b32_sdwa v3, v5, s4 dst_sel:DWORD dst_unused:UNUSED_PAD src0_sel:WORD_1 src1_sel:DWORD
	s_movk_i32 s4, 0x7f
	v_cmp_lt_i16_e32 vcc, s4, v3
	s_mov_b64 s[4:5], 0
                                        ; implicit-def: $sgpr10
	s_and_saveexec_b64 s[6:7], vcc
	s_xor_b64 s[6:7], exec, s[6:7]
	s_cbranch_execnz .LBB22_3061
; %bb.1013:
	s_or_saveexec_b64 s[6:7], s[6:7]
	v_mov_b32_e32 v4, s10
	s_xor_b64 exec, exec, s[6:7]
	s_cbranch_execnz .LBB22_3064
.LBB22_1014:
	s_or_b64 exec, exec, s[6:7]
	s_and_saveexec_b64 s[6:7], s[4:5]
	s_cbranch_execz .LBB22_1016
.LBB22_1015:
	v_bfe_u32 v3, v5, 16, 3
	v_ffbh_u32_e32 v7, v3
	v_min_u32_e32 v7, 32, v7
	v_lshrrev_b32_e32 v4, 19, v5
	v_subrev_u32_e32 v8, 28, v7
	v_and_b32_e32 v4, 15, v4
	v_lshlrev_b32_sdwa v8, v8, v5 dst_sel:DWORD dst_unused:UNUSED_PAD src0_sel:DWORD src1_sel:WORD_1
	v_bfe_u32 v6, v5, 19, 4
	v_sub_u32_e32 v7, 29, v7
	v_and_b32_e32 v8, 7, v8
	v_cmp_eq_u16_e32 vcc, 0, v4
	v_cndmask_b32_e32 v3, v3, v8, vcc
	v_cndmask_b32_e32 v4, v6, v7, vcc
	v_lshlrev_b32_e32 v6, 8, v5
	v_mov_b32_e32 v7, 0x3b800000
	v_lshlrev_b32_e32 v3, 20, v3
	v_and_b32_e32 v6, 0x80000000, v6
	v_lshl_add_u32 v4, v4, 23, v7
	v_or3_b32 v4, v6, v4, v3
.LBB22_1016:
	s_or_b64 exec, exec, s[6:7]
	s_nop 0
	v_mfma_f32_16x16x4f32 a[0:3], v2, v4, a[0:3]
	s_movk_i32 s4, 0x7f
	v_cmp_gt_i16_sdwa s[6:7], v9, s4 src0_sel:BYTE_3 src1_sel:DWORD
	s_mov_b64 s[4:5], 0
                                        ; implicit-def: $sgpr10
	s_and_saveexec_b64 s[8:9], s[6:7]
	s_xor_b64 s[6:7], exec, s[8:9]
	s_cbranch_execnz .LBB22_3065
; %bb.1017:
	s_or_saveexec_b64 s[6:7], s[6:7]
	v_mov_b32_e32 v2, s10
	s_xor_b64 exec, exec, s[6:7]
	s_cbranch_execnz .LBB22_3068
.LBB22_1018:
	s_or_b64 exec, exec, s[6:7]
	s_and_saveexec_b64 s[6:7], s[4:5]
	s_cbranch_execz .LBB22_1020
.LBB22_1019:
	v_bfe_u32 v2, v9, 24, 3
	v_ffbh_u32_e32 v7, v2
	v_min_u32_e32 v7, 32, v7
	v_lshrrev_b32_e32 v4, 27, v9
	v_subrev_u32_e32 v8, 28, v7
	v_and_b32_e32 v4, 15, v4
	v_lshlrev_b32_sdwa v8, v8, v9 dst_sel:DWORD dst_unused:UNUSED_PAD src0_sel:DWORD src1_sel:BYTE_3
	v_bfe_u32 v6, v9, 27, 4
	v_sub_u32_e32 v7, 29, v7
	v_and_b32_e32 v8, 7, v8
	v_cmp_eq_u16_e32 vcc, 0, v4
	v_cndmask_b32_e32 v2, v2, v8, vcc
	v_cndmask_b32_e32 v4, v6, v7, vcc
	v_mov_b32_e32 v6, 0x3b800000
	v_and_b32_e32 v3, 0x80000000, v9
	v_lshlrev_b32_e32 v2, 20, v2
	v_lshl_add_u32 v4, v4, 23, v6
	v_or3_b32 v2, v3, v4, v2
.LBB22_1020:
	s_or_b64 exec, exec, s[6:7]
	s_movk_i32 s4, 0x7f
	v_cmp_gt_i16_sdwa s[6:7], v5, s4 src0_sel:BYTE_3 src1_sel:DWORD
	s_mov_b64 s[4:5], 0
                                        ; implicit-def: $sgpr10
	s_and_saveexec_b64 s[8:9], s[6:7]
	s_xor_b64 s[6:7], exec, s[8:9]
	s_cbranch_execnz .LBB22_3069
; %bb.1021:
	s_or_saveexec_b64 s[6:7], s[6:7]
	v_mov_b32_e32 v3, s10
	s_xor_b64 exec, exec, s[6:7]
	s_cbranch_execnz .LBB22_3072
.LBB22_1022:
	s_or_b64 exec, exec, s[6:7]
	s_and_saveexec_b64 s[6:7], s[4:5]
	s_cbranch_execz .LBB22_1024
.LBB22_1023:
	v_bfe_u32 v3, v5, 24, 3
	v_ffbh_u32_e32 v8, v3
	v_min_u32_e32 v8, 32, v8
	v_lshrrev_b32_e32 v6, 27, v5
	v_subrev_u32_e32 v9, 28, v8
	v_and_b32_e32 v4, 0x80000000, v5
	v_and_b32_e32 v6, 15, v6
	v_bfe_u32 v7, v5, 27, 4
	v_lshlrev_b32_sdwa v5, v9, v5 dst_sel:DWORD dst_unused:UNUSED_PAD src0_sel:DWORD src1_sel:BYTE_3
	v_sub_u32_e32 v8, 29, v8
	v_and_b32_e32 v5, 7, v5
	v_cmp_eq_u16_e32 vcc, 0, v6
	v_cndmask_b32_e32 v3, v3, v5, vcc
	v_cndmask_b32_e32 v5, v7, v8, vcc
	v_mov_b32_e32 v6, 0x3b800000
	v_lshlrev_b32_e32 v3, 20, v3
	v_lshl_add_u32 v5, v5, 23, v6
	v_or3_b32 v3, v4, v5, v3
.LBB22_1024:
	s_or_b64 exec, exec, s[6:7]
	s_nop 0
	v_mfma_f32_16x16x4f32 a[0:3], v2, v3, a[0:3]
	s_movk_i32 s4, 0x7f
                                        ; implicit-def: $sgpr10
	s_nop 7
	s_nop 1
	flat_store_dwordx4 v[18:19], a[0:3] offset:560
	flat_load_dwordx4 v[20:23], v[0:1] offset:8
	s_nop 0
	flat_load_dwordx2 v[18:19], v[0:1] offset:24
	s_waitcnt vmcnt(0) lgkmcnt(0)
	flat_load_dwordx4 v[14:17], v[20:21]
	flat_load_dwordx4 v[6:9], v[20:21] offset:16
	flat_load_dwordx4 v[10:13], v[22:23] offset:128
	;; [unrolled: 1-line block ×3, first 2 shown]
	s_waitcnt vmcnt(0) lgkmcnt(0)
	v_cmp_gt_i16_sdwa s[6:7], v14, s4 src0_sel:BYTE_0 src1_sel:DWORD
	s_mov_b64 s[4:5], 0
	s_and_saveexec_b64 s[8:9], s[6:7]
	s_xor_b64 s[6:7], exec, s[8:9]
	s_cbranch_execnz .LBB22_3073
; %bb.1025:
	s_or_saveexec_b64 s[6:7], s[6:7]
	v_mov_b32_e32 v20, s10
	s_xor_b64 exec, exec, s[6:7]
	s_cbranch_execnz .LBB22_3076
.LBB22_1026:
	s_or_b64 exec, exec, s[6:7]
	s_and_saveexec_b64 s[6:7], s[4:5]
	s_cbranch_execz .LBB22_1028
.LBB22_1027:
	v_and_b32_e32 v20, 7, v14
	v_ffbh_u32_e32 v22, v20
	v_min_u32_e32 v22, 32, v22
	v_lshrrev_b16_e32 v21, 3, v14
	v_subrev_u32_e32 v23, 28, v22
	v_and_b32_e32 v21, 15, v21
	v_lshlrev_b32_e32 v23, v23, v14
	v_sub_u32_e32 v22, 29, v22
	v_and_b32_e32 v23, 7, v23
	v_cmp_eq_u16_e32 vcc, 0, v21
	v_cndmask_b32_e32 v20, v20, v23, vcc
	v_cndmask_b32_e32 v21, v21, v22, vcc
	v_lshlrev_b32_e32 v22, 24, v14
	v_mov_b32_e32 v23, 0x3b800000
	v_lshlrev_b32_e32 v20, 20, v20
	v_and_b32_e32 v22, 0x80000000, v22
	v_lshl_add_u32 v21, v21, 23, v23
	v_or3_b32 v20, v22, v21, v20
.LBB22_1028:
	s_or_b64 exec, exec, s[6:7]
	s_movk_i32 s4, 0x7f
	v_cmp_gt_i16_sdwa s[6:7], v10, s4 src0_sel:BYTE_0 src1_sel:DWORD
	s_mov_b64 s[4:5], 0
                                        ; implicit-def: $sgpr10
	s_and_saveexec_b64 s[8:9], s[6:7]
	s_xor_b64 s[6:7], exec, s[8:9]
	s_cbranch_execnz .LBB22_3077
; %bb.1029:
	s_or_saveexec_b64 s[6:7], s[6:7]
	v_mov_b32_e32 v21, s10
	s_xor_b64 exec, exec, s[6:7]
	s_cbranch_execnz .LBB22_3080
.LBB22_1030:
	s_or_b64 exec, exec, s[6:7]
	s_and_saveexec_b64 s[6:7], s[4:5]
	s_cbranch_execz .LBB22_1032
.LBB22_1031:
	v_and_b32_e32 v21, 7, v10
	v_ffbh_u32_e32 v23, v21
	v_min_u32_e32 v23, 32, v23
	v_lshrrev_b16_e32 v22, 3, v10
	v_subrev_u32_e32 v24, 28, v23
	v_and_b32_e32 v22, 15, v22
	v_lshlrev_b32_e32 v24, v24, v10
	v_sub_u32_e32 v23, 29, v23
	v_and_b32_e32 v24, 7, v24
	v_cmp_eq_u16_e32 vcc, 0, v22
	v_cndmask_b32_e32 v21, v21, v24, vcc
	v_cndmask_b32_e32 v22, v22, v23, vcc
	v_lshlrev_b32_e32 v23, 24, v10
	v_mov_b32_e32 v24, 0x3b800000
	v_lshlrev_b32_e32 v21, 20, v21
	v_and_b32_e32 v23, 0x80000000, v23
	v_lshl_add_u32 v22, v22, 23, v24
	v_or3_b32 v21, v23, v22, v21
.LBB22_1032:
	s_or_b64 exec, exec, s[6:7]
	flat_load_dwordx4 a[0:3], v[18:19] offset:576
	s_movk_i32 s4, 0x7f
                                        ; implicit-def: $sgpr10
	s_waitcnt vmcnt(0) lgkmcnt(0)
	v_mfma_f32_16x16x4f32 a[0:3], v20, v21, a[0:3]
	v_lshrrev_b32_e32 v21, 8, v14
	v_cmp_gt_i16_sdwa s[6:7], v21, s4 src0_sel:BYTE_0 src1_sel:DWORD
	s_mov_b64 s[4:5], 0
	s_and_saveexec_b64 s[8:9], s[6:7]
	s_xor_b64 s[6:7], exec, s[8:9]
	s_cbranch_execnz .LBB22_3081
; %bb.1033:
	s_or_saveexec_b64 s[6:7], s[6:7]
	v_mov_b32_e32 v20, s10
	s_xor_b64 exec, exec, s[6:7]
	s_cbranch_execnz .LBB22_3084
.LBB22_1034:
	s_or_b64 exec, exec, s[6:7]
	s_and_saveexec_b64 s[6:7], s[4:5]
	s_cbranch_execz .LBB22_1036
.LBB22_1035:
	v_bfe_u32 v20, v14, 8, 3
	v_ffbh_u32_e32 v23, v20
	v_min_u32_e32 v23, 32, v23
	v_lshrrev_b16_e32 v22, 3, v21
	v_subrev_u32_e32 v24, 28, v23
	v_and_b32_e32 v22, 15, v22
	v_lshlrev_b32_e32 v21, v24, v21
	v_sub_u32_e32 v23, 29, v23
	v_and_b32_e32 v21, 7, v21
	v_cmp_eq_u16_e32 vcc, 0, v22
	v_cndmask_b32_e32 v20, v20, v21, vcc
	v_cndmask_b32_e32 v21, v22, v23, vcc
	v_lshlrev_b32_e32 v22, 16, v14
	v_mov_b32_e32 v23, 0x3b800000
	v_lshlrev_b32_e32 v20, 20, v20
	v_and_b32_e32 v22, 0x80000000, v22
	v_lshl_add_u32 v21, v21, 23, v23
	v_or3_b32 v20, v22, v21, v20
.LBB22_1036:
	s_or_b64 exec, exec, s[6:7]
	v_lshrrev_b32_e32 v21, 8, v10
	s_movk_i32 s4, 0x7f
	v_cmp_gt_i16_sdwa s[6:7], v21, s4 src0_sel:BYTE_0 src1_sel:DWORD
	s_mov_b64 s[4:5], 0
                                        ; implicit-def: $sgpr10
	s_and_saveexec_b64 s[8:9], s[6:7]
	s_xor_b64 s[6:7], exec, s[8:9]
	s_cbranch_execnz .LBB22_3085
; %bb.1037:
	s_or_saveexec_b64 s[6:7], s[6:7]
	v_mov_b32_e32 v22, s10
	s_xor_b64 exec, exec, s[6:7]
	s_cbranch_execnz .LBB22_3088
.LBB22_1038:
	s_or_b64 exec, exec, s[6:7]
	s_and_saveexec_b64 s[6:7], s[4:5]
	s_cbranch_execz .LBB22_1040
.LBB22_1039:
	v_bfe_u32 v22, v10, 8, 3
	v_ffbh_u32_e32 v24, v22
	v_min_u32_e32 v24, 32, v24
	v_lshrrev_b16_e32 v23, 3, v21
	v_subrev_u32_e32 v25, 28, v24
	v_and_b32_e32 v23, 15, v23
	v_lshlrev_b32_e32 v21, v25, v21
	v_sub_u32_e32 v24, 29, v24
	v_and_b32_e32 v21, 7, v21
	v_cmp_eq_u16_e32 vcc, 0, v23
	v_cndmask_b32_e32 v21, v22, v21, vcc
	v_cndmask_b32_e32 v22, v23, v24, vcc
	v_lshlrev_b32_e32 v23, 16, v10
	v_mov_b32_e32 v24, 0x3b800000
	v_lshlrev_b32_e32 v21, 20, v21
	v_and_b32_e32 v23, 0x80000000, v23
	v_lshl_add_u32 v22, v22, 23, v24
	v_or3_b32 v22, v23, v22, v21
.LBB22_1040:
	s_or_b64 exec, exec, s[6:7]
	s_nop 0
	v_mfma_f32_16x16x4f32 a[0:3], v20, v22, a[0:3]
	s_movk_i32 s4, 0xff
	v_and_b32_sdwa v21, v14, s4 dst_sel:DWORD dst_unused:UNUSED_PAD src0_sel:WORD_1 src1_sel:DWORD
	s_movk_i32 s4, 0x7f
	v_cmp_lt_i16_e32 vcc, s4, v21
	s_mov_b64 s[4:5], 0
                                        ; implicit-def: $sgpr10
	s_and_saveexec_b64 s[6:7], vcc
	s_xor_b64 s[6:7], exec, s[6:7]
	s_cbranch_execnz .LBB22_3089
; %bb.1041:
	s_or_saveexec_b64 s[6:7], s[6:7]
	v_mov_b32_e32 v20, s10
	s_xor_b64 exec, exec, s[6:7]
	s_cbranch_execnz .LBB22_3092
.LBB22_1042:
	s_or_b64 exec, exec, s[6:7]
	s_and_saveexec_b64 s[6:7], s[4:5]
	s_cbranch_execz .LBB22_1044
.LBB22_1043:
	v_bfe_u32 v20, v14, 16, 3
	v_ffbh_u32_e32 v23, v20
	v_min_u32_e32 v23, 32, v23
	v_lshrrev_b32_e32 v21, 19, v14
	v_subrev_u32_e32 v24, 28, v23
	v_and_b32_e32 v21, 15, v21
	v_lshlrev_b32_sdwa v24, v24, v14 dst_sel:DWORD dst_unused:UNUSED_PAD src0_sel:DWORD src1_sel:WORD_1
	v_bfe_u32 v22, v14, 19, 4
	v_sub_u32_e32 v23, 29, v23
	v_and_b32_e32 v24, 7, v24
	v_cmp_eq_u16_e32 vcc, 0, v21
	v_cndmask_b32_e32 v20, v20, v24, vcc
	v_cndmask_b32_e32 v21, v22, v23, vcc
	v_lshlrev_b32_e32 v22, 8, v14
	v_mov_b32_e32 v23, 0x3b800000
	v_lshlrev_b32_e32 v20, 20, v20
	v_and_b32_e32 v22, 0x80000000, v22
	v_lshl_add_u32 v21, v21, 23, v23
	v_or3_b32 v20, v22, v21, v20
.LBB22_1044:
	s_or_b64 exec, exec, s[6:7]
	s_movk_i32 s4, 0xff
	v_and_b32_sdwa v21, v10, s4 dst_sel:DWORD dst_unused:UNUSED_PAD src0_sel:WORD_1 src1_sel:DWORD
	s_movk_i32 s4, 0x7f
	v_cmp_lt_i16_e32 vcc, s4, v21
	s_mov_b64 s[4:5], 0
                                        ; implicit-def: $sgpr10
	s_and_saveexec_b64 s[6:7], vcc
	s_xor_b64 s[6:7], exec, s[6:7]
	s_cbranch_execnz .LBB22_3093
; %bb.1045:
	s_or_saveexec_b64 s[6:7], s[6:7]
	v_mov_b32_e32 v22, s10
	s_xor_b64 exec, exec, s[6:7]
	s_cbranch_execnz .LBB22_3096
.LBB22_1046:
	s_or_b64 exec, exec, s[6:7]
	s_and_saveexec_b64 s[6:7], s[4:5]
	s_cbranch_execz .LBB22_1048
.LBB22_1047:
	v_bfe_u32 v21, v10, 16, 3
	v_ffbh_u32_e32 v24, v21
	v_min_u32_e32 v24, 32, v24
	v_lshrrev_b32_e32 v22, 19, v10
	v_subrev_u32_e32 v25, 28, v24
	v_and_b32_e32 v22, 15, v22
	v_lshlrev_b32_sdwa v25, v25, v10 dst_sel:DWORD dst_unused:UNUSED_PAD src0_sel:DWORD src1_sel:WORD_1
	v_bfe_u32 v23, v10, 19, 4
	v_sub_u32_e32 v24, 29, v24
	v_and_b32_e32 v25, 7, v25
	v_cmp_eq_u16_e32 vcc, 0, v22
	v_cndmask_b32_e32 v21, v21, v25, vcc
	v_cndmask_b32_e32 v22, v23, v24, vcc
	v_lshlrev_b32_e32 v23, 8, v10
	v_mov_b32_e32 v24, 0x3b800000
	v_lshlrev_b32_e32 v21, 20, v21
	v_and_b32_e32 v23, 0x80000000, v23
	v_lshl_add_u32 v22, v22, 23, v24
	v_or3_b32 v22, v23, v22, v21
.LBB22_1048:
	s_or_b64 exec, exec, s[6:7]
	s_nop 0
	v_mfma_f32_16x16x4f32 a[0:3], v20, v22, a[0:3]
	s_movk_i32 s4, 0x7f
	v_cmp_gt_i16_sdwa s[6:7], v14, s4 src0_sel:BYTE_3 src1_sel:DWORD
	s_mov_b64 s[4:5], 0
                                        ; implicit-def: $sgpr10
	s_and_saveexec_b64 s[8:9], s[6:7]
	s_xor_b64 s[6:7], exec, s[8:9]
	s_cbranch_execnz .LBB22_3097
; %bb.1049:
	s_or_saveexec_b64 s[6:7], s[6:7]
	v_mov_b32_e32 v20, s10
	s_xor_b64 exec, exec, s[6:7]
	s_cbranch_execnz .LBB22_3100
.LBB22_1050:
	s_or_b64 exec, exec, s[6:7]
	s_and_saveexec_b64 s[6:7], s[4:5]
	s_cbranch_execz .LBB22_1052
.LBB22_1051:
	v_bfe_u32 v20, v14, 24, 3
	v_ffbh_u32_e32 v24, v20
	v_min_u32_e32 v24, 32, v24
	v_lshrrev_b32_e32 v22, 27, v14
	v_subrev_u32_e32 v25, 28, v24
	v_and_b32_e32 v21, 0x80000000, v14
	v_and_b32_e32 v22, 15, v22
	v_bfe_u32 v23, v14, 27, 4
	v_lshlrev_b32_sdwa v14, v25, v14 dst_sel:DWORD dst_unused:UNUSED_PAD src0_sel:DWORD src1_sel:BYTE_3
	v_sub_u32_e32 v24, 29, v24
	v_and_b32_e32 v14, 7, v14
	v_cmp_eq_u16_e32 vcc, 0, v22
	v_cndmask_b32_e32 v14, v20, v14, vcc
	v_cndmask_b32_e32 v20, v23, v24, vcc
	v_mov_b32_e32 v22, 0x3b800000
	v_lshlrev_b32_e32 v14, 20, v14
	v_lshl_add_u32 v20, v20, 23, v22
	v_or3_b32 v20, v21, v20, v14
.LBB22_1052:
	s_or_b64 exec, exec, s[6:7]
	s_movk_i32 s4, 0x7f
	v_cmp_gt_i16_sdwa s[6:7], v10, s4 src0_sel:BYTE_3 src1_sel:DWORD
	s_mov_b64 s[4:5], 0
                                        ; implicit-def: $sgpr10
	s_and_saveexec_b64 s[8:9], s[6:7]
	s_xor_b64 s[6:7], exec, s[8:9]
	s_cbranch_execnz .LBB22_3101
; %bb.1053:
	s_or_saveexec_b64 s[6:7], s[6:7]
	v_mov_b32_e32 v14, s10
	s_xor_b64 exec, exec, s[6:7]
	s_cbranch_execnz .LBB22_3104
.LBB22_1054:
	s_or_b64 exec, exec, s[6:7]
	s_and_saveexec_b64 s[6:7], s[4:5]
	s_cbranch_execz .LBB22_1056
.LBB22_1055:
	v_bfe_u32 v14, v10, 24, 3
	v_ffbh_u32_e32 v24, v14
	v_min_u32_e32 v24, 32, v24
	v_lshrrev_b32_e32 v22, 27, v10
	v_subrev_u32_e32 v25, 28, v24
	v_and_b32_e32 v21, 0x80000000, v10
	v_and_b32_e32 v22, 15, v22
	v_bfe_u32 v23, v10, 27, 4
	v_lshlrev_b32_sdwa v10, v25, v10 dst_sel:DWORD dst_unused:UNUSED_PAD src0_sel:DWORD src1_sel:BYTE_3
	v_sub_u32_e32 v24, 29, v24
	v_and_b32_e32 v10, 7, v10
	v_cmp_eq_u16_e32 vcc, 0, v22
	v_cndmask_b32_e32 v10, v14, v10, vcc
	v_cndmask_b32_e32 v14, v23, v24, vcc
	v_mov_b32_e32 v22, 0x3b800000
	v_lshlrev_b32_e32 v10, 20, v10
	v_lshl_add_u32 v14, v14, 23, v22
	v_or3_b32 v14, v21, v14, v10
.LBB22_1056:
	s_or_b64 exec, exec, s[6:7]
	s_nop 0
	v_mfma_f32_16x16x4f32 a[0:3], v20, v14, a[0:3]
	s_movk_i32 s4, 0x7f
	v_cmp_gt_i16_sdwa s[6:7], v15, s4 src0_sel:BYTE_0 src1_sel:DWORD
	s_mov_b64 s[4:5], 0
                                        ; implicit-def: $sgpr10
	s_and_saveexec_b64 s[8:9], s[6:7]
	s_xor_b64 s[6:7], exec, s[8:9]
	s_cbranch_execnz .LBB22_3105
; %bb.1057:
	s_or_saveexec_b64 s[6:7], s[6:7]
	v_mov_b32_e32 v10, s10
	s_xor_b64 exec, exec, s[6:7]
	s_cbranch_execnz .LBB22_3108
.LBB22_1058:
	s_or_b64 exec, exec, s[6:7]
	s_and_saveexec_b64 s[6:7], s[4:5]
	s_cbranch_execz .LBB22_1060
.LBB22_1059:
	v_and_b32_e32 v10, 7, v15
	v_ffbh_u32_e32 v20, v10
	v_min_u32_e32 v20, 32, v20
	v_lshrrev_b16_e32 v14, 3, v15
	v_subrev_u32_e32 v21, 28, v20
	v_and_b32_e32 v14, 15, v14
	v_lshlrev_b32_e32 v21, v21, v15
	v_sub_u32_e32 v20, 29, v20
	v_and_b32_e32 v21, 7, v21
	v_cmp_eq_u16_e32 vcc, 0, v14
	v_cndmask_b32_e32 v10, v10, v21, vcc
	v_cndmask_b32_e32 v14, v14, v20, vcc
	v_lshlrev_b32_e32 v20, 24, v15
	v_mov_b32_e32 v21, 0x3b800000
	v_lshlrev_b32_e32 v10, 20, v10
	v_and_b32_e32 v20, 0x80000000, v20
	v_lshl_add_u32 v14, v14, 23, v21
	v_or3_b32 v10, v20, v14, v10
.LBB22_1060:
	s_or_b64 exec, exec, s[6:7]
	s_movk_i32 s4, 0x7f
	v_cmp_gt_i16_sdwa s[6:7], v11, s4 src0_sel:BYTE_0 src1_sel:DWORD
	s_mov_b64 s[4:5], 0
                                        ; implicit-def: $sgpr10
	s_and_saveexec_b64 s[8:9], s[6:7]
	s_xor_b64 s[6:7], exec, s[8:9]
	s_cbranch_execnz .LBB22_3109
; %bb.1061:
	s_or_saveexec_b64 s[6:7], s[6:7]
	v_mov_b32_e32 v14, s10
	s_xor_b64 exec, exec, s[6:7]
	s_cbranch_execnz .LBB22_3112
.LBB22_1062:
	s_or_b64 exec, exec, s[6:7]
	s_and_saveexec_b64 s[6:7], s[4:5]
	s_cbranch_execz .LBB22_1064
.LBB22_1063:
	v_and_b32_e32 v14, 7, v11
	v_ffbh_u32_e32 v21, v14
	v_min_u32_e32 v21, 32, v21
	v_lshrrev_b16_e32 v20, 3, v11
	v_subrev_u32_e32 v22, 28, v21
	v_and_b32_e32 v20, 15, v20
	v_lshlrev_b32_e32 v22, v22, v11
	v_sub_u32_e32 v21, 29, v21
	v_and_b32_e32 v22, 7, v22
	v_cmp_eq_u16_e32 vcc, 0, v20
	v_cndmask_b32_e32 v14, v14, v22, vcc
	v_cndmask_b32_e32 v20, v20, v21, vcc
	v_lshlrev_b32_e32 v21, 24, v11
	v_mov_b32_e32 v22, 0x3b800000
	v_lshlrev_b32_e32 v14, 20, v14
	v_and_b32_e32 v21, 0x80000000, v21
	v_lshl_add_u32 v20, v20, 23, v22
	v_or3_b32 v14, v21, v20, v14
.LBB22_1064:
	s_or_b64 exec, exec, s[6:7]
	s_nop 0
	v_mfma_f32_16x16x4f32 a[0:3], v10, v14, a[0:3]
	v_lshrrev_b32_e32 v14, 8, v15
	s_movk_i32 s4, 0x7f
	v_cmp_gt_i16_sdwa s[6:7], v14, s4 src0_sel:BYTE_0 src1_sel:DWORD
	s_mov_b64 s[4:5], 0
                                        ; implicit-def: $sgpr10
	s_and_saveexec_b64 s[8:9], s[6:7]
	s_xor_b64 s[6:7], exec, s[8:9]
	s_cbranch_execnz .LBB22_3113
; %bb.1065:
	s_or_saveexec_b64 s[6:7], s[6:7]
	v_mov_b32_e32 v10, s10
	s_xor_b64 exec, exec, s[6:7]
	s_cbranch_execnz .LBB22_3116
.LBB22_1066:
	s_or_b64 exec, exec, s[6:7]
	s_and_saveexec_b64 s[6:7], s[4:5]
	s_cbranch_execz .LBB22_1068
.LBB22_1067:
	v_bfe_u32 v10, v15, 8, 3
	v_ffbh_u32_e32 v21, v10
	v_min_u32_e32 v21, 32, v21
	v_lshrrev_b16_e32 v20, 3, v14
	v_subrev_u32_e32 v22, 28, v21
	v_and_b32_e32 v20, 15, v20
	v_lshlrev_b32_e32 v14, v22, v14
	v_sub_u32_e32 v21, 29, v21
	v_and_b32_e32 v14, 7, v14
	v_cmp_eq_u16_e32 vcc, 0, v20
	v_cndmask_b32_e32 v10, v10, v14, vcc
	v_cndmask_b32_e32 v14, v20, v21, vcc
	v_lshlrev_b32_e32 v20, 16, v15
	v_mov_b32_e32 v21, 0x3b800000
	v_lshlrev_b32_e32 v10, 20, v10
	v_and_b32_e32 v20, 0x80000000, v20
	v_lshl_add_u32 v14, v14, 23, v21
	v_or3_b32 v10, v20, v14, v10
.LBB22_1068:
	s_or_b64 exec, exec, s[6:7]
	v_lshrrev_b32_e32 v14, 8, v11
	s_movk_i32 s4, 0x7f
	v_cmp_gt_i16_sdwa s[6:7], v14, s4 src0_sel:BYTE_0 src1_sel:DWORD
	s_mov_b64 s[4:5], 0
                                        ; implicit-def: $sgpr10
	s_and_saveexec_b64 s[8:9], s[6:7]
	s_xor_b64 s[6:7], exec, s[8:9]
	s_cbranch_execnz .LBB22_3117
; %bb.1069:
	s_or_saveexec_b64 s[6:7], s[6:7]
	v_mov_b32_e32 v20, s10
	s_xor_b64 exec, exec, s[6:7]
	s_cbranch_execnz .LBB22_3120
.LBB22_1070:
	s_or_b64 exec, exec, s[6:7]
	s_and_saveexec_b64 s[6:7], s[4:5]
	s_cbranch_execz .LBB22_1072
.LBB22_1071:
	v_bfe_u32 v20, v11, 8, 3
	v_ffbh_u32_e32 v22, v20
	v_min_u32_e32 v22, 32, v22
	v_lshrrev_b16_e32 v21, 3, v14
	v_subrev_u32_e32 v23, 28, v22
	v_and_b32_e32 v21, 15, v21
	v_lshlrev_b32_e32 v14, v23, v14
	v_sub_u32_e32 v22, 29, v22
	v_and_b32_e32 v14, 7, v14
	v_cmp_eq_u16_e32 vcc, 0, v21
	v_cndmask_b32_e32 v14, v20, v14, vcc
	v_cndmask_b32_e32 v20, v21, v22, vcc
	v_lshlrev_b32_e32 v21, 16, v11
	v_mov_b32_e32 v22, 0x3b800000
	v_lshlrev_b32_e32 v14, 20, v14
	v_and_b32_e32 v21, 0x80000000, v21
	v_lshl_add_u32 v20, v20, 23, v22
	v_or3_b32 v20, v21, v20, v14
.LBB22_1072:
	s_or_b64 exec, exec, s[6:7]
	s_nop 0
	v_mfma_f32_16x16x4f32 a[0:3], v10, v20, a[0:3]
	s_movk_i32 s4, 0xff
	v_and_b32_sdwa v14, v15, s4 dst_sel:DWORD dst_unused:UNUSED_PAD src0_sel:WORD_1 src1_sel:DWORD
	s_movk_i32 s4, 0x7f
	v_cmp_lt_i16_e32 vcc, s4, v14
	s_mov_b64 s[4:5], 0
                                        ; implicit-def: $sgpr10
	s_and_saveexec_b64 s[6:7], vcc
	s_xor_b64 s[6:7], exec, s[6:7]
	s_cbranch_execnz .LBB22_3121
; %bb.1073:
	s_or_saveexec_b64 s[6:7], s[6:7]
	v_mov_b32_e32 v10, s10
	s_xor_b64 exec, exec, s[6:7]
	s_cbranch_execnz .LBB22_3124
.LBB22_1074:
	s_or_b64 exec, exec, s[6:7]
	s_and_saveexec_b64 s[6:7], s[4:5]
	s_cbranch_execz .LBB22_1076
.LBB22_1075:
	v_bfe_u32 v10, v15, 16, 3
	v_ffbh_u32_e32 v21, v10
	v_min_u32_e32 v21, 32, v21
	v_lshrrev_b32_e32 v14, 19, v15
	v_subrev_u32_e32 v22, 28, v21
	v_and_b32_e32 v14, 15, v14
	v_lshlrev_b32_sdwa v22, v22, v15 dst_sel:DWORD dst_unused:UNUSED_PAD src0_sel:DWORD src1_sel:WORD_1
	v_bfe_u32 v20, v15, 19, 4
	v_sub_u32_e32 v21, 29, v21
	v_and_b32_e32 v22, 7, v22
	v_cmp_eq_u16_e32 vcc, 0, v14
	v_cndmask_b32_e32 v10, v10, v22, vcc
	v_cndmask_b32_e32 v14, v20, v21, vcc
	v_lshlrev_b32_e32 v20, 8, v15
	v_mov_b32_e32 v21, 0x3b800000
	v_lshlrev_b32_e32 v10, 20, v10
	v_and_b32_e32 v20, 0x80000000, v20
	v_lshl_add_u32 v14, v14, 23, v21
	v_or3_b32 v10, v20, v14, v10
.LBB22_1076:
	s_or_b64 exec, exec, s[6:7]
	s_movk_i32 s4, 0xff
	v_and_b32_sdwa v14, v11, s4 dst_sel:DWORD dst_unused:UNUSED_PAD src0_sel:WORD_1 src1_sel:DWORD
	s_movk_i32 s4, 0x7f
	v_cmp_lt_i16_e32 vcc, s4, v14
	s_mov_b64 s[4:5], 0
                                        ; implicit-def: $sgpr10
	s_and_saveexec_b64 s[6:7], vcc
	s_xor_b64 s[6:7], exec, s[6:7]
	s_cbranch_execnz .LBB22_3125
; %bb.1077:
	s_or_saveexec_b64 s[6:7], s[6:7]
	v_mov_b32_e32 v20, s10
	s_xor_b64 exec, exec, s[6:7]
	s_cbranch_execnz .LBB22_3128
.LBB22_1078:
	s_or_b64 exec, exec, s[6:7]
	s_and_saveexec_b64 s[6:7], s[4:5]
	s_cbranch_execz .LBB22_1080
.LBB22_1079:
	v_bfe_u32 v14, v11, 16, 3
	v_ffbh_u32_e32 v22, v14
	v_min_u32_e32 v22, 32, v22
	v_lshrrev_b32_e32 v20, 19, v11
	v_subrev_u32_e32 v23, 28, v22
	v_and_b32_e32 v20, 15, v20
	v_lshlrev_b32_sdwa v23, v23, v11 dst_sel:DWORD dst_unused:UNUSED_PAD src0_sel:DWORD src1_sel:WORD_1
	v_bfe_u32 v21, v11, 19, 4
	v_sub_u32_e32 v22, 29, v22
	v_and_b32_e32 v23, 7, v23
	v_cmp_eq_u16_e32 vcc, 0, v20
	v_cndmask_b32_e32 v14, v14, v23, vcc
	v_cndmask_b32_e32 v20, v21, v22, vcc
	v_lshlrev_b32_e32 v21, 8, v11
	v_mov_b32_e32 v22, 0x3b800000
	v_lshlrev_b32_e32 v14, 20, v14
	v_and_b32_e32 v21, 0x80000000, v21
	v_lshl_add_u32 v20, v20, 23, v22
	v_or3_b32 v20, v21, v20, v14
.LBB22_1080:
	s_or_b64 exec, exec, s[6:7]
	s_nop 0
	v_mfma_f32_16x16x4f32 a[0:3], v10, v20, a[0:3]
	s_movk_i32 s4, 0x7f
	v_cmp_gt_i16_sdwa s[6:7], v15, s4 src0_sel:BYTE_3 src1_sel:DWORD
	s_mov_b64 s[4:5], 0
                                        ; implicit-def: $sgpr10
	s_and_saveexec_b64 s[8:9], s[6:7]
	s_xor_b64 s[6:7], exec, s[8:9]
	s_cbranch_execnz .LBB22_3129
; %bb.1081:
	s_or_saveexec_b64 s[6:7], s[6:7]
	v_mov_b32_e32 v10, s10
	s_xor_b64 exec, exec, s[6:7]
	s_cbranch_execnz .LBB22_3132
.LBB22_1082:
	s_or_b64 exec, exec, s[6:7]
	s_and_saveexec_b64 s[6:7], s[4:5]
	s_cbranch_execz .LBB22_1084
.LBB22_1083:
	v_bfe_u32 v10, v15, 24, 3
	v_ffbh_u32_e32 v22, v10
	v_min_u32_e32 v22, 32, v22
	v_lshrrev_b32_e32 v20, 27, v15
	v_subrev_u32_e32 v23, 28, v22
	v_and_b32_e32 v14, 0x80000000, v15
	v_and_b32_e32 v20, 15, v20
	v_bfe_u32 v21, v15, 27, 4
	v_lshlrev_b32_sdwa v15, v23, v15 dst_sel:DWORD dst_unused:UNUSED_PAD src0_sel:DWORD src1_sel:BYTE_3
	v_sub_u32_e32 v22, 29, v22
	v_and_b32_e32 v15, 7, v15
	v_cmp_eq_u16_e32 vcc, 0, v20
	v_cndmask_b32_e32 v10, v10, v15, vcc
	v_cndmask_b32_e32 v15, v21, v22, vcc
	v_mov_b32_e32 v20, 0x3b800000
	v_lshlrev_b32_e32 v10, 20, v10
	v_lshl_add_u32 v15, v15, 23, v20
	v_or3_b32 v10, v14, v15, v10
.LBB22_1084:
	s_or_b64 exec, exec, s[6:7]
	s_movk_i32 s4, 0x7f
	v_cmp_gt_i16_sdwa s[6:7], v11, s4 src0_sel:BYTE_3 src1_sel:DWORD
	s_mov_b64 s[4:5], 0
                                        ; implicit-def: $sgpr10
	s_and_saveexec_b64 s[8:9], s[6:7]
	s_xor_b64 s[6:7], exec, s[8:9]
	s_cbranch_execnz .LBB22_3133
; %bb.1085:
	s_or_saveexec_b64 s[6:7], s[6:7]
	v_mov_b32_e32 v14, s10
	s_xor_b64 exec, exec, s[6:7]
	s_cbranch_execnz .LBB22_3136
.LBB22_1086:
	s_or_b64 exec, exec, s[6:7]
	s_and_saveexec_b64 s[6:7], s[4:5]
	s_cbranch_execz .LBB22_1088
.LBB22_1087:
	v_bfe_u32 v14, v11, 24, 3
	v_ffbh_u32_e32 v22, v14
	v_min_u32_e32 v22, 32, v22
	v_lshrrev_b32_e32 v20, 27, v11
	v_subrev_u32_e32 v23, 28, v22
	v_and_b32_e32 v15, 0x80000000, v11
	v_and_b32_e32 v20, 15, v20
	v_bfe_u32 v21, v11, 27, 4
	v_lshlrev_b32_sdwa v11, v23, v11 dst_sel:DWORD dst_unused:UNUSED_PAD src0_sel:DWORD src1_sel:BYTE_3
	v_sub_u32_e32 v22, 29, v22
	v_and_b32_e32 v11, 7, v11
	v_cmp_eq_u16_e32 vcc, 0, v20
	v_cndmask_b32_e32 v11, v14, v11, vcc
	v_cndmask_b32_e32 v14, v21, v22, vcc
	v_mov_b32_e32 v20, 0x3b800000
	v_lshlrev_b32_e32 v11, 20, v11
	v_lshl_add_u32 v14, v14, 23, v20
	v_or3_b32 v14, v15, v14, v11
.LBB22_1088:
	s_or_b64 exec, exec, s[6:7]
	s_nop 0
	v_mfma_f32_16x16x4f32 a[0:3], v10, v14, a[0:3]
	s_movk_i32 s4, 0x7f
	v_cmp_gt_i16_sdwa s[6:7], v16, s4 src0_sel:BYTE_0 src1_sel:DWORD
	s_mov_b64 s[4:5], 0
                                        ; implicit-def: $sgpr10
	s_and_saveexec_b64 s[8:9], s[6:7]
	s_xor_b64 s[6:7], exec, s[8:9]
	s_cbranch_execnz .LBB22_3137
; %bb.1089:
	s_or_saveexec_b64 s[6:7], s[6:7]
	v_mov_b32_e32 v10, s10
	s_xor_b64 exec, exec, s[6:7]
	s_cbranch_execnz .LBB22_3140
.LBB22_1090:
	s_or_b64 exec, exec, s[6:7]
	s_and_saveexec_b64 s[6:7], s[4:5]
	s_cbranch_execz .LBB22_1092
.LBB22_1091:
	v_and_b32_e32 v10, 7, v16
	v_ffbh_u32_e32 v14, v10
	v_min_u32_e32 v14, 32, v14
	v_lshrrev_b16_e32 v11, 3, v16
	v_subrev_u32_e32 v15, 28, v14
	v_and_b32_e32 v11, 15, v11
	v_lshlrev_b32_e32 v15, v15, v16
	v_sub_u32_e32 v14, 29, v14
	v_and_b32_e32 v15, 7, v15
	v_cmp_eq_u16_e32 vcc, 0, v11
	v_cndmask_b32_e32 v10, v10, v15, vcc
	v_cndmask_b32_e32 v11, v11, v14, vcc
	v_lshlrev_b32_e32 v14, 24, v16
	v_mov_b32_e32 v15, 0x3b800000
	v_lshlrev_b32_e32 v10, 20, v10
	v_and_b32_e32 v14, 0x80000000, v14
	v_lshl_add_u32 v11, v11, 23, v15
	v_or3_b32 v10, v14, v11, v10
.LBB22_1092:
	s_or_b64 exec, exec, s[6:7]
	s_movk_i32 s4, 0x7f
	v_cmp_gt_i16_sdwa s[6:7], v12, s4 src0_sel:BYTE_0 src1_sel:DWORD
	s_mov_b64 s[4:5], 0
                                        ; implicit-def: $sgpr10
	s_and_saveexec_b64 s[8:9], s[6:7]
	s_xor_b64 s[6:7], exec, s[8:9]
	s_cbranch_execnz .LBB22_3141
; %bb.1093:
	s_or_saveexec_b64 s[6:7], s[6:7]
	v_mov_b32_e32 v11, s10
	s_xor_b64 exec, exec, s[6:7]
	s_cbranch_execnz .LBB22_3144
.LBB22_1094:
	s_or_b64 exec, exec, s[6:7]
	s_and_saveexec_b64 s[6:7], s[4:5]
	s_cbranch_execz .LBB22_1096
.LBB22_1095:
	v_and_b32_e32 v11, 7, v12
	v_ffbh_u32_e32 v15, v11
	v_min_u32_e32 v15, 32, v15
	v_lshrrev_b16_e32 v14, 3, v12
	v_subrev_u32_e32 v20, 28, v15
	v_and_b32_e32 v14, 15, v14
	v_lshlrev_b32_e32 v20, v20, v12
	v_sub_u32_e32 v15, 29, v15
	v_and_b32_e32 v20, 7, v20
	v_cmp_eq_u16_e32 vcc, 0, v14
	v_cndmask_b32_e32 v11, v11, v20, vcc
	v_cndmask_b32_e32 v14, v14, v15, vcc
	v_lshlrev_b32_e32 v15, 24, v12
	v_mov_b32_e32 v20, 0x3b800000
	v_lshlrev_b32_e32 v11, 20, v11
	v_and_b32_e32 v15, 0x80000000, v15
	v_lshl_add_u32 v14, v14, 23, v20
	v_or3_b32 v11, v15, v14, v11
.LBB22_1096:
	s_or_b64 exec, exec, s[6:7]
	s_nop 0
	v_mfma_f32_16x16x4f32 a[0:3], v10, v11, a[0:3]
	v_lshrrev_b32_e32 v11, 8, v16
	s_movk_i32 s4, 0x7f
	v_cmp_gt_i16_sdwa s[6:7], v11, s4 src0_sel:BYTE_0 src1_sel:DWORD
	s_mov_b64 s[4:5], 0
                                        ; implicit-def: $sgpr10
	s_and_saveexec_b64 s[8:9], s[6:7]
	s_xor_b64 s[6:7], exec, s[8:9]
	s_cbranch_execnz .LBB22_3145
; %bb.1097:
	s_or_saveexec_b64 s[6:7], s[6:7]
	v_mov_b32_e32 v10, s10
	s_xor_b64 exec, exec, s[6:7]
	s_cbranch_execnz .LBB22_3148
.LBB22_1098:
	s_or_b64 exec, exec, s[6:7]
	s_and_saveexec_b64 s[6:7], s[4:5]
	s_cbranch_execz .LBB22_1100
.LBB22_1099:
	v_bfe_u32 v10, v16, 8, 3
	v_ffbh_u32_e32 v15, v10
	v_min_u32_e32 v15, 32, v15
	v_lshrrev_b16_e32 v14, 3, v11
	v_subrev_u32_e32 v20, 28, v15
	v_and_b32_e32 v14, 15, v14
	v_lshlrev_b32_e32 v11, v20, v11
	v_sub_u32_e32 v15, 29, v15
	v_and_b32_e32 v11, 7, v11
	v_cmp_eq_u16_e32 vcc, 0, v14
	v_cndmask_b32_e32 v10, v10, v11, vcc
	v_cndmask_b32_e32 v11, v14, v15, vcc
	v_lshlrev_b32_e32 v14, 16, v16
	v_mov_b32_e32 v15, 0x3b800000
	v_lshlrev_b32_e32 v10, 20, v10
	v_and_b32_e32 v14, 0x80000000, v14
	v_lshl_add_u32 v11, v11, 23, v15
	v_or3_b32 v10, v14, v11, v10
.LBB22_1100:
	s_or_b64 exec, exec, s[6:7]
	v_lshrrev_b32_e32 v11, 8, v12
	s_movk_i32 s4, 0x7f
	v_cmp_gt_i16_sdwa s[6:7], v11, s4 src0_sel:BYTE_0 src1_sel:DWORD
	s_mov_b64 s[4:5], 0
                                        ; implicit-def: $sgpr10
	s_and_saveexec_b64 s[8:9], s[6:7]
	s_xor_b64 s[6:7], exec, s[8:9]
	s_cbranch_execnz .LBB22_3149
; %bb.1101:
	s_or_saveexec_b64 s[6:7], s[6:7]
	v_mov_b32_e32 v14, s10
	s_xor_b64 exec, exec, s[6:7]
	s_cbranch_execnz .LBB22_3152
.LBB22_1102:
	s_or_b64 exec, exec, s[6:7]
	s_and_saveexec_b64 s[6:7], s[4:5]
	s_cbranch_execz .LBB22_1104
.LBB22_1103:
	v_bfe_u32 v14, v12, 8, 3
	v_ffbh_u32_e32 v20, v14
	v_min_u32_e32 v20, 32, v20
	v_lshrrev_b16_e32 v15, 3, v11
	v_subrev_u32_e32 v21, 28, v20
	v_and_b32_e32 v15, 15, v15
	v_lshlrev_b32_e32 v11, v21, v11
	v_sub_u32_e32 v20, 29, v20
	v_and_b32_e32 v11, 7, v11
	v_cmp_eq_u16_e32 vcc, 0, v15
	v_cndmask_b32_e32 v11, v14, v11, vcc
	v_cndmask_b32_e32 v14, v15, v20, vcc
	v_lshlrev_b32_e32 v15, 16, v12
	v_mov_b32_e32 v20, 0x3b800000
	v_lshlrev_b32_e32 v11, 20, v11
	v_and_b32_e32 v15, 0x80000000, v15
	v_lshl_add_u32 v14, v14, 23, v20
	v_or3_b32 v14, v15, v14, v11
.LBB22_1104:
	s_or_b64 exec, exec, s[6:7]
	s_nop 0
	v_mfma_f32_16x16x4f32 a[0:3], v10, v14, a[0:3]
	s_movk_i32 s4, 0xff
	v_and_b32_sdwa v11, v16, s4 dst_sel:DWORD dst_unused:UNUSED_PAD src0_sel:WORD_1 src1_sel:DWORD
	s_movk_i32 s4, 0x7f
	v_cmp_lt_i16_e32 vcc, s4, v11
	s_mov_b64 s[4:5], 0
                                        ; implicit-def: $sgpr10
	s_and_saveexec_b64 s[6:7], vcc
	s_xor_b64 s[6:7], exec, s[6:7]
	s_cbranch_execnz .LBB22_3153
; %bb.1105:
	s_or_saveexec_b64 s[6:7], s[6:7]
	v_mov_b32_e32 v10, s10
	s_xor_b64 exec, exec, s[6:7]
	s_cbranch_execnz .LBB22_3156
.LBB22_1106:
	s_or_b64 exec, exec, s[6:7]
	s_and_saveexec_b64 s[6:7], s[4:5]
	s_cbranch_execz .LBB22_1108
.LBB22_1107:
	v_bfe_u32 v10, v16, 16, 3
	v_ffbh_u32_e32 v15, v10
	v_min_u32_e32 v15, 32, v15
	v_lshrrev_b32_e32 v11, 19, v16
	v_subrev_u32_e32 v20, 28, v15
	v_and_b32_e32 v11, 15, v11
	v_lshlrev_b32_sdwa v20, v20, v16 dst_sel:DWORD dst_unused:UNUSED_PAD src0_sel:DWORD src1_sel:WORD_1
	v_bfe_u32 v14, v16, 19, 4
	v_sub_u32_e32 v15, 29, v15
	v_and_b32_e32 v20, 7, v20
	v_cmp_eq_u16_e32 vcc, 0, v11
	v_cndmask_b32_e32 v10, v10, v20, vcc
	v_cndmask_b32_e32 v11, v14, v15, vcc
	v_lshlrev_b32_e32 v14, 8, v16
	v_mov_b32_e32 v15, 0x3b800000
	v_lshlrev_b32_e32 v10, 20, v10
	v_and_b32_e32 v14, 0x80000000, v14
	v_lshl_add_u32 v11, v11, 23, v15
	v_or3_b32 v10, v14, v11, v10
.LBB22_1108:
	s_or_b64 exec, exec, s[6:7]
	s_movk_i32 s4, 0xff
	v_and_b32_sdwa v11, v12, s4 dst_sel:DWORD dst_unused:UNUSED_PAD src0_sel:WORD_1 src1_sel:DWORD
	s_movk_i32 s4, 0x7f
	v_cmp_lt_i16_e32 vcc, s4, v11
	s_mov_b64 s[4:5], 0
                                        ; implicit-def: $sgpr10
	s_and_saveexec_b64 s[6:7], vcc
	s_xor_b64 s[6:7], exec, s[6:7]
	s_cbranch_execnz .LBB22_3157
; %bb.1109:
	s_or_saveexec_b64 s[6:7], s[6:7]
	v_mov_b32_e32 v14, s10
	s_xor_b64 exec, exec, s[6:7]
	s_cbranch_execnz .LBB22_3160
.LBB22_1110:
	s_or_b64 exec, exec, s[6:7]
	s_and_saveexec_b64 s[6:7], s[4:5]
	s_cbranch_execz .LBB22_1112
.LBB22_1111:
	v_bfe_u32 v11, v12, 16, 3
	v_ffbh_u32_e32 v20, v11
	v_min_u32_e32 v20, 32, v20
	v_lshrrev_b32_e32 v14, 19, v12
	v_subrev_u32_e32 v21, 28, v20
	v_and_b32_e32 v14, 15, v14
	v_lshlrev_b32_sdwa v21, v21, v12 dst_sel:DWORD dst_unused:UNUSED_PAD src0_sel:DWORD src1_sel:WORD_1
	v_bfe_u32 v15, v12, 19, 4
	v_sub_u32_e32 v20, 29, v20
	v_and_b32_e32 v21, 7, v21
	v_cmp_eq_u16_e32 vcc, 0, v14
	v_cndmask_b32_e32 v11, v11, v21, vcc
	v_cndmask_b32_e32 v14, v15, v20, vcc
	v_lshlrev_b32_e32 v15, 8, v12
	v_mov_b32_e32 v20, 0x3b800000
	v_lshlrev_b32_e32 v11, 20, v11
	v_and_b32_e32 v15, 0x80000000, v15
	v_lshl_add_u32 v14, v14, 23, v20
	v_or3_b32 v14, v15, v14, v11
.LBB22_1112:
	s_or_b64 exec, exec, s[6:7]
	s_nop 0
	v_mfma_f32_16x16x4f32 a[0:3], v10, v14, a[0:3]
	s_movk_i32 s4, 0x7f
	v_cmp_gt_i16_sdwa s[6:7], v16, s4 src0_sel:BYTE_3 src1_sel:DWORD
	s_mov_b64 s[4:5], 0
                                        ; implicit-def: $sgpr10
	s_and_saveexec_b64 s[8:9], s[6:7]
	s_xor_b64 s[6:7], exec, s[8:9]
	s_cbranch_execnz .LBB22_3161
; %bb.1113:
	s_or_saveexec_b64 s[6:7], s[6:7]
	v_mov_b32_e32 v10, s10
	s_xor_b64 exec, exec, s[6:7]
	s_cbranch_execnz .LBB22_3164
.LBB22_1114:
	s_or_b64 exec, exec, s[6:7]
	s_and_saveexec_b64 s[6:7], s[4:5]
	s_cbranch_execz .LBB22_1116
.LBB22_1115:
	v_bfe_u32 v10, v16, 24, 3
	v_ffbh_u32_e32 v20, v10
	v_min_u32_e32 v20, 32, v20
	v_lshrrev_b32_e32 v14, 27, v16
	v_subrev_u32_e32 v21, 28, v20
	v_and_b32_e32 v11, 0x80000000, v16
	v_and_b32_e32 v14, 15, v14
	v_bfe_u32 v15, v16, 27, 4
	v_lshlrev_b32_sdwa v16, v21, v16 dst_sel:DWORD dst_unused:UNUSED_PAD src0_sel:DWORD src1_sel:BYTE_3
	v_sub_u32_e32 v20, 29, v20
	v_and_b32_e32 v16, 7, v16
	v_cmp_eq_u16_e32 vcc, 0, v14
	v_cndmask_b32_e32 v10, v10, v16, vcc
	v_cndmask_b32_e32 v14, v15, v20, vcc
	v_mov_b32_e32 v15, 0x3b800000
	v_lshlrev_b32_e32 v10, 20, v10
	v_lshl_add_u32 v14, v14, 23, v15
	v_or3_b32 v10, v11, v14, v10
.LBB22_1116:
	s_or_b64 exec, exec, s[6:7]
	s_movk_i32 s4, 0x7f
	v_cmp_gt_i16_sdwa s[6:7], v12, s4 src0_sel:BYTE_3 src1_sel:DWORD
	s_mov_b64 s[4:5], 0
                                        ; implicit-def: $sgpr10
	s_and_saveexec_b64 s[8:9], s[6:7]
	s_xor_b64 s[6:7], exec, s[8:9]
	s_cbranch_execnz .LBB22_3165
; %bb.1117:
	s_or_saveexec_b64 s[6:7], s[6:7]
	v_mov_b32_e32 v11, s10
	s_xor_b64 exec, exec, s[6:7]
	s_cbranch_execnz .LBB22_3168
.LBB22_1118:
	s_or_b64 exec, exec, s[6:7]
	s_and_saveexec_b64 s[6:7], s[4:5]
	s_cbranch_execz .LBB22_1120
.LBB22_1119:
	v_bfe_u32 v11, v12, 24, 3
	v_ffbh_u32_e32 v20, v11
	v_min_u32_e32 v20, 32, v20
	v_lshrrev_b32_e32 v15, 27, v12
	v_subrev_u32_e32 v21, 28, v20
	v_and_b32_e32 v14, 0x80000000, v12
	v_and_b32_e32 v15, 15, v15
	v_bfe_u32 v16, v12, 27, 4
	v_lshlrev_b32_sdwa v12, v21, v12 dst_sel:DWORD dst_unused:UNUSED_PAD src0_sel:DWORD src1_sel:BYTE_3
	v_sub_u32_e32 v20, 29, v20
	v_and_b32_e32 v12, 7, v12
	v_cmp_eq_u16_e32 vcc, 0, v15
	v_cndmask_b32_e32 v11, v11, v12, vcc
	v_cndmask_b32_e32 v12, v16, v20, vcc
	v_mov_b32_e32 v15, 0x3b800000
	v_lshlrev_b32_e32 v11, 20, v11
	v_lshl_add_u32 v12, v12, 23, v15
	v_or3_b32 v11, v14, v12, v11
.LBB22_1120:
	s_or_b64 exec, exec, s[6:7]
	s_nop 0
	v_mfma_f32_16x16x4f32 a[0:3], v10, v11, a[0:3]
	s_movk_i32 s4, 0x7f
	v_cmp_gt_i16_sdwa s[6:7], v17, s4 src0_sel:BYTE_0 src1_sel:DWORD
	s_mov_b64 s[4:5], 0
                                        ; implicit-def: $sgpr10
	s_and_saveexec_b64 s[8:9], s[6:7]
	s_xor_b64 s[6:7], exec, s[8:9]
	s_cbranch_execnz .LBB22_3169
; %bb.1121:
	s_or_saveexec_b64 s[6:7], s[6:7]
	v_mov_b32_e32 v10, s10
	s_xor_b64 exec, exec, s[6:7]
	s_cbranch_execnz .LBB22_3172
.LBB22_1122:
	s_or_b64 exec, exec, s[6:7]
	s_and_saveexec_b64 s[6:7], s[4:5]
	s_cbranch_execz .LBB22_1124
.LBB22_1123:
	v_and_b32_e32 v10, 7, v17
	v_ffbh_u32_e32 v12, v10
	v_min_u32_e32 v12, 32, v12
	v_lshrrev_b16_e32 v11, 3, v17
	v_subrev_u32_e32 v14, 28, v12
	v_and_b32_e32 v11, 15, v11
	v_lshlrev_b32_e32 v14, v14, v17
	v_sub_u32_e32 v12, 29, v12
	v_and_b32_e32 v14, 7, v14
	v_cmp_eq_u16_e32 vcc, 0, v11
	v_cndmask_b32_e32 v10, v10, v14, vcc
	v_cndmask_b32_e32 v11, v11, v12, vcc
	v_lshlrev_b32_e32 v12, 24, v17
	v_mov_b32_e32 v14, 0x3b800000
	v_lshlrev_b32_e32 v10, 20, v10
	v_and_b32_e32 v12, 0x80000000, v12
	v_lshl_add_u32 v11, v11, 23, v14
	v_or3_b32 v10, v12, v11, v10
.LBB22_1124:
	s_or_b64 exec, exec, s[6:7]
	s_movk_i32 s4, 0x7f
	v_cmp_gt_i16_sdwa s[6:7], v13, s4 src0_sel:BYTE_0 src1_sel:DWORD
	s_mov_b64 s[4:5], 0
                                        ; implicit-def: $sgpr10
	s_and_saveexec_b64 s[8:9], s[6:7]
	s_xor_b64 s[6:7], exec, s[8:9]
	s_cbranch_execnz .LBB22_3173
; %bb.1125:
	s_or_saveexec_b64 s[6:7], s[6:7]
	v_mov_b32_e32 v11, s10
	s_xor_b64 exec, exec, s[6:7]
	s_cbranch_execnz .LBB22_3176
.LBB22_1126:
	s_or_b64 exec, exec, s[6:7]
	s_and_saveexec_b64 s[6:7], s[4:5]
	s_cbranch_execz .LBB22_1128
.LBB22_1127:
	v_and_b32_e32 v11, 7, v13
	v_ffbh_u32_e32 v14, v11
	v_min_u32_e32 v14, 32, v14
	v_lshrrev_b16_e32 v12, 3, v13
	v_subrev_u32_e32 v15, 28, v14
	v_and_b32_e32 v12, 15, v12
	v_lshlrev_b32_e32 v15, v15, v13
	v_sub_u32_e32 v14, 29, v14
	v_and_b32_e32 v15, 7, v15
	v_cmp_eq_u16_e32 vcc, 0, v12
	v_cndmask_b32_e32 v11, v11, v15, vcc
	v_cndmask_b32_e32 v12, v12, v14, vcc
	v_lshlrev_b32_e32 v14, 24, v13
	v_mov_b32_e32 v15, 0x3b800000
	v_lshlrev_b32_e32 v11, 20, v11
	v_and_b32_e32 v14, 0x80000000, v14
	v_lshl_add_u32 v12, v12, 23, v15
	v_or3_b32 v11, v14, v12, v11
.LBB22_1128:
	s_or_b64 exec, exec, s[6:7]
	s_nop 0
	v_mfma_f32_16x16x4f32 a[0:3], v10, v11, a[0:3]
	v_lshrrev_b32_e32 v11, 8, v17
	s_movk_i32 s4, 0x7f
	v_cmp_gt_i16_sdwa s[6:7], v11, s4 src0_sel:BYTE_0 src1_sel:DWORD
	s_mov_b64 s[4:5], 0
                                        ; implicit-def: $sgpr10
	s_and_saveexec_b64 s[8:9], s[6:7]
	s_xor_b64 s[6:7], exec, s[8:9]
	s_cbranch_execnz .LBB22_3177
; %bb.1129:
	s_or_saveexec_b64 s[6:7], s[6:7]
	v_mov_b32_e32 v10, s10
	s_xor_b64 exec, exec, s[6:7]
	s_cbranch_execnz .LBB22_3180
.LBB22_1130:
	s_or_b64 exec, exec, s[6:7]
	s_and_saveexec_b64 s[6:7], s[4:5]
	s_cbranch_execz .LBB22_1132
.LBB22_1131:
	v_bfe_u32 v10, v17, 8, 3
	v_ffbh_u32_e32 v14, v10
	v_min_u32_e32 v14, 32, v14
	v_lshrrev_b16_e32 v12, 3, v11
	v_subrev_u32_e32 v15, 28, v14
	v_and_b32_e32 v12, 15, v12
	v_lshlrev_b32_e32 v11, v15, v11
	v_sub_u32_e32 v14, 29, v14
	v_and_b32_e32 v11, 7, v11
	v_cmp_eq_u16_e32 vcc, 0, v12
	v_cndmask_b32_e32 v10, v10, v11, vcc
	v_cndmask_b32_e32 v11, v12, v14, vcc
	v_lshlrev_b32_e32 v12, 16, v17
	v_mov_b32_e32 v14, 0x3b800000
	v_lshlrev_b32_e32 v10, 20, v10
	v_and_b32_e32 v12, 0x80000000, v12
	v_lshl_add_u32 v11, v11, 23, v14
	v_or3_b32 v10, v12, v11, v10
.LBB22_1132:
	s_or_b64 exec, exec, s[6:7]
	v_lshrrev_b32_e32 v11, 8, v13
	s_movk_i32 s4, 0x7f
	v_cmp_gt_i16_sdwa s[6:7], v11, s4 src0_sel:BYTE_0 src1_sel:DWORD
	s_mov_b64 s[4:5], 0
                                        ; implicit-def: $sgpr10
	s_and_saveexec_b64 s[8:9], s[6:7]
	s_xor_b64 s[6:7], exec, s[8:9]
	s_cbranch_execnz .LBB22_3181
; %bb.1133:
	s_or_saveexec_b64 s[6:7], s[6:7]
	v_mov_b32_e32 v12, s10
	s_xor_b64 exec, exec, s[6:7]
	s_cbranch_execnz .LBB22_3184
.LBB22_1134:
	s_or_b64 exec, exec, s[6:7]
	s_and_saveexec_b64 s[6:7], s[4:5]
	s_cbranch_execz .LBB22_1136
.LBB22_1135:
	v_bfe_u32 v12, v13, 8, 3
	v_ffbh_u32_e32 v15, v12
	v_min_u32_e32 v15, 32, v15
	v_lshrrev_b16_e32 v14, 3, v11
	v_subrev_u32_e32 v16, 28, v15
	v_and_b32_e32 v14, 15, v14
	v_lshlrev_b32_e32 v11, v16, v11
	v_sub_u32_e32 v15, 29, v15
	v_and_b32_e32 v11, 7, v11
	v_cmp_eq_u16_e32 vcc, 0, v14
	v_cndmask_b32_e32 v11, v12, v11, vcc
	v_cndmask_b32_e32 v12, v14, v15, vcc
	v_lshlrev_b32_e32 v14, 16, v13
	v_mov_b32_e32 v15, 0x3b800000
	v_lshlrev_b32_e32 v11, 20, v11
	v_and_b32_e32 v14, 0x80000000, v14
	v_lshl_add_u32 v12, v12, 23, v15
	v_or3_b32 v12, v14, v12, v11
.LBB22_1136:
	s_or_b64 exec, exec, s[6:7]
	s_nop 0
	v_mfma_f32_16x16x4f32 a[0:3], v10, v12, a[0:3]
	s_movk_i32 s4, 0xff
	v_and_b32_sdwa v11, v17, s4 dst_sel:DWORD dst_unused:UNUSED_PAD src0_sel:WORD_1 src1_sel:DWORD
	s_movk_i32 s4, 0x7f
	v_cmp_lt_i16_e32 vcc, s4, v11
	s_mov_b64 s[4:5], 0
                                        ; implicit-def: $sgpr10
	s_and_saveexec_b64 s[6:7], vcc
	s_xor_b64 s[6:7], exec, s[6:7]
	s_cbranch_execnz .LBB22_3185
; %bb.1137:
	s_or_saveexec_b64 s[6:7], s[6:7]
	v_mov_b32_e32 v10, s10
	s_xor_b64 exec, exec, s[6:7]
	s_cbranch_execnz .LBB22_3188
.LBB22_1138:
	s_or_b64 exec, exec, s[6:7]
	s_and_saveexec_b64 s[6:7], s[4:5]
	s_cbranch_execz .LBB22_1140
.LBB22_1139:
	v_bfe_u32 v10, v17, 16, 3
	v_ffbh_u32_e32 v14, v10
	v_min_u32_e32 v14, 32, v14
	v_lshrrev_b32_e32 v11, 19, v17
	v_subrev_u32_e32 v15, 28, v14
	v_and_b32_e32 v11, 15, v11
	v_lshlrev_b32_sdwa v15, v15, v17 dst_sel:DWORD dst_unused:UNUSED_PAD src0_sel:DWORD src1_sel:WORD_1
	v_bfe_u32 v12, v17, 19, 4
	v_sub_u32_e32 v14, 29, v14
	v_and_b32_e32 v15, 7, v15
	v_cmp_eq_u16_e32 vcc, 0, v11
	v_cndmask_b32_e32 v10, v10, v15, vcc
	v_cndmask_b32_e32 v11, v12, v14, vcc
	v_lshlrev_b32_e32 v12, 8, v17
	v_mov_b32_e32 v14, 0x3b800000
	v_lshlrev_b32_e32 v10, 20, v10
	v_and_b32_e32 v12, 0x80000000, v12
	v_lshl_add_u32 v11, v11, 23, v14
	v_or3_b32 v10, v12, v11, v10
.LBB22_1140:
	s_or_b64 exec, exec, s[6:7]
	s_movk_i32 s4, 0xff
	v_and_b32_sdwa v11, v13, s4 dst_sel:DWORD dst_unused:UNUSED_PAD src0_sel:WORD_1 src1_sel:DWORD
	s_movk_i32 s4, 0x7f
	v_cmp_lt_i16_e32 vcc, s4, v11
	s_mov_b64 s[4:5], 0
                                        ; implicit-def: $sgpr10
	s_and_saveexec_b64 s[6:7], vcc
	s_xor_b64 s[6:7], exec, s[6:7]
	s_cbranch_execnz .LBB22_3189
; %bb.1141:
	s_or_saveexec_b64 s[6:7], s[6:7]
	v_mov_b32_e32 v12, s10
	s_xor_b64 exec, exec, s[6:7]
	s_cbranch_execnz .LBB22_3192
.LBB22_1142:
	s_or_b64 exec, exec, s[6:7]
	s_and_saveexec_b64 s[6:7], s[4:5]
	s_cbranch_execz .LBB22_1144
.LBB22_1143:
	v_bfe_u32 v11, v13, 16, 3
	v_ffbh_u32_e32 v15, v11
	v_min_u32_e32 v15, 32, v15
	v_lshrrev_b32_e32 v12, 19, v13
	v_subrev_u32_e32 v16, 28, v15
	v_and_b32_e32 v12, 15, v12
	v_lshlrev_b32_sdwa v16, v16, v13 dst_sel:DWORD dst_unused:UNUSED_PAD src0_sel:DWORD src1_sel:WORD_1
	v_bfe_u32 v14, v13, 19, 4
	v_sub_u32_e32 v15, 29, v15
	v_and_b32_e32 v16, 7, v16
	v_cmp_eq_u16_e32 vcc, 0, v12
	v_cndmask_b32_e32 v11, v11, v16, vcc
	v_cndmask_b32_e32 v12, v14, v15, vcc
	v_lshlrev_b32_e32 v14, 8, v13
	v_mov_b32_e32 v15, 0x3b800000
	v_lshlrev_b32_e32 v11, 20, v11
	v_and_b32_e32 v14, 0x80000000, v14
	v_lshl_add_u32 v12, v12, 23, v15
	v_or3_b32 v12, v14, v12, v11
.LBB22_1144:
	s_or_b64 exec, exec, s[6:7]
	s_nop 0
	v_mfma_f32_16x16x4f32 a[0:3], v10, v12, a[0:3]
	s_movk_i32 s4, 0x7f
	v_cmp_gt_i16_sdwa s[6:7], v17, s4 src0_sel:BYTE_3 src1_sel:DWORD
	s_mov_b64 s[4:5], 0
                                        ; implicit-def: $sgpr10
	s_and_saveexec_b64 s[8:9], s[6:7]
	s_xor_b64 s[6:7], exec, s[8:9]
	s_cbranch_execnz .LBB22_3193
; %bb.1145:
	s_or_saveexec_b64 s[6:7], s[6:7]
	v_mov_b32_e32 v10, s10
	s_xor_b64 exec, exec, s[6:7]
	s_cbranch_execnz .LBB22_3196
.LBB22_1146:
	s_or_b64 exec, exec, s[6:7]
	s_and_saveexec_b64 s[6:7], s[4:5]
	s_cbranch_execz .LBB22_1148
.LBB22_1147:
	v_bfe_u32 v10, v17, 24, 3
	v_ffbh_u32_e32 v15, v10
	v_min_u32_e32 v15, 32, v15
	v_lshrrev_b32_e32 v12, 27, v17
	v_subrev_u32_e32 v16, 28, v15
	v_and_b32_e32 v12, 15, v12
	v_lshlrev_b32_sdwa v16, v16, v17 dst_sel:DWORD dst_unused:UNUSED_PAD src0_sel:DWORD src1_sel:BYTE_3
	v_bfe_u32 v14, v17, 27, 4
	v_sub_u32_e32 v15, 29, v15
	v_and_b32_e32 v16, 7, v16
	v_cmp_eq_u16_e32 vcc, 0, v12
	v_cndmask_b32_e32 v10, v10, v16, vcc
	v_cndmask_b32_e32 v12, v14, v15, vcc
	v_mov_b32_e32 v14, 0x3b800000
	v_and_b32_e32 v11, 0x80000000, v17
	v_lshlrev_b32_e32 v10, 20, v10
	v_lshl_add_u32 v12, v12, 23, v14
	v_or3_b32 v10, v11, v12, v10
.LBB22_1148:
	s_or_b64 exec, exec, s[6:7]
	s_movk_i32 s4, 0x7f
	v_cmp_gt_i16_sdwa s[6:7], v13, s4 src0_sel:BYTE_3 src1_sel:DWORD
	s_mov_b64 s[4:5], 0
                                        ; implicit-def: $sgpr10
	s_and_saveexec_b64 s[8:9], s[6:7]
	s_xor_b64 s[6:7], exec, s[8:9]
	s_cbranch_execnz .LBB22_3197
; %bb.1149:
	s_or_saveexec_b64 s[6:7], s[6:7]
	v_mov_b32_e32 v11, s10
	s_xor_b64 exec, exec, s[6:7]
	s_cbranch_execnz .LBB22_3200
.LBB22_1150:
	s_or_b64 exec, exec, s[6:7]
	s_and_saveexec_b64 s[6:7], s[4:5]
	s_cbranch_execz .LBB22_1152
.LBB22_1151:
	v_bfe_u32 v11, v13, 24, 3
	v_ffbh_u32_e32 v16, v11
	v_min_u32_e32 v16, 32, v16
	v_lshrrev_b32_e32 v14, 27, v13
	v_subrev_u32_e32 v17, 28, v16
	v_and_b32_e32 v12, 0x80000000, v13
	v_and_b32_e32 v14, 15, v14
	v_bfe_u32 v15, v13, 27, 4
	v_lshlrev_b32_sdwa v13, v17, v13 dst_sel:DWORD dst_unused:UNUSED_PAD src0_sel:DWORD src1_sel:BYTE_3
	v_sub_u32_e32 v16, 29, v16
	v_and_b32_e32 v13, 7, v13
	v_cmp_eq_u16_e32 vcc, 0, v14
	v_cndmask_b32_e32 v11, v11, v13, vcc
	v_cndmask_b32_e32 v13, v15, v16, vcc
	v_mov_b32_e32 v14, 0x3b800000
	v_lshlrev_b32_e32 v11, 20, v11
	v_lshl_add_u32 v13, v13, 23, v14
	v_or3_b32 v11, v12, v13, v11
.LBB22_1152:
	s_or_b64 exec, exec, s[6:7]
	s_nop 0
	v_mfma_f32_16x16x4f32 a[0:3], v10, v11, a[0:3]
	s_movk_i32 s4, 0x7f
	v_cmp_gt_i16_sdwa s[6:7], v6, s4 src0_sel:BYTE_0 src1_sel:DWORD
	s_mov_b64 s[4:5], 0
                                        ; implicit-def: $sgpr10
	s_and_saveexec_b64 s[8:9], s[6:7]
	s_xor_b64 s[6:7], exec, s[8:9]
	s_cbranch_execnz .LBB22_3201
; %bb.1153:
	s_or_saveexec_b64 s[6:7], s[6:7]
	v_mov_b32_e32 v10, s10
	s_xor_b64 exec, exec, s[6:7]
	s_cbranch_execnz .LBB22_3204
.LBB22_1154:
	s_or_b64 exec, exec, s[6:7]
	s_and_saveexec_b64 s[6:7], s[4:5]
	s_cbranch_execz .LBB22_1156
.LBB22_1155:
	v_and_b32_e32 v10, 7, v6
	v_ffbh_u32_e32 v12, v10
	v_min_u32_e32 v12, 32, v12
	v_lshrrev_b16_e32 v11, 3, v6
	v_subrev_u32_e32 v13, 28, v12
	v_and_b32_e32 v11, 15, v11
	v_lshlrev_b32_e32 v13, v13, v6
	v_sub_u32_e32 v12, 29, v12
	v_and_b32_e32 v13, 7, v13
	v_cmp_eq_u16_e32 vcc, 0, v11
	v_cndmask_b32_e32 v10, v10, v13, vcc
	v_cndmask_b32_e32 v11, v11, v12, vcc
	v_lshlrev_b32_e32 v12, 24, v6
	v_mov_b32_e32 v13, 0x3b800000
	v_lshlrev_b32_e32 v10, 20, v10
	v_and_b32_e32 v12, 0x80000000, v12
	v_lshl_add_u32 v11, v11, 23, v13
	v_or3_b32 v10, v12, v11, v10
.LBB22_1156:
	s_or_b64 exec, exec, s[6:7]
	s_movk_i32 s4, 0x7f
	v_cmp_gt_i16_sdwa s[6:7], v2, s4 src0_sel:BYTE_0 src1_sel:DWORD
	s_mov_b64 s[4:5], 0
                                        ; implicit-def: $sgpr10
	s_and_saveexec_b64 s[8:9], s[6:7]
	s_xor_b64 s[6:7], exec, s[8:9]
	s_cbranch_execnz .LBB22_3205
; %bb.1157:
	s_or_saveexec_b64 s[6:7], s[6:7]
	v_mov_b32_e32 v11, s10
	s_xor_b64 exec, exec, s[6:7]
	s_cbranch_execnz .LBB22_3208
.LBB22_1158:
	s_or_b64 exec, exec, s[6:7]
	s_and_saveexec_b64 s[6:7], s[4:5]
	s_cbranch_execz .LBB22_1160
.LBB22_1159:
	v_and_b32_e32 v11, 7, v2
	v_ffbh_u32_e32 v13, v11
	v_min_u32_e32 v13, 32, v13
	v_lshrrev_b16_e32 v12, 3, v2
	v_subrev_u32_e32 v14, 28, v13
	v_and_b32_e32 v12, 15, v12
	v_lshlrev_b32_e32 v14, v14, v2
	v_sub_u32_e32 v13, 29, v13
	v_and_b32_e32 v14, 7, v14
	v_cmp_eq_u16_e32 vcc, 0, v12
	v_cndmask_b32_e32 v11, v11, v14, vcc
	v_cndmask_b32_e32 v12, v12, v13, vcc
	v_lshlrev_b32_e32 v13, 24, v2
	v_mov_b32_e32 v14, 0x3b800000
	v_lshlrev_b32_e32 v11, 20, v11
	v_and_b32_e32 v13, 0x80000000, v13
	v_lshl_add_u32 v12, v12, 23, v14
	v_or3_b32 v11, v13, v12, v11
.LBB22_1160:
	s_or_b64 exec, exec, s[6:7]
	s_nop 0
	v_mfma_f32_16x16x4f32 a[0:3], v10, v11, a[0:3]
	v_lshrrev_b32_e32 v11, 8, v6
	s_movk_i32 s4, 0x7f
	v_cmp_gt_i16_sdwa s[6:7], v11, s4 src0_sel:BYTE_0 src1_sel:DWORD
	s_mov_b64 s[4:5], 0
                                        ; implicit-def: $sgpr10
	s_and_saveexec_b64 s[8:9], s[6:7]
	s_xor_b64 s[6:7], exec, s[8:9]
	s_cbranch_execnz .LBB22_3209
; %bb.1161:
	s_or_saveexec_b64 s[6:7], s[6:7]
	v_mov_b32_e32 v10, s10
	s_xor_b64 exec, exec, s[6:7]
	s_cbranch_execnz .LBB22_3212
.LBB22_1162:
	s_or_b64 exec, exec, s[6:7]
	s_and_saveexec_b64 s[6:7], s[4:5]
	s_cbranch_execz .LBB22_1164
.LBB22_1163:
	v_bfe_u32 v10, v6, 8, 3
	v_ffbh_u32_e32 v13, v10
	v_min_u32_e32 v13, 32, v13
	v_lshrrev_b16_e32 v12, 3, v11
	v_subrev_u32_e32 v14, 28, v13
	v_and_b32_e32 v12, 15, v12
	v_lshlrev_b32_e32 v11, v14, v11
	v_sub_u32_e32 v13, 29, v13
	v_and_b32_e32 v11, 7, v11
	v_cmp_eq_u16_e32 vcc, 0, v12
	v_cndmask_b32_e32 v10, v10, v11, vcc
	v_cndmask_b32_e32 v11, v12, v13, vcc
	v_lshlrev_b32_e32 v12, 16, v6
	v_mov_b32_e32 v13, 0x3b800000
	v_lshlrev_b32_e32 v10, 20, v10
	v_and_b32_e32 v12, 0x80000000, v12
	v_lshl_add_u32 v11, v11, 23, v13
	v_or3_b32 v10, v12, v11, v10
.LBB22_1164:
	s_or_b64 exec, exec, s[6:7]
	v_lshrrev_b32_e32 v11, 8, v2
	s_movk_i32 s4, 0x7f
	v_cmp_gt_i16_sdwa s[6:7], v11, s4 src0_sel:BYTE_0 src1_sel:DWORD
	s_mov_b64 s[4:5], 0
                                        ; implicit-def: $sgpr10
	s_and_saveexec_b64 s[8:9], s[6:7]
	s_xor_b64 s[6:7], exec, s[8:9]
	s_cbranch_execnz .LBB22_3213
; %bb.1165:
	s_or_saveexec_b64 s[6:7], s[6:7]
	v_mov_b32_e32 v12, s10
	s_xor_b64 exec, exec, s[6:7]
	s_cbranch_execnz .LBB22_3216
.LBB22_1166:
	s_or_b64 exec, exec, s[6:7]
	s_and_saveexec_b64 s[6:7], s[4:5]
	s_cbranch_execz .LBB22_1168
.LBB22_1167:
	v_bfe_u32 v12, v2, 8, 3
	v_ffbh_u32_e32 v14, v12
	v_min_u32_e32 v14, 32, v14
	v_lshrrev_b16_e32 v13, 3, v11
	v_subrev_u32_e32 v15, 28, v14
	v_and_b32_e32 v13, 15, v13
	v_lshlrev_b32_e32 v11, v15, v11
	v_sub_u32_e32 v14, 29, v14
	v_and_b32_e32 v11, 7, v11
	v_cmp_eq_u16_e32 vcc, 0, v13
	v_cndmask_b32_e32 v11, v12, v11, vcc
	v_cndmask_b32_e32 v12, v13, v14, vcc
	v_lshlrev_b32_e32 v13, 16, v2
	v_mov_b32_e32 v14, 0x3b800000
	v_lshlrev_b32_e32 v11, 20, v11
	v_and_b32_e32 v13, 0x80000000, v13
	v_lshl_add_u32 v12, v12, 23, v14
	v_or3_b32 v12, v13, v12, v11
.LBB22_1168:
	s_or_b64 exec, exec, s[6:7]
	s_nop 0
	v_mfma_f32_16x16x4f32 a[0:3], v10, v12, a[0:3]
	s_movk_i32 s4, 0xff
	v_and_b32_sdwa v11, v6, s4 dst_sel:DWORD dst_unused:UNUSED_PAD src0_sel:WORD_1 src1_sel:DWORD
	s_movk_i32 s4, 0x7f
	v_cmp_lt_i16_e32 vcc, s4, v11
	s_mov_b64 s[4:5], 0
                                        ; implicit-def: $sgpr10
	s_and_saveexec_b64 s[6:7], vcc
	s_xor_b64 s[6:7], exec, s[6:7]
	s_cbranch_execnz .LBB22_3217
; %bb.1169:
	s_or_saveexec_b64 s[6:7], s[6:7]
	v_mov_b32_e32 v10, s10
	s_xor_b64 exec, exec, s[6:7]
	s_cbranch_execnz .LBB22_3220
.LBB22_1170:
	s_or_b64 exec, exec, s[6:7]
	s_and_saveexec_b64 s[6:7], s[4:5]
	s_cbranch_execz .LBB22_1172
.LBB22_1171:
	v_bfe_u32 v10, v6, 16, 3
	v_ffbh_u32_e32 v13, v10
	v_min_u32_e32 v13, 32, v13
	v_lshrrev_b32_e32 v11, 19, v6
	v_subrev_u32_e32 v14, 28, v13
	v_and_b32_e32 v11, 15, v11
	v_lshlrev_b32_sdwa v14, v14, v6 dst_sel:DWORD dst_unused:UNUSED_PAD src0_sel:DWORD src1_sel:WORD_1
	v_bfe_u32 v12, v6, 19, 4
	v_sub_u32_e32 v13, 29, v13
	v_and_b32_e32 v14, 7, v14
	v_cmp_eq_u16_e32 vcc, 0, v11
	v_cndmask_b32_e32 v10, v10, v14, vcc
	v_cndmask_b32_e32 v11, v12, v13, vcc
	v_lshlrev_b32_e32 v12, 8, v6
	v_mov_b32_e32 v13, 0x3b800000
	v_lshlrev_b32_e32 v10, 20, v10
	v_and_b32_e32 v12, 0x80000000, v12
	v_lshl_add_u32 v11, v11, 23, v13
	v_or3_b32 v10, v12, v11, v10
.LBB22_1172:
	s_or_b64 exec, exec, s[6:7]
	s_movk_i32 s4, 0xff
	v_and_b32_sdwa v11, v2, s4 dst_sel:DWORD dst_unused:UNUSED_PAD src0_sel:WORD_1 src1_sel:DWORD
	s_movk_i32 s4, 0x7f
	v_cmp_lt_i16_e32 vcc, s4, v11
	s_mov_b64 s[4:5], 0
                                        ; implicit-def: $sgpr10
	s_and_saveexec_b64 s[6:7], vcc
	s_xor_b64 s[6:7], exec, s[6:7]
	s_cbranch_execnz .LBB22_3221
; %bb.1173:
	s_or_saveexec_b64 s[6:7], s[6:7]
	v_mov_b32_e32 v12, s10
	s_xor_b64 exec, exec, s[6:7]
	s_cbranch_execnz .LBB22_3224
.LBB22_1174:
	s_or_b64 exec, exec, s[6:7]
	s_and_saveexec_b64 s[6:7], s[4:5]
	s_cbranch_execz .LBB22_1176
.LBB22_1175:
	v_bfe_u32 v11, v2, 16, 3
	v_ffbh_u32_e32 v14, v11
	v_min_u32_e32 v14, 32, v14
	v_lshrrev_b32_e32 v12, 19, v2
	v_subrev_u32_e32 v15, 28, v14
	v_and_b32_e32 v12, 15, v12
	v_lshlrev_b32_sdwa v15, v15, v2 dst_sel:DWORD dst_unused:UNUSED_PAD src0_sel:DWORD src1_sel:WORD_1
	v_bfe_u32 v13, v2, 19, 4
	v_sub_u32_e32 v14, 29, v14
	v_and_b32_e32 v15, 7, v15
	v_cmp_eq_u16_e32 vcc, 0, v12
	v_cndmask_b32_e32 v11, v11, v15, vcc
	v_cndmask_b32_e32 v12, v13, v14, vcc
	v_lshlrev_b32_e32 v13, 8, v2
	v_mov_b32_e32 v14, 0x3b800000
	v_lshlrev_b32_e32 v11, 20, v11
	v_and_b32_e32 v13, 0x80000000, v13
	v_lshl_add_u32 v12, v12, 23, v14
	v_or3_b32 v12, v13, v12, v11
.LBB22_1176:
	s_or_b64 exec, exec, s[6:7]
	s_nop 0
	v_mfma_f32_16x16x4f32 a[0:3], v10, v12, a[0:3]
	s_movk_i32 s4, 0x7f
	v_cmp_gt_i16_sdwa s[6:7], v6, s4 src0_sel:BYTE_3 src1_sel:DWORD
	s_mov_b64 s[4:5], 0
                                        ; implicit-def: $sgpr10
	s_and_saveexec_b64 s[8:9], s[6:7]
	s_xor_b64 s[6:7], exec, s[8:9]
	s_cbranch_execnz .LBB22_3225
; %bb.1177:
	s_or_saveexec_b64 s[6:7], s[6:7]
	v_mov_b32_e32 v10, s10
	s_xor_b64 exec, exec, s[6:7]
	s_cbranch_execnz .LBB22_3228
.LBB22_1178:
	s_or_b64 exec, exec, s[6:7]
	s_and_saveexec_b64 s[6:7], s[4:5]
	s_cbranch_execz .LBB22_1180
.LBB22_1179:
	v_bfe_u32 v10, v6, 24, 3
	v_ffbh_u32_e32 v14, v10
	v_min_u32_e32 v14, 32, v14
	v_lshrrev_b32_e32 v12, 27, v6
	v_subrev_u32_e32 v15, 28, v14
	v_and_b32_e32 v11, 0x80000000, v6
	v_and_b32_e32 v12, 15, v12
	v_bfe_u32 v13, v6, 27, 4
	v_lshlrev_b32_sdwa v6, v15, v6 dst_sel:DWORD dst_unused:UNUSED_PAD src0_sel:DWORD src1_sel:BYTE_3
	v_sub_u32_e32 v14, 29, v14
	v_and_b32_e32 v6, 7, v6
	v_cmp_eq_u16_e32 vcc, 0, v12
	v_cndmask_b32_e32 v6, v10, v6, vcc
	v_cndmask_b32_e32 v10, v13, v14, vcc
	v_mov_b32_e32 v12, 0x3b800000
	v_lshlrev_b32_e32 v6, 20, v6
	v_lshl_add_u32 v10, v10, 23, v12
	v_or3_b32 v10, v11, v10, v6
.LBB22_1180:
	s_or_b64 exec, exec, s[6:7]
	s_movk_i32 s4, 0x7f
	v_cmp_gt_i16_sdwa s[6:7], v2, s4 src0_sel:BYTE_3 src1_sel:DWORD
	s_mov_b64 s[4:5], 0
                                        ; implicit-def: $sgpr10
	s_and_saveexec_b64 s[8:9], s[6:7]
	s_xor_b64 s[6:7], exec, s[8:9]
	s_cbranch_execnz .LBB22_3229
; %bb.1181:
	s_or_saveexec_b64 s[6:7], s[6:7]
	v_mov_b32_e32 v6, s10
	s_xor_b64 exec, exec, s[6:7]
	s_cbranch_execnz .LBB22_3232
.LBB22_1182:
	s_or_b64 exec, exec, s[6:7]
	s_and_saveexec_b64 s[6:7], s[4:5]
	s_cbranch_execz .LBB22_1184
.LBB22_1183:
	v_bfe_u32 v6, v2, 24, 3
	v_ffbh_u32_e32 v14, v6
	v_min_u32_e32 v14, 32, v14
	v_lshrrev_b32_e32 v12, 27, v2
	v_subrev_u32_e32 v15, 28, v14
	v_and_b32_e32 v11, 0x80000000, v2
	v_and_b32_e32 v12, 15, v12
	v_bfe_u32 v13, v2, 27, 4
	v_lshlrev_b32_sdwa v2, v15, v2 dst_sel:DWORD dst_unused:UNUSED_PAD src0_sel:DWORD src1_sel:BYTE_3
	v_sub_u32_e32 v14, 29, v14
	v_and_b32_e32 v2, 7, v2
	v_cmp_eq_u16_e32 vcc, 0, v12
	v_cndmask_b32_e32 v2, v6, v2, vcc
	v_cndmask_b32_e32 v6, v13, v14, vcc
	v_mov_b32_e32 v12, 0x3b800000
	v_lshlrev_b32_e32 v2, 20, v2
	v_lshl_add_u32 v6, v6, 23, v12
	v_or3_b32 v6, v11, v6, v2
.LBB22_1184:
	s_or_b64 exec, exec, s[6:7]
	s_nop 0
	v_mfma_f32_16x16x4f32 a[0:3], v10, v6, a[0:3]
	s_movk_i32 s4, 0x7f
	v_cmp_gt_i16_sdwa s[6:7], v7, s4 src0_sel:BYTE_0 src1_sel:DWORD
	s_mov_b64 s[4:5], 0
                                        ; implicit-def: $sgpr10
	s_and_saveexec_b64 s[8:9], s[6:7]
	s_xor_b64 s[6:7], exec, s[8:9]
	s_cbranch_execnz .LBB22_3233
; %bb.1185:
	s_or_saveexec_b64 s[6:7], s[6:7]
	v_mov_b32_e32 v2, s10
	s_xor_b64 exec, exec, s[6:7]
	s_cbranch_execnz .LBB22_3236
.LBB22_1186:
	s_or_b64 exec, exec, s[6:7]
	s_and_saveexec_b64 s[6:7], s[4:5]
	s_cbranch_execz .LBB22_1188
.LBB22_1187:
	v_and_b32_e32 v2, 7, v7
	v_ffbh_u32_e32 v10, v2
	v_min_u32_e32 v10, 32, v10
	v_lshrrev_b16_e32 v6, 3, v7
	v_subrev_u32_e32 v11, 28, v10
	v_and_b32_e32 v6, 15, v6
	v_lshlrev_b32_e32 v11, v11, v7
	v_sub_u32_e32 v10, 29, v10
	v_and_b32_e32 v11, 7, v11
	v_cmp_eq_u16_e32 vcc, 0, v6
	v_cndmask_b32_e32 v2, v2, v11, vcc
	v_cndmask_b32_e32 v6, v6, v10, vcc
	v_lshlrev_b32_e32 v10, 24, v7
	v_mov_b32_e32 v11, 0x3b800000
	v_lshlrev_b32_e32 v2, 20, v2
	v_and_b32_e32 v10, 0x80000000, v10
	v_lshl_add_u32 v6, v6, 23, v11
	v_or3_b32 v2, v10, v6, v2
.LBB22_1188:
	s_or_b64 exec, exec, s[6:7]
	s_movk_i32 s4, 0x7f
	v_cmp_gt_i16_sdwa s[6:7], v3, s4 src0_sel:BYTE_0 src1_sel:DWORD
	s_mov_b64 s[4:5], 0
                                        ; implicit-def: $sgpr10
	s_and_saveexec_b64 s[8:9], s[6:7]
	s_xor_b64 s[6:7], exec, s[8:9]
	s_cbranch_execnz .LBB22_3237
; %bb.1189:
	s_or_saveexec_b64 s[6:7], s[6:7]
	v_mov_b32_e32 v6, s10
	s_xor_b64 exec, exec, s[6:7]
	s_cbranch_execnz .LBB22_3240
.LBB22_1190:
	s_or_b64 exec, exec, s[6:7]
	s_and_saveexec_b64 s[6:7], s[4:5]
	s_cbranch_execz .LBB22_1192
.LBB22_1191:
	v_and_b32_e32 v6, 7, v3
	v_ffbh_u32_e32 v11, v6
	v_min_u32_e32 v11, 32, v11
	v_lshrrev_b16_e32 v10, 3, v3
	v_subrev_u32_e32 v12, 28, v11
	v_and_b32_e32 v10, 15, v10
	v_lshlrev_b32_e32 v12, v12, v3
	v_sub_u32_e32 v11, 29, v11
	v_and_b32_e32 v12, 7, v12
	v_cmp_eq_u16_e32 vcc, 0, v10
	v_cndmask_b32_e32 v6, v6, v12, vcc
	v_cndmask_b32_e32 v10, v10, v11, vcc
	v_lshlrev_b32_e32 v11, 24, v3
	v_mov_b32_e32 v12, 0x3b800000
	v_lshlrev_b32_e32 v6, 20, v6
	v_and_b32_e32 v11, 0x80000000, v11
	v_lshl_add_u32 v10, v10, 23, v12
	v_or3_b32 v6, v11, v10, v6
.LBB22_1192:
	s_or_b64 exec, exec, s[6:7]
	s_nop 0
	v_mfma_f32_16x16x4f32 a[0:3], v2, v6, a[0:3]
	v_lshrrev_b32_e32 v6, 8, v7
	s_movk_i32 s4, 0x7f
	v_cmp_gt_i16_sdwa s[6:7], v6, s4 src0_sel:BYTE_0 src1_sel:DWORD
	s_mov_b64 s[4:5], 0
                                        ; implicit-def: $sgpr10
	s_and_saveexec_b64 s[8:9], s[6:7]
	s_xor_b64 s[6:7], exec, s[8:9]
	s_cbranch_execnz .LBB22_3241
; %bb.1193:
	s_or_saveexec_b64 s[6:7], s[6:7]
	v_mov_b32_e32 v2, s10
	s_xor_b64 exec, exec, s[6:7]
	s_cbranch_execnz .LBB22_3244
.LBB22_1194:
	s_or_b64 exec, exec, s[6:7]
	s_and_saveexec_b64 s[6:7], s[4:5]
	s_cbranch_execz .LBB22_1196
.LBB22_1195:
	v_bfe_u32 v2, v7, 8, 3
	v_ffbh_u32_e32 v11, v2
	v_min_u32_e32 v11, 32, v11
	v_lshrrev_b16_e32 v10, 3, v6
	v_subrev_u32_e32 v12, 28, v11
	v_and_b32_e32 v10, 15, v10
	v_lshlrev_b32_e32 v6, v12, v6
	v_sub_u32_e32 v11, 29, v11
	v_and_b32_e32 v6, 7, v6
	v_cmp_eq_u16_e32 vcc, 0, v10
	v_cndmask_b32_e32 v2, v2, v6, vcc
	v_cndmask_b32_e32 v6, v10, v11, vcc
	v_lshlrev_b32_e32 v10, 16, v7
	v_mov_b32_e32 v11, 0x3b800000
	v_lshlrev_b32_e32 v2, 20, v2
	v_and_b32_e32 v10, 0x80000000, v10
	v_lshl_add_u32 v6, v6, 23, v11
	v_or3_b32 v2, v10, v6, v2
.LBB22_1196:
	s_or_b64 exec, exec, s[6:7]
	v_lshrrev_b32_e32 v6, 8, v3
	s_movk_i32 s4, 0x7f
	v_cmp_gt_i16_sdwa s[6:7], v6, s4 src0_sel:BYTE_0 src1_sel:DWORD
	s_mov_b64 s[4:5], 0
                                        ; implicit-def: $sgpr10
	s_and_saveexec_b64 s[8:9], s[6:7]
	s_xor_b64 s[6:7], exec, s[8:9]
	s_cbranch_execnz .LBB22_3245
; %bb.1197:
	s_or_saveexec_b64 s[6:7], s[6:7]
	v_mov_b32_e32 v10, s10
	s_xor_b64 exec, exec, s[6:7]
	s_cbranch_execnz .LBB22_3248
.LBB22_1198:
	s_or_b64 exec, exec, s[6:7]
	s_and_saveexec_b64 s[6:7], s[4:5]
	s_cbranch_execz .LBB22_1200
.LBB22_1199:
	v_bfe_u32 v10, v3, 8, 3
	v_ffbh_u32_e32 v12, v10
	v_min_u32_e32 v12, 32, v12
	v_lshrrev_b16_e32 v11, 3, v6
	v_subrev_u32_e32 v13, 28, v12
	v_and_b32_e32 v11, 15, v11
	v_lshlrev_b32_e32 v6, v13, v6
	v_sub_u32_e32 v12, 29, v12
	v_and_b32_e32 v6, 7, v6
	v_cmp_eq_u16_e32 vcc, 0, v11
	v_cndmask_b32_e32 v6, v10, v6, vcc
	v_cndmask_b32_e32 v10, v11, v12, vcc
	v_lshlrev_b32_e32 v11, 16, v3
	v_mov_b32_e32 v12, 0x3b800000
	v_lshlrev_b32_e32 v6, 20, v6
	v_and_b32_e32 v11, 0x80000000, v11
	v_lshl_add_u32 v10, v10, 23, v12
	v_or3_b32 v10, v11, v10, v6
.LBB22_1200:
	s_or_b64 exec, exec, s[6:7]
	s_nop 0
	v_mfma_f32_16x16x4f32 a[0:3], v2, v10, a[0:3]
	s_movk_i32 s4, 0xff
	v_and_b32_sdwa v6, v7, s4 dst_sel:DWORD dst_unused:UNUSED_PAD src0_sel:WORD_1 src1_sel:DWORD
	s_movk_i32 s4, 0x7f
	v_cmp_lt_i16_e32 vcc, s4, v6
	s_mov_b64 s[4:5], 0
                                        ; implicit-def: $sgpr10
	s_and_saveexec_b64 s[6:7], vcc
	s_xor_b64 s[6:7], exec, s[6:7]
	s_cbranch_execnz .LBB22_3249
; %bb.1201:
	s_or_saveexec_b64 s[6:7], s[6:7]
	v_mov_b32_e32 v2, s10
	s_xor_b64 exec, exec, s[6:7]
	s_cbranch_execnz .LBB22_3252
.LBB22_1202:
	s_or_b64 exec, exec, s[6:7]
	s_and_saveexec_b64 s[6:7], s[4:5]
	s_cbranch_execz .LBB22_1204
.LBB22_1203:
	v_bfe_u32 v2, v7, 16, 3
	v_ffbh_u32_e32 v11, v2
	v_min_u32_e32 v11, 32, v11
	v_lshrrev_b32_e32 v6, 19, v7
	v_subrev_u32_e32 v12, 28, v11
	v_and_b32_e32 v6, 15, v6
	v_lshlrev_b32_sdwa v12, v12, v7 dst_sel:DWORD dst_unused:UNUSED_PAD src0_sel:DWORD src1_sel:WORD_1
	v_bfe_u32 v10, v7, 19, 4
	v_sub_u32_e32 v11, 29, v11
	v_and_b32_e32 v12, 7, v12
	v_cmp_eq_u16_e32 vcc, 0, v6
	v_cndmask_b32_e32 v2, v2, v12, vcc
	v_cndmask_b32_e32 v6, v10, v11, vcc
	v_lshlrev_b32_e32 v10, 8, v7
	v_mov_b32_e32 v11, 0x3b800000
	v_lshlrev_b32_e32 v2, 20, v2
	v_and_b32_e32 v10, 0x80000000, v10
	v_lshl_add_u32 v6, v6, 23, v11
	v_or3_b32 v2, v10, v6, v2
.LBB22_1204:
	s_or_b64 exec, exec, s[6:7]
	s_movk_i32 s4, 0xff
	v_and_b32_sdwa v6, v3, s4 dst_sel:DWORD dst_unused:UNUSED_PAD src0_sel:WORD_1 src1_sel:DWORD
	s_movk_i32 s4, 0x7f
	v_cmp_lt_i16_e32 vcc, s4, v6
	s_mov_b64 s[4:5], 0
                                        ; implicit-def: $sgpr10
	s_and_saveexec_b64 s[6:7], vcc
	s_xor_b64 s[6:7], exec, s[6:7]
	s_cbranch_execnz .LBB22_3253
; %bb.1205:
	s_or_saveexec_b64 s[6:7], s[6:7]
	v_mov_b32_e32 v10, s10
	s_xor_b64 exec, exec, s[6:7]
	s_cbranch_execnz .LBB22_3256
.LBB22_1206:
	s_or_b64 exec, exec, s[6:7]
	s_and_saveexec_b64 s[6:7], s[4:5]
	s_cbranch_execz .LBB22_1208
.LBB22_1207:
	v_bfe_u32 v6, v3, 16, 3
	v_ffbh_u32_e32 v12, v6
	v_min_u32_e32 v12, 32, v12
	v_lshrrev_b32_e32 v10, 19, v3
	v_subrev_u32_e32 v13, 28, v12
	v_and_b32_e32 v10, 15, v10
	v_lshlrev_b32_sdwa v13, v13, v3 dst_sel:DWORD dst_unused:UNUSED_PAD src0_sel:DWORD src1_sel:WORD_1
	v_bfe_u32 v11, v3, 19, 4
	v_sub_u32_e32 v12, 29, v12
	v_and_b32_e32 v13, 7, v13
	v_cmp_eq_u16_e32 vcc, 0, v10
	v_cndmask_b32_e32 v6, v6, v13, vcc
	v_cndmask_b32_e32 v10, v11, v12, vcc
	v_lshlrev_b32_e32 v11, 8, v3
	v_mov_b32_e32 v12, 0x3b800000
	v_lshlrev_b32_e32 v6, 20, v6
	v_and_b32_e32 v11, 0x80000000, v11
	v_lshl_add_u32 v10, v10, 23, v12
	v_or3_b32 v10, v11, v10, v6
.LBB22_1208:
	s_or_b64 exec, exec, s[6:7]
	s_nop 0
	v_mfma_f32_16x16x4f32 a[0:3], v2, v10, a[0:3]
	s_movk_i32 s4, 0x7f
	v_cmp_gt_i16_sdwa s[6:7], v7, s4 src0_sel:BYTE_3 src1_sel:DWORD
	s_mov_b64 s[4:5], 0
                                        ; implicit-def: $sgpr10
	s_and_saveexec_b64 s[8:9], s[6:7]
	s_xor_b64 s[6:7], exec, s[8:9]
	s_cbranch_execnz .LBB22_3257
; %bb.1209:
	s_or_saveexec_b64 s[6:7], s[6:7]
	v_mov_b32_e32 v2, s10
	s_xor_b64 exec, exec, s[6:7]
	s_cbranch_execnz .LBB22_3260
.LBB22_1210:
	s_or_b64 exec, exec, s[6:7]
	s_and_saveexec_b64 s[6:7], s[4:5]
	s_cbranch_execz .LBB22_1212
.LBB22_1211:
	v_bfe_u32 v2, v7, 24, 3
	v_ffbh_u32_e32 v12, v2
	v_min_u32_e32 v12, 32, v12
	v_lshrrev_b32_e32 v10, 27, v7
	v_subrev_u32_e32 v13, 28, v12
	v_and_b32_e32 v6, 0x80000000, v7
	v_and_b32_e32 v10, 15, v10
	v_bfe_u32 v11, v7, 27, 4
	v_lshlrev_b32_sdwa v7, v13, v7 dst_sel:DWORD dst_unused:UNUSED_PAD src0_sel:DWORD src1_sel:BYTE_3
	v_sub_u32_e32 v12, 29, v12
	v_and_b32_e32 v7, 7, v7
	v_cmp_eq_u16_e32 vcc, 0, v10
	v_cndmask_b32_e32 v2, v2, v7, vcc
	v_cndmask_b32_e32 v7, v11, v12, vcc
	v_mov_b32_e32 v10, 0x3b800000
	v_lshlrev_b32_e32 v2, 20, v2
	v_lshl_add_u32 v7, v7, 23, v10
	v_or3_b32 v2, v6, v7, v2
.LBB22_1212:
	s_or_b64 exec, exec, s[6:7]
	s_movk_i32 s4, 0x7f
	v_cmp_gt_i16_sdwa s[6:7], v3, s4 src0_sel:BYTE_3 src1_sel:DWORD
	s_mov_b64 s[4:5], 0
                                        ; implicit-def: $sgpr10
	s_and_saveexec_b64 s[8:9], s[6:7]
	s_xor_b64 s[6:7], exec, s[8:9]
	s_cbranch_execnz .LBB22_3261
; %bb.1213:
	s_or_saveexec_b64 s[6:7], s[6:7]
	v_mov_b32_e32 v6, s10
	s_xor_b64 exec, exec, s[6:7]
	s_cbranch_execnz .LBB22_3264
.LBB22_1214:
	s_or_b64 exec, exec, s[6:7]
	s_and_saveexec_b64 s[6:7], s[4:5]
	s_cbranch_execz .LBB22_1216
.LBB22_1215:
	v_bfe_u32 v6, v3, 24, 3
	v_ffbh_u32_e32 v12, v6
	v_min_u32_e32 v12, 32, v12
	v_lshrrev_b32_e32 v10, 27, v3
	v_subrev_u32_e32 v13, 28, v12
	v_and_b32_e32 v7, 0x80000000, v3
	v_and_b32_e32 v10, 15, v10
	v_bfe_u32 v11, v3, 27, 4
	v_lshlrev_b32_sdwa v3, v13, v3 dst_sel:DWORD dst_unused:UNUSED_PAD src0_sel:DWORD src1_sel:BYTE_3
	v_sub_u32_e32 v12, 29, v12
	v_and_b32_e32 v3, 7, v3
	v_cmp_eq_u16_e32 vcc, 0, v10
	v_cndmask_b32_e32 v3, v6, v3, vcc
	v_cndmask_b32_e32 v6, v11, v12, vcc
	v_mov_b32_e32 v10, 0x3b800000
	v_lshlrev_b32_e32 v3, 20, v3
	v_lshl_add_u32 v6, v6, 23, v10
	v_or3_b32 v6, v7, v6, v3
.LBB22_1216:
	s_or_b64 exec, exec, s[6:7]
	s_nop 0
	v_mfma_f32_16x16x4f32 a[0:3], v2, v6, a[0:3]
	s_movk_i32 s4, 0x7f
	v_cmp_gt_i16_sdwa s[6:7], v8, s4 src0_sel:BYTE_0 src1_sel:DWORD
	s_mov_b64 s[4:5], 0
                                        ; implicit-def: $sgpr10
	s_and_saveexec_b64 s[8:9], s[6:7]
	s_xor_b64 s[6:7], exec, s[8:9]
	s_cbranch_execnz .LBB22_3265
; %bb.1217:
	s_or_saveexec_b64 s[6:7], s[6:7]
	v_mov_b32_e32 v2, s10
	s_xor_b64 exec, exec, s[6:7]
	s_cbranch_execnz .LBB22_3268
.LBB22_1218:
	s_or_b64 exec, exec, s[6:7]
	s_and_saveexec_b64 s[6:7], s[4:5]
	s_cbranch_execz .LBB22_1220
.LBB22_1219:
	v_and_b32_e32 v2, 7, v8
	v_ffbh_u32_e32 v6, v2
	v_min_u32_e32 v6, 32, v6
	v_lshrrev_b16_e32 v3, 3, v8
	v_subrev_u32_e32 v7, 28, v6
	v_and_b32_e32 v3, 15, v3
	v_lshlrev_b32_e32 v7, v7, v8
	v_sub_u32_e32 v6, 29, v6
	v_and_b32_e32 v7, 7, v7
	v_cmp_eq_u16_e32 vcc, 0, v3
	v_cndmask_b32_e32 v2, v2, v7, vcc
	v_cndmask_b32_e32 v3, v3, v6, vcc
	v_lshlrev_b32_e32 v6, 24, v8
	v_mov_b32_e32 v7, 0x3b800000
	v_lshlrev_b32_e32 v2, 20, v2
	v_and_b32_e32 v6, 0x80000000, v6
	v_lshl_add_u32 v3, v3, 23, v7
	v_or3_b32 v2, v6, v3, v2
.LBB22_1220:
	s_or_b64 exec, exec, s[6:7]
	s_movk_i32 s4, 0x7f
	v_cmp_gt_i16_sdwa s[6:7], v4, s4 src0_sel:BYTE_0 src1_sel:DWORD
	s_mov_b64 s[4:5], 0
                                        ; implicit-def: $sgpr10
	s_and_saveexec_b64 s[8:9], s[6:7]
	s_xor_b64 s[6:7], exec, s[8:9]
	s_cbranch_execnz .LBB22_3269
; %bb.1221:
	s_or_saveexec_b64 s[6:7], s[6:7]
	v_mov_b32_e32 v3, s10
	s_xor_b64 exec, exec, s[6:7]
	s_cbranch_execnz .LBB22_3272
.LBB22_1222:
	s_or_b64 exec, exec, s[6:7]
	s_and_saveexec_b64 s[6:7], s[4:5]
	s_cbranch_execz .LBB22_1224
.LBB22_1223:
	v_and_b32_e32 v3, 7, v4
	v_ffbh_u32_e32 v7, v3
	v_min_u32_e32 v7, 32, v7
	v_lshrrev_b16_e32 v6, 3, v4
	v_subrev_u32_e32 v10, 28, v7
	v_and_b32_e32 v6, 15, v6
	v_lshlrev_b32_e32 v10, v10, v4
	v_sub_u32_e32 v7, 29, v7
	v_and_b32_e32 v10, 7, v10
	v_cmp_eq_u16_e32 vcc, 0, v6
	v_cndmask_b32_e32 v3, v3, v10, vcc
	v_cndmask_b32_e32 v6, v6, v7, vcc
	v_lshlrev_b32_e32 v7, 24, v4
	v_mov_b32_e32 v10, 0x3b800000
	v_lshlrev_b32_e32 v3, 20, v3
	v_and_b32_e32 v7, 0x80000000, v7
	v_lshl_add_u32 v6, v6, 23, v10
	v_or3_b32 v3, v7, v6, v3
.LBB22_1224:
	s_or_b64 exec, exec, s[6:7]
	s_nop 0
	v_mfma_f32_16x16x4f32 a[0:3], v2, v3, a[0:3]
	v_lshrrev_b32_e32 v3, 8, v8
	s_movk_i32 s4, 0x7f
	v_cmp_gt_i16_sdwa s[6:7], v3, s4 src0_sel:BYTE_0 src1_sel:DWORD
	s_mov_b64 s[4:5], 0
                                        ; implicit-def: $sgpr10
	s_and_saveexec_b64 s[8:9], s[6:7]
	s_xor_b64 s[6:7], exec, s[8:9]
	s_cbranch_execnz .LBB22_3273
; %bb.1225:
	s_or_saveexec_b64 s[6:7], s[6:7]
	v_mov_b32_e32 v2, s10
	s_xor_b64 exec, exec, s[6:7]
	s_cbranch_execnz .LBB22_3276
.LBB22_1226:
	s_or_b64 exec, exec, s[6:7]
	s_and_saveexec_b64 s[6:7], s[4:5]
	s_cbranch_execz .LBB22_1228
.LBB22_1227:
	v_bfe_u32 v2, v8, 8, 3
	v_ffbh_u32_e32 v7, v2
	v_min_u32_e32 v7, 32, v7
	v_lshrrev_b16_e32 v6, 3, v3
	v_subrev_u32_e32 v10, 28, v7
	v_and_b32_e32 v6, 15, v6
	v_lshlrev_b32_e32 v3, v10, v3
	v_sub_u32_e32 v7, 29, v7
	v_and_b32_e32 v3, 7, v3
	v_cmp_eq_u16_e32 vcc, 0, v6
	v_cndmask_b32_e32 v2, v2, v3, vcc
	v_cndmask_b32_e32 v3, v6, v7, vcc
	v_lshlrev_b32_e32 v6, 16, v8
	v_mov_b32_e32 v7, 0x3b800000
	v_lshlrev_b32_e32 v2, 20, v2
	v_and_b32_e32 v6, 0x80000000, v6
	v_lshl_add_u32 v3, v3, 23, v7
	v_or3_b32 v2, v6, v3, v2
.LBB22_1228:
	s_or_b64 exec, exec, s[6:7]
	v_lshrrev_b32_e32 v3, 8, v4
	s_movk_i32 s4, 0x7f
	v_cmp_gt_i16_sdwa s[6:7], v3, s4 src0_sel:BYTE_0 src1_sel:DWORD
	s_mov_b64 s[4:5], 0
                                        ; implicit-def: $sgpr10
	s_and_saveexec_b64 s[8:9], s[6:7]
	s_xor_b64 s[6:7], exec, s[8:9]
	s_cbranch_execnz .LBB22_3277
; %bb.1229:
	s_or_saveexec_b64 s[6:7], s[6:7]
	v_mov_b32_e32 v6, s10
	s_xor_b64 exec, exec, s[6:7]
	s_cbranch_execnz .LBB22_3280
.LBB22_1230:
	s_or_b64 exec, exec, s[6:7]
	s_and_saveexec_b64 s[6:7], s[4:5]
	s_cbranch_execz .LBB22_1232
.LBB22_1231:
	v_bfe_u32 v6, v4, 8, 3
	v_ffbh_u32_e32 v10, v6
	v_min_u32_e32 v10, 32, v10
	v_lshrrev_b16_e32 v7, 3, v3
	v_subrev_u32_e32 v11, 28, v10
	v_and_b32_e32 v7, 15, v7
	v_lshlrev_b32_e32 v3, v11, v3
	v_sub_u32_e32 v10, 29, v10
	v_and_b32_e32 v3, 7, v3
	v_cmp_eq_u16_e32 vcc, 0, v7
	v_cndmask_b32_e32 v3, v6, v3, vcc
	v_cndmask_b32_e32 v6, v7, v10, vcc
	v_lshlrev_b32_e32 v7, 16, v4
	v_mov_b32_e32 v10, 0x3b800000
	v_lshlrev_b32_e32 v3, 20, v3
	v_and_b32_e32 v7, 0x80000000, v7
	v_lshl_add_u32 v6, v6, 23, v10
	v_or3_b32 v6, v7, v6, v3
.LBB22_1232:
	s_or_b64 exec, exec, s[6:7]
	s_nop 0
	v_mfma_f32_16x16x4f32 a[0:3], v2, v6, a[0:3]
	s_movk_i32 s4, 0xff
	v_and_b32_sdwa v3, v8, s4 dst_sel:DWORD dst_unused:UNUSED_PAD src0_sel:WORD_1 src1_sel:DWORD
	s_movk_i32 s4, 0x7f
	v_cmp_lt_i16_e32 vcc, s4, v3
	s_mov_b64 s[4:5], 0
                                        ; implicit-def: $sgpr10
	s_and_saveexec_b64 s[6:7], vcc
	s_xor_b64 s[6:7], exec, s[6:7]
	s_cbranch_execnz .LBB22_3281
; %bb.1233:
	s_or_saveexec_b64 s[6:7], s[6:7]
	v_mov_b32_e32 v2, s10
	s_xor_b64 exec, exec, s[6:7]
	s_cbranch_execnz .LBB22_3284
.LBB22_1234:
	s_or_b64 exec, exec, s[6:7]
	s_and_saveexec_b64 s[6:7], s[4:5]
	s_cbranch_execz .LBB22_1236
.LBB22_1235:
	v_bfe_u32 v2, v8, 16, 3
	v_ffbh_u32_e32 v7, v2
	v_min_u32_e32 v7, 32, v7
	v_lshrrev_b32_e32 v3, 19, v8
	v_subrev_u32_e32 v10, 28, v7
	v_and_b32_e32 v3, 15, v3
	v_lshlrev_b32_sdwa v10, v10, v8 dst_sel:DWORD dst_unused:UNUSED_PAD src0_sel:DWORD src1_sel:WORD_1
	v_bfe_u32 v6, v8, 19, 4
	v_sub_u32_e32 v7, 29, v7
	v_and_b32_e32 v10, 7, v10
	v_cmp_eq_u16_e32 vcc, 0, v3
	v_cndmask_b32_e32 v2, v2, v10, vcc
	v_cndmask_b32_e32 v3, v6, v7, vcc
	v_lshlrev_b32_e32 v6, 8, v8
	v_mov_b32_e32 v7, 0x3b800000
	v_lshlrev_b32_e32 v2, 20, v2
	v_and_b32_e32 v6, 0x80000000, v6
	v_lshl_add_u32 v3, v3, 23, v7
	v_or3_b32 v2, v6, v3, v2
.LBB22_1236:
	s_or_b64 exec, exec, s[6:7]
	s_movk_i32 s4, 0xff
	v_and_b32_sdwa v3, v4, s4 dst_sel:DWORD dst_unused:UNUSED_PAD src0_sel:WORD_1 src1_sel:DWORD
	s_movk_i32 s4, 0x7f
	v_cmp_lt_i16_e32 vcc, s4, v3
	s_mov_b64 s[4:5], 0
                                        ; implicit-def: $sgpr10
	s_and_saveexec_b64 s[6:7], vcc
	s_xor_b64 s[6:7], exec, s[6:7]
	s_cbranch_execnz .LBB22_3285
; %bb.1237:
	s_or_saveexec_b64 s[6:7], s[6:7]
	v_mov_b32_e32 v6, s10
	s_xor_b64 exec, exec, s[6:7]
	s_cbranch_execnz .LBB22_3288
.LBB22_1238:
	s_or_b64 exec, exec, s[6:7]
	s_and_saveexec_b64 s[6:7], s[4:5]
	s_cbranch_execz .LBB22_1240
.LBB22_1239:
	v_bfe_u32 v3, v4, 16, 3
	v_ffbh_u32_e32 v10, v3
	v_min_u32_e32 v10, 32, v10
	v_lshrrev_b32_e32 v6, 19, v4
	v_subrev_u32_e32 v11, 28, v10
	v_and_b32_e32 v6, 15, v6
	v_lshlrev_b32_sdwa v11, v11, v4 dst_sel:DWORD dst_unused:UNUSED_PAD src0_sel:DWORD src1_sel:WORD_1
	v_bfe_u32 v7, v4, 19, 4
	v_sub_u32_e32 v10, 29, v10
	v_and_b32_e32 v11, 7, v11
	v_cmp_eq_u16_e32 vcc, 0, v6
	v_cndmask_b32_e32 v3, v3, v11, vcc
	v_cndmask_b32_e32 v6, v7, v10, vcc
	v_lshlrev_b32_e32 v7, 8, v4
	v_mov_b32_e32 v10, 0x3b800000
	v_lshlrev_b32_e32 v3, 20, v3
	v_and_b32_e32 v7, 0x80000000, v7
	v_lshl_add_u32 v6, v6, 23, v10
	v_or3_b32 v6, v7, v6, v3
.LBB22_1240:
	s_or_b64 exec, exec, s[6:7]
	s_nop 0
	v_mfma_f32_16x16x4f32 a[0:3], v2, v6, a[0:3]
	s_movk_i32 s4, 0x7f
	v_cmp_gt_i16_sdwa s[6:7], v8, s4 src0_sel:BYTE_3 src1_sel:DWORD
	s_mov_b64 s[4:5], 0
                                        ; implicit-def: $sgpr10
	s_and_saveexec_b64 s[8:9], s[6:7]
	s_xor_b64 s[6:7], exec, s[8:9]
	s_cbranch_execnz .LBB22_3289
; %bb.1241:
	s_or_saveexec_b64 s[6:7], s[6:7]
	v_mov_b32_e32 v2, s10
	s_xor_b64 exec, exec, s[6:7]
	s_cbranch_execnz .LBB22_3292
.LBB22_1242:
	s_or_b64 exec, exec, s[6:7]
	s_and_saveexec_b64 s[6:7], s[4:5]
	s_cbranch_execz .LBB22_1244
.LBB22_1243:
	v_bfe_u32 v2, v8, 24, 3
	v_ffbh_u32_e32 v10, v2
	v_min_u32_e32 v10, 32, v10
	v_lshrrev_b32_e32 v6, 27, v8
	v_subrev_u32_e32 v11, 28, v10
	v_and_b32_e32 v3, 0x80000000, v8
	v_and_b32_e32 v6, 15, v6
	v_bfe_u32 v7, v8, 27, 4
	v_lshlrev_b32_sdwa v8, v11, v8 dst_sel:DWORD dst_unused:UNUSED_PAD src0_sel:DWORD src1_sel:BYTE_3
	v_sub_u32_e32 v10, 29, v10
	v_and_b32_e32 v8, 7, v8
	v_cmp_eq_u16_e32 vcc, 0, v6
	v_cndmask_b32_e32 v2, v2, v8, vcc
	v_cndmask_b32_e32 v6, v7, v10, vcc
	v_mov_b32_e32 v7, 0x3b800000
	v_lshlrev_b32_e32 v2, 20, v2
	v_lshl_add_u32 v6, v6, 23, v7
	v_or3_b32 v2, v3, v6, v2
.LBB22_1244:
	s_or_b64 exec, exec, s[6:7]
	s_movk_i32 s4, 0x7f
	v_cmp_gt_i16_sdwa s[6:7], v4, s4 src0_sel:BYTE_3 src1_sel:DWORD
	s_mov_b64 s[4:5], 0
                                        ; implicit-def: $sgpr10
	s_and_saveexec_b64 s[8:9], s[6:7]
	s_xor_b64 s[6:7], exec, s[8:9]
	s_cbranch_execnz .LBB22_3293
; %bb.1245:
	s_or_saveexec_b64 s[6:7], s[6:7]
	v_mov_b32_e32 v3, s10
	s_xor_b64 exec, exec, s[6:7]
	s_cbranch_execnz .LBB22_3296
.LBB22_1246:
	s_or_b64 exec, exec, s[6:7]
	s_and_saveexec_b64 s[6:7], s[4:5]
	s_cbranch_execz .LBB22_1248
.LBB22_1247:
	v_bfe_u32 v3, v4, 24, 3
	v_ffbh_u32_e32 v10, v3
	v_min_u32_e32 v10, 32, v10
	v_lshrrev_b32_e32 v7, 27, v4
	v_subrev_u32_e32 v11, 28, v10
	v_and_b32_e32 v6, 0x80000000, v4
	v_and_b32_e32 v7, 15, v7
	v_bfe_u32 v8, v4, 27, 4
	v_lshlrev_b32_sdwa v4, v11, v4 dst_sel:DWORD dst_unused:UNUSED_PAD src0_sel:DWORD src1_sel:BYTE_3
	v_sub_u32_e32 v10, 29, v10
	v_and_b32_e32 v4, 7, v4
	v_cmp_eq_u16_e32 vcc, 0, v7
	v_cndmask_b32_e32 v3, v3, v4, vcc
	v_cndmask_b32_e32 v4, v8, v10, vcc
	v_mov_b32_e32 v7, 0x3b800000
	v_lshlrev_b32_e32 v3, 20, v3
	v_lshl_add_u32 v4, v4, 23, v7
	v_or3_b32 v3, v6, v4, v3
.LBB22_1248:
	s_or_b64 exec, exec, s[6:7]
	s_nop 0
	v_mfma_f32_16x16x4f32 a[0:3], v2, v3, a[0:3]
	s_movk_i32 s4, 0x7f
	v_cmp_gt_i16_sdwa s[6:7], v9, s4 src0_sel:BYTE_0 src1_sel:DWORD
	s_mov_b64 s[4:5], 0
                                        ; implicit-def: $sgpr10
	s_and_saveexec_b64 s[8:9], s[6:7]
	s_xor_b64 s[6:7], exec, s[8:9]
	s_cbranch_execnz .LBB22_3297
; %bb.1249:
	s_or_saveexec_b64 s[6:7], s[6:7]
	v_mov_b32_e32 v2, s10
	s_xor_b64 exec, exec, s[6:7]
	s_cbranch_execnz .LBB22_3300
.LBB22_1250:
	s_or_b64 exec, exec, s[6:7]
	s_and_saveexec_b64 s[6:7], s[4:5]
	s_cbranch_execz .LBB22_1252
.LBB22_1251:
	v_mov_b32_e32 v2, 8
	v_and_b32_e32 v3, 7, v9
	v_lshrrev_b32_sdwa v2, v2, v9 dst_sel:BYTE_1 dst_unused:UNUSED_PAD src0_sel:DWORD src1_sel:DWORD
	v_ffbh_u32_e32 v4, v3
	v_or_b32_sdwa v2, v9, v2 dst_sel:DWORD dst_unused:UNUSED_PAD src0_sel:BYTE_0 src1_sel:DWORD
	v_min_u32_e32 v4, 32, v4
	v_lshrrev_b16_e32 v2, 3, v2
	v_subrev_u32_e32 v6, 28, v4
	v_and_b32_e32 v2, 15, v2
	v_lshlrev_b32_e32 v6, v6, v9
	v_sub_u32_e32 v4, 29, v4
	v_and_b32_e32 v6, 7, v6
	v_cmp_eq_u16_e32 vcc, 0, v2
	v_cndmask_b32_e32 v3, v3, v6, vcc
	v_cndmask_b32_e32 v2, v2, v4, vcc
	v_lshlrev_b32_e32 v4, 24, v9
	v_mov_b32_e32 v6, 0x3b800000
	v_lshlrev_b32_e32 v3, 20, v3
	v_and_b32_e32 v4, 0x80000000, v4
	v_lshl_add_u32 v2, v2, 23, v6
	v_or3_b32 v2, v4, v2, v3
.LBB22_1252:
	s_or_b64 exec, exec, s[6:7]
	s_movk_i32 s4, 0x7f
	v_cmp_gt_i16_sdwa s[6:7], v5, s4 src0_sel:BYTE_0 src1_sel:DWORD
	s_mov_b64 s[4:5], 0
                                        ; implicit-def: $sgpr10
	s_and_saveexec_b64 s[8:9], s[6:7]
	s_xor_b64 s[6:7], exec, s[8:9]
	s_cbranch_execnz .LBB22_3301
; %bb.1253:
	s_or_saveexec_b64 s[6:7], s[6:7]
	v_mov_b32_e32 v3, s10
	s_xor_b64 exec, exec, s[6:7]
	s_cbranch_execnz .LBB22_3304
.LBB22_1254:
	s_or_b64 exec, exec, s[6:7]
	s_and_saveexec_b64 s[6:7], s[4:5]
	s_cbranch_execz .LBB22_1256
.LBB22_1255:
	v_mov_b32_e32 v3, 8
	v_and_b32_e32 v4, 7, v5
	v_lshrrev_b32_sdwa v3, v3, v5 dst_sel:BYTE_1 dst_unused:UNUSED_PAD src0_sel:DWORD src1_sel:DWORD
	v_ffbh_u32_e32 v6, v4
	v_or_b32_sdwa v3, v5, v3 dst_sel:DWORD dst_unused:UNUSED_PAD src0_sel:BYTE_0 src1_sel:DWORD
	v_min_u32_e32 v6, 32, v6
	v_lshrrev_b16_e32 v3, 3, v3
	v_subrev_u32_e32 v7, 28, v6
	v_and_b32_e32 v3, 15, v3
	v_lshlrev_b32_e32 v7, v7, v5
	v_sub_u32_e32 v6, 29, v6
	v_and_b32_e32 v7, 7, v7
	v_cmp_eq_u16_e32 vcc, 0, v3
	v_cndmask_b32_e32 v4, v4, v7, vcc
	v_cndmask_b32_e32 v3, v3, v6, vcc
	v_lshlrev_b32_e32 v6, 24, v5
	v_mov_b32_e32 v7, 0x3b800000
	v_lshlrev_b32_e32 v4, 20, v4
	v_and_b32_e32 v6, 0x80000000, v6
	v_lshl_add_u32 v3, v3, 23, v7
	v_or3_b32 v3, v6, v3, v4
.LBB22_1256:
	s_or_b64 exec, exec, s[6:7]
	s_nop 0
	v_mfma_f32_16x16x4f32 a[0:3], v2, v3, a[0:3]
	v_lshrrev_b32_e32 v3, 8, v9
	s_movk_i32 s4, 0x7f
	v_cmp_gt_i16_sdwa s[6:7], v3, s4 src0_sel:BYTE_0 src1_sel:DWORD
	s_mov_b64 s[4:5], 0
                                        ; implicit-def: $sgpr10
	s_and_saveexec_b64 s[8:9], s[6:7]
	s_xor_b64 s[6:7], exec, s[8:9]
	s_cbranch_execnz .LBB22_3305
; %bb.1257:
	s_or_saveexec_b64 s[6:7], s[6:7]
	v_mov_b32_e32 v2, s10
	s_xor_b64 exec, exec, s[6:7]
	s_cbranch_execnz .LBB22_3308
.LBB22_1258:
	s_or_b64 exec, exec, s[6:7]
	s_and_saveexec_b64 s[6:7], s[4:5]
	s_cbranch_execz .LBB22_1260
.LBB22_1259:
	v_bfe_u32 v2, v9, 8, 3
	v_ffbh_u32_e32 v6, v2
	v_min_u32_e32 v6, 32, v6
	v_lshrrev_b16_e32 v4, 3, v3
	v_subrev_u32_e32 v7, 28, v6
	v_and_b32_e32 v4, 15, v4
	v_lshlrev_b32_e32 v3, v7, v3
	v_sub_u32_e32 v6, 29, v6
	v_and_b32_e32 v3, 7, v3
	v_cmp_eq_u16_e32 vcc, 0, v4
	v_cndmask_b32_e32 v2, v2, v3, vcc
	v_cndmask_b32_e32 v3, v4, v6, vcc
	v_lshlrev_b32_e32 v4, 16, v9
	v_mov_b32_e32 v6, 0x3b800000
	v_lshlrev_b32_e32 v2, 20, v2
	v_and_b32_e32 v4, 0x80000000, v4
	v_lshl_add_u32 v3, v3, 23, v6
	v_or3_b32 v2, v4, v3, v2
.LBB22_1260:
	s_or_b64 exec, exec, s[6:7]
	v_lshrrev_b32_e32 v3, 8, v5
	s_movk_i32 s4, 0x7f
	v_cmp_gt_i16_sdwa s[6:7], v3, s4 src0_sel:BYTE_0 src1_sel:DWORD
	s_mov_b64 s[4:5], 0
                                        ; implicit-def: $sgpr10
	s_and_saveexec_b64 s[8:9], s[6:7]
	s_xor_b64 s[6:7], exec, s[8:9]
	s_cbranch_execnz .LBB22_3309
; %bb.1261:
	s_or_saveexec_b64 s[6:7], s[6:7]
	v_mov_b32_e32 v4, s10
	s_xor_b64 exec, exec, s[6:7]
	s_cbranch_execnz .LBB22_3312
.LBB22_1262:
	s_or_b64 exec, exec, s[6:7]
	s_and_saveexec_b64 s[6:7], s[4:5]
	s_cbranch_execz .LBB22_1264
.LBB22_1263:
	v_bfe_u32 v4, v5, 8, 3
	v_ffbh_u32_e32 v7, v4
	v_min_u32_e32 v7, 32, v7
	v_lshrrev_b16_e32 v6, 3, v3
	v_subrev_u32_e32 v8, 28, v7
	v_and_b32_e32 v6, 15, v6
	v_lshlrev_b32_e32 v3, v8, v3
	v_sub_u32_e32 v7, 29, v7
	v_and_b32_e32 v3, 7, v3
	v_cmp_eq_u16_e32 vcc, 0, v6
	v_cndmask_b32_e32 v3, v4, v3, vcc
	v_cndmask_b32_e32 v4, v6, v7, vcc
	v_lshlrev_b32_e32 v6, 16, v5
	v_mov_b32_e32 v7, 0x3b800000
	v_lshlrev_b32_e32 v3, 20, v3
	v_and_b32_e32 v6, 0x80000000, v6
	v_lshl_add_u32 v4, v4, 23, v7
	v_or3_b32 v4, v6, v4, v3
.LBB22_1264:
	s_or_b64 exec, exec, s[6:7]
	s_nop 0
	v_mfma_f32_16x16x4f32 a[0:3], v2, v4, a[0:3]
	s_movk_i32 s4, 0xff
	v_and_b32_sdwa v3, v9, s4 dst_sel:DWORD dst_unused:UNUSED_PAD src0_sel:WORD_1 src1_sel:DWORD
	s_movk_i32 s4, 0x7f
	v_cmp_lt_i16_e32 vcc, s4, v3
	s_mov_b64 s[4:5], 0
                                        ; implicit-def: $sgpr10
	s_and_saveexec_b64 s[6:7], vcc
	s_xor_b64 s[6:7], exec, s[6:7]
	s_cbranch_execnz .LBB22_3313
; %bb.1265:
	s_or_saveexec_b64 s[6:7], s[6:7]
	v_mov_b32_e32 v2, s10
	s_xor_b64 exec, exec, s[6:7]
	s_cbranch_execnz .LBB22_3316
.LBB22_1266:
	s_or_b64 exec, exec, s[6:7]
	s_and_saveexec_b64 s[6:7], s[4:5]
	s_cbranch_execz .LBB22_1268
.LBB22_1267:
	v_bfe_u32 v2, v9, 16, 3
	v_ffbh_u32_e32 v6, v2
	v_min_u32_e32 v6, 32, v6
	v_lshrrev_b32_e32 v3, 19, v9
	v_subrev_u32_e32 v7, 28, v6
	v_and_b32_e32 v3, 15, v3
	v_lshlrev_b32_sdwa v7, v7, v9 dst_sel:DWORD dst_unused:UNUSED_PAD src0_sel:DWORD src1_sel:WORD_1
	v_bfe_u32 v4, v9, 19, 4
	v_sub_u32_e32 v6, 29, v6
	v_and_b32_e32 v7, 7, v7
	v_cmp_eq_u16_e32 vcc, 0, v3
	v_cndmask_b32_e32 v2, v2, v7, vcc
	v_cndmask_b32_e32 v3, v4, v6, vcc
	v_lshlrev_b32_e32 v4, 8, v9
	v_mov_b32_e32 v6, 0x3b800000
	v_lshlrev_b32_e32 v2, 20, v2
	v_and_b32_e32 v4, 0x80000000, v4
	v_lshl_add_u32 v3, v3, 23, v6
	v_or3_b32 v2, v4, v3, v2
.LBB22_1268:
	s_or_b64 exec, exec, s[6:7]
	s_movk_i32 s4, 0xff
	v_and_b32_sdwa v3, v5, s4 dst_sel:DWORD dst_unused:UNUSED_PAD src0_sel:WORD_1 src1_sel:DWORD
	s_movk_i32 s4, 0x7f
	v_cmp_lt_i16_e32 vcc, s4, v3
	s_mov_b64 s[4:5], 0
                                        ; implicit-def: $sgpr10
	s_and_saveexec_b64 s[6:7], vcc
	s_xor_b64 s[6:7], exec, s[6:7]
	s_cbranch_execnz .LBB22_3317
; %bb.1269:
	s_or_saveexec_b64 s[6:7], s[6:7]
	v_mov_b32_e32 v4, s10
	s_xor_b64 exec, exec, s[6:7]
	s_cbranch_execnz .LBB22_3320
.LBB22_1270:
	s_or_b64 exec, exec, s[6:7]
	s_and_saveexec_b64 s[6:7], s[4:5]
	s_cbranch_execz .LBB22_1272
.LBB22_1271:
	v_bfe_u32 v3, v5, 16, 3
	v_ffbh_u32_e32 v7, v3
	v_min_u32_e32 v7, 32, v7
	v_lshrrev_b32_e32 v4, 19, v5
	v_subrev_u32_e32 v8, 28, v7
	v_and_b32_e32 v4, 15, v4
	v_lshlrev_b32_sdwa v8, v8, v5 dst_sel:DWORD dst_unused:UNUSED_PAD src0_sel:DWORD src1_sel:WORD_1
	v_bfe_u32 v6, v5, 19, 4
	v_sub_u32_e32 v7, 29, v7
	v_and_b32_e32 v8, 7, v8
	v_cmp_eq_u16_e32 vcc, 0, v4
	v_cndmask_b32_e32 v3, v3, v8, vcc
	v_cndmask_b32_e32 v4, v6, v7, vcc
	v_lshlrev_b32_e32 v6, 8, v5
	v_mov_b32_e32 v7, 0x3b800000
	v_lshlrev_b32_e32 v3, 20, v3
	v_and_b32_e32 v6, 0x80000000, v6
	v_lshl_add_u32 v4, v4, 23, v7
	v_or3_b32 v4, v6, v4, v3
.LBB22_1272:
	s_or_b64 exec, exec, s[6:7]
	s_nop 0
	v_mfma_f32_16x16x4f32 a[0:3], v2, v4, a[0:3]
	s_movk_i32 s4, 0x7f
	v_cmp_gt_i16_sdwa s[6:7], v9, s4 src0_sel:BYTE_3 src1_sel:DWORD
	s_mov_b64 s[4:5], 0
                                        ; implicit-def: $sgpr10
	s_and_saveexec_b64 s[8:9], s[6:7]
	s_xor_b64 s[6:7], exec, s[8:9]
	s_cbranch_execnz .LBB22_3321
; %bb.1273:
	s_or_saveexec_b64 s[6:7], s[6:7]
	v_mov_b32_e32 v2, s10
	s_xor_b64 exec, exec, s[6:7]
	s_cbranch_execnz .LBB22_3324
.LBB22_1274:
	s_or_b64 exec, exec, s[6:7]
	s_and_saveexec_b64 s[6:7], s[4:5]
	s_cbranch_execz .LBB22_1276
.LBB22_1275:
	v_bfe_u32 v2, v9, 24, 3
	v_ffbh_u32_e32 v7, v2
	v_min_u32_e32 v7, 32, v7
	v_lshrrev_b32_e32 v4, 27, v9
	v_subrev_u32_e32 v8, 28, v7
	v_and_b32_e32 v4, 15, v4
	v_lshlrev_b32_sdwa v8, v8, v9 dst_sel:DWORD dst_unused:UNUSED_PAD src0_sel:DWORD src1_sel:BYTE_3
	v_bfe_u32 v6, v9, 27, 4
	v_sub_u32_e32 v7, 29, v7
	v_and_b32_e32 v8, 7, v8
	v_cmp_eq_u16_e32 vcc, 0, v4
	v_cndmask_b32_e32 v2, v2, v8, vcc
	v_cndmask_b32_e32 v4, v6, v7, vcc
	v_mov_b32_e32 v6, 0x3b800000
	v_and_b32_e32 v3, 0x80000000, v9
	v_lshlrev_b32_e32 v2, 20, v2
	v_lshl_add_u32 v4, v4, 23, v6
	v_or3_b32 v2, v3, v4, v2
.LBB22_1276:
	s_or_b64 exec, exec, s[6:7]
	s_movk_i32 s4, 0x7f
	v_cmp_gt_i16_sdwa s[6:7], v5, s4 src0_sel:BYTE_3 src1_sel:DWORD
	s_mov_b64 s[4:5], 0
                                        ; implicit-def: $sgpr10
	s_and_saveexec_b64 s[8:9], s[6:7]
	s_xor_b64 s[6:7], exec, s[8:9]
	s_cbranch_execnz .LBB22_3325
; %bb.1277:
	s_or_saveexec_b64 s[6:7], s[6:7]
	v_mov_b32_e32 v3, s10
	s_xor_b64 exec, exec, s[6:7]
	s_cbranch_execnz .LBB22_3328
.LBB22_1278:
	s_or_b64 exec, exec, s[6:7]
	s_and_saveexec_b64 s[6:7], s[4:5]
	s_cbranch_execz .LBB22_1280
.LBB22_1279:
	v_bfe_u32 v3, v5, 24, 3
	v_ffbh_u32_e32 v8, v3
	v_min_u32_e32 v8, 32, v8
	v_lshrrev_b32_e32 v6, 27, v5
	v_subrev_u32_e32 v9, 28, v8
	v_and_b32_e32 v4, 0x80000000, v5
	v_and_b32_e32 v6, 15, v6
	v_bfe_u32 v7, v5, 27, 4
	v_lshlrev_b32_sdwa v5, v9, v5 dst_sel:DWORD dst_unused:UNUSED_PAD src0_sel:DWORD src1_sel:BYTE_3
	v_sub_u32_e32 v8, 29, v8
	v_and_b32_e32 v5, 7, v5
	v_cmp_eq_u16_e32 vcc, 0, v6
	v_cndmask_b32_e32 v3, v3, v5, vcc
	v_cndmask_b32_e32 v5, v7, v8, vcc
	v_mov_b32_e32 v6, 0x3b800000
	v_lshlrev_b32_e32 v3, 20, v3
	v_lshl_add_u32 v5, v5, 23, v6
	v_or3_b32 v3, v4, v5, v3
.LBB22_1280:
	s_or_b64 exec, exec, s[6:7]
	s_nop 0
	v_mfma_f32_16x16x4f32 a[0:3], v2, v3, a[0:3]
	s_movk_i32 s4, 0x7f
                                        ; implicit-def: $sgpr10
	s_nop 7
	s_nop 1
	flat_store_dwordx4 v[18:19], a[0:3] offset:576
	flat_load_dwordx4 v[20:23], v[0:1] offset:8
	s_nop 0
	flat_load_dwordx2 v[18:19], v[0:1] offset:24
	s_waitcnt vmcnt(0) lgkmcnt(0)
	flat_load_dwordx4 v[14:17], v[20:21]
	flat_load_dwordx4 v[6:9], v[20:21] offset:16
	flat_load_dwordx4 v[10:13], v[22:23] offset:160
	;; [unrolled: 1-line block ×3, first 2 shown]
	s_waitcnt vmcnt(0) lgkmcnt(0)
	v_cmp_gt_i16_sdwa s[6:7], v14, s4 src0_sel:BYTE_0 src1_sel:DWORD
	s_mov_b64 s[4:5], 0
	s_and_saveexec_b64 s[8:9], s[6:7]
	s_xor_b64 s[6:7], exec, s[8:9]
	s_cbranch_execnz .LBB22_3329
; %bb.1281:
	s_or_saveexec_b64 s[6:7], s[6:7]
	v_mov_b32_e32 v20, s10
	s_xor_b64 exec, exec, s[6:7]
	s_cbranch_execnz .LBB22_3332
.LBB22_1282:
	s_or_b64 exec, exec, s[6:7]
	s_and_saveexec_b64 s[6:7], s[4:5]
	s_cbranch_execz .LBB22_1284
.LBB22_1283:
	v_and_b32_e32 v20, 7, v14
	v_ffbh_u32_e32 v22, v20
	v_min_u32_e32 v22, 32, v22
	v_lshrrev_b16_e32 v21, 3, v14
	v_subrev_u32_e32 v23, 28, v22
	v_and_b32_e32 v21, 15, v21
	v_lshlrev_b32_e32 v23, v23, v14
	v_sub_u32_e32 v22, 29, v22
	v_and_b32_e32 v23, 7, v23
	v_cmp_eq_u16_e32 vcc, 0, v21
	v_cndmask_b32_e32 v20, v20, v23, vcc
	v_cndmask_b32_e32 v21, v21, v22, vcc
	v_lshlrev_b32_e32 v22, 24, v14
	v_mov_b32_e32 v23, 0x3b800000
	v_lshlrev_b32_e32 v20, 20, v20
	v_and_b32_e32 v22, 0x80000000, v22
	v_lshl_add_u32 v21, v21, 23, v23
	v_or3_b32 v20, v22, v21, v20
.LBB22_1284:
	s_or_b64 exec, exec, s[6:7]
	s_movk_i32 s4, 0x7f
	v_cmp_gt_i16_sdwa s[6:7], v10, s4 src0_sel:BYTE_0 src1_sel:DWORD
	s_mov_b64 s[4:5], 0
                                        ; implicit-def: $sgpr10
	s_and_saveexec_b64 s[8:9], s[6:7]
	s_xor_b64 s[6:7], exec, s[8:9]
	s_cbranch_execnz .LBB22_3333
; %bb.1285:
	s_or_saveexec_b64 s[6:7], s[6:7]
	v_mov_b32_e32 v21, s10
	s_xor_b64 exec, exec, s[6:7]
	s_cbranch_execnz .LBB22_3336
.LBB22_1286:
	s_or_b64 exec, exec, s[6:7]
	s_and_saveexec_b64 s[6:7], s[4:5]
	s_cbranch_execz .LBB22_1288
.LBB22_1287:
	v_and_b32_e32 v21, 7, v10
	v_ffbh_u32_e32 v23, v21
	v_min_u32_e32 v23, 32, v23
	v_lshrrev_b16_e32 v22, 3, v10
	v_subrev_u32_e32 v24, 28, v23
	v_and_b32_e32 v22, 15, v22
	v_lshlrev_b32_e32 v24, v24, v10
	v_sub_u32_e32 v23, 29, v23
	v_and_b32_e32 v24, 7, v24
	v_cmp_eq_u16_e32 vcc, 0, v22
	v_cndmask_b32_e32 v21, v21, v24, vcc
	v_cndmask_b32_e32 v22, v22, v23, vcc
	v_lshlrev_b32_e32 v23, 24, v10
	v_mov_b32_e32 v24, 0x3b800000
	v_lshlrev_b32_e32 v21, 20, v21
	v_and_b32_e32 v23, 0x80000000, v23
	v_lshl_add_u32 v22, v22, 23, v24
	v_or3_b32 v21, v23, v22, v21
.LBB22_1288:
	s_or_b64 exec, exec, s[6:7]
	flat_load_dwordx4 a[0:3], v[18:19] offset:592
	s_movk_i32 s4, 0x7f
                                        ; implicit-def: $sgpr10
	s_waitcnt vmcnt(0) lgkmcnt(0)
	v_mfma_f32_16x16x4f32 a[0:3], v20, v21, a[0:3]
	v_lshrrev_b32_e32 v21, 8, v14
	v_cmp_gt_i16_sdwa s[6:7], v21, s4 src0_sel:BYTE_0 src1_sel:DWORD
	s_mov_b64 s[4:5], 0
	s_and_saveexec_b64 s[8:9], s[6:7]
	s_xor_b64 s[6:7], exec, s[8:9]
	s_cbranch_execnz .LBB22_3337
; %bb.1289:
	s_or_saveexec_b64 s[6:7], s[6:7]
	v_mov_b32_e32 v20, s10
	s_xor_b64 exec, exec, s[6:7]
	s_cbranch_execnz .LBB22_3340
.LBB22_1290:
	s_or_b64 exec, exec, s[6:7]
	s_and_saveexec_b64 s[6:7], s[4:5]
	s_cbranch_execz .LBB22_1292
.LBB22_1291:
	v_bfe_u32 v20, v14, 8, 3
	v_ffbh_u32_e32 v23, v20
	v_min_u32_e32 v23, 32, v23
	v_lshrrev_b16_e32 v22, 3, v21
	v_subrev_u32_e32 v24, 28, v23
	v_and_b32_e32 v22, 15, v22
	v_lshlrev_b32_e32 v21, v24, v21
	v_sub_u32_e32 v23, 29, v23
	v_and_b32_e32 v21, 7, v21
	v_cmp_eq_u16_e32 vcc, 0, v22
	v_cndmask_b32_e32 v20, v20, v21, vcc
	v_cndmask_b32_e32 v21, v22, v23, vcc
	v_lshlrev_b32_e32 v22, 16, v14
	v_mov_b32_e32 v23, 0x3b800000
	v_lshlrev_b32_e32 v20, 20, v20
	v_and_b32_e32 v22, 0x80000000, v22
	v_lshl_add_u32 v21, v21, 23, v23
	v_or3_b32 v20, v22, v21, v20
.LBB22_1292:
	s_or_b64 exec, exec, s[6:7]
	v_lshrrev_b32_e32 v21, 8, v10
	s_movk_i32 s4, 0x7f
	v_cmp_gt_i16_sdwa s[6:7], v21, s4 src0_sel:BYTE_0 src1_sel:DWORD
	s_mov_b64 s[4:5], 0
                                        ; implicit-def: $sgpr10
	s_and_saveexec_b64 s[8:9], s[6:7]
	s_xor_b64 s[6:7], exec, s[8:9]
	s_cbranch_execnz .LBB22_3341
; %bb.1293:
	s_or_saveexec_b64 s[6:7], s[6:7]
	v_mov_b32_e32 v22, s10
	s_xor_b64 exec, exec, s[6:7]
	s_cbranch_execnz .LBB22_3344
.LBB22_1294:
	s_or_b64 exec, exec, s[6:7]
	s_and_saveexec_b64 s[6:7], s[4:5]
	s_cbranch_execz .LBB22_1296
.LBB22_1295:
	v_bfe_u32 v22, v10, 8, 3
	v_ffbh_u32_e32 v24, v22
	v_min_u32_e32 v24, 32, v24
	v_lshrrev_b16_e32 v23, 3, v21
	v_subrev_u32_e32 v25, 28, v24
	v_and_b32_e32 v23, 15, v23
	v_lshlrev_b32_e32 v21, v25, v21
	v_sub_u32_e32 v24, 29, v24
	v_and_b32_e32 v21, 7, v21
	v_cmp_eq_u16_e32 vcc, 0, v23
	v_cndmask_b32_e32 v21, v22, v21, vcc
	v_cndmask_b32_e32 v22, v23, v24, vcc
	v_lshlrev_b32_e32 v23, 16, v10
	v_mov_b32_e32 v24, 0x3b800000
	v_lshlrev_b32_e32 v21, 20, v21
	v_and_b32_e32 v23, 0x80000000, v23
	v_lshl_add_u32 v22, v22, 23, v24
	v_or3_b32 v22, v23, v22, v21
.LBB22_1296:
	s_or_b64 exec, exec, s[6:7]
	s_nop 0
	v_mfma_f32_16x16x4f32 a[0:3], v20, v22, a[0:3]
	s_movk_i32 s4, 0xff
	v_and_b32_sdwa v21, v14, s4 dst_sel:DWORD dst_unused:UNUSED_PAD src0_sel:WORD_1 src1_sel:DWORD
	s_movk_i32 s4, 0x7f
	v_cmp_lt_i16_e32 vcc, s4, v21
	s_mov_b64 s[4:5], 0
                                        ; implicit-def: $sgpr10
	s_and_saveexec_b64 s[6:7], vcc
	s_xor_b64 s[6:7], exec, s[6:7]
	s_cbranch_execnz .LBB22_3345
; %bb.1297:
	s_or_saveexec_b64 s[6:7], s[6:7]
	v_mov_b32_e32 v20, s10
	s_xor_b64 exec, exec, s[6:7]
	s_cbranch_execnz .LBB22_3348
.LBB22_1298:
	s_or_b64 exec, exec, s[6:7]
	s_and_saveexec_b64 s[6:7], s[4:5]
	s_cbranch_execz .LBB22_1300
.LBB22_1299:
	v_bfe_u32 v20, v14, 16, 3
	v_ffbh_u32_e32 v23, v20
	v_min_u32_e32 v23, 32, v23
	v_lshrrev_b32_e32 v21, 19, v14
	v_subrev_u32_e32 v24, 28, v23
	v_and_b32_e32 v21, 15, v21
	v_lshlrev_b32_sdwa v24, v24, v14 dst_sel:DWORD dst_unused:UNUSED_PAD src0_sel:DWORD src1_sel:WORD_1
	v_bfe_u32 v22, v14, 19, 4
	v_sub_u32_e32 v23, 29, v23
	v_and_b32_e32 v24, 7, v24
	v_cmp_eq_u16_e32 vcc, 0, v21
	v_cndmask_b32_e32 v20, v20, v24, vcc
	v_cndmask_b32_e32 v21, v22, v23, vcc
	v_lshlrev_b32_e32 v22, 8, v14
	v_mov_b32_e32 v23, 0x3b800000
	v_lshlrev_b32_e32 v20, 20, v20
	v_and_b32_e32 v22, 0x80000000, v22
	v_lshl_add_u32 v21, v21, 23, v23
	v_or3_b32 v20, v22, v21, v20
.LBB22_1300:
	s_or_b64 exec, exec, s[6:7]
	s_movk_i32 s4, 0xff
	v_and_b32_sdwa v21, v10, s4 dst_sel:DWORD dst_unused:UNUSED_PAD src0_sel:WORD_1 src1_sel:DWORD
	s_movk_i32 s4, 0x7f
	v_cmp_lt_i16_e32 vcc, s4, v21
	s_mov_b64 s[4:5], 0
                                        ; implicit-def: $sgpr10
	s_and_saveexec_b64 s[6:7], vcc
	s_xor_b64 s[6:7], exec, s[6:7]
	s_cbranch_execnz .LBB22_3349
; %bb.1301:
	s_or_saveexec_b64 s[6:7], s[6:7]
	v_mov_b32_e32 v22, s10
	s_xor_b64 exec, exec, s[6:7]
	s_cbranch_execnz .LBB22_3352
.LBB22_1302:
	s_or_b64 exec, exec, s[6:7]
	s_and_saveexec_b64 s[6:7], s[4:5]
	s_cbranch_execz .LBB22_1304
.LBB22_1303:
	v_bfe_u32 v21, v10, 16, 3
	v_ffbh_u32_e32 v24, v21
	v_min_u32_e32 v24, 32, v24
	v_lshrrev_b32_e32 v22, 19, v10
	v_subrev_u32_e32 v25, 28, v24
	v_and_b32_e32 v22, 15, v22
	v_lshlrev_b32_sdwa v25, v25, v10 dst_sel:DWORD dst_unused:UNUSED_PAD src0_sel:DWORD src1_sel:WORD_1
	v_bfe_u32 v23, v10, 19, 4
	v_sub_u32_e32 v24, 29, v24
	v_and_b32_e32 v25, 7, v25
	v_cmp_eq_u16_e32 vcc, 0, v22
	v_cndmask_b32_e32 v21, v21, v25, vcc
	v_cndmask_b32_e32 v22, v23, v24, vcc
	v_lshlrev_b32_e32 v23, 8, v10
	v_mov_b32_e32 v24, 0x3b800000
	v_lshlrev_b32_e32 v21, 20, v21
	v_and_b32_e32 v23, 0x80000000, v23
	v_lshl_add_u32 v22, v22, 23, v24
	v_or3_b32 v22, v23, v22, v21
.LBB22_1304:
	s_or_b64 exec, exec, s[6:7]
	s_nop 0
	v_mfma_f32_16x16x4f32 a[0:3], v20, v22, a[0:3]
	s_movk_i32 s4, 0x7f
	v_cmp_gt_i16_sdwa s[6:7], v14, s4 src0_sel:BYTE_3 src1_sel:DWORD
	s_mov_b64 s[4:5], 0
                                        ; implicit-def: $sgpr10
	s_and_saveexec_b64 s[8:9], s[6:7]
	s_xor_b64 s[6:7], exec, s[8:9]
	s_cbranch_execnz .LBB22_3353
; %bb.1305:
	s_or_saveexec_b64 s[6:7], s[6:7]
	v_mov_b32_e32 v20, s10
	s_xor_b64 exec, exec, s[6:7]
	s_cbranch_execnz .LBB22_3356
.LBB22_1306:
	s_or_b64 exec, exec, s[6:7]
	s_and_saveexec_b64 s[6:7], s[4:5]
	s_cbranch_execz .LBB22_1308
.LBB22_1307:
	v_bfe_u32 v20, v14, 24, 3
	v_ffbh_u32_e32 v24, v20
	v_min_u32_e32 v24, 32, v24
	v_lshrrev_b32_e32 v22, 27, v14
	v_subrev_u32_e32 v25, 28, v24
	v_and_b32_e32 v21, 0x80000000, v14
	v_and_b32_e32 v22, 15, v22
	v_bfe_u32 v23, v14, 27, 4
	v_lshlrev_b32_sdwa v14, v25, v14 dst_sel:DWORD dst_unused:UNUSED_PAD src0_sel:DWORD src1_sel:BYTE_3
	v_sub_u32_e32 v24, 29, v24
	v_and_b32_e32 v14, 7, v14
	v_cmp_eq_u16_e32 vcc, 0, v22
	v_cndmask_b32_e32 v14, v20, v14, vcc
	v_cndmask_b32_e32 v20, v23, v24, vcc
	v_mov_b32_e32 v22, 0x3b800000
	v_lshlrev_b32_e32 v14, 20, v14
	v_lshl_add_u32 v20, v20, 23, v22
	v_or3_b32 v20, v21, v20, v14
.LBB22_1308:
	s_or_b64 exec, exec, s[6:7]
	s_movk_i32 s4, 0x7f
	v_cmp_gt_i16_sdwa s[6:7], v10, s4 src0_sel:BYTE_3 src1_sel:DWORD
	s_mov_b64 s[4:5], 0
                                        ; implicit-def: $sgpr10
	s_and_saveexec_b64 s[8:9], s[6:7]
	s_xor_b64 s[6:7], exec, s[8:9]
	s_cbranch_execnz .LBB22_3357
; %bb.1309:
	s_or_saveexec_b64 s[6:7], s[6:7]
	v_mov_b32_e32 v14, s10
	s_xor_b64 exec, exec, s[6:7]
	s_cbranch_execnz .LBB22_3360
.LBB22_1310:
	s_or_b64 exec, exec, s[6:7]
	s_and_saveexec_b64 s[6:7], s[4:5]
	s_cbranch_execz .LBB22_1312
.LBB22_1311:
	v_bfe_u32 v14, v10, 24, 3
	v_ffbh_u32_e32 v24, v14
	v_min_u32_e32 v24, 32, v24
	v_lshrrev_b32_e32 v22, 27, v10
	v_subrev_u32_e32 v25, 28, v24
	v_and_b32_e32 v21, 0x80000000, v10
	v_and_b32_e32 v22, 15, v22
	v_bfe_u32 v23, v10, 27, 4
	v_lshlrev_b32_sdwa v10, v25, v10 dst_sel:DWORD dst_unused:UNUSED_PAD src0_sel:DWORD src1_sel:BYTE_3
	v_sub_u32_e32 v24, 29, v24
	v_and_b32_e32 v10, 7, v10
	v_cmp_eq_u16_e32 vcc, 0, v22
	v_cndmask_b32_e32 v10, v14, v10, vcc
	v_cndmask_b32_e32 v14, v23, v24, vcc
	v_mov_b32_e32 v22, 0x3b800000
	v_lshlrev_b32_e32 v10, 20, v10
	v_lshl_add_u32 v14, v14, 23, v22
	v_or3_b32 v14, v21, v14, v10
.LBB22_1312:
	s_or_b64 exec, exec, s[6:7]
	s_nop 0
	v_mfma_f32_16x16x4f32 a[0:3], v20, v14, a[0:3]
	s_movk_i32 s4, 0x7f
	v_cmp_gt_i16_sdwa s[6:7], v15, s4 src0_sel:BYTE_0 src1_sel:DWORD
	s_mov_b64 s[4:5], 0
                                        ; implicit-def: $sgpr10
	s_and_saveexec_b64 s[8:9], s[6:7]
	s_xor_b64 s[6:7], exec, s[8:9]
	s_cbranch_execnz .LBB22_3361
; %bb.1313:
	s_or_saveexec_b64 s[6:7], s[6:7]
	v_mov_b32_e32 v10, s10
	s_xor_b64 exec, exec, s[6:7]
	s_cbranch_execnz .LBB22_3364
.LBB22_1314:
	s_or_b64 exec, exec, s[6:7]
	s_and_saveexec_b64 s[6:7], s[4:5]
	s_cbranch_execz .LBB22_1316
.LBB22_1315:
	v_and_b32_e32 v10, 7, v15
	v_ffbh_u32_e32 v20, v10
	v_min_u32_e32 v20, 32, v20
	v_lshrrev_b16_e32 v14, 3, v15
	v_subrev_u32_e32 v21, 28, v20
	v_and_b32_e32 v14, 15, v14
	v_lshlrev_b32_e32 v21, v21, v15
	v_sub_u32_e32 v20, 29, v20
	v_and_b32_e32 v21, 7, v21
	v_cmp_eq_u16_e32 vcc, 0, v14
	v_cndmask_b32_e32 v10, v10, v21, vcc
	v_cndmask_b32_e32 v14, v14, v20, vcc
	v_lshlrev_b32_e32 v20, 24, v15
	v_mov_b32_e32 v21, 0x3b800000
	v_lshlrev_b32_e32 v10, 20, v10
	v_and_b32_e32 v20, 0x80000000, v20
	v_lshl_add_u32 v14, v14, 23, v21
	v_or3_b32 v10, v20, v14, v10
.LBB22_1316:
	s_or_b64 exec, exec, s[6:7]
	s_movk_i32 s4, 0x7f
	v_cmp_gt_i16_sdwa s[6:7], v11, s4 src0_sel:BYTE_0 src1_sel:DWORD
	s_mov_b64 s[4:5], 0
                                        ; implicit-def: $sgpr10
	s_and_saveexec_b64 s[8:9], s[6:7]
	s_xor_b64 s[6:7], exec, s[8:9]
	s_cbranch_execnz .LBB22_3365
; %bb.1317:
	s_or_saveexec_b64 s[6:7], s[6:7]
	v_mov_b32_e32 v14, s10
	s_xor_b64 exec, exec, s[6:7]
	s_cbranch_execnz .LBB22_3368
.LBB22_1318:
	s_or_b64 exec, exec, s[6:7]
	s_and_saveexec_b64 s[6:7], s[4:5]
	s_cbranch_execz .LBB22_1320
.LBB22_1319:
	v_and_b32_e32 v14, 7, v11
	v_ffbh_u32_e32 v21, v14
	v_min_u32_e32 v21, 32, v21
	v_lshrrev_b16_e32 v20, 3, v11
	v_subrev_u32_e32 v22, 28, v21
	v_and_b32_e32 v20, 15, v20
	v_lshlrev_b32_e32 v22, v22, v11
	v_sub_u32_e32 v21, 29, v21
	v_and_b32_e32 v22, 7, v22
	v_cmp_eq_u16_e32 vcc, 0, v20
	v_cndmask_b32_e32 v14, v14, v22, vcc
	v_cndmask_b32_e32 v20, v20, v21, vcc
	v_lshlrev_b32_e32 v21, 24, v11
	v_mov_b32_e32 v22, 0x3b800000
	v_lshlrev_b32_e32 v14, 20, v14
	v_and_b32_e32 v21, 0x80000000, v21
	v_lshl_add_u32 v20, v20, 23, v22
	v_or3_b32 v14, v21, v20, v14
.LBB22_1320:
	s_or_b64 exec, exec, s[6:7]
	s_nop 0
	v_mfma_f32_16x16x4f32 a[0:3], v10, v14, a[0:3]
	v_lshrrev_b32_e32 v14, 8, v15
	s_movk_i32 s4, 0x7f
	v_cmp_gt_i16_sdwa s[6:7], v14, s4 src0_sel:BYTE_0 src1_sel:DWORD
	s_mov_b64 s[4:5], 0
                                        ; implicit-def: $sgpr10
	s_and_saveexec_b64 s[8:9], s[6:7]
	s_xor_b64 s[6:7], exec, s[8:9]
	s_cbranch_execnz .LBB22_3369
; %bb.1321:
	s_or_saveexec_b64 s[6:7], s[6:7]
	v_mov_b32_e32 v10, s10
	s_xor_b64 exec, exec, s[6:7]
	s_cbranch_execnz .LBB22_3372
.LBB22_1322:
	s_or_b64 exec, exec, s[6:7]
	s_and_saveexec_b64 s[6:7], s[4:5]
	s_cbranch_execz .LBB22_1324
.LBB22_1323:
	v_bfe_u32 v10, v15, 8, 3
	v_ffbh_u32_e32 v21, v10
	v_min_u32_e32 v21, 32, v21
	v_lshrrev_b16_e32 v20, 3, v14
	v_subrev_u32_e32 v22, 28, v21
	v_and_b32_e32 v20, 15, v20
	v_lshlrev_b32_e32 v14, v22, v14
	v_sub_u32_e32 v21, 29, v21
	v_and_b32_e32 v14, 7, v14
	v_cmp_eq_u16_e32 vcc, 0, v20
	v_cndmask_b32_e32 v10, v10, v14, vcc
	v_cndmask_b32_e32 v14, v20, v21, vcc
	v_lshlrev_b32_e32 v20, 16, v15
	v_mov_b32_e32 v21, 0x3b800000
	v_lshlrev_b32_e32 v10, 20, v10
	v_and_b32_e32 v20, 0x80000000, v20
	v_lshl_add_u32 v14, v14, 23, v21
	v_or3_b32 v10, v20, v14, v10
.LBB22_1324:
	s_or_b64 exec, exec, s[6:7]
	v_lshrrev_b32_e32 v14, 8, v11
	s_movk_i32 s4, 0x7f
	v_cmp_gt_i16_sdwa s[6:7], v14, s4 src0_sel:BYTE_0 src1_sel:DWORD
	s_mov_b64 s[4:5], 0
                                        ; implicit-def: $sgpr10
	s_and_saveexec_b64 s[8:9], s[6:7]
	s_xor_b64 s[6:7], exec, s[8:9]
	s_cbranch_execnz .LBB22_3373
; %bb.1325:
	s_or_saveexec_b64 s[6:7], s[6:7]
	v_mov_b32_e32 v20, s10
	s_xor_b64 exec, exec, s[6:7]
	s_cbranch_execnz .LBB22_3376
.LBB22_1326:
	s_or_b64 exec, exec, s[6:7]
	s_and_saveexec_b64 s[6:7], s[4:5]
	s_cbranch_execz .LBB22_1328
.LBB22_1327:
	v_bfe_u32 v20, v11, 8, 3
	v_ffbh_u32_e32 v22, v20
	v_min_u32_e32 v22, 32, v22
	v_lshrrev_b16_e32 v21, 3, v14
	v_subrev_u32_e32 v23, 28, v22
	v_and_b32_e32 v21, 15, v21
	v_lshlrev_b32_e32 v14, v23, v14
	v_sub_u32_e32 v22, 29, v22
	v_and_b32_e32 v14, 7, v14
	v_cmp_eq_u16_e32 vcc, 0, v21
	v_cndmask_b32_e32 v14, v20, v14, vcc
	v_cndmask_b32_e32 v20, v21, v22, vcc
	v_lshlrev_b32_e32 v21, 16, v11
	v_mov_b32_e32 v22, 0x3b800000
	v_lshlrev_b32_e32 v14, 20, v14
	v_and_b32_e32 v21, 0x80000000, v21
	v_lshl_add_u32 v20, v20, 23, v22
	v_or3_b32 v20, v21, v20, v14
.LBB22_1328:
	s_or_b64 exec, exec, s[6:7]
	s_nop 0
	v_mfma_f32_16x16x4f32 a[0:3], v10, v20, a[0:3]
	s_movk_i32 s4, 0xff
	v_and_b32_sdwa v14, v15, s4 dst_sel:DWORD dst_unused:UNUSED_PAD src0_sel:WORD_1 src1_sel:DWORD
	s_movk_i32 s4, 0x7f
	v_cmp_lt_i16_e32 vcc, s4, v14
	s_mov_b64 s[4:5], 0
                                        ; implicit-def: $sgpr10
	s_and_saveexec_b64 s[6:7], vcc
	s_xor_b64 s[6:7], exec, s[6:7]
	s_cbranch_execnz .LBB22_3377
; %bb.1329:
	s_or_saveexec_b64 s[6:7], s[6:7]
	v_mov_b32_e32 v10, s10
	s_xor_b64 exec, exec, s[6:7]
	s_cbranch_execnz .LBB22_3380
.LBB22_1330:
	s_or_b64 exec, exec, s[6:7]
	s_and_saveexec_b64 s[6:7], s[4:5]
	s_cbranch_execz .LBB22_1332
.LBB22_1331:
	v_bfe_u32 v10, v15, 16, 3
	v_ffbh_u32_e32 v21, v10
	v_min_u32_e32 v21, 32, v21
	v_lshrrev_b32_e32 v14, 19, v15
	v_subrev_u32_e32 v22, 28, v21
	v_and_b32_e32 v14, 15, v14
	v_lshlrev_b32_sdwa v22, v22, v15 dst_sel:DWORD dst_unused:UNUSED_PAD src0_sel:DWORD src1_sel:WORD_1
	v_bfe_u32 v20, v15, 19, 4
	v_sub_u32_e32 v21, 29, v21
	v_and_b32_e32 v22, 7, v22
	v_cmp_eq_u16_e32 vcc, 0, v14
	v_cndmask_b32_e32 v10, v10, v22, vcc
	v_cndmask_b32_e32 v14, v20, v21, vcc
	v_lshlrev_b32_e32 v20, 8, v15
	v_mov_b32_e32 v21, 0x3b800000
	v_lshlrev_b32_e32 v10, 20, v10
	v_and_b32_e32 v20, 0x80000000, v20
	v_lshl_add_u32 v14, v14, 23, v21
	v_or3_b32 v10, v20, v14, v10
.LBB22_1332:
	s_or_b64 exec, exec, s[6:7]
	s_movk_i32 s4, 0xff
	v_and_b32_sdwa v14, v11, s4 dst_sel:DWORD dst_unused:UNUSED_PAD src0_sel:WORD_1 src1_sel:DWORD
	s_movk_i32 s4, 0x7f
	v_cmp_lt_i16_e32 vcc, s4, v14
	s_mov_b64 s[4:5], 0
                                        ; implicit-def: $sgpr10
	s_and_saveexec_b64 s[6:7], vcc
	s_xor_b64 s[6:7], exec, s[6:7]
	s_cbranch_execnz .LBB22_3381
; %bb.1333:
	s_or_saveexec_b64 s[6:7], s[6:7]
	v_mov_b32_e32 v20, s10
	s_xor_b64 exec, exec, s[6:7]
	s_cbranch_execnz .LBB22_3384
.LBB22_1334:
	s_or_b64 exec, exec, s[6:7]
	s_and_saveexec_b64 s[6:7], s[4:5]
	s_cbranch_execz .LBB22_1336
.LBB22_1335:
	v_bfe_u32 v14, v11, 16, 3
	v_ffbh_u32_e32 v22, v14
	v_min_u32_e32 v22, 32, v22
	v_lshrrev_b32_e32 v20, 19, v11
	v_subrev_u32_e32 v23, 28, v22
	v_and_b32_e32 v20, 15, v20
	v_lshlrev_b32_sdwa v23, v23, v11 dst_sel:DWORD dst_unused:UNUSED_PAD src0_sel:DWORD src1_sel:WORD_1
	v_bfe_u32 v21, v11, 19, 4
	v_sub_u32_e32 v22, 29, v22
	v_and_b32_e32 v23, 7, v23
	v_cmp_eq_u16_e32 vcc, 0, v20
	v_cndmask_b32_e32 v14, v14, v23, vcc
	v_cndmask_b32_e32 v20, v21, v22, vcc
	v_lshlrev_b32_e32 v21, 8, v11
	v_mov_b32_e32 v22, 0x3b800000
	v_lshlrev_b32_e32 v14, 20, v14
	v_and_b32_e32 v21, 0x80000000, v21
	v_lshl_add_u32 v20, v20, 23, v22
	v_or3_b32 v20, v21, v20, v14
.LBB22_1336:
	s_or_b64 exec, exec, s[6:7]
	s_nop 0
	v_mfma_f32_16x16x4f32 a[0:3], v10, v20, a[0:3]
	s_movk_i32 s4, 0x7f
	v_cmp_gt_i16_sdwa s[6:7], v15, s4 src0_sel:BYTE_3 src1_sel:DWORD
	s_mov_b64 s[4:5], 0
                                        ; implicit-def: $sgpr10
	s_and_saveexec_b64 s[8:9], s[6:7]
	s_xor_b64 s[6:7], exec, s[8:9]
	s_cbranch_execnz .LBB22_3385
; %bb.1337:
	s_or_saveexec_b64 s[6:7], s[6:7]
	v_mov_b32_e32 v10, s10
	s_xor_b64 exec, exec, s[6:7]
	s_cbranch_execnz .LBB22_3388
.LBB22_1338:
	s_or_b64 exec, exec, s[6:7]
	s_and_saveexec_b64 s[6:7], s[4:5]
	s_cbranch_execz .LBB22_1340
.LBB22_1339:
	v_bfe_u32 v10, v15, 24, 3
	v_ffbh_u32_e32 v22, v10
	v_min_u32_e32 v22, 32, v22
	v_lshrrev_b32_e32 v20, 27, v15
	v_subrev_u32_e32 v23, 28, v22
	v_and_b32_e32 v14, 0x80000000, v15
	v_and_b32_e32 v20, 15, v20
	v_bfe_u32 v21, v15, 27, 4
	v_lshlrev_b32_sdwa v15, v23, v15 dst_sel:DWORD dst_unused:UNUSED_PAD src0_sel:DWORD src1_sel:BYTE_3
	v_sub_u32_e32 v22, 29, v22
	v_and_b32_e32 v15, 7, v15
	v_cmp_eq_u16_e32 vcc, 0, v20
	v_cndmask_b32_e32 v10, v10, v15, vcc
	v_cndmask_b32_e32 v15, v21, v22, vcc
	v_mov_b32_e32 v20, 0x3b800000
	v_lshlrev_b32_e32 v10, 20, v10
	v_lshl_add_u32 v15, v15, 23, v20
	v_or3_b32 v10, v14, v15, v10
.LBB22_1340:
	s_or_b64 exec, exec, s[6:7]
	s_movk_i32 s4, 0x7f
	v_cmp_gt_i16_sdwa s[6:7], v11, s4 src0_sel:BYTE_3 src1_sel:DWORD
	s_mov_b64 s[4:5], 0
                                        ; implicit-def: $sgpr10
	s_and_saveexec_b64 s[8:9], s[6:7]
	s_xor_b64 s[6:7], exec, s[8:9]
	s_cbranch_execnz .LBB22_3389
; %bb.1341:
	s_or_saveexec_b64 s[6:7], s[6:7]
	v_mov_b32_e32 v14, s10
	s_xor_b64 exec, exec, s[6:7]
	s_cbranch_execnz .LBB22_3392
.LBB22_1342:
	s_or_b64 exec, exec, s[6:7]
	s_and_saveexec_b64 s[6:7], s[4:5]
	s_cbranch_execz .LBB22_1344
.LBB22_1343:
	v_bfe_u32 v14, v11, 24, 3
	v_ffbh_u32_e32 v22, v14
	v_min_u32_e32 v22, 32, v22
	v_lshrrev_b32_e32 v20, 27, v11
	v_subrev_u32_e32 v23, 28, v22
	v_and_b32_e32 v15, 0x80000000, v11
	v_and_b32_e32 v20, 15, v20
	v_bfe_u32 v21, v11, 27, 4
	v_lshlrev_b32_sdwa v11, v23, v11 dst_sel:DWORD dst_unused:UNUSED_PAD src0_sel:DWORD src1_sel:BYTE_3
	v_sub_u32_e32 v22, 29, v22
	v_and_b32_e32 v11, 7, v11
	v_cmp_eq_u16_e32 vcc, 0, v20
	v_cndmask_b32_e32 v11, v14, v11, vcc
	v_cndmask_b32_e32 v14, v21, v22, vcc
	v_mov_b32_e32 v20, 0x3b800000
	v_lshlrev_b32_e32 v11, 20, v11
	v_lshl_add_u32 v14, v14, 23, v20
	v_or3_b32 v14, v15, v14, v11
.LBB22_1344:
	s_or_b64 exec, exec, s[6:7]
	s_nop 0
	v_mfma_f32_16x16x4f32 a[0:3], v10, v14, a[0:3]
	s_movk_i32 s4, 0x7f
	v_cmp_gt_i16_sdwa s[6:7], v16, s4 src0_sel:BYTE_0 src1_sel:DWORD
	s_mov_b64 s[4:5], 0
                                        ; implicit-def: $sgpr10
	s_and_saveexec_b64 s[8:9], s[6:7]
	s_xor_b64 s[6:7], exec, s[8:9]
	s_cbranch_execnz .LBB22_3393
; %bb.1345:
	s_or_saveexec_b64 s[6:7], s[6:7]
	v_mov_b32_e32 v10, s10
	s_xor_b64 exec, exec, s[6:7]
	s_cbranch_execnz .LBB22_3396
.LBB22_1346:
	s_or_b64 exec, exec, s[6:7]
	s_and_saveexec_b64 s[6:7], s[4:5]
	s_cbranch_execz .LBB22_1348
.LBB22_1347:
	v_and_b32_e32 v10, 7, v16
	v_ffbh_u32_e32 v14, v10
	v_min_u32_e32 v14, 32, v14
	v_lshrrev_b16_e32 v11, 3, v16
	v_subrev_u32_e32 v15, 28, v14
	v_and_b32_e32 v11, 15, v11
	v_lshlrev_b32_e32 v15, v15, v16
	v_sub_u32_e32 v14, 29, v14
	v_and_b32_e32 v15, 7, v15
	v_cmp_eq_u16_e32 vcc, 0, v11
	v_cndmask_b32_e32 v10, v10, v15, vcc
	v_cndmask_b32_e32 v11, v11, v14, vcc
	v_lshlrev_b32_e32 v14, 24, v16
	v_mov_b32_e32 v15, 0x3b800000
	v_lshlrev_b32_e32 v10, 20, v10
	v_and_b32_e32 v14, 0x80000000, v14
	v_lshl_add_u32 v11, v11, 23, v15
	v_or3_b32 v10, v14, v11, v10
.LBB22_1348:
	s_or_b64 exec, exec, s[6:7]
	s_movk_i32 s4, 0x7f
	v_cmp_gt_i16_sdwa s[6:7], v12, s4 src0_sel:BYTE_0 src1_sel:DWORD
	s_mov_b64 s[4:5], 0
                                        ; implicit-def: $sgpr10
	s_and_saveexec_b64 s[8:9], s[6:7]
	s_xor_b64 s[6:7], exec, s[8:9]
	s_cbranch_execnz .LBB22_3397
; %bb.1349:
	s_or_saveexec_b64 s[6:7], s[6:7]
	v_mov_b32_e32 v11, s10
	s_xor_b64 exec, exec, s[6:7]
	s_cbranch_execnz .LBB22_3400
.LBB22_1350:
	s_or_b64 exec, exec, s[6:7]
	s_and_saveexec_b64 s[6:7], s[4:5]
	s_cbranch_execz .LBB22_1352
.LBB22_1351:
	v_and_b32_e32 v11, 7, v12
	v_ffbh_u32_e32 v15, v11
	v_min_u32_e32 v15, 32, v15
	v_lshrrev_b16_e32 v14, 3, v12
	v_subrev_u32_e32 v20, 28, v15
	v_and_b32_e32 v14, 15, v14
	v_lshlrev_b32_e32 v20, v20, v12
	v_sub_u32_e32 v15, 29, v15
	v_and_b32_e32 v20, 7, v20
	v_cmp_eq_u16_e32 vcc, 0, v14
	v_cndmask_b32_e32 v11, v11, v20, vcc
	v_cndmask_b32_e32 v14, v14, v15, vcc
	v_lshlrev_b32_e32 v15, 24, v12
	v_mov_b32_e32 v20, 0x3b800000
	v_lshlrev_b32_e32 v11, 20, v11
	v_and_b32_e32 v15, 0x80000000, v15
	v_lshl_add_u32 v14, v14, 23, v20
	v_or3_b32 v11, v15, v14, v11
.LBB22_1352:
	s_or_b64 exec, exec, s[6:7]
	s_nop 0
	v_mfma_f32_16x16x4f32 a[0:3], v10, v11, a[0:3]
	v_lshrrev_b32_e32 v11, 8, v16
	s_movk_i32 s4, 0x7f
	v_cmp_gt_i16_sdwa s[6:7], v11, s4 src0_sel:BYTE_0 src1_sel:DWORD
	s_mov_b64 s[4:5], 0
                                        ; implicit-def: $sgpr10
	s_and_saveexec_b64 s[8:9], s[6:7]
	s_xor_b64 s[6:7], exec, s[8:9]
	s_cbranch_execnz .LBB22_3401
; %bb.1353:
	s_or_saveexec_b64 s[6:7], s[6:7]
	v_mov_b32_e32 v10, s10
	s_xor_b64 exec, exec, s[6:7]
	s_cbranch_execnz .LBB22_3404
.LBB22_1354:
	s_or_b64 exec, exec, s[6:7]
	s_and_saveexec_b64 s[6:7], s[4:5]
	s_cbranch_execz .LBB22_1356
.LBB22_1355:
	v_bfe_u32 v10, v16, 8, 3
	v_ffbh_u32_e32 v15, v10
	v_min_u32_e32 v15, 32, v15
	v_lshrrev_b16_e32 v14, 3, v11
	v_subrev_u32_e32 v20, 28, v15
	v_and_b32_e32 v14, 15, v14
	v_lshlrev_b32_e32 v11, v20, v11
	v_sub_u32_e32 v15, 29, v15
	v_and_b32_e32 v11, 7, v11
	v_cmp_eq_u16_e32 vcc, 0, v14
	v_cndmask_b32_e32 v10, v10, v11, vcc
	v_cndmask_b32_e32 v11, v14, v15, vcc
	v_lshlrev_b32_e32 v14, 16, v16
	v_mov_b32_e32 v15, 0x3b800000
	v_lshlrev_b32_e32 v10, 20, v10
	v_and_b32_e32 v14, 0x80000000, v14
	v_lshl_add_u32 v11, v11, 23, v15
	v_or3_b32 v10, v14, v11, v10
.LBB22_1356:
	s_or_b64 exec, exec, s[6:7]
	v_lshrrev_b32_e32 v11, 8, v12
	s_movk_i32 s4, 0x7f
	v_cmp_gt_i16_sdwa s[6:7], v11, s4 src0_sel:BYTE_0 src1_sel:DWORD
	s_mov_b64 s[4:5], 0
                                        ; implicit-def: $sgpr10
	s_and_saveexec_b64 s[8:9], s[6:7]
	s_xor_b64 s[6:7], exec, s[8:9]
	s_cbranch_execnz .LBB22_3405
; %bb.1357:
	s_or_saveexec_b64 s[6:7], s[6:7]
	v_mov_b32_e32 v14, s10
	s_xor_b64 exec, exec, s[6:7]
	s_cbranch_execnz .LBB22_3408
.LBB22_1358:
	s_or_b64 exec, exec, s[6:7]
	s_and_saveexec_b64 s[6:7], s[4:5]
	s_cbranch_execz .LBB22_1360
.LBB22_1359:
	v_bfe_u32 v14, v12, 8, 3
	v_ffbh_u32_e32 v20, v14
	v_min_u32_e32 v20, 32, v20
	v_lshrrev_b16_e32 v15, 3, v11
	v_subrev_u32_e32 v21, 28, v20
	v_and_b32_e32 v15, 15, v15
	v_lshlrev_b32_e32 v11, v21, v11
	v_sub_u32_e32 v20, 29, v20
	v_and_b32_e32 v11, 7, v11
	v_cmp_eq_u16_e32 vcc, 0, v15
	v_cndmask_b32_e32 v11, v14, v11, vcc
	v_cndmask_b32_e32 v14, v15, v20, vcc
	v_lshlrev_b32_e32 v15, 16, v12
	v_mov_b32_e32 v20, 0x3b800000
	v_lshlrev_b32_e32 v11, 20, v11
	v_and_b32_e32 v15, 0x80000000, v15
	v_lshl_add_u32 v14, v14, 23, v20
	v_or3_b32 v14, v15, v14, v11
.LBB22_1360:
	s_or_b64 exec, exec, s[6:7]
	s_nop 0
	v_mfma_f32_16x16x4f32 a[0:3], v10, v14, a[0:3]
	s_movk_i32 s4, 0xff
	v_and_b32_sdwa v11, v16, s4 dst_sel:DWORD dst_unused:UNUSED_PAD src0_sel:WORD_1 src1_sel:DWORD
	s_movk_i32 s4, 0x7f
	v_cmp_lt_i16_e32 vcc, s4, v11
	s_mov_b64 s[4:5], 0
                                        ; implicit-def: $sgpr10
	s_and_saveexec_b64 s[6:7], vcc
	s_xor_b64 s[6:7], exec, s[6:7]
	s_cbranch_execnz .LBB22_3409
; %bb.1361:
	s_or_saveexec_b64 s[6:7], s[6:7]
	v_mov_b32_e32 v10, s10
	s_xor_b64 exec, exec, s[6:7]
	s_cbranch_execnz .LBB22_3412
.LBB22_1362:
	s_or_b64 exec, exec, s[6:7]
	s_and_saveexec_b64 s[6:7], s[4:5]
	s_cbranch_execz .LBB22_1364
.LBB22_1363:
	v_bfe_u32 v10, v16, 16, 3
	v_ffbh_u32_e32 v15, v10
	v_min_u32_e32 v15, 32, v15
	v_lshrrev_b32_e32 v11, 19, v16
	v_subrev_u32_e32 v20, 28, v15
	v_and_b32_e32 v11, 15, v11
	v_lshlrev_b32_sdwa v20, v20, v16 dst_sel:DWORD dst_unused:UNUSED_PAD src0_sel:DWORD src1_sel:WORD_1
	v_bfe_u32 v14, v16, 19, 4
	v_sub_u32_e32 v15, 29, v15
	v_and_b32_e32 v20, 7, v20
	v_cmp_eq_u16_e32 vcc, 0, v11
	v_cndmask_b32_e32 v10, v10, v20, vcc
	v_cndmask_b32_e32 v11, v14, v15, vcc
	v_lshlrev_b32_e32 v14, 8, v16
	v_mov_b32_e32 v15, 0x3b800000
	v_lshlrev_b32_e32 v10, 20, v10
	v_and_b32_e32 v14, 0x80000000, v14
	v_lshl_add_u32 v11, v11, 23, v15
	v_or3_b32 v10, v14, v11, v10
.LBB22_1364:
	s_or_b64 exec, exec, s[6:7]
	s_movk_i32 s4, 0xff
	v_and_b32_sdwa v11, v12, s4 dst_sel:DWORD dst_unused:UNUSED_PAD src0_sel:WORD_1 src1_sel:DWORD
	s_movk_i32 s4, 0x7f
	v_cmp_lt_i16_e32 vcc, s4, v11
	s_mov_b64 s[4:5], 0
                                        ; implicit-def: $sgpr10
	s_and_saveexec_b64 s[6:7], vcc
	s_xor_b64 s[6:7], exec, s[6:7]
	s_cbranch_execnz .LBB22_3413
; %bb.1365:
	s_or_saveexec_b64 s[6:7], s[6:7]
	v_mov_b32_e32 v14, s10
	s_xor_b64 exec, exec, s[6:7]
	s_cbranch_execnz .LBB22_3416
.LBB22_1366:
	s_or_b64 exec, exec, s[6:7]
	s_and_saveexec_b64 s[6:7], s[4:5]
	s_cbranch_execz .LBB22_1368
.LBB22_1367:
	v_bfe_u32 v11, v12, 16, 3
	v_ffbh_u32_e32 v20, v11
	v_min_u32_e32 v20, 32, v20
	v_lshrrev_b32_e32 v14, 19, v12
	v_subrev_u32_e32 v21, 28, v20
	v_and_b32_e32 v14, 15, v14
	v_lshlrev_b32_sdwa v21, v21, v12 dst_sel:DWORD dst_unused:UNUSED_PAD src0_sel:DWORD src1_sel:WORD_1
	v_bfe_u32 v15, v12, 19, 4
	v_sub_u32_e32 v20, 29, v20
	v_and_b32_e32 v21, 7, v21
	v_cmp_eq_u16_e32 vcc, 0, v14
	v_cndmask_b32_e32 v11, v11, v21, vcc
	v_cndmask_b32_e32 v14, v15, v20, vcc
	v_lshlrev_b32_e32 v15, 8, v12
	v_mov_b32_e32 v20, 0x3b800000
	v_lshlrev_b32_e32 v11, 20, v11
	v_and_b32_e32 v15, 0x80000000, v15
	v_lshl_add_u32 v14, v14, 23, v20
	v_or3_b32 v14, v15, v14, v11
.LBB22_1368:
	s_or_b64 exec, exec, s[6:7]
	s_nop 0
	v_mfma_f32_16x16x4f32 a[0:3], v10, v14, a[0:3]
	s_movk_i32 s4, 0x7f
	v_cmp_gt_i16_sdwa s[6:7], v16, s4 src0_sel:BYTE_3 src1_sel:DWORD
	s_mov_b64 s[4:5], 0
                                        ; implicit-def: $sgpr10
	s_and_saveexec_b64 s[8:9], s[6:7]
	s_xor_b64 s[6:7], exec, s[8:9]
	s_cbranch_execnz .LBB22_3417
; %bb.1369:
	s_or_saveexec_b64 s[6:7], s[6:7]
	v_mov_b32_e32 v10, s10
	s_xor_b64 exec, exec, s[6:7]
	s_cbranch_execnz .LBB22_3420
.LBB22_1370:
	s_or_b64 exec, exec, s[6:7]
	s_and_saveexec_b64 s[6:7], s[4:5]
	s_cbranch_execz .LBB22_1372
.LBB22_1371:
	v_bfe_u32 v10, v16, 24, 3
	v_ffbh_u32_e32 v20, v10
	v_min_u32_e32 v20, 32, v20
	v_lshrrev_b32_e32 v14, 27, v16
	v_subrev_u32_e32 v21, 28, v20
	v_and_b32_e32 v11, 0x80000000, v16
	v_and_b32_e32 v14, 15, v14
	v_bfe_u32 v15, v16, 27, 4
	v_lshlrev_b32_sdwa v16, v21, v16 dst_sel:DWORD dst_unused:UNUSED_PAD src0_sel:DWORD src1_sel:BYTE_3
	v_sub_u32_e32 v20, 29, v20
	v_and_b32_e32 v16, 7, v16
	v_cmp_eq_u16_e32 vcc, 0, v14
	v_cndmask_b32_e32 v10, v10, v16, vcc
	v_cndmask_b32_e32 v14, v15, v20, vcc
	v_mov_b32_e32 v15, 0x3b800000
	v_lshlrev_b32_e32 v10, 20, v10
	v_lshl_add_u32 v14, v14, 23, v15
	v_or3_b32 v10, v11, v14, v10
.LBB22_1372:
	s_or_b64 exec, exec, s[6:7]
	s_movk_i32 s4, 0x7f
	v_cmp_gt_i16_sdwa s[6:7], v12, s4 src0_sel:BYTE_3 src1_sel:DWORD
	s_mov_b64 s[4:5], 0
                                        ; implicit-def: $sgpr10
	s_and_saveexec_b64 s[8:9], s[6:7]
	s_xor_b64 s[6:7], exec, s[8:9]
	s_cbranch_execnz .LBB22_3421
; %bb.1373:
	s_or_saveexec_b64 s[6:7], s[6:7]
	v_mov_b32_e32 v11, s10
	s_xor_b64 exec, exec, s[6:7]
	s_cbranch_execnz .LBB22_3424
.LBB22_1374:
	s_or_b64 exec, exec, s[6:7]
	s_and_saveexec_b64 s[6:7], s[4:5]
	s_cbranch_execz .LBB22_1376
.LBB22_1375:
	v_bfe_u32 v11, v12, 24, 3
	v_ffbh_u32_e32 v20, v11
	v_min_u32_e32 v20, 32, v20
	v_lshrrev_b32_e32 v15, 27, v12
	v_subrev_u32_e32 v21, 28, v20
	v_and_b32_e32 v14, 0x80000000, v12
	v_and_b32_e32 v15, 15, v15
	v_bfe_u32 v16, v12, 27, 4
	v_lshlrev_b32_sdwa v12, v21, v12 dst_sel:DWORD dst_unused:UNUSED_PAD src0_sel:DWORD src1_sel:BYTE_3
	v_sub_u32_e32 v20, 29, v20
	v_and_b32_e32 v12, 7, v12
	v_cmp_eq_u16_e32 vcc, 0, v15
	v_cndmask_b32_e32 v11, v11, v12, vcc
	v_cndmask_b32_e32 v12, v16, v20, vcc
	v_mov_b32_e32 v15, 0x3b800000
	v_lshlrev_b32_e32 v11, 20, v11
	v_lshl_add_u32 v12, v12, 23, v15
	v_or3_b32 v11, v14, v12, v11
.LBB22_1376:
	s_or_b64 exec, exec, s[6:7]
	s_nop 0
	v_mfma_f32_16x16x4f32 a[0:3], v10, v11, a[0:3]
	s_movk_i32 s4, 0x7f
	v_cmp_gt_i16_sdwa s[6:7], v17, s4 src0_sel:BYTE_0 src1_sel:DWORD
	s_mov_b64 s[4:5], 0
                                        ; implicit-def: $sgpr10
	s_and_saveexec_b64 s[8:9], s[6:7]
	s_xor_b64 s[6:7], exec, s[8:9]
	s_cbranch_execnz .LBB22_3425
; %bb.1377:
	s_or_saveexec_b64 s[6:7], s[6:7]
	v_mov_b32_e32 v10, s10
	s_xor_b64 exec, exec, s[6:7]
	s_cbranch_execnz .LBB22_3428
.LBB22_1378:
	s_or_b64 exec, exec, s[6:7]
	s_and_saveexec_b64 s[6:7], s[4:5]
	s_cbranch_execz .LBB22_1380
.LBB22_1379:
	v_and_b32_e32 v10, 7, v17
	v_ffbh_u32_e32 v12, v10
	v_min_u32_e32 v12, 32, v12
	v_lshrrev_b16_e32 v11, 3, v17
	v_subrev_u32_e32 v14, 28, v12
	v_and_b32_e32 v11, 15, v11
	v_lshlrev_b32_e32 v14, v14, v17
	v_sub_u32_e32 v12, 29, v12
	v_and_b32_e32 v14, 7, v14
	v_cmp_eq_u16_e32 vcc, 0, v11
	v_cndmask_b32_e32 v10, v10, v14, vcc
	v_cndmask_b32_e32 v11, v11, v12, vcc
	v_lshlrev_b32_e32 v12, 24, v17
	v_mov_b32_e32 v14, 0x3b800000
	v_lshlrev_b32_e32 v10, 20, v10
	v_and_b32_e32 v12, 0x80000000, v12
	v_lshl_add_u32 v11, v11, 23, v14
	v_or3_b32 v10, v12, v11, v10
.LBB22_1380:
	s_or_b64 exec, exec, s[6:7]
	s_movk_i32 s4, 0x7f
	v_cmp_gt_i16_sdwa s[6:7], v13, s4 src0_sel:BYTE_0 src1_sel:DWORD
	s_mov_b64 s[4:5], 0
                                        ; implicit-def: $sgpr10
	s_and_saveexec_b64 s[8:9], s[6:7]
	s_xor_b64 s[6:7], exec, s[8:9]
	s_cbranch_execnz .LBB22_3429
; %bb.1381:
	s_or_saveexec_b64 s[6:7], s[6:7]
	v_mov_b32_e32 v11, s10
	s_xor_b64 exec, exec, s[6:7]
	s_cbranch_execnz .LBB22_3432
.LBB22_1382:
	s_or_b64 exec, exec, s[6:7]
	s_and_saveexec_b64 s[6:7], s[4:5]
	s_cbranch_execz .LBB22_1384
.LBB22_1383:
	v_and_b32_e32 v11, 7, v13
	v_ffbh_u32_e32 v14, v11
	v_min_u32_e32 v14, 32, v14
	v_lshrrev_b16_e32 v12, 3, v13
	v_subrev_u32_e32 v15, 28, v14
	v_and_b32_e32 v12, 15, v12
	v_lshlrev_b32_e32 v15, v15, v13
	v_sub_u32_e32 v14, 29, v14
	v_and_b32_e32 v15, 7, v15
	v_cmp_eq_u16_e32 vcc, 0, v12
	v_cndmask_b32_e32 v11, v11, v15, vcc
	v_cndmask_b32_e32 v12, v12, v14, vcc
	v_lshlrev_b32_e32 v14, 24, v13
	v_mov_b32_e32 v15, 0x3b800000
	v_lshlrev_b32_e32 v11, 20, v11
	v_and_b32_e32 v14, 0x80000000, v14
	v_lshl_add_u32 v12, v12, 23, v15
	v_or3_b32 v11, v14, v12, v11
.LBB22_1384:
	s_or_b64 exec, exec, s[6:7]
	s_nop 0
	v_mfma_f32_16x16x4f32 a[0:3], v10, v11, a[0:3]
	v_lshrrev_b32_e32 v11, 8, v17
	s_movk_i32 s4, 0x7f
	v_cmp_gt_i16_sdwa s[6:7], v11, s4 src0_sel:BYTE_0 src1_sel:DWORD
	s_mov_b64 s[4:5], 0
                                        ; implicit-def: $sgpr10
	s_and_saveexec_b64 s[8:9], s[6:7]
	s_xor_b64 s[6:7], exec, s[8:9]
	s_cbranch_execnz .LBB22_3433
; %bb.1385:
	s_or_saveexec_b64 s[6:7], s[6:7]
	v_mov_b32_e32 v10, s10
	s_xor_b64 exec, exec, s[6:7]
	s_cbranch_execnz .LBB22_3436
.LBB22_1386:
	s_or_b64 exec, exec, s[6:7]
	s_and_saveexec_b64 s[6:7], s[4:5]
	s_cbranch_execz .LBB22_1388
.LBB22_1387:
	v_bfe_u32 v10, v17, 8, 3
	v_ffbh_u32_e32 v14, v10
	v_min_u32_e32 v14, 32, v14
	v_lshrrev_b16_e32 v12, 3, v11
	v_subrev_u32_e32 v15, 28, v14
	v_and_b32_e32 v12, 15, v12
	v_lshlrev_b32_e32 v11, v15, v11
	v_sub_u32_e32 v14, 29, v14
	v_and_b32_e32 v11, 7, v11
	v_cmp_eq_u16_e32 vcc, 0, v12
	v_cndmask_b32_e32 v10, v10, v11, vcc
	v_cndmask_b32_e32 v11, v12, v14, vcc
	v_lshlrev_b32_e32 v12, 16, v17
	v_mov_b32_e32 v14, 0x3b800000
	v_lshlrev_b32_e32 v10, 20, v10
	v_and_b32_e32 v12, 0x80000000, v12
	v_lshl_add_u32 v11, v11, 23, v14
	v_or3_b32 v10, v12, v11, v10
.LBB22_1388:
	s_or_b64 exec, exec, s[6:7]
	v_lshrrev_b32_e32 v11, 8, v13
	s_movk_i32 s4, 0x7f
	v_cmp_gt_i16_sdwa s[6:7], v11, s4 src0_sel:BYTE_0 src1_sel:DWORD
	s_mov_b64 s[4:5], 0
                                        ; implicit-def: $sgpr10
	s_and_saveexec_b64 s[8:9], s[6:7]
	s_xor_b64 s[6:7], exec, s[8:9]
	s_cbranch_execnz .LBB22_3437
; %bb.1389:
	s_or_saveexec_b64 s[6:7], s[6:7]
	v_mov_b32_e32 v12, s10
	s_xor_b64 exec, exec, s[6:7]
	s_cbranch_execnz .LBB22_3440
.LBB22_1390:
	s_or_b64 exec, exec, s[6:7]
	s_and_saveexec_b64 s[6:7], s[4:5]
	s_cbranch_execz .LBB22_1392
.LBB22_1391:
	v_bfe_u32 v12, v13, 8, 3
	v_ffbh_u32_e32 v15, v12
	v_min_u32_e32 v15, 32, v15
	v_lshrrev_b16_e32 v14, 3, v11
	v_subrev_u32_e32 v16, 28, v15
	v_and_b32_e32 v14, 15, v14
	v_lshlrev_b32_e32 v11, v16, v11
	v_sub_u32_e32 v15, 29, v15
	v_and_b32_e32 v11, 7, v11
	v_cmp_eq_u16_e32 vcc, 0, v14
	v_cndmask_b32_e32 v11, v12, v11, vcc
	v_cndmask_b32_e32 v12, v14, v15, vcc
	v_lshlrev_b32_e32 v14, 16, v13
	v_mov_b32_e32 v15, 0x3b800000
	v_lshlrev_b32_e32 v11, 20, v11
	v_and_b32_e32 v14, 0x80000000, v14
	v_lshl_add_u32 v12, v12, 23, v15
	v_or3_b32 v12, v14, v12, v11
.LBB22_1392:
	s_or_b64 exec, exec, s[6:7]
	s_nop 0
	v_mfma_f32_16x16x4f32 a[0:3], v10, v12, a[0:3]
	s_movk_i32 s4, 0xff
	v_and_b32_sdwa v11, v17, s4 dst_sel:DWORD dst_unused:UNUSED_PAD src0_sel:WORD_1 src1_sel:DWORD
	s_movk_i32 s4, 0x7f
	v_cmp_lt_i16_e32 vcc, s4, v11
	s_mov_b64 s[4:5], 0
                                        ; implicit-def: $sgpr10
	s_and_saveexec_b64 s[6:7], vcc
	s_xor_b64 s[6:7], exec, s[6:7]
	s_cbranch_execnz .LBB22_3441
; %bb.1393:
	s_or_saveexec_b64 s[6:7], s[6:7]
	v_mov_b32_e32 v10, s10
	s_xor_b64 exec, exec, s[6:7]
	s_cbranch_execnz .LBB22_3444
.LBB22_1394:
	s_or_b64 exec, exec, s[6:7]
	s_and_saveexec_b64 s[6:7], s[4:5]
	s_cbranch_execz .LBB22_1396
.LBB22_1395:
	v_bfe_u32 v10, v17, 16, 3
	v_ffbh_u32_e32 v14, v10
	v_min_u32_e32 v14, 32, v14
	v_lshrrev_b32_e32 v11, 19, v17
	v_subrev_u32_e32 v15, 28, v14
	v_and_b32_e32 v11, 15, v11
	v_lshlrev_b32_sdwa v15, v15, v17 dst_sel:DWORD dst_unused:UNUSED_PAD src0_sel:DWORD src1_sel:WORD_1
	v_bfe_u32 v12, v17, 19, 4
	v_sub_u32_e32 v14, 29, v14
	v_and_b32_e32 v15, 7, v15
	v_cmp_eq_u16_e32 vcc, 0, v11
	v_cndmask_b32_e32 v10, v10, v15, vcc
	v_cndmask_b32_e32 v11, v12, v14, vcc
	v_lshlrev_b32_e32 v12, 8, v17
	v_mov_b32_e32 v14, 0x3b800000
	v_lshlrev_b32_e32 v10, 20, v10
	v_and_b32_e32 v12, 0x80000000, v12
	v_lshl_add_u32 v11, v11, 23, v14
	v_or3_b32 v10, v12, v11, v10
.LBB22_1396:
	s_or_b64 exec, exec, s[6:7]
	s_movk_i32 s4, 0xff
	v_and_b32_sdwa v11, v13, s4 dst_sel:DWORD dst_unused:UNUSED_PAD src0_sel:WORD_1 src1_sel:DWORD
	s_movk_i32 s4, 0x7f
	v_cmp_lt_i16_e32 vcc, s4, v11
	s_mov_b64 s[4:5], 0
                                        ; implicit-def: $sgpr10
	s_and_saveexec_b64 s[6:7], vcc
	s_xor_b64 s[6:7], exec, s[6:7]
	s_cbranch_execnz .LBB22_3445
; %bb.1397:
	s_or_saveexec_b64 s[6:7], s[6:7]
	v_mov_b32_e32 v12, s10
	s_xor_b64 exec, exec, s[6:7]
	s_cbranch_execnz .LBB22_3448
.LBB22_1398:
	s_or_b64 exec, exec, s[6:7]
	s_and_saveexec_b64 s[6:7], s[4:5]
	s_cbranch_execz .LBB22_1400
.LBB22_1399:
	v_bfe_u32 v11, v13, 16, 3
	v_ffbh_u32_e32 v15, v11
	v_min_u32_e32 v15, 32, v15
	v_lshrrev_b32_e32 v12, 19, v13
	v_subrev_u32_e32 v16, 28, v15
	v_and_b32_e32 v12, 15, v12
	v_lshlrev_b32_sdwa v16, v16, v13 dst_sel:DWORD dst_unused:UNUSED_PAD src0_sel:DWORD src1_sel:WORD_1
	v_bfe_u32 v14, v13, 19, 4
	v_sub_u32_e32 v15, 29, v15
	v_and_b32_e32 v16, 7, v16
	v_cmp_eq_u16_e32 vcc, 0, v12
	v_cndmask_b32_e32 v11, v11, v16, vcc
	v_cndmask_b32_e32 v12, v14, v15, vcc
	v_lshlrev_b32_e32 v14, 8, v13
	v_mov_b32_e32 v15, 0x3b800000
	v_lshlrev_b32_e32 v11, 20, v11
	v_and_b32_e32 v14, 0x80000000, v14
	v_lshl_add_u32 v12, v12, 23, v15
	v_or3_b32 v12, v14, v12, v11
.LBB22_1400:
	s_or_b64 exec, exec, s[6:7]
	s_nop 0
	v_mfma_f32_16x16x4f32 a[0:3], v10, v12, a[0:3]
	s_movk_i32 s4, 0x7f
	v_cmp_gt_i16_sdwa s[6:7], v17, s4 src0_sel:BYTE_3 src1_sel:DWORD
	s_mov_b64 s[4:5], 0
                                        ; implicit-def: $sgpr10
	s_and_saveexec_b64 s[8:9], s[6:7]
	s_xor_b64 s[6:7], exec, s[8:9]
	s_cbranch_execnz .LBB22_3449
; %bb.1401:
	s_or_saveexec_b64 s[6:7], s[6:7]
	v_mov_b32_e32 v10, s10
	s_xor_b64 exec, exec, s[6:7]
	s_cbranch_execnz .LBB22_3452
.LBB22_1402:
	s_or_b64 exec, exec, s[6:7]
	s_and_saveexec_b64 s[6:7], s[4:5]
	s_cbranch_execz .LBB22_1404
.LBB22_1403:
	v_bfe_u32 v10, v17, 24, 3
	v_ffbh_u32_e32 v15, v10
	v_min_u32_e32 v15, 32, v15
	v_lshrrev_b32_e32 v12, 27, v17
	v_subrev_u32_e32 v16, 28, v15
	v_and_b32_e32 v12, 15, v12
	v_lshlrev_b32_sdwa v16, v16, v17 dst_sel:DWORD dst_unused:UNUSED_PAD src0_sel:DWORD src1_sel:BYTE_3
	v_bfe_u32 v14, v17, 27, 4
	v_sub_u32_e32 v15, 29, v15
	v_and_b32_e32 v16, 7, v16
	v_cmp_eq_u16_e32 vcc, 0, v12
	v_cndmask_b32_e32 v10, v10, v16, vcc
	v_cndmask_b32_e32 v12, v14, v15, vcc
	v_mov_b32_e32 v14, 0x3b800000
	v_and_b32_e32 v11, 0x80000000, v17
	v_lshlrev_b32_e32 v10, 20, v10
	v_lshl_add_u32 v12, v12, 23, v14
	v_or3_b32 v10, v11, v12, v10
.LBB22_1404:
	s_or_b64 exec, exec, s[6:7]
	s_movk_i32 s4, 0x7f
	v_cmp_gt_i16_sdwa s[6:7], v13, s4 src0_sel:BYTE_3 src1_sel:DWORD
	s_mov_b64 s[4:5], 0
                                        ; implicit-def: $sgpr10
	s_and_saveexec_b64 s[8:9], s[6:7]
	s_xor_b64 s[6:7], exec, s[8:9]
	s_cbranch_execnz .LBB22_3453
; %bb.1405:
	s_or_saveexec_b64 s[6:7], s[6:7]
	v_mov_b32_e32 v11, s10
	s_xor_b64 exec, exec, s[6:7]
	s_cbranch_execnz .LBB22_3456
.LBB22_1406:
	s_or_b64 exec, exec, s[6:7]
	s_and_saveexec_b64 s[6:7], s[4:5]
	s_cbranch_execz .LBB22_1408
.LBB22_1407:
	v_bfe_u32 v11, v13, 24, 3
	v_ffbh_u32_e32 v16, v11
	v_min_u32_e32 v16, 32, v16
	v_lshrrev_b32_e32 v14, 27, v13
	v_subrev_u32_e32 v17, 28, v16
	v_and_b32_e32 v12, 0x80000000, v13
	v_and_b32_e32 v14, 15, v14
	v_bfe_u32 v15, v13, 27, 4
	v_lshlrev_b32_sdwa v13, v17, v13 dst_sel:DWORD dst_unused:UNUSED_PAD src0_sel:DWORD src1_sel:BYTE_3
	v_sub_u32_e32 v16, 29, v16
	v_and_b32_e32 v13, 7, v13
	v_cmp_eq_u16_e32 vcc, 0, v14
	v_cndmask_b32_e32 v11, v11, v13, vcc
	v_cndmask_b32_e32 v13, v15, v16, vcc
	v_mov_b32_e32 v14, 0x3b800000
	v_lshlrev_b32_e32 v11, 20, v11
	v_lshl_add_u32 v13, v13, 23, v14
	v_or3_b32 v11, v12, v13, v11
.LBB22_1408:
	s_or_b64 exec, exec, s[6:7]
	s_nop 0
	v_mfma_f32_16x16x4f32 a[0:3], v10, v11, a[0:3]
	s_movk_i32 s4, 0x7f
	v_cmp_gt_i16_sdwa s[6:7], v6, s4 src0_sel:BYTE_0 src1_sel:DWORD
	s_mov_b64 s[4:5], 0
                                        ; implicit-def: $sgpr10
	s_and_saveexec_b64 s[8:9], s[6:7]
	s_xor_b64 s[6:7], exec, s[8:9]
	s_cbranch_execnz .LBB22_3457
; %bb.1409:
	s_or_saveexec_b64 s[6:7], s[6:7]
	v_mov_b32_e32 v10, s10
	s_xor_b64 exec, exec, s[6:7]
	s_cbranch_execnz .LBB22_3460
.LBB22_1410:
	s_or_b64 exec, exec, s[6:7]
	s_and_saveexec_b64 s[6:7], s[4:5]
	s_cbranch_execz .LBB22_1412
.LBB22_1411:
	v_and_b32_e32 v10, 7, v6
	v_ffbh_u32_e32 v12, v10
	v_min_u32_e32 v12, 32, v12
	v_lshrrev_b16_e32 v11, 3, v6
	v_subrev_u32_e32 v13, 28, v12
	v_and_b32_e32 v11, 15, v11
	v_lshlrev_b32_e32 v13, v13, v6
	v_sub_u32_e32 v12, 29, v12
	v_and_b32_e32 v13, 7, v13
	v_cmp_eq_u16_e32 vcc, 0, v11
	v_cndmask_b32_e32 v10, v10, v13, vcc
	v_cndmask_b32_e32 v11, v11, v12, vcc
	v_lshlrev_b32_e32 v12, 24, v6
	v_mov_b32_e32 v13, 0x3b800000
	v_lshlrev_b32_e32 v10, 20, v10
	v_and_b32_e32 v12, 0x80000000, v12
	v_lshl_add_u32 v11, v11, 23, v13
	v_or3_b32 v10, v12, v11, v10
.LBB22_1412:
	s_or_b64 exec, exec, s[6:7]
	s_movk_i32 s4, 0x7f
	v_cmp_gt_i16_sdwa s[6:7], v2, s4 src0_sel:BYTE_0 src1_sel:DWORD
	s_mov_b64 s[4:5], 0
                                        ; implicit-def: $sgpr10
	s_and_saveexec_b64 s[8:9], s[6:7]
	s_xor_b64 s[6:7], exec, s[8:9]
	s_cbranch_execnz .LBB22_3461
; %bb.1413:
	s_or_saveexec_b64 s[6:7], s[6:7]
	v_mov_b32_e32 v11, s10
	s_xor_b64 exec, exec, s[6:7]
	s_cbranch_execnz .LBB22_3464
.LBB22_1414:
	s_or_b64 exec, exec, s[6:7]
	s_and_saveexec_b64 s[6:7], s[4:5]
	s_cbranch_execz .LBB22_1416
.LBB22_1415:
	v_and_b32_e32 v11, 7, v2
	v_ffbh_u32_e32 v13, v11
	v_min_u32_e32 v13, 32, v13
	v_lshrrev_b16_e32 v12, 3, v2
	v_subrev_u32_e32 v14, 28, v13
	v_and_b32_e32 v12, 15, v12
	v_lshlrev_b32_e32 v14, v14, v2
	v_sub_u32_e32 v13, 29, v13
	v_and_b32_e32 v14, 7, v14
	v_cmp_eq_u16_e32 vcc, 0, v12
	v_cndmask_b32_e32 v11, v11, v14, vcc
	v_cndmask_b32_e32 v12, v12, v13, vcc
	v_lshlrev_b32_e32 v13, 24, v2
	v_mov_b32_e32 v14, 0x3b800000
	v_lshlrev_b32_e32 v11, 20, v11
	v_and_b32_e32 v13, 0x80000000, v13
	v_lshl_add_u32 v12, v12, 23, v14
	v_or3_b32 v11, v13, v12, v11
.LBB22_1416:
	s_or_b64 exec, exec, s[6:7]
	s_nop 0
	v_mfma_f32_16x16x4f32 a[0:3], v10, v11, a[0:3]
	v_lshrrev_b32_e32 v11, 8, v6
	s_movk_i32 s4, 0x7f
	v_cmp_gt_i16_sdwa s[6:7], v11, s4 src0_sel:BYTE_0 src1_sel:DWORD
	s_mov_b64 s[4:5], 0
                                        ; implicit-def: $sgpr10
	s_and_saveexec_b64 s[8:9], s[6:7]
	s_xor_b64 s[6:7], exec, s[8:9]
	s_cbranch_execnz .LBB22_3465
; %bb.1417:
	s_or_saveexec_b64 s[6:7], s[6:7]
	v_mov_b32_e32 v10, s10
	s_xor_b64 exec, exec, s[6:7]
	s_cbranch_execnz .LBB22_3468
.LBB22_1418:
	s_or_b64 exec, exec, s[6:7]
	s_and_saveexec_b64 s[6:7], s[4:5]
	s_cbranch_execz .LBB22_1420
.LBB22_1419:
	v_bfe_u32 v10, v6, 8, 3
	v_ffbh_u32_e32 v13, v10
	v_min_u32_e32 v13, 32, v13
	v_lshrrev_b16_e32 v12, 3, v11
	v_subrev_u32_e32 v14, 28, v13
	v_and_b32_e32 v12, 15, v12
	v_lshlrev_b32_e32 v11, v14, v11
	v_sub_u32_e32 v13, 29, v13
	v_and_b32_e32 v11, 7, v11
	v_cmp_eq_u16_e32 vcc, 0, v12
	v_cndmask_b32_e32 v10, v10, v11, vcc
	v_cndmask_b32_e32 v11, v12, v13, vcc
	v_lshlrev_b32_e32 v12, 16, v6
	v_mov_b32_e32 v13, 0x3b800000
	v_lshlrev_b32_e32 v10, 20, v10
	v_and_b32_e32 v12, 0x80000000, v12
	v_lshl_add_u32 v11, v11, 23, v13
	v_or3_b32 v10, v12, v11, v10
.LBB22_1420:
	s_or_b64 exec, exec, s[6:7]
	v_lshrrev_b32_e32 v11, 8, v2
	s_movk_i32 s4, 0x7f
	v_cmp_gt_i16_sdwa s[6:7], v11, s4 src0_sel:BYTE_0 src1_sel:DWORD
	s_mov_b64 s[4:5], 0
                                        ; implicit-def: $sgpr10
	s_and_saveexec_b64 s[8:9], s[6:7]
	s_xor_b64 s[6:7], exec, s[8:9]
	s_cbranch_execnz .LBB22_3469
; %bb.1421:
	s_or_saveexec_b64 s[6:7], s[6:7]
	v_mov_b32_e32 v12, s10
	s_xor_b64 exec, exec, s[6:7]
	s_cbranch_execnz .LBB22_3472
.LBB22_1422:
	s_or_b64 exec, exec, s[6:7]
	s_and_saveexec_b64 s[6:7], s[4:5]
	s_cbranch_execz .LBB22_1424
.LBB22_1423:
	v_bfe_u32 v12, v2, 8, 3
	v_ffbh_u32_e32 v14, v12
	v_min_u32_e32 v14, 32, v14
	v_lshrrev_b16_e32 v13, 3, v11
	v_subrev_u32_e32 v15, 28, v14
	v_and_b32_e32 v13, 15, v13
	v_lshlrev_b32_e32 v11, v15, v11
	v_sub_u32_e32 v14, 29, v14
	v_and_b32_e32 v11, 7, v11
	v_cmp_eq_u16_e32 vcc, 0, v13
	v_cndmask_b32_e32 v11, v12, v11, vcc
	v_cndmask_b32_e32 v12, v13, v14, vcc
	v_lshlrev_b32_e32 v13, 16, v2
	v_mov_b32_e32 v14, 0x3b800000
	v_lshlrev_b32_e32 v11, 20, v11
	v_and_b32_e32 v13, 0x80000000, v13
	v_lshl_add_u32 v12, v12, 23, v14
	v_or3_b32 v12, v13, v12, v11
.LBB22_1424:
	s_or_b64 exec, exec, s[6:7]
	s_nop 0
	v_mfma_f32_16x16x4f32 a[0:3], v10, v12, a[0:3]
	s_movk_i32 s4, 0xff
	v_and_b32_sdwa v11, v6, s4 dst_sel:DWORD dst_unused:UNUSED_PAD src0_sel:WORD_1 src1_sel:DWORD
	s_movk_i32 s4, 0x7f
	v_cmp_lt_i16_e32 vcc, s4, v11
	s_mov_b64 s[4:5], 0
                                        ; implicit-def: $sgpr10
	s_and_saveexec_b64 s[6:7], vcc
	s_xor_b64 s[6:7], exec, s[6:7]
	s_cbranch_execnz .LBB22_3473
; %bb.1425:
	s_or_saveexec_b64 s[6:7], s[6:7]
	v_mov_b32_e32 v10, s10
	s_xor_b64 exec, exec, s[6:7]
	s_cbranch_execnz .LBB22_3476
.LBB22_1426:
	s_or_b64 exec, exec, s[6:7]
	s_and_saveexec_b64 s[6:7], s[4:5]
	s_cbranch_execz .LBB22_1428
.LBB22_1427:
	v_bfe_u32 v10, v6, 16, 3
	v_ffbh_u32_e32 v13, v10
	v_min_u32_e32 v13, 32, v13
	v_lshrrev_b32_e32 v11, 19, v6
	v_subrev_u32_e32 v14, 28, v13
	v_and_b32_e32 v11, 15, v11
	v_lshlrev_b32_sdwa v14, v14, v6 dst_sel:DWORD dst_unused:UNUSED_PAD src0_sel:DWORD src1_sel:WORD_1
	v_bfe_u32 v12, v6, 19, 4
	v_sub_u32_e32 v13, 29, v13
	v_and_b32_e32 v14, 7, v14
	v_cmp_eq_u16_e32 vcc, 0, v11
	v_cndmask_b32_e32 v10, v10, v14, vcc
	v_cndmask_b32_e32 v11, v12, v13, vcc
	v_lshlrev_b32_e32 v12, 8, v6
	v_mov_b32_e32 v13, 0x3b800000
	v_lshlrev_b32_e32 v10, 20, v10
	v_and_b32_e32 v12, 0x80000000, v12
	v_lshl_add_u32 v11, v11, 23, v13
	v_or3_b32 v10, v12, v11, v10
.LBB22_1428:
	s_or_b64 exec, exec, s[6:7]
	s_movk_i32 s4, 0xff
	v_and_b32_sdwa v11, v2, s4 dst_sel:DWORD dst_unused:UNUSED_PAD src0_sel:WORD_1 src1_sel:DWORD
	s_movk_i32 s4, 0x7f
	v_cmp_lt_i16_e32 vcc, s4, v11
	s_mov_b64 s[4:5], 0
                                        ; implicit-def: $sgpr10
	s_and_saveexec_b64 s[6:7], vcc
	s_xor_b64 s[6:7], exec, s[6:7]
	s_cbranch_execnz .LBB22_3477
; %bb.1429:
	s_or_saveexec_b64 s[6:7], s[6:7]
	v_mov_b32_e32 v12, s10
	s_xor_b64 exec, exec, s[6:7]
	s_cbranch_execnz .LBB22_3480
.LBB22_1430:
	s_or_b64 exec, exec, s[6:7]
	s_and_saveexec_b64 s[6:7], s[4:5]
	s_cbranch_execz .LBB22_1432
.LBB22_1431:
	v_bfe_u32 v11, v2, 16, 3
	v_ffbh_u32_e32 v14, v11
	v_min_u32_e32 v14, 32, v14
	v_lshrrev_b32_e32 v12, 19, v2
	v_subrev_u32_e32 v15, 28, v14
	v_and_b32_e32 v12, 15, v12
	v_lshlrev_b32_sdwa v15, v15, v2 dst_sel:DWORD dst_unused:UNUSED_PAD src0_sel:DWORD src1_sel:WORD_1
	v_bfe_u32 v13, v2, 19, 4
	v_sub_u32_e32 v14, 29, v14
	v_and_b32_e32 v15, 7, v15
	v_cmp_eq_u16_e32 vcc, 0, v12
	v_cndmask_b32_e32 v11, v11, v15, vcc
	v_cndmask_b32_e32 v12, v13, v14, vcc
	v_lshlrev_b32_e32 v13, 8, v2
	v_mov_b32_e32 v14, 0x3b800000
	v_lshlrev_b32_e32 v11, 20, v11
	v_and_b32_e32 v13, 0x80000000, v13
	v_lshl_add_u32 v12, v12, 23, v14
	v_or3_b32 v12, v13, v12, v11
.LBB22_1432:
	s_or_b64 exec, exec, s[6:7]
	s_nop 0
	v_mfma_f32_16x16x4f32 a[0:3], v10, v12, a[0:3]
	s_movk_i32 s4, 0x7f
	v_cmp_gt_i16_sdwa s[6:7], v6, s4 src0_sel:BYTE_3 src1_sel:DWORD
	s_mov_b64 s[4:5], 0
                                        ; implicit-def: $sgpr10
	s_and_saveexec_b64 s[8:9], s[6:7]
	s_xor_b64 s[6:7], exec, s[8:9]
	s_cbranch_execnz .LBB22_3481
; %bb.1433:
	s_or_saveexec_b64 s[6:7], s[6:7]
	v_mov_b32_e32 v10, s10
	s_xor_b64 exec, exec, s[6:7]
	s_cbranch_execnz .LBB22_3484
.LBB22_1434:
	s_or_b64 exec, exec, s[6:7]
	s_and_saveexec_b64 s[6:7], s[4:5]
	s_cbranch_execz .LBB22_1436
.LBB22_1435:
	v_bfe_u32 v10, v6, 24, 3
	v_ffbh_u32_e32 v14, v10
	v_min_u32_e32 v14, 32, v14
	v_lshrrev_b32_e32 v12, 27, v6
	v_subrev_u32_e32 v15, 28, v14
	v_and_b32_e32 v11, 0x80000000, v6
	v_and_b32_e32 v12, 15, v12
	v_bfe_u32 v13, v6, 27, 4
	v_lshlrev_b32_sdwa v6, v15, v6 dst_sel:DWORD dst_unused:UNUSED_PAD src0_sel:DWORD src1_sel:BYTE_3
	v_sub_u32_e32 v14, 29, v14
	v_and_b32_e32 v6, 7, v6
	v_cmp_eq_u16_e32 vcc, 0, v12
	v_cndmask_b32_e32 v6, v10, v6, vcc
	v_cndmask_b32_e32 v10, v13, v14, vcc
	v_mov_b32_e32 v12, 0x3b800000
	v_lshlrev_b32_e32 v6, 20, v6
	v_lshl_add_u32 v10, v10, 23, v12
	v_or3_b32 v10, v11, v10, v6
.LBB22_1436:
	s_or_b64 exec, exec, s[6:7]
	s_movk_i32 s4, 0x7f
	v_cmp_gt_i16_sdwa s[6:7], v2, s4 src0_sel:BYTE_3 src1_sel:DWORD
	s_mov_b64 s[4:5], 0
                                        ; implicit-def: $sgpr10
	s_and_saveexec_b64 s[8:9], s[6:7]
	s_xor_b64 s[6:7], exec, s[8:9]
	s_cbranch_execnz .LBB22_3485
; %bb.1437:
	s_or_saveexec_b64 s[6:7], s[6:7]
	v_mov_b32_e32 v6, s10
	s_xor_b64 exec, exec, s[6:7]
	s_cbranch_execnz .LBB22_3488
.LBB22_1438:
	s_or_b64 exec, exec, s[6:7]
	s_and_saveexec_b64 s[6:7], s[4:5]
	s_cbranch_execz .LBB22_1440
.LBB22_1439:
	v_bfe_u32 v6, v2, 24, 3
	v_ffbh_u32_e32 v14, v6
	v_min_u32_e32 v14, 32, v14
	v_lshrrev_b32_e32 v12, 27, v2
	v_subrev_u32_e32 v15, 28, v14
	v_and_b32_e32 v11, 0x80000000, v2
	v_and_b32_e32 v12, 15, v12
	v_bfe_u32 v13, v2, 27, 4
	v_lshlrev_b32_sdwa v2, v15, v2 dst_sel:DWORD dst_unused:UNUSED_PAD src0_sel:DWORD src1_sel:BYTE_3
	v_sub_u32_e32 v14, 29, v14
	v_and_b32_e32 v2, 7, v2
	v_cmp_eq_u16_e32 vcc, 0, v12
	v_cndmask_b32_e32 v2, v6, v2, vcc
	v_cndmask_b32_e32 v6, v13, v14, vcc
	v_mov_b32_e32 v12, 0x3b800000
	v_lshlrev_b32_e32 v2, 20, v2
	v_lshl_add_u32 v6, v6, 23, v12
	v_or3_b32 v6, v11, v6, v2
.LBB22_1440:
	s_or_b64 exec, exec, s[6:7]
	s_nop 0
	v_mfma_f32_16x16x4f32 a[0:3], v10, v6, a[0:3]
	s_movk_i32 s4, 0x7f
	v_cmp_gt_i16_sdwa s[6:7], v7, s4 src0_sel:BYTE_0 src1_sel:DWORD
	s_mov_b64 s[4:5], 0
                                        ; implicit-def: $sgpr10
	s_and_saveexec_b64 s[8:9], s[6:7]
	s_xor_b64 s[6:7], exec, s[8:9]
	s_cbranch_execnz .LBB22_3489
; %bb.1441:
	s_or_saveexec_b64 s[6:7], s[6:7]
	v_mov_b32_e32 v2, s10
	s_xor_b64 exec, exec, s[6:7]
	s_cbranch_execnz .LBB22_3492
.LBB22_1442:
	s_or_b64 exec, exec, s[6:7]
	s_and_saveexec_b64 s[6:7], s[4:5]
	s_cbranch_execz .LBB22_1444
.LBB22_1443:
	v_and_b32_e32 v2, 7, v7
	v_ffbh_u32_e32 v10, v2
	v_min_u32_e32 v10, 32, v10
	v_lshrrev_b16_e32 v6, 3, v7
	v_subrev_u32_e32 v11, 28, v10
	v_and_b32_e32 v6, 15, v6
	v_lshlrev_b32_e32 v11, v11, v7
	v_sub_u32_e32 v10, 29, v10
	v_and_b32_e32 v11, 7, v11
	v_cmp_eq_u16_e32 vcc, 0, v6
	v_cndmask_b32_e32 v2, v2, v11, vcc
	v_cndmask_b32_e32 v6, v6, v10, vcc
	v_lshlrev_b32_e32 v10, 24, v7
	v_mov_b32_e32 v11, 0x3b800000
	v_lshlrev_b32_e32 v2, 20, v2
	v_and_b32_e32 v10, 0x80000000, v10
	v_lshl_add_u32 v6, v6, 23, v11
	v_or3_b32 v2, v10, v6, v2
.LBB22_1444:
	s_or_b64 exec, exec, s[6:7]
	s_movk_i32 s4, 0x7f
	v_cmp_gt_i16_sdwa s[6:7], v3, s4 src0_sel:BYTE_0 src1_sel:DWORD
	s_mov_b64 s[4:5], 0
                                        ; implicit-def: $sgpr10
	s_and_saveexec_b64 s[8:9], s[6:7]
	s_xor_b64 s[6:7], exec, s[8:9]
	s_cbranch_execnz .LBB22_3493
; %bb.1445:
	s_or_saveexec_b64 s[6:7], s[6:7]
	v_mov_b32_e32 v6, s10
	s_xor_b64 exec, exec, s[6:7]
	s_cbranch_execnz .LBB22_3496
.LBB22_1446:
	s_or_b64 exec, exec, s[6:7]
	s_and_saveexec_b64 s[6:7], s[4:5]
	s_cbranch_execz .LBB22_1448
.LBB22_1447:
	v_and_b32_e32 v6, 7, v3
	v_ffbh_u32_e32 v11, v6
	v_min_u32_e32 v11, 32, v11
	v_lshrrev_b16_e32 v10, 3, v3
	v_subrev_u32_e32 v12, 28, v11
	v_and_b32_e32 v10, 15, v10
	v_lshlrev_b32_e32 v12, v12, v3
	v_sub_u32_e32 v11, 29, v11
	v_and_b32_e32 v12, 7, v12
	v_cmp_eq_u16_e32 vcc, 0, v10
	v_cndmask_b32_e32 v6, v6, v12, vcc
	v_cndmask_b32_e32 v10, v10, v11, vcc
	v_lshlrev_b32_e32 v11, 24, v3
	v_mov_b32_e32 v12, 0x3b800000
	v_lshlrev_b32_e32 v6, 20, v6
	v_and_b32_e32 v11, 0x80000000, v11
	v_lshl_add_u32 v10, v10, 23, v12
	v_or3_b32 v6, v11, v10, v6
.LBB22_1448:
	s_or_b64 exec, exec, s[6:7]
	s_nop 0
	v_mfma_f32_16x16x4f32 a[0:3], v2, v6, a[0:3]
	v_lshrrev_b32_e32 v6, 8, v7
	s_movk_i32 s4, 0x7f
	v_cmp_gt_i16_sdwa s[6:7], v6, s4 src0_sel:BYTE_0 src1_sel:DWORD
	s_mov_b64 s[4:5], 0
                                        ; implicit-def: $sgpr10
	s_and_saveexec_b64 s[8:9], s[6:7]
	s_xor_b64 s[6:7], exec, s[8:9]
	s_cbranch_execnz .LBB22_3497
; %bb.1449:
	s_or_saveexec_b64 s[6:7], s[6:7]
	v_mov_b32_e32 v2, s10
	s_xor_b64 exec, exec, s[6:7]
	s_cbranch_execnz .LBB22_3500
.LBB22_1450:
	s_or_b64 exec, exec, s[6:7]
	s_and_saveexec_b64 s[6:7], s[4:5]
	s_cbranch_execz .LBB22_1452
.LBB22_1451:
	v_bfe_u32 v2, v7, 8, 3
	v_ffbh_u32_e32 v11, v2
	v_min_u32_e32 v11, 32, v11
	v_lshrrev_b16_e32 v10, 3, v6
	v_subrev_u32_e32 v12, 28, v11
	v_and_b32_e32 v10, 15, v10
	v_lshlrev_b32_e32 v6, v12, v6
	v_sub_u32_e32 v11, 29, v11
	v_and_b32_e32 v6, 7, v6
	v_cmp_eq_u16_e32 vcc, 0, v10
	v_cndmask_b32_e32 v2, v2, v6, vcc
	v_cndmask_b32_e32 v6, v10, v11, vcc
	v_lshlrev_b32_e32 v10, 16, v7
	v_mov_b32_e32 v11, 0x3b800000
	v_lshlrev_b32_e32 v2, 20, v2
	v_and_b32_e32 v10, 0x80000000, v10
	v_lshl_add_u32 v6, v6, 23, v11
	v_or3_b32 v2, v10, v6, v2
.LBB22_1452:
	s_or_b64 exec, exec, s[6:7]
	v_lshrrev_b32_e32 v6, 8, v3
	s_movk_i32 s4, 0x7f
	v_cmp_gt_i16_sdwa s[6:7], v6, s4 src0_sel:BYTE_0 src1_sel:DWORD
	s_mov_b64 s[4:5], 0
                                        ; implicit-def: $sgpr10
	s_and_saveexec_b64 s[8:9], s[6:7]
	s_xor_b64 s[6:7], exec, s[8:9]
	s_cbranch_execnz .LBB22_3501
; %bb.1453:
	s_or_saveexec_b64 s[6:7], s[6:7]
	v_mov_b32_e32 v10, s10
	s_xor_b64 exec, exec, s[6:7]
	s_cbranch_execnz .LBB22_3504
.LBB22_1454:
	s_or_b64 exec, exec, s[6:7]
	s_and_saveexec_b64 s[6:7], s[4:5]
	s_cbranch_execz .LBB22_1456
.LBB22_1455:
	v_bfe_u32 v10, v3, 8, 3
	v_ffbh_u32_e32 v12, v10
	v_min_u32_e32 v12, 32, v12
	v_lshrrev_b16_e32 v11, 3, v6
	v_subrev_u32_e32 v13, 28, v12
	v_and_b32_e32 v11, 15, v11
	v_lshlrev_b32_e32 v6, v13, v6
	v_sub_u32_e32 v12, 29, v12
	v_and_b32_e32 v6, 7, v6
	v_cmp_eq_u16_e32 vcc, 0, v11
	v_cndmask_b32_e32 v6, v10, v6, vcc
	v_cndmask_b32_e32 v10, v11, v12, vcc
	v_lshlrev_b32_e32 v11, 16, v3
	v_mov_b32_e32 v12, 0x3b800000
	v_lshlrev_b32_e32 v6, 20, v6
	v_and_b32_e32 v11, 0x80000000, v11
	v_lshl_add_u32 v10, v10, 23, v12
	v_or3_b32 v10, v11, v10, v6
.LBB22_1456:
	s_or_b64 exec, exec, s[6:7]
	s_nop 0
	v_mfma_f32_16x16x4f32 a[0:3], v2, v10, a[0:3]
	s_movk_i32 s4, 0xff
	v_and_b32_sdwa v6, v7, s4 dst_sel:DWORD dst_unused:UNUSED_PAD src0_sel:WORD_1 src1_sel:DWORD
	s_movk_i32 s4, 0x7f
	v_cmp_lt_i16_e32 vcc, s4, v6
	s_mov_b64 s[4:5], 0
                                        ; implicit-def: $sgpr10
	s_and_saveexec_b64 s[6:7], vcc
	s_xor_b64 s[6:7], exec, s[6:7]
	s_cbranch_execnz .LBB22_3505
; %bb.1457:
	s_or_saveexec_b64 s[6:7], s[6:7]
	v_mov_b32_e32 v2, s10
	s_xor_b64 exec, exec, s[6:7]
	s_cbranch_execnz .LBB22_3508
.LBB22_1458:
	s_or_b64 exec, exec, s[6:7]
	s_and_saveexec_b64 s[6:7], s[4:5]
	s_cbranch_execz .LBB22_1460
.LBB22_1459:
	v_bfe_u32 v2, v7, 16, 3
	v_ffbh_u32_e32 v11, v2
	v_min_u32_e32 v11, 32, v11
	v_lshrrev_b32_e32 v6, 19, v7
	v_subrev_u32_e32 v12, 28, v11
	v_and_b32_e32 v6, 15, v6
	v_lshlrev_b32_sdwa v12, v12, v7 dst_sel:DWORD dst_unused:UNUSED_PAD src0_sel:DWORD src1_sel:WORD_1
	v_bfe_u32 v10, v7, 19, 4
	v_sub_u32_e32 v11, 29, v11
	v_and_b32_e32 v12, 7, v12
	v_cmp_eq_u16_e32 vcc, 0, v6
	v_cndmask_b32_e32 v2, v2, v12, vcc
	v_cndmask_b32_e32 v6, v10, v11, vcc
	v_lshlrev_b32_e32 v10, 8, v7
	v_mov_b32_e32 v11, 0x3b800000
	v_lshlrev_b32_e32 v2, 20, v2
	v_and_b32_e32 v10, 0x80000000, v10
	v_lshl_add_u32 v6, v6, 23, v11
	v_or3_b32 v2, v10, v6, v2
.LBB22_1460:
	s_or_b64 exec, exec, s[6:7]
	s_movk_i32 s4, 0xff
	v_and_b32_sdwa v6, v3, s4 dst_sel:DWORD dst_unused:UNUSED_PAD src0_sel:WORD_1 src1_sel:DWORD
	s_movk_i32 s4, 0x7f
	v_cmp_lt_i16_e32 vcc, s4, v6
	s_mov_b64 s[4:5], 0
                                        ; implicit-def: $sgpr10
	s_and_saveexec_b64 s[6:7], vcc
	s_xor_b64 s[6:7], exec, s[6:7]
	s_cbranch_execnz .LBB22_3509
; %bb.1461:
	s_or_saveexec_b64 s[6:7], s[6:7]
	v_mov_b32_e32 v10, s10
	s_xor_b64 exec, exec, s[6:7]
	s_cbranch_execnz .LBB22_3512
.LBB22_1462:
	s_or_b64 exec, exec, s[6:7]
	s_and_saveexec_b64 s[6:7], s[4:5]
	s_cbranch_execz .LBB22_1464
.LBB22_1463:
	v_bfe_u32 v6, v3, 16, 3
	v_ffbh_u32_e32 v12, v6
	v_min_u32_e32 v12, 32, v12
	v_lshrrev_b32_e32 v10, 19, v3
	v_subrev_u32_e32 v13, 28, v12
	v_and_b32_e32 v10, 15, v10
	v_lshlrev_b32_sdwa v13, v13, v3 dst_sel:DWORD dst_unused:UNUSED_PAD src0_sel:DWORD src1_sel:WORD_1
	v_bfe_u32 v11, v3, 19, 4
	v_sub_u32_e32 v12, 29, v12
	v_and_b32_e32 v13, 7, v13
	v_cmp_eq_u16_e32 vcc, 0, v10
	v_cndmask_b32_e32 v6, v6, v13, vcc
	v_cndmask_b32_e32 v10, v11, v12, vcc
	v_lshlrev_b32_e32 v11, 8, v3
	v_mov_b32_e32 v12, 0x3b800000
	v_lshlrev_b32_e32 v6, 20, v6
	v_and_b32_e32 v11, 0x80000000, v11
	v_lshl_add_u32 v10, v10, 23, v12
	v_or3_b32 v10, v11, v10, v6
.LBB22_1464:
	s_or_b64 exec, exec, s[6:7]
	s_nop 0
	v_mfma_f32_16x16x4f32 a[0:3], v2, v10, a[0:3]
	s_movk_i32 s4, 0x7f
	v_cmp_gt_i16_sdwa s[6:7], v7, s4 src0_sel:BYTE_3 src1_sel:DWORD
	s_mov_b64 s[4:5], 0
                                        ; implicit-def: $sgpr10
	s_and_saveexec_b64 s[8:9], s[6:7]
	s_xor_b64 s[6:7], exec, s[8:9]
	s_cbranch_execnz .LBB22_3513
; %bb.1465:
	s_or_saveexec_b64 s[6:7], s[6:7]
	v_mov_b32_e32 v2, s10
	s_xor_b64 exec, exec, s[6:7]
	s_cbranch_execnz .LBB22_3516
.LBB22_1466:
	s_or_b64 exec, exec, s[6:7]
	s_and_saveexec_b64 s[6:7], s[4:5]
	s_cbranch_execz .LBB22_1468
.LBB22_1467:
	v_bfe_u32 v2, v7, 24, 3
	v_ffbh_u32_e32 v12, v2
	v_min_u32_e32 v12, 32, v12
	v_lshrrev_b32_e32 v10, 27, v7
	v_subrev_u32_e32 v13, 28, v12
	v_and_b32_e32 v6, 0x80000000, v7
	v_and_b32_e32 v10, 15, v10
	v_bfe_u32 v11, v7, 27, 4
	v_lshlrev_b32_sdwa v7, v13, v7 dst_sel:DWORD dst_unused:UNUSED_PAD src0_sel:DWORD src1_sel:BYTE_3
	v_sub_u32_e32 v12, 29, v12
	v_and_b32_e32 v7, 7, v7
	v_cmp_eq_u16_e32 vcc, 0, v10
	v_cndmask_b32_e32 v2, v2, v7, vcc
	v_cndmask_b32_e32 v7, v11, v12, vcc
	v_mov_b32_e32 v10, 0x3b800000
	v_lshlrev_b32_e32 v2, 20, v2
	v_lshl_add_u32 v7, v7, 23, v10
	v_or3_b32 v2, v6, v7, v2
.LBB22_1468:
	s_or_b64 exec, exec, s[6:7]
	s_movk_i32 s4, 0x7f
	v_cmp_gt_i16_sdwa s[6:7], v3, s4 src0_sel:BYTE_3 src1_sel:DWORD
	s_mov_b64 s[4:5], 0
                                        ; implicit-def: $sgpr10
	s_and_saveexec_b64 s[8:9], s[6:7]
	s_xor_b64 s[6:7], exec, s[8:9]
	s_cbranch_execnz .LBB22_3517
; %bb.1469:
	s_or_saveexec_b64 s[6:7], s[6:7]
	v_mov_b32_e32 v6, s10
	s_xor_b64 exec, exec, s[6:7]
	s_cbranch_execnz .LBB22_3520
.LBB22_1470:
	s_or_b64 exec, exec, s[6:7]
	s_and_saveexec_b64 s[6:7], s[4:5]
	s_cbranch_execz .LBB22_1472
.LBB22_1471:
	v_bfe_u32 v6, v3, 24, 3
	v_ffbh_u32_e32 v12, v6
	v_min_u32_e32 v12, 32, v12
	v_lshrrev_b32_e32 v10, 27, v3
	v_subrev_u32_e32 v13, 28, v12
	v_and_b32_e32 v7, 0x80000000, v3
	v_and_b32_e32 v10, 15, v10
	v_bfe_u32 v11, v3, 27, 4
	v_lshlrev_b32_sdwa v3, v13, v3 dst_sel:DWORD dst_unused:UNUSED_PAD src0_sel:DWORD src1_sel:BYTE_3
	v_sub_u32_e32 v12, 29, v12
	v_and_b32_e32 v3, 7, v3
	v_cmp_eq_u16_e32 vcc, 0, v10
	v_cndmask_b32_e32 v3, v6, v3, vcc
	v_cndmask_b32_e32 v6, v11, v12, vcc
	v_mov_b32_e32 v10, 0x3b800000
	v_lshlrev_b32_e32 v3, 20, v3
	v_lshl_add_u32 v6, v6, 23, v10
	v_or3_b32 v6, v7, v6, v3
.LBB22_1472:
	s_or_b64 exec, exec, s[6:7]
	s_nop 0
	v_mfma_f32_16x16x4f32 a[0:3], v2, v6, a[0:3]
	s_movk_i32 s4, 0x7f
	v_cmp_gt_i16_sdwa s[6:7], v8, s4 src0_sel:BYTE_0 src1_sel:DWORD
	s_mov_b64 s[4:5], 0
                                        ; implicit-def: $sgpr10
	s_and_saveexec_b64 s[8:9], s[6:7]
	s_xor_b64 s[6:7], exec, s[8:9]
	s_cbranch_execnz .LBB22_3521
; %bb.1473:
	s_or_saveexec_b64 s[6:7], s[6:7]
	v_mov_b32_e32 v2, s10
	s_xor_b64 exec, exec, s[6:7]
	s_cbranch_execnz .LBB22_3524
.LBB22_1474:
	s_or_b64 exec, exec, s[6:7]
	s_and_saveexec_b64 s[6:7], s[4:5]
	s_cbranch_execz .LBB22_1476
.LBB22_1475:
	v_and_b32_e32 v2, 7, v8
	v_ffbh_u32_e32 v6, v2
	v_min_u32_e32 v6, 32, v6
	v_lshrrev_b16_e32 v3, 3, v8
	v_subrev_u32_e32 v7, 28, v6
	v_and_b32_e32 v3, 15, v3
	v_lshlrev_b32_e32 v7, v7, v8
	v_sub_u32_e32 v6, 29, v6
	v_and_b32_e32 v7, 7, v7
	v_cmp_eq_u16_e32 vcc, 0, v3
	v_cndmask_b32_e32 v2, v2, v7, vcc
	v_cndmask_b32_e32 v3, v3, v6, vcc
	v_lshlrev_b32_e32 v6, 24, v8
	v_mov_b32_e32 v7, 0x3b800000
	v_lshlrev_b32_e32 v2, 20, v2
	v_and_b32_e32 v6, 0x80000000, v6
	v_lshl_add_u32 v3, v3, 23, v7
	v_or3_b32 v2, v6, v3, v2
.LBB22_1476:
	s_or_b64 exec, exec, s[6:7]
	s_movk_i32 s4, 0x7f
	v_cmp_gt_i16_sdwa s[6:7], v4, s4 src0_sel:BYTE_0 src1_sel:DWORD
	s_mov_b64 s[4:5], 0
                                        ; implicit-def: $sgpr10
	s_and_saveexec_b64 s[8:9], s[6:7]
	s_xor_b64 s[6:7], exec, s[8:9]
	s_cbranch_execnz .LBB22_3525
; %bb.1477:
	s_or_saveexec_b64 s[6:7], s[6:7]
	v_mov_b32_e32 v3, s10
	s_xor_b64 exec, exec, s[6:7]
	s_cbranch_execnz .LBB22_3528
.LBB22_1478:
	s_or_b64 exec, exec, s[6:7]
	s_and_saveexec_b64 s[6:7], s[4:5]
	s_cbranch_execz .LBB22_1480
.LBB22_1479:
	v_and_b32_e32 v3, 7, v4
	v_ffbh_u32_e32 v7, v3
	v_min_u32_e32 v7, 32, v7
	v_lshrrev_b16_e32 v6, 3, v4
	v_subrev_u32_e32 v10, 28, v7
	v_and_b32_e32 v6, 15, v6
	v_lshlrev_b32_e32 v10, v10, v4
	v_sub_u32_e32 v7, 29, v7
	v_and_b32_e32 v10, 7, v10
	v_cmp_eq_u16_e32 vcc, 0, v6
	v_cndmask_b32_e32 v3, v3, v10, vcc
	v_cndmask_b32_e32 v6, v6, v7, vcc
	v_lshlrev_b32_e32 v7, 24, v4
	v_mov_b32_e32 v10, 0x3b800000
	v_lshlrev_b32_e32 v3, 20, v3
	v_and_b32_e32 v7, 0x80000000, v7
	v_lshl_add_u32 v6, v6, 23, v10
	v_or3_b32 v3, v7, v6, v3
.LBB22_1480:
	s_or_b64 exec, exec, s[6:7]
	s_nop 0
	v_mfma_f32_16x16x4f32 a[0:3], v2, v3, a[0:3]
	v_lshrrev_b32_e32 v3, 8, v8
	s_movk_i32 s4, 0x7f
	v_cmp_gt_i16_sdwa s[6:7], v3, s4 src0_sel:BYTE_0 src1_sel:DWORD
	s_mov_b64 s[4:5], 0
                                        ; implicit-def: $sgpr10
	s_and_saveexec_b64 s[8:9], s[6:7]
	s_xor_b64 s[6:7], exec, s[8:9]
	s_cbranch_execnz .LBB22_3529
; %bb.1481:
	s_or_saveexec_b64 s[6:7], s[6:7]
	v_mov_b32_e32 v2, s10
	s_xor_b64 exec, exec, s[6:7]
	s_cbranch_execnz .LBB22_3532
.LBB22_1482:
	s_or_b64 exec, exec, s[6:7]
	s_and_saveexec_b64 s[6:7], s[4:5]
	s_cbranch_execz .LBB22_1484
.LBB22_1483:
	v_bfe_u32 v2, v8, 8, 3
	v_ffbh_u32_e32 v7, v2
	v_min_u32_e32 v7, 32, v7
	v_lshrrev_b16_e32 v6, 3, v3
	v_subrev_u32_e32 v10, 28, v7
	v_and_b32_e32 v6, 15, v6
	v_lshlrev_b32_e32 v3, v10, v3
	v_sub_u32_e32 v7, 29, v7
	v_and_b32_e32 v3, 7, v3
	v_cmp_eq_u16_e32 vcc, 0, v6
	v_cndmask_b32_e32 v2, v2, v3, vcc
	v_cndmask_b32_e32 v3, v6, v7, vcc
	v_lshlrev_b32_e32 v6, 16, v8
	v_mov_b32_e32 v7, 0x3b800000
	v_lshlrev_b32_e32 v2, 20, v2
	v_and_b32_e32 v6, 0x80000000, v6
	v_lshl_add_u32 v3, v3, 23, v7
	v_or3_b32 v2, v6, v3, v2
.LBB22_1484:
	s_or_b64 exec, exec, s[6:7]
	v_lshrrev_b32_e32 v3, 8, v4
	s_movk_i32 s4, 0x7f
	v_cmp_gt_i16_sdwa s[6:7], v3, s4 src0_sel:BYTE_0 src1_sel:DWORD
	s_mov_b64 s[4:5], 0
                                        ; implicit-def: $sgpr10
	s_and_saveexec_b64 s[8:9], s[6:7]
	s_xor_b64 s[6:7], exec, s[8:9]
	s_cbranch_execnz .LBB22_3533
; %bb.1485:
	s_or_saveexec_b64 s[6:7], s[6:7]
	v_mov_b32_e32 v6, s10
	s_xor_b64 exec, exec, s[6:7]
	s_cbranch_execnz .LBB22_3536
.LBB22_1486:
	s_or_b64 exec, exec, s[6:7]
	s_and_saveexec_b64 s[6:7], s[4:5]
	s_cbranch_execz .LBB22_1488
.LBB22_1487:
	v_bfe_u32 v6, v4, 8, 3
	v_ffbh_u32_e32 v10, v6
	v_min_u32_e32 v10, 32, v10
	v_lshrrev_b16_e32 v7, 3, v3
	v_subrev_u32_e32 v11, 28, v10
	v_and_b32_e32 v7, 15, v7
	v_lshlrev_b32_e32 v3, v11, v3
	v_sub_u32_e32 v10, 29, v10
	v_and_b32_e32 v3, 7, v3
	v_cmp_eq_u16_e32 vcc, 0, v7
	v_cndmask_b32_e32 v3, v6, v3, vcc
	v_cndmask_b32_e32 v6, v7, v10, vcc
	v_lshlrev_b32_e32 v7, 16, v4
	v_mov_b32_e32 v10, 0x3b800000
	v_lshlrev_b32_e32 v3, 20, v3
	v_and_b32_e32 v7, 0x80000000, v7
	v_lshl_add_u32 v6, v6, 23, v10
	v_or3_b32 v6, v7, v6, v3
.LBB22_1488:
	s_or_b64 exec, exec, s[6:7]
	s_nop 0
	v_mfma_f32_16x16x4f32 a[0:3], v2, v6, a[0:3]
	s_movk_i32 s4, 0xff
	v_and_b32_sdwa v3, v8, s4 dst_sel:DWORD dst_unused:UNUSED_PAD src0_sel:WORD_1 src1_sel:DWORD
	s_movk_i32 s4, 0x7f
	v_cmp_lt_i16_e32 vcc, s4, v3
	s_mov_b64 s[4:5], 0
                                        ; implicit-def: $sgpr10
	s_and_saveexec_b64 s[6:7], vcc
	s_xor_b64 s[6:7], exec, s[6:7]
	s_cbranch_execnz .LBB22_3537
; %bb.1489:
	s_or_saveexec_b64 s[6:7], s[6:7]
	v_mov_b32_e32 v2, s10
	s_xor_b64 exec, exec, s[6:7]
	s_cbranch_execnz .LBB22_3540
.LBB22_1490:
	s_or_b64 exec, exec, s[6:7]
	s_and_saveexec_b64 s[6:7], s[4:5]
	s_cbranch_execz .LBB22_1492
.LBB22_1491:
	v_bfe_u32 v2, v8, 16, 3
	v_ffbh_u32_e32 v7, v2
	v_min_u32_e32 v7, 32, v7
	v_lshrrev_b32_e32 v3, 19, v8
	v_subrev_u32_e32 v10, 28, v7
	v_and_b32_e32 v3, 15, v3
	v_lshlrev_b32_sdwa v10, v10, v8 dst_sel:DWORD dst_unused:UNUSED_PAD src0_sel:DWORD src1_sel:WORD_1
	v_bfe_u32 v6, v8, 19, 4
	v_sub_u32_e32 v7, 29, v7
	v_and_b32_e32 v10, 7, v10
	v_cmp_eq_u16_e32 vcc, 0, v3
	v_cndmask_b32_e32 v2, v2, v10, vcc
	v_cndmask_b32_e32 v3, v6, v7, vcc
	v_lshlrev_b32_e32 v6, 8, v8
	v_mov_b32_e32 v7, 0x3b800000
	v_lshlrev_b32_e32 v2, 20, v2
	v_and_b32_e32 v6, 0x80000000, v6
	v_lshl_add_u32 v3, v3, 23, v7
	v_or3_b32 v2, v6, v3, v2
.LBB22_1492:
	s_or_b64 exec, exec, s[6:7]
	s_movk_i32 s4, 0xff
	v_and_b32_sdwa v3, v4, s4 dst_sel:DWORD dst_unused:UNUSED_PAD src0_sel:WORD_1 src1_sel:DWORD
	s_movk_i32 s4, 0x7f
	v_cmp_lt_i16_e32 vcc, s4, v3
	s_mov_b64 s[4:5], 0
                                        ; implicit-def: $sgpr10
	s_and_saveexec_b64 s[6:7], vcc
	s_xor_b64 s[6:7], exec, s[6:7]
	s_cbranch_execnz .LBB22_3541
; %bb.1493:
	s_or_saveexec_b64 s[6:7], s[6:7]
	v_mov_b32_e32 v6, s10
	s_xor_b64 exec, exec, s[6:7]
	s_cbranch_execnz .LBB22_3544
.LBB22_1494:
	s_or_b64 exec, exec, s[6:7]
	s_and_saveexec_b64 s[6:7], s[4:5]
	s_cbranch_execz .LBB22_1496
.LBB22_1495:
	v_bfe_u32 v3, v4, 16, 3
	v_ffbh_u32_e32 v10, v3
	v_min_u32_e32 v10, 32, v10
	v_lshrrev_b32_e32 v6, 19, v4
	v_subrev_u32_e32 v11, 28, v10
	v_and_b32_e32 v6, 15, v6
	v_lshlrev_b32_sdwa v11, v11, v4 dst_sel:DWORD dst_unused:UNUSED_PAD src0_sel:DWORD src1_sel:WORD_1
	v_bfe_u32 v7, v4, 19, 4
	v_sub_u32_e32 v10, 29, v10
	v_and_b32_e32 v11, 7, v11
	v_cmp_eq_u16_e32 vcc, 0, v6
	v_cndmask_b32_e32 v3, v3, v11, vcc
	v_cndmask_b32_e32 v6, v7, v10, vcc
	v_lshlrev_b32_e32 v7, 8, v4
	v_mov_b32_e32 v10, 0x3b800000
	v_lshlrev_b32_e32 v3, 20, v3
	v_and_b32_e32 v7, 0x80000000, v7
	v_lshl_add_u32 v6, v6, 23, v10
	v_or3_b32 v6, v7, v6, v3
.LBB22_1496:
	s_or_b64 exec, exec, s[6:7]
	s_nop 0
	v_mfma_f32_16x16x4f32 a[0:3], v2, v6, a[0:3]
	s_movk_i32 s4, 0x7f
	v_cmp_gt_i16_sdwa s[6:7], v8, s4 src0_sel:BYTE_3 src1_sel:DWORD
	s_mov_b64 s[4:5], 0
                                        ; implicit-def: $sgpr10
	s_and_saveexec_b64 s[8:9], s[6:7]
	s_xor_b64 s[6:7], exec, s[8:9]
	s_cbranch_execnz .LBB22_3545
; %bb.1497:
	s_or_saveexec_b64 s[6:7], s[6:7]
	v_mov_b32_e32 v2, s10
	s_xor_b64 exec, exec, s[6:7]
	s_cbranch_execnz .LBB22_3548
.LBB22_1498:
	s_or_b64 exec, exec, s[6:7]
	s_and_saveexec_b64 s[6:7], s[4:5]
	s_cbranch_execz .LBB22_1500
.LBB22_1499:
	v_bfe_u32 v2, v8, 24, 3
	v_ffbh_u32_e32 v10, v2
	v_min_u32_e32 v10, 32, v10
	v_lshrrev_b32_e32 v6, 27, v8
	v_subrev_u32_e32 v11, 28, v10
	v_and_b32_e32 v3, 0x80000000, v8
	v_and_b32_e32 v6, 15, v6
	v_bfe_u32 v7, v8, 27, 4
	v_lshlrev_b32_sdwa v8, v11, v8 dst_sel:DWORD dst_unused:UNUSED_PAD src0_sel:DWORD src1_sel:BYTE_3
	v_sub_u32_e32 v10, 29, v10
	v_and_b32_e32 v8, 7, v8
	v_cmp_eq_u16_e32 vcc, 0, v6
	v_cndmask_b32_e32 v2, v2, v8, vcc
	v_cndmask_b32_e32 v6, v7, v10, vcc
	v_mov_b32_e32 v7, 0x3b800000
	v_lshlrev_b32_e32 v2, 20, v2
	v_lshl_add_u32 v6, v6, 23, v7
	v_or3_b32 v2, v3, v6, v2
.LBB22_1500:
	s_or_b64 exec, exec, s[6:7]
	s_movk_i32 s4, 0x7f
	v_cmp_gt_i16_sdwa s[6:7], v4, s4 src0_sel:BYTE_3 src1_sel:DWORD
	s_mov_b64 s[4:5], 0
                                        ; implicit-def: $sgpr10
	s_and_saveexec_b64 s[8:9], s[6:7]
	s_xor_b64 s[6:7], exec, s[8:9]
	s_cbranch_execnz .LBB22_3549
; %bb.1501:
	s_or_saveexec_b64 s[6:7], s[6:7]
	v_mov_b32_e32 v3, s10
	s_xor_b64 exec, exec, s[6:7]
	s_cbranch_execnz .LBB22_3552
.LBB22_1502:
	s_or_b64 exec, exec, s[6:7]
	s_and_saveexec_b64 s[6:7], s[4:5]
	s_cbranch_execz .LBB22_1504
.LBB22_1503:
	v_bfe_u32 v3, v4, 24, 3
	v_ffbh_u32_e32 v10, v3
	v_min_u32_e32 v10, 32, v10
	v_lshrrev_b32_e32 v7, 27, v4
	v_subrev_u32_e32 v11, 28, v10
	v_and_b32_e32 v6, 0x80000000, v4
	v_and_b32_e32 v7, 15, v7
	v_bfe_u32 v8, v4, 27, 4
	v_lshlrev_b32_sdwa v4, v11, v4 dst_sel:DWORD dst_unused:UNUSED_PAD src0_sel:DWORD src1_sel:BYTE_3
	v_sub_u32_e32 v10, 29, v10
	v_and_b32_e32 v4, 7, v4
	v_cmp_eq_u16_e32 vcc, 0, v7
	v_cndmask_b32_e32 v3, v3, v4, vcc
	v_cndmask_b32_e32 v4, v8, v10, vcc
	v_mov_b32_e32 v7, 0x3b800000
	v_lshlrev_b32_e32 v3, 20, v3
	v_lshl_add_u32 v4, v4, 23, v7
	v_or3_b32 v3, v6, v4, v3
.LBB22_1504:
	s_or_b64 exec, exec, s[6:7]
	s_nop 0
	v_mfma_f32_16x16x4f32 a[0:3], v2, v3, a[0:3]
	s_movk_i32 s4, 0x7f
	v_cmp_gt_i16_sdwa s[6:7], v9, s4 src0_sel:BYTE_0 src1_sel:DWORD
	s_mov_b64 s[4:5], 0
                                        ; implicit-def: $sgpr10
	s_and_saveexec_b64 s[8:9], s[6:7]
	s_xor_b64 s[6:7], exec, s[8:9]
	s_cbranch_execnz .LBB22_3553
; %bb.1505:
	s_or_saveexec_b64 s[6:7], s[6:7]
	v_mov_b32_e32 v2, s10
	s_xor_b64 exec, exec, s[6:7]
	s_cbranch_execnz .LBB22_3556
.LBB22_1506:
	s_or_b64 exec, exec, s[6:7]
	s_and_saveexec_b64 s[6:7], s[4:5]
	s_cbranch_execz .LBB22_1508
.LBB22_1507:
	v_mov_b32_e32 v2, 8
	v_and_b32_e32 v3, 7, v9
	v_lshrrev_b32_sdwa v2, v2, v9 dst_sel:BYTE_1 dst_unused:UNUSED_PAD src0_sel:DWORD src1_sel:DWORD
	v_ffbh_u32_e32 v4, v3
	v_or_b32_sdwa v2, v9, v2 dst_sel:DWORD dst_unused:UNUSED_PAD src0_sel:BYTE_0 src1_sel:DWORD
	v_min_u32_e32 v4, 32, v4
	v_lshrrev_b16_e32 v2, 3, v2
	v_subrev_u32_e32 v6, 28, v4
	v_and_b32_e32 v2, 15, v2
	v_lshlrev_b32_e32 v6, v6, v9
	v_sub_u32_e32 v4, 29, v4
	v_and_b32_e32 v6, 7, v6
	v_cmp_eq_u16_e32 vcc, 0, v2
	v_cndmask_b32_e32 v3, v3, v6, vcc
	v_cndmask_b32_e32 v2, v2, v4, vcc
	v_lshlrev_b32_e32 v4, 24, v9
	v_mov_b32_e32 v6, 0x3b800000
	v_lshlrev_b32_e32 v3, 20, v3
	v_and_b32_e32 v4, 0x80000000, v4
	v_lshl_add_u32 v2, v2, 23, v6
	v_or3_b32 v2, v4, v2, v3
.LBB22_1508:
	s_or_b64 exec, exec, s[6:7]
	s_movk_i32 s4, 0x7f
	v_cmp_gt_i16_sdwa s[6:7], v5, s4 src0_sel:BYTE_0 src1_sel:DWORD
	s_mov_b64 s[4:5], 0
                                        ; implicit-def: $sgpr10
	s_and_saveexec_b64 s[8:9], s[6:7]
	s_xor_b64 s[6:7], exec, s[8:9]
	s_cbranch_execnz .LBB22_3557
; %bb.1509:
	s_or_saveexec_b64 s[6:7], s[6:7]
	v_mov_b32_e32 v3, s10
	s_xor_b64 exec, exec, s[6:7]
	s_cbranch_execnz .LBB22_3560
.LBB22_1510:
	s_or_b64 exec, exec, s[6:7]
	s_and_saveexec_b64 s[6:7], s[4:5]
	s_cbranch_execz .LBB22_1512
.LBB22_1511:
	v_mov_b32_e32 v3, 8
	v_and_b32_e32 v4, 7, v5
	v_lshrrev_b32_sdwa v3, v3, v5 dst_sel:BYTE_1 dst_unused:UNUSED_PAD src0_sel:DWORD src1_sel:DWORD
	v_ffbh_u32_e32 v6, v4
	v_or_b32_sdwa v3, v5, v3 dst_sel:DWORD dst_unused:UNUSED_PAD src0_sel:BYTE_0 src1_sel:DWORD
	v_min_u32_e32 v6, 32, v6
	v_lshrrev_b16_e32 v3, 3, v3
	v_subrev_u32_e32 v7, 28, v6
	v_and_b32_e32 v3, 15, v3
	v_lshlrev_b32_e32 v7, v7, v5
	v_sub_u32_e32 v6, 29, v6
	v_and_b32_e32 v7, 7, v7
	v_cmp_eq_u16_e32 vcc, 0, v3
	v_cndmask_b32_e32 v4, v4, v7, vcc
	v_cndmask_b32_e32 v3, v3, v6, vcc
	v_lshlrev_b32_e32 v6, 24, v5
	v_mov_b32_e32 v7, 0x3b800000
	v_lshlrev_b32_e32 v4, 20, v4
	v_and_b32_e32 v6, 0x80000000, v6
	v_lshl_add_u32 v3, v3, 23, v7
	v_or3_b32 v3, v6, v3, v4
.LBB22_1512:
	s_or_b64 exec, exec, s[6:7]
	s_nop 0
	v_mfma_f32_16x16x4f32 a[0:3], v2, v3, a[0:3]
	v_lshrrev_b32_e32 v3, 8, v9
	s_movk_i32 s4, 0x7f
	v_cmp_gt_i16_sdwa s[6:7], v3, s4 src0_sel:BYTE_0 src1_sel:DWORD
	s_mov_b64 s[4:5], 0
                                        ; implicit-def: $sgpr10
	s_and_saveexec_b64 s[8:9], s[6:7]
	s_xor_b64 s[6:7], exec, s[8:9]
	s_cbranch_execnz .LBB22_3561
; %bb.1513:
	s_or_saveexec_b64 s[6:7], s[6:7]
	v_mov_b32_e32 v2, s10
	s_xor_b64 exec, exec, s[6:7]
	s_cbranch_execnz .LBB22_3564
.LBB22_1514:
	s_or_b64 exec, exec, s[6:7]
	s_and_saveexec_b64 s[6:7], s[4:5]
	s_cbranch_execz .LBB22_1516
.LBB22_1515:
	v_bfe_u32 v2, v9, 8, 3
	v_ffbh_u32_e32 v6, v2
	v_min_u32_e32 v6, 32, v6
	v_lshrrev_b16_e32 v4, 3, v3
	v_subrev_u32_e32 v7, 28, v6
	v_and_b32_e32 v4, 15, v4
	v_lshlrev_b32_e32 v3, v7, v3
	v_sub_u32_e32 v6, 29, v6
	v_and_b32_e32 v3, 7, v3
	v_cmp_eq_u16_e32 vcc, 0, v4
	v_cndmask_b32_e32 v2, v2, v3, vcc
	v_cndmask_b32_e32 v3, v4, v6, vcc
	v_lshlrev_b32_e32 v4, 16, v9
	v_mov_b32_e32 v6, 0x3b800000
	v_lshlrev_b32_e32 v2, 20, v2
	v_and_b32_e32 v4, 0x80000000, v4
	v_lshl_add_u32 v3, v3, 23, v6
	v_or3_b32 v2, v4, v3, v2
.LBB22_1516:
	s_or_b64 exec, exec, s[6:7]
	v_lshrrev_b32_e32 v3, 8, v5
	s_movk_i32 s4, 0x7f
	v_cmp_gt_i16_sdwa s[6:7], v3, s4 src0_sel:BYTE_0 src1_sel:DWORD
	s_mov_b64 s[4:5], 0
                                        ; implicit-def: $sgpr10
	s_and_saveexec_b64 s[8:9], s[6:7]
	s_xor_b64 s[6:7], exec, s[8:9]
	s_cbranch_execnz .LBB22_3565
; %bb.1517:
	s_or_saveexec_b64 s[6:7], s[6:7]
	v_mov_b32_e32 v4, s10
	s_xor_b64 exec, exec, s[6:7]
	s_cbranch_execnz .LBB22_3568
.LBB22_1518:
	s_or_b64 exec, exec, s[6:7]
	s_and_saveexec_b64 s[6:7], s[4:5]
	s_cbranch_execz .LBB22_1520
.LBB22_1519:
	v_bfe_u32 v4, v5, 8, 3
	v_ffbh_u32_e32 v7, v4
	v_min_u32_e32 v7, 32, v7
	v_lshrrev_b16_e32 v6, 3, v3
	v_subrev_u32_e32 v8, 28, v7
	v_and_b32_e32 v6, 15, v6
	v_lshlrev_b32_e32 v3, v8, v3
	v_sub_u32_e32 v7, 29, v7
	v_and_b32_e32 v3, 7, v3
	v_cmp_eq_u16_e32 vcc, 0, v6
	v_cndmask_b32_e32 v3, v4, v3, vcc
	v_cndmask_b32_e32 v4, v6, v7, vcc
	v_lshlrev_b32_e32 v6, 16, v5
	v_mov_b32_e32 v7, 0x3b800000
	v_lshlrev_b32_e32 v3, 20, v3
	v_and_b32_e32 v6, 0x80000000, v6
	v_lshl_add_u32 v4, v4, 23, v7
	v_or3_b32 v4, v6, v4, v3
.LBB22_1520:
	s_or_b64 exec, exec, s[6:7]
	s_nop 0
	v_mfma_f32_16x16x4f32 a[0:3], v2, v4, a[0:3]
	s_movk_i32 s4, 0xff
	v_and_b32_sdwa v3, v9, s4 dst_sel:DWORD dst_unused:UNUSED_PAD src0_sel:WORD_1 src1_sel:DWORD
	s_movk_i32 s4, 0x7f
	v_cmp_lt_i16_e32 vcc, s4, v3
	s_mov_b64 s[4:5], 0
                                        ; implicit-def: $sgpr10
	s_and_saveexec_b64 s[6:7], vcc
	s_xor_b64 s[6:7], exec, s[6:7]
	s_cbranch_execnz .LBB22_3569
; %bb.1521:
	s_or_saveexec_b64 s[6:7], s[6:7]
	v_mov_b32_e32 v2, s10
	s_xor_b64 exec, exec, s[6:7]
	s_cbranch_execnz .LBB22_3572
.LBB22_1522:
	s_or_b64 exec, exec, s[6:7]
	s_and_saveexec_b64 s[6:7], s[4:5]
	s_cbranch_execz .LBB22_1524
.LBB22_1523:
	v_bfe_u32 v2, v9, 16, 3
	v_ffbh_u32_e32 v6, v2
	v_min_u32_e32 v6, 32, v6
	v_lshrrev_b32_e32 v3, 19, v9
	v_subrev_u32_e32 v7, 28, v6
	v_and_b32_e32 v3, 15, v3
	v_lshlrev_b32_sdwa v7, v7, v9 dst_sel:DWORD dst_unused:UNUSED_PAD src0_sel:DWORD src1_sel:WORD_1
	v_bfe_u32 v4, v9, 19, 4
	v_sub_u32_e32 v6, 29, v6
	v_and_b32_e32 v7, 7, v7
	v_cmp_eq_u16_e32 vcc, 0, v3
	v_cndmask_b32_e32 v2, v2, v7, vcc
	v_cndmask_b32_e32 v3, v4, v6, vcc
	v_lshlrev_b32_e32 v4, 8, v9
	v_mov_b32_e32 v6, 0x3b800000
	v_lshlrev_b32_e32 v2, 20, v2
	v_and_b32_e32 v4, 0x80000000, v4
	v_lshl_add_u32 v3, v3, 23, v6
	v_or3_b32 v2, v4, v3, v2
.LBB22_1524:
	s_or_b64 exec, exec, s[6:7]
	s_movk_i32 s4, 0xff
	v_and_b32_sdwa v3, v5, s4 dst_sel:DWORD dst_unused:UNUSED_PAD src0_sel:WORD_1 src1_sel:DWORD
	s_movk_i32 s4, 0x7f
	v_cmp_lt_i16_e32 vcc, s4, v3
	s_mov_b64 s[4:5], 0
                                        ; implicit-def: $sgpr10
	s_and_saveexec_b64 s[6:7], vcc
	s_xor_b64 s[6:7], exec, s[6:7]
	s_cbranch_execnz .LBB22_3573
; %bb.1525:
	s_or_saveexec_b64 s[6:7], s[6:7]
	v_mov_b32_e32 v4, s10
	s_xor_b64 exec, exec, s[6:7]
	s_cbranch_execnz .LBB22_3576
.LBB22_1526:
	s_or_b64 exec, exec, s[6:7]
	s_and_saveexec_b64 s[6:7], s[4:5]
	s_cbranch_execz .LBB22_1528
.LBB22_1527:
	v_bfe_u32 v3, v5, 16, 3
	v_ffbh_u32_e32 v7, v3
	v_min_u32_e32 v7, 32, v7
	v_lshrrev_b32_e32 v4, 19, v5
	v_subrev_u32_e32 v8, 28, v7
	v_and_b32_e32 v4, 15, v4
	v_lshlrev_b32_sdwa v8, v8, v5 dst_sel:DWORD dst_unused:UNUSED_PAD src0_sel:DWORD src1_sel:WORD_1
	v_bfe_u32 v6, v5, 19, 4
	v_sub_u32_e32 v7, 29, v7
	v_and_b32_e32 v8, 7, v8
	v_cmp_eq_u16_e32 vcc, 0, v4
	v_cndmask_b32_e32 v3, v3, v8, vcc
	v_cndmask_b32_e32 v4, v6, v7, vcc
	v_lshlrev_b32_e32 v6, 8, v5
	v_mov_b32_e32 v7, 0x3b800000
	v_lshlrev_b32_e32 v3, 20, v3
	v_and_b32_e32 v6, 0x80000000, v6
	v_lshl_add_u32 v4, v4, 23, v7
	v_or3_b32 v4, v6, v4, v3
.LBB22_1528:
	s_or_b64 exec, exec, s[6:7]
	s_nop 0
	v_mfma_f32_16x16x4f32 a[0:3], v2, v4, a[0:3]
	s_movk_i32 s4, 0x7f
	v_cmp_gt_i16_sdwa s[6:7], v9, s4 src0_sel:BYTE_3 src1_sel:DWORD
	s_mov_b64 s[4:5], 0
                                        ; implicit-def: $sgpr10
	s_and_saveexec_b64 s[8:9], s[6:7]
	s_xor_b64 s[6:7], exec, s[8:9]
	s_cbranch_execnz .LBB22_3577
; %bb.1529:
	s_or_saveexec_b64 s[6:7], s[6:7]
	v_mov_b32_e32 v2, s10
	s_xor_b64 exec, exec, s[6:7]
	s_cbranch_execnz .LBB22_3580
.LBB22_1530:
	s_or_b64 exec, exec, s[6:7]
	s_and_saveexec_b64 s[6:7], s[4:5]
	s_cbranch_execz .LBB22_1532
.LBB22_1531:
	v_bfe_u32 v2, v9, 24, 3
	v_ffbh_u32_e32 v7, v2
	v_min_u32_e32 v7, 32, v7
	v_lshrrev_b32_e32 v4, 27, v9
	v_subrev_u32_e32 v8, 28, v7
	v_and_b32_e32 v4, 15, v4
	v_lshlrev_b32_sdwa v8, v8, v9 dst_sel:DWORD dst_unused:UNUSED_PAD src0_sel:DWORD src1_sel:BYTE_3
	v_bfe_u32 v6, v9, 27, 4
	v_sub_u32_e32 v7, 29, v7
	v_and_b32_e32 v8, 7, v8
	v_cmp_eq_u16_e32 vcc, 0, v4
	v_cndmask_b32_e32 v2, v2, v8, vcc
	v_cndmask_b32_e32 v4, v6, v7, vcc
	v_mov_b32_e32 v6, 0x3b800000
	v_and_b32_e32 v3, 0x80000000, v9
	v_lshlrev_b32_e32 v2, 20, v2
	v_lshl_add_u32 v4, v4, 23, v6
	v_or3_b32 v2, v3, v4, v2
.LBB22_1532:
	s_or_b64 exec, exec, s[6:7]
	s_movk_i32 s4, 0x7f
	v_cmp_gt_i16_sdwa s[6:7], v5, s4 src0_sel:BYTE_3 src1_sel:DWORD
	s_mov_b64 s[4:5], 0
                                        ; implicit-def: $sgpr10
	s_and_saveexec_b64 s[8:9], s[6:7]
	s_xor_b64 s[6:7], exec, s[8:9]
	s_cbranch_execnz .LBB22_3581
; %bb.1533:
	s_or_saveexec_b64 s[6:7], s[6:7]
	v_mov_b32_e32 v3, s10
	s_xor_b64 exec, exec, s[6:7]
	s_cbranch_execnz .LBB22_3584
.LBB22_1534:
	s_or_b64 exec, exec, s[6:7]
	s_and_saveexec_b64 s[6:7], s[4:5]
	s_cbranch_execz .LBB22_1536
.LBB22_1535:
	v_bfe_u32 v3, v5, 24, 3
	v_ffbh_u32_e32 v8, v3
	v_min_u32_e32 v8, 32, v8
	v_lshrrev_b32_e32 v6, 27, v5
	v_subrev_u32_e32 v9, 28, v8
	v_and_b32_e32 v4, 0x80000000, v5
	v_and_b32_e32 v6, 15, v6
	v_bfe_u32 v7, v5, 27, 4
	v_lshlrev_b32_sdwa v5, v9, v5 dst_sel:DWORD dst_unused:UNUSED_PAD src0_sel:DWORD src1_sel:BYTE_3
	v_sub_u32_e32 v8, 29, v8
	v_and_b32_e32 v5, 7, v5
	v_cmp_eq_u16_e32 vcc, 0, v6
	v_cndmask_b32_e32 v3, v3, v5, vcc
	v_cndmask_b32_e32 v5, v7, v8, vcc
	v_mov_b32_e32 v6, 0x3b800000
	v_lshlrev_b32_e32 v3, 20, v3
	v_lshl_add_u32 v5, v5, 23, v6
	v_or3_b32 v3, v4, v5, v3
.LBB22_1536:
	s_or_b64 exec, exec, s[6:7]
	s_nop 0
	v_mfma_f32_16x16x4f32 a[0:3], v2, v3, a[0:3]
	s_movk_i32 s4, 0x7f
                                        ; implicit-def: $sgpr10
	s_nop 7
	s_nop 1
	flat_store_dwordx4 v[18:19], a[0:3] offset:592
	flat_load_dwordx4 v[20:23], v[0:1] offset:8
	s_nop 0
	flat_load_dwordx2 v[18:19], v[0:1] offset:24
	s_waitcnt vmcnt(0) lgkmcnt(0)
	flat_load_dwordx4 v[14:17], v[20:21]
	flat_load_dwordx4 v[6:9], v[20:21] offset:16
	flat_load_dwordx4 v[10:13], v[22:23] offset:192
	;; [unrolled: 1-line block ×3, first 2 shown]
	s_waitcnt vmcnt(0) lgkmcnt(0)
	v_cmp_gt_i16_sdwa s[6:7], v14, s4 src0_sel:BYTE_0 src1_sel:DWORD
	s_mov_b64 s[4:5], 0
	s_and_saveexec_b64 s[8:9], s[6:7]
	s_xor_b64 s[6:7], exec, s[8:9]
	s_cbranch_execnz .LBB22_3585
; %bb.1537:
	s_or_saveexec_b64 s[6:7], s[6:7]
	v_mov_b32_e32 v20, s10
	s_xor_b64 exec, exec, s[6:7]
	s_cbranch_execnz .LBB22_3588
.LBB22_1538:
	s_or_b64 exec, exec, s[6:7]
	s_and_saveexec_b64 s[6:7], s[4:5]
	s_cbranch_execz .LBB22_1540
.LBB22_1539:
	v_and_b32_e32 v20, 7, v14
	v_ffbh_u32_e32 v22, v20
	v_min_u32_e32 v22, 32, v22
	v_lshrrev_b16_e32 v21, 3, v14
	v_subrev_u32_e32 v23, 28, v22
	v_and_b32_e32 v21, 15, v21
	v_lshlrev_b32_e32 v23, v23, v14
	v_sub_u32_e32 v22, 29, v22
	v_and_b32_e32 v23, 7, v23
	v_cmp_eq_u16_e32 vcc, 0, v21
	v_cndmask_b32_e32 v20, v20, v23, vcc
	v_cndmask_b32_e32 v21, v21, v22, vcc
	v_lshlrev_b32_e32 v22, 24, v14
	v_mov_b32_e32 v23, 0x3b800000
	v_lshlrev_b32_e32 v20, 20, v20
	v_and_b32_e32 v22, 0x80000000, v22
	v_lshl_add_u32 v21, v21, 23, v23
	v_or3_b32 v20, v22, v21, v20
.LBB22_1540:
	s_or_b64 exec, exec, s[6:7]
	s_movk_i32 s4, 0x7f
	v_cmp_gt_i16_sdwa s[6:7], v10, s4 src0_sel:BYTE_0 src1_sel:DWORD
	s_mov_b64 s[4:5], 0
                                        ; implicit-def: $sgpr10
	s_and_saveexec_b64 s[8:9], s[6:7]
	s_xor_b64 s[6:7], exec, s[8:9]
	s_cbranch_execnz .LBB22_3589
; %bb.1541:
	s_or_saveexec_b64 s[6:7], s[6:7]
	v_mov_b32_e32 v21, s10
	s_xor_b64 exec, exec, s[6:7]
	s_cbranch_execnz .LBB22_3592
.LBB22_1542:
	s_or_b64 exec, exec, s[6:7]
	s_and_saveexec_b64 s[6:7], s[4:5]
	s_cbranch_execz .LBB22_1544
.LBB22_1543:
	v_and_b32_e32 v21, 7, v10
	v_ffbh_u32_e32 v23, v21
	v_min_u32_e32 v23, 32, v23
	v_lshrrev_b16_e32 v22, 3, v10
	v_subrev_u32_e32 v24, 28, v23
	v_and_b32_e32 v22, 15, v22
	v_lshlrev_b32_e32 v24, v24, v10
	v_sub_u32_e32 v23, 29, v23
	v_and_b32_e32 v24, 7, v24
	v_cmp_eq_u16_e32 vcc, 0, v22
	v_cndmask_b32_e32 v21, v21, v24, vcc
	v_cndmask_b32_e32 v22, v22, v23, vcc
	v_lshlrev_b32_e32 v23, 24, v10
	v_mov_b32_e32 v24, 0x3b800000
	v_lshlrev_b32_e32 v21, 20, v21
	v_and_b32_e32 v23, 0x80000000, v23
	v_lshl_add_u32 v22, v22, 23, v24
	v_or3_b32 v21, v23, v22, v21
.LBB22_1544:
	s_or_b64 exec, exec, s[6:7]
	flat_load_dwordx4 a[0:3], v[18:19] offset:608
	s_movk_i32 s4, 0x7f
                                        ; implicit-def: $sgpr10
	s_waitcnt vmcnt(0) lgkmcnt(0)
	v_mfma_f32_16x16x4f32 a[0:3], v20, v21, a[0:3]
	v_lshrrev_b32_e32 v21, 8, v14
	v_cmp_gt_i16_sdwa s[6:7], v21, s4 src0_sel:BYTE_0 src1_sel:DWORD
	s_mov_b64 s[4:5], 0
	s_and_saveexec_b64 s[8:9], s[6:7]
	s_xor_b64 s[6:7], exec, s[8:9]
	s_cbranch_execnz .LBB22_3593
; %bb.1545:
	s_or_saveexec_b64 s[6:7], s[6:7]
	v_mov_b32_e32 v20, s10
	s_xor_b64 exec, exec, s[6:7]
	s_cbranch_execnz .LBB22_3596
.LBB22_1546:
	s_or_b64 exec, exec, s[6:7]
	s_and_saveexec_b64 s[6:7], s[4:5]
	s_cbranch_execz .LBB22_1548
.LBB22_1547:
	v_bfe_u32 v20, v14, 8, 3
	v_ffbh_u32_e32 v23, v20
	v_min_u32_e32 v23, 32, v23
	v_lshrrev_b16_e32 v22, 3, v21
	v_subrev_u32_e32 v24, 28, v23
	v_and_b32_e32 v22, 15, v22
	v_lshlrev_b32_e32 v21, v24, v21
	v_sub_u32_e32 v23, 29, v23
	v_and_b32_e32 v21, 7, v21
	v_cmp_eq_u16_e32 vcc, 0, v22
	v_cndmask_b32_e32 v20, v20, v21, vcc
	v_cndmask_b32_e32 v21, v22, v23, vcc
	v_lshlrev_b32_e32 v22, 16, v14
	v_mov_b32_e32 v23, 0x3b800000
	v_lshlrev_b32_e32 v20, 20, v20
	v_and_b32_e32 v22, 0x80000000, v22
	v_lshl_add_u32 v21, v21, 23, v23
	v_or3_b32 v20, v22, v21, v20
.LBB22_1548:
	s_or_b64 exec, exec, s[6:7]
	v_lshrrev_b32_e32 v21, 8, v10
	s_movk_i32 s4, 0x7f
	v_cmp_gt_i16_sdwa s[6:7], v21, s4 src0_sel:BYTE_0 src1_sel:DWORD
	s_mov_b64 s[4:5], 0
                                        ; implicit-def: $sgpr10
	s_and_saveexec_b64 s[8:9], s[6:7]
	s_xor_b64 s[6:7], exec, s[8:9]
	s_cbranch_execnz .LBB22_3597
; %bb.1549:
	s_or_saveexec_b64 s[6:7], s[6:7]
	v_mov_b32_e32 v22, s10
	s_xor_b64 exec, exec, s[6:7]
	s_cbranch_execnz .LBB22_3600
.LBB22_1550:
	s_or_b64 exec, exec, s[6:7]
	s_and_saveexec_b64 s[6:7], s[4:5]
	s_cbranch_execz .LBB22_1552
.LBB22_1551:
	v_bfe_u32 v22, v10, 8, 3
	v_ffbh_u32_e32 v24, v22
	v_min_u32_e32 v24, 32, v24
	v_lshrrev_b16_e32 v23, 3, v21
	v_subrev_u32_e32 v25, 28, v24
	v_and_b32_e32 v23, 15, v23
	v_lshlrev_b32_e32 v21, v25, v21
	v_sub_u32_e32 v24, 29, v24
	v_and_b32_e32 v21, 7, v21
	v_cmp_eq_u16_e32 vcc, 0, v23
	v_cndmask_b32_e32 v21, v22, v21, vcc
	v_cndmask_b32_e32 v22, v23, v24, vcc
	v_lshlrev_b32_e32 v23, 16, v10
	v_mov_b32_e32 v24, 0x3b800000
	v_lshlrev_b32_e32 v21, 20, v21
	v_and_b32_e32 v23, 0x80000000, v23
	v_lshl_add_u32 v22, v22, 23, v24
	v_or3_b32 v22, v23, v22, v21
.LBB22_1552:
	s_or_b64 exec, exec, s[6:7]
	s_nop 0
	v_mfma_f32_16x16x4f32 a[0:3], v20, v22, a[0:3]
	s_movk_i32 s4, 0xff
	v_and_b32_sdwa v21, v14, s4 dst_sel:DWORD dst_unused:UNUSED_PAD src0_sel:WORD_1 src1_sel:DWORD
	s_movk_i32 s4, 0x7f
	v_cmp_lt_i16_e32 vcc, s4, v21
	s_mov_b64 s[4:5], 0
                                        ; implicit-def: $sgpr10
	s_and_saveexec_b64 s[6:7], vcc
	s_xor_b64 s[6:7], exec, s[6:7]
	s_cbranch_execnz .LBB22_3601
; %bb.1553:
	s_or_saveexec_b64 s[6:7], s[6:7]
	v_mov_b32_e32 v20, s10
	s_xor_b64 exec, exec, s[6:7]
	s_cbranch_execnz .LBB22_3604
.LBB22_1554:
	s_or_b64 exec, exec, s[6:7]
	s_and_saveexec_b64 s[6:7], s[4:5]
	s_cbranch_execz .LBB22_1556
.LBB22_1555:
	v_bfe_u32 v20, v14, 16, 3
	v_ffbh_u32_e32 v23, v20
	v_min_u32_e32 v23, 32, v23
	v_lshrrev_b32_e32 v21, 19, v14
	v_subrev_u32_e32 v24, 28, v23
	v_and_b32_e32 v21, 15, v21
	v_lshlrev_b32_sdwa v24, v24, v14 dst_sel:DWORD dst_unused:UNUSED_PAD src0_sel:DWORD src1_sel:WORD_1
	v_bfe_u32 v22, v14, 19, 4
	v_sub_u32_e32 v23, 29, v23
	v_and_b32_e32 v24, 7, v24
	v_cmp_eq_u16_e32 vcc, 0, v21
	v_cndmask_b32_e32 v20, v20, v24, vcc
	v_cndmask_b32_e32 v21, v22, v23, vcc
	v_lshlrev_b32_e32 v22, 8, v14
	v_mov_b32_e32 v23, 0x3b800000
	v_lshlrev_b32_e32 v20, 20, v20
	v_and_b32_e32 v22, 0x80000000, v22
	v_lshl_add_u32 v21, v21, 23, v23
	v_or3_b32 v20, v22, v21, v20
.LBB22_1556:
	s_or_b64 exec, exec, s[6:7]
	s_movk_i32 s4, 0xff
	v_and_b32_sdwa v21, v10, s4 dst_sel:DWORD dst_unused:UNUSED_PAD src0_sel:WORD_1 src1_sel:DWORD
	s_movk_i32 s4, 0x7f
	v_cmp_lt_i16_e32 vcc, s4, v21
	s_mov_b64 s[4:5], 0
                                        ; implicit-def: $sgpr10
	s_and_saveexec_b64 s[6:7], vcc
	s_xor_b64 s[6:7], exec, s[6:7]
	s_cbranch_execnz .LBB22_3605
; %bb.1557:
	s_or_saveexec_b64 s[6:7], s[6:7]
	v_mov_b32_e32 v22, s10
	s_xor_b64 exec, exec, s[6:7]
	s_cbranch_execnz .LBB22_3608
.LBB22_1558:
	s_or_b64 exec, exec, s[6:7]
	s_and_saveexec_b64 s[6:7], s[4:5]
	s_cbranch_execz .LBB22_1560
.LBB22_1559:
	v_bfe_u32 v21, v10, 16, 3
	v_ffbh_u32_e32 v24, v21
	v_min_u32_e32 v24, 32, v24
	v_lshrrev_b32_e32 v22, 19, v10
	v_subrev_u32_e32 v25, 28, v24
	v_and_b32_e32 v22, 15, v22
	v_lshlrev_b32_sdwa v25, v25, v10 dst_sel:DWORD dst_unused:UNUSED_PAD src0_sel:DWORD src1_sel:WORD_1
	v_bfe_u32 v23, v10, 19, 4
	v_sub_u32_e32 v24, 29, v24
	v_and_b32_e32 v25, 7, v25
	v_cmp_eq_u16_e32 vcc, 0, v22
	v_cndmask_b32_e32 v21, v21, v25, vcc
	v_cndmask_b32_e32 v22, v23, v24, vcc
	v_lshlrev_b32_e32 v23, 8, v10
	v_mov_b32_e32 v24, 0x3b800000
	v_lshlrev_b32_e32 v21, 20, v21
	v_and_b32_e32 v23, 0x80000000, v23
	v_lshl_add_u32 v22, v22, 23, v24
	v_or3_b32 v22, v23, v22, v21
.LBB22_1560:
	s_or_b64 exec, exec, s[6:7]
	s_nop 0
	v_mfma_f32_16x16x4f32 a[0:3], v20, v22, a[0:3]
	s_movk_i32 s4, 0x7f
	v_cmp_gt_i16_sdwa s[6:7], v14, s4 src0_sel:BYTE_3 src1_sel:DWORD
	s_mov_b64 s[4:5], 0
                                        ; implicit-def: $sgpr10
	s_and_saveexec_b64 s[8:9], s[6:7]
	s_xor_b64 s[6:7], exec, s[8:9]
	s_cbranch_execnz .LBB22_3609
; %bb.1561:
	s_or_saveexec_b64 s[6:7], s[6:7]
	v_mov_b32_e32 v20, s10
	s_xor_b64 exec, exec, s[6:7]
	s_cbranch_execnz .LBB22_3612
.LBB22_1562:
	s_or_b64 exec, exec, s[6:7]
	s_and_saveexec_b64 s[6:7], s[4:5]
	s_cbranch_execz .LBB22_1564
.LBB22_1563:
	v_bfe_u32 v20, v14, 24, 3
	v_ffbh_u32_e32 v24, v20
	v_min_u32_e32 v24, 32, v24
	v_lshrrev_b32_e32 v22, 27, v14
	v_subrev_u32_e32 v25, 28, v24
	v_and_b32_e32 v21, 0x80000000, v14
	v_and_b32_e32 v22, 15, v22
	v_bfe_u32 v23, v14, 27, 4
	v_lshlrev_b32_sdwa v14, v25, v14 dst_sel:DWORD dst_unused:UNUSED_PAD src0_sel:DWORD src1_sel:BYTE_3
	v_sub_u32_e32 v24, 29, v24
	v_and_b32_e32 v14, 7, v14
	v_cmp_eq_u16_e32 vcc, 0, v22
	v_cndmask_b32_e32 v14, v20, v14, vcc
	v_cndmask_b32_e32 v20, v23, v24, vcc
	v_mov_b32_e32 v22, 0x3b800000
	v_lshlrev_b32_e32 v14, 20, v14
	v_lshl_add_u32 v20, v20, 23, v22
	v_or3_b32 v20, v21, v20, v14
.LBB22_1564:
	s_or_b64 exec, exec, s[6:7]
	s_movk_i32 s4, 0x7f
	v_cmp_gt_i16_sdwa s[6:7], v10, s4 src0_sel:BYTE_3 src1_sel:DWORD
	s_mov_b64 s[4:5], 0
                                        ; implicit-def: $sgpr10
	s_and_saveexec_b64 s[8:9], s[6:7]
	s_xor_b64 s[6:7], exec, s[8:9]
	s_cbranch_execnz .LBB22_3613
; %bb.1565:
	s_or_saveexec_b64 s[6:7], s[6:7]
	v_mov_b32_e32 v14, s10
	s_xor_b64 exec, exec, s[6:7]
	s_cbranch_execnz .LBB22_3616
.LBB22_1566:
	s_or_b64 exec, exec, s[6:7]
	s_and_saveexec_b64 s[6:7], s[4:5]
	s_cbranch_execz .LBB22_1568
.LBB22_1567:
	v_bfe_u32 v14, v10, 24, 3
	v_ffbh_u32_e32 v24, v14
	v_min_u32_e32 v24, 32, v24
	v_lshrrev_b32_e32 v22, 27, v10
	v_subrev_u32_e32 v25, 28, v24
	v_and_b32_e32 v21, 0x80000000, v10
	v_and_b32_e32 v22, 15, v22
	v_bfe_u32 v23, v10, 27, 4
	v_lshlrev_b32_sdwa v10, v25, v10 dst_sel:DWORD dst_unused:UNUSED_PAD src0_sel:DWORD src1_sel:BYTE_3
	v_sub_u32_e32 v24, 29, v24
	v_and_b32_e32 v10, 7, v10
	v_cmp_eq_u16_e32 vcc, 0, v22
	v_cndmask_b32_e32 v10, v14, v10, vcc
	v_cndmask_b32_e32 v14, v23, v24, vcc
	v_mov_b32_e32 v22, 0x3b800000
	v_lshlrev_b32_e32 v10, 20, v10
	v_lshl_add_u32 v14, v14, 23, v22
	v_or3_b32 v14, v21, v14, v10
.LBB22_1568:
	s_or_b64 exec, exec, s[6:7]
	s_nop 0
	v_mfma_f32_16x16x4f32 a[0:3], v20, v14, a[0:3]
	s_movk_i32 s4, 0x7f
	v_cmp_gt_i16_sdwa s[6:7], v15, s4 src0_sel:BYTE_0 src1_sel:DWORD
	s_mov_b64 s[4:5], 0
                                        ; implicit-def: $sgpr10
	s_and_saveexec_b64 s[8:9], s[6:7]
	s_xor_b64 s[6:7], exec, s[8:9]
	s_cbranch_execnz .LBB22_3617
; %bb.1569:
	s_or_saveexec_b64 s[6:7], s[6:7]
	v_mov_b32_e32 v10, s10
	s_xor_b64 exec, exec, s[6:7]
	s_cbranch_execnz .LBB22_3620
.LBB22_1570:
	s_or_b64 exec, exec, s[6:7]
	s_and_saveexec_b64 s[6:7], s[4:5]
	s_cbranch_execz .LBB22_1572
.LBB22_1571:
	v_and_b32_e32 v10, 7, v15
	v_ffbh_u32_e32 v20, v10
	v_min_u32_e32 v20, 32, v20
	v_lshrrev_b16_e32 v14, 3, v15
	v_subrev_u32_e32 v21, 28, v20
	v_and_b32_e32 v14, 15, v14
	v_lshlrev_b32_e32 v21, v21, v15
	v_sub_u32_e32 v20, 29, v20
	v_and_b32_e32 v21, 7, v21
	v_cmp_eq_u16_e32 vcc, 0, v14
	v_cndmask_b32_e32 v10, v10, v21, vcc
	v_cndmask_b32_e32 v14, v14, v20, vcc
	v_lshlrev_b32_e32 v20, 24, v15
	v_mov_b32_e32 v21, 0x3b800000
	v_lshlrev_b32_e32 v10, 20, v10
	v_and_b32_e32 v20, 0x80000000, v20
	v_lshl_add_u32 v14, v14, 23, v21
	v_or3_b32 v10, v20, v14, v10
.LBB22_1572:
	s_or_b64 exec, exec, s[6:7]
	s_movk_i32 s4, 0x7f
	v_cmp_gt_i16_sdwa s[6:7], v11, s4 src0_sel:BYTE_0 src1_sel:DWORD
	s_mov_b64 s[4:5], 0
                                        ; implicit-def: $sgpr10
	s_and_saveexec_b64 s[8:9], s[6:7]
	s_xor_b64 s[6:7], exec, s[8:9]
	s_cbranch_execnz .LBB22_3621
; %bb.1573:
	s_or_saveexec_b64 s[6:7], s[6:7]
	v_mov_b32_e32 v14, s10
	s_xor_b64 exec, exec, s[6:7]
	s_cbranch_execnz .LBB22_3624
.LBB22_1574:
	s_or_b64 exec, exec, s[6:7]
	s_and_saveexec_b64 s[6:7], s[4:5]
	s_cbranch_execz .LBB22_1576
.LBB22_1575:
	v_and_b32_e32 v14, 7, v11
	v_ffbh_u32_e32 v21, v14
	v_min_u32_e32 v21, 32, v21
	v_lshrrev_b16_e32 v20, 3, v11
	v_subrev_u32_e32 v22, 28, v21
	v_and_b32_e32 v20, 15, v20
	v_lshlrev_b32_e32 v22, v22, v11
	v_sub_u32_e32 v21, 29, v21
	v_and_b32_e32 v22, 7, v22
	v_cmp_eq_u16_e32 vcc, 0, v20
	v_cndmask_b32_e32 v14, v14, v22, vcc
	v_cndmask_b32_e32 v20, v20, v21, vcc
	v_lshlrev_b32_e32 v21, 24, v11
	v_mov_b32_e32 v22, 0x3b800000
	v_lshlrev_b32_e32 v14, 20, v14
	v_and_b32_e32 v21, 0x80000000, v21
	v_lshl_add_u32 v20, v20, 23, v22
	v_or3_b32 v14, v21, v20, v14
.LBB22_1576:
	s_or_b64 exec, exec, s[6:7]
	s_nop 0
	v_mfma_f32_16x16x4f32 a[0:3], v10, v14, a[0:3]
	v_lshrrev_b32_e32 v14, 8, v15
	s_movk_i32 s4, 0x7f
	v_cmp_gt_i16_sdwa s[6:7], v14, s4 src0_sel:BYTE_0 src1_sel:DWORD
	s_mov_b64 s[4:5], 0
                                        ; implicit-def: $sgpr10
	s_and_saveexec_b64 s[8:9], s[6:7]
	s_xor_b64 s[6:7], exec, s[8:9]
	s_cbranch_execnz .LBB22_3625
; %bb.1577:
	s_or_saveexec_b64 s[6:7], s[6:7]
	v_mov_b32_e32 v10, s10
	s_xor_b64 exec, exec, s[6:7]
	s_cbranch_execnz .LBB22_3628
.LBB22_1578:
	s_or_b64 exec, exec, s[6:7]
	s_and_saveexec_b64 s[6:7], s[4:5]
	s_cbranch_execz .LBB22_1580
.LBB22_1579:
	v_bfe_u32 v10, v15, 8, 3
	v_ffbh_u32_e32 v21, v10
	v_min_u32_e32 v21, 32, v21
	v_lshrrev_b16_e32 v20, 3, v14
	v_subrev_u32_e32 v22, 28, v21
	v_and_b32_e32 v20, 15, v20
	v_lshlrev_b32_e32 v14, v22, v14
	v_sub_u32_e32 v21, 29, v21
	v_and_b32_e32 v14, 7, v14
	v_cmp_eq_u16_e32 vcc, 0, v20
	v_cndmask_b32_e32 v10, v10, v14, vcc
	v_cndmask_b32_e32 v14, v20, v21, vcc
	v_lshlrev_b32_e32 v20, 16, v15
	v_mov_b32_e32 v21, 0x3b800000
	v_lshlrev_b32_e32 v10, 20, v10
	v_and_b32_e32 v20, 0x80000000, v20
	v_lshl_add_u32 v14, v14, 23, v21
	v_or3_b32 v10, v20, v14, v10
.LBB22_1580:
	s_or_b64 exec, exec, s[6:7]
	v_lshrrev_b32_e32 v14, 8, v11
	s_movk_i32 s4, 0x7f
	v_cmp_gt_i16_sdwa s[6:7], v14, s4 src0_sel:BYTE_0 src1_sel:DWORD
	s_mov_b64 s[4:5], 0
                                        ; implicit-def: $sgpr10
	s_and_saveexec_b64 s[8:9], s[6:7]
	s_xor_b64 s[6:7], exec, s[8:9]
	s_cbranch_execnz .LBB22_3629
; %bb.1581:
	s_or_saveexec_b64 s[6:7], s[6:7]
	v_mov_b32_e32 v20, s10
	s_xor_b64 exec, exec, s[6:7]
	s_cbranch_execnz .LBB22_3632
.LBB22_1582:
	s_or_b64 exec, exec, s[6:7]
	s_and_saveexec_b64 s[6:7], s[4:5]
	s_cbranch_execz .LBB22_1584
.LBB22_1583:
	v_bfe_u32 v20, v11, 8, 3
	v_ffbh_u32_e32 v22, v20
	v_min_u32_e32 v22, 32, v22
	v_lshrrev_b16_e32 v21, 3, v14
	v_subrev_u32_e32 v23, 28, v22
	v_and_b32_e32 v21, 15, v21
	v_lshlrev_b32_e32 v14, v23, v14
	v_sub_u32_e32 v22, 29, v22
	v_and_b32_e32 v14, 7, v14
	v_cmp_eq_u16_e32 vcc, 0, v21
	v_cndmask_b32_e32 v14, v20, v14, vcc
	v_cndmask_b32_e32 v20, v21, v22, vcc
	v_lshlrev_b32_e32 v21, 16, v11
	v_mov_b32_e32 v22, 0x3b800000
	v_lshlrev_b32_e32 v14, 20, v14
	v_and_b32_e32 v21, 0x80000000, v21
	v_lshl_add_u32 v20, v20, 23, v22
	v_or3_b32 v20, v21, v20, v14
.LBB22_1584:
	s_or_b64 exec, exec, s[6:7]
	s_nop 0
	v_mfma_f32_16x16x4f32 a[0:3], v10, v20, a[0:3]
	s_movk_i32 s4, 0xff
	v_and_b32_sdwa v14, v15, s4 dst_sel:DWORD dst_unused:UNUSED_PAD src0_sel:WORD_1 src1_sel:DWORD
	s_movk_i32 s4, 0x7f
	v_cmp_lt_i16_e32 vcc, s4, v14
	s_mov_b64 s[4:5], 0
                                        ; implicit-def: $sgpr10
	s_and_saveexec_b64 s[6:7], vcc
	s_xor_b64 s[6:7], exec, s[6:7]
	s_cbranch_execnz .LBB22_3633
; %bb.1585:
	s_or_saveexec_b64 s[6:7], s[6:7]
	v_mov_b32_e32 v10, s10
	s_xor_b64 exec, exec, s[6:7]
	s_cbranch_execnz .LBB22_3636
.LBB22_1586:
	s_or_b64 exec, exec, s[6:7]
	s_and_saveexec_b64 s[6:7], s[4:5]
	s_cbranch_execz .LBB22_1588
.LBB22_1587:
	v_bfe_u32 v10, v15, 16, 3
	v_ffbh_u32_e32 v21, v10
	v_min_u32_e32 v21, 32, v21
	v_lshrrev_b32_e32 v14, 19, v15
	v_subrev_u32_e32 v22, 28, v21
	v_and_b32_e32 v14, 15, v14
	v_lshlrev_b32_sdwa v22, v22, v15 dst_sel:DWORD dst_unused:UNUSED_PAD src0_sel:DWORD src1_sel:WORD_1
	v_bfe_u32 v20, v15, 19, 4
	v_sub_u32_e32 v21, 29, v21
	v_and_b32_e32 v22, 7, v22
	v_cmp_eq_u16_e32 vcc, 0, v14
	v_cndmask_b32_e32 v10, v10, v22, vcc
	v_cndmask_b32_e32 v14, v20, v21, vcc
	v_lshlrev_b32_e32 v20, 8, v15
	v_mov_b32_e32 v21, 0x3b800000
	v_lshlrev_b32_e32 v10, 20, v10
	v_and_b32_e32 v20, 0x80000000, v20
	v_lshl_add_u32 v14, v14, 23, v21
	v_or3_b32 v10, v20, v14, v10
.LBB22_1588:
	s_or_b64 exec, exec, s[6:7]
	s_movk_i32 s4, 0xff
	v_and_b32_sdwa v14, v11, s4 dst_sel:DWORD dst_unused:UNUSED_PAD src0_sel:WORD_1 src1_sel:DWORD
	s_movk_i32 s4, 0x7f
	v_cmp_lt_i16_e32 vcc, s4, v14
	s_mov_b64 s[4:5], 0
                                        ; implicit-def: $sgpr10
	s_and_saveexec_b64 s[6:7], vcc
	s_xor_b64 s[6:7], exec, s[6:7]
	s_cbranch_execnz .LBB22_3637
; %bb.1589:
	s_or_saveexec_b64 s[6:7], s[6:7]
	v_mov_b32_e32 v20, s10
	s_xor_b64 exec, exec, s[6:7]
	s_cbranch_execnz .LBB22_3640
.LBB22_1590:
	s_or_b64 exec, exec, s[6:7]
	s_and_saveexec_b64 s[6:7], s[4:5]
	s_cbranch_execz .LBB22_1592
.LBB22_1591:
	v_bfe_u32 v14, v11, 16, 3
	v_ffbh_u32_e32 v22, v14
	v_min_u32_e32 v22, 32, v22
	v_lshrrev_b32_e32 v20, 19, v11
	v_subrev_u32_e32 v23, 28, v22
	v_and_b32_e32 v20, 15, v20
	v_lshlrev_b32_sdwa v23, v23, v11 dst_sel:DWORD dst_unused:UNUSED_PAD src0_sel:DWORD src1_sel:WORD_1
	v_bfe_u32 v21, v11, 19, 4
	v_sub_u32_e32 v22, 29, v22
	v_and_b32_e32 v23, 7, v23
	v_cmp_eq_u16_e32 vcc, 0, v20
	v_cndmask_b32_e32 v14, v14, v23, vcc
	v_cndmask_b32_e32 v20, v21, v22, vcc
	v_lshlrev_b32_e32 v21, 8, v11
	v_mov_b32_e32 v22, 0x3b800000
	v_lshlrev_b32_e32 v14, 20, v14
	v_and_b32_e32 v21, 0x80000000, v21
	v_lshl_add_u32 v20, v20, 23, v22
	v_or3_b32 v20, v21, v20, v14
.LBB22_1592:
	s_or_b64 exec, exec, s[6:7]
	s_nop 0
	v_mfma_f32_16x16x4f32 a[0:3], v10, v20, a[0:3]
	s_movk_i32 s4, 0x7f
	v_cmp_gt_i16_sdwa s[6:7], v15, s4 src0_sel:BYTE_3 src1_sel:DWORD
	s_mov_b64 s[4:5], 0
                                        ; implicit-def: $sgpr10
	s_and_saveexec_b64 s[8:9], s[6:7]
	s_xor_b64 s[6:7], exec, s[8:9]
	s_cbranch_execnz .LBB22_3641
; %bb.1593:
	s_or_saveexec_b64 s[6:7], s[6:7]
	v_mov_b32_e32 v10, s10
	s_xor_b64 exec, exec, s[6:7]
	s_cbranch_execnz .LBB22_3644
.LBB22_1594:
	s_or_b64 exec, exec, s[6:7]
	s_and_saveexec_b64 s[6:7], s[4:5]
	s_cbranch_execz .LBB22_1596
.LBB22_1595:
	v_bfe_u32 v10, v15, 24, 3
	v_ffbh_u32_e32 v22, v10
	v_min_u32_e32 v22, 32, v22
	v_lshrrev_b32_e32 v20, 27, v15
	v_subrev_u32_e32 v23, 28, v22
	v_and_b32_e32 v14, 0x80000000, v15
	v_and_b32_e32 v20, 15, v20
	v_bfe_u32 v21, v15, 27, 4
	v_lshlrev_b32_sdwa v15, v23, v15 dst_sel:DWORD dst_unused:UNUSED_PAD src0_sel:DWORD src1_sel:BYTE_3
	v_sub_u32_e32 v22, 29, v22
	v_and_b32_e32 v15, 7, v15
	v_cmp_eq_u16_e32 vcc, 0, v20
	v_cndmask_b32_e32 v10, v10, v15, vcc
	v_cndmask_b32_e32 v15, v21, v22, vcc
	v_mov_b32_e32 v20, 0x3b800000
	v_lshlrev_b32_e32 v10, 20, v10
	v_lshl_add_u32 v15, v15, 23, v20
	v_or3_b32 v10, v14, v15, v10
.LBB22_1596:
	s_or_b64 exec, exec, s[6:7]
	s_movk_i32 s4, 0x7f
	v_cmp_gt_i16_sdwa s[6:7], v11, s4 src0_sel:BYTE_3 src1_sel:DWORD
	s_mov_b64 s[4:5], 0
                                        ; implicit-def: $sgpr10
	s_and_saveexec_b64 s[8:9], s[6:7]
	s_xor_b64 s[6:7], exec, s[8:9]
	s_cbranch_execnz .LBB22_3645
; %bb.1597:
	s_or_saveexec_b64 s[6:7], s[6:7]
	v_mov_b32_e32 v14, s10
	s_xor_b64 exec, exec, s[6:7]
	s_cbranch_execnz .LBB22_3648
.LBB22_1598:
	s_or_b64 exec, exec, s[6:7]
	s_and_saveexec_b64 s[6:7], s[4:5]
	s_cbranch_execz .LBB22_1600
.LBB22_1599:
	v_bfe_u32 v14, v11, 24, 3
	v_ffbh_u32_e32 v22, v14
	v_min_u32_e32 v22, 32, v22
	v_lshrrev_b32_e32 v20, 27, v11
	v_subrev_u32_e32 v23, 28, v22
	v_and_b32_e32 v15, 0x80000000, v11
	v_and_b32_e32 v20, 15, v20
	v_bfe_u32 v21, v11, 27, 4
	v_lshlrev_b32_sdwa v11, v23, v11 dst_sel:DWORD dst_unused:UNUSED_PAD src0_sel:DWORD src1_sel:BYTE_3
	v_sub_u32_e32 v22, 29, v22
	v_and_b32_e32 v11, 7, v11
	v_cmp_eq_u16_e32 vcc, 0, v20
	v_cndmask_b32_e32 v11, v14, v11, vcc
	v_cndmask_b32_e32 v14, v21, v22, vcc
	v_mov_b32_e32 v20, 0x3b800000
	v_lshlrev_b32_e32 v11, 20, v11
	v_lshl_add_u32 v14, v14, 23, v20
	v_or3_b32 v14, v15, v14, v11
.LBB22_1600:
	s_or_b64 exec, exec, s[6:7]
	s_nop 0
	v_mfma_f32_16x16x4f32 a[0:3], v10, v14, a[0:3]
	s_movk_i32 s4, 0x7f
	v_cmp_gt_i16_sdwa s[6:7], v16, s4 src0_sel:BYTE_0 src1_sel:DWORD
	s_mov_b64 s[4:5], 0
                                        ; implicit-def: $sgpr10
	s_and_saveexec_b64 s[8:9], s[6:7]
	s_xor_b64 s[6:7], exec, s[8:9]
	s_cbranch_execnz .LBB22_3649
; %bb.1601:
	s_or_saveexec_b64 s[6:7], s[6:7]
	v_mov_b32_e32 v10, s10
	s_xor_b64 exec, exec, s[6:7]
	s_cbranch_execnz .LBB22_3652
.LBB22_1602:
	s_or_b64 exec, exec, s[6:7]
	s_and_saveexec_b64 s[6:7], s[4:5]
	s_cbranch_execz .LBB22_1604
.LBB22_1603:
	v_and_b32_e32 v10, 7, v16
	v_ffbh_u32_e32 v14, v10
	v_min_u32_e32 v14, 32, v14
	v_lshrrev_b16_e32 v11, 3, v16
	v_subrev_u32_e32 v15, 28, v14
	v_and_b32_e32 v11, 15, v11
	v_lshlrev_b32_e32 v15, v15, v16
	v_sub_u32_e32 v14, 29, v14
	v_and_b32_e32 v15, 7, v15
	v_cmp_eq_u16_e32 vcc, 0, v11
	v_cndmask_b32_e32 v10, v10, v15, vcc
	v_cndmask_b32_e32 v11, v11, v14, vcc
	v_lshlrev_b32_e32 v14, 24, v16
	v_mov_b32_e32 v15, 0x3b800000
	v_lshlrev_b32_e32 v10, 20, v10
	v_and_b32_e32 v14, 0x80000000, v14
	v_lshl_add_u32 v11, v11, 23, v15
	v_or3_b32 v10, v14, v11, v10
.LBB22_1604:
	s_or_b64 exec, exec, s[6:7]
	s_movk_i32 s4, 0x7f
	v_cmp_gt_i16_sdwa s[6:7], v12, s4 src0_sel:BYTE_0 src1_sel:DWORD
	s_mov_b64 s[4:5], 0
                                        ; implicit-def: $sgpr10
	s_and_saveexec_b64 s[8:9], s[6:7]
	s_xor_b64 s[6:7], exec, s[8:9]
	s_cbranch_execnz .LBB22_3653
; %bb.1605:
	s_or_saveexec_b64 s[6:7], s[6:7]
	v_mov_b32_e32 v11, s10
	s_xor_b64 exec, exec, s[6:7]
	s_cbranch_execnz .LBB22_3656
.LBB22_1606:
	s_or_b64 exec, exec, s[6:7]
	s_and_saveexec_b64 s[6:7], s[4:5]
	s_cbranch_execz .LBB22_1608
.LBB22_1607:
	v_and_b32_e32 v11, 7, v12
	v_ffbh_u32_e32 v15, v11
	v_min_u32_e32 v15, 32, v15
	v_lshrrev_b16_e32 v14, 3, v12
	v_subrev_u32_e32 v20, 28, v15
	v_and_b32_e32 v14, 15, v14
	v_lshlrev_b32_e32 v20, v20, v12
	v_sub_u32_e32 v15, 29, v15
	v_and_b32_e32 v20, 7, v20
	v_cmp_eq_u16_e32 vcc, 0, v14
	v_cndmask_b32_e32 v11, v11, v20, vcc
	v_cndmask_b32_e32 v14, v14, v15, vcc
	v_lshlrev_b32_e32 v15, 24, v12
	v_mov_b32_e32 v20, 0x3b800000
	v_lshlrev_b32_e32 v11, 20, v11
	v_and_b32_e32 v15, 0x80000000, v15
	v_lshl_add_u32 v14, v14, 23, v20
	v_or3_b32 v11, v15, v14, v11
.LBB22_1608:
	s_or_b64 exec, exec, s[6:7]
	s_nop 0
	v_mfma_f32_16x16x4f32 a[0:3], v10, v11, a[0:3]
	v_lshrrev_b32_e32 v11, 8, v16
	s_movk_i32 s4, 0x7f
	v_cmp_gt_i16_sdwa s[6:7], v11, s4 src0_sel:BYTE_0 src1_sel:DWORD
	s_mov_b64 s[4:5], 0
                                        ; implicit-def: $sgpr10
	s_and_saveexec_b64 s[8:9], s[6:7]
	s_xor_b64 s[6:7], exec, s[8:9]
	s_cbranch_execnz .LBB22_3657
; %bb.1609:
	s_or_saveexec_b64 s[6:7], s[6:7]
	v_mov_b32_e32 v10, s10
	s_xor_b64 exec, exec, s[6:7]
	s_cbranch_execnz .LBB22_3660
.LBB22_1610:
	s_or_b64 exec, exec, s[6:7]
	s_and_saveexec_b64 s[6:7], s[4:5]
	s_cbranch_execz .LBB22_1612
.LBB22_1611:
	v_bfe_u32 v10, v16, 8, 3
	v_ffbh_u32_e32 v15, v10
	v_min_u32_e32 v15, 32, v15
	v_lshrrev_b16_e32 v14, 3, v11
	v_subrev_u32_e32 v20, 28, v15
	v_and_b32_e32 v14, 15, v14
	v_lshlrev_b32_e32 v11, v20, v11
	v_sub_u32_e32 v15, 29, v15
	v_and_b32_e32 v11, 7, v11
	v_cmp_eq_u16_e32 vcc, 0, v14
	v_cndmask_b32_e32 v10, v10, v11, vcc
	v_cndmask_b32_e32 v11, v14, v15, vcc
	v_lshlrev_b32_e32 v14, 16, v16
	v_mov_b32_e32 v15, 0x3b800000
	v_lshlrev_b32_e32 v10, 20, v10
	v_and_b32_e32 v14, 0x80000000, v14
	v_lshl_add_u32 v11, v11, 23, v15
	v_or3_b32 v10, v14, v11, v10
.LBB22_1612:
	s_or_b64 exec, exec, s[6:7]
	v_lshrrev_b32_e32 v11, 8, v12
	s_movk_i32 s4, 0x7f
	v_cmp_gt_i16_sdwa s[6:7], v11, s4 src0_sel:BYTE_0 src1_sel:DWORD
	s_mov_b64 s[4:5], 0
                                        ; implicit-def: $sgpr10
	s_and_saveexec_b64 s[8:9], s[6:7]
	s_xor_b64 s[6:7], exec, s[8:9]
	s_cbranch_execnz .LBB22_3661
; %bb.1613:
	s_or_saveexec_b64 s[6:7], s[6:7]
	v_mov_b32_e32 v14, s10
	s_xor_b64 exec, exec, s[6:7]
	s_cbranch_execnz .LBB22_3664
.LBB22_1614:
	s_or_b64 exec, exec, s[6:7]
	s_and_saveexec_b64 s[6:7], s[4:5]
	s_cbranch_execz .LBB22_1616
.LBB22_1615:
	v_bfe_u32 v14, v12, 8, 3
	v_ffbh_u32_e32 v20, v14
	v_min_u32_e32 v20, 32, v20
	v_lshrrev_b16_e32 v15, 3, v11
	v_subrev_u32_e32 v21, 28, v20
	v_and_b32_e32 v15, 15, v15
	v_lshlrev_b32_e32 v11, v21, v11
	v_sub_u32_e32 v20, 29, v20
	v_and_b32_e32 v11, 7, v11
	v_cmp_eq_u16_e32 vcc, 0, v15
	v_cndmask_b32_e32 v11, v14, v11, vcc
	v_cndmask_b32_e32 v14, v15, v20, vcc
	v_lshlrev_b32_e32 v15, 16, v12
	v_mov_b32_e32 v20, 0x3b800000
	v_lshlrev_b32_e32 v11, 20, v11
	v_and_b32_e32 v15, 0x80000000, v15
	v_lshl_add_u32 v14, v14, 23, v20
	v_or3_b32 v14, v15, v14, v11
.LBB22_1616:
	s_or_b64 exec, exec, s[6:7]
	s_nop 0
	v_mfma_f32_16x16x4f32 a[0:3], v10, v14, a[0:3]
	s_movk_i32 s4, 0xff
	v_and_b32_sdwa v11, v16, s4 dst_sel:DWORD dst_unused:UNUSED_PAD src0_sel:WORD_1 src1_sel:DWORD
	s_movk_i32 s4, 0x7f
	v_cmp_lt_i16_e32 vcc, s4, v11
	s_mov_b64 s[4:5], 0
                                        ; implicit-def: $sgpr10
	s_and_saveexec_b64 s[6:7], vcc
	s_xor_b64 s[6:7], exec, s[6:7]
	s_cbranch_execnz .LBB22_3665
; %bb.1617:
	s_or_saveexec_b64 s[6:7], s[6:7]
	v_mov_b32_e32 v10, s10
	s_xor_b64 exec, exec, s[6:7]
	s_cbranch_execnz .LBB22_3668
.LBB22_1618:
	s_or_b64 exec, exec, s[6:7]
	s_and_saveexec_b64 s[6:7], s[4:5]
	s_cbranch_execz .LBB22_1620
.LBB22_1619:
	v_bfe_u32 v10, v16, 16, 3
	v_ffbh_u32_e32 v15, v10
	v_min_u32_e32 v15, 32, v15
	v_lshrrev_b32_e32 v11, 19, v16
	v_subrev_u32_e32 v20, 28, v15
	v_and_b32_e32 v11, 15, v11
	v_lshlrev_b32_sdwa v20, v20, v16 dst_sel:DWORD dst_unused:UNUSED_PAD src0_sel:DWORD src1_sel:WORD_1
	v_bfe_u32 v14, v16, 19, 4
	v_sub_u32_e32 v15, 29, v15
	v_and_b32_e32 v20, 7, v20
	v_cmp_eq_u16_e32 vcc, 0, v11
	v_cndmask_b32_e32 v10, v10, v20, vcc
	v_cndmask_b32_e32 v11, v14, v15, vcc
	v_lshlrev_b32_e32 v14, 8, v16
	v_mov_b32_e32 v15, 0x3b800000
	v_lshlrev_b32_e32 v10, 20, v10
	v_and_b32_e32 v14, 0x80000000, v14
	v_lshl_add_u32 v11, v11, 23, v15
	v_or3_b32 v10, v14, v11, v10
.LBB22_1620:
	s_or_b64 exec, exec, s[6:7]
	s_movk_i32 s4, 0xff
	v_and_b32_sdwa v11, v12, s4 dst_sel:DWORD dst_unused:UNUSED_PAD src0_sel:WORD_1 src1_sel:DWORD
	s_movk_i32 s4, 0x7f
	v_cmp_lt_i16_e32 vcc, s4, v11
	s_mov_b64 s[4:5], 0
                                        ; implicit-def: $sgpr10
	s_and_saveexec_b64 s[6:7], vcc
	s_xor_b64 s[6:7], exec, s[6:7]
	s_cbranch_execnz .LBB22_3669
; %bb.1621:
	s_or_saveexec_b64 s[6:7], s[6:7]
	v_mov_b32_e32 v14, s10
	s_xor_b64 exec, exec, s[6:7]
	s_cbranch_execnz .LBB22_3672
.LBB22_1622:
	s_or_b64 exec, exec, s[6:7]
	s_and_saveexec_b64 s[6:7], s[4:5]
	s_cbranch_execz .LBB22_1624
.LBB22_1623:
	v_bfe_u32 v11, v12, 16, 3
	v_ffbh_u32_e32 v20, v11
	v_min_u32_e32 v20, 32, v20
	v_lshrrev_b32_e32 v14, 19, v12
	v_subrev_u32_e32 v21, 28, v20
	v_and_b32_e32 v14, 15, v14
	v_lshlrev_b32_sdwa v21, v21, v12 dst_sel:DWORD dst_unused:UNUSED_PAD src0_sel:DWORD src1_sel:WORD_1
	v_bfe_u32 v15, v12, 19, 4
	v_sub_u32_e32 v20, 29, v20
	v_and_b32_e32 v21, 7, v21
	v_cmp_eq_u16_e32 vcc, 0, v14
	v_cndmask_b32_e32 v11, v11, v21, vcc
	v_cndmask_b32_e32 v14, v15, v20, vcc
	v_lshlrev_b32_e32 v15, 8, v12
	v_mov_b32_e32 v20, 0x3b800000
	v_lshlrev_b32_e32 v11, 20, v11
	v_and_b32_e32 v15, 0x80000000, v15
	v_lshl_add_u32 v14, v14, 23, v20
	v_or3_b32 v14, v15, v14, v11
.LBB22_1624:
	s_or_b64 exec, exec, s[6:7]
	s_nop 0
	v_mfma_f32_16x16x4f32 a[0:3], v10, v14, a[0:3]
	s_movk_i32 s4, 0x7f
	v_cmp_gt_i16_sdwa s[6:7], v16, s4 src0_sel:BYTE_3 src1_sel:DWORD
	s_mov_b64 s[4:5], 0
                                        ; implicit-def: $sgpr10
	s_and_saveexec_b64 s[8:9], s[6:7]
	s_xor_b64 s[6:7], exec, s[8:9]
	s_cbranch_execnz .LBB22_3673
; %bb.1625:
	s_or_saveexec_b64 s[6:7], s[6:7]
	v_mov_b32_e32 v10, s10
	s_xor_b64 exec, exec, s[6:7]
	s_cbranch_execnz .LBB22_3676
.LBB22_1626:
	s_or_b64 exec, exec, s[6:7]
	s_and_saveexec_b64 s[6:7], s[4:5]
	s_cbranch_execz .LBB22_1628
.LBB22_1627:
	v_bfe_u32 v10, v16, 24, 3
	v_ffbh_u32_e32 v20, v10
	v_min_u32_e32 v20, 32, v20
	v_lshrrev_b32_e32 v14, 27, v16
	v_subrev_u32_e32 v21, 28, v20
	v_and_b32_e32 v11, 0x80000000, v16
	v_and_b32_e32 v14, 15, v14
	v_bfe_u32 v15, v16, 27, 4
	v_lshlrev_b32_sdwa v16, v21, v16 dst_sel:DWORD dst_unused:UNUSED_PAD src0_sel:DWORD src1_sel:BYTE_3
	v_sub_u32_e32 v20, 29, v20
	v_and_b32_e32 v16, 7, v16
	v_cmp_eq_u16_e32 vcc, 0, v14
	v_cndmask_b32_e32 v10, v10, v16, vcc
	v_cndmask_b32_e32 v14, v15, v20, vcc
	v_mov_b32_e32 v15, 0x3b800000
	v_lshlrev_b32_e32 v10, 20, v10
	v_lshl_add_u32 v14, v14, 23, v15
	v_or3_b32 v10, v11, v14, v10
.LBB22_1628:
	s_or_b64 exec, exec, s[6:7]
	s_movk_i32 s4, 0x7f
	v_cmp_gt_i16_sdwa s[6:7], v12, s4 src0_sel:BYTE_3 src1_sel:DWORD
	s_mov_b64 s[4:5], 0
                                        ; implicit-def: $sgpr10
	s_and_saveexec_b64 s[8:9], s[6:7]
	s_xor_b64 s[6:7], exec, s[8:9]
	s_cbranch_execnz .LBB22_3677
; %bb.1629:
	s_or_saveexec_b64 s[6:7], s[6:7]
	v_mov_b32_e32 v11, s10
	s_xor_b64 exec, exec, s[6:7]
	s_cbranch_execnz .LBB22_3680
.LBB22_1630:
	s_or_b64 exec, exec, s[6:7]
	s_and_saveexec_b64 s[6:7], s[4:5]
	s_cbranch_execz .LBB22_1632
.LBB22_1631:
	v_bfe_u32 v11, v12, 24, 3
	v_ffbh_u32_e32 v20, v11
	v_min_u32_e32 v20, 32, v20
	v_lshrrev_b32_e32 v15, 27, v12
	v_subrev_u32_e32 v21, 28, v20
	v_and_b32_e32 v14, 0x80000000, v12
	v_and_b32_e32 v15, 15, v15
	v_bfe_u32 v16, v12, 27, 4
	v_lshlrev_b32_sdwa v12, v21, v12 dst_sel:DWORD dst_unused:UNUSED_PAD src0_sel:DWORD src1_sel:BYTE_3
	v_sub_u32_e32 v20, 29, v20
	v_and_b32_e32 v12, 7, v12
	v_cmp_eq_u16_e32 vcc, 0, v15
	v_cndmask_b32_e32 v11, v11, v12, vcc
	v_cndmask_b32_e32 v12, v16, v20, vcc
	v_mov_b32_e32 v15, 0x3b800000
	v_lshlrev_b32_e32 v11, 20, v11
	v_lshl_add_u32 v12, v12, 23, v15
	v_or3_b32 v11, v14, v12, v11
.LBB22_1632:
	s_or_b64 exec, exec, s[6:7]
	s_nop 0
	v_mfma_f32_16x16x4f32 a[0:3], v10, v11, a[0:3]
	s_movk_i32 s4, 0x7f
	v_cmp_gt_i16_sdwa s[6:7], v17, s4 src0_sel:BYTE_0 src1_sel:DWORD
	s_mov_b64 s[4:5], 0
                                        ; implicit-def: $sgpr10
	s_and_saveexec_b64 s[8:9], s[6:7]
	s_xor_b64 s[6:7], exec, s[8:9]
	s_cbranch_execnz .LBB22_3681
; %bb.1633:
	s_or_saveexec_b64 s[6:7], s[6:7]
	v_mov_b32_e32 v10, s10
	s_xor_b64 exec, exec, s[6:7]
	s_cbranch_execnz .LBB22_3684
.LBB22_1634:
	s_or_b64 exec, exec, s[6:7]
	s_and_saveexec_b64 s[6:7], s[4:5]
	s_cbranch_execz .LBB22_1636
.LBB22_1635:
	v_and_b32_e32 v10, 7, v17
	v_ffbh_u32_e32 v12, v10
	v_min_u32_e32 v12, 32, v12
	v_lshrrev_b16_e32 v11, 3, v17
	v_subrev_u32_e32 v14, 28, v12
	v_and_b32_e32 v11, 15, v11
	v_lshlrev_b32_e32 v14, v14, v17
	v_sub_u32_e32 v12, 29, v12
	v_and_b32_e32 v14, 7, v14
	v_cmp_eq_u16_e32 vcc, 0, v11
	v_cndmask_b32_e32 v10, v10, v14, vcc
	v_cndmask_b32_e32 v11, v11, v12, vcc
	v_lshlrev_b32_e32 v12, 24, v17
	v_mov_b32_e32 v14, 0x3b800000
	v_lshlrev_b32_e32 v10, 20, v10
	v_and_b32_e32 v12, 0x80000000, v12
	v_lshl_add_u32 v11, v11, 23, v14
	v_or3_b32 v10, v12, v11, v10
.LBB22_1636:
	s_or_b64 exec, exec, s[6:7]
	s_movk_i32 s4, 0x7f
	v_cmp_gt_i16_sdwa s[6:7], v13, s4 src0_sel:BYTE_0 src1_sel:DWORD
	s_mov_b64 s[4:5], 0
                                        ; implicit-def: $sgpr10
	s_and_saveexec_b64 s[8:9], s[6:7]
	s_xor_b64 s[6:7], exec, s[8:9]
	s_cbranch_execnz .LBB22_3685
; %bb.1637:
	s_or_saveexec_b64 s[6:7], s[6:7]
	v_mov_b32_e32 v11, s10
	s_xor_b64 exec, exec, s[6:7]
	s_cbranch_execnz .LBB22_3688
.LBB22_1638:
	s_or_b64 exec, exec, s[6:7]
	s_and_saveexec_b64 s[6:7], s[4:5]
	s_cbranch_execz .LBB22_1640
.LBB22_1639:
	v_and_b32_e32 v11, 7, v13
	v_ffbh_u32_e32 v14, v11
	v_min_u32_e32 v14, 32, v14
	v_lshrrev_b16_e32 v12, 3, v13
	v_subrev_u32_e32 v15, 28, v14
	v_and_b32_e32 v12, 15, v12
	v_lshlrev_b32_e32 v15, v15, v13
	v_sub_u32_e32 v14, 29, v14
	v_and_b32_e32 v15, 7, v15
	v_cmp_eq_u16_e32 vcc, 0, v12
	v_cndmask_b32_e32 v11, v11, v15, vcc
	v_cndmask_b32_e32 v12, v12, v14, vcc
	v_lshlrev_b32_e32 v14, 24, v13
	v_mov_b32_e32 v15, 0x3b800000
	v_lshlrev_b32_e32 v11, 20, v11
	v_and_b32_e32 v14, 0x80000000, v14
	v_lshl_add_u32 v12, v12, 23, v15
	v_or3_b32 v11, v14, v12, v11
.LBB22_1640:
	s_or_b64 exec, exec, s[6:7]
	s_nop 0
	v_mfma_f32_16x16x4f32 a[0:3], v10, v11, a[0:3]
	v_lshrrev_b32_e32 v11, 8, v17
	s_movk_i32 s4, 0x7f
	v_cmp_gt_i16_sdwa s[6:7], v11, s4 src0_sel:BYTE_0 src1_sel:DWORD
	s_mov_b64 s[4:5], 0
                                        ; implicit-def: $sgpr10
	s_and_saveexec_b64 s[8:9], s[6:7]
	s_xor_b64 s[6:7], exec, s[8:9]
	s_cbranch_execnz .LBB22_3689
; %bb.1641:
	s_or_saveexec_b64 s[6:7], s[6:7]
	v_mov_b32_e32 v10, s10
	s_xor_b64 exec, exec, s[6:7]
	s_cbranch_execnz .LBB22_3692
.LBB22_1642:
	s_or_b64 exec, exec, s[6:7]
	s_and_saveexec_b64 s[6:7], s[4:5]
	s_cbranch_execz .LBB22_1644
.LBB22_1643:
	v_bfe_u32 v10, v17, 8, 3
	v_ffbh_u32_e32 v14, v10
	v_min_u32_e32 v14, 32, v14
	v_lshrrev_b16_e32 v12, 3, v11
	v_subrev_u32_e32 v15, 28, v14
	v_and_b32_e32 v12, 15, v12
	v_lshlrev_b32_e32 v11, v15, v11
	v_sub_u32_e32 v14, 29, v14
	v_and_b32_e32 v11, 7, v11
	v_cmp_eq_u16_e32 vcc, 0, v12
	v_cndmask_b32_e32 v10, v10, v11, vcc
	v_cndmask_b32_e32 v11, v12, v14, vcc
	v_lshlrev_b32_e32 v12, 16, v17
	v_mov_b32_e32 v14, 0x3b800000
	v_lshlrev_b32_e32 v10, 20, v10
	v_and_b32_e32 v12, 0x80000000, v12
	v_lshl_add_u32 v11, v11, 23, v14
	v_or3_b32 v10, v12, v11, v10
.LBB22_1644:
	s_or_b64 exec, exec, s[6:7]
	v_lshrrev_b32_e32 v11, 8, v13
	s_movk_i32 s4, 0x7f
	v_cmp_gt_i16_sdwa s[6:7], v11, s4 src0_sel:BYTE_0 src1_sel:DWORD
	s_mov_b64 s[4:5], 0
                                        ; implicit-def: $sgpr10
	s_and_saveexec_b64 s[8:9], s[6:7]
	s_xor_b64 s[6:7], exec, s[8:9]
	s_cbranch_execnz .LBB22_3693
; %bb.1645:
	s_or_saveexec_b64 s[6:7], s[6:7]
	v_mov_b32_e32 v12, s10
	s_xor_b64 exec, exec, s[6:7]
	s_cbranch_execnz .LBB22_3696
.LBB22_1646:
	s_or_b64 exec, exec, s[6:7]
	s_and_saveexec_b64 s[6:7], s[4:5]
	s_cbranch_execz .LBB22_1648
.LBB22_1647:
	v_bfe_u32 v12, v13, 8, 3
	v_ffbh_u32_e32 v15, v12
	v_min_u32_e32 v15, 32, v15
	v_lshrrev_b16_e32 v14, 3, v11
	v_subrev_u32_e32 v16, 28, v15
	v_and_b32_e32 v14, 15, v14
	v_lshlrev_b32_e32 v11, v16, v11
	v_sub_u32_e32 v15, 29, v15
	v_and_b32_e32 v11, 7, v11
	v_cmp_eq_u16_e32 vcc, 0, v14
	v_cndmask_b32_e32 v11, v12, v11, vcc
	v_cndmask_b32_e32 v12, v14, v15, vcc
	v_lshlrev_b32_e32 v14, 16, v13
	v_mov_b32_e32 v15, 0x3b800000
	v_lshlrev_b32_e32 v11, 20, v11
	v_and_b32_e32 v14, 0x80000000, v14
	v_lshl_add_u32 v12, v12, 23, v15
	v_or3_b32 v12, v14, v12, v11
.LBB22_1648:
	s_or_b64 exec, exec, s[6:7]
	s_nop 0
	v_mfma_f32_16x16x4f32 a[0:3], v10, v12, a[0:3]
	s_movk_i32 s4, 0xff
	v_and_b32_sdwa v11, v17, s4 dst_sel:DWORD dst_unused:UNUSED_PAD src0_sel:WORD_1 src1_sel:DWORD
	s_movk_i32 s4, 0x7f
	v_cmp_lt_i16_e32 vcc, s4, v11
	s_mov_b64 s[4:5], 0
                                        ; implicit-def: $sgpr10
	s_and_saveexec_b64 s[6:7], vcc
	s_xor_b64 s[6:7], exec, s[6:7]
	s_cbranch_execnz .LBB22_3697
; %bb.1649:
	s_or_saveexec_b64 s[6:7], s[6:7]
	v_mov_b32_e32 v10, s10
	s_xor_b64 exec, exec, s[6:7]
	s_cbranch_execnz .LBB22_3700
.LBB22_1650:
	s_or_b64 exec, exec, s[6:7]
	s_and_saveexec_b64 s[6:7], s[4:5]
	s_cbranch_execz .LBB22_1652
.LBB22_1651:
	v_bfe_u32 v10, v17, 16, 3
	v_ffbh_u32_e32 v14, v10
	v_min_u32_e32 v14, 32, v14
	v_lshrrev_b32_e32 v11, 19, v17
	v_subrev_u32_e32 v15, 28, v14
	v_and_b32_e32 v11, 15, v11
	v_lshlrev_b32_sdwa v15, v15, v17 dst_sel:DWORD dst_unused:UNUSED_PAD src0_sel:DWORD src1_sel:WORD_1
	v_bfe_u32 v12, v17, 19, 4
	v_sub_u32_e32 v14, 29, v14
	v_and_b32_e32 v15, 7, v15
	v_cmp_eq_u16_e32 vcc, 0, v11
	v_cndmask_b32_e32 v10, v10, v15, vcc
	v_cndmask_b32_e32 v11, v12, v14, vcc
	v_lshlrev_b32_e32 v12, 8, v17
	v_mov_b32_e32 v14, 0x3b800000
	v_lshlrev_b32_e32 v10, 20, v10
	v_and_b32_e32 v12, 0x80000000, v12
	v_lshl_add_u32 v11, v11, 23, v14
	v_or3_b32 v10, v12, v11, v10
.LBB22_1652:
	s_or_b64 exec, exec, s[6:7]
	s_movk_i32 s4, 0xff
	v_and_b32_sdwa v11, v13, s4 dst_sel:DWORD dst_unused:UNUSED_PAD src0_sel:WORD_1 src1_sel:DWORD
	s_movk_i32 s4, 0x7f
	v_cmp_lt_i16_e32 vcc, s4, v11
	s_mov_b64 s[4:5], 0
                                        ; implicit-def: $sgpr10
	s_and_saveexec_b64 s[6:7], vcc
	s_xor_b64 s[6:7], exec, s[6:7]
	s_cbranch_execnz .LBB22_3701
; %bb.1653:
	s_or_saveexec_b64 s[6:7], s[6:7]
	v_mov_b32_e32 v12, s10
	s_xor_b64 exec, exec, s[6:7]
	s_cbranch_execnz .LBB22_3704
.LBB22_1654:
	s_or_b64 exec, exec, s[6:7]
	s_and_saveexec_b64 s[6:7], s[4:5]
	s_cbranch_execz .LBB22_1656
.LBB22_1655:
	v_bfe_u32 v11, v13, 16, 3
	v_ffbh_u32_e32 v15, v11
	v_min_u32_e32 v15, 32, v15
	v_lshrrev_b32_e32 v12, 19, v13
	v_subrev_u32_e32 v16, 28, v15
	v_and_b32_e32 v12, 15, v12
	v_lshlrev_b32_sdwa v16, v16, v13 dst_sel:DWORD dst_unused:UNUSED_PAD src0_sel:DWORD src1_sel:WORD_1
	v_bfe_u32 v14, v13, 19, 4
	v_sub_u32_e32 v15, 29, v15
	v_and_b32_e32 v16, 7, v16
	v_cmp_eq_u16_e32 vcc, 0, v12
	v_cndmask_b32_e32 v11, v11, v16, vcc
	v_cndmask_b32_e32 v12, v14, v15, vcc
	v_lshlrev_b32_e32 v14, 8, v13
	v_mov_b32_e32 v15, 0x3b800000
	v_lshlrev_b32_e32 v11, 20, v11
	v_and_b32_e32 v14, 0x80000000, v14
	v_lshl_add_u32 v12, v12, 23, v15
	v_or3_b32 v12, v14, v12, v11
.LBB22_1656:
	s_or_b64 exec, exec, s[6:7]
	s_nop 0
	v_mfma_f32_16x16x4f32 a[0:3], v10, v12, a[0:3]
	s_movk_i32 s4, 0x7f
	v_cmp_gt_i16_sdwa s[6:7], v17, s4 src0_sel:BYTE_3 src1_sel:DWORD
	s_mov_b64 s[4:5], 0
                                        ; implicit-def: $sgpr10
	s_and_saveexec_b64 s[8:9], s[6:7]
	s_xor_b64 s[6:7], exec, s[8:9]
	s_cbranch_execnz .LBB22_3705
; %bb.1657:
	s_or_saveexec_b64 s[6:7], s[6:7]
	v_mov_b32_e32 v10, s10
	s_xor_b64 exec, exec, s[6:7]
	s_cbranch_execnz .LBB22_3708
.LBB22_1658:
	s_or_b64 exec, exec, s[6:7]
	s_and_saveexec_b64 s[6:7], s[4:5]
	s_cbranch_execz .LBB22_1660
.LBB22_1659:
	v_bfe_u32 v10, v17, 24, 3
	v_ffbh_u32_e32 v15, v10
	v_min_u32_e32 v15, 32, v15
	v_lshrrev_b32_e32 v12, 27, v17
	v_subrev_u32_e32 v16, 28, v15
	v_and_b32_e32 v12, 15, v12
	v_lshlrev_b32_sdwa v16, v16, v17 dst_sel:DWORD dst_unused:UNUSED_PAD src0_sel:DWORD src1_sel:BYTE_3
	v_bfe_u32 v14, v17, 27, 4
	v_sub_u32_e32 v15, 29, v15
	v_and_b32_e32 v16, 7, v16
	v_cmp_eq_u16_e32 vcc, 0, v12
	v_cndmask_b32_e32 v10, v10, v16, vcc
	v_cndmask_b32_e32 v12, v14, v15, vcc
	v_mov_b32_e32 v14, 0x3b800000
	v_and_b32_e32 v11, 0x80000000, v17
	v_lshlrev_b32_e32 v10, 20, v10
	v_lshl_add_u32 v12, v12, 23, v14
	v_or3_b32 v10, v11, v12, v10
.LBB22_1660:
	s_or_b64 exec, exec, s[6:7]
	s_movk_i32 s4, 0x7f
	v_cmp_gt_i16_sdwa s[6:7], v13, s4 src0_sel:BYTE_3 src1_sel:DWORD
	s_mov_b64 s[4:5], 0
                                        ; implicit-def: $sgpr10
	s_and_saveexec_b64 s[8:9], s[6:7]
	s_xor_b64 s[6:7], exec, s[8:9]
	s_cbranch_execnz .LBB22_3709
; %bb.1661:
	s_or_saveexec_b64 s[6:7], s[6:7]
	v_mov_b32_e32 v11, s10
	s_xor_b64 exec, exec, s[6:7]
	s_cbranch_execnz .LBB22_3712
.LBB22_1662:
	s_or_b64 exec, exec, s[6:7]
	s_and_saveexec_b64 s[6:7], s[4:5]
	s_cbranch_execz .LBB22_1664
.LBB22_1663:
	v_bfe_u32 v11, v13, 24, 3
	v_ffbh_u32_e32 v16, v11
	v_min_u32_e32 v16, 32, v16
	v_lshrrev_b32_e32 v14, 27, v13
	v_subrev_u32_e32 v17, 28, v16
	v_and_b32_e32 v12, 0x80000000, v13
	v_and_b32_e32 v14, 15, v14
	v_bfe_u32 v15, v13, 27, 4
	v_lshlrev_b32_sdwa v13, v17, v13 dst_sel:DWORD dst_unused:UNUSED_PAD src0_sel:DWORD src1_sel:BYTE_3
	v_sub_u32_e32 v16, 29, v16
	v_and_b32_e32 v13, 7, v13
	v_cmp_eq_u16_e32 vcc, 0, v14
	v_cndmask_b32_e32 v11, v11, v13, vcc
	v_cndmask_b32_e32 v13, v15, v16, vcc
	v_mov_b32_e32 v14, 0x3b800000
	v_lshlrev_b32_e32 v11, 20, v11
	v_lshl_add_u32 v13, v13, 23, v14
	v_or3_b32 v11, v12, v13, v11
.LBB22_1664:
	s_or_b64 exec, exec, s[6:7]
	s_nop 0
	v_mfma_f32_16x16x4f32 a[0:3], v10, v11, a[0:3]
	s_movk_i32 s4, 0x7f
	v_cmp_gt_i16_sdwa s[6:7], v6, s4 src0_sel:BYTE_0 src1_sel:DWORD
	s_mov_b64 s[4:5], 0
                                        ; implicit-def: $sgpr10
	s_and_saveexec_b64 s[8:9], s[6:7]
	s_xor_b64 s[6:7], exec, s[8:9]
	s_cbranch_execnz .LBB22_3713
; %bb.1665:
	s_or_saveexec_b64 s[6:7], s[6:7]
	v_mov_b32_e32 v10, s10
	s_xor_b64 exec, exec, s[6:7]
	s_cbranch_execnz .LBB22_3716
.LBB22_1666:
	s_or_b64 exec, exec, s[6:7]
	s_and_saveexec_b64 s[6:7], s[4:5]
	s_cbranch_execz .LBB22_1668
.LBB22_1667:
	v_and_b32_e32 v10, 7, v6
	v_ffbh_u32_e32 v12, v10
	v_min_u32_e32 v12, 32, v12
	v_lshrrev_b16_e32 v11, 3, v6
	v_subrev_u32_e32 v13, 28, v12
	v_and_b32_e32 v11, 15, v11
	v_lshlrev_b32_e32 v13, v13, v6
	v_sub_u32_e32 v12, 29, v12
	v_and_b32_e32 v13, 7, v13
	v_cmp_eq_u16_e32 vcc, 0, v11
	v_cndmask_b32_e32 v10, v10, v13, vcc
	v_cndmask_b32_e32 v11, v11, v12, vcc
	v_lshlrev_b32_e32 v12, 24, v6
	v_mov_b32_e32 v13, 0x3b800000
	v_lshlrev_b32_e32 v10, 20, v10
	v_and_b32_e32 v12, 0x80000000, v12
	v_lshl_add_u32 v11, v11, 23, v13
	v_or3_b32 v10, v12, v11, v10
.LBB22_1668:
	s_or_b64 exec, exec, s[6:7]
	s_movk_i32 s4, 0x7f
	v_cmp_gt_i16_sdwa s[6:7], v2, s4 src0_sel:BYTE_0 src1_sel:DWORD
	s_mov_b64 s[4:5], 0
                                        ; implicit-def: $sgpr10
	s_and_saveexec_b64 s[8:9], s[6:7]
	s_xor_b64 s[6:7], exec, s[8:9]
	s_cbranch_execnz .LBB22_3717
; %bb.1669:
	s_or_saveexec_b64 s[6:7], s[6:7]
	v_mov_b32_e32 v11, s10
	s_xor_b64 exec, exec, s[6:7]
	s_cbranch_execnz .LBB22_3720
.LBB22_1670:
	s_or_b64 exec, exec, s[6:7]
	s_and_saveexec_b64 s[6:7], s[4:5]
	s_cbranch_execz .LBB22_1672
.LBB22_1671:
	v_and_b32_e32 v11, 7, v2
	v_ffbh_u32_e32 v13, v11
	v_min_u32_e32 v13, 32, v13
	v_lshrrev_b16_e32 v12, 3, v2
	v_subrev_u32_e32 v14, 28, v13
	v_and_b32_e32 v12, 15, v12
	v_lshlrev_b32_e32 v14, v14, v2
	v_sub_u32_e32 v13, 29, v13
	v_and_b32_e32 v14, 7, v14
	v_cmp_eq_u16_e32 vcc, 0, v12
	v_cndmask_b32_e32 v11, v11, v14, vcc
	v_cndmask_b32_e32 v12, v12, v13, vcc
	v_lshlrev_b32_e32 v13, 24, v2
	v_mov_b32_e32 v14, 0x3b800000
	v_lshlrev_b32_e32 v11, 20, v11
	v_and_b32_e32 v13, 0x80000000, v13
	v_lshl_add_u32 v12, v12, 23, v14
	v_or3_b32 v11, v13, v12, v11
.LBB22_1672:
	s_or_b64 exec, exec, s[6:7]
	s_nop 0
	v_mfma_f32_16x16x4f32 a[0:3], v10, v11, a[0:3]
	v_lshrrev_b32_e32 v11, 8, v6
	s_movk_i32 s4, 0x7f
	v_cmp_gt_i16_sdwa s[6:7], v11, s4 src0_sel:BYTE_0 src1_sel:DWORD
	s_mov_b64 s[4:5], 0
                                        ; implicit-def: $sgpr10
	s_and_saveexec_b64 s[8:9], s[6:7]
	s_xor_b64 s[6:7], exec, s[8:9]
	s_cbranch_execnz .LBB22_3721
; %bb.1673:
	s_or_saveexec_b64 s[6:7], s[6:7]
	v_mov_b32_e32 v10, s10
	s_xor_b64 exec, exec, s[6:7]
	s_cbranch_execnz .LBB22_3724
.LBB22_1674:
	s_or_b64 exec, exec, s[6:7]
	s_and_saveexec_b64 s[6:7], s[4:5]
	s_cbranch_execz .LBB22_1676
.LBB22_1675:
	v_bfe_u32 v10, v6, 8, 3
	v_ffbh_u32_e32 v13, v10
	v_min_u32_e32 v13, 32, v13
	v_lshrrev_b16_e32 v12, 3, v11
	v_subrev_u32_e32 v14, 28, v13
	v_and_b32_e32 v12, 15, v12
	v_lshlrev_b32_e32 v11, v14, v11
	v_sub_u32_e32 v13, 29, v13
	v_and_b32_e32 v11, 7, v11
	v_cmp_eq_u16_e32 vcc, 0, v12
	v_cndmask_b32_e32 v10, v10, v11, vcc
	v_cndmask_b32_e32 v11, v12, v13, vcc
	v_lshlrev_b32_e32 v12, 16, v6
	v_mov_b32_e32 v13, 0x3b800000
	v_lshlrev_b32_e32 v10, 20, v10
	v_and_b32_e32 v12, 0x80000000, v12
	v_lshl_add_u32 v11, v11, 23, v13
	v_or3_b32 v10, v12, v11, v10
.LBB22_1676:
	s_or_b64 exec, exec, s[6:7]
	v_lshrrev_b32_e32 v11, 8, v2
	s_movk_i32 s4, 0x7f
	v_cmp_gt_i16_sdwa s[6:7], v11, s4 src0_sel:BYTE_0 src1_sel:DWORD
	s_mov_b64 s[4:5], 0
                                        ; implicit-def: $sgpr10
	s_and_saveexec_b64 s[8:9], s[6:7]
	s_xor_b64 s[6:7], exec, s[8:9]
	s_cbranch_execnz .LBB22_3725
; %bb.1677:
	s_or_saveexec_b64 s[6:7], s[6:7]
	v_mov_b32_e32 v12, s10
	s_xor_b64 exec, exec, s[6:7]
	s_cbranch_execnz .LBB22_3728
.LBB22_1678:
	s_or_b64 exec, exec, s[6:7]
	s_and_saveexec_b64 s[6:7], s[4:5]
	s_cbranch_execz .LBB22_1680
.LBB22_1679:
	v_bfe_u32 v12, v2, 8, 3
	v_ffbh_u32_e32 v14, v12
	v_min_u32_e32 v14, 32, v14
	v_lshrrev_b16_e32 v13, 3, v11
	v_subrev_u32_e32 v15, 28, v14
	v_and_b32_e32 v13, 15, v13
	v_lshlrev_b32_e32 v11, v15, v11
	v_sub_u32_e32 v14, 29, v14
	v_and_b32_e32 v11, 7, v11
	v_cmp_eq_u16_e32 vcc, 0, v13
	v_cndmask_b32_e32 v11, v12, v11, vcc
	v_cndmask_b32_e32 v12, v13, v14, vcc
	v_lshlrev_b32_e32 v13, 16, v2
	v_mov_b32_e32 v14, 0x3b800000
	v_lshlrev_b32_e32 v11, 20, v11
	v_and_b32_e32 v13, 0x80000000, v13
	v_lshl_add_u32 v12, v12, 23, v14
	v_or3_b32 v12, v13, v12, v11
.LBB22_1680:
	s_or_b64 exec, exec, s[6:7]
	s_nop 0
	v_mfma_f32_16x16x4f32 a[0:3], v10, v12, a[0:3]
	s_movk_i32 s4, 0xff
	v_and_b32_sdwa v11, v6, s4 dst_sel:DWORD dst_unused:UNUSED_PAD src0_sel:WORD_1 src1_sel:DWORD
	s_movk_i32 s4, 0x7f
	v_cmp_lt_i16_e32 vcc, s4, v11
	s_mov_b64 s[4:5], 0
                                        ; implicit-def: $sgpr10
	s_and_saveexec_b64 s[6:7], vcc
	s_xor_b64 s[6:7], exec, s[6:7]
	s_cbranch_execnz .LBB22_3729
; %bb.1681:
	s_or_saveexec_b64 s[6:7], s[6:7]
	v_mov_b32_e32 v10, s10
	s_xor_b64 exec, exec, s[6:7]
	s_cbranch_execnz .LBB22_3732
.LBB22_1682:
	s_or_b64 exec, exec, s[6:7]
	s_and_saveexec_b64 s[6:7], s[4:5]
	s_cbranch_execz .LBB22_1684
.LBB22_1683:
	v_bfe_u32 v10, v6, 16, 3
	v_ffbh_u32_e32 v13, v10
	v_min_u32_e32 v13, 32, v13
	v_lshrrev_b32_e32 v11, 19, v6
	v_subrev_u32_e32 v14, 28, v13
	v_and_b32_e32 v11, 15, v11
	v_lshlrev_b32_sdwa v14, v14, v6 dst_sel:DWORD dst_unused:UNUSED_PAD src0_sel:DWORD src1_sel:WORD_1
	v_bfe_u32 v12, v6, 19, 4
	v_sub_u32_e32 v13, 29, v13
	v_and_b32_e32 v14, 7, v14
	v_cmp_eq_u16_e32 vcc, 0, v11
	v_cndmask_b32_e32 v10, v10, v14, vcc
	v_cndmask_b32_e32 v11, v12, v13, vcc
	v_lshlrev_b32_e32 v12, 8, v6
	v_mov_b32_e32 v13, 0x3b800000
	v_lshlrev_b32_e32 v10, 20, v10
	v_and_b32_e32 v12, 0x80000000, v12
	v_lshl_add_u32 v11, v11, 23, v13
	v_or3_b32 v10, v12, v11, v10
.LBB22_1684:
	s_or_b64 exec, exec, s[6:7]
	s_movk_i32 s4, 0xff
	v_and_b32_sdwa v11, v2, s4 dst_sel:DWORD dst_unused:UNUSED_PAD src0_sel:WORD_1 src1_sel:DWORD
	s_movk_i32 s4, 0x7f
	v_cmp_lt_i16_e32 vcc, s4, v11
	s_mov_b64 s[4:5], 0
                                        ; implicit-def: $sgpr10
	s_and_saveexec_b64 s[6:7], vcc
	s_xor_b64 s[6:7], exec, s[6:7]
	s_cbranch_execnz .LBB22_3733
; %bb.1685:
	s_or_saveexec_b64 s[6:7], s[6:7]
	v_mov_b32_e32 v12, s10
	s_xor_b64 exec, exec, s[6:7]
	s_cbranch_execnz .LBB22_3736
.LBB22_1686:
	s_or_b64 exec, exec, s[6:7]
	s_and_saveexec_b64 s[6:7], s[4:5]
	s_cbranch_execz .LBB22_1688
.LBB22_1687:
	v_bfe_u32 v11, v2, 16, 3
	v_ffbh_u32_e32 v14, v11
	v_min_u32_e32 v14, 32, v14
	v_lshrrev_b32_e32 v12, 19, v2
	v_subrev_u32_e32 v15, 28, v14
	v_and_b32_e32 v12, 15, v12
	v_lshlrev_b32_sdwa v15, v15, v2 dst_sel:DWORD dst_unused:UNUSED_PAD src0_sel:DWORD src1_sel:WORD_1
	v_bfe_u32 v13, v2, 19, 4
	v_sub_u32_e32 v14, 29, v14
	v_and_b32_e32 v15, 7, v15
	v_cmp_eq_u16_e32 vcc, 0, v12
	v_cndmask_b32_e32 v11, v11, v15, vcc
	v_cndmask_b32_e32 v12, v13, v14, vcc
	v_lshlrev_b32_e32 v13, 8, v2
	v_mov_b32_e32 v14, 0x3b800000
	v_lshlrev_b32_e32 v11, 20, v11
	v_and_b32_e32 v13, 0x80000000, v13
	v_lshl_add_u32 v12, v12, 23, v14
	v_or3_b32 v12, v13, v12, v11
.LBB22_1688:
	s_or_b64 exec, exec, s[6:7]
	s_nop 0
	v_mfma_f32_16x16x4f32 a[0:3], v10, v12, a[0:3]
	s_movk_i32 s4, 0x7f
	v_cmp_gt_i16_sdwa s[6:7], v6, s4 src0_sel:BYTE_3 src1_sel:DWORD
	s_mov_b64 s[4:5], 0
                                        ; implicit-def: $sgpr10
	s_and_saveexec_b64 s[8:9], s[6:7]
	s_xor_b64 s[6:7], exec, s[8:9]
	s_cbranch_execnz .LBB22_3737
; %bb.1689:
	s_or_saveexec_b64 s[6:7], s[6:7]
	v_mov_b32_e32 v10, s10
	s_xor_b64 exec, exec, s[6:7]
	s_cbranch_execnz .LBB22_3740
.LBB22_1690:
	s_or_b64 exec, exec, s[6:7]
	s_and_saveexec_b64 s[6:7], s[4:5]
	s_cbranch_execz .LBB22_1692
.LBB22_1691:
	v_bfe_u32 v10, v6, 24, 3
	v_ffbh_u32_e32 v14, v10
	v_min_u32_e32 v14, 32, v14
	v_lshrrev_b32_e32 v12, 27, v6
	v_subrev_u32_e32 v15, 28, v14
	v_and_b32_e32 v11, 0x80000000, v6
	v_and_b32_e32 v12, 15, v12
	v_bfe_u32 v13, v6, 27, 4
	v_lshlrev_b32_sdwa v6, v15, v6 dst_sel:DWORD dst_unused:UNUSED_PAD src0_sel:DWORD src1_sel:BYTE_3
	v_sub_u32_e32 v14, 29, v14
	v_and_b32_e32 v6, 7, v6
	v_cmp_eq_u16_e32 vcc, 0, v12
	v_cndmask_b32_e32 v6, v10, v6, vcc
	v_cndmask_b32_e32 v10, v13, v14, vcc
	v_mov_b32_e32 v12, 0x3b800000
	v_lshlrev_b32_e32 v6, 20, v6
	v_lshl_add_u32 v10, v10, 23, v12
	v_or3_b32 v10, v11, v10, v6
.LBB22_1692:
	s_or_b64 exec, exec, s[6:7]
	s_movk_i32 s4, 0x7f
	v_cmp_gt_i16_sdwa s[6:7], v2, s4 src0_sel:BYTE_3 src1_sel:DWORD
	s_mov_b64 s[4:5], 0
                                        ; implicit-def: $sgpr10
	s_and_saveexec_b64 s[8:9], s[6:7]
	s_xor_b64 s[6:7], exec, s[8:9]
	s_cbranch_execnz .LBB22_3741
; %bb.1693:
	s_or_saveexec_b64 s[6:7], s[6:7]
	v_mov_b32_e32 v6, s10
	s_xor_b64 exec, exec, s[6:7]
	s_cbranch_execnz .LBB22_3744
.LBB22_1694:
	s_or_b64 exec, exec, s[6:7]
	s_and_saveexec_b64 s[6:7], s[4:5]
	s_cbranch_execz .LBB22_1696
.LBB22_1695:
	v_bfe_u32 v6, v2, 24, 3
	v_ffbh_u32_e32 v14, v6
	v_min_u32_e32 v14, 32, v14
	v_lshrrev_b32_e32 v12, 27, v2
	v_subrev_u32_e32 v15, 28, v14
	v_and_b32_e32 v11, 0x80000000, v2
	v_and_b32_e32 v12, 15, v12
	v_bfe_u32 v13, v2, 27, 4
	v_lshlrev_b32_sdwa v2, v15, v2 dst_sel:DWORD dst_unused:UNUSED_PAD src0_sel:DWORD src1_sel:BYTE_3
	v_sub_u32_e32 v14, 29, v14
	v_and_b32_e32 v2, 7, v2
	v_cmp_eq_u16_e32 vcc, 0, v12
	v_cndmask_b32_e32 v2, v6, v2, vcc
	v_cndmask_b32_e32 v6, v13, v14, vcc
	v_mov_b32_e32 v12, 0x3b800000
	v_lshlrev_b32_e32 v2, 20, v2
	v_lshl_add_u32 v6, v6, 23, v12
	v_or3_b32 v6, v11, v6, v2
.LBB22_1696:
	s_or_b64 exec, exec, s[6:7]
	s_nop 0
	v_mfma_f32_16x16x4f32 a[0:3], v10, v6, a[0:3]
	s_movk_i32 s4, 0x7f
	v_cmp_gt_i16_sdwa s[6:7], v7, s4 src0_sel:BYTE_0 src1_sel:DWORD
	s_mov_b64 s[4:5], 0
                                        ; implicit-def: $sgpr10
	s_and_saveexec_b64 s[8:9], s[6:7]
	s_xor_b64 s[6:7], exec, s[8:9]
	s_cbranch_execnz .LBB22_3745
; %bb.1697:
	s_or_saveexec_b64 s[6:7], s[6:7]
	v_mov_b32_e32 v2, s10
	s_xor_b64 exec, exec, s[6:7]
	s_cbranch_execnz .LBB22_3748
.LBB22_1698:
	s_or_b64 exec, exec, s[6:7]
	s_and_saveexec_b64 s[6:7], s[4:5]
	s_cbranch_execz .LBB22_1700
.LBB22_1699:
	v_and_b32_e32 v2, 7, v7
	v_ffbh_u32_e32 v10, v2
	v_min_u32_e32 v10, 32, v10
	v_lshrrev_b16_e32 v6, 3, v7
	v_subrev_u32_e32 v11, 28, v10
	v_and_b32_e32 v6, 15, v6
	v_lshlrev_b32_e32 v11, v11, v7
	v_sub_u32_e32 v10, 29, v10
	v_and_b32_e32 v11, 7, v11
	v_cmp_eq_u16_e32 vcc, 0, v6
	v_cndmask_b32_e32 v2, v2, v11, vcc
	v_cndmask_b32_e32 v6, v6, v10, vcc
	v_lshlrev_b32_e32 v10, 24, v7
	v_mov_b32_e32 v11, 0x3b800000
	v_lshlrev_b32_e32 v2, 20, v2
	v_and_b32_e32 v10, 0x80000000, v10
	v_lshl_add_u32 v6, v6, 23, v11
	v_or3_b32 v2, v10, v6, v2
.LBB22_1700:
	s_or_b64 exec, exec, s[6:7]
	s_movk_i32 s4, 0x7f
	v_cmp_gt_i16_sdwa s[6:7], v3, s4 src0_sel:BYTE_0 src1_sel:DWORD
	s_mov_b64 s[4:5], 0
                                        ; implicit-def: $sgpr10
	s_and_saveexec_b64 s[8:9], s[6:7]
	s_xor_b64 s[6:7], exec, s[8:9]
	s_cbranch_execnz .LBB22_3749
; %bb.1701:
	s_or_saveexec_b64 s[6:7], s[6:7]
	v_mov_b32_e32 v6, s10
	s_xor_b64 exec, exec, s[6:7]
	s_cbranch_execnz .LBB22_3752
.LBB22_1702:
	s_or_b64 exec, exec, s[6:7]
	s_and_saveexec_b64 s[6:7], s[4:5]
	s_cbranch_execz .LBB22_1704
.LBB22_1703:
	v_and_b32_e32 v6, 7, v3
	v_ffbh_u32_e32 v11, v6
	v_min_u32_e32 v11, 32, v11
	v_lshrrev_b16_e32 v10, 3, v3
	v_subrev_u32_e32 v12, 28, v11
	v_and_b32_e32 v10, 15, v10
	v_lshlrev_b32_e32 v12, v12, v3
	v_sub_u32_e32 v11, 29, v11
	v_and_b32_e32 v12, 7, v12
	v_cmp_eq_u16_e32 vcc, 0, v10
	v_cndmask_b32_e32 v6, v6, v12, vcc
	v_cndmask_b32_e32 v10, v10, v11, vcc
	v_lshlrev_b32_e32 v11, 24, v3
	v_mov_b32_e32 v12, 0x3b800000
	v_lshlrev_b32_e32 v6, 20, v6
	v_and_b32_e32 v11, 0x80000000, v11
	v_lshl_add_u32 v10, v10, 23, v12
	v_or3_b32 v6, v11, v10, v6
.LBB22_1704:
	s_or_b64 exec, exec, s[6:7]
	s_nop 0
	v_mfma_f32_16x16x4f32 a[0:3], v2, v6, a[0:3]
	v_lshrrev_b32_e32 v6, 8, v7
	s_movk_i32 s4, 0x7f
	v_cmp_gt_i16_sdwa s[6:7], v6, s4 src0_sel:BYTE_0 src1_sel:DWORD
	s_mov_b64 s[4:5], 0
                                        ; implicit-def: $sgpr10
	s_and_saveexec_b64 s[8:9], s[6:7]
	s_xor_b64 s[6:7], exec, s[8:9]
	s_cbranch_execnz .LBB22_3753
; %bb.1705:
	s_or_saveexec_b64 s[6:7], s[6:7]
	v_mov_b32_e32 v2, s10
	s_xor_b64 exec, exec, s[6:7]
	s_cbranch_execnz .LBB22_3756
.LBB22_1706:
	s_or_b64 exec, exec, s[6:7]
	s_and_saveexec_b64 s[6:7], s[4:5]
	s_cbranch_execz .LBB22_1708
.LBB22_1707:
	v_bfe_u32 v2, v7, 8, 3
	v_ffbh_u32_e32 v11, v2
	v_min_u32_e32 v11, 32, v11
	v_lshrrev_b16_e32 v10, 3, v6
	v_subrev_u32_e32 v12, 28, v11
	v_and_b32_e32 v10, 15, v10
	v_lshlrev_b32_e32 v6, v12, v6
	v_sub_u32_e32 v11, 29, v11
	v_and_b32_e32 v6, 7, v6
	v_cmp_eq_u16_e32 vcc, 0, v10
	v_cndmask_b32_e32 v2, v2, v6, vcc
	v_cndmask_b32_e32 v6, v10, v11, vcc
	v_lshlrev_b32_e32 v10, 16, v7
	v_mov_b32_e32 v11, 0x3b800000
	v_lshlrev_b32_e32 v2, 20, v2
	v_and_b32_e32 v10, 0x80000000, v10
	v_lshl_add_u32 v6, v6, 23, v11
	v_or3_b32 v2, v10, v6, v2
.LBB22_1708:
	s_or_b64 exec, exec, s[6:7]
	v_lshrrev_b32_e32 v6, 8, v3
	s_movk_i32 s4, 0x7f
	v_cmp_gt_i16_sdwa s[6:7], v6, s4 src0_sel:BYTE_0 src1_sel:DWORD
	s_mov_b64 s[4:5], 0
                                        ; implicit-def: $sgpr10
	s_and_saveexec_b64 s[8:9], s[6:7]
	s_xor_b64 s[6:7], exec, s[8:9]
	s_cbranch_execnz .LBB22_3757
; %bb.1709:
	s_or_saveexec_b64 s[6:7], s[6:7]
	v_mov_b32_e32 v10, s10
	s_xor_b64 exec, exec, s[6:7]
	s_cbranch_execnz .LBB22_3760
.LBB22_1710:
	s_or_b64 exec, exec, s[6:7]
	s_and_saveexec_b64 s[6:7], s[4:5]
	s_cbranch_execz .LBB22_1712
.LBB22_1711:
	v_bfe_u32 v10, v3, 8, 3
	v_ffbh_u32_e32 v12, v10
	v_min_u32_e32 v12, 32, v12
	v_lshrrev_b16_e32 v11, 3, v6
	v_subrev_u32_e32 v13, 28, v12
	v_and_b32_e32 v11, 15, v11
	v_lshlrev_b32_e32 v6, v13, v6
	v_sub_u32_e32 v12, 29, v12
	v_and_b32_e32 v6, 7, v6
	v_cmp_eq_u16_e32 vcc, 0, v11
	v_cndmask_b32_e32 v6, v10, v6, vcc
	v_cndmask_b32_e32 v10, v11, v12, vcc
	v_lshlrev_b32_e32 v11, 16, v3
	v_mov_b32_e32 v12, 0x3b800000
	v_lshlrev_b32_e32 v6, 20, v6
	v_and_b32_e32 v11, 0x80000000, v11
	v_lshl_add_u32 v10, v10, 23, v12
	v_or3_b32 v10, v11, v10, v6
.LBB22_1712:
	s_or_b64 exec, exec, s[6:7]
	s_nop 0
	v_mfma_f32_16x16x4f32 a[0:3], v2, v10, a[0:3]
	s_movk_i32 s4, 0xff
	v_and_b32_sdwa v6, v7, s4 dst_sel:DWORD dst_unused:UNUSED_PAD src0_sel:WORD_1 src1_sel:DWORD
	s_movk_i32 s4, 0x7f
	v_cmp_lt_i16_e32 vcc, s4, v6
	s_mov_b64 s[4:5], 0
                                        ; implicit-def: $sgpr10
	s_and_saveexec_b64 s[6:7], vcc
	s_xor_b64 s[6:7], exec, s[6:7]
	s_cbranch_execnz .LBB22_3761
; %bb.1713:
	s_or_saveexec_b64 s[6:7], s[6:7]
	v_mov_b32_e32 v2, s10
	s_xor_b64 exec, exec, s[6:7]
	s_cbranch_execnz .LBB22_3764
.LBB22_1714:
	s_or_b64 exec, exec, s[6:7]
	s_and_saveexec_b64 s[6:7], s[4:5]
	s_cbranch_execz .LBB22_1716
.LBB22_1715:
	v_bfe_u32 v2, v7, 16, 3
	v_ffbh_u32_e32 v11, v2
	v_min_u32_e32 v11, 32, v11
	v_lshrrev_b32_e32 v6, 19, v7
	v_subrev_u32_e32 v12, 28, v11
	v_and_b32_e32 v6, 15, v6
	v_lshlrev_b32_sdwa v12, v12, v7 dst_sel:DWORD dst_unused:UNUSED_PAD src0_sel:DWORD src1_sel:WORD_1
	v_bfe_u32 v10, v7, 19, 4
	v_sub_u32_e32 v11, 29, v11
	v_and_b32_e32 v12, 7, v12
	v_cmp_eq_u16_e32 vcc, 0, v6
	v_cndmask_b32_e32 v2, v2, v12, vcc
	v_cndmask_b32_e32 v6, v10, v11, vcc
	v_lshlrev_b32_e32 v10, 8, v7
	v_mov_b32_e32 v11, 0x3b800000
	v_lshlrev_b32_e32 v2, 20, v2
	v_and_b32_e32 v10, 0x80000000, v10
	v_lshl_add_u32 v6, v6, 23, v11
	v_or3_b32 v2, v10, v6, v2
.LBB22_1716:
	s_or_b64 exec, exec, s[6:7]
	s_movk_i32 s4, 0xff
	v_and_b32_sdwa v6, v3, s4 dst_sel:DWORD dst_unused:UNUSED_PAD src0_sel:WORD_1 src1_sel:DWORD
	s_movk_i32 s4, 0x7f
	v_cmp_lt_i16_e32 vcc, s4, v6
	s_mov_b64 s[4:5], 0
                                        ; implicit-def: $sgpr10
	s_and_saveexec_b64 s[6:7], vcc
	s_xor_b64 s[6:7], exec, s[6:7]
	s_cbranch_execnz .LBB22_3765
; %bb.1717:
	s_or_saveexec_b64 s[6:7], s[6:7]
	v_mov_b32_e32 v10, s10
	s_xor_b64 exec, exec, s[6:7]
	s_cbranch_execnz .LBB22_3768
.LBB22_1718:
	s_or_b64 exec, exec, s[6:7]
	s_and_saveexec_b64 s[6:7], s[4:5]
	s_cbranch_execz .LBB22_1720
.LBB22_1719:
	v_bfe_u32 v6, v3, 16, 3
	v_ffbh_u32_e32 v12, v6
	v_min_u32_e32 v12, 32, v12
	v_lshrrev_b32_e32 v10, 19, v3
	v_subrev_u32_e32 v13, 28, v12
	v_and_b32_e32 v10, 15, v10
	v_lshlrev_b32_sdwa v13, v13, v3 dst_sel:DWORD dst_unused:UNUSED_PAD src0_sel:DWORD src1_sel:WORD_1
	v_bfe_u32 v11, v3, 19, 4
	v_sub_u32_e32 v12, 29, v12
	v_and_b32_e32 v13, 7, v13
	v_cmp_eq_u16_e32 vcc, 0, v10
	v_cndmask_b32_e32 v6, v6, v13, vcc
	v_cndmask_b32_e32 v10, v11, v12, vcc
	v_lshlrev_b32_e32 v11, 8, v3
	v_mov_b32_e32 v12, 0x3b800000
	v_lshlrev_b32_e32 v6, 20, v6
	v_and_b32_e32 v11, 0x80000000, v11
	v_lshl_add_u32 v10, v10, 23, v12
	v_or3_b32 v10, v11, v10, v6
.LBB22_1720:
	s_or_b64 exec, exec, s[6:7]
	s_nop 0
	v_mfma_f32_16x16x4f32 a[0:3], v2, v10, a[0:3]
	s_movk_i32 s4, 0x7f
	v_cmp_gt_i16_sdwa s[6:7], v7, s4 src0_sel:BYTE_3 src1_sel:DWORD
	s_mov_b64 s[4:5], 0
                                        ; implicit-def: $sgpr10
	s_and_saveexec_b64 s[8:9], s[6:7]
	s_xor_b64 s[6:7], exec, s[8:9]
	s_cbranch_execnz .LBB22_3769
; %bb.1721:
	s_or_saveexec_b64 s[6:7], s[6:7]
	v_mov_b32_e32 v2, s10
	s_xor_b64 exec, exec, s[6:7]
	s_cbranch_execnz .LBB22_3772
.LBB22_1722:
	s_or_b64 exec, exec, s[6:7]
	s_and_saveexec_b64 s[6:7], s[4:5]
	s_cbranch_execz .LBB22_1724
.LBB22_1723:
	v_bfe_u32 v2, v7, 24, 3
	v_ffbh_u32_e32 v12, v2
	v_min_u32_e32 v12, 32, v12
	v_lshrrev_b32_e32 v10, 27, v7
	v_subrev_u32_e32 v13, 28, v12
	v_and_b32_e32 v6, 0x80000000, v7
	v_and_b32_e32 v10, 15, v10
	v_bfe_u32 v11, v7, 27, 4
	v_lshlrev_b32_sdwa v7, v13, v7 dst_sel:DWORD dst_unused:UNUSED_PAD src0_sel:DWORD src1_sel:BYTE_3
	v_sub_u32_e32 v12, 29, v12
	v_and_b32_e32 v7, 7, v7
	v_cmp_eq_u16_e32 vcc, 0, v10
	v_cndmask_b32_e32 v2, v2, v7, vcc
	v_cndmask_b32_e32 v7, v11, v12, vcc
	v_mov_b32_e32 v10, 0x3b800000
	v_lshlrev_b32_e32 v2, 20, v2
	v_lshl_add_u32 v7, v7, 23, v10
	v_or3_b32 v2, v6, v7, v2
.LBB22_1724:
	s_or_b64 exec, exec, s[6:7]
	s_movk_i32 s4, 0x7f
	v_cmp_gt_i16_sdwa s[6:7], v3, s4 src0_sel:BYTE_3 src1_sel:DWORD
	s_mov_b64 s[4:5], 0
                                        ; implicit-def: $sgpr10
	s_and_saveexec_b64 s[8:9], s[6:7]
	s_xor_b64 s[6:7], exec, s[8:9]
	s_cbranch_execnz .LBB22_3773
; %bb.1725:
	s_or_saveexec_b64 s[6:7], s[6:7]
	v_mov_b32_e32 v6, s10
	s_xor_b64 exec, exec, s[6:7]
	s_cbranch_execnz .LBB22_3776
.LBB22_1726:
	s_or_b64 exec, exec, s[6:7]
	s_and_saveexec_b64 s[6:7], s[4:5]
	s_cbranch_execz .LBB22_1728
.LBB22_1727:
	v_bfe_u32 v6, v3, 24, 3
	v_ffbh_u32_e32 v12, v6
	v_min_u32_e32 v12, 32, v12
	v_lshrrev_b32_e32 v10, 27, v3
	v_subrev_u32_e32 v13, 28, v12
	v_and_b32_e32 v7, 0x80000000, v3
	v_and_b32_e32 v10, 15, v10
	v_bfe_u32 v11, v3, 27, 4
	v_lshlrev_b32_sdwa v3, v13, v3 dst_sel:DWORD dst_unused:UNUSED_PAD src0_sel:DWORD src1_sel:BYTE_3
	v_sub_u32_e32 v12, 29, v12
	v_and_b32_e32 v3, 7, v3
	v_cmp_eq_u16_e32 vcc, 0, v10
	v_cndmask_b32_e32 v3, v6, v3, vcc
	v_cndmask_b32_e32 v6, v11, v12, vcc
	v_mov_b32_e32 v10, 0x3b800000
	v_lshlrev_b32_e32 v3, 20, v3
	v_lshl_add_u32 v6, v6, 23, v10
	v_or3_b32 v6, v7, v6, v3
.LBB22_1728:
	s_or_b64 exec, exec, s[6:7]
	s_nop 0
	v_mfma_f32_16x16x4f32 a[0:3], v2, v6, a[0:3]
	s_movk_i32 s4, 0x7f
	v_cmp_gt_i16_sdwa s[6:7], v8, s4 src0_sel:BYTE_0 src1_sel:DWORD
	s_mov_b64 s[4:5], 0
                                        ; implicit-def: $sgpr10
	s_and_saveexec_b64 s[8:9], s[6:7]
	s_xor_b64 s[6:7], exec, s[8:9]
	s_cbranch_execnz .LBB22_3777
; %bb.1729:
	s_or_saveexec_b64 s[6:7], s[6:7]
	v_mov_b32_e32 v2, s10
	s_xor_b64 exec, exec, s[6:7]
	s_cbranch_execnz .LBB22_3780
.LBB22_1730:
	s_or_b64 exec, exec, s[6:7]
	s_and_saveexec_b64 s[6:7], s[4:5]
	s_cbranch_execz .LBB22_1732
.LBB22_1731:
	v_and_b32_e32 v2, 7, v8
	v_ffbh_u32_e32 v6, v2
	v_min_u32_e32 v6, 32, v6
	v_lshrrev_b16_e32 v3, 3, v8
	v_subrev_u32_e32 v7, 28, v6
	v_and_b32_e32 v3, 15, v3
	v_lshlrev_b32_e32 v7, v7, v8
	v_sub_u32_e32 v6, 29, v6
	v_and_b32_e32 v7, 7, v7
	v_cmp_eq_u16_e32 vcc, 0, v3
	v_cndmask_b32_e32 v2, v2, v7, vcc
	v_cndmask_b32_e32 v3, v3, v6, vcc
	v_lshlrev_b32_e32 v6, 24, v8
	v_mov_b32_e32 v7, 0x3b800000
	v_lshlrev_b32_e32 v2, 20, v2
	v_and_b32_e32 v6, 0x80000000, v6
	v_lshl_add_u32 v3, v3, 23, v7
	v_or3_b32 v2, v6, v3, v2
.LBB22_1732:
	s_or_b64 exec, exec, s[6:7]
	s_movk_i32 s4, 0x7f
	v_cmp_gt_i16_sdwa s[6:7], v4, s4 src0_sel:BYTE_0 src1_sel:DWORD
	s_mov_b64 s[4:5], 0
                                        ; implicit-def: $sgpr10
	s_and_saveexec_b64 s[8:9], s[6:7]
	s_xor_b64 s[6:7], exec, s[8:9]
	s_cbranch_execnz .LBB22_3781
; %bb.1733:
	s_or_saveexec_b64 s[6:7], s[6:7]
	v_mov_b32_e32 v3, s10
	s_xor_b64 exec, exec, s[6:7]
	s_cbranch_execnz .LBB22_3784
.LBB22_1734:
	s_or_b64 exec, exec, s[6:7]
	s_and_saveexec_b64 s[6:7], s[4:5]
	s_cbranch_execz .LBB22_1736
.LBB22_1735:
	v_and_b32_e32 v3, 7, v4
	v_ffbh_u32_e32 v7, v3
	v_min_u32_e32 v7, 32, v7
	v_lshrrev_b16_e32 v6, 3, v4
	v_subrev_u32_e32 v10, 28, v7
	v_and_b32_e32 v6, 15, v6
	v_lshlrev_b32_e32 v10, v10, v4
	v_sub_u32_e32 v7, 29, v7
	v_and_b32_e32 v10, 7, v10
	v_cmp_eq_u16_e32 vcc, 0, v6
	v_cndmask_b32_e32 v3, v3, v10, vcc
	v_cndmask_b32_e32 v6, v6, v7, vcc
	v_lshlrev_b32_e32 v7, 24, v4
	v_mov_b32_e32 v10, 0x3b800000
	v_lshlrev_b32_e32 v3, 20, v3
	v_and_b32_e32 v7, 0x80000000, v7
	v_lshl_add_u32 v6, v6, 23, v10
	v_or3_b32 v3, v7, v6, v3
.LBB22_1736:
	s_or_b64 exec, exec, s[6:7]
	s_nop 0
	v_mfma_f32_16x16x4f32 a[0:3], v2, v3, a[0:3]
	v_lshrrev_b32_e32 v3, 8, v8
	s_movk_i32 s4, 0x7f
	v_cmp_gt_i16_sdwa s[6:7], v3, s4 src0_sel:BYTE_0 src1_sel:DWORD
	s_mov_b64 s[4:5], 0
                                        ; implicit-def: $sgpr10
	s_and_saveexec_b64 s[8:9], s[6:7]
	s_xor_b64 s[6:7], exec, s[8:9]
	s_cbranch_execnz .LBB22_3785
; %bb.1737:
	s_or_saveexec_b64 s[6:7], s[6:7]
	v_mov_b32_e32 v2, s10
	s_xor_b64 exec, exec, s[6:7]
	s_cbranch_execnz .LBB22_3788
.LBB22_1738:
	s_or_b64 exec, exec, s[6:7]
	s_and_saveexec_b64 s[6:7], s[4:5]
	s_cbranch_execz .LBB22_1740
.LBB22_1739:
	v_bfe_u32 v2, v8, 8, 3
	v_ffbh_u32_e32 v7, v2
	v_min_u32_e32 v7, 32, v7
	v_lshrrev_b16_e32 v6, 3, v3
	v_subrev_u32_e32 v10, 28, v7
	v_and_b32_e32 v6, 15, v6
	v_lshlrev_b32_e32 v3, v10, v3
	v_sub_u32_e32 v7, 29, v7
	v_and_b32_e32 v3, 7, v3
	v_cmp_eq_u16_e32 vcc, 0, v6
	v_cndmask_b32_e32 v2, v2, v3, vcc
	v_cndmask_b32_e32 v3, v6, v7, vcc
	v_lshlrev_b32_e32 v6, 16, v8
	v_mov_b32_e32 v7, 0x3b800000
	v_lshlrev_b32_e32 v2, 20, v2
	v_and_b32_e32 v6, 0x80000000, v6
	v_lshl_add_u32 v3, v3, 23, v7
	v_or3_b32 v2, v6, v3, v2
.LBB22_1740:
	s_or_b64 exec, exec, s[6:7]
	v_lshrrev_b32_e32 v3, 8, v4
	s_movk_i32 s4, 0x7f
	v_cmp_gt_i16_sdwa s[6:7], v3, s4 src0_sel:BYTE_0 src1_sel:DWORD
	s_mov_b64 s[4:5], 0
                                        ; implicit-def: $sgpr10
	s_and_saveexec_b64 s[8:9], s[6:7]
	s_xor_b64 s[6:7], exec, s[8:9]
	s_cbranch_execnz .LBB22_3789
; %bb.1741:
	s_or_saveexec_b64 s[6:7], s[6:7]
	v_mov_b32_e32 v6, s10
	s_xor_b64 exec, exec, s[6:7]
	s_cbranch_execnz .LBB22_3792
.LBB22_1742:
	s_or_b64 exec, exec, s[6:7]
	s_and_saveexec_b64 s[6:7], s[4:5]
	s_cbranch_execz .LBB22_1744
.LBB22_1743:
	v_bfe_u32 v6, v4, 8, 3
	v_ffbh_u32_e32 v10, v6
	v_min_u32_e32 v10, 32, v10
	v_lshrrev_b16_e32 v7, 3, v3
	v_subrev_u32_e32 v11, 28, v10
	v_and_b32_e32 v7, 15, v7
	v_lshlrev_b32_e32 v3, v11, v3
	v_sub_u32_e32 v10, 29, v10
	v_and_b32_e32 v3, 7, v3
	v_cmp_eq_u16_e32 vcc, 0, v7
	v_cndmask_b32_e32 v3, v6, v3, vcc
	v_cndmask_b32_e32 v6, v7, v10, vcc
	v_lshlrev_b32_e32 v7, 16, v4
	v_mov_b32_e32 v10, 0x3b800000
	v_lshlrev_b32_e32 v3, 20, v3
	v_and_b32_e32 v7, 0x80000000, v7
	v_lshl_add_u32 v6, v6, 23, v10
	v_or3_b32 v6, v7, v6, v3
.LBB22_1744:
	s_or_b64 exec, exec, s[6:7]
	s_nop 0
	v_mfma_f32_16x16x4f32 a[0:3], v2, v6, a[0:3]
	s_movk_i32 s4, 0xff
	v_and_b32_sdwa v3, v8, s4 dst_sel:DWORD dst_unused:UNUSED_PAD src0_sel:WORD_1 src1_sel:DWORD
	s_movk_i32 s4, 0x7f
	v_cmp_lt_i16_e32 vcc, s4, v3
	s_mov_b64 s[4:5], 0
                                        ; implicit-def: $sgpr10
	s_and_saveexec_b64 s[6:7], vcc
	s_xor_b64 s[6:7], exec, s[6:7]
	s_cbranch_execnz .LBB22_3793
; %bb.1745:
	s_or_saveexec_b64 s[6:7], s[6:7]
	v_mov_b32_e32 v2, s10
	s_xor_b64 exec, exec, s[6:7]
	s_cbranch_execnz .LBB22_3796
.LBB22_1746:
	s_or_b64 exec, exec, s[6:7]
	s_and_saveexec_b64 s[6:7], s[4:5]
	s_cbranch_execz .LBB22_1748
.LBB22_1747:
	v_bfe_u32 v2, v8, 16, 3
	v_ffbh_u32_e32 v7, v2
	v_min_u32_e32 v7, 32, v7
	v_lshrrev_b32_e32 v3, 19, v8
	v_subrev_u32_e32 v10, 28, v7
	v_and_b32_e32 v3, 15, v3
	v_lshlrev_b32_sdwa v10, v10, v8 dst_sel:DWORD dst_unused:UNUSED_PAD src0_sel:DWORD src1_sel:WORD_1
	v_bfe_u32 v6, v8, 19, 4
	v_sub_u32_e32 v7, 29, v7
	v_and_b32_e32 v10, 7, v10
	v_cmp_eq_u16_e32 vcc, 0, v3
	v_cndmask_b32_e32 v2, v2, v10, vcc
	v_cndmask_b32_e32 v3, v6, v7, vcc
	v_lshlrev_b32_e32 v6, 8, v8
	v_mov_b32_e32 v7, 0x3b800000
	v_lshlrev_b32_e32 v2, 20, v2
	v_and_b32_e32 v6, 0x80000000, v6
	v_lshl_add_u32 v3, v3, 23, v7
	v_or3_b32 v2, v6, v3, v2
.LBB22_1748:
	s_or_b64 exec, exec, s[6:7]
	s_movk_i32 s4, 0xff
	v_and_b32_sdwa v3, v4, s4 dst_sel:DWORD dst_unused:UNUSED_PAD src0_sel:WORD_1 src1_sel:DWORD
	s_movk_i32 s4, 0x7f
	v_cmp_lt_i16_e32 vcc, s4, v3
	s_mov_b64 s[4:5], 0
                                        ; implicit-def: $sgpr10
	s_and_saveexec_b64 s[6:7], vcc
	s_xor_b64 s[6:7], exec, s[6:7]
	s_cbranch_execnz .LBB22_3797
; %bb.1749:
	s_or_saveexec_b64 s[6:7], s[6:7]
	v_mov_b32_e32 v6, s10
	s_xor_b64 exec, exec, s[6:7]
	s_cbranch_execnz .LBB22_3800
.LBB22_1750:
	s_or_b64 exec, exec, s[6:7]
	s_and_saveexec_b64 s[6:7], s[4:5]
	s_cbranch_execz .LBB22_1752
.LBB22_1751:
	v_bfe_u32 v3, v4, 16, 3
	v_ffbh_u32_e32 v10, v3
	v_min_u32_e32 v10, 32, v10
	v_lshrrev_b32_e32 v6, 19, v4
	v_subrev_u32_e32 v11, 28, v10
	v_and_b32_e32 v6, 15, v6
	v_lshlrev_b32_sdwa v11, v11, v4 dst_sel:DWORD dst_unused:UNUSED_PAD src0_sel:DWORD src1_sel:WORD_1
	v_bfe_u32 v7, v4, 19, 4
	v_sub_u32_e32 v10, 29, v10
	v_and_b32_e32 v11, 7, v11
	v_cmp_eq_u16_e32 vcc, 0, v6
	v_cndmask_b32_e32 v3, v3, v11, vcc
	v_cndmask_b32_e32 v6, v7, v10, vcc
	v_lshlrev_b32_e32 v7, 8, v4
	v_mov_b32_e32 v10, 0x3b800000
	v_lshlrev_b32_e32 v3, 20, v3
	v_and_b32_e32 v7, 0x80000000, v7
	v_lshl_add_u32 v6, v6, 23, v10
	v_or3_b32 v6, v7, v6, v3
.LBB22_1752:
	s_or_b64 exec, exec, s[6:7]
	s_nop 0
	v_mfma_f32_16x16x4f32 a[0:3], v2, v6, a[0:3]
	s_movk_i32 s4, 0x7f
	v_cmp_gt_i16_sdwa s[6:7], v8, s4 src0_sel:BYTE_3 src1_sel:DWORD
	s_mov_b64 s[4:5], 0
                                        ; implicit-def: $sgpr10
	s_and_saveexec_b64 s[8:9], s[6:7]
	s_xor_b64 s[6:7], exec, s[8:9]
	s_cbranch_execnz .LBB22_3801
; %bb.1753:
	s_or_saveexec_b64 s[6:7], s[6:7]
	v_mov_b32_e32 v2, s10
	s_xor_b64 exec, exec, s[6:7]
	s_cbranch_execnz .LBB22_3804
.LBB22_1754:
	s_or_b64 exec, exec, s[6:7]
	s_and_saveexec_b64 s[6:7], s[4:5]
	s_cbranch_execz .LBB22_1756
.LBB22_1755:
	v_bfe_u32 v2, v8, 24, 3
	v_ffbh_u32_e32 v10, v2
	v_min_u32_e32 v10, 32, v10
	v_lshrrev_b32_e32 v6, 27, v8
	v_subrev_u32_e32 v11, 28, v10
	v_and_b32_e32 v3, 0x80000000, v8
	v_and_b32_e32 v6, 15, v6
	v_bfe_u32 v7, v8, 27, 4
	v_lshlrev_b32_sdwa v8, v11, v8 dst_sel:DWORD dst_unused:UNUSED_PAD src0_sel:DWORD src1_sel:BYTE_3
	v_sub_u32_e32 v10, 29, v10
	v_and_b32_e32 v8, 7, v8
	v_cmp_eq_u16_e32 vcc, 0, v6
	v_cndmask_b32_e32 v2, v2, v8, vcc
	v_cndmask_b32_e32 v6, v7, v10, vcc
	v_mov_b32_e32 v7, 0x3b800000
	v_lshlrev_b32_e32 v2, 20, v2
	v_lshl_add_u32 v6, v6, 23, v7
	v_or3_b32 v2, v3, v6, v2
.LBB22_1756:
	s_or_b64 exec, exec, s[6:7]
	s_movk_i32 s4, 0x7f
	v_cmp_gt_i16_sdwa s[6:7], v4, s4 src0_sel:BYTE_3 src1_sel:DWORD
	s_mov_b64 s[4:5], 0
                                        ; implicit-def: $sgpr10
	s_and_saveexec_b64 s[8:9], s[6:7]
	s_xor_b64 s[6:7], exec, s[8:9]
	s_cbranch_execnz .LBB22_3805
; %bb.1757:
	s_or_saveexec_b64 s[6:7], s[6:7]
	v_mov_b32_e32 v3, s10
	s_xor_b64 exec, exec, s[6:7]
	s_cbranch_execnz .LBB22_3808
.LBB22_1758:
	s_or_b64 exec, exec, s[6:7]
	s_and_saveexec_b64 s[6:7], s[4:5]
	s_cbranch_execz .LBB22_1760
.LBB22_1759:
	v_bfe_u32 v3, v4, 24, 3
	v_ffbh_u32_e32 v10, v3
	v_min_u32_e32 v10, 32, v10
	v_lshrrev_b32_e32 v7, 27, v4
	v_subrev_u32_e32 v11, 28, v10
	v_and_b32_e32 v6, 0x80000000, v4
	v_and_b32_e32 v7, 15, v7
	v_bfe_u32 v8, v4, 27, 4
	v_lshlrev_b32_sdwa v4, v11, v4 dst_sel:DWORD dst_unused:UNUSED_PAD src0_sel:DWORD src1_sel:BYTE_3
	v_sub_u32_e32 v10, 29, v10
	v_and_b32_e32 v4, 7, v4
	v_cmp_eq_u16_e32 vcc, 0, v7
	v_cndmask_b32_e32 v3, v3, v4, vcc
	v_cndmask_b32_e32 v4, v8, v10, vcc
	v_mov_b32_e32 v7, 0x3b800000
	v_lshlrev_b32_e32 v3, 20, v3
	v_lshl_add_u32 v4, v4, 23, v7
	v_or3_b32 v3, v6, v4, v3
.LBB22_1760:
	s_or_b64 exec, exec, s[6:7]
	s_nop 0
	v_mfma_f32_16x16x4f32 a[0:3], v2, v3, a[0:3]
	s_movk_i32 s4, 0x7f
	v_cmp_gt_i16_sdwa s[6:7], v9, s4 src0_sel:BYTE_0 src1_sel:DWORD
	s_mov_b64 s[4:5], 0
                                        ; implicit-def: $sgpr10
	s_and_saveexec_b64 s[8:9], s[6:7]
	s_xor_b64 s[6:7], exec, s[8:9]
	s_cbranch_execnz .LBB22_3809
; %bb.1761:
	s_or_saveexec_b64 s[6:7], s[6:7]
	v_mov_b32_e32 v2, s10
	s_xor_b64 exec, exec, s[6:7]
	s_cbranch_execnz .LBB22_3812
.LBB22_1762:
	s_or_b64 exec, exec, s[6:7]
	s_and_saveexec_b64 s[6:7], s[4:5]
	s_cbranch_execz .LBB22_1764
.LBB22_1763:
	v_mov_b32_e32 v2, 8
	v_and_b32_e32 v3, 7, v9
	v_lshrrev_b32_sdwa v2, v2, v9 dst_sel:BYTE_1 dst_unused:UNUSED_PAD src0_sel:DWORD src1_sel:DWORD
	v_ffbh_u32_e32 v4, v3
	v_or_b32_sdwa v2, v9, v2 dst_sel:DWORD dst_unused:UNUSED_PAD src0_sel:BYTE_0 src1_sel:DWORD
	v_min_u32_e32 v4, 32, v4
	v_lshrrev_b16_e32 v2, 3, v2
	v_subrev_u32_e32 v6, 28, v4
	v_and_b32_e32 v2, 15, v2
	v_lshlrev_b32_e32 v6, v6, v9
	v_sub_u32_e32 v4, 29, v4
	v_and_b32_e32 v6, 7, v6
	v_cmp_eq_u16_e32 vcc, 0, v2
	v_cndmask_b32_e32 v3, v3, v6, vcc
	v_cndmask_b32_e32 v2, v2, v4, vcc
	v_lshlrev_b32_e32 v4, 24, v9
	v_mov_b32_e32 v6, 0x3b800000
	v_lshlrev_b32_e32 v3, 20, v3
	v_and_b32_e32 v4, 0x80000000, v4
	v_lshl_add_u32 v2, v2, 23, v6
	v_or3_b32 v2, v4, v2, v3
.LBB22_1764:
	s_or_b64 exec, exec, s[6:7]
	s_movk_i32 s4, 0x7f
	v_cmp_gt_i16_sdwa s[6:7], v5, s4 src0_sel:BYTE_0 src1_sel:DWORD
	s_mov_b64 s[4:5], 0
                                        ; implicit-def: $sgpr10
	s_and_saveexec_b64 s[8:9], s[6:7]
	s_xor_b64 s[6:7], exec, s[8:9]
	s_cbranch_execnz .LBB22_3813
; %bb.1765:
	s_or_saveexec_b64 s[6:7], s[6:7]
	v_mov_b32_e32 v3, s10
	s_xor_b64 exec, exec, s[6:7]
	s_cbranch_execnz .LBB22_3816
.LBB22_1766:
	s_or_b64 exec, exec, s[6:7]
	s_and_saveexec_b64 s[6:7], s[4:5]
	s_cbranch_execz .LBB22_1768
.LBB22_1767:
	v_mov_b32_e32 v3, 8
	v_and_b32_e32 v4, 7, v5
	v_lshrrev_b32_sdwa v3, v3, v5 dst_sel:BYTE_1 dst_unused:UNUSED_PAD src0_sel:DWORD src1_sel:DWORD
	v_ffbh_u32_e32 v6, v4
	v_or_b32_sdwa v3, v5, v3 dst_sel:DWORD dst_unused:UNUSED_PAD src0_sel:BYTE_0 src1_sel:DWORD
	v_min_u32_e32 v6, 32, v6
	v_lshrrev_b16_e32 v3, 3, v3
	v_subrev_u32_e32 v7, 28, v6
	v_and_b32_e32 v3, 15, v3
	v_lshlrev_b32_e32 v7, v7, v5
	v_sub_u32_e32 v6, 29, v6
	v_and_b32_e32 v7, 7, v7
	v_cmp_eq_u16_e32 vcc, 0, v3
	v_cndmask_b32_e32 v4, v4, v7, vcc
	v_cndmask_b32_e32 v3, v3, v6, vcc
	v_lshlrev_b32_e32 v6, 24, v5
	v_mov_b32_e32 v7, 0x3b800000
	v_lshlrev_b32_e32 v4, 20, v4
	v_and_b32_e32 v6, 0x80000000, v6
	v_lshl_add_u32 v3, v3, 23, v7
	v_or3_b32 v3, v6, v3, v4
.LBB22_1768:
	s_or_b64 exec, exec, s[6:7]
	s_nop 0
	v_mfma_f32_16x16x4f32 a[0:3], v2, v3, a[0:3]
	v_lshrrev_b32_e32 v3, 8, v9
	s_movk_i32 s4, 0x7f
	v_cmp_gt_i16_sdwa s[6:7], v3, s4 src0_sel:BYTE_0 src1_sel:DWORD
	s_mov_b64 s[4:5], 0
                                        ; implicit-def: $sgpr10
	s_and_saveexec_b64 s[8:9], s[6:7]
	s_xor_b64 s[6:7], exec, s[8:9]
	s_cbranch_execnz .LBB22_3817
; %bb.1769:
	s_or_saveexec_b64 s[6:7], s[6:7]
	v_mov_b32_e32 v2, s10
	s_xor_b64 exec, exec, s[6:7]
	s_cbranch_execnz .LBB22_3820
.LBB22_1770:
	s_or_b64 exec, exec, s[6:7]
	s_and_saveexec_b64 s[6:7], s[4:5]
	s_cbranch_execz .LBB22_1772
.LBB22_1771:
	v_bfe_u32 v2, v9, 8, 3
	v_ffbh_u32_e32 v6, v2
	v_min_u32_e32 v6, 32, v6
	v_lshrrev_b16_e32 v4, 3, v3
	v_subrev_u32_e32 v7, 28, v6
	v_and_b32_e32 v4, 15, v4
	v_lshlrev_b32_e32 v3, v7, v3
	v_sub_u32_e32 v6, 29, v6
	v_and_b32_e32 v3, 7, v3
	v_cmp_eq_u16_e32 vcc, 0, v4
	v_cndmask_b32_e32 v2, v2, v3, vcc
	v_cndmask_b32_e32 v3, v4, v6, vcc
	v_lshlrev_b32_e32 v4, 16, v9
	v_mov_b32_e32 v6, 0x3b800000
	v_lshlrev_b32_e32 v2, 20, v2
	v_and_b32_e32 v4, 0x80000000, v4
	v_lshl_add_u32 v3, v3, 23, v6
	v_or3_b32 v2, v4, v3, v2
.LBB22_1772:
	s_or_b64 exec, exec, s[6:7]
	v_lshrrev_b32_e32 v3, 8, v5
	s_movk_i32 s4, 0x7f
	v_cmp_gt_i16_sdwa s[6:7], v3, s4 src0_sel:BYTE_0 src1_sel:DWORD
	s_mov_b64 s[4:5], 0
                                        ; implicit-def: $sgpr10
	s_and_saveexec_b64 s[8:9], s[6:7]
	s_xor_b64 s[6:7], exec, s[8:9]
	s_cbranch_execnz .LBB22_3821
; %bb.1773:
	s_or_saveexec_b64 s[6:7], s[6:7]
	v_mov_b32_e32 v4, s10
	s_xor_b64 exec, exec, s[6:7]
	s_cbranch_execnz .LBB22_3824
.LBB22_1774:
	s_or_b64 exec, exec, s[6:7]
	s_and_saveexec_b64 s[6:7], s[4:5]
	s_cbranch_execz .LBB22_1776
.LBB22_1775:
	v_bfe_u32 v4, v5, 8, 3
	v_ffbh_u32_e32 v7, v4
	v_min_u32_e32 v7, 32, v7
	v_lshrrev_b16_e32 v6, 3, v3
	v_subrev_u32_e32 v8, 28, v7
	v_and_b32_e32 v6, 15, v6
	v_lshlrev_b32_e32 v3, v8, v3
	v_sub_u32_e32 v7, 29, v7
	v_and_b32_e32 v3, 7, v3
	v_cmp_eq_u16_e32 vcc, 0, v6
	v_cndmask_b32_e32 v3, v4, v3, vcc
	v_cndmask_b32_e32 v4, v6, v7, vcc
	v_lshlrev_b32_e32 v6, 16, v5
	v_mov_b32_e32 v7, 0x3b800000
	v_lshlrev_b32_e32 v3, 20, v3
	v_and_b32_e32 v6, 0x80000000, v6
	v_lshl_add_u32 v4, v4, 23, v7
	v_or3_b32 v4, v6, v4, v3
.LBB22_1776:
	s_or_b64 exec, exec, s[6:7]
	s_nop 0
	v_mfma_f32_16x16x4f32 a[0:3], v2, v4, a[0:3]
	s_movk_i32 s4, 0xff
	v_and_b32_sdwa v3, v9, s4 dst_sel:DWORD dst_unused:UNUSED_PAD src0_sel:WORD_1 src1_sel:DWORD
	s_movk_i32 s4, 0x7f
	v_cmp_lt_i16_e32 vcc, s4, v3
	s_mov_b64 s[4:5], 0
                                        ; implicit-def: $sgpr10
	s_and_saveexec_b64 s[6:7], vcc
	s_xor_b64 s[6:7], exec, s[6:7]
	s_cbranch_execnz .LBB22_3825
; %bb.1777:
	s_or_saveexec_b64 s[6:7], s[6:7]
	v_mov_b32_e32 v2, s10
	s_xor_b64 exec, exec, s[6:7]
	s_cbranch_execnz .LBB22_3828
.LBB22_1778:
	s_or_b64 exec, exec, s[6:7]
	s_and_saveexec_b64 s[6:7], s[4:5]
	s_cbranch_execz .LBB22_1780
.LBB22_1779:
	v_bfe_u32 v2, v9, 16, 3
	v_ffbh_u32_e32 v6, v2
	v_min_u32_e32 v6, 32, v6
	v_lshrrev_b32_e32 v3, 19, v9
	v_subrev_u32_e32 v7, 28, v6
	v_and_b32_e32 v3, 15, v3
	v_lshlrev_b32_sdwa v7, v7, v9 dst_sel:DWORD dst_unused:UNUSED_PAD src0_sel:DWORD src1_sel:WORD_1
	v_bfe_u32 v4, v9, 19, 4
	v_sub_u32_e32 v6, 29, v6
	v_and_b32_e32 v7, 7, v7
	v_cmp_eq_u16_e32 vcc, 0, v3
	v_cndmask_b32_e32 v2, v2, v7, vcc
	v_cndmask_b32_e32 v3, v4, v6, vcc
	v_lshlrev_b32_e32 v4, 8, v9
	v_mov_b32_e32 v6, 0x3b800000
	v_lshlrev_b32_e32 v2, 20, v2
	v_and_b32_e32 v4, 0x80000000, v4
	v_lshl_add_u32 v3, v3, 23, v6
	v_or3_b32 v2, v4, v3, v2
.LBB22_1780:
	s_or_b64 exec, exec, s[6:7]
	s_movk_i32 s4, 0xff
	v_and_b32_sdwa v3, v5, s4 dst_sel:DWORD dst_unused:UNUSED_PAD src0_sel:WORD_1 src1_sel:DWORD
	s_movk_i32 s4, 0x7f
	v_cmp_lt_i16_e32 vcc, s4, v3
	s_mov_b64 s[4:5], 0
                                        ; implicit-def: $sgpr10
	s_and_saveexec_b64 s[6:7], vcc
	s_xor_b64 s[6:7], exec, s[6:7]
	s_cbranch_execnz .LBB22_3829
; %bb.1781:
	s_or_saveexec_b64 s[6:7], s[6:7]
	v_mov_b32_e32 v4, s10
	s_xor_b64 exec, exec, s[6:7]
	s_cbranch_execnz .LBB22_3832
.LBB22_1782:
	s_or_b64 exec, exec, s[6:7]
	s_and_saveexec_b64 s[6:7], s[4:5]
	s_cbranch_execz .LBB22_1784
.LBB22_1783:
	v_bfe_u32 v3, v5, 16, 3
	v_ffbh_u32_e32 v7, v3
	v_min_u32_e32 v7, 32, v7
	v_lshrrev_b32_e32 v4, 19, v5
	v_subrev_u32_e32 v8, 28, v7
	v_and_b32_e32 v4, 15, v4
	v_lshlrev_b32_sdwa v8, v8, v5 dst_sel:DWORD dst_unused:UNUSED_PAD src0_sel:DWORD src1_sel:WORD_1
	v_bfe_u32 v6, v5, 19, 4
	v_sub_u32_e32 v7, 29, v7
	v_and_b32_e32 v8, 7, v8
	v_cmp_eq_u16_e32 vcc, 0, v4
	v_cndmask_b32_e32 v3, v3, v8, vcc
	v_cndmask_b32_e32 v4, v6, v7, vcc
	v_lshlrev_b32_e32 v6, 8, v5
	v_mov_b32_e32 v7, 0x3b800000
	v_lshlrev_b32_e32 v3, 20, v3
	v_and_b32_e32 v6, 0x80000000, v6
	v_lshl_add_u32 v4, v4, 23, v7
	v_or3_b32 v4, v6, v4, v3
.LBB22_1784:
	s_or_b64 exec, exec, s[6:7]
	s_nop 0
	v_mfma_f32_16x16x4f32 a[0:3], v2, v4, a[0:3]
	s_movk_i32 s4, 0x7f
	v_cmp_gt_i16_sdwa s[6:7], v9, s4 src0_sel:BYTE_3 src1_sel:DWORD
	s_mov_b64 s[4:5], 0
                                        ; implicit-def: $sgpr10
	s_and_saveexec_b64 s[8:9], s[6:7]
	s_xor_b64 s[6:7], exec, s[8:9]
	s_cbranch_execnz .LBB22_3833
; %bb.1785:
	s_or_saveexec_b64 s[6:7], s[6:7]
	v_mov_b32_e32 v2, s10
	s_xor_b64 exec, exec, s[6:7]
	s_cbranch_execnz .LBB22_3836
.LBB22_1786:
	s_or_b64 exec, exec, s[6:7]
	s_and_saveexec_b64 s[6:7], s[4:5]
	s_cbranch_execz .LBB22_1788
.LBB22_1787:
	v_bfe_u32 v2, v9, 24, 3
	v_ffbh_u32_e32 v7, v2
	v_min_u32_e32 v7, 32, v7
	v_lshrrev_b32_e32 v4, 27, v9
	v_subrev_u32_e32 v8, 28, v7
	v_and_b32_e32 v4, 15, v4
	v_lshlrev_b32_sdwa v8, v8, v9 dst_sel:DWORD dst_unused:UNUSED_PAD src0_sel:DWORD src1_sel:BYTE_3
	v_bfe_u32 v6, v9, 27, 4
	v_sub_u32_e32 v7, 29, v7
	v_and_b32_e32 v8, 7, v8
	v_cmp_eq_u16_e32 vcc, 0, v4
	v_cndmask_b32_e32 v2, v2, v8, vcc
	v_cndmask_b32_e32 v4, v6, v7, vcc
	v_mov_b32_e32 v6, 0x3b800000
	v_and_b32_e32 v3, 0x80000000, v9
	v_lshlrev_b32_e32 v2, 20, v2
	v_lshl_add_u32 v4, v4, 23, v6
	v_or3_b32 v2, v3, v4, v2
.LBB22_1788:
	s_or_b64 exec, exec, s[6:7]
	s_movk_i32 s4, 0x7f
	v_cmp_gt_i16_sdwa s[6:7], v5, s4 src0_sel:BYTE_3 src1_sel:DWORD
	s_mov_b64 s[4:5], 0
                                        ; implicit-def: $sgpr10
	s_and_saveexec_b64 s[8:9], s[6:7]
	s_xor_b64 s[6:7], exec, s[8:9]
	s_cbranch_execnz .LBB22_3837
; %bb.1789:
	s_or_saveexec_b64 s[6:7], s[6:7]
	v_mov_b32_e32 v3, s10
	s_xor_b64 exec, exec, s[6:7]
	s_cbranch_execnz .LBB22_3840
.LBB22_1790:
	s_or_b64 exec, exec, s[6:7]
	s_and_saveexec_b64 s[6:7], s[4:5]
	s_cbranch_execz .LBB22_1792
.LBB22_1791:
	v_bfe_u32 v3, v5, 24, 3
	v_ffbh_u32_e32 v8, v3
	v_min_u32_e32 v8, 32, v8
	v_lshrrev_b32_e32 v6, 27, v5
	v_subrev_u32_e32 v9, 28, v8
	v_and_b32_e32 v4, 0x80000000, v5
	v_and_b32_e32 v6, 15, v6
	v_bfe_u32 v7, v5, 27, 4
	v_lshlrev_b32_sdwa v5, v9, v5 dst_sel:DWORD dst_unused:UNUSED_PAD src0_sel:DWORD src1_sel:BYTE_3
	v_sub_u32_e32 v8, 29, v8
	v_and_b32_e32 v5, 7, v5
	v_cmp_eq_u16_e32 vcc, 0, v6
	v_cndmask_b32_e32 v3, v3, v5, vcc
	v_cndmask_b32_e32 v5, v7, v8, vcc
	v_mov_b32_e32 v6, 0x3b800000
	v_lshlrev_b32_e32 v3, 20, v3
	v_lshl_add_u32 v5, v5, 23, v6
	v_or3_b32 v3, v4, v5, v3
.LBB22_1792:
	s_or_b64 exec, exec, s[6:7]
	s_nop 0
	v_mfma_f32_16x16x4f32 a[0:3], v2, v3, a[0:3]
	s_movk_i32 s4, 0x7f
                                        ; implicit-def: $sgpr10
	s_nop 7
	s_nop 1
	flat_store_dwordx4 v[18:19], a[0:3] offset:608
	flat_load_dwordx4 v[18:21], v[0:1] offset:8
	s_nop 0
	flat_load_dwordx2 v[16:17], v[0:1] offset:24
	s_waitcnt vmcnt(0) lgkmcnt(0)
	flat_load_dwordx4 v[12:15], v[18:19]
	flat_load_dwordx4 v[4:7], v[18:19] offset:16
	flat_load_dwordx4 v[8:11], v[20:21] offset:224
	;; [unrolled: 1-line block ×3, first 2 shown]
	s_waitcnt vmcnt(0) lgkmcnt(0)
	v_cmp_gt_i16_sdwa s[6:7], v12, s4 src0_sel:BYTE_0 src1_sel:DWORD
	s_mov_b64 s[4:5], 0
	s_and_saveexec_b64 s[8:9], s[6:7]
	s_xor_b64 s[6:7], exec, s[8:9]
	s_cbranch_execnz .LBB22_3841
; %bb.1793:
	s_or_saveexec_b64 s[6:7], s[6:7]
	v_mov_b32_e32 v18, s10
	s_xor_b64 exec, exec, s[6:7]
	s_cbranch_execnz .LBB22_3844
.LBB22_1794:
	s_or_b64 exec, exec, s[6:7]
	s_and_saveexec_b64 s[6:7], s[4:5]
	s_cbranch_execz .LBB22_1796
.LBB22_1795:
	v_and_b32_e32 v18, 7, v12
	v_ffbh_u32_e32 v20, v18
	v_min_u32_e32 v20, 32, v20
	v_lshrrev_b16_e32 v19, 3, v12
	v_subrev_u32_e32 v21, 28, v20
	v_and_b32_e32 v19, 15, v19
	v_lshlrev_b32_e32 v21, v21, v12
	v_sub_u32_e32 v20, 29, v20
	v_and_b32_e32 v21, 7, v21
	v_cmp_eq_u16_e32 vcc, 0, v19
	v_cndmask_b32_e32 v18, v18, v21, vcc
	v_cndmask_b32_e32 v19, v19, v20, vcc
	v_lshlrev_b32_e32 v20, 24, v12
	v_mov_b32_e32 v21, 0x3b800000
	v_lshlrev_b32_e32 v18, 20, v18
	v_and_b32_e32 v20, 0x80000000, v20
	v_lshl_add_u32 v19, v19, 23, v21
	v_or3_b32 v18, v20, v19, v18
.LBB22_1796:
	s_or_b64 exec, exec, s[6:7]
	s_movk_i32 s4, 0x7f
	v_cmp_gt_i16_sdwa s[6:7], v8, s4 src0_sel:BYTE_0 src1_sel:DWORD
	s_mov_b64 s[4:5], 0
                                        ; implicit-def: $sgpr10
	s_and_saveexec_b64 s[8:9], s[6:7]
	s_xor_b64 s[6:7], exec, s[8:9]
	s_cbranch_execnz .LBB22_3845
; %bb.1797:
	s_or_saveexec_b64 s[6:7], s[6:7]
	v_mov_b32_e32 v19, s10
	s_xor_b64 exec, exec, s[6:7]
	s_cbranch_execnz .LBB22_3848
.LBB22_1798:
	s_or_b64 exec, exec, s[6:7]
	s_and_saveexec_b64 s[6:7], s[4:5]
	s_cbranch_execz .LBB22_1800
.LBB22_1799:
	v_and_b32_e32 v19, 7, v8
	v_ffbh_u32_e32 v21, v19
	v_min_u32_e32 v21, 32, v21
	v_lshrrev_b16_e32 v20, 3, v8
	v_subrev_u32_e32 v22, 28, v21
	v_and_b32_e32 v20, 15, v20
	v_lshlrev_b32_e32 v22, v22, v8
	v_sub_u32_e32 v21, 29, v21
	v_and_b32_e32 v22, 7, v22
	v_cmp_eq_u16_e32 vcc, 0, v20
	v_cndmask_b32_e32 v19, v19, v22, vcc
	v_cndmask_b32_e32 v20, v20, v21, vcc
	v_lshlrev_b32_e32 v21, 24, v8
	v_mov_b32_e32 v22, 0x3b800000
	v_lshlrev_b32_e32 v19, 20, v19
	v_and_b32_e32 v21, 0x80000000, v21
	v_lshl_add_u32 v20, v20, 23, v22
	v_or3_b32 v19, v21, v20, v19
.LBB22_1800:
	s_or_b64 exec, exec, s[6:7]
	flat_load_dwordx4 a[0:3], v[16:17] offset:624
	s_movk_i32 s4, 0x7f
                                        ; implicit-def: $sgpr10
	s_waitcnt vmcnt(0) lgkmcnt(0)
	v_mfma_f32_16x16x4f32 a[0:3], v18, v19, a[0:3]
	v_lshrrev_b32_e32 v19, 8, v12
	v_cmp_gt_i16_sdwa s[6:7], v19, s4 src0_sel:BYTE_0 src1_sel:DWORD
	s_mov_b64 s[4:5], 0
	s_and_saveexec_b64 s[8:9], s[6:7]
	s_xor_b64 s[6:7], exec, s[8:9]
	s_cbranch_execnz .LBB22_3849
; %bb.1801:
	s_or_saveexec_b64 s[6:7], s[6:7]
	v_mov_b32_e32 v18, s10
	s_xor_b64 exec, exec, s[6:7]
	s_cbranch_execnz .LBB22_3852
.LBB22_1802:
	s_or_b64 exec, exec, s[6:7]
	s_and_saveexec_b64 s[6:7], s[4:5]
	s_cbranch_execz .LBB22_1804
.LBB22_1803:
	v_bfe_u32 v18, v12, 8, 3
	v_ffbh_u32_e32 v21, v18
	v_min_u32_e32 v21, 32, v21
	v_lshrrev_b16_e32 v20, 3, v19
	v_subrev_u32_e32 v22, 28, v21
	v_and_b32_e32 v20, 15, v20
	v_lshlrev_b32_e32 v19, v22, v19
	v_sub_u32_e32 v21, 29, v21
	v_and_b32_e32 v19, 7, v19
	v_cmp_eq_u16_e32 vcc, 0, v20
	v_cndmask_b32_e32 v18, v18, v19, vcc
	v_cndmask_b32_e32 v19, v20, v21, vcc
	v_lshlrev_b32_e32 v20, 16, v12
	v_mov_b32_e32 v21, 0x3b800000
	v_lshlrev_b32_e32 v18, 20, v18
	v_and_b32_e32 v20, 0x80000000, v20
	v_lshl_add_u32 v19, v19, 23, v21
	v_or3_b32 v18, v20, v19, v18
.LBB22_1804:
	s_or_b64 exec, exec, s[6:7]
	v_lshrrev_b32_e32 v19, 8, v8
	s_movk_i32 s4, 0x7f
	v_cmp_gt_i16_sdwa s[6:7], v19, s4 src0_sel:BYTE_0 src1_sel:DWORD
	s_mov_b64 s[4:5], 0
                                        ; implicit-def: $sgpr10
	s_and_saveexec_b64 s[8:9], s[6:7]
	s_xor_b64 s[6:7], exec, s[8:9]
	s_cbranch_execnz .LBB22_3853
; %bb.1805:
	s_or_saveexec_b64 s[6:7], s[6:7]
	v_mov_b32_e32 v20, s10
	s_xor_b64 exec, exec, s[6:7]
	s_cbranch_execnz .LBB22_3856
.LBB22_1806:
	s_or_b64 exec, exec, s[6:7]
	s_and_saveexec_b64 s[6:7], s[4:5]
	s_cbranch_execz .LBB22_1808
.LBB22_1807:
	v_bfe_u32 v20, v8, 8, 3
	v_ffbh_u32_e32 v22, v20
	v_min_u32_e32 v22, 32, v22
	v_lshrrev_b16_e32 v21, 3, v19
	v_subrev_u32_e32 v23, 28, v22
	v_and_b32_e32 v21, 15, v21
	v_lshlrev_b32_e32 v19, v23, v19
	v_sub_u32_e32 v22, 29, v22
	v_and_b32_e32 v19, 7, v19
	v_cmp_eq_u16_e32 vcc, 0, v21
	v_cndmask_b32_e32 v19, v20, v19, vcc
	v_cndmask_b32_e32 v20, v21, v22, vcc
	v_lshlrev_b32_e32 v21, 16, v8
	v_mov_b32_e32 v22, 0x3b800000
	v_lshlrev_b32_e32 v19, 20, v19
	v_and_b32_e32 v21, 0x80000000, v21
	v_lshl_add_u32 v20, v20, 23, v22
	v_or3_b32 v20, v21, v20, v19
.LBB22_1808:
	s_or_b64 exec, exec, s[6:7]
	s_nop 0
	v_mfma_f32_16x16x4f32 a[0:3], v18, v20, a[0:3]
	s_movk_i32 s4, 0xff
	v_and_b32_sdwa v19, v12, s4 dst_sel:DWORD dst_unused:UNUSED_PAD src0_sel:WORD_1 src1_sel:DWORD
	s_movk_i32 s4, 0x7f
	v_cmp_lt_i16_e32 vcc, s4, v19
	s_mov_b64 s[4:5], 0
                                        ; implicit-def: $sgpr10
	s_and_saveexec_b64 s[6:7], vcc
	s_xor_b64 s[6:7], exec, s[6:7]
	s_cbranch_execnz .LBB22_3857
; %bb.1809:
	s_or_saveexec_b64 s[6:7], s[6:7]
	v_mov_b32_e32 v18, s10
	s_xor_b64 exec, exec, s[6:7]
	s_cbranch_execnz .LBB22_3860
.LBB22_1810:
	s_or_b64 exec, exec, s[6:7]
	s_and_saveexec_b64 s[6:7], s[4:5]
	s_cbranch_execz .LBB22_1812
.LBB22_1811:
	v_bfe_u32 v18, v12, 16, 3
	v_ffbh_u32_e32 v21, v18
	v_min_u32_e32 v21, 32, v21
	v_lshrrev_b32_e32 v19, 19, v12
	v_subrev_u32_e32 v22, 28, v21
	v_and_b32_e32 v19, 15, v19
	v_lshlrev_b32_sdwa v22, v22, v12 dst_sel:DWORD dst_unused:UNUSED_PAD src0_sel:DWORD src1_sel:WORD_1
	v_bfe_u32 v20, v12, 19, 4
	v_sub_u32_e32 v21, 29, v21
	v_and_b32_e32 v22, 7, v22
	v_cmp_eq_u16_e32 vcc, 0, v19
	v_cndmask_b32_e32 v18, v18, v22, vcc
	v_cndmask_b32_e32 v19, v20, v21, vcc
	v_lshlrev_b32_e32 v20, 8, v12
	v_mov_b32_e32 v21, 0x3b800000
	v_lshlrev_b32_e32 v18, 20, v18
	v_and_b32_e32 v20, 0x80000000, v20
	v_lshl_add_u32 v19, v19, 23, v21
	v_or3_b32 v18, v20, v19, v18
.LBB22_1812:
	s_or_b64 exec, exec, s[6:7]
	s_movk_i32 s4, 0xff
	v_and_b32_sdwa v19, v8, s4 dst_sel:DWORD dst_unused:UNUSED_PAD src0_sel:WORD_1 src1_sel:DWORD
	s_movk_i32 s4, 0x7f
	v_cmp_lt_i16_e32 vcc, s4, v19
	s_mov_b64 s[4:5], 0
                                        ; implicit-def: $sgpr10
	s_and_saveexec_b64 s[6:7], vcc
	s_xor_b64 s[6:7], exec, s[6:7]
	s_cbranch_execnz .LBB22_3861
; %bb.1813:
	s_or_saveexec_b64 s[6:7], s[6:7]
	v_mov_b32_e32 v20, s10
	s_xor_b64 exec, exec, s[6:7]
	s_cbranch_execnz .LBB22_3864
.LBB22_1814:
	s_or_b64 exec, exec, s[6:7]
	s_and_saveexec_b64 s[6:7], s[4:5]
	s_cbranch_execz .LBB22_1816
.LBB22_1815:
	v_bfe_u32 v19, v8, 16, 3
	v_ffbh_u32_e32 v22, v19
	v_min_u32_e32 v22, 32, v22
	v_lshrrev_b32_e32 v20, 19, v8
	v_subrev_u32_e32 v23, 28, v22
	v_and_b32_e32 v20, 15, v20
	v_lshlrev_b32_sdwa v23, v23, v8 dst_sel:DWORD dst_unused:UNUSED_PAD src0_sel:DWORD src1_sel:WORD_1
	v_bfe_u32 v21, v8, 19, 4
	v_sub_u32_e32 v22, 29, v22
	v_and_b32_e32 v23, 7, v23
	v_cmp_eq_u16_e32 vcc, 0, v20
	v_cndmask_b32_e32 v19, v19, v23, vcc
	v_cndmask_b32_e32 v20, v21, v22, vcc
	v_lshlrev_b32_e32 v21, 8, v8
	v_mov_b32_e32 v22, 0x3b800000
	v_lshlrev_b32_e32 v19, 20, v19
	v_and_b32_e32 v21, 0x80000000, v21
	v_lshl_add_u32 v20, v20, 23, v22
	v_or3_b32 v20, v21, v20, v19
.LBB22_1816:
	s_or_b64 exec, exec, s[6:7]
	s_nop 0
	v_mfma_f32_16x16x4f32 a[0:3], v18, v20, a[0:3]
	s_movk_i32 s4, 0x7f
	v_cmp_gt_i16_sdwa s[6:7], v12, s4 src0_sel:BYTE_3 src1_sel:DWORD
	s_mov_b64 s[4:5], 0
                                        ; implicit-def: $sgpr10
	s_and_saveexec_b64 s[8:9], s[6:7]
	s_xor_b64 s[6:7], exec, s[8:9]
	s_cbranch_execnz .LBB22_3865
; %bb.1817:
	s_or_saveexec_b64 s[6:7], s[6:7]
	v_mov_b32_e32 v18, s10
	s_xor_b64 exec, exec, s[6:7]
	s_cbranch_execnz .LBB22_3868
.LBB22_1818:
	s_or_b64 exec, exec, s[6:7]
	s_and_saveexec_b64 s[6:7], s[4:5]
	s_cbranch_execz .LBB22_1820
.LBB22_1819:
	v_bfe_u32 v18, v12, 24, 3
	v_ffbh_u32_e32 v22, v18
	v_min_u32_e32 v22, 32, v22
	v_lshrrev_b32_e32 v20, 27, v12
	v_subrev_u32_e32 v23, 28, v22
	v_and_b32_e32 v19, 0x80000000, v12
	v_and_b32_e32 v20, 15, v20
	v_bfe_u32 v21, v12, 27, 4
	v_lshlrev_b32_sdwa v12, v23, v12 dst_sel:DWORD dst_unused:UNUSED_PAD src0_sel:DWORD src1_sel:BYTE_3
	v_sub_u32_e32 v22, 29, v22
	v_and_b32_e32 v12, 7, v12
	v_cmp_eq_u16_e32 vcc, 0, v20
	v_cndmask_b32_e32 v12, v18, v12, vcc
	v_cndmask_b32_e32 v18, v21, v22, vcc
	v_mov_b32_e32 v20, 0x3b800000
	v_lshlrev_b32_e32 v12, 20, v12
	v_lshl_add_u32 v18, v18, 23, v20
	v_or3_b32 v18, v19, v18, v12
.LBB22_1820:
	s_or_b64 exec, exec, s[6:7]
	s_movk_i32 s4, 0x7f
	v_cmp_gt_i16_sdwa s[6:7], v8, s4 src0_sel:BYTE_3 src1_sel:DWORD
	s_mov_b64 s[4:5], 0
                                        ; implicit-def: $sgpr10
	s_and_saveexec_b64 s[8:9], s[6:7]
	s_xor_b64 s[6:7], exec, s[8:9]
	s_cbranch_execnz .LBB22_3869
; %bb.1821:
	s_or_saveexec_b64 s[6:7], s[6:7]
	v_mov_b32_e32 v12, s10
	s_xor_b64 exec, exec, s[6:7]
	s_cbranch_execnz .LBB22_3872
.LBB22_1822:
	s_or_b64 exec, exec, s[6:7]
	s_and_saveexec_b64 s[6:7], s[4:5]
	s_cbranch_execz .LBB22_1824
.LBB22_1823:
	v_bfe_u32 v12, v8, 24, 3
	v_ffbh_u32_e32 v22, v12
	v_min_u32_e32 v22, 32, v22
	v_lshrrev_b32_e32 v20, 27, v8
	v_subrev_u32_e32 v23, 28, v22
	v_and_b32_e32 v19, 0x80000000, v8
	v_and_b32_e32 v20, 15, v20
	v_bfe_u32 v21, v8, 27, 4
	v_lshlrev_b32_sdwa v8, v23, v8 dst_sel:DWORD dst_unused:UNUSED_PAD src0_sel:DWORD src1_sel:BYTE_3
	v_sub_u32_e32 v22, 29, v22
	v_and_b32_e32 v8, 7, v8
	v_cmp_eq_u16_e32 vcc, 0, v20
	v_cndmask_b32_e32 v8, v12, v8, vcc
	v_cndmask_b32_e32 v12, v21, v22, vcc
	v_mov_b32_e32 v20, 0x3b800000
	v_lshlrev_b32_e32 v8, 20, v8
	v_lshl_add_u32 v12, v12, 23, v20
	v_or3_b32 v12, v19, v12, v8
.LBB22_1824:
	s_or_b64 exec, exec, s[6:7]
	s_nop 0
	v_mfma_f32_16x16x4f32 a[0:3], v18, v12, a[0:3]
	s_movk_i32 s4, 0x7f
	v_cmp_gt_i16_sdwa s[6:7], v13, s4 src0_sel:BYTE_0 src1_sel:DWORD
	s_mov_b64 s[4:5], 0
                                        ; implicit-def: $sgpr10
	s_and_saveexec_b64 s[8:9], s[6:7]
	s_xor_b64 s[6:7], exec, s[8:9]
	s_cbranch_execnz .LBB22_3873
; %bb.1825:
	s_or_saveexec_b64 s[6:7], s[6:7]
	v_mov_b32_e32 v8, s10
	s_xor_b64 exec, exec, s[6:7]
	s_cbranch_execnz .LBB22_3876
.LBB22_1826:
	s_or_b64 exec, exec, s[6:7]
	s_and_saveexec_b64 s[6:7], s[4:5]
	s_cbranch_execz .LBB22_1828
.LBB22_1827:
	v_and_b32_e32 v8, 7, v13
	v_ffbh_u32_e32 v18, v8
	v_min_u32_e32 v18, 32, v18
	v_lshrrev_b16_e32 v12, 3, v13
	v_subrev_u32_e32 v19, 28, v18
	v_and_b32_e32 v12, 15, v12
	v_lshlrev_b32_e32 v19, v19, v13
	v_sub_u32_e32 v18, 29, v18
	v_and_b32_e32 v19, 7, v19
	v_cmp_eq_u16_e32 vcc, 0, v12
	v_cndmask_b32_e32 v8, v8, v19, vcc
	v_cndmask_b32_e32 v12, v12, v18, vcc
	v_lshlrev_b32_e32 v18, 24, v13
	v_mov_b32_e32 v19, 0x3b800000
	v_lshlrev_b32_e32 v8, 20, v8
	v_and_b32_e32 v18, 0x80000000, v18
	v_lshl_add_u32 v12, v12, 23, v19
	v_or3_b32 v8, v18, v12, v8
.LBB22_1828:
	s_or_b64 exec, exec, s[6:7]
	s_movk_i32 s4, 0x7f
	v_cmp_gt_i16_sdwa s[6:7], v9, s4 src0_sel:BYTE_0 src1_sel:DWORD
	s_mov_b64 s[4:5], 0
                                        ; implicit-def: $sgpr10
	s_and_saveexec_b64 s[8:9], s[6:7]
	s_xor_b64 s[6:7], exec, s[8:9]
	s_cbranch_execnz .LBB22_3877
; %bb.1829:
	s_or_saveexec_b64 s[6:7], s[6:7]
	v_mov_b32_e32 v12, s10
	s_xor_b64 exec, exec, s[6:7]
	s_cbranch_execnz .LBB22_3880
.LBB22_1830:
	s_or_b64 exec, exec, s[6:7]
	s_and_saveexec_b64 s[6:7], s[4:5]
	s_cbranch_execz .LBB22_1832
.LBB22_1831:
	v_and_b32_e32 v12, 7, v9
	v_ffbh_u32_e32 v19, v12
	v_min_u32_e32 v19, 32, v19
	v_lshrrev_b16_e32 v18, 3, v9
	v_subrev_u32_e32 v20, 28, v19
	v_and_b32_e32 v18, 15, v18
	v_lshlrev_b32_e32 v20, v20, v9
	v_sub_u32_e32 v19, 29, v19
	v_and_b32_e32 v20, 7, v20
	v_cmp_eq_u16_e32 vcc, 0, v18
	v_cndmask_b32_e32 v12, v12, v20, vcc
	v_cndmask_b32_e32 v18, v18, v19, vcc
	v_lshlrev_b32_e32 v19, 24, v9
	v_mov_b32_e32 v20, 0x3b800000
	v_lshlrev_b32_e32 v12, 20, v12
	v_and_b32_e32 v19, 0x80000000, v19
	v_lshl_add_u32 v18, v18, 23, v20
	v_or3_b32 v12, v19, v18, v12
.LBB22_1832:
	s_or_b64 exec, exec, s[6:7]
	s_nop 0
	v_mfma_f32_16x16x4f32 a[0:3], v8, v12, a[0:3]
	v_lshrrev_b32_e32 v12, 8, v13
	s_movk_i32 s4, 0x7f
	v_cmp_gt_i16_sdwa s[6:7], v12, s4 src0_sel:BYTE_0 src1_sel:DWORD
	s_mov_b64 s[4:5], 0
                                        ; implicit-def: $sgpr10
	s_and_saveexec_b64 s[8:9], s[6:7]
	s_xor_b64 s[6:7], exec, s[8:9]
	s_cbranch_execnz .LBB22_3881
; %bb.1833:
	s_or_saveexec_b64 s[6:7], s[6:7]
	v_mov_b32_e32 v8, s10
	s_xor_b64 exec, exec, s[6:7]
	s_cbranch_execnz .LBB22_3884
.LBB22_1834:
	s_or_b64 exec, exec, s[6:7]
	s_and_saveexec_b64 s[6:7], s[4:5]
	s_cbranch_execz .LBB22_1836
.LBB22_1835:
	v_bfe_u32 v8, v13, 8, 3
	v_ffbh_u32_e32 v19, v8
	v_min_u32_e32 v19, 32, v19
	v_lshrrev_b16_e32 v18, 3, v12
	v_subrev_u32_e32 v20, 28, v19
	v_and_b32_e32 v18, 15, v18
	v_lshlrev_b32_e32 v12, v20, v12
	v_sub_u32_e32 v19, 29, v19
	v_and_b32_e32 v12, 7, v12
	v_cmp_eq_u16_e32 vcc, 0, v18
	v_cndmask_b32_e32 v8, v8, v12, vcc
	v_cndmask_b32_e32 v12, v18, v19, vcc
	v_lshlrev_b32_e32 v18, 16, v13
	v_mov_b32_e32 v19, 0x3b800000
	v_lshlrev_b32_e32 v8, 20, v8
	v_and_b32_e32 v18, 0x80000000, v18
	v_lshl_add_u32 v12, v12, 23, v19
	v_or3_b32 v8, v18, v12, v8
.LBB22_1836:
	s_or_b64 exec, exec, s[6:7]
	v_lshrrev_b32_e32 v12, 8, v9
	s_movk_i32 s4, 0x7f
	v_cmp_gt_i16_sdwa s[6:7], v12, s4 src0_sel:BYTE_0 src1_sel:DWORD
	s_mov_b64 s[4:5], 0
                                        ; implicit-def: $sgpr10
	s_and_saveexec_b64 s[8:9], s[6:7]
	s_xor_b64 s[6:7], exec, s[8:9]
	s_cbranch_execnz .LBB22_3885
; %bb.1837:
	s_or_saveexec_b64 s[6:7], s[6:7]
	v_mov_b32_e32 v18, s10
	s_xor_b64 exec, exec, s[6:7]
	s_cbranch_execnz .LBB22_3888
.LBB22_1838:
	s_or_b64 exec, exec, s[6:7]
	s_and_saveexec_b64 s[6:7], s[4:5]
	s_cbranch_execz .LBB22_1840
.LBB22_1839:
	v_bfe_u32 v18, v9, 8, 3
	v_ffbh_u32_e32 v20, v18
	v_min_u32_e32 v20, 32, v20
	v_lshrrev_b16_e32 v19, 3, v12
	v_subrev_u32_e32 v21, 28, v20
	v_and_b32_e32 v19, 15, v19
	v_lshlrev_b32_e32 v12, v21, v12
	v_sub_u32_e32 v20, 29, v20
	v_and_b32_e32 v12, 7, v12
	v_cmp_eq_u16_e32 vcc, 0, v19
	v_cndmask_b32_e32 v12, v18, v12, vcc
	v_cndmask_b32_e32 v18, v19, v20, vcc
	v_lshlrev_b32_e32 v19, 16, v9
	v_mov_b32_e32 v20, 0x3b800000
	v_lshlrev_b32_e32 v12, 20, v12
	v_and_b32_e32 v19, 0x80000000, v19
	v_lshl_add_u32 v18, v18, 23, v20
	v_or3_b32 v18, v19, v18, v12
.LBB22_1840:
	s_or_b64 exec, exec, s[6:7]
	s_nop 0
	v_mfma_f32_16x16x4f32 a[0:3], v8, v18, a[0:3]
	s_movk_i32 s4, 0xff
	v_and_b32_sdwa v12, v13, s4 dst_sel:DWORD dst_unused:UNUSED_PAD src0_sel:WORD_1 src1_sel:DWORD
	s_movk_i32 s4, 0x7f
	v_cmp_lt_i16_e32 vcc, s4, v12
	s_mov_b64 s[4:5], 0
                                        ; implicit-def: $sgpr10
	s_and_saveexec_b64 s[6:7], vcc
	s_xor_b64 s[6:7], exec, s[6:7]
	s_cbranch_execnz .LBB22_3889
; %bb.1841:
	s_or_saveexec_b64 s[6:7], s[6:7]
	v_mov_b32_e32 v8, s10
	s_xor_b64 exec, exec, s[6:7]
	s_cbranch_execnz .LBB22_3892
.LBB22_1842:
	s_or_b64 exec, exec, s[6:7]
	s_and_saveexec_b64 s[6:7], s[4:5]
	s_cbranch_execz .LBB22_1844
.LBB22_1843:
	v_bfe_u32 v8, v13, 16, 3
	v_ffbh_u32_e32 v19, v8
	v_min_u32_e32 v19, 32, v19
	v_lshrrev_b32_e32 v12, 19, v13
	v_subrev_u32_e32 v20, 28, v19
	v_and_b32_e32 v12, 15, v12
	v_lshlrev_b32_sdwa v20, v20, v13 dst_sel:DWORD dst_unused:UNUSED_PAD src0_sel:DWORD src1_sel:WORD_1
	v_bfe_u32 v18, v13, 19, 4
	v_sub_u32_e32 v19, 29, v19
	v_and_b32_e32 v20, 7, v20
	v_cmp_eq_u16_e32 vcc, 0, v12
	v_cndmask_b32_e32 v8, v8, v20, vcc
	v_cndmask_b32_e32 v12, v18, v19, vcc
	v_lshlrev_b32_e32 v18, 8, v13
	v_mov_b32_e32 v19, 0x3b800000
	v_lshlrev_b32_e32 v8, 20, v8
	v_and_b32_e32 v18, 0x80000000, v18
	v_lshl_add_u32 v12, v12, 23, v19
	v_or3_b32 v8, v18, v12, v8
.LBB22_1844:
	s_or_b64 exec, exec, s[6:7]
	s_movk_i32 s4, 0xff
	v_and_b32_sdwa v12, v9, s4 dst_sel:DWORD dst_unused:UNUSED_PAD src0_sel:WORD_1 src1_sel:DWORD
	s_movk_i32 s4, 0x7f
	v_cmp_lt_i16_e32 vcc, s4, v12
	s_mov_b64 s[4:5], 0
                                        ; implicit-def: $sgpr10
	s_and_saveexec_b64 s[6:7], vcc
	s_xor_b64 s[6:7], exec, s[6:7]
	s_cbranch_execnz .LBB22_3893
; %bb.1845:
	s_or_saveexec_b64 s[6:7], s[6:7]
	v_mov_b32_e32 v18, s10
	s_xor_b64 exec, exec, s[6:7]
	s_cbranch_execnz .LBB22_3896
.LBB22_1846:
	s_or_b64 exec, exec, s[6:7]
	s_and_saveexec_b64 s[6:7], s[4:5]
	s_cbranch_execz .LBB22_1848
.LBB22_1847:
	v_bfe_u32 v12, v9, 16, 3
	v_ffbh_u32_e32 v20, v12
	v_min_u32_e32 v20, 32, v20
	v_lshrrev_b32_e32 v18, 19, v9
	v_subrev_u32_e32 v21, 28, v20
	v_and_b32_e32 v18, 15, v18
	v_lshlrev_b32_sdwa v21, v21, v9 dst_sel:DWORD dst_unused:UNUSED_PAD src0_sel:DWORD src1_sel:WORD_1
	v_bfe_u32 v19, v9, 19, 4
	v_sub_u32_e32 v20, 29, v20
	v_and_b32_e32 v21, 7, v21
	v_cmp_eq_u16_e32 vcc, 0, v18
	v_cndmask_b32_e32 v12, v12, v21, vcc
	v_cndmask_b32_e32 v18, v19, v20, vcc
	v_lshlrev_b32_e32 v19, 8, v9
	v_mov_b32_e32 v20, 0x3b800000
	v_lshlrev_b32_e32 v12, 20, v12
	v_and_b32_e32 v19, 0x80000000, v19
	v_lshl_add_u32 v18, v18, 23, v20
	v_or3_b32 v18, v19, v18, v12
.LBB22_1848:
	s_or_b64 exec, exec, s[6:7]
	s_nop 0
	v_mfma_f32_16x16x4f32 a[0:3], v8, v18, a[0:3]
	s_movk_i32 s4, 0x7f
	v_cmp_gt_i16_sdwa s[6:7], v13, s4 src0_sel:BYTE_3 src1_sel:DWORD
	s_mov_b64 s[4:5], 0
                                        ; implicit-def: $sgpr10
	s_and_saveexec_b64 s[8:9], s[6:7]
	s_xor_b64 s[6:7], exec, s[8:9]
	s_cbranch_execnz .LBB22_3897
; %bb.1849:
	s_or_saveexec_b64 s[6:7], s[6:7]
	v_mov_b32_e32 v8, s10
	s_xor_b64 exec, exec, s[6:7]
	s_cbranch_execnz .LBB22_3900
.LBB22_1850:
	s_or_b64 exec, exec, s[6:7]
	s_and_saveexec_b64 s[6:7], s[4:5]
	s_cbranch_execz .LBB22_1852
.LBB22_1851:
	v_bfe_u32 v8, v13, 24, 3
	v_ffbh_u32_e32 v20, v8
	v_min_u32_e32 v20, 32, v20
	v_lshrrev_b32_e32 v18, 27, v13
	v_subrev_u32_e32 v21, 28, v20
	v_and_b32_e32 v12, 0x80000000, v13
	v_and_b32_e32 v18, 15, v18
	v_bfe_u32 v19, v13, 27, 4
	v_lshlrev_b32_sdwa v13, v21, v13 dst_sel:DWORD dst_unused:UNUSED_PAD src0_sel:DWORD src1_sel:BYTE_3
	v_sub_u32_e32 v20, 29, v20
	v_and_b32_e32 v13, 7, v13
	v_cmp_eq_u16_e32 vcc, 0, v18
	v_cndmask_b32_e32 v8, v8, v13, vcc
	v_cndmask_b32_e32 v13, v19, v20, vcc
	v_mov_b32_e32 v18, 0x3b800000
	v_lshlrev_b32_e32 v8, 20, v8
	v_lshl_add_u32 v13, v13, 23, v18
	v_or3_b32 v8, v12, v13, v8
.LBB22_1852:
	s_or_b64 exec, exec, s[6:7]
	s_movk_i32 s4, 0x7f
	v_cmp_gt_i16_sdwa s[6:7], v9, s4 src0_sel:BYTE_3 src1_sel:DWORD
	s_mov_b64 s[4:5], 0
                                        ; implicit-def: $sgpr10
	s_and_saveexec_b64 s[8:9], s[6:7]
	s_xor_b64 s[6:7], exec, s[8:9]
	s_cbranch_execnz .LBB22_3901
; %bb.1853:
	s_or_saveexec_b64 s[6:7], s[6:7]
	v_mov_b32_e32 v12, s10
	s_xor_b64 exec, exec, s[6:7]
	s_cbranch_execnz .LBB22_3904
.LBB22_1854:
	s_or_b64 exec, exec, s[6:7]
	s_and_saveexec_b64 s[6:7], s[4:5]
	s_cbranch_execz .LBB22_1856
.LBB22_1855:
	v_bfe_u32 v12, v9, 24, 3
	v_ffbh_u32_e32 v20, v12
	v_min_u32_e32 v20, 32, v20
	v_lshrrev_b32_e32 v18, 27, v9
	v_subrev_u32_e32 v21, 28, v20
	v_and_b32_e32 v13, 0x80000000, v9
	v_and_b32_e32 v18, 15, v18
	v_bfe_u32 v19, v9, 27, 4
	v_lshlrev_b32_sdwa v9, v21, v9 dst_sel:DWORD dst_unused:UNUSED_PAD src0_sel:DWORD src1_sel:BYTE_3
	v_sub_u32_e32 v20, 29, v20
	v_and_b32_e32 v9, 7, v9
	v_cmp_eq_u16_e32 vcc, 0, v18
	v_cndmask_b32_e32 v9, v12, v9, vcc
	v_cndmask_b32_e32 v12, v19, v20, vcc
	v_mov_b32_e32 v18, 0x3b800000
	v_lshlrev_b32_e32 v9, 20, v9
	v_lshl_add_u32 v12, v12, 23, v18
	v_or3_b32 v12, v13, v12, v9
.LBB22_1856:
	s_or_b64 exec, exec, s[6:7]
	s_nop 0
	v_mfma_f32_16x16x4f32 a[0:3], v8, v12, a[0:3]
	s_movk_i32 s4, 0x7f
	v_cmp_gt_i16_sdwa s[6:7], v14, s4 src0_sel:BYTE_0 src1_sel:DWORD
	s_mov_b64 s[4:5], 0
                                        ; implicit-def: $sgpr10
	s_and_saveexec_b64 s[8:9], s[6:7]
	s_xor_b64 s[6:7], exec, s[8:9]
	s_cbranch_execnz .LBB22_3905
; %bb.1857:
	s_or_saveexec_b64 s[6:7], s[6:7]
	v_mov_b32_e32 v8, s10
	s_xor_b64 exec, exec, s[6:7]
	s_cbranch_execnz .LBB22_3908
.LBB22_1858:
	s_or_b64 exec, exec, s[6:7]
	s_and_saveexec_b64 s[6:7], s[4:5]
	s_cbranch_execz .LBB22_1860
.LBB22_1859:
	v_and_b32_e32 v8, 7, v14
	v_ffbh_u32_e32 v12, v8
	v_min_u32_e32 v12, 32, v12
	v_lshrrev_b16_e32 v9, 3, v14
	v_subrev_u32_e32 v13, 28, v12
	v_and_b32_e32 v9, 15, v9
	v_lshlrev_b32_e32 v13, v13, v14
	v_sub_u32_e32 v12, 29, v12
	v_and_b32_e32 v13, 7, v13
	v_cmp_eq_u16_e32 vcc, 0, v9
	v_cndmask_b32_e32 v8, v8, v13, vcc
	v_cndmask_b32_e32 v9, v9, v12, vcc
	v_lshlrev_b32_e32 v12, 24, v14
	v_mov_b32_e32 v13, 0x3b800000
	v_lshlrev_b32_e32 v8, 20, v8
	v_and_b32_e32 v12, 0x80000000, v12
	v_lshl_add_u32 v9, v9, 23, v13
	v_or3_b32 v8, v12, v9, v8
.LBB22_1860:
	s_or_b64 exec, exec, s[6:7]
	s_movk_i32 s4, 0x7f
	v_cmp_gt_i16_sdwa s[6:7], v10, s4 src0_sel:BYTE_0 src1_sel:DWORD
	s_mov_b64 s[4:5], 0
                                        ; implicit-def: $sgpr10
	s_and_saveexec_b64 s[8:9], s[6:7]
	s_xor_b64 s[6:7], exec, s[8:9]
	s_cbranch_execnz .LBB22_3909
; %bb.1861:
	s_or_saveexec_b64 s[6:7], s[6:7]
	v_mov_b32_e32 v9, s10
	s_xor_b64 exec, exec, s[6:7]
	s_cbranch_execnz .LBB22_3912
.LBB22_1862:
	s_or_b64 exec, exec, s[6:7]
	s_and_saveexec_b64 s[6:7], s[4:5]
	s_cbranch_execz .LBB22_1864
.LBB22_1863:
	v_and_b32_e32 v9, 7, v10
	v_ffbh_u32_e32 v13, v9
	v_min_u32_e32 v13, 32, v13
	v_lshrrev_b16_e32 v12, 3, v10
	v_subrev_u32_e32 v18, 28, v13
	v_and_b32_e32 v12, 15, v12
	v_lshlrev_b32_e32 v18, v18, v10
	v_sub_u32_e32 v13, 29, v13
	v_and_b32_e32 v18, 7, v18
	v_cmp_eq_u16_e32 vcc, 0, v12
	v_cndmask_b32_e32 v9, v9, v18, vcc
	v_cndmask_b32_e32 v12, v12, v13, vcc
	v_lshlrev_b32_e32 v13, 24, v10
	v_mov_b32_e32 v18, 0x3b800000
	v_lshlrev_b32_e32 v9, 20, v9
	v_and_b32_e32 v13, 0x80000000, v13
	v_lshl_add_u32 v12, v12, 23, v18
	v_or3_b32 v9, v13, v12, v9
.LBB22_1864:
	s_or_b64 exec, exec, s[6:7]
	s_nop 0
	v_mfma_f32_16x16x4f32 a[0:3], v8, v9, a[0:3]
	v_lshrrev_b32_e32 v9, 8, v14
	s_movk_i32 s4, 0x7f
	v_cmp_gt_i16_sdwa s[6:7], v9, s4 src0_sel:BYTE_0 src1_sel:DWORD
	s_mov_b64 s[4:5], 0
                                        ; implicit-def: $sgpr10
	s_and_saveexec_b64 s[8:9], s[6:7]
	s_xor_b64 s[6:7], exec, s[8:9]
	s_cbranch_execnz .LBB22_3913
; %bb.1865:
	s_or_saveexec_b64 s[6:7], s[6:7]
	v_mov_b32_e32 v8, s10
	s_xor_b64 exec, exec, s[6:7]
	s_cbranch_execnz .LBB22_3916
.LBB22_1866:
	s_or_b64 exec, exec, s[6:7]
	s_and_saveexec_b64 s[6:7], s[4:5]
	s_cbranch_execz .LBB22_1868
.LBB22_1867:
	v_bfe_u32 v8, v14, 8, 3
	v_ffbh_u32_e32 v13, v8
	v_min_u32_e32 v13, 32, v13
	v_lshrrev_b16_e32 v12, 3, v9
	v_subrev_u32_e32 v18, 28, v13
	v_and_b32_e32 v12, 15, v12
	v_lshlrev_b32_e32 v9, v18, v9
	v_sub_u32_e32 v13, 29, v13
	v_and_b32_e32 v9, 7, v9
	v_cmp_eq_u16_e32 vcc, 0, v12
	v_cndmask_b32_e32 v8, v8, v9, vcc
	v_cndmask_b32_e32 v9, v12, v13, vcc
	v_lshlrev_b32_e32 v12, 16, v14
	v_mov_b32_e32 v13, 0x3b800000
	v_lshlrev_b32_e32 v8, 20, v8
	v_and_b32_e32 v12, 0x80000000, v12
	v_lshl_add_u32 v9, v9, 23, v13
	v_or3_b32 v8, v12, v9, v8
.LBB22_1868:
	s_or_b64 exec, exec, s[6:7]
	v_lshrrev_b32_e32 v9, 8, v10
	s_movk_i32 s4, 0x7f
	v_cmp_gt_i16_sdwa s[6:7], v9, s4 src0_sel:BYTE_0 src1_sel:DWORD
	s_mov_b64 s[4:5], 0
                                        ; implicit-def: $sgpr10
	s_and_saveexec_b64 s[8:9], s[6:7]
	s_xor_b64 s[6:7], exec, s[8:9]
	s_cbranch_execnz .LBB22_3917
; %bb.1869:
	s_or_saveexec_b64 s[6:7], s[6:7]
	v_mov_b32_e32 v12, s10
	s_xor_b64 exec, exec, s[6:7]
	s_cbranch_execnz .LBB22_3920
.LBB22_1870:
	s_or_b64 exec, exec, s[6:7]
	s_and_saveexec_b64 s[6:7], s[4:5]
	s_cbranch_execz .LBB22_1872
.LBB22_1871:
	v_bfe_u32 v12, v10, 8, 3
	v_ffbh_u32_e32 v18, v12
	v_min_u32_e32 v18, 32, v18
	v_lshrrev_b16_e32 v13, 3, v9
	v_subrev_u32_e32 v19, 28, v18
	v_and_b32_e32 v13, 15, v13
	v_lshlrev_b32_e32 v9, v19, v9
	v_sub_u32_e32 v18, 29, v18
	v_and_b32_e32 v9, 7, v9
	v_cmp_eq_u16_e32 vcc, 0, v13
	v_cndmask_b32_e32 v9, v12, v9, vcc
	v_cndmask_b32_e32 v12, v13, v18, vcc
	v_lshlrev_b32_e32 v13, 16, v10
	v_mov_b32_e32 v18, 0x3b800000
	v_lshlrev_b32_e32 v9, 20, v9
	v_and_b32_e32 v13, 0x80000000, v13
	v_lshl_add_u32 v12, v12, 23, v18
	v_or3_b32 v12, v13, v12, v9
.LBB22_1872:
	s_or_b64 exec, exec, s[6:7]
	s_nop 0
	v_mfma_f32_16x16x4f32 a[0:3], v8, v12, a[0:3]
	s_movk_i32 s4, 0xff
	v_and_b32_sdwa v9, v14, s4 dst_sel:DWORD dst_unused:UNUSED_PAD src0_sel:WORD_1 src1_sel:DWORD
	s_movk_i32 s4, 0x7f
	v_cmp_lt_i16_e32 vcc, s4, v9
	s_mov_b64 s[4:5], 0
                                        ; implicit-def: $sgpr10
	s_and_saveexec_b64 s[6:7], vcc
	s_xor_b64 s[6:7], exec, s[6:7]
	s_cbranch_execnz .LBB22_3921
; %bb.1873:
	s_or_saveexec_b64 s[6:7], s[6:7]
	v_mov_b32_e32 v8, s10
	s_xor_b64 exec, exec, s[6:7]
	s_cbranch_execnz .LBB22_3924
.LBB22_1874:
	s_or_b64 exec, exec, s[6:7]
	s_and_saveexec_b64 s[6:7], s[4:5]
	s_cbranch_execz .LBB22_1876
.LBB22_1875:
	v_bfe_u32 v8, v14, 16, 3
	v_ffbh_u32_e32 v13, v8
	v_min_u32_e32 v13, 32, v13
	v_lshrrev_b32_e32 v9, 19, v14
	v_subrev_u32_e32 v18, 28, v13
	v_and_b32_e32 v9, 15, v9
	v_lshlrev_b32_sdwa v18, v18, v14 dst_sel:DWORD dst_unused:UNUSED_PAD src0_sel:DWORD src1_sel:WORD_1
	v_bfe_u32 v12, v14, 19, 4
	v_sub_u32_e32 v13, 29, v13
	v_and_b32_e32 v18, 7, v18
	v_cmp_eq_u16_e32 vcc, 0, v9
	v_cndmask_b32_e32 v8, v8, v18, vcc
	v_cndmask_b32_e32 v9, v12, v13, vcc
	v_lshlrev_b32_e32 v12, 8, v14
	v_mov_b32_e32 v13, 0x3b800000
	v_lshlrev_b32_e32 v8, 20, v8
	v_and_b32_e32 v12, 0x80000000, v12
	v_lshl_add_u32 v9, v9, 23, v13
	v_or3_b32 v8, v12, v9, v8
.LBB22_1876:
	s_or_b64 exec, exec, s[6:7]
	s_movk_i32 s4, 0xff
	v_and_b32_sdwa v9, v10, s4 dst_sel:DWORD dst_unused:UNUSED_PAD src0_sel:WORD_1 src1_sel:DWORD
	s_movk_i32 s4, 0x7f
	v_cmp_lt_i16_e32 vcc, s4, v9
	s_mov_b64 s[4:5], 0
                                        ; implicit-def: $sgpr10
	s_and_saveexec_b64 s[6:7], vcc
	s_xor_b64 s[6:7], exec, s[6:7]
	s_cbranch_execnz .LBB22_3925
; %bb.1877:
	s_or_saveexec_b64 s[6:7], s[6:7]
	v_mov_b32_e32 v12, s10
	s_xor_b64 exec, exec, s[6:7]
	s_cbranch_execnz .LBB22_3928
.LBB22_1878:
	s_or_b64 exec, exec, s[6:7]
	s_and_saveexec_b64 s[6:7], s[4:5]
	s_cbranch_execz .LBB22_1880
.LBB22_1879:
	v_bfe_u32 v9, v10, 16, 3
	v_ffbh_u32_e32 v18, v9
	v_min_u32_e32 v18, 32, v18
	v_lshrrev_b32_e32 v12, 19, v10
	v_subrev_u32_e32 v19, 28, v18
	v_and_b32_e32 v12, 15, v12
	v_lshlrev_b32_sdwa v19, v19, v10 dst_sel:DWORD dst_unused:UNUSED_PAD src0_sel:DWORD src1_sel:WORD_1
	v_bfe_u32 v13, v10, 19, 4
	v_sub_u32_e32 v18, 29, v18
	v_and_b32_e32 v19, 7, v19
	v_cmp_eq_u16_e32 vcc, 0, v12
	v_cndmask_b32_e32 v9, v9, v19, vcc
	v_cndmask_b32_e32 v12, v13, v18, vcc
	v_lshlrev_b32_e32 v13, 8, v10
	v_mov_b32_e32 v18, 0x3b800000
	v_lshlrev_b32_e32 v9, 20, v9
	v_and_b32_e32 v13, 0x80000000, v13
	v_lshl_add_u32 v12, v12, 23, v18
	v_or3_b32 v12, v13, v12, v9
.LBB22_1880:
	s_or_b64 exec, exec, s[6:7]
	s_nop 0
	v_mfma_f32_16x16x4f32 a[0:3], v8, v12, a[0:3]
	s_movk_i32 s4, 0x7f
	v_cmp_gt_i16_sdwa s[6:7], v14, s4 src0_sel:BYTE_3 src1_sel:DWORD
	s_mov_b64 s[4:5], 0
                                        ; implicit-def: $sgpr10
	s_and_saveexec_b64 s[8:9], s[6:7]
	s_xor_b64 s[6:7], exec, s[8:9]
	s_cbranch_execnz .LBB22_3929
; %bb.1881:
	s_or_saveexec_b64 s[6:7], s[6:7]
	v_mov_b32_e32 v8, s10
	s_xor_b64 exec, exec, s[6:7]
	s_cbranch_execnz .LBB22_3932
.LBB22_1882:
	s_or_b64 exec, exec, s[6:7]
	s_and_saveexec_b64 s[6:7], s[4:5]
	s_cbranch_execz .LBB22_1884
.LBB22_1883:
	v_bfe_u32 v8, v14, 24, 3
	v_ffbh_u32_e32 v18, v8
	v_min_u32_e32 v18, 32, v18
	v_lshrrev_b32_e32 v12, 27, v14
	v_subrev_u32_e32 v19, 28, v18
	v_and_b32_e32 v9, 0x80000000, v14
	v_and_b32_e32 v12, 15, v12
	v_bfe_u32 v13, v14, 27, 4
	v_lshlrev_b32_sdwa v14, v19, v14 dst_sel:DWORD dst_unused:UNUSED_PAD src0_sel:DWORD src1_sel:BYTE_3
	v_sub_u32_e32 v18, 29, v18
	v_and_b32_e32 v14, 7, v14
	v_cmp_eq_u16_e32 vcc, 0, v12
	v_cndmask_b32_e32 v8, v8, v14, vcc
	v_cndmask_b32_e32 v12, v13, v18, vcc
	v_mov_b32_e32 v13, 0x3b800000
	v_lshlrev_b32_e32 v8, 20, v8
	v_lshl_add_u32 v12, v12, 23, v13
	v_or3_b32 v8, v9, v12, v8
.LBB22_1884:
	s_or_b64 exec, exec, s[6:7]
	s_movk_i32 s4, 0x7f
	v_cmp_gt_i16_sdwa s[6:7], v10, s4 src0_sel:BYTE_3 src1_sel:DWORD
	s_mov_b64 s[4:5], 0
                                        ; implicit-def: $sgpr10
	s_and_saveexec_b64 s[8:9], s[6:7]
	s_xor_b64 s[6:7], exec, s[8:9]
	s_cbranch_execnz .LBB22_3933
; %bb.1885:
	s_or_saveexec_b64 s[6:7], s[6:7]
	v_mov_b32_e32 v9, s10
	s_xor_b64 exec, exec, s[6:7]
	s_cbranch_execnz .LBB22_3936
.LBB22_1886:
	s_or_b64 exec, exec, s[6:7]
	s_and_saveexec_b64 s[6:7], s[4:5]
	s_cbranch_execz .LBB22_1888
.LBB22_1887:
	v_bfe_u32 v9, v10, 24, 3
	v_ffbh_u32_e32 v18, v9
	v_min_u32_e32 v18, 32, v18
	v_lshrrev_b32_e32 v13, 27, v10
	v_subrev_u32_e32 v19, 28, v18
	v_and_b32_e32 v12, 0x80000000, v10
	v_and_b32_e32 v13, 15, v13
	v_bfe_u32 v14, v10, 27, 4
	v_lshlrev_b32_sdwa v10, v19, v10 dst_sel:DWORD dst_unused:UNUSED_PAD src0_sel:DWORD src1_sel:BYTE_3
	v_sub_u32_e32 v18, 29, v18
	v_and_b32_e32 v10, 7, v10
	v_cmp_eq_u16_e32 vcc, 0, v13
	v_cndmask_b32_e32 v9, v9, v10, vcc
	v_cndmask_b32_e32 v10, v14, v18, vcc
	v_mov_b32_e32 v13, 0x3b800000
	v_lshlrev_b32_e32 v9, 20, v9
	v_lshl_add_u32 v10, v10, 23, v13
	v_or3_b32 v9, v12, v10, v9
.LBB22_1888:
	s_or_b64 exec, exec, s[6:7]
	s_nop 0
	v_mfma_f32_16x16x4f32 a[0:3], v8, v9, a[0:3]
	s_movk_i32 s4, 0x7f
	v_cmp_gt_i16_sdwa s[6:7], v15, s4 src0_sel:BYTE_0 src1_sel:DWORD
	s_mov_b64 s[4:5], 0
                                        ; implicit-def: $sgpr10
	s_and_saveexec_b64 s[8:9], s[6:7]
	s_xor_b64 s[6:7], exec, s[8:9]
	s_cbranch_execnz .LBB22_3937
; %bb.1889:
	s_or_saveexec_b64 s[6:7], s[6:7]
	v_mov_b32_e32 v8, s10
	s_xor_b64 exec, exec, s[6:7]
	s_cbranch_execnz .LBB22_3940
.LBB22_1890:
	s_or_b64 exec, exec, s[6:7]
	s_and_saveexec_b64 s[6:7], s[4:5]
	s_cbranch_execz .LBB22_1892
.LBB22_1891:
	v_and_b32_e32 v8, 7, v15
	v_ffbh_u32_e32 v10, v8
	v_min_u32_e32 v10, 32, v10
	v_lshrrev_b16_e32 v9, 3, v15
	v_subrev_u32_e32 v12, 28, v10
	v_and_b32_e32 v9, 15, v9
	v_lshlrev_b32_e32 v12, v12, v15
	v_sub_u32_e32 v10, 29, v10
	v_and_b32_e32 v12, 7, v12
	v_cmp_eq_u16_e32 vcc, 0, v9
	v_cndmask_b32_e32 v8, v8, v12, vcc
	v_cndmask_b32_e32 v9, v9, v10, vcc
	v_lshlrev_b32_e32 v10, 24, v15
	v_mov_b32_e32 v12, 0x3b800000
	v_lshlrev_b32_e32 v8, 20, v8
	v_and_b32_e32 v10, 0x80000000, v10
	v_lshl_add_u32 v9, v9, 23, v12
	v_or3_b32 v8, v10, v9, v8
.LBB22_1892:
	s_or_b64 exec, exec, s[6:7]
	s_movk_i32 s4, 0x7f
	v_cmp_gt_i16_sdwa s[6:7], v11, s4 src0_sel:BYTE_0 src1_sel:DWORD
	s_mov_b64 s[4:5], 0
                                        ; implicit-def: $sgpr10
	s_and_saveexec_b64 s[8:9], s[6:7]
	s_xor_b64 s[6:7], exec, s[8:9]
	s_cbranch_execnz .LBB22_3941
; %bb.1893:
	s_or_saveexec_b64 s[6:7], s[6:7]
	v_mov_b32_e32 v9, s10
	s_xor_b64 exec, exec, s[6:7]
	s_cbranch_execnz .LBB22_3944
.LBB22_1894:
	s_or_b64 exec, exec, s[6:7]
	s_and_saveexec_b64 s[6:7], s[4:5]
	s_cbranch_execz .LBB22_1896
.LBB22_1895:
	v_and_b32_e32 v9, 7, v11
	v_ffbh_u32_e32 v12, v9
	v_min_u32_e32 v12, 32, v12
	v_lshrrev_b16_e32 v10, 3, v11
	v_subrev_u32_e32 v13, 28, v12
	v_and_b32_e32 v10, 15, v10
	v_lshlrev_b32_e32 v13, v13, v11
	v_sub_u32_e32 v12, 29, v12
	v_and_b32_e32 v13, 7, v13
	v_cmp_eq_u16_e32 vcc, 0, v10
	v_cndmask_b32_e32 v9, v9, v13, vcc
	v_cndmask_b32_e32 v10, v10, v12, vcc
	v_lshlrev_b32_e32 v12, 24, v11
	v_mov_b32_e32 v13, 0x3b800000
	v_lshlrev_b32_e32 v9, 20, v9
	v_and_b32_e32 v12, 0x80000000, v12
	v_lshl_add_u32 v10, v10, 23, v13
	v_or3_b32 v9, v12, v10, v9
.LBB22_1896:
	s_or_b64 exec, exec, s[6:7]
	s_nop 0
	v_mfma_f32_16x16x4f32 a[0:3], v8, v9, a[0:3]
	v_lshrrev_b32_e32 v9, 8, v15
	s_movk_i32 s4, 0x7f
	v_cmp_gt_i16_sdwa s[6:7], v9, s4 src0_sel:BYTE_0 src1_sel:DWORD
	s_mov_b64 s[4:5], 0
                                        ; implicit-def: $sgpr10
	s_and_saveexec_b64 s[8:9], s[6:7]
	s_xor_b64 s[6:7], exec, s[8:9]
	s_cbranch_execnz .LBB22_3945
; %bb.1897:
	s_or_saveexec_b64 s[6:7], s[6:7]
	v_mov_b32_e32 v8, s10
	s_xor_b64 exec, exec, s[6:7]
	s_cbranch_execnz .LBB22_3948
.LBB22_1898:
	s_or_b64 exec, exec, s[6:7]
	s_and_saveexec_b64 s[6:7], s[4:5]
	s_cbranch_execz .LBB22_1900
.LBB22_1899:
	v_bfe_u32 v8, v15, 8, 3
	v_ffbh_u32_e32 v12, v8
	v_min_u32_e32 v12, 32, v12
	v_lshrrev_b16_e32 v10, 3, v9
	v_subrev_u32_e32 v13, 28, v12
	v_and_b32_e32 v10, 15, v10
	v_lshlrev_b32_e32 v9, v13, v9
	v_sub_u32_e32 v12, 29, v12
	v_and_b32_e32 v9, 7, v9
	v_cmp_eq_u16_e32 vcc, 0, v10
	v_cndmask_b32_e32 v8, v8, v9, vcc
	v_cndmask_b32_e32 v9, v10, v12, vcc
	v_lshlrev_b32_e32 v10, 16, v15
	v_mov_b32_e32 v12, 0x3b800000
	v_lshlrev_b32_e32 v8, 20, v8
	v_and_b32_e32 v10, 0x80000000, v10
	v_lshl_add_u32 v9, v9, 23, v12
	v_or3_b32 v8, v10, v9, v8
.LBB22_1900:
	s_or_b64 exec, exec, s[6:7]
	v_lshrrev_b32_e32 v9, 8, v11
	s_movk_i32 s4, 0x7f
	v_cmp_gt_i16_sdwa s[6:7], v9, s4 src0_sel:BYTE_0 src1_sel:DWORD
	s_mov_b64 s[4:5], 0
                                        ; implicit-def: $sgpr10
	s_and_saveexec_b64 s[8:9], s[6:7]
	s_xor_b64 s[6:7], exec, s[8:9]
	s_cbranch_execnz .LBB22_3949
; %bb.1901:
	s_or_saveexec_b64 s[6:7], s[6:7]
	v_mov_b32_e32 v10, s10
	s_xor_b64 exec, exec, s[6:7]
	s_cbranch_execnz .LBB22_3952
.LBB22_1902:
	s_or_b64 exec, exec, s[6:7]
	s_and_saveexec_b64 s[6:7], s[4:5]
	s_cbranch_execz .LBB22_1904
.LBB22_1903:
	v_bfe_u32 v10, v11, 8, 3
	v_ffbh_u32_e32 v13, v10
	v_min_u32_e32 v13, 32, v13
	v_lshrrev_b16_e32 v12, 3, v9
	v_subrev_u32_e32 v14, 28, v13
	v_and_b32_e32 v12, 15, v12
	v_lshlrev_b32_e32 v9, v14, v9
	v_sub_u32_e32 v13, 29, v13
	v_and_b32_e32 v9, 7, v9
	v_cmp_eq_u16_e32 vcc, 0, v12
	v_cndmask_b32_e32 v9, v10, v9, vcc
	v_cndmask_b32_e32 v10, v12, v13, vcc
	v_lshlrev_b32_e32 v12, 16, v11
	v_mov_b32_e32 v13, 0x3b800000
	v_lshlrev_b32_e32 v9, 20, v9
	v_and_b32_e32 v12, 0x80000000, v12
	v_lshl_add_u32 v10, v10, 23, v13
	v_or3_b32 v10, v12, v10, v9
.LBB22_1904:
	s_or_b64 exec, exec, s[6:7]
	s_nop 0
	v_mfma_f32_16x16x4f32 a[0:3], v8, v10, a[0:3]
	s_movk_i32 s4, 0xff
	v_and_b32_sdwa v9, v15, s4 dst_sel:DWORD dst_unused:UNUSED_PAD src0_sel:WORD_1 src1_sel:DWORD
	s_movk_i32 s4, 0x7f
	v_cmp_lt_i16_e32 vcc, s4, v9
	s_mov_b64 s[4:5], 0
                                        ; implicit-def: $sgpr10
	s_and_saveexec_b64 s[6:7], vcc
	s_xor_b64 s[6:7], exec, s[6:7]
	s_cbranch_execnz .LBB22_3953
; %bb.1905:
	s_or_saveexec_b64 s[6:7], s[6:7]
	v_mov_b32_e32 v8, s10
	s_xor_b64 exec, exec, s[6:7]
	s_cbranch_execnz .LBB22_3956
.LBB22_1906:
	s_or_b64 exec, exec, s[6:7]
	s_and_saveexec_b64 s[6:7], s[4:5]
	s_cbranch_execz .LBB22_1908
.LBB22_1907:
	v_bfe_u32 v8, v15, 16, 3
	v_ffbh_u32_e32 v12, v8
	v_min_u32_e32 v12, 32, v12
	v_lshrrev_b32_e32 v9, 19, v15
	v_subrev_u32_e32 v13, 28, v12
	v_and_b32_e32 v9, 15, v9
	v_lshlrev_b32_sdwa v13, v13, v15 dst_sel:DWORD dst_unused:UNUSED_PAD src0_sel:DWORD src1_sel:WORD_1
	v_bfe_u32 v10, v15, 19, 4
	v_sub_u32_e32 v12, 29, v12
	v_and_b32_e32 v13, 7, v13
	v_cmp_eq_u16_e32 vcc, 0, v9
	v_cndmask_b32_e32 v8, v8, v13, vcc
	v_cndmask_b32_e32 v9, v10, v12, vcc
	v_lshlrev_b32_e32 v10, 8, v15
	v_mov_b32_e32 v12, 0x3b800000
	v_lshlrev_b32_e32 v8, 20, v8
	v_and_b32_e32 v10, 0x80000000, v10
	v_lshl_add_u32 v9, v9, 23, v12
	v_or3_b32 v8, v10, v9, v8
.LBB22_1908:
	s_or_b64 exec, exec, s[6:7]
	s_movk_i32 s4, 0xff
	v_and_b32_sdwa v9, v11, s4 dst_sel:DWORD dst_unused:UNUSED_PAD src0_sel:WORD_1 src1_sel:DWORD
	s_movk_i32 s4, 0x7f
	v_cmp_lt_i16_e32 vcc, s4, v9
	s_mov_b64 s[4:5], 0
                                        ; implicit-def: $sgpr10
	s_and_saveexec_b64 s[6:7], vcc
	s_xor_b64 s[6:7], exec, s[6:7]
	s_cbranch_execnz .LBB22_3957
; %bb.1909:
	s_or_saveexec_b64 s[6:7], s[6:7]
	v_mov_b32_e32 v10, s10
	s_xor_b64 exec, exec, s[6:7]
	s_cbranch_execnz .LBB22_3960
.LBB22_1910:
	s_or_b64 exec, exec, s[6:7]
	s_and_saveexec_b64 s[6:7], s[4:5]
	s_cbranch_execz .LBB22_1912
.LBB22_1911:
	v_bfe_u32 v9, v11, 16, 3
	v_ffbh_u32_e32 v13, v9
	v_min_u32_e32 v13, 32, v13
	v_lshrrev_b32_e32 v10, 19, v11
	v_subrev_u32_e32 v14, 28, v13
	v_and_b32_e32 v10, 15, v10
	v_lshlrev_b32_sdwa v14, v14, v11 dst_sel:DWORD dst_unused:UNUSED_PAD src0_sel:DWORD src1_sel:WORD_1
	v_bfe_u32 v12, v11, 19, 4
	v_sub_u32_e32 v13, 29, v13
	v_and_b32_e32 v14, 7, v14
	v_cmp_eq_u16_e32 vcc, 0, v10
	v_cndmask_b32_e32 v9, v9, v14, vcc
	v_cndmask_b32_e32 v10, v12, v13, vcc
	v_lshlrev_b32_e32 v12, 8, v11
	v_mov_b32_e32 v13, 0x3b800000
	v_lshlrev_b32_e32 v9, 20, v9
	v_and_b32_e32 v12, 0x80000000, v12
	v_lshl_add_u32 v10, v10, 23, v13
	v_or3_b32 v10, v12, v10, v9
.LBB22_1912:
	s_or_b64 exec, exec, s[6:7]
	s_nop 0
	v_mfma_f32_16x16x4f32 a[0:3], v8, v10, a[0:3]
	s_movk_i32 s4, 0x7f
	v_cmp_gt_i16_sdwa s[6:7], v15, s4 src0_sel:BYTE_3 src1_sel:DWORD
	s_mov_b64 s[4:5], 0
                                        ; implicit-def: $sgpr10
	s_and_saveexec_b64 s[8:9], s[6:7]
	s_xor_b64 s[6:7], exec, s[8:9]
	s_cbranch_execnz .LBB22_3961
; %bb.1913:
	s_or_saveexec_b64 s[6:7], s[6:7]
	v_mov_b32_e32 v8, s10
	s_xor_b64 exec, exec, s[6:7]
	s_cbranch_execnz .LBB22_3964
.LBB22_1914:
	s_or_b64 exec, exec, s[6:7]
	s_and_saveexec_b64 s[6:7], s[4:5]
	s_cbranch_execz .LBB22_1916
.LBB22_1915:
	v_bfe_u32 v8, v15, 24, 3
	v_ffbh_u32_e32 v13, v8
	v_min_u32_e32 v13, 32, v13
	v_lshrrev_b32_e32 v10, 27, v15
	v_subrev_u32_e32 v14, 28, v13
	v_and_b32_e32 v10, 15, v10
	v_lshlrev_b32_sdwa v14, v14, v15 dst_sel:DWORD dst_unused:UNUSED_PAD src0_sel:DWORD src1_sel:BYTE_3
	v_bfe_u32 v12, v15, 27, 4
	v_sub_u32_e32 v13, 29, v13
	v_and_b32_e32 v14, 7, v14
	v_cmp_eq_u16_e32 vcc, 0, v10
	v_cndmask_b32_e32 v8, v8, v14, vcc
	v_cndmask_b32_e32 v10, v12, v13, vcc
	v_mov_b32_e32 v12, 0x3b800000
	v_and_b32_e32 v9, 0x80000000, v15
	v_lshlrev_b32_e32 v8, 20, v8
	v_lshl_add_u32 v10, v10, 23, v12
	v_or3_b32 v8, v9, v10, v8
.LBB22_1916:
	s_or_b64 exec, exec, s[6:7]
	s_movk_i32 s4, 0x7f
	v_cmp_gt_i16_sdwa s[6:7], v11, s4 src0_sel:BYTE_3 src1_sel:DWORD
	s_mov_b64 s[4:5], 0
                                        ; implicit-def: $sgpr10
	s_and_saveexec_b64 s[8:9], s[6:7]
	s_xor_b64 s[6:7], exec, s[8:9]
	s_cbranch_execnz .LBB22_3965
; %bb.1917:
	s_or_saveexec_b64 s[6:7], s[6:7]
	v_mov_b32_e32 v9, s10
	s_xor_b64 exec, exec, s[6:7]
	s_cbranch_execnz .LBB22_3968
.LBB22_1918:
	s_or_b64 exec, exec, s[6:7]
	s_and_saveexec_b64 s[6:7], s[4:5]
	s_cbranch_execz .LBB22_1920
.LBB22_1919:
	v_bfe_u32 v9, v11, 24, 3
	v_ffbh_u32_e32 v14, v9
	v_min_u32_e32 v14, 32, v14
	v_lshrrev_b32_e32 v12, 27, v11
	v_subrev_u32_e32 v15, 28, v14
	v_and_b32_e32 v10, 0x80000000, v11
	v_and_b32_e32 v12, 15, v12
	v_bfe_u32 v13, v11, 27, 4
	v_lshlrev_b32_sdwa v11, v15, v11 dst_sel:DWORD dst_unused:UNUSED_PAD src0_sel:DWORD src1_sel:BYTE_3
	v_sub_u32_e32 v14, 29, v14
	v_and_b32_e32 v11, 7, v11
	v_cmp_eq_u16_e32 vcc, 0, v12
	v_cndmask_b32_e32 v9, v9, v11, vcc
	v_cndmask_b32_e32 v11, v13, v14, vcc
	v_mov_b32_e32 v12, 0x3b800000
	v_lshlrev_b32_e32 v9, 20, v9
	v_lshl_add_u32 v11, v11, 23, v12
	v_or3_b32 v9, v10, v11, v9
.LBB22_1920:
	s_or_b64 exec, exec, s[6:7]
	s_nop 0
	v_mfma_f32_16x16x4f32 a[0:3], v8, v9, a[0:3]
	s_movk_i32 s4, 0x7f
	v_cmp_gt_i16_sdwa s[6:7], v4, s4 src0_sel:BYTE_0 src1_sel:DWORD
	s_mov_b64 s[4:5], 0
                                        ; implicit-def: $sgpr10
	s_and_saveexec_b64 s[8:9], s[6:7]
	s_xor_b64 s[6:7], exec, s[8:9]
	s_cbranch_execnz .LBB22_3969
; %bb.1921:
	s_or_saveexec_b64 s[6:7], s[6:7]
	v_mov_b32_e32 v8, s10
	s_xor_b64 exec, exec, s[6:7]
	s_cbranch_execnz .LBB22_3972
.LBB22_1922:
	s_or_b64 exec, exec, s[6:7]
	s_and_saveexec_b64 s[6:7], s[4:5]
	s_cbranch_execz .LBB22_1924
.LBB22_1923:
	v_and_b32_e32 v8, 7, v4
	v_ffbh_u32_e32 v10, v8
	v_min_u32_e32 v10, 32, v10
	v_lshrrev_b16_e32 v9, 3, v4
	v_subrev_u32_e32 v11, 28, v10
	v_and_b32_e32 v9, 15, v9
	v_lshlrev_b32_e32 v11, v11, v4
	v_sub_u32_e32 v10, 29, v10
	v_and_b32_e32 v11, 7, v11
	v_cmp_eq_u16_e32 vcc, 0, v9
	v_cndmask_b32_e32 v8, v8, v11, vcc
	v_cndmask_b32_e32 v9, v9, v10, vcc
	v_lshlrev_b32_e32 v10, 24, v4
	v_mov_b32_e32 v11, 0x3b800000
	v_lshlrev_b32_e32 v8, 20, v8
	v_and_b32_e32 v10, 0x80000000, v10
	v_lshl_add_u32 v9, v9, 23, v11
	v_or3_b32 v8, v10, v9, v8
.LBB22_1924:
	s_or_b64 exec, exec, s[6:7]
	s_movk_i32 s4, 0x7f
	v_cmp_gt_i16_sdwa s[6:7], v0, s4 src0_sel:BYTE_0 src1_sel:DWORD
	s_mov_b64 s[4:5], 0
                                        ; implicit-def: $sgpr10
	s_and_saveexec_b64 s[8:9], s[6:7]
	s_xor_b64 s[6:7], exec, s[8:9]
	s_cbranch_execnz .LBB22_3973
; %bb.1925:
	s_or_saveexec_b64 s[6:7], s[6:7]
	v_mov_b32_e32 v9, s10
	s_xor_b64 exec, exec, s[6:7]
	s_cbranch_execnz .LBB22_3976
.LBB22_1926:
	s_or_b64 exec, exec, s[6:7]
	s_and_saveexec_b64 s[6:7], s[4:5]
	s_cbranch_execz .LBB22_1928
.LBB22_1927:
	v_and_b32_e32 v9, 7, v0
	v_ffbh_u32_e32 v11, v9
	v_min_u32_e32 v11, 32, v11
	v_lshrrev_b16_e32 v10, 3, v0
	v_subrev_u32_e32 v12, 28, v11
	v_and_b32_e32 v10, 15, v10
	v_lshlrev_b32_e32 v12, v12, v0
	v_sub_u32_e32 v11, 29, v11
	v_and_b32_e32 v12, 7, v12
	v_cmp_eq_u16_e32 vcc, 0, v10
	v_cndmask_b32_e32 v9, v9, v12, vcc
	v_cndmask_b32_e32 v10, v10, v11, vcc
	v_lshlrev_b32_e32 v11, 24, v0
	v_mov_b32_e32 v12, 0x3b800000
	v_lshlrev_b32_e32 v9, 20, v9
	v_and_b32_e32 v11, 0x80000000, v11
	v_lshl_add_u32 v10, v10, 23, v12
	v_or3_b32 v9, v11, v10, v9
.LBB22_1928:
	s_or_b64 exec, exec, s[6:7]
	s_nop 0
	v_mfma_f32_16x16x4f32 a[0:3], v8, v9, a[0:3]
	v_lshrrev_b32_e32 v9, 8, v4
	s_movk_i32 s4, 0x7f
	v_cmp_gt_i16_sdwa s[6:7], v9, s4 src0_sel:BYTE_0 src1_sel:DWORD
	s_mov_b64 s[4:5], 0
                                        ; implicit-def: $sgpr10
	s_and_saveexec_b64 s[8:9], s[6:7]
	s_xor_b64 s[6:7], exec, s[8:9]
	s_cbranch_execnz .LBB22_3977
; %bb.1929:
	s_or_saveexec_b64 s[6:7], s[6:7]
	v_mov_b32_e32 v8, s10
	s_xor_b64 exec, exec, s[6:7]
	s_cbranch_execnz .LBB22_3980
.LBB22_1930:
	s_or_b64 exec, exec, s[6:7]
	s_and_saveexec_b64 s[6:7], s[4:5]
	s_cbranch_execz .LBB22_1932
.LBB22_1931:
	v_bfe_u32 v8, v4, 8, 3
	v_ffbh_u32_e32 v11, v8
	v_min_u32_e32 v11, 32, v11
	v_lshrrev_b16_e32 v10, 3, v9
	v_subrev_u32_e32 v12, 28, v11
	v_and_b32_e32 v10, 15, v10
	v_lshlrev_b32_e32 v9, v12, v9
	v_sub_u32_e32 v11, 29, v11
	v_and_b32_e32 v9, 7, v9
	v_cmp_eq_u16_e32 vcc, 0, v10
	v_cndmask_b32_e32 v8, v8, v9, vcc
	v_cndmask_b32_e32 v9, v10, v11, vcc
	v_lshlrev_b32_e32 v10, 16, v4
	v_mov_b32_e32 v11, 0x3b800000
	v_lshlrev_b32_e32 v8, 20, v8
	v_and_b32_e32 v10, 0x80000000, v10
	v_lshl_add_u32 v9, v9, 23, v11
	v_or3_b32 v8, v10, v9, v8
.LBB22_1932:
	s_or_b64 exec, exec, s[6:7]
	v_lshrrev_b32_e32 v9, 8, v0
	s_movk_i32 s4, 0x7f
	v_cmp_gt_i16_sdwa s[6:7], v9, s4 src0_sel:BYTE_0 src1_sel:DWORD
	s_mov_b64 s[4:5], 0
                                        ; implicit-def: $sgpr10
	s_and_saveexec_b64 s[8:9], s[6:7]
	s_xor_b64 s[6:7], exec, s[8:9]
	s_cbranch_execnz .LBB22_3981
; %bb.1933:
	s_or_saveexec_b64 s[6:7], s[6:7]
	v_mov_b32_e32 v10, s10
	s_xor_b64 exec, exec, s[6:7]
	s_cbranch_execnz .LBB22_3984
.LBB22_1934:
	s_or_b64 exec, exec, s[6:7]
	s_and_saveexec_b64 s[6:7], s[4:5]
	s_cbranch_execz .LBB22_1936
.LBB22_1935:
	v_bfe_u32 v10, v0, 8, 3
	v_ffbh_u32_e32 v12, v10
	v_min_u32_e32 v12, 32, v12
	v_lshrrev_b16_e32 v11, 3, v9
	v_subrev_u32_e32 v13, 28, v12
	v_and_b32_e32 v11, 15, v11
	v_lshlrev_b32_e32 v9, v13, v9
	v_sub_u32_e32 v12, 29, v12
	v_and_b32_e32 v9, 7, v9
	v_cmp_eq_u16_e32 vcc, 0, v11
	v_cndmask_b32_e32 v9, v10, v9, vcc
	v_cndmask_b32_e32 v10, v11, v12, vcc
	v_lshlrev_b32_e32 v11, 16, v0
	v_mov_b32_e32 v12, 0x3b800000
	v_lshlrev_b32_e32 v9, 20, v9
	v_and_b32_e32 v11, 0x80000000, v11
	v_lshl_add_u32 v10, v10, 23, v12
	v_or3_b32 v10, v11, v10, v9
.LBB22_1936:
	s_or_b64 exec, exec, s[6:7]
	s_nop 0
	v_mfma_f32_16x16x4f32 a[0:3], v8, v10, a[0:3]
	s_movk_i32 s4, 0xff
	v_and_b32_sdwa v9, v4, s4 dst_sel:DWORD dst_unused:UNUSED_PAD src0_sel:WORD_1 src1_sel:DWORD
	s_movk_i32 s4, 0x7f
	v_cmp_lt_i16_e32 vcc, s4, v9
	s_mov_b64 s[4:5], 0
                                        ; implicit-def: $sgpr10
	s_and_saveexec_b64 s[6:7], vcc
	s_xor_b64 s[6:7], exec, s[6:7]
	s_cbranch_execnz .LBB22_3985
; %bb.1937:
	s_or_saveexec_b64 s[6:7], s[6:7]
	v_mov_b32_e32 v8, s10
	s_xor_b64 exec, exec, s[6:7]
	s_cbranch_execnz .LBB22_3988
.LBB22_1938:
	s_or_b64 exec, exec, s[6:7]
	s_and_saveexec_b64 s[6:7], s[4:5]
	s_cbranch_execz .LBB22_1940
.LBB22_1939:
	v_bfe_u32 v8, v4, 16, 3
	v_ffbh_u32_e32 v11, v8
	v_min_u32_e32 v11, 32, v11
	v_lshrrev_b32_e32 v9, 19, v4
	v_subrev_u32_e32 v12, 28, v11
	v_and_b32_e32 v9, 15, v9
	v_lshlrev_b32_sdwa v12, v12, v4 dst_sel:DWORD dst_unused:UNUSED_PAD src0_sel:DWORD src1_sel:WORD_1
	v_bfe_u32 v10, v4, 19, 4
	v_sub_u32_e32 v11, 29, v11
	v_and_b32_e32 v12, 7, v12
	v_cmp_eq_u16_e32 vcc, 0, v9
	v_cndmask_b32_e32 v8, v8, v12, vcc
	v_cndmask_b32_e32 v9, v10, v11, vcc
	v_lshlrev_b32_e32 v10, 8, v4
	v_mov_b32_e32 v11, 0x3b800000
	v_lshlrev_b32_e32 v8, 20, v8
	v_and_b32_e32 v10, 0x80000000, v10
	v_lshl_add_u32 v9, v9, 23, v11
	v_or3_b32 v8, v10, v9, v8
.LBB22_1940:
	s_or_b64 exec, exec, s[6:7]
	s_movk_i32 s4, 0xff
	v_and_b32_sdwa v9, v0, s4 dst_sel:DWORD dst_unused:UNUSED_PAD src0_sel:WORD_1 src1_sel:DWORD
	s_movk_i32 s4, 0x7f
	v_cmp_lt_i16_e32 vcc, s4, v9
	s_mov_b64 s[4:5], 0
                                        ; implicit-def: $sgpr10
	s_and_saveexec_b64 s[6:7], vcc
	s_xor_b64 s[6:7], exec, s[6:7]
	s_cbranch_execnz .LBB22_3989
; %bb.1941:
	s_or_saveexec_b64 s[6:7], s[6:7]
	v_mov_b32_e32 v10, s10
	s_xor_b64 exec, exec, s[6:7]
	s_cbranch_execnz .LBB22_3992
.LBB22_1942:
	s_or_b64 exec, exec, s[6:7]
	s_and_saveexec_b64 s[6:7], s[4:5]
	s_cbranch_execz .LBB22_1944
.LBB22_1943:
	v_bfe_u32 v9, v0, 16, 3
	v_ffbh_u32_e32 v12, v9
	v_min_u32_e32 v12, 32, v12
	v_lshrrev_b32_e32 v10, 19, v0
	v_subrev_u32_e32 v13, 28, v12
	v_and_b32_e32 v10, 15, v10
	v_lshlrev_b32_sdwa v13, v13, v0 dst_sel:DWORD dst_unused:UNUSED_PAD src0_sel:DWORD src1_sel:WORD_1
	v_bfe_u32 v11, v0, 19, 4
	v_sub_u32_e32 v12, 29, v12
	v_and_b32_e32 v13, 7, v13
	v_cmp_eq_u16_e32 vcc, 0, v10
	v_cndmask_b32_e32 v9, v9, v13, vcc
	v_cndmask_b32_e32 v10, v11, v12, vcc
	v_lshlrev_b32_e32 v11, 8, v0
	v_mov_b32_e32 v12, 0x3b800000
	v_lshlrev_b32_e32 v9, 20, v9
	v_and_b32_e32 v11, 0x80000000, v11
	v_lshl_add_u32 v10, v10, 23, v12
	v_or3_b32 v10, v11, v10, v9
.LBB22_1944:
	s_or_b64 exec, exec, s[6:7]
	s_nop 0
	v_mfma_f32_16x16x4f32 a[0:3], v8, v10, a[0:3]
	s_movk_i32 s4, 0x7f
	v_cmp_gt_i16_sdwa s[6:7], v4, s4 src0_sel:BYTE_3 src1_sel:DWORD
	s_mov_b64 s[4:5], 0
                                        ; implicit-def: $sgpr10
	s_and_saveexec_b64 s[8:9], s[6:7]
	s_xor_b64 s[6:7], exec, s[8:9]
	s_cbranch_execnz .LBB22_3993
; %bb.1945:
	s_or_saveexec_b64 s[6:7], s[6:7]
	v_mov_b32_e32 v8, s10
	s_xor_b64 exec, exec, s[6:7]
	s_cbranch_execnz .LBB22_3996
.LBB22_1946:
	s_or_b64 exec, exec, s[6:7]
	s_and_saveexec_b64 s[6:7], s[4:5]
	s_cbranch_execz .LBB22_1948
.LBB22_1947:
	v_bfe_u32 v8, v4, 24, 3
	v_ffbh_u32_e32 v12, v8
	v_min_u32_e32 v12, 32, v12
	v_lshrrev_b32_e32 v10, 27, v4
	v_subrev_u32_e32 v13, 28, v12
	v_and_b32_e32 v9, 0x80000000, v4
	v_and_b32_e32 v10, 15, v10
	v_bfe_u32 v11, v4, 27, 4
	v_lshlrev_b32_sdwa v4, v13, v4 dst_sel:DWORD dst_unused:UNUSED_PAD src0_sel:DWORD src1_sel:BYTE_3
	v_sub_u32_e32 v12, 29, v12
	v_and_b32_e32 v4, 7, v4
	v_cmp_eq_u16_e32 vcc, 0, v10
	v_cndmask_b32_e32 v4, v8, v4, vcc
	v_cndmask_b32_e32 v8, v11, v12, vcc
	v_mov_b32_e32 v10, 0x3b800000
	v_lshlrev_b32_e32 v4, 20, v4
	v_lshl_add_u32 v8, v8, 23, v10
	v_or3_b32 v8, v9, v8, v4
.LBB22_1948:
	s_or_b64 exec, exec, s[6:7]
	s_movk_i32 s4, 0x7f
	v_cmp_gt_i16_sdwa s[6:7], v0, s4 src0_sel:BYTE_3 src1_sel:DWORD
	s_mov_b64 s[4:5], 0
                                        ; implicit-def: $sgpr10
	s_and_saveexec_b64 s[8:9], s[6:7]
	s_xor_b64 s[6:7], exec, s[8:9]
	s_cbranch_execnz .LBB22_3997
; %bb.1949:
	s_or_saveexec_b64 s[6:7], s[6:7]
	v_mov_b32_e32 v4, s10
	s_xor_b64 exec, exec, s[6:7]
	s_cbranch_execnz .LBB22_4000
.LBB22_1950:
	s_or_b64 exec, exec, s[6:7]
	s_and_saveexec_b64 s[6:7], s[4:5]
	s_cbranch_execz .LBB22_1952
.LBB22_1951:
	v_bfe_u32 v4, v0, 24, 3
	v_ffbh_u32_e32 v12, v4
	v_min_u32_e32 v12, 32, v12
	v_lshrrev_b32_e32 v10, 27, v0
	v_subrev_u32_e32 v13, 28, v12
	v_and_b32_e32 v9, 0x80000000, v0
	v_and_b32_e32 v10, 15, v10
	v_bfe_u32 v11, v0, 27, 4
	v_lshlrev_b32_sdwa v0, v13, v0 dst_sel:DWORD dst_unused:UNUSED_PAD src0_sel:DWORD src1_sel:BYTE_3
	v_sub_u32_e32 v12, 29, v12
	v_and_b32_e32 v0, 7, v0
	v_cmp_eq_u16_e32 vcc, 0, v10
	v_cndmask_b32_e32 v0, v4, v0, vcc
	v_cndmask_b32_e32 v4, v11, v12, vcc
	v_mov_b32_e32 v10, 0x3b800000
	v_lshlrev_b32_e32 v0, 20, v0
	v_lshl_add_u32 v4, v4, 23, v10
	v_or3_b32 v4, v9, v4, v0
.LBB22_1952:
	s_or_b64 exec, exec, s[6:7]
	s_nop 0
	v_mfma_f32_16x16x4f32 a[0:3], v8, v4, a[0:3]
	s_movk_i32 s4, 0x7f
	v_cmp_gt_i16_sdwa s[6:7], v5, s4 src0_sel:BYTE_0 src1_sel:DWORD
	s_mov_b64 s[4:5], 0
                                        ; implicit-def: $sgpr10
	s_and_saveexec_b64 s[8:9], s[6:7]
	s_xor_b64 s[6:7], exec, s[8:9]
	s_cbranch_execnz .LBB22_4001
; %bb.1953:
	s_or_saveexec_b64 s[6:7], s[6:7]
	v_mov_b32_e32 v0, s10
	s_xor_b64 exec, exec, s[6:7]
	s_cbranch_execnz .LBB22_4004
.LBB22_1954:
	s_or_b64 exec, exec, s[6:7]
	s_and_saveexec_b64 s[6:7], s[4:5]
	s_cbranch_execz .LBB22_1956
.LBB22_1955:
	v_and_b32_e32 v0, 7, v5
	v_ffbh_u32_e32 v8, v0
	v_min_u32_e32 v8, 32, v8
	v_lshrrev_b16_e32 v4, 3, v5
	v_subrev_u32_e32 v9, 28, v8
	v_and_b32_e32 v4, 15, v4
	v_lshlrev_b32_e32 v9, v9, v5
	v_sub_u32_e32 v8, 29, v8
	v_and_b32_e32 v9, 7, v9
	v_cmp_eq_u16_e32 vcc, 0, v4
	v_cndmask_b32_e32 v0, v0, v9, vcc
	v_cndmask_b32_e32 v4, v4, v8, vcc
	v_lshlrev_b32_e32 v8, 24, v5
	v_mov_b32_e32 v9, 0x3b800000
	v_lshlrev_b32_e32 v0, 20, v0
	v_and_b32_e32 v8, 0x80000000, v8
	v_lshl_add_u32 v4, v4, 23, v9
	v_or3_b32 v0, v8, v4, v0
.LBB22_1956:
	s_or_b64 exec, exec, s[6:7]
	s_movk_i32 s4, 0x7f
	v_cmp_gt_i16_sdwa s[6:7], v1, s4 src0_sel:BYTE_0 src1_sel:DWORD
	s_mov_b64 s[4:5], 0
                                        ; implicit-def: $sgpr10
	s_and_saveexec_b64 s[8:9], s[6:7]
	s_xor_b64 s[6:7], exec, s[8:9]
	s_cbranch_execnz .LBB22_4005
; %bb.1957:
	s_or_saveexec_b64 s[6:7], s[6:7]
	v_mov_b32_e32 v4, s10
	s_xor_b64 exec, exec, s[6:7]
	s_cbranch_execnz .LBB22_4008
.LBB22_1958:
	s_or_b64 exec, exec, s[6:7]
	s_and_saveexec_b64 s[6:7], s[4:5]
	s_cbranch_execz .LBB22_1960
.LBB22_1959:
	v_and_b32_e32 v4, 7, v1
	v_ffbh_u32_e32 v9, v4
	v_min_u32_e32 v9, 32, v9
	v_lshrrev_b16_e32 v8, 3, v1
	v_subrev_u32_e32 v10, 28, v9
	v_and_b32_e32 v8, 15, v8
	v_lshlrev_b32_e32 v10, v10, v1
	v_sub_u32_e32 v9, 29, v9
	v_and_b32_e32 v10, 7, v10
	v_cmp_eq_u16_e32 vcc, 0, v8
	v_cndmask_b32_e32 v4, v4, v10, vcc
	v_cndmask_b32_e32 v8, v8, v9, vcc
	v_lshlrev_b32_e32 v9, 24, v1
	v_mov_b32_e32 v10, 0x3b800000
	v_lshlrev_b32_e32 v4, 20, v4
	v_and_b32_e32 v9, 0x80000000, v9
	v_lshl_add_u32 v8, v8, 23, v10
	v_or3_b32 v4, v9, v8, v4
.LBB22_1960:
	s_or_b64 exec, exec, s[6:7]
	s_nop 0
	v_mfma_f32_16x16x4f32 a[0:3], v0, v4, a[0:3]
	v_lshrrev_b32_e32 v4, 8, v5
	s_movk_i32 s4, 0x7f
	v_cmp_gt_i16_sdwa s[6:7], v4, s4 src0_sel:BYTE_0 src1_sel:DWORD
	s_mov_b64 s[4:5], 0
                                        ; implicit-def: $sgpr10
	s_and_saveexec_b64 s[8:9], s[6:7]
	s_xor_b64 s[6:7], exec, s[8:9]
	s_cbranch_execnz .LBB22_4009
; %bb.1961:
	s_or_saveexec_b64 s[6:7], s[6:7]
	v_mov_b32_e32 v0, s10
	s_xor_b64 exec, exec, s[6:7]
	s_cbranch_execnz .LBB22_4012
.LBB22_1962:
	s_or_b64 exec, exec, s[6:7]
	s_and_saveexec_b64 s[6:7], s[4:5]
	s_cbranch_execz .LBB22_1964
.LBB22_1963:
	v_bfe_u32 v0, v5, 8, 3
	v_ffbh_u32_e32 v9, v0
	v_min_u32_e32 v9, 32, v9
	v_lshrrev_b16_e32 v8, 3, v4
	v_subrev_u32_e32 v10, 28, v9
	v_and_b32_e32 v8, 15, v8
	v_lshlrev_b32_e32 v4, v10, v4
	v_sub_u32_e32 v9, 29, v9
	v_and_b32_e32 v4, 7, v4
	v_cmp_eq_u16_e32 vcc, 0, v8
	v_cndmask_b32_e32 v0, v0, v4, vcc
	v_cndmask_b32_e32 v4, v8, v9, vcc
	v_lshlrev_b32_e32 v8, 16, v5
	v_mov_b32_e32 v9, 0x3b800000
	v_lshlrev_b32_e32 v0, 20, v0
	v_and_b32_e32 v8, 0x80000000, v8
	v_lshl_add_u32 v4, v4, 23, v9
	v_or3_b32 v0, v8, v4, v0
.LBB22_1964:
	s_or_b64 exec, exec, s[6:7]
	v_lshrrev_b32_e32 v4, 8, v1
	s_movk_i32 s4, 0x7f
	v_cmp_gt_i16_sdwa s[6:7], v4, s4 src0_sel:BYTE_0 src1_sel:DWORD
	s_mov_b64 s[4:5], 0
                                        ; implicit-def: $sgpr10
	s_and_saveexec_b64 s[8:9], s[6:7]
	s_xor_b64 s[6:7], exec, s[8:9]
	s_cbranch_execnz .LBB22_4013
; %bb.1965:
	s_or_saveexec_b64 s[6:7], s[6:7]
	v_mov_b32_e32 v8, s10
	s_xor_b64 exec, exec, s[6:7]
	s_cbranch_execnz .LBB22_4016
.LBB22_1966:
	s_or_b64 exec, exec, s[6:7]
	s_and_saveexec_b64 s[6:7], s[4:5]
	s_cbranch_execz .LBB22_1968
.LBB22_1967:
	v_bfe_u32 v8, v1, 8, 3
	v_ffbh_u32_e32 v10, v8
	v_min_u32_e32 v10, 32, v10
	v_lshrrev_b16_e32 v9, 3, v4
	v_subrev_u32_e32 v11, 28, v10
	v_and_b32_e32 v9, 15, v9
	v_lshlrev_b32_e32 v4, v11, v4
	v_sub_u32_e32 v10, 29, v10
	v_and_b32_e32 v4, 7, v4
	v_cmp_eq_u16_e32 vcc, 0, v9
	v_cndmask_b32_e32 v4, v8, v4, vcc
	v_cndmask_b32_e32 v8, v9, v10, vcc
	v_lshlrev_b32_e32 v9, 16, v1
	v_mov_b32_e32 v10, 0x3b800000
	v_lshlrev_b32_e32 v4, 20, v4
	v_and_b32_e32 v9, 0x80000000, v9
	v_lshl_add_u32 v8, v8, 23, v10
	v_or3_b32 v8, v9, v8, v4
.LBB22_1968:
	s_or_b64 exec, exec, s[6:7]
	s_nop 0
	v_mfma_f32_16x16x4f32 a[0:3], v0, v8, a[0:3]
	s_movk_i32 s4, 0xff
	v_and_b32_sdwa v4, v5, s4 dst_sel:DWORD dst_unused:UNUSED_PAD src0_sel:WORD_1 src1_sel:DWORD
	s_movk_i32 s4, 0x7f
	v_cmp_lt_i16_e32 vcc, s4, v4
	s_mov_b64 s[4:5], 0
                                        ; implicit-def: $sgpr10
	s_and_saveexec_b64 s[6:7], vcc
	s_xor_b64 s[6:7], exec, s[6:7]
	s_cbranch_execnz .LBB22_4017
; %bb.1969:
	s_or_saveexec_b64 s[6:7], s[6:7]
	v_mov_b32_e32 v0, s10
	s_xor_b64 exec, exec, s[6:7]
	s_cbranch_execnz .LBB22_4020
.LBB22_1970:
	s_or_b64 exec, exec, s[6:7]
	s_and_saveexec_b64 s[6:7], s[4:5]
	s_cbranch_execz .LBB22_1972
.LBB22_1971:
	v_bfe_u32 v0, v5, 16, 3
	v_ffbh_u32_e32 v9, v0
	v_min_u32_e32 v9, 32, v9
	v_lshrrev_b32_e32 v4, 19, v5
	v_subrev_u32_e32 v10, 28, v9
	v_and_b32_e32 v4, 15, v4
	v_lshlrev_b32_sdwa v10, v10, v5 dst_sel:DWORD dst_unused:UNUSED_PAD src0_sel:DWORD src1_sel:WORD_1
	v_bfe_u32 v8, v5, 19, 4
	v_sub_u32_e32 v9, 29, v9
	v_and_b32_e32 v10, 7, v10
	v_cmp_eq_u16_e32 vcc, 0, v4
	v_cndmask_b32_e32 v0, v0, v10, vcc
	v_cndmask_b32_e32 v4, v8, v9, vcc
	v_lshlrev_b32_e32 v8, 8, v5
	v_mov_b32_e32 v9, 0x3b800000
	v_lshlrev_b32_e32 v0, 20, v0
	v_and_b32_e32 v8, 0x80000000, v8
	v_lshl_add_u32 v4, v4, 23, v9
	v_or3_b32 v0, v8, v4, v0
.LBB22_1972:
	s_or_b64 exec, exec, s[6:7]
	s_movk_i32 s4, 0xff
	v_and_b32_sdwa v4, v1, s4 dst_sel:DWORD dst_unused:UNUSED_PAD src0_sel:WORD_1 src1_sel:DWORD
	s_movk_i32 s4, 0x7f
	v_cmp_lt_i16_e32 vcc, s4, v4
	s_mov_b64 s[4:5], 0
                                        ; implicit-def: $sgpr10
	s_and_saveexec_b64 s[6:7], vcc
	s_xor_b64 s[6:7], exec, s[6:7]
	s_cbranch_execnz .LBB22_4021
; %bb.1973:
	s_or_saveexec_b64 s[6:7], s[6:7]
	v_mov_b32_e32 v8, s10
	s_xor_b64 exec, exec, s[6:7]
	s_cbranch_execnz .LBB22_4024
.LBB22_1974:
	s_or_b64 exec, exec, s[6:7]
	s_and_saveexec_b64 s[6:7], s[4:5]
	s_cbranch_execz .LBB22_1976
.LBB22_1975:
	v_bfe_u32 v4, v1, 16, 3
	v_ffbh_u32_e32 v10, v4
	v_min_u32_e32 v10, 32, v10
	v_lshrrev_b32_e32 v8, 19, v1
	v_subrev_u32_e32 v11, 28, v10
	v_and_b32_e32 v8, 15, v8
	v_lshlrev_b32_sdwa v11, v11, v1 dst_sel:DWORD dst_unused:UNUSED_PAD src0_sel:DWORD src1_sel:WORD_1
	v_bfe_u32 v9, v1, 19, 4
	v_sub_u32_e32 v10, 29, v10
	v_and_b32_e32 v11, 7, v11
	v_cmp_eq_u16_e32 vcc, 0, v8
	v_cndmask_b32_e32 v4, v4, v11, vcc
	v_cndmask_b32_e32 v8, v9, v10, vcc
	v_lshlrev_b32_e32 v9, 8, v1
	v_mov_b32_e32 v10, 0x3b800000
	v_lshlrev_b32_e32 v4, 20, v4
	v_and_b32_e32 v9, 0x80000000, v9
	v_lshl_add_u32 v8, v8, 23, v10
	v_or3_b32 v8, v9, v8, v4
.LBB22_1976:
	s_or_b64 exec, exec, s[6:7]
	s_nop 0
	v_mfma_f32_16x16x4f32 a[0:3], v0, v8, a[0:3]
	s_movk_i32 s4, 0x7f
	v_cmp_gt_i16_sdwa s[6:7], v5, s4 src0_sel:BYTE_3 src1_sel:DWORD
	s_mov_b64 s[4:5], 0
                                        ; implicit-def: $sgpr10
	s_and_saveexec_b64 s[8:9], s[6:7]
	s_xor_b64 s[6:7], exec, s[8:9]
	s_cbranch_execnz .LBB22_4025
; %bb.1977:
	s_or_saveexec_b64 s[6:7], s[6:7]
	v_mov_b32_e32 v0, s10
	s_xor_b64 exec, exec, s[6:7]
	s_cbranch_execnz .LBB22_4028
.LBB22_1978:
	s_or_b64 exec, exec, s[6:7]
	s_and_saveexec_b64 s[6:7], s[4:5]
	s_cbranch_execz .LBB22_1980
.LBB22_1979:
	v_bfe_u32 v0, v5, 24, 3
	v_ffbh_u32_e32 v10, v0
	v_min_u32_e32 v10, 32, v10
	v_lshrrev_b32_e32 v8, 27, v5
	v_subrev_u32_e32 v11, 28, v10
	v_and_b32_e32 v4, 0x80000000, v5
	v_and_b32_e32 v8, 15, v8
	v_bfe_u32 v9, v5, 27, 4
	v_lshlrev_b32_sdwa v5, v11, v5 dst_sel:DWORD dst_unused:UNUSED_PAD src0_sel:DWORD src1_sel:BYTE_3
	v_sub_u32_e32 v10, 29, v10
	v_and_b32_e32 v5, 7, v5
	v_cmp_eq_u16_e32 vcc, 0, v8
	v_cndmask_b32_e32 v0, v0, v5, vcc
	v_cndmask_b32_e32 v5, v9, v10, vcc
	v_mov_b32_e32 v8, 0x3b800000
	v_lshlrev_b32_e32 v0, 20, v0
	v_lshl_add_u32 v5, v5, 23, v8
	v_or3_b32 v0, v4, v5, v0
.LBB22_1980:
	s_or_b64 exec, exec, s[6:7]
	s_movk_i32 s4, 0x7f
	v_cmp_gt_i16_sdwa s[6:7], v1, s4 src0_sel:BYTE_3 src1_sel:DWORD
	s_mov_b64 s[4:5], 0
                                        ; implicit-def: $sgpr10
	s_and_saveexec_b64 s[8:9], s[6:7]
	s_xor_b64 s[6:7], exec, s[8:9]
	s_cbranch_execnz .LBB22_4029
; %bb.1981:
	s_or_saveexec_b64 s[6:7], s[6:7]
	v_mov_b32_e32 v4, s10
	s_xor_b64 exec, exec, s[6:7]
	s_cbranch_execnz .LBB22_4032
.LBB22_1982:
	s_or_b64 exec, exec, s[6:7]
	s_and_saveexec_b64 s[6:7], s[4:5]
	s_cbranch_execz .LBB22_1984
.LBB22_1983:
	v_bfe_u32 v4, v1, 24, 3
	v_ffbh_u32_e32 v10, v4
	v_min_u32_e32 v10, 32, v10
	v_lshrrev_b32_e32 v8, 27, v1
	v_subrev_u32_e32 v11, 28, v10
	v_and_b32_e32 v5, 0x80000000, v1
	v_and_b32_e32 v8, 15, v8
	v_bfe_u32 v9, v1, 27, 4
	v_lshlrev_b32_sdwa v1, v11, v1 dst_sel:DWORD dst_unused:UNUSED_PAD src0_sel:DWORD src1_sel:BYTE_3
	v_sub_u32_e32 v10, 29, v10
	v_and_b32_e32 v1, 7, v1
	v_cmp_eq_u16_e32 vcc, 0, v8
	v_cndmask_b32_e32 v1, v4, v1, vcc
	v_cndmask_b32_e32 v4, v9, v10, vcc
	v_mov_b32_e32 v8, 0x3b800000
	v_lshlrev_b32_e32 v1, 20, v1
	v_lshl_add_u32 v4, v4, 23, v8
	v_or3_b32 v4, v5, v4, v1
.LBB22_1984:
	s_or_b64 exec, exec, s[6:7]
	s_nop 0
	v_mfma_f32_16x16x4f32 a[0:3], v0, v4, a[0:3]
	s_movk_i32 s4, 0x7f
	v_cmp_gt_i16_sdwa s[6:7], v6, s4 src0_sel:BYTE_0 src1_sel:DWORD
	s_mov_b64 s[4:5], 0
                                        ; implicit-def: $sgpr10
	s_and_saveexec_b64 s[8:9], s[6:7]
	s_xor_b64 s[6:7], exec, s[8:9]
	s_cbranch_execnz .LBB22_4033
; %bb.1985:
	s_or_saveexec_b64 s[6:7], s[6:7]
	v_mov_b32_e32 v0, s10
	s_xor_b64 exec, exec, s[6:7]
	s_cbranch_execnz .LBB22_4036
.LBB22_1986:
	s_or_b64 exec, exec, s[6:7]
	s_and_saveexec_b64 s[6:7], s[4:5]
	s_cbranch_execz .LBB22_1988
.LBB22_1987:
	v_and_b32_e32 v0, 7, v6
	v_ffbh_u32_e32 v4, v0
	v_min_u32_e32 v4, 32, v4
	v_lshrrev_b16_e32 v1, 3, v6
	v_subrev_u32_e32 v5, 28, v4
	v_and_b32_e32 v1, 15, v1
	v_lshlrev_b32_e32 v5, v5, v6
	v_sub_u32_e32 v4, 29, v4
	v_and_b32_e32 v5, 7, v5
	v_cmp_eq_u16_e32 vcc, 0, v1
	v_cndmask_b32_e32 v0, v0, v5, vcc
	v_cndmask_b32_e32 v1, v1, v4, vcc
	v_lshlrev_b32_e32 v4, 24, v6
	v_mov_b32_e32 v5, 0x3b800000
	v_lshlrev_b32_e32 v0, 20, v0
	v_and_b32_e32 v4, 0x80000000, v4
	v_lshl_add_u32 v1, v1, 23, v5
	v_or3_b32 v0, v4, v1, v0
.LBB22_1988:
	s_or_b64 exec, exec, s[6:7]
	s_movk_i32 s4, 0x7f
	v_cmp_gt_i16_sdwa s[6:7], v2, s4 src0_sel:BYTE_0 src1_sel:DWORD
	s_mov_b64 s[4:5], 0
                                        ; implicit-def: $sgpr10
	s_and_saveexec_b64 s[8:9], s[6:7]
	s_xor_b64 s[6:7], exec, s[8:9]
	s_cbranch_execnz .LBB22_4037
; %bb.1989:
	s_or_saveexec_b64 s[6:7], s[6:7]
	v_mov_b32_e32 v1, s10
	s_xor_b64 exec, exec, s[6:7]
	s_cbranch_execnz .LBB22_4040
.LBB22_1990:
	s_or_b64 exec, exec, s[6:7]
	s_and_saveexec_b64 s[6:7], s[4:5]
	s_cbranch_execz .LBB22_1992
.LBB22_1991:
	v_and_b32_e32 v1, 7, v2
	v_ffbh_u32_e32 v5, v1
	v_min_u32_e32 v5, 32, v5
	v_lshrrev_b16_e32 v4, 3, v2
	v_subrev_u32_e32 v8, 28, v5
	v_and_b32_e32 v4, 15, v4
	v_lshlrev_b32_e32 v8, v8, v2
	v_sub_u32_e32 v5, 29, v5
	v_and_b32_e32 v8, 7, v8
	v_cmp_eq_u16_e32 vcc, 0, v4
	v_cndmask_b32_e32 v1, v1, v8, vcc
	v_cndmask_b32_e32 v4, v4, v5, vcc
	v_lshlrev_b32_e32 v5, 24, v2
	v_mov_b32_e32 v8, 0x3b800000
	v_lshlrev_b32_e32 v1, 20, v1
	v_and_b32_e32 v5, 0x80000000, v5
	v_lshl_add_u32 v4, v4, 23, v8
	v_or3_b32 v1, v5, v4, v1
.LBB22_1992:
	s_or_b64 exec, exec, s[6:7]
	s_nop 0
	v_mfma_f32_16x16x4f32 a[0:3], v0, v1, a[0:3]
	v_lshrrev_b32_e32 v1, 8, v6
	s_movk_i32 s4, 0x7f
	v_cmp_gt_i16_sdwa s[6:7], v1, s4 src0_sel:BYTE_0 src1_sel:DWORD
	s_mov_b64 s[4:5], 0
                                        ; implicit-def: $sgpr10
	s_and_saveexec_b64 s[8:9], s[6:7]
	s_xor_b64 s[6:7], exec, s[8:9]
	s_cbranch_execnz .LBB22_4041
; %bb.1993:
	s_or_saveexec_b64 s[6:7], s[6:7]
	v_mov_b32_e32 v0, s10
	s_xor_b64 exec, exec, s[6:7]
	s_cbranch_execnz .LBB22_4044
.LBB22_1994:
	s_or_b64 exec, exec, s[6:7]
	s_and_saveexec_b64 s[6:7], s[4:5]
	s_cbranch_execz .LBB22_1996
.LBB22_1995:
	v_bfe_u32 v0, v6, 8, 3
	v_ffbh_u32_e32 v5, v0
	v_min_u32_e32 v5, 32, v5
	v_lshrrev_b16_e32 v4, 3, v1
	v_subrev_u32_e32 v8, 28, v5
	v_and_b32_e32 v4, 15, v4
	v_lshlrev_b32_e32 v1, v8, v1
	v_sub_u32_e32 v5, 29, v5
	v_and_b32_e32 v1, 7, v1
	v_cmp_eq_u16_e32 vcc, 0, v4
	v_cndmask_b32_e32 v0, v0, v1, vcc
	v_cndmask_b32_e32 v1, v4, v5, vcc
	v_lshlrev_b32_e32 v4, 16, v6
	v_mov_b32_e32 v5, 0x3b800000
	v_lshlrev_b32_e32 v0, 20, v0
	v_and_b32_e32 v4, 0x80000000, v4
	v_lshl_add_u32 v1, v1, 23, v5
	v_or3_b32 v0, v4, v1, v0
.LBB22_1996:
	s_or_b64 exec, exec, s[6:7]
	v_lshrrev_b32_e32 v1, 8, v2
	s_movk_i32 s4, 0x7f
	v_cmp_gt_i16_sdwa s[6:7], v1, s4 src0_sel:BYTE_0 src1_sel:DWORD
	s_mov_b64 s[4:5], 0
                                        ; implicit-def: $sgpr10
	s_and_saveexec_b64 s[8:9], s[6:7]
	s_xor_b64 s[6:7], exec, s[8:9]
	s_cbranch_execnz .LBB22_4045
; %bb.1997:
	s_or_saveexec_b64 s[6:7], s[6:7]
	v_mov_b32_e32 v4, s10
	s_xor_b64 exec, exec, s[6:7]
	s_cbranch_execnz .LBB22_4048
.LBB22_1998:
	s_or_b64 exec, exec, s[6:7]
	s_and_saveexec_b64 s[6:7], s[4:5]
	s_cbranch_execz .LBB22_2000
.LBB22_1999:
	v_bfe_u32 v4, v2, 8, 3
	v_ffbh_u32_e32 v8, v4
	v_min_u32_e32 v8, 32, v8
	v_lshrrev_b16_e32 v5, 3, v1
	v_subrev_u32_e32 v9, 28, v8
	v_and_b32_e32 v5, 15, v5
	v_lshlrev_b32_e32 v1, v9, v1
	v_sub_u32_e32 v8, 29, v8
	v_and_b32_e32 v1, 7, v1
	v_cmp_eq_u16_e32 vcc, 0, v5
	v_cndmask_b32_e32 v1, v4, v1, vcc
	v_cndmask_b32_e32 v4, v5, v8, vcc
	v_lshlrev_b32_e32 v5, 16, v2
	v_mov_b32_e32 v8, 0x3b800000
	v_lshlrev_b32_e32 v1, 20, v1
	v_and_b32_e32 v5, 0x80000000, v5
	v_lshl_add_u32 v4, v4, 23, v8
	v_or3_b32 v4, v5, v4, v1
.LBB22_2000:
	s_or_b64 exec, exec, s[6:7]
	s_nop 0
	v_mfma_f32_16x16x4f32 a[0:3], v0, v4, a[0:3]
	s_movk_i32 s4, 0xff
	v_and_b32_sdwa v1, v6, s4 dst_sel:DWORD dst_unused:UNUSED_PAD src0_sel:WORD_1 src1_sel:DWORD
	s_movk_i32 s4, 0x7f
	v_cmp_lt_i16_e32 vcc, s4, v1
	s_mov_b64 s[4:5], 0
                                        ; implicit-def: $sgpr10
	s_and_saveexec_b64 s[6:7], vcc
	s_xor_b64 s[6:7], exec, s[6:7]
	s_cbranch_execnz .LBB22_4049
; %bb.2001:
	s_or_saveexec_b64 s[6:7], s[6:7]
	v_mov_b32_e32 v0, s10
	s_xor_b64 exec, exec, s[6:7]
	s_cbranch_execnz .LBB22_4052
.LBB22_2002:
	s_or_b64 exec, exec, s[6:7]
	s_and_saveexec_b64 s[6:7], s[4:5]
	s_cbranch_execz .LBB22_2004
.LBB22_2003:
	v_bfe_u32 v0, v6, 16, 3
	v_ffbh_u32_e32 v5, v0
	v_min_u32_e32 v5, 32, v5
	v_lshrrev_b32_e32 v1, 19, v6
	v_subrev_u32_e32 v8, 28, v5
	v_and_b32_e32 v1, 15, v1
	v_lshlrev_b32_sdwa v8, v8, v6 dst_sel:DWORD dst_unused:UNUSED_PAD src0_sel:DWORD src1_sel:WORD_1
	v_bfe_u32 v4, v6, 19, 4
	v_sub_u32_e32 v5, 29, v5
	v_and_b32_e32 v8, 7, v8
	v_cmp_eq_u16_e32 vcc, 0, v1
	v_cndmask_b32_e32 v0, v0, v8, vcc
	v_cndmask_b32_e32 v1, v4, v5, vcc
	v_lshlrev_b32_e32 v4, 8, v6
	v_mov_b32_e32 v5, 0x3b800000
	v_lshlrev_b32_e32 v0, 20, v0
	v_and_b32_e32 v4, 0x80000000, v4
	v_lshl_add_u32 v1, v1, 23, v5
	v_or3_b32 v0, v4, v1, v0
.LBB22_2004:
	s_or_b64 exec, exec, s[6:7]
	s_movk_i32 s4, 0xff
	v_and_b32_sdwa v1, v2, s4 dst_sel:DWORD dst_unused:UNUSED_PAD src0_sel:WORD_1 src1_sel:DWORD
	s_movk_i32 s4, 0x7f
	v_cmp_lt_i16_e32 vcc, s4, v1
	s_mov_b64 s[4:5], 0
                                        ; implicit-def: $sgpr10
	s_and_saveexec_b64 s[6:7], vcc
	s_xor_b64 s[6:7], exec, s[6:7]
	s_cbranch_execnz .LBB22_4053
; %bb.2005:
	s_or_saveexec_b64 s[6:7], s[6:7]
	v_mov_b32_e32 v4, s10
	s_xor_b64 exec, exec, s[6:7]
	s_cbranch_execnz .LBB22_4056
.LBB22_2006:
	s_or_b64 exec, exec, s[6:7]
	s_and_saveexec_b64 s[6:7], s[4:5]
	s_cbranch_execz .LBB22_2008
.LBB22_2007:
	v_bfe_u32 v1, v2, 16, 3
	v_ffbh_u32_e32 v8, v1
	v_min_u32_e32 v8, 32, v8
	v_lshrrev_b32_e32 v4, 19, v2
	v_subrev_u32_e32 v9, 28, v8
	v_and_b32_e32 v4, 15, v4
	v_lshlrev_b32_sdwa v9, v9, v2 dst_sel:DWORD dst_unused:UNUSED_PAD src0_sel:DWORD src1_sel:WORD_1
	v_bfe_u32 v5, v2, 19, 4
	v_sub_u32_e32 v8, 29, v8
	v_and_b32_e32 v9, 7, v9
	v_cmp_eq_u16_e32 vcc, 0, v4
	v_cndmask_b32_e32 v1, v1, v9, vcc
	v_cndmask_b32_e32 v4, v5, v8, vcc
	v_lshlrev_b32_e32 v5, 8, v2
	v_mov_b32_e32 v8, 0x3b800000
	v_lshlrev_b32_e32 v1, 20, v1
	v_and_b32_e32 v5, 0x80000000, v5
	v_lshl_add_u32 v4, v4, 23, v8
	v_or3_b32 v4, v5, v4, v1
.LBB22_2008:
	s_or_b64 exec, exec, s[6:7]
	s_nop 0
	v_mfma_f32_16x16x4f32 a[0:3], v0, v4, a[0:3]
	s_movk_i32 s4, 0x7f
	v_cmp_gt_i16_sdwa s[6:7], v6, s4 src0_sel:BYTE_3 src1_sel:DWORD
	s_mov_b64 s[4:5], 0
                                        ; implicit-def: $sgpr10
	s_and_saveexec_b64 s[8:9], s[6:7]
	s_xor_b64 s[6:7], exec, s[8:9]
	s_cbranch_execnz .LBB22_4057
; %bb.2009:
	s_or_saveexec_b64 s[6:7], s[6:7]
	v_mov_b32_e32 v0, s10
	s_xor_b64 exec, exec, s[6:7]
	s_cbranch_execnz .LBB22_4060
.LBB22_2010:
	s_or_b64 exec, exec, s[6:7]
	s_and_saveexec_b64 s[6:7], s[4:5]
	s_cbranch_execz .LBB22_2012
.LBB22_2011:
	v_bfe_u32 v0, v6, 24, 3
	v_ffbh_u32_e32 v8, v0
	v_min_u32_e32 v8, 32, v8
	v_lshrrev_b32_e32 v4, 27, v6
	v_subrev_u32_e32 v9, 28, v8
	v_and_b32_e32 v1, 0x80000000, v6
	v_and_b32_e32 v4, 15, v4
	v_bfe_u32 v5, v6, 27, 4
	v_lshlrev_b32_sdwa v6, v9, v6 dst_sel:DWORD dst_unused:UNUSED_PAD src0_sel:DWORD src1_sel:BYTE_3
	v_sub_u32_e32 v8, 29, v8
	v_and_b32_e32 v6, 7, v6
	v_cmp_eq_u16_e32 vcc, 0, v4
	v_cndmask_b32_e32 v0, v0, v6, vcc
	v_cndmask_b32_e32 v4, v5, v8, vcc
	v_mov_b32_e32 v5, 0x3b800000
	v_lshlrev_b32_e32 v0, 20, v0
	v_lshl_add_u32 v4, v4, 23, v5
	v_or3_b32 v0, v1, v4, v0
.LBB22_2012:
	s_or_b64 exec, exec, s[6:7]
	s_movk_i32 s4, 0x7f
	v_cmp_gt_i16_sdwa s[6:7], v2, s4 src0_sel:BYTE_3 src1_sel:DWORD
	s_mov_b64 s[4:5], 0
                                        ; implicit-def: $sgpr10
	s_and_saveexec_b64 s[8:9], s[6:7]
	s_xor_b64 s[6:7], exec, s[8:9]
	s_cbranch_execnz .LBB22_4061
; %bb.2013:
	s_or_saveexec_b64 s[6:7], s[6:7]
	v_mov_b32_e32 v1, s10
	s_xor_b64 exec, exec, s[6:7]
	s_cbranch_execnz .LBB22_4064
.LBB22_2014:
	s_or_b64 exec, exec, s[6:7]
	s_and_saveexec_b64 s[6:7], s[4:5]
	s_cbranch_execz .LBB22_2016
.LBB22_2015:
	v_bfe_u32 v1, v2, 24, 3
	v_ffbh_u32_e32 v8, v1
	v_min_u32_e32 v8, 32, v8
	v_lshrrev_b32_e32 v5, 27, v2
	v_subrev_u32_e32 v9, 28, v8
	v_and_b32_e32 v4, 0x80000000, v2
	v_and_b32_e32 v5, 15, v5
	v_bfe_u32 v6, v2, 27, 4
	v_lshlrev_b32_sdwa v2, v9, v2 dst_sel:DWORD dst_unused:UNUSED_PAD src0_sel:DWORD src1_sel:BYTE_3
	v_sub_u32_e32 v8, 29, v8
	v_and_b32_e32 v2, 7, v2
	v_cmp_eq_u16_e32 vcc, 0, v5
	v_cndmask_b32_e32 v1, v1, v2, vcc
	v_cndmask_b32_e32 v2, v6, v8, vcc
	v_mov_b32_e32 v5, 0x3b800000
	v_lshlrev_b32_e32 v1, 20, v1
	v_lshl_add_u32 v2, v2, 23, v5
	v_or3_b32 v1, v4, v2, v1
.LBB22_2016:
	s_or_b64 exec, exec, s[6:7]
	s_nop 0
	v_mfma_f32_16x16x4f32 a[0:3], v0, v1, a[0:3]
	s_movk_i32 s4, 0x7f
	v_cmp_gt_i16_sdwa s[6:7], v7, s4 src0_sel:BYTE_0 src1_sel:DWORD
	s_mov_b64 s[4:5], 0
                                        ; implicit-def: $sgpr10
	s_and_saveexec_b64 s[8:9], s[6:7]
	s_xor_b64 s[6:7], exec, s[8:9]
	s_cbranch_execnz .LBB22_4065
; %bb.2017:
	s_or_saveexec_b64 s[6:7], s[6:7]
	v_mov_b32_e32 v0, s10
	s_xor_b64 exec, exec, s[6:7]
	s_cbranch_execnz .LBB22_4068
.LBB22_2018:
	s_or_b64 exec, exec, s[6:7]
	s_and_saveexec_b64 s[6:7], s[4:5]
	s_cbranch_execz .LBB22_2020
.LBB22_2019:
	v_mov_b32_e32 v0, 8
	v_and_b32_e32 v1, 7, v7
	v_lshrrev_b32_sdwa v0, v0, v7 dst_sel:BYTE_1 dst_unused:UNUSED_PAD src0_sel:DWORD src1_sel:DWORD
	v_ffbh_u32_e32 v2, v1
	v_or_b32_sdwa v0, v7, v0 dst_sel:DWORD dst_unused:UNUSED_PAD src0_sel:BYTE_0 src1_sel:DWORD
	v_min_u32_e32 v2, 32, v2
	v_lshrrev_b16_e32 v0, 3, v0
	v_subrev_u32_e32 v4, 28, v2
	v_and_b32_e32 v0, 15, v0
	v_lshlrev_b32_e32 v4, v4, v7
	v_sub_u32_e32 v2, 29, v2
	v_and_b32_e32 v4, 7, v4
	v_cmp_eq_u16_e32 vcc, 0, v0
	v_cndmask_b32_e32 v1, v1, v4, vcc
	v_cndmask_b32_e32 v0, v0, v2, vcc
	v_lshlrev_b32_e32 v2, 24, v7
	v_mov_b32_e32 v4, 0x3b800000
	v_lshlrev_b32_e32 v1, 20, v1
	v_and_b32_e32 v2, 0x80000000, v2
	v_lshl_add_u32 v0, v0, 23, v4
	v_or3_b32 v0, v2, v0, v1
.LBB22_2020:
	s_or_b64 exec, exec, s[6:7]
	s_movk_i32 s4, 0x7f
	v_cmp_gt_i16_sdwa s[6:7], v3, s4 src0_sel:BYTE_0 src1_sel:DWORD
	s_mov_b64 s[4:5], 0
                                        ; implicit-def: $sgpr10
	s_and_saveexec_b64 s[8:9], s[6:7]
	s_xor_b64 s[6:7], exec, s[8:9]
	s_cbranch_execnz .LBB22_4069
; %bb.2021:
	s_or_saveexec_b64 s[6:7], s[6:7]
	v_mov_b32_e32 v1, s10
	s_xor_b64 exec, exec, s[6:7]
	s_cbranch_execnz .LBB22_4072
.LBB22_2022:
	s_or_b64 exec, exec, s[6:7]
	s_and_saveexec_b64 s[6:7], s[4:5]
	s_cbranch_execz .LBB22_2024
.LBB22_2023:
	v_mov_b32_e32 v1, 8
	v_and_b32_e32 v2, 7, v3
	v_lshrrev_b32_sdwa v1, v1, v3 dst_sel:BYTE_1 dst_unused:UNUSED_PAD src0_sel:DWORD src1_sel:DWORD
	v_ffbh_u32_e32 v4, v2
	v_or_b32_sdwa v1, v3, v1 dst_sel:DWORD dst_unused:UNUSED_PAD src0_sel:BYTE_0 src1_sel:DWORD
	v_min_u32_e32 v4, 32, v4
	v_lshrrev_b16_e32 v1, 3, v1
	v_subrev_u32_e32 v5, 28, v4
	v_and_b32_e32 v1, 15, v1
	v_lshlrev_b32_e32 v5, v5, v3
	v_sub_u32_e32 v4, 29, v4
	v_and_b32_e32 v5, 7, v5
	v_cmp_eq_u16_e32 vcc, 0, v1
	v_cndmask_b32_e32 v2, v2, v5, vcc
	v_cndmask_b32_e32 v1, v1, v4, vcc
	v_lshlrev_b32_e32 v4, 24, v3
	v_mov_b32_e32 v5, 0x3b800000
	v_lshlrev_b32_e32 v2, 20, v2
	v_and_b32_e32 v4, 0x80000000, v4
	v_lshl_add_u32 v1, v1, 23, v5
	v_or3_b32 v1, v4, v1, v2
.LBB22_2024:
	s_or_b64 exec, exec, s[6:7]
	s_nop 0
	v_mfma_f32_16x16x4f32 a[0:3], v0, v1, a[0:3]
	v_lshrrev_b32_e32 v1, 8, v7
	s_movk_i32 s4, 0x7f
	v_cmp_gt_i16_sdwa s[6:7], v1, s4 src0_sel:BYTE_0 src1_sel:DWORD
	s_mov_b64 s[4:5], 0
                                        ; implicit-def: $sgpr10
	s_and_saveexec_b64 s[8:9], s[6:7]
	s_xor_b64 s[6:7], exec, s[8:9]
	s_cbranch_execnz .LBB22_4073
; %bb.2025:
	s_or_saveexec_b64 s[6:7], s[6:7]
	v_mov_b32_e32 v0, s10
	s_xor_b64 exec, exec, s[6:7]
	s_cbranch_execnz .LBB22_4076
.LBB22_2026:
	s_or_b64 exec, exec, s[6:7]
	s_and_saveexec_b64 s[6:7], s[4:5]
	s_cbranch_execz .LBB22_2028
.LBB22_2027:
	v_bfe_u32 v0, v7, 8, 3
	v_ffbh_u32_e32 v4, v0
	v_min_u32_e32 v4, 32, v4
	v_lshrrev_b16_e32 v2, 3, v1
	v_subrev_u32_e32 v5, 28, v4
	v_and_b32_e32 v2, 15, v2
	v_lshlrev_b32_e32 v1, v5, v1
	v_sub_u32_e32 v4, 29, v4
	v_and_b32_e32 v1, 7, v1
	v_cmp_eq_u16_e32 vcc, 0, v2
	v_cndmask_b32_e32 v0, v0, v1, vcc
	v_cndmask_b32_e32 v1, v2, v4, vcc
	v_lshlrev_b32_e32 v2, 16, v7
	v_mov_b32_e32 v4, 0x3b800000
	v_lshlrev_b32_e32 v0, 20, v0
	v_and_b32_e32 v2, 0x80000000, v2
	v_lshl_add_u32 v1, v1, 23, v4
	v_or3_b32 v0, v2, v1, v0
.LBB22_2028:
	s_or_b64 exec, exec, s[6:7]
	v_lshrrev_b32_e32 v1, 8, v3
	s_movk_i32 s4, 0x7f
	v_cmp_gt_i16_sdwa s[6:7], v1, s4 src0_sel:BYTE_0 src1_sel:DWORD
	s_mov_b64 s[4:5], 0
                                        ; implicit-def: $sgpr10
	s_and_saveexec_b64 s[8:9], s[6:7]
	s_xor_b64 s[6:7], exec, s[8:9]
	s_cbranch_execnz .LBB22_4077
; %bb.2029:
	s_or_saveexec_b64 s[6:7], s[6:7]
	v_mov_b32_e32 v2, s10
	s_xor_b64 exec, exec, s[6:7]
	s_cbranch_execnz .LBB22_4080
.LBB22_2030:
	s_or_b64 exec, exec, s[6:7]
	s_and_saveexec_b64 s[6:7], s[4:5]
	s_cbranch_execz .LBB22_2032
.LBB22_2031:
	v_bfe_u32 v2, v3, 8, 3
	v_ffbh_u32_e32 v5, v2
	v_min_u32_e32 v5, 32, v5
	v_lshrrev_b16_e32 v4, 3, v1
	v_subrev_u32_e32 v6, 28, v5
	v_and_b32_e32 v4, 15, v4
	v_lshlrev_b32_e32 v1, v6, v1
	v_sub_u32_e32 v5, 29, v5
	v_and_b32_e32 v1, 7, v1
	v_cmp_eq_u16_e32 vcc, 0, v4
	v_cndmask_b32_e32 v1, v2, v1, vcc
	v_cndmask_b32_e32 v2, v4, v5, vcc
	v_lshlrev_b32_e32 v4, 16, v3
	v_mov_b32_e32 v5, 0x3b800000
	v_lshlrev_b32_e32 v1, 20, v1
	v_and_b32_e32 v4, 0x80000000, v4
	v_lshl_add_u32 v2, v2, 23, v5
	v_or3_b32 v2, v4, v2, v1
.LBB22_2032:
	s_or_b64 exec, exec, s[6:7]
	s_nop 0
	v_mfma_f32_16x16x4f32 a[0:3], v0, v2, a[0:3]
	s_movk_i32 s4, 0xff
	v_and_b32_sdwa v1, v7, s4 dst_sel:DWORD dst_unused:UNUSED_PAD src0_sel:WORD_1 src1_sel:DWORD
	s_movk_i32 s4, 0x7f
	v_cmp_lt_i16_e32 vcc, s4, v1
	s_mov_b64 s[4:5], 0
                                        ; implicit-def: $sgpr10
	s_and_saveexec_b64 s[6:7], vcc
	s_xor_b64 s[6:7], exec, s[6:7]
	s_cbranch_execnz .LBB22_4081
; %bb.2033:
	s_or_saveexec_b64 s[6:7], s[6:7]
	v_mov_b32_e32 v0, s10
	s_xor_b64 exec, exec, s[6:7]
	s_cbranch_execnz .LBB22_4084
.LBB22_2034:
	s_or_b64 exec, exec, s[6:7]
	s_and_saveexec_b64 s[6:7], s[4:5]
	s_cbranch_execz .LBB22_2036
.LBB22_2035:
	v_bfe_u32 v0, v7, 16, 3
	v_ffbh_u32_e32 v4, v0
	v_min_u32_e32 v4, 32, v4
	v_lshrrev_b32_e32 v1, 19, v7
	v_subrev_u32_e32 v5, 28, v4
	v_and_b32_e32 v1, 15, v1
	v_lshlrev_b32_sdwa v5, v5, v7 dst_sel:DWORD dst_unused:UNUSED_PAD src0_sel:DWORD src1_sel:WORD_1
	v_bfe_u32 v2, v7, 19, 4
	v_sub_u32_e32 v4, 29, v4
	v_and_b32_e32 v5, 7, v5
	v_cmp_eq_u16_e32 vcc, 0, v1
	v_cndmask_b32_e32 v0, v0, v5, vcc
	v_cndmask_b32_e32 v1, v2, v4, vcc
	v_lshlrev_b32_e32 v2, 8, v7
	v_mov_b32_e32 v4, 0x3b800000
	v_lshlrev_b32_e32 v0, 20, v0
	v_and_b32_e32 v2, 0x80000000, v2
	v_lshl_add_u32 v1, v1, 23, v4
	v_or3_b32 v0, v2, v1, v0
.LBB22_2036:
	s_or_b64 exec, exec, s[6:7]
	s_movk_i32 s4, 0xff
	v_and_b32_sdwa v1, v3, s4 dst_sel:DWORD dst_unused:UNUSED_PAD src0_sel:WORD_1 src1_sel:DWORD
	s_movk_i32 s4, 0x7f
	v_cmp_lt_i16_e32 vcc, s4, v1
	s_mov_b64 s[4:5], 0
                                        ; implicit-def: $sgpr10
	s_and_saveexec_b64 s[6:7], vcc
	s_xor_b64 s[6:7], exec, s[6:7]
	s_cbranch_execnz .LBB22_4085
; %bb.2037:
	s_or_saveexec_b64 s[6:7], s[6:7]
	v_mov_b32_e32 v2, s10
	s_xor_b64 exec, exec, s[6:7]
	s_cbranch_execnz .LBB22_4088
.LBB22_2038:
	s_or_b64 exec, exec, s[6:7]
	s_and_saveexec_b64 s[6:7], s[4:5]
	s_cbranch_execz .LBB22_2040
.LBB22_2039:
	v_bfe_u32 v1, v3, 16, 3
	v_ffbh_u32_e32 v5, v1
	v_min_u32_e32 v5, 32, v5
	v_lshrrev_b32_e32 v2, 19, v3
	v_subrev_u32_e32 v6, 28, v5
	v_and_b32_e32 v2, 15, v2
	v_lshlrev_b32_sdwa v6, v6, v3 dst_sel:DWORD dst_unused:UNUSED_PAD src0_sel:DWORD src1_sel:WORD_1
	v_bfe_u32 v4, v3, 19, 4
	v_sub_u32_e32 v5, 29, v5
	v_and_b32_e32 v6, 7, v6
	v_cmp_eq_u16_e32 vcc, 0, v2
	v_cndmask_b32_e32 v1, v1, v6, vcc
	v_cndmask_b32_e32 v2, v4, v5, vcc
	v_lshlrev_b32_e32 v4, 8, v3
	v_mov_b32_e32 v5, 0x3b800000
	v_lshlrev_b32_e32 v1, 20, v1
	v_and_b32_e32 v4, 0x80000000, v4
	v_lshl_add_u32 v2, v2, 23, v5
	v_or3_b32 v2, v4, v2, v1
.LBB22_2040:
	s_or_b64 exec, exec, s[6:7]
	s_nop 0
	v_mfma_f32_16x16x4f32 a[0:3], v0, v2, a[0:3]
	s_movk_i32 s4, 0x7f
	v_cmp_gt_i16_sdwa s[6:7], v7, s4 src0_sel:BYTE_3 src1_sel:DWORD
	s_mov_b64 s[4:5], 0
                                        ; implicit-def: $sgpr10
	s_and_saveexec_b64 s[8:9], s[6:7]
	s_xor_b64 s[6:7], exec, s[8:9]
	s_cbranch_execnz .LBB22_4089
; %bb.2041:
	s_or_saveexec_b64 s[6:7], s[6:7]
	v_mov_b32_e32 v0, s10
	s_xor_b64 exec, exec, s[6:7]
	s_cbranch_execnz .LBB22_4092
.LBB22_2042:
	s_or_b64 exec, exec, s[6:7]
	s_and_saveexec_b64 s[6:7], s[4:5]
	s_cbranch_execz .LBB22_2044
.LBB22_2043:
	v_bfe_u32 v0, v7, 24, 3
	v_ffbh_u32_e32 v5, v0
	v_min_u32_e32 v5, 32, v5
	v_lshrrev_b32_e32 v2, 27, v7
	v_subrev_u32_e32 v6, 28, v5
	v_and_b32_e32 v2, 15, v2
	v_lshlrev_b32_sdwa v6, v6, v7 dst_sel:DWORD dst_unused:UNUSED_PAD src0_sel:DWORD src1_sel:BYTE_3
	v_bfe_u32 v4, v7, 27, 4
	v_sub_u32_e32 v5, 29, v5
	v_and_b32_e32 v6, 7, v6
	v_cmp_eq_u16_e32 vcc, 0, v2
	v_cndmask_b32_e32 v0, v0, v6, vcc
	v_cndmask_b32_e32 v2, v4, v5, vcc
	v_mov_b32_e32 v4, 0x3b800000
	v_and_b32_e32 v1, 0x80000000, v7
	v_lshlrev_b32_e32 v0, 20, v0
	v_lshl_add_u32 v2, v2, 23, v4
	v_or3_b32 v0, v1, v2, v0
.LBB22_2044:
	s_or_b64 exec, exec, s[6:7]
	s_movk_i32 s4, 0x7f
	v_cmp_gt_i16_sdwa s[6:7], v3, s4 src0_sel:BYTE_3 src1_sel:DWORD
	s_mov_b64 s[4:5], 0
                                        ; implicit-def: $sgpr10
	s_and_saveexec_b64 s[8:9], s[6:7]
	s_xor_b64 s[6:7], exec, s[8:9]
	s_cbranch_execnz .LBB22_4093
; %bb.2045:
	s_or_saveexec_b64 s[6:7], s[6:7]
	v_mov_b32_e32 v1, s10
	s_xor_b64 exec, exec, s[6:7]
	s_cbranch_execnz .LBB22_4096
.LBB22_2046:
	s_or_b64 exec, exec, s[6:7]
	s_and_saveexec_b64 s[6:7], s[4:5]
	s_cbranch_execz .LBB22_2048
.LBB22_2047:
	v_bfe_u32 v1, v3, 24, 3
	v_ffbh_u32_e32 v6, v1
	v_min_u32_e32 v6, 32, v6
	v_lshrrev_b32_e32 v4, 27, v3
	v_subrev_u32_e32 v7, 28, v6
	v_and_b32_e32 v2, 0x80000000, v3
	v_and_b32_e32 v4, 15, v4
	v_bfe_u32 v5, v3, 27, 4
	v_lshlrev_b32_sdwa v3, v7, v3 dst_sel:DWORD dst_unused:UNUSED_PAD src0_sel:DWORD src1_sel:BYTE_3
	v_sub_u32_e32 v6, 29, v6
	v_and_b32_e32 v3, 7, v3
	v_cmp_eq_u16_e32 vcc, 0, v4
	v_cndmask_b32_e32 v1, v1, v3, vcc
	v_cndmask_b32_e32 v3, v5, v6, vcc
	v_mov_b32_e32 v4, 0x3b800000
	v_lshlrev_b32_e32 v1, 20, v1
	v_lshl_add_u32 v3, v3, 23, v4
	v_or3_b32 v1, v2, v3, v1
.LBB22_2048:
	s_or_b64 exec, exec, s[6:7]
	s_nop 0
	v_mfma_f32_16x16x4f32 a[0:3], v0, v1, a[0:3]
	s_nop 7
	s_nop 2
	flat_store_dwordx4 v[16:17], a[0:3] offset:624
	s_waitcnt vmcnt(0) lgkmcnt(0)
	s_setpc_b64 s[30:31]
.LBB22_2049:
	s_movk_i32 s4, 0x80
	v_cmp_eq_u16_sdwa s[12:13], v14, s4 src0_sel:BYTE_0 src1_sel:DWORD
	s_mov_b64 s[4:5], -1
                                        ; implicit-def: $sgpr10
	s_and_saveexec_b64 s[8:9], s[12:13]
; %bb.2050:
	s_mov_b32 s10, 0x7f800001
	s_xor_b64 s[4:5], exec, -1
; %bb.2051:
	s_or_b64 exec, exec, s[8:9]
	s_and_b64 s[4:5], s[4:5], exec
	s_or_saveexec_b64 s[6:7], s[6:7]
	v_mov_b32_e32 v20, s10
	s_xor_b64 exec, exec, s[6:7]
	s_cbranch_execz .LBB22_2
.LBB22_2052:
	v_mov_b32_e32 v20, 0
	v_cmp_ne_u16_sdwa s[8:9], v14, v20 src0_sel:BYTE_0 src1_sel:DWORD
	s_andn2_b64 s[4:5], s[4:5], exec
	s_and_b64 s[8:9], s[8:9], exec
	s_or_b64 s[4:5], s[4:5], s[8:9]
	s_or_b64 exec, exec, s[6:7]
	s_and_saveexec_b64 s[6:7], s[4:5]
	s_cbranch_execnz .LBB22_3
	s_branch .LBB22_4
.LBB22_2053:
	s_movk_i32 s4, 0x80
	v_cmp_eq_u16_sdwa s[12:13], v10, s4 src0_sel:BYTE_0 src1_sel:DWORD
	s_mov_b64 s[4:5], -1
                                        ; implicit-def: $sgpr10
	s_and_saveexec_b64 s[8:9], s[12:13]
; %bb.2054:
	s_mov_b32 s10, 0x7f800001
	s_xor_b64 s[4:5], exec, -1
; %bb.2055:
	s_or_b64 exec, exec, s[8:9]
	s_and_b64 s[4:5], s[4:5], exec
	s_or_saveexec_b64 s[6:7], s[6:7]
	v_mov_b32_e32 v21, s10
	s_xor_b64 exec, exec, s[6:7]
	s_cbranch_execz .LBB22_6
.LBB22_2056:
	v_mov_b32_e32 v21, 0
	v_cmp_ne_u16_sdwa s[8:9], v10, v21 src0_sel:BYTE_0 src1_sel:DWORD
	s_andn2_b64 s[4:5], s[4:5], exec
	s_and_b64 s[8:9], s[8:9], exec
	s_or_b64 s[4:5], s[4:5], s[8:9]
	s_or_b64 exec, exec, s[6:7]
	s_and_saveexec_b64 s[6:7], s[4:5]
	s_cbranch_execnz .LBB22_7
	s_branch .LBB22_8
.LBB22_2057:
	s_movk_i32 s4, 0x80
	v_cmp_eq_u16_sdwa s[12:13], v21, s4 src0_sel:BYTE_0 src1_sel:DWORD
	s_mov_b64 s[4:5], -1
                                        ; implicit-def: $sgpr10
	s_and_saveexec_b64 s[8:9], s[12:13]
; %bb.2058:
	s_mov_b32 s10, 0x7f800001
	s_xor_b64 s[4:5], exec, -1
; %bb.2059:
	s_or_b64 exec, exec, s[8:9]
	s_and_b64 s[4:5], s[4:5], exec
	s_or_saveexec_b64 s[6:7], s[6:7]
	v_mov_b32_e32 v20, s10
	s_xor_b64 exec, exec, s[6:7]
	s_cbranch_execz .LBB22_10
.LBB22_2060:
	v_mov_b32_e32 v20, 0
	v_cmp_ne_u16_sdwa s[8:9], v21, v20 src0_sel:BYTE_0 src1_sel:DWORD
	s_andn2_b64 s[4:5], s[4:5], exec
	s_and_b64 s[8:9], s[8:9], exec
	s_or_b64 s[4:5], s[4:5], s[8:9]
	s_or_b64 exec, exec, s[6:7]
	s_and_saveexec_b64 s[6:7], s[4:5]
	s_cbranch_execnz .LBB22_11
	s_branch .LBB22_12
.LBB22_2061:
	s_movk_i32 s4, 0x80
	v_cmp_eq_u16_sdwa s[12:13], v21, s4 src0_sel:BYTE_0 src1_sel:DWORD
	s_mov_b64 s[4:5], -1
                                        ; implicit-def: $sgpr10
	s_and_saveexec_b64 s[8:9], s[12:13]
; %bb.2062:
	s_mov_b32 s10, 0x7f800001
	s_xor_b64 s[4:5], exec, -1
; %bb.2063:
	s_or_b64 exec, exec, s[8:9]
	s_and_b64 s[4:5], s[4:5], exec
	s_or_saveexec_b64 s[6:7], s[6:7]
	v_mov_b32_e32 v22, s10
	s_xor_b64 exec, exec, s[6:7]
	s_cbranch_execz .LBB22_14
.LBB22_2064:
	v_mov_b32_e32 v22, 0
	v_cmp_ne_u16_sdwa s[8:9], v21, v22 src0_sel:BYTE_0 src1_sel:DWORD
	s_andn2_b64 s[4:5], s[4:5], exec
	s_and_b64 s[8:9], s[8:9], exec
	s_or_b64 s[4:5], s[4:5], s[8:9]
	s_or_b64 exec, exec, s[6:7]
	s_and_saveexec_b64 s[6:7], s[4:5]
	s_cbranch_execnz .LBB22_15
	s_branch .LBB22_16
.LBB22_2065:
	s_movk_i32 s4, 0x80
	v_cmp_eq_u16_e32 vcc, s4, v21
	s_mov_b64 s[4:5], -1
                                        ; implicit-def: $sgpr10
	s_and_saveexec_b64 s[8:9], vcc
; %bb.2066:
	s_mov_b32 s10, 0x7f800001
	s_xor_b64 s[4:5], exec, -1
; %bb.2067:
	s_or_b64 exec, exec, s[8:9]
	s_and_b64 s[4:5], s[4:5], exec
                                        ; implicit-def: $vgpr21
	s_or_saveexec_b64 s[6:7], s[6:7]
	v_mov_b32_e32 v20, s10
	s_xor_b64 exec, exec, s[6:7]
	s_cbranch_execz .LBB22_18
.LBB22_2068:
	v_cmp_ne_u16_e32 vcc, 0, v21
	s_andn2_b64 s[4:5], s[4:5], exec
	s_and_b64 s[8:9], vcc, exec
	v_mov_b32_e32 v20, 0
	s_or_b64 s[4:5], s[4:5], s[8:9]
	s_or_b64 exec, exec, s[6:7]
	s_and_saveexec_b64 s[6:7], s[4:5]
	s_cbranch_execnz .LBB22_19
	s_branch .LBB22_20
.LBB22_2069:
	s_movk_i32 s4, 0x80
	v_cmp_eq_u16_e32 vcc, s4, v21
	s_mov_b64 s[4:5], -1
                                        ; implicit-def: $sgpr10
	s_and_saveexec_b64 s[8:9], vcc
; %bb.2070:
	s_mov_b32 s10, 0x7f800001
	s_xor_b64 s[4:5], exec, -1
; %bb.2071:
	s_or_b64 exec, exec, s[8:9]
	s_and_b64 s[4:5], s[4:5], exec
                                        ; implicit-def: $vgpr21
	s_or_saveexec_b64 s[6:7], s[6:7]
	v_mov_b32_e32 v22, s10
	s_xor_b64 exec, exec, s[6:7]
	s_cbranch_execz .LBB22_22
.LBB22_2072:
	v_cmp_ne_u16_e32 vcc, 0, v21
	s_andn2_b64 s[4:5], s[4:5], exec
	s_and_b64 s[8:9], vcc, exec
	v_mov_b32_e32 v22, 0
	s_or_b64 s[4:5], s[4:5], s[8:9]
	s_or_b64 exec, exec, s[6:7]
	s_and_saveexec_b64 s[6:7], s[4:5]
	s_cbranch_execnz .LBB22_23
	s_branch .LBB22_24
.LBB22_2073:
	s_movk_i32 s4, 0x80
	v_cmp_eq_u16_sdwa s[12:13], v14, s4 src0_sel:BYTE_3 src1_sel:DWORD
	s_mov_b64 s[4:5], -1
                                        ; implicit-def: $sgpr10
	s_and_saveexec_b64 s[8:9], s[12:13]
; %bb.2074:
	s_mov_b32 s10, 0x7f800001
	s_xor_b64 s[4:5], exec, -1
; %bb.2075:
	s_or_b64 exec, exec, s[8:9]
	s_and_b64 s[4:5], s[4:5], exec
	s_or_saveexec_b64 s[6:7], s[6:7]
	v_mov_b32_e32 v20, s10
	s_xor_b64 exec, exec, s[6:7]
	s_cbranch_execz .LBB22_26
.LBB22_2076:
	v_mov_b32_e32 v20, 0
	v_cmp_ne_u16_sdwa s[8:9], v14, v20 src0_sel:BYTE_3 src1_sel:DWORD
	s_andn2_b64 s[4:5], s[4:5], exec
	s_and_b64 s[8:9], s[8:9], exec
	s_or_b64 s[4:5], s[4:5], s[8:9]
	s_or_b64 exec, exec, s[6:7]
	s_and_saveexec_b64 s[6:7], s[4:5]
	s_cbranch_execnz .LBB22_27
	s_branch .LBB22_28
.LBB22_2077:
	s_movk_i32 s4, 0x80
	v_cmp_eq_u16_sdwa s[12:13], v10, s4 src0_sel:BYTE_3 src1_sel:DWORD
	s_mov_b64 s[4:5], -1
                                        ; implicit-def: $sgpr10
	s_and_saveexec_b64 s[8:9], s[12:13]
; %bb.2078:
	s_mov_b32 s10, 0x7f800001
	s_xor_b64 s[4:5], exec, -1
; %bb.2079:
	s_or_b64 exec, exec, s[8:9]
	s_and_b64 s[4:5], s[4:5], exec
	s_or_saveexec_b64 s[6:7], s[6:7]
	v_mov_b32_e32 v14, s10
	s_xor_b64 exec, exec, s[6:7]
	s_cbranch_execz .LBB22_30
.LBB22_2080:
	v_mov_b32_e32 v14, 0
	v_cmp_ne_u16_sdwa s[8:9], v10, v14 src0_sel:BYTE_3 src1_sel:DWORD
	s_andn2_b64 s[4:5], s[4:5], exec
	s_and_b64 s[8:9], s[8:9], exec
	s_or_b64 s[4:5], s[4:5], s[8:9]
	s_or_b64 exec, exec, s[6:7]
	s_and_saveexec_b64 s[6:7], s[4:5]
	s_cbranch_execnz .LBB22_31
	s_branch .LBB22_32
.LBB22_2081:
	s_movk_i32 s4, 0x80
	v_cmp_eq_u16_sdwa s[12:13], v15, s4 src0_sel:BYTE_0 src1_sel:DWORD
	s_mov_b64 s[4:5], -1
                                        ; implicit-def: $sgpr10
	s_and_saveexec_b64 s[8:9], s[12:13]
; %bb.2082:
	s_mov_b32 s10, 0x7f800001
	s_xor_b64 s[4:5], exec, -1
; %bb.2083:
	s_or_b64 exec, exec, s[8:9]
	s_and_b64 s[4:5], s[4:5], exec
	s_or_saveexec_b64 s[6:7], s[6:7]
	v_mov_b32_e32 v10, s10
	s_xor_b64 exec, exec, s[6:7]
	s_cbranch_execz .LBB22_34
.LBB22_2084:
	v_mov_b32_e32 v10, 0
	v_cmp_ne_u16_sdwa s[8:9], v15, v10 src0_sel:BYTE_0 src1_sel:DWORD
	s_andn2_b64 s[4:5], s[4:5], exec
	s_and_b64 s[8:9], s[8:9], exec
	s_or_b64 s[4:5], s[4:5], s[8:9]
	s_or_b64 exec, exec, s[6:7]
	s_and_saveexec_b64 s[6:7], s[4:5]
	s_cbranch_execnz .LBB22_35
	s_branch .LBB22_36
.LBB22_2085:
	s_movk_i32 s4, 0x80
	v_cmp_eq_u16_sdwa s[12:13], v11, s4 src0_sel:BYTE_0 src1_sel:DWORD
	s_mov_b64 s[4:5], -1
                                        ; implicit-def: $sgpr10
	s_and_saveexec_b64 s[8:9], s[12:13]
; %bb.2086:
	s_mov_b32 s10, 0x7f800001
	s_xor_b64 s[4:5], exec, -1
; %bb.2087:
	s_or_b64 exec, exec, s[8:9]
	s_and_b64 s[4:5], s[4:5], exec
	s_or_saveexec_b64 s[6:7], s[6:7]
	v_mov_b32_e32 v14, s10
	s_xor_b64 exec, exec, s[6:7]
	s_cbranch_execz .LBB22_38
.LBB22_2088:
	v_mov_b32_e32 v14, 0
	v_cmp_ne_u16_sdwa s[8:9], v11, v14 src0_sel:BYTE_0 src1_sel:DWORD
	s_andn2_b64 s[4:5], s[4:5], exec
	s_and_b64 s[8:9], s[8:9], exec
	s_or_b64 s[4:5], s[4:5], s[8:9]
	s_or_b64 exec, exec, s[6:7]
	s_and_saveexec_b64 s[6:7], s[4:5]
	s_cbranch_execnz .LBB22_39
	s_branch .LBB22_40
.LBB22_2089:
	s_movk_i32 s4, 0x80
	v_cmp_eq_u16_sdwa s[12:13], v14, s4 src0_sel:BYTE_0 src1_sel:DWORD
	s_mov_b64 s[4:5], -1
                                        ; implicit-def: $sgpr10
	s_and_saveexec_b64 s[8:9], s[12:13]
; %bb.2090:
	s_mov_b32 s10, 0x7f800001
	s_xor_b64 s[4:5], exec, -1
; %bb.2091:
	s_or_b64 exec, exec, s[8:9]
	s_and_b64 s[4:5], s[4:5], exec
	s_or_saveexec_b64 s[6:7], s[6:7]
	v_mov_b32_e32 v10, s10
	s_xor_b64 exec, exec, s[6:7]
	s_cbranch_execz .LBB22_42
.LBB22_2092:
	v_mov_b32_e32 v10, 0
	v_cmp_ne_u16_sdwa s[8:9], v14, v10 src0_sel:BYTE_0 src1_sel:DWORD
	s_andn2_b64 s[4:5], s[4:5], exec
	s_and_b64 s[8:9], s[8:9], exec
	s_or_b64 s[4:5], s[4:5], s[8:9]
	s_or_b64 exec, exec, s[6:7]
	s_and_saveexec_b64 s[6:7], s[4:5]
	s_cbranch_execnz .LBB22_43
	s_branch .LBB22_44
.LBB22_2093:
	s_movk_i32 s4, 0x80
	v_cmp_eq_u16_sdwa s[12:13], v14, s4 src0_sel:BYTE_0 src1_sel:DWORD
	s_mov_b64 s[4:5], -1
                                        ; implicit-def: $sgpr10
	s_and_saveexec_b64 s[8:9], s[12:13]
; %bb.2094:
	s_mov_b32 s10, 0x7f800001
	s_xor_b64 s[4:5], exec, -1
; %bb.2095:
	s_or_b64 exec, exec, s[8:9]
	s_and_b64 s[4:5], s[4:5], exec
	s_or_saveexec_b64 s[6:7], s[6:7]
	v_mov_b32_e32 v20, s10
	s_xor_b64 exec, exec, s[6:7]
	s_cbranch_execz .LBB22_46
.LBB22_2096:
	v_mov_b32_e32 v20, 0
	v_cmp_ne_u16_sdwa s[8:9], v14, v20 src0_sel:BYTE_0 src1_sel:DWORD
	s_andn2_b64 s[4:5], s[4:5], exec
	s_and_b64 s[8:9], s[8:9], exec
	s_or_b64 s[4:5], s[4:5], s[8:9]
	s_or_b64 exec, exec, s[6:7]
	s_and_saveexec_b64 s[6:7], s[4:5]
	s_cbranch_execnz .LBB22_47
	s_branch .LBB22_48
.LBB22_2097:
	s_movk_i32 s4, 0x80
	v_cmp_eq_u16_e32 vcc, s4, v14
	s_mov_b64 s[4:5], -1
                                        ; implicit-def: $sgpr10
	s_and_saveexec_b64 s[8:9], vcc
; %bb.2098:
	s_mov_b32 s10, 0x7f800001
	s_xor_b64 s[4:5], exec, -1
; %bb.2099:
	s_or_b64 exec, exec, s[8:9]
	s_and_b64 s[4:5], s[4:5], exec
                                        ; implicit-def: $vgpr14
	s_or_saveexec_b64 s[6:7], s[6:7]
	v_mov_b32_e32 v10, s10
	s_xor_b64 exec, exec, s[6:7]
	s_cbranch_execz .LBB22_50
.LBB22_2100:
	v_cmp_ne_u16_e32 vcc, 0, v14
	s_andn2_b64 s[4:5], s[4:5], exec
	s_and_b64 s[8:9], vcc, exec
	v_mov_b32_e32 v10, 0
	s_or_b64 s[4:5], s[4:5], s[8:9]
	s_or_b64 exec, exec, s[6:7]
	s_and_saveexec_b64 s[6:7], s[4:5]
	s_cbranch_execnz .LBB22_51
	s_branch .LBB22_52
.LBB22_2101:
	s_movk_i32 s4, 0x80
	v_cmp_eq_u16_e32 vcc, s4, v14
	s_mov_b64 s[4:5], -1
                                        ; implicit-def: $sgpr10
	s_and_saveexec_b64 s[8:9], vcc
; %bb.2102:
	s_mov_b32 s10, 0x7f800001
	s_xor_b64 s[4:5], exec, -1
; %bb.2103:
	s_or_b64 exec, exec, s[8:9]
	s_and_b64 s[4:5], s[4:5], exec
                                        ; implicit-def: $vgpr14
	s_or_saveexec_b64 s[6:7], s[6:7]
	v_mov_b32_e32 v20, s10
	s_xor_b64 exec, exec, s[6:7]
	s_cbranch_execz .LBB22_54
.LBB22_2104:
	v_cmp_ne_u16_e32 vcc, 0, v14
	s_andn2_b64 s[4:5], s[4:5], exec
	s_and_b64 s[8:9], vcc, exec
	v_mov_b32_e32 v20, 0
	s_or_b64 s[4:5], s[4:5], s[8:9]
	s_or_b64 exec, exec, s[6:7]
	s_and_saveexec_b64 s[6:7], s[4:5]
	s_cbranch_execnz .LBB22_55
	s_branch .LBB22_56
.LBB22_2105:
	s_movk_i32 s4, 0x80
	v_cmp_eq_u16_sdwa s[12:13], v15, s4 src0_sel:BYTE_3 src1_sel:DWORD
	s_mov_b64 s[4:5], -1
                                        ; implicit-def: $sgpr10
	s_and_saveexec_b64 s[8:9], s[12:13]
; %bb.2106:
	s_mov_b32 s10, 0x7f800001
	s_xor_b64 s[4:5], exec, -1
; %bb.2107:
	s_or_b64 exec, exec, s[8:9]
	s_and_b64 s[4:5], s[4:5], exec
	s_or_saveexec_b64 s[6:7], s[6:7]
	v_mov_b32_e32 v10, s10
	s_xor_b64 exec, exec, s[6:7]
	s_cbranch_execz .LBB22_58
.LBB22_2108:
	v_mov_b32_e32 v10, 0
	v_cmp_ne_u16_sdwa s[8:9], v15, v10 src0_sel:BYTE_3 src1_sel:DWORD
	s_andn2_b64 s[4:5], s[4:5], exec
	s_and_b64 s[8:9], s[8:9], exec
	s_or_b64 s[4:5], s[4:5], s[8:9]
	s_or_b64 exec, exec, s[6:7]
	s_and_saveexec_b64 s[6:7], s[4:5]
	s_cbranch_execnz .LBB22_59
	s_branch .LBB22_60
.LBB22_2109:
	s_movk_i32 s4, 0x80
	v_cmp_eq_u16_sdwa s[12:13], v11, s4 src0_sel:BYTE_3 src1_sel:DWORD
	s_mov_b64 s[4:5], -1
                                        ; implicit-def: $sgpr10
	s_and_saveexec_b64 s[8:9], s[12:13]
; %bb.2110:
	s_mov_b32 s10, 0x7f800001
	s_xor_b64 s[4:5], exec, -1
; %bb.2111:
	s_or_b64 exec, exec, s[8:9]
	s_and_b64 s[4:5], s[4:5], exec
	s_or_saveexec_b64 s[6:7], s[6:7]
	v_mov_b32_e32 v14, s10
	s_xor_b64 exec, exec, s[6:7]
	s_cbranch_execz .LBB22_62
.LBB22_2112:
	v_mov_b32_e32 v14, 0
	v_cmp_ne_u16_sdwa s[8:9], v11, v14 src0_sel:BYTE_3 src1_sel:DWORD
	s_andn2_b64 s[4:5], s[4:5], exec
	s_and_b64 s[8:9], s[8:9], exec
	s_or_b64 s[4:5], s[4:5], s[8:9]
	s_or_b64 exec, exec, s[6:7]
	s_and_saveexec_b64 s[6:7], s[4:5]
	s_cbranch_execnz .LBB22_63
	s_branch .LBB22_64
.LBB22_2113:
	s_movk_i32 s4, 0x80
	v_cmp_eq_u16_sdwa s[12:13], v16, s4 src0_sel:BYTE_0 src1_sel:DWORD
	s_mov_b64 s[4:5], -1
                                        ; implicit-def: $sgpr10
	s_and_saveexec_b64 s[8:9], s[12:13]
; %bb.2114:
	s_mov_b32 s10, 0x7f800001
	s_xor_b64 s[4:5], exec, -1
; %bb.2115:
	s_or_b64 exec, exec, s[8:9]
	s_and_b64 s[4:5], s[4:5], exec
	s_or_saveexec_b64 s[6:7], s[6:7]
	v_mov_b32_e32 v10, s10
	s_xor_b64 exec, exec, s[6:7]
	s_cbranch_execz .LBB22_66
.LBB22_2116:
	v_mov_b32_e32 v10, 0
	v_cmp_ne_u16_sdwa s[8:9], v16, v10 src0_sel:BYTE_0 src1_sel:DWORD
	s_andn2_b64 s[4:5], s[4:5], exec
	s_and_b64 s[8:9], s[8:9], exec
	s_or_b64 s[4:5], s[4:5], s[8:9]
	s_or_b64 exec, exec, s[6:7]
	s_and_saveexec_b64 s[6:7], s[4:5]
	s_cbranch_execnz .LBB22_67
	s_branch .LBB22_68
.LBB22_2117:
	s_movk_i32 s4, 0x80
	v_cmp_eq_u16_sdwa s[12:13], v12, s4 src0_sel:BYTE_0 src1_sel:DWORD
	s_mov_b64 s[4:5], -1
                                        ; implicit-def: $sgpr10
	s_and_saveexec_b64 s[8:9], s[12:13]
; %bb.2118:
	s_mov_b32 s10, 0x7f800001
	s_xor_b64 s[4:5], exec, -1
; %bb.2119:
	s_or_b64 exec, exec, s[8:9]
	s_and_b64 s[4:5], s[4:5], exec
	s_or_saveexec_b64 s[6:7], s[6:7]
	v_mov_b32_e32 v11, s10
	s_xor_b64 exec, exec, s[6:7]
	s_cbranch_execz .LBB22_70
.LBB22_2120:
	v_mov_b32_e32 v11, 0
	v_cmp_ne_u16_sdwa s[8:9], v12, v11 src0_sel:BYTE_0 src1_sel:DWORD
	s_andn2_b64 s[4:5], s[4:5], exec
	s_and_b64 s[8:9], s[8:9], exec
	s_or_b64 s[4:5], s[4:5], s[8:9]
	s_or_b64 exec, exec, s[6:7]
	s_and_saveexec_b64 s[6:7], s[4:5]
	s_cbranch_execnz .LBB22_71
	s_branch .LBB22_72
.LBB22_2121:
	s_movk_i32 s4, 0x80
	v_cmp_eq_u16_sdwa s[12:13], v11, s4 src0_sel:BYTE_0 src1_sel:DWORD
	s_mov_b64 s[4:5], -1
                                        ; implicit-def: $sgpr10
	s_and_saveexec_b64 s[8:9], s[12:13]
; %bb.2122:
	s_mov_b32 s10, 0x7f800001
	s_xor_b64 s[4:5], exec, -1
; %bb.2123:
	s_or_b64 exec, exec, s[8:9]
	s_and_b64 s[4:5], s[4:5], exec
	s_or_saveexec_b64 s[6:7], s[6:7]
	v_mov_b32_e32 v10, s10
	s_xor_b64 exec, exec, s[6:7]
	s_cbranch_execz .LBB22_74
.LBB22_2124:
	v_mov_b32_e32 v10, 0
	v_cmp_ne_u16_sdwa s[8:9], v11, v10 src0_sel:BYTE_0 src1_sel:DWORD
	s_andn2_b64 s[4:5], s[4:5], exec
	s_and_b64 s[8:9], s[8:9], exec
	s_or_b64 s[4:5], s[4:5], s[8:9]
	s_or_b64 exec, exec, s[6:7]
	s_and_saveexec_b64 s[6:7], s[4:5]
	s_cbranch_execnz .LBB22_75
	s_branch .LBB22_76
.LBB22_2125:
	s_movk_i32 s4, 0x80
	v_cmp_eq_u16_sdwa s[12:13], v11, s4 src0_sel:BYTE_0 src1_sel:DWORD
	s_mov_b64 s[4:5], -1
                                        ; implicit-def: $sgpr10
	s_and_saveexec_b64 s[8:9], s[12:13]
; %bb.2126:
	s_mov_b32 s10, 0x7f800001
	s_xor_b64 s[4:5], exec, -1
; %bb.2127:
	s_or_b64 exec, exec, s[8:9]
	s_and_b64 s[4:5], s[4:5], exec
	s_or_saveexec_b64 s[6:7], s[6:7]
	v_mov_b32_e32 v14, s10
	s_xor_b64 exec, exec, s[6:7]
	s_cbranch_execz .LBB22_78
.LBB22_2128:
	v_mov_b32_e32 v14, 0
	v_cmp_ne_u16_sdwa s[8:9], v11, v14 src0_sel:BYTE_0 src1_sel:DWORD
	s_andn2_b64 s[4:5], s[4:5], exec
	s_and_b64 s[8:9], s[8:9], exec
	s_or_b64 s[4:5], s[4:5], s[8:9]
	s_or_b64 exec, exec, s[6:7]
	s_and_saveexec_b64 s[6:7], s[4:5]
	s_cbranch_execnz .LBB22_79
	s_branch .LBB22_80
.LBB22_2129:
	s_movk_i32 s4, 0x80
	v_cmp_eq_u16_e32 vcc, s4, v11
	s_mov_b64 s[4:5], -1
                                        ; implicit-def: $sgpr10
	s_and_saveexec_b64 s[8:9], vcc
; %bb.2130:
	s_mov_b32 s10, 0x7f800001
	s_xor_b64 s[4:5], exec, -1
; %bb.2131:
	s_or_b64 exec, exec, s[8:9]
	s_and_b64 s[4:5], s[4:5], exec
                                        ; implicit-def: $vgpr11
	s_or_saveexec_b64 s[6:7], s[6:7]
	v_mov_b32_e32 v10, s10
	s_xor_b64 exec, exec, s[6:7]
	s_cbranch_execz .LBB22_82
.LBB22_2132:
	v_cmp_ne_u16_e32 vcc, 0, v11
	s_andn2_b64 s[4:5], s[4:5], exec
	s_and_b64 s[8:9], vcc, exec
	v_mov_b32_e32 v10, 0
	s_or_b64 s[4:5], s[4:5], s[8:9]
	s_or_b64 exec, exec, s[6:7]
	s_and_saveexec_b64 s[6:7], s[4:5]
	s_cbranch_execnz .LBB22_83
	s_branch .LBB22_84
.LBB22_2133:
	s_movk_i32 s4, 0x80
	v_cmp_eq_u16_e32 vcc, s4, v11
	s_mov_b64 s[4:5], -1
                                        ; implicit-def: $sgpr10
	s_and_saveexec_b64 s[8:9], vcc
; %bb.2134:
	s_mov_b32 s10, 0x7f800001
	s_xor_b64 s[4:5], exec, -1
; %bb.2135:
	s_or_b64 exec, exec, s[8:9]
	s_and_b64 s[4:5], s[4:5], exec
                                        ; implicit-def: $vgpr11
	s_or_saveexec_b64 s[6:7], s[6:7]
	v_mov_b32_e32 v14, s10
	s_xor_b64 exec, exec, s[6:7]
	s_cbranch_execz .LBB22_86
.LBB22_2136:
	v_cmp_ne_u16_e32 vcc, 0, v11
	s_andn2_b64 s[4:5], s[4:5], exec
	s_and_b64 s[8:9], vcc, exec
	v_mov_b32_e32 v14, 0
	s_or_b64 s[4:5], s[4:5], s[8:9]
	s_or_b64 exec, exec, s[6:7]
	s_and_saveexec_b64 s[6:7], s[4:5]
	s_cbranch_execnz .LBB22_87
	s_branch .LBB22_88
.LBB22_2137:
	s_movk_i32 s4, 0x80
	v_cmp_eq_u16_sdwa s[12:13], v16, s4 src0_sel:BYTE_3 src1_sel:DWORD
	s_mov_b64 s[4:5], -1
                                        ; implicit-def: $sgpr10
	s_and_saveexec_b64 s[8:9], s[12:13]
; %bb.2138:
	s_mov_b32 s10, 0x7f800001
	s_xor_b64 s[4:5], exec, -1
; %bb.2139:
	s_or_b64 exec, exec, s[8:9]
	s_and_b64 s[4:5], s[4:5], exec
	s_or_saveexec_b64 s[6:7], s[6:7]
	v_mov_b32_e32 v10, s10
	s_xor_b64 exec, exec, s[6:7]
	s_cbranch_execz .LBB22_90
.LBB22_2140:
	v_mov_b32_e32 v10, 0
	v_cmp_ne_u16_sdwa s[8:9], v16, v10 src0_sel:BYTE_3 src1_sel:DWORD
	s_andn2_b64 s[4:5], s[4:5], exec
	s_and_b64 s[8:9], s[8:9], exec
	s_or_b64 s[4:5], s[4:5], s[8:9]
	s_or_b64 exec, exec, s[6:7]
	s_and_saveexec_b64 s[6:7], s[4:5]
	s_cbranch_execnz .LBB22_91
	s_branch .LBB22_92
.LBB22_2141:
	s_movk_i32 s4, 0x80
	v_cmp_eq_u16_sdwa s[12:13], v12, s4 src0_sel:BYTE_3 src1_sel:DWORD
	s_mov_b64 s[4:5], -1
                                        ; implicit-def: $sgpr10
	s_and_saveexec_b64 s[8:9], s[12:13]
; %bb.2142:
	s_mov_b32 s10, 0x7f800001
	s_xor_b64 s[4:5], exec, -1
; %bb.2143:
	s_or_b64 exec, exec, s[8:9]
	s_and_b64 s[4:5], s[4:5], exec
	s_or_saveexec_b64 s[6:7], s[6:7]
	v_mov_b32_e32 v11, s10
	s_xor_b64 exec, exec, s[6:7]
	s_cbranch_execz .LBB22_94
.LBB22_2144:
	v_mov_b32_e32 v11, 0
	v_cmp_ne_u16_sdwa s[8:9], v12, v11 src0_sel:BYTE_3 src1_sel:DWORD
	s_andn2_b64 s[4:5], s[4:5], exec
	s_and_b64 s[8:9], s[8:9], exec
	s_or_b64 s[4:5], s[4:5], s[8:9]
	s_or_b64 exec, exec, s[6:7]
	s_and_saveexec_b64 s[6:7], s[4:5]
	s_cbranch_execnz .LBB22_95
	s_branch .LBB22_96
.LBB22_2145:
	s_movk_i32 s4, 0x80
	v_cmp_eq_u16_sdwa s[12:13], v17, s4 src0_sel:BYTE_0 src1_sel:DWORD
	s_mov_b64 s[4:5], -1
                                        ; implicit-def: $sgpr10
	s_and_saveexec_b64 s[8:9], s[12:13]
; %bb.2146:
	s_mov_b32 s10, 0x7f800001
	s_xor_b64 s[4:5], exec, -1
; %bb.2147:
	s_or_b64 exec, exec, s[8:9]
	s_and_b64 s[4:5], s[4:5], exec
	s_or_saveexec_b64 s[6:7], s[6:7]
	v_mov_b32_e32 v10, s10
	s_xor_b64 exec, exec, s[6:7]
	s_cbranch_execz .LBB22_98
.LBB22_2148:
	v_mov_b32_e32 v10, 0
	v_cmp_ne_u16_sdwa s[8:9], v17, v10 src0_sel:BYTE_0 src1_sel:DWORD
	s_andn2_b64 s[4:5], s[4:5], exec
	s_and_b64 s[8:9], s[8:9], exec
	s_or_b64 s[4:5], s[4:5], s[8:9]
	s_or_b64 exec, exec, s[6:7]
	s_and_saveexec_b64 s[6:7], s[4:5]
	s_cbranch_execnz .LBB22_99
	s_branch .LBB22_100
.LBB22_2149:
	s_movk_i32 s4, 0x80
	v_cmp_eq_u16_sdwa s[12:13], v13, s4 src0_sel:BYTE_0 src1_sel:DWORD
	s_mov_b64 s[4:5], -1
                                        ; implicit-def: $sgpr10
	s_and_saveexec_b64 s[8:9], s[12:13]
; %bb.2150:
	s_mov_b32 s10, 0x7f800001
	s_xor_b64 s[4:5], exec, -1
; %bb.2151:
	s_or_b64 exec, exec, s[8:9]
	s_and_b64 s[4:5], s[4:5], exec
	s_or_saveexec_b64 s[6:7], s[6:7]
	v_mov_b32_e32 v11, s10
	s_xor_b64 exec, exec, s[6:7]
	s_cbranch_execz .LBB22_102
.LBB22_2152:
	v_mov_b32_e32 v11, 0
	v_cmp_ne_u16_sdwa s[8:9], v13, v11 src0_sel:BYTE_0 src1_sel:DWORD
	s_andn2_b64 s[4:5], s[4:5], exec
	s_and_b64 s[8:9], s[8:9], exec
	s_or_b64 s[4:5], s[4:5], s[8:9]
	s_or_b64 exec, exec, s[6:7]
	s_and_saveexec_b64 s[6:7], s[4:5]
	s_cbranch_execnz .LBB22_103
	s_branch .LBB22_104
.LBB22_2153:
	s_movk_i32 s4, 0x80
	v_cmp_eq_u16_sdwa s[12:13], v11, s4 src0_sel:BYTE_0 src1_sel:DWORD
	s_mov_b64 s[4:5], -1
                                        ; implicit-def: $sgpr10
	s_and_saveexec_b64 s[8:9], s[12:13]
; %bb.2154:
	s_mov_b32 s10, 0x7f800001
	s_xor_b64 s[4:5], exec, -1
; %bb.2155:
	s_or_b64 exec, exec, s[8:9]
	s_and_b64 s[4:5], s[4:5], exec
	s_or_saveexec_b64 s[6:7], s[6:7]
	v_mov_b32_e32 v10, s10
	s_xor_b64 exec, exec, s[6:7]
	s_cbranch_execz .LBB22_106
.LBB22_2156:
	v_mov_b32_e32 v10, 0
	v_cmp_ne_u16_sdwa s[8:9], v11, v10 src0_sel:BYTE_0 src1_sel:DWORD
	s_andn2_b64 s[4:5], s[4:5], exec
	s_and_b64 s[8:9], s[8:9], exec
	s_or_b64 s[4:5], s[4:5], s[8:9]
	s_or_b64 exec, exec, s[6:7]
	s_and_saveexec_b64 s[6:7], s[4:5]
	s_cbranch_execnz .LBB22_107
	s_branch .LBB22_108
.LBB22_2157:
	s_movk_i32 s4, 0x80
	v_cmp_eq_u16_sdwa s[12:13], v11, s4 src0_sel:BYTE_0 src1_sel:DWORD
	s_mov_b64 s[4:5], -1
                                        ; implicit-def: $sgpr10
	s_and_saveexec_b64 s[8:9], s[12:13]
; %bb.2158:
	s_mov_b32 s10, 0x7f800001
	s_xor_b64 s[4:5], exec, -1
; %bb.2159:
	s_or_b64 exec, exec, s[8:9]
	s_and_b64 s[4:5], s[4:5], exec
	s_or_saveexec_b64 s[6:7], s[6:7]
	v_mov_b32_e32 v12, s10
	s_xor_b64 exec, exec, s[6:7]
	s_cbranch_execz .LBB22_110
.LBB22_2160:
	v_mov_b32_e32 v12, 0
	v_cmp_ne_u16_sdwa s[8:9], v11, v12 src0_sel:BYTE_0 src1_sel:DWORD
	s_andn2_b64 s[4:5], s[4:5], exec
	s_and_b64 s[8:9], s[8:9], exec
	s_or_b64 s[4:5], s[4:5], s[8:9]
	s_or_b64 exec, exec, s[6:7]
	s_and_saveexec_b64 s[6:7], s[4:5]
	s_cbranch_execnz .LBB22_111
	s_branch .LBB22_112
.LBB22_2161:
	s_movk_i32 s4, 0x80
	v_cmp_eq_u16_e32 vcc, s4, v11
	s_mov_b64 s[4:5], -1
                                        ; implicit-def: $sgpr10
	s_and_saveexec_b64 s[8:9], vcc
; %bb.2162:
	s_mov_b32 s10, 0x7f800001
	s_xor_b64 s[4:5], exec, -1
; %bb.2163:
	s_or_b64 exec, exec, s[8:9]
	s_and_b64 s[4:5], s[4:5], exec
                                        ; implicit-def: $vgpr11
	s_or_saveexec_b64 s[6:7], s[6:7]
	v_mov_b32_e32 v10, s10
	s_xor_b64 exec, exec, s[6:7]
	s_cbranch_execz .LBB22_114
.LBB22_2164:
	v_cmp_ne_u16_e32 vcc, 0, v11
	s_andn2_b64 s[4:5], s[4:5], exec
	s_and_b64 s[8:9], vcc, exec
	v_mov_b32_e32 v10, 0
	s_or_b64 s[4:5], s[4:5], s[8:9]
	s_or_b64 exec, exec, s[6:7]
	s_and_saveexec_b64 s[6:7], s[4:5]
	s_cbranch_execnz .LBB22_115
	s_branch .LBB22_116
.LBB22_2165:
	s_movk_i32 s4, 0x80
	v_cmp_eq_u16_e32 vcc, s4, v11
	s_mov_b64 s[4:5], -1
                                        ; implicit-def: $sgpr10
	s_and_saveexec_b64 s[8:9], vcc
; %bb.2166:
	s_mov_b32 s10, 0x7f800001
	s_xor_b64 s[4:5], exec, -1
; %bb.2167:
	s_or_b64 exec, exec, s[8:9]
	s_and_b64 s[4:5], s[4:5], exec
                                        ; implicit-def: $vgpr11
	s_or_saveexec_b64 s[6:7], s[6:7]
	v_mov_b32_e32 v12, s10
	s_xor_b64 exec, exec, s[6:7]
	s_cbranch_execz .LBB22_118
.LBB22_2168:
	v_cmp_ne_u16_e32 vcc, 0, v11
	s_andn2_b64 s[4:5], s[4:5], exec
	s_and_b64 s[8:9], vcc, exec
	v_mov_b32_e32 v12, 0
	s_or_b64 s[4:5], s[4:5], s[8:9]
	s_or_b64 exec, exec, s[6:7]
	s_and_saveexec_b64 s[6:7], s[4:5]
	s_cbranch_execnz .LBB22_119
	s_branch .LBB22_120
.LBB22_2169:
	s_movk_i32 s4, 0x80
	v_cmp_eq_u16_sdwa s[12:13], v17, s4 src0_sel:BYTE_3 src1_sel:DWORD
	s_mov_b64 s[4:5], -1
                                        ; implicit-def: $sgpr10
	s_and_saveexec_b64 s[8:9], s[12:13]
; %bb.2170:
	s_mov_b32 s10, 0x7f800001
	s_xor_b64 s[4:5], exec, -1
; %bb.2171:
	s_or_b64 exec, exec, s[8:9]
	s_and_b64 s[4:5], s[4:5], exec
	s_or_saveexec_b64 s[6:7], s[6:7]
	v_mov_b32_e32 v10, s10
	s_xor_b64 exec, exec, s[6:7]
	s_cbranch_execz .LBB22_122
.LBB22_2172:
	v_mov_b32_e32 v10, 0
	v_cmp_ne_u16_sdwa s[8:9], v17, v10 src0_sel:BYTE_3 src1_sel:DWORD
	s_andn2_b64 s[4:5], s[4:5], exec
	s_and_b64 s[8:9], s[8:9], exec
	s_or_b64 s[4:5], s[4:5], s[8:9]
	s_or_b64 exec, exec, s[6:7]
	s_and_saveexec_b64 s[6:7], s[4:5]
	s_cbranch_execnz .LBB22_123
	s_branch .LBB22_124
.LBB22_2173:
	s_movk_i32 s4, 0x80
	v_cmp_eq_u16_sdwa s[12:13], v13, s4 src0_sel:BYTE_3 src1_sel:DWORD
	s_mov_b64 s[4:5], -1
                                        ; implicit-def: $sgpr10
	s_and_saveexec_b64 s[8:9], s[12:13]
; %bb.2174:
	s_mov_b32 s10, 0x7f800001
	s_xor_b64 s[4:5], exec, -1
; %bb.2175:
	s_or_b64 exec, exec, s[8:9]
	s_and_b64 s[4:5], s[4:5], exec
	s_or_saveexec_b64 s[6:7], s[6:7]
	v_mov_b32_e32 v11, s10
	s_xor_b64 exec, exec, s[6:7]
	s_cbranch_execz .LBB22_126
.LBB22_2176:
	v_mov_b32_e32 v11, 0
	v_cmp_ne_u16_sdwa s[8:9], v13, v11 src0_sel:BYTE_3 src1_sel:DWORD
	s_andn2_b64 s[4:5], s[4:5], exec
	s_and_b64 s[8:9], s[8:9], exec
	s_or_b64 s[4:5], s[4:5], s[8:9]
	s_or_b64 exec, exec, s[6:7]
	s_and_saveexec_b64 s[6:7], s[4:5]
	s_cbranch_execnz .LBB22_127
	s_branch .LBB22_128
.LBB22_2177:
	s_movk_i32 s4, 0x80
	v_cmp_eq_u16_sdwa s[12:13], v6, s4 src0_sel:BYTE_0 src1_sel:DWORD
	s_mov_b64 s[4:5], -1
                                        ; implicit-def: $sgpr10
	s_and_saveexec_b64 s[8:9], s[12:13]
; %bb.2178:
	s_mov_b32 s10, 0x7f800001
	s_xor_b64 s[4:5], exec, -1
; %bb.2179:
	s_or_b64 exec, exec, s[8:9]
	s_and_b64 s[4:5], s[4:5], exec
	s_or_saveexec_b64 s[6:7], s[6:7]
	v_mov_b32_e32 v10, s10
	s_xor_b64 exec, exec, s[6:7]
	s_cbranch_execz .LBB22_130
.LBB22_2180:
	v_mov_b32_e32 v10, 0
	v_cmp_ne_u16_sdwa s[8:9], v6, v10 src0_sel:BYTE_0 src1_sel:DWORD
	s_andn2_b64 s[4:5], s[4:5], exec
	s_and_b64 s[8:9], s[8:9], exec
	s_or_b64 s[4:5], s[4:5], s[8:9]
	s_or_b64 exec, exec, s[6:7]
	s_and_saveexec_b64 s[6:7], s[4:5]
	s_cbranch_execnz .LBB22_131
	s_branch .LBB22_132
.LBB22_2181:
	s_movk_i32 s4, 0x80
	v_cmp_eq_u16_sdwa s[12:13], v2, s4 src0_sel:BYTE_0 src1_sel:DWORD
	s_mov_b64 s[4:5], -1
                                        ; implicit-def: $sgpr10
	s_and_saveexec_b64 s[8:9], s[12:13]
; %bb.2182:
	s_mov_b32 s10, 0x7f800001
	s_xor_b64 s[4:5], exec, -1
; %bb.2183:
	s_or_b64 exec, exec, s[8:9]
	s_and_b64 s[4:5], s[4:5], exec
	s_or_saveexec_b64 s[6:7], s[6:7]
	v_mov_b32_e32 v11, s10
	s_xor_b64 exec, exec, s[6:7]
	s_cbranch_execz .LBB22_134
.LBB22_2184:
	v_mov_b32_e32 v11, 0
	v_cmp_ne_u16_sdwa s[8:9], v2, v11 src0_sel:BYTE_0 src1_sel:DWORD
	s_andn2_b64 s[4:5], s[4:5], exec
	s_and_b64 s[8:9], s[8:9], exec
	s_or_b64 s[4:5], s[4:5], s[8:9]
	s_or_b64 exec, exec, s[6:7]
	s_and_saveexec_b64 s[6:7], s[4:5]
	s_cbranch_execnz .LBB22_135
	s_branch .LBB22_136
.LBB22_2185:
	s_movk_i32 s4, 0x80
	v_cmp_eq_u16_sdwa s[12:13], v11, s4 src0_sel:BYTE_0 src1_sel:DWORD
	s_mov_b64 s[4:5], -1
                                        ; implicit-def: $sgpr10
	s_and_saveexec_b64 s[8:9], s[12:13]
; %bb.2186:
	s_mov_b32 s10, 0x7f800001
	s_xor_b64 s[4:5], exec, -1
; %bb.2187:
	s_or_b64 exec, exec, s[8:9]
	s_and_b64 s[4:5], s[4:5], exec
	s_or_saveexec_b64 s[6:7], s[6:7]
	v_mov_b32_e32 v10, s10
	s_xor_b64 exec, exec, s[6:7]
	s_cbranch_execz .LBB22_138
.LBB22_2188:
	v_mov_b32_e32 v10, 0
	v_cmp_ne_u16_sdwa s[8:9], v11, v10 src0_sel:BYTE_0 src1_sel:DWORD
	s_andn2_b64 s[4:5], s[4:5], exec
	s_and_b64 s[8:9], s[8:9], exec
	s_or_b64 s[4:5], s[4:5], s[8:9]
	s_or_b64 exec, exec, s[6:7]
	s_and_saveexec_b64 s[6:7], s[4:5]
	s_cbranch_execnz .LBB22_139
	s_branch .LBB22_140
.LBB22_2189:
	s_movk_i32 s4, 0x80
	v_cmp_eq_u16_sdwa s[12:13], v11, s4 src0_sel:BYTE_0 src1_sel:DWORD
	s_mov_b64 s[4:5], -1
                                        ; implicit-def: $sgpr10
	s_and_saveexec_b64 s[8:9], s[12:13]
; %bb.2190:
	s_mov_b32 s10, 0x7f800001
	s_xor_b64 s[4:5], exec, -1
; %bb.2191:
	s_or_b64 exec, exec, s[8:9]
	s_and_b64 s[4:5], s[4:5], exec
	s_or_saveexec_b64 s[6:7], s[6:7]
	v_mov_b32_e32 v12, s10
	s_xor_b64 exec, exec, s[6:7]
	s_cbranch_execz .LBB22_142
.LBB22_2192:
	v_mov_b32_e32 v12, 0
	v_cmp_ne_u16_sdwa s[8:9], v11, v12 src0_sel:BYTE_0 src1_sel:DWORD
	s_andn2_b64 s[4:5], s[4:5], exec
	s_and_b64 s[8:9], s[8:9], exec
	s_or_b64 s[4:5], s[4:5], s[8:9]
	s_or_b64 exec, exec, s[6:7]
	s_and_saveexec_b64 s[6:7], s[4:5]
	s_cbranch_execnz .LBB22_143
	s_branch .LBB22_144
.LBB22_2193:
	s_movk_i32 s4, 0x80
	v_cmp_eq_u16_e32 vcc, s4, v11
	s_mov_b64 s[4:5], -1
                                        ; implicit-def: $sgpr10
	s_and_saveexec_b64 s[8:9], vcc
; %bb.2194:
	s_mov_b32 s10, 0x7f800001
	s_xor_b64 s[4:5], exec, -1
; %bb.2195:
	s_or_b64 exec, exec, s[8:9]
	s_and_b64 s[4:5], s[4:5], exec
                                        ; implicit-def: $vgpr11
	s_or_saveexec_b64 s[6:7], s[6:7]
	v_mov_b32_e32 v10, s10
	s_xor_b64 exec, exec, s[6:7]
	s_cbranch_execz .LBB22_146
.LBB22_2196:
	v_cmp_ne_u16_e32 vcc, 0, v11
	s_andn2_b64 s[4:5], s[4:5], exec
	s_and_b64 s[8:9], vcc, exec
	v_mov_b32_e32 v10, 0
	s_or_b64 s[4:5], s[4:5], s[8:9]
	s_or_b64 exec, exec, s[6:7]
	s_and_saveexec_b64 s[6:7], s[4:5]
	s_cbranch_execnz .LBB22_147
	s_branch .LBB22_148
.LBB22_2197:
	s_movk_i32 s4, 0x80
	v_cmp_eq_u16_e32 vcc, s4, v11
	s_mov_b64 s[4:5], -1
                                        ; implicit-def: $sgpr10
	s_and_saveexec_b64 s[8:9], vcc
; %bb.2198:
	s_mov_b32 s10, 0x7f800001
	s_xor_b64 s[4:5], exec, -1
; %bb.2199:
	s_or_b64 exec, exec, s[8:9]
	s_and_b64 s[4:5], s[4:5], exec
                                        ; implicit-def: $vgpr11
	s_or_saveexec_b64 s[6:7], s[6:7]
	v_mov_b32_e32 v12, s10
	s_xor_b64 exec, exec, s[6:7]
	s_cbranch_execz .LBB22_150
.LBB22_2200:
	v_cmp_ne_u16_e32 vcc, 0, v11
	s_andn2_b64 s[4:5], s[4:5], exec
	s_and_b64 s[8:9], vcc, exec
	v_mov_b32_e32 v12, 0
	s_or_b64 s[4:5], s[4:5], s[8:9]
	s_or_b64 exec, exec, s[6:7]
	s_and_saveexec_b64 s[6:7], s[4:5]
	s_cbranch_execnz .LBB22_151
	s_branch .LBB22_152
.LBB22_2201:
	s_movk_i32 s4, 0x80
	v_cmp_eq_u16_sdwa s[12:13], v6, s4 src0_sel:BYTE_3 src1_sel:DWORD
	s_mov_b64 s[4:5], -1
                                        ; implicit-def: $sgpr10
	s_and_saveexec_b64 s[8:9], s[12:13]
; %bb.2202:
	s_mov_b32 s10, 0x7f800001
	s_xor_b64 s[4:5], exec, -1
; %bb.2203:
	s_or_b64 exec, exec, s[8:9]
	s_and_b64 s[4:5], s[4:5], exec
	s_or_saveexec_b64 s[6:7], s[6:7]
	v_mov_b32_e32 v10, s10
	s_xor_b64 exec, exec, s[6:7]
	s_cbranch_execz .LBB22_154
.LBB22_2204:
	v_mov_b32_e32 v10, 0
	v_cmp_ne_u16_sdwa s[8:9], v6, v10 src0_sel:BYTE_3 src1_sel:DWORD
	s_andn2_b64 s[4:5], s[4:5], exec
	s_and_b64 s[8:9], s[8:9], exec
	s_or_b64 s[4:5], s[4:5], s[8:9]
	s_or_b64 exec, exec, s[6:7]
	s_and_saveexec_b64 s[6:7], s[4:5]
	s_cbranch_execnz .LBB22_155
	s_branch .LBB22_156
.LBB22_2205:
	s_movk_i32 s4, 0x80
	v_cmp_eq_u16_sdwa s[12:13], v2, s4 src0_sel:BYTE_3 src1_sel:DWORD
	s_mov_b64 s[4:5], -1
                                        ; implicit-def: $sgpr10
	s_and_saveexec_b64 s[8:9], s[12:13]
; %bb.2206:
	s_mov_b32 s10, 0x7f800001
	s_xor_b64 s[4:5], exec, -1
; %bb.2207:
	s_or_b64 exec, exec, s[8:9]
	s_and_b64 s[4:5], s[4:5], exec
	s_or_saveexec_b64 s[6:7], s[6:7]
	v_mov_b32_e32 v6, s10
	s_xor_b64 exec, exec, s[6:7]
	s_cbranch_execz .LBB22_158
.LBB22_2208:
	v_mov_b32_e32 v6, 0
	v_cmp_ne_u16_sdwa s[8:9], v2, v6 src0_sel:BYTE_3 src1_sel:DWORD
	s_andn2_b64 s[4:5], s[4:5], exec
	s_and_b64 s[8:9], s[8:9], exec
	s_or_b64 s[4:5], s[4:5], s[8:9]
	s_or_b64 exec, exec, s[6:7]
	s_and_saveexec_b64 s[6:7], s[4:5]
	s_cbranch_execnz .LBB22_159
	s_branch .LBB22_160
.LBB22_2209:
	s_movk_i32 s4, 0x80
	v_cmp_eq_u16_sdwa s[12:13], v7, s4 src0_sel:BYTE_0 src1_sel:DWORD
	s_mov_b64 s[4:5], -1
                                        ; implicit-def: $sgpr10
	s_and_saveexec_b64 s[8:9], s[12:13]
; %bb.2210:
	s_mov_b32 s10, 0x7f800001
	s_xor_b64 s[4:5], exec, -1
; %bb.2211:
	s_or_b64 exec, exec, s[8:9]
	s_and_b64 s[4:5], s[4:5], exec
	s_or_saveexec_b64 s[6:7], s[6:7]
	v_mov_b32_e32 v2, s10
	s_xor_b64 exec, exec, s[6:7]
	s_cbranch_execz .LBB22_162
.LBB22_2212:
	v_mov_b32_e32 v2, 0
	v_cmp_ne_u16_sdwa s[8:9], v7, v2 src0_sel:BYTE_0 src1_sel:DWORD
	s_andn2_b64 s[4:5], s[4:5], exec
	s_and_b64 s[8:9], s[8:9], exec
	s_or_b64 s[4:5], s[4:5], s[8:9]
	s_or_b64 exec, exec, s[6:7]
	s_and_saveexec_b64 s[6:7], s[4:5]
	s_cbranch_execnz .LBB22_163
	s_branch .LBB22_164
.LBB22_2213:
	s_movk_i32 s4, 0x80
	v_cmp_eq_u16_sdwa s[12:13], v3, s4 src0_sel:BYTE_0 src1_sel:DWORD
	s_mov_b64 s[4:5], -1
                                        ; implicit-def: $sgpr10
	s_and_saveexec_b64 s[8:9], s[12:13]
; %bb.2214:
	s_mov_b32 s10, 0x7f800001
	s_xor_b64 s[4:5], exec, -1
; %bb.2215:
	s_or_b64 exec, exec, s[8:9]
	s_and_b64 s[4:5], s[4:5], exec
	s_or_saveexec_b64 s[6:7], s[6:7]
	v_mov_b32_e32 v6, s10
	s_xor_b64 exec, exec, s[6:7]
	s_cbranch_execz .LBB22_166
.LBB22_2216:
	v_mov_b32_e32 v6, 0
	v_cmp_ne_u16_sdwa s[8:9], v3, v6 src0_sel:BYTE_0 src1_sel:DWORD
	s_andn2_b64 s[4:5], s[4:5], exec
	s_and_b64 s[8:9], s[8:9], exec
	s_or_b64 s[4:5], s[4:5], s[8:9]
	s_or_b64 exec, exec, s[6:7]
	s_and_saveexec_b64 s[6:7], s[4:5]
	s_cbranch_execnz .LBB22_167
	s_branch .LBB22_168
.LBB22_2217:
	s_movk_i32 s4, 0x80
	v_cmp_eq_u16_sdwa s[12:13], v6, s4 src0_sel:BYTE_0 src1_sel:DWORD
	s_mov_b64 s[4:5], -1
                                        ; implicit-def: $sgpr10
	s_and_saveexec_b64 s[8:9], s[12:13]
; %bb.2218:
	s_mov_b32 s10, 0x7f800001
	s_xor_b64 s[4:5], exec, -1
; %bb.2219:
	s_or_b64 exec, exec, s[8:9]
	s_and_b64 s[4:5], s[4:5], exec
	s_or_saveexec_b64 s[6:7], s[6:7]
	v_mov_b32_e32 v2, s10
	s_xor_b64 exec, exec, s[6:7]
	s_cbranch_execz .LBB22_170
.LBB22_2220:
	v_mov_b32_e32 v2, 0
	v_cmp_ne_u16_sdwa s[8:9], v6, v2 src0_sel:BYTE_0 src1_sel:DWORD
	s_andn2_b64 s[4:5], s[4:5], exec
	s_and_b64 s[8:9], s[8:9], exec
	s_or_b64 s[4:5], s[4:5], s[8:9]
	s_or_b64 exec, exec, s[6:7]
	s_and_saveexec_b64 s[6:7], s[4:5]
	s_cbranch_execnz .LBB22_171
	s_branch .LBB22_172
.LBB22_2221:
	s_movk_i32 s4, 0x80
	v_cmp_eq_u16_sdwa s[12:13], v6, s4 src0_sel:BYTE_0 src1_sel:DWORD
	s_mov_b64 s[4:5], -1
                                        ; implicit-def: $sgpr10
	s_and_saveexec_b64 s[8:9], s[12:13]
; %bb.2222:
	s_mov_b32 s10, 0x7f800001
	s_xor_b64 s[4:5], exec, -1
; %bb.2223:
	s_or_b64 exec, exec, s[8:9]
	s_and_b64 s[4:5], s[4:5], exec
	s_or_saveexec_b64 s[6:7], s[6:7]
	v_mov_b32_e32 v10, s10
	s_xor_b64 exec, exec, s[6:7]
	s_cbranch_execz .LBB22_174
.LBB22_2224:
	v_mov_b32_e32 v10, 0
	v_cmp_ne_u16_sdwa s[8:9], v6, v10 src0_sel:BYTE_0 src1_sel:DWORD
	s_andn2_b64 s[4:5], s[4:5], exec
	s_and_b64 s[8:9], s[8:9], exec
	s_or_b64 s[4:5], s[4:5], s[8:9]
	s_or_b64 exec, exec, s[6:7]
	s_and_saveexec_b64 s[6:7], s[4:5]
	s_cbranch_execnz .LBB22_175
	s_branch .LBB22_176
.LBB22_2225:
	s_movk_i32 s4, 0x80
	v_cmp_eq_u16_e32 vcc, s4, v6
	s_mov_b64 s[4:5], -1
                                        ; implicit-def: $sgpr10
	s_and_saveexec_b64 s[8:9], vcc
; %bb.2226:
	s_mov_b32 s10, 0x7f800001
	s_xor_b64 s[4:5], exec, -1
; %bb.2227:
	s_or_b64 exec, exec, s[8:9]
	s_and_b64 s[4:5], s[4:5], exec
                                        ; implicit-def: $vgpr6
	s_or_saveexec_b64 s[6:7], s[6:7]
	v_mov_b32_e32 v2, s10
	s_xor_b64 exec, exec, s[6:7]
	s_cbranch_execz .LBB22_178
.LBB22_2228:
	v_cmp_ne_u16_e32 vcc, 0, v6
	s_andn2_b64 s[4:5], s[4:5], exec
	s_and_b64 s[8:9], vcc, exec
	v_mov_b32_e32 v2, 0
	s_or_b64 s[4:5], s[4:5], s[8:9]
	s_or_b64 exec, exec, s[6:7]
	s_and_saveexec_b64 s[6:7], s[4:5]
	s_cbranch_execnz .LBB22_179
	s_branch .LBB22_180
.LBB22_2229:
	s_movk_i32 s4, 0x80
	v_cmp_eq_u16_e32 vcc, s4, v6
	s_mov_b64 s[4:5], -1
                                        ; implicit-def: $sgpr10
	s_and_saveexec_b64 s[8:9], vcc
; %bb.2230:
	s_mov_b32 s10, 0x7f800001
	s_xor_b64 s[4:5], exec, -1
; %bb.2231:
	s_or_b64 exec, exec, s[8:9]
	s_and_b64 s[4:5], s[4:5], exec
                                        ; implicit-def: $vgpr6
	s_or_saveexec_b64 s[6:7], s[6:7]
	v_mov_b32_e32 v10, s10
	s_xor_b64 exec, exec, s[6:7]
	s_cbranch_execz .LBB22_182
.LBB22_2232:
	v_cmp_ne_u16_e32 vcc, 0, v6
	s_andn2_b64 s[4:5], s[4:5], exec
	s_and_b64 s[8:9], vcc, exec
	v_mov_b32_e32 v10, 0
	s_or_b64 s[4:5], s[4:5], s[8:9]
	s_or_b64 exec, exec, s[6:7]
	s_and_saveexec_b64 s[6:7], s[4:5]
	s_cbranch_execnz .LBB22_183
	s_branch .LBB22_184
.LBB22_2233:
	s_movk_i32 s4, 0x80
	v_cmp_eq_u16_sdwa s[12:13], v7, s4 src0_sel:BYTE_3 src1_sel:DWORD
	s_mov_b64 s[4:5], -1
                                        ; implicit-def: $sgpr10
	s_and_saveexec_b64 s[8:9], s[12:13]
; %bb.2234:
	s_mov_b32 s10, 0x7f800001
	s_xor_b64 s[4:5], exec, -1
; %bb.2235:
	s_or_b64 exec, exec, s[8:9]
	s_and_b64 s[4:5], s[4:5], exec
	s_or_saveexec_b64 s[6:7], s[6:7]
	v_mov_b32_e32 v2, s10
	s_xor_b64 exec, exec, s[6:7]
	s_cbranch_execz .LBB22_186
.LBB22_2236:
	v_mov_b32_e32 v2, 0
	v_cmp_ne_u16_sdwa s[8:9], v7, v2 src0_sel:BYTE_3 src1_sel:DWORD
	s_andn2_b64 s[4:5], s[4:5], exec
	s_and_b64 s[8:9], s[8:9], exec
	s_or_b64 s[4:5], s[4:5], s[8:9]
	s_or_b64 exec, exec, s[6:7]
	s_and_saveexec_b64 s[6:7], s[4:5]
	s_cbranch_execnz .LBB22_187
	s_branch .LBB22_188
.LBB22_2237:
	s_movk_i32 s4, 0x80
	v_cmp_eq_u16_sdwa s[12:13], v3, s4 src0_sel:BYTE_3 src1_sel:DWORD
	s_mov_b64 s[4:5], -1
                                        ; implicit-def: $sgpr10
	s_and_saveexec_b64 s[8:9], s[12:13]
; %bb.2238:
	s_mov_b32 s10, 0x7f800001
	s_xor_b64 s[4:5], exec, -1
; %bb.2239:
	s_or_b64 exec, exec, s[8:9]
	s_and_b64 s[4:5], s[4:5], exec
	s_or_saveexec_b64 s[6:7], s[6:7]
	v_mov_b32_e32 v6, s10
	s_xor_b64 exec, exec, s[6:7]
	s_cbranch_execz .LBB22_190
.LBB22_2240:
	v_mov_b32_e32 v6, 0
	v_cmp_ne_u16_sdwa s[8:9], v3, v6 src0_sel:BYTE_3 src1_sel:DWORD
	s_andn2_b64 s[4:5], s[4:5], exec
	s_and_b64 s[8:9], s[8:9], exec
	s_or_b64 s[4:5], s[4:5], s[8:9]
	s_or_b64 exec, exec, s[6:7]
	s_and_saveexec_b64 s[6:7], s[4:5]
	s_cbranch_execnz .LBB22_191
	s_branch .LBB22_192
.LBB22_2241:
	s_movk_i32 s4, 0x80
	v_cmp_eq_u16_sdwa s[12:13], v8, s4 src0_sel:BYTE_0 src1_sel:DWORD
	s_mov_b64 s[4:5], -1
                                        ; implicit-def: $sgpr10
	s_and_saveexec_b64 s[8:9], s[12:13]
; %bb.2242:
	s_mov_b32 s10, 0x7f800001
	s_xor_b64 s[4:5], exec, -1
; %bb.2243:
	s_or_b64 exec, exec, s[8:9]
	s_and_b64 s[4:5], s[4:5], exec
	s_or_saveexec_b64 s[6:7], s[6:7]
	v_mov_b32_e32 v2, s10
	s_xor_b64 exec, exec, s[6:7]
	s_cbranch_execz .LBB22_194
.LBB22_2244:
	v_mov_b32_e32 v2, 0
	v_cmp_ne_u16_sdwa s[8:9], v8, v2 src0_sel:BYTE_0 src1_sel:DWORD
	s_andn2_b64 s[4:5], s[4:5], exec
	s_and_b64 s[8:9], s[8:9], exec
	s_or_b64 s[4:5], s[4:5], s[8:9]
	s_or_b64 exec, exec, s[6:7]
	s_and_saveexec_b64 s[6:7], s[4:5]
	s_cbranch_execnz .LBB22_195
	s_branch .LBB22_196
.LBB22_2245:
	s_movk_i32 s4, 0x80
	v_cmp_eq_u16_sdwa s[12:13], v4, s4 src0_sel:BYTE_0 src1_sel:DWORD
	s_mov_b64 s[4:5], -1
                                        ; implicit-def: $sgpr10
	s_and_saveexec_b64 s[8:9], s[12:13]
; %bb.2246:
	s_mov_b32 s10, 0x7f800001
	s_xor_b64 s[4:5], exec, -1
; %bb.2247:
	s_or_b64 exec, exec, s[8:9]
	s_and_b64 s[4:5], s[4:5], exec
	s_or_saveexec_b64 s[6:7], s[6:7]
	v_mov_b32_e32 v3, s10
	s_xor_b64 exec, exec, s[6:7]
	s_cbranch_execz .LBB22_198
.LBB22_2248:
	v_mov_b32_e32 v3, 0
	v_cmp_ne_u16_sdwa s[8:9], v4, v3 src0_sel:BYTE_0 src1_sel:DWORD
	s_andn2_b64 s[4:5], s[4:5], exec
	s_and_b64 s[8:9], s[8:9], exec
	s_or_b64 s[4:5], s[4:5], s[8:9]
	s_or_b64 exec, exec, s[6:7]
	s_and_saveexec_b64 s[6:7], s[4:5]
	s_cbranch_execnz .LBB22_199
	s_branch .LBB22_200
.LBB22_2249:
	s_movk_i32 s4, 0x80
	v_cmp_eq_u16_sdwa s[12:13], v3, s4 src0_sel:BYTE_0 src1_sel:DWORD
	s_mov_b64 s[4:5], -1
                                        ; implicit-def: $sgpr10
	s_and_saveexec_b64 s[8:9], s[12:13]
; %bb.2250:
	s_mov_b32 s10, 0x7f800001
	s_xor_b64 s[4:5], exec, -1
; %bb.2251:
	s_or_b64 exec, exec, s[8:9]
	s_and_b64 s[4:5], s[4:5], exec
	s_or_saveexec_b64 s[6:7], s[6:7]
	v_mov_b32_e32 v2, s10
	s_xor_b64 exec, exec, s[6:7]
	s_cbranch_execz .LBB22_202
.LBB22_2252:
	v_mov_b32_e32 v2, 0
	v_cmp_ne_u16_sdwa s[8:9], v3, v2 src0_sel:BYTE_0 src1_sel:DWORD
	s_andn2_b64 s[4:5], s[4:5], exec
	s_and_b64 s[8:9], s[8:9], exec
	s_or_b64 s[4:5], s[4:5], s[8:9]
	s_or_b64 exec, exec, s[6:7]
	s_and_saveexec_b64 s[6:7], s[4:5]
	s_cbranch_execnz .LBB22_203
	s_branch .LBB22_204
.LBB22_2253:
	s_movk_i32 s4, 0x80
	v_cmp_eq_u16_sdwa s[12:13], v3, s4 src0_sel:BYTE_0 src1_sel:DWORD
	s_mov_b64 s[4:5], -1
                                        ; implicit-def: $sgpr10
	s_and_saveexec_b64 s[8:9], s[12:13]
; %bb.2254:
	s_mov_b32 s10, 0x7f800001
	s_xor_b64 s[4:5], exec, -1
; %bb.2255:
	s_or_b64 exec, exec, s[8:9]
	s_and_b64 s[4:5], s[4:5], exec
	s_or_saveexec_b64 s[6:7], s[6:7]
	v_mov_b32_e32 v6, s10
	s_xor_b64 exec, exec, s[6:7]
	s_cbranch_execz .LBB22_206
.LBB22_2256:
	v_mov_b32_e32 v6, 0
	v_cmp_ne_u16_sdwa s[8:9], v3, v6 src0_sel:BYTE_0 src1_sel:DWORD
	s_andn2_b64 s[4:5], s[4:5], exec
	s_and_b64 s[8:9], s[8:9], exec
	s_or_b64 s[4:5], s[4:5], s[8:9]
	s_or_b64 exec, exec, s[6:7]
	s_and_saveexec_b64 s[6:7], s[4:5]
	s_cbranch_execnz .LBB22_207
	s_branch .LBB22_208
.LBB22_2257:
	s_movk_i32 s4, 0x80
	v_cmp_eq_u16_e32 vcc, s4, v3
	s_mov_b64 s[4:5], -1
                                        ; implicit-def: $sgpr10
	s_and_saveexec_b64 s[8:9], vcc
; %bb.2258:
	s_mov_b32 s10, 0x7f800001
	s_xor_b64 s[4:5], exec, -1
; %bb.2259:
	s_or_b64 exec, exec, s[8:9]
	s_and_b64 s[4:5], s[4:5], exec
                                        ; implicit-def: $vgpr3
	s_or_saveexec_b64 s[6:7], s[6:7]
	v_mov_b32_e32 v2, s10
	s_xor_b64 exec, exec, s[6:7]
	s_cbranch_execz .LBB22_210
.LBB22_2260:
	v_cmp_ne_u16_e32 vcc, 0, v3
	s_andn2_b64 s[4:5], s[4:5], exec
	s_and_b64 s[8:9], vcc, exec
	v_mov_b32_e32 v2, 0
	s_or_b64 s[4:5], s[4:5], s[8:9]
	s_or_b64 exec, exec, s[6:7]
	s_and_saveexec_b64 s[6:7], s[4:5]
	s_cbranch_execnz .LBB22_211
	s_branch .LBB22_212
.LBB22_2261:
	s_movk_i32 s4, 0x80
	v_cmp_eq_u16_e32 vcc, s4, v3
	s_mov_b64 s[4:5], -1
                                        ; implicit-def: $sgpr10
	s_and_saveexec_b64 s[8:9], vcc
; %bb.2262:
	s_mov_b32 s10, 0x7f800001
	s_xor_b64 s[4:5], exec, -1
; %bb.2263:
	s_or_b64 exec, exec, s[8:9]
	s_and_b64 s[4:5], s[4:5], exec
                                        ; implicit-def: $vgpr3
	s_or_saveexec_b64 s[6:7], s[6:7]
	v_mov_b32_e32 v6, s10
	s_xor_b64 exec, exec, s[6:7]
	s_cbranch_execz .LBB22_214
.LBB22_2264:
	v_cmp_ne_u16_e32 vcc, 0, v3
	s_andn2_b64 s[4:5], s[4:5], exec
	s_and_b64 s[8:9], vcc, exec
	v_mov_b32_e32 v6, 0
	s_or_b64 s[4:5], s[4:5], s[8:9]
	s_or_b64 exec, exec, s[6:7]
	s_and_saveexec_b64 s[6:7], s[4:5]
	s_cbranch_execnz .LBB22_215
	s_branch .LBB22_216
.LBB22_2265:
	s_movk_i32 s4, 0x80
	v_cmp_eq_u16_sdwa s[12:13], v8, s4 src0_sel:BYTE_3 src1_sel:DWORD
	s_mov_b64 s[4:5], -1
                                        ; implicit-def: $sgpr10
	s_and_saveexec_b64 s[8:9], s[12:13]
; %bb.2266:
	s_mov_b32 s10, 0x7f800001
	s_xor_b64 s[4:5], exec, -1
; %bb.2267:
	s_or_b64 exec, exec, s[8:9]
	s_and_b64 s[4:5], s[4:5], exec
	s_or_saveexec_b64 s[6:7], s[6:7]
	v_mov_b32_e32 v2, s10
	s_xor_b64 exec, exec, s[6:7]
	s_cbranch_execz .LBB22_218
.LBB22_2268:
	v_mov_b32_e32 v2, 0
	v_cmp_ne_u16_sdwa s[8:9], v8, v2 src0_sel:BYTE_3 src1_sel:DWORD
	s_andn2_b64 s[4:5], s[4:5], exec
	s_and_b64 s[8:9], s[8:9], exec
	s_or_b64 s[4:5], s[4:5], s[8:9]
	s_or_b64 exec, exec, s[6:7]
	s_and_saveexec_b64 s[6:7], s[4:5]
	s_cbranch_execnz .LBB22_219
	s_branch .LBB22_220
.LBB22_2269:
	s_movk_i32 s4, 0x80
	v_cmp_eq_u16_sdwa s[12:13], v4, s4 src0_sel:BYTE_3 src1_sel:DWORD
	s_mov_b64 s[4:5], -1
                                        ; implicit-def: $sgpr10
	s_and_saveexec_b64 s[8:9], s[12:13]
; %bb.2270:
	s_mov_b32 s10, 0x7f800001
	s_xor_b64 s[4:5], exec, -1
; %bb.2271:
	s_or_b64 exec, exec, s[8:9]
	s_and_b64 s[4:5], s[4:5], exec
	s_or_saveexec_b64 s[6:7], s[6:7]
	v_mov_b32_e32 v3, s10
	s_xor_b64 exec, exec, s[6:7]
	s_cbranch_execz .LBB22_222
.LBB22_2272:
	v_mov_b32_e32 v3, 0
	v_cmp_ne_u16_sdwa s[8:9], v4, v3 src0_sel:BYTE_3 src1_sel:DWORD
	s_andn2_b64 s[4:5], s[4:5], exec
	s_and_b64 s[8:9], s[8:9], exec
	s_or_b64 s[4:5], s[4:5], s[8:9]
	s_or_b64 exec, exec, s[6:7]
	s_and_saveexec_b64 s[6:7], s[4:5]
	s_cbranch_execnz .LBB22_223
	s_branch .LBB22_224
.LBB22_2273:
	s_movk_i32 s4, 0x80
	v_cmp_eq_u16_sdwa s[12:13], v9, s4 src0_sel:BYTE_0 src1_sel:DWORD
	s_mov_b64 s[4:5], -1
                                        ; implicit-def: $sgpr10
	s_and_saveexec_b64 s[8:9], s[12:13]
; %bb.2274:
	s_mov_b32 s10, 0x7f800001
	s_xor_b64 s[4:5], exec, -1
; %bb.2275:
	s_or_b64 exec, exec, s[8:9]
	s_and_b64 s[4:5], s[4:5], exec
	s_or_saveexec_b64 s[6:7], s[6:7]
	v_mov_b32_e32 v2, s10
	s_xor_b64 exec, exec, s[6:7]
	s_cbranch_execz .LBB22_226
.LBB22_2276:
	v_mov_b32_e32 v2, 0
	v_cmp_ne_u16_sdwa s[8:9], v9, v2 src0_sel:BYTE_0 src1_sel:DWORD
	s_andn2_b64 s[4:5], s[4:5], exec
	s_and_b64 s[8:9], s[8:9], exec
	s_or_b64 s[4:5], s[4:5], s[8:9]
	s_or_b64 exec, exec, s[6:7]
	s_and_saveexec_b64 s[6:7], s[4:5]
	s_cbranch_execnz .LBB22_227
	s_branch .LBB22_228
.LBB22_2277:
	s_movk_i32 s4, 0x80
	v_cmp_eq_u16_sdwa s[12:13], v5, s4 src0_sel:BYTE_0 src1_sel:DWORD
	s_mov_b64 s[4:5], -1
                                        ; implicit-def: $sgpr10
	s_and_saveexec_b64 s[8:9], s[12:13]
; %bb.2278:
	s_mov_b32 s10, 0x7f800001
	s_xor_b64 s[4:5], exec, -1
; %bb.2279:
	s_or_b64 exec, exec, s[8:9]
	s_and_b64 s[4:5], s[4:5], exec
	s_or_saveexec_b64 s[6:7], s[6:7]
	v_mov_b32_e32 v3, s10
	s_xor_b64 exec, exec, s[6:7]
	s_cbranch_execz .LBB22_230
.LBB22_2280:
	v_mov_b32_e32 v3, 0
	v_cmp_ne_u16_sdwa s[8:9], v5, v3 src0_sel:BYTE_0 src1_sel:DWORD
	s_andn2_b64 s[4:5], s[4:5], exec
	s_and_b64 s[8:9], s[8:9], exec
	s_or_b64 s[4:5], s[4:5], s[8:9]
	s_or_b64 exec, exec, s[6:7]
	s_and_saveexec_b64 s[6:7], s[4:5]
	s_cbranch_execnz .LBB22_231
	s_branch .LBB22_232
.LBB22_2281:
	s_movk_i32 s4, 0x80
	v_cmp_eq_u16_sdwa s[12:13], v3, s4 src0_sel:BYTE_0 src1_sel:DWORD
	s_mov_b64 s[4:5], -1
                                        ; implicit-def: $sgpr10
	s_and_saveexec_b64 s[8:9], s[12:13]
; %bb.2282:
	s_mov_b32 s10, 0x7f800001
	s_xor_b64 s[4:5], exec, -1
; %bb.2283:
	s_or_b64 exec, exec, s[8:9]
	s_and_b64 s[4:5], s[4:5], exec
	s_or_saveexec_b64 s[6:7], s[6:7]
	v_mov_b32_e32 v2, s10
	s_xor_b64 exec, exec, s[6:7]
	s_cbranch_execz .LBB22_234
.LBB22_2284:
	v_mov_b32_e32 v2, 0
	v_cmp_ne_u16_sdwa s[8:9], v3, v2 src0_sel:BYTE_0 src1_sel:DWORD
	s_andn2_b64 s[4:5], s[4:5], exec
	s_and_b64 s[8:9], s[8:9], exec
	s_or_b64 s[4:5], s[4:5], s[8:9]
	s_or_b64 exec, exec, s[6:7]
	s_and_saveexec_b64 s[6:7], s[4:5]
	s_cbranch_execnz .LBB22_235
	s_branch .LBB22_236
.LBB22_2285:
	s_movk_i32 s4, 0x80
	v_cmp_eq_u16_sdwa s[12:13], v3, s4 src0_sel:BYTE_0 src1_sel:DWORD
	s_mov_b64 s[4:5], -1
                                        ; implicit-def: $sgpr10
	s_and_saveexec_b64 s[8:9], s[12:13]
; %bb.2286:
	s_mov_b32 s10, 0x7f800001
	s_xor_b64 s[4:5], exec, -1
; %bb.2287:
	s_or_b64 exec, exec, s[8:9]
	s_and_b64 s[4:5], s[4:5], exec
	s_or_saveexec_b64 s[6:7], s[6:7]
	v_mov_b32_e32 v4, s10
	s_xor_b64 exec, exec, s[6:7]
	s_cbranch_execz .LBB22_238
.LBB22_2288:
	v_mov_b32_e32 v4, 0
	v_cmp_ne_u16_sdwa s[8:9], v3, v4 src0_sel:BYTE_0 src1_sel:DWORD
	s_andn2_b64 s[4:5], s[4:5], exec
	s_and_b64 s[8:9], s[8:9], exec
	s_or_b64 s[4:5], s[4:5], s[8:9]
	s_or_b64 exec, exec, s[6:7]
	s_and_saveexec_b64 s[6:7], s[4:5]
	s_cbranch_execnz .LBB22_239
	s_branch .LBB22_240
.LBB22_2289:
	s_movk_i32 s4, 0x80
	v_cmp_eq_u16_e32 vcc, s4, v3
	s_mov_b64 s[4:5], -1
                                        ; implicit-def: $sgpr10
	s_and_saveexec_b64 s[8:9], vcc
; %bb.2290:
	s_mov_b32 s10, 0x7f800001
	s_xor_b64 s[4:5], exec, -1
; %bb.2291:
	s_or_b64 exec, exec, s[8:9]
	s_and_b64 s[4:5], s[4:5], exec
                                        ; implicit-def: $vgpr3
	s_or_saveexec_b64 s[6:7], s[6:7]
	v_mov_b32_e32 v2, s10
	s_xor_b64 exec, exec, s[6:7]
	s_cbranch_execz .LBB22_242
.LBB22_2292:
	v_cmp_ne_u16_e32 vcc, 0, v3
	s_andn2_b64 s[4:5], s[4:5], exec
	s_and_b64 s[8:9], vcc, exec
	v_mov_b32_e32 v2, 0
	s_or_b64 s[4:5], s[4:5], s[8:9]
	s_or_b64 exec, exec, s[6:7]
	s_and_saveexec_b64 s[6:7], s[4:5]
	s_cbranch_execnz .LBB22_243
	s_branch .LBB22_244
.LBB22_2293:
	s_movk_i32 s4, 0x80
	v_cmp_eq_u16_e32 vcc, s4, v3
	s_mov_b64 s[4:5], -1
                                        ; implicit-def: $sgpr10
	s_and_saveexec_b64 s[8:9], vcc
; %bb.2294:
	s_mov_b32 s10, 0x7f800001
	s_xor_b64 s[4:5], exec, -1
; %bb.2295:
	s_or_b64 exec, exec, s[8:9]
	s_and_b64 s[4:5], s[4:5], exec
                                        ; implicit-def: $vgpr3
	s_or_saveexec_b64 s[6:7], s[6:7]
	v_mov_b32_e32 v4, s10
	s_xor_b64 exec, exec, s[6:7]
	s_cbranch_execz .LBB22_246
.LBB22_2296:
	v_cmp_ne_u16_e32 vcc, 0, v3
	s_andn2_b64 s[4:5], s[4:5], exec
	s_and_b64 s[8:9], vcc, exec
	v_mov_b32_e32 v4, 0
	s_or_b64 s[4:5], s[4:5], s[8:9]
	s_or_b64 exec, exec, s[6:7]
	s_and_saveexec_b64 s[6:7], s[4:5]
	s_cbranch_execnz .LBB22_247
	s_branch .LBB22_248
.LBB22_2297:
	s_movk_i32 s4, 0x80
	v_cmp_eq_u16_sdwa s[12:13], v9, s4 src0_sel:BYTE_3 src1_sel:DWORD
	s_mov_b64 s[4:5], -1
                                        ; implicit-def: $sgpr10
	s_and_saveexec_b64 s[8:9], s[12:13]
; %bb.2298:
	s_mov_b32 s10, 0x7f800001
	s_xor_b64 s[4:5], exec, -1
; %bb.2299:
	s_or_b64 exec, exec, s[8:9]
	s_and_b64 s[4:5], s[4:5], exec
	s_or_saveexec_b64 s[6:7], s[6:7]
	v_mov_b32_e32 v2, s10
	s_xor_b64 exec, exec, s[6:7]
	s_cbranch_execz .LBB22_250
.LBB22_2300:
	v_mov_b32_e32 v2, 0
	v_cmp_ne_u16_sdwa s[8:9], v9, v2 src0_sel:BYTE_3 src1_sel:DWORD
	s_andn2_b64 s[4:5], s[4:5], exec
	s_and_b64 s[8:9], s[8:9], exec
	s_or_b64 s[4:5], s[4:5], s[8:9]
	s_or_b64 exec, exec, s[6:7]
	s_and_saveexec_b64 s[6:7], s[4:5]
	s_cbranch_execnz .LBB22_251
	s_branch .LBB22_252
.LBB22_2301:
	s_movk_i32 s4, 0x80
	v_cmp_eq_u16_sdwa s[12:13], v5, s4 src0_sel:BYTE_3 src1_sel:DWORD
	s_mov_b64 s[4:5], -1
                                        ; implicit-def: $sgpr10
	s_and_saveexec_b64 s[8:9], s[12:13]
; %bb.2302:
	s_mov_b32 s10, 0x7f800001
	s_xor_b64 s[4:5], exec, -1
; %bb.2303:
	s_or_b64 exec, exec, s[8:9]
	s_and_b64 s[4:5], s[4:5], exec
	s_or_saveexec_b64 s[6:7], s[6:7]
	v_mov_b32_e32 v3, s10
	s_xor_b64 exec, exec, s[6:7]
	s_cbranch_execz .LBB22_254
.LBB22_2304:
	v_mov_b32_e32 v3, 0
	v_cmp_ne_u16_sdwa s[8:9], v5, v3 src0_sel:BYTE_3 src1_sel:DWORD
	s_andn2_b64 s[4:5], s[4:5], exec
	s_and_b64 s[8:9], s[8:9], exec
	s_or_b64 s[4:5], s[4:5], s[8:9]
	s_or_b64 exec, exec, s[6:7]
	s_and_saveexec_b64 s[6:7], s[4:5]
	s_cbranch_execnz .LBB22_255
	s_branch .LBB22_256
.LBB22_2305:
	s_movk_i32 s4, 0x80
	v_cmp_eq_u16_sdwa s[12:13], v14, s4 src0_sel:BYTE_0 src1_sel:DWORD
	s_mov_b64 s[4:5], -1
                                        ; implicit-def: $sgpr10
	s_and_saveexec_b64 s[8:9], s[12:13]
; %bb.2306:
	s_mov_b32 s10, 0x7f800001
	s_xor_b64 s[4:5], exec, -1
; %bb.2307:
	s_or_b64 exec, exec, s[8:9]
	s_and_b64 s[4:5], s[4:5], exec
	s_or_saveexec_b64 s[6:7], s[6:7]
	v_mov_b32_e32 v20, s10
	s_xor_b64 exec, exec, s[6:7]
	s_cbranch_execz .LBB22_258
.LBB22_2308:
	v_mov_b32_e32 v20, 0
	v_cmp_ne_u16_sdwa s[8:9], v14, v20 src0_sel:BYTE_0 src1_sel:DWORD
	s_andn2_b64 s[4:5], s[4:5], exec
	s_and_b64 s[8:9], s[8:9], exec
	s_or_b64 s[4:5], s[4:5], s[8:9]
	s_or_b64 exec, exec, s[6:7]
	s_and_saveexec_b64 s[6:7], s[4:5]
	s_cbranch_execnz .LBB22_259
	s_branch .LBB22_260
.LBB22_2309:
	s_movk_i32 s4, 0x80
	v_cmp_eq_u16_sdwa s[12:13], v10, s4 src0_sel:BYTE_0 src1_sel:DWORD
	s_mov_b64 s[4:5], -1
                                        ; implicit-def: $sgpr10
	s_and_saveexec_b64 s[8:9], s[12:13]
; %bb.2310:
	s_mov_b32 s10, 0x7f800001
	s_xor_b64 s[4:5], exec, -1
; %bb.2311:
	s_or_b64 exec, exec, s[8:9]
	s_and_b64 s[4:5], s[4:5], exec
	s_or_saveexec_b64 s[6:7], s[6:7]
	v_mov_b32_e32 v21, s10
	s_xor_b64 exec, exec, s[6:7]
	s_cbranch_execz .LBB22_262
.LBB22_2312:
	v_mov_b32_e32 v21, 0
	v_cmp_ne_u16_sdwa s[8:9], v10, v21 src0_sel:BYTE_0 src1_sel:DWORD
	s_andn2_b64 s[4:5], s[4:5], exec
	s_and_b64 s[8:9], s[8:9], exec
	s_or_b64 s[4:5], s[4:5], s[8:9]
	s_or_b64 exec, exec, s[6:7]
	s_and_saveexec_b64 s[6:7], s[4:5]
	s_cbranch_execnz .LBB22_263
	s_branch .LBB22_264
.LBB22_2313:
	s_movk_i32 s4, 0x80
	v_cmp_eq_u16_sdwa s[12:13], v21, s4 src0_sel:BYTE_0 src1_sel:DWORD
	s_mov_b64 s[4:5], -1
                                        ; implicit-def: $sgpr10
	s_and_saveexec_b64 s[8:9], s[12:13]
; %bb.2314:
	s_mov_b32 s10, 0x7f800001
	s_xor_b64 s[4:5], exec, -1
; %bb.2315:
	s_or_b64 exec, exec, s[8:9]
	s_and_b64 s[4:5], s[4:5], exec
	s_or_saveexec_b64 s[6:7], s[6:7]
	v_mov_b32_e32 v20, s10
	s_xor_b64 exec, exec, s[6:7]
	s_cbranch_execz .LBB22_266
.LBB22_2316:
	v_mov_b32_e32 v20, 0
	v_cmp_ne_u16_sdwa s[8:9], v21, v20 src0_sel:BYTE_0 src1_sel:DWORD
	s_andn2_b64 s[4:5], s[4:5], exec
	s_and_b64 s[8:9], s[8:9], exec
	s_or_b64 s[4:5], s[4:5], s[8:9]
	s_or_b64 exec, exec, s[6:7]
	s_and_saveexec_b64 s[6:7], s[4:5]
	s_cbranch_execnz .LBB22_267
	s_branch .LBB22_268
.LBB22_2317:
	s_movk_i32 s4, 0x80
	v_cmp_eq_u16_sdwa s[12:13], v21, s4 src0_sel:BYTE_0 src1_sel:DWORD
	s_mov_b64 s[4:5], -1
                                        ; implicit-def: $sgpr10
	s_and_saveexec_b64 s[8:9], s[12:13]
; %bb.2318:
	s_mov_b32 s10, 0x7f800001
	s_xor_b64 s[4:5], exec, -1
; %bb.2319:
	s_or_b64 exec, exec, s[8:9]
	s_and_b64 s[4:5], s[4:5], exec
	s_or_saveexec_b64 s[6:7], s[6:7]
	v_mov_b32_e32 v22, s10
	s_xor_b64 exec, exec, s[6:7]
	s_cbranch_execz .LBB22_270
.LBB22_2320:
	v_mov_b32_e32 v22, 0
	v_cmp_ne_u16_sdwa s[8:9], v21, v22 src0_sel:BYTE_0 src1_sel:DWORD
	s_andn2_b64 s[4:5], s[4:5], exec
	s_and_b64 s[8:9], s[8:9], exec
	s_or_b64 s[4:5], s[4:5], s[8:9]
	s_or_b64 exec, exec, s[6:7]
	s_and_saveexec_b64 s[6:7], s[4:5]
	s_cbranch_execnz .LBB22_271
	s_branch .LBB22_272
.LBB22_2321:
	s_movk_i32 s4, 0x80
	v_cmp_eq_u16_e32 vcc, s4, v21
	s_mov_b64 s[4:5], -1
                                        ; implicit-def: $sgpr10
	s_and_saveexec_b64 s[8:9], vcc
; %bb.2322:
	s_mov_b32 s10, 0x7f800001
	s_xor_b64 s[4:5], exec, -1
; %bb.2323:
	s_or_b64 exec, exec, s[8:9]
	s_and_b64 s[4:5], s[4:5], exec
                                        ; implicit-def: $vgpr21
	s_or_saveexec_b64 s[6:7], s[6:7]
	v_mov_b32_e32 v20, s10
	s_xor_b64 exec, exec, s[6:7]
	s_cbranch_execz .LBB22_274
.LBB22_2324:
	v_cmp_ne_u16_e32 vcc, 0, v21
	s_andn2_b64 s[4:5], s[4:5], exec
	s_and_b64 s[8:9], vcc, exec
	v_mov_b32_e32 v20, 0
	s_or_b64 s[4:5], s[4:5], s[8:9]
	s_or_b64 exec, exec, s[6:7]
	s_and_saveexec_b64 s[6:7], s[4:5]
	s_cbranch_execnz .LBB22_275
	s_branch .LBB22_276
.LBB22_2325:
	s_movk_i32 s4, 0x80
	v_cmp_eq_u16_e32 vcc, s4, v21
	s_mov_b64 s[4:5], -1
                                        ; implicit-def: $sgpr10
	s_and_saveexec_b64 s[8:9], vcc
; %bb.2326:
	s_mov_b32 s10, 0x7f800001
	s_xor_b64 s[4:5], exec, -1
; %bb.2327:
	s_or_b64 exec, exec, s[8:9]
	s_and_b64 s[4:5], s[4:5], exec
                                        ; implicit-def: $vgpr21
	s_or_saveexec_b64 s[6:7], s[6:7]
	v_mov_b32_e32 v22, s10
	s_xor_b64 exec, exec, s[6:7]
	s_cbranch_execz .LBB22_278
.LBB22_2328:
	v_cmp_ne_u16_e32 vcc, 0, v21
	s_andn2_b64 s[4:5], s[4:5], exec
	s_and_b64 s[8:9], vcc, exec
	v_mov_b32_e32 v22, 0
	s_or_b64 s[4:5], s[4:5], s[8:9]
	s_or_b64 exec, exec, s[6:7]
	s_and_saveexec_b64 s[6:7], s[4:5]
	s_cbranch_execnz .LBB22_279
	s_branch .LBB22_280
.LBB22_2329:
	s_movk_i32 s4, 0x80
	v_cmp_eq_u16_sdwa s[12:13], v14, s4 src0_sel:BYTE_3 src1_sel:DWORD
	s_mov_b64 s[4:5], -1
                                        ; implicit-def: $sgpr10
	s_and_saveexec_b64 s[8:9], s[12:13]
; %bb.2330:
	s_mov_b32 s10, 0x7f800001
	s_xor_b64 s[4:5], exec, -1
; %bb.2331:
	s_or_b64 exec, exec, s[8:9]
	s_and_b64 s[4:5], s[4:5], exec
	s_or_saveexec_b64 s[6:7], s[6:7]
	v_mov_b32_e32 v20, s10
	s_xor_b64 exec, exec, s[6:7]
	s_cbranch_execz .LBB22_282
.LBB22_2332:
	v_mov_b32_e32 v20, 0
	v_cmp_ne_u16_sdwa s[8:9], v14, v20 src0_sel:BYTE_3 src1_sel:DWORD
	s_andn2_b64 s[4:5], s[4:5], exec
	s_and_b64 s[8:9], s[8:9], exec
	s_or_b64 s[4:5], s[4:5], s[8:9]
	s_or_b64 exec, exec, s[6:7]
	s_and_saveexec_b64 s[6:7], s[4:5]
	s_cbranch_execnz .LBB22_283
	s_branch .LBB22_284
.LBB22_2333:
	s_movk_i32 s4, 0x80
	v_cmp_eq_u16_sdwa s[12:13], v10, s4 src0_sel:BYTE_3 src1_sel:DWORD
	s_mov_b64 s[4:5], -1
                                        ; implicit-def: $sgpr10
	s_and_saveexec_b64 s[8:9], s[12:13]
; %bb.2334:
	s_mov_b32 s10, 0x7f800001
	s_xor_b64 s[4:5], exec, -1
; %bb.2335:
	s_or_b64 exec, exec, s[8:9]
	s_and_b64 s[4:5], s[4:5], exec
	s_or_saveexec_b64 s[6:7], s[6:7]
	v_mov_b32_e32 v14, s10
	s_xor_b64 exec, exec, s[6:7]
	s_cbranch_execz .LBB22_286
.LBB22_2336:
	v_mov_b32_e32 v14, 0
	v_cmp_ne_u16_sdwa s[8:9], v10, v14 src0_sel:BYTE_3 src1_sel:DWORD
	s_andn2_b64 s[4:5], s[4:5], exec
	s_and_b64 s[8:9], s[8:9], exec
	s_or_b64 s[4:5], s[4:5], s[8:9]
	s_or_b64 exec, exec, s[6:7]
	s_and_saveexec_b64 s[6:7], s[4:5]
	s_cbranch_execnz .LBB22_287
	s_branch .LBB22_288
.LBB22_2337:
	s_movk_i32 s4, 0x80
	v_cmp_eq_u16_sdwa s[12:13], v15, s4 src0_sel:BYTE_0 src1_sel:DWORD
	s_mov_b64 s[4:5], -1
                                        ; implicit-def: $sgpr10
	s_and_saveexec_b64 s[8:9], s[12:13]
; %bb.2338:
	s_mov_b32 s10, 0x7f800001
	s_xor_b64 s[4:5], exec, -1
; %bb.2339:
	s_or_b64 exec, exec, s[8:9]
	s_and_b64 s[4:5], s[4:5], exec
	s_or_saveexec_b64 s[6:7], s[6:7]
	v_mov_b32_e32 v10, s10
	s_xor_b64 exec, exec, s[6:7]
	s_cbranch_execz .LBB22_290
.LBB22_2340:
	v_mov_b32_e32 v10, 0
	v_cmp_ne_u16_sdwa s[8:9], v15, v10 src0_sel:BYTE_0 src1_sel:DWORD
	s_andn2_b64 s[4:5], s[4:5], exec
	s_and_b64 s[8:9], s[8:9], exec
	s_or_b64 s[4:5], s[4:5], s[8:9]
	s_or_b64 exec, exec, s[6:7]
	s_and_saveexec_b64 s[6:7], s[4:5]
	s_cbranch_execnz .LBB22_291
	s_branch .LBB22_292
.LBB22_2341:
	s_movk_i32 s4, 0x80
	v_cmp_eq_u16_sdwa s[12:13], v11, s4 src0_sel:BYTE_0 src1_sel:DWORD
	s_mov_b64 s[4:5], -1
                                        ; implicit-def: $sgpr10
	s_and_saveexec_b64 s[8:9], s[12:13]
; %bb.2342:
	s_mov_b32 s10, 0x7f800001
	s_xor_b64 s[4:5], exec, -1
; %bb.2343:
	s_or_b64 exec, exec, s[8:9]
	s_and_b64 s[4:5], s[4:5], exec
	s_or_saveexec_b64 s[6:7], s[6:7]
	v_mov_b32_e32 v14, s10
	s_xor_b64 exec, exec, s[6:7]
	s_cbranch_execz .LBB22_294
.LBB22_2344:
	v_mov_b32_e32 v14, 0
	v_cmp_ne_u16_sdwa s[8:9], v11, v14 src0_sel:BYTE_0 src1_sel:DWORD
	s_andn2_b64 s[4:5], s[4:5], exec
	s_and_b64 s[8:9], s[8:9], exec
	s_or_b64 s[4:5], s[4:5], s[8:9]
	s_or_b64 exec, exec, s[6:7]
	s_and_saveexec_b64 s[6:7], s[4:5]
	s_cbranch_execnz .LBB22_295
	s_branch .LBB22_296
.LBB22_2345:
	s_movk_i32 s4, 0x80
	v_cmp_eq_u16_sdwa s[12:13], v14, s4 src0_sel:BYTE_0 src1_sel:DWORD
	s_mov_b64 s[4:5], -1
                                        ; implicit-def: $sgpr10
	s_and_saveexec_b64 s[8:9], s[12:13]
; %bb.2346:
	s_mov_b32 s10, 0x7f800001
	s_xor_b64 s[4:5], exec, -1
; %bb.2347:
	s_or_b64 exec, exec, s[8:9]
	s_and_b64 s[4:5], s[4:5], exec
	s_or_saveexec_b64 s[6:7], s[6:7]
	v_mov_b32_e32 v10, s10
	s_xor_b64 exec, exec, s[6:7]
	s_cbranch_execz .LBB22_298
.LBB22_2348:
	v_mov_b32_e32 v10, 0
	v_cmp_ne_u16_sdwa s[8:9], v14, v10 src0_sel:BYTE_0 src1_sel:DWORD
	s_andn2_b64 s[4:5], s[4:5], exec
	s_and_b64 s[8:9], s[8:9], exec
	s_or_b64 s[4:5], s[4:5], s[8:9]
	s_or_b64 exec, exec, s[6:7]
	s_and_saveexec_b64 s[6:7], s[4:5]
	s_cbranch_execnz .LBB22_299
	s_branch .LBB22_300
.LBB22_2349:
	s_movk_i32 s4, 0x80
	v_cmp_eq_u16_sdwa s[12:13], v14, s4 src0_sel:BYTE_0 src1_sel:DWORD
	s_mov_b64 s[4:5], -1
                                        ; implicit-def: $sgpr10
	s_and_saveexec_b64 s[8:9], s[12:13]
; %bb.2350:
	s_mov_b32 s10, 0x7f800001
	s_xor_b64 s[4:5], exec, -1
; %bb.2351:
	s_or_b64 exec, exec, s[8:9]
	s_and_b64 s[4:5], s[4:5], exec
	s_or_saveexec_b64 s[6:7], s[6:7]
	v_mov_b32_e32 v20, s10
	s_xor_b64 exec, exec, s[6:7]
	s_cbranch_execz .LBB22_302
.LBB22_2352:
	v_mov_b32_e32 v20, 0
	v_cmp_ne_u16_sdwa s[8:9], v14, v20 src0_sel:BYTE_0 src1_sel:DWORD
	s_andn2_b64 s[4:5], s[4:5], exec
	s_and_b64 s[8:9], s[8:9], exec
	s_or_b64 s[4:5], s[4:5], s[8:9]
	s_or_b64 exec, exec, s[6:7]
	s_and_saveexec_b64 s[6:7], s[4:5]
	s_cbranch_execnz .LBB22_303
	s_branch .LBB22_304
.LBB22_2353:
	s_movk_i32 s4, 0x80
	v_cmp_eq_u16_e32 vcc, s4, v14
	s_mov_b64 s[4:5], -1
                                        ; implicit-def: $sgpr10
	s_and_saveexec_b64 s[8:9], vcc
; %bb.2354:
	s_mov_b32 s10, 0x7f800001
	s_xor_b64 s[4:5], exec, -1
; %bb.2355:
	s_or_b64 exec, exec, s[8:9]
	s_and_b64 s[4:5], s[4:5], exec
                                        ; implicit-def: $vgpr14
	s_or_saveexec_b64 s[6:7], s[6:7]
	v_mov_b32_e32 v10, s10
	s_xor_b64 exec, exec, s[6:7]
	s_cbranch_execz .LBB22_306
.LBB22_2356:
	v_cmp_ne_u16_e32 vcc, 0, v14
	s_andn2_b64 s[4:5], s[4:5], exec
	s_and_b64 s[8:9], vcc, exec
	v_mov_b32_e32 v10, 0
	s_or_b64 s[4:5], s[4:5], s[8:9]
	s_or_b64 exec, exec, s[6:7]
	s_and_saveexec_b64 s[6:7], s[4:5]
	s_cbranch_execnz .LBB22_307
	s_branch .LBB22_308
.LBB22_2357:
	s_movk_i32 s4, 0x80
	v_cmp_eq_u16_e32 vcc, s4, v14
	s_mov_b64 s[4:5], -1
                                        ; implicit-def: $sgpr10
	s_and_saveexec_b64 s[8:9], vcc
; %bb.2358:
	s_mov_b32 s10, 0x7f800001
	s_xor_b64 s[4:5], exec, -1
; %bb.2359:
	s_or_b64 exec, exec, s[8:9]
	s_and_b64 s[4:5], s[4:5], exec
                                        ; implicit-def: $vgpr14
	s_or_saveexec_b64 s[6:7], s[6:7]
	v_mov_b32_e32 v20, s10
	s_xor_b64 exec, exec, s[6:7]
	s_cbranch_execz .LBB22_310
.LBB22_2360:
	v_cmp_ne_u16_e32 vcc, 0, v14
	s_andn2_b64 s[4:5], s[4:5], exec
	s_and_b64 s[8:9], vcc, exec
	v_mov_b32_e32 v20, 0
	s_or_b64 s[4:5], s[4:5], s[8:9]
	s_or_b64 exec, exec, s[6:7]
	s_and_saveexec_b64 s[6:7], s[4:5]
	s_cbranch_execnz .LBB22_311
	s_branch .LBB22_312
.LBB22_2361:
	s_movk_i32 s4, 0x80
	v_cmp_eq_u16_sdwa s[12:13], v15, s4 src0_sel:BYTE_3 src1_sel:DWORD
	s_mov_b64 s[4:5], -1
                                        ; implicit-def: $sgpr10
	s_and_saveexec_b64 s[8:9], s[12:13]
; %bb.2362:
	s_mov_b32 s10, 0x7f800001
	s_xor_b64 s[4:5], exec, -1
; %bb.2363:
	s_or_b64 exec, exec, s[8:9]
	s_and_b64 s[4:5], s[4:5], exec
	s_or_saveexec_b64 s[6:7], s[6:7]
	v_mov_b32_e32 v10, s10
	s_xor_b64 exec, exec, s[6:7]
	s_cbranch_execz .LBB22_314
.LBB22_2364:
	v_mov_b32_e32 v10, 0
	v_cmp_ne_u16_sdwa s[8:9], v15, v10 src0_sel:BYTE_3 src1_sel:DWORD
	s_andn2_b64 s[4:5], s[4:5], exec
	s_and_b64 s[8:9], s[8:9], exec
	s_or_b64 s[4:5], s[4:5], s[8:9]
	s_or_b64 exec, exec, s[6:7]
	s_and_saveexec_b64 s[6:7], s[4:5]
	s_cbranch_execnz .LBB22_315
	s_branch .LBB22_316
.LBB22_2365:
	s_movk_i32 s4, 0x80
	v_cmp_eq_u16_sdwa s[12:13], v11, s4 src0_sel:BYTE_3 src1_sel:DWORD
	s_mov_b64 s[4:5], -1
                                        ; implicit-def: $sgpr10
	s_and_saveexec_b64 s[8:9], s[12:13]
; %bb.2366:
	s_mov_b32 s10, 0x7f800001
	s_xor_b64 s[4:5], exec, -1
; %bb.2367:
	s_or_b64 exec, exec, s[8:9]
	s_and_b64 s[4:5], s[4:5], exec
	s_or_saveexec_b64 s[6:7], s[6:7]
	v_mov_b32_e32 v14, s10
	s_xor_b64 exec, exec, s[6:7]
	s_cbranch_execz .LBB22_318
.LBB22_2368:
	v_mov_b32_e32 v14, 0
	v_cmp_ne_u16_sdwa s[8:9], v11, v14 src0_sel:BYTE_3 src1_sel:DWORD
	s_andn2_b64 s[4:5], s[4:5], exec
	s_and_b64 s[8:9], s[8:9], exec
	s_or_b64 s[4:5], s[4:5], s[8:9]
	s_or_b64 exec, exec, s[6:7]
	s_and_saveexec_b64 s[6:7], s[4:5]
	s_cbranch_execnz .LBB22_319
	s_branch .LBB22_320
.LBB22_2369:
	s_movk_i32 s4, 0x80
	v_cmp_eq_u16_sdwa s[12:13], v16, s4 src0_sel:BYTE_0 src1_sel:DWORD
	s_mov_b64 s[4:5], -1
                                        ; implicit-def: $sgpr10
	s_and_saveexec_b64 s[8:9], s[12:13]
; %bb.2370:
	s_mov_b32 s10, 0x7f800001
	s_xor_b64 s[4:5], exec, -1
; %bb.2371:
	s_or_b64 exec, exec, s[8:9]
	s_and_b64 s[4:5], s[4:5], exec
	s_or_saveexec_b64 s[6:7], s[6:7]
	v_mov_b32_e32 v10, s10
	s_xor_b64 exec, exec, s[6:7]
	s_cbranch_execz .LBB22_322
.LBB22_2372:
	v_mov_b32_e32 v10, 0
	v_cmp_ne_u16_sdwa s[8:9], v16, v10 src0_sel:BYTE_0 src1_sel:DWORD
	s_andn2_b64 s[4:5], s[4:5], exec
	s_and_b64 s[8:9], s[8:9], exec
	s_or_b64 s[4:5], s[4:5], s[8:9]
	s_or_b64 exec, exec, s[6:7]
	s_and_saveexec_b64 s[6:7], s[4:5]
	s_cbranch_execnz .LBB22_323
	s_branch .LBB22_324
.LBB22_2373:
	s_movk_i32 s4, 0x80
	v_cmp_eq_u16_sdwa s[12:13], v12, s4 src0_sel:BYTE_0 src1_sel:DWORD
	s_mov_b64 s[4:5], -1
                                        ; implicit-def: $sgpr10
	s_and_saveexec_b64 s[8:9], s[12:13]
; %bb.2374:
	s_mov_b32 s10, 0x7f800001
	s_xor_b64 s[4:5], exec, -1
; %bb.2375:
	s_or_b64 exec, exec, s[8:9]
	s_and_b64 s[4:5], s[4:5], exec
	s_or_saveexec_b64 s[6:7], s[6:7]
	v_mov_b32_e32 v11, s10
	s_xor_b64 exec, exec, s[6:7]
	s_cbranch_execz .LBB22_326
.LBB22_2376:
	v_mov_b32_e32 v11, 0
	v_cmp_ne_u16_sdwa s[8:9], v12, v11 src0_sel:BYTE_0 src1_sel:DWORD
	s_andn2_b64 s[4:5], s[4:5], exec
	s_and_b64 s[8:9], s[8:9], exec
	s_or_b64 s[4:5], s[4:5], s[8:9]
	s_or_b64 exec, exec, s[6:7]
	s_and_saveexec_b64 s[6:7], s[4:5]
	s_cbranch_execnz .LBB22_327
	s_branch .LBB22_328
.LBB22_2377:
	s_movk_i32 s4, 0x80
	v_cmp_eq_u16_sdwa s[12:13], v11, s4 src0_sel:BYTE_0 src1_sel:DWORD
	s_mov_b64 s[4:5], -1
                                        ; implicit-def: $sgpr10
	s_and_saveexec_b64 s[8:9], s[12:13]
; %bb.2378:
	s_mov_b32 s10, 0x7f800001
	s_xor_b64 s[4:5], exec, -1
; %bb.2379:
	s_or_b64 exec, exec, s[8:9]
	s_and_b64 s[4:5], s[4:5], exec
	s_or_saveexec_b64 s[6:7], s[6:7]
	v_mov_b32_e32 v10, s10
	s_xor_b64 exec, exec, s[6:7]
	s_cbranch_execz .LBB22_330
.LBB22_2380:
	v_mov_b32_e32 v10, 0
	v_cmp_ne_u16_sdwa s[8:9], v11, v10 src0_sel:BYTE_0 src1_sel:DWORD
	s_andn2_b64 s[4:5], s[4:5], exec
	s_and_b64 s[8:9], s[8:9], exec
	s_or_b64 s[4:5], s[4:5], s[8:9]
	s_or_b64 exec, exec, s[6:7]
	s_and_saveexec_b64 s[6:7], s[4:5]
	s_cbranch_execnz .LBB22_331
	s_branch .LBB22_332
.LBB22_2381:
	s_movk_i32 s4, 0x80
	v_cmp_eq_u16_sdwa s[12:13], v11, s4 src0_sel:BYTE_0 src1_sel:DWORD
	s_mov_b64 s[4:5], -1
                                        ; implicit-def: $sgpr10
	s_and_saveexec_b64 s[8:9], s[12:13]
; %bb.2382:
	s_mov_b32 s10, 0x7f800001
	s_xor_b64 s[4:5], exec, -1
; %bb.2383:
	s_or_b64 exec, exec, s[8:9]
	s_and_b64 s[4:5], s[4:5], exec
	s_or_saveexec_b64 s[6:7], s[6:7]
	v_mov_b32_e32 v14, s10
	s_xor_b64 exec, exec, s[6:7]
	s_cbranch_execz .LBB22_334
.LBB22_2384:
	v_mov_b32_e32 v14, 0
	v_cmp_ne_u16_sdwa s[8:9], v11, v14 src0_sel:BYTE_0 src1_sel:DWORD
	s_andn2_b64 s[4:5], s[4:5], exec
	s_and_b64 s[8:9], s[8:9], exec
	s_or_b64 s[4:5], s[4:5], s[8:9]
	s_or_b64 exec, exec, s[6:7]
	s_and_saveexec_b64 s[6:7], s[4:5]
	s_cbranch_execnz .LBB22_335
	s_branch .LBB22_336
.LBB22_2385:
	s_movk_i32 s4, 0x80
	v_cmp_eq_u16_e32 vcc, s4, v11
	s_mov_b64 s[4:5], -1
                                        ; implicit-def: $sgpr10
	s_and_saveexec_b64 s[8:9], vcc
; %bb.2386:
	s_mov_b32 s10, 0x7f800001
	s_xor_b64 s[4:5], exec, -1
; %bb.2387:
	s_or_b64 exec, exec, s[8:9]
	s_and_b64 s[4:5], s[4:5], exec
                                        ; implicit-def: $vgpr11
	s_or_saveexec_b64 s[6:7], s[6:7]
	v_mov_b32_e32 v10, s10
	s_xor_b64 exec, exec, s[6:7]
	s_cbranch_execz .LBB22_338
.LBB22_2388:
	v_cmp_ne_u16_e32 vcc, 0, v11
	s_andn2_b64 s[4:5], s[4:5], exec
	s_and_b64 s[8:9], vcc, exec
	v_mov_b32_e32 v10, 0
	s_or_b64 s[4:5], s[4:5], s[8:9]
	s_or_b64 exec, exec, s[6:7]
	s_and_saveexec_b64 s[6:7], s[4:5]
	s_cbranch_execnz .LBB22_339
	s_branch .LBB22_340
.LBB22_2389:
	s_movk_i32 s4, 0x80
	v_cmp_eq_u16_e32 vcc, s4, v11
	s_mov_b64 s[4:5], -1
                                        ; implicit-def: $sgpr10
	s_and_saveexec_b64 s[8:9], vcc
; %bb.2390:
	s_mov_b32 s10, 0x7f800001
	s_xor_b64 s[4:5], exec, -1
; %bb.2391:
	s_or_b64 exec, exec, s[8:9]
	s_and_b64 s[4:5], s[4:5], exec
                                        ; implicit-def: $vgpr11
	s_or_saveexec_b64 s[6:7], s[6:7]
	v_mov_b32_e32 v14, s10
	s_xor_b64 exec, exec, s[6:7]
	s_cbranch_execz .LBB22_342
.LBB22_2392:
	v_cmp_ne_u16_e32 vcc, 0, v11
	s_andn2_b64 s[4:5], s[4:5], exec
	s_and_b64 s[8:9], vcc, exec
	v_mov_b32_e32 v14, 0
	s_or_b64 s[4:5], s[4:5], s[8:9]
	s_or_b64 exec, exec, s[6:7]
	s_and_saveexec_b64 s[6:7], s[4:5]
	s_cbranch_execnz .LBB22_343
	s_branch .LBB22_344
.LBB22_2393:
	s_movk_i32 s4, 0x80
	v_cmp_eq_u16_sdwa s[12:13], v16, s4 src0_sel:BYTE_3 src1_sel:DWORD
	s_mov_b64 s[4:5], -1
                                        ; implicit-def: $sgpr10
	s_and_saveexec_b64 s[8:9], s[12:13]
; %bb.2394:
	s_mov_b32 s10, 0x7f800001
	s_xor_b64 s[4:5], exec, -1
; %bb.2395:
	s_or_b64 exec, exec, s[8:9]
	s_and_b64 s[4:5], s[4:5], exec
	s_or_saveexec_b64 s[6:7], s[6:7]
	v_mov_b32_e32 v10, s10
	s_xor_b64 exec, exec, s[6:7]
	s_cbranch_execz .LBB22_346
.LBB22_2396:
	v_mov_b32_e32 v10, 0
	v_cmp_ne_u16_sdwa s[8:9], v16, v10 src0_sel:BYTE_3 src1_sel:DWORD
	s_andn2_b64 s[4:5], s[4:5], exec
	s_and_b64 s[8:9], s[8:9], exec
	s_or_b64 s[4:5], s[4:5], s[8:9]
	s_or_b64 exec, exec, s[6:7]
	s_and_saveexec_b64 s[6:7], s[4:5]
	s_cbranch_execnz .LBB22_347
	s_branch .LBB22_348
.LBB22_2397:
	s_movk_i32 s4, 0x80
	v_cmp_eq_u16_sdwa s[12:13], v12, s4 src0_sel:BYTE_3 src1_sel:DWORD
	s_mov_b64 s[4:5], -1
                                        ; implicit-def: $sgpr10
	s_and_saveexec_b64 s[8:9], s[12:13]
; %bb.2398:
	s_mov_b32 s10, 0x7f800001
	s_xor_b64 s[4:5], exec, -1
; %bb.2399:
	s_or_b64 exec, exec, s[8:9]
	s_and_b64 s[4:5], s[4:5], exec
	s_or_saveexec_b64 s[6:7], s[6:7]
	v_mov_b32_e32 v11, s10
	s_xor_b64 exec, exec, s[6:7]
	s_cbranch_execz .LBB22_350
.LBB22_2400:
	v_mov_b32_e32 v11, 0
	v_cmp_ne_u16_sdwa s[8:9], v12, v11 src0_sel:BYTE_3 src1_sel:DWORD
	s_andn2_b64 s[4:5], s[4:5], exec
	s_and_b64 s[8:9], s[8:9], exec
	s_or_b64 s[4:5], s[4:5], s[8:9]
	s_or_b64 exec, exec, s[6:7]
	s_and_saveexec_b64 s[6:7], s[4:5]
	s_cbranch_execnz .LBB22_351
	s_branch .LBB22_352
.LBB22_2401:
	s_movk_i32 s4, 0x80
	v_cmp_eq_u16_sdwa s[12:13], v17, s4 src0_sel:BYTE_0 src1_sel:DWORD
	s_mov_b64 s[4:5], -1
                                        ; implicit-def: $sgpr10
	s_and_saveexec_b64 s[8:9], s[12:13]
; %bb.2402:
	s_mov_b32 s10, 0x7f800001
	s_xor_b64 s[4:5], exec, -1
; %bb.2403:
	s_or_b64 exec, exec, s[8:9]
	s_and_b64 s[4:5], s[4:5], exec
	s_or_saveexec_b64 s[6:7], s[6:7]
	v_mov_b32_e32 v10, s10
	s_xor_b64 exec, exec, s[6:7]
	s_cbranch_execz .LBB22_354
.LBB22_2404:
	v_mov_b32_e32 v10, 0
	v_cmp_ne_u16_sdwa s[8:9], v17, v10 src0_sel:BYTE_0 src1_sel:DWORD
	s_andn2_b64 s[4:5], s[4:5], exec
	s_and_b64 s[8:9], s[8:9], exec
	s_or_b64 s[4:5], s[4:5], s[8:9]
	s_or_b64 exec, exec, s[6:7]
	s_and_saveexec_b64 s[6:7], s[4:5]
	s_cbranch_execnz .LBB22_355
	s_branch .LBB22_356
.LBB22_2405:
	s_movk_i32 s4, 0x80
	v_cmp_eq_u16_sdwa s[12:13], v13, s4 src0_sel:BYTE_0 src1_sel:DWORD
	s_mov_b64 s[4:5], -1
                                        ; implicit-def: $sgpr10
	s_and_saveexec_b64 s[8:9], s[12:13]
; %bb.2406:
	s_mov_b32 s10, 0x7f800001
	s_xor_b64 s[4:5], exec, -1
; %bb.2407:
	s_or_b64 exec, exec, s[8:9]
	s_and_b64 s[4:5], s[4:5], exec
	s_or_saveexec_b64 s[6:7], s[6:7]
	v_mov_b32_e32 v11, s10
	s_xor_b64 exec, exec, s[6:7]
	s_cbranch_execz .LBB22_358
.LBB22_2408:
	v_mov_b32_e32 v11, 0
	v_cmp_ne_u16_sdwa s[8:9], v13, v11 src0_sel:BYTE_0 src1_sel:DWORD
	s_andn2_b64 s[4:5], s[4:5], exec
	s_and_b64 s[8:9], s[8:9], exec
	s_or_b64 s[4:5], s[4:5], s[8:9]
	s_or_b64 exec, exec, s[6:7]
	s_and_saveexec_b64 s[6:7], s[4:5]
	s_cbranch_execnz .LBB22_359
	s_branch .LBB22_360
.LBB22_2409:
	s_movk_i32 s4, 0x80
	v_cmp_eq_u16_sdwa s[12:13], v11, s4 src0_sel:BYTE_0 src1_sel:DWORD
	s_mov_b64 s[4:5], -1
                                        ; implicit-def: $sgpr10
	s_and_saveexec_b64 s[8:9], s[12:13]
; %bb.2410:
	s_mov_b32 s10, 0x7f800001
	s_xor_b64 s[4:5], exec, -1
; %bb.2411:
	s_or_b64 exec, exec, s[8:9]
	s_and_b64 s[4:5], s[4:5], exec
	s_or_saveexec_b64 s[6:7], s[6:7]
	v_mov_b32_e32 v10, s10
	s_xor_b64 exec, exec, s[6:7]
	s_cbranch_execz .LBB22_362
.LBB22_2412:
	v_mov_b32_e32 v10, 0
	v_cmp_ne_u16_sdwa s[8:9], v11, v10 src0_sel:BYTE_0 src1_sel:DWORD
	s_andn2_b64 s[4:5], s[4:5], exec
	s_and_b64 s[8:9], s[8:9], exec
	s_or_b64 s[4:5], s[4:5], s[8:9]
	s_or_b64 exec, exec, s[6:7]
	s_and_saveexec_b64 s[6:7], s[4:5]
	s_cbranch_execnz .LBB22_363
	s_branch .LBB22_364
.LBB22_2413:
	s_movk_i32 s4, 0x80
	v_cmp_eq_u16_sdwa s[12:13], v11, s4 src0_sel:BYTE_0 src1_sel:DWORD
	s_mov_b64 s[4:5], -1
                                        ; implicit-def: $sgpr10
	s_and_saveexec_b64 s[8:9], s[12:13]
; %bb.2414:
	s_mov_b32 s10, 0x7f800001
	s_xor_b64 s[4:5], exec, -1
; %bb.2415:
	s_or_b64 exec, exec, s[8:9]
	s_and_b64 s[4:5], s[4:5], exec
	s_or_saveexec_b64 s[6:7], s[6:7]
	v_mov_b32_e32 v12, s10
	s_xor_b64 exec, exec, s[6:7]
	s_cbranch_execz .LBB22_366
.LBB22_2416:
	v_mov_b32_e32 v12, 0
	v_cmp_ne_u16_sdwa s[8:9], v11, v12 src0_sel:BYTE_0 src1_sel:DWORD
	s_andn2_b64 s[4:5], s[4:5], exec
	s_and_b64 s[8:9], s[8:9], exec
	s_or_b64 s[4:5], s[4:5], s[8:9]
	s_or_b64 exec, exec, s[6:7]
	s_and_saveexec_b64 s[6:7], s[4:5]
	s_cbranch_execnz .LBB22_367
	s_branch .LBB22_368
.LBB22_2417:
	s_movk_i32 s4, 0x80
	v_cmp_eq_u16_e32 vcc, s4, v11
	s_mov_b64 s[4:5], -1
                                        ; implicit-def: $sgpr10
	s_and_saveexec_b64 s[8:9], vcc
; %bb.2418:
	s_mov_b32 s10, 0x7f800001
	s_xor_b64 s[4:5], exec, -1
; %bb.2419:
	s_or_b64 exec, exec, s[8:9]
	s_and_b64 s[4:5], s[4:5], exec
                                        ; implicit-def: $vgpr11
	s_or_saveexec_b64 s[6:7], s[6:7]
	v_mov_b32_e32 v10, s10
	s_xor_b64 exec, exec, s[6:7]
	s_cbranch_execz .LBB22_370
.LBB22_2420:
	v_cmp_ne_u16_e32 vcc, 0, v11
	s_andn2_b64 s[4:5], s[4:5], exec
	s_and_b64 s[8:9], vcc, exec
	v_mov_b32_e32 v10, 0
	s_or_b64 s[4:5], s[4:5], s[8:9]
	s_or_b64 exec, exec, s[6:7]
	s_and_saveexec_b64 s[6:7], s[4:5]
	s_cbranch_execnz .LBB22_371
	s_branch .LBB22_372
.LBB22_2421:
	s_movk_i32 s4, 0x80
	v_cmp_eq_u16_e32 vcc, s4, v11
	s_mov_b64 s[4:5], -1
                                        ; implicit-def: $sgpr10
	s_and_saveexec_b64 s[8:9], vcc
; %bb.2422:
	s_mov_b32 s10, 0x7f800001
	s_xor_b64 s[4:5], exec, -1
; %bb.2423:
	s_or_b64 exec, exec, s[8:9]
	s_and_b64 s[4:5], s[4:5], exec
                                        ; implicit-def: $vgpr11
	s_or_saveexec_b64 s[6:7], s[6:7]
	v_mov_b32_e32 v12, s10
	s_xor_b64 exec, exec, s[6:7]
	s_cbranch_execz .LBB22_374
.LBB22_2424:
	v_cmp_ne_u16_e32 vcc, 0, v11
	s_andn2_b64 s[4:5], s[4:5], exec
	s_and_b64 s[8:9], vcc, exec
	v_mov_b32_e32 v12, 0
	s_or_b64 s[4:5], s[4:5], s[8:9]
	s_or_b64 exec, exec, s[6:7]
	s_and_saveexec_b64 s[6:7], s[4:5]
	s_cbranch_execnz .LBB22_375
	s_branch .LBB22_376
.LBB22_2425:
	s_movk_i32 s4, 0x80
	v_cmp_eq_u16_sdwa s[12:13], v17, s4 src0_sel:BYTE_3 src1_sel:DWORD
	s_mov_b64 s[4:5], -1
                                        ; implicit-def: $sgpr10
	s_and_saveexec_b64 s[8:9], s[12:13]
; %bb.2426:
	s_mov_b32 s10, 0x7f800001
	s_xor_b64 s[4:5], exec, -1
; %bb.2427:
	s_or_b64 exec, exec, s[8:9]
	s_and_b64 s[4:5], s[4:5], exec
	s_or_saveexec_b64 s[6:7], s[6:7]
	v_mov_b32_e32 v10, s10
	s_xor_b64 exec, exec, s[6:7]
	s_cbranch_execz .LBB22_378
.LBB22_2428:
	v_mov_b32_e32 v10, 0
	v_cmp_ne_u16_sdwa s[8:9], v17, v10 src0_sel:BYTE_3 src1_sel:DWORD
	s_andn2_b64 s[4:5], s[4:5], exec
	s_and_b64 s[8:9], s[8:9], exec
	s_or_b64 s[4:5], s[4:5], s[8:9]
	s_or_b64 exec, exec, s[6:7]
	s_and_saveexec_b64 s[6:7], s[4:5]
	s_cbranch_execnz .LBB22_379
	s_branch .LBB22_380
.LBB22_2429:
	s_movk_i32 s4, 0x80
	v_cmp_eq_u16_sdwa s[12:13], v13, s4 src0_sel:BYTE_3 src1_sel:DWORD
	s_mov_b64 s[4:5], -1
                                        ; implicit-def: $sgpr10
	s_and_saveexec_b64 s[8:9], s[12:13]
; %bb.2430:
	s_mov_b32 s10, 0x7f800001
	s_xor_b64 s[4:5], exec, -1
; %bb.2431:
	s_or_b64 exec, exec, s[8:9]
	s_and_b64 s[4:5], s[4:5], exec
	s_or_saveexec_b64 s[6:7], s[6:7]
	v_mov_b32_e32 v11, s10
	s_xor_b64 exec, exec, s[6:7]
	s_cbranch_execz .LBB22_382
.LBB22_2432:
	v_mov_b32_e32 v11, 0
	v_cmp_ne_u16_sdwa s[8:9], v13, v11 src0_sel:BYTE_3 src1_sel:DWORD
	s_andn2_b64 s[4:5], s[4:5], exec
	s_and_b64 s[8:9], s[8:9], exec
	s_or_b64 s[4:5], s[4:5], s[8:9]
	s_or_b64 exec, exec, s[6:7]
	s_and_saveexec_b64 s[6:7], s[4:5]
	s_cbranch_execnz .LBB22_383
	s_branch .LBB22_384
.LBB22_2433:
	s_movk_i32 s4, 0x80
	v_cmp_eq_u16_sdwa s[12:13], v6, s4 src0_sel:BYTE_0 src1_sel:DWORD
	s_mov_b64 s[4:5], -1
                                        ; implicit-def: $sgpr10
	s_and_saveexec_b64 s[8:9], s[12:13]
; %bb.2434:
	s_mov_b32 s10, 0x7f800001
	s_xor_b64 s[4:5], exec, -1
; %bb.2435:
	s_or_b64 exec, exec, s[8:9]
	s_and_b64 s[4:5], s[4:5], exec
	s_or_saveexec_b64 s[6:7], s[6:7]
	v_mov_b32_e32 v10, s10
	s_xor_b64 exec, exec, s[6:7]
	s_cbranch_execz .LBB22_386
.LBB22_2436:
	v_mov_b32_e32 v10, 0
	v_cmp_ne_u16_sdwa s[8:9], v6, v10 src0_sel:BYTE_0 src1_sel:DWORD
	s_andn2_b64 s[4:5], s[4:5], exec
	s_and_b64 s[8:9], s[8:9], exec
	s_or_b64 s[4:5], s[4:5], s[8:9]
	s_or_b64 exec, exec, s[6:7]
	s_and_saveexec_b64 s[6:7], s[4:5]
	s_cbranch_execnz .LBB22_387
	s_branch .LBB22_388
.LBB22_2437:
	s_movk_i32 s4, 0x80
	v_cmp_eq_u16_sdwa s[12:13], v2, s4 src0_sel:BYTE_0 src1_sel:DWORD
	s_mov_b64 s[4:5], -1
                                        ; implicit-def: $sgpr10
	s_and_saveexec_b64 s[8:9], s[12:13]
; %bb.2438:
	s_mov_b32 s10, 0x7f800001
	s_xor_b64 s[4:5], exec, -1
; %bb.2439:
	s_or_b64 exec, exec, s[8:9]
	s_and_b64 s[4:5], s[4:5], exec
	s_or_saveexec_b64 s[6:7], s[6:7]
	v_mov_b32_e32 v11, s10
	s_xor_b64 exec, exec, s[6:7]
	s_cbranch_execz .LBB22_390
.LBB22_2440:
	v_mov_b32_e32 v11, 0
	v_cmp_ne_u16_sdwa s[8:9], v2, v11 src0_sel:BYTE_0 src1_sel:DWORD
	s_andn2_b64 s[4:5], s[4:5], exec
	s_and_b64 s[8:9], s[8:9], exec
	s_or_b64 s[4:5], s[4:5], s[8:9]
	s_or_b64 exec, exec, s[6:7]
	s_and_saveexec_b64 s[6:7], s[4:5]
	s_cbranch_execnz .LBB22_391
	s_branch .LBB22_392
.LBB22_2441:
	s_movk_i32 s4, 0x80
	v_cmp_eq_u16_sdwa s[12:13], v11, s4 src0_sel:BYTE_0 src1_sel:DWORD
	s_mov_b64 s[4:5], -1
                                        ; implicit-def: $sgpr10
	s_and_saveexec_b64 s[8:9], s[12:13]
; %bb.2442:
	s_mov_b32 s10, 0x7f800001
	s_xor_b64 s[4:5], exec, -1
; %bb.2443:
	s_or_b64 exec, exec, s[8:9]
	s_and_b64 s[4:5], s[4:5], exec
	s_or_saveexec_b64 s[6:7], s[6:7]
	v_mov_b32_e32 v10, s10
	s_xor_b64 exec, exec, s[6:7]
	s_cbranch_execz .LBB22_394
.LBB22_2444:
	v_mov_b32_e32 v10, 0
	v_cmp_ne_u16_sdwa s[8:9], v11, v10 src0_sel:BYTE_0 src1_sel:DWORD
	s_andn2_b64 s[4:5], s[4:5], exec
	s_and_b64 s[8:9], s[8:9], exec
	s_or_b64 s[4:5], s[4:5], s[8:9]
	s_or_b64 exec, exec, s[6:7]
	s_and_saveexec_b64 s[6:7], s[4:5]
	s_cbranch_execnz .LBB22_395
	s_branch .LBB22_396
.LBB22_2445:
	s_movk_i32 s4, 0x80
	v_cmp_eq_u16_sdwa s[12:13], v11, s4 src0_sel:BYTE_0 src1_sel:DWORD
	s_mov_b64 s[4:5], -1
                                        ; implicit-def: $sgpr10
	s_and_saveexec_b64 s[8:9], s[12:13]
; %bb.2446:
	s_mov_b32 s10, 0x7f800001
	s_xor_b64 s[4:5], exec, -1
; %bb.2447:
	s_or_b64 exec, exec, s[8:9]
	s_and_b64 s[4:5], s[4:5], exec
	s_or_saveexec_b64 s[6:7], s[6:7]
	v_mov_b32_e32 v12, s10
	s_xor_b64 exec, exec, s[6:7]
	s_cbranch_execz .LBB22_398
.LBB22_2448:
	v_mov_b32_e32 v12, 0
	v_cmp_ne_u16_sdwa s[8:9], v11, v12 src0_sel:BYTE_0 src1_sel:DWORD
	s_andn2_b64 s[4:5], s[4:5], exec
	s_and_b64 s[8:9], s[8:9], exec
	s_or_b64 s[4:5], s[4:5], s[8:9]
	s_or_b64 exec, exec, s[6:7]
	s_and_saveexec_b64 s[6:7], s[4:5]
	s_cbranch_execnz .LBB22_399
	s_branch .LBB22_400
.LBB22_2449:
	s_movk_i32 s4, 0x80
	v_cmp_eq_u16_e32 vcc, s4, v11
	s_mov_b64 s[4:5], -1
                                        ; implicit-def: $sgpr10
	s_and_saveexec_b64 s[8:9], vcc
; %bb.2450:
	s_mov_b32 s10, 0x7f800001
	s_xor_b64 s[4:5], exec, -1
; %bb.2451:
	s_or_b64 exec, exec, s[8:9]
	s_and_b64 s[4:5], s[4:5], exec
                                        ; implicit-def: $vgpr11
	s_or_saveexec_b64 s[6:7], s[6:7]
	v_mov_b32_e32 v10, s10
	s_xor_b64 exec, exec, s[6:7]
	s_cbranch_execz .LBB22_402
.LBB22_2452:
	v_cmp_ne_u16_e32 vcc, 0, v11
	s_andn2_b64 s[4:5], s[4:5], exec
	s_and_b64 s[8:9], vcc, exec
	v_mov_b32_e32 v10, 0
	s_or_b64 s[4:5], s[4:5], s[8:9]
	s_or_b64 exec, exec, s[6:7]
	s_and_saveexec_b64 s[6:7], s[4:5]
	s_cbranch_execnz .LBB22_403
	s_branch .LBB22_404
.LBB22_2453:
	s_movk_i32 s4, 0x80
	v_cmp_eq_u16_e32 vcc, s4, v11
	s_mov_b64 s[4:5], -1
                                        ; implicit-def: $sgpr10
	s_and_saveexec_b64 s[8:9], vcc
; %bb.2454:
	s_mov_b32 s10, 0x7f800001
	s_xor_b64 s[4:5], exec, -1
; %bb.2455:
	s_or_b64 exec, exec, s[8:9]
	s_and_b64 s[4:5], s[4:5], exec
                                        ; implicit-def: $vgpr11
	s_or_saveexec_b64 s[6:7], s[6:7]
	v_mov_b32_e32 v12, s10
	s_xor_b64 exec, exec, s[6:7]
	s_cbranch_execz .LBB22_406
.LBB22_2456:
	v_cmp_ne_u16_e32 vcc, 0, v11
	s_andn2_b64 s[4:5], s[4:5], exec
	s_and_b64 s[8:9], vcc, exec
	v_mov_b32_e32 v12, 0
	s_or_b64 s[4:5], s[4:5], s[8:9]
	s_or_b64 exec, exec, s[6:7]
	s_and_saveexec_b64 s[6:7], s[4:5]
	s_cbranch_execnz .LBB22_407
	s_branch .LBB22_408
.LBB22_2457:
	s_movk_i32 s4, 0x80
	v_cmp_eq_u16_sdwa s[12:13], v6, s4 src0_sel:BYTE_3 src1_sel:DWORD
	s_mov_b64 s[4:5], -1
                                        ; implicit-def: $sgpr10
	s_and_saveexec_b64 s[8:9], s[12:13]
; %bb.2458:
	s_mov_b32 s10, 0x7f800001
	s_xor_b64 s[4:5], exec, -1
; %bb.2459:
	s_or_b64 exec, exec, s[8:9]
	s_and_b64 s[4:5], s[4:5], exec
	s_or_saveexec_b64 s[6:7], s[6:7]
	v_mov_b32_e32 v10, s10
	s_xor_b64 exec, exec, s[6:7]
	s_cbranch_execz .LBB22_410
.LBB22_2460:
	v_mov_b32_e32 v10, 0
	v_cmp_ne_u16_sdwa s[8:9], v6, v10 src0_sel:BYTE_3 src1_sel:DWORD
	s_andn2_b64 s[4:5], s[4:5], exec
	s_and_b64 s[8:9], s[8:9], exec
	s_or_b64 s[4:5], s[4:5], s[8:9]
	s_or_b64 exec, exec, s[6:7]
	s_and_saveexec_b64 s[6:7], s[4:5]
	s_cbranch_execnz .LBB22_411
	s_branch .LBB22_412
.LBB22_2461:
	s_movk_i32 s4, 0x80
	v_cmp_eq_u16_sdwa s[12:13], v2, s4 src0_sel:BYTE_3 src1_sel:DWORD
	s_mov_b64 s[4:5], -1
                                        ; implicit-def: $sgpr10
	s_and_saveexec_b64 s[8:9], s[12:13]
; %bb.2462:
	s_mov_b32 s10, 0x7f800001
	s_xor_b64 s[4:5], exec, -1
; %bb.2463:
	s_or_b64 exec, exec, s[8:9]
	s_and_b64 s[4:5], s[4:5], exec
	s_or_saveexec_b64 s[6:7], s[6:7]
	v_mov_b32_e32 v6, s10
	s_xor_b64 exec, exec, s[6:7]
	s_cbranch_execz .LBB22_414
.LBB22_2464:
	v_mov_b32_e32 v6, 0
	v_cmp_ne_u16_sdwa s[8:9], v2, v6 src0_sel:BYTE_3 src1_sel:DWORD
	s_andn2_b64 s[4:5], s[4:5], exec
	s_and_b64 s[8:9], s[8:9], exec
	s_or_b64 s[4:5], s[4:5], s[8:9]
	s_or_b64 exec, exec, s[6:7]
	s_and_saveexec_b64 s[6:7], s[4:5]
	s_cbranch_execnz .LBB22_415
	s_branch .LBB22_416
.LBB22_2465:
	s_movk_i32 s4, 0x80
	v_cmp_eq_u16_sdwa s[12:13], v7, s4 src0_sel:BYTE_0 src1_sel:DWORD
	s_mov_b64 s[4:5], -1
                                        ; implicit-def: $sgpr10
	s_and_saveexec_b64 s[8:9], s[12:13]
; %bb.2466:
	s_mov_b32 s10, 0x7f800001
	s_xor_b64 s[4:5], exec, -1
; %bb.2467:
	s_or_b64 exec, exec, s[8:9]
	s_and_b64 s[4:5], s[4:5], exec
	s_or_saveexec_b64 s[6:7], s[6:7]
	v_mov_b32_e32 v2, s10
	s_xor_b64 exec, exec, s[6:7]
	s_cbranch_execz .LBB22_418
.LBB22_2468:
	v_mov_b32_e32 v2, 0
	v_cmp_ne_u16_sdwa s[8:9], v7, v2 src0_sel:BYTE_0 src1_sel:DWORD
	s_andn2_b64 s[4:5], s[4:5], exec
	s_and_b64 s[8:9], s[8:9], exec
	s_or_b64 s[4:5], s[4:5], s[8:9]
	s_or_b64 exec, exec, s[6:7]
	s_and_saveexec_b64 s[6:7], s[4:5]
	s_cbranch_execnz .LBB22_419
	s_branch .LBB22_420
.LBB22_2469:
	s_movk_i32 s4, 0x80
	v_cmp_eq_u16_sdwa s[12:13], v3, s4 src0_sel:BYTE_0 src1_sel:DWORD
	s_mov_b64 s[4:5], -1
                                        ; implicit-def: $sgpr10
	s_and_saveexec_b64 s[8:9], s[12:13]
; %bb.2470:
	s_mov_b32 s10, 0x7f800001
	s_xor_b64 s[4:5], exec, -1
; %bb.2471:
	s_or_b64 exec, exec, s[8:9]
	s_and_b64 s[4:5], s[4:5], exec
	s_or_saveexec_b64 s[6:7], s[6:7]
	v_mov_b32_e32 v6, s10
	s_xor_b64 exec, exec, s[6:7]
	s_cbranch_execz .LBB22_422
.LBB22_2472:
	v_mov_b32_e32 v6, 0
	v_cmp_ne_u16_sdwa s[8:9], v3, v6 src0_sel:BYTE_0 src1_sel:DWORD
	s_andn2_b64 s[4:5], s[4:5], exec
	s_and_b64 s[8:9], s[8:9], exec
	s_or_b64 s[4:5], s[4:5], s[8:9]
	s_or_b64 exec, exec, s[6:7]
	s_and_saveexec_b64 s[6:7], s[4:5]
	s_cbranch_execnz .LBB22_423
	s_branch .LBB22_424
.LBB22_2473:
	s_movk_i32 s4, 0x80
	v_cmp_eq_u16_sdwa s[12:13], v6, s4 src0_sel:BYTE_0 src1_sel:DWORD
	s_mov_b64 s[4:5], -1
                                        ; implicit-def: $sgpr10
	s_and_saveexec_b64 s[8:9], s[12:13]
; %bb.2474:
	s_mov_b32 s10, 0x7f800001
	s_xor_b64 s[4:5], exec, -1
; %bb.2475:
	s_or_b64 exec, exec, s[8:9]
	s_and_b64 s[4:5], s[4:5], exec
	s_or_saveexec_b64 s[6:7], s[6:7]
	v_mov_b32_e32 v2, s10
	s_xor_b64 exec, exec, s[6:7]
	s_cbranch_execz .LBB22_426
.LBB22_2476:
	v_mov_b32_e32 v2, 0
	v_cmp_ne_u16_sdwa s[8:9], v6, v2 src0_sel:BYTE_0 src1_sel:DWORD
	s_andn2_b64 s[4:5], s[4:5], exec
	s_and_b64 s[8:9], s[8:9], exec
	s_or_b64 s[4:5], s[4:5], s[8:9]
	s_or_b64 exec, exec, s[6:7]
	s_and_saveexec_b64 s[6:7], s[4:5]
	s_cbranch_execnz .LBB22_427
	s_branch .LBB22_428
.LBB22_2477:
	s_movk_i32 s4, 0x80
	v_cmp_eq_u16_sdwa s[12:13], v6, s4 src0_sel:BYTE_0 src1_sel:DWORD
	s_mov_b64 s[4:5], -1
                                        ; implicit-def: $sgpr10
	s_and_saveexec_b64 s[8:9], s[12:13]
; %bb.2478:
	s_mov_b32 s10, 0x7f800001
	s_xor_b64 s[4:5], exec, -1
; %bb.2479:
	s_or_b64 exec, exec, s[8:9]
	s_and_b64 s[4:5], s[4:5], exec
	s_or_saveexec_b64 s[6:7], s[6:7]
	v_mov_b32_e32 v10, s10
	s_xor_b64 exec, exec, s[6:7]
	s_cbranch_execz .LBB22_430
.LBB22_2480:
	v_mov_b32_e32 v10, 0
	v_cmp_ne_u16_sdwa s[8:9], v6, v10 src0_sel:BYTE_0 src1_sel:DWORD
	s_andn2_b64 s[4:5], s[4:5], exec
	s_and_b64 s[8:9], s[8:9], exec
	s_or_b64 s[4:5], s[4:5], s[8:9]
	s_or_b64 exec, exec, s[6:7]
	s_and_saveexec_b64 s[6:7], s[4:5]
	s_cbranch_execnz .LBB22_431
	s_branch .LBB22_432
.LBB22_2481:
	s_movk_i32 s4, 0x80
	v_cmp_eq_u16_e32 vcc, s4, v6
	s_mov_b64 s[4:5], -1
                                        ; implicit-def: $sgpr10
	s_and_saveexec_b64 s[8:9], vcc
; %bb.2482:
	s_mov_b32 s10, 0x7f800001
	s_xor_b64 s[4:5], exec, -1
; %bb.2483:
	s_or_b64 exec, exec, s[8:9]
	s_and_b64 s[4:5], s[4:5], exec
                                        ; implicit-def: $vgpr6
	s_or_saveexec_b64 s[6:7], s[6:7]
	v_mov_b32_e32 v2, s10
	s_xor_b64 exec, exec, s[6:7]
	s_cbranch_execz .LBB22_434
.LBB22_2484:
	v_cmp_ne_u16_e32 vcc, 0, v6
	s_andn2_b64 s[4:5], s[4:5], exec
	s_and_b64 s[8:9], vcc, exec
	v_mov_b32_e32 v2, 0
	s_or_b64 s[4:5], s[4:5], s[8:9]
	s_or_b64 exec, exec, s[6:7]
	s_and_saveexec_b64 s[6:7], s[4:5]
	s_cbranch_execnz .LBB22_435
	s_branch .LBB22_436
.LBB22_2485:
	s_movk_i32 s4, 0x80
	v_cmp_eq_u16_e32 vcc, s4, v6
	s_mov_b64 s[4:5], -1
                                        ; implicit-def: $sgpr10
	s_and_saveexec_b64 s[8:9], vcc
; %bb.2486:
	s_mov_b32 s10, 0x7f800001
	s_xor_b64 s[4:5], exec, -1
; %bb.2487:
	s_or_b64 exec, exec, s[8:9]
	s_and_b64 s[4:5], s[4:5], exec
                                        ; implicit-def: $vgpr6
	s_or_saveexec_b64 s[6:7], s[6:7]
	v_mov_b32_e32 v10, s10
	s_xor_b64 exec, exec, s[6:7]
	s_cbranch_execz .LBB22_438
.LBB22_2488:
	v_cmp_ne_u16_e32 vcc, 0, v6
	s_andn2_b64 s[4:5], s[4:5], exec
	s_and_b64 s[8:9], vcc, exec
	v_mov_b32_e32 v10, 0
	s_or_b64 s[4:5], s[4:5], s[8:9]
	s_or_b64 exec, exec, s[6:7]
	s_and_saveexec_b64 s[6:7], s[4:5]
	s_cbranch_execnz .LBB22_439
	s_branch .LBB22_440
.LBB22_2489:
	s_movk_i32 s4, 0x80
	v_cmp_eq_u16_sdwa s[12:13], v7, s4 src0_sel:BYTE_3 src1_sel:DWORD
	s_mov_b64 s[4:5], -1
                                        ; implicit-def: $sgpr10
	s_and_saveexec_b64 s[8:9], s[12:13]
; %bb.2490:
	s_mov_b32 s10, 0x7f800001
	s_xor_b64 s[4:5], exec, -1
; %bb.2491:
	s_or_b64 exec, exec, s[8:9]
	s_and_b64 s[4:5], s[4:5], exec
	s_or_saveexec_b64 s[6:7], s[6:7]
	v_mov_b32_e32 v2, s10
	s_xor_b64 exec, exec, s[6:7]
	s_cbranch_execz .LBB22_442
.LBB22_2492:
	v_mov_b32_e32 v2, 0
	v_cmp_ne_u16_sdwa s[8:9], v7, v2 src0_sel:BYTE_3 src1_sel:DWORD
	s_andn2_b64 s[4:5], s[4:5], exec
	s_and_b64 s[8:9], s[8:9], exec
	s_or_b64 s[4:5], s[4:5], s[8:9]
	s_or_b64 exec, exec, s[6:7]
	s_and_saveexec_b64 s[6:7], s[4:5]
	s_cbranch_execnz .LBB22_443
	s_branch .LBB22_444
.LBB22_2493:
	s_movk_i32 s4, 0x80
	v_cmp_eq_u16_sdwa s[12:13], v3, s4 src0_sel:BYTE_3 src1_sel:DWORD
	s_mov_b64 s[4:5], -1
                                        ; implicit-def: $sgpr10
	s_and_saveexec_b64 s[8:9], s[12:13]
; %bb.2494:
	s_mov_b32 s10, 0x7f800001
	s_xor_b64 s[4:5], exec, -1
; %bb.2495:
	s_or_b64 exec, exec, s[8:9]
	s_and_b64 s[4:5], s[4:5], exec
	s_or_saveexec_b64 s[6:7], s[6:7]
	v_mov_b32_e32 v6, s10
	s_xor_b64 exec, exec, s[6:7]
	s_cbranch_execz .LBB22_446
.LBB22_2496:
	v_mov_b32_e32 v6, 0
	v_cmp_ne_u16_sdwa s[8:9], v3, v6 src0_sel:BYTE_3 src1_sel:DWORD
	s_andn2_b64 s[4:5], s[4:5], exec
	s_and_b64 s[8:9], s[8:9], exec
	s_or_b64 s[4:5], s[4:5], s[8:9]
	s_or_b64 exec, exec, s[6:7]
	s_and_saveexec_b64 s[6:7], s[4:5]
	s_cbranch_execnz .LBB22_447
	s_branch .LBB22_448
.LBB22_2497:
	s_movk_i32 s4, 0x80
	v_cmp_eq_u16_sdwa s[12:13], v8, s4 src0_sel:BYTE_0 src1_sel:DWORD
	s_mov_b64 s[4:5], -1
                                        ; implicit-def: $sgpr10
	s_and_saveexec_b64 s[8:9], s[12:13]
; %bb.2498:
	s_mov_b32 s10, 0x7f800001
	s_xor_b64 s[4:5], exec, -1
; %bb.2499:
	s_or_b64 exec, exec, s[8:9]
	s_and_b64 s[4:5], s[4:5], exec
	s_or_saveexec_b64 s[6:7], s[6:7]
	v_mov_b32_e32 v2, s10
	s_xor_b64 exec, exec, s[6:7]
	s_cbranch_execz .LBB22_450
.LBB22_2500:
	v_mov_b32_e32 v2, 0
	v_cmp_ne_u16_sdwa s[8:9], v8, v2 src0_sel:BYTE_0 src1_sel:DWORD
	s_andn2_b64 s[4:5], s[4:5], exec
	s_and_b64 s[8:9], s[8:9], exec
	s_or_b64 s[4:5], s[4:5], s[8:9]
	s_or_b64 exec, exec, s[6:7]
	s_and_saveexec_b64 s[6:7], s[4:5]
	s_cbranch_execnz .LBB22_451
	s_branch .LBB22_452
.LBB22_2501:
	s_movk_i32 s4, 0x80
	v_cmp_eq_u16_sdwa s[12:13], v4, s4 src0_sel:BYTE_0 src1_sel:DWORD
	s_mov_b64 s[4:5], -1
                                        ; implicit-def: $sgpr10
	s_and_saveexec_b64 s[8:9], s[12:13]
; %bb.2502:
	s_mov_b32 s10, 0x7f800001
	s_xor_b64 s[4:5], exec, -1
; %bb.2503:
	s_or_b64 exec, exec, s[8:9]
	s_and_b64 s[4:5], s[4:5], exec
	s_or_saveexec_b64 s[6:7], s[6:7]
	v_mov_b32_e32 v3, s10
	s_xor_b64 exec, exec, s[6:7]
	s_cbranch_execz .LBB22_454
.LBB22_2504:
	v_mov_b32_e32 v3, 0
	v_cmp_ne_u16_sdwa s[8:9], v4, v3 src0_sel:BYTE_0 src1_sel:DWORD
	s_andn2_b64 s[4:5], s[4:5], exec
	s_and_b64 s[8:9], s[8:9], exec
	s_or_b64 s[4:5], s[4:5], s[8:9]
	s_or_b64 exec, exec, s[6:7]
	s_and_saveexec_b64 s[6:7], s[4:5]
	s_cbranch_execnz .LBB22_455
	s_branch .LBB22_456
.LBB22_2505:
	s_movk_i32 s4, 0x80
	v_cmp_eq_u16_sdwa s[12:13], v3, s4 src0_sel:BYTE_0 src1_sel:DWORD
	s_mov_b64 s[4:5], -1
                                        ; implicit-def: $sgpr10
	s_and_saveexec_b64 s[8:9], s[12:13]
; %bb.2506:
	s_mov_b32 s10, 0x7f800001
	s_xor_b64 s[4:5], exec, -1
; %bb.2507:
	s_or_b64 exec, exec, s[8:9]
	s_and_b64 s[4:5], s[4:5], exec
	s_or_saveexec_b64 s[6:7], s[6:7]
	v_mov_b32_e32 v2, s10
	s_xor_b64 exec, exec, s[6:7]
	s_cbranch_execz .LBB22_458
.LBB22_2508:
	v_mov_b32_e32 v2, 0
	v_cmp_ne_u16_sdwa s[8:9], v3, v2 src0_sel:BYTE_0 src1_sel:DWORD
	s_andn2_b64 s[4:5], s[4:5], exec
	s_and_b64 s[8:9], s[8:9], exec
	s_or_b64 s[4:5], s[4:5], s[8:9]
	s_or_b64 exec, exec, s[6:7]
	s_and_saveexec_b64 s[6:7], s[4:5]
	s_cbranch_execnz .LBB22_459
	s_branch .LBB22_460
.LBB22_2509:
	s_movk_i32 s4, 0x80
	v_cmp_eq_u16_sdwa s[12:13], v3, s4 src0_sel:BYTE_0 src1_sel:DWORD
	s_mov_b64 s[4:5], -1
                                        ; implicit-def: $sgpr10
	s_and_saveexec_b64 s[8:9], s[12:13]
; %bb.2510:
	s_mov_b32 s10, 0x7f800001
	s_xor_b64 s[4:5], exec, -1
; %bb.2511:
	s_or_b64 exec, exec, s[8:9]
	s_and_b64 s[4:5], s[4:5], exec
	s_or_saveexec_b64 s[6:7], s[6:7]
	v_mov_b32_e32 v6, s10
	s_xor_b64 exec, exec, s[6:7]
	s_cbranch_execz .LBB22_462
.LBB22_2512:
	v_mov_b32_e32 v6, 0
	v_cmp_ne_u16_sdwa s[8:9], v3, v6 src0_sel:BYTE_0 src1_sel:DWORD
	s_andn2_b64 s[4:5], s[4:5], exec
	s_and_b64 s[8:9], s[8:9], exec
	s_or_b64 s[4:5], s[4:5], s[8:9]
	s_or_b64 exec, exec, s[6:7]
	s_and_saveexec_b64 s[6:7], s[4:5]
	s_cbranch_execnz .LBB22_463
	s_branch .LBB22_464
.LBB22_2513:
	s_movk_i32 s4, 0x80
	v_cmp_eq_u16_e32 vcc, s4, v3
	s_mov_b64 s[4:5], -1
                                        ; implicit-def: $sgpr10
	s_and_saveexec_b64 s[8:9], vcc
; %bb.2514:
	s_mov_b32 s10, 0x7f800001
	s_xor_b64 s[4:5], exec, -1
; %bb.2515:
	s_or_b64 exec, exec, s[8:9]
	s_and_b64 s[4:5], s[4:5], exec
                                        ; implicit-def: $vgpr3
	s_or_saveexec_b64 s[6:7], s[6:7]
	v_mov_b32_e32 v2, s10
	s_xor_b64 exec, exec, s[6:7]
	s_cbranch_execz .LBB22_466
.LBB22_2516:
	v_cmp_ne_u16_e32 vcc, 0, v3
	s_andn2_b64 s[4:5], s[4:5], exec
	s_and_b64 s[8:9], vcc, exec
	v_mov_b32_e32 v2, 0
	s_or_b64 s[4:5], s[4:5], s[8:9]
	s_or_b64 exec, exec, s[6:7]
	s_and_saveexec_b64 s[6:7], s[4:5]
	s_cbranch_execnz .LBB22_467
	s_branch .LBB22_468
.LBB22_2517:
	s_movk_i32 s4, 0x80
	v_cmp_eq_u16_e32 vcc, s4, v3
	s_mov_b64 s[4:5], -1
                                        ; implicit-def: $sgpr10
	s_and_saveexec_b64 s[8:9], vcc
; %bb.2518:
	s_mov_b32 s10, 0x7f800001
	s_xor_b64 s[4:5], exec, -1
; %bb.2519:
	s_or_b64 exec, exec, s[8:9]
	s_and_b64 s[4:5], s[4:5], exec
                                        ; implicit-def: $vgpr3
	s_or_saveexec_b64 s[6:7], s[6:7]
	v_mov_b32_e32 v6, s10
	s_xor_b64 exec, exec, s[6:7]
	s_cbranch_execz .LBB22_470
.LBB22_2520:
	v_cmp_ne_u16_e32 vcc, 0, v3
	s_andn2_b64 s[4:5], s[4:5], exec
	s_and_b64 s[8:9], vcc, exec
	v_mov_b32_e32 v6, 0
	s_or_b64 s[4:5], s[4:5], s[8:9]
	s_or_b64 exec, exec, s[6:7]
	s_and_saveexec_b64 s[6:7], s[4:5]
	s_cbranch_execnz .LBB22_471
	s_branch .LBB22_472
.LBB22_2521:
	s_movk_i32 s4, 0x80
	v_cmp_eq_u16_sdwa s[12:13], v8, s4 src0_sel:BYTE_3 src1_sel:DWORD
	s_mov_b64 s[4:5], -1
                                        ; implicit-def: $sgpr10
	s_and_saveexec_b64 s[8:9], s[12:13]
; %bb.2522:
	s_mov_b32 s10, 0x7f800001
	s_xor_b64 s[4:5], exec, -1
; %bb.2523:
	s_or_b64 exec, exec, s[8:9]
	s_and_b64 s[4:5], s[4:5], exec
	s_or_saveexec_b64 s[6:7], s[6:7]
	v_mov_b32_e32 v2, s10
	s_xor_b64 exec, exec, s[6:7]
	s_cbranch_execz .LBB22_474
.LBB22_2524:
	v_mov_b32_e32 v2, 0
	v_cmp_ne_u16_sdwa s[8:9], v8, v2 src0_sel:BYTE_3 src1_sel:DWORD
	s_andn2_b64 s[4:5], s[4:5], exec
	s_and_b64 s[8:9], s[8:9], exec
	s_or_b64 s[4:5], s[4:5], s[8:9]
	s_or_b64 exec, exec, s[6:7]
	s_and_saveexec_b64 s[6:7], s[4:5]
	s_cbranch_execnz .LBB22_475
	s_branch .LBB22_476
.LBB22_2525:
	s_movk_i32 s4, 0x80
	v_cmp_eq_u16_sdwa s[12:13], v4, s4 src0_sel:BYTE_3 src1_sel:DWORD
	s_mov_b64 s[4:5], -1
                                        ; implicit-def: $sgpr10
	s_and_saveexec_b64 s[8:9], s[12:13]
; %bb.2526:
	s_mov_b32 s10, 0x7f800001
	s_xor_b64 s[4:5], exec, -1
; %bb.2527:
	s_or_b64 exec, exec, s[8:9]
	s_and_b64 s[4:5], s[4:5], exec
	s_or_saveexec_b64 s[6:7], s[6:7]
	v_mov_b32_e32 v3, s10
	s_xor_b64 exec, exec, s[6:7]
	s_cbranch_execz .LBB22_478
.LBB22_2528:
	v_mov_b32_e32 v3, 0
	v_cmp_ne_u16_sdwa s[8:9], v4, v3 src0_sel:BYTE_3 src1_sel:DWORD
	s_andn2_b64 s[4:5], s[4:5], exec
	s_and_b64 s[8:9], s[8:9], exec
	s_or_b64 s[4:5], s[4:5], s[8:9]
	s_or_b64 exec, exec, s[6:7]
	s_and_saveexec_b64 s[6:7], s[4:5]
	s_cbranch_execnz .LBB22_479
	s_branch .LBB22_480
.LBB22_2529:
	s_movk_i32 s4, 0x80
	v_cmp_eq_u16_sdwa s[12:13], v9, s4 src0_sel:BYTE_0 src1_sel:DWORD
	s_mov_b64 s[4:5], -1
                                        ; implicit-def: $sgpr10
	s_and_saveexec_b64 s[8:9], s[12:13]
; %bb.2530:
	s_mov_b32 s10, 0x7f800001
	s_xor_b64 s[4:5], exec, -1
; %bb.2531:
	s_or_b64 exec, exec, s[8:9]
	s_and_b64 s[4:5], s[4:5], exec
	s_or_saveexec_b64 s[6:7], s[6:7]
	v_mov_b32_e32 v2, s10
	s_xor_b64 exec, exec, s[6:7]
	s_cbranch_execz .LBB22_482
.LBB22_2532:
	v_mov_b32_e32 v2, 0
	v_cmp_ne_u16_sdwa s[8:9], v9, v2 src0_sel:BYTE_0 src1_sel:DWORD
	s_andn2_b64 s[4:5], s[4:5], exec
	s_and_b64 s[8:9], s[8:9], exec
	s_or_b64 s[4:5], s[4:5], s[8:9]
	s_or_b64 exec, exec, s[6:7]
	s_and_saveexec_b64 s[6:7], s[4:5]
	s_cbranch_execnz .LBB22_483
	s_branch .LBB22_484
.LBB22_2533:
	s_movk_i32 s4, 0x80
	v_cmp_eq_u16_sdwa s[12:13], v5, s4 src0_sel:BYTE_0 src1_sel:DWORD
	s_mov_b64 s[4:5], -1
                                        ; implicit-def: $sgpr10
	s_and_saveexec_b64 s[8:9], s[12:13]
; %bb.2534:
	s_mov_b32 s10, 0x7f800001
	s_xor_b64 s[4:5], exec, -1
; %bb.2535:
	s_or_b64 exec, exec, s[8:9]
	s_and_b64 s[4:5], s[4:5], exec
	s_or_saveexec_b64 s[6:7], s[6:7]
	v_mov_b32_e32 v3, s10
	s_xor_b64 exec, exec, s[6:7]
	s_cbranch_execz .LBB22_486
.LBB22_2536:
	v_mov_b32_e32 v3, 0
	v_cmp_ne_u16_sdwa s[8:9], v5, v3 src0_sel:BYTE_0 src1_sel:DWORD
	s_andn2_b64 s[4:5], s[4:5], exec
	s_and_b64 s[8:9], s[8:9], exec
	s_or_b64 s[4:5], s[4:5], s[8:9]
	s_or_b64 exec, exec, s[6:7]
	s_and_saveexec_b64 s[6:7], s[4:5]
	s_cbranch_execnz .LBB22_487
	s_branch .LBB22_488
.LBB22_2537:
	s_movk_i32 s4, 0x80
	v_cmp_eq_u16_sdwa s[12:13], v3, s4 src0_sel:BYTE_0 src1_sel:DWORD
	s_mov_b64 s[4:5], -1
                                        ; implicit-def: $sgpr10
	s_and_saveexec_b64 s[8:9], s[12:13]
; %bb.2538:
	s_mov_b32 s10, 0x7f800001
	s_xor_b64 s[4:5], exec, -1
; %bb.2539:
	s_or_b64 exec, exec, s[8:9]
	s_and_b64 s[4:5], s[4:5], exec
	s_or_saveexec_b64 s[6:7], s[6:7]
	v_mov_b32_e32 v2, s10
	s_xor_b64 exec, exec, s[6:7]
	s_cbranch_execz .LBB22_490
.LBB22_2540:
	v_mov_b32_e32 v2, 0
	v_cmp_ne_u16_sdwa s[8:9], v3, v2 src0_sel:BYTE_0 src1_sel:DWORD
	s_andn2_b64 s[4:5], s[4:5], exec
	s_and_b64 s[8:9], s[8:9], exec
	s_or_b64 s[4:5], s[4:5], s[8:9]
	s_or_b64 exec, exec, s[6:7]
	s_and_saveexec_b64 s[6:7], s[4:5]
	s_cbranch_execnz .LBB22_491
	s_branch .LBB22_492
.LBB22_2541:
	s_movk_i32 s4, 0x80
	v_cmp_eq_u16_sdwa s[12:13], v3, s4 src0_sel:BYTE_0 src1_sel:DWORD
	s_mov_b64 s[4:5], -1
                                        ; implicit-def: $sgpr10
	s_and_saveexec_b64 s[8:9], s[12:13]
; %bb.2542:
	s_mov_b32 s10, 0x7f800001
	s_xor_b64 s[4:5], exec, -1
; %bb.2543:
	s_or_b64 exec, exec, s[8:9]
	s_and_b64 s[4:5], s[4:5], exec
	s_or_saveexec_b64 s[6:7], s[6:7]
	v_mov_b32_e32 v4, s10
	s_xor_b64 exec, exec, s[6:7]
	s_cbranch_execz .LBB22_494
.LBB22_2544:
	v_mov_b32_e32 v4, 0
	v_cmp_ne_u16_sdwa s[8:9], v3, v4 src0_sel:BYTE_0 src1_sel:DWORD
	s_andn2_b64 s[4:5], s[4:5], exec
	s_and_b64 s[8:9], s[8:9], exec
	s_or_b64 s[4:5], s[4:5], s[8:9]
	s_or_b64 exec, exec, s[6:7]
	s_and_saveexec_b64 s[6:7], s[4:5]
	s_cbranch_execnz .LBB22_495
	s_branch .LBB22_496
.LBB22_2545:
	s_movk_i32 s4, 0x80
	v_cmp_eq_u16_e32 vcc, s4, v3
	s_mov_b64 s[4:5], -1
                                        ; implicit-def: $sgpr10
	s_and_saveexec_b64 s[8:9], vcc
; %bb.2546:
	s_mov_b32 s10, 0x7f800001
	s_xor_b64 s[4:5], exec, -1
; %bb.2547:
	s_or_b64 exec, exec, s[8:9]
	s_and_b64 s[4:5], s[4:5], exec
                                        ; implicit-def: $vgpr3
	s_or_saveexec_b64 s[6:7], s[6:7]
	v_mov_b32_e32 v2, s10
	s_xor_b64 exec, exec, s[6:7]
	s_cbranch_execz .LBB22_498
.LBB22_2548:
	v_cmp_ne_u16_e32 vcc, 0, v3
	s_andn2_b64 s[4:5], s[4:5], exec
	s_and_b64 s[8:9], vcc, exec
	v_mov_b32_e32 v2, 0
	s_or_b64 s[4:5], s[4:5], s[8:9]
	s_or_b64 exec, exec, s[6:7]
	s_and_saveexec_b64 s[6:7], s[4:5]
	s_cbranch_execnz .LBB22_499
	s_branch .LBB22_500
.LBB22_2549:
	s_movk_i32 s4, 0x80
	v_cmp_eq_u16_e32 vcc, s4, v3
	s_mov_b64 s[4:5], -1
                                        ; implicit-def: $sgpr10
	s_and_saveexec_b64 s[8:9], vcc
; %bb.2550:
	s_mov_b32 s10, 0x7f800001
	s_xor_b64 s[4:5], exec, -1
; %bb.2551:
	s_or_b64 exec, exec, s[8:9]
	s_and_b64 s[4:5], s[4:5], exec
                                        ; implicit-def: $vgpr3
	s_or_saveexec_b64 s[6:7], s[6:7]
	v_mov_b32_e32 v4, s10
	s_xor_b64 exec, exec, s[6:7]
	s_cbranch_execz .LBB22_502
.LBB22_2552:
	v_cmp_ne_u16_e32 vcc, 0, v3
	s_andn2_b64 s[4:5], s[4:5], exec
	s_and_b64 s[8:9], vcc, exec
	v_mov_b32_e32 v4, 0
	s_or_b64 s[4:5], s[4:5], s[8:9]
	s_or_b64 exec, exec, s[6:7]
	s_and_saveexec_b64 s[6:7], s[4:5]
	s_cbranch_execnz .LBB22_503
	s_branch .LBB22_504
.LBB22_2553:
	s_movk_i32 s4, 0x80
	v_cmp_eq_u16_sdwa s[12:13], v9, s4 src0_sel:BYTE_3 src1_sel:DWORD
	s_mov_b64 s[4:5], -1
                                        ; implicit-def: $sgpr10
	s_and_saveexec_b64 s[8:9], s[12:13]
; %bb.2554:
	s_mov_b32 s10, 0x7f800001
	s_xor_b64 s[4:5], exec, -1
; %bb.2555:
	s_or_b64 exec, exec, s[8:9]
	s_and_b64 s[4:5], s[4:5], exec
	s_or_saveexec_b64 s[6:7], s[6:7]
	v_mov_b32_e32 v2, s10
	s_xor_b64 exec, exec, s[6:7]
	s_cbranch_execz .LBB22_506
.LBB22_2556:
	v_mov_b32_e32 v2, 0
	v_cmp_ne_u16_sdwa s[8:9], v9, v2 src0_sel:BYTE_3 src1_sel:DWORD
	s_andn2_b64 s[4:5], s[4:5], exec
	s_and_b64 s[8:9], s[8:9], exec
	s_or_b64 s[4:5], s[4:5], s[8:9]
	s_or_b64 exec, exec, s[6:7]
	s_and_saveexec_b64 s[6:7], s[4:5]
	s_cbranch_execnz .LBB22_507
	s_branch .LBB22_508
.LBB22_2557:
	s_movk_i32 s4, 0x80
	v_cmp_eq_u16_sdwa s[12:13], v5, s4 src0_sel:BYTE_3 src1_sel:DWORD
	s_mov_b64 s[4:5], -1
                                        ; implicit-def: $sgpr10
	s_and_saveexec_b64 s[8:9], s[12:13]
; %bb.2558:
	s_mov_b32 s10, 0x7f800001
	s_xor_b64 s[4:5], exec, -1
; %bb.2559:
	s_or_b64 exec, exec, s[8:9]
	s_and_b64 s[4:5], s[4:5], exec
	s_or_saveexec_b64 s[6:7], s[6:7]
	v_mov_b32_e32 v3, s10
	s_xor_b64 exec, exec, s[6:7]
	s_cbranch_execz .LBB22_510
.LBB22_2560:
	v_mov_b32_e32 v3, 0
	v_cmp_ne_u16_sdwa s[8:9], v5, v3 src0_sel:BYTE_3 src1_sel:DWORD
	s_andn2_b64 s[4:5], s[4:5], exec
	s_and_b64 s[8:9], s[8:9], exec
	s_or_b64 s[4:5], s[4:5], s[8:9]
	s_or_b64 exec, exec, s[6:7]
	s_and_saveexec_b64 s[6:7], s[4:5]
	s_cbranch_execnz .LBB22_511
	s_branch .LBB22_512
.LBB22_2561:
	s_movk_i32 s4, 0x80
	v_cmp_eq_u16_sdwa s[12:13], v14, s4 src0_sel:BYTE_0 src1_sel:DWORD
	s_mov_b64 s[4:5], -1
                                        ; implicit-def: $sgpr10
	s_and_saveexec_b64 s[8:9], s[12:13]
; %bb.2562:
	s_mov_b32 s10, 0x7f800001
	s_xor_b64 s[4:5], exec, -1
; %bb.2563:
	s_or_b64 exec, exec, s[8:9]
	s_and_b64 s[4:5], s[4:5], exec
	s_or_saveexec_b64 s[6:7], s[6:7]
	v_mov_b32_e32 v20, s10
	s_xor_b64 exec, exec, s[6:7]
	s_cbranch_execz .LBB22_514
.LBB22_2564:
	v_mov_b32_e32 v20, 0
	v_cmp_ne_u16_sdwa s[8:9], v14, v20 src0_sel:BYTE_0 src1_sel:DWORD
	s_andn2_b64 s[4:5], s[4:5], exec
	s_and_b64 s[8:9], s[8:9], exec
	s_or_b64 s[4:5], s[4:5], s[8:9]
	s_or_b64 exec, exec, s[6:7]
	s_and_saveexec_b64 s[6:7], s[4:5]
	s_cbranch_execnz .LBB22_515
	s_branch .LBB22_516
.LBB22_2565:
	s_movk_i32 s4, 0x80
	v_cmp_eq_u16_sdwa s[12:13], v10, s4 src0_sel:BYTE_0 src1_sel:DWORD
	s_mov_b64 s[4:5], -1
                                        ; implicit-def: $sgpr10
	s_and_saveexec_b64 s[8:9], s[12:13]
; %bb.2566:
	s_mov_b32 s10, 0x7f800001
	s_xor_b64 s[4:5], exec, -1
; %bb.2567:
	s_or_b64 exec, exec, s[8:9]
	s_and_b64 s[4:5], s[4:5], exec
	s_or_saveexec_b64 s[6:7], s[6:7]
	v_mov_b32_e32 v21, s10
	s_xor_b64 exec, exec, s[6:7]
	s_cbranch_execz .LBB22_518
.LBB22_2568:
	v_mov_b32_e32 v21, 0
	v_cmp_ne_u16_sdwa s[8:9], v10, v21 src0_sel:BYTE_0 src1_sel:DWORD
	s_andn2_b64 s[4:5], s[4:5], exec
	s_and_b64 s[8:9], s[8:9], exec
	s_or_b64 s[4:5], s[4:5], s[8:9]
	s_or_b64 exec, exec, s[6:7]
	s_and_saveexec_b64 s[6:7], s[4:5]
	s_cbranch_execnz .LBB22_519
	s_branch .LBB22_520
.LBB22_2569:
	s_movk_i32 s4, 0x80
	v_cmp_eq_u16_sdwa s[12:13], v21, s4 src0_sel:BYTE_0 src1_sel:DWORD
	s_mov_b64 s[4:5], -1
                                        ; implicit-def: $sgpr10
	s_and_saveexec_b64 s[8:9], s[12:13]
; %bb.2570:
	s_mov_b32 s10, 0x7f800001
	s_xor_b64 s[4:5], exec, -1
; %bb.2571:
	s_or_b64 exec, exec, s[8:9]
	s_and_b64 s[4:5], s[4:5], exec
	s_or_saveexec_b64 s[6:7], s[6:7]
	v_mov_b32_e32 v20, s10
	s_xor_b64 exec, exec, s[6:7]
	s_cbranch_execz .LBB22_522
.LBB22_2572:
	v_mov_b32_e32 v20, 0
	v_cmp_ne_u16_sdwa s[8:9], v21, v20 src0_sel:BYTE_0 src1_sel:DWORD
	s_andn2_b64 s[4:5], s[4:5], exec
	s_and_b64 s[8:9], s[8:9], exec
	s_or_b64 s[4:5], s[4:5], s[8:9]
	s_or_b64 exec, exec, s[6:7]
	s_and_saveexec_b64 s[6:7], s[4:5]
	s_cbranch_execnz .LBB22_523
	s_branch .LBB22_524
.LBB22_2573:
	s_movk_i32 s4, 0x80
	v_cmp_eq_u16_sdwa s[12:13], v21, s4 src0_sel:BYTE_0 src1_sel:DWORD
	s_mov_b64 s[4:5], -1
                                        ; implicit-def: $sgpr10
	s_and_saveexec_b64 s[8:9], s[12:13]
; %bb.2574:
	s_mov_b32 s10, 0x7f800001
	s_xor_b64 s[4:5], exec, -1
; %bb.2575:
	s_or_b64 exec, exec, s[8:9]
	s_and_b64 s[4:5], s[4:5], exec
	s_or_saveexec_b64 s[6:7], s[6:7]
	v_mov_b32_e32 v22, s10
	s_xor_b64 exec, exec, s[6:7]
	s_cbranch_execz .LBB22_526
.LBB22_2576:
	v_mov_b32_e32 v22, 0
	v_cmp_ne_u16_sdwa s[8:9], v21, v22 src0_sel:BYTE_0 src1_sel:DWORD
	s_andn2_b64 s[4:5], s[4:5], exec
	s_and_b64 s[8:9], s[8:9], exec
	s_or_b64 s[4:5], s[4:5], s[8:9]
	s_or_b64 exec, exec, s[6:7]
	s_and_saveexec_b64 s[6:7], s[4:5]
	s_cbranch_execnz .LBB22_527
	s_branch .LBB22_528
.LBB22_2577:
	s_movk_i32 s4, 0x80
	v_cmp_eq_u16_e32 vcc, s4, v21
	s_mov_b64 s[4:5], -1
                                        ; implicit-def: $sgpr10
	s_and_saveexec_b64 s[8:9], vcc
; %bb.2578:
	s_mov_b32 s10, 0x7f800001
	s_xor_b64 s[4:5], exec, -1
; %bb.2579:
	s_or_b64 exec, exec, s[8:9]
	s_and_b64 s[4:5], s[4:5], exec
                                        ; implicit-def: $vgpr21
	s_or_saveexec_b64 s[6:7], s[6:7]
	v_mov_b32_e32 v20, s10
	s_xor_b64 exec, exec, s[6:7]
	s_cbranch_execz .LBB22_530
.LBB22_2580:
	v_cmp_ne_u16_e32 vcc, 0, v21
	s_andn2_b64 s[4:5], s[4:5], exec
	s_and_b64 s[8:9], vcc, exec
	v_mov_b32_e32 v20, 0
	s_or_b64 s[4:5], s[4:5], s[8:9]
	s_or_b64 exec, exec, s[6:7]
	s_and_saveexec_b64 s[6:7], s[4:5]
	s_cbranch_execnz .LBB22_531
	s_branch .LBB22_532
.LBB22_2581:
	s_movk_i32 s4, 0x80
	v_cmp_eq_u16_e32 vcc, s4, v21
	s_mov_b64 s[4:5], -1
                                        ; implicit-def: $sgpr10
	s_and_saveexec_b64 s[8:9], vcc
; %bb.2582:
	s_mov_b32 s10, 0x7f800001
	s_xor_b64 s[4:5], exec, -1
; %bb.2583:
	s_or_b64 exec, exec, s[8:9]
	s_and_b64 s[4:5], s[4:5], exec
                                        ; implicit-def: $vgpr21
	s_or_saveexec_b64 s[6:7], s[6:7]
	v_mov_b32_e32 v22, s10
	s_xor_b64 exec, exec, s[6:7]
	s_cbranch_execz .LBB22_534
.LBB22_2584:
	v_cmp_ne_u16_e32 vcc, 0, v21
	s_andn2_b64 s[4:5], s[4:5], exec
	s_and_b64 s[8:9], vcc, exec
	v_mov_b32_e32 v22, 0
	s_or_b64 s[4:5], s[4:5], s[8:9]
	s_or_b64 exec, exec, s[6:7]
	s_and_saveexec_b64 s[6:7], s[4:5]
	s_cbranch_execnz .LBB22_535
	s_branch .LBB22_536
.LBB22_2585:
	s_movk_i32 s4, 0x80
	v_cmp_eq_u16_sdwa s[12:13], v14, s4 src0_sel:BYTE_3 src1_sel:DWORD
	s_mov_b64 s[4:5], -1
                                        ; implicit-def: $sgpr10
	s_and_saveexec_b64 s[8:9], s[12:13]
; %bb.2586:
	s_mov_b32 s10, 0x7f800001
	s_xor_b64 s[4:5], exec, -1
; %bb.2587:
	s_or_b64 exec, exec, s[8:9]
	s_and_b64 s[4:5], s[4:5], exec
	s_or_saveexec_b64 s[6:7], s[6:7]
	v_mov_b32_e32 v20, s10
	s_xor_b64 exec, exec, s[6:7]
	s_cbranch_execz .LBB22_538
.LBB22_2588:
	v_mov_b32_e32 v20, 0
	v_cmp_ne_u16_sdwa s[8:9], v14, v20 src0_sel:BYTE_3 src1_sel:DWORD
	s_andn2_b64 s[4:5], s[4:5], exec
	s_and_b64 s[8:9], s[8:9], exec
	s_or_b64 s[4:5], s[4:5], s[8:9]
	s_or_b64 exec, exec, s[6:7]
	s_and_saveexec_b64 s[6:7], s[4:5]
	s_cbranch_execnz .LBB22_539
	s_branch .LBB22_540
.LBB22_2589:
	s_movk_i32 s4, 0x80
	v_cmp_eq_u16_sdwa s[12:13], v10, s4 src0_sel:BYTE_3 src1_sel:DWORD
	s_mov_b64 s[4:5], -1
                                        ; implicit-def: $sgpr10
	s_and_saveexec_b64 s[8:9], s[12:13]
; %bb.2590:
	s_mov_b32 s10, 0x7f800001
	s_xor_b64 s[4:5], exec, -1
; %bb.2591:
	s_or_b64 exec, exec, s[8:9]
	s_and_b64 s[4:5], s[4:5], exec
	s_or_saveexec_b64 s[6:7], s[6:7]
	v_mov_b32_e32 v14, s10
	s_xor_b64 exec, exec, s[6:7]
	s_cbranch_execz .LBB22_542
.LBB22_2592:
	v_mov_b32_e32 v14, 0
	v_cmp_ne_u16_sdwa s[8:9], v10, v14 src0_sel:BYTE_3 src1_sel:DWORD
	s_andn2_b64 s[4:5], s[4:5], exec
	s_and_b64 s[8:9], s[8:9], exec
	s_or_b64 s[4:5], s[4:5], s[8:9]
	s_or_b64 exec, exec, s[6:7]
	s_and_saveexec_b64 s[6:7], s[4:5]
	s_cbranch_execnz .LBB22_543
	s_branch .LBB22_544
.LBB22_2593:
	s_movk_i32 s4, 0x80
	v_cmp_eq_u16_sdwa s[12:13], v15, s4 src0_sel:BYTE_0 src1_sel:DWORD
	s_mov_b64 s[4:5], -1
                                        ; implicit-def: $sgpr10
	s_and_saveexec_b64 s[8:9], s[12:13]
; %bb.2594:
	s_mov_b32 s10, 0x7f800001
	s_xor_b64 s[4:5], exec, -1
; %bb.2595:
	s_or_b64 exec, exec, s[8:9]
	s_and_b64 s[4:5], s[4:5], exec
	s_or_saveexec_b64 s[6:7], s[6:7]
	v_mov_b32_e32 v10, s10
	s_xor_b64 exec, exec, s[6:7]
	s_cbranch_execz .LBB22_546
.LBB22_2596:
	v_mov_b32_e32 v10, 0
	v_cmp_ne_u16_sdwa s[8:9], v15, v10 src0_sel:BYTE_0 src1_sel:DWORD
	s_andn2_b64 s[4:5], s[4:5], exec
	s_and_b64 s[8:9], s[8:9], exec
	s_or_b64 s[4:5], s[4:5], s[8:9]
	s_or_b64 exec, exec, s[6:7]
	s_and_saveexec_b64 s[6:7], s[4:5]
	s_cbranch_execnz .LBB22_547
	s_branch .LBB22_548
.LBB22_2597:
	s_movk_i32 s4, 0x80
	v_cmp_eq_u16_sdwa s[12:13], v11, s4 src0_sel:BYTE_0 src1_sel:DWORD
	s_mov_b64 s[4:5], -1
                                        ; implicit-def: $sgpr10
	s_and_saveexec_b64 s[8:9], s[12:13]
; %bb.2598:
	s_mov_b32 s10, 0x7f800001
	s_xor_b64 s[4:5], exec, -1
; %bb.2599:
	s_or_b64 exec, exec, s[8:9]
	s_and_b64 s[4:5], s[4:5], exec
	s_or_saveexec_b64 s[6:7], s[6:7]
	v_mov_b32_e32 v14, s10
	s_xor_b64 exec, exec, s[6:7]
	s_cbranch_execz .LBB22_550
.LBB22_2600:
	v_mov_b32_e32 v14, 0
	v_cmp_ne_u16_sdwa s[8:9], v11, v14 src0_sel:BYTE_0 src1_sel:DWORD
	s_andn2_b64 s[4:5], s[4:5], exec
	s_and_b64 s[8:9], s[8:9], exec
	s_or_b64 s[4:5], s[4:5], s[8:9]
	s_or_b64 exec, exec, s[6:7]
	s_and_saveexec_b64 s[6:7], s[4:5]
	s_cbranch_execnz .LBB22_551
	s_branch .LBB22_552
.LBB22_2601:
	s_movk_i32 s4, 0x80
	v_cmp_eq_u16_sdwa s[12:13], v14, s4 src0_sel:BYTE_0 src1_sel:DWORD
	s_mov_b64 s[4:5], -1
                                        ; implicit-def: $sgpr10
	s_and_saveexec_b64 s[8:9], s[12:13]
; %bb.2602:
	s_mov_b32 s10, 0x7f800001
	s_xor_b64 s[4:5], exec, -1
; %bb.2603:
	s_or_b64 exec, exec, s[8:9]
	s_and_b64 s[4:5], s[4:5], exec
	s_or_saveexec_b64 s[6:7], s[6:7]
	v_mov_b32_e32 v10, s10
	s_xor_b64 exec, exec, s[6:7]
	s_cbranch_execz .LBB22_554
.LBB22_2604:
	v_mov_b32_e32 v10, 0
	v_cmp_ne_u16_sdwa s[8:9], v14, v10 src0_sel:BYTE_0 src1_sel:DWORD
	s_andn2_b64 s[4:5], s[4:5], exec
	s_and_b64 s[8:9], s[8:9], exec
	s_or_b64 s[4:5], s[4:5], s[8:9]
	s_or_b64 exec, exec, s[6:7]
	s_and_saveexec_b64 s[6:7], s[4:5]
	s_cbranch_execnz .LBB22_555
	s_branch .LBB22_556
.LBB22_2605:
	s_movk_i32 s4, 0x80
	v_cmp_eq_u16_sdwa s[12:13], v14, s4 src0_sel:BYTE_0 src1_sel:DWORD
	s_mov_b64 s[4:5], -1
                                        ; implicit-def: $sgpr10
	s_and_saveexec_b64 s[8:9], s[12:13]
; %bb.2606:
	s_mov_b32 s10, 0x7f800001
	s_xor_b64 s[4:5], exec, -1
; %bb.2607:
	s_or_b64 exec, exec, s[8:9]
	s_and_b64 s[4:5], s[4:5], exec
	s_or_saveexec_b64 s[6:7], s[6:7]
	v_mov_b32_e32 v20, s10
	s_xor_b64 exec, exec, s[6:7]
	s_cbranch_execz .LBB22_558
.LBB22_2608:
	v_mov_b32_e32 v20, 0
	v_cmp_ne_u16_sdwa s[8:9], v14, v20 src0_sel:BYTE_0 src1_sel:DWORD
	s_andn2_b64 s[4:5], s[4:5], exec
	s_and_b64 s[8:9], s[8:9], exec
	s_or_b64 s[4:5], s[4:5], s[8:9]
	s_or_b64 exec, exec, s[6:7]
	s_and_saveexec_b64 s[6:7], s[4:5]
	s_cbranch_execnz .LBB22_559
	s_branch .LBB22_560
.LBB22_2609:
	s_movk_i32 s4, 0x80
	v_cmp_eq_u16_e32 vcc, s4, v14
	s_mov_b64 s[4:5], -1
                                        ; implicit-def: $sgpr10
	s_and_saveexec_b64 s[8:9], vcc
; %bb.2610:
	s_mov_b32 s10, 0x7f800001
	s_xor_b64 s[4:5], exec, -1
; %bb.2611:
	s_or_b64 exec, exec, s[8:9]
	s_and_b64 s[4:5], s[4:5], exec
                                        ; implicit-def: $vgpr14
	s_or_saveexec_b64 s[6:7], s[6:7]
	v_mov_b32_e32 v10, s10
	s_xor_b64 exec, exec, s[6:7]
	s_cbranch_execz .LBB22_562
.LBB22_2612:
	v_cmp_ne_u16_e32 vcc, 0, v14
	s_andn2_b64 s[4:5], s[4:5], exec
	s_and_b64 s[8:9], vcc, exec
	v_mov_b32_e32 v10, 0
	s_or_b64 s[4:5], s[4:5], s[8:9]
	s_or_b64 exec, exec, s[6:7]
	s_and_saveexec_b64 s[6:7], s[4:5]
	s_cbranch_execnz .LBB22_563
	s_branch .LBB22_564
.LBB22_2613:
	s_movk_i32 s4, 0x80
	v_cmp_eq_u16_e32 vcc, s4, v14
	s_mov_b64 s[4:5], -1
                                        ; implicit-def: $sgpr10
	s_and_saveexec_b64 s[8:9], vcc
; %bb.2614:
	s_mov_b32 s10, 0x7f800001
	s_xor_b64 s[4:5], exec, -1
; %bb.2615:
	s_or_b64 exec, exec, s[8:9]
	s_and_b64 s[4:5], s[4:5], exec
                                        ; implicit-def: $vgpr14
	s_or_saveexec_b64 s[6:7], s[6:7]
	v_mov_b32_e32 v20, s10
	s_xor_b64 exec, exec, s[6:7]
	s_cbranch_execz .LBB22_566
.LBB22_2616:
	v_cmp_ne_u16_e32 vcc, 0, v14
	s_andn2_b64 s[4:5], s[4:5], exec
	s_and_b64 s[8:9], vcc, exec
	v_mov_b32_e32 v20, 0
	s_or_b64 s[4:5], s[4:5], s[8:9]
	s_or_b64 exec, exec, s[6:7]
	s_and_saveexec_b64 s[6:7], s[4:5]
	s_cbranch_execnz .LBB22_567
	s_branch .LBB22_568
.LBB22_2617:
	s_movk_i32 s4, 0x80
	v_cmp_eq_u16_sdwa s[12:13], v15, s4 src0_sel:BYTE_3 src1_sel:DWORD
	s_mov_b64 s[4:5], -1
                                        ; implicit-def: $sgpr10
	s_and_saveexec_b64 s[8:9], s[12:13]
; %bb.2618:
	s_mov_b32 s10, 0x7f800001
	s_xor_b64 s[4:5], exec, -1
; %bb.2619:
	s_or_b64 exec, exec, s[8:9]
	s_and_b64 s[4:5], s[4:5], exec
	s_or_saveexec_b64 s[6:7], s[6:7]
	v_mov_b32_e32 v10, s10
	s_xor_b64 exec, exec, s[6:7]
	s_cbranch_execz .LBB22_570
.LBB22_2620:
	v_mov_b32_e32 v10, 0
	v_cmp_ne_u16_sdwa s[8:9], v15, v10 src0_sel:BYTE_3 src1_sel:DWORD
	s_andn2_b64 s[4:5], s[4:5], exec
	s_and_b64 s[8:9], s[8:9], exec
	s_or_b64 s[4:5], s[4:5], s[8:9]
	s_or_b64 exec, exec, s[6:7]
	s_and_saveexec_b64 s[6:7], s[4:5]
	s_cbranch_execnz .LBB22_571
	s_branch .LBB22_572
.LBB22_2621:
	s_movk_i32 s4, 0x80
	v_cmp_eq_u16_sdwa s[12:13], v11, s4 src0_sel:BYTE_3 src1_sel:DWORD
	s_mov_b64 s[4:5], -1
                                        ; implicit-def: $sgpr10
	s_and_saveexec_b64 s[8:9], s[12:13]
; %bb.2622:
	s_mov_b32 s10, 0x7f800001
	s_xor_b64 s[4:5], exec, -1
; %bb.2623:
	s_or_b64 exec, exec, s[8:9]
	s_and_b64 s[4:5], s[4:5], exec
	s_or_saveexec_b64 s[6:7], s[6:7]
	v_mov_b32_e32 v14, s10
	s_xor_b64 exec, exec, s[6:7]
	s_cbranch_execz .LBB22_574
.LBB22_2624:
	v_mov_b32_e32 v14, 0
	v_cmp_ne_u16_sdwa s[8:9], v11, v14 src0_sel:BYTE_3 src1_sel:DWORD
	s_andn2_b64 s[4:5], s[4:5], exec
	s_and_b64 s[8:9], s[8:9], exec
	s_or_b64 s[4:5], s[4:5], s[8:9]
	s_or_b64 exec, exec, s[6:7]
	s_and_saveexec_b64 s[6:7], s[4:5]
	s_cbranch_execnz .LBB22_575
	s_branch .LBB22_576
.LBB22_2625:
	s_movk_i32 s4, 0x80
	v_cmp_eq_u16_sdwa s[12:13], v16, s4 src0_sel:BYTE_0 src1_sel:DWORD
	s_mov_b64 s[4:5], -1
                                        ; implicit-def: $sgpr10
	s_and_saveexec_b64 s[8:9], s[12:13]
; %bb.2626:
	s_mov_b32 s10, 0x7f800001
	s_xor_b64 s[4:5], exec, -1
; %bb.2627:
	s_or_b64 exec, exec, s[8:9]
	s_and_b64 s[4:5], s[4:5], exec
	s_or_saveexec_b64 s[6:7], s[6:7]
	v_mov_b32_e32 v10, s10
	s_xor_b64 exec, exec, s[6:7]
	s_cbranch_execz .LBB22_578
.LBB22_2628:
	v_mov_b32_e32 v10, 0
	v_cmp_ne_u16_sdwa s[8:9], v16, v10 src0_sel:BYTE_0 src1_sel:DWORD
	s_andn2_b64 s[4:5], s[4:5], exec
	s_and_b64 s[8:9], s[8:9], exec
	s_or_b64 s[4:5], s[4:5], s[8:9]
	s_or_b64 exec, exec, s[6:7]
	s_and_saveexec_b64 s[6:7], s[4:5]
	s_cbranch_execnz .LBB22_579
	s_branch .LBB22_580
.LBB22_2629:
	s_movk_i32 s4, 0x80
	v_cmp_eq_u16_sdwa s[12:13], v12, s4 src0_sel:BYTE_0 src1_sel:DWORD
	s_mov_b64 s[4:5], -1
                                        ; implicit-def: $sgpr10
	s_and_saveexec_b64 s[8:9], s[12:13]
; %bb.2630:
	s_mov_b32 s10, 0x7f800001
	s_xor_b64 s[4:5], exec, -1
; %bb.2631:
	s_or_b64 exec, exec, s[8:9]
	s_and_b64 s[4:5], s[4:5], exec
	s_or_saveexec_b64 s[6:7], s[6:7]
	v_mov_b32_e32 v11, s10
	s_xor_b64 exec, exec, s[6:7]
	s_cbranch_execz .LBB22_582
.LBB22_2632:
	v_mov_b32_e32 v11, 0
	v_cmp_ne_u16_sdwa s[8:9], v12, v11 src0_sel:BYTE_0 src1_sel:DWORD
	s_andn2_b64 s[4:5], s[4:5], exec
	s_and_b64 s[8:9], s[8:9], exec
	s_or_b64 s[4:5], s[4:5], s[8:9]
	s_or_b64 exec, exec, s[6:7]
	s_and_saveexec_b64 s[6:7], s[4:5]
	s_cbranch_execnz .LBB22_583
	s_branch .LBB22_584
.LBB22_2633:
	s_movk_i32 s4, 0x80
	v_cmp_eq_u16_sdwa s[12:13], v11, s4 src0_sel:BYTE_0 src1_sel:DWORD
	s_mov_b64 s[4:5], -1
                                        ; implicit-def: $sgpr10
	s_and_saveexec_b64 s[8:9], s[12:13]
; %bb.2634:
	s_mov_b32 s10, 0x7f800001
	s_xor_b64 s[4:5], exec, -1
; %bb.2635:
	s_or_b64 exec, exec, s[8:9]
	s_and_b64 s[4:5], s[4:5], exec
	s_or_saveexec_b64 s[6:7], s[6:7]
	v_mov_b32_e32 v10, s10
	s_xor_b64 exec, exec, s[6:7]
	s_cbranch_execz .LBB22_586
.LBB22_2636:
	v_mov_b32_e32 v10, 0
	v_cmp_ne_u16_sdwa s[8:9], v11, v10 src0_sel:BYTE_0 src1_sel:DWORD
	s_andn2_b64 s[4:5], s[4:5], exec
	s_and_b64 s[8:9], s[8:9], exec
	s_or_b64 s[4:5], s[4:5], s[8:9]
	s_or_b64 exec, exec, s[6:7]
	s_and_saveexec_b64 s[6:7], s[4:5]
	s_cbranch_execnz .LBB22_587
	s_branch .LBB22_588
.LBB22_2637:
	s_movk_i32 s4, 0x80
	v_cmp_eq_u16_sdwa s[12:13], v11, s4 src0_sel:BYTE_0 src1_sel:DWORD
	s_mov_b64 s[4:5], -1
                                        ; implicit-def: $sgpr10
	s_and_saveexec_b64 s[8:9], s[12:13]
; %bb.2638:
	s_mov_b32 s10, 0x7f800001
	s_xor_b64 s[4:5], exec, -1
; %bb.2639:
	s_or_b64 exec, exec, s[8:9]
	s_and_b64 s[4:5], s[4:5], exec
	s_or_saveexec_b64 s[6:7], s[6:7]
	v_mov_b32_e32 v14, s10
	s_xor_b64 exec, exec, s[6:7]
	s_cbranch_execz .LBB22_590
.LBB22_2640:
	v_mov_b32_e32 v14, 0
	v_cmp_ne_u16_sdwa s[8:9], v11, v14 src0_sel:BYTE_0 src1_sel:DWORD
	s_andn2_b64 s[4:5], s[4:5], exec
	s_and_b64 s[8:9], s[8:9], exec
	s_or_b64 s[4:5], s[4:5], s[8:9]
	s_or_b64 exec, exec, s[6:7]
	s_and_saveexec_b64 s[6:7], s[4:5]
	s_cbranch_execnz .LBB22_591
	s_branch .LBB22_592
.LBB22_2641:
	s_movk_i32 s4, 0x80
	v_cmp_eq_u16_e32 vcc, s4, v11
	s_mov_b64 s[4:5], -1
                                        ; implicit-def: $sgpr10
	s_and_saveexec_b64 s[8:9], vcc
; %bb.2642:
	s_mov_b32 s10, 0x7f800001
	s_xor_b64 s[4:5], exec, -1
; %bb.2643:
	s_or_b64 exec, exec, s[8:9]
	s_and_b64 s[4:5], s[4:5], exec
                                        ; implicit-def: $vgpr11
	s_or_saveexec_b64 s[6:7], s[6:7]
	v_mov_b32_e32 v10, s10
	s_xor_b64 exec, exec, s[6:7]
	s_cbranch_execz .LBB22_594
.LBB22_2644:
	v_cmp_ne_u16_e32 vcc, 0, v11
	s_andn2_b64 s[4:5], s[4:5], exec
	s_and_b64 s[8:9], vcc, exec
	v_mov_b32_e32 v10, 0
	s_or_b64 s[4:5], s[4:5], s[8:9]
	s_or_b64 exec, exec, s[6:7]
	s_and_saveexec_b64 s[6:7], s[4:5]
	s_cbranch_execnz .LBB22_595
	s_branch .LBB22_596
.LBB22_2645:
	s_movk_i32 s4, 0x80
	v_cmp_eq_u16_e32 vcc, s4, v11
	s_mov_b64 s[4:5], -1
                                        ; implicit-def: $sgpr10
	s_and_saveexec_b64 s[8:9], vcc
; %bb.2646:
	s_mov_b32 s10, 0x7f800001
	s_xor_b64 s[4:5], exec, -1
; %bb.2647:
	s_or_b64 exec, exec, s[8:9]
	s_and_b64 s[4:5], s[4:5], exec
                                        ; implicit-def: $vgpr11
	s_or_saveexec_b64 s[6:7], s[6:7]
	v_mov_b32_e32 v14, s10
	s_xor_b64 exec, exec, s[6:7]
	s_cbranch_execz .LBB22_598
.LBB22_2648:
	v_cmp_ne_u16_e32 vcc, 0, v11
	s_andn2_b64 s[4:5], s[4:5], exec
	s_and_b64 s[8:9], vcc, exec
	v_mov_b32_e32 v14, 0
	s_or_b64 s[4:5], s[4:5], s[8:9]
	s_or_b64 exec, exec, s[6:7]
	s_and_saveexec_b64 s[6:7], s[4:5]
	s_cbranch_execnz .LBB22_599
	s_branch .LBB22_600
.LBB22_2649:
	s_movk_i32 s4, 0x80
	v_cmp_eq_u16_sdwa s[12:13], v16, s4 src0_sel:BYTE_3 src1_sel:DWORD
	s_mov_b64 s[4:5], -1
                                        ; implicit-def: $sgpr10
	s_and_saveexec_b64 s[8:9], s[12:13]
; %bb.2650:
	s_mov_b32 s10, 0x7f800001
	s_xor_b64 s[4:5], exec, -1
; %bb.2651:
	s_or_b64 exec, exec, s[8:9]
	s_and_b64 s[4:5], s[4:5], exec
	s_or_saveexec_b64 s[6:7], s[6:7]
	v_mov_b32_e32 v10, s10
	s_xor_b64 exec, exec, s[6:7]
	s_cbranch_execz .LBB22_602
.LBB22_2652:
	v_mov_b32_e32 v10, 0
	v_cmp_ne_u16_sdwa s[8:9], v16, v10 src0_sel:BYTE_3 src1_sel:DWORD
	s_andn2_b64 s[4:5], s[4:5], exec
	s_and_b64 s[8:9], s[8:9], exec
	s_or_b64 s[4:5], s[4:5], s[8:9]
	s_or_b64 exec, exec, s[6:7]
	s_and_saveexec_b64 s[6:7], s[4:5]
	s_cbranch_execnz .LBB22_603
	s_branch .LBB22_604
.LBB22_2653:
	s_movk_i32 s4, 0x80
	v_cmp_eq_u16_sdwa s[12:13], v12, s4 src0_sel:BYTE_3 src1_sel:DWORD
	s_mov_b64 s[4:5], -1
                                        ; implicit-def: $sgpr10
	s_and_saveexec_b64 s[8:9], s[12:13]
; %bb.2654:
	s_mov_b32 s10, 0x7f800001
	s_xor_b64 s[4:5], exec, -1
; %bb.2655:
	s_or_b64 exec, exec, s[8:9]
	s_and_b64 s[4:5], s[4:5], exec
	s_or_saveexec_b64 s[6:7], s[6:7]
	v_mov_b32_e32 v11, s10
	s_xor_b64 exec, exec, s[6:7]
	s_cbranch_execz .LBB22_606
.LBB22_2656:
	v_mov_b32_e32 v11, 0
	v_cmp_ne_u16_sdwa s[8:9], v12, v11 src0_sel:BYTE_3 src1_sel:DWORD
	s_andn2_b64 s[4:5], s[4:5], exec
	s_and_b64 s[8:9], s[8:9], exec
	s_or_b64 s[4:5], s[4:5], s[8:9]
	s_or_b64 exec, exec, s[6:7]
	s_and_saveexec_b64 s[6:7], s[4:5]
	s_cbranch_execnz .LBB22_607
	s_branch .LBB22_608
.LBB22_2657:
	s_movk_i32 s4, 0x80
	v_cmp_eq_u16_sdwa s[12:13], v17, s4 src0_sel:BYTE_0 src1_sel:DWORD
	s_mov_b64 s[4:5], -1
                                        ; implicit-def: $sgpr10
	s_and_saveexec_b64 s[8:9], s[12:13]
; %bb.2658:
	s_mov_b32 s10, 0x7f800001
	s_xor_b64 s[4:5], exec, -1
; %bb.2659:
	s_or_b64 exec, exec, s[8:9]
	s_and_b64 s[4:5], s[4:5], exec
	s_or_saveexec_b64 s[6:7], s[6:7]
	v_mov_b32_e32 v10, s10
	s_xor_b64 exec, exec, s[6:7]
	s_cbranch_execz .LBB22_610
.LBB22_2660:
	v_mov_b32_e32 v10, 0
	v_cmp_ne_u16_sdwa s[8:9], v17, v10 src0_sel:BYTE_0 src1_sel:DWORD
	s_andn2_b64 s[4:5], s[4:5], exec
	s_and_b64 s[8:9], s[8:9], exec
	s_or_b64 s[4:5], s[4:5], s[8:9]
	s_or_b64 exec, exec, s[6:7]
	s_and_saveexec_b64 s[6:7], s[4:5]
	s_cbranch_execnz .LBB22_611
	s_branch .LBB22_612
.LBB22_2661:
	s_movk_i32 s4, 0x80
	v_cmp_eq_u16_sdwa s[12:13], v13, s4 src0_sel:BYTE_0 src1_sel:DWORD
	s_mov_b64 s[4:5], -1
                                        ; implicit-def: $sgpr10
	s_and_saveexec_b64 s[8:9], s[12:13]
; %bb.2662:
	s_mov_b32 s10, 0x7f800001
	s_xor_b64 s[4:5], exec, -1
; %bb.2663:
	s_or_b64 exec, exec, s[8:9]
	s_and_b64 s[4:5], s[4:5], exec
	s_or_saveexec_b64 s[6:7], s[6:7]
	v_mov_b32_e32 v11, s10
	s_xor_b64 exec, exec, s[6:7]
	s_cbranch_execz .LBB22_614
.LBB22_2664:
	v_mov_b32_e32 v11, 0
	v_cmp_ne_u16_sdwa s[8:9], v13, v11 src0_sel:BYTE_0 src1_sel:DWORD
	s_andn2_b64 s[4:5], s[4:5], exec
	s_and_b64 s[8:9], s[8:9], exec
	s_or_b64 s[4:5], s[4:5], s[8:9]
	s_or_b64 exec, exec, s[6:7]
	s_and_saveexec_b64 s[6:7], s[4:5]
	s_cbranch_execnz .LBB22_615
	s_branch .LBB22_616
.LBB22_2665:
	s_movk_i32 s4, 0x80
	v_cmp_eq_u16_sdwa s[12:13], v11, s4 src0_sel:BYTE_0 src1_sel:DWORD
	s_mov_b64 s[4:5], -1
                                        ; implicit-def: $sgpr10
	s_and_saveexec_b64 s[8:9], s[12:13]
; %bb.2666:
	s_mov_b32 s10, 0x7f800001
	s_xor_b64 s[4:5], exec, -1
; %bb.2667:
	s_or_b64 exec, exec, s[8:9]
	s_and_b64 s[4:5], s[4:5], exec
	s_or_saveexec_b64 s[6:7], s[6:7]
	v_mov_b32_e32 v10, s10
	s_xor_b64 exec, exec, s[6:7]
	s_cbranch_execz .LBB22_618
.LBB22_2668:
	v_mov_b32_e32 v10, 0
	v_cmp_ne_u16_sdwa s[8:9], v11, v10 src0_sel:BYTE_0 src1_sel:DWORD
	s_andn2_b64 s[4:5], s[4:5], exec
	s_and_b64 s[8:9], s[8:9], exec
	s_or_b64 s[4:5], s[4:5], s[8:9]
	s_or_b64 exec, exec, s[6:7]
	s_and_saveexec_b64 s[6:7], s[4:5]
	s_cbranch_execnz .LBB22_619
	s_branch .LBB22_620
.LBB22_2669:
	s_movk_i32 s4, 0x80
	v_cmp_eq_u16_sdwa s[12:13], v11, s4 src0_sel:BYTE_0 src1_sel:DWORD
	s_mov_b64 s[4:5], -1
                                        ; implicit-def: $sgpr10
	s_and_saveexec_b64 s[8:9], s[12:13]
; %bb.2670:
	s_mov_b32 s10, 0x7f800001
	s_xor_b64 s[4:5], exec, -1
; %bb.2671:
	s_or_b64 exec, exec, s[8:9]
	s_and_b64 s[4:5], s[4:5], exec
	s_or_saveexec_b64 s[6:7], s[6:7]
	v_mov_b32_e32 v12, s10
	s_xor_b64 exec, exec, s[6:7]
	s_cbranch_execz .LBB22_622
.LBB22_2672:
	v_mov_b32_e32 v12, 0
	v_cmp_ne_u16_sdwa s[8:9], v11, v12 src0_sel:BYTE_0 src1_sel:DWORD
	s_andn2_b64 s[4:5], s[4:5], exec
	s_and_b64 s[8:9], s[8:9], exec
	s_or_b64 s[4:5], s[4:5], s[8:9]
	s_or_b64 exec, exec, s[6:7]
	s_and_saveexec_b64 s[6:7], s[4:5]
	s_cbranch_execnz .LBB22_623
	s_branch .LBB22_624
.LBB22_2673:
	s_movk_i32 s4, 0x80
	v_cmp_eq_u16_e32 vcc, s4, v11
	s_mov_b64 s[4:5], -1
                                        ; implicit-def: $sgpr10
	s_and_saveexec_b64 s[8:9], vcc
; %bb.2674:
	s_mov_b32 s10, 0x7f800001
	s_xor_b64 s[4:5], exec, -1
; %bb.2675:
	s_or_b64 exec, exec, s[8:9]
	s_and_b64 s[4:5], s[4:5], exec
                                        ; implicit-def: $vgpr11
	s_or_saveexec_b64 s[6:7], s[6:7]
	v_mov_b32_e32 v10, s10
	s_xor_b64 exec, exec, s[6:7]
	s_cbranch_execz .LBB22_626
.LBB22_2676:
	v_cmp_ne_u16_e32 vcc, 0, v11
	s_andn2_b64 s[4:5], s[4:5], exec
	s_and_b64 s[8:9], vcc, exec
	v_mov_b32_e32 v10, 0
	s_or_b64 s[4:5], s[4:5], s[8:9]
	s_or_b64 exec, exec, s[6:7]
	s_and_saveexec_b64 s[6:7], s[4:5]
	s_cbranch_execnz .LBB22_627
	s_branch .LBB22_628
.LBB22_2677:
	s_movk_i32 s4, 0x80
	v_cmp_eq_u16_e32 vcc, s4, v11
	s_mov_b64 s[4:5], -1
                                        ; implicit-def: $sgpr10
	s_and_saveexec_b64 s[8:9], vcc
; %bb.2678:
	s_mov_b32 s10, 0x7f800001
	s_xor_b64 s[4:5], exec, -1
; %bb.2679:
	s_or_b64 exec, exec, s[8:9]
	s_and_b64 s[4:5], s[4:5], exec
                                        ; implicit-def: $vgpr11
	s_or_saveexec_b64 s[6:7], s[6:7]
	v_mov_b32_e32 v12, s10
	s_xor_b64 exec, exec, s[6:7]
	s_cbranch_execz .LBB22_630
.LBB22_2680:
	v_cmp_ne_u16_e32 vcc, 0, v11
	s_andn2_b64 s[4:5], s[4:5], exec
	s_and_b64 s[8:9], vcc, exec
	v_mov_b32_e32 v12, 0
	s_or_b64 s[4:5], s[4:5], s[8:9]
	s_or_b64 exec, exec, s[6:7]
	s_and_saveexec_b64 s[6:7], s[4:5]
	s_cbranch_execnz .LBB22_631
	s_branch .LBB22_632
.LBB22_2681:
	s_movk_i32 s4, 0x80
	v_cmp_eq_u16_sdwa s[12:13], v17, s4 src0_sel:BYTE_3 src1_sel:DWORD
	s_mov_b64 s[4:5], -1
                                        ; implicit-def: $sgpr10
	s_and_saveexec_b64 s[8:9], s[12:13]
; %bb.2682:
	s_mov_b32 s10, 0x7f800001
	s_xor_b64 s[4:5], exec, -1
; %bb.2683:
	s_or_b64 exec, exec, s[8:9]
	s_and_b64 s[4:5], s[4:5], exec
	s_or_saveexec_b64 s[6:7], s[6:7]
	v_mov_b32_e32 v10, s10
	s_xor_b64 exec, exec, s[6:7]
	s_cbranch_execz .LBB22_634
.LBB22_2684:
	v_mov_b32_e32 v10, 0
	v_cmp_ne_u16_sdwa s[8:9], v17, v10 src0_sel:BYTE_3 src1_sel:DWORD
	s_andn2_b64 s[4:5], s[4:5], exec
	s_and_b64 s[8:9], s[8:9], exec
	s_or_b64 s[4:5], s[4:5], s[8:9]
	s_or_b64 exec, exec, s[6:7]
	s_and_saveexec_b64 s[6:7], s[4:5]
	s_cbranch_execnz .LBB22_635
	s_branch .LBB22_636
.LBB22_2685:
	s_movk_i32 s4, 0x80
	v_cmp_eq_u16_sdwa s[12:13], v13, s4 src0_sel:BYTE_3 src1_sel:DWORD
	s_mov_b64 s[4:5], -1
                                        ; implicit-def: $sgpr10
	s_and_saveexec_b64 s[8:9], s[12:13]
; %bb.2686:
	s_mov_b32 s10, 0x7f800001
	s_xor_b64 s[4:5], exec, -1
; %bb.2687:
	s_or_b64 exec, exec, s[8:9]
	s_and_b64 s[4:5], s[4:5], exec
	s_or_saveexec_b64 s[6:7], s[6:7]
	v_mov_b32_e32 v11, s10
	s_xor_b64 exec, exec, s[6:7]
	s_cbranch_execz .LBB22_638
.LBB22_2688:
	v_mov_b32_e32 v11, 0
	v_cmp_ne_u16_sdwa s[8:9], v13, v11 src0_sel:BYTE_3 src1_sel:DWORD
	s_andn2_b64 s[4:5], s[4:5], exec
	s_and_b64 s[8:9], s[8:9], exec
	s_or_b64 s[4:5], s[4:5], s[8:9]
	s_or_b64 exec, exec, s[6:7]
	s_and_saveexec_b64 s[6:7], s[4:5]
	s_cbranch_execnz .LBB22_639
	s_branch .LBB22_640
.LBB22_2689:
	s_movk_i32 s4, 0x80
	v_cmp_eq_u16_sdwa s[12:13], v6, s4 src0_sel:BYTE_0 src1_sel:DWORD
	s_mov_b64 s[4:5], -1
                                        ; implicit-def: $sgpr10
	s_and_saveexec_b64 s[8:9], s[12:13]
; %bb.2690:
	s_mov_b32 s10, 0x7f800001
	s_xor_b64 s[4:5], exec, -1
; %bb.2691:
	s_or_b64 exec, exec, s[8:9]
	s_and_b64 s[4:5], s[4:5], exec
	s_or_saveexec_b64 s[6:7], s[6:7]
	v_mov_b32_e32 v10, s10
	s_xor_b64 exec, exec, s[6:7]
	s_cbranch_execz .LBB22_642
.LBB22_2692:
	v_mov_b32_e32 v10, 0
	v_cmp_ne_u16_sdwa s[8:9], v6, v10 src0_sel:BYTE_0 src1_sel:DWORD
	s_andn2_b64 s[4:5], s[4:5], exec
	s_and_b64 s[8:9], s[8:9], exec
	s_or_b64 s[4:5], s[4:5], s[8:9]
	s_or_b64 exec, exec, s[6:7]
	s_and_saveexec_b64 s[6:7], s[4:5]
	s_cbranch_execnz .LBB22_643
	s_branch .LBB22_644
.LBB22_2693:
	s_movk_i32 s4, 0x80
	v_cmp_eq_u16_sdwa s[12:13], v2, s4 src0_sel:BYTE_0 src1_sel:DWORD
	s_mov_b64 s[4:5], -1
                                        ; implicit-def: $sgpr10
	s_and_saveexec_b64 s[8:9], s[12:13]
; %bb.2694:
	s_mov_b32 s10, 0x7f800001
	s_xor_b64 s[4:5], exec, -1
; %bb.2695:
	s_or_b64 exec, exec, s[8:9]
	s_and_b64 s[4:5], s[4:5], exec
	s_or_saveexec_b64 s[6:7], s[6:7]
	v_mov_b32_e32 v11, s10
	s_xor_b64 exec, exec, s[6:7]
	s_cbranch_execz .LBB22_646
.LBB22_2696:
	v_mov_b32_e32 v11, 0
	v_cmp_ne_u16_sdwa s[8:9], v2, v11 src0_sel:BYTE_0 src1_sel:DWORD
	s_andn2_b64 s[4:5], s[4:5], exec
	s_and_b64 s[8:9], s[8:9], exec
	s_or_b64 s[4:5], s[4:5], s[8:9]
	s_or_b64 exec, exec, s[6:7]
	s_and_saveexec_b64 s[6:7], s[4:5]
	s_cbranch_execnz .LBB22_647
	s_branch .LBB22_648
.LBB22_2697:
	s_movk_i32 s4, 0x80
	v_cmp_eq_u16_sdwa s[12:13], v11, s4 src0_sel:BYTE_0 src1_sel:DWORD
	s_mov_b64 s[4:5], -1
                                        ; implicit-def: $sgpr10
	s_and_saveexec_b64 s[8:9], s[12:13]
; %bb.2698:
	s_mov_b32 s10, 0x7f800001
	s_xor_b64 s[4:5], exec, -1
; %bb.2699:
	s_or_b64 exec, exec, s[8:9]
	s_and_b64 s[4:5], s[4:5], exec
	s_or_saveexec_b64 s[6:7], s[6:7]
	v_mov_b32_e32 v10, s10
	s_xor_b64 exec, exec, s[6:7]
	s_cbranch_execz .LBB22_650
.LBB22_2700:
	v_mov_b32_e32 v10, 0
	v_cmp_ne_u16_sdwa s[8:9], v11, v10 src0_sel:BYTE_0 src1_sel:DWORD
	s_andn2_b64 s[4:5], s[4:5], exec
	s_and_b64 s[8:9], s[8:9], exec
	s_or_b64 s[4:5], s[4:5], s[8:9]
	s_or_b64 exec, exec, s[6:7]
	s_and_saveexec_b64 s[6:7], s[4:5]
	s_cbranch_execnz .LBB22_651
	s_branch .LBB22_652
.LBB22_2701:
	s_movk_i32 s4, 0x80
	v_cmp_eq_u16_sdwa s[12:13], v11, s4 src0_sel:BYTE_0 src1_sel:DWORD
	s_mov_b64 s[4:5], -1
                                        ; implicit-def: $sgpr10
	s_and_saveexec_b64 s[8:9], s[12:13]
; %bb.2702:
	s_mov_b32 s10, 0x7f800001
	s_xor_b64 s[4:5], exec, -1
; %bb.2703:
	s_or_b64 exec, exec, s[8:9]
	s_and_b64 s[4:5], s[4:5], exec
	s_or_saveexec_b64 s[6:7], s[6:7]
	v_mov_b32_e32 v12, s10
	s_xor_b64 exec, exec, s[6:7]
	s_cbranch_execz .LBB22_654
.LBB22_2704:
	v_mov_b32_e32 v12, 0
	v_cmp_ne_u16_sdwa s[8:9], v11, v12 src0_sel:BYTE_0 src1_sel:DWORD
	s_andn2_b64 s[4:5], s[4:5], exec
	s_and_b64 s[8:9], s[8:9], exec
	s_or_b64 s[4:5], s[4:5], s[8:9]
	s_or_b64 exec, exec, s[6:7]
	s_and_saveexec_b64 s[6:7], s[4:5]
	s_cbranch_execnz .LBB22_655
	s_branch .LBB22_656
.LBB22_2705:
	s_movk_i32 s4, 0x80
	v_cmp_eq_u16_e32 vcc, s4, v11
	s_mov_b64 s[4:5], -1
                                        ; implicit-def: $sgpr10
	s_and_saveexec_b64 s[8:9], vcc
; %bb.2706:
	s_mov_b32 s10, 0x7f800001
	s_xor_b64 s[4:5], exec, -1
; %bb.2707:
	s_or_b64 exec, exec, s[8:9]
	s_and_b64 s[4:5], s[4:5], exec
                                        ; implicit-def: $vgpr11
	s_or_saveexec_b64 s[6:7], s[6:7]
	v_mov_b32_e32 v10, s10
	s_xor_b64 exec, exec, s[6:7]
	s_cbranch_execz .LBB22_658
.LBB22_2708:
	v_cmp_ne_u16_e32 vcc, 0, v11
	s_andn2_b64 s[4:5], s[4:5], exec
	s_and_b64 s[8:9], vcc, exec
	v_mov_b32_e32 v10, 0
	s_or_b64 s[4:5], s[4:5], s[8:9]
	s_or_b64 exec, exec, s[6:7]
	s_and_saveexec_b64 s[6:7], s[4:5]
	s_cbranch_execnz .LBB22_659
	s_branch .LBB22_660
.LBB22_2709:
	s_movk_i32 s4, 0x80
	v_cmp_eq_u16_e32 vcc, s4, v11
	s_mov_b64 s[4:5], -1
                                        ; implicit-def: $sgpr10
	s_and_saveexec_b64 s[8:9], vcc
; %bb.2710:
	s_mov_b32 s10, 0x7f800001
	s_xor_b64 s[4:5], exec, -1
; %bb.2711:
	s_or_b64 exec, exec, s[8:9]
	s_and_b64 s[4:5], s[4:5], exec
                                        ; implicit-def: $vgpr11
	s_or_saveexec_b64 s[6:7], s[6:7]
	v_mov_b32_e32 v12, s10
	s_xor_b64 exec, exec, s[6:7]
	s_cbranch_execz .LBB22_662
.LBB22_2712:
	v_cmp_ne_u16_e32 vcc, 0, v11
	s_andn2_b64 s[4:5], s[4:5], exec
	s_and_b64 s[8:9], vcc, exec
	v_mov_b32_e32 v12, 0
	s_or_b64 s[4:5], s[4:5], s[8:9]
	s_or_b64 exec, exec, s[6:7]
	s_and_saveexec_b64 s[6:7], s[4:5]
	s_cbranch_execnz .LBB22_663
	s_branch .LBB22_664
.LBB22_2713:
	s_movk_i32 s4, 0x80
	v_cmp_eq_u16_sdwa s[12:13], v6, s4 src0_sel:BYTE_3 src1_sel:DWORD
	s_mov_b64 s[4:5], -1
                                        ; implicit-def: $sgpr10
	s_and_saveexec_b64 s[8:9], s[12:13]
; %bb.2714:
	s_mov_b32 s10, 0x7f800001
	s_xor_b64 s[4:5], exec, -1
; %bb.2715:
	s_or_b64 exec, exec, s[8:9]
	s_and_b64 s[4:5], s[4:5], exec
	s_or_saveexec_b64 s[6:7], s[6:7]
	v_mov_b32_e32 v10, s10
	s_xor_b64 exec, exec, s[6:7]
	s_cbranch_execz .LBB22_666
.LBB22_2716:
	v_mov_b32_e32 v10, 0
	v_cmp_ne_u16_sdwa s[8:9], v6, v10 src0_sel:BYTE_3 src1_sel:DWORD
	s_andn2_b64 s[4:5], s[4:5], exec
	s_and_b64 s[8:9], s[8:9], exec
	s_or_b64 s[4:5], s[4:5], s[8:9]
	s_or_b64 exec, exec, s[6:7]
	s_and_saveexec_b64 s[6:7], s[4:5]
	s_cbranch_execnz .LBB22_667
	s_branch .LBB22_668
.LBB22_2717:
	s_movk_i32 s4, 0x80
	v_cmp_eq_u16_sdwa s[12:13], v2, s4 src0_sel:BYTE_3 src1_sel:DWORD
	s_mov_b64 s[4:5], -1
                                        ; implicit-def: $sgpr10
	s_and_saveexec_b64 s[8:9], s[12:13]
; %bb.2718:
	s_mov_b32 s10, 0x7f800001
	s_xor_b64 s[4:5], exec, -1
; %bb.2719:
	s_or_b64 exec, exec, s[8:9]
	s_and_b64 s[4:5], s[4:5], exec
	s_or_saveexec_b64 s[6:7], s[6:7]
	v_mov_b32_e32 v6, s10
	s_xor_b64 exec, exec, s[6:7]
	s_cbranch_execz .LBB22_670
.LBB22_2720:
	v_mov_b32_e32 v6, 0
	v_cmp_ne_u16_sdwa s[8:9], v2, v6 src0_sel:BYTE_3 src1_sel:DWORD
	s_andn2_b64 s[4:5], s[4:5], exec
	s_and_b64 s[8:9], s[8:9], exec
	s_or_b64 s[4:5], s[4:5], s[8:9]
	s_or_b64 exec, exec, s[6:7]
	s_and_saveexec_b64 s[6:7], s[4:5]
	s_cbranch_execnz .LBB22_671
	s_branch .LBB22_672
.LBB22_2721:
	s_movk_i32 s4, 0x80
	v_cmp_eq_u16_sdwa s[12:13], v7, s4 src0_sel:BYTE_0 src1_sel:DWORD
	s_mov_b64 s[4:5], -1
                                        ; implicit-def: $sgpr10
	s_and_saveexec_b64 s[8:9], s[12:13]
; %bb.2722:
	s_mov_b32 s10, 0x7f800001
	s_xor_b64 s[4:5], exec, -1
; %bb.2723:
	s_or_b64 exec, exec, s[8:9]
	s_and_b64 s[4:5], s[4:5], exec
	s_or_saveexec_b64 s[6:7], s[6:7]
	v_mov_b32_e32 v2, s10
	s_xor_b64 exec, exec, s[6:7]
	s_cbranch_execz .LBB22_674
.LBB22_2724:
	v_mov_b32_e32 v2, 0
	v_cmp_ne_u16_sdwa s[8:9], v7, v2 src0_sel:BYTE_0 src1_sel:DWORD
	s_andn2_b64 s[4:5], s[4:5], exec
	s_and_b64 s[8:9], s[8:9], exec
	s_or_b64 s[4:5], s[4:5], s[8:9]
	s_or_b64 exec, exec, s[6:7]
	s_and_saveexec_b64 s[6:7], s[4:5]
	s_cbranch_execnz .LBB22_675
	s_branch .LBB22_676
.LBB22_2725:
	s_movk_i32 s4, 0x80
	v_cmp_eq_u16_sdwa s[12:13], v3, s4 src0_sel:BYTE_0 src1_sel:DWORD
	s_mov_b64 s[4:5], -1
                                        ; implicit-def: $sgpr10
	s_and_saveexec_b64 s[8:9], s[12:13]
; %bb.2726:
	s_mov_b32 s10, 0x7f800001
	s_xor_b64 s[4:5], exec, -1
; %bb.2727:
	s_or_b64 exec, exec, s[8:9]
	s_and_b64 s[4:5], s[4:5], exec
	s_or_saveexec_b64 s[6:7], s[6:7]
	v_mov_b32_e32 v6, s10
	s_xor_b64 exec, exec, s[6:7]
	s_cbranch_execz .LBB22_678
.LBB22_2728:
	v_mov_b32_e32 v6, 0
	v_cmp_ne_u16_sdwa s[8:9], v3, v6 src0_sel:BYTE_0 src1_sel:DWORD
	s_andn2_b64 s[4:5], s[4:5], exec
	s_and_b64 s[8:9], s[8:9], exec
	s_or_b64 s[4:5], s[4:5], s[8:9]
	s_or_b64 exec, exec, s[6:7]
	s_and_saveexec_b64 s[6:7], s[4:5]
	s_cbranch_execnz .LBB22_679
	s_branch .LBB22_680
.LBB22_2729:
	s_movk_i32 s4, 0x80
	v_cmp_eq_u16_sdwa s[12:13], v6, s4 src0_sel:BYTE_0 src1_sel:DWORD
	s_mov_b64 s[4:5], -1
                                        ; implicit-def: $sgpr10
	s_and_saveexec_b64 s[8:9], s[12:13]
; %bb.2730:
	s_mov_b32 s10, 0x7f800001
	s_xor_b64 s[4:5], exec, -1
; %bb.2731:
	s_or_b64 exec, exec, s[8:9]
	s_and_b64 s[4:5], s[4:5], exec
	s_or_saveexec_b64 s[6:7], s[6:7]
	v_mov_b32_e32 v2, s10
	s_xor_b64 exec, exec, s[6:7]
	s_cbranch_execz .LBB22_682
.LBB22_2732:
	v_mov_b32_e32 v2, 0
	v_cmp_ne_u16_sdwa s[8:9], v6, v2 src0_sel:BYTE_0 src1_sel:DWORD
	s_andn2_b64 s[4:5], s[4:5], exec
	s_and_b64 s[8:9], s[8:9], exec
	s_or_b64 s[4:5], s[4:5], s[8:9]
	s_or_b64 exec, exec, s[6:7]
	s_and_saveexec_b64 s[6:7], s[4:5]
	s_cbranch_execnz .LBB22_683
	s_branch .LBB22_684
.LBB22_2733:
	s_movk_i32 s4, 0x80
	v_cmp_eq_u16_sdwa s[12:13], v6, s4 src0_sel:BYTE_0 src1_sel:DWORD
	s_mov_b64 s[4:5], -1
                                        ; implicit-def: $sgpr10
	s_and_saveexec_b64 s[8:9], s[12:13]
; %bb.2734:
	s_mov_b32 s10, 0x7f800001
	s_xor_b64 s[4:5], exec, -1
; %bb.2735:
	s_or_b64 exec, exec, s[8:9]
	s_and_b64 s[4:5], s[4:5], exec
	s_or_saveexec_b64 s[6:7], s[6:7]
	v_mov_b32_e32 v10, s10
	s_xor_b64 exec, exec, s[6:7]
	s_cbranch_execz .LBB22_686
.LBB22_2736:
	v_mov_b32_e32 v10, 0
	v_cmp_ne_u16_sdwa s[8:9], v6, v10 src0_sel:BYTE_0 src1_sel:DWORD
	s_andn2_b64 s[4:5], s[4:5], exec
	s_and_b64 s[8:9], s[8:9], exec
	s_or_b64 s[4:5], s[4:5], s[8:9]
	s_or_b64 exec, exec, s[6:7]
	s_and_saveexec_b64 s[6:7], s[4:5]
	s_cbranch_execnz .LBB22_687
	s_branch .LBB22_688
.LBB22_2737:
	s_movk_i32 s4, 0x80
	v_cmp_eq_u16_e32 vcc, s4, v6
	s_mov_b64 s[4:5], -1
                                        ; implicit-def: $sgpr10
	s_and_saveexec_b64 s[8:9], vcc
; %bb.2738:
	s_mov_b32 s10, 0x7f800001
	s_xor_b64 s[4:5], exec, -1
; %bb.2739:
	s_or_b64 exec, exec, s[8:9]
	s_and_b64 s[4:5], s[4:5], exec
                                        ; implicit-def: $vgpr6
	s_or_saveexec_b64 s[6:7], s[6:7]
	v_mov_b32_e32 v2, s10
	s_xor_b64 exec, exec, s[6:7]
	s_cbranch_execz .LBB22_690
.LBB22_2740:
	v_cmp_ne_u16_e32 vcc, 0, v6
	s_andn2_b64 s[4:5], s[4:5], exec
	s_and_b64 s[8:9], vcc, exec
	v_mov_b32_e32 v2, 0
	s_or_b64 s[4:5], s[4:5], s[8:9]
	s_or_b64 exec, exec, s[6:7]
	s_and_saveexec_b64 s[6:7], s[4:5]
	s_cbranch_execnz .LBB22_691
	s_branch .LBB22_692
.LBB22_2741:
	s_movk_i32 s4, 0x80
	v_cmp_eq_u16_e32 vcc, s4, v6
	s_mov_b64 s[4:5], -1
                                        ; implicit-def: $sgpr10
	s_and_saveexec_b64 s[8:9], vcc
; %bb.2742:
	s_mov_b32 s10, 0x7f800001
	s_xor_b64 s[4:5], exec, -1
; %bb.2743:
	s_or_b64 exec, exec, s[8:9]
	s_and_b64 s[4:5], s[4:5], exec
                                        ; implicit-def: $vgpr6
	s_or_saveexec_b64 s[6:7], s[6:7]
	v_mov_b32_e32 v10, s10
	s_xor_b64 exec, exec, s[6:7]
	s_cbranch_execz .LBB22_694
.LBB22_2744:
	v_cmp_ne_u16_e32 vcc, 0, v6
	s_andn2_b64 s[4:5], s[4:5], exec
	s_and_b64 s[8:9], vcc, exec
	v_mov_b32_e32 v10, 0
	s_or_b64 s[4:5], s[4:5], s[8:9]
	s_or_b64 exec, exec, s[6:7]
	s_and_saveexec_b64 s[6:7], s[4:5]
	s_cbranch_execnz .LBB22_695
	s_branch .LBB22_696
.LBB22_2745:
	s_movk_i32 s4, 0x80
	v_cmp_eq_u16_sdwa s[12:13], v7, s4 src0_sel:BYTE_3 src1_sel:DWORD
	s_mov_b64 s[4:5], -1
                                        ; implicit-def: $sgpr10
	s_and_saveexec_b64 s[8:9], s[12:13]
; %bb.2746:
	s_mov_b32 s10, 0x7f800001
	s_xor_b64 s[4:5], exec, -1
; %bb.2747:
	s_or_b64 exec, exec, s[8:9]
	s_and_b64 s[4:5], s[4:5], exec
	s_or_saveexec_b64 s[6:7], s[6:7]
	v_mov_b32_e32 v2, s10
	s_xor_b64 exec, exec, s[6:7]
	s_cbranch_execz .LBB22_698
.LBB22_2748:
	v_mov_b32_e32 v2, 0
	v_cmp_ne_u16_sdwa s[8:9], v7, v2 src0_sel:BYTE_3 src1_sel:DWORD
	s_andn2_b64 s[4:5], s[4:5], exec
	s_and_b64 s[8:9], s[8:9], exec
	s_or_b64 s[4:5], s[4:5], s[8:9]
	s_or_b64 exec, exec, s[6:7]
	s_and_saveexec_b64 s[6:7], s[4:5]
	s_cbranch_execnz .LBB22_699
	s_branch .LBB22_700
.LBB22_2749:
	s_movk_i32 s4, 0x80
	v_cmp_eq_u16_sdwa s[12:13], v3, s4 src0_sel:BYTE_3 src1_sel:DWORD
	s_mov_b64 s[4:5], -1
                                        ; implicit-def: $sgpr10
	s_and_saveexec_b64 s[8:9], s[12:13]
; %bb.2750:
	s_mov_b32 s10, 0x7f800001
	s_xor_b64 s[4:5], exec, -1
; %bb.2751:
	s_or_b64 exec, exec, s[8:9]
	s_and_b64 s[4:5], s[4:5], exec
	s_or_saveexec_b64 s[6:7], s[6:7]
	v_mov_b32_e32 v6, s10
	s_xor_b64 exec, exec, s[6:7]
	s_cbranch_execz .LBB22_702
.LBB22_2752:
	v_mov_b32_e32 v6, 0
	v_cmp_ne_u16_sdwa s[8:9], v3, v6 src0_sel:BYTE_3 src1_sel:DWORD
	s_andn2_b64 s[4:5], s[4:5], exec
	s_and_b64 s[8:9], s[8:9], exec
	s_or_b64 s[4:5], s[4:5], s[8:9]
	s_or_b64 exec, exec, s[6:7]
	s_and_saveexec_b64 s[6:7], s[4:5]
	s_cbranch_execnz .LBB22_703
	s_branch .LBB22_704
.LBB22_2753:
	s_movk_i32 s4, 0x80
	v_cmp_eq_u16_sdwa s[12:13], v8, s4 src0_sel:BYTE_0 src1_sel:DWORD
	s_mov_b64 s[4:5], -1
                                        ; implicit-def: $sgpr10
	s_and_saveexec_b64 s[8:9], s[12:13]
; %bb.2754:
	s_mov_b32 s10, 0x7f800001
	s_xor_b64 s[4:5], exec, -1
; %bb.2755:
	s_or_b64 exec, exec, s[8:9]
	s_and_b64 s[4:5], s[4:5], exec
	s_or_saveexec_b64 s[6:7], s[6:7]
	v_mov_b32_e32 v2, s10
	s_xor_b64 exec, exec, s[6:7]
	s_cbranch_execz .LBB22_706
.LBB22_2756:
	v_mov_b32_e32 v2, 0
	v_cmp_ne_u16_sdwa s[8:9], v8, v2 src0_sel:BYTE_0 src1_sel:DWORD
	s_andn2_b64 s[4:5], s[4:5], exec
	s_and_b64 s[8:9], s[8:9], exec
	s_or_b64 s[4:5], s[4:5], s[8:9]
	s_or_b64 exec, exec, s[6:7]
	s_and_saveexec_b64 s[6:7], s[4:5]
	s_cbranch_execnz .LBB22_707
	s_branch .LBB22_708
.LBB22_2757:
	s_movk_i32 s4, 0x80
	v_cmp_eq_u16_sdwa s[12:13], v4, s4 src0_sel:BYTE_0 src1_sel:DWORD
	s_mov_b64 s[4:5], -1
                                        ; implicit-def: $sgpr10
	s_and_saveexec_b64 s[8:9], s[12:13]
; %bb.2758:
	s_mov_b32 s10, 0x7f800001
	s_xor_b64 s[4:5], exec, -1
; %bb.2759:
	s_or_b64 exec, exec, s[8:9]
	s_and_b64 s[4:5], s[4:5], exec
	s_or_saveexec_b64 s[6:7], s[6:7]
	v_mov_b32_e32 v3, s10
	s_xor_b64 exec, exec, s[6:7]
	s_cbranch_execz .LBB22_710
.LBB22_2760:
	v_mov_b32_e32 v3, 0
	v_cmp_ne_u16_sdwa s[8:9], v4, v3 src0_sel:BYTE_0 src1_sel:DWORD
	s_andn2_b64 s[4:5], s[4:5], exec
	s_and_b64 s[8:9], s[8:9], exec
	s_or_b64 s[4:5], s[4:5], s[8:9]
	s_or_b64 exec, exec, s[6:7]
	s_and_saveexec_b64 s[6:7], s[4:5]
	s_cbranch_execnz .LBB22_711
	s_branch .LBB22_712
.LBB22_2761:
	s_movk_i32 s4, 0x80
	v_cmp_eq_u16_sdwa s[12:13], v3, s4 src0_sel:BYTE_0 src1_sel:DWORD
	s_mov_b64 s[4:5], -1
                                        ; implicit-def: $sgpr10
	s_and_saveexec_b64 s[8:9], s[12:13]
; %bb.2762:
	s_mov_b32 s10, 0x7f800001
	s_xor_b64 s[4:5], exec, -1
; %bb.2763:
	s_or_b64 exec, exec, s[8:9]
	s_and_b64 s[4:5], s[4:5], exec
	s_or_saveexec_b64 s[6:7], s[6:7]
	v_mov_b32_e32 v2, s10
	s_xor_b64 exec, exec, s[6:7]
	s_cbranch_execz .LBB22_714
.LBB22_2764:
	v_mov_b32_e32 v2, 0
	v_cmp_ne_u16_sdwa s[8:9], v3, v2 src0_sel:BYTE_0 src1_sel:DWORD
	s_andn2_b64 s[4:5], s[4:5], exec
	s_and_b64 s[8:9], s[8:9], exec
	s_or_b64 s[4:5], s[4:5], s[8:9]
	s_or_b64 exec, exec, s[6:7]
	s_and_saveexec_b64 s[6:7], s[4:5]
	s_cbranch_execnz .LBB22_715
	s_branch .LBB22_716
.LBB22_2765:
	s_movk_i32 s4, 0x80
	v_cmp_eq_u16_sdwa s[12:13], v3, s4 src0_sel:BYTE_0 src1_sel:DWORD
	s_mov_b64 s[4:5], -1
                                        ; implicit-def: $sgpr10
	s_and_saveexec_b64 s[8:9], s[12:13]
; %bb.2766:
	s_mov_b32 s10, 0x7f800001
	s_xor_b64 s[4:5], exec, -1
; %bb.2767:
	s_or_b64 exec, exec, s[8:9]
	s_and_b64 s[4:5], s[4:5], exec
	s_or_saveexec_b64 s[6:7], s[6:7]
	v_mov_b32_e32 v6, s10
	s_xor_b64 exec, exec, s[6:7]
	s_cbranch_execz .LBB22_718
.LBB22_2768:
	v_mov_b32_e32 v6, 0
	v_cmp_ne_u16_sdwa s[8:9], v3, v6 src0_sel:BYTE_0 src1_sel:DWORD
	s_andn2_b64 s[4:5], s[4:5], exec
	s_and_b64 s[8:9], s[8:9], exec
	s_or_b64 s[4:5], s[4:5], s[8:9]
	s_or_b64 exec, exec, s[6:7]
	s_and_saveexec_b64 s[6:7], s[4:5]
	s_cbranch_execnz .LBB22_719
	s_branch .LBB22_720
.LBB22_2769:
	s_movk_i32 s4, 0x80
	v_cmp_eq_u16_e32 vcc, s4, v3
	s_mov_b64 s[4:5], -1
                                        ; implicit-def: $sgpr10
	s_and_saveexec_b64 s[8:9], vcc
; %bb.2770:
	s_mov_b32 s10, 0x7f800001
	s_xor_b64 s[4:5], exec, -1
; %bb.2771:
	s_or_b64 exec, exec, s[8:9]
	s_and_b64 s[4:5], s[4:5], exec
                                        ; implicit-def: $vgpr3
	s_or_saveexec_b64 s[6:7], s[6:7]
	v_mov_b32_e32 v2, s10
	s_xor_b64 exec, exec, s[6:7]
	s_cbranch_execz .LBB22_722
.LBB22_2772:
	v_cmp_ne_u16_e32 vcc, 0, v3
	s_andn2_b64 s[4:5], s[4:5], exec
	s_and_b64 s[8:9], vcc, exec
	v_mov_b32_e32 v2, 0
	s_or_b64 s[4:5], s[4:5], s[8:9]
	s_or_b64 exec, exec, s[6:7]
	s_and_saveexec_b64 s[6:7], s[4:5]
	s_cbranch_execnz .LBB22_723
	s_branch .LBB22_724
.LBB22_2773:
	s_movk_i32 s4, 0x80
	v_cmp_eq_u16_e32 vcc, s4, v3
	s_mov_b64 s[4:5], -1
                                        ; implicit-def: $sgpr10
	s_and_saveexec_b64 s[8:9], vcc
; %bb.2774:
	s_mov_b32 s10, 0x7f800001
	s_xor_b64 s[4:5], exec, -1
; %bb.2775:
	s_or_b64 exec, exec, s[8:9]
	s_and_b64 s[4:5], s[4:5], exec
                                        ; implicit-def: $vgpr3
	s_or_saveexec_b64 s[6:7], s[6:7]
	v_mov_b32_e32 v6, s10
	s_xor_b64 exec, exec, s[6:7]
	s_cbranch_execz .LBB22_726
.LBB22_2776:
	v_cmp_ne_u16_e32 vcc, 0, v3
	s_andn2_b64 s[4:5], s[4:5], exec
	s_and_b64 s[8:9], vcc, exec
	v_mov_b32_e32 v6, 0
	s_or_b64 s[4:5], s[4:5], s[8:9]
	s_or_b64 exec, exec, s[6:7]
	s_and_saveexec_b64 s[6:7], s[4:5]
	s_cbranch_execnz .LBB22_727
	s_branch .LBB22_728
.LBB22_2777:
	s_movk_i32 s4, 0x80
	v_cmp_eq_u16_sdwa s[12:13], v8, s4 src0_sel:BYTE_3 src1_sel:DWORD
	s_mov_b64 s[4:5], -1
                                        ; implicit-def: $sgpr10
	s_and_saveexec_b64 s[8:9], s[12:13]
; %bb.2778:
	s_mov_b32 s10, 0x7f800001
	s_xor_b64 s[4:5], exec, -1
; %bb.2779:
	s_or_b64 exec, exec, s[8:9]
	s_and_b64 s[4:5], s[4:5], exec
	s_or_saveexec_b64 s[6:7], s[6:7]
	v_mov_b32_e32 v2, s10
	s_xor_b64 exec, exec, s[6:7]
	s_cbranch_execz .LBB22_730
.LBB22_2780:
	v_mov_b32_e32 v2, 0
	v_cmp_ne_u16_sdwa s[8:9], v8, v2 src0_sel:BYTE_3 src1_sel:DWORD
	s_andn2_b64 s[4:5], s[4:5], exec
	s_and_b64 s[8:9], s[8:9], exec
	s_or_b64 s[4:5], s[4:5], s[8:9]
	s_or_b64 exec, exec, s[6:7]
	s_and_saveexec_b64 s[6:7], s[4:5]
	s_cbranch_execnz .LBB22_731
	s_branch .LBB22_732
.LBB22_2781:
	s_movk_i32 s4, 0x80
	v_cmp_eq_u16_sdwa s[12:13], v4, s4 src0_sel:BYTE_3 src1_sel:DWORD
	s_mov_b64 s[4:5], -1
                                        ; implicit-def: $sgpr10
	s_and_saveexec_b64 s[8:9], s[12:13]
; %bb.2782:
	s_mov_b32 s10, 0x7f800001
	s_xor_b64 s[4:5], exec, -1
; %bb.2783:
	s_or_b64 exec, exec, s[8:9]
	s_and_b64 s[4:5], s[4:5], exec
	s_or_saveexec_b64 s[6:7], s[6:7]
	v_mov_b32_e32 v3, s10
	s_xor_b64 exec, exec, s[6:7]
	s_cbranch_execz .LBB22_734
.LBB22_2784:
	v_mov_b32_e32 v3, 0
	v_cmp_ne_u16_sdwa s[8:9], v4, v3 src0_sel:BYTE_3 src1_sel:DWORD
	s_andn2_b64 s[4:5], s[4:5], exec
	s_and_b64 s[8:9], s[8:9], exec
	s_or_b64 s[4:5], s[4:5], s[8:9]
	s_or_b64 exec, exec, s[6:7]
	s_and_saveexec_b64 s[6:7], s[4:5]
	s_cbranch_execnz .LBB22_735
	s_branch .LBB22_736
.LBB22_2785:
	s_movk_i32 s4, 0x80
	v_cmp_eq_u16_sdwa s[12:13], v9, s4 src0_sel:BYTE_0 src1_sel:DWORD
	s_mov_b64 s[4:5], -1
                                        ; implicit-def: $sgpr10
	s_and_saveexec_b64 s[8:9], s[12:13]
; %bb.2786:
	s_mov_b32 s10, 0x7f800001
	s_xor_b64 s[4:5], exec, -1
; %bb.2787:
	s_or_b64 exec, exec, s[8:9]
	s_and_b64 s[4:5], s[4:5], exec
	s_or_saveexec_b64 s[6:7], s[6:7]
	v_mov_b32_e32 v2, s10
	s_xor_b64 exec, exec, s[6:7]
	s_cbranch_execz .LBB22_738
.LBB22_2788:
	v_mov_b32_e32 v2, 0
	v_cmp_ne_u16_sdwa s[8:9], v9, v2 src0_sel:BYTE_0 src1_sel:DWORD
	s_andn2_b64 s[4:5], s[4:5], exec
	s_and_b64 s[8:9], s[8:9], exec
	s_or_b64 s[4:5], s[4:5], s[8:9]
	s_or_b64 exec, exec, s[6:7]
	s_and_saveexec_b64 s[6:7], s[4:5]
	s_cbranch_execnz .LBB22_739
	s_branch .LBB22_740
.LBB22_2789:
	s_movk_i32 s4, 0x80
	v_cmp_eq_u16_sdwa s[12:13], v5, s4 src0_sel:BYTE_0 src1_sel:DWORD
	s_mov_b64 s[4:5], -1
                                        ; implicit-def: $sgpr10
	s_and_saveexec_b64 s[8:9], s[12:13]
; %bb.2790:
	s_mov_b32 s10, 0x7f800001
	s_xor_b64 s[4:5], exec, -1
; %bb.2791:
	s_or_b64 exec, exec, s[8:9]
	s_and_b64 s[4:5], s[4:5], exec
	s_or_saveexec_b64 s[6:7], s[6:7]
	v_mov_b32_e32 v3, s10
	s_xor_b64 exec, exec, s[6:7]
	s_cbranch_execz .LBB22_742
.LBB22_2792:
	v_mov_b32_e32 v3, 0
	v_cmp_ne_u16_sdwa s[8:9], v5, v3 src0_sel:BYTE_0 src1_sel:DWORD
	s_andn2_b64 s[4:5], s[4:5], exec
	s_and_b64 s[8:9], s[8:9], exec
	s_or_b64 s[4:5], s[4:5], s[8:9]
	s_or_b64 exec, exec, s[6:7]
	s_and_saveexec_b64 s[6:7], s[4:5]
	s_cbranch_execnz .LBB22_743
	s_branch .LBB22_744
.LBB22_2793:
	s_movk_i32 s4, 0x80
	v_cmp_eq_u16_sdwa s[12:13], v3, s4 src0_sel:BYTE_0 src1_sel:DWORD
	s_mov_b64 s[4:5], -1
                                        ; implicit-def: $sgpr10
	s_and_saveexec_b64 s[8:9], s[12:13]
; %bb.2794:
	s_mov_b32 s10, 0x7f800001
	s_xor_b64 s[4:5], exec, -1
; %bb.2795:
	s_or_b64 exec, exec, s[8:9]
	s_and_b64 s[4:5], s[4:5], exec
	s_or_saveexec_b64 s[6:7], s[6:7]
	v_mov_b32_e32 v2, s10
	s_xor_b64 exec, exec, s[6:7]
	s_cbranch_execz .LBB22_746
.LBB22_2796:
	v_mov_b32_e32 v2, 0
	v_cmp_ne_u16_sdwa s[8:9], v3, v2 src0_sel:BYTE_0 src1_sel:DWORD
	s_andn2_b64 s[4:5], s[4:5], exec
	s_and_b64 s[8:9], s[8:9], exec
	s_or_b64 s[4:5], s[4:5], s[8:9]
	s_or_b64 exec, exec, s[6:7]
	s_and_saveexec_b64 s[6:7], s[4:5]
	s_cbranch_execnz .LBB22_747
	s_branch .LBB22_748
.LBB22_2797:
	s_movk_i32 s4, 0x80
	v_cmp_eq_u16_sdwa s[12:13], v3, s4 src0_sel:BYTE_0 src1_sel:DWORD
	s_mov_b64 s[4:5], -1
                                        ; implicit-def: $sgpr10
	s_and_saveexec_b64 s[8:9], s[12:13]
; %bb.2798:
	s_mov_b32 s10, 0x7f800001
	s_xor_b64 s[4:5], exec, -1
; %bb.2799:
	s_or_b64 exec, exec, s[8:9]
	s_and_b64 s[4:5], s[4:5], exec
	s_or_saveexec_b64 s[6:7], s[6:7]
	v_mov_b32_e32 v4, s10
	s_xor_b64 exec, exec, s[6:7]
	s_cbranch_execz .LBB22_750
.LBB22_2800:
	v_mov_b32_e32 v4, 0
	v_cmp_ne_u16_sdwa s[8:9], v3, v4 src0_sel:BYTE_0 src1_sel:DWORD
	s_andn2_b64 s[4:5], s[4:5], exec
	s_and_b64 s[8:9], s[8:9], exec
	s_or_b64 s[4:5], s[4:5], s[8:9]
	s_or_b64 exec, exec, s[6:7]
	s_and_saveexec_b64 s[6:7], s[4:5]
	s_cbranch_execnz .LBB22_751
	s_branch .LBB22_752
.LBB22_2801:
	s_movk_i32 s4, 0x80
	v_cmp_eq_u16_e32 vcc, s4, v3
	s_mov_b64 s[4:5], -1
                                        ; implicit-def: $sgpr10
	s_and_saveexec_b64 s[8:9], vcc
; %bb.2802:
	s_mov_b32 s10, 0x7f800001
	s_xor_b64 s[4:5], exec, -1
; %bb.2803:
	s_or_b64 exec, exec, s[8:9]
	s_and_b64 s[4:5], s[4:5], exec
                                        ; implicit-def: $vgpr3
	s_or_saveexec_b64 s[6:7], s[6:7]
	v_mov_b32_e32 v2, s10
	s_xor_b64 exec, exec, s[6:7]
	s_cbranch_execz .LBB22_754
.LBB22_2804:
	v_cmp_ne_u16_e32 vcc, 0, v3
	s_andn2_b64 s[4:5], s[4:5], exec
	s_and_b64 s[8:9], vcc, exec
	v_mov_b32_e32 v2, 0
	s_or_b64 s[4:5], s[4:5], s[8:9]
	s_or_b64 exec, exec, s[6:7]
	s_and_saveexec_b64 s[6:7], s[4:5]
	s_cbranch_execnz .LBB22_755
	s_branch .LBB22_756
.LBB22_2805:
	s_movk_i32 s4, 0x80
	v_cmp_eq_u16_e32 vcc, s4, v3
	s_mov_b64 s[4:5], -1
                                        ; implicit-def: $sgpr10
	s_and_saveexec_b64 s[8:9], vcc
; %bb.2806:
	s_mov_b32 s10, 0x7f800001
	s_xor_b64 s[4:5], exec, -1
; %bb.2807:
	s_or_b64 exec, exec, s[8:9]
	s_and_b64 s[4:5], s[4:5], exec
                                        ; implicit-def: $vgpr3
	s_or_saveexec_b64 s[6:7], s[6:7]
	v_mov_b32_e32 v4, s10
	s_xor_b64 exec, exec, s[6:7]
	s_cbranch_execz .LBB22_758
.LBB22_2808:
	v_cmp_ne_u16_e32 vcc, 0, v3
	s_andn2_b64 s[4:5], s[4:5], exec
	s_and_b64 s[8:9], vcc, exec
	v_mov_b32_e32 v4, 0
	s_or_b64 s[4:5], s[4:5], s[8:9]
	s_or_b64 exec, exec, s[6:7]
	s_and_saveexec_b64 s[6:7], s[4:5]
	s_cbranch_execnz .LBB22_759
	s_branch .LBB22_760
.LBB22_2809:
	s_movk_i32 s4, 0x80
	v_cmp_eq_u16_sdwa s[12:13], v9, s4 src0_sel:BYTE_3 src1_sel:DWORD
	s_mov_b64 s[4:5], -1
                                        ; implicit-def: $sgpr10
	s_and_saveexec_b64 s[8:9], s[12:13]
; %bb.2810:
	s_mov_b32 s10, 0x7f800001
	s_xor_b64 s[4:5], exec, -1
; %bb.2811:
	s_or_b64 exec, exec, s[8:9]
	s_and_b64 s[4:5], s[4:5], exec
	s_or_saveexec_b64 s[6:7], s[6:7]
	v_mov_b32_e32 v2, s10
	s_xor_b64 exec, exec, s[6:7]
	s_cbranch_execz .LBB22_762
.LBB22_2812:
	v_mov_b32_e32 v2, 0
	v_cmp_ne_u16_sdwa s[8:9], v9, v2 src0_sel:BYTE_3 src1_sel:DWORD
	s_andn2_b64 s[4:5], s[4:5], exec
	s_and_b64 s[8:9], s[8:9], exec
	s_or_b64 s[4:5], s[4:5], s[8:9]
	s_or_b64 exec, exec, s[6:7]
	s_and_saveexec_b64 s[6:7], s[4:5]
	s_cbranch_execnz .LBB22_763
	s_branch .LBB22_764
.LBB22_2813:
	s_movk_i32 s4, 0x80
	v_cmp_eq_u16_sdwa s[12:13], v5, s4 src0_sel:BYTE_3 src1_sel:DWORD
	s_mov_b64 s[4:5], -1
                                        ; implicit-def: $sgpr10
	s_and_saveexec_b64 s[8:9], s[12:13]
; %bb.2814:
	s_mov_b32 s10, 0x7f800001
	s_xor_b64 s[4:5], exec, -1
; %bb.2815:
	s_or_b64 exec, exec, s[8:9]
	s_and_b64 s[4:5], s[4:5], exec
	s_or_saveexec_b64 s[6:7], s[6:7]
	v_mov_b32_e32 v3, s10
	s_xor_b64 exec, exec, s[6:7]
	s_cbranch_execz .LBB22_766
.LBB22_2816:
	v_mov_b32_e32 v3, 0
	v_cmp_ne_u16_sdwa s[8:9], v5, v3 src0_sel:BYTE_3 src1_sel:DWORD
	s_andn2_b64 s[4:5], s[4:5], exec
	s_and_b64 s[8:9], s[8:9], exec
	s_or_b64 s[4:5], s[4:5], s[8:9]
	s_or_b64 exec, exec, s[6:7]
	s_and_saveexec_b64 s[6:7], s[4:5]
	s_cbranch_execnz .LBB22_767
	s_branch .LBB22_768
.LBB22_2817:
	s_movk_i32 s4, 0x80
	v_cmp_eq_u16_sdwa s[12:13], v14, s4 src0_sel:BYTE_0 src1_sel:DWORD
	s_mov_b64 s[4:5], -1
                                        ; implicit-def: $sgpr10
	s_and_saveexec_b64 s[8:9], s[12:13]
; %bb.2818:
	s_mov_b32 s10, 0x7f800001
	s_xor_b64 s[4:5], exec, -1
; %bb.2819:
	s_or_b64 exec, exec, s[8:9]
	s_and_b64 s[4:5], s[4:5], exec
	s_or_saveexec_b64 s[6:7], s[6:7]
	v_mov_b32_e32 v20, s10
	s_xor_b64 exec, exec, s[6:7]
	s_cbranch_execz .LBB22_770
.LBB22_2820:
	v_mov_b32_e32 v20, 0
	v_cmp_ne_u16_sdwa s[8:9], v14, v20 src0_sel:BYTE_0 src1_sel:DWORD
	s_andn2_b64 s[4:5], s[4:5], exec
	s_and_b64 s[8:9], s[8:9], exec
	s_or_b64 s[4:5], s[4:5], s[8:9]
	s_or_b64 exec, exec, s[6:7]
	s_and_saveexec_b64 s[6:7], s[4:5]
	s_cbranch_execnz .LBB22_771
	s_branch .LBB22_772
.LBB22_2821:
	s_movk_i32 s4, 0x80
	v_cmp_eq_u16_sdwa s[12:13], v10, s4 src0_sel:BYTE_0 src1_sel:DWORD
	s_mov_b64 s[4:5], -1
                                        ; implicit-def: $sgpr10
	s_and_saveexec_b64 s[8:9], s[12:13]
; %bb.2822:
	s_mov_b32 s10, 0x7f800001
	s_xor_b64 s[4:5], exec, -1
; %bb.2823:
	s_or_b64 exec, exec, s[8:9]
	s_and_b64 s[4:5], s[4:5], exec
	s_or_saveexec_b64 s[6:7], s[6:7]
	v_mov_b32_e32 v21, s10
	s_xor_b64 exec, exec, s[6:7]
	s_cbranch_execz .LBB22_774
.LBB22_2824:
	v_mov_b32_e32 v21, 0
	v_cmp_ne_u16_sdwa s[8:9], v10, v21 src0_sel:BYTE_0 src1_sel:DWORD
	s_andn2_b64 s[4:5], s[4:5], exec
	s_and_b64 s[8:9], s[8:9], exec
	s_or_b64 s[4:5], s[4:5], s[8:9]
	s_or_b64 exec, exec, s[6:7]
	s_and_saveexec_b64 s[6:7], s[4:5]
	s_cbranch_execnz .LBB22_775
	s_branch .LBB22_776
.LBB22_2825:
	s_movk_i32 s4, 0x80
	v_cmp_eq_u16_sdwa s[12:13], v21, s4 src0_sel:BYTE_0 src1_sel:DWORD
	s_mov_b64 s[4:5], -1
                                        ; implicit-def: $sgpr10
	s_and_saveexec_b64 s[8:9], s[12:13]
; %bb.2826:
	s_mov_b32 s10, 0x7f800001
	s_xor_b64 s[4:5], exec, -1
; %bb.2827:
	s_or_b64 exec, exec, s[8:9]
	s_and_b64 s[4:5], s[4:5], exec
	s_or_saveexec_b64 s[6:7], s[6:7]
	v_mov_b32_e32 v20, s10
	s_xor_b64 exec, exec, s[6:7]
	s_cbranch_execz .LBB22_778
.LBB22_2828:
	v_mov_b32_e32 v20, 0
	v_cmp_ne_u16_sdwa s[8:9], v21, v20 src0_sel:BYTE_0 src1_sel:DWORD
	s_andn2_b64 s[4:5], s[4:5], exec
	s_and_b64 s[8:9], s[8:9], exec
	s_or_b64 s[4:5], s[4:5], s[8:9]
	s_or_b64 exec, exec, s[6:7]
	s_and_saveexec_b64 s[6:7], s[4:5]
	s_cbranch_execnz .LBB22_779
	s_branch .LBB22_780
.LBB22_2829:
	s_movk_i32 s4, 0x80
	v_cmp_eq_u16_sdwa s[12:13], v21, s4 src0_sel:BYTE_0 src1_sel:DWORD
	s_mov_b64 s[4:5], -1
                                        ; implicit-def: $sgpr10
	s_and_saveexec_b64 s[8:9], s[12:13]
; %bb.2830:
	s_mov_b32 s10, 0x7f800001
	s_xor_b64 s[4:5], exec, -1
; %bb.2831:
	s_or_b64 exec, exec, s[8:9]
	s_and_b64 s[4:5], s[4:5], exec
	s_or_saveexec_b64 s[6:7], s[6:7]
	v_mov_b32_e32 v22, s10
	s_xor_b64 exec, exec, s[6:7]
	s_cbranch_execz .LBB22_782
.LBB22_2832:
	v_mov_b32_e32 v22, 0
	v_cmp_ne_u16_sdwa s[8:9], v21, v22 src0_sel:BYTE_0 src1_sel:DWORD
	s_andn2_b64 s[4:5], s[4:5], exec
	s_and_b64 s[8:9], s[8:9], exec
	s_or_b64 s[4:5], s[4:5], s[8:9]
	s_or_b64 exec, exec, s[6:7]
	s_and_saveexec_b64 s[6:7], s[4:5]
	s_cbranch_execnz .LBB22_783
	s_branch .LBB22_784
.LBB22_2833:
	s_movk_i32 s4, 0x80
	v_cmp_eq_u16_e32 vcc, s4, v21
	s_mov_b64 s[4:5], -1
                                        ; implicit-def: $sgpr10
	s_and_saveexec_b64 s[8:9], vcc
; %bb.2834:
	s_mov_b32 s10, 0x7f800001
	s_xor_b64 s[4:5], exec, -1
; %bb.2835:
	s_or_b64 exec, exec, s[8:9]
	s_and_b64 s[4:5], s[4:5], exec
                                        ; implicit-def: $vgpr21
	s_or_saveexec_b64 s[6:7], s[6:7]
	v_mov_b32_e32 v20, s10
	s_xor_b64 exec, exec, s[6:7]
	s_cbranch_execz .LBB22_786
.LBB22_2836:
	v_cmp_ne_u16_e32 vcc, 0, v21
	s_andn2_b64 s[4:5], s[4:5], exec
	s_and_b64 s[8:9], vcc, exec
	v_mov_b32_e32 v20, 0
	s_or_b64 s[4:5], s[4:5], s[8:9]
	s_or_b64 exec, exec, s[6:7]
	s_and_saveexec_b64 s[6:7], s[4:5]
	s_cbranch_execnz .LBB22_787
	s_branch .LBB22_788
.LBB22_2837:
	s_movk_i32 s4, 0x80
	v_cmp_eq_u16_e32 vcc, s4, v21
	s_mov_b64 s[4:5], -1
                                        ; implicit-def: $sgpr10
	s_and_saveexec_b64 s[8:9], vcc
; %bb.2838:
	s_mov_b32 s10, 0x7f800001
	s_xor_b64 s[4:5], exec, -1
; %bb.2839:
	s_or_b64 exec, exec, s[8:9]
	s_and_b64 s[4:5], s[4:5], exec
                                        ; implicit-def: $vgpr21
	s_or_saveexec_b64 s[6:7], s[6:7]
	v_mov_b32_e32 v22, s10
	s_xor_b64 exec, exec, s[6:7]
	s_cbranch_execz .LBB22_790
.LBB22_2840:
	v_cmp_ne_u16_e32 vcc, 0, v21
	s_andn2_b64 s[4:5], s[4:5], exec
	s_and_b64 s[8:9], vcc, exec
	v_mov_b32_e32 v22, 0
	s_or_b64 s[4:5], s[4:5], s[8:9]
	s_or_b64 exec, exec, s[6:7]
	s_and_saveexec_b64 s[6:7], s[4:5]
	s_cbranch_execnz .LBB22_791
	s_branch .LBB22_792
.LBB22_2841:
	s_movk_i32 s4, 0x80
	v_cmp_eq_u16_sdwa s[12:13], v14, s4 src0_sel:BYTE_3 src1_sel:DWORD
	s_mov_b64 s[4:5], -1
                                        ; implicit-def: $sgpr10
	s_and_saveexec_b64 s[8:9], s[12:13]
; %bb.2842:
	s_mov_b32 s10, 0x7f800001
	s_xor_b64 s[4:5], exec, -1
; %bb.2843:
	s_or_b64 exec, exec, s[8:9]
	s_and_b64 s[4:5], s[4:5], exec
	s_or_saveexec_b64 s[6:7], s[6:7]
	v_mov_b32_e32 v20, s10
	s_xor_b64 exec, exec, s[6:7]
	s_cbranch_execz .LBB22_794
.LBB22_2844:
	v_mov_b32_e32 v20, 0
	v_cmp_ne_u16_sdwa s[8:9], v14, v20 src0_sel:BYTE_3 src1_sel:DWORD
	s_andn2_b64 s[4:5], s[4:5], exec
	s_and_b64 s[8:9], s[8:9], exec
	s_or_b64 s[4:5], s[4:5], s[8:9]
	s_or_b64 exec, exec, s[6:7]
	s_and_saveexec_b64 s[6:7], s[4:5]
	s_cbranch_execnz .LBB22_795
	s_branch .LBB22_796
.LBB22_2845:
	s_movk_i32 s4, 0x80
	v_cmp_eq_u16_sdwa s[12:13], v10, s4 src0_sel:BYTE_3 src1_sel:DWORD
	s_mov_b64 s[4:5], -1
                                        ; implicit-def: $sgpr10
	s_and_saveexec_b64 s[8:9], s[12:13]
; %bb.2846:
	s_mov_b32 s10, 0x7f800001
	s_xor_b64 s[4:5], exec, -1
; %bb.2847:
	s_or_b64 exec, exec, s[8:9]
	s_and_b64 s[4:5], s[4:5], exec
	s_or_saveexec_b64 s[6:7], s[6:7]
	v_mov_b32_e32 v14, s10
	s_xor_b64 exec, exec, s[6:7]
	s_cbranch_execz .LBB22_798
.LBB22_2848:
	v_mov_b32_e32 v14, 0
	v_cmp_ne_u16_sdwa s[8:9], v10, v14 src0_sel:BYTE_3 src1_sel:DWORD
	s_andn2_b64 s[4:5], s[4:5], exec
	s_and_b64 s[8:9], s[8:9], exec
	s_or_b64 s[4:5], s[4:5], s[8:9]
	s_or_b64 exec, exec, s[6:7]
	s_and_saveexec_b64 s[6:7], s[4:5]
	s_cbranch_execnz .LBB22_799
	s_branch .LBB22_800
.LBB22_2849:
	s_movk_i32 s4, 0x80
	v_cmp_eq_u16_sdwa s[12:13], v15, s4 src0_sel:BYTE_0 src1_sel:DWORD
	s_mov_b64 s[4:5], -1
                                        ; implicit-def: $sgpr10
	s_and_saveexec_b64 s[8:9], s[12:13]
; %bb.2850:
	s_mov_b32 s10, 0x7f800001
	s_xor_b64 s[4:5], exec, -1
; %bb.2851:
	s_or_b64 exec, exec, s[8:9]
	s_and_b64 s[4:5], s[4:5], exec
	s_or_saveexec_b64 s[6:7], s[6:7]
	v_mov_b32_e32 v10, s10
	s_xor_b64 exec, exec, s[6:7]
	s_cbranch_execz .LBB22_802
.LBB22_2852:
	v_mov_b32_e32 v10, 0
	v_cmp_ne_u16_sdwa s[8:9], v15, v10 src0_sel:BYTE_0 src1_sel:DWORD
	s_andn2_b64 s[4:5], s[4:5], exec
	s_and_b64 s[8:9], s[8:9], exec
	s_or_b64 s[4:5], s[4:5], s[8:9]
	s_or_b64 exec, exec, s[6:7]
	s_and_saveexec_b64 s[6:7], s[4:5]
	s_cbranch_execnz .LBB22_803
	s_branch .LBB22_804
.LBB22_2853:
	s_movk_i32 s4, 0x80
	v_cmp_eq_u16_sdwa s[12:13], v11, s4 src0_sel:BYTE_0 src1_sel:DWORD
	s_mov_b64 s[4:5], -1
                                        ; implicit-def: $sgpr10
	s_and_saveexec_b64 s[8:9], s[12:13]
; %bb.2854:
	s_mov_b32 s10, 0x7f800001
	s_xor_b64 s[4:5], exec, -1
; %bb.2855:
	s_or_b64 exec, exec, s[8:9]
	s_and_b64 s[4:5], s[4:5], exec
	s_or_saveexec_b64 s[6:7], s[6:7]
	v_mov_b32_e32 v14, s10
	s_xor_b64 exec, exec, s[6:7]
	s_cbranch_execz .LBB22_806
.LBB22_2856:
	v_mov_b32_e32 v14, 0
	v_cmp_ne_u16_sdwa s[8:9], v11, v14 src0_sel:BYTE_0 src1_sel:DWORD
	s_andn2_b64 s[4:5], s[4:5], exec
	s_and_b64 s[8:9], s[8:9], exec
	s_or_b64 s[4:5], s[4:5], s[8:9]
	s_or_b64 exec, exec, s[6:7]
	s_and_saveexec_b64 s[6:7], s[4:5]
	s_cbranch_execnz .LBB22_807
	s_branch .LBB22_808
.LBB22_2857:
	s_movk_i32 s4, 0x80
	v_cmp_eq_u16_sdwa s[12:13], v14, s4 src0_sel:BYTE_0 src1_sel:DWORD
	s_mov_b64 s[4:5], -1
                                        ; implicit-def: $sgpr10
	s_and_saveexec_b64 s[8:9], s[12:13]
; %bb.2858:
	s_mov_b32 s10, 0x7f800001
	s_xor_b64 s[4:5], exec, -1
; %bb.2859:
	s_or_b64 exec, exec, s[8:9]
	s_and_b64 s[4:5], s[4:5], exec
	s_or_saveexec_b64 s[6:7], s[6:7]
	v_mov_b32_e32 v10, s10
	s_xor_b64 exec, exec, s[6:7]
	s_cbranch_execz .LBB22_810
.LBB22_2860:
	v_mov_b32_e32 v10, 0
	v_cmp_ne_u16_sdwa s[8:9], v14, v10 src0_sel:BYTE_0 src1_sel:DWORD
	s_andn2_b64 s[4:5], s[4:5], exec
	s_and_b64 s[8:9], s[8:9], exec
	s_or_b64 s[4:5], s[4:5], s[8:9]
	s_or_b64 exec, exec, s[6:7]
	s_and_saveexec_b64 s[6:7], s[4:5]
	s_cbranch_execnz .LBB22_811
	s_branch .LBB22_812
.LBB22_2861:
	s_movk_i32 s4, 0x80
	v_cmp_eq_u16_sdwa s[12:13], v14, s4 src0_sel:BYTE_0 src1_sel:DWORD
	s_mov_b64 s[4:5], -1
                                        ; implicit-def: $sgpr10
	s_and_saveexec_b64 s[8:9], s[12:13]
; %bb.2862:
	s_mov_b32 s10, 0x7f800001
	s_xor_b64 s[4:5], exec, -1
; %bb.2863:
	s_or_b64 exec, exec, s[8:9]
	s_and_b64 s[4:5], s[4:5], exec
	s_or_saveexec_b64 s[6:7], s[6:7]
	v_mov_b32_e32 v20, s10
	s_xor_b64 exec, exec, s[6:7]
	s_cbranch_execz .LBB22_814
.LBB22_2864:
	v_mov_b32_e32 v20, 0
	v_cmp_ne_u16_sdwa s[8:9], v14, v20 src0_sel:BYTE_0 src1_sel:DWORD
	s_andn2_b64 s[4:5], s[4:5], exec
	s_and_b64 s[8:9], s[8:9], exec
	s_or_b64 s[4:5], s[4:5], s[8:9]
	s_or_b64 exec, exec, s[6:7]
	s_and_saveexec_b64 s[6:7], s[4:5]
	s_cbranch_execnz .LBB22_815
	s_branch .LBB22_816
.LBB22_2865:
	s_movk_i32 s4, 0x80
	v_cmp_eq_u16_e32 vcc, s4, v14
	s_mov_b64 s[4:5], -1
                                        ; implicit-def: $sgpr10
	s_and_saveexec_b64 s[8:9], vcc
; %bb.2866:
	s_mov_b32 s10, 0x7f800001
	s_xor_b64 s[4:5], exec, -1
; %bb.2867:
	s_or_b64 exec, exec, s[8:9]
	s_and_b64 s[4:5], s[4:5], exec
                                        ; implicit-def: $vgpr14
	s_or_saveexec_b64 s[6:7], s[6:7]
	v_mov_b32_e32 v10, s10
	s_xor_b64 exec, exec, s[6:7]
	s_cbranch_execz .LBB22_818
.LBB22_2868:
	v_cmp_ne_u16_e32 vcc, 0, v14
	s_andn2_b64 s[4:5], s[4:5], exec
	s_and_b64 s[8:9], vcc, exec
	v_mov_b32_e32 v10, 0
	s_or_b64 s[4:5], s[4:5], s[8:9]
	s_or_b64 exec, exec, s[6:7]
	s_and_saveexec_b64 s[6:7], s[4:5]
	s_cbranch_execnz .LBB22_819
	s_branch .LBB22_820
.LBB22_2869:
	s_movk_i32 s4, 0x80
	v_cmp_eq_u16_e32 vcc, s4, v14
	s_mov_b64 s[4:5], -1
                                        ; implicit-def: $sgpr10
	s_and_saveexec_b64 s[8:9], vcc
; %bb.2870:
	s_mov_b32 s10, 0x7f800001
	s_xor_b64 s[4:5], exec, -1
; %bb.2871:
	s_or_b64 exec, exec, s[8:9]
	s_and_b64 s[4:5], s[4:5], exec
                                        ; implicit-def: $vgpr14
	s_or_saveexec_b64 s[6:7], s[6:7]
	v_mov_b32_e32 v20, s10
	s_xor_b64 exec, exec, s[6:7]
	s_cbranch_execz .LBB22_822
.LBB22_2872:
	v_cmp_ne_u16_e32 vcc, 0, v14
	s_andn2_b64 s[4:5], s[4:5], exec
	s_and_b64 s[8:9], vcc, exec
	v_mov_b32_e32 v20, 0
	s_or_b64 s[4:5], s[4:5], s[8:9]
	s_or_b64 exec, exec, s[6:7]
	s_and_saveexec_b64 s[6:7], s[4:5]
	s_cbranch_execnz .LBB22_823
	s_branch .LBB22_824
.LBB22_2873:
	s_movk_i32 s4, 0x80
	v_cmp_eq_u16_sdwa s[12:13], v15, s4 src0_sel:BYTE_3 src1_sel:DWORD
	s_mov_b64 s[4:5], -1
                                        ; implicit-def: $sgpr10
	s_and_saveexec_b64 s[8:9], s[12:13]
; %bb.2874:
	s_mov_b32 s10, 0x7f800001
	s_xor_b64 s[4:5], exec, -1
; %bb.2875:
	s_or_b64 exec, exec, s[8:9]
	s_and_b64 s[4:5], s[4:5], exec
	s_or_saveexec_b64 s[6:7], s[6:7]
	v_mov_b32_e32 v10, s10
	s_xor_b64 exec, exec, s[6:7]
	s_cbranch_execz .LBB22_826
.LBB22_2876:
	v_mov_b32_e32 v10, 0
	v_cmp_ne_u16_sdwa s[8:9], v15, v10 src0_sel:BYTE_3 src1_sel:DWORD
	s_andn2_b64 s[4:5], s[4:5], exec
	s_and_b64 s[8:9], s[8:9], exec
	s_or_b64 s[4:5], s[4:5], s[8:9]
	s_or_b64 exec, exec, s[6:7]
	s_and_saveexec_b64 s[6:7], s[4:5]
	s_cbranch_execnz .LBB22_827
	s_branch .LBB22_828
.LBB22_2877:
	s_movk_i32 s4, 0x80
	v_cmp_eq_u16_sdwa s[12:13], v11, s4 src0_sel:BYTE_3 src1_sel:DWORD
	s_mov_b64 s[4:5], -1
                                        ; implicit-def: $sgpr10
	s_and_saveexec_b64 s[8:9], s[12:13]
; %bb.2878:
	s_mov_b32 s10, 0x7f800001
	s_xor_b64 s[4:5], exec, -1
; %bb.2879:
	s_or_b64 exec, exec, s[8:9]
	s_and_b64 s[4:5], s[4:5], exec
	s_or_saveexec_b64 s[6:7], s[6:7]
	v_mov_b32_e32 v14, s10
	s_xor_b64 exec, exec, s[6:7]
	s_cbranch_execz .LBB22_830
.LBB22_2880:
	v_mov_b32_e32 v14, 0
	v_cmp_ne_u16_sdwa s[8:9], v11, v14 src0_sel:BYTE_3 src1_sel:DWORD
	s_andn2_b64 s[4:5], s[4:5], exec
	s_and_b64 s[8:9], s[8:9], exec
	s_or_b64 s[4:5], s[4:5], s[8:9]
	s_or_b64 exec, exec, s[6:7]
	s_and_saveexec_b64 s[6:7], s[4:5]
	s_cbranch_execnz .LBB22_831
	s_branch .LBB22_832
.LBB22_2881:
	s_movk_i32 s4, 0x80
	v_cmp_eq_u16_sdwa s[12:13], v16, s4 src0_sel:BYTE_0 src1_sel:DWORD
	s_mov_b64 s[4:5], -1
                                        ; implicit-def: $sgpr10
	s_and_saveexec_b64 s[8:9], s[12:13]
; %bb.2882:
	s_mov_b32 s10, 0x7f800001
	s_xor_b64 s[4:5], exec, -1
; %bb.2883:
	s_or_b64 exec, exec, s[8:9]
	s_and_b64 s[4:5], s[4:5], exec
	s_or_saveexec_b64 s[6:7], s[6:7]
	v_mov_b32_e32 v10, s10
	s_xor_b64 exec, exec, s[6:7]
	s_cbranch_execz .LBB22_834
.LBB22_2884:
	v_mov_b32_e32 v10, 0
	v_cmp_ne_u16_sdwa s[8:9], v16, v10 src0_sel:BYTE_0 src1_sel:DWORD
	s_andn2_b64 s[4:5], s[4:5], exec
	s_and_b64 s[8:9], s[8:9], exec
	s_or_b64 s[4:5], s[4:5], s[8:9]
	s_or_b64 exec, exec, s[6:7]
	s_and_saveexec_b64 s[6:7], s[4:5]
	s_cbranch_execnz .LBB22_835
	s_branch .LBB22_836
.LBB22_2885:
	s_movk_i32 s4, 0x80
	v_cmp_eq_u16_sdwa s[12:13], v12, s4 src0_sel:BYTE_0 src1_sel:DWORD
	s_mov_b64 s[4:5], -1
                                        ; implicit-def: $sgpr10
	s_and_saveexec_b64 s[8:9], s[12:13]
; %bb.2886:
	s_mov_b32 s10, 0x7f800001
	s_xor_b64 s[4:5], exec, -1
; %bb.2887:
	s_or_b64 exec, exec, s[8:9]
	s_and_b64 s[4:5], s[4:5], exec
	s_or_saveexec_b64 s[6:7], s[6:7]
	v_mov_b32_e32 v11, s10
	s_xor_b64 exec, exec, s[6:7]
	s_cbranch_execz .LBB22_838
.LBB22_2888:
	v_mov_b32_e32 v11, 0
	v_cmp_ne_u16_sdwa s[8:9], v12, v11 src0_sel:BYTE_0 src1_sel:DWORD
	s_andn2_b64 s[4:5], s[4:5], exec
	s_and_b64 s[8:9], s[8:9], exec
	s_or_b64 s[4:5], s[4:5], s[8:9]
	s_or_b64 exec, exec, s[6:7]
	s_and_saveexec_b64 s[6:7], s[4:5]
	s_cbranch_execnz .LBB22_839
	s_branch .LBB22_840
.LBB22_2889:
	s_movk_i32 s4, 0x80
	v_cmp_eq_u16_sdwa s[12:13], v11, s4 src0_sel:BYTE_0 src1_sel:DWORD
	s_mov_b64 s[4:5], -1
                                        ; implicit-def: $sgpr10
	s_and_saveexec_b64 s[8:9], s[12:13]
; %bb.2890:
	s_mov_b32 s10, 0x7f800001
	s_xor_b64 s[4:5], exec, -1
; %bb.2891:
	s_or_b64 exec, exec, s[8:9]
	s_and_b64 s[4:5], s[4:5], exec
	s_or_saveexec_b64 s[6:7], s[6:7]
	v_mov_b32_e32 v10, s10
	s_xor_b64 exec, exec, s[6:7]
	s_cbranch_execz .LBB22_842
.LBB22_2892:
	v_mov_b32_e32 v10, 0
	v_cmp_ne_u16_sdwa s[8:9], v11, v10 src0_sel:BYTE_0 src1_sel:DWORD
	s_andn2_b64 s[4:5], s[4:5], exec
	s_and_b64 s[8:9], s[8:9], exec
	s_or_b64 s[4:5], s[4:5], s[8:9]
	s_or_b64 exec, exec, s[6:7]
	s_and_saveexec_b64 s[6:7], s[4:5]
	s_cbranch_execnz .LBB22_843
	s_branch .LBB22_844
.LBB22_2893:
	s_movk_i32 s4, 0x80
	v_cmp_eq_u16_sdwa s[12:13], v11, s4 src0_sel:BYTE_0 src1_sel:DWORD
	s_mov_b64 s[4:5], -1
                                        ; implicit-def: $sgpr10
	s_and_saveexec_b64 s[8:9], s[12:13]
; %bb.2894:
	s_mov_b32 s10, 0x7f800001
	s_xor_b64 s[4:5], exec, -1
; %bb.2895:
	s_or_b64 exec, exec, s[8:9]
	s_and_b64 s[4:5], s[4:5], exec
	s_or_saveexec_b64 s[6:7], s[6:7]
	v_mov_b32_e32 v14, s10
	s_xor_b64 exec, exec, s[6:7]
	s_cbranch_execz .LBB22_846
.LBB22_2896:
	v_mov_b32_e32 v14, 0
	v_cmp_ne_u16_sdwa s[8:9], v11, v14 src0_sel:BYTE_0 src1_sel:DWORD
	s_andn2_b64 s[4:5], s[4:5], exec
	s_and_b64 s[8:9], s[8:9], exec
	s_or_b64 s[4:5], s[4:5], s[8:9]
	s_or_b64 exec, exec, s[6:7]
	s_and_saveexec_b64 s[6:7], s[4:5]
	s_cbranch_execnz .LBB22_847
	s_branch .LBB22_848
.LBB22_2897:
	s_movk_i32 s4, 0x80
	v_cmp_eq_u16_e32 vcc, s4, v11
	s_mov_b64 s[4:5], -1
                                        ; implicit-def: $sgpr10
	s_and_saveexec_b64 s[8:9], vcc
; %bb.2898:
	s_mov_b32 s10, 0x7f800001
	s_xor_b64 s[4:5], exec, -1
; %bb.2899:
	s_or_b64 exec, exec, s[8:9]
	s_and_b64 s[4:5], s[4:5], exec
                                        ; implicit-def: $vgpr11
	s_or_saveexec_b64 s[6:7], s[6:7]
	v_mov_b32_e32 v10, s10
	s_xor_b64 exec, exec, s[6:7]
	s_cbranch_execz .LBB22_850
.LBB22_2900:
	v_cmp_ne_u16_e32 vcc, 0, v11
	s_andn2_b64 s[4:5], s[4:5], exec
	s_and_b64 s[8:9], vcc, exec
	v_mov_b32_e32 v10, 0
	s_or_b64 s[4:5], s[4:5], s[8:9]
	s_or_b64 exec, exec, s[6:7]
	s_and_saveexec_b64 s[6:7], s[4:5]
	s_cbranch_execnz .LBB22_851
	s_branch .LBB22_852
.LBB22_2901:
	s_movk_i32 s4, 0x80
	v_cmp_eq_u16_e32 vcc, s4, v11
	s_mov_b64 s[4:5], -1
                                        ; implicit-def: $sgpr10
	s_and_saveexec_b64 s[8:9], vcc
; %bb.2902:
	s_mov_b32 s10, 0x7f800001
	s_xor_b64 s[4:5], exec, -1
; %bb.2903:
	s_or_b64 exec, exec, s[8:9]
	s_and_b64 s[4:5], s[4:5], exec
                                        ; implicit-def: $vgpr11
	s_or_saveexec_b64 s[6:7], s[6:7]
	v_mov_b32_e32 v14, s10
	s_xor_b64 exec, exec, s[6:7]
	s_cbranch_execz .LBB22_854
.LBB22_2904:
	v_cmp_ne_u16_e32 vcc, 0, v11
	s_andn2_b64 s[4:5], s[4:5], exec
	s_and_b64 s[8:9], vcc, exec
	v_mov_b32_e32 v14, 0
	s_or_b64 s[4:5], s[4:5], s[8:9]
	s_or_b64 exec, exec, s[6:7]
	s_and_saveexec_b64 s[6:7], s[4:5]
	s_cbranch_execnz .LBB22_855
	s_branch .LBB22_856
.LBB22_2905:
	s_movk_i32 s4, 0x80
	v_cmp_eq_u16_sdwa s[12:13], v16, s4 src0_sel:BYTE_3 src1_sel:DWORD
	s_mov_b64 s[4:5], -1
                                        ; implicit-def: $sgpr10
	s_and_saveexec_b64 s[8:9], s[12:13]
; %bb.2906:
	s_mov_b32 s10, 0x7f800001
	s_xor_b64 s[4:5], exec, -1
; %bb.2907:
	s_or_b64 exec, exec, s[8:9]
	s_and_b64 s[4:5], s[4:5], exec
	s_or_saveexec_b64 s[6:7], s[6:7]
	v_mov_b32_e32 v10, s10
	s_xor_b64 exec, exec, s[6:7]
	s_cbranch_execz .LBB22_858
.LBB22_2908:
	v_mov_b32_e32 v10, 0
	v_cmp_ne_u16_sdwa s[8:9], v16, v10 src0_sel:BYTE_3 src1_sel:DWORD
	s_andn2_b64 s[4:5], s[4:5], exec
	s_and_b64 s[8:9], s[8:9], exec
	s_or_b64 s[4:5], s[4:5], s[8:9]
	s_or_b64 exec, exec, s[6:7]
	s_and_saveexec_b64 s[6:7], s[4:5]
	s_cbranch_execnz .LBB22_859
	s_branch .LBB22_860
.LBB22_2909:
	s_movk_i32 s4, 0x80
	v_cmp_eq_u16_sdwa s[12:13], v12, s4 src0_sel:BYTE_3 src1_sel:DWORD
	s_mov_b64 s[4:5], -1
                                        ; implicit-def: $sgpr10
	s_and_saveexec_b64 s[8:9], s[12:13]
; %bb.2910:
	s_mov_b32 s10, 0x7f800001
	s_xor_b64 s[4:5], exec, -1
; %bb.2911:
	s_or_b64 exec, exec, s[8:9]
	s_and_b64 s[4:5], s[4:5], exec
	s_or_saveexec_b64 s[6:7], s[6:7]
	v_mov_b32_e32 v11, s10
	s_xor_b64 exec, exec, s[6:7]
	s_cbranch_execz .LBB22_862
.LBB22_2912:
	v_mov_b32_e32 v11, 0
	v_cmp_ne_u16_sdwa s[8:9], v12, v11 src0_sel:BYTE_3 src1_sel:DWORD
	s_andn2_b64 s[4:5], s[4:5], exec
	s_and_b64 s[8:9], s[8:9], exec
	s_or_b64 s[4:5], s[4:5], s[8:9]
	s_or_b64 exec, exec, s[6:7]
	s_and_saveexec_b64 s[6:7], s[4:5]
	s_cbranch_execnz .LBB22_863
	s_branch .LBB22_864
.LBB22_2913:
	s_movk_i32 s4, 0x80
	v_cmp_eq_u16_sdwa s[12:13], v17, s4 src0_sel:BYTE_0 src1_sel:DWORD
	s_mov_b64 s[4:5], -1
                                        ; implicit-def: $sgpr10
	s_and_saveexec_b64 s[8:9], s[12:13]
; %bb.2914:
	s_mov_b32 s10, 0x7f800001
	s_xor_b64 s[4:5], exec, -1
; %bb.2915:
	s_or_b64 exec, exec, s[8:9]
	s_and_b64 s[4:5], s[4:5], exec
	s_or_saveexec_b64 s[6:7], s[6:7]
	v_mov_b32_e32 v10, s10
	s_xor_b64 exec, exec, s[6:7]
	s_cbranch_execz .LBB22_866
.LBB22_2916:
	v_mov_b32_e32 v10, 0
	v_cmp_ne_u16_sdwa s[8:9], v17, v10 src0_sel:BYTE_0 src1_sel:DWORD
	s_andn2_b64 s[4:5], s[4:5], exec
	s_and_b64 s[8:9], s[8:9], exec
	s_or_b64 s[4:5], s[4:5], s[8:9]
	s_or_b64 exec, exec, s[6:7]
	s_and_saveexec_b64 s[6:7], s[4:5]
	s_cbranch_execnz .LBB22_867
	s_branch .LBB22_868
.LBB22_2917:
	s_movk_i32 s4, 0x80
	v_cmp_eq_u16_sdwa s[12:13], v13, s4 src0_sel:BYTE_0 src1_sel:DWORD
	s_mov_b64 s[4:5], -1
                                        ; implicit-def: $sgpr10
	s_and_saveexec_b64 s[8:9], s[12:13]
; %bb.2918:
	s_mov_b32 s10, 0x7f800001
	s_xor_b64 s[4:5], exec, -1
; %bb.2919:
	s_or_b64 exec, exec, s[8:9]
	s_and_b64 s[4:5], s[4:5], exec
	s_or_saveexec_b64 s[6:7], s[6:7]
	v_mov_b32_e32 v11, s10
	s_xor_b64 exec, exec, s[6:7]
	s_cbranch_execz .LBB22_870
.LBB22_2920:
	v_mov_b32_e32 v11, 0
	v_cmp_ne_u16_sdwa s[8:9], v13, v11 src0_sel:BYTE_0 src1_sel:DWORD
	s_andn2_b64 s[4:5], s[4:5], exec
	s_and_b64 s[8:9], s[8:9], exec
	s_or_b64 s[4:5], s[4:5], s[8:9]
	s_or_b64 exec, exec, s[6:7]
	s_and_saveexec_b64 s[6:7], s[4:5]
	s_cbranch_execnz .LBB22_871
	s_branch .LBB22_872
.LBB22_2921:
	s_movk_i32 s4, 0x80
	v_cmp_eq_u16_sdwa s[12:13], v11, s4 src0_sel:BYTE_0 src1_sel:DWORD
	s_mov_b64 s[4:5], -1
                                        ; implicit-def: $sgpr10
	s_and_saveexec_b64 s[8:9], s[12:13]
; %bb.2922:
	s_mov_b32 s10, 0x7f800001
	s_xor_b64 s[4:5], exec, -1
; %bb.2923:
	s_or_b64 exec, exec, s[8:9]
	s_and_b64 s[4:5], s[4:5], exec
	s_or_saveexec_b64 s[6:7], s[6:7]
	v_mov_b32_e32 v10, s10
	s_xor_b64 exec, exec, s[6:7]
	s_cbranch_execz .LBB22_874
.LBB22_2924:
	v_mov_b32_e32 v10, 0
	v_cmp_ne_u16_sdwa s[8:9], v11, v10 src0_sel:BYTE_0 src1_sel:DWORD
	s_andn2_b64 s[4:5], s[4:5], exec
	s_and_b64 s[8:9], s[8:9], exec
	s_or_b64 s[4:5], s[4:5], s[8:9]
	s_or_b64 exec, exec, s[6:7]
	s_and_saveexec_b64 s[6:7], s[4:5]
	s_cbranch_execnz .LBB22_875
	s_branch .LBB22_876
.LBB22_2925:
	s_movk_i32 s4, 0x80
	v_cmp_eq_u16_sdwa s[12:13], v11, s4 src0_sel:BYTE_0 src1_sel:DWORD
	s_mov_b64 s[4:5], -1
                                        ; implicit-def: $sgpr10
	s_and_saveexec_b64 s[8:9], s[12:13]
; %bb.2926:
	s_mov_b32 s10, 0x7f800001
	s_xor_b64 s[4:5], exec, -1
; %bb.2927:
	s_or_b64 exec, exec, s[8:9]
	s_and_b64 s[4:5], s[4:5], exec
	s_or_saveexec_b64 s[6:7], s[6:7]
	v_mov_b32_e32 v12, s10
	s_xor_b64 exec, exec, s[6:7]
	s_cbranch_execz .LBB22_878
.LBB22_2928:
	v_mov_b32_e32 v12, 0
	v_cmp_ne_u16_sdwa s[8:9], v11, v12 src0_sel:BYTE_0 src1_sel:DWORD
	s_andn2_b64 s[4:5], s[4:5], exec
	s_and_b64 s[8:9], s[8:9], exec
	s_or_b64 s[4:5], s[4:5], s[8:9]
	s_or_b64 exec, exec, s[6:7]
	s_and_saveexec_b64 s[6:7], s[4:5]
	s_cbranch_execnz .LBB22_879
	s_branch .LBB22_880
.LBB22_2929:
	s_movk_i32 s4, 0x80
	v_cmp_eq_u16_e32 vcc, s4, v11
	s_mov_b64 s[4:5], -1
                                        ; implicit-def: $sgpr10
	s_and_saveexec_b64 s[8:9], vcc
; %bb.2930:
	s_mov_b32 s10, 0x7f800001
	s_xor_b64 s[4:5], exec, -1
; %bb.2931:
	s_or_b64 exec, exec, s[8:9]
	s_and_b64 s[4:5], s[4:5], exec
                                        ; implicit-def: $vgpr11
	s_or_saveexec_b64 s[6:7], s[6:7]
	v_mov_b32_e32 v10, s10
	s_xor_b64 exec, exec, s[6:7]
	s_cbranch_execz .LBB22_882
.LBB22_2932:
	v_cmp_ne_u16_e32 vcc, 0, v11
	s_andn2_b64 s[4:5], s[4:5], exec
	s_and_b64 s[8:9], vcc, exec
	v_mov_b32_e32 v10, 0
	s_or_b64 s[4:5], s[4:5], s[8:9]
	s_or_b64 exec, exec, s[6:7]
	s_and_saveexec_b64 s[6:7], s[4:5]
	s_cbranch_execnz .LBB22_883
	s_branch .LBB22_884
.LBB22_2933:
	s_movk_i32 s4, 0x80
	v_cmp_eq_u16_e32 vcc, s4, v11
	s_mov_b64 s[4:5], -1
                                        ; implicit-def: $sgpr10
	s_and_saveexec_b64 s[8:9], vcc
; %bb.2934:
	s_mov_b32 s10, 0x7f800001
	s_xor_b64 s[4:5], exec, -1
; %bb.2935:
	s_or_b64 exec, exec, s[8:9]
	s_and_b64 s[4:5], s[4:5], exec
                                        ; implicit-def: $vgpr11
	s_or_saveexec_b64 s[6:7], s[6:7]
	v_mov_b32_e32 v12, s10
	s_xor_b64 exec, exec, s[6:7]
	s_cbranch_execz .LBB22_886
.LBB22_2936:
	v_cmp_ne_u16_e32 vcc, 0, v11
	s_andn2_b64 s[4:5], s[4:5], exec
	s_and_b64 s[8:9], vcc, exec
	v_mov_b32_e32 v12, 0
	s_or_b64 s[4:5], s[4:5], s[8:9]
	s_or_b64 exec, exec, s[6:7]
	s_and_saveexec_b64 s[6:7], s[4:5]
	s_cbranch_execnz .LBB22_887
	s_branch .LBB22_888
.LBB22_2937:
	s_movk_i32 s4, 0x80
	v_cmp_eq_u16_sdwa s[12:13], v17, s4 src0_sel:BYTE_3 src1_sel:DWORD
	s_mov_b64 s[4:5], -1
                                        ; implicit-def: $sgpr10
	s_and_saveexec_b64 s[8:9], s[12:13]
; %bb.2938:
	s_mov_b32 s10, 0x7f800001
	s_xor_b64 s[4:5], exec, -1
; %bb.2939:
	s_or_b64 exec, exec, s[8:9]
	s_and_b64 s[4:5], s[4:5], exec
	s_or_saveexec_b64 s[6:7], s[6:7]
	v_mov_b32_e32 v10, s10
	s_xor_b64 exec, exec, s[6:7]
	s_cbranch_execz .LBB22_890
.LBB22_2940:
	v_mov_b32_e32 v10, 0
	v_cmp_ne_u16_sdwa s[8:9], v17, v10 src0_sel:BYTE_3 src1_sel:DWORD
	s_andn2_b64 s[4:5], s[4:5], exec
	s_and_b64 s[8:9], s[8:9], exec
	s_or_b64 s[4:5], s[4:5], s[8:9]
	s_or_b64 exec, exec, s[6:7]
	s_and_saveexec_b64 s[6:7], s[4:5]
	s_cbranch_execnz .LBB22_891
	s_branch .LBB22_892
.LBB22_2941:
	s_movk_i32 s4, 0x80
	v_cmp_eq_u16_sdwa s[12:13], v13, s4 src0_sel:BYTE_3 src1_sel:DWORD
	s_mov_b64 s[4:5], -1
                                        ; implicit-def: $sgpr10
	s_and_saveexec_b64 s[8:9], s[12:13]
; %bb.2942:
	s_mov_b32 s10, 0x7f800001
	s_xor_b64 s[4:5], exec, -1
; %bb.2943:
	s_or_b64 exec, exec, s[8:9]
	s_and_b64 s[4:5], s[4:5], exec
	s_or_saveexec_b64 s[6:7], s[6:7]
	v_mov_b32_e32 v11, s10
	s_xor_b64 exec, exec, s[6:7]
	s_cbranch_execz .LBB22_894
.LBB22_2944:
	v_mov_b32_e32 v11, 0
	v_cmp_ne_u16_sdwa s[8:9], v13, v11 src0_sel:BYTE_3 src1_sel:DWORD
	s_andn2_b64 s[4:5], s[4:5], exec
	s_and_b64 s[8:9], s[8:9], exec
	s_or_b64 s[4:5], s[4:5], s[8:9]
	s_or_b64 exec, exec, s[6:7]
	s_and_saveexec_b64 s[6:7], s[4:5]
	s_cbranch_execnz .LBB22_895
	s_branch .LBB22_896
.LBB22_2945:
	s_movk_i32 s4, 0x80
	v_cmp_eq_u16_sdwa s[12:13], v6, s4 src0_sel:BYTE_0 src1_sel:DWORD
	s_mov_b64 s[4:5], -1
                                        ; implicit-def: $sgpr10
	s_and_saveexec_b64 s[8:9], s[12:13]
; %bb.2946:
	s_mov_b32 s10, 0x7f800001
	s_xor_b64 s[4:5], exec, -1
; %bb.2947:
	s_or_b64 exec, exec, s[8:9]
	s_and_b64 s[4:5], s[4:5], exec
	s_or_saveexec_b64 s[6:7], s[6:7]
	v_mov_b32_e32 v10, s10
	s_xor_b64 exec, exec, s[6:7]
	s_cbranch_execz .LBB22_898
.LBB22_2948:
	v_mov_b32_e32 v10, 0
	v_cmp_ne_u16_sdwa s[8:9], v6, v10 src0_sel:BYTE_0 src1_sel:DWORD
	s_andn2_b64 s[4:5], s[4:5], exec
	s_and_b64 s[8:9], s[8:9], exec
	s_or_b64 s[4:5], s[4:5], s[8:9]
	s_or_b64 exec, exec, s[6:7]
	s_and_saveexec_b64 s[6:7], s[4:5]
	s_cbranch_execnz .LBB22_899
	s_branch .LBB22_900
.LBB22_2949:
	s_movk_i32 s4, 0x80
	v_cmp_eq_u16_sdwa s[12:13], v2, s4 src0_sel:BYTE_0 src1_sel:DWORD
	s_mov_b64 s[4:5], -1
                                        ; implicit-def: $sgpr10
	s_and_saveexec_b64 s[8:9], s[12:13]
; %bb.2950:
	s_mov_b32 s10, 0x7f800001
	s_xor_b64 s[4:5], exec, -1
; %bb.2951:
	s_or_b64 exec, exec, s[8:9]
	s_and_b64 s[4:5], s[4:5], exec
	s_or_saveexec_b64 s[6:7], s[6:7]
	v_mov_b32_e32 v11, s10
	s_xor_b64 exec, exec, s[6:7]
	s_cbranch_execz .LBB22_902
.LBB22_2952:
	v_mov_b32_e32 v11, 0
	v_cmp_ne_u16_sdwa s[8:9], v2, v11 src0_sel:BYTE_0 src1_sel:DWORD
	s_andn2_b64 s[4:5], s[4:5], exec
	s_and_b64 s[8:9], s[8:9], exec
	s_or_b64 s[4:5], s[4:5], s[8:9]
	s_or_b64 exec, exec, s[6:7]
	s_and_saveexec_b64 s[6:7], s[4:5]
	s_cbranch_execnz .LBB22_903
	s_branch .LBB22_904
.LBB22_2953:
	s_movk_i32 s4, 0x80
	v_cmp_eq_u16_sdwa s[12:13], v11, s4 src0_sel:BYTE_0 src1_sel:DWORD
	s_mov_b64 s[4:5], -1
                                        ; implicit-def: $sgpr10
	s_and_saveexec_b64 s[8:9], s[12:13]
; %bb.2954:
	s_mov_b32 s10, 0x7f800001
	s_xor_b64 s[4:5], exec, -1
; %bb.2955:
	s_or_b64 exec, exec, s[8:9]
	s_and_b64 s[4:5], s[4:5], exec
	s_or_saveexec_b64 s[6:7], s[6:7]
	v_mov_b32_e32 v10, s10
	s_xor_b64 exec, exec, s[6:7]
	s_cbranch_execz .LBB22_906
.LBB22_2956:
	v_mov_b32_e32 v10, 0
	v_cmp_ne_u16_sdwa s[8:9], v11, v10 src0_sel:BYTE_0 src1_sel:DWORD
	s_andn2_b64 s[4:5], s[4:5], exec
	s_and_b64 s[8:9], s[8:9], exec
	s_or_b64 s[4:5], s[4:5], s[8:9]
	s_or_b64 exec, exec, s[6:7]
	s_and_saveexec_b64 s[6:7], s[4:5]
	s_cbranch_execnz .LBB22_907
	s_branch .LBB22_908
.LBB22_2957:
	s_movk_i32 s4, 0x80
	v_cmp_eq_u16_sdwa s[12:13], v11, s4 src0_sel:BYTE_0 src1_sel:DWORD
	s_mov_b64 s[4:5], -1
                                        ; implicit-def: $sgpr10
	s_and_saveexec_b64 s[8:9], s[12:13]
; %bb.2958:
	s_mov_b32 s10, 0x7f800001
	s_xor_b64 s[4:5], exec, -1
; %bb.2959:
	s_or_b64 exec, exec, s[8:9]
	s_and_b64 s[4:5], s[4:5], exec
	s_or_saveexec_b64 s[6:7], s[6:7]
	v_mov_b32_e32 v12, s10
	s_xor_b64 exec, exec, s[6:7]
	s_cbranch_execz .LBB22_910
.LBB22_2960:
	v_mov_b32_e32 v12, 0
	v_cmp_ne_u16_sdwa s[8:9], v11, v12 src0_sel:BYTE_0 src1_sel:DWORD
	s_andn2_b64 s[4:5], s[4:5], exec
	s_and_b64 s[8:9], s[8:9], exec
	s_or_b64 s[4:5], s[4:5], s[8:9]
	s_or_b64 exec, exec, s[6:7]
	s_and_saveexec_b64 s[6:7], s[4:5]
	s_cbranch_execnz .LBB22_911
	s_branch .LBB22_912
.LBB22_2961:
	s_movk_i32 s4, 0x80
	v_cmp_eq_u16_e32 vcc, s4, v11
	s_mov_b64 s[4:5], -1
                                        ; implicit-def: $sgpr10
	s_and_saveexec_b64 s[8:9], vcc
; %bb.2962:
	s_mov_b32 s10, 0x7f800001
	s_xor_b64 s[4:5], exec, -1
; %bb.2963:
	s_or_b64 exec, exec, s[8:9]
	s_and_b64 s[4:5], s[4:5], exec
                                        ; implicit-def: $vgpr11
	s_or_saveexec_b64 s[6:7], s[6:7]
	v_mov_b32_e32 v10, s10
	s_xor_b64 exec, exec, s[6:7]
	s_cbranch_execz .LBB22_914
.LBB22_2964:
	v_cmp_ne_u16_e32 vcc, 0, v11
	s_andn2_b64 s[4:5], s[4:5], exec
	s_and_b64 s[8:9], vcc, exec
	v_mov_b32_e32 v10, 0
	s_or_b64 s[4:5], s[4:5], s[8:9]
	s_or_b64 exec, exec, s[6:7]
	s_and_saveexec_b64 s[6:7], s[4:5]
	s_cbranch_execnz .LBB22_915
	s_branch .LBB22_916
.LBB22_2965:
	s_movk_i32 s4, 0x80
	v_cmp_eq_u16_e32 vcc, s4, v11
	s_mov_b64 s[4:5], -1
                                        ; implicit-def: $sgpr10
	s_and_saveexec_b64 s[8:9], vcc
; %bb.2966:
	s_mov_b32 s10, 0x7f800001
	s_xor_b64 s[4:5], exec, -1
; %bb.2967:
	s_or_b64 exec, exec, s[8:9]
	s_and_b64 s[4:5], s[4:5], exec
                                        ; implicit-def: $vgpr11
	s_or_saveexec_b64 s[6:7], s[6:7]
	v_mov_b32_e32 v12, s10
	s_xor_b64 exec, exec, s[6:7]
	s_cbranch_execz .LBB22_918
.LBB22_2968:
	v_cmp_ne_u16_e32 vcc, 0, v11
	s_andn2_b64 s[4:5], s[4:5], exec
	s_and_b64 s[8:9], vcc, exec
	v_mov_b32_e32 v12, 0
	s_or_b64 s[4:5], s[4:5], s[8:9]
	s_or_b64 exec, exec, s[6:7]
	s_and_saveexec_b64 s[6:7], s[4:5]
	s_cbranch_execnz .LBB22_919
	s_branch .LBB22_920
.LBB22_2969:
	s_movk_i32 s4, 0x80
	v_cmp_eq_u16_sdwa s[12:13], v6, s4 src0_sel:BYTE_3 src1_sel:DWORD
	s_mov_b64 s[4:5], -1
                                        ; implicit-def: $sgpr10
	s_and_saveexec_b64 s[8:9], s[12:13]
; %bb.2970:
	s_mov_b32 s10, 0x7f800001
	s_xor_b64 s[4:5], exec, -1
; %bb.2971:
	s_or_b64 exec, exec, s[8:9]
	s_and_b64 s[4:5], s[4:5], exec
	s_or_saveexec_b64 s[6:7], s[6:7]
	v_mov_b32_e32 v10, s10
	s_xor_b64 exec, exec, s[6:7]
	s_cbranch_execz .LBB22_922
.LBB22_2972:
	v_mov_b32_e32 v10, 0
	v_cmp_ne_u16_sdwa s[8:9], v6, v10 src0_sel:BYTE_3 src1_sel:DWORD
	s_andn2_b64 s[4:5], s[4:5], exec
	s_and_b64 s[8:9], s[8:9], exec
	s_or_b64 s[4:5], s[4:5], s[8:9]
	s_or_b64 exec, exec, s[6:7]
	s_and_saveexec_b64 s[6:7], s[4:5]
	s_cbranch_execnz .LBB22_923
	s_branch .LBB22_924
.LBB22_2973:
	s_movk_i32 s4, 0x80
	v_cmp_eq_u16_sdwa s[12:13], v2, s4 src0_sel:BYTE_3 src1_sel:DWORD
	s_mov_b64 s[4:5], -1
                                        ; implicit-def: $sgpr10
	s_and_saveexec_b64 s[8:9], s[12:13]
; %bb.2974:
	s_mov_b32 s10, 0x7f800001
	s_xor_b64 s[4:5], exec, -1
; %bb.2975:
	s_or_b64 exec, exec, s[8:9]
	s_and_b64 s[4:5], s[4:5], exec
	s_or_saveexec_b64 s[6:7], s[6:7]
	v_mov_b32_e32 v6, s10
	s_xor_b64 exec, exec, s[6:7]
	s_cbranch_execz .LBB22_926
.LBB22_2976:
	v_mov_b32_e32 v6, 0
	v_cmp_ne_u16_sdwa s[8:9], v2, v6 src0_sel:BYTE_3 src1_sel:DWORD
	s_andn2_b64 s[4:5], s[4:5], exec
	s_and_b64 s[8:9], s[8:9], exec
	s_or_b64 s[4:5], s[4:5], s[8:9]
	s_or_b64 exec, exec, s[6:7]
	s_and_saveexec_b64 s[6:7], s[4:5]
	s_cbranch_execnz .LBB22_927
	s_branch .LBB22_928
.LBB22_2977:
	s_movk_i32 s4, 0x80
	v_cmp_eq_u16_sdwa s[12:13], v7, s4 src0_sel:BYTE_0 src1_sel:DWORD
	s_mov_b64 s[4:5], -1
                                        ; implicit-def: $sgpr10
	s_and_saveexec_b64 s[8:9], s[12:13]
; %bb.2978:
	s_mov_b32 s10, 0x7f800001
	s_xor_b64 s[4:5], exec, -1
; %bb.2979:
	s_or_b64 exec, exec, s[8:9]
	s_and_b64 s[4:5], s[4:5], exec
	s_or_saveexec_b64 s[6:7], s[6:7]
	v_mov_b32_e32 v2, s10
	s_xor_b64 exec, exec, s[6:7]
	s_cbranch_execz .LBB22_930
.LBB22_2980:
	v_mov_b32_e32 v2, 0
	v_cmp_ne_u16_sdwa s[8:9], v7, v2 src0_sel:BYTE_0 src1_sel:DWORD
	s_andn2_b64 s[4:5], s[4:5], exec
	s_and_b64 s[8:9], s[8:9], exec
	s_or_b64 s[4:5], s[4:5], s[8:9]
	s_or_b64 exec, exec, s[6:7]
	s_and_saveexec_b64 s[6:7], s[4:5]
	s_cbranch_execnz .LBB22_931
	s_branch .LBB22_932
.LBB22_2981:
	s_movk_i32 s4, 0x80
	v_cmp_eq_u16_sdwa s[12:13], v3, s4 src0_sel:BYTE_0 src1_sel:DWORD
	s_mov_b64 s[4:5], -1
                                        ; implicit-def: $sgpr10
	s_and_saveexec_b64 s[8:9], s[12:13]
; %bb.2982:
	s_mov_b32 s10, 0x7f800001
	s_xor_b64 s[4:5], exec, -1
; %bb.2983:
	s_or_b64 exec, exec, s[8:9]
	s_and_b64 s[4:5], s[4:5], exec
	s_or_saveexec_b64 s[6:7], s[6:7]
	v_mov_b32_e32 v6, s10
	s_xor_b64 exec, exec, s[6:7]
	s_cbranch_execz .LBB22_934
.LBB22_2984:
	v_mov_b32_e32 v6, 0
	v_cmp_ne_u16_sdwa s[8:9], v3, v6 src0_sel:BYTE_0 src1_sel:DWORD
	s_andn2_b64 s[4:5], s[4:5], exec
	s_and_b64 s[8:9], s[8:9], exec
	s_or_b64 s[4:5], s[4:5], s[8:9]
	s_or_b64 exec, exec, s[6:7]
	s_and_saveexec_b64 s[6:7], s[4:5]
	s_cbranch_execnz .LBB22_935
	s_branch .LBB22_936
.LBB22_2985:
	s_movk_i32 s4, 0x80
	v_cmp_eq_u16_sdwa s[12:13], v6, s4 src0_sel:BYTE_0 src1_sel:DWORD
	s_mov_b64 s[4:5], -1
                                        ; implicit-def: $sgpr10
	s_and_saveexec_b64 s[8:9], s[12:13]
; %bb.2986:
	s_mov_b32 s10, 0x7f800001
	s_xor_b64 s[4:5], exec, -1
; %bb.2987:
	s_or_b64 exec, exec, s[8:9]
	s_and_b64 s[4:5], s[4:5], exec
	s_or_saveexec_b64 s[6:7], s[6:7]
	v_mov_b32_e32 v2, s10
	s_xor_b64 exec, exec, s[6:7]
	s_cbranch_execz .LBB22_938
.LBB22_2988:
	v_mov_b32_e32 v2, 0
	v_cmp_ne_u16_sdwa s[8:9], v6, v2 src0_sel:BYTE_0 src1_sel:DWORD
	s_andn2_b64 s[4:5], s[4:5], exec
	s_and_b64 s[8:9], s[8:9], exec
	s_or_b64 s[4:5], s[4:5], s[8:9]
	s_or_b64 exec, exec, s[6:7]
	s_and_saveexec_b64 s[6:7], s[4:5]
	s_cbranch_execnz .LBB22_939
	s_branch .LBB22_940
.LBB22_2989:
	s_movk_i32 s4, 0x80
	v_cmp_eq_u16_sdwa s[12:13], v6, s4 src0_sel:BYTE_0 src1_sel:DWORD
	s_mov_b64 s[4:5], -1
                                        ; implicit-def: $sgpr10
	s_and_saveexec_b64 s[8:9], s[12:13]
; %bb.2990:
	s_mov_b32 s10, 0x7f800001
	s_xor_b64 s[4:5], exec, -1
; %bb.2991:
	s_or_b64 exec, exec, s[8:9]
	s_and_b64 s[4:5], s[4:5], exec
	s_or_saveexec_b64 s[6:7], s[6:7]
	v_mov_b32_e32 v10, s10
	s_xor_b64 exec, exec, s[6:7]
	s_cbranch_execz .LBB22_942
.LBB22_2992:
	v_mov_b32_e32 v10, 0
	v_cmp_ne_u16_sdwa s[8:9], v6, v10 src0_sel:BYTE_0 src1_sel:DWORD
	s_andn2_b64 s[4:5], s[4:5], exec
	s_and_b64 s[8:9], s[8:9], exec
	s_or_b64 s[4:5], s[4:5], s[8:9]
	s_or_b64 exec, exec, s[6:7]
	s_and_saveexec_b64 s[6:7], s[4:5]
	s_cbranch_execnz .LBB22_943
	s_branch .LBB22_944
.LBB22_2993:
	s_movk_i32 s4, 0x80
	v_cmp_eq_u16_e32 vcc, s4, v6
	s_mov_b64 s[4:5], -1
                                        ; implicit-def: $sgpr10
	s_and_saveexec_b64 s[8:9], vcc
; %bb.2994:
	s_mov_b32 s10, 0x7f800001
	s_xor_b64 s[4:5], exec, -1
; %bb.2995:
	s_or_b64 exec, exec, s[8:9]
	s_and_b64 s[4:5], s[4:5], exec
                                        ; implicit-def: $vgpr6
	s_or_saveexec_b64 s[6:7], s[6:7]
	v_mov_b32_e32 v2, s10
	s_xor_b64 exec, exec, s[6:7]
	s_cbranch_execz .LBB22_946
.LBB22_2996:
	v_cmp_ne_u16_e32 vcc, 0, v6
	s_andn2_b64 s[4:5], s[4:5], exec
	s_and_b64 s[8:9], vcc, exec
	v_mov_b32_e32 v2, 0
	s_or_b64 s[4:5], s[4:5], s[8:9]
	s_or_b64 exec, exec, s[6:7]
	s_and_saveexec_b64 s[6:7], s[4:5]
	s_cbranch_execnz .LBB22_947
	s_branch .LBB22_948
.LBB22_2997:
	s_movk_i32 s4, 0x80
	v_cmp_eq_u16_e32 vcc, s4, v6
	s_mov_b64 s[4:5], -1
                                        ; implicit-def: $sgpr10
	s_and_saveexec_b64 s[8:9], vcc
; %bb.2998:
	s_mov_b32 s10, 0x7f800001
	s_xor_b64 s[4:5], exec, -1
; %bb.2999:
	s_or_b64 exec, exec, s[8:9]
	s_and_b64 s[4:5], s[4:5], exec
                                        ; implicit-def: $vgpr6
	s_or_saveexec_b64 s[6:7], s[6:7]
	v_mov_b32_e32 v10, s10
	s_xor_b64 exec, exec, s[6:7]
	s_cbranch_execz .LBB22_950
.LBB22_3000:
	v_cmp_ne_u16_e32 vcc, 0, v6
	s_andn2_b64 s[4:5], s[4:5], exec
	s_and_b64 s[8:9], vcc, exec
	v_mov_b32_e32 v10, 0
	s_or_b64 s[4:5], s[4:5], s[8:9]
	s_or_b64 exec, exec, s[6:7]
	s_and_saveexec_b64 s[6:7], s[4:5]
	s_cbranch_execnz .LBB22_951
	s_branch .LBB22_952
.LBB22_3001:
	s_movk_i32 s4, 0x80
	v_cmp_eq_u16_sdwa s[12:13], v7, s4 src0_sel:BYTE_3 src1_sel:DWORD
	s_mov_b64 s[4:5], -1
                                        ; implicit-def: $sgpr10
	s_and_saveexec_b64 s[8:9], s[12:13]
; %bb.3002:
	s_mov_b32 s10, 0x7f800001
	s_xor_b64 s[4:5], exec, -1
; %bb.3003:
	s_or_b64 exec, exec, s[8:9]
	s_and_b64 s[4:5], s[4:5], exec
	s_or_saveexec_b64 s[6:7], s[6:7]
	v_mov_b32_e32 v2, s10
	s_xor_b64 exec, exec, s[6:7]
	s_cbranch_execz .LBB22_954
.LBB22_3004:
	v_mov_b32_e32 v2, 0
	v_cmp_ne_u16_sdwa s[8:9], v7, v2 src0_sel:BYTE_3 src1_sel:DWORD
	s_andn2_b64 s[4:5], s[4:5], exec
	s_and_b64 s[8:9], s[8:9], exec
	s_or_b64 s[4:5], s[4:5], s[8:9]
	s_or_b64 exec, exec, s[6:7]
	s_and_saveexec_b64 s[6:7], s[4:5]
	s_cbranch_execnz .LBB22_955
	s_branch .LBB22_956
.LBB22_3005:
	s_movk_i32 s4, 0x80
	v_cmp_eq_u16_sdwa s[12:13], v3, s4 src0_sel:BYTE_3 src1_sel:DWORD
	s_mov_b64 s[4:5], -1
                                        ; implicit-def: $sgpr10
	s_and_saveexec_b64 s[8:9], s[12:13]
; %bb.3006:
	s_mov_b32 s10, 0x7f800001
	s_xor_b64 s[4:5], exec, -1
; %bb.3007:
	s_or_b64 exec, exec, s[8:9]
	s_and_b64 s[4:5], s[4:5], exec
	s_or_saveexec_b64 s[6:7], s[6:7]
	v_mov_b32_e32 v6, s10
	s_xor_b64 exec, exec, s[6:7]
	s_cbranch_execz .LBB22_958
.LBB22_3008:
	v_mov_b32_e32 v6, 0
	v_cmp_ne_u16_sdwa s[8:9], v3, v6 src0_sel:BYTE_3 src1_sel:DWORD
	s_andn2_b64 s[4:5], s[4:5], exec
	s_and_b64 s[8:9], s[8:9], exec
	s_or_b64 s[4:5], s[4:5], s[8:9]
	s_or_b64 exec, exec, s[6:7]
	s_and_saveexec_b64 s[6:7], s[4:5]
	s_cbranch_execnz .LBB22_959
	s_branch .LBB22_960
.LBB22_3009:
	s_movk_i32 s4, 0x80
	v_cmp_eq_u16_sdwa s[12:13], v8, s4 src0_sel:BYTE_0 src1_sel:DWORD
	s_mov_b64 s[4:5], -1
                                        ; implicit-def: $sgpr10
	s_and_saveexec_b64 s[8:9], s[12:13]
; %bb.3010:
	s_mov_b32 s10, 0x7f800001
	s_xor_b64 s[4:5], exec, -1
; %bb.3011:
	s_or_b64 exec, exec, s[8:9]
	s_and_b64 s[4:5], s[4:5], exec
	s_or_saveexec_b64 s[6:7], s[6:7]
	v_mov_b32_e32 v2, s10
	s_xor_b64 exec, exec, s[6:7]
	s_cbranch_execz .LBB22_962
.LBB22_3012:
	v_mov_b32_e32 v2, 0
	v_cmp_ne_u16_sdwa s[8:9], v8, v2 src0_sel:BYTE_0 src1_sel:DWORD
	s_andn2_b64 s[4:5], s[4:5], exec
	s_and_b64 s[8:9], s[8:9], exec
	s_or_b64 s[4:5], s[4:5], s[8:9]
	s_or_b64 exec, exec, s[6:7]
	s_and_saveexec_b64 s[6:7], s[4:5]
	s_cbranch_execnz .LBB22_963
	s_branch .LBB22_964
.LBB22_3013:
	s_movk_i32 s4, 0x80
	v_cmp_eq_u16_sdwa s[12:13], v4, s4 src0_sel:BYTE_0 src1_sel:DWORD
	s_mov_b64 s[4:5], -1
                                        ; implicit-def: $sgpr10
	s_and_saveexec_b64 s[8:9], s[12:13]
; %bb.3014:
	s_mov_b32 s10, 0x7f800001
	s_xor_b64 s[4:5], exec, -1
; %bb.3015:
	s_or_b64 exec, exec, s[8:9]
	s_and_b64 s[4:5], s[4:5], exec
	s_or_saveexec_b64 s[6:7], s[6:7]
	v_mov_b32_e32 v3, s10
	s_xor_b64 exec, exec, s[6:7]
	s_cbranch_execz .LBB22_966
.LBB22_3016:
	v_mov_b32_e32 v3, 0
	v_cmp_ne_u16_sdwa s[8:9], v4, v3 src0_sel:BYTE_0 src1_sel:DWORD
	s_andn2_b64 s[4:5], s[4:5], exec
	s_and_b64 s[8:9], s[8:9], exec
	s_or_b64 s[4:5], s[4:5], s[8:9]
	s_or_b64 exec, exec, s[6:7]
	s_and_saveexec_b64 s[6:7], s[4:5]
	s_cbranch_execnz .LBB22_967
	s_branch .LBB22_968
.LBB22_3017:
	s_movk_i32 s4, 0x80
	v_cmp_eq_u16_sdwa s[12:13], v3, s4 src0_sel:BYTE_0 src1_sel:DWORD
	s_mov_b64 s[4:5], -1
                                        ; implicit-def: $sgpr10
	s_and_saveexec_b64 s[8:9], s[12:13]
; %bb.3018:
	s_mov_b32 s10, 0x7f800001
	s_xor_b64 s[4:5], exec, -1
; %bb.3019:
	s_or_b64 exec, exec, s[8:9]
	s_and_b64 s[4:5], s[4:5], exec
	s_or_saveexec_b64 s[6:7], s[6:7]
	v_mov_b32_e32 v2, s10
	s_xor_b64 exec, exec, s[6:7]
	s_cbranch_execz .LBB22_970
.LBB22_3020:
	v_mov_b32_e32 v2, 0
	v_cmp_ne_u16_sdwa s[8:9], v3, v2 src0_sel:BYTE_0 src1_sel:DWORD
	s_andn2_b64 s[4:5], s[4:5], exec
	s_and_b64 s[8:9], s[8:9], exec
	s_or_b64 s[4:5], s[4:5], s[8:9]
	s_or_b64 exec, exec, s[6:7]
	s_and_saveexec_b64 s[6:7], s[4:5]
	s_cbranch_execnz .LBB22_971
	s_branch .LBB22_972
.LBB22_3021:
	s_movk_i32 s4, 0x80
	v_cmp_eq_u16_sdwa s[12:13], v3, s4 src0_sel:BYTE_0 src1_sel:DWORD
	s_mov_b64 s[4:5], -1
                                        ; implicit-def: $sgpr10
	s_and_saveexec_b64 s[8:9], s[12:13]
; %bb.3022:
	s_mov_b32 s10, 0x7f800001
	s_xor_b64 s[4:5], exec, -1
; %bb.3023:
	s_or_b64 exec, exec, s[8:9]
	s_and_b64 s[4:5], s[4:5], exec
	s_or_saveexec_b64 s[6:7], s[6:7]
	v_mov_b32_e32 v6, s10
	s_xor_b64 exec, exec, s[6:7]
	s_cbranch_execz .LBB22_974
.LBB22_3024:
	v_mov_b32_e32 v6, 0
	v_cmp_ne_u16_sdwa s[8:9], v3, v6 src0_sel:BYTE_0 src1_sel:DWORD
	s_andn2_b64 s[4:5], s[4:5], exec
	s_and_b64 s[8:9], s[8:9], exec
	s_or_b64 s[4:5], s[4:5], s[8:9]
	s_or_b64 exec, exec, s[6:7]
	s_and_saveexec_b64 s[6:7], s[4:5]
	s_cbranch_execnz .LBB22_975
	s_branch .LBB22_976
.LBB22_3025:
	s_movk_i32 s4, 0x80
	v_cmp_eq_u16_e32 vcc, s4, v3
	s_mov_b64 s[4:5], -1
                                        ; implicit-def: $sgpr10
	s_and_saveexec_b64 s[8:9], vcc
; %bb.3026:
	s_mov_b32 s10, 0x7f800001
	s_xor_b64 s[4:5], exec, -1
; %bb.3027:
	s_or_b64 exec, exec, s[8:9]
	s_and_b64 s[4:5], s[4:5], exec
                                        ; implicit-def: $vgpr3
	s_or_saveexec_b64 s[6:7], s[6:7]
	v_mov_b32_e32 v2, s10
	s_xor_b64 exec, exec, s[6:7]
	s_cbranch_execz .LBB22_978
.LBB22_3028:
	v_cmp_ne_u16_e32 vcc, 0, v3
	s_andn2_b64 s[4:5], s[4:5], exec
	s_and_b64 s[8:9], vcc, exec
	v_mov_b32_e32 v2, 0
	s_or_b64 s[4:5], s[4:5], s[8:9]
	s_or_b64 exec, exec, s[6:7]
	s_and_saveexec_b64 s[6:7], s[4:5]
	s_cbranch_execnz .LBB22_979
	s_branch .LBB22_980
.LBB22_3029:
	s_movk_i32 s4, 0x80
	v_cmp_eq_u16_e32 vcc, s4, v3
	s_mov_b64 s[4:5], -1
                                        ; implicit-def: $sgpr10
	s_and_saveexec_b64 s[8:9], vcc
; %bb.3030:
	s_mov_b32 s10, 0x7f800001
	s_xor_b64 s[4:5], exec, -1
; %bb.3031:
	s_or_b64 exec, exec, s[8:9]
	s_and_b64 s[4:5], s[4:5], exec
                                        ; implicit-def: $vgpr3
	s_or_saveexec_b64 s[6:7], s[6:7]
	v_mov_b32_e32 v6, s10
	s_xor_b64 exec, exec, s[6:7]
	s_cbranch_execz .LBB22_982
.LBB22_3032:
	v_cmp_ne_u16_e32 vcc, 0, v3
	s_andn2_b64 s[4:5], s[4:5], exec
	s_and_b64 s[8:9], vcc, exec
	v_mov_b32_e32 v6, 0
	s_or_b64 s[4:5], s[4:5], s[8:9]
	s_or_b64 exec, exec, s[6:7]
	s_and_saveexec_b64 s[6:7], s[4:5]
	s_cbranch_execnz .LBB22_983
	s_branch .LBB22_984
.LBB22_3033:
	s_movk_i32 s4, 0x80
	v_cmp_eq_u16_sdwa s[12:13], v8, s4 src0_sel:BYTE_3 src1_sel:DWORD
	s_mov_b64 s[4:5], -1
                                        ; implicit-def: $sgpr10
	s_and_saveexec_b64 s[8:9], s[12:13]
; %bb.3034:
	s_mov_b32 s10, 0x7f800001
	s_xor_b64 s[4:5], exec, -1
; %bb.3035:
	s_or_b64 exec, exec, s[8:9]
	s_and_b64 s[4:5], s[4:5], exec
	s_or_saveexec_b64 s[6:7], s[6:7]
	v_mov_b32_e32 v2, s10
	s_xor_b64 exec, exec, s[6:7]
	s_cbranch_execz .LBB22_986
.LBB22_3036:
	v_mov_b32_e32 v2, 0
	v_cmp_ne_u16_sdwa s[8:9], v8, v2 src0_sel:BYTE_3 src1_sel:DWORD
	s_andn2_b64 s[4:5], s[4:5], exec
	s_and_b64 s[8:9], s[8:9], exec
	s_or_b64 s[4:5], s[4:5], s[8:9]
	s_or_b64 exec, exec, s[6:7]
	s_and_saveexec_b64 s[6:7], s[4:5]
	s_cbranch_execnz .LBB22_987
	s_branch .LBB22_988
.LBB22_3037:
	s_movk_i32 s4, 0x80
	v_cmp_eq_u16_sdwa s[12:13], v4, s4 src0_sel:BYTE_3 src1_sel:DWORD
	s_mov_b64 s[4:5], -1
                                        ; implicit-def: $sgpr10
	s_and_saveexec_b64 s[8:9], s[12:13]
; %bb.3038:
	s_mov_b32 s10, 0x7f800001
	s_xor_b64 s[4:5], exec, -1
; %bb.3039:
	s_or_b64 exec, exec, s[8:9]
	s_and_b64 s[4:5], s[4:5], exec
	s_or_saveexec_b64 s[6:7], s[6:7]
	v_mov_b32_e32 v3, s10
	s_xor_b64 exec, exec, s[6:7]
	s_cbranch_execz .LBB22_990
.LBB22_3040:
	v_mov_b32_e32 v3, 0
	v_cmp_ne_u16_sdwa s[8:9], v4, v3 src0_sel:BYTE_3 src1_sel:DWORD
	s_andn2_b64 s[4:5], s[4:5], exec
	s_and_b64 s[8:9], s[8:9], exec
	s_or_b64 s[4:5], s[4:5], s[8:9]
	s_or_b64 exec, exec, s[6:7]
	s_and_saveexec_b64 s[6:7], s[4:5]
	s_cbranch_execnz .LBB22_991
	s_branch .LBB22_992
.LBB22_3041:
	s_movk_i32 s4, 0x80
	v_cmp_eq_u16_sdwa s[12:13], v9, s4 src0_sel:BYTE_0 src1_sel:DWORD
	s_mov_b64 s[4:5], -1
                                        ; implicit-def: $sgpr10
	s_and_saveexec_b64 s[8:9], s[12:13]
; %bb.3042:
	s_mov_b32 s10, 0x7f800001
	s_xor_b64 s[4:5], exec, -1
; %bb.3043:
	s_or_b64 exec, exec, s[8:9]
	s_and_b64 s[4:5], s[4:5], exec
	s_or_saveexec_b64 s[6:7], s[6:7]
	v_mov_b32_e32 v2, s10
	s_xor_b64 exec, exec, s[6:7]
	s_cbranch_execz .LBB22_994
.LBB22_3044:
	v_mov_b32_e32 v2, 0
	v_cmp_ne_u16_sdwa s[8:9], v9, v2 src0_sel:BYTE_0 src1_sel:DWORD
	s_andn2_b64 s[4:5], s[4:5], exec
	s_and_b64 s[8:9], s[8:9], exec
	s_or_b64 s[4:5], s[4:5], s[8:9]
	s_or_b64 exec, exec, s[6:7]
	s_and_saveexec_b64 s[6:7], s[4:5]
	s_cbranch_execnz .LBB22_995
	s_branch .LBB22_996
.LBB22_3045:
	s_movk_i32 s4, 0x80
	v_cmp_eq_u16_sdwa s[12:13], v5, s4 src0_sel:BYTE_0 src1_sel:DWORD
	s_mov_b64 s[4:5], -1
                                        ; implicit-def: $sgpr10
	s_and_saveexec_b64 s[8:9], s[12:13]
; %bb.3046:
	s_mov_b32 s10, 0x7f800001
	s_xor_b64 s[4:5], exec, -1
; %bb.3047:
	s_or_b64 exec, exec, s[8:9]
	s_and_b64 s[4:5], s[4:5], exec
	s_or_saveexec_b64 s[6:7], s[6:7]
	v_mov_b32_e32 v3, s10
	s_xor_b64 exec, exec, s[6:7]
	s_cbranch_execz .LBB22_998
.LBB22_3048:
	v_mov_b32_e32 v3, 0
	v_cmp_ne_u16_sdwa s[8:9], v5, v3 src0_sel:BYTE_0 src1_sel:DWORD
	s_andn2_b64 s[4:5], s[4:5], exec
	s_and_b64 s[8:9], s[8:9], exec
	s_or_b64 s[4:5], s[4:5], s[8:9]
	s_or_b64 exec, exec, s[6:7]
	s_and_saveexec_b64 s[6:7], s[4:5]
	s_cbranch_execnz .LBB22_999
	s_branch .LBB22_1000
.LBB22_3049:
	s_movk_i32 s4, 0x80
	v_cmp_eq_u16_sdwa s[12:13], v3, s4 src0_sel:BYTE_0 src1_sel:DWORD
	s_mov_b64 s[4:5], -1
                                        ; implicit-def: $sgpr10
	s_and_saveexec_b64 s[8:9], s[12:13]
; %bb.3050:
	s_mov_b32 s10, 0x7f800001
	s_xor_b64 s[4:5], exec, -1
; %bb.3051:
	s_or_b64 exec, exec, s[8:9]
	s_and_b64 s[4:5], s[4:5], exec
	s_or_saveexec_b64 s[6:7], s[6:7]
	v_mov_b32_e32 v2, s10
	s_xor_b64 exec, exec, s[6:7]
	s_cbranch_execz .LBB22_1002
.LBB22_3052:
	v_mov_b32_e32 v2, 0
	v_cmp_ne_u16_sdwa s[8:9], v3, v2 src0_sel:BYTE_0 src1_sel:DWORD
	s_andn2_b64 s[4:5], s[4:5], exec
	s_and_b64 s[8:9], s[8:9], exec
	s_or_b64 s[4:5], s[4:5], s[8:9]
	s_or_b64 exec, exec, s[6:7]
	s_and_saveexec_b64 s[6:7], s[4:5]
	s_cbranch_execnz .LBB22_1003
	s_branch .LBB22_1004
.LBB22_3053:
	s_movk_i32 s4, 0x80
	v_cmp_eq_u16_sdwa s[12:13], v3, s4 src0_sel:BYTE_0 src1_sel:DWORD
	s_mov_b64 s[4:5], -1
                                        ; implicit-def: $sgpr10
	s_and_saveexec_b64 s[8:9], s[12:13]
; %bb.3054:
	s_mov_b32 s10, 0x7f800001
	s_xor_b64 s[4:5], exec, -1
; %bb.3055:
	s_or_b64 exec, exec, s[8:9]
	s_and_b64 s[4:5], s[4:5], exec
	s_or_saveexec_b64 s[6:7], s[6:7]
	v_mov_b32_e32 v4, s10
	s_xor_b64 exec, exec, s[6:7]
	s_cbranch_execz .LBB22_1006
.LBB22_3056:
	v_mov_b32_e32 v4, 0
	v_cmp_ne_u16_sdwa s[8:9], v3, v4 src0_sel:BYTE_0 src1_sel:DWORD
	s_andn2_b64 s[4:5], s[4:5], exec
	s_and_b64 s[8:9], s[8:9], exec
	s_or_b64 s[4:5], s[4:5], s[8:9]
	s_or_b64 exec, exec, s[6:7]
	s_and_saveexec_b64 s[6:7], s[4:5]
	s_cbranch_execnz .LBB22_1007
	s_branch .LBB22_1008
.LBB22_3057:
	s_movk_i32 s4, 0x80
	v_cmp_eq_u16_e32 vcc, s4, v3
	s_mov_b64 s[4:5], -1
                                        ; implicit-def: $sgpr10
	s_and_saveexec_b64 s[8:9], vcc
; %bb.3058:
	s_mov_b32 s10, 0x7f800001
	s_xor_b64 s[4:5], exec, -1
; %bb.3059:
	s_or_b64 exec, exec, s[8:9]
	s_and_b64 s[4:5], s[4:5], exec
                                        ; implicit-def: $vgpr3
	s_or_saveexec_b64 s[6:7], s[6:7]
	v_mov_b32_e32 v2, s10
	s_xor_b64 exec, exec, s[6:7]
	s_cbranch_execz .LBB22_1010
.LBB22_3060:
	v_cmp_ne_u16_e32 vcc, 0, v3
	s_andn2_b64 s[4:5], s[4:5], exec
	s_and_b64 s[8:9], vcc, exec
	v_mov_b32_e32 v2, 0
	s_or_b64 s[4:5], s[4:5], s[8:9]
	s_or_b64 exec, exec, s[6:7]
	s_and_saveexec_b64 s[6:7], s[4:5]
	s_cbranch_execnz .LBB22_1011
	s_branch .LBB22_1012
.LBB22_3061:
	s_movk_i32 s4, 0x80
	v_cmp_eq_u16_e32 vcc, s4, v3
	s_mov_b64 s[4:5], -1
                                        ; implicit-def: $sgpr10
	s_and_saveexec_b64 s[8:9], vcc
; %bb.3062:
	s_mov_b32 s10, 0x7f800001
	s_xor_b64 s[4:5], exec, -1
; %bb.3063:
	s_or_b64 exec, exec, s[8:9]
	s_and_b64 s[4:5], s[4:5], exec
                                        ; implicit-def: $vgpr3
	s_or_saveexec_b64 s[6:7], s[6:7]
	v_mov_b32_e32 v4, s10
	s_xor_b64 exec, exec, s[6:7]
	s_cbranch_execz .LBB22_1014
.LBB22_3064:
	v_cmp_ne_u16_e32 vcc, 0, v3
	s_andn2_b64 s[4:5], s[4:5], exec
	s_and_b64 s[8:9], vcc, exec
	v_mov_b32_e32 v4, 0
	s_or_b64 s[4:5], s[4:5], s[8:9]
	s_or_b64 exec, exec, s[6:7]
	s_and_saveexec_b64 s[6:7], s[4:5]
	s_cbranch_execnz .LBB22_1015
	s_branch .LBB22_1016
.LBB22_3065:
	s_movk_i32 s4, 0x80
	v_cmp_eq_u16_sdwa s[12:13], v9, s4 src0_sel:BYTE_3 src1_sel:DWORD
	s_mov_b64 s[4:5], -1
                                        ; implicit-def: $sgpr10
	s_and_saveexec_b64 s[8:9], s[12:13]
; %bb.3066:
	s_mov_b32 s10, 0x7f800001
	s_xor_b64 s[4:5], exec, -1
; %bb.3067:
	s_or_b64 exec, exec, s[8:9]
	s_and_b64 s[4:5], s[4:5], exec
	s_or_saveexec_b64 s[6:7], s[6:7]
	v_mov_b32_e32 v2, s10
	s_xor_b64 exec, exec, s[6:7]
	s_cbranch_execz .LBB22_1018
.LBB22_3068:
	v_mov_b32_e32 v2, 0
	v_cmp_ne_u16_sdwa s[8:9], v9, v2 src0_sel:BYTE_3 src1_sel:DWORD
	s_andn2_b64 s[4:5], s[4:5], exec
	s_and_b64 s[8:9], s[8:9], exec
	s_or_b64 s[4:5], s[4:5], s[8:9]
	s_or_b64 exec, exec, s[6:7]
	s_and_saveexec_b64 s[6:7], s[4:5]
	s_cbranch_execnz .LBB22_1019
	s_branch .LBB22_1020
.LBB22_3069:
	s_movk_i32 s4, 0x80
	v_cmp_eq_u16_sdwa s[12:13], v5, s4 src0_sel:BYTE_3 src1_sel:DWORD
	s_mov_b64 s[4:5], -1
                                        ; implicit-def: $sgpr10
	s_and_saveexec_b64 s[8:9], s[12:13]
; %bb.3070:
	s_mov_b32 s10, 0x7f800001
	s_xor_b64 s[4:5], exec, -1
; %bb.3071:
	s_or_b64 exec, exec, s[8:9]
	s_and_b64 s[4:5], s[4:5], exec
	s_or_saveexec_b64 s[6:7], s[6:7]
	v_mov_b32_e32 v3, s10
	s_xor_b64 exec, exec, s[6:7]
	s_cbranch_execz .LBB22_1022
.LBB22_3072:
	v_mov_b32_e32 v3, 0
	v_cmp_ne_u16_sdwa s[8:9], v5, v3 src0_sel:BYTE_3 src1_sel:DWORD
	s_andn2_b64 s[4:5], s[4:5], exec
	s_and_b64 s[8:9], s[8:9], exec
	s_or_b64 s[4:5], s[4:5], s[8:9]
	s_or_b64 exec, exec, s[6:7]
	s_and_saveexec_b64 s[6:7], s[4:5]
	s_cbranch_execnz .LBB22_1023
	s_branch .LBB22_1024
.LBB22_3073:
	s_movk_i32 s4, 0x80
	v_cmp_eq_u16_sdwa s[12:13], v14, s4 src0_sel:BYTE_0 src1_sel:DWORD
	s_mov_b64 s[4:5], -1
                                        ; implicit-def: $sgpr10
	s_and_saveexec_b64 s[8:9], s[12:13]
; %bb.3074:
	s_mov_b32 s10, 0x7f800001
	s_xor_b64 s[4:5], exec, -1
; %bb.3075:
	s_or_b64 exec, exec, s[8:9]
	s_and_b64 s[4:5], s[4:5], exec
	s_or_saveexec_b64 s[6:7], s[6:7]
	v_mov_b32_e32 v20, s10
	s_xor_b64 exec, exec, s[6:7]
	s_cbranch_execz .LBB22_1026
.LBB22_3076:
	v_mov_b32_e32 v20, 0
	v_cmp_ne_u16_sdwa s[8:9], v14, v20 src0_sel:BYTE_0 src1_sel:DWORD
	s_andn2_b64 s[4:5], s[4:5], exec
	s_and_b64 s[8:9], s[8:9], exec
	s_or_b64 s[4:5], s[4:5], s[8:9]
	s_or_b64 exec, exec, s[6:7]
	s_and_saveexec_b64 s[6:7], s[4:5]
	s_cbranch_execnz .LBB22_1027
	s_branch .LBB22_1028
.LBB22_3077:
	s_movk_i32 s4, 0x80
	v_cmp_eq_u16_sdwa s[12:13], v10, s4 src0_sel:BYTE_0 src1_sel:DWORD
	s_mov_b64 s[4:5], -1
                                        ; implicit-def: $sgpr10
	s_and_saveexec_b64 s[8:9], s[12:13]
; %bb.3078:
	s_mov_b32 s10, 0x7f800001
	s_xor_b64 s[4:5], exec, -1
; %bb.3079:
	s_or_b64 exec, exec, s[8:9]
	s_and_b64 s[4:5], s[4:5], exec
	s_or_saveexec_b64 s[6:7], s[6:7]
	v_mov_b32_e32 v21, s10
	s_xor_b64 exec, exec, s[6:7]
	s_cbranch_execz .LBB22_1030
.LBB22_3080:
	v_mov_b32_e32 v21, 0
	v_cmp_ne_u16_sdwa s[8:9], v10, v21 src0_sel:BYTE_0 src1_sel:DWORD
	s_andn2_b64 s[4:5], s[4:5], exec
	s_and_b64 s[8:9], s[8:9], exec
	s_or_b64 s[4:5], s[4:5], s[8:9]
	s_or_b64 exec, exec, s[6:7]
	s_and_saveexec_b64 s[6:7], s[4:5]
	s_cbranch_execnz .LBB22_1031
	s_branch .LBB22_1032
.LBB22_3081:
	s_movk_i32 s4, 0x80
	v_cmp_eq_u16_sdwa s[12:13], v21, s4 src0_sel:BYTE_0 src1_sel:DWORD
	s_mov_b64 s[4:5], -1
                                        ; implicit-def: $sgpr10
	s_and_saveexec_b64 s[8:9], s[12:13]
; %bb.3082:
	s_mov_b32 s10, 0x7f800001
	s_xor_b64 s[4:5], exec, -1
; %bb.3083:
	s_or_b64 exec, exec, s[8:9]
	s_and_b64 s[4:5], s[4:5], exec
	s_or_saveexec_b64 s[6:7], s[6:7]
	v_mov_b32_e32 v20, s10
	s_xor_b64 exec, exec, s[6:7]
	s_cbranch_execz .LBB22_1034
.LBB22_3084:
	v_mov_b32_e32 v20, 0
	v_cmp_ne_u16_sdwa s[8:9], v21, v20 src0_sel:BYTE_0 src1_sel:DWORD
	s_andn2_b64 s[4:5], s[4:5], exec
	s_and_b64 s[8:9], s[8:9], exec
	s_or_b64 s[4:5], s[4:5], s[8:9]
	s_or_b64 exec, exec, s[6:7]
	s_and_saveexec_b64 s[6:7], s[4:5]
	s_cbranch_execnz .LBB22_1035
	s_branch .LBB22_1036
.LBB22_3085:
	s_movk_i32 s4, 0x80
	v_cmp_eq_u16_sdwa s[12:13], v21, s4 src0_sel:BYTE_0 src1_sel:DWORD
	s_mov_b64 s[4:5], -1
                                        ; implicit-def: $sgpr10
	s_and_saveexec_b64 s[8:9], s[12:13]
; %bb.3086:
	s_mov_b32 s10, 0x7f800001
	s_xor_b64 s[4:5], exec, -1
; %bb.3087:
	s_or_b64 exec, exec, s[8:9]
	s_and_b64 s[4:5], s[4:5], exec
	s_or_saveexec_b64 s[6:7], s[6:7]
	v_mov_b32_e32 v22, s10
	s_xor_b64 exec, exec, s[6:7]
	s_cbranch_execz .LBB22_1038
.LBB22_3088:
	v_mov_b32_e32 v22, 0
	v_cmp_ne_u16_sdwa s[8:9], v21, v22 src0_sel:BYTE_0 src1_sel:DWORD
	s_andn2_b64 s[4:5], s[4:5], exec
	s_and_b64 s[8:9], s[8:9], exec
	s_or_b64 s[4:5], s[4:5], s[8:9]
	s_or_b64 exec, exec, s[6:7]
	s_and_saveexec_b64 s[6:7], s[4:5]
	s_cbranch_execnz .LBB22_1039
	s_branch .LBB22_1040
.LBB22_3089:
	s_movk_i32 s4, 0x80
	v_cmp_eq_u16_e32 vcc, s4, v21
	s_mov_b64 s[4:5], -1
                                        ; implicit-def: $sgpr10
	s_and_saveexec_b64 s[8:9], vcc
; %bb.3090:
	s_mov_b32 s10, 0x7f800001
	s_xor_b64 s[4:5], exec, -1
; %bb.3091:
	s_or_b64 exec, exec, s[8:9]
	s_and_b64 s[4:5], s[4:5], exec
                                        ; implicit-def: $vgpr21
	s_or_saveexec_b64 s[6:7], s[6:7]
	v_mov_b32_e32 v20, s10
	s_xor_b64 exec, exec, s[6:7]
	s_cbranch_execz .LBB22_1042
.LBB22_3092:
	v_cmp_ne_u16_e32 vcc, 0, v21
	s_andn2_b64 s[4:5], s[4:5], exec
	s_and_b64 s[8:9], vcc, exec
	v_mov_b32_e32 v20, 0
	s_or_b64 s[4:5], s[4:5], s[8:9]
	s_or_b64 exec, exec, s[6:7]
	s_and_saveexec_b64 s[6:7], s[4:5]
	s_cbranch_execnz .LBB22_1043
	s_branch .LBB22_1044
.LBB22_3093:
	s_movk_i32 s4, 0x80
	v_cmp_eq_u16_e32 vcc, s4, v21
	s_mov_b64 s[4:5], -1
                                        ; implicit-def: $sgpr10
	s_and_saveexec_b64 s[8:9], vcc
; %bb.3094:
	s_mov_b32 s10, 0x7f800001
	s_xor_b64 s[4:5], exec, -1
; %bb.3095:
	s_or_b64 exec, exec, s[8:9]
	s_and_b64 s[4:5], s[4:5], exec
                                        ; implicit-def: $vgpr21
	s_or_saveexec_b64 s[6:7], s[6:7]
	v_mov_b32_e32 v22, s10
	s_xor_b64 exec, exec, s[6:7]
	s_cbranch_execz .LBB22_1046
.LBB22_3096:
	v_cmp_ne_u16_e32 vcc, 0, v21
	s_andn2_b64 s[4:5], s[4:5], exec
	s_and_b64 s[8:9], vcc, exec
	v_mov_b32_e32 v22, 0
	s_or_b64 s[4:5], s[4:5], s[8:9]
	s_or_b64 exec, exec, s[6:7]
	s_and_saveexec_b64 s[6:7], s[4:5]
	s_cbranch_execnz .LBB22_1047
	s_branch .LBB22_1048
.LBB22_3097:
	s_movk_i32 s4, 0x80
	v_cmp_eq_u16_sdwa s[12:13], v14, s4 src0_sel:BYTE_3 src1_sel:DWORD
	s_mov_b64 s[4:5], -1
                                        ; implicit-def: $sgpr10
	s_and_saveexec_b64 s[8:9], s[12:13]
; %bb.3098:
	s_mov_b32 s10, 0x7f800001
	s_xor_b64 s[4:5], exec, -1
; %bb.3099:
	s_or_b64 exec, exec, s[8:9]
	s_and_b64 s[4:5], s[4:5], exec
	s_or_saveexec_b64 s[6:7], s[6:7]
	v_mov_b32_e32 v20, s10
	s_xor_b64 exec, exec, s[6:7]
	s_cbranch_execz .LBB22_1050
.LBB22_3100:
	v_mov_b32_e32 v20, 0
	v_cmp_ne_u16_sdwa s[8:9], v14, v20 src0_sel:BYTE_3 src1_sel:DWORD
	s_andn2_b64 s[4:5], s[4:5], exec
	s_and_b64 s[8:9], s[8:9], exec
	s_or_b64 s[4:5], s[4:5], s[8:9]
	s_or_b64 exec, exec, s[6:7]
	s_and_saveexec_b64 s[6:7], s[4:5]
	s_cbranch_execnz .LBB22_1051
	s_branch .LBB22_1052
.LBB22_3101:
	s_movk_i32 s4, 0x80
	v_cmp_eq_u16_sdwa s[12:13], v10, s4 src0_sel:BYTE_3 src1_sel:DWORD
	s_mov_b64 s[4:5], -1
                                        ; implicit-def: $sgpr10
	s_and_saveexec_b64 s[8:9], s[12:13]
; %bb.3102:
	s_mov_b32 s10, 0x7f800001
	s_xor_b64 s[4:5], exec, -1
; %bb.3103:
	s_or_b64 exec, exec, s[8:9]
	s_and_b64 s[4:5], s[4:5], exec
	s_or_saveexec_b64 s[6:7], s[6:7]
	v_mov_b32_e32 v14, s10
	s_xor_b64 exec, exec, s[6:7]
	s_cbranch_execz .LBB22_1054
.LBB22_3104:
	v_mov_b32_e32 v14, 0
	v_cmp_ne_u16_sdwa s[8:9], v10, v14 src0_sel:BYTE_3 src1_sel:DWORD
	s_andn2_b64 s[4:5], s[4:5], exec
	s_and_b64 s[8:9], s[8:9], exec
	s_or_b64 s[4:5], s[4:5], s[8:9]
	s_or_b64 exec, exec, s[6:7]
	s_and_saveexec_b64 s[6:7], s[4:5]
	s_cbranch_execnz .LBB22_1055
	s_branch .LBB22_1056
.LBB22_3105:
	s_movk_i32 s4, 0x80
	v_cmp_eq_u16_sdwa s[12:13], v15, s4 src0_sel:BYTE_0 src1_sel:DWORD
	s_mov_b64 s[4:5], -1
                                        ; implicit-def: $sgpr10
	s_and_saveexec_b64 s[8:9], s[12:13]
; %bb.3106:
	s_mov_b32 s10, 0x7f800001
	s_xor_b64 s[4:5], exec, -1
; %bb.3107:
	s_or_b64 exec, exec, s[8:9]
	s_and_b64 s[4:5], s[4:5], exec
	s_or_saveexec_b64 s[6:7], s[6:7]
	v_mov_b32_e32 v10, s10
	s_xor_b64 exec, exec, s[6:7]
	s_cbranch_execz .LBB22_1058
.LBB22_3108:
	v_mov_b32_e32 v10, 0
	v_cmp_ne_u16_sdwa s[8:9], v15, v10 src0_sel:BYTE_0 src1_sel:DWORD
	s_andn2_b64 s[4:5], s[4:5], exec
	s_and_b64 s[8:9], s[8:9], exec
	s_or_b64 s[4:5], s[4:5], s[8:9]
	s_or_b64 exec, exec, s[6:7]
	s_and_saveexec_b64 s[6:7], s[4:5]
	s_cbranch_execnz .LBB22_1059
	s_branch .LBB22_1060
.LBB22_3109:
	s_movk_i32 s4, 0x80
	v_cmp_eq_u16_sdwa s[12:13], v11, s4 src0_sel:BYTE_0 src1_sel:DWORD
	s_mov_b64 s[4:5], -1
                                        ; implicit-def: $sgpr10
	s_and_saveexec_b64 s[8:9], s[12:13]
; %bb.3110:
	s_mov_b32 s10, 0x7f800001
	s_xor_b64 s[4:5], exec, -1
; %bb.3111:
	s_or_b64 exec, exec, s[8:9]
	s_and_b64 s[4:5], s[4:5], exec
	s_or_saveexec_b64 s[6:7], s[6:7]
	v_mov_b32_e32 v14, s10
	s_xor_b64 exec, exec, s[6:7]
	s_cbranch_execz .LBB22_1062
.LBB22_3112:
	v_mov_b32_e32 v14, 0
	v_cmp_ne_u16_sdwa s[8:9], v11, v14 src0_sel:BYTE_0 src1_sel:DWORD
	s_andn2_b64 s[4:5], s[4:5], exec
	s_and_b64 s[8:9], s[8:9], exec
	s_or_b64 s[4:5], s[4:5], s[8:9]
	s_or_b64 exec, exec, s[6:7]
	s_and_saveexec_b64 s[6:7], s[4:5]
	s_cbranch_execnz .LBB22_1063
	s_branch .LBB22_1064
.LBB22_3113:
	s_movk_i32 s4, 0x80
	v_cmp_eq_u16_sdwa s[12:13], v14, s4 src0_sel:BYTE_0 src1_sel:DWORD
	s_mov_b64 s[4:5], -1
                                        ; implicit-def: $sgpr10
	s_and_saveexec_b64 s[8:9], s[12:13]
; %bb.3114:
	s_mov_b32 s10, 0x7f800001
	s_xor_b64 s[4:5], exec, -1
; %bb.3115:
	s_or_b64 exec, exec, s[8:9]
	s_and_b64 s[4:5], s[4:5], exec
	s_or_saveexec_b64 s[6:7], s[6:7]
	v_mov_b32_e32 v10, s10
	s_xor_b64 exec, exec, s[6:7]
	s_cbranch_execz .LBB22_1066
.LBB22_3116:
	v_mov_b32_e32 v10, 0
	v_cmp_ne_u16_sdwa s[8:9], v14, v10 src0_sel:BYTE_0 src1_sel:DWORD
	s_andn2_b64 s[4:5], s[4:5], exec
	s_and_b64 s[8:9], s[8:9], exec
	s_or_b64 s[4:5], s[4:5], s[8:9]
	s_or_b64 exec, exec, s[6:7]
	s_and_saveexec_b64 s[6:7], s[4:5]
	s_cbranch_execnz .LBB22_1067
	s_branch .LBB22_1068
.LBB22_3117:
	s_movk_i32 s4, 0x80
	v_cmp_eq_u16_sdwa s[12:13], v14, s4 src0_sel:BYTE_0 src1_sel:DWORD
	s_mov_b64 s[4:5], -1
                                        ; implicit-def: $sgpr10
	s_and_saveexec_b64 s[8:9], s[12:13]
; %bb.3118:
	s_mov_b32 s10, 0x7f800001
	s_xor_b64 s[4:5], exec, -1
; %bb.3119:
	s_or_b64 exec, exec, s[8:9]
	s_and_b64 s[4:5], s[4:5], exec
	s_or_saveexec_b64 s[6:7], s[6:7]
	v_mov_b32_e32 v20, s10
	s_xor_b64 exec, exec, s[6:7]
	s_cbranch_execz .LBB22_1070
.LBB22_3120:
	v_mov_b32_e32 v20, 0
	v_cmp_ne_u16_sdwa s[8:9], v14, v20 src0_sel:BYTE_0 src1_sel:DWORD
	s_andn2_b64 s[4:5], s[4:5], exec
	s_and_b64 s[8:9], s[8:9], exec
	s_or_b64 s[4:5], s[4:5], s[8:9]
	s_or_b64 exec, exec, s[6:7]
	s_and_saveexec_b64 s[6:7], s[4:5]
	s_cbranch_execnz .LBB22_1071
	s_branch .LBB22_1072
.LBB22_3121:
	s_movk_i32 s4, 0x80
	v_cmp_eq_u16_e32 vcc, s4, v14
	s_mov_b64 s[4:5], -1
                                        ; implicit-def: $sgpr10
	s_and_saveexec_b64 s[8:9], vcc
; %bb.3122:
	s_mov_b32 s10, 0x7f800001
	s_xor_b64 s[4:5], exec, -1
; %bb.3123:
	s_or_b64 exec, exec, s[8:9]
	s_and_b64 s[4:5], s[4:5], exec
                                        ; implicit-def: $vgpr14
	s_or_saveexec_b64 s[6:7], s[6:7]
	v_mov_b32_e32 v10, s10
	s_xor_b64 exec, exec, s[6:7]
	s_cbranch_execz .LBB22_1074
.LBB22_3124:
	v_cmp_ne_u16_e32 vcc, 0, v14
	s_andn2_b64 s[4:5], s[4:5], exec
	s_and_b64 s[8:9], vcc, exec
	v_mov_b32_e32 v10, 0
	s_or_b64 s[4:5], s[4:5], s[8:9]
	s_or_b64 exec, exec, s[6:7]
	s_and_saveexec_b64 s[6:7], s[4:5]
	s_cbranch_execnz .LBB22_1075
	s_branch .LBB22_1076
.LBB22_3125:
	s_movk_i32 s4, 0x80
	v_cmp_eq_u16_e32 vcc, s4, v14
	s_mov_b64 s[4:5], -1
                                        ; implicit-def: $sgpr10
	s_and_saveexec_b64 s[8:9], vcc
; %bb.3126:
	s_mov_b32 s10, 0x7f800001
	s_xor_b64 s[4:5], exec, -1
; %bb.3127:
	s_or_b64 exec, exec, s[8:9]
	s_and_b64 s[4:5], s[4:5], exec
                                        ; implicit-def: $vgpr14
	s_or_saveexec_b64 s[6:7], s[6:7]
	v_mov_b32_e32 v20, s10
	s_xor_b64 exec, exec, s[6:7]
	s_cbranch_execz .LBB22_1078
.LBB22_3128:
	v_cmp_ne_u16_e32 vcc, 0, v14
	s_andn2_b64 s[4:5], s[4:5], exec
	s_and_b64 s[8:9], vcc, exec
	v_mov_b32_e32 v20, 0
	s_or_b64 s[4:5], s[4:5], s[8:9]
	s_or_b64 exec, exec, s[6:7]
	s_and_saveexec_b64 s[6:7], s[4:5]
	s_cbranch_execnz .LBB22_1079
	s_branch .LBB22_1080
.LBB22_3129:
	s_movk_i32 s4, 0x80
	v_cmp_eq_u16_sdwa s[12:13], v15, s4 src0_sel:BYTE_3 src1_sel:DWORD
	s_mov_b64 s[4:5], -1
                                        ; implicit-def: $sgpr10
	s_and_saveexec_b64 s[8:9], s[12:13]
; %bb.3130:
	s_mov_b32 s10, 0x7f800001
	s_xor_b64 s[4:5], exec, -1
; %bb.3131:
	s_or_b64 exec, exec, s[8:9]
	s_and_b64 s[4:5], s[4:5], exec
	s_or_saveexec_b64 s[6:7], s[6:7]
	v_mov_b32_e32 v10, s10
	s_xor_b64 exec, exec, s[6:7]
	s_cbranch_execz .LBB22_1082
.LBB22_3132:
	v_mov_b32_e32 v10, 0
	v_cmp_ne_u16_sdwa s[8:9], v15, v10 src0_sel:BYTE_3 src1_sel:DWORD
	s_andn2_b64 s[4:5], s[4:5], exec
	s_and_b64 s[8:9], s[8:9], exec
	s_or_b64 s[4:5], s[4:5], s[8:9]
	s_or_b64 exec, exec, s[6:7]
	s_and_saveexec_b64 s[6:7], s[4:5]
	s_cbranch_execnz .LBB22_1083
	s_branch .LBB22_1084
.LBB22_3133:
	s_movk_i32 s4, 0x80
	v_cmp_eq_u16_sdwa s[12:13], v11, s4 src0_sel:BYTE_3 src1_sel:DWORD
	s_mov_b64 s[4:5], -1
                                        ; implicit-def: $sgpr10
	s_and_saveexec_b64 s[8:9], s[12:13]
; %bb.3134:
	s_mov_b32 s10, 0x7f800001
	s_xor_b64 s[4:5], exec, -1
; %bb.3135:
	s_or_b64 exec, exec, s[8:9]
	s_and_b64 s[4:5], s[4:5], exec
	s_or_saveexec_b64 s[6:7], s[6:7]
	v_mov_b32_e32 v14, s10
	s_xor_b64 exec, exec, s[6:7]
	s_cbranch_execz .LBB22_1086
.LBB22_3136:
	v_mov_b32_e32 v14, 0
	v_cmp_ne_u16_sdwa s[8:9], v11, v14 src0_sel:BYTE_3 src1_sel:DWORD
	s_andn2_b64 s[4:5], s[4:5], exec
	s_and_b64 s[8:9], s[8:9], exec
	s_or_b64 s[4:5], s[4:5], s[8:9]
	s_or_b64 exec, exec, s[6:7]
	s_and_saveexec_b64 s[6:7], s[4:5]
	s_cbranch_execnz .LBB22_1087
	s_branch .LBB22_1088
.LBB22_3137:
	s_movk_i32 s4, 0x80
	v_cmp_eq_u16_sdwa s[12:13], v16, s4 src0_sel:BYTE_0 src1_sel:DWORD
	s_mov_b64 s[4:5], -1
                                        ; implicit-def: $sgpr10
	s_and_saveexec_b64 s[8:9], s[12:13]
; %bb.3138:
	s_mov_b32 s10, 0x7f800001
	s_xor_b64 s[4:5], exec, -1
; %bb.3139:
	s_or_b64 exec, exec, s[8:9]
	s_and_b64 s[4:5], s[4:5], exec
	s_or_saveexec_b64 s[6:7], s[6:7]
	v_mov_b32_e32 v10, s10
	s_xor_b64 exec, exec, s[6:7]
	s_cbranch_execz .LBB22_1090
.LBB22_3140:
	v_mov_b32_e32 v10, 0
	v_cmp_ne_u16_sdwa s[8:9], v16, v10 src0_sel:BYTE_0 src1_sel:DWORD
	s_andn2_b64 s[4:5], s[4:5], exec
	s_and_b64 s[8:9], s[8:9], exec
	s_or_b64 s[4:5], s[4:5], s[8:9]
	s_or_b64 exec, exec, s[6:7]
	s_and_saveexec_b64 s[6:7], s[4:5]
	s_cbranch_execnz .LBB22_1091
	s_branch .LBB22_1092
.LBB22_3141:
	s_movk_i32 s4, 0x80
	v_cmp_eq_u16_sdwa s[12:13], v12, s4 src0_sel:BYTE_0 src1_sel:DWORD
	s_mov_b64 s[4:5], -1
                                        ; implicit-def: $sgpr10
	s_and_saveexec_b64 s[8:9], s[12:13]
; %bb.3142:
	s_mov_b32 s10, 0x7f800001
	s_xor_b64 s[4:5], exec, -1
; %bb.3143:
	s_or_b64 exec, exec, s[8:9]
	s_and_b64 s[4:5], s[4:5], exec
	s_or_saveexec_b64 s[6:7], s[6:7]
	v_mov_b32_e32 v11, s10
	s_xor_b64 exec, exec, s[6:7]
	s_cbranch_execz .LBB22_1094
.LBB22_3144:
	v_mov_b32_e32 v11, 0
	v_cmp_ne_u16_sdwa s[8:9], v12, v11 src0_sel:BYTE_0 src1_sel:DWORD
	s_andn2_b64 s[4:5], s[4:5], exec
	s_and_b64 s[8:9], s[8:9], exec
	s_or_b64 s[4:5], s[4:5], s[8:9]
	s_or_b64 exec, exec, s[6:7]
	s_and_saveexec_b64 s[6:7], s[4:5]
	s_cbranch_execnz .LBB22_1095
	s_branch .LBB22_1096
.LBB22_3145:
	s_movk_i32 s4, 0x80
	v_cmp_eq_u16_sdwa s[12:13], v11, s4 src0_sel:BYTE_0 src1_sel:DWORD
	s_mov_b64 s[4:5], -1
                                        ; implicit-def: $sgpr10
	s_and_saveexec_b64 s[8:9], s[12:13]
; %bb.3146:
	s_mov_b32 s10, 0x7f800001
	s_xor_b64 s[4:5], exec, -1
; %bb.3147:
	s_or_b64 exec, exec, s[8:9]
	s_and_b64 s[4:5], s[4:5], exec
	s_or_saveexec_b64 s[6:7], s[6:7]
	v_mov_b32_e32 v10, s10
	s_xor_b64 exec, exec, s[6:7]
	s_cbranch_execz .LBB22_1098
.LBB22_3148:
	v_mov_b32_e32 v10, 0
	v_cmp_ne_u16_sdwa s[8:9], v11, v10 src0_sel:BYTE_0 src1_sel:DWORD
	s_andn2_b64 s[4:5], s[4:5], exec
	s_and_b64 s[8:9], s[8:9], exec
	s_or_b64 s[4:5], s[4:5], s[8:9]
	s_or_b64 exec, exec, s[6:7]
	s_and_saveexec_b64 s[6:7], s[4:5]
	s_cbranch_execnz .LBB22_1099
	s_branch .LBB22_1100
.LBB22_3149:
	s_movk_i32 s4, 0x80
	v_cmp_eq_u16_sdwa s[12:13], v11, s4 src0_sel:BYTE_0 src1_sel:DWORD
	s_mov_b64 s[4:5], -1
                                        ; implicit-def: $sgpr10
	s_and_saveexec_b64 s[8:9], s[12:13]
; %bb.3150:
	s_mov_b32 s10, 0x7f800001
	s_xor_b64 s[4:5], exec, -1
; %bb.3151:
	s_or_b64 exec, exec, s[8:9]
	s_and_b64 s[4:5], s[4:5], exec
	s_or_saveexec_b64 s[6:7], s[6:7]
	v_mov_b32_e32 v14, s10
	s_xor_b64 exec, exec, s[6:7]
	s_cbranch_execz .LBB22_1102
.LBB22_3152:
	v_mov_b32_e32 v14, 0
	v_cmp_ne_u16_sdwa s[8:9], v11, v14 src0_sel:BYTE_0 src1_sel:DWORD
	s_andn2_b64 s[4:5], s[4:5], exec
	s_and_b64 s[8:9], s[8:9], exec
	s_or_b64 s[4:5], s[4:5], s[8:9]
	s_or_b64 exec, exec, s[6:7]
	s_and_saveexec_b64 s[6:7], s[4:5]
	s_cbranch_execnz .LBB22_1103
	s_branch .LBB22_1104
.LBB22_3153:
	s_movk_i32 s4, 0x80
	v_cmp_eq_u16_e32 vcc, s4, v11
	s_mov_b64 s[4:5], -1
                                        ; implicit-def: $sgpr10
	s_and_saveexec_b64 s[8:9], vcc
; %bb.3154:
	s_mov_b32 s10, 0x7f800001
	s_xor_b64 s[4:5], exec, -1
; %bb.3155:
	s_or_b64 exec, exec, s[8:9]
	s_and_b64 s[4:5], s[4:5], exec
                                        ; implicit-def: $vgpr11
	s_or_saveexec_b64 s[6:7], s[6:7]
	v_mov_b32_e32 v10, s10
	s_xor_b64 exec, exec, s[6:7]
	s_cbranch_execz .LBB22_1106
.LBB22_3156:
	v_cmp_ne_u16_e32 vcc, 0, v11
	s_andn2_b64 s[4:5], s[4:5], exec
	s_and_b64 s[8:9], vcc, exec
	v_mov_b32_e32 v10, 0
	s_or_b64 s[4:5], s[4:5], s[8:9]
	s_or_b64 exec, exec, s[6:7]
	s_and_saveexec_b64 s[6:7], s[4:5]
	s_cbranch_execnz .LBB22_1107
	s_branch .LBB22_1108
.LBB22_3157:
	s_movk_i32 s4, 0x80
	v_cmp_eq_u16_e32 vcc, s4, v11
	s_mov_b64 s[4:5], -1
                                        ; implicit-def: $sgpr10
	s_and_saveexec_b64 s[8:9], vcc
; %bb.3158:
	s_mov_b32 s10, 0x7f800001
	s_xor_b64 s[4:5], exec, -1
; %bb.3159:
	s_or_b64 exec, exec, s[8:9]
	s_and_b64 s[4:5], s[4:5], exec
                                        ; implicit-def: $vgpr11
	s_or_saveexec_b64 s[6:7], s[6:7]
	v_mov_b32_e32 v14, s10
	s_xor_b64 exec, exec, s[6:7]
	s_cbranch_execz .LBB22_1110
.LBB22_3160:
	v_cmp_ne_u16_e32 vcc, 0, v11
	s_andn2_b64 s[4:5], s[4:5], exec
	s_and_b64 s[8:9], vcc, exec
	v_mov_b32_e32 v14, 0
	s_or_b64 s[4:5], s[4:5], s[8:9]
	s_or_b64 exec, exec, s[6:7]
	s_and_saveexec_b64 s[6:7], s[4:5]
	s_cbranch_execnz .LBB22_1111
	s_branch .LBB22_1112
.LBB22_3161:
	s_movk_i32 s4, 0x80
	v_cmp_eq_u16_sdwa s[12:13], v16, s4 src0_sel:BYTE_3 src1_sel:DWORD
	s_mov_b64 s[4:5], -1
                                        ; implicit-def: $sgpr10
	s_and_saveexec_b64 s[8:9], s[12:13]
; %bb.3162:
	s_mov_b32 s10, 0x7f800001
	s_xor_b64 s[4:5], exec, -1
; %bb.3163:
	s_or_b64 exec, exec, s[8:9]
	s_and_b64 s[4:5], s[4:5], exec
	s_or_saveexec_b64 s[6:7], s[6:7]
	v_mov_b32_e32 v10, s10
	s_xor_b64 exec, exec, s[6:7]
	s_cbranch_execz .LBB22_1114
.LBB22_3164:
	v_mov_b32_e32 v10, 0
	v_cmp_ne_u16_sdwa s[8:9], v16, v10 src0_sel:BYTE_3 src1_sel:DWORD
	s_andn2_b64 s[4:5], s[4:5], exec
	s_and_b64 s[8:9], s[8:9], exec
	s_or_b64 s[4:5], s[4:5], s[8:9]
	s_or_b64 exec, exec, s[6:7]
	s_and_saveexec_b64 s[6:7], s[4:5]
	s_cbranch_execnz .LBB22_1115
	s_branch .LBB22_1116
.LBB22_3165:
	s_movk_i32 s4, 0x80
	v_cmp_eq_u16_sdwa s[12:13], v12, s4 src0_sel:BYTE_3 src1_sel:DWORD
	s_mov_b64 s[4:5], -1
                                        ; implicit-def: $sgpr10
	s_and_saveexec_b64 s[8:9], s[12:13]
; %bb.3166:
	s_mov_b32 s10, 0x7f800001
	s_xor_b64 s[4:5], exec, -1
; %bb.3167:
	s_or_b64 exec, exec, s[8:9]
	s_and_b64 s[4:5], s[4:5], exec
	s_or_saveexec_b64 s[6:7], s[6:7]
	v_mov_b32_e32 v11, s10
	s_xor_b64 exec, exec, s[6:7]
	s_cbranch_execz .LBB22_1118
.LBB22_3168:
	v_mov_b32_e32 v11, 0
	v_cmp_ne_u16_sdwa s[8:9], v12, v11 src0_sel:BYTE_3 src1_sel:DWORD
	s_andn2_b64 s[4:5], s[4:5], exec
	s_and_b64 s[8:9], s[8:9], exec
	s_or_b64 s[4:5], s[4:5], s[8:9]
	s_or_b64 exec, exec, s[6:7]
	s_and_saveexec_b64 s[6:7], s[4:5]
	s_cbranch_execnz .LBB22_1119
	s_branch .LBB22_1120
.LBB22_3169:
	s_movk_i32 s4, 0x80
	v_cmp_eq_u16_sdwa s[12:13], v17, s4 src0_sel:BYTE_0 src1_sel:DWORD
	s_mov_b64 s[4:5], -1
                                        ; implicit-def: $sgpr10
	s_and_saveexec_b64 s[8:9], s[12:13]
; %bb.3170:
	s_mov_b32 s10, 0x7f800001
	s_xor_b64 s[4:5], exec, -1
; %bb.3171:
	s_or_b64 exec, exec, s[8:9]
	s_and_b64 s[4:5], s[4:5], exec
	s_or_saveexec_b64 s[6:7], s[6:7]
	v_mov_b32_e32 v10, s10
	s_xor_b64 exec, exec, s[6:7]
	s_cbranch_execz .LBB22_1122
.LBB22_3172:
	v_mov_b32_e32 v10, 0
	v_cmp_ne_u16_sdwa s[8:9], v17, v10 src0_sel:BYTE_0 src1_sel:DWORD
	s_andn2_b64 s[4:5], s[4:5], exec
	s_and_b64 s[8:9], s[8:9], exec
	s_or_b64 s[4:5], s[4:5], s[8:9]
	s_or_b64 exec, exec, s[6:7]
	s_and_saveexec_b64 s[6:7], s[4:5]
	s_cbranch_execnz .LBB22_1123
	s_branch .LBB22_1124
.LBB22_3173:
	s_movk_i32 s4, 0x80
	v_cmp_eq_u16_sdwa s[12:13], v13, s4 src0_sel:BYTE_0 src1_sel:DWORD
	s_mov_b64 s[4:5], -1
                                        ; implicit-def: $sgpr10
	s_and_saveexec_b64 s[8:9], s[12:13]
; %bb.3174:
	s_mov_b32 s10, 0x7f800001
	s_xor_b64 s[4:5], exec, -1
; %bb.3175:
	s_or_b64 exec, exec, s[8:9]
	s_and_b64 s[4:5], s[4:5], exec
	s_or_saveexec_b64 s[6:7], s[6:7]
	v_mov_b32_e32 v11, s10
	s_xor_b64 exec, exec, s[6:7]
	s_cbranch_execz .LBB22_1126
.LBB22_3176:
	v_mov_b32_e32 v11, 0
	v_cmp_ne_u16_sdwa s[8:9], v13, v11 src0_sel:BYTE_0 src1_sel:DWORD
	s_andn2_b64 s[4:5], s[4:5], exec
	s_and_b64 s[8:9], s[8:9], exec
	s_or_b64 s[4:5], s[4:5], s[8:9]
	s_or_b64 exec, exec, s[6:7]
	s_and_saveexec_b64 s[6:7], s[4:5]
	s_cbranch_execnz .LBB22_1127
	s_branch .LBB22_1128
.LBB22_3177:
	s_movk_i32 s4, 0x80
	v_cmp_eq_u16_sdwa s[12:13], v11, s4 src0_sel:BYTE_0 src1_sel:DWORD
	s_mov_b64 s[4:5], -1
                                        ; implicit-def: $sgpr10
	s_and_saveexec_b64 s[8:9], s[12:13]
; %bb.3178:
	s_mov_b32 s10, 0x7f800001
	s_xor_b64 s[4:5], exec, -1
; %bb.3179:
	s_or_b64 exec, exec, s[8:9]
	s_and_b64 s[4:5], s[4:5], exec
	s_or_saveexec_b64 s[6:7], s[6:7]
	v_mov_b32_e32 v10, s10
	s_xor_b64 exec, exec, s[6:7]
	s_cbranch_execz .LBB22_1130
.LBB22_3180:
	v_mov_b32_e32 v10, 0
	v_cmp_ne_u16_sdwa s[8:9], v11, v10 src0_sel:BYTE_0 src1_sel:DWORD
	s_andn2_b64 s[4:5], s[4:5], exec
	s_and_b64 s[8:9], s[8:9], exec
	s_or_b64 s[4:5], s[4:5], s[8:9]
	s_or_b64 exec, exec, s[6:7]
	s_and_saveexec_b64 s[6:7], s[4:5]
	s_cbranch_execnz .LBB22_1131
	s_branch .LBB22_1132
.LBB22_3181:
	s_movk_i32 s4, 0x80
	v_cmp_eq_u16_sdwa s[12:13], v11, s4 src0_sel:BYTE_0 src1_sel:DWORD
	s_mov_b64 s[4:5], -1
                                        ; implicit-def: $sgpr10
	s_and_saveexec_b64 s[8:9], s[12:13]
; %bb.3182:
	s_mov_b32 s10, 0x7f800001
	s_xor_b64 s[4:5], exec, -1
; %bb.3183:
	s_or_b64 exec, exec, s[8:9]
	s_and_b64 s[4:5], s[4:5], exec
	s_or_saveexec_b64 s[6:7], s[6:7]
	v_mov_b32_e32 v12, s10
	s_xor_b64 exec, exec, s[6:7]
	s_cbranch_execz .LBB22_1134
.LBB22_3184:
	v_mov_b32_e32 v12, 0
	v_cmp_ne_u16_sdwa s[8:9], v11, v12 src0_sel:BYTE_0 src1_sel:DWORD
	s_andn2_b64 s[4:5], s[4:5], exec
	s_and_b64 s[8:9], s[8:9], exec
	s_or_b64 s[4:5], s[4:5], s[8:9]
	s_or_b64 exec, exec, s[6:7]
	s_and_saveexec_b64 s[6:7], s[4:5]
	s_cbranch_execnz .LBB22_1135
	s_branch .LBB22_1136
.LBB22_3185:
	s_movk_i32 s4, 0x80
	v_cmp_eq_u16_e32 vcc, s4, v11
	s_mov_b64 s[4:5], -1
                                        ; implicit-def: $sgpr10
	s_and_saveexec_b64 s[8:9], vcc
; %bb.3186:
	s_mov_b32 s10, 0x7f800001
	s_xor_b64 s[4:5], exec, -1
; %bb.3187:
	s_or_b64 exec, exec, s[8:9]
	s_and_b64 s[4:5], s[4:5], exec
                                        ; implicit-def: $vgpr11
	s_or_saveexec_b64 s[6:7], s[6:7]
	v_mov_b32_e32 v10, s10
	s_xor_b64 exec, exec, s[6:7]
	s_cbranch_execz .LBB22_1138
.LBB22_3188:
	v_cmp_ne_u16_e32 vcc, 0, v11
	s_andn2_b64 s[4:5], s[4:5], exec
	s_and_b64 s[8:9], vcc, exec
	v_mov_b32_e32 v10, 0
	s_or_b64 s[4:5], s[4:5], s[8:9]
	s_or_b64 exec, exec, s[6:7]
	s_and_saveexec_b64 s[6:7], s[4:5]
	s_cbranch_execnz .LBB22_1139
	s_branch .LBB22_1140
.LBB22_3189:
	s_movk_i32 s4, 0x80
	v_cmp_eq_u16_e32 vcc, s4, v11
	s_mov_b64 s[4:5], -1
                                        ; implicit-def: $sgpr10
	s_and_saveexec_b64 s[8:9], vcc
; %bb.3190:
	s_mov_b32 s10, 0x7f800001
	s_xor_b64 s[4:5], exec, -1
; %bb.3191:
	s_or_b64 exec, exec, s[8:9]
	s_and_b64 s[4:5], s[4:5], exec
                                        ; implicit-def: $vgpr11
	s_or_saveexec_b64 s[6:7], s[6:7]
	v_mov_b32_e32 v12, s10
	s_xor_b64 exec, exec, s[6:7]
	s_cbranch_execz .LBB22_1142
.LBB22_3192:
	v_cmp_ne_u16_e32 vcc, 0, v11
	s_andn2_b64 s[4:5], s[4:5], exec
	s_and_b64 s[8:9], vcc, exec
	v_mov_b32_e32 v12, 0
	s_or_b64 s[4:5], s[4:5], s[8:9]
	s_or_b64 exec, exec, s[6:7]
	s_and_saveexec_b64 s[6:7], s[4:5]
	s_cbranch_execnz .LBB22_1143
	s_branch .LBB22_1144
.LBB22_3193:
	s_movk_i32 s4, 0x80
	v_cmp_eq_u16_sdwa s[12:13], v17, s4 src0_sel:BYTE_3 src1_sel:DWORD
	s_mov_b64 s[4:5], -1
                                        ; implicit-def: $sgpr10
	s_and_saveexec_b64 s[8:9], s[12:13]
; %bb.3194:
	s_mov_b32 s10, 0x7f800001
	s_xor_b64 s[4:5], exec, -1
; %bb.3195:
	s_or_b64 exec, exec, s[8:9]
	s_and_b64 s[4:5], s[4:5], exec
	s_or_saveexec_b64 s[6:7], s[6:7]
	v_mov_b32_e32 v10, s10
	s_xor_b64 exec, exec, s[6:7]
	s_cbranch_execz .LBB22_1146
.LBB22_3196:
	v_mov_b32_e32 v10, 0
	v_cmp_ne_u16_sdwa s[8:9], v17, v10 src0_sel:BYTE_3 src1_sel:DWORD
	s_andn2_b64 s[4:5], s[4:5], exec
	s_and_b64 s[8:9], s[8:9], exec
	s_or_b64 s[4:5], s[4:5], s[8:9]
	s_or_b64 exec, exec, s[6:7]
	s_and_saveexec_b64 s[6:7], s[4:5]
	s_cbranch_execnz .LBB22_1147
	s_branch .LBB22_1148
.LBB22_3197:
	s_movk_i32 s4, 0x80
	v_cmp_eq_u16_sdwa s[12:13], v13, s4 src0_sel:BYTE_3 src1_sel:DWORD
	s_mov_b64 s[4:5], -1
                                        ; implicit-def: $sgpr10
	s_and_saveexec_b64 s[8:9], s[12:13]
; %bb.3198:
	s_mov_b32 s10, 0x7f800001
	s_xor_b64 s[4:5], exec, -1
; %bb.3199:
	s_or_b64 exec, exec, s[8:9]
	s_and_b64 s[4:5], s[4:5], exec
	s_or_saveexec_b64 s[6:7], s[6:7]
	v_mov_b32_e32 v11, s10
	s_xor_b64 exec, exec, s[6:7]
	s_cbranch_execz .LBB22_1150
.LBB22_3200:
	v_mov_b32_e32 v11, 0
	v_cmp_ne_u16_sdwa s[8:9], v13, v11 src0_sel:BYTE_3 src1_sel:DWORD
	s_andn2_b64 s[4:5], s[4:5], exec
	s_and_b64 s[8:9], s[8:9], exec
	s_or_b64 s[4:5], s[4:5], s[8:9]
	s_or_b64 exec, exec, s[6:7]
	s_and_saveexec_b64 s[6:7], s[4:5]
	s_cbranch_execnz .LBB22_1151
	s_branch .LBB22_1152
.LBB22_3201:
	s_movk_i32 s4, 0x80
	v_cmp_eq_u16_sdwa s[12:13], v6, s4 src0_sel:BYTE_0 src1_sel:DWORD
	s_mov_b64 s[4:5], -1
                                        ; implicit-def: $sgpr10
	s_and_saveexec_b64 s[8:9], s[12:13]
; %bb.3202:
	s_mov_b32 s10, 0x7f800001
	s_xor_b64 s[4:5], exec, -1
; %bb.3203:
	s_or_b64 exec, exec, s[8:9]
	s_and_b64 s[4:5], s[4:5], exec
	s_or_saveexec_b64 s[6:7], s[6:7]
	v_mov_b32_e32 v10, s10
	s_xor_b64 exec, exec, s[6:7]
	s_cbranch_execz .LBB22_1154
.LBB22_3204:
	v_mov_b32_e32 v10, 0
	v_cmp_ne_u16_sdwa s[8:9], v6, v10 src0_sel:BYTE_0 src1_sel:DWORD
	s_andn2_b64 s[4:5], s[4:5], exec
	s_and_b64 s[8:9], s[8:9], exec
	s_or_b64 s[4:5], s[4:5], s[8:9]
	s_or_b64 exec, exec, s[6:7]
	s_and_saveexec_b64 s[6:7], s[4:5]
	s_cbranch_execnz .LBB22_1155
	s_branch .LBB22_1156
.LBB22_3205:
	s_movk_i32 s4, 0x80
	v_cmp_eq_u16_sdwa s[12:13], v2, s4 src0_sel:BYTE_0 src1_sel:DWORD
	s_mov_b64 s[4:5], -1
                                        ; implicit-def: $sgpr10
	s_and_saveexec_b64 s[8:9], s[12:13]
; %bb.3206:
	s_mov_b32 s10, 0x7f800001
	s_xor_b64 s[4:5], exec, -1
; %bb.3207:
	s_or_b64 exec, exec, s[8:9]
	s_and_b64 s[4:5], s[4:5], exec
	s_or_saveexec_b64 s[6:7], s[6:7]
	v_mov_b32_e32 v11, s10
	s_xor_b64 exec, exec, s[6:7]
	s_cbranch_execz .LBB22_1158
.LBB22_3208:
	v_mov_b32_e32 v11, 0
	v_cmp_ne_u16_sdwa s[8:9], v2, v11 src0_sel:BYTE_0 src1_sel:DWORD
	s_andn2_b64 s[4:5], s[4:5], exec
	s_and_b64 s[8:9], s[8:9], exec
	s_or_b64 s[4:5], s[4:5], s[8:9]
	s_or_b64 exec, exec, s[6:7]
	s_and_saveexec_b64 s[6:7], s[4:5]
	s_cbranch_execnz .LBB22_1159
	s_branch .LBB22_1160
.LBB22_3209:
	s_movk_i32 s4, 0x80
	v_cmp_eq_u16_sdwa s[12:13], v11, s4 src0_sel:BYTE_0 src1_sel:DWORD
	s_mov_b64 s[4:5], -1
                                        ; implicit-def: $sgpr10
	s_and_saveexec_b64 s[8:9], s[12:13]
; %bb.3210:
	s_mov_b32 s10, 0x7f800001
	s_xor_b64 s[4:5], exec, -1
; %bb.3211:
	s_or_b64 exec, exec, s[8:9]
	s_and_b64 s[4:5], s[4:5], exec
	s_or_saveexec_b64 s[6:7], s[6:7]
	v_mov_b32_e32 v10, s10
	s_xor_b64 exec, exec, s[6:7]
	s_cbranch_execz .LBB22_1162
.LBB22_3212:
	v_mov_b32_e32 v10, 0
	v_cmp_ne_u16_sdwa s[8:9], v11, v10 src0_sel:BYTE_0 src1_sel:DWORD
	s_andn2_b64 s[4:5], s[4:5], exec
	s_and_b64 s[8:9], s[8:9], exec
	s_or_b64 s[4:5], s[4:5], s[8:9]
	s_or_b64 exec, exec, s[6:7]
	s_and_saveexec_b64 s[6:7], s[4:5]
	s_cbranch_execnz .LBB22_1163
	s_branch .LBB22_1164
.LBB22_3213:
	s_movk_i32 s4, 0x80
	v_cmp_eq_u16_sdwa s[12:13], v11, s4 src0_sel:BYTE_0 src1_sel:DWORD
	s_mov_b64 s[4:5], -1
                                        ; implicit-def: $sgpr10
	s_and_saveexec_b64 s[8:9], s[12:13]
; %bb.3214:
	s_mov_b32 s10, 0x7f800001
	s_xor_b64 s[4:5], exec, -1
; %bb.3215:
	s_or_b64 exec, exec, s[8:9]
	s_and_b64 s[4:5], s[4:5], exec
	s_or_saveexec_b64 s[6:7], s[6:7]
	v_mov_b32_e32 v12, s10
	s_xor_b64 exec, exec, s[6:7]
	s_cbranch_execz .LBB22_1166
.LBB22_3216:
	v_mov_b32_e32 v12, 0
	v_cmp_ne_u16_sdwa s[8:9], v11, v12 src0_sel:BYTE_0 src1_sel:DWORD
	s_andn2_b64 s[4:5], s[4:5], exec
	s_and_b64 s[8:9], s[8:9], exec
	s_or_b64 s[4:5], s[4:5], s[8:9]
	s_or_b64 exec, exec, s[6:7]
	s_and_saveexec_b64 s[6:7], s[4:5]
	s_cbranch_execnz .LBB22_1167
	s_branch .LBB22_1168
.LBB22_3217:
	s_movk_i32 s4, 0x80
	v_cmp_eq_u16_e32 vcc, s4, v11
	s_mov_b64 s[4:5], -1
                                        ; implicit-def: $sgpr10
	s_and_saveexec_b64 s[8:9], vcc
; %bb.3218:
	s_mov_b32 s10, 0x7f800001
	s_xor_b64 s[4:5], exec, -1
; %bb.3219:
	s_or_b64 exec, exec, s[8:9]
	s_and_b64 s[4:5], s[4:5], exec
                                        ; implicit-def: $vgpr11
	s_or_saveexec_b64 s[6:7], s[6:7]
	v_mov_b32_e32 v10, s10
	s_xor_b64 exec, exec, s[6:7]
	s_cbranch_execz .LBB22_1170
.LBB22_3220:
	v_cmp_ne_u16_e32 vcc, 0, v11
	s_andn2_b64 s[4:5], s[4:5], exec
	s_and_b64 s[8:9], vcc, exec
	v_mov_b32_e32 v10, 0
	s_or_b64 s[4:5], s[4:5], s[8:9]
	s_or_b64 exec, exec, s[6:7]
	s_and_saveexec_b64 s[6:7], s[4:5]
	s_cbranch_execnz .LBB22_1171
	s_branch .LBB22_1172
.LBB22_3221:
	s_movk_i32 s4, 0x80
	v_cmp_eq_u16_e32 vcc, s4, v11
	s_mov_b64 s[4:5], -1
                                        ; implicit-def: $sgpr10
	s_and_saveexec_b64 s[8:9], vcc
; %bb.3222:
	s_mov_b32 s10, 0x7f800001
	s_xor_b64 s[4:5], exec, -1
; %bb.3223:
	s_or_b64 exec, exec, s[8:9]
	s_and_b64 s[4:5], s[4:5], exec
                                        ; implicit-def: $vgpr11
	s_or_saveexec_b64 s[6:7], s[6:7]
	v_mov_b32_e32 v12, s10
	s_xor_b64 exec, exec, s[6:7]
	s_cbranch_execz .LBB22_1174
.LBB22_3224:
	v_cmp_ne_u16_e32 vcc, 0, v11
	s_andn2_b64 s[4:5], s[4:5], exec
	s_and_b64 s[8:9], vcc, exec
	v_mov_b32_e32 v12, 0
	s_or_b64 s[4:5], s[4:5], s[8:9]
	s_or_b64 exec, exec, s[6:7]
	s_and_saveexec_b64 s[6:7], s[4:5]
	s_cbranch_execnz .LBB22_1175
	s_branch .LBB22_1176
.LBB22_3225:
	s_movk_i32 s4, 0x80
	v_cmp_eq_u16_sdwa s[12:13], v6, s4 src0_sel:BYTE_3 src1_sel:DWORD
	s_mov_b64 s[4:5], -1
                                        ; implicit-def: $sgpr10
	s_and_saveexec_b64 s[8:9], s[12:13]
; %bb.3226:
	s_mov_b32 s10, 0x7f800001
	s_xor_b64 s[4:5], exec, -1
; %bb.3227:
	s_or_b64 exec, exec, s[8:9]
	s_and_b64 s[4:5], s[4:5], exec
	s_or_saveexec_b64 s[6:7], s[6:7]
	v_mov_b32_e32 v10, s10
	s_xor_b64 exec, exec, s[6:7]
	s_cbranch_execz .LBB22_1178
.LBB22_3228:
	v_mov_b32_e32 v10, 0
	v_cmp_ne_u16_sdwa s[8:9], v6, v10 src0_sel:BYTE_3 src1_sel:DWORD
	s_andn2_b64 s[4:5], s[4:5], exec
	s_and_b64 s[8:9], s[8:9], exec
	s_or_b64 s[4:5], s[4:5], s[8:9]
	s_or_b64 exec, exec, s[6:7]
	s_and_saveexec_b64 s[6:7], s[4:5]
	s_cbranch_execnz .LBB22_1179
	s_branch .LBB22_1180
.LBB22_3229:
	s_movk_i32 s4, 0x80
	v_cmp_eq_u16_sdwa s[12:13], v2, s4 src0_sel:BYTE_3 src1_sel:DWORD
	s_mov_b64 s[4:5], -1
                                        ; implicit-def: $sgpr10
	s_and_saveexec_b64 s[8:9], s[12:13]
; %bb.3230:
	s_mov_b32 s10, 0x7f800001
	s_xor_b64 s[4:5], exec, -1
; %bb.3231:
	s_or_b64 exec, exec, s[8:9]
	s_and_b64 s[4:5], s[4:5], exec
	s_or_saveexec_b64 s[6:7], s[6:7]
	v_mov_b32_e32 v6, s10
	s_xor_b64 exec, exec, s[6:7]
	s_cbranch_execz .LBB22_1182
.LBB22_3232:
	v_mov_b32_e32 v6, 0
	v_cmp_ne_u16_sdwa s[8:9], v2, v6 src0_sel:BYTE_3 src1_sel:DWORD
	s_andn2_b64 s[4:5], s[4:5], exec
	s_and_b64 s[8:9], s[8:9], exec
	s_or_b64 s[4:5], s[4:5], s[8:9]
	s_or_b64 exec, exec, s[6:7]
	s_and_saveexec_b64 s[6:7], s[4:5]
	s_cbranch_execnz .LBB22_1183
	s_branch .LBB22_1184
.LBB22_3233:
	s_movk_i32 s4, 0x80
	v_cmp_eq_u16_sdwa s[12:13], v7, s4 src0_sel:BYTE_0 src1_sel:DWORD
	s_mov_b64 s[4:5], -1
                                        ; implicit-def: $sgpr10
	s_and_saveexec_b64 s[8:9], s[12:13]
; %bb.3234:
	s_mov_b32 s10, 0x7f800001
	s_xor_b64 s[4:5], exec, -1
; %bb.3235:
	s_or_b64 exec, exec, s[8:9]
	s_and_b64 s[4:5], s[4:5], exec
	s_or_saveexec_b64 s[6:7], s[6:7]
	v_mov_b32_e32 v2, s10
	s_xor_b64 exec, exec, s[6:7]
	s_cbranch_execz .LBB22_1186
.LBB22_3236:
	v_mov_b32_e32 v2, 0
	v_cmp_ne_u16_sdwa s[8:9], v7, v2 src0_sel:BYTE_0 src1_sel:DWORD
	s_andn2_b64 s[4:5], s[4:5], exec
	s_and_b64 s[8:9], s[8:9], exec
	s_or_b64 s[4:5], s[4:5], s[8:9]
	s_or_b64 exec, exec, s[6:7]
	s_and_saveexec_b64 s[6:7], s[4:5]
	s_cbranch_execnz .LBB22_1187
	s_branch .LBB22_1188
.LBB22_3237:
	s_movk_i32 s4, 0x80
	v_cmp_eq_u16_sdwa s[12:13], v3, s4 src0_sel:BYTE_0 src1_sel:DWORD
	s_mov_b64 s[4:5], -1
                                        ; implicit-def: $sgpr10
	s_and_saveexec_b64 s[8:9], s[12:13]
; %bb.3238:
	s_mov_b32 s10, 0x7f800001
	s_xor_b64 s[4:5], exec, -1
; %bb.3239:
	s_or_b64 exec, exec, s[8:9]
	s_and_b64 s[4:5], s[4:5], exec
	s_or_saveexec_b64 s[6:7], s[6:7]
	v_mov_b32_e32 v6, s10
	s_xor_b64 exec, exec, s[6:7]
	s_cbranch_execz .LBB22_1190
.LBB22_3240:
	v_mov_b32_e32 v6, 0
	v_cmp_ne_u16_sdwa s[8:9], v3, v6 src0_sel:BYTE_0 src1_sel:DWORD
	s_andn2_b64 s[4:5], s[4:5], exec
	s_and_b64 s[8:9], s[8:9], exec
	s_or_b64 s[4:5], s[4:5], s[8:9]
	s_or_b64 exec, exec, s[6:7]
	s_and_saveexec_b64 s[6:7], s[4:5]
	s_cbranch_execnz .LBB22_1191
	s_branch .LBB22_1192
.LBB22_3241:
	s_movk_i32 s4, 0x80
	v_cmp_eq_u16_sdwa s[12:13], v6, s4 src0_sel:BYTE_0 src1_sel:DWORD
	s_mov_b64 s[4:5], -1
                                        ; implicit-def: $sgpr10
	s_and_saveexec_b64 s[8:9], s[12:13]
; %bb.3242:
	s_mov_b32 s10, 0x7f800001
	s_xor_b64 s[4:5], exec, -1
; %bb.3243:
	s_or_b64 exec, exec, s[8:9]
	s_and_b64 s[4:5], s[4:5], exec
	s_or_saveexec_b64 s[6:7], s[6:7]
	v_mov_b32_e32 v2, s10
	s_xor_b64 exec, exec, s[6:7]
	s_cbranch_execz .LBB22_1194
.LBB22_3244:
	v_mov_b32_e32 v2, 0
	v_cmp_ne_u16_sdwa s[8:9], v6, v2 src0_sel:BYTE_0 src1_sel:DWORD
	s_andn2_b64 s[4:5], s[4:5], exec
	s_and_b64 s[8:9], s[8:9], exec
	s_or_b64 s[4:5], s[4:5], s[8:9]
	s_or_b64 exec, exec, s[6:7]
	s_and_saveexec_b64 s[6:7], s[4:5]
	s_cbranch_execnz .LBB22_1195
	s_branch .LBB22_1196
.LBB22_3245:
	s_movk_i32 s4, 0x80
	v_cmp_eq_u16_sdwa s[12:13], v6, s4 src0_sel:BYTE_0 src1_sel:DWORD
	s_mov_b64 s[4:5], -1
                                        ; implicit-def: $sgpr10
	s_and_saveexec_b64 s[8:9], s[12:13]
; %bb.3246:
	s_mov_b32 s10, 0x7f800001
	s_xor_b64 s[4:5], exec, -1
; %bb.3247:
	s_or_b64 exec, exec, s[8:9]
	s_and_b64 s[4:5], s[4:5], exec
	s_or_saveexec_b64 s[6:7], s[6:7]
	v_mov_b32_e32 v10, s10
	s_xor_b64 exec, exec, s[6:7]
	s_cbranch_execz .LBB22_1198
.LBB22_3248:
	v_mov_b32_e32 v10, 0
	v_cmp_ne_u16_sdwa s[8:9], v6, v10 src0_sel:BYTE_0 src1_sel:DWORD
	s_andn2_b64 s[4:5], s[4:5], exec
	s_and_b64 s[8:9], s[8:9], exec
	s_or_b64 s[4:5], s[4:5], s[8:9]
	s_or_b64 exec, exec, s[6:7]
	s_and_saveexec_b64 s[6:7], s[4:5]
	s_cbranch_execnz .LBB22_1199
	s_branch .LBB22_1200
.LBB22_3249:
	s_movk_i32 s4, 0x80
	v_cmp_eq_u16_e32 vcc, s4, v6
	s_mov_b64 s[4:5], -1
                                        ; implicit-def: $sgpr10
	s_and_saveexec_b64 s[8:9], vcc
; %bb.3250:
	s_mov_b32 s10, 0x7f800001
	s_xor_b64 s[4:5], exec, -1
; %bb.3251:
	s_or_b64 exec, exec, s[8:9]
	s_and_b64 s[4:5], s[4:5], exec
                                        ; implicit-def: $vgpr6
	s_or_saveexec_b64 s[6:7], s[6:7]
	v_mov_b32_e32 v2, s10
	s_xor_b64 exec, exec, s[6:7]
	s_cbranch_execz .LBB22_1202
.LBB22_3252:
	v_cmp_ne_u16_e32 vcc, 0, v6
	s_andn2_b64 s[4:5], s[4:5], exec
	s_and_b64 s[8:9], vcc, exec
	v_mov_b32_e32 v2, 0
	s_or_b64 s[4:5], s[4:5], s[8:9]
	s_or_b64 exec, exec, s[6:7]
	s_and_saveexec_b64 s[6:7], s[4:5]
	s_cbranch_execnz .LBB22_1203
	s_branch .LBB22_1204
.LBB22_3253:
	s_movk_i32 s4, 0x80
	v_cmp_eq_u16_e32 vcc, s4, v6
	s_mov_b64 s[4:5], -1
                                        ; implicit-def: $sgpr10
	s_and_saveexec_b64 s[8:9], vcc
; %bb.3254:
	s_mov_b32 s10, 0x7f800001
	s_xor_b64 s[4:5], exec, -1
; %bb.3255:
	s_or_b64 exec, exec, s[8:9]
	s_and_b64 s[4:5], s[4:5], exec
                                        ; implicit-def: $vgpr6
	s_or_saveexec_b64 s[6:7], s[6:7]
	v_mov_b32_e32 v10, s10
	s_xor_b64 exec, exec, s[6:7]
	s_cbranch_execz .LBB22_1206
.LBB22_3256:
	v_cmp_ne_u16_e32 vcc, 0, v6
	s_andn2_b64 s[4:5], s[4:5], exec
	s_and_b64 s[8:9], vcc, exec
	v_mov_b32_e32 v10, 0
	s_or_b64 s[4:5], s[4:5], s[8:9]
	s_or_b64 exec, exec, s[6:7]
	s_and_saveexec_b64 s[6:7], s[4:5]
	s_cbranch_execnz .LBB22_1207
	s_branch .LBB22_1208
.LBB22_3257:
	s_movk_i32 s4, 0x80
	v_cmp_eq_u16_sdwa s[12:13], v7, s4 src0_sel:BYTE_3 src1_sel:DWORD
	s_mov_b64 s[4:5], -1
                                        ; implicit-def: $sgpr10
	s_and_saveexec_b64 s[8:9], s[12:13]
; %bb.3258:
	s_mov_b32 s10, 0x7f800001
	s_xor_b64 s[4:5], exec, -1
; %bb.3259:
	s_or_b64 exec, exec, s[8:9]
	s_and_b64 s[4:5], s[4:5], exec
	s_or_saveexec_b64 s[6:7], s[6:7]
	v_mov_b32_e32 v2, s10
	s_xor_b64 exec, exec, s[6:7]
	s_cbranch_execz .LBB22_1210
.LBB22_3260:
	v_mov_b32_e32 v2, 0
	v_cmp_ne_u16_sdwa s[8:9], v7, v2 src0_sel:BYTE_3 src1_sel:DWORD
	s_andn2_b64 s[4:5], s[4:5], exec
	s_and_b64 s[8:9], s[8:9], exec
	s_or_b64 s[4:5], s[4:5], s[8:9]
	s_or_b64 exec, exec, s[6:7]
	s_and_saveexec_b64 s[6:7], s[4:5]
	s_cbranch_execnz .LBB22_1211
	s_branch .LBB22_1212
.LBB22_3261:
	s_movk_i32 s4, 0x80
	v_cmp_eq_u16_sdwa s[12:13], v3, s4 src0_sel:BYTE_3 src1_sel:DWORD
	s_mov_b64 s[4:5], -1
                                        ; implicit-def: $sgpr10
	s_and_saveexec_b64 s[8:9], s[12:13]
; %bb.3262:
	s_mov_b32 s10, 0x7f800001
	s_xor_b64 s[4:5], exec, -1
; %bb.3263:
	s_or_b64 exec, exec, s[8:9]
	s_and_b64 s[4:5], s[4:5], exec
	s_or_saveexec_b64 s[6:7], s[6:7]
	v_mov_b32_e32 v6, s10
	s_xor_b64 exec, exec, s[6:7]
	s_cbranch_execz .LBB22_1214
.LBB22_3264:
	v_mov_b32_e32 v6, 0
	v_cmp_ne_u16_sdwa s[8:9], v3, v6 src0_sel:BYTE_3 src1_sel:DWORD
	s_andn2_b64 s[4:5], s[4:5], exec
	s_and_b64 s[8:9], s[8:9], exec
	s_or_b64 s[4:5], s[4:5], s[8:9]
	s_or_b64 exec, exec, s[6:7]
	s_and_saveexec_b64 s[6:7], s[4:5]
	s_cbranch_execnz .LBB22_1215
	s_branch .LBB22_1216
.LBB22_3265:
	s_movk_i32 s4, 0x80
	v_cmp_eq_u16_sdwa s[12:13], v8, s4 src0_sel:BYTE_0 src1_sel:DWORD
	s_mov_b64 s[4:5], -1
                                        ; implicit-def: $sgpr10
	s_and_saveexec_b64 s[8:9], s[12:13]
; %bb.3266:
	s_mov_b32 s10, 0x7f800001
	s_xor_b64 s[4:5], exec, -1
; %bb.3267:
	s_or_b64 exec, exec, s[8:9]
	s_and_b64 s[4:5], s[4:5], exec
	s_or_saveexec_b64 s[6:7], s[6:7]
	v_mov_b32_e32 v2, s10
	s_xor_b64 exec, exec, s[6:7]
	s_cbranch_execz .LBB22_1218
.LBB22_3268:
	v_mov_b32_e32 v2, 0
	v_cmp_ne_u16_sdwa s[8:9], v8, v2 src0_sel:BYTE_0 src1_sel:DWORD
	s_andn2_b64 s[4:5], s[4:5], exec
	s_and_b64 s[8:9], s[8:9], exec
	s_or_b64 s[4:5], s[4:5], s[8:9]
	s_or_b64 exec, exec, s[6:7]
	s_and_saveexec_b64 s[6:7], s[4:5]
	s_cbranch_execnz .LBB22_1219
	s_branch .LBB22_1220
.LBB22_3269:
	s_movk_i32 s4, 0x80
	v_cmp_eq_u16_sdwa s[12:13], v4, s4 src0_sel:BYTE_0 src1_sel:DWORD
	s_mov_b64 s[4:5], -1
                                        ; implicit-def: $sgpr10
	s_and_saveexec_b64 s[8:9], s[12:13]
; %bb.3270:
	s_mov_b32 s10, 0x7f800001
	s_xor_b64 s[4:5], exec, -1
; %bb.3271:
	s_or_b64 exec, exec, s[8:9]
	s_and_b64 s[4:5], s[4:5], exec
	s_or_saveexec_b64 s[6:7], s[6:7]
	v_mov_b32_e32 v3, s10
	s_xor_b64 exec, exec, s[6:7]
	s_cbranch_execz .LBB22_1222
.LBB22_3272:
	v_mov_b32_e32 v3, 0
	v_cmp_ne_u16_sdwa s[8:9], v4, v3 src0_sel:BYTE_0 src1_sel:DWORD
	s_andn2_b64 s[4:5], s[4:5], exec
	s_and_b64 s[8:9], s[8:9], exec
	s_or_b64 s[4:5], s[4:5], s[8:9]
	s_or_b64 exec, exec, s[6:7]
	s_and_saveexec_b64 s[6:7], s[4:5]
	s_cbranch_execnz .LBB22_1223
	s_branch .LBB22_1224
.LBB22_3273:
	s_movk_i32 s4, 0x80
	v_cmp_eq_u16_sdwa s[12:13], v3, s4 src0_sel:BYTE_0 src1_sel:DWORD
	s_mov_b64 s[4:5], -1
                                        ; implicit-def: $sgpr10
	s_and_saveexec_b64 s[8:9], s[12:13]
; %bb.3274:
	s_mov_b32 s10, 0x7f800001
	s_xor_b64 s[4:5], exec, -1
; %bb.3275:
	s_or_b64 exec, exec, s[8:9]
	s_and_b64 s[4:5], s[4:5], exec
	s_or_saveexec_b64 s[6:7], s[6:7]
	v_mov_b32_e32 v2, s10
	s_xor_b64 exec, exec, s[6:7]
	s_cbranch_execz .LBB22_1226
.LBB22_3276:
	v_mov_b32_e32 v2, 0
	v_cmp_ne_u16_sdwa s[8:9], v3, v2 src0_sel:BYTE_0 src1_sel:DWORD
	s_andn2_b64 s[4:5], s[4:5], exec
	s_and_b64 s[8:9], s[8:9], exec
	s_or_b64 s[4:5], s[4:5], s[8:9]
	s_or_b64 exec, exec, s[6:7]
	s_and_saveexec_b64 s[6:7], s[4:5]
	s_cbranch_execnz .LBB22_1227
	s_branch .LBB22_1228
.LBB22_3277:
	s_movk_i32 s4, 0x80
	v_cmp_eq_u16_sdwa s[12:13], v3, s4 src0_sel:BYTE_0 src1_sel:DWORD
	s_mov_b64 s[4:5], -1
                                        ; implicit-def: $sgpr10
	s_and_saveexec_b64 s[8:9], s[12:13]
; %bb.3278:
	s_mov_b32 s10, 0x7f800001
	s_xor_b64 s[4:5], exec, -1
; %bb.3279:
	s_or_b64 exec, exec, s[8:9]
	s_and_b64 s[4:5], s[4:5], exec
	s_or_saveexec_b64 s[6:7], s[6:7]
	v_mov_b32_e32 v6, s10
	s_xor_b64 exec, exec, s[6:7]
	s_cbranch_execz .LBB22_1230
.LBB22_3280:
	v_mov_b32_e32 v6, 0
	v_cmp_ne_u16_sdwa s[8:9], v3, v6 src0_sel:BYTE_0 src1_sel:DWORD
	s_andn2_b64 s[4:5], s[4:5], exec
	s_and_b64 s[8:9], s[8:9], exec
	s_or_b64 s[4:5], s[4:5], s[8:9]
	s_or_b64 exec, exec, s[6:7]
	s_and_saveexec_b64 s[6:7], s[4:5]
	s_cbranch_execnz .LBB22_1231
	s_branch .LBB22_1232
.LBB22_3281:
	s_movk_i32 s4, 0x80
	v_cmp_eq_u16_e32 vcc, s4, v3
	s_mov_b64 s[4:5], -1
                                        ; implicit-def: $sgpr10
	s_and_saveexec_b64 s[8:9], vcc
; %bb.3282:
	s_mov_b32 s10, 0x7f800001
	s_xor_b64 s[4:5], exec, -1
; %bb.3283:
	s_or_b64 exec, exec, s[8:9]
	s_and_b64 s[4:5], s[4:5], exec
                                        ; implicit-def: $vgpr3
	s_or_saveexec_b64 s[6:7], s[6:7]
	v_mov_b32_e32 v2, s10
	s_xor_b64 exec, exec, s[6:7]
	s_cbranch_execz .LBB22_1234
.LBB22_3284:
	v_cmp_ne_u16_e32 vcc, 0, v3
	s_andn2_b64 s[4:5], s[4:5], exec
	s_and_b64 s[8:9], vcc, exec
	v_mov_b32_e32 v2, 0
	s_or_b64 s[4:5], s[4:5], s[8:9]
	s_or_b64 exec, exec, s[6:7]
	s_and_saveexec_b64 s[6:7], s[4:5]
	s_cbranch_execnz .LBB22_1235
	s_branch .LBB22_1236
.LBB22_3285:
	s_movk_i32 s4, 0x80
	v_cmp_eq_u16_e32 vcc, s4, v3
	s_mov_b64 s[4:5], -1
                                        ; implicit-def: $sgpr10
	s_and_saveexec_b64 s[8:9], vcc
; %bb.3286:
	s_mov_b32 s10, 0x7f800001
	s_xor_b64 s[4:5], exec, -1
; %bb.3287:
	s_or_b64 exec, exec, s[8:9]
	s_and_b64 s[4:5], s[4:5], exec
                                        ; implicit-def: $vgpr3
	s_or_saveexec_b64 s[6:7], s[6:7]
	v_mov_b32_e32 v6, s10
	s_xor_b64 exec, exec, s[6:7]
	s_cbranch_execz .LBB22_1238
.LBB22_3288:
	v_cmp_ne_u16_e32 vcc, 0, v3
	s_andn2_b64 s[4:5], s[4:5], exec
	s_and_b64 s[8:9], vcc, exec
	v_mov_b32_e32 v6, 0
	s_or_b64 s[4:5], s[4:5], s[8:9]
	s_or_b64 exec, exec, s[6:7]
	s_and_saveexec_b64 s[6:7], s[4:5]
	s_cbranch_execnz .LBB22_1239
	s_branch .LBB22_1240
.LBB22_3289:
	s_movk_i32 s4, 0x80
	v_cmp_eq_u16_sdwa s[12:13], v8, s4 src0_sel:BYTE_3 src1_sel:DWORD
	s_mov_b64 s[4:5], -1
                                        ; implicit-def: $sgpr10
	s_and_saveexec_b64 s[8:9], s[12:13]
; %bb.3290:
	s_mov_b32 s10, 0x7f800001
	s_xor_b64 s[4:5], exec, -1
; %bb.3291:
	s_or_b64 exec, exec, s[8:9]
	s_and_b64 s[4:5], s[4:5], exec
	s_or_saveexec_b64 s[6:7], s[6:7]
	v_mov_b32_e32 v2, s10
	s_xor_b64 exec, exec, s[6:7]
	s_cbranch_execz .LBB22_1242
.LBB22_3292:
	v_mov_b32_e32 v2, 0
	v_cmp_ne_u16_sdwa s[8:9], v8, v2 src0_sel:BYTE_3 src1_sel:DWORD
	s_andn2_b64 s[4:5], s[4:5], exec
	s_and_b64 s[8:9], s[8:9], exec
	s_or_b64 s[4:5], s[4:5], s[8:9]
	s_or_b64 exec, exec, s[6:7]
	s_and_saveexec_b64 s[6:7], s[4:5]
	s_cbranch_execnz .LBB22_1243
	s_branch .LBB22_1244
.LBB22_3293:
	s_movk_i32 s4, 0x80
	v_cmp_eq_u16_sdwa s[12:13], v4, s4 src0_sel:BYTE_3 src1_sel:DWORD
	s_mov_b64 s[4:5], -1
                                        ; implicit-def: $sgpr10
	s_and_saveexec_b64 s[8:9], s[12:13]
; %bb.3294:
	s_mov_b32 s10, 0x7f800001
	s_xor_b64 s[4:5], exec, -1
; %bb.3295:
	s_or_b64 exec, exec, s[8:9]
	s_and_b64 s[4:5], s[4:5], exec
	s_or_saveexec_b64 s[6:7], s[6:7]
	v_mov_b32_e32 v3, s10
	s_xor_b64 exec, exec, s[6:7]
	s_cbranch_execz .LBB22_1246
.LBB22_3296:
	v_mov_b32_e32 v3, 0
	v_cmp_ne_u16_sdwa s[8:9], v4, v3 src0_sel:BYTE_3 src1_sel:DWORD
	s_andn2_b64 s[4:5], s[4:5], exec
	s_and_b64 s[8:9], s[8:9], exec
	s_or_b64 s[4:5], s[4:5], s[8:9]
	s_or_b64 exec, exec, s[6:7]
	s_and_saveexec_b64 s[6:7], s[4:5]
	s_cbranch_execnz .LBB22_1247
	s_branch .LBB22_1248
.LBB22_3297:
	s_movk_i32 s4, 0x80
	v_cmp_eq_u16_sdwa s[12:13], v9, s4 src0_sel:BYTE_0 src1_sel:DWORD
	s_mov_b64 s[4:5], -1
                                        ; implicit-def: $sgpr10
	s_and_saveexec_b64 s[8:9], s[12:13]
; %bb.3298:
	s_mov_b32 s10, 0x7f800001
	s_xor_b64 s[4:5], exec, -1
; %bb.3299:
	s_or_b64 exec, exec, s[8:9]
	s_and_b64 s[4:5], s[4:5], exec
	s_or_saveexec_b64 s[6:7], s[6:7]
	v_mov_b32_e32 v2, s10
	s_xor_b64 exec, exec, s[6:7]
	s_cbranch_execz .LBB22_1250
.LBB22_3300:
	v_mov_b32_e32 v2, 0
	v_cmp_ne_u16_sdwa s[8:9], v9, v2 src0_sel:BYTE_0 src1_sel:DWORD
	s_andn2_b64 s[4:5], s[4:5], exec
	s_and_b64 s[8:9], s[8:9], exec
	s_or_b64 s[4:5], s[4:5], s[8:9]
	s_or_b64 exec, exec, s[6:7]
	s_and_saveexec_b64 s[6:7], s[4:5]
	s_cbranch_execnz .LBB22_1251
	s_branch .LBB22_1252
.LBB22_3301:
	s_movk_i32 s4, 0x80
	v_cmp_eq_u16_sdwa s[12:13], v5, s4 src0_sel:BYTE_0 src1_sel:DWORD
	s_mov_b64 s[4:5], -1
                                        ; implicit-def: $sgpr10
	s_and_saveexec_b64 s[8:9], s[12:13]
; %bb.3302:
	s_mov_b32 s10, 0x7f800001
	s_xor_b64 s[4:5], exec, -1
; %bb.3303:
	s_or_b64 exec, exec, s[8:9]
	s_and_b64 s[4:5], s[4:5], exec
	s_or_saveexec_b64 s[6:7], s[6:7]
	v_mov_b32_e32 v3, s10
	s_xor_b64 exec, exec, s[6:7]
	s_cbranch_execz .LBB22_1254
.LBB22_3304:
	v_mov_b32_e32 v3, 0
	v_cmp_ne_u16_sdwa s[8:9], v5, v3 src0_sel:BYTE_0 src1_sel:DWORD
	s_andn2_b64 s[4:5], s[4:5], exec
	s_and_b64 s[8:9], s[8:9], exec
	s_or_b64 s[4:5], s[4:5], s[8:9]
	s_or_b64 exec, exec, s[6:7]
	s_and_saveexec_b64 s[6:7], s[4:5]
	s_cbranch_execnz .LBB22_1255
	s_branch .LBB22_1256
.LBB22_3305:
	s_movk_i32 s4, 0x80
	v_cmp_eq_u16_sdwa s[12:13], v3, s4 src0_sel:BYTE_0 src1_sel:DWORD
	s_mov_b64 s[4:5], -1
                                        ; implicit-def: $sgpr10
	s_and_saveexec_b64 s[8:9], s[12:13]
; %bb.3306:
	s_mov_b32 s10, 0x7f800001
	s_xor_b64 s[4:5], exec, -1
; %bb.3307:
	s_or_b64 exec, exec, s[8:9]
	s_and_b64 s[4:5], s[4:5], exec
	s_or_saveexec_b64 s[6:7], s[6:7]
	v_mov_b32_e32 v2, s10
	s_xor_b64 exec, exec, s[6:7]
	s_cbranch_execz .LBB22_1258
.LBB22_3308:
	v_mov_b32_e32 v2, 0
	v_cmp_ne_u16_sdwa s[8:9], v3, v2 src0_sel:BYTE_0 src1_sel:DWORD
	s_andn2_b64 s[4:5], s[4:5], exec
	s_and_b64 s[8:9], s[8:9], exec
	s_or_b64 s[4:5], s[4:5], s[8:9]
	s_or_b64 exec, exec, s[6:7]
	s_and_saveexec_b64 s[6:7], s[4:5]
	s_cbranch_execnz .LBB22_1259
	s_branch .LBB22_1260
.LBB22_3309:
	s_movk_i32 s4, 0x80
	v_cmp_eq_u16_sdwa s[12:13], v3, s4 src0_sel:BYTE_0 src1_sel:DWORD
	s_mov_b64 s[4:5], -1
                                        ; implicit-def: $sgpr10
	s_and_saveexec_b64 s[8:9], s[12:13]
; %bb.3310:
	s_mov_b32 s10, 0x7f800001
	s_xor_b64 s[4:5], exec, -1
; %bb.3311:
	s_or_b64 exec, exec, s[8:9]
	s_and_b64 s[4:5], s[4:5], exec
	s_or_saveexec_b64 s[6:7], s[6:7]
	v_mov_b32_e32 v4, s10
	s_xor_b64 exec, exec, s[6:7]
	s_cbranch_execz .LBB22_1262
.LBB22_3312:
	v_mov_b32_e32 v4, 0
	v_cmp_ne_u16_sdwa s[8:9], v3, v4 src0_sel:BYTE_0 src1_sel:DWORD
	s_andn2_b64 s[4:5], s[4:5], exec
	s_and_b64 s[8:9], s[8:9], exec
	s_or_b64 s[4:5], s[4:5], s[8:9]
	s_or_b64 exec, exec, s[6:7]
	s_and_saveexec_b64 s[6:7], s[4:5]
	s_cbranch_execnz .LBB22_1263
	s_branch .LBB22_1264
.LBB22_3313:
	s_movk_i32 s4, 0x80
	v_cmp_eq_u16_e32 vcc, s4, v3
	s_mov_b64 s[4:5], -1
                                        ; implicit-def: $sgpr10
	s_and_saveexec_b64 s[8:9], vcc
; %bb.3314:
	s_mov_b32 s10, 0x7f800001
	s_xor_b64 s[4:5], exec, -1
; %bb.3315:
	s_or_b64 exec, exec, s[8:9]
	s_and_b64 s[4:5], s[4:5], exec
                                        ; implicit-def: $vgpr3
	s_or_saveexec_b64 s[6:7], s[6:7]
	v_mov_b32_e32 v2, s10
	s_xor_b64 exec, exec, s[6:7]
	s_cbranch_execz .LBB22_1266
.LBB22_3316:
	v_cmp_ne_u16_e32 vcc, 0, v3
	s_andn2_b64 s[4:5], s[4:5], exec
	s_and_b64 s[8:9], vcc, exec
	v_mov_b32_e32 v2, 0
	s_or_b64 s[4:5], s[4:5], s[8:9]
	s_or_b64 exec, exec, s[6:7]
	s_and_saveexec_b64 s[6:7], s[4:5]
	s_cbranch_execnz .LBB22_1267
	s_branch .LBB22_1268
.LBB22_3317:
	s_movk_i32 s4, 0x80
	v_cmp_eq_u16_e32 vcc, s4, v3
	s_mov_b64 s[4:5], -1
                                        ; implicit-def: $sgpr10
	s_and_saveexec_b64 s[8:9], vcc
; %bb.3318:
	s_mov_b32 s10, 0x7f800001
	s_xor_b64 s[4:5], exec, -1
; %bb.3319:
	s_or_b64 exec, exec, s[8:9]
	s_and_b64 s[4:5], s[4:5], exec
                                        ; implicit-def: $vgpr3
	s_or_saveexec_b64 s[6:7], s[6:7]
	v_mov_b32_e32 v4, s10
	s_xor_b64 exec, exec, s[6:7]
	s_cbranch_execz .LBB22_1270
.LBB22_3320:
	v_cmp_ne_u16_e32 vcc, 0, v3
	s_andn2_b64 s[4:5], s[4:5], exec
	s_and_b64 s[8:9], vcc, exec
	v_mov_b32_e32 v4, 0
	s_or_b64 s[4:5], s[4:5], s[8:9]
	s_or_b64 exec, exec, s[6:7]
	s_and_saveexec_b64 s[6:7], s[4:5]
	s_cbranch_execnz .LBB22_1271
	s_branch .LBB22_1272
.LBB22_3321:
	s_movk_i32 s4, 0x80
	v_cmp_eq_u16_sdwa s[12:13], v9, s4 src0_sel:BYTE_3 src1_sel:DWORD
	s_mov_b64 s[4:5], -1
                                        ; implicit-def: $sgpr10
	s_and_saveexec_b64 s[8:9], s[12:13]
; %bb.3322:
	s_mov_b32 s10, 0x7f800001
	s_xor_b64 s[4:5], exec, -1
; %bb.3323:
	s_or_b64 exec, exec, s[8:9]
	s_and_b64 s[4:5], s[4:5], exec
	s_or_saveexec_b64 s[6:7], s[6:7]
	v_mov_b32_e32 v2, s10
	s_xor_b64 exec, exec, s[6:7]
	s_cbranch_execz .LBB22_1274
.LBB22_3324:
	v_mov_b32_e32 v2, 0
	v_cmp_ne_u16_sdwa s[8:9], v9, v2 src0_sel:BYTE_3 src1_sel:DWORD
	s_andn2_b64 s[4:5], s[4:5], exec
	s_and_b64 s[8:9], s[8:9], exec
	s_or_b64 s[4:5], s[4:5], s[8:9]
	s_or_b64 exec, exec, s[6:7]
	s_and_saveexec_b64 s[6:7], s[4:5]
	s_cbranch_execnz .LBB22_1275
	s_branch .LBB22_1276
.LBB22_3325:
	s_movk_i32 s4, 0x80
	v_cmp_eq_u16_sdwa s[12:13], v5, s4 src0_sel:BYTE_3 src1_sel:DWORD
	s_mov_b64 s[4:5], -1
                                        ; implicit-def: $sgpr10
	s_and_saveexec_b64 s[8:9], s[12:13]
; %bb.3326:
	s_mov_b32 s10, 0x7f800001
	s_xor_b64 s[4:5], exec, -1
; %bb.3327:
	s_or_b64 exec, exec, s[8:9]
	s_and_b64 s[4:5], s[4:5], exec
	s_or_saveexec_b64 s[6:7], s[6:7]
	v_mov_b32_e32 v3, s10
	s_xor_b64 exec, exec, s[6:7]
	s_cbranch_execz .LBB22_1278
.LBB22_3328:
	v_mov_b32_e32 v3, 0
	v_cmp_ne_u16_sdwa s[8:9], v5, v3 src0_sel:BYTE_3 src1_sel:DWORD
	s_andn2_b64 s[4:5], s[4:5], exec
	s_and_b64 s[8:9], s[8:9], exec
	s_or_b64 s[4:5], s[4:5], s[8:9]
	s_or_b64 exec, exec, s[6:7]
	s_and_saveexec_b64 s[6:7], s[4:5]
	s_cbranch_execnz .LBB22_1279
	s_branch .LBB22_1280
.LBB22_3329:
	s_movk_i32 s4, 0x80
	v_cmp_eq_u16_sdwa s[12:13], v14, s4 src0_sel:BYTE_0 src1_sel:DWORD
	s_mov_b64 s[4:5], -1
                                        ; implicit-def: $sgpr10
	s_and_saveexec_b64 s[8:9], s[12:13]
; %bb.3330:
	s_mov_b32 s10, 0x7f800001
	s_xor_b64 s[4:5], exec, -1
; %bb.3331:
	s_or_b64 exec, exec, s[8:9]
	s_and_b64 s[4:5], s[4:5], exec
	s_or_saveexec_b64 s[6:7], s[6:7]
	v_mov_b32_e32 v20, s10
	s_xor_b64 exec, exec, s[6:7]
	s_cbranch_execz .LBB22_1282
.LBB22_3332:
	v_mov_b32_e32 v20, 0
	v_cmp_ne_u16_sdwa s[8:9], v14, v20 src0_sel:BYTE_0 src1_sel:DWORD
	s_andn2_b64 s[4:5], s[4:5], exec
	s_and_b64 s[8:9], s[8:9], exec
	s_or_b64 s[4:5], s[4:5], s[8:9]
	s_or_b64 exec, exec, s[6:7]
	s_and_saveexec_b64 s[6:7], s[4:5]
	s_cbranch_execnz .LBB22_1283
	s_branch .LBB22_1284
.LBB22_3333:
	s_movk_i32 s4, 0x80
	v_cmp_eq_u16_sdwa s[12:13], v10, s4 src0_sel:BYTE_0 src1_sel:DWORD
	s_mov_b64 s[4:5], -1
                                        ; implicit-def: $sgpr10
	s_and_saveexec_b64 s[8:9], s[12:13]
; %bb.3334:
	s_mov_b32 s10, 0x7f800001
	s_xor_b64 s[4:5], exec, -1
; %bb.3335:
	s_or_b64 exec, exec, s[8:9]
	s_and_b64 s[4:5], s[4:5], exec
	s_or_saveexec_b64 s[6:7], s[6:7]
	v_mov_b32_e32 v21, s10
	s_xor_b64 exec, exec, s[6:7]
	s_cbranch_execz .LBB22_1286
.LBB22_3336:
	v_mov_b32_e32 v21, 0
	v_cmp_ne_u16_sdwa s[8:9], v10, v21 src0_sel:BYTE_0 src1_sel:DWORD
	s_andn2_b64 s[4:5], s[4:5], exec
	s_and_b64 s[8:9], s[8:9], exec
	s_or_b64 s[4:5], s[4:5], s[8:9]
	s_or_b64 exec, exec, s[6:7]
	s_and_saveexec_b64 s[6:7], s[4:5]
	s_cbranch_execnz .LBB22_1287
	s_branch .LBB22_1288
.LBB22_3337:
	s_movk_i32 s4, 0x80
	v_cmp_eq_u16_sdwa s[12:13], v21, s4 src0_sel:BYTE_0 src1_sel:DWORD
	s_mov_b64 s[4:5], -1
                                        ; implicit-def: $sgpr10
	s_and_saveexec_b64 s[8:9], s[12:13]
; %bb.3338:
	s_mov_b32 s10, 0x7f800001
	s_xor_b64 s[4:5], exec, -1
; %bb.3339:
	s_or_b64 exec, exec, s[8:9]
	s_and_b64 s[4:5], s[4:5], exec
	s_or_saveexec_b64 s[6:7], s[6:7]
	v_mov_b32_e32 v20, s10
	s_xor_b64 exec, exec, s[6:7]
	s_cbranch_execz .LBB22_1290
.LBB22_3340:
	v_mov_b32_e32 v20, 0
	v_cmp_ne_u16_sdwa s[8:9], v21, v20 src0_sel:BYTE_0 src1_sel:DWORD
	s_andn2_b64 s[4:5], s[4:5], exec
	s_and_b64 s[8:9], s[8:9], exec
	s_or_b64 s[4:5], s[4:5], s[8:9]
	s_or_b64 exec, exec, s[6:7]
	s_and_saveexec_b64 s[6:7], s[4:5]
	s_cbranch_execnz .LBB22_1291
	s_branch .LBB22_1292
.LBB22_3341:
	s_movk_i32 s4, 0x80
	v_cmp_eq_u16_sdwa s[12:13], v21, s4 src0_sel:BYTE_0 src1_sel:DWORD
	s_mov_b64 s[4:5], -1
                                        ; implicit-def: $sgpr10
	s_and_saveexec_b64 s[8:9], s[12:13]
; %bb.3342:
	s_mov_b32 s10, 0x7f800001
	s_xor_b64 s[4:5], exec, -1
; %bb.3343:
	s_or_b64 exec, exec, s[8:9]
	s_and_b64 s[4:5], s[4:5], exec
	s_or_saveexec_b64 s[6:7], s[6:7]
	v_mov_b32_e32 v22, s10
	s_xor_b64 exec, exec, s[6:7]
	s_cbranch_execz .LBB22_1294
.LBB22_3344:
	v_mov_b32_e32 v22, 0
	v_cmp_ne_u16_sdwa s[8:9], v21, v22 src0_sel:BYTE_0 src1_sel:DWORD
	s_andn2_b64 s[4:5], s[4:5], exec
	s_and_b64 s[8:9], s[8:9], exec
	s_or_b64 s[4:5], s[4:5], s[8:9]
	s_or_b64 exec, exec, s[6:7]
	s_and_saveexec_b64 s[6:7], s[4:5]
	s_cbranch_execnz .LBB22_1295
	s_branch .LBB22_1296
.LBB22_3345:
	s_movk_i32 s4, 0x80
	v_cmp_eq_u16_e32 vcc, s4, v21
	s_mov_b64 s[4:5], -1
                                        ; implicit-def: $sgpr10
	s_and_saveexec_b64 s[8:9], vcc
; %bb.3346:
	s_mov_b32 s10, 0x7f800001
	s_xor_b64 s[4:5], exec, -1
; %bb.3347:
	s_or_b64 exec, exec, s[8:9]
	s_and_b64 s[4:5], s[4:5], exec
                                        ; implicit-def: $vgpr21
	s_or_saveexec_b64 s[6:7], s[6:7]
	v_mov_b32_e32 v20, s10
	s_xor_b64 exec, exec, s[6:7]
	s_cbranch_execz .LBB22_1298
.LBB22_3348:
	v_cmp_ne_u16_e32 vcc, 0, v21
	s_andn2_b64 s[4:5], s[4:5], exec
	s_and_b64 s[8:9], vcc, exec
	v_mov_b32_e32 v20, 0
	s_or_b64 s[4:5], s[4:5], s[8:9]
	s_or_b64 exec, exec, s[6:7]
	s_and_saveexec_b64 s[6:7], s[4:5]
	s_cbranch_execnz .LBB22_1299
	s_branch .LBB22_1300
.LBB22_3349:
	s_movk_i32 s4, 0x80
	v_cmp_eq_u16_e32 vcc, s4, v21
	s_mov_b64 s[4:5], -1
                                        ; implicit-def: $sgpr10
	s_and_saveexec_b64 s[8:9], vcc
; %bb.3350:
	s_mov_b32 s10, 0x7f800001
	s_xor_b64 s[4:5], exec, -1
; %bb.3351:
	s_or_b64 exec, exec, s[8:9]
	s_and_b64 s[4:5], s[4:5], exec
                                        ; implicit-def: $vgpr21
	s_or_saveexec_b64 s[6:7], s[6:7]
	v_mov_b32_e32 v22, s10
	s_xor_b64 exec, exec, s[6:7]
	s_cbranch_execz .LBB22_1302
.LBB22_3352:
	v_cmp_ne_u16_e32 vcc, 0, v21
	s_andn2_b64 s[4:5], s[4:5], exec
	s_and_b64 s[8:9], vcc, exec
	v_mov_b32_e32 v22, 0
	s_or_b64 s[4:5], s[4:5], s[8:9]
	s_or_b64 exec, exec, s[6:7]
	s_and_saveexec_b64 s[6:7], s[4:5]
	s_cbranch_execnz .LBB22_1303
	s_branch .LBB22_1304
.LBB22_3353:
	s_movk_i32 s4, 0x80
	v_cmp_eq_u16_sdwa s[12:13], v14, s4 src0_sel:BYTE_3 src1_sel:DWORD
	s_mov_b64 s[4:5], -1
                                        ; implicit-def: $sgpr10
	s_and_saveexec_b64 s[8:9], s[12:13]
; %bb.3354:
	s_mov_b32 s10, 0x7f800001
	s_xor_b64 s[4:5], exec, -1
; %bb.3355:
	s_or_b64 exec, exec, s[8:9]
	s_and_b64 s[4:5], s[4:5], exec
	s_or_saveexec_b64 s[6:7], s[6:7]
	v_mov_b32_e32 v20, s10
	s_xor_b64 exec, exec, s[6:7]
	s_cbranch_execz .LBB22_1306
.LBB22_3356:
	v_mov_b32_e32 v20, 0
	v_cmp_ne_u16_sdwa s[8:9], v14, v20 src0_sel:BYTE_3 src1_sel:DWORD
	s_andn2_b64 s[4:5], s[4:5], exec
	s_and_b64 s[8:9], s[8:9], exec
	s_or_b64 s[4:5], s[4:5], s[8:9]
	s_or_b64 exec, exec, s[6:7]
	s_and_saveexec_b64 s[6:7], s[4:5]
	s_cbranch_execnz .LBB22_1307
	s_branch .LBB22_1308
.LBB22_3357:
	s_movk_i32 s4, 0x80
	v_cmp_eq_u16_sdwa s[12:13], v10, s4 src0_sel:BYTE_3 src1_sel:DWORD
	s_mov_b64 s[4:5], -1
                                        ; implicit-def: $sgpr10
	s_and_saveexec_b64 s[8:9], s[12:13]
; %bb.3358:
	s_mov_b32 s10, 0x7f800001
	s_xor_b64 s[4:5], exec, -1
; %bb.3359:
	s_or_b64 exec, exec, s[8:9]
	s_and_b64 s[4:5], s[4:5], exec
	s_or_saveexec_b64 s[6:7], s[6:7]
	v_mov_b32_e32 v14, s10
	s_xor_b64 exec, exec, s[6:7]
	s_cbranch_execz .LBB22_1310
.LBB22_3360:
	v_mov_b32_e32 v14, 0
	v_cmp_ne_u16_sdwa s[8:9], v10, v14 src0_sel:BYTE_3 src1_sel:DWORD
	s_andn2_b64 s[4:5], s[4:5], exec
	s_and_b64 s[8:9], s[8:9], exec
	s_or_b64 s[4:5], s[4:5], s[8:9]
	s_or_b64 exec, exec, s[6:7]
	s_and_saveexec_b64 s[6:7], s[4:5]
	s_cbranch_execnz .LBB22_1311
	s_branch .LBB22_1312
.LBB22_3361:
	s_movk_i32 s4, 0x80
	v_cmp_eq_u16_sdwa s[12:13], v15, s4 src0_sel:BYTE_0 src1_sel:DWORD
	s_mov_b64 s[4:5], -1
                                        ; implicit-def: $sgpr10
	s_and_saveexec_b64 s[8:9], s[12:13]
; %bb.3362:
	s_mov_b32 s10, 0x7f800001
	s_xor_b64 s[4:5], exec, -1
; %bb.3363:
	s_or_b64 exec, exec, s[8:9]
	s_and_b64 s[4:5], s[4:5], exec
	s_or_saveexec_b64 s[6:7], s[6:7]
	v_mov_b32_e32 v10, s10
	s_xor_b64 exec, exec, s[6:7]
	s_cbranch_execz .LBB22_1314
.LBB22_3364:
	v_mov_b32_e32 v10, 0
	v_cmp_ne_u16_sdwa s[8:9], v15, v10 src0_sel:BYTE_0 src1_sel:DWORD
	s_andn2_b64 s[4:5], s[4:5], exec
	s_and_b64 s[8:9], s[8:9], exec
	s_or_b64 s[4:5], s[4:5], s[8:9]
	s_or_b64 exec, exec, s[6:7]
	s_and_saveexec_b64 s[6:7], s[4:5]
	s_cbranch_execnz .LBB22_1315
	s_branch .LBB22_1316
.LBB22_3365:
	s_movk_i32 s4, 0x80
	v_cmp_eq_u16_sdwa s[12:13], v11, s4 src0_sel:BYTE_0 src1_sel:DWORD
	s_mov_b64 s[4:5], -1
                                        ; implicit-def: $sgpr10
	s_and_saveexec_b64 s[8:9], s[12:13]
; %bb.3366:
	s_mov_b32 s10, 0x7f800001
	s_xor_b64 s[4:5], exec, -1
; %bb.3367:
	s_or_b64 exec, exec, s[8:9]
	s_and_b64 s[4:5], s[4:5], exec
	s_or_saveexec_b64 s[6:7], s[6:7]
	v_mov_b32_e32 v14, s10
	s_xor_b64 exec, exec, s[6:7]
	s_cbranch_execz .LBB22_1318
.LBB22_3368:
	v_mov_b32_e32 v14, 0
	v_cmp_ne_u16_sdwa s[8:9], v11, v14 src0_sel:BYTE_0 src1_sel:DWORD
	s_andn2_b64 s[4:5], s[4:5], exec
	s_and_b64 s[8:9], s[8:9], exec
	s_or_b64 s[4:5], s[4:5], s[8:9]
	s_or_b64 exec, exec, s[6:7]
	s_and_saveexec_b64 s[6:7], s[4:5]
	s_cbranch_execnz .LBB22_1319
	s_branch .LBB22_1320
.LBB22_3369:
	s_movk_i32 s4, 0x80
	v_cmp_eq_u16_sdwa s[12:13], v14, s4 src0_sel:BYTE_0 src1_sel:DWORD
	s_mov_b64 s[4:5], -1
                                        ; implicit-def: $sgpr10
	s_and_saveexec_b64 s[8:9], s[12:13]
; %bb.3370:
	s_mov_b32 s10, 0x7f800001
	s_xor_b64 s[4:5], exec, -1
; %bb.3371:
	s_or_b64 exec, exec, s[8:9]
	s_and_b64 s[4:5], s[4:5], exec
	s_or_saveexec_b64 s[6:7], s[6:7]
	v_mov_b32_e32 v10, s10
	s_xor_b64 exec, exec, s[6:7]
	s_cbranch_execz .LBB22_1322
.LBB22_3372:
	v_mov_b32_e32 v10, 0
	v_cmp_ne_u16_sdwa s[8:9], v14, v10 src0_sel:BYTE_0 src1_sel:DWORD
	s_andn2_b64 s[4:5], s[4:5], exec
	s_and_b64 s[8:9], s[8:9], exec
	s_or_b64 s[4:5], s[4:5], s[8:9]
	s_or_b64 exec, exec, s[6:7]
	s_and_saveexec_b64 s[6:7], s[4:5]
	s_cbranch_execnz .LBB22_1323
	s_branch .LBB22_1324
.LBB22_3373:
	s_movk_i32 s4, 0x80
	v_cmp_eq_u16_sdwa s[12:13], v14, s4 src0_sel:BYTE_0 src1_sel:DWORD
	s_mov_b64 s[4:5], -1
                                        ; implicit-def: $sgpr10
	s_and_saveexec_b64 s[8:9], s[12:13]
; %bb.3374:
	s_mov_b32 s10, 0x7f800001
	s_xor_b64 s[4:5], exec, -1
; %bb.3375:
	s_or_b64 exec, exec, s[8:9]
	s_and_b64 s[4:5], s[4:5], exec
	s_or_saveexec_b64 s[6:7], s[6:7]
	v_mov_b32_e32 v20, s10
	s_xor_b64 exec, exec, s[6:7]
	s_cbranch_execz .LBB22_1326
.LBB22_3376:
	v_mov_b32_e32 v20, 0
	v_cmp_ne_u16_sdwa s[8:9], v14, v20 src0_sel:BYTE_0 src1_sel:DWORD
	s_andn2_b64 s[4:5], s[4:5], exec
	s_and_b64 s[8:9], s[8:9], exec
	s_or_b64 s[4:5], s[4:5], s[8:9]
	s_or_b64 exec, exec, s[6:7]
	s_and_saveexec_b64 s[6:7], s[4:5]
	s_cbranch_execnz .LBB22_1327
	s_branch .LBB22_1328
.LBB22_3377:
	s_movk_i32 s4, 0x80
	v_cmp_eq_u16_e32 vcc, s4, v14
	s_mov_b64 s[4:5], -1
                                        ; implicit-def: $sgpr10
	s_and_saveexec_b64 s[8:9], vcc
; %bb.3378:
	s_mov_b32 s10, 0x7f800001
	s_xor_b64 s[4:5], exec, -1
; %bb.3379:
	s_or_b64 exec, exec, s[8:9]
	s_and_b64 s[4:5], s[4:5], exec
                                        ; implicit-def: $vgpr14
	s_or_saveexec_b64 s[6:7], s[6:7]
	v_mov_b32_e32 v10, s10
	s_xor_b64 exec, exec, s[6:7]
	s_cbranch_execz .LBB22_1330
.LBB22_3380:
	v_cmp_ne_u16_e32 vcc, 0, v14
	s_andn2_b64 s[4:5], s[4:5], exec
	s_and_b64 s[8:9], vcc, exec
	v_mov_b32_e32 v10, 0
	s_or_b64 s[4:5], s[4:5], s[8:9]
	s_or_b64 exec, exec, s[6:7]
	s_and_saveexec_b64 s[6:7], s[4:5]
	s_cbranch_execnz .LBB22_1331
	s_branch .LBB22_1332
.LBB22_3381:
	s_movk_i32 s4, 0x80
	v_cmp_eq_u16_e32 vcc, s4, v14
	s_mov_b64 s[4:5], -1
                                        ; implicit-def: $sgpr10
	s_and_saveexec_b64 s[8:9], vcc
; %bb.3382:
	s_mov_b32 s10, 0x7f800001
	s_xor_b64 s[4:5], exec, -1
; %bb.3383:
	s_or_b64 exec, exec, s[8:9]
	s_and_b64 s[4:5], s[4:5], exec
                                        ; implicit-def: $vgpr14
	s_or_saveexec_b64 s[6:7], s[6:7]
	v_mov_b32_e32 v20, s10
	s_xor_b64 exec, exec, s[6:7]
	s_cbranch_execz .LBB22_1334
.LBB22_3384:
	v_cmp_ne_u16_e32 vcc, 0, v14
	s_andn2_b64 s[4:5], s[4:5], exec
	s_and_b64 s[8:9], vcc, exec
	v_mov_b32_e32 v20, 0
	s_or_b64 s[4:5], s[4:5], s[8:9]
	s_or_b64 exec, exec, s[6:7]
	s_and_saveexec_b64 s[6:7], s[4:5]
	s_cbranch_execnz .LBB22_1335
	s_branch .LBB22_1336
.LBB22_3385:
	s_movk_i32 s4, 0x80
	v_cmp_eq_u16_sdwa s[12:13], v15, s4 src0_sel:BYTE_3 src1_sel:DWORD
	s_mov_b64 s[4:5], -1
                                        ; implicit-def: $sgpr10
	s_and_saveexec_b64 s[8:9], s[12:13]
; %bb.3386:
	s_mov_b32 s10, 0x7f800001
	s_xor_b64 s[4:5], exec, -1
; %bb.3387:
	s_or_b64 exec, exec, s[8:9]
	s_and_b64 s[4:5], s[4:5], exec
	s_or_saveexec_b64 s[6:7], s[6:7]
	v_mov_b32_e32 v10, s10
	s_xor_b64 exec, exec, s[6:7]
	s_cbranch_execz .LBB22_1338
.LBB22_3388:
	v_mov_b32_e32 v10, 0
	v_cmp_ne_u16_sdwa s[8:9], v15, v10 src0_sel:BYTE_3 src1_sel:DWORD
	s_andn2_b64 s[4:5], s[4:5], exec
	s_and_b64 s[8:9], s[8:9], exec
	s_or_b64 s[4:5], s[4:5], s[8:9]
	s_or_b64 exec, exec, s[6:7]
	s_and_saveexec_b64 s[6:7], s[4:5]
	s_cbranch_execnz .LBB22_1339
	s_branch .LBB22_1340
.LBB22_3389:
	s_movk_i32 s4, 0x80
	v_cmp_eq_u16_sdwa s[12:13], v11, s4 src0_sel:BYTE_3 src1_sel:DWORD
	s_mov_b64 s[4:5], -1
                                        ; implicit-def: $sgpr10
	s_and_saveexec_b64 s[8:9], s[12:13]
; %bb.3390:
	s_mov_b32 s10, 0x7f800001
	s_xor_b64 s[4:5], exec, -1
; %bb.3391:
	s_or_b64 exec, exec, s[8:9]
	s_and_b64 s[4:5], s[4:5], exec
	s_or_saveexec_b64 s[6:7], s[6:7]
	v_mov_b32_e32 v14, s10
	s_xor_b64 exec, exec, s[6:7]
	s_cbranch_execz .LBB22_1342
.LBB22_3392:
	v_mov_b32_e32 v14, 0
	v_cmp_ne_u16_sdwa s[8:9], v11, v14 src0_sel:BYTE_3 src1_sel:DWORD
	s_andn2_b64 s[4:5], s[4:5], exec
	s_and_b64 s[8:9], s[8:9], exec
	s_or_b64 s[4:5], s[4:5], s[8:9]
	s_or_b64 exec, exec, s[6:7]
	s_and_saveexec_b64 s[6:7], s[4:5]
	s_cbranch_execnz .LBB22_1343
	s_branch .LBB22_1344
.LBB22_3393:
	s_movk_i32 s4, 0x80
	v_cmp_eq_u16_sdwa s[12:13], v16, s4 src0_sel:BYTE_0 src1_sel:DWORD
	s_mov_b64 s[4:5], -1
                                        ; implicit-def: $sgpr10
	s_and_saveexec_b64 s[8:9], s[12:13]
; %bb.3394:
	s_mov_b32 s10, 0x7f800001
	s_xor_b64 s[4:5], exec, -1
; %bb.3395:
	s_or_b64 exec, exec, s[8:9]
	s_and_b64 s[4:5], s[4:5], exec
	s_or_saveexec_b64 s[6:7], s[6:7]
	v_mov_b32_e32 v10, s10
	s_xor_b64 exec, exec, s[6:7]
	s_cbranch_execz .LBB22_1346
.LBB22_3396:
	v_mov_b32_e32 v10, 0
	v_cmp_ne_u16_sdwa s[8:9], v16, v10 src0_sel:BYTE_0 src1_sel:DWORD
	s_andn2_b64 s[4:5], s[4:5], exec
	s_and_b64 s[8:9], s[8:9], exec
	s_or_b64 s[4:5], s[4:5], s[8:9]
	s_or_b64 exec, exec, s[6:7]
	s_and_saveexec_b64 s[6:7], s[4:5]
	s_cbranch_execnz .LBB22_1347
	s_branch .LBB22_1348
.LBB22_3397:
	s_movk_i32 s4, 0x80
	v_cmp_eq_u16_sdwa s[12:13], v12, s4 src0_sel:BYTE_0 src1_sel:DWORD
	s_mov_b64 s[4:5], -1
                                        ; implicit-def: $sgpr10
	s_and_saveexec_b64 s[8:9], s[12:13]
; %bb.3398:
	s_mov_b32 s10, 0x7f800001
	s_xor_b64 s[4:5], exec, -1
; %bb.3399:
	s_or_b64 exec, exec, s[8:9]
	s_and_b64 s[4:5], s[4:5], exec
	s_or_saveexec_b64 s[6:7], s[6:7]
	v_mov_b32_e32 v11, s10
	s_xor_b64 exec, exec, s[6:7]
	s_cbranch_execz .LBB22_1350
.LBB22_3400:
	v_mov_b32_e32 v11, 0
	v_cmp_ne_u16_sdwa s[8:9], v12, v11 src0_sel:BYTE_0 src1_sel:DWORD
	s_andn2_b64 s[4:5], s[4:5], exec
	s_and_b64 s[8:9], s[8:9], exec
	s_or_b64 s[4:5], s[4:5], s[8:9]
	s_or_b64 exec, exec, s[6:7]
	s_and_saveexec_b64 s[6:7], s[4:5]
	s_cbranch_execnz .LBB22_1351
	s_branch .LBB22_1352
.LBB22_3401:
	s_movk_i32 s4, 0x80
	v_cmp_eq_u16_sdwa s[12:13], v11, s4 src0_sel:BYTE_0 src1_sel:DWORD
	s_mov_b64 s[4:5], -1
                                        ; implicit-def: $sgpr10
	s_and_saveexec_b64 s[8:9], s[12:13]
; %bb.3402:
	s_mov_b32 s10, 0x7f800001
	s_xor_b64 s[4:5], exec, -1
; %bb.3403:
	s_or_b64 exec, exec, s[8:9]
	s_and_b64 s[4:5], s[4:5], exec
	s_or_saveexec_b64 s[6:7], s[6:7]
	v_mov_b32_e32 v10, s10
	s_xor_b64 exec, exec, s[6:7]
	s_cbranch_execz .LBB22_1354
.LBB22_3404:
	v_mov_b32_e32 v10, 0
	v_cmp_ne_u16_sdwa s[8:9], v11, v10 src0_sel:BYTE_0 src1_sel:DWORD
	s_andn2_b64 s[4:5], s[4:5], exec
	s_and_b64 s[8:9], s[8:9], exec
	s_or_b64 s[4:5], s[4:5], s[8:9]
	s_or_b64 exec, exec, s[6:7]
	s_and_saveexec_b64 s[6:7], s[4:5]
	s_cbranch_execnz .LBB22_1355
	s_branch .LBB22_1356
.LBB22_3405:
	s_movk_i32 s4, 0x80
	v_cmp_eq_u16_sdwa s[12:13], v11, s4 src0_sel:BYTE_0 src1_sel:DWORD
	s_mov_b64 s[4:5], -1
                                        ; implicit-def: $sgpr10
	s_and_saveexec_b64 s[8:9], s[12:13]
; %bb.3406:
	s_mov_b32 s10, 0x7f800001
	s_xor_b64 s[4:5], exec, -1
; %bb.3407:
	s_or_b64 exec, exec, s[8:9]
	s_and_b64 s[4:5], s[4:5], exec
	s_or_saveexec_b64 s[6:7], s[6:7]
	v_mov_b32_e32 v14, s10
	s_xor_b64 exec, exec, s[6:7]
	s_cbranch_execz .LBB22_1358
.LBB22_3408:
	v_mov_b32_e32 v14, 0
	v_cmp_ne_u16_sdwa s[8:9], v11, v14 src0_sel:BYTE_0 src1_sel:DWORD
	s_andn2_b64 s[4:5], s[4:5], exec
	s_and_b64 s[8:9], s[8:9], exec
	s_or_b64 s[4:5], s[4:5], s[8:9]
	s_or_b64 exec, exec, s[6:7]
	s_and_saveexec_b64 s[6:7], s[4:5]
	s_cbranch_execnz .LBB22_1359
	s_branch .LBB22_1360
.LBB22_3409:
	s_movk_i32 s4, 0x80
	v_cmp_eq_u16_e32 vcc, s4, v11
	s_mov_b64 s[4:5], -1
                                        ; implicit-def: $sgpr10
	s_and_saveexec_b64 s[8:9], vcc
; %bb.3410:
	s_mov_b32 s10, 0x7f800001
	s_xor_b64 s[4:5], exec, -1
; %bb.3411:
	s_or_b64 exec, exec, s[8:9]
	s_and_b64 s[4:5], s[4:5], exec
                                        ; implicit-def: $vgpr11
	s_or_saveexec_b64 s[6:7], s[6:7]
	v_mov_b32_e32 v10, s10
	s_xor_b64 exec, exec, s[6:7]
	s_cbranch_execz .LBB22_1362
.LBB22_3412:
	v_cmp_ne_u16_e32 vcc, 0, v11
	s_andn2_b64 s[4:5], s[4:5], exec
	s_and_b64 s[8:9], vcc, exec
	v_mov_b32_e32 v10, 0
	s_or_b64 s[4:5], s[4:5], s[8:9]
	s_or_b64 exec, exec, s[6:7]
	s_and_saveexec_b64 s[6:7], s[4:5]
	s_cbranch_execnz .LBB22_1363
	s_branch .LBB22_1364
.LBB22_3413:
	s_movk_i32 s4, 0x80
	v_cmp_eq_u16_e32 vcc, s4, v11
	s_mov_b64 s[4:5], -1
                                        ; implicit-def: $sgpr10
	s_and_saveexec_b64 s[8:9], vcc
; %bb.3414:
	s_mov_b32 s10, 0x7f800001
	s_xor_b64 s[4:5], exec, -1
; %bb.3415:
	s_or_b64 exec, exec, s[8:9]
	s_and_b64 s[4:5], s[4:5], exec
                                        ; implicit-def: $vgpr11
	s_or_saveexec_b64 s[6:7], s[6:7]
	v_mov_b32_e32 v14, s10
	s_xor_b64 exec, exec, s[6:7]
	s_cbranch_execz .LBB22_1366
.LBB22_3416:
	v_cmp_ne_u16_e32 vcc, 0, v11
	s_andn2_b64 s[4:5], s[4:5], exec
	s_and_b64 s[8:9], vcc, exec
	v_mov_b32_e32 v14, 0
	s_or_b64 s[4:5], s[4:5], s[8:9]
	s_or_b64 exec, exec, s[6:7]
	s_and_saveexec_b64 s[6:7], s[4:5]
	s_cbranch_execnz .LBB22_1367
	s_branch .LBB22_1368
.LBB22_3417:
	s_movk_i32 s4, 0x80
	v_cmp_eq_u16_sdwa s[12:13], v16, s4 src0_sel:BYTE_3 src1_sel:DWORD
	s_mov_b64 s[4:5], -1
                                        ; implicit-def: $sgpr10
	s_and_saveexec_b64 s[8:9], s[12:13]
; %bb.3418:
	s_mov_b32 s10, 0x7f800001
	s_xor_b64 s[4:5], exec, -1
; %bb.3419:
	s_or_b64 exec, exec, s[8:9]
	s_and_b64 s[4:5], s[4:5], exec
	s_or_saveexec_b64 s[6:7], s[6:7]
	v_mov_b32_e32 v10, s10
	s_xor_b64 exec, exec, s[6:7]
	s_cbranch_execz .LBB22_1370
.LBB22_3420:
	v_mov_b32_e32 v10, 0
	v_cmp_ne_u16_sdwa s[8:9], v16, v10 src0_sel:BYTE_3 src1_sel:DWORD
	s_andn2_b64 s[4:5], s[4:5], exec
	s_and_b64 s[8:9], s[8:9], exec
	s_or_b64 s[4:5], s[4:5], s[8:9]
	s_or_b64 exec, exec, s[6:7]
	s_and_saveexec_b64 s[6:7], s[4:5]
	s_cbranch_execnz .LBB22_1371
	s_branch .LBB22_1372
.LBB22_3421:
	s_movk_i32 s4, 0x80
	v_cmp_eq_u16_sdwa s[12:13], v12, s4 src0_sel:BYTE_3 src1_sel:DWORD
	s_mov_b64 s[4:5], -1
                                        ; implicit-def: $sgpr10
	s_and_saveexec_b64 s[8:9], s[12:13]
; %bb.3422:
	s_mov_b32 s10, 0x7f800001
	s_xor_b64 s[4:5], exec, -1
; %bb.3423:
	s_or_b64 exec, exec, s[8:9]
	s_and_b64 s[4:5], s[4:5], exec
	s_or_saveexec_b64 s[6:7], s[6:7]
	v_mov_b32_e32 v11, s10
	s_xor_b64 exec, exec, s[6:7]
	s_cbranch_execz .LBB22_1374
.LBB22_3424:
	v_mov_b32_e32 v11, 0
	v_cmp_ne_u16_sdwa s[8:9], v12, v11 src0_sel:BYTE_3 src1_sel:DWORD
	s_andn2_b64 s[4:5], s[4:5], exec
	s_and_b64 s[8:9], s[8:9], exec
	s_or_b64 s[4:5], s[4:5], s[8:9]
	s_or_b64 exec, exec, s[6:7]
	s_and_saveexec_b64 s[6:7], s[4:5]
	s_cbranch_execnz .LBB22_1375
	s_branch .LBB22_1376
.LBB22_3425:
	s_movk_i32 s4, 0x80
	v_cmp_eq_u16_sdwa s[12:13], v17, s4 src0_sel:BYTE_0 src1_sel:DWORD
	s_mov_b64 s[4:5], -1
                                        ; implicit-def: $sgpr10
	s_and_saveexec_b64 s[8:9], s[12:13]
; %bb.3426:
	s_mov_b32 s10, 0x7f800001
	s_xor_b64 s[4:5], exec, -1
; %bb.3427:
	s_or_b64 exec, exec, s[8:9]
	s_and_b64 s[4:5], s[4:5], exec
	s_or_saveexec_b64 s[6:7], s[6:7]
	v_mov_b32_e32 v10, s10
	s_xor_b64 exec, exec, s[6:7]
	s_cbranch_execz .LBB22_1378
.LBB22_3428:
	v_mov_b32_e32 v10, 0
	v_cmp_ne_u16_sdwa s[8:9], v17, v10 src0_sel:BYTE_0 src1_sel:DWORD
	s_andn2_b64 s[4:5], s[4:5], exec
	s_and_b64 s[8:9], s[8:9], exec
	s_or_b64 s[4:5], s[4:5], s[8:9]
	s_or_b64 exec, exec, s[6:7]
	s_and_saveexec_b64 s[6:7], s[4:5]
	s_cbranch_execnz .LBB22_1379
	s_branch .LBB22_1380
.LBB22_3429:
	s_movk_i32 s4, 0x80
	v_cmp_eq_u16_sdwa s[12:13], v13, s4 src0_sel:BYTE_0 src1_sel:DWORD
	s_mov_b64 s[4:5], -1
                                        ; implicit-def: $sgpr10
	s_and_saveexec_b64 s[8:9], s[12:13]
; %bb.3430:
	s_mov_b32 s10, 0x7f800001
	s_xor_b64 s[4:5], exec, -1
; %bb.3431:
	s_or_b64 exec, exec, s[8:9]
	s_and_b64 s[4:5], s[4:5], exec
	s_or_saveexec_b64 s[6:7], s[6:7]
	v_mov_b32_e32 v11, s10
	s_xor_b64 exec, exec, s[6:7]
	s_cbranch_execz .LBB22_1382
.LBB22_3432:
	v_mov_b32_e32 v11, 0
	v_cmp_ne_u16_sdwa s[8:9], v13, v11 src0_sel:BYTE_0 src1_sel:DWORD
	s_andn2_b64 s[4:5], s[4:5], exec
	s_and_b64 s[8:9], s[8:9], exec
	s_or_b64 s[4:5], s[4:5], s[8:9]
	s_or_b64 exec, exec, s[6:7]
	s_and_saveexec_b64 s[6:7], s[4:5]
	s_cbranch_execnz .LBB22_1383
	s_branch .LBB22_1384
.LBB22_3433:
	s_movk_i32 s4, 0x80
	v_cmp_eq_u16_sdwa s[12:13], v11, s4 src0_sel:BYTE_0 src1_sel:DWORD
	s_mov_b64 s[4:5], -1
                                        ; implicit-def: $sgpr10
	s_and_saveexec_b64 s[8:9], s[12:13]
; %bb.3434:
	s_mov_b32 s10, 0x7f800001
	s_xor_b64 s[4:5], exec, -1
; %bb.3435:
	s_or_b64 exec, exec, s[8:9]
	s_and_b64 s[4:5], s[4:5], exec
	s_or_saveexec_b64 s[6:7], s[6:7]
	v_mov_b32_e32 v10, s10
	s_xor_b64 exec, exec, s[6:7]
	s_cbranch_execz .LBB22_1386
.LBB22_3436:
	v_mov_b32_e32 v10, 0
	v_cmp_ne_u16_sdwa s[8:9], v11, v10 src0_sel:BYTE_0 src1_sel:DWORD
	s_andn2_b64 s[4:5], s[4:5], exec
	s_and_b64 s[8:9], s[8:9], exec
	s_or_b64 s[4:5], s[4:5], s[8:9]
	s_or_b64 exec, exec, s[6:7]
	s_and_saveexec_b64 s[6:7], s[4:5]
	s_cbranch_execnz .LBB22_1387
	s_branch .LBB22_1388
.LBB22_3437:
	s_movk_i32 s4, 0x80
	v_cmp_eq_u16_sdwa s[12:13], v11, s4 src0_sel:BYTE_0 src1_sel:DWORD
	s_mov_b64 s[4:5], -1
                                        ; implicit-def: $sgpr10
	s_and_saveexec_b64 s[8:9], s[12:13]
; %bb.3438:
	s_mov_b32 s10, 0x7f800001
	s_xor_b64 s[4:5], exec, -1
; %bb.3439:
	s_or_b64 exec, exec, s[8:9]
	s_and_b64 s[4:5], s[4:5], exec
	s_or_saveexec_b64 s[6:7], s[6:7]
	v_mov_b32_e32 v12, s10
	s_xor_b64 exec, exec, s[6:7]
	s_cbranch_execz .LBB22_1390
.LBB22_3440:
	v_mov_b32_e32 v12, 0
	v_cmp_ne_u16_sdwa s[8:9], v11, v12 src0_sel:BYTE_0 src1_sel:DWORD
	s_andn2_b64 s[4:5], s[4:5], exec
	s_and_b64 s[8:9], s[8:9], exec
	s_or_b64 s[4:5], s[4:5], s[8:9]
	s_or_b64 exec, exec, s[6:7]
	s_and_saveexec_b64 s[6:7], s[4:5]
	s_cbranch_execnz .LBB22_1391
	s_branch .LBB22_1392
.LBB22_3441:
	s_movk_i32 s4, 0x80
	v_cmp_eq_u16_e32 vcc, s4, v11
	s_mov_b64 s[4:5], -1
                                        ; implicit-def: $sgpr10
	s_and_saveexec_b64 s[8:9], vcc
; %bb.3442:
	s_mov_b32 s10, 0x7f800001
	s_xor_b64 s[4:5], exec, -1
; %bb.3443:
	s_or_b64 exec, exec, s[8:9]
	s_and_b64 s[4:5], s[4:5], exec
                                        ; implicit-def: $vgpr11
	s_or_saveexec_b64 s[6:7], s[6:7]
	v_mov_b32_e32 v10, s10
	s_xor_b64 exec, exec, s[6:7]
	s_cbranch_execz .LBB22_1394
.LBB22_3444:
	v_cmp_ne_u16_e32 vcc, 0, v11
	s_andn2_b64 s[4:5], s[4:5], exec
	s_and_b64 s[8:9], vcc, exec
	v_mov_b32_e32 v10, 0
	s_or_b64 s[4:5], s[4:5], s[8:9]
	s_or_b64 exec, exec, s[6:7]
	s_and_saveexec_b64 s[6:7], s[4:5]
	s_cbranch_execnz .LBB22_1395
	s_branch .LBB22_1396
.LBB22_3445:
	s_movk_i32 s4, 0x80
	v_cmp_eq_u16_e32 vcc, s4, v11
	s_mov_b64 s[4:5], -1
                                        ; implicit-def: $sgpr10
	s_and_saveexec_b64 s[8:9], vcc
; %bb.3446:
	s_mov_b32 s10, 0x7f800001
	s_xor_b64 s[4:5], exec, -1
; %bb.3447:
	s_or_b64 exec, exec, s[8:9]
	s_and_b64 s[4:5], s[4:5], exec
                                        ; implicit-def: $vgpr11
	s_or_saveexec_b64 s[6:7], s[6:7]
	v_mov_b32_e32 v12, s10
	s_xor_b64 exec, exec, s[6:7]
	s_cbranch_execz .LBB22_1398
.LBB22_3448:
	v_cmp_ne_u16_e32 vcc, 0, v11
	s_andn2_b64 s[4:5], s[4:5], exec
	s_and_b64 s[8:9], vcc, exec
	v_mov_b32_e32 v12, 0
	s_or_b64 s[4:5], s[4:5], s[8:9]
	s_or_b64 exec, exec, s[6:7]
	s_and_saveexec_b64 s[6:7], s[4:5]
	s_cbranch_execnz .LBB22_1399
	s_branch .LBB22_1400
.LBB22_3449:
	s_movk_i32 s4, 0x80
	v_cmp_eq_u16_sdwa s[12:13], v17, s4 src0_sel:BYTE_3 src1_sel:DWORD
	s_mov_b64 s[4:5], -1
                                        ; implicit-def: $sgpr10
	s_and_saveexec_b64 s[8:9], s[12:13]
; %bb.3450:
	s_mov_b32 s10, 0x7f800001
	s_xor_b64 s[4:5], exec, -1
; %bb.3451:
	s_or_b64 exec, exec, s[8:9]
	s_and_b64 s[4:5], s[4:5], exec
	s_or_saveexec_b64 s[6:7], s[6:7]
	v_mov_b32_e32 v10, s10
	s_xor_b64 exec, exec, s[6:7]
	s_cbranch_execz .LBB22_1402
.LBB22_3452:
	v_mov_b32_e32 v10, 0
	v_cmp_ne_u16_sdwa s[8:9], v17, v10 src0_sel:BYTE_3 src1_sel:DWORD
	s_andn2_b64 s[4:5], s[4:5], exec
	s_and_b64 s[8:9], s[8:9], exec
	s_or_b64 s[4:5], s[4:5], s[8:9]
	s_or_b64 exec, exec, s[6:7]
	s_and_saveexec_b64 s[6:7], s[4:5]
	s_cbranch_execnz .LBB22_1403
	s_branch .LBB22_1404
.LBB22_3453:
	s_movk_i32 s4, 0x80
	v_cmp_eq_u16_sdwa s[12:13], v13, s4 src0_sel:BYTE_3 src1_sel:DWORD
	s_mov_b64 s[4:5], -1
                                        ; implicit-def: $sgpr10
	s_and_saveexec_b64 s[8:9], s[12:13]
; %bb.3454:
	s_mov_b32 s10, 0x7f800001
	s_xor_b64 s[4:5], exec, -1
; %bb.3455:
	s_or_b64 exec, exec, s[8:9]
	s_and_b64 s[4:5], s[4:5], exec
	s_or_saveexec_b64 s[6:7], s[6:7]
	v_mov_b32_e32 v11, s10
	s_xor_b64 exec, exec, s[6:7]
	s_cbranch_execz .LBB22_1406
.LBB22_3456:
	v_mov_b32_e32 v11, 0
	v_cmp_ne_u16_sdwa s[8:9], v13, v11 src0_sel:BYTE_3 src1_sel:DWORD
	s_andn2_b64 s[4:5], s[4:5], exec
	s_and_b64 s[8:9], s[8:9], exec
	s_or_b64 s[4:5], s[4:5], s[8:9]
	s_or_b64 exec, exec, s[6:7]
	s_and_saveexec_b64 s[6:7], s[4:5]
	s_cbranch_execnz .LBB22_1407
	s_branch .LBB22_1408
.LBB22_3457:
	s_movk_i32 s4, 0x80
	v_cmp_eq_u16_sdwa s[12:13], v6, s4 src0_sel:BYTE_0 src1_sel:DWORD
	s_mov_b64 s[4:5], -1
                                        ; implicit-def: $sgpr10
	s_and_saveexec_b64 s[8:9], s[12:13]
; %bb.3458:
	s_mov_b32 s10, 0x7f800001
	s_xor_b64 s[4:5], exec, -1
; %bb.3459:
	s_or_b64 exec, exec, s[8:9]
	s_and_b64 s[4:5], s[4:5], exec
	s_or_saveexec_b64 s[6:7], s[6:7]
	v_mov_b32_e32 v10, s10
	s_xor_b64 exec, exec, s[6:7]
	s_cbranch_execz .LBB22_1410
.LBB22_3460:
	v_mov_b32_e32 v10, 0
	v_cmp_ne_u16_sdwa s[8:9], v6, v10 src0_sel:BYTE_0 src1_sel:DWORD
	s_andn2_b64 s[4:5], s[4:5], exec
	s_and_b64 s[8:9], s[8:9], exec
	s_or_b64 s[4:5], s[4:5], s[8:9]
	s_or_b64 exec, exec, s[6:7]
	s_and_saveexec_b64 s[6:7], s[4:5]
	s_cbranch_execnz .LBB22_1411
	s_branch .LBB22_1412
.LBB22_3461:
	s_movk_i32 s4, 0x80
	v_cmp_eq_u16_sdwa s[12:13], v2, s4 src0_sel:BYTE_0 src1_sel:DWORD
	s_mov_b64 s[4:5], -1
                                        ; implicit-def: $sgpr10
	s_and_saveexec_b64 s[8:9], s[12:13]
; %bb.3462:
	s_mov_b32 s10, 0x7f800001
	s_xor_b64 s[4:5], exec, -1
; %bb.3463:
	s_or_b64 exec, exec, s[8:9]
	s_and_b64 s[4:5], s[4:5], exec
	s_or_saveexec_b64 s[6:7], s[6:7]
	v_mov_b32_e32 v11, s10
	s_xor_b64 exec, exec, s[6:7]
	s_cbranch_execz .LBB22_1414
.LBB22_3464:
	v_mov_b32_e32 v11, 0
	v_cmp_ne_u16_sdwa s[8:9], v2, v11 src0_sel:BYTE_0 src1_sel:DWORD
	s_andn2_b64 s[4:5], s[4:5], exec
	s_and_b64 s[8:9], s[8:9], exec
	s_or_b64 s[4:5], s[4:5], s[8:9]
	s_or_b64 exec, exec, s[6:7]
	s_and_saveexec_b64 s[6:7], s[4:5]
	s_cbranch_execnz .LBB22_1415
	s_branch .LBB22_1416
.LBB22_3465:
	s_movk_i32 s4, 0x80
	v_cmp_eq_u16_sdwa s[12:13], v11, s4 src0_sel:BYTE_0 src1_sel:DWORD
	s_mov_b64 s[4:5], -1
                                        ; implicit-def: $sgpr10
	s_and_saveexec_b64 s[8:9], s[12:13]
; %bb.3466:
	s_mov_b32 s10, 0x7f800001
	s_xor_b64 s[4:5], exec, -1
; %bb.3467:
	s_or_b64 exec, exec, s[8:9]
	s_and_b64 s[4:5], s[4:5], exec
	s_or_saveexec_b64 s[6:7], s[6:7]
	v_mov_b32_e32 v10, s10
	s_xor_b64 exec, exec, s[6:7]
	s_cbranch_execz .LBB22_1418
.LBB22_3468:
	v_mov_b32_e32 v10, 0
	v_cmp_ne_u16_sdwa s[8:9], v11, v10 src0_sel:BYTE_0 src1_sel:DWORD
	s_andn2_b64 s[4:5], s[4:5], exec
	s_and_b64 s[8:9], s[8:9], exec
	s_or_b64 s[4:5], s[4:5], s[8:9]
	s_or_b64 exec, exec, s[6:7]
	s_and_saveexec_b64 s[6:7], s[4:5]
	s_cbranch_execnz .LBB22_1419
	s_branch .LBB22_1420
.LBB22_3469:
	s_movk_i32 s4, 0x80
	v_cmp_eq_u16_sdwa s[12:13], v11, s4 src0_sel:BYTE_0 src1_sel:DWORD
	s_mov_b64 s[4:5], -1
                                        ; implicit-def: $sgpr10
	s_and_saveexec_b64 s[8:9], s[12:13]
; %bb.3470:
	s_mov_b32 s10, 0x7f800001
	s_xor_b64 s[4:5], exec, -1
; %bb.3471:
	s_or_b64 exec, exec, s[8:9]
	s_and_b64 s[4:5], s[4:5], exec
	s_or_saveexec_b64 s[6:7], s[6:7]
	v_mov_b32_e32 v12, s10
	s_xor_b64 exec, exec, s[6:7]
	s_cbranch_execz .LBB22_1422
.LBB22_3472:
	v_mov_b32_e32 v12, 0
	v_cmp_ne_u16_sdwa s[8:9], v11, v12 src0_sel:BYTE_0 src1_sel:DWORD
	s_andn2_b64 s[4:5], s[4:5], exec
	s_and_b64 s[8:9], s[8:9], exec
	s_or_b64 s[4:5], s[4:5], s[8:9]
	s_or_b64 exec, exec, s[6:7]
	s_and_saveexec_b64 s[6:7], s[4:5]
	s_cbranch_execnz .LBB22_1423
	s_branch .LBB22_1424
.LBB22_3473:
	s_movk_i32 s4, 0x80
	v_cmp_eq_u16_e32 vcc, s4, v11
	s_mov_b64 s[4:5], -1
                                        ; implicit-def: $sgpr10
	s_and_saveexec_b64 s[8:9], vcc
; %bb.3474:
	s_mov_b32 s10, 0x7f800001
	s_xor_b64 s[4:5], exec, -1
; %bb.3475:
	s_or_b64 exec, exec, s[8:9]
	s_and_b64 s[4:5], s[4:5], exec
                                        ; implicit-def: $vgpr11
	s_or_saveexec_b64 s[6:7], s[6:7]
	v_mov_b32_e32 v10, s10
	s_xor_b64 exec, exec, s[6:7]
	s_cbranch_execz .LBB22_1426
.LBB22_3476:
	v_cmp_ne_u16_e32 vcc, 0, v11
	s_andn2_b64 s[4:5], s[4:5], exec
	s_and_b64 s[8:9], vcc, exec
	v_mov_b32_e32 v10, 0
	s_or_b64 s[4:5], s[4:5], s[8:9]
	s_or_b64 exec, exec, s[6:7]
	s_and_saveexec_b64 s[6:7], s[4:5]
	s_cbranch_execnz .LBB22_1427
	s_branch .LBB22_1428
.LBB22_3477:
	s_movk_i32 s4, 0x80
	v_cmp_eq_u16_e32 vcc, s4, v11
	s_mov_b64 s[4:5], -1
                                        ; implicit-def: $sgpr10
	s_and_saveexec_b64 s[8:9], vcc
; %bb.3478:
	s_mov_b32 s10, 0x7f800001
	s_xor_b64 s[4:5], exec, -1
; %bb.3479:
	s_or_b64 exec, exec, s[8:9]
	s_and_b64 s[4:5], s[4:5], exec
                                        ; implicit-def: $vgpr11
	s_or_saveexec_b64 s[6:7], s[6:7]
	v_mov_b32_e32 v12, s10
	s_xor_b64 exec, exec, s[6:7]
	s_cbranch_execz .LBB22_1430
.LBB22_3480:
	v_cmp_ne_u16_e32 vcc, 0, v11
	s_andn2_b64 s[4:5], s[4:5], exec
	s_and_b64 s[8:9], vcc, exec
	v_mov_b32_e32 v12, 0
	s_or_b64 s[4:5], s[4:5], s[8:9]
	s_or_b64 exec, exec, s[6:7]
	s_and_saveexec_b64 s[6:7], s[4:5]
	s_cbranch_execnz .LBB22_1431
	s_branch .LBB22_1432
.LBB22_3481:
	s_movk_i32 s4, 0x80
	v_cmp_eq_u16_sdwa s[12:13], v6, s4 src0_sel:BYTE_3 src1_sel:DWORD
	s_mov_b64 s[4:5], -1
                                        ; implicit-def: $sgpr10
	s_and_saveexec_b64 s[8:9], s[12:13]
; %bb.3482:
	s_mov_b32 s10, 0x7f800001
	s_xor_b64 s[4:5], exec, -1
; %bb.3483:
	s_or_b64 exec, exec, s[8:9]
	s_and_b64 s[4:5], s[4:5], exec
	s_or_saveexec_b64 s[6:7], s[6:7]
	v_mov_b32_e32 v10, s10
	s_xor_b64 exec, exec, s[6:7]
	s_cbranch_execz .LBB22_1434
.LBB22_3484:
	v_mov_b32_e32 v10, 0
	v_cmp_ne_u16_sdwa s[8:9], v6, v10 src0_sel:BYTE_3 src1_sel:DWORD
	s_andn2_b64 s[4:5], s[4:5], exec
	s_and_b64 s[8:9], s[8:9], exec
	s_or_b64 s[4:5], s[4:5], s[8:9]
	s_or_b64 exec, exec, s[6:7]
	s_and_saveexec_b64 s[6:7], s[4:5]
	s_cbranch_execnz .LBB22_1435
	s_branch .LBB22_1436
.LBB22_3485:
	s_movk_i32 s4, 0x80
	v_cmp_eq_u16_sdwa s[12:13], v2, s4 src0_sel:BYTE_3 src1_sel:DWORD
	s_mov_b64 s[4:5], -1
                                        ; implicit-def: $sgpr10
	s_and_saveexec_b64 s[8:9], s[12:13]
; %bb.3486:
	s_mov_b32 s10, 0x7f800001
	s_xor_b64 s[4:5], exec, -1
; %bb.3487:
	s_or_b64 exec, exec, s[8:9]
	s_and_b64 s[4:5], s[4:5], exec
	s_or_saveexec_b64 s[6:7], s[6:7]
	v_mov_b32_e32 v6, s10
	s_xor_b64 exec, exec, s[6:7]
	s_cbranch_execz .LBB22_1438
.LBB22_3488:
	v_mov_b32_e32 v6, 0
	v_cmp_ne_u16_sdwa s[8:9], v2, v6 src0_sel:BYTE_3 src1_sel:DWORD
	s_andn2_b64 s[4:5], s[4:5], exec
	s_and_b64 s[8:9], s[8:9], exec
	s_or_b64 s[4:5], s[4:5], s[8:9]
	s_or_b64 exec, exec, s[6:7]
	s_and_saveexec_b64 s[6:7], s[4:5]
	s_cbranch_execnz .LBB22_1439
	s_branch .LBB22_1440
.LBB22_3489:
	s_movk_i32 s4, 0x80
	v_cmp_eq_u16_sdwa s[12:13], v7, s4 src0_sel:BYTE_0 src1_sel:DWORD
	s_mov_b64 s[4:5], -1
                                        ; implicit-def: $sgpr10
	s_and_saveexec_b64 s[8:9], s[12:13]
; %bb.3490:
	s_mov_b32 s10, 0x7f800001
	s_xor_b64 s[4:5], exec, -1
; %bb.3491:
	s_or_b64 exec, exec, s[8:9]
	s_and_b64 s[4:5], s[4:5], exec
	s_or_saveexec_b64 s[6:7], s[6:7]
	v_mov_b32_e32 v2, s10
	s_xor_b64 exec, exec, s[6:7]
	s_cbranch_execz .LBB22_1442
.LBB22_3492:
	v_mov_b32_e32 v2, 0
	v_cmp_ne_u16_sdwa s[8:9], v7, v2 src0_sel:BYTE_0 src1_sel:DWORD
	s_andn2_b64 s[4:5], s[4:5], exec
	s_and_b64 s[8:9], s[8:9], exec
	s_or_b64 s[4:5], s[4:5], s[8:9]
	s_or_b64 exec, exec, s[6:7]
	s_and_saveexec_b64 s[6:7], s[4:5]
	s_cbranch_execnz .LBB22_1443
	s_branch .LBB22_1444
.LBB22_3493:
	s_movk_i32 s4, 0x80
	v_cmp_eq_u16_sdwa s[12:13], v3, s4 src0_sel:BYTE_0 src1_sel:DWORD
	s_mov_b64 s[4:5], -1
                                        ; implicit-def: $sgpr10
	s_and_saveexec_b64 s[8:9], s[12:13]
; %bb.3494:
	s_mov_b32 s10, 0x7f800001
	s_xor_b64 s[4:5], exec, -1
; %bb.3495:
	s_or_b64 exec, exec, s[8:9]
	s_and_b64 s[4:5], s[4:5], exec
	s_or_saveexec_b64 s[6:7], s[6:7]
	v_mov_b32_e32 v6, s10
	s_xor_b64 exec, exec, s[6:7]
	s_cbranch_execz .LBB22_1446
.LBB22_3496:
	v_mov_b32_e32 v6, 0
	v_cmp_ne_u16_sdwa s[8:9], v3, v6 src0_sel:BYTE_0 src1_sel:DWORD
	s_andn2_b64 s[4:5], s[4:5], exec
	s_and_b64 s[8:9], s[8:9], exec
	s_or_b64 s[4:5], s[4:5], s[8:9]
	s_or_b64 exec, exec, s[6:7]
	s_and_saveexec_b64 s[6:7], s[4:5]
	s_cbranch_execnz .LBB22_1447
	s_branch .LBB22_1448
.LBB22_3497:
	s_movk_i32 s4, 0x80
	v_cmp_eq_u16_sdwa s[12:13], v6, s4 src0_sel:BYTE_0 src1_sel:DWORD
	s_mov_b64 s[4:5], -1
                                        ; implicit-def: $sgpr10
	s_and_saveexec_b64 s[8:9], s[12:13]
; %bb.3498:
	s_mov_b32 s10, 0x7f800001
	s_xor_b64 s[4:5], exec, -1
; %bb.3499:
	s_or_b64 exec, exec, s[8:9]
	s_and_b64 s[4:5], s[4:5], exec
	s_or_saveexec_b64 s[6:7], s[6:7]
	v_mov_b32_e32 v2, s10
	s_xor_b64 exec, exec, s[6:7]
	s_cbranch_execz .LBB22_1450
.LBB22_3500:
	v_mov_b32_e32 v2, 0
	v_cmp_ne_u16_sdwa s[8:9], v6, v2 src0_sel:BYTE_0 src1_sel:DWORD
	s_andn2_b64 s[4:5], s[4:5], exec
	s_and_b64 s[8:9], s[8:9], exec
	s_or_b64 s[4:5], s[4:5], s[8:9]
	s_or_b64 exec, exec, s[6:7]
	s_and_saveexec_b64 s[6:7], s[4:5]
	s_cbranch_execnz .LBB22_1451
	s_branch .LBB22_1452
.LBB22_3501:
	s_movk_i32 s4, 0x80
	v_cmp_eq_u16_sdwa s[12:13], v6, s4 src0_sel:BYTE_0 src1_sel:DWORD
	s_mov_b64 s[4:5], -1
                                        ; implicit-def: $sgpr10
	s_and_saveexec_b64 s[8:9], s[12:13]
; %bb.3502:
	s_mov_b32 s10, 0x7f800001
	s_xor_b64 s[4:5], exec, -1
; %bb.3503:
	s_or_b64 exec, exec, s[8:9]
	s_and_b64 s[4:5], s[4:5], exec
	s_or_saveexec_b64 s[6:7], s[6:7]
	v_mov_b32_e32 v10, s10
	s_xor_b64 exec, exec, s[6:7]
	s_cbranch_execz .LBB22_1454
.LBB22_3504:
	v_mov_b32_e32 v10, 0
	v_cmp_ne_u16_sdwa s[8:9], v6, v10 src0_sel:BYTE_0 src1_sel:DWORD
	s_andn2_b64 s[4:5], s[4:5], exec
	s_and_b64 s[8:9], s[8:9], exec
	s_or_b64 s[4:5], s[4:5], s[8:9]
	s_or_b64 exec, exec, s[6:7]
	s_and_saveexec_b64 s[6:7], s[4:5]
	s_cbranch_execnz .LBB22_1455
	s_branch .LBB22_1456
.LBB22_3505:
	s_movk_i32 s4, 0x80
	v_cmp_eq_u16_e32 vcc, s4, v6
	s_mov_b64 s[4:5], -1
                                        ; implicit-def: $sgpr10
	s_and_saveexec_b64 s[8:9], vcc
; %bb.3506:
	s_mov_b32 s10, 0x7f800001
	s_xor_b64 s[4:5], exec, -1
; %bb.3507:
	s_or_b64 exec, exec, s[8:9]
	s_and_b64 s[4:5], s[4:5], exec
                                        ; implicit-def: $vgpr6
	s_or_saveexec_b64 s[6:7], s[6:7]
	v_mov_b32_e32 v2, s10
	s_xor_b64 exec, exec, s[6:7]
	s_cbranch_execz .LBB22_1458
.LBB22_3508:
	v_cmp_ne_u16_e32 vcc, 0, v6
	s_andn2_b64 s[4:5], s[4:5], exec
	s_and_b64 s[8:9], vcc, exec
	v_mov_b32_e32 v2, 0
	s_or_b64 s[4:5], s[4:5], s[8:9]
	s_or_b64 exec, exec, s[6:7]
	s_and_saveexec_b64 s[6:7], s[4:5]
	s_cbranch_execnz .LBB22_1459
	s_branch .LBB22_1460
.LBB22_3509:
	s_movk_i32 s4, 0x80
	v_cmp_eq_u16_e32 vcc, s4, v6
	s_mov_b64 s[4:5], -1
                                        ; implicit-def: $sgpr10
	s_and_saveexec_b64 s[8:9], vcc
; %bb.3510:
	s_mov_b32 s10, 0x7f800001
	s_xor_b64 s[4:5], exec, -1
; %bb.3511:
	s_or_b64 exec, exec, s[8:9]
	s_and_b64 s[4:5], s[4:5], exec
                                        ; implicit-def: $vgpr6
	s_or_saveexec_b64 s[6:7], s[6:7]
	v_mov_b32_e32 v10, s10
	s_xor_b64 exec, exec, s[6:7]
	s_cbranch_execz .LBB22_1462
.LBB22_3512:
	v_cmp_ne_u16_e32 vcc, 0, v6
	s_andn2_b64 s[4:5], s[4:5], exec
	s_and_b64 s[8:9], vcc, exec
	v_mov_b32_e32 v10, 0
	s_or_b64 s[4:5], s[4:5], s[8:9]
	s_or_b64 exec, exec, s[6:7]
	s_and_saveexec_b64 s[6:7], s[4:5]
	s_cbranch_execnz .LBB22_1463
	s_branch .LBB22_1464
.LBB22_3513:
	s_movk_i32 s4, 0x80
	v_cmp_eq_u16_sdwa s[12:13], v7, s4 src0_sel:BYTE_3 src1_sel:DWORD
	s_mov_b64 s[4:5], -1
                                        ; implicit-def: $sgpr10
	s_and_saveexec_b64 s[8:9], s[12:13]
; %bb.3514:
	s_mov_b32 s10, 0x7f800001
	s_xor_b64 s[4:5], exec, -1
; %bb.3515:
	s_or_b64 exec, exec, s[8:9]
	s_and_b64 s[4:5], s[4:5], exec
	s_or_saveexec_b64 s[6:7], s[6:7]
	v_mov_b32_e32 v2, s10
	s_xor_b64 exec, exec, s[6:7]
	s_cbranch_execz .LBB22_1466
.LBB22_3516:
	v_mov_b32_e32 v2, 0
	v_cmp_ne_u16_sdwa s[8:9], v7, v2 src0_sel:BYTE_3 src1_sel:DWORD
	s_andn2_b64 s[4:5], s[4:5], exec
	s_and_b64 s[8:9], s[8:9], exec
	s_or_b64 s[4:5], s[4:5], s[8:9]
	s_or_b64 exec, exec, s[6:7]
	s_and_saveexec_b64 s[6:7], s[4:5]
	s_cbranch_execnz .LBB22_1467
	s_branch .LBB22_1468
.LBB22_3517:
	s_movk_i32 s4, 0x80
	v_cmp_eq_u16_sdwa s[12:13], v3, s4 src0_sel:BYTE_3 src1_sel:DWORD
	s_mov_b64 s[4:5], -1
                                        ; implicit-def: $sgpr10
	s_and_saveexec_b64 s[8:9], s[12:13]
; %bb.3518:
	s_mov_b32 s10, 0x7f800001
	s_xor_b64 s[4:5], exec, -1
; %bb.3519:
	s_or_b64 exec, exec, s[8:9]
	s_and_b64 s[4:5], s[4:5], exec
	s_or_saveexec_b64 s[6:7], s[6:7]
	v_mov_b32_e32 v6, s10
	s_xor_b64 exec, exec, s[6:7]
	s_cbranch_execz .LBB22_1470
.LBB22_3520:
	v_mov_b32_e32 v6, 0
	v_cmp_ne_u16_sdwa s[8:9], v3, v6 src0_sel:BYTE_3 src1_sel:DWORD
	s_andn2_b64 s[4:5], s[4:5], exec
	s_and_b64 s[8:9], s[8:9], exec
	s_or_b64 s[4:5], s[4:5], s[8:9]
	s_or_b64 exec, exec, s[6:7]
	s_and_saveexec_b64 s[6:7], s[4:5]
	s_cbranch_execnz .LBB22_1471
	s_branch .LBB22_1472
.LBB22_3521:
	s_movk_i32 s4, 0x80
	v_cmp_eq_u16_sdwa s[12:13], v8, s4 src0_sel:BYTE_0 src1_sel:DWORD
	s_mov_b64 s[4:5], -1
                                        ; implicit-def: $sgpr10
	s_and_saveexec_b64 s[8:9], s[12:13]
; %bb.3522:
	s_mov_b32 s10, 0x7f800001
	s_xor_b64 s[4:5], exec, -1
; %bb.3523:
	s_or_b64 exec, exec, s[8:9]
	s_and_b64 s[4:5], s[4:5], exec
	s_or_saveexec_b64 s[6:7], s[6:7]
	v_mov_b32_e32 v2, s10
	s_xor_b64 exec, exec, s[6:7]
	s_cbranch_execz .LBB22_1474
.LBB22_3524:
	v_mov_b32_e32 v2, 0
	v_cmp_ne_u16_sdwa s[8:9], v8, v2 src0_sel:BYTE_0 src1_sel:DWORD
	s_andn2_b64 s[4:5], s[4:5], exec
	s_and_b64 s[8:9], s[8:9], exec
	s_or_b64 s[4:5], s[4:5], s[8:9]
	s_or_b64 exec, exec, s[6:7]
	s_and_saveexec_b64 s[6:7], s[4:5]
	s_cbranch_execnz .LBB22_1475
	s_branch .LBB22_1476
.LBB22_3525:
	s_movk_i32 s4, 0x80
	v_cmp_eq_u16_sdwa s[12:13], v4, s4 src0_sel:BYTE_0 src1_sel:DWORD
	s_mov_b64 s[4:5], -1
                                        ; implicit-def: $sgpr10
	s_and_saveexec_b64 s[8:9], s[12:13]
; %bb.3526:
	s_mov_b32 s10, 0x7f800001
	s_xor_b64 s[4:5], exec, -1
; %bb.3527:
	s_or_b64 exec, exec, s[8:9]
	s_and_b64 s[4:5], s[4:5], exec
	s_or_saveexec_b64 s[6:7], s[6:7]
	v_mov_b32_e32 v3, s10
	s_xor_b64 exec, exec, s[6:7]
	s_cbranch_execz .LBB22_1478
.LBB22_3528:
	v_mov_b32_e32 v3, 0
	v_cmp_ne_u16_sdwa s[8:9], v4, v3 src0_sel:BYTE_0 src1_sel:DWORD
	s_andn2_b64 s[4:5], s[4:5], exec
	s_and_b64 s[8:9], s[8:9], exec
	s_or_b64 s[4:5], s[4:5], s[8:9]
	s_or_b64 exec, exec, s[6:7]
	s_and_saveexec_b64 s[6:7], s[4:5]
	s_cbranch_execnz .LBB22_1479
	s_branch .LBB22_1480
.LBB22_3529:
	s_movk_i32 s4, 0x80
	v_cmp_eq_u16_sdwa s[12:13], v3, s4 src0_sel:BYTE_0 src1_sel:DWORD
	s_mov_b64 s[4:5], -1
                                        ; implicit-def: $sgpr10
	s_and_saveexec_b64 s[8:9], s[12:13]
; %bb.3530:
	s_mov_b32 s10, 0x7f800001
	s_xor_b64 s[4:5], exec, -1
; %bb.3531:
	s_or_b64 exec, exec, s[8:9]
	s_and_b64 s[4:5], s[4:5], exec
	s_or_saveexec_b64 s[6:7], s[6:7]
	v_mov_b32_e32 v2, s10
	s_xor_b64 exec, exec, s[6:7]
	s_cbranch_execz .LBB22_1482
.LBB22_3532:
	v_mov_b32_e32 v2, 0
	v_cmp_ne_u16_sdwa s[8:9], v3, v2 src0_sel:BYTE_0 src1_sel:DWORD
	s_andn2_b64 s[4:5], s[4:5], exec
	s_and_b64 s[8:9], s[8:9], exec
	s_or_b64 s[4:5], s[4:5], s[8:9]
	s_or_b64 exec, exec, s[6:7]
	s_and_saveexec_b64 s[6:7], s[4:5]
	s_cbranch_execnz .LBB22_1483
	s_branch .LBB22_1484
.LBB22_3533:
	s_movk_i32 s4, 0x80
	v_cmp_eq_u16_sdwa s[12:13], v3, s4 src0_sel:BYTE_0 src1_sel:DWORD
	s_mov_b64 s[4:5], -1
                                        ; implicit-def: $sgpr10
	s_and_saveexec_b64 s[8:9], s[12:13]
; %bb.3534:
	s_mov_b32 s10, 0x7f800001
	s_xor_b64 s[4:5], exec, -1
; %bb.3535:
	s_or_b64 exec, exec, s[8:9]
	s_and_b64 s[4:5], s[4:5], exec
	s_or_saveexec_b64 s[6:7], s[6:7]
	v_mov_b32_e32 v6, s10
	s_xor_b64 exec, exec, s[6:7]
	s_cbranch_execz .LBB22_1486
.LBB22_3536:
	v_mov_b32_e32 v6, 0
	v_cmp_ne_u16_sdwa s[8:9], v3, v6 src0_sel:BYTE_0 src1_sel:DWORD
	s_andn2_b64 s[4:5], s[4:5], exec
	s_and_b64 s[8:9], s[8:9], exec
	s_or_b64 s[4:5], s[4:5], s[8:9]
	s_or_b64 exec, exec, s[6:7]
	s_and_saveexec_b64 s[6:7], s[4:5]
	s_cbranch_execnz .LBB22_1487
	s_branch .LBB22_1488
.LBB22_3537:
	s_movk_i32 s4, 0x80
	v_cmp_eq_u16_e32 vcc, s4, v3
	s_mov_b64 s[4:5], -1
                                        ; implicit-def: $sgpr10
	s_and_saveexec_b64 s[8:9], vcc
; %bb.3538:
	s_mov_b32 s10, 0x7f800001
	s_xor_b64 s[4:5], exec, -1
; %bb.3539:
	s_or_b64 exec, exec, s[8:9]
	s_and_b64 s[4:5], s[4:5], exec
                                        ; implicit-def: $vgpr3
	s_or_saveexec_b64 s[6:7], s[6:7]
	v_mov_b32_e32 v2, s10
	s_xor_b64 exec, exec, s[6:7]
	s_cbranch_execz .LBB22_1490
.LBB22_3540:
	v_cmp_ne_u16_e32 vcc, 0, v3
	s_andn2_b64 s[4:5], s[4:5], exec
	s_and_b64 s[8:9], vcc, exec
	v_mov_b32_e32 v2, 0
	s_or_b64 s[4:5], s[4:5], s[8:9]
	s_or_b64 exec, exec, s[6:7]
	s_and_saveexec_b64 s[6:7], s[4:5]
	s_cbranch_execnz .LBB22_1491
	s_branch .LBB22_1492
.LBB22_3541:
	s_movk_i32 s4, 0x80
	v_cmp_eq_u16_e32 vcc, s4, v3
	s_mov_b64 s[4:5], -1
                                        ; implicit-def: $sgpr10
	s_and_saveexec_b64 s[8:9], vcc
; %bb.3542:
	s_mov_b32 s10, 0x7f800001
	s_xor_b64 s[4:5], exec, -1
; %bb.3543:
	s_or_b64 exec, exec, s[8:9]
	s_and_b64 s[4:5], s[4:5], exec
                                        ; implicit-def: $vgpr3
	s_or_saveexec_b64 s[6:7], s[6:7]
	v_mov_b32_e32 v6, s10
	s_xor_b64 exec, exec, s[6:7]
	s_cbranch_execz .LBB22_1494
.LBB22_3544:
	v_cmp_ne_u16_e32 vcc, 0, v3
	s_andn2_b64 s[4:5], s[4:5], exec
	s_and_b64 s[8:9], vcc, exec
	v_mov_b32_e32 v6, 0
	s_or_b64 s[4:5], s[4:5], s[8:9]
	s_or_b64 exec, exec, s[6:7]
	s_and_saveexec_b64 s[6:7], s[4:5]
	s_cbranch_execnz .LBB22_1495
	s_branch .LBB22_1496
.LBB22_3545:
	s_movk_i32 s4, 0x80
	v_cmp_eq_u16_sdwa s[12:13], v8, s4 src0_sel:BYTE_3 src1_sel:DWORD
	s_mov_b64 s[4:5], -1
                                        ; implicit-def: $sgpr10
	s_and_saveexec_b64 s[8:9], s[12:13]
; %bb.3546:
	s_mov_b32 s10, 0x7f800001
	s_xor_b64 s[4:5], exec, -1
; %bb.3547:
	s_or_b64 exec, exec, s[8:9]
	s_and_b64 s[4:5], s[4:5], exec
	s_or_saveexec_b64 s[6:7], s[6:7]
	v_mov_b32_e32 v2, s10
	s_xor_b64 exec, exec, s[6:7]
	s_cbranch_execz .LBB22_1498
.LBB22_3548:
	v_mov_b32_e32 v2, 0
	v_cmp_ne_u16_sdwa s[8:9], v8, v2 src0_sel:BYTE_3 src1_sel:DWORD
	s_andn2_b64 s[4:5], s[4:5], exec
	s_and_b64 s[8:9], s[8:9], exec
	s_or_b64 s[4:5], s[4:5], s[8:9]
	s_or_b64 exec, exec, s[6:7]
	s_and_saveexec_b64 s[6:7], s[4:5]
	s_cbranch_execnz .LBB22_1499
	s_branch .LBB22_1500
.LBB22_3549:
	s_movk_i32 s4, 0x80
	v_cmp_eq_u16_sdwa s[12:13], v4, s4 src0_sel:BYTE_3 src1_sel:DWORD
	s_mov_b64 s[4:5], -1
                                        ; implicit-def: $sgpr10
	s_and_saveexec_b64 s[8:9], s[12:13]
; %bb.3550:
	s_mov_b32 s10, 0x7f800001
	s_xor_b64 s[4:5], exec, -1
; %bb.3551:
	s_or_b64 exec, exec, s[8:9]
	s_and_b64 s[4:5], s[4:5], exec
	s_or_saveexec_b64 s[6:7], s[6:7]
	v_mov_b32_e32 v3, s10
	s_xor_b64 exec, exec, s[6:7]
	s_cbranch_execz .LBB22_1502
.LBB22_3552:
	v_mov_b32_e32 v3, 0
	v_cmp_ne_u16_sdwa s[8:9], v4, v3 src0_sel:BYTE_3 src1_sel:DWORD
	s_andn2_b64 s[4:5], s[4:5], exec
	s_and_b64 s[8:9], s[8:9], exec
	s_or_b64 s[4:5], s[4:5], s[8:9]
	s_or_b64 exec, exec, s[6:7]
	s_and_saveexec_b64 s[6:7], s[4:5]
	s_cbranch_execnz .LBB22_1503
	s_branch .LBB22_1504
.LBB22_3553:
	s_movk_i32 s4, 0x80
	v_cmp_eq_u16_sdwa s[12:13], v9, s4 src0_sel:BYTE_0 src1_sel:DWORD
	s_mov_b64 s[4:5], -1
                                        ; implicit-def: $sgpr10
	s_and_saveexec_b64 s[8:9], s[12:13]
; %bb.3554:
	s_mov_b32 s10, 0x7f800001
	s_xor_b64 s[4:5], exec, -1
; %bb.3555:
	s_or_b64 exec, exec, s[8:9]
	s_and_b64 s[4:5], s[4:5], exec
	s_or_saveexec_b64 s[6:7], s[6:7]
	v_mov_b32_e32 v2, s10
	s_xor_b64 exec, exec, s[6:7]
	s_cbranch_execz .LBB22_1506
.LBB22_3556:
	v_mov_b32_e32 v2, 0
	v_cmp_ne_u16_sdwa s[8:9], v9, v2 src0_sel:BYTE_0 src1_sel:DWORD
	s_andn2_b64 s[4:5], s[4:5], exec
	s_and_b64 s[8:9], s[8:9], exec
	s_or_b64 s[4:5], s[4:5], s[8:9]
	s_or_b64 exec, exec, s[6:7]
	s_and_saveexec_b64 s[6:7], s[4:5]
	s_cbranch_execnz .LBB22_1507
	s_branch .LBB22_1508
.LBB22_3557:
	s_movk_i32 s4, 0x80
	v_cmp_eq_u16_sdwa s[12:13], v5, s4 src0_sel:BYTE_0 src1_sel:DWORD
	s_mov_b64 s[4:5], -1
                                        ; implicit-def: $sgpr10
	s_and_saveexec_b64 s[8:9], s[12:13]
; %bb.3558:
	s_mov_b32 s10, 0x7f800001
	s_xor_b64 s[4:5], exec, -1
; %bb.3559:
	s_or_b64 exec, exec, s[8:9]
	s_and_b64 s[4:5], s[4:5], exec
	s_or_saveexec_b64 s[6:7], s[6:7]
	v_mov_b32_e32 v3, s10
	s_xor_b64 exec, exec, s[6:7]
	s_cbranch_execz .LBB22_1510
.LBB22_3560:
	v_mov_b32_e32 v3, 0
	v_cmp_ne_u16_sdwa s[8:9], v5, v3 src0_sel:BYTE_0 src1_sel:DWORD
	s_andn2_b64 s[4:5], s[4:5], exec
	s_and_b64 s[8:9], s[8:9], exec
	s_or_b64 s[4:5], s[4:5], s[8:9]
	s_or_b64 exec, exec, s[6:7]
	s_and_saveexec_b64 s[6:7], s[4:5]
	s_cbranch_execnz .LBB22_1511
	s_branch .LBB22_1512
.LBB22_3561:
	s_movk_i32 s4, 0x80
	v_cmp_eq_u16_sdwa s[12:13], v3, s4 src0_sel:BYTE_0 src1_sel:DWORD
	s_mov_b64 s[4:5], -1
                                        ; implicit-def: $sgpr10
	s_and_saveexec_b64 s[8:9], s[12:13]
; %bb.3562:
	s_mov_b32 s10, 0x7f800001
	s_xor_b64 s[4:5], exec, -1
; %bb.3563:
	s_or_b64 exec, exec, s[8:9]
	s_and_b64 s[4:5], s[4:5], exec
	s_or_saveexec_b64 s[6:7], s[6:7]
	v_mov_b32_e32 v2, s10
	s_xor_b64 exec, exec, s[6:7]
	s_cbranch_execz .LBB22_1514
.LBB22_3564:
	v_mov_b32_e32 v2, 0
	v_cmp_ne_u16_sdwa s[8:9], v3, v2 src0_sel:BYTE_0 src1_sel:DWORD
	s_andn2_b64 s[4:5], s[4:5], exec
	s_and_b64 s[8:9], s[8:9], exec
	s_or_b64 s[4:5], s[4:5], s[8:9]
	s_or_b64 exec, exec, s[6:7]
	s_and_saveexec_b64 s[6:7], s[4:5]
	s_cbranch_execnz .LBB22_1515
	s_branch .LBB22_1516
.LBB22_3565:
	s_movk_i32 s4, 0x80
	v_cmp_eq_u16_sdwa s[12:13], v3, s4 src0_sel:BYTE_0 src1_sel:DWORD
	s_mov_b64 s[4:5], -1
                                        ; implicit-def: $sgpr10
	s_and_saveexec_b64 s[8:9], s[12:13]
; %bb.3566:
	s_mov_b32 s10, 0x7f800001
	s_xor_b64 s[4:5], exec, -1
; %bb.3567:
	s_or_b64 exec, exec, s[8:9]
	s_and_b64 s[4:5], s[4:5], exec
	s_or_saveexec_b64 s[6:7], s[6:7]
	v_mov_b32_e32 v4, s10
	s_xor_b64 exec, exec, s[6:7]
	s_cbranch_execz .LBB22_1518
.LBB22_3568:
	v_mov_b32_e32 v4, 0
	v_cmp_ne_u16_sdwa s[8:9], v3, v4 src0_sel:BYTE_0 src1_sel:DWORD
	s_andn2_b64 s[4:5], s[4:5], exec
	s_and_b64 s[8:9], s[8:9], exec
	s_or_b64 s[4:5], s[4:5], s[8:9]
	s_or_b64 exec, exec, s[6:7]
	s_and_saveexec_b64 s[6:7], s[4:5]
	s_cbranch_execnz .LBB22_1519
	s_branch .LBB22_1520
.LBB22_3569:
	s_movk_i32 s4, 0x80
	v_cmp_eq_u16_e32 vcc, s4, v3
	s_mov_b64 s[4:5], -1
                                        ; implicit-def: $sgpr10
	s_and_saveexec_b64 s[8:9], vcc
; %bb.3570:
	s_mov_b32 s10, 0x7f800001
	s_xor_b64 s[4:5], exec, -1
; %bb.3571:
	s_or_b64 exec, exec, s[8:9]
	s_and_b64 s[4:5], s[4:5], exec
                                        ; implicit-def: $vgpr3
	s_or_saveexec_b64 s[6:7], s[6:7]
	v_mov_b32_e32 v2, s10
	s_xor_b64 exec, exec, s[6:7]
	s_cbranch_execz .LBB22_1522
.LBB22_3572:
	v_cmp_ne_u16_e32 vcc, 0, v3
	s_andn2_b64 s[4:5], s[4:5], exec
	s_and_b64 s[8:9], vcc, exec
	v_mov_b32_e32 v2, 0
	s_or_b64 s[4:5], s[4:5], s[8:9]
	s_or_b64 exec, exec, s[6:7]
	s_and_saveexec_b64 s[6:7], s[4:5]
	s_cbranch_execnz .LBB22_1523
	s_branch .LBB22_1524
.LBB22_3573:
	s_movk_i32 s4, 0x80
	v_cmp_eq_u16_e32 vcc, s4, v3
	s_mov_b64 s[4:5], -1
                                        ; implicit-def: $sgpr10
	s_and_saveexec_b64 s[8:9], vcc
; %bb.3574:
	s_mov_b32 s10, 0x7f800001
	s_xor_b64 s[4:5], exec, -1
; %bb.3575:
	s_or_b64 exec, exec, s[8:9]
	s_and_b64 s[4:5], s[4:5], exec
                                        ; implicit-def: $vgpr3
	s_or_saveexec_b64 s[6:7], s[6:7]
	v_mov_b32_e32 v4, s10
	s_xor_b64 exec, exec, s[6:7]
	s_cbranch_execz .LBB22_1526
.LBB22_3576:
	v_cmp_ne_u16_e32 vcc, 0, v3
	s_andn2_b64 s[4:5], s[4:5], exec
	s_and_b64 s[8:9], vcc, exec
	v_mov_b32_e32 v4, 0
	s_or_b64 s[4:5], s[4:5], s[8:9]
	s_or_b64 exec, exec, s[6:7]
	s_and_saveexec_b64 s[6:7], s[4:5]
	s_cbranch_execnz .LBB22_1527
	s_branch .LBB22_1528
.LBB22_3577:
	s_movk_i32 s4, 0x80
	v_cmp_eq_u16_sdwa s[12:13], v9, s4 src0_sel:BYTE_3 src1_sel:DWORD
	s_mov_b64 s[4:5], -1
                                        ; implicit-def: $sgpr10
	s_and_saveexec_b64 s[8:9], s[12:13]
; %bb.3578:
	s_mov_b32 s10, 0x7f800001
	s_xor_b64 s[4:5], exec, -1
; %bb.3579:
	s_or_b64 exec, exec, s[8:9]
	s_and_b64 s[4:5], s[4:5], exec
	s_or_saveexec_b64 s[6:7], s[6:7]
	v_mov_b32_e32 v2, s10
	s_xor_b64 exec, exec, s[6:7]
	s_cbranch_execz .LBB22_1530
.LBB22_3580:
	v_mov_b32_e32 v2, 0
	v_cmp_ne_u16_sdwa s[8:9], v9, v2 src0_sel:BYTE_3 src1_sel:DWORD
	s_andn2_b64 s[4:5], s[4:5], exec
	s_and_b64 s[8:9], s[8:9], exec
	s_or_b64 s[4:5], s[4:5], s[8:9]
	s_or_b64 exec, exec, s[6:7]
	s_and_saveexec_b64 s[6:7], s[4:5]
	s_cbranch_execnz .LBB22_1531
	s_branch .LBB22_1532
.LBB22_3581:
	s_movk_i32 s4, 0x80
	v_cmp_eq_u16_sdwa s[12:13], v5, s4 src0_sel:BYTE_3 src1_sel:DWORD
	s_mov_b64 s[4:5], -1
                                        ; implicit-def: $sgpr10
	s_and_saveexec_b64 s[8:9], s[12:13]
; %bb.3582:
	s_mov_b32 s10, 0x7f800001
	s_xor_b64 s[4:5], exec, -1
; %bb.3583:
	s_or_b64 exec, exec, s[8:9]
	s_and_b64 s[4:5], s[4:5], exec
	s_or_saveexec_b64 s[6:7], s[6:7]
	v_mov_b32_e32 v3, s10
	s_xor_b64 exec, exec, s[6:7]
	s_cbranch_execz .LBB22_1534
.LBB22_3584:
	v_mov_b32_e32 v3, 0
	v_cmp_ne_u16_sdwa s[8:9], v5, v3 src0_sel:BYTE_3 src1_sel:DWORD
	s_andn2_b64 s[4:5], s[4:5], exec
	s_and_b64 s[8:9], s[8:9], exec
	s_or_b64 s[4:5], s[4:5], s[8:9]
	s_or_b64 exec, exec, s[6:7]
	s_and_saveexec_b64 s[6:7], s[4:5]
	s_cbranch_execnz .LBB22_1535
	s_branch .LBB22_1536
.LBB22_3585:
	s_movk_i32 s4, 0x80
	v_cmp_eq_u16_sdwa s[12:13], v14, s4 src0_sel:BYTE_0 src1_sel:DWORD
	s_mov_b64 s[4:5], -1
                                        ; implicit-def: $sgpr10
	s_and_saveexec_b64 s[8:9], s[12:13]
; %bb.3586:
	s_mov_b32 s10, 0x7f800001
	s_xor_b64 s[4:5], exec, -1
; %bb.3587:
	s_or_b64 exec, exec, s[8:9]
	s_and_b64 s[4:5], s[4:5], exec
	s_or_saveexec_b64 s[6:7], s[6:7]
	v_mov_b32_e32 v20, s10
	s_xor_b64 exec, exec, s[6:7]
	s_cbranch_execz .LBB22_1538
.LBB22_3588:
	v_mov_b32_e32 v20, 0
	v_cmp_ne_u16_sdwa s[8:9], v14, v20 src0_sel:BYTE_0 src1_sel:DWORD
	s_andn2_b64 s[4:5], s[4:5], exec
	s_and_b64 s[8:9], s[8:9], exec
	s_or_b64 s[4:5], s[4:5], s[8:9]
	s_or_b64 exec, exec, s[6:7]
	s_and_saveexec_b64 s[6:7], s[4:5]
	s_cbranch_execnz .LBB22_1539
	s_branch .LBB22_1540
.LBB22_3589:
	s_movk_i32 s4, 0x80
	v_cmp_eq_u16_sdwa s[12:13], v10, s4 src0_sel:BYTE_0 src1_sel:DWORD
	s_mov_b64 s[4:5], -1
                                        ; implicit-def: $sgpr10
	s_and_saveexec_b64 s[8:9], s[12:13]
; %bb.3590:
	s_mov_b32 s10, 0x7f800001
	s_xor_b64 s[4:5], exec, -1
; %bb.3591:
	s_or_b64 exec, exec, s[8:9]
	s_and_b64 s[4:5], s[4:5], exec
	s_or_saveexec_b64 s[6:7], s[6:7]
	v_mov_b32_e32 v21, s10
	s_xor_b64 exec, exec, s[6:7]
	s_cbranch_execz .LBB22_1542
.LBB22_3592:
	v_mov_b32_e32 v21, 0
	v_cmp_ne_u16_sdwa s[8:9], v10, v21 src0_sel:BYTE_0 src1_sel:DWORD
	s_andn2_b64 s[4:5], s[4:5], exec
	s_and_b64 s[8:9], s[8:9], exec
	s_or_b64 s[4:5], s[4:5], s[8:9]
	s_or_b64 exec, exec, s[6:7]
	s_and_saveexec_b64 s[6:7], s[4:5]
	s_cbranch_execnz .LBB22_1543
	s_branch .LBB22_1544
.LBB22_3593:
	s_movk_i32 s4, 0x80
	v_cmp_eq_u16_sdwa s[12:13], v21, s4 src0_sel:BYTE_0 src1_sel:DWORD
	s_mov_b64 s[4:5], -1
                                        ; implicit-def: $sgpr10
	s_and_saveexec_b64 s[8:9], s[12:13]
; %bb.3594:
	s_mov_b32 s10, 0x7f800001
	s_xor_b64 s[4:5], exec, -1
; %bb.3595:
	s_or_b64 exec, exec, s[8:9]
	s_and_b64 s[4:5], s[4:5], exec
	s_or_saveexec_b64 s[6:7], s[6:7]
	v_mov_b32_e32 v20, s10
	s_xor_b64 exec, exec, s[6:7]
	s_cbranch_execz .LBB22_1546
.LBB22_3596:
	v_mov_b32_e32 v20, 0
	v_cmp_ne_u16_sdwa s[8:9], v21, v20 src0_sel:BYTE_0 src1_sel:DWORD
	s_andn2_b64 s[4:5], s[4:5], exec
	s_and_b64 s[8:9], s[8:9], exec
	s_or_b64 s[4:5], s[4:5], s[8:9]
	s_or_b64 exec, exec, s[6:7]
	s_and_saveexec_b64 s[6:7], s[4:5]
	s_cbranch_execnz .LBB22_1547
	s_branch .LBB22_1548
.LBB22_3597:
	s_movk_i32 s4, 0x80
	v_cmp_eq_u16_sdwa s[12:13], v21, s4 src0_sel:BYTE_0 src1_sel:DWORD
	s_mov_b64 s[4:5], -1
                                        ; implicit-def: $sgpr10
	s_and_saveexec_b64 s[8:9], s[12:13]
; %bb.3598:
	s_mov_b32 s10, 0x7f800001
	s_xor_b64 s[4:5], exec, -1
; %bb.3599:
	s_or_b64 exec, exec, s[8:9]
	s_and_b64 s[4:5], s[4:5], exec
	s_or_saveexec_b64 s[6:7], s[6:7]
	v_mov_b32_e32 v22, s10
	s_xor_b64 exec, exec, s[6:7]
	s_cbranch_execz .LBB22_1550
.LBB22_3600:
	v_mov_b32_e32 v22, 0
	v_cmp_ne_u16_sdwa s[8:9], v21, v22 src0_sel:BYTE_0 src1_sel:DWORD
	s_andn2_b64 s[4:5], s[4:5], exec
	s_and_b64 s[8:9], s[8:9], exec
	s_or_b64 s[4:5], s[4:5], s[8:9]
	s_or_b64 exec, exec, s[6:7]
	s_and_saveexec_b64 s[6:7], s[4:5]
	s_cbranch_execnz .LBB22_1551
	s_branch .LBB22_1552
.LBB22_3601:
	s_movk_i32 s4, 0x80
	v_cmp_eq_u16_e32 vcc, s4, v21
	s_mov_b64 s[4:5], -1
                                        ; implicit-def: $sgpr10
	s_and_saveexec_b64 s[8:9], vcc
; %bb.3602:
	s_mov_b32 s10, 0x7f800001
	s_xor_b64 s[4:5], exec, -1
; %bb.3603:
	s_or_b64 exec, exec, s[8:9]
	s_and_b64 s[4:5], s[4:5], exec
                                        ; implicit-def: $vgpr21
	s_or_saveexec_b64 s[6:7], s[6:7]
	v_mov_b32_e32 v20, s10
	s_xor_b64 exec, exec, s[6:7]
	s_cbranch_execz .LBB22_1554
.LBB22_3604:
	v_cmp_ne_u16_e32 vcc, 0, v21
	s_andn2_b64 s[4:5], s[4:5], exec
	s_and_b64 s[8:9], vcc, exec
	v_mov_b32_e32 v20, 0
	s_or_b64 s[4:5], s[4:5], s[8:9]
	s_or_b64 exec, exec, s[6:7]
	s_and_saveexec_b64 s[6:7], s[4:5]
	s_cbranch_execnz .LBB22_1555
	s_branch .LBB22_1556
.LBB22_3605:
	s_movk_i32 s4, 0x80
	v_cmp_eq_u16_e32 vcc, s4, v21
	s_mov_b64 s[4:5], -1
                                        ; implicit-def: $sgpr10
	s_and_saveexec_b64 s[8:9], vcc
; %bb.3606:
	s_mov_b32 s10, 0x7f800001
	s_xor_b64 s[4:5], exec, -1
; %bb.3607:
	s_or_b64 exec, exec, s[8:9]
	s_and_b64 s[4:5], s[4:5], exec
                                        ; implicit-def: $vgpr21
	s_or_saveexec_b64 s[6:7], s[6:7]
	v_mov_b32_e32 v22, s10
	s_xor_b64 exec, exec, s[6:7]
	s_cbranch_execz .LBB22_1558
.LBB22_3608:
	v_cmp_ne_u16_e32 vcc, 0, v21
	s_andn2_b64 s[4:5], s[4:5], exec
	s_and_b64 s[8:9], vcc, exec
	v_mov_b32_e32 v22, 0
	s_or_b64 s[4:5], s[4:5], s[8:9]
	s_or_b64 exec, exec, s[6:7]
	s_and_saveexec_b64 s[6:7], s[4:5]
	s_cbranch_execnz .LBB22_1559
	s_branch .LBB22_1560
.LBB22_3609:
	s_movk_i32 s4, 0x80
	v_cmp_eq_u16_sdwa s[12:13], v14, s4 src0_sel:BYTE_3 src1_sel:DWORD
	s_mov_b64 s[4:5], -1
                                        ; implicit-def: $sgpr10
	s_and_saveexec_b64 s[8:9], s[12:13]
; %bb.3610:
	s_mov_b32 s10, 0x7f800001
	s_xor_b64 s[4:5], exec, -1
; %bb.3611:
	s_or_b64 exec, exec, s[8:9]
	s_and_b64 s[4:5], s[4:5], exec
	s_or_saveexec_b64 s[6:7], s[6:7]
	v_mov_b32_e32 v20, s10
	s_xor_b64 exec, exec, s[6:7]
	s_cbranch_execz .LBB22_1562
.LBB22_3612:
	v_mov_b32_e32 v20, 0
	v_cmp_ne_u16_sdwa s[8:9], v14, v20 src0_sel:BYTE_3 src1_sel:DWORD
	s_andn2_b64 s[4:5], s[4:5], exec
	s_and_b64 s[8:9], s[8:9], exec
	s_or_b64 s[4:5], s[4:5], s[8:9]
	s_or_b64 exec, exec, s[6:7]
	s_and_saveexec_b64 s[6:7], s[4:5]
	s_cbranch_execnz .LBB22_1563
	s_branch .LBB22_1564
.LBB22_3613:
	s_movk_i32 s4, 0x80
	v_cmp_eq_u16_sdwa s[12:13], v10, s4 src0_sel:BYTE_3 src1_sel:DWORD
	s_mov_b64 s[4:5], -1
                                        ; implicit-def: $sgpr10
	s_and_saveexec_b64 s[8:9], s[12:13]
; %bb.3614:
	s_mov_b32 s10, 0x7f800001
	s_xor_b64 s[4:5], exec, -1
; %bb.3615:
	s_or_b64 exec, exec, s[8:9]
	s_and_b64 s[4:5], s[4:5], exec
	s_or_saveexec_b64 s[6:7], s[6:7]
	v_mov_b32_e32 v14, s10
	s_xor_b64 exec, exec, s[6:7]
	s_cbranch_execz .LBB22_1566
.LBB22_3616:
	v_mov_b32_e32 v14, 0
	v_cmp_ne_u16_sdwa s[8:9], v10, v14 src0_sel:BYTE_3 src1_sel:DWORD
	s_andn2_b64 s[4:5], s[4:5], exec
	s_and_b64 s[8:9], s[8:9], exec
	s_or_b64 s[4:5], s[4:5], s[8:9]
	s_or_b64 exec, exec, s[6:7]
	s_and_saveexec_b64 s[6:7], s[4:5]
	s_cbranch_execnz .LBB22_1567
	s_branch .LBB22_1568
.LBB22_3617:
	s_movk_i32 s4, 0x80
	v_cmp_eq_u16_sdwa s[12:13], v15, s4 src0_sel:BYTE_0 src1_sel:DWORD
	s_mov_b64 s[4:5], -1
                                        ; implicit-def: $sgpr10
	s_and_saveexec_b64 s[8:9], s[12:13]
; %bb.3618:
	s_mov_b32 s10, 0x7f800001
	s_xor_b64 s[4:5], exec, -1
; %bb.3619:
	s_or_b64 exec, exec, s[8:9]
	s_and_b64 s[4:5], s[4:5], exec
	s_or_saveexec_b64 s[6:7], s[6:7]
	v_mov_b32_e32 v10, s10
	s_xor_b64 exec, exec, s[6:7]
	s_cbranch_execz .LBB22_1570
.LBB22_3620:
	v_mov_b32_e32 v10, 0
	v_cmp_ne_u16_sdwa s[8:9], v15, v10 src0_sel:BYTE_0 src1_sel:DWORD
	s_andn2_b64 s[4:5], s[4:5], exec
	s_and_b64 s[8:9], s[8:9], exec
	s_or_b64 s[4:5], s[4:5], s[8:9]
	s_or_b64 exec, exec, s[6:7]
	s_and_saveexec_b64 s[6:7], s[4:5]
	s_cbranch_execnz .LBB22_1571
	s_branch .LBB22_1572
.LBB22_3621:
	s_movk_i32 s4, 0x80
	v_cmp_eq_u16_sdwa s[12:13], v11, s4 src0_sel:BYTE_0 src1_sel:DWORD
	s_mov_b64 s[4:5], -1
                                        ; implicit-def: $sgpr10
	s_and_saveexec_b64 s[8:9], s[12:13]
; %bb.3622:
	s_mov_b32 s10, 0x7f800001
	s_xor_b64 s[4:5], exec, -1
; %bb.3623:
	s_or_b64 exec, exec, s[8:9]
	s_and_b64 s[4:5], s[4:5], exec
	s_or_saveexec_b64 s[6:7], s[6:7]
	v_mov_b32_e32 v14, s10
	s_xor_b64 exec, exec, s[6:7]
	s_cbranch_execz .LBB22_1574
.LBB22_3624:
	v_mov_b32_e32 v14, 0
	v_cmp_ne_u16_sdwa s[8:9], v11, v14 src0_sel:BYTE_0 src1_sel:DWORD
	s_andn2_b64 s[4:5], s[4:5], exec
	s_and_b64 s[8:9], s[8:9], exec
	s_or_b64 s[4:5], s[4:5], s[8:9]
	s_or_b64 exec, exec, s[6:7]
	s_and_saveexec_b64 s[6:7], s[4:5]
	s_cbranch_execnz .LBB22_1575
	s_branch .LBB22_1576
.LBB22_3625:
	s_movk_i32 s4, 0x80
	v_cmp_eq_u16_sdwa s[12:13], v14, s4 src0_sel:BYTE_0 src1_sel:DWORD
	s_mov_b64 s[4:5], -1
                                        ; implicit-def: $sgpr10
	s_and_saveexec_b64 s[8:9], s[12:13]
; %bb.3626:
	s_mov_b32 s10, 0x7f800001
	s_xor_b64 s[4:5], exec, -1
; %bb.3627:
	s_or_b64 exec, exec, s[8:9]
	s_and_b64 s[4:5], s[4:5], exec
	s_or_saveexec_b64 s[6:7], s[6:7]
	v_mov_b32_e32 v10, s10
	s_xor_b64 exec, exec, s[6:7]
	s_cbranch_execz .LBB22_1578
.LBB22_3628:
	v_mov_b32_e32 v10, 0
	v_cmp_ne_u16_sdwa s[8:9], v14, v10 src0_sel:BYTE_0 src1_sel:DWORD
	s_andn2_b64 s[4:5], s[4:5], exec
	s_and_b64 s[8:9], s[8:9], exec
	s_or_b64 s[4:5], s[4:5], s[8:9]
	s_or_b64 exec, exec, s[6:7]
	s_and_saveexec_b64 s[6:7], s[4:5]
	s_cbranch_execnz .LBB22_1579
	s_branch .LBB22_1580
.LBB22_3629:
	s_movk_i32 s4, 0x80
	v_cmp_eq_u16_sdwa s[12:13], v14, s4 src0_sel:BYTE_0 src1_sel:DWORD
	s_mov_b64 s[4:5], -1
                                        ; implicit-def: $sgpr10
	s_and_saveexec_b64 s[8:9], s[12:13]
; %bb.3630:
	s_mov_b32 s10, 0x7f800001
	s_xor_b64 s[4:5], exec, -1
; %bb.3631:
	s_or_b64 exec, exec, s[8:9]
	s_and_b64 s[4:5], s[4:5], exec
	s_or_saveexec_b64 s[6:7], s[6:7]
	v_mov_b32_e32 v20, s10
	s_xor_b64 exec, exec, s[6:7]
	s_cbranch_execz .LBB22_1582
.LBB22_3632:
	v_mov_b32_e32 v20, 0
	v_cmp_ne_u16_sdwa s[8:9], v14, v20 src0_sel:BYTE_0 src1_sel:DWORD
	s_andn2_b64 s[4:5], s[4:5], exec
	s_and_b64 s[8:9], s[8:9], exec
	s_or_b64 s[4:5], s[4:5], s[8:9]
	s_or_b64 exec, exec, s[6:7]
	s_and_saveexec_b64 s[6:7], s[4:5]
	s_cbranch_execnz .LBB22_1583
	s_branch .LBB22_1584
.LBB22_3633:
	s_movk_i32 s4, 0x80
	v_cmp_eq_u16_e32 vcc, s4, v14
	s_mov_b64 s[4:5], -1
                                        ; implicit-def: $sgpr10
	s_and_saveexec_b64 s[8:9], vcc
; %bb.3634:
	s_mov_b32 s10, 0x7f800001
	s_xor_b64 s[4:5], exec, -1
; %bb.3635:
	s_or_b64 exec, exec, s[8:9]
	s_and_b64 s[4:5], s[4:5], exec
                                        ; implicit-def: $vgpr14
	s_or_saveexec_b64 s[6:7], s[6:7]
	v_mov_b32_e32 v10, s10
	s_xor_b64 exec, exec, s[6:7]
	s_cbranch_execz .LBB22_1586
.LBB22_3636:
	v_cmp_ne_u16_e32 vcc, 0, v14
	s_andn2_b64 s[4:5], s[4:5], exec
	s_and_b64 s[8:9], vcc, exec
	v_mov_b32_e32 v10, 0
	s_or_b64 s[4:5], s[4:5], s[8:9]
	s_or_b64 exec, exec, s[6:7]
	s_and_saveexec_b64 s[6:7], s[4:5]
	s_cbranch_execnz .LBB22_1587
	s_branch .LBB22_1588
.LBB22_3637:
	s_movk_i32 s4, 0x80
	v_cmp_eq_u16_e32 vcc, s4, v14
	s_mov_b64 s[4:5], -1
                                        ; implicit-def: $sgpr10
	s_and_saveexec_b64 s[8:9], vcc
; %bb.3638:
	s_mov_b32 s10, 0x7f800001
	s_xor_b64 s[4:5], exec, -1
; %bb.3639:
	s_or_b64 exec, exec, s[8:9]
	s_and_b64 s[4:5], s[4:5], exec
                                        ; implicit-def: $vgpr14
	s_or_saveexec_b64 s[6:7], s[6:7]
	v_mov_b32_e32 v20, s10
	s_xor_b64 exec, exec, s[6:7]
	s_cbranch_execz .LBB22_1590
.LBB22_3640:
	v_cmp_ne_u16_e32 vcc, 0, v14
	s_andn2_b64 s[4:5], s[4:5], exec
	s_and_b64 s[8:9], vcc, exec
	v_mov_b32_e32 v20, 0
	s_or_b64 s[4:5], s[4:5], s[8:9]
	s_or_b64 exec, exec, s[6:7]
	s_and_saveexec_b64 s[6:7], s[4:5]
	s_cbranch_execnz .LBB22_1591
	s_branch .LBB22_1592
.LBB22_3641:
	s_movk_i32 s4, 0x80
	v_cmp_eq_u16_sdwa s[12:13], v15, s4 src0_sel:BYTE_3 src1_sel:DWORD
	s_mov_b64 s[4:5], -1
                                        ; implicit-def: $sgpr10
	s_and_saveexec_b64 s[8:9], s[12:13]
; %bb.3642:
	s_mov_b32 s10, 0x7f800001
	s_xor_b64 s[4:5], exec, -1
; %bb.3643:
	s_or_b64 exec, exec, s[8:9]
	s_and_b64 s[4:5], s[4:5], exec
	s_or_saveexec_b64 s[6:7], s[6:7]
	v_mov_b32_e32 v10, s10
	s_xor_b64 exec, exec, s[6:7]
	s_cbranch_execz .LBB22_1594
.LBB22_3644:
	v_mov_b32_e32 v10, 0
	v_cmp_ne_u16_sdwa s[8:9], v15, v10 src0_sel:BYTE_3 src1_sel:DWORD
	s_andn2_b64 s[4:5], s[4:5], exec
	s_and_b64 s[8:9], s[8:9], exec
	s_or_b64 s[4:5], s[4:5], s[8:9]
	s_or_b64 exec, exec, s[6:7]
	s_and_saveexec_b64 s[6:7], s[4:5]
	s_cbranch_execnz .LBB22_1595
	s_branch .LBB22_1596
.LBB22_3645:
	s_movk_i32 s4, 0x80
	v_cmp_eq_u16_sdwa s[12:13], v11, s4 src0_sel:BYTE_3 src1_sel:DWORD
	s_mov_b64 s[4:5], -1
                                        ; implicit-def: $sgpr10
	s_and_saveexec_b64 s[8:9], s[12:13]
; %bb.3646:
	s_mov_b32 s10, 0x7f800001
	s_xor_b64 s[4:5], exec, -1
; %bb.3647:
	s_or_b64 exec, exec, s[8:9]
	s_and_b64 s[4:5], s[4:5], exec
	s_or_saveexec_b64 s[6:7], s[6:7]
	v_mov_b32_e32 v14, s10
	s_xor_b64 exec, exec, s[6:7]
	s_cbranch_execz .LBB22_1598
.LBB22_3648:
	v_mov_b32_e32 v14, 0
	v_cmp_ne_u16_sdwa s[8:9], v11, v14 src0_sel:BYTE_3 src1_sel:DWORD
	s_andn2_b64 s[4:5], s[4:5], exec
	s_and_b64 s[8:9], s[8:9], exec
	s_or_b64 s[4:5], s[4:5], s[8:9]
	s_or_b64 exec, exec, s[6:7]
	s_and_saveexec_b64 s[6:7], s[4:5]
	s_cbranch_execnz .LBB22_1599
	s_branch .LBB22_1600
.LBB22_3649:
	s_movk_i32 s4, 0x80
	v_cmp_eq_u16_sdwa s[12:13], v16, s4 src0_sel:BYTE_0 src1_sel:DWORD
	s_mov_b64 s[4:5], -1
                                        ; implicit-def: $sgpr10
	s_and_saveexec_b64 s[8:9], s[12:13]
; %bb.3650:
	s_mov_b32 s10, 0x7f800001
	s_xor_b64 s[4:5], exec, -1
; %bb.3651:
	s_or_b64 exec, exec, s[8:9]
	s_and_b64 s[4:5], s[4:5], exec
	s_or_saveexec_b64 s[6:7], s[6:7]
	v_mov_b32_e32 v10, s10
	s_xor_b64 exec, exec, s[6:7]
	s_cbranch_execz .LBB22_1602
.LBB22_3652:
	v_mov_b32_e32 v10, 0
	v_cmp_ne_u16_sdwa s[8:9], v16, v10 src0_sel:BYTE_0 src1_sel:DWORD
	s_andn2_b64 s[4:5], s[4:5], exec
	s_and_b64 s[8:9], s[8:9], exec
	s_or_b64 s[4:5], s[4:5], s[8:9]
	s_or_b64 exec, exec, s[6:7]
	s_and_saveexec_b64 s[6:7], s[4:5]
	s_cbranch_execnz .LBB22_1603
	s_branch .LBB22_1604
.LBB22_3653:
	s_movk_i32 s4, 0x80
	v_cmp_eq_u16_sdwa s[12:13], v12, s4 src0_sel:BYTE_0 src1_sel:DWORD
	s_mov_b64 s[4:5], -1
                                        ; implicit-def: $sgpr10
	s_and_saveexec_b64 s[8:9], s[12:13]
; %bb.3654:
	s_mov_b32 s10, 0x7f800001
	s_xor_b64 s[4:5], exec, -1
; %bb.3655:
	s_or_b64 exec, exec, s[8:9]
	s_and_b64 s[4:5], s[4:5], exec
	s_or_saveexec_b64 s[6:7], s[6:7]
	v_mov_b32_e32 v11, s10
	s_xor_b64 exec, exec, s[6:7]
	s_cbranch_execz .LBB22_1606
.LBB22_3656:
	v_mov_b32_e32 v11, 0
	v_cmp_ne_u16_sdwa s[8:9], v12, v11 src0_sel:BYTE_0 src1_sel:DWORD
	s_andn2_b64 s[4:5], s[4:5], exec
	s_and_b64 s[8:9], s[8:9], exec
	s_or_b64 s[4:5], s[4:5], s[8:9]
	s_or_b64 exec, exec, s[6:7]
	s_and_saveexec_b64 s[6:7], s[4:5]
	s_cbranch_execnz .LBB22_1607
	s_branch .LBB22_1608
.LBB22_3657:
	s_movk_i32 s4, 0x80
	v_cmp_eq_u16_sdwa s[12:13], v11, s4 src0_sel:BYTE_0 src1_sel:DWORD
	s_mov_b64 s[4:5], -1
                                        ; implicit-def: $sgpr10
	s_and_saveexec_b64 s[8:9], s[12:13]
; %bb.3658:
	s_mov_b32 s10, 0x7f800001
	s_xor_b64 s[4:5], exec, -1
; %bb.3659:
	s_or_b64 exec, exec, s[8:9]
	s_and_b64 s[4:5], s[4:5], exec
	s_or_saveexec_b64 s[6:7], s[6:7]
	v_mov_b32_e32 v10, s10
	s_xor_b64 exec, exec, s[6:7]
	s_cbranch_execz .LBB22_1610
.LBB22_3660:
	v_mov_b32_e32 v10, 0
	v_cmp_ne_u16_sdwa s[8:9], v11, v10 src0_sel:BYTE_0 src1_sel:DWORD
	s_andn2_b64 s[4:5], s[4:5], exec
	s_and_b64 s[8:9], s[8:9], exec
	s_or_b64 s[4:5], s[4:5], s[8:9]
	s_or_b64 exec, exec, s[6:7]
	s_and_saveexec_b64 s[6:7], s[4:5]
	s_cbranch_execnz .LBB22_1611
	s_branch .LBB22_1612
.LBB22_3661:
	s_movk_i32 s4, 0x80
	v_cmp_eq_u16_sdwa s[12:13], v11, s4 src0_sel:BYTE_0 src1_sel:DWORD
	s_mov_b64 s[4:5], -1
                                        ; implicit-def: $sgpr10
	s_and_saveexec_b64 s[8:9], s[12:13]
; %bb.3662:
	s_mov_b32 s10, 0x7f800001
	s_xor_b64 s[4:5], exec, -1
; %bb.3663:
	s_or_b64 exec, exec, s[8:9]
	s_and_b64 s[4:5], s[4:5], exec
	s_or_saveexec_b64 s[6:7], s[6:7]
	v_mov_b32_e32 v14, s10
	s_xor_b64 exec, exec, s[6:7]
	s_cbranch_execz .LBB22_1614
.LBB22_3664:
	v_mov_b32_e32 v14, 0
	v_cmp_ne_u16_sdwa s[8:9], v11, v14 src0_sel:BYTE_0 src1_sel:DWORD
	s_andn2_b64 s[4:5], s[4:5], exec
	s_and_b64 s[8:9], s[8:9], exec
	s_or_b64 s[4:5], s[4:5], s[8:9]
	s_or_b64 exec, exec, s[6:7]
	s_and_saveexec_b64 s[6:7], s[4:5]
	s_cbranch_execnz .LBB22_1615
	s_branch .LBB22_1616
.LBB22_3665:
	s_movk_i32 s4, 0x80
	v_cmp_eq_u16_e32 vcc, s4, v11
	s_mov_b64 s[4:5], -1
                                        ; implicit-def: $sgpr10
	s_and_saveexec_b64 s[8:9], vcc
; %bb.3666:
	s_mov_b32 s10, 0x7f800001
	s_xor_b64 s[4:5], exec, -1
; %bb.3667:
	s_or_b64 exec, exec, s[8:9]
	s_and_b64 s[4:5], s[4:5], exec
                                        ; implicit-def: $vgpr11
	s_or_saveexec_b64 s[6:7], s[6:7]
	v_mov_b32_e32 v10, s10
	s_xor_b64 exec, exec, s[6:7]
	s_cbranch_execz .LBB22_1618
.LBB22_3668:
	v_cmp_ne_u16_e32 vcc, 0, v11
	s_andn2_b64 s[4:5], s[4:5], exec
	s_and_b64 s[8:9], vcc, exec
	v_mov_b32_e32 v10, 0
	s_or_b64 s[4:5], s[4:5], s[8:9]
	s_or_b64 exec, exec, s[6:7]
	s_and_saveexec_b64 s[6:7], s[4:5]
	s_cbranch_execnz .LBB22_1619
	s_branch .LBB22_1620
.LBB22_3669:
	s_movk_i32 s4, 0x80
	v_cmp_eq_u16_e32 vcc, s4, v11
	s_mov_b64 s[4:5], -1
                                        ; implicit-def: $sgpr10
	s_and_saveexec_b64 s[8:9], vcc
; %bb.3670:
	s_mov_b32 s10, 0x7f800001
	s_xor_b64 s[4:5], exec, -1
; %bb.3671:
	s_or_b64 exec, exec, s[8:9]
	s_and_b64 s[4:5], s[4:5], exec
                                        ; implicit-def: $vgpr11
	s_or_saveexec_b64 s[6:7], s[6:7]
	v_mov_b32_e32 v14, s10
	s_xor_b64 exec, exec, s[6:7]
	s_cbranch_execz .LBB22_1622
.LBB22_3672:
	v_cmp_ne_u16_e32 vcc, 0, v11
	s_andn2_b64 s[4:5], s[4:5], exec
	s_and_b64 s[8:9], vcc, exec
	v_mov_b32_e32 v14, 0
	s_or_b64 s[4:5], s[4:5], s[8:9]
	s_or_b64 exec, exec, s[6:7]
	s_and_saveexec_b64 s[6:7], s[4:5]
	s_cbranch_execnz .LBB22_1623
	s_branch .LBB22_1624
.LBB22_3673:
	s_movk_i32 s4, 0x80
	v_cmp_eq_u16_sdwa s[12:13], v16, s4 src0_sel:BYTE_3 src1_sel:DWORD
	s_mov_b64 s[4:5], -1
                                        ; implicit-def: $sgpr10
	s_and_saveexec_b64 s[8:9], s[12:13]
; %bb.3674:
	s_mov_b32 s10, 0x7f800001
	s_xor_b64 s[4:5], exec, -1
; %bb.3675:
	s_or_b64 exec, exec, s[8:9]
	s_and_b64 s[4:5], s[4:5], exec
	s_or_saveexec_b64 s[6:7], s[6:7]
	v_mov_b32_e32 v10, s10
	s_xor_b64 exec, exec, s[6:7]
	s_cbranch_execz .LBB22_1626
.LBB22_3676:
	v_mov_b32_e32 v10, 0
	v_cmp_ne_u16_sdwa s[8:9], v16, v10 src0_sel:BYTE_3 src1_sel:DWORD
	s_andn2_b64 s[4:5], s[4:5], exec
	s_and_b64 s[8:9], s[8:9], exec
	s_or_b64 s[4:5], s[4:5], s[8:9]
	s_or_b64 exec, exec, s[6:7]
	s_and_saveexec_b64 s[6:7], s[4:5]
	s_cbranch_execnz .LBB22_1627
	s_branch .LBB22_1628
.LBB22_3677:
	s_movk_i32 s4, 0x80
	v_cmp_eq_u16_sdwa s[12:13], v12, s4 src0_sel:BYTE_3 src1_sel:DWORD
	s_mov_b64 s[4:5], -1
                                        ; implicit-def: $sgpr10
	s_and_saveexec_b64 s[8:9], s[12:13]
; %bb.3678:
	s_mov_b32 s10, 0x7f800001
	s_xor_b64 s[4:5], exec, -1
; %bb.3679:
	s_or_b64 exec, exec, s[8:9]
	s_and_b64 s[4:5], s[4:5], exec
	s_or_saveexec_b64 s[6:7], s[6:7]
	v_mov_b32_e32 v11, s10
	s_xor_b64 exec, exec, s[6:7]
	s_cbranch_execz .LBB22_1630
.LBB22_3680:
	v_mov_b32_e32 v11, 0
	v_cmp_ne_u16_sdwa s[8:9], v12, v11 src0_sel:BYTE_3 src1_sel:DWORD
	s_andn2_b64 s[4:5], s[4:5], exec
	s_and_b64 s[8:9], s[8:9], exec
	s_or_b64 s[4:5], s[4:5], s[8:9]
	s_or_b64 exec, exec, s[6:7]
	s_and_saveexec_b64 s[6:7], s[4:5]
	s_cbranch_execnz .LBB22_1631
	s_branch .LBB22_1632
.LBB22_3681:
	s_movk_i32 s4, 0x80
	v_cmp_eq_u16_sdwa s[12:13], v17, s4 src0_sel:BYTE_0 src1_sel:DWORD
	s_mov_b64 s[4:5], -1
                                        ; implicit-def: $sgpr10
	s_and_saveexec_b64 s[8:9], s[12:13]
; %bb.3682:
	s_mov_b32 s10, 0x7f800001
	s_xor_b64 s[4:5], exec, -1
; %bb.3683:
	s_or_b64 exec, exec, s[8:9]
	s_and_b64 s[4:5], s[4:5], exec
	s_or_saveexec_b64 s[6:7], s[6:7]
	v_mov_b32_e32 v10, s10
	s_xor_b64 exec, exec, s[6:7]
	s_cbranch_execz .LBB22_1634
.LBB22_3684:
	v_mov_b32_e32 v10, 0
	v_cmp_ne_u16_sdwa s[8:9], v17, v10 src0_sel:BYTE_0 src1_sel:DWORD
	s_andn2_b64 s[4:5], s[4:5], exec
	s_and_b64 s[8:9], s[8:9], exec
	s_or_b64 s[4:5], s[4:5], s[8:9]
	s_or_b64 exec, exec, s[6:7]
	s_and_saveexec_b64 s[6:7], s[4:5]
	s_cbranch_execnz .LBB22_1635
	s_branch .LBB22_1636
.LBB22_3685:
	s_movk_i32 s4, 0x80
	v_cmp_eq_u16_sdwa s[12:13], v13, s4 src0_sel:BYTE_0 src1_sel:DWORD
	s_mov_b64 s[4:5], -1
                                        ; implicit-def: $sgpr10
	s_and_saveexec_b64 s[8:9], s[12:13]
; %bb.3686:
	s_mov_b32 s10, 0x7f800001
	s_xor_b64 s[4:5], exec, -1
; %bb.3687:
	s_or_b64 exec, exec, s[8:9]
	s_and_b64 s[4:5], s[4:5], exec
	s_or_saveexec_b64 s[6:7], s[6:7]
	v_mov_b32_e32 v11, s10
	s_xor_b64 exec, exec, s[6:7]
	s_cbranch_execz .LBB22_1638
.LBB22_3688:
	v_mov_b32_e32 v11, 0
	v_cmp_ne_u16_sdwa s[8:9], v13, v11 src0_sel:BYTE_0 src1_sel:DWORD
	s_andn2_b64 s[4:5], s[4:5], exec
	s_and_b64 s[8:9], s[8:9], exec
	s_or_b64 s[4:5], s[4:5], s[8:9]
	s_or_b64 exec, exec, s[6:7]
	s_and_saveexec_b64 s[6:7], s[4:5]
	s_cbranch_execnz .LBB22_1639
	s_branch .LBB22_1640
.LBB22_3689:
	s_movk_i32 s4, 0x80
	v_cmp_eq_u16_sdwa s[12:13], v11, s4 src0_sel:BYTE_0 src1_sel:DWORD
	s_mov_b64 s[4:5], -1
                                        ; implicit-def: $sgpr10
	s_and_saveexec_b64 s[8:9], s[12:13]
; %bb.3690:
	s_mov_b32 s10, 0x7f800001
	s_xor_b64 s[4:5], exec, -1
; %bb.3691:
	s_or_b64 exec, exec, s[8:9]
	s_and_b64 s[4:5], s[4:5], exec
	s_or_saveexec_b64 s[6:7], s[6:7]
	v_mov_b32_e32 v10, s10
	s_xor_b64 exec, exec, s[6:7]
	s_cbranch_execz .LBB22_1642
.LBB22_3692:
	v_mov_b32_e32 v10, 0
	v_cmp_ne_u16_sdwa s[8:9], v11, v10 src0_sel:BYTE_0 src1_sel:DWORD
	s_andn2_b64 s[4:5], s[4:5], exec
	s_and_b64 s[8:9], s[8:9], exec
	s_or_b64 s[4:5], s[4:5], s[8:9]
	s_or_b64 exec, exec, s[6:7]
	s_and_saveexec_b64 s[6:7], s[4:5]
	s_cbranch_execnz .LBB22_1643
	s_branch .LBB22_1644
.LBB22_3693:
	s_movk_i32 s4, 0x80
	v_cmp_eq_u16_sdwa s[12:13], v11, s4 src0_sel:BYTE_0 src1_sel:DWORD
	s_mov_b64 s[4:5], -1
                                        ; implicit-def: $sgpr10
	s_and_saveexec_b64 s[8:9], s[12:13]
; %bb.3694:
	s_mov_b32 s10, 0x7f800001
	s_xor_b64 s[4:5], exec, -1
; %bb.3695:
	s_or_b64 exec, exec, s[8:9]
	s_and_b64 s[4:5], s[4:5], exec
	s_or_saveexec_b64 s[6:7], s[6:7]
	v_mov_b32_e32 v12, s10
	s_xor_b64 exec, exec, s[6:7]
	s_cbranch_execz .LBB22_1646
.LBB22_3696:
	v_mov_b32_e32 v12, 0
	v_cmp_ne_u16_sdwa s[8:9], v11, v12 src0_sel:BYTE_0 src1_sel:DWORD
	s_andn2_b64 s[4:5], s[4:5], exec
	s_and_b64 s[8:9], s[8:9], exec
	s_or_b64 s[4:5], s[4:5], s[8:9]
	s_or_b64 exec, exec, s[6:7]
	s_and_saveexec_b64 s[6:7], s[4:5]
	s_cbranch_execnz .LBB22_1647
	s_branch .LBB22_1648
.LBB22_3697:
	s_movk_i32 s4, 0x80
	v_cmp_eq_u16_e32 vcc, s4, v11
	s_mov_b64 s[4:5], -1
                                        ; implicit-def: $sgpr10
	s_and_saveexec_b64 s[8:9], vcc
; %bb.3698:
	s_mov_b32 s10, 0x7f800001
	s_xor_b64 s[4:5], exec, -1
; %bb.3699:
	s_or_b64 exec, exec, s[8:9]
	s_and_b64 s[4:5], s[4:5], exec
                                        ; implicit-def: $vgpr11
	s_or_saveexec_b64 s[6:7], s[6:7]
	v_mov_b32_e32 v10, s10
	s_xor_b64 exec, exec, s[6:7]
	s_cbranch_execz .LBB22_1650
.LBB22_3700:
	v_cmp_ne_u16_e32 vcc, 0, v11
	s_andn2_b64 s[4:5], s[4:5], exec
	s_and_b64 s[8:9], vcc, exec
	v_mov_b32_e32 v10, 0
	s_or_b64 s[4:5], s[4:5], s[8:9]
	s_or_b64 exec, exec, s[6:7]
	s_and_saveexec_b64 s[6:7], s[4:5]
	s_cbranch_execnz .LBB22_1651
	s_branch .LBB22_1652
.LBB22_3701:
	s_movk_i32 s4, 0x80
	v_cmp_eq_u16_e32 vcc, s4, v11
	s_mov_b64 s[4:5], -1
                                        ; implicit-def: $sgpr10
	s_and_saveexec_b64 s[8:9], vcc
; %bb.3702:
	s_mov_b32 s10, 0x7f800001
	s_xor_b64 s[4:5], exec, -1
; %bb.3703:
	s_or_b64 exec, exec, s[8:9]
	s_and_b64 s[4:5], s[4:5], exec
                                        ; implicit-def: $vgpr11
	s_or_saveexec_b64 s[6:7], s[6:7]
	v_mov_b32_e32 v12, s10
	s_xor_b64 exec, exec, s[6:7]
	s_cbranch_execz .LBB22_1654
.LBB22_3704:
	v_cmp_ne_u16_e32 vcc, 0, v11
	s_andn2_b64 s[4:5], s[4:5], exec
	s_and_b64 s[8:9], vcc, exec
	v_mov_b32_e32 v12, 0
	s_or_b64 s[4:5], s[4:5], s[8:9]
	s_or_b64 exec, exec, s[6:7]
	s_and_saveexec_b64 s[6:7], s[4:5]
	s_cbranch_execnz .LBB22_1655
	s_branch .LBB22_1656
.LBB22_3705:
	s_movk_i32 s4, 0x80
	v_cmp_eq_u16_sdwa s[12:13], v17, s4 src0_sel:BYTE_3 src1_sel:DWORD
	s_mov_b64 s[4:5], -1
                                        ; implicit-def: $sgpr10
	s_and_saveexec_b64 s[8:9], s[12:13]
; %bb.3706:
	s_mov_b32 s10, 0x7f800001
	s_xor_b64 s[4:5], exec, -1
; %bb.3707:
	s_or_b64 exec, exec, s[8:9]
	s_and_b64 s[4:5], s[4:5], exec
	s_or_saveexec_b64 s[6:7], s[6:7]
	v_mov_b32_e32 v10, s10
	s_xor_b64 exec, exec, s[6:7]
	s_cbranch_execz .LBB22_1658
.LBB22_3708:
	v_mov_b32_e32 v10, 0
	v_cmp_ne_u16_sdwa s[8:9], v17, v10 src0_sel:BYTE_3 src1_sel:DWORD
	s_andn2_b64 s[4:5], s[4:5], exec
	s_and_b64 s[8:9], s[8:9], exec
	s_or_b64 s[4:5], s[4:5], s[8:9]
	s_or_b64 exec, exec, s[6:7]
	s_and_saveexec_b64 s[6:7], s[4:5]
	s_cbranch_execnz .LBB22_1659
	s_branch .LBB22_1660
.LBB22_3709:
	s_movk_i32 s4, 0x80
	v_cmp_eq_u16_sdwa s[12:13], v13, s4 src0_sel:BYTE_3 src1_sel:DWORD
	s_mov_b64 s[4:5], -1
                                        ; implicit-def: $sgpr10
	s_and_saveexec_b64 s[8:9], s[12:13]
; %bb.3710:
	s_mov_b32 s10, 0x7f800001
	s_xor_b64 s[4:5], exec, -1
; %bb.3711:
	s_or_b64 exec, exec, s[8:9]
	s_and_b64 s[4:5], s[4:5], exec
	s_or_saveexec_b64 s[6:7], s[6:7]
	v_mov_b32_e32 v11, s10
	s_xor_b64 exec, exec, s[6:7]
	s_cbranch_execz .LBB22_1662
.LBB22_3712:
	v_mov_b32_e32 v11, 0
	v_cmp_ne_u16_sdwa s[8:9], v13, v11 src0_sel:BYTE_3 src1_sel:DWORD
	s_andn2_b64 s[4:5], s[4:5], exec
	s_and_b64 s[8:9], s[8:9], exec
	s_or_b64 s[4:5], s[4:5], s[8:9]
	s_or_b64 exec, exec, s[6:7]
	s_and_saveexec_b64 s[6:7], s[4:5]
	s_cbranch_execnz .LBB22_1663
	s_branch .LBB22_1664
.LBB22_3713:
	s_movk_i32 s4, 0x80
	v_cmp_eq_u16_sdwa s[12:13], v6, s4 src0_sel:BYTE_0 src1_sel:DWORD
	s_mov_b64 s[4:5], -1
                                        ; implicit-def: $sgpr10
	s_and_saveexec_b64 s[8:9], s[12:13]
; %bb.3714:
	s_mov_b32 s10, 0x7f800001
	s_xor_b64 s[4:5], exec, -1
; %bb.3715:
	s_or_b64 exec, exec, s[8:9]
	s_and_b64 s[4:5], s[4:5], exec
	s_or_saveexec_b64 s[6:7], s[6:7]
	v_mov_b32_e32 v10, s10
	s_xor_b64 exec, exec, s[6:7]
	s_cbranch_execz .LBB22_1666
.LBB22_3716:
	v_mov_b32_e32 v10, 0
	v_cmp_ne_u16_sdwa s[8:9], v6, v10 src0_sel:BYTE_0 src1_sel:DWORD
	s_andn2_b64 s[4:5], s[4:5], exec
	s_and_b64 s[8:9], s[8:9], exec
	s_or_b64 s[4:5], s[4:5], s[8:9]
	s_or_b64 exec, exec, s[6:7]
	s_and_saveexec_b64 s[6:7], s[4:5]
	s_cbranch_execnz .LBB22_1667
	s_branch .LBB22_1668
.LBB22_3717:
	s_movk_i32 s4, 0x80
	v_cmp_eq_u16_sdwa s[12:13], v2, s4 src0_sel:BYTE_0 src1_sel:DWORD
	s_mov_b64 s[4:5], -1
                                        ; implicit-def: $sgpr10
	s_and_saveexec_b64 s[8:9], s[12:13]
; %bb.3718:
	s_mov_b32 s10, 0x7f800001
	s_xor_b64 s[4:5], exec, -1
; %bb.3719:
	s_or_b64 exec, exec, s[8:9]
	s_and_b64 s[4:5], s[4:5], exec
	s_or_saveexec_b64 s[6:7], s[6:7]
	v_mov_b32_e32 v11, s10
	s_xor_b64 exec, exec, s[6:7]
	s_cbranch_execz .LBB22_1670
.LBB22_3720:
	v_mov_b32_e32 v11, 0
	v_cmp_ne_u16_sdwa s[8:9], v2, v11 src0_sel:BYTE_0 src1_sel:DWORD
	s_andn2_b64 s[4:5], s[4:5], exec
	s_and_b64 s[8:9], s[8:9], exec
	s_or_b64 s[4:5], s[4:5], s[8:9]
	s_or_b64 exec, exec, s[6:7]
	s_and_saveexec_b64 s[6:7], s[4:5]
	s_cbranch_execnz .LBB22_1671
	s_branch .LBB22_1672
.LBB22_3721:
	s_movk_i32 s4, 0x80
	v_cmp_eq_u16_sdwa s[12:13], v11, s4 src0_sel:BYTE_0 src1_sel:DWORD
	s_mov_b64 s[4:5], -1
                                        ; implicit-def: $sgpr10
	s_and_saveexec_b64 s[8:9], s[12:13]
; %bb.3722:
	s_mov_b32 s10, 0x7f800001
	s_xor_b64 s[4:5], exec, -1
; %bb.3723:
	s_or_b64 exec, exec, s[8:9]
	s_and_b64 s[4:5], s[4:5], exec
	s_or_saveexec_b64 s[6:7], s[6:7]
	v_mov_b32_e32 v10, s10
	s_xor_b64 exec, exec, s[6:7]
	s_cbranch_execz .LBB22_1674
.LBB22_3724:
	v_mov_b32_e32 v10, 0
	v_cmp_ne_u16_sdwa s[8:9], v11, v10 src0_sel:BYTE_0 src1_sel:DWORD
	s_andn2_b64 s[4:5], s[4:5], exec
	s_and_b64 s[8:9], s[8:9], exec
	s_or_b64 s[4:5], s[4:5], s[8:9]
	s_or_b64 exec, exec, s[6:7]
	s_and_saveexec_b64 s[6:7], s[4:5]
	s_cbranch_execnz .LBB22_1675
	s_branch .LBB22_1676
.LBB22_3725:
	s_movk_i32 s4, 0x80
	v_cmp_eq_u16_sdwa s[12:13], v11, s4 src0_sel:BYTE_0 src1_sel:DWORD
	s_mov_b64 s[4:5], -1
                                        ; implicit-def: $sgpr10
	s_and_saveexec_b64 s[8:9], s[12:13]
; %bb.3726:
	s_mov_b32 s10, 0x7f800001
	s_xor_b64 s[4:5], exec, -1
; %bb.3727:
	s_or_b64 exec, exec, s[8:9]
	s_and_b64 s[4:5], s[4:5], exec
	s_or_saveexec_b64 s[6:7], s[6:7]
	v_mov_b32_e32 v12, s10
	s_xor_b64 exec, exec, s[6:7]
	s_cbranch_execz .LBB22_1678
.LBB22_3728:
	v_mov_b32_e32 v12, 0
	v_cmp_ne_u16_sdwa s[8:9], v11, v12 src0_sel:BYTE_0 src1_sel:DWORD
	s_andn2_b64 s[4:5], s[4:5], exec
	s_and_b64 s[8:9], s[8:9], exec
	s_or_b64 s[4:5], s[4:5], s[8:9]
	s_or_b64 exec, exec, s[6:7]
	s_and_saveexec_b64 s[6:7], s[4:5]
	s_cbranch_execnz .LBB22_1679
	s_branch .LBB22_1680
.LBB22_3729:
	s_movk_i32 s4, 0x80
	v_cmp_eq_u16_e32 vcc, s4, v11
	s_mov_b64 s[4:5], -1
                                        ; implicit-def: $sgpr10
	s_and_saveexec_b64 s[8:9], vcc
; %bb.3730:
	s_mov_b32 s10, 0x7f800001
	s_xor_b64 s[4:5], exec, -1
; %bb.3731:
	s_or_b64 exec, exec, s[8:9]
	s_and_b64 s[4:5], s[4:5], exec
                                        ; implicit-def: $vgpr11
	s_or_saveexec_b64 s[6:7], s[6:7]
	v_mov_b32_e32 v10, s10
	s_xor_b64 exec, exec, s[6:7]
	s_cbranch_execz .LBB22_1682
.LBB22_3732:
	v_cmp_ne_u16_e32 vcc, 0, v11
	s_andn2_b64 s[4:5], s[4:5], exec
	s_and_b64 s[8:9], vcc, exec
	v_mov_b32_e32 v10, 0
	s_or_b64 s[4:5], s[4:5], s[8:9]
	s_or_b64 exec, exec, s[6:7]
	s_and_saveexec_b64 s[6:7], s[4:5]
	s_cbranch_execnz .LBB22_1683
	s_branch .LBB22_1684
.LBB22_3733:
	s_movk_i32 s4, 0x80
	v_cmp_eq_u16_e32 vcc, s4, v11
	s_mov_b64 s[4:5], -1
                                        ; implicit-def: $sgpr10
	s_and_saveexec_b64 s[8:9], vcc
; %bb.3734:
	s_mov_b32 s10, 0x7f800001
	s_xor_b64 s[4:5], exec, -1
; %bb.3735:
	s_or_b64 exec, exec, s[8:9]
	s_and_b64 s[4:5], s[4:5], exec
                                        ; implicit-def: $vgpr11
	s_or_saveexec_b64 s[6:7], s[6:7]
	v_mov_b32_e32 v12, s10
	s_xor_b64 exec, exec, s[6:7]
	s_cbranch_execz .LBB22_1686
.LBB22_3736:
	v_cmp_ne_u16_e32 vcc, 0, v11
	s_andn2_b64 s[4:5], s[4:5], exec
	s_and_b64 s[8:9], vcc, exec
	v_mov_b32_e32 v12, 0
	s_or_b64 s[4:5], s[4:5], s[8:9]
	s_or_b64 exec, exec, s[6:7]
	s_and_saveexec_b64 s[6:7], s[4:5]
	s_cbranch_execnz .LBB22_1687
	s_branch .LBB22_1688
.LBB22_3737:
	s_movk_i32 s4, 0x80
	v_cmp_eq_u16_sdwa s[12:13], v6, s4 src0_sel:BYTE_3 src1_sel:DWORD
	s_mov_b64 s[4:5], -1
                                        ; implicit-def: $sgpr10
	s_and_saveexec_b64 s[8:9], s[12:13]
; %bb.3738:
	s_mov_b32 s10, 0x7f800001
	s_xor_b64 s[4:5], exec, -1
; %bb.3739:
	s_or_b64 exec, exec, s[8:9]
	s_and_b64 s[4:5], s[4:5], exec
	s_or_saveexec_b64 s[6:7], s[6:7]
	v_mov_b32_e32 v10, s10
	s_xor_b64 exec, exec, s[6:7]
	s_cbranch_execz .LBB22_1690
.LBB22_3740:
	v_mov_b32_e32 v10, 0
	v_cmp_ne_u16_sdwa s[8:9], v6, v10 src0_sel:BYTE_3 src1_sel:DWORD
	s_andn2_b64 s[4:5], s[4:5], exec
	s_and_b64 s[8:9], s[8:9], exec
	s_or_b64 s[4:5], s[4:5], s[8:9]
	s_or_b64 exec, exec, s[6:7]
	s_and_saveexec_b64 s[6:7], s[4:5]
	s_cbranch_execnz .LBB22_1691
	s_branch .LBB22_1692
.LBB22_3741:
	s_movk_i32 s4, 0x80
	v_cmp_eq_u16_sdwa s[12:13], v2, s4 src0_sel:BYTE_3 src1_sel:DWORD
	s_mov_b64 s[4:5], -1
                                        ; implicit-def: $sgpr10
	s_and_saveexec_b64 s[8:9], s[12:13]
; %bb.3742:
	s_mov_b32 s10, 0x7f800001
	s_xor_b64 s[4:5], exec, -1
; %bb.3743:
	s_or_b64 exec, exec, s[8:9]
	s_and_b64 s[4:5], s[4:5], exec
	s_or_saveexec_b64 s[6:7], s[6:7]
	v_mov_b32_e32 v6, s10
	s_xor_b64 exec, exec, s[6:7]
	s_cbranch_execz .LBB22_1694
.LBB22_3744:
	v_mov_b32_e32 v6, 0
	v_cmp_ne_u16_sdwa s[8:9], v2, v6 src0_sel:BYTE_3 src1_sel:DWORD
	s_andn2_b64 s[4:5], s[4:5], exec
	s_and_b64 s[8:9], s[8:9], exec
	s_or_b64 s[4:5], s[4:5], s[8:9]
	s_or_b64 exec, exec, s[6:7]
	s_and_saveexec_b64 s[6:7], s[4:5]
	s_cbranch_execnz .LBB22_1695
	s_branch .LBB22_1696
.LBB22_3745:
	s_movk_i32 s4, 0x80
	v_cmp_eq_u16_sdwa s[12:13], v7, s4 src0_sel:BYTE_0 src1_sel:DWORD
	s_mov_b64 s[4:5], -1
                                        ; implicit-def: $sgpr10
	s_and_saveexec_b64 s[8:9], s[12:13]
; %bb.3746:
	s_mov_b32 s10, 0x7f800001
	s_xor_b64 s[4:5], exec, -1
; %bb.3747:
	s_or_b64 exec, exec, s[8:9]
	s_and_b64 s[4:5], s[4:5], exec
	s_or_saveexec_b64 s[6:7], s[6:7]
	v_mov_b32_e32 v2, s10
	s_xor_b64 exec, exec, s[6:7]
	s_cbranch_execz .LBB22_1698
.LBB22_3748:
	v_mov_b32_e32 v2, 0
	v_cmp_ne_u16_sdwa s[8:9], v7, v2 src0_sel:BYTE_0 src1_sel:DWORD
	s_andn2_b64 s[4:5], s[4:5], exec
	s_and_b64 s[8:9], s[8:9], exec
	s_or_b64 s[4:5], s[4:5], s[8:9]
	s_or_b64 exec, exec, s[6:7]
	s_and_saveexec_b64 s[6:7], s[4:5]
	s_cbranch_execnz .LBB22_1699
	s_branch .LBB22_1700
.LBB22_3749:
	s_movk_i32 s4, 0x80
	v_cmp_eq_u16_sdwa s[12:13], v3, s4 src0_sel:BYTE_0 src1_sel:DWORD
	s_mov_b64 s[4:5], -1
                                        ; implicit-def: $sgpr10
	s_and_saveexec_b64 s[8:9], s[12:13]
; %bb.3750:
	s_mov_b32 s10, 0x7f800001
	s_xor_b64 s[4:5], exec, -1
; %bb.3751:
	s_or_b64 exec, exec, s[8:9]
	s_and_b64 s[4:5], s[4:5], exec
	s_or_saveexec_b64 s[6:7], s[6:7]
	v_mov_b32_e32 v6, s10
	s_xor_b64 exec, exec, s[6:7]
	s_cbranch_execz .LBB22_1702
.LBB22_3752:
	v_mov_b32_e32 v6, 0
	v_cmp_ne_u16_sdwa s[8:9], v3, v6 src0_sel:BYTE_0 src1_sel:DWORD
	s_andn2_b64 s[4:5], s[4:5], exec
	s_and_b64 s[8:9], s[8:9], exec
	s_or_b64 s[4:5], s[4:5], s[8:9]
	s_or_b64 exec, exec, s[6:7]
	s_and_saveexec_b64 s[6:7], s[4:5]
	s_cbranch_execnz .LBB22_1703
	s_branch .LBB22_1704
.LBB22_3753:
	s_movk_i32 s4, 0x80
	v_cmp_eq_u16_sdwa s[12:13], v6, s4 src0_sel:BYTE_0 src1_sel:DWORD
	s_mov_b64 s[4:5], -1
                                        ; implicit-def: $sgpr10
	s_and_saveexec_b64 s[8:9], s[12:13]
; %bb.3754:
	s_mov_b32 s10, 0x7f800001
	s_xor_b64 s[4:5], exec, -1
; %bb.3755:
	s_or_b64 exec, exec, s[8:9]
	s_and_b64 s[4:5], s[4:5], exec
	s_or_saveexec_b64 s[6:7], s[6:7]
	v_mov_b32_e32 v2, s10
	s_xor_b64 exec, exec, s[6:7]
	s_cbranch_execz .LBB22_1706
.LBB22_3756:
	v_mov_b32_e32 v2, 0
	v_cmp_ne_u16_sdwa s[8:9], v6, v2 src0_sel:BYTE_0 src1_sel:DWORD
	s_andn2_b64 s[4:5], s[4:5], exec
	s_and_b64 s[8:9], s[8:9], exec
	s_or_b64 s[4:5], s[4:5], s[8:9]
	s_or_b64 exec, exec, s[6:7]
	s_and_saveexec_b64 s[6:7], s[4:5]
	s_cbranch_execnz .LBB22_1707
	s_branch .LBB22_1708
.LBB22_3757:
	s_movk_i32 s4, 0x80
	v_cmp_eq_u16_sdwa s[12:13], v6, s4 src0_sel:BYTE_0 src1_sel:DWORD
	s_mov_b64 s[4:5], -1
                                        ; implicit-def: $sgpr10
	s_and_saveexec_b64 s[8:9], s[12:13]
; %bb.3758:
	s_mov_b32 s10, 0x7f800001
	s_xor_b64 s[4:5], exec, -1
; %bb.3759:
	s_or_b64 exec, exec, s[8:9]
	s_and_b64 s[4:5], s[4:5], exec
	s_or_saveexec_b64 s[6:7], s[6:7]
	v_mov_b32_e32 v10, s10
	s_xor_b64 exec, exec, s[6:7]
	s_cbranch_execz .LBB22_1710
.LBB22_3760:
	v_mov_b32_e32 v10, 0
	v_cmp_ne_u16_sdwa s[8:9], v6, v10 src0_sel:BYTE_0 src1_sel:DWORD
	s_andn2_b64 s[4:5], s[4:5], exec
	s_and_b64 s[8:9], s[8:9], exec
	s_or_b64 s[4:5], s[4:5], s[8:9]
	s_or_b64 exec, exec, s[6:7]
	s_and_saveexec_b64 s[6:7], s[4:5]
	s_cbranch_execnz .LBB22_1711
	s_branch .LBB22_1712
.LBB22_3761:
	s_movk_i32 s4, 0x80
	v_cmp_eq_u16_e32 vcc, s4, v6
	s_mov_b64 s[4:5], -1
                                        ; implicit-def: $sgpr10
	s_and_saveexec_b64 s[8:9], vcc
; %bb.3762:
	s_mov_b32 s10, 0x7f800001
	s_xor_b64 s[4:5], exec, -1
; %bb.3763:
	s_or_b64 exec, exec, s[8:9]
	s_and_b64 s[4:5], s[4:5], exec
                                        ; implicit-def: $vgpr6
	s_or_saveexec_b64 s[6:7], s[6:7]
	v_mov_b32_e32 v2, s10
	s_xor_b64 exec, exec, s[6:7]
	s_cbranch_execz .LBB22_1714
.LBB22_3764:
	v_cmp_ne_u16_e32 vcc, 0, v6
	s_andn2_b64 s[4:5], s[4:5], exec
	s_and_b64 s[8:9], vcc, exec
	v_mov_b32_e32 v2, 0
	s_or_b64 s[4:5], s[4:5], s[8:9]
	s_or_b64 exec, exec, s[6:7]
	s_and_saveexec_b64 s[6:7], s[4:5]
	s_cbranch_execnz .LBB22_1715
	s_branch .LBB22_1716
.LBB22_3765:
	s_movk_i32 s4, 0x80
	v_cmp_eq_u16_e32 vcc, s4, v6
	s_mov_b64 s[4:5], -1
                                        ; implicit-def: $sgpr10
	s_and_saveexec_b64 s[8:9], vcc
; %bb.3766:
	s_mov_b32 s10, 0x7f800001
	s_xor_b64 s[4:5], exec, -1
; %bb.3767:
	s_or_b64 exec, exec, s[8:9]
	s_and_b64 s[4:5], s[4:5], exec
                                        ; implicit-def: $vgpr6
	s_or_saveexec_b64 s[6:7], s[6:7]
	v_mov_b32_e32 v10, s10
	s_xor_b64 exec, exec, s[6:7]
	s_cbranch_execz .LBB22_1718
.LBB22_3768:
	v_cmp_ne_u16_e32 vcc, 0, v6
	s_andn2_b64 s[4:5], s[4:5], exec
	s_and_b64 s[8:9], vcc, exec
	v_mov_b32_e32 v10, 0
	s_or_b64 s[4:5], s[4:5], s[8:9]
	s_or_b64 exec, exec, s[6:7]
	s_and_saveexec_b64 s[6:7], s[4:5]
	s_cbranch_execnz .LBB22_1719
	s_branch .LBB22_1720
.LBB22_3769:
	s_movk_i32 s4, 0x80
	v_cmp_eq_u16_sdwa s[12:13], v7, s4 src0_sel:BYTE_3 src1_sel:DWORD
	s_mov_b64 s[4:5], -1
                                        ; implicit-def: $sgpr10
	s_and_saveexec_b64 s[8:9], s[12:13]
; %bb.3770:
	s_mov_b32 s10, 0x7f800001
	s_xor_b64 s[4:5], exec, -1
; %bb.3771:
	s_or_b64 exec, exec, s[8:9]
	s_and_b64 s[4:5], s[4:5], exec
	s_or_saveexec_b64 s[6:7], s[6:7]
	v_mov_b32_e32 v2, s10
	s_xor_b64 exec, exec, s[6:7]
	s_cbranch_execz .LBB22_1722
.LBB22_3772:
	v_mov_b32_e32 v2, 0
	v_cmp_ne_u16_sdwa s[8:9], v7, v2 src0_sel:BYTE_3 src1_sel:DWORD
	s_andn2_b64 s[4:5], s[4:5], exec
	s_and_b64 s[8:9], s[8:9], exec
	s_or_b64 s[4:5], s[4:5], s[8:9]
	s_or_b64 exec, exec, s[6:7]
	s_and_saveexec_b64 s[6:7], s[4:5]
	s_cbranch_execnz .LBB22_1723
	s_branch .LBB22_1724
.LBB22_3773:
	s_movk_i32 s4, 0x80
	v_cmp_eq_u16_sdwa s[12:13], v3, s4 src0_sel:BYTE_3 src1_sel:DWORD
	s_mov_b64 s[4:5], -1
                                        ; implicit-def: $sgpr10
	s_and_saveexec_b64 s[8:9], s[12:13]
; %bb.3774:
	s_mov_b32 s10, 0x7f800001
	s_xor_b64 s[4:5], exec, -1
; %bb.3775:
	s_or_b64 exec, exec, s[8:9]
	s_and_b64 s[4:5], s[4:5], exec
	s_or_saveexec_b64 s[6:7], s[6:7]
	v_mov_b32_e32 v6, s10
	s_xor_b64 exec, exec, s[6:7]
	s_cbranch_execz .LBB22_1726
.LBB22_3776:
	v_mov_b32_e32 v6, 0
	v_cmp_ne_u16_sdwa s[8:9], v3, v6 src0_sel:BYTE_3 src1_sel:DWORD
	s_andn2_b64 s[4:5], s[4:5], exec
	s_and_b64 s[8:9], s[8:9], exec
	s_or_b64 s[4:5], s[4:5], s[8:9]
	s_or_b64 exec, exec, s[6:7]
	s_and_saveexec_b64 s[6:7], s[4:5]
	s_cbranch_execnz .LBB22_1727
	s_branch .LBB22_1728
.LBB22_3777:
	s_movk_i32 s4, 0x80
	v_cmp_eq_u16_sdwa s[12:13], v8, s4 src0_sel:BYTE_0 src1_sel:DWORD
	s_mov_b64 s[4:5], -1
                                        ; implicit-def: $sgpr10
	s_and_saveexec_b64 s[8:9], s[12:13]
; %bb.3778:
	s_mov_b32 s10, 0x7f800001
	s_xor_b64 s[4:5], exec, -1
; %bb.3779:
	s_or_b64 exec, exec, s[8:9]
	s_and_b64 s[4:5], s[4:5], exec
	s_or_saveexec_b64 s[6:7], s[6:7]
	v_mov_b32_e32 v2, s10
	s_xor_b64 exec, exec, s[6:7]
	s_cbranch_execz .LBB22_1730
.LBB22_3780:
	v_mov_b32_e32 v2, 0
	v_cmp_ne_u16_sdwa s[8:9], v8, v2 src0_sel:BYTE_0 src1_sel:DWORD
	s_andn2_b64 s[4:5], s[4:5], exec
	s_and_b64 s[8:9], s[8:9], exec
	s_or_b64 s[4:5], s[4:5], s[8:9]
	s_or_b64 exec, exec, s[6:7]
	s_and_saveexec_b64 s[6:7], s[4:5]
	s_cbranch_execnz .LBB22_1731
	s_branch .LBB22_1732
.LBB22_3781:
	s_movk_i32 s4, 0x80
	v_cmp_eq_u16_sdwa s[12:13], v4, s4 src0_sel:BYTE_0 src1_sel:DWORD
	s_mov_b64 s[4:5], -1
                                        ; implicit-def: $sgpr10
	s_and_saveexec_b64 s[8:9], s[12:13]
; %bb.3782:
	s_mov_b32 s10, 0x7f800001
	s_xor_b64 s[4:5], exec, -1
; %bb.3783:
	s_or_b64 exec, exec, s[8:9]
	s_and_b64 s[4:5], s[4:5], exec
	s_or_saveexec_b64 s[6:7], s[6:7]
	v_mov_b32_e32 v3, s10
	s_xor_b64 exec, exec, s[6:7]
	s_cbranch_execz .LBB22_1734
.LBB22_3784:
	v_mov_b32_e32 v3, 0
	v_cmp_ne_u16_sdwa s[8:9], v4, v3 src0_sel:BYTE_0 src1_sel:DWORD
	s_andn2_b64 s[4:5], s[4:5], exec
	s_and_b64 s[8:9], s[8:9], exec
	s_or_b64 s[4:5], s[4:5], s[8:9]
	s_or_b64 exec, exec, s[6:7]
	s_and_saveexec_b64 s[6:7], s[4:5]
	s_cbranch_execnz .LBB22_1735
	s_branch .LBB22_1736
.LBB22_3785:
	s_movk_i32 s4, 0x80
	v_cmp_eq_u16_sdwa s[12:13], v3, s4 src0_sel:BYTE_0 src1_sel:DWORD
	s_mov_b64 s[4:5], -1
                                        ; implicit-def: $sgpr10
	s_and_saveexec_b64 s[8:9], s[12:13]
; %bb.3786:
	s_mov_b32 s10, 0x7f800001
	s_xor_b64 s[4:5], exec, -1
; %bb.3787:
	s_or_b64 exec, exec, s[8:9]
	s_and_b64 s[4:5], s[4:5], exec
	s_or_saveexec_b64 s[6:7], s[6:7]
	v_mov_b32_e32 v2, s10
	s_xor_b64 exec, exec, s[6:7]
	s_cbranch_execz .LBB22_1738
.LBB22_3788:
	v_mov_b32_e32 v2, 0
	v_cmp_ne_u16_sdwa s[8:9], v3, v2 src0_sel:BYTE_0 src1_sel:DWORD
	s_andn2_b64 s[4:5], s[4:5], exec
	s_and_b64 s[8:9], s[8:9], exec
	s_or_b64 s[4:5], s[4:5], s[8:9]
	s_or_b64 exec, exec, s[6:7]
	s_and_saveexec_b64 s[6:7], s[4:5]
	s_cbranch_execnz .LBB22_1739
	s_branch .LBB22_1740
.LBB22_3789:
	s_movk_i32 s4, 0x80
	v_cmp_eq_u16_sdwa s[12:13], v3, s4 src0_sel:BYTE_0 src1_sel:DWORD
	s_mov_b64 s[4:5], -1
                                        ; implicit-def: $sgpr10
	s_and_saveexec_b64 s[8:9], s[12:13]
; %bb.3790:
	s_mov_b32 s10, 0x7f800001
	s_xor_b64 s[4:5], exec, -1
; %bb.3791:
	s_or_b64 exec, exec, s[8:9]
	s_and_b64 s[4:5], s[4:5], exec
	s_or_saveexec_b64 s[6:7], s[6:7]
	v_mov_b32_e32 v6, s10
	s_xor_b64 exec, exec, s[6:7]
	s_cbranch_execz .LBB22_1742
.LBB22_3792:
	v_mov_b32_e32 v6, 0
	v_cmp_ne_u16_sdwa s[8:9], v3, v6 src0_sel:BYTE_0 src1_sel:DWORD
	s_andn2_b64 s[4:5], s[4:5], exec
	s_and_b64 s[8:9], s[8:9], exec
	s_or_b64 s[4:5], s[4:5], s[8:9]
	s_or_b64 exec, exec, s[6:7]
	s_and_saveexec_b64 s[6:7], s[4:5]
	s_cbranch_execnz .LBB22_1743
	s_branch .LBB22_1744
.LBB22_3793:
	s_movk_i32 s4, 0x80
	v_cmp_eq_u16_e32 vcc, s4, v3
	s_mov_b64 s[4:5], -1
                                        ; implicit-def: $sgpr10
	s_and_saveexec_b64 s[8:9], vcc
; %bb.3794:
	s_mov_b32 s10, 0x7f800001
	s_xor_b64 s[4:5], exec, -1
; %bb.3795:
	s_or_b64 exec, exec, s[8:9]
	s_and_b64 s[4:5], s[4:5], exec
                                        ; implicit-def: $vgpr3
	s_or_saveexec_b64 s[6:7], s[6:7]
	v_mov_b32_e32 v2, s10
	s_xor_b64 exec, exec, s[6:7]
	s_cbranch_execz .LBB22_1746
.LBB22_3796:
	v_cmp_ne_u16_e32 vcc, 0, v3
	s_andn2_b64 s[4:5], s[4:5], exec
	s_and_b64 s[8:9], vcc, exec
	v_mov_b32_e32 v2, 0
	s_or_b64 s[4:5], s[4:5], s[8:9]
	s_or_b64 exec, exec, s[6:7]
	s_and_saveexec_b64 s[6:7], s[4:5]
	s_cbranch_execnz .LBB22_1747
	s_branch .LBB22_1748
.LBB22_3797:
	s_movk_i32 s4, 0x80
	v_cmp_eq_u16_e32 vcc, s4, v3
	s_mov_b64 s[4:5], -1
                                        ; implicit-def: $sgpr10
	s_and_saveexec_b64 s[8:9], vcc
; %bb.3798:
	s_mov_b32 s10, 0x7f800001
	s_xor_b64 s[4:5], exec, -1
; %bb.3799:
	s_or_b64 exec, exec, s[8:9]
	s_and_b64 s[4:5], s[4:5], exec
                                        ; implicit-def: $vgpr3
	s_or_saveexec_b64 s[6:7], s[6:7]
	v_mov_b32_e32 v6, s10
	s_xor_b64 exec, exec, s[6:7]
	s_cbranch_execz .LBB22_1750
.LBB22_3800:
	v_cmp_ne_u16_e32 vcc, 0, v3
	s_andn2_b64 s[4:5], s[4:5], exec
	s_and_b64 s[8:9], vcc, exec
	v_mov_b32_e32 v6, 0
	s_or_b64 s[4:5], s[4:5], s[8:9]
	s_or_b64 exec, exec, s[6:7]
	s_and_saveexec_b64 s[6:7], s[4:5]
	s_cbranch_execnz .LBB22_1751
	s_branch .LBB22_1752
.LBB22_3801:
	s_movk_i32 s4, 0x80
	v_cmp_eq_u16_sdwa s[12:13], v8, s4 src0_sel:BYTE_3 src1_sel:DWORD
	s_mov_b64 s[4:5], -1
                                        ; implicit-def: $sgpr10
	s_and_saveexec_b64 s[8:9], s[12:13]
; %bb.3802:
	s_mov_b32 s10, 0x7f800001
	s_xor_b64 s[4:5], exec, -1
; %bb.3803:
	s_or_b64 exec, exec, s[8:9]
	s_and_b64 s[4:5], s[4:5], exec
	s_or_saveexec_b64 s[6:7], s[6:7]
	v_mov_b32_e32 v2, s10
	s_xor_b64 exec, exec, s[6:7]
	s_cbranch_execz .LBB22_1754
.LBB22_3804:
	v_mov_b32_e32 v2, 0
	v_cmp_ne_u16_sdwa s[8:9], v8, v2 src0_sel:BYTE_3 src1_sel:DWORD
	s_andn2_b64 s[4:5], s[4:5], exec
	s_and_b64 s[8:9], s[8:9], exec
	s_or_b64 s[4:5], s[4:5], s[8:9]
	s_or_b64 exec, exec, s[6:7]
	s_and_saveexec_b64 s[6:7], s[4:5]
	s_cbranch_execnz .LBB22_1755
	s_branch .LBB22_1756
.LBB22_3805:
	s_movk_i32 s4, 0x80
	v_cmp_eq_u16_sdwa s[12:13], v4, s4 src0_sel:BYTE_3 src1_sel:DWORD
	s_mov_b64 s[4:5], -1
                                        ; implicit-def: $sgpr10
	s_and_saveexec_b64 s[8:9], s[12:13]
; %bb.3806:
	s_mov_b32 s10, 0x7f800001
	s_xor_b64 s[4:5], exec, -1
; %bb.3807:
	s_or_b64 exec, exec, s[8:9]
	s_and_b64 s[4:5], s[4:5], exec
	s_or_saveexec_b64 s[6:7], s[6:7]
	v_mov_b32_e32 v3, s10
	s_xor_b64 exec, exec, s[6:7]
	s_cbranch_execz .LBB22_1758
.LBB22_3808:
	v_mov_b32_e32 v3, 0
	v_cmp_ne_u16_sdwa s[8:9], v4, v3 src0_sel:BYTE_3 src1_sel:DWORD
	s_andn2_b64 s[4:5], s[4:5], exec
	s_and_b64 s[8:9], s[8:9], exec
	s_or_b64 s[4:5], s[4:5], s[8:9]
	s_or_b64 exec, exec, s[6:7]
	s_and_saveexec_b64 s[6:7], s[4:5]
	s_cbranch_execnz .LBB22_1759
	s_branch .LBB22_1760
.LBB22_3809:
	s_movk_i32 s4, 0x80
	v_cmp_eq_u16_sdwa s[12:13], v9, s4 src0_sel:BYTE_0 src1_sel:DWORD
	s_mov_b64 s[4:5], -1
                                        ; implicit-def: $sgpr10
	s_and_saveexec_b64 s[8:9], s[12:13]
; %bb.3810:
	s_mov_b32 s10, 0x7f800001
	s_xor_b64 s[4:5], exec, -1
; %bb.3811:
	s_or_b64 exec, exec, s[8:9]
	s_and_b64 s[4:5], s[4:5], exec
	s_or_saveexec_b64 s[6:7], s[6:7]
	v_mov_b32_e32 v2, s10
	s_xor_b64 exec, exec, s[6:7]
	s_cbranch_execz .LBB22_1762
.LBB22_3812:
	v_mov_b32_e32 v2, 0
	v_cmp_ne_u16_sdwa s[8:9], v9, v2 src0_sel:BYTE_0 src1_sel:DWORD
	s_andn2_b64 s[4:5], s[4:5], exec
	s_and_b64 s[8:9], s[8:9], exec
	s_or_b64 s[4:5], s[4:5], s[8:9]
	s_or_b64 exec, exec, s[6:7]
	s_and_saveexec_b64 s[6:7], s[4:5]
	s_cbranch_execnz .LBB22_1763
	s_branch .LBB22_1764
.LBB22_3813:
	s_movk_i32 s4, 0x80
	v_cmp_eq_u16_sdwa s[12:13], v5, s4 src0_sel:BYTE_0 src1_sel:DWORD
	s_mov_b64 s[4:5], -1
                                        ; implicit-def: $sgpr10
	s_and_saveexec_b64 s[8:9], s[12:13]
; %bb.3814:
	s_mov_b32 s10, 0x7f800001
	s_xor_b64 s[4:5], exec, -1
; %bb.3815:
	s_or_b64 exec, exec, s[8:9]
	s_and_b64 s[4:5], s[4:5], exec
	s_or_saveexec_b64 s[6:7], s[6:7]
	v_mov_b32_e32 v3, s10
	s_xor_b64 exec, exec, s[6:7]
	s_cbranch_execz .LBB22_1766
.LBB22_3816:
	v_mov_b32_e32 v3, 0
	v_cmp_ne_u16_sdwa s[8:9], v5, v3 src0_sel:BYTE_0 src1_sel:DWORD
	s_andn2_b64 s[4:5], s[4:5], exec
	s_and_b64 s[8:9], s[8:9], exec
	s_or_b64 s[4:5], s[4:5], s[8:9]
	s_or_b64 exec, exec, s[6:7]
	s_and_saveexec_b64 s[6:7], s[4:5]
	s_cbranch_execnz .LBB22_1767
	s_branch .LBB22_1768
.LBB22_3817:
	s_movk_i32 s4, 0x80
	v_cmp_eq_u16_sdwa s[12:13], v3, s4 src0_sel:BYTE_0 src1_sel:DWORD
	s_mov_b64 s[4:5], -1
                                        ; implicit-def: $sgpr10
	s_and_saveexec_b64 s[8:9], s[12:13]
; %bb.3818:
	s_mov_b32 s10, 0x7f800001
	s_xor_b64 s[4:5], exec, -1
; %bb.3819:
	s_or_b64 exec, exec, s[8:9]
	s_and_b64 s[4:5], s[4:5], exec
	s_or_saveexec_b64 s[6:7], s[6:7]
	v_mov_b32_e32 v2, s10
	s_xor_b64 exec, exec, s[6:7]
	s_cbranch_execz .LBB22_1770
.LBB22_3820:
	v_mov_b32_e32 v2, 0
	v_cmp_ne_u16_sdwa s[8:9], v3, v2 src0_sel:BYTE_0 src1_sel:DWORD
	s_andn2_b64 s[4:5], s[4:5], exec
	s_and_b64 s[8:9], s[8:9], exec
	s_or_b64 s[4:5], s[4:5], s[8:9]
	s_or_b64 exec, exec, s[6:7]
	s_and_saveexec_b64 s[6:7], s[4:5]
	s_cbranch_execnz .LBB22_1771
	s_branch .LBB22_1772
.LBB22_3821:
	s_movk_i32 s4, 0x80
	v_cmp_eq_u16_sdwa s[12:13], v3, s4 src0_sel:BYTE_0 src1_sel:DWORD
	s_mov_b64 s[4:5], -1
                                        ; implicit-def: $sgpr10
	s_and_saveexec_b64 s[8:9], s[12:13]
; %bb.3822:
	s_mov_b32 s10, 0x7f800001
	s_xor_b64 s[4:5], exec, -1
; %bb.3823:
	s_or_b64 exec, exec, s[8:9]
	s_and_b64 s[4:5], s[4:5], exec
	s_or_saveexec_b64 s[6:7], s[6:7]
	v_mov_b32_e32 v4, s10
	s_xor_b64 exec, exec, s[6:7]
	s_cbranch_execz .LBB22_1774
.LBB22_3824:
	v_mov_b32_e32 v4, 0
	v_cmp_ne_u16_sdwa s[8:9], v3, v4 src0_sel:BYTE_0 src1_sel:DWORD
	s_andn2_b64 s[4:5], s[4:5], exec
	s_and_b64 s[8:9], s[8:9], exec
	s_or_b64 s[4:5], s[4:5], s[8:9]
	s_or_b64 exec, exec, s[6:7]
	s_and_saveexec_b64 s[6:7], s[4:5]
	s_cbranch_execnz .LBB22_1775
	s_branch .LBB22_1776
.LBB22_3825:
	s_movk_i32 s4, 0x80
	v_cmp_eq_u16_e32 vcc, s4, v3
	s_mov_b64 s[4:5], -1
                                        ; implicit-def: $sgpr10
	s_and_saveexec_b64 s[8:9], vcc
; %bb.3826:
	s_mov_b32 s10, 0x7f800001
	s_xor_b64 s[4:5], exec, -1
; %bb.3827:
	s_or_b64 exec, exec, s[8:9]
	s_and_b64 s[4:5], s[4:5], exec
                                        ; implicit-def: $vgpr3
	s_or_saveexec_b64 s[6:7], s[6:7]
	v_mov_b32_e32 v2, s10
	s_xor_b64 exec, exec, s[6:7]
	s_cbranch_execz .LBB22_1778
.LBB22_3828:
	v_cmp_ne_u16_e32 vcc, 0, v3
	s_andn2_b64 s[4:5], s[4:5], exec
	s_and_b64 s[8:9], vcc, exec
	v_mov_b32_e32 v2, 0
	s_or_b64 s[4:5], s[4:5], s[8:9]
	s_or_b64 exec, exec, s[6:7]
	s_and_saveexec_b64 s[6:7], s[4:5]
	s_cbranch_execnz .LBB22_1779
	s_branch .LBB22_1780
.LBB22_3829:
	s_movk_i32 s4, 0x80
	v_cmp_eq_u16_e32 vcc, s4, v3
	s_mov_b64 s[4:5], -1
                                        ; implicit-def: $sgpr10
	s_and_saveexec_b64 s[8:9], vcc
; %bb.3830:
	s_mov_b32 s10, 0x7f800001
	s_xor_b64 s[4:5], exec, -1
; %bb.3831:
	s_or_b64 exec, exec, s[8:9]
	s_and_b64 s[4:5], s[4:5], exec
                                        ; implicit-def: $vgpr3
	s_or_saveexec_b64 s[6:7], s[6:7]
	v_mov_b32_e32 v4, s10
	s_xor_b64 exec, exec, s[6:7]
	s_cbranch_execz .LBB22_1782
.LBB22_3832:
	v_cmp_ne_u16_e32 vcc, 0, v3
	s_andn2_b64 s[4:5], s[4:5], exec
	s_and_b64 s[8:9], vcc, exec
	v_mov_b32_e32 v4, 0
	s_or_b64 s[4:5], s[4:5], s[8:9]
	s_or_b64 exec, exec, s[6:7]
	s_and_saveexec_b64 s[6:7], s[4:5]
	s_cbranch_execnz .LBB22_1783
	s_branch .LBB22_1784
.LBB22_3833:
	s_movk_i32 s4, 0x80
	v_cmp_eq_u16_sdwa s[12:13], v9, s4 src0_sel:BYTE_3 src1_sel:DWORD
	s_mov_b64 s[4:5], -1
                                        ; implicit-def: $sgpr10
	s_and_saveexec_b64 s[8:9], s[12:13]
; %bb.3834:
	s_mov_b32 s10, 0x7f800001
	s_xor_b64 s[4:5], exec, -1
; %bb.3835:
	s_or_b64 exec, exec, s[8:9]
	s_and_b64 s[4:5], s[4:5], exec
	s_or_saveexec_b64 s[6:7], s[6:7]
	v_mov_b32_e32 v2, s10
	s_xor_b64 exec, exec, s[6:7]
	s_cbranch_execz .LBB22_1786
.LBB22_3836:
	v_mov_b32_e32 v2, 0
	v_cmp_ne_u16_sdwa s[8:9], v9, v2 src0_sel:BYTE_3 src1_sel:DWORD
	s_andn2_b64 s[4:5], s[4:5], exec
	s_and_b64 s[8:9], s[8:9], exec
	s_or_b64 s[4:5], s[4:5], s[8:9]
	s_or_b64 exec, exec, s[6:7]
	s_and_saveexec_b64 s[6:7], s[4:5]
	s_cbranch_execnz .LBB22_1787
	s_branch .LBB22_1788
.LBB22_3837:
	s_movk_i32 s4, 0x80
	v_cmp_eq_u16_sdwa s[12:13], v5, s4 src0_sel:BYTE_3 src1_sel:DWORD
	s_mov_b64 s[4:5], -1
                                        ; implicit-def: $sgpr10
	s_and_saveexec_b64 s[8:9], s[12:13]
; %bb.3838:
	s_mov_b32 s10, 0x7f800001
	s_xor_b64 s[4:5], exec, -1
; %bb.3839:
	s_or_b64 exec, exec, s[8:9]
	s_and_b64 s[4:5], s[4:5], exec
	s_or_saveexec_b64 s[6:7], s[6:7]
	v_mov_b32_e32 v3, s10
	s_xor_b64 exec, exec, s[6:7]
	s_cbranch_execz .LBB22_1790
.LBB22_3840:
	v_mov_b32_e32 v3, 0
	v_cmp_ne_u16_sdwa s[8:9], v5, v3 src0_sel:BYTE_3 src1_sel:DWORD
	s_andn2_b64 s[4:5], s[4:5], exec
	s_and_b64 s[8:9], s[8:9], exec
	s_or_b64 s[4:5], s[4:5], s[8:9]
	s_or_b64 exec, exec, s[6:7]
	s_and_saveexec_b64 s[6:7], s[4:5]
	s_cbranch_execnz .LBB22_1791
	s_branch .LBB22_1792
.LBB22_3841:
	s_movk_i32 s4, 0x80
	v_cmp_eq_u16_sdwa s[12:13], v12, s4 src0_sel:BYTE_0 src1_sel:DWORD
	s_mov_b64 s[4:5], -1
                                        ; implicit-def: $sgpr10
	s_and_saveexec_b64 s[8:9], s[12:13]
; %bb.3842:
	s_mov_b32 s10, 0x7f800001
	s_xor_b64 s[4:5], exec, -1
; %bb.3843:
	s_or_b64 exec, exec, s[8:9]
	s_and_b64 s[4:5], s[4:5], exec
	s_or_saveexec_b64 s[6:7], s[6:7]
	v_mov_b32_e32 v18, s10
	s_xor_b64 exec, exec, s[6:7]
	s_cbranch_execz .LBB22_1794
.LBB22_3844:
	v_mov_b32_e32 v18, 0
	v_cmp_ne_u16_sdwa s[8:9], v12, v18 src0_sel:BYTE_0 src1_sel:DWORD
	s_andn2_b64 s[4:5], s[4:5], exec
	s_and_b64 s[8:9], s[8:9], exec
	s_or_b64 s[4:5], s[4:5], s[8:9]
	s_or_b64 exec, exec, s[6:7]
	s_and_saveexec_b64 s[6:7], s[4:5]
	s_cbranch_execnz .LBB22_1795
	s_branch .LBB22_1796
.LBB22_3845:
	s_movk_i32 s4, 0x80
	v_cmp_eq_u16_sdwa s[12:13], v8, s4 src0_sel:BYTE_0 src1_sel:DWORD
	s_mov_b64 s[4:5], -1
                                        ; implicit-def: $sgpr10
	s_and_saveexec_b64 s[8:9], s[12:13]
; %bb.3846:
	s_mov_b32 s10, 0x7f800001
	s_xor_b64 s[4:5], exec, -1
; %bb.3847:
	s_or_b64 exec, exec, s[8:9]
	s_and_b64 s[4:5], s[4:5], exec
	s_or_saveexec_b64 s[6:7], s[6:7]
	v_mov_b32_e32 v19, s10
	s_xor_b64 exec, exec, s[6:7]
	s_cbranch_execz .LBB22_1798
.LBB22_3848:
	v_mov_b32_e32 v19, 0
	v_cmp_ne_u16_sdwa s[8:9], v8, v19 src0_sel:BYTE_0 src1_sel:DWORD
	s_andn2_b64 s[4:5], s[4:5], exec
	s_and_b64 s[8:9], s[8:9], exec
	s_or_b64 s[4:5], s[4:5], s[8:9]
	s_or_b64 exec, exec, s[6:7]
	s_and_saveexec_b64 s[6:7], s[4:5]
	s_cbranch_execnz .LBB22_1799
	s_branch .LBB22_1800
.LBB22_3849:
	s_movk_i32 s4, 0x80
	v_cmp_eq_u16_sdwa s[12:13], v19, s4 src0_sel:BYTE_0 src1_sel:DWORD
	s_mov_b64 s[4:5], -1
                                        ; implicit-def: $sgpr10
	s_and_saveexec_b64 s[8:9], s[12:13]
; %bb.3850:
	s_mov_b32 s10, 0x7f800001
	s_xor_b64 s[4:5], exec, -1
; %bb.3851:
	s_or_b64 exec, exec, s[8:9]
	s_and_b64 s[4:5], s[4:5], exec
	s_or_saveexec_b64 s[6:7], s[6:7]
	v_mov_b32_e32 v18, s10
	s_xor_b64 exec, exec, s[6:7]
	s_cbranch_execz .LBB22_1802
.LBB22_3852:
	v_mov_b32_e32 v18, 0
	v_cmp_ne_u16_sdwa s[8:9], v19, v18 src0_sel:BYTE_0 src1_sel:DWORD
	s_andn2_b64 s[4:5], s[4:5], exec
	s_and_b64 s[8:9], s[8:9], exec
	s_or_b64 s[4:5], s[4:5], s[8:9]
	s_or_b64 exec, exec, s[6:7]
	s_and_saveexec_b64 s[6:7], s[4:5]
	s_cbranch_execnz .LBB22_1803
	s_branch .LBB22_1804
.LBB22_3853:
	s_movk_i32 s4, 0x80
	v_cmp_eq_u16_sdwa s[12:13], v19, s4 src0_sel:BYTE_0 src1_sel:DWORD
	s_mov_b64 s[4:5], -1
                                        ; implicit-def: $sgpr10
	s_and_saveexec_b64 s[8:9], s[12:13]
; %bb.3854:
	s_mov_b32 s10, 0x7f800001
	s_xor_b64 s[4:5], exec, -1
; %bb.3855:
	s_or_b64 exec, exec, s[8:9]
	s_and_b64 s[4:5], s[4:5], exec
	s_or_saveexec_b64 s[6:7], s[6:7]
	v_mov_b32_e32 v20, s10
	s_xor_b64 exec, exec, s[6:7]
	s_cbranch_execz .LBB22_1806
.LBB22_3856:
	v_mov_b32_e32 v20, 0
	v_cmp_ne_u16_sdwa s[8:9], v19, v20 src0_sel:BYTE_0 src1_sel:DWORD
	s_andn2_b64 s[4:5], s[4:5], exec
	s_and_b64 s[8:9], s[8:9], exec
	s_or_b64 s[4:5], s[4:5], s[8:9]
	s_or_b64 exec, exec, s[6:7]
	s_and_saveexec_b64 s[6:7], s[4:5]
	s_cbranch_execnz .LBB22_1807
	s_branch .LBB22_1808
.LBB22_3857:
	s_movk_i32 s4, 0x80
	v_cmp_eq_u16_e32 vcc, s4, v19
	s_mov_b64 s[4:5], -1
                                        ; implicit-def: $sgpr10
	s_and_saveexec_b64 s[8:9], vcc
; %bb.3858:
	s_mov_b32 s10, 0x7f800001
	s_xor_b64 s[4:5], exec, -1
; %bb.3859:
	s_or_b64 exec, exec, s[8:9]
	s_and_b64 s[4:5], s[4:5], exec
                                        ; implicit-def: $vgpr19
	s_or_saveexec_b64 s[6:7], s[6:7]
	v_mov_b32_e32 v18, s10
	s_xor_b64 exec, exec, s[6:7]
	s_cbranch_execz .LBB22_1810
.LBB22_3860:
	v_cmp_ne_u16_e32 vcc, 0, v19
	s_andn2_b64 s[4:5], s[4:5], exec
	s_and_b64 s[8:9], vcc, exec
	v_mov_b32_e32 v18, 0
	s_or_b64 s[4:5], s[4:5], s[8:9]
	s_or_b64 exec, exec, s[6:7]
	s_and_saveexec_b64 s[6:7], s[4:5]
	s_cbranch_execnz .LBB22_1811
	s_branch .LBB22_1812
.LBB22_3861:
	s_movk_i32 s4, 0x80
	v_cmp_eq_u16_e32 vcc, s4, v19
	s_mov_b64 s[4:5], -1
                                        ; implicit-def: $sgpr10
	s_and_saveexec_b64 s[8:9], vcc
; %bb.3862:
	s_mov_b32 s10, 0x7f800001
	s_xor_b64 s[4:5], exec, -1
; %bb.3863:
	s_or_b64 exec, exec, s[8:9]
	s_and_b64 s[4:5], s[4:5], exec
                                        ; implicit-def: $vgpr19
	s_or_saveexec_b64 s[6:7], s[6:7]
	v_mov_b32_e32 v20, s10
	s_xor_b64 exec, exec, s[6:7]
	s_cbranch_execz .LBB22_1814
.LBB22_3864:
	v_cmp_ne_u16_e32 vcc, 0, v19
	s_andn2_b64 s[4:5], s[4:5], exec
	s_and_b64 s[8:9], vcc, exec
	v_mov_b32_e32 v20, 0
	s_or_b64 s[4:5], s[4:5], s[8:9]
	s_or_b64 exec, exec, s[6:7]
	s_and_saveexec_b64 s[6:7], s[4:5]
	s_cbranch_execnz .LBB22_1815
	s_branch .LBB22_1816
.LBB22_3865:
	s_movk_i32 s4, 0x80
	v_cmp_eq_u16_sdwa s[12:13], v12, s4 src0_sel:BYTE_3 src1_sel:DWORD
	s_mov_b64 s[4:5], -1
                                        ; implicit-def: $sgpr10
	s_and_saveexec_b64 s[8:9], s[12:13]
; %bb.3866:
	s_mov_b32 s10, 0x7f800001
	s_xor_b64 s[4:5], exec, -1
; %bb.3867:
	s_or_b64 exec, exec, s[8:9]
	s_and_b64 s[4:5], s[4:5], exec
	s_or_saveexec_b64 s[6:7], s[6:7]
	v_mov_b32_e32 v18, s10
	s_xor_b64 exec, exec, s[6:7]
	s_cbranch_execz .LBB22_1818
.LBB22_3868:
	v_mov_b32_e32 v18, 0
	v_cmp_ne_u16_sdwa s[8:9], v12, v18 src0_sel:BYTE_3 src1_sel:DWORD
	s_andn2_b64 s[4:5], s[4:5], exec
	s_and_b64 s[8:9], s[8:9], exec
	s_or_b64 s[4:5], s[4:5], s[8:9]
	s_or_b64 exec, exec, s[6:7]
	s_and_saveexec_b64 s[6:7], s[4:5]
	s_cbranch_execnz .LBB22_1819
	s_branch .LBB22_1820
.LBB22_3869:
	s_movk_i32 s4, 0x80
	v_cmp_eq_u16_sdwa s[12:13], v8, s4 src0_sel:BYTE_3 src1_sel:DWORD
	s_mov_b64 s[4:5], -1
                                        ; implicit-def: $sgpr10
	s_and_saveexec_b64 s[8:9], s[12:13]
; %bb.3870:
	s_mov_b32 s10, 0x7f800001
	s_xor_b64 s[4:5], exec, -1
; %bb.3871:
	s_or_b64 exec, exec, s[8:9]
	s_and_b64 s[4:5], s[4:5], exec
	s_or_saveexec_b64 s[6:7], s[6:7]
	v_mov_b32_e32 v12, s10
	s_xor_b64 exec, exec, s[6:7]
	s_cbranch_execz .LBB22_1822
.LBB22_3872:
	v_mov_b32_e32 v12, 0
	v_cmp_ne_u16_sdwa s[8:9], v8, v12 src0_sel:BYTE_3 src1_sel:DWORD
	s_andn2_b64 s[4:5], s[4:5], exec
	s_and_b64 s[8:9], s[8:9], exec
	s_or_b64 s[4:5], s[4:5], s[8:9]
	s_or_b64 exec, exec, s[6:7]
	s_and_saveexec_b64 s[6:7], s[4:5]
	s_cbranch_execnz .LBB22_1823
	s_branch .LBB22_1824
.LBB22_3873:
	s_movk_i32 s4, 0x80
	v_cmp_eq_u16_sdwa s[12:13], v13, s4 src0_sel:BYTE_0 src1_sel:DWORD
	s_mov_b64 s[4:5], -1
                                        ; implicit-def: $sgpr10
	s_and_saveexec_b64 s[8:9], s[12:13]
; %bb.3874:
	s_mov_b32 s10, 0x7f800001
	s_xor_b64 s[4:5], exec, -1
; %bb.3875:
	s_or_b64 exec, exec, s[8:9]
	s_and_b64 s[4:5], s[4:5], exec
	s_or_saveexec_b64 s[6:7], s[6:7]
	v_mov_b32_e32 v8, s10
	s_xor_b64 exec, exec, s[6:7]
	s_cbranch_execz .LBB22_1826
.LBB22_3876:
	v_mov_b32_e32 v8, 0
	v_cmp_ne_u16_sdwa s[8:9], v13, v8 src0_sel:BYTE_0 src1_sel:DWORD
	s_andn2_b64 s[4:5], s[4:5], exec
	s_and_b64 s[8:9], s[8:9], exec
	s_or_b64 s[4:5], s[4:5], s[8:9]
	s_or_b64 exec, exec, s[6:7]
	s_and_saveexec_b64 s[6:7], s[4:5]
	s_cbranch_execnz .LBB22_1827
	s_branch .LBB22_1828
.LBB22_3877:
	s_movk_i32 s4, 0x80
	v_cmp_eq_u16_sdwa s[12:13], v9, s4 src0_sel:BYTE_0 src1_sel:DWORD
	s_mov_b64 s[4:5], -1
                                        ; implicit-def: $sgpr10
	s_and_saveexec_b64 s[8:9], s[12:13]
; %bb.3878:
	s_mov_b32 s10, 0x7f800001
	s_xor_b64 s[4:5], exec, -1
; %bb.3879:
	s_or_b64 exec, exec, s[8:9]
	s_and_b64 s[4:5], s[4:5], exec
	s_or_saveexec_b64 s[6:7], s[6:7]
	v_mov_b32_e32 v12, s10
	s_xor_b64 exec, exec, s[6:7]
	s_cbranch_execz .LBB22_1830
.LBB22_3880:
	v_mov_b32_e32 v12, 0
	v_cmp_ne_u16_sdwa s[8:9], v9, v12 src0_sel:BYTE_0 src1_sel:DWORD
	s_andn2_b64 s[4:5], s[4:5], exec
	s_and_b64 s[8:9], s[8:9], exec
	s_or_b64 s[4:5], s[4:5], s[8:9]
	s_or_b64 exec, exec, s[6:7]
	s_and_saveexec_b64 s[6:7], s[4:5]
	s_cbranch_execnz .LBB22_1831
	s_branch .LBB22_1832
.LBB22_3881:
	s_movk_i32 s4, 0x80
	v_cmp_eq_u16_sdwa s[12:13], v12, s4 src0_sel:BYTE_0 src1_sel:DWORD
	s_mov_b64 s[4:5], -1
                                        ; implicit-def: $sgpr10
	s_and_saveexec_b64 s[8:9], s[12:13]
; %bb.3882:
	s_mov_b32 s10, 0x7f800001
	s_xor_b64 s[4:5], exec, -1
; %bb.3883:
	s_or_b64 exec, exec, s[8:9]
	s_and_b64 s[4:5], s[4:5], exec
	s_or_saveexec_b64 s[6:7], s[6:7]
	v_mov_b32_e32 v8, s10
	s_xor_b64 exec, exec, s[6:7]
	s_cbranch_execz .LBB22_1834
.LBB22_3884:
	v_mov_b32_e32 v8, 0
	v_cmp_ne_u16_sdwa s[8:9], v12, v8 src0_sel:BYTE_0 src1_sel:DWORD
	s_andn2_b64 s[4:5], s[4:5], exec
	s_and_b64 s[8:9], s[8:9], exec
	s_or_b64 s[4:5], s[4:5], s[8:9]
	s_or_b64 exec, exec, s[6:7]
	s_and_saveexec_b64 s[6:7], s[4:5]
	s_cbranch_execnz .LBB22_1835
	s_branch .LBB22_1836
.LBB22_3885:
	s_movk_i32 s4, 0x80
	v_cmp_eq_u16_sdwa s[12:13], v12, s4 src0_sel:BYTE_0 src1_sel:DWORD
	s_mov_b64 s[4:5], -1
                                        ; implicit-def: $sgpr10
	s_and_saveexec_b64 s[8:9], s[12:13]
; %bb.3886:
	s_mov_b32 s10, 0x7f800001
	s_xor_b64 s[4:5], exec, -1
; %bb.3887:
	s_or_b64 exec, exec, s[8:9]
	s_and_b64 s[4:5], s[4:5], exec
	s_or_saveexec_b64 s[6:7], s[6:7]
	v_mov_b32_e32 v18, s10
	s_xor_b64 exec, exec, s[6:7]
	s_cbranch_execz .LBB22_1838
.LBB22_3888:
	v_mov_b32_e32 v18, 0
	v_cmp_ne_u16_sdwa s[8:9], v12, v18 src0_sel:BYTE_0 src1_sel:DWORD
	s_andn2_b64 s[4:5], s[4:5], exec
	s_and_b64 s[8:9], s[8:9], exec
	s_or_b64 s[4:5], s[4:5], s[8:9]
	s_or_b64 exec, exec, s[6:7]
	s_and_saveexec_b64 s[6:7], s[4:5]
	s_cbranch_execnz .LBB22_1839
	s_branch .LBB22_1840
.LBB22_3889:
	s_movk_i32 s4, 0x80
	v_cmp_eq_u16_e32 vcc, s4, v12
	s_mov_b64 s[4:5], -1
                                        ; implicit-def: $sgpr10
	s_and_saveexec_b64 s[8:9], vcc
; %bb.3890:
	s_mov_b32 s10, 0x7f800001
	s_xor_b64 s[4:5], exec, -1
; %bb.3891:
	s_or_b64 exec, exec, s[8:9]
	s_and_b64 s[4:5], s[4:5], exec
                                        ; implicit-def: $vgpr12
	s_or_saveexec_b64 s[6:7], s[6:7]
	v_mov_b32_e32 v8, s10
	s_xor_b64 exec, exec, s[6:7]
	s_cbranch_execz .LBB22_1842
.LBB22_3892:
	v_cmp_ne_u16_e32 vcc, 0, v12
	s_andn2_b64 s[4:5], s[4:5], exec
	s_and_b64 s[8:9], vcc, exec
	v_mov_b32_e32 v8, 0
	s_or_b64 s[4:5], s[4:5], s[8:9]
	s_or_b64 exec, exec, s[6:7]
	s_and_saveexec_b64 s[6:7], s[4:5]
	s_cbranch_execnz .LBB22_1843
	s_branch .LBB22_1844
.LBB22_3893:
	s_movk_i32 s4, 0x80
	v_cmp_eq_u16_e32 vcc, s4, v12
	s_mov_b64 s[4:5], -1
                                        ; implicit-def: $sgpr10
	s_and_saveexec_b64 s[8:9], vcc
; %bb.3894:
	s_mov_b32 s10, 0x7f800001
	s_xor_b64 s[4:5], exec, -1
; %bb.3895:
	s_or_b64 exec, exec, s[8:9]
	s_and_b64 s[4:5], s[4:5], exec
                                        ; implicit-def: $vgpr12
	s_or_saveexec_b64 s[6:7], s[6:7]
	v_mov_b32_e32 v18, s10
	s_xor_b64 exec, exec, s[6:7]
	s_cbranch_execz .LBB22_1846
.LBB22_3896:
	v_cmp_ne_u16_e32 vcc, 0, v12
	s_andn2_b64 s[4:5], s[4:5], exec
	s_and_b64 s[8:9], vcc, exec
	v_mov_b32_e32 v18, 0
	s_or_b64 s[4:5], s[4:5], s[8:9]
	s_or_b64 exec, exec, s[6:7]
	s_and_saveexec_b64 s[6:7], s[4:5]
	s_cbranch_execnz .LBB22_1847
	s_branch .LBB22_1848
.LBB22_3897:
	s_movk_i32 s4, 0x80
	v_cmp_eq_u16_sdwa s[12:13], v13, s4 src0_sel:BYTE_3 src1_sel:DWORD
	s_mov_b64 s[4:5], -1
                                        ; implicit-def: $sgpr10
	s_and_saveexec_b64 s[8:9], s[12:13]
; %bb.3898:
	s_mov_b32 s10, 0x7f800001
	s_xor_b64 s[4:5], exec, -1
; %bb.3899:
	s_or_b64 exec, exec, s[8:9]
	s_and_b64 s[4:5], s[4:5], exec
	s_or_saveexec_b64 s[6:7], s[6:7]
	v_mov_b32_e32 v8, s10
	s_xor_b64 exec, exec, s[6:7]
	s_cbranch_execz .LBB22_1850
.LBB22_3900:
	v_mov_b32_e32 v8, 0
	v_cmp_ne_u16_sdwa s[8:9], v13, v8 src0_sel:BYTE_3 src1_sel:DWORD
	s_andn2_b64 s[4:5], s[4:5], exec
	s_and_b64 s[8:9], s[8:9], exec
	s_or_b64 s[4:5], s[4:5], s[8:9]
	s_or_b64 exec, exec, s[6:7]
	s_and_saveexec_b64 s[6:7], s[4:5]
	s_cbranch_execnz .LBB22_1851
	s_branch .LBB22_1852
.LBB22_3901:
	s_movk_i32 s4, 0x80
	v_cmp_eq_u16_sdwa s[12:13], v9, s4 src0_sel:BYTE_3 src1_sel:DWORD
	s_mov_b64 s[4:5], -1
                                        ; implicit-def: $sgpr10
	s_and_saveexec_b64 s[8:9], s[12:13]
; %bb.3902:
	s_mov_b32 s10, 0x7f800001
	s_xor_b64 s[4:5], exec, -1
; %bb.3903:
	s_or_b64 exec, exec, s[8:9]
	s_and_b64 s[4:5], s[4:5], exec
	s_or_saveexec_b64 s[6:7], s[6:7]
	v_mov_b32_e32 v12, s10
	s_xor_b64 exec, exec, s[6:7]
	s_cbranch_execz .LBB22_1854
.LBB22_3904:
	v_mov_b32_e32 v12, 0
	v_cmp_ne_u16_sdwa s[8:9], v9, v12 src0_sel:BYTE_3 src1_sel:DWORD
	s_andn2_b64 s[4:5], s[4:5], exec
	s_and_b64 s[8:9], s[8:9], exec
	s_or_b64 s[4:5], s[4:5], s[8:9]
	s_or_b64 exec, exec, s[6:7]
	s_and_saveexec_b64 s[6:7], s[4:5]
	s_cbranch_execnz .LBB22_1855
	s_branch .LBB22_1856
.LBB22_3905:
	s_movk_i32 s4, 0x80
	v_cmp_eq_u16_sdwa s[12:13], v14, s4 src0_sel:BYTE_0 src1_sel:DWORD
	s_mov_b64 s[4:5], -1
                                        ; implicit-def: $sgpr10
	s_and_saveexec_b64 s[8:9], s[12:13]
; %bb.3906:
	s_mov_b32 s10, 0x7f800001
	s_xor_b64 s[4:5], exec, -1
; %bb.3907:
	s_or_b64 exec, exec, s[8:9]
	s_and_b64 s[4:5], s[4:5], exec
	s_or_saveexec_b64 s[6:7], s[6:7]
	v_mov_b32_e32 v8, s10
	s_xor_b64 exec, exec, s[6:7]
	s_cbranch_execz .LBB22_1858
.LBB22_3908:
	v_mov_b32_e32 v8, 0
	v_cmp_ne_u16_sdwa s[8:9], v14, v8 src0_sel:BYTE_0 src1_sel:DWORD
	s_andn2_b64 s[4:5], s[4:5], exec
	s_and_b64 s[8:9], s[8:9], exec
	s_or_b64 s[4:5], s[4:5], s[8:9]
	s_or_b64 exec, exec, s[6:7]
	s_and_saveexec_b64 s[6:7], s[4:5]
	s_cbranch_execnz .LBB22_1859
	s_branch .LBB22_1860
.LBB22_3909:
	s_movk_i32 s4, 0x80
	v_cmp_eq_u16_sdwa s[12:13], v10, s4 src0_sel:BYTE_0 src1_sel:DWORD
	s_mov_b64 s[4:5], -1
                                        ; implicit-def: $sgpr10
	s_and_saveexec_b64 s[8:9], s[12:13]
; %bb.3910:
	s_mov_b32 s10, 0x7f800001
	s_xor_b64 s[4:5], exec, -1
; %bb.3911:
	s_or_b64 exec, exec, s[8:9]
	s_and_b64 s[4:5], s[4:5], exec
	s_or_saveexec_b64 s[6:7], s[6:7]
	v_mov_b32_e32 v9, s10
	s_xor_b64 exec, exec, s[6:7]
	s_cbranch_execz .LBB22_1862
.LBB22_3912:
	v_mov_b32_e32 v9, 0
	v_cmp_ne_u16_sdwa s[8:9], v10, v9 src0_sel:BYTE_0 src1_sel:DWORD
	s_andn2_b64 s[4:5], s[4:5], exec
	s_and_b64 s[8:9], s[8:9], exec
	s_or_b64 s[4:5], s[4:5], s[8:9]
	s_or_b64 exec, exec, s[6:7]
	s_and_saveexec_b64 s[6:7], s[4:5]
	s_cbranch_execnz .LBB22_1863
	s_branch .LBB22_1864
.LBB22_3913:
	s_movk_i32 s4, 0x80
	v_cmp_eq_u16_sdwa s[12:13], v9, s4 src0_sel:BYTE_0 src1_sel:DWORD
	s_mov_b64 s[4:5], -1
                                        ; implicit-def: $sgpr10
	s_and_saveexec_b64 s[8:9], s[12:13]
; %bb.3914:
	s_mov_b32 s10, 0x7f800001
	s_xor_b64 s[4:5], exec, -1
; %bb.3915:
	s_or_b64 exec, exec, s[8:9]
	s_and_b64 s[4:5], s[4:5], exec
	s_or_saveexec_b64 s[6:7], s[6:7]
	v_mov_b32_e32 v8, s10
	s_xor_b64 exec, exec, s[6:7]
	s_cbranch_execz .LBB22_1866
.LBB22_3916:
	v_mov_b32_e32 v8, 0
	v_cmp_ne_u16_sdwa s[8:9], v9, v8 src0_sel:BYTE_0 src1_sel:DWORD
	s_andn2_b64 s[4:5], s[4:5], exec
	s_and_b64 s[8:9], s[8:9], exec
	s_or_b64 s[4:5], s[4:5], s[8:9]
	s_or_b64 exec, exec, s[6:7]
	s_and_saveexec_b64 s[6:7], s[4:5]
	s_cbranch_execnz .LBB22_1867
	s_branch .LBB22_1868
.LBB22_3917:
	s_movk_i32 s4, 0x80
	v_cmp_eq_u16_sdwa s[12:13], v9, s4 src0_sel:BYTE_0 src1_sel:DWORD
	s_mov_b64 s[4:5], -1
                                        ; implicit-def: $sgpr10
	s_and_saveexec_b64 s[8:9], s[12:13]
; %bb.3918:
	s_mov_b32 s10, 0x7f800001
	s_xor_b64 s[4:5], exec, -1
; %bb.3919:
	s_or_b64 exec, exec, s[8:9]
	s_and_b64 s[4:5], s[4:5], exec
	s_or_saveexec_b64 s[6:7], s[6:7]
	v_mov_b32_e32 v12, s10
	s_xor_b64 exec, exec, s[6:7]
	s_cbranch_execz .LBB22_1870
.LBB22_3920:
	v_mov_b32_e32 v12, 0
	v_cmp_ne_u16_sdwa s[8:9], v9, v12 src0_sel:BYTE_0 src1_sel:DWORD
	s_andn2_b64 s[4:5], s[4:5], exec
	s_and_b64 s[8:9], s[8:9], exec
	s_or_b64 s[4:5], s[4:5], s[8:9]
	s_or_b64 exec, exec, s[6:7]
	s_and_saveexec_b64 s[6:7], s[4:5]
	s_cbranch_execnz .LBB22_1871
	s_branch .LBB22_1872
.LBB22_3921:
	s_movk_i32 s4, 0x80
	v_cmp_eq_u16_e32 vcc, s4, v9
	s_mov_b64 s[4:5], -1
                                        ; implicit-def: $sgpr10
	s_and_saveexec_b64 s[8:9], vcc
; %bb.3922:
	s_mov_b32 s10, 0x7f800001
	s_xor_b64 s[4:5], exec, -1
; %bb.3923:
	s_or_b64 exec, exec, s[8:9]
	s_and_b64 s[4:5], s[4:5], exec
                                        ; implicit-def: $vgpr9
	s_or_saveexec_b64 s[6:7], s[6:7]
	v_mov_b32_e32 v8, s10
	s_xor_b64 exec, exec, s[6:7]
	s_cbranch_execz .LBB22_1874
.LBB22_3924:
	v_cmp_ne_u16_e32 vcc, 0, v9
	s_andn2_b64 s[4:5], s[4:5], exec
	s_and_b64 s[8:9], vcc, exec
	v_mov_b32_e32 v8, 0
	s_or_b64 s[4:5], s[4:5], s[8:9]
	s_or_b64 exec, exec, s[6:7]
	s_and_saveexec_b64 s[6:7], s[4:5]
	s_cbranch_execnz .LBB22_1875
	s_branch .LBB22_1876
.LBB22_3925:
	s_movk_i32 s4, 0x80
	v_cmp_eq_u16_e32 vcc, s4, v9
	s_mov_b64 s[4:5], -1
                                        ; implicit-def: $sgpr10
	s_and_saveexec_b64 s[8:9], vcc
; %bb.3926:
	s_mov_b32 s10, 0x7f800001
	s_xor_b64 s[4:5], exec, -1
; %bb.3927:
	s_or_b64 exec, exec, s[8:9]
	s_and_b64 s[4:5], s[4:5], exec
                                        ; implicit-def: $vgpr9
	s_or_saveexec_b64 s[6:7], s[6:7]
	v_mov_b32_e32 v12, s10
	s_xor_b64 exec, exec, s[6:7]
	s_cbranch_execz .LBB22_1878
.LBB22_3928:
	v_cmp_ne_u16_e32 vcc, 0, v9
	s_andn2_b64 s[4:5], s[4:5], exec
	s_and_b64 s[8:9], vcc, exec
	v_mov_b32_e32 v12, 0
	s_or_b64 s[4:5], s[4:5], s[8:9]
	s_or_b64 exec, exec, s[6:7]
	s_and_saveexec_b64 s[6:7], s[4:5]
	s_cbranch_execnz .LBB22_1879
	s_branch .LBB22_1880
.LBB22_3929:
	s_movk_i32 s4, 0x80
	v_cmp_eq_u16_sdwa s[12:13], v14, s4 src0_sel:BYTE_3 src1_sel:DWORD
	s_mov_b64 s[4:5], -1
                                        ; implicit-def: $sgpr10
	s_and_saveexec_b64 s[8:9], s[12:13]
; %bb.3930:
	s_mov_b32 s10, 0x7f800001
	s_xor_b64 s[4:5], exec, -1
; %bb.3931:
	s_or_b64 exec, exec, s[8:9]
	s_and_b64 s[4:5], s[4:5], exec
	s_or_saveexec_b64 s[6:7], s[6:7]
	v_mov_b32_e32 v8, s10
	s_xor_b64 exec, exec, s[6:7]
	s_cbranch_execz .LBB22_1882
.LBB22_3932:
	v_mov_b32_e32 v8, 0
	v_cmp_ne_u16_sdwa s[8:9], v14, v8 src0_sel:BYTE_3 src1_sel:DWORD
	s_andn2_b64 s[4:5], s[4:5], exec
	s_and_b64 s[8:9], s[8:9], exec
	s_or_b64 s[4:5], s[4:5], s[8:9]
	s_or_b64 exec, exec, s[6:7]
	s_and_saveexec_b64 s[6:7], s[4:5]
	s_cbranch_execnz .LBB22_1883
	s_branch .LBB22_1884
.LBB22_3933:
	s_movk_i32 s4, 0x80
	v_cmp_eq_u16_sdwa s[12:13], v10, s4 src0_sel:BYTE_3 src1_sel:DWORD
	s_mov_b64 s[4:5], -1
                                        ; implicit-def: $sgpr10
	s_and_saveexec_b64 s[8:9], s[12:13]
; %bb.3934:
	s_mov_b32 s10, 0x7f800001
	s_xor_b64 s[4:5], exec, -1
; %bb.3935:
	s_or_b64 exec, exec, s[8:9]
	s_and_b64 s[4:5], s[4:5], exec
	s_or_saveexec_b64 s[6:7], s[6:7]
	v_mov_b32_e32 v9, s10
	s_xor_b64 exec, exec, s[6:7]
	s_cbranch_execz .LBB22_1886
.LBB22_3936:
	v_mov_b32_e32 v9, 0
	v_cmp_ne_u16_sdwa s[8:9], v10, v9 src0_sel:BYTE_3 src1_sel:DWORD
	s_andn2_b64 s[4:5], s[4:5], exec
	s_and_b64 s[8:9], s[8:9], exec
	s_or_b64 s[4:5], s[4:5], s[8:9]
	s_or_b64 exec, exec, s[6:7]
	s_and_saveexec_b64 s[6:7], s[4:5]
	s_cbranch_execnz .LBB22_1887
	s_branch .LBB22_1888
.LBB22_3937:
	s_movk_i32 s4, 0x80
	v_cmp_eq_u16_sdwa s[12:13], v15, s4 src0_sel:BYTE_0 src1_sel:DWORD
	s_mov_b64 s[4:5], -1
                                        ; implicit-def: $sgpr10
	s_and_saveexec_b64 s[8:9], s[12:13]
; %bb.3938:
	s_mov_b32 s10, 0x7f800001
	s_xor_b64 s[4:5], exec, -1
; %bb.3939:
	s_or_b64 exec, exec, s[8:9]
	s_and_b64 s[4:5], s[4:5], exec
	s_or_saveexec_b64 s[6:7], s[6:7]
	v_mov_b32_e32 v8, s10
	s_xor_b64 exec, exec, s[6:7]
	s_cbranch_execz .LBB22_1890
.LBB22_3940:
	v_mov_b32_e32 v8, 0
	v_cmp_ne_u16_sdwa s[8:9], v15, v8 src0_sel:BYTE_0 src1_sel:DWORD
	s_andn2_b64 s[4:5], s[4:5], exec
	s_and_b64 s[8:9], s[8:9], exec
	s_or_b64 s[4:5], s[4:5], s[8:9]
	s_or_b64 exec, exec, s[6:7]
	s_and_saveexec_b64 s[6:7], s[4:5]
	s_cbranch_execnz .LBB22_1891
	s_branch .LBB22_1892
.LBB22_3941:
	s_movk_i32 s4, 0x80
	v_cmp_eq_u16_sdwa s[12:13], v11, s4 src0_sel:BYTE_0 src1_sel:DWORD
	s_mov_b64 s[4:5], -1
                                        ; implicit-def: $sgpr10
	s_and_saveexec_b64 s[8:9], s[12:13]
; %bb.3942:
	s_mov_b32 s10, 0x7f800001
	s_xor_b64 s[4:5], exec, -1
; %bb.3943:
	s_or_b64 exec, exec, s[8:9]
	s_and_b64 s[4:5], s[4:5], exec
	s_or_saveexec_b64 s[6:7], s[6:7]
	v_mov_b32_e32 v9, s10
	s_xor_b64 exec, exec, s[6:7]
	s_cbranch_execz .LBB22_1894
.LBB22_3944:
	v_mov_b32_e32 v9, 0
	v_cmp_ne_u16_sdwa s[8:9], v11, v9 src0_sel:BYTE_0 src1_sel:DWORD
	s_andn2_b64 s[4:5], s[4:5], exec
	s_and_b64 s[8:9], s[8:9], exec
	s_or_b64 s[4:5], s[4:5], s[8:9]
	s_or_b64 exec, exec, s[6:7]
	s_and_saveexec_b64 s[6:7], s[4:5]
	s_cbranch_execnz .LBB22_1895
	s_branch .LBB22_1896
.LBB22_3945:
	s_movk_i32 s4, 0x80
	v_cmp_eq_u16_sdwa s[12:13], v9, s4 src0_sel:BYTE_0 src1_sel:DWORD
	s_mov_b64 s[4:5], -1
                                        ; implicit-def: $sgpr10
	s_and_saveexec_b64 s[8:9], s[12:13]
; %bb.3946:
	s_mov_b32 s10, 0x7f800001
	s_xor_b64 s[4:5], exec, -1
; %bb.3947:
	s_or_b64 exec, exec, s[8:9]
	s_and_b64 s[4:5], s[4:5], exec
	s_or_saveexec_b64 s[6:7], s[6:7]
	v_mov_b32_e32 v8, s10
	s_xor_b64 exec, exec, s[6:7]
	s_cbranch_execz .LBB22_1898
.LBB22_3948:
	v_mov_b32_e32 v8, 0
	v_cmp_ne_u16_sdwa s[8:9], v9, v8 src0_sel:BYTE_0 src1_sel:DWORD
	s_andn2_b64 s[4:5], s[4:5], exec
	s_and_b64 s[8:9], s[8:9], exec
	s_or_b64 s[4:5], s[4:5], s[8:9]
	s_or_b64 exec, exec, s[6:7]
	s_and_saveexec_b64 s[6:7], s[4:5]
	s_cbranch_execnz .LBB22_1899
	s_branch .LBB22_1900
.LBB22_3949:
	s_movk_i32 s4, 0x80
	v_cmp_eq_u16_sdwa s[12:13], v9, s4 src0_sel:BYTE_0 src1_sel:DWORD
	s_mov_b64 s[4:5], -1
                                        ; implicit-def: $sgpr10
	s_and_saveexec_b64 s[8:9], s[12:13]
; %bb.3950:
	s_mov_b32 s10, 0x7f800001
	s_xor_b64 s[4:5], exec, -1
; %bb.3951:
	s_or_b64 exec, exec, s[8:9]
	s_and_b64 s[4:5], s[4:5], exec
	s_or_saveexec_b64 s[6:7], s[6:7]
	v_mov_b32_e32 v10, s10
	s_xor_b64 exec, exec, s[6:7]
	s_cbranch_execz .LBB22_1902
.LBB22_3952:
	v_mov_b32_e32 v10, 0
	v_cmp_ne_u16_sdwa s[8:9], v9, v10 src0_sel:BYTE_0 src1_sel:DWORD
	s_andn2_b64 s[4:5], s[4:5], exec
	s_and_b64 s[8:9], s[8:9], exec
	s_or_b64 s[4:5], s[4:5], s[8:9]
	s_or_b64 exec, exec, s[6:7]
	s_and_saveexec_b64 s[6:7], s[4:5]
	s_cbranch_execnz .LBB22_1903
	s_branch .LBB22_1904
.LBB22_3953:
	s_movk_i32 s4, 0x80
	v_cmp_eq_u16_e32 vcc, s4, v9
	s_mov_b64 s[4:5], -1
                                        ; implicit-def: $sgpr10
	s_and_saveexec_b64 s[8:9], vcc
; %bb.3954:
	s_mov_b32 s10, 0x7f800001
	s_xor_b64 s[4:5], exec, -1
; %bb.3955:
	s_or_b64 exec, exec, s[8:9]
	s_and_b64 s[4:5], s[4:5], exec
                                        ; implicit-def: $vgpr9
	s_or_saveexec_b64 s[6:7], s[6:7]
	v_mov_b32_e32 v8, s10
	s_xor_b64 exec, exec, s[6:7]
	s_cbranch_execz .LBB22_1906
.LBB22_3956:
	v_cmp_ne_u16_e32 vcc, 0, v9
	s_andn2_b64 s[4:5], s[4:5], exec
	s_and_b64 s[8:9], vcc, exec
	v_mov_b32_e32 v8, 0
	s_or_b64 s[4:5], s[4:5], s[8:9]
	s_or_b64 exec, exec, s[6:7]
	s_and_saveexec_b64 s[6:7], s[4:5]
	s_cbranch_execnz .LBB22_1907
	s_branch .LBB22_1908
.LBB22_3957:
	s_movk_i32 s4, 0x80
	v_cmp_eq_u16_e32 vcc, s4, v9
	s_mov_b64 s[4:5], -1
                                        ; implicit-def: $sgpr10
	s_and_saveexec_b64 s[8:9], vcc
; %bb.3958:
	s_mov_b32 s10, 0x7f800001
	s_xor_b64 s[4:5], exec, -1
; %bb.3959:
	s_or_b64 exec, exec, s[8:9]
	s_and_b64 s[4:5], s[4:5], exec
                                        ; implicit-def: $vgpr9
	s_or_saveexec_b64 s[6:7], s[6:7]
	v_mov_b32_e32 v10, s10
	s_xor_b64 exec, exec, s[6:7]
	s_cbranch_execz .LBB22_1910
.LBB22_3960:
	v_cmp_ne_u16_e32 vcc, 0, v9
	s_andn2_b64 s[4:5], s[4:5], exec
	s_and_b64 s[8:9], vcc, exec
	v_mov_b32_e32 v10, 0
	s_or_b64 s[4:5], s[4:5], s[8:9]
	s_or_b64 exec, exec, s[6:7]
	s_and_saveexec_b64 s[6:7], s[4:5]
	s_cbranch_execnz .LBB22_1911
	s_branch .LBB22_1912
.LBB22_3961:
	s_movk_i32 s4, 0x80
	v_cmp_eq_u16_sdwa s[12:13], v15, s4 src0_sel:BYTE_3 src1_sel:DWORD
	s_mov_b64 s[4:5], -1
                                        ; implicit-def: $sgpr10
	s_and_saveexec_b64 s[8:9], s[12:13]
; %bb.3962:
	s_mov_b32 s10, 0x7f800001
	s_xor_b64 s[4:5], exec, -1
; %bb.3963:
	s_or_b64 exec, exec, s[8:9]
	s_and_b64 s[4:5], s[4:5], exec
	s_or_saveexec_b64 s[6:7], s[6:7]
	v_mov_b32_e32 v8, s10
	s_xor_b64 exec, exec, s[6:7]
	s_cbranch_execz .LBB22_1914
.LBB22_3964:
	v_mov_b32_e32 v8, 0
	v_cmp_ne_u16_sdwa s[8:9], v15, v8 src0_sel:BYTE_3 src1_sel:DWORD
	s_andn2_b64 s[4:5], s[4:5], exec
	s_and_b64 s[8:9], s[8:9], exec
	s_or_b64 s[4:5], s[4:5], s[8:9]
	s_or_b64 exec, exec, s[6:7]
	s_and_saveexec_b64 s[6:7], s[4:5]
	s_cbranch_execnz .LBB22_1915
	s_branch .LBB22_1916
.LBB22_3965:
	s_movk_i32 s4, 0x80
	v_cmp_eq_u16_sdwa s[12:13], v11, s4 src0_sel:BYTE_3 src1_sel:DWORD
	s_mov_b64 s[4:5], -1
                                        ; implicit-def: $sgpr10
	s_and_saveexec_b64 s[8:9], s[12:13]
; %bb.3966:
	s_mov_b32 s10, 0x7f800001
	s_xor_b64 s[4:5], exec, -1
; %bb.3967:
	s_or_b64 exec, exec, s[8:9]
	s_and_b64 s[4:5], s[4:5], exec
	s_or_saveexec_b64 s[6:7], s[6:7]
	v_mov_b32_e32 v9, s10
	s_xor_b64 exec, exec, s[6:7]
	s_cbranch_execz .LBB22_1918
.LBB22_3968:
	v_mov_b32_e32 v9, 0
	v_cmp_ne_u16_sdwa s[8:9], v11, v9 src0_sel:BYTE_3 src1_sel:DWORD
	s_andn2_b64 s[4:5], s[4:5], exec
	s_and_b64 s[8:9], s[8:9], exec
	s_or_b64 s[4:5], s[4:5], s[8:9]
	s_or_b64 exec, exec, s[6:7]
	s_and_saveexec_b64 s[6:7], s[4:5]
	s_cbranch_execnz .LBB22_1919
	s_branch .LBB22_1920
.LBB22_3969:
	s_movk_i32 s4, 0x80
	v_cmp_eq_u16_sdwa s[12:13], v4, s4 src0_sel:BYTE_0 src1_sel:DWORD
	s_mov_b64 s[4:5], -1
                                        ; implicit-def: $sgpr10
	s_and_saveexec_b64 s[8:9], s[12:13]
; %bb.3970:
	s_mov_b32 s10, 0x7f800001
	s_xor_b64 s[4:5], exec, -1
; %bb.3971:
	s_or_b64 exec, exec, s[8:9]
	s_and_b64 s[4:5], s[4:5], exec
	s_or_saveexec_b64 s[6:7], s[6:7]
	v_mov_b32_e32 v8, s10
	s_xor_b64 exec, exec, s[6:7]
	s_cbranch_execz .LBB22_1922
.LBB22_3972:
	v_mov_b32_e32 v8, 0
	v_cmp_ne_u16_sdwa s[8:9], v4, v8 src0_sel:BYTE_0 src1_sel:DWORD
	s_andn2_b64 s[4:5], s[4:5], exec
	s_and_b64 s[8:9], s[8:9], exec
	s_or_b64 s[4:5], s[4:5], s[8:9]
	s_or_b64 exec, exec, s[6:7]
	s_and_saveexec_b64 s[6:7], s[4:5]
	s_cbranch_execnz .LBB22_1923
	s_branch .LBB22_1924
.LBB22_3973:
	s_movk_i32 s4, 0x80
	v_cmp_eq_u16_sdwa s[12:13], v0, s4 src0_sel:BYTE_0 src1_sel:DWORD
	s_mov_b64 s[4:5], -1
                                        ; implicit-def: $sgpr10
	s_and_saveexec_b64 s[8:9], s[12:13]
; %bb.3974:
	s_mov_b32 s10, 0x7f800001
	s_xor_b64 s[4:5], exec, -1
; %bb.3975:
	s_or_b64 exec, exec, s[8:9]
	s_and_b64 s[4:5], s[4:5], exec
	s_or_saveexec_b64 s[6:7], s[6:7]
	v_mov_b32_e32 v9, s10
	s_xor_b64 exec, exec, s[6:7]
	s_cbranch_execz .LBB22_1926
.LBB22_3976:
	v_mov_b32_e32 v9, 0
	v_cmp_ne_u16_sdwa s[8:9], v0, v9 src0_sel:BYTE_0 src1_sel:DWORD
	s_andn2_b64 s[4:5], s[4:5], exec
	s_and_b64 s[8:9], s[8:9], exec
	s_or_b64 s[4:5], s[4:5], s[8:9]
	s_or_b64 exec, exec, s[6:7]
	s_and_saveexec_b64 s[6:7], s[4:5]
	s_cbranch_execnz .LBB22_1927
	s_branch .LBB22_1928
.LBB22_3977:
	s_movk_i32 s4, 0x80
	v_cmp_eq_u16_sdwa s[12:13], v9, s4 src0_sel:BYTE_0 src1_sel:DWORD
	s_mov_b64 s[4:5], -1
                                        ; implicit-def: $sgpr10
	s_and_saveexec_b64 s[8:9], s[12:13]
; %bb.3978:
	s_mov_b32 s10, 0x7f800001
	s_xor_b64 s[4:5], exec, -1
; %bb.3979:
	s_or_b64 exec, exec, s[8:9]
	s_and_b64 s[4:5], s[4:5], exec
	s_or_saveexec_b64 s[6:7], s[6:7]
	v_mov_b32_e32 v8, s10
	s_xor_b64 exec, exec, s[6:7]
	s_cbranch_execz .LBB22_1930
.LBB22_3980:
	v_mov_b32_e32 v8, 0
	v_cmp_ne_u16_sdwa s[8:9], v9, v8 src0_sel:BYTE_0 src1_sel:DWORD
	s_andn2_b64 s[4:5], s[4:5], exec
	s_and_b64 s[8:9], s[8:9], exec
	s_or_b64 s[4:5], s[4:5], s[8:9]
	s_or_b64 exec, exec, s[6:7]
	s_and_saveexec_b64 s[6:7], s[4:5]
	s_cbranch_execnz .LBB22_1931
	s_branch .LBB22_1932
.LBB22_3981:
	s_movk_i32 s4, 0x80
	v_cmp_eq_u16_sdwa s[12:13], v9, s4 src0_sel:BYTE_0 src1_sel:DWORD
	s_mov_b64 s[4:5], -1
                                        ; implicit-def: $sgpr10
	s_and_saveexec_b64 s[8:9], s[12:13]
; %bb.3982:
	s_mov_b32 s10, 0x7f800001
	s_xor_b64 s[4:5], exec, -1
; %bb.3983:
	s_or_b64 exec, exec, s[8:9]
	s_and_b64 s[4:5], s[4:5], exec
	s_or_saveexec_b64 s[6:7], s[6:7]
	v_mov_b32_e32 v10, s10
	s_xor_b64 exec, exec, s[6:7]
	s_cbranch_execz .LBB22_1934
.LBB22_3984:
	v_mov_b32_e32 v10, 0
	v_cmp_ne_u16_sdwa s[8:9], v9, v10 src0_sel:BYTE_0 src1_sel:DWORD
	s_andn2_b64 s[4:5], s[4:5], exec
	s_and_b64 s[8:9], s[8:9], exec
	s_or_b64 s[4:5], s[4:5], s[8:9]
	s_or_b64 exec, exec, s[6:7]
	s_and_saveexec_b64 s[6:7], s[4:5]
	s_cbranch_execnz .LBB22_1935
	s_branch .LBB22_1936
.LBB22_3985:
	s_movk_i32 s4, 0x80
	v_cmp_eq_u16_e32 vcc, s4, v9
	s_mov_b64 s[4:5], -1
                                        ; implicit-def: $sgpr10
	s_and_saveexec_b64 s[8:9], vcc
; %bb.3986:
	s_mov_b32 s10, 0x7f800001
	s_xor_b64 s[4:5], exec, -1
; %bb.3987:
	s_or_b64 exec, exec, s[8:9]
	s_and_b64 s[4:5], s[4:5], exec
                                        ; implicit-def: $vgpr9
	s_or_saveexec_b64 s[6:7], s[6:7]
	v_mov_b32_e32 v8, s10
	s_xor_b64 exec, exec, s[6:7]
	s_cbranch_execz .LBB22_1938
.LBB22_3988:
	v_cmp_ne_u16_e32 vcc, 0, v9
	s_andn2_b64 s[4:5], s[4:5], exec
	s_and_b64 s[8:9], vcc, exec
	v_mov_b32_e32 v8, 0
	s_or_b64 s[4:5], s[4:5], s[8:9]
	s_or_b64 exec, exec, s[6:7]
	s_and_saveexec_b64 s[6:7], s[4:5]
	s_cbranch_execnz .LBB22_1939
	s_branch .LBB22_1940
.LBB22_3989:
	s_movk_i32 s4, 0x80
	v_cmp_eq_u16_e32 vcc, s4, v9
	s_mov_b64 s[4:5], -1
                                        ; implicit-def: $sgpr10
	s_and_saveexec_b64 s[8:9], vcc
; %bb.3990:
	s_mov_b32 s10, 0x7f800001
	s_xor_b64 s[4:5], exec, -1
; %bb.3991:
	s_or_b64 exec, exec, s[8:9]
	s_and_b64 s[4:5], s[4:5], exec
                                        ; implicit-def: $vgpr9
	s_or_saveexec_b64 s[6:7], s[6:7]
	v_mov_b32_e32 v10, s10
	s_xor_b64 exec, exec, s[6:7]
	s_cbranch_execz .LBB22_1942
.LBB22_3992:
	v_cmp_ne_u16_e32 vcc, 0, v9
	s_andn2_b64 s[4:5], s[4:5], exec
	s_and_b64 s[8:9], vcc, exec
	v_mov_b32_e32 v10, 0
	s_or_b64 s[4:5], s[4:5], s[8:9]
	s_or_b64 exec, exec, s[6:7]
	s_and_saveexec_b64 s[6:7], s[4:5]
	s_cbranch_execnz .LBB22_1943
	s_branch .LBB22_1944
.LBB22_3993:
	s_movk_i32 s4, 0x80
	v_cmp_eq_u16_sdwa s[12:13], v4, s4 src0_sel:BYTE_3 src1_sel:DWORD
	s_mov_b64 s[4:5], -1
                                        ; implicit-def: $sgpr10
	s_and_saveexec_b64 s[8:9], s[12:13]
; %bb.3994:
	s_mov_b32 s10, 0x7f800001
	s_xor_b64 s[4:5], exec, -1
; %bb.3995:
	s_or_b64 exec, exec, s[8:9]
	s_and_b64 s[4:5], s[4:5], exec
	s_or_saveexec_b64 s[6:7], s[6:7]
	v_mov_b32_e32 v8, s10
	s_xor_b64 exec, exec, s[6:7]
	s_cbranch_execz .LBB22_1946
.LBB22_3996:
	v_mov_b32_e32 v8, 0
	v_cmp_ne_u16_sdwa s[8:9], v4, v8 src0_sel:BYTE_3 src1_sel:DWORD
	s_andn2_b64 s[4:5], s[4:5], exec
	s_and_b64 s[8:9], s[8:9], exec
	s_or_b64 s[4:5], s[4:5], s[8:9]
	s_or_b64 exec, exec, s[6:7]
	s_and_saveexec_b64 s[6:7], s[4:5]
	s_cbranch_execnz .LBB22_1947
	s_branch .LBB22_1948
.LBB22_3997:
	s_movk_i32 s4, 0x80
	v_cmp_eq_u16_sdwa s[12:13], v0, s4 src0_sel:BYTE_3 src1_sel:DWORD
	s_mov_b64 s[4:5], -1
                                        ; implicit-def: $sgpr10
	s_and_saveexec_b64 s[8:9], s[12:13]
; %bb.3998:
	s_mov_b32 s10, 0x7f800001
	s_xor_b64 s[4:5], exec, -1
; %bb.3999:
	s_or_b64 exec, exec, s[8:9]
	s_and_b64 s[4:5], s[4:5], exec
	s_or_saveexec_b64 s[6:7], s[6:7]
	v_mov_b32_e32 v4, s10
	s_xor_b64 exec, exec, s[6:7]
	s_cbranch_execz .LBB22_1950
.LBB22_4000:
	v_mov_b32_e32 v4, 0
	v_cmp_ne_u16_sdwa s[8:9], v0, v4 src0_sel:BYTE_3 src1_sel:DWORD
	s_andn2_b64 s[4:5], s[4:5], exec
	s_and_b64 s[8:9], s[8:9], exec
	s_or_b64 s[4:5], s[4:5], s[8:9]
	s_or_b64 exec, exec, s[6:7]
	s_and_saveexec_b64 s[6:7], s[4:5]
	s_cbranch_execnz .LBB22_1951
	s_branch .LBB22_1952
.LBB22_4001:
	s_movk_i32 s4, 0x80
	v_cmp_eq_u16_sdwa s[12:13], v5, s4 src0_sel:BYTE_0 src1_sel:DWORD
	s_mov_b64 s[4:5], -1
                                        ; implicit-def: $sgpr10
	s_and_saveexec_b64 s[8:9], s[12:13]
; %bb.4002:
	s_mov_b32 s10, 0x7f800001
	s_xor_b64 s[4:5], exec, -1
; %bb.4003:
	s_or_b64 exec, exec, s[8:9]
	s_and_b64 s[4:5], s[4:5], exec
	s_or_saveexec_b64 s[6:7], s[6:7]
	v_mov_b32_e32 v0, s10
	s_xor_b64 exec, exec, s[6:7]
	s_cbranch_execz .LBB22_1954
.LBB22_4004:
	v_mov_b32_e32 v0, 0
	v_cmp_ne_u16_sdwa s[8:9], v5, v0 src0_sel:BYTE_0 src1_sel:DWORD
	s_andn2_b64 s[4:5], s[4:5], exec
	s_and_b64 s[8:9], s[8:9], exec
	s_or_b64 s[4:5], s[4:5], s[8:9]
	s_or_b64 exec, exec, s[6:7]
	s_and_saveexec_b64 s[6:7], s[4:5]
	s_cbranch_execnz .LBB22_1955
	s_branch .LBB22_1956
.LBB22_4005:
	s_movk_i32 s4, 0x80
	v_cmp_eq_u16_sdwa s[12:13], v1, s4 src0_sel:BYTE_0 src1_sel:DWORD
	s_mov_b64 s[4:5], -1
                                        ; implicit-def: $sgpr10
	s_and_saveexec_b64 s[8:9], s[12:13]
; %bb.4006:
	s_mov_b32 s10, 0x7f800001
	s_xor_b64 s[4:5], exec, -1
; %bb.4007:
	s_or_b64 exec, exec, s[8:9]
	s_and_b64 s[4:5], s[4:5], exec
	s_or_saveexec_b64 s[6:7], s[6:7]
	v_mov_b32_e32 v4, s10
	s_xor_b64 exec, exec, s[6:7]
	s_cbranch_execz .LBB22_1958
.LBB22_4008:
	v_mov_b32_e32 v4, 0
	v_cmp_ne_u16_sdwa s[8:9], v1, v4 src0_sel:BYTE_0 src1_sel:DWORD
	s_andn2_b64 s[4:5], s[4:5], exec
	s_and_b64 s[8:9], s[8:9], exec
	s_or_b64 s[4:5], s[4:5], s[8:9]
	s_or_b64 exec, exec, s[6:7]
	s_and_saveexec_b64 s[6:7], s[4:5]
	s_cbranch_execnz .LBB22_1959
	s_branch .LBB22_1960
.LBB22_4009:
	s_movk_i32 s4, 0x80
	v_cmp_eq_u16_sdwa s[12:13], v4, s4 src0_sel:BYTE_0 src1_sel:DWORD
	s_mov_b64 s[4:5], -1
                                        ; implicit-def: $sgpr10
	s_and_saveexec_b64 s[8:9], s[12:13]
; %bb.4010:
	s_mov_b32 s10, 0x7f800001
	s_xor_b64 s[4:5], exec, -1
; %bb.4011:
	s_or_b64 exec, exec, s[8:9]
	s_and_b64 s[4:5], s[4:5], exec
	s_or_saveexec_b64 s[6:7], s[6:7]
	v_mov_b32_e32 v0, s10
	s_xor_b64 exec, exec, s[6:7]
	s_cbranch_execz .LBB22_1962
.LBB22_4012:
	v_mov_b32_e32 v0, 0
	v_cmp_ne_u16_sdwa s[8:9], v4, v0 src0_sel:BYTE_0 src1_sel:DWORD
	s_andn2_b64 s[4:5], s[4:5], exec
	s_and_b64 s[8:9], s[8:9], exec
	s_or_b64 s[4:5], s[4:5], s[8:9]
	s_or_b64 exec, exec, s[6:7]
	s_and_saveexec_b64 s[6:7], s[4:5]
	s_cbranch_execnz .LBB22_1963
	s_branch .LBB22_1964
.LBB22_4013:
	s_movk_i32 s4, 0x80
	v_cmp_eq_u16_sdwa s[12:13], v4, s4 src0_sel:BYTE_0 src1_sel:DWORD
	s_mov_b64 s[4:5], -1
                                        ; implicit-def: $sgpr10
	s_and_saveexec_b64 s[8:9], s[12:13]
; %bb.4014:
	s_mov_b32 s10, 0x7f800001
	s_xor_b64 s[4:5], exec, -1
; %bb.4015:
	s_or_b64 exec, exec, s[8:9]
	s_and_b64 s[4:5], s[4:5], exec
	s_or_saveexec_b64 s[6:7], s[6:7]
	v_mov_b32_e32 v8, s10
	s_xor_b64 exec, exec, s[6:7]
	s_cbranch_execz .LBB22_1966
.LBB22_4016:
	v_mov_b32_e32 v8, 0
	v_cmp_ne_u16_sdwa s[8:9], v4, v8 src0_sel:BYTE_0 src1_sel:DWORD
	s_andn2_b64 s[4:5], s[4:5], exec
	s_and_b64 s[8:9], s[8:9], exec
	s_or_b64 s[4:5], s[4:5], s[8:9]
	s_or_b64 exec, exec, s[6:7]
	s_and_saveexec_b64 s[6:7], s[4:5]
	s_cbranch_execnz .LBB22_1967
	s_branch .LBB22_1968
.LBB22_4017:
	s_movk_i32 s4, 0x80
	v_cmp_eq_u16_e32 vcc, s4, v4
	s_mov_b64 s[4:5], -1
                                        ; implicit-def: $sgpr10
	s_and_saveexec_b64 s[8:9], vcc
; %bb.4018:
	s_mov_b32 s10, 0x7f800001
	s_xor_b64 s[4:5], exec, -1
; %bb.4019:
	s_or_b64 exec, exec, s[8:9]
	s_and_b64 s[4:5], s[4:5], exec
                                        ; implicit-def: $vgpr4
	s_or_saveexec_b64 s[6:7], s[6:7]
	v_mov_b32_e32 v0, s10
	s_xor_b64 exec, exec, s[6:7]
	s_cbranch_execz .LBB22_1970
.LBB22_4020:
	v_cmp_ne_u16_e32 vcc, 0, v4
	s_andn2_b64 s[4:5], s[4:5], exec
	s_and_b64 s[8:9], vcc, exec
	v_mov_b32_e32 v0, 0
	s_or_b64 s[4:5], s[4:5], s[8:9]
	s_or_b64 exec, exec, s[6:7]
	s_and_saveexec_b64 s[6:7], s[4:5]
	s_cbranch_execnz .LBB22_1971
	s_branch .LBB22_1972
.LBB22_4021:
	s_movk_i32 s4, 0x80
	v_cmp_eq_u16_e32 vcc, s4, v4
	s_mov_b64 s[4:5], -1
                                        ; implicit-def: $sgpr10
	s_and_saveexec_b64 s[8:9], vcc
; %bb.4022:
	s_mov_b32 s10, 0x7f800001
	s_xor_b64 s[4:5], exec, -1
; %bb.4023:
	s_or_b64 exec, exec, s[8:9]
	s_and_b64 s[4:5], s[4:5], exec
                                        ; implicit-def: $vgpr4
	s_or_saveexec_b64 s[6:7], s[6:7]
	v_mov_b32_e32 v8, s10
	s_xor_b64 exec, exec, s[6:7]
	s_cbranch_execz .LBB22_1974
.LBB22_4024:
	v_cmp_ne_u16_e32 vcc, 0, v4
	s_andn2_b64 s[4:5], s[4:5], exec
	s_and_b64 s[8:9], vcc, exec
	v_mov_b32_e32 v8, 0
	s_or_b64 s[4:5], s[4:5], s[8:9]
	s_or_b64 exec, exec, s[6:7]
	s_and_saveexec_b64 s[6:7], s[4:5]
	s_cbranch_execnz .LBB22_1975
	s_branch .LBB22_1976
.LBB22_4025:
	s_movk_i32 s4, 0x80
	v_cmp_eq_u16_sdwa s[12:13], v5, s4 src0_sel:BYTE_3 src1_sel:DWORD
	s_mov_b64 s[4:5], -1
                                        ; implicit-def: $sgpr10
	s_and_saveexec_b64 s[8:9], s[12:13]
; %bb.4026:
	s_mov_b32 s10, 0x7f800001
	s_xor_b64 s[4:5], exec, -1
; %bb.4027:
	s_or_b64 exec, exec, s[8:9]
	s_and_b64 s[4:5], s[4:5], exec
	s_or_saveexec_b64 s[6:7], s[6:7]
	v_mov_b32_e32 v0, s10
	s_xor_b64 exec, exec, s[6:7]
	s_cbranch_execz .LBB22_1978
.LBB22_4028:
	v_mov_b32_e32 v0, 0
	v_cmp_ne_u16_sdwa s[8:9], v5, v0 src0_sel:BYTE_3 src1_sel:DWORD
	s_andn2_b64 s[4:5], s[4:5], exec
	s_and_b64 s[8:9], s[8:9], exec
	s_or_b64 s[4:5], s[4:5], s[8:9]
	s_or_b64 exec, exec, s[6:7]
	s_and_saveexec_b64 s[6:7], s[4:5]
	s_cbranch_execnz .LBB22_1979
	s_branch .LBB22_1980
.LBB22_4029:
	s_movk_i32 s4, 0x80
	v_cmp_eq_u16_sdwa s[12:13], v1, s4 src0_sel:BYTE_3 src1_sel:DWORD
	s_mov_b64 s[4:5], -1
                                        ; implicit-def: $sgpr10
	s_and_saveexec_b64 s[8:9], s[12:13]
; %bb.4030:
	s_mov_b32 s10, 0x7f800001
	s_xor_b64 s[4:5], exec, -1
; %bb.4031:
	s_or_b64 exec, exec, s[8:9]
	s_and_b64 s[4:5], s[4:5], exec
	s_or_saveexec_b64 s[6:7], s[6:7]
	v_mov_b32_e32 v4, s10
	s_xor_b64 exec, exec, s[6:7]
	s_cbranch_execz .LBB22_1982
.LBB22_4032:
	v_mov_b32_e32 v4, 0
	v_cmp_ne_u16_sdwa s[8:9], v1, v4 src0_sel:BYTE_3 src1_sel:DWORD
	s_andn2_b64 s[4:5], s[4:5], exec
	s_and_b64 s[8:9], s[8:9], exec
	s_or_b64 s[4:5], s[4:5], s[8:9]
	s_or_b64 exec, exec, s[6:7]
	s_and_saveexec_b64 s[6:7], s[4:5]
	s_cbranch_execnz .LBB22_1983
	s_branch .LBB22_1984
.LBB22_4033:
	s_movk_i32 s4, 0x80
	v_cmp_eq_u16_sdwa s[12:13], v6, s4 src0_sel:BYTE_0 src1_sel:DWORD
	s_mov_b64 s[4:5], -1
                                        ; implicit-def: $sgpr10
	s_and_saveexec_b64 s[8:9], s[12:13]
; %bb.4034:
	s_mov_b32 s10, 0x7f800001
	s_xor_b64 s[4:5], exec, -1
; %bb.4035:
	s_or_b64 exec, exec, s[8:9]
	s_and_b64 s[4:5], s[4:5], exec
	s_or_saveexec_b64 s[6:7], s[6:7]
	v_mov_b32_e32 v0, s10
	s_xor_b64 exec, exec, s[6:7]
	s_cbranch_execz .LBB22_1986
.LBB22_4036:
	v_mov_b32_e32 v0, 0
	v_cmp_ne_u16_sdwa s[8:9], v6, v0 src0_sel:BYTE_0 src1_sel:DWORD
	s_andn2_b64 s[4:5], s[4:5], exec
	s_and_b64 s[8:9], s[8:9], exec
	s_or_b64 s[4:5], s[4:5], s[8:9]
	s_or_b64 exec, exec, s[6:7]
	s_and_saveexec_b64 s[6:7], s[4:5]
	s_cbranch_execnz .LBB22_1987
	s_branch .LBB22_1988
.LBB22_4037:
	s_movk_i32 s4, 0x80
	v_cmp_eq_u16_sdwa s[12:13], v2, s4 src0_sel:BYTE_0 src1_sel:DWORD
	s_mov_b64 s[4:5], -1
                                        ; implicit-def: $sgpr10
	s_and_saveexec_b64 s[8:9], s[12:13]
; %bb.4038:
	s_mov_b32 s10, 0x7f800001
	s_xor_b64 s[4:5], exec, -1
; %bb.4039:
	s_or_b64 exec, exec, s[8:9]
	s_and_b64 s[4:5], s[4:5], exec
	s_or_saveexec_b64 s[6:7], s[6:7]
	v_mov_b32_e32 v1, s10
	s_xor_b64 exec, exec, s[6:7]
	s_cbranch_execz .LBB22_1990
.LBB22_4040:
	v_mov_b32_e32 v1, 0
	v_cmp_ne_u16_sdwa s[8:9], v2, v1 src0_sel:BYTE_0 src1_sel:DWORD
	s_andn2_b64 s[4:5], s[4:5], exec
	s_and_b64 s[8:9], s[8:9], exec
	s_or_b64 s[4:5], s[4:5], s[8:9]
	s_or_b64 exec, exec, s[6:7]
	s_and_saveexec_b64 s[6:7], s[4:5]
	s_cbranch_execnz .LBB22_1991
	s_branch .LBB22_1992
.LBB22_4041:
	s_movk_i32 s4, 0x80
	v_cmp_eq_u16_sdwa s[12:13], v1, s4 src0_sel:BYTE_0 src1_sel:DWORD
	s_mov_b64 s[4:5], -1
                                        ; implicit-def: $sgpr10
	s_and_saveexec_b64 s[8:9], s[12:13]
; %bb.4042:
	s_mov_b32 s10, 0x7f800001
	s_xor_b64 s[4:5], exec, -1
; %bb.4043:
	s_or_b64 exec, exec, s[8:9]
	s_and_b64 s[4:5], s[4:5], exec
	s_or_saveexec_b64 s[6:7], s[6:7]
	v_mov_b32_e32 v0, s10
	s_xor_b64 exec, exec, s[6:7]
	s_cbranch_execz .LBB22_1994
.LBB22_4044:
	v_mov_b32_e32 v0, 0
	v_cmp_ne_u16_sdwa s[8:9], v1, v0 src0_sel:BYTE_0 src1_sel:DWORD
	s_andn2_b64 s[4:5], s[4:5], exec
	s_and_b64 s[8:9], s[8:9], exec
	s_or_b64 s[4:5], s[4:5], s[8:9]
	s_or_b64 exec, exec, s[6:7]
	s_and_saveexec_b64 s[6:7], s[4:5]
	s_cbranch_execnz .LBB22_1995
	s_branch .LBB22_1996
.LBB22_4045:
	s_movk_i32 s4, 0x80
	v_cmp_eq_u16_sdwa s[12:13], v1, s4 src0_sel:BYTE_0 src1_sel:DWORD
	s_mov_b64 s[4:5], -1
                                        ; implicit-def: $sgpr10
	s_and_saveexec_b64 s[8:9], s[12:13]
; %bb.4046:
	s_mov_b32 s10, 0x7f800001
	s_xor_b64 s[4:5], exec, -1
; %bb.4047:
	s_or_b64 exec, exec, s[8:9]
	s_and_b64 s[4:5], s[4:5], exec
	s_or_saveexec_b64 s[6:7], s[6:7]
	v_mov_b32_e32 v4, s10
	s_xor_b64 exec, exec, s[6:7]
	s_cbranch_execz .LBB22_1998
.LBB22_4048:
	v_mov_b32_e32 v4, 0
	v_cmp_ne_u16_sdwa s[8:9], v1, v4 src0_sel:BYTE_0 src1_sel:DWORD
	s_andn2_b64 s[4:5], s[4:5], exec
	s_and_b64 s[8:9], s[8:9], exec
	s_or_b64 s[4:5], s[4:5], s[8:9]
	s_or_b64 exec, exec, s[6:7]
	s_and_saveexec_b64 s[6:7], s[4:5]
	s_cbranch_execnz .LBB22_1999
	s_branch .LBB22_2000
.LBB22_4049:
	s_movk_i32 s4, 0x80
	v_cmp_eq_u16_e32 vcc, s4, v1
	s_mov_b64 s[4:5], -1
                                        ; implicit-def: $sgpr10
	s_and_saveexec_b64 s[8:9], vcc
; %bb.4050:
	s_mov_b32 s10, 0x7f800001
	s_xor_b64 s[4:5], exec, -1
; %bb.4051:
	s_or_b64 exec, exec, s[8:9]
	s_and_b64 s[4:5], s[4:5], exec
                                        ; implicit-def: $vgpr1
	s_or_saveexec_b64 s[6:7], s[6:7]
	v_mov_b32_e32 v0, s10
	s_xor_b64 exec, exec, s[6:7]
	s_cbranch_execz .LBB22_2002
.LBB22_4052:
	v_cmp_ne_u16_e32 vcc, 0, v1
	s_andn2_b64 s[4:5], s[4:5], exec
	s_and_b64 s[8:9], vcc, exec
	v_mov_b32_e32 v0, 0
	s_or_b64 s[4:5], s[4:5], s[8:9]
	s_or_b64 exec, exec, s[6:7]
	s_and_saveexec_b64 s[6:7], s[4:5]
	s_cbranch_execnz .LBB22_2003
	s_branch .LBB22_2004
.LBB22_4053:
	s_movk_i32 s4, 0x80
	v_cmp_eq_u16_e32 vcc, s4, v1
	s_mov_b64 s[4:5], -1
                                        ; implicit-def: $sgpr10
	s_and_saveexec_b64 s[8:9], vcc
; %bb.4054:
	s_mov_b32 s10, 0x7f800001
	s_xor_b64 s[4:5], exec, -1
; %bb.4055:
	s_or_b64 exec, exec, s[8:9]
	s_and_b64 s[4:5], s[4:5], exec
                                        ; implicit-def: $vgpr1
	s_or_saveexec_b64 s[6:7], s[6:7]
	v_mov_b32_e32 v4, s10
	s_xor_b64 exec, exec, s[6:7]
	s_cbranch_execz .LBB22_2006
.LBB22_4056:
	v_cmp_ne_u16_e32 vcc, 0, v1
	s_andn2_b64 s[4:5], s[4:5], exec
	s_and_b64 s[8:9], vcc, exec
	v_mov_b32_e32 v4, 0
	s_or_b64 s[4:5], s[4:5], s[8:9]
	s_or_b64 exec, exec, s[6:7]
	s_and_saveexec_b64 s[6:7], s[4:5]
	s_cbranch_execnz .LBB22_2007
	s_branch .LBB22_2008
.LBB22_4057:
	s_movk_i32 s4, 0x80
	v_cmp_eq_u16_sdwa s[12:13], v6, s4 src0_sel:BYTE_3 src1_sel:DWORD
	s_mov_b64 s[4:5], -1
                                        ; implicit-def: $sgpr10
	s_and_saveexec_b64 s[8:9], s[12:13]
; %bb.4058:
	s_mov_b32 s10, 0x7f800001
	s_xor_b64 s[4:5], exec, -1
; %bb.4059:
	s_or_b64 exec, exec, s[8:9]
	s_and_b64 s[4:5], s[4:5], exec
	s_or_saveexec_b64 s[6:7], s[6:7]
	v_mov_b32_e32 v0, s10
	s_xor_b64 exec, exec, s[6:7]
	s_cbranch_execz .LBB22_2010
.LBB22_4060:
	v_mov_b32_e32 v0, 0
	v_cmp_ne_u16_sdwa s[8:9], v6, v0 src0_sel:BYTE_3 src1_sel:DWORD
	s_andn2_b64 s[4:5], s[4:5], exec
	s_and_b64 s[8:9], s[8:9], exec
	s_or_b64 s[4:5], s[4:5], s[8:9]
	s_or_b64 exec, exec, s[6:7]
	s_and_saveexec_b64 s[6:7], s[4:5]
	s_cbranch_execnz .LBB22_2011
	s_branch .LBB22_2012
.LBB22_4061:
	s_movk_i32 s4, 0x80
	v_cmp_eq_u16_sdwa s[12:13], v2, s4 src0_sel:BYTE_3 src1_sel:DWORD
	s_mov_b64 s[4:5], -1
                                        ; implicit-def: $sgpr10
	s_and_saveexec_b64 s[8:9], s[12:13]
; %bb.4062:
	s_mov_b32 s10, 0x7f800001
	s_xor_b64 s[4:5], exec, -1
; %bb.4063:
	s_or_b64 exec, exec, s[8:9]
	s_and_b64 s[4:5], s[4:5], exec
	s_or_saveexec_b64 s[6:7], s[6:7]
	v_mov_b32_e32 v1, s10
	s_xor_b64 exec, exec, s[6:7]
	s_cbranch_execz .LBB22_2014
.LBB22_4064:
	v_mov_b32_e32 v1, 0
	v_cmp_ne_u16_sdwa s[8:9], v2, v1 src0_sel:BYTE_3 src1_sel:DWORD
	s_andn2_b64 s[4:5], s[4:5], exec
	s_and_b64 s[8:9], s[8:9], exec
	s_or_b64 s[4:5], s[4:5], s[8:9]
	s_or_b64 exec, exec, s[6:7]
	s_and_saveexec_b64 s[6:7], s[4:5]
	s_cbranch_execnz .LBB22_2015
	s_branch .LBB22_2016
.LBB22_4065:
	s_movk_i32 s4, 0x80
	v_cmp_eq_u16_sdwa s[12:13], v7, s4 src0_sel:BYTE_0 src1_sel:DWORD
	s_mov_b64 s[4:5], -1
                                        ; implicit-def: $sgpr10
	s_and_saveexec_b64 s[8:9], s[12:13]
; %bb.4066:
	s_mov_b32 s10, 0x7f800001
	s_xor_b64 s[4:5], exec, -1
; %bb.4067:
	s_or_b64 exec, exec, s[8:9]
	s_and_b64 s[4:5], s[4:5], exec
	s_or_saveexec_b64 s[6:7], s[6:7]
	v_mov_b32_e32 v0, s10
	s_xor_b64 exec, exec, s[6:7]
	s_cbranch_execz .LBB22_2018
.LBB22_4068:
	v_mov_b32_e32 v0, 0
	v_cmp_ne_u16_sdwa s[8:9], v7, v0 src0_sel:BYTE_0 src1_sel:DWORD
	s_andn2_b64 s[4:5], s[4:5], exec
	s_and_b64 s[8:9], s[8:9], exec
	s_or_b64 s[4:5], s[4:5], s[8:9]
	s_or_b64 exec, exec, s[6:7]
	s_and_saveexec_b64 s[6:7], s[4:5]
	s_cbranch_execnz .LBB22_2019
	s_branch .LBB22_2020
.LBB22_4069:
	s_movk_i32 s4, 0x80
	v_cmp_eq_u16_sdwa s[12:13], v3, s4 src0_sel:BYTE_0 src1_sel:DWORD
	s_mov_b64 s[4:5], -1
                                        ; implicit-def: $sgpr10
	s_and_saveexec_b64 s[8:9], s[12:13]
; %bb.4070:
	s_mov_b32 s10, 0x7f800001
	s_xor_b64 s[4:5], exec, -1
; %bb.4071:
	s_or_b64 exec, exec, s[8:9]
	s_and_b64 s[4:5], s[4:5], exec
	s_or_saveexec_b64 s[6:7], s[6:7]
	v_mov_b32_e32 v1, s10
	s_xor_b64 exec, exec, s[6:7]
	s_cbranch_execz .LBB22_2022
.LBB22_4072:
	v_mov_b32_e32 v1, 0
	v_cmp_ne_u16_sdwa s[8:9], v3, v1 src0_sel:BYTE_0 src1_sel:DWORD
	s_andn2_b64 s[4:5], s[4:5], exec
	s_and_b64 s[8:9], s[8:9], exec
	s_or_b64 s[4:5], s[4:5], s[8:9]
	s_or_b64 exec, exec, s[6:7]
	s_and_saveexec_b64 s[6:7], s[4:5]
	s_cbranch_execnz .LBB22_2023
	s_branch .LBB22_2024
.LBB22_4073:
	s_movk_i32 s4, 0x80
	v_cmp_eq_u16_sdwa s[12:13], v1, s4 src0_sel:BYTE_0 src1_sel:DWORD
	s_mov_b64 s[4:5], -1
                                        ; implicit-def: $sgpr10
	s_and_saveexec_b64 s[8:9], s[12:13]
; %bb.4074:
	s_mov_b32 s10, 0x7f800001
	s_xor_b64 s[4:5], exec, -1
; %bb.4075:
	s_or_b64 exec, exec, s[8:9]
	s_and_b64 s[4:5], s[4:5], exec
	s_or_saveexec_b64 s[6:7], s[6:7]
	v_mov_b32_e32 v0, s10
	s_xor_b64 exec, exec, s[6:7]
	s_cbranch_execz .LBB22_2026
.LBB22_4076:
	v_mov_b32_e32 v0, 0
	v_cmp_ne_u16_sdwa s[8:9], v1, v0 src0_sel:BYTE_0 src1_sel:DWORD
	s_andn2_b64 s[4:5], s[4:5], exec
	s_and_b64 s[8:9], s[8:9], exec
	s_or_b64 s[4:5], s[4:5], s[8:9]
	s_or_b64 exec, exec, s[6:7]
	s_and_saveexec_b64 s[6:7], s[4:5]
	s_cbranch_execnz .LBB22_2027
	s_branch .LBB22_2028
.LBB22_4077:
	s_movk_i32 s4, 0x80
	v_cmp_eq_u16_sdwa s[12:13], v1, s4 src0_sel:BYTE_0 src1_sel:DWORD
	s_mov_b64 s[4:5], -1
                                        ; implicit-def: $sgpr10
	s_and_saveexec_b64 s[8:9], s[12:13]
; %bb.4078:
	s_mov_b32 s10, 0x7f800001
	s_xor_b64 s[4:5], exec, -1
; %bb.4079:
	s_or_b64 exec, exec, s[8:9]
	s_and_b64 s[4:5], s[4:5], exec
	s_or_saveexec_b64 s[6:7], s[6:7]
	v_mov_b32_e32 v2, s10
	s_xor_b64 exec, exec, s[6:7]
	s_cbranch_execz .LBB22_2030
.LBB22_4080:
	v_mov_b32_e32 v2, 0
	v_cmp_ne_u16_sdwa s[8:9], v1, v2 src0_sel:BYTE_0 src1_sel:DWORD
	s_andn2_b64 s[4:5], s[4:5], exec
	s_and_b64 s[8:9], s[8:9], exec
	s_or_b64 s[4:5], s[4:5], s[8:9]
	s_or_b64 exec, exec, s[6:7]
	s_and_saveexec_b64 s[6:7], s[4:5]
	s_cbranch_execnz .LBB22_2031
	s_branch .LBB22_2032
.LBB22_4081:
	s_movk_i32 s4, 0x80
	v_cmp_eq_u16_e32 vcc, s4, v1
	s_mov_b64 s[4:5], -1
                                        ; implicit-def: $sgpr10
	s_and_saveexec_b64 s[8:9], vcc
; %bb.4082:
	s_mov_b32 s10, 0x7f800001
	s_xor_b64 s[4:5], exec, -1
; %bb.4083:
	s_or_b64 exec, exec, s[8:9]
	s_and_b64 s[4:5], s[4:5], exec
                                        ; implicit-def: $vgpr1
	s_or_saveexec_b64 s[6:7], s[6:7]
	v_mov_b32_e32 v0, s10
	s_xor_b64 exec, exec, s[6:7]
	s_cbranch_execz .LBB22_2034
.LBB22_4084:
	v_cmp_ne_u16_e32 vcc, 0, v1
	s_andn2_b64 s[4:5], s[4:5], exec
	s_and_b64 s[8:9], vcc, exec
	v_mov_b32_e32 v0, 0
	s_or_b64 s[4:5], s[4:5], s[8:9]
	s_or_b64 exec, exec, s[6:7]
	s_and_saveexec_b64 s[6:7], s[4:5]
	s_cbranch_execnz .LBB22_2035
	s_branch .LBB22_2036
.LBB22_4085:
	s_movk_i32 s4, 0x80
	v_cmp_eq_u16_e32 vcc, s4, v1
	s_mov_b64 s[4:5], -1
                                        ; implicit-def: $sgpr10
	s_and_saveexec_b64 s[8:9], vcc
; %bb.4086:
	s_mov_b32 s10, 0x7f800001
	s_xor_b64 s[4:5], exec, -1
; %bb.4087:
	s_or_b64 exec, exec, s[8:9]
	s_and_b64 s[4:5], s[4:5], exec
                                        ; implicit-def: $vgpr1
	s_or_saveexec_b64 s[6:7], s[6:7]
	v_mov_b32_e32 v2, s10
	s_xor_b64 exec, exec, s[6:7]
	s_cbranch_execz .LBB22_2038
.LBB22_4088:
	v_cmp_ne_u16_e32 vcc, 0, v1
	s_andn2_b64 s[4:5], s[4:5], exec
	s_and_b64 s[8:9], vcc, exec
	v_mov_b32_e32 v2, 0
	s_or_b64 s[4:5], s[4:5], s[8:9]
	s_or_b64 exec, exec, s[6:7]
	s_and_saveexec_b64 s[6:7], s[4:5]
	s_cbranch_execnz .LBB22_2039
	s_branch .LBB22_2040
.LBB22_4089:
	s_movk_i32 s4, 0x80
	v_cmp_eq_u16_sdwa s[12:13], v7, s4 src0_sel:BYTE_3 src1_sel:DWORD
	s_mov_b64 s[4:5], -1
                                        ; implicit-def: $sgpr10
	s_and_saveexec_b64 s[8:9], s[12:13]
; %bb.4090:
	s_mov_b32 s10, 0x7f800001
	s_xor_b64 s[4:5], exec, -1
; %bb.4091:
	s_or_b64 exec, exec, s[8:9]
	s_and_b64 s[4:5], s[4:5], exec
	s_or_saveexec_b64 s[6:7], s[6:7]
	v_mov_b32_e32 v0, s10
	s_xor_b64 exec, exec, s[6:7]
	s_cbranch_execz .LBB22_2042
.LBB22_4092:
	v_mov_b32_e32 v0, 0
	v_cmp_ne_u16_sdwa s[8:9], v7, v0 src0_sel:BYTE_3 src1_sel:DWORD
	s_andn2_b64 s[4:5], s[4:5], exec
	s_and_b64 s[8:9], s[8:9], exec
	s_or_b64 s[4:5], s[4:5], s[8:9]
	s_or_b64 exec, exec, s[6:7]
	s_and_saveexec_b64 s[6:7], s[4:5]
	s_cbranch_execnz .LBB22_2043
	s_branch .LBB22_2044
.LBB22_4093:
	s_movk_i32 s4, 0x80
	v_cmp_eq_u16_sdwa s[12:13], v3, s4 src0_sel:BYTE_3 src1_sel:DWORD
	s_mov_b64 s[4:5], -1
                                        ; implicit-def: $sgpr10
	s_and_saveexec_b64 s[8:9], s[12:13]
; %bb.4094:
	s_mov_b32 s10, 0x7f800001
	s_xor_b64 s[4:5], exec, -1
; %bb.4095:
	s_or_b64 exec, exec, s[8:9]
	s_and_b64 s[4:5], s[4:5], exec
	s_or_saveexec_b64 s[6:7], s[6:7]
	v_mov_b32_e32 v1, s10
	s_xor_b64 exec, exec, s[6:7]
	s_cbranch_execz .LBB22_2046
.LBB22_4096:
	v_mov_b32_e32 v1, 0
	v_cmp_ne_u16_sdwa s[8:9], v3, v1 src0_sel:BYTE_3 src1_sel:DWORD
	s_andn2_b64 s[4:5], s[4:5], exec
	s_and_b64 s[8:9], s[8:9], exec
	s_or_b64 s[4:5], s[4:5], s[8:9]
	s_or_b64 exec, exec, s[6:7]
	s_and_saveexec_b64 s[6:7], s[4:5]
	s_cbranch_execnz .LBB22_2047
	s_branch .LBB22_2048
.Lfunc_end22:
	.size	_ZNK2ck6detail7applierIiJLi0ELi1ELi2ELi3ELi4ELi5ELi6ELi7EEEclIZNKS_11static_fordINS_8SequenceIJLi1ELi8EEEENS5_IJLi0ELi1EEEEEclIZZNKS_52BlockwiseGemmXdlops_pipeline_bpreshuffle_bdequant_v3ILNS_26BlockGemmPipelineSchedulerE0ELi256ENS_9f8_fnuz_tENS_7pk_i4_tESC_fNS_16TensorDescriptorINS_5TupleIJNS_5EmbedINSF_IJNS_17integral_constantIiLi8EEENSH_IiLi256EEENSH_IiLi16EEEEEENSF_IJSK_NSH_IiLi128EEENSH_IiLi1EEEEEELb0EEENS_3XorINSF_IJSJ_SI_EEELb1EEENS_11PassThroughISK_EENS_7UnMergeINSF_IJSI_SN_EEELb0EEENST_ISJ_EESU_NST_ISI_EENS_21Merge_v3_division_modINSF_IJSJ_SN_EEEEESU_EEENSF_IJNS5_IJLi0EEEENS5_IJLi2ELi1EEEENS5_IJLi3EEEENS5_IJLi5EEEENS5_IJLi4EEEENS5_IJLi6EEEENS5_IJLi7EEEENS5_IJLi9ELi8EEEENS5_IJLi10EEEEEEENSF_IJNS5_IJLi1ELi2ELi3EEEENS5_IJLi4ELi5EEEES19_NS5_IJLi7ELi8EEEENS5_IJLi9EEEES1C_NS5_IJLi11EEEENS5_IJLi12EEEENS5_IJLi13EEEEEEENS5_IJLi11ELi12ELi13EEEENSH_IlLl32768EEEEENSE_INSF_IJNSV_INSF_IJSI_SN_SN_NSH_IiLi32EEEEEELb0EEEEEENSF_IJS14_EEENSF_IJNS5_IJLi1ELi2ELi3ELi4EEEEEEES1U_NSH_IlLl256EEEEENSE_INSF_IJSP_SS_SU_SX_SY_SU_SZ_S12_SU_NS10_INSF_IJSI_SK_EEEEENSV_INSF_IJSI_NSH_IiLi2EEESK_EEELb0EEEEEENSF_IJS14_S15_S16_S17_S18_S19_S1A_S1B_S1C_NS5_IJLi11ELi13EEEES1J_EEENSF_IJS1E_S1F_S19_S1G_S1H_S1C_S1I_S1J_S1K_NS5_IJLi14EEEENS5_IJLi15ELi16ELi17EEEEEEENS5_IJLi15ELi16ELi17ELi14EEEES1N_EENSE_INSF_IJS1R_NS10_ISW_EES22_EEENSF_IJS14_NS5_IJLi1ELi3EEEENS5_IJLi2EEEEEEENSF_IJS1U_S17_NS5_IJLi6ELi7ELi8EEEEEEENS5_IJLi6ELi7ELi8ELi5EEEES1W_EELi16ELi32ELi256ELi256ELi128ELi16ELi16ELi8ELi8ELi32ELb0EE3RunILb1ELNS_10TailNumberE0ENSE_INSF_IJNSG_INSF_IJiiEEENSF_IJiSN_EEELb0EEENSV_IS2N_Lb0EEENST_IiEEEEENSF_IJS14_S2E_NS5_IJLi1EEEEEEENSF_IJNS5_IJLi1ELi2EEEENS5_IJLi3ELi4EEEES17_EEENS5_IJLi3ELi5ELi4EEEElEES1O_NS_35ThreadGroupTensorSliceTransfer_v4r1INS_15ThisThreadBlockILi256EEENS_16tensor_operation12element_wise11PassThroughES35_LNS_25InMemoryDataOperationEnumE0ENS5_IJLi8ELi256ELi16EEEENS5_IJLi8ELi32ELi1EEEENS5_IJLi1ELi0ELi2EEEESC_SC_RKS2Z_KS1O_S39_NS5_IJLi0ELi1ELi2EEEELi2ELi2ELi16ELi16ELi1ELi1ELb0ELb1ELi2EiEENS_13DynamicBufferILNS_16AddressSpaceEnumE1EKSC_lLb1ELNS_22AmdBufferCoherenceEnumE0EiEENSF_IJNS3F_ILS3G_2ESC_S1N_Lb1ELS3I_0EiEES3K_EEENSF_IJiiiEEENSE_INSF_IJNSG_INSF_IJiiiiEEENSF_IJiiiSN_EEELb0EEEEEES1T_S1V_S1U_lEENS_32ThreadwiseTensorSliceTransfer_v2ISD_SD_RKS3R_KS1X_NS5_IJLi8ELi1ELi1ELi32EEEENS5_IJLi1ELi2ELi0ELi3EEEELi3ELi32ELi0ELb1ELb0ELb0EEENS3F_ILS3G_1EKSD_lLb1ELS3I_0EiEENSF_IJNS_12StaticBufferILS3G_4ESD_Li256ELb1EEES42_EEES3N_NS_25StaticBufferTupleOfVectorILS3G_4EfLi64ELi4ELb1ELb0EEEEEvRKT1_RKT2_RT3_RKT4_RT5_RKT6_RKT7_RT8_RKT9_RT10_RKT11_RT12_iENKUlT_E0_clINSH_IiLi4EEEEEDaS51_EUlS51_E_EEvS51_EUlS51_E_EEvS51_, .Lfunc_end22-_ZNK2ck6detail7applierIiJLi0ELi1ELi2ELi3ELi4ELi5ELi6ELi7EEEclIZNKS_11static_fordINS_8SequenceIJLi1ELi8EEEENS5_IJLi0ELi1EEEEEclIZZNKS_52BlockwiseGemmXdlops_pipeline_bpreshuffle_bdequant_v3ILNS_26BlockGemmPipelineSchedulerE0ELi256ENS_9f8_fnuz_tENS_7pk_i4_tESC_fNS_16TensorDescriptorINS_5TupleIJNS_5EmbedINSF_IJNS_17integral_constantIiLi8EEENSH_IiLi256EEENSH_IiLi16EEEEEENSF_IJSK_NSH_IiLi128EEENSH_IiLi1EEEEEELb0EEENS_3XorINSF_IJSJ_SI_EEELb1EEENS_11PassThroughISK_EENS_7UnMergeINSF_IJSI_SN_EEELb0EEENST_ISJ_EESU_NST_ISI_EENS_21Merge_v3_division_modINSF_IJSJ_SN_EEEEESU_EEENSF_IJNS5_IJLi0EEEENS5_IJLi2ELi1EEEENS5_IJLi3EEEENS5_IJLi5EEEENS5_IJLi4EEEENS5_IJLi6EEEENS5_IJLi7EEEENS5_IJLi9ELi8EEEENS5_IJLi10EEEEEEENSF_IJNS5_IJLi1ELi2ELi3EEEENS5_IJLi4ELi5EEEES19_NS5_IJLi7ELi8EEEENS5_IJLi9EEEES1C_NS5_IJLi11EEEENS5_IJLi12EEEENS5_IJLi13EEEEEEENS5_IJLi11ELi12ELi13EEEENSH_IlLl32768EEEEENSE_INSF_IJNSV_INSF_IJSI_SN_SN_NSH_IiLi32EEEEEELb0EEEEEENSF_IJS14_EEENSF_IJNS5_IJLi1ELi2ELi3ELi4EEEEEEES1U_NSH_IlLl256EEEEENSE_INSF_IJSP_SS_SU_SX_SY_SU_SZ_S12_SU_NS10_INSF_IJSI_SK_EEEEENSV_INSF_IJSI_NSH_IiLi2EEESK_EEELb0EEEEEENSF_IJS14_S15_S16_S17_S18_S19_S1A_S1B_S1C_NS5_IJLi11ELi13EEEES1J_EEENSF_IJS1E_S1F_S19_S1G_S1H_S1C_S1I_S1J_S1K_NS5_IJLi14EEEENS5_IJLi15ELi16ELi17EEEEEEENS5_IJLi15ELi16ELi17ELi14EEEES1N_EENSE_INSF_IJS1R_NS10_ISW_EES22_EEENSF_IJS14_NS5_IJLi1ELi3EEEENS5_IJLi2EEEEEEENSF_IJS1U_S17_NS5_IJLi6ELi7ELi8EEEEEEENS5_IJLi6ELi7ELi8ELi5EEEES1W_EELi16ELi32ELi256ELi256ELi128ELi16ELi16ELi8ELi8ELi32ELb0EE3RunILb1ELNS_10TailNumberE0ENSE_INSF_IJNSG_INSF_IJiiEEENSF_IJiSN_EEELb0EEENSV_IS2N_Lb0EEENST_IiEEEEENSF_IJS14_S2E_NS5_IJLi1EEEEEEENSF_IJNS5_IJLi1ELi2EEEENS5_IJLi3ELi4EEEES17_EEENS5_IJLi3ELi5ELi4EEEElEES1O_NS_35ThreadGroupTensorSliceTransfer_v4r1INS_15ThisThreadBlockILi256EEENS_16tensor_operation12element_wise11PassThroughES35_LNS_25InMemoryDataOperationEnumE0ENS5_IJLi8ELi256ELi16EEEENS5_IJLi8ELi32ELi1EEEENS5_IJLi1ELi0ELi2EEEESC_SC_RKS2Z_KS1O_S39_NS5_IJLi0ELi1ELi2EEEELi2ELi2ELi16ELi16ELi1ELi1ELb0ELb1ELi2EiEENS_13DynamicBufferILNS_16AddressSpaceEnumE1EKSC_lLb1ELNS_22AmdBufferCoherenceEnumE0EiEENSF_IJNS3F_ILS3G_2ESC_S1N_Lb1ELS3I_0EiEES3K_EEENSF_IJiiiEEENSE_INSF_IJNSG_INSF_IJiiiiEEENSF_IJiiiSN_EEELb0EEEEEES1T_S1V_S1U_lEENS_32ThreadwiseTensorSliceTransfer_v2ISD_SD_RKS3R_KS1X_NS5_IJLi8ELi1ELi1ELi32EEEENS5_IJLi1ELi2ELi0ELi3EEEELi3ELi32ELi0ELb1ELb0ELb0EEENS3F_ILS3G_1EKSD_lLb1ELS3I_0EiEENSF_IJNS_12StaticBufferILS3G_4ESD_Li256ELb1EEES42_EEES3N_NS_25StaticBufferTupleOfVectorILS3G_4EfLi64ELi4ELb1ELb0EEEEEvRKT1_RKT2_RT3_RKT4_RT5_RKT6_RKT7_RT8_RKT9_RT10_RKT11_RT12_iENKUlT_E0_clINSH_IiLi4EEEEEDaS51_EUlS51_E_EEvS51_EUlS51_E_EEvS51_
                                        ; -- End function
	.section	.AMDGPU.csdata,"",@progbits
; Function info:
; codeLenInByte = 133608
; NumSgprs: 36
; NumVgprs: 26
; NumAgprs: 4
; TotalNumVgprs: 32
; ScratchSize: 0
; MemoryBound: 1
	.text
	.p2align	2                               ; -- Begin function _ZNK2ck6detail7applierIiJLi0ELi1ELi2ELi3ELi4ELi5ELi6ELi7EEEclIZNKS_11static_fordINS_8SequenceIJLi1ELi8EEEENS5_IJLi0ELi1EEEEEclIZZNKS_52BlockwiseGemmXdlops_pipeline_bpreshuffle_bdequant_v3ILNS_26BlockGemmPipelineSchedulerE0ELi256ENS_9f8_fnuz_tENS_7pk_i4_tESC_fNS_16TensorDescriptorINS_5TupleIJNS_5EmbedINSF_IJNS_17integral_constantIiLi8EEENSH_IiLi256EEENSH_IiLi16EEEEEENSF_IJSK_NSH_IiLi128EEENSH_IiLi1EEEEEELb0EEENS_3XorINSF_IJSJ_SI_EEELb1EEENS_11PassThroughISK_EENS_7UnMergeINSF_IJSI_SN_EEELb0EEENST_ISJ_EESU_NST_ISI_EENS_21Merge_v3_division_modINSF_IJSJ_SN_EEEEESU_EEENSF_IJNS5_IJLi0EEEENS5_IJLi2ELi1EEEENS5_IJLi3EEEENS5_IJLi5EEEENS5_IJLi4EEEENS5_IJLi6EEEENS5_IJLi7EEEENS5_IJLi9ELi8EEEENS5_IJLi10EEEEEEENSF_IJNS5_IJLi1ELi2ELi3EEEENS5_IJLi4ELi5EEEES19_NS5_IJLi7ELi8EEEENS5_IJLi9EEEES1C_NS5_IJLi11EEEENS5_IJLi12EEEENS5_IJLi13EEEEEEENS5_IJLi11ELi12ELi13EEEENSH_IlLl32768EEEEENSE_INSF_IJNSV_INSF_IJSI_SN_SN_NSH_IiLi32EEEEEELb0EEEEEENSF_IJS14_EEENSF_IJNS5_IJLi1ELi2ELi3ELi4EEEEEEES1U_NSH_IlLl256EEEEENSE_INSF_IJSP_SS_SU_SX_SY_SU_SZ_S12_SU_NS10_INSF_IJSI_SK_EEEEENSV_INSF_IJSI_NSH_IiLi2EEESK_EEELb0EEEEEENSF_IJS14_S15_S16_S17_S18_S19_S1A_S1B_S1C_NS5_IJLi11ELi13EEEES1J_EEENSF_IJS1E_S1F_S19_S1G_S1H_S1C_S1I_S1J_S1K_NS5_IJLi14EEEENS5_IJLi15ELi16ELi17EEEEEEENS5_IJLi15ELi16ELi17ELi14EEEES1N_EENSE_INSF_IJS1R_NS10_ISW_EES22_EEENSF_IJS14_NS5_IJLi1ELi3EEEENS5_IJLi2EEEEEEENSF_IJS1U_S17_NS5_IJLi6ELi7ELi8EEEEEEENS5_IJLi6ELi7ELi8ELi5EEEES1W_EELi16ELi32ELi256ELi256ELi128ELi16ELi16ELi8ELi8ELi32ELb0EE3RunILb1ELNS_10TailNumberE0ENSE_INSF_IJNSG_INSF_IJiiEEENSF_IJiSN_EEELb0EEENSV_IS2N_Lb0EEENST_IiEEEEENSF_IJS14_S2E_NS5_IJLi1EEEEEEENSF_IJNS5_IJLi1ELi2EEEENS5_IJLi3ELi4EEEES17_EEENS5_IJLi3ELi5ELi4EEEElEES1O_NS_35ThreadGroupTensorSliceTransfer_v4r1INS_15ThisThreadBlockILi256EEENS_16tensor_operation12element_wise11PassThroughES35_LNS_25InMemoryDataOperationEnumE0ENS5_IJLi8ELi256ELi16EEEENS5_IJLi8ELi32ELi1EEEENS5_IJLi1ELi0ELi2EEEESC_SC_RKS2Z_KS1O_S39_NS5_IJLi0ELi1ELi2EEEELi2ELi2ELi16ELi16ELi1ELi1ELb0ELb1ELi2EiEENS_13DynamicBufferILNS_16AddressSpaceEnumE1EKSC_lLb1ELNS_22AmdBufferCoherenceEnumE0EiEENSF_IJNS3F_ILS3G_2ESC_S1N_Lb1ELS3I_0EiEES3K_EEENSF_IJiiiEEENSE_INSF_IJNSG_INSF_IJiiiiEEENSF_IJiiiSN_EEELb0EEEEEES1T_S1V_S1U_lEENS_32ThreadwiseTensorSliceTransfer_v2ISD_SD_RKS3R_KS1X_NS5_IJLi8ELi1ELi1ELi32EEEENS5_IJLi1ELi2ELi0ELi3EEEELi3ELi32ELi0ELb1ELb0ELb0EEENS3F_ILS3G_1EKSD_lLb1ELS3I_0EiEENSF_IJNS_12StaticBufferILS3G_4ESD_Li256ELb1EEES42_EEES3N_NS_25StaticBufferTupleOfVectorILS3G_4EfLi64ELi4ELb1ELb0EEEEEvRKT1_RKT2_RT3_RKT4_RT5_RKT6_RKT7_RT8_RKT9_RT10_RKT11_RT12_iENKUlT_E0_clINSH_IiLi5EEEEEDaS51_EUlS51_E_EEvS51_EUlS51_E_EEvS51_
	.type	_ZNK2ck6detail7applierIiJLi0ELi1ELi2ELi3ELi4ELi5ELi6ELi7EEEclIZNKS_11static_fordINS_8SequenceIJLi1ELi8EEEENS5_IJLi0ELi1EEEEEclIZZNKS_52BlockwiseGemmXdlops_pipeline_bpreshuffle_bdequant_v3ILNS_26BlockGemmPipelineSchedulerE0ELi256ENS_9f8_fnuz_tENS_7pk_i4_tESC_fNS_16TensorDescriptorINS_5TupleIJNS_5EmbedINSF_IJNS_17integral_constantIiLi8EEENSH_IiLi256EEENSH_IiLi16EEEEEENSF_IJSK_NSH_IiLi128EEENSH_IiLi1EEEEEELb0EEENS_3XorINSF_IJSJ_SI_EEELb1EEENS_11PassThroughISK_EENS_7UnMergeINSF_IJSI_SN_EEELb0EEENST_ISJ_EESU_NST_ISI_EENS_21Merge_v3_division_modINSF_IJSJ_SN_EEEEESU_EEENSF_IJNS5_IJLi0EEEENS5_IJLi2ELi1EEEENS5_IJLi3EEEENS5_IJLi5EEEENS5_IJLi4EEEENS5_IJLi6EEEENS5_IJLi7EEEENS5_IJLi9ELi8EEEENS5_IJLi10EEEEEEENSF_IJNS5_IJLi1ELi2ELi3EEEENS5_IJLi4ELi5EEEES19_NS5_IJLi7ELi8EEEENS5_IJLi9EEEES1C_NS5_IJLi11EEEENS5_IJLi12EEEENS5_IJLi13EEEEEEENS5_IJLi11ELi12ELi13EEEENSH_IlLl32768EEEEENSE_INSF_IJNSV_INSF_IJSI_SN_SN_NSH_IiLi32EEEEEELb0EEEEEENSF_IJS14_EEENSF_IJNS5_IJLi1ELi2ELi3ELi4EEEEEEES1U_NSH_IlLl256EEEEENSE_INSF_IJSP_SS_SU_SX_SY_SU_SZ_S12_SU_NS10_INSF_IJSI_SK_EEEEENSV_INSF_IJSI_NSH_IiLi2EEESK_EEELb0EEEEEENSF_IJS14_S15_S16_S17_S18_S19_S1A_S1B_S1C_NS5_IJLi11ELi13EEEES1J_EEENSF_IJS1E_S1F_S19_S1G_S1H_S1C_S1I_S1J_S1K_NS5_IJLi14EEEENS5_IJLi15ELi16ELi17EEEEEEENS5_IJLi15ELi16ELi17ELi14EEEES1N_EENSE_INSF_IJS1R_NS10_ISW_EES22_EEENSF_IJS14_NS5_IJLi1ELi3EEEENS5_IJLi2EEEEEEENSF_IJS1U_S17_NS5_IJLi6ELi7ELi8EEEEEEENS5_IJLi6ELi7ELi8ELi5EEEES1W_EELi16ELi32ELi256ELi256ELi128ELi16ELi16ELi8ELi8ELi32ELb0EE3RunILb1ELNS_10TailNumberE0ENSE_INSF_IJNSG_INSF_IJiiEEENSF_IJiSN_EEELb0EEENSV_IS2N_Lb0EEENST_IiEEEEENSF_IJS14_S2E_NS5_IJLi1EEEEEEENSF_IJNS5_IJLi1ELi2EEEENS5_IJLi3ELi4EEEES17_EEENS5_IJLi3ELi5ELi4EEEElEES1O_NS_35ThreadGroupTensorSliceTransfer_v4r1INS_15ThisThreadBlockILi256EEENS_16tensor_operation12element_wise11PassThroughES35_LNS_25InMemoryDataOperationEnumE0ENS5_IJLi8ELi256ELi16EEEENS5_IJLi8ELi32ELi1EEEENS5_IJLi1ELi0ELi2EEEESC_SC_RKS2Z_KS1O_S39_NS5_IJLi0ELi1ELi2EEEELi2ELi2ELi16ELi16ELi1ELi1ELb0ELb1ELi2EiEENS_13DynamicBufferILNS_16AddressSpaceEnumE1EKSC_lLb1ELNS_22AmdBufferCoherenceEnumE0EiEENSF_IJNS3F_ILS3G_2ESC_S1N_Lb1ELS3I_0EiEES3K_EEENSF_IJiiiEEENSE_INSF_IJNSG_INSF_IJiiiiEEENSF_IJiiiSN_EEELb0EEEEEES1T_S1V_S1U_lEENS_32ThreadwiseTensorSliceTransfer_v2ISD_SD_RKS3R_KS1X_NS5_IJLi8ELi1ELi1ELi32EEEENS5_IJLi1ELi2ELi0ELi3EEEELi3ELi32ELi0ELb1ELb0ELb0EEENS3F_ILS3G_1EKSD_lLb1ELS3I_0EiEENSF_IJNS_12StaticBufferILS3G_4ESD_Li256ELb1EEES42_EEES3N_NS_25StaticBufferTupleOfVectorILS3G_4EfLi64ELi4ELb1ELb0EEEEEvRKT1_RKT2_RT3_RKT4_RT5_RKT6_RKT7_RT8_RKT9_RT10_RKT11_RT12_iENKUlT_E0_clINSH_IiLi5EEEEEDaS51_EUlS51_E_EEvS51_EUlS51_E_EEvS51_,@function
_ZNK2ck6detail7applierIiJLi0ELi1ELi2ELi3ELi4ELi5ELi6ELi7EEEclIZNKS_11static_fordINS_8SequenceIJLi1ELi8EEEENS5_IJLi0ELi1EEEEEclIZZNKS_52BlockwiseGemmXdlops_pipeline_bpreshuffle_bdequant_v3ILNS_26BlockGemmPipelineSchedulerE0ELi256ENS_9f8_fnuz_tENS_7pk_i4_tESC_fNS_16TensorDescriptorINS_5TupleIJNS_5EmbedINSF_IJNS_17integral_constantIiLi8EEENSH_IiLi256EEENSH_IiLi16EEEEEENSF_IJSK_NSH_IiLi128EEENSH_IiLi1EEEEEELb0EEENS_3XorINSF_IJSJ_SI_EEELb1EEENS_11PassThroughISK_EENS_7UnMergeINSF_IJSI_SN_EEELb0EEENST_ISJ_EESU_NST_ISI_EENS_21Merge_v3_division_modINSF_IJSJ_SN_EEEEESU_EEENSF_IJNS5_IJLi0EEEENS5_IJLi2ELi1EEEENS5_IJLi3EEEENS5_IJLi5EEEENS5_IJLi4EEEENS5_IJLi6EEEENS5_IJLi7EEEENS5_IJLi9ELi8EEEENS5_IJLi10EEEEEEENSF_IJNS5_IJLi1ELi2ELi3EEEENS5_IJLi4ELi5EEEES19_NS5_IJLi7ELi8EEEENS5_IJLi9EEEES1C_NS5_IJLi11EEEENS5_IJLi12EEEENS5_IJLi13EEEEEEENS5_IJLi11ELi12ELi13EEEENSH_IlLl32768EEEEENSE_INSF_IJNSV_INSF_IJSI_SN_SN_NSH_IiLi32EEEEEELb0EEEEEENSF_IJS14_EEENSF_IJNS5_IJLi1ELi2ELi3ELi4EEEEEEES1U_NSH_IlLl256EEEEENSE_INSF_IJSP_SS_SU_SX_SY_SU_SZ_S12_SU_NS10_INSF_IJSI_SK_EEEEENSV_INSF_IJSI_NSH_IiLi2EEESK_EEELb0EEEEEENSF_IJS14_S15_S16_S17_S18_S19_S1A_S1B_S1C_NS5_IJLi11ELi13EEEES1J_EEENSF_IJS1E_S1F_S19_S1G_S1H_S1C_S1I_S1J_S1K_NS5_IJLi14EEEENS5_IJLi15ELi16ELi17EEEEEEENS5_IJLi15ELi16ELi17ELi14EEEES1N_EENSE_INSF_IJS1R_NS10_ISW_EES22_EEENSF_IJS14_NS5_IJLi1ELi3EEEENS5_IJLi2EEEEEEENSF_IJS1U_S17_NS5_IJLi6ELi7ELi8EEEEEEENS5_IJLi6ELi7ELi8ELi5EEEES1W_EELi16ELi32ELi256ELi256ELi128ELi16ELi16ELi8ELi8ELi32ELb0EE3RunILb1ELNS_10TailNumberE0ENSE_INSF_IJNSG_INSF_IJiiEEENSF_IJiSN_EEELb0EEENSV_IS2N_Lb0EEENST_IiEEEEENSF_IJS14_S2E_NS5_IJLi1EEEEEEENSF_IJNS5_IJLi1ELi2EEEENS5_IJLi3ELi4EEEES17_EEENS5_IJLi3ELi5ELi4EEEElEES1O_NS_35ThreadGroupTensorSliceTransfer_v4r1INS_15ThisThreadBlockILi256EEENS_16tensor_operation12element_wise11PassThroughES35_LNS_25InMemoryDataOperationEnumE0ENS5_IJLi8ELi256ELi16EEEENS5_IJLi8ELi32ELi1EEEENS5_IJLi1ELi0ELi2EEEESC_SC_RKS2Z_KS1O_S39_NS5_IJLi0ELi1ELi2EEEELi2ELi2ELi16ELi16ELi1ELi1ELb0ELb1ELi2EiEENS_13DynamicBufferILNS_16AddressSpaceEnumE1EKSC_lLb1ELNS_22AmdBufferCoherenceEnumE0EiEENSF_IJNS3F_ILS3G_2ESC_S1N_Lb1ELS3I_0EiEES3K_EEENSF_IJiiiEEENSE_INSF_IJNSG_INSF_IJiiiiEEENSF_IJiiiSN_EEELb0EEEEEES1T_S1V_S1U_lEENS_32ThreadwiseTensorSliceTransfer_v2ISD_SD_RKS3R_KS1X_NS5_IJLi8ELi1ELi1ELi32EEEENS5_IJLi1ELi2ELi0ELi3EEEELi3ELi32ELi0ELb1ELb0ELb0EEENS3F_ILS3G_1EKSD_lLb1ELS3I_0EiEENSF_IJNS_12StaticBufferILS3G_4ESD_Li256ELb1EEES42_EEES3N_NS_25StaticBufferTupleOfVectorILS3G_4EfLi64ELi4ELb1ELb0EEEEEvRKT1_RKT2_RT3_RKT4_RT5_RKT6_RKT7_RT8_RKT9_RT10_RKT11_RT12_iENKUlT_E0_clINSH_IiLi5EEEEEDaS51_EUlS51_E_EEvS51_EUlS51_E_EEvS51_: ; @_ZNK2ck6detail7applierIiJLi0ELi1ELi2ELi3ELi4ELi5ELi6ELi7EEEclIZNKS_11static_fordINS_8SequenceIJLi1ELi8EEEENS5_IJLi0ELi1EEEEEclIZZNKS_52BlockwiseGemmXdlops_pipeline_bpreshuffle_bdequant_v3ILNS_26BlockGemmPipelineSchedulerE0ELi256ENS_9f8_fnuz_tENS_7pk_i4_tESC_fNS_16TensorDescriptorINS_5TupleIJNS_5EmbedINSF_IJNS_17integral_constantIiLi8EEENSH_IiLi256EEENSH_IiLi16EEEEEENSF_IJSK_NSH_IiLi128EEENSH_IiLi1EEEEEELb0EEENS_3XorINSF_IJSJ_SI_EEELb1EEENS_11PassThroughISK_EENS_7UnMergeINSF_IJSI_SN_EEELb0EEENST_ISJ_EESU_NST_ISI_EENS_21Merge_v3_division_modINSF_IJSJ_SN_EEEEESU_EEENSF_IJNS5_IJLi0EEEENS5_IJLi2ELi1EEEENS5_IJLi3EEEENS5_IJLi5EEEENS5_IJLi4EEEENS5_IJLi6EEEENS5_IJLi7EEEENS5_IJLi9ELi8EEEENS5_IJLi10EEEEEEENSF_IJNS5_IJLi1ELi2ELi3EEEENS5_IJLi4ELi5EEEES19_NS5_IJLi7ELi8EEEENS5_IJLi9EEEES1C_NS5_IJLi11EEEENS5_IJLi12EEEENS5_IJLi13EEEEEEENS5_IJLi11ELi12ELi13EEEENSH_IlLl32768EEEEENSE_INSF_IJNSV_INSF_IJSI_SN_SN_NSH_IiLi32EEEEEELb0EEEEEENSF_IJS14_EEENSF_IJNS5_IJLi1ELi2ELi3ELi4EEEEEEES1U_NSH_IlLl256EEEEENSE_INSF_IJSP_SS_SU_SX_SY_SU_SZ_S12_SU_NS10_INSF_IJSI_SK_EEEEENSV_INSF_IJSI_NSH_IiLi2EEESK_EEELb0EEEEEENSF_IJS14_S15_S16_S17_S18_S19_S1A_S1B_S1C_NS5_IJLi11ELi13EEEES1J_EEENSF_IJS1E_S1F_S19_S1G_S1H_S1C_S1I_S1J_S1K_NS5_IJLi14EEEENS5_IJLi15ELi16ELi17EEEEEEENS5_IJLi15ELi16ELi17ELi14EEEES1N_EENSE_INSF_IJS1R_NS10_ISW_EES22_EEENSF_IJS14_NS5_IJLi1ELi3EEEENS5_IJLi2EEEEEEENSF_IJS1U_S17_NS5_IJLi6ELi7ELi8EEEEEEENS5_IJLi6ELi7ELi8ELi5EEEES1W_EELi16ELi32ELi256ELi256ELi128ELi16ELi16ELi8ELi8ELi32ELb0EE3RunILb1ELNS_10TailNumberE0ENSE_INSF_IJNSG_INSF_IJiiEEENSF_IJiSN_EEELb0EEENSV_IS2N_Lb0EEENST_IiEEEEENSF_IJS14_S2E_NS5_IJLi1EEEEEEENSF_IJNS5_IJLi1ELi2EEEENS5_IJLi3ELi4EEEES17_EEENS5_IJLi3ELi5ELi4EEEElEES1O_NS_35ThreadGroupTensorSliceTransfer_v4r1INS_15ThisThreadBlockILi256EEENS_16tensor_operation12element_wise11PassThroughES35_LNS_25InMemoryDataOperationEnumE0ENS5_IJLi8ELi256ELi16EEEENS5_IJLi8ELi32ELi1EEEENS5_IJLi1ELi0ELi2EEEESC_SC_RKS2Z_KS1O_S39_NS5_IJLi0ELi1ELi2EEEELi2ELi2ELi16ELi16ELi1ELi1ELb0ELb1ELi2EiEENS_13DynamicBufferILNS_16AddressSpaceEnumE1EKSC_lLb1ELNS_22AmdBufferCoherenceEnumE0EiEENSF_IJNS3F_ILS3G_2ESC_S1N_Lb1ELS3I_0EiEES3K_EEENSF_IJiiiEEENSE_INSF_IJNSG_INSF_IJiiiiEEENSF_IJiiiSN_EEELb0EEEEEES1T_S1V_S1U_lEENS_32ThreadwiseTensorSliceTransfer_v2ISD_SD_RKS3R_KS1X_NS5_IJLi8ELi1ELi1ELi32EEEENS5_IJLi1ELi2ELi0ELi3EEEELi3ELi32ELi0ELb1ELb0ELb0EEENS3F_ILS3G_1EKSD_lLb1ELS3I_0EiEENSF_IJNS_12StaticBufferILS3G_4ESD_Li256ELb1EEES42_EEES3N_NS_25StaticBufferTupleOfVectorILS3G_4EfLi64ELi4ELb1ELb0EEEEEvRKT1_RKT2_RT3_RKT4_RT5_RKT6_RKT7_RT8_RKT9_RT10_RKT11_RT12_iENKUlT_E0_clINSH_IiLi5EEEEEDaS51_EUlS51_E_EEvS51_EUlS51_E_EEvS51_
; %bb.0:
	s_waitcnt vmcnt(0) expcnt(0) lgkmcnt(0)
	flat_load_dwordx4 v[20:23], v[0:1] offset:8
	flat_load_dwordx2 v[18:19], v[0:1] offset:24
	s_movk_i32 s4, 0x7f
                                        ; implicit-def: $sgpr10
	s_waitcnt vmcnt(0) lgkmcnt(0)
	flat_load_dwordx4 v[14:17], v[20:21] offset:32
	flat_load_dwordx4 v[6:9], v[20:21] offset:48
	flat_load_dwordx4 v[10:13], v[22:23]
	flat_load_dwordx4 v[2:5], v[22:23] offset:16
	s_waitcnt vmcnt(0) lgkmcnt(0)
	v_cmp_gt_i16_sdwa s[6:7], v14, s4 src0_sel:BYTE_0 src1_sel:DWORD
	s_mov_b64 s[4:5], 0
	s_and_saveexec_b64 s[8:9], s[6:7]
	s_xor_b64 s[6:7], exec, s[8:9]
	s_cbranch_execnz .LBB23_2049
; %bb.1:
	s_or_saveexec_b64 s[6:7], s[6:7]
	v_mov_b32_e32 v20, s10
	s_xor_b64 exec, exec, s[6:7]
	s_cbranch_execnz .LBB23_2052
.LBB23_2:
	s_or_b64 exec, exec, s[6:7]
	s_and_saveexec_b64 s[6:7], s[4:5]
	s_cbranch_execz .LBB23_4
.LBB23_3:
	v_and_b32_e32 v20, 7, v14
	v_ffbh_u32_e32 v22, v20
	v_min_u32_e32 v22, 32, v22
	v_lshrrev_b16_e32 v21, 3, v14
	v_subrev_u32_e32 v23, 28, v22
	v_and_b32_e32 v21, 15, v21
	v_lshlrev_b32_e32 v23, v23, v14
	v_sub_u32_e32 v22, 29, v22
	v_and_b32_e32 v23, 7, v23
	v_cmp_eq_u16_e32 vcc, 0, v21
	v_cndmask_b32_e32 v20, v20, v23, vcc
	v_cndmask_b32_e32 v21, v21, v22, vcc
	v_lshlrev_b32_e32 v22, 24, v14
	v_mov_b32_e32 v23, 0x3b800000
	v_lshlrev_b32_e32 v20, 20, v20
	v_and_b32_e32 v22, 0x80000000, v22
	v_lshl_add_u32 v21, v21, 23, v23
	v_or3_b32 v20, v22, v21, v20
.LBB23_4:
	s_or_b64 exec, exec, s[6:7]
	s_movk_i32 s4, 0x7f
	v_cmp_gt_i16_sdwa s[6:7], v10, s4 src0_sel:BYTE_0 src1_sel:DWORD
	s_mov_b64 s[4:5], 0
                                        ; implicit-def: $sgpr10
	s_and_saveexec_b64 s[8:9], s[6:7]
	s_xor_b64 s[6:7], exec, s[8:9]
	s_cbranch_execnz .LBB23_2053
; %bb.5:
	s_or_saveexec_b64 s[6:7], s[6:7]
	v_mov_b32_e32 v21, s10
	s_xor_b64 exec, exec, s[6:7]
	s_cbranch_execnz .LBB23_2056
.LBB23_6:
	s_or_b64 exec, exec, s[6:7]
	s_and_saveexec_b64 s[6:7], s[4:5]
	s_cbranch_execz .LBB23_8
.LBB23_7:
	v_and_b32_e32 v21, 7, v10
	v_ffbh_u32_e32 v23, v21
	v_min_u32_e32 v23, 32, v23
	v_lshrrev_b16_e32 v22, 3, v10
	v_subrev_u32_e32 v24, 28, v23
	v_and_b32_e32 v22, 15, v22
	v_lshlrev_b32_e32 v24, v24, v10
	v_sub_u32_e32 v23, 29, v23
	v_and_b32_e32 v24, 7, v24
	v_cmp_eq_u16_e32 vcc, 0, v22
	v_cndmask_b32_e32 v21, v21, v24, vcc
	v_cndmask_b32_e32 v22, v22, v23, vcc
	v_lshlrev_b32_e32 v23, 24, v10
	v_mov_b32_e32 v24, 0x3b800000
	v_lshlrev_b32_e32 v21, 20, v21
	v_and_b32_e32 v23, 0x80000000, v23
	v_lshl_add_u32 v22, v22, 23, v24
	v_or3_b32 v21, v23, v22, v21
.LBB23_8:
	s_or_b64 exec, exec, s[6:7]
	flat_load_dwordx4 a[0:3], v[18:19] offset:640
	s_movk_i32 s4, 0x7f
                                        ; implicit-def: $sgpr10
	s_waitcnt vmcnt(0) lgkmcnt(0)
	v_mfma_f32_16x16x4f32 a[0:3], v20, v21, a[0:3]
	v_lshrrev_b32_e32 v21, 8, v14
	v_cmp_gt_i16_sdwa s[6:7], v21, s4 src0_sel:BYTE_0 src1_sel:DWORD
	s_mov_b64 s[4:5], 0
	s_and_saveexec_b64 s[8:9], s[6:7]
	s_xor_b64 s[6:7], exec, s[8:9]
	s_cbranch_execnz .LBB23_2057
; %bb.9:
	s_or_saveexec_b64 s[6:7], s[6:7]
	v_mov_b32_e32 v20, s10
	s_xor_b64 exec, exec, s[6:7]
	s_cbranch_execnz .LBB23_2060
.LBB23_10:
	s_or_b64 exec, exec, s[6:7]
	s_and_saveexec_b64 s[6:7], s[4:5]
	s_cbranch_execz .LBB23_12
.LBB23_11:
	v_bfe_u32 v20, v14, 8, 3
	v_ffbh_u32_e32 v23, v20
	v_min_u32_e32 v23, 32, v23
	v_lshrrev_b16_e32 v22, 3, v21
	v_subrev_u32_e32 v24, 28, v23
	v_and_b32_e32 v22, 15, v22
	v_lshlrev_b32_e32 v21, v24, v21
	v_sub_u32_e32 v23, 29, v23
	v_and_b32_e32 v21, 7, v21
	v_cmp_eq_u16_e32 vcc, 0, v22
	v_cndmask_b32_e32 v20, v20, v21, vcc
	v_cndmask_b32_e32 v21, v22, v23, vcc
	v_lshlrev_b32_e32 v22, 16, v14
	v_mov_b32_e32 v23, 0x3b800000
	v_lshlrev_b32_e32 v20, 20, v20
	v_and_b32_e32 v22, 0x80000000, v22
	v_lshl_add_u32 v21, v21, 23, v23
	v_or3_b32 v20, v22, v21, v20
.LBB23_12:
	s_or_b64 exec, exec, s[6:7]
	v_lshrrev_b32_e32 v21, 8, v10
	s_movk_i32 s4, 0x7f
	v_cmp_gt_i16_sdwa s[6:7], v21, s4 src0_sel:BYTE_0 src1_sel:DWORD
	s_mov_b64 s[4:5], 0
                                        ; implicit-def: $sgpr10
	s_and_saveexec_b64 s[8:9], s[6:7]
	s_xor_b64 s[6:7], exec, s[8:9]
	s_cbranch_execnz .LBB23_2061
; %bb.13:
	s_or_saveexec_b64 s[6:7], s[6:7]
	v_mov_b32_e32 v22, s10
	s_xor_b64 exec, exec, s[6:7]
	s_cbranch_execnz .LBB23_2064
.LBB23_14:
	s_or_b64 exec, exec, s[6:7]
	s_and_saveexec_b64 s[6:7], s[4:5]
	s_cbranch_execz .LBB23_16
.LBB23_15:
	v_bfe_u32 v22, v10, 8, 3
	v_ffbh_u32_e32 v24, v22
	v_min_u32_e32 v24, 32, v24
	v_lshrrev_b16_e32 v23, 3, v21
	v_subrev_u32_e32 v25, 28, v24
	v_and_b32_e32 v23, 15, v23
	v_lshlrev_b32_e32 v21, v25, v21
	v_sub_u32_e32 v24, 29, v24
	v_and_b32_e32 v21, 7, v21
	v_cmp_eq_u16_e32 vcc, 0, v23
	v_cndmask_b32_e32 v21, v22, v21, vcc
	v_cndmask_b32_e32 v22, v23, v24, vcc
	v_lshlrev_b32_e32 v23, 16, v10
	v_mov_b32_e32 v24, 0x3b800000
	v_lshlrev_b32_e32 v21, 20, v21
	v_and_b32_e32 v23, 0x80000000, v23
	v_lshl_add_u32 v22, v22, 23, v24
	v_or3_b32 v22, v23, v22, v21
.LBB23_16:
	s_or_b64 exec, exec, s[6:7]
	s_nop 0
	v_mfma_f32_16x16x4f32 a[0:3], v20, v22, a[0:3]
	s_movk_i32 s4, 0xff
	v_and_b32_sdwa v21, v14, s4 dst_sel:DWORD dst_unused:UNUSED_PAD src0_sel:WORD_1 src1_sel:DWORD
	s_movk_i32 s4, 0x7f
	v_cmp_lt_i16_e32 vcc, s4, v21
	s_mov_b64 s[4:5], 0
                                        ; implicit-def: $sgpr10
	s_and_saveexec_b64 s[6:7], vcc
	s_xor_b64 s[6:7], exec, s[6:7]
	s_cbranch_execnz .LBB23_2065
; %bb.17:
	s_or_saveexec_b64 s[6:7], s[6:7]
	v_mov_b32_e32 v20, s10
	s_xor_b64 exec, exec, s[6:7]
	s_cbranch_execnz .LBB23_2068
.LBB23_18:
	s_or_b64 exec, exec, s[6:7]
	s_and_saveexec_b64 s[6:7], s[4:5]
	s_cbranch_execz .LBB23_20
.LBB23_19:
	v_bfe_u32 v20, v14, 16, 3
	v_ffbh_u32_e32 v23, v20
	v_min_u32_e32 v23, 32, v23
	v_lshrrev_b32_e32 v21, 19, v14
	v_subrev_u32_e32 v24, 28, v23
	v_and_b32_e32 v21, 15, v21
	v_lshlrev_b32_sdwa v24, v24, v14 dst_sel:DWORD dst_unused:UNUSED_PAD src0_sel:DWORD src1_sel:WORD_1
	v_bfe_u32 v22, v14, 19, 4
	v_sub_u32_e32 v23, 29, v23
	v_and_b32_e32 v24, 7, v24
	v_cmp_eq_u16_e32 vcc, 0, v21
	v_cndmask_b32_e32 v20, v20, v24, vcc
	v_cndmask_b32_e32 v21, v22, v23, vcc
	v_lshlrev_b32_e32 v22, 8, v14
	v_mov_b32_e32 v23, 0x3b800000
	v_lshlrev_b32_e32 v20, 20, v20
	v_and_b32_e32 v22, 0x80000000, v22
	v_lshl_add_u32 v21, v21, 23, v23
	v_or3_b32 v20, v22, v21, v20
.LBB23_20:
	s_or_b64 exec, exec, s[6:7]
	s_movk_i32 s4, 0xff
	v_and_b32_sdwa v21, v10, s4 dst_sel:DWORD dst_unused:UNUSED_PAD src0_sel:WORD_1 src1_sel:DWORD
	s_movk_i32 s4, 0x7f
	v_cmp_lt_i16_e32 vcc, s4, v21
	s_mov_b64 s[4:5], 0
                                        ; implicit-def: $sgpr10
	s_and_saveexec_b64 s[6:7], vcc
	s_xor_b64 s[6:7], exec, s[6:7]
	s_cbranch_execnz .LBB23_2069
; %bb.21:
	s_or_saveexec_b64 s[6:7], s[6:7]
	v_mov_b32_e32 v22, s10
	s_xor_b64 exec, exec, s[6:7]
	s_cbranch_execnz .LBB23_2072
.LBB23_22:
	s_or_b64 exec, exec, s[6:7]
	s_and_saveexec_b64 s[6:7], s[4:5]
	s_cbranch_execz .LBB23_24
.LBB23_23:
	v_bfe_u32 v21, v10, 16, 3
	v_ffbh_u32_e32 v24, v21
	v_min_u32_e32 v24, 32, v24
	v_lshrrev_b32_e32 v22, 19, v10
	v_subrev_u32_e32 v25, 28, v24
	v_and_b32_e32 v22, 15, v22
	v_lshlrev_b32_sdwa v25, v25, v10 dst_sel:DWORD dst_unused:UNUSED_PAD src0_sel:DWORD src1_sel:WORD_1
	v_bfe_u32 v23, v10, 19, 4
	v_sub_u32_e32 v24, 29, v24
	v_and_b32_e32 v25, 7, v25
	v_cmp_eq_u16_e32 vcc, 0, v22
	v_cndmask_b32_e32 v21, v21, v25, vcc
	v_cndmask_b32_e32 v22, v23, v24, vcc
	v_lshlrev_b32_e32 v23, 8, v10
	v_mov_b32_e32 v24, 0x3b800000
	v_lshlrev_b32_e32 v21, 20, v21
	v_and_b32_e32 v23, 0x80000000, v23
	v_lshl_add_u32 v22, v22, 23, v24
	v_or3_b32 v22, v23, v22, v21
.LBB23_24:
	s_or_b64 exec, exec, s[6:7]
	s_nop 0
	v_mfma_f32_16x16x4f32 a[0:3], v20, v22, a[0:3]
	s_movk_i32 s4, 0x7f
	v_cmp_gt_i16_sdwa s[6:7], v14, s4 src0_sel:BYTE_3 src1_sel:DWORD
	s_mov_b64 s[4:5], 0
                                        ; implicit-def: $sgpr10
	s_and_saveexec_b64 s[8:9], s[6:7]
	s_xor_b64 s[6:7], exec, s[8:9]
	s_cbranch_execnz .LBB23_2073
; %bb.25:
	s_or_saveexec_b64 s[6:7], s[6:7]
	v_mov_b32_e32 v20, s10
	s_xor_b64 exec, exec, s[6:7]
	s_cbranch_execnz .LBB23_2076
.LBB23_26:
	s_or_b64 exec, exec, s[6:7]
	s_and_saveexec_b64 s[6:7], s[4:5]
	s_cbranch_execz .LBB23_28
.LBB23_27:
	v_bfe_u32 v20, v14, 24, 3
	v_ffbh_u32_e32 v24, v20
	v_min_u32_e32 v24, 32, v24
	v_lshrrev_b32_e32 v22, 27, v14
	v_subrev_u32_e32 v25, 28, v24
	v_and_b32_e32 v21, 0x80000000, v14
	v_and_b32_e32 v22, 15, v22
	v_bfe_u32 v23, v14, 27, 4
	v_lshlrev_b32_sdwa v14, v25, v14 dst_sel:DWORD dst_unused:UNUSED_PAD src0_sel:DWORD src1_sel:BYTE_3
	v_sub_u32_e32 v24, 29, v24
	v_and_b32_e32 v14, 7, v14
	v_cmp_eq_u16_e32 vcc, 0, v22
	v_cndmask_b32_e32 v14, v20, v14, vcc
	v_cndmask_b32_e32 v20, v23, v24, vcc
	v_mov_b32_e32 v22, 0x3b800000
	v_lshlrev_b32_e32 v14, 20, v14
	v_lshl_add_u32 v20, v20, 23, v22
	v_or3_b32 v20, v21, v20, v14
.LBB23_28:
	s_or_b64 exec, exec, s[6:7]
	s_movk_i32 s4, 0x7f
	v_cmp_gt_i16_sdwa s[6:7], v10, s4 src0_sel:BYTE_3 src1_sel:DWORD
	s_mov_b64 s[4:5], 0
                                        ; implicit-def: $sgpr10
	s_and_saveexec_b64 s[8:9], s[6:7]
	s_xor_b64 s[6:7], exec, s[8:9]
	s_cbranch_execnz .LBB23_2077
; %bb.29:
	s_or_saveexec_b64 s[6:7], s[6:7]
	v_mov_b32_e32 v14, s10
	s_xor_b64 exec, exec, s[6:7]
	s_cbranch_execnz .LBB23_2080
.LBB23_30:
	s_or_b64 exec, exec, s[6:7]
	s_and_saveexec_b64 s[6:7], s[4:5]
	s_cbranch_execz .LBB23_32
.LBB23_31:
	v_bfe_u32 v14, v10, 24, 3
	v_ffbh_u32_e32 v24, v14
	v_min_u32_e32 v24, 32, v24
	v_lshrrev_b32_e32 v22, 27, v10
	v_subrev_u32_e32 v25, 28, v24
	v_and_b32_e32 v21, 0x80000000, v10
	v_and_b32_e32 v22, 15, v22
	v_bfe_u32 v23, v10, 27, 4
	v_lshlrev_b32_sdwa v10, v25, v10 dst_sel:DWORD dst_unused:UNUSED_PAD src0_sel:DWORD src1_sel:BYTE_3
	v_sub_u32_e32 v24, 29, v24
	v_and_b32_e32 v10, 7, v10
	v_cmp_eq_u16_e32 vcc, 0, v22
	v_cndmask_b32_e32 v10, v14, v10, vcc
	v_cndmask_b32_e32 v14, v23, v24, vcc
	v_mov_b32_e32 v22, 0x3b800000
	v_lshlrev_b32_e32 v10, 20, v10
	v_lshl_add_u32 v14, v14, 23, v22
	v_or3_b32 v14, v21, v14, v10
.LBB23_32:
	s_or_b64 exec, exec, s[6:7]
	s_nop 0
	v_mfma_f32_16x16x4f32 a[0:3], v20, v14, a[0:3]
	s_movk_i32 s4, 0x7f
	v_cmp_gt_i16_sdwa s[6:7], v15, s4 src0_sel:BYTE_0 src1_sel:DWORD
	s_mov_b64 s[4:5], 0
                                        ; implicit-def: $sgpr10
	s_and_saveexec_b64 s[8:9], s[6:7]
	s_xor_b64 s[6:7], exec, s[8:9]
	s_cbranch_execnz .LBB23_2081
; %bb.33:
	s_or_saveexec_b64 s[6:7], s[6:7]
	v_mov_b32_e32 v10, s10
	s_xor_b64 exec, exec, s[6:7]
	s_cbranch_execnz .LBB23_2084
.LBB23_34:
	s_or_b64 exec, exec, s[6:7]
	s_and_saveexec_b64 s[6:7], s[4:5]
	s_cbranch_execz .LBB23_36
.LBB23_35:
	v_and_b32_e32 v10, 7, v15
	v_ffbh_u32_e32 v20, v10
	v_min_u32_e32 v20, 32, v20
	v_lshrrev_b16_e32 v14, 3, v15
	v_subrev_u32_e32 v21, 28, v20
	v_and_b32_e32 v14, 15, v14
	v_lshlrev_b32_e32 v21, v21, v15
	v_sub_u32_e32 v20, 29, v20
	v_and_b32_e32 v21, 7, v21
	v_cmp_eq_u16_e32 vcc, 0, v14
	v_cndmask_b32_e32 v10, v10, v21, vcc
	v_cndmask_b32_e32 v14, v14, v20, vcc
	v_lshlrev_b32_e32 v20, 24, v15
	v_mov_b32_e32 v21, 0x3b800000
	v_lshlrev_b32_e32 v10, 20, v10
	v_and_b32_e32 v20, 0x80000000, v20
	v_lshl_add_u32 v14, v14, 23, v21
	v_or3_b32 v10, v20, v14, v10
.LBB23_36:
	s_or_b64 exec, exec, s[6:7]
	s_movk_i32 s4, 0x7f
	v_cmp_gt_i16_sdwa s[6:7], v11, s4 src0_sel:BYTE_0 src1_sel:DWORD
	s_mov_b64 s[4:5], 0
                                        ; implicit-def: $sgpr10
	s_and_saveexec_b64 s[8:9], s[6:7]
	s_xor_b64 s[6:7], exec, s[8:9]
	s_cbranch_execnz .LBB23_2085
; %bb.37:
	s_or_saveexec_b64 s[6:7], s[6:7]
	v_mov_b32_e32 v14, s10
	s_xor_b64 exec, exec, s[6:7]
	s_cbranch_execnz .LBB23_2088
.LBB23_38:
	s_or_b64 exec, exec, s[6:7]
	s_and_saveexec_b64 s[6:7], s[4:5]
	s_cbranch_execz .LBB23_40
.LBB23_39:
	v_and_b32_e32 v14, 7, v11
	v_ffbh_u32_e32 v21, v14
	v_min_u32_e32 v21, 32, v21
	v_lshrrev_b16_e32 v20, 3, v11
	v_subrev_u32_e32 v22, 28, v21
	v_and_b32_e32 v20, 15, v20
	v_lshlrev_b32_e32 v22, v22, v11
	v_sub_u32_e32 v21, 29, v21
	v_and_b32_e32 v22, 7, v22
	v_cmp_eq_u16_e32 vcc, 0, v20
	v_cndmask_b32_e32 v14, v14, v22, vcc
	v_cndmask_b32_e32 v20, v20, v21, vcc
	v_lshlrev_b32_e32 v21, 24, v11
	v_mov_b32_e32 v22, 0x3b800000
	v_lshlrev_b32_e32 v14, 20, v14
	v_and_b32_e32 v21, 0x80000000, v21
	v_lshl_add_u32 v20, v20, 23, v22
	v_or3_b32 v14, v21, v20, v14
.LBB23_40:
	s_or_b64 exec, exec, s[6:7]
	s_nop 0
	v_mfma_f32_16x16x4f32 a[0:3], v10, v14, a[0:3]
	v_lshrrev_b32_e32 v14, 8, v15
	s_movk_i32 s4, 0x7f
	v_cmp_gt_i16_sdwa s[6:7], v14, s4 src0_sel:BYTE_0 src1_sel:DWORD
	s_mov_b64 s[4:5], 0
                                        ; implicit-def: $sgpr10
	s_and_saveexec_b64 s[8:9], s[6:7]
	s_xor_b64 s[6:7], exec, s[8:9]
	s_cbranch_execnz .LBB23_2089
; %bb.41:
	s_or_saveexec_b64 s[6:7], s[6:7]
	v_mov_b32_e32 v10, s10
	s_xor_b64 exec, exec, s[6:7]
	s_cbranch_execnz .LBB23_2092
.LBB23_42:
	s_or_b64 exec, exec, s[6:7]
	s_and_saveexec_b64 s[6:7], s[4:5]
	s_cbranch_execz .LBB23_44
.LBB23_43:
	v_bfe_u32 v10, v15, 8, 3
	v_ffbh_u32_e32 v21, v10
	v_min_u32_e32 v21, 32, v21
	v_lshrrev_b16_e32 v20, 3, v14
	v_subrev_u32_e32 v22, 28, v21
	v_and_b32_e32 v20, 15, v20
	v_lshlrev_b32_e32 v14, v22, v14
	v_sub_u32_e32 v21, 29, v21
	v_and_b32_e32 v14, 7, v14
	v_cmp_eq_u16_e32 vcc, 0, v20
	v_cndmask_b32_e32 v10, v10, v14, vcc
	v_cndmask_b32_e32 v14, v20, v21, vcc
	v_lshlrev_b32_e32 v20, 16, v15
	v_mov_b32_e32 v21, 0x3b800000
	v_lshlrev_b32_e32 v10, 20, v10
	v_and_b32_e32 v20, 0x80000000, v20
	v_lshl_add_u32 v14, v14, 23, v21
	v_or3_b32 v10, v20, v14, v10
.LBB23_44:
	s_or_b64 exec, exec, s[6:7]
	v_lshrrev_b32_e32 v14, 8, v11
	s_movk_i32 s4, 0x7f
	v_cmp_gt_i16_sdwa s[6:7], v14, s4 src0_sel:BYTE_0 src1_sel:DWORD
	s_mov_b64 s[4:5], 0
                                        ; implicit-def: $sgpr10
	s_and_saveexec_b64 s[8:9], s[6:7]
	s_xor_b64 s[6:7], exec, s[8:9]
	s_cbranch_execnz .LBB23_2093
; %bb.45:
	s_or_saveexec_b64 s[6:7], s[6:7]
	v_mov_b32_e32 v20, s10
	s_xor_b64 exec, exec, s[6:7]
	s_cbranch_execnz .LBB23_2096
.LBB23_46:
	s_or_b64 exec, exec, s[6:7]
	s_and_saveexec_b64 s[6:7], s[4:5]
	s_cbranch_execz .LBB23_48
.LBB23_47:
	v_bfe_u32 v20, v11, 8, 3
	v_ffbh_u32_e32 v22, v20
	v_min_u32_e32 v22, 32, v22
	v_lshrrev_b16_e32 v21, 3, v14
	v_subrev_u32_e32 v23, 28, v22
	v_and_b32_e32 v21, 15, v21
	v_lshlrev_b32_e32 v14, v23, v14
	v_sub_u32_e32 v22, 29, v22
	v_and_b32_e32 v14, 7, v14
	v_cmp_eq_u16_e32 vcc, 0, v21
	v_cndmask_b32_e32 v14, v20, v14, vcc
	v_cndmask_b32_e32 v20, v21, v22, vcc
	v_lshlrev_b32_e32 v21, 16, v11
	v_mov_b32_e32 v22, 0x3b800000
	v_lshlrev_b32_e32 v14, 20, v14
	v_and_b32_e32 v21, 0x80000000, v21
	v_lshl_add_u32 v20, v20, 23, v22
	v_or3_b32 v20, v21, v20, v14
.LBB23_48:
	s_or_b64 exec, exec, s[6:7]
	s_nop 0
	v_mfma_f32_16x16x4f32 a[0:3], v10, v20, a[0:3]
	s_movk_i32 s4, 0xff
	v_and_b32_sdwa v14, v15, s4 dst_sel:DWORD dst_unused:UNUSED_PAD src0_sel:WORD_1 src1_sel:DWORD
	s_movk_i32 s4, 0x7f
	v_cmp_lt_i16_e32 vcc, s4, v14
	s_mov_b64 s[4:5], 0
                                        ; implicit-def: $sgpr10
	s_and_saveexec_b64 s[6:7], vcc
	s_xor_b64 s[6:7], exec, s[6:7]
	s_cbranch_execnz .LBB23_2097
; %bb.49:
	s_or_saveexec_b64 s[6:7], s[6:7]
	v_mov_b32_e32 v10, s10
	s_xor_b64 exec, exec, s[6:7]
	s_cbranch_execnz .LBB23_2100
.LBB23_50:
	s_or_b64 exec, exec, s[6:7]
	s_and_saveexec_b64 s[6:7], s[4:5]
	s_cbranch_execz .LBB23_52
.LBB23_51:
	v_bfe_u32 v10, v15, 16, 3
	v_ffbh_u32_e32 v21, v10
	v_min_u32_e32 v21, 32, v21
	v_lshrrev_b32_e32 v14, 19, v15
	v_subrev_u32_e32 v22, 28, v21
	v_and_b32_e32 v14, 15, v14
	v_lshlrev_b32_sdwa v22, v22, v15 dst_sel:DWORD dst_unused:UNUSED_PAD src0_sel:DWORD src1_sel:WORD_1
	v_bfe_u32 v20, v15, 19, 4
	v_sub_u32_e32 v21, 29, v21
	v_and_b32_e32 v22, 7, v22
	v_cmp_eq_u16_e32 vcc, 0, v14
	v_cndmask_b32_e32 v10, v10, v22, vcc
	v_cndmask_b32_e32 v14, v20, v21, vcc
	v_lshlrev_b32_e32 v20, 8, v15
	v_mov_b32_e32 v21, 0x3b800000
	v_lshlrev_b32_e32 v10, 20, v10
	v_and_b32_e32 v20, 0x80000000, v20
	v_lshl_add_u32 v14, v14, 23, v21
	v_or3_b32 v10, v20, v14, v10
.LBB23_52:
	s_or_b64 exec, exec, s[6:7]
	s_movk_i32 s4, 0xff
	v_and_b32_sdwa v14, v11, s4 dst_sel:DWORD dst_unused:UNUSED_PAD src0_sel:WORD_1 src1_sel:DWORD
	s_movk_i32 s4, 0x7f
	v_cmp_lt_i16_e32 vcc, s4, v14
	s_mov_b64 s[4:5], 0
                                        ; implicit-def: $sgpr10
	s_and_saveexec_b64 s[6:7], vcc
	s_xor_b64 s[6:7], exec, s[6:7]
	s_cbranch_execnz .LBB23_2101
; %bb.53:
	s_or_saveexec_b64 s[6:7], s[6:7]
	v_mov_b32_e32 v20, s10
	s_xor_b64 exec, exec, s[6:7]
	s_cbranch_execnz .LBB23_2104
.LBB23_54:
	s_or_b64 exec, exec, s[6:7]
	s_and_saveexec_b64 s[6:7], s[4:5]
	s_cbranch_execz .LBB23_56
.LBB23_55:
	v_bfe_u32 v14, v11, 16, 3
	v_ffbh_u32_e32 v22, v14
	v_min_u32_e32 v22, 32, v22
	v_lshrrev_b32_e32 v20, 19, v11
	v_subrev_u32_e32 v23, 28, v22
	v_and_b32_e32 v20, 15, v20
	v_lshlrev_b32_sdwa v23, v23, v11 dst_sel:DWORD dst_unused:UNUSED_PAD src0_sel:DWORD src1_sel:WORD_1
	v_bfe_u32 v21, v11, 19, 4
	v_sub_u32_e32 v22, 29, v22
	v_and_b32_e32 v23, 7, v23
	v_cmp_eq_u16_e32 vcc, 0, v20
	v_cndmask_b32_e32 v14, v14, v23, vcc
	v_cndmask_b32_e32 v20, v21, v22, vcc
	v_lshlrev_b32_e32 v21, 8, v11
	v_mov_b32_e32 v22, 0x3b800000
	v_lshlrev_b32_e32 v14, 20, v14
	v_and_b32_e32 v21, 0x80000000, v21
	v_lshl_add_u32 v20, v20, 23, v22
	v_or3_b32 v20, v21, v20, v14
.LBB23_56:
	s_or_b64 exec, exec, s[6:7]
	s_nop 0
	v_mfma_f32_16x16x4f32 a[0:3], v10, v20, a[0:3]
	s_movk_i32 s4, 0x7f
	v_cmp_gt_i16_sdwa s[6:7], v15, s4 src0_sel:BYTE_3 src1_sel:DWORD
	s_mov_b64 s[4:5], 0
                                        ; implicit-def: $sgpr10
	s_and_saveexec_b64 s[8:9], s[6:7]
	s_xor_b64 s[6:7], exec, s[8:9]
	s_cbranch_execnz .LBB23_2105
; %bb.57:
	s_or_saveexec_b64 s[6:7], s[6:7]
	v_mov_b32_e32 v10, s10
	s_xor_b64 exec, exec, s[6:7]
	s_cbranch_execnz .LBB23_2108
.LBB23_58:
	s_or_b64 exec, exec, s[6:7]
	s_and_saveexec_b64 s[6:7], s[4:5]
	s_cbranch_execz .LBB23_60
.LBB23_59:
	v_bfe_u32 v10, v15, 24, 3
	v_ffbh_u32_e32 v22, v10
	v_min_u32_e32 v22, 32, v22
	v_lshrrev_b32_e32 v20, 27, v15
	v_subrev_u32_e32 v23, 28, v22
	v_and_b32_e32 v14, 0x80000000, v15
	v_and_b32_e32 v20, 15, v20
	v_bfe_u32 v21, v15, 27, 4
	v_lshlrev_b32_sdwa v15, v23, v15 dst_sel:DWORD dst_unused:UNUSED_PAD src0_sel:DWORD src1_sel:BYTE_3
	v_sub_u32_e32 v22, 29, v22
	v_and_b32_e32 v15, 7, v15
	v_cmp_eq_u16_e32 vcc, 0, v20
	v_cndmask_b32_e32 v10, v10, v15, vcc
	v_cndmask_b32_e32 v15, v21, v22, vcc
	v_mov_b32_e32 v20, 0x3b800000
	v_lshlrev_b32_e32 v10, 20, v10
	v_lshl_add_u32 v15, v15, 23, v20
	v_or3_b32 v10, v14, v15, v10
.LBB23_60:
	s_or_b64 exec, exec, s[6:7]
	s_movk_i32 s4, 0x7f
	v_cmp_gt_i16_sdwa s[6:7], v11, s4 src0_sel:BYTE_3 src1_sel:DWORD
	s_mov_b64 s[4:5], 0
                                        ; implicit-def: $sgpr10
	s_and_saveexec_b64 s[8:9], s[6:7]
	s_xor_b64 s[6:7], exec, s[8:9]
	s_cbranch_execnz .LBB23_2109
; %bb.61:
	s_or_saveexec_b64 s[6:7], s[6:7]
	v_mov_b32_e32 v14, s10
	s_xor_b64 exec, exec, s[6:7]
	s_cbranch_execnz .LBB23_2112
.LBB23_62:
	s_or_b64 exec, exec, s[6:7]
	s_and_saveexec_b64 s[6:7], s[4:5]
	s_cbranch_execz .LBB23_64
.LBB23_63:
	v_bfe_u32 v14, v11, 24, 3
	v_ffbh_u32_e32 v22, v14
	v_min_u32_e32 v22, 32, v22
	v_lshrrev_b32_e32 v20, 27, v11
	v_subrev_u32_e32 v23, 28, v22
	v_and_b32_e32 v15, 0x80000000, v11
	v_and_b32_e32 v20, 15, v20
	v_bfe_u32 v21, v11, 27, 4
	v_lshlrev_b32_sdwa v11, v23, v11 dst_sel:DWORD dst_unused:UNUSED_PAD src0_sel:DWORD src1_sel:BYTE_3
	v_sub_u32_e32 v22, 29, v22
	v_and_b32_e32 v11, 7, v11
	v_cmp_eq_u16_e32 vcc, 0, v20
	v_cndmask_b32_e32 v11, v14, v11, vcc
	v_cndmask_b32_e32 v14, v21, v22, vcc
	v_mov_b32_e32 v20, 0x3b800000
	v_lshlrev_b32_e32 v11, 20, v11
	v_lshl_add_u32 v14, v14, 23, v20
	v_or3_b32 v14, v15, v14, v11
.LBB23_64:
	s_or_b64 exec, exec, s[6:7]
	s_nop 0
	v_mfma_f32_16x16x4f32 a[0:3], v10, v14, a[0:3]
	s_movk_i32 s4, 0x7f
	v_cmp_gt_i16_sdwa s[6:7], v16, s4 src0_sel:BYTE_0 src1_sel:DWORD
	s_mov_b64 s[4:5], 0
                                        ; implicit-def: $sgpr10
	s_and_saveexec_b64 s[8:9], s[6:7]
	s_xor_b64 s[6:7], exec, s[8:9]
	s_cbranch_execnz .LBB23_2113
; %bb.65:
	s_or_saveexec_b64 s[6:7], s[6:7]
	v_mov_b32_e32 v10, s10
	s_xor_b64 exec, exec, s[6:7]
	s_cbranch_execnz .LBB23_2116
.LBB23_66:
	s_or_b64 exec, exec, s[6:7]
	s_and_saveexec_b64 s[6:7], s[4:5]
	s_cbranch_execz .LBB23_68
.LBB23_67:
	v_and_b32_e32 v10, 7, v16
	v_ffbh_u32_e32 v14, v10
	v_min_u32_e32 v14, 32, v14
	v_lshrrev_b16_e32 v11, 3, v16
	v_subrev_u32_e32 v15, 28, v14
	v_and_b32_e32 v11, 15, v11
	v_lshlrev_b32_e32 v15, v15, v16
	v_sub_u32_e32 v14, 29, v14
	v_and_b32_e32 v15, 7, v15
	v_cmp_eq_u16_e32 vcc, 0, v11
	v_cndmask_b32_e32 v10, v10, v15, vcc
	v_cndmask_b32_e32 v11, v11, v14, vcc
	v_lshlrev_b32_e32 v14, 24, v16
	v_mov_b32_e32 v15, 0x3b800000
	v_lshlrev_b32_e32 v10, 20, v10
	v_and_b32_e32 v14, 0x80000000, v14
	v_lshl_add_u32 v11, v11, 23, v15
	v_or3_b32 v10, v14, v11, v10
.LBB23_68:
	s_or_b64 exec, exec, s[6:7]
	s_movk_i32 s4, 0x7f
	v_cmp_gt_i16_sdwa s[6:7], v12, s4 src0_sel:BYTE_0 src1_sel:DWORD
	s_mov_b64 s[4:5], 0
                                        ; implicit-def: $sgpr10
	s_and_saveexec_b64 s[8:9], s[6:7]
	s_xor_b64 s[6:7], exec, s[8:9]
	s_cbranch_execnz .LBB23_2117
; %bb.69:
	s_or_saveexec_b64 s[6:7], s[6:7]
	v_mov_b32_e32 v11, s10
	s_xor_b64 exec, exec, s[6:7]
	s_cbranch_execnz .LBB23_2120
.LBB23_70:
	s_or_b64 exec, exec, s[6:7]
	s_and_saveexec_b64 s[6:7], s[4:5]
	s_cbranch_execz .LBB23_72
.LBB23_71:
	v_and_b32_e32 v11, 7, v12
	v_ffbh_u32_e32 v15, v11
	v_min_u32_e32 v15, 32, v15
	v_lshrrev_b16_e32 v14, 3, v12
	v_subrev_u32_e32 v20, 28, v15
	v_and_b32_e32 v14, 15, v14
	v_lshlrev_b32_e32 v20, v20, v12
	v_sub_u32_e32 v15, 29, v15
	v_and_b32_e32 v20, 7, v20
	v_cmp_eq_u16_e32 vcc, 0, v14
	v_cndmask_b32_e32 v11, v11, v20, vcc
	v_cndmask_b32_e32 v14, v14, v15, vcc
	v_lshlrev_b32_e32 v15, 24, v12
	v_mov_b32_e32 v20, 0x3b800000
	v_lshlrev_b32_e32 v11, 20, v11
	v_and_b32_e32 v15, 0x80000000, v15
	v_lshl_add_u32 v14, v14, 23, v20
	v_or3_b32 v11, v15, v14, v11
.LBB23_72:
	s_or_b64 exec, exec, s[6:7]
	s_nop 0
	v_mfma_f32_16x16x4f32 a[0:3], v10, v11, a[0:3]
	v_lshrrev_b32_e32 v11, 8, v16
	s_movk_i32 s4, 0x7f
	v_cmp_gt_i16_sdwa s[6:7], v11, s4 src0_sel:BYTE_0 src1_sel:DWORD
	s_mov_b64 s[4:5], 0
                                        ; implicit-def: $sgpr10
	s_and_saveexec_b64 s[8:9], s[6:7]
	s_xor_b64 s[6:7], exec, s[8:9]
	s_cbranch_execnz .LBB23_2121
; %bb.73:
	s_or_saveexec_b64 s[6:7], s[6:7]
	v_mov_b32_e32 v10, s10
	s_xor_b64 exec, exec, s[6:7]
	s_cbranch_execnz .LBB23_2124
.LBB23_74:
	s_or_b64 exec, exec, s[6:7]
	s_and_saveexec_b64 s[6:7], s[4:5]
	s_cbranch_execz .LBB23_76
.LBB23_75:
	v_bfe_u32 v10, v16, 8, 3
	v_ffbh_u32_e32 v15, v10
	v_min_u32_e32 v15, 32, v15
	v_lshrrev_b16_e32 v14, 3, v11
	v_subrev_u32_e32 v20, 28, v15
	v_and_b32_e32 v14, 15, v14
	v_lshlrev_b32_e32 v11, v20, v11
	v_sub_u32_e32 v15, 29, v15
	v_and_b32_e32 v11, 7, v11
	v_cmp_eq_u16_e32 vcc, 0, v14
	v_cndmask_b32_e32 v10, v10, v11, vcc
	v_cndmask_b32_e32 v11, v14, v15, vcc
	v_lshlrev_b32_e32 v14, 16, v16
	v_mov_b32_e32 v15, 0x3b800000
	v_lshlrev_b32_e32 v10, 20, v10
	v_and_b32_e32 v14, 0x80000000, v14
	v_lshl_add_u32 v11, v11, 23, v15
	v_or3_b32 v10, v14, v11, v10
.LBB23_76:
	s_or_b64 exec, exec, s[6:7]
	v_lshrrev_b32_e32 v11, 8, v12
	s_movk_i32 s4, 0x7f
	v_cmp_gt_i16_sdwa s[6:7], v11, s4 src0_sel:BYTE_0 src1_sel:DWORD
	s_mov_b64 s[4:5], 0
                                        ; implicit-def: $sgpr10
	s_and_saveexec_b64 s[8:9], s[6:7]
	s_xor_b64 s[6:7], exec, s[8:9]
	s_cbranch_execnz .LBB23_2125
; %bb.77:
	s_or_saveexec_b64 s[6:7], s[6:7]
	v_mov_b32_e32 v14, s10
	s_xor_b64 exec, exec, s[6:7]
	s_cbranch_execnz .LBB23_2128
.LBB23_78:
	s_or_b64 exec, exec, s[6:7]
	s_and_saveexec_b64 s[6:7], s[4:5]
	s_cbranch_execz .LBB23_80
.LBB23_79:
	v_bfe_u32 v14, v12, 8, 3
	v_ffbh_u32_e32 v20, v14
	v_min_u32_e32 v20, 32, v20
	v_lshrrev_b16_e32 v15, 3, v11
	v_subrev_u32_e32 v21, 28, v20
	v_and_b32_e32 v15, 15, v15
	v_lshlrev_b32_e32 v11, v21, v11
	v_sub_u32_e32 v20, 29, v20
	v_and_b32_e32 v11, 7, v11
	v_cmp_eq_u16_e32 vcc, 0, v15
	v_cndmask_b32_e32 v11, v14, v11, vcc
	v_cndmask_b32_e32 v14, v15, v20, vcc
	v_lshlrev_b32_e32 v15, 16, v12
	v_mov_b32_e32 v20, 0x3b800000
	v_lshlrev_b32_e32 v11, 20, v11
	v_and_b32_e32 v15, 0x80000000, v15
	v_lshl_add_u32 v14, v14, 23, v20
	v_or3_b32 v14, v15, v14, v11
.LBB23_80:
	s_or_b64 exec, exec, s[6:7]
	s_nop 0
	v_mfma_f32_16x16x4f32 a[0:3], v10, v14, a[0:3]
	s_movk_i32 s4, 0xff
	v_and_b32_sdwa v11, v16, s4 dst_sel:DWORD dst_unused:UNUSED_PAD src0_sel:WORD_1 src1_sel:DWORD
	s_movk_i32 s4, 0x7f
	v_cmp_lt_i16_e32 vcc, s4, v11
	s_mov_b64 s[4:5], 0
                                        ; implicit-def: $sgpr10
	s_and_saveexec_b64 s[6:7], vcc
	s_xor_b64 s[6:7], exec, s[6:7]
	s_cbranch_execnz .LBB23_2129
; %bb.81:
	s_or_saveexec_b64 s[6:7], s[6:7]
	v_mov_b32_e32 v10, s10
	s_xor_b64 exec, exec, s[6:7]
	s_cbranch_execnz .LBB23_2132
.LBB23_82:
	s_or_b64 exec, exec, s[6:7]
	s_and_saveexec_b64 s[6:7], s[4:5]
	s_cbranch_execz .LBB23_84
.LBB23_83:
	v_bfe_u32 v10, v16, 16, 3
	v_ffbh_u32_e32 v15, v10
	v_min_u32_e32 v15, 32, v15
	v_lshrrev_b32_e32 v11, 19, v16
	v_subrev_u32_e32 v20, 28, v15
	v_and_b32_e32 v11, 15, v11
	v_lshlrev_b32_sdwa v20, v20, v16 dst_sel:DWORD dst_unused:UNUSED_PAD src0_sel:DWORD src1_sel:WORD_1
	v_bfe_u32 v14, v16, 19, 4
	v_sub_u32_e32 v15, 29, v15
	v_and_b32_e32 v20, 7, v20
	v_cmp_eq_u16_e32 vcc, 0, v11
	v_cndmask_b32_e32 v10, v10, v20, vcc
	v_cndmask_b32_e32 v11, v14, v15, vcc
	v_lshlrev_b32_e32 v14, 8, v16
	v_mov_b32_e32 v15, 0x3b800000
	v_lshlrev_b32_e32 v10, 20, v10
	v_and_b32_e32 v14, 0x80000000, v14
	v_lshl_add_u32 v11, v11, 23, v15
	v_or3_b32 v10, v14, v11, v10
.LBB23_84:
	s_or_b64 exec, exec, s[6:7]
	s_movk_i32 s4, 0xff
	v_and_b32_sdwa v11, v12, s4 dst_sel:DWORD dst_unused:UNUSED_PAD src0_sel:WORD_1 src1_sel:DWORD
	s_movk_i32 s4, 0x7f
	v_cmp_lt_i16_e32 vcc, s4, v11
	s_mov_b64 s[4:5], 0
                                        ; implicit-def: $sgpr10
	s_and_saveexec_b64 s[6:7], vcc
	s_xor_b64 s[6:7], exec, s[6:7]
	s_cbranch_execnz .LBB23_2133
; %bb.85:
	s_or_saveexec_b64 s[6:7], s[6:7]
	v_mov_b32_e32 v14, s10
	s_xor_b64 exec, exec, s[6:7]
	s_cbranch_execnz .LBB23_2136
.LBB23_86:
	s_or_b64 exec, exec, s[6:7]
	s_and_saveexec_b64 s[6:7], s[4:5]
	s_cbranch_execz .LBB23_88
.LBB23_87:
	v_bfe_u32 v11, v12, 16, 3
	v_ffbh_u32_e32 v20, v11
	v_min_u32_e32 v20, 32, v20
	v_lshrrev_b32_e32 v14, 19, v12
	v_subrev_u32_e32 v21, 28, v20
	v_and_b32_e32 v14, 15, v14
	v_lshlrev_b32_sdwa v21, v21, v12 dst_sel:DWORD dst_unused:UNUSED_PAD src0_sel:DWORD src1_sel:WORD_1
	v_bfe_u32 v15, v12, 19, 4
	v_sub_u32_e32 v20, 29, v20
	v_and_b32_e32 v21, 7, v21
	v_cmp_eq_u16_e32 vcc, 0, v14
	v_cndmask_b32_e32 v11, v11, v21, vcc
	v_cndmask_b32_e32 v14, v15, v20, vcc
	v_lshlrev_b32_e32 v15, 8, v12
	v_mov_b32_e32 v20, 0x3b800000
	v_lshlrev_b32_e32 v11, 20, v11
	v_and_b32_e32 v15, 0x80000000, v15
	v_lshl_add_u32 v14, v14, 23, v20
	v_or3_b32 v14, v15, v14, v11
.LBB23_88:
	s_or_b64 exec, exec, s[6:7]
	s_nop 0
	v_mfma_f32_16x16x4f32 a[0:3], v10, v14, a[0:3]
	s_movk_i32 s4, 0x7f
	v_cmp_gt_i16_sdwa s[6:7], v16, s4 src0_sel:BYTE_3 src1_sel:DWORD
	s_mov_b64 s[4:5], 0
                                        ; implicit-def: $sgpr10
	s_and_saveexec_b64 s[8:9], s[6:7]
	s_xor_b64 s[6:7], exec, s[8:9]
	s_cbranch_execnz .LBB23_2137
; %bb.89:
	s_or_saveexec_b64 s[6:7], s[6:7]
	v_mov_b32_e32 v10, s10
	s_xor_b64 exec, exec, s[6:7]
	s_cbranch_execnz .LBB23_2140
.LBB23_90:
	s_or_b64 exec, exec, s[6:7]
	s_and_saveexec_b64 s[6:7], s[4:5]
	s_cbranch_execz .LBB23_92
.LBB23_91:
	v_bfe_u32 v10, v16, 24, 3
	v_ffbh_u32_e32 v20, v10
	v_min_u32_e32 v20, 32, v20
	v_lshrrev_b32_e32 v14, 27, v16
	v_subrev_u32_e32 v21, 28, v20
	v_and_b32_e32 v11, 0x80000000, v16
	v_and_b32_e32 v14, 15, v14
	v_bfe_u32 v15, v16, 27, 4
	v_lshlrev_b32_sdwa v16, v21, v16 dst_sel:DWORD dst_unused:UNUSED_PAD src0_sel:DWORD src1_sel:BYTE_3
	v_sub_u32_e32 v20, 29, v20
	v_and_b32_e32 v16, 7, v16
	v_cmp_eq_u16_e32 vcc, 0, v14
	v_cndmask_b32_e32 v10, v10, v16, vcc
	v_cndmask_b32_e32 v14, v15, v20, vcc
	v_mov_b32_e32 v15, 0x3b800000
	v_lshlrev_b32_e32 v10, 20, v10
	v_lshl_add_u32 v14, v14, 23, v15
	v_or3_b32 v10, v11, v14, v10
.LBB23_92:
	s_or_b64 exec, exec, s[6:7]
	s_movk_i32 s4, 0x7f
	v_cmp_gt_i16_sdwa s[6:7], v12, s4 src0_sel:BYTE_3 src1_sel:DWORD
	s_mov_b64 s[4:5], 0
                                        ; implicit-def: $sgpr10
	s_and_saveexec_b64 s[8:9], s[6:7]
	s_xor_b64 s[6:7], exec, s[8:9]
	s_cbranch_execnz .LBB23_2141
; %bb.93:
	s_or_saveexec_b64 s[6:7], s[6:7]
	v_mov_b32_e32 v11, s10
	s_xor_b64 exec, exec, s[6:7]
	s_cbranch_execnz .LBB23_2144
.LBB23_94:
	s_or_b64 exec, exec, s[6:7]
	s_and_saveexec_b64 s[6:7], s[4:5]
	s_cbranch_execz .LBB23_96
.LBB23_95:
	v_bfe_u32 v11, v12, 24, 3
	v_ffbh_u32_e32 v20, v11
	v_min_u32_e32 v20, 32, v20
	v_lshrrev_b32_e32 v15, 27, v12
	v_subrev_u32_e32 v21, 28, v20
	v_and_b32_e32 v14, 0x80000000, v12
	v_and_b32_e32 v15, 15, v15
	v_bfe_u32 v16, v12, 27, 4
	v_lshlrev_b32_sdwa v12, v21, v12 dst_sel:DWORD dst_unused:UNUSED_PAD src0_sel:DWORD src1_sel:BYTE_3
	v_sub_u32_e32 v20, 29, v20
	v_and_b32_e32 v12, 7, v12
	v_cmp_eq_u16_e32 vcc, 0, v15
	v_cndmask_b32_e32 v11, v11, v12, vcc
	v_cndmask_b32_e32 v12, v16, v20, vcc
	v_mov_b32_e32 v15, 0x3b800000
	v_lshlrev_b32_e32 v11, 20, v11
	v_lshl_add_u32 v12, v12, 23, v15
	v_or3_b32 v11, v14, v12, v11
.LBB23_96:
	s_or_b64 exec, exec, s[6:7]
	s_nop 0
	v_mfma_f32_16x16x4f32 a[0:3], v10, v11, a[0:3]
	s_movk_i32 s4, 0x7f
	v_cmp_gt_i16_sdwa s[6:7], v17, s4 src0_sel:BYTE_0 src1_sel:DWORD
	s_mov_b64 s[4:5], 0
                                        ; implicit-def: $sgpr10
	s_and_saveexec_b64 s[8:9], s[6:7]
	s_xor_b64 s[6:7], exec, s[8:9]
	s_cbranch_execnz .LBB23_2145
; %bb.97:
	s_or_saveexec_b64 s[6:7], s[6:7]
	v_mov_b32_e32 v10, s10
	s_xor_b64 exec, exec, s[6:7]
	s_cbranch_execnz .LBB23_2148
.LBB23_98:
	s_or_b64 exec, exec, s[6:7]
	s_and_saveexec_b64 s[6:7], s[4:5]
	s_cbranch_execz .LBB23_100
.LBB23_99:
	v_and_b32_e32 v10, 7, v17
	v_ffbh_u32_e32 v12, v10
	v_min_u32_e32 v12, 32, v12
	v_lshrrev_b16_e32 v11, 3, v17
	v_subrev_u32_e32 v14, 28, v12
	v_and_b32_e32 v11, 15, v11
	v_lshlrev_b32_e32 v14, v14, v17
	v_sub_u32_e32 v12, 29, v12
	v_and_b32_e32 v14, 7, v14
	v_cmp_eq_u16_e32 vcc, 0, v11
	v_cndmask_b32_e32 v10, v10, v14, vcc
	v_cndmask_b32_e32 v11, v11, v12, vcc
	v_lshlrev_b32_e32 v12, 24, v17
	v_mov_b32_e32 v14, 0x3b800000
	v_lshlrev_b32_e32 v10, 20, v10
	v_and_b32_e32 v12, 0x80000000, v12
	v_lshl_add_u32 v11, v11, 23, v14
	v_or3_b32 v10, v12, v11, v10
.LBB23_100:
	s_or_b64 exec, exec, s[6:7]
	s_movk_i32 s4, 0x7f
	v_cmp_gt_i16_sdwa s[6:7], v13, s4 src0_sel:BYTE_0 src1_sel:DWORD
	s_mov_b64 s[4:5], 0
                                        ; implicit-def: $sgpr10
	s_and_saveexec_b64 s[8:9], s[6:7]
	s_xor_b64 s[6:7], exec, s[8:9]
	s_cbranch_execnz .LBB23_2149
; %bb.101:
	s_or_saveexec_b64 s[6:7], s[6:7]
	v_mov_b32_e32 v11, s10
	s_xor_b64 exec, exec, s[6:7]
	s_cbranch_execnz .LBB23_2152
.LBB23_102:
	s_or_b64 exec, exec, s[6:7]
	s_and_saveexec_b64 s[6:7], s[4:5]
	s_cbranch_execz .LBB23_104
.LBB23_103:
	v_and_b32_e32 v11, 7, v13
	v_ffbh_u32_e32 v14, v11
	v_min_u32_e32 v14, 32, v14
	v_lshrrev_b16_e32 v12, 3, v13
	v_subrev_u32_e32 v15, 28, v14
	v_and_b32_e32 v12, 15, v12
	v_lshlrev_b32_e32 v15, v15, v13
	v_sub_u32_e32 v14, 29, v14
	v_and_b32_e32 v15, 7, v15
	v_cmp_eq_u16_e32 vcc, 0, v12
	v_cndmask_b32_e32 v11, v11, v15, vcc
	v_cndmask_b32_e32 v12, v12, v14, vcc
	v_lshlrev_b32_e32 v14, 24, v13
	v_mov_b32_e32 v15, 0x3b800000
	v_lshlrev_b32_e32 v11, 20, v11
	v_and_b32_e32 v14, 0x80000000, v14
	v_lshl_add_u32 v12, v12, 23, v15
	v_or3_b32 v11, v14, v12, v11
.LBB23_104:
	s_or_b64 exec, exec, s[6:7]
	s_nop 0
	v_mfma_f32_16x16x4f32 a[0:3], v10, v11, a[0:3]
	v_lshrrev_b32_e32 v11, 8, v17
	s_movk_i32 s4, 0x7f
	v_cmp_gt_i16_sdwa s[6:7], v11, s4 src0_sel:BYTE_0 src1_sel:DWORD
	s_mov_b64 s[4:5], 0
                                        ; implicit-def: $sgpr10
	s_and_saveexec_b64 s[8:9], s[6:7]
	s_xor_b64 s[6:7], exec, s[8:9]
	s_cbranch_execnz .LBB23_2153
; %bb.105:
	s_or_saveexec_b64 s[6:7], s[6:7]
	v_mov_b32_e32 v10, s10
	s_xor_b64 exec, exec, s[6:7]
	s_cbranch_execnz .LBB23_2156
.LBB23_106:
	s_or_b64 exec, exec, s[6:7]
	s_and_saveexec_b64 s[6:7], s[4:5]
	s_cbranch_execz .LBB23_108
.LBB23_107:
	v_bfe_u32 v10, v17, 8, 3
	v_ffbh_u32_e32 v14, v10
	v_min_u32_e32 v14, 32, v14
	v_lshrrev_b16_e32 v12, 3, v11
	v_subrev_u32_e32 v15, 28, v14
	v_and_b32_e32 v12, 15, v12
	v_lshlrev_b32_e32 v11, v15, v11
	v_sub_u32_e32 v14, 29, v14
	v_and_b32_e32 v11, 7, v11
	v_cmp_eq_u16_e32 vcc, 0, v12
	v_cndmask_b32_e32 v10, v10, v11, vcc
	v_cndmask_b32_e32 v11, v12, v14, vcc
	v_lshlrev_b32_e32 v12, 16, v17
	v_mov_b32_e32 v14, 0x3b800000
	v_lshlrev_b32_e32 v10, 20, v10
	v_and_b32_e32 v12, 0x80000000, v12
	v_lshl_add_u32 v11, v11, 23, v14
	v_or3_b32 v10, v12, v11, v10
.LBB23_108:
	s_or_b64 exec, exec, s[6:7]
	v_lshrrev_b32_e32 v11, 8, v13
	s_movk_i32 s4, 0x7f
	v_cmp_gt_i16_sdwa s[6:7], v11, s4 src0_sel:BYTE_0 src1_sel:DWORD
	s_mov_b64 s[4:5], 0
                                        ; implicit-def: $sgpr10
	s_and_saveexec_b64 s[8:9], s[6:7]
	s_xor_b64 s[6:7], exec, s[8:9]
	s_cbranch_execnz .LBB23_2157
; %bb.109:
	s_or_saveexec_b64 s[6:7], s[6:7]
	v_mov_b32_e32 v12, s10
	s_xor_b64 exec, exec, s[6:7]
	s_cbranch_execnz .LBB23_2160
.LBB23_110:
	s_or_b64 exec, exec, s[6:7]
	s_and_saveexec_b64 s[6:7], s[4:5]
	s_cbranch_execz .LBB23_112
.LBB23_111:
	v_bfe_u32 v12, v13, 8, 3
	v_ffbh_u32_e32 v15, v12
	v_min_u32_e32 v15, 32, v15
	v_lshrrev_b16_e32 v14, 3, v11
	v_subrev_u32_e32 v16, 28, v15
	v_and_b32_e32 v14, 15, v14
	v_lshlrev_b32_e32 v11, v16, v11
	v_sub_u32_e32 v15, 29, v15
	v_and_b32_e32 v11, 7, v11
	v_cmp_eq_u16_e32 vcc, 0, v14
	v_cndmask_b32_e32 v11, v12, v11, vcc
	v_cndmask_b32_e32 v12, v14, v15, vcc
	v_lshlrev_b32_e32 v14, 16, v13
	v_mov_b32_e32 v15, 0x3b800000
	v_lshlrev_b32_e32 v11, 20, v11
	v_and_b32_e32 v14, 0x80000000, v14
	v_lshl_add_u32 v12, v12, 23, v15
	v_or3_b32 v12, v14, v12, v11
.LBB23_112:
	s_or_b64 exec, exec, s[6:7]
	s_nop 0
	v_mfma_f32_16x16x4f32 a[0:3], v10, v12, a[0:3]
	s_movk_i32 s4, 0xff
	v_and_b32_sdwa v11, v17, s4 dst_sel:DWORD dst_unused:UNUSED_PAD src0_sel:WORD_1 src1_sel:DWORD
	s_movk_i32 s4, 0x7f
	v_cmp_lt_i16_e32 vcc, s4, v11
	s_mov_b64 s[4:5], 0
                                        ; implicit-def: $sgpr10
	s_and_saveexec_b64 s[6:7], vcc
	s_xor_b64 s[6:7], exec, s[6:7]
	s_cbranch_execnz .LBB23_2161
; %bb.113:
	s_or_saveexec_b64 s[6:7], s[6:7]
	v_mov_b32_e32 v10, s10
	s_xor_b64 exec, exec, s[6:7]
	s_cbranch_execnz .LBB23_2164
.LBB23_114:
	s_or_b64 exec, exec, s[6:7]
	s_and_saveexec_b64 s[6:7], s[4:5]
	s_cbranch_execz .LBB23_116
.LBB23_115:
	v_bfe_u32 v10, v17, 16, 3
	v_ffbh_u32_e32 v14, v10
	v_min_u32_e32 v14, 32, v14
	v_lshrrev_b32_e32 v11, 19, v17
	v_subrev_u32_e32 v15, 28, v14
	v_and_b32_e32 v11, 15, v11
	v_lshlrev_b32_sdwa v15, v15, v17 dst_sel:DWORD dst_unused:UNUSED_PAD src0_sel:DWORD src1_sel:WORD_1
	v_bfe_u32 v12, v17, 19, 4
	v_sub_u32_e32 v14, 29, v14
	v_and_b32_e32 v15, 7, v15
	v_cmp_eq_u16_e32 vcc, 0, v11
	v_cndmask_b32_e32 v10, v10, v15, vcc
	v_cndmask_b32_e32 v11, v12, v14, vcc
	v_lshlrev_b32_e32 v12, 8, v17
	v_mov_b32_e32 v14, 0x3b800000
	v_lshlrev_b32_e32 v10, 20, v10
	v_and_b32_e32 v12, 0x80000000, v12
	v_lshl_add_u32 v11, v11, 23, v14
	v_or3_b32 v10, v12, v11, v10
.LBB23_116:
	s_or_b64 exec, exec, s[6:7]
	s_movk_i32 s4, 0xff
	v_and_b32_sdwa v11, v13, s4 dst_sel:DWORD dst_unused:UNUSED_PAD src0_sel:WORD_1 src1_sel:DWORD
	s_movk_i32 s4, 0x7f
	v_cmp_lt_i16_e32 vcc, s4, v11
	s_mov_b64 s[4:5], 0
                                        ; implicit-def: $sgpr10
	s_and_saveexec_b64 s[6:7], vcc
	s_xor_b64 s[6:7], exec, s[6:7]
	s_cbranch_execnz .LBB23_2165
; %bb.117:
	s_or_saveexec_b64 s[6:7], s[6:7]
	v_mov_b32_e32 v12, s10
	s_xor_b64 exec, exec, s[6:7]
	s_cbranch_execnz .LBB23_2168
.LBB23_118:
	s_or_b64 exec, exec, s[6:7]
	s_and_saveexec_b64 s[6:7], s[4:5]
	s_cbranch_execz .LBB23_120
.LBB23_119:
	v_bfe_u32 v11, v13, 16, 3
	v_ffbh_u32_e32 v15, v11
	v_min_u32_e32 v15, 32, v15
	v_lshrrev_b32_e32 v12, 19, v13
	v_subrev_u32_e32 v16, 28, v15
	v_and_b32_e32 v12, 15, v12
	v_lshlrev_b32_sdwa v16, v16, v13 dst_sel:DWORD dst_unused:UNUSED_PAD src0_sel:DWORD src1_sel:WORD_1
	v_bfe_u32 v14, v13, 19, 4
	v_sub_u32_e32 v15, 29, v15
	v_and_b32_e32 v16, 7, v16
	v_cmp_eq_u16_e32 vcc, 0, v12
	v_cndmask_b32_e32 v11, v11, v16, vcc
	v_cndmask_b32_e32 v12, v14, v15, vcc
	v_lshlrev_b32_e32 v14, 8, v13
	v_mov_b32_e32 v15, 0x3b800000
	v_lshlrev_b32_e32 v11, 20, v11
	v_and_b32_e32 v14, 0x80000000, v14
	v_lshl_add_u32 v12, v12, 23, v15
	v_or3_b32 v12, v14, v12, v11
.LBB23_120:
	s_or_b64 exec, exec, s[6:7]
	s_nop 0
	v_mfma_f32_16x16x4f32 a[0:3], v10, v12, a[0:3]
	s_movk_i32 s4, 0x7f
	v_cmp_gt_i16_sdwa s[6:7], v17, s4 src0_sel:BYTE_3 src1_sel:DWORD
	s_mov_b64 s[4:5], 0
                                        ; implicit-def: $sgpr10
	s_and_saveexec_b64 s[8:9], s[6:7]
	s_xor_b64 s[6:7], exec, s[8:9]
	s_cbranch_execnz .LBB23_2169
; %bb.121:
	s_or_saveexec_b64 s[6:7], s[6:7]
	v_mov_b32_e32 v10, s10
	s_xor_b64 exec, exec, s[6:7]
	s_cbranch_execnz .LBB23_2172
.LBB23_122:
	s_or_b64 exec, exec, s[6:7]
	s_and_saveexec_b64 s[6:7], s[4:5]
	s_cbranch_execz .LBB23_124
.LBB23_123:
	v_bfe_u32 v10, v17, 24, 3
	v_ffbh_u32_e32 v15, v10
	v_min_u32_e32 v15, 32, v15
	v_lshrrev_b32_e32 v12, 27, v17
	v_subrev_u32_e32 v16, 28, v15
	v_and_b32_e32 v12, 15, v12
	v_lshlrev_b32_sdwa v16, v16, v17 dst_sel:DWORD dst_unused:UNUSED_PAD src0_sel:DWORD src1_sel:BYTE_3
	v_bfe_u32 v14, v17, 27, 4
	v_sub_u32_e32 v15, 29, v15
	v_and_b32_e32 v16, 7, v16
	v_cmp_eq_u16_e32 vcc, 0, v12
	v_cndmask_b32_e32 v10, v10, v16, vcc
	v_cndmask_b32_e32 v12, v14, v15, vcc
	v_mov_b32_e32 v14, 0x3b800000
	v_and_b32_e32 v11, 0x80000000, v17
	v_lshlrev_b32_e32 v10, 20, v10
	v_lshl_add_u32 v12, v12, 23, v14
	v_or3_b32 v10, v11, v12, v10
.LBB23_124:
	s_or_b64 exec, exec, s[6:7]
	s_movk_i32 s4, 0x7f
	v_cmp_gt_i16_sdwa s[6:7], v13, s4 src0_sel:BYTE_3 src1_sel:DWORD
	s_mov_b64 s[4:5], 0
                                        ; implicit-def: $sgpr10
	s_and_saveexec_b64 s[8:9], s[6:7]
	s_xor_b64 s[6:7], exec, s[8:9]
	s_cbranch_execnz .LBB23_2173
; %bb.125:
	s_or_saveexec_b64 s[6:7], s[6:7]
	v_mov_b32_e32 v11, s10
	s_xor_b64 exec, exec, s[6:7]
	s_cbranch_execnz .LBB23_2176
.LBB23_126:
	s_or_b64 exec, exec, s[6:7]
	s_and_saveexec_b64 s[6:7], s[4:5]
	s_cbranch_execz .LBB23_128
.LBB23_127:
	v_bfe_u32 v11, v13, 24, 3
	v_ffbh_u32_e32 v16, v11
	v_min_u32_e32 v16, 32, v16
	v_lshrrev_b32_e32 v14, 27, v13
	v_subrev_u32_e32 v17, 28, v16
	v_and_b32_e32 v12, 0x80000000, v13
	v_and_b32_e32 v14, 15, v14
	v_bfe_u32 v15, v13, 27, 4
	v_lshlrev_b32_sdwa v13, v17, v13 dst_sel:DWORD dst_unused:UNUSED_PAD src0_sel:DWORD src1_sel:BYTE_3
	v_sub_u32_e32 v16, 29, v16
	v_and_b32_e32 v13, 7, v13
	v_cmp_eq_u16_e32 vcc, 0, v14
	v_cndmask_b32_e32 v11, v11, v13, vcc
	v_cndmask_b32_e32 v13, v15, v16, vcc
	v_mov_b32_e32 v14, 0x3b800000
	v_lshlrev_b32_e32 v11, 20, v11
	v_lshl_add_u32 v13, v13, 23, v14
	v_or3_b32 v11, v12, v13, v11
.LBB23_128:
	s_or_b64 exec, exec, s[6:7]
	s_nop 0
	v_mfma_f32_16x16x4f32 a[0:3], v10, v11, a[0:3]
	s_movk_i32 s4, 0x7f
	v_cmp_gt_i16_sdwa s[6:7], v6, s4 src0_sel:BYTE_0 src1_sel:DWORD
	s_mov_b64 s[4:5], 0
                                        ; implicit-def: $sgpr10
	s_and_saveexec_b64 s[8:9], s[6:7]
	s_xor_b64 s[6:7], exec, s[8:9]
	s_cbranch_execnz .LBB23_2177
; %bb.129:
	s_or_saveexec_b64 s[6:7], s[6:7]
	v_mov_b32_e32 v10, s10
	s_xor_b64 exec, exec, s[6:7]
	s_cbranch_execnz .LBB23_2180
.LBB23_130:
	s_or_b64 exec, exec, s[6:7]
	s_and_saveexec_b64 s[6:7], s[4:5]
	s_cbranch_execz .LBB23_132
.LBB23_131:
	v_and_b32_e32 v10, 7, v6
	v_ffbh_u32_e32 v12, v10
	v_min_u32_e32 v12, 32, v12
	v_lshrrev_b16_e32 v11, 3, v6
	v_subrev_u32_e32 v13, 28, v12
	v_and_b32_e32 v11, 15, v11
	v_lshlrev_b32_e32 v13, v13, v6
	v_sub_u32_e32 v12, 29, v12
	v_and_b32_e32 v13, 7, v13
	v_cmp_eq_u16_e32 vcc, 0, v11
	v_cndmask_b32_e32 v10, v10, v13, vcc
	v_cndmask_b32_e32 v11, v11, v12, vcc
	v_lshlrev_b32_e32 v12, 24, v6
	v_mov_b32_e32 v13, 0x3b800000
	v_lshlrev_b32_e32 v10, 20, v10
	v_and_b32_e32 v12, 0x80000000, v12
	v_lshl_add_u32 v11, v11, 23, v13
	v_or3_b32 v10, v12, v11, v10
.LBB23_132:
	s_or_b64 exec, exec, s[6:7]
	s_movk_i32 s4, 0x7f
	v_cmp_gt_i16_sdwa s[6:7], v2, s4 src0_sel:BYTE_0 src1_sel:DWORD
	s_mov_b64 s[4:5], 0
                                        ; implicit-def: $sgpr10
	s_and_saveexec_b64 s[8:9], s[6:7]
	s_xor_b64 s[6:7], exec, s[8:9]
	s_cbranch_execnz .LBB23_2181
; %bb.133:
	s_or_saveexec_b64 s[6:7], s[6:7]
	v_mov_b32_e32 v11, s10
	s_xor_b64 exec, exec, s[6:7]
	s_cbranch_execnz .LBB23_2184
.LBB23_134:
	s_or_b64 exec, exec, s[6:7]
	s_and_saveexec_b64 s[6:7], s[4:5]
	s_cbranch_execz .LBB23_136
.LBB23_135:
	v_and_b32_e32 v11, 7, v2
	v_ffbh_u32_e32 v13, v11
	v_min_u32_e32 v13, 32, v13
	v_lshrrev_b16_e32 v12, 3, v2
	v_subrev_u32_e32 v14, 28, v13
	v_and_b32_e32 v12, 15, v12
	v_lshlrev_b32_e32 v14, v14, v2
	v_sub_u32_e32 v13, 29, v13
	v_and_b32_e32 v14, 7, v14
	v_cmp_eq_u16_e32 vcc, 0, v12
	v_cndmask_b32_e32 v11, v11, v14, vcc
	v_cndmask_b32_e32 v12, v12, v13, vcc
	v_lshlrev_b32_e32 v13, 24, v2
	v_mov_b32_e32 v14, 0x3b800000
	v_lshlrev_b32_e32 v11, 20, v11
	v_and_b32_e32 v13, 0x80000000, v13
	v_lshl_add_u32 v12, v12, 23, v14
	v_or3_b32 v11, v13, v12, v11
.LBB23_136:
	s_or_b64 exec, exec, s[6:7]
	s_nop 0
	v_mfma_f32_16x16x4f32 a[0:3], v10, v11, a[0:3]
	v_lshrrev_b32_e32 v11, 8, v6
	s_movk_i32 s4, 0x7f
	v_cmp_gt_i16_sdwa s[6:7], v11, s4 src0_sel:BYTE_0 src1_sel:DWORD
	s_mov_b64 s[4:5], 0
                                        ; implicit-def: $sgpr10
	s_and_saveexec_b64 s[8:9], s[6:7]
	s_xor_b64 s[6:7], exec, s[8:9]
	s_cbranch_execnz .LBB23_2185
; %bb.137:
	s_or_saveexec_b64 s[6:7], s[6:7]
	v_mov_b32_e32 v10, s10
	s_xor_b64 exec, exec, s[6:7]
	s_cbranch_execnz .LBB23_2188
.LBB23_138:
	s_or_b64 exec, exec, s[6:7]
	s_and_saveexec_b64 s[6:7], s[4:5]
	s_cbranch_execz .LBB23_140
.LBB23_139:
	v_bfe_u32 v10, v6, 8, 3
	v_ffbh_u32_e32 v13, v10
	v_min_u32_e32 v13, 32, v13
	v_lshrrev_b16_e32 v12, 3, v11
	v_subrev_u32_e32 v14, 28, v13
	v_and_b32_e32 v12, 15, v12
	v_lshlrev_b32_e32 v11, v14, v11
	v_sub_u32_e32 v13, 29, v13
	v_and_b32_e32 v11, 7, v11
	v_cmp_eq_u16_e32 vcc, 0, v12
	v_cndmask_b32_e32 v10, v10, v11, vcc
	v_cndmask_b32_e32 v11, v12, v13, vcc
	v_lshlrev_b32_e32 v12, 16, v6
	v_mov_b32_e32 v13, 0x3b800000
	v_lshlrev_b32_e32 v10, 20, v10
	v_and_b32_e32 v12, 0x80000000, v12
	v_lshl_add_u32 v11, v11, 23, v13
	v_or3_b32 v10, v12, v11, v10
.LBB23_140:
	s_or_b64 exec, exec, s[6:7]
	v_lshrrev_b32_e32 v11, 8, v2
	s_movk_i32 s4, 0x7f
	v_cmp_gt_i16_sdwa s[6:7], v11, s4 src0_sel:BYTE_0 src1_sel:DWORD
	s_mov_b64 s[4:5], 0
                                        ; implicit-def: $sgpr10
	s_and_saveexec_b64 s[8:9], s[6:7]
	s_xor_b64 s[6:7], exec, s[8:9]
	s_cbranch_execnz .LBB23_2189
; %bb.141:
	s_or_saveexec_b64 s[6:7], s[6:7]
	v_mov_b32_e32 v12, s10
	s_xor_b64 exec, exec, s[6:7]
	s_cbranch_execnz .LBB23_2192
.LBB23_142:
	s_or_b64 exec, exec, s[6:7]
	s_and_saveexec_b64 s[6:7], s[4:5]
	s_cbranch_execz .LBB23_144
.LBB23_143:
	v_bfe_u32 v12, v2, 8, 3
	v_ffbh_u32_e32 v14, v12
	v_min_u32_e32 v14, 32, v14
	v_lshrrev_b16_e32 v13, 3, v11
	v_subrev_u32_e32 v15, 28, v14
	v_and_b32_e32 v13, 15, v13
	v_lshlrev_b32_e32 v11, v15, v11
	v_sub_u32_e32 v14, 29, v14
	v_and_b32_e32 v11, 7, v11
	v_cmp_eq_u16_e32 vcc, 0, v13
	v_cndmask_b32_e32 v11, v12, v11, vcc
	v_cndmask_b32_e32 v12, v13, v14, vcc
	v_lshlrev_b32_e32 v13, 16, v2
	v_mov_b32_e32 v14, 0x3b800000
	v_lshlrev_b32_e32 v11, 20, v11
	v_and_b32_e32 v13, 0x80000000, v13
	v_lshl_add_u32 v12, v12, 23, v14
	v_or3_b32 v12, v13, v12, v11
.LBB23_144:
	s_or_b64 exec, exec, s[6:7]
	s_nop 0
	v_mfma_f32_16x16x4f32 a[0:3], v10, v12, a[0:3]
	s_movk_i32 s4, 0xff
	v_and_b32_sdwa v11, v6, s4 dst_sel:DWORD dst_unused:UNUSED_PAD src0_sel:WORD_1 src1_sel:DWORD
	s_movk_i32 s4, 0x7f
	v_cmp_lt_i16_e32 vcc, s4, v11
	s_mov_b64 s[4:5], 0
                                        ; implicit-def: $sgpr10
	s_and_saveexec_b64 s[6:7], vcc
	s_xor_b64 s[6:7], exec, s[6:7]
	s_cbranch_execnz .LBB23_2193
; %bb.145:
	s_or_saveexec_b64 s[6:7], s[6:7]
	v_mov_b32_e32 v10, s10
	s_xor_b64 exec, exec, s[6:7]
	s_cbranch_execnz .LBB23_2196
.LBB23_146:
	s_or_b64 exec, exec, s[6:7]
	s_and_saveexec_b64 s[6:7], s[4:5]
	s_cbranch_execz .LBB23_148
.LBB23_147:
	v_bfe_u32 v10, v6, 16, 3
	v_ffbh_u32_e32 v13, v10
	v_min_u32_e32 v13, 32, v13
	v_lshrrev_b32_e32 v11, 19, v6
	v_subrev_u32_e32 v14, 28, v13
	v_and_b32_e32 v11, 15, v11
	v_lshlrev_b32_sdwa v14, v14, v6 dst_sel:DWORD dst_unused:UNUSED_PAD src0_sel:DWORD src1_sel:WORD_1
	v_bfe_u32 v12, v6, 19, 4
	v_sub_u32_e32 v13, 29, v13
	v_and_b32_e32 v14, 7, v14
	v_cmp_eq_u16_e32 vcc, 0, v11
	v_cndmask_b32_e32 v10, v10, v14, vcc
	v_cndmask_b32_e32 v11, v12, v13, vcc
	v_lshlrev_b32_e32 v12, 8, v6
	v_mov_b32_e32 v13, 0x3b800000
	v_lshlrev_b32_e32 v10, 20, v10
	v_and_b32_e32 v12, 0x80000000, v12
	v_lshl_add_u32 v11, v11, 23, v13
	v_or3_b32 v10, v12, v11, v10
.LBB23_148:
	s_or_b64 exec, exec, s[6:7]
	s_movk_i32 s4, 0xff
	v_and_b32_sdwa v11, v2, s4 dst_sel:DWORD dst_unused:UNUSED_PAD src0_sel:WORD_1 src1_sel:DWORD
	s_movk_i32 s4, 0x7f
	v_cmp_lt_i16_e32 vcc, s4, v11
	s_mov_b64 s[4:5], 0
                                        ; implicit-def: $sgpr10
	s_and_saveexec_b64 s[6:7], vcc
	s_xor_b64 s[6:7], exec, s[6:7]
	s_cbranch_execnz .LBB23_2197
; %bb.149:
	s_or_saveexec_b64 s[6:7], s[6:7]
	v_mov_b32_e32 v12, s10
	s_xor_b64 exec, exec, s[6:7]
	s_cbranch_execnz .LBB23_2200
.LBB23_150:
	s_or_b64 exec, exec, s[6:7]
	s_and_saveexec_b64 s[6:7], s[4:5]
	s_cbranch_execz .LBB23_152
.LBB23_151:
	v_bfe_u32 v11, v2, 16, 3
	v_ffbh_u32_e32 v14, v11
	v_min_u32_e32 v14, 32, v14
	v_lshrrev_b32_e32 v12, 19, v2
	v_subrev_u32_e32 v15, 28, v14
	v_and_b32_e32 v12, 15, v12
	v_lshlrev_b32_sdwa v15, v15, v2 dst_sel:DWORD dst_unused:UNUSED_PAD src0_sel:DWORD src1_sel:WORD_1
	v_bfe_u32 v13, v2, 19, 4
	v_sub_u32_e32 v14, 29, v14
	v_and_b32_e32 v15, 7, v15
	v_cmp_eq_u16_e32 vcc, 0, v12
	v_cndmask_b32_e32 v11, v11, v15, vcc
	v_cndmask_b32_e32 v12, v13, v14, vcc
	v_lshlrev_b32_e32 v13, 8, v2
	v_mov_b32_e32 v14, 0x3b800000
	v_lshlrev_b32_e32 v11, 20, v11
	v_and_b32_e32 v13, 0x80000000, v13
	v_lshl_add_u32 v12, v12, 23, v14
	v_or3_b32 v12, v13, v12, v11
.LBB23_152:
	s_or_b64 exec, exec, s[6:7]
	s_nop 0
	v_mfma_f32_16x16x4f32 a[0:3], v10, v12, a[0:3]
	s_movk_i32 s4, 0x7f
	v_cmp_gt_i16_sdwa s[6:7], v6, s4 src0_sel:BYTE_3 src1_sel:DWORD
	s_mov_b64 s[4:5], 0
                                        ; implicit-def: $sgpr10
	s_and_saveexec_b64 s[8:9], s[6:7]
	s_xor_b64 s[6:7], exec, s[8:9]
	s_cbranch_execnz .LBB23_2201
; %bb.153:
	s_or_saveexec_b64 s[6:7], s[6:7]
	v_mov_b32_e32 v10, s10
	s_xor_b64 exec, exec, s[6:7]
	s_cbranch_execnz .LBB23_2204
.LBB23_154:
	s_or_b64 exec, exec, s[6:7]
	s_and_saveexec_b64 s[6:7], s[4:5]
	s_cbranch_execz .LBB23_156
.LBB23_155:
	v_bfe_u32 v10, v6, 24, 3
	v_ffbh_u32_e32 v14, v10
	v_min_u32_e32 v14, 32, v14
	v_lshrrev_b32_e32 v12, 27, v6
	v_subrev_u32_e32 v15, 28, v14
	v_and_b32_e32 v11, 0x80000000, v6
	v_and_b32_e32 v12, 15, v12
	v_bfe_u32 v13, v6, 27, 4
	v_lshlrev_b32_sdwa v6, v15, v6 dst_sel:DWORD dst_unused:UNUSED_PAD src0_sel:DWORD src1_sel:BYTE_3
	v_sub_u32_e32 v14, 29, v14
	v_and_b32_e32 v6, 7, v6
	v_cmp_eq_u16_e32 vcc, 0, v12
	v_cndmask_b32_e32 v6, v10, v6, vcc
	v_cndmask_b32_e32 v10, v13, v14, vcc
	v_mov_b32_e32 v12, 0x3b800000
	v_lshlrev_b32_e32 v6, 20, v6
	v_lshl_add_u32 v10, v10, 23, v12
	v_or3_b32 v10, v11, v10, v6
.LBB23_156:
	s_or_b64 exec, exec, s[6:7]
	s_movk_i32 s4, 0x7f
	v_cmp_gt_i16_sdwa s[6:7], v2, s4 src0_sel:BYTE_3 src1_sel:DWORD
	s_mov_b64 s[4:5], 0
                                        ; implicit-def: $sgpr10
	s_and_saveexec_b64 s[8:9], s[6:7]
	s_xor_b64 s[6:7], exec, s[8:9]
	s_cbranch_execnz .LBB23_2205
; %bb.157:
	s_or_saveexec_b64 s[6:7], s[6:7]
	v_mov_b32_e32 v6, s10
	s_xor_b64 exec, exec, s[6:7]
	s_cbranch_execnz .LBB23_2208
.LBB23_158:
	s_or_b64 exec, exec, s[6:7]
	s_and_saveexec_b64 s[6:7], s[4:5]
	s_cbranch_execz .LBB23_160
.LBB23_159:
	v_bfe_u32 v6, v2, 24, 3
	v_ffbh_u32_e32 v14, v6
	v_min_u32_e32 v14, 32, v14
	v_lshrrev_b32_e32 v12, 27, v2
	v_subrev_u32_e32 v15, 28, v14
	v_and_b32_e32 v11, 0x80000000, v2
	v_and_b32_e32 v12, 15, v12
	v_bfe_u32 v13, v2, 27, 4
	v_lshlrev_b32_sdwa v2, v15, v2 dst_sel:DWORD dst_unused:UNUSED_PAD src0_sel:DWORD src1_sel:BYTE_3
	v_sub_u32_e32 v14, 29, v14
	v_and_b32_e32 v2, 7, v2
	v_cmp_eq_u16_e32 vcc, 0, v12
	v_cndmask_b32_e32 v2, v6, v2, vcc
	v_cndmask_b32_e32 v6, v13, v14, vcc
	v_mov_b32_e32 v12, 0x3b800000
	v_lshlrev_b32_e32 v2, 20, v2
	v_lshl_add_u32 v6, v6, 23, v12
	v_or3_b32 v6, v11, v6, v2
.LBB23_160:
	s_or_b64 exec, exec, s[6:7]
	s_nop 0
	v_mfma_f32_16x16x4f32 a[0:3], v10, v6, a[0:3]
	s_movk_i32 s4, 0x7f
	v_cmp_gt_i16_sdwa s[6:7], v7, s4 src0_sel:BYTE_0 src1_sel:DWORD
	s_mov_b64 s[4:5], 0
                                        ; implicit-def: $sgpr10
	s_and_saveexec_b64 s[8:9], s[6:7]
	s_xor_b64 s[6:7], exec, s[8:9]
	s_cbranch_execnz .LBB23_2209
; %bb.161:
	s_or_saveexec_b64 s[6:7], s[6:7]
	v_mov_b32_e32 v2, s10
	s_xor_b64 exec, exec, s[6:7]
	s_cbranch_execnz .LBB23_2212
.LBB23_162:
	s_or_b64 exec, exec, s[6:7]
	s_and_saveexec_b64 s[6:7], s[4:5]
	s_cbranch_execz .LBB23_164
.LBB23_163:
	v_and_b32_e32 v2, 7, v7
	v_ffbh_u32_e32 v10, v2
	v_min_u32_e32 v10, 32, v10
	v_lshrrev_b16_e32 v6, 3, v7
	v_subrev_u32_e32 v11, 28, v10
	v_and_b32_e32 v6, 15, v6
	v_lshlrev_b32_e32 v11, v11, v7
	v_sub_u32_e32 v10, 29, v10
	v_and_b32_e32 v11, 7, v11
	v_cmp_eq_u16_e32 vcc, 0, v6
	v_cndmask_b32_e32 v2, v2, v11, vcc
	v_cndmask_b32_e32 v6, v6, v10, vcc
	v_lshlrev_b32_e32 v10, 24, v7
	v_mov_b32_e32 v11, 0x3b800000
	v_lshlrev_b32_e32 v2, 20, v2
	v_and_b32_e32 v10, 0x80000000, v10
	v_lshl_add_u32 v6, v6, 23, v11
	v_or3_b32 v2, v10, v6, v2
.LBB23_164:
	s_or_b64 exec, exec, s[6:7]
	s_movk_i32 s4, 0x7f
	v_cmp_gt_i16_sdwa s[6:7], v3, s4 src0_sel:BYTE_0 src1_sel:DWORD
	s_mov_b64 s[4:5], 0
                                        ; implicit-def: $sgpr10
	s_and_saveexec_b64 s[8:9], s[6:7]
	s_xor_b64 s[6:7], exec, s[8:9]
	s_cbranch_execnz .LBB23_2213
; %bb.165:
	s_or_saveexec_b64 s[6:7], s[6:7]
	v_mov_b32_e32 v6, s10
	s_xor_b64 exec, exec, s[6:7]
	s_cbranch_execnz .LBB23_2216
.LBB23_166:
	s_or_b64 exec, exec, s[6:7]
	s_and_saveexec_b64 s[6:7], s[4:5]
	s_cbranch_execz .LBB23_168
.LBB23_167:
	v_and_b32_e32 v6, 7, v3
	v_ffbh_u32_e32 v11, v6
	v_min_u32_e32 v11, 32, v11
	v_lshrrev_b16_e32 v10, 3, v3
	v_subrev_u32_e32 v12, 28, v11
	v_and_b32_e32 v10, 15, v10
	v_lshlrev_b32_e32 v12, v12, v3
	v_sub_u32_e32 v11, 29, v11
	v_and_b32_e32 v12, 7, v12
	v_cmp_eq_u16_e32 vcc, 0, v10
	v_cndmask_b32_e32 v6, v6, v12, vcc
	v_cndmask_b32_e32 v10, v10, v11, vcc
	v_lshlrev_b32_e32 v11, 24, v3
	v_mov_b32_e32 v12, 0x3b800000
	v_lshlrev_b32_e32 v6, 20, v6
	v_and_b32_e32 v11, 0x80000000, v11
	v_lshl_add_u32 v10, v10, 23, v12
	v_or3_b32 v6, v11, v10, v6
.LBB23_168:
	s_or_b64 exec, exec, s[6:7]
	s_nop 0
	v_mfma_f32_16x16x4f32 a[0:3], v2, v6, a[0:3]
	v_lshrrev_b32_e32 v6, 8, v7
	s_movk_i32 s4, 0x7f
	v_cmp_gt_i16_sdwa s[6:7], v6, s4 src0_sel:BYTE_0 src1_sel:DWORD
	s_mov_b64 s[4:5], 0
                                        ; implicit-def: $sgpr10
	s_and_saveexec_b64 s[8:9], s[6:7]
	s_xor_b64 s[6:7], exec, s[8:9]
	s_cbranch_execnz .LBB23_2217
; %bb.169:
	s_or_saveexec_b64 s[6:7], s[6:7]
	v_mov_b32_e32 v2, s10
	s_xor_b64 exec, exec, s[6:7]
	s_cbranch_execnz .LBB23_2220
.LBB23_170:
	s_or_b64 exec, exec, s[6:7]
	s_and_saveexec_b64 s[6:7], s[4:5]
	s_cbranch_execz .LBB23_172
.LBB23_171:
	v_bfe_u32 v2, v7, 8, 3
	v_ffbh_u32_e32 v11, v2
	v_min_u32_e32 v11, 32, v11
	v_lshrrev_b16_e32 v10, 3, v6
	v_subrev_u32_e32 v12, 28, v11
	v_and_b32_e32 v10, 15, v10
	v_lshlrev_b32_e32 v6, v12, v6
	v_sub_u32_e32 v11, 29, v11
	v_and_b32_e32 v6, 7, v6
	v_cmp_eq_u16_e32 vcc, 0, v10
	v_cndmask_b32_e32 v2, v2, v6, vcc
	v_cndmask_b32_e32 v6, v10, v11, vcc
	v_lshlrev_b32_e32 v10, 16, v7
	v_mov_b32_e32 v11, 0x3b800000
	v_lshlrev_b32_e32 v2, 20, v2
	v_and_b32_e32 v10, 0x80000000, v10
	v_lshl_add_u32 v6, v6, 23, v11
	v_or3_b32 v2, v10, v6, v2
.LBB23_172:
	s_or_b64 exec, exec, s[6:7]
	v_lshrrev_b32_e32 v6, 8, v3
	s_movk_i32 s4, 0x7f
	v_cmp_gt_i16_sdwa s[6:7], v6, s4 src0_sel:BYTE_0 src1_sel:DWORD
	s_mov_b64 s[4:5], 0
                                        ; implicit-def: $sgpr10
	s_and_saveexec_b64 s[8:9], s[6:7]
	s_xor_b64 s[6:7], exec, s[8:9]
	s_cbranch_execnz .LBB23_2221
; %bb.173:
	s_or_saveexec_b64 s[6:7], s[6:7]
	v_mov_b32_e32 v10, s10
	s_xor_b64 exec, exec, s[6:7]
	s_cbranch_execnz .LBB23_2224
.LBB23_174:
	s_or_b64 exec, exec, s[6:7]
	s_and_saveexec_b64 s[6:7], s[4:5]
	s_cbranch_execz .LBB23_176
.LBB23_175:
	v_bfe_u32 v10, v3, 8, 3
	v_ffbh_u32_e32 v12, v10
	v_min_u32_e32 v12, 32, v12
	v_lshrrev_b16_e32 v11, 3, v6
	v_subrev_u32_e32 v13, 28, v12
	v_and_b32_e32 v11, 15, v11
	v_lshlrev_b32_e32 v6, v13, v6
	v_sub_u32_e32 v12, 29, v12
	v_and_b32_e32 v6, 7, v6
	v_cmp_eq_u16_e32 vcc, 0, v11
	v_cndmask_b32_e32 v6, v10, v6, vcc
	v_cndmask_b32_e32 v10, v11, v12, vcc
	v_lshlrev_b32_e32 v11, 16, v3
	v_mov_b32_e32 v12, 0x3b800000
	v_lshlrev_b32_e32 v6, 20, v6
	v_and_b32_e32 v11, 0x80000000, v11
	v_lshl_add_u32 v10, v10, 23, v12
	v_or3_b32 v10, v11, v10, v6
.LBB23_176:
	s_or_b64 exec, exec, s[6:7]
	s_nop 0
	v_mfma_f32_16x16x4f32 a[0:3], v2, v10, a[0:3]
	s_movk_i32 s4, 0xff
	v_and_b32_sdwa v6, v7, s4 dst_sel:DWORD dst_unused:UNUSED_PAD src0_sel:WORD_1 src1_sel:DWORD
	s_movk_i32 s4, 0x7f
	v_cmp_lt_i16_e32 vcc, s4, v6
	s_mov_b64 s[4:5], 0
                                        ; implicit-def: $sgpr10
	s_and_saveexec_b64 s[6:7], vcc
	s_xor_b64 s[6:7], exec, s[6:7]
	s_cbranch_execnz .LBB23_2225
; %bb.177:
	s_or_saveexec_b64 s[6:7], s[6:7]
	v_mov_b32_e32 v2, s10
	s_xor_b64 exec, exec, s[6:7]
	s_cbranch_execnz .LBB23_2228
.LBB23_178:
	s_or_b64 exec, exec, s[6:7]
	s_and_saveexec_b64 s[6:7], s[4:5]
	s_cbranch_execz .LBB23_180
.LBB23_179:
	v_bfe_u32 v2, v7, 16, 3
	v_ffbh_u32_e32 v11, v2
	v_min_u32_e32 v11, 32, v11
	v_lshrrev_b32_e32 v6, 19, v7
	v_subrev_u32_e32 v12, 28, v11
	v_and_b32_e32 v6, 15, v6
	v_lshlrev_b32_sdwa v12, v12, v7 dst_sel:DWORD dst_unused:UNUSED_PAD src0_sel:DWORD src1_sel:WORD_1
	v_bfe_u32 v10, v7, 19, 4
	v_sub_u32_e32 v11, 29, v11
	v_and_b32_e32 v12, 7, v12
	v_cmp_eq_u16_e32 vcc, 0, v6
	v_cndmask_b32_e32 v2, v2, v12, vcc
	v_cndmask_b32_e32 v6, v10, v11, vcc
	v_lshlrev_b32_e32 v10, 8, v7
	v_mov_b32_e32 v11, 0x3b800000
	v_lshlrev_b32_e32 v2, 20, v2
	v_and_b32_e32 v10, 0x80000000, v10
	v_lshl_add_u32 v6, v6, 23, v11
	v_or3_b32 v2, v10, v6, v2
.LBB23_180:
	s_or_b64 exec, exec, s[6:7]
	s_movk_i32 s4, 0xff
	v_and_b32_sdwa v6, v3, s4 dst_sel:DWORD dst_unused:UNUSED_PAD src0_sel:WORD_1 src1_sel:DWORD
	s_movk_i32 s4, 0x7f
	v_cmp_lt_i16_e32 vcc, s4, v6
	s_mov_b64 s[4:5], 0
                                        ; implicit-def: $sgpr10
	s_and_saveexec_b64 s[6:7], vcc
	s_xor_b64 s[6:7], exec, s[6:7]
	s_cbranch_execnz .LBB23_2229
; %bb.181:
	s_or_saveexec_b64 s[6:7], s[6:7]
	v_mov_b32_e32 v10, s10
	s_xor_b64 exec, exec, s[6:7]
	s_cbranch_execnz .LBB23_2232
.LBB23_182:
	s_or_b64 exec, exec, s[6:7]
	s_and_saveexec_b64 s[6:7], s[4:5]
	s_cbranch_execz .LBB23_184
.LBB23_183:
	v_bfe_u32 v6, v3, 16, 3
	v_ffbh_u32_e32 v12, v6
	v_min_u32_e32 v12, 32, v12
	v_lshrrev_b32_e32 v10, 19, v3
	v_subrev_u32_e32 v13, 28, v12
	v_and_b32_e32 v10, 15, v10
	v_lshlrev_b32_sdwa v13, v13, v3 dst_sel:DWORD dst_unused:UNUSED_PAD src0_sel:DWORD src1_sel:WORD_1
	v_bfe_u32 v11, v3, 19, 4
	v_sub_u32_e32 v12, 29, v12
	v_and_b32_e32 v13, 7, v13
	v_cmp_eq_u16_e32 vcc, 0, v10
	v_cndmask_b32_e32 v6, v6, v13, vcc
	v_cndmask_b32_e32 v10, v11, v12, vcc
	v_lshlrev_b32_e32 v11, 8, v3
	v_mov_b32_e32 v12, 0x3b800000
	v_lshlrev_b32_e32 v6, 20, v6
	v_and_b32_e32 v11, 0x80000000, v11
	v_lshl_add_u32 v10, v10, 23, v12
	v_or3_b32 v10, v11, v10, v6
.LBB23_184:
	s_or_b64 exec, exec, s[6:7]
	s_nop 0
	v_mfma_f32_16x16x4f32 a[0:3], v2, v10, a[0:3]
	s_movk_i32 s4, 0x7f
	v_cmp_gt_i16_sdwa s[6:7], v7, s4 src0_sel:BYTE_3 src1_sel:DWORD
	s_mov_b64 s[4:5], 0
                                        ; implicit-def: $sgpr10
	s_and_saveexec_b64 s[8:9], s[6:7]
	s_xor_b64 s[6:7], exec, s[8:9]
	s_cbranch_execnz .LBB23_2233
; %bb.185:
	s_or_saveexec_b64 s[6:7], s[6:7]
	v_mov_b32_e32 v2, s10
	s_xor_b64 exec, exec, s[6:7]
	s_cbranch_execnz .LBB23_2236
.LBB23_186:
	s_or_b64 exec, exec, s[6:7]
	s_and_saveexec_b64 s[6:7], s[4:5]
	s_cbranch_execz .LBB23_188
.LBB23_187:
	v_bfe_u32 v2, v7, 24, 3
	v_ffbh_u32_e32 v12, v2
	v_min_u32_e32 v12, 32, v12
	v_lshrrev_b32_e32 v10, 27, v7
	v_subrev_u32_e32 v13, 28, v12
	v_and_b32_e32 v6, 0x80000000, v7
	v_and_b32_e32 v10, 15, v10
	v_bfe_u32 v11, v7, 27, 4
	v_lshlrev_b32_sdwa v7, v13, v7 dst_sel:DWORD dst_unused:UNUSED_PAD src0_sel:DWORD src1_sel:BYTE_3
	v_sub_u32_e32 v12, 29, v12
	v_and_b32_e32 v7, 7, v7
	v_cmp_eq_u16_e32 vcc, 0, v10
	v_cndmask_b32_e32 v2, v2, v7, vcc
	v_cndmask_b32_e32 v7, v11, v12, vcc
	v_mov_b32_e32 v10, 0x3b800000
	v_lshlrev_b32_e32 v2, 20, v2
	v_lshl_add_u32 v7, v7, 23, v10
	v_or3_b32 v2, v6, v7, v2
.LBB23_188:
	s_or_b64 exec, exec, s[6:7]
	s_movk_i32 s4, 0x7f
	v_cmp_gt_i16_sdwa s[6:7], v3, s4 src0_sel:BYTE_3 src1_sel:DWORD
	s_mov_b64 s[4:5], 0
                                        ; implicit-def: $sgpr10
	s_and_saveexec_b64 s[8:9], s[6:7]
	s_xor_b64 s[6:7], exec, s[8:9]
	s_cbranch_execnz .LBB23_2237
; %bb.189:
	s_or_saveexec_b64 s[6:7], s[6:7]
	v_mov_b32_e32 v6, s10
	s_xor_b64 exec, exec, s[6:7]
	s_cbranch_execnz .LBB23_2240
.LBB23_190:
	s_or_b64 exec, exec, s[6:7]
	s_and_saveexec_b64 s[6:7], s[4:5]
	s_cbranch_execz .LBB23_192
.LBB23_191:
	v_bfe_u32 v6, v3, 24, 3
	v_ffbh_u32_e32 v12, v6
	v_min_u32_e32 v12, 32, v12
	v_lshrrev_b32_e32 v10, 27, v3
	v_subrev_u32_e32 v13, 28, v12
	v_and_b32_e32 v7, 0x80000000, v3
	v_and_b32_e32 v10, 15, v10
	v_bfe_u32 v11, v3, 27, 4
	v_lshlrev_b32_sdwa v3, v13, v3 dst_sel:DWORD dst_unused:UNUSED_PAD src0_sel:DWORD src1_sel:BYTE_3
	v_sub_u32_e32 v12, 29, v12
	v_and_b32_e32 v3, 7, v3
	v_cmp_eq_u16_e32 vcc, 0, v10
	v_cndmask_b32_e32 v3, v6, v3, vcc
	v_cndmask_b32_e32 v6, v11, v12, vcc
	v_mov_b32_e32 v10, 0x3b800000
	v_lshlrev_b32_e32 v3, 20, v3
	v_lshl_add_u32 v6, v6, 23, v10
	v_or3_b32 v6, v7, v6, v3
.LBB23_192:
	s_or_b64 exec, exec, s[6:7]
	s_nop 0
	v_mfma_f32_16x16x4f32 a[0:3], v2, v6, a[0:3]
	s_movk_i32 s4, 0x7f
	v_cmp_gt_i16_sdwa s[6:7], v8, s4 src0_sel:BYTE_0 src1_sel:DWORD
	s_mov_b64 s[4:5], 0
                                        ; implicit-def: $sgpr10
	s_and_saveexec_b64 s[8:9], s[6:7]
	s_xor_b64 s[6:7], exec, s[8:9]
	s_cbranch_execnz .LBB23_2241
; %bb.193:
	s_or_saveexec_b64 s[6:7], s[6:7]
	v_mov_b32_e32 v2, s10
	s_xor_b64 exec, exec, s[6:7]
	s_cbranch_execnz .LBB23_2244
.LBB23_194:
	s_or_b64 exec, exec, s[6:7]
	s_and_saveexec_b64 s[6:7], s[4:5]
	s_cbranch_execz .LBB23_196
.LBB23_195:
	v_and_b32_e32 v2, 7, v8
	v_ffbh_u32_e32 v6, v2
	v_min_u32_e32 v6, 32, v6
	v_lshrrev_b16_e32 v3, 3, v8
	v_subrev_u32_e32 v7, 28, v6
	v_and_b32_e32 v3, 15, v3
	v_lshlrev_b32_e32 v7, v7, v8
	v_sub_u32_e32 v6, 29, v6
	v_and_b32_e32 v7, 7, v7
	v_cmp_eq_u16_e32 vcc, 0, v3
	v_cndmask_b32_e32 v2, v2, v7, vcc
	v_cndmask_b32_e32 v3, v3, v6, vcc
	v_lshlrev_b32_e32 v6, 24, v8
	v_mov_b32_e32 v7, 0x3b800000
	v_lshlrev_b32_e32 v2, 20, v2
	v_and_b32_e32 v6, 0x80000000, v6
	v_lshl_add_u32 v3, v3, 23, v7
	v_or3_b32 v2, v6, v3, v2
.LBB23_196:
	s_or_b64 exec, exec, s[6:7]
	s_movk_i32 s4, 0x7f
	v_cmp_gt_i16_sdwa s[6:7], v4, s4 src0_sel:BYTE_0 src1_sel:DWORD
	s_mov_b64 s[4:5], 0
                                        ; implicit-def: $sgpr10
	s_and_saveexec_b64 s[8:9], s[6:7]
	s_xor_b64 s[6:7], exec, s[8:9]
	s_cbranch_execnz .LBB23_2245
; %bb.197:
	s_or_saveexec_b64 s[6:7], s[6:7]
	v_mov_b32_e32 v3, s10
	s_xor_b64 exec, exec, s[6:7]
	s_cbranch_execnz .LBB23_2248
.LBB23_198:
	s_or_b64 exec, exec, s[6:7]
	s_and_saveexec_b64 s[6:7], s[4:5]
	s_cbranch_execz .LBB23_200
.LBB23_199:
	v_and_b32_e32 v3, 7, v4
	v_ffbh_u32_e32 v7, v3
	v_min_u32_e32 v7, 32, v7
	v_lshrrev_b16_e32 v6, 3, v4
	v_subrev_u32_e32 v10, 28, v7
	v_and_b32_e32 v6, 15, v6
	v_lshlrev_b32_e32 v10, v10, v4
	v_sub_u32_e32 v7, 29, v7
	v_and_b32_e32 v10, 7, v10
	v_cmp_eq_u16_e32 vcc, 0, v6
	v_cndmask_b32_e32 v3, v3, v10, vcc
	v_cndmask_b32_e32 v6, v6, v7, vcc
	v_lshlrev_b32_e32 v7, 24, v4
	v_mov_b32_e32 v10, 0x3b800000
	v_lshlrev_b32_e32 v3, 20, v3
	v_and_b32_e32 v7, 0x80000000, v7
	v_lshl_add_u32 v6, v6, 23, v10
	v_or3_b32 v3, v7, v6, v3
.LBB23_200:
	s_or_b64 exec, exec, s[6:7]
	s_nop 0
	v_mfma_f32_16x16x4f32 a[0:3], v2, v3, a[0:3]
	v_lshrrev_b32_e32 v3, 8, v8
	s_movk_i32 s4, 0x7f
	v_cmp_gt_i16_sdwa s[6:7], v3, s4 src0_sel:BYTE_0 src1_sel:DWORD
	s_mov_b64 s[4:5], 0
                                        ; implicit-def: $sgpr10
	s_and_saveexec_b64 s[8:9], s[6:7]
	s_xor_b64 s[6:7], exec, s[8:9]
	s_cbranch_execnz .LBB23_2249
; %bb.201:
	s_or_saveexec_b64 s[6:7], s[6:7]
	v_mov_b32_e32 v2, s10
	s_xor_b64 exec, exec, s[6:7]
	s_cbranch_execnz .LBB23_2252
.LBB23_202:
	s_or_b64 exec, exec, s[6:7]
	s_and_saveexec_b64 s[6:7], s[4:5]
	s_cbranch_execz .LBB23_204
.LBB23_203:
	v_bfe_u32 v2, v8, 8, 3
	v_ffbh_u32_e32 v7, v2
	v_min_u32_e32 v7, 32, v7
	v_lshrrev_b16_e32 v6, 3, v3
	v_subrev_u32_e32 v10, 28, v7
	v_and_b32_e32 v6, 15, v6
	v_lshlrev_b32_e32 v3, v10, v3
	v_sub_u32_e32 v7, 29, v7
	v_and_b32_e32 v3, 7, v3
	v_cmp_eq_u16_e32 vcc, 0, v6
	v_cndmask_b32_e32 v2, v2, v3, vcc
	v_cndmask_b32_e32 v3, v6, v7, vcc
	v_lshlrev_b32_e32 v6, 16, v8
	v_mov_b32_e32 v7, 0x3b800000
	v_lshlrev_b32_e32 v2, 20, v2
	v_and_b32_e32 v6, 0x80000000, v6
	v_lshl_add_u32 v3, v3, 23, v7
	v_or3_b32 v2, v6, v3, v2
.LBB23_204:
	s_or_b64 exec, exec, s[6:7]
	v_lshrrev_b32_e32 v3, 8, v4
	s_movk_i32 s4, 0x7f
	v_cmp_gt_i16_sdwa s[6:7], v3, s4 src0_sel:BYTE_0 src1_sel:DWORD
	s_mov_b64 s[4:5], 0
                                        ; implicit-def: $sgpr10
	s_and_saveexec_b64 s[8:9], s[6:7]
	s_xor_b64 s[6:7], exec, s[8:9]
	s_cbranch_execnz .LBB23_2253
; %bb.205:
	s_or_saveexec_b64 s[6:7], s[6:7]
	v_mov_b32_e32 v6, s10
	s_xor_b64 exec, exec, s[6:7]
	s_cbranch_execnz .LBB23_2256
.LBB23_206:
	s_or_b64 exec, exec, s[6:7]
	s_and_saveexec_b64 s[6:7], s[4:5]
	s_cbranch_execz .LBB23_208
.LBB23_207:
	v_bfe_u32 v6, v4, 8, 3
	v_ffbh_u32_e32 v10, v6
	v_min_u32_e32 v10, 32, v10
	v_lshrrev_b16_e32 v7, 3, v3
	v_subrev_u32_e32 v11, 28, v10
	v_and_b32_e32 v7, 15, v7
	v_lshlrev_b32_e32 v3, v11, v3
	v_sub_u32_e32 v10, 29, v10
	v_and_b32_e32 v3, 7, v3
	v_cmp_eq_u16_e32 vcc, 0, v7
	v_cndmask_b32_e32 v3, v6, v3, vcc
	v_cndmask_b32_e32 v6, v7, v10, vcc
	v_lshlrev_b32_e32 v7, 16, v4
	v_mov_b32_e32 v10, 0x3b800000
	v_lshlrev_b32_e32 v3, 20, v3
	v_and_b32_e32 v7, 0x80000000, v7
	v_lshl_add_u32 v6, v6, 23, v10
	v_or3_b32 v6, v7, v6, v3
.LBB23_208:
	s_or_b64 exec, exec, s[6:7]
	s_nop 0
	v_mfma_f32_16x16x4f32 a[0:3], v2, v6, a[0:3]
	s_movk_i32 s4, 0xff
	v_and_b32_sdwa v3, v8, s4 dst_sel:DWORD dst_unused:UNUSED_PAD src0_sel:WORD_1 src1_sel:DWORD
	s_movk_i32 s4, 0x7f
	v_cmp_lt_i16_e32 vcc, s4, v3
	s_mov_b64 s[4:5], 0
                                        ; implicit-def: $sgpr10
	s_and_saveexec_b64 s[6:7], vcc
	s_xor_b64 s[6:7], exec, s[6:7]
	s_cbranch_execnz .LBB23_2257
; %bb.209:
	s_or_saveexec_b64 s[6:7], s[6:7]
	v_mov_b32_e32 v2, s10
	s_xor_b64 exec, exec, s[6:7]
	s_cbranch_execnz .LBB23_2260
.LBB23_210:
	s_or_b64 exec, exec, s[6:7]
	s_and_saveexec_b64 s[6:7], s[4:5]
	s_cbranch_execz .LBB23_212
.LBB23_211:
	v_bfe_u32 v2, v8, 16, 3
	v_ffbh_u32_e32 v7, v2
	v_min_u32_e32 v7, 32, v7
	v_lshrrev_b32_e32 v3, 19, v8
	v_subrev_u32_e32 v10, 28, v7
	v_and_b32_e32 v3, 15, v3
	v_lshlrev_b32_sdwa v10, v10, v8 dst_sel:DWORD dst_unused:UNUSED_PAD src0_sel:DWORD src1_sel:WORD_1
	v_bfe_u32 v6, v8, 19, 4
	v_sub_u32_e32 v7, 29, v7
	v_and_b32_e32 v10, 7, v10
	v_cmp_eq_u16_e32 vcc, 0, v3
	v_cndmask_b32_e32 v2, v2, v10, vcc
	v_cndmask_b32_e32 v3, v6, v7, vcc
	v_lshlrev_b32_e32 v6, 8, v8
	v_mov_b32_e32 v7, 0x3b800000
	v_lshlrev_b32_e32 v2, 20, v2
	v_and_b32_e32 v6, 0x80000000, v6
	v_lshl_add_u32 v3, v3, 23, v7
	v_or3_b32 v2, v6, v3, v2
.LBB23_212:
	s_or_b64 exec, exec, s[6:7]
	s_movk_i32 s4, 0xff
	v_and_b32_sdwa v3, v4, s4 dst_sel:DWORD dst_unused:UNUSED_PAD src0_sel:WORD_1 src1_sel:DWORD
	s_movk_i32 s4, 0x7f
	v_cmp_lt_i16_e32 vcc, s4, v3
	s_mov_b64 s[4:5], 0
                                        ; implicit-def: $sgpr10
	s_and_saveexec_b64 s[6:7], vcc
	s_xor_b64 s[6:7], exec, s[6:7]
	s_cbranch_execnz .LBB23_2261
; %bb.213:
	s_or_saveexec_b64 s[6:7], s[6:7]
	v_mov_b32_e32 v6, s10
	s_xor_b64 exec, exec, s[6:7]
	s_cbranch_execnz .LBB23_2264
.LBB23_214:
	s_or_b64 exec, exec, s[6:7]
	s_and_saveexec_b64 s[6:7], s[4:5]
	s_cbranch_execz .LBB23_216
.LBB23_215:
	v_bfe_u32 v3, v4, 16, 3
	v_ffbh_u32_e32 v10, v3
	v_min_u32_e32 v10, 32, v10
	v_lshrrev_b32_e32 v6, 19, v4
	v_subrev_u32_e32 v11, 28, v10
	v_and_b32_e32 v6, 15, v6
	v_lshlrev_b32_sdwa v11, v11, v4 dst_sel:DWORD dst_unused:UNUSED_PAD src0_sel:DWORD src1_sel:WORD_1
	v_bfe_u32 v7, v4, 19, 4
	v_sub_u32_e32 v10, 29, v10
	v_and_b32_e32 v11, 7, v11
	v_cmp_eq_u16_e32 vcc, 0, v6
	v_cndmask_b32_e32 v3, v3, v11, vcc
	v_cndmask_b32_e32 v6, v7, v10, vcc
	v_lshlrev_b32_e32 v7, 8, v4
	v_mov_b32_e32 v10, 0x3b800000
	v_lshlrev_b32_e32 v3, 20, v3
	v_and_b32_e32 v7, 0x80000000, v7
	v_lshl_add_u32 v6, v6, 23, v10
	v_or3_b32 v6, v7, v6, v3
.LBB23_216:
	s_or_b64 exec, exec, s[6:7]
	s_nop 0
	v_mfma_f32_16x16x4f32 a[0:3], v2, v6, a[0:3]
	s_movk_i32 s4, 0x7f
	v_cmp_gt_i16_sdwa s[6:7], v8, s4 src0_sel:BYTE_3 src1_sel:DWORD
	s_mov_b64 s[4:5], 0
                                        ; implicit-def: $sgpr10
	s_and_saveexec_b64 s[8:9], s[6:7]
	s_xor_b64 s[6:7], exec, s[8:9]
	s_cbranch_execnz .LBB23_2265
; %bb.217:
	s_or_saveexec_b64 s[6:7], s[6:7]
	v_mov_b32_e32 v2, s10
	s_xor_b64 exec, exec, s[6:7]
	s_cbranch_execnz .LBB23_2268
.LBB23_218:
	s_or_b64 exec, exec, s[6:7]
	s_and_saveexec_b64 s[6:7], s[4:5]
	s_cbranch_execz .LBB23_220
.LBB23_219:
	v_bfe_u32 v2, v8, 24, 3
	v_ffbh_u32_e32 v10, v2
	v_min_u32_e32 v10, 32, v10
	v_lshrrev_b32_e32 v6, 27, v8
	v_subrev_u32_e32 v11, 28, v10
	v_and_b32_e32 v3, 0x80000000, v8
	v_and_b32_e32 v6, 15, v6
	v_bfe_u32 v7, v8, 27, 4
	v_lshlrev_b32_sdwa v8, v11, v8 dst_sel:DWORD dst_unused:UNUSED_PAD src0_sel:DWORD src1_sel:BYTE_3
	v_sub_u32_e32 v10, 29, v10
	v_and_b32_e32 v8, 7, v8
	v_cmp_eq_u16_e32 vcc, 0, v6
	v_cndmask_b32_e32 v2, v2, v8, vcc
	v_cndmask_b32_e32 v6, v7, v10, vcc
	v_mov_b32_e32 v7, 0x3b800000
	v_lshlrev_b32_e32 v2, 20, v2
	v_lshl_add_u32 v6, v6, 23, v7
	v_or3_b32 v2, v3, v6, v2
.LBB23_220:
	s_or_b64 exec, exec, s[6:7]
	s_movk_i32 s4, 0x7f
	v_cmp_gt_i16_sdwa s[6:7], v4, s4 src0_sel:BYTE_3 src1_sel:DWORD
	s_mov_b64 s[4:5], 0
                                        ; implicit-def: $sgpr10
	s_and_saveexec_b64 s[8:9], s[6:7]
	s_xor_b64 s[6:7], exec, s[8:9]
	s_cbranch_execnz .LBB23_2269
; %bb.221:
	s_or_saveexec_b64 s[6:7], s[6:7]
	v_mov_b32_e32 v3, s10
	s_xor_b64 exec, exec, s[6:7]
	s_cbranch_execnz .LBB23_2272
.LBB23_222:
	s_or_b64 exec, exec, s[6:7]
	s_and_saveexec_b64 s[6:7], s[4:5]
	s_cbranch_execz .LBB23_224
.LBB23_223:
	v_bfe_u32 v3, v4, 24, 3
	v_ffbh_u32_e32 v10, v3
	v_min_u32_e32 v10, 32, v10
	v_lshrrev_b32_e32 v7, 27, v4
	v_subrev_u32_e32 v11, 28, v10
	v_and_b32_e32 v6, 0x80000000, v4
	v_and_b32_e32 v7, 15, v7
	v_bfe_u32 v8, v4, 27, 4
	v_lshlrev_b32_sdwa v4, v11, v4 dst_sel:DWORD dst_unused:UNUSED_PAD src0_sel:DWORD src1_sel:BYTE_3
	v_sub_u32_e32 v10, 29, v10
	v_and_b32_e32 v4, 7, v4
	v_cmp_eq_u16_e32 vcc, 0, v7
	v_cndmask_b32_e32 v3, v3, v4, vcc
	v_cndmask_b32_e32 v4, v8, v10, vcc
	v_mov_b32_e32 v7, 0x3b800000
	v_lshlrev_b32_e32 v3, 20, v3
	v_lshl_add_u32 v4, v4, 23, v7
	v_or3_b32 v3, v6, v4, v3
.LBB23_224:
	s_or_b64 exec, exec, s[6:7]
	s_nop 0
	v_mfma_f32_16x16x4f32 a[0:3], v2, v3, a[0:3]
	s_movk_i32 s4, 0x7f
	v_cmp_gt_i16_sdwa s[6:7], v9, s4 src0_sel:BYTE_0 src1_sel:DWORD
	s_mov_b64 s[4:5], 0
                                        ; implicit-def: $sgpr10
	s_and_saveexec_b64 s[8:9], s[6:7]
	s_xor_b64 s[6:7], exec, s[8:9]
	s_cbranch_execnz .LBB23_2273
; %bb.225:
	s_or_saveexec_b64 s[6:7], s[6:7]
	v_mov_b32_e32 v2, s10
	s_xor_b64 exec, exec, s[6:7]
	s_cbranch_execnz .LBB23_2276
.LBB23_226:
	s_or_b64 exec, exec, s[6:7]
	s_and_saveexec_b64 s[6:7], s[4:5]
	s_cbranch_execz .LBB23_228
.LBB23_227:
	v_mov_b32_e32 v2, 8
	v_and_b32_e32 v3, 7, v9
	v_lshrrev_b32_sdwa v2, v2, v9 dst_sel:BYTE_1 dst_unused:UNUSED_PAD src0_sel:DWORD src1_sel:DWORD
	v_ffbh_u32_e32 v4, v3
	v_or_b32_sdwa v2, v9, v2 dst_sel:DWORD dst_unused:UNUSED_PAD src0_sel:BYTE_0 src1_sel:DWORD
	v_min_u32_e32 v4, 32, v4
	v_lshrrev_b16_e32 v2, 3, v2
	v_subrev_u32_e32 v6, 28, v4
	v_and_b32_e32 v2, 15, v2
	v_lshlrev_b32_e32 v6, v6, v9
	v_sub_u32_e32 v4, 29, v4
	v_and_b32_e32 v6, 7, v6
	v_cmp_eq_u16_e32 vcc, 0, v2
	v_cndmask_b32_e32 v3, v3, v6, vcc
	v_cndmask_b32_e32 v2, v2, v4, vcc
	v_lshlrev_b32_e32 v4, 24, v9
	v_mov_b32_e32 v6, 0x3b800000
	v_lshlrev_b32_e32 v3, 20, v3
	v_and_b32_e32 v4, 0x80000000, v4
	v_lshl_add_u32 v2, v2, 23, v6
	v_or3_b32 v2, v4, v2, v3
.LBB23_228:
	s_or_b64 exec, exec, s[6:7]
	s_movk_i32 s4, 0x7f
	v_cmp_gt_i16_sdwa s[6:7], v5, s4 src0_sel:BYTE_0 src1_sel:DWORD
	s_mov_b64 s[4:5], 0
                                        ; implicit-def: $sgpr10
	s_and_saveexec_b64 s[8:9], s[6:7]
	s_xor_b64 s[6:7], exec, s[8:9]
	s_cbranch_execnz .LBB23_2277
; %bb.229:
	s_or_saveexec_b64 s[6:7], s[6:7]
	v_mov_b32_e32 v3, s10
	s_xor_b64 exec, exec, s[6:7]
	s_cbranch_execnz .LBB23_2280
.LBB23_230:
	s_or_b64 exec, exec, s[6:7]
	s_and_saveexec_b64 s[6:7], s[4:5]
	s_cbranch_execz .LBB23_232
.LBB23_231:
	v_mov_b32_e32 v3, 8
	v_and_b32_e32 v4, 7, v5
	v_lshrrev_b32_sdwa v3, v3, v5 dst_sel:BYTE_1 dst_unused:UNUSED_PAD src0_sel:DWORD src1_sel:DWORD
	v_ffbh_u32_e32 v6, v4
	v_or_b32_sdwa v3, v5, v3 dst_sel:DWORD dst_unused:UNUSED_PAD src0_sel:BYTE_0 src1_sel:DWORD
	v_min_u32_e32 v6, 32, v6
	v_lshrrev_b16_e32 v3, 3, v3
	v_subrev_u32_e32 v7, 28, v6
	v_and_b32_e32 v3, 15, v3
	v_lshlrev_b32_e32 v7, v7, v5
	v_sub_u32_e32 v6, 29, v6
	v_and_b32_e32 v7, 7, v7
	v_cmp_eq_u16_e32 vcc, 0, v3
	v_cndmask_b32_e32 v4, v4, v7, vcc
	v_cndmask_b32_e32 v3, v3, v6, vcc
	v_lshlrev_b32_e32 v6, 24, v5
	v_mov_b32_e32 v7, 0x3b800000
	v_lshlrev_b32_e32 v4, 20, v4
	v_and_b32_e32 v6, 0x80000000, v6
	v_lshl_add_u32 v3, v3, 23, v7
	v_or3_b32 v3, v6, v3, v4
.LBB23_232:
	s_or_b64 exec, exec, s[6:7]
	s_nop 0
	v_mfma_f32_16x16x4f32 a[0:3], v2, v3, a[0:3]
	v_lshrrev_b32_e32 v3, 8, v9
	s_movk_i32 s4, 0x7f
	v_cmp_gt_i16_sdwa s[6:7], v3, s4 src0_sel:BYTE_0 src1_sel:DWORD
	s_mov_b64 s[4:5], 0
                                        ; implicit-def: $sgpr10
	s_and_saveexec_b64 s[8:9], s[6:7]
	s_xor_b64 s[6:7], exec, s[8:9]
	s_cbranch_execnz .LBB23_2281
; %bb.233:
	s_or_saveexec_b64 s[6:7], s[6:7]
	v_mov_b32_e32 v2, s10
	s_xor_b64 exec, exec, s[6:7]
	s_cbranch_execnz .LBB23_2284
.LBB23_234:
	s_or_b64 exec, exec, s[6:7]
	s_and_saveexec_b64 s[6:7], s[4:5]
	s_cbranch_execz .LBB23_236
.LBB23_235:
	v_bfe_u32 v2, v9, 8, 3
	v_ffbh_u32_e32 v6, v2
	v_min_u32_e32 v6, 32, v6
	v_lshrrev_b16_e32 v4, 3, v3
	v_subrev_u32_e32 v7, 28, v6
	v_and_b32_e32 v4, 15, v4
	v_lshlrev_b32_e32 v3, v7, v3
	v_sub_u32_e32 v6, 29, v6
	v_and_b32_e32 v3, 7, v3
	v_cmp_eq_u16_e32 vcc, 0, v4
	v_cndmask_b32_e32 v2, v2, v3, vcc
	v_cndmask_b32_e32 v3, v4, v6, vcc
	v_lshlrev_b32_e32 v4, 16, v9
	v_mov_b32_e32 v6, 0x3b800000
	v_lshlrev_b32_e32 v2, 20, v2
	v_and_b32_e32 v4, 0x80000000, v4
	v_lshl_add_u32 v3, v3, 23, v6
	v_or3_b32 v2, v4, v3, v2
.LBB23_236:
	s_or_b64 exec, exec, s[6:7]
	v_lshrrev_b32_e32 v3, 8, v5
	s_movk_i32 s4, 0x7f
	v_cmp_gt_i16_sdwa s[6:7], v3, s4 src0_sel:BYTE_0 src1_sel:DWORD
	s_mov_b64 s[4:5], 0
                                        ; implicit-def: $sgpr10
	s_and_saveexec_b64 s[8:9], s[6:7]
	s_xor_b64 s[6:7], exec, s[8:9]
	s_cbranch_execnz .LBB23_2285
; %bb.237:
	s_or_saveexec_b64 s[6:7], s[6:7]
	v_mov_b32_e32 v4, s10
	s_xor_b64 exec, exec, s[6:7]
	s_cbranch_execnz .LBB23_2288
.LBB23_238:
	s_or_b64 exec, exec, s[6:7]
	s_and_saveexec_b64 s[6:7], s[4:5]
	s_cbranch_execz .LBB23_240
.LBB23_239:
	v_bfe_u32 v4, v5, 8, 3
	v_ffbh_u32_e32 v7, v4
	v_min_u32_e32 v7, 32, v7
	v_lshrrev_b16_e32 v6, 3, v3
	v_subrev_u32_e32 v8, 28, v7
	v_and_b32_e32 v6, 15, v6
	v_lshlrev_b32_e32 v3, v8, v3
	v_sub_u32_e32 v7, 29, v7
	v_and_b32_e32 v3, 7, v3
	v_cmp_eq_u16_e32 vcc, 0, v6
	v_cndmask_b32_e32 v3, v4, v3, vcc
	v_cndmask_b32_e32 v4, v6, v7, vcc
	v_lshlrev_b32_e32 v6, 16, v5
	v_mov_b32_e32 v7, 0x3b800000
	v_lshlrev_b32_e32 v3, 20, v3
	v_and_b32_e32 v6, 0x80000000, v6
	v_lshl_add_u32 v4, v4, 23, v7
	v_or3_b32 v4, v6, v4, v3
.LBB23_240:
	s_or_b64 exec, exec, s[6:7]
	s_nop 0
	v_mfma_f32_16x16x4f32 a[0:3], v2, v4, a[0:3]
	s_movk_i32 s4, 0xff
	v_and_b32_sdwa v3, v9, s4 dst_sel:DWORD dst_unused:UNUSED_PAD src0_sel:WORD_1 src1_sel:DWORD
	s_movk_i32 s4, 0x7f
	v_cmp_lt_i16_e32 vcc, s4, v3
	s_mov_b64 s[4:5], 0
                                        ; implicit-def: $sgpr10
	s_and_saveexec_b64 s[6:7], vcc
	s_xor_b64 s[6:7], exec, s[6:7]
	s_cbranch_execnz .LBB23_2289
; %bb.241:
	s_or_saveexec_b64 s[6:7], s[6:7]
	v_mov_b32_e32 v2, s10
	s_xor_b64 exec, exec, s[6:7]
	s_cbranch_execnz .LBB23_2292
.LBB23_242:
	s_or_b64 exec, exec, s[6:7]
	s_and_saveexec_b64 s[6:7], s[4:5]
	s_cbranch_execz .LBB23_244
.LBB23_243:
	v_bfe_u32 v2, v9, 16, 3
	v_ffbh_u32_e32 v6, v2
	v_min_u32_e32 v6, 32, v6
	v_lshrrev_b32_e32 v3, 19, v9
	v_subrev_u32_e32 v7, 28, v6
	v_and_b32_e32 v3, 15, v3
	v_lshlrev_b32_sdwa v7, v7, v9 dst_sel:DWORD dst_unused:UNUSED_PAD src0_sel:DWORD src1_sel:WORD_1
	v_bfe_u32 v4, v9, 19, 4
	v_sub_u32_e32 v6, 29, v6
	v_and_b32_e32 v7, 7, v7
	v_cmp_eq_u16_e32 vcc, 0, v3
	v_cndmask_b32_e32 v2, v2, v7, vcc
	v_cndmask_b32_e32 v3, v4, v6, vcc
	v_lshlrev_b32_e32 v4, 8, v9
	v_mov_b32_e32 v6, 0x3b800000
	v_lshlrev_b32_e32 v2, 20, v2
	v_and_b32_e32 v4, 0x80000000, v4
	v_lshl_add_u32 v3, v3, 23, v6
	v_or3_b32 v2, v4, v3, v2
.LBB23_244:
	s_or_b64 exec, exec, s[6:7]
	s_movk_i32 s4, 0xff
	v_and_b32_sdwa v3, v5, s4 dst_sel:DWORD dst_unused:UNUSED_PAD src0_sel:WORD_1 src1_sel:DWORD
	s_movk_i32 s4, 0x7f
	v_cmp_lt_i16_e32 vcc, s4, v3
	s_mov_b64 s[4:5], 0
                                        ; implicit-def: $sgpr10
	s_and_saveexec_b64 s[6:7], vcc
	s_xor_b64 s[6:7], exec, s[6:7]
	s_cbranch_execnz .LBB23_2293
; %bb.245:
	s_or_saveexec_b64 s[6:7], s[6:7]
	v_mov_b32_e32 v4, s10
	s_xor_b64 exec, exec, s[6:7]
	s_cbranch_execnz .LBB23_2296
.LBB23_246:
	s_or_b64 exec, exec, s[6:7]
	s_and_saveexec_b64 s[6:7], s[4:5]
	s_cbranch_execz .LBB23_248
.LBB23_247:
	v_bfe_u32 v3, v5, 16, 3
	v_ffbh_u32_e32 v7, v3
	v_min_u32_e32 v7, 32, v7
	v_lshrrev_b32_e32 v4, 19, v5
	v_subrev_u32_e32 v8, 28, v7
	v_and_b32_e32 v4, 15, v4
	v_lshlrev_b32_sdwa v8, v8, v5 dst_sel:DWORD dst_unused:UNUSED_PAD src0_sel:DWORD src1_sel:WORD_1
	v_bfe_u32 v6, v5, 19, 4
	v_sub_u32_e32 v7, 29, v7
	v_and_b32_e32 v8, 7, v8
	v_cmp_eq_u16_e32 vcc, 0, v4
	v_cndmask_b32_e32 v3, v3, v8, vcc
	v_cndmask_b32_e32 v4, v6, v7, vcc
	v_lshlrev_b32_e32 v6, 8, v5
	v_mov_b32_e32 v7, 0x3b800000
	v_lshlrev_b32_e32 v3, 20, v3
	v_and_b32_e32 v6, 0x80000000, v6
	v_lshl_add_u32 v4, v4, 23, v7
	v_or3_b32 v4, v6, v4, v3
.LBB23_248:
	s_or_b64 exec, exec, s[6:7]
	s_nop 0
	v_mfma_f32_16x16x4f32 a[0:3], v2, v4, a[0:3]
	s_movk_i32 s4, 0x7f
	v_cmp_gt_i16_sdwa s[6:7], v9, s4 src0_sel:BYTE_3 src1_sel:DWORD
	s_mov_b64 s[4:5], 0
                                        ; implicit-def: $sgpr10
	s_and_saveexec_b64 s[8:9], s[6:7]
	s_xor_b64 s[6:7], exec, s[8:9]
	s_cbranch_execnz .LBB23_2297
; %bb.249:
	s_or_saveexec_b64 s[6:7], s[6:7]
	v_mov_b32_e32 v2, s10
	s_xor_b64 exec, exec, s[6:7]
	s_cbranch_execnz .LBB23_2300
.LBB23_250:
	s_or_b64 exec, exec, s[6:7]
	s_and_saveexec_b64 s[6:7], s[4:5]
	s_cbranch_execz .LBB23_252
.LBB23_251:
	v_bfe_u32 v2, v9, 24, 3
	v_ffbh_u32_e32 v7, v2
	v_min_u32_e32 v7, 32, v7
	v_lshrrev_b32_e32 v4, 27, v9
	v_subrev_u32_e32 v8, 28, v7
	v_and_b32_e32 v4, 15, v4
	v_lshlrev_b32_sdwa v8, v8, v9 dst_sel:DWORD dst_unused:UNUSED_PAD src0_sel:DWORD src1_sel:BYTE_3
	v_bfe_u32 v6, v9, 27, 4
	v_sub_u32_e32 v7, 29, v7
	v_and_b32_e32 v8, 7, v8
	v_cmp_eq_u16_e32 vcc, 0, v4
	v_cndmask_b32_e32 v2, v2, v8, vcc
	v_cndmask_b32_e32 v4, v6, v7, vcc
	v_mov_b32_e32 v6, 0x3b800000
	v_and_b32_e32 v3, 0x80000000, v9
	v_lshlrev_b32_e32 v2, 20, v2
	v_lshl_add_u32 v4, v4, 23, v6
	v_or3_b32 v2, v3, v4, v2
.LBB23_252:
	s_or_b64 exec, exec, s[6:7]
	s_movk_i32 s4, 0x7f
	v_cmp_gt_i16_sdwa s[6:7], v5, s4 src0_sel:BYTE_3 src1_sel:DWORD
	s_mov_b64 s[4:5], 0
                                        ; implicit-def: $sgpr10
	s_and_saveexec_b64 s[8:9], s[6:7]
	s_xor_b64 s[6:7], exec, s[8:9]
	s_cbranch_execnz .LBB23_2301
; %bb.253:
	s_or_saveexec_b64 s[6:7], s[6:7]
	v_mov_b32_e32 v3, s10
	s_xor_b64 exec, exec, s[6:7]
	s_cbranch_execnz .LBB23_2304
.LBB23_254:
	s_or_b64 exec, exec, s[6:7]
	s_and_saveexec_b64 s[6:7], s[4:5]
	s_cbranch_execz .LBB23_256
.LBB23_255:
	v_bfe_u32 v3, v5, 24, 3
	v_ffbh_u32_e32 v8, v3
	v_min_u32_e32 v8, 32, v8
	v_lshrrev_b32_e32 v6, 27, v5
	v_subrev_u32_e32 v9, 28, v8
	v_and_b32_e32 v4, 0x80000000, v5
	v_and_b32_e32 v6, 15, v6
	v_bfe_u32 v7, v5, 27, 4
	v_lshlrev_b32_sdwa v5, v9, v5 dst_sel:DWORD dst_unused:UNUSED_PAD src0_sel:DWORD src1_sel:BYTE_3
	v_sub_u32_e32 v8, 29, v8
	v_and_b32_e32 v5, 7, v5
	v_cmp_eq_u16_e32 vcc, 0, v6
	v_cndmask_b32_e32 v3, v3, v5, vcc
	v_cndmask_b32_e32 v5, v7, v8, vcc
	v_mov_b32_e32 v6, 0x3b800000
	v_lshlrev_b32_e32 v3, 20, v3
	v_lshl_add_u32 v5, v5, 23, v6
	v_or3_b32 v3, v4, v5, v3
.LBB23_256:
	s_or_b64 exec, exec, s[6:7]
	s_nop 0
	v_mfma_f32_16x16x4f32 a[0:3], v2, v3, a[0:3]
	s_movk_i32 s4, 0x7f
                                        ; implicit-def: $sgpr10
	s_nop 7
	s_nop 1
	flat_store_dwordx4 v[18:19], a[0:3] offset:640
	flat_load_dwordx4 v[20:23], v[0:1] offset:8
	s_nop 0
	flat_load_dwordx2 v[18:19], v[0:1] offset:24
	s_waitcnt vmcnt(0) lgkmcnt(0)
	flat_load_dwordx4 v[14:17], v[20:21] offset:32
	flat_load_dwordx4 v[10:13], v[22:23] offset:32
	flat_load_dwordx4 v[6:9], v[20:21] offset:48
	flat_load_dwordx4 v[2:5], v[22:23] offset:48
	s_waitcnt vmcnt(0) lgkmcnt(0)
	v_cmp_gt_i16_sdwa s[6:7], v14, s4 src0_sel:BYTE_0 src1_sel:DWORD
	s_mov_b64 s[4:5], 0
	s_and_saveexec_b64 s[8:9], s[6:7]
	s_xor_b64 s[6:7], exec, s[8:9]
	s_cbranch_execnz .LBB23_2305
; %bb.257:
	s_or_saveexec_b64 s[6:7], s[6:7]
	v_mov_b32_e32 v20, s10
	s_xor_b64 exec, exec, s[6:7]
	s_cbranch_execnz .LBB23_2308
.LBB23_258:
	s_or_b64 exec, exec, s[6:7]
	s_and_saveexec_b64 s[6:7], s[4:5]
	s_cbranch_execz .LBB23_260
.LBB23_259:
	v_and_b32_e32 v20, 7, v14
	v_ffbh_u32_e32 v22, v20
	v_min_u32_e32 v22, 32, v22
	v_lshrrev_b16_e32 v21, 3, v14
	v_subrev_u32_e32 v23, 28, v22
	v_and_b32_e32 v21, 15, v21
	v_lshlrev_b32_e32 v23, v23, v14
	v_sub_u32_e32 v22, 29, v22
	v_and_b32_e32 v23, 7, v23
	v_cmp_eq_u16_e32 vcc, 0, v21
	v_cndmask_b32_e32 v20, v20, v23, vcc
	v_cndmask_b32_e32 v21, v21, v22, vcc
	v_lshlrev_b32_e32 v22, 24, v14
	v_mov_b32_e32 v23, 0x3b800000
	v_lshlrev_b32_e32 v20, 20, v20
	v_and_b32_e32 v22, 0x80000000, v22
	v_lshl_add_u32 v21, v21, 23, v23
	v_or3_b32 v20, v22, v21, v20
.LBB23_260:
	s_or_b64 exec, exec, s[6:7]
	s_movk_i32 s4, 0x7f
	v_cmp_gt_i16_sdwa s[6:7], v10, s4 src0_sel:BYTE_0 src1_sel:DWORD
	s_mov_b64 s[4:5], 0
                                        ; implicit-def: $sgpr10
	s_and_saveexec_b64 s[8:9], s[6:7]
	s_xor_b64 s[6:7], exec, s[8:9]
	s_cbranch_execnz .LBB23_2309
; %bb.261:
	s_or_saveexec_b64 s[6:7], s[6:7]
	v_mov_b32_e32 v21, s10
	s_xor_b64 exec, exec, s[6:7]
	s_cbranch_execnz .LBB23_2312
.LBB23_262:
	s_or_b64 exec, exec, s[6:7]
	s_and_saveexec_b64 s[6:7], s[4:5]
	s_cbranch_execz .LBB23_264
.LBB23_263:
	v_and_b32_e32 v21, 7, v10
	v_ffbh_u32_e32 v23, v21
	v_min_u32_e32 v23, 32, v23
	v_lshrrev_b16_e32 v22, 3, v10
	v_subrev_u32_e32 v24, 28, v23
	v_and_b32_e32 v22, 15, v22
	v_lshlrev_b32_e32 v24, v24, v10
	v_sub_u32_e32 v23, 29, v23
	v_and_b32_e32 v24, 7, v24
	v_cmp_eq_u16_e32 vcc, 0, v22
	v_cndmask_b32_e32 v21, v21, v24, vcc
	v_cndmask_b32_e32 v22, v22, v23, vcc
	v_lshlrev_b32_e32 v23, 24, v10
	v_mov_b32_e32 v24, 0x3b800000
	v_lshlrev_b32_e32 v21, 20, v21
	v_and_b32_e32 v23, 0x80000000, v23
	v_lshl_add_u32 v22, v22, 23, v24
	v_or3_b32 v21, v23, v22, v21
.LBB23_264:
	s_or_b64 exec, exec, s[6:7]
	flat_load_dwordx4 a[0:3], v[18:19] offset:656
	s_movk_i32 s4, 0x7f
                                        ; implicit-def: $sgpr10
	s_waitcnt vmcnt(0) lgkmcnt(0)
	v_mfma_f32_16x16x4f32 a[0:3], v20, v21, a[0:3]
	v_lshrrev_b32_e32 v21, 8, v14
	v_cmp_gt_i16_sdwa s[6:7], v21, s4 src0_sel:BYTE_0 src1_sel:DWORD
	s_mov_b64 s[4:5], 0
	s_and_saveexec_b64 s[8:9], s[6:7]
	s_xor_b64 s[6:7], exec, s[8:9]
	s_cbranch_execnz .LBB23_2313
; %bb.265:
	s_or_saveexec_b64 s[6:7], s[6:7]
	v_mov_b32_e32 v20, s10
	s_xor_b64 exec, exec, s[6:7]
	s_cbranch_execnz .LBB23_2316
.LBB23_266:
	s_or_b64 exec, exec, s[6:7]
	s_and_saveexec_b64 s[6:7], s[4:5]
	s_cbranch_execz .LBB23_268
.LBB23_267:
	v_bfe_u32 v20, v14, 8, 3
	v_ffbh_u32_e32 v23, v20
	v_min_u32_e32 v23, 32, v23
	v_lshrrev_b16_e32 v22, 3, v21
	v_subrev_u32_e32 v24, 28, v23
	v_and_b32_e32 v22, 15, v22
	v_lshlrev_b32_e32 v21, v24, v21
	v_sub_u32_e32 v23, 29, v23
	v_and_b32_e32 v21, 7, v21
	v_cmp_eq_u16_e32 vcc, 0, v22
	v_cndmask_b32_e32 v20, v20, v21, vcc
	v_cndmask_b32_e32 v21, v22, v23, vcc
	v_lshlrev_b32_e32 v22, 16, v14
	v_mov_b32_e32 v23, 0x3b800000
	v_lshlrev_b32_e32 v20, 20, v20
	v_and_b32_e32 v22, 0x80000000, v22
	v_lshl_add_u32 v21, v21, 23, v23
	v_or3_b32 v20, v22, v21, v20
.LBB23_268:
	s_or_b64 exec, exec, s[6:7]
	v_lshrrev_b32_e32 v21, 8, v10
	s_movk_i32 s4, 0x7f
	v_cmp_gt_i16_sdwa s[6:7], v21, s4 src0_sel:BYTE_0 src1_sel:DWORD
	s_mov_b64 s[4:5], 0
                                        ; implicit-def: $sgpr10
	s_and_saveexec_b64 s[8:9], s[6:7]
	s_xor_b64 s[6:7], exec, s[8:9]
	s_cbranch_execnz .LBB23_2317
; %bb.269:
	s_or_saveexec_b64 s[6:7], s[6:7]
	v_mov_b32_e32 v22, s10
	s_xor_b64 exec, exec, s[6:7]
	s_cbranch_execnz .LBB23_2320
.LBB23_270:
	s_or_b64 exec, exec, s[6:7]
	s_and_saveexec_b64 s[6:7], s[4:5]
	s_cbranch_execz .LBB23_272
.LBB23_271:
	v_bfe_u32 v22, v10, 8, 3
	v_ffbh_u32_e32 v24, v22
	v_min_u32_e32 v24, 32, v24
	v_lshrrev_b16_e32 v23, 3, v21
	v_subrev_u32_e32 v25, 28, v24
	v_and_b32_e32 v23, 15, v23
	v_lshlrev_b32_e32 v21, v25, v21
	v_sub_u32_e32 v24, 29, v24
	v_and_b32_e32 v21, 7, v21
	v_cmp_eq_u16_e32 vcc, 0, v23
	v_cndmask_b32_e32 v21, v22, v21, vcc
	v_cndmask_b32_e32 v22, v23, v24, vcc
	v_lshlrev_b32_e32 v23, 16, v10
	v_mov_b32_e32 v24, 0x3b800000
	v_lshlrev_b32_e32 v21, 20, v21
	v_and_b32_e32 v23, 0x80000000, v23
	v_lshl_add_u32 v22, v22, 23, v24
	v_or3_b32 v22, v23, v22, v21
.LBB23_272:
	s_or_b64 exec, exec, s[6:7]
	s_nop 0
	v_mfma_f32_16x16x4f32 a[0:3], v20, v22, a[0:3]
	s_movk_i32 s4, 0xff
	v_and_b32_sdwa v21, v14, s4 dst_sel:DWORD dst_unused:UNUSED_PAD src0_sel:WORD_1 src1_sel:DWORD
	s_movk_i32 s4, 0x7f
	v_cmp_lt_i16_e32 vcc, s4, v21
	s_mov_b64 s[4:5], 0
                                        ; implicit-def: $sgpr10
	s_and_saveexec_b64 s[6:7], vcc
	s_xor_b64 s[6:7], exec, s[6:7]
	s_cbranch_execnz .LBB23_2321
; %bb.273:
	s_or_saveexec_b64 s[6:7], s[6:7]
	v_mov_b32_e32 v20, s10
	s_xor_b64 exec, exec, s[6:7]
	s_cbranch_execnz .LBB23_2324
.LBB23_274:
	s_or_b64 exec, exec, s[6:7]
	s_and_saveexec_b64 s[6:7], s[4:5]
	s_cbranch_execz .LBB23_276
.LBB23_275:
	v_bfe_u32 v20, v14, 16, 3
	v_ffbh_u32_e32 v23, v20
	v_min_u32_e32 v23, 32, v23
	v_lshrrev_b32_e32 v21, 19, v14
	v_subrev_u32_e32 v24, 28, v23
	v_and_b32_e32 v21, 15, v21
	v_lshlrev_b32_sdwa v24, v24, v14 dst_sel:DWORD dst_unused:UNUSED_PAD src0_sel:DWORD src1_sel:WORD_1
	v_bfe_u32 v22, v14, 19, 4
	v_sub_u32_e32 v23, 29, v23
	v_and_b32_e32 v24, 7, v24
	v_cmp_eq_u16_e32 vcc, 0, v21
	v_cndmask_b32_e32 v20, v20, v24, vcc
	v_cndmask_b32_e32 v21, v22, v23, vcc
	v_lshlrev_b32_e32 v22, 8, v14
	v_mov_b32_e32 v23, 0x3b800000
	v_lshlrev_b32_e32 v20, 20, v20
	v_and_b32_e32 v22, 0x80000000, v22
	v_lshl_add_u32 v21, v21, 23, v23
	v_or3_b32 v20, v22, v21, v20
.LBB23_276:
	s_or_b64 exec, exec, s[6:7]
	s_movk_i32 s4, 0xff
	v_and_b32_sdwa v21, v10, s4 dst_sel:DWORD dst_unused:UNUSED_PAD src0_sel:WORD_1 src1_sel:DWORD
	s_movk_i32 s4, 0x7f
	v_cmp_lt_i16_e32 vcc, s4, v21
	s_mov_b64 s[4:5], 0
                                        ; implicit-def: $sgpr10
	s_and_saveexec_b64 s[6:7], vcc
	s_xor_b64 s[6:7], exec, s[6:7]
	s_cbranch_execnz .LBB23_2325
; %bb.277:
	s_or_saveexec_b64 s[6:7], s[6:7]
	v_mov_b32_e32 v22, s10
	s_xor_b64 exec, exec, s[6:7]
	s_cbranch_execnz .LBB23_2328
.LBB23_278:
	s_or_b64 exec, exec, s[6:7]
	s_and_saveexec_b64 s[6:7], s[4:5]
	s_cbranch_execz .LBB23_280
.LBB23_279:
	v_bfe_u32 v21, v10, 16, 3
	v_ffbh_u32_e32 v24, v21
	v_min_u32_e32 v24, 32, v24
	v_lshrrev_b32_e32 v22, 19, v10
	v_subrev_u32_e32 v25, 28, v24
	v_and_b32_e32 v22, 15, v22
	v_lshlrev_b32_sdwa v25, v25, v10 dst_sel:DWORD dst_unused:UNUSED_PAD src0_sel:DWORD src1_sel:WORD_1
	v_bfe_u32 v23, v10, 19, 4
	v_sub_u32_e32 v24, 29, v24
	v_and_b32_e32 v25, 7, v25
	v_cmp_eq_u16_e32 vcc, 0, v22
	v_cndmask_b32_e32 v21, v21, v25, vcc
	v_cndmask_b32_e32 v22, v23, v24, vcc
	v_lshlrev_b32_e32 v23, 8, v10
	v_mov_b32_e32 v24, 0x3b800000
	v_lshlrev_b32_e32 v21, 20, v21
	v_and_b32_e32 v23, 0x80000000, v23
	v_lshl_add_u32 v22, v22, 23, v24
	v_or3_b32 v22, v23, v22, v21
.LBB23_280:
	s_or_b64 exec, exec, s[6:7]
	s_nop 0
	v_mfma_f32_16x16x4f32 a[0:3], v20, v22, a[0:3]
	s_movk_i32 s4, 0x7f
	v_cmp_gt_i16_sdwa s[6:7], v14, s4 src0_sel:BYTE_3 src1_sel:DWORD
	s_mov_b64 s[4:5], 0
                                        ; implicit-def: $sgpr10
	s_and_saveexec_b64 s[8:9], s[6:7]
	s_xor_b64 s[6:7], exec, s[8:9]
	s_cbranch_execnz .LBB23_2329
; %bb.281:
	s_or_saveexec_b64 s[6:7], s[6:7]
	v_mov_b32_e32 v20, s10
	s_xor_b64 exec, exec, s[6:7]
	s_cbranch_execnz .LBB23_2332
.LBB23_282:
	s_or_b64 exec, exec, s[6:7]
	s_and_saveexec_b64 s[6:7], s[4:5]
	s_cbranch_execz .LBB23_284
.LBB23_283:
	v_bfe_u32 v20, v14, 24, 3
	v_ffbh_u32_e32 v24, v20
	v_min_u32_e32 v24, 32, v24
	v_lshrrev_b32_e32 v22, 27, v14
	v_subrev_u32_e32 v25, 28, v24
	v_and_b32_e32 v21, 0x80000000, v14
	v_and_b32_e32 v22, 15, v22
	v_bfe_u32 v23, v14, 27, 4
	v_lshlrev_b32_sdwa v14, v25, v14 dst_sel:DWORD dst_unused:UNUSED_PAD src0_sel:DWORD src1_sel:BYTE_3
	v_sub_u32_e32 v24, 29, v24
	v_and_b32_e32 v14, 7, v14
	v_cmp_eq_u16_e32 vcc, 0, v22
	v_cndmask_b32_e32 v14, v20, v14, vcc
	v_cndmask_b32_e32 v20, v23, v24, vcc
	v_mov_b32_e32 v22, 0x3b800000
	v_lshlrev_b32_e32 v14, 20, v14
	v_lshl_add_u32 v20, v20, 23, v22
	v_or3_b32 v20, v21, v20, v14
.LBB23_284:
	s_or_b64 exec, exec, s[6:7]
	s_movk_i32 s4, 0x7f
	v_cmp_gt_i16_sdwa s[6:7], v10, s4 src0_sel:BYTE_3 src1_sel:DWORD
	s_mov_b64 s[4:5], 0
                                        ; implicit-def: $sgpr10
	s_and_saveexec_b64 s[8:9], s[6:7]
	s_xor_b64 s[6:7], exec, s[8:9]
	s_cbranch_execnz .LBB23_2333
; %bb.285:
	s_or_saveexec_b64 s[6:7], s[6:7]
	v_mov_b32_e32 v14, s10
	s_xor_b64 exec, exec, s[6:7]
	s_cbranch_execnz .LBB23_2336
.LBB23_286:
	s_or_b64 exec, exec, s[6:7]
	s_and_saveexec_b64 s[6:7], s[4:5]
	s_cbranch_execz .LBB23_288
.LBB23_287:
	v_bfe_u32 v14, v10, 24, 3
	v_ffbh_u32_e32 v24, v14
	v_min_u32_e32 v24, 32, v24
	v_lshrrev_b32_e32 v22, 27, v10
	v_subrev_u32_e32 v25, 28, v24
	v_and_b32_e32 v21, 0x80000000, v10
	v_and_b32_e32 v22, 15, v22
	v_bfe_u32 v23, v10, 27, 4
	v_lshlrev_b32_sdwa v10, v25, v10 dst_sel:DWORD dst_unused:UNUSED_PAD src0_sel:DWORD src1_sel:BYTE_3
	v_sub_u32_e32 v24, 29, v24
	v_and_b32_e32 v10, 7, v10
	v_cmp_eq_u16_e32 vcc, 0, v22
	v_cndmask_b32_e32 v10, v14, v10, vcc
	v_cndmask_b32_e32 v14, v23, v24, vcc
	v_mov_b32_e32 v22, 0x3b800000
	v_lshlrev_b32_e32 v10, 20, v10
	v_lshl_add_u32 v14, v14, 23, v22
	v_or3_b32 v14, v21, v14, v10
.LBB23_288:
	s_or_b64 exec, exec, s[6:7]
	s_nop 0
	v_mfma_f32_16x16x4f32 a[0:3], v20, v14, a[0:3]
	s_movk_i32 s4, 0x7f
	v_cmp_gt_i16_sdwa s[6:7], v15, s4 src0_sel:BYTE_0 src1_sel:DWORD
	s_mov_b64 s[4:5], 0
                                        ; implicit-def: $sgpr10
	s_and_saveexec_b64 s[8:9], s[6:7]
	s_xor_b64 s[6:7], exec, s[8:9]
	s_cbranch_execnz .LBB23_2337
; %bb.289:
	s_or_saveexec_b64 s[6:7], s[6:7]
	v_mov_b32_e32 v10, s10
	s_xor_b64 exec, exec, s[6:7]
	s_cbranch_execnz .LBB23_2340
.LBB23_290:
	s_or_b64 exec, exec, s[6:7]
	s_and_saveexec_b64 s[6:7], s[4:5]
	s_cbranch_execz .LBB23_292
.LBB23_291:
	v_and_b32_e32 v10, 7, v15
	v_ffbh_u32_e32 v20, v10
	v_min_u32_e32 v20, 32, v20
	v_lshrrev_b16_e32 v14, 3, v15
	v_subrev_u32_e32 v21, 28, v20
	v_and_b32_e32 v14, 15, v14
	v_lshlrev_b32_e32 v21, v21, v15
	v_sub_u32_e32 v20, 29, v20
	v_and_b32_e32 v21, 7, v21
	v_cmp_eq_u16_e32 vcc, 0, v14
	v_cndmask_b32_e32 v10, v10, v21, vcc
	v_cndmask_b32_e32 v14, v14, v20, vcc
	v_lshlrev_b32_e32 v20, 24, v15
	v_mov_b32_e32 v21, 0x3b800000
	v_lshlrev_b32_e32 v10, 20, v10
	v_and_b32_e32 v20, 0x80000000, v20
	v_lshl_add_u32 v14, v14, 23, v21
	v_or3_b32 v10, v20, v14, v10
.LBB23_292:
	s_or_b64 exec, exec, s[6:7]
	s_movk_i32 s4, 0x7f
	v_cmp_gt_i16_sdwa s[6:7], v11, s4 src0_sel:BYTE_0 src1_sel:DWORD
	s_mov_b64 s[4:5], 0
                                        ; implicit-def: $sgpr10
	s_and_saveexec_b64 s[8:9], s[6:7]
	s_xor_b64 s[6:7], exec, s[8:9]
	s_cbranch_execnz .LBB23_2341
; %bb.293:
	s_or_saveexec_b64 s[6:7], s[6:7]
	v_mov_b32_e32 v14, s10
	s_xor_b64 exec, exec, s[6:7]
	s_cbranch_execnz .LBB23_2344
.LBB23_294:
	s_or_b64 exec, exec, s[6:7]
	s_and_saveexec_b64 s[6:7], s[4:5]
	s_cbranch_execz .LBB23_296
.LBB23_295:
	v_and_b32_e32 v14, 7, v11
	v_ffbh_u32_e32 v21, v14
	v_min_u32_e32 v21, 32, v21
	v_lshrrev_b16_e32 v20, 3, v11
	v_subrev_u32_e32 v22, 28, v21
	v_and_b32_e32 v20, 15, v20
	v_lshlrev_b32_e32 v22, v22, v11
	v_sub_u32_e32 v21, 29, v21
	v_and_b32_e32 v22, 7, v22
	v_cmp_eq_u16_e32 vcc, 0, v20
	v_cndmask_b32_e32 v14, v14, v22, vcc
	v_cndmask_b32_e32 v20, v20, v21, vcc
	v_lshlrev_b32_e32 v21, 24, v11
	v_mov_b32_e32 v22, 0x3b800000
	v_lshlrev_b32_e32 v14, 20, v14
	v_and_b32_e32 v21, 0x80000000, v21
	v_lshl_add_u32 v20, v20, 23, v22
	v_or3_b32 v14, v21, v20, v14
.LBB23_296:
	s_or_b64 exec, exec, s[6:7]
	s_nop 0
	v_mfma_f32_16x16x4f32 a[0:3], v10, v14, a[0:3]
	v_lshrrev_b32_e32 v14, 8, v15
	s_movk_i32 s4, 0x7f
	v_cmp_gt_i16_sdwa s[6:7], v14, s4 src0_sel:BYTE_0 src1_sel:DWORD
	s_mov_b64 s[4:5], 0
                                        ; implicit-def: $sgpr10
	s_and_saveexec_b64 s[8:9], s[6:7]
	s_xor_b64 s[6:7], exec, s[8:9]
	s_cbranch_execnz .LBB23_2345
; %bb.297:
	s_or_saveexec_b64 s[6:7], s[6:7]
	v_mov_b32_e32 v10, s10
	s_xor_b64 exec, exec, s[6:7]
	s_cbranch_execnz .LBB23_2348
.LBB23_298:
	s_or_b64 exec, exec, s[6:7]
	s_and_saveexec_b64 s[6:7], s[4:5]
	s_cbranch_execz .LBB23_300
.LBB23_299:
	v_bfe_u32 v10, v15, 8, 3
	v_ffbh_u32_e32 v21, v10
	v_min_u32_e32 v21, 32, v21
	v_lshrrev_b16_e32 v20, 3, v14
	v_subrev_u32_e32 v22, 28, v21
	v_and_b32_e32 v20, 15, v20
	v_lshlrev_b32_e32 v14, v22, v14
	v_sub_u32_e32 v21, 29, v21
	v_and_b32_e32 v14, 7, v14
	v_cmp_eq_u16_e32 vcc, 0, v20
	v_cndmask_b32_e32 v10, v10, v14, vcc
	v_cndmask_b32_e32 v14, v20, v21, vcc
	v_lshlrev_b32_e32 v20, 16, v15
	v_mov_b32_e32 v21, 0x3b800000
	v_lshlrev_b32_e32 v10, 20, v10
	v_and_b32_e32 v20, 0x80000000, v20
	v_lshl_add_u32 v14, v14, 23, v21
	v_or3_b32 v10, v20, v14, v10
.LBB23_300:
	s_or_b64 exec, exec, s[6:7]
	v_lshrrev_b32_e32 v14, 8, v11
	s_movk_i32 s4, 0x7f
	v_cmp_gt_i16_sdwa s[6:7], v14, s4 src0_sel:BYTE_0 src1_sel:DWORD
	s_mov_b64 s[4:5], 0
                                        ; implicit-def: $sgpr10
	s_and_saveexec_b64 s[8:9], s[6:7]
	s_xor_b64 s[6:7], exec, s[8:9]
	s_cbranch_execnz .LBB23_2349
; %bb.301:
	s_or_saveexec_b64 s[6:7], s[6:7]
	v_mov_b32_e32 v20, s10
	s_xor_b64 exec, exec, s[6:7]
	s_cbranch_execnz .LBB23_2352
.LBB23_302:
	s_or_b64 exec, exec, s[6:7]
	s_and_saveexec_b64 s[6:7], s[4:5]
	s_cbranch_execz .LBB23_304
.LBB23_303:
	v_bfe_u32 v20, v11, 8, 3
	v_ffbh_u32_e32 v22, v20
	v_min_u32_e32 v22, 32, v22
	v_lshrrev_b16_e32 v21, 3, v14
	v_subrev_u32_e32 v23, 28, v22
	v_and_b32_e32 v21, 15, v21
	v_lshlrev_b32_e32 v14, v23, v14
	v_sub_u32_e32 v22, 29, v22
	v_and_b32_e32 v14, 7, v14
	v_cmp_eq_u16_e32 vcc, 0, v21
	v_cndmask_b32_e32 v14, v20, v14, vcc
	v_cndmask_b32_e32 v20, v21, v22, vcc
	v_lshlrev_b32_e32 v21, 16, v11
	v_mov_b32_e32 v22, 0x3b800000
	v_lshlrev_b32_e32 v14, 20, v14
	v_and_b32_e32 v21, 0x80000000, v21
	v_lshl_add_u32 v20, v20, 23, v22
	v_or3_b32 v20, v21, v20, v14
.LBB23_304:
	s_or_b64 exec, exec, s[6:7]
	s_nop 0
	v_mfma_f32_16x16x4f32 a[0:3], v10, v20, a[0:3]
	s_movk_i32 s4, 0xff
	v_and_b32_sdwa v14, v15, s4 dst_sel:DWORD dst_unused:UNUSED_PAD src0_sel:WORD_1 src1_sel:DWORD
	s_movk_i32 s4, 0x7f
	v_cmp_lt_i16_e32 vcc, s4, v14
	s_mov_b64 s[4:5], 0
                                        ; implicit-def: $sgpr10
	s_and_saveexec_b64 s[6:7], vcc
	s_xor_b64 s[6:7], exec, s[6:7]
	s_cbranch_execnz .LBB23_2353
; %bb.305:
	s_or_saveexec_b64 s[6:7], s[6:7]
	v_mov_b32_e32 v10, s10
	s_xor_b64 exec, exec, s[6:7]
	s_cbranch_execnz .LBB23_2356
.LBB23_306:
	s_or_b64 exec, exec, s[6:7]
	s_and_saveexec_b64 s[6:7], s[4:5]
	s_cbranch_execz .LBB23_308
.LBB23_307:
	v_bfe_u32 v10, v15, 16, 3
	v_ffbh_u32_e32 v21, v10
	v_min_u32_e32 v21, 32, v21
	v_lshrrev_b32_e32 v14, 19, v15
	v_subrev_u32_e32 v22, 28, v21
	v_and_b32_e32 v14, 15, v14
	v_lshlrev_b32_sdwa v22, v22, v15 dst_sel:DWORD dst_unused:UNUSED_PAD src0_sel:DWORD src1_sel:WORD_1
	v_bfe_u32 v20, v15, 19, 4
	v_sub_u32_e32 v21, 29, v21
	v_and_b32_e32 v22, 7, v22
	v_cmp_eq_u16_e32 vcc, 0, v14
	v_cndmask_b32_e32 v10, v10, v22, vcc
	v_cndmask_b32_e32 v14, v20, v21, vcc
	v_lshlrev_b32_e32 v20, 8, v15
	v_mov_b32_e32 v21, 0x3b800000
	v_lshlrev_b32_e32 v10, 20, v10
	v_and_b32_e32 v20, 0x80000000, v20
	v_lshl_add_u32 v14, v14, 23, v21
	v_or3_b32 v10, v20, v14, v10
.LBB23_308:
	s_or_b64 exec, exec, s[6:7]
	s_movk_i32 s4, 0xff
	v_and_b32_sdwa v14, v11, s4 dst_sel:DWORD dst_unused:UNUSED_PAD src0_sel:WORD_1 src1_sel:DWORD
	s_movk_i32 s4, 0x7f
	v_cmp_lt_i16_e32 vcc, s4, v14
	s_mov_b64 s[4:5], 0
                                        ; implicit-def: $sgpr10
	s_and_saveexec_b64 s[6:7], vcc
	s_xor_b64 s[6:7], exec, s[6:7]
	s_cbranch_execnz .LBB23_2357
; %bb.309:
	s_or_saveexec_b64 s[6:7], s[6:7]
	v_mov_b32_e32 v20, s10
	s_xor_b64 exec, exec, s[6:7]
	s_cbranch_execnz .LBB23_2360
.LBB23_310:
	s_or_b64 exec, exec, s[6:7]
	s_and_saveexec_b64 s[6:7], s[4:5]
	s_cbranch_execz .LBB23_312
.LBB23_311:
	v_bfe_u32 v14, v11, 16, 3
	v_ffbh_u32_e32 v22, v14
	v_min_u32_e32 v22, 32, v22
	v_lshrrev_b32_e32 v20, 19, v11
	v_subrev_u32_e32 v23, 28, v22
	v_and_b32_e32 v20, 15, v20
	v_lshlrev_b32_sdwa v23, v23, v11 dst_sel:DWORD dst_unused:UNUSED_PAD src0_sel:DWORD src1_sel:WORD_1
	v_bfe_u32 v21, v11, 19, 4
	v_sub_u32_e32 v22, 29, v22
	v_and_b32_e32 v23, 7, v23
	v_cmp_eq_u16_e32 vcc, 0, v20
	v_cndmask_b32_e32 v14, v14, v23, vcc
	v_cndmask_b32_e32 v20, v21, v22, vcc
	v_lshlrev_b32_e32 v21, 8, v11
	v_mov_b32_e32 v22, 0x3b800000
	v_lshlrev_b32_e32 v14, 20, v14
	v_and_b32_e32 v21, 0x80000000, v21
	v_lshl_add_u32 v20, v20, 23, v22
	v_or3_b32 v20, v21, v20, v14
.LBB23_312:
	s_or_b64 exec, exec, s[6:7]
	s_nop 0
	v_mfma_f32_16x16x4f32 a[0:3], v10, v20, a[0:3]
	s_movk_i32 s4, 0x7f
	v_cmp_gt_i16_sdwa s[6:7], v15, s4 src0_sel:BYTE_3 src1_sel:DWORD
	s_mov_b64 s[4:5], 0
                                        ; implicit-def: $sgpr10
	s_and_saveexec_b64 s[8:9], s[6:7]
	s_xor_b64 s[6:7], exec, s[8:9]
	s_cbranch_execnz .LBB23_2361
; %bb.313:
	s_or_saveexec_b64 s[6:7], s[6:7]
	v_mov_b32_e32 v10, s10
	s_xor_b64 exec, exec, s[6:7]
	s_cbranch_execnz .LBB23_2364
.LBB23_314:
	s_or_b64 exec, exec, s[6:7]
	s_and_saveexec_b64 s[6:7], s[4:5]
	s_cbranch_execz .LBB23_316
.LBB23_315:
	v_bfe_u32 v10, v15, 24, 3
	v_ffbh_u32_e32 v22, v10
	v_min_u32_e32 v22, 32, v22
	v_lshrrev_b32_e32 v20, 27, v15
	v_subrev_u32_e32 v23, 28, v22
	v_and_b32_e32 v14, 0x80000000, v15
	v_and_b32_e32 v20, 15, v20
	v_bfe_u32 v21, v15, 27, 4
	v_lshlrev_b32_sdwa v15, v23, v15 dst_sel:DWORD dst_unused:UNUSED_PAD src0_sel:DWORD src1_sel:BYTE_3
	v_sub_u32_e32 v22, 29, v22
	v_and_b32_e32 v15, 7, v15
	v_cmp_eq_u16_e32 vcc, 0, v20
	v_cndmask_b32_e32 v10, v10, v15, vcc
	v_cndmask_b32_e32 v15, v21, v22, vcc
	v_mov_b32_e32 v20, 0x3b800000
	v_lshlrev_b32_e32 v10, 20, v10
	v_lshl_add_u32 v15, v15, 23, v20
	v_or3_b32 v10, v14, v15, v10
.LBB23_316:
	s_or_b64 exec, exec, s[6:7]
	s_movk_i32 s4, 0x7f
	v_cmp_gt_i16_sdwa s[6:7], v11, s4 src0_sel:BYTE_3 src1_sel:DWORD
	s_mov_b64 s[4:5], 0
                                        ; implicit-def: $sgpr10
	s_and_saveexec_b64 s[8:9], s[6:7]
	s_xor_b64 s[6:7], exec, s[8:9]
	s_cbranch_execnz .LBB23_2365
; %bb.317:
	s_or_saveexec_b64 s[6:7], s[6:7]
	v_mov_b32_e32 v14, s10
	s_xor_b64 exec, exec, s[6:7]
	s_cbranch_execnz .LBB23_2368
.LBB23_318:
	s_or_b64 exec, exec, s[6:7]
	s_and_saveexec_b64 s[6:7], s[4:5]
	s_cbranch_execz .LBB23_320
.LBB23_319:
	v_bfe_u32 v14, v11, 24, 3
	v_ffbh_u32_e32 v22, v14
	v_min_u32_e32 v22, 32, v22
	v_lshrrev_b32_e32 v20, 27, v11
	v_subrev_u32_e32 v23, 28, v22
	v_and_b32_e32 v15, 0x80000000, v11
	v_and_b32_e32 v20, 15, v20
	v_bfe_u32 v21, v11, 27, 4
	v_lshlrev_b32_sdwa v11, v23, v11 dst_sel:DWORD dst_unused:UNUSED_PAD src0_sel:DWORD src1_sel:BYTE_3
	v_sub_u32_e32 v22, 29, v22
	v_and_b32_e32 v11, 7, v11
	v_cmp_eq_u16_e32 vcc, 0, v20
	v_cndmask_b32_e32 v11, v14, v11, vcc
	v_cndmask_b32_e32 v14, v21, v22, vcc
	v_mov_b32_e32 v20, 0x3b800000
	v_lshlrev_b32_e32 v11, 20, v11
	v_lshl_add_u32 v14, v14, 23, v20
	v_or3_b32 v14, v15, v14, v11
.LBB23_320:
	s_or_b64 exec, exec, s[6:7]
	s_nop 0
	v_mfma_f32_16x16x4f32 a[0:3], v10, v14, a[0:3]
	s_movk_i32 s4, 0x7f
	v_cmp_gt_i16_sdwa s[6:7], v16, s4 src0_sel:BYTE_0 src1_sel:DWORD
	s_mov_b64 s[4:5], 0
                                        ; implicit-def: $sgpr10
	s_and_saveexec_b64 s[8:9], s[6:7]
	s_xor_b64 s[6:7], exec, s[8:9]
	s_cbranch_execnz .LBB23_2369
; %bb.321:
	s_or_saveexec_b64 s[6:7], s[6:7]
	v_mov_b32_e32 v10, s10
	s_xor_b64 exec, exec, s[6:7]
	s_cbranch_execnz .LBB23_2372
.LBB23_322:
	s_or_b64 exec, exec, s[6:7]
	s_and_saveexec_b64 s[6:7], s[4:5]
	s_cbranch_execz .LBB23_324
.LBB23_323:
	v_and_b32_e32 v10, 7, v16
	v_ffbh_u32_e32 v14, v10
	v_min_u32_e32 v14, 32, v14
	v_lshrrev_b16_e32 v11, 3, v16
	v_subrev_u32_e32 v15, 28, v14
	v_and_b32_e32 v11, 15, v11
	v_lshlrev_b32_e32 v15, v15, v16
	v_sub_u32_e32 v14, 29, v14
	v_and_b32_e32 v15, 7, v15
	v_cmp_eq_u16_e32 vcc, 0, v11
	v_cndmask_b32_e32 v10, v10, v15, vcc
	v_cndmask_b32_e32 v11, v11, v14, vcc
	v_lshlrev_b32_e32 v14, 24, v16
	v_mov_b32_e32 v15, 0x3b800000
	v_lshlrev_b32_e32 v10, 20, v10
	v_and_b32_e32 v14, 0x80000000, v14
	v_lshl_add_u32 v11, v11, 23, v15
	v_or3_b32 v10, v14, v11, v10
.LBB23_324:
	s_or_b64 exec, exec, s[6:7]
	s_movk_i32 s4, 0x7f
	v_cmp_gt_i16_sdwa s[6:7], v12, s4 src0_sel:BYTE_0 src1_sel:DWORD
	s_mov_b64 s[4:5], 0
                                        ; implicit-def: $sgpr10
	s_and_saveexec_b64 s[8:9], s[6:7]
	s_xor_b64 s[6:7], exec, s[8:9]
	s_cbranch_execnz .LBB23_2373
; %bb.325:
	s_or_saveexec_b64 s[6:7], s[6:7]
	v_mov_b32_e32 v11, s10
	s_xor_b64 exec, exec, s[6:7]
	s_cbranch_execnz .LBB23_2376
.LBB23_326:
	s_or_b64 exec, exec, s[6:7]
	s_and_saveexec_b64 s[6:7], s[4:5]
	s_cbranch_execz .LBB23_328
.LBB23_327:
	v_and_b32_e32 v11, 7, v12
	v_ffbh_u32_e32 v15, v11
	v_min_u32_e32 v15, 32, v15
	v_lshrrev_b16_e32 v14, 3, v12
	v_subrev_u32_e32 v20, 28, v15
	v_and_b32_e32 v14, 15, v14
	v_lshlrev_b32_e32 v20, v20, v12
	v_sub_u32_e32 v15, 29, v15
	v_and_b32_e32 v20, 7, v20
	v_cmp_eq_u16_e32 vcc, 0, v14
	v_cndmask_b32_e32 v11, v11, v20, vcc
	v_cndmask_b32_e32 v14, v14, v15, vcc
	v_lshlrev_b32_e32 v15, 24, v12
	v_mov_b32_e32 v20, 0x3b800000
	v_lshlrev_b32_e32 v11, 20, v11
	v_and_b32_e32 v15, 0x80000000, v15
	v_lshl_add_u32 v14, v14, 23, v20
	v_or3_b32 v11, v15, v14, v11
.LBB23_328:
	s_or_b64 exec, exec, s[6:7]
	s_nop 0
	v_mfma_f32_16x16x4f32 a[0:3], v10, v11, a[0:3]
	v_lshrrev_b32_e32 v11, 8, v16
	s_movk_i32 s4, 0x7f
	v_cmp_gt_i16_sdwa s[6:7], v11, s4 src0_sel:BYTE_0 src1_sel:DWORD
	s_mov_b64 s[4:5], 0
                                        ; implicit-def: $sgpr10
	s_and_saveexec_b64 s[8:9], s[6:7]
	s_xor_b64 s[6:7], exec, s[8:9]
	s_cbranch_execnz .LBB23_2377
; %bb.329:
	s_or_saveexec_b64 s[6:7], s[6:7]
	v_mov_b32_e32 v10, s10
	s_xor_b64 exec, exec, s[6:7]
	s_cbranch_execnz .LBB23_2380
.LBB23_330:
	s_or_b64 exec, exec, s[6:7]
	s_and_saveexec_b64 s[6:7], s[4:5]
	s_cbranch_execz .LBB23_332
.LBB23_331:
	v_bfe_u32 v10, v16, 8, 3
	v_ffbh_u32_e32 v15, v10
	v_min_u32_e32 v15, 32, v15
	v_lshrrev_b16_e32 v14, 3, v11
	v_subrev_u32_e32 v20, 28, v15
	v_and_b32_e32 v14, 15, v14
	v_lshlrev_b32_e32 v11, v20, v11
	v_sub_u32_e32 v15, 29, v15
	v_and_b32_e32 v11, 7, v11
	v_cmp_eq_u16_e32 vcc, 0, v14
	v_cndmask_b32_e32 v10, v10, v11, vcc
	v_cndmask_b32_e32 v11, v14, v15, vcc
	v_lshlrev_b32_e32 v14, 16, v16
	v_mov_b32_e32 v15, 0x3b800000
	v_lshlrev_b32_e32 v10, 20, v10
	v_and_b32_e32 v14, 0x80000000, v14
	v_lshl_add_u32 v11, v11, 23, v15
	v_or3_b32 v10, v14, v11, v10
.LBB23_332:
	s_or_b64 exec, exec, s[6:7]
	v_lshrrev_b32_e32 v11, 8, v12
	s_movk_i32 s4, 0x7f
	v_cmp_gt_i16_sdwa s[6:7], v11, s4 src0_sel:BYTE_0 src1_sel:DWORD
	s_mov_b64 s[4:5], 0
                                        ; implicit-def: $sgpr10
	s_and_saveexec_b64 s[8:9], s[6:7]
	s_xor_b64 s[6:7], exec, s[8:9]
	s_cbranch_execnz .LBB23_2381
; %bb.333:
	s_or_saveexec_b64 s[6:7], s[6:7]
	v_mov_b32_e32 v14, s10
	s_xor_b64 exec, exec, s[6:7]
	s_cbranch_execnz .LBB23_2384
.LBB23_334:
	s_or_b64 exec, exec, s[6:7]
	s_and_saveexec_b64 s[6:7], s[4:5]
	s_cbranch_execz .LBB23_336
.LBB23_335:
	v_bfe_u32 v14, v12, 8, 3
	v_ffbh_u32_e32 v20, v14
	v_min_u32_e32 v20, 32, v20
	v_lshrrev_b16_e32 v15, 3, v11
	v_subrev_u32_e32 v21, 28, v20
	v_and_b32_e32 v15, 15, v15
	v_lshlrev_b32_e32 v11, v21, v11
	v_sub_u32_e32 v20, 29, v20
	v_and_b32_e32 v11, 7, v11
	v_cmp_eq_u16_e32 vcc, 0, v15
	v_cndmask_b32_e32 v11, v14, v11, vcc
	v_cndmask_b32_e32 v14, v15, v20, vcc
	v_lshlrev_b32_e32 v15, 16, v12
	v_mov_b32_e32 v20, 0x3b800000
	v_lshlrev_b32_e32 v11, 20, v11
	v_and_b32_e32 v15, 0x80000000, v15
	v_lshl_add_u32 v14, v14, 23, v20
	v_or3_b32 v14, v15, v14, v11
.LBB23_336:
	s_or_b64 exec, exec, s[6:7]
	s_nop 0
	v_mfma_f32_16x16x4f32 a[0:3], v10, v14, a[0:3]
	s_movk_i32 s4, 0xff
	v_and_b32_sdwa v11, v16, s4 dst_sel:DWORD dst_unused:UNUSED_PAD src0_sel:WORD_1 src1_sel:DWORD
	s_movk_i32 s4, 0x7f
	v_cmp_lt_i16_e32 vcc, s4, v11
	s_mov_b64 s[4:5], 0
                                        ; implicit-def: $sgpr10
	s_and_saveexec_b64 s[6:7], vcc
	s_xor_b64 s[6:7], exec, s[6:7]
	s_cbranch_execnz .LBB23_2385
; %bb.337:
	s_or_saveexec_b64 s[6:7], s[6:7]
	v_mov_b32_e32 v10, s10
	s_xor_b64 exec, exec, s[6:7]
	s_cbranch_execnz .LBB23_2388
.LBB23_338:
	s_or_b64 exec, exec, s[6:7]
	s_and_saveexec_b64 s[6:7], s[4:5]
	s_cbranch_execz .LBB23_340
.LBB23_339:
	v_bfe_u32 v10, v16, 16, 3
	v_ffbh_u32_e32 v15, v10
	v_min_u32_e32 v15, 32, v15
	v_lshrrev_b32_e32 v11, 19, v16
	v_subrev_u32_e32 v20, 28, v15
	v_and_b32_e32 v11, 15, v11
	v_lshlrev_b32_sdwa v20, v20, v16 dst_sel:DWORD dst_unused:UNUSED_PAD src0_sel:DWORD src1_sel:WORD_1
	v_bfe_u32 v14, v16, 19, 4
	v_sub_u32_e32 v15, 29, v15
	v_and_b32_e32 v20, 7, v20
	v_cmp_eq_u16_e32 vcc, 0, v11
	v_cndmask_b32_e32 v10, v10, v20, vcc
	v_cndmask_b32_e32 v11, v14, v15, vcc
	v_lshlrev_b32_e32 v14, 8, v16
	v_mov_b32_e32 v15, 0x3b800000
	v_lshlrev_b32_e32 v10, 20, v10
	v_and_b32_e32 v14, 0x80000000, v14
	v_lshl_add_u32 v11, v11, 23, v15
	v_or3_b32 v10, v14, v11, v10
.LBB23_340:
	s_or_b64 exec, exec, s[6:7]
	s_movk_i32 s4, 0xff
	v_and_b32_sdwa v11, v12, s4 dst_sel:DWORD dst_unused:UNUSED_PAD src0_sel:WORD_1 src1_sel:DWORD
	s_movk_i32 s4, 0x7f
	v_cmp_lt_i16_e32 vcc, s4, v11
	s_mov_b64 s[4:5], 0
                                        ; implicit-def: $sgpr10
	s_and_saveexec_b64 s[6:7], vcc
	s_xor_b64 s[6:7], exec, s[6:7]
	s_cbranch_execnz .LBB23_2389
; %bb.341:
	s_or_saveexec_b64 s[6:7], s[6:7]
	v_mov_b32_e32 v14, s10
	s_xor_b64 exec, exec, s[6:7]
	s_cbranch_execnz .LBB23_2392
.LBB23_342:
	s_or_b64 exec, exec, s[6:7]
	s_and_saveexec_b64 s[6:7], s[4:5]
	s_cbranch_execz .LBB23_344
.LBB23_343:
	v_bfe_u32 v11, v12, 16, 3
	v_ffbh_u32_e32 v20, v11
	v_min_u32_e32 v20, 32, v20
	v_lshrrev_b32_e32 v14, 19, v12
	v_subrev_u32_e32 v21, 28, v20
	v_and_b32_e32 v14, 15, v14
	v_lshlrev_b32_sdwa v21, v21, v12 dst_sel:DWORD dst_unused:UNUSED_PAD src0_sel:DWORD src1_sel:WORD_1
	v_bfe_u32 v15, v12, 19, 4
	v_sub_u32_e32 v20, 29, v20
	v_and_b32_e32 v21, 7, v21
	v_cmp_eq_u16_e32 vcc, 0, v14
	v_cndmask_b32_e32 v11, v11, v21, vcc
	v_cndmask_b32_e32 v14, v15, v20, vcc
	v_lshlrev_b32_e32 v15, 8, v12
	v_mov_b32_e32 v20, 0x3b800000
	v_lshlrev_b32_e32 v11, 20, v11
	v_and_b32_e32 v15, 0x80000000, v15
	v_lshl_add_u32 v14, v14, 23, v20
	v_or3_b32 v14, v15, v14, v11
.LBB23_344:
	s_or_b64 exec, exec, s[6:7]
	s_nop 0
	v_mfma_f32_16x16x4f32 a[0:3], v10, v14, a[0:3]
	s_movk_i32 s4, 0x7f
	v_cmp_gt_i16_sdwa s[6:7], v16, s4 src0_sel:BYTE_3 src1_sel:DWORD
	s_mov_b64 s[4:5], 0
                                        ; implicit-def: $sgpr10
	s_and_saveexec_b64 s[8:9], s[6:7]
	s_xor_b64 s[6:7], exec, s[8:9]
	s_cbranch_execnz .LBB23_2393
; %bb.345:
	s_or_saveexec_b64 s[6:7], s[6:7]
	v_mov_b32_e32 v10, s10
	s_xor_b64 exec, exec, s[6:7]
	s_cbranch_execnz .LBB23_2396
.LBB23_346:
	s_or_b64 exec, exec, s[6:7]
	s_and_saveexec_b64 s[6:7], s[4:5]
	s_cbranch_execz .LBB23_348
.LBB23_347:
	v_bfe_u32 v10, v16, 24, 3
	v_ffbh_u32_e32 v20, v10
	v_min_u32_e32 v20, 32, v20
	v_lshrrev_b32_e32 v14, 27, v16
	v_subrev_u32_e32 v21, 28, v20
	v_and_b32_e32 v11, 0x80000000, v16
	v_and_b32_e32 v14, 15, v14
	v_bfe_u32 v15, v16, 27, 4
	v_lshlrev_b32_sdwa v16, v21, v16 dst_sel:DWORD dst_unused:UNUSED_PAD src0_sel:DWORD src1_sel:BYTE_3
	v_sub_u32_e32 v20, 29, v20
	v_and_b32_e32 v16, 7, v16
	v_cmp_eq_u16_e32 vcc, 0, v14
	v_cndmask_b32_e32 v10, v10, v16, vcc
	v_cndmask_b32_e32 v14, v15, v20, vcc
	v_mov_b32_e32 v15, 0x3b800000
	v_lshlrev_b32_e32 v10, 20, v10
	v_lshl_add_u32 v14, v14, 23, v15
	v_or3_b32 v10, v11, v14, v10
.LBB23_348:
	s_or_b64 exec, exec, s[6:7]
	s_movk_i32 s4, 0x7f
	v_cmp_gt_i16_sdwa s[6:7], v12, s4 src0_sel:BYTE_3 src1_sel:DWORD
	s_mov_b64 s[4:5], 0
                                        ; implicit-def: $sgpr10
	s_and_saveexec_b64 s[8:9], s[6:7]
	s_xor_b64 s[6:7], exec, s[8:9]
	s_cbranch_execnz .LBB23_2397
; %bb.349:
	s_or_saveexec_b64 s[6:7], s[6:7]
	v_mov_b32_e32 v11, s10
	s_xor_b64 exec, exec, s[6:7]
	s_cbranch_execnz .LBB23_2400
.LBB23_350:
	s_or_b64 exec, exec, s[6:7]
	s_and_saveexec_b64 s[6:7], s[4:5]
	s_cbranch_execz .LBB23_352
.LBB23_351:
	v_bfe_u32 v11, v12, 24, 3
	v_ffbh_u32_e32 v20, v11
	v_min_u32_e32 v20, 32, v20
	v_lshrrev_b32_e32 v15, 27, v12
	v_subrev_u32_e32 v21, 28, v20
	v_and_b32_e32 v14, 0x80000000, v12
	v_and_b32_e32 v15, 15, v15
	v_bfe_u32 v16, v12, 27, 4
	v_lshlrev_b32_sdwa v12, v21, v12 dst_sel:DWORD dst_unused:UNUSED_PAD src0_sel:DWORD src1_sel:BYTE_3
	v_sub_u32_e32 v20, 29, v20
	v_and_b32_e32 v12, 7, v12
	v_cmp_eq_u16_e32 vcc, 0, v15
	v_cndmask_b32_e32 v11, v11, v12, vcc
	v_cndmask_b32_e32 v12, v16, v20, vcc
	v_mov_b32_e32 v15, 0x3b800000
	v_lshlrev_b32_e32 v11, 20, v11
	v_lshl_add_u32 v12, v12, 23, v15
	v_or3_b32 v11, v14, v12, v11
.LBB23_352:
	s_or_b64 exec, exec, s[6:7]
	s_nop 0
	v_mfma_f32_16x16x4f32 a[0:3], v10, v11, a[0:3]
	s_movk_i32 s4, 0x7f
	v_cmp_gt_i16_sdwa s[6:7], v17, s4 src0_sel:BYTE_0 src1_sel:DWORD
	s_mov_b64 s[4:5], 0
                                        ; implicit-def: $sgpr10
	s_and_saveexec_b64 s[8:9], s[6:7]
	s_xor_b64 s[6:7], exec, s[8:9]
	s_cbranch_execnz .LBB23_2401
; %bb.353:
	s_or_saveexec_b64 s[6:7], s[6:7]
	v_mov_b32_e32 v10, s10
	s_xor_b64 exec, exec, s[6:7]
	s_cbranch_execnz .LBB23_2404
.LBB23_354:
	s_or_b64 exec, exec, s[6:7]
	s_and_saveexec_b64 s[6:7], s[4:5]
	s_cbranch_execz .LBB23_356
.LBB23_355:
	v_and_b32_e32 v10, 7, v17
	v_ffbh_u32_e32 v12, v10
	v_min_u32_e32 v12, 32, v12
	v_lshrrev_b16_e32 v11, 3, v17
	v_subrev_u32_e32 v14, 28, v12
	v_and_b32_e32 v11, 15, v11
	v_lshlrev_b32_e32 v14, v14, v17
	v_sub_u32_e32 v12, 29, v12
	v_and_b32_e32 v14, 7, v14
	v_cmp_eq_u16_e32 vcc, 0, v11
	v_cndmask_b32_e32 v10, v10, v14, vcc
	v_cndmask_b32_e32 v11, v11, v12, vcc
	v_lshlrev_b32_e32 v12, 24, v17
	v_mov_b32_e32 v14, 0x3b800000
	v_lshlrev_b32_e32 v10, 20, v10
	v_and_b32_e32 v12, 0x80000000, v12
	v_lshl_add_u32 v11, v11, 23, v14
	v_or3_b32 v10, v12, v11, v10
.LBB23_356:
	s_or_b64 exec, exec, s[6:7]
	s_movk_i32 s4, 0x7f
	v_cmp_gt_i16_sdwa s[6:7], v13, s4 src0_sel:BYTE_0 src1_sel:DWORD
	s_mov_b64 s[4:5], 0
                                        ; implicit-def: $sgpr10
	s_and_saveexec_b64 s[8:9], s[6:7]
	s_xor_b64 s[6:7], exec, s[8:9]
	s_cbranch_execnz .LBB23_2405
; %bb.357:
	s_or_saveexec_b64 s[6:7], s[6:7]
	v_mov_b32_e32 v11, s10
	s_xor_b64 exec, exec, s[6:7]
	s_cbranch_execnz .LBB23_2408
.LBB23_358:
	s_or_b64 exec, exec, s[6:7]
	s_and_saveexec_b64 s[6:7], s[4:5]
	s_cbranch_execz .LBB23_360
.LBB23_359:
	v_and_b32_e32 v11, 7, v13
	v_ffbh_u32_e32 v14, v11
	v_min_u32_e32 v14, 32, v14
	v_lshrrev_b16_e32 v12, 3, v13
	v_subrev_u32_e32 v15, 28, v14
	v_and_b32_e32 v12, 15, v12
	v_lshlrev_b32_e32 v15, v15, v13
	v_sub_u32_e32 v14, 29, v14
	v_and_b32_e32 v15, 7, v15
	v_cmp_eq_u16_e32 vcc, 0, v12
	v_cndmask_b32_e32 v11, v11, v15, vcc
	v_cndmask_b32_e32 v12, v12, v14, vcc
	v_lshlrev_b32_e32 v14, 24, v13
	v_mov_b32_e32 v15, 0x3b800000
	v_lshlrev_b32_e32 v11, 20, v11
	v_and_b32_e32 v14, 0x80000000, v14
	v_lshl_add_u32 v12, v12, 23, v15
	v_or3_b32 v11, v14, v12, v11
.LBB23_360:
	s_or_b64 exec, exec, s[6:7]
	s_nop 0
	v_mfma_f32_16x16x4f32 a[0:3], v10, v11, a[0:3]
	v_lshrrev_b32_e32 v11, 8, v17
	s_movk_i32 s4, 0x7f
	v_cmp_gt_i16_sdwa s[6:7], v11, s4 src0_sel:BYTE_0 src1_sel:DWORD
	s_mov_b64 s[4:5], 0
                                        ; implicit-def: $sgpr10
	s_and_saveexec_b64 s[8:9], s[6:7]
	s_xor_b64 s[6:7], exec, s[8:9]
	s_cbranch_execnz .LBB23_2409
; %bb.361:
	s_or_saveexec_b64 s[6:7], s[6:7]
	v_mov_b32_e32 v10, s10
	s_xor_b64 exec, exec, s[6:7]
	s_cbranch_execnz .LBB23_2412
.LBB23_362:
	s_or_b64 exec, exec, s[6:7]
	s_and_saveexec_b64 s[6:7], s[4:5]
	s_cbranch_execz .LBB23_364
.LBB23_363:
	v_bfe_u32 v10, v17, 8, 3
	v_ffbh_u32_e32 v14, v10
	v_min_u32_e32 v14, 32, v14
	v_lshrrev_b16_e32 v12, 3, v11
	v_subrev_u32_e32 v15, 28, v14
	v_and_b32_e32 v12, 15, v12
	v_lshlrev_b32_e32 v11, v15, v11
	v_sub_u32_e32 v14, 29, v14
	v_and_b32_e32 v11, 7, v11
	v_cmp_eq_u16_e32 vcc, 0, v12
	v_cndmask_b32_e32 v10, v10, v11, vcc
	v_cndmask_b32_e32 v11, v12, v14, vcc
	v_lshlrev_b32_e32 v12, 16, v17
	v_mov_b32_e32 v14, 0x3b800000
	v_lshlrev_b32_e32 v10, 20, v10
	v_and_b32_e32 v12, 0x80000000, v12
	v_lshl_add_u32 v11, v11, 23, v14
	v_or3_b32 v10, v12, v11, v10
.LBB23_364:
	s_or_b64 exec, exec, s[6:7]
	v_lshrrev_b32_e32 v11, 8, v13
	s_movk_i32 s4, 0x7f
	v_cmp_gt_i16_sdwa s[6:7], v11, s4 src0_sel:BYTE_0 src1_sel:DWORD
	s_mov_b64 s[4:5], 0
                                        ; implicit-def: $sgpr10
	s_and_saveexec_b64 s[8:9], s[6:7]
	s_xor_b64 s[6:7], exec, s[8:9]
	s_cbranch_execnz .LBB23_2413
; %bb.365:
	s_or_saveexec_b64 s[6:7], s[6:7]
	v_mov_b32_e32 v12, s10
	s_xor_b64 exec, exec, s[6:7]
	s_cbranch_execnz .LBB23_2416
.LBB23_366:
	s_or_b64 exec, exec, s[6:7]
	s_and_saveexec_b64 s[6:7], s[4:5]
	s_cbranch_execz .LBB23_368
.LBB23_367:
	v_bfe_u32 v12, v13, 8, 3
	v_ffbh_u32_e32 v15, v12
	v_min_u32_e32 v15, 32, v15
	v_lshrrev_b16_e32 v14, 3, v11
	v_subrev_u32_e32 v16, 28, v15
	v_and_b32_e32 v14, 15, v14
	v_lshlrev_b32_e32 v11, v16, v11
	v_sub_u32_e32 v15, 29, v15
	v_and_b32_e32 v11, 7, v11
	v_cmp_eq_u16_e32 vcc, 0, v14
	v_cndmask_b32_e32 v11, v12, v11, vcc
	v_cndmask_b32_e32 v12, v14, v15, vcc
	v_lshlrev_b32_e32 v14, 16, v13
	v_mov_b32_e32 v15, 0x3b800000
	v_lshlrev_b32_e32 v11, 20, v11
	v_and_b32_e32 v14, 0x80000000, v14
	v_lshl_add_u32 v12, v12, 23, v15
	v_or3_b32 v12, v14, v12, v11
.LBB23_368:
	s_or_b64 exec, exec, s[6:7]
	s_nop 0
	v_mfma_f32_16x16x4f32 a[0:3], v10, v12, a[0:3]
	s_movk_i32 s4, 0xff
	v_and_b32_sdwa v11, v17, s4 dst_sel:DWORD dst_unused:UNUSED_PAD src0_sel:WORD_1 src1_sel:DWORD
	s_movk_i32 s4, 0x7f
	v_cmp_lt_i16_e32 vcc, s4, v11
	s_mov_b64 s[4:5], 0
                                        ; implicit-def: $sgpr10
	s_and_saveexec_b64 s[6:7], vcc
	s_xor_b64 s[6:7], exec, s[6:7]
	s_cbranch_execnz .LBB23_2417
; %bb.369:
	s_or_saveexec_b64 s[6:7], s[6:7]
	v_mov_b32_e32 v10, s10
	s_xor_b64 exec, exec, s[6:7]
	s_cbranch_execnz .LBB23_2420
.LBB23_370:
	s_or_b64 exec, exec, s[6:7]
	s_and_saveexec_b64 s[6:7], s[4:5]
	s_cbranch_execz .LBB23_372
.LBB23_371:
	v_bfe_u32 v10, v17, 16, 3
	v_ffbh_u32_e32 v14, v10
	v_min_u32_e32 v14, 32, v14
	v_lshrrev_b32_e32 v11, 19, v17
	v_subrev_u32_e32 v15, 28, v14
	v_and_b32_e32 v11, 15, v11
	v_lshlrev_b32_sdwa v15, v15, v17 dst_sel:DWORD dst_unused:UNUSED_PAD src0_sel:DWORD src1_sel:WORD_1
	v_bfe_u32 v12, v17, 19, 4
	v_sub_u32_e32 v14, 29, v14
	v_and_b32_e32 v15, 7, v15
	v_cmp_eq_u16_e32 vcc, 0, v11
	v_cndmask_b32_e32 v10, v10, v15, vcc
	v_cndmask_b32_e32 v11, v12, v14, vcc
	v_lshlrev_b32_e32 v12, 8, v17
	v_mov_b32_e32 v14, 0x3b800000
	v_lshlrev_b32_e32 v10, 20, v10
	v_and_b32_e32 v12, 0x80000000, v12
	v_lshl_add_u32 v11, v11, 23, v14
	v_or3_b32 v10, v12, v11, v10
.LBB23_372:
	s_or_b64 exec, exec, s[6:7]
	s_movk_i32 s4, 0xff
	v_and_b32_sdwa v11, v13, s4 dst_sel:DWORD dst_unused:UNUSED_PAD src0_sel:WORD_1 src1_sel:DWORD
	s_movk_i32 s4, 0x7f
	v_cmp_lt_i16_e32 vcc, s4, v11
	s_mov_b64 s[4:5], 0
                                        ; implicit-def: $sgpr10
	s_and_saveexec_b64 s[6:7], vcc
	s_xor_b64 s[6:7], exec, s[6:7]
	s_cbranch_execnz .LBB23_2421
; %bb.373:
	s_or_saveexec_b64 s[6:7], s[6:7]
	v_mov_b32_e32 v12, s10
	s_xor_b64 exec, exec, s[6:7]
	s_cbranch_execnz .LBB23_2424
.LBB23_374:
	s_or_b64 exec, exec, s[6:7]
	s_and_saveexec_b64 s[6:7], s[4:5]
	s_cbranch_execz .LBB23_376
.LBB23_375:
	v_bfe_u32 v11, v13, 16, 3
	v_ffbh_u32_e32 v15, v11
	v_min_u32_e32 v15, 32, v15
	v_lshrrev_b32_e32 v12, 19, v13
	v_subrev_u32_e32 v16, 28, v15
	v_and_b32_e32 v12, 15, v12
	v_lshlrev_b32_sdwa v16, v16, v13 dst_sel:DWORD dst_unused:UNUSED_PAD src0_sel:DWORD src1_sel:WORD_1
	v_bfe_u32 v14, v13, 19, 4
	v_sub_u32_e32 v15, 29, v15
	v_and_b32_e32 v16, 7, v16
	v_cmp_eq_u16_e32 vcc, 0, v12
	v_cndmask_b32_e32 v11, v11, v16, vcc
	v_cndmask_b32_e32 v12, v14, v15, vcc
	v_lshlrev_b32_e32 v14, 8, v13
	v_mov_b32_e32 v15, 0x3b800000
	v_lshlrev_b32_e32 v11, 20, v11
	v_and_b32_e32 v14, 0x80000000, v14
	v_lshl_add_u32 v12, v12, 23, v15
	v_or3_b32 v12, v14, v12, v11
.LBB23_376:
	s_or_b64 exec, exec, s[6:7]
	s_nop 0
	v_mfma_f32_16x16x4f32 a[0:3], v10, v12, a[0:3]
	s_movk_i32 s4, 0x7f
	v_cmp_gt_i16_sdwa s[6:7], v17, s4 src0_sel:BYTE_3 src1_sel:DWORD
	s_mov_b64 s[4:5], 0
                                        ; implicit-def: $sgpr10
	s_and_saveexec_b64 s[8:9], s[6:7]
	s_xor_b64 s[6:7], exec, s[8:9]
	s_cbranch_execnz .LBB23_2425
; %bb.377:
	s_or_saveexec_b64 s[6:7], s[6:7]
	v_mov_b32_e32 v10, s10
	s_xor_b64 exec, exec, s[6:7]
	s_cbranch_execnz .LBB23_2428
.LBB23_378:
	s_or_b64 exec, exec, s[6:7]
	s_and_saveexec_b64 s[6:7], s[4:5]
	s_cbranch_execz .LBB23_380
.LBB23_379:
	v_bfe_u32 v10, v17, 24, 3
	v_ffbh_u32_e32 v15, v10
	v_min_u32_e32 v15, 32, v15
	v_lshrrev_b32_e32 v12, 27, v17
	v_subrev_u32_e32 v16, 28, v15
	v_and_b32_e32 v12, 15, v12
	v_lshlrev_b32_sdwa v16, v16, v17 dst_sel:DWORD dst_unused:UNUSED_PAD src0_sel:DWORD src1_sel:BYTE_3
	v_bfe_u32 v14, v17, 27, 4
	v_sub_u32_e32 v15, 29, v15
	v_and_b32_e32 v16, 7, v16
	v_cmp_eq_u16_e32 vcc, 0, v12
	v_cndmask_b32_e32 v10, v10, v16, vcc
	v_cndmask_b32_e32 v12, v14, v15, vcc
	v_mov_b32_e32 v14, 0x3b800000
	v_and_b32_e32 v11, 0x80000000, v17
	v_lshlrev_b32_e32 v10, 20, v10
	v_lshl_add_u32 v12, v12, 23, v14
	v_or3_b32 v10, v11, v12, v10
.LBB23_380:
	s_or_b64 exec, exec, s[6:7]
	s_movk_i32 s4, 0x7f
	v_cmp_gt_i16_sdwa s[6:7], v13, s4 src0_sel:BYTE_3 src1_sel:DWORD
	s_mov_b64 s[4:5], 0
                                        ; implicit-def: $sgpr10
	s_and_saveexec_b64 s[8:9], s[6:7]
	s_xor_b64 s[6:7], exec, s[8:9]
	s_cbranch_execnz .LBB23_2429
; %bb.381:
	s_or_saveexec_b64 s[6:7], s[6:7]
	v_mov_b32_e32 v11, s10
	s_xor_b64 exec, exec, s[6:7]
	s_cbranch_execnz .LBB23_2432
.LBB23_382:
	s_or_b64 exec, exec, s[6:7]
	s_and_saveexec_b64 s[6:7], s[4:5]
	s_cbranch_execz .LBB23_384
.LBB23_383:
	v_bfe_u32 v11, v13, 24, 3
	v_ffbh_u32_e32 v16, v11
	v_min_u32_e32 v16, 32, v16
	v_lshrrev_b32_e32 v14, 27, v13
	v_subrev_u32_e32 v17, 28, v16
	v_and_b32_e32 v12, 0x80000000, v13
	v_and_b32_e32 v14, 15, v14
	v_bfe_u32 v15, v13, 27, 4
	v_lshlrev_b32_sdwa v13, v17, v13 dst_sel:DWORD dst_unused:UNUSED_PAD src0_sel:DWORD src1_sel:BYTE_3
	v_sub_u32_e32 v16, 29, v16
	v_and_b32_e32 v13, 7, v13
	v_cmp_eq_u16_e32 vcc, 0, v14
	v_cndmask_b32_e32 v11, v11, v13, vcc
	v_cndmask_b32_e32 v13, v15, v16, vcc
	v_mov_b32_e32 v14, 0x3b800000
	v_lshlrev_b32_e32 v11, 20, v11
	v_lshl_add_u32 v13, v13, 23, v14
	v_or3_b32 v11, v12, v13, v11
.LBB23_384:
	s_or_b64 exec, exec, s[6:7]
	s_nop 0
	v_mfma_f32_16x16x4f32 a[0:3], v10, v11, a[0:3]
	s_movk_i32 s4, 0x7f
	v_cmp_gt_i16_sdwa s[6:7], v6, s4 src0_sel:BYTE_0 src1_sel:DWORD
	s_mov_b64 s[4:5], 0
                                        ; implicit-def: $sgpr10
	s_and_saveexec_b64 s[8:9], s[6:7]
	s_xor_b64 s[6:7], exec, s[8:9]
	s_cbranch_execnz .LBB23_2433
; %bb.385:
	s_or_saveexec_b64 s[6:7], s[6:7]
	v_mov_b32_e32 v10, s10
	s_xor_b64 exec, exec, s[6:7]
	s_cbranch_execnz .LBB23_2436
.LBB23_386:
	s_or_b64 exec, exec, s[6:7]
	s_and_saveexec_b64 s[6:7], s[4:5]
	s_cbranch_execz .LBB23_388
.LBB23_387:
	v_and_b32_e32 v10, 7, v6
	v_ffbh_u32_e32 v12, v10
	v_min_u32_e32 v12, 32, v12
	v_lshrrev_b16_e32 v11, 3, v6
	v_subrev_u32_e32 v13, 28, v12
	v_and_b32_e32 v11, 15, v11
	v_lshlrev_b32_e32 v13, v13, v6
	v_sub_u32_e32 v12, 29, v12
	v_and_b32_e32 v13, 7, v13
	v_cmp_eq_u16_e32 vcc, 0, v11
	v_cndmask_b32_e32 v10, v10, v13, vcc
	v_cndmask_b32_e32 v11, v11, v12, vcc
	v_lshlrev_b32_e32 v12, 24, v6
	v_mov_b32_e32 v13, 0x3b800000
	v_lshlrev_b32_e32 v10, 20, v10
	v_and_b32_e32 v12, 0x80000000, v12
	v_lshl_add_u32 v11, v11, 23, v13
	v_or3_b32 v10, v12, v11, v10
.LBB23_388:
	s_or_b64 exec, exec, s[6:7]
	s_movk_i32 s4, 0x7f
	v_cmp_gt_i16_sdwa s[6:7], v2, s4 src0_sel:BYTE_0 src1_sel:DWORD
	s_mov_b64 s[4:5], 0
                                        ; implicit-def: $sgpr10
	s_and_saveexec_b64 s[8:9], s[6:7]
	s_xor_b64 s[6:7], exec, s[8:9]
	s_cbranch_execnz .LBB23_2437
; %bb.389:
	s_or_saveexec_b64 s[6:7], s[6:7]
	v_mov_b32_e32 v11, s10
	s_xor_b64 exec, exec, s[6:7]
	s_cbranch_execnz .LBB23_2440
.LBB23_390:
	s_or_b64 exec, exec, s[6:7]
	s_and_saveexec_b64 s[6:7], s[4:5]
	s_cbranch_execz .LBB23_392
.LBB23_391:
	v_and_b32_e32 v11, 7, v2
	v_ffbh_u32_e32 v13, v11
	v_min_u32_e32 v13, 32, v13
	v_lshrrev_b16_e32 v12, 3, v2
	v_subrev_u32_e32 v14, 28, v13
	v_and_b32_e32 v12, 15, v12
	v_lshlrev_b32_e32 v14, v14, v2
	v_sub_u32_e32 v13, 29, v13
	v_and_b32_e32 v14, 7, v14
	v_cmp_eq_u16_e32 vcc, 0, v12
	v_cndmask_b32_e32 v11, v11, v14, vcc
	v_cndmask_b32_e32 v12, v12, v13, vcc
	v_lshlrev_b32_e32 v13, 24, v2
	v_mov_b32_e32 v14, 0x3b800000
	v_lshlrev_b32_e32 v11, 20, v11
	v_and_b32_e32 v13, 0x80000000, v13
	v_lshl_add_u32 v12, v12, 23, v14
	v_or3_b32 v11, v13, v12, v11
.LBB23_392:
	s_or_b64 exec, exec, s[6:7]
	s_nop 0
	v_mfma_f32_16x16x4f32 a[0:3], v10, v11, a[0:3]
	v_lshrrev_b32_e32 v11, 8, v6
	s_movk_i32 s4, 0x7f
	v_cmp_gt_i16_sdwa s[6:7], v11, s4 src0_sel:BYTE_0 src1_sel:DWORD
	s_mov_b64 s[4:5], 0
                                        ; implicit-def: $sgpr10
	s_and_saveexec_b64 s[8:9], s[6:7]
	s_xor_b64 s[6:7], exec, s[8:9]
	s_cbranch_execnz .LBB23_2441
; %bb.393:
	s_or_saveexec_b64 s[6:7], s[6:7]
	v_mov_b32_e32 v10, s10
	s_xor_b64 exec, exec, s[6:7]
	s_cbranch_execnz .LBB23_2444
.LBB23_394:
	s_or_b64 exec, exec, s[6:7]
	s_and_saveexec_b64 s[6:7], s[4:5]
	s_cbranch_execz .LBB23_396
.LBB23_395:
	v_bfe_u32 v10, v6, 8, 3
	v_ffbh_u32_e32 v13, v10
	v_min_u32_e32 v13, 32, v13
	v_lshrrev_b16_e32 v12, 3, v11
	v_subrev_u32_e32 v14, 28, v13
	v_and_b32_e32 v12, 15, v12
	v_lshlrev_b32_e32 v11, v14, v11
	v_sub_u32_e32 v13, 29, v13
	v_and_b32_e32 v11, 7, v11
	v_cmp_eq_u16_e32 vcc, 0, v12
	v_cndmask_b32_e32 v10, v10, v11, vcc
	v_cndmask_b32_e32 v11, v12, v13, vcc
	v_lshlrev_b32_e32 v12, 16, v6
	v_mov_b32_e32 v13, 0x3b800000
	v_lshlrev_b32_e32 v10, 20, v10
	v_and_b32_e32 v12, 0x80000000, v12
	v_lshl_add_u32 v11, v11, 23, v13
	v_or3_b32 v10, v12, v11, v10
.LBB23_396:
	s_or_b64 exec, exec, s[6:7]
	v_lshrrev_b32_e32 v11, 8, v2
	s_movk_i32 s4, 0x7f
	v_cmp_gt_i16_sdwa s[6:7], v11, s4 src0_sel:BYTE_0 src1_sel:DWORD
	s_mov_b64 s[4:5], 0
                                        ; implicit-def: $sgpr10
	s_and_saveexec_b64 s[8:9], s[6:7]
	s_xor_b64 s[6:7], exec, s[8:9]
	s_cbranch_execnz .LBB23_2445
; %bb.397:
	s_or_saveexec_b64 s[6:7], s[6:7]
	v_mov_b32_e32 v12, s10
	s_xor_b64 exec, exec, s[6:7]
	s_cbranch_execnz .LBB23_2448
.LBB23_398:
	s_or_b64 exec, exec, s[6:7]
	s_and_saveexec_b64 s[6:7], s[4:5]
	s_cbranch_execz .LBB23_400
.LBB23_399:
	v_bfe_u32 v12, v2, 8, 3
	v_ffbh_u32_e32 v14, v12
	v_min_u32_e32 v14, 32, v14
	v_lshrrev_b16_e32 v13, 3, v11
	v_subrev_u32_e32 v15, 28, v14
	v_and_b32_e32 v13, 15, v13
	v_lshlrev_b32_e32 v11, v15, v11
	v_sub_u32_e32 v14, 29, v14
	v_and_b32_e32 v11, 7, v11
	v_cmp_eq_u16_e32 vcc, 0, v13
	v_cndmask_b32_e32 v11, v12, v11, vcc
	v_cndmask_b32_e32 v12, v13, v14, vcc
	v_lshlrev_b32_e32 v13, 16, v2
	v_mov_b32_e32 v14, 0x3b800000
	v_lshlrev_b32_e32 v11, 20, v11
	v_and_b32_e32 v13, 0x80000000, v13
	v_lshl_add_u32 v12, v12, 23, v14
	v_or3_b32 v12, v13, v12, v11
.LBB23_400:
	s_or_b64 exec, exec, s[6:7]
	s_nop 0
	v_mfma_f32_16x16x4f32 a[0:3], v10, v12, a[0:3]
	s_movk_i32 s4, 0xff
	v_and_b32_sdwa v11, v6, s4 dst_sel:DWORD dst_unused:UNUSED_PAD src0_sel:WORD_1 src1_sel:DWORD
	s_movk_i32 s4, 0x7f
	v_cmp_lt_i16_e32 vcc, s4, v11
	s_mov_b64 s[4:5], 0
                                        ; implicit-def: $sgpr10
	s_and_saveexec_b64 s[6:7], vcc
	s_xor_b64 s[6:7], exec, s[6:7]
	s_cbranch_execnz .LBB23_2449
; %bb.401:
	s_or_saveexec_b64 s[6:7], s[6:7]
	v_mov_b32_e32 v10, s10
	s_xor_b64 exec, exec, s[6:7]
	s_cbranch_execnz .LBB23_2452
.LBB23_402:
	s_or_b64 exec, exec, s[6:7]
	s_and_saveexec_b64 s[6:7], s[4:5]
	s_cbranch_execz .LBB23_404
.LBB23_403:
	v_bfe_u32 v10, v6, 16, 3
	v_ffbh_u32_e32 v13, v10
	v_min_u32_e32 v13, 32, v13
	v_lshrrev_b32_e32 v11, 19, v6
	v_subrev_u32_e32 v14, 28, v13
	v_and_b32_e32 v11, 15, v11
	v_lshlrev_b32_sdwa v14, v14, v6 dst_sel:DWORD dst_unused:UNUSED_PAD src0_sel:DWORD src1_sel:WORD_1
	v_bfe_u32 v12, v6, 19, 4
	v_sub_u32_e32 v13, 29, v13
	v_and_b32_e32 v14, 7, v14
	v_cmp_eq_u16_e32 vcc, 0, v11
	v_cndmask_b32_e32 v10, v10, v14, vcc
	v_cndmask_b32_e32 v11, v12, v13, vcc
	v_lshlrev_b32_e32 v12, 8, v6
	v_mov_b32_e32 v13, 0x3b800000
	v_lshlrev_b32_e32 v10, 20, v10
	v_and_b32_e32 v12, 0x80000000, v12
	v_lshl_add_u32 v11, v11, 23, v13
	v_or3_b32 v10, v12, v11, v10
.LBB23_404:
	s_or_b64 exec, exec, s[6:7]
	s_movk_i32 s4, 0xff
	v_and_b32_sdwa v11, v2, s4 dst_sel:DWORD dst_unused:UNUSED_PAD src0_sel:WORD_1 src1_sel:DWORD
	s_movk_i32 s4, 0x7f
	v_cmp_lt_i16_e32 vcc, s4, v11
	s_mov_b64 s[4:5], 0
                                        ; implicit-def: $sgpr10
	s_and_saveexec_b64 s[6:7], vcc
	s_xor_b64 s[6:7], exec, s[6:7]
	s_cbranch_execnz .LBB23_2453
; %bb.405:
	s_or_saveexec_b64 s[6:7], s[6:7]
	v_mov_b32_e32 v12, s10
	s_xor_b64 exec, exec, s[6:7]
	s_cbranch_execnz .LBB23_2456
.LBB23_406:
	s_or_b64 exec, exec, s[6:7]
	s_and_saveexec_b64 s[6:7], s[4:5]
	s_cbranch_execz .LBB23_408
.LBB23_407:
	v_bfe_u32 v11, v2, 16, 3
	v_ffbh_u32_e32 v14, v11
	v_min_u32_e32 v14, 32, v14
	v_lshrrev_b32_e32 v12, 19, v2
	v_subrev_u32_e32 v15, 28, v14
	v_and_b32_e32 v12, 15, v12
	v_lshlrev_b32_sdwa v15, v15, v2 dst_sel:DWORD dst_unused:UNUSED_PAD src0_sel:DWORD src1_sel:WORD_1
	v_bfe_u32 v13, v2, 19, 4
	v_sub_u32_e32 v14, 29, v14
	v_and_b32_e32 v15, 7, v15
	v_cmp_eq_u16_e32 vcc, 0, v12
	v_cndmask_b32_e32 v11, v11, v15, vcc
	v_cndmask_b32_e32 v12, v13, v14, vcc
	v_lshlrev_b32_e32 v13, 8, v2
	v_mov_b32_e32 v14, 0x3b800000
	v_lshlrev_b32_e32 v11, 20, v11
	v_and_b32_e32 v13, 0x80000000, v13
	v_lshl_add_u32 v12, v12, 23, v14
	v_or3_b32 v12, v13, v12, v11
.LBB23_408:
	s_or_b64 exec, exec, s[6:7]
	s_nop 0
	v_mfma_f32_16x16x4f32 a[0:3], v10, v12, a[0:3]
	s_movk_i32 s4, 0x7f
	v_cmp_gt_i16_sdwa s[6:7], v6, s4 src0_sel:BYTE_3 src1_sel:DWORD
	s_mov_b64 s[4:5], 0
                                        ; implicit-def: $sgpr10
	s_and_saveexec_b64 s[8:9], s[6:7]
	s_xor_b64 s[6:7], exec, s[8:9]
	s_cbranch_execnz .LBB23_2457
; %bb.409:
	s_or_saveexec_b64 s[6:7], s[6:7]
	v_mov_b32_e32 v10, s10
	s_xor_b64 exec, exec, s[6:7]
	s_cbranch_execnz .LBB23_2460
.LBB23_410:
	s_or_b64 exec, exec, s[6:7]
	s_and_saveexec_b64 s[6:7], s[4:5]
	s_cbranch_execz .LBB23_412
.LBB23_411:
	v_bfe_u32 v10, v6, 24, 3
	v_ffbh_u32_e32 v14, v10
	v_min_u32_e32 v14, 32, v14
	v_lshrrev_b32_e32 v12, 27, v6
	v_subrev_u32_e32 v15, 28, v14
	v_and_b32_e32 v11, 0x80000000, v6
	v_and_b32_e32 v12, 15, v12
	v_bfe_u32 v13, v6, 27, 4
	v_lshlrev_b32_sdwa v6, v15, v6 dst_sel:DWORD dst_unused:UNUSED_PAD src0_sel:DWORD src1_sel:BYTE_3
	v_sub_u32_e32 v14, 29, v14
	v_and_b32_e32 v6, 7, v6
	v_cmp_eq_u16_e32 vcc, 0, v12
	v_cndmask_b32_e32 v6, v10, v6, vcc
	v_cndmask_b32_e32 v10, v13, v14, vcc
	v_mov_b32_e32 v12, 0x3b800000
	v_lshlrev_b32_e32 v6, 20, v6
	v_lshl_add_u32 v10, v10, 23, v12
	v_or3_b32 v10, v11, v10, v6
.LBB23_412:
	s_or_b64 exec, exec, s[6:7]
	s_movk_i32 s4, 0x7f
	v_cmp_gt_i16_sdwa s[6:7], v2, s4 src0_sel:BYTE_3 src1_sel:DWORD
	s_mov_b64 s[4:5], 0
                                        ; implicit-def: $sgpr10
	s_and_saveexec_b64 s[8:9], s[6:7]
	s_xor_b64 s[6:7], exec, s[8:9]
	s_cbranch_execnz .LBB23_2461
; %bb.413:
	s_or_saveexec_b64 s[6:7], s[6:7]
	v_mov_b32_e32 v6, s10
	s_xor_b64 exec, exec, s[6:7]
	s_cbranch_execnz .LBB23_2464
.LBB23_414:
	s_or_b64 exec, exec, s[6:7]
	s_and_saveexec_b64 s[6:7], s[4:5]
	s_cbranch_execz .LBB23_416
.LBB23_415:
	v_bfe_u32 v6, v2, 24, 3
	v_ffbh_u32_e32 v14, v6
	v_min_u32_e32 v14, 32, v14
	v_lshrrev_b32_e32 v12, 27, v2
	v_subrev_u32_e32 v15, 28, v14
	v_and_b32_e32 v11, 0x80000000, v2
	v_and_b32_e32 v12, 15, v12
	v_bfe_u32 v13, v2, 27, 4
	v_lshlrev_b32_sdwa v2, v15, v2 dst_sel:DWORD dst_unused:UNUSED_PAD src0_sel:DWORD src1_sel:BYTE_3
	v_sub_u32_e32 v14, 29, v14
	v_and_b32_e32 v2, 7, v2
	v_cmp_eq_u16_e32 vcc, 0, v12
	v_cndmask_b32_e32 v2, v6, v2, vcc
	v_cndmask_b32_e32 v6, v13, v14, vcc
	v_mov_b32_e32 v12, 0x3b800000
	v_lshlrev_b32_e32 v2, 20, v2
	v_lshl_add_u32 v6, v6, 23, v12
	v_or3_b32 v6, v11, v6, v2
.LBB23_416:
	s_or_b64 exec, exec, s[6:7]
	s_nop 0
	v_mfma_f32_16x16x4f32 a[0:3], v10, v6, a[0:3]
	s_movk_i32 s4, 0x7f
	v_cmp_gt_i16_sdwa s[6:7], v7, s4 src0_sel:BYTE_0 src1_sel:DWORD
	s_mov_b64 s[4:5], 0
                                        ; implicit-def: $sgpr10
	s_and_saveexec_b64 s[8:9], s[6:7]
	s_xor_b64 s[6:7], exec, s[8:9]
	s_cbranch_execnz .LBB23_2465
; %bb.417:
	s_or_saveexec_b64 s[6:7], s[6:7]
	v_mov_b32_e32 v2, s10
	s_xor_b64 exec, exec, s[6:7]
	s_cbranch_execnz .LBB23_2468
.LBB23_418:
	s_or_b64 exec, exec, s[6:7]
	s_and_saveexec_b64 s[6:7], s[4:5]
	s_cbranch_execz .LBB23_420
.LBB23_419:
	v_and_b32_e32 v2, 7, v7
	v_ffbh_u32_e32 v10, v2
	v_min_u32_e32 v10, 32, v10
	v_lshrrev_b16_e32 v6, 3, v7
	v_subrev_u32_e32 v11, 28, v10
	v_and_b32_e32 v6, 15, v6
	v_lshlrev_b32_e32 v11, v11, v7
	v_sub_u32_e32 v10, 29, v10
	v_and_b32_e32 v11, 7, v11
	v_cmp_eq_u16_e32 vcc, 0, v6
	v_cndmask_b32_e32 v2, v2, v11, vcc
	v_cndmask_b32_e32 v6, v6, v10, vcc
	v_lshlrev_b32_e32 v10, 24, v7
	v_mov_b32_e32 v11, 0x3b800000
	v_lshlrev_b32_e32 v2, 20, v2
	v_and_b32_e32 v10, 0x80000000, v10
	v_lshl_add_u32 v6, v6, 23, v11
	v_or3_b32 v2, v10, v6, v2
.LBB23_420:
	s_or_b64 exec, exec, s[6:7]
	s_movk_i32 s4, 0x7f
	v_cmp_gt_i16_sdwa s[6:7], v3, s4 src0_sel:BYTE_0 src1_sel:DWORD
	s_mov_b64 s[4:5], 0
                                        ; implicit-def: $sgpr10
	s_and_saveexec_b64 s[8:9], s[6:7]
	s_xor_b64 s[6:7], exec, s[8:9]
	s_cbranch_execnz .LBB23_2469
; %bb.421:
	s_or_saveexec_b64 s[6:7], s[6:7]
	v_mov_b32_e32 v6, s10
	s_xor_b64 exec, exec, s[6:7]
	s_cbranch_execnz .LBB23_2472
.LBB23_422:
	s_or_b64 exec, exec, s[6:7]
	s_and_saveexec_b64 s[6:7], s[4:5]
	s_cbranch_execz .LBB23_424
.LBB23_423:
	v_and_b32_e32 v6, 7, v3
	v_ffbh_u32_e32 v11, v6
	v_min_u32_e32 v11, 32, v11
	v_lshrrev_b16_e32 v10, 3, v3
	v_subrev_u32_e32 v12, 28, v11
	v_and_b32_e32 v10, 15, v10
	v_lshlrev_b32_e32 v12, v12, v3
	v_sub_u32_e32 v11, 29, v11
	v_and_b32_e32 v12, 7, v12
	v_cmp_eq_u16_e32 vcc, 0, v10
	v_cndmask_b32_e32 v6, v6, v12, vcc
	v_cndmask_b32_e32 v10, v10, v11, vcc
	v_lshlrev_b32_e32 v11, 24, v3
	v_mov_b32_e32 v12, 0x3b800000
	v_lshlrev_b32_e32 v6, 20, v6
	v_and_b32_e32 v11, 0x80000000, v11
	v_lshl_add_u32 v10, v10, 23, v12
	v_or3_b32 v6, v11, v10, v6
.LBB23_424:
	s_or_b64 exec, exec, s[6:7]
	s_nop 0
	v_mfma_f32_16x16x4f32 a[0:3], v2, v6, a[0:3]
	v_lshrrev_b32_e32 v6, 8, v7
	s_movk_i32 s4, 0x7f
	v_cmp_gt_i16_sdwa s[6:7], v6, s4 src0_sel:BYTE_0 src1_sel:DWORD
	s_mov_b64 s[4:5], 0
                                        ; implicit-def: $sgpr10
	s_and_saveexec_b64 s[8:9], s[6:7]
	s_xor_b64 s[6:7], exec, s[8:9]
	s_cbranch_execnz .LBB23_2473
; %bb.425:
	s_or_saveexec_b64 s[6:7], s[6:7]
	v_mov_b32_e32 v2, s10
	s_xor_b64 exec, exec, s[6:7]
	s_cbranch_execnz .LBB23_2476
.LBB23_426:
	s_or_b64 exec, exec, s[6:7]
	s_and_saveexec_b64 s[6:7], s[4:5]
	s_cbranch_execz .LBB23_428
.LBB23_427:
	v_bfe_u32 v2, v7, 8, 3
	v_ffbh_u32_e32 v11, v2
	v_min_u32_e32 v11, 32, v11
	v_lshrrev_b16_e32 v10, 3, v6
	v_subrev_u32_e32 v12, 28, v11
	v_and_b32_e32 v10, 15, v10
	v_lshlrev_b32_e32 v6, v12, v6
	v_sub_u32_e32 v11, 29, v11
	v_and_b32_e32 v6, 7, v6
	v_cmp_eq_u16_e32 vcc, 0, v10
	v_cndmask_b32_e32 v2, v2, v6, vcc
	v_cndmask_b32_e32 v6, v10, v11, vcc
	v_lshlrev_b32_e32 v10, 16, v7
	v_mov_b32_e32 v11, 0x3b800000
	v_lshlrev_b32_e32 v2, 20, v2
	v_and_b32_e32 v10, 0x80000000, v10
	v_lshl_add_u32 v6, v6, 23, v11
	v_or3_b32 v2, v10, v6, v2
.LBB23_428:
	s_or_b64 exec, exec, s[6:7]
	v_lshrrev_b32_e32 v6, 8, v3
	s_movk_i32 s4, 0x7f
	v_cmp_gt_i16_sdwa s[6:7], v6, s4 src0_sel:BYTE_0 src1_sel:DWORD
	s_mov_b64 s[4:5], 0
                                        ; implicit-def: $sgpr10
	s_and_saveexec_b64 s[8:9], s[6:7]
	s_xor_b64 s[6:7], exec, s[8:9]
	s_cbranch_execnz .LBB23_2477
; %bb.429:
	s_or_saveexec_b64 s[6:7], s[6:7]
	v_mov_b32_e32 v10, s10
	s_xor_b64 exec, exec, s[6:7]
	s_cbranch_execnz .LBB23_2480
.LBB23_430:
	s_or_b64 exec, exec, s[6:7]
	s_and_saveexec_b64 s[6:7], s[4:5]
	s_cbranch_execz .LBB23_432
.LBB23_431:
	v_bfe_u32 v10, v3, 8, 3
	v_ffbh_u32_e32 v12, v10
	v_min_u32_e32 v12, 32, v12
	v_lshrrev_b16_e32 v11, 3, v6
	v_subrev_u32_e32 v13, 28, v12
	v_and_b32_e32 v11, 15, v11
	v_lshlrev_b32_e32 v6, v13, v6
	v_sub_u32_e32 v12, 29, v12
	v_and_b32_e32 v6, 7, v6
	v_cmp_eq_u16_e32 vcc, 0, v11
	v_cndmask_b32_e32 v6, v10, v6, vcc
	v_cndmask_b32_e32 v10, v11, v12, vcc
	v_lshlrev_b32_e32 v11, 16, v3
	v_mov_b32_e32 v12, 0x3b800000
	v_lshlrev_b32_e32 v6, 20, v6
	v_and_b32_e32 v11, 0x80000000, v11
	v_lshl_add_u32 v10, v10, 23, v12
	v_or3_b32 v10, v11, v10, v6
.LBB23_432:
	s_or_b64 exec, exec, s[6:7]
	s_nop 0
	v_mfma_f32_16x16x4f32 a[0:3], v2, v10, a[0:3]
	s_movk_i32 s4, 0xff
	v_and_b32_sdwa v6, v7, s4 dst_sel:DWORD dst_unused:UNUSED_PAD src0_sel:WORD_1 src1_sel:DWORD
	s_movk_i32 s4, 0x7f
	v_cmp_lt_i16_e32 vcc, s4, v6
	s_mov_b64 s[4:5], 0
                                        ; implicit-def: $sgpr10
	s_and_saveexec_b64 s[6:7], vcc
	s_xor_b64 s[6:7], exec, s[6:7]
	s_cbranch_execnz .LBB23_2481
; %bb.433:
	s_or_saveexec_b64 s[6:7], s[6:7]
	v_mov_b32_e32 v2, s10
	s_xor_b64 exec, exec, s[6:7]
	s_cbranch_execnz .LBB23_2484
.LBB23_434:
	s_or_b64 exec, exec, s[6:7]
	s_and_saveexec_b64 s[6:7], s[4:5]
	s_cbranch_execz .LBB23_436
.LBB23_435:
	v_bfe_u32 v2, v7, 16, 3
	v_ffbh_u32_e32 v11, v2
	v_min_u32_e32 v11, 32, v11
	v_lshrrev_b32_e32 v6, 19, v7
	v_subrev_u32_e32 v12, 28, v11
	v_and_b32_e32 v6, 15, v6
	v_lshlrev_b32_sdwa v12, v12, v7 dst_sel:DWORD dst_unused:UNUSED_PAD src0_sel:DWORD src1_sel:WORD_1
	v_bfe_u32 v10, v7, 19, 4
	v_sub_u32_e32 v11, 29, v11
	v_and_b32_e32 v12, 7, v12
	v_cmp_eq_u16_e32 vcc, 0, v6
	v_cndmask_b32_e32 v2, v2, v12, vcc
	v_cndmask_b32_e32 v6, v10, v11, vcc
	v_lshlrev_b32_e32 v10, 8, v7
	v_mov_b32_e32 v11, 0x3b800000
	v_lshlrev_b32_e32 v2, 20, v2
	v_and_b32_e32 v10, 0x80000000, v10
	v_lshl_add_u32 v6, v6, 23, v11
	v_or3_b32 v2, v10, v6, v2
.LBB23_436:
	s_or_b64 exec, exec, s[6:7]
	s_movk_i32 s4, 0xff
	v_and_b32_sdwa v6, v3, s4 dst_sel:DWORD dst_unused:UNUSED_PAD src0_sel:WORD_1 src1_sel:DWORD
	s_movk_i32 s4, 0x7f
	v_cmp_lt_i16_e32 vcc, s4, v6
	s_mov_b64 s[4:5], 0
                                        ; implicit-def: $sgpr10
	s_and_saveexec_b64 s[6:7], vcc
	s_xor_b64 s[6:7], exec, s[6:7]
	s_cbranch_execnz .LBB23_2485
; %bb.437:
	s_or_saveexec_b64 s[6:7], s[6:7]
	v_mov_b32_e32 v10, s10
	s_xor_b64 exec, exec, s[6:7]
	s_cbranch_execnz .LBB23_2488
.LBB23_438:
	s_or_b64 exec, exec, s[6:7]
	s_and_saveexec_b64 s[6:7], s[4:5]
	s_cbranch_execz .LBB23_440
.LBB23_439:
	v_bfe_u32 v6, v3, 16, 3
	v_ffbh_u32_e32 v12, v6
	v_min_u32_e32 v12, 32, v12
	v_lshrrev_b32_e32 v10, 19, v3
	v_subrev_u32_e32 v13, 28, v12
	v_and_b32_e32 v10, 15, v10
	v_lshlrev_b32_sdwa v13, v13, v3 dst_sel:DWORD dst_unused:UNUSED_PAD src0_sel:DWORD src1_sel:WORD_1
	v_bfe_u32 v11, v3, 19, 4
	v_sub_u32_e32 v12, 29, v12
	v_and_b32_e32 v13, 7, v13
	v_cmp_eq_u16_e32 vcc, 0, v10
	v_cndmask_b32_e32 v6, v6, v13, vcc
	v_cndmask_b32_e32 v10, v11, v12, vcc
	v_lshlrev_b32_e32 v11, 8, v3
	v_mov_b32_e32 v12, 0x3b800000
	v_lshlrev_b32_e32 v6, 20, v6
	v_and_b32_e32 v11, 0x80000000, v11
	v_lshl_add_u32 v10, v10, 23, v12
	v_or3_b32 v10, v11, v10, v6
.LBB23_440:
	s_or_b64 exec, exec, s[6:7]
	s_nop 0
	v_mfma_f32_16x16x4f32 a[0:3], v2, v10, a[0:3]
	s_movk_i32 s4, 0x7f
	v_cmp_gt_i16_sdwa s[6:7], v7, s4 src0_sel:BYTE_3 src1_sel:DWORD
	s_mov_b64 s[4:5], 0
                                        ; implicit-def: $sgpr10
	s_and_saveexec_b64 s[8:9], s[6:7]
	s_xor_b64 s[6:7], exec, s[8:9]
	s_cbranch_execnz .LBB23_2489
; %bb.441:
	s_or_saveexec_b64 s[6:7], s[6:7]
	v_mov_b32_e32 v2, s10
	s_xor_b64 exec, exec, s[6:7]
	s_cbranch_execnz .LBB23_2492
.LBB23_442:
	s_or_b64 exec, exec, s[6:7]
	s_and_saveexec_b64 s[6:7], s[4:5]
	s_cbranch_execz .LBB23_444
.LBB23_443:
	v_bfe_u32 v2, v7, 24, 3
	v_ffbh_u32_e32 v12, v2
	v_min_u32_e32 v12, 32, v12
	v_lshrrev_b32_e32 v10, 27, v7
	v_subrev_u32_e32 v13, 28, v12
	v_and_b32_e32 v6, 0x80000000, v7
	v_and_b32_e32 v10, 15, v10
	v_bfe_u32 v11, v7, 27, 4
	v_lshlrev_b32_sdwa v7, v13, v7 dst_sel:DWORD dst_unused:UNUSED_PAD src0_sel:DWORD src1_sel:BYTE_3
	v_sub_u32_e32 v12, 29, v12
	v_and_b32_e32 v7, 7, v7
	v_cmp_eq_u16_e32 vcc, 0, v10
	v_cndmask_b32_e32 v2, v2, v7, vcc
	v_cndmask_b32_e32 v7, v11, v12, vcc
	v_mov_b32_e32 v10, 0x3b800000
	v_lshlrev_b32_e32 v2, 20, v2
	v_lshl_add_u32 v7, v7, 23, v10
	v_or3_b32 v2, v6, v7, v2
.LBB23_444:
	s_or_b64 exec, exec, s[6:7]
	s_movk_i32 s4, 0x7f
	v_cmp_gt_i16_sdwa s[6:7], v3, s4 src0_sel:BYTE_3 src1_sel:DWORD
	s_mov_b64 s[4:5], 0
                                        ; implicit-def: $sgpr10
	s_and_saveexec_b64 s[8:9], s[6:7]
	s_xor_b64 s[6:7], exec, s[8:9]
	s_cbranch_execnz .LBB23_2493
; %bb.445:
	s_or_saveexec_b64 s[6:7], s[6:7]
	v_mov_b32_e32 v6, s10
	s_xor_b64 exec, exec, s[6:7]
	s_cbranch_execnz .LBB23_2496
.LBB23_446:
	s_or_b64 exec, exec, s[6:7]
	s_and_saveexec_b64 s[6:7], s[4:5]
	s_cbranch_execz .LBB23_448
.LBB23_447:
	v_bfe_u32 v6, v3, 24, 3
	v_ffbh_u32_e32 v12, v6
	v_min_u32_e32 v12, 32, v12
	v_lshrrev_b32_e32 v10, 27, v3
	v_subrev_u32_e32 v13, 28, v12
	v_and_b32_e32 v7, 0x80000000, v3
	v_and_b32_e32 v10, 15, v10
	v_bfe_u32 v11, v3, 27, 4
	v_lshlrev_b32_sdwa v3, v13, v3 dst_sel:DWORD dst_unused:UNUSED_PAD src0_sel:DWORD src1_sel:BYTE_3
	v_sub_u32_e32 v12, 29, v12
	v_and_b32_e32 v3, 7, v3
	v_cmp_eq_u16_e32 vcc, 0, v10
	v_cndmask_b32_e32 v3, v6, v3, vcc
	v_cndmask_b32_e32 v6, v11, v12, vcc
	v_mov_b32_e32 v10, 0x3b800000
	v_lshlrev_b32_e32 v3, 20, v3
	v_lshl_add_u32 v6, v6, 23, v10
	v_or3_b32 v6, v7, v6, v3
.LBB23_448:
	s_or_b64 exec, exec, s[6:7]
	s_nop 0
	v_mfma_f32_16x16x4f32 a[0:3], v2, v6, a[0:3]
	s_movk_i32 s4, 0x7f
	v_cmp_gt_i16_sdwa s[6:7], v8, s4 src0_sel:BYTE_0 src1_sel:DWORD
	s_mov_b64 s[4:5], 0
                                        ; implicit-def: $sgpr10
	s_and_saveexec_b64 s[8:9], s[6:7]
	s_xor_b64 s[6:7], exec, s[8:9]
	s_cbranch_execnz .LBB23_2497
; %bb.449:
	s_or_saveexec_b64 s[6:7], s[6:7]
	v_mov_b32_e32 v2, s10
	s_xor_b64 exec, exec, s[6:7]
	s_cbranch_execnz .LBB23_2500
.LBB23_450:
	s_or_b64 exec, exec, s[6:7]
	s_and_saveexec_b64 s[6:7], s[4:5]
	s_cbranch_execz .LBB23_452
.LBB23_451:
	v_and_b32_e32 v2, 7, v8
	v_ffbh_u32_e32 v6, v2
	v_min_u32_e32 v6, 32, v6
	v_lshrrev_b16_e32 v3, 3, v8
	v_subrev_u32_e32 v7, 28, v6
	v_and_b32_e32 v3, 15, v3
	v_lshlrev_b32_e32 v7, v7, v8
	v_sub_u32_e32 v6, 29, v6
	v_and_b32_e32 v7, 7, v7
	v_cmp_eq_u16_e32 vcc, 0, v3
	v_cndmask_b32_e32 v2, v2, v7, vcc
	v_cndmask_b32_e32 v3, v3, v6, vcc
	v_lshlrev_b32_e32 v6, 24, v8
	v_mov_b32_e32 v7, 0x3b800000
	v_lshlrev_b32_e32 v2, 20, v2
	v_and_b32_e32 v6, 0x80000000, v6
	v_lshl_add_u32 v3, v3, 23, v7
	v_or3_b32 v2, v6, v3, v2
.LBB23_452:
	s_or_b64 exec, exec, s[6:7]
	s_movk_i32 s4, 0x7f
	v_cmp_gt_i16_sdwa s[6:7], v4, s4 src0_sel:BYTE_0 src1_sel:DWORD
	s_mov_b64 s[4:5], 0
                                        ; implicit-def: $sgpr10
	s_and_saveexec_b64 s[8:9], s[6:7]
	s_xor_b64 s[6:7], exec, s[8:9]
	s_cbranch_execnz .LBB23_2501
; %bb.453:
	s_or_saveexec_b64 s[6:7], s[6:7]
	v_mov_b32_e32 v3, s10
	s_xor_b64 exec, exec, s[6:7]
	s_cbranch_execnz .LBB23_2504
.LBB23_454:
	s_or_b64 exec, exec, s[6:7]
	s_and_saveexec_b64 s[6:7], s[4:5]
	s_cbranch_execz .LBB23_456
.LBB23_455:
	v_and_b32_e32 v3, 7, v4
	v_ffbh_u32_e32 v7, v3
	v_min_u32_e32 v7, 32, v7
	v_lshrrev_b16_e32 v6, 3, v4
	v_subrev_u32_e32 v10, 28, v7
	v_and_b32_e32 v6, 15, v6
	v_lshlrev_b32_e32 v10, v10, v4
	v_sub_u32_e32 v7, 29, v7
	v_and_b32_e32 v10, 7, v10
	v_cmp_eq_u16_e32 vcc, 0, v6
	v_cndmask_b32_e32 v3, v3, v10, vcc
	v_cndmask_b32_e32 v6, v6, v7, vcc
	v_lshlrev_b32_e32 v7, 24, v4
	v_mov_b32_e32 v10, 0x3b800000
	v_lshlrev_b32_e32 v3, 20, v3
	v_and_b32_e32 v7, 0x80000000, v7
	v_lshl_add_u32 v6, v6, 23, v10
	v_or3_b32 v3, v7, v6, v3
.LBB23_456:
	s_or_b64 exec, exec, s[6:7]
	s_nop 0
	v_mfma_f32_16x16x4f32 a[0:3], v2, v3, a[0:3]
	v_lshrrev_b32_e32 v3, 8, v8
	s_movk_i32 s4, 0x7f
	v_cmp_gt_i16_sdwa s[6:7], v3, s4 src0_sel:BYTE_0 src1_sel:DWORD
	s_mov_b64 s[4:5], 0
                                        ; implicit-def: $sgpr10
	s_and_saveexec_b64 s[8:9], s[6:7]
	s_xor_b64 s[6:7], exec, s[8:9]
	s_cbranch_execnz .LBB23_2505
; %bb.457:
	s_or_saveexec_b64 s[6:7], s[6:7]
	v_mov_b32_e32 v2, s10
	s_xor_b64 exec, exec, s[6:7]
	s_cbranch_execnz .LBB23_2508
.LBB23_458:
	s_or_b64 exec, exec, s[6:7]
	s_and_saveexec_b64 s[6:7], s[4:5]
	s_cbranch_execz .LBB23_460
.LBB23_459:
	v_bfe_u32 v2, v8, 8, 3
	v_ffbh_u32_e32 v7, v2
	v_min_u32_e32 v7, 32, v7
	v_lshrrev_b16_e32 v6, 3, v3
	v_subrev_u32_e32 v10, 28, v7
	v_and_b32_e32 v6, 15, v6
	v_lshlrev_b32_e32 v3, v10, v3
	v_sub_u32_e32 v7, 29, v7
	v_and_b32_e32 v3, 7, v3
	v_cmp_eq_u16_e32 vcc, 0, v6
	v_cndmask_b32_e32 v2, v2, v3, vcc
	v_cndmask_b32_e32 v3, v6, v7, vcc
	v_lshlrev_b32_e32 v6, 16, v8
	v_mov_b32_e32 v7, 0x3b800000
	v_lshlrev_b32_e32 v2, 20, v2
	v_and_b32_e32 v6, 0x80000000, v6
	v_lshl_add_u32 v3, v3, 23, v7
	v_or3_b32 v2, v6, v3, v2
.LBB23_460:
	s_or_b64 exec, exec, s[6:7]
	v_lshrrev_b32_e32 v3, 8, v4
	s_movk_i32 s4, 0x7f
	v_cmp_gt_i16_sdwa s[6:7], v3, s4 src0_sel:BYTE_0 src1_sel:DWORD
	s_mov_b64 s[4:5], 0
                                        ; implicit-def: $sgpr10
	s_and_saveexec_b64 s[8:9], s[6:7]
	s_xor_b64 s[6:7], exec, s[8:9]
	s_cbranch_execnz .LBB23_2509
; %bb.461:
	s_or_saveexec_b64 s[6:7], s[6:7]
	v_mov_b32_e32 v6, s10
	s_xor_b64 exec, exec, s[6:7]
	s_cbranch_execnz .LBB23_2512
.LBB23_462:
	s_or_b64 exec, exec, s[6:7]
	s_and_saveexec_b64 s[6:7], s[4:5]
	s_cbranch_execz .LBB23_464
.LBB23_463:
	v_bfe_u32 v6, v4, 8, 3
	v_ffbh_u32_e32 v10, v6
	v_min_u32_e32 v10, 32, v10
	v_lshrrev_b16_e32 v7, 3, v3
	v_subrev_u32_e32 v11, 28, v10
	v_and_b32_e32 v7, 15, v7
	v_lshlrev_b32_e32 v3, v11, v3
	v_sub_u32_e32 v10, 29, v10
	v_and_b32_e32 v3, 7, v3
	v_cmp_eq_u16_e32 vcc, 0, v7
	v_cndmask_b32_e32 v3, v6, v3, vcc
	v_cndmask_b32_e32 v6, v7, v10, vcc
	v_lshlrev_b32_e32 v7, 16, v4
	v_mov_b32_e32 v10, 0x3b800000
	v_lshlrev_b32_e32 v3, 20, v3
	v_and_b32_e32 v7, 0x80000000, v7
	v_lshl_add_u32 v6, v6, 23, v10
	v_or3_b32 v6, v7, v6, v3
.LBB23_464:
	s_or_b64 exec, exec, s[6:7]
	s_nop 0
	v_mfma_f32_16x16x4f32 a[0:3], v2, v6, a[0:3]
	s_movk_i32 s4, 0xff
	v_and_b32_sdwa v3, v8, s4 dst_sel:DWORD dst_unused:UNUSED_PAD src0_sel:WORD_1 src1_sel:DWORD
	s_movk_i32 s4, 0x7f
	v_cmp_lt_i16_e32 vcc, s4, v3
	s_mov_b64 s[4:5], 0
                                        ; implicit-def: $sgpr10
	s_and_saveexec_b64 s[6:7], vcc
	s_xor_b64 s[6:7], exec, s[6:7]
	s_cbranch_execnz .LBB23_2513
; %bb.465:
	s_or_saveexec_b64 s[6:7], s[6:7]
	v_mov_b32_e32 v2, s10
	s_xor_b64 exec, exec, s[6:7]
	s_cbranch_execnz .LBB23_2516
.LBB23_466:
	s_or_b64 exec, exec, s[6:7]
	s_and_saveexec_b64 s[6:7], s[4:5]
	s_cbranch_execz .LBB23_468
.LBB23_467:
	v_bfe_u32 v2, v8, 16, 3
	v_ffbh_u32_e32 v7, v2
	v_min_u32_e32 v7, 32, v7
	v_lshrrev_b32_e32 v3, 19, v8
	v_subrev_u32_e32 v10, 28, v7
	v_and_b32_e32 v3, 15, v3
	v_lshlrev_b32_sdwa v10, v10, v8 dst_sel:DWORD dst_unused:UNUSED_PAD src0_sel:DWORD src1_sel:WORD_1
	v_bfe_u32 v6, v8, 19, 4
	v_sub_u32_e32 v7, 29, v7
	v_and_b32_e32 v10, 7, v10
	v_cmp_eq_u16_e32 vcc, 0, v3
	v_cndmask_b32_e32 v2, v2, v10, vcc
	v_cndmask_b32_e32 v3, v6, v7, vcc
	v_lshlrev_b32_e32 v6, 8, v8
	v_mov_b32_e32 v7, 0x3b800000
	v_lshlrev_b32_e32 v2, 20, v2
	v_and_b32_e32 v6, 0x80000000, v6
	v_lshl_add_u32 v3, v3, 23, v7
	v_or3_b32 v2, v6, v3, v2
.LBB23_468:
	s_or_b64 exec, exec, s[6:7]
	s_movk_i32 s4, 0xff
	v_and_b32_sdwa v3, v4, s4 dst_sel:DWORD dst_unused:UNUSED_PAD src0_sel:WORD_1 src1_sel:DWORD
	s_movk_i32 s4, 0x7f
	v_cmp_lt_i16_e32 vcc, s4, v3
	s_mov_b64 s[4:5], 0
                                        ; implicit-def: $sgpr10
	s_and_saveexec_b64 s[6:7], vcc
	s_xor_b64 s[6:7], exec, s[6:7]
	s_cbranch_execnz .LBB23_2517
; %bb.469:
	s_or_saveexec_b64 s[6:7], s[6:7]
	v_mov_b32_e32 v6, s10
	s_xor_b64 exec, exec, s[6:7]
	s_cbranch_execnz .LBB23_2520
.LBB23_470:
	s_or_b64 exec, exec, s[6:7]
	s_and_saveexec_b64 s[6:7], s[4:5]
	s_cbranch_execz .LBB23_472
.LBB23_471:
	v_bfe_u32 v3, v4, 16, 3
	v_ffbh_u32_e32 v10, v3
	v_min_u32_e32 v10, 32, v10
	v_lshrrev_b32_e32 v6, 19, v4
	v_subrev_u32_e32 v11, 28, v10
	v_and_b32_e32 v6, 15, v6
	v_lshlrev_b32_sdwa v11, v11, v4 dst_sel:DWORD dst_unused:UNUSED_PAD src0_sel:DWORD src1_sel:WORD_1
	v_bfe_u32 v7, v4, 19, 4
	v_sub_u32_e32 v10, 29, v10
	v_and_b32_e32 v11, 7, v11
	v_cmp_eq_u16_e32 vcc, 0, v6
	v_cndmask_b32_e32 v3, v3, v11, vcc
	v_cndmask_b32_e32 v6, v7, v10, vcc
	v_lshlrev_b32_e32 v7, 8, v4
	v_mov_b32_e32 v10, 0x3b800000
	v_lshlrev_b32_e32 v3, 20, v3
	v_and_b32_e32 v7, 0x80000000, v7
	v_lshl_add_u32 v6, v6, 23, v10
	v_or3_b32 v6, v7, v6, v3
.LBB23_472:
	s_or_b64 exec, exec, s[6:7]
	s_nop 0
	v_mfma_f32_16x16x4f32 a[0:3], v2, v6, a[0:3]
	s_movk_i32 s4, 0x7f
	v_cmp_gt_i16_sdwa s[6:7], v8, s4 src0_sel:BYTE_3 src1_sel:DWORD
	s_mov_b64 s[4:5], 0
                                        ; implicit-def: $sgpr10
	s_and_saveexec_b64 s[8:9], s[6:7]
	s_xor_b64 s[6:7], exec, s[8:9]
	s_cbranch_execnz .LBB23_2521
; %bb.473:
	s_or_saveexec_b64 s[6:7], s[6:7]
	v_mov_b32_e32 v2, s10
	s_xor_b64 exec, exec, s[6:7]
	s_cbranch_execnz .LBB23_2524
.LBB23_474:
	s_or_b64 exec, exec, s[6:7]
	s_and_saveexec_b64 s[6:7], s[4:5]
	s_cbranch_execz .LBB23_476
.LBB23_475:
	v_bfe_u32 v2, v8, 24, 3
	v_ffbh_u32_e32 v10, v2
	v_min_u32_e32 v10, 32, v10
	v_lshrrev_b32_e32 v6, 27, v8
	v_subrev_u32_e32 v11, 28, v10
	v_and_b32_e32 v3, 0x80000000, v8
	v_and_b32_e32 v6, 15, v6
	v_bfe_u32 v7, v8, 27, 4
	v_lshlrev_b32_sdwa v8, v11, v8 dst_sel:DWORD dst_unused:UNUSED_PAD src0_sel:DWORD src1_sel:BYTE_3
	v_sub_u32_e32 v10, 29, v10
	v_and_b32_e32 v8, 7, v8
	v_cmp_eq_u16_e32 vcc, 0, v6
	v_cndmask_b32_e32 v2, v2, v8, vcc
	v_cndmask_b32_e32 v6, v7, v10, vcc
	v_mov_b32_e32 v7, 0x3b800000
	v_lshlrev_b32_e32 v2, 20, v2
	v_lshl_add_u32 v6, v6, 23, v7
	v_or3_b32 v2, v3, v6, v2
.LBB23_476:
	s_or_b64 exec, exec, s[6:7]
	s_movk_i32 s4, 0x7f
	v_cmp_gt_i16_sdwa s[6:7], v4, s4 src0_sel:BYTE_3 src1_sel:DWORD
	s_mov_b64 s[4:5], 0
                                        ; implicit-def: $sgpr10
	s_and_saveexec_b64 s[8:9], s[6:7]
	s_xor_b64 s[6:7], exec, s[8:9]
	s_cbranch_execnz .LBB23_2525
; %bb.477:
	s_or_saveexec_b64 s[6:7], s[6:7]
	v_mov_b32_e32 v3, s10
	s_xor_b64 exec, exec, s[6:7]
	s_cbranch_execnz .LBB23_2528
.LBB23_478:
	s_or_b64 exec, exec, s[6:7]
	s_and_saveexec_b64 s[6:7], s[4:5]
	s_cbranch_execz .LBB23_480
.LBB23_479:
	v_bfe_u32 v3, v4, 24, 3
	v_ffbh_u32_e32 v10, v3
	v_min_u32_e32 v10, 32, v10
	v_lshrrev_b32_e32 v7, 27, v4
	v_subrev_u32_e32 v11, 28, v10
	v_and_b32_e32 v6, 0x80000000, v4
	v_and_b32_e32 v7, 15, v7
	v_bfe_u32 v8, v4, 27, 4
	v_lshlrev_b32_sdwa v4, v11, v4 dst_sel:DWORD dst_unused:UNUSED_PAD src0_sel:DWORD src1_sel:BYTE_3
	v_sub_u32_e32 v10, 29, v10
	v_and_b32_e32 v4, 7, v4
	v_cmp_eq_u16_e32 vcc, 0, v7
	v_cndmask_b32_e32 v3, v3, v4, vcc
	v_cndmask_b32_e32 v4, v8, v10, vcc
	v_mov_b32_e32 v7, 0x3b800000
	v_lshlrev_b32_e32 v3, 20, v3
	v_lshl_add_u32 v4, v4, 23, v7
	v_or3_b32 v3, v6, v4, v3
.LBB23_480:
	s_or_b64 exec, exec, s[6:7]
	s_nop 0
	v_mfma_f32_16x16x4f32 a[0:3], v2, v3, a[0:3]
	s_movk_i32 s4, 0x7f
	v_cmp_gt_i16_sdwa s[6:7], v9, s4 src0_sel:BYTE_0 src1_sel:DWORD
	s_mov_b64 s[4:5], 0
                                        ; implicit-def: $sgpr10
	s_and_saveexec_b64 s[8:9], s[6:7]
	s_xor_b64 s[6:7], exec, s[8:9]
	s_cbranch_execnz .LBB23_2529
; %bb.481:
	s_or_saveexec_b64 s[6:7], s[6:7]
	v_mov_b32_e32 v2, s10
	s_xor_b64 exec, exec, s[6:7]
	s_cbranch_execnz .LBB23_2532
.LBB23_482:
	s_or_b64 exec, exec, s[6:7]
	s_and_saveexec_b64 s[6:7], s[4:5]
	s_cbranch_execz .LBB23_484
.LBB23_483:
	v_mov_b32_e32 v2, 8
	v_and_b32_e32 v3, 7, v9
	v_lshrrev_b32_sdwa v2, v2, v9 dst_sel:BYTE_1 dst_unused:UNUSED_PAD src0_sel:DWORD src1_sel:DWORD
	v_ffbh_u32_e32 v4, v3
	v_or_b32_sdwa v2, v9, v2 dst_sel:DWORD dst_unused:UNUSED_PAD src0_sel:BYTE_0 src1_sel:DWORD
	v_min_u32_e32 v4, 32, v4
	v_lshrrev_b16_e32 v2, 3, v2
	v_subrev_u32_e32 v6, 28, v4
	v_and_b32_e32 v2, 15, v2
	v_lshlrev_b32_e32 v6, v6, v9
	v_sub_u32_e32 v4, 29, v4
	v_and_b32_e32 v6, 7, v6
	v_cmp_eq_u16_e32 vcc, 0, v2
	v_cndmask_b32_e32 v3, v3, v6, vcc
	v_cndmask_b32_e32 v2, v2, v4, vcc
	v_lshlrev_b32_e32 v4, 24, v9
	v_mov_b32_e32 v6, 0x3b800000
	v_lshlrev_b32_e32 v3, 20, v3
	v_and_b32_e32 v4, 0x80000000, v4
	v_lshl_add_u32 v2, v2, 23, v6
	v_or3_b32 v2, v4, v2, v3
.LBB23_484:
	s_or_b64 exec, exec, s[6:7]
	s_movk_i32 s4, 0x7f
	v_cmp_gt_i16_sdwa s[6:7], v5, s4 src0_sel:BYTE_0 src1_sel:DWORD
	s_mov_b64 s[4:5], 0
                                        ; implicit-def: $sgpr10
	s_and_saveexec_b64 s[8:9], s[6:7]
	s_xor_b64 s[6:7], exec, s[8:9]
	s_cbranch_execnz .LBB23_2533
; %bb.485:
	s_or_saveexec_b64 s[6:7], s[6:7]
	v_mov_b32_e32 v3, s10
	s_xor_b64 exec, exec, s[6:7]
	s_cbranch_execnz .LBB23_2536
.LBB23_486:
	s_or_b64 exec, exec, s[6:7]
	s_and_saveexec_b64 s[6:7], s[4:5]
	s_cbranch_execz .LBB23_488
.LBB23_487:
	v_mov_b32_e32 v3, 8
	v_and_b32_e32 v4, 7, v5
	v_lshrrev_b32_sdwa v3, v3, v5 dst_sel:BYTE_1 dst_unused:UNUSED_PAD src0_sel:DWORD src1_sel:DWORD
	v_ffbh_u32_e32 v6, v4
	v_or_b32_sdwa v3, v5, v3 dst_sel:DWORD dst_unused:UNUSED_PAD src0_sel:BYTE_0 src1_sel:DWORD
	v_min_u32_e32 v6, 32, v6
	v_lshrrev_b16_e32 v3, 3, v3
	v_subrev_u32_e32 v7, 28, v6
	v_and_b32_e32 v3, 15, v3
	v_lshlrev_b32_e32 v7, v7, v5
	v_sub_u32_e32 v6, 29, v6
	v_and_b32_e32 v7, 7, v7
	v_cmp_eq_u16_e32 vcc, 0, v3
	v_cndmask_b32_e32 v4, v4, v7, vcc
	v_cndmask_b32_e32 v3, v3, v6, vcc
	v_lshlrev_b32_e32 v6, 24, v5
	v_mov_b32_e32 v7, 0x3b800000
	v_lshlrev_b32_e32 v4, 20, v4
	v_and_b32_e32 v6, 0x80000000, v6
	v_lshl_add_u32 v3, v3, 23, v7
	v_or3_b32 v3, v6, v3, v4
.LBB23_488:
	s_or_b64 exec, exec, s[6:7]
	s_nop 0
	v_mfma_f32_16x16x4f32 a[0:3], v2, v3, a[0:3]
	v_lshrrev_b32_e32 v3, 8, v9
	s_movk_i32 s4, 0x7f
	v_cmp_gt_i16_sdwa s[6:7], v3, s4 src0_sel:BYTE_0 src1_sel:DWORD
	s_mov_b64 s[4:5], 0
                                        ; implicit-def: $sgpr10
	s_and_saveexec_b64 s[8:9], s[6:7]
	s_xor_b64 s[6:7], exec, s[8:9]
	s_cbranch_execnz .LBB23_2537
; %bb.489:
	s_or_saveexec_b64 s[6:7], s[6:7]
	v_mov_b32_e32 v2, s10
	s_xor_b64 exec, exec, s[6:7]
	s_cbranch_execnz .LBB23_2540
.LBB23_490:
	s_or_b64 exec, exec, s[6:7]
	s_and_saveexec_b64 s[6:7], s[4:5]
	s_cbranch_execz .LBB23_492
.LBB23_491:
	v_bfe_u32 v2, v9, 8, 3
	v_ffbh_u32_e32 v6, v2
	v_min_u32_e32 v6, 32, v6
	v_lshrrev_b16_e32 v4, 3, v3
	v_subrev_u32_e32 v7, 28, v6
	v_and_b32_e32 v4, 15, v4
	v_lshlrev_b32_e32 v3, v7, v3
	v_sub_u32_e32 v6, 29, v6
	v_and_b32_e32 v3, 7, v3
	v_cmp_eq_u16_e32 vcc, 0, v4
	v_cndmask_b32_e32 v2, v2, v3, vcc
	v_cndmask_b32_e32 v3, v4, v6, vcc
	v_lshlrev_b32_e32 v4, 16, v9
	v_mov_b32_e32 v6, 0x3b800000
	v_lshlrev_b32_e32 v2, 20, v2
	v_and_b32_e32 v4, 0x80000000, v4
	v_lshl_add_u32 v3, v3, 23, v6
	v_or3_b32 v2, v4, v3, v2
.LBB23_492:
	s_or_b64 exec, exec, s[6:7]
	v_lshrrev_b32_e32 v3, 8, v5
	s_movk_i32 s4, 0x7f
	v_cmp_gt_i16_sdwa s[6:7], v3, s4 src0_sel:BYTE_0 src1_sel:DWORD
	s_mov_b64 s[4:5], 0
                                        ; implicit-def: $sgpr10
	s_and_saveexec_b64 s[8:9], s[6:7]
	s_xor_b64 s[6:7], exec, s[8:9]
	s_cbranch_execnz .LBB23_2541
; %bb.493:
	s_or_saveexec_b64 s[6:7], s[6:7]
	v_mov_b32_e32 v4, s10
	s_xor_b64 exec, exec, s[6:7]
	s_cbranch_execnz .LBB23_2544
.LBB23_494:
	s_or_b64 exec, exec, s[6:7]
	s_and_saveexec_b64 s[6:7], s[4:5]
	s_cbranch_execz .LBB23_496
.LBB23_495:
	v_bfe_u32 v4, v5, 8, 3
	v_ffbh_u32_e32 v7, v4
	v_min_u32_e32 v7, 32, v7
	v_lshrrev_b16_e32 v6, 3, v3
	v_subrev_u32_e32 v8, 28, v7
	v_and_b32_e32 v6, 15, v6
	v_lshlrev_b32_e32 v3, v8, v3
	v_sub_u32_e32 v7, 29, v7
	v_and_b32_e32 v3, 7, v3
	v_cmp_eq_u16_e32 vcc, 0, v6
	v_cndmask_b32_e32 v3, v4, v3, vcc
	v_cndmask_b32_e32 v4, v6, v7, vcc
	v_lshlrev_b32_e32 v6, 16, v5
	v_mov_b32_e32 v7, 0x3b800000
	v_lshlrev_b32_e32 v3, 20, v3
	v_and_b32_e32 v6, 0x80000000, v6
	v_lshl_add_u32 v4, v4, 23, v7
	v_or3_b32 v4, v6, v4, v3
.LBB23_496:
	s_or_b64 exec, exec, s[6:7]
	s_nop 0
	v_mfma_f32_16x16x4f32 a[0:3], v2, v4, a[0:3]
	s_movk_i32 s4, 0xff
	v_and_b32_sdwa v3, v9, s4 dst_sel:DWORD dst_unused:UNUSED_PAD src0_sel:WORD_1 src1_sel:DWORD
	s_movk_i32 s4, 0x7f
	v_cmp_lt_i16_e32 vcc, s4, v3
	s_mov_b64 s[4:5], 0
                                        ; implicit-def: $sgpr10
	s_and_saveexec_b64 s[6:7], vcc
	s_xor_b64 s[6:7], exec, s[6:7]
	s_cbranch_execnz .LBB23_2545
; %bb.497:
	s_or_saveexec_b64 s[6:7], s[6:7]
	v_mov_b32_e32 v2, s10
	s_xor_b64 exec, exec, s[6:7]
	s_cbranch_execnz .LBB23_2548
.LBB23_498:
	s_or_b64 exec, exec, s[6:7]
	s_and_saveexec_b64 s[6:7], s[4:5]
	s_cbranch_execz .LBB23_500
.LBB23_499:
	v_bfe_u32 v2, v9, 16, 3
	v_ffbh_u32_e32 v6, v2
	v_min_u32_e32 v6, 32, v6
	v_lshrrev_b32_e32 v3, 19, v9
	v_subrev_u32_e32 v7, 28, v6
	v_and_b32_e32 v3, 15, v3
	v_lshlrev_b32_sdwa v7, v7, v9 dst_sel:DWORD dst_unused:UNUSED_PAD src0_sel:DWORD src1_sel:WORD_1
	v_bfe_u32 v4, v9, 19, 4
	v_sub_u32_e32 v6, 29, v6
	v_and_b32_e32 v7, 7, v7
	v_cmp_eq_u16_e32 vcc, 0, v3
	v_cndmask_b32_e32 v2, v2, v7, vcc
	v_cndmask_b32_e32 v3, v4, v6, vcc
	v_lshlrev_b32_e32 v4, 8, v9
	v_mov_b32_e32 v6, 0x3b800000
	v_lshlrev_b32_e32 v2, 20, v2
	v_and_b32_e32 v4, 0x80000000, v4
	v_lshl_add_u32 v3, v3, 23, v6
	v_or3_b32 v2, v4, v3, v2
.LBB23_500:
	s_or_b64 exec, exec, s[6:7]
	s_movk_i32 s4, 0xff
	v_and_b32_sdwa v3, v5, s4 dst_sel:DWORD dst_unused:UNUSED_PAD src0_sel:WORD_1 src1_sel:DWORD
	s_movk_i32 s4, 0x7f
	v_cmp_lt_i16_e32 vcc, s4, v3
	s_mov_b64 s[4:5], 0
                                        ; implicit-def: $sgpr10
	s_and_saveexec_b64 s[6:7], vcc
	s_xor_b64 s[6:7], exec, s[6:7]
	s_cbranch_execnz .LBB23_2549
; %bb.501:
	s_or_saveexec_b64 s[6:7], s[6:7]
	v_mov_b32_e32 v4, s10
	s_xor_b64 exec, exec, s[6:7]
	s_cbranch_execnz .LBB23_2552
.LBB23_502:
	s_or_b64 exec, exec, s[6:7]
	s_and_saveexec_b64 s[6:7], s[4:5]
	s_cbranch_execz .LBB23_504
.LBB23_503:
	v_bfe_u32 v3, v5, 16, 3
	v_ffbh_u32_e32 v7, v3
	v_min_u32_e32 v7, 32, v7
	v_lshrrev_b32_e32 v4, 19, v5
	v_subrev_u32_e32 v8, 28, v7
	v_and_b32_e32 v4, 15, v4
	v_lshlrev_b32_sdwa v8, v8, v5 dst_sel:DWORD dst_unused:UNUSED_PAD src0_sel:DWORD src1_sel:WORD_1
	v_bfe_u32 v6, v5, 19, 4
	v_sub_u32_e32 v7, 29, v7
	v_and_b32_e32 v8, 7, v8
	v_cmp_eq_u16_e32 vcc, 0, v4
	v_cndmask_b32_e32 v3, v3, v8, vcc
	v_cndmask_b32_e32 v4, v6, v7, vcc
	v_lshlrev_b32_e32 v6, 8, v5
	v_mov_b32_e32 v7, 0x3b800000
	v_lshlrev_b32_e32 v3, 20, v3
	v_and_b32_e32 v6, 0x80000000, v6
	v_lshl_add_u32 v4, v4, 23, v7
	v_or3_b32 v4, v6, v4, v3
.LBB23_504:
	s_or_b64 exec, exec, s[6:7]
	s_nop 0
	v_mfma_f32_16x16x4f32 a[0:3], v2, v4, a[0:3]
	s_movk_i32 s4, 0x7f
	v_cmp_gt_i16_sdwa s[6:7], v9, s4 src0_sel:BYTE_3 src1_sel:DWORD
	s_mov_b64 s[4:5], 0
                                        ; implicit-def: $sgpr10
	s_and_saveexec_b64 s[8:9], s[6:7]
	s_xor_b64 s[6:7], exec, s[8:9]
	s_cbranch_execnz .LBB23_2553
; %bb.505:
	s_or_saveexec_b64 s[6:7], s[6:7]
	v_mov_b32_e32 v2, s10
	s_xor_b64 exec, exec, s[6:7]
	s_cbranch_execnz .LBB23_2556
.LBB23_506:
	s_or_b64 exec, exec, s[6:7]
	s_and_saveexec_b64 s[6:7], s[4:5]
	s_cbranch_execz .LBB23_508
.LBB23_507:
	v_bfe_u32 v2, v9, 24, 3
	v_ffbh_u32_e32 v7, v2
	v_min_u32_e32 v7, 32, v7
	v_lshrrev_b32_e32 v4, 27, v9
	v_subrev_u32_e32 v8, 28, v7
	v_and_b32_e32 v4, 15, v4
	v_lshlrev_b32_sdwa v8, v8, v9 dst_sel:DWORD dst_unused:UNUSED_PAD src0_sel:DWORD src1_sel:BYTE_3
	v_bfe_u32 v6, v9, 27, 4
	v_sub_u32_e32 v7, 29, v7
	v_and_b32_e32 v8, 7, v8
	v_cmp_eq_u16_e32 vcc, 0, v4
	v_cndmask_b32_e32 v2, v2, v8, vcc
	v_cndmask_b32_e32 v4, v6, v7, vcc
	v_mov_b32_e32 v6, 0x3b800000
	v_and_b32_e32 v3, 0x80000000, v9
	v_lshlrev_b32_e32 v2, 20, v2
	v_lshl_add_u32 v4, v4, 23, v6
	v_or3_b32 v2, v3, v4, v2
.LBB23_508:
	s_or_b64 exec, exec, s[6:7]
	s_movk_i32 s4, 0x7f
	v_cmp_gt_i16_sdwa s[6:7], v5, s4 src0_sel:BYTE_3 src1_sel:DWORD
	s_mov_b64 s[4:5], 0
                                        ; implicit-def: $sgpr10
	s_and_saveexec_b64 s[8:9], s[6:7]
	s_xor_b64 s[6:7], exec, s[8:9]
	s_cbranch_execnz .LBB23_2557
; %bb.509:
	s_or_saveexec_b64 s[6:7], s[6:7]
	v_mov_b32_e32 v3, s10
	s_xor_b64 exec, exec, s[6:7]
	s_cbranch_execnz .LBB23_2560
.LBB23_510:
	s_or_b64 exec, exec, s[6:7]
	s_and_saveexec_b64 s[6:7], s[4:5]
	s_cbranch_execz .LBB23_512
.LBB23_511:
	v_bfe_u32 v3, v5, 24, 3
	v_ffbh_u32_e32 v8, v3
	v_min_u32_e32 v8, 32, v8
	v_lshrrev_b32_e32 v6, 27, v5
	v_subrev_u32_e32 v9, 28, v8
	v_and_b32_e32 v4, 0x80000000, v5
	v_and_b32_e32 v6, 15, v6
	v_bfe_u32 v7, v5, 27, 4
	v_lshlrev_b32_sdwa v5, v9, v5 dst_sel:DWORD dst_unused:UNUSED_PAD src0_sel:DWORD src1_sel:BYTE_3
	v_sub_u32_e32 v8, 29, v8
	v_and_b32_e32 v5, 7, v5
	v_cmp_eq_u16_e32 vcc, 0, v6
	v_cndmask_b32_e32 v3, v3, v5, vcc
	v_cndmask_b32_e32 v5, v7, v8, vcc
	v_mov_b32_e32 v6, 0x3b800000
	v_lshlrev_b32_e32 v3, 20, v3
	v_lshl_add_u32 v5, v5, 23, v6
	v_or3_b32 v3, v4, v5, v3
.LBB23_512:
	s_or_b64 exec, exec, s[6:7]
	s_nop 0
	v_mfma_f32_16x16x4f32 a[0:3], v2, v3, a[0:3]
	s_movk_i32 s4, 0x7f
                                        ; implicit-def: $sgpr10
	s_nop 7
	s_nop 1
	flat_store_dwordx4 v[18:19], a[0:3] offset:656
	flat_load_dwordx4 v[20:23], v[0:1] offset:8
	s_nop 0
	flat_load_dwordx2 v[18:19], v[0:1] offset:24
	s_waitcnt vmcnt(0) lgkmcnt(0)
	flat_load_dwordx4 v[14:17], v[20:21] offset:32
	flat_load_dwordx4 v[6:9], v[20:21] offset:48
	;; [unrolled: 1-line block ×4, first 2 shown]
	s_waitcnt vmcnt(0) lgkmcnt(0)
	v_cmp_gt_i16_sdwa s[6:7], v14, s4 src0_sel:BYTE_0 src1_sel:DWORD
	s_mov_b64 s[4:5], 0
	s_and_saveexec_b64 s[8:9], s[6:7]
	s_xor_b64 s[6:7], exec, s[8:9]
	s_cbranch_execnz .LBB23_2561
; %bb.513:
	s_or_saveexec_b64 s[6:7], s[6:7]
	v_mov_b32_e32 v20, s10
	s_xor_b64 exec, exec, s[6:7]
	s_cbranch_execnz .LBB23_2564
.LBB23_514:
	s_or_b64 exec, exec, s[6:7]
	s_and_saveexec_b64 s[6:7], s[4:5]
	s_cbranch_execz .LBB23_516
.LBB23_515:
	v_and_b32_e32 v20, 7, v14
	v_ffbh_u32_e32 v22, v20
	v_min_u32_e32 v22, 32, v22
	v_lshrrev_b16_e32 v21, 3, v14
	v_subrev_u32_e32 v23, 28, v22
	v_and_b32_e32 v21, 15, v21
	v_lshlrev_b32_e32 v23, v23, v14
	v_sub_u32_e32 v22, 29, v22
	v_and_b32_e32 v23, 7, v23
	v_cmp_eq_u16_e32 vcc, 0, v21
	v_cndmask_b32_e32 v20, v20, v23, vcc
	v_cndmask_b32_e32 v21, v21, v22, vcc
	v_lshlrev_b32_e32 v22, 24, v14
	v_mov_b32_e32 v23, 0x3b800000
	v_lshlrev_b32_e32 v20, 20, v20
	v_and_b32_e32 v22, 0x80000000, v22
	v_lshl_add_u32 v21, v21, 23, v23
	v_or3_b32 v20, v22, v21, v20
.LBB23_516:
	s_or_b64 exec, exec, s[6:7]
	s_movk_i32 s4, 0x7f
	v_cmp_gt_i16_sdwa s[6:7], v10, s4 src0_sel:BYTE_0 src1_sel:DWORD
	s_mov_b64 s[4:5], 0
                                        ; implicit-def: $sgpr10
	s_and_saveexec_b64 s[8:9], s[6:7]
	s_xor_b64 s[6:7], exec, s[8:9]
	s_cbranch_execnz .LBB23_2565
; %bb.517:
	s_or_saveexec_b64 s[6:7], s[6:7]
	v_mov_b32_e32 v21, s10
	s_xor_b64 exec, exec, s[6:7]
	s_cbranch_execnz .LBB23_2568
.LBB23_518:
	s_or_b64 exec, exec, s[6:7]
	s_and_saveexec_b64 s[6:7], s[4:5]
	s_cbranch_execz .LBB23_520
.LBB23_519:
	v_and_b32_e32 v21, 7, v10
	v_ffbh_u32_e32 v23, v21
	v_min_u32_e32 v23, 32, v23
	v_lshrrev_b16_e32 v22, 3, v10
	v_subrev_u32_e32 v24, 28, v23
	v_and_b32_e32 v22, 15, v22
	v_lshlrev_b32_e32 v24, v24, v10
	v_sub_u32_e32 v23, 29, v23
	v_and_b32_e32 v24, 7, v24
	v_cmp_eq_u16_e32 vcc, 0, v22
	v_cndmask_b32_e32 v21, v21, v24, vcc
	v_cndmask_b32_e32 v22, v22, v23, vcc
	v_lshlrev_b32_e32 v23, 24, v10
	v_mov_b32_e32 v24, 0x3b800000
	v_lshlrev_b32_e32 v21, 20, v21
	v_and_b32_e32 v23, 0x80000000, v23
	v_lshl_add_u32 v22, v22, 23, v24
	v_or3_b32 v21, v23, v22, v21
.LBB23_520:
	s_or_b64 exec, exec, s[6:7]
	flat_load_dwordx4 a[0:3], v[18:19] offset:672
	s_movk_i32 s4, 0x7f
                                        ; implicit-def: $sgpr10
	s_waitcnt vmcnt(0) lgkmcnt(0)
	v_mfma_f32_16x16x4f32 a[0:3], v20, v21, a[0:3]
	v_lshrrev_b32_e32 v21, 8, v14
	v_cmp_gt_i16_sdwa s[6:7], v21, s4 src0_sel:BYTE_0 src1_sel:DWORD
	s_mov_b64 s[4:5], 0
	s_and_saveexec_b64 s[8:9], s[6:7]
	s_xor_b64 s[6:7], exec, s[8:9]
	s_cbranch_execnz .LBB23_2569
; %bb.521:
	s_or_saveexec_b64 s[6:7], s[6:7]
	v_mov_b32_e32 v20, s10
	s_xor_b64 exec, exec, s[6:7]
	s_cbranch_execnz .LBB23_2572
.LBB23_522:
	s_or_b64 exec, exec, s[6:7]
	s_and_saveexec_b64 s[6:7], s[4:5]
	s_cbranch_execz .LBB23_524
.LBB23_523:
	v_bfe_u32 v20, v14, 8, 3
	v_ffbh_u32_e32 v23, v20
	v_min_u32_e32 v23, 32, v23
	v_lshrrev_b16_e32 v22, 3, v21
	v_subrev_u32_e32 v24, 28, v23
	v_and_b32_e32 v22, 15, v22
	v_lshlrev_b32_e32 v21, v24, v21
	v_sub_u32_e32 v23, 29, v23
	v_and_b32_e32 v21, 7, v21
	v_cmp_eq_u16_e32 vcc, 0, v22
	v_cndmask_b32_e32 v20, v20, v21, vcc
	v_cndmask_b32_e32 v21, v22, v23, vcc
	v_lshlrev_b32_e32 v22, 16, v14
	v_mov_b32_e32 v23, 0x3b800000
	v_lshlrev_b32_e32 v20, 20, v20
	v_and_b32_e32 v22, 0x80000000, v22
	v_lshl_add_u32 v21, v21, 23, v23
	v_or3_b32 v20, v22, v21, v20
.LBB23_524:
	s_or_b64 exec, exec, s[6:7]
	v_lshrrev_b32_e32 v21, 8, v10
	s_movk_i32 s4, 0x7f
	v_cmp_gt_i16_sdwa s[6:7], v21, s4 src0_sel:BYTE_0 src1_sel:DWORD
	s_mov_b64 s[4:5], 0
                                        ; implicit-def: $sgpr10
	s_and_saveexec_b64 s[8:9], s[6:7]
	s_xor_b64 s[6:7], exec, s[8:9]
	s_cbranch_execnz .LBB23_2573
; %bb.525:
	s_or_saveexec_b64 s[6:7], s[6:7]
	v_mov_b32_e32 v22, s10
	s_xor_b64 exec, exec, s[6:7]
	s_cbranch_execnz .LBB23_2576
.LBB23_526:
	s_or_b64 exec, exec, s[6:7]
	s_and_saveexec_b64 s[6:7], s[4:5]
	s_cbranch_execz .LBB23_528
.LBB23_527:
	v_bfe_u32 v22, v10, 8, 3
	v_ffbh_u32_e32 v24, v22
	v_min_u32_e32 v24, 32, v24
	v_lshrrev_b16_e32 v23, 3, v21
	v_subrev_u32_e32 v25, 28, v24
	v_and_b32_e32 v23, 15, v23
	v_lshlrev_b32_e32 v21, v25, v21
	v_sub_u32_e32 v24, 29, v24
	v_and_b32_e32 v21, 7, v21
	v_cmp_eq_u16_e32 vcc, 0, v23
	v_cndmask_b32_e32 v21, v22, v21, vcc
	v_cndmask_b32_e32 v22, v23, v24, vcc
	v_lshlrev_b32_e32 v23, 16, v10
	v_mov_b32_e32 v24, 0x3b800000
	v_lshlrev_b32_e32 v21, 20, v21
	v_and_b32_e32 v23, 0x80000000, v23
	v_lshl_add_u32 v22, v22, 23, v24
	v_or3_b32 v22, v23, v22, v21
.LBB23_528:
	s_or_b64 exec, exec, s[6:7]
	s_nop 0
	v_mfma_f32_16x16x4f32 a[0:3], v20, v22, a[0:3]
	s_movk_i32 s4, 0xff
	v_and_b32_sdwa v21, v14, s4 dst_sel:DWORD dst_unused:UNUSED_PAD src0_sel:WORD_1 src1_sel:DWORD
	s_movk_i32 s4, 0x7f
	v_cmp_lt_i16_e32 vcc, s4, v21
	s_mov_b64 s[4:5], 0
                                        ; implicit-def: $sgpr10
	s_and_saveexec_b64 s[6:7], vcc
	s_xor_b64 s[6:7], exec, s[6:7]
	s_cbranch_execnz .LBB23_2577
; %bb.529:
	s_or_saveexec_b64 s[6:7], s[6:7]
	v_mov_b32_e32 v20, s10
	s_xor_b64 exec, exec, s[6:7]
	s_cbranch_execnz .LBB23_2580
.LBB23_530:
	s_or_b64 exec, exec, s[6:7]
	s_and_saveexec_b64 s[6:7], s[4:5]
	s_cbranch_execz .LBB23_532
.LBB23_531:
	v_bfe_u32 v20, v14, 16, 3
	v_ffbh_u32_e32 v23, v20
	v_min_u32_e32 v23, 32, v23
	v_lshrrev_b32_e32 v21, 19, v14
	v_subrev_u32_e32 v24, 28, v23
	v_and_b32_e32 v21, 15, v21
	v_lshlrev_b32_sdwa v24, v24, v14 dst_sel:DWORD dst_unused:UNUSED_PAD src0_sel:DWORD src1_sel:WORD_1
	v_bfe_u32 v22, v14, 19, 4
	v_sub_u32_e32 v23, 29, v23
	v_and_b32_e32 v24, 7, v24
	v_cmp_eq_u16_e32 vcc, 0, v21
	v_cndmask_b32_e32 v20, v20, v24, vcc
	v_cndmask_b32_e32 v21, v22, v23, vcc
	v_lshlrev_b32_e32 v22, 8, v14
	v_mov_b32_e32 v23, 0x3b800000
	v_lshlrev_b32_e32 v20, 20, v20
	v_and_b32_e32 v22, 0x80000000, v22
	v_lshl_add_u32 v21, v21, 23, v23
	v_or3_b32 v20, v22, v21, v20
.LBB23_532:
	s_or_b64 exec, exec, s[6:7]
	s_movk_i32 s4, 0xff
	v_and_b32_sdwa v21, v10, s4 dst_sel:DWORD dst_unused:UNUSED_PAD src0_sel:WORD_1 src1_sel:DWORD
	s_movk_i32 s4, 0x7f
	v_cmp_lt_i16_e32 vcc, s4, v21
	s_mov_b64 s[4:5], 0
                                        ; implicit-def: $sgpr10
	s_and_saveexec_b64 s[6:7], vcc
	s_xor_b64 s[6:7], exec, s[6:7]
	s_cbranch_execnz .LBB23_2581
; %bb.533:
	s_or_saveexec_b64 s[6:7], s[6:7]
	v_mov_b32_e32 v22, s10
	s_xor_b64 exec, exec, s[6:7]
	s_cbranch_execnz .LBB23_2584
.LBB23_534:
	s_or_b64 exec, exec, s[6:7]
	s_and_saveexec_b64 s[6:7], s[4:5]
	s_cbranch_execz .LBB23_536
.LBB23_535:
	v_bfe_u32 v21, v10, 16, 3
	v_ffbh_u32_e32 v24, v21
	v_min_u32_e32 v24, 32, v24
	v_lshrrev_b32_e32 v22, 19, v10
	v_subrev_u32_e32 v25, 28, v24
	v_and_b32_e32 v22, 15, v22
	v_lshlrev_b32_sdwa v25, v25, v10 dst_sel:DWORD dst_unused:UNUSED_PAD src0_sel:DWORD src1_sel:WORD_1
	v_bfe_u32 v23, v10, 19, 4
	v_sub_u32_e32 v24, 29, v24
	v_and_b32_e32 v25, 7, v25
	v_cmp_eq_u16_e32 vcc, 0, v22
	v_cndmask_b32_e32 v21, v21, v25, vcc
	v_cndmask_b32_e32 v22, v23, v24, vcc
	v_lshlrev_b32_e32 v23, 8, v10
	v_mov_b32_e32 v24, 0x3b800000
	v_lshlrev_b32_e32 v21, 20, v21
	v_and_b32_e32 v23, 0x80000000, v23
	v_lshl_add_u32 v22, v22, 23, v24
	v_or3_b32 v22, v23, v22, v21
.LBB23_536:
	s_or_b64 exec, exec, s[6:7]
	s_nop 0
	v_mfma_f32_16x16x4f32 a[0:3], v20, v22, a[0:3]
	s_movk_i32 s4, 0x7f
	v_cmp_gt_i16_sdwa s[6:7], v14, s4 src0_sel:BYTE_3 src1_sel:DWORD
	s_mov_b64 s[4:5], 0
                                        ; implicit-def: $sgpr10
	s_and_saveexec_b64 s[8:9], s[6:7]
	s_xor_b64 s[6:7], exec, s[8:9]
	s_cbranch_execnz .LBB23_2585
; %bb.537:
	s_or_saveexec_b64 s[6:7], s[6:7]
	v_mov_b32_e32 v20, s10
	s_xor_b64 exec, exec, s[6:7]
	s_cbranch_execnz .LBB23_2588
.LBB23_538:
	s_or_b64 exec, exec, s[6:7]
	s_and_saveexec_b64 s[6:7], s[4:5]
	s_cbranch_execz .LBB23_540
.LBB23_539:
	v_bfe_u32 v20, v14, 24, 3
	v_ffbh_u32_e32 v24, v20
	v_min_u32_e32 v24, 32, v24
	v_lshrrev_b32_e32 v22, 27, v14
	v_subrev_u32_e32 v25, 28, v24
	v_and_b32_e32 v21, 0x80000000, v14
	v_and_b32_e32 v22, 15, v22
	v_bfe_u32 v23, v14, 27, 4
	v_lshlrev_b32_sdwa v14, v25, v14 dst_sel:DWORD dst_unused:UNUSED_PAD src0_sel:DWORD src1_sel:BYTE_3
	v_sub_u32_e32 v24, 29, v24
	v_and_b32_e32 v14, 7, v14
	v_cmp_eq_u16_e32 vcc, 0, v22
	v_cndmask_b32_e32 v14, v20, v14, vcc
	v_cndmask_b32_e32 v20, v23, v24, vcc
	v_mov_b32_e32 v22, 0x3b800000
	v_lshlrev_b32_e32 v14, 20, v14
	v_lshl_add_u32 v20, v20, 23, v22
	v_or3_b32 v20, v21, v20, v14
.LBB23_540:
	s_or_b64 exec, exec, s[6:7]
	s_movk_i32 s4, 0x7f
	v_cmp_gt_i16_sdwa s[6:7], v10, s4 src0_sel:BYTE_3 src1_sel:DWORD
	s_mov_b64 s[4:5], 0
                                        ; implicit-def: $sgpr10
	s_and_saveexec_b64 s[8:9], s[6:7]
	s_xor_b64 s[6:7], exec, s[8:9]
	s_cbranch_execnz .LBB23_2589
; %bb.541:
	s_or_saveexec_b64 s[6:7], s[6:7]
	v_mov_b32_e32 v14, s10
	s_xor_b64 exec, exec, s[6:7]
	s_cbranch_execnz .LBB23_2592
.LBB23_542:
	s_or_b64 exec, exec, s[6:7]
	s_and_saveexec_b64 s[6:7], s[4:5]
	s_cbranch_execz .LBB23_544
.LBB23_543:
	v_bfe_u32 v14, v10, 24, 3
	v_ffbh_u32_e32 v24, v14
	v_min_u32_e32 v24, 32, v24
	v_lshrrev_b32_e32 v22, 27, v10
	v_subrev_u32_e32 v25, 28, v24
	v_and_b32_e32 v21, 0x80000000, v10
	v_and_b32_e32 v22, 15, v22
	v_bfe_u32 v23, v10, 27, 4
	v_lshlrev_b32_sdwa v10, v25, v10 dst_sel:DWORD dst_unused:UNUSED_PAD src0_sel:DWORD src1_sel:BYTE_3
	v_sub_u32_e32 v24, 29, v24
	v_and_b32_e32 v10, 7, v10
	v_cmp_eq_u16_e32 vcc, 0, v22
	v_cndmask_b32_e32 v10, v14, v10, vcc
	v_cndmask_b32_e32 v14, v23, v24, vcc
	v_mov_b32_e32 v22, 0x3b800000
	v_lshlrev_b32_e32 v10, 20, v10
	v_lshl_add_u32 v14, v14, 23, v22
	v_or3_b32 v14, v21, v14, v10
.LBB23_544:
	s_or_b64 exec, exec, s[6:7]
	s_nop 0
	v_mfma_f32_16x16x4f32 a[0:3], v20, v14, a[0:3]
	s_movk_i32 s4, 0x7f
	v_cmp_gt_i16_sdwa s[6:7], v15, s4 src0_sel:BYTE_0 src1_sel:DWORD
	s_mov_b64 s[4:5], 0
                                        ; implicit-def: $sgpr10
	s_and_saveexec_b64 s[8:9], s[6:7]
	s_xor_b64 s[6:7], exec, s[8:9]
	s_cbranch_execnz .LBB23_2593
; %bb.545:
	s_or_saveexec_b64 s[6:7], s[6:7]
	v_mov_b32_e32 v10, s10
	s_xor_b64 exec, exec, s[6:7]
	s_cbranch_execnz .LBB23_2596
.LBB23_546:
	s_or_b64 exec, exec, s[6:7]
	s_and_saveexec_b64 s[6:7], s[4:5]
	s_cbranch_execz .LBB23_548
.LBB23_547:
	v_and_b32_e32 v10, 7, v15
	v_ffbh_u32_e32 v20, v10
	v_min_u32_e32 v20, 32, v20
	v_lshrrev_b16_e32 v14, 3, v15
	v_subrev_u32_e32 v21, 28, v20
	v_and_b32_e32 v14, 15, v14
	v_lshlrev_b32_e32 v21, v21, v15
	v_sub_u32_e32 v20, 29, v20
	v_and_b32_e32 v21, 7, v21
	v_cmp_eq_u16_e32 vcc, 0, v14
	v_cndmask_b32_e32 v10, v10, v21, vcc
	v_cndmask_b32_e32 v14, v14, v20, vcc
	v_lshlrev_b32_e32 v20, 24, v15
	v_mov_b32_e32 v21, 0x3b800000
	v_lshlrev_b32_e32 v10, 20, v10
	v_and_b32_e32 v20, 0x80000000, v20
	v_lshl_add_u32 v14, v14, 23, v21
	v_or3_b32 v10, v20, v14, v10
.LBB23_548:
	s_or_b64 exec, exec, s[6:7]
	s_movk_i32 s4, 0x7f
	v_cmp_gt_i16_sdwa s[6:7], v11, s4 src0_sel:BYTE_0 src1_sel:DWORD
	s_mov_b64 s[4:5], 0
                                        ; implicit-def: $sgpr10
	s_and_saveexec_b64 s[8:9], s[6:7]
	s_xor_b64 s[6:7], exec, s[8:9]
	s_cbranch_execnz .LBB23_2597
; %bb.549:
	s_or_saveexec_b64 s[6:7], s[6:7]
	v_mov_b32_e32 v14, s10
	s_xor_b64 exec, exec, s[6:7]
	s_cbranch_execnz .LBB23_2600
.LBB23_550:
	s_or_b64 exec, exec, s[6:7]
	s_and_saveexec_b64 s[6:7], s[4:5]
	s_cbranch_execz .LBB23_552
.LBB23_551:
	v_and_b32_e32 v14, 7, v11
	v_ffbh_u32_e32 v21, v14
	v_min_u32_e32 v21, 32, v21
	v_lshrrev_b16_e32 v20, 3, v11
	v_subrev_u32_e32 v22, 28, v21
	v_and_b32_e32 v20, 15, v20
	v_lshlrev_b32_e32 v22, v22, v11
	v_sub_u32_e32 v21, 29, v21
	v_and_b32_e32 v22, 7, v22
	v_cmp_eq_u16_e32 vcc, 0, v20
	v_cndmask_b32_e32 v14, v14, v22, vcc
	v_cndmask_b32_e32 v20, v20, v21, vcc
	v_lshlrev_b32_e32 v21, 24, v11
	v_mov_b32_e32 v22, 0x3b800000
	v_lshlrev_b32_e32 v14, 20, v14
	v_and_b32_e32 v21, 0x80000000, v21
	v_lshl_add_u32 v20, v20, 23, v22
	v_or3_b32 v14, v21, v20, v14
.LBB23_552:
	s_or_b64 exec, exec, s[6:7]
	s_nop 0
	v_mfma_f32_16x16x4f32 a[0:3], v10, v14, a[0:3]
	v_lshrrev_b32_e32 v14, 8, v15
	s_movk_i32 s4, 0x7f
	v_cmp_gt_i16_sdwa s[6:7], v14, s4 src0_sel:BYTE_0 src1_sel:DWORD
	s_mov_b64 s[4:5], 0
                                        ; implicit-def: $sgpr10
	s_and_saveexec_b64 s[8:9], s[6:7]
	s_xor_b64 s[6:7], exec, s[8:9]
	s_cbranch_execnz .LBB23_2601
; %bb.553:
	s_or_saveexec_b64 s[6:7], s[6:7]
	v_mov_b32_e32 v10, s10
	s_xor_b64 exec, exec, s[6:7]
	s_cbranch_execnz .LBB23_2604
.LBB23_554:
	s_or_b64 exec, exec, s[6:7]
	s_and_saveexec_b64 s[6:7], s[4:5]
	s_cbranch_execz .LBB23_556
.LBB23_555:
	v_bfe_u32 v10, v15, 8, 3
	v_ffbh_u32_e32 v21, v10
	v_min_u32_e32 v21, 32, v21
	v_lshrrev_b16_e32 v20, 3, v14
	v_subrev_u32_e32 v22, 28, v21
	v_and_b32_e32 v20, 15, v20
	v_lshlrev_b32_e32 v14, v22, v14
	v_sub_u32_e32 v21, 29, v21
	v_and_b32_e32 v14, 7, v14
	v_cmp_eq_u16_e32 vcc, 0, v20
	v_cndmask_b32_e32 v10, v10, v14, vcc
	v_cndmask_b32_e32 v14, v20, v21, vcc
	v_lshlrev_b32_e32 v20, 16, v15
	v_mov_b32_e32 v21, 0x3b800000
	v_lshlrev_b32_e32 v10, 20, v10
	v_and_b32_e32 v20, 0x80000000, v20
	v_lshl_add_u32 v14, v14, 23, v21
	v_or3_b32 v10, v20, v14, v10
.LBB23_556:
	s_or_b64 exec, exec, s[6:7]
	v_lshrrev_b32_e32 v14, 8, v11
	s_movk_i32 s4, 0x7f
	v_cmp_gt_i16_sdwa s[6:7], v14, s4 src0_sel:BYTE_0 src1_sel:DWORD
	s_mov_b64 s[4:5], 0
                                        ; implicit-def: $sgpr10
	s_and_saveexec_b64 s[8:9], s[6:7]
	s_xor_b64 s[6:7], exec, s[8:9]
	s_cbranch_execnz .LBB23_2605
; %bb.557:
	s_or_saveexec_b64 s[6:7], s[6:7]
	v_mov_b32_e32 v20, s10
	s_xor_b64 exec, exec, s[6:7]
	s_cbranch_execnz .LBB23_2608
.LBB23_558:
	s_or_b64 exec, exec, s[6:7]
	s_and_saveexec_b64 s[6:7], s[4:5]
	s_cbranch_execz .LBB23_560
.LBB23_559:
	v_bfe_u32 v20, v11, 8, 3
	v_ffbh_u32_e32 v22, v20
	v_min_u32_e32 v22, 32, v22
	v_lshrrev_b16_e32 v21, 3, v14
	v_subrev_u32_e32 v23, 28, v22
	v_and_b32_e32 v21, 15, v21
	v_lshlrev_b32_e32 v14, v23, v14
	v_sub_u32_e32 v22, 29, v22
	v_and_b32_e32 v14, 7, v14
	v_cmp_eq_u16_e32 vcc, 0, v21
	v_cndmask_b32_e32 v14, v20, v14, vcc
	v_cndmask_b32_e32 v20, v21, v22, vcc
	v_lshlrev_b32_e32 v21, 16, v11
	v_mov_b32_e32 v22, 0x3b800000
	v_lshlrev_b32_e32 v14, 20, v14
	v_and_b32_e32 v21, 0x80000000, v21
	v_lshl_add_u32 v20, v20, 23, v22
	v_or3_b32 v20, v21, v20, v14
.LBB23_560:
	s_or_b64 exec, exec, s[6:7]
	s_nop 0
	v_mfma_f32_16x16x4f32 a[0:3], v10, v20, a[0:3]
	s_movk_i32 s4, 0xff
	v_and_b32_sdwa v14, v15, s4 dst_sel:DWORD dst_unused:UNUSED_PAD src0_sel:WORD_1 src1_sel:DWORD
	s_movk_i32 s4, 0x7f
	v_cmp_lt_i16_e32 vcc, s4, v14
	s_mov_b64 s[4:5], 0
                                        ; implicit-def: $sgpr10
	s_and_saveexec_b64 s[6:7], vcc
	s_xor_b64 s[6:7], exec, s[6:7]
	s_cbranch_execnz .LBB23_2609
; %bb.561:
	s_or_saveexec_b64 s[6:7], s[6:7]
	v_mov_b32_e32 v10, s10
	s_xor_b64 exec, exec, s[6:7]
	s_cbranch_execnz .LBB23_2612
.LBB23_562:
	s_or_b64 exec, exec, s[6:7]
	s_and_saveexec_b64 s[6:7], s[4:5]
	s_cbranch_execz .LBB23_564
.LBB23_563:
	v_bfe_u32 v10, v15, 16, 3
	v_ffbh_u32_e32 v21, v10
	v_min_u32_e32 v21, 32, v21
	v_lshrrev_b32_e32 v14, 19, v15
	v_subrev_u32_e32 v22, 28, v21
	v_and_b32_e32 v14, 15, v14
	v_lshlrev_b32_sdwa v22, v22, v15 dst_sel:DWORD dst_unused:UNUSED_PAD src0_sel:DWORD src1_sel:WORD_1
	v_bfe_u32 v20, v15, 19, 4
	v_sub_u32_e32 v21, 29, v21
	v_and_b32_e32 v22, 7, v22
	v_cmp_eq_u16_e32 vcc, 0, v14
	v_cndmask_b32_e32 v10, v10, v22, vcc
	v_cndmask_b32_e32 v14, v20, v21, vcc
	v_lshlrev_b32_e32 v20, 8, v15
	v_mov_b32_e32 v21, 0x3b800000
	v_lshlrev_b32_e32 v10, 20, v10
	v_and_b32_e32 v20, 0x80000000, v20
	v_lshl_add_u32 v14, v14, 23, v21
	v_or3_b32 v10, v20, v14, v10
.LBB23_564:
	s_or_b64 exec, exec, s[6:7]
	s_movk_i32 s4, 0xff
	v_and_b32_sdwa v14, v11, s4 dst_sel:DWORD dst_unused:UNUSED_PAD src0_sel:WORD_1 src1_sel:DWORD
	s_movk_i32 s4, 0x7f
	v_cmp_lt_i16_e32 vcc, s4, v14
	s_mov_b64 s[4:5], 0
                                        ; implicit-def: $sgpr10
	s_and_saveexec_b64 s[6:7], vcc
	s_xor_b64 s[6:7], exec, s[6:7]
	s_cbranch_execnz .LBB23_2613
; %bb.565:
	s_or_saveexec_b64 s[6:7], s[6:7]
	v_mov_b32_e32 v20, s10
	s_xor_b64 exec, exec, s[6:7]
	s_cbranch_execnz .LBB23_2616
.LBB23_566:
	s_or_b64 exec, exec, s[6:7]
	s_and_saveexec_b64 s[6:7], s[4:5]
	s_cbranch_execz .LBB23_568
.LBB23_567:
	v_bfe_u32 v14, v11, 16, 3
	v_ffbh_u32_e32 v22, v14
	v_min_u32_e32 v22, 32, v22
	v_lshrrev_b32_e32 v20, 19, v11
	v_subrev_u32_e32 v23, 28, v22
	v_and_b32_e32 v20, 15, v20
	v_lshlrev_b32_sdwa v23, v23, v11 dst_sel:DWORD dst_unused:UNUSED_PAD src0_sel:DWORD src1_sel:WORD_1
	v_bfe_u32 v21, v11, 19, 4
	v_sub_u32_e32 v22, 29, v22
	v_and_b32_e32 v23, 7, v23
	v_cmp_eq_u16_e32 vcc, 0, v20
	v_cndmask_b32_e32 v14, v14, v23, vcc
	v_cndmask_b32_e32 v20, v21, v22, vcc
	v_lshlrev_b32_e32 v21, 8, v11
	v_mov_b32_e32 v22, 0x3b800000
	v_lshlrev_b32_e32 v14, 20, v14
	v_and_b32_e32 v21, 0x80000000, v21
	v_lshl_add_u32 v20, v20, 23, v22
	v_or3_b32 v20, v21, v20, v14
.LBB23_568:
	s_or_b64 exec, exec, s[6:7]
	s_nop 0
	v_mfma_f32_16x16x4f32 a[0:3], v10, v20, a[0:3]
	s_movk_i32 s4, 0x7f
	v_cmp_gt_i16_sdwa s[6:7], v15, s4 src0_sel:BYTE_3 src1_sel:DWORD
	s_mov_b64 s[4:5], 0
                                        ; implicit-def: $sgpr10
	s_and_saveexec_b64 s[8:9], s[6:7]
	s_xor_b64 s[6:7], exec, s[8:9]
	s_cbranch_execnz .LBB23_2617
; %bb.569:
	s_or_saveexec_b64 s[6:7], s[6:7]
	v_mov_b32_e32 v10, s10
	s_xor_b64 exec, exec, s[6:7]
	s_cbranch_execnz .LBB23_2620
.LBB23_570:
	s_or_b64 exec, exec, s[6:7]
	s_and_saveexec_b64 s[6:7], s[4:5]
	s_cbranch_execz .LBB23_572
.LBB23_571:
	v_bfe_u32 v10, v15, 24, 3
	v_ffbh_u32_e32 v22, v10
	v_min_u32_e32 v22, 32, v22
	v_lshrrev_b32_e32 v20, 27, v15
	v_subrev_u32_e32 v23, 28, v22
	v_and_b32_e32 v14, 0x80000000, v15
	v_and_b32_e32 v20, 15, v20
	v_bfe_u32 v21, v15, 27, 4
	v_lshlrev_b32_sdwa v15, v23, v15 dst_sel:DWORD dst_unused:UNUSED_PAD src0_sel:DWORD src1_sel:BYTE_3
	v_sub_u32_e32 v22, 29, v22
	v_and_b32_e32 v15, 7, v15
	v_cmp_eq_u16_e32 vcc, 0, v20
	v_cndmask_b32_e32 v10, v10, v15, vcc
	v_cndmask_b32_e32 v15, v21, v22, vcc
	v_mov_b32_e32 v20, 0x3b800000
	v_lshlrev_b32_e32 v10, 20, v10
	v_lshl_add_u32 v15, v15, 23, v20
	v_or3_b32 v10, v14, v15, v10
.LBB23_572:
	s_or_b64 exec, exec, s[6:7]
	s_movk_i32 s4, 0x7f
	v_cmp_gt_i16_sdwa s[6:7], v11, s4 src0_sel:BYTE_3 src1_sel:DWORD
	s_mov_b64 s[4:5], 0
                                        ; implicit-def: $sgpr10
	s_and_saveexec_b64 s[8:9], s[6:7]
	s_xor_b64 s[6:7], exec, s[8:9]
	s_cbranch_execnz .LBB23_2621
; %bb.573:
	s_or_saveexec_b64 s[6:7], s[6:7]
	v_mov_b32_e32 v14, s10
	s_xor_b64 exec, exec, s[6:7]
	s_cbranch_execnz .LBB23_2624
.LBB23_574:
	s_or_b64 exec, exec, s[6:7]
	s_and_saveexec_b64 s[6:7], s[4:5]
	s_cbranch_execz .LBB23_576
.LBB23_575:
	v_bfe_u32 v14, v11, 24, 3
	v_ffbh_u32_e32 v22, v14
	v_min_u32_e32 v22, 32, v22
	v_lshrrev_b32_e32 v20, 27, v11
	v_subrev_u32_e32 v23, 28, v22
	v_and_b32_e32 v15, 0x80000000, v11
	v_and_b32_e32 v20, 15, v20
	v_bfe_u32 v21, v11, 27, 4
	v_lshlrev_b32_sdwa v11, v23, v11 dst_sel:DWORD dst_unused:UNUSED_PAD src0_sel:DWORD src1_sel:BYTE_3
	v_sub_u32_e32 v22, 29, v22
	v_and_b32_e32 v11, 7, v11
	v_cmp_eq_u16_e32 vcc, 0, v20
	v_cndmask_b32_e32 v11, v14, v11, vcc
	v_cndmask_b32_e32 v14, v21, v22, vcc
	v_mov_b32_e32 v20, 0x3b800000
	v_lshlrev_b32_e32 v11, 20, v11
	v_lshl_add_u32 v14, v14, 23, v20
	v_or3_b32 v14, v15, v14, v11
.LBB23_576:
	s_or_b64 exec, exec, s[6:7]
	s_nop 0
	v_mfma_f32_16x16x4f32 a[0:3], v10, v14, a[0:3]
	s_movk_i32 s4, 0x7f
	v_cmp_gt_i16_sdwa s[6:7], v16, s4 src0_sel:BYTE_0 src1_sel:DWORD
	s_mov_b64 s[4:5], 0
                                        ; implicit-def: $sgpr10
	s_and_saveexec_b64 s[8:9], s[6:7]
	s_xor_b64 s[6:7], exec, s[8:9]
	s_cbranch_execnz .LBB23_2625
; %bb.577:
	s_or_saveexec_b64 s[6:7], s[6:7]
	v_mov_b32_e32 v10, s10
	s_xor_b64 exec, exec, s[6:7]
	s_cbranch_execnz .LBB23_2628
.LBB23_578:
	s_or_b64 exec, exec, s[6:7]
	s_and_saveexec_b64 s[6:7], s[4:5]
	s_cbranch_execz .LBB23_580
.LBB23_579:
	v_and_b32_e32 v10, 7, v16
	v_ffbh_u32_e32 v14, v10
	v_min_u32_e32 v14, 32, v14
	v_lshrrev_b16_e32 v11, 3, v16
	v_subrev_u32_e32 v15, 28, v14
	v_and_b32_e32 v11, 15, v11
	v_lshlrev_b32_e32 v15, v15, v16
	v_sub_u32_e32 v14, 29, v14
	v_and_b32_e32 v15, 7, v15
	v_cmp_eq_u16_e32 vcc, 0, v11
	v_cndmask_b32_e32 v10, v10, v15, vcc
	v_cndmask_b32_e32 v11, v11, v14, vcc
	v_lshlrev_b32_e32 v14, 24, v16
	v_mov_b32_e32 v15, 0x3b800000
	v_lshlrev_b32_e32 v10, 20, v10
	v_and_b32_e32 v14, 0x80000000, v14
	v_lshl_add_u32 v11, v11, 23, v15
	v_or3_b32 v10, v14, v11, v10
.LBB23_580:
	s_or_b64 exec, exec, s[6:7]
	s_movk_i32 s4, 0x7f
	v_cmp_gt_i16_sdwa s[6:7], v12, s4 src0_sel:BYTE_0 src1_sel:DWORD
	s_mov_b64 s[4:5], 0
                                        ; implicit-def: $sgpr10
	s_and_saveexec_b64 s[8:9], s[6:7]
	s_xor_b64 s[6:7], exec, s[8:9]
	s_cbranch_execnz .LBB23_2629
; %bb.581:
	s_or_saveexec_b64 s[6:7], s[6:7]
	v_mov_b32_e32 v11, s10
	s_xor_b64 exec, exec, s[6:7]
	s_cbranch_execnz .LBB23_2632
.LBB23_582:
	s_or_b64 exec, exec, s[6:7]
	s_and_saveexec_b64 s[6:7], s[4:5]
	s_cbranch_execz .LBB23_584
.LBB23_583:
	v_and_b32_e32 v11, 7, v12
	v_ffbh_u32_e32 v15, v11
	v_min_u32_e32 v15, 32, v15
	v_lshrrev_b16_e32 v14, 3, v12
	v_subrev_u32_e32 v20, 28, v15
	v_and_b32_e32 v14, 15, v14
	v_lshlrev_b32_e32 v20, v20, v12
	v_sub_u32_e32 v15, 29, v15
	v_and_b32_e32 v20, 7, v20
	v_cmp_eq_u16_e32 vcc, 0, v14
	v_cndmask_b32_e32 v11, v11, v20, vcc
	v_cndmask_b32_e32 v14, v14, v15, vcc
	v_lshlrev_b32_e32 v15, 24, v12
	v_mov_b32_e32 v20, 0x3b800000
	v_lshlrev_b32_e32 v11, 20, v11
	v_and_b32_e32 v15, 0x80000000, v15
	v_lshl_add_u32 v14, v14, 23, v20
	v_or3_b32 v11, v15, v14, v11
.LBB23_584:
	s_or_b64 exec, exec, s[6:7]
	s_nop 0
	v_mfma_f32_16x16x4f32 a[0:3], v10, v11, a[0:3]
	v_lshrrev_b32_e32 v11, 8, v16
	s_movk_i32 s4, 0x7f
	v_cmp_gt_i16_sdwa s[6:7], v11, s4 src0_sel:BYTE_0 src1_sel:DWORD
	s_mov_b64 s[4:5], 0
                                        ; implicit-def: $sgpr10
	s_and_saveexec_b64 s[8:9], s[6:7]
	s_xor_b64 s[6:7], exec, s[8:9]
	s_cbranch_execnz .LBB23_2633
; %bb.585:
	s_or_saveexec_b64 s[6:7], s[6:7]
	v_mov_b32_e32 v10, s10
	s_xor_b64 exec, exec, s[6:7]
	s_cbranch_execnz .LBB23_2636
.LBB23_586:
	s_or_b64 exec, exec, s[6:7]
	s_and_saveexec_b64 s[6:7], s[4:5]
	s_cbranch_execz .LBB23_588
.LBB23_587:
	v_bfe_u32 v10, v16, 8, 3
	v_ffbh_u32_e32 v15, v10
	v_min_u32_e32 v15, 32, v15
	v_lshrrev_b16_e32 v14, 3, v11
	v_subrev_u32_e32 v20, 28, v15
	v_and_b32_e32 v14, 15, v14
	v_lshlrev_b32_e32 v11, v20, v11
	v_sub_u32_e32 v15, 29, v15
	v_and_b32_e32 v11, 7, v11
	v_cmp_eq_u16_e32 vcc, 0, v14
	v_cndmask_b32_e32 v10, v10, v11, vcc
	v_cndmask_b32_e32 v11, v14, v15, vcc
	v_lshlrev_b32_e32 v14, 16, v16
	v_mov_b32_e32 v15, 0x3b800000
	v_lshlrev_b32_e32 v10, 20, v10
	v_and_b32_e32 v14, 0x80000000, v14
	v_lshl_add_u32 v11, v11, 23, v15
	v_or3_b32 v10, v14, v11, v10
.LBB23_588:
	s_or_b64 exec, exec, s[6:7]
	v_lshrrev_b32_e32 v11, 8, v12
	s_movk_i32 s4, 0x7f
	v_cmp_gt_i16_sdwa s[6:7], v11, s4 src0_sel:BYTE_0 src1_sel:DWORD
	s_mov_b64 s[4:5], 0
                                        ; implicit-def: $sgpr10
	s_and_saveexec_b64 s[8:9], s[6:7]
	s_xor_b64 s[6:7], exec, s[8:9]
	s_cbranch_execnz .LBB23_2637
; %bb.589:
	s_or_saveexec_b64 s[6:7], s[6:7]
	v_mov_b32_e32 v14, s10
	s_xor_b64 exec, exec, s[6:7]
	s_cbranch_execnz .LBB23_2640
.LBB23_590:
	s_or_b64 exec, exec, s[6:7]
	s_and_saveexec_b64 s[6:7], s[4:5]
	s_cbranch_execz .LBB23_592
.LBB23_591:
	v_bfe_u32 v14, v12, 8, 3
	v_ffbh_u32_e32 v20, v14
	v_min_u32_e32 v20, 32, v20
	v_lshrrev_b16_e32 v15, 3, v11
	v_subrev_u32_e32 v21, 28, v20
	v_and_b32_e32 v15, 15, v15
	v_lshlrev_b32_e32 v11, v21, v11
	v_sub_u32_e32 v20, 29, v20
	v_and_b32_e32 v11, 7, v11
	v_cmp_eq_u16_e32 vcc, 0, v15
	v_cndmask_b32_e32 v11, v14, v11, vcc
	v_cndmask_b32_e32 v14, v15, v20, vcc
	v_lshlrev_b32_e32 v15, 16, v12
	v_mov_b32_e32 v20, 0x3b800000
	v_lshlrev_b32_e32 v11, 20, v11
	v_and_b32_e32 v15, 0x80000000, v15
	v_lshl_add_u32 v14, v14, 23, v20
	v_or3_b32 v14, v15, v14, v11
.LBB23_592:
	s_or_b64 exec, exec, s[6:7]
	s_nop 0
	v_mfma_f32_16x16x4f32 a[0:3], v10, v14, a[0:3]
	s_movk_i32 s4, 0xff
	v_and_b32_sdwa v11, v16, s4 dst_sel:DWORD dst_unused:UNUSED_PAD src0_sel:WORD_1 src1_sel:DWORD
	s_movk_i32 s4, 0x7f
	v_cmp_lt_i16_e32 vcc, s4, v11
	s_mov_b64 s[4:5], 0
                                        ; implicit-def: $sgpr10
	s_and_saveexec_b64 s[6:7], vcc
	s_xor_b64 s[6:7], exec, s[6:7]
	s_cbranch_execnz .LBB23_2641
; %bb.593:
	s_or_saveexec_b64 s[6:7], s[6:7]
	v_mov_b32_e32 v10, s10
	s_xor_b64 exec, exec, s[6:7]
	s_cbranch_execnz .LBB23_2644
.LBB23_594:
	s_or_b64 exec, exec, s[6:7]
	s_and_saveexec_b64 s[6:7], s[4:5]
	s_cbranch_execz .LBB23_596
.LBB23_595:
	v_bfe_u32 v10, v16, 16, 3
	v_ffbh_u32_e32 v15, v10
	v_min_u32_e32 v15, 32, v15
	v_lshrrev_b32_e32 v11, 19, v16
	v_subrev_u32_e32 v20, 28, v15
	v_and_b32_e32 v11, 15, v11
	v_lshlrev_b32_sdwa v20, v20, v16 dst_sel:DWORD dst_unused:UNUSED_PAD src0_sel:DWORD src1_sel:WORD_1
	v_bfe_u32 v14, v16, 19, 4
	v_sub_u32_e32 v15, 29, v15
	v_and_b32_e32 v20, 7, v20
	v_cmp_eq_u16_e32 vcc, 0, v11
	v_cndmask_b32_e32 v10, v10, v20, vcc
	v_cndmask_b32_e32 v11, v14, v15, vcc
	v_lshlrev_b32_e32 v14, 8, v16
	v_mov_b32_e32 v15, 0x3b800000
	v_lshlrev_b32_e32 v10, 20, v10
	v_and_b32_e32 v14, 0x80000000, v14
	v_lshl_add_u32 v11, v11, 23, v15
	v_or3_b32 v10, v14, v11, v10
.LBB23_596:
	s_or_b64 exec, exec, s[6:7]
	s_movk_i32 s4, 0xff
	v_and_b32_sdwa v11, v12, s4 dst_sel:DWORD dst_unused:UNUSED_PAD src0_sel:WORD_1 src1_sel:DWORD
	s_movk_i32 s4, 0x7f
	v_cmp_lt_i16_e32 vcc, s4, v11
	s_mov_b64 s[4:5], 0
                                        ; implicit-def: $sgpr10
	s_and_saveexec_b64 s[6:7], vcc
	s_xor_b64 s[6:7], exec, s[6:7]
	s_cbranch_execnz .LBB23_2645
; %bb.597:
	s_or_saveexec_b64 s[6:7], s[6:7]
	v_mov_b32_e32 v14, s10
	s_xor_b64 exec, exec, s[6:7]
	s_cbranch_execnz .LBB23_2648
.LBB23_598:
	s_or_b64 exec, exec, s[6:7]
	s_and_saveexec_b64 s[6:7], s[4:5]
	s_cbranch_execz .LBB23_600
.LBB23_599:
	v_bfe_u32 v11, v12, 16, 3
	v_ffbh_u32_e32 v20, v11
	v_min_u32_e32 v20, 32, v20
	v_lshrrev_b32_e32 v14, 19, v12
	v_subrev_u32_e32 v21, 28, v20
	v_and_b32_e32 v14, 15, v14
	v_lshlrev_b32_sdwa v21, v21, v12 dst_sel:DWORD dst_unused:UNUSED_PAD src0_sel:DWORD src1_sel:WORD_1
	v_bfe_u32 v15, v12, 19, 4
	v_sub_u32_e32 v20, 29, v20
	v_and_b32_e32 v21, 7, v21
	v_cmp_eq_u16_e32 vcc, 0, v14
	v_cndmask_b32_e32 v11, v11, v21, vcc
	v_cndmask_b32_e32 v14, v15, v20, vcc
	v_lshlrev_b32_e32 v15, 8, v12
	v_mov_b32_e32 v20, 0x3b800000
	v_lshlrev_b32_e32 v11, 20, v11
	v_and_b32_e32 v15, 0x80000000, v15
	v_lshl_add_u32 v14, v14, 23, v20
	v_or3_b32 v14, v15, v14, v11
.LBB23_600:
	s_or_b64 exec, exec, s[6:7]
	s_nop 0
	v_mfma_f32_16x16x4f32 a[0:3], v10, v14, a[0:3]
	s_movk_i32 s4, 0x7f
	v_cmp_gt_i16_sdwa s[6:7], v16, s4 src0_sel:BYTE_3 src1_sel:DWORD
	s_mov_b64 s[4:5], 0
                                        ; implicit-def: $sgpr10
	s_and_saveexec_b64 s[8:9], s[6:7]
	s_xor_b64 s[6:7], exec, s[8:9]
	s_cbranch_execnz .LBB23_2649
; %bb.601:
	s_or_saveexec_b64 s[6:7], s[6:7]
	v_mov_b32_e32 v10, s10
	s_xor_b64 exec, exec, s[6:7]
	s_cbranch_execnz .LBB23_2652
.LBB23_602:
	s_or_b64 exec, exec, s[6:7]
	s_and_saveexec_b64 s[6:7], s[4:5]
	s_cbranch_execz .LBB23_604
.LBB23_603:
	v_bfe_u32 v10, v16, 24, 3
	v_ffbh_u32_e32 v20, v10
	v_min_u32_e32 v20, 32, v20
	v_lshrrev_b32_e32 v14, 27, v16
	v_subrev_u32_e32 v21, 28, v20
	v_and_b32_e32 v11, 0x80000000, v16
	v_and_b32_e32 v14, 15, v14
	v_bfe_u32 v15, v16, 27, 4
	v_lshlrev_b32_sdwa v16, v21, v16 dst_sel:DWORD dst_unused:UNUSED_PAD src0_sel:DWORD src1_sel:BYTE_3
	v_sub_u32_e32 v20, 29, v20
	v_and_b32_e32 v16, 7, v16
	v_cmp_eq_u16_e32 vcc, 0, v14
	v_cndmask_b32_e32 v10, v10, v16, vcc
	v_cndmask_b32_e32 v14, v15, v20, vcc
	v_mov_b32_e32 v15, 0x3b800000
	v_lshlrev_b32_e32 v10, 20, v10
	v_lshl_add_u32 v14, v14, 23, v15
	v_or3_b32 v10, v11, v14, v10
.LBB23_604:
	s_or_b64 exec, exec, s[6:7]
	s_movk_i32 s4, 0x7f
	v_cmp_gt_i16_sdwa s[6:7], v12, s4 src0_sel:BYTE_3 src1_sel:DWORD
	s_mov_b64 s[4:5], 0
                                        ; implicit-def: $sgpr10
	s_and_saveexec_b64 s[8:9], s[6:7]
	s_xor_b64 s[6:7], exec, s[8:9]
	s_cbranch_execnz .LBB23_2653
; %bb.605:
	s_or_saveexec_b64 s[6:7], s[6:7]
	v_mov_b32_e32 v11, s10
	s_xor_b64 exec, exec, s[6:7]
	s_cbranch_execnz .LBB23_2656
.LBB23_606:
	s_or_b64 exec, exec, s[6:7]
	s_and_saveexec_b64 s[6:7], s[4:5]
	s_cbranch_execz .LBB23_608
.LBB23_607:
	v_bfe_u32 v11, v12, 24, 3
	v_ffbh_u32_e32 v20, v11
	v_min_u32_e32 v20, 32, v20
	v_lshrrev_b32_e32 v15, 27, v12
	v_subrev_u32_e32 v21, 28, v20
	v_and_b32_e32 v14, 0x80000000, v12
	v_and_b32_e32 v15, 15, v15
	v_bfe_u32 v16, v12, 27, 4
	v_lshlrev_b32_sdwa v12, v21, v12 dst_sel:DWORD dst_unused:UNUSED_PAD src0_sel:DWORD src1_sel:BYTE_3
	v_sub_u32_e32 v20, 29, v20
	v_and_b32_e32 v12, 7, v12
	v_cmp_eq_u16_e32 vcc, 0, v15
	v_cndmask_b32_e32 v11, v11, v12, vcc
	v_cndmask_b32_e32 v12, v16, v20, vcc
	v_mov_b32_e32 v15, 0x3b800000
	v_lshlrev_b32_e32 v11, 20, v11
	v_lshl_add_u32 v12, v12, 23, v15
	v_or3_b32 v11, v14, v12, v11
.LBB23_608:
	s_or_b64 exec, exec, s[6:7]
	s_nop 0
	v_mfma_f32_16x16x4f32 a[0:3], v10, v11, a[0:3]
	s_movk_i32 s4, 0x7f
	v_cmp_gt_i16_sdwa s[6:7], v17, s4 src0_sel:BYTE_0 src1_sel:DWORD
	s_mov_b64 s[4:5], 0
                                        ; implicit-def: $sgpr10
	s_and_saveexec_b64 s[8:9], s[6:7]
	s_xor_b64 s[6:7], exec, s[8:9]
	s_cbranch_execnz .LBB23_2657
; %bb.609:
	s_or_saveexec_b64 s[6:7], s[6:7]
	v_mov_b32_e32 v10, s10
	s_xor_b64 exec, exec, s[6:7]
	s_cbranch_execnz .LBB23_2660
.LBB23_610:
	s_or_b64 exec, exec, s[6:7]
	s_and_saveexec_b64 s[6:7], s[4:5]
	s_cbranch_execz .LBB23_612
.LBB23_611:
	v_and_b32_e32 v10, 7, v17
	v_ffbh_u32_e32 v12, v10
	v_min_u32_e32 v12, 32, v12
	v_lshrrev_b16_e32 v11, 3, v17
	v_subrev_u32_e32 v14, 28, v12
	v_and_b32_e32 v11, 15, v11
	v_lshlrev_b32_e32 v14, v14, v17
	v_sub_u32_e32 v12, 29, v12
	v_and_b32_e32 v14, 7, v14
	v_cmp_eq_u16_e32 vcc, 0, v11
	v_cndmask_b32_e32 v10, v10, v14, vcc
	v_cndmask_b32_e32 v11, v11, v12, vcc
	v_lshlrev_b32_e32 v12, 24, v17
	v_mov_b32_e32 v14, 0x3b800000
	v_lshlrev_b32_e32 v10, 20, v10
	v_and_b32_e32 v12, 0x80000000, v12
	v_lshl_add_u32 v11, v11, 23, v14
	v_or3_b32 v10, v12, v11, v10
.LBB23_612:
	s_or_b64 exec, exec, s[6:7]
	s_movk_i32 s4, 0x7f
	v_cmp_gt_i16_sdwa s[6:7], v13, s4 src0_sel:BYTE_0 src1_sel:DWORD
	s_mov_b64 s[4:5], 0
                                        ; implicit-def: $sgpr10
	s_and_saveexec_b64 s[8:9], s[6:7]
	s_xor_b64 s[6:7], exec, s[8:9]
	s_cbranch_execnz .LBB23_2661
; %bb.613:
	s_or_saveexec_b64 s[6:7], s[6:7]
	v_mov_b32_e32 v11, s10
	s_xor_b64 exec, exec, s[6:7]
	s_cbranch_execnz .LBB23_2664
.LBB23_614:
	s_or_b64 exec, exec, s[6:7]
	s_and_saveexec_b64 s[6:7], s[4:5]
	s_cbranch_execz .LBB23_616
.LBB23_615:
	v_and_b32_e32 v11, 7, v13
	v_ffbh_u32_e32 v14, v11
	v_min_u32_e32 v14, 32, v14
	v_lshrrev_b16_e32 v12, 3, v13
	v_subrev_u32_e32 v15, 28, v14
	v_and_b32_e32 v12, 15, v12
	v_lshlrev_b32_e32 v15, v15, v13
	v_sub_u32_e32 v14, 29, v14
	v_and_b32_e32 v15, 7, v15
	v_cmp_eq_u16_e32 vcc, 0, v12
	v_cndmask_b32_e32 v11, v11, v15, vcc
	v_cndmask_b32_e32 v12, v12, v14, vcc
	v_lshlrev_b32_e32 v14, 24, v13
	v_mov_b32_e32 v15, 0x3b800000
	v_lshlrev_b32_e32 v11, 20, v11
	v_and_b32_e32 v14, 0x80000000, v14
	v_lshl_add_u32 v12, v12, 23, v15
	v_or3_b32 v11, v14, v12, v11
.LBB23_616:
	s_or_b64 exec, exec, s[6:7]
	s_nop 0
	v_mfma_f32_16x16x4f32 a[0:3], v10, v11, a[0:3]
	v_lshrrev_b32_e32 v11, 8, v17
	s_movk_i32 s4, 0x7f
	v_cmp_gt_i16_sdwa s[6:7], v11, s4 src0_sel:BYTE_0 src1_sel:DWORD
	s_mov_b64 s[4:5], 0
                                        ; implicit-def: $sgpr10
	s_and_saveexec_b64 s[8:9], s[6:7]
	s_xor_b64 s[6:7], exec, s[8:9]
	s_cbranch_execnz .LBB23_2665
; %bb.617:
	s_or_saveexec_b64 s[6:7], s[6:7]
	v_mov_b32_e32 v10, s10
	s_xor_b64 exec, exec, s[6:7]
	s_cbranch_execnz .LBB23_2668
.LBB23_618:
	s_or_b64 exec, exec, s[6:7]
	s_and_saveexec_b64 s[6:7], s[4:5]
	s_cbranch_execz .LBB23_620
.LBB23_619:
	v_bfe_u32 v10, v17, 8, 3
	v_ffbh_u32_e32 v14, v10
	v_min_u32_e32 v14, 32, v14
	v_lshrrev_b16_e32 v12, 3, v11
	v_subrev_u32_e32 v15, 28, v14
	v_and_b32_e32 v12, 15, v12
	v_lshlrev_b32_e32 v11, v15, v11
	v_sub_u32_e32 v14, 29, v14
	v_and_b32_e32 v11, 7, v11
	v_cmp_eq_u16_e32 vcc, 0, v12
	v_cndmask_b32_e32 v10, v10, v11, vcc
	v_cndmask_b32_e32 v11, v12, v14, vcc
	v_lshlrev_b32_e32 v12, 16, v17
	v_mov_b32_e32 v14, 0x3b800000
	v_lshlrev_b32_e32 v10, 20, v10
	v_and_b32_e32 v12, 0x80000000, v12
	v_lshl_add_u32 v11, v11, 23, v14
	v_or3_b32 v10, v12, v11, v10
.LBB23_620:
	s_or_b64 exec, exec, s[6:7]
	v_lshrrev_b32_e32 v11, 8, v13
	s_movk_i32 s4, 0x7f
	v_cmp_gt_i16_sdwa s[6:7], v11, s4 src0_sel:BYTE_0 src1_sel:DWORD
	s_mov_b64 s[4:5], 0
                                        ; implicit-def: $sgpr10
	s_and_saveexec_b64 s[8:9], s[6:7]
	s_xor_b64 s[6:7], exec, s[8:9]
	s_cbranch_execnz .LBB23_2669
; %bb.621:
	s_or_saveexec_b64 s[6:7], s[6:7]
	v_mov_b32_e32 v12, s10
	s_xor_b64 exec, exec, s[6:7]
	s_cbranch_execnz .LBB23_2672
.LBB23_622:
	s_or_b64 exec, exec, s[6:7]
	s_and_saveexec_b64 s[6:7], s[4:5]
	s_cbranch_execz .LBB23_624
.LBB23_623:
	v_bfe_u32 v12, v13, 8, 3
	v_ffbh_u32_e32 v15, v12
	v_min_u32_e32 v15, 32, v15
	v_lshrrev_b16_e32 v14, 3, v11
	v_subrev_u32_e32 v16, 28, v15
	v_and_b32_e32 v14, 15, v14
	v_lshlrev_b32_e32 v11, v16, v11
	v_sub_u32_e32 v15, 29, v15
	v_and_b32_e32 v11, 7, v11
	v_cmp_eq_u16_e32 vcc, 0, v14
	v_cndmask_b32_e32 v11, v12, v11, vcc
	v_cndmask_b32_e32 v12, v14, v15, vcc
	v_lshlrev_b32_e32 v14, 16, v13
	v_mov_b32_e32 v15, 0x3b800000
	v_lshlrev_b32_e32 v11, 20, v11
	v_and_b32_e32 v14, 0x80000000, v14
	v_lshl_add_u32 v12, v12, 23, v15
	v_or3_b32 v12, v14, v12, v11
.LBB23_624:
	s_or_b64 exec, exec, s[6:7]
	s_nop 0
	v_mfma_f32_16x16x4f32 a[0:3], v10, v12, a[0:3]
	s_movk_i32 s4, 0xff
	v_and_b32_sdwa v11, v17, s4 dst_sel:DWORD dst_unused:UNUSED_PAD src0_sel:WORD_1 src1_sel:DWORD
	s_movk_i32 s4, 0x7f
	v_cmp_lt_i16_e32 vcc, s4, v11
	s_mov_b64 s[4:5], 0
                                        ; implicit-def: $sgpr10
	s_and_saveexec_b64 s[6:7], vcc
	s_xor_b64 s[6:7], exec, s[6:7]
	s_cbranch_execnz .LBB23_2673
; %bb.625:
	s_or_saveexec_b64 s[6:7], s[6:7]
	v_mov_b32_e32 v10, s10
	s_xor_b64 exec, exec, s[6:7]
	s_cbranch_execnz .LBB23_2676
.LBB23_626:
	s_or_b64 exec, exec, s[6:7]
	s_and_saveexec_b64 s[6:7], s[4:5]
	s_cbranch_execz .LBB23_628
.LBB23_627:
	v_bfe_u32 v10, v17, 16, 3
	v_ffbh_u32_e32 v14, v10
	v_min_u32_e32 v14, 32, v14
	v_lshrrev_b32_e32 v11, 19, v17
	v_subrev_u32_e32 v15, 28, v14
	v_and_b32_e32 v11, 15, v11
	v_lshlrev_b32_sdwa v15, v15, v17 dst_sel:DWORD dst_unused:UNUSED_PAD src0_sel:DWORD src1_sel:WORD_1
	v_bfe_u32 v12, v17, 19, 4
	v_sub_u32_e32 v14, 29, v14
	v_and_b32_e32 v15, 7, v15
	v_cmp_eq_u16_e32 vcc, 0, v11
	v_cndmask_b32_e32 v10, v10, v15, vcc
	v_cndmask_b32_e32 v11, v12, v14, vcc
	v_lshlrev_b32_e32 v12, 8, v17
	v_mov_b32_e32 v14, 0x3b800000
	v_lshlrev_b32_e32 v10, 20, v10
	v_and_b32_e32 v12, 0x80000000, v12
	v_lshl_add_u32 v11, v11, 23, v14
	v_or3_b32 v10, v12, v11, v10
.LBB23_628:
	s_or_b64 exec, exec, s[6:7]
	s_movk_i32 s4, 0xff
	v_and_b32_sdwa v11, v13, s4 dst_sel:DWORD dst_unused:UNUSED_PAD src0_sel:WORD_1 src1_sel:DWORD
	s_movk_i32 s4, 0x7f
	v_cmp_lt_i16_e32 vcc, s4, v11
	s_mov_b64 s[4:5], 0
                                        ; implicit-def: $sgpr10
	s_and_saveexec_b64 s[6:7], vcc
	s_xor_b64 s[6:7], exec, s[6:7]
	s_cbranch_execnz .LBB23_2677
; %bb.629:
	s_or_saveexec_b64 s[6:7], s[6:7]
	v_mov_b32_e32 v12, s10
	s_xor_b64 exec, exec, s[6:7]
	s_cbranch_execnz .LBB23_2680
.LBB23_630:
	s_or_b64 exec, exec, s[6:7]
	s_and_saveexec_b64 s[6:7], s[4:5]
	s_cbranch_execz .LBB23_632
.LBB23_631:
	v_bfe_u32 v11, v13, 16, 3
	v_ffbh_u32_e32 v15, v11
	v_min_u32_e32 v15, 32, v15
	v_lshrrev_b32_e32 v12, 19, v13
	v_subrev_u32_e32 v16, 28, v15
	v_and_b32_e32 v12, 15, v12
	v_lshlrev_b32_sdwa v16, v16, v13 dst_sel:DWORD dst_unused:UNUSED_PAD src0_sel:DWORD src1_sel:WORD_1
	v_bfe_u32 v14, v13, 19, 4
	v_sub_u32_e32 v15, 29, v15
	v_and_b32_e32 v16, 7, v16
	v_cmp_eq_u16_e32 vcc, 0, v12
	v_cndmask_b32_e32 v11, v11, v16, vcc
	v_cndmask_b32_e32 v12, v14, v15, vcc
	v_lshlrev_b32_e32 v14, 8, v13
	v_mov_b32_e32 v15, 0x3b800000
	v_lshlrev_b32_e32 v11, 20, v11
	v_and_b32_e32 v14, 0x80000000, v14
	v_lshl_add_u32 v12, v12, 23, v15
	v_or3_b32 v12, v14, v12, v11
.LBB23_632:
	s_or_b64 exec, exec, s[6:7]
	s_nop 0
	v_mfma_f32_16x16x4f32 a[0:3], v10, v12, a[0:3]
	s_movk_i32 s4, 0x7f
	v_cmp_gt_i16_sdwa s[6:7], v17, s4 src0_sel:BYTE_3 src1_sel:DWORD
	s_mov_b64 s[4:5], 0
                                        ; implicit-def: $sgpr10
	s_and_saveexec_b64 s[8:9], s[6:7]
	s_xor_b64 s[6:7], exec, s[8:9]
	s_cbranch_execnz .LBB23_2681
; %bb.633:
	s_or_saveexec_b64 s[6:7], s[6:7]
	v_mov_b32_e32 v10, s10
	s_xor_b64 exec, exec, s[6:7]
	s_cbranch_execnz .LBB23_2684
.LBB23_634:
	s_or_b64 exec, exec, s[6:7]
	s_and_saveexec_b64 s[6:7], s[4:5]
	s_cbranch_execz .LBB23_636
.LBB23_635:
	v_bfe_u32 v10, v17, 24, 3
	v_ffbh_u32_e32 v15, v10
	v_min_u32_e32 v15, 32, v15
	v_lshrrev_b32_e32 v12, 27, v17
	v_subrev_u32_e32 v16, 28, v15
	v_and_b32_e32 v12, 15, v12
	v_lshlrev_b32_sdwa v16, v16, v17 dst_sel:DWORD dst_unused:UNUSED_PAD src0_sel:DWORD src1_sel:BYTE_3
	v_bfe_u32 v14, v17, 27, 4
	v_sub_u32_e32 v15, 29, v15
	v_and_b32_e32 v16, 7, v16
	v_cmp_eq_u16_e32 vcc, 0, v12
	v_cndmask_b32_e32 v10, v10, v16, vcc
	v_cndmask_b32_e32 v12, v14, v15, vcc
	v_mov_b32_e32 v14, 0x3b800000
	v_and_b32_e32 v11, 0x80000000, v17
	v_lshlrev_b32_e32 v10, 20, v10
	v_lshl_add_u32 v12, v12, 23, v14
	v_or3_b32 v10, v11, v12, v10
.LBB23_636:
	s_or_b64 exec, exec, s[6:7]
	s_movk_i32 s4, 0x7f
	v_cmp_gt_i16_sdwa s[6:7], v13, s4 src0_sel:BYTE_3 src1_sel:DWORD
	s_mov_b64 s[4:5], 0
                                        ; implicit-def: $sgpr10
	s_and_saveexec_b64 s[8:9], s[6:7]
	s_xor_b64 s[6:7], exec, s[8:9]
	s_cbranch_execnz .LBB23_2685
; %bb.637:
	s_or_saveexec_b64 s[6:7], s[6:7]
	v_mov_b32_e32 v11, s10
	s_xor_b64 exec, exec, s[6:7]
	s_cbranch_execnz .LBB23_2688
.LBB23_638:
	s_or_b64 exec, exec, s[6:7]
	s_and_saveexec_b64 s[6:7], s[4:5]
	s_cbranch_execz .LBB23_640
.LBB23_639:
	v_bfe_u32 v11, v13, 24, 3
	v_ffbh_u32_e32 v16, v11
	v_min_u32_e32 v16, 32, v16
	v_lshrrev_b32_e32 v14, 27, v13
	v_subrev_u32_e32 v17, 28, v16
	v_and_b32_e32 v12, 0x80000000, v13
	v_and_b32_e32 v14, 15, v14
	v_bfe_u32 v15, v13, 27, 4
	v_lshlrev_b32_sdwa v13, v17, v13 dst_sel:DWORD dst_unused:UNUSED_PAD src0_sel:DWORD src1_sel:BYTE_3
	v_sub_u32_e32 v16, 29, v16
	v_and_b32_e32 v13, 7, v13
	v_cmp_eq_u16_e32 vcc, 0, v14
	v_cndmask_b32_e32 v11, v11, v13, vcc
	v_cndmask_b32_e32 v13, v15, v16, vcc
	v_mov_b32_e32 v14, 0x3b800000
	v_lshlrev_b32_e32 v11, 20, v11
	v_lshl_add_u32 v13, v13, 23, v14
	v_or3_b32 v11, v12, v13, v11
.LBB23_640:
	s_or_b64 exec, exec, s[6:7]
	s_nop 0
	v_mfma_f32_16x16x4f32 a[0:3], v10, v11, a[0:3]
	s_movk_i32 s4, 0x7f
	v_cmp_gt_i16_sdwa s[6:7], v6, s4 src0_sel:BYTE_0 src1_sel:DWORD
	s_mov_b64 s[4:5], 0
                                        ; implicit-def: $sgpr10
	s_and_saveexec_b64 s[8:9], s[6:7]
	s_xor_b64 s[6:7], exec, s[8:9]
	s_cbranch_execnz .LBB23_2689
; %bb.641:
	s_or_saveexec_b64 s[6:7], s[6:7]
	v_mov_b32_e32 v10, s10
	s_xor_b64 exec, exec, s[6:7]
	s_cbranch_execnz .LBB23_2692
.LBB23_642:
	s_or_b64 exec, exec, s[6:7]
	s_and_saveexec_b64 s[6:7], s[4:5]
	s_cbranch_execz .LBB23_644
.LBB23_643:
	v_and_b32_e32 v10, 7, v6
	v_ffbh_u32_e32 v12, v10
	v_min_u32_e32 v12, 32, v12
	v_lshrrev_b16_e32 v11, 3, v6
	v_subrev_u32_e32 v13, 28, v12
	v_and_b32_e32 v11, 15, v11
	v_lshlrev_b32_e32 v13, v13, v6
	v_sub_u32_e32 v12, 29, v12
	v_and_b32_e32 v13, 7, v13
	v_cmp_eq_u16_e32 vcc, 0, v11
	v_cndmask_b32_e32 v10, v10, v13, vcc
	v_cndmask_b32_e32 v11, v11, v12, vcc
	v_lshlrev_b32_e32 v12, 24, v6
	v_mov_b32_e32 v13, 0x3b800000
	v_lshlrev_b32_e32 v10, 20, v10
	v_and_b32_e32 v12, 0x80000000, v12
	v_lshl_add_u32 v11, v11, 23, v13
	v_or3_b32 v10, v12, v11, v10
.LBB23_644:
	s_or_b64 exec, exec, s[6:7]
	s_movk_i32 s4, 0x7f
	v_cmp_gt_i16_sdwa s[6:7], v2, s4 src0_sel:BYTE_0 src1_sel:DWORD
	s_mov_b64 s[4:5], 0
                                        ; implicit-def: $sgpr10
	s_and_saveexec_b64 s[8:9], s[6:7]
	s_xor_b64 s[6:7], exec, s[8:9]
	s_cbranch_execnz .LBB23_2693
; %bb.645:
	s_or_saveexec_b64 s[6:7], s[6:7]
	v_mov_b32_e32 v11, s10
	s_xor_b64 exec, exec, s[6:7]
	s_cbranch_execnz .LBB23_2696
.LBB23_646:
	s_or_b64 exec, exec, s[6:7]
	s_and_saveexec_b64 s[6:7], s[4:5]
	s_cbranch_execz .LBB23_648
.LBB23_647:
	v_and_b32_e32 v11, 7, v2
	v_ffbh_u32_e32 v13, v11
	v_min_u32_e32 v13, 32, v13
	v_lshrrev_b16_e32 v12, 3, v2
	v_subrev_u32_e32 v14, 28, v13
	v_and_b32_e32 v12, 15, v12
	v_lshlrev_b32_e32 v14, v14, v2
	v_sub_u32_e32 v13, 29, v13
	v_and_b32_e32 v14, 7, v14
	v_cmp_eq_u16_e32 vcc, 0, v12
	v_cndmask_b32_e32 v11, v11, v14, vcc
	v_cndmask_b32_e32 v12, v12, v13, vcc
	v_lshlrev_b32_e32 v13, 24, v2
	v_mov_b32_e32 v14, 0x3b800000
	v_lshlrev_b32_e32 v11, 20, v11
	v_and_b32_e32 v13, 0x80000000, v13
	v_lshl_add_u32 v12, v12, 23, v14
	v_or3_b32 v11, v13, v12, v11
.LBB23_648:
	s_or_b64 exec, exec, s[6:7]
	s_nop 0
	v_mfma_f32_16x16x4f32 a[0:3], v10, v11, a[0:3]
	v_lshrrev_b32_e32 v11, 8, v6
	s_movk_i32 s4, 0x7f
	v_cmp_gt_i16_sdwa s[6:7], v11, s4 src0_sel:BYTE_0 src1_sel:DWORD
	s_mov_b64 s[4:5], 0
                                        ; implicit-def: $sgpr10
	s_and_saveexec_b64 s[8:9], s[6:7]
	s_xor_b64 s[6:7], exec, s[8:9]
	s_cbranch_execnz .LBB23_2697
; %bb.649:
	s_or_saveexec_b64 s[6:7], s[6:7]
	v_mov_b32_e32 v10, s10
	s_xor_b64 exec, exec, s[6:7]
	s_cbranch_execnz .LBB23_2700
.LBB23_650:
	s_or_b64 exec, exec, s[6:7]
	s_and_saveexec_b64 s[6:7], s[4:5]
	s_cbranch_execz .LBB23_652
.LBB23_651:
	v_bfe_u32 v10, v6, 8, 3
	v_ffbh_u32_e32 v13, v10
	v_min_u32_e32 v13, 32, v13
	v_lshrrev_b16_e32 v12, 3, v11
	v_subrev_u32_e32 v14, 28, v13
	v_and_b32_e32 v12, 15, v12
	v_lshlrev_b32_e32 v11, v14, v11
	v_sub_u32_e32 v13, 29, v13
	v_and_b32_e32 v11, 7, v11
	v_cmp_eq_u16_e32 vcc, 0, v12
	v_cndmask_b32_e32 v10, v10, v11, vcc
	v_cndmask_b32_e32 v11, v12, v13, vcc
	v_lshlrev_b32_e32 v12, 16, v6
	v_mov_b32_e32 v13, 0x3b800000
	v_lshlrev_b32_e32 v10, 20, v10
	v_and_b32_e32 v12, 0x80000000, v12
	v_lshl_add_u32 v11, v11, 23, v13
	v_or3_b32 v10, v12, v11, v10
.LBB23_652:
	s_or_b64 exec, exec, s[6:7]
	v_lshrrev_b32_e32 v11, 8, v2
	s_movk_i32 s4, 0x7f
	v_cmp_gt_i16_sdwa s[6:7], v11, s4 src0_sel:BYTE_0 src1_sel:DWORD
	s_mov_b64 s[4:5], 0
                                        ; implicit-def: $sgpr10
	s_and_saveexec_b64 s[8:9], s[6:7]
	s_xor_b64 s[6:7], exec, s[8:9]
	s_cbranch_execnz .LBB23_2701
; %bb.653:
	s_or_saveexec_b64 s[6:7], s[6:7]
	v_mov_b32_e32 v12, s10
	s_xor_b64 exec, exec, s[6:7]
	s_cbranch_execnz .LBB23_2704
.LBB23_654:
	s_or_b64 exec, exec, s[6:7]
	s_and_saveexec_b64 s[6:7], s[4:5]
	s_cbranch_execz .LBB23_656
.LBB23_655:
	v_bfe_u32 v12, v2, 8, 3
	v_ffbh_u32_e32 v14, v12
	v_min_u32_e32 v14, 32, v14
	v_lshrrev_b16_e32 v13, 3, v11
	v_subrev_u32_e32 v15, 28, v14
	v_and_b32_e32 v13, 15, v13
	v_lshlrev_b32_e32 v11, v15, v11
	v_sub_u32_e32 v14, 29, v14
	v_and_b32_e32 v11, 7, v11
	v_cmp_eq_u16_e32 vcc, 0, v13
	v_cndmask_b32_e32 v11, v12, v11, vcc
	v_cndmask_b32_e32 v12, v13, v14, vcc
	v_lshlrev_b32_e32 v13, 16, v2
	v_mov_b32_e32 v14, 0x3b800000
	v_lshlrev_b32_e32 v11, 20, v11
	v_and_b32_e32 v13, 0x80000000, v13
	v_lshl_add_u32 v12, v12, 23, v14
	v_or3_b32 v12, v13, v12, v11
.LBB23_656:
	s_or_b64 exec, exec, s[6:7]
	s_nop 0
	v_mfma_f32_16x16x4f32 a[0:3], v10, v12, a[0:3]
	s_movk_i32 s4, 0xff
	v_and_b32_sdwa v11, v6, s4 dst_sel:DWORD dst_unused:UNUSED_PAD src0_sel:WORD_1 src1_sel:DWORD
	s_movk_i32 s4, 0x7f
	v_cmp_lt_i16_e32 vcc, s4, v11
	s_mov_b64 s[4:5], 0
                                        ; implicit-def: $sgpr10
	s_and_saveexec_b64 s[6:7], vcc
	s_xor_b64 s[6:7], exec, s[6:7]
	s_cbranch_execnz .LBB23_2705
; %bb.657:
	s_or_saveexec_b64 s[6:7], s[6:7]
	v_mov_b32_e32 v10, s10
	s_xor_b64 exec, exec, s[6:7]
	s_cbranch_execnz .LBB23_2708
.LBB23_658:
	s_or_b64 exec, exec, s[6:7]
	s_and_saveexec_b64 s[6:7], s[4:5]
	s_cbranch_execz .LBB23_660
.LBB23_659:
	v_bfe_u32 v10, v6, 16, 3
	v_ffbh_u32_e32 v13, v10
	v_min_u32_e32 v13, 32, v13
	v_lshrrev_b32_e32 v11, 19, v6
	v_subrev_u32_e32 v14, 28, v13
	v_and_b32_e32 v11, 15, v11
	v_lshlrev_b32_sdwa v14, v14, v6 dst_sel:DWORD dst_unused:UNUSED_PAD src0_sel:DWORD src1_sel:WORD_1
	v_bfe_u32 v12, v6, 19, 4
	v_sub_u32_e32 v13, 29, v13
	v_and_b32_e32 v14, 7, v14
	v_cmp_eq_u16_e32 vcc, 0, v11
	v_cndmask_b32_e32 v10, v10, v14, vcc
	v_cndmask_b32_e32 v11, v12, v13, vcc
	v_lshlrev_b32_e32 v12, 8, v6
	v_mov_b32_e32 v13, 0x3b800000
	v_lshlrev_b32_e32 v10, 20, v10
	v_and_b32_e32 v12, 0x80000000, v12
	v_lshl_add_u32 v11, v11, 23, v13
	v_or3_b32 v10, v12, v11, v10
.LBB23_660:
	s_or_b64 exec, exec, s[6:7]
	s_movk_i32 s4, 0xff
	v_and_b32_sdwa v11, v2, s4 dst_sel:DWORD dst_unused:UNUSED_PAD src0_sel:WORD_1 src1_sel:DWORD
	s_movk_i32 s4, 0x7f
	v_cmp_lt_i16_e32 vcc, s4, v11
	s_mov_b64 s[4:5], 0
                                        ; implicit-def: $sgpr10
	s_and_saveexec_b64 s[6:7], vcc
	s_xor_b64 s[6:7], exec, s[6:7]
	s_cbranch_execnz .LBB23_2709
; %bb.661:
	s_or_saveexec_b64 s[6:7], s[6:7]
	v_mov_b32_e32 v12, s10
	s_xor_b64 exec, exec, s[6:7]
	s_cbranch_execnz .LBB23_2712
.LBB23_662:
	s_or_b64 exec, exec, s[6:7]
	s_and_saveexec_b64 s[6:7], s[4:5]
	s_cbranch_execz .LBB23_664
.LBB23_663:
	v_bfe_u32 v11, v2, 16, 3
	v_ffbh_u32_e32 v14, v11
	v_min_u32_e32 v14, 32, v14
	v_lshrrev_b32_e32 v12, 19, v2
	v_subrev_u32_e32 v15, 28, v14
	v_and_b32_e32 v12, 15, v12
	v_lshlrev_b32_sdwa v15, v15, v2 dst_sel:DWORD dst_unused:UNUSED_PAD src0_sel:DWORD src1_sel:WORD_1
	v_bfe_u32 v13, v2, 19, 4
	v_sub_u32_e32 v14, 29, v14
	v_and_b32_e32 v15, 7, v15
	v_cmp_eq_u16_e32 vcc, 0, v12
	v_cndmask_b32_e32 v11, v11, v15, vcc
	v_cndmask_b32_e32 v12, v13, v14, vcc
	v_lshlrev_b32_e32 v13, 8, v2
	v_mov_b32_e32 v14, 0x3b800000
	v_lshlrev_b32_e32 v11, 20, v11
	v_and_b32_e32 v13, 0x80000000, v13
	v_lshl_add_u32 v12, v12, 23, v14
	v_or3_b32 v12, v13, v12, v11
.LBB23_664:
	s_or_b64 exec, exec, s[6:7]
	s_nop 0
	v_mfma_f32_16x16x4f32 a[0:3], v10, v12, a[0:3]
	s_movk_i32 s4, 0x7f
	v_cmp_gt_i16_sdwa s[6:7], v6, s4 src0_sel:BYTE_3 src1_sel:DWORD
	s_mov_b64 s[4:5], 0
                                        ; implicit-def: $sgpr10
	s_and_saveexec_b64 s[8:9], s[6:7]
	s_xor_b64 s[6:7], exec, s[8:9]
	s_cbranch_execnz .LBB23_2713
; %bb.665:
	s_or_saveexec_b64 s[6:7], s[6:7]
	v_mov_b32_e32 v10, s10
	s_xor_b64 exec, exec, s[6:7]
	s_cbranch_execnz .LBB23_2716
.LBB23_666:
	s_or_b64 exec, exec, s[6:7]
	s_and_saveexec_b64 s[6:7], s[4:5]
	s_cbranch_execz .LBB23_668
.LBB23_667:
	v_bfe_u32 v10, v6, 24, 3
	v_ffbh_u32_e32 v14, v10
	v_min_u32_e32 v14, 32, v14
	v_lshrrev_b32_e32 v12, 27, v6
	v_subrev_u32_e32 v15, 28, v14
	v_and_b32_e32 v11, 0x80000000, v6
	v_and_b32_e32 v12, 15, v12
	v_bfe_u32 v13, v6, 27, 4
	v_lshlrev_b32_sdwa v6, v15, v6 dst_sel:DWORD dst_unused:UNUSED_PAD src0_sel:DWORD src1_sel:BYTE_3
	v_sub_u32_e32 v14, 29, v14
	v_and_b32_e32 v6, 7, v6
	v_cmp_eq_u16_e32 vcc, 0, v12
	v_cndmask_b32_e32 v6, v10, v6, vcc
	v_cndmask_b32_e32 v10, v13, v14, vcc
	v_mov_b32_e32 v12, 0x3b800000
	v_lshlrev_b32_e32 v6, 20, v6
	v_lshl_add_u32 v10, v10, 23, v12
	v_or3_b32 v10, v11, v10, v6
.LBB23_668:
	s_or_b64 exec, exec, s[6:7]
	s_movk_i32 s4, 0x7f
	v_cmp_gt_i16_sdwa s[6:7], v2, s4 src0_sel:BYTE_3 src1_sel:DWORD
	s_mov_b64 s[4:5], 0
                                        ; implicit-def: $sgpr10
	s_and_saveexec_b64 s[8:9], s[6:7]
	s_xor_b64 s[6:7], exec, s[8:9]
	s_cbranch_execnz .LBB23_2717
; %bb.669:
	s_or_saveexec_b64 s[6:7], s[6:7]
	v_mov_b32_e32 v6, s10
	s_xor_b64 exec, exec, s[6:7]
	s_cbranch_execnz .LBB23_2720
.LBB23_670:
	s_or_b64 exec, exec, s[6:7]
	s_and_saveexec_b64 s[6:7], s[4:5]
	s_cbranch_execz .LBB23_672
.LBB23_671:
	v_bfe_u32 v6, v2, 24, 3
	v_ffbh_u32_e32 v14, v6
	v_min_u32_e32 v14, 32, v14
	v_lshrrev_b32_e32 v12, 27, v2
	v_subrev_u32_e32 v15, 28, v14
	v_and_b32_e32 v11, 0x80000000, v2
	v_and_b32_e32 v12, 15, v12
	v_bfe_u32 v13, v2, 27, 4
	v_lshlrev_b32_sdwa v2, v15, v2 dst_sel:DWORD dst_unused:UNUSED_PAD src0_sel:DWORD src1_sel:BYTE_3
	v_sub_u32_e32 v14, 29, v14
	v_and_b32_e32 v2, 7, v2
	v_cmp_eq_u16_e32 vcc, 0, v12
	v_cndmask_b32_e32 v2, v6, v2, vcc
	v_cndmask_b32_e32 v6, v13, v14, vcc
	v_mov_b32_e32 v12, 0x3b800000
	v_lshlrev_b32_e32 v2, 20, v2
	v_lshl_add_u32 v6, v6, 23, v12
	v_or3_b32 v6, v11, v6, v2
.LBB23_672:
	s_or_b64 exec, exec, s[6:7]
	s_nop 0
	v_mfma_f32_16x16x4f32 a[0:3], v10, v6, a[0:3]
	s_movk_i32 s4, 0x7f
	v_cmp_gt_i16_sdwa s[6:7], v7, s4 src0_sel:BYTE_0 src1_sel:DWORD
	s_mov_b64 s[4:5], 0
                                        ; implicit-def: $sgpr10
	s_and_saveexec_b64 s[8:9], s[6:7]
	s_xor_b64 s[6:7], exec, s[8:9]
	s_cbranch_execnz .LBB23_2721
; %bb.673:
	s_or_saveexec_b64 s[6:7], s[6:7]
	v_mov_b32_e32 v2, s10
	s_xor_b64 exec, exec, s[6:7]
	s_cbranch_execnz .LBB23_2724
.LBB23_674:
	s_or_b64 exec, exec, s[6:7]
	s_and_saveexec_b64 s[6:7], s[4:5]
	s_cbranch_execz .LBB23_676
.LBB23_675:
	v_and_b32_e32 v2, 7, v7
	v_ffbh_u32_e32 v10, v2
	v_min_u32_e32 v10, 32, v10
	v_lshrrev_b16_e32 v6, 3, v7
	v_subrev_u32_e32 v11, 28, v10
	v_and_b32_e32 v6, 15, v6
	v_lshlrev_b32_e32 v11, v11, v7
	v_sub_u32_e32 v10, 29, v10
	v_and_b32_e32 v11, 7, v11
	v_cmp_eq_u16_e32 vcc, 0, v6
	v_cndmask_b32_e32 v2, v2, v11, vcc
	v_cndmask_b32_e32 v6, v6, v10, vcc
	v_lshlrev_b32_e32 v10, 24, v7
	v_mov_b32_e32 v11, 0x3b800000
	v_lshlrev_b32_e32 v2, 20, v2
	v_and_b32_e32 v10, 0x80000000, v10
	v_lshl_add_u32 v6, v6, 23, v11
	v_or3_b32 v2, v10, v6, v2
.LBB23_676:
	s_or_b64 exec, exec, s[6:7]
	s_movk_i32 s4, 0x7f
	v_cmp_gt_i16_sdwa s[6:7], v3, s4 src0_sel:BYTE_0 src1_sel:DWORD
	s_mov_b64 s[4:5], 0
                                        ; implicit-def: $sgpr10
	s_and_saveexec_b64 s[8:9], s[6:7]
	s_xor_b64 s[6:7], exec, s[8:9]
	s_cbranch_execnz .LBB23_2725
; %bb.677:
	s_or_saveexec_b64 s[6:7], s[6:7]
	v_mov_b32_e32 v6, s10
	s_xor_b64 exec, exec, s[6:7]
	s_cbranch_execnz .LBB23_2728
.LBB23_678:
	s_or_b64 exec, exec, s[6:7]
	s_and_saveexec_b64 s[6:7], s[4:5]
	s_cbranch_execz .LBB23_680
.LBB23_679:
	v_and_b32_e32 v6, 7, v3
	v_ffbh_u32_e32 v11, v6
	v_min_u32_e32 v11, 32, v11
	v_lshrrev_b16_e32 v10, 3, v3
	v_subrev_u32_e32 v12, 28, v11
	v_and_b32_e32 v10, 15, v10
	v_lshlrev_b32_e32 v12, v12, v3
	v_sub_u32_e32 v11, 29, v11
	v_and_b32_e32 v12, 7, v12
	v_cmp_eq_u16_e32 vcc, 0, v10
	v_cndmask_b32_e32 v6, v6, v12, vcc
	v_cndmask_b32_e32 v10, v10, v11, vcc
	v_lshlrev_b32_e32 v11, 24, v3
	v_mov_b32_e32 v12, 0x3b800000
	v_lshlrev_b32_e32 v6, 20, v6
	v_and_b32_e32 v11, 0x80000000, v11
	v_lshl_add_u32 v10, v10, 23, v12
	v_or3_b32 v6, v11, v10, v6
.LBB23_680:
	s_or_b64 exec, exec, s[6:7]
	s_nop 0
	v_mfma_f32_16x16x4f32 a[0:3], v2, v6, a[0:3]
	v_lshrrev_b32_e32 v6, 8, v7
	s_movk_i32 s4, 0x7f
	v_cmp_gt_i16_sdwa s[6:7], v6, s4 src0_sel:BYTE_0 src1_sel:DWORD
	s_mov_b64 s[4:5], 0
                                        ; implicit-def: $sgpr10
	s_and_saveexec_b64 s[8:9], s[6:7]
	s_xor_b64 s[6:7], exec, s[8:9]
	s_cbranch_execnz .LBB23_2729
; %bb.681:
	s_or_saveexec_b64 s[6:7], s[6:7]
	v_mov_b32_e32 v2, s10
	s_xor_b64 exec, exec, s[6:7]
	s_cbranch_execnz .LBB23_2732
.LBB23_682:
	s_or_b64 exec, exec, s[6:7]
	s_and_saveexec_b64 s[6:7], s[4:5]
	s_cbranch_execz .LBB23_684
.LBB23_683:
	v_bfe_u32 v2, v7, 8, 3
	v_ffbh_u32_e32 v11, v2
	v_min_u32_e32 v11, 32, v11
	v_lshrrev_b16_e32 v10, 3, v6
	v_subrev_u32_e32 v12, 28, v11
	v_and_b32_e32 v10, 15, v10
	v_lshlrev_b32_e32 v6, v12, v6
	v_sub_u32_e32 v11, 29, v11
	v_and_b32_e32 v6, 7, v6
	v_cmp_eq_u16_e32 vcc, 0, v10
	v_cndmask_b32_e32 v2, v2, v6, vcc
	v_cndmask_b32_e32 v6, v10, v11, vcc
	v_lshlrev_b32_e32 v10, 16, v7
	v_mov_b32_e32 v11, 0x3b800000
	v_lshlrev_b32_e32 v2, 20, v2
	v_and_b32_e32 v10, 0x80000000, v10
	v_lshl_add_u32 v6, v6, 23, v11
	v_or3_b32 v2, v10, v6, v2
.LBB23_684:
	s_or_b64 exec, exec, s[6:7]
	v_lshrrev_b32_e32 v6, 8, v3
	s_movk_i32 s4, 0x7f
	v_cmp_gt_i16_sdwa s[6:7], v6, s4 src0_sel:BYTE_0 src1_sel:DWORD
	s_mov_b64 s[4:5], 0
                                        ; implicit-def: $sgpr10
	s_and_saveexec_b64 s[8:9], s[6:7]
	s_xor_b64 s[6:7], exec, s[8:9]
	s_cbranch_execnz .LBB23_2733
; %bb.685:
	s_or_saveexec_b64 s[6:7], s[6:7]
	v_mov_b32_e32 v10, s10
	s_xor_b64 exec, exec, s[6:7]
	s_cbranch_execnz .LBB23_2736
.LBB23_686:
	s_or_b64 exec, exec, s[6:7]
	s_and_saveexec_b64 s[6:7], s[4:5]
	s_cbranch_execz .LBB23_688
.LBB23_687:
	v_bfe_u32 v10, v3, 8, 3
	v_ffbh_u32_e32 v12, v10
	v_min_u32_e32 v12, 32, v12
	v_lshrrev_b16_e32 v11, 3, v6
	v_subrev_u32_e32 v13, 28, v12
	v_and_b32_e32 v11, 15, v11
	v_lshlrev_b32_e32 v6, v13, v6
	v_sub_u32_e32 v12, 29, v12
	v_and_b32_e32 v6, 7, v6
	v_cmp_eq_u16_e32 vcc, 0, v11
	v_cndmask_b32_e32 v6, v10, v6, vcc
	v_cndmask_b32_e32 v10, v11, v12, vcc
	v_lshlrev_b32_e32 v11, 16, v3
	v_mov_b32_e32 v12, 0x3b800000
	v_lshlrev_b32_e32 v6, 20, v6
	v_and_b32_e32 v11, 0x80000000, v11
	v_lshl_add_u32 v10, v10, 23, v12
	v_or3_b32 v10, v11, v10, v6
.LBB23_688:
	s_or_b64 exec, exec, s[6:7]
	s_nop 0
	v_mfma_f32_16x16x4f32 a[0:3], v2, v10, a[0:3]
	s_movk_i32 s4, 0xff
	v_and_b32_sdwa v6, v7, s4 dst_sel:DWORD dst_unused:UNUSED_PAD src0_sel:WORD_1 src1_sel:DWORD
	s_movk_i32 s4, 0x7f
	v_cmp_lt_i16_e32 vcc, s4, v6
	s_mov_b64 s[4:5], 0
                                        ; implicit-def: $sgpr10
	s_and_saveexec_b64 s[6:7], vcc
	s_xor_b64 s[6:7], exec, s[6:7]
	s_cbranch_execnz .LBB23_2737
; %bb.689:
	s_or_saveexec_b64 s[6:7], s[6:7]
	v_mov_b32_e32 v2, s10
	s_xor_b64 exec, exec, s[6:7]
	s_cbranch_execnz .LBB23_2740
.LBB23_690:
	s_or_b64 exec, exec, s[6:7]
	s_and_saveexec_b64 s[6:7], s[4:5]
	s_cbranch_execz .LBB23_692
.LBB23_691:
	v_bfe_u32 v2, v7, 16, 3
	v_ffbh_u32_e32 v11, v2
	v_min_u32_e32 v11, 32, v11
	v_lshrrev_b32_e32 v6, 19, v7
	v_subrev_u32_e32 v12, 28, v11
	v_and_b32_e32 v6, 15, v6
	v_lshlrev_b32_sdwa v12, v12, v7 dst_sel:DWORD dst_unused:UNUSED_PAD src0_sel:DWORD src1_sel:WORD_1
	v_bfe_u32 v10, v7, 19, 4
	v_sub_u32_e32 v11, 29, v11
	v_and_b32_e32 v12, 7, v12
	v_cmp_eq_u16_e32 vcc, 0, v6
	v_cndmask_b32_e32 v2, v2, v12, vcc
	v_cndmask_b32_e32 v6, v10, v11, vcc
	v_lshlrev_b32_e32 v10, 8, v7
	v_mov_b32_e32 v11, 0x3b800000
	v_lshlrev_b32_e32 v2, 20, v2
	v_and_b32_e32 v10, 0x80000000, v10
	v_lshl_add_u32 v6, v6, 23, v11
	v_or3_b32 v2, v10, v6, v2
.LBB23_692:
	s_or_b64 exec, exec, s[6:7]
	s_movk_i32 s4, 0xff
	v_and_b32_sdwa v6, v3, s4 dst_sel:DWORD dst_unused:UNUSED_PAD src0_sel:WORD_1 src1_sel:DWORD
	s_movk_i32 s4, 0x7f
	v_cmp_lt_i16_e32 vcc, s4, v6
	s_mov_b64 s[4:5], 0
                                        ; implicit-def: $sgpr10
	s_and_saveexec_b64 s[6:7], vcc
	s_xor_b64 s[6:7], exec, s[6:7]
	s_cbranch_execnz .LBB23_2741
; %bb.693:
	s_or_saveexec_b64 s[6:7], s[6:7]
	v_mov_b32_e32 v10, s10
	s_xor_b64 exec, exec, s[6:7]
	s_cbranch_execnz .LBB23_2744
.LBB23_694:
	s_or_b64 exec, exec, s[6:7]
	s_and_saveexec_b64 s[6:7], s[4:5]
	s_cbranch_execz .LBB23_696
.LBB23_695:
	v_bfe_u32 v6, v3, 16, 3
	v_ffbh_u32_e32 v12, v6
	v_min_u32_e32 v12, 32, v12
	v_lshrrev_b32_e32 v10, 19, v3
	v_subrev_u32_e32 v13, 28, v12
	v_and_b32_e32 v10, 15, v10
	v_lshlrev_b32_sdwa v13, v13, v3 dst_sel:DWORD dst_unused:UNUSED_PAD src0_sel:DWORD src1_sel:WORD_1
	v_bfe_u32 v11, v3, 19, 4
	v_sub_u32_e32 v12, 29, v12
	v_and_b32_e32 v13, 7, v13
	v_cmp_eq_u16_e32 vcc, 0, v10
	v_cndmask_b32_e32 v6, v6, v13, vcc
	v_cndmask_b32_e32 v10, v11, v12, vcc
	v_lshlrev_b32_e32 v11, 8, v3
	v_mov_b32_e32 v12, 0x3b800000
	v_lshlrev_b32_e32 v6, 20, v6
	v_and_b32_e32 v11, 0x80000000, v11
	v_lshl_add_u32 v10, v10, 23, v12
	v_or3_b32 v10, v11, v10, v6
.LBB23_696:
	s_or_b64 exec, exec, s[6:7]
	s_nop 0
	v_mfma_f32_16x16x4f32 a[0:3], v2, v10, a[0:3]
	s_movk_i32 s4, 0x7f
	v_cmp_gt_i16_sdwa s[6:7], v7, s4 src0_sel:BYTE_3 src1_sel:DWORD
	s_mov_b64 s[4:5], 0
                                        ; implicit-def: $sgpr10
	s_and_saveexec_b64 s[8:9], s[6:7]
	s_xor_b64 s[6:7], exec, s[8:9]
	s_cbranch_execnz .LBB23_2745
; %bb.697:
	s_or_saveexec_b64 s[6:7], s[6:7]
	v_mov_b32_e32 v2, s10
	s_xor_b64 exec, exec, s[6:7]
	s_cbranch_execnz .LBB23_2748
.LBB23_698:
	s_or_b64 exec, exec, s[6:7]
	s_and_saveexec_b64 s[6:7], s[4:5]
	s_cbranch_execz .LBB23_700
.LBB23_699:
	v_bfe_u32 v2, v7, 24, 3
	v_ffbh_u32_e32 v12, v2
	v_min_u32_e32 v12, 32, v12
	v_lshrrev_b32_e32 v10, 27, v7
	v_subrev_u32_e32 v13, 28, v12
	v_and_b32_e32 v6, 0x80000000, v7
	v_and_b32_e32 v10, 15, v10
	v_bfe_u32 v11, v7, 27, 4
	v_lshlrev_b32_sdwa v7, v13, v7 dst_sel:DWORD dst_unused:UNUSED_PAD src0_sel:DWORD src1_sel:BYTE_3
	v_sub_u32_e32 v12, 29, v12
	v_and_b32_e32 v7, 7, v7
	v_cmp_eq_u16_e32 vcc, 0, v10
	v_cndmask_b32_e32 v2, v2, v7, vcc
	v_cndmask_b32_e32 v7, v11, v12, vcc
	v_mov_b32_e32 v10, 0x3b800000
	v_lshlrev_b32_e32 v2, 20, v2
	v_lshl_add_u32 v7, v7, 23, v10
	v_or3_b32 v2, v6, v7, v2
.LBB23_700:
	s_or_b64 exec, exec, s[6:7]
	s_movk_i32 s4, 0x7f
	v_cmp_gt_i16_sdwa s[6:7], v3, s4 src0_sel:BYTE_3 src1_sel:DWORD
	s_mov_b64 s[4:5], 0
                                        ; implicit-def: $sgpr10
	s_and_saveexec_b64 s[8:9], s[6:7]
	s_xor_b64 s[6:7], exec, s[8:9]
	s_cbranch_execnz .LBB23_2749
; %bb.701:
	s_or_saveexec_b64 s[6:7], s[6:7]
	v_mov_b32_e32 v6, s10
	s_xor_b64 exec, exec, s[6:7]
	s_cbranch_execnz .LBB23_2752
.LBB23_702:
	s_or_b64 exec, exec, s[6:7]
	s_and_saveexec_b64 s[6:7], s[4:5]
	s_cbranch_execz .LBB23_704
.LBB23_703:
	v_bfe_u32 v6, v3, 24, 3
	v_ffbh_u32_e32 v12, v6
	v_min_u32_e32 v12, 32, v12
	v_lshrrev_b32_e32 v10, 27, v3
	v_subrev_u32_e32 v13, 28, v12
	v_and_b32_e32 v7, 0x80000000, v3
	v_and_b32_e32 v10, 15, v10
	v_bfe_u32 v11, v3, 27, 4
	v_lshlrev_b32_sdwa v3, v13, v3 dst_sel:DWORD dst_unused:UNUSED_PAD src0_sel:DWORD src1_sel:BYTE_3
	v_sub_u32_e32 v12, 29, v12
	v_and_b32_e32 v3, 7, v3
	v_cmp_eq_u16_e32 vcc, 0, v10
	v_cndmask_b32_e32 v3, v6, v3, vcc
	v_cndmask_b32_e32 v6, v11, v12, vcc
	v_mov_b32_e32 v10, 0x3b800000
	v_lshlrev_b32_e32 v3, 20, v3
	v_lshl_add_u32 v6, v6, 23, v10
	v_or3_b32 v6, v7, v6, v3
.LBB23_704:
	s_or_b64 exec, exec, s[6:7]
	s_nop 0
	v_mfma_f32_16x16x4f32 a[0:3], v2, v6, a[0:3]
	s_movk_i32 s4, 0x7f
	v_cmp_gt_i16_sdwa s[6:7], v8, s4 src0_sel:BYTE_0 src1_sel:DWORD
	s_mov_b64 s[4:5], 0
                                        ; implicit-def: $sgpr10
	s_and_saveexec_b64 s[8:9], s[6:7]
	s_xor_b64 s[6:7], exec, s[8:9]
	s_cbranch_execnz .LBB23_2753
; %bb.705:
	s_or_saveexec_b64 s[6:7], s[6:7]
	v_mov_b32_e32 v2, s10
	s_xor_b64 exec, exec, s[6:7]
	s_cbranch_execnz .LBB23_2756
.LBB23_706:
	s_or_b64 exec, exec, s[6:7]
	s_and_saveexec_b64 s[6:7], s[4:5]
	s_cbranch_execz .LBB23_708
.LBB23_707:
	v_and_b32_e32 v2, 7, v8
	v_ffbh_u32_e32 v6, v2
	v_min_u32_e32 v6, 32, v6
	v_lshrrev_b16_e32 v3, 3, v8
	v_subrev_u32_e32 v7, 28, v6
	v_and_b32_e32 v3, 15, v3
	v_lshlrev_b32_e32 v7, v7, v8
	v_sub_u32_e32 v6, 29, v6
	v_and_b32_e32 v7, 7, v7
	v_cmp_eq_u16_e32 vcc, 0, v3
	v_cndmask_b32_e32 v2, v2, v7, vcc
	v_cndmask_b32_e32 v3, v3, v6, vcc
	v_lshlrev_b32_e32 v6, 24, v8
	v_mov_b32_e32 v7, 0x3b800000
	v_lshlrev_b32_e32 v2, 20, v2
	v_and_b32_e32 v6, 0x80000000, v6
	v_lshl_add_u32 v3, v3, 23, v7
	v_or3_b32 v2, v6, v3, v2
.LBB23_708:
	s_or_b64 exec, exec, s[6:7]
	s_movk_i32 s4, 0x7f
	v_cmp_gt_i16_sdwa s[6:7], v4, s4 src0_sel:BYTE_0 src1_sel:DWORD
	s_mov_b64 s[4:5], 0
                                        ; implicit-def: $sgpr10
	s_and_saveexec_b64 s[8:9], s[6:7]
	s_xor_b64 s[6:7], exec, s[8:9]
	s_cbranch_execnz .LBB23_2757
; %bb.709:
	s_or_saveexec_b64 s[6:7], s[6:7]
	v_mov_b32_e32 v3, s10
	s_xor_b64 exec, exec, s[6:7]
	s_cbranch_execnz .LBB23_2760
.LBB23_710:
	s_or_b64 exec, exec, s[6:7]
	s_and_saveexec_b64 s[6:7], s[4:5]
	s_cbranch_execz .LBB23_712
.LBB23_711:
	v_and_b32_e32 v3, 7, v4
	v_ffbh_u32_e32 v7, v3
	v_min_u32_e32 v7, 32, v7
	v_lshrrev_b16_e32 v6, 3, v4
	v_subrev_u32_e32 v10, 28, v7
	v_and_b32_e32 v6, 15, v6
	v_lshlrev_b32_e32 v10, v10, v4
	v_sub_u32_e32 v7, 29, v7
	v_and_b32_e32 v10, 7, v10
	v_cmp_eq_u16_e32 vcc, 0, v6
	v_cndmask_b32_e32 v3, v3, v10, vcc
	v_cndmask_b32_e32 v6, v6, v7, vcc
	v_lshlrev_b32_e32 v7, 24, v4
	v_mov_b32_e32 v10, 0x3b800000
	v_lshlrev_b32_e32 v3, 20, v3
	v_and_b32_e32 v7, 0x80000000, v7
	v_lshl_add_u32 v6, v6, 23, v10
	v_or3_b32 v3, v7, v6, v3
.LBB23_712:
	s_or_b64 exec, exec, s[6:7]
	s_nop 0
	v_mfma_f32_16x16x4f32 a[0:3], v2, v3, a[0:3]
	v_lshrrev_b32_e32 v3, 8, v8
	s_movk_i32 s4, 0x7f
	v_cmp_gt_i16_sdwa s[6:7], v3, s4 src0_sel:BYTE_0 src1_sel:DWORD
	s_mov_b64 s[4:5], 0
                                        ; implicit-def: $sgpr10
	s_and_saveexec_b64 s[8:9], s[6:7]
	s_xor_b64 s[6:7], exec, s[8:9]
	s_cbranch_execnz .LBB23_2761
; %bb.713:
	s_or_saveexec_b64 s[6:7], s[6:7]
	v_mov_b32_e32 v2, s10
	s_xor_b64 exec, exec, s[6:7]
	s_cbranch_execnz .LBB23_2764
.LBB23_714:
	s_or_b64 exec, exec, s[6:7]
	s_and_saveexec_b64 s[6:7], s[4:5]
	s_cbranch_execz .LBB23_716
.LBB23_715:
	v_bfe_u32 v2, v8, 8, 3
	v_ffbh_u32_e32 v7, v2
	v_min_u32_e32 v7, 32, v7
	v_lshrrev_b16_e32 v6, 3, v3
	v_subrev_u32_e32 v10, 28, v7
	v_and_b32_e32 v6, 15, v6
	v_lshlrev_b32_e32 v3, v10, v3
	v_sub_u32_e32 v7, 29, v7
	v_and_b32_e32 v3, 7, v3
	v_cmp_eq_u16_e32 vcc, 0, v6
	v_cndmask_b32_e32 v2, v2, v3, vcc
	v_cndmask_b32_e32 v3, v6, v7, vcc
	v_lshlrev_b32_e32 v6, 16, v8
	v_mov_b32_e32 v7, 0x3b800000
	v_lshlrev_b32_e32 v2, 20, v2
	v_and_b32_e32 v6, 0x80000000, v6
	v_lshl_add_u32 v3, v3, 23, v7
	v_or3_b32 v2, v6, v3, v2
.LBB23_716:
	s_or_b64 exec, exec, s[6:7]
	v_lshrrev_b32_e32 v3, 8, v4
	s_movk_i32 s4, 0x7f
	v_cmp_gt_i16_sdwa s[6:7], v3, s4 src0_sel:BYTE_0 src1_sel:DWORD
	s_mov_b64 s[4:5], 0
                                        ; implicit-def: $sgpr10
	s_and_saveexec_b64 s[8:9], s[6:7]
	s_xor_b64 s[6:7], exec, s[8:9]
	s_cbranch_execnz .LBB23_2765
; %bb.717:
	s_or_saveexec_b64 s[6:7], s[6:7]
	v_mov_b32_e32 v6, s10
	s_xor_b64 exec, exec, s[6:7]
	s_cbranch_execnz .LBB23_2768
.LBB23_718:
	s_or_b64 exec, exec, s[6:7]
	s_and_saveexec_b64 s[6:7], s[4:5]
	s_cbranch_execz .LBB23_720
.LBB23_719:
	v_bfe_u32 v6, v4, 8, 3
	v_ffbh_u32_e32 v10, v6
	v_min_u32_e32 v10, 32, v10
	v_lshrrev_b16_e32 v7, 3, v3
	v_subrev_u32_e32 v11, 28, v10
	v_and_b32_e32 v7, 15, v7
	v_lshlrev_b32_e32 v3, v11, v3
	v_sub_u32_e32 v10, 29, v10
	v_and_b32_e32 v3, 7, v3
	v_cmp_eq_u16_e32 vcc, 0, v7
	v_cndmask_b32_e32 v3, v6, v3, vcc
	v_cndmask_b32_e32 v6, v7, v10, vcc
	v_lshlrev_b32_e32 v7, 16, v4
	v_mov_b32_e32 v10, 0x3b800000
	v_lshlrev_b32_e32 v3, 20, v3
	v_and_b32_e32 v7, 0x80000000, v7
	v_lshl_add_u32 v6, v6, 23, v10
	v_or3_b32 v6, v7, v6, v3
.LBB23_720:
	s_or_b64 exec, exec, s[6:7]
	s_nop 0
	v_mfma_f32_16x16x4f32 a[0:3], v2, v6, a[0:3]
	s_movk_i32 s4, 0xff
	v_and_b32_sdwa v3, v8, s4 dst_sel:DWORD dst_unused:UNUSED_PAD src0_sel:WORD_1 src1_sel:DWORD
	s_movk_i32 s4, 0x7f
	v_cmp_lt_i16_e32 vcc, s4, v3
	s_mov_b64 s[4:5], 0
                                        ; implicit-def: $sgpr10
	s_and_saveexec_b64 s[6:7], vcc
	s_xor_b64 s[6:7], exec, s[6:7]
	s_cbranch_execnz .LBB23_2769
; %bb.721:
	s_or_saveexec_b64 s[6:7], s[6:7]
	v_mov_b32_e32 v2, s10
	s_xor_b64 exec, exec, s[6:7]
	s_cbranch_execnz .LBB23_2772
.LBB23_722:
	s_or_b64 exec, exec, s[6:7]
	s_and_saveexec_b64 s[6:7], s[4:5]
	s_cbranch_execz .LBB23_724
.LBB23_723:
	v_bfe_u32 v2, v8, 16, 3
	v_ffbh_u32_e32 v7, v2
	v_min_u32_e32 v7, 32, v7
	v_lshrrev_b32_e32 v3, 19, v8
	v_subrev_u32_e32 v10, 28, v7
	v_and_b32_e32 v3, 15, v3
	v_lshlrev_b32_sdwa v10, v10, v8 dst_sel:DWORD dst_unused:UNUSED_PAD src0_sel:DWORD src1_sel:WORD_1
	v_bfe_u32 v6, v8, 19, 4
	v_sub_u32_e32 v7, 29, v7
	v_and_b32_e32 v10, 7, v10
	v_cmp_eq_u16_e32 vcc, 0, v3
	v_cndmask_b32_e32 v2, v2, v10, vcc
	v_cndmask_b32_e32 v3, v6, v7, vcc
	v_lshlrev_b32_e32 v6, 8, v8
	v_mov_b32_e32 v7, 0x3b800000
	v_lshlrev_b32_e32 v2, 20, v2
	v_and_b32_e32 v6, 0x80000000, v6
	v_lshl_add_u32 v3, v3, 23, v7
	v_or3_b32 v2, v6, v3, v2
.LBB23_724:
	s_or_b64 exec, exec, s[6:7]
	s_movk_i32 s4, 0xff
	v_and_b32_sdwa v3, v4, s4 dst_sel:DWORD dst_unused:UNUSED_PAD src0_sel:WORD_1 src1_sel:DWORD
	s_movk_i32 s4, 0x7f
	v_cmp_lt_i16_e32 vcc, s4, v3
	s_mov_b64 s[4:5], 0
                                        ; implicit-def: $sgpr10
	s_and_saveexec_b64 s[6:7], vcc
	s_xor_b64 s[6:7], exec, s[6:7]
	s_cbranch_execnz .LBB23_2773
; %bb.725:
	s_or_saveexec_b64 s[6:7], s[6:7]
	v_mov_b32_e32 v6, s10
	s_xor_b64 exec, exec, s[6:7]
	s_cbranch_execnz .LBB23_2776
.LBB23_726:
	s_or_b64 exec, exec, s[6:7]
	s_and_saveexec_b64 s[6:7], s[4:5]
	s_cbranch_execz .LBB23_728
.LBB23_727:
	v_bfe_u32 v3, v4, 16, 3
	v_ffbh_u32_e32 v10, v3
	v_min_u32_e32 v10, 32, v10
	v_lshrrev_b32_e32 v6, 19, v4
	v_subrev_u32_e32 v11, 28, v10
	v_and_b32_e32 v6, 15, v6
	v_lshlrev_b32_sdwa v11, v11, v4 dst_sel:DWORD dst_unused:UNUSED_PAD src0_sel:DWORD src1_sel:WORD_1
	v_bfe_u32 v7, v4, 19, 4
	v_sub_u32_e32 v10, 29, v10
	v_and_b32_e32 v11, 7, v11
	v_cmp_eq_u16_e32 vcc, 0, v6
	v_cndmask_b32_e32 v3, v3, v11, vcc
	v_cndmask_b32_e32 v6, v7, v10, vcc
	v_lshlrev_b32_e32 v7, 8, v4
	v_mov_b32_e32 v10, 0x3b800000
	v_lshlrev_b32_e32 v3, 20, v3
	v_and_b32_e32 v7, 0x80000000, v7
	v_lshl_add_u32 v6, v6, 23, v10
	v_or3_b32 v6, v7, v6, v3
.LBB23_728:
	s_or_b64 exec, exec, s[6:7]
	s_nop 0
	v_mfma_f32_16x16x4f32 a[0:3], v2, v6, a[0:3]
	s_movk_i32 s4, 0x7f
	v_cmp_gt_i16_sdwa s[6:7], v8, s4 src0_sel:BYTE_3 src1_sel:DWORD
	s_mov_b64 s[4:5], 0
                                        ; implicit-def: $sgpr10
	s_and_saveexec_b64 s[8:9], s[6:7]
	s_xor_b64 s[6:7], exec, s[8:9]
	s_cbranch_execnz .LBB23_2777
; %bb.729:
	s_or_saveexec_b64 s[6:7], s[6:7]
	v_mov_b32_e32 v2, s10
	s_xor_b64 exec, exec, s[6:7]
	s_cbranch_execnz .LBB23_2780
.LBB23_730:
	s_or_b64 exec, exec, s[6:7]
	s_and_saveexec_b64 s[6:7], s[4:5]
	s_cbranch_execz .LBB23_732
.LBB23_731:
	v_bfe_u32 v2, v8, 24, 3
	v_ffbh_u32_e32 v10, v2
	v_min_u32_e32 v10, 32, v10
	v_lshrrev_b32_e32 v6, 27, v8
	v_subrev_u32_e32 v11, 28, v10
	v_and_b32_e32 v3, 0x80000000, v8
	v_and_b32_e32 v6, 15, v6
	v_bfe_u32 v7, v8, 27, 4
	v_lshlrev_b32_sdwa v8, v11, v8 dst_sel:DWORD dst_unused:UNUSED_PAD src0_sel:DWORD src1_sel:BYTE_3
	v_sub_u32_e32 v10, 29, v10
	v_and_b32_e32 v8, 7, v8
	v_cmp_eq_u16_e32 vcc, 0, v6
	v_cndmask_b32_e32 v2, v2, v8, vcc
	v_cndmask_b32_e32 v6, v7, v10, vcc
	v_mov_b32_e32 v7, 0x3b800000
	v_lshlrev_b32_e32 v2, 20, v2
	v_lshl_add_u32 v6, v6, 23, v7
	v_or3_b32 v2, v3, v6, v2
.LBB23_732:
	s_or_b64 exec, exec, s[6:7]
	s_movk_i32 s4, 0x7f
	v_cmp_gt_i16_sdwa s[6:7], v4, s4 src0_sel:BYTE_3 src1_sel:DWORD
	s_mov_b64 s[4:5], 0
                                        ; implicit-def: $sgpr10
	s_and_saveexec_b64 s[8:9], s[6:7]
	s_xor_b64 s[6:7], exec, s[8:9]
	s_cbranch_execnz .LBB23_2781
; %bb.733:
	s_or_saveexec_b64 s[6:7], s[6:7]
	v_mov_b32_e32 v3, s10
	s_xor_b64 exec, exec, s[6:7]
	s_cbranch_execnz .LBB23_2784
.LBB23_734:
	s_or_b64 exec, exec, s[6:7]
	s_and_saveexec_b64 s[6:7], s[4:5]
	s_cbranch_execz .LBB23_736
.LBB23_735:
	v_bfe_u32 v3, v4, 24, 3
	v_ffbh_u32_e32 v10, v3
	v_min_u32_e32 v10, 32, v10
	v_lshrrev_b32_e32 v7, 27, v4
	v_subrev_u32_e32 v11, 28, v10
	v_and_b32_e32 v6, 0x80000000, v4
	v_and_b32_e32 v7, 15, v7
	v_bfe_u32 v8, v4, 27, 4
	v_lshlrev_b32_sdwa v4, v11, v4 dst_sel:DWORD dst_unused:UNUSED_PAD src0_sel:DWORD src1_sel:BYTE_3
	v_sub_u32_e32 v10, 29, v10
	v_and_b32_e32 v4, 7, v4
	v_cmp_eq_u16_e32 vcc, 0, v7
	v_cndmask_b32_e32 v3, v3, v4, vcc
	v_cndmask_b32_e32 v4, v8, v10, vcc
	v_mov_b32_e32 v7, 0x3b800000
	v_lshlrev_b32_e32 v3, 20, v3
	v_lshl_add_u32 v4, v4, 23, v7
	v_or3_b32 v3, v6, v4, v3
.LBB23_736:
	s_or_b64 exec, exec, s[6:7]
	s_nop 0
	v_mfma_f32_16x16x4f32 a[0:3], v2, v3, a[0:3]
	s_movk_i32 s4, 0x7f
	v_cmp_gt_i16_sdwa s[6:7], v9, s4 src0_sel:BYTE_0 src1_sel:DWORD
	s_mov_b64 s[4:5], 0
                                        ; implicit-def: $sgpr10
	s_and_saveexec_b64 s[8:9], s[6:7]
	s_xor_b64 s[6:7], exec, s[8:9]
	s_cbranch_execnz .LBB23_2785
; %bb.737:
	s_or_saveexec_b64 s[6:7], s[6:7]
	v_mov_b32_e32 v2, s10
	s_xor_b64 exec, exec, s[6:7]
	s_cbranch_execnz .LBB23_2788
.LBB23_738:
	s_or_b64 exec, exec, s[6:7]
	s_and_saveexec_b64 s[6:7], s[4:5]
	s_cbranch_execz .LBB23_740
.LBB23_739:
	v_mov_b32_e32 v2, 8
	v_and_b32_e32 v3, 7, v9
	v_lshrrev_b32_sdwa v2, v2, v9 dst_sel:BYTE_1 dst_unused:UNUSED_PAD src0_sel:DWORD src1_sel:DWORD
	v_ffbh_u32_e32 v4, v3
	v_or_b32_sdwa v2, v9, v2 dst_sel:DWORD dst_unused:UNUSED_PAD src0_sel:BYTE_0 src1_sel:DWORD
	v_min_u32_e32 v4, 32, v4
	v_lshrrev_b16_e32 v2, 3, v2
	v_subrev_u32_e32 v6, 28, v4
	v_and_b32_e32 v2, 15, v2
	v_lshlrev_b32_e32 v6, v6, v9
	v_sub_u32_e32 v4, 29, v4
	v_and_b32_e32 v6, 7, v6
	v_cmp_eq_u16_e32 vcc, 0, v2
	v_cndmask_b32_e32 v3, v3, v6, vcc
	v_cndmask_b32_e32 v2, v2, v4, vcc
	v_lshlrev_b32_e32 v4, 24, v9
	v_mov_b32_e32 v6, 0x3b800000
	v_lshlrev_b32_e32 v3, 20, v3
	v_and_b32_e32 v4, 0x80000000, v4
	v_lshl_add_u32 v2, v2, 23, v6
	v_or3_b32 v2, v4, v2, v3
.LBB23_740:
	s_or_b64 exec, exec, s[6:7]
	s_movk_i32 s4, 0x7f
	v_cmp_gt_i16_sdwa s[6:7], v5, s4 src0_sel:BYTE_0 src1_sel:DWORD
	s_mov_b64 s[4:5], 0
                                        ; implicit-def: $sgpr10
	s_and_saveexec_b64 s[8:9], s[6:7]
	s_xor_b64 s[6:7], exec, s[8:9]
	s_cbranch_execnz .LBB23_2789
; %bb.741:
	s_or_saveexec_b64 s[6:7], s[6:7]
	v_mov_b32_e32 v3, s10
	s_xor_b64 exec, exec, s[6:7]
	s_cbranch_execnz .LBB23_2792
.LBB23_742:
	s_or_b64 exec, exec, s[6:7]
	s_and_saveexec_b64 s[6:7], s[4:5]
	s_cbranch_execz .LBB23_744
.LBB23_743:
	v_mov_b32_e32 v3, 8
	v_and_b32_e32 v4, 7, v5
	v_lshrrev_b32_sdwa v3, v3, v5 dst_sel:BYTE_1 dst_unused:UNUSED_PAD src0_sel:DWORD src1_sel:DWORD
	v_ffbh_u32_e32 v6, v4
	v_or_b32_sdwa v3, v5, v3 dst_sel:DWORD dst_unused:UNUSED_PAD src0_sel:BYTE_0 src1_sel:DWORD
	v_min_u32_e32 v6, 32, v6
	v_lshrrev_b16_e32 v3, 3, v3
	v_subrev_u32_e32 v7, 28, v6
	v_and_b32_e32 v3, 15, v3
	v_lshlrev_b32_e32 v7, v7, v5
	v_sub_u32_e32 v6, 29, v6
	v_and_b32_e32 v7, 7, v7
	v_cmp_eq_u16_e32 vcc, 0, v3
	v_cndmask_b32_e32 v4, v4, v7, vcc
	v_cndmask_b32_e32 v3, v3, v6, vcc
	v_lshlrev_b32_e32 v6, 24, v5
	v_mov_b32_e32 v7, 0x3b800000
	v_lshlrev_b32_e32 v4, 20, v4
	v_and_b32_e32 v6, 0x80000000, v6
	v_lshl_add_u32 v3, v3, 23, v7
	v_or3_b32 v3, v6, v3, v4
.LBB23_744:
	s_or_b64 exec, exec, s[6:7]
	s_nop 0
	v_mfma_f32_16x16x4f32 a[0:3], v2, v3, a[0:3]
	v_lshrrev_b32_e32 v3, 8, v9
	s_movk_i32 s4, 0x7f
	v_cmp_gt_i16_sdwa s[6:7], v3, s4 src0_sel:BYTE_0 src1_sel:DWORD
	s_mov_b64 s[4:5], 0
                                        ; implicit-def: $sgpr10
	s_and_saveexec_b64 s[8:9], s[6:7]
	s_xor_b64 s[6:7], exec, s[8:9]
	s_cbranch_execnz .LBB23_2793
; %bb.745:
	s_or_saveexec_b64 s[6:7], s[6:7]
	v_mov_b32_e32 v2, s10
	s_xor_b64 exec, exec, s[6:7]
	s_cbranch_execnz .LBB23_2796
.LBB23_746:
	s_or_b64 exec, exec, s[6:7]
	s_and_saveexec_b64 s[6:7], s[4:5]
	s_cbranch_execz .LBB23_748
.LBB23_747:
	v_bfe_u32 v2, v9, 8, 3
	v_ffbh_u32_e32 v6, v2
	v_min_u32_e32 v6, 32, v6
	v_lshrrev_b16_e32 v4, 3, v3
	v_subrev_u32_e32 v7, 28, v6
	v_and_b32_e32 v4, 15, v4
	v_lshlrev_b32_e32 v3, v7, v3
	v_sub_u32_e32 v6, 29, v6
	v_and_b32_e32 v3, 7, v3
	v_cmp_eq_u16_e32 vcc, 0, v4
	v_cndmask_b32_e32 v2, v2, v3, vcc
	v_cndmask_b32_e32 v3, v4, v6, vcc
	v_lshlrev_b32_e32 v4, 16, v9
	v_mov_b32_e32 v6, 0x3b800000
	v_lshlrev_b32_e32 v2, 20, v2
	v_and_b32_e32 v4, 0x80000000, v4
	v_lshl_add_u32 v3, v3, 23, v6
	v_or3_b32 v2, v4, v3, v2
.LBB23_748:
	s_or_b64 exec, exec, s[6:7]
	v_lshrrev_b32_e32 v3, 8, v5
	s_movk_i32 s4, 0x7f
	v_cmp_gt_i16_sdwa s[6:7], v3, s4 src0_sel:BYTE_0 src1_sel:DWORD
	s_mov_b64 s[4:5], 0
                                        ; implicit-def: $sgpr10
	s_and_saveexec_b64 s[8:9], s[6:7]
	s_xor_b64 s[6:7], exec, s[8:9]
	s_cbranch_execnz .LBB23_2797
; %bb.749:
	s_or_saveexec_b64 s[6:7], s[6:7]
	v_mov_b32_e32 v4, s10
	s_xor_b64 exec, exec, s[6:7]
	s_cbranch_execnz .LBB23_2800
.LBB23_750:
	s_or_b64 exec, exec, s[6:7]
	s_and_saveexec_b64 s[6:7], s[4:5]
	s_cbranch_execz .LBB23_752
.LBB23_751:
	v_bfe_u32 v4, v5, 8, 3
	v_ffbh_u32_e32 v7, v4
	v_min_u32_e32 v7, 32, v7
	v_lshrrev_b16_e32 v6, 3, v3
	v_subrev_u32_e32 v8, 28, v7
	v_and_b32_e32 v6, 15, v6
	v_lshlrev_b32_e32 v3, v8, v3
	v_sub_u32_e32 v7, 29, v7
	v_and_b32_e32 v3, 7, v3
	v_cmp_eq_u16_e32 vcc, 0, v6
	v_cndmask_b32_e32 v3, v4, v3, vcc
	v_cndmask_b32_e32 v4, v6, v7, vcc
	v_lshlrev_b32_e32 v6, 16, v5
	v_mov_b32_e32 v7, 0x3b800000
	v_lshlrev_b32_e32 v3, 20, v3
	v_and_b32_e32 v6, 0x80000000, v6
	v_lshl_add_u32 v4, v4, 23, v7
	v_or3_b32 v4, v6, v4, v3
.LBB23_752:
	s_or_b64 exec, exec, s[6:7]
	s_nop 0
	v_mfma_f32_16x16x4f32 a[0:3], v2, v4, a[0:3]
	s_movk_i32 s4, 0xff
	v_and_b32_sdwa v3, v9, s4 dst_sel:DWORD dst_unused:UNUSED_PAD src0_sel:WORD_1 src1_sel:DWORD
	s_movk_i32 s4, 0x7f
	v_cmp_lt_i16_e32 vcc, s4, v3
	s_mov_b64 s[4:5], 0
                                        ; implicit-def: $sgpr10
	s_and_saveexec_b64 s[6:7], vcc
	s_xor_b64 s[6:7], exec, s[6:7]
	s_cbranch_execnz .LBB23_2801
; %bb.753:
	s_or_saveexec_b64 s[6:7], s[6:7]
	v_mov_b32_e32 v2, s10
	s_xor_b64 exec, exec, s[6:7]
	s_cbranch_execnz .LBB23_2804
.LBB23_754:
	s_or_b64 exec, exec, s[6:7]
	s_and_saveexec_b64 s[6:7], s[4:5]
	s_cbranch_execz .LBB23_756
.LBB23_755:
	v_bfe_u32 v2, v9, 16, 3
	v_ffbh_u32_e32 v6, v2
	v_min_u32_e32 v6, 32, v6
	v_lshrrev_b32_e32 v3, 19, v9
	v_subrev_u32_e32 v7, 28, v6
	v_and_b32_e32 v3, 15, v3
	v_lshlrev_b32_sdwa v7, v7, v9 dst_sel:DWORD dst_unused:UNUSED_PAD src0_sel:DWORD src1_sel:WORD_1
	v_bfe_u32 v4, v9, 19, 4
	v_sub_u32_e32 v6, 29, v6
	v_and_b32_e32 v7, 7, v7
	v_cmp_eq_u16_e32 vcc, 0, v3
	v_cndmask_b32_e32 v2, v2, v7, vcc
	v_cndmask_b32_e32 v3, v4, v6, vcc
	v_lshlrev_b32_e32 v4, 8, v9
	v_mov_b32_e32 v6, 0x3b800000
	v_lshlrev_b32_e32 v2, 20, v2
	v_and_b32_e32 v4, 0x80000000, v4
	v_lshl_add_u32 v3, v3, 23, v6
	v_or3_b32 v2, v4, v3, v2
.LBB23_756:
	s_or_b64 exec, exec, s[6:7]
	s_movk_i32 s4, 0xff
	v_and_b32_sdwa v3, v5, s4 dst_sel:DWORD dst_unused:UNUSED_PAD src0_sel:WORD_1 src1_sel:DWORD
	s_movk_i32 s4, 0x7f
	v_cmp_lt_i16_e32 vcc, s4, v3
	s_mov_b64 s[4:5], 0
                                        ; implicit-def: $sgpr10
	s_and_saveexec_b64 s[6:7], vcc
	s_xor_b64 s[6:7], exec, s[6:7]
	s_cbranch_execnz .LBB23_2805
; %bb.757:
	s_or_saveexec_b64 s[6:7], s[6:7]
	v_mov_b32_e32 v4, s10
	s_xor_b64 exec, exec, s[6:7]
	s_cbranch_execnz .LBB23_2808
.LBB23_758:
	s_or_b64 exec, exec, s[6:7]
	s_and_saveexec_b64 s[6:7], s[4:5]
	s_cbranch_execz .LBB23_760
.LBB23_759:
	v_bfe_u32 v3, v5, 16, 3
	v_ffbh_u32_e32 v7, v3
	v_min_u32_e32 v7, 32, v7
	v_lshrrev_b32_e32 v4, 19, v5
	v_subrev_u32_e32 v8, 28, v7
	v_and_b32_e32 v4, 15, v4
	v_lshlrev_b32_sdwa v8, v8, v5 dst_sel:DWORD dst_unused:UNUSED_PAD src0_sel:DWORD src1_sel:WORD_1
	v_bfe_u32 v6, v5, 19, 4
	v_sub_u32_e32 v7, 29, v7
	v_and_b32_e32 v8, 7, v8
	v_cmp_eq_u16_e32 vcc, 0, v4
	v_cndmask_b32_e32 v3, v3, v8, vcc
	v_cndmask_b32_e32 v4, v6, v7, vcc
	v_lshlrev_b32_e32 v6, 8, v5
	v_mov_b32_e32 v7, 0x3b800000
	v_lshlrev_b32_e32 v3, 20, v3
	v_and_b32_e32 v6, 0x80000000, v6
	v_lshl_add_u32 v4, v4, 23, v7
	v_or3_b32 v4, v6, v4, v3
.LBB23_760:
	s_or_b64 exec, exec, s[6:7]
	s_nop 0
	v_mfma_f32_16x16x4f32 a[0:3], v2, v4, a[0:3]
	s_movk_i32 s4, 0x7f
	v_cmp_gt_i16_sdwa s[6:7], v9, s4 src0_sel:BYTE_3 src1_sel:DWORD
	s_mov_b64 s[4:5], 0
                                        ; implicit-def: $sgpr10
	s_and_saveexec_b64 s[8:9], s[6:7]
	s_xor_b64 s[6:7], exec, s[8:9]
	s_cbranch_execnz .LBB23_2809
; %bb.761:
	s_or_saveexec_b64 s[6:7], s[6:7]
	v_mov_b32_e32 v2, s10
	s_xor_b64 exec, exec, s[6:7]
	s_cbranch_execnz .LBB23_2812
.LBB23_762:
	s_or_b64 exec, exec, s[6:7]
	s_and_saveexec_b64 s[6:7], s[4:5]
	s_cbranch_execz .LBB23_764
.LBB23_763:
	v_bfe_u32 v2, v9, 24, 3
	v_ffbh_u32_e32 v7, v2
	v_min_u32_e32 v7, 32, v7
	v_lshrrev_b32_e32 v4, 27, v9
	v_subrev_u32_e32 v8, 28, v7
	v_and_b32_e32 v4, 15, v4
	v_lshlrev_b32_sdwa v8, v8, v9 dst_sel:DWORD dst_unused:UNUSED_PAD src0_sel:DWORD src1_sel:BYTE_3
	v_bfe_u32 v6, v9, 27, 4
	v_sub_u32_e32 v7, 29, v7
	v_and_b32_e32 v8, 7, v8
	v_cmp_eq_u16_e32 vcc, 0, v4
	v_cndmask_b32_e32 v2, v2, v8, vcc
	v_cndmask_b32_e32 v4, v6, v7, vcc
	v_mov_b32_e32 v6, 0x3b800000
	v_and_b32_e32 v3, 0x80000000, v9
	v_lshlrev_b32_e32 v2, 20, v2
	v_lshl_add_u32 v4, v4, 23, v6
	v_or3_b32 v2, v3, v4, v2
.LBB23_764:
	s_or_b64 exec, exec, s[6:7]
	s_movk_i32 s4, 0x7f
	v_cmp_gt_i16_sdwa s[6:7], v5, s4 src0_sel:BYTE_3 src1_sel:DWORD
	s_mov_b64 s[4:5], 0
                                        ; implicit-def: $sgpr10
	s_and_saveexec_b64 s[8:9], s[6:7]
	s_xor_b64 s[6:7], exec, s[8:9]
	s_cbranch_execnz .LBB23_2813
; %bb.765:
	s_or_saveexec_b64 s[6:7], s[6:7]
	v_mov_b32_e32 v3, s10
	s_xor_b64 exec, exec, s[6:7]
	s_cbranch_execnz .LBB23_2816
.LBB23_766:
	s_or_b64 exec, exec, s[6:7]
	s_and_saveexec_b64 s[6:7], s[4:5]
	s_cbranch_execz .LBB23_768
.LBB23_767:
	v_bfe_u32 v3, v5, 24, 3
	v_ffbh_u32_e32 v8, v3
	v_min_u32_e32 v8, 32, v8
	v_lshrrev_b32_e32 v6, 27, v5
	v_subrev_u32_e32 v9, 28, v8
	v_and_b32_e32 v4, 0x80000000, v5
	v_and_b32_e32 v6, 15, v6
	v_bfe_u32 v7, v5, 27, 4
	v_lshlrev_b32_sdwa v5, v9, v5 dst_sel:DWORD dst_unused:UNUSED_PAD src0_sel:DWORD src1_sel:BYTE_3
	v_sub_u32_e32 v8, 29, v8
	v_and_b32_e32 v5, 7, v5
	v_cmp_eq_u16_e32 vcc, 0, v6
	v_cndmask_b32_e32 v3, v3, v5, vcc
	v_cndmask_b32_e32 v5, v7, v8, vcc
	v_mov_b32_e32 v6, 0x3b800000
	v_lshlrev_b32_e32 v3, 20, v3
	v_lshl_add_u32 v5, v5, 23, v6
	v_or3_b32 v3, v4, v5, v3
.LBB23_768:
	s_or_b64 exec, exec, s[6:7]
	s_nop 0
	v_mfma_f32_16x16x4f32 a[0:3], v2, v3, a[0:3]
	s_movk_i32 s4, 0x7f
                                        ; implicit-def: $sgpr10
	s_nop 7
	s_nop 1
	flat_store_dwordx4 v[18:19], a[0:3] offset:672
	flat_load_dwordx4 v[20:23], v[0:1] offset:8
	s_nop 0
	flat_load_dwordx2 v[18:19], v[0:1] offset:24
	s_waitcnt vmcnt(0) lgkmcnt(0)
	flat_load_dwordx4 v[14:17], v[20:21] offset:32
	flat_load_dwordx4 v[6:9], v[20:21] offset:48
	;; [unrolled: 1-line block ×4, first 2 shown]
	s_waitcnt vmcnt(0) lgkmcnt(0)
	v_cmp_gt_i16_sdwa s[6:7], v14, s4 src0_sel:BYTE_0 src1_sel:DWORD
	s_mov_b64 s[4:5], 0
	s_and_saveexec_b64 s[8:9], s[6:7]
	s_xor_b64 s[6:7], exec, s[8:9]
	s_cbranch_execnz .LBB23_2817
; %bb.769:
	s_or_saveexec_b64 s[6:7], s[6:7]
	v_mov_b32_e32 v20, s10
	s_xor_b64 exec, exec, s[6:7]
	s_cbranch_execnz .LBB23_2820
.LBB23_770:
	s_or_b64 exec, exec, s[6:7]
	s_and_saveexec_b64 s[6:7], s[4:5]
	s_cbranch_execz .LBB23_772
.LBB23_771:
	v_and_b32_e32 v20, 7, v14
	v_ffbh_u32_e32 v22, v20
	v_min_u32_e32 v22, 32, v22
	v_lshrrev_b16_e32 v21, 3, v14
	v_subrev_u32_e32 v23, 28, v22
	v_and_b32_e32 v21, 15, v21
	v_lshlrev_b32_e32 v23, v23, v14
	v_sub_u32_e32 v22, 29, v22
	v_and_b32_e32 v23, 7, v23
	v_cmp_eq_u16_e32 vcc, 0, v21
	v_cndmask_b32_e32 v20, v20, v23, vcc
	v_cndmask_b32_e32 v21, v21, v22, vcc
	v_lshlrev_b32_e32 v22, 24, v14
	v_mov_b32_e32 v23, 0x3b800000
	v_lshlrev_b32_e32 v20, 20, v20
	v_and_b32_e32 v22, 0x80000000, v22
	v_lshl_add_u32 v21, v21, 23, v23
	v_or3_b32 v20, v22, v21, v20
.LBB23_772:
	s_or_b64 exec, exec, s[6:7]
	s_movk_i32 s4, 0x7f
	v_cmp_gt_i16_sdwa s[6:7], v10, s4 src0_sel:BYTE_0 src1_sel:DWORD
	s_mov_b64 s[4:5], 0
                                        ; implicit-def: $sgpr10
	s_and_saveexec_b64 s[8:9], s[6:7]
	s_xor_b64 s[6:7], exec, s[8:9]
	s_cbranch_execnz .LBB23_2821
; %bb.773:
	s_or_saveexec_b64 s[6:7], s[6:7]
	v_mov_b32_e32 v21, s10
	s_xor_b64 exec, exec, s[6:7]
	s_cbranch_execnz .LBB23_2824
.LBB23_774:
	s_or_b64 exec, exec, s[6:7]
	s_and_saveexec_b64 s[6:7], s[4:5]
	s_cbranch_execz .LBB23_776
.LBB23_775:
	v_and_b32_e32 v21, 7, v10
	v_ffbh_u32_e32 v23, v21
	v_min_u32_e32 v23, 32, v23
	v_lshrrev_b16_e32 v22, 3, v10
	v_subrev_u32_e32 v24, 28, v23
	v_and_b32_e32 v22, 15, v22
	v_lshlrev_b32_e32 v24, v24, v10
	v_sub_u32_e32 v23, 29, v23
	v_and_b32_e32 v24, 7, v24
	v_cmp_eq_u16_e32 vcc, 0, v22
	v_cndmask_b32_e32 v21, v21, v24, vcc
	v_cndmask_b32_e32 v22, v22, v23, vcc
	v_lshlrev_b32_e32 v23, 24, v10
	v_mov_b32_e32 v24, 0x3b800000
	v_lshlrev_b32_e32 v21, 20, v21
	v_and_b32_e32 v23, 0x80000000, v23
	v_lshl_add_u32 v22, v22, 23, v24
	v_or3_b32 v21, v23, v22, v21
.LBB23_776:
	s_or_b64 exec, exec, s[6:7]
	flat_load_dwordx4 a[0:3], v[18:19] offset:688
	s_movk_i32 s4, 0x7f
                                        ; implicit-def: $sgpr10
	s_waitcnt vmcnt(0) lgkmcnt(0)
	v_mfma_f32_16x16x4f32 a[0:3], v20, v21, a[0:3]
	v_lshrrev_b32_e32 v21, 8, v14
	v_cmp_gt_i16_sdwa s[6:7], v21, s4 src0_sel:BYTE_0 src1_sel:DWORD
	s_mov_b64 s[4:5], 0
	s_and_saveexec_b64 s[8:9], s[6:7]
	s_xor_b64 s[6:7], exec, s[8:9]
	s_cbranch_execnz .LBB23_2825
; %bb.777:
	s_or_saveexec_b64 s[6:7], s[6:7]
	v_mov_b32_e32 v20, s10
	s_xor_b64 exec, exec, s[6:7]
	s_cbranch_execnz .LBB23_2828
.LBB23_778:
	s_or_b64 exec, exec, s[6:7]
	s_and_saveexec_b64 s[6:7], s[4:5]
	s_cbranch_execz .LBB23_780
.LBB23_779:
	v_bfe_u32 v20, v14, 8, 3
	v_ffbh_u32_e32 v23, v20
	v_min_u32_e32 v23, 32, v23
	v_lshrrev_b16_e32 v22, 3, v21
	v_subrev_u32_e32 v24, 28, v23
	v_and_b32_e32 v22, 15, v22
	v_lshlrev_b32_e32 v21, v24, v21
	v_sub_u32_e32 v23, 29, v23
	v_and_b32_e32 v21, 7, v21
	v_cmp_eq_u16_e32 vcc, 0, v22
	v_cndmask_b32_e32 v20, v20, v21, vcc
	v_cndmask_b32_e32 v21, v22, v23, vcc
	v_lshlrev_b32_e32 v22, 16, v14
	v_mov_b32_e32 v23, 0x3b800000
	v_lshlrev_b32_e32 v20, 20, v20
	v_and_b32_e32 v22, 0x80000000, v22
	v_lshl_add_u32 v21, v21, 23, v23
	v_or3_b32 v20, v22, v21, v20
.LBB23_780:
	s_or_b64 exec, exec, s[6:7]
	v_lshrrev_b32_e32 v21, 8, v10
	s_movk_i32 s4, 0x7f
	v_cmp_gt_i16_sdwa s[6:7], v21, s4 src0_sel:BYTE_0 src1_sel:DWORD
	s_mov_b64 s[4:5], 0
                                        ; implicit-def: $sgpr10
	s_and_saveexec_b64 s[8:9], s[6:7]
	s_xor_b64 s[6:7], exec, s[8:9]
	s_cbranch_execnz .LBB23_2829
; %bb.781:
	s_or_saveexec_b64 s[6:7], s[6:7]
	v_mov_b32_e32 v22, s10
	s_xor_b64 exec, exec, s[6:7]
	s_cbranch_execnz .LBB23_2832
.LBB23_782:
	s_or_b64 exec, exec, s[6:7]
	s_and_saveexec_b64 s[6:7], s[4:5]
	s_cbranch_execz .LBB23_784
.LBB23_783:
	v_bfe_u32 v22, v10, 8, 3
	v_ffbh_u32_e32 v24, v22
	v_min_u32_e32 v24, 32, v24
	v_lshrrev_b16_e32 v23, 3, v21
	v_subrev_u32_e32 v25, 28, v24
	v_and_b32_e32 v23, 15, v23
	v_lshlrev_b32_e32 v21, v25, v21
	v_sub_u32_e32 v24, 29, v24
	v_and_b32_e32 v21, 7, v21
	v_cmp_eq_u16_e32 vcc, 0, v23
	v_cndmask_b32_e32 v21, v22, v21, vcc
	v_cndmask_b32_e32 v22, v23, v24, vcc
	v_lshlrev_b32_e32 v23, 16, v10
	v_mov_b32_e32 v24, 0x3b800000
	v_lshlrev_b32_e32 v21, 20, v21
	v_and_b32_e32 v23, 0x80000000, v23
	v_lshl_add_u32 v22, v22, 23, v24
	v_or3_b32 v22, v23, v22, v21
.LBB23_784:
	s_or_b64 exec, exec, s[6:7]
	s_nop 0
	v_mfma_f32_16x16x4f32 a[0:3], v20, v22, a[0:3]
	s_movk_i32 s4, 0xff
	v_and_b32_sdwa v21, v14, s4 dst_sel:DWORD dst_unused:UNUSED_PAD src0_sel:WORD_1 src1_sel:DWORD
	s_movk_i32 s4, 0x7f
	v_cmp_lt_i16_e32 vcc, s4, v21
	s_mov_b64 s[4:5], 0
                                        ; implicit-def: $sgpr10
	s_and_saveexec_b64 s[6:7], vcc
	s_xor_b64 s[6:7], exec, s[6:7]
	s_cbranch_execnz .LBB23_2833
; %bb.785:
	s_or_saveexec_b64 s[6:7], s[6:7]
	v_mov_b32_e32 v20, s10
	s_xor_b64 exec, exec, s[6:7]
	s_cbranch_execnz .LBB23_2836
.LBB23_786:
	s_or_b64 exec, exec, s[6:7]
	s_and_saveexec_b64 s[6:7], s[4:5]
	s_cbranch_execz .LBB23_788
.LBB23_787:
	v_bfe_u32 v20, v14, 16, 3
	v_ffbh_u32_e32 v23, v20
	v_min_u32_e32 v23, 32, v23
	v_lshrrev_b32_e32 v21, 19, v14
	v_subrev_u32_e32 v24, 28, v23
	v_and_b32_e32 v21, 15, v21
	v_lshlrev_b32_sdwa v24, v24, v14 dst_sel:DWORD dst_unused:UNUSED_PAD src0_sel:DWORD src1_sel:WORD_1
	v_bfe_u32 v22, v14, 19, 4
	v_sub_u32_e32 v23, 29, v23
	v_and_b32_e32 v24, 7, v24
	v_cmp_eq_u16_e32 vcc, 0, v21
	v_cndmask_b32_e32 v20, v20, v24, vcc
	v_cndmask_b32_e32 v21, v22, v23, vcc
	v_lshlrev_b32_e32 v22, 8, v14
	v_mov_b32_e32 v23, 0x3b800000
	v_lshlrev_b32_e32 v20, 20, v20
	v_and_b32_e32 v22, 0x80000000, v22
	v_lshl_add_u32 v21, v21, 23, v23
	v_or3_b32 v20, v22, v21, v20
.LBB23_788:
	s_or_b64 exec, exec, s[6:7]
	s_movk_i32 s4, 0xff
	v_and_b32_sdwa v21, v10, s4 dst_sel:DWORD dst_unused:UNUSED_PAD src0_sel:WORD_1 src1_sel:DWORD
	s_movk_i32 s4, 0x7f
	v_cmp_lt_i16_e32 vcc, s4, v21
	s_mov_b64 s[4:5], 0
                                        ; implicit-def: $sgpr10
	s_and_saveexec_b64 s[6:7], vcc
	s_xor_b64 s[6:7], exec, s[6:7]
	s_cbranch_execnz .LBB23_2837
; %bb.789:
	s_or_saveexec_b64 s[6:7], s[6:7]
	v_mov_b32_e32 v22, s10
	s_xor_b64 exec, exec, s[6:7]
	s_cbranch_execnz .LBB23_2840
.LBB23_790:
	s_or_b64 exec, exec, s[6:7]
	s_and_saveexec_b64 s[6:7], s[4:5]
	s_cbranch_execz .LBB23_792
.LBB23_791:
	v_bfe_u32 v21, v10, 16, 3
	v_ffbh_u32_e32 v24, v21
	v_min_u32_e32 v24, 32, v24
	v_lshrrev_b32_e32 v22, 19, v10
	v_subrev_u32_e32 v25, 28, v24
	v_and_b32_e32 v22, 15, v22
	v_lshlrev_b32_sdwa v25, v25, v10 dst_sel:DWORD dst_unused:UNUSED_PAD src0_sel:DWORD src1_sel:WORD_1
	v_bfe_u32 v23, v10, 19, 4
	v_sub_u32_e32 v24, 29, v24
	v_and_b32_e32 v25, 7, v25
	v_cmp_eq_u16_e32 vcc, 0, v22
	v_cndmask_b32_e32 v21, v21, v25, vcc
	v_cndmask_b32_e32 v22, v23, v24, vcc
	v_lshlrev_b32_e32 v23, 8, v10
	v_mov_b32_e32 v24, 0x3b800000
	v_lshlrev_b32_e32 v21, 20, v21
	v_and_b32_e32 v23, 0x80000000, v23
	v_lshl_add_u32 v22, v22, 23, v24
	v_or3_b32 v22, v23, v22, v21
.LBB23_792:
	s_or_b64 exec, exec, s[6:7]
	s_nop 0
	v_mfma_f32_16x16x4f32 a[0:3], v20, v22, a[0:3]
	s_movk_i32 s4, 0x7f
	v_cmp_gt_i16_sdwa s[6:7], v14, s4 src0_sel:BYTE_3 src1_sel:DWORD
	s_mov_b64 s[4:5], 0
                                        ; implicit-def: $sgpr10
	s_and_saveexec_b64 s[8:9], s[6:7]
	s_xor_b64 s[6:7], exec, s[8:9]
	s_cbranch_execnz .LBB23_2841
; %bb.793:
	s_or_saveexec_b64 s[6:7], s[6:7]
	v_mov_b32_e32 v20, s10
	s_xor_b64 exec, exec, s[6:7]
	s_cbranch_execnz .LBB23_2844
.LBB23_794:
	s_or_b64 exec, exec, s[6:7]
	s_and_saveexec_b64 s[6:7], s[4:5]
	s_cbranch_execz .LBB23_796
.LBB23_795:
	v_bfe_u32 v20, v14, 24, 3
	v_ffbh_u32_e32 v24, v20
	v_min_u32_e32 v24, 32, v24
	v_lshrrev_b32_e32 v22, 27, v14
	v_subrev_u32_e32 v25, 28, v24
	v_and_b32_e32 v21, 0x80000000, v14
	v_and_b32_e32 v22, 15, v22
	v_bfe_u32 v23, v14, 27, 4
	v_lshlrev_b32_sdwa v14, v25, v14 dst_sel:DWORD dst_unused:UNUSED_PAD src0_sel:DWORD src1_sel:BYTE_3
	v_sub_u32_e32 v24, 29, v24
	v_and_b32_e32 v14, 7, v14
	v_cmp_eq_u16_e32 vcc, 0, v22
	v_cndmask_b32_e32 v14, v20, v14, vcc
	v_cndmask_b32_e32 v20, v23, v24, vcc
	v_mov_b32_e32 v22, 0x3b800000
	v_lshlrev_b32_e32 v14, 20, v14
	v_lshl_add_u32 v20, v20, 23, v22
	v_or3_b32 v20, v21, v20, v14
.LBB23_796:
	s_or_b64 exec, exec, s[6:7]
	s_movk_i32 s4, 0x7f
	v_cmp_gt_i16_sdwa s[6:7], v10, s4 src0_sel:BYTE_3 src1_sel:DWORD
	s_mov_b64 s[4:5], 0
                                        ; implicit-def: $sgpr10
	s_and_saveexec_b64 s[8:9], s[6:7]
	s_xor_b64 s[6:7], exec, s[8:9]
	s_cbranch_execnz .LBB23_2845
; %bb.797:
	s_or_saveexec_b64 s[6:7], s[6:7]
	v_mov_b32_e32 v14, s10
	s_xor_b64 exec, exec, s[6:7]
	s_cbranch_execnz .LBB23_2848
.LBB23_798:
	s_or_b64 exec, exec, s[6:7]
	s_and_saveexec_b64 s[6:7], s[4:5]
	s_cbranch_execz .LBB23_800
.LBB23_799:
	v_bfe_u32 v14, v10, 24, 3
	v_ffbh_u32_e32 v24, v14
	v_min_u32_e32 v24, 32, v24
	v_lshrrev_b32_e32 v22, 27, v10
	v_subrev_u32_e32 v25, 28, v24
	v_and_b32_e32 v21, 0x80000000, v10
	v_and_b32_e32 v22, 15, v22
	v_bfe_u32 v23, v10, 27, 4
	v_lshlrev_b32_sdwa v10, v25, v10 dst_sel:DWORD dst_unused:UNUSED_PAD src0_sel:DWORD src1_sel:BYTE_3
	v_sub_u32_e32 v24, 29, v24
	v_and_b32_e32 v10, 7, v10
	v_cmp_eq_u16_e32 vcc, 0, v22
	v_cndmask_b32_e32 v10, v14, v10, vcc
	v_cndmask_b32_e32 v14, v23, v24, vcc
	v_mov_b32_e32 v22, 0x3b800000
	v_lshlrev_b32_e32 v10, 20, v10
	v_lshl_add_u32 v14, v14, 23, v22
	v_or3_b32 v14, v21, v14, v10
.LBB23_800:
	s_or_b64 exec, exec, s[6:7]
	s_nop 0
	v_mfma_f32_16x16x4f32 a[0:3], v20, v14, a[0:3]
	s_movk_i32 s4, 0x7f
	v_cmp_gt_i16_sdwa s[6:7], v15, s4 src0_sel:BYTE_0 src1_sel:DWORD
	s_mov_b64 s[4:5], 0
                                        ; implicit-def: $sgpr10
	s_and_saveexec_b64 s[8:9], s[6:7]
	s_xor_b64 s[6:7], exec, s[8:9]
	s_cbranch_execnz .LBB23_2849
; %bb.801:
	s_or_saveexec_b64 s[6:7], s[6:7]
	v_mov_b32_e32 v10, s10
	s_xor_b64 exec, exec, s[6:7]
	s_cbranch_execnz .LBB23_2852
.LBB23_802:
	s_or_b64 exec, exec, s[6:7]
	s_and_saveexec_b64 s[6:7], s[4:5]
	s_cbranch_execz .LBB23_804
.LBB23_803:
	v_and_b32_e32 v10, 7, v15
	v_ffbh_u32_e32 v20, v10
	v_min_u32_e32 v20, 32, v20
	v_lshrrev_b16_e32 v14, 3, v15
	v_subrev_u32_e32 v21, 28, v20
	v_and_b32_e32 v14, 15, v14
	v_lshlrev_b32_e32 v21, v21, v15
	v_sub_u32_e32 v20, 29, v20
	v_and_b32_e32 v21, 7, v21
	v_cmp_eq_u16_e32 vcc, 0, v14
	v_cndmask_b32_e32 v10, v10, v21, vcc
	v_cndmask_b32_e32 v14, v14, v20, vcc
	v_lshlrev_b32_e32 v20, 24, v15
	v_mov_b32_e32 v21, 0x3b800000
	v_lshlrev_b32_e32 v10, 20, v10
	v_and_b32_e32 v20, 0x80000000, v20
	v_lshl_add_u32 v14, v14, 23, v21
	v_or3_b32 v10, v20, v14, v10
.LBB23_804:
	s_or_b64 exec, exec, s[6:7]
	s_movk_i32 s4, 0x7f
	v_cmp_gt_i16_sdwa s[6:7], v11, s4 src0_sel:BYTE_0 src1_sel:DWORD
	s_mov_b64 s[4:5], 0
                                        ; implicit-def: $sgpr10
	s_and_saveexec_b64 s[8:9], s[6:7]
	s_xor_b64 s[6:7], exec, s[8:9]
	s_cbranch_execnz .LBB23_2853
; %bb.805:
	s_or_saveexec_b64 s[6:7], s[6:7]
	v_mov_b32_e32 v14, s10
	s_xor_b64 exec, exec, s[6:7]
	s_cbranch_execnz .LBB23_2856
.LBB23_806:
	s_or_b64 exec, exec, s[6:7]
	s_and_saveexec_b64 s[6:7], s[4:5]
	s_cbranch_execz .LBB23_808
.LBB23_807:
	v_and_b32_e32 v14, 7, v11
	v_ffbh_u32_e32 v21, v14
	v_min_u32_e32 v21, 32, v21
	v_lshrrev_b16_e32 v20, 3, v11
	v_subrev_u32_e32 v22, 28, v21
	v_and_b32_e32 v20, 15, v20
	v_lshlrev_b32_e32 v22, v22, v11
	v_sub_u32_e32 v21, 29, v21
	v_and_b32_e32 v22, 7, v22
	v_cmp_eq_u16_e32 vcc, 0, v20
	v_cndmask_b32_e32 v14, v14, v22, vcc
	v_cndmask_b32_e32 v20, v20, v21, vcc
	v_lshlrev_b32_e32 v21, 24, v11
	v_mov_b32_e32 v22, 0x3b800000
	v_lshlrev_b32_e32 v14, 20, v14
	v_and_b32_e32 v21, 0x80000000, v21
	v_lshl_add_u32 v20, v20, 23, v22
	v_or3_b32 v14, v21, v20, v14
.LBB23_808:
	s_or_b64 exec, exec, s[6:7]
	s_nop 0
	v_mfma_f32_16x16x4f32 a[0:3], v10, v14, a[0:3]
	v_lshrrev_b32_e32 v14, 8, v15
	s_movk_i32 s4, 0x7f
	v_cmp_gt_i16_sdwa s[6:7], v14, s4 src0_sel:BYTE_0 src1_sel:DWORD
	s_mov_b64 s[4:5], 0
                                        ; implicit-def: $sgpr10
	s_and_saveexec_b64 s[8:9], s[6:7]
	s_xor_b64 s[6:7], exec, s[8:9]
	s_cbranch_execnz .LBB23_2857
; %bb.809:
	s_or_saveexec_b64 s[6:7], s[6:7]
	v_mov_b32_e32 v10, s10
	s_xor_b64 exec, exec, s[6:7]
	s_cbranch_execnz .LBB23_2860
.LBB23_810:
	s_or_b64 exec, exec, s[6:7]
	s_and_saveexec_b64 s[6:7], s[4:5]
	s_cbranch_execz .LBB23_812
.LBB23_811:
	v_bfe_u32 v10, v15, 8, 3
	v_ffbh_u32_e32 v21, v10
	v_min_u32_e32 v21, 32, v21
	v_lshrrev_b16_e32 v20, 3, v14
	v_subrev_u32_e32 v22, 28, v21
	v_and_b32_e32 v20, 15, v20
	v_lshlrev_b32_e32 v14, v22, v14
	v_sub_u32_e32 v21, 29, v21
	v_and_b32_e32 v14, 7, v14
	v_cmp_eq_u16_e32 vcc, 0, v20
	v_cndmask_b32_e32 v10, v10, v14, vcc
	v_cndmask_b32_e32 v14, v20, v21, vcc
	v_lshlrev_b32_e32 v20, 16, v15
	v_mov_b32_e32 v21, 0x3b800000
	v_lshlrev_b32_e32 v10, 20, v10
	v_and_b32_e32 v20, 0x80000000, v20
	v_lshl_add_u32 v14, v14, 23, v21
	v_or3_b32 v10, v20, v14, v10
.LBB23_812:
	s_or_b64 exec, exec, s[6:7]
	v_lshrrev_b32_e32 v14, 8, v11
	s_movk_i32 s4, 0x7f
	v_cmp_gt_i16_sdwa s[6:7], v14, s4 src0_sel:BYTE_0 src1_sel:DWORD
	s_mov_b64 s[4:5], 0
                                        ; implicit-def: $sgpr10
	s_and_saveexec_b64 s[8:9], s[6:7]
	s_xor_b64 s[6:7], exec, s[8:9]
	s_cbranch_execnz .LBB23_2861
; %bb.813:
	s_or_saveexec_b64 s[6:7], s[6:7]
	v_mov_b32_e32 v20, s10
	s_xor_b64 exec, exec, s[6:7]
	s_cbranch_execnz .LBB23_2864
.LBB23_814:
	s_or_b64 exec, exec, s[6:7]
	s_and_saveexec_b64 s[6:7], s[4:5]
	s_cbranch_execz .LBB23_816
.LBB23_815:
	v_bfe_u32 v20, v11, 8, 3
	v_ffbh_u32_e32 v22, v20
	v_min_u32_e32 v22, 32, v22
	v_lshrrev_b16_e32 v21, 3, v14
	v_subrev_u32_e32 v23, 28, v22
	v_and_b32_e32 v21, 15, v21
	v_lshlrev_b32_e32 v14, v23, v14
	v_sub_u32_e32 v22, 29, v22
	v_and_b32_e32 v14, 7, v14
	v_cmp_eq_u16_e32 vcc, 0, v21
	v_cndmask_b32_e32 v14, v20, v14, vcc
	v_cndmask_b32_e32 v20, v21, v22, vcc
	v_lshlrev_b32_e32 v21, 16, v11
	v_mov_b32_e32 v22, 0x3b800000
	v_lshlrev_b32_e32 v14, 20, v14
	v_and_b32_e32 v21, 0x80000000, v21
	v_lshl_add_u32 v20, v20, 23, v22
	v_or3_b32 v20, v21, v20, v14
.LBB23_816:
	s_or_b64 exec, exec, s[6:7]
	s_nop 0
	v_mfma_f32_16x16x4f32 a[0:3], v10, v20, a[0:3]
	s_movk_i32 s4, 0xff
	v_and_b32_sdwa v14, v15, s4 dst_sel:DWORD dst_unused:UNUSED_PAD src0_sel:WORD_1 src1_sel:DWORD
	s_movk_i32 s4, 0x7f
	v_cmp_lt_i16_e32 vcc, s4, v14
	s_mov_b64 s[4:5], 0
                                        ; implicit-def: $sgpr10
	s_and_saveexec_b64 s[6:7], vcc
	s_xor_b64 s[6:7], exec, s[6:7]
	s_cbranch_execnz .LBB23_2865
; %bb.817:
	s_or_saveexec_b64 s[6:7], s[6:7]
	v_mov_b32_e32 v10, s10
	s_xor_b64 exec, exec, s[6:7]
	s_cbranch_execnz .LBB23_2868
.LBB23_818:
	s_or_b64 exec, exec, s[6:7]
	s_and_saveexec_b64 s[6:7], s[4:5]
	s_cbranch_execz .LBB23_820
.LBB23_819:
	v_bfe_u32 v10, v15, 16, 3
	v_ffbh_u32_e32 v21, v10
	v_min_u32_e32 v21, 32, v21
	v_lshrrev_b32_e32 v14, 19, v15
	v_subrev_u32_e32 v22, 28, v21
	v_and_b32_e32 v14, 15, v14
	v_lshlrev_b32_sdwa v22, v22, v15 dst_sel:DWORD dst_unused:UNUSED_PAD src0_sel:DWORD src1_sel:WORD_1
	v_bfe_u32 v20, v15, 19, 4
	v_sub_u32_e32 v21, 29, v21
	v_and_b32_e32 v22, 7, v22
	v_cmp_eq_u16_e32 vcc, 0, v14
	v_cndmask_b32_e32 v10, v10, v22, vcc
	v_cndmask_b32_e32 v14, v20, v21, vcc
	v_lshlrev_b32_e32 v20, 8, v15
	v_mov_b32_e32 v21, 0x3b800000
	v_lshlrev_b32_e32 v10, 20, v10
	v_and_b32_e32 v20, 0x80000000, v20
	v_lshl_add_u32 v14, v14, 23, v21
	v_or3_b32 v10, v20, v14, v10
.LBB23_820:
	s_or_b64 exec, exec, s[6:7]
	s_movk_i32 s4, 0xff
	v_and_b32_sdwa v14, v11, s4 dst_sel:DWORD dst_unused:UNUSED_PAD src0_sel:WORD_1 src1_sel:DWORD
	s_movk_i32 s4, 0x7f
	v_cmp_lt_i16_e32 vcc, s4, v14
	s_mov_b64 s[4:5], 0
                                        ; implicit-def: $sgpr10
	s_and_saveexec_b64 s[6:7], vcc
	s_xor_b64 s[6:7], exec, s[6:7]
	s_cbranch_execnz .LBB23_2869
; %bb.821:
	s_or_saveexec_b64 s[6:7], s[6:7]
	v_mov_b32_e32 v20, s10
	s_xor_b64 exec, exec, s[6:7]
	s_cbranch_execnz .LBB23_2872
.LBB23_822:
	s_or_b64 exec, exec, s[6:7]
	s_and_saveexec_b64 s[6:7], s[4:5]
	s_cbranch_execz .LBB23_824
.LBB23_823:
	v_bfe_u32 v14, v11, 16, 3
	v_ffbh_u32_e32 v22, v14
	v_min_u32_e32 v22, 32, v22
	v_lshrrev_b32_e32 v20, 19, v11
	v_subrev_u32_e32 v23, 28, v22
	v_and_b32_e32 v20, 15, v20
	v_lshlrev_b32_sdwa v23, v23, v11 dst_sel:DWORD dst_unused:UNUSED_PAD src0_sel:DWORD src1_sel:WORD_1
	v_bfe_u32 v21, v11, 19, 4
	v_sub_u32_e32 v22, 29, v22
	v_and_b32_e32 v23, 7, v23
	v_cmp_eq_u16_e32 vcc, 0, v20
	v_cndmask_b32_e32 v14, v14, v23, vcc
	v_cndmask_b32_e32 v20, v21, v22, vcc
	v_lshlrev_b32_e32 v21, 8, v11
	v_mov_b32_e32 v22, 0x3b800000
	v_lshlrev_b32_e32 v14, 20, v14
	v_and_b32_e32 v21, 0x80000000, v21
	v_lshl_add_u32 v20, v20, 23, v22
	v_or3_b32 v20, v21, v20, v14
.LBB23_824:
	s_or_b64 exec, exec, s[6:7]
	s_nop 0
	v_mfma_f32_16x16x4f32 a[0:3], v10, v20, a[0:3]
	s_movk_i32 s4, 0x7f
	v_cmp_gt_i16_sdwa s[6:7], v15, s4 src0_sel:BYTE_3 src1_sel:DWORD
	s_mov_b64 s[4:5], 0
                                        ; implicit-def: $sgpr10
	s_and_saveexec_b64 s[8:9], s[6:7]
	s_xor_b64 s[6:7], exec, s[8:9]
	s_cbranch_execnz .LBB23_2873
; %bb.825:
	s_or_saveexec_b64 s[6:7], s[6:7]
	v_mov_b32_e32 v10, s10
	s_xor_b64 exec, exec, s[6:7]
	s_cbranch_execnz .LBB23_2876
.LBB23_826:
	s_or_b64 exec, exec, s[6:7]
	s_and_saveexec_b64 s[6:7], s[4:5]
	s_cbranch_execz .LBB23_828
.LBB23_827:
	v_bfe_u32 v10, v15, 24, 3
	v_ffbh_u32_e32 v22, v10
	v_min_u32_e32 v22, 32, v22
	v_lshrrev_b32_e32 v20, 27, v15
	v_subrev_u32_e32 v23, 28, v22
	v_and_b32_e32 v14, 0x80000000, v15
	v_and_b32_e32 v20, 15, v20
	v_bfe_u32 v21, v15, 27, 4
	v_lshlrev_b32_sdwa v15, v23, v15 dst_sel:DWORD dst_unused:UNUSED_PAD src0_sel:DWORD src1_sel:BYTE_3
	v_sub_u32_e32 v22, 29, v22
	v_and_b32_e32 v15, 7, v15
	v_cmp_eq_u16_e32 vcc, 0, v20
	v_cndmask_b32_e32 v10, v10, v15, vcc
	v_cndmask_b32_e32 v15, v21, v22, vcc
	v_mov_b32_e32 v20, 0x3b800000
	v_lshlrev_b32_e32 v10, 20, v10
	v_lshl_add_u32 v15, v15, 23, v20
	v_or3_b32 v10, v14, v15, v10
.LBB23_828:
	s_or_b64 exec, exec, s[6:7]
	s_movk_i32 s4, 0x7f
	v_cmp_gt_i16_sdwa s[6:7], v11, s4 src0_sel:BYTE_3 src1_sel:DWORD
	s_mov_b64 s[4:5], 0
                                        ; implicit-def: $sgpr10
	s_and_saveexec_b64 s[8:9], s[6:7]
	s_xor_b64 s[6:7], exec, s[8:9]
	s_cbranch_execnz .LBB23_2877
; %bb.829:
	s_or_saveexec_b64 s[6:7], s[6:7]
	v_mov_b32_e32 v14, s10
	s_xor_b64 exec, exec, s[6:7]
	s_cbranch_execnz .LBB23_2880
.LBB23_830:
	s_or_b64 exec, exec, s[6:7]
	s_and_saveexec_b64 s[6:7], s[4:5]
	s_cbranch_execz .LBB23_832
.LBB23_831:
	v_bfe_u32 v14, v11, 24, 3
	v_ffbh_u32_e32 v22, v14
	v_min_u32_e32 v22, 32, v22
	v_lshrrev_b32_e32 v20, 27, v11
	v_subrev_u32_e32 v23, 28, v22
	v_and_b32_e32 v15, 0x80000000, v11
	v_and_b32_e32 v20, 15, v20
	v_bfe_u32 v21, v11, 27, 4
	v_lshlrev_b32_sdwa v11, v23, v11 dst_sel:DWORD dst_unused:UNUSED_PAD src0_sel:DWORD src1_sel:BYTE_3
	v_sub_u32_e32 v22, 29, v22
	v_and_b32_e32 v11, 7, v11
	v_cmp_eq_u16_e32 vcc, 0, v20
	v_cndmask_b32_e32 v11, v14, v11, vcc
	v_cndmask_b32_e32 v14, v21, v22, vcc
	v_mov_b32_e32 v20, 0x3b800000
	v_lshlrev_b32_e32 v11, 20, v11
	v_lshl_add_u32 v14, v14, 23, v20
	v_or3_b32 v14, v15, v14, v11
.LBB23_832:
	s_or_b64 exec, exec, s[6:7]
	s_nop 0
	v_mfma_f32_16x16x4f32 a[0:3], v10, v14, a[0:3]
	s_movk_i32 s4, 0x7f
	v_cmp_gt_i16_sdwa s[6:7], v16, s4 src0_sel:BYTE_0 src1_sel:DWORD
	s_mov_b64 s[4:5], 0
                                        ; implicit-def: $sgpr10
	s_and_saveexec_b64 s[8:9], s[6:7]
	s_xor_b64 s[6:7], exec, s[8:9]
	s_cbranch_execnz .LBB23_2881
; %bb.833:
	s_or_saveexec_b64 s[6:7], s[6:7]
	v_mov_b32_e32 v10, s10
	s_xor_b64 exec, exec, s[6:7]
	s_cbranch_execnz .LBB23_2884
.LBB23_834:
	s_or_b64 exec, exec, s[6:7]
	s_and_saveexec_b64 s[6:7], s[4:5]
	s_cbranch_execz .LBB23_836
.LBB23_835:
	v_and_b32_e32 v10, 7, v16
	v_ffbh_u32_e32 v14, v10
	v_min_u32_e32 v14, 32, v14
	v_lshrrev_b16_e32 v11, 3, v16
	v_subrev_u32_e32 v15, 28, v14
	v_and_b32_e32 v11, 15, v11
	v_lshlrev_b32_e32 v15, v15, v16
	v_sub_u32_e32 v14, 29, v14
	v_and_b32_e32 v15, 7, v15
	v_cmp_eq_u16_e32 vcc, 0, v11
	v_cndmask_b32_e32 v10, v10, v15, vcc
	v_cndmask_b32_e32 v11, v11, v14, vcc
	v_lshlrev_b32_e32 v14, 24, v16
	v_mov_b32_e32 v15, 0x3b800000
	v_lshlrev_b32_e32 v10, 20, v10
	v_and_b32_e32 v14, 0x80000000, v14
	v_lshl_add_u32 v11, v11, 23, v15
	v_or3_b32 v10, v14, v11, v10
.LBB23_836:
	s_or_b64 exec, exec, s[6:7]
	s_movk_i32 s4, 0x7f
	v_cmp_gt_i16_sdwa s[6:7], v12, s4 src0_sel:BYTE_0 src1_sel:DWORD
	s_mov_b64 s[4:5], 0
                                        ; implicit-def: $sgpr10
	s_and_saveexec_b64 s[8:9], s[6:7]
	s_xor_b64 s[6:7], exec, s[8:9]
	s_cbranch_execnz .LBB23_2885
; %bb.837:
	s_or_saveexec_b64 s[6:7], s[6:7]
	v_mov_b32_e32 v11, s10
	s_xor_b64 exec, exec, s[6:7]
	s_cbranch_execnz .LBB23_2888
.LBB23_838:
	s_or_b64 exec, exec, s[6:7]
	s_and_saveexec_b64 s[6:7], s[4:5]
	s_cbranch_execz .LBB23_840
.LBB23_839:
	v_and_b32_e32 v11, 7, v12
	v_ffbh_u32_e32 v15, v11
	v_min_u32_e32 v15, 32, v15
	v_lshrrev_b16_e32 v14, 3, v12
	v_subrev_u32_e32 v20, 28, v15
	v_and_b32_e32 v14, 15, v14
	v_lshlrev_b32_e32 v20, v20, v12
	v_sub_u32_e32 v15, 29, v15
	v_and_b32_e32 v20, 7, v20
	v_cmp_eq_u16_e32 vcc, 0, v14
	v_cndmask_b32_e32 v11, v11, v20, vcc
	v_cndmask_b32_e32 v14, v14, v15, vcc
	v_lshlrev_b32_e32 v15, 24, v12
	v_mov_b32_e32 v20, 0x3b800000
	v_lshlrev_b32_e32 v11, 20, v11
	v_and_b32_e32 v15, 0x80000000, v15
	v_lshl_add_u32 v14, v14, 23, v20
	v_or3_b32 v11, v15, v14, v11
.LBB23_840:
	s_or_b64 exec, exec, s[6:7]
	s_nop 0
	v_mfma_f32_16x16x4f32 a[0:3], v10, v11, a[0:3]
	v_lshrrev_b32_e32 v11, 8, v16
	s_movk_i32 s4, 0x7f
	v_cmp_gt_i16_sdwa s[6:7], v11, s4 src0_sel:BYTE_0 src1_sel:DWORD
	s_mov_b64 s[4:5], 0
                                        ; implicit-def: $sgpr10
	s_and_saveexec_b64 s[8:9], s[6:7]
	s_xor_b64 s[6:7], exec, s[8:9]
	s_cbranch_execnz .LBB23_2889
; %bb.841:
	s_or_saveexec_b64 s[6:7], s[6:7]
	v_mov_b32_e32 v10, s10
	s_xor_b64 exec, exec, s[6:7]
	s_cbranch_execnz .LBB23_2892
.LBB23_842:
	s_or_b64 exec, exec, s[6:7]
	s_and_saveexec_b64 s[6:7], s[4:5]
	s_cbranch_execz .LBB23_844
.LBB23_843:
	v_bfe_u32 v10, v16, 8, 3
	v_ffbh_u32_e32 v15, v10
	v_min_u32_e32 v15, 32, v15
	v_lshrrev_b16_e32 v14, 3, v11
	v_subrev_u32_e32 v20, 28, v15
	v_and_b32_e32 v14, 15, v14
	v_lshlrev_b32_e32 v11, v20, v11
	v_sub_u32_e32 v15, 29, v15
	v_and_b32_e32 v11, 7, v11
	v_cmp_eq_u16_e32 vcc, 0, v14
	v_cndmask_b32_e32 v10, v10, v11, vcc
	v_cndmask_b32_e32 v11, v14, v15, vcc
	v_lshlrev_b32_e32 v14, 16, v16
	v_mov_b32_e32 v15, 0x3b800000
	v_lshlrev_b32_e32 v10, 20, v10
	v_and_b32_e32 v14, 0x80000000, v14
	v_lshl_add_u32 v11, v11, 23, v15
	v_or3_b32 v10, v14, v11, v10
.LBB23_844:
	s_or_b64 exec, exec, s[6:7]
	v_lshrrev_b32_e32 v11, 8, v12
	s_movk_i32 s4, 0x7f
	v_cmp_gt_i16_sdwa s[6:7], v11, s4 src0_sel:BYTE_0 src1_sel:DWORD
	s_mov_b64 s[4:5], 0
                                        ; implicit-def: $sgpr10
	s_and_saveexec_b64 s[8:9], s[6:7]
	s_xor_b64 s[6:7], exec, s[8:9]
	s_cbranch_execnz .LBB23_2893
; %bb.845:
	s_or_saveexec_b64 s[6:7], s[6:7]
	v_mov_b32_e32 v14, s10
	s_xor_b64 exec, exec, s[6:7]
	s_cbranch_execnz .LBB23_2896
.LBB23_846:
	s_or_b64 exec, exec, s[6:7]
	s_and_saveexec_b64 s[6:7], s[4:5]
	s_cbranch_execz .LBB23_848
.LBB23_847:
	v_bfe_u32 v14, v12, 8, 3
	v_ffbh_u32_e32 v20, v14
	v_min_u32_e32 v20, 32, v20
	v_lshrrev_b16_e32 v15, 3, v11
	v_subrev_u32_e32 v21, 28, v20
	v_and_b32_e32 v15, 15, v15
	v_lshlrev_b32_e32 v11, v21, v11
	v_sub_u32_e32 v20, 29, v20
	v_and_b32_e32 v11, 7, v11
	v_cmp_eq_u16_e32 vcc, 0, v15
	v_cndmask_b32_e32 v11, v14, v11, vcc
	v_cndmask_b32_e32 v14, v15, v20, vcc
	v_lshlrev_b32_e32 v15, 16, v12
	v_mov_b32_e32 v20, 0x3b800000
	v_lshlrev_b32_e32 v11, 20, v11
	v_and_b32_e32 v15, 0x80000000, v15
	v_lshl_add_u32 v14, v14, 23, v20
	v_or3_b32 v14, v15, v14, v11
.LBB23_848:
	s_or_b64 exec, exec, s[6:7]
	s_nop 0
	v_mfma_f32_16x16x4f32 a[0:3], v10, v14, a[0:3]
	s_movk_i32 s4, 0xff
	v_and_b32_sdwa v11, v16, s4 dst_sel:DWORD dst_unused:UNUSED_PAD src0_sel:WORD_1 src1_sel:DWORD
	s_movk_i32 s4, 0x7f
	v_cmp_lt_i16_e32 vcc, s4, v11
	s_mov_b64 s[4:5], 0
                                        ; implicit-def: $sgpr10
	s_and_saveexec_b64 s[6:7], vcc
	s_xor_b64 s[6:7], exec, s[6:7]
	s_cbranch_execnz .LBB23_2897
; %bb.849:
	s_or_saveexec_b64 s[6:7], s[6:7]
	v_mov_b32_e32 v10, s10
	s_xor_b64 exec, exec, s[6:7]
	s_cbranch_execnz .LBB23_2900
.LBB23_850:
	s_or_b64 exec, exec, s[6:7]
	s_and_saveexec_b64 s[6:7], s[4:5]
	s_cbranch_execz .LBB23_852
.LBB23_851:
	v_bfe_u32 v10, v16, 16, 3
	v_ffbh_u32_e32 v15, v10
	v_min_u32_e32 v15, 32, v15
	v_lshrrev_b32_e32 v11, 19, v16
	v_subrev_u32_e32 v20, 28, v15
	v_and_b32_e32 v11, 15, v11
	v_lshlrev_b32_sdwa v20, v20, v16 dst_sel:DWORD dst_unused:UNUSED_PAD src0_sel:DWORD src1_sel:WORD_1
	v_bfe_u32 v14, v16, 19, 4
	v_sub_u32_e32 v15, 29, v15
	v_and_b32_e32 v20, 7, v20
	v_cmp_eq_u16_e32 vcc, 0, v11
	v_cndmask_b32_e32 v10, v10, v20, vcc
	v_cndmask_b32_e32 v11, v14, v15, vcc
	v_lshlrev_b32_e32 v14, 8, v16
	v_mov_b32_e32 v15, 0x3b800000
	v_lshlrev_b32_e32 v10, 20, v10
	v_and_b32_e32 v14, 0x80000000, v14
	v_lshl_add_u32 v11, v11, 23, v15
	v_or3_b32 v10, v14, v11, v10
.LBB23_852:
	s_or_b64 exec, exec, s[6:7]
	s_movk_i32 s4, 0xff
	v_and_b32_sdwa v11, v12, s4 dst_sel:DWORD dst_unused:UNUSED_PAD src0_sel:WORD_1 src1_sel:DWORD
	s_movk_i32 s4, 0x7f
	v_cmp_lt_i16_e32 vcc, s4, v11
	s_mov_b64 s[4:5], 0
                                        ; implicit-def: $sgpr10
	s_and_saveexec_b64 s[6:7], vcc
	s_xor_b64 s[6:7], exec, s[6:7]
	s_cbranch_execnz .LBB23_2901
; %bb.853:
	s_or_saveexec_b64 s[6:7], s[6:7]
	v_mov_b32_e32 v14, s10
	s_xor_b64 exec, exec, s[6:7]
	s_cbranch_execnz .LBB23_2904
.LBB23_854:
	s_or_b64 exec, exec, s[6:7]
	s_and_saveexec_b64 s[6:7], s[4:5]
	s_cbranch_execz .LBB23_856
.LBB23_855:
	v_bfe_u32 v11, v12, 16, 3
	v_ffbh_u32_e32 v20, v11
	v_min_u32_e32 v20, 32, v20
	v_lshrrev_b32_e32 v14, 19, v12
	v_subrev_u32_e32 v21, 28, v20
	v_and_b32_e32 v14, 15, v14
	v_lshlrev_b32_sdwa v21, v21, v12 dst_sel:DWORD dst_unused:UNUSED_PAD src0_sel:DWORD src1_sel:WORD_1
	v_bfe_u32 v15, v12, 19, 4
	v_sub_u32_e32 v20, 29, v20
	v_and_b32_e32 v21, 7, v21
	v_cmp_eq_u16_e32 vcc, 0, v14
	v_cndmask_b32_e32 v11, v11, v21, vcc
	v_cndmask_b32_e32 v14, v15, v20, vcc
	v_lshlrev_b32_e32 v15, 8, v12
	v_mov_b32_e32 v20, 0x3b800000
	v_lshlrev_b32_e32 v11, 20, v11
	v_and_b32_e32 v15, 0x80000000, v15
	v_lshl_add_u32 v14, v14, 23, v20
	v_or3_b32 v14, v15, v14, v11
.LBB23_856:
	s_or_b64 exec, exec, s[6:7]
	s_nop 0
	v_mfma_f32_16x16x4f32 a[0:3], v10, v14, a[0:3]
	s_movk_i32 s4, 0x7f
	v_cmp_gt_i16_sdwa s[6:7], v16, s4 src0_sel:BYTE_3 src1_sel:DWORD
	s_mov_b64 s[4:5], 0
                                        ; implicit-def: $sgpr10
	s_and_saveexec_b64 s[8:9], s[6:7]
	s_xor_b64 s[6:7], exec, s[8:9]
	s_cbranch_execnz .LBB23_2905
; %bb.857:
	s_or_saveexec_b64 s[6:7], s[6:7]
	v_mov_b32_e32 v10, s10
	s_xor_b64 exec, exec, s[6:7]
	s_cbranch_execnz .LBB23_2908
.LBB23_858:
	s_or_b64 exec, exec, s[6:7]
	s_and_saveexec_b64 s[6:7], s[4:5]
	s_cbranch_execz .LBB23_860
.LBB23_859:
	v_bfe_u32 v10, v16, 24, 3
	v_ffbh_u32_e32 v20, v10
	v_min_u32_e32 v20, 32, v20
	v_lshrrev_b32_e32 v14, 27, v16
	v_subrev_u32_e32 v21, 28, v20
	v_and_b32_e32 v11, 0x80000000, v16
	v_and_b32_e32 v14, 15, v14
	v_bfe_u32 v15, v16, 27, 4
	v_lshlrev_b32_sdwa v16, v21, v16 dst_sel:DWORD dst_unused:UNUSED_PAD src0_sel:DWORD src1_sel:BYTE_3
	v_sub_u32_e32 v20, 29, v20
	v_and_b32_e32 v16, 7, v16
	v_cmp_eq_u16_e32 vcc, 0, v14
	v_cndmask_b32_e32 v10, v10, v16, vcc
	v_cndmask_b32_e32 v14, v15, v20, vcc
	v_mov_b32_e32 v15, 0x3b800000
	v_lshlrev_b32_e32 v10, 20, v10
	v_lshl_add_u32 v14, v14, 23, v15
	v_or3_b32 v10, v11, v14, v10
.LBB23_860:
	s_or_b64 exec, exec, s[6:7]
	s_movk_i32 s4, 0x7f
	v_cmp_gt_i16_sdwa s[6:7], v12, s4 src0_sel:BYTE_3 src1_sel:DWORD
	s_mov_b64 s[4:5], 0
                                        ; implicit-def: $sgpr10
	s_and_saveexec_b64 s[8:9], s[6:7]
	s_xor_b64 s[6:7], exec, s[8:9]
	s_cbranch_execnz .LBB23_2909
; %bb.861:
	s_or_saveexec_b64 s[6:7], s[6:7]
	v_mov_b32_e32 v11, s10
	s_xor_b64 exec, exec, s[6:7]
	s_cbranch_execnz .LBB23_2912
.LBB23_862:
	s_or_b64 exec, exec, s[6:7]
	s_and_saveexec_b64 s[6:7], s[4:5]
	s_cbranch_execz .LBB23_864
.LBB23_863:
	v_bfe_u32 v11, v12, 24, 3
	v_ffbh_u32_e32 v20, v11
	v_min_u32_e32 v20, 32, v20
	v_lshrrev_b32_e32 v15, 27, v12
	v_subrev_u32_e32 v21, 28, v20
	v_and_b32_e32 v14, 0x80000000, v12
	v_and_b32_e32 v15, 15, v15
	v_bfe_u32 v16, v12, 27, 4
	v_lshlrev_b32_sdwa v12, v21, v12 dst_sel:DWORD dst_unused:UNUSED_PAD src0_sel:DWORD src1_sel:BYTE_3
	v_sub_u32_e32 v20, 29, v20
	v_and_b32_e32 v12, 7, v12
	v_cmp_eq_u16_e32 vcc, 0, v15
	v_cndmask_b32_e32 v11, v11, v12, vcc
	v_cndmask_b32_e32 v12, v16, v20, vcc
	v_mov_b32_e32 v15, 0x3b800000
	v_lshlrev_b32_e32 v11, 20, v11
	v_lshl_add_u32 v12, v12, 23, v15
	v_or3_b32 v11, v14, v12, v11
.LBB23_864:
	s_or_b64 exec, exec, s[6:7]
	s_nop 0
	v_mfma_f32_16x16x4f32 a[0:3], v10, v11, a[0:3]
	s_movk_i32 s4, 0x7f
	v_cmp_gt_i16_sdwa s[6:7], v17, s4 src0_sel:BYTE_0 src1_sel:DWORD
	s_mov_b64 s[4:5], 0
                                        ; implicit-def: $sgpr10
	s_and_saveexec_b64 s[8:9], s[6:7]
	s_xor_b64 s[6:7], exec, s[8:9]
	s_cbranch_execnz .LBB23_2913
; %bb.865:
	s_or_saveexec_b64 s[6:7], s[6:7]
	v_mov_b32_e32 v10, s10
	s_xor_b64 exec, exec, s[6:7]
	s_cbranch_execnz .LBB23_2916
.LBB23_866:
	s_or_b64 exec, exec, s[6:7]
	s_and_saveexec_b64 s[6:7], s[4:5]
	s_cbranch_execz .LBB23_868
.LBB23_867:
	v_and_b32_e32 v10, 7, v17
	v_ffbh_u32_e32 v12, v10
	v_min_u32_e32 v12, 32, v12
	v_lshrrev_b16_e32 v11, 3, v17
	v_subrev_u32_e32 v14, 28, v12
	v_and_b32_e32 v11, 15, v11
	v_lshlrev_b32_e32 v14, v14, v17
	v_sub_u32_e32 v12, 29, v12
	v_and_b32_e32 v14, 7, v14
	v_cmp_eq_u16_e32 vcc, 0, v11
	v_cndmask_b32_e32 v10, v10, v14, vcc
	v_cndmask_b32_e32 v11, v11, v12, vcc
	v_lshlrev_b32_e32 v12, 24, v17
	v_mov_b32_e32 v14, 0x3b800000
	v_lshlrev_b32_e32 v10, 20, v10
	v_and_b32_e32 v12, 0x80000000, v12
	v_lshl_add_u32 v11, v11, 23, v14
	v_or3_b32 v10, v12, v11, v10
.LBB23_868:
	s_or_b64 exec, exec, s[6:7]
	s_movk_i32 s4, 0x7f
	v_cmp_gt_i16_sdwa s[6:7], v13, s4 src0_sel:BYTE_0 src1_sel:DWORD
	s_mov_b64 s[4:5], 0
                                        ; implicit-def: $sgpr10
	s_and_saveexec_b64 s[8:9], s[6:7]
	s_xor_b64 s[6:7], exec, s[8:9]
	s_cbranch_execnz .LBB23_2917
; %bb.869:
	s_or_saveexec_b64 s[6:7], s[6:7]
	v_mov_b32_e32 v11, s10
	s_xor_b64 exec, exec, s[6:7]
	s_cbranch_execnz .LBB23_2920
.LBB23_870:
	s_or_b64 exec, exec, s[6:7]
	s_and_saveexec_b64 s[6:7], s[4:5]
	s_cbranch_execz .LBB23_872
.LBB23_871:
	v_and_b32_e32 v11, 7, v13
	v_ffbh_u32_e32 v14, v11
	v_min_u32_e32 v14, 32, v14
	v_lshrrev_b16_e32 v12, 3, v13
	v_subrev_u32_e32 v15, 28, v14
	v_and_b32_e32 v12, 15, v12
	v_lshlrev_b32_e32 v15, v15, v13
	v_sub_u32_e32 v14, 29, v14
	v_and_b32_e32 v15, 7, v15
	v_cmp_eq_u16_e32 vcc, 0, v12
	v_cndmask_b32_e32 v11, v11, v15, vcc
	v_cndmask_b32_e32 v12, v12, v14, vcc
	v_lshlrev_b32_e32 v14, 24, v13
	v_mov_b32_e32 v15, 0x3b800000
	v_lshlrev_b32_e32 v11, 20, v11
	v_and_b32_e32 v14, 0x80000000, v14
	v_lshl_add_u32 v12, v12, 23, v15
	v_or3_b32 v11, v14, v12, v11
.LBB23_872:
	s_or_b64 exec, exec, s[6:7]
	s_nop 0
	v_mfma_f32_16x16x4f32 a[0:3], v10, v11, a[0:3]
	v_lshrrev_b32_e32 v11, 8, v17
	s_movk_i32 s4, 0x7f
	v_cmp_gt_i16_sdwa s[6:7], v11, s4 src0_sel:BYTE_0 src1_sel:DWORD
	s_mov_b64 s[4:5], 0
                                        ; implicit-def: $sgpr10
	s_and_saveexec_b64 s[8:9], s[6:7]
	s_xor_b64 s[6:7], exec, s[8:9]
	s_cbranch_execnz .LBB23_2921
; %bb.873:
	s_or_saveexec_b64 s[6:7], s[6:7]
	v_mov_b32_e32 v10, s10
	s_xor_b64 exec, exec, s[6:7]
	s_cbranch_execnz .LBB23_2924
.LBB23_874:
	s_or_b64 exec, exec, s[6:7]
	s_and_saveexec_b64 s[6:7], s[4:5]
	s_cbranch_execz .LBB23_876
.LBB23_875:
	v_bfe_u32 v10, v17, 8, 3
	v_ffbh_u32_e32 v14, v10
	v_min_u32_e32 v14, 32, v14
	v_lshrrev_b16_e32 v12, 3, v11
	v_subrev_u32_e32 v15, 28, v14
	v_and_b32_e32 v12, 15, v12
	v_lshlrev_b32_e32 v11, v15, v11
	v_sub_u32_e32 v14, 29, v14
	v_and_b32_e32 v11, 7, v11
	v_cmp_eq_u16_e32 vcc, 0, v12
	v_cndmask_b32_e32 v10, v10, v11, vcc
	v_cndmask_b32_e32 v11, v12, v14, vcc
	v_lshlrev_b32_e32 v12, 16, v17
	v_mov_b32_e32 v14, 0x3b800000
	v_lshlrev_b32_e32 v10, 20, v10
	v_and_b32_e32 v12, 0x80000000, v12
	v_lshl_add_u32 v11, v11, 23, v14
	v_or3_b32 v10, v12, v11, v10
.LBB23_876:
	s_or_b64 exec, exec, s[6:7]
	v_lshrrev_b32_e32 v11, 8, v13
	s_movk_i32 s4, 0x7f
	v_cmp_gt_i16_sdwa s[6:7], v11, s4 src0_sel:BYTE_0 src1_sel:DWORD
	s_mov_b64 s[4:5], 0
                                        ; implicit-def: $sgpr10
	s_and_saveexec_b64 s[8:9], s[6:7]
	s_xor_b64 s[6:7], exec, s[8:9]
	s_cbranch_execnz .LBB23_2925
; %bb.877:
	s_or_saveexec_b64 s[6:7], s[6:7]
	v_mov_b32_e32 v12, s10
	s_xor_b64 exec, exec, s[6:7]
	s_cbranch_execnz .LBB23_2928
.LBB23_878:
	s_or_b64 exec, exec, s[6:7]
	s_and_saveexec_b64 s[6:7], s[4:5]
	s_cbranch_execz .LBB23_880
.LBB23_879:
	v_bfe_u32 v12, v13, 8, 3
	v_ffbh_u32_e32 v15, v12
	v_min_u32_e32 v15, 32, v15
	v_lshrrev_b16_e32 v14, 3, v11
	v_subrev_u32_e32 v16, 28, v15
	v_and_b32_e32 v14, 15, v14
	v_lshlrev_b32_e32 v11, v16, v11
	v_sub_u32_e32 v15, 29, v15
	v_and_b32_e32 v11, 7, v11
	v_cmp_eq_u16_e32 vcc, 0, v14
	v_cndmask_b32_e32 v11, v12, v11, vcc
	v_cndmask_b32_e32 v12, v14, v15, vcc
	v_lshlrev_b32_e32 v14, 16, v13
	v_mov_b32_e32 v15, 0x3b800000
	v_lshlrev_b32_e32 v11, 20, v11
	v_and_b32_e32 v14, 0x80000000, v14
	v_lshl_add_u32 v12, v12, 23, v15
	v_or3_b32 v12, v14, v12, v11
.LBB23_880:
	s_or_b64 exec, exec, s[6:7]
	s_nop 0
	v_mfma_f32_16x16x4f32 a[0:3], v10, v12, a[0:3]
	s_movk_i32 s4, 0xff
	v_and_b32_sdwa v11, v17, s4 dst_sel:DWORD dst_unused:UNUSED_PAD src0_sel:WORD_1 src1_sel:DWORD
	s_movk_i32 s4, 0x7f
	v_cmp_lt_i16_e32 vcc, s4, v11
	s_mov_b64 s[4:5], 0
                                        ; implicit-def: $sgpr10
	s_and_saveexec_b64 s[6:7], vcc
	s_xor_b64 s[6:7], exec, s[6:7]
	s_cbranch_execnz .LBB23_2929
; %bb.881:
	s_or_saveexec_b64 s[6:7], s[6:7]
	v_mov_b32_e32 v10, s10
	s_xor_b64 exec, exec, s[6:7]
	s_cbranch_execnz .LBB23_2932
.LBB23_882:
	s_or_b64 exec, exec, s[6:7]
	s_and_saveexec_b64 s[6:7], s[4:5]
	s_cbranch_execz .LBB23_884
.LBB23_883:
	v_bfe_u32 v10, v17, 16, 3
	v_ffbh_u32_e32 v14, v10
	v_min_u32_e32 v14, 32, v14
	v_lshrrev_b32_e32 v11, 19, v17
	v_subrev_u32_e32 v15, 28, v14
	v_and_b32_e32 v11, 15, v11
	v_lshlrev_b32_sdwa v15, v15, v17 dst_sel:DWORD dst_unused:UNUSED_PAD src0_sel:DWORD src1_sel:WORD_1
	v_bfe_u32 v12, v17, 19, 4
	v_sub_u32_e32 v14, 29, v14
	v_and_b32_e32 v15, 7, v15
	v_cmp_eq_u16_e32 vcc, 0, v11
	v_cndmask_b32_e32 v10, v10, v15, vcc
	v_cndmask_b32_e32 v11, v12, v14, vcc
	v_lshlrev_b32_e32 v12, 8, v17
	v_mov_b32_e32 v14, 0x3b800000
	v_lshlrev_b32_e32 v10, 20, v10
	v_and_b32_e32 v12, 0x80000000, v12
	v_lshl_add_u32 v11, v11, 23, v14
	v_or3_b32 v10, v12, v11, v10
.LBB23_884:
	s_or_b64 exec, exec, s[6:7]
	s_movk_i32 s4, 0xff
	v_and_b32_sdwa v11, v13, s4 dst_sel:DWORD dst_unused:UNUSED_PAD src0_sel:WORD_1 src1_sel:DWORD
	s_movk_i32 s4, 0x7f
	v_cmp_lt_i16_e32 vcc, s4, v11
	s_mov_b64 s[4:5], 0
                                        ; implicit-def: $sgpr10
	s_and_saveexec_b64 s[6:7], vcc
	s_xor_b64 s[6:7], exec, s[6:7]
	s_cbranch_execnz .LBB23_2933
; %bb.885:
	s_or_saveexec_b64 s[6:7], s[6:7]
	v_mov_b32_e32 v12, s10
	s_xor_b64 exec, exec, s[6:7]
	s_cbranch_execnz .LBB23_2936
.LBB23_886:
	s_or_b64 exec, exec, s[6:7]
	s_and_saveexec_b64 s[6:7], s[4:5]
	s_cbranch_execz .LBB23_888
.LBB23_887:
	v_bfe_u32 v11, v13, 16, 3
	v_ffbh_u32_e32 v15, v11
	v_min_u32_e32 v15, 32, v15
	v_lshrrev_b32_e32 v12, 19, v13
	v_subrev_u32_e32 v16, 28, v15
	v_and_b32_e32 v12, 15, v12
	v_lshlrev_b32_sdwa v16, v16, v13 dst_sel:DWORD dst_unused:UNUSED_PAD src0_sel:DWORD src1_sel:WORD_1
	v_bfe_u32 v14, v13, 19, 4
	v_sub_u32_e32 v15, 29, v15
	v_and_b32_e32 v16, 7, v16
	v_cmp_eq_u16_e32 vcc, 0, v12
	v_cndmask_b32_e32 v11, v11, v16, vcc
	v_cndmask_b32_e32 v12, v14, v15, vcc
	v_lshlrev_b32_e32 v14, 8, v13
	v_mov_b32_e32 v15, 0x3b800000
	v_lshlrev_b32_e32 v11, 20, v11
	v_and_b32_e32 v14, 0x80000000, v14
	v_lshl_add_u32 v12, v12, 23, v15
	v_or3_b32 v12, v14, v12, v11
.LBB23_888:
	s_or_b64 exec, exec, s[6:7]
	s_nop 0
	v_mfma_f32_16x16x4f32 a[0:3], v10, v12, a[0:3]
	s_movk_i32 s4, 0x7f
	v_cmp_gt_i16_sdwa s[6:7], v17, s4 src0_sel:BYTE_3 src1_sel:DWORD
	s_mov_b64 s[4:5], 0
                                        ; implicit-def: $sgpr10
	s_and_saveexec_b64 s[8:9], s[6:7]
	s_xor_b64 s[6:7], exec, s[8:9]
	s_cbranch_execnz .LBB23_2937
; %bb.889:
	s_or_saveexec_b64 s[6:7], s[6:7]
	v_mov_b32_e32 v10, s10
	s_xor_b64 exec, exec, s[6:7]
	s_cbranch_execnz .LBB23_2940
.LBB23_890:
	s_or_b64 exec, exec, s[6:7]
	s_and_saveexec_b64 s[6:7], s[4:5]
	s_cbranch_execz .LBB23_892
.LBB23_891:
	v_bfe_u32 v10, v17, 24, 3
	v_ffbh_u32_e32 v15, v10
	v_min_u32_e32 v15, 32, v15
	v_lshrrev_b32_e32 v12, 27, v17
	v_subrev_u32_e32 v16, 28, v15
	v_and_b32_e32 v12, 15, v12
	v_lshlrev_b32_sdwa v16, v16, v17 dst_sel:DWORD dst_unused:UNUSED_PAD src0_sel:DWORD src1_sel:BYTE_3
	v_bfe_u32 v14, v17, 27, 4
	v_sub_u32_e32 v15, 29, v15
	v_and_b32_e32 v16, 7, v16
	v_cmp_eq_u16_e32 vcc, 0, v12
	v_cndmask_b32_e32 v10, v10, v16, vcc
	v_cndmask_b32_e32 v12, v14, v15, vcc
	v_mov_b32_e32 v14, 0x3b800000
	v_and_b32_e32 v11, 0x80000000, v17
	v_lshlrev_b32_e32 v10, 20, v10
	v_lshl_add_u32 v12, v12, 23, v14
	v_or3_b32 v10, v11, v12, v10
.LBB23_892:
	s_or_b64 exec, exec, s[6:7]
	s_movk_i32 s4, 0x7f
	v_cmp_gt_i16_sdwa s[6:7], v13, s4 src0_sel:BYTE_3 src1_sel:DWORD
	s_mov_b64 s[4:5], 0
                                        ; implicit-def: $sgpr10
	s_and_saveexec_b64 s[8:9], s[6:7]
	s_xor_b64 s[6:7], exec, s[8:9]
	s_cbranch_execnz .LBB23_2941
; %bb.893:
	s_or_saveexec_b64 s[6:7], s[6:7]
	v_mov_b32_e32 v11, s10
	s_xor_b64 exec, exec, s[6:7]
	s_cbranch_execnz .LBB23_2944
.LBB23_894:
	s_or_b64 exec, exec, s[6:7]
	s_and_saveexec_b64 s[6:7], s[4:5]
	s_cbranch_execz .LBB23_896
.LBB23_895:
	v_bfe_u32 v11, v13, 24, 3
	v_ffbh_u32_e32 v16, v11
	v_min_u32_e32 v16, 32, v16
	v_lshrrev_b32_e32 v14, 27, v13
	v_subrev_u32_e32 v17, 28, v16
	v_and_b32_e32 v12, 0x80000000, v13
	v_and_b32_e32 v14, 15, v14
	v_bfe_u32 v15, v13, 27, 4
	v_lshlrev_b32_sdwa v13, v17, v13 dst_sel:DWORD dst_unused:UNUSED_PAD src0_sel:DWORD src1_sel:BYTE_3
	v_sub_u32_e32 v16, 29, v16
	v_and_b32_e32 v13, 7, v13
	v_cmp_eq_u16_e32 vcc, 0, v14
	v_cndmask_b32_e32 v11, v11, v13, vcc
	v_cndmask_b32_e32 v13, v15, v16, vcc
	v_mov_b32_e32 v14, 0x3b800000
	v_lshlrev_b32_e32 v11, 20, v11
	v_lshl_add_u32 v13, v13, 23, v14
	v_or3_b32 v11, v12, v13, v11
.LBB23_896:
	s_or_b64 exec, exec, s[6:7]
	s_nop 0
	v_mfma_f32_16x16x4f32 a[0:3], v10, v11, a[0:3]
	s_movk_i32 s4, 0x7f
	v_cmp_gt_i16_sdwa s[6:7], v6, s4 src0_sel:BYTE_0 src1_sel:DWORD
	s_mov_b64 s[4:5], 0
                                        ; implicit-def: $sgpr10
	s_and_saveexec_b64 s[8:9], s[6:7]
	s_xor_b64 s[6:7], exec, s[8:9]
	s_cbranch_execnz .LBB23_2945
; %bb.897:
	s_or_saveexec_b64 s[6:7], s[6:7]
	v_mov_b32_e32 v10, s10
	s_xor_b64 exec, exec, s[6:7]
	s_cbranch_execnz .LBB23_2948
.LBB23_898:
	s_or_b64 exec, exec, s[6:7]
	s_and_saveexec_b64 s[6:7], s[4:5]
	s_cbranch_execz .LBB23_900
.LBB23_899:
	v_and_b32_e32 v10, 7, v6
	v_ffbh_u32_e32 v12, v10
	v_min_u32_e32 v12, 32, v12
	v_lshrrev_b16_e32 v11, 3, v6
	v_subrev_u32_e32 v13, 28, v12
	v_and_b32_e32 v11, 15, v11
	v_lshlrev_b32_e32 v13, v13, v6
	v_sub_u32_e32 v12, 29, v12
	v_and_b32_e32 v13, 7, v13
	v_cmp_eq_u16_e32 vcc, 0, v11
	v_cndmask_b32_e32 v10, v10, v13, vcc
	v_cndmask_b32_e32 v11, v11, v12, vcc
	v_lshlrev_b32_e32 v12, 24, v6
	v_mov_b32_e32 v13, 0x3b800000
	v_lshlrev_b32_e32 v10, 20, v10
	v_and_b32_e32 v12, 0x80000000, v12
	v_lshl_add_u32 v11, v11, 23, v13
	v_or3_b32 v10, v12, v11, v10
.LBB23_900:
	s_or_b64 exec, exec, s[6:7]
	s_movk_i32 s4, 0x7f
	v_cmp_gt_i16_sdwa s[6:7], v2, s4 src0_sel:BYTE_0 src1_sel:DWORD
	s_mov_b64 s[4:5], 0
                                        ; implicit-def: $sgpr10
	s_and_saveexec_b64 s[8:9], s[6:7]
	s_xor_b64 s[6:7], exec, s[8:9]
	s_cbranch_execnz .LBB23_2949
; %bb.901:
	s_or_saveexec_b64 s[6:7], s[6:7]
	v_mov_b32_e32 v11, s10
	s_xor_b64 exec, exec, s[6:7]
	s_cbranch_execnz .LBB23_2952
.LBB23_902:
	s_or_b64 exec, exec, s[6:7]
	s_and_saveexec_b64 s[6:7], s[4:5]
	s_cbranch_execz .LBB23_904
.LBB23_903:
	v_and_b32_e32 v11, 7, v2
	v_ffbh_u32_e32 v13, v11
	v_min_u32_e32 v13, 32, v13
	v_lshrrev_b16_e32 v12, 3, v2
	v_subrev_u32_e32 v14, 28, v13
	v_and_b32_e32 v12, 15, v12
	v_lshlrev_b32_e32 v14, v14, v2
	v_sub_u32_e32 v13, 29, v13
	v_and_b32_e32 v14, 7, v14
	v_cmp_eq_u16_e32 vcc, 0, v12
	v_cndmask_b32_e32 v11, v11, v14, vcc
	v_cndmask_b32_e32 v12, v12, v13, vcc
	v_lshlrev_b32_e32 v13, 24, v2
	v_mov_b32_e32 v14, 0x3b800000
	v_lshlrev_b32_e32 v11, 20, v11
	v_and_b32_e32 v13, 0x80000000, v13
	v_lshl_add_u32 v12, v12, 23, v14
	v_or3_b32 v11, v13, v12, v11
.LBB23_904:
	s_or_b64 exec, exec, s[6:7]
	s_nop 0
	v_mfma_f32_16x16x4f32 a[0:3], v10, v11, a[0:3]
	v_lshrrev_b32_e32 v11, 8, v6
	s_movk_i32 s4, 0x7f
	v_cmp_gt_i16_sdwa s[6:7], v11, s4 src0_sel:BYTE_0 src1_sel:DWORD
	s_mov_b64 s[4:5], 0
                                        ; implicit-def: $sgpr10
	s_and_saveexec_b64 s[8:9], s[6:7]
	s_xor_b64 s[6:7], exec, s[8:9]
	s_cbranch_execnz .LBB23_2953
; %bb.905:
	s_or_saveexec_b64 s[6:7], s[6:7]
	v_mov_b32_e32 v10, s10
	s_xor_b64 exec, exec, s[6:7]
	s_cbranch_execnz .LBB23_2956
.LBB23_906:
	s_or_b64 exec, exec, s[6:7]
	s_and_saveexec_b64 s[6:7], s[4:5]
	s_cbranch_execz .LBB23_908
.LBB23_907:
	v_bfe_u32 v10, v6, 8, 3
	v_ffbh_u32_e32 v13, v10
	v_min_u32_e32 v13, 32, v13
	v_lshrrev_b16_e32 v12, 3, v11
	v_subrev_u32_e32 v14, 28, v13
	v_and_b32_e32 v12, 15, v12
	v_lshlrev_b32_e32 v11, v14, v11
	v_sub_u32_e32 v13, 29, v13
	v_and_b32_e32 v11, 7, v11
	v_cmp_eq_u16_e32 vcc, 0, v12
	v_cndmask_b32_e32 v10, v10, v11, vcc
	v_cndmask_b32_e32 v11, v12, v13, vcc
	v_lshlrev_b32_e32 v12, 16, v6
	v_mov_b32_e32 v13, 0x3b800000
	v_lshlrev_b32_e32 v10, 20, v10
	v_and_b32_e32 v12, 0x80000000, v12
	v_lshl_add_u32 v11, v11, 23, v13
	v_or3_b32 v10, v12, v11, v10
.LBB23_908:
	s_or_b64 exec, exec, s[6:7]
	v_lshrrev_b32_e32 v11, 8, v2
	s_movk_i32 s4, 0x7f
	v_cmp_gt_i16_sdwa s[6:7], v11, s4 src0_sel:BYTE_0 src1_sel:DWORD
	s_mov_b64 s[4:5], 0
                                        ; implicit-def: $sgpr10
	s_and_saveexec_b64 s[8:9], s[6:7]
	s_xor_b64 s[6:7], exec, s[8:9]
	s_cbranch_execnz .LBB23_2957
; %bb.909:
	s_or_saveexec_b64 s[6:7], s[6:7]
	v_mov_b32_e32 v12, s10
	s_xor_b64 exec, exec, s[6:7]
	s_cbranch_execnz .LBB23_2960
.LBB23_910:
	s_or_b64 exec, exec, s[6:7]
	s_and_saveexec_b64 s[6:7], s[4:5]
	s_cbranch_execz .LBB23_912
.LBB23_911:
	v_bfe_u32 v12, v2, 8, 3
	v_ffbh_u32_e32 v14, v12
	v_min_u32_e32 v14, 32, v14
	v_lshrrev_b16_e32 v13, 3, v11
	v_subrev_u32_e32 v15, 28, v14
	v_and_b32_e32 v13, 15, v13
	v_lshlrev_b32_e32 v11, v15, v11
	v_sub_u32_e32 v14, 29, v14
	v_and_b32_e32 v11, 7, v11
	v_cmp_eq_u16_e32 vcc, 0, v13
	v_cndmask_b32_e32 v11, v12, v11, vcc
	v_cndmask_b32_e32 v12, v13, v14, vcc
	v_lshlrev_b32_e32 v13, 16, v2
	v_mov_b32_e32 v14, 0x3b800000
	v_lshlrev_b32_e32 v11, 20, v11
	v_and_b32_e32 v13, 0x80000000, v13
	v_lshl_add_u32 v12, v12, 23, v14
	v_or3_b32 v12, v13, v12, v11
.LBB23_912:
	s_or_b64 exec, exec, s[6:7]
	s_nop 0
	v_mfma_f32_16x16x4f32 a[0:3], v10, v12, a[0:3]
	s_movk_i32 s4, 0xff
	v_and_b32_sdwa v11, v6, s4 dst_sel:DWORD dst_unused:UNUSED_PAD src0_sel:WORD_1 src1_sel:DWORD
	s_movk_i32 s4, 0x7f
	v_cmp_lt_i16_e32 vcc, s4, v11
	s_mov_b64 s[4:5], 0
                                        ; implicit-def: $sgpr10
	s_and_saveexec_b64 s[6:7], vcc
	s_xor_b64 s[6:7], exec, s[6:7]
	s_cbranch_execnz .LBB23_2961
; %bb.913:
	s_or_saveexec_b64 s[6:7], s[6:7]
	v_mov_b32_e32 v10, s10
	s_xor_b64 exec, exec, s[6:7]
	s_cbranch_execnz .LBB23_2964
.LBB23_914:
	s_or_b64 exec, exec, s[6:7]
	s_and_saveexec_b64 s[6:7], s[4:5]
	s_cbranch_execz .LBB23_916
.LBB23_915:
	v_bfe_u32 v10, v6, 16, 3
	v_ffbh_u32_e32 v13, v10
	v_min_u32_e32 v13, 32, v13
	v_lshrrev_b32_e32 v11, 19, v6
	v_subrev_u32_e32 v14, 28, v13
	v_and_b32_e32 v11, 15, v11
	v_lshlrev_b32_sdwa v14, v14, v6 dst_sel:DWORD dst_unused:UNUSED_PAD src0_sel:DWORD src1_sel:WORD_1
	v_bfe_u32 v12, v6, 19, 4
	v_sub_u32_e32 v13, 29, v13
	v_and_b32_e32 v14, 7, v14
	v_cmp_eq_u16_e32 vcc, 0, v11
	v_cndmask_b32_e32 v10, v10, v14, vcc
	v_cndmask_b32_e32 v11, v12, v13, vcc
	v_lshlrev_b32_e32 v12, 8, v6
	v_mov_b32_e32 v13, 0x3b800000
	v_lshlrev_b32_e32 v10, 20, v10
	v_and_b32_e32 v12, 0x80000000, v12
	v_lshl_add_u32 v11, v11, 23, v13
	v_or3_b32 v10, v12, v11, v10
.LBB23_916:
	s_or_b64 exec, exec, s[6:7]
	s_movk_i32 s4, 0xff
	v_and_b32_sdwa v11, v2, s4 dst_sel:DWORD dst_unused:UNUSED_PAD src0_sel:WORD_1 src1_sel:DWORD
	s_movk_i32 s4, 0x7f
	v_cmp_lt_i16_e32 vcc, s4, v11
	s_mov_b64 s[4:5], 0
                                        ; implicit-def: $sgpr10
	s_and_saveexec_b64 s[6:7], vcc
	s_xor_b64 s[6:7], exec, s[6:7]
	s_cbranch_execnz .LBB23_2965
; %bb.917:
	s_or_saveexec_b64 s[6:7], s[6:7]
	v_mov_b32_e32 v12, s10
	s_xor_b64 exec, exec, s[6:7]
	s_cbranch_execnz .LBB23_2968
.LBB23_918:
	s_or_b64 exec, exec, s[6:7]
	s_and_saveexec_b64 s[6:7], s[4:5]
	s_cbranch_execz .LBB23_920
.LBB23_919:
	v_bfe_u32 v11, v2, 16, 3
	v_ffbh_u32_e32 v14, v11
	v_min_u32_e32 v14, 32, v14
	v_lshrrev_b32_e32 v12, 19, v2
	v_subrev_u32_e32 v15, 28, v14
	v_and_b32_e32 v12, 15, v12
	v_lshlrev_b32_sdwa v15, v15, v2 dst_sel:DWORD dst_unused:UNUSED_PAD src0_sel:DWORD src1_sel:WORD_1
	v_bfe_u32 v13, v2, 19, 4
	v_sub_u32_e32 v14, 29, v14
	v_and_b32_e32 v15, 7, v15
	v_cmp_eq_u16_e32 vcc, 0, v12
	v_cndmask_b32_e32 v11, v11, v15, vcc
	v_cndmask_b32_e32 v12, v13, v14, vcc
	v_lshlrev_b32_e32 v13, 8, v2
	v_mov_b32_e32 v14, 0x3b800000
	v_lshlrev_b32_e32 v11, 20, v11
	v_and_b32_e32 v13, 0x80000000, v13
	v_lshl_add_u32 v12, v12, 23, v14
	v_or3_b32 v12, v13, v12, v11
.LBB23_920:
	s_or_b64 exec, exec, s[6:7]
	s_nop 0
	v_mfma_f32_16x16x4f32 a[0:3], v10, v12, a[0:3]
	s_movk_i32 s4, 0x7f
	v_cmp_gt_i16_sdwa s[6:7], v6, s4 src0_sel:BYTE_3 src1_sel:DWORD
	s_mov_b64 s[4:5], 0
                                        ; implicit-def: $sgpr10
	s_and_saveexec_b64 s[8:9], s[6:7]
	s_xor_b64 s[6:7], exec, s[8:9]
	s_cbranch_execnz .LBB23_2969
; %bb.921:
	s_or_saveexec_b64 s[6:7], s[6:7]
	v_mov_b32_e32 v10, s10
	s_xor_b64 exec, exec, s[6:7]
	s_cbranch_execnz .LBB23_2972
.LBB23_922:
	s_or_b64 exec, exec, s[6:7]
	s_and_saveexec_b64 s[6:7], s[4:5]
	s_cbranch_execz .LBB23_924
.LBB23_923:
	v_bfe_u32 v10, v6, 24, 3
	v_ffbh_u32_e32 v14, v10
	v_min_u32_e32 v14, 32, v14
	v_lshrrev_b32_e32 v12, 27, v6
	v_subrev_u32_e32 v15, 28, v14
	v_and_b32_e32 v11, 0x80000000, v6
	v_and_b32_e32 v12, 15, v12
	v_bfe_u32 v13, v6, 27, 4
	v_lshlrev_b32_sdwa v6, v15, v6 dst_sel:DWORD dst_unused:UNUSED_PAD src0_sel:DWORD src1_sel:BYTE_3
	v_sub_u32_e32 v14, 29, v14
	v_and_b32_e32 v6, 7, v6
	v_cmp_eq_u16_e32 vcc, 0, v12
	v_cndmask_b32_e32 v6, v10, v6, vcc
	v_cndmask_b32_e32 v10, v13, v14, vcc
	v_mov_b32_e32 v12, 0x3b800000
	v_lshlrev_b32_e32 v6, 20, v6
	v_lshl_add_u32 v10, v10, 23, v12
	v_or3_b32 v10, v11, v10, v6
.LBB23_924:
	s_or_b64 exec, exec, s[6:7]
	s_movk_i32 s4, 0x7f
	v_cmp_gt_i16_sdwa s[6:7], v2, s4 src0_sel:BYTE_3 src1_sel:DWORD
	s_mov_b64 s[4:5], 0
                                        ; implicit-def: $sgpr10
	s_and_saveexec_b64 s[8:9], s[6:7]
	s_xor_b64 s[6:7], exec, s[8:9]
	s_cbranch_execnz .LBB23_2973
; %bb.925:
	s_or_saveexec_b64 s[6:7], s[6:7]
	v_mov_b32_e32 v6, s10
	s_xor_b64 exec, exec, s[6:7]
	s_cbranch_execnz .LBB23_2976
.LBB23_926:
	s_or_b64 exec, exec, s[6:7]
	s_and_saveexec_b64 s[6:7], s[4:5]
	s_cbranch_execz .LBB23_928
.LBB23_927:
	v_bfe_u32 v6, v2, 24, 3
	v_ffbh_u32_e32 v14, v6
	v_min_u32_e32 v14, 32, v14
	v_lshrrev_b32_e32 v12, 27, v2
	v_subrev_u32_e32 v15, 28, v14
	v_and_b32_e32 v11, 0x80000000, v2
	v_and_b32_e32 v12, 15, v12
	v_bfe_u32 v13, v2, 27, 4
	v_lshlrev_b32_sdwa v2, v15, v2 dst_sel:DWORD dst_unused:UNUSED_PAD src0_sel:DWORD src1_sel:BYTE_3
	v_sub_u32_e32 v14, 29, v14
	v_and_b32_e32 v2, 7, v2
	v_cmp_eq_u16_e32 vcc, 0, v12
	v_cndmask_b32_e32 v2, v6, v2, vcc
	v_cndmask_b32_e32 v6, v13, v14, vcc
	v_mov_b32_e32 v12, 0x3b800000
	v_lshlrev_b32_e32 v2, 20, v2
	v_lshl_add_u32 v6, v6, 23, v12
	v_or3_b32 v6, v11, v6, v2
.LBB23_928:
	s_or_b64 exec, exec, s[6:7]
	s_nop 0
	v_mfma_f32_16x16x4f32 a[0:3], v10, v6, a[0:3]
	s_movk_i32 s4, 0x7f
	v_cmp_gt_i16_sdwa s[6:7], v7, s4 src0_sel:BYTE_0 src1_sel:DWORD
	s_mov_b64 s[4:5], 0
                                        ; implicit-def: $sgpr10
	s_and_saveexec_b64 s[8:9], s[6:7]
	s_xor_b64 s[6:7], exec, s[8:9]
	s_cbranch_execnz .LBB23_2977
; %bb.929:
	s_or_saveexec_b64 s[6:7], s[6:7]
	v_mov_b32_e32 v2, s10
	s_xor_b64 exec, exec, s[6:7]
	s_cbranch_execnz .LBB23_2980
.LBB23_930:
	s_or_b64 exec, exec, s[6:7]
	s_and_saveexec_b64 s[6:7], s[4:5]
	s_cbranch_execz .LBB23_932
.LBB23_931:
	v_and_b32_e32 v2, 7, v7
	v_ffbh_u32_e32 v10, v2
	v_min_u32_e32 v10, 32, v10
	v_lshrrev_b16_e32 v6, 3, v7
	v_subrev_u32_e32 v11, 28, v10
	v_and_b32_e32 v6, 15, v6
	v_lshlrev_b32_e32 v11, v11, v7
	v_sub_u32_e32 v10, 29, v10
	v_and_b32_e32 v11, 7, v11
	v_cmp_eq_u16_e32 vcc, 0, v6
	v_cndmask_b32_e32 v2, v2, v11, vcc
	v_cndmask_b32_e32 v6, v6, v10, vcc
	v_lshlrev_b32_e32 v10, 24, v7
	v_mov_b32_e32 v11, 0x3b800000
	v_lshlrev_b32_e32 v2, 20, v2
	v_and_b32_e32 v10, 0x80000000, v10
	v_lshl_add_u32 v6, v6, 23, v11
	v_or3_b32 v2, v10, v6, v2
.LBB23_932:
	s_or_b64 exec, exec, s[6:7]
	s_movk_i32 s4, 0x7f
	v_cmp_gt_i16_sdwa s[6:7], v3, s4 src0_sel:BYTE_0 src1_sel:DWORD
	s_mov_b64 s[4:5], 0
                                        ; implicit-def: $sgpr10
	s_and_saveexec_b64 s[8:9], s[6:7]
	s_xor_b64 s[6:7], exec, s[8:9]
	s_cbranch_execnz .LBB23_2981
; %bb.933:
	s_or_saveexec_b64 s[6:7], s[6:7]
	v_mov_b32_e32 v6, s10
	s_xor_b64 exec, exec, s[6:7]
	s_cbranch_execnz .LBB23_2984
.LBB23_934:
	s_or_b64 exec, exec, s[6:7]
	s_and_saveexec_b64 s[6:7], s[4:5]
	s_cbranch_execz .LBB23_936
.LBB23_935:
	v_and_b32_e32 v6, 7, v3
	v_ffbh_u32_e32 v11, v6
	v_min_u32_e32 v11, 32, v11
	v_lshrrev_b16_e32 v10, 3, v3
	v_subrev_u32_e32 v12, 28, v11
	v_and_b32_e32 v10, 15, v10
	v_lshlrev_b32_e32 v12, v12, v3
	v_sub_u32_e32 v11, 29, v11
	v_and_b32_e32 v12, 7, v12
	v_cmp_eq_u16_e32 vcc, 0, v10
	v_cndmask_b32_e32 v6, v6, v12, vcc
	v_cndmask_b32_e32 v10, v10, v11, vcc
	v_lshlrev_b32_e32 v11, 24, v3
	v_mov_b32_e32 v12, 0x3b800000
	v_lshlrev_b32_e32 v6, 20, v6
	v_and_b32_e32 v11, 0x80000000, v11
	v_lshl_add_u32 v10, v10, 23, v12
	v_or3_b32 v6, v11, v10, v6
.LBB23_936:
	s_or_b64 exec, exec, s[6:7]
	s_nop 0
	v_mfma_f32_16x16x4f32 a[0:3], v2, v6, a[0:3]
	v_lshrrev_b32_e32 v6, 8, v7
	s_movk_i32 s4, 0x7f
	v_cmp_gt_i16_sdwa s[6:7], v6, s4 src0_sel:BYTE_0 src1_sel:DWORD
	s_mov_b64 s[4:5], 0
                                        ; implicit-def: $sgpr10
	s_and_saveexec_b64 s[8:9], s[6:7]
	s_xor_b64 s[6:7], exec, s[8:9]
	s_cbranch_execnz .LBB23_2985
; %bb.937:
	s_or_saveexec_b64 s[6:7], s[6:7]
	v_mov_b32_e32 v2, s10
	s_xor_b64 exec, exec, s[6:7]
	s_cbranch_execnz .LBB23_2988
.LBB23_938:
	s_or_b64 exec, exec, s[6:7]
	s_and_saveexec_b64 s[6:7], s[4:5]
	s_cbranch_execz .LBB23_940
.LBB23_939:
	v_bfe_u32 v2, v7, 8, 3
	v_ffbh_u32_e32 v11, v2
	v_min_u32_e32 v11, 32, v11
	v_lshrrev_b16_e32 v10, 3, v6
	v_subrev_u32_e32 v12, 28, v11
	v_and_b32_e32 v10, 15, v10
	v_lshlrev_b32_e32 v6, v12, v6
	v_sub_u32_e32 v11, 29, v11
	v_and_b32_e32 v6, 7, v6
	v_cmp_eq_u16_e32 vcc, 0, v10
	v_cndmask_b32_e32 v2, v2, v6, vcc
	v_cndmask_b32_e32 v6, v10, v11, vcc
	v_lshlrev_b32_e32 v10, 16, v7
	v_mov_b32_e32 v11, 0x3b800000
	v_lshlrev_b32_e32 v2, 20, v2
	v_and_b32_e32 v10, 0x80000000, v10
	v_lshl_add_u32 v6, v6, 23, v11
	v_or3_b32 v2, v10, v6, v2
.LBB23_940:
	s_or_b64 exec, exec, s[6:7]
	v_lshrrev_b32_e32 v6, 8, v3
	s_movk_i32 s4, 0x7f
	v_cmp_gt_i16_sdwa s[6:7], v6, s4 src0_sel:BYTE_0 src1_sel:DWORD
	s_mov_b64 s[4:5], 0
                                        ; implicit-def: $sgpr10
	s_and_saveexec_b64 s[8:9], s[6:7]
	s_xor_b64 s[6:7], exec, s[8:9]
	s_cbranch_execnz .LBB23_2989
; %bb.941:
	s_or_saveexec_b64 s[6:7], s[6:7]
	v_mov_b32_e32 v10, s10
	s_xor_b64 exec, exec, s[6:7]
	s_cbranch_execnz .LBB23_2992
.LBB23_942:
	s_or_b64 exec, exec, s[6:7]
	s_and_saveexec_b64 s[6:7], s[4:5]
	s_cbranch_execz .LBB23_944
.LBB23_943:
	v_bfe_u32 v10, v3, 8, 3
	v_ffbh_u32_e32 v12, v10
	v_min_u32_e32 v12, 32, v12
	v_lshrrev_b16_e32 v11, 3, v6
	v_subrev_u32_e32 v13, 28, v12
	v_and_b32_e32 v11, 15, v11
	v_lshlrev_b32_e32 v6, v13, v6
	v_sub_u32_e32 v12, 29, v12
	v_and_b32_e32 v6, 7, v6
	v_cmp_eq_u16_e32 vcc, 0, v11
	v_cndmask_b32_e32 v6, v10, v6, vcc
	v_cndmask_b32_e32 v10, v11, v12, vcc
	v_lshlrev_b32_e32 v11, 16, v3
	v_mov_b32_e32 v12, 0x3b800000
	v_lshlrev_b32_e32 v6, 20, v6
	v_and_b32_e32 v11, 0x80000000, v11
	v_lshl_add_u32 v10, v10, 23, v12
	v_or3_b32 v10, v11, v10, v6
.LBB23_944:
	s_or_b64 exec, exec, s[6:7]
	s_nop 0
	v_mfma_f32_16x16x4f32 a[0:3], v2, v10, a[0:3]
	s_movk_i32 s4, 0xff
	v_and_b32_sdwa v6, v7, s4 dst_sel:DWORD dst_unused:UNUSED_PAD src0_sel:WORD_1 src1_sel:DWORD
	s_movk_i32 s4, 0x7f
	v_cmp_lt_i16_e32 vcc, s4, v6
	s_mov_b64 s[4:5], 0
                                        ; implicit-def: $sgpr10
	s_and_saveexec_b64 s[6:7], vcc
	s_xor_b64 s[6:7], exec, s[6:7]
	s_cbranch_execnz .LBB23_2993
; %bb.945:
	s_or_saveexec_b64 s[6:7], s[6:7]
	v_mov_b32_e32 v2, s10
	s_xor_b64 exec, exec, s[6:7]
	s_cbranch_execnz .LBB23_2996
.LBB23_946:
	s_or_b64 exec, exec, s[6:7]
	s_and_saveexec_b64 s[6:7], s[4:5]
	s_cbranch_execz .LBB23_948
.LBB23_947:
	v_bfe_u32 v2, v7, 16, 3
	v_ffbh_u32_e32 v11, v2
	v_min_u32_e32 v11, 32, v11
	v_lshrrev_b32_e32 v6, 19, v7
	v_subrev_u32_e32 v12, 28, v11
	v_and_b32_e32 v6, 15, v6
	v_lshlrev_b32_sdwa v12, v12, v7 dst_sel:DWORD dst_unused:UNUSED_PAD src0_sel:DWORD src1_sel:WORD_1
	v_bfe_u32 v10, v7, 19, 4
	v_sub_u32_e32 v11, 29, v11
	v_and_b32_e32 v12, 7, v12
	v_cmp_eq_u16_e32 vcc, 0, v6
	v_cndmask_b32_e32 v2, v2, v12, vcc
	v_cndmask_b32_e32 v6, v10, v11, vcc
	v_lshlrev_b32_e32 v10, 8, v7
	v_mov_b32_e32 v11, 0x3b800000
	v_lshlrev_b32_e32 v2, 20, v2
	v_and_b32_e32 v10, 0x80000000, v10
	v_lshl_add_u32 v6, v6, 23, v11
	v_or3_b32 v2, v10, v6, v2
.LBB23_948:
	s_or_b64 exec, exec, s[6:7]
	s_movk_i32 s4, 0xff
	v_and_b32_sdwa v6, v3, s4 dst_sel:DWORD dst_unused:UNUSED_PAD src0_sel:WORD_1 src1_sel:DWORD
	s_movk_i32 s4, 0x7f
	v_cmp_lt_i16_e32 vcc, s4, v6
	s_mov_b64 s[4:5], 0
                                        ; implicit-def: $sgpr10
	s_and_saveexec_b64 s[6:7], vcc
	s_xor_b64 s[6:7], exec, s[6:7]
	s_cbranch_execnz .LBB23_2997
; %bb.949:
	s_or_saveexec_b64 s[6:7], s[6:7]
	v_mov_b32_e32 v10, s10
	s_xor_b64 exec, exec, s[6:7]
	s_cbranch_execnz .LBB23_3000
.LBB23_950:
	s_or_b64 exec, exec, s[6:7]
	s_and_saveexec_b64 s[6:7], s[4:5]
	s_cbranch_execz .LBB23_952
.LBB23_951:
	v_bfe_u32 v6, v3, 16, 3
	v_ffbh_u32_e32 v12, v6
	v_min_u32_e32 v12, 32, v12
	v_lshrrev_b32_e32 v10, 19, v3
	v_subrev_u32_e32 v13, 28, v12
	v_and_b32_e32 v10, 15, v10
	v_lshlrev_b32_sdwa v13, v13, v3 dst_sel:DWORD dst_unused:UNUSED_PAD src0_sel:DWORD src1_sel:WORD_1
	v_bfe_u32 v11, v3, 19, 4
	v_sub_u32_e32 v12, 29, v12
	v_and_b32_e32 v13, 7, v13
	v_cmp_eq_u16_e32 vcc, 0, v10
	v_cndmask_b32_e32 v6, v6, v13, vcc
	v_cndmask_b32_e32 v10, v11, v12, vcc
	v_lshlrev_b32_e32 v11, 8, v3
	v_mov_b32_e32 v12, 0x3b800000
	v_lshlrev_b32_e32 v6, 20, v6
	v_and_b32_e32 v11, 0x80000000, v11
	v_lshl_add_u32 v10, v10, 23, v12
	v_or3_b32 v10, v11, v10, v6
.LBB23_952:
	s_or_b64 exec, exec, s[6:7]
	s_nop 0
	v_mfma_f32_16x16x4f32 a[0:3], v2, v10, a[0:3]
	s_movk_i32 s4, 0x7f
	v_cmp_gt_i16_sdwa s[6:7], v7, s4 src0_sel:BYTE_3 src1_sel:DWORD
	s_mov_b64 s[4:5], 0
                                        ; implicit-def: $sgpr10
	s_and_saveexec_b64 s[8:9], s[6:7]
	s_xor_b64 s[6:7], exec, s[8:9]
	s_cbranch_execnz .LBB23_3001
; %bb.953:
	s_or_saveexec_b64 s[6:7], s[6:7]
	v_mov_b32_e32 v2, s10
	s_xor_b64 exec, exec, s[6:7]
	s_cbranch_execnz .LBB23_3004
.LBB23_954:
	s_or_b64 exec, exec, s[6:7]
	s_and_saveexec_b64 s[6:7], s[4:5]
	s_cbranch_execz .LBB23_956
.LBB23_955:
	v_bfe_u32 v2, v7, 24, 3
	v_ffbh_u32_e32 v12, v2
	v_min_u32_e32 v12, 32, v12
	v_lshrrev_b32_e32 v10, 27, v7
	v_subrev_u32_e32 v13, 28, v12
	v_and_b32_e32 v6, 0x80000000, v7
	v_and_b32_e32 v10, 15, v10
	v_bfe_u32 v11, v7, 27, 4
	v_lshlrev_b32_sdwa v7, v13, v7 dst_sel:DWORD dst_unused:UNUSED_PAD src0_sel:DWORD src1_sel:BYTE_3
	v_sub_u32_e32 v12, 29, v12
	v_and_b32_e32 v7, 7, v7
	v_cmp_eq_u16_e32 vcc, 0, v10
	v_cndmask_b32_e32 v2, v2, v7, vcc
	v_cndmask_b32_e32 v7, v11, v12, vcc
	v_mov_b32_e32 v10, 0x3b800000
	v_lshlrev_b32_e32 v2, 20, v2
	v_lshl_add_u32 v7, v7, 23, v10
	v_or3_b32 v2, v6, v7, v2
.LBB23_956:
	s_or_b64 exec, exec, s[6:7]
	s_movk_i32 s4, 0x7f
	v_cmp_gt_i16_sdwa s[6:7], v3, s4 src0_sel:BYTE_3 src1_sel:DWORD
	s_mov_b64 s[4:5], 0
                                        ; implicit-def: $sgpr10
	s_and_saveexec_b64 s[8:9], s[6:7]
	s_xor_b64 s[6:7], exec, s[8:9]
	s_cbranch_execnz .LBB23_3005
; %bb.957:
	s_or_saveexec_b64 s[6:7], s[6:7]
	v_mov_b32_e32 v6, s10
	s_xor_b64 exec, exec, s[6:7]
	s_cbranch_execnz .LBB23_3008
.LBB23_958:
	s_or_b64 exec, exec, s[6:7]
	s_and_saveexec_b64 s[6:7], s[4:5]
	s_cbranch_execz .LBB23_960
.LBB23_959:
	v_bfe_u32 v6, v3, 24, 3
	v_ffbh_u32_e32 v12, v6
	v_min_u32_e32 v12, 32, v12
	v_lshrrev_b32_e32 v10, 27, v3
	v_subrev_u32_e32 v13, 28, v12
	v_and_b32_e32 v7, 0x80000000, v3
	v_and_b32_e32 v10, 15, v10
	v_bfe_u32 v11, v3, 27, 4
	v_lshlrev_b32_sdwa v3, v13, v3 dst_sel:DWORD dst_unused:UNUSED_PAD src0_sel:DWORD src1_sel:BYTE_3
	v_sub_u32_e32 v12, 29, v12
	v_and_b32_e32 v3, 7, v3
	v_cmp_eq_u16_e32 vcc, 0, v10
	v_cndmask_b32_e32 v3, v6, v3, vcc
	v_cndmask_b32_e32 v6, v11, v12, vcc
	v_mov_b32_e32 v10, 0x3b800000
	v_lshlrev_b32_e32 v3, 20, v3
	v_lshl_add_u32 v6, v6, 23, v10
	v_or3_b32 v6, v7, v6, v3
.LBB23_960:
	s_or_b64 exec, exec, s[6:7]
	s_nop 0
	v_mfma_f32_16x16x4f32 a[0:3], v2, v6, a[0:3]
	s_movk_i32 s4, 0x7f
	v_cmp_gt_i16_sdwa s[6:7], v8, s4 src0_sel:BYTE_0 src1_sel:DWORD
	s_mov_b64 s[4:5], 0
                                        ; implicit-def: $sgpr10
	s_and_saveexec_b64 s[8:9], s[6:7]
	s_xor_b64 s[6:7], exec, s[8:9]
	s_cbranch_execnz .LBB23_3009
; %bb.961:
	s_or_saveexec_b64 s[6:7], s[6:7]
	v_mov_b32_e32 v2, s10
	s_xor_b64 exec, exec, s[6:7]
	s_cbranch_execnz .LBB23_3012
.LBB23_962:
	s_or_b64 exec, exec, s[6:7]
	s_and_saveexec_b64 s[6:7], s[4:5]
	s_cbranch_execz .LBB23_964
.LBB23_963:
	v_and_b32_e32 v2, 7, v8
	v_ffbh_u32_e32 v6, v2
	v_min_u32_e32 v6, 32, v6
	v_lshrrev_b16_e32 v3, 3, v8
	v_subrev_u32_e32 v7, 28, v6
	v_and_b32_e32 v3, 15, v3
	v_lshlrev_b32_e32 v7, v7, v8
	v_sub_u32_e32 v6, 29, v6
	v_and_b32_e32 v7, 7, v7
	v_cmp_eq_u16_e32 vcc, 0, v3
	v_cndmask_b32_e32 v2, v2, v7, vcc
	v_cndmask_b32_e32 v3, v3, v6, vcc
	v_lshlrev_b32_e32 v6, 24, v8
	v_mov_b32_e32 v7, 0x3b800000
	v_lshlrev_b32_e32 v2, 20, v2
	v_and_b32_e32 v6, 0x80000000, v6
	v_lshl_add_u32 v3, v3, 23, v7
	v_or3_b32 v2, v6, v3, v2
.LBB23_964:
	s_or_b64 exec, exec, s[6:7]
	s_movk_i32 s4, 0x7f
	v_cmp_gt_i16_sdwa s[6:7], v4, s4 src0_sel:BYTE_0 src1_sel:DWORD
	s_mov_b64 s[4:5], 0
                                        ; implicit-def: $sgpr10
	s_and_saveexec_b64 s[8:9], s[6:7]
	s_xor_b64 s[6:7], exec, s[8:9]
	s_cbranch_execnz .LBB23_3013
; %bb.965:
	s_or_saveexec_b64 s[6:7], s[6:7]
	v_mov_b32_e32 v3, s10
	s_xor_b64 exec, exec, s[6:7]
	s_cbranch_execnz .LBB23_3016
.LBB23_966:
	s_or_b64 exec, exec, s[6:7]
	s_and_saveexec_b64 s[6:7], s[4:5]
	s_cbranch_execz .LBB23_968
.LBB23_967:
	v_and_b32_e32 v3, 7, v4
	v_ffbh_u32_e32 v7, v3
	v_min_u32_e32 v7, 32, v7
	v_lshrrev_b16_e32 v6, 3, v4
	v_subrev_u32_e32 v10, 28, v7
	v_and_b32_e32 v6, 15, v6
	v_lshlrev_b32_e32 v10, v10, v4
	v_sub_u32_e32 v7, 29, v7
	v_and_b32_e32 v10, 7, v10
	v_cmp_eq_u16_e32 vcc, 0, v6
	v_cndmask_b32_e32 v3, v3, v10, vcc
	v_cndmask_b32_e32 v6, v6, v7, vcc
	v_lshlrev_b32_e32 v7, 24, v4
	v_mov_b32_e32 v10, 0x3b800000
	v_lshlrev_b32_e32 v3, 20, v3
	v_and_b32_e32 v7, 0x80000000, v7
	v_lshl_add_u32 v6, v6, 23, v10
	v_or3_b32 v3, v7, v6, v3
.LBB23_968:
	s_or_b64 exec, exec, s[6:7]
	s_nop 0
	v_mfma_f32_16x16x4f32 a[0:3], v2, v3, a[0:3]
	v_lshrrev_b32_e32 v3, 8, v8
	s_movk_i32 s4, 0x7f
	v_cmp_gt_i16_sdwa s[6:7], v3, s4 src0_sel:BYTE_0 src1_sel:DWORD
	s_mov_b64 s[4:5], 0
                                        ; implicit-def: $sgpr10
	s_and_saveexec_b64 s[8:9], s[6:7]
	s_xor_b64 s[6:7], exec, s[8:9]
	s_cbranch_execnz .LBB23_3017
; %bb.969:
	s_or_saveexec_b64 s[6:7], s[6:7]
	v_mov_b32_e32 v2, s10
	s_xor_b64 exec, exec, s[6:7]
	s_cbranch_execnz .LBB23_3020
.LBB23_970:
	s_or_b64 exec, exec, s[6:7]
	s_and_saveexec_b64 s[6:7], s[4:5]
	s_cbranch_execz .LBB23_972
.LBB23_971:
	v_bfe_u32 v2, v8, 8, 3
	v_ffbh_u32_e32 v7, v2
	v_min_u32_e32 v7, 32, v7
	v_lshrrev_b16_e32 v6, 3, v3
	v_subrev_u32_e32 v10, 28, v7
	v_and_b32_e32 v6, 15, v6
	v_lshlrev_b32_e32 v3, v10, v3
	v_sub_u32_e32 v7, 29, v7
	v_and_b32_e32 v3, 7, v3
	v_cmp_eq_u16_e32 vcc, 0, v6
	v_cndmask_b32_e32 v2, v2, v3, vcc
	v_cndmask_b32_e32 v3, v6, v7, vcc
	v_lshlrev_b32_e32 v6, 16, v8
	v_mov_b32_e32 v7, 0x3b800000
	v_lshlrev_b32_e32 v2, 20, v2
	v_and_b32_e32 v6, 0x80000000, v6
	v_lshl_add_u32 v3, v3, 23, v7
	v_or3_b32 v2, v6, v3, v2
.LBB23_972:
	s_or_b64 exec, exec, s[6:7]
	v_lshrrev_b32_e32 v3, 8, v4
	s_movk_i32 s4, 0x7f
	v_cmp_gt_i16_sdwa s[6:7], v3, s4 src0_sel:BYTE_0 src1_sel:DWORD
	s_mov_b64 s[4:5], 0
                                        ; implicit-def: $sgpr10
	s_and_saveexec_b64 s[8:9], s[6:7]
	s_xor_b64 s[6:7], exec, s[8:9]
	s_cbranch_execnz .LBB23_3021
; %bb.973:
	s_or_saveexec_b64 s[6:7], s[6:7]
	v_mov_b32_e32 v6, s10
	s_xor_b64 exec, exec, s[6:7]
	s_cbranch_execnz .LBB23_3024
.LBB23_974:
	s_or_b64 exec, exec, s[6:7]
	s_and_saveexec_b64 s[6:7], s[4:5]
	s_cbranch_execz .LBB23_976
.LBB23_975:
	v_bfe_u32 v6, v4, 8, 3
	v_ffbh_u32_e32 v10, v6
	v_min_u32_e32 v10, 32, v10
	v_lshrrev_b16_e32 v7, 3, v3
	v_subrev_u32_e32 v11, 28, v10
	v_and_b32_e32 v7, 15, v7
	v_lshlrev_b32_e32 v3, v11, v3
	v_sub_u32_e32 v10, 29, v10
	v_and_b32_e32 v3, 7, v3
	v_cmp_eq_u16_e32 vcc, 0, v7
	v_cndmask_b32_e32 v3, v6, v3, vcc
	v_cndmask_b32_e32 v6, v7, v10, vcc
	v_lshlrev_b32_e32 v7, 16, v4
	v_mov_b32_e32 v10, 0x3b800000
	v_lshlrev_b32_e32 v3, 20, v3
	v_and_b32_e32 v7, 0x80000000, v7
	v_lshl_add_u32 v6, v6, 23, v10
	v_or3_b32 v6, v7, v6, v3
.LBB23_976:
	s_or_b64 exec, exec, s[6:7]
	s_nop 0
	v_mfma_f32_16x16x4f32 a[0:3], v2, v6, a[0:3]
	s_movk_i32 s4, 0xff
	v_and_b32_sdwa v3, v8, s4 dst_sel:DWORD dst_unused:UNUSED_PAD src0_sel:WORD_1 src1_sel:DWORD
	s_movk_i32 s4, 0x7f
	v_cmp_lt_i16_e32 vcc, s4, v3
	s_mov_b64 s[4:5], 0
                                        ; implicit-def: $sgpr10
	s_and_saveexec_b64 s[6:7], vcc
	s_xor_b64 s[6:7], exec, s[6:7]
	s_cbranch_execnz .LBB23_3025
; %bb.977:
	s_or_saveexec_b64 s[6:7], s[6:7]
	v_mov_b32_e32 v2, s10
	s_xor_b64 exec, exec, s[6:7]
	s_cbranch_execnz .LBB23_3028
.LBB23_978:
	s_or_b64 exec, exec, s[6:7]
	s_and_saveexec_b64 s[6:7], s[4:5]
	s_cbranch_execz .LBB23_980
.LBB23_979:
	v_bfe_u32 v2, v8, 16, 3
	v_ffbh_u32_e32 v7, v2
	v_min_u32_e32 v7, 32, v7
	v_lshrrev_b32_e32 v3, 19, v8
	v_subrev_u32_e32 v10, 28, v7
	v_and_b32_e32 v3, 15, v3
	v_lshlrev_b32_sdwa v10, v10, v8 dst_sel:DWORD dst_unused:UNUSED_PAD src0_sel:DWORD src1_sel:WORD_1
	v_bfe_u32 v6, v8, 19, 4
	v_sub_u32_e32 v7, 29, v7
	v_and_b32_e32 v10, 7, v10
	v_cmp_eq_u16_e32 vcc, 0, v3
	v_cndmask_b32_e32 v2, v2, v10, vcc
	v_cndmask_b32_e32 v3, v6, v7, vcc
	v_lshlrev_b32_e32 v6, 8, v8
	v_mov_b32_e32 v7, 0x3b800000
	v_lshlrev_b32_e32 v2, 20, v2
	v_and_b32_e32 v6, 0x80000000, v6
	v_lshl_add_u32 v3, v3, 23, v7
	v_or3_b32 v2, v6, v3, v2
.LBB23_980:
	s_or_b64 exec, exec, s[6:7]
	s_movk_i32 s4, 0xff
	v_and_b32_sdwa v3, v4, s4 dst_sel:DWORD dst_unused:UNUSED_PAD src0_sel:WORD_1 src1_sel:DWORD
	s_movk_i32 s4, 0x7f
	v_cmp_lt_i16_e32 vcc, s4, v3
	s_mov_b64 s[4:5], 0
                                        ; implicit-def: $sgpr10
	s_and_saveexec_b64 s[6:7], vcc
	s_xor_b64 s[6:7], exec, s[6:7]
	s_cbranch_execnz .LBB23_3029
; %bb.981:
	s_or_saveexec_b64 s[6:7], s[6:7]
	v_mov_b32_e32 v6, s10
	s_xor_b64 exec, exec, s[6:7]
	s_cbranch_execnz .LBB23_3032
.LBB23_982:
	s_or_b64 exec, exec, s[6:7]
	s_and_saveexec_b64 s[6:7], s[4:5]
	s_cbranch_execz .LBB23_984
.LBB23_983:
	v_bfe_u32 v3, v4, 16, 3
	v_ffbh_u32_e32 v10, v3
	v_min_u32_e32 v10, 32, v10
	v_lshrrev_b32_e32 v6, 19, v4
	v_subrev_u32_e32 v11, 28, v10
	v_and_b32_e32 v6, 15, v6
	v_lshlrev_b32_sdwa v11, v11, v4 dst_sel:DWORD dst_unused:UNUSED_PAD src0_sel:DWORD src1_sel:WORD_1
	v_bfe_u32 v7, v4, 19, 4
	v_sub_u32_e32 v10, 29, v10
	v_and_b32_e32 v11, 7, v11
	v_cmp_eq_u16_e32 vcc, 0, v6
	v_cndmask_b32_e32 v3, v3, v11, vcc
	v_cndmask_b32_e32 v6, v7, v10, vcc
	v_lshlrev_b32_e32 v7, 8, v4
	v_mov_b32_e32 v10, 0x3b800000
	v_lshlrev_b32_e32 v3, 20, v3
	v_and_b32_e32 v7, 0x80000000, v7
	v_lshl_add_u32 v6, v6, 23, v10
	v_or3_b32 v6, v7, v6, v3
.LBB23_984:
	s_or_b64 exec, exec, s[6:7]
	s_nop 0
	v_mfma_f32_16x16x4f32 a[0:3], v2, v6, a[0:3]
	s_movk_i32 s4, 0x7f
	v_cmp_gt_i16_sdwa s[6:7], v8, s4 src0_sel:BYTE_3 src1_sel:DWORD
	s_mov_b64 s[4:5], 0
                                        ; implicit-def: $sgpr10
	s_and_saveexec_b64 s[8:9], s[6:7]
	s_xor_b64 s[6:7], exec, s[8:9]
	s_cbranch_execnz .LBB23_3033
; %bb.985:
	s_or_saveexec_b64 s[6:7], s[6:7]
	v_mov_b32_e32 v2, s10
	s_xor_b64 exec, exec, s[6:7]
	s_cbranch_execnz .LBB23_3036
.LBB23_986:
	s_or_b64 exec, exec, s[6:7]
	s_and_saveexec_b64 s[6:7], s[4:5]
	s_cbranch_execz .LBB23_988
.LBB23_987:
	v_bfe_u32 v2, v8, 24, 3
	v_ffbh_u32_e32 v10, v2
	v_min_u32_e32 v10, 32, v10
	v_lshrrev_b32_e32 v6, 27, v8
	v_subrev_u32_e32 v11, 28, v10
	v_and_b32_e32 v3, 0x80000000, v8
	v_and_b32_e32 v6, 15, v6
	v_bfe_u32 v7, v8, 27, 4
	v_lshlrev_b32_sdwa v8, v11, v8 dst_sel:DWORD dst_unused:UNUSED_PAD src0_sel:DWORD src1_sel:BYTE_3
	v_sub_u32_e32 v10, 29, v10
	v_and_b32_e32 v8, 7, v8
	v_cmp_eq_u16_e32 vcc, 0, v6
	v_cndmask_b32_e32 v2, v2, v8, vcc
	v_cndmask_b32_e32 v6, v7, v10, vcc
	v_mov_b32_e32 v7, 0x3b800000
	v_lshlrev_b32_e32 v2, 20, v2
	v_lshl_add_u32 v6, v6, 23, v7
	v_or3_b32 v2, v3, v6, v2
.LBB23_988:
	s_or_b64 exec, exec, s[6:7]
	s_movk_i32 s4, 0x7f
	v_cmp_gt_i16_sdwa s[6:7], v4, s4 src0_sel:BYTE_3 src1_sel:DWORD
	s_mov_b64 s[4:5], 0
                                        ; implicit-def: $sgpr10
	s_and_saveexec_b64 s[8:9], s[6:7]
	s_xor_b64 s[6:7], exec, s[8:9]
	s_cbranch_execnz .LBB23_3037
; %bb.989:
	s_or_saveexec_b64 s[6:7], s[6:7]
	v_mov_b32_e32 v3, s10
	s_xor_b64 exec, exec, s[6:7]
	s_cbranch_execnz .LBB23_3040
.LBB23_990:
	s_or_b64 exec, exec, s[6:7]
	s_and_saveexec_b64 s[6:7], s[4:5]
	s_cbranch_execz .LBB23_992
.LBB23_991:
	v_bfe_u32 v3, v4, 24, 3
	v_ffbh_u32_e32 v10, v3
	v_min_u32_e32 v10, 32, v10
	v_lshrrev_b32_e32 v7, 27, v4
	v_subrev_u32_e32 v11, 28, v10
	v_and_b32_e32 v6, 0x80000000, v4
	v_and_b32_e32 v7, 15, v7
	v_bfe_u32 v8, v4, 27, 4
	v_lshlrev_b32_sdwa v4, v11, v4 dst_sel:DWORD dst_unused:UNUSED_PAD src0_sel:DWORD src1_sel:BYTE_3
	v_sub_u32_e32 v10, 29, v10
	v_and_b32_e32 v4, 7, v4
	v_cmp_eq_u16_e32 vcc, 0, v7
	v_cndmask_b32_e32 v3, v3, v4, vcc
	v_cndmask_b32_e32 v4, v8, v10, vcc
	v_mov_b32_e32 v7, 0x3b800000
	v_lshlrev_b32_e32 v3, 20, v3
	v_lshl_add_u32 v4, v4, 23, v7
	v_or3_b32 v3, v6, v4, v3
.LBB23_992:
	s_or_b64 exec, exec, s[6:7]
	s_nop 0
	v_mfma_f32_16x16x4f32 a[0:3], v2, v3, a[0:3]
	s_movk_i32 s4, 0x7f
	v_cmp_gt_i16_sdwa s[6:7], v9, s4 src0_sel:BYTE_0 src1_sel:DWORD
	s_mov_b64 s[4:5], 0
                                        ; implicit-def: $sgpr10
	s_and_saveexec_b64 s[8:9], s[6:7]
	s_xor_b64 s[6:7], exec, s[8:9]
	s_cbranch_execnz .LBB23_3041
; %bb.993:
	s_or_saveexec_b64 s[6:7], s[6:7]
	v_mov_b32_e32 v2, s10
	s_xor_b64 exec, exec, s[6:7]
	s_cbranch_execnz .LBB23_3044
.LBB23_994:
	s_or_b64 exec, exec, s[6:7]
	s_and_saveexec_b64 s[6:7], s[4:5]
	s_cbranch_execz .LBB23_996
.LBB23_995:
	v_mov_b32_e32 v2, 8
	v_and_b32_e32 v3, 7, v9
	v_lshrrev_b32_sdwa v2, v2, v9 dst_sel:BYTE_1 dst_unused:UNUSED_PAD src0_sel:DWORD src1_sel:DWORD
	v_ffbh_u32_e32 v4, v3
	v_or_b32_sdwa v2, v9, v2 dst_sel:DWORD dst_unused:UNUSED_PAD src0_sel:BYTE_0 src1_sel:DWORD
	v_min_u32_e32 v4, 32, v4
	v_lshrrev_b16_e32 v2, 3, v2
	v_subrev_u32_e32 v6, 28, v4
	v_and_b32_e32 v2, 15, v2
	v_lshlrev_b32_e32 v6, v6, v9
	v_sub_u32_e32 v4, 29, v4
	v_and_b32_e32 v6, 7, v6
	v_cmp_eq_u16_e32 vcc, 0, v2
	v_cndmask_b32_e32 v3, v3, v6, vcc
	v_cndmask_b32_e32 v2, v2, v4, vcc
	v_lshlrev_b32_e32 v4, 24, v9
	v_mov_b32_e32 v6, 0x3b800000
	v_lshlrev_b32_e32 v3, 20, v3
	v_and_b32_e32 v4, 0x80000000, v4
	v_lshl_add_u32 v2, v2, 23, v6
	v_or3_b32 v2, v4, v2, v3
.LBB23_996:
	s_or_b64 exec, exec, s[6:7]
	s_movk_i32 s4, 0x7f
	v_cmp_gt_i16_sdwa s[6:7], v5, s4 src0_sel:BYTE_0 src1_sel:DWORD
	s_mov_b64 s[4:5], 0
                                        ; implicit-def: $sgpr10
	s_and_saveexec_b64 s[8:9], s[6:7]
	s_xor_b64 s[6:7], exec, s[8:9]
	s_cbranch_execnz .LBB23_3045
; %bb.997:
	s_or_saveexec_b64 s[6:7], s[6:7]
	v_mov_b32_e32 v3, s10
	s_xor_b64 exec, exec, s[6:7]
	s_cbranch_execnz .LBB23_3048
.LBB23_998:
	s_or_b64 exec, exec, s[6:7]
	s_and_saveexec_b64 s[6:7], s[4:5]
	s_cbranch_execz .LBB23_1000
.LBB23_999:
	v_mov_b32_e32 v3, 8
	v_and_b32_e32 v4, 7, v5
	v_lshrrev_b32_sdwa v3, v3, v5 dst_sel:BYTE_1 dst_unused:UNUSED_PAD src0_sel:DWORD src1_sel:DWORD
	v_ffbh_u32_e32 v6, v4
	v_or_b32_sdwa v3, v5, v3 dst_sel:DWORD dst_unused:UNUSED_PAD src0_sel:BYTE_0 src1_sel:DWORD
	v_min_u32_e32 v6, 32, v6
	v_lshrrev_b16_e32 v3, 3, v3
	v_subrev_u32_e32 v7, 28, v6
	v_and_b32_e32 v3, 15, v3
	v_lshlrev_b32_e32 v7, v7, v5
	v_sub_u32_e32 v6, 29, v6
	v_and_b32_e32 v7, 7, v7
	v_cmp_eq_u16_e32 vcc, 0, v3
	v_cndmask_b32_e32 v4, v4, v7, vcc
	v_cndmask_b32_e32 v3, v3, v6, vcc
	v_lshlrev_b32_e32 v6, 24, v5
	v_mov_b32_e32 v7, 0x3b800000
	v_lshlrev_b32_e32 v4, 20, v4
	v_and_b32_e32 v6, 0x80000000, v6
	v_lshl_add_u32 v3, v3, 23, v7
	v_or3_b32 v3, v6, v3, v4
.LBB23_1000:
	s_or_b64 exec, exec, s[6:7]
	s_nop 0
	v_mfma_f32_16x16x4f32 a[0:3], v2, v3, a[0:3]
	v_lshrrev_b32_e32 v3, 8, v9
	s_movk_i32 s4, 0x7f
	v_cmp_gt_i16_sdwa s[6:7], v3, s4 src0_sel:BYTE_0 src1_sel:DWORD
	s_mov_b64 s[4:5], 0
                                        ; implicit-def: $sgpr10
	s_and_saveexec_b64 s[8:9], s[6:7]
	s_xor_b64 s[6:7], exec, s[8:9]
	s_cbranch_execnz .LBB23_3049
; %bb.1001:
	s_or_saveexec_b64 s[6:7], s[6:7]
	v_mov_b32_e32 v2, s10
	s_xor_b64 exec, exec, s[6:7]
	s_cbranch_execnz .LBB23_3052
.LBB23_1002:
	s_or_b64 exec, exec, s[6:7]
	s_and_saveexec_b64 s[6:7], s[4:5]
	s_cbranch_execz .LBB23_1004
.LBB23_1003:
	v_bfe_u32 v2, v9, 8, 3
	v_ffbh_u32_e32 v6, v2
	v_min_u32_e32 v6, 32, v6
	v_lshrrev_b16_e32 v4, 3, v3
	v_subrev_u32_e32 v7, 28, v6
	v_and_b32_e32 v4, 15, v4
	v_lshlrev_b32_e32 v3, v7, v3
	v_sub_u32_e32 v6, 29, v6
	v_and_b32_e32 v3, 7, v3
	v_cmp_eq_u16_e32 vcc, 0, v4
	v_cndmask_b32_e32 v2, v2, v3, vcc
	v_cndmask_b32_e32 v3, v4, v6, vcc
	v_lshlrev_b32_e32 v4, 16, v9
	v_mov_b32_e32 v6, 0x3b800000
	v_lshlrev_b32_e32 v2, 20, v2
	v_and_b32_e32 v4, 0x80000000, v4
	v_lshl_add_u32 v3, v3, 23, v6
	v_or3_b32 v2, v4, v3, v2
.LBB23_1004:
	s_or_b64 exec, exec, s[6:7]
	v_lshrrev_b32_e32 v3, 8, v5
	s_movk_i32 s4, 0x7f
	v_cmp_gt_i16_sdwa s[6:7], v3, s4 src0_sel:BYTE_0 src1_sel:DWORD
	s_mov_b64 s[4:5], 0
                                        ; implicit-def: $sgpr10
	s_and_saveexec_b64 s[8:9], s[6:7]
	s_xor_b64 s[6:7], exec, s[8:9]
	s_cbranch_execnz .LBB23_3053
; %bb.1005:
	s_or_saveexec_b64 s[6:7], s[6:7]
	v_mov_b32_e32 v4, s10
	s_xor_b64 exec, exec, s[6:7]
	s_cbranch_execnz .LBB23_3056
.LBB23_1006:
	s_or_b64 exec, exec, s[6:7]
	s_and_saveexec_b64 s[6:7], s[4:5]
	s_cbranch_execz .LBB23_1008
.LBB23_1007:
	v_bfe_u32 v4, v5, 8, 3
	v_ffbh_u32_e32 v7, v4
	v_min_u32_e32 v7, 32, v7
	v_lshrrev_b16_e32 v6, 3, v3
	v_subrev_u32_e32 v8, 28, v7
	v_and_b32_e32 v6, 15, v6
	v_lshlrev_b32_e32 v3, v8, v3
	v_sub_u32_e32 v7, 29, v7
	v_and_b32_e32 v3, 7, v3
	v_cmp_eq_u16_e32 vcc, 0, v6
	v_cndmask_b32_e32 v3, v4, v3, vcc
	v_cndmask_b32_e32 v4, v6, v7, vcc
	v_lshlrev_b32_e32 v6, 16, v5
	v_mov_b32_e32 v7, 0x3b800000
	v_lshlrev_b32_e32 v3, 20, v3
	v_and_b32_e32 v6, 0x80000000, v6
	v_lshl_add_u32 v4, v4, 23, v7
	v_or3_b32 v4, v6, v4, v3
.LBB23_1008:
	s_or_b64 exec, exec, s[6:7]
	s_nop 0
	v_mfma_f32_16x16x4f32 a[0:3], v2, v4, a[0:3]
	s_movk_i32 s4, 0xff
	v_and_b32_sdwa v3, v9, s4 dst_sel:DWORD dst_unused:UNUSED_PAD src0_sel:WORD_1 src1_sel:DWORD
	s_movk_i32 s4, 0x7f
	v_cmp_lt_i16_e32 vcc, s4, v3
	s_mov_b64 s[4:5], 0
                                        ; implicit-def: $sgpr10
	s_and_saveexec_b64 s[6:7], vcc
	s_xor_b64 s[6:7], exec, s[6:7]
	s_cbranch_execnz .LBB23_3057
; %bb.1009:
	s_or_saveexec_b64 s[6:7], s[6:7]
	v_mov_b32_e32 v2, s10
	s_xor_b64 exec, exec, s[6:7]
	s_cbranch_execnz .LBB23_3060
.LBB23_1010:
	s_or_b64 exec, exec, s[6:7]
	s_and_saveexec_b64 s[6:7], s[4:5]
	s_cbranch_execz .LBB23_1012
.LBB23_1011:
	v_bfe_u32 v2, v9, 16, 3
	v_ffbh_u32_e32 v6, v2
	v_min_u32_e32 v6, 32, v6
	v_lshrrev_b32_e32 v3, 19, v9
	v_subrev_u32_e32 v7, 28, v6
	v_and_b32_e32 v3, 15, v3
	v_lshlrev_b32_sdwa v7, v7, v9 dst_sel:DWORD dst_unused:UNUSED_PAD src0_sel:DWORD src1_sel:WORD_1
	v_bfe_u32 v4, v9, 19, 4
	v_sub_u32_e32 v6, 29, v6
	v_and_b32_e32 v7, 7, v7
	v_cmp_eq_u16_e32 vcc, 0, v3
	v_cndmask_b32_e32 v2, v2, v7, vcc
	v_cndmask_b32_e32 v3, v4, v6, vcc
	v_lshlrev_b32_e32 v4, 8, v9
	v_mov_b32_e32 v6, 0x3b800000
	v_lshlrev_b32_e32 v2, 20, v2
	v_and_b32_e32 v4, 0x80000000, v4
	v_lshl_add_u32 v3, v3, 23, v6
	v_or3_b32 v2, v4, v3, v2
.LBB23_1012:
	s_or_b64 exec, exec, s[6:7]
	s_movk_i32 s4, 0xff
	v_and_b32_sdwa v3, v5, s4 dst_sel:DWORD dst_unused:UNUSED_PAD src0_sel:WORD_1 src1_sel:DWORD
	s_movk_i32 s4, 0x7f
	v_cmp_lt_i16_e32 vcc, s4, v3
	s_mov_b64 s[4:5], 0
                                        ; implicit-def: $sgpr10
	s_and_saveexec_b64 s[6:7], vcc
	s_xor_b64 s[6:7], exec, s[6:7]
	s_cbranch_execnz .LBB23_3061
; %bb.1013:
	s_or_saveexec_b64 s[6:7], s[6:7]
	v_mov_b32_e32 v4, s10
	s_xor_b64 exec, exec, s[6:7]
	s_cbranch_execnz .LBB23_3064
.LBB23_1014:
	s_or_b64 exec, exec, s[6:7]
	s_and_saveexec_b64 s[6:7], s[4:5]
	s_cbranch_execz .LBB23_1016
.LBB23_1015:
	v_bfe_u32 v3, v5, 16, 3
	v_ffbh_u32_e32 v7, v3
	v_min_u32_e32 v7, 32, v7
	v_lshrrev_b32_e32 v4, 19, v5
	v_subrev_u32_e32 v8, 28, v7
	v_and_b32_e32 v4, 15, v4
	v_lshlrev_b32_sdwa v8, v8, v5 dst_sel:DWORD dst_unused:UNUSED_PAD src0_sel:DWORD src1_sel:WORD_1
	v_bfe_u32 v6, v5, 19, 4
	v_sub_u32_e32 v7, 29, v7
	v_and_b32_e32 v8, 7, v8
	v_cmp_eq_u16_e32 vcc, 0, v4
	v_cndmask_b32_e32 v3, v3, v8, vcc
	v_cndmask_b32_e32 v4, v6, v7, vcc
	v_lshlrev_b32_e32 v6, 8, v5
	v_mov_b32_e32 v7, 0x3b800000
	v_lshlrev_b32_e32 v3, 20, v3
	v_and_b32_e32 v6, 0x80000000, v6
	v_lshl_add_u32 v4, v4, 23, v7
	v_or3_b32 v4, v6, v4, v3
.LBB23_1016:
	s_or_b64 exec, exec, s[6:7]
	s_nop 0
	v_mfma_f32_16x16x4f32 a[0:3], v2, v4, a[0:3]
	s_movk_i32 s4, 0x7f
	v_cmp_gt_i16_sdwa s[6:7], v9, s4 src0_sel:BYTE_3 src1_sel:DWORD
	s_mov_b64 s[4:5], 0
                                        ; implicit-def: $sgpr10
	s_and_saveexec_b64 s[8:9], s[6:7]
	s_xor_b64 s[6:7], exec, s[8:9]
	s_cbranch_execnz .LBB23_3065
; %bb.1017:
	s_or_saveexec_b64 s[6:7], s[6:7]
	v_mov_b32_e32 v2, s10
	s_xor_b64 exec, exec, s[6:7]
	s_cbranch_execnz .LBB23_3068
.LBB23_1018:
	s_or_b64 exec, exec, s[6:7]
	s_and_saveexec_b64 s[6:7], s[4:5]
	s_cbranch_execz .LBB23_1020
.LBB23_1019:
	v_bfe_u32 v2, v9, 24, 3
	v_ffbh_u32_e32 v7, v2
	v_min_u32_e32 v7, 32, v7
	v_lshrrev_b32_e32 v4, 27, v9
	v_subrev_u32_e32 v8, 28, v7
	v_and_b32_e32 v4, 15, v4
	v_lshlrev_b32_sdwa v8, v8, v9 dst_sel:DWORD dst_unused:UNUSED_PAD src0_sel:DWORD src1_sel:BYTE_3
	v_bfe_u32 v6, v9, 27, 4
	v_sub_u32_e32 v7, 29, v7
	v_and_b32_e32 v8, 7, v8
	v_cmp_eq_u16_e32 vcc, 0, v4
	v_cndmask_b32_e32 v2, v2, v8, vcc
	v_cndmask_b32_e32 v4, v6, v7, vcc
	v_mov_b32_e32 v6, 0x3b800000
	v_and_b32_e32 v3, 0x80000000, v9
	v_lshlrev_b32_e32 v2, 20, v2
	v_lshl_add_u32 v4, v4, 23, v6
	v_or3_b32 v2, v3, v4, v2
.LBB23_1020:
	s_or_b64 exec, exec, s[6:7]
	s_movk_i32 s4, 0x7f
	v_cmp_gt_i16_sdwa s[6:7], v5, s4 src0_sel:BYTE_3 src1_sel:DWORD
	s_mov_b64 s[4:5], 0
                                        ; implicit-def: $sgpr10
	s_and_saveexec_b64 s[8:9], s[6:7]
	s_xor_b64 s[6:7], exec, s[8:9]
	s_cbranch_execnz .LBB23_3069
; %bb.1021:
	s_or_saveexec_b64 s[6:7], s[6:7]
	v_mov_b32_e32 v3, s10
	s_xor_b64 exec, exec, s[6:7]
	s_cbranch_execnz .LBB23_3072
.LBB23_1022:
	s_or_b64 exec, exec, s[6:7]
	s_and_saveexec_b64 s[6:7], s[4:5]
	s_cbranch_execz .LBB23_1024
.LBB23_1023:
	v_bfe_u32 v3, v5, 24, 3
	v_ffbh_u32_e32 v8, v3
	v_min_u32_e32 v8, 32, v8
	v_lshrrev_b32_e32 v6, 27, v5
	v_subrev_u32_e32 v9, 28, v8
	v_and_b32_e32 v4, 0x80000000, v5
	v_and_b32_e32 v6, 15, v6
	v_bfe_u32 v7, v5, 27, 4
	v_lshlrev_b32_sdwa v5, v9, v5 dst_sel:DWORD dst_unused:UNUSED_PAD src0_sel:DWORD src1_sel:BYTE_3
	v_sub_u32_e32 v8, 29, v8
	v_and_b32_e32 v5, 7, v5
	v_cmp_eq_u16_e32 vcc, 0, v6
	v_cndmask_b32_e32 v3, v3, v5, vcc
	v_cndmask_b32_e32 v5, v7, v8, vcc
	v_mov_b32_e32 v6, 0x3b800000
	v_lshlrev_b32_e32 v3, 20, v3
	v_lshl_add_u32 v5, v5, 23, v6
	v_or3_b32 v3, v4, v5, v3
.LBB23_1024:
	s_or_b64 exec, exec, s[6:7]
	s_nop 0
	v_mfma_f32_16x16x4f32 a[0:3], v2, v3, a[0:3]
	s_movk_i32 s4, 0x7f
                                        ; implicit-def: $sgpr10
	s_nop 7
	s_nop 1
	flat_store_dwordx4 v[18:19], a[0:3] offset:688
	flat_load_dwordx4 v[20:23], v[0:1] offset:8
	s_nop 0
	flat_load_dwordx2 v[18:19], v[0:1] offset:24
	s_waitcnt vmcnt(0) lgkmcnt(0)
	flat_load_dwordx4 v[14:17], v[20:21] offset:32
	flat_load_dwordx4 v[6:9], v[20:21] offset:48
	;; [unrolled: 1-line block ×4, first 2 shown]
	s_waitcnt vmcnt(0) lgkmcnt(0)
	v_cmp_gt_i16_sdwa s[6:7], v14, s4 src0_sel:BYTE_0 src1_sel:DWORD
	s_mov_b64 s[4:5], 0
	s_and_saveexec_b64 s[8:9], s[6:7]
	s_xor_b64 s[6:7], exec, s[8:9]
	s_cbranch_execnz .LBB23_3073
; %bb.1025:
	s_or_saveexec_b64 s[6:7], s[6:7]
	v_mov_b32_e32 v20, s10
	s_xor_b64 exec, exec, s[6:7]
	s_cbranch_execnz .LBB23_3076
.LBB23_1026:
	s_or_b64 exec, exec, s[6:7]
	s_and_saveexec_b64 s[6:7], s[4:5]
	s_cbranch_execz .LBB23_1028
.LBB23_1027:
	v_and_b32_e32 v20, 7, v14
	v_ffbh_u32_e32 v22, v20
	v_min_u32_e32 v22, 32, v22
	v_lshrrev_b16_e32 v21, 3, v14
	v_subrev_u32_e32 v23, 28, v22
	v_and_b32_e32 v21, 15, v21
	v_lshlrev_b32_e32 v23, v23, v14
	v_sub_u32_e32 v22, 29, v22
	v_and_b32_e32 v23, 7, v23
	v_cmp_eq_u16_e32 vcc, 0, v21
	v_cndmask_b32_e32 v20, v20, v23, vcc
	v_cndmask_b32_e32 v21, v21, v22, vcc
	v_lshlrev_b32_e32 v22, 24, v14
	v_mov_b32_e32 v23, 0x3b800000
	v_lshlrev_b32_e32 v20, 20, v20
	v_and_b32_e32 v22, 0x80000000, v22
	v_lshl_add_u32 v21, v21, 23, v23
	v_or3_b32 v20, v22, v21, v20
.LBB23_1028:
	s_or_b64 exec, exec, s[6:7]
	s_movk_i32 s4, 0x7f
	v_cmp_gt_i16_sdwa s[6:7], v10, s4 src0_sel:BYTE_0 src1_sel:DWORD
	s_mov_b64 s[4:5], 0
                                        ; implicit-def: $sgpr10
	s_and_saveexec_b64 s[8:9], s[6:7]
	s_xor_b64 s[6:7], exec, s[8:9]
	s_cbranch_execnz .LBB23_3077
; %bb.1029:
	s_or_saveexec_b64 s[6:7], s[6:7]
	v_mov_b32_e32 v21, s10
	s_xor_b64 exec, exec, s[6:7]
	s_cbranch_execnz .LBB23_3080
.LBB23_1030:
	s_or_b64 exec, exec, s[6:7]
	s_and_saveexec_b64 s[6:7], s[4:5]
	s_cbranch_execz .LBB23_1032
.LBB23_1031:
	v_and_b32_e32 v21, 7, v10
	v_ffbh_u32_e32 v23, v21
	v_min_u32_e32 v23, 32, v23
	v_lshrrev_b16_e32 v22, 3, v10
	v_subrev_u32_e32 v24, 28, v23
	v_and_b32_e32 v22, 15, v22
	v_lshlrev_b32_e32 v24, v24, v10
	v_sub_u32_e32 v23, 29, v23
	v_and_b32_e32 v24, 7, v24
	v_cmp_eq_u16_e32 vcc, 0, v22
	v_cndmask_b32_e32 v21, v21, v24, vcc
	v_cndmask_b32_e32 v22, v22, v23, vcc
	v_lshlrev_b32_e32 v23, 24, v10
	v_mov_b32_e32 v24, 0x3b800000
	v_lshlrev_b32_e32 v21, 20, v21
	v_and_b32_e32 v23, 0x80000000, v23
	v_lshl_add_u32 v22, v22, 23, v24
	v_or3_b32 v21, v23, v22, v21
.LBB23_1032:
	s_or_b64 exec, exec, s[6:7]
	flat_load_dwordx4 a[0:3], v[18:19] offset:704
	s_movk_i32 s4, 0x7f
                                        ; implicit-def: $sgpr10
	s_waitcnt vmcnt(0) lgkmcnt(0)
	v_mfma_f32_16x16x4f32 a[0:3], v20, v21, a[0:3]
	v_lshrrev_b32_e32 v21, 8, v14
	v_cmp_gt_i16_sdwa s[6:7], v21, s4 src0_sel:BYTE_0 src1_sel:DWORD
	s_mov_b64 s[4:5], 0
	s_and_saveexec_b64 s[8:9], s[6:7]
	s_xor_b64 s[6:7], exec, s[8:9]
	s_cbranch_execnz .LBB23_3081
; %bb.1033:
	s_or_saveexec_b64 s[6:7], s[6:7]
	v_mov_b32_e32 v20, s10
	s_xor_b64 exec, exec, s[6:7]
	s_cbranch_execnz .LBB23_3084
.LBB23_1034:
	s_or_b64 exec, exec, s[6:7]
	s_and_saveexec_b64 s[6:7], s[4:5]
	s_cbranch_execz .LBB23_1036
.LBB23_1035:
	v_bfe_u32 v20, v14, 8, 3
	v_ffbh_u32_e32 v23, v20
	v_min_u32_e32 v23, 32, v23
	v_lshrrev_b16_e32 v22, 3, v21
	v_subrev_u32_e32 v24, 28, v23
	v_and_b32_e32 v22, 15, v22
	v_lshlrev_b32_e32 v21, v24, v21
	v_sub_u32_e32 v23, 29, v23
	v_and_b32_e32 v21, 7, v21
	v_cmp_eq_u16_e32 vcc, 0, v22
	v_cndmask_b32_e32 v20, v20, v21, vcc
	v_cndmask_b32_e32 v21, v22, v23, vcc
	v_lshlrev_b32_e32 v22, 16, v14
	v_mov_b32_e32 v23, 0x3b800000
	v_lshlrev_b32_e32 v20, 20, v20
	v_and_b32_e32 v22, 0x80000000, v22
	v_lshl_add_u32 v21, v21, 23, v23
	v_or3_b32 v20, v22, v21, v20
.LBB23_1036:
	s_or_b64 exec, exec, s[6:7]
	v_lshrrev_b32_e32 v21, 8, v10
	s_movk_i32 s4, 0x7f
	v_cmp_gt_i16_sdwa s[6:7], v21, s4 src0_sel:BYTE_0 src1_sel:DWORD
	s_mov_b64 s[4:5], 0
                                        ; implicit-def: $sgpr10
	s_and_saveexec_b64 s[8:9], s[6:7]
	s_xor_b64 s[6:7], exec, s[8:9]
	s_cbranch_execnz .LBB23_3085
; %bb.1037:
	s_or_saveexec_b64 s[6:7], s[6:7]
	v_mov_b32_e32 v22, s10
	s_xor_b64 exec, exec, s[6:7]
	s_cbranch_execnz .LBB23_3088
.LBB23_1038:
	s_or_b64 exec, exec, s[6:7]
	s_and_saveexec_b64 s[6:7], s[4:5]
	s_cbranch_execz .LBB23_1040
.LBB23_1039:
	v_bfe_u32 v22, v10, 8, 3
	v_ffbh_u32_e32 v24, v22
	v_min_u32_e32 v24, 32, v24
	v_lshrrev_b16_e32 v23, 3, v21
	v_subrev_u32_e32 v25, 28, v24
	v_and_b32_e32 v23, 15, v23
	v_lshlrev_b32_e32 v21, v25, v21
	v_sub_u32_e32 v24, 29, v24
	v_and_b32_e32 v21, 7, v21
	v_cmp_eq_u16_e32 vcc, 0, v23
	v_cndmask_b32_e32 v21, v22, v21, vcc
	v_cndmask_b32_e32 v22, v23, v24, vcc
	v_lshlrev_b32_e32 v23, 16, v10
	v_mov_b32_e32 v24, 0x3b800000
	v_lshlrev_b32_e32 v21, 20, v21
	v_and_b32_e32 v23, 0x80000000, v23
	v_lshl_add_u32 v22, v22, 23, v24
	v_or3_b32 v22, v23, v22, v21
.LBB23_1040:
	s_or_b64 exec, exec, s[6:7]
	s_nop 0
	v_mfma_f32_16x16x4f32 a[0:3], v20, v22, a[0:3]
	s_movk_i32 s4, 0xff
	v_and_b32_sdwa v21, v14, s4 dst_sel:DWORD dst_unused:UNUSED_PAD src0_sel:WORD_1 src1_sel:DWORD
	s_movk_i32 s4, 0x7f
	v_cmp_lt_i16_e32 vcc, s4, v21
	s_mov_b64 s[4:5], 0
                                        ; implicit-def: $sgpr10
	s_and_saveexec_b64 s[6:7], vcc
	s_xor_b64 s[6:7], exec, s[6:7]
	s_cbranch_execnz .LBB23_3089
; %bb.1041:
	s_or_saveexec_b64 s[6:7], s[6:7]
	v_mov_b32_e32 v20, s10
	s_xor_b64 exec, exec, s[6:7]
	s_cbranch_execnz .LBB23_3092
.LBB23_1042:
	s_or_b64 exec, exec, s[6:7]
	s_and_saveexec_b64 s[6:7], s[4:5]
	s_cbranch_execz .LBB23_1044
.LBB23_1043:
	v_bfe_u32 v20, v14, 16, 3
	v_ffbh_u32_e32 v23, v20
	v_min_u32_e32 v23, 32, v23
	v_lshrrev_b32_e32 v21, 19, v14
	v_subrev_u32_e32 v24, 28, v23
	v_and_b32_e32 v21, 15, v21
	v_lshlrev_b32_sdwa v24, v24, v14 dst_sel:DWORD dst_unused:UNUSED_PAD src0_sel:DWORD src1_sel:WORD_1
	v_bfe_u32 v22, v14, 19, 4
	v_sub_u32_e32 v23, 29, v23
	v_and_b32_e32 v24, 7, v24
	v_cmp_eq_u16_e32 vcc, 0, v21
	v_cndmask_b32_e32 v20, v20, v24, vcc
	v_cndmask_b32_e32 v21, v22, v23, vcc
	v_lshlrev_b32_e32 v22, 8, v14
	v_mov_b32_e32 v23, 0x3b800000
	v_lshlrev_b32_e32 v20, 20, v20
	v_and_b32_e32 v22, 0x80000000, v22
	v_lshl_add_u32 v21, v21, 23, v23
	v_or3_b32 v20, v22, v21, v20
.LBB23_1044:
	s_or_b64 exec, exec, s[6:7]
	s_movk_i32 s4, 0xff
	v_and_b32_sdwa v21, v10, s4 dst_sel:DWORD dst_unused:UNUSED_PAD src0_sel:WORD_1 src1_sel:DWORD
	s_movk_i32 s4, 0x7f
	v_cmp_lt_i16_e32 vcc, s4, v21
	s_mov_b64 s[4:5], 0
                                        ; implicit-def: $sgpr10
	s_and_saveexec_b64 s[6:7], vcc
	s_xor_b64 s[6:7], exec, s[6:7]
	s_cbranch_execnz .LBB23_3093
; %bb.1045:
	s_or_saveexec_b64 s[6:7], s[6:7]
	v_mov_b32_e32 v22, s10
	s_xor_b64 exec, exec, s[6:7]
	s_cbranch_execnz .LBB23_3096
.LBB23_1046:
	s_or_b64 exec, exec, s[6:7]
	s_and_saveexec_b64 s[6:7], s[4:5]
	s_cbranch_execz .LBB23_1048
.LBB23_1047:
	v_bfe_u32 v21, v10, 16, 3
	v_ffbh_u32_e32 v24, v21
	v_min_u32_e32 v24, 32, v24
	v_lshrrev_b32_e32 v22, 19, v10
	v_subrev_u32_e32 v25, 28, v24
	v_and_b32_e32 v22, 15, v22
	v_lshlrev_b32_sdwa v25, v25, v10 dst_sel:DWORD dst_unused:UNUSED_PAD src0_sel:DWORD src1_sel:WORD_1
	v_bfe_u32 v23, v10, 19, 4
	v_sub_u32_e32 v24, 29, v24
	v_and_b32_e32 v25, 7, v25
	v_cmp_eq_u16_e32 vcc, 0, v22
	v_cndmask_b32_e32 v21, v21, v25, vcc
	v_cndmask_b32_e32 v22, v23, v24, vcc
	v_lshlrev_b32_e32 v23, 8, v10
	v_mov_b32_e32 v24, 0x3b800000
	v_lshlrev_b32_e32 v21, 20, v21
	v_and_b32_e32 v23, 0x80000000, v23
	v_lshl_add_u32 v22, v22, 23, v24
	v_or3_b32 v22, v23, v22, v21
.LBB23_1048:
	s_or_b64 exec, exec, s[6:7]
	s_nop 0
	v_mfma_f32_16x16x4f32 a[0:3], v20, v22, a[0:3]
	s_movk_i32 s4, 0x7f
	v_cmp_gt_i16_sdwa s[6:7], v14, s4 src0_sel:BYTE_3 src1_sel:DWORD
	s_mov_b64 s[4:5], 0
                                        ; implicit-def: $sgpr10
	s_and_saveexec_b64 s[8:9], s[6:7]
	s_xor_b64 s[6:7], exec, s[8:9]
	s_cbranch_execnz .LBB23_3097
; %bb.1049:
	s_or_saveexec_b64 s[6:7], s[6:7]
	v_mov_b32_e32 v20, s10
	s_xor_b64 exec, exec, s[6:7]
	s_cbranch_execnz .LBB23_3100
.LBB23_1050:
	s_or_b64 exec, exec, s[6:7]
	s_and_saveexec_b64 s[6:7], s[4:5]
	s_cbranch_execz .LBB23_1052
.LBB23_1051:
	v_bfe_u32 v20, v14, 24, 3
	v_ffbh_u32_e32 v24, v20
	v_min_u32_e32 v24, 32, v24
	v_lshrrev_b32_e32 v22, 27, v14
	v_subrev_u32_e32 v25, 28, v24
	v_and_b32_e32 v21, 0x80000000, v14
	v_and_b32_e32 v22, 15, v22
	v_bfe_u32 v23, v14, 27, 4
	v_lshlrev_b32_sdwa v14, v25, v14 dst_sel:DWORD dst_unused:UNUSED_PAD src0_sel:DWORD src1_sel:BYTE_3
	v_sub_u32_e32 v24, 29, v24
	v_and_b32_e32 v14, 7, v14
	v_cmp_eq_u16_e32 vcc, 0, v22
	v_cndmask_b32_e32 v14, v20, v14, vcc
	v_cndmask_b32_e32 v20, v23, v24, vcc
	v_mov_b32_e32 v22, 0x3b800000
	v_lshlrev_b32_e32 v14, 20, v14
	v_lshl_add_u32 v20, v20, 23, v22
	v_or3_b32 v20, v21, v20, v14
.LBB23_1052:
	s_or_b64 exec, exec, s[6:7]
	s_movk_i32 s4, 0x7f
	v_cmp_gt_i16_sdwa s[6:7], v10, s4 src0_sel:BYTE_3 src1_sel:DWORD
	s_mov_b64 s[4:5], 0
                                        ; implicit-def: $sgpr10
	s_and_saveexec_b64 s[8:9], s[6:7]
	s_xor_b64 s[6:7], exec, s[8:9]
	s_cbranch_execnz .LBB23_3101
; %bb.1053:
	s_or_saveexec_b64 s[6:7], s[6:7]
	v_mov_b32_e32 v14, s10
	s_xor_b64 exec, exec, s[6:7]
	s_cbranch_execnz .LBB23_3104
.LBB23_1054:
	s_or_b64 exec, exec, s[6:7]
	s_and_saveexec_b64 s[6:7], s[4:5]
	s_cbranch_execz .LBB23_1056
.LBB23_1055:
	v_bfe_u32 v14, v10, 24, 3
	v_ffbh_u32_e32 v24, v14
	v_min_u32_e32 v24, 32, v24
	v_lshrrev_b32_e32 v22, 27, v10
	v_subrev_u32_e32 v25, 28, v24
	v_and_b32_e32 v21, 0x80000000, v10
	v_and_b32_e32 v22, 15, v22
	v_bfe_u32 v23, v10, 27, 4
	v_lshlrev_b32_sdwa v10, v25, v10 dst_sel:DWORD dst_unused:UNUSED_PAD src0_sel:DWORD src1_sel:BYTE_3
	v_sub_u32_e32 v24, 29, v24
	v_and_b32_e32 v10, 7, v10
	v_cmp_eq_u16_e32 vcc, 0, v22
	v_cndmask_b32_e32 v10, v14, v10, vcc
	v_cndmask_b32_e32 v14, v23, v24, vcc
	v_mov_b32_e32 v22, 0x3b800000
	v_lshlrev_b32_e32 v10, 20, v10
	v_lshl_add_u32 v14, v14, 23, v22
	v_or3_b32 v14, v21, v14, v10
.LBB23_1056:
	s_or_b64 exec, exec, s[6:7]
	s_nop 0
	v_mfma_f32_16x16x4f32 a[0:3], v20, v14, a[0:3]
	s_movk_i32 s4, 0x7f
	v_cmp_gt_i16_sdwa s[6:7], v15, s4 src0_sel:BYTE_0 src1_sel:DWORD
	s_mov_b64 s[4:5], 0
                                        ; implicit-def: $sgpr10
	s_and_saveexec_b64 s[8:9], s[6:7]
	s_xor_b64 s[6:7], exec, s[8:9]
	s_cbranch_execnz .LBB23_3105
; %bb.1057:
	s_or_saveexec_b64 s[6:7], s[6:7]
	v_mov_b32_e32 v10, s10
	s_xor_b64 exec, exec, s[6:7]
	s_cbranch_execnz .LBB23_3108
.LBB23_1058:
	s_or_b64 exec, exec, s[6:7]
	s_and_saveexec_b64 s[6:7], s[4:5]
	s_cbranch_execz .LBB23_1060
.LBB23_1059:
	v_and_b32_e32 v10, 7, v15
	v_ffbh_u32_e32 v20, v10
	v_min_u32_e32 v20, 32, v20
	v_lshrrev_b16_e32 v14, 3, v15
	v_subrev_u32_e32 v21, 28, v20
	v_and_b32_e32 v14, 15, v14
	v_lshlrev_b32_e32 v21, v21, v15
	v_sub_u32_e32 v20, 29, v20
	v_and_b32_e32 v21, 7, v21
	v_cmp_eq_u16_e32 vcc, 0, v14
	v_cndmask_b32_e32 v10, v10, v21, vcc
	v_cndmask_b32_e32 v14, v14, v20, vcc
	v_lshlrev_b32_e32 v20, 24, v15
	v_mov_b32_e32 v21, 0x3b800000
	v_lshlrev_b32_e32 v10, 20, v10
	v_and_b32_e32 v20, 0x80000000, v20
	v_lshl_add_u32 v14, v14, 23, v21
	v_or3_b32 v10, v20, v14, v10
.LBB23_1060:
	s_or_b64 exec, exec, s[6:7]
	s_movk_i32 s4, 0x7f
	v_cmp_gt_i16_sdwa s[6:7], v11, s4 src0_sel:BYTE_0 src1_sel:DWORD
	s_mov_b64 s[4:5], 0
                                        ; implicit-def: $sgpr10
	s_and_saveexec_b64 s[8:9], s[6:7]
	s_xor_b64 s[6:7], exec, s[8:9]
	s_cbranch_execnz .LBB23_3109
; %bb.1061:
	s_or_saveexec_b64 s[6:7], s[6:7]
	v_mov_b32_e32 v14, s10
	s_xor_b64 exec, exec, s[6:7]
	s_cbranch_execnz .LBB23_3112
.LBB23_1062:
	s_or_b64 exec, exec, s[6:7]
	s_and_saveexec_b64 s[6:7], s[4:5]
	s_cbranch_execz .LBB23_1064
.LBB23_1063:
	v_and_b32_e32 v14, 7, v11
	v_ffbh_u32_e32 v21, v14
	v_min_u32_e32 v21, 32, v21
	v_lshrrev_b16_e32 v20, 3, v11
	v_subrev_u32_e32 v22, 28, v21
	v_and_b32_e32 v20, 15, v20
	v_lshlrev_b32_e32 v22, v22, v11
	v_sub_u32_e32 v21, 29, v21
	v_and_b32_e32 v22, 7, v22
	v_cmp_eq_u16_e32 vcc, 0, v20
	v_cndmask_b32_e32 v14, v14, v22, vcc
	v_cndmask_b32_e32 v20, v20, v21, vcc
	v_lshlrev_b32_e32 v21, 24, v11
	v_mov_b32_e32 v22, 0x3b800000
	v_lshlrev_b32_e32 v14, 20, v14
	v_and_b32_e32 v21, 0x80000000, v21
	v_lshl_add_u32 v20, v20, 23, v22
	v_or3_b32 v14, v21, v20, v14
.LBB23_1064:
	s_or_b64 exec, exec, s[6:7]
	s_nop 0
	v_mfma_f32_16x16x4f32 a[0:3], v10, v14, a[0:3]
	v_lshrrev_b32_e32 v14, 8, v15
	s_movk_i32 s4, 0x7f
	v_cmp_gt_i16_sdwa s[6:7], v14, s4 src0_sel:BYTE_0 src1_sel:DWORD
	s_mov_b64 s[4:5], 0
                                        ; implicit-def: $sgpr10
	s_and_saveexec_b64 s[8:9], s[6:7]
	s_xor_b64 s[6:7], exec, s[8:9]
	s_cbranch_execnz .LBB23_3113
; %bb.1065:
	s_or_saveexec_b64 s[6:7], s[6:7]
	v_mov_b32_e32 v10, s10
	s_xor_b64 exec, exec, s[6:7]
	s_cbranch_execnz .LBB23_3116
.LBB23_1066:
	s_or_b64 exec, exec, s[6:7]
	s_and_saveexec_b64 s[6:7], s[4:5]
	s_cbranch_execz .LBB23_1068
.LBB23_1067:
	v_bfe_u32 v10, v15, 8, 3
	v_ffbh_u32_e32 v21, v10
	v_min_u32_e32 v21, 32, v21
	v_lshrrev_b16_e32 v20, 3, v14
	v_subrev_u32_e32 v22, 28, v21
	v_and_b32_e32 v20, 15, v20
	v_lshlrev_b32_e32 v14, v22, v14
	v_sub_u32_e32 v21, 29, v21
	v_and_b32_e32 v14, 7, v14
	v_cmp_eq_u16_e32 vcc, 0, v20
	v_cndmask_b32_e32 v10, v10, v14, vcc
	v_cndmask_b32_e32 v14, v20, v21, vcc
	v_lshlrev_b32_e32 v20, 16, v15
	v_mov_b32_e32 v21, 0x3b800000
	v_lshlrev_b32_e32 v10, 20, v10
	v_and_b32_e32 v20, 0x80000000, v20
	v_lshl_add_u32 v14, v14, 23, v21
	v_or3_b32 v10, v20, v14, v10
.LBB23_1068:
	s_or_b64 exec, exec, s[6:7]
	v_lshrrev_b32_e32 v14, 8, v11
	s_movk_i32 s4, 0x7f
	v_cmp_gt_i16_sdwa s[6:7], v14, s4 src0_sel:BYTE_0 src1_sel:DWORD
	s_mov_b64 s[4:5], 0
                                        ; implicit-def: $sgpr10
	s_and_saveexec_b64 s[8:9], s[6:7]
	s_xor_b64 s[6:7], exec, s[8:9]
	s_cbranch_execnz .LBB23_3117
; %bb.1069:
	s_or_saveexec_b64 s[6:7], s[6:7]
	v_mov_b32_e32 v20, s10
	s_xor_b64 exec, exec, s[6:7]
	s_cbranch_execnz .LBB23_3120
.LBB23_1070:
	s_or_b64 exec, exec, s[6:7]
	s_and_saveexec_b64 s[6:7], s[4:5]
	s_cbranch_execz .LBB23_1072
.LBB23_1071:
	v_bfe_u32 v20, v11, 8, 3
	v_ffbh_u32_e32 v22, v20
	v_min_u32_e32 v22, 32, v22
	v_lshrrev_b16_e32 v21, 3, v14
	v_subrev_u32_e32 v23, 28, v22
	v_and_b32_e32 v21, 15, v21
	v_lshlrev_b32_e32 v14, v23, v14
	v_sub_u32_e32 v22, 29, v22
	v_and_b32_e32 v14, 7, v14
	v_cmp_eq_u16_e32 vcc, 0, v21
	v_cndmask_b32_e32 v14, v20, v14, vcc
	v_cndmask_b32_e32 v20, v21, v22, vcc
	v_lshlrev_b32_e32 v21, 16, v11
	v_mov_b32_e32 v22, 0x3b800000
	v_lshlrev_b32_e32 v14, 20, v14
	v_and_b32_e32 v21, 0x80000000, v21
	v_lshl_add_u32 v20, v20, 23, v22
	v_or3_b32 v20, v21, v20, v14
.LBB23_1072:
	s_or_b64 exec, exec, s[6:7]
	s_nop 0
	v_mfma_f32_16x16x4f32 a[0:3], v10, v20, a[0:3]
	s_movk_i32 s4, 0xff
	v_and_b32_sdwa v14, v15, s4 dst_sel:DWORD dst_unused:UNUSED_PAD src0_sel:WORD_1 src1_sel:DWORD
	s_movk_i32 s4, 0x7f
	v_cmp_lt_i16_e32 vcc, s4, v14
	s_mov_b64 s[4:5], 0
                                        ; implicit-def: $sgpr10
	s_and_saveexec_b64 s[6:7], vcc
	s_xor_b64 s[6:7], exec, s[6:7]
	s_cbranch_execnz .LBB23_3121
; %bb.1073:
	s_or_saveexec_b64 s[6:7], s[6:7]
	v_mov_b32_e32 v10, s10
	s_xor_b64 exec, exec, s[6:7]
	s_cbranch_execnz .LBB23_3124
.LBB23_1074:
	s_or_b64 exec, exec, s[6:7]
	s_and_saveexec_b64 s[6:7], s[4:5]
	s_cbranch_execz .LBB23_1076
.LBB23_1075:
	v_bfe_u32 v10, v15, 16, 3
	v_ffbh_u32_e32 v21, v10
	v_min_u32_e32 v21, 32, v21
	v_lshrrev_b32_e32 v14, 19, v15
	v_subrev_u32_e32 v22, 28, v21
	v_and_b32_e32 v14, 15, v14
	v_lshlrev_b32_sdwa v22, v22, v15 dst_sel:DWORD dst_unused:UNUSED_PAD src0_sel:DWORD src1_sel:WORD_1
	v_bfe_u32 v20, v15, 19, 4
	v_sub_u32_e32 v21, 29, v21
	v_and_b32_e32 v22, 7, v22
	v_cmp_eq_u16_e32 vcc, 0, v14
	v_cndmask_b32_e32 v10, v10, v22, vcc
	v_cndmask_b32_e32 v14, v20, v21, vcc
	v_lshlrev_b32_e32 v20, 8, v15
	v_mov_b32_e32 v21, 0x3b800000
	v_lshlrev_b32_e32 v10, 20, v10
	v_and_b32_e32 v20, 0x80000000, v20
	v_lshl_add_u32 v14, v14, 23, v21
	v_or3_b32 v10, v20, v14, v10
.LBB23_1076:
	s_or_b64 exec, exec, s[6:7]
	s_movk_i32 s4, 0xff
	v_and_b32_sdwa v14, v11, s4 dst_sel:DWORD dst_unused:UNUSED_PAD src0_sel:WORD_1 src1_sel:DWORD
	s_movk_i32 s4, 0x7f
	v_cmp_lt_i16_e32 vcc, s4, v14
	s_mov_b64 s[4:5], 0
                                        ; implicit-def: $sgpr10
	s_and_saveexec_b64 s[6:7], vcc
	s_xor_b64 s[6:7], exec, s[6:7]
	s_cbranch_execnz .LBB23_3125
; %bb.1077:
	s_or_saveexec_b64 s[6:7], s[6:7]
	v_mov_b32_e32 v20, s10
	s_xor_b64 exec, exec, s[6:7]
	s_cbranch_execnz .LBB23_3128
.LBB23_1078:
	s_or_b64 exec, exec, s[6:7]
	s_and_saveexec_b64 s[6:7], s[4:5]
	s_cbranch_execz .LBB23_1080
.LBB23_1079:
	v_bfe_u32 v14, v11, 16, 3
	v_ffbh_u32_e32 v22, v14
	v_min_u32_e32 v22, 32, v22
	v_lshrrev_b32_e32 v20, 19, v11
	v_subrev_u32_e32 v23, 28, v22
	v_and_b32_e32 v20, 15, v20
	v_lshlrev_b32_sdwa v23, v23, v11 dst_sel:DWORD dst_unused:UNUSED_PAD src0_sel:DWORD src1_sel:WORD_1
	v_bfe_u32 v21, v11, 19, 4
	v_sub_u32_e32 v22, 29, v22
	v_and_b32_e32 v23, 7, v23
	v_cmp_eq_u16_e32 vcc, 0, v20
	v_cndmask_b32_e32 v14, v14, v23, vcc
	v_cndmask_b32_e32 v20, v21, v22, vcc
	v_lshlrev_b32_e32 v21, 8, v11
	v_mov_b32_e32 v22, 0x3b800000
	v_lshlrev_b32_e32 v14, 20, v14
	v_and_b32_e32 v21, 0x80000000, v21
	v_lshl_add_u32 v20, v20, 23, v22
	v_or3_b32 v20, v21, v20, v14
.LBB23_1080:
	s_or_b64 exec, exec, s[6:7]
	s_nop 0
	v_mfma_f32_16x16x4f32 a[0:3], v10, v20, a[0:3]
	s_movk_i32 s4, 0x7f
	v_cmp_gt_i16_sdwa s[6:7], v15, s4 src0_sel:BYTE_3 src1_sel:DWORD
	s_mov_b64 s[4:5], 0
                                        ; implicit-def: $sgpr10
	s_and_saveexec_b64 s[8:9], s[6:7]
	s_xor_b64 s[6:7], exec, s[8:9]
	s_cbranch_execnz .LBB23_3129
; %bb.1081:
	s_or_saveexec_b64 s[6:7], s[6:7]
	v_mov_b32_e32 v10, s10
	s_xor_b64 exec, exec, s[6:7]
	s_cbranch_execnz .LBB23_3132
.LBB23_1082:
	s_or_b64 exec, exec, s[6:7]
	s_and_saveexec_b64 s[6:7], s[4:5]
	s_cbranch_execz .LBB23_1084
.LBB23_1083:
	v_bfe_u32 v10, v15, 24, 3
	v_ffbh_u32_e32 v22, v10
	v_min_u32_e32 v22, 32, v22
	v_lshrrev_b32_e32 v20, 27, v15
	v_subrev_u32_e32 v23, 28, v22
	v_and_b32_e32 v14, 0x80000000, v15
	v_and_b32_e32 v20, 15, v20
	v_bfe_u32 v21, v15, 27, 4
	v_lshlrev_b32_sdwa v15, v23, v15 dst_sel:DWORD dst_unused:UNUSED_PAD src0_sel:DWORD src1_sel:BYTE_3
	v_sub_u32_e32 v22, 29, v22
	v_and_b32_e32 v15, 7, v15
	v_cmp_eq_u16_e32 vcc, 0, v20
	v_cndmask_b32_e32 v10, v10, v15, vcc
	v_cndmask_b32_e32 v15, v21, v22, vcc
	v_mov_b32_e32 v20, 0x3b800000
	v_lshlrev_b32_e32 v10, 20, v10
	v_lshl_add_u32 v15, v15, 23, v20
	v_or3_b32 v10, v14, v15, v10
.LBB23_1084:
	s_or_b64 exec, exec, s[6:7]
	s_movk_i32 s4, 0x7f
	v_cmp_gt_i16_sdwa s[6:7], v11, s4 src0_sel:BYTE_3 src1_sel:DWORD
	s_mov_b64 s[4:5], 0
                                        ; implicit-def: $sgpr10
	s_and_saveexec_b64 s[8:9], s[6:7]
	s_xor_b64 s[6:7], exec, s[8:9]
	s_cbranch_execnz .LBB23_3133
; %bb.1085:
	s_or_saveexec_b64 s[6:7], s[6:7]
	v_mov_b32_e32 v14, s10
	s_xor_b64 exec, exec, s[6:7]
	s_cbranch_execnz .LBB23_3136
.LBB23_1086:
	s_or_b64 exec, exec, s[6:7]
	s_and_saveexec_b64 s[6:7], s[4:5]
	s_cbranch_execz .LBB23_1088
.LBB23_1087:
	v_bfe_u32 v14, v11, 24, 3
	v_ffbh_u32_e32 v22, v14
	v_min_u32_e32 v22, 32, v22
	v_lshrrev_b32_e32 v20, 27, v11
	v_subrev_u32_e32 v23, 28, v22
	v_and_b32_e32 v15, 0x80000000, v11
	v_and_b32_e32 v20, 15, v20
	v_bfe_u32 v21, v11, 27, 4
	v_lshlrev_b32_sdwa v11, v23, v11 dst_sel:DWORD dst_unused:UNUSED_PAD src0_sel:DWORD src1_sel:BYTE_3
	v_sub_u32_e32 v22, 29, v22
	v_and_b32_e32 v11, 7, v11
	v_cmp_eq_u16_e32 vcc, 0, v20
	v_cndmask_b32_e32 v11, v14, v11, vcc
	v_cndmask_b32_e32 v14, v21, v22, vcc
	v_mov_b32_e32 v20, 0x3b800000
	v_lshlrev_b32_e32 v11, 20, v11
	v_lshl_add_u32 v14, v14, 23, v20
	v_or3_b32 v14, v15, v14, v11
.LBB23_1088:
	s_or_b64 exec, exec, s[6:7]
	s_nop 0
	v_mfma_f32_16x16x4f32 a[0:3], v10, v14, a[0:3]
	s_movk_i32 s4, 0x7f
	v_cmp_gt_i16_sdwa s[6:7], v16, s4 src0_sel:BYTE_0 src1_sel:DWORD
	s_mov_b64 s[4:5], 0
                                        ; implicit-def: $sgpr10
	s_and_saveexec_b64 s[8:9], s[6:7]
	s_xor_b64 s[6:7], exec, s[8:9]
	s_cbranch_execnz .LBB23_3137
; %bb.1089:
	s_or_saveexec_b64 s[6:7], s[6:7]
	v_mov_b32_e32 v10, s10
	s_xor_b64 exec, exec, s[6:7]
	s_cbranch_execnz .LBB23_3140
.LBB23_1090:
	s_or_b64 exec, exec, s[6:7]
	s_and_saveexec_b64 s[6:7], s[4:5]
	s_cbranch_execz .LBB23_1092
.LBB23_1091:
	v_and_b32_e32 v10, 7, v16
	v_ffbh_u32_e32 v14, v10
	v_min_u32_e32 v14, 32, v14
	v_lshrrev_b16_e32 v11, 3, v16
	v_subrev_u32_e32 v15, 28, v14
	v_and_b32_e32 v11, 15, v11
	v_lshlrev_b32_e32 v15, v15, v16
	v_sub_u32_e32 v14, 29, v14
	v_and_b32_e32 v15, 7, v15
	v_cmp_eq_u16_e32 vcc, 0, v11
	v_cndmask_b32_e32 v10, v10, v15, vcc
	v_cndmask_b32_e32 v11, v11, v14, vcc
	v_lshlrev_b32_e32 v14, 24, v16
	v_mov_b32_e32 v15, 0x3b800000
	v_lshlrev_b32_e32 v10, 20, v10
	v_and_b32_e32 v14, 0x80000000, v14
	v_lshl_add_u32 v11, v11, 23, v15
	v_or3_b32 v10, v14, v11, v10
.LBB23_1092:
	s_or_b64 exec, exec, s[6:7]
	s_movk_i32 s4, 0x7f
	v_cmp_gt_i16_sdwa s[6:7], v12, s4 src0_sel:BYTE_0 src1_sel:DWORD
	s_mov_b64 s[4:5], 0
                                        ; implicit-def: $sgpr10
	s_and_saveexec_b64 s[8:9], s[6:7]
	s_xor_b64 s[6:7], exec, s[8:9]
	s_cbranch_execnz .LBB23_3141
; %bb.1093:
	s_or_saveexec_b64 s[6:7], s[6:7]
	v_mov_b32_e32 v11, s10
	s_xor_b64 exec, exec, s[6:7]
	s_cbranch_execnz .LBB23_3144
.LBB23_1094:
	s_or_b64 exec, exec, s[6:7]
	s_and_saveexec_b64 s[6:7], s[4:5]
	s_cbranch_execz .LBB23_1096
.LBB23_1095:
	v_and_b32_e32 v11, 7, v12
	v_ffbh_u32_e32 v15, v11
	v_min_u32_e32 v15, 32, v15
	v_lshrrev_b16_e32 v14, 3, v12
	v_subrev_u32_e32 v20, 28, v15
	v_and_b32_e32 v14, 15, v14
	v_lshlrev_b32_e32 v20, v20, v12
	v_sub_u32_e32 v15, 29, v15
	v_and_b32_e32 v20, 7, v20
	v_cmp_eq_u16_e32 vcc, 0, v14
	v_cndmask_b32_e32 v11, v11, v20, vcc
	v_cndmask_b32_e32 v14, v14, v15, vcc
	v_lshlrev_b32_e32 v15, 24, v12
	v_mov_b32_e32 v20, 0x3b800000
	v_lshlrev_b32_e32 v11, 20, v11
	v_and_b32_e32 v15, 0x80000000, v15
	v_lshl_add_u32 v14, v14, 23, v20
	v_or3_b32 v11, v15, v14, v11
.LBB23_1096:
	s_or_b64 exec, exec, s[6:7]
	s_nop 0
	v_mfma_f32_16x16x4f32 a[0:3], v10, v11, a[0:3]
	v_lshrrev_b32_e32 v11, 8, v16
	s_movk_i32 s4, 0x7f
	v_cmp_gt_i16_sdwa s[6:7], v11, s4 src0_sel:BYTE_0 src1_sel:DWORD
	s_mov_b64 s[4:5], 0
                                        ; implicit-def: $sgpr10
	s_and_saveexec_b64 s[8:9], s[6:7]
	s_xor_b64 s[6:7], exec, s[8:9]
	s_cbranch_execnz .LBB23_3145
; %bb.1097:
	s_or_saveexec_b64 s[6:7], s[6:7]
	v_mov_b32_e32 v10, s10
	s_xor_b64 exec, exec, s[6:7]
	s_cbranch_execnz .LBB23_3148
.LBB23_1098:
	s_or_b64 exec, exec, s[6:7]
	s_and_saveexec_b64 s[6:7], s[4:5]
	s_cbranch_execz .LBB23_1100
.LBB23_1099:
	v_bfe_u32 v10, v16, 8, 3
	v_ffbh_u32_e32 v15, v10
	v_min_u32_e32 v15, 32, v15
	v_lshrrev_b16_e32 v14, 3, v11
	v_subrev_u32_e32 v20, 28, v15
	v_and_b32_e32 v14, 15, v14
	v_lshlrev_b32_e32 v11, v20, v11
	v_sub_u32_e32 v15, 29, v15
	v_and_b32_e32 v11, 7, v11
	v_cmp_eq_u16_e32 vcc, 0, v14
	v_cndmask_b32_e32 v10, v10, v11, vcc
	v_cndmask_b32_e32 v11, v14, v15, vcc
	v_lshlrev_b32_e32 v14, 16, v16
	v_mov_b32_e32 v15, 0x3b800000
	v_lshlrev_b32_e32 v10, 20, v10
	v_and_b32_e32 v14, 0x80000000, v14
	v_lshl_add_u32 v11, v11, 23, v15
	v_or3_b32 v10, v14, v11, v10
.LBB23_1100:
	s_or_b64 exec, exec, s[6:7]
	v_lshrrev_b32_e32 v11, 8, v12
	s_movk_i32 s4, 0x7f
	v_cmp_gt_i16_sdwa s[6:7], v11, s4 src0_sel:BYTE_0 src1_sel:DWORD
	s_mov_b64 s[4:5], 0
                                        ; implicit-def: $sgpr10
	s_and_saveexec_b64 s[8:9], s[6:7]
	s_xor_b64 s[6:7], exec, s[8:9]
	s_cbranch_execnz .LBB23_3149
; %bb.1101:
	s_or_saveexec_b64 s[6:7], s[6:7]
	v_mov_b32_e32 v14, s10
	s_xor_b64 exec, exec, s[6:7]
	s_cbranch_execnz .LBB23_3152
.LBB23_1102:
	s_or_b64 exec, exec, s[6:7]
	s_and_saveexec_b64 s[6:7], s[4:5]
	s_cbranch_execz .LBB23_1104
.LBB23_1103:
	v_bfe_u32 v14, v12, 8, 3
	v_ffbh_u32_e32 v20, v14
	v_min_u32_e32 v20, 32, v20
	v_lshrrev_b16_e32 v15, 3, v11
	v_subrev_u32_e32 v21, 28, v20
	v_and_b32_e32 v15, 15, v15
	v_lshlrev_b32_e32 v11, v21, v11
	v_sub_u32_e32 v20, 29, v20
	v_and_b32_e32 v11, 7, v11
	v_cmp_eq_u16_e32 vcc, 0, v15
	v_cndmask_b32_e32 v11, v14, v11, vcc
	v_cndmask_b32_e32 v14, v15, v20, vcc
	v_lshlrev_b32_e32 v15, 16, v12
	v_mov_b32_e32 v20, 0x3b800000
	v_lshlrev_b32_e32 v11, 20, v11
	v_and_b32_e32 v15, 0x80000000, v15
	v_lshl_add_u32 v14, v14, 23, v20
	v_or3_b32 v14, v15, v14, v11
.LBB23_1104:
	s_or_b64 exec, exec, s[6:7]
	s_nop 0
	v_mfma_f32_16x16x4f32 a[0:3], v10, v14, a[0:3]
	s_movk_i32 s4, 0xff
	v_and_b32_sdwa v11, v16, s4 dst_sel:DWORD dst_unused:UNUSED_PAD src0_sel:WORD_1 src1_sel:DWORD
	s_movk_i32 s4, 0x7f
	v_cmp_lt_i16_e32 vcc, s4, v11
	s_mov_b64 s[4:5], 0
                                        ; implicit-def: $sgpr10
	s_and_saveexec_b64 s[6:7], vcc
	s_xor_b64 s[6:7], exec, s[6:7]
	s_cbranch_execnz .LBB23_3153
; %bb.1105:
	s_or_saveexec_b64 s[6:7], s[6:7]
	v_mov_b32_e32 v10, s10
	s_xor_b64 exec, exec, s[6:7]
	s_cbranch_execnz .LBB23_3156
.LBB23_1106:
	s_or_b64 exec, exec, s[6:7]
	s_and_saveexec_b64 s[6:7], s[4:5]
	s_cbranch_execz .LBB23_1108
.LBB23_1107:
	v_bfe_u32 v10, v16, 16, 3
	v_ffbh_u32_e32 v15, v10
	v_min_u32_e32 v15, 32, v15
	v_lshrrev_b32_e32 v11, 19, v16
	v_subrev_u32_e32 v20, 28, v15
	v_and_b32_e32 v11, 15, v11
	v_lshlrev_b32_sdwa v20, v20, v16 dst_sel:DWORD dst_unused:UNUSED_PAD src0_sel:DWORD src1_sel:WORD_1
	v_bfe_u32 v14, v16, 19, 4
	v_sub_u32_e32 v15, 29, v15
	v_and_b32_e32 v20, 7, v20
	v_cmp_eq_u16_e32 vcc, 0, v11
	v_cndmask_b32_e32 v10, v10, v20, vcc
	v_cndmask_b32_e32 v11, v14, v15, vcc
	v_lshlrev_b32_e32 v14, 8, v16
	v_mov_b32_e32 v15, 0x3b800000
	v_lshlrev_b32_e32 v10, 20, v10
	v_and_b32_e32 v14, 0x80000000, v14
	v_lshl_add_u32 v11, v11, 23, v15
	v_or3_b32 v10, v14, v11, v10
.LBB23_1108:
	s_or_b64 exec, exec, s[6:7]
	s_movk_i32 s4, 0xff
	v_and_b32_sdwa v11, v12, s4 dst_sel:DWORD dst_unused:UNUSED_PAD src0_sel:WORD_1 src1_sel:DWORD
	s_movk_i32 s4, 0x7f
	v_cmp_lt_i16_e32 vcc, s4, v11
	s_mov_b64 s[4:5], 0
                                        ; implicit-def: $sgpr10
	s_and_saveexec_b64 s[6:7], vcc
	s_xor_b64 s[6:7], exec, s[6:7]
	s_cbranch_execnz .LBB23_3157
; %bb.1109:
	s_or_saveexec_b64 s[6:7], s[6:7]
	v_mov_b32_e32 v14, s10
	s_xor_b64 exec, exec, s[6:7]
	s_cbranch_execnz .LBB23_3160
.LBB23_1110:
	s_or_b64 exec, exec, s[6:7]
	s_and_saveexec_b64 s[6:7], s[4:5]
	s_cbranch_execz .LBB23_1112
.LBB23_1111:
	v_bfe_u32 v11, v12, 16, 3
	v_ffbh_u32_e32 v20, v11
	v_min_u32_e32 v20, 32, v20
	v_lshrrev_b32_e32 v14, 19, v12
	v_subrev_u32_e32 v21, 28, v20
	v_and_b32_e32 v14, 15, v14
	v_lshlrev_b32_sdwa v21, v21, v12 dst_sel:DWORD dst_unused:UNUSED_PAD src0_sel:DWORD src1_sel:WORD_1
	v_bfe_u32 v15, v12, 19, 4
	v_sub_u32_e32 v20, 29, v20
	v_and_b32_e32 v21, 7, v21
	v_cmp_eq_u16_e32 vcc, 0, v14
	v_cndmask_b32_e32 v11, v11, v21, vcc
	v_cndmask_b32_e32 v14, v15, v20, vcc
	v_lshlrev_b32_e32 v15, 8, v12
	v_mov_b32_e32 v20, 0x3b800000
	v_lshlrev_b32_e32 v11, 20, v11
	v_and_b32_e32 v15, 0x80000000, v15
	v_lshl_add_u32 v14, v14, 23, v20
	v_or3_b32 v14, v15, v14, v11
.LBB23_1112:
	s_or_b64 exec, exec, s[6:7]
	s_nop 0
	v_mfma_f32_16x16x4f32 a[0:3], v10, v14, a[0:3]
	s_movk_i32 s4, 0x7f
	v_cmp_gt_i16_sdwa s[6:7], v16, s4 src0_sel:BYTE_3 src1_sel:DWORD
	s_mov_b64 s[4:5], 0
                                        ; implicit-def: $sgpr10
	s_and_saveexec_b64 s[8:9], s[6:7]
	s_xor_b64 s[6:7], exec, s[8:9]
	s_cbranch_execnz .LBB23_3161
; %bb.1113:
	s_or_saveexec_b64 s[6:7], s[6:7]
	v_mov_b32_e32 v10, s10
	s_xor_b64 exec, exec, s[6:7]
	s_cbranch_execnz .LBB23_3164
.LBB23_1114:
	s_or_b64 exec, exec, s[6:7]
	s_and_saveexec_b64 s[6:7], s[4:5]
	s_cbranch_execz .LBB23_1116
.LBB23_1115:
	v_bfe_u32 v10, v16, 24, 3
	v_ffbh_u32_e32 v20, v10
	v_min_u32_e32 v20, 32, v20
	v_lshrrev_b32_e32 v14, 27, v16
	v_subrev_u32_e32 v21, 28, v20
	v_and_b32_e32 v11, 0x80000000, v16
	v_and_b32_e32 v14, 15, v14
	v_bfe_u32 v15, v16, 27, 4
	v_lshlrev_b32_sdwa v16, v21, v16 dst_sel:DWORD dst_unused:UNUSED_PAD src0_sel:DWORD src1_sel:BYTE_3
	v_sub_u32_e32 v20, 29, v20
	v_and_b32_e32 v16, 7, v16
	v_cmp_eq_u16_e32 vcc, 0, v14
	v_cndmask_b32_e32 v10, v10, v16, vcc
	v_cndmask_b32_e32 v14, v15, v20, vcc
	v_mov_b32_e32 v15, 0x3b800000
	v_lshlrev_b32_e32 v10, 20, v10
	v_lshl_add_u32 v14, v14, 23, v15
	v_or3_b32 v10, v11, v14, v10
.LBB23_1116:
	s_or_b64 exec, exec, s[6:7]
	s_movk_i32 s4, 0x7f
	v_cmp_gt_i16_sdwa s[6:7], v12, s4 src0_sel:BYTE_3 src1_sel:DWORD
	s_mov_b64 s[4:5], 0
                                        ; implicit-def: $sgpr10
	s_and_saveexec_b64 s[8:9], s[6:7]
	s_xor_b64 s[6:7], exec, s[8:9]
	s_cbranch_execnz .LBB23_3165
; %bb.1117:
	s_or_saveexec_b64 s[6:7], s[6:7]
	v_mov_b32_e32 v11, s10
	s_xor_b64 exec, exec, s[6:7]
	s_cbranch_execnz .LBB23_3168
.LBB23_1118:
	s_or_b64 exec, exec, s[6:7]
	s_and_saveexec_b64 s[6:7], s[4:5]
	s_cbranch_execz .LBB23_1120
.LBB23_1119:
	v_bfe_u32 v11, v12, 24, 3
	v_ffbh_u32_e32 v20, v11
	v_min_u32_e32 v20, 32, v20
	v_lshrrev_b32_e32 v15, 27, v12
	v_subrev_u32_e32 v21, 28, v20
	v_and_b32_e32 v14, 0x80000000, v12
	v_and_b32_e32 v15, 15, v15
	v_bfe_u32 v16, v12, 27, 4
	v_lshlrev_b32_sdwa v12, v21, v12 dst_sel:DWORD dst_unused:UNUSED_PAD src0_sel:DWORD src1_sel:BYTE_3
	v_sub_u32_e32 v20, 29, v20
	v_and_b32_e32 v12, 7, v12
	v_cmp_eq_u16_e32 vcc, 0, v15
	v_cndmask_b32_e32 v11, v11, v12, vcc
	v_cndmask_b32_e32 v12, v16, v20, vcc
	v_mov_b32_e32 v15, 0x3b800000
	v_lshlrev_b32_e32 v11, 20, v11
	v_lshl_add_u32 v12, v12, 23, v15
	v_or3_b32 v11, v14, v12, v11
.LBB23_1120:
	s_or_b64 exec, exec, s[6:7]
	s_nop 0
	v_mfma_f32_16x16x4f32 a[0:3], v10, v11, a[0:3]
	s_movk_i32 s4, 0x7f
	v_cmp_gt_i16_sdwa s[6:7], v17, s4 src0_sel:BYTE_0 src1_sel:DWORD
	s_mov_b64 s[4:5], 0
                                        ; implicit-def: $sgpr10
	s_and_saveexec_b64 s[8:9], s[6:7]
	s_xor_b64 s[6:7], exec, s[8:9]
	s_cbranch_execnz .LBB23_3169
; %bb.1121:
	s_or_saveexec_b64 s[6:7], s[6:7]
	v_mov_b32_e32 v10, s10
	s_xor_b64 exec, exec, s[6:7]
	s_cbranch_execnz .LBB23_3172
.LBB23_1122:
	s_or_b64 exec, exec, s[6:7]
	s_and_saveexec_b64 s[6:7], s[4:5]
	s_cbranch_execz .LBB23_1124
.LBB23_1123:
	v_and_b32_e32 v10, 7, v17
	v_ffbh_u32_e32 v12, v10
	v_min_u32_e32 v12, 32, v12
	v_lshrrev_b16_e32 v11, 3, v17
	v_subrev_u32_e32 v14, 28, v12
	v_and_b32_e32 v11, 15, v11
	v_lshlrev_b32_e32 v14, v14, v17
	v_sub_u32_e32 v12, 29, v12
	v_and_b32_e32 v14, 7, v14
	v_cmp_eq_u16_e32 vcc, 0, v11
	v_cndmask_b32_e32 v10, v10, v14, vcc
	v_cndmask_b32_e32 v11, v11, v12, vcc
	v_lshlrev_b32_e32 v12, 24, v17
	v_mov_b32_e32 v14, 0x3b800000
	v_lshlrev_b32_e32 v10, 20, v10
	v_and_b32_e32 v12, 0x80000000, v12
	v_lshl_add_u32 v11, v11, 23, v14
	v_or3_b32 v10, v12, v11, v10
.LBB23_1124:
	s_or_b64 exec, exec, s[6:7]
	s_movk_i32 s4, 0x7f
	v_cmp_gt_i16_sdwa s[6:7], v13, s4 src0_sel:BYTE_0 src1_sel:DWORD
	s_mov_b64 s[4:5], 0
                                        ; implicit-def: $sgpr10
	s_and_saveexec_b64 s[8:9], s[6:7]
	s_xor_b64 s[6:7], exec, s[8:9]
	s_cbranch_execnz .LBB23_3173
; %bb.1125:
	s_or_saveexec_b64 s[6:7], s[6:7]
	v_mov_b32_e32 v11, s10
	s_xor_b64 exec, exec, s[6:7]
	s_cbranch_execnz .LBB23_3176
.LBB23_1126:
	s_or_b64 exec, exec, s[6:7]
	s_and_saveexec_b64 s[6:7], s[4:5]
	s_cbranch_execz .LBB23_1128
.LBB23_1127:
	v_and_b32_e32 v11, 7, v13
	v_ffbh_u32_e32 v14, v11
	v_min_u32_e32 v14, 32, v14
	v_lshrrev_b16_e32 v12, 3, v13
	v_subrev_u32_e32 v15, 28, v14
	v_and_b32_e32 v12, 15, v12
	v_lshlrev_b32_e32 v15, v15, v13
	v_sub_u32_e32 v14, 29, v14
	v_and_b32_e32 v15, 7, v15
	v_cmp_eq_u16_e32 vcc, 0, v12
	v_cndmask_b32_e32 v11, v11, v15, vcc
	v_cndmask_b32_e32 v12, v12, v14, vcc
	v_lshlrev_b32_e32 v14, 24, v13
	v_mov_b32_e32 v15, 0x3b800000
	v_lshlrev_b32_e32 v11, 20, v11
	v_and_b32_e32 v14, 0x80000000, v14
	v_lshl_add_u32 v12, v12, 23, v15
	v_or3_b32 v11, v14, v12, v11
.LBB23_1128:
	s_or_b64 exec, exec, s[6:7]
	s_nop 0
	v_mfma_f32_16x16x4f32 a[0:3], v10, v11, a[0:3]
	v_lshrrev_b32_e32 v11, 8, v17
	s_movk_i32 s4, 0x7f
	v_cmp_gt_i16_sdwa s[6:7], v11, s4 src0_sel:BYTE_0 src1_sel:DWORD
	s_mov_b64 s[4:5], 0
                                        ; implicit-def: $sgpr10
	s_and_saveexec_b64 s[8:9], s[6:7]
	s_xor_b64 s[6:7], exec, s[8:9]
	s_cbranch_execnz .LBB23_3177
; %bb.1129:
	s_or_saveexec_b64 s[6:7], s[6:7]
	v_mov_b32_e32 v10, s10
	s_xor_b64 exec, exec, s[6:7]
	s_cbranch_execnz .LBB23_3180
.LBB23_1130:
	s_or_b64 exec, exec, s[6:7]
	s_and_saveexec_b64 s[6:7], s[4:5]
	s_cbranch_execz .LBB23_1132
.LBB23_1131:
	v_bfe_u32 v10, v17, 8, 3
	v_ffbh_u32_e32 v14, v10
	v_min_u32_e32 v14, 32, v14
	v_lshrrev_b16_e32 v12, 3, v11
	v_subrev_u32_e32 v15, 28, v14
	v_and_b32_e32 v12, 15, v12
	v_lshlrev_b32_e32 v11, v15, v11
	v_sub_u32_e32 v14, 29, v14
	v_and_b32_e32 v11, 7, v11
	v_cmp_eq_u16_e32 vcc, 0, v12
	v_cndmask_b32_e32 v10, v10, v11, vcc
	v_cndmask_b32_e32 v11, v12, v14, vcc
	v_lshlrev_b32_e32 v12, 16, v17
	v_mov_b32_e32 v14, 0x3b800000
	v_lshlrev_b32_e32 v10, 20, v10
	v_and_b32_e32 v12, 0x80000000, v12
	v_lshl_add_u32 v11, v11, 23, v14
	v_or3_b32 v10, v12, v11, v10
.LBB23_1132:
	s_or_b64 exec, exec, s[6:7]
	v_lshrrev_b32_e32 v11, 8, v13
	s_movk_i32 s4, 0x7f
	v_cmp_gt_i16_sdwa s[6:7], v11, s4 src0_sel:BYTE_0 src1_sel:DWORD
	s_mov_b64 s[4:5], 0
                                        ; implicit-def: $sgpr10
	s_and_saveexec_b64 s[8:9], s[6:7]
	s_xor_b64 s[6:7], exec, s[8:9]
	s_cbranch_execnz .LBB23_3181
; %bb.1133:
	s_or_saveexec_b64 s[6:7], s[6:7]
	v_mov_b32_e32 v12, s10
	s_xor_b64 exec, exec, s[6:7]
	s_cbranch_execnz .LBB23_3184
.LBB23_1134:
	s_or_b64 exec, exec, s[6:7]
	s_and_saveexec_b64 s[6:7], s[4:5]
	s_cbranch_execz .LBB23_1136
.LBB23_1135:
	v_bfe_u32 v12, v13, 8, 3
	v_ffbh_u32_e32 v15, v12
	v_min_u32_e32 v15, 32, v15
	v_lshrrev_b16_e32 v14, 3, v11
	v_subrev_u32_e32 v16, 28, v15
	v_and_b32_e32 v14, 15, v14
	v_lshlrev_b32_e32 v11, v16, v11
	v_sub_u32_e32 v15, 29, v15
	v_and_b32_e32 v11, 7, v11
	v_cmp_eq_u16_e32 vcc, 0, v14
	v_cndmask_b32_e32 v11, v12, v11, vcc
	v_cndmask_b32_e32 v12, v14, v15, vcc
	v_lshlrev_b32_e32 v14, 16, v13
	v_mov_b32_e32 v15, 0x3b800000
	v_lshlrev_b32_e32 v11, 20, v11
	v_and_b32_e32 v14, 0x80000000, v14
	v_lshl_add_u32 v12, v12, 23, v15
	v_or3_b32 v12, v14, v12, v11
.LBB23_1136:
	s_or_b64 exec, exec, s[6:7]
	s_nop 0
	v_mfma_f32_16x16x4f32 a[0:3], v10, v12, a[0:3]
	s_movk_i32 s4, 0xff
	v_and_b32_sdwa v11, v17, s4 dst_sel:DWORD dst_unused:UNUSED_PAD src0_sel:WORD_1 src1_sel:DWORD
	s_movk_i32 s4, 0x7f
	v_cmp_lt_i16_e32 vcc, s4, v11
	s_mov_b64 s[4:5], 0
                                        ; implicit-def: $sgpr10
	s_and_saveexec_b64 s[6:7], vcc
	s_xor_b64 s[6:7], exec, s[6:7]
	s_cbranch_execnz .LBB23_3185
; %bb.1137:
	s_or_saveexec_b64 s[6:7], s[6:7]
	v_mov_b32_e32 v10, s10
	s_xor_b64 exec, exec, s[6:7]
	s_cbranch_execnz .LBB23_3188
.LBB23_1138:
	s_or_b64 exec, exec, s[6:7]
	s_and_saveexec_b64 s[6:7], s[4:5]
	s_cbranch_execz .LBB23_1140
.LBB23_1139:
	v_bfe_u32 v10, v17, 16, 3
	v_ffbh_u32_e32 v14, v10
	v_min_u32_e32 v14, 32, v14
	v_lshrrev_b32_e32 v11, 19, v17
	v_subrev_u32_e32 v15, 28, v14
	v_and_b32_e32 v11, 15, v11
	v_lshlrev_b32_sdwa v15, v15, v17 dst_sel:DWORD dst_unused:UNUSED_PAD src0_sel:DWORD src1_sel:WORD_1
	v_bfe_u32 v12, v17, 19, 4
	v_sub_u32_e32 v14, 29, v14
	v_and_b32_e32 v15, 7, v15
	v_cmp_eq_u16_e32 vcc, 0, v11
	v_cndmask_b32_e32 v10, v10, v15, vcc
	v_cndmask_b32_e32 v11, v12, v14, vcc
	v_lshlrev_b32_e32 v12, 8, v17
	v_mov_b32_e32 v14, 0x3b800000
	v_lshlrev_b32_e32 v10, 20, v10
	v_and_b32_e32 v12, 0x80000000, v12
	v_lshl_add_u32 v11, v11, 23, v14
	v_or3_b32 v10, v12, v11, v10
.LBB23_1140:
	s_or_b64 exec, exec, s[6:7]
	s_movk_i32 s4, 0xff
	v_and_b32_sdwa v11, v13, s4 dst_sel:DWORD dst_unused:UNUSED_PAD src0_sel:WORD_1 src1_sel:DWORD
	s_movk_i32 s4, 0x7f
	v_cmp_lt_i16_e32 vcc, s4, v11
	s_mov_b64 s[4:5], 0
                                        ; implicit-def: $sgpr10
	s_and_saveexec_b64 s[6:7], vcc
	s_xor_b64 s[6:7], exec, s[6:7]
	s_cbranch_execnz .LBB23_3189
; %bb.1141:
	s_or_saveexec_b64 s[6:7], s[6:7]
	v_mov_b32_e32 v12, s10
	s_xor_b64 exec, exec, s[6:7]
	s_cbranch_execnz .LBB23_3192
.LBB23_1142:
	s_or_b64 exec, exec, s[6:7]
	s_and_saveexec_b64 s[6:7], s[4:5]
	s_cbranch_execz .LBB23_1144
.LBB23_1143:
	v_bfe_u32 v11, v13, 16, 3
	v_ffbh_u32_e32 v15, v11
	v_min_u32_e32 v15, 32, v15
	v_lshrrev_b32_e32 v12, 19, v13
	v_subrev_u32_e32 v16, 28, v15
	v_and_b32_e32 v12, 15, v12
	v_lshlrev_b32_sdwa v16, v16, v13 dst_sel:DWORD dst_unused:UNUSED_PAD src0_sel:DWORD src1_sel:WORD_1
	v_bfe_u32 v14, v13, 19, 4
	v_sub_u32_e32 v15, 29, v15
	v_and_b32_e32 v16, 7, v16
	v_cmp_eq_u16_e32 vcc, 0, v12
	v_cndmask_b32_e32 v11, v11, v16, vcc
	v_cndmask_b32_e32 v12, v14, v15, vcc
	v_lshlrev_b32_e32 v14, 8, v13
	v_mov_b32_e32 v15, 0x3b800000
	v_lshlrev_b32_e32 v11, 20, v11
	v_and_b32_e32 v14, 0x80000000, v14
	v_lshl_add_u32 v12, v12, 23, v15
	v_or3_b32 v12, v14, v12, v11
.LBB23_1144:
	s_or_b64 exec, exec, s[6:7]
	s_nop 0
	v_mfma_f32_16x16x4f32 a[0:3], v10, v12, a[0:3]
	s_movk_i32 s4, 0x7f
	v_cmp_gt_i16_sdwa s[6:7], v17, s4 src0_sel:BYTE_3 src1_sel:DWORD
	s_mov_b64 s[4:5], 0
                                        ; implicit-def: $sgpr10
	s_and_saveexec_b64 s[8:9], s[6:7]
	s_xor_b64 s[6:7], exec, s[8:9]
	s_cbranch_execnz .LBB23_3193
; %bb.1145:
	s_or_saveexec_b64 s[6:7], s[6:7]
	v_mov_b32_e32 v10, s10
	s_xor_b64 exec, exec, s[6:7]
	s_cbranch_execnz .LBB23_3196
.LBB23_1146:
	s_or_b64 exec, exec, s[6:7]
	s_and_saveexec_b64 s[6:7], s[4:5]
	s_cbranch_execz .LBB23_1148
.LBB23_1147:
	v_bfe_u32 v10, v17, 24, 3
	v_ffbh_u32_e32 v15, v10
	v_min_u32_e32 v15, 32, v15
	v_lshrrev_b32_e32 v12, 27, v17
	v_subrev_u32_e32 v16, 28, v15
	v_and_b32_e32 v12, 15, v12
	v_lshlrev_b32_sdwa v16, v16, v17 dst_sel:DWORD dst_unused:UNUSED_PAD src0_sel:DWORD src1_sel:BYTE_3
	v_bfe_u32 v14, v17, 27, 4
	v_sub_u32_e32 v15, 29, v15
	v_and_b32_e32 v16, 7, v16
	v_cmp_eq_u16_e32 vcc, 0, v12
	v_cndmask_b32_e32 v10, v10, v16, vcc
	v_cndmask_b32_e32 v12, v14, v15, vcc
	v_mov_b32_e32 v14, 0x3b800000
	v_and_b32_e32 v11, 0x80000000, v17
	v_lshlrev_b32_e32 v10, 20, v10
	v_lshl_add_u32 v12, v12, 23, v14
	v_or3_b32 v10, v11, v12, v10
.LBB23_1148:
	s_or_b64 exec, exec, s[6:7]
	s_movk_i32 s4, 0x7f
	v_cmp_gt_i16_sdwa s[6:7], v13, s4 src0_sel:BYTE_3 src1_sel:DWORD
	s_mov_b64 s[4:5], 0
                                        ; implicit-def: $sgpr10
	s_and_saveexec_b64 s[8:9], s[6:7]
	s_xor_b64 s[6:7], exec, s[8:9]
	s_cbranch_execnz .LBB23_3197
; %bb.1149:
	s_or_saveexec_b64 s[6:7], s[6:7]
	v_mov_b32_e32 v11, s10
	s_xor_b64 exec, exec, s[6:7]
	s_cbranch_execnz .LBB23_3200
.LBB23_1150:
	s_or_b64 exec, exec, s[6:7]
	s_and_saveexec_b64 s[6:7], s[4:5]
	s_cbranch_execz .LBB23_1152
.LBB23_1151:
	v_bfe_u32 v11, v13, 24, 3
	v_ffbh_u32_e32 v16, v11
	v_min_u32_e32 v16, 32, v16
	v_lshrrev_b32_e32 v14, 27, v13
	v_subrev_u32_e32 v17, 28, v16
	v_and_b32_e32 v12, 0x80000000, v13
	v_and_b32_e32 v14, 15, v14
	v_bfe_u32 v15, v13, 27, 4
	v_lshlrev_b32_sdwa v13, v17, v13 dst_sel:DWORD dst_unused:UNUSED_PAD src0_sel:DWORD src1_sel:BYTE_3
	v_sub_u32_e32 v16, 29, v16
	v_and_b32_e32 v13, 7, v13
	v_cmp_eq_u16_e32 vcc, 0, v14
	v_cndmask_b32_e32 v11, v11, v13, vcc
	v_cndmask_b32_e32 v13, v15, v16, vcc
	v_mov_b32_e32 v14, 0x3b800000
	v_lshlrev_b32_e32 v11, 20, v11
	v_lshl_add_u32 v13, v13, 23, v14
	v_or3_b32 v11, v12, v13, v11
.LBB23_1152:
	s_or_b64 exec, exec, s[6:7]
	s_nop 0
	v_mfma_f32_16x16x4f32 a[0:3], v10, v11, a[0:3]
	s_movk_i32 s4, 0x7f
	v_cmp_gt_i16_sdwa s[6:7], v6, s4 src0_sel:BYTE_0 src1_sel:DWORD
	s_mov_b64 s[4:5], 0
                                        ; implicit-def: $sgpr10
	s_and_saveexec_b64 s[8:9], s[6:7]
	s_xor_b64 s[6:7], exec, s[8:9]
	s_cbranch_execnz .LBB23_3201
; %bb.1153:
	s_or_saveexec_b64 s[6:7], s[6:7]
	v_mov_b32_e32 v10, s10
	s_xor_b64 exec, exec, s[6:7]
	s_cbranch_execnz .LBB23_3204
.LBB23_1154:
	s_or_b64 exec, exec, s[6:7]
	s_and_saveexec_b64 s[6:7], s[4:5]
	s_cbranch_execz .LBB23_1156
.LBB23_1155:
	v_and_b32_e32 v10, 7, v6
	v_ffbh_u32_e32 v12, v10
	v_min_u32_e32 v12, 32, v12
	v_lshrrev_b16_e32 v11, 3, v6
	v_subrev_u32_e32 v13, 28, v12
	v_and_b32_e32 v11, 15, v11
	v_lshlrev_b32_e32 v13, v13, v6
	v_sub_u32_e32 v12, 29, v12
	v_and_b32_e32 v13, 7, v13
	v_cmp_eq_u16_e32 vcc, 0, v11
	v_cndmask_b32_e32 v10, v10, v13, vcc
	v_cndmask_b32_e32 v11, v11, v12, vcc
	v_lshlrev_b32_e32 v12, 24, v6
	v_mov_b32_e32 v13, 0x3b800000
	v_lshlrev_b32_e32 v10, 20, v10
	v_and_b32_e32 v12, 0x80000000, v12
	v_lshl_add_u32 v11, v11, 23, v13
	v_or3_b32 v10, v12, v11, v10
.LBB23_1156:
	s_or_b64 exec, exec, s[6:7]
	s_movk_i32 s4, 0x7f
	v_cmp_gt_i16_sdwa s[6:7], v2, s4 src0_sel:BYTE_0 src1_sel:DWORD
	s_mov_b64 s[4:5], 0
                                        ; implicit-def: $sgpr10
	s_and_saveexec_b64 s[8:9], s[6:7]
	s_xor_b64 s[6:7], exec, s[8:9]
	s_cbranch_execnz .LBB23_3205
; %bb.1157:
	s_or_saveexec_b64 s[6:7], s[6:7]
	v_mov_b32_e32 v11, s10
	s_xor_b64 exec, exec, s[6:7]
	s_cbranch_execnz .LBB23_3208
.LBB23_1158:
	s_or_b64 exec, exec, s[6:7]
	s_and_saveexec_b64 s[6:7], s[4:5]
	s_cbranch_execz .LBB23_1160
.LBB23_1159:
	v_and_b32_e32 v11, 7, v2
	v_ffbh_u32_e32 v13, v11
	v_min_u32_e32 v13, 32, v13
	v_lshrrev_b16_e32 v12, 3, v2
	v_subrev_u32_e32 v14, 28, v13
	v_and_b32_e32 v12, 15, v12
	v_lshlrev_b32_e32 v14, v14, v2
	v_sub_u32_e32 v13, 29, v13
	v_and_b32_e32 v14, 7, v14
	v_cmp_eq_u16_e32 vcc, 0, v12
	v_cndmask_b32_e32 v11, v11, v14, vcc
	v_cndmask_b32_e32 v12, v12, v13, vcc
	v_lshlrev_b32_e32 v13, 24, v2
	v_mov_b32_e32 v14, 0x3b800000
	v_lshlrev_b32_e32 v11, 20, v11
	v_and_b32_e32 v13, 0x80000000, v13
	v_lshl_add_u32 v12, v12, 23, v14
	v_or3_b32 v11, v13, v12, v11
.LBB23_1160:
	s_or_b64 exec, exec, s[6:7]
	s_nop 0
	v_mfma_f32_16x16x4f32 a[0:3], v10, v11, a[0:3]
	v_lshrrev_b32_e32 v11, 8, v6
	s_movk_i32 s4, 0x7f
	v_cmp_gt_i16_sdwa s[6:7], v11, s4 src0_sel:BYTE_0 src1_sel:DWORD
	s_mov_b64 s[4:5], 0
                                        ; implicit-def: $sgpr10
	s_and_saveexec_b64 s[8:9], s[6:7]
	s_xor_b64 s[6:7], exec, s[8:9]
	s_cbranch_execnz .LBB23_3209
; %bb.1161:
	s_or_saveexec_b64 s[6:7], s[6:7]
	v_mov_b32_e32 v10, s10
	s_xor_b64 exec, exec, s[6:7]
	s_cbranch_execnz .LBB23_3212
.LBB23_1162:
	s_or_b64 exec, exec, s[6:7]
	s_and_saveexec_b64 s[6:7], s[4:5]
	s_cbranch_execz .LBB23_1164
.LBB23_1163:
	v_bfe_u32 v10, v6, 8, 3
	v_ffbh_u32_e32 v13, v10
	v_min_u32_e32 v13, 32, v13
	v_lshrrev_b16_e32 v12, 3, v11
	v_subrev_u32_e32 v14, 28, v13
	v_and_b32_e32 v12, 15, v12
	v_lshlrev_b32_e32 v11, v14, v11
	v_sub_u32_e32 v13, 29, v13
	v_and_b32_e32 v11, 7, v11
	v_cmp_eq_u16_e32 vcc, 0, v12
	v_cndmask_b32_e32 v10, v10, v11, vcc
	v_cndmask_b32_e32 v11, v12, v13, vcc
	v_lshlrev_b32_e32 v12, 16, v6
	v_mov_b32_e32 v13, 0x3b800000
	v_lshlrev_b32_e32 v10, 20, v10
	v_and_b32_e32 v12, 0x80000000, v12
	v_lshl_add_u32 v11, v11, 23, v13
	v_or3_b32 v10, v12, v11, v10
.LBB23_1164:
	s_or_b64 exec, exec, s[6:7]
	v_lshrrev_b32_e32 v11, 8, v2
	s_movk_i32 s4, 0x7f
	v_cmp_gt_i16_sdwa s[6:7], v11, s4 src0_sel:BYTE_0 src1_sel:DWORD
	s_mov_b64 s[4:5], 0
                                        ; implicit-def: $sgpr10
	s_and_saveexec_b64 s[8:9], s[6:7]
	s_xor_b64 s[6:7], exec, s[8:9]
	s_cbranch_execnz .LBB23_3213
; %bb.1165:
	s_or_saveexec_b64 s[6:7], s[6:7]
	v_mov_b32_e32 v12, s10
	s_xor_b64 exec, exec, s[6:7]
	s_cbranch_execnz .LBB23_3216
.LBB23_1166:
	s_or_b64 exec, exec, s[6:7]
	s_and_saveexec_b64 s[6:7], s[4:5]
	s_cbranch_execz .LBB23_1168
.LBB23_1167:
	v_bfe_u32 v12, v2, 8, 3
	v_ffbh_u32_e32 v14, v12
	v_min_u32_e32 v14, 32, v14
	v_lshrrev_b16_e32 v13, 3, v11
	v_subrev_u32_e32 v15, 28, v14
	v_and_b32_e32 v13, 15, v13
	v_lshlrev_b32_e32 v11, v15, v11
	v_sub_u32_e32 v14, 29, v14
	v_and_b32_e32 v11, 7, v11
	v_cmp_eq_u16_e32 vcc, 0, v13
	v_cndmask_b32_e32 v11, v12, v11, vcc
	v_cndmask_b32_e32 v12, v13, v14, vcc
	v_lshlrev_b32_e32 v13, 16, v2
	v_mov_b32_e32 v14, 0x3b800000
	v_lshlrev_b32_e32 v11, 20, v11
	v_and_b32_e32 v13, 0x80000000, v13
	v_lshl_add_u32 v12, v12, 23, v14
	v_or3_b32 v12, v13, v12, v11
.LBB23_1168:
	s_or_b64 exec, exec, s[6:7]
	s_nop 0
	v_mfma_f32_16x16x4f32 a[0:3], v10, v12, a[0:3]
	s_movk_i32 s4, 0xff
	v_and_b32_sdwa v11, v6, s4 dst_sel:DWORD dst_unused:UNUSED_PAD src0_sel:WORD_1 src1_sel:DWORD
	s_movk_i32 s4, 0x7f
	v_cmp_lt_i16_e32 vcc, s4, v11
	s_mov_b64 s[4:5], 0
                                        ; implicit-def: $sgpr10
	s_and_saveexec_b64 s[6:7], vcc
	s_xor_b64 s[6:7], exec, s[6:7]
	s_cbranch_execnz .LBB23_3217
; %bb.1169:
	s_or_saveexec_b64 s[6:7], s[6:7]
	v_mov_b32_e32 v10, s10
	s_xor_b64 exec, exec, s[6:7]
	s_cbranch_execnz .LBB23_3220
.LBB23_1170:
	s_or_b64 exec, exec, s[6:7]
	s_and_saveexec_b64 s[6:7], s[4:5]
	s_cbranch_execz .LBB23_1172
.LBB23_1171:
	v_bfe_u32 v10, v6, 16, 3
	v_ffbh_u32_e32 v13, v10
	v_min_u32_e32 v13, 32, v13
	v_lshrrev_b32_e32 v11, 19, v6
	v_subrev_u32_e32 v14, 28, v13
	v_and_b32_e32 v11, 15, v11
	v_lshlrev_b32_sdwa v14, v14, v6 dst_sel:DWORD dst_unused:UNUSED_PAD src0_sel:DWORD src1_sel:WORD_1
	v_bfe_u32 v12, v6, 19, 4
	v_sub_u32_e32 v13, 29, v13
	v_and_b32_e32 v14, 7, v14
	v_cmp_eq_u16_e32 vcc, 0, v11
	v_cndmask_b32_e32 v10, v10, v14, vcc
	v_cndmask_b32_e32 v11, v12, v13, vcc
	v_lshlrev_b32_e32 v12, 8, v6
	v_mov_b32_e32 v13, 0x3b800000
	v_lshlrev_b32_e32 v10, 20, v10
	v_and_b32_e32 v12, 0x80000000, v12
	v_lshl_add_u32 v11, v11, 23, v13
	v_or3_b32 v10, v12, v11, v10
.LBB23_1172:
	s_or_b64 exec, exec, s[6:7]
	s_movk_i32 s4, 0xff
	v_and_b32_sdwa v11, v2, s4 dst_sel:DWORD dst_unused:UNUSED_PAD src0_sel:WORD_1 src1_sel:DWORD
	s_movk_i32 s4, 0x7f
	v_cmp_lt_i16_e32 vcc, s4, v11
	s_mov_b64 s[4:5], 0
                                        ; implicit-def: $sgpr10
	s_and_saveexec_b64 s[6:7], vcc
	s_xor_b64 s[6:7], exec, s[6:7]
	s_cbranch_execnz .LBB23_3221
; %bb.1173:
	s_or_saveexec_b64 s[6:7], s[6:7]
	v_mov_b32_e32 v12, s10
	s_xor_b64 exec, exec, s[6:7]
	s_cbranch_execnz .LBB23_3224
.LBB23_1174:
	s_or_b64 exec, exec, s[6:7]
	s_and_saveexec_b64 s[6:7], s[4:5]
	s_cbranch_execz .LBB23_1176
.LBB23_1175:
	v_bfe_u32 v11, v2, 16, 3
	v_ffbh_u32_e32 v14, v11
	v_min_u32_e32 v14, 32, v14
	v_lshrrev_b32_e32 v12, 19, v2
	v_subrev_u32_e32 v15, 28, v14
	v_and_b32_e32 v12, 15, v12
	v_lshlrev_b32_sdwa v15, v15, v2 dst_sel:DWORD dst_unused:UNUSED_PAD src0_sel:DWORD src1_sel:WORD_1
	v_bfe_u32 v13, v2, 19, 4
	v_sub_u32_e32 v14, 29, v14
	v_and_b32_e32 v15, 7, v15
	v_cmp_eq_u16_e32 vcc, 0, v12
	v_cndmask_b32_e32 v11, v11, v15, vcc
	v_cndmask_b32_e32 v12, v13, v14, vcc
	v_lshlrev_b32_e32 v13, 8, v2
	v_mov_b32_e32 v14, 0x3b800000
	v_lshlrev_b32_e32 v11, 20, v11
	v_and_b32_e32 v13, 0x80000000, v13
	v_lshl_add_u32 v12, v12, 23, v14
	v_or3_b32 v12, v13, v12, v11
.LBB23_1176:
	s_or_b64 exec, exec, s[6:7]
	s_nop 0
	v_mfma_f32_16x16x4f32 a[0:3], v10, v12, a[0:3]
	s_movk_i32 s4, 0x7f
	v_cmp_gt_i16_sdwa s[6:7], v6, s4 src0_sel:BYTE_3 src1_sel:DWORD
	s_mov_b64 s[4:5], 0
                                        ; implicit-def: $sgpr10
	s_and_saveexec_b64 s[8:9], s[6:7]
	s_xor_b64 s[6:7], exec, s[8:9]
	s_cbranch_execnz .LBB23_3225
; %bb.1177:
	s_or_saveexec_b64 s[6:7], s[6:7]
	v_mov_b32_e32 v10, s10
	s_xor_b64 exec, exec, s[6:7]
	s_cbranch_execnz .LBB23_3228
.LBB23_1178:
	s_or_b64 exec, exec, s[6:7]
	s_and_saveexec_b64 s[6:7], s[4:5]
	s_cbranch_execz .LBB23_1180
.LBB23_1179:
	v_bfe_u32 v10, v6, 24, 3
	v_ffbh_u32_e32 v14, v10
	v_min_u32_e32 v14, 32, v14
	v_lshrrev_b32_e32 v12, 27, v6
	v_subrev_u32_e32 v15, 28, v14
	v_and_b32_e32 v11, 0x80000000, v6
	v_and_b32_e32 v12, 15, v12
	v_bfe_u32 v13, v6, 27, 4
	v_lshlrev_b32_sdwa v6, v15, v6 dst_sel:DWORD dst_unused:UNUSED_PAD src0_sel:DWORD src1_sel:BYTE_3
	v_sub_u32_e32 v14, 29, v14
	v_and_b32_e32 v6, 7, v6
	v_cmp_eq_u16_e32 vcc, 0, v12
	v_cndmask_b32_e32 v6, v10, v6, vcc
	v_cndmask_b32_e32 v10, v13, v14, vcc
	v_mov_b32_e32 v12, 0x3b800000
	v_lshlrev_b32_e32 v6, 20, v6
	v_lshl_add_u32 v10, v10, 23, v12
	v_or3_b32 v10, v11, v10, v6
.LBB23_1180:
	s_or_b64 exec, exec, s[6:7]
	s_movk_i32 s4, 0x7f
	v_cmp_gt_i16_sdwa s[6:7], v2, s4 src0_sel:BYTE_3 src1_sel:DWORD
	s_mov_b64 s[4:5], 0
                                        ; implicit-def: $sgpr10
	s_and_saveexec_b64 s[8:9], s[6:7]
	s_xor_b64 s[6:7], exec, s[8:9]
	s_cbranch_execnz .LBB23_3229
; %bb.1181:
	s_or_saveexec_b64 s[6:7], s[6:7]
	v_mov_b32_e32 v6, s10
	s_xor_b64 exec, exec, s[6:7]
	s_cbranch_execnz .LBB23_3232
.LBB23_1182:
	s_or_b64 exec, exec, s[6:7]
	s_and_saveexec_b64 s[6:7], s[4:5]
	s_cbranch_execz .LBB23_1184
.LBB23_1183:
	v_bfe_u32 v6, v2, 24, 3
	v_ffbh_u32_e32 v14, v6
	v_min_u32_e32 v14, 32, v14
	v_lshrrev_b32_e32 v12, 27, v2
	v_subrev_u32_e32 v15, 28, v14
	v_and_b32_e32 v11, 0x80000000, v2
	v_and_b32_e32 v12, 15, v12
	v_bfe_u32 v13, v2, 27, 4
	v_lshlrev_b32_sdwa v2, v15, v2 dst_sel:DWORD dst_unused:UNUSED_PAD src0_sel:DWORD src1_sel:BYTE_3
	v_sub_u32_e32 v14, 29, v14
	v_and_b32_e32 v2, 7, v2
	v_cmp_eq_u16_e32 vcc, 0, v12
	v_cndmask_b32_e32 v2, v6, v2, vcc
	v_cndmask_b32_e32 v6, v13, v14, vcc
	v_mov_b32_e32 v12, 0x3b800000
	v_lshlrev_b32_e32 v2, 20, v2
	v_lshl_add_u32 v6, v6, 23, v12
	v_or3_b32 v6, v11, v6, v2
.LBB23_1184:
	s_or_b64 exec, exec, s[6:7]
	s_nop 0
	v_mfma_f32_16x16x4f32 a[0:3], v10, v6, a[0:3]
	s_movk_i32 s4, 0x7f
	v_cmp_gt_i16_sdwa s[6:7], v7, s4 src0_sel:BYTE_0 src1_sel:DWORD
	s_mov_b64 s[4:5], 0
                                        ; implicit-def: $sgpr10
	s_and_saveexec_b64 s[8:9], s[6:7]
	s_xor_b64 s[6:7], exec, s[8:9]
	s_cbranch_execnz .LBB23_3233
; %bb.1185:
	s_or_saveexec_b64 s[6:7], s[6:7]
	v_mov_b32_e32 v2, s10
	s_xor_b64 exec, exec, s[6:7]
	s_cbranch_execnz .LBB23_3236
.LBB23_1186:
	s_or_b64 exec, exec, s[6:7]
	s_and_saveexec_b64 s[6:7], s[4:5]
	s_cbranch_execz .LBB23_1188
.LBB23_1187:
	v_and_b32_e32 v2, 7, v7
	v_ffbh_u32_e32 v10, v2
	v_min_u32_e32 v10, 32, v10
	v_lshrrev_b16_e32 v6, 3, v7
	v_subrev_u32_e32 v11, 28, v10
	v_and_b32_e32 v6, 15, v6
	v_lshlrev_b32_e32 v11, v11, v7
	v_sub_u32_e32 v10, 29, v10
	v_and_b32_e32 v11, 7, v11
	v_cmp_eq_u16_e32 vcc, 0, v6
	v_cndmask_b32_e32 v2, v2, v11, vcc
	v_cndmask_b32_e32 v6, v6, v10, vcc
	v_lshlrev_b32_e32 v10, 24, v7
	v_mov_b32_e32 v11, 0x3b800000
	v_lshlrev_b32_e32 v2, 20, v2
	v_and_b32_e32 v10, 0x80000000, v10
	v_lshl_add_u32 v6, v6, 23, v11
	v_or3_b32 v2, v10, v6, v2
.LBB23_1188:
	s_or_b64 exec, exec, s[6:7]
	s_movk_i32 s4, 0x7f
	v_cmp_gt_i16_sdwa s[6:7], v3, s4 src0_sel:BYTE_0 src1_sel:DWORD
	s_mov_b64 s[4:5], 0
                                        ; implicit-def: $sgpr10
	s_and_saveexec_b64 s[8:9], s[6:7]
	s_xor_b64 s[6:7], exec, s[8:9]
	s_cbranch_execnz .LBB23_3237
; %bb.1189:
	s_or_saveexec_b64 s[6:7], s[6:7]
	v_mov_b32_e32 v6, s10
	s_xor_b64 exec, exec, s[6:7]
	s_cbranch_execnz .LBB23_3240
.LBB23_1190:
	s_or_b64 exec, exec, s[6:7]
	s_and_saveexec_b64 s[6:7], s[4:5]
	s_cbranch_execz .LBB23_1192
.LBB23_1191:
	v_and_b32_e32 v6, 7, v3
	v_ffbh_u32_e32 v11, v6
	v_min_u32_e32 v11, 32, v11
	v_lshrrev_b16_e32 v10, 3, v3
	v_subrev_u32_e32 v12, 28, v11
	v_and_b32_e32 v10, 15, v10
	v_lshlrev_b32_e32 v12, v12, v3
	v_sub_u32_e32 v11, 29, v11
	v_and_b32_e32 v12, 7, v12
	v_cmp_eq_u16_e32 vcc, 0, v10
	v_cndmask_b32_e32 v6, v6, v12, vcc
	v_cndmask_b32_e32 v10, v10, v11, vcc
	v_lshlrev_b32_e32 v11, 24, v3
	v_mov_b32_e32 v12, 0x3b800000
	v_lshlrev_b32_e32 v6, 20, v6
	v_and_b32_e32 v11, 0x80000000, v11
	v_lshl_add_u32 v10, v10, 23, v12
	v_or3_b32 v6, v11, v10, v6
.LBB23_1192:
	s_or_b64 exec, exec, s[6:7]
	s_nop 0
	v_mfma_f32_16x16x4f32 a[0:3], v2, v6, a[0:3]
	v_lshrrev_b32_e32 v6, 8, v7
	s_movk_i32 s4, 0x7f
	v_cmp_gt_i16_sdwa s[6:7], v6, s4 src0_sel:BYTE_0 src1_sel:DWORD
	s_mov_b64 s[4:5], 0
                                        ; implicit-def: $sgpr10
	s_and_saveexec_b64 s[8:9], s[6:7]
	s_xor_b64 s[6:7], exec, s[8:9]
	s_cbranch_execnz .LBB23_3241
; %bb.1193:
	s_or_saveexec_b64 s[6:7], s[6:7]
	v_mov_b32_e32 v2, s10
	s_xor_b64 exec, exec, s[6:7]
	s_cbranch_execnz .LBB23_3244
.LBB23_1194:
	s_or_b64 exec, exec, s[6:7]
	s_and_saveexec_b64 s[6:7], s[4:5]
	s_cbranch_execz .LBB23_1196
.LBB23_1195:
	v_bfe_u32 v2, v7, 8, 3
	v_ffbh_u32_e32 v11, v2
	v_min_u32_e32 v11, 32, v11
	v_lshrrev_b16_e32 v10, 3, v6
	v_subrev_u32_e32 v12, 28, v11
	v_and_b32_e32 v10, 15, v10
	v_lshlrev_b32_e32 v6, v12, v6
	v_sub_u32_e32 v11, 29, v11
	v_and_b32_e32 v6, 7, v6
	v_cmp_eq_u16_e32 vcc, 0, v10
	v_cndmask_b32_e32 v2, v2, v6, vcc
	v_cndmask_b32_e32 v6, v10, v11, vcc
	v_lshlrev_b32_e32 v10, 16, v7
	v_mov_b32_e32 v11, 0x3b800000
	v_lshlrev_b32_e32 v2, 20, v2
	v_and_b32_e32 v10, 0x80000000, v10
	v_lshl_add_u32 v6, v6, 23, v11
	v_or3_b32 v2, v10, v6, v2
.LBB23_1196:
	s_or_b64 exec, exec, s[6:7]
	v_lshrrev_b32_e32 v6, 8, v3
	s_movk_i32 s4, 0x7f
	v_cmp_gt_i16_sdwa s[6:7], v6, s4 src0_sel:BYTE_0 src1_sel:DWORD
	s_mov_b64 s[4:5], 0
                                        ; implicit-def: $sgpr10
	s_and_saveexec_b64 s[8:9], s[6:7]
	s_xor_b64 s[6:7], exec, s[8:9]
	s_cbranch_execnz .LBB23_3245
; %bb.1197:
	s_or_saveexec_b64 s[6:7], s[6:7]
	v_mov_b32_e32 v10, s10
	s_xor_b64 exec, exec, s[6:7]
	s_cbranch_execnz .LBB23_3248
.LBB23_1198:
	s_or_b64 exec, exec, s[6:7]
	s_and_saveexec_b64 s[6:7], s[4:5]
	s_cbranch_execz .LBB23_1200
.LBB23_1199:
	v_bfe_u32 v10, v3, 8, 3
	v_ffbh_u32_e32 v12, v10
	v_min_u32_e32 v12, 32, v12
	v_lshrrev_b16_e32 v11, 3, v6
	v_subrev_u32_e32 v13, 28, v12
	v_and_b32_e32 v11, 15, v11
	v_lshlrev_b32_e32 v6, v13, v6
	v_sub_u32_e32 v12, 29, v12
	v_and_b32_e32 v6, 7, v6
	v_cmp_eq_u16_e32 vcc, 0, v11
	v_cndmask_b32_e32 v6, v10, v6, vcc
	v_cndmask_b32_e32 v10, v11, v12, vcc
	v_lshlrev_b32_e32 v11, 16, v3
	v_mov_b32_e32 v12, 0x3b800000
	v_lshlrev_b32_e32 v6, 20, v6
	v_and_b32_e32 v11, 0x80000000, v11
	v_lshl_add_u32 v10, v10, 23, v12
	v_or3_b32 v10, v11, v10, v6
.LBB23_1200:
	s_or_b64 exec, exec, s[6:7]
	s_nop 0
	v_mfma_f32_16x16x4f32 a[0:3], v2, v10, a[0:3]
	s_movk_i32 s4, 0xff
	v_and_b32_sdwa v6, v7, s4 dst_sel:DWORD dst_unused:UNUSED_PAD src0_sel:WORD_1 src1_sel:DWORD
	s_movk_i32 s4, 0x7f
	v_cmp_lt_i16_e32 vcc, s4, v6
	s_mov_b64 s[4:5], 0
                                        ; implicit-def: $sgpr10
	s_and_saveexec_b64 s[6:7], vcc
	s_xor_b64 s[6:7], exec, s[6:7]
	s_cbranch_execnz .LBB23_3249
; %bb.1201:
	s_or_saveexec_b64 s[6:7], s[6:7]
	v_mov_b32_e32 v2, s10
	s_xor_b64 exec, exec, s[6:7]
	s_cbranch_execnz .LBB23_3252
.LBB23_1202:
	s_or_b64 exec, exec, s[6:7]
	s_and_saveexec_b64 s[6:7], s[4:5]
	s_cbranch_execz .LBB23_1204
.LBB23_1203:
	v_bfe_u32 v2, v7, 16, 3
	v_ffbh_u32_e32 v11, v2
	v_min_u32_e32 v11, 32, v11
	v_lshrrev_b32_e32 v6, 19, v7
	v_subrev_u32_e32 v12, 28, v11
	v_and_b32_e32 v6, 15, v6
	v_lshlrev_b32_sdwa v12, v12, v7 dst_sel:DWORD dst_unused:UNUSED_PAD src0_sel:DWORD src1_sel:WORD_1
	v_bfe_u32 v10, v7, 19, 4
	v_sub_u32_e32 v11, 29, v11
	v_and_b32_e32 v12, 7, v12
	v_cmp_eq_u16_e32 vcc, 0, v6
	v_cndmask_b32_e32 v2, v2, v12, vcc
	v_cndmask_b32_e32 v6, v10, v11, vcc
	v_lshlrev_b32_e32 v10, 8, v7
	v_mov_b32_e32 v11, 0x3b800000
	v_lshlrev_b32_e32 v2, 20, v2
	v_and_b32_e32 v10, 0x80000000, v10
	v_lshl_add_u32 v6, v6, 23, v11
	v_or3_b32 v2, v10, v6, v2
.LBB23_1204:
	s_or_b64 exec, exec, s[6:7]
	s_movk_i32 s4, 0xff
	v_and_b32_sdwa v6, v3, s4 dst_sel:DWORD dst_unused:UNUSED_PAD src0_sel:WORD_1 src1_sel:DWORD
	s_movk_i32 s4, 0x7f
	v_cmp_lt_i16_e32 vcc, s4, v6
	s_mov_b64 s[4:5], 0
                                        ; implicit-def: $sgpr10
	s_and_saveexec_b64 s[6:7], vcc
	s_xor_b64 s[6:7], exec, s[6:7]
	s_cbranch_execnz .LBB23_3253
; %bb.1205:
	s_or_saveexec_b64 s[6:7], s[6:7]
	v_mov_b32_e32 v10, s10
	s_xor_b64 exec, exec, s[6:7]
	s_cbranch_execnz .LBB23_3256
.LBB23_1206:
	s_or_b64 exec, exec, s[6:7]
	s_and_saveexec_b64 s[6:7], s[4:5]
	s_cbranch_execz .LBB23_1208
.LBB23_1207:
	v_bfe_u32 v6, v3, 16, 3
	v_ffbh_u32_e32 v12, v6
	v_min_u32_e32 v12, 32, v12
	v_lshrrev_b32_e32 v10, 19, v3
	v_subrev_u32_e32 v13, 28, v12
	v_and_b32_e32 v10, 15, v10
	v_lshlrev_b32_sdwa v13, v13, v3 dst_sel:DWORD dst_unused:UNUSED_PAD src0_sel:DWORD src1_sel:WORD_1
	v_bfe_u32 v11, v3, 19, 4
	v_sub_u32_e32 v12, 29, v12
	v_and_b32_e32 v13, 7, v13
	v_cmp_eq_u16_e32 vcc, 0, v10
	v_cndmask_b32_e32 v6, v6, v13, vcc
	v_cndmask_b32_e32 v10, v11, v12, vcc
	v_lshlrev_b32_e32 v11, 8, v3
	v_mov_b32_e32 v12, 0x3b800000
	v_lshlrev_b32_e32 v6, 20, v6
	v_and_b32_e32 v11, 0x80000000, v11
	v_lshl_add_u32 v10, v10, 23, v12
	v_or3_b32 v10, v11, v10, v6
.LBB23_1208:
	s_or_b64 exec, exec, s[6:7]
	s_nop 0
	v_mfma_f32_16x16x4f32 a[0:3], v2, v10, a[0:3]
	s_movk_i32 s4, 0x7f
	v_cmp_gt_i16_sdwa s[6:7], v7, s4 src0_sel:BYTE_3 src1_sel:DWORD
	s_mov_b64 s[4:5], 0
                                        ; implicit-def: $sgpr10
	s_and_saveexec_b64 s[8:9], s[6:7]
	s_xor_b64 s[6:7], exec, s[8:9]
	s_cbranch_execnz .LBB23_3257
; %bb.1209:
	s_or_saveexec_b64 s[6:7], s[6:7]
	v_mov_b32_e32 v2, s10
	s_xor_b64 exec, exec, s[6:7]
	s_cbranch_execnz .LBB23_3260
.LBB23_1210:
	s_or_b64 exec, exec, s[6:7]
	s_and_saveexec_b64 s[6:7], s[4:5]
	s_cbranch_execz .LBB23_1212
.LBB23_1211:
	v_bfe_u32 v2, v7, 24, 3
	v_ffbh_u32_e32 v12, v2
	v_min_u32_e32 v12, 32, v12
	v_lshrrev_b32_e32 v10, 27, v7
	v_subrev_u32_e32 v13, 28, v12
	v_and_b32_e32 v6, 0x80000000, v7
	v_and_b32_e32 v10, 15, v10
	v_bfe_u32 v11, v7, 27, 4
	v_lshlrev_b32_sdwa v7, v13, v7 dst_sel:DWORD dst_unused:UNUSED_PAD src0_sel:DWORD src1_sel:BYTE_3
	v_sub_u32_e32 v12, 29, v12
	v_and_b32_e32 v7, 7, v7
	v_cmp_eq_u16_e32 vcc, 0, v10
	v_cndmask_b32_e32 v2, v2, v7, vcc
	v_cndmask_b32_e32 v7, v11, v12, vcc
	v_mov_b32_e32 v10, 0x3b800000
	v_lshlrev_b32_e32 v2, 20, v2
	v_lshl_add_u32 v7, v7, 23, v10
	v_or3_b32 v2, v6, v7, v2
.LBB23_1212:
	s_or_b64 exec, exec, s[6:7]
	s_movk_i32 s4, 0x7f
	v_cmp_gt_i16_sdwa s[6:7], v3, s4 src0_sel:BYTE_3 src1_sel:DWORD
	s_mov_b64 s[4:5], 0
                                        ; implicit-def: $sgpr10
	s_and_saveexec_b64 s[8:9], s[6:7]
	s_xor_b64 s[6:7], exec, s[8:9]
	s_cbranch_execnz .LBB23_3261
; %bb.1213:
	s_or_saveexec_b64 s[6:7], s[6:7]
	v_mov_b32_e32 v6, s10
	s_xor_b64 exec, exec, s[6:7]
	s_cbranch_execnz .LBB23_3264
.LBB23_1214:
	s_or_b64 exec, exec, s[6:7]
	s_and_saveexec_b64 s[6:7], s[4:5]
	s_cbranch_execz .LBB23_1216
.LBB23_1215:
	v_bfe_u32 v6, v3, 24, 3
	v_ffbh_u32_e32 v12, v6
	v_min_u32_e32 v12, 32, v12
	v_lshrrev_b32_e32 v10, 27, v3
	v_subrev_u32_e32 v13, 28, v12
	v_and_b32_e32 v7, 0x80000000, v3
	v_and_b32_e32 v10, 15, v10
	v_bfe_u32 v11, v3, 27, 4
	v_lshlrev_b32_sdwa v3, v13, v3 dst_sel:DWORD dst_unused:UNUSED_PAD src0_sel:DWORD src1_sel:BYTE_3
	v_sub_u32_e32 v12, 29, v12
	v_and_b32_e32 v3, 7, v3
	v_cmp_eq_u16_e32 vcc, 0, v10
	v_cndmask_b32_e32 v3, v6, v3, vcc
	v_cndmask_b32_e32 v6, v11, v12, vcc
	v_mov_b32_e32 v10, 0x3b800000
	v_lshlrev_b32_e32 v3, 20, v3
	v_lshl_add_u32 v6, v6, 23, v10
	v_or3_b32 v6, v7, v6, v3
.LBB23_1216:
	s_or_b64 exec, exec, s[6:7]
	s_nop 0
	v_mfma_f32_16x16x4f32 a[0:3], v2, v6, a[0:3]
	s_movk_i32 s4, 0x7f
	v_cmp_gt_i16_sdwa s[6:7], v8, s4 src0_sel:BYTE_0 src1_sel:DWORD
	s_mov_b64 s[4:5], 0
                                        ; implicit-def: $sgpr10
	s_and_saveexec_b64 s[8:9], s[6:7]
	s_xor_b64 s[6:7], exec, s[8:9]
	s_cbranch_execnz .LBB23_3265
; %bb.1217:
	s_or_saveexec_b64 s[6:7], s[6:7]
	v_mov_b32_e32 v2, s10
	s_xor_b64 exec, exec, s[6:7]
	s_cbranch_execnz .LBB23_3268
.LBB23_1218:
	s_or_b64 exec, exec, s[6:7]
	s_and_saveexec_b64 s[6:7], s[4:5]
	s_cbranch_execz .LBB23_1220
.LBB23_1219:
	v_and_b32_e32 v2, 7, v8
	v_ffbh_u32_e32 v6, v2
	v_min_u32_e32 v6, 32, v6
	v_lshrrev_b16_e32 v3, 3, v8
	v_subrev_u32_e32 v7, 28, v6
	v_and_b32_e32 v3, 15, v3
	v_lshlrev_b32_e32 v7, v7, v8
	v_sub_u32_e32 v6, 29, v6
	v_and_b32_e32 v7, 7, v7
	v_cmp_eq_u16_e32 vcc, 0, v3
	v_cndmask_b32_e32 v2, v2, v7, vcc
	v_cndmask_b32_e32 v3, v3, v6, vcc
	v_lshlrev_b32_e32 v6, 24, v8
	v_mov_b32_e32 v7, 0x3b800000
	v_lshlrev_b32_e32 v2, 20, v2
	v_and_b32_e32 v6, 0x80000000, v6
	v_lshl_add_u32 v3, v3, 23, v7
	v_or3_b32 v2, v6, v3, v2
.LBB23_1220:
	s_or_b64 exec, exec, s[6:7]
	s_movk_i32 s4, 0x7f
	v_cmp_gt_i16_sdwa s[6:7], v4, s4 src0_sel:BYTE_0 src1_sel:DWORD
	s_mov_b64 s[4:5], 0
                                        ; implicit-def: $sgpr10
	s_and_saveexec_b64 s[8:9], s[6:7]
	s_xor_b64 s[6:7], exec, s[8:9]
	s_cbranch_execnz .LBB23_3269
; %bb.1221:
	s_or_saveexec_b64 s[6:7], s[6:7]
	v_mov_b32_e32 v3, s10
	s_xor_b64 exec, exec, s[6:7]
	s_cbranch_execnz .LBB23_3272
.LBB23_1222:
	s_or_b64 exec, exec, s[6:7]
	s_and_saveexec_b64 s[6:7], s[4:5]
	s_cbranch_execz .LBB23_1224
.LBB23_1223:
	v_and_b32_e32 v3, 7, v4
	v_ffbh_u32_e32 v7, v3
	v_min_u32_e32 v7, 32, v7
	v_lshrrev_b16_e32 v6, 3, v4
	v_subrev_u32_e32 v10, 28, v7
	v_and_b32_e32 v6, 15, v6
	v_lshlrev_b32_e32 v10, v10, v4
	v_sub_u32_e32 v7, 29, v7
	v_and_b32_e32 v10, 7, v10
	v_cmp_eq_u16_e32 vcc, 0, v6
	v_cndmask_b32_e32 v3, v3, v10, vcc
	v_cndmask_b32_e32 v6, v6, v7, vcc
	v_lshlrev_b32_e32 v7, 24, v4
	v_mov_b32_e32 v10, 0x3b800000
	v_lshlrev_b32_e32 v3, 20, v3
	v_and_b32_e32 v7, 0x80000000, v7
	v_lshl_add_u32 v6, v6, 23, v10
	v_or3_b32 v3, v7, v6, v3
.LBB23_1224:
	s_or_b64 exec, exec, s[6:7]
	s_nop 0
	v_mfma_f32_16x16x4f32 a[0:3], v2, v3, a[0:3]
	v_lshrrev_b32_e32 v3, 8, v8
	s_movk_i32 s4, 0x7f
	v_cmp_gt_i16_sdwa s[6:7], v3, s4 src0_sel:BYTE_0 src1_sel:DWORD
	s_mov_b64 s[4:5], 0
                                        ; implicit-def: $sgpr10
	s_and_saveexec_b64 s[8:9], s[6:7]
	s_xor_b64 s[6:7], exec, s[8:9]
	s_cbranch_execnz .LBB23_3273
; %bb.1225:
	s_or_saveexec_b64 s[6:7], s[6:7]
	v_mov_b32_e32 v2, s10
	s_xor_b64 exec, exec, s[6:7]
	s_cbranch_execnz .LBB23_3276
.LBB23_1226:
	s_or_b64 exec, exec, s[6:7]
	s_and_saveexec_b64 s[6:7], s[4:5]
	s_cbranch_execz .LBB23_1228
.LBB23_1227:
	v_bfe_u32 v2, v8, 8, 3
	v_ffbh_u32_e32 v7, v2
	v_min_u32_e32 v7, 32, v7
	v_lshrrev_b16_e32 v6, 3, v3
	v_subrev_u32_e32 v10, 28, v7
	v_and_b32_e32 v6, 15, v6
	v_lshlrev_b32_e32 v3, v10, v3
	v_sub_u32_e32 v7, 29, v7
	v_and_b32_e32 v3, 7, v3
	v_cmp_eq_u16_e32 vcc, 0, v6
	v_cndmask_b32_e32 v2, v2, v3, vcc
	v_cndmask_b32_e32 v3, v6, v7, vcc
	v_lshlrev_b32_e32 v6, 16, v8
	v_mov_b32_e32 v7, 0x3b800000
	v_lshlrev_b32_e32 v2, 20, v2
	v_and_b32_e32 v6, 0x80000000, v6
	v_lshl_add_u32 v3, v3, 23, v7
	v_or3_b32 v2, v6, v3, v2
.LBB23_1228:
	s_or_b64 exec, exec, s[6:7]
	v_lshrrev_b32_e32 v3, 8, v4
	s_movk_i32 s4, 0x7f
	v_cmp_gt_i16_sdwa s[6:7], v3, s4 src0_sel:BYTE_0 src1_sel:DWORD
	s_mov_b64 s[4:5], 0
                                        ; implicit-def: $sgpr10
	s_and_saveexec_b64 s[8:9], s[6:7]
	s_xor_b64 s[6:7], exec, s[8:9]
	s_cbranch_execnz .LBB23_3277
; %bb.1229:
	s_or_saveexec_b64 s[6:7], s[6:7]
	v_mov_b32_e32 v6, s10
	s_xor_b64 exec, exec, s[6:7]
	s_cbranch_execnz .LBB23_3280
.LBB23_1230:
	s_or_b64 exec, exec, s[6:7]
	s_and_saveexec_b64 s[6:7], s[4:5]
	s_cbranch_execz .LBB23_1232
.LBB23_1231:
	v_bfe_u32 v6, v4, 8, 3
	v_ffbh_u32_e32 v10, v6
	v_min_u32_e32 v10, 32, v10
	v_lshrrev_b16_e32 v7, 3, v3
	v_subrev_u32_e32 v11, 28, v10
	v_and_b32_e32 v7, 15, v7
	v_lshlrev_b32_e32 v3, v11, v3
	v_sub_u32_e32 v10, 29, v10
	v_and_b32_e32 v3, 7, v3
	v_cmp_eq_u16_e32 vcc, 0, v7
	v_cndmask_b32_e32 v3, v6, v3, vcc
	v_cndmask_b32_e32 v6, v7, v10, vcc
	v_lshlrev_b32_e32 v7, 16, v4
	v_mov_b32_e32 v10, 0x3b800000
	v_lshlrev_b32_e32 v3, 20, v3
	v_and_b32_e32 v7, 0x80000000, v7
	v_lshl_add_u32 v6, v6, 23, v10
	v_or3_b32 v6, v7, v6, v3
.LBB23_1232:
	s_or_b64 exec, exec, s[6:7]
	s_nop 0
	v_mfma_f32_16x16x4f32 a[0:3], v2, v6, a[0:3]
	s_movk_i32 s4, 0xff
	v_and_b32_sdwa v3, v8, s4 dst_sel:DWORD dst_unused:UNUSED_PAD src0_sel:WORD_1 src1_sel:DWORD
	s_movk_i32 s4, 0x7f
	v_cmp_lt_i16_e32 vcc, s4, v3
	s_mov_b64 s[4:5], 0
                                        ; implicit-def: $sgpr10
	s_and_saveexec_b64 s[6:7], vcc
	s_xor_b64 s[6:7], exec, s[6:7]
	s_cbranch_execnz .LBB23_3281
; %bb.1233:
	s_or_saveexec_b64 s[6:7], s[6:7]
	v_mov_b32_e32 v2, s10
	s_xor_b64 exec, exec, s[6:7]
	s_cbranch_execnz .LBB23_3284
.LBB23_1234:
	s_or_b64 exec, exec, s[6:7]
	s_and_saveexec_b64 s[6:7], s[4:5]
	s_cbranch_execz .LBB23_1236
.LBB23_1235:
	v_bfe_u32 v2, v8, 16, 3
	v_ffbh_u32_e32 v7, v2
	v_min_u32_e32 v7, 32, v7
	v_lshrrev_b32_e32 v3, 19, v8
	v_subrev_u32_e32 v10, 28, v7
	v_and_b32_e32 v3, 15, v3
	v_lshlrev_b32_sdwa v10, v10, v8 dst_sel:DWORD dst_unused:UNUSED_PAD src0_sel:DWORD src1_sel:WORD_1
	v_bfe_u32 v6, v8, 19, 4
	v_sub_u32_e32 v7, 29, v7
	v_and_b32_e32 v10, 7, v10
	v_cmp_eq_u16_e32 vcc, 0, v3
	v_cndmask_b32_e32 v2, v2, v10, vcc
	v_cndmask_b32_e32 v3, v6, v7, vcc
	v_lshlrev_b32_e32 v6, 8, v8
	v_mov_b32_e32 v7, 0x3b800000
	v_lshlrev_b32_e32 v2, 20, v2
	v_and_b32_e32 v6, 0x80000000, v6
	v_lshl_add_u32 v3, v3, 23, v7
	v_or3_b32 v2, v6, v3, v2
.LBB23_1236:
	s_or_b64 exec, exec, s[6:7]
	s_movk_i32 s4, 0xff
	v_and_b32_sdwa v3, v4, s4 dst_sel:DWORD dst_unused:UNUSED_PAD src0_sel:WORD_1 src1_sel:DWORD
	s_movk_i32 s4, 0x7f
	v_cmp_lt_i16_e32 vcc, s4, v3
	s_mov_b64 s[4:5], 0
                                        ; implicit-def: $sgpr10
	s_and_saveexec_b64 s[6:7], vcc
	s_xor_b64 s[6:7], exec, s[6:7]
	s_cbranch_execnz .LBB23_3285
; %bb.1237:
	s_or_saveexec_b64 s[6:7], s[6:7]
	v_mov_b32_e32 v6, s10
	s_xor_b64 exec, exec, s[6:7]
	s_cbranch_execnz .LBB23_3288
.LBB23_1238:
	s_or_b64 exec, exec, s[6:7]
	s_and_saveexec_b64 s[6:7], s[4:5]
	s_cbranch_execz .LBB23_1240
.LBB23_1239:
	v_bfe_u32 v3, v4, 16, 3
	v_ffbh_u32_e32 v10, v3
	v_min_u32_e32 v10, 32, v10
	v_lshrrev_b32_e32 v6, 19, v4
	v_subrev_u32_e32 v11, 28, v10
	v_and_b32_e32 v6, 15, v6
	v_lshlrev_b32_sdwa v11, v11, v4 dst_sel:DWORD dst_unused:UNUSED_PAD src0_sel:DWORD src1_sel:WORD_1
	v_bfe_u32 v7, v4, 19, 4
	v_sub_u32_e32 v10, 29, v10
	v_and_b32_e32 v11, 7, v11
	v_cmp_eq_u16_e32 vcc, 0, v6
	v_cndmask_b32_e32 v3, v3, v11, vcc
	v_cndmask_b32_e32 v6, v7, v10, vcc
	v_lshlrev_b32_e32 v7, 8, v4
	v_mov_b32_e32 v10, 0x3b800000
	v_lshlrev_b32_e32 v3, 20, v3
	v_and_b32_e32 v7, 0x80000000, v7
	v_lshl_add_u32 v6, v6, 23, v10
	v_or3_b32 v6, v7, v6, v3
.LBB23_1240:
	s_or_b64 exec, exec, s[6:7]
	s_nop 0
	v_mfma_f32_16x16x4f32 a[0:3], v2, v6, a[0:3]
	s_movk_i32 s4, 0x7f
	v_cmp_gt_i16_sdwa s[6:7], v8, s4 src0_sel:BYTE_3 src1_sel:DWORD
	s_mov_b64 s[4:5], 0
                                        ; implicit-def: $sgpr10
	s_and_saveexec_b64 s[8:9], s[6:7]
	s_xor_b64 s[6:7], exec, s[8:9]
	s_cbranch_execnz .LBB23_3289
; %bb.1241:
	s_or_saveexec_b64 s[6:7], s[6:7]
	v_mov_b32_e32 v2, s10
	s_xor_b64 exec, exec, s[6:7]
	s_cbranch_execnz .LBB23_3292
.LBB23_1242:
	s_or_b64 exec, exec, s[6:7]
	s_and_saveexec_b64 s[6:7], s[4:5]
	s_cbranch_execz .LBB23_1244
.LBB23_1243:
	v_bfe_u32 v2, v8, 24, 3
	v_ffbh_u32_e32 v10, v2
	v_min_u32_e32 v10, 32, v10
	v_lshrrev_b32_e32 v6, 27, v8
	v_subrev_u32_e32 v11, 28, v10
	v_and_b32_e32 v3, 0x80000000, v8
	v_and_b32_e32 v6, 15, v6
	v_bfe_u32 v7, v8, 27, 4
	v_lshlrev_b32_sdwa v8, v11, v8 dst_sel:DWORD dst_unused:UNUSED_PAD src0_sel:DWORD src1_sel:BYTE_3
	v_sub_u32_e32 v10, 29, v10
	v_and_b32_e32 v8, 7, v8
	v_cmp_eq_u16_e32 vcc, 0, v6
	v_cndmask_b32_e32 v2, v2, v8, vcc
	v_cndmask_b32_e32 v6, v7, v10, vcc
	v_mov_b32_e32 v7, 0x3b800000
	v_lshlrev_b32_e32 v2, 20, v2
	v_lshl_add_u32 v6, v6, 23, v7
	v_or3_b32 v2, v3, v6, v2
.LBB23_1244:
	s_or_b64 exec, exec, s[6:7]
	s_movk_i32 s4, 0x7f
	v_cmp_gt_i16_sdwa s[6:7], v4, s4 src0_sel:BYTE_3 src1_sel:DWORD
	s_mov_b64 s[4:5], 0
                                        ; implicit-def: $sgpr10
	s_and_saveexec_b64 s[8:9], s[6:7]
	s_xor_b64 s[6:7], exec, s[8:9]
	s_cbranch_execnz .LBB23_3293
; %bb.1245:
	s_or_saveexec_b64 s[6:7], s[6:7]
	v_mov_b32_e32 v3, s10
	s_xor_b64 exec, exec, s[6:7]
	s_cbranch_execnz .LBB23_3296
.LBB23_1246:
	s_or_b64 exec, exec, s[6:7]
	s_and_saveexec_b64 s[6:7], s[4:5]
	s_cbranch_execz .LBB23_1248
.LBB23_1247:
	v_bfe_u32 v3, v4, 24, 3
	v_ffbh_u32_e32 v10, v3
	v_min_u32_e32 v10, 32, v10
	v_lshrrev_b32_e32 v7, 27, v4
	v_subrev_u32_e32 v11, 28, v10
	v_and_b32_e32 v6, 0x80000000, v4
	v_and_b32_e32 v7, 15, v7
	v_bfe_u32 v8, v4, 27, 4
	v_lshlrev_b32_sdwa v4, v11, v4 dst_sel:DWORD dst_unused:UNUSED_PAD src0_sel:DWORD src1_sel:BYTE_3
	v_sub_u32_e32 v10, 29, v10
	v_and_b32_e32 v4, 7, v4
	v_cmp_eq_u16_e32 vcc, 0, v7
	v_cndmask_b32_e32 v3, v3, v4, vcc
	v_cndmask_b32_e32 v4, v8, v10, vcc
	v_mov_b32_e32 v7, 0x3b800000
	v_lshlrev_b32_e32 v3, 20, v3
	v_lshl_add_u32 v4, v4, 23, v7
	v_or3_b32 v3, v6, v4, v3
.LBB23_1248:
	s_or_b64 exec, exec, s[6:7]
	s_nop 0
	v_mfma_f32_16x16x4f32 a[0:3], v2, v3, a[0:3]
	s_movk_i32 s4, 0x7f
	v_cmp_gt_i16_sdwa s[6:7], v9, s4 src0_sel:BYTE_0 src1_sel:DWORD
	s_mov_b64 s[4:5], 0
                                        ; implicit-def: $sgpr10
	s_and_saveexec_b64 s[8:9], s[6:7]
	s_xor_b64 s[6:7], exec, s[8:9]
	s_cbranch_execnz .LBB23_3297
; %bb.1249:
	s_or_saveexec_b64 s[6:7], s[6:7]
	v_mov_b32_e32 v2, s10
	s_xor_b64 exec, exec, s[6:7]
	s_cbranch_execnz .LBB23_3300
.LBB23_1250:
	s_or_b64 exec, exec, s[6:7]
	s_and_saveexec_b64 s[6:7], s[4:5]
	s_cbranch_execz .LBB23_1252
.LBB23_1251:
	v_mov_b32_e32 v2, 8
	v_and_b32_e32 v3, 7, v9
	v_lshrrev_b32_sdwa v2, v2, v9 dst_sel:BYTE_1 dst_unused:UNUSED_PAD src0_sel:DWORD src1_sel:DWORD
	v_ffbh_u32_e32 v4, v3
	v_or_b32_sdwa v2, v9, v2 dst_sel:DWORD dst_unused:UNUSED_PAD src0_sel:BYTE_0 src1_sel:DWORD
	v_min_u32_e32 v4, 32, v4
	v_lshrrev_b16_e32 v2, 3, v2
	v_subrev_u32_e32 v6, 28, v4
	v_and_b32_e32 v2, 15, v2
	v_lshlrev_b32_e32 v6, v6, v9
	v_sub_u32_e32 v4, 29, v4
	v_and_b32_e32 v6, 7, v6
	v_cmp_eq_u16_e32 vcc, 0, v2
	v_cndmask_b32_e32 v3, v3, v6, vcc
	v_cndmask_b32_e32 v2, v2, v4, vcc
	v_lshlrev_b32_e32 v4, 24, v9
	v_mov_b32_e32 v6, 0x3b800000
	v_lshlrev_b32_e32 v3, 20, v3
	v_and_b32_e32 v4, 0x80000000, v4
	v_lshl_add_u32 v2, v2, 23, v6
	v_or3_b32 v2, v4, v2, v3
.LBB23_1252:
	s_or_b64 exec, exec, s[6:7]
	s_movk_i32 s4, 0x7f
	v_cmp_gt_i16_sdwa s[6:7], v5, s4 src0_sel:BYTE_0 src1_sel:DWORD
	s_mov_b64 s[4:5], 0
                                        ; implicit-def: $sgpr10
	s_and_saveexec_b64 s[8:9], s[6:7]
	s_xor_b64 s[6:7], exec, s[8:9]
	s_cbranch_execnz .LBB23_3301
; %bb.1253:
	s_or_saveexec_b64 s[6:7], s[6:7]
	v_mov_b32_e32 v3, s10
	s_xor_b64 exec, exec, s[6:7]
	s_cbranch_execnz .LBB23_3304
.LBB23_1254:
	s_or_b64 exec, exec, s[6:7]
	s_and_saveexec_b64 s[6:7], s[4:5]
	s_cbranch_execz .LBB23_1256
.LBB23_1255:
	v_mov_b32_e32 v3, 8
	v_and_b32_e32 v4, 7, v5
	v_lshrrev_b32_sdwa v3, v3, v5 dst_sel:BYTE_1 dst_unused:UNUSED_PAD src0_sel:DWORD src1_sel:DWORD
	v_ffbh_u32_e32 v6, v4
	v_or_b32_sdwa v3, v5, v3 dst_sel:DWORD dst_unused:UNUSED_PAD src0_sel:BYTE_0 src1_sel:DWORD
	v_min_u32_e32 v6, 32, v6
	v_lshrrev_b16_e32 v3, 3, v3
	v_subrev_u32_e32 v7, 28, v6
	v_and_b32_e32 v3, 15, v3
	v_lshlrev_b32_e32 v7, v7, v5
	v_sub_u32_e32 v6, 29, v6
	v_and_b32_e32 v7, 7, v7
	v_cmp_eq_u16_e32 vcc, 0, v3
	v_cndmask_b32_e32 v4, v4, v7, vcc
	v_cndmask_b32_e32 v3, v3, v6, vcc
	v_lshlrev_b32_e32 v6, 24, v5
	v_mov_b32_e32 v7, 0x3b800000
	v_lshlrev_b32_e32 v4, 20, v4
	v_and_b32_e32 v6, 0x80000000, v6
	v_lshl_add_u32 v3, v3, 23, v7
	v_or3_b32 v3, v6, v3, v4
.LBB23_1256:
	s_or_b64 exec, exec, s[6:7]
	s_nop 0
	v_mfma_f32_16x16x4f32 a[0:3], v2, v3, a[0:3]
	v_lshrrev_b32_e32 v3, 8, v9
	s_movk_i32 s4, 0x7f
	v_cmp_gt_i16_sdwa s[6:7], v3, s4 src0_sel:BYTE_0 src1_sel:DWORD
	s_mov_b64 s[4:5], 0
                                        ; implicit-def: $sgpr10
	s_and_saveexec_b64 s[8:9], s[6:7]
	s_xor_b64 s[6:7], exec, s[8:9]
	s_cbranch_execnz .LBB23_3305
; %bb.1257:
	s_or_saveexec_b64 s[6:7], s[6:7]
	v_mov_b32_e32 v2, s10
	s_xor_b64 exec, exec, s[6:7]
	s_cbranch_execnz .LBB23_3308
.LBB23_1258:
	s_or_b64 exec, exec, s[6:7]
	s_and_saveexec_b64 s[6:7], s[4:5]
	s_cbranch_execz .LBB23_1260
.LBB23_1259:
	v_bfe_u32 v2, v9, 8, 3
	v_ffbh_u32_e32 v6, v2
	v_min_u32_e32 v6, 32, v6
	v_lshrrev_b16_e32 v4, 3, v3
	v_subrev_u32_e32 v7, 28, v6
	v_and_b32_e32 v4, 15, v4
	v_lshlrev_b32_e32 v3, v7, v3
	v_sub_u32_e32 v6, 29, v6
	v_and_b32_e32 v3, 7, v3
	v_cmp_eq_u16_e32 vcc, 0, v4
	v_cndmask_b32_e32 v2, v2, v3, vcc
	v_cndmask_b32_e32 v3, v4, v6, vcc
	v_lshlrev_b32_e32 v4, 16, v9
	v_mov_b32_e32 v6, 0x3b800000
	v_lshlrev_b32_e32 v2, 20, v2
	v_and_b32_e32 v4, 0x80000000, v4
	v_lshl_add_u32 v3, v3, 23, v6
	v_or3_b32 v2, v4, v3, v2
.LBB23_1260:
	s_or_b64 exec, exec, s[6:7]
	v_lshrrev_b32_e32 v3, 8, v5
	s_movk_i32 s4, 0x7f
	v_cmp_gt_i16_sdwa s[6:7], v3, s4 src0_sel:BYTE_0 src1_sel:DWORD
	s_mov_b64 s[4:5], 0
                                        ; implicit-def: $sgpr10
	s_and_saveexec_b64 s[8:9], s[6:7]
	s_xor_b64 s[6:7], exec, s[8:9]
	s_cbranch_execnz .LBB23_3309
; %bb.1261:
	s_or_saveexec_b64 s[6:7], s[6:7]
	v_mov_b32_e32 v4, s10
	s_xor_b64 exec, exec, s[6:7]
	s_cbranch_execnz .LBB23_3312
.LBB23_1262:
	s_or_b64 exec, exec, s[6:7]
	s_and_saveexec_b64 s[6:7], s[4:5]
	s_cbranch_execz .LBB23_1264
.LBB23_1263:
	v_bfe_u32 v4, v5, 8, 3
	v_ffbh_u32_e32 v7, v4
	v_min_u32_e32 v7, 32, v7
	v_lshrrev_b16_e32 v6, 3, v3
	v_subrev_u32_e32 v8, 28, v7
	v_and_b32_e32 v6, 15, v6
	v_lshlrev_b32_e32 v3, v8, v3
	v_sub_u32_e32 v7, 29, v7
	v_and_b32_e32 v3, 7, v3
	v_cmp_eq_u16_e32 vcc, 0, v6
	v_cndmask_b32_e32 v3, v4, v3, vcc
	v_cndmask_b32_e32 v4, v6, v7, vcc
	v_lshlrev_b32_e32 v6, 16, v5
	v_mov_b32_e32 v7, 0x3b800000
	v_lshlrev_b32_e32 v3, 20, v3
	v_and_b32_e32 v6, 0x80000000, v6
	v_lshl_add_u32 v4, v4, 23, v7
	v_or3_b32 v4, v6, v4, v3
.LBB23_1264:
	s_or_b64 exec, exec, s[6:7]
	s_nop 0
	v_mfma_f32_16x16x4f32 a[0:3], v2, v4, a[0:3]
	s_movk_i32 s4, 0xff
	v_and_b32_sdwa v3, v9, s4 dst_sel:DWORD dst_unused:UNUSED_PAD src0_sel:WORD_1 src1_sel:DWORD
	s_movk_i32 s4, 0x7f
	v_cmp_lt_i16_e32 vcc, s4, v3
	s_mov_b64 s[4:5], 0
                                        ; implicit-def: $sgpr10
	s_and_saveexec_b64 s[6:7], vcc
	s_xor_b64 s[6:7], exec, s[6:7]
	s_cbranch_execnz .LBB23_3313
; %bb.1265:
	s_or_saveexec_b64 s[6:7], s[6:7]
	v_mov_b32_e32 v2, s10
	s_xor_b64 exec, exec, s[6:7]
	s_cbranch_execnz .LBB23_3316
.LBB23_1266:
	s_or_b64 exec, exec, s[6:7]
	s_and_saveexec_b64 s[6:7], s[4:5]
	s_cbranch_execz .LBB23_1268
.LBB23_1267:
	v_bfe_u32 v2, v9, 16, 3
	v_ffbh_u32_e32 v6, v2
	v_min_u32_e32 v6, 32, v6
	v_lshrrev_b32_e32 v3, 19, v9
	v_subrev_u32_e32 v7, 28, v6
	v_and_b32_e32 v3, 15, v3
	v_lshlrev_b32_sdwa v7, v7, v9 dst_sel:DWORD dst_unused:UNUSED_PAD src0_sel:DWORD src1_sel:WORD_1
	v_bfe_u32 v4, v9, 19, 4
	v_sub_u32_e32 v6, 29, v6
	v_and_b32_e32 v7, 7, v7
	v_cmp_eq_u16_e32 vcc, 0, v3
	v_cndmask_b32_e32 v2, v2, v7, vcc
	v_cndmask_b32_e32 v3, v4, v6, vcc
	v_lshlrev_b32_e32 v4, 8, v9
	v_mov_b32_e32 v6, 0x3b800000
	v_lshlrev_b32_e32 v2, 20, v2
	v_and_b32_e32 v4, 0x80000000, v4
	v_lshl_add_u32 v3, v3, 23, v6
	v_or3_b32 v2, v4, v3, v2
.LBB23_1268:
	s_or_b64 exec, exec, s[6:7]
	s_movk_i32 s4, 0xff
	v_and_b32_sdwa v3, v5, s4 dst_sel:DWORD dst_unused:UNUSED_PAD src0_sel:WORD_1 src1_sel:DWORD
	s_movk_i32 s4, 0x7f
	v_cmp_lt_i16_e32 vcc, s4, v3
	s_mov_b64 s[4:5], 0
                                        ; implicit-def: $sgpr10
	s_and_saveexec_b64 s[6:7], vcc
	s_xor_b64 s[6:7], exec, s[6:7]
	s_cbranch_execnz .LBB23_3317
; %bb.1269:
	s_or_saveexec_b64 s[6:7], s[6:7]
	v_mov_b32_e32 v4, s10
	s_xor_b64 exec, exec, s[6:7]
	s_cbranch_execnz .LBB23_3320
.LBB23_1270:
	s_or_b64 exec, exec, s[6:7]
	s_and_saveexec_b64 s[6:7], s[4:5]
	s_cbranch_execz .LBB23_1272
.LBB23_1271:
	v_bfe_u32 v3, v5, 16, 3
	v_ffbh_u32_e32 v7, v3
	v_min_u32_e32 v7, 32, v7
	v_lshrrev_b32_e32 v4, 19, v5
	v_subrev_u32_e32 v8, 28, v7
	v_and_b32_e32 v4, 15, v4
	v_lshlrev_b32_sdwa v8, v8, v5 dst_sel:DWORD dst_unused:UNUSED_PAD src0_sel:DWORD src1_sel:WORD_1
	v_bfe_u32 v6, v5, 19, 4
	v_sub_u32_e32 v7, 29, v7
	v_and_b32_e32 v8, 7, v8
	v_cmp_eq_u16_e32 vcc, 0, v4
	v_cndmask_b32_e32 v3, v3, v8, vcc
	v_cndmask_b32_e32 v4, v6, v7, vcc
	v_lshlrev_b32_e32 v6, 8, v5
	v_mov_b32_e32 v7, 0x3b800000
	v_lshlrev_b32_e32 v3, 20, v3
	v_and_b32_e32 v6, 0x80000000, v6
	v_lshl_add_u32 v4, v4, 23, v7
	v_or3_b32 v4, v6, v4, v3
.LBB23_1272:
	s_or_b64 exec, exec, s[6:7]
	s_nop 0
	v_mfma_f32_16x16x4f32 a[0:3], v2, v4, a[0:3]
	s_movk_i32 s4, 0x7f
	v_cmp_gt_i16_sdwa s[6:7], v9, s4 src0_sel:BYTE_3 src1_sel:DWORD
	s_mov_b64 s[4:5], 0
                                        ; implicit-def: $sgpr10
	s_and_saveexec_b64 s[8:9], s[6:7]
	s_xor_b64 s[6:7], exec, s[8:9]
	s_cbranch_execnz .LBB23_3321
; %bb.1273:
	s_or_saveexec_b64 s[6:7], s[6:7]
	v_mov_b32_e32 v2, s10
	s_xor_b64 exec, exec, s[6:7]
	s_cbranch_execnz .LBB23_3324
.LBB23_1274:
	s_or_b64 exec, exec, s[6:7]
	s_and_saveexec_b64 s[6:7], s[4:5]
	s_cbranch_execz .LBB23_1276
.LBB23_1275:
	v_bfe_u32 v2, v9, 24, 3
	v_ffbh_u32_e32 v7, v2
	v_min_u32_e32 v7, 32, v7
	v_lshrrev_b32_e32 v4, 27, v9
	v_subrev_u32_e32 v8, 28, v7
	v_and_b32_e32 v4, 15, v4
	v_lshlrev_b32_sdwa v8, v8, v9 dst_sel:DWORD dst_unused:UNUSED_PAD src0_sel:DWORD src1_sel:BYTE_3
	v_bfe_u32 v6, v9, 27, 4
	v_sub_u32_e32 v7, 29, v7
	v_and_b32_e32 v8, 7, v8
	v_cmp_eq_u16_e32 vcc, 0, v4
	v_cndmask_b32_e32 v2, v2, v8, vcc
	v_cndmask_b32_e32 v4, v6, v7, vcc
	v_mov_b32_e32 v6, 0x3b800000
	v_and_b32_e32 v3, 0x80000000, v9
	v_lshlrev_b32_e32 v2, 20, v2
	v_lshl_add_u32 v4, v4, 23, v6
	v_or3_b32 v2, v3, v4, v2
.LBB23_1276:
	s_or_b64 exec, exec, s[6:7]
	s_movk_i32 s4, 0x7f
	v_cmp_gt_i16_sdwa s[6:7], v5, s4 src0_sel:BYTE_3 src1_sel:DWORD
	s_mov_b64 s[4:5], 0
                                        ; implicit-def: $sgpr10
	s_and_saveexec_b64 s[8:9], s[6:7]
	s_xor_b64 s[6:7], exec, s[8:9]
	s_cbranch_execnz .LBB23_3325
; %bb.1277:
	s_or_saveexec_b64 s[6:7], s[6:7]
	v_mov_b32_e32 v3, s10
	s_xor_b64 exec, exec, s[6:7]
	s_cbranch_execnz .LBB23_3328
.LBB23_1278:
	s_or_b64 exec, exec, s[6:7]
	s_and_saveexec_b64 s[6:7], s[4:5]
	s_cbranch_execz .LBB23_1280
.LBB23_1279:
	v_bfe_u32 v3, v5, 24, 3
	v_ffbh_u32_e32 v8, v3
	v_min_u32_e32 v8, 32, v8
	v_lshrrev_b32_e32 v6, 27, v5
	v_subrev_u32_e32 v9, 28, v8
	v_and_b32_e32 v4, 0x80000000, v5
	v_and_b32_e32 v6, 15, v6
	v_bfe_u32 v7, v5, 27, 4
	v_lshlrev_b32_sdwa v5, v9, v5 dst_sel:DWORD dst_unused:UNUSED_PAD src0_sel:DWORD src1_sel:BYTE_3
	v_sub_u32_e32 v8, 29, v8
	v_and_b32_e32 v5, 7, v5
	v_cmp_eq_u16_e32 vcc, 0, v6
	v_cndmask_b32_e32 v3, v3, v5, vcc
	v_cndmask_b32_e32 v5, v7, v8, vcc
	v_mov_b32_e32 v6, 0x3b800000
	v_lshlrev_b32_e32 v3, 20, v3
	v_lshl_add_u32 v5, v5, 23, v6
	v_or3_b32 v3, v4, v5, v3
.LBB23_1280:
	s_or_b64 exec, exec, s[6:7]
	s_nop 0
	v_mfma_f32_16x16x4f32 a[0:3], v2, v3, a[0:3]
	s_movk_i32 s4, 0x7f
                                        ; implicit-def: $sgpr10
	s_nop 7
	s_nop 1
	flat_store_dwordx4 v[18:19], a[0:3] offset:704
	flat_load_dwordx4 v[20:23], v[0:1] offset:8
	s_nop 0
	flat_load_dwordx2 v[18:19], v[0:1] offset:24
	s_waitcnt vmcnt(0) lgkmcnt(0)
	flat_load_dwordx4 v[14:17], v[20:21] offset:32
	flat_load_dwordx4 v[6:9], v[20:21] offset:48
	;; [unrolled: 1-line block ×4, first 2 shown]
	s_waitcnt vmcnt(0) lgkmcnt(0)
	v_cmp_gt_i16_sdwa s[6:7], v14, s4 src0_sel:BYTE_0 src1_sel:DWORD
	s_mov_b64 s[4:5], 0
	s_and_saveexec_b64 s[8:9], s[6:7]
	s_xor_b64 s[6:7], exec, s[8:9]
	s_cbranch_execnz .LBB23_3329
; %bb.1281:
	s_or_saveexec_b64 s[6:7], s[6:7]
	v_mov_b32_e32 v20, s10
	s_xor_b64 exec, exec, s[6:7]
	s_cbranch_execnz .LBB23_3332
.LBB23_1282:
	s_or_b64 exec, exec, s[6:7]
	s_and_saveexec_b64 s[6:7], s[4:5]
	s_cbranch_execz .LBB23_1284
.LBB23_1283:
	v_and_b32_e32 v20, 7, v14
	v_ffbh_u32_e32 v22, v20
	v_min_u32_e32 v22, 32, v22
	v_lshrrev_b16_e32 v21, 3, v14
	v_subrev_u32_e32 v23, 28, v22
	v_and_b32_e32 v21, 15, v21
	v_lshlrev_b32_e32 v23, v23, v14
	v_sub_u32_e32 v22, 29, v22
	v_and_b32_e32 v23, 7, v23
	v_cmp_eq_u16_e32 vcc, 0, v21
	v_cndmask_b32_e32 v20, v20, v23, vcc
	v_cndmask_b32_e32 v21, v21, v22, vcc
	v_lshlrev_b32_e32 v22, 24, v14
	v_mov_b32_e32 v23, 0x3b800000
	v_lshlrev_b32_e32 v20, 20, v20
	v_and_b32_e32 v22, 0x80000000, v22
	v_lshl_add_u32 v21, v21, 23, v23
	v_or3_b32 v20, v22, v21, v20
.LBB23_1284:
	s_or_b64 exec, exec, s[6:7]
	s_movk_i32 s4, 0x7f
	v_cmp_gt_i16_sdwa s[6:7], v10, s4 src0_sel:BYTE_0 src1_sel:DWORD
	s_mov_b64 s[4:5], 0
                                        ; implicit-def: $sgpr10
	s_and_saveexec_b64 s[8:9], s[6:7]
	s_xor_b64 s[6:7], exec, s[8:9]
	s_cbranch_execnz .LBB23_3333
; %bb.1285:
	s_or_saveexec_b64 s[6:7], s[6:7]
	v_mov_b32_e32 v21, s10
	s_xor_b64 exec, exec, s[6:7]
	s_cbranch_execnz .LBB23_3336
.LBB23_1286:
	s_or_b64 exec, exec, s[6:7]
	s_and_saveexec_b64 s[6:7], s[4:5]
	s_cbranch_execz .LBB23_1288
.LBB23_1287:
	v_and_b32_e32 v21, 7, v10
	v_ffbh_u32_e32 v23, v21
	v_min_u32_e32 v23, 32, v23
	v_lshrrev_b16_e32 v22, 3, v10
	v_subrev_u32_e32 v24, 28, v23
	v_and_b32_e32 v22, 15, v22
	v_lshlrev_b32_e32 v24, v24, v10
	v_sub_u32_e32 v23, 29, v23
	v_and_b32_e32 v24, 7, v24
	v_cmp_eq_u16_e32 vcc, 0, v22
	v_cndmask_b32_e32 v21, v21, v24, vcc
	v_cndmask_b32_e32 v22, v22, v23, vcc
	v_lshlrev_b32_e32 v23, 24, v10
	v_mov_b32_e32 v24, 0x3b800000
	v_lshlrev_b32_e32 v21, 20, v21
	v_and_b32_e32 v23, 0x80000000, v23
	v_lshl_add_u32 v22, v22, 23, v24
	v_or3_b32 v21, v23, v22, v21
.LBB23_1288:
	s_or_b64 exec, exec, s[6:7]
	flat_load_dwordx4 a[0:3], v[18:19] offset:720
	s_movk_i32 s4, 0x7f
                                        ; implicit-def: $sgpr10
	s_waitcnt vmcnt(0) lgkmcnt(0)
	v_mfma_f32_16x16x4f32 a[0:3], v20, v21, a[0:3]
	v_lshrrev_b32_e32 v21, 8, v14
	v_cmp_gt_i16_sdwa s[6:7], v21, s4 src0_sel:BYTE_0 src1_sel:DWORD
	s_mov_b64 s[4:5], 0
	s_and_saveexec_b64 s[8:9], s[6:7]
	s_xor_b64 s[6:7], exec, s[8:9]
	s_cbranch_execnz .LBB23_3337
; %bb.1289:
	s_or_saveexec_b64 s[6:7], s[6:7]
	v_mov_b32_e32 v20, s10
	s_xor_b64 exec, exec, s[6:7]
	s_cbranch_execnz .LBB23_3340
.LBB23_1290:
	s_or_b64 exec, exec, s[6:7]
	s_and_saveexec_b64 s[6:7], s[4:5]
	s_cbranch_execz .LBB23_1292
.LBB23_1291:
	v_bfe_u32 v20, v14, 8, 3
	v_ffbh_u32_e32 v23, v20
	v_min_u32_e32 v23, 32, v23
	v_lshrrev_b16_e32 v22, 3, v21
	v_subrev_u32_e32 v24, 28, v23
	v_and_b32_e32 v22, 15, v22
	v_lshlrev_b32_e32 v21, v24, v21
	v_sub_u32_e32 v23, 29, v23
	v_and_b32_e32 v21, 7, v21
	v_cmp_eq_u16_e32 vcc, 0, v22
	v_cndmask_b32_e32 v20, v20, v21, vcc
	v_cndmask_b32_e32 v21, v22, v23, vcc
	v_lshlrev_b32_e32 v22, 16, v14
	v_mov_b32_e32 v23, 0x3b800000
	v_lshlrev_b32_e32 v20, 20, v20
	v_and_b32_e32 v22, 0x80000000, v22
	v_lshl_add_u32 v21, v21, 23, v23
	v_or3_b32 v20, v22, v21, v20
.LBB23_1292:
	s_or_b64 exec, exec, s[6:7]
	v_lshrrev_b32_e32 v21, 8, v10
	s_movk_i32 s4, 0x7f
	v_cmp_gt_i16_sdwa s[6:7], v21, s4 src0_sel:BYTE_0 src1_sel:DWORD
	s_mov_b64 s[4:5], 0
                                        ; implicit-def: $sgpr10
	s_and_saveexec_b64 s[8:9], s[6:7]
	s_xor_b64 s[6:7], exec, s[8:9]
	s_cbranch_execnz .LBB23_3341
; %bb.1293:
	s_or_saveexec_b64 s[6:7], s[6:7]
	v_mov_b32_e32 v22, s10
	s_xor_b64 exec, exec, s[6:7]
	s_cbranch_execnz .LBB23_3344
.LBB23_1294:
	s_or_b64 exec, exec, s[6:7]
	s_and_saveexec_b64 s[6:7], s[4:5]
	s_cbranch_execz .LBB23_1296
.LBB23_1295:
	v_bfe_u32 v22, v10, 8, 3
	v_ffbh_u32_e32 v24, v22
	v_min_u32_e32 v24, 32, v24
	v_lshrrev_b16_e32 v23, 3, v21
	v_subrev_u32_e32 v25, 28, v24
	v_and_b32_e32 v23, 15, v23
	v_lshlrev_b32_e32 v21, v25, v21
	v_sub_u32_e32 v24, 29, v24
	v_and_b32_e32 v21, 7, v21
	v_cmp_eq_u16_e32 vcc, 0, v23
	v_cndmask_b32_e32 v21, v22, v21, vcc
	v_cndmask_b32_e32 v22, v23, v24, vcc
	v_lshlrev_b32_e32 v23, 16, v10
	v_mov_b32_e32 v24, 0x3b800000
	v_lshlrev_b32_e32 v21, 20, v21
	v_and_b32_e32 v23, 0x80000000, v23
	v_lshl_add_u32 v22, v22, 23, v24
	v_or3_b32 v22, v23, v22, v21
.LBB23_1296:
	s_or_b64 exec, exec, s[6:7]
	s_nop 0
	v_mfma_f32_16x16x4f32 a[0:3], v20, v22, a[0:3]
	s_movk_i32 s4, 0xff
	v_and_b32_sdwa v21, v14, s4 dst_sel:DWORD dst_unused:UNUSED_PAD src0_sel:WORD_1 src1_sel:DWORD
	s_movk_i32 s4, 0x7f
	v_cmp_lt_i16_e32 vcc, s4, v21
	s_mov_b64 s[4:5], 0
                                        ; implicit-def: $sgpr10
	s_and_saveexec_b64 s[6:7], vcc
	s_xor_b64 s[6:7], exec, s[6:7]
	s_cbranch_execnz .LBB23_3345
; %bb.1297:
	s_or_saveexec_b64 s[6:7], s[6:7]
	v_mov_b32_e32 v20, s10
	s_xor_b64 exec, exec, s[6:7]
	s_cbranch_execnz .LBB23_3348
.LBB23_1298:
	s_or_b64 exec, exec, s[6:7]
	s_and_saveexec_b64 s[6:7], s[4:5]
	s_cbranch_execz .LBB23_1300
.LBB23_1299:
	v_bfe_u32 v20, v14, 16, 3
	v_ffbh_u32_e32 v23, v20
	v_min_u32_e32 v23, 32, v23
	v_lshrrev_b32_e32 v21, 19, v14
	v_subrev_u32_e32 v24, 28, v23
	v_and_b32_e32 v21, 15, v21
	v_lshlrev_b32_sdwa v24, v24, v14 dst_sel:DWORD dst_unused:UNUSED_PAD src0_sel:DWORD src1_sel:WORD_1
	v_bfe_u32 v22, v14, 19, 4
	v_sub_u32_e32 v23, 29, v23
	v_and_b32_e32 v24, 7, v24
	v_cmp_eq_u16_e32 vcc, 0, v21
	v_cndmask_b32_e32 v20, v20, v24, vcc
	v_cndmask_b32_e32 v21, v22, v23, vcc
	v_lshlrev_b32_e32 v22, 8, v14
	v_mov_b32_e32 v23, 0x3b800000
	v_lshlrev_b32_e32 v20, 20, v20
	v_and_b32_e32 v22, 0x80000000, v22
	v_lshl_add_u32 v21, v21, 23, v23
	v_or3_b32 v20, v22, v21, v20
.LBB23_1300:
	s_or_b64 exec, exec, s[6:7]
	s_movk_i32 s4, 0xff
	v_and_b32_sdwa v21, v10, s4 dst_sel:DWORD dst_unused:UNUSED_PAD src0_sel:WORD_1 src1_sel:DWORD
	s_movk_i32 s4, 0x7f
	v_cmp_lt_i16_e32 vcc, s4, v21
	s_mov_b64 s[4:5], 0
                                        ; implicit-def: $sgpr10
	s_and_saveexec_b64 s[6:7], vcc
	s_xor_b64 s[6:7], exec, s[6:7]
	s_cbranch_execnz .LBB23_3349
; %bb.1301:
	s_or_saveexec_b64 s[6:7], s[6:7]
	v_mov_b32_e32 v22, s10
	s_xor_b64 exec, exec, s[6:7]
	s_cbranch_execnz .LBB23_3352
.LBB23_1302:
	s_or_b64 exec, exec, s[6:7]
	s_and_saveexec_b64 s[6:7], s[4:5]
	s_cbranch_execz .LBB23_1304
.LBB23_1303:
	v_bfe_u32 v21, v10, 16, 3
	v_ffbh_u32_e32 v24, v21
	v_min_u32_e32 v24, 32, v24
	v_lshrrev_b32_e32 v22, 19, v10
	v_subrev_u32_e32 v25, 28, v24
	v_and_b32_e32 v22, 15, v22
	v_lshlrev_b32_sdwa v25, v25, v10 dst_sel:DWORD dst_unused:UNUSED_PAD src0_sel:DWORD src1_sel:WORD_1
	v_bfe_u32 v23, v10, 19, 4
	v_sub_u32_e32 v24, 29, v24
	v_and_b32_e32 v25, 7, v25
	v_cmp_eq_u16_e32 vcc, 0, v22
	v_cndmask_b32_e32 v21, v21, v25, vcc
	v_cndmask_b32_e32 v22, v23, v24, vcc
	v_lshlrev_b32_e32 v23, 8, v10
	v_mov_b32_e32 v24, 0x3b800000
	v_lshlrev_b32_e32 v21, 20, v21
	v_and_b32_e32 v23, 0x80000000, v23
	v_lshl_add_u32 v22, v22, 23, v24
	v_or3_b32 v22, v23, v22, v21
.LBB23_1304:
	s_or_b64 exec, exec, s[6:7]
	s_nop 0
	v_mfma_f32_16x16x4f32 a[0:3], v20, v22, a[0:3]
	s_movk_i32 s4, 0x7f
	v_cmp_gt_i16_sdwa s[6:7], v14, s4 src0_sel:BYTE_3 src1_sel:DWORD
	s_mov_b64 s[4:5], 0
                                        ; implicit-def: $sgpr10
	s_and_saveexec_b64 s[8:9], s[6:7]
	s_xor_b64 s[6:7], exec, s[8:9]
	s_cbranch_execnz .LBB23_3353
; %bb.1305:
	s_or_saveexec_b64 s[6:7], s[6:7]
	v_mov_b32_e32 v20, s10
	s_xor_b64 exec, exec, s[6:7]
	s_cbranch_execnz .LBB23_3356
.LBB23_1306:
	s_or_b64 exec, exec, s[6:7]
	s_and_saveexec_b64 s[6:7], s[4:5]
	s_cbranch_execz .LBB23_1308
.LBB23_1307:
	v_bfe_u32 v20, v14, 24, 3
	v_ffbh_u32_e32 v24, v20
	v_min_u32_e32 v24, 32, v24
	v_lshrrev_b32_e32 v22, 27, v14
	v_subrev_u32_e32 v25, 28, v24
	v_and_b32_e32 v21, 0x80000000, v14
	v_and_b32_e32 v22, 15, v22
	v_bfe_u32 v23, v14, 27, 4
	v_lshlrev_b32_sdwa v14, v25, v14 dst_sel:DWORD dst_unused:UNUSED_PAD src0_sel:DWORD src1_sel:BYTE_3
	v_sub_u32_e32 v24, 29, v24
	v_and_b32_e32 v14, 7, v14
	v_cmp_eq_u16_e32 vcc, 0, v22
	v_cndmask_b32_e32 v14, v20, v14, vcc
	v_cndmask_b32_e32 v20, v23, v24, vcc
	v_mov_b32_e32 v22, 0x3b800000
	v_lshlrev_b32_e32 v14, 20, v14
	v_lshl_add_u32 v20, v20, 23, v22
	v_or3_b32 v20, v21, v20, v14
.LBB23_1308:
	s_or_b64 exec, exec, s[6:7]
	s_movk_i32 s4, 0x7f
	v_cmp_gt_i16_sdwa s[6:7], v10, s4 src0_sel:BYTE_3 src1_sel:DWORD
	s_mov_b64 s[4:5], 0
                                        ; implicit-def: $sgpr10
	s_and_saveexec_b64 s[8:9], s[6:7]
	s_xor_b64 s[6:7], exec, s[8:9]
	s_cbranch_execnz .LBB23_3357
; %bb.1309:
	s_or_saveexec_b64 s[6:7], s[6:7]
	v_mov_b32_e32 v14, s10
	s_xor_b64 exec, exec, s[6:7]
	s_cbranch_execnz .LBB23_3360
.LBB23_1310:
	s_or_b64 exec, exec, s[6:7]
	s_and_saveexec_b64 s[6:7], s[4:5]
	s_cbranch_execz .LBB23_1312
.LBB23_1311:
	v_bfe_u32 v14, v10, 24, 3
	v_ffbh_u32_e32 v24, v14
	v_min_u32_e32 v24, 32, v24
	v_lshrrev_b32_e32 v22, 27, v10
	v_subrev_u32_e32 v25, 28, v24
	v_and_b32_e32 v21, 0x80000000, v10
	v_and_b32_e32 v22, 15, v22
	v_bfe_u32 v23, v10, 27, 4
	v_lshlrev_b32_sdwa v10, v25, v10 dst_sel:DWORD dst_unused:UNUSED_PAD src0_sel:DWORD src1_sel:BYTE_3
	v_sub_u32_e32 v24, 29, v24
	v_and_b32_e32 v10, 7, v10
	v_cmp_eq_u16_e32 vcc, 0, v22
	v_cndmask_b32_e32 v10, v14, v10, vcc
	v_cndmask_b32_e32 v14, v23, v24, vcc
	v_mov_b32_e32 v22, 0x3b800000
	v_lshlrev_b32_e32 v10, 20, v10
	v_lshl_add_u32 v14, v14, 23, v22
	v_or3_b32 v14, v21, v14, v10
.LBB23_1312:
	s_or_b64 exec, exec, s[6:7]
	s_nop 0
	v_mfma_f32_16x16x4f32 a[0:3], v20, v14, a[0:3]
	s_movk_i32 s4, 0x7f
	v_cmp_gt_i16_sdwa s[6:7], v15, s4 src0_sel:BYTE_0 src1_sel:DWORD
	s_mov_b64 s[4:5], 0
                                        ; implicit-def: $sgpr10
	s_and_saveexec_b64 s[8:9], s[6:7]
	s_xor_b64 s[6:7], exec, s[8:9]
	s_cbranch_execnz .LBB23_3361
; %bb.1313:
	s_or_saveexec_b64 s[6:7], s[6:7]
	v_mov_b32_e32 v10, s10
	s_xor_b64 exec, exec, s[6:7]
	s_cbranch_execnz .LBB23_3364
.LBB23_1314:
	s_or_b64 exec, exec, s[6:7]
	s_and_saveexec_b64 s[6:7], s[4:5]
	s_cbranch_execz .LBB23_1316
.LBB23_1315:
	v_and_b32_e32 v10, 7, v15
	v_ffbh_u32_e32 v20, v10
	v_min_u32_e32 v20, 32, v20
	v_lshrrev_b16_e32 v14, 3, v15
	v_subrev_u32_e32 v21, 28, v20
	v_and_b32_e32 v14, 15, v14
	v_lshlrev_b32_e32 v21, v21, v15
	v_sub_u32_e32 v20, 29, v20
	v_and_b32_e32 v21, 7, v21
	v_cmp_eq_u16_e32 vcc, 0, v14
	v_cndmask_b32_e32 v10, v10, v21, vcc
	v_cndmask_b32_e32 v14, v14, v20, vcc
	v_lshlrev_b32_e32 v20, 24, v15
	v_mov_b32_e32 v21, 0x3b800000
	v_lshlrev_b32_e32 v10, 20, v10
	v_and_b32_e32 v20, 0x80000000, v20
	v_lshl_add_u32 v14, v14, 23, v21
	v_or3_b32 v10, v20, v14, v10
.LBB23_1316:
	s_or_b64 exec, exec, s[6:7]
	s_movk_i32 s4, 0x7f
	v_cmp_gt_i16_sdwa s[6:7], v11, s4 src0_sel:BYTE_0 src1_sel:DWORD
	s_mov_b64 s[4:5], 0
                                        ; implicit-def: $sgpr10
	s_and_saveexec_b64 s[8:9], s[6:7]
	s_xor_b64 s[6:7], exec, s[8:9]
	s_cbranch_execnz .LBB23_3365
; %bb.1317:
	s_or_saveexec_b64 s[6:7], s[6:7]
	v_mov_b32_e32 v14, s10
	s_xor_b64 exec, exec, s[6:7]
	s_cbranch_execnz .LBB23_3368
.LBB23_1318:
	s_or_b64 exec, exec, s[6:7]
	s_and_saveexec_b64 s[6:7], s[4:5]
	s_cbranch_execz .LBB23_1320
.LBB23_1319:
	v_and_b32_e32 v14, 7, v11
	v_ffbh_u32_e32 v21, v14
	v_min_u32_e32 v21, 32, v21
	v_lshrrev_b16_e32 v20, 3, v11
	v_subrev_u32_e32 v22, 28, v21
	v_and_b32_e32 v20, 15, v20
	v_lshlrev_b32_e32 v22, v22, v11
	v_sub_u32_e32 v21, 29, v21
	v_and_b32_e32 v22, 7, v22
	v_cmp_eq_u16_e32 vcc, 0, v20
	v_cndmask_b32_e32 v14, v14, v22, vcc
	v_cndmask_b32_e32 v20, v20, v21, vcc
	v_lshlrev_b32_e32 v21, 24, v11
	v_mov_b32_e32 v22, 0x3b800000
	v_lshlrev_b32_e32 v14, 20, v14
	v_and_b32_e32 v21, 0x80000000, v21
	v_lshl_add_u32 v20, v20, 23, v22
	v_or3_b32 v14, v21, v20, v14
.LBB23_1320:
	s_or_b64 exec, exec, s[6:7]
	s_nop 0
	v_mfma_f32_16x16x4f32 a[0:3], v10, v14, a[0:3]
	v_lshrrev_b32_e32 v14, 8, v15
	s_movk_i32 s4, 0x7f
	v_cmp_gt_i16_sdwa s[6:7], v14, s4 src0_sel:BYTE_0 src1_sel:DWORD
	s_mov_b64 s[4:5], 0
                                        ; implicit-def: $sgpr10
	s_and_saveexec_b64 s[8:9], s[6:7]
	s_xor_b64 s[6:7], exec, s[8:9]
	s_cbranch_execnz .LBB23_3369
; %bb.1321:
	s_or_saveexec_b64 s[6:7], s[6:7]
	v_mov_b32_e32 v10, s10
	s_xor_b64 exec, exec, s[6:7]
	s_cbranch_execnz .LBB23_3372
.LBB23_1322:
	s_or_b64 exec, exec, s[6:7]
	s_and_saveexec_b64 s[6:7], s[4:5]
	s_cbranch_execz .LBB23_1324
.LBB23_1323:
	v_bfe_u32 v10, v15, 8, 3
	v_ffbh_u32_e32 v21, v10
	v_min_u32_e32 v21, 32, v21
	v_lshrrev_b16_e32 v20, 3, v14
	v_subrev_u32_e32 v22, 28, v21
	v_and_b32_e32 v20, 15, v20
	v_lshlrev_b32_e32 v14, v22, v14
	v_sub_u32_e32 v21, 29, v21
	v_and_b32_e32 v14, 7, v14
	v_cmp_eq_u16_e32 vcc, 0, v20
	v_cndmask_b32_e32 v10, v10, v14, vcc
	v_cndmask_b32_e32 v14, v20, v21, vcc
	v_lshlrev_b32_e32 v20, 16, v15
	v_mov_b32_e32 v21, 0x3b800000
	v_lshlrev_b32_e32 v10, 20, v10
	v_and_b32_e32 v20, 0x80000000, v20
	v_lshl_add_u32 v14, v14, 23, v21
	v_or3_b32 v10, v20, v14, v10
.LBB23_1324:
	s_or_b64 exec, exec, s[6:7]
	v_lshrrev_b32_e32 v14, 8, v11
	s_movk_i32 s4, 0x7f
	v_cmp_gt_i16_sdwa s[6:7], v14, s4 src0_sel:BYTE_0 src1_sel:DWORD
	s_mov_b64 s[4:5], 0
                                        ; implicit-def: $sgpr10
	s_and_saveexec_b64 s[8:9], s[6:7]
	s_xor_b64 s[6:7], exec, s[8:9]
	s_cbranch_execnz .LBB23_3373
; %bb.1325:
	s_or_saveexec_b64 s[6:7], s[6:7]
	v_mov_b32_e32 v20, s10
	s_xor_b64 exec, exec, s[6:7]
	s_cbranch_execnz .LBB23_3376
.LBB23_1326:
	s_or_b64 exec, exec, s[6:7]
	s_and_saveexec_b64 s[6:7], s[4:5]
	s_cbranch_execz .LBB23_1328
.LBB23_1327:
	v_bfe_u32 v20, v11, 8, 3
	v_ffbh_u32_e32 v22, v20
	v_min_u32_e32 v22, 32, v22
	v_lshrrev_b16_e32 v21, 3, v14
	v_subrev_u32_e32 v23, 28, v22
	v_and_b32_e32 v21, 15, v21
	v_lshlrev_b32_e32 v14, v23, v14
	v_sub_u32_e32 v22, 29, v22
	v_and_b32_e32 v14, 7, v14
	v_cmp_eq_u16_e32 vcc, 0, v21
	v_cndmask_b32_e32 v14, v20, v14, vcc
	v_cndmask_b32_e32 v20, v21, v22, vcc
	v_lshlrev_b32_e32 v21, 16, v11
	v_mov_b32_e32 v22, 0x3b800000
	v_lshlrev_b32_e32 v14, 20, v14
	v_and_b32_e32 v21, 0x80000000, v21
	v_lshl_add_u32 v20, v20, 23, v22
	v_or3_b32 v20, v21, v20, v14
.LBB23_1328:
	s_or_b64 exec, exec, s[6:7]
	s_nop 0
	v_mfma_f32_16x16x4f32 a[0:3], v10, v20, a[0:3]
	s_movk_i32 s4, 0xff
	v_and_b32_sdwa v14, v15, s4 dst_sel:DWORD dst_unused:UNUSED_PAD src0_sel:WORD_1 src1_sel:DWORD
	s_movk_i32 s4, 0x7f
	v_cmp_lt_i16_e32 vcc, s4, v14
	s_mov_b64 s[4:5], 0
                                        ; implicit-def: $sgpr10
	s_and_saveexec_b64 s[6:7], vcc
	s_xor_b64 s[6:7], exec, s[6:7]
	s_cbranch_execnz .LBB23_3377
; %bb.1329:
	s_or_saveexec_b64 s[6:7], s[6:7]
	v_mov_b32_e32 v10, s10
	s_xor_b64 exec, exec, s[6:7]
	s_cbranch_execnz .LBB23_3380
.LBB23_1330:
	s_or_b64 exec, exec, s[6:7]
	s_and_saveexec_b64 s[6:7], s[4:5]
	s_cbranch_execz .LBB23_1332
.LBB23_1331:
	v_bfe_u32 v10, v15, 16, 3
	v_ffbh_u32_e32 v21, v10
	v_min_u32_e32 v21, 32, v21
	v_lshrrev_b32_e32 v14, 19, v15
	v_subrev_u32_e32 v22, 28, v21
	v_and_b32_e32 v14, 15, v14
	v_lshlrev_b32_sdwa v22, v22, v15 dst_sel:DWORD dst_unused:UNUSED_PAD src0_sel:DWORD src1_sel:WORD_1
	v_bfe_u32 v20, v15, 19, 4
	v_sub_u32_e32 v21, 29, v21
	v_and_b32_e32 v22, 7, v22
	v_cmp_eq_u16_e32 vcc, 0, v14
	v_cndmask_b32_e32 v10, v10, v22, vcc
	v_cndmask_b32_e32 v14, v20, v21, vcc
	v_lshlrev_b32_e32 v20, 8, v15
	v_mov_b32_e32 v21, 0x3b800000
	v_lshlrev_b32_e32 v10, 20, v10
	v_and_b32_e32 v20, 0x80000000, v20
	v_lshl_add_u32 v14, v14, 23, v21
	v_or3_b32 v10, v20, v14, v10
.LBB23_1332:
	s_or_b64 exec, exec, s[6:7]
	s_movk_i32 s4, 0xff
	v_and_b32_sdwa v14, v11, s4 dst_sel:DWORD dst_unused:UNUSED_PAD src0_sel:WORD_1 src1_sel:DWORD
	s_movk_i32 s4, 0x7f
	v_cmp_lt_i16_e32 vcc, s4, v14
	s_mov_b64 s[4:5], 0
                                        ; implicit-def: $sgpr10
	s_and_saveexec_b64 s[6:7], vcc
	s_xor_b64 s[6:7], exec, s[6:7]
	s_cbranch_execnz .LBB23_3381
; %bb.1333:
	s_or_saveexec_b64 s[6:7], s[6:7]
	v_mov_b32_e32 v20, s10
	s_xor_b64 exec, exec, s[6:7]
	s_cbranch_execnz .LBB23_3384
.LBB23_1334:
	s_or_b64 exec, exec, s[6:7]
	s_and_saveexec_b64 s[6:7], s[4:5]
	s_cbranch_execz .LBB23_1336
.LBB23_1335:
	v_bfe_u32 v14, v11, 16, 3
	v_ffbh_u32_e32 v22, v14
	v_min_u32_e32 v22, 32, v22
	v_lshrrev_b32_e32 v20, 19, v11
	v_subrev_u32_e32 v23, 28, v22
	v_and_b32_e32 v20, 15, v20
	v_lshlrev_b32_sdwa v23, v23, v11 dst_sel:DWORD dst_unused:UNUSED_PAD src0_sel:DWORD src1_sel:WORD_1
	v_bfe_u32 v21, v11, 19, 4
	v_sub_u32_e32 v22, 29, v22
	v_and_b32_e32 v23, 7, v23
	v_cmp_eq_u16_e32 vcc, 0, v20
	v_cndmask_b32_e32 v14, v14, v23, vcc
	v_cndmask_b32_e32 v20, v21, v22, vcc
	v_lshlrev_b32_e32 v21, 8, v11
	v_mov_b32_e32 v22, 0x3b800000
	v_lshlrev_b32_e32 v14, 20, v14
	v_and_b32_e32 v21, 0x80000000, v21
	v_lshl_add_u32 v20, v20, 23, v22
	v_or3_b32 v20, v21, v20, v14
.LBB23_1336:
	s_or_b64 exec, exec, s[6:7]
	s_nop 0
	v_mfma_f32_16x16x4f32 a[0:3], v10, v20, a[0:3]
	s_movk_i32 s4, 0x7f
	v_cmp_gt_i16_sdwa s[6:7], v15, s4 src0_sel:BYTE_3 src1_sel:DWORD
	s_mov_b64 s[4:5], 0
                                        ; implicit-def: $sgpr10
	s_and_saveexec_b64 s[8:9], s[6:7]
	s_xor_b64 s[6:7], exec, s[8:9]
	s_cbranch_execnz .LBB23_3385
; %bb.1337:
	s_or_saveexec_b64 s[6:7], s[6:7]
	v_mov_b32_e32 v10, s10
	s_xor_b64 exec, exec, s[6:7]
	s_cbranch_execnz .LBB23_3388
.LBB23_1338:
	s_or_b64 exec, exec, s[6:7]
	s_and_saveexec_b64 s[6:7], s[4:5]
	s_cbranch_execz .LBB23_1340
.LBB23_1339:
	v_bfe_u32 v10, v15, 24, 3
	v_ffbh_u32_e32 v22, v10
	v_min_u32_e32 v22, 32, v22
	v_lshrrev_b32_e32 v20, 27, v15
	v_subrev_u32_e32 v23, 28, v22
	v_and_b32_e32 v14, 0x80000000, v15
	v_and_b32_e32 v20, 15, v20
	v_bfe_u32 v21, v15, 27, 4
	v_lshlrev_b32_sdwa v15, v23, v15 dst_sel:DWORD dst_unused:UNUSED_PAD src0_sel:DWORD src1_sel:BYTE_3
	v_sub_u32_e32 v22, 29, v22
	v_and_b32_e32 v15, 7, v15
	v_cmp_eq_u16_e32 vcc, 0, v20
	v_cndmask_b32_e32 v10, v10, v15, vcc
	v_cndmask_b32_e32 v15, v21, v22, vcc
	v_mov_b32_e32 v20, 0x3b800000
	v_lshlrev_b32_e32 v10, 20, v10
	v_lshl_add_u32 v15, v15, 23, v20
	v_or3_b32 v10, v14, v15, v10
.LBB23_1340:
	s_or_b64 exec, exec, s[6:7]
	s_movk_i32 s4, 0x7f
	v_cmp_gt_i16_sdwa s[6:7], v11, s4 src0_sel:BYTE_3 src1_sel:DWORD
	s_mov_b64 s[4:5], 0
                                        ; implicit-def: $sgpr10
	s_and_saveexec_b64 s[8:9], s[6:7]
	s_xor_b64 s[6:7], exec, s[8:9]
	s_cbranch_execnz .LBB23_3389
; %bb.1341:
	s_or_saveexec_b64 s[6:7], s[6:7]
	v_mov_b32_e32 v14, s10
	s_xor_b64 exec, exec, s[6:7]
	s_cbranch_execnz .LBB23_3392
.LBB23_1342:
	s_or_b64 exec, exec, s[6:7]
	s_and_saveexec_b64 s[6:7], s[4:5]
	s_cbranch_execz .LBB23_1344
.LBB23_1343:
	v_bfe_u32 v14, v11, 24, 3
	v_ffbh_u32_e32 v22, v14
	v_min_u32_e32 v22, 32, v22
	v_lshrrev_b32_e32 v20, 27, v11
	v_subrev_u32_e32 v23, 28, v22
	v_and_b32_e32 v15, 0x80000000, v11
	v_and_b32_e32 v20, 15, v20
	v_bfe_u32 v21, v11, 27, 4
	v_lshlrev_b32_sdwa v11, v23, v11 dst_sel:DWORD dst_unused:UNUSED_PAD src0_sel:DWORD src1_sel:BYTE_3
	v_sub_u32_e32 v22, 29, v22
	v_and_b32_e32 v11, 7, v11
	v_cmp_eq_u16_e32 vcc, 0, v20
	v_cndmask_b32_e32 v11, v14, v11, vcc
	v_cndmask_b32_e32 v14, v21, v22, vcc
	v_mov_b32_e32 v20, 0x3b800000
	v_lshlrev_b32_e32 v11, 20, v11
	v_lshl_add_u32 v14, v14, 23, v20
	v_or3_b32 v14, v15, v14, v11
.LBB23_1344:
	s_or_b64 exec, exec, s[6:7]
	s_nop 0
	v_mfma_f32_16x16x4f32 a[0:3], v10, v14, a[0:3]
	s_movk_i32 s4, 0x7f
	v_cmp_gt_i16_sdwa s[6:7], v16, s4 src0_sel:BYTE_0 src1_sel:DWORD
	s_mov_b64 s[4:5], 0
                                        ; implicit-def: $sgpr10
	s_and_saveexec_b64 s[8:9], s[6:7]
	s_xor_b64 s[6:7], exec, s[8:9]
	s_cbranch_execnz .LBB23_3393
; %bb.1345:
	s_or_saveexec_b64 s[6:7], s[6:7]
	v_mov_b32_e32 v10, s10
	s_xor_b64 exec, exec, s[6:7]
	s_cbranch_execnz .LBB23_3396
.LBB23_1346:
	s_or_b64 exec, exec, s[6:7]
	s_and_saveexec_b64 s[6:7], s[4:5]
	s_cbranch_execz .LBB23_1348
.LBB23_1347:
	v_and_b32_e32 v10, 7, v16
	v_ffbh_u32_e32 v14, v10
	v_min_u32_e32 v14, 32, v14
	v_lshrrev_b16_e32 v11, 3, v16
	v_subrev_u32_e32 v15, 28, v14
	v_and_b32_e32 v11, 15, v11
	v_lshlrev_b32_e32 v15, v15, v16
	v_sub_u32_e32 v14, 29, v14
	v_and_b32_e32 v15, 7, v15
	v_cmp_eq_u16_e32 vcc, 0, v11
	v_cndmask_b32_e32 v10, v10, v15, vcc
	v_cndmask_b32_e32 v11, v11, v14, vcc
	v_lshlrev_b32_e32 v14, 24, v16
	v_mov_b32_e32 v15, 0x3b800000
	v_lshlrev_b32_e32 v10, 20, v10
	v_and_b32_e32 v14, 0x80000000, v14
	v_lshl_add_u32 v11, v11, 23, v15
	v_or3_b32 v10, v14, v11, v10
.LBB23_1348:
	s_or_b64 exec, exec, s[6:7]
	s_movk_i32 s4, 0x7f
	v_cmp_gt_i16_sdwa s[6:7], v12, s4 src0_sel:BYTE_0 src1_sel:DWORD
	s_mov_b64 s[4:5], 0
                                        ; implicit-def: $sgpr10
	s_and_saveexec_b64 s[8:9], s[6:7]
	s_xor_b64 s[6:7], exec, s[8:9]
	s_cbranch_execnz .LBB23_3397
; %bb.1349:
	s_or_saveexec_b64 s[6:7], s[6:7]
	v_mov_b32_e32 v11, s10
	s_xor_b64 exec, exec, s[6:7]
	s_cbranch_execnz .LBB23_3400
.LBB23_1350:
	s_or_b64 exec, exec, s[6:7]
	s_and_saveexec_b64 s[6:7], s[4:5]
	s_cbranch_execz .LBB23_1352
.LBB23_1351:
	v_and_b32_e32 v11, 7, v12
	v_ffbh_u32_e32 v15, v11
	v_min_u32_e32 v15, 32, v15
	v_lshrrev_b16_e32 v14, 3, v12
	v_subrev_u32_e32 v20, 28, v15
	v_and_b32_e32 v14, 15, v14
	v_lshlrev_b32_e32 v20, v20, v12
	v_sub_u32_e32 v15, 29, v15
	v_and_b32_e32 v20, 7, v20
	v_cmp_eq_u16_e32 vcc, 0, v14
	v_cndmask_b32_e32 v11, v11, v20, vcc
	v_cndmask_b32_e32 v14, v14, v15, vcc
	v_lshlrev_b32_e32 v15, 24, v12
	v_mov_b32_e32 v20, 0x3b800000
	v_lshlrev_b32_e32 v11, 20, v11
	v_and_b32_e32 v15, 0x80000000, v15
	v_lshl_add_u32 v14, v14, 23, v20
	v_or3_b32 v11, v15, v14, v11
.LBB23_1352:
	s_or_b64 exec, exec, s[6:7]
	s_nop 0
	v_mfma_f32_16x16x4f32 a[0:3], v10, v11, a[0:3]
	v_lshrrev_b32_e32 v11, 8, v16
	s_movk_i32 s4, 0x7f
	v_cmp_gt_i16_sdwa s[6:7], v11, s4 src0_sel:BYTE_0 src1_sel:DWORD
	s_mov_b64 s[4:5], 0
                                        ; implicit-def: $sgpr10
	s_and_saveexec_b64 s[8:9], s[6:7]
	s_xor_b64 s[6:7], exec, s[8:9]
	s_cbranch_execnz .LBB23_3401
; %bb.1353:
	s_or_saveexec_b64 s[6:7], s[6:7]
	v_mov_b32_e32 v10, s10
	s_xor_b64 exec, exec, s[6:7]
	s_cbranch_execnz .LBB23_3404
.LBB23_1354:
	s_or_b64 exec, exec, s[6:7]
	s_and_saveexec_b64 s[6:7], s[4:5]
	s_cbranch_execz .LBB23_1356
.LBB23_1355:
	v_bfe_u32 v10, v16, 8, 3
	v_ffbh_u32_e32 v15, v10
	v_min_u32_e32 v15, 32, v15
	v_lshrrev_b16_e32 v14, 3, v11
	v_subrev_u32_e32 v20, 28, v15
	v_and_b32_e32 v14, 15, v14
	v_lshlrev_b32_e32 v11, v20, v11
	v_sub_u32_e32 v15, 29, v15
	v_and_b32_e32 v11, 7, v11
	v_cmp_eq_u16_e32 vcc, 0, v14
	v_cndmask_b32_e32 v10, v10, v11, vcc
	v_cndmask_b32_e32 v11, v14, v15, vcc
	v_lshlrev_b32_e32 v14, 16, v16
	v_mov_b32_e32 v15, 0x3b800000
	v_lshlrev_b32_e32 v10, 20, v10
	v_and_b32_e32 v14, 0x80000000, v14
	v_lshl_add_u32 v11, v11, 23, v15
	v_or3_b32 v10, v14, v11, v10
.LBB23_1356:
	s_or_b64 exec, exec, s[6:7]
	v_lshrrev_b32_e32 v11, 8, v12
	s_movk_i32 s4, 0x7f
	v_cmp_gt_i16_sdwa s[6:7], v11, s4 src0_sel:BYTE_0 src1_sel:DWORD
	s_mov_b64 s[4:5], 0
                                        ; implicit-def: $sgpr10
	s_and_saveexec_b64 s[8:9], s[6:7]
	s_xor_b64 s[6:7], exec, s[8:9]
	s_cbranch_execnz .LBB23_3405
; %bb.1357:
	s_or_saveexec_b64 s[6:7], s[6:7]
	v_mov_b32_e32 v14, s10
	s_xor_b64 exec, exec, s[6:7]
	s_cbranch_execnz .LBB23_3408
.LBB23_1358:
	s_or_b64 exec, exec, s[6:7]
	s_and_saveexec_b64 s[6:7], s[4:5]
	s_cbranch_execz .LBB23_1360
.LBB23_1359:
	v_bfe_u32 v14, v12, 8, 3
	v_ffbh_u32_e32 v20, v14
	v_min_u32_e32 v20, 32, v20
	v_lshrrev_b16_e32 v15, 3, v11
	v_subrev_u32_e32 v21, 28, v20
	v_and_b32_e32 v15, 15, v15
	v_lshlrev_b32_e32 v11, v21, v11
	v_sub_u32_e32 v20, 29, v20
	v_and_b32_e32 v11, 7, v11
	v_cmp_eq_u16_e32 vcc, 0, v15
	v_cndmask_b32_e32 v11, v14, v11, vcc
	v_cndmask_b32_e32 v14, v15, v20, vcc
	v_lshlrev_b32_e32 v15, 16, v12
	v_mov_b32_e32 v20, 0x3b800000
	v_lshlrev_b32_e32 v11, 20, v11
	v_and_b32_e32 v15, 0x80000000, v15
	v_lshl_add_u32 v14, v14, 23, v20
	v_or3_b32 v14, v15, v14, v11
.LBB23_1360:
	s_or_b64 exec, exec, s[6:7]
	s_nop 0
	v_mfma_f32_16x16x4f32 a[0:3], v10, v14, a[0:3]
	s_movk_i32 s4, 0xff
	v_and_b32_sdwa v11, v16, s4 dst_sel:DWORD dst_unused:UNUSED_PAD src0_sel:WORD_1 src1_sel:DWORD
	s_movk_i32 s4, 0x7f
	v_cmp_lt_i16_e32 vcc, s4, v11
	s_mov_b64 s[4:5], 0
                                        ; implicit-def: $sgpr10
	s_and_saveexec_b64 s[6:7], vcc
	s_xor_b64 s[6:7], exec, s[6:7]
	s_cbranch_execnz .LBB23_3409
; %bb.1361:
	s_or_saveexec_b64 s[6:7], s[6:7]
	v_mov_b32_e32 v10, s10
	s_xor_b64 exec, exec, s[6:7]
	s_cbranch_execnz .LBB23_3412
.LBB23_1362:
	s_or_b64 exec, exec, s[6:7]
	s_and_saveexec_b64 s[6:7], s[4:5]
	s_cbranch_execz .LBB23_1364
.LBB23_1363:
	v_bfe_u32 v10, v16, 16, 3
	v_ffbh_u32_e32 v15, v10
	v_min_u32_e32 v15, 32, v15
	v_lshrrev_b32_e32 v11, 19, v16
	v_subrev_u32_e32 v20, 28, v15
	v_and_b32_e32 v11, 15, v11
	v_lshlrev_b32_sdwa v20, v20, v16 dst_sel:DWORD dst_unused:UNUSED_PAD src0_sel:DWORD src1_sel:WORD_1
	v_bfe_u32 v14, v16, 19, 4
	v_sub_u32_e32 v15, 29, v15
	v_and_b32_e32 v20, 7, v20
	v_cmp_eq_u16_e32 vcc, 0, v11
	v_cndmask_b32_e32 v10, v10, v20, vcc
	v_cndmask_b32_e32 v11, v14, v15, vcc
	v_lshlrev_b32_e32 v14, 8, v16
	v_mov_b32_e32 v15, 0x3b800000
	v_lshlrev_b32_e32 v10, 20, v10
	v_and_b32_e32 v14, 0x80000000, v14
	v_lshl_add_u32 v11, v11, 23, v15
	v_or3_b32 v10, v14, v11, v10
.LBB23_1364:
	s_or_b64 exec, exec, s[6:7]
	s_movk_i32 s4, 0xff
	v_and_b32_sdwa v11, v12, s4 dst_sel:DWORD dst_unused:UNUSED_PAD src0_sel:WORD_1 src1_sel:DWORD
	s_movk_i32 s4, 0x7f
	v_cmp_lt_i16_e32 vcc, s4, v11
	s_mov_b64 s[4:5], 0
                                        ; implicit-def: $sgpr10
	s_and_saveexec_b64 s[6:7], vcc
	s_xor_b64 s[6:7], exec, s[6:7]
	s_cbranch_execnz .LBB23_3413
; %bb.1365:
	s_or_saveexec_b64 s[6:7], s[6:7]
	v_mov_b32_e32 v14, s10
	s_xor_b64 exec, exec, s[6:7]
	s_cbranch_execnz .LBB23_3416
.LBB23_1366:
	s_or_b64 exec, exec, s[6:7]
	s_and_saveexec_b64 s[6:7], s[4:5]
	s_cbranch_execz .LBB23_1368
.LBB23_1367:
	v_bfe_u32 v11, v12, 16, 3
	v_ffbh_u32_e32 v20, v11
	v_min_u32_e32 v20, 32, v20
	v_lshrrev_b32_e32 v14, 19, v12
	v_subrev_u32_e32 v21, 28, v20
	v_and_b32_e32 v14, 15, v14
	v_lshlrev_b32_sdwa v21, v21, v12 dst_sel:DWORD dst_unused:UNUSED_PAD src0_sel:DWORD src1_sel:WORD_1
	v_bfe_u32 v15, v12, 19, 4
	v_sub_u32_e32 v20, 29, v20
	v_and_b32_e32 v21, 7, v21
	v_cmp_eq_u16_e32 vcc, 0, v14
	v_cndmask_b32_e32 v11, v11, v21, vcc
	v_cndmask_b32_e32 v14, v15, v20, vcc
	v_lshlrev_b32_e32 v15, 8, v12
	v_mov_b32_e32 v20, 0x3b800000
	v_lshlrev_b32_e32 v11, 20, v11
	v_and_b32_e32 v15, 0x80000000, v15
	v_lshl_add_u32 v14, v14, 23, v20
	v_or3_b32 v14, v15, v14, v11
.LBB23_1368:
	s_or_b64 exec, exec, s[6:7]
	s_nop 0
	v_mfma_f32_16x16x4f32 a[0:3], v10, v14, a[0:3]
	s_movk_i32 s4, 0x7f
	v_cmp_gt_i16_sdwa s[6:7], v16, s4 src0_sel:BYTE_3 src1_sel:DWORD
	s_mov_b64 s[4:5], 0
                                        ; implicit-def: $sgpr10
	s_and_saveexec_b64 s[8:9], s[6:7]
	s_xor_b64 s[6:7], exec, s[8:9]
	s_cbranch_execnz .LBB23_3417
; %bb.1369:
	s_or_saveexec_b64 s[6:7], s[6:7]
	v_mov_b32_e32 v10, s10
	s_xor_b64 exec, exec, s[6:7]
	s_cbranch_execnz .LBB23_3420
.LBB23_1370:
	s_or_b64 exec, exec, s[6:7]
	s_and_saveexec_b64 s[6:7], s[4:5]
	s_cbranch_execz .LBB23_1372
.LBB23_1371:
	v_bfe_u32 v10, v16, 24, 3
	v_ffbh_u32_e32 v20, v10
	v_min_u32_e32 v20, 32, v20
	v_lshrrev_b32_e32 v14, 27, v16
	v_subrev_u32_e32 v21, 28, v20
	v_and_b32_e32 v11, 0x80000000, v16
	v_and_b32_e32 v14, 15, v14
	v_bfe_u32 v15, v16, 27, 4
	v_lshlrev_b32_sdwa v16, v21, v16 dst_sel:DWORD dst_unused:UNUSED_PAD src0_sel:DWORD src1_sel:BYTE_3
	v_sub_u32_e32 v20, 29, v20
	v_and_b32_e32 v16, 7, v16
	v_cmp_eq_u16_e32 vcc, 0, v14
	v_cndmask_b32_e32 v10, v10, v16, vcc
	v_cndmask_b32_e32 v14, v15, v20, vcc
	v_mov_b32_e32 v15, 0x3b800000
	v_lshlrev_b32_e32 v10, 20, v10
	v_lshl_add_u32 v14, v14, 23, v15
	v_or3_b32 v10, v11, v14, v10
.LBB23_1372:
	s_or_b64 exec, exec, s[6:7]
	s_movk_i32 s4, 0x7f
	v_cmp_gt_i16_sdwa s[6:7], v12, s4 src0_sel:BYTE_3 src1_sel:DWORD
	s_mov_b64 s[4:5], 0
                                        ; implicit-def: $sgpr10
	s_and_saveexec_b64 s[8:9], s[6:7]
	s_xor_b64 s[6:7], exec, s[8:9]
	s_cbranch_execnz .LBB23_3421
; %bb.1373:
	s_or_saveexec_b64 s[6:7], s[6:7]
	v_mov_b32_e32 v11, s10
	s_xor_b64 exec, exec, s[6:7]
	s_cbranch_execnz .LBB23_3424
.LBB23_1374:
	s_or_b64 exec, exec, s[6:7]
	s_and_saveexec_b64 s[6:7], s[4:5]
	s_cbranch_execz .LBB23_1376
.LBB23_1375:
	v_bfe_u32 v11, v12, 24, 3
	v_ffbh_u32_e32 v20, v11
	v_min_u32_e32 v20, 32, v20
	v_lshrrev_b32_e32 v15, 27, v12
	v_subrev_u32_e32 v21, 28, v20
	v_and_b32_e32 v14, 0x80000000, v12
	v_and_b32_e32 v15, 15, v15
	v_bfe_u32 v16, v12, 27, 4
	v_lshlrev_b32_sdwa v12, v21, v12 dst_sel:DWORD dst_unused:UNUSED_PAD src0_sel:DWORD src1_sel:BYTE_3
	v_sub_u32_e32 v20, 29, v20
	v_and_b32_e32 v12, 7, v12
	v_cmp_eq_u16_e32 vcc, 0, v15
	v_cndmask_b32_e32 v11, v11, v12, vcc
	v_cndmask_b32_e32 v12, v16, v20, vcc
	v_mov_b32_e32 v15, 0x3b800000
	v_lshlrev_b32_e32 v11, 20, v11
	v_lshl_add_u32 v12, v12, 23, v15
	v_or3_b32 v11, v14, v12, v11
.LBB23_1376:
	s_or_b64 exec, exec, s[6:7]
	s_nop 0
	v_mfma_f32_16x16x4f32 a[0:3], v10, v11, a[0:3]
	s_movk_i32 s4, 0x7f
	v_cmp_gt_i16_sdwa s[6:7], v17, s4 src0_sel:BYTE_0 src1_sel:DWORD
	s_mov_b64 s[4:5], 0
                                        ; implicit-def: $sgpr10
	s_and_saveexec_b64 s[8:9], s[6:7]
	s_xor_b64 s[6:7], exec, s[8:9]
	s_cbranch_execnz .LBB23_3425
; %bb.1377:
	s_or_saveexec_b64 s[6:7], s[6:7]
	v_mov_b32_e32 v10, s10
	s_xor_b64 exec, exec, s[6:7]
	s_cbranch_execnz .LBB23_3428
.LBB23_1378:
	s_or_b64 exec, exec, s[6:7]
	s_and_saveexec_b64 s[6:7], s[4:5]
	s_cbranch_execz .LBB23_1380
.LBB23_1379:
	v_and_b32_e32 v10, 7, v17
	v_ffbh_u32_e32 v12, v10
	v_min_u32_e32 v12, 32, v12
	v_lshrrev_b16_e32 v11, 3, v17
	v_subrev_u32_e32 v14, 28, v12
	v_and_b32_e32 v11, 15, v11
	v_lshlrev_b32_e32 v14, v14, v17
	v_sub_u32_e32 v12, 29, v12
	v_and_b32_e32 v14, 7, v14
	v_cmp_eq_u16_e32 vcc, 0, v11
	v_cndmask_b32_e32 v10, v10, v14, vcc
	v_cndmask_b32_e32 v11, v11, v12, vcc
	v_lshlrev_b32_e32 v12, 24, v17
	v_mov_b32_e32 v14, 0x3b800000
	v_lshlrev_b32_e32 v10, 20, v10
	v_and_b32_e32 v12, 0x80000000, v12
	v_lshl_add_u32 v11, v11, 23, v14
	v_or3_b32 v10, v12, v11, v10
.LBB23_1380:
	s_or_b64 exec, exec, s[6:7]
	s_movk_i32 s4, 0x7f
	v_cmp_gt_i16_sdwa s[6:7], v13, s4 src0_sel:BYTE_0 src1_sel:DWORD
	s_mov_b64 s[4:5], 0
                                        ; implicit-def: $sgpr10
	s_and_saveexec_b64 s[8:9], s[6:7]
	s_xor_b64 s[6:7], exec, s[8:9]
	s_cbranch_execnz .LBB23_3429
; %bb.1381:
	s_or_saveexec_b64 s[6:7], s[6:7]
	v_mov_b32_e32 v11, s10
	s_xor_b64 exec, exec, s[6:7]
	s_cbranch_execnz .LBB23_3432
.LBB23_1382:
	s_or_b64 exec, exec, s[6:7]
	s_and_saveexec_b64 s[6:7], s[4:5]
	s_cbranch_execz .LBB23_1384
.LBB23_1383:
	v_and_b32_e32 v11, 7, v13
	v_ffbh_u32_e32 v14, v11
	v_min_u32_e32 v14, 32, v14
	v_lshrrev_b16_e32 v12, 3, v13
	v_subrev_u32_e32 v15, 28, v14
	v_and_b32_e32 v12, 15, v12
	v_lshlrev_b32_e32 v15, v15, v13
	v_sub_u32_e32 v14, 29, v14
	v_and_b32_e32 v15, 7, v15
	v_cmp_eq_u16_e32 vcc, 0, v12
	v_cndmask_b32_e32 v11, v11, v15, vcc
	v_cndmask_b32_e32 v12, v12, v14, vcc
	v_lshlrev_b32_e32 v14, 24, v13
	v_mov_b32_e32 v15, 0x3b800000
	v_lshlrev_b32_e32 v11, 20, v11
	v_and_b32_e32 v14, 0x80000000, v14
	v_lshl_add_u32 v12, v12, 23, v15
	v_or3_b32 v11, v14, v12, v11
.LBB23_1384:
	s_or_b64 exec, exec, s[6:7]
	s_nop 0
	v_mfma_f32_16x16x4f32 a[0:3], v10, v11, a[0:3]
	v_lshrrev_b32_e32 v11, 8, v17
	s_movk_i32 s4, 0x7f
	v_cmp_gt_i16_sdwa s[6:7], v11, s4 src0_sel:BYTE_0 src1_sel:DWORD
	s_mov_b64 s[4:5], 0
                                        ; implicit-def: $sgpr10
	s_and_saveexec_b64 s[8:9], s[6:7]
	s_xor_b64 s[6:7], exec, s[8:9]
	s_cbranch_execnz .LBB23_3433
; %bb.1385:
	s_or_saveexec_b64 s[6:7], s[6:7]
	v_mov_b32_e32 v10, s10
	s_xor_b64 exec, exec, s[6:7]
	s_cbranch_execnz .LBB23_3436
.LBB23_1386:
	s_or_b64 exec, exec, s[6:7]
	s_and_saveexec_b64 s[6:7], s[4:5]
	s_cbranch_execz .LBB23_1388
.LBB23_1387:
	v_bfe_u32 v10, v17, 8, 3
	v_ffbh_u32_e32 v14, v10
	v_min_u32_e32 v14, 32, v14
	v_lshrrev_b16_e32 v12, 3, v11
	v_subrev_u32_e32 v15, 28, v14
	v_and_b32_e32 v12, 15, v12
	v_lshlrev_b32_e32 v11, v15, v11
	v_sub_u32_e32 v14, 29, v14
	v_and_b32_e32 v11, 7, v11
	v_cmp_eq_u16_e32 vcc, 0, v12
	v_cndmask_b32_e32 v10, v10, v11, vcc
	v_cndmask_b32_e32 v11, v12, v14, vcc
	v_lshlrev_b32_e32 v12, 16, v17
	v_mov_b32_e32 v14, 0x3b800000
	v_lshlrev_b32_e32 v10, 20, v10
	v_and_b32_e32 v12, 0x80000000, v12
	v_lshl_add_u32 v11, v11, 23, v14
	v_or3_b32 v10, v12, v11, v10
.LBB23_1388:
	s_or_b64 exec, exec, s[6:7]
	v_lshrrev_b32_e32 v11, 8, v13
	s_movk_i32 s4, 0x7f
	v_cmp_gt_i16_sdwa s[6:7], v11, s4 src0_sel:BYTE_0 src1_sel:DWORD
	s_mov_b64 s[4:5], 0
                                        ; implicit-def: $sgpr10
	s_and_saveexec_b64 s[8:9], s[6:7]
	s_xor_b64 s[6:7], exec, s[8:9]
	s_cbranch_execnz .LBB23_3437
; %bb.1389:
	s_or_saveexec_b64 s[6:7], s[6:7]
	v_mov_b32_e32 v12, s10
	s_xor_b64 exec, exec, s[6:7]
	s_cbranch_execnz .LBB23_3440
.LBB23_1390:
	s_or_b64 exec, exec, s[6:7]
	s_and_saveexec_b64 s[6:7], s[4:5]
	s_cbranch_execz .LBB23_1392
.LBB23_1391:
	v_bfe_u32 v12, v13, 8, 3
	v_ffbh_u32_e32 v15, v12
	v_min_u32_e32 v15, 32, v15
	v_lshrrev_b16_e32 v14, 3, v11
	v_subrev_u32_e32 v16, 28, v15
	v_and_b32_e32 v14, 15, v14
	v_lshlrev_b32_e32 v11, v16, v11
	v_sub_u32_e32 v15, 29, v15
	v_and_b32_e32 v11, 7, v11
	v_cmp_eq_u16_e32 vcc, 0, v14
	v_cndmask_b32_e32 v11, v12, v11, vcc
	v_cndmask_b32_e32 v12, v14, v15, vcc
	v_lshlrev_b32_e32 v14, 16, v13
	v_mov_b32_e32 v15, 0x3b800000
	v_lshlrev_b32_e32 v11, 20, v11
	v_and_b32_e32 v14, 0x80000000, v14
	v_lshl_add_u32 v12, v12, 23, v15
	v_or3_b32 v12, v14, v12, v11
.LBB23_1392:
	s_or_b64 exec, exec, s[6:7]
	s_nop 0
	v_mfma_f32_16x16x4f32 a[0:3], v10, v12, a[0:3]
	s_movk_i32 s4, 0xff
	v_and_b32_sdwa v11, v17, s4 dst_sel:DWORD dst_unused:UNUSED_PAD src0_sel:WORD_1 src1_sel:DWORD
	s_movk_i32 s4, 0x7f
	v_cmp_lt_i16_e32 vcc, s4, v11
	s_mov_b64 s[4:5], 0
                                        ; implicit-def: $sgpr10
	s_and_saveexec_b64 s[6:7], vcc
	s_xor_b64 s[6:7], exec, s[6:7]
	s_cbranch_execnz .LBB23_3441
; %bb.1393:
	s_or_saveexec_b64 s[6:7], s[6:7]
	v_mov_b32_e32 v10, s10
	s_xor_b64 exec, exec, s[6:7]
	s_cbranch_execnz .LBB23_3444
.LBB23_1394:
	s_or_b64 exec, exec, s[6:7]
	s_and_saveexec_b64 s[6:7], s[4:5]
	s_cbranch_execz .LBB23_1396
.LBB23_1395:
	v_bfe_u32 v10, v17, 16, 3
	v_ffbh_u32_e32 v14, v10
	v_min_u32_e32 v14, 32, v14
	v_lshrrev_b32_e32 v11, 19, v17
	v_subrev_u32_e32 v15, 28, v14
	v_and_b32_e32 v11, 15, v11
	v_lshlrev_b32_sdwa v15, v15, v17 dst_sel:DWORD dst_unused:UNUSED_PAD src0_sel:DWORD src1_sel:WORD_1
	v_bfe_u32 v12, v17, 19, 4
	v_sub_u32_e32 v14, 29, v14
	v_and_b32_e32 v15, 7, v15
	v_cmp_eq_u16_e32 vcc, 0, v11
	v_cndmask_b32_e32 v10, v10, v15, vcc
	v_cndmask_b32_e32 v11, v12, v14, vcc
	v_lshlrev_b32_e32 v12, 8, v17
	v_mov_b32_e32 v14, 0x3b800000
	v_lshlrev_b32_e32 v10, 20, v10
	v_and_b32_e32 v12, 0x80000000, v12
	v_lshl_add_u32 v11, v11, 23, v14
	v_or3_b32 v10, v12, v11, v10
.LBB23_1396:
	s_or_b64 exec, exec, s[6:7]
	s_movk_i32 s4, 0xff
	v_and_b32_sdwa v11, v13, s4 dst_sel:DWORD dst_unused:UNUSED_PAD src0_sel:WORD_1 src1_sel:DWORD
	s_movk_i32 s4, 0x7f
	v_cmp_lt_i16_e32 vcc, s4, v11
	s_mov_b64 s[4:5], 0
                                        ; implicit-def: $sgpr10
	s_and_saveexec_b64 s[6:7], vcc
	s_xor_b64 s[6:7], exec, s[6:7]
	s_cbranch_execnz .LBB23_3445
; %bb.1397:
	s_or_saveexec_b64 s[6:7], s[6:7]
	v_mov_b32_e32 v12, s10
	s_xor_b64 exec, exec, s[6:7]
	s_cbranch_execnz .LBB23_3448
.LBB23_1398:
	s_or_b64 exec, exec, s[6:7]
	s_and_saveexec_b64 s[6:7], s[4:5]
	s_cbranch_execz .LBB23_1400
.LBB23_1399:
	v_bfe_u32 v11, v13, 16, 3
	v_ffbh_u32_e32 v15, v11
	v_min_u32_e32 v15, 32, v15
	v_lshrrev_b32_e32 v12, 19, v13
	v_subrev_u32_e32 v16, 28, v15
	v_and_b32_e32 v12, 15, v12
	v_lshlrev_b32_sdwa v16, v16, v13 dst_sel:DWORD dst_unused:UNUSED_PAD src0_sel:DWORD src1_sel:WORD_1
	v_bfe_u32 v14, v13, 19, 4
	v_sub_u32_e32 v15, 29, v15
	v_and_b32_e32 v16, 7, v16
	v_cmp_eq_u16_e32 vcc, 0, v12
	v_cndmask_b32_e32 v11, v11, v16, vcc
	v_cndmask_b32_e32 v12, v14, v15, vcc
	v_lshlrev_b32_e32 v14, 8, v13
	v_mov_b32_e32 v15, 0x3b800000
	v_lshlrev_b32_e32 v11, 20, v11
	v_and_b32_e32 v14, 0x80000000, v14
	v_lshl_add_u32 v12, v12, 23, v15
	v_or3_b32 v12, v14, v12, v11
.LBB23_1400:
	s_or_b64 exec, exec, s[6:7]
	s_nop 0
	v_mfma_f32_16x16x4f32 a[0:3], v10, v12, a[0:3]
	s_movk_i32 s4, 0x7f
	v_cmp_gt_i16_sdwa s[6:7], v17, s4 src0_sel:BYTE_3 src1_sel:DWORD
	s_mov_b64 s[4:5], 0
                                        ; implicit-def: $sgpr10
	s_and_saveexec_b64 s[8:9], s[6:7]
	s_xor_b64 s[6:7], exec, s[8:9]
	s_cbranch_execnz .LBB23_3449
; %bb.1401:
	s_or_saveexec_b64 s[6:7], s[6:7]
	v_mov_b32_e32 v10, s10
	s_xor_b64 exec, exec, s[6:7]
	s_cbranch_execnz .LBB23_3452
.LBB23_1402:
	s_or_b64 exec, exec, s[6:7]
	s_and_saveexec_b64 s[6:7], s[4:5]
	s_cbranch_execz .LBB23_1404
.LBB23_1403:
	v_bfe_u32 v10, v17, 24, 3
	v_ffbh_u32_e32 v15, v10
	v_min_u32_e32 v15, 32, v15
	v_lshrrev_b32_e32 v12, 27, v17
	v_subrev_u32_e32 v16, 28, v15
	v_and_b32_e32 v12, 15, v12
	v_lshlrev_b32_sdwa v16, v16, v17 dst_sel:DWORD dst_unused:UNUSED_PAD src0_sel:DWORD src1_sel:BYTE_3
	v_bfe_u32 v14, v17, 27, 4
	v_sub_u32_e32 v15, 29, v15
	v_and_b32_e32 v16, 7, v16
	v_cmp_eq_u16_e32 vcc, 0, v12
	v_cndmask_b32_e32 v10, v10, v16, vcc
	v_cndmask_b32_e32 v12, v14, v15, vcc
	v_mov_b32_e32 v14, 0x3b800000
	v_and_b32_e32 v11, 0x80000000, v17
	v_lshlrev_b32_e32 v10, 20, v10
	v_lshl_add_u32 v12, v12, 23, v14
	v_or3_b32 v10, v11, v12, v10
.LBB23_1404:
	s_or_b64 exec, exec, s[6:7]
	s_movk_i32 s4, 0x7f
	v_cmp_gt_i16_sdwa s[6:7], v13, s4 src0_sel:BYTE_3 src1_sel:DWORD
	s_mov_b64 s[4:5], 0
                                        ; implicit-def: $sgpr10
	s_and_saveexec_b64 s[8:9], s[6:7]
	s_xor_b64 s[6:7], exec, s[8:9]
	s_cbranch_execnz .LBB23_3453
; %bb.1405:
	s_or_saveexec_b64 s[6:7], s[6:7]
	v_mov_b32_e32 v11, s10
	s_xor_b64 exec, exec, s[6:7]
	s_cbranch_execnz .LBB23_3456
.LBB23_1406:
	s_or_b64 exec, exec, s[6:7]
	s_and_saveexec_b64 s[6:7], s[4:5]
	s_cbranch_execz .LBB23_1408
.LBB23_1407:
	v_bfe_u32 v11, v13, 24, 3
	v_ffbh_u32_e32 v16, v11
	v_min_u32_e32 v16, 32, v16
	v_lshrrev_b32_e32 v14, 27, v13
	v_subrev_u32_e32 v17, 28, v16
	v_and_b32_e32 v12, 0x80000000, v13
	v_and_b32_e32 v14, 15, v14
	v_bfe_u32 v15, v13, 27, 4
	v_lshlrev_b32_sdwa v13, v17, v13 dst_sel:DWORD dst_unused:UNUSED_PAD src0_sel:DWORD src1_sel:BYTE_3
	v_sub_u32_e32 v16, 29, v16
	v_and_b32_e32 v13, 7, v13
	v_cmp_eq_u16_e32 vcc, 0, v14
	v_cndmask_b32_e32 v11, v11, v13, vcc
	v_cndmask_b32_e32 v13, v15, v16, vcc
	v_mov_b32_e32 v14, 0x3b800000
	v_lshlrev_b32_e32 v11, 20, v11
	v_lshl_add_u32 v13, v13, 23, v14
	v_or3_b32 v11, v12, v13, v11
.LBB23_1408:
	s_or_b64 exec, exec, s[6:7]
	s_nop 0
	v_mfma_f32_16x16x4f32 a[0:3], v10, v11, a[0:3]
	s_movk_i32 s4, 0x7f
	v_cmp_gt_i16_sdwa s[6:7], v6, s4 src0_sel:BYTE_0 src1_sel:DWORD
	s_mov_b64 s[4:5], 0
                                        ; implicit-def: $sgpr10
	s_and_saveexec_b64 s[8:9], s[6:7]
	s_xor_b64 s[6:7], exec, s[8:9]
	s_cbranch_execnz .LBB23_3457
; %bb.1409:
	s_or_saveexec_b64 s[6:7], s[6:7]
	v_mov_b32_e32 v10, s10
	s_xor_b64 exec, exec, s[6:7]
	s_cbranch_execnz .LBB23_3460
.LBB23_1410:
	s_or_b64 exec, exec, s[6:7]
	s_and_saveexec_b64 s[6:7], s[4:5]
	s_cbranch_execz .LBB23_1412
.LBB23_1411:
	v_and_b32_e32 v10, 7, v6
	v_ffbh_u32_e32 v12, v10
	v_min_u32_e32 v12, 32, v12
	v_lshrrev_b16_e32 v11, 3, v6
	v_subrev_u32_e32 v13, 28, v12
	v_and_b32_e32 v11, 15, v11
	v_lshlrev_b32_e32 v13, v13, v6
	v_sub_u32_e32 v12, 29, v12
	v_and_b32_e32 v13, 7, v13
	v_cmp_eq_u16_e32 vcc, 0, v11
	v_cndmask_b32_e32 v10, v10, v13, vcc
	v_cndmask_b32_e32 v11, v11, v12, vcc
	v_lshlrev_b32_e32 v12, 24, v6
	v_mov_b32_e32 v13, 0x3b800000
	v_lshlrev_b32_e32 v10, 20, v10
	v_and_b32_e32 v12, 0x80000000, v12
	v_lshl_add_u32 v11, v11, 23, v13
	v_or3_b32 v10, v12, v11, v10
.LBB23_1412:
	s_or_b64 exec, exec, s[6:7]
	s_movk_i32 s4, 0x7f
	v_cmp_gt_i16_sdwa s[6:7], v2, s4 src0_sel:BYTE_0 src1_sel:DWORD
	s_mov_b64 s[4:5], 0
                                        ; implicit-def: $sgpr10
	s_and_saveexec_b64 s[8:9], s[6:7]
	s_xor_b64 s[6:7], exec, s[8:9]
	s_cbranch_execnz .LBB23_3461
; %bb.1413:
	s_or_saveexec_b64 s[6:7], s[6:7]
	v_mov_b32_e32 v11, s10
	s_xor_b64 exec, exec, s[6:7]
	s_cbranch_execnz .LBB23_3464
.LBB23_1414:
	s_or_b64 exec, exec, s[6:7]
	s_and_saveexec_b64 s[6:7], s[4:5]
	s_cbranch_execz .LBB23_1416
.LBB23_1415:
	v_and_b32_e32 v11, 7, v2
	v_ffbh_u32_e32 v13, v11
	v_min_u32_e32 v13, 32, v13
	v_lshrrev_b16_e32 v12, 3, v2
	v_subrev_u32_e32 v14, 28, v13
	v_and_b32_e32 v12, 15, v12
	v_lshlrev_b32_e32 v14, v14, v2
	v_sub_u32_e32 v13, 29, v13
	v_and_b32_e32 v14, 7, v14
	v_cmp_eq_u16_e32 vcc, 0, v12
	v_cndmask_b32_e32 v11, v11, v14, vcc
	v_cndmask_b32_e32 v12, v12, v13, vcc
	v_lshlrev_b32_e32 v13, 24, v2
	v_mov_b32_e32 v14, 0x3b800000
	v_lshlrev_b32_e32 v11, 20, v11
	v_and_b32_e32 v13, 0x80000000, v13
	v_lshl_add_u32 v12, v12, 23, v14
	v_or3_b32 v11, v13, v12, v11
.LBB23_1416:
	s_or_b64 exec, exec, s[6:7]
	s_nop 0
	v_mfma_f32_16x16x4f32 a[0:3], v10, v11, a[0:3]
	v_lshrrev_b32_e32 v11, 8, v6
	s_movk_i32 s4, 0x7f
	v_cmp_gt_i16_sdwa s[6:7], v11, s4 src0_sel:BYTE_0 src1_sel:DWORD
	s_mov_b64 s[4:5], 0
                                        ; implicit-def: $sgpr10
	s_and_saveexec_b64 s[8:9], s[6:7]
	s_xor_b64 s[6:7], exec, s[8:9]
	s_cbranch_execnz .LBB23_3465
; %bb.1417:
	s_or_saveexec_b64 s[6:7], s[6:7]
	v_mov_b32_e32 v10, s10
	s_xor_b64 exec, exec, s[6:7]
	s_cbranch_execnz .LBB23_3468
.LBB23_1418:
	s_or_b64 exec, exec, s[6:7]
	s_and_saveexec_b64 s[6:7], s[4:5]
	s_cbranch_execz .LBB23_1420
.LBB23_1419:
	v_bfe_u32 v10, v6, 8, 3
	v_ffbh_u32_e32 v13, v10
	v_min_u32_e32 v13, 32, v13
	v_lshrrev_b16_e32 v12, 3, v11
	v_subrev_u32_e32 v14, 28, v13
	v_and_b32_e32 v12, 15, v12
	v_lshlrev_b32_e32 v11, v14, v11
	v_sub_u32_e32 v13, 29, v13
	v_and_b32_e32 v11, 7, v11
	v_cmp_eq_u16_e32 vcc, 0, v12
	v_cndmask_b32_e32 v10, v10, v11, vcc
	v_cndmask_b32_e32 v11, v12, v13, vcc
	v_lshlrev_b32_e32 v12, 16, v6
	v_mov_b32_e32 v13, 0x3b800000
	v_lshlrev_b32_e32 v10, 20, v10
	v_and_b32_e32 v12, 0x80000000, v12
	v_lshl_add_u32 v11, v11, 23, v13
	v_or3_b32 v10, v12, v11, v10
.LBB23_1420:
	s_or_b64 exec, exec, s[6:7]
	v_lshrrev_b32_e32 v11, 8, v2
	s_movk_i32 s4, 0x7f
	v_cmp_gt_i16_sdwa s[6:7], v11, s4 src0_sel:BYTE_0 src1_sel:DWORD
	s_mov_b64 s[4:5], 0
                                        ; implicit-def: $sgpr10
	s_and_saveexec_b64 s[8:9], s[6:7]
	s_xor_b64 s[6:7], exec, s[8:9]
	s_cbranch_execnz .LBB23_3469
; %bb.1421:
	s_or_saveexec_b64 s[6:7], s[6:7]
	v_mov_b32_e32 v12, s10
	s_xor_b64 exec, exec, s[6:7]
	s_cbranch_execnz .LBB23_3472
.LBB23_1422:
	s_or_b64 exec, exec, s[6:7]
	s_and_saveexec_b64 s[6:7], s[4:5]
	s_cbranch_execz .LBB23_1424
.LBB23_1423:
	v_bfe_u32 v12, v2, 8, 3
	v_ffbh_u32_e32 v14, v12
	v_min_u32_e32 v14, 32, v14
	v_lshrrev_b16_e32 v13, 3, v11
	v_subrev_u32_e32 v15, 28, v14
	v_and_b32_e32 v13, 15, v13
	v_lshlrev_b32_e32 v11, v15, v11
	v_sub_u32_e32 v14, 29, v14
	v_and_b32_e32 v11, 7, v11
	v_cmp_eq_u16_e32 vcc, 0, v13
	v_cndmask_b32_e32 v11, v12, v11, vcc
	v_cndmask_b32_e32 v12, v13, v14, vcc
	v_lshlrev_b32_e32 v13, 16, v2
	v_mov_b32_e32 v14, 0x3b800000
	v_lshlrev_b32_e32 v11, 20, v11
	v_and_b32_e32 v13, 0x80000000, v13
	v_lshl_add_u32 v12, v12, 23, v14
	v_or3_b32 v12, v13, v12, v11
.LBB23_1424:
	s_or_b64 exec, exec, s[6:7]
	s_nop 0
	v_mfma_f32_16x16x4f32 a[0:3], v10, v12, a[0:3]
	s_movk_i32 s4, 0xff
	v_and_b32_sdwa v11, v6, s4 dst_sel:DWORD dst_unused:UNUSED_PAD src0_sel:WORD_1 src1_sel:DWORD
	s_movk_i32 s4, 0x7f
	v_cmp_lt_i16_e32 vcc, s4, v11
	s_mov_b64 s[4:5], 0
                                        ; implicit-def: $sgpr10
	s_and_saveexec_b64 s[6:7], vcc
	s_xor_b64 s[6:7], exec, s[6:7]
	s_cbranch_execnz .LBB23_3473
; %bb.1425:
	s_or_saveexec_b64 s[6:7], s[6:7]
	v_mov_b32_e32 v10, s10
	s_xor_b64 exec, exec, s[6:7]
	s_cbranch_execnz .LBB23_3476
.LBB23_1426:
	s_or_b64 exec, exec, s[6:7]
	s_and_saveexec_b64 s[6:7], s[4:5]
	s_cbranch_execz .LBB23_1428
.LBB23_1427:
	v_bfe_u32 v10, v6, 16, 3
	v_ffbh_u32_e32 v13, v10
	v_min_u32_e32 v13, 32, v13
	v_lshrrev_b32_e32 v11, 19, v6
	v_subrev_u32_e32 v14, 28, v13
	v_and_b32_e32 v11, 15, v11
	v_lshlrev_b32_sdwa v14, v14, v6 dst_sel:DWORD dst_unused:UNUSED_PAD src0_sel:DWORD src1_sel:WORD_1
	v_bfe_u32 v12, v6, 19, 4
	v_sub_u32_e32 v13, 29, v13
	v_and_b32_e32 v14, 7, v14
	v_cmp_eq_u16_e32 vcc, 0, v11
	v_cndmask_b32_e32 v10, v10, v14, vcc
	v_cndmask_b32_e32 v11, v12, v13, vcc
	v_lshlrev_b32_e32 v12, 8, v6
	v_mov_b32_e32 v13, 0x3b800000
	v_lshlrev_b32_e32 v10, 20, v10
	v_and_b32_e32 v12, 0x80000000, v12
	v_lshl_add_u32 v11, v11, 23, v13
	v_or3_b32 v10, v12, v11, v10
.LBB23_1428:
	s_or_b64 exec, exec, s[6:7]
	s_movk_i32 s4, 0xff
	v_and_b32_sdwa v11, v2, s4 dst_sel:DWORD dst_unused:UNUSED_PAD src0_sel:WORD_1 src1_sel:DWORD
	s_movk_i32 s4, 0x7f
	v_cmp_lt_i16_e32 vcc, s4, v11
	s_mov_b64 s[4:5], 0
                                        ; implicit-def: $sgpr10
	s_and_saveexec_b64 s[6:7], vcc
	s_xor_b64 s[6:7], exec, s[6:7]
	s_cbranch_execnz .LBB23_3477
; %bb.1429:
	s_or_saveexec_b64 s[6:7], s[6:7]
	v_mov_b32_e32 v12, s10
	s_xor_b64 exec, exec, s[6:7]
	s_cbranch_execnz .LBB23_3480
.LBB23_1430:
	s_or_b64 exec, exec, s[6:7]
	s_and_saveexec_b64 s[6:7], s[4:5]
	s_cbranch_execz .LBB23_1432
.LBB23_1431:
	v_bfe_u32 v11, v2, 16, 3
	v_ffbh_u32_e32 v14, v11
	v_min_u32_e32 v14, 32, v14
	v_lshrrev_b32_e32 v12, 19, v2
	v_subrev_u32_e32 v15, 28, v14
	v_and_b32_e32 v12, 15, v12
	v_lshlrev_b32_sdwa v15, v15, v2 dst_sel:DWORD dst_unused:UNUSED_PAD src0_sel:DWORD src1_sel:WORD_1
	v_bfe_u32 v13, v2, 19, 4
	v_sub_u32_e32 v14, 29, v14
	v_and_b32_e32 v15, 7, v15
	v_cmp_eq_u16_e32 vcc, 0, v12
	v_cndmask_b32_e32 v11, v11, v15, vcc
	v_cndmask_b32_e32 v12, v13, v14, vcc
	v_lshlrev_b32_e32 v13, 8, v2
	v_mov_b32_e32 v14, 0x3b800000
	v_lshlrev_b32_e32 v11, 20, v11
	v_and_b32_e32 v13, 0x80000000, v13
	v_lshl_add_u32 v12, v12, 23, v14
	v_or3_b32 v12, v13, v12, v11
.LBB23_1432:
	s_or_b64 exec, exec, s[6:7]
	s_nop 0
	v_mfma_f32_16x16x4f32 a[0:3], v10, v12, a[0:3]
	s_movk_i32 s4, 0x7f
	v_cmp_gt_i16_sdwa s[6:7], v6, s4 src0_sel:BYTE_3 src1_sel:DWORD
	s_mov_b64 s[4:5], 0
                                        ; implicit-def: $sgpr10
	s_and_saveexec_b64 s[8:9], s[6:7]
	s_xor_b64 s[6:7], exec, s[8:9]
	s_cbranch_execnz .LBB23_3481
; %bb.1433:
	s_or_saveexec_b64 s[6:7], s[6:7]
	v_mov_b32_e32 v10, s10
	s_xor_b64 exec, exec, s[6:7]
	s_cbranch_execnz .LBB23_3484
.LBB23_1434:
	s_or_b64 exec, exec, s[6:7]
	s_and_saveexec_b64 s[6:7], s[4:5]
	s_cbranch_execz .LBB23_1436
.LBB23_1435:
	v_bfe_u32 v10, v6, 24, 3
	v_ffbh_u32_e32 v14, v10
	v_min_u32_e32 v14, 32, v14
	v_lshrrev_b32_e32 v12, 27, v6
	v_subrev_u32_e32 v15, 28, v14
	v_and_b32_e32 v11, 0x80000000, v6
	v_and_b32_e32 v12, 15, v12
	v_bfe_u32 v13, v6, 27, 4
	v_lshlrev_b32_sdwa v6, v15, v6 dst_sel:DWORD dst_unused:UNUSED_PAD src0_sel:DWORD src1_sel:BYTE_3
	v_sub_u32_e32 v14, 29, v14
	v_and_b32_e32 v6, 7, v6
	v_cmp_eq_u16_e32 vcc, 0, v12
	v_cndmask_b32_e32 v6, v10, v6, vcc
	v_cndmask_b32_e32 v10, v13, v14, vcc
	v_mov_b32_e32 v12, 0x3b800000
	v_lshlrev_b32_e32 v6, 20, v6
	v_lshl_add_u32 v10, v10, 23, v12
	v_or3_b32 v10, v11, v10, v6
.LBB23_1436:
	s_or_b64 exec, exec, s[6:7]
	s_movk_i32 s4, 0x7f
	v_cmp_gt_i16_sdwa s[6:7], v2, s4 src0_sel:BYTE_3 src1_sel:DWORD
	s_mov_b64 s[4:5], 0
                                        ; implicit-def: $sgpr10
	s_and_saveexec_b64 s[8:9], s[6:7]
	s_xor_b64 s[6:7], exec, s[8:9]
	s_cbranch_execnz .LBB23_3485
; %bb.1437:
	s_or_saveexec_b64 s[6:7], s[6:7]
	v_mov_b32_e32 v6, s10
	s_xor_b64 exec, exec, s[6:7]
	s_cbranch_execnz .LBB23_3488
.LBB23_1438:
	s_or_b64 exec, exec, s[6:7]
	s_and_saveexec_b64 s[6:7], s[4:5]
	s_cbranch_execz .LBB23_1440
.LBB23_1439:
	v_bfe_u32 v6, v2, 24, 3
	v_ffbh_u32_e32 v14, v6
	v_min_u32_e32 v14, 32, v14
	v_lshrrev_b32_e32 v12, 27, v2
	v_subrev_u32_e32 v15, 28, v14
	v_and_b32_e32 v11, 0x80000000, v2
	v_and_b32_e32 v12, 15, v12
	v_bfe_u32 v13, v2, 27, 4
	v_lshlrev_b32_sdwa v2, v15, v2 dst_sel:DWORD dst_unused:UNUSED_PAD src0_sel:DWORD src1_sel:BYTE_3
	v_sub_u32_e32 v14, 29, v14
	v_and_b32_e32 v2, 7, v2
	v_cmp_eq_u16_e32 vcc, 0, v12
	v_cndmask_b32_e32 v2, v6, v2, vcc
	v_cndmask_b32_e32 v6, v13, v14, vcc
	v_mov_b32_e32 v12, 0x3b800000
	v_lshlrev_b32_e32 v2, 20, v2
	v_lshl_add_u32 v6, v6, 23, v12
	v_or3_b32 v6, v11, v6, v2
.LBB23_1440:
	s_or_b64 exec, exec, s[6:7]
	s_nop 0
	v_mfma_f32_16x16x4f32 a[0:3], v10, v6, a[0:3]
	s_movk_i32 s4, 0x7f
	v_cmp_gt_i16_sdwa s[6:7], v7, s4 src0_sel:BYTE_0 src1_sel:DWORD
	s_mov_b64 s[4:5], 0
                                        ; implicit-def: $sgpr10
	s_and_saveexec_b64 s[8:9], s[6:7]
	s_xor_b64 s[6:7], exec, s[8:9]
	s_cbranch_execnz .LBB23_3489
; %bb.1441:
	s_or_saveexec_b64 s[6:7], s[6:7]
	v_mov_b32_e32 v2, s10
	s_xor_b64 exec, exec, s[6:7]
	s_cbranch_execnz .LBB23_3492
.LBB23_1442:
	s_or_b64 exec, exec, s[6:7]
	s_and_saveexec_b64 s[6:7], s[4:5]
	s_cbranch_execz .LBB23_1444
.LBB23_1443:
	v_and_b32_e32 v2, 7, v7
	v_ffbh_u32_e32 v10, v2
	v_min_u32_e32 v10, 32, v10
	v_lshrrev_b16_e32 v6, 3, v7
	v_subrev_u32_e32 v11, 28, v10
	v_and_b32_e32 v6, 15, v6
	v_lshlrev_b32_e32 v11, v11, v7
	v_sub_u32_e32 v10, 29, v10
	v_and_b32_e32 v11, 7, v11
	v_cmp_eq_u16_e32 vcc, 0, v6
	v_cndmask_b32_e32 v2, v2, v11, vcc
	v_cndmask_b32_e32 v6, v6, v10, vcc
	v_lshlrev_b32_e32 v10, 24, v7
	v_mov_b32_e32 v11, 0x3b800000
	v_lshlrev_b32_e32 v2, 20, v2
	v_and_b32_e32 v10, 0x80000000, v10
	v_lshl_add_u32 v6, v6, 23, v11
	v_or3_b32 v2, v10, v6, v2
.LBB23_1444:
	s_or_b64 exec, exec, s[6:7]
	s_movk_i32 s4, 0x7f
	v_cmp_gt_i16_sdwa s[6:7], v3, s4 src0_sel:BYTE_0 src1_sel:DWORD
	s_mov_b64 s[4:5], 0
                                        ; implicit-def: $sgpr10
	s_and_saveexec_b64 s[8:9], s[6:7]
	s_xor_b64 s[6:7], exec, s[8:9]
	s_cbranch_execnz .LBB23_3493
; %bb.1445:
	s_or_saveexec_b64 s[6:7], s[6:7]
	v_mov_b32_e32 v6, s10
	s_xor_b64 exec, exec, s[6:7]
	s_cbranch_execnz .LBB23_3496
.LBB23_1446:
	s_or_b64 exec, exec, s[6:7]
	s_and_saveexec_b64 s[6:7], s[4:5]
	s_cbranch_execz .LBB23_1448
.LBB23_1447:
	v_and_b32_e32 v6, 7, v3
	v_ffbh_u32_e32 v11, v6
	v_min_u32_e32 v11, 32, v11
	v_lshrrev_b16_e32 v10, 3, v3
	v_subrev_u32_e32 v12, 28, v11
	v_and_b32_e32 v10, 15, v10
	v_lshlrev_b32_e32 v12, v12, v3
	v_sub_u32_e32 v11, 29, v11
	v_and_b32_e32 v12, 7, v12
	v_cmp_eq_u16_e32 vcc, 0, v10
	v_cndmask_b32_e32 v6, v6, v12, vcc
	v_cndmask_b32_e32 v10, v10, v11, vcc
	v_lshlrev_b32_e32 v11, 24, v3
	v_mov_b32_e32 v12, 0x3b800000
	v_lshlrev_b32_e32 v6, 20, v6
	v_and_b32_e32 v11, 0x80000000, v11
	v_lshl_add_u32 v10, v10, 23, v12
	v_or3_b32 v6, v11, v10, v6
.LBB23_1448:
	s_or_b64 exec, exec, s[6:7]
	s_nop 0
	v_mfma_f32_16x16x4f32 a[0:3], v2, v6, a[0:3]
	v_lshrrev_b32_e32 v6, 8, v7
	s_movk_i32 s4, 0x7f
	v_cmp_gt_i16_sdwa s[6:7], v6, s4 src0_sel:BYTE_0 src1_sel:DWORD
	s_mov_b64 s[4:5], 0
                                        ; implicit-def: $sgpr10
	s_and_saveexec_b64 s[8:9], s[6:7]
	s_xor_b64 s[6:7], exec, s[8:9]
	s_cbranch_execnz .LBB23_3497
; %bb.1449:
	s_or_saveexec_b64 s[6:7], s[6:7]
	v_mov_b32_e32 v2, s10
	s_xor_b64 exec, exec, s[6:7]
	s_cbranch_execnz .LBB23_3500
.LBB23_1450:
	s_or_b64 exec, exec, s[6:7]
	s_and_saveexec_b64 s[6:7], s[4:5]
	s_cbranch_execz .LBB23_1452
.LBB23_1451:
	v_bfe_u32 v2, v7, 8, 3
	v_ffbh_u32_e32 v11, v2
	v_min_u32_e32 v11, 32, v11
	v_lshrrev_b16_e32 v10, 3, v6
	v_subrev_u32_e32 v12, 28, v11
	v_and_b32_e32 v10, 15, v10
	v_lshlrev_b32_e32 v6, v12, v6
	v_sub_u32_e32 v11, 29, v11
	v_and_b32_e32 v6, 7, v6
	v_cmp_eq_u16_e32 vcc, 0, v10
	v_cndmask_b32_e32 v2, v2, v6, vcc
	v_cndmask_b32_e32 v6, v10, v11, vcc
	v_lshlrev_b32_e32 v10, 16, v7
	v_mov_b32_e32 v11, 0x3b800000
	v_lshlrev_b32_e32 v2, 20, v2
	v_and_b32_e32 v10, 0x80000000, v10
	v_lshl_add_u32 v6, v6, 23, v11
	v_or3_b32 v2, v10, v6, v2
.LBB23_1452:
	s_or_b64 exec, exec, s[6:7]
	v_lshrrev_b32_e32 v6, 8, v3
	s_movk_i32 s4, 0x7f
	v_cmp_gt_i16_sdwa s[6:7], v6, s4 src0_sel:BYTE_0 src1_sel:DWORD
	s_mov_b64 s[4:5], 0
                                        ; implicit-def: $sgpr10
	s_and_saveexec_b64 s[8:9], s[6:7]
	s_xor_b64 s[6:7], exec, s[8:9]
	s_cbranch_execnz .LBB23_3501
; %bb.1453:
	s_or_saveexec_b64 s[6:7], s[6:7]
	v_mov_b32_e32 v10, s10
	s_xor_b64 exec, exec, s[6:7]
	s_cbranch_execnz .LBB23_3504
.LBB23_1454:
	s_or_b64 exec, exec, s[6:7]
	s_and_saveexec_b64 s[6:7], s[4:5]
	s_cbranch_execz .LBB23_1456
.LBB23_1455:
	v_bfe_u32 v10, v3, 8, 3
	v_ffbh_u32_e32 v12, v10
	v_min_u32_e32 v12, 32, v12
	v_lshrrev_b16_e32 v11, 3, v6
	v_subrev_u32_e32 v13, 28, v12
	v_and_b32_e32 v11, 15, v11
	v_lshlrev_b32_e32 v6, v13, v6
	v_sub_u32_e32 v12, 29, v12
	v_and_b32_e32 v6, 7, v6
	v_cmp_eq_u16_e32 vcc, 0, v11
	v_cndmask_b32_e32 v6, v10, v6, vcc
	v_cndmask_b32_e32 v10, v11, v12, vcc
	v_lshlrev_b32_e32 v11, 16, v3
	v_mov_b32_e32 v12, 0x3b800000
	v_lshlrev_b32_e32 v6, 20, v6
	v_and_b32_e32 v11, 0x80000000, v11
	v_lshl_add_u32 v10, v10, 23, v12
	v_or3_b32 v10, v11, v10, v6
.LBB23_1456:
	s_or_b64 exec, exec, s[6:7]
	s_nop 0
	v_mfma_f32_16x16x4f32 a[0:3], v2, v10, a[0:3]
	s_movk_i32 s4, 0xff
	v_and_b32_sdwa v6, v7, s4 dst_sel:DWORD dst_unused:UNUSED_PAD src0_sel:WORD_1 src1_sel:DWORD
	s_movk_i32 s4, 0x7f
	v_cmp_lt_i16_e32 vcc, s4, v6
	s_mov_b64 s[4:5], 0
                                        ; implicit-def: $sgpr10
	s_and_saveexec_b64 s[6:7], vcc
	s_xor_b64 s[6:7], exec, s[6:7]
	s_cbranch_execnz .LBB23_3505
; %bb.1457:
	s_or_saveexec_b64 s[6:7], s[6:7]
	v_mov_b32_e32 v2, s10
	s_xor_b64 exec, exec, s[6:7]
	s_cbranch_execnz .LBB23_3508
.LBB23_1458:
	s_or_b64 exec, exec, s[6:7]
	s_and_saveexec_b64 s[6:7], s[4:5]
	s_cbranch_execz .LBB23_1460
.LBB23_1459:
	v_bfe_u32 v2, v7, 16, 3
	v_ffbh_u32_e32 v11, v2
	v_min_u32_e32 v11, 32, v11
	v_lshrrev_b32_e32 v6, 19, v7
	v_subrev_u32_e32 v12, 28, v11
	v_and_b32_e32 v6, 15, v6
	v_lshlrev_b32_sdwa v12, v12, v7 dst_sel:DWORD dst_unused:UNUSED_PAD src0_sel:DWORD src1_sel:WORD_1
	v_bfe_u32 v10, v7, 19, 4
	v_sub_u32_e32 v11, 29, v11
	v_and_b32_e32 v12, 7, v12
	v_cmp_eq_u16_e32 vcc, 0, v6
	v_cndmask_b32_e32 v2, v2, v12, vcc
	v_cndmask_b32_e32 v6, v10, v11, vcc
	v_lshlrev_b32_e32 v10, 8, v7
	v_mov_b32_e32 v11, 0x3b800000
	v_lshlrev_b32_e32 v2, 20, v2
	v_and_b32_e32 v10, 0x80000000, v10
	v_lshl_add_u32 v6, v6, 23, v11
	v_or3_b32 v2, v10, v6, v2
.LBB23_1460:
	s_or_b64 exec, exec, s[6:7]
	s_movk_i32 s4, 0xff
	v_and_b32_sdwa v6, v3, s4 dst_sel:DWORD dst_unused:UNUSED_PAD src0_sel:WORD_1 src1_sel:DWORD
	s_movk_i32 s4, 0x7f
	v_cmp_lt_i16_e32 vcc, s4, v6
	s_mov_b64 s[4:5], 0
                                        ; implicit-def: $sgpr10
	s_and_saveexec_b64 s[6:7], vcc
	s_xor_b64 s[6:7], exec, s[6:7]
	s_cbranch_execnz .LBB23_3509
; %bb.1461:
	s_or_saveexec_b64 s[6:7], s[6:7]
	v_mov_b32_e32 v10, s10
	s_xor_b64 exec, exec, s[6:7]
	s_cbranch_execnz .LBB23_3512
.LBB23_1462:
	s_or_b64 exec, exec, s[6:7]
	s_and_saveexec_b64 s[6:7], s[4:5]
	s_cbranch_execz .LBB23_1464
.LBB23_1463:
	v_bfe_u32 v6, v3, 16, 3
	v_ffbh_u32_e32 v12, v6
	v_min_u32_e32 v12, 32, v12
	v_lshrrev_b32_e32 v10, 19, v3
	v_subrev_u32_e32 v13, 28, v12
	v_and_b32_e32 v10, 15, v10
	v_lshlrev_b32_sdwa v13, v13, v3 dst_sel:DWORD dst_unused:UNUSED_PAD src0_sel:DWORD src1_sel:WORD_1
	v_bfe_u32 v11, v3, 19, 4
	v_sub_u32_e32 v12, 29, v12
	v_and_b32_e32 v13, 7, v13
	v_cmp_eq_u16_e32 vcc, 0, v10
	v_cndmask_b32_e32 v6, v6, v13, vcc
	v_cndmask_b32_e32 v10, v11, v12, vcc
	v_lshlrev_b32_e32 v11, 8, v3
	v_mov_b32_e32 v12, 0x3b800000
	v_lshlrev_b32_e32 v6, 20, v6
	v_and_b32_e32 v11, 0x80000000, v11
	v_lshl_add_u32 v10, v10, 23, v12
	v_or3_b32 v10, v11, v10, v6
.LBB23_1464:
	s_or_b64 exec, exec, s[6:7]
	s_nop 0
	v_mfma_f32_16x16x4f32 a[0:3], v2, v10, a[0:3]
	s_movk_i32 s4, 0x7f
	v_cmp_gt_i16_sdwa s[6:7], v7, s4 src0_sel:BYTE_3 src1_sel:DWORD
	s_mov_b64 s[4:5], 0
                                        ; implicit-def: $sgpr10
	s_and_saveexec_b64 s[8:9], s[6:7]
	s_xor_b64 s[6:7], exec, s[8:9]
	s_cbranch_execnz .LBB23_3513
; %bb.1465:
	s_or_saveexec_b64 s[6:7], s[6:7]
	v_mov_b32_e32 v2, s10
	s_xor_b64 exec, exec, s[6:7]
	s_cbranch_execnz .LBB23_3516
.LBB23_1466:
	s_or_b64 exec, exec, s[6:7]
	s_and_saveexec_b64 s[6:7], s[4:5]
	s_cbranch_execz .LBB23_1468
.LBB23_1467:
	v_bfe_u32 v2, v7, 24, 3
	v_ffbh_u32_e32 v12, v2
	v_min_u32_e32 v12, 32, v12
	v_lshrrev_b32_e32 v10, 27, v7
	v_subrev_u32_e32 v13, 28, v12
	v_and_b32_e32 v6, 0x80000000, v7
	v_and_b32_e32 v10, 15, v10
	v_bfe_u32 v11, v7, 27, 4
	v_lshlrev_b32_sdwa v7, v13, v7 dst_sel:DWORD dst_unused:UNUSED_PAD src0_sel:DWORD src1_sel:BYTE_3
	v_sub_u32_e32 v12, 29, v12
	v_and_b32_e32 v7, 7, v7
	v_cmp_eq_u16_e32 vcc, 0, v10
	v_cndmask_b32_e32 v2, v2, v7, vcc
	v_cndmask_b32_e32 v7, v11, v12, vcc
	v_mov_b32_e32 v10, 0x3b800000
	v_lshlrev_b32_e32 v2, 20, v2
	v_lshl_add_u32 v7, v7, 23, v10
	v_or3_b32 v2, v6, v7, v2
.LBB23_1468:
	s_or_b64 exec, exec, s[6:7]
	s_movk_i32 s4, 0x7f
	v_cmp_gt_i16_sdwa s[6:7], v3, s4 src0_sel:BYTE_3 src1_sel:DWORD
	s_mov_b64 s[4:5], 0
                                        ; implicit-def: $sgpr10
	s_and_saveexec_b64 s[8:9], s[6:7]
	s_xor_b64 s[6:7], exec, s[8:9]
	s_cbranch_execnz .LBB23_3517
; %bb.1469:
	s_or_saveexec_b64 s[6:7], s[6:7]
	v_mov_b32_e32 v6, s10
	s_xor_b64 exec, exec, s[6:7]
	s_cbranch_execnz .LBB23_3520
.LBB23_1470:
	s_or_b64 exec, exec, s[6:7]
	s_and_saveexec_b64 s[6:7], s[4:5]
	s_cbranch_execz .LBB23_1472
.LBB23_1471:
	v_bfe_u32 v6, v3, 24, 3
	v_ffbh_u32_e32 v12, v6
	v_min_u32_e32 v12, 32, v12
	v_lshrrev_b32_e32 v10, 27, v3
	v_subrev_u32_e32 v13, 28, v12
	v_and_b32_e32 v7, 0x80000000, v3
	v_and_b32_e32 v10, 15, v10
	v_bfe_u32 v11, v3, 27, 4
	v_lshlrev_b32_sdwa v3, v13, v3 dst_sel:DWORD dst_unused:UNUSED_PAD src0_sel:DWORD src1_sel:BYTE_3
	v_sub_u32_e32 v12, 29, v12
	v_and_b32_e32 v3, 7, v3
	v_cmp_eq_u16_e32 vcc, 0, v10
	v_cndmask_b32_e32 v3, v6, v3, vcc
	v_cndmask_b32_e32 v6, v11, v12, vcc
	v_mov_b32_e32 v10, 0x3b800000
	v_lshlrev_b32_e32 v3, 20, v3
	v_lshl_add_u32 v6, v6, 23, v10
	v_or3_b32 v6, v7, v6, v3
.LBB23_1472:
	s_or_b64 exec, exec, s[6:7]
	s_nop 0
	v_mfma_f32_16x16x4f32 a[0:3], v2, v6, a[0:3]
	s_movk_i32 s4, 0x7f
	v_cmp_gt_i16_sdwa s[6:7], v8, s4 src0_sel:BYTE_0 src1_sel:DWORD
	s_mov_b64 s[4:5], 0
                                        ; implicit-def: $sgpr10
	s_and_saveexec_b64 s[8:9], s[6:7]
	s_xor_b64 s[6:7], exec, s[8:9]
	s_cbranch_execnz .LBB23_3521
; %bb.1473:
	s_or_saveexec_b64 s[6:7], s[6:7]
	v_mov_b32_e32 v2, s10
	s_xor_b64 exec, exec, s[6:7]
	s_cbranch_execnz .LBB23_3524
.LBB23_1474:
	s_or_b64 exec, exec, s[6:7]
	s_and_saveexec_b64 s[6:7], s[4:5]
	s_cbranch_execz .LBB23_1476
.LBB23_1475:
	v_and_b32_e32 v2, 7, v8
	v_ffbh_u32_e32 v6, v2
	v_min_u32_e32 v6, 32, v6
	v_lshrrev_b16_e32 v3, 3, v8
	v_subrev_u32_e32 v7, 28, v6
	v_and_b32_e32 v3, 15, v3
	v_lshlrev_b32_e32 v7, v7, v8
	v_sub_u32_e32 v6, 29, v6
	v_and_b32_e32 v7, 7, v7
	v_cmp_eq_u16_e32 vcc, 0, v3
	v_cndmask_b32_e32 v2, v2, v7, vcc
	v_cndmask_b32_e32 v3, v3, v6, vcc
	v_lshlrev_b32_e32 v6, 24, v8
	v_mov_b32_e32 v7, 0x3b800000
	v_lshlrev_b32_e32 v2, 20, v2
	v_and_b32_e32 v6, 0x80000000, v6
	v_lshl_add_u32 v3, v3, 23, v7
	v_or3_b32 v2, v6, v3, v2
.LBB23_1476:
	s_or_b64 exec, exec, s[6:7]
	s_movk_i32 s4, 0x7f
	v_cmp_gt_i16_sdwa s[6:7], v4, s4 src0_sel:BYTE_0 src1_sel:DWORD
	s_mov_b64 s[4:5], 0
                                        ; implicit-def: $sgpr10
	s_and_saveexec_b64 s[8:9], s[6:7]
	s_xor_b64 s[6:7], exec, s[8:9]
	s_cbranch_execnz .LBB23_3525
; %bb.1477:
	s_or_saveexec_b64 s[6:7], s[6:7]
	v_mov_b32_e32 v3, s10
	s_xor_b64 exec, exec, s[6:7]
	s_cbranch_execnz .LBB23_3528
.LBB23_1478:
	s_or_b64 exec, exec, s[6:7]
	s_and_saveexec_b64 s[6:7], s[4:5]
	s_cbranch_execz .LBB23_1480
.LBB23_1479:
	v_and_b32_e32 v3, 7, v4
	v_ffbh_u32_e32 v7, v3
	v_min_u32_e32 v7, 32, v7
	v_lshrrev_b16_e32 v6, 3, v4
	v_subrev_u32_e32 v10, 28, v7
	v_and_b32_e32 v6, 15, v6
	v_lshlrev_b32_e32 v10, v10, v4
	v_sub_u32_e32 v7, 29, v7
	v_and_b32_e32 v10, 7, v10
	v_cmp_eq_u16_e32 vcc, 0, v6
	v_cndmask_b32_e32 v3, v3, v10, vcc
	v_cndmask_b32_e32 v6, v6, v7, vcc
	v_lshlrev_b32_e32 v7, 24, v4
	v_mov_b32_e32 v10, 0x3b800000
	v_lshlrev_b32_e32 v3, 20, v3
	v_and_b32_e32 v7, 0x80000000, v7
	v_lshl_add_u32 v6, v6, 23, v10
	v_or3_b32 v3, v7, v6, v3
.LBB23_1480:
	s_or_b64 exec, exec, s[6:7]
	s_nop 0
	v_mfma_f32_16x16x4f32 a[0:3], v2, v3, a[0:3]
	v_lshrrev_b32_e32 v3, 8, v8
	s_movk_i32 s4, 0x7f
	v_cmp_gt_i16_sdwa s[6:7], v3, s4 src0_sel:BYTE_0 src1_sel:DWORD
	s_mov_b64 s[4:5], 0
                                        ; implicit-def: $sgpr10
	s_and_saveexec_b64 s[8:9], s[6:7]
	s_xor_b64 s[6:7], exec, s[8:9]
	s_cbranch_execnz .LBB23_3529
; %bb.1481:
	s_or_saveexec_b64 s[6:7], s[6:7]
	v_mov_b32_e32 v2, s10
	s_xor_b64 exec, exec, s[6:7]
	s_cbranch_execnz .LBB23_3532
.LBB23_1482:
	s_or_b64 exec, exec, s[6:7]
	s_and_saveexec_b64 s[6:7], s[4:5]
	s_cbranch_execz .LBB23_1484
.LBB23_1483:
	v_bfe_u32 v2, v8, 8, 3
	v_ffbh_u32_e32 v7, v2
	v_min_u32_e32 v7, 32, v7
	v_lshrrev_b16_e32 v6, 3, v3
	v_subrev_u32_e32 v10, 28, v7
	v_and_b32_e32 v6, 15, v6
	v_lshlrev_b32_e32 v3, v10, v3
	v_sub_u32_e32 v7, 29, v7
	v_and_b32_e32 v3, 7, v3
	v_cmp_eq_u16_e32 vcc, 0, v6
	v_cndmask_b32_e32 v2, v2, v3, vcc
	v_cndmask_b32_e32 v3, v6, v7, vcc
	v_lshlrev_b32_e32 v6, 16, v8
	v_mov_b32_e32 v7, 0x3b800000
	v_lshlrev_b32_e32 v2, 20, v2
	v_and_b32_e32 v6, 0x80000000, v6
	v_lshl_add_u32 v3, v3, 23, v7
	v_or3_b32 v2, v6, v3, v2
.LBB23_1484:
	s_or_b64 exec, exec, s[6:7]
	v_lshrrev_b32_e32 v3, 8, v4
	s_movk_i32 s4, 0x7f
	v_cmp_gt_i16_sdwa s[6:7], v3, s4 src0_sel:BYTE_0 src1_sel:DWORD
	s_mov_b64 s[4:5], 0
                                        ; implicit-def: $sgpr10
	s_and_saveexec_b64 s[8:9], s[6:7]
	s_xor_b64 s[6:7], exec, s[8:9]
	s_cbranch_execnz .LBB23_3533
; %bb.1485:
	s_or_saveexec_b64 s[6:7], s[6:7]
	v_mov_b32_e32 v6, s10
	s_xor_b64 exec, exec, s[6:7]
	s_cbranch_execnz .LBB23_3536
.LBB23_1486:
	s_or_b64 exec, exec, s[6:7]
	s_and_saveexec_b64 s[6:7], s[4:5]
	s_cbranch_execz .LBB23_1488
.LBB23_1487:
	v_bfe_u32 v6, v4, 8, 3
	v_ffbh_u32_e32 v10, v6
	v_min_u32_e32 v10, 32, v10
	v_lshrrev_b16_e32 v7, 3, v3
	v_subrev_u32_e32 v11, 28, v10
	v_and_b32_e32 v7, 15, v7
	v_lshlrev_b32_e32 v3, v11, v3
	v_sub_u32_e32 v10, 29, v10
	v_and_b32_e32 v3, 7, v3
	v_cmp_eq_u16_e32 vcc, 0, v7
	v_cndmask_b32_e32 v3, v6, v3, vcc
	v_cndmask_b32_e32 v6, v7, v10, vcc
	v_lshlrev_b32_e32 v7, 16, v4
	v_mov_b32_e32 v10, 0x3b800000
	v_lshlrev_b32_e32 v3, 20, v3
	v_and_b32_e32 v7, 0x80000000, v7
	v_lshl_add_u32 v6, v6, 23, v10
	v_or3_b32 v6, v7, v6, v3
.LBB23_1488:
	s_or_b64 exec, exec, s[6:7]
	s_nop 0
	v_mfma_f32_16x16x4f32 a[0:3], v2, v6, a[0:3]
	s_movk_i32 s4, 0xff
	v_and_b32_sdwa v3, v8, s4 dst_sel:DWORD dst_unused:UNUSED_PAD src0_sel:WORD_1 src1_sel:DWORD
	s_movk_i32 s4, 0x7f
	v_cmp_lt_i16_e32 vcc, s4, v3
	s_mov_b64 s[4:5], 0
                                        ; implicit-def: $sgpr10
	s_and_saveexec_b64 s[6:7], vcc
	s_xor_b64 s[6:7], exec, s[6:7]
	s_cbranch_execnz .LBB23_3537
; %bb.1489:
	s_or_saveexec_b64 s[6:7], s[6:7]
	v_mov_b32_e32 v2, s10
	s_xor_b64 exec, exec, s[6:7]
	s_cbranch_execnz .LBB23_3540
.LBB23_1490:
	s_or_b64 exec, exec, s[6:7]
	s_and_saveexec_b64 s[6:7], s[4:5]
	s_cbranch_execz .LBB23_1492
.LBB23_1491:
	v_bfe_u32 v2, v8, 16, 3
	v_ffbh_u32_e32 v7, v2
	v_min_u32_e32 v7, 32, v7
	v_lshrrev_b32_e32 v3, 19, v8
	v_subrev_u32_e32 v10, 28, v7
	v_and_b32_e32 v3, 15, v3
	v_lshlrev_b32_sdwa v10, v10, v8 dst_sel:DWORD dst_unused:UNUSED_PAD src0_sel:DWORD src1_sel:WORD_1
	v_bfe_u32 v6, v8, 19, 4
	v_sub_u32_e32 v7, 29, v7
	v_and_b32_e32 v10, 7, v10
	v_cmp_eq_u16_e32 vcc, 0, v3
	v_cndmask_b32_e32 v2, v2, v10, vcc
	v_cndmask_b32_e32 v3, v6, v7, vcc
	v_lshlrev_b32_e32 v6, 8, v8
	v_mov_b32_e32 v7, 0x3b800000
	v_lshlrev_b32_e32 v2, 20, v2
	v_and_b32_e32 v6, 0x80000000, v6
	v_lshl_add_u32 v3, v3, 23, v7
	v_or3_b32 v2, v6, v3, v2
.LBB23_1492:
	s_or_b64 exec, exec, s[6:7]
	s_movk_i32 s4, 0xff
	v_and_b32_sdwa v3, v4, s4 dst_sel:DWORD dst_unused:UNUSED_PAD src0_sel:WORD_1 src1_sel:DWORD
	s_movk_i32 s4, 0x7f
	v_cmp_lt_i16_e32 vcc, s4, v3
	s_mov_b64 s[4:5], 0
                                        ; implicit-def: $sgpr10
	s_and_saveexec_b64 s[6:7], vcc
	s_xor_b64 s[6:7], exec, s[6:7]
	s_cbranch_execnz .LBB23_3541
; %bb.1493:
	s_or_saveexec_b64 s[6:7], s[6:7]
	v_mov_b32_e32 v6, s10
	s_xor_b64 exec, exec, s[6:7]
	s_cbranch_execnz .LBB23_3544
.LBB23_1494:
	s_or_b64 exec, exec, s[6:7]
	s_and_saveexec_b64 s[6:7], s[4:5]
	s_cbranch_execz .LBB23_1496
.LBB23_1495:
	v_bfe_u32 v3, v4, 16, 3
	v_ffbh_u32_e32 v10, v3
	v_min_u32_e32 v10, 32, v10
	v_lshrrev_b32_e32 v6, 19, v4
	v_subrev_u32_e32 v11, 28, v10
	v_and_b32_e32 v6, 15, v6
	v_lshlrev_b32_sdwa v11, v11, v4 dst_sel:DWORD dst_unused:UNUSED_PAD src0_sel:DWORD src1_sel:WORD_1
	v_bfe_u32 v7, v4, 19, 4
	v_sub_u32_e32 v10, 29, v10
	v_and_b32_e32 v11, 7, v11
	v_cmp_eq_u16_e32 vcc, 0, v6
	v_cndmask_b32_e32 v3, v3, v11, vcc
	v_cndmask_b32_e32 v6, v7, v10, vcc
	v_lshlrev_b32_e32 v7, 8, v4
	v_mov_b32_e32 v10, 0x3b800000
	v_lshlrev_b32_e32 v3, 20, v3
	v_and_b32_e32 v7, 0x80000000, v7
	v_lshl_add_u32 v6, v6, 23, v10
	v_or3_b32 v6, v7, v6, v3
.LBB23_1496:
	s_or_b64 exec, exec, s[6:7]
	s_nop 0
	v_mfma_f32_16x16x4f32 a[0:3], v2, v6, a[0:3]
	s_movk_i32 s4, 0x7f
	v_cmp_gt_i16_sdwa s[6:7], v8, s4 src0_sel:BYTE_3 src1_sel:DWORD
	s_mov_b64 s[4:5], 0
                                        ; implicit-def: $sgpr10
	s_and_saveexec_b64 s[8:9], s[6:7]
	s_xor_b64 s[6:7], exec, s[8:9]
	s_cbranch_execnz .LBB23_3545
; %bb.1497:
	s_or_saveexec_b64 s[6:7], s[6:7]
	v_mov_b32_e32 v2, s10
	s_xor_b64 exec, exec, s[6:7]
	s_cbranch_execnz .LBB23_3548
.LBB23_1498:
	s_or_b64 exec, exec, s[6:7]
	s_and_saveexec_b64 s[6:7], s[4:5]
	s_cbranch_execz .LBB23_1500
.LBB23_1499:
	v_bfe_u32 v2, v8, 24, 3
	v_ffbh_u32_e32 v10, v2
	v_min_u32_e32 v10, 32, v10
	v_lshrrev_b32_e32 v6, 27, v8
	v_subrev_u32_e32 v11, 28, v10
	v_and_b32_e32 v3, 0x80000000, v8
	v_and_b32_e32 v6, 15, v6
	v_bfe_u32 v7, v8, 27, 4
	v_lshlrev_b32_sdwa v8, v11, v8 dst_sel:DWORD dst_unused:UNUSED_PAD src0_sel:DWORD src1_sel:BYTE_3
	v_sub_u32_e32 v10, 29, v10
	v_and_b32_e32 v8, 7, v8
	v_cmp_eq_u16_e32 vcc, 0, v6
	v_cndmask_b32_e32 v2, v2, v8, vcc
	v_cndmask_b32_e32 v6, v7, v10, vcc
	v_mov_b32_e32 v7, 0x3b800000
	v_lshlrev_b32_e32 v2, 20, v2
	v_lshl_add_u32 v6, v6, 23, v7
	v_or3_b32 v2, v3, v6, v2
.LBB23_1500:
	s_or_b64 exec, exec, s[6:7]
	s_movk_i32 s4, 0x7f
	v_cmp_gt_i16_sdwa s[6:7], v4, s4 src0_sel:BYTE_3 src1_sel:DWORD
	s_mov_b64 s[4:5], 0
                                        ; implicit-def: $sgpr10
	s_and_saveexec_b64 s[8:9], s[6:7]
	s_xor_b64 s[6:7], exec, s[8:9]
	s_cbranch_execnz .LBB23_3549
; %bb.1501:
	s_or_saveexec_b64 s[6:7], s[6:7]
	v_mov_b32_e32 v3, s10
	s_xor_b64 exec, exec, s[6:7]
	s_cbranch_execnz .LBB23_3552
.LBB23_1502:
	s_or_b64 exec, exec, s[6:7]
	s_and_saveexec_b64 s[6:7], s[4:5]
	s_cbranch_execz .LBB23_1504
.LBB23_1503:
	v_bfe_u32 v3, v4, 24, 3
	v_ffbh_u32_e32 v10, v3
	v_min_u32_e32 v10, 32, v10
	v_lshrrev_b32_e32 v7, 27, v4
	v_subrev_u32_e32 v11, 28, v10
	v_and_b32_e32 v6, 0x80000000, v4
	v_and_b32_e32 v7, 15, v7
	v_bfe_u32 v8, v4, 27, 4
	v_lshlrev_b32_sdwa v4, v11, v4 dst_sel:DWORD dst_unused:UNUSED_PAD src0_sel:DWORD src1_sel:BYTE_3
	v_sub_u32_e32 v10, 29, v10
	v_and_b32_e32 v4, 7, v4
	v_cmp_eq_u16_e32 vcc, 0, v7
	v_cndmask_b32_e32 v3, v3, v4, vcc
	v_cndmask_b32_e32 v4, v8, v10, vcc
	v_mov_b32_e32 v7, 0x3b800000
	v_lshlrev_b32_e32 v3, 20, v3
	v_lshl_add_u32 v4, v4, 23, v7
	v_or3_b32 v3, v6, v4, v3
.LBB23_1504:
	s_or_b64 exec, exec, s[6:7]
	s_nop 0
	v_mfma_f32_16x16x4f32 a[0:3], v2, v3, a[0:3]
	s_movk_i32 s4, 0x7f
	v_cmp_gt_i16_sdwa s[6:7], v9, s4 src0_sel:BYTE_0 src1_sel:DWORD
	s_mov_b64 s[4:5], 0
                                        ; implicit-def: $sgpr10
	s_and_saveexec_b64 s[8:9], s[6:7]
	s_xor_b64 s[6:7], exec, s[8:9]
	s_cbranch_execnz .LBB23_3553
; %bb.1505:
	s_or_saveexec_b64 s[6:7], s[6:7]
	v_mov_b32_e32 v2, s10
	s_xor_b64 exec, exec, s[6:7]
	s_cbranch_execnz .LBB23_3556
.LBB23_1506:
	s_or_b64 exec, exec, s[6:7]
	s_and_saveexec_b64 s[6:7], s[4:5]
	s_cbranch_execz .LBB23_1508
.LBB23_1507:
	v_mov_b32_e32 v2, 8
	v_and_b32_e32 v3, 7, v9
	v_lshrrev_b32_sdwa v2, v2, v9 dst_sel:BYTE_1 dst_unused:UNUSED_PAD src0_sel:DWORD src1_sel:DWORD
	v_ffbh_u32_e32 v4, v3
	v_or_b32_sdwa v2, v9, v2 dst_sel:DWORD dst_unused:UNUSED_PAD src0_sel:BYTE_0 src1_sel:DWORD
	v_min_u32_e32 v4, 32, v4
	v_lshrrev_b16_e32 v2, 3, v2
	v_subrev_u32_e32 v6, 28, v4
	v_and_b32_e32 v2, 15, v2
	v_lshlrev_b32_e32 v6, v6, v9
	v_sub_u32_e32 v4, 29, v4
	v_and_b32_e32 v6, 7, v6
	v_cmp_eq_u16_e32 vcc, 0, v2
	v_cndmask_b32_e32 v3, v3, v6, vcc
	v_cndmask_b32_e32 v2, v2, v4, vcc
	v_lshlrev_b32_e32 v4, 24, v9
	v_mov_b32_e32 v6, 0x3b800000
	v_lshlrev_b32_e32 v3, 20, v3
	v_and_b32_e32 v4, 0x80000000, v4
	v_lshl_add_u32 v2, v2, 23, v6
	v_or3_b32 v2, v4, v2, v3
.LBB23_1508:
	s_or_b64 exec, exec, s[6:7]
	s_movk_i32 s4, 0x7f
	v_cmp_gt_i16_sdwa s[6:7], v5, s4 src0_sel:BYTE_0 src1_sel:DWORD
	s_mov_b64 s[4:5], 0
                                        ; implicit-def: $sgpr10
	s_and_saveexec_b64 s[8:9], s[6:7]
	s_xor_b64 s[6:7], exec, s[8:9]
	s_cbranch_execnz .LBB23_3557
; %bb.1509:
	s_or_saveexec_b64 s[6:7], s[6:7]
	v_mov_b32_e32 v3, s10
	s_xor_b64 exec, exec, s[6:7]
	s_cbranch_execnz .LBB23_3560
.LBB23_1510:
	s_or_b64 exec, exec, s[6:7]
	s_and_saveexec_b64 s[6:7], s[4:5]
	s_cbranch_execz .LBB23_1512
.LBB23_1511:
	v_mov_b32_e32 v3, 8
	v_and_b32_e32 v4, 7, v5
	v_lshrrev_b32_sdwa v3, v3, v5 dst_sel:BYTE_1 dst_unused:UNUSED_PAD src0_sel:DWORD src1_sel:DWORD
	v_ffbh_u32_e32 v6, v4
	v_or_b32_sdwa v3, v5, v3 dst_sel:DWORD dst_unused:UNUSED_PAD src0_sel:BYTE_0 src1_sel:DWORD
	v_min_u32_e32 v6, 32, v6
	v_lshrrev_b16_e32 v3, 3, v3
	v_subrev_u32_e32 v7, 28, v6
	v_and_b32_e32 v3, 15, v3
	v_lshlrev_b32_e32 v7, v7, v5
	v_sub_u32_e32 v6, 29, v6
	v_and_b32_e32 v7, 7, v7
	v_cmp_eq_u16_e32 vcc, 0, v3
	v_cndmask_b32_e32 v4, v4, v7, vcc
	v_cndmask_b32_e32 v3, v3, v6, vcc
	v_lshlrev_b32_e32 v6, 24, v5
	v_mov_b32_e32 v7, 0x3b800000
	v_lshlrev_b32_e32 v4, 20, v4
	v_and_b32_e32 v6, 0x80000000, v6
	v_lshl_add_u32 v3, v3, 23, v7
	v_or3_b32 v3, v6, v3, v4
.LBB23_1512:
	s_or_b64 exec, exec, s[6:7]
	s_nop 0
	v_mfma_f32_16x16x4f32 a[0:3], v2, v3, a[0:3]
	v_lshrrev_b32_e32 v3, 8, v9
	s_movk_i32 s4, 0x7f
	v_cmp_gt_i16_sdwa s[6:7], v3, s4 src0_sel:BYTE_0 src1_sel:DWORD
	s_mov_b64 s[4:5], 0
                                        ; implicit-def: $sgpr10
	s_and_saveexec_b64 s[8:9], s[6:7]
	s_xor_b64 s[6:7], exec, s[8:9]
	s_cbranch_execnz .LBB23_3561
; %bb.1513:
	s_or_saveexec_b64 s[6:7], s[6:7]
	v_mov_b32_e32 v2, s10
	s_xor_b64 exec, exec, s[6:7]
	s_cbranch_execnz .LBB23_3564
.LBB23_1514:
	s_or_b64 exec, exec, s[6:7]
	s_and_saveexec_b64 s[6:7], s[4:5]
	s_cbranch_execz .LBB23_1516
.LBB23_1515:
	v_bfe_u32 v2, v9, 8, 3
	v_ffbh_u32_e32 v6, v2
	v_min_u32_e32 v6, 32, v6
	v_lshrrev_b16_e32 v4, 3, v3
	v_subrev_u32_e32 v7, 28, v6
	v_and_b32_e32 v4, 15, v4
	v_lshlrev_b32_e32 v3, v7, v3
	v_sub_u32_e32 v6, 29, v6
	v_and_b32_e32 v3, 7, v3
	v_cmp_eq_u16_e32 vcc, 0, v4
	v_cndmask_b32_e32 v2, v2, v3, vcc
	v_cndmask_b32_e32 v3, v4, v6, vcc
	v_lshlrev_b32_e32 v4, 16, v9
	v_mov_b32_e32 v6, 0x3b800000
	v_lshlrev_b32_e32 v2, 20, v2
	v_and_b32_e32 v4, 0x80000000, v4
	v_lshl_add_u32 v3, v3, 23, v6
	v_or3_b32 v2, v4, v3, v2
.LBB23_1516:
	s_or_b64 exec, exec, s[6:7]
	v_lshrrev_b32_e32 v3, 8, v5
	s_movk_i32 s4, 0x7f
	v_cmp_gt_i16_sdwa s[6:7], v3, s4 src0_sel:BYTE_0 src1_sel:DWORD
	s_mov_b64 s[4:5], 0
                                        ; implicit-def: $sgpr10
	s_and_saveexec_b64 s[8:9], s[6:7]
	s_xor_b64 s[6:7], exec, s[8:9]
	s_cbranch_execnz .LBB23_3565
; %bb.1517:
	s_or_saveexec_b64 s[6:7], s[6:7]
	v_mov_b32_e32 v4, s10
	s_xor_b64 exec, exec, s[6:7]
	s_cbranch_execnz .LBB23_3568
.LBB23_1518:
	s_or_b64 exec, exec, s[6:7]
	s_and_saveexec_b64 s[6:7], s[4:5]
	s_cbranch_execz .LBB23_1520
.LBB23_1519:
	v_bfe_u32 v4, v5, 8, 3
	v_ffbh_u32_e32 v7, v4
	v_min_u32_e32 v7, 32, v7
	v_lshrrev_b16_e32 v6, 3, v3
	v_subrev_u32_e32 v8, 28, v7
	v_and_b32_e32 v6, 15, v6
	v_lshlrev_b32_e32 v3, v8, v3
	v_sub_u32_e32 v7, 29, v7
	v_and_b32_e32 v3, 7, v3
	v_cmp_eq_u16_e32 vcc, 0, v6
	v_cndmask_b32_e32 v3, v4, v3, vcc
	v_cndmask_b32_e32 v4, v6, v7, vcc
	v_lshlrev_b32_e32 v6, 16, v5
	v_mov_b32_e32 v7, 0x3b800000
	v_lshlrev_b32_e32 v3, 20, v3
	v_and_b32_e32 v6, 0x80000000, v6
	v_lshl_add_u32 v4, v4, 23, v7
	v_or3_b32 v4, v6, v4, v3
.LBB23_1520:
	s_or_b64 exec, exec, s[6:7]
	s_nop 0
	v_mfma_f32_16x16x4f32 a[0:3], v2, v4, a[0:3]
	s_movk_i32 s4, 0xff
	v_and_b32_sdwa v3, v9, s4 dst_sel:DWORD dst_unused:UNUSED_PAD src0_sel:WORD_1 src1_sel:DWORD
	s_movk_i32 s4, 0x7f
	v_cmp_lt_i16_e32 vcc, s4, v3
	s_mov_b64 s[4:5], 0
                                        ; implicit-def: $sgpr10
	s_and_saveexec_b64 s[6:7], vcc
	s_xor_b64 s[6:7], exec, s[6:7]
	s_cbranch_execnz .LBB23_3569
; %bb.1521:
	s_or_saveexec_b64 s[6:7], s[6:7]
	v_mov_b32_e32 v2, s10
	s_xor_b64 exec, exec, s[6:7]
	s_cbranch_execnz .LBB23_3572
.LBB23_1522:
	s_or_b64 exec, exec, s[6:7]
	s_and_saveexec_b64 s[6:7], s[4:5]
	s_cbranch_execz .LBB23_1524
.LBB23_1523:
	v_bfe_u32 v2, v9, 16, 3
	v_ffbh_u32_e32 v6, v2
	v_min_u32_e32 v6, 32, v6
	v_lshrrev_b32_e32 v3, 19, v9
	v_subrev_u32_e32 v7, 28, v6
	v_and_b32_e32 v3, 15, v3
	v_lshlrev_b32_sdwa v7, v7, v9 dst_sel:DWORD dst_unused:UNUSED_PAD src0_sel:DWORD src1_sel:WORD_1
	v_bfe_u32 v4, v9, 19, 4
	v_sub_u32_e32 v6, 29, v6
	v_and_b32_e32 v7, 7, v7
	v_cmp_eq_u16_e32 vcc, 0, v3
	v_cndmask_b32_e32 v2, v2, v7, vcc
	v_cndmask_b32_e32 v3, v4, v6, vcc
	v_lshlrev_b32_e32 v4, 8, v9
	v_mov_b32_e32 v6, 0x3b800000
	v_lshlrev_b32_e32 v2, 20, v2
	v_and_b32_e32 v4, 0x80000000, v4
	v_lshl_add_u32 v3, v3, 23, v6
	v_or3_b32 v2, v4, v3, v2
.LBB23_1524:
	s_or_b64 exec, exec, s[6:7]
	s_movk_i32 s4, 0xff
	v_and_b32_sdwa v3, v5, s4 dst_sel:DWORD dst_unused:UNUSED_PAD src0_sel:WORD_1 src1_sel:DWORD
	s_movk_i32 s4, 0x7f
	v_cmp_lt_i16_e32 vcc, s4, v3
	s_mov_b64 s[4:5], 0
                                        ; implicit-def: $sgpr10
	s_and_saveexec_b64 s[6:7], vcc
	s_xor_b64 s[6:7], exec, s[6:7]
	s_cbranch_execnz .LBB23_3573
; %bb.1525:
	s_or_saveexec_b64 s[6:7], s[6:7]
	v_mov_b32_e32 v4, s10
	s_xor_b64 exec, exec, s[6:7]
	s_cbranch_execnz .LBB23_3576
.LBB23_1526:
	s_or_b64 exec, exec, s[6:7]
	s_and_saveexec_b64 s[6:7], s[4:5]
	s_cbranch_execz .LBB23_1528
.LBB23_1527:
	v_bfe_u32 v3, v5, 16, 3
	v_ffbh_u32_e32 v7, v3
	v_min_u32_e32 v7, 32, v7
	v_lshrrev_b32_e32 v4, 19, v5
	v_subrev_u32_e32 v8, 28, v7
	v_and_b32_e32 v4, 15, v4
	v_lshlrev_b32_sdwa v8, v8, v5 dst_sel:DWORD dst_unused:UNUSED_PAD src0_sel:DWORD src1_sel:WORD_1
	v_bfe_u32 v6, v5, 19, 4
	v_sub_u32_e32 v7, 29, v7
	v_and_b32_e32 v8, 7, v8
	v_cmp_eq_u16_e32 vcc, 0, v4
	v_cndmask_b32_e32 v3, v3, v8, vcc
	v_cndmask_b32_e32 v4, v6, v7, vcc
	v_lshlrev_b32_e32 v6, 8, v5
	v_mov_b32_e32 v7, 0x3b800000
	v_lshlrev_b32_e32 v3, 20, v3
	v_and_b32_e32 v6, 0x80000000, v6
	v_lshl_add_u32 v4, v4, 23, v7
	v_or3_b32 v4, v6, v4, v3
.LBB23_1528:
	s_or_b64 exec, exec, s[6:7]
	s_nop 0
	v_mfma_f32_16x16x4f32 a[0:3], v2, v4, a[0:3]
	s_movk_i32 s4, 0x7f
	v_cmp_gt_i16_sdwa s[6:7], v9, s4 src0_sel:BYTE_3 src1_sel:DWORD
	s_mov_b64 s[4:5], 0
                                        ; implicit-def: $sgpr10
	s_and_saveexec_b64 s[8:9], s[6:7]
	s_xor_b64 s[6:7], exec, s[8:9]
	s_cbranch_execnz .LBB23_3577
; %bb.1529:
	s_or_saveexec_b64 s[6:7], s[6:7]
	v_mov_b32_e32 v2, s10
	s_xor_b64 exec, exec, s[6:7]
	s_cbranch_execnz .LBB23_3580
.LBB23_1530:
	s_or_b64 exec, exec, s[6:7]
	s_and_saveexec_b64 s[6:7], s[4:5]
	s_cbranch_execz .LBB23_1532
.LBB23_1531:
	v_bfe_u32 v2, v9, 24, 3
	v_ffbh_u32_e32 v7, v2
	v_min_u32_e32 v7, 32, v7
	v_lshrrev_b32_e32 v4, 27, v9
	v_subrev_u32_e32 v8, 28, v7
	v_and_b32_e32 v4, 15, v4
	v_lshlrev_b32_sdwa v8, v8, v9 dst_sel:DWORD dst_unused:UNUSED_PAD src0_sel:DWORD src1_sel:BYTE_3
	v_bfe_u32 v6, v9, 27, 4
	v_sub_u32_e32 v7, 29, v7
	v_and_b32_e32 v8, 7, v8
	v_cmp_eq_u16_e32 vcc, 0, v4
	v_cndmask_b32_e32 v2, v2, v8, vcc
	v_cndmask_b32_e32 v4, v6, v7, vcc
	v_mov_b32_e32 v6, 0x3b800000
	v_and_b32_e32 v3, 0x80000000, v9
	v_lshlrev_b32_e32 v2, 20, v2
	v_lshl_add_u32 v4, v4, 23, v6
	v_or3_b32 v2, v3, v4, v2
.LBB23_1532:
	s_or_b64 exec, exec, s[6:7]
	s_movk_i32 s4, 0x7f
	v_cmp_gt_i16_sdwa s[6:7], v5, s4 src0_sel:BYTE_3 src1_sel:DWORD
	s_mov_b64 s[4:5], 0
                                        ; implicit-def: $sgpr10
	s_and_saveexec_b64 s[8:9], s[6:7]
	s_xor_b64 s[6:7], exec, s[8:9]
	s_cbranch_execnz .LBB23_3581
; %bb.1533:
	s_or_saveexec_b64 s[6:7], s[6:7]
	v_mov_b32_e32 v3, s10
	s_xor_b64 exec, exec, s[6:7]
	s_cbranch_execnz .LBB23_3584
.LBB23_1534:
	s_or_b64 exec, exec, s[6:7]
	s_and_saveexec_b64 s[6:7], s[4:5]
	s_cbranch_execz .LBB23_1536
.LBB23_1535:
	v_bfe_u32 v3, v5, 24, 3
	v_ffbh_u32_e32 v8, v3
	v_min_u32_e32 v8, 32, v8
	v_lshrrev_b32_e32 v6, 27, v5
	v_subrev_u32_e32 v9, 28, v8
	v_and_b32_e32 v4, 0x80000000, v5
	v_and_b32_e32 v6, 15, v6
	v_bfe_u32 v7, v5, 27, 4
	v_lshlrev_b32_sdwa v5, v9, v5 dst_sel:DWORD dst_unused:UNUSED_PAD src0_sel:DWORD src1_sel:BYTE_3
	v_sub_u32_e32 v8, 29, v8
	v_and_b32_e32 v5, 7, v5
	v_cmp_eq_u16_e32 vcc, 0, v6
	v_cndmask_b32_e32 v3, v3, v5, vcc
	v_cndmask_b32_e32 v5, v7, v8, vcc
	v_mov_b32_e32 v6, 0x3b800000
	v_lshlrev_b32_e32 v3, 20, v3
	v_lshl_add_u32 v5, v5, 23, v6
	v_or3_b32 v3, v4, v5, v3
.LBB23_1536:
	s_or_b64 exec, exec, s[6:7]
	s_nop 0
	v_mfma_f32_16x16x4f32 a[0:3], v2, v3, a[0:3]
	s_movk_i32 s4, 0x7f
                                        ; implicit-def: $sgpr10
	s_nop 7
	s_nop 1
	flat_store_dwordx4 v[18:19], a[0:3] offset:720
	flat_load_dwordx4 v[20:23], v[0:1] offset:8
	s_nop 0
	flat_load_dwordx2 v[18:19], v[0:1] offset:24
	s_waitcnt vmcnt(0) lgkmcnt(0)
	flat_load_dwordx4 v[14:17], v[20:21] offset:32
	flat_load_dwordx4 v[6:9], v[20:21] offset:48
	;; [unrolled: 1-line block ×4, first 2 shown]
	s_waitcnt vmcnt(0) lgkmcnt(0)
	v_cmp_gt_i16_sdwa s[6:7], v14, s4 src0_sel:BYTE_0 src1_sel:DWORD
	s_mov_b64 s[4:5], 0
	s_and_saveexec_b64 s[8:9], s[6:7]
	s_xor_b64 s[6:7], exec, s[8:9]
	s_cbranch_execnz .LBB23_3585
; %bb.1537:
	s_or_saveexec_b64 s[6:7], s[6:7]
	v_mov_b32_e32 v20, s10
	s_xor_b64 exec, exec, s[6:7]
	s_cbranch_execnz .LBB23_3588
.LBB23_1538:
	s_or_b64 exec, exec, s[6:7]
	s_and_saveexec_b64 s[6:7], s[4:5]
	s_cbranch_execz .LBB23_1540
.LBB23_1539:
	v_and_b32_e32 v20, 7, v14
	v_ffbh_u32_e32 v22, v20
	v_min_u32_e32 v22, 32, v22
	v_lshrrev_b16_e32 v21, 3, v14
	v_subrev_u32_e32 v23, 28, v22
	v_and_b32_e32 v21, 15, v21
	v_lshlrev_b32_e32 v23, v23, v14
	v_sub_u32_e32 v22, 29, v22
	v_and_b32_e32 v23, 7, v23
	v_cmp_eq_u16_e32 vcc, 0, v21
	v_cndmask_b32_e32 v20, v20, v23, vcc
	v_cndmask_b32_e32 v21, v21, v22, vcc
	v_lshlrev_b32_e32 v22, 24, v14
	v_mov_b32_e32 v23, 0x3b800000
	v_lshlrev_b32_e32 v20, 20, v20
	v_and_b32_e32 v22, 0x80000000, v22
	v_lshl_add_u32 v21, v21, 23, v23
	v_or3_b32 v20, v22, v21, v20
.LBB23_1540:
	s_or_b64 exec, exec, s[6:7]
	s_movk_i32 s4, 0x7f
	v_cmp_gt_i16_sdwa s[6:7], v10, s4 src0_sel:BYTE_0 src1_sel:DWORD
	s_mov_b64 s[4:5], 0
                                        ; implicit-def: $sgpr10
	s_and_saveexec_b64 s[8:9], s[6:7]
	s_xor_b64 s[6:7], exec, s[8:9]
	s_cbranch_execnz .LBB23_3589
; %bb.1541:
	s_or_saveexec_b64 s[6:7], s[6:7]
	v_mov_b32_e32 v21, s10
	s_xor_b64 exec, exec, s[6:7]
	s_cbranch_execnz .LBB23_3592
.LBB23_1542:
	s_or_b64 exec, exec, s[6:7]
	s_and_saveexec_b64 s[6:7], s[4:5]
	s_cbranch_execz .LBB23_1544
.LBB23_1543:
	v_and_b32_e32 v21, 7, v10
	v_ffbh_u32_e32 v23, v21
	v_min_u32_e32 v23, 32, v23
	v_lshrrev_b16_e32 v22, 3, v10
	v_subrev_u32_e32 v24, 28, v23
	v_and_b32_e32 v22, 15, v22
	v_lshlrev_b32_e32 v24, v24, v10
	v_sub_u32_e32 v23, 29, v23
	v_and_b32_e32 v24, 7, v24
	v_cmp_eq_u16_e32 vcc, 0, v22
	v_cndmask_b32_e32 v21, v21, v24, vcc
	v_cndmask_b32_e32 v22, v22, v23, vcc
	v_lshlrev_b32_e32 v23, 24, v10
	v_mov_b32_e32 v24, 0x3b800000
	v_lshlrev_b32_e32 v21, 20, v21
	v_and_b32_e32 v23, 0x80000000, v23
	v_lshl_add_u32 v22, v22, 23, v24
	v_or3_b32 v21, v23, v22, v21
.LBB23_1544:
	s_or_b64 exec, exec, s[6:7]
	flat_load_dwordx4 a[0:3], v[18:19] offset:736
	s_movk_i32 s4, 0x7f
                                        ; implicit-def: $sgpr10
	s_waitcnt vmcnt(0) lgkmcnt(0)
	v_mfma_f32_16x16x4f32 a[0:3], v20, v21, a[0:3]
	v_lshrrev_b32_e32 v21, 8, v14
	v_cmp_gt_i16_sdwa s[6:7], v21, s4 src0_sel:BYTE_0 src1_sel:DWORD
	s_mov_b64 s[4:5], 0
	s_and_saveexec_b64 s[8:9], s[6:7]
	s_xor_b64 s[6:7], exec, s[8:9]
	s_cbranch_execnz .LBB23_3593
; %bb.1545:
	s_or_saveexec_b64 s[6:7], s[6:7]
	v_mov_b32_e32 v20, s10
	s_xor_b64 exec, exec, s[6:7]
	s_cbranch_execnz .LBB23_3596
.LBB23_1546:
	s_or_b64 exec, exec, s[6:7]
	s_and_saveexec_b64 s[6:7], s[4:5]
	s_cbranch_execz .LBB23_1548
.LBB23_1547:
	v_bfe_u32 v20, v14, 8, 3
	v_ffbh_u32_e32 v23, v20
	v_min_u32_e32 v23, 32, v23
	v_lshrrev_b16_e32 v22, 3, v21
	v_subrev_u32_e32 v24, 28, v23
	v_and_b32_e32 v22, 15, v22
	v_lshlrev_b32_e32 v21, v24, v21
	v_sub_u32_e32 v23, 29, v23
	v_and_b32_e32 v21, 7, v21
	v_cmp_eq_u16_e32 vcc, 0, v22
	v_cndmask_b32_e32 v20, v20, v21, vcc
	v_cndmask_b32_e32 v21, v22, v23, vcc
	v_lshlrev_b32_e32 v22, 16, v14
	v_mov_b32_e32 v23, 0x3b800000
	v_lshlrev_b32_e32 v20, 20, v20
	v_and_b32_e32 v22, 0x80000000, v22
	v_lshl_add_u32 v21, v21, 23, v23
	v_or3_b32 v20, v22, v21, v20
.LBB23_1548:
	s_or_b64 exec, exec, s[6:7]
	v_lshrrev_b32_e32 v21, 8, v10
	s_movk_i32 s4, 0x7f
	v_cmp_gt_i16_sdwa s[6:7], v21, s4 src0_sel:BYTE_0 src1_sel:DWORD
	s_mov_b64 s[4:5], 0
                                        ; implicit-def: $sgpr10
	s_and_saveexec_b64 s[8:9], s[6:7]
	s_xor_b64 s[6:7], exec, s[8:9]
	s_cbranch_execnz .LBB23_3597
; %bb.1549:
	s_or_saveexec_b64 s[6:7], s[6:7]
	v_mov_b32_e32 v22, s10
	s_xor_b64 exec, exec, s[6:7]
	s_cbranch_execnz .LBB23_3600
.LBB23_1550:
	s_or_b64 exec, exec, s[6:7]
	s_and_saveexec_b64 s[6:7], s[4:5]
	s_cbranch_execz .LBB23_1552
.LBB23_1551:
	v_bfe_u32 v22, v10, 8, 3
	v_ffbh_u32_e32 v24, v22
	v_min_u32_e32 v24, 32, v24
	v_lshrrev_b16_e32 v23, 3, v21
	v_subrev_u32_e32 v25, 28, v24
	v_and_b32_e32 v23, 15, v23
	v_lshlrev_b32_e32 v21, v25, v21
	v_sub_u32_e32 v24, 29, v24
	v_and_b32_e32 v21, 7, v21
	v_cmp_eq_u16_e32 vcc, 0, v23
	v_cndmask_b32_e32 v21, v22, v21, vcc
	v_cndmask_b32_e32 v22, v23, v24, vcc
	v_lshlrev_b32_e32 v23, 16, v10
	v_mov_b32_e32 v24, 0x3b800000
	v_lshlrev_b32_e32 v21, 20, v21
	v_and_b32_e32 v23, 0x80000000, v23
	v_lshl_add_u32 v22, v22, 23, v24
	v_or3_b32 v22, v23, v22, v21
.LBB23_1552:
	s_or_b64 exec, exec, s[6:7]
	s_nop 0
	v_mfma_f32_16x16x4f32 a[0:3], v20, v22, a[0:3]
	s_movk_i32 s4, 0xff
	v_and_b32_sdwa v21, v14, s4 dst_sel:DWORD dst_unused:UNUSED_PAD src0_sel:WORD_1 src1_sel:DWORD
	s_movk_i32 s4, 0x7f
	v_cmp_lt_i16_e32 vcc, s4, v21
	s_mov_b64 s[4:5], 0
                                        ; implicit-def: $sgpr10
	s_and_saveexec_b64 s[6:7], vcc
	s_xor_b64 s[6:7], exec, s[6:7]
	s_cbranch_execnz .LBB23_3601
; %bb.1553:
	s_or_saveexec_b64 s[6:7], s[6:7]
	v_mov_b32_e32 v20, s10
	s_xor_b64 exec, exec, s[6:7]
	s_cbranch_execnz .LBB23_3604
.LBB23_1554:
	s_or_b64 exec, exec, s[6:7]
	s_and_saveexec_b64 s[6:7], s[4:5]
	s_cbranch_execz .LBB23_1556
.LBB23_1555:
	v_bfe_u32 v20, v14, 16, 3
	v_ffbh_u32_e32 v23, v20
	v_min_u32_e32 v23, 32, v23
	v_lshrrev_b32_e32 v21, 19, v14
	v_subrev_u32_e32 v24, 28, v23
	v_and_b32_e32 v21, 15, v21
	v_lshlrev_b32_sdwa v24, v24, v14 dst_sel:DWORD dst_unused:UNUSED_PAD src0_sel:DWORD src1_sel:WORD_1
	v_bfe_u32 v22, v14, 19, 4
	v_sub_u32_e32 v23, 29, v23
	v_and_b32_e32 v24, 7, v24
	v_cmp_eq_u16_e32 vcc, 0, v21
	v_cndmask_b32_e32 v20, v20, v24, vcc
	v_cndmask_b32_e32 v21, v22, v23, vcc
	v_lshlrev_b32_e32 v22, 8, v14
	v_mov_b32_e32 v23, 0x3b800000
	v_lshlrev_b32_e32 v20, 20, v20
	v_and_b32_e32 v22, 0x80000000, v22
	v_lshl_add_u32 v21, v21, 23, v23
	v_or3_b32 v20, v22, v21, v20
.LBB23_1556:
	s_or_b64 exec, exec, s[6:7]
	s_movk_i32 s4, 0xff
	v_and_b32_sdwa v21, v10, s4 dst_sel:DWORD dst_unused:UNUSED_PAD src0_sel:WORD_1 src1_sel:DWORD
	s_movk_i32 s4, 0x7f
	v_cmp_lt_i16_e32 vcc, s4, v21
	s_mov_b64 s[4:5], 0
                                        ; implicit-def: $sgpr10
	s_and_saveexec_b64 s[6:7], vcc
	s_xor_b64 s[6:7], exec, s[6:7]
	s_cbranch_execnz .LBB23_3605
; %bb.1557:
	s_or_saveexec_b64 s[6:7], s[6:7]
	v_mov_b32_e32 v22, s10
	s_xor_b64 exec, exec, s[6:7]
	s_cbranch_execnz .LBB23_3608
.LBB23_1558:
	s_or_b64 exec, exec, s[6:7]
	s_and_saveexec_b64 s[6:7], s[4:5]
	s_cbranch_execz .LBB23_1560
.LBB23_1559:
	v_bfe_u32 v21, v10, 16, 3
	v_ffbh_u32_e32 v24, v21
	v_min_u32_e32 v24, 32, v24
	v_lshrrev_b32_e32 v22, 19, v10
	v_subrev_u32_e32 v25, 28, v24
	v_and_b32_e32 v22, 15, v22
	v_lshlrev_b32_sdwa v25, v25, v10 dst_sel:DWORD dst_unused:UNUSED_PAD src0_sel:DWORD src1_sel:WORD_1
	v_bfe_u32 v23, v10, 19, 4
	v_sub_u32_e32 v24, 29, v24
	v_and_b32_e32 v25, 7, v25
	v_cmp_eq_u16_e32 vcc, 0, v22
	v_cndmask_b32_e32 v21, v21, v25, vcc
	v_cndmask_b32_e32 v22, v23, v24, vcc
	v_lshlrev_b32_e32 v23, 8, v10
	v_mov_b32_e32 v24, 0x3b800000
	v_lshlrev_b32_e32 v21, 20, v21
	v_and_b32_e32 v23, 0x80000000, v23
	v_lshl_add_u32 v22, v22, 23, v24
	v_or3_b32 v22, v23, v22, v21
.LBB23_1560:
	s_or_b64 exec, exec, s[6:7]
	s_nop 0
	v_mfma_f32_16x16x4f32 a[0:3], v20, v22, a[0:3]
	s_movk_i32 s4, 0x7f
	v_cmp_gt_i16_sdwa s[6:7], v14, s4 src0_sel:BYTE_3 src1_sel:DWORD
	s_mov_b64 s[4:5], 0
                                        ; implicit-def: $sgpr10
	s_and_saveexec_b64 s[8:9], s[6:7]
	s_xor_b64 s[6:7], exec, s[8:9]
	s_cbranch_execnz .LBB23_3609
; %bb.1561:
	s_or_saveexec_b64 s[6:7], s[6:7]
	v_mov_b32_e32 v20, s10
	s_xor_b64 exec, exec, s[6:7]
	s_cbranch_execnz .LBB23_3612
.LBB23_1562:
	s_or_b64 exec, exec, s[6:7]
	s_and_saveexec_b64 s[6:7], s[4:5]
	s_cbranch_execz .LBB23_1564
.LBB23_1563:
	v_bfe_u32 v20, v14, 24, 3
	v_ffbh_u32_e32 v24, v20
	v_min_u32_e32 v24, 32, v24
	v_lshrrev_b32_e32 v22, 27, v14
	v_subrev_u32_e32 v25, 28, v24
	v_and_b32_e32 v21, 0x80000000, v14
	v_and_b32_e32 v22, 15, v22
	v_bfe_u32 v23, v14, 27, 4
	v_lshlrev_b32_sdwa v14, v25, v14 dst_sel:DWORD dst_unused:UNUSED_PAD src0_sel:DWORD src1_sel:BYTE_3
	v_sub_u32_e32 v24, 29, v24
	v_and_b32_e32 v14, 7, v14
	v_cmp_eq_u16_e32 vcc, 0, v22
	v_cndmask_b32_e32 v14, v20, v14, vcc
	v_cndmask_b32_e32 v20, v23, v24, vcc
	v_mov_b32_e32 v22, 0x3b800000
	v_lshlrev_b32_e32 v14, 20, v14
	v_lshl_add_u32 v20, v20, 23, v22
	v_or3_b32 v20, v21, v20, v14
.LBB23_1564:
	s_or_b64 exec, exec, s[6:7]
	s_movk_i32 s4, 0x7f
	v_cmp_gt_i16_sdwa s[6:7], v10, s4 src0_sel:BYTE_3 src1_sel:DWORD
	s_mov_b64 s[4:5], 0
                                        ; implicit-def: $sgpr10
	s_and_saveexec_b64 s[8:9], s[6:7]
	s_xor_b64 s[6:7], exec, s[8:9]
	s_cbranch_execnz .LBB23_3613
; %bb.1565:
	s_or_saveexec_b64 s[6:7], s[6:7]
	v_mov_b32_e32 v14, s10
	s_xor_b64 exec, exec, s[6:7]
	s_cbranch_execnz .LBB23_3616
.LBB23_1566:
	s_or_b64 exec, exec, s[6:7]
	s_and_saveexec_b64 s[6:7], s[4:5]
	s_cbranch_execz .LBB23_1568
.LBB23_1567:
	v_bfe_u32 v14, v10, 24, 3
	v_ffbh_u32_e32 v24, v14
	v_min_u32_e32 v24, 32, v24
	v_lshrrev_b32_e32 v22, 27, v10
	v_subrev_u32_e32 v25, 28, v24
	v_and_b32_e32 v21, 0x80000000, v10
	v_and_b32_e32 v22, 15, v22
	v_bfe_u32 v23, v10, 27, 4
	v_lshlrev_b32_sdwa v10, v25, v10 dst_sel:DWORD dst_unused:UNUSED_PAD src0_sel:DWORD src1_sel:BYTE_3
	v_sub_u32_e32 v24, 29, v24
	v_and_b32_e32 v10, 7, v10
	v_cmp_eq_u16_e32 vcc, 0, v22
	v_cndmask_b32_e32 v10, v14, v10, vcc
	v_cndmask_b32_e32 v14, v23, v24, vcc
	v_mov_b32_e32 v22, 0x3b800000
	v_lshlrev_b32_e32 v10, 20, v10
	v_lshl_add_u32 v14, v14, 23, v22
	v_or3_b32 v14, v21, v14, v10
.LBB23_1568:
	s_or_b64 exec, exec, s[6:7]
	s_nop 0
	v_mfma_f32_16x16x4f32 a[0:3], v20, v14, a[0:3]
	s_movk_i32 s4, 0x7f
	v_cmp_gt_i16_sdwa s[6:7], v15, s4 src0_sel:BYTE_0 src1_sel:DWORD
	s_mov_b64 s[4:5], 0
                                        ; implicit-def: $sgpr10
	s_and_saveexec_b64 s[8:9], s[6:7]
	s_xor_b64 s[6:7], exec, s[8:9]
	s_cbranch_execnz .LBB23_3617
; %bb.1569:
	s_or_saveexec_b64 s[6:7], s[6:7]
	v_mov_b32_e32 v10, s10
	s_xor_b64 exec, exec, s[6:7]
	s_cbranch_execnz .LBB23_3620
.LBB23_1570:
	s_or_b64 exec, exec, s[6:7]
	s_and_saveexec_b64 s[6:7], s[4:5]
	s_cbranch_execz .LBB23_1572
.LBB23_1571:
	v_and_b32_e32 v10, 7, v15
	v_ffbh_u32_e32 v20, v10
	v_min_u32_e32 v20, 32, v20
	v_lshrrev_b16_e32 v14, 3, v15
	v_subrev_u32_e32 v21, 28, v20
	v_and_b32_e32 v14, 15, v14
	v_lshlrev_b32_e32 v21, v21, v15
	v_sub_u32_e32 v20, 29, v20
	v_and_b32_e32 v21, 7, v21
	v_cmp_eq_u16_e32 vcc, 0, v14
	v_cndmask_b32_e32 v10, v10, v21, vcc
	v_cndmask_b32_e32 v14, v14, v20, vcc
	v_lshlrev_b32_e32 v20, 24, v15
	v_mov_b32_e32 v21, 0x3b800000
	v_lshlrev_b32_e32 v10, 20, v10
	v_and_b32_e32 v20, 0x80000000, v20
	v_lshl_add_u32 v14, v14, 23, v21
	v_or3_b32 v10, v20, v14, v10
.LBB23_1572:
	s_or_b64 exec, exec, s[6:7]
	s_movk_i32 s4, 0x7f
	v_cmp_gt_i16_sdwa s[6:7], v11, s4 src0_sel:BYTE_0 src1_sel:DWORD
	s_mov_b64 s[4:5], 0
                                        ; implicit-def: $sgpr10
	s_and_saveexec_b64 s[8:9], s[6:7]
	s_xor_b64 s[6:7], exec, s[8:9]
	s_cbranch_execnz .LBB23_3621
; %bb.1573:
	s_or_saveexec_b64 s[6:7], s[6:7]
	v_mov_b32_e32 v14, s10
	s_xor_b64 exec, exec, s[6:7]
	s_cbranch_execnz .LBB23_3624
.LBB23_1574:
	s_or_b64 exec, exec, s[6:7]
	s_and_saveexec_b64 s[6:7], s[4:5]
	s_cbranch_execz .LBB23_1576
.LBB23_1575:
	v_and_b32_e32 v14, 7, v11
	v_ffbh_u32_e32 v21, v14
	v_min_u32_e32 v21, 32, v21
	v_lshrrev_b16_e32 v20, 3, v11
	v_subrev_u32_e32 v22, 28, v21
	v_and_b32_e32 v20, 15, v20
	v_lshlrev_b32_e32 v22, v22, v11
	v_sub_u32_e32 v21, 29, v21
	v_and_b32_e32 v22, 7, v22
	v_cmp_eq_u16_e32 vcc, 0, v20
	v_cndmask_b32_e32 v14, v14, v22, vcc
	v_cndmask_b32_e32 v20, v20, v21, vcc
	v_lshlrev_b32_e32 v21, 24, v11
	v_mov_b32_e32 v22, 0x3b800000
	v_lshlrev_b32_e32 v14, 20, v14
	v_and_b32_e32 v21, 0x80000000, v21
	v_lshl_add_u32 v20, v20, 23, v22
	v_or3_b32 v14, v21, v20, v14
.LBB23_1576:
	s_or_b64 exec, exec, s[6:7]
	s_nop 0
	v_mfma_f32_16x16x4f32 a[0:3], v10, v14, a[0:3]
	v_lshrrev_b32_e32 v14, 8, v15
	s_movk_i32 s4, 0x7f
	v_cmp_gt_i16_sdwa s[6:7], v14, s4 src0_sel:BYTE_0 src1_sel:DWORD
	s_mov_b64 s[4:5], 0
                                        ; implicit-def: $sgpr10
	s_and_saveexec_b64 s[8:9], s[6:7]
	s_xor_b64 s[6:7], exec, s[8:9]
	s_cbranch_execnz .LBB23_3625
; %bb.1577:
	s_or_saveexec_b64 s[6:7], s[6:7]
	v_mov_b32_e32 v10, s10
	s_xor_b64 exec, exec, s[6:7]
	s_cbranch_execnz .LBB23_3628
.LBB23_1578:
	s_or_b64 exec, exec, s[6:7]
	s_and_saveexec_b64 s[6:7], s[4:5]
	s_cbranch_execz .LBB23_1580
.LBB23_1579:
	v_bfe_u32 v10, v15, 8, 3
	v_ffbh_u32_e32 v21, v10
	v_min_u32_e32 v21, 32, v21
	v_lshrrev_b16_e32 v20, 3, v14
	v_subrev_u32_e32 v22, 28, v21
	v_and_b32_e32 v20, 15, v20
	v_lshlrev_b32_e32 v14, v22, v14
	v_sub_u32_e32 v21, 29, v21
	v_and_b32_e32 v14, 7, v14
	v_cmp_eq_u16_e32 vcc, 0, v20
	v_cndmask_b32_e32 v10, v10, v14, vcc
	v_cndmask_b32_e32 v14, v20, v21, vcc
	v_lshlrev_b32_e32 v20, 16, v15
	v_mov_b32_e32 v21, 0x3b800000
	v_lshlrev_b32_e32 v10, 20, v10
	v_and_b32_e32 v20, 0x80000000, v20
	v_lshl_add_u32 v14, v14, 23, v21
	v_or3_b32 v10, v20, v14, v10
.LBB23_1580:
	s_or_b64 exec, exec, s[6:7]
	v_lshrrev_b32_e32 v14, 8, v11
	s_movk_i32 s4, 0x7f
	v_cmp_gt_i16_sdwa s[6:7], v14, s4 src0_sel:BYTE_0 src1_sel:DWORD
	s_mov_b64 s[4:5], 0
                                        ; implicit-def: $sgpr10
	s_and_saveexec_b64 s[8:9], s[6:7]
	s_xor_b64 s[6:7], exec, s[8:9]
	s_cbranch_execnz .LBB23_3629
; %bb.1581:
	s_or_saveexec_b64 s[6:7], s[6:7]
	v_mov_b32_e32 v20, s10
	s_xor_b64 exec, exec, s[6:7]
	s_cbranch_execnz .LBB23_3632
.LBB23_1582:
	s_or_b64 exec, exec, s[6:7]
	s_and_saveexec_b64 s[6:7], s[4:5]
	s_cbranch_execz .LBB23_1584
.LBB23_1583:
	v_bfe_u32 v20, v11, 8, 3
	v_ffbh_u32_e32 v22, v20
	v_min_u32_e32 v22, 32, v22
	v_lshrrev_b16_e32 v21, 3, v14
	v_subrev_u32_e32 v23, 28, v22
	v_and_b32_e32 v21, 15, v21
	v_lshlrev_b32_e32 v14, v23, v14
	v_sub_u32_e32 v22, 29, v22
	v_and_b32_e32 v14, 7, v14
	v_cmp_eq_u16_e32 vcc, 0, v21
	v_cndmask_b32_e32 v14, v20, v14, vcc
	v_cndmask_b32_e32 v20, v21, v22, vcc
	v_lshlrev_b32_e32 v21, 16, v11
	v_mov_b32_e32 v22, 0x3b800000
	v_lshlrev_b32_e32 v14, 20, v14
	v_and_b32_e32 v21, 0x80000000, v21
	v_lshl_add_u32 v20, v20, 23, v22
	v_or3_b32 v20, v21, v20, v14
.LBB23_1584:
	s_or_b64 exec, exec, s[6:7]
	s_nop 0
	v_mfma_f32_16x16x4f32 a[0:3], v10, v20, a[0:3]
	s_movk_i32 s4, 0xff
	v_and_b32_sdwa v14, v15, s4 dst_sel:DWORD dst_unused:UNUSED_PAD src0_sel:WORD_1 src1_sel:DWORD
	s_movk_i32 s4, 0x7f
	v_cmp_lt_i16_e32 vcc, s4, v14
	s_mov_b64 s[4:5], 0
                                        ; implicit-def: $sgpr10
	s_and_saveexec_b64 s[6:7], vcc
	s_xor_b64 s[6:7], exec, s[6:7]
	s_cbranch_execnz .LBB23_3633
; %bb.1585:
	s_or_saveexec_b64 s[6:7], s[6:7]
	v_mov_b32_e32 v10, s10
	s_xor_b64 exec, exec, s[6:7]
	s_cbranch_execnz .LBB23_3636
.LBB23_1586:
	s_or_b64 exec, exec, s[6:7]
	s_and_saveexec_b64 s[6:7], s[4:5]
	s_cbranch_execz .LBB23_1588
.LBB23_1587:
	v_bfe_u32 v10, v15, 16, 3
	v_ffbh_u32_e32 v21, v10
	v_min_u32_e32 v21, 32, v21
	v_lshrrev_b32_e32 v14, 19, v15
	v_subrev_u32_e32 v22, 28, v21
	v_and_b32_e32 v14, 15, v14
	v_lshlrev_b32_sdwa v22, v22, v15 dst_sel:DWORD dst_unused:UNUSED_PAD src0_sel:DWORD src1_sel:WORD_1
	v_bfe_u32 v20, v15, 19, 4
	v_sub_u32_e32 v21, 29, v21
	v_and_b32_e32 v22, 7, v22
	v_cmp_eq_u16_e32 vcc, 0, v14
	v_cndmask_b32_e32 v10, v10, v22, vcc
	v_cndmask_b32_e32 v14, v20, v21, vcc
	v_lshlrev_b32_e32 v20, 8, v15
	v_mov_b32_e32 v21, 0x3b800000
	v_lshlrev_b32_e32 v10, 20, v10
	v_and_b32_e32 v20, 0x80000000, v20
	v_lshl_add_u32 v14, v14, 23, v21
	v_or3_b32 v10, v20, v14, v10
.LBB23_1588:
	s_or_b64 exec, exec, s[6:7]
	s_movk_i32 s4, 0xff
	v_and_b32_sdwa v14, v11, s4 dst_sel:DWORD dst_unused:UNUSED_PAD src0_sel:WORD_1 src1_sel:DWORD
	s_movk_i32 s4, 0x7f
	v_cmp_lt_i16_e32 vcc, s4, v14
	s_mov_b64 s[4:5], 0
                                        ; implicit-def: $sgpr10
	s_and_saveexec_b64 s[6:7], vcc
	s_xor_b64 s[6:7], exec, s[6:7]
	s_cbranch_execnz .LBB23_3637
; %bb.1589:
	s_or_saveexec_b64 s[6:7], s[6:7]
	v_mov_b32_e32 v20, s10
	s_xor_b64 exec, exec, s[6:7]
	s_cbranch_execnz .LBB23_3640
.LBB23_1590:
	s_or_b64 exec, exec, s[6:7]
	s_and_saveexec_b64 s[6:7], s[4:5]
	s_cbranch_execz .LBB23_1592
.LBB23_1591:
	v_bfe_u32 v14, v11, 16, 3
	v_ffbh_u32_e32 v22, v14
	v_min_u32_e32 v22, 32, v22
	v_lshrrev_b32_e32 v20, 19, v11
	v_subrev_u32_e32 v23, 28, v22
	v_and_b32_e32 v20, 15, v20
	v_lshlrev_b32_sdwa v23, v23, v11 dst_sel:DWORD dst_unused:UNUSED_PAD src0_sel:DWORD src1_sel:WORD_1
	v_bfe_u32 v21, v11, 19, 4
	v_sub_u32_e32 v22, 29, v22
	v_and_b32_e32 v23, 7, v23
	v_cmp_eq_u16_e32 vcc, 0, v20
	v_cndmask_b32_e32 v14, v14, v23, vcc
	v_cndmask_b32_e32 v20, v21, v22, vcc
	v_lshlrev_b32_e32 v21, 8, v11
	v_mov_b32_e32 v22, 0x3b800000
	v_lshlrev_b32_e32 v14, 20, v14
	v_and_b32_e32 v21, 0x80000000, v21
	v_lshl_add_u32 v20, v20, 23, v22
	v_or3_b32 v20, v21, v20, v14
.LBB23_1592:
	s_or_b64 exec, exec, s[6:7]
	s_nop 0
	v_mfma_f32_16x16x4f32 a[0:3], v10, v20, a[0:3]
	s_movk_i32 s4, 0x7f
	v_cmp_gt_i16_sdwa s[6:7], v15, s4 src0_sel:BYTE_3 src1_sel:DWORD
	s_mov_b64 s[4:5], 0
                                        ; implicit-def: $sgpr10
	s_and_saveexec_b64 s[8:9], s[6:7]
	s_xor_b64 s[6:7], exec, s[8:9]
	s_cbranch_execnz .LBB23_3641
; %bb.1593:
	s_or_saveexec_b64 s[6:7], s[6:7]
	v_mov_b32_e32 v10, s10
	s_xor_b64 exec, exec, s[6:7]
	s_cbranch_execnz .LBB23_3644
.LBB23_1594:
	s_or_b64 exec, exec, s[6:7]
	s_and_saveexec_b64 s[6:7], s[4:5]
	s_cbranch_execz .LBB23_1596
.LBB23_1595:
	v_bfe_u32 v10, v15, 24, 3
	v_ffbh_u32_e32 v22, v10
	v_min_u32_e32 v22, 32, v22
	v_lshrrev_b32_e32 v20, 27, v15
	v_subrev_u32_e32 v23, 28, v22
	v_and_b32_e32 v14, 0x80000000, v15
	v_and_b32_e32 v20, 15, v20
	v_bfe_u32 v21, v15, 27, 4
	v_lshlrev_b32_sdwa v15, v23, v15 dst_sel:DWORD dst_unused:UNUSED_PAD src0_sel:DWORD src1_sel:BYTE_3
	v_sub_u32_e32 v22, 29, v22
	v_and_b32_e32 v15, 7, v15
	v_cmp_eq_u16_e32 vcc, 0, v20
	v_cndmask_b32_e32 v10, v10, v15, vcc
	v_cndmask_b32_e32 v15, v21, v22, vcc
	v_mov_b32_e32 v20, 0x3b800000
	v_lshlrev_b32_e32 v10, 20, v10
	v_lshl_add_u32 v15, v15, 23, v20
	v_or3_b32 v10, v14, v15, v10
.LBB23_1596:
	s_or_b64 exec, exec, s[6:7]
	s_movk_i32 s4, 0x7f
	v_cmp_gt_i16_sdwa s[6:7], v11, s4 src0_sel:BYTE_3 src1_sel:DWORD
	s_mov_b64 s[4:5], 0
                                        ; implicit-def: $sgpr10
	s_and_saveexec_b64 s[8:9], s[6:7]
	s_xor_b64 s[6:7], exec, s[8:9]
	s_cbranch_execnz .LBB23_3645
; %bb.1597:
	s_or_saveexec_b64 s[6:7], s[6:7]
	v_mov_b32_e32 v14, s10
	s_xor_b64 exec, exec, s[6:7]
	s_cbranch_execnz .LBB23_3648
.LBB23_1598:
	s_or_b64 exec, exec, s[6:7]
	s_and_saveexec_b64 s[6:7], s[4:5]
	s_cbranch_execz .LBB23_1600
.LBB23_1599:
	v_bfe_u32 v14, v11, 24, 3
	v_ffbh_u32_e32 v22, v14
	v_min_u32_e32 v22, 32, v22
	v_lshrrev_b32_e32 v20, 27, v11
	v_subrev_u32_e32 v23, 28, v22
	v_and_b32_e32 v15, 0x80000000, v11
	v_and_b32_e32 v20, 15, v20
	v_bfe_u32 v21, v11, 27, 4
	v_lshlrev_b32_sdwa v11, v23, v11 dst_sel:DWORD dst_unused:UNUSED_PAD src0_sel:DWORD src1_sel:BYTE_3
	v_sub_u32_e32 v22, 29, v22
	v_and_b32_e32 v11, 7, v11
	v_cmp_eq_u16_e32 vcc, 0, v20
	v_cndmask_b32_e32 v11, v14, v11, vcc
	v_cndmask_b32_e32 v14, v21, v22, vcc
	v_mov_b32_e32 v20, 0x3b800000
	v_lshlrev_b32_e32 v11, 20, v11
	v_lshl_add_u32 v14, v14, 23, v20
	v_or3_b32 v14, v15, v14, v11
.LBB23_1600:
	s_or_b64 exec, exec, s[6:7]
	s_nop 0
	v_mfma_f32_16x16x4f32 a[0:3], v10, v14, a[0:3]
	s_movk_i32 s4, 0x7f
	v_cmp_gt_i16_sdwa s[6:7], v16, s4 src0_sel:BYTE_0 src1_sel:DWORD
	s_mov_b64 s[4:5], 0
                                        ; implicit-def: $sgpr10
	s_and_saveexec_b64 s[8:9], s[6:7]
	s_xor_b64 s[6:7], exec, s[8:9]
	s_cbranch_execnz .LBB23_3649
; %bb.1601:
	s_or_saveexec_b64 s[6:7], s[6:7]
	v_mov_b32_e32 v10, s10
	s_xor_b64 exec, exec, s[6:7]
	s_cbranch_execnz .LBB23_3652
.LBB23_1602:
	s_or_b64 exec, exec, s[6:7]
	s_and_saveexec_b64 s[6:7], s[4:5]
	s_cbranch_execz .LBB23_1604
.LBB23_1603:
	v_and_b32_e32 v10, 7, v16
	v_ffbh_u32_e32 v14, v10
	v_min_u32_e32 v14, 32, v14
	v_lshrrev_b16_e32 v11, 3, v16
	v_subrev_u32_e32 v15, 28, v14
	v_and_b32_e32 v11, 15, v11
	v_lshlrev_b32_e32 v15, v15, v16
	v_sub_u32_e32 v14, 29, v14
	v_and_b32_e32 v15, 7, v15
	v_cmp_eq_u16_e32 vcc, 0, v11
	v_cndmask_b32_e32 v10, v10, v15, vcc
	v_cndmask_b32_e32 v11, v11, v14, vcc
	v_lshlrev_b32_e32 v14, 24, v16
	v_mov_b32_e32 v15, 0x3b800000
	v_lshlrev_b32_e32 v10, 20, v10
	v_and_b32_e32 v14, 0x80000000, v14
	v_lshl_add_u32 v11, v11, 23, v15
	v_or3_b32 v10, v14, v11, v10
.LBB23_1604:
	s_or_b64 exec, exec, s[6:7]
	s_movk_i32 s4, 0x7f
	v_cmp_gt_i16_sdwa s[6:7], v12, s4 src0_sel:BYTE_0 src1_sel:DWORD
	s_mov_b64 s[4:5], 0
                                        ; implicit-def: $sgpr10
	s_and_saveexec_b64 s[8:9], s[6:7]
	s_xor_b64 s[6:7], exec, s[8:9]
	s_cbranch_execnz .LBB23_3653
; %bb.1605:
	s_or_saveexec_b64 s[6:7], s[6:7]
	v_mov_b32_e32 v11, s10
	s_xor_b64 exec, exec, s[6:7]
	s_cbranch_execnz .LBB23_3656
.LBB23_1606:
	s_or_b64 exec, exec, s[6:7]
	s_and_saveexec_b64 s[6:7], s[4:5]
	s_cbranch_execz .LBB23_1608
.LBB23_1607:
	v_and_b32_e32 v11, 7, v12
	v_ffbh_u32_e32 v15, v11
	v_min_u32_e32 v15, 32, v15
	v_lshrrev_b16_e32 v14, 3, v12
	v_subrev_u32_e32 v20, 28, v15
	v_and_b32_e32 v14, 15, v14
	v_lshlrev_b32_e32 v20, v20, v12
	v_sub_u32_e32 v15, 29, v15
	v_and_b32_e32 v20, 7, v20
	v_cmp_eq_u16_e32 vcc, 0, v14
	v_cndmask_b32_e32 v11, v11, v20, vcc
	v_cndmask_b32_e32 v14, v14, v15, vcc
	v_lshlrev_b32_e32 v15, 24, v12
	v_mov_b32_e32 v20, 0x3b800000
	v_lshlrev_b32_e32 v11, 20, v11
	v_and_b32_e32 v15, 0x80000000, v15
	v_lshl_add_u32 v14, v14, 23, v20
	v_or3_b32 v11, v15, v14, v11
.LBB23_1608:
	s_or_b64 exec, exec, s[6:7]
	s_nop 0
	v_mfma_f32_16x16x4f32 a[0:3], v10, v11, a[0:3]
	v_lshrrev_b32_e32 v11, 8, v16
	s_movk_i32 s4, 0x7f
	v_cmp_gt_i16_sdwa s[6:7], v11, s4 src0_sel:BYTE_0 src1_sel:DWORD
	s_mov_b64 s[4:5], 0
                                        ; implicit-def: $sgpr10
	s_and_saveexec_b64 s[8:9], s[6:7]
	s_xor_b64 s[6:7], exec, s[8:9]
	s_cbranch_execnz .LBB23_3657
; %bb.1609:
	s_or_saveexec_b64 s[6:7], s[6:7]
	v_mov_b32_e32 v10, s10
	s_xor_b64 exec, exec, s[6:7]
	s_cbranch_execnz .LBB23_3660
.LBB23_1610:
	s_or_b64 exec, exec, s[6:7]
	s_and_saveexec_b64 s[6:7], s[4:5]
	s_cbranch_execz .LBB23_1612
.LBB23_1611:
	v_bfe_u32 v10, v16, 8, 3
	v_ffbh_u32_e32 v15, v10
	v_min_u32_e32 v15, 32, v15
	v_lshrrev_b16_e32 v14, 3, v11
	v_subrev_u32_e32 v20, 28, v15
	v_and_b32_e32 v14, 15, v14
	v_lshlrev_b32_e32 v11, v20, v11
	v_sub_u32_e32 v15, 29, v15
	v_and_b32_e32 v11, 7, v11
	v_cmp_eq_u16_e32 vcc, 0, v14
	v_cndmask_b32_e32 v10, v10, v11, vcc
	v_cndmask_b32_e32 v11, v14, v15, vcc
	v_lshlrev_b32_e32 v14, 16, v16
	v_mov_b32_e32 v15, 0x3b800000
	v_lshlrev_b32_e32 v10, 20, v10
	v_and_b32_e32 v14, 0x80000000, v14
	v_lshl_add_u32 v11, v11, 23, v15
	v_or3_b32 v10, v14, v11, v10
.LBB23_1612:
	s_or_b64 exec, exec, s[6:7]
	v_lshrrev_b32_e32 v11, 8, v12
	s_movk_i32 s4, 0x7f
	v_cmp_gt_i16_sdwa s[6:7], v11, s4 src0_sel:BYTE_0 src1_sel:DWORD
	s_mov_b64 s[4:5], 0
                                        ; implicit-def: $sgpr10
	s_and_saveexec_b64 s[8:9], s[6:7]
	s_xor_b64 s[6:7], exec, s[8:9]
	s_cbranch_execnz .LBB23_3661
; %bb.1613:
	s_or_saveexec_b64 s[6:7], s[6:7]
	v_mov_b32_e32 v14, s10
	s_xor_b64 exec, exec, s[6:7]
	s_cbranch_execnz .LBB23_3664
.LBB23_1614:
	s_or_b64 exec, exec, s[6:7]
	s_and_saveexec_b64 s[6:7], s[4:5]
	s_cbranch_execz .LBB23_1616
.LBB23_1615:
	v_bfe_u32 v14, v12, 8, 3
	v_ffbh_u32_e32 v20, v14
	v_min_u32_e32 v20, 32, v20
	v_lshrrev_b16_e32 v15, 3, v11
	v_subrev_u32_e32 v21, 28, v20
	v_and_b32_e32 v15, 15, v15
	v_lshlrev_b32_e32 v11, v21, v11
	v_sub_u32_e32 v20, 29, v20
	v_and_b32_e32 v11, 7, v11
	v_cmp_eq_u16_e32 vcc, 0, v15
	v_cndmask_b32_e32 v11, v14, v11, vcc
	v_cndmask_b32_e32 v14, v15, v20, vcc
	v_lshlrev_b32_e32 v15, 16, v12
	v_mov_b32_e32 v20, 0x3b800000
	v_lshlrev_b32_e32 v11, 20, v11
	v_and_b32_e32 v15, 0x80000000, v15
	v_lshl_add_u32 v14, v14, 23, v20
	v_or3_b32 v14, v15, v14, v11
.LBB23_1616:
	s_or_b64 exec, exec, s[6:7]
	s_nop 0
	v_mfma_f32_16x16x4f32 a[0:3], v10, v14, a[0:3]
	s_movk_i32 s4, 0xff
	v_and_b32_sdwa v11, v16, s4 dst_sel:DWORD dst_unused:UNUSED_PAD src0_sel:WORD_1 src1_sel:DWORD
	s_movk_i32 s4, 0x7f
	v_cmp_lt_i16_e32 vcc, s4, v11
	s_mov_b64 s[4:5], 0
                                        ; implicit-def: $sgpr10
	s_and_saveexec_b64 s[6:7], vcc
	s_xor_b64 s[6:7], exec, s[6:7]
	s_cbranch_execnz .LBB23_3665
; %bb.1617:
	s_or_saveexec_b64 s[6:7], s[6:7]
	v_mov_b32_e32 v10, s10
	s_xor_b64 exec, exec, s[6:7]
	s_cbranch_execnz .LBB23_3668
.LBB23_1618:
	s_or_b64 exec, exec, s[6:7]
	s_and_saveexec_b64 s[6:7], s[4:5]
	s_cbranch_execz .LBB23_1620
.LBB23_1619:
	v_bfe_u32 v10, v16, 16, 3
	v_ffbh_u32_e32 v15, v10
	v_min_u32_e32 v15, 32, v15
	v_lshrrev_b32_e32 v11, 19, v16
	v_subrev_u32_e32 v20, 28, v15
	v_and_b32_e32 v11, 15, v11
	v_lshlrev_b32_sdwa v20, v20, v16 dst_sel:DWORD dst_unused:UNUSED_PAD src0_sel:DWORD src1_sel:WORD_1
	v_bfe_u32 v14, v16, 19, 4
	v_sub_u32_e32 v15, 29, v15
	v_and_b32_e32 v20, 7, v20
	v_cmp_eq_u16_e32 vcc, 0, v11
	v_cndmask_b32_e32 v10, v10, v20, vcc
	v_cndmask_b32_e32 v11, v14, v15, vcc
	v_lshlrev_b32_e32 v14, 8, v16
	v_mov_b32_e32 v15, 0x3b800000
	v_lshlrev_b32_e32 v10, 20, v10
	v_and_b32_e32 v14, 0x80000000, v14
	v_lshl_add_u32 v11, v11, 23, v15
	v_or3_b32 v10, v14, v11, v10
.LBB23_1620:
	s_or_b64 exec, exec, s[6:7]
	s_movk_i32 s4, 0xff
	v_and_b32_sdwa v11, v12, s4 dst_sel:DWORD dst_unused:UNUSED_PAD src0_sel:WORD_1 src1_sel:DWORD
	s_movk_i32 s4, 0x7f
	v_cmp_lt_i16_e32 vcc, s4, v11
	s_mov_b64 s[4:5], 0
                                        ; implicit-def: $sgpr10
	s_and_saveexec_b64 s[6:7], vcc
	s_xor_b64 s[6:7], exec, s[6:7]
	s_cbranch_execnz .LBB23_3669
; %bb.1621:
	s_or_saveexec_b64 s[6:7], s[6:7]
	v_mov_b32_e32 v14, s10
	s_xor_b64 exec, exec, s[6:7]
	s_cbranch_execnz .LBB23_3672
.LBB23_1622:
	s_or_b64 exec, exec, s[6:7]
	s_and_saveexec_b64 s[6:7], s[4:5]
	s_cbranch_execz .LBB23_1624
.LBB23_1623:
	v_bfe_u32 v11, v12, 16, 3
	v_ffbh_u32_e32 v20, v11
	v_min_u32_e32 v20, 32, v20
	v_lshrrev_b32_e32 v14, 19, v12
	v_subrev_u32_e32 v21, 28, v20
	v_and_b32_e32 v14, 15, v14
	v_lshlrev_b32_sdwa v21, v21, v12 dst_sel:DWORD dst_unused:UNUSED_PAD src0_sel:DWORD src1_sel:WORD_1
	v_bfe_u32 v15, v12, 19, 4
	v_sub_u32_e32 v20, 29, v20
	v_and_b32_e32 v21, 7, v21
	v_cmp_eq_u16_e32 vcc, 0, v14
	v_cndmask_b32_e32 v11, v11, v21, vcc
	v_cndmask_b32_e32 v14, v15, v20, vcc
	v_lshlrev_b32_e32 v15, 8, v12
	v_mov_b32_e32 v20, 0x3b800000
	v_lshlrev_b32_e32 v11, 20, v11
	v_and_b32_e32 v15, 0x80000000, v15
	v_lshl_add_u32 v14, v14, 23, v20
	v_or3_b32 v14, v15, v14, v11
.LBB23_1624:
	s_or_b64 exec, exec, s[6:7]
	s_nop 0
	v_mfma_f32_16x16x4f32 a[0:3], v10, v14, a[0:3]
	s_movk_i32 s4, 0x7f
	v_cmp_gt_i16_sdwa s[6:7], v16, s4 src0_sel:BYTE_3 src1_sel:DWORD
	s_mov_b64 s[4:5], 0
                                        ; implicit-def: $sgpr10
	s_and_saveexec_b64 s[8:9], s[6:7]
	s_xor_b64 s[6:7], exec, s[8:9]
	s_cbranch_execnz .LBB23_3673
; %bb.1625:
	s_or_saveexec_b64 s[6:7], s[6:7]
	v_mov_b32_e32 v10, s10
	s_xor_b64 exec, exec, s[6:7]
	s_cbranch_execnz .LBB23_3676
.LBB23_1626:
	s_or_b64 exec, exec, s[6:7]
	s_and_saveexec_b64 s[6:7], s[4:5]
	s_cbranch_execz .LBB23_1628
.LBB23_1627:
	v_bfe_u32 v10, v16, 24, 3
	v_ffbh_u32_e32 v20, v10
	v_min_u32_e32 v20, 32, v20
	v_lshrrev_b32_e32 v14, 27, v16
	v_subrev_u32_e32 v21, 28, v20
	v_and_b32_e32 v11, 0x80000000, v16
	v_and_b32_e32 v14, 15, v14
	v_bfe_u32 v15, v16, 27, 4
	v_lshlrev_b32_sdwa v16, v21, v16 dst_sel:DWORD dst_unused:UNUSED_PAD src0_sel:DWORD src1_sel:BYTE_3
	v_sub_u32_e32 v20, 29, v20
	v_and_b32_e32 v16, 7, v16
	v_cmp_eq_u16_e32 vcc, 0, v14
	v_cndmask_b32_e32 v10, v10, v16, vcc
	v_cndmask_b32_e32 v14, v15, v20, vcc
	v_mov_b32_e32 v15, 0x3b800000
	v_lshlrev_b32_e32 v10, 20, v10
	v_lshl_add_u32 v14, v14, 23, v15
	v_or3_b32 v10, v11, v14, v10
.LBB23_1628:
	s_or_b64 exec, exec, s[6:7]
	s_movk_i32 s4, 0x7f
	v_cmp_gt_i16_sdwa s[6:7], v12, s4 src0_sel:BYTE_3 src1_sel:DWORD
	s_mov_b64 s[4:5], 0
                                        ; implicit-def: $sgpr10
	s_and_saveexec_b64 s[8:9], s[6:7]
	s_xor_b64 s[6:7], exec, s[8:9]
	s_cbranch_execnz .LBB23_3677
; %bb.1629:
	s_or_saveexec_b64 s[6:7], s[6:7]
	v_mov_b32_e32 v11, s10
	s_xor_b64 exec, exec, s[6:7]
	s_cbranch_execnz .LBB23_3680
.LBB23_1630:
	s_or_b64 exec, exec, s[6:7]
	s_and_saveexec_b64 s[6:7], s[4:5]
	s_cbranch_execz .LBB23_1632
.LBB23_1631:
	v_bfe_u32 v11, v12, 24, 3
	v_ffbh_u32_e32 v20, v11
	v_min_u32_e32 v20, 32, v20
	v_lshrrev_b32_e32 v15, 27, v12
	v_subrev_u32_e32 v21, 28, v20
	v_and_b32_e32 v14, 0x80000000, v12
	v_and_b32_e32 v15, 15, v15
	v_bfe_u32 v16, v12, 27, 4
	v_lshlrev_b32_sdwa v12, v21, v12 dst_sel:DWORD dst_unused:UNUSED_PAD src0_sel:DWORD src1_sel:BYTE_3
	v_sub_u32_e32 v20, 29, v20
	v_and_b32_e32 v12, 7, v12
	v_cmp_eq_u16_e32 vcc, 0, v15
	v_cndmask_b32_e32 v11, v11, v12, vcc
	v_cndmask_b32_e32 v12, v16, v20, vcc
	v_mov_b32_e32 v15, 0x3b800000
	v_lshlrev_b32_e32 v11, 20, v11
	v_lshl_add_u32 v12, v12, 23, v15
	v_or3_b32 v11, v14, v12, v11
.LBB23_1632:
	s_or_b64 exec, exec, s[6:7]
	s_nop 0
	v_mfma_f32_16x16x4f32 a[0:3], v10, v11, a[0:3]
	s_movk_i32 s4, 0x7f
	v_cmp_gt_i16_sdwa s[6:7], v17, s4 src0_sel:BYTE_0 src1_sel:DWORD
	s_mov_b64 s[4:5], 0
                                        ; implicit-def: $sgpr10
	s_and_saveexec_b64 s[8:9], s[6:7]
	s_xor_b64 s[6:7], exec, s[8:9]
	s_cbranch_execnz .LBB23_3681
; %bb.1633:
	s_or_saveexec_b64 s[6:7], s[6:7]
	v_mov_b32_e32 v10, s10
	s_xor_b64 exec, exec, s[6:7]
	s_cbranch_execnz .LBB23_3684
.LBB23_1634:
	s_or_b64 exec, exec, s[6:7]
	s_and_saveexec_b64 s[6:7], s[4:5]
	s_cbranch_execz .LBB23_1636
.LBB23_1635:
	v_and_b32_e32 v10, 7, v17
	v_ffbh_u32_e32 v12, v10
	v_min_u32_e32 v12, 32, v12
	v_lshrrev_b16_e32 v11, 3, v17
	v_subrev_u32_e32 v14, 28, v12
	v_and_b32_e32 v11, 15, v11
	v_lshlrev_b32_e32 v14, v14, v17
	v_sub_u32_e32 v12, 29, v12
	v_and_b32_e32 v14, 7, v14
	v_cmp_eq_u16_e32 vcc, 0, v11
	v_cndmask_b32_e32 v10, v10, v14, vcc
	v_cndmask_b32_e32 v11, v11, v12, vcc
	v_lshlrev_b32_e32 v12, 24, v17
	v_mov_b32_e32 v14, 0x3b800000
	v_lshlrev_b32_e32 v10, 20, v10
	v_and_b32_e32 v12, 0x80000000, v12
	v_lshl_add_u32 v11, v11, 23, v14
	v_or3_b32 v10, v12, v11, v10
.LBB23_1636:
	s_or_b64 exec, exec, s[6:7]
	s_movk_i32 s4, 0x7f
	v_cmp_gt_i16_sdwa s[6:7], v13, s4 src0_sel:BYTE_0 src1_sel:DWORD
	s_mov_b64 s[4:5], 0
                                        ; implicit-def: $sgpr10
	s_and_saveexec_b64 s[8:9], s[6:7]
	s_xor_b64 s[6:7], exec, s[8:9]
	s_cbranch_execnz .LBB23_3685
; %bb.1637:
	s_or_saveexec_b64 s[6:7], s[6:7]
	v_mov_b32_e32 v11, s10
	s_xor_b64 exec, exec, s[6:7]
	s_cbranch_execnz .LBB23_3688
.LBB23_1638:
	s_or_b64 exec, exec, s[6:7]
	s_and_saveexec_b64 s[6:7], s[4:5]
	s_cbranch_execz .LBB23_1640
.LBB23_1639:
	v_and_b32_e32 v11, 7, v13
	v_ffbh_u32_e32 v14, v11
	v_min_u32_e32 v14, 32, v14
	v_lshrrev_b16_e32 v12, 3, v13
	v_subrev_u32_e32 v15, 28, v14
	v_and_b32_e32 v12, 15, v12
	v_lshlrev_b32_e32 v15, v15, v13
	v_sub_u32_e32 v14, 29, v14
	v_and_b32_e32 v15, 7, v15
	v_cmp_eq_u16_e32 vcc, 0, v12
	v_cndmask_b32_e32 v11, v11, v15, vcc
	v_cndmask_b32_e32 v12, v12, v14, vcc
	v_lshlrev_b32_e32 v14, 24, v13
	v_mov_b32_e32 v15, 0x3b800000
	v_lshlrev_b32_e32 v11, 20, v11
	v_and_b32_e32 v14, 0x80000000, v14
	v_lshl_add_u32 v12, v12, 23, v15
	v_or3_b32 v11, v14, v12, v11
.LBB23_1640:
	s_or_b64 exec, exec, s[6:7]
	s_nop 0
	v_mfma_f32_16x16x4f32 a[0:3], v10, v11, a[0:3]
	v_lshrrev_b32_e32 v11, 8, v17
	s_movk_i32 s4, 0x7f
	v_cmp_gt_i16_sdwa s[6:7], v11, s4 src0_sel:BYTE_0 src1_sel:DWORD
	s_mov_b64 s[4:5], 0
                                        ; implicit-def: $sgpr10
	s_and_saveexec_b64 s[8:9], s[6:7]
	s_xor_b64 s[6:7], exec, s[8:9]
	s_cbranch_execnz .LBB23_3689
; %bb.1641:
	s_or_saveexec_b64 s[6:7], s[6:7]
	v_mov_b32_e32 v10, s10
	s_xor_b64 exec, exec, s[6:7]
	s_cbranch_execnz .LBB23_3692
.LBB23_1642:
	s_or_b64 exec, exec, s[6:7]
	s_and_saveexec_b64 s[6:7], s[4:5]
	s_cbranch_execz .LBB23_1644
.LBB23_1643:
	v_bfe_u32 v10, v17, 8, 3
	v_ffbh_u32_e32 v14, v10
	v_min_u32_e32 v14, 32, v14
	v_lshrrev_b16_e32 v12, 3, v11
	v_subrev_u32_e32 v15, 28, v14
	v_and_b32_e32 v12, 15, v12
	v_lshlrev_b32_e32 v11, v15, v11
	v_sub_u32_e32 v14, 29, v14
	v_and_b32_e32 v11, 7, v11
	v_cmp_eq_u16_e32 vcc, 0, v12
	v_cndmask_b32_e32 v10, v10, v11, vcc
	v_cndmask_b32_e32 v11, v12, v14, vcc
	v_lshlrev_b32_e32 v12, 16, v17
	v_mov_b32_e32 v14, 0x3b800000
	v_lshlrev_b32_e32 v10, 20, v10
	v_and_b32_e32 v12, 0x80000000, v12
	v_lshl_add_u32 v11, v11, 23, v14
	v_or3_b32 v10, v12, v11, v10
.LBB23_1644:
	s_or_b64 exec, exec, s[6:7]
	v_lshrrev_b32_e32 v11, 8, v13
	s_movk_i32 s4, 0x7f
	v_cmp_gt_i16_sdwa s[6:7], v11, s4 src0_sel:BYTE_0 src1_sel:DWORD
	s_mov_b64 s[4:5], 0
                                        ; implicit-def: $sgpr10
	s_and_saveexec_b64 s[8:9], s[6:7]
	s_xor_b64 s[6:7], exec, s[8:9]
	s_cbranch_execnz .LBB23_3693
; %bb.1645:
	s_or_saveexec_b64 s[6:7], s[6:7]
	v_mov_b32_e32 v12, s10
	s_xor_b64 exec, exec, s[6:7]
	s_cbranch_execnz .LBB23_3696
.LBB23_1646:
	s_or_b64 exec, exec, s[6:7]
	s_and_saveexec_b64 s[6:7], s[4:5]
	s_cbranch_execz .LBB23_1648
.LBB23_1647:
	v_bfe_u32 v12, v13, 8, 3
	v_ffbh_u32_e32 v15, v12
	v_min_u32_e32 v15, 32, v15
	v_lshrrev_b16_e32 v14, 3, v11
	v_subrev_u32_e32 v16, 28, v15
	v_and_b32_e32 v14, 15, v14
	v_lshlrev_b32_e32 v11, v16, v11
	v_sub_u32_e32 v15, 29, v15
	v_and_b32_e32 v11, 7, v11
	v_cmp_eq_u16_e32 vcc, 0, v14
	v_cndmask_b32_e32 v11, v12, v11, vcc
	v_cndmask_b32_e32 v12, v14, v15, vcc
	v_lshlrev_b32_e32 v14, 16, v13
	v_mov_b32_e32 v15, 0x3b800000
	v_lshlrev_b32_e32 v11, 20, v11
	v_and_b32_e32 v14, 0x80000000, v14
	v_lshl_add_u32 v12, v12, 23, v15
	v_or3_b32 v12, v14, v12, v11
.LBB23_1648:
	s_or_b64 exec, exec, s[6:7]
	s_nop 0
	v_mfma_f32_16x16x4f32 a[0:3], v10, v12, a[0:3]
	s_movk_i32 s4, 0xff
	v_and_b32_sdwa v11, v17, s4 dst_sel:DWORD dst_unused:UNUSED_PAD src0_sel:WORD_1 src1_sel:DWORD
	s_movk_i32 s4, 0x7f
	v_cmp_lt_i16_e32 vcc, s4, v11
	s_mov_b64 s[4:5], 0
                                        ; implicit-def: $sgpr10
	s_and_saveexec_b64 s[6:7], vcc
	s_xor_b64 s[6:7], exec, s[6:7]
	s_cbranch_execnz .LBB23_3697
; %bb.1649:
	s_or_saveexec_b64 s[6:7], s[6:7]
	v_mov_b32_e32 v10, s10
	s_xor_b64 exec, exec, s[6:7]
	s_cbranch_execnz .LBB23_3700
.LBB23_1650:
	s_or_b64 exec, exec, s[6:7]
	s_and_saveexec_b64 s[6:7], s[4:5]
	s_cbranch_execz .LBB23_1652
.LBB23_1651:
	v_bfe_u32 v10, v17, 16, 3
	v_ffbh_u32_e32 v14, v10
	v_min_u32_e32 v14, 32, v14
	v_lshrrev_b32_e32 v11, 19, v17
	v_subrev_u32_e32 v15, 28, v14
	v_and_b32_e32 v11, 15, v11
	v_lshlrev_b32_sdwa v15, v15, v17 dst_sel:DWORD dst_unused:UNUSED_PAD src0_sel:DWORD src1_sel:WORD_1
	v_bfe_u32 v12, v17, 19, 4
	v_sub_u32_e32 v14, 29, v14
	v_and_b32_e32 v15, 7, v15
	v_cmp_eq_u16_e32 vcc, 0, v11
	v_cndmask_b32_e32 v10, v10, v15, vcc
	v_cndmask_b32_e32 v11, v12, v14, vcc
	v_lshlrev_b32_e32 v12, 8, v17
	v_mov_b32_e32 v14, 0x3b800000
	v_lshlrev_b32_e32 v10, 20, v10
	v_and_b32_e32 v12, 0x80000000, v12
	v_lshl_add_u32 v11, v11, 23, v14
	v_or3_b32 v10, v12, v11, v10
.LBB23_1652:
	s_or_b64 exec, exec, s[6:7]
	s_movk_i32 s4, 0xff
	v_and_b32_sdwa v11, v13, s4 dst_sel:DWORD dst_unused:UNUSED_PAD src0_sel:WORD_1 src1_sel:DWORD
	s_movk_i32 s4, 0x7f
	v_cmp_lt_i16_e32 vcc, s4, v11
	s_mov_b64 s[4:5], 0
                                        ; implicit-def: $sgpr10
	s_and_saveexec_b64 s[6:7], vcc
	s_xor_b64 s[6:7], exec, s[6:7]
	s_cbranch_execnz .LBB23_3701
; %bb.1653:
	s_or_saveexec_b64 s[6:7], s[6:7]
	v_mov_b32_e32 v12, s10
	s_xor_b64 exec, exec, s[6:7]
	s_cbranch_execnz .LBB23_3704
.LBB23_1654:
	s_or_b64 exec, exec, s[6:7]
	s_and_saveexec_b64 s[6:7], s[4:5]
	s_cbranch_execz .LBB23_1656
.LBB23_1655:
	v_bfe_u32 v11, v13, 16, 3
	v_ffbh_u32_e32 v15, v11
	v_min_u32_e32 v15, 32, v15
	v_lshrrev_b32_e32 v12, 19, v13
	v_subrev_u32_e32 v16, 28, v15
	v_and_b32_e32 v12, 15, v12
	v_lshlrev_b32_sdwa v16, v16, v13 dst_sel:DWORD dst_unused:UNUSED_PAD src0_sel:DWORD src1_sel:WORD_1
	v_bfe_u32 v14, v13, 19, 4
	v_sub_u32_e32 v15, 29, v15
	v_and_b32_e32 v16, 7, v16
	v_cmp_eq_u16_e32 vcc, 0, v12
	v_cndmask_b32_e32 v11, v11, v16, vcc
	v_cndmask_b32_e32 v12, v14, v15, vcc
	v_lshlrev_b32_e32 v14, 8, v13
	v_mov_b32_e32 v15, 0x3b800000
	v_lshlrev_b32_e32 v11, 20, v11
	v_and_b32_e32 v14, 0x80000000, v14
	v_lshl_add_u32 v12, v12, 23, v15
	v_or3_b32 v12, v14, v12, v11
.LBB23_1656:
	s_or_b64 exec, exec, s[6:7]
	s_nop 0
	v_mfma_f32_16x16x4f32 a[0:3], v10, v12, a[0:3]
	s_movk_i32 s4, 0x7f
	v_cmp_gt_i16_sdwa s[6:7], v17, s4 src0_sel:BYTE_3 src1_sel:DWORD
	s_mov_b64 s[4:5], 0
                                        ; implicit-def: $sgpr10
	s_and_saveexec_b64 s[8:9], s[6:7]
	s_xor_b64 s[6:7], exec, s[8:9]
	s_cbranch_execnz .LBB23_3705
; %bb.1657:
	s_or_saveexec_b64 s[6:7], s[6:7]
	v_mov_b32_e32 v10, s10
	s_xor_b64 exec, exec, s[6:7]
	s_cbranch_execnz .LBB23_3708
.LBB23_1658:
	s_or_b64 exec, exec, s[6:7]
	s_and_saveexec_b64 s[6:7], s[4:5]
	s_cbranch_execz .LBB23_1660
.LBB23_1659:
	v_bfe_u32 v10, v17, 24, 3
	v_ffbh_u32_e32 v15, v10
	v_min_u32_e32 v15, 32, v15
	v_lshrrev_b32_e32 v12, 27, v17
	v_subrev_u32_e32 v16, 28, v15
	v_and_b32_e32 v12, 15, v12
	v_lshlrev_b32_sdwa v16, v16, v17 dst_sel:DWORD dst_unused:UNUSED_PAD src0_sel:DWORD src1_sel:BYTE_3
	v_bfe_u32 v14, v17, 27, 4
	v_sub_u32_e32 v15, 29, v15
	v_and_b32_e32 v16, 7, v16
	v_cmp_eq_u16_e32 vcc, 0, v12
	v_cndmask_b32_e32 v10, v10, v16, vcc
	v_cndmask_b32_e32 v12, v14, v15, vcc
	v_mov_b32_e32 v14, 0x3b800000
	v_and_b32_e32 v11, 0x80000000, v17
	v_lshlrev_b32_e32 v10, 20, v10
	v_lshl_add_u32 v12, v12, 23, v14
	v_or3_b32 v10, v11, v12, v10
.LBB23_1660:
	s_or_b64 exec, exec, s[6:7]
	s_movk_i32 s4, 0x7f
	v_cmp_gt_i16_sdwa s[6:7], v13, s4 src0_sel:BYTE_3 src1_sel:DWORD
	s_mov_b64 s[4:5], 0
                                        ; implicit-def: $sgpr10
	s_and_saveexec_b64 s[8:9], s[6:7]
	s_xor_b64 s[6:7], exec, s[8:9]
	s_cbranch_execnz .LBB23_3709
; %bb.1661:
	s_or_saveexec_b64 s[6:7], s[6:7]
	v_mov_b32_e32 v11, s10
	s_xor_b64 exec, exec, s[6:7]
	s_cbranch_execnz .LBB23_3712
.LBB23_1662:
	s_or_b64 exec, exec, s[6:7]
	s_and_saveexec_b64 s[6:7], s[4:5]
	s_cbranch_execz .LBB23_1664
.LBB23_1663:
	v_bfe_u32 v11, v13, 24, 3
	v_ffbh_u32_e32 v16, v11
	v_min_u32_e32 v16, 32, v16
	v_lshrrev_b32_e32 v14, 27, v13
	v_subrev_u32_e32 v17, 28, v16
	v_and_b32_e32 v12, 0x80000000, v13
	v_and_b32_e32 v14, 15, v14
	v_bfe_u32 v15, v13, 27, 4
	v_lshlrev_b32_sdwa v13, v17, v13 dst_sel:DWORD dst_unused:UNUSED_PAD src0_sel:DWORD src1_sel:BYTE_3
	v_sub_u32_e32 v16, 29, v16
	v_and_b32_e32 v13, 7, v13
	v_cmp_eq_u16_e32 vcc, 0, v14
	v_cndmask_b32_e32 v11, v11, v13, vcc
	v_cndmask_b32_e32 v13, v15, v16, vcc
	v_mov_b32_e32 v14, 0x3b800000
	v_lshlrev_b32_e32 v11, 20, v11
	v_lshl_add_u32 v13, v13, 23, v14
	v_or3_b32 v11, v12, v13, v11
.LBB23_1664:
	s_or_b64 exec, exec, s[6:7]
	s_nop 0
	v_mfma_f32_16x16x4f32 a[0:3], v10, v11, a[0:3]
	s_movk_i32 s4, 0x7f
	v_cmp_gt_i16_sdwa s[6:7], v6, s4 src0_sel:BYTE_0 src1_sel:DWORD
	s_mov_b64 s[4:5], 0
                                        ; implicit-def: $sgpr10
	s_and_saveexec_b64 s[8:9], s[6:7]
	s_xor_b64 s[6:7], exec, s[8:9]
	s_cbranch_execnz .LBB23_3713
; %bb.1665:
	s_or_saveexec_b64 s[6:7], s[6:7]
	v_mov_b32_e32 v10, s10
	s_xor_b64 exec, exec, s[6:7]
	s_cbranch_execnz .LBB23_3716
.LBB23_1666:
	s_or_b64 exec, exec, s[6:7]
	s_and_saveexec_b64 s[6:7], s[4:5]
	s_cbranch_execz .LBB23_1668
.LBB23_1667:
	v_and_b32_e32 v10, 7, v6
	v_ffbh_u32_e32 v12, v10
	v_min_u32_e32 v12, 32, v12
	v_lshrrev_b16_e32 v11, 3, v6
	v_subrev_u32_e32 v13, 28, v12
	v_and_b32_e32 v11, 15, v11
	v_lshlrev_b32_e32 v13, v13, v6
	v_sub_u32_e32 v12, 29, v12
	v_and_b32_e32 v13, 7, v13
	v_cmp_eq_u16_e32 vcc, 0, v11
	v_cndmask_b32_e32 v10, v10, v13, vcc
	v_cndmask_b32_e32 v11, v11, v12, vcc
	v_lshlrev_b32_e32 v12, 24, v6
	v_mov_b32_e32 v13, 0x3b800000
	v_lshlrev_b32_e32 v10, 20, v10
	v_and_b32_e32 v12, 0x80000000, v12
	v_lshl_add_u32 v11, v11, 23, v13
	v_or3_b32 v10, v12, v11, v10
.LBB23_1668:
	s_or_b64 exec, exec, s[6:7]
	s_movk_i32 s4, 0x7f
	v_cmp_gt_i16_sdwa s[6:7], v2, s4 src0_sel:BYTE_0 src1_sel:DWORD
	s_mov_b64 s[4:5], 0
                                        ; implicit-def: $sgpr10
	s_and_saveexec_b64 s[8:9], s[6:7]
	s_xor_b64 s[6:7], exec, s[8:9]
	s_cbranch_execnz .LBB23_3717
; %bb.1669:
	s_or_saveexec_b64 s[6:7], s[6:7]
	v_mov_b32_e32 v11, s10
	s_xor_b64 exec, exec, s[6:7]
	s_cbranch_execnz .LBB23_3720
.LBB23_1670:
	s_or_b64 exec, exec, s[6:7]
	s_and_saveexec_b64 s[6:7], s[4:5]
	s_cbranch_execz .LBB23_1672
.LBB23_1671:
	v_and_b32_e32 v11, 7, v2
	v_ffbh_u32_e32 v13, v11
	v_min_u32_e32 v13, 32, v13
	v_lshrrev_b16_e32 v12, 3, v2
	v_subrev_u32_e32 v14, 28, v13
	v_and_b32_e32 v12, 15, v12
	v_lshlrev_b32_e32 v14, v14, v2
	v_sub_u32_e32 v13, 29, v13
	v_and_b32_e32 v14, 7, v14
	v_cmp_eq_u16_e32 vcc, 0, v12
	v_cndmask_b32_e32 v11, v11, v14, vcc
	v_cndmask_b32_e32 v12, v12, v13, vcc
	v_lshlrev_b32_e32 v13, 24, v2
	v_mov_b32_e32 v14, 0x3b800000
	v_lshlrev_b32_e32 v11, 20, v11
	v_and_b32_e32 v13, 0x80000000, v13
	v_lshl_add_u32 v12, v12, 23, v14
	v_or3_b32 v11, v13, v12, v11
.LBB23_1672:
	s_or_b64 exec, exec, s[6:7]
	s_nop 0
	v_mfma_f32_16x16x4f32 a[0:3], v10, v11, a[0:3]
	v_lshrrev_b32_e32 v11, 8, v6
	s_movk_i32 s4, 0x7f
	v_cmp_gt_i16_sdwa s[6:7], v11, s4 src0_sel:BYTE_0 src1_sel:DWORD
	s_mov_b64 s[4:5], 0
                                        ; implicit-def: $sgpr10
	s_and_saveexec_b64 s[8:9], s[6:7]
	s_xor_b64 s[6:7], exec, s[8:9]
	s_cbranch_execnz .LBB23_3721
; %bb.1673:
	s_or_saveexec_b64 s[6:7], s[6:7]
	v_mov_b32_e32 v10, s10
	s_xor_b64 exec, exec, s[6:7]
	s_cbranch_execnz .LBB23_3724
.LBB23_1674:
	s_or_b64 exec, exec, s[6:7]
	s_and_saveexec_b64 s[6:7], s[4:5]
	s_cbranch_execz .LBB23_1676
.LBB23_1675:
	v_bfe_u32 v10, v6, 8, 3
	v_ffbh_u32_e32 v13, v10
	v_min_u32_e32 v13, 32, v13
	v_lshrrev_b16_e32 v12, 3, v11
	v_subrev_u32_e32 v14, 28, v13
	v_and_b32_e32 v12, 15, v12
	v_lshlrev_b32_e32 v11, v14, v11
	v_sub_u32_e32 v13, 29, v13
	v_and_b32_e32 v11, 7, v11
	v_cmp_eq_u16_e32 vcc, 0, v12
	v_cndmask_b32_e32 v10, v10, v11, vcc
	v_cndmask_b32_e32 v11, v12, v13, vcc
	v_lshlrev_b32_e32 v12, 16, v6
	v_mov_b32_e32 v13, 0x3b800000
	v_lshlrev_b32_e32 v10, 20, v10
	v_and_b32_e32 v12, 0x80000000, v12
	v_lshl_add_u32 v11, v11, 23, v13
	v_or3_b32 v10, v12, v11, v10
.LBB23_1676:
	s_or_b64 exec, exec, s[6:7]
	v_lshrrev_b32_e32 v11, 8, v2
	s_movk_i32 s4, 0x7f
	v_cmp_gt_i16_sdwa s[6:7], v11, s4 src0_sel:BYTE_0 src1_sel:DWORD
	s_mov_b64 s[4:5], 0
                                        ; implicit-def: $sgpr10
	s_and_saveexec_b64 s[8:9], s[6:7]
	s_xor_b64 s[6:7], exec, s[8:9]
	s_cbranch_execnz .LBB23_3725
; %bb.1677:
	s_or_saveexec_b64 s[6:7], s[6:7]
	v_mov_b32_e32 v12, s10
	s_xor_b64 exec, exec, s[6:7]
	s_cbranch_execnz .LBB23_3728
.LBB23_1678:
	s_or_b64 exec, exec, s[6:7]
	s_and_saveexec_b64 s[6:7], s[4:5]
	s_cbranch_execz .LBB23_1680
.LBB23_1679:
	v_bfe_u32 v12, v2, 8, 3
	v_ffbh_u32_e32 v14, v12
	v_min_u32_e32 v14, 32, v14
	v_lshrrev_b16_e32 v13, 3, v11
	v_subrev_u32_e32 v15, 28, v14
	v_and_b32_e32 v13, 15, v13
	v_lshlrev_b32_e32 v11, v15, v11
	v_sub_u32_e32 v14, 29, v14
	v_and_b32_e32 v11, 7, v11
	v_cmp_eq_u16_e32 vcc, 0, v13
	v_cndmask_b32_e32 v11, v12, v11, vcc
	v_cndmask_b32_e32 v12, v13, v14, vcc
	v_lshlrev_b32_e32 v13, 16, v2
	v_mov_b32_e32 v14, 0x3b800000
	v_lshlrev_b32_e32 v11, 20, v11
	v_and_b32_e32 v13, 0x80000000, v13
	v_lshl_add_u32 v12, v12, 23, v14
	v_or3_b32 v12, v13, v12, v11
.LBB23_1680:
	s_or_b64 exec, exec, s[6:7]
	s_nop 0
	v_mfma_f32_16x16x4f32 a[0:3], v10, v12, a[0:3]
	s_movk_i32 s4, 0xff
	v_and_b32_sdwa v11, v6, s4 dst_sel:DWORD dst_unused:UNUSED_PAD src0_sel:WORD_1 src1_sel:DWORD
	s_movk_i32 s4, 0x7f
	v_cmp_lt_i16_e32 vcc, s4, v11
	s_mov_b64 s[4:5], 0
                                        ; implicit-def: $sgpr10
	s_and_saveexec_b64 s[6:7], vcc
	s_xor_b64 s[6:7], exec, s[6:7]
	s_cbranch_execnz .LBB23_3729
; %bb.1681:
	s_or_saveexec_b64 s[6:7], s[6:7]
	v_mov_b32_e32 v10, s10
	s_xor_b64 exec, exec, s[6:7]
	s_cbranch_execnz .LBB23_3732
.LBB23_1682:
	s_or_b64 exec, exec, s[6:7]
	s_and_saveexec_b64 s[6:7], s[4:5]
	s_cbranch_execz .LBB23_1684
.LBB23_1683:
	v_bfe_u32 v10, v6, 16, 3
	v_ffbh_u32_e32 v13, v10
	v_min_u32_e32 v13, 32, v13
	v_lshrrev_b32_e32 v11, 19, v6
	v_subrev_u32_e32 v14, 28, v13
	v_and_b32_e32 v11, 15, v11
	v_lshlrev_b32_sdwa v14, v14, v6 dst_sel:DWORD dst_unused:UNUSED_PAD src0_sel:DWORD src1_sel:WORD_1
	v_bfe_u32 v12, v6, 19, 4
	v_sub_u32_e32 v13, 29, v13
	v_and_b32_e32 v14, 7, v14
	v_cmp_eq_u16_e32 vcc, 0, v11
	v_cndmask_b32_e32 v10, v10, v14, vcc
	v_cndmask_b32_e32 v11, v12, v13, vcc
	v_lshlrev_b32_e32 v12, 8, v6
	v_mov_b32_e32 v13, 0x3b800000
	v_lshlrev_b32_e32 v10, 20, v10
	v_and_b32_e32 v12, 0x80000000, v12
	v_lshl_add_u32 v11, v11, 23, v13
	v_or3_b32 v10, v12, v11, v10
.LBB23_1684:
	s_or_b64 exec, exec, s[6:7]
	s_movk_i32 s4, 0xff
	v_and_b32_sdwa v11, v2, s4 dst_sel:DWORD dst_unused:UNUSED_PAD src0_sel:WORD_1 src1_sel:DWORD
	s_movk_i32 s4, 0x7f
	v_cmp_lt_i16_e32 vcc, s4, v11
	s_mov_b64 s[4:5], 0
                                        ; implicit-def: $sgpr10
	s_and_saveexec_b64 s[6:7], vcc
	s_xor_b64 s[6:7], exec, s[6:7]
	s_cbranch_execnz .LBB23_3733
; %bb.1685:
	s_or_saveexec_b64 s[6:7], s[6:7]
	v_mov_b32_e32 v12, s10
	s_xor_b64 exec, exec, s[6:7]
	s_cbranch_execnz .LBB23_3736
.LBB23_1686:
	s_or_b64 exec, exec, s[6:7]
	s_and_saveexec_b64 s[6:7], s[4:5]
	s_cbranch_execz .LBB23_1688
.LBB23_1687:
	v_bfe_u32 v11, v2, 16, 3
	v_ffbh_u32_e32 v14, v11
	v_min_u32_e32 v14, 32, v14
	v_lshrrev_b32_e32 v12, 19, v2
	v_subrev_u32_e32 v15, 28, v14
	v_and_b32_e32 v12, 15, v12
	v_lshlrev_b32_sdwa v15, v15, v2 dst_sel:DWORD dst_unused:UNUSED_PAD src0_sel:DWORD src1_sel:WORD_1
	v_bfe_u32 v13, v2, 19, 4
	v_sub_u32_e32 v14, 29, v14
	v_and_b32_e32 v15, 7, v15
	v_cmp_eq_u16_e32 vcc, 0, v12
	v_cndmask_b32_e32 v11, v11, v15, vcc
	v_cndmask_b32_e32 v12, v13, v14, vcc
	v_lshlrev_b32_e32 v13, 8, v2
	v_mov_b32_e32 v14, 0x3b800000
	v_lshlrev_b32_e32 v11, 20, v11
	v_and_b32_e32 v13, 0x80000000, v13
	v_lshl_add_u32 v12, v12, 23, v14
	v_or3_b32 v12, v13, v12, v11
.LBB23_1688:
	s_or_b64 exec, exec, s[6:7]
	s_nop 0
	v_mfma_f32_16x16x4f32 a[0:3], v10, v12, a[0:3]
	s_movk_i32 s4, 0x7f
	v_cmp_gt_i16_sdwa s[6:7], v6, s4 src0_sel:BYTE_3 src1_sel:DWORD
	s_mov_b64 s[4:5], 0
                                        ; implicit-def: $sgpr10
	s_and_saveexec_b64 s[8:9], s[6:7]
	s_xor_b64 s[6:7], exec, s[8:9]
	s_cbranch_execnz .LBB23_3737
; %bb.1689:
	s_or_saveexec_b64 s[6:7], s[6:7]
	v_mov_b32_e32 v10, s10
	s_xor_b64 exec, exec, s[6:7]
	s_cbranch_execnz .LBB23_3740
.LBB23_1690:
	s_or_b64 exec, exec, s[6:7]
	s_and_saveexec_b64 s[6:7], s[4:5]
	s_cbranch_execz .LBB23_1692
.LBB23_1691:
	v_bfe_u32 v10, v6, 24, 3
	v_ffbh_u32_e32 v14, v10
	v_min_u32_e32 v14, 32, v14
	v_lshrrev_b32_e32 v12, 27, v6
	v_subrev_u32_e32 v15, 28, v14
	v_and_b32_e32 v11, 0x80000000, v6
	v_and_b32_e32 v12, 15, v12
	v_bfe_u32 v13, v6, 27, 4
	v_lshlrev_b32_sdwa v6, v15, v6 dst_sel:DWORD dst_unused:UNUSED_PAD src0_sel:DWORD src1_sel:BYTE_3
	v_sub_u32_e32 v14, 29, v14
	v_and_b32_e32 v6, 7, v6
	v_cmp_eq_u16_e32 vcc, 0, v12
	v_cndmask_b32_e32 v6, v10, v6, vcc
	v_cndmask_b32_e32 v10, v13, v14, vcc
	v_mov_b32_e32 v12, 0x3b800000
	v_lshlrev_b32_e32 v6, 20, v6
	v_lshl_add_u32 v10, v10, 23, v12
	v_or3_b32 v10, v11, v10, v6
.LBB23_1692:
	s_or_b64 exec, exec, s[6:7]
	s_movk_i32 s4, 0x7f
	v_cmp_gt_i16_sdwa s[6:7], v2, s4 src0_sel:BYTE_3 src1_sel:DWORD
	s_mov_b64 s[4:5], 0
                                        ; implicit-def: $sgpr10
	s_and_saveexec_b64 s[8:9], s[6:7]
	s_xor_b64 s[6:7], exec, s[8:9]
	s_cbranch_execnz .LBB23_3741
; %bb.1693:
	s_or_saveexec_b64 s[6:7], s[6:7]
	v_mov_b32_e32 v6, s10
	s_xor_b64 exec, exec, s[6:7]
	s_cbranch_execnz .LBB23_3744
.LBB23_1694:
	s_or_b64 exec, exec, s[6:7]
	s_and_saveexec_b64 s[6:7], s[4:5]
	s_cbranch_execz .LBB23_1696
.LBB23_1695:
	v_bfe_u32 v6, v2, 24, 3
	v_ffbh_u32_e32 v14, v6
	v_min_u32_e32 v14, 32, v14
	v_lshrrev_b32_e32 v12, 27, v2
	v_subrev_u32_e32 v15, 28, v14
	v_and_b32_e32 v11, 0x80000000, v2
	v_and_b32_e32 v12, 15, v12
	v_bfe_u32 v13, v2, 27, 4
	v_lshlrev_b32_sdwa v2, v15, v2 dst_sel:DWORD dst_unused:UNUSED_PAD src0_sel:DWORD src1_sel:BYTE_3
	v_sub_u32_e32 v14, 29, v14
	v_and_b32_e32 v2, 7, v2
	v_cmp_eq_u16_e32 vcc, 0, v12
	v_cndmask_b32_e32 v2, v6, v2, vcc
	v_cndmask_b32_e32 v6, v13, v14, vcc
	v_mov_b32_e32 v12, 0x3b800000
	v_lshlrev_b32_e32 v2, 20, v2
	v_lshl_add_u32 v6, v6, 23, v12
	v_or3_b32 v6, v11, v6, v2
.LBB23_1696:
	s_or_b64 exec, exec, s[6:7]
	s_nop 0
	v_mfma_f32_16x16x4f32 a[0:3], v10, v6, a[0:3]
	s_movk_i32 s4, 0x7f
	v_cmp_gt_i16_sdwa s[6:7], v7, s4 src0_sel:BYTE_0 src1_sel:DWORD
	s_mov_b64 s[4:5], 0
                                        ; implicit-def: $sgpr10
	s_and_saveexec_b64 s[8:9], s[6:7]
	s_xor_b64 s[6:7], exec, s[8:9]
	s_cbranch_execnz .LBB23_3745
; %bb.1697:
	s_or_saveexec_b64 s[6:7], s[6:7]
	v_mov_b32_e32 v2, s10
	s_xor_b64 exec, exec, s[6:7]
	s_cbranch_execnz .LBB23_3748
.LBB23_1698:
	s_or_b64 exec, exec, s[6:7]
	s_and_saveexec_b64 s[6:7], s[4:5]
	s_cbranch_execz .LBB23_1700
.LBB23_1699:
	v_and_b32_e32 v2, 7, v7
	v_ffbh_u32_e32 v10, v2
	v_min_u32_e32 v10, 32, v10
	v_lshrrev_b16_e32 v6, 3, v7
	v_subrev_u32_e32 v11, 28, v10
	v_and_b32_e32 v6, 15, v6
	v_lshlrev_b32_e32 v11, v11, v7
	v_sub_u32_e32 v10, 29, v10
	v_and_b32_e32 v11, 7, v11
	v_cmp_eq_u16_e32 vcc, 0, v6
	v_cndmask_b32_e32 v2, v2, v11, vcc
	v_cndmask_b32_e32 v6, v6, v10, vcc
	v_lshlrev_b32_e32 v10, 24, v7
	v_mov_b32_e32 v11, 0x3b800000
	v_lshlrev_b32_e32 v2, 20, v2
	v_and_b32_e32 v10, 0x80000000, v10
	v_lshl_add_u32 v6, v6, 23, v11
	v_or3_b32 v2, v10, v6, v2
.LBB23_1700:
	s_or_b64 exec, exec, s[6:7]
	s_movk_i32 s4, 0x7f
	v_cmp_gt_i16_sdwa s[6:7], v3, s4 src0_sel:BYTE_0 src1_sel:DWORD
	s_mov_b64 s[4:5], 0
                                        ; implicit-def: $sgpr10
	s_and_saveexec_b64 s[8:9], s[6:7]
	s_xor_b64 s[6:7], exec, s[8:9]
	s_cbranch_execnz .LBB23_3749
; %bb.1701:
	s_or_saveexec_b64 s[6:7], s[6:7]
	v_mov_b32_e32 v6, s10
	s_xor_b64 exec, exec, s[6:7]
	s_cbranch_execnz .LBB23_3752
.LBB23_1702:
	s_or_b64 exec, exec, s[6:7]
	s_and_saveexec_b64 s[6:7], s[4:5]
	s_cbranch_execz .LBB23_1704
.LBB23_1703:
	v_and_b32_e32 v6, 7, v3
	v_ffbh_u32_e32 v11, v6
	v_min_u32_e32 v11, 32, v11
	v_lshrrev_b16_e32 v10, 3, v3
	v_subrev_u32_e32 v12, 28, v11
	v_and_b32_e32 v10, 15, v10
	v_lshlrev_b32_e32 v12, v12, v3
	v_sub_u32_e32 v11, 29, v11
	v_and_b32_e32 v12, 7, v12
	v_cmp_eq_u16_e32 vcc, 0, v10
	v_cndmask_b32_e32 v6, v6, v12, vcc
	v_cndmask_b32_e32 v10, v10, v11, vcc
	v_lshlrev_b32_e32 v11, 24, v3
	v_mov_b32_e32 v12, 0x3b800000
	v_lshlrev_b32_e32 v6, 20, v6
	v_and_b32_e32 v11, 0x80000000, v11
	v_lshl_add_u32 v10, v10, 23, v12
	v_or3_b32 v6, v11, v10, v6
.LBB23_1704:
	s_or_b64 exec, exec, s[6:7]
	s_nop 0
	v_mfma_f32_16x16x4f32 a[0:3], v2, v6, a[0:3]
	v_lshrrev_b32_e32 v6, 8, v7
	s_movk_i32 s4, 0x7f
	v_cmp_gt_i16_sdwa s[6:7], v6, s4 src0_sel:BYTE_0 src1_sel:DWORD
	s_mov_b64 s[4:5], 0
                                        ; implicit-def: $sgpr10
	s_and_saveexec_b64 s[8:9], s[6:7]
	s_xor_b64 s[6:7], exec, s[8:9]
	s_cbranch_execnz .LBB23_3753
; %bb.1705:
	s_or_saveexec_b64 s[6:7], s[6:7]
	v_mov_b32_e32 v2, s10
	s_xor_b64 exec, exec, s[6:7]
	s_cbranch_execnz .LBB23_3756
.LBB23_1706:
	s_or_b64 exec, exec, s[6:7]
	s_and_saveexec_b64 s[6:7], s[4:5]
	s_cbranch_execz .LBB23_1708
.LBB23_1707:
	v_bfe_u32 v2, v7, 8, 3
	v_ffbh_u32_e32 v11, v2
	v_min_u32_e32 v11, 32, v11
	v_lshrrev_b16_e32 v10, 3, v6
	v_subrev_u32_e32 v12, 28, v11
	v_and_b32_e32 v10, 15, v10
	v_lshlrev_b32_e32 v6, v12, v6
	v_sub_u32_e32 v11, 29, v11
	v_and_b32_e32 v6, 7, v6
	v_cmp_eq_u16_e32 vcc, 0, v10
	v_cndmask_b32_e32 v2, v2, v6, vcc
	v_cndmask_b32_e32 v6, v10, v11, vcc
	v_lshlrev_b32_e32 v10, 16, v7
	v_mov_b32_e32 v11, 0x3b800000
	v_lshlrev_b32_e32 v2, 20, v2
	v_and_b32_e32 v10, 0x80000000, v10
	v_lshl_add_u32 v6, v6, 23, v11
	v_or3_b32 v2, v10, v6, v2
.LBB23_1708:
	s_or_b64 exec, exec, s[6:7]
	v_lshrrev_b32_e32 v6, 8, v3
	s_movk_i32 s4, 0x7f
	v_cmp_gt_i16_sdwa s[6:7], v6, s4 src0_sel:BYTE_0 src1_sel:DWORD
	s_mov_b64 s[4:5], 0
                                        ; implicit-def: $sgpr10
	s_and_saveexec_b64 s[8:9], s[6:7]
	s_xor_b64 s[6:7], exec, s[8:9]
	s_cbranch_execnz .LBB23_3757
; %bb.1709:
	s_or_saveexec_b64 s[6:7], s[6:7]
	v_mov_b32_e32 v10, s10
	s_xor_b64 exec, exec, s[6:7]
	s_cbranch_execnz .LBB23_3760
.LBB23_1710:
	s_or_b64 exec, exec, s[6:7]
	s_and_saveexec_b64 s[6:7], s[4:5]
	s_cbranch_execz .LBB23_1712
.LBB23_1711:
	v_bfe_u32 v10, v3, 8, 3
	v_ffbh_u32_e32 v12, v10
	v_min_u32_e32 v12, 32, v12
	v_lshrrev_b16_e32 v11, 3, v6
	v_subrev_u32_e32 v13, 28, v12
	v_and_b32_e32 v11, 15, v11
	v_lshlrev_b32_e32 v6, v13, v6
	v_sub_u32_e32 v12, 29, v12
	v_and_b32_e32 v6, 7, v6
	v_cmp_eq_u16_e32 vcc, 0, v11
	v_cndmask_b32_e32 v6, v10, v6, vcc
	v_cndmask_b32_e32 v10, v11, v12, vcc
	v_lshlrev_b32_e32 v11, 16, v3
	v_mov_b32_e32 v12, 0x3b800000
	v_lshlrev_b32_e32 v6, 20, v6
	v_and_b32_e32 v11, 0x80000000, v11
	v_lshl_add_u32 v10, v10, 23, v12
	v_or3_b32 v10, v11, v10, v6
.LBB23_1712:
	s_or_b64 exec, exec, s[6:7]
	s_nop 0
	v_mfma_f32_16x16x4f32 a[0:3], v2, v10, a[0:3]
	s_movk_i32 s4, 0xff
	v_and_b32_sdwa v6, v7, s4 dst_sel:DWORD dst_unused:UNUSED_PAD src0_sel:WORD_1 src1_sel:DWORD
	s_movk_i32 s4, 0x7f
	v_cmp_lt_i16_e32 vcc, s4, v6
	s_mov_b64 s[4:5], 0
                                        ; implicit-def: $sgpr10
	s_and_saveexec_b64 s[6:7], vcc
	s_xor_b64 s[6:7], exec, s[6:7]
	s_cbranch_execnz .LBB23_3761
; %bb.1713:
	s_or_saveexec_b64 s[6:7], s[6:7]
	v_mov_b32_e32 v2, s10
	s_xor_b64 exec, exec, s[6:7]
	s_cbranch_execnz .LBB23_3764
.LBB23_1714:
	s_or_b64 exec, exec, s[6:7]
	s_and_saveexec_b64 s[6:7], s[4:5]
	s_cbranch_execz .LBB23_1716
.LBB23_1715:
	v_bfe_u32 v2, v7, 16, 3
	v_ffbh_u32_e32 v11, v2
	v_min_u32_e32 v11, 32, v11
	v_lshrrev_b32_e32 v6, 19, v7
	v_subrev_u32_e32 v12, 28, v11
	v_and_b32_e32 v6, 15, v6
	v_lshlrev_b32_sdwa v12, v12, v7 dst_sel:DWORD dst_unused:UNUSED_PAD src0_sel:DWORD src1_sel:WORD_1
	v_bfe_u32 v10, v7, 19, 4
	v_sub_u32_e32 v11, 29, v11
	v_and_b32_e32 v12, 7, v12
	v_cmp_eq_u16_e32 vcc, 0, v6
	v_cndmask_b32_e32 v2, v2, v12, vcc
	v_cndmask_b32_e32 v6, v10, v11, vcc
	v_lshlrev_b32_e32 v10, 8, v7
	v_mov_b32_e32 v11, 0x3b800000
	v_lshlrev_b32_e32 v2, 20, v2
	v_and_b32_e32 v10, 0x80000000, v10
	v_lshl_add_u32 v6, v6, 23, v11
	v_or3_b32 v2, v10, v6, v2
.LBB23_1716:
	s_or_b64 exec, exec, s[6:7]
	s_movk_i32 s4, 0xff
	v_and_b32_sdwa v6, v3, s4 dst_sel:DWORD dst_unused:UNUSED_PAD src0_sel:WORD_1 src1_sel:DWORD
	s_movk_i32 s4, 0x7f
	v_cmp_lt_i16_e32 vcc, s4, v6
	s_mov_b64 s[4:5], 0
                                        ; implicit-def: $sgpr10
	s_and_saveexec_b64 s[6:7], vcc
	s_xor_b64 s[6:7], exec, s[6:7]
	s_cbranch_execnz .LBB23_3765
; %bb.1717:
	s_or_saveexec_b64 s[6:7], s[6:7]
	v_mov_b32_e32 v10, s10
	s_xor_b64 exec, exec, s[6:7]
	s_cbranch_execnz .LBB23_3768
.LBB23_1718:
	s_or_b64 exec, exec, s[6:7]
	s_and_saveexec_b64 s[6:7], s[4:5]
	s_cbranch_execz .LBB23_1720
.LBB23_1719:
	v_bfe_u32 v6, v3, 16, 3
	v_ffbh_u32_e32 v12, v6
	v_min_u32_e32 v12, 32, v12
	v_lshrrev_b32_e32 v10, 19, v3
	v_subrev_u32_e32 v13, 28, v12
	v_and_b32_e32 v10, 15, v10
	v_lshlrev_b32_sdwa v13, v13, v3 dst_sel:DWORD dst_unused:UNUSED_PAD src0_sel:DWORD src1_sel:WORD_1
	v_bfe_u32 v11, v3, 19, 4
	v_sub_u32_e32 v12, 29, v12
	v_and_b32_e32 v13, 7, v13
	v_cmp_eq_u16_e32 vcc, 0, v10
	v_cndmask_b32_e32 v6, v6, v13, vcc
	v_cndmask_b32_e32 v10, v11, v12, vcc
	v_lshlrev_b32_e32 v11, 8, v3
	v_mov_b32_e32 v12, 0x3b800000
	v_lshlrev_b32_e32 v6, 20, v6
	v_and_b32_e32 v11, 0x80000000, v11
	v_lshl_add_u32 v10, v10, 23, v12
	v_or3_b32 v10, v11, v10, v6
.LBB23_1720:
	s_or_b64 exec, exec, s[6:7]
	s_nop 0
	v_mfma_f32_16x16x4f32 a[0:3], v2, v10, a[0:3]
	s_movk_i32 s4, 0x7f
	v_cmp_gt_i16_sdwa s[6:7], v7, s4 src0_sel:BYTE_3 src1_sel:DWORD
	s_mov_b64 s[4:5], 0
                                        ; implicit-def: $sgpr10
	s_and_saveexec_b64 s[8:9], s[6:7]
	s_xor_b64 s[6:7], exec, s[8:9]
	s_cbranch_execnz .LBB23_3769
; %bb.1721:
	s_or_saveexec_b64 s[6:7], s[6:7]
	v_mov_b32_e32 v2, s10
	s_xor_b64 exec, exec, s[6:7]
	s_cbranch_execnz .LBB23_3772
.LBB23_1722:
	s_or_b64 exec, exec, s[6:7]
	s_and_saveexec_b64 s[6:7], s[4:5]
	s_cbranch_execz .LBB23_1724
.LBB23_1723:
	v_bfe_u32 v2, v7, 24, 3
	v_ffbh_u32_e32 v12, v2
	v_min_u32_e32 v12, 32, v12
	v_lshrrev_b32_e32 v10, 27, v7
	v_subrev_u32_e32 v13, 28, v12
	v_and_b32_e32 v6, 0x80000000, v7
	v_and_b32_e32 v10, 15, v10
	v_bfe_u32 v11, v7, 27, 4
	v_lshlrev_b32_sdwa v7, v13, v7 dst_sel:DWORD dst_unused:UNUSED_PAD src0_sel:DWORD src1_sel:BYTE_3
	v_sub_u32_e32 v12, 29, v12
	v_and_b32_e32 v7, 7, v7
	v_cmp_eq_u16_e32 vcc, 0, v10
	v_cndmask_b32_e32 v2, v2, v7, vcc
	v_cndmask_b32_e32 v7, v11, v12, vcc
	v_mov_b32_e32 v10, 0x3b800000
	v_lshlrev_b32_e32 v2, 20, v2
	v_lshl_add_u32 v7, v7, 23, v10
	v_or3_b32 v2, v6, v7, v2
.LBB23_1724:
	s_or_b64 exec, exec, s[6:7]
	s_movk_i32 s4, 0x7f
	v_cmp_gt_i16_sdwa s[6:7], v3, s4 src0_sel:BYTE_3 src1_sel:DWORD
	s_mov_b64 s[4:5], 0
                                        ; implicit-def: $sgpr10
	s_and_saveexec_b64 s[8:9], s[6:7]
	s_xor_b64 s[6:7], exec, s[8:9]
	s_cbranch_execnz .LBB23_3773
; %bb.1725:
	s_or_saveexec_b64 s[6:7], s[6:7]
	v_mov_b32_e32 v6, s10
	s_xor_b64 exec, exec, s[6:7]
	s_cbranch_execnz .LBB23_3776
.LBB23_1726:
	s_or_b64 exec, exec, s[6:7]
	s_and_saveexec_b64 s[6:7], s[4:5]
	s_cbranch_execz .LBB23_1728
.LBB23_1727:
	v_bfe_u32 v6, v3, 24, 3
	v_ffbh_u32_e32 v12, v6
	v_min_u32_e32 v12, 32, v12
	v_lshrrev_b32_e32 v10, 27, v3
	v_subrev_u32_e32 v13, 28, v12
	v_and_b32_e32 v7, 0x80000000, v3
	v_and_b32_e32 v10, 15, v10
	v_bfe_u32 v11, v3, 27, 4
	v_lshlrev_b32_sdwa v3, v13, v3 dst_sel:DWORD dst_unused:UNUSED_PAD src0_sel:DWORD src1_sel:BYTE_3
	v_sub_u32_e32 v12, 29, v12
	v_and_b32_e32 v3, 7, v3
	v_cmp_eq_u16_e32 vcc, 0, v10
	v_cndmask_b32_e32 v3, v6, v3, vcc
	v_cndmask_b32_e32 v6, v11, v12, vcc
	v_mov_b32_e32 v10, 0x3b800000
	v_lshlrev_b32_e32 v3, 20, v3
	v_lshl_add_u32 v6, v6, 23, v10
	v_or3_b32 v6, v7, v6, v3
.LBB23_1728:
	s_or_b64 exec, exec, s[6:7]
	s_nop 0
	v_mfma_f32_16x16x4f32 a[0:3], v2, v6, a[0:3]
	s_movk_i32 s4, 0x7f
	v_cmp_gt_i16_sdwa s[6:7], v8, s4 src0_sel:BYTE_0 src1_sel:DWORD
	s_mov_b64 s[4:5], 0
                                        ; implicit-def: $sgpr10
	s_and_saveexec_b64 s[8:9], s[6:7]
	s_xor_b64 s[6:7], exec, s[8:9]
	s_cbranch_execnz .LBB23_3777
; %bb.1729:
	s_or_saveexec_b64 s[6:7], s[6:7]
	v_mov_b32_e32 v2, s10
	s_xor_b64 exec, exec, s[6:7]
	s_cbranch_execnz .LBB23_3780
.LBB23_1730:
	s_or_b64 exec, exec, s[6:7]
	s_and_saveexec_b64 s[6:7], s[4:5]
	s_cbranch_execz .LBB23_1732
.LBB23_1731:
	v_and_b32_e32 v2, 7, v8
	v_ffbh_u32_e32 v6, v2
	v_min_u32_e32 v6, 32, v6
	v_lshrrev_b16_e32 v3, 3, v8
	v_subrev_u32_e32 v7, 28, v6
	v_and_b32_e32 v3, 15, v3
	v_lshlrev_b32_e32 v7, v7, v8
	v_sub_u32_e32 v6, 29, v6
	v_and_b32_e32 v7, 7, v7
	v_cmp_eq_u16_e32 vcc, 0, v3
	v_cndmask_b32_e32 v2, v2, v7, vcc
	v_cndmask_b32_e32 v3, v3, v6, vcc
	v_lshlrev_b32_e32 v6, 24, v8
	v_mov_b32_e32 v7, 0x3b800000
	v_lshlrev_b32_e32 v2, 20, v2
	v_and_b32_e32 v6, 0x80000000, v6
	v_lshl_add_u32 v3, v3, 23, v7
	v_or3_b32 v2, v6, v3, v2
.LBB23_1732:
	s_or_b64 exec, exec, s[6:7]
	s_movk_i32 s4, 0x7f
	v_cmp_gt_i16_sdwa s[6:7], v4, s4 src0_sel:BYTE_0 src1_sel:DWORD
	s_mov_b64 s[4:5], 0
                                        ; implicit-def: $sgpr10
	s_and_saveexec_b64 s[8:9], s[6:7]
	s_xor_b64 s[6:7], exec, s[8:9]
	s_cbranch_execnz .LBB23_3781
; %bb.1733:
	s_or_saveexec_b64 s[6:7], s[6:7]
	v_mov_b32_e32 v3, s10
	s_xor_b64 exec, exec, s[6:7]
	s_cbranch_execnz .LBB23_3784
.LBB23_1734:
	s_or_b64 exec, exec, s[6:7]
	s_and_saveexec_b64 s[6:7], s[4:5]
	s_cbranch_execz .LBB23_1736
.LBB23_1735:
	v_and_b32_e32 v3, 7, v4
	v_ffbh_u32_e32 v7, v3
	v_min_u32_e32 v7, 32, v7
	v_lshrrev_b16_e32 v6, 3, v4
	v_subrev_u32_e32 v10, 28, v7
	v_and_b32_e32 v6, 15, v6
	v_lshlrev_b32_e32 v10, v10, v4
	v_sub_u32_e32 v7, 29, v7
	v_and_b32_e32 v10, 7, v10
	v_cmp_eq_u16_e32 vcc, 0, v6
	v_cndmask_b32_e32 v3, v3, v10, vcc
	v_cndmask_b32_e32 v6, v6, v7, vcc
	v_lshlrev_b32_e32 v7, 24, v4
	v_mov_b32_e32 v10, 0x3b800000
	v_lshlrev_b32_e32 v3, 20, v3
	v_and_b32_e32 v7, 0x80000000, v7
	v_lshl_add_u32 v6, v6, 23, v10
	v_or3_b32 v3, v7, v6, v3
.LBB23_1736:
	s_or_b64 exec, exec, s[6:7]
	s_nop 0
	v_mfma_f32_16x16x4f32 a[0:3], v2, v3, a[0:3]
	v_lshrrev_b32_e32 v3, 8, v8
	s_movk_i32 s4, 0x7f
	v_cmp_gt_i16_sdwa s[6:7], v3, s4 src0_sel:BYTE_0 src1_sel:DWORD
	s_mov_b64 s[4:5], 0
                                        ; implicit-def: $sgpr10
	s_and_saveexec_b64 s[8:9], s[6:7]
	s_xor_b64 s[6:7], exec, s[8:9]
	s_cbranch_execnz .LBB23_3785
; %bb.1737:
	s_or_saveexec_b64 s[6:7], s[6:7]
	v_mov_b32_e32 v2, s10
	s_xor_b64 exec, exec, s[6:7]
	s_cbranch_execnz .LBB23_3788
.LBB23_1738:
	s_or_b64 exec, exec, s[6:7]
	s_and_saveexec_b64 s[6:7], s[4:5]
	s_cbranch_execz .LBB23_1740
.LBB23_1739:
	v_bfe_u32 v2, v8, 8, 3
	v_ffbh_u32_e32 v7, v2
	v_min_u32_e32 v7, 32, v7
	v_lshrrev_b16_e32 v6, 3, v3
	v_subrev_u32_e32 v10, 28, v7
	v_and_b32_e32 v6, 15, v6
	v_lshlrev_b32_e32 v3, v10, v3
	v_sub_u32_e32 v7, 29, v7
	v_and_b32_e32 v3, 7, v3
	v_cmp_eq_u16_e32 vcc, 0, v6
	v_cndmask_b32_e32 v2, v2, v3, vcc
	v_cndmask_b32_e32 v3, v6, v7, vcc
	v_lshlrev_b32_e32 v6, 16, v8
	v_mov_b32_e32 v7, 0x3b800000
	v_lshlrev_b32_e32 v2, 20, v2
	v_and_b32_e32 v6, 0x80000000, v6
	v_lshl_add_u32 v3, v3, 23, v7
	v_or3_b32 v2, v6, v3, v2
.LBB23_1740:
	s_or_b64 exec, exec, s[6:7]
	v_lshrrev_b32_e32 v3, 8, v4
	s_movk_i32 s4, 0x7f
	v_cmp_gt_i16_sdwa s[6:7], v3, s4 src0_sel:BYTE_0 src1_sel:DWORD
	s_mov_b64 s[4:5], 0
                                        ; implicit-def: $sgpr10
	s_and_saveexec_b64 s[8:9], s[6:7]
	s_xor_b64 s[6:7], exec, s[8:9]
	s_cbranch_execnz .LBB23_3789
; %bb.1741:
	s_or_saveexec_b64 s[6:7], s[6:7]
	v_mov_b32_e32 v6, s10
	s_xor_b64 exec, exec, s[6:7]
	s_cbranch_execnz .LBB23_3792
.LBB23_1742:
	s_or_b64 exec, exec, s[6:7]
	s_and_saveexec_b64 s[6:7], s[4:5]
	s_cbranch_execz .LBB23_1744
.LBB23_1743:
	v_bfe_u32 v6, v4, 8, 3
	v_ffbh_u32_e32 v10, v6
	v_min_u32_e32 v10, 32, v10
	v_lshrrev_b16_e32 v7, 3, v3
	v_subrev_u32_e32 v11, 28, v10
	v_and_b32_e32 v7, 15, v7
	v_lshlrev_b32_e32 v3, v11, v3
	v_sub_u32_e32 v10, 29, v10
	v_and_b32_e32 v3, 7, v3
	v_cmp_eq_u16_e32 vcc, 0, v7
	v_cndmask_b32_e32 v3, v6, v3, vcc
	v_cndmask_b32_e32 v6, v7, v10, vcc
	v_lshlrev_b32_e32 v7, 16, v4
	v_mov_b32_e32 v10, 0x3b800000
	v_lshlrev_b32_e32 v3, 20, v3
	v_and_b32_e32 v7, 0x80000000, v7
	v_lshl_add_u32 v6, v6, 23, v10
	v_or3_b32 v6, v7, v6, v3
.LBB23_1744:
	s_or_b64 exec, exec, s[6:7]
	s_nop 0
	v_mfma_f32_16x16x4f32 a[0:3], v2, v6, a[0:3]
	s_movk_i32 s4, 0xff
	v_and_b32_sdwa v3, v8, s4 dst_sel:DWORD dst_unused:UNUSED_PAD src0_sel:WORD_1 src1_sel:DWORD
	s_movk_i32 s4, 0x7f
	v_cmp_lt_i16_e32 vcc, s4, v3
	s_mov_b64 s[4:5], 0
                                        ; implicit-def: $sgpr10
	s_and_saveexec_b64 s[6:7], vcc
	s_xor_b64 s[6:7], exec, s[6:7]
	s_cbranch_execnz .LBB23_3793
; %bb.1745:
	s_or_saveexec_b64 s[6:7], s[6:7]
	v_mov_b32_e32 v2, s10
	s_xor_b64 exec, exec, s[6:7]
	s_cbranch_execnz .LBB23_3796
.LBB23_1746:
	s_or_b64 exec, exec, s[6:7]
	s_and_saveexec_b64 s[6:7], s[4:5]
	s_cbranch_execz .LBB23_1748
.LBB23_1747:
	v_bfe_u32 v2, v8, 16, 3
	v_ffbh_u32_e32 v7, v2
	v_min_u32_e32 v7, 32, v7
	v_lshrrev_b32_e32 v3, 19, v8
	v_subrev_u32_e32 v10, 28, v7
	v_and_b32_e32 v3, 15, v3
	v_lshlrev_b32_sdwa v10, v10, v8 dst_sel:DWORD dst_unused:UNUSED_PAD src0_sel:DWORD src1_sel:WORD_1
	v_bfe_u32 v6, v8, 19, 4
	v_sub_u32_e32 v7, 29, v7
	v_and_b32_e32 v10, 7, v10
	v_cmp_eq_u16_e32 vcc, 0, v3
	v_cndmask_b32_e32 v2, v2, v10, vcc
	v_cndmask_b32_e32 v3, v6, v7, vcc
	v_lshlrev_b32_e32 v6, 8, v8
	v_mov_b32_e32 v7, 0x3b800000
	v_lshlrev_b32_e32 v2, 20, v2
	v_and_b32_e32 v6, 0x80000000, v6
	v_lshl_add_u32 v3, v3, 23, v7
	v_or3_b32 v2, v6, v3, v2
.LBB23_1748:
	s_or_b64 exec, exec, s[6:7]
	s_movk_i32 s4, 0xff
	v_and_b32_sdwa v3, v4, s4 dst_sel:DWORD dst_unused:UNUSED_PAD src0_sel:WORD_1 src1_sel:DWORD
	s_movk_i32 s4, 0x7f
	v_cmp_lt_i16_e32 vcc, s4, v3
	s_mov_b64 s[4:5], 0
                                        ; implicit-def: $sgpr10
	s_and_saveexec_b64 s[6:7], vcc
	s_xor_b64 s[6:7], exec, s[6:7]
	s_cbranch_execnz .LBB23_3797
; %bb.1749:
	s_or_saveexec_b64 s[6:7], s[6:7]
	v_mov_b32_e32 v6, s10
	s_xor_b64 exec, exec, s[6:7]
	s_cbranch_execnz .LBB23_3800
.LBB23_1750:
	s_or_b64 exec, exec, s[6:7]
	s_and_saveexec_b64 s[6:7], s[4:5]
	s_cbranch_execz .LBB23_1752
.LBB23_1751:
	v_bfe_u32 v3, v4, 16, 3
	v_ffbh_u32_e32 v10, v3
	v_min_u32_e32 v10, 32, v10
	v_lshrrev_b32_e32 v6, 19, v4
	v_subrev_u32_e32 v11, 28, v10
	v_and_b32_e32 v6, 15, v6
	v_lshlrev_b32_sdwa v11, v11, v4 dst_sel:DWORD dst_unused:UNUSED_PAD src0_sel:DWORD src1_sel:WORD_1
	v_bfe_u32 v7, v4, 19, 4
	v_sub_u32_e32 v10, 29, v10
	v_and_b32_e32 v11, 7, v11
	v_cmp_eq_u16_e32 vcc, 0, v6
	v_cndmask_b32_e32 v3, v3, v11, vcc
	v_cndmask_b32_e32 v6, v7, v10, vcc
	v_lshlrev_b32_e32 v7, 8, v4
	v_mov_b32_e32 v10, 0x3b800000
	v_lshlrev_b32_e32 v3, 20, v3
	v_and_b32_e32 v7, 0x80000000, v7
	v_lshl_add_u32 v6, v6, 23, v10
	v_or3_b32 v6, v7, v6, v3
.LBB23_1752:
	s_or_b64 exec, exec, s[6:7]
	s_nop 0
	v_mfma_f32_16x16x4f32 a[0:3], v2, v6, a[0:3]
	s_movk_i32 s4, 0x7f
	v_cmp_gt_i16_sdwa s[6:7], v8, s4 src0_sel:BYTE_3 src1_sel:DWORD
	s_mov_b64 s[4:5], 0
                                        ; implicit-def: $sgpr10
	s_and_saveexec_b64 s[8:9], s[6:7]
	s_xor_b64 s[6:7], exec, s[8:9]
	s_cbranch_execnz .LBB23_3801
; %bb.1753:
	s_or_saveexec_b64 s[6:7], s[6:7]
	v_mov_b32_e32 v2, s10
	s_xor_b64 exec, exec, s[6:7]
	s_cbranch_execnz .LBB23_3804
.LBB23_1754:
	s_or_b64 exec, exec, s[6:7]
	s_and_saveexec_b64 s[6:7], s[4:5]
	s_cbranch_execz .LBB23_1756
.LBB23_1755:
	v_bfe_u32 v2, v8, 24, 3
	v_ffbh_u32_e32 v10, v2
	v_min_u32_e32 v10, 32, v10
	v_lshrrev_b32_e32 v6, 27, v8
	v_subrev_u32_e32 v11, 28, v10
	v_and_b32_e32 v3, 0x80000000, v8
	v_and_b32_e32 v6, 15, v6
	v_bfe_u32 v7, v8, 27, 4
	v_lshlrev_b32_sdwa v8, v11, v8 dst_sel:DWORD dst_unused:UNUSED_PAD src0_sel:DWORD src1_sel:BYTE_3
	v_sub_u32_e32 v10, 29, v10
	v_and_b32_e32 v8, 7, v8
	v_cmp_eq_u16_e32 vcc, 0, v6
	v_cndmask_b32_e32 v2, v2, v8, vcc
	v_cndmask_b32_e32 v6, v7, v10, vcc
	v_mov_b32_e32 v7, 0x3b800000
	v_lshlrev_b32_e32 v2, 20, v2
	v_lshl_add_u32 v6, v6, 23, v7
	v_or3_b32 v2, v3, v6, v2
.LBB23_1756:
	s_or_b64 exec, exec, s[6:7]
	s_movk_i32 s4, 0x7f
	v_cmp_gt_i16_sdwa s[6:7], v4, s4 src0_sel:BYTE_3 src1_sel:DWORD
	s_mov_b64 s[4:5], 0
                                        ; implicit-def: $sgpr10
	s_and_saveexec_b64 s[8:9], s[6:7]
	s_xor_b64 s[6:7], exec, s[8:9]
	s_cbranch_execnz .LBB23_3805
; %bb.1757:
	s_or_saveexec_b64 s[6:7], s[6:7]
	v_mov_b32_e32 v3, s10
	s_xor_b64 exec, exec, s[6:7]
	s_cbranch_execnz .LBB23_3808
.LBB23_1758:
	s_or_b64 exec, exec, s[6:7]
	s_and_saveexec_b64 s[6:7], s[4:5]
	s_cbranch_execz .LBB23_1760
.LBB23_1759:
	v_bfe_u32 v3, v4, 24, 3
	v_ffbh_u32_e32 v10, v3
	v_min_u32_e32 v10, 32, v10
	v_lshrrev_b32_e32 v7, 27, v4
	v_subrev_u32_e32 v11, 28, v10
	v_and_b32_e32 v6, 0x80000000, v4
	v_and_b32_e32 v7, 15, v7
	v_bfe_u32 v8, v4, 27, 4
	v_lshlrev_b32_sdwa v4, v11, v4 dst_sel:DWORD dst_unused:UNUSED_PAD src0_sel:DWORD src1_sel:BYTE_3
	v_sub_u32_e32 v10, 29, v10
	v_and_b32_e32 v4, 7, v4
	v_cmp_eq_u16_e32 vcc, 0, v7
	v_cndmask_b32_e32 v3, v3, v4, vcc
	v_cndmask_b32_e32 v4, v8, v10, vcc
	v_mov_b32_e32 v7, 0x3b800000
	v_lshlrev_b32_e32 v3, 20, v3
	v_lshl_add_u32 v4, v4, 23, v7
	v_or3_b32 v3, v6, v4, v3
.LBB23_1760:
	s_or_b64 exec, exec, s[6:7]
	s_nop 0
	v_mfma_f32_16x16x4f32 a[0:3], v2, v3, a[0:3]
	s_movk_i32 s4, 0x7f
	v_cmp_gt_i16_sdwa s[6:7], v9, s4 src0_sel:BYTE_0 src1_sel:DWORD
	s_mov_b64 s[4:5], 0
                                        ; implicit-def: $sgpr10
	s_and_saveexec_b64 s[8:9], s[6:7]
	s_xor_b64 s[6:7], exec, s[8:9]
	s_cbranch_execnz .LBB23_3809
; %bb.1761:
	s_or_saveexec_b64 s[6:7], s[6:7]
	v_mov_b32_e32 v2, s10
	s_xor_b64 exec, exec, s[6:7]
	s_cbranch_execnz .LBB23_3812
.LBB23_1762:
	s_or_b64 exec, exec, s[6:7]
	s_and_saveexec_b64 s[6:7], s[4:5]
	s_cbranch_execz .LBB23_1764
.LBB23_1763:
	v_mov_b32_e32 v2, 8
	v_and_b32_e32 v3, 7, v9
	v_lshrrev_b32_sdwa v2, v2, v9 dst_sel:BYTE_1 dst_unused:UNUSED_PAD src0_sel:DWORD src1_sel:DWORD
	v_ffbh_u32_e32 v4, v3
	v_or_b32_sdwa v2, v9, v2 dst_sel:DWORD dst_unused:UNUSED_PAD src0_sel:BYTE_0 src1_sel:DWORD
	v_min_u32_e32 v4, 32, v4
	v_lshrrev_b16_e32 v2, 3, v2
	v_subrev_u32_e32 v6, 28, v4
	v_and_b32_e32 v2, 15, v2
	v_lshlrev_b32_e32 v6, v6, v9
	v_sub_u32_e32 v4, 29, v4
	v_and_b32_e32 v6, 7, v6
	v_cmp_eq_u16_e32 vcc, 0, v2
	v_cndmask_b32_e32 v3, v3, v6, vcc
	v_cndmask_b32_e32 v2, v2, v4, vcc
	v_lshlrev_b32_e32 v4, 24, v9
	v_mov_b32_e32 v6, 0x3b800000
	v_lshlrev_b32_e32 v3, 20, v3
	v_and_b32_e32 v4, 0x80000000, v4
	v_lshl_add_u32 v2, v2, 23, v6
	v_or3_b32 v2, v4, v2, v3
.LBB23_1764:
	s_or_b64 exec, exec, s[6:7]
	s_movk_i32 s4, 0x7f
	v_cmp_gt_i16_sdwa s[6:7], v5, s4 src0_sel:BYTE_0 src1_sel:DWORD
	s_mov_b64 s[4:5], 0
                                        ; implicit-def: $sgpr10
	s_and_saveexec_b64 s[8:9], s[6:7]
	s_xor_b64 s[6:7], exec, s[8:9]
	s_cbranch_execnz .LBB23_3813
; %bb.1765:
	s_or_saveexec_b64 s[6:7], s[6:7]
	v_mov_b32_e32 v3, s10
	s_xor_b64 exec, exec, s[6:7]
	s_cbranch_execnz .LBB23_3816
.LBB23_1766:
	s_or_b64 exec, exec, s[6:7]
	s_and_saveexec_b64 s[6:7], s[4:5]
	s_cbranch_execz .LBB23_1768
.LBB23_1767:
	v_mov_b32_e32 v3, 8
	v_and_b32_e32 v4, 7, v5
	v_lshrrev_b32_sdwa v3, v3, v5 dst_sel:BYTE_1 dst_unused:UNUSED_PAD src0_sel:DWORD src1_sel:DWORD
	v_ffbh_u32_e32 v6, v4
	v_or_b32_sdwa v3, v5, v3 dst_sel:DWORD dst_unused:UNUSED_PAD src0_sel:BYTE_0 src1_sel:DWORD
	v_min_u32_e32 v6, 32, v6
	v_lshrrev_b16_e32 v3, 3, v3
	v_subrev_u32_e32 v7, 28, v6
	v_and_b32_e32 v3, 15, v3
	v_lshlrev_b32_e32 v7, v7, v5
	v_sub_u32_e32 v6, 29, v6
	v_and_b32_e32 v7, 7, v7
	v_cmp_eq_u16_e32 vcc, 0, v3
	v_cndmask_b32_e32 v4, v4, v7, vcc
	v_cndmask_b32_e32 v3, v3, v6, vcc
	v_lshlrev_b32_e32 v6, 24, v5
	v_mov_b32_e32 v7, 0x3b800000
	v_lshlrev_b32_e32 v4, 20, v4
	v_and_b32_e32 v6, 0x80000000, v6
	v_lshl_add_u32 v3, v3, 23, v7
	v_or3_b32 v3, v6, v3, v4
.LBB23_1768:
	s_or_b64 exec, exec, s[6:7]
	s_nop 0
	v_mfma_f32_16x16x4f32 a[0:3], v2, v3, a[0:3]
	v_lshrrev_b32_e32 v3, 8, v9
	s_movk_i32 s4, 0x7f
	v_cmp_gt_i16_sdwa s[6:7], v3, s4 src0_sel:BYTE_0 src1_sel:DWORD
	s_mov_b64 s[4:5], 0
                                        ; implicit-def: $sgpr10
	s_and_saveexec_b64 s[8:9], s[6:7]
	s_xor_b64 s[6:7], exec, s[8:9]
	s_cbranch_execnz .LBB23_3817
; %bb.1769:
	s_or_saveexec_b64 s[6:7], s[6:7]
	v_mov_b32_e32 v2, s10
	s_xor_b64 exec, exec, s[6:7]
	s_cbranch_execnz .LBB23_3820
.LBB23_1770:
	s_or_b64 exec, exec, s[6:7]
	s_and_saveexec_b64 s[6:7], s[4:5]
	s_cbranch_execz .LBB23_1772
.LBB23_1771:
	v_bfe_u32 v2, v9, 8, 3
	v_ffbh_u32_e32 v6, v2
	v_min_u32_e32 v6, 32, v6
	v_lshrrev_b16_e32 v4, 3, v3
	v_subrev_u32_e32 v7, 28, v6
	v_and_b32_e32 v4, 15, v4
	v_lshlrev_b32_e32 v3, v7, v3
	v_sub_u32_e32 v6, 29, v6
	v_and_b32_e32 v3, 7, v3
	v_cmp_eq_u16_e32 vcc, 0, v4
	v_cndmask_b32_e32 v2, v2, v3, vcc
	v_cndmask_b32_e32 v3, v4, v6, vcc
	v_lshlrev_b32_e32 v4, 16, v9
	v_mov_b32_e32 v6, 0x3b800000
	v_lshlrev_b32_e32 v2, 20, v2
	v_and_b32_e32 v4, 0x80000000, v4
	v_lshl_add_u32 v3, v3, 23, v6
	v_or3_b32 v2, v4, v3, v2
.LBB23_1772:
	s_or_b64 exec, exec, s[6:7]
	v_lshrrev_b32_e32 v3, 8, v5
	s_movk_i32 s4, 0x7f
	v_cmp_gt_i16_sdwa s[6:7], v3, s4 src0_sel:BYTE_0 src1_sel:DWORD
	s_mov_b64 s[4:5], 0
                                        ; implicit-def: $sgpr10
	s_and_saveexec_b64 s[8:9], s[6:7]
	s_xor_b64 s[6:7], exec, s[8:9]
	s_cbranch_execnz .LBB23_3821
; %bb.1773:
	s_or_saveexec_b64 s[6:7], s[6:7]
	v_mov_b32_e32 v4, s10
	s_xor_b64 exec, exec, s[6:7]
	s_cbranch_execnz .LBB23_3824
.LBB23_1774:
	s_or_b64 exec, exec, s[6:7]
	s_and_saveexec_b64 s[6:7], s[4:5]
	s_cbranch_execz .LBB23_1776
.LBB23_1775:
	v_bfe_u32 v4, v5, 8, 3
	v_ffbh_u32_e32 v7, v4
	v_min_u32_e32 v7, 32, v7
	v_lshrrev_b16_e32 v6, 3, v3
	v_subrev_u32_e32 v8, 28, v7
	v_and_b32_e32 v6, 15, v6
	v_lshlrev_b32_e32 v3, v8, v3
	v_sub_u32_e32 v7, 29, v7
	v_and_b32_e32 v3, 7, v3
	v_cmp_eq_u16_e32 vcc, 0, v6
	v_cndmask_b32_e32 v3, v4, v3, vcc
	v_cndmask_b32_e32 v4, v6, v7, vcc
	v_lshlrev_b32_e32 v6, 16, v5
	v_mov_b32_e32 v7, 0x3b800000
	v_lshlrev_b32_e32 v3, 20, v3
	v_and_b32_e32 v6, 0x80000000, v6
	v_lshl_add_u32 v4, v4, 23, v7
	v_or3_b32 v4, v6, v4, v3
.LBB23_1776:
	s_or_b64 exec, exec, s[6:7]
	s_nop 0
	v_mfma_f32_16x16x4f32 a[0:3], v2, v4, a[0:3]
	s_movk_i32 s4, 0xff
	v_and_b32_sdwa v3, v9, s4 dst_sel:DWORD dst_unused:UNUSED_PAD src0_sel:WORD_1 src1_sel:DWORD
	s_movk_i32 s4, 0x7f
	v_cmp_lt_i16_e32 vcc, s4, v3
	s_mov_b64 s[4:5], 0
                                        ; implicit-def: $sgpr10
	s_and_saveexec_b64 s[6:7], vcc
	s_xor_b64 s[6:7], exec, s[6:7]
	s_cbranch_execnz .LBB23_3825
; %bb.1777:
	s_or_saveexec_b64 s[6:7], s[6:7]
	v_mov_b32_e32 v2, s10
	s_xor_b64 exec, exec, s[6:7]
	s_cbranch_execnz .LBB23_3828
.LBB23_1778:
	s_or_b64 exec, exec, s[6:7]
	s_and_saveexec_b64 s[6:7], s[4:5]
	s_cbranch_execz .LBB23_1780
.LBB23_1779:
	v_bfe_u32 v2, v9, 16, 3
	v_ffbh_u32_e32 v6, v2
	v_min_u32_e32 v6, 32, v6
	v_lshrrev_b32_e32 v3, 19, v9
	v_subrev_u32_e32 v7, 28, v6
	v_and_b32_e32 v3, 15, v3
	v_lshlrev_b32_sdwa v7, v7, v9 dst_sel:DWORD dst_unused:UNUSED_PAD src0_sel:DWORD src1_sel:WORD_1
	v_bfe_u32 v4, v9, 19, 4
	v_sub_u32_e32 v6, 29, v6
	v_and_b32_e32 v7, 7, v7
	v_cmp_eq_u16_e32 vcc, 0, v3
	v_cndmask_b32_e32 v2, v2, v7, vcc
	v_cndmask_b32_e32 v3, v4, v6, vcc
	v_lshlrev_b32_e32 v4, 8, v9
	v_mov_b32_e32 v6, 0x3b800000
	v_lshlrev_b32_e32 v2, 20, v2
	v_and_b32_e32 v4, 0x80000000, v4
	v_lshl_add_u32 v3, v3, 23, v6
	v_or3_b32 v2, v4, v3, v2
.LBB23_1780:
	s_or_b64 exec, exec, s[6:7]
	s_movk_i32 s4, 0xff
	v_and_b32_sdwa v3, v5, s4 dst_sel:DWORD dst_unused:UNUSED_PAD src0_sel:WORD_1 src1_sel:DWORD
	s_movk_i32 s4, 0x7f
	v_cmp_lt_i16_e32 vcc, s4, v3
	s_mov_b64 s[4:5], 0
                                        ; implicit-def: $sgpr10
	s_and_saveexec_b64 s[6:7], vcc
	s_xor_b64 s[6:7], exec, s[6:7]
	s_cbranch_execnz .LBB23_3829
; %bb.1781:
	s_or_saveexec_b64 s[6:7], s[6:7]
	v_mov_b32_e32 v4, s10
	s_xor_b64 exec, exec, s[6:7]
	s_cbranch_execnz .LBB23_3832
.LBB23_1782:
	s_or_b64 exec, exec, s[6:7]
	s_and_saveexec_b64 s[6:7], s[4:5]
	s_cbranch_execz .LBB23_1784
.LBB23_1783:
	v_bfe_u32 v3, v5, 16, 3
	v_ffbh_u32_e32 v7, v3
	v_min_u32_e32 v7, 32, v7
	v_lshrrev_b32_e32 v4, 19, v5
	v_subrev_u32_e32 v8, 28, v7
	v_and_b32_e32 v4, 15, v4
	v_lshlrev_b32_sdwa v8, v8, v5 dst_sel:DWORD dst_unused:UNUSED_PAD src0_sel:DWORD src1_sel:WORD_1
	v_bfe_u32 v6, v5, 19, 4
	v_sub_u32_e32 v7, 29, v7
	v_and_b32_e32 v8, 7, v8
	v_cmp_eq_u16_e32 vcc, 0, v4
	v_cndmask_b32_e32 v3, v3, v8, vcc
	v_cndmask_b32_e32 v4, v6, v7, vcc
	v_lshlrev_b32_e32 v6, 8, v5
	v_mov_b32_e32 v7, 0x3b800000
	v_lshlrev_b32_e32 v3, 20, v3
	v_and_b32_e32 v6, 0x80000000, v6
	v_lshl_add_u32 v4, v4, 23, v7
	v_or3_b32 v4, v6, v4, v3
.LBB23_1784:
	s_or_b64 exec, exec, s[6:7]
	s_nop 0
	v_mfma_f32_16x16x4f32 a[0:3], v2, v4, a[0:3]
	s_movk_i32 s4, 0x7f
	v_cmp_gt_i16_sdwa s[6:7], v9, s4 src0_sel:BYTE_3 src1_sel:DWORD
	s_mov_b64 s[4:5], 0
                                        ; implicit-def: $sgpr10
	s_and_saveexec_b64 s[8:9], s[6:7]
	s_xor_b64 s[6:7], exec, s[8:9]
	s_cbranch_execnz .LBB23_3833
; %bb.1785:
	s_or_saveexec_b64 s[6:7], s[6:7]
	v_mov_b32_e32 v2, s10
	s_xor_b64 exec, exec, s[6:7]
	s_cbranch_execnz .LBB23_3836
.LBB23_1786:
	s_or_b64 exec, exec, s[6:7]
	s_and_saveexec_b64 s[6:7], s[4:5]
	s_cbranch_execz .LBB23_1788
.LBB23_1787:
	v_bfe_u32 v2, v9, 24, 3
	v_ffbh_u32_e32 v7, v2
	v_min_u32_e32 v7, 32, v7
	v_lshrrev_b32_e32 v4, 27, v9
	v_subrev_u32_e32 v8, 28, v7
	v_and_b32_e32 v4, 15, v4
	v_lshlrev_b32_sdwa v8, v8, v9 dst_sel:DWORD dst_unused:UNUSED_PAD src0_sel:DWORD src1_sel:BYTE_3
	v_bfe_u32 v6, v9, 27, 4
	v_sub_u32_e32 v7, 29, v7
	v_and_b32_e32 v8, 7, v8
	v_cmp_eq_u16_e32 vcc, 0, v4
	v_cndmask_b32_e32 v2, v2, v8, vcc
	v_cndmask_b32_e32 v4, v6, v7, vcc
	v_mov_b32_e32 v6, 0x3b800000
	v_and_b32_e32 v3, 0x80000000, v9
	v_lshlrev_b32_e32 v2, 20, v2
	v_lshl_add_u32 v4, v4, 23, v6
	v_or3_b32 v2, v3, v4, v2
.LBB23_1788:
	s_or_b64 exec, exec, s[6:7]
	s_movk_i32 s4, 0x7f
	v_cmp_gt_i16_sdwa s[6:7], v5, s4 src0_sel:BYTE_3 src1_sel:DWORD
	s_mov_b64 s[4:5], 0
                                        ; implicit-def: $sgpr10
	s_and_saveexec_b64 s[8:9], s[6:7]
	s_xor_b64 s[6:7], exec, s[8:9]
	s_cbranch_execnz .LBB23_3837
; %bb.1789:
	s_or_saveexec_b64 s[6:7], s[6:7]
	v_mov_b32_e32 v3, s10
	s_xor_b64 exec, exec, s[6:7]
	s_cbranch_execnz .LBB23_3840
.LBB23_1790:
	s_or_b64 exec, exec, s[6:7]
	s_and_saveexec_b64 s[6:7], s[4:5]
	s_cbranch_execz .LBB23_1792
.LBB23_1791:
	v_bfe_u32 v3, v5, 24, 3
	v_ffbh_u32_e32 v8, v3
	v_min_u32_e32 v8, 32, v8
	v_lshrrev_b32_e32 v6, 27, v5
	v_subrev_u32_e32 v9, 28, v8
	v_and_b32_e32 v4, 0x80000000, v5
	v_and_b32_e32 v6, 15, v6
	v_bfe_u32 v7, v5, 27, 4
	v_lshlrev_b32_sdwa v5, v9, v5 dst_sel:DWORD dst_unused:UNUSED_PAD src0_sel:DWORD src1_sel:BYTE_3
	v_sub_u32_e32 v8, 29, v8
	v_and_b32_e32 v5, 7, v5
	v_cmp_eq_u16_e32 vcc, 0, v6
	v_cndmask_b32_e32 v3, v3, v5, vcc
	v_cndmask_b32_e32 v5, v7, v8, vcc
	v_mov_b32_e32 v6, 0x3b800000
	v_lshlrev_b32_e32 v3, 20, v3
	v_lshl_add_u32 v5, v5, 23, v6
	v_or3_b32 v3, v4, v5, v3
.LBB23_1792:
	s_or_b64 exec, exec, s[6:7]
	s_nop 0
	v_mfma_f32_16x16x4f32 a[0:3], v2, v3, a[0:3]
	s_movk_i32 s4, 0x7f
                                        ; implicit-def: $sgpr10
	s_nop 7
	s_nop 1
	flat_store_dwordx4 v[18:19], a[0:3] offset:736
	flat_load_dwordx4 v[18:21], v[0:1] offset:8
	s_nop 0
	flat_load_dwordx2 v[16:17], v[0:1] offset:24
	s_waitcnt vmcnt(0) lgkmcnt(0)
	flat_load_dwordx4 v[12:15], v[18:19] offset:32
	flat_load_dwordx4 v[4:7], v[18:19] offset:48
	;; [unrolled: 1-line block ×4, first 2 shown]
	s_waitcnt vmcnt(0) lgkmcnt(0)
	v_cmp_gt_i16_sdwa s[6:7], v12, s4 src0_sel:BYTE_0 src1_sel:DWORD
	s_mov_b64 s[4:5], 0
	s_and_saveexec_b64 s[8:9], s[6:7]
	s_xor_b64 s[6:7], exec, s[8:9]
	s_cbranch_execnz .LBB23_3841
; %bb.1793:
	s_or_saveexec_b64 s[6:7], s[6:7]
	v_mov_b32_e32 v18, s10
	s_xor_b64 exec, exec, s[6:7]
	s_cbranch_execnz .LBB23_3844
.LBB23_1794:
	s_or_b64 exec, exec, s[6:7]
	s_and_saveexec_b64 s[6:7], s[4:5]
	s_cbranch_execz .LBB23_1796
.LBB23_1795:
	v_and_b32_e32 v18, 7, v12
	v_ffbh_u32_e32 v20, v18
	v_min_u32_e32 v20, 32, v20
	v_lshrrev_b16_e32 v19, 3, v12
	v_subrev_u32_e32 v21, 28, v20
	v_and_b32_e32 v19, 15, v19
	v_lshlrev_b32_e32 v21, v21, v12
	v_sub_u32_e32 v20, 29, v20
	v_and_b32_e32 v21, 7, v21
	v_cmp_eq_u16_e32 vcc, 0, v19
	v_cndmask_b32_e32 v18, v18, v21, vcc
	v_cndmask_b32_e32 v19, v19, v20, vcc
	v_lshlrev_b32_e32 v20, 24, v12
	v_mov_b32_e32 v21, 0x3b800000
	v_lshlrev_b32_e32 v18, 20, v18
	v_and_b32_e32 v20, 0x80000000, v20
	v_lshl_add_u32 v19, v19, 23, v21
	v_or3_b32 v18, v20, v19, v18
.LBB23_1796:
	s_or_b64 exec, exec, s[6:7]
	s_movk_i32 s4, 0x7f
	v_cmp_gt_i16_sdwa s[6:7], v8, s4 src0_sel:BYTE_0 src1_sel:DWORD
	s_mov_b64 s[4:5], 0
                                        ; implicit-def: $sgpr10
	s_and_saveexec_b64 s[8:9], s[6:7]
	s_xor_b64 s[6:7], exec, s[8:9]
	s_cbranch_execnz .LBB23_3845
; %bb.1797:
	s_or_saveexec_b64 s[6:7], s[6:7]
	v_mov_b32_e32 v19, s10
	s_xor_b64 exec, exec, s[6:7]
	s_cbranch_execnz .LBB23_3848
.LBB23_1798:
	s_or_b64 exec, exec, s[6:7]
	s_and_saveexec_b64 s[6:7], s[4:5]
	s_cbranch_execz .LBB23_1800
.LBB23_1799:
	v_and_b32_e32 v19, 7, v8
	v_ffbh_u32_e32 v21, v19
	v_min_u32_e32 v21, 32, v21
	v_lshrrev_b16_e32 v20, 3, v8
	v_subrev_u32_e32 v22, 28, v21
	v_and_b32_e32 v20, 15, v20
	v_lshlrev_b32_e32 v22, v22, v8
	v_sub_u32_e32 v21, 29, v21
	v_and_b32_e32 v22, 7, v22
	v_cmp_eq_u16_e32 vcc, 0, v20
	v_cndmask_b32_e32 v19, v19, v22, vcc
	v_cndmask_b32_e32 v20, v20, v21, vcc
	v_lshlrev_b32_e32 v21, 24, v8
	v_mov_b32_e32 v22, 0x3b800000
	v_lshlrev_b32_e32 v19, 20, v19
	v_and_b32_e32 v21, 0x80000000, v21
	v_lshl_add_u32 v20, v20, 23, v22
	v_or3_b32 v19, v21, v20, v19
.LBB23_1800:
	s_or_b64 exec, exec, s[6:7]
	flat_load_dwordx4 a[0:3], v[16:17] offset:752
	s_movk_i32 s4, 0x7f
                                        ; implicit-def: $sgpr10
	s_waitcnt vmcnt(0) lgkmcnt(0)
	v_mfma_f32_16x16x4f32 a[0:3], v18, v19, a[0:3]
	v_lshrrev_b32_e32 v19, 8, v12
	v_cmp_gt_i16_sdwa s[6:7], v19, s4 src0_sel:BYTE_0 src1_sel:DWORD
	s_mov_b64 s[4:5], 0
	s_and_saveexec_b64 s[8:9], s[6:7]
	s_xor_b64 s[6:7], exec, s[8:9]
	s_cbranch_execnz .LBB23_3849
; %bb.1801:
	s_or_saveexec_b64 s[6:7], s[6:7]
	v_mov_b32_e32 v18, s10
	s_xor_b64 exec, exec, s[6:7]
	s_cbranch_execnz .LBB23_3852
.LBB23_1802:
	s_or_b64 exec, exec, s[6:7]
	s_and_saveexec_b64 s[6:7], s[4:5]
	s_cbranch_execz .LBB23_1804
.LBB23_1803:
	v_bfe_u32 v18, v12, 8, 3
	v_ffbh_u32_e32 v21, v18
	v_min_u32_e32 v21, 32, v21
	v_lshrrev_b16_e32 v20, 3, v19
	v_subrev_u32_e32 v22, 28, v21
	v_and_b32_e32 v20, 15, v20
	v_lshlrev_b32_e32 v19, v22, v19
	v_sub_u32_e32 v21, 29, v21
	v_and_b32_e32 v19, 7, v19
	v_cmp_eq_u16_e32 vcc, 0, v20
	v_cndmask_b32_e32 v18, v18, v19, vcc
	v_cndmask_b32_e32 v19, v20, v21, vcc
	v_lshlrev_b32_e32 v20, 16, v12
	v_mov_b32_e32 v21, 0x3b800000
	v_lshlrev_b32_e32 v18, 20, v18
	v_and_b32_e32 v20, 0x80000000, v20
	v_lshl_add_u32 v19, v19, 23, v21
	v_or3_b32 v18, v20, v19, v18
.LBB23_1804:
	s_or_b64 exec, exec, s[6:7]
	v_lshrrev_b32_e32 v19, 8, v8
	s_movk_i32 s4, 0x7f
	v_cmp_gt_i16_sdwa s[6:7], v19, s4 src0_sel:BYTE_0 src1_sel:DWORD
	s_mov_b64 s[4:5], 0
                                        ; implicit-def: $sgpr10
	s_and_saveexec_b64 s[8:9], s[6:7]
	s_xor_b64 s[6:7], exec, s[8:9]
	s_cbranch_execnz .LBB23_3853
; %bb.1805:
	s_or_saveexec_b64 s[6:7], s[6:7]
	v_mov_b32_e32 v20, s10
	s_xor_b64 exec, exec, s[6:7]
	s_cbranch_execnz .LBB23_3856
.LBB23_1806:
	s_or_b64 exec, exec, s[6:7]
	s_and_saveexec_b64 s[6:7], s[4:5]
	s_cbranch_execz .LBB23_1808
.LBB23_1807:
	v_bfe_u32 v20, v8, 8, 3
	v_ffbh_u32_e32 v22, v20
	v_min_u32_e32 v22, 32, v22
	v_lshrrev_b16_e32 v21, 3, v19
	v_subrev_u32_e32 v23, 28, v22
	v_and_b32_e32 v21, 15, v21
	v_lshlrev_b32_e32 v19, v23, v19
	v_sub_u32_e32 v22, 29, v22
	v_and_b32_e32 v19, 7, v19
	v_cmp_eq_u16_e32 vcc, 0, v21
	v_cndmask_b32_e32 v19, v20, v19, vcc
	v_cndmask_b32_e32 v20, v21, v22, vcc
	v_lshlrev_b32_e32 v21, 16, v8
	v_mov_b32_e32 v22, 0x3b800000
	v_lshlrev_b32_e32 v19, 20, v19
	v_and_b32_e32 v21, 0x80000000, v21
	v_lshl_add_u32 v20, v20, 23, v22
	v_or3_b32 v20, v21, v20, v19
.LBB23_1808:
	s_or_b64 exec, exec, s[6:7]
	s_nop 0
	v_mfma_f32_16x16x4f32 a[0:3], v18, v20, a[0:3]
	s_movk_i32 s4, 0xff
	v_and_b32_sdwa v19, v12, s4 dst_sel:DWORD dst_unused:UNUSED_PAD src0_sel:WORD_1 src1_sel:DWORD
	s_movk_i32 s4, 0x7f
	v_cmp_lt_i16_e32 vcc, s4, v19
	s_mov_b64 s[4:5], 0
                                        ; implicit-def: $sgpr10
	s_and_saveexec_b64 s[6:7], vcc
	s_xor_b64 s[6:7], exec, s[6:7]
	s_cbranch_execnz .LBB23_3857
; %bb.1809:
	s_or_saveexec_b64 s[6:7], s[6:7]
	v_mov_b32_e32 v18, s10
	s_xor_b64 exec, exec, s[6:7]
	s_cbranch_execnz .LBB23_3860
.LBB23_1810:
	s_or_b64 exec, exec, s[6:7]
	s_and_saveexec_b64 s[6:7], s[4:5]
	s_cbranch_execz .LBB23_1812
.LBB23_1811:
	v_bfe_u32 v18, v12, 16, 3
	v_ffbh_u32_e32 v21, v18
	v_min_u32_e32 v21, 32, v21
	v_lshrrev_b32_e32 v19, 19, v12
	v_subrev_u32_e32 v22, 28, v21
	v_and_b32_e32 v19, 15, v19
	v_lshlrev_b32_sdwa v22, v22, v12 dst_sel:DWORD dst_unused:UNUSED_PAD src0_sel:DWORD src1_sel:WORD_1
	v_bfe_u32 v20, v12, 19, 4
	v_sub_u32_e32 v21, 29, v21
	v_and_b32_e32 v22, 7, v22
	v_cmp_eq_u16_e32 vcc, 0, v19
	v_cndmask_b32_e32 v18, v18, v22, vcc
	v_cndmask_b32_e32 v19, v20, v21, vcc
	v_lshlrev_b32_e32 v20, 8, v12
	v_mov_b32_e32 v21, 0x3b800000
	v_lshlrev_b32_e32 v18, 20, v18
	v_and_b32_e32 v20, 0x80000000, v20
	v_lshl_add_u32 v19, v19, 23, v21
	v_or3_b32 v18, v20, v19, v18
.LBB23_1812:
	s_or_b64 exec, exec, s[6:7]
	s_movk_i32 s4, 0xff
	v_and_b32_sdwa v19, v8, s4 dst_sel:DWORD dst_unused:UNUSED_PAD src0_sel:WORD_1 src1_sel:DWORD
	s_movk_i32 s4, 0x7f
	v_cmp_lt_i16_e32 vcc, s4, v19
	s_mov_b64 s[4:5], 0
                                        ; implicit-def: $sgpr10
	s_and_saveexec_b64 s[6:7], vcc
	s_xor_b64 s[6:7], exec, s[6:7]
	s_cbranch_execnz .LBB23_3861
; %bb.1813:
	s_or_saveexec_b64 s[6:7], s[6:7]
	v_mov_b32_e32 v20, s10
	s_xor_b64 exec, exec, s[6:7]
	s_cbranch_execnz .LBB23_3864
.LBB23_1814:
	s_or_b64 exec, exec, s[6:7]
	s_and_saveexec_b64 s[6:7], s[4:5]
	s_cbranch_execz .LBB23_1816
.LBB23_1815:
	v_bfe_u32 v19, v8, 16, 3
	v_ffbh_u32_e32 v22, v19
	v_min_u32_e32 v22, 32, v22
	v_lshrrev_b32_e32 v20, 19, v8
	v_subrev_u32_e32 v23, 28, v22
	v_and_b32_e32 v20, 15, v20
	v_lshlrev_b32_sdwa v23, v23, v8 dst_sel:DWORD dst_unused:UNUSED_PAD src0_sel:DWORD src1_sel:WORD_1
	v_bfe_u32 v21, v8, 19, 4
	v_sub_u32_e32 v22, 29, v22
	v_and_b32_e32 v23, 7, v23
	v_cmp_eq_u16_e32 vcc, 0, v20
	v_cndmask_b32_e32 v19, v19, v23, vcc
	v_cndmask_b32_e32 v20, v21, v22, vcc
	v_lshlrev_b32_e32 v21, 8, v8
	v_mov_b32_e32 v22, 0x3b800000
	v_lshlrev_b32_e32 v19, 20, v19
	v_and_b32_e32 v21, 0x80000000, v21
	v_lshl_add_u32 v20, v20, 23, v22
	v_or3_b32 v20, v21, v20, v19
.LBB23_1816:
	s_or_b64 exec, exec, s[6:7]
	s_nop 0
	v_mfma_f32_16x16x4f32 a[0:3], v18, v20, a[0:3]
	s_movk_i32 s4, 0x7f
	v_cmp_gt_i16_sdwa s[6:7], v12, s4 src0_sel:BYTE_3 src1_sel:DWORD
	s_mov_b64 s[4:5], 0
                                        ; implicit-def: $sgpr10
	s_and_saveexec_b64 s[8:9], s[6:7]
	s_xor_b64 s[6:7], exec, s[8:9]
	s_cbranch_execnz .LBB23_3865
; %bb.1817:
	s_or_saveexec_b64 s[6:7], s[6:7]
	v_mov_b32_e32 v18, s10
	s_xor_b64 exec, exec, s[6:7]
	s_cbranch_execnz .LBB23_3868
.LBB23_1818:
	s_or_b64 exec, exec, s[6:7]
	s_and_saveexec_b64 s[6:7], s[4:5]
	s_cbranch_execz .LBB23_1820
.LBB23_1819:
	v_bfe_u32 v18, v12, 24, 3
	v_ffbh_u32_e32 v22, v18
	v_min_u32_e32 v22, 32, v22
	v_lshrrev_b32_e32 v20, 27, v12
	v_subrev_u32_e32 v23, 28, v22
	v_and_b32_e32 v19, 0x80000000, v12
	v_and_b32_e32 v20, 15, v20
	v_bfe_u32 v21, v12, 27, 4
	v_lshlrev_b32_sdwa v12, v23, v12 dst_sel:DWORD dst_unused:UNUSED_PAD src0_sel:DWORD src1_sel:BYTE_3
	v_sub_u32_e32 v22, 29, v22
	v_and_b32_e32 v12, 7, v12
	v_cmp_eq_u16_e32 vcc, 0, v20
	v_cndmask_b32_e32 v12, v18, v12, vcc
	v_cndmask_b32_e32 v18, v21, v22, vcc
	v_mov_b32_e32 v20, 0x3b800000
	v_lshlrev_b32_e32 v12, 20, v12
	v_lshl_add_u32 v18, v18, 23, v20
	v_or3_b32 v18, v19, v18, v12
.LBB23_1820:
	s_or_b64 exec, exec, s[6:7]
	s_movk_i32 s4, 0x7f
	v_cmp_gt_i16_sdwa s[6:7], v8, s4 src0_sel:BYTE_3 src1_sel:DWORD
	s_mov_b64 s[4:5], 0
                                        ; implicit-def: $sgpr10
	s_and_saveexec_b64 s[8:9], s[6:7]
	s_xor_b64 s[6:7], exec, s[8:9]
	s_cbranch_execnz .LBB23_3869
; %bb.1821:
	s_or_saveexec_b64 s[6:7], s[6:7]
	v_mov_b32_e32 v12, s10
	s_xor_b64 exec, exec, s[6:7]
	s_cbranch_execnz .LBB23_3872
.LBB23_1822:
	s_or_b64 exec, exec, s[6:7]
	s_and_saveexec_b64 s[6:7], s[4:5]
	s_cbranch_execz .LBB23_1824
.LBB23_1823:
	v_bfe_u32 v12, v8, 24, 3
	v_ffbh_u32_e32 v22, v12
	v_min_u32_e32 v22, 32, v22
	v_lshrrev_b32_e32 v20, 27, v8
	v_subrev_u32_e32 v23, 28, v22
	v_and_b32_e32 v19, 0x80000000, v8
	v_and_b32_e32 v20, 15, v20
	v_bfe_u32 v21, v8, 27, 4
	v_lshlrev_b32_sdwa v8, v23, v8 dst_sel:DWORD dst_unused:UNUSED_PAD src0_sel:DWORD src1_sel:BYTE_3
	v_sub_u32_e32 v22, 29, v22
	v_and_b32_e32 v8, 7, v8
	v_cmp_eq_u16_e32 vcc, 0, v20
	v_cndmask_b32_e32 v8, v12, v8, vcc
	v_cndmask_b32_e32 v12, v21, v22, vcc
	v_mov_b32_e32 v20, 0x3b800000
	v_lshlrev_b32_e32 v8, 20, v8
	v_lshl_add_u32 v12, v12, 23, v20
	v_or3_b32 v12, v19, v12, v8
.LBB23_1824:
	s_or_b64 exec, exec, s[6:7]
	s_nop 0
	v_mfma_f32_16x16x4f32 a[0:3], v18, v12, a[0:3]
	s_movk_i32 s4, 0x7f
	v_cmp_gt_i16_sdwa s[6:7], v13, s4 src0_sel:BYTE_0 src1_sel:DWORD
	s_mov_b64 s[4:5], 0
                                        ; implicit-def: $sgpr10
	s_and_saveexec_b64 s[8:9], s[6:7]
	s_xor_b64 s[6:7], exec, s[8:9]
	s_cbranch_execnz .LBB23_3873
; %bb.1825:
	s_or_saveexec_b64 s[6:7], s[6:7]
	v_mov_b32_e32 v8, s10
	s_xor_b64 exec, exec, s[6:7]
	s_cbranch_execnz .LBB23_3876
.LBB23_1826:
	s_or_b64 exec, exec, s[6:7]
	s_and_saveexec_b64 s[6:7], s[4:5]
	s_cbranch_execz .LBB23_1828
.LBB23_1827:
	v_and_b32_e32 v8, 7, v13
	v_ffbh_u32_e32 v18, v8
	v_min_u32_e32 v18, 32, v18
	v_lshrrev_b16_e32 v12, 3, v13
	v_subrev_u32_e32 v19, 28, v18
	v_and_b32_e32 v12, 15, v12
	v_lshlrev_b32_e32 v19, v19, v13
	v_sub_u32_e32 v18, 29, v18
	v_and_b32_e32 v19, 7, v19
	v_cmp_eq_u16_e32 vcc, 0, v12
	v_cndmask_b32_e32 v8, v8, v19, vcc
	v_cndmask_b32_e32 v12, v12, v18, vcc
	v_lshlrev_b32_e32 v18, 24, v13
	v_mov_b32_e32 v19, 0x3b800000
	v_lshlrev_b32_e32 v8, 20, v8
	v_and_b32_e32 v18, 0x80000000, v18
	v_lshl_add_u32 v12, v12, 23, v19
	v_or3_b32 v8, v18, v12, v8
.LBB23_1828:
	s_or_b64 exec, exec, s[6:7]
	s_movk_i32 s4, 0x7f
	v_cmp_gt_i16_sdwa s[6:7], v9, s4 src0_sel:BYTE_0 src1_sel:DWORD
	s_mov_b64 s[4:5], 0
                                        ; implicit-def: $sgpr10
	s_and_saveexec_b64 s[8:9], s[6:7]
	s_xor_b64 s[6:7], exec, s[8:9]
	s_cbranch_execnz .LBB23_3877
; %bb.1829:
	s_or_saveexec_b64 s[6:7], s[6:7]
	v_mov_b32_e32 v12, s10
	s_xor_b64 exec, exec, s[6:7]
	s_cbranch_execnz .LBB23_3880
.LBB23_1830:
	s_or_b64 exec, exec, s[6:7]
	s_and_saveexec_b64 s[6:7], s[4:5]
	s_cbranch_execz .LBB23_1832
.LBB23_1831:
	v_and_b32_e32 v12, 7, v9
	v_ffbh_u32_e32 v19, v12
	v_min_u32_e32 v19, 32, v19
	v_lshrrev_b16_e32 v18, 3, v9
	v_subrev_u32_e32 v20, 28, v19
	v_and_b32_e32 v18, 15, v18
	v_lshlrev_b32_e32 v20, v20, v9
	v_sub_u32_e32 v19, 29, v19
	v_and_b32_e32 v20, 7, v20
	v_cmp_eq_u16_e32 vcc, 0, v18
	v_cndmask_b32_e32 v12, v12, v20, vcc
	v_cndmask_b32_e32 v18, v18, v19, vcc
	v_lshlrev_b32_e32 v19, 24, v9
	v_mov_b32_e32 v20, 0x3b800000
	v_lshlrev_b32_e32 v12, 20, v12
	v_and_b32_e32 v19, 0x80000000, v19
	v_lshl_add_u32 v18, v18, 23, v20
	v_or3_b32 v12, v19, v18, v12
.LBB23_1832:
	s_or_b64 exec, exec, s[6:7]
	s_nop 0
	v_mfma_f32_16x16x4f32 a[0:3], v8, v12, a[0:3]
	v_lshrrev_b32_e32 v12, 8, v13
	s_movk_i32 s4, 0x7f
	v_cmp_gt_i16_sdwa s[6:7], v12, s4 src0_sel:BYTE_0 src1_sel:DWORD
	s_mov_b64 s[4:5], 0
                                        ; implicit-def: $sgpr10
	s_and_saveexec_b64 s[8:9], s[6:7]
	s_xor_b64 s[6:7], exec, s[8:9]
	s_cbranch_execnz .LBB23_3881
; %bb.1833:
	s_or_saveexec_b64 s[6:7], s[6:7]
	v_mov_b32_e32 v8, s10
	s_xor_b64 exec, exec, s[6:7]
	s_cbranch_execnz .LBB23_3884
.LBB23_1834:
	s_or_b64 exec, exec, s[6:7]
	s_and_saveexec_b64 s[6:7], s[4:5]
	s_cbranch_execz .LBB23_1836
.LBB23_1835:
	v_bfe_u32 v8, v13, 8, 3
	v_ffbh_u32_e32 v19, v8
	v_min_u32_e32 v19, 32, v19
	v_lshrrev_b16_e32 v18, 3, v12
	v_subrev_u32_e32 v20, 28, v19
	v_and_b32_e32 v18, 15, v18
	v_lshlrev_b32_e32 v12, v20, v12
	v_sub_u32_e32 v19, 29, v19
	v_and_b32_e32 v12, 7, v12
	v_cmp_eq_u16_e32 vcc, 0, v18
	v_cndmask_b32_e32 v8, v8, v12, vcc
	v_cndmask_b32_e32 v12, v18, v19, vcc
	v_lshlrev_b32_e32 v18, 16, v13
	v_mov_b32_e32 v19, 0x3b800000
	v_lshlrev_b32_e32 v8, 20, v8
	v_and_b32_e32 v18, 0x80000000, v18
	v_lshl_add_u32 v12, v12, 23, v19
	v_or3_b32 v8, v18, v12, v8
.LBB23_1836:
	s_or_b64 exec, exec, s[6:7]
	v_lshrrev_b32_e32 v12, 8, v9
	s_movk_i32 s4, 0x7f
	v_cmp_gt_i16_sdwa s[6:7], v12, s4 src0_sel:BYTE_0 src1_sel:DWORD
	s_mov_b64 s[4:5], 0
                                        ; implicit-def: $sgpr10
	s_and_saveexec_b64 s[8:9], s[6:7]
	s_xor_b64 s[6:7], exec, s[8:9]
	s_cbranch_execnz .LBB23_3885
; %bb.1837:
	s_or_saveexec_b64 s[6:7], s[6:7]
	v_mov_b32_e32 v18, s10
	s_xor_b64 exec, exec, s[6:7]
	s_cbranch_execnz .LBB23_3888
.LBB23_1838:
	s_or_b64 exec, exec, s[6:7]
	s_and_saveexec_b64 s[6:7], s[4:5]
	s_cbranch_execz .LBB23_1840
.LBB23_1839:
	v_bfe_u32 v18, v9, 8, 3
	v_ffbh_u32_e32 v20, v18
	v_min_u32_e32 v20, 32, v20
	v_lshrrev_b16_e32 v19, 3, v12
	v_subrev_u32_e32 v21, 28, v20
	v_and_b32_e32 v19, 15, v19
	v_lshlrev_b32_e32 v12, v21, v12
	v_sub_u32_e32 v20, 29, v20
	v_and_b32_e32 v12, 7, v12
	v_cmp_eq_u16_e32 vcc, 0, v19
	v_cndmask_b32_e32 v12, v18, v12, vcc
	v_cndmask_b32_e32 v18, v19, v20, vcc
	v_lshlrev_b32_e32 v19, 16, v9
	v_mov_b32_e32 v20, 0x3b800000
	v_lshlrev_b32_e32 v12, 20, v12
	v_and_b32_e32 v19, 0x80000000, v19
	v_lshl_add_u32 v18, v18, 23, v20
	v_or3_b32 v18, v19, v18, v12
.LBB23_1840:
	s_or_b64 exec, exec, s[6:7]
	s_nop 0
	v_mfma_f32_16x16x4f32 a[0:3], v8, v18, a[0:3]
	s_movk_i32 s4, 0xff
	v_and_b32_sdwa v12, v13, s4 dst_sel:DWORD dst_unused:UNUSED_PAD src0_sel:WORD_1 src1_sel:DWORD
	s_movk_i32 s4, 0x7f
	v_cmp_lt_i16_e32 vcc, s4, v12
	s_mov_b64 s[4:5], 0
                                        ; implicit-def: $sgpr10
	s_and_saveexec_b64 s[6:7], vcc
	s_xor_b64 s[6:7], exec, s[6:7]
	s_cbranch_execnz .LBB23_3889
; %bb.1841:
	s_or_saveexec_b64 s[6:7], s[6:7]
	v_mov_b32_e32 v8, s10
	s_xor_b64 exec, exec, s[6:7]
	s_cbranch_execnz .LBB23_3892
.LBB23_1842:
	s_or_b64 exec, exec, s[6:7]
	s_and_saveexec_b64 s[6:7], s[4:5]
	s_cbranch_execz .LBB23_1844
.LBB23_1843:
	v_bfe_u32 v8, v13, 16, 3
	v_ffbh_u32_e32 v19, v8
	v_min_u32_e32 v19, 32, v19
	v_lshrrev_b32_e32 v12, 19, v13
	v_subrev_u32_e32 v20, 28, v19
	v_and_b32_e32 v12, 15, v12
	v_lshlrev_b32_sdwa v20, v20, v13 dst_sel:DWORD dst_unused:UNUSED_PAD src0_sel:DWORD src1_sel:WORD_1
	v_bfe_u32 v18, v13, 19, 4
	v_sub_u32_e32 v19, 29, v19
	v_and_b32_e32 v20, 7, v20
	v_cmp_eq_u16_e32 vcc, 0, v12
	v_cndmask_b32_e32 v8, v8, v20, vcc
	v_cndmask_b32_e32 v12, v18, v19, vcc
	v_lshlrev_b32_e32 v18, 8, v13
	v_mov_b32_e32 v19, 0x3b800000
	v_lshlrev_b32_e32 v8, 20, v8
	v_and_b32_e32 v18, 0x80000000, v18
	v_lshl_add_u32 v12, v12, 23, v19
	v_or3_b32 v8, v18, v12, v8
.LBB23_1844:
	s_or_b64 exec, exec, s[6:7]
	s_movk_i32 s4, 0xff
	v_and_b32_sdwa v12, v9, s4 dst_sel:DWORD dst_unused:UNUSED_PAD src0_sel:WORD_1 src1_sel:DWORD
	s_movk_i32 s4, 0x7f
	v_cmp_lt_i16_e32 vcc, s4, v12
	s_mov_b64 s[4:5], 0
                                        ; implicit-def: $sgpr10
	s_and_saveexec_b64 s[6:7], vcc
	s_xor_b64 s[6:7], exec, s[6:7]
	s_cbranch_execnz .LBB23_3893
; %bb.1845:
	s_or_saveexec_b64 s[6:7], s[6:7]
	v_mov_b32_e32 v18, s10
	s_xor_b64 exec, exec, s[6:7]
	s_cbranch_execnz .LBB23_3896
.LBB23_1846:
	s_or_b64 exec, exec, s[6:7]
	s_and_saveexec_b64 s[6:7], s[4:5]
	s_cbranch_execz .LBB23_1848
.LBB23_1847:
	v_bfe_u32 v12, v9, 16, 3
	v_ffbh_u32_e32 v20, v12
	v_min_u32_e32 v20, 32, v20
	v_lshrrev_b32_e32 v18, 19, v9
	v_subrev_u32_e32 v21, 28, v20
	v_and_b32_e32 v18, 15, v18
	v_lshlrev_b32_sdwa v21, v21, v9 dst_sel:DWORD dst_unused:UNUSED_PAD src0_sel:DWORD src1_sel:WORD_1
	v_bfe_u32 v19, v9, 19, 4
	v_sub_u32_e32 v20, 29, v20
	v_and_b32_e32 v21, 7, v21
	v_cmp_eq_u16_e32 vcc, 0, v18
	v_cndmask_b32_e32 v12, v12, v21, vcc
	v_cndmask_b32_e32 v18, v19, v20, vcc
	v_lshlrev_b32_e32 v19, 8, v9
	v_mov_b32_e32 v20, 0x3b800000
	v_lshlrev_b32_e32 v12, 20, v12
	v_and_b32_e32 v19, 0x80000000, v19
	v_lshl_add_u32 v18, v18, 23, v20
	v_or3_b32 v18, v19, v18, v12
.LBB23_1848:
	s_or_b64 exec, exec, s[6:7]
	s_nop 0
	v_mfma_f32_16x16x4f32 a[0:3], v8, v18, a[0:3]
	s_movk_i32 s4, 0x7f
	v_cmp_gt_i16_sdwa s[6:7], v13, s4 src0_sel:BYTE_3 src1_sel:DWORD
	s_mov_b64 s[4:5], 0
                                        ; implicit-def: $sgpr10
	s_and_saveexec_b64 s[8:9], s[6:7]
	s_xor_b64 s[6:7], exec, s[8:9]
	s_cbranch_execnz .LBB23_3897
; %bb.1849:
	s_or_saveexec_b64 s[6:7], s[6:7]
	v_mov_b32_e32 v8, s10
	s_xor_b64 exec, exec, s[6:7]
	s_cbranch_execnz .LBB23_3900
.LBB23_1850:
	s_or_b64 exec, exec, s[6:7]
	s_and_saveexec_b64 s[6:7], s[4:5]
	s_cbranch_execz .LBB23_1852
.LBB23_1851:
	v_bfe_u32 v8, v13, 24, 3
	v_ffbh_u32_e32 v20, v8
	v_min_u32_e32 v20, 32, v20
	v_lshrrev_b32_e32 v18, 27, v13
	v_subrev_u32_e32 v21, 28, v20
	v_and_b32_e32 v12, 0x80000000, v13
	v_and_b32_e32 v18, 15, v18
	v_bfe_u32 v19, v13, 27, 4
	v_lshlrev_b32_sdwa v13, v21, v13 dst_sel:DWORD dst_unused:UNUSED_PAD src0_sel:DWORD src1_sel:BYTE_3
	v_sub_u32_e32 v20, 29, v20
	v_and_b32_e32 v13, 7, v13
	v_cmp_eq_u16_e32 vcc, 0, v18
	v_cndmask_b32_e32 v8, v8, v13, vcc
	v_cndmask_b32_e32 v13, v19, v20, vcc
	v_mov_b32_e32 v18, 0x3b800000
	v_lshlrev_b32_e32 v8, 20, v8
	v_lshl_add_u32 v13, v13, 23, v18
	v_or3_b32 v8, v12, v13, v8
.LBB23_1852:
	s_or_b64 exec, exec, s[6:7]
	s_movk_i32 s4, 0x7f
	v_cmp_gt_i16_sdwa s[6:7], v9, s4 src0_sel:BYTE_3 src1_sel:DWORD
	s_mov_b64 s[4:5], 0
                                        ; implicit-def: $sgpr10
	s_and_saveexec_b64 s[8:9], s[6:7]
	s_xor_b64 s[6:7], exec, s[8:9]
	s_cbranch_execnz .LBB23_3901
; %bb.1853:
	s_or_saveexec_b64 s[6:7], s[6:7]
	v_mov_b32_e32 v12, s10
	s_xor_b64 exec, exec, s[6:7]
	s_cbranch_execnz .LBB23_3904
.LBB23_1854:
	s_or_b64 exec, exec, s[6:7]
	s_and_saveexec_b64 s[6:7], s[4:5]
	s_cbranch_execz .LBB23_1856
.LBB23_1855:
	v_bfe_u32 v12, v9, 24, 3
	v_ffbh_u32_e32 v20, v12
	v_min_u32_e32 v20, 32, v20
	v_lshrrev_b32_e32 v18, 27, v9
	v_subrev_u32_e32 v21, 28, v20
	v_and_b32_e32 v13, 0x80000000, v9
	v_and_b32_e32 v18, 15, v18
	v_bfe_u32 v19, v9, 27, 4
	v_lshlrev_b32_sdwa v9, v21, v9 dst_sel:DWORD dst_unused:UNUSED_PAD src0_sel:DWORD src1_sel:BYTE_3
	v_sub_u32_e32 v20, 29, v20
	v_and_b32_e32 v9, 7, v9
	v_cmp_eq_u16_e32 vcc, 0, v18
	v_cndmask_b32_e32 v9, v12, v9, vcc
	v_cndmask_b32_e32 v12, v19, v20, vcc
	v_mov_b32_e32 v18, 0x3b800000
	v_lshlrev_b32_e32 v9, 20, v9
	v_lshl_add_u32 v12, v12, 23, v18
	v_or3_b32 v12, v13, v12, v9
.LBB23_1856:
	s_or_b64 exec, exec, s[6:7]
	s_nop 0
	v_mfma_f32_16x16x4f32 a[0:3], v8, v12, a[0:3]
	s_movk_i32 s4, 0x7f
	v_cmp_gt_i16_sdwa s[6:7], v14, s4 src0_sel:BYTE_0 src1_sel:DWORD
	s_mov_b64 s[4:5], 0
                                        ; implicit-def: $sgpr10
	s_and_saveexec_b64 s[8:9], s[6:7]
	s_xor_b64 s[6:7], exec, s[8:9]
	s_cbranch_execnz .LBB23_3905
; %bb.1857:
	s_or_saveexec_b64 s[6:7], s[6:7]
	v_mov_b32_e32 v8, s10
	s_xor_b64 exec, exec, s[6:7]
	s_cbranch_execnz .LBB23_3908
.LBB23_1858:
	s_or_b64 exec, exec, s[6:7]
	s_and_saveexec_b64 s[6:7], s[4:5]
	s_cbranch_execz .LBB23_1860
.LBB23_1859:
	v_and_b32_e32 v8, 7, v14
	v_ffbh_u32_e32 v12, v8
	v_min_u32_e32 v12, 32, v12
	v_lshrrev_b16_e32 v9, 3, v14
	v_subrev_u32_e32 v13, 28, v12
	v_and_b32_e32 v9, 15, v9
	v_lshlrev_b32_e32 v13, v13, v14
	v_sub_u32_e32 v12, 29, v12
	v_and_b32_e32 v13, 7, v13
	v_cmp_eq_u16_e32 vcc, 0, v9
	v_cndmask_b32_e32 v8, v8, v13, vcc
	v_cndmask_b32_e32 v9, v9, v12, vcc
	v_lshlrev_b32_e32 v12, 24, v14
	v_mov_b32_e32 v13, 0x3b800000
	v_lshlrev_b32_e32 v8, 20, v8
	v_and_b32_e32 v12, 0x80000000, v12
	v_lshl_add_u32 v9, v9, 23, v13
	v_or3_b32 v8, v12, v9, v8
.LBB23_1860:
	s_or_b64 exec, exec, s[6:7]
	s_movk_i32 s4, 0x7f
	v_cmp_gt_i16_sdwa s[6:7], v10, s4 src0_sel:BYTE_0 src1_sel:DWORD
	s_mov_b64 s[4:5], 0
                                        ; implicit-def: $sgpr10
	s_and_saveexec_b64 s[8:9], s[6:7]
	s_xor_b64 s[6:7], exec, s[8:9]
	s_cbranch_execnz .LBB23_3909
; %bb.1861:
	s_or_saveexec_b64 s[6:7], s[6:7]
	v_mov_b32_e32 v9, s10
	s_xor_b64 exec, exec, s[6:7]
	s_cbranch_execnz .LBB23_3912
.LBB23_1862:
	s_or_b64 exec, exec, s[6:7]
	s_and_saveexec_b64 s[6:7], s[4:5]
	s_cbranch_execz .LBB23_1864
.LBB23_1863:
	v_and_b32_e32 v9, 7, v10
	v_ffbh_u32_e32 v13, v9
	v_min_u32_e32 v13, 32, v13
	v_lshrrev_b16_e32 v12, 3, v10
	v_subrev_u32_e32 v18, 28, v13
	v_and_b32_e32 v12, 15, v12
	v_lshlrev_b32_e32 v18, v18, v10
	v_sub_u32_e32 v13, 29, v13
	v_and_b32_e32 v18, 7, v18
	v_cmp_eq_u16_e32 vcc, 0, v12
	v_cndmask_b32_e32 v9, v9, v18, vcc
	v_cndmask_b32_e32 v12, v12, v13, vcc
	v_lshlrev_b32_e32 v13, 24, v10
	v_mov_b32_e32 v18, 0x3b800000
	v_lshlrev_b32_e32 v9, 20, v9
	v_and_b32_e32 v13, 0x80000000, v13
	v_lshl_add_u32 v12, v12, 23, v18
	v_or3_b32 v9, v13, v12, v9
.LBB23_1864:
	s_or_b64 exec, exec, s[6:7]
	s_nop 0
	v_mfma_f32_16x16x4f32 a[0:3], v8, v9, a[0:3]
	v_lshrrev_b32_e32 v9, 8, v14
	s_movk_i32 s4, 0x7f
	v_cmp_gt_i16_sdwa s[6:7], v9, s4 src0_sel:BYTE_0 src1_sel:DWORD
	s_mov_b64 s[4:5], 0
                                        ; implicit-def: $sgpr10
	s_and_saveexec_b64 s[8:9], s[6:7]
	s_xor_b64 s[6:7], exec, s[8:9]
	s_cbranch_execnz .LBB23_3913
; %bb.1865:
	s_or_saveexec_b64 s[6:7], s[6:7]
	v_mov_b32_e32 v8, s10
	s_xor_b64 exec, exec, s[6:7]
	s_cbranch_execnz .LBB23_3916
.LBB23_1866:
	s_or_b64 exec, exec, s[6:7]
	s_and_saveexec_b64 s[6:7], s[4:5]
	s_cbranch_execz .LBB23_1868
.LBB23_1867:
	v_bfe_u32 v8, v14, 8, 3
	v_ffbh_u32_e32 v13, v8
	v_min_u32_e32 v13, 32, v13
	v_lshrrev_b16_e32 v12, 3, v9
	v_subrev_u32_e32 v18, 28, v13
	v_and_b32_e32 v12, 15, v12
	v_lshlrev_b32_e32 v9, v18, v9
	v_sub_u32_e32 v13, 29, v13
	v_and_b32_e32 v9, 7, v9
	v_cmp_eq_u16_e32 vcc, 0, v12
	v_cndmask_b32_e32 v8, v8, v9, vcc
	v_cndmask_b32_e32 v9, v12, v13, vcc
	v_lshlrev_b32_e32 v12, 16, v14
	v_mov_b32_e32 v13, 0x3b800000
	v_lshlrev_b32_e32 v8, 20, v8
	v_and_b32_e32 v12, 0x80000000, v12
	v_lshl_add_u32 v9, v9, 23, v13
	v_or3_b32 v8, v12, v9, v8
.LBB23_1868:
	s_or_b64 exec, exec, s[6:7]
	v_lshrrev_b32_e32 v9, 8, v10
	s_movk_i32 s4, 0x7f
	v_cmp_gt_i16_sdwa s[6:7], v9, s4 src0_sel:BYTE_0 src1_sel:DWORD
	s_mov_b64 s[4:5], 0
                                        ; implicit-def: $sgpr10
	s_and_saveexec_b64 s[8:9], s[6:7]
	s_xor_b64 s[6:7], exec, s[8:9]
	s_cbranch_execnz .LBB23_3917
; %bb.1869:
	s_or_saveexec_b64 s[6:7], s[6:7]
	v_mov_b32_e32 v12, s10
	s_xor_b64 exec, exec, s[6:7]
	s_cbranch_execnz .LBB23_3920
.LBB23_1870:
	s_or_b64 exec, exec, s[6:7]
	s_and_saveexec_b64 s[6:7], s[4:5]
	s_cbranch_execz .LBB23_1872
.LBB23_1871:
	v_bfe_u32 v12, v10, 8, 3
	v_ffbh_u32_e32 v18, v12
	v_min_u32_e32 v18, 32, v18
	v_lshrrev_b16_e32 v13, 3, v9
	v_subrev_u32_e32 v19, 28, v18
	v_and_b32_e32 v13, 15, v13
	v_lshlrev_b32_e32 v9, v19, v9
	v_sub_u32_e32 v18, 29, v18
	v_and_b32_e32 v9, 7, v9
	v_cmp_eq_u16_e32 vcc, 0, v13
	v_cndmask_b32_e32 v9, v12, v9, vcc
	v_cndmask_b32_e32 v12, v13, v18, vcc
	v_lshlrev_b32_e32 v13, 16, v10
	v_mov_b32_e32 v18, 0x3b800000
	v_lshlrev_b32_e32 v9, 20, v9
	v_and_b32_e32 v13, 0x80000000, v13
	v_lshl_add_u32 v12, v12, 23, v18
	v_or3_b32 v12, v13, v12, v9
.LBB23_1872:
	s_or_b64 exec, exec, s[6:7]
	s_nop 0
	v_mfma_f32_16x16x4f32 a[0:3], v8, v12, a[0:3]
	s_movk_i32 s4, 0xff
	v_and_b32_sdwa v9, v14, s4 dst_sel:DWORD dst_unused:UNUSED_PAD src0_sel:WORD_1 src1_sel:DWORD
	s_movk_i32 s4, 0x7f
	v_cmp_lt_i16_e32 vcc, s4, v9
	s_mov_b64 s[4:5], 0
                                        ; implicit-def: $sgpr10
	s_and_saveexec_b64 s[6:7], vcc
	s_xor_b64 s[6:7], exec, s[6:7]
	s_cbranch_execnz .LBB23_3921
; %bb.1873:
	s_or_saveexec_b64 s[6:7], s[6:7]
	v_mov_b32_e32 v8, s10
	s_xor_b64 exec, exec, s[6:7]
	s_cbranch_execnz .LBB23_3924
.LBB23_1874:
	s_or_b64 exec, exec, s[6:7]
	s_and_saveexec_b64 s[6:7], s[4:5]
	s_cbranch_execz .LBB23_1876
.LBB23_1875:
	v_bfe_u32 v8, v14, 16, 3
	v_ffbh_u32_e32 v13, v8
	v_min_u32_e32 v13, 32, v13
	v_lshrrev_b32_e32 v9, 19, v14
	v_subrev_u32_e32 v18, 28, v13
	v_and_b32_e32 v9, 15, v9
	v_lshlrev_b32_sdwa v18, v18, v14 dst_sel:DWORD dst_unused:UNUSED_PAD src0_sel:DWORD src1_sel:WORD_1
	v_bfe_u32 v12, v14, 19, 4
	v_sub_u32_e32 v13, 29, v13
	v_and_b32_e32 v18, 7, v18
	v_cmp_eq_u16_e32 vcc, 0, v9
	v_cndmask_b32_e32 v8, v8, v18, vcc
	v_cndmask_b32_e32 v9, v12, v13, vcc
	v_lshlrev_b32_e32 v12, 8, v14
	v_mov_b32_e32 v13, 0x3b800000
	v_lshlrev_b32_e32 v8, 20, v8
	v_and_b32_e32 v12, 0x80000000, v12
	v_lshl_add_u32 v9, v9, 23, v13
	v_or3_b32 v8, v12, v9, v8
.LBB23_1876:
	s_or_b64 exec, exec, s[6:7]
	s_movk_i32 s4, 0xff
	v_and_b32_sdwa v9, v10, s4 dst_sel:DWORD dst_unused:UNUSED_PAD src0_sel:WORD_1 src1_sel:DWORD
	s_movk_i32 s4, 0x7f
	v_cmp_lt_i16_e32 vcc, s4, v9
	s_mov_b64 s[4:5], 0
                                        ; implicit-def: $sgpr10
	s_and_saveexec_b64 s[6:7], vcc
	s_xor_b64 s[6:7], exec, s[6:7]
	s_cbranch_execnz .LBB23_3925
; %bb.1877:
	s_or_saveexec_b64 s[6:7], s[6:7]
	v_mov_b32_e32 v12, s10
	s_xor_b64 exec, exec, s[6:7]
	s_cbranch_execnz .LBB23_3928
.LBB23_1878:
	s_or_b64 exec, exec, s[6:7]
	s_and_saveexec_b64 s[6:7], s[4:5]
	s_cbranch_execz .LBB23_1880
.LBB23_1879:
	v_bfe_u32 v9, v10, 16, 3
	v_ffbh_u32_e32 v18, v9
	v_min_u32_e32 v18, 32, v18
	v_lshrrev_b32_e32 v12, 19, v10
	v_subrev_u32_e32 v19, 28, v18
	v_and_b32_e32 v12, 15, v12
	v_lshlrev_b32_sdwa v19, v19, v10 dst_sel:DWORD dst_unused:UNUSED_PAD src0_sel:DWORD src1_sel:WORD_1
	v_bfe_u32 v13, v10, 19, 4
	v_sub_u32_e32 v18, 29, v18
	v_and_b32_e32 v19, 7, v19
	v_cmp_eq_u16_e32 vcc, 0, v12
	v_cndmask_b32_e32 v9, v9, v19, vcc
	v_cndmask_b32_e32 v12, v13, v18, vcc
	v_lshlrev_b32_e32 v13, 8, v10
	v_mov_b32_e32 v18, 0x3b800000
	v_lshlrev_b32_e32 v9, 20, v9
	v_and_b32_e32 v13, 0x80000000, v13
	v_lshl_add_u32 v12, v12, 23, v18
	v_or3_b32 v12, v13, v12, v9
.LBB23_1880:
	s_or_b64 exec, exec, s[6:7]
	s_nop 0
	v_mfma_f32_16x16x4f32 a[0:3], v8, v12, a[0:3]
	s_movk_i32 s4, 0x7f
	v_cmp_gt_i16_sdwa s[6:7], v14, s4 src0_sel:BYTE_3 src1_sel:DWORD
	s_mov_b64 s[4:5], 0
                                        ; implicit-def: $sgpr10
	s_and_saveexec_b64 s[8:9], s[6:7]
	s_xor_b64 s[6:7], exec, s[8:9]
	s_cbranch_execnz .LBB23_3929
; %bb.1881:
	s_or_saveexec_b64 s[6:7], s[6:7]
	v_mov_b32_e32 v8, s10
	s_xor_b64 exec, exec, s[6:7]
	s_cbranch_execnz .LBB23_3932
.LBB23_1882:
	s_or_b64 exec, exec, s[6:7]
	s_and_saveexec_b64 s[6:7], s[4:5]
	s_cbranch_execz .LBB23_1884
.LBB23_1883:
	v_bfe_u32 v8, v14, 24, 3
	v_ffbh_u32_e32 v18, v8
	v_min_u32_e32 v18, 32, v18
	v_lshrrev_b32_e32 v12, 27, v14
	v_subrev_u32_e32 v19, 28, v18
	v_and_b32_e32 v9, 0x80000000, v14
	v_and_b32_e32 v12, 15, v12
	v_bfe_u32 v13, v14, 27, 4
	v_lshlrev_b32_sdwa v14, v19, v14 dst_sel:DWORD dst_unused:UNUSED_PAD src0_sel:DWORD src1_sel:BYTE_3
	v_sub_u32_e32 v18, 29, v18
	v_and_b32_e32 v14, 7, v14
	v_cmp_eq_u16_e32 vcc, 0, v12
	v_cndmask_b32_e32 v8, v8, v14, vcc
	v_cndmask_b32_e32 v12, v13, v18, vcc
	v_mov_b32_e32 v13, 0x3b800000
	v_lshlrev_b32_e32 v8, 20, v8
	v_lshl_add_u32 v12, v12, 23, v13
	v_or3_b32 v8, v9, v12, v8
.LBB23_1884:
	s_or_b64 exec, exec, s[6:7]
	s_movk_i32 s4, 0x7f
	v_cmp_gt_i16_sdwa s[6:7], v10, s4 src0_sel:BYTE_3 src1_sel:DWORD
	s_mov_b64 s[4:5], 0
                                        ; implicit-def: $sgpr10
	s_and_saveexec_b64 s[8:9], s[6:7]
	s_xor_b64 s[6:7], exec, s[8:9]
	s_cbranch_execnz .LBB23_3933
; %bb.1885:
	s_or_saveexec_b64 s[6:7], s[6:7]
	v_mov_b32_e32 v9, s10
	s_xor_b64 exec, exec, s[6:7]
	s_cbranch_execnz .LBB23_3936
.LBB23_1886:
	s_or_b64 exec, exec, s[6:7]
	s_and_saveexec_b64 s[6:7], s[4:5]
	s_cbranch_execz .LBB23_1888
.LBB23_1887:
	v_bfe_u32 v9, v10, 24, 3
	v_ffbh_u32_e32 v18, v9
	v_min_u32_e32 v18, 32, v18
	v_lshrrev_b32_e32 v13, 27, v10
	v_subrev_u32_e32 v19, 28, v18
	v_and_b32_e32 v12, 0x80000000, v10
	v_and_b32_e32 v13, 15, v13
	v_bfe_u32 v14, v10, 27, 4
	v_lshlrev_b32_sdwa v10, v19, v10 dst_sel:DWORD dst_unused:UNUSED_PAD src0_sel:DWORD src1_sel:BYTE_3
	v_sub_u32_e32 v18, 29, v18
	v_and_b32_e32 v10, 7, v10
	v_cmp_eq_u16_e32 vcc, 0, v13
	v_cndmask_b32_e32 v9, v9, v10, vcc
	v_cndmask_b32_e32 v10, v14, v18, vcc
	v_mov_b32_e32 v13, 0x3b800000
	v_lshlrev_b32_e32 v9, 20, v9
	v_lshl_add_u32 v10, v10, 23, v13
	v_or3_b32 v9, v12, v10, v9
.LBB23_1888:
	s_or_b64 exec, exec, s[6:7]
	s_nop 0
	v_mfma_f32_16x16x4f32 a[0:3], v8, v9, a[0:3]
	s_movk_i32 s4, 0x7f
	v_cmp_gt_i16_sdwa s[6:7], v15, s4 src0_sel:BYTE_0 src1_sel:DWORD
	s_mov_b64 s[4:5], 0
                                        ; implicit-def: $sgpr10
	s_and_saveexec_b64 s[8:9], s[6:7]
	s_xor_b64 s[6:7], exec, s[8:9]
	s_cbranch_execnz .LBB23_3937
; %bb.1889:
	s_or_saveexec_b64 s[6:7], s[6:7]
	v_mov_b32_e32 v8, s10
	s_xor_b64 exec, exec, s[6:7]
	s_cbranch_execnz .LBB23_3940
.LBB23_1890:
	s_or_b64 exec, exec, s[6:7]
	s_and_saveexec_b64 s[6:7], s[4:5]
	s_cbranch_execz .LBB23_1892
.LBB23_1891:
	v_and_b32_e32 v8, 7, v15
	v_ffbh_u32_e32 v10, v8
	v_min_u32_e32 v10, 32, v10
	v_lshrrev_b16_e32 v9, 3, v15
	v_subrev_u32_e32 v12, 28, v10
	v_and_b32_e32 v9, 15, v9
	v_lshlrev_b32_e32 v12, v12, v15
	v_sub_u32_e32 v10, 29, v10
	v_and_b32_e32 v12, 7, v12
	v_cmp_eq_u16_e32 vcc, 0, v9
	v_cndmask_b32_e32 v8, v8, v12, vcc
	v_cndmask_b32_e32 v9, v9, v10, vcc
	v_lshlrev_b32_e32 v10, 24, v15
	v_mov_b32_e32 v12, 0x3b800000
	v_lshlrev_b32_e32 v8, 20, v8
	v_and_b32_e32 v10, 0x80000000, v10
	v_lshl_add_u32 v9, v9, 23, v12
	v_or3_b32 v8, v10, v9, v8
.LBB23_1892:
	s_or_b64 exec, exec, s[6:7]
	s_movk_i32 s4, 0x7f
	v_cmp_gt_i16_sdwa s[6:7], v11, s4 src0_sel:BYTE_0 src1_sel:DWORD
	s_mov_b64 s[4:5], 0
                                        ; implicit-def: $sgpr10
	s_and_saveexec_b64 s[8:9], s[6:7]
	s_xor_b64 s[6:7], exec, s[8:9]
	s_cbranch_execnz .LBB23_3941
; %bb.1893:
	s_or_saveexec_b64 s[6:7], s[6:7]
	v_mov_b32_e32 v9, s10
	s_xor_b64 exec, exec, s[6:7]
	s_cbranch_execnz .LBB23_3944
.LBB23_1894:
	s_or_b64 exec, exec, s[6:7]
	s_and_saveexec_b64 s[6:7], s[4:5]
	s_cbranch_execz .LBB23_1896
.LBB23_1895:
	v_and_b32_e32 v9, 7, v11
	v_ffbh_u32_e32 v12, v9
	v_min_u32_e32 v12, 32, v12
	v_lshrrev_b16_e32 v10, 3, v11
	v_subrev_u32_e32 v13, 28, v12
	v_and_b32_e32 v10, 15, v10
	v_lshlrev_b32_e32 v13, v13, v11
	v_sub_u32_e32 v12, 29, v12
	v_and_b32_e32 v13, 7, v13
	v_cmp_eq_u16_e32 vcc, 0, v10
	v_cndmask_b32_e32 v9, v9, v13, vcc
	v_cndmask_b32_e32 v10, v10, v12, vcc
	v_lshlrev_b32_e32 v12, 24, v11
	v_mov_b32_e32 v13, 0x3b800000
	v_lshlrev_b32_e32 v9, 20, v9
	v_and_b32_e32 v12, 0x80000000, v12
	v_lshl_add_u32 v10, v10, 23, v13
	v_or3_b32 v9, v12, v10, v9
.LBB23_1896:
	s_or_b64 exec, exec, s[6:7]
	s_nop 0
	v_mfma_f32_16x16x4f32 a[0:3], v8, v9, a[0:3]
	v_lshrrev_b32_e32 v9, 8, v15
	s_movk_i32 s4, 0x7f
	v_cmp_gt_i16_sdwa s[6:7], v9, s4 src0_sel:BYTE_0 src1_sel:DWORD
	s_mov_b64 s[4:5], 0
                                        ; implicit-def: $sgpr10
	s_and_saveexec_b64 s[8:9], s[6:7]
	s_xor_b64 s[6:7], exec, s[8:9]
	s_cbranch_execnz .LBB23_3945
; %bb.1897:
	s_or_saveexec_b64 s[6:7], s[6:7]
	v_mov_b32_e32 v8, s10
	s_xor_b64 exec, exec, s[6:7]
	s_cbranch_execnz .LBB23_3948
.LBB23_1898:
	s_or_b64 exec, exec, s[6:7]
	s_and_saveexec_b64 s[6:7], s[4:5]
	s_cbranch_execz .LBB23_1900
.LBB23_1899:
	v_bfe_u32 v8, v15, 8, 3
	v_ffbh_u32_e32 v12, v8
	v_min_u32_e32 v12, 32, v12
	v_lshrrev_b16_e32 v10, 3, v9
	v_subrev_u32_e32 v13, 28, v12
	v_and_b32_e32 v10, 15, v10
	v_lshlrev_b32_e32 v9, v13, v9
	v_sub_u32_e32 v12, 29, v12
	v_and_b32_e32 v9, 7, v9
	v_cmp_eq_u16_e32 vcc, 0, v10
	v_cndmask_b32_e32 v8, v8, v9, vcc
	v_cndmask_b32_e32 v9, v10, v12, vcc
	v_lshlrev_b32_e32 v10, 16, v15
	v_mov_b32_e32 v12, 0x3b800000
	v_lshlrev_b32_e32 v8, 20, v8
	v_and_b32_e32 v10, 0x80000000, v10
	v_lshl_add_u32 v9, v9, 23, v12
	v_or3_b32 v8, v10, v9, v8
.LBB23_1900:
	s_or_b64 exec, exec, s[6:7]
	v_lshrrev_b32_e32 v9, 8, v11
	s_movk_i32 s4, 0x7f
	v_cmp_gt_i16_sdwa s[6:7], v9, s4 src0_sel:BYTE_0 src1_sel:DWORD
	s_mov_b64 s[4:5], 0
                                        ; implicit-def: $sgpr10
	s_and_saveexec_b64 s[8:9], s[6:7]
	s_xor_b64 s[6:7], exec, s[8:9]
	s_cbranch_execnz .LBB23_3949
; %bb.1901:
	s_or_saveexec_b64 s[6:7], s[6:7]
	v_mov_b32_e32 v10, s10
	s_xor_b64 exec, exec, s[6:7]
	s_cbranch_execnz .LBB23_3952
.LBB23_1902:
	s_or_b64 exec, exec, s[6:7]
	s_and_saveexec_b64 s[6:7], s[4:5]
	s_cbranch_execz .LBB23_1904
.LBB23_1903:
	v_bfe_u32 v10, v11, 8, 3
	v_ffbh_u32_e32 v13, v10
	v_min_u32_e32 v13, 32, v13
	v_lshrrev_b16_e32 v12, 3, v9
	v_subrev_u32_e32 v14, 28, v13
	v_and_b32_e32 v12, 15, v12
	v_lshlrev_b32_e32 v9, v14, v9
	v_sub_u32_e32 v13, 29, v13
	v_and_b32_e32 v9, 7, v9
	v_cmp_eq_u16_e32 vcc, 0, v12
	v_cndmask_b32_e32 v9, v10, v9, vcc
	v_cndmask_b32_e32 v10, v12, v13, vcc
	v_lshlrev_b32_e32 v12, 16, v11
	v_mov_b32_e32 v13, 0x3b800000
	v_lshlrev_b32_e32 v9, 20, v9
	v_and_b32_e32 v12, 0x80000000, v12
	v_lshl_add_u32 v10, v10, 23, v13
	v_or3_b32 v10, v12, v10, v9
.LBB23_1904:
	s_or_b64 exec, exec, s[6:7]
	s_nop 0
	v_mfma_f32_16x16x4f32 a[0:3], v8, v10, a[0:3]
	s_movk_i32 s4, 0xff
	v_and_b32_sdwa v9, v15, s4 dst_sel:DWORD dst_unused:UNUSED_PAD src0_sel:WORD_1 src1_sel:DWORD
	s_movk_i32 s4, 0x7f
	v_cmp_lt_i16_e32 vcc, s4, v9
	s_mov_b64 s[4:5], 0
                                        ; implicit-def: $sgpr10
	s_and_saveexec_b64 s[6:7], vcc
	s_xor_b64 s[6:7], exec, s[6:7]
	s_cbranch_execnz .LBB23_3953
; %bb.1905:
	s_or_saveexec_b64 s[6:7], s[6:7]
	v_mov_b32_e32 v8, s10
	s_xor_b64 exec, exec, s[6:7]
	s_cbranch_execnz .LBB23_3956
.LBB23_1906:
	s_or_b64 exec, exec, s[6:7]
	s_and_saveexec_b64 s[6:7], s[4:5]
	s_cbranch_execz .LBB23_1908
.LBB23_1907:
	v_bfe_u32 v8, v15, 16, 3
	v_ffbh_u32_e32 v12, v8
	v_min_u32_e32 v12, 32, v12
	v_lshrrev_b32_e32 v9, 19, v15
	v_subrev_u32_e32 v13, 28, v12
	v_and_b32_e32 v9, 15, v9
	v_lshlrev_b32_sdwa v13, v13, v15 dst_sel:DWORD dst_unused:UNUSED_PAD src0_sel:DWORD src1_sel:WORD_1
	v_bfe_u32 v10, v15, 19, 4
	v_sub_u32_e32 v12, 29, v12
	v_and_b32_e32 v13, 7, v13
	v_cmp_eq_u16_e32 vcc, 0, v9
	v_cndmask_b32_e32 v8, v8, v13, vcc
	v_cndmask_b32_e32 v9, v10, v12, vcc
	v_lshlrev_b32_e32 v10, 8, v15
	v_mov_b32_e32 v12, 0x3b800000
	v_lshlrev_b32_e32 v8, 20, v8
	v_and_b32_e32 v10, 0x80000000, v10
	v_lshl_add_u32 v9, v9, 23, v12
	v_or3_b32 v8, v10, v9, v8
.LBB23_1908:
	s_or_b64 exec, exec, s[6:7]
	s_movk_i32 s4, 0xff
	v_and_b32_sdwa v9, v11, s4 dst_sel:DWORD dst_unused:UNUSED_PAD src0_sel:WORD_1 src1_sel:DWORD
	s_movk_i32 s4, 0x7f
	v_cmp_lt_i16_e32 vcc, s4, v9
	s_mov_b64 s[4:5], 0
                                        ; implicit-def: $sgpr10
	s_and_saveexec_b64 s[6:7], vcc
	s_xor_b64 s[6:7], exec, s[6:7]
	s_cbranch_execnz .LBB23_3957
; %bb.1909:
	s_or_saveexec_b64 s[6:7], s[6:7]
	v_mov_b32_e32 v10, s10
	s_xor_b64 exec, exec, s[6:7]
	s_cbranch_execnz .LBB23_3960
.LBB23_1910:
	s_or_b64 exec, exec, s[6:7]
	s_and_saveexec_b64 s[6:7], s[4:5]
	s_cbranch_execz .LBB23_1912
.LBB23_1911:
	v_bfe_u32 v9, v11, 16, 3
	v_ffbh_u32_e32 v13, v9
	v_min_u32_e32 v13, 32, v13
	v_lshrrev_b32_e32 v10, 19, v11
	v_subrev_u32_e32 v14, 28, v13
	v_and_b32_e32 v10, 15, v10
	v_lshlrev_b32_sdwa v14, v14, v11 dst_sel:DWORD dst_unused:UNUSED_PAD src0_sel:DWORD src1_sel:WORD_1
	v_bfe_u32 v12, v11, 19, 4
	v_sub_u32_e32 v13, 29, v13
	v_and_b32_e32 v14, 7, v14
	v_cmp_eq_u16_e32 vcc, 0, v10
	v_cndmask_b32_e32 v9, v9, v14, vcc
	v_cndmask_b32_e32 v10, v12, v13, vcc
	v_lshlrev_b32_e32 v12, 8, v11
	v_mov_b32_e32 v13, 0x3b800000
	v_lshlrev_b32_e32 v9, 20, v9
	v_and_b32_e32 v12, 0x80000000, v12
	v_lshl_add_u32 v10, v10, 23, v13
	v_or3_b32 v10, v12, v10, v9
.LBB23_1912:
	s_or_b64 exec, exec, s[6:7]
	s_nop 0
	v_mfma_f32_16x16x4f32 a[0:3], v8, v10, a[0:3]
	s_movk_i32 s4, 0x7f
	v_cmp_gt_i16_sdwa s[6:7], v15, s4 src0_sel:BYTE_3 src1_sel:DWORD
	s_mov_b64 s[4:5], 0
                                        ; implicit-def: $sgpr10
	s_and_saveexec_b64 s[8:9], s[6:7]
	s_xor_b64 s[6:7], exec, s[8:9]
	s_cbranch_execnz .LBB23_3961
; %bb.1913:
	s_or_saveexec_b64 s[6:7], s[6:7]
	v_mov_b32_e32 v8, s10
	s_xor_b64 exec, exec, s[6:7]
	s_cbranch_execnz .LBB23_3964
.LBB23_1914:
	s_or_b64 exec, exec, s[6:7]
	s_and_saveexec_b64 s[6:7], s[4:5]
	s_cbranch_execz .LBB23_1916
.LBB23_1915:
	v_bfe_u32 v8, v15, 24, 3
	v_ffbh_u32_e32 v13, v8
	v_min_u32_e32 v13, 32, v13
	v_lshrrev_b32_e32 v10, 27, v15
	v_subrev_u32_e32 v14, 28, v13
	v_and_b32_e32 v10, 15, v10
	v_lshlrev_b32_sdwa v14, v14, v15 dst_sel:DWORD dst_unused:UNUSED_PAD src0_sel:DWORD src1_sel:BYTE_3
	v_bfe_u32 v12, v15, 27, 4
	v_sub_u32_e32 v13, 29, v13
	v_and_b32_e32 v14, 7, v14
	v_cmp_eq_u16_e32 vcc, 0, v10
	v_cndmask_b32_e32 v8, v8, v14, vcc
	v_cndmask_b32_e32 v10, v12, v13, vcc
	v_mov_b32_e32 v12, 0x3b800000
	v_and_b32_e32 v9, 0x80000000, v15
	v_lshlrev_b32_e32 v8, 20, v8
	v_lshl_add_u32 v10, v10, 23, v12
	v_or3_b32 v8, v9, v10, v8
.LBB23_1916:
	s_or_b64 exec, exec, s[6:7]
	s_movk_i32 s4, 0x7f
	v_cmp_gt_i16_sdwa s[6:7], v11, s4 src0_sel:BYTE_3 src1_sel:DWORD
	s_mov_b64 s[4:5], 0
                                        ; implicit-def: $sgpr10
	s_and_saveexec_b64 s[8:9], s[6:7]
	s_xor_b64 s[6:7], exec, s[8:9]
	s_cbranch_execnz .LBB23_3965
; %bb.1917:
	s_or_saveexec_b64 s[6:7], s[6:7]
	v_mov_b32_e32 v9, s10
	s_xor_b64 exec, exec, s[6:7]
	s_cbranch_execnz .LBB23_3968
.LBB23_1918:
	s_or_b64 exec, exec, s[6:7]
	s_and_saveexec_b64 s[6:7], s[4:5]
	s_cbranch_execz .LBB23_1920
.LBB23_1919:
	v_bfe_u32 v9, v11, 24, 3
	v_ffbh_u32_e32 v14, v9
	v_min_u32_e32 v14, 32, v14
	v_lshrrev_b32_e32 v12, 27, v11
	v_subrev_u32_e32 v15, 28, v14
	v_and_b32_e32 v10, 0x80000000, v11
	v_and_b32_e32 v12, 15, v12
	v_bfe_u32 v13, v11, 27, 4
	v_lshlrev_b32_sdwa v11, v15, v11 dst_sel:DWORD dst_unused:UNUSED_PAD src0_sel:DWORD src1_sel:BYTE_3
	v_sub_u32_e32 v14, 29, v14
	v_and_b32_e32 v11, 7, v11
	v_cmp_eq_u16_e32 vcc, 0, v12
	v_cndmask_b32_e32 v9, v9, v11, vcc
	v_cndmask_b32_e32 v11, v13, v14, vcc
	v_mov_b32_e32 v12, 0x3b800000
	v_lshlrev_b32_e32 v9, 20, v9
	v_lshl_add_u32 v11, v11, 23, v12
	v_or3_b32 v9, v10, v11, v9
.LBB23_1920:
	s_or_b64 exec, exec, s[6:7]
	s_nop 0
	v_mfma_f32_16x16x4f32 a[0:3], v8, v9, a[0:3]
	s_movk_i32 s4, 0x7f
	v_cmp_gt_i16_sdwa s[6:7], v4, s4 src0_sel:BYTE_0 src1_sel:DWORD
	s_mov_b64 s[4:5], 0
                                        ; implicit-def: $sgpr10
	s_and_saveexec_b64 s[8:9], s[6:7]
	s_xor_b64 s[6:7], exec, s[8:9]
	s_cbranch_execnz .LBB23_3969
; %bb.1921:
	s_or_saveexec_b64 s[6:7], s[6:7]
	v_mov_b32_e32 v8, s10
	s_xor_b64 exec, exec, s[6:7]
	s_cbranch_execnz .LBB23_3972
.LBB23_1922:
	s_or_b64 exec, exec, s[6:7]
	s_and_saveexec_b64 s[6:7], s[4:5]
	s_cbranch_execz .LBB23_1924
.LBB23_1923:
	v_and_b32_e32 v8, 7, v4
	v_ffbh_u32_e32 v10, v8
	v_min_u32_e32 v10, 32, v10
	v_lshrrev_b16_e32 v9, 3, v4
	v_subrev_u32_e32 v11, 28, v10
	v_and_b32_e32 v9, 15, v9
	v_lshlrev_b32_e32 v11, v11, v4
	v_sub_u32_e32 v10, 29, v10
	v_and_b32_e32 v11, 7, v11
	v_cmp_eq_u16_e32 vcc, 0, v9
	v_cndmask_b32_e32 v8, v8, v11, vcc
	v_cndmask_b32_e32 v9, v9, v10, vcc
	v_lshlrev_b32_e32 v10, 24, v4
	v_mov_b32_e32 v11, 0x3b800000
	v_lshlrev_b32_e32 v8, 20, v8
	v_and_b32_e32 v10, 0x80000000, v10
	v_lshl_add_u32 v9, v9, 23, v11
	v_or3_b32 v8, v10, v9, v8
.LBB23_1924:
	s_or_b64 exec, exec, s[6:7]
	s_movk_i32 s4, 0x7f
	v_cmp_gt_i16_sdwa s[6:7], v0, s4 src0_sel:BYTE_0 src1_sel:DWORD
	s_mov_b64 s[4:5], 0
                                        ; implicit-def: $sgpr10
	s_and_saveexec_b64 s[8:9], s[6:7]
	s_xor_b64 s[6:7], exec, s[8:9]
	s_cbranch_execnz .LBB23_3973
; %bb.1925:
	s_or_saveexec_b64 s[6:7], s[6:7]
	v_mov_b32_e32 v9, s10
	s_xor_b64 exec, exec, s[6:7]
	s_cbranch_execnz .LBB23_3976
.LBB23_1926:
	s_or_b64 exec, exec, s[6:7]
	s_and_saveexec_b64 s[6:7], s[4:5]
	s_cbranch_execz .LBB23_1928
.LBB23_1927:
	v_and_b32_e32 v9, 7, v0
	v_ffbh_u32_e32 v11, v9
	v_min_u32_e32 v11, 32, v11
	v_lshrrev_b16_e32 v10, 3, v0
	v_subrev_u32_e32 v12, 28, v11
	v_and_b32_e32 v10, 15, v10
	v_lshlrev_b32_e32 v12, v12, v0
	v_sub_u32_e32 v11, 29, v11
	v_and_b32_e32 v12, 7, v12
	v_cmp_eq_u16_e32 vcc, 0, v10
	v_cndmask_b32_e32 v9, v9, v12, vcc
	v_cndmask_b32_e32 v10, v10, v11, vcc
	v_lshlrev_b32_e32 v11, 24, v0
	v_mov_b32_e32 v12, 0x3b800000
	v_lshlrev_b32_e32 v9, 20, v9
	v_and_b32_e32 v11, 0x80000000, v11
	v_lshl_add_u32 v10, v10, 23, v12
	v_or3_b32 v9, v11, v10, v9
.LBB23_1928:
	s_or_b64 exec, exec, s[6:7]
	s_nop 0
	v_mfma_f32_16x16x4f32 a[0:3], v8, v9, a[0:3]
	v_lshrrev_b32_e32 v9, 8, v4
	s_movk_i32 s4, 0x7f
	v_cmp_gt_i16_sdwa s[6:7], v9, s4 src0_sel:BYTE_0 src1_sel:DWORD
	s_mov_b64 s[4:5], 0
                                        ; implicit-def: $sgpr10
	s_and_saveexec_b64 s[8:9], s[6:7]
	s_xor_b64 s[6:7], exec, s[8:9]
	s_cbranch_execnz .LBB23_3977
; %bb.1929:
	s_or_saveexec_b64 s[6:7], s[6:7]
	v_mov_b32_e32 v8, s10
	s_xor_b64 exec, exec, s[6:7]
	s_cbranch_execnz .LBB23_3980
.LBB23_1930:
	s_or_b64 exec, exec, s[6:7]
	s_and_saveexec_b64 s[6:7], s[4:5]
	s_cbranch_execz .LBB23_1932
.LBB23_1931:
	v_bfe_u32 v8, v4, 8, 3
	v_ffbh_u32_e32 v11, v8
	v_min_u32_e32 v11, 32, v11
	v_lshrrev_b16_e32 v10, 3, v9
	v_subrev_u32_e32 v12, 28, v11
	v_and_b32_e32 v10, 15, v10
	v_lshlrev_b32_e32 v9, v12, v9
	v_sub_u32_e32 v11, 29, v11
	v_and_b32_e32 v9, 7, v9
	v_cmp_eq_u16_e32 vcc, 0, v10
	v_cndmask_b32_e32 v8, v8, v9, vcc
	v_cndmask_b32_e32 v9, v10, v11, vcc
	v_lshlrev_b32_e32 v10, 16, v4
	v_mov_b32_e32 v11, 0x3b800000
	v_lshlrev_b32_e32 v8, 20, v8
	v_and_b32_e32 v10, 0x80000000, v10
	v_lshl_add_u32 v9, v9, 23, v11
	v_or3_b32 v8, v10, v9, v8
.LBB23_1932:
	s_or_b64 exec, exec, s[6:7]
	v_lshrrev_b32_e32 v9, 8, v0
	s_movk_i32 s4, 0x7f
	v_cmp_gt_i16_sdwa s[6:7], v9, s4 src0_sel:BYTE_0 src1_sel:DWORD
	s_mov_b64 s[4:5], 0
                                        ; implicit-def: $sgpr10
	s_and_saveexec_b64 s[8:9], s[6:7]
	s_xor_b64 s[6:7], exec, s[8:9]
	s_cbranch_execnz .LBB23_3981
; %bb.1933:
	s_or_saveexec_b64 s[6:7], s[6:7]
	v_mov_b32_e32 v10, s10
	s_xor_b64 exec, exec, s[6:7]
	s_cbranch_execnz .LBB23_3984
.LBB23_1934:
	s_or_b64 exec, exec, s[6:7]
	s_and_saveexec_b64 s[6:7], s[4:5]
	s_cbranch_execz .LBB23_1936
.LBB23_1935:
	v_bfe_u32 v10, v0, 8, 3
	v_ffbh_u32_e32 v12, v10
	v_min_u32_e32 v12, 32, v12
	v_lshrrev_b16_e32 v11, 3, v9
	v_subrev_u32_e32 v13, 28, v12
	v_and_b32_e32 v11, 15, v11
	v_lshlrev_b32_e32 v9, v13, v9
	v_sub_u32_e32 v12, 29, v12
	v_and_b32_e32 v9, 7, v9
	v_cmp_eq_u16_e32 vcc, 0, v11
	v_cndmask_b32_e32 v9, v10, v9, vcc
	v_cndmask_b32_e32 v10, v11, v12, vcc
	v_lshlrev_b32_e32 v11, 16, v0
	v_mov_b32_e32 v12, 0x3b800000
	v_lshlrev_b32_e32 v9, 20, v9
	v_and_b32_e32 v11, 0x80000000, v11
	v_lshl_add_u32 v10, v10, 23, v12
	v_or3_b32 v10, v11, v10, v9
.LBB23_1936:
	s_or_b64 exec, exec, s[6:7]
	s_nop 0
	v_mfma_f32_16x16x4f32 a[0:3], v8, v10, a[0:3]
	s_movk_i32 s4, 0xff
	v_and_b32_sdwa v9, v4, s4 dst_sel:DWORD dst_unused:UNUSED_PAD src0_sel:WORD_1 src1_sel:DWORD
	s_movk_i32 s4, 0x7f
	v_cmp_lt_i16_e32 vcc, s4, v9
	s_mov_b64 s[4:5], 0
                                        ; implicit-def: $sgpr10
	s_and_saveexec_b64 s[6:7], vcc
	s_xor_b64 s[6:7], exec, s[6:7]
	s_cbranch_execnz .LBB23_3985
; %bb.1937:
	s_or_saveexec_b64 s[6:7], s[6:7]
	v_mov_b32_e32 v8, s10
	s_xor_b64 exec, exec, s[6:7]
	s_cbranch_execnz .LBB23_3988
.LBB23_1938:
	s_or_b64 exec, exec, s[6:7]
	s_and_saveexec_b64 s[6:7], s[4:5]
	s_cbranch_execz .LBB23_1940
.LBB23_1939:
	v_bfe_u32 v8, v4, 16, 3
	v_ffbh_u32_e32 v11, v8
	v_min_u32_e32 v11, 32, v11
	v_lshrrev_b32_e32 v9, 19, v4
	v_subrev_u32_e32 v12, 28, v11
	v_and_b32_e32 v9, 15, v9
	v_lshlrev_b32_sdwa v12, v12, v4 dst_sel:DWORD dst_unused:UNUSED_PAD src0_sel:DWORD src1_sel:WORD_1
	v_bfe_u32 v10, v4, 19, 4
	v_sub_u32_e32 v11, 29, v11
	v_and_b32_e32 v12, 7, v12
	v_cmp_eq_u16_e32 vcc, 0, v9
	v_cndmask_b32_e32 v8, v8, v12, vcc
	v_cndmask_b32_e32 v9, v10, v11, vcc
	v_lshlrev_b32_e32 v10, 8, v4
	v_mov_b32_e32 v11, 0x3b800000
	v_lshlrev_b32_e32 v8, 20, v8
	v_and_b32_e32 v10, 0x80000000, v10
	v_lshl_add_u32 v9, v9, 23, v11
	v_or3_b32 v8, v10, v9, v8
.LBB23_1940:
	s_or_b64 exec, exec, s[6:7]
	s_movk_i32 s4, 0xff
	v_and_b32_sdwa v9, v0, s4 dst_sel:DWORD dst_unused:UNUSED_PAD src0_sel:WORD_1 src1_sel:DWORD
	s_movk_i32 s4, 0x7f
	v_cmp_lt_i16_e32 vcc, s4, v9
	s_mov_b64 s[4:5], 0
                                        ; implicit-def: $sgpr10
	s_and_saveexec_b64 s[6:7], vcc
	s_xor_b64 s[6:7], exec, s[6:7]
	s_cbranch_execnz .LBB23_3989
; %bb.1941:
	s_or_saveexec_b64 s[6:7], s[6:7]
	v_mov_b32_e32 v10, s10
	s_xor_b64 exec, exec, s[6:7]
	s_cbranch_execnz .LBB23_3992
.LBB23_1942:
	s_or_b64 exec, exec, s[6:7]
	s_and_saveexec_b64 s[6:7], s[4:5]
	s_cbranch_execz .LBB23_1944
.LBB23_1943:
	v_bfe_u32 v9, v0, 16, 3
	v_ffbh_u32_e32 v12, v9
	v_min_u32_e32 v12, 32, v12
	v_lshrrev_b32_e32 v10, 19, v0
	v_subrev_u32_e32 v13, 28, v12
	v_and_b32_e32 v10, 15, v10
	v_lshlrev_b32_sdwa v13, v13, v0 dst_sel:DWORD dst_unused:UNUSED_PAD src0_sel:DWORD src1_sel:WORD_1
	v_bfe_u32 v11, v0, 19, 4
	v_sub_u32_e32 v12, 29, v12
	v_and_b32_e32 v13, 7, v13
	v_cmp_eq_u16_e32 vcc, 0, v10
	v_cndmask_b32_e32 v9, v9, v13, vcc
	v_cndmask_b32_e32 v10, v11, v12, vcc
	v_lshlrev_b32_e32 v11, 8, v0
	v_mov_b32_e32 v12, 0x3b800000
	v_lshlrev_b32_e32 v9, 20, v9
	v_and_b32_e32 v11, 0x80000000, v11
	v_lshl_add_u32 v10, v10, 23, v12
	v_or3_b32 v10, v11, v10, v9
.LBB23_1944:
	s_or_b64 exec, exec, s[6:7]
	s_nop 0
	v_mfma_f32_16x16x4f32 a[0:3], v8, v10, a[0:3]
	s_movk_i32 s4, 0x7f
	v_cmp_gt_i16_sdwa s[6:7], v4, s4 src0_sel:BYTE_3 src1_sel:DWORD
	s_mov_b64 s[4:5], 0
                                        ; implicit-def: $sgpr10
	s_and_saveexec_b64 s[8:9], s[6:7]
	s_xor_b64 s[6:7], exec, s[8:9]
	s_cbranch_execnz .LBB23_3993
; %bb.1945:
	s_or_saveexec_b64 s[6:7], s[6:7]
	v_mov_b32_e32 v8, s10
	s_xor_b64 exec, exec, s[6:7]
	s_cbranch_execnz .LBB23_3996
.LBB23_1946:
	s_or_b64 exec, exec, s[6:7]
	s_and_saveexec_b64 s[6:7], s[4:5]
	s_cbranch_execz .LBB23_1948
.LBB23_1947:
	v_bfe_u32 v8, v4, 24, 3
	v_ffbh_u32_e32 v12, v8
	v_min_u32_e32 v12, 32, v12
	v_lshrrev_b32_e32 v10, 27, v4
	v_subrev_u32_e32 v13, 28, v12
	v_and_b32_e32 v9, 0x80000000, v4
	v_and_b32_e32 v10, 15, v10
	v_bfe_u32 v11, v4, 27, 4
	v_lshlrev_b32_sdwa v4, v13, v4 dst_sel:DWORD dst_unused:UNUSED_PAD src0_sel:DWORD src1_sel:BYTE_3
	v_sub_u32_e32 v12, 29, v12
	v_and_b32_e32 v4, 7, v4
	v_cmp_eq_u16_e32 vcc, 0, v10
	v_cndmask_b32_e32 v4, v8, v4, vcc
	v_cndmask_b32_e32 v8, v11, v12, vcc
	v_mov_b32_e32 v10, 0x3b800000
	v_lshlrev_b32_e32 v4, 20, v4
	v_lshl_add_u32 v8, v8, 23, v10
	v_or3_b32 v8, v9, v8, v4
.LBB23_1948:
	s_or_b64 exec, exec, s[6:7]
	s_movk_i32 s4, 0x7f
	v_cmp_gt_i16_sdwa s[6:7], v0, s4 src0_sel:BYTE_3 src1_sel:DWORD
	s_mov_b64 s[4:5], 0
                                        ; implicit-def: $sgpr10
	s_and_saveexec_b64 s[8:9], s[6:7]
	s_xor_b64 s[6:7], exec, s[8:9]
	s_cbranch_execnz .LBB23_3997
; %bb.1949:
	s_or_saveexec_b64 s[6:7], s[6:7]
	v_mov_b32_e32 v4, s10
	s_xor_b64 exec, exec, s[6:7]
	s_cbranch_execnz .LBB23_4000
.LBB23_1950:
	s_or_b64 exec, exec, s[6:7]
	s_and_saveexec_b64 s[6:7], s[4:5]
	s_cbranch_execz .LBB23_1952
.LBB23_1951:
	v_bfe_u32 v4, v0, 24, 3
	v_ffbh_u32_e32 v12, v4
	v_min_u32_e32 v12, 32, v12
	v_lshrrev_b32_e32 v10, 27, v0
	v_subrev_u32_e32 v13, 28, v12
	v_and_b32_e32 v9, 0x80000000, v0
	v_and_b32_e32 v10, 15, v10
	v_bfe_u32 v11, v0, 27, 4
	v_lshlrev_b32_sdwa v0, v13, v0 dst_sel:DWORD dst_unused:UNUSED_PAD src0_sel:DWORD src1_sel:BYTE_3
	v_sub_u32_e32 v12, 29, v12
	v_and_b32_e32 v0, 7, v0
	v_cmp_eq_u16_e32 vcc, 0, v10
	v_cndmask_b32_e32 v0, v4, v0, vcc
	v_cndmask_b32_e32 v4, v11, v12, vcc
	v_mov_b32_e32 v10, 0x3b800000
	v_lshlrev_b32_e32 v0, 20, v0
	v_lshl_add_u32 v4, v4, 23, v10
	v_or3_b32 v4, v9, v4, v0
.LBB23_1952:
	s_or_b64 exec, exec, s[6:7]
	s_nop 0
	v_mfma_f32_16x16x4f32 a[0:3], v8, v4, a[0:3]
	s_movk_i32 s4, 0x7f
	v_cmp_gt_i16_sdwa s[6:7], v5, s4 src0_sel:BYTE_0 src1_sel:DWORD
	s_mov_b64 s[4:5], 0
                                        ; implicit-def: $sgpr10
	s_and_saveexec_b64 s[8:9], s[6:7]
	s_xor_b64 s[6:7], exec, s[8:9]
	s_cbranch_execnz .LBB23_4001
; %bb.1953:
	s_or_saveexec_b64 s[6:7], s[6:7]
	v_mov_b32_e32 v0, s10
	s_xor_b64 exec, exec, s[6:7]
	s_cbranch_execnz .LBB23_4004
.LBB23_1954:
	s_or_b64 exec, exec, s[6:7]
	s_and_saveexec_b64 s[6:7], s[4:5]
	s_cbranch_execz .LBB23_1956
.LBB23_1955:
	v_and_b32_e32 v0, 7, v5
	v_ffbh_u32_e32 v8, v0
	v_min_u32_e32 v8, 32, v8
	v_lshrrev_b16_e32 v4, 3, v5
	v_subrev_u32_e32 v9, 28, v8
	v_and_b32_e32 v4, 15, v4
	v_lshlrev_b32_e32 v9, v9, v5
	v_sub_u32_e32 v8, 29, v8
	v_and_b32_e32 v9, 7, v9
	v_cmp_eq_u16_e32 vcc, 0, v4
	v_cndmask_b32_e32 v0, v0, v9, vcc
	v_cndmask_b32_e32 v4, v4, v8, vcc
	v_lshlrev_b32_e32 v8, 24, v5
	v_mov_b32_e32 v9, 0x3b800000
	v_lshlrev_b32_e32 v0, 20, v0
	v_and_b32_e32 v8, 0x80000000, v8
	v_lshl_add_u32 v4, v4, 23, v9
	v_or3_b32 v0, v8, v4, v0
.LBB23_1956:
	s_or_b64 exec, exec, s[6:7]
	s_movk_i32 s4, 0x7f
	v_cmp_gt_i16_sdwa s[6:7], v1, s4 src0_sel:BYTE_0 src1_sel:DWORD
	s_mov_b64 s[4:5], 0
                                        ; implicit-def: $sgpr10
	s_and_saveexec_b64 s[8:9], s[6:7]
	s_xor_b64 s[6:7], exec, s[8:9]
	s_cbranch_execnz .LBB23_4005
; %bb.1957:
	s_or_saveexec_b64 s[6:7], s[6:7]
	v_mov_b32_e32 v4, s10
	s_xor_b64 exec, exec, s[6:7]
	s_cbranch_execnz .LBB23_4008
.LBB23_1958:
	s_or_b64 exec, exec, s[6:7]
	s_and_saveexec_b64 s[6:7], s[4:5]
	s_cbranch_execz .LBB23_1960
.LBB23_1959:
	v_and_b32_e32 v4, 7, v1
	v_ffbh_u32_e32 v9, v4
	v_min_u32_e32 v9, 32, v9
	v_lshrrev_b16_e32 v8, 3, v1
	v_subrev_u32_e32 v10, 28, v9
	v_and_b32_e32 v8, 15, v8
	v_lshlrev_b32_e32 v10, v10, v1
	v_sub_u32_e32 v9, 29, v9
	v_and_b32_e32 v10, 7, v10
	v_cmp_eq_u16_e32 vcc, 0, v8
	v_cndmask_b32_e32 v4, v4, v10, vcc
	v_cndmask_b32_e32 v8, v8, v9, vcc
	v_lshlrev_b32_e32 v9, 24, v1
	v_mov_b32_e32 v10, 0x3b800000
	v_lshlrev_b32_e32 v4, 20, v4
	v_and_b32_e32 v9, 0x80000000, v9
	v_lshl_add_u32 v8, v8, 23, v10
	v_or3_b32 v4, v9, v8, v4
.LBB23_1960:
	s_or_b64 exec, exec, s[6:7]
	s_nop 0
	v_mfma_f32_16x16x4f32 a[0:3], v0, v4, a[0:3]
	v_lshrrev_b32_e32 v4, 8, v5
	s_movk_i32 s4, 0x7f
	v_cmp_gt_i16_sdwa s[6:7], v4, s4 src0_sel:BYTE_0 src1_sel:DWORD
	s_mov_b64 s[4:5], 0
                                        ; implicit-def: $sgpr10
	s_and_saveexec_b64 s[8:9], s[6:7]
	s_xor_b64 s[6:7], exec, s[8:9]
	s_cbranch_execnz .LBB23_4009
; %bb.1961:
	s_or_saveexec_b64 s[6:7], s[6:7]
	v_mov_b32_e32 v0, s10
	s_xor_b64 exec, exec, s[6:7]
	s_cbranch_execnz .LBB23_4012
.LBB23_1962:
	s_or_b64 exec, exec, s[6:7]
	s_and_saveexec_b64 s[6:7], s[4:5]
	s_cbranch_execz .LBB23_1964
.LBB23_1963:
	v_bfe_u32 v0, v5, 8, 3
	v_ffbh_u32_e32 v9, v0
	v_min_u32_e32 v9, 32, v9
	v_lshrrev_b16_e32 v8, 3, v4
	v_subrev_u32_e32 v10, 28, v9
	v_and_b32_e32 v8, 15, v8
	v_lshlrev_b32_e32 v4, v10, v4
	v_sub_u32_e32 v9, 29, v9
	v_and_b32_e32 v4, 7, v4
	v_cmp_eq_u16_e32 vcc, 0, v8
	v_cndmask_b32_e32 v0, v0, v4, vcc
	v_cndmask_b32_e32 v4, v8, v9, vcc
	v_lshlrev_b32_e32 v8, 16, v5
	v_mov_b32_e32 v9, 0x3b800000
	v_lshlrev_b32_e32 v0, 20, v0
	v_and_b32_e32 v8, 0x80000000, v8
	v_lshl_add_u32 v4, v4, 23, v9
	v_or3_b32 v0, v8, v4, v0
.LBB23_1964:
	s_or_b64 exec, exec, s[6:7]
	v_lshrrev_b32_e32 v4, 8, v1
	s_movk_i32 s4, 0x7f
	v_cmp_gt_i16_sdwa s[6:7], v4, s4 src0_sel:BYTE_0 src1_sel:DWORD
	s_mov_b64 s[4:5], 0
                                        ; implicit-def: $sgpr10
	s_and_saveexec_b64 s[8:9], s[6:7]
	s_xor_b64 s[6:7], exec, s[8:9]
	s_cbranch_execnz .LBB23_4013
; %bb.1965:
	s_or_saveexec_b64 s[6:7], s[6:7]
	v_mov_b32_e32 v8, s10
	s_xor_b64 exec, exec, s[6:7]
	s_cbranch_execnz .LBB23_4016
.LBB23_1966:
	s_or_b64 exec, exec, s[6:7]
	s_and_saveexec_b64 s[6:7], s[4:5]
	s_cbranch_execz .LBB23_1968
.LBB23_1967:
	v_bfe_u32 v8, v1, 8, 3
	v_ffbh_u32_e32 v10, v8
	v_min_u32_e32 v10, 32, v10
	v_lshrrev_b16_e32 v9, 3, v4
	v_subrev_u32_e32 v11, 28, v10
	v_and_b32_e32 v9, 15, v9
	v_lshlrev_b32_e32 v4, v11, v4
	v_sub_u32_e32 v10, 29, v10
	v_and_b32_e32 v4, 7, v4
	v_cmp_eq_u16_e32 vcc, 0, v9
	v_cndmask_b32_e32 v4, v8, v4, vcc
	v_cndmask_b32_e32 v8, v9, v10, vcc
	v_lshlrev_b32_e32 v9, 16, v1
	v_mov_b32_e32 v10, 0x3b800000
	v_lshlrev_b32_e32 v4, 20, v4
	v_and_b32_e32 v9, 0x80000000, v9
	v_lshl_add_u32 v8, v8, 23, v10
	v_or3_b32 v8, v9, v8, v4
.LBB23_1968:
	s_or_b64 exec, exec, s[6:7]
	s_nop 0
	v_mfma_f32_16x16x4f32 a[0:3], v0, v8, a[0:3]
	s_movk_i32 s4, 0xff
	v_and_b32_sdwa v4, v5, s4 dst_sel:DWORD dst_unused:UNUSED_PAD src0_sel:WORD_1 src1_sel:DWORD
	s_movk_i32 s4, 0x7f
	v_cmp_lt_i16_e32 vcc, s4, v4
	s_mov_b64 s[4:5], 0
                                        ; implicit-def: $sgpr10
	s_and_saveexec_b64 s[6:7], vcc
	s_xor_b64 s[6:7], exec, s[6:7]
	s_cbranch_execnz .LBB23_4017
; %bb.1969:
	s_or_saveexec_b64 s[6:7], s[6:7]
	v_mov_b32_e32 v0, s10
	s_xor_b64 exec, exec, s[6:7]
	s_cbranch_execnz .LBB23_4020
.LBB23_1970:
	s_or_b64 exec, exec, s[6:7]
	s_and_saveexec_b64 s[6:7], s[4:5]
	s_cbranch_execz .LBB23_1972
.LBB23_1971:
	v_bfe_u32 v0, v5, 16, 3
	v_ffbh_u32_e32 v9, v0
	v_min_u32_e32 v9, 32, v9
	v_lshrrev_b32_e32 v4, 19, v5
	v_subrev_u32_e32 v10, 28, v9
	v_and_b32_e32 v4, 15, v4
	v_lshlrev_b32_sdwa v10, v10, v5 dst_sel:DWORD dst_unused:UNUSED_PAD src0_sel:DWORD src1_sel:WORD_1
	v_bfe_u32 v8, v5, 19, 4
	v_sub_u32_e32 v9, 29, v9
	v_and_b32_e32 v10, 7, v10
	v_cmp_eq_u16_e32 vcc, 0, v4
	v_cndmask_b32_e32 v0, v0, v10, vcc
	v_cndmask_b32_e32 v4, v8, v9, vcc
	v_lshlrev_b32_e32 v8, 8, v5
	v_mov_b32_e32 v9, 0x3b800000
	v_lshlrev_b32_e32 v0, 20, v0
	v_and_b32_e32 v8, 0x80000000, v8
	v_lshl_add_u32 v4, v4, 23, v9
	v_or3_b32 v0, v8, v4, v0
.LBB23_1972:
	s_or_b64 exec, exec, s[6:7]
	s_movk_i32 s4, 0xff
	v_and_b32_sdwa v4, v1, s4 dst_sel:DWORD dst_unused:UNUSED_PAD src0_sel:WORD_1 src1_sel:DWORD
	s_movk_i32 s4, 0x7f
	v_cmp_lt_i16_e32 vcc, s4, v4
	s_mov_b64 s[4:5], 0
                                        ; implicit-def: $sgpr10
	s_and_saveexec_b64 s[6:7], vcc
	s_xor_b64 s[6:7], exec, s[6:7]
	s_cbranch_execnz .LBB23_4021
; %bb.1973:
	s_or_saveexec_b64 s[6:7], s[6:7]
	v_mov_b32_e32 v8, s10
	s_xor_b64 exec, exec, s[6:7]
	s_cbranch_execnz .LBB23_4024
.LBB23_1974:
	s_or_b64 exec, exec, s[6:7]
	s_and_saveexec_b64 s[6:7], s[4:5]
	s_cbranch_execz .LBB23_1976
.LBB23_1975:
	v_bfe_u32 v4, v1, 16, 3
	v_ffbh_u32_e32 v10, v4
	v_min_u32_e32 v10, 32, v10
	v_lshrrev_b32_e32 v8, 19, v1
	v_subrev_u32_e32 v11, 28, v10
	v_and_b32_e32 v8, 15, v8
	v_lshlrev_b32_sdwa v11, v11, v1 dst_sel:DWORD dst_unused:UNUSED_PAD src0_sel:DWORD src1_sel:WORD_1
	v_bfe_u32 v9, v1, 19, 4
	v_sub_u32_e32 v10, 29, v10
	v_and_b32_e32 v11, 7, v11
	v_cmp_eq_u16_e32 vcc, 0, v8
	v_cndmask_b32_e32 v4, v4, v11, vcc
	v_cndmask_b32_e32 v8, v9, v10, vcc
	v_lshlrev_b32_e32 v9, 8, v1
	v_mov_b32_e32 v10, 0x3b800000
	v_lshlrev_b32_e32 v4, 20, v4
	v_and_b32_e32 v9, 0x80000000, v9
	v_lshl_add_u32 v8, v8, 23, v10
	v_or3_b32 v8, v9, v8, v4
.LBB23_1976:
	s_or_b64 exec, exec, s[6:7]
	s_nop 0
	v_mfma_f32_16x16x4f32 a[0:3], v0, v8, a[0:3]
	s_movk_i32 s4, 0x7f
	v_cmp_gt_i16_sdwa s[6:7], v5, s4 src0_sel:BYTE_3 src1_sel:DWORD
	s_mov_b64 s[4:5], 0
                                        ; implicit-def: $sgpr10
	s_and_saveexec_b64 s[8:9], s[6:7]
	s_xor_b64 s[6:7], exec, s[8:9]
	s_cbranch_execnz .LBB23_4025
; %bb.1977:
	s_or_saveexec_b64 s[6:7], s[6:7]
	v_mov_b32_e32 v0, s10
	s_xor_b64 exec, exec, s[6:7]
	s_cbranch_execnz .LBB23_4028
.LBB23_1978:
	s_or_b64 exec, exec, s[6:7]
	s_and_saveexec_b64 s[6:7], s[4:5]
	s_cbranch_execz .LBB23_1980
.LBB23_1979:
	v_bfe_u32 v0, v5, 24, 3
	v_ffbh_u32_e32 v10, v0
	v_min_u32_e32 v10, 32, v10
	v_lshrrev_b32_e32 v8, 27, v5
	v_subrev_u32_e32 v11, 28, v10
	v_and_b32_e32 v4, 0x80000000, v5
	v_and_b32_e32 v8, 15, v8
	v_bfe_u32 v9, v5, 27, 4
	v_lshlrev_b32_sdwa v5, v11, v5 dst_sel:DWORD dst_unused:UNUSED_PAD src0_sel:DWORD src1_sel:BYTE_3
	v_sub_u32_e32 v10, 29, v10
	v_and_b32_e32 v5, 7, v5
	v_cmp_eq_u16_e32 vcc, 0, v8
	v_cndmask_b32_e32 v0, v0, v5, vcc
	v_cndmask_b32_e32 v5, v9, v10, vcc
	v_mov_b32_e32 v8, 0x3b800000
	v_lshlrev_b32_e32 v0, 20, v0
	v_lshl_add_u32 v5, v5, 23, v8
	v_or3_b32 v0, v4, v5, v0
.LBB23_1980:
	s_or_b64 exec, exec, s[6:7]
	s_movk_i32 s4, 0x7f
	v_cmp_gt_i16_sdwa s[6:7], v1, s4 src0_sel:BYTE_3 src1_sel:DWORD
	s_mov_b64 s[4:5], 0
                                        ; implicit-def: $sgpr10
	s_and_saveexec_b64 s[8:9], s[6:7]
	s_xor_b64 s[6:7], exec, s[8:9]
	s_cbranch_execnz .LBB23_4029
; %bb.1981:
	s_or_saveexec_b64 s[6:7], s[6:7]
	v_mov_b32_e32 v4, s10
	s_xor_b64 exec, exec, s[6:7]
	s_cbranch_execnz .LBB23_4032
.LBB23_1982:
	s_or_b64 exec, exec, s[6:7]
	s_and_saveexec_b64 s[6:7], s[4:5]
	s_cbranch_execz .LBB23_1984
.LBB23_1983:
	v_bfe_u32 v4, v1, 24, 3
	v_ffbh_u32_e32 v10, v4
	v_min_u32_e32 v10, 32, v10
	v_lshrrev_b32_e32 v8, 27, v1
	v_subrev_u32_e32 v11, 28, v10
	v_and_b32_e32 v5, 0x80000000, v1
	v_and_b32_e32 v8, 15, v8
	v_bfe_u32 v9, v1, 27, 4
	v_lshlrev_b32_sdwa v1, v11, v1 dst_sel:DWORD dst_unused:UNUSED_PAD src0_sel:DWORD src1_sel:BYTE_3
	v_sub_u32_e32 v10, 29, v10
	v_and_b32_e32 v1, 7, v1
	v_cmp_eq_u16_e32 vcc, 0, v8
	v_cndmask_b32_e32 v1, v4, v1, vcc
	v_cndmask_b32_e32 v4, v9, v10, vcc
	v_mov_b32_e32 v8, 0x3b800000
	v_lshlrev_b32_e32 v1, 20, v1
	v_lshl_add_u32 v4, v4, 23, v8
	v_or3_b32 v4, v5, v4, v1
.LBB23_1984:
	s_or_b64 exec, exec, s[6:7]
	s_nop 0
	v_mfma_f32_16x16x4f32 a[0:3], v0, v4, a[0:3]
	s_movk_i32 s4, 0x7f
	v_cmp_gt_i16_sdwa s[6:7], v6, s4 src0_sel:BYTE_0 src1_sel:DWORD
	s_mov_b64 s[4:5], 0
                                        ; implicit-def: $sgpr10
	s_and_saveexec_b64 s[8:9], s[6:7]
	s_xor_b64 s[6:7], exec, s[8:9]
	s_cbranch_execnz .LBB23_4033
; %bb.1985:
	s_or_saveexec_b64 s[6:7], s[6:7]
	v_mov_b32_e32 v0, s10
	s_xor_b64 exec, exec, s[6:7]
	s_cbranch_execnz .LBB23_4036
.LBB23_1986:
	s_or_b64 exec, exec, s[6:7]
	s_and_saveexec_b64 s[6:7], s[4:5]
	s_cbranch_execz .LBB23_1988
.LBB23_1987:
	v_and_b32_e32 v0, 7, v6
	v_ffbh_u32_e32 v4, v0
	v_min_u32_e32 v4, 32, v4
	v_lshrrev_b16_e32 v1, 3, v6
	v_subrev_u32_e32 v5, 28, v4
	v_and_b32_e32 v1, 15, v1
	v_lshlrev_b32_e32 v5, v5, v6
	v_sub_u32_e32 v4, 29, v4
	v_and_b32_e32 v5, 7, v5
	v_cmp_eq_u16_e32 vcc, 0, v1
	v_cndmask_b32_e32 v0, v0, v5, vcc
	v_cndmask_b32_e32 v1, v1, v4, vcc
	v_lshlrev_b32_e32 v4, 24, v6
	v_mov_b32_e32 v5, 0x3b800000
	v_lshlrev_b32_e32 v0, 20, v0
	v_and_b32_e32 v4, 0x80000000, v4
	v_lshl_add_u32 v1, v1, 23, v5
	v_or3_b32 v0, v4, v1, v0
.LBB23_1988:
	s_or_b64 exec, exec, s[6:7]
	s_movk_i32 s4, 0x7f
	v_cmp_gt_i16_sdwa s[6:7], v2, s4 src0_sel:BYTE_0 src1_sel:DWORD
	s_mov_b64 s[4:5], 0
                                        ; implicit-def: $sgpr10
	s_and_saveexec_b64 s[8:9], s[6:7]
	s_xor_b64 s[6:7], exec, s[8:9]
	s_cbranch_execnz .LBB23_4037
; %bb.1989:
	s_or_saveexec_b64 s[6:7], s[6:7]
	v_mov_b32_e32 v1, s10
	s_xor_b64 exec, exec, s[6:7]
	s_cbranch_execnz .LBB23_4040
.LBB23_1990:
	s_or_b64 exec, exec, s[6:7]
	s_and_saveexec_b64 s[6:7], s[4:5]
	s_cbranch_execz .LBB23_1992
.LBB23_1991:
	v_and_b32_e32 v1, 7, v2
	v_ffbh_u32_e32 v5, v1
	v_min_u32_e32 v5, 32, v5
	v_lshrrev_b16_e32 v4, 3, v2
	v_subrev_u32_e32 v8, 28, v5
	v_and_b32_e32 v4, 15, v4
	v_lshlrev_b32_e32 v8, v8, v2
	v_sub_u32_e32 v5, 29, v5
	v_and_b32_e32 v8, 7, v8
	v_cmp_eq_u16_e32 vcc, 0, v4
	v_cndmask_b32_e32 v1, v1, v8, vcc
	v_cndmask_b32_e32 v4, v4, v5, vcc
	v_lshlrev_b32_e32 v5, 24, v2
	v_mov_b32_e32 v8, 0x3b800000
	v_lshlrev_b32_e32 v1, 20, v1
	v_and_b32_e32 v5, 0x80000000, v5
	v_lshl_add_u32 v4, v4, 23, v8
	v_or3_b32 v1, v5, v4, v1
.LBB23_1992:
	s_or_b64 exec, exec, s[6:7]
	s_nop 0
	v_mfma_f32_16x16x4f32 a[0:3], v0, v1, a[0:3]
	v_lshrrev_b32_e32 v1, 8, v6
	s_movk_i32 s4, 0x7f
	v_cmp_gt_i16_sdwa s[6:7], v1, s4 src0_sel:BYTE_0 src1_sel:DWORD
	s_mov_b64 s[4:5], 0
                                        ; implicit-def: $sgpr10
	s_and_saveexec_b64 s[8:9], s[6:7]
	s_xor_b64 s[6:7], exec, s[8:9]
	s_cbranch_execnz .LBB23_4041
; %bb.1993:
	s_or_saveexec_b64 s[6:7], s[6:7]
	v_mov_b32_e32 v0, s10
	s_xor_b64 exec, exec, s[6:7]
	s_cbranch_execnz .LBB23_4044
.LBB23_1994:
	s_or_b64 exec, exec, s[6:7]
	s_and_saveexec_b64 s[6:7], s[4:5]
	s_cbranch_execz .LBB23_1996
.LBB23_1995:
	v_bfe_u32 v0, v6, 8, 3
	v_ffbh_u32_e32 v5, v0
	v_min_u32_e32 v5, 32, v5
	v_lshrrev_b16_e32 v4, 3, v1
	v_subrev_u32_e32 v8, 28, v5
	v_and_b32_e32 v4, 15, v4
	v_lshlrev_b32_e32 v1, v8, v1
	v_sub_u32_e32 v5, 29, v5
	v_and_b32_e32 v1, 7, v1
	v_cmp_eq_u16_e32 vcc, 0, v4
	v_cndmask_b32_e32 v0, v0, v1, vcc
	v_cndmask_b32_e32 v1, v4, v5, vcc
	v_lshlrev_b32_e32 v4, 16, v6
	v_mov_b32_e32 v5, 0x3b800000
	v_lshlrev_b32_e32 v0, 20, v0
	v_and_b32_e32 v4, 0x80000000, v4
	v_lshl_add_u32 v1, v1, 23, v5
	v_or3_b32 v0, v4, v1, v0
.LBB23_1996:
	s_or_b64 exec, exec, s[6:7]
	v_lshrrev_b32_e32 v1, 8, v2
	s_movk_i32 s4, 0x7f
	v_cmp_gt_i16_sdwa s[6:7], v1, s4 src0_sel:BYTE_0 src1_sel:DWORD
	s_mov_b64 s[4:5], 0
                                        ; implicit-def: $sgpr10
	s_and_saveexec_b64 s[8:9], s[6:7]
	s_xor_b64 s[6:7], exec, s[8:9]
	s_cbranch_execnz .LBB23_4045
; %bb.1997:
	s_or_saveexec_b64 s[6:7], s[6:7]
	v_mov_b32_e32 v4, s10
	s_xor_b64 exec, exec, s[6:7]
	s_cbranch_execnz .LBB23_4048
.LBB23_1998:
	s_or_b64 exec, exec, s[6:7]
	s_and_saveexec_b64 s[6:7], s[4:5]
	s_cbranch_execz .LBB23_2000
.LBB23_1999:
	v_bfe_u32 v4, v2, 8, 3
	v_ffbh_u32_e32 v8, v4
	v_min_u32_e32 v8, 32, v8
	v_lshrrev_b16_e32 v5, 3, v1
	v_subrev_u32_e32 v9, 28, v8
	v_and_b32_e32 v5, 15, v5
	v_lshlrev_b32_e32 v1, v9, v1
	v_sub_u32_e32 v8, 29, v8
	v_and_b32_e32 v1, 7, v1
	v_cmp_eq_u16_e32 vcc, 0, v5
	v_cndmask_b32_e32 v1, v4, v1, vcc
	v_cndmask_b32_e32 v4, v5, v8, vcc
	v_lshlrev_b32_e32 v5, 16, v2
	v_mov_b32_e32 v8, 0x3b800000
	v_lshlrev_b32_e32 v1, 20, v1
	v_and_b32_e32 v5, 0x80000000, v5
	v_lshl_add_u32 v4, v4, 23, v8
	v_or3_b32 v4, v5, v4, v1
.LBB23_2000:
	s_or_b64 exec, exec, s[6:7]
	s_nop 0
	v_mfma_f32_16x16x4f32 a[0:3], v0, v4, a[0:3]
	s_movk_i32 s4, 0xff
	v_and_b32_sdwa v1, v6, s4 dst_sel:DWORD dst_unused:UNUSED_PAD src0_sel:WORD_1 src1_sel:DWORD
	s_movk_i32 s4, 0x7f
	v_cmp_lt_i16_e32 vcc, s4, v1
	s_mov_b64 s[4:5], 0
                                        ; implicit-def: $sgpr10
	s_and_saveexec_b64 s[6:7], vcc
	s_xor_b64 s[6:7], exec, s[6:7]
	s_cbranch_execnz .LBB23_4049
; %bb.2001:
	s_or_saveexec_b64 s[6:7], s[6:7]
	v_mov_b32_e32 v0, s10
	s_xor_b64 exec, exec, s[6:7]
	s_cbranch_execnz .LBB23_4052
.LBB23_2002:
	s_or_b64 exec, exec, s[6:7]
	s_and_saveexec_b64 s[6:7], s[4:5]
	s_cbranch_execz .LBB23_2004
.LBB23_2003:
	v_bfe_u32 v0, v6, 16, 3
	v_ffbh_u32_e32 v5, v0
	v_min_u32_e32 v5, 32, v5
	v_lshrrev_b32_e32 v1, 19, v6
	v_subrev_u32_e32 v8, 28, v5
	v_and_b32_e32 v1, 15, v1
	v_lshlrev_b32_sdwa v8, v8, v6 dst_sel:DWORD dst_unused:UNUSED_PAD src0_sel:DWORD src1_sel:WORD_1
	v_bfe_u32 v4, v6, 19, 4
	v_sub_u32_e32 v5, 29, v5
	v_and_b32_e32 v8, 7, v8
	v_cmp_eq_u16_e32 vcc, 0, v1
	v_cndmask_b32_e32 v0, v0, v8, vcc
	v_cndmask_b32_e32 v1, v4, v5, vcc
	v_lshlrev_b32_e32 v4, 8, v6
	v_mov_b32_e32 v5, 0x3b800000
	v_lshlrev_b32_e32 v0, 20, v0
	v_and_b32_e32 v4, 0x80000000, v4
	v_lshl_add_u32 v1, v1, 23, v5
	v_or3_b32 v0, v4, v1, v0
.LBB23_2004:
	s_or_b64 exec, exec, s[6:7]
	s_movk_i32 s4, 0xff
	v_and_b32_sdwa v1, v2, s4 dst_sel:DWORD dst_unused:UNUSED_PAD src0_sel:WORD_1 src1_sel:DWORD
	s_movk_i32 s4, 0x7f
	v_cmp_lt_i16_e32 vcc, s4, v1
	s_mov_b64 s[4:5], 0
                                        ; implicit-def: $sgpr10
	s_and_saveexec_b64 s[6:7], vcc
	s_xor_b64 s[6:7], exec, s[6:7]
	s_cbranch_execnz .LBB23_4053
; %bb.2005:
	s_or_saveexec_b64 s[6:7], s[6:7]
	v_mov_b32_e32 v4, s10
	s_xor_b64 exec, exec, s[6:7]
	s_cbranch_execnz .LBB23_4056
.LBB23_2006:
	s_or_b64 exec, exec, s[6:7]
	s_and_saveexec_b64 s[6:7], s[4:5]
	s_cbranch_execz .LBB23_2008
.LBB23_2007:
	v_bfe_u32 v1, v2, 16, 3
	v_ffbh_u32_e32 v8, v1
	v_min_u32_e32 v8, 32, v8
	v_lshrrev_b32_e32 v4, 19, v2
	v_subrev_u32_e32 v9, 28, v8
	v_and_b32_e32 v4, 15, v4
	v_lshlrev_b32_sdwa v9, v9, v2 dst_sel:DWORD dst_unused:UNUSED_PAD src0_sel:DWORD src1_sel:WORD_1
	v_bfe_u32 v5, v2, 19, 4
	v_sub_u32_e32 v8, 29, v8
	v_and_b32_e32 v9, 7, v9
	v_cmp_eq_u16_e32 vcc, 0, v4
	v_cndmask_b32_e32 v1, v1, v9, vcc
	v_cndmask_b32_e32 v4, v5, v8, vcc
	v_lshlrev_b32_e32 v5, 8, v2
	v_mov_b32_e32 v8, 0x3b800000
	v_lshlrev_b32_e32 v1, 20, v1
	v_and_b32_e32 v5, 0x80000000, v5
	v_lshl_add_u32 v4, v4, 23, v8
	v_or3_b32 v4, v5, v4, v1
.LBB23_2008:
	s_or_b64 exec, exec, s[6:7]
	s_nop 0
	v_mfma_f32_16x16x4f32 a[0:3], v0, v4, a[0:3]
	s_movk_i32 s4, 0x7f
	v_cmp_gt_i16_sdwa s[6:7], v6, s4 src0_sel:BYTE_3 src1_sel:DWORD
	s_mov_b64 s[4:5], 0
                                        ; implicit-def: $sgpr10
	s_and_saveexec_b64 s[8:9], s[6:7]
	s_xor_b64 s[6:7], exec, s[8:9]
	s_cbranch_execnz .LBB23_4057
; %bb.2009:
	s_or_saveexec_b64 s[6:7], s[6:7]
	v_mov_b32_e32 v0, s10
	s_xor_b64 exec, exec, s[6:7]
	s_cbranch_execnz .LBB23_4060
.LBB23_2010:
	s_or_b64 exec, exec, s[6:7]
	s_and_saveexec_b64 s[6:7], s[4:5]
	s_cbranch_execz .LBB23_2012
.LBB23_2011:
	v_bfe_u32 v0, v6, 24, 3
	v_ffbh_u32_e32 v8, v0
	v_min_u32_e32 v8, 32, v8
	v_lshrrev_b32_e32 v4, 27, v6
	v_subrev_u32_e32 v9, 28, v8
	v_and_b32_e32 v1, 0x80000000, v6
	v_and_b32_e32 v4, 15, v4
	v_bfe_u32 v5, v6, 27, 4
	v_lshlrev_b32_sdwa v6, v9, v6 dst_sel:DWORD dst_unused:UNUSED_PAD src0_sel:DWORD src1_sel:BYTE_3
	v_sub_u32_e32 v8, 29, v8
	v_and_b32_e32 v6, 7, v6
	v_cmp_eq_u16_e32 vcc, 0, v4
	v_cndmask_b32_e32 v0, v0, v6, vcc
	v_cndmask_b32_e32 v4, v5, v8, vcc
	v_mov_b32_e32 v5, 0x3b800000
	v_lshlrev_b32_e32 v0, 20, v0
	v_lshl_add_u32 v4, v4, 23, v5
	v_or3_b32 v0, v1, v4, v0
.LBB23_2012:
	s_or_b64 exec, exec, s[6:7]
	s_movk_i32 s4, 0x7f
	v_cmp_gt_i16_sdwa s[6:7], v2, s4 src0_sel:BYTE_3 src1_sel:DWORD
	s_mov_b64 s[4:5], 0
                                        ; implicit-def: $sgpr10
	s_and_saveexec_b64 s[8:9], s[6:7]
	s_xor_b64 s[6:7], exec, s[8:9]
	s_cbranch_execnz .LBB23_4061
; %bb.2013:
	s_or_saveexec_b64 s[6:7], s[6:7]
	v_mov_b32_e32 v1, s10
	s_xor_b64 exec, exec, s[6:7]
	s_cbranch_execnz .LBB23_4064
.LBB23_2014:
	s_or_b64 exec, exec, s[6:7]
	s_and_saveexec_b64 s[6:7], s[4:5]
	s_cbranch_execz .LBB23_2016
.LBB23_2015:
	v_bfe_u32 v1, v2, 24, 3
	v_ffbh_u32_e32 v8, v1
	v_min_u32_e32 v8, 32, v8
	v_lshrrev_b32_e32 v5, 27, v2
	v_subrev_u32_e32 v9, 28, v8
	v_and_b32_e32 v4, 0x80000000, v2
	v_and_b32_e32 v5, 15, v5
	v_bfe_u32 v6, v2, 27, 4
	v_lshlrev_b32_sdwa v2, v9, v2 dst_sel:DWORD dst_unused:UNUSED_PAD src0_sel:DWORD src1_sel:BYTE_3
	v_sub_u32_e32 v8, 29, v8
	v_and_b32_e32 v2, 7, v2
	v_cmp_eq_u16_e32 vcc, 0, v5
	v_cndmask_b32_e32 v1, v1, v2, vcc
	v_cndmask_b32_e32 v2, v6, v8, vcc
	v_mov_b32_e32 v5, 0x3b800000
	v_lshlrev_b32_e32 v1, 20, v1
	v_lshl_add_u32 v2, v2, 23, v5
	v_or3_b32 v1, v4, v2, v1
.LBB23_2016:
	s_or_b64 exec, exec, s[6:7]
	s_nop 0
	v_mfma_f32_16x16x4f32 a[0:3], v0, v1, a[0:3]
	s_movk_i32 s4, 0x7f
	v_cmp_gt_i16_sdwa s[6:7], v7, s4 src0_sel:BYTE_0 src1_sel:DWORD
	s_mov_b64 s[4:5], 0
                                        ; implicit-def: $sgpr10
	s_and_saveexec_b64 s[8:9], s[6:7]
	s_xor_b64 s[6:7], exec, s[8:9]
	s_cbranch_execnz .LBB23_4065
; %bb.2017:
	s_or_saveexec_b64 s[6:7], s[6:7]
	v_mov_b32_e32 v0, s10
	s_xor_b64 exec, exec, s[6:7]
	s_cbranch_execnz .LBB23_4068
.LBB23_2018:
	s_or_b64 exec, exec, s[6:7]
	s_and_saveexec_b64 s[6:7], s[4:5]
	s_cbranch_execz .LBB23_2020
.LBB23_2019:
	v_mov_b32_e32 v0, 8
	v_and_b32_e32 v1, 7, v7
	v_lshrrev_b32_sdwa v0, v0, v7 dst_sel:BYTE_1 dst_unused:UNUSED_PAD src0_sel:DWORD src1_sel:DWORD
	v_ffbh_u32_e32 v2, v1
	v_or_b32_sdwa v0, v7, v0 dst_sel:DWORD dst_unused:UNUSED_PAD src0_sel:BYTE_0 src1_sel:DWORD
	v_min_u32_e32 v2, 32, v2
	v_lshrrev_b16_e32 v0, 3, v0
	v_subrev_u32_e32 v4, 28, v2
	v_and_b32_e32 v0, 15, v0
	v_lshlrev_b32_e32 v4, v4, v7
	v_sub_u32_e32 v2, 29, v2
	v_and_b32_e32 v4, 7, v4
	v_cmp_eq_u16_e32 vcc, 0, v0
	v_cndmask_b32_e32 v1, v1, v4, vcc
	v_cndmask_b32_e32 v0, v0, v2, vcc
	v_lshlrev_b32_e32 v2, 24, v7
	v_mov_b32_e32 v4, 0x3b800000
	v_lshlrev_b32_e32 v1, 20, v1
	v_and_b32_e32 v2, 0x80000000, v2
	v_lshl_add_u32 v0, v0, 23, v4
	v_or3_b32 v0, v2, v0, v1
.LBB23_2020:
	s_or_b64 exec, exec, s[6:7]
	s_movk_i32 s4, 0x7f
	v_cmp_gt_i16_sdwa s[6:7], v3, s4 src0_sel:BYTE_0 src1_sel:DWORD
	s_mov_b64 s[4:5], 0
                                        ; implicit-def: $sgpr10
	s_and_saveexec_b64 s[8:9], s[6:7]
	s_xor_b64 s[6:7], exec, s[8:9]
	s_cbranch_execnz .LBB23_4069
; %bb.2021:
	s_or_saveexec_b64 s[6:7], s[6:7]
	v_mov_b32_e32 v1, s10
	s_xor_b64 exec, exec, s[6:7]
	s_cbranch_execnz .LBB23_4072
.LBB23_2022:
	s_or_b64 exec, exec, s[6:7]
	s_and_saveexec_b64 s[6:7], s[4:5]
	s_cbranch_execz .LBB23_2024
.LBB23_2023:
	v_mov_b32_e32 v1, 8
	v_and_b32_e32 v2, 7, v3
	v_lshrrev_b32_sdwa v1, v1, v3 dst_sel:BYTE_1 dst_unused:UNUSED_PAD src0_sel:DWORD src1_sel:DWORD
	v_ffbh_u32_e32 v4, v2
	v_or_b32_sdwa v1, v3, v1 dst_sel:DWORD dst_unused:UNUSED_PAD src0_sel:BYTE_0 src1_sel:DWORD
	v_min_u32_e32 v4, 32, v4
	v_lshrrev_b16_e32 v1, 3, v1
	v_subrev_u32_e32 v5, 28, v4
	v_and_b32_e32 v1, 15, v1
	v_lshlrev_b32_e32 v5, v5, v3
	v_sub_u32_e32 v4, 29, v4
	v_and_b32_e32 v5, 7, v5
	v_cmp_eq_u16_e32 vcc, 0, v1
	v_cndmask_b32_e32 v2, v2, v5, vcc
	v_cndmask_b32_e32 v1, v1, v4, vcc
	v_lshlrev_b32_e32 v4, 24, v3
	v_mov_b32_e32 v5, 0x3b800000
	v_lshlrev_b32_e32 v2, 20, v2
	v_and_b32_e32 v4, 0x80000000, v4
	v_lshl_add_u32 v1, v1, 23, v5
	v_or3_b32 v1, v4, v1, v2
.LBB23_2024:
	s_or_b64 exec, exec, s[6:7]
	s_nop 0
	v_mfma_f32_16x16x4f32 a[0:3], v0, v1, a[0:3]
	v_lshrrev_b32_e32 v1, 8, v7
	s_movk_i32 s4, 0x7f
	v_cmp_gt_i16_sdwa s[6:7], v1, s4 src0_sel:BYTE_0 src1_sel:DWORD
	s_mov_b64 s[4:5], 0
                                        ; implicit-def: $sgpr10
	s_and_saveexec_b64 s[8:9], s[6:7]
	s_xor_b64 s[6:7], exec, s[8:9]
	s_cbranch_execnz .LBB23_4073
; %bb.2025:
	s_or_saveexec_b64 s[6:7], s[6:7]
	v_mov_b32_e32 v0, s10
	s_xor_b64 exec, exec, s[6:7]
	s_cbranch_execnz .LBB23_4076
.LBB23_2026:
	s_or_b64 exec, exec, s[6:7]
	s_and_saveexec_b64 s[6:7], s[4:5]
	s_cbranch_execz .LBB23_2028
.LBB23_2027:
	v_bfe_u32 v0, v7, 8, 3
	v_ffbh_u32_e32 v4, v0
	v_min_u32_e32 v4, 32, v4
	v_lshrrev_b16_e32 v2, 3, v1
	v_subrev_u32_e32 v5, 28, v4
	v_and_b32_e32 v2, 15, v2
	v_lshlrev_b32_e32 v1, v5, v1
	v_sub_u32_e32 v4, 29, v4
	v_and_b32_e32 v1, 7, v1
	v_cmp_eq_u16_e32 vcc, 0, v2
	v_cndmask_b32_e32 v0, v0, v1, vcc
	v_cndmask_b32_e32 v1, v2, v4, vcc
	v_lshlrev_b32_e32 v2, 16, v7
	v_mov_b32_e32 v4, 0x3b800000
	v_lshlrev_b32_e32 v0, 20, v0
	v_and_b32_e32 v2, 0x80000000, v2
	v_lshl_add_u32 v1, v1, 23, v4
	v_or3_b32 v0, v2, v1, v0
.LBB23_2028:
	s_or_b64 exec, exec, s[6:7]
	v_lshrrev_b32_e32 v1, 8, v3
	s_movk_i32 s4, 0x7f
	v_cmp_gt_i16_sdwa s[6:7], v1, s4 src0_sel:BYTE_0 src1_sel:DWORD
	s_mov_b64 s[4:5], 0
                                        ; implicit-def: $sgpr10
	s_and_saveexec_b64 s[8:9], s[6:7]
	s_xor_b64 s[6:7], exec, s[8:9]
	s_cbranch_execnz .LBB23_4077
; %bb.2029:
	s_or_saveexec_b64 s[6:7], s[6:7]
	v_mov_b32_e32 v2, s10
	s_xor_b64 exec, exec, s[6:7]
	s_cbranch_execnz .LBB23_4080
.LBB23_2030:
	s_or_b64 exec, exec, s[6:7]
	s_and_saveexec_b64 s[6:7], s[4:5]
	s_cbranch_execz .LBB23_2032
.LBB23_2031:
	v_bfe_u32 v2, v3, 8, 3
	v_ffbh_u32_e32 v5, v2
	v_min_u32_e32 v5, 32, v5
	v_lshrrev_b16_e32 v4, 3, v1
	v_subrev_u32_e32 v6, 28, v5
	v_and_b32_e32 v4, 15, v4
	v_lshlrev_b32_e32 v1, v6, v1
	v_sub_u32_e32 v5, 29, v5
	v_and_b32_e32 v1, 7, v1
	v_cmp_eq_u16_e32 vcc, 0, v4
	v_cndmask_b32_e32 v1, v2, v1, vcc
	v_cndmask_b32_e32 v2, v4, v5, vcc
	v_lshlrev_b32_e32 v4, 16, v3
	v_mov_b32_e32 v5, 0x3b800000
	v_lshlrev_b32_e32 v1, 20, v1
	v_and_b32_e32 v4, 0x80000000, v4
	v_lshl_add_u32 v2, v2, 23, v5
	v_or3_b32 v2, v4, v2, v1
.LBB23_2032:
	s_or_b64 exec, exec, s[6:7]
	s_nop 0
	v_mfma_f32_16x16x4f32 a[0:3], v0, v2, a[0:3]
	s_movk_i32 s4, 0xff
	v_and_b32_sdwa v1, v7, s4 dst_sel:DWORD dst_unused:UNUSED_PAD src0_sel:WORD_1 src1_sel:DWORD
	s_movk_i32 s4, 0x7f
	v_cmp_lt_i16_e32 vcc, s4, v1
	s_mov_b64 s[4:5], 0
                                        ; implicit-def: $sgpr10
	s_and_saveexec_b64 s[6:7], vcc
	s_xor_b64 s[6:7], exec, s[6:7]
	s_cbranch_execnz .LBB23_4081
; %bb.2033:
	s_or_saveexec_b64 s[6:7], s[6:7]
	v_mov_b32_e32 v0, s10
	s_xor_b64 exec, exec, s[6:7]
	s_cbranch_execnz .LBB23_4084
.LBB23_2034:
	s_or_b64 exec, exec, s[6:7]
	s_and_saveexec_b64 s[6:7], s[4:5]
	s_cbranch_execz .LBB23_2036
.LBB23_2035:
	v_bfe_u32 v0, v7, 16, 3
	v_ffbh_u32_e32 v4, v0
	v_min_u32_e32 v4, 32, v4
	v_lshrrev_b32_e32 v1, 19, v7
	v_subrev_u32_e32 v5, 28, v4
	v_and_b32_e32 v1, 15, v1
	v_lshlrev_b32_sdwa v5, v5, v7 dst_sel:DWORD dst_unused:UNUSED_PAD src0_sel:DWORD src1_sel:WORD_1
	v_bfe_u32 v2, v7, 19, 4
	v_sub_u32_e32 v4, 29, v4
	v_and_b32_e32 v5, 7, v5
	v_cmp_eq_u16_e32 vcc, 0, v1
	v_cndmask_b32_e32 v0, v0, v5, vcc
	v_cndmask_b32_e32 v1, v2, v4, vcc
	v_lshlrev_b32_e32 v2, 8, v7
	v_mov_b32_e32 v4, 0x3b800000
	v_lshlrev_b32_e32 v0, 20, v0
	v_and_b32_e32 v2, 0x80000000, v2
	v_lshl_add_u32 v1, v1, 23, v4
	v_or3_b32 v0, v2, v1, v0
.LBB23_2036:
	s_or_b64 exec, exec, s[6:7]
	s_movk_i32 s4, 0xff
	v_and_b32_sdwa v1, v3, s4 dst_sel:DWORD dst_unused:UNUSED_PAD src0_sel:WORD_1 src1_sel:DWORD
	s_movk_i32 s4, 0x7f
	v_cmp_lt_i16_e32 vcc, s4, v1
	s_mov_b64 s[4:5], 0
                                        ; implicit-def: $sgpr10
	s_and_saveexec_b64 s[6:7], vcc
	s_xor_b64 s[6:7], exec, s[6:7]
	s_cbranch_execnz .LBB23_4085
; %bb.2037:
	s_or_saveexec_b64 s[6:7], s[6:7]
	v_mov_b32_e32 v2, s10
	s_xor_b64 exec, exec, s[6:7]
	s_cbranch_execnz .LBB23_4088
.LBB23_2038:
	s_or_b64 exec, exec, s[6:7]
	s_and_saveexec_b64 s[6:7], s[4:5]
	s_cbranch_execz .LBB23_2040
.LBB23_2039:
	v_bfe_u32 v1, v3, 16, 3
	v_ffbh_u32_e32 v5, v1
	v_min_u32_e32 v5, 32, v5
	v_lshrrev_b32_e32 v2, 19, v3
	v_subrev_u32_e32 v6, 28, v5
	v_and_b32_e32 v2, 15, v2
	v_lshlrev_b32_sdwa v6, v6, v3 dst_sel:DWORD dst_unused:UNUSED_PAD src0_sel:DWORD src1_sel:WORD_1
	v_bfe_u32 v4, v3, 19, 4
	v_sub_u32_e32 v5, 29, v5
	v_and_b32_e32 v6, 7, v6
	v_cmp_eq_u16_e32 vcc, 0, v2
	v_cndmask_b32_e32 v1, v1, v6, vcc
	v_cndmask_b32_e32 v2, v4, v5, vcc
	v_lshlrev_b32_e32 v4, 8, v3
	v_mov_b32_e32 v5, 0x3b800000
	v_lshlrev_b32_e32 v1, 20, v1
	v_and_b32_e32 v4, 0x80000000, v4
	v_lshl_add_u32 v2, v2, 23, v5
	v_or3_b32 v2, v4, v2, v1
.LBB23_2040:
	s_or_b64 exec, exec, s[6:7]
	s_nop 0
	v_mfma_f32_16x16x4f32 a[0:3], v0, v2, a[0:3]
	s_movk_i32 s4, 0x7f
	v_cmp_gt_i16_sdwa s[6:7], v7, s4 src0_sel:BYTE_3 src1_sel:DWORD
	s_mov_b64 s[4:5], 0
                                        ; implicit-def: $sgpr10
	s_and_saveexec_b64 s[8:9], s[6:7]
	s_xor_b64 s[6:7], exec, s[8:9]
	s_cbranch_execnz .LBB23_4089
; %bb.2041:
	s_or_saveexec_b64 s[6:7], s[6:7]
	v_mov_b32_e32 v0, s10
	s_xor_b64 exec, exec, s[6:7]
	s_cbranch_execnz .LBB23_4092
.LBB23_2042:
	s_or_b64 exec, exec, s[6:7]
	s_and_saveexec_b64 s[6:7], s[4:5]
	s_cbranch_execz .LBB23_2044
.LBB23_2043:
	v_bfe_u32 v0, v7, 24, 3
	v_ffbh_u32_e32 v5, v0
	v_min_u32_e32 v5, 32, v5
	v_lshrrev_b32_e32 v2, 27, v7
	v_subrev_u32_e32 v6, 28, v5
	v_and_b32_e32 v2, 15, v2
	v_lshlrev_b32_sdwa v6, v6, v7 dst_sel:DWORD dst_unused:UNUSED_PAD src0_sel:DWORD src1_sel:BYTE_3
	v_bfe_u32 v4, v7, 27, 4
	v_sub_u32_e32 v5, 29, v5
	v_and_b32_e32 v6, 7, v6
	v_cmp_eq_u16_e32 vcc, 0, v2
	v_cndmask_b32_e32 v0, v0, v6, vcc
	v_cndmask_b32_e32 v2, v4, v5, vcc
	v_mov_b32_e32 v4, 0x3b800000
	v_and_b32_e32 v1, 0x80000000, v7
	v_lshlrev_b32_e32 v0, 20, v0
	v_lshl_add_u32 v2, v2, 23, v4
	v_or3_b32 v0, v1, v2, v0
.LBB23_2044:
	s_or_b64 exec, exec, s[6:7]
	s_movk_i32 s4, 0x7f
	v_cmp_gt_i16_sdwa s[6:7], v3, s4 src0_sel:BYTE_3 src1_sel:DWORD
	s_mov_b64 s[4:5], 0
                                        ; implicit-def: $sgpr10
	s_and_saveexec_b64 s[8:9], s[6:7]
	s_xor_b64 s[6:7], exec, s[8:9]
	s_cbranch_execnz .LBB23_4093
; %bb.2045:
	s_or_saveexec_b64 s[6:7], s[6:7]
	v_mov_b32_e32 v1, s10
	s_xor_b64 exec, exec, s[6:7]
	s_cbranch_execnz .LBB23_4096
.LBB23_2046:
	s_or_b64 exec, exec, s[6:7]
	s_and_saveexec_b64 s[6:7], s[4:5]
	s_cbranch_execz .LBB23_2048
.LBB23_2047:
	v_bfe_u32 v1, v3, 24, 3
	v_ffbh_u32_e32 v6, v1
	v_min_u32_e32 v6, 32, v6
	v_lshrrev_b32_e32 v4, 27, v3
	v_subrev_u32_e32 v7, 28, v6
	v_and_b32_e32 v2, 0x80000000, v3
	v_and_b32_e32 v4, 15, v4
	v_bfe_u32 v5, v3, 27, 4
	v_lshlrev_b32_sdwa v3, v7, v3 dst_sel:DWORD dst_unused:UNUSED_PAD src0_sel:DWORD src1_sel:BYTE_3
	v_sub_u32_e32 v6, 29, v6
	v_and_b32_e32 v3, 7, v3
	v_cmp_eq_u16_e32 vcc, 0, v4
	v_cndmask_b32_e32 v1, v1, v3, vcc
	v_cndmask_b32_e32 v3, v5, v6, vcc
	v_mov_b32_e32 v4, 0x3b800000
	v_lshlrev_b32_e32 v1, 20, v1
	v_lshl_add_u32 v3, v3, 23, v4
	v_or3_b32 v1, v2, v3, v1
.LBB23_2048:
	s_or_b64 exec, exec, s[6:7]
	s_nop 0
	v_mfma_f32_16x16x4f32 a[0:3], v0, v1, a[0:3]
	s_nop 7
	s_nop 2
	flat_store_dwordx4 v[16:17], a[0:3] offset:752
	s_waitcnt vmcnt(0) lgkmcnt(0)
	s_setpc_b64 s[30:31]
.LBB23_2049:
	s_movk_i32 s4, 0x80
	v_cmp_eq_u16_sdwa s[12:13], v14, s4 src0_sel:BYTE_0 src1_sel:DWORD
	s_mov_b64 s[4:5], -1
                                        ; implicit-def: $sgpr10
	s_and_saveexec_b64 s[8:9], s[12:13]
; %bb.2050:
	s_mov_b32 s10, 0x7f800001
	s_xor_b64 s[4:5], exec, -1
; %bb.2051:
	s_or_b64 exec, exec, s[8:9]
	s_and_b64 s[4:5], s[4:5], exec
	s_or_saveexec_b64 s[6:7], s[6:7]
	v_mov_b32_e32 v20, s10
	s_xor_b64 exec, exec, s[6:7]
	s_cbranch_execz .LBB23_2
.LBB23_2052:
	v_mov_b32_e32 v20, 0
	v_cmp_ne_u16_sdwa s[8:9], v14, v20 src0_sel:BYTE_0 src1_sel:DWORD
	s_andn2_b64 s[4:5], s[4:5], exec
	s_and_b64 s[8:9], s[8:9], exec
	s_or_b64 s[4:5], s[4:5], s[8:9]
	s_or_b64 exec, exec, s[6:7]
	s_and_saveexec_b64 s[6:7], s[4:5]
	s_cbranch_execnz .LBB23_3
	s_branch .LBB23_4
.LBB23_2053:
	s_movk_i32 s4, 0x80
	v_cmp_eq_u16_sdwa s[12:13], v10, s4 src0_sel:BYTE_0 src1_sel:DWORD
	s_mov_b64 s[4:5], -1
                                        ; implicit-def: $sgpr10
	s_and_saveexec_b64 s[8:9], s[12:13]
; %bb.2054:
	s_mov_b32 s10, 0x7f800001
	s_xor_b64 s[4:5], exec, -1
; %bb.2055:
	s_or_b64 exec, exec, s[8:9]
	s_and_b64 s[4:5], s[4:5], exec
	s_or_saveexec_b64 s[6:7], s[6:7]
	v_mov_b32_e32 v21, s10
	s_xor_b64 exec, exec, s[6:7]
	s_cbranch_execz .LBB23_6
.LBB23_2056:
	v_mov_b32_e32 v21, 0
	v_cmp_ne_u16_sdwa s[8:9], v10, v21 src0_sel:BYTE_0 src1_sel:DWORD
	s_andn2_b64 s[4:5], s[4:5], exec
	s_and_b64 s[8:9], s[8:9], exec
	s_or_b64 s[4:5], s[4:5], s[8:9]
	s_or_b64 exec, exec, s[6:7]
	s_and_saveexec_b64 s[6:7], s[4:5]
	s_cbranch_execnz .LBB23_7
	s_branch .LBB23_8
.LBB23_2057:
	s_movk_i32 s4, 0x80
	v_cmp_eq_u16_sdwa s[12:13], v21, s4 src0_sel:BYTE_0 src1_sel:DWORD
	s_mov_b64 s[4:5], -1
                                        ; implicit-def: $sgpr10
	s_and_saveexec_b64 s[8:9], s[12:13]
; %bb.2058:
	s_mov_b32 s10, 0x7f800001
	s_xor_b64 s[4:5], exec, -1
; %bb.2059:
	s_or_b64 exec, exec, s[8:9]
	s_and_b64 s[4:5], s[4:5], exec
	s_or_saveexec_b64 s[6:7], s[6:7]
	v_mov_b32_e32 v20, s10
	s_xor_b64 exec, exec, s[6:7]
	s_cbranch_execz .LBB23_10
.LBB23_2060:
	v_mov_b32_e32 v20, 0
	v_cmp_ne_u16_sdwa s[8:9], v21, v20 src0_sel:BYTE_0 src1_sel:DWORD
	s_andn2_b64 s[4:5], s[4:5], exec
	s_and_b64 s[8:9], s[8:9], exec
	s_or_b64 s[4:5], s[4:5], s[8:9]
	s_or_b64 exec, exec, s[6:7]
	s_and_saveexec_b64 s[6:7], s[4:5]
	s_cbranch_execnz .LBB23_11
	s_branch .LBB23_12
.LBB23_2061:
	s_movk_i32 s4, 0x80
	v_cmp_eq_u16_sdwa s[12:13], v21, s4 src0_sel:BYTE_0 src1_sel:DWORD
	s_mov_b64 s[4:5], -1
                                        ; implicit-def: $sgpr10
	s_and_saveexec_b64 s[8:9], s[12:13]
; %bb.2062:
	s_mov_b32 s10, 0x7f800001
	s_xor_b64 s[4:5], exec, -1
; %bb.2063:
	s_or_b64 exec, exec, s[8:9]
	s_and_b64 s[4:5], s[4:5], exec
	s_or_saveexec_b64 s[6:7], s[6:7]
	v_mov_b32_e32 v22, s10
	s_xor_b64 exec, exec, s[6:7]
	s_cbranch_execz .LBB23_14
.LBB23_2064:
	v_mov_b32_e32 v22, 0
	v_cmp_ne_u16_sdwa s[8:9], v21, v22 src0_sel:BYTE_0 src1_sel:DWORD
	s_andn2_b64 s[4:5], s[4:5], exec
	s_and_b64 s[8:9], s[8:9], exec
	s_or_b64 s[4:5], s[4:5], s[8:9]
	s_or_b64 exec, exec, s[6:7]
	s_and_saveexec_b64 s[6:7], s[4:5]
	s_cbranch_execnz .LBB23_15
	s_branch .LBB23_16
.LBB23_2065:
	s_movk_i32 s4, 0x80
	v_cmp_eq_u16_e32 vcc, s4, v21
	s_mov_b64 s[4:5], -1
                                        ; implicit-def: $sgpr10
	s_and_saveexec_b64 s[8:9], vcc
; %bb.2066:
	s_mov_b32 s10, 0x7f800001
	s_xor_b64 s[4:5], exec, -1
; %bb.2067:
	s_or_b64 exec, exec, s[8:9]
	s_and_b64 s[4:5], s[4:5], exec
                                        ; implicit-def: $vgpr21
	s_or_saveexec_b64 s[6:7], s[6:7]
	v_mov_b32_e32 v20, s10
	s_xor_b64 exec, exec, s[6:7]
	s_cbranch_execz .LBB23_18
.LBB23_2068:
	v_cmp_ne_u16_e32 vcc, 0, v21
	s_andn2_b64 s[4:5], s[4:5], exec
	s_and_b64 s[8:9], vcc, exec
	v_mov_b32_e32 v20, 0
	s_or_b64 s[4:5], s[4:5], s[8:9]
	s_or_b64 exec, exec, s[6:7]
	s_and_saveexec_b64 s[6:7], s[4:5]
	s_cbranch_execnz .LBB23_19
	s_branch .LBB23_20
.LBB23_2069:
	s_movk_i32 s4, 0x80
	v_cmp_eq_u16_e32 vcc, s4, v21
	s_mov_b64 s[4:5], -1
                                        ; implicit-def: $sgpr10
	s_and_saveexec_b64 s[8:9], vcc
; %bb.2070:
	s_mov_b32 s10, 0x7f800001
	s_xor_b64 s[4:5], exec, -1
; %bb.2071:
	s_or_b64 exec, exec, s[8:9]
	s_and_b64 s[4:5], s[4:5], exec
                                        ; implicit-def: $vgpr21
	s_or_saveexec_b64 s[6:7], s[6:7]
	v_mov_b32_e32 v22, s10
	s_xor_b64 exec, exec, s[6:7]
	s_cbranch_execz .LBB23_22
.LBB23_2072:
	v_cmp_ne_u16_e32 vcc, 0, v21
	s_andn2_b64 s[4:5], s[4:5], exec
	s_and_b64 s[8:9], vcc, exec
	v_mov_b32_e32 v22, 0
	s_or_b64 s[4:5], s[4:5], s[8:9]
	s_or_b64 exec, exec, s[6:7]
	s_and_saveexec_b64 s[6:7], s[4:5]
	s_cbranch_execnz .LBB23_23
	s_branch .LBB23_24
.LBB23_2073:
	s_movk_i32 s4, 0x80
	v_cmp_eq_u16_sdwa s[12:13], v14, s4 src0_sel:BYTE_3 src1_sel:DWORD
	s_mov_b64 s[4:5], -1
                                        ; implicit-def: $sgpr10
	s_and_saveexec_b64 s[8:9], s[12:13]
; %bb.2074:
	s_mov_b32 s10, 0x7f800001
	s_xor_b64 s[4:5], exec, -1
; %bb.2075:
	s_or_b64 exec, exec, s[8:9]
	s_and_b64 s[4:5], s[4:5], exec
	s_or_saveexec_b64 s[6:7], s[6:7]
	v_mov_b32_e32 v20, s10
	s_xor_b64 exec, exec, s[6:7]
	s_cbranch_execz .LBB23_26
.LBB23_2076:
	v_mov_b32_e32 v20, 0
	v_cmp_ne_u16_sdwa s[8:9], v14, v20 src0_sel:BYTE_3 src1_sel:DWORD
	s_andn2_b64 s[4:5], s[4:5], exec
	s_and_b64 s[8:9], s[8:9], exec
	s_or_b64 s[4:5], s[4:5], s[8:9]
	s_or_b64 exec, exec, s[6:7]
	s_and_saveexec_b64 s[6:7], s[4:5]
	s_cbranch_execnz .LBB23_27
	s_branch .LBB23_28
.LBB23_2077:
	s_movk_i32 s4, 0x80
	v_cmp_eq_u16_sdwa s[12:13], v10, s4 src0_sel:BYTE_3 src1_sel:DWORD
	s_mov_b64 s[4:5], -1
                                        ; implicit-def: $sgpr10
	s_and_saveexec_b64 s[8:9], s[12:13]
; %bb.2078:
	s_mov_b32 s10, 0x7f800001
	s_xor_b64 s[4:5], exec, -1
; %bb.2079:
	s_or_b64 exec, exec, s[8:9]
	s_and_b64 s[4:5], s[4:5], exec
	s_or_saveexec_b64 s[6:7], s[6:7]
	v_mov_b32_e32 v14, s10
	s_xor_b64 exec, exec, s[6:7]
	s_cbranch_execz .LBB23_30
.LBB23_2080:
	v_mov_b32_e32 v14, 0
	v_cmp_ne_u16_sdwa s[8:9], v10, v14 src0_sel:BYTE_3 src1_sel:DWORD
	s_andn2_b64 s[4:5], s[4:5], exec
	s_and_b64 s[8:9], s[8:9], exec
	s_or_b64 s[4:5], s[4:5], s[8:9]
	s_or_b64 exec, exec, s[6:7]
	s_and_saveexec_b64 s[6:7], s[4:5]
	s_cbranch_execnz .LBB23_31
	s_branch .LBB23_32
.LBB23_2081:
	s_movk_i32 s4, 0x80
	v_cmp_eq_u16_sdwa s[12:13], v15, s4 src0_sel:BYTE_0 src1_sel:DWORD
	s_mov_b64 s[4:5], -1
                                        ; implicit-def: $sgpr10
	s_and_saveexec_b64 s[8:9], s[12:13]
; %bb.2082:
	s_mov_b32 s10, 0x7f800001
	s_xor_b64 s[4:5], exec, -1
; %bb.2083:
	s_or_b64 exec, exec, s[8:9]
	s_and_b64 s[4:5], s[4:5], exec
	s_or_saveexec_b64 s[6:7], s[6:7]
	v_mov_b32_e32 v10, s10
	s_xor_b64 exec, exec, s[6:7]
	s_cbranch_execz .LBB23_34
.LBB23_2084:
	v_mov_b32_e32 v10, 0
	v_cmp_ne_u16_sdwa s[8:9], v15, v10 src0_sel:BYTE_0 src1_sel:DWORD
	s_andn2_b64 s[4:5], s[4:5], exec
	s_and_b64 s[8:9], s[8:9], exec
	s_or_b64 s[4:5], s[4:5], s[8:9]
	s_or_b64 exec, exec, s[6:7]
	s_and_saveexec_b64 s[6:7], s[4:5]
	s_cbranch_execnz .LBB23_35
	s_branch .LBB23_36
.LBB23_2085:
	s_movk_i32 s4, 0x80
	v_cmp_eq_u16_sdwa s[12:13], v11, s4 src0_sel:BYTE_0 src1_sel:DWORD
	s_mov_b64 s[4:5], -1
                                        ; implicit-def: $sgpr10
	s_and_saveexec_b64 s[8:9], s[12:13]
; %bb.2086:
	s_mov_b32 s10, 0x7f800001
	s_xor_b64 s[4:5], exec, -1
; %bb.2087:
	s_or_b64 exec, exec, s[8:9]
	s_and_b64 s[4:5], s[4:5], exec
	s_or_saveexec_b64 s[6:7], s[6:7]
	v_mov_b32_e32 v14, s10
	s_xor_b64 exec, exec, s[6:7]
	s_cbranch_execz .LBB23_38
.LBB23_2088:
	v_mov_b32_e32 v14, 0
	v_cmp_ne_u16_sdwa s[8:9], v11, v14 src0_sel:BYTE_0 src1_sel:DWORD
	s_andn2_b64 s[4:5], s[4:5], exec
	s_and_b64 s[8:9], s[8:9], exec
	s_or_b64 s[4:5], s[4:5], s[8:9]
	s_or_b64 exec, exec, s[6:7]
	s_and_saveexec_b64 s[6:7], s[4:5]
	s_cbranch_execnz .LBB23_39
	s_branch .LBB23_40
.LBB23_2089:
	s_movk_i32 s4, 0x80
	v_cmp_eq_u16_sdwa s[12:13], v14, s4 src0_sel:BYTE_0 src1_sel:DWORD
	s_mov_b64 s[4:5], -1
                                        ; implicit-def: $sgpr10
	s_and_saveexec_b64 s[8:9], s[12:13]
; %bb.2090:
	s_mov_b32 s10, 0x7f800001
	s_xor_b64 s[4:5], exec, -1
; %bb.2091:
	s_or_b64 exec, exec, s[8:9]
	s_and_b64 s[4:5], s[4:5], exec
	s_or_saveexec_b64 s[6:7], s[6:7]
	v_mov_b32_e32 v10, s10
	s_xor_b64 exec, exec, s[6:7]
	s_cbranch_execz .LBB23_42
.LBB23_2092:
	v_mov_b32_e32 v10, 0
	v_cmp_ne_u16_sdwa s[8:9], v14, v10 src0_sel:BYTE_0 src1_sel:DWORD
	s_andn2_b64 s[4:5], s[4:5], exec
	s_and_b64 s[8:9], s[8:9], exec
	s_or_b64 s[4:5], s[4:5], s[8:9]
	s_or_b64 exec, exec, s[6:7]
	s_and_saveexec_b64 s[6:7], s[4:5]
	s_cbranch_execnz .LBB23_43
	s_branch .LBB23_44
.LBB23_2093:
	s_movk_i32 s4, 0x80
	v_cmp_eq_u16_sdwa s[12:13], v14, s4 src0_sel:BYTE_0 src1_sel:DWORD
	s_mov_b64 s[4:5], -1
                                        ; implicit-def: $sgpr10
	s_and_saveexec_b64 s[8:9], s[12:13]
; %bb.2094:
	s_mov_b32 s10, 0x7f800001
	s_xor_b64 s[4:5], exec, -1
; %bb.2095:
	s_or_b64 exec, exec, s[8:9]
	s_and_b64 s[4:5], s[4:5], exec
	s_or_saveexec_b64 s[6:7], s[6:7]
	v_mov_b32_e32 v20, s10
	s_xor_b64 exec, exec, s[6:7]
	s_cbranch_execz .LBB23_46
.LBB23_2096:
	v_mov_b32_e32 v20, 0
	v_cmp_ne_u16_sdwa s[8:9], v14, v20 src0_sel:BYTE_0 src1_sel:DWORD
	s_andn2_b64 s[4:5], s[4:5], exec
	s_and_b64 s[8:9], s[8:9], exec
	s_or_b64 s[4:5], s[4:5], s[8:9]
	s_or_b64 exec, exec, s[6:7]
	s_and_saveexec_b64 s[6:7], s[4:5]
	s_cbranch_execnz .LBB23_47
	s_branch .LBB23_48
.LBB23_2097:
	s_movk_i32 s4, 0x80
	v_cmp_eq_u16_e32 vcc, s4, v14
	s_mov_b64 s[4:5], -1
                                        ; implicit-def: $sgpr10
	s_and_saveexec_b64 s[8:9], vcc
; %bb.2098:
	s_mov_b32 s10, 0x7f800001
	s_xor_b64 s[4:5], exec, -1
; %bb.2099:
	s_or_b64 exec, exec, s[8:9]
	s_and_b64 s[4:5], s[4:5], exec
                                        ; implicit-def: $vgpr14
	s_or_saveexec_b64 s[6:7], s[6:7]
	v_mov_b32_e32 v10, s10
	s_xor_b64 exec, exec, s[6:7]
	s_cbranch_execz .LBB23_50
.LBB23_2100:
	v_cmp_ne_u16_e32 vcc, 0, v14
	s_andn2_b64 s[4:5], s[4:5], exec
	s_and_b64 s[8:9], vcc, exec
	v_mov_b32_e32 v10, 0
	s_or_b64 s[4:5], s[4:5], s[8:9]
	s_or_b64 exec, exec, s[6:7]
	s_and_saveexec_b64 s[6:7], s[4:5]
	s_cbranch_execnz .LBB23_51
	s_branch .LBB23_52
.LBB23_2101:
	s_movk_i32 s4, 0x80
	v_cmp_eq_u16_e32 vcc, s4, v14
	s_mov_b64 s[4:5], -1
                                        ; implicit-def: $sgpr10
	s_and_saveexec_b64 s[8:9], vcc
; %bb.2102:
	s_mov_b32 s10, 0x7f800001
	s_xor_b64 s[4:5], exec, -1
; %bb.2103:
	s_or_b64 exec, exec, s[8:9]
	s_and_b64 s[4:5], s[4:5], exec
                                        ; implicit-def: $vgpr14
	s_or_saveexec_b64 s[6:7], s[6:7]
	v_mov_b32_e32 v20, s10
	s_xor_b64 exec, exec, s[6:7]
	s_cbranch_execz .LBB23_54
.LBB23_2104:
	v_cmp_ne_u16_e32 vcc, 0, v14
	s_andn2_b64 s[4:5], s[4:5], exec
	s_and_b64 s[8:9], vcc, exec
	v_mov_b32_e32 v20, 0
	s_or_b64 s[4:5], s[4:5], s[8:9]
	s_or_b64 exec, exec, s[6:7]
	s_and_saveexec_b64 s[6:7], s[4:5]
	s_cbranch_execnz .LBB23_55
	s_branch .LBB23_56
.LBB23_2105:
	s_movk_i32 s4, 0x80
	v_cmp_eq_u16_sdwa s[12:13], v15, s4 src0_sel:BYTE_3 src1_sel:DWORD
	s_mov_b64 s[4:5], -1
                                        ; implicit-def: $sgpr10
	s_and_saveexec_b64 s[8:9], s[12:13]
; %bb.2106:
	s_mov_b32 s10, 0x7f800001
	s_xor_b64 s[4:5], exec, -1
; %bb.2107:
	s_or_b64 exec, exec, s[8:9]
	s_and_b64 s[4:5], s[4:5], exec
	s_or_saveexec_b64 s[6:7], s[6:7]
	v_mov_b32_e32 v10, s10
	s_xor_b64 exec, exec, s[6:7]
	s_cbranch_execz .LBB23_58
.LBB23_2108:
	v_mov_b32_e32 v10, 0
	v_cmp_ne_u16_sdwa s[8:9], v15, v10 src0_sel:BYTE_3 src1_sel:DWORD
	s_andn2_b64 s[4:5], s[4:5], exec
	s_and_b64 s[8:9], s[8:9], exec
	s_or_b64 s[4:5], s[4:5], s[8:9]
	s_or_b64 exec, exec, s[6:7]
	s_and_saveexec_b64 s[6:7], s[4:5]
	s_cbranch_execnz .LBB23_59
	s_branch .LBB23_60
.LBB23_2109:
	s_movk_i32 s4, 0x80
	v_cmp_eq_u16_sdwa s[12:13], v11, s4 src0_sel:BYTE_3 src1_sel:DWORD
	s_mov_b64 s[4:5], -1
                                        ; implicit-def: $sgpr10
	s_and_saveexec_b64 s[8:9], s[12:13]
; %bb.2110:
	s_mov_b32 s10, 0x7f800001
	s_xor_b64 s[4:5], exec, -1
; %bb.2111:
	s_or_b64 exec, exec, s[8:9]
	s_and_b64 s[4:5], s[4:5], exec
	s_or_saveexec_b64 s[6:7], s[6:7]
	v_mov_b32_e32 v14, s10
	s_xor_b64 exec, exec, s[6:7]
	s_cbranch_execz .LBB23_62
.LBB23_2112:
	v_mov_b32_e32 v14, 0
	v_cmp_ne_u16_sdwa s[8:9], v11, v14 src0_sel:BYTE_3 src1_sel:DWORD
	s_andn2_b64 s[4:5], s[4:5], exec
	s_and_b64 s[8:9], s[8:9], exec
	s_or_b64 s[4:5], s[4:5], s[8:9]
	s_or_b64 exec, exec, s[6:7]
	s_and_saveexec_b64 s[6:7], s[4:5]
	s_cbranch_execnz .LBB23_63
	s_branch .LBB23_64
.LBB23_2113:
	s_movk_i32 s4, 0x80
	v_cmp_eq_u16_sdwa s[12:13], v16, s4 src0_sel:BYTE_0 src1_sel:DWORD
	s_mov_b64 s[4:5], -1
                                        ; implicit-def: $sgpr10
	s_and_saveexec_b64 s[8:9], s[12:13]
; %bb.2114:
	s_mov_b32 s10, 0x7f800001
	s_xor_b64 s[4:5], exec, -1
; %bb.2115:
	s_or_b64 exec, exec, s[8:9]
	s_and_b64 s[4:5], s[4:5], exec
	s_or_saveexec_b64 s[6:7], s[6:7]
	v_mov_b32_e32 v10, s10
	s_xor_b64 exec, exec, s[6:7]
	s_cbranch_execz .LBB23_66
.LBB23_2116:
	v_mov_b32_e32 v10, 0
	v_cmp_ne_u16_sdwa s[8:9], v16, v10 src0_sel:BYTE_0 src1_sel:DWORD
	s_andn2_b64 s[4:5], s[4:5], exec
	s_and_b64 s[8:9], s[8:9], exec
	s_or_b64 s[4:5], s[4:5], s[8:9]
	s_or_b64 exec, exec, s[6:7]
	s_and_saveexec_b64 s[6:7], s[4:5]
	s_cbranch_execnz .LBB23_67
	s_branch .LBB23_68
.LBB23_2117:
	s_movk_i32 s4, 0x80
	v_cmp_eq_u16_sdwa s[12:13], v12, s4 src0_sel:BYTE_0 src1_sel:DWORD
	s_mov_b64 s[4:5], -1
                                        ; implicit-def: $sgpr10
	s_and_saveexec_b64 s[8:9], s[12:13]
; %bb.2118:
	s_mov_b32 s10, 0x7f800001
	s_xor_b64 s[4:5], exec, -1
; %bb.2119:
	s_or_b64 exec, exec, s[8:9]
	s_and_b64 s[4:5], s[4:5], exec
	s_or_saveexec_b64 s[6:7], s[6:7]
	v_mov_b32_e32 v11, s10
	s_xor_b64 exec, exec, s[6:7]
	s_cbranch_execz .LBB23_70
.LBB23_2120:
	v_mov_b32_e32 v11, 0
	v_cmp_ne_u16_sdwa s[8:9], v12, v11 src0_sel:BYTE_0 src1_sel:DWORD
	s_andn2_b64 s[4:5], s[4:5], exec
	s_and_b64 s[8:9], s[8:9], exec
	s_or_b64 s[4:5], s[4:5], s[8:9]
	s_or_b64 exec, exec, s[6:7]
	s_and_saveexec_b64 s[6:7], s[4:5]
	s_cbranch_execnz .LBB23_71
	s_branch .LBB23_72
.LBB23_2121:
	s_movk_i32 s4, 0x80
	v_cmp_eq_u16_sdwa s[12:13], v11, s4 src0_sel:BYTE_0 src1_sel:DWORD
	s_mov_b64 s[4:5], -1
                                        ; implicit-def: $sgpr10
	s_and_saveexec_b64 s[8:9], s[12:13]
; %bb.2122:
	s_mov_b32 s10, 0x7f800001
	s_xor_b64 s[4:5], exec, -1
; %bb.2123:
	s_or_b64 exec, exec, s[8:9]
	s_and_b64 s[4:5], s[4:5], exec
	s_or_saveexec_b64 s[6:7], s[6:7]
	v_mov_b32_e32 v10, s10
	s_xor_b64 exec, exec, s[6:7]
	s_cbranch_execz .LBB23_74
.LBB23_2124:
	v_mov_b32_e32 v10, 0
	v_cmp_ne_u16_sdwa s[8:9], v11, v10 src0_sel:BYTE_0 src1_sel:DWORD
	s_andn2_b64 s[4:5], s[4:5], exec
	s_and_b64 s[8:9], s[8:9], exec
	s_or_b64 s[4:5], s[4:5], s[8:9]
	s_or_b64 exec, exec, s[6:7]
	s_and_saveexec_b64 s[6:7], s[4:5]
	s_cbranch_execnz .LBB23_75
	s_branch .LBB23_76
.LBB23_2125:
	s_movk_i32 s4, 0x80
	v_cmp_eq_u16_sdwa s[12:13], v11, s4 src0_sel:BYTE_0 src1_sel:DWORD
	s_mov_b64 s[4:5], -1
                                        ; implicit-def: $sgpr10
	s_and_saveexec_b64 s[8:9], s[12:13]
; %bb.2126:
	s_mov_b32 s10, 0x7f800001
	s_xor_b64 s[4:5], exec, -1
; %bb.2127:
	s_or_b64 exec, exec, s[8:9]
	s_and_b64 s[4:5], s[4:5], exec
	s_or_saveexec_b64 s[6:7], s[6:7]
	v_mov_b32_e32 v14, s10
	s_xor_b64 exec, exec, s[6:7]
	s_cbranch_execz .LBB23_78
.LBB23_2128:
	v_mov_b32_e32 v14, 0
	v_cmp_ne_u16_sdwa s[8:9], v11, v14 src0_sel:BYTE_0 src1_sel:DWORD
	s_andn2_b64 s[4:5], s[4:5], exec
	s_and_b64 s[8:9], s[8:9], exec
	s_or_b64 s[4:5], s[4:5], s[8:9]
	s_or_b64 exec, exec, s[6:7]
	s_and_saveexec_b64 s[6:7], s[4:5]
	s_cbranch_execnz .LBB23_79
	s_branch .LBB23_80
.LBB23_2129:
	s_movk_i32 s4, 0x80
	v_cmp_eq_u16_e32 vcc, s4, v11
	s_mov_b64 s[4:5], -1
                                        ; implicit-def: $sgpr10
	s_and_saveexec_b64 s[8:9], vcc
; %bb.2130:
	s_mov_b32 s10, 0x7f800001
	s_xor_b64 s[4:5], exec, -1
; %bb.2131:
	s_or_b64 exec, exec, s[8:9]
	s_and_b64 s[4:5], s[4:5], exec
                                        ; implicit-def: $vgpr11
	s_or_saveexec_b64 s[6:7], s[6:7]
	v_mov_b32_e32 v10, s10
	s_xor_b64 exec, exec, s[6:7]
	s_cbranch_execz .LBB23_82
.LBB23_2132:
	v_cmp_ne_u16_e32 vcc, 0, v11
	s_andn2_b64 s[4:5], s[4:5], exec
	s_and_b64 s[8:9], vcc, exec
	v_mov_b32_e32 v10, 0
	s_or_b64 s[4:5], s[4:5], s[8:9]
	s_or_b64 exec, exec, s[6:7]
	s_and_saveexec_b64 s[6:7], s[4:5]
	s_cbranch_execnz .LBB23_83
	s_branch .LBB23_84
.LBB23_2133:
	s_movk_i32 s4, 0x80
	v_cmp_eq_u16_e32 vcc, s4, v11
	s_mov_b64 s[4:5], -1
                                        ; implicit-def: $sgpr10
	s_and_saveexec_b64 s[8:9], vcc
; %bb.2134:
	s_mov_b32 s10, 0x7f800001
	s_xor_b64 s[4:5], exec, -1
; %bb.2135:
	s_or_b64 exec, exec, s[8:9]
	s_and_b64 s[4:5], s[4:5], exec
                                        ; implicit-def: $vgpr11
	s_or_saveexec_b64 s[6:7], s[6:7]
	v_mov_b32_e32 v14, s10
	s_xor_b64 exec, exec, s[6:7]
	s_cbranch_execz .LBB23_86
.LBB23_2136:
	v_cmp_ne_u16_e32 vcc, 0, v11
	s_andn2_b64 s[4:5], s[4:5], exec
	s_and_b64 s[8:9], vcc, exec
	v_mov_b32_e32 v14, 0
	s_or_b64 s[4:5], s[4:5], s[8:9]
	s_or_b64 exec, exec, s[6:7]
	s_and_saveexec_b64 s[6:7], s[4:5]
	s_cbranch_execnz .LBB23_87
	s_branch .LBB23_88
.LBB23_2137:
	s_movk_i32 s4, 0x80
	v_cmp_eq_u16_sdwa s[12:13], v16, s4 src0_sel:BYTE_3 src1_sel:DWORD
	s_mov_b64 s[4:5], -1
                                        ; implicit-def: $sgpr10
	s_and_saveexec_b64 s[8:9], s[12:13]
; %bb.2138:
	s_mov_b32 s10, 0x7f800001
	s_xor_b64 s[4:5], exec, -1
; %bb.2139:
	s_or_b64 exec, exec, s[8:9]
	s_and_b64 s[4:5], s[4:5], exec
	s_or_saveexec_b64 s[6:7], s[6:7]
	v_mov_b32_e32 v10, s10
	s_xor_b64 exec, exec, s[6:7]
	s_cbranch_execz .LBB23_90
.LBB23_2140:
	v_mov_b32_e32 v10, 0
	v_cmp_ne_u16_sdwa s[8:9], v16, v10 src0_sel:BYTE_3 src1_sel:DWORD
	s_andn2_b64 s[4:5], s[4:5], exec
	s_and_b64 s[8:9], s[8:9], exec
	s_or_b64 s[4:5], s[4:5], s[8:9]
	s_or_b64 exec, exec, s[6:7]
	s_and_saveexec_b64 s[6:7], s[4:5]
	s_cbranch_execnz .LBB23_91
	s_branch .LBB23_92
.LBB23_2141:
	s_movk_i32 s4, 0x80
	v_cmp_eq_u16_sdwa s[12:13], v12, s4 src0_sel:BYTE_3 src1_sel:DWORD
	s_mov_b64 s[4:5], -1
                                        ; implicit-def: $sgpr10
	s_and_saveexec_b64 s[8:9], s[12:13]
; %bb.2142:
	s_mov_b32 s10, 0x7f800001
	s_xor_b64 s[4:5], exec, -1
; %bb.2143:
	s_or_b64 exec, exec, s[8:9]
	s_and_b64 s[4:5], s[4:5], exec
	s_or_saveexec_b64 s[6:7], s[6:7]
	v_mov_b32_e32 v11, s10
	s_xor_b64 exec, exec, s[6:7]
	s_cbranch_execz .LBB23_94
.LBB23_2144:
	v_mov_b32_e32 v11, 0
	v_cmp_ne_u16_sdwa s[8:9], v12, v11 src0_sel:BYTE_3 src1_sel:DWORD
	s_andn2_b64 s[4:5], s[4:5], exec
	s_and_b64 s[8:9], s[8:9], exec
	s_or_b64 s[4:5], s[4:5], s[8:9]
	s_or_b64 exec, exec, s[6:7]
	s_and_saveexec_b64 s[6:7], s[4:5]
	s_cbranch_execnz .LBB23_95
	s_branch .LBB23_96
.LBB23_2145:
	s_movk_i32 s4, 0x80
	v_cmp_eq_u16_sdwa s[12:13], v17, s4 src0_sel:BYTE_0 src1_sel:DWORD
	s_mov_b64 s[4:5], -1
                                        ; implicit-def: $sgpr10
	s_and_saveexec_b64 s[8:9], s[12:13]
; %bb.2146:
	s_mov_b32 s10, 0x7f800001
	s_xor_b64 s[4:5], exec, -1
; %bb.2147:
	s_or_b64 exec, exec, s[8:9]
	s_and_b64 s[4:5], s[4:5], exec
	s_or_saveexec_b64 s[6:7], s[6:7]
	v_mov_b32_e32 v10, s10
	s_xor_b64 exec, exec, s[6:7]
	s_cbranch_execz .LBB23_98
.LBB23_2148:
	v_mov_b32_e32 v10, 0
	v_cmp_ne_u16_sdwa s[8:9], v17, v10 src0_sel:BYTE_0 src1_sel:DWORD
	s_andn2_b64 s[4:5], s[4:5], exec
	s_and_b64 s[8:9], s[8:9], exec
	s_or_b64 s[4:5], s[4:5], s[8:9]
	s_or_b64 exec, exec, s[6:7]
	s_and_saveexec_b64 s[6:7], s[4:5]
	s_cbranch_execnz .LBB23_99
	s_branch .LBB23_100
.LBB23_2149:
	s_movk_i32 s4, 0x80
	v_cmp_eq_u16_sdwa s[12:13], v13, s4 src0_sel:BYTE_0 src1_sel:DWORD
	s_mov_b64 s[4:5], -1
                                        ; implicit-def: $sgpr10
	s_and_saveexec_b64 s[8:9], s[12:13]
; %bb.2150:
	s_mov_b32 s10, 0x7f800001
	s_xor_b64 s[4:5], exec, -1
; %bb.2151:
	s_or_b64 exec, exec, s[8:9]
	s_and_b64 s[4:5], s[4:5], exec
	s_or_saveexec_b64 s[6:7], s[6:7]
	v_mov_b32_e32 v11, s10
	s_xor_b64 exec, exec, s[6:7]
	s_cbranch_execz .LBB23_102
.LBB23_2152:
	v_mov_b32_e32 v11, 0
	v_cmp_ne_u16_sdwa s[8:9], v13, v11 src0_sel:BYTE_0 src1_sel:DWORD
	s_andn2_b64 s[4:5], s[4:5], exec
	s_and_b64 s[8:9], s[8:9], exec
	s_or_b64 s[4:5], s[4:5], s[8:9]
	s_or_b64 exec, exec, s[6:7]
	s_and_saveexec_b64 s[6:7], s[4:5]
	s_cbranch_execnz .LBB23_103
	s_branch .LBB23_104
.LBB23_2153:
	s_movk_i32 s4, 0x80
	v_cmp_eq_u16_sdwa s[12:13], v11, s4 src0_sel:BYTE_0 src1_sel:DWORD
	s_mov_b64 s[4:5], -1
                                        ; implicit-def: $sgpr10
	s_and_saveexec_b64 s[8:9], s[12:13]
; %bb.2154:
	s_mov_b32 s10, 0x7f800001
	s_xor_b64 s[4:5], exec, -1
; %bb.2155:
	s_or_b64 exec, exec, s[8:9]
	s_and_b64 s[4:5], s[4:5], exec
	s_or_saveexec_b64 s[6:7], s[6:7]
	v_mov_b32_e32 v10, s10
	s_xor_b64 exec, exec, s[6:7]
	s_cbranch_execz .LBB23_106
.LBB23_2156:
	v_mov_b32_e32 v10, 0
	v_cmp_ne_u16_sdwa s[8:9], v11, v10 src0_sel:BYTE_0 src1_sel:DWORD
	s_andn2_b64 s[4:5], s[4:5], exec
	s_and_b64 s[8:9], s[8:9], exec
	s_or_b64 s[4:5], s[4:5], s[8:9]
	s_or_b64 exec, exec, s[6:7]
	s_and_saveexec_b64 s[6:7], s[4:5]
	s_cbranch_execnz .LBB23_107
	s_branch .LBB23_108
.LBB23_2157:
	s_movk_i32 s4, 0x80
	v_cmp_eq_u16_sdwa s[12:13], v11, s4 src0_sel:BYTE_0 src1_sel:DWORD
	s_mov_b64 s[4:5], -1
                                        ; implicit-def: $sgpr10
	s_and_saveexec_b64 s[8:9], s[12:13]
; %bb.2158:
	s_mov_b32 s10, 0x7f800001
	s_xor_b64 s[4:5], exec, -1
; %bb.2159:
	s_or_b64 exec, exec, s[8:9]
	s_and_b64 s[4:5], s[4:5], exec
	s_or_saveexec_b64 s[6:7], s[6:7]
	v_mov_b32_e32 v12, s10
	s_xor_b64 exec, exec, s[6:7]
	s_cbranch_execz .LBB23_110
.LBB23_2160:
	v_mov_b32_e32 v12, 0
	v_cmp_ne_u16_sdwa s[8:9], v11, v12 src0_sel:BYTE_0 src1_sel:DWORD
	s_andn2_b64 s[4:5], s[4:5], exec
	s_and_b64 s[8:9], s[8:9], exec
	s_or_b64 s[4:5], s[4:5], s[8:9]
	s_or_b64 exec, exec, s[6:7]
	s_and_saveexec_b64 s[6:7], s[4:5]
	s_cbranch_execnz .LBB23_111
	s_branch .LBB23_112
.LBB23_2161:
	s_movk_i32 s4, 0x80
	v_cmp_eq_u16_e32 vcc, s4, v11
	s_mov_b64 s[4:5], -1
                                        ; implicit-def: $sgpr10
	s_and_saveexec_b64 s[8:9], vcc
; %bb.2162:
	s_mov_b32 s10, 0x7f800001
	s_xor_b64 s[4:5], exec, -1
; %bb.2163:
	s_or_b64 exec, exec, s[8:9]
	s_and_b64 s[4:5], s[4:5], exec
                                        ; implicit-def: $vgpr11
	s_or_saveexec_b64 s[6:7], s[6:7]
	v_mov_b32_e32 v10, s10
	s_xor_b64 exec, exec, s[6:7]
	s_cbranch_execz .LBB23_114
.LBB23_2164:
	v_cmp_ne_u16_e32 vcc, 0, v11
	s_andn2_b64 s[4:5], s[4:5], exec
	s_and_b64 s[8:9], vcc, exec
	v_mov_b32_e32 v10, 0
	s_or_b64 s[4:5], s[4:5], s[8:9]
	s_or_b64 exec, exec, s[6:7]
	s_and_saveexec_b64 s[6:7], s[4:5]
	s_cbranch_execnz .LBB23_115
	s_branch .LBB23_116
.LBB23_2165:
	s_movk_i32 s4, 0x80
	v_cmp_eq_u16_e32 vcc, s4, v11
	s_mov_b64 s[4:5], -1
                                        ; implicit-def: $sgpr10
	s_and_saveexec_b64 s[8:9], vcc
; %bb.2166:
	s_mov_b32 s10, 0x7f800001
	s_xor_b64 s[4:5], exec, -1
; %bb.2167:
	s_or_b64 exec, exec, s[8:9]
	s_and_b64 s[4:5], s[4:5], exec
                                        ; implicit-def: $vgpr11
	s_or_saveexec_b64 s[6:7], s[6:7]
	v_mov_b32_e32 v12, s10
	s_xor_b64 exec, exec, s[6:7]
	s_cbranch_execz .LBB23_118
.LBB23_2168:
	v_cmp_ne_u16_e32 vcc, 0, v11
	s_andn2_b64 s[4:5], s[4:5], exec
	s_and_b64 s[8:9], vcc, exec
	v_mov_b32_e32 v12, 0
	s_or_b64 s[4:5], s[4:5], s[8:9]
	s_or_b64 exec, exec, s[6:7]
	s_and_saveexec_b64 s[6:7], s[4:5]
	s_cbranch_execnz .LBB23_119
	s_branch .LBB23_120
.LBB23_2169:
	s_movk_i32 s4, 0x80
	v_cmp_eq_u16_sdwa s[12:13], v17, s4 src0_sel:BYTE_3 src1_sel:DWORD
	s_mov_b64 s[4:5], -1
                                        ; implicit-def: $sgpr10
	s_and_saveexec_b64 s[8:9], s[12:13]
; %bb.2170:
	s_mov_b32 s10, 0x7f800001
	s_xor_b64 s[4:5], exec, -1
; %bb.2171:
	s_or_b64 exec, exec, s[8:9]
	s_and_b64 s[4:5], s[4:5], exec
	s_or_saveexec_b64 s[6:7], s[6:7]
	v_mov_b32_e32 v10, s10
	s_xor_b64 exec, exec, s[6:7]
	s_cbranch_execz .LBB23_122
.LBB23_2172:
	v_mov_b32_e32 v10, 0
	v_cmp_ne_u16_sdwa s[8:9], v17, v10 src0_sel:BYTE_3 src1_sel:DWORD
	s_andn2_b64 s[4:5], s[4:5], exec
	s_and_b64 s[8:9], s[8:9], exec
	s_or_b64 s[4:5], s[4:5], s[8:9]
	s_or_b64 exec, exec, s[6:7]
	s_and_saveexec_b64 s[6:7], s[4:5]
	s_cbranch_execnz .LBB23_123
	s_branch .LBB23_124
.LBB23_2173:
	s_movk_i32 s4, 0x80
	v_cmp_eq_u16_sdwa s[12:13], v13, s4 src0_sel:BYTE_3 src1_sel:DWORD
	s_mov_b64 s[4:5], -1
                                        ; implicit-def: $sgpr10
	s_and_saveexec_b64 s[8:9], s[12:13]
; %bb.2174:
	s_mov_b32 s10, 0x7f800001
	s_xor_b64 s[4:5], exec, -1
; %bb.2175:
	s_or_b64 exec, exec, s[8:9]
	s_and_b64 s[4:5], s[4:5], exec
	s_or_saveexec_b64 s[6:7], s[6:7]
	v_mov_b32_e32 v11, s10
	s_xor_b64 exec, exec, s[6:7]
	s_cbranch_execz .LBB23_126
.LBB23_2176:
	v_mov_b32_e32 v11, 0
	v_cmp_ne_u16_sdwa s[8:9], v13, v11 src0_sel:BYTE_3 src1_sel:DWORD
	s_andn2_b64 s[4:5], s[4:5], exec
	s_and_b64 s[8:9], s[8:9], exec
	s_or_b64 s[4:5], s[4:5], s[8:9]
	s_or_b64 exec, exec, s[6:7]
	s_and_saveexec_b64 s[6:7], s[4:5]
	s_cbranch_execnz .LBB23_127
	s_branch .LBB23_128
.LBB23_2177:
	s_movk_i32 s4, 0x80
	v_cmp_eq_u16_sdwa s[12:13], v6, s4 src0_sel:BYTE_0 src1_sel:DWORD
	s_mov_b64 s[4:5], -1
                                        ; implicit-def: $sgpr10
	s_and_saveexec_b64 s[8:9], s[12:13]
; %bb.2178:
	s_mov_b32 s10, 0x7f800001
	s_xor_b64 s[4:5], exec, -1
; %bb.2179:
	s_or_b64 exec, exec, s[8:9]
	s_and_b64 s[4:5], s[4:5], exec
	s_or_saveexec_b64 s[6:7], s[6:7]
	v_mov_b32_e32 v10, s10
	s_xor_b64 exec, exec, s[6:7]
	s_cbranch_execz .LBB23_130
.LBB23_2180:
	v_mov_b32_e32 v10, 0
	v_cmp_ne_u16_sdwa s[8:9], v6, v10 src0_sel:BYTE_0 src1_sel:DWORD
	s_andn2_b64 s[4:5], s[4:5], exec
	s_and_b64 s[8:9], s[8:9], exec
	s_or_b64 s[4:5], s[4:5], s[8:9]
	s_or_b64 exec, exec, s[6:7]
	s_and_saveexec_b64 s[6:7], s[4:5]
	s_cbranch_execnz .LBB23_131
	s_branch .LBB23_132
.LBB23_2181:
	s_movk_i32 s4, 0x80
	v_cmp_eq_u16_sdwa s[12:13], v2, s4 src0_sel:BYTE_0 src1_sel:DWORD
	s_mov_b64 s[4:5], -1
                                        ; implicit-def: $sgpr10
	s_and_saveexec_b64 s[8:9], s[12:13]
; %bb.2182:
	s_mov_b32 s10, 0x7f800001
	s_xor_b64 s[4:5], exec, -1
; %bb.2183:
	s_or_b64 exec, exec, s[8:9]
	s_and_b64 s[4:5], s[4:5], exec
	s_or_saveexec_b64 s[6:7], s[6:7]
	v_mov_b32_e32 v11, s10
	s_xor_b64 exec, exec, s[6:7]
	s_cbranch_execz .LBB23_134
.LBB23_2184:
	v_mov_b32_e32 v11, 0
	v_cmp_ne_u16_sdwa s[8:9], v2, v11 src0_sel:BYTE_0 src1_sel:DWORD
	s_andn2_b64 s[4:5], s[4:5], exec
	s_and_b64 s[8:9], s[8:9], exec
	s_or_b64 s[4:5], s[4:5], s[8:9]
	s_or_b64 exec, exec, s[6:7]
	s_and_saveexec_b64 s[6:7], s[4:5]
	s_cbranch_execnz .LBB23_135
	s_branch .LBB23_136
.LBB23_2185:
	s_movk_i32 s4, 0x80
	v_cmp_eq_u16_sdwa s[12:13], v11, s4 src0_sel:BYTE_0 src1_sel:DWORD
	s_mov_b64 s[4:5], -1
                                        ; implicit-def: $sgpr10
	s_and_saveexec_b64 s[8:9], s[12:13]
; %bb.2186:
	s_mov_b32 s10, 0x7f800001
	s_xor_b64 s[4:5], exec, -1
; %bb.2187:
	s_or_b64 exec, exec, s[8:9]
	s_and_b64 s[4:5], s[4:5], exec
	s_or_saveexec_b64 s[6:7], s[6:7]
	v_mov_b32_e32 v10, s10
	s_xor_b64 exec, exec, s[6:7]
	s_cbranch_execz .LBB23_138
.LBB23_2188:
	v_mov_b32_e32 v10, 0
	v_cmp_ne_u16_sdwa s[8:9], v11, v10 src0_sel:BYTE_0 src1_sel:DWORD
	s_andn2_b64 s[4:5], s[4:5], exec
	s_and_b64 s[8:9], s[8:9], exec
	s_or_b64 s[4:5], s[4:5], s[8:9]
	s_or_b64 exec, exec, s[6:7]
	s_and_saveexec_b64 s[6:7], s[4:5]
	s_cbranch_execnz .LBB23_139
	s_branch .LBB23_140
.LBB23_2189:
	s_movk_i32 s4, 0x80
	v_cmp_eq_u16_sdwa s[12:13], v11, s4 src0_sel:BYTE_0 src1_sel:DWORD
	s_mov_b64 s[4:5], -1
                                        ; implicit-def: $sgpr10
	s_and_saveexec_b64 s[8:9], s[12:13]
; %bb.2190:
	s_mov_b32 s10, 0x7f800001
	s_xor_b64 s[4:5], exec, -1
; %bb.2191:
	s_or_b64 exec, exec, s[8:9]
	s_and_b64 s[4:5], s[4:5], exec
	s_or_saveexec_b64 s[6:7], s[6:7]
	v_mov_b32_e32 v12, s10
	s_xor_b64 exec, exec, s[6:7]
	s_cbranch_execz .LBB23_142
.LBB23_2192:
	v_mov_b32_e32 v12, 0
	v_cmp_ne_u16_sdwa s[8:9], v11, v12 src0_sel:BYTE_0 src1_sel:DWORD
	s_andn2_b64 s[4:5], s[4:5], exec
	s_and_b64 s[8:9], s[8:9], exec
	s_or_b64 s[4:5], s[4:5], s[8:9]
	s_or_b64 exec, exec, s[6:7]
	s_and_saveexec_b64 s[6:7], s[4:5]
	s_cbranch_execnz .LBB23_143
	s_branch .LBB23_144
.LBB23_2193:
	s_movk_i32 s4, 0x80
	v_cmp_eq_u16_e32 vcc, s4, v11
	s_mov_b64 s[4:5], -1
                                        ; implicit-def: $sgpr10
	s_and_saveexec_b64 s[8:9], vcc
; %bb.2194:
	s_mov_b32 s10, 0x7f800001
	s_xor_b64 s[4:5], exec, -1
; %bb.2195:
	s_or_b64 exec, exec, s[8:9]
	s_and_b64 s[4:5], s[4:5], exec
                                        ; implicit-def: $vgpr11
	s_or_saveexec_b64 s[6:7], s[6:7]
	v_mov_b32_e32 v10, s10
	s_xor_b64 exec, exec, s[6:7]
	s_cbranch_execz .LBB23_146
.LBB23_2196:
	v_cmp_ne_u16_e32 vcc, 0, v11
	s_andn2_b64 s[4:5], s[4:5], exec
	s_and_b64 s[8:9], vcc, exec
	v_mov_b32_e32 v10, 0
	s_or_b64 s[4:5], s[4:5], s[8:9]
	s_or_b64 exec, exec, s[6:7]
	s_and_saveexec_b64 s[6:7], s[4:5]
	s_cbranch_execnz .LBB23_147
	s_branch .LBB23_148
.LBB23_2197:
	s_movk_i32 s4, 0x80
	v_cmp_eq_u16_e32 vcc, s4, v11
	s_mov_b64 s[4:5], -1
                                        ; implicit-def: $sgpr10
	s_and_saveexec_b64 s[8:9], vcc
; %bb.2198:
	s_mov_b32 s10, 0x7f800001
	s_xor_b64 s[4:5], exec, -1
; %bb.2199:
	s_or_b64 exec, exec, s[8:9]
	s_and_b64 s[4:5], s[4:5], exec
                                        ; implicit-def: $vgpr11
	s_or_saveexec_b64 s[6:7], s[6:7]
	v_mov_b32_e32 v12, s10
	s_xor_b64 exec, exec, s[6:7]
	s_cbranch_execz .LBB23_150
.LBB23_2200:
	v_cmp_ne_u16_e32 vcc, 0, v11
	s_andn2_b64 s[4:5], s[4:5], exec
	s_and_b64 s[8:9], vcc, exec
	v_mov_b32_e32 v12, 0
	s_or_b64 s[4:5], s[4:5], s[8:9]
	s_or_b64 exec, exec, s[6:7]
	s_and_saveexec_b64 s[6:7], s[4:5]
	s_cbranch_execnz .LBB23_151
	s_branch .LBB23_152
.LBB23_2201:
	s_movk_i32 s4, 0x80
	v_cmp_eq_u16_sdwa s[12:13], v6, s4 src0_sel:BYTE_3 src1_sel:DWORD
	s_mov_b64 s[4:5], -1
                                        ; implicit-def: $sgpr10
	s_and_saveexec_b64 s[8:9], s[12:13]
; %bb.2202:
	s_mov_b32 s10, 0x7f800001
	s_xor_b64 s[4:5], exec, -1
; %bb.2203:
	s_or_b64 exec, exec, s[8:9]
	s_and_b64 s[4:5], s[4:5], exec
	s_or_saveexec_b64 s[6:7], s[6:7]
	v_mov_b32_e32 v10, s10
	s_xor_b64 exec, exec, s[6:7]
	s_cbranch_execz .LBB23_154
.LBB23_2204:
	v_mov_b32_e32 v10, 0
	v_cmp_ne_u16_sdwa s[8:9], v6, v10 src0_sel:BYTE_3 src1_sel:DWORD
	s_andn2_b64 s[4:5], s[4:5], exec
	s_and_b64 s[8:9], s[8:9], exec
	s_or_b64 s[4:5], s[4:5], s[8:9]
	s_or_b64 exec, exec, s[6:7]
	s_and_saveexec_b64 s[6:7], s[4:5]
	s_cbranch_execnz .LBB23_155
	s_branch .LBB23_156
.LBB23_2205:
	s_movk_i32 s4, 0x80
	v_cmp_eq_u16_sdwa s[12:13], v2, s4 src0_sel:BYTE_3 src1_sel:DWORD
	s_mov_b64 s[4:5], -1
                                        ; implicit-def: $sgpr10
	s_and_saveexec_b64 s[8:9], s[12:13]
; %bb.2206:
	s_mov_b32 s10, 0x7f800001
	s_xor_b64 s[4:5], exec, -1
; %bb.2207:
	s_or_b64 exec, exec, s[8:9]
	s_and_b64 s[4:5], s[4:5], exec
	s_or_saveexec_b64 s[6:7], s[6:7]
	v_mov_b32_e32 v6, s10
	s_xor_b64 exec, exec, s[6:7]
	s_cbranch_execz .LBB23_158
.LBB23_2208:
	v_mov_b32_e32 v6, 0
	v_cmp_ne_u16_sdwa s[8:9], v2, v6 src0_sel:BYTE_3 src1_sel:DWORD
	s_andn2_b64 s[4:5], s[4:5], exec
	s_and_b64 s[8:9], s[8:9], exec
	s_or_b64 s[4:5], s[4:5], s[8:9]
	s_or_b64 exec, exec, s[6:7]
	s_and_saveexec_b64 s[6:7], s[4:5]
	s_cbranch_execnz .LBB23_159
	s_branch .LBB23_160
.LBB23_2209:
	s_movk_i32 s4, 0x80
	v_cmp_eq_u16_sdwa s[12:13], v7, s4 src0_sel:BYTE_0 src1_sel:DWORD
	s_mov_b64 s[4:5], -1
                                        ; implicit-def: $sgpr10
	s_and_saveexec_b64 s[8:9], s[12:13]
; %bb.2210:
	s_mov_b32 s10, 0x7f800001
	s_xor_b64 s[4:5], exec, -1
; %bb.2211:
	s_or_b64 exec, exec, s[8:9]
	s_and_b64 s[4:5], s[4:5], exec
	s_or_saveexec_b64 s[6:7], s[6:7]
	v_mov_b32_e32 v2, s10
	s_xor_b64 exec, exec, s[6:7]
	s_cbranch_execz .LBB23_162
.LBB23_2212:
	v_mov_b32_e32 v2, 0
	v_cmp_ne_u16_sdwa s[8:9], v7, v2 src0_sel:BYTE_0 src1_sel:DWORD
	s_andn2_b64 s[4:5], s[4:5], exec
	s_and_b64 s[8:9], s[8:9], exec
	s_or_b64 s[4:5], s[4:5], s[8:9]
	s_or_b64 exec, exec, s[6:7]
	s_and_saveexec_b64 s[6:7], s[4:5]
	s_cbranch_execnz .LBB23_163
	s_branch .LBB23_164
.LBB23_2213:
	s_movk_i32 s4, 0x80
	v_cmp_eq_u16_sdwa s[12:13], v3, s4 src0_sel:BYTE_0 src1_sel:DWORD
	s_mov_b64 s[4:5], -1
                                        ; implicit-def: $sgpr10
	s_and_saveexec_b64 s[8:9], s[12:13]
; %bb.2214:
	s_mov_b32 s10, 0x7f800001
	s_xor_b64 s[4:5], exec, -1
; %bb.2215:
	s_or_b64 exec, exec, s[8:9]
	s_and_b64 s[4:5], s[4:5], exec
	s_or_saveexec_b64 s[6:7], s[6:7]
	v_mov_b32_e32 v6, s10
	s_xor_b64 exec, exec, s[6:7]
	s_cbranch_execz .LBB23_166
.LBB23_2216:
	v_mov_b32_e32 v6, 0
	v_cmp_ne_u16_sdwa s[8:9], v3, v6 src0_sel:BYTE_0 src1_sel:DWORD
	s_andn2_b64 s[4:5], s[4:5], exec
	s_and_b64 s[8:9], s[8:9], exec
	s_or_b64 s[4:5], s[4:5], s[8:9]
	s_or_b64 exec, exec, s[6:7]
	s_and_saveexec_b64 s[6:7], s[4:5]
	s_cbranch_execnz .LBB23_167
	s_branch .LBB23_168
.LBB23_2217:
	s_movk_i32 s4, 0x80
	v_cmp_eq_u16_sdwa s[12:13], v6, s4 src0_sel:BYTE_0 src1_sel:DWORD
	s_mov_b64 s[4:5], -1
                                        ; implicit-def: $sgpr10
	s_and_saveexec_b64 s[8:9], s[12:13]
; %bb.2218:
	s_mov_b32 s10, 0x7f800001
	s_xor_b64 s[4:5], exec, -1
; %bb.2219:
	s_or_b64 exec, exec, s[8:9]
	s_and_b64 s[4:5], s[4:5], exec
	s_or_saveexec_b64 s[6:7], s[6:7]
	v_mov_b32_e32 v2, s10
	s_xor_b64 exec, exec, s[6:7]
	s_cbranch_execz .LBB23_170
.LBB23_2220:
	v_mov_b32_e32 v2, 0
	v_cmp_ne_u16_sdwa s[8:9], v6, v2 src0_sel:BYTE_0 src1_sel:DWORD
	s_andn2_b64 s[4:5], s[4:5], exec
	s_and_b64 s[8:9], s[8:9], exec
	s_or_b64 s[4:5], s[4:5], s[8:9]
	s_or_b64 exec, exec, s[6:7]
	s_and_saveexec_b64 s[6:7], s[4:5]
	s_cbranch_execnz .LBB23_171
	s_branch .LBB23_172
.LBB23_2221:
	s_movk_i32 s4, 0x80
	v_cmp_eq_u16_sdwa s[12:13], v6, s4 src0_sel:BYTE_0 src1_sel:DWORD
	s_mov_b64 s[4:5], -1
                                        ; implicit-def: $sgpr10
	s_and_saveexec_b64 s[8:9], s[12:13]
; %bb.2222:
	s_mov_b32 s10, 0x7f800001
	s_xor_b64 s[4:5], exec, -1
; %bb.2223:
	s_or_b64 exec, exec, s[8:9]
	s_and_b64 s[4:5], s[4:5], exec
	s_or_saveexec_b64 s[6:7], s[6:7]
	v_mov_b32_e32 v10, s10
	s_xor_b64 exec, exec, s[6:7]
	s_cbranch_execz .LBB23_174
.LBB23_2224:
	v_mov_b32_e32 v10, 0
	v_cmp_ne_u16_sdwa s[8:9], v6, v10 src0_sel:BYTE_0 src1_sel:DWORD
	s_andn2_b64 s[4:5], s[4:5], exec
	s_and_b64 s[8:9], s[8:9], exec
	s_or_b64 s[4:5], s[4:5], s[8:9]
	s_or_b64 exec, exec, s[6:7]
	s_and_saveexec_b64 s[6:7], s[4:5]
	s_cbranch_execnz .LBB23_175
	s_branch .LBB23_176
.LBB23_2225:
	s_movk_i32 s4, 0x80
	v_cmp_eq_u16_e32 vcc, s4, v6
	s_mov_b64 s[4:5], -1
                                        ; implicit-def: $sgpr10
	s_and_saveexec_b64 s[8:9], vcc
; %bb.2226:
	s_mov_b32 s10, 0x7f800001
	s_xor_b64 s[4:5], exec, -1
; %bb.2227:
	s_or_b64 exec, exec, s[8:9]
	s_and_b64 s[4:5], s[4:5], exec
                                        ; implicit-def: $vgpr6
	s_or_saveexec_b64 s[6:7], s[6:7]
	v_mov_b32_e32 v2, s10
	s_xor_b64 exec, exec, s[6:7]
	s_cbranch_execz .LBB23_178
.LBB23_2228:
	v_cmp_ne_u16_e32 vcc, 0, v6
	s_andn2_b64 s[4:5], s[4:5], exec
	s_and_b64 s[8:9], vcc, exec
	v_mov_b32_e32 v2, 0
	s_or_b64 s[4:5], s[4:5], s[8:9]
	s_or_b64 exec, exec, s[6:7]
	s_and_saveexec_b64 s[6:7], s[4:5]
	s_cbranch_execnz .LBB23_179
	s_branch .LBB23_180
.LBB23_2229:
	s_movk_i32 s4, 0x80
	v_cmp_eq_u16_e32 vcc, s4, v6
	s_mov_b64 s[4:5], -1
                                        ; implicit-def: $sgpr10
	s_and_saveexec_b64 s[8:9], vcc
; %bb.2230:
	s_mov_b32 s10, 0x7f800001
	s_xor_b64 s[4:5], exec, -1
; %bb.2231:
	s_or_b64 exec, exec, s[8:9]
	s_and_b64 s[4:5], s[4:5], exec
                                        ; implicit-def: $vgpr6
	s_or_saveexec_b64 s[6:7], s[6:7]
	v_mov_b32_e32 v10, s10
	s_xor_b64 exec, exec, s[6:7]
	s_cbranch_execz .LBB23_182
.LBB23_2232:
	v_cmp_ne_u16_e32 vcc, 0, v6
	s_andn2_b64 s[4:5], s[4:5], exec
	s_and_b64 s[8:9], vcc, exec
	v_mov_b32_e32 v10, 0
	s_or_b64 s[4:5], s[4:5], s[8:9]
	s_or_b64 exec, exec, s[6:7]
	s_and_saveexec_b64 s[6:7], s[4:5]
	s_cbranch_execnz .LBB23_183
	s_branch .LBB23_184
.LBB23_2233:
	s_movk_i32 s4, 0x80
	v_cmp_eq_u16_sdwa s[12:13], v7, s4 src0_sel:BYTE_3 src1_sel:DWORD
	s_mov_b64 s[4:5], -1
                                        ; implicit-def: $sgpr10
	s_and_saveexec_b64 s[8:9], s[12:13]
; %bb.2234:
	s_mov_b32 s10, 0x7f800001
	s_xor_b64 s[4:5], exec, -1
; %bb.2235:
	s_or_b64 exec, exec, s[8:9]
	s_and_b64 s[4:5], s[4:5], exec
	s_or_saveexec_b64 s[6:7], s[6:7]
	v_mov_b32_e32 v2, s10
	s_xor_b64 exec, exec, s[6:7]
	s_cbranch_execz .LBB23_186
.LBB23_2236:
	v_mov_b32_e32 v2, 0
	v_cmp_ne_u16_sdwa s[8:9], v7, v2 src0_sel:BYTE_3 src1_sel:DWORD
	s_andn2_b64 s[4:5], s[4:5], exec
	s_and_b64 s[8:9], s[8:9], exec
	s_or_b64 s[4:5], s[4:5], s[8:9]
	s_or_b64 exec, exec, s[6:7]
	s_and_saveexec_b64 s[6:7], s[4:5]
	s_cbranch_execnz .LBB23_187
	s_branch .LBB23_188
.LBB23_2237:
	s_movk_i32 s4, 0x80
	v_cmp_eq_u16_sdwa s[12:13], v3, s4 src0_sel:BYTE_3 src1_sel:DWORD
	s_mov_b64 s[4:5], -1
                                        ; implicit-def: $sgpr10
	s_and_saveexec_b64 s[8:9], s[12:13]
; %bb.2238:
	s_mov_b32 s10, 0x7f800001
	s_xor_b64 s[4:5], exec, -1
; %bb.2239:
	s_or_b64 exec, exec, s[8:9]
	s_and_b64 s[4:5], s[4:5], exec
	s_or_saveexec_b64 s[6:7], s[6:7]
	v_mov_b32_e32 v6, s10
	s_xor_b64 exec, exec, s[6:7]
	s_cbranch_execz .LBB23_190
.LBB23_2240:
	v_mov_b32_e32 v6, 0
	v_cmp_ne_u16_sdwa s[8:9], v3, v6 src0_sel:BYTE_3 src1_sel:DWORD
	s_andn2_b64 s[4:5], s[4:5], exec
	s_and_b64 s[8:9], s[8:9], exec
	s_or_b64 s[4:5], s[4:5], s[8:9]
	s_or_b64 exec, exec, s[6:7]
	s_and_saveexec_b64 s[6:7], s[4:5]
	s_cbranch_execnz .LBB23_191
	s_branch .LBB23_192
.LBB23_2241:
	s_movk_i32 s4, 0x80
	v_cmp_eq_u16_sdwa s[12:13], v8, s4 src0_sel:BYTE_0 src1_sel:DWORD
	s_mov_b64 s[4:5], -1
                                        ; implicit-def: $sgpr10
	s_and_saveexec_b64 s[8:9], s[12:13]
; %bb.2242:
	s_mov_b32 s10, 0x7f800001
	s_xor_b64 s[4:5], exec, -1
; %bb.2243:
	s_or_b64 exec, exec, s[8:9]
	s_and_b64 s[4:5], s[4:5], exec
	s_or_saveexec_b64 s[6:7], s[6:7]
	v_mov_b32_e32 v2, s10
	s_xor_b64 exec, exec, s[6:7]
	s_cbranch_execz .LBB23_194
.LBB23_2244:
	v_mov_b32_e32 v2, 0
	v_cmp_ne_u16_sdwa s[8:9], v8, v2 src0_sel:BYTE_0 src1_sel:DWORD
	s_andn2_b64 s[4:5], s[4:5], exec
	s_and_b64 s[8:9], s[8:9], exec
	s_or_b64 s[4:5], s[4:5], s[8:9]
	s_or_b64 exec, exec, s[6:7]
	s_and_saveexec_b64 s[6:7], s[4:5]
	s_cbranch_execnz .LBB23_195
	s_branch .LBB23_196
.LBB23_2245:
	s_movk_i32 s4, 0x80
	v_cmp_eq_u16_sdwa s[12:13], v4, s4 src0_sel:BYTE_0 src1_sel:DWORD
	s_mov_b64 s[4:5], -1
                                        ; implicit-def: $sgpr10
	s_and_saveexec_b64 s[8:9], s[12:13]
; %bb.2246:
	s_mov_b32 s10, 0x7f800001
	s_xor_b64 s[4:5], exec, -1
; %bb.2247:
	s_or_b64 exec, exec, s[8:9]
	s_and_b64 s[4:5], s[4:5], exec
	s_or_saveexec_b64 s[6:7], s[6:7]
	v_mov_b32_e32 v3, s10
	s_xor_b64 exec, exec, s[6:7]
	s_cbranch_execz .LBB23_198
.LBB23_2248:
	v_mov_b32_e32 v3, 0
	v_cmp_ne_u16_sdwa s[8:9], v4, v3 src0_sel:BYTE_0 src1_sel:DWORD
	s_andn2_b64 s[4:5], s[4:5], exec
	s_and_b64 s[8:9], s[8:9], exec
	s_or_b64 s[4:5], s[4:5], s[8:9]
	s_or_b64 exec, exec, s[6:7]
	s_and_saveexec_b64 s[6:7], s[4:5]
	s_cbranch_execnz .LBB23_199
	s_branch .LBB23_200
.LBB23_2249:
	s_movk_i32 s4, 0x80
	v_cmp_eq_u16_sdwa s[12:13], v3, s4 src0_sel:BYTE_0 src1_sel:DWORD
	s_mov_b64 s[4:5], -1
                                        ; implicit-def: $sgpr10
	s_and_saveexec_b64 s[8:9], s[12:13]
; %bb.2250:
	s_mov_b32 s10, 0x7f800001
	s_xor_b64 s[4:5], exec, -1
; %bb.2251:
	s_or_b64 exec, exec, s[8:9]
	s_and_b64 s[4:5], s[4:5], exec
	s_or_saveexec_b64 s[6:7], s[6:7]
	v_mov_b32_e32 v2, s10
	s_xor_b64 exec, exec, s[6:7]
	s_cbranch_execz .LBB23_202
.LBB23_2252:
	v_mov_b32_e32 v2, 0
	v_cmp_ne_u16_sdwa s[8:9], v3, v2 src0_sel:BYTE_0 src1_sel:DWORD
	s_andn2_b64 s[4:5], s[4:5], exec
	s_and_b64 s[8:9], s[8:9], exec
	s_or_b64 s[4:5], s[4:5], s[8:9]
	s_or_b64 exec, exec, s[6:7]
	s_and_saveexec_b64 s[6:7], s[4:5]
	s_cbranch_execnz .LBB23_203
	s_branch .LBB23_204
.LBB23_2253:
	s_movk_i32 s4, 0x80
	v_cmp_eq_u16_sdwa s[12:13], v3, s4 src0_sel:BYTE_0 src1_sel:DWORD
	s_mov_b64 s[4:5], -1
                                        ; implicit-def: $sgpr10
	s_and_saveexec_b64 s[8:9], s[12:13]
; %bb.2254:
	s_mov_b32 s10, 0x7f800001
	s_xor_b64 s[4:5], exec, -1
; %bb.2255:
	s_or_b64 exec, exec, s[8:9]
	s_and_b64 s[4:5], s[4:5], exec
	s_or_saveexec_b64 s[6:7], s[6:7]
	v_mov_b32_e32 v6, s10
	s_xor_b64 exec, exec, s[6:7]
	s_cbranch_execz .LBB23_206
.LBB23_2256:
	v_mov_b32_e32 v6, 0
	v_cmp_ne_u16_sdwa s[8:9], v3, v6 src0_sel:BYTE_0 src1_sel:DWORD
	s_andn2_b64 s[4:5], s[4:5], exec
	s_and_b64 s[8:9], s[8:9], exec
	s_or_b64 s[4:5], s[4:5], s[8:9]
	s_or_b64 exec, exec, s[6:7]
	s_and_saveexec_b64 s[6:7], s[4:5]
	s_cbranch_execnz .LBB23_207
	s_branch .LBB23_208
.LBB23_2257:
	s_movk_i32 s4, 0x80
	v_cmp_eq_u16_e32 vcc, s4, v3
	s_mov_b64 s[4:5], -1
                                        ; implicit-def: $sgpr10
	s_and_saveexec_b64 s[8:9], vcc
; %bb.2258:
	s_mov_b32 s10, 0x7f800001
	s_xor_b64 s[4:5], exec, -1
; %bb.2259:
	s_or_b64 exec, exec, s[8:9]
	s_and_b64 s[4:5], s[4:5], exec
                                        ; implicit-def: $vgpr3
	s_or_saveexec_b64 s[6:7], s[6:7]
	v_mov_b32_e32 v2, s10
	s_xor_b64 exec, exec, s[6:7]
	s_cbranch_execz .LBB23_210
.LBB23_2260:
	v_cmp_ne_u16_e32 vcc, 0, v3
	s_andn2_b64 s[4:5], s[4:5], exec
	s_and_b64 s[8:9], vcc, exec
	v_mov_b32_e32 v2, 0
	s_or_b64 s[4:5], s[4:5], s[8:9]
	s_or_b64 exec, exec, s[6:7]
	s_and_saveexec_b64 s[6:7], s[4:5]
	s_cbranch_execnz .LBB23_211
	s_branch .LBB23_212
.LBB23_2261:
	s_movk_i32 s4, 0x80
	v_cmp_eq_u16_e32 vcc, s4, v3
	s_mov_b64 s[4:5], -1
                                        ; implicit-def: $sgpr10
	s_and_saveexec_b64 s[8:9], vcc
; %bb.2262:
	s_mov_b32 s10, 0x7f800001
	s_xor_b64 s[4:5], exec, -1
; %bb.2263:
	s_or_b64 exec, exec, s[8:9]
	s_and_b64 s[4:5], s[4:5], exec
                                        ; implicit-def: $vgpr3
	s_or_saveexec_b64 s[6:7], s[6:7]
	v_mov_b32_e32 v6, s10
	s_xor_b64 exec, exec, s[6:7]
	s_cbranch_execz .LBB23_214
.LBB23_2264:
	v_cmp_ne_u16_e32 vcc, 0, v3
	s_andn2_b64 s[4:5], s[4:5], exec
	s_and_b64 s[8:9], vcc, exec
	v_mov_b32_e32 v6, 0
	s_or_b64 s[4:5], s[4:5], s[8:9]
	s_or_b64 exec, exec, s[6:7]
	s_and_saveexec_b64 s[6:7], s[4:5]
	s_cbranch_execnz .LBB23_215
	s_branch .LBB23_216
.LBB23_2265:
	s_movk_i32 s4, 0x80
	v_cmp_eq_u16_sdwa s[12:13], v8, s4 src0_sel:BYTE_3 src1_sel:DWORD
	s_mov_b64 s[4:5], -1
                                        ; implicit-def: $sgpr10
	s_and_saveexec_b64 s[8:9], s[12:13]
; %bb.2266:
	s_mov_b32 s10, 0x7f800001
	s_xor_b64 s[4:5], exec, -1
; %bb.2267:
	s_or_b64 exec, exec, s[8:9]
	s_and_b64 s[4:5], s[4:5], exec
	s_or_saveexec_b64 s[6:7], s[6:7]
	v_mov_b32_e32 v2, s10
	s_xor_b64 exec, exec, s[6:7]
	s_cbranch_execz .LBB23_218
.LBB23_2268:
	v_mov_b32_e32 v2, 0
	v_cmp_ne_u16_sdwa s[8:9], v8, v2 src0_sel:BYTE_3 src1_sel:DWORD
	s_andn2_b64 s[4:5], s[4:5], exec
	s_and_b64 s[8:9], s[8:9], exec
	s_or_b64 s[4:5], s[4:5], s[8:9]
	s_or_b64 exec, exec, s[6:7]
	s_and_saveexec_b64 s[6:7], s[4:5]
	s_cbranch_execnz .LBB23_219
	s_branch .LBB23_220
.LBB23_2269:
	s_movk_i32 s4, 0x80
	v_cmp_eq_u16_sdwa s[12:13], v4, s4 src0_sel:BYTE_3 src1_sel:DWORD
	s_mov_b64 s[4:5], -1
                                        ; implicit-def: $sgpr10
	s_and_saveexec_b64 s[8:9], s[12:13]
; %bb.2270:
	s_mov_b32 s10, 0x7f800001
	s_xor_b64 s[4:5], exec, -1
; %bb.2271:
	s_or_b64 exec, exec, s[8:9]
	s_and_b64 s[4:5], s[4:5], exec
	s_or_saveexec_b64 s[6:7], s[6:7]
	v_mov_b32_e32 v3, s10
	s_xor_b64 exec, exec, s[6:7]
	s_cbranch_execz .LBB23_222
.LBB23_2272:
	v_mov_b32_e32 v3, 0
	v_cmp_ne_u16_sdwa s[8:9], v4, v3 src0_sel:BYTE_3 src1_sel:DWORD
	s_andn2_b64 s[4:5], s[4:5], exec
	s_and_b64 s[8:9], s[8:9], exec
	s_or_b64 s[4:5], s[4:5], s[8:9]
	s_or_b64 exec, exec, s[6:7]
	s_and_saveexec_b64 s[6:7], s[4:5]
	s_cbranch_execnz .LBB23_223
	s_branch .LBB23_224
.LBB23_2273:
	s_movk_i32 s4, 0x80
	v_cmp_eq_u16_sdwa s[12:13], v9, s4 src0_sel:BYTE_0 src1_sel:DWORD
	s_mov_b64 s[4:5], -1
                                        ; implicit-def: $sgpr10
	s_and_saveexec_b64 s[8:9], s[12:13]
; %bb.2274:
	s_mov_b32 s10, 0x7f800001
	s_xor_b64 s[4:5], exec, -1
; %bb.2275:
	s_or_b64 exec, exec, s[8:9]
	s_and_b64 s[4:5], s[4:5], exec
	s_or_saveexec_b64 s[6:7], s[6:7]
	v_mov_b32_e32 v2, s10
	s_xor_b64 exec, exec, s[6:7]
	s_cbranch_execz .LBB23_226
.LBB23_2276:
	v_mov_b32_e32 v2, 0
	v_cmp_ne_u16_sdwa s[8:9], v9, v2 src0_sel:BYTE_0 src1_sel:DWORD
	s_andn2_b64 s[4:5], s[4:5], exec
	s_and_b64 s[8:9], s[8:9], exec
	s_or_b64 s[4:5], s[4:5], s[8:9]
	s_or_b64 exec, exec, s[6:7]
	s_and_saveexec_b64 s[6:7], s[4:5]
	s_cbranch_execnz .LBB23_227
	s_branch .LBB23_228
.LBB23_2277:
	s_movk_i32 s4, 0x80
	v_cmp_eq_u16_sdwa s[12:13], v5, s4 src0_sel:BYTE_0 src1_sel:DWORD
	s_mov_b64 s[4:5], -1
                                        ; implicit-def: $sgpr10
	s_and_saveexec_b64 s[8:9], s[12:13]
; %bb.2278:
	s_mov_b32 s10, 0x7f800001
	s_xor_b64 s[4:5], exec, -1
; %bb.2279:
	s_or_b64 exec, exec, s[8:9]
	s_and_b64 s[4:5], s[4:5], exec
	s_or_saveexec_b64 s[6:7], s[6:7]
	v_mov_b32_e32 v3, s10
	s_xor_b64 exec, exec, s[6:7]
	s_cbranch_execz .LBB23_230
.LBB23_2280:
	v_mov_b32_e32 v3, 0
	v_cmp_ne_u16_sdwa s[8:9], v5, v3 src0_sel:BYTE_0 src1_sel:DWORD
	s_andn2_b64 s[4:5], s[4:5], exec
	s_and_b64 s[8:9], s[8:9], exec
	s_or_b64 s[4:5], s[4:5], s[8:9]
	s_or_b64 exec, exec, s[6:7]
	s_and_saveexec_b64 s[6:7], s[4:5]
	s_cbranch_execnz .LBB23_231
	s_branch .LBB23_232
.LBB23_2281:
	s_movk_i32 s4, 0x80
	v_cmp_eq_u16_sdwa s[12:13], v3, s4 src0_sel:BYTE_0 src1_sel:DWORD
	s_mov_b64 s[4:5], -1
                                        ; implicit-def: $sgpr10
	s_and_saveexec_b64 s[8:9], s[12:13]
; %bb.2282:
	s_mov_b32 s10, 0x7f800001
	s_xor_b64 s[4:5], exec, -1
; %bb.2283:
	s_or_b64 exec, exec, s[8:9]
	s_and_b64 s[4:5], s[4:5], exec
	s_or_saveexec_b64 s[6:7], s[6:7]
	v_mov_b32_e32 v2, s10
	s_xor_b64 exec, exec, s[6:7]
	s_cbranch_execz .LBB23_234
.LBB23_2284:
	v_mov_b32_e32 v2, 0
	v_cmp_ne_u16_sdwa s[8:9], v3, v2 src0_sel:BYTE_0 src1_sel:DWORD
	s_andn2_b64 s[4:5], s[4:5], exec
	s_and_b64 s[8:9], s[8:9], exec
	s_or_b64 s[4:5], s[4:5], s[8:9]
	s_or_b64 exec, exec, s[6:7]
	s_and_saveexec_b64 s[6:7], s[4:5]
	s_cbranch_execnz .LBB23_235
	s_branch .LBB23_236
.LBB23_2285:
	s_movk_i32 s4, 0x80
	v_cmp_eq_u16_sdwa s[12:13], v3, s4 src0_sel:BYTE_0 src1_sel:DWORD
	s_mov_b64 s[4:5], -1
                                        ; implicit-def: $sgpr10
	s_and_saveexec_b64 s[8:9], s[12:13]
; %bb.2286:
	s_mov_b32 s10, 0x7f800001
	s_xor_b64 s[4:5], exec, -1
; %bb.2287:
	s_or_b64 exec, exec, s[8:9]
	s_and_b64 s[4:5], s[4:5], exec
	s_or_saveexec_b64 s[6:7], s[6:7]
	v_mov_b32_e32 v4, s10
	s_xor_b64 exec, exec, s[6:7]
	s_cbranch_execz .LBB23_238
.LBB23_2288:
	v_mov_b32_e32 v4, 0
	v_cmp_ne_u16_sdwa s[8:9], v3, v4 src0_sel:BYTE_0 src1_sel:DWORD
	s_andn2_b64 s[4:5], s[4:5], exec
	s_and_b64 s[8:9], s[8:9], exec
	s_or_b64 s[4:5], s[4:5], s[8:9]
	s_or_b64 exec, exec, s[6:7]
	s_and_saveexec_b64 s[6:7], s[4:5]
	s_cbranch_execnz .LBB23_239
	s_branch .LBB23_240
.LBB23_2289:
	s_movk_i32 s4, 0x80
	v_cmp_eq_u16_e32 vcc, s4, v3
	s_mov_b64 s[4:5], -1
                                        ; implicit-def: $sgpr10
	s_and_saveexec_b64 s[8:9], vcc
; %bb.2290:
	s_mov_b32 s10, 0x7f800001
	s_xor_b64 s[4:5], exec, -1
; %bb.2291:
	s_or_b64 exec, exec, s[8:9]
	s_and_b64 s[4:5], s[4:5], exec
                                        ; implicit-def: $vgpr3
	s_or_saveexec_b64 s[6:7], s[6:7]
	v_mov_b32_e32 v2, s10
	s_xor_b64 exec, exec, s[6:7]
	s_cbranch_execz .LBB23_242
.LBB23_2292:
	v_cmp_ne_u16_e32 vcc, 0, v3
	s_andn2_b64 s[4:5], s[4:5], exec
	s_and_b64 s[8:9], vcc, exec
	v_mov_b32_e32 v2, 0
	s_or_b64 s[4:5], s[4:5], s[8:9]
	s_or_b64 exec, exec, s[6:7]
	s_and_saveexec_b64 s[6:7], s[4:5]
	s_cbranch_execnz .LBB23_243
	s_branch .LBB23_244
.LBB23_2293:
	s_movk_i32 s4, 0x80
	v_cmp_eq_u16_e32 vcc, s4, v3
	s_mov_b64 s[4:5], -1
                                        ; implicit-def: $sgpr10
	s_and_saveexec_b64 s[8:9], vcc
; %bb.2294:
	s_mov_b32 s10, 0x7f800001
	s_xor_b64 s[4:5], exec, -1
; %bb.2295:
	s_or_b64 exec, exec, s[8:9]
	s_and_b64 s[4:5], s[4:5], exec
                                        ; implicit-def: $vgpr3
	s_or_saveexec_b64 s[6:7], s[6:7]
	v_mov_b32_e32 v4, s10
	s_xor_b64 exec, exec, s[6:7]
	s_cbranch_execz .LBB23_246
.LBB23_2296:
	v_cmp_ne_u16_e32 vcc, 0, v3
	s_andn2_b64 s[4:5], s[4:5], exec
	s_and_b64 s[8:9], vcc, exec
	v_mov_b32_e32 v4, 0
	s_or_b64 s[4:5], s[4:5], s[8:9]
	s_or_b64 exec, exec, s[6:7]
	s_and_saveexec_b64 s[6:7], s[4:5]
	s_cbranch_execnz .LBB23_247
	s_branch .LBB23_248
.LBB23_2297:
	s_movk_i32 s4, 0x80
	v_cmp_eq_u16_sdwa s[12:13], v9, s4 src0_sel:BYTE_3 src1_sel:DWORD
	s_mov_b64 s[4:5], -1
                                        ; implicit-def: $sgpr10
	s_and_saveexec_b64 s[8:9], s[12:13]
; %bb.2298:
	s_mov_b32 s10, 0x7f800001
	s_xor_b64 s[4:5], exec, -1
; %bb.2299:
	s_or_b64 exec, exec, s[8:9]
	s_and_b64 s[4:5], s[4:5], exec
	s_or_saveexec_b64 s[6:7], s[6:7]
	v_mov_b32_e32 v2, s10
	s_xor_b64 exec, exec, s[6:7]
	s_cbranch_execz .LBB23_250
.LBB23_2300:
	v_mov_b32_e32 v2, 0
	v_cmp_ne_u16_sdwa s[8:9], v9, v2 src0_sel:BYTE_3 src1_sel:DWORD
	s_andn2_b64 s[4:5], s[4:5], exec
	s_and_b64 s[8:9], s[8:9], exec
	s_or_b64 s[4:5], s[4:5], s[8:9]
	s_or_b64 exec, exec, s[6:7]
	s_and_saveexec_b64 s[6:7], s[4:5]
	s_cbranch_execnz .LBB23_251
	s_branch .LBB23_252
.LBB23_2301:
	s_movk_i32 s4, 0x80
	v_cmp_eq_u16_sdwa s[12:13], v5, s4 src0_sel:BYTE_3 src1_sel:DWORD
	s_mov_b64 s[4:5], -1
                                        ; implicit-def: $sgpr10
	s_and_saveexec_b64 s[8:9], s[12:13]
; %bb.2302:
	s_mov_b32 s10, 0x7f800001
	s_xor_b64 s[4:5], exec, -1
; %bb.2303:
	s_or_b64 exec, exec, s[8:9]
	s_and_b64 s[4:5], s[4:5], exec
	s_or_saveexec_b64 s[6:7], s[6:7]
	v_mov_b32_e32 v3, s10
	s_xor_b64 exec, exec, s[6:7]
	s_cbranch_execz .LBB23_254
.LBB23_2304:
	v_mov_b32_e32 v3, 0
	v_cmp_ne_u16_sdwa s[8:9], v5, v3 src0_sel:BYTE_3 src1_sel:DWORD
	s_andn2_b64 s[4:5], s[4:5], exec
	s_and_b64 s[8:9], s[8:9], exec
	s_or_b64 s[4:5], s[4:5], s[8:9]
	s_or_b64 exec, exec, s[6:7]
	s_and_saveexec_b64 s[6:7], s[4:5]
	s_cbranch_execnz .LBB23_255
	s_branch .LBB23_256
.LBB23_2305:
	s_movk_i32 s4, 0x80
	v_cmp_eq_u16_sdwa s[12:13], v14, s4 src0_sel:BYTE_0 src1_sel:DWORD
	s_mov_b64 s[4:5], -1
                                        ; implicit-def: $sgpr10
	s_and_saveexec_b64 s[8:9], s[12:13]
; %bb.2306:
	s_mov_b32 s10, 0x7f800001
	s_xor_b64 s[4:5], exec, -1
; %bb.2307:
	s_or_b64 exec, exec, s[8:9]
	s_and_b64 s[4:5], s[4:5], exec
	s_or_saveexec_b64 s[6:7], s[6:7]
	v_mov_b32_e32 v20, s10
	s_xor_b64 exec, exec, s[6:7]
	s_cbranch_execz .LBB23_258
.LBB23_2308:
	v_mov_b32_e32 v20, 0
	v_cmp_ne_u16_sdwa s[8:9], v14, v20 src0_sel:BYTE_0 src1_sel:DWORD
	s_andn2_b64 s[4:5], s[4:5], exec
	s_and_b64 s[8:9], s[8:9], exec
	s_or_b64 s[4:5], s[4:5], s[8:9]
	s_or_b64 exec, exec, s[6:7]
	s_and_saveexec_b64 s[6:7], s[4:5]
	s_cbranch_execnz .LBB23_259
	s_branch .LBB23_260
.LBB23_2309:
	s_movk_i32 s4, 0x80
	v_cmp_eq_u16_sdwa s[12:13], v10, s4 src0_sel:BYTE_0 src1_sel:DWORD
	s_mov_b64 s[4:5], -1
                                        ; implicit-def: $sgpr10
	s_and_saveexec_b64 s[8:9], s[12:13]
; %bb.2310:
	s_mov_b32 s10, 0x7f800001
	s_xor_b64 s[4:5], exec, -1
; %bb.2311:
	s_or_b64 exec, exec, s[8:9]
	s_and_b64 s[4:5], s[4:5], exec
	s_or_saveexec_b64 s[6:7], s[6:7]
	v_mov_b32_e32 v21, s10
	s_xor_b64 exec, exec, s[6:7]
	s_cbranch_execz .LBB23_262
.LBB23_2312:
	v_mov_b32_e32 v21, 0
	v_cmp_ne_u16_sdwa s[8:9], v10, v21 src0_sel:BYTE_0 src1_sel:DWORD
	s_andn2_b64 s[4:5], s[4:5], exec
	s_and_b64 s[8:9], s[8:9], exec
	s_or_b64 s[4:5], s[4:5], s[8:9]
	s_or_b64 exec, exec, s[6:7]
	s_and_saveexec_b64 s[6:7], s[4:5]
	s_cbranch_execnz .LBB23_263
	s_branch .LBB23_264
.LBB23_2313:
	s_movk_i32 s4, 0x80
	v_cmp_eq_u16_sdwa s[12:13], v21, s4 src0_sel:BYTE_0 src1_sel:DWORD
	s_mov_b64 s[4:5], -1
                                        ; implicit-def: $sgpr10
	s_and_saveexec_b64 s[8:9], s[12:13]
; %bb.2314:
	s_mov_b32 s10, 0x7f800001
	s_xor_b64 s[4:5], exec, -1
; %bb.2315:
	s_or_b64 exec, exec, s[8:9]
	s_and_b64 s[4:5], s[4:5], exec
	s_or_saveexec_b64 s[6:7], s[6:7]
	v_mov_b32_e32 v20, s10
	s_xor_b64 exec, exec, s[6:7]
	s_cbranch_execz .LBB23_266
.LBB23_2316:
	v_mov_b32_e32 v20, 0
	v_cmp_ne_u16_sdwa s[8:9], v21, v20 src0_sel:BYTE_0 src1_sel:DWORD
	s_andn2_b64 s[4:5], s[4:5], exec
	s_and_b64 s[8:9], s[8:9], exec
	s_or_b64 s[4:5], s[4:5], s[8:9]
	s_or_b64 exec, exec, s[6:7]
	s_and_saveexec_b64 s[6:7], s[4:5]
	s_cbranch_execnz .LBB23_267
	s_branch .LBB23_268
.LBB23_2317:
	s_movk_i32 s4, 0x80
	v_cmp_eq_u16_sdwa s[12:13], v21, s4 src0_sel:BYTE_0 src1_sel:DWORD
	s_mov_b64 s[4:5], -1
                                        ; implicit-def: $sgpr10
	s_and_saveexec_b64 s[8:9], s[12:13]
; %bb.2318:
	s_mov_b32 s10, 0x7f800001
	s_xor_b64 s[4:5], exec, -1
; %bb.2319:
	s_or_b64 exec, exec, s[8:9]
	s_and_b64 s[4:5], s[4:5], exec
	s_or_saveexec_b64 s[6:7], s[6:7]
	v_mov_b32_e32 v22, s10
	s_xor_b64 exec, exec, s[6:7]
	s_cbranch_execz .LBB23_270
.LBB23_2320:
	v_mov_b32_e32 v22, 0
	v_cmp_ne_u16_sdwa s[8:9], v21, v22 src0_sel:BYTE_0 src1_sel:DWORD
	s_andn2_b64 s[4:5], s[4:5], exec
	s_and_b64 s[8:9], s[8:9], exec
	s_or_b64 s[4:5], s[4:5], s[8:9]
	s_or_b64 exec, exec, s[6:7]
	s_and_saveexec_b64 s[6:7], s[4:5]
	s_cbranch_execnz .LBB23_271
	s_branch .LBB23_272
.LBB23_2321:
	s_movk_i32 s4, 0x80
	v_cmp_eq_u16_e32 vcc, s4, v21
	s_mov_b64 s[4:5], -1
                                        ; implicit-def: $sgpr10
	s_and_saveexec_b64 s[8:9], vcc
; %bb.2322:
	s_mov_b32 s10, 0x7f800001
	s_xor_b64 s[4:5], exec, -1
; %bb.2323:
	s_or_b64 exec, exec, s[8:9]
	s_and_b64 s[4:5], s[4:5], exec
                                        ; implicit-def: $vgpr21
	s_or_saveexec_b64 s[6:7], s[6:7]
	v_mov_b32_e32 v20, s10
	s_xor_b64 exec, exec, s[6:7]
	s_cbranch_execz .LBB23_274
.LBB23_2324:
	v_cmp_ne_u16_e32 vcc, 0, v21
	s_andn2_b64 s[4:5], s[4:5], exec
	s_and_b64 s[8:9], vcc, exec
	v_mov_b32_e32 v20, 0
	s_or_b64 s[4:5], s[4:5], s[8:9]
	s_or_b64 exec, exec, s[6:7]
	s_and_saveexec_b64 s[6:7], s[4:5]
	s_cbranch_execnz .LBB23_275
	s_branch .LBB23_276
.LBB23_2325:
	s_movk_i32 s4, 0x80
	v_cmp_eq_u16_e32 vcc, s4, v21
	s_mov_b64 s[4:5], -1
                                        ; implicit-def: $sgpr10
	s_and_saveexec_b64 s[8:9], vcc
; %bb.2326:
	s_mov_b32 s10, 0x7f800001
	s_xor_b64 s[4:5], exec, -1
; %bb.2327:
	s_or_b64 exec, exec, s[8:9]
	s_and_b64 s[4:5], s[4:5], exec
                                        ; implicit-def: $vgpr21
	s_or_saveexec_b64 s[6:7], s[6:7]
	v_mov_b32_e32 v22, s10
	s_xor_b64 exec, exec, s[6:7]
	s_cbranch_execz .LBB23_278
.LBB23_2328:
	v_cmp_ne_u16_e32 vcc, 0, v21
	s_andn2_b64 s[4:5], s[4:5], exec
	s_and_b64 s[8:9], vcc, exec
	v_mov_b32_e32 v22, 0
	s_or_b64 s[4:5], s[4:5], s[8:9]
	s_or_b64 exec, exec, s[6:7]
	s_and_saveexec_b64 s[6:7], s[4:5]
	s_cbranch_execnz .LBB23_279
	s_branch .LBB23_280
.LBB23_2329:
	s_movk_i32 s4, 0x80
	v_cmp_eq_u16_sdwa s[12:13], v14, s4 src0_sel:BYTE_3 src1_sel:DWORD
	s_mov_b64 s[4:5], -1
                                        ; implicit-def: $sgpr10
	s_and_saveexec_b64 s[8:9], s[12:13]
; %bb.2330:
	s_mov_b32 s10, 0x7f800001
	s_xor_b64 s[4:5], exec, -1
; %bb.2331:
	s_or_b64 exec, exec, s[8:9]
	s_and_b64 s[4:5], s[4:5], exec
	s_or_saveexec_b64 s[6:7], s[6:7]
	v_mov_b32_e32 v20, s10
	s_xor_b64 exec, exec, s[6:7]
	s_cbranch_execz .LBB23_282
.LBB23_2332:
	v_mov_b32_e32 v20, 0
	v_cmp_ne_u16_sdwa s[8:9], v14, v20 src0_sel:BYTE_3 src1_sel:DWORD
	s_andn2_b64 s[4:5], s[4:5], exec
	s_and_b64 s[8:9], s[8:9], exec
	s_or_b64 s[4:5], s[4:5], s[8:9]
	s_or_b64 exec, exec, s[6:7]
	s_and_saveexec_b64 s[6:7], s[4:5]
	s_cbranch_execnz .LBB23_283
	s_branch .LBB23_284
.LBB23_2333:
	s_movk_i32 s4, 0x80
	v_cmp_eq_u16_sdwa s[12:13], v10, s4 src0_sel:BYTE_3 src1_sel:DWORD
	s_mov_b64 s[4:5], -1
                                        ; implicit-def: $sgpr10
	s_and_saveexec_b64 s[8:9], s[12:13]
; %bb.2334:
	s_mov_b32 s10, 0x7f800001
	s_xor_b64 s[4:5], exec, -1
; %bb.2335:
	s_or_b64 exec, exec, s[8:9]
	s_and_b64 s[4:5], s[4:5], exec
	s_or_saveexec_b64 s[6:7], s[6:7]
	v_mov_b32_e32 v14, s10
	s_xor_b64 exec, exec, s[6:7]
	s_cbranch_execz .LBB23_286
.LBB23_2336:
	v_mov_b32_e32 v14, 0
	v_cmp_ne_u16_sdwa s[8:9], v10, v14 src0_sel:BYTE_3 src1_sel:DWORD
	s_andn2_b64 s[4:5], s[4:5], exec
	s_and_b64 s[8:9], s[8:9], exec
	s_or_b64 s[4:5], s[4:5], s[8:9]
	s_or_b64 exec, exec, s[6:7]
	s_and_saveexec_b64 s[6:7], s[4:5]
	s_cbranch_execnz .LBB23_287
	s_branch .LBB23_288
.LBB23_2337:
	s_movk_i32 s4, 0x80
	v_cmp_eq_u16_sdwa s[12:13], v15, s4 src0_sel:BYTE_0 src1_sel:DWORD
	s_mov_b64 s[4:5], -1
                                        ; implicit-def: $sgpr10
	s_and_saveexec_b64 s[8:9], s[12:13]
; %bb.2338:
	s_mov_b32 s10, 0x7f800001
	s_xor_b64 s[4:5], exec, -1
; %bb.2339:
	s_or_b64 exec, exec, s[8:9]
	s_and_b64 s[4:5], s[4:5], exec
	s_or_saveexec_b64 s[6:7], s[6:7]
	v_mov_b32_e32 v10, s10
	s_xor_b64 exec, exec, s[6:7]
	s_cbranch_execz .LBB23_290
.LBB23_2340:
	v_mov_b32_e32 v10, 0
	v_cmp_ne_u16_sdwa s[8:9], v15, v10 src0_sel:BYTE_0 src1_sel:DWORD
	s_andn2_b64 s[4:5], s[4:5], exec
	s_and_b64 s[8:9], s[8:9], exec
	s_or_b64 s[4:5], s[4:5], s[8:9]
	s_or_b64 exec, exec, s[6:7]
	s_and_saveexec_b64 s[6:7], s[4:5]
	s_cbranch_execnz .LBB23_291
	s_branch .LBB23_292
.LBB23_2341:
	s_movk_i32 s4, 0x80
	v_cmp_eq_u16_sdwa s[12:13], v11, s4 src0_sel:BYTE_0 src1_sel:DWORD
	s_mov_b64 s[4:5], -1
                                        ; implicit-def: $sgpr10
	s_and_saveexec_b64 s[8:9], s[12:13]
; %bb.2342:
	s_mov_b32 s10, 0x7f800001
	s_xor_b64 s[4:5], exec, -1
; %bb.2343:
	s_or_b64 exec, exec, s[8:9]
	s_and_b64 s[4:5], s[4:5], exec
	s_or_saveexec_b64 s[6:7], s[6:7]
	v_mov_b32_e32 v14, s10
	s_xor_b64 exec, exec, s[6:7]
	s_cbranch_execz .LBB23_294
.LBB23_2344:
	v_mov_b32_e32 v14, 0
	v_cmp_ne_u16_sdwa s[8:9], v11, v14 src0_sel:BYTE_0 src1_sel:DWORD
	s_andn2_b64 s[4:5], s[4:5], exec
	s_and_b64 s[8:9], s[8:9], exec
	s_or_b64 s[4:5], s[4:5], s[8:9]
	s_or_b64 exec, exec, s[6:7]
	s_and_saveexec_b64 s[6:7], s[4:5]
	s_cbranch_execnz .LBB23_295
	s_branch .LBB23_296
.LBB23_2345:
	s_movk_i32 s4, 0x80
	v_cmp_eq_u16_sdwa s[12:13], v14, s4 src0_sel:BYTE_0 src1_sel:DWORD
	s_mov_b64 s[4:5], -1
                                        ; implicit-def: $sgpr10
	s_and_saveexec_b64 s[8:9], s[12:13]
; %bb.2346:
	s_mov_b32 s10, 0x7f800001
	s_xor_b64 s[4:5], exec, -1
; %bb.2347:
	s_or_b64 exec, exec, s[8:9]
	s_and_b64 s[4:5], s[4:5], exec
	s_or_saveexec_b64 s[6:7], s[6:7]
	v_mov_b32_e32 v10, s10
	s_xor_b64 exec, exec, s[6:7]
	s_cbranch_execz .LBB23_298
.LBB23_2348:
	v_mov_b32_e32 v10, 0
	v_cmp_ne_u16_sdwa s[8:9], v14, v10 src0_sel:BYTE_0 src1_sel:DWORD
	s_andn2_b64 s[4:5], s[4:5], exec
	s_and_b64 s[8:9], s[8:9], exec
	s_or_b64 s[4:5], s[4:5], s[8:9]
	s_or_b64 exec, exec, s[6:7]
	s_and_saveexec_b64 s[6:7], s[4:5]
	s_cbranch_execnz .LBB23_299
	s_branch .LBB23_300
.LBB23_2349:
	s_movk_i32 s4, 0x80
	v_cmp_eq_u16_sdwa s[12:13], v14, s4 src0_sel:BYTE_0 src1_sel:DWORD
	s_mov_b64 s[4:5], -1
                                        ; implicit-def: $sgpr10
	s_and_saveexec_b64 s[8:9], s[12:13]
; %bb.2350:
	s_mov_b32 s10, 0x7f800001
	s_xor_b64 s[4:5], exec, -1
; %bb.2351:
	s_or_b64 exec, exec, s[8:9]
	s_and_b64 s[4:5], s[4:5], exec
	s_or_saveexec_b64 s[6:7], s[6:7]
	v_mov_b32_e32 v20, s10
	s_xor_b64 exec, exec, s[6:7]
	s_cbranch_execz .LBB23_302
.LBB23_2352:
	v_mov_b32_e32 v20, 0
	v_cmp_ne_u16_sdwa s[8:9], v14, v20 src0_sel:BYTE_0 src1_sel:DWORD
	s_andn2_b64 s[4:5], s[4:5], exec
	s_and_b64 s[8:9], s[8:9], exec
	s_or_b64 s[4:5], s[4:5], s[8:9]
	s_or_b64 exec, exec, s[6:7]
	s_and_saveexec_b64 s[6:7], s[4:5]
	s_cbranch_execnz .LBB23_303
	s_branch .LBB23_304
.LBB23_2353:
	s_movk_i32 s4, 0x80
	v_cmp_eq_u16_e32 vcc, s4, v14
	s_mov_b64 s[4:5], -1
                                        ; implicit-def: $sgpr10
	s_and_saveexec_b64 s[8:9], vcc
; %bb.2354:
	s_mov_b32 s10, 0x7f800001
	s_xor_b64 s[4:5], exec, -1
; %bb.2355:
	s_or_b64 exec, exec, s[8:9]
	s_and_b64 s[4:5], s[4:5], exec
                                        ; implicit-def: $vgpr14
	s_or_saveexec_b64 s[6:7], s[6:7]
	v_mov_b32_e32 v10, s10
	s_xor_b64 exec, exec, s[6:7]
	s_cbranch_execz .LBB23_306
.LBB23_2356:
	v_cmp_ne_u16_e32 vcc, 0, v14
	s_andn2_b64 s[4:5], s[4:5], exec
	s_and_b64 s[8:9], vcc, exec
	v_mov_b32_e32 v10, 0
	s_or_b64 s[4:5], s[4:5], s[8:9]
	s_or_b64 exec, exec, s[6:7]
	s_and_saveexec_b64 s[6:7], s[4:5]
	s_cbranch_execnz .LBB23_307
	s_branch .LBB23_308
.LBB23_2357:
	s_movk_i32 s4, 0x80
	v_cmp_eq_u16_e32 vcc, s4, v14
	s_mov_b64 s[4:5], -1
                                        ; implicit-def: $sgpr10
	s_and_saveexec_b64 s[8:9], vcc
; %bb.2358:
	s_mov_b32 s10, 0x7f800001
	s_xor_b64 s[4:5], exec, -1
; %bb.2359:
	s_or_b64 exec, exec, s[8:9]
	s_and_b64 s[4:5], s[4:5], exec
                                        ; implicit-def: $vgpr14
	s_or_saveexec_b64 s[6:7], s[6:7]
	v_mov_b32_e32 v20, s10
	s_xor_b64 exec, exec, s[6:7]
	s_cbranch_execz .LBB23_310
.LBB23_2360:
	v_cmp_ne_u16_e32 vcc, 0, v14
	s_andn2_b64 s[4:5], s[4:5], exec
	s_and_b64 s[8:9], vcc, exec
	v_mov_b32_e32 v20, 0
	s_or_b64 s[4:5], s[4:5], s[8:9]
	s_or_b64 exec, exec, s[6:7]
	s_and_saveexec_b64 s[6:7], s[4:5]
	s_cbranch_execnz .LBB23_311
	s_branch .LBB23_312
.LBB23_2361:
	s_movk_i32 s4, 0x80
	v_cmp_eq_u16_sdwa s[12:13], v15, s4 src0_sel:BYTE_3 src1_sel:DWORD
	s_mov_b64 s[4:5], -1
                                        ; implicit-def: $sgpr10
	s_and_saveexec_b64 s[8:9], s[12:13]
; %bb.2362:
	s_mov_b32 s10, 0x7f800001
	s_xor_b64 s[4:5], exec, -1
; %bb.2363:
	s_or_b64 exec, exec, s[8:9]
	s_and_b64 s[4:5], s[4:5], exec
	s_or_saveexec_b64 s[6:7], s[6:7]
	v_mov_b32_e32 v10, s10
	s_xor_b64 exec, exec, s[6:7]
	s_cbranch_execz .LBB23_314
.LBB23_2364:
	v_mov_b32_e32 v10, 0
	v_cmp_ne_u16_sdwa s[8:9], v15, v10 src0_sel:BYTE_3 src1_sel:DWORD
	s_andn2_b64 s[4:5], s[4:5], exec
	s_and_b64 s[8:9], s[8:9], exec
	s_or_b64 s[4:5], s[4:5], s[8:9]
	s_or_b64 exec, exec, s[6:7]
	s_and_saveexec_b64 s[6:7], s[4:5]
	s_cbranch_execnz .LBB23_315
	s_branch .LBB23_316
.LBB23_2365:
	s_movk_i32 s4, 0x80
	v_cmp_eq_u16_sdwa s[12:13], v11, s4 src0_sel:BYTE_3 src1_sel:DWORD
	s_mov_b64 s[4:5], -1
                                        ; implicit-def: $sgpr10
	s_and_saveexec_b64 s[8:9], s[12:13]
; %bb.2366:
	s_mov_b32 s10, 0x7f800001
	s_xor_b64 s[4:5], exec, -1
; %bb.2367:
	s_or_b64 exec, exec, s[8:9]
	s_and_b64 s[4:5], s[4:5], exec
	s_or_saveexec_b64 s[6:7], s[6:7]
	v_mov_b32_e32 v14, s10
	s_xor_b64 exec, exec, s[6:7]
	s_cbranch_execz .LBB23_318
.LBB23_2368:
	v_mov_b32_e32 v14, 0
	v_cmp_ne_u16_sdwa s[8:9], v11, v14 src0_sel:BYTE_3 src1_sel:DWORD
	s_andn2_b64 s[4:5], s[4:5], exec
	s_and_b64 s[8:9], s[8:9], exec
	s_or_b64 s[4:5], s[4:5], s[8:9]
	s_or_b64 exec, exec, s[6:7]
	s_and_saveexec_b64 s[6:7], s[4:5]
	s_cbranch_execnz .LBB23_319
	s_branch .LBB23_320
.LBB23_2369:
	s_movk_i32 s4, 0x80
	v_cmp_eq_u16_sdwa s[12:13], v16, s4 src0_sel:BYTE_0 src1_sel:DWORD
	s_mov_b64 s[4:5], -1
                                        ; implicit-def: $sgpr10
	s_and_saveexec_b64 s[8:9], s[12:13]
; %bb.2370:
	s_mov_b32 s10, 0x7f800001
	s_xor_b64 s[4:5], exec, -1
; %bb.2371:
	s_or_b64 exec, exec, s[8:9]
	s_and_b64 s[4:5], s[4:5], exec
	s_or_saveexec_b64 s[6:7], s[6:7]
	v_mov_b32_e32 v10, s10
	s_xor_b64 exec, exec, s[6:7]
	s_cbranch_execz .LBB23_322
.LBB23_2372:
	v_mov_b32_e32 v10, 0
	v_cmp_ne_u16_sdwa s[8:9], v16, v10 src0_sel:BYTE_0 src1_sel:DWORD
	s_andn2_b64 s[4:5], s[4:5], exec
	s_and_b64 s[8:9], s[8:9], exec
	s_or_b64 s[4:5], s[4:5], s[8:9]
	s_or_b64 exec, exec, s[6:7]
	s_and_saveexec_b64 s[6:7], s[4:5]
	s_cbranch_execnz .LBB23_323
	s_branch .LBB23_324
.LBB23_2373:
	s_movk_i32 s4, 0x80
	v_cmp_eq_u16_sdwa s[12:13], v12, s4 src0_sel:BYTE_0 src1_sel:DWORD
	s_mov_b64 s[4:5], -1
                                        ; implicit-def: $sgpr10
	s_and_saveexec_b64 s[8:9], s[12:13]
; %bb.2374:
	s_mov_b32 s10, 0x7f800001
	s_xor_b64 s[4:5], exec, -1
; %bb.2375:
	s_or_b64 exec, exec, s[8:9]
	s_and_b64 s[4:5], s[4:5], exec
	s_or_saveexec_b64 s[6:7], s[6:7]
	v_mov_b32_e32 v11, s10
	s_xor_b64 exec, exec, s[6:7]
	s_cbranch_execz .LBB23_326
.LBB23_2376:
	v_mov_b32_e32 v11, 0
	v_cmp_ne_u16_sdwa s[8:9], v12, v11 src0_sel:BYTE_0 src1_sel:DWORD
	s_andn2_b64 s[4:5], s[4:5], exec
	s_and_b64 s[8:9], s[8:9], exec
	s_or_b64 s[4:5], s[4:5], s[8:9]
	s_or_b64 exec, exec, s[6:7]
	s_and_saveexec_b64 s[6:7], s[4:5]
	s_cbranch_execnz .LBB23_327
	s_branch .LBB23_328
.LBB23_2377:
	s_movk_i32 s4, 0x80
	v_cmp_eq_u16_sdwa s[12:13], v11, s4 src0_sel:BYTE_0 src1_sel:DWORD
	s_mov_b64 s[4:5], -1
                                        ; implicit-def: $sgpr10
	s_and_saveexec_b64 s[8:9], s[12:13]
; %bb.2378:
	s_mov_b32 s10, 0x7f800001
	s_xor_b64 s[4:5], exec, -1
; %bb.2379:
	s_or_b64 exec, exec, s[8:9]
	s_and_b64 s[4:5], s[4:5], exec
	s_or_saveexec_b64 s[6:7], s[6:7]
	v_mov_b32_e32 v10, s10
	s_xor_b64 exec, exec, s[6:7]
	s_cbranch_execz .LBB23_330
.LBB23_2380:
	v_mov_b32_e32 v10, 0
	v_cmp_ne_u16_sdwa s[8:9], v11, v10 src0_sel:BYTE_0 src1_sel:DWORD
	s_andn2_b64 s[4:5], s[4:5], exec
	s_and_b64 s[8:9], s[8:9], exec
	s_or_b64 s[4:5], s[4:5], s[8:9]
	s_or_b64 exec, exec, s[6:7]
	s_and_saveexec_b64 s[6:7], s[4:5]
	s_cbranch_execnz .LBB23_331
	s_branch .LBB23_332
.LBB23_2381:
	s_movk_i32 s4, 0x80
	v_cmp_eq_u16_sdwa s[12:13], v11, s4 src0_sel:BYTE_0 src1_sel:DWORD
	s_mov_b64 s[4:5], -1
                                        ; implicit-def: $sgpr10
	s_and_saveexec_b64 s[8:9], s[12:13]
; %bb.2382:
	s_mov_b32 s10, 0x7f800001
	s_xor_b64 s[4:5], exec, -1
; %bb.2383:
	s_or_b64 exec, exec, s[8:9]
	s_and_b64 s[4:5], s[4:5], exec
	s_or_saveexec_b64 s[6:7], s[6:7]
	v_mov_b32_e32 v14, s10
	s_xor_b64 exec, exec, s[6:7]
	s_cbranch_execz .LBB23_334
.LBB23_2384:
	v_mov_b32_e32 v14, 0
	v_cmp_ne_u16_sdwa s[8:9], v11, v14 src0_sel:BYTE_0 src1_sel:DWORD
	s_andn2_b64 s[4:5], s[4:5], exec
	s_and_b64 s[8:9], s[8:9], exec
	s_or_b64 s[4:5], s[4:5], s[8:9]
	s_or_b64 exec, exec, s[6:7]
	s_and_saveexec_b64 s[6:7], s[4:5]
	s_cbranch_execnz .LBB23_335
	s_branch .LBB23_336
.LBB23_2385:
	s_movk_i32 s4, 0x80
	v_cmp_eq_u16_e32 vcc, s4, v11
	s_mov_b64 s[4:5], -1
                                        ; implicit-def: $sgpr10
	s_and_saveexec_b64 s[8:9], vcc
; %bb.2386:
	s_mov_b32 s10, 0x7f800001
	s_xor_b64 s[4:5], exec, -1
; %bb.2387:
	s_or_b64 exec, exec, s[8:9]
	s_and_b64 s[4:5], s[4:5], exec
                                        ; implicit-def: $vgpr11
	s_or_saveexec_b64 s[6:7], s[6:7]
	v_mov_b32_e32 v10, s10
	s_xor_b64 exec, exec, s[6:7]
	s_cbranch_execz .LBB23_338
.LBB23_2388:
	v_cmp_ne_u16_e32 vcc, 0, v11
	s_andn2_b64 s[4:5], s[4:5], exec
	s_and_b64 s[8:9], vcc, exec
	v_mov_b32_e32 v10, 0
	s_or_b64 s[4:5], s[4:5], s[8:9]
	s_or_b64 exec, exec, s[6:7]
	s_and_saveexec_b64 s[6:7], s[4:5]
	s_cbranch_execnz .LBB23_339
	s_branch .LBB23_340
.LBB23_2389:
	s_movk_i32 s4, 0x80
	v_cmp_eq_u16_e32 vcc, s4, v11
	s_mov_b64 s[4:5], -1
                                        ; implicit-def: $sgpr10
	s_and_saveexec_b64 s[8:9], vcc
; %bb.2390:
	s_mov_b32 s10, 0x7f800001
	s_xor_b64 s[4:5], exec, -1
; %bb.2391:
	s_or_b64 exec, exec, s[8:9]
	s_and_b64 s[4:5], s[4:5], exec
                                        ; implicit-def: $vgpr11
	s_or_saveexec_b64 s[6:7], s[6:7]
	v_mov_b32_e32 v14, s10
	s_xor_b64 exec, exec, s[6:7]
	s_cbranch_execz .LBB23_342
.LBB23_2392:
	v_cmp_ne_u16_e32 vcc, 0, v11
	s_andn2_b64 s[4:5], s[4:5], exec
	s_and_b64 s[8:9], vcc, exec
	v_mov_b32_e32 v14, 0
	s_or_b64 s[4:5], s[4:5], s[8:9]
	s_or_b64 exec, exec, s[6:7]
	s_and_saveexec_b64 s[6:7], s[4:5]
	s_cbranch_execnz .LBB23_343
	s_branch .LBB23_344
.LBB23_2393:
	s_movk_i32 s4, 0x80
	v_cmp_eq_u16_sdwa s[12:13], v16, s4 src0_sel:BYTE_3 src1_sel:DWORD
	s_mov_b64 s[4:5], -1
                                        ; implicit-def: $sgpr10
	s_and_saveexec_b64 s[8:9], s[12:13]
; %bb.2394:
	s_mov_b32 s10, 0x7f800001
	s_xor_b64 s[4:5], exec, -1
; %bb.2395:
	s_or_b64 exec, exec, s[8:9]
	s_and_b64 s[4:5], s[4:5], exec
	s_or_saveexec_b64 s[6:7], s[6:7]
	v_mov_b32_e32 v10, s10
	s_xor_b64 exec, exec, s[6:7]
	s_cbranch_execz .LBB23_346
.LBB23_2396:
	v_mov_b32_e32 v10, 0
	v_cmp_ne_u16_sdwa s[8:9], v16, v10 src0_sel:BYTE_3 src1_sel:DWORD
	s_andn2_b64 s[4:5], s[4:5], exec
	s_and_b64 s[8:9], s[8:9], exec
	s_or_b64 s[4:5], s[4:5], s[8:9]
	s_or_b64 exec, exec, s[6:7]
	s_and_saveexec_b64 s[6:7], s[4:5]
	s_cbranch_execnz .LBB23_347
	s_branch .LBB23_348
.LBB23_2397:
	s_movk_i32 s4, 0x80
	v_cmp_eq_u16_sdwa s[12:13], v12, s4 src0_sel:BYTE_3 src1_sel:DWORD
	s_mov_b64 s[4:5], -1
                                        ; implicit-def: $sgpr10
	s_and_saveexec_b64 s[8:9], s[12:13]
; %bb.2398:
	s_mov_b32 s10, 0x7f800001
	s_xor_b64 s[4:5], exec, -1
; %bb.2399:
	s_or_b64 exec, exec, s[8:9]
	s_and_b64 s[4:5], s[4:5], exec
	s_or_saveexec_b64 s[6:7], s[6:7]
	v_mov_b32_e32 v11, s10
	s_xor_b64 exec, exec, s[6:7]
	s_cbranch_execz .LBB23_350
.LBB23_2400:
	v_mov_b32_e32 v11, 0
	v_cmp_ne_u16_sdwa s[8:9], v12, v11 src0_sel:BYTE_3 src1_sel:DWORD
	s_andn2_b64 s[4:5], s[4:5], exec
	s_and_b64 s[8:9], s[8:9], exec
	s_or_b64 s[4:5], s[4:5], s[8:9]
	s_or_b64 exec, exec, s[6:7]
	s_and_saveexec_b64 s[6:7], s[4:5]
	s_cbranch_execnz .LBB23_351
	s_branch .LBB23_352
.LBB23_2401:
	s_movk_i32 s4, 0x80
	v_cmp_eq_u16_sdwa s[12:13], v17, s4 src0_sel:BYTE_0 src1_sel:DWORD
	s_mov_b64 s[4:5], -1
                                        ; implicit-def: $sgpr10
	s_and_saveexec_b64 s[8:9], s[12:13]
; %bb.2402:
	s_mov_b32 s10, 0x7f800001
	s_xor_b64 s[4:5], exec, -1
; %bb.2403:
	s_or_b64 exec, exec, s[8:9]
	s_and_b64 s[4:5], s[4:5], exec
	s_or_saveexec_b64 s[6:7], s[6:7]
	v_mov_b32_e32 v10, s10
	s_xor_b64 exec, exec, s[6:7]
	s_cbranch_execz .LBB23_354
.LBB23_2404:
	v_mov_b32_e32 v10, 0
	v_cmp_ne_u16_sdwa s[8:9], v17, v10 src0_sel:BYTE_0 src1_sel:DWORD
	s_andn2_b64 s[4:5], s[4:5], exec
	s_and_b64 s[8:9], s[8:9], exec
	s_or_b64 s[4:5], s[4:5], s[8:9]
	s_or_b64 exec, exec, s[6:7]
	s_and_saveexec_b64 s[6:7], s[4:5]
	s_cbranch_execnz .LBB23_355
	s_branch .LBB23_356
.LBB23_2405:
	s_movk_i32 s4, 0x80
	v_cmp_eq_u16_sdwa s[12:13], v13, s4 src0_sel:BYTE_0 src1_sel:DWORD
	s_mov_b64 s[4:5], -1
                                        ; implicit-def: $sgpr10
	s_and_saveexec_b64 s[8:9], s[12:13]
; %bb.2406:
	s_mov_b32 s10, 0x7f800001
	s_xor_b64 s[4:5], exec, -1
; %bb.2407:
	s_or_b64 exec, exec, s[8:9]
	s_and_b64 s[4:5], s[4:5], exec
	s_or_saveexec_b64 s[6:7], s[6:7]
	v_mov_b32_e32 v11, s10
	s_xor_b64 exec, exec, s[6:7]
	s_cbranch_execz .LBB23_358
.LBB23_2408:
	v_mov_b32_e32 v11, 0
	v_cmp_ne_u16_sdwa s[8:9], v13, v11 src0_sel:BYTE_0 src1_sel:DWORD
	s_andn2_b64 s[4:5], s[4:5], exec
	s_and_b64 s[8:9], s[8:9], exec
	s_or_b64 s[4:5], s[4:5], s[8:9]
	s_or_b64 exec, exec, s[6:7]
	s_and_saveexec_b64 s[6:7], s[4:5]
	s_cbranch_execnz .LBB23_359
	s_branch .LBB23_360
.LBB23_2409:
	s_movk_i32 s4, 0x80
	v_cmp_eq_u16_sdwa s[12:13], v11, s4 src0_sel:BYTE_0 src1_sel:DWORD
	s_mov_b64 s[4:5], -1
                                        ; implicit-def: $sgpr10
	s_and_saveexec_b64 s[8:9], s[12:13]
; %bb.2410:
	s_mov_b32 s10, 0x7f800001
	s_xor_b64 s[4:5], exec, -1
; %bb.2411:
	s_or_b64 exec, exec, s[8:9]
	s_and_b64 s[4:5], s[4:5], exec
	s_or_saveexec_b64 s[6:7], s[6:7]
	v_mov_b32_e32 v10, s10
	s_xor_b64 exec, exec, s[6:7]
	s_cbranch_execz .LBB23_362
.LBB23_2412:
	v_mov_b32_e32 v10, 0
	v_cmp_ne_u16_sdwa s[8:9], v11, v10 src0_sel:BYTE_0 src1_sel:DWORD
	s_andn2_b64 s[4:5], s[4:5], exec
	s_and_b64 s[8:9], s[8:9], exec
	s_or_b64 s[4:5], s[4:5], s[8:9]
	s_or_b64 exec, exec, s[6:7]
	s_and_saveexec_b64 s[6:7], s[4:5]
	s_cbranch_execnz .LBB23_363
	s_branch .LBB23_364
.LBB23_2413:
	s_movk_i32 s4, 0x80
	v_cmp_eq_u16_sdwa s[12:13], v11, s4 src0_sel:BYTE_0 src1_sel:DWORD
	s_mov_b64 s[4:5], -1
                                        ; implicit-def: $sgpr10
	s_and_saveexec_b64 s[8:9], s[12:13]
; %bb.2414:
	s_mov_b32 s10, 0x7f800001
	s_xor_b64 s[4:5], exec, -1
; %bb.2415:
	s_or_b64 exec, exec, s[8:9]
	s_and_b64 s[4:5], s[4:5], exec
	s_or_saveexec_b64 s[6:7], s[6:7]
	v_mov_b32_e32 v12, s10
	s_xor_b64 exec, exec, s[6:7]
	s_cbranch_execz .LBB23_366
.LBB23_2416:
	v_mov_b32_e32 v12, 0
	v_cmp_ne_u16_sdwa s[8:9], v11, v12 src0_sel:BYTE_0 src1_sel:DWORD
	s_andn2_b64 s[4:5], s[4:5], exec
	s_and_b64 s[8:9], s[8:9], exec
	s_or_b64 s[4:5], s[4:5], s[8:9]
	s_or_b64 exec, exec, s[6:7]
	s_and_saveexec_b64 s[6:7], s[4:5]
	s_cbranch_execnz .LBB23_367
	s_branch .LBB23_368
.LBB23_2417:
	s_movk_i32 s4, 0x80
	v_cmp_eq_u16_e32 vcc, s4, v11
	s_mov_b64 s[4:5], -1
                                        ; implicit-def: $sgpr10
	s_and_saveexec_b64 s[8:9], vcc
; %bb.2418:
	s_mov_b32 s10, 0x7f800001
	s_xor_b64 s[4:5], exec, -1
; %bb.2419:
	s_or_b64 exec, exec, s[8:9]
	s_and_b64 s[4:5], s[4:5], exec
                                        ; implicit-def: $vgpr11
	s_or_saveexec_b64 s[6:7], s[6:7]
	v_mov_b32_e32 v10, s10
	s_xor_b64 exec, exec, s[6:7]
	s_cbranch_execz .LBB23_370
.LBB23_2420:
	v_cmp_ne_u16_e32 vcc, 0, v11
	s_andn2_b64 s[4:5], s[4:5], exec
	s_and_b64 s[8:9], vcc, exec
	v_mov_b32_e32 v10, 0
	s_or_b64 s[4:5], s[4:5], s[8:9]
	s_or_b64 exec, exec, s[6:7]
	s_and_saveexec_b64 s[6:7], s[4:5]
	s_cbranch_execnz .LBB23_371
	s_branch .LBB23_372
.LBB23_2421:
	s_movk_i32 s4, 0x80
	v_cmp_eq_u16_e32 vcc, s4, v11
	s_mov_b64 s[4:5], -1
                                        ; implicit-def: $sgpr10
	s_and_saveexec_b64 s[8:9], vcc
; %bb.2422:
	s_mov_b32 s10, 0x7f800001
	s_xor_b64 s[4:5], exec, -1
; %bb.2423:
	s_or_b64 exec, exec, s[8:9]
	s_and_b64 s[4:5], s[4:5], exec
                                        ; implicit-def: $vgpr11
	s_or_saveexec_b64 s[6:7], s[6:7]
	v_mov_b32_e32 v12, s10
	s_xor_b64 exec, exec, s[6:7]
	s_cbranch_execz .LBB23_374
.LBB23_2424:
	v_cmp_ne_u16_e32 vcc, 0, v11
	s_andn2_b64 s[4:5], s[4:5], exec
	s_and_b64 s[8:9], vcc, exec
	v_mov_b32_e32 v12, 0
	s_or_b64 s[4:5], s[4:5], s[8:9]
	s_or_b64 exec, exec, s[6:7]
	s_and_saveexec_b64 s[6:7], s[4:5]
	s_cbranch_execnz .LBB23_375
	s_branch .LBB23_376
.LBB23_2425:
	s_movk_i32 s4, 0x80
	v_cmp_eq_u16_sdwa s[12:13], v17, s4 src0_sel:BYTE_3 src1_sel:DWORD
	s_mov_b64 s[4:5], -1
                                        ; implicit-def: $sgpr10
	s_and_saveexec_b64 s[8:9], s[12:13]
; %bb.2426:
	s_mov_b32 s10, 0x7f800001
	s_xor_b64 s[4:5], exec, -1
; %bb.2427:
	s_or_b64 exec, exec, s[8:9]
	s_and_b64 s[4:5], s[4:5], exec
	s_or_saveexec_b64 s[6:7], s[6:7]
	v_mov_b32_e32 v10, s10
	s_xor_b64 exec, exec, s[6:7]
	s_cbranch_execz .LBB23_378
.LBB23_2428:
	v_mov_b32_e32 v10, 0
	v_cmp_ne_u16_sdwa s[8:9], v17, v10 src0_sel:BYTE_3 src1_sel:DWORD
	s_andn2_b64 s[4:5], s[4:5], exec
	s_and_b64 s[8:9], s[8:9], exec
	s_or_b64 s[4:5], s[4:5], s[8:9]
	s_or_b64 exec, exec, s[6:7]
	s_and_saveexec_b64 s[6:7], s[4:5]
	s_cbranch_execnz .LBB23_379
	s_branch .LBB23_380
.LBB23_2429:
	s_movk_i32 s4, 0x80
	v_cmp_eq_u16_sdwa s[12:13], v13, s4 src0_sel:BYTE_3 src1_sel:DWORD
	s_mov_b64 s[4:5], -1
                                        ; implicit-def: $sgpr10
	s_and_saveexec_b64 s[8:9], s[12:13]
; %bb.2430:
	s_mov_b32 s10, 0x7f800001
	s_xor_b64 s[4:5], exec, -1
; %bb.2431:
	s_or_b64 exec, exec, s[8:9]
	s_and_b64 s[4:5], s[4:5], exec
	s_or_saveexec_b64 s[6:7], s[6:7]
	v_mov_b32_e32 v11, s10
	s_xor_b64 exec, exec, s[6:7]
	s_cbranch_execz .LBB23_382
.LBB23_2432:
	v_mov_b32_e32 v11, 0
	v_cmp_ne_u16_sdwa s[8:9], v13, v11 src0_sel:BYTE_3 src1_sel:DWORD
	s_andn2_b64 s[4:5], s[4:5], exec
	s_and_b64 s[8:9], s[8:9], exec
	s_or_b64 s[4:5], s[4:5], s[8:9]
	s_or_b64 exec, exec, s[6:7]
	s_and_saveexec_b64 s[6:7], s[4:5]
	s_cbranch_execnz .LBB23_383
	s_branch .LBB23_384
.LBB23_2433:
	s_movk_i32 s4, 0x80
	v_cmp_eq_u16_sdwa s[12:13], v6, s4 src0_sel:BYTE_0 src1_sel:DWORD
	s_mov_b64 s[4:5], -1
                                        ; implicit-def: $sgpr10
	s_and_saveexec_b64 s[8:9], s[12:13]
; %bb.2434:
	s_mov_b32 s10, 0x7f800001
	s_xor_b64 s[4:5], exec, -1
; %bb.2435:
	s_or_b64 exec, exec, s[8:9]
	s_and_b64 s[4:5], s[4:5], exec
	s_or_saveexec_b64 s[6:7], s[6:7]
	v_mov_b32_e32 v10, s10
	s_xor_b64 exec, exec, s[6:7]
	s_cbranch_execz .LBB23_386
.LBB23_2436:
	v_mov_b32_e32 v10, 0
	v_cmp_ne_u16_sdwa s[8:9], v6, v10 src0_sel:BYTE_0 src1_sel:DWORD
	s_andn2_b64 s[4:5], s[4:5], exec
	s_and_b64 s[8:9], s[8:9], exec
	s_or_b64 s[4:5], s[4:5], s[8:9]
	s_or_b64 exec, exec, s[6:7]
	s_and_saveexec_b64 s[6:7], s[4:5]
	s_cbranch_execnz .LBB23_387
	s_branch .LBB23_388
.LBB23_2437:
	s_movk_i32 s4, 0x80
	v_cmp_eq_u16_sdwa s[12:13], v2, s4 src0_sel:BYTE_0 src1_sel:DWORD
	s_mov_b64 s[4:5], -1
                                        ; implicit-def: $sgpr10
	s_and_saveexec_b64 s[8:9], s[12:13]
; %bb.2438:
	s_mov_b32 s10, 0x7f800001
	s_xor_b64 s[4:5], exec, -1
; %bb.2439:
	s_or_b64 exec, exec, s[8:9]
	s_and_b64 s[4:5], s[4:5], exec
	s_or_saveexec_b64 s[6:7], s[6:7]
	v_mov_b32_e32 v11, s10
	s_xor_b64 exec, exec, s[6:7]
	s_cbranch_execz .LBB23_390
.LBB23_2440:
	v_mov_b32_e32 v11, 0
	v_cmp_ne_u16_sdwa s[8:9], v2, v11 src0_sel:BYTE_0 src1_sel:DWORD
	s_andn2_b64 s[4:5], s[4:5], exec
	s_and_b64 s[8:9], s[8:9], exec
	s_or_b64 s[4:5], s[4:5], s[8:9]
	s_or_b64 exec, exec, s[6:7]
	s_and_saveexec_b64 s[6:7], s[4:5]
	s_cbranch_execnz .LBB23_391
	s_branch .LBB23_392
.LBB23_2441:
	s_movk_i32 s4, 0x80
	v_cmp_eq_u16_sdwa s[12:13], v11, s4 src0_sel:BYTE_0 src1_sel:DWORD
	s_mov_b64 s[4:5], -1
                                        ; implicit-def: $sgpr10
	s_and_saveexec_b64 s[8:9], s[12:13]
; %bb.2442:
	s_mov_b32 s10, 0x7f800001
	s_xor_b64 s[4:5], exec, -1
; %bb.2443:
	s_or_b64 exec, exec, s[8:9]
	s_and_b64 s[4:5], s[4:5], exec
	s_or_saveexec_b64 s[6:7], s[6:7]
	v_mov_b32_e32 v10, s10
	s_xor_b64 exec, exec, s[6:7]
	s_cbranch_execz .LBB23_394
.LBB23_2444:
	v_mov_b32_e32 v10, 0
	v_cmp_ne_u16_sdwa s[8:9], v11, v10 src0_sel:BYTE_0 src1_sel:DWORD
	s_andn2_b64 s[4:5], s[4:5], exec
	s_and_b64 s[8:9], s[8:9], exec
	s_or_b64 s[4:5], s[4:5], s[8:9]
	s_or_b64 exec, exec, s[6:7]
	s_and_saveexec_b64 s[6:7], s[4:5]
	s_cbranch_execnz .LBB23_395
	s_branch .LBB23_396
.LBB23_2445:
	s_movk_i32 s4, 0x80
	v_cmp_eq_u16_sdwa s[12:13], v11, s4 src0_sel:BYTE_0 src1_sel:DWORD
	s_mov_b64 s[4:5], -1
                                        ; implicit-def: $sgpr10
	s_and_saveexec_b64 s[8:9], s[12:13]
; %bb.2446:
	s_mov_b32 s10, 0x7f800001
	s_xor_b64 s[4:5], exec, -1
; %bb.2447:
	s_or_b64 exec, exec, s[8:9]
	s_and_b64 s[4:5], s[4:5], exec
	s_or_saveexec_b64 s[6:7], s[6:7]
	v_mov_b32_e32 v12, s10
	s_xor_b64 exec, exec, s[6:7]
	s_cbranch_execz .LBB23_398
.LBB23_2448:
	v_mov_b32_e32 v12, 0
	v_cmp_ne_u16_sdwa s[8:9], v11, v12 src0_sel:BYTE_0 src1_sel:DWORD
	s_andn2_b64 s[4:5], s[4:5], exec
	s_and_b64 s[8:9], s[8:9], exec
	s_or_b64 s[4:5], s[4:5], s[8:9]
	s_or_b64 exec, exec, s[6:7]
	s_and_saveexec_b64 s[6:7], s[4:5]
	s_cbranch_execnz .LBB23_399
	s_branch .LBB23_400
.LBB23_2449:
	s_movk_i32 s4, 0x80
	v_cmp_eq_u16_e32 vcc, s4, v11
	s_mov_b64 s[4:5], -1
                                        ; implicit-def: $sgpr10
	s_and_saveexec_b64 s[8:9], vcc
; %bb.2450:
	s_mov_b32 s10, 0x7f800001
	s_xor_b64 s[4:5], exec, -1
; %bb.2451:
	s_or_b64 exec, exec, s[8:9]
	s_and_b64 s[4:5], s[4:5], exec
                                        ; implicit-def: $vgpr11
	s_or_saveexec_b64 s[6:7], s[6:7]
	v_mov_b32_e32 v10, s10
	s_xor_b64 exec, exec, s[6:7]
	s_cbranch_execz .LBB23_402
.LBB23_2452:
	v_cmp_ne_u16_e32 vcc, 0, v11
	s_andn2_b64 s[4:5], s[4:5], exec
	s_and_b64 s[8:9], vcc, exec
	v_mov_b32_e32 v10, 0
	s_or_b64 s[4:5], s[4:5], s[8:9]
	s_or_b64 exec, exec, s[6:7]
	s_and_saveexec_b64 s[6:7], s[4:5]
	s_cbranch_execnz .LBB23_403
	s_branch .LBB23_404
.LBB23_2453:
	s_movk_i32 s4, 0x80
	v_cmp_eq_u16_e32 vcc, s4, v11
	s_mov_b64 s[4:5], -1
                                        ; implicit-def: $sgpr10
	s_and_saveexec_b64 s[8:9], vcc
; %bb.2454:
	s_mov_b32 s10, 0x7f800001
	s_xor_b64 s[4:5], exec, -1
; %bb.2455:
	s_or_b64 exec, exec, s[8:9]
	s_and_b64 s[4:5], s[4:5], exec
                                        ; implicit-def: $vgpr11
	s_or_saveexec_b64 s[6:7], s[6:7]
	v_mov_b32_e32 v12, s10
	s_xor_b64 exec, exec, s[6:7]
	s_cbranch_execz .LBB23_406
.LBB23_2456:
	v_cmp_ne_u16_e32 vcc, 0, v11
	s_andn2_b64 s[4:5], s[4:5], exec
	s_and_b64 s[8:9], vcc, exec
	v_mov_b32_e32 v12, 0
	s_or_b64 s[4:5], s[4:5], s[8:9]
	s_or_b64 exec, exec, s[6:7]
	s_and_saveexec_b64 s[6:7], s[4:5]
	s_cbranch_execnz .LBB23_407
	s_branch .LBB23_408
.LBB23_2457:
	s_movk_i32 s4, 0x80
	v_cmp_eq_u16_sdwa s[12:13], v6, s4 src0_sel:BYTE_3 src1_sel:DWORD
	s_mov_b64 s[4:5], -1
                                        ; implicit-def: $sgpr10
	s_and_saveexec_b64 s[8:9], s[12:13]
; %bb.2458:
	s_mov_b32 s10, 0x7f800001
	s_xor_b64 s[4:5], exec, -1
; %bb.2459:
	s_or_b64 exec, exec, s[8:9]
	s_and_b64 s[4:5], s[4:5], exec
	s_or_saveexec_b64 s[6:7], s[6:7]
	v_mov_b32_e32 v10, s10
	s_xor_b64 exec, exec, s[6:7]
	s_cbranch_execz .LBB23_410
.LBB23_2460:
	v_mov_b32_e32 v10, 0
	v_cmp_ne_u16_sdwa s[8:9], v6, v10 src0_sel:BYTE_3 src1_sel:DWORD
	s_andn2_b64 s[4:5], s[4:5], exec
	s_and_b64 s[8:9], s[8:9], exec
	s_or_b64 s[4:5], s[4:5], s[8:9]
	s_or_b64 exec, exec, s[6:7]
	s_and_saveexec_b64 s[6:7], s[4:5]
	s_cbranch_execnz .LBB23_411
	s_branch .LBB23_412
.LBB23_2461:
	s_movk_i32 s4, 0x80
	v_cmp_eq_u16_sdwa s[12:13], v2, s4 src0_sel:BYTE_3 src1_sel:DWORD
	s_mov_b64 s[4:5], -1
                                        ; implicit-def: $sgpr10
	s_and_saveexec_b64 s[8:9], s[12:13]
; %bb.2462:
	s_mov_b32 s10, 0x7f800001
	s_xor_b64 s[4:5], exec, -1
; %bb.2463:
	s_or_b64 exec, exec, s[8:9]
	s_and_b64 s[4:5], s[4:5], exec
	s_or_saveexec_b64 s[6:7], s[6:7]
	v_mov_b32_e32 v6, s10
	s_xor_b64 exec, exec, s[6:7]
	s_cbranch_execz .LBB23_414
.LBB23_2464:
	v_mov_b32_e32 v6, 0
	v_cmp_ne_u16_sdwa s[8:9], v2, v6 src0_sel:BYTE_3 src1_sel:DWORD
	s_andn2_b64 s[4:5], s[4:5], exec
	s_and_b64 s[8:9], s[8:9], exec
	s_or_b64 s[4:5], s[4:5], s[8:9]
	s_or_b64 exec, exec, s[6:7]
	s_and_saveexec_b64 s[6:7], s[4:5]
	s_cbranch_execnz .LBB23_415
	s_branch .LBB23_416
.LBB23_2465:
	s_movk_i32 s4, 0x80
	v_cmp_eq_u16_sdwa s[12:13], v7, s4 src0_sel:BYTE_0 src1_sel:DWORD
	s_mov_b64 s[4:5], -1
                                        ; implicit-def: $sgpr10
	s_and_saveexec_b64 s[8:9], s[12:13]
; %bb.2466:
	s_mov_b32 s10, 0x7f800001
	s_xor_b64 s[4:5], exec, -1
; %bb.2467:
	s_or_b64 exec, exec, s[8:9]
	s_and_b64 s[4:5], s[4:5], exec
	s_or_saveexec_b64 s[6:7], s[6:7]
	v_mov_b32_e32 v2, s10
	s_xor_b64 exec, exec, s[6:7]
	s_cbranch_execz .LBB23_418
.LBB23_2468:
	v_mov_b32_e32 v2, 0
	v_cmp_ne_u16_sdwa s[8:9], v7, v2 src0_sel:BYTE_0 src1_sel:DWORD
	s_andn2_b64 s[4:5], s[4:5], exec
	s_and_b64 s[8:9], s[8:9], exec
	s_or_b64 s[4:5], s[4:5], s[8:9]
	s_or_b64 exec, exec, s[6:7]
	s_and_saveexec_b64 s[6:7], s[4:5]
	s_cbranch_execnz .LBB23_419
	s_branch .LBB23_420
.LBB23_2469:
	s_movk_i32 s4, 0x80
	v_cmp_eq_u16_sdwa s[12:13], v3, s4 src0_sel:BYTE_0 src1_sel:DWORD
	s_mov_b64 s[4:5], -1
                                        ; implicit-def: $sgpr10
	s_and_saveexec_b64 s[8:9], s[12:13]
; %bb.2470:
	s_mov_b32 s10, 0x7f800001
	s_xor_b64 s[4:5], exec, -1
; %bb.2471:
	s_or_b64 exec, exec, s[8:9]
	s_and_b64 s[4:5], s[4:5], exec
	s_or_saveexec_b64 s[6:7], s[6:7]
	v_mov_b32_e32 v6, s10
	s_xor_b64 exec, exec, s[6:7]
	s_cbranch_execz .LBB23_422
.LBB23_2472:
	v_mov_b32_e32 v6, 0
	v_cmp_ne_u16_sdwa s[8:9], v3, v6 src0_sel:BYTE_0 src1_sel:DWORD
	s_andn2_b64 s[4:5], s[4:5], exec
	s_and_b64 s[8:9], s[8:9], exec
	s_or_b64 s[4:5], s[4:5], s[8:9]
	s_or_b64 exec, exec, s[6:7]
	s_and_saveexec_b64 s[6:7], s[4:5]
	s_cbranch_execnz .LBB23_423
	s_branch .LBB23_424
.LBB23_2473:
	s_movk_i32 s4, 0x80
	v_cmp_eq_u16_sdwa s[12:13], v6, s4 src0_sel:BYTE_0 src1_sel:DWORD
	s_mov_b64 s[4:5], -1
                                        ; implicit-def: $sgpr10
	s_and_saveexec_b64 s[8:9], s[12:13]
; %bb.2474:
	s_mov_b32 s10, 0x7f800001
	s_xor_b64 s[4:5], exec, -1
; %bb.2475:
	s_or_b64 exec, exec, s[8:9]
	s_and_b64 s[4:5], s[4:5], exec
	s_or_saveexec_b64 s[6:7], s[6:7]
	v_mov_b32_e32 v2, s10
	s_xor_b64 exec, exec, s[6:7]
	s_cbranch_execz .LBB23_426
.LBB23_2476:
	v_mov_b32_e32 v2, 0
	v_cmp_ne_u16_sdwa s[8:9], v6, v2 src0_sel:BYTE_0 src1_sel:DWORD
	s_andn2_b64 s[4:5], s[4:5], exec
	s_and_b64 s[8:9], s[8:9], exec
	s_or_b64 s[4:5], s[4:5], s[8:9]
	s_or_b64 exec, exec, s[6:7]
	s_and_saveexec_b64 s[6:7], s[4:5]
	s_cbranch_execnz .LBB23_427
	s_branch .LBB23_428
.LBB23_2477:
	s_movk_i32 s4, 0x80
	v_cmp_eq_u16_sdwa s[12:13], v6, s4 src0_sel:BYTE_0 src1_sel:DWORD
	s_mov_b64 s[4:5], -1
                                        ; implicit-def: $sgpr10
	s_and_saveexec_b64 s[8:9], s[12:13]
; %bb.2478:
	s_mov_b32 s10, 0x7f800001
	s_xor_b64 s[4:5], exec, -1
; %bb.2479:
	s_or_b64 exec, exec, s[8:9]
	s_and_b64 s[4:5], s[4:5], exec
	s_or_saveexec_b64 s[6:7], s[6:7]
	v_mov_b32_e32 v10, s10
	s_xor_b64 exec, exec, s[6:7]
	s_cbranch_execz .LBB23_430
.LBB23_2480:
	v_mov_b32_e32 v10, 0
	v_cmp_ne_u16_sdwa s[8:9], v6, v10 src0_sel:BYTE_0 src1_sel:DWORD
	s_andn2_b64 s[4:5], s[4:5], exec
	s_and_b64 s[8:9], s[8:9], exec
	s_or_b64 s[4:5], s[4:5], s[8:9]
	s_or_b64 exec, exec, s[6:7]
	s_and_saveexec_b64 s[6:7], s[4:5]
	s_cbranch_execnz .LBB23_431
	s_branch .LBB23_432
.LBB23_2481:
	s_movk_i32 s4, 0x80
	v_cmp_eq_u16_e32 vcc, s4, v6
	s_mov_b64 s[4:5], -1
                                        ; implicit-def: $sgpr10
	s_and_saveexec_b64 s[8:9], vcc
; %bb.2482:
	s_mov_b32 s10, 0x7f800001
	s_xor_b64 s[4:5], exec, -1
; %bb.2483:
	s_or_b64 exec, exec, s[8:9]
	s_and_b64 s[4:5], s[4:5], exec
                                        ; implicit-def: $vgpr6
	s_or_saveexec_b64 s[6:7], s[6:7]
	v_mov_b32_e32 v2, s10
	s_xor_b64 exec, exec, s[6:7]
	s_cbranch_execz .LBB23_434
.LBB23_2484:
	v_cmp_ne_u16_e32 vcc, 0, v6
	s_andn2_b64 s[4:5], s[4:5], exec
	s_and_b64 s[8:9], vcc, exec
	v_mov_b32_e32 v2, 0
	s_or_b64 s[4:5], s[4:5], s[8:9]
	s_or_b64 exec, exec, s[6:7]
	s_and_saveexec_b64 s[6:7], s[4:5]
	s_cbranch_execnz .LBB23_435
	s_branch .LBB23_436
.LBB23_2485:
	s_movk_i32 s4, 0x80
	v_cmp_eq_u16_e32 vcc, s4, v6
	s_mov_b64 s[4:5], -1
                                        ; implicit-def: $sgpr10
	s_and_saveexec_b64 s[8:9], vcc
; %bb.2486:
	s_mov_b32 s10, 0x7f800001
	s_xor_b64 s[4:5], exec, -1
; %bb.2487:
	s_or_b64 exec, exec, s[8:9]
	s_and_b64 s[4:5], s[4:5], exec
                                        ; implicit-def: $vgpr6
	s_or_saveexec_b64 s[6:7], s[6:7]
	v_mov_b32_e32 v10, s10
	s_xor_b64 exec, exec, s[6:7]
	s_cbranch_execz .LBB23_438
.LBB23_2488:
	v_cmp_ne_u16_e32 vcc, 0, v6
	s_andn2_b64 s[4:5], s[4:5], exec
	s_and_b64 s[8:9], vcc, exec
	v_mov_b32_e32 v10, 0
	s_or_b64 s[4:5], s[4:5], s[8:9]
	s_or_b64 exec, exec, s[6:7]
	s_and_saveexec_b64 s[6:7], s[4:5]
	s_cbranch_execnz .LBB23_439
	s_branch .LBB23_440
.LBB23_2489:
	s_movk_i32 s4, 0x80
	v_cmp_eq_u16_sdwa s[12:13], v7, s4 src0_sel:BYTE_3 src1_sel:DWORD
	s_mov_b64 s[4:5], -1
                                        ; implicit-def: $sgpr10
	s_and_saveexec_b64 s[8:9], s[12:13]
; %bb.2490:
	s_mov_b32 s10, 0x7f800001
	s_xor_b64 s[4:5], exec, -1
; %bb.2491:
	s_or_b64 exec, exec, s[8:9]
	s_and_b64 s[4:5], s[4:5], exec
	s_or_saveexec_b64 s[6:7], s[6:7]
	v_mov_b32_e32 v2, s10
	s_xor_b64 exec, exec, s[6:7]
	s_cbranch_execz .LBB23_442
.LBB23_2492:
	v_mov_b32_e32 v2, 0
	v_cmp_ne_u16_sdwa s[8:9], v7, v2 src0_sel:BYTE_3 src1_sel:DWORD
	s_andn2_b64 s[4:5], s[4:5], exec
	s_and_b64 s[8:9], s[8:9], exec
	s_or_b64 s[4:5], s[4:5], s[8:9]
	s_or_b64 exec, exec, s[6:7]
	s_and_saveexec_b64 s[6:7], s[4:5]
	s_cbranch_execnz .LBB23_443
	s_branch .LBB23_444
.LBB23_2493:
	s_movk_i32 s4, 0x80
	v_cmp_eq_u16_sdwa s[12:13], v3, s4 src0_sel:BYTE_3 src1_sel:DWORD
	s_mov_b64 s[4:5], -1
                                        ; implicit-def: $sgpr10
	s_and_saveexec_b64 s[8:9], s[12:13]
; %bb.2494:
	s_mov_b32 s10, 0x7f800001
	s_xor_b64 s[4:5], exec, -1
; %bb.2495:
	s_or_b64 exec, exec, s[8:9]
	s_and_b64 s[4:5], s[4:5], exec
	s_or_saveexec_b64 s[6:7], s[6:7]
	v_mov_b32_e32 v6, s10
	s_xor_b64 exec, exec, s[6:7]
	s_cbranch_execz .LBB23_446
.LBB23_2496:
	v_mov_b32_e32 v6, 0
	v_cmp_ne_u16_sdwa s[8:9], v3, v6 src0_sel:BYTE_3 src1_sel:DWORD
	s_andn2_b64 s[4:5], s[4:5], exec
	s_and_b64 s[8:9], s[8:9], exec
	s_or_b64 s[4:5], s[4:5], s[8:9]
	s_or_b64 exec, exec, s[6:7]
	s_and_saveexec_b64 s[6:7], s[4:5]
	s_cbranch_execnz .LBB23_447
	s_branch .LBB23_448
.LBB23_2497:
	s_movk_i32 s4, 0x80
	v_cmp_eq_u16_sdwa s[12:13], v8, s4 src0_sel:BYTE_0 src1_sel:DWORD
	s_mov_b64 s[4:5], -1
                                        ; implicit-def: $sgpr10
	s_and_saveexec_b64 s[8:9], s[12:13]
; %bb.2498:
	s_mov_b32 s10, 0x7f800001
	s_xor_b64 s[4:5], exec, -1
; %bb.2499:
	s_or_b64 exec, exec, s[8:9]
	s_and_b64 s[4:5], s[4:5], exec
	s_or_saveexec_b64 s[6:7], s[6:7]
	v_mov_b32_e32 v2, s10
	s_xor_b64 exec, exec, s[6:7]
	s_cbranch_execz .LBB23_450
.LBB23_2500:
	v_mov_b32_e32 v2, 0
	v_cmp_ne_u16_sdwa s[8:9], v8, v2 src0_sel:BYTE_0 src1_sel:DWORD
	s_andn2_b64 s[4:5], s[4:5], exec
	s_and_b64 s[8:9], s[8:9], exec
	s_or_b64 s[4:5], s[4:5], s[8:9]
	s_or_b64 exec, exec, s[6:7]
	s_and_saveexec_b64 s[6:7], s[4:5]
	s_cbranch_execnz .LBB23_451
	s_branch .LBB23_452
.LBB23_2501:
	s_movk_i32 s4, 0x80
	v_cmp_eq_u16_sdwa s[12:13], v4, s4 src0_sel:BYTE_0 src1_sel:DWORD
	s_mov_b64 s[4:5], -1
                                        ; implicit-def: $sgpr10
	s_and_saveexec_b64 s[8:9], s[12:13]
; %bb.2502:
	s_mov_b32 s10, 0x7f800001
	s_xor_b64 s[4:5], exec, -1
; %bb.2503:
	s_or_b64 exec, exec, s[8:9]
	s_and_b64 s[4:5], s[4:5], exec
	s_or_saveexec_b64 s[6:7], s[6:7]
	v_mov_b32_e32 v3, s10
	s_xor_b64 exec, exec, s[6:7]
	s_cbranch_execz .LBB23_454
.LBB23_2504:
	v_mov_b32_e32 v3, 0
	v_cmp_ne_u16_sdwa s[8:9], v4, v3 src0_sel:BYTE_0 src1_sel:DWORD
	s_andn2_b64 s[4:5], s[4:5], exec
	s_and_b64 s[8:9], s[8:9], exec
	s_or_b64 s[4:5], s[4:5], s[8:9]
	s_or_b64 exec, exec, s[6:7]
	s_and_saveexec_b64 s[6:7], s[4:5]
	s_cbranch_execnz .LBB23_455
	s_branch .LBB23_456
.LBB23_2505:
	s_movk_i32 s4, 0x80
	v_cmp_eq_u16_sdwa s[12:13], v3, s4 src0_sel:BYTE_0 src1_sel:DWORD
	s_mov_b64 s[4:5], -1
                                        ; implicit-def: $sgpr10
	s_and_saveexec_b64 s[8:9], s[12:13]
; %bb.2506:
	s_mov_b32 s10, 0x7f800001
	s_xor_b64 s[4:5], exec, -1
; %bb.2507:
	s_or_b64 exec, exec, s[8:9]
	s_and_b64 s[4:5], s[4:5], exec
	s_or_saveexec_b64 s[6:7], s[6:7]
	v_mov_b32_e32 v2, s10
	s_xor_b64 exec, exec, s[6:7]
	s_cbranch_execz .LBB23_458
.LBB23_2508:
	v_mov_b32_e32 v2, 0
	v_cmp_ne_u16_sdwa s[8:9], v3, v2 src0_sel:BYTE_0 src1_sel:DWORD
	s_andn2_b64 s[4:5], s[4:5], exec
	s_and_b64 s[8:9], s[8:9], exec
	s_or_b64 s[4:5], s[4:5], s[8:9]
	s_or_b64 exec, exec, s[6:7]
	s_and_saveexec_b64 s[6:7], s[4:5]
	s_cbranch_execnz .LBB23_459
	s_branch .LBB23_460
.LBB23_2509:
	s_movk_i32 s4, 0x80
	v_cmp_eq_u16_sdwa s[12:13], v3, s4 src0_sel:BYTE_0 src1_sel:DWORD
	s_mov_b64 s[4:5], -1
                                        ; implicit-def: $sgpr10
	s_and_saveexec_b64 s[8:9], s[12:13]
; %bb.2510:
	s_mov_b32 s10, 0x7f800001
	s_xor_b64 s[4:5], exec, -1
; %bb.2511:
	s_or_b64 exec, exec, s[8:9]
	s_and_b64 s[4:5], s[4:5], exec
	s_or_saveexec_b64 s[6:7], s[6:7]
	v_mov_b32_e32 v6, s10
	s_xor_b64 exec, exec, s[6:7]
	s_cbranch_execz .LBB23_462
.LBB23_2512:
	v_mov_b32_e32 v6, 0
	v_cmp_ne_u16_sdwa s[8:9], v3, v6 src0_sel:BYTE_0 src1_sel:DWORD
	s_andn2_b64 s[4:5], s[4:5], exec
	s_and_b64 s[8:9], s[8:9], exec
	s_or_b64 s[4:5], s[4:5], s[8:9]
	s_or_b64 exec, exec, s[6:7]
	s_and_saveexec_b64 s[6:7], s[4:5]
	s_cbranch_execnz .LBB23_463
	s_branch .LBB23_464
.LBB23_2513:
	s_movk_i32 s4, 0x80
	v_cmp_eq_u16_e32 vcc, s4, v3
	s_mov_b64 s[4:5], -1
                                        ; implicit-def: $sgpr10
	s_and_saveexec_b64 s[8:9], vcc
; %bb.2514:
	s_mov_b32 s10, 0x7f800001
	s_xor_b64 s[4:5], exec, -1
; %bb.2515:
	s_or_b64 exec, exec, s[8:9]
	s_and_b64 s[4:5], s[4:5], exec
                                        ; implicit-def: $vgpr3
	s_or_saveexec_b64 s[6:7], s[6:7]
	v_mov_b32_e32 v2, s10
	s_xor_b64 exec, exec, s[6:7]
	s_cbranch_execz .LBB23_466
.LBB23_2516:
	v_cmp_ne_u16_e32 vcc, 0, v3
	s_andn2_b64 s[4:5], s[4:5], exec
	s_and_b64 s[8:9], vcc, exec
	v_mov_b32_e32 v2, 0
	s_or_b64 s[4:5], s[4:5], s[8:9]
	s_or_b64 exec, exec, s[6:7]
	s_and_saveexec_b64 s[6:7], s[4:5]
	s_cbranch_execnz .LBB23_467
	s_branch .LBB23_468
.LBB23_2517:
	s_movk_i32 s4, 0x80
	v_cmp_eq_u16_e32 vcc, s4, v3
	s_mov_b64 s[4:5], -1
                                        ; implicit-def: $sgpr10
	s_and_saveexec_b64 s[8:9], vcc
; %bb.2518:
	s_mov_b32 s10, 0x7f800001
	s_xor_b64 s[4:5], exec, -1
; %bb.2519:
	s_or_b64 exec, exec, s[8:9]
	s_and_b64 s[4:5], s[4:5], exec
                                        ; implicit-def: $vgpr3
	s_or_saveexec_b64 s[6:7], s[6:7]
	v_mov_b32_e32 v6, s10
	s_xor_b64 exec, exec, s[6:7]
	s_cbranch_execz .LBB23_470
.LBB23_2520:
	v_cmp_ne_u16_e32 vcc, 0, v3
	s_andn2_b64 s[4:5], s[4:5], exec
	s_and_b64 s[8:9], vcc, exec
	v_mov_b32_e32 v6, 0
	s_or_b64 s[4:5], s[4:5], s[8:9]
	s_or_b64 exec, exec, s[6:7]
	s_and_saveexec_b64 s[6:7], s[4:5]
	s_cbranch_execnz .LBB23_471
	s_branch .LBB23_472
.LBB23_2521:
	s_movk_i32 s4, 0x80
	v_cmp_eq_u16_sdwa s[12:13], v8, s4 src0_sel:BYTE_3 src1_sel:DWORD
	s_mov_b64 s[4:5], -1
                                        ; implicit-def: $sgpr10
	s_and_saveexec_b64 s[8:9], s[12:13]
; %bb.2522:
	s_mov_b32 s10, 0x7f800001
	s_xor_b64 s[4:5], exec, -1
; %bb.2523:
	s_or_b64 exec, exec, s[8:9]
	s_and_b64 s[4:5], s[4:5], exec
	s_or_saveexec_b64 s[6:7], s[6:7]
	v_mov_b32_e32 v2, s10
	s_xor_b64 exec, exec, s[6:7]
	s_cbranch_execz .LBB23_474
.LBB23_2524:
	v_mov_b32_e32 v2, 0
	v_cmp_ne_u16_sdwa s[8:9], v8, v2 src0_sel:BYTE_3 src1_sel:DWORD
	s_andn2_b64 s[4:5], s[4:5], exec
	s_and_b64 s[8:9], s[8:9], exec
	s_or_b64 s[4:5], s[4:5], s[8:9]
	s_or_b64 exec, exec, s[6:7]
	s_and_saveexec_b64 s[6:7], s[4:5]
	s_cbranch_execnz .LBB23_475
	s_branch .LBB23_476
.LBB23_2525:
	s_movk_i32 s4, 0x80
	v_cmp_eq_u16_sdwa s[12:13], v4, s4 src0_sel:BYTE_3 src1_sel:DWORD
	s_mov_b64 s[4:5], -1
                                        ; implicit-def: $sgpr10
	s_and_saveexec_b64 s[8:9], s[12:13]
; %bb.2526:
	s_mov_b32 s10, 0x7f800001
	s_xor_b64 s[4:5], exec, -1
; %bb.2527:
	s_or_b64 exec, exec, s[8:9]
	s_and_b64 s[4:5], s[4:5], exec
	s_or_saveexec_b64 s[6:7], s[6:7]
	v_mov_b32_e32 v3, s10
	s_xor_b64 exec, exec, s[6:7]
	s_cbranch_execz .LBB23_478
.LBB23_2528:
	v_mov_b32_e32 v3, 0
	v_cmp_ne_u16_sdwa s[8:9], v4, v3 src0_sel:BYTE_3 src1_sel:DWORD
	s_andn2_b64 s[4:5], s[4:5], exec
	s_and_b64 s[8:9], s[8:9], exec
	s_or_b64 s[4:5], s[4:5], s[8:9]
	s_or_b64 exec, exec, s[6:7]
	s_and_saveexec_b64 s[6:7], s[4:5]
	s_cbranch_execnz .LBB23_479
	s_branch .LBB23_480
.LBB23_2529:
	s_movk_i32 s4, 0x80
	v_cmp_eq_u16_sdwa s[12:13], v9, s4 src0_sel:BYTE_0 src1_sel:DWORD
	s_mov_b64 s[4:5], -1
                                        ; implicit-def: $sgpr10
	s_and_saveexec_b64 s[8:9], s[12:13]
; %bb.2530:
	s_mov_b32 s10, 0x7f800001
	s_xor_b64 s[4:5], exec, -1
; %bb.2531:
	s_or_b64 exec, exec, s[8:9]
	s_and_b64 s[4:5], s[4:5], exec
	s_or_saveexec_b64 s[6:7], s[6:7]
	v_mov_b32_e32 v2, s10
	s_xor_b64 exec, exec, s[6:7]
	s_cbranch_execz .LBB23_482
.LBB23_2532:
	v_mov_b32_e32 v2, 0
	v_cmp_ne_u16_sdwa s[8:9], v9, v2 src0_sel:BYTE_0 src1_sel:DWORD
	s_andn2_b64 s[4:5], s[4:5], exec
	s_and_b64 s[8:9], s[8:9], exec
	s_or_b64 s[4:5], s[4:5], s[8:9]
	s_or_b64 exec, exec, s[6:7]
	s_and_saveexec_b64 s[6:7], s[4:5]
	s_cbranch_execnz .LBB23_483
	s_branch .LBB23_484
.LBB23_2533:
	s_movk_i32 s4, 0x80
	v_cmp_eq_u16_sdwa s[12:13], v5, s4 src0_sel:BYTE_0 src1_sel:DWORD
	s_mov_b64 s[4:5], -1
                                        ; implicit-def: $sgpr10
	s_and_saveexec_b64 s[8:9], s[12:13]
; %bb.2534:
	s_mov_b32 s10, 0x7f800001
	s_xor_b64 s[4:5], exec, -1
; %bb.2535:
	s_or_b64 exec, exec, s[8:9]
	s_and_b64 s[4:5], s[4:5], exec
	s_or_saveexec_b64 s[6:7], s[6:7]
	v_mov_b32_e32 v3, s10
	s_xor_b64 exec, exec, s[6:7]
	s_cbranch_execz .LBB23_486
.LBB23_2536:
	v_mov_b32_e32 v3, 0
	v_cmp_ne_u16_sdwa s[8:9], v5, v3 src0_sel:BYTE_0 src1_sel:DWORD
	s_andn2_b64 s[4:5], s[4:5], exec
	s_and_b64 s[8:9], s[8:9], exec
	s_or_b64 s[4:5], s[4:5], s[8:9]
	s_or_b64 exec, exec, s[6:7]
	s_and_saveexec_b64 s[6:7], s[4:5]
	s_cbranch_execnz .LBB23_487
	s_branch .LBB23_488
.LBB23_2537:
	s_movk_i32 s4, 0x80
	v_cmp_eq_u16_sdwa s[12:13], v3, s4 src0_sel:BYTE_0 src1_sel:DWORD
	s_mov_b64 s[4:5], -1
                                        ; implicit-def: $sgpr10
	s_and_saveexec_b64 s[8:9], s[12:13]
; %bb.2538:
	s_mov_b32 s10, 0x7f800001
	s_xor_b64 s[4:5], exec, -1
; %bb.2539:
	s_or_b64 exec, exec, s[8:9]
	s_and_b64 s[4:5], s[4:5], exec
	s_or_saveexec_b64 s[6:7], s[6:7]
	v_mov_b32_e32 v2, s10
	s_xor_b64 exec, exec, s[6:7]
	s_cbranch_execz .LBB23_490
.LBB23_2540:
	v_mov_b32_e32 v2, 0
	v_cmp_ne_u16_sdwa s[8:9], v3, v2 src0_sel:BYTE_0 src1_sel:DWORD
	s_andn2_b64 s[4:5], s[4:5], exec
	s_and_b64 s[8:9], s[8:9], exec
	s_or_b64 s[4:5], s[4:5], s[8:9]
	s_or_b64 exec, exec, s[6:7]
	s_and_saveexec_b64 s[6:7], s[4:5]
	s_cbranch_execnz .LBB23_491
	s_branch .LBB23_492
.LBB23_2541:
	s_movk_i32 s4, 0x80
	v_cmp_eq_u16_sdwa s[12:13], v3, s4 src0_sel:BYTE_0 src1_sel:DWORD
	s_mov_b64 s[4:5], -1
                                        ; implicit-def: $sgpr10
	s_and_saveexec_b64 s[8:9], s[12:13]
; %bb.2542:
	s_mov_b32 s10, 0x7f800001
	s_xor_b64 s[4:5], exec, -1
; %bb.2543:
	s_or_b64 exec, exec, s[8:9]
	s_and_b64 s[4:5], s[4:5], exec
	s_or_saveexec_b64 s[6:7], s[6:7]
	v_mov_b32_e32 v4, s10
	s_xor_b64 exec, exec, s[6:7]
	s_cbranch_execz .LBB23_494
.LBB23_2544:
	v_mov_b32_e32 v4, 0
	v_cmp_ne_u16_sdwa s[8:9], v3, v4 src0_sel:BYTE_0 src1_sel:DWORD
	s_andn2_b64 s[4:5], s[4:5], exec
	s_and_b64 s[8:9], s[8:9], exec
	s_or_b64 s[4:5], s[4:5], s[8:9]
	s_or_b64 exec, exec, s[6:7]
	s_and_saveexec_b64 s[6:7], s[4:5]
	s_cbranch_execnz .LBB23_495
	s_branch .LBB23_496
.LBB23_2545:
	s_movk_i32 s4, 0x80
	v_cmp_eq_u16_e32 vcc, s4, v3
	s_mov_b64 s[4:5], -1
                                        ; implicit-def: $sgpr10
	s_and_saveexec_b64 s[8:9], vcc
; %bb.2546:
	s_mov_b32 s10, 0x7f800001
	s_xor_b64 s[4:5], exec, -1
; %bb.2547:
	s_or_b64 exec, exec, s[8:9]
	s_and_b64 s[4:5], s[4:5], exec
                                        ; implicit-def: $vgpr3
	s_or_saveexec_b64 s[6:7], s[6:7]
	v_mov_b32_e32 v2, s10
	s_xor_b64 exec, exec, s[6:7]
	s_cbranch_execz .LBB23_498
.LBB23_2548:
	v_cmp_ne_u16_e32 vcc, 0, v3
	s_andn2_b64 s[4:5], s[4:5], exec
	s_and_b64 s[8:9], vcc, exec
	v_mov_b32_e32 v2, 0
	s_or_b64 s[4:5], s[4:5], s[8:9]
	s_or_b64 exec, exec, s[6:7]
	s_and_saveexec_b64 s[6:7], s[4:5]
	s_cbranch_execnz .LBB23_499
	s_branch .LBB23_500
.LBB23_2549:
	s_movk_i32 s4, 0x80
	v_cmp_eq_u16_e32 vcc, s4, v3
	s_mov_b64 s[4:5], -1
                                        ; implicit-def: $sgpr10
	s_and_saveexec_b64 s[8:9], vcc
; %bb.2550:
	s_mov_b32 s10, 0x7f800001
	s_xor_b64 s[4:5], exec, -1
; %bb.2551:
	s_or_b64 exec, exec, s[8:9]
	s_and_b64 s[4:5], s[4:5], exec
                                        ; implicit-def: $vgpr3
	s_or_saveexec_b64 s[6:7], s[6:7]
	v_mov_b32_e32 v4, s10
	s_xor_b64 exec, exec, s[6:7]
	s_cbranch_execz .LBB23_502
.LBB23_2552:
	v_cmp_ne_u16_e32 vcc, 0, v3
	s_andn2_b64 s[4:5], s[4:5], exec
	s_and_b64 s[8:9], vcc, exec
	v_mov_b32_e32 v4, 0
	s_or_b64 s[4:5], s[4:5], s[8:9]
	s_or_b64 exec, exec, s[6:7]
	s_and_saveexec_b64 s[6:7], s[4:5]
	s_cbranch_execnz .LBB23_503
	s_branch .LBB23_504
.LBB23_2553:
	s_movk_i32 s4, 0x80
	v_cmp_eq_u16_sdwa s[12:13], v9, s4 src0_sel:BYTE_3 src1_sel:DWORD
	s_mov_b64 s[4:5], -1
                                        ; implicit-def: $sgpr10
	s_and_saveexec_b64 s[8:9], s[12:13]
; %bb.2554:
	s_mov_b32 s10, 0x7f800001
	s_xor_b64 s[4:5], exec, -1
; %bb.2555:
	s_or_b64 exec, exec, s[8:9]
	s_and_b64 s[4:5], s[4:5], exec
	s_or_saveexec_b64 s[6:7], s[6:7]
	v_mov_b32_e32 v2, s10
	s_xor_b64 exec, exec, s[6:7]
	s_cbranch_execz .LBB23_506
.LBB23_2556:
	v_mov_b32_e32 v2, 0
	v_cmp_ne_u16_sdwa s[8:9], v9, v2 src0_sel:BYTE_3 src1_sel:DWORD
	s_andn2_b64 s[4:5], s[4:5], exec
	s_and_b64 s[8:9], s[8:9], exec
	s_or_b64 s[4:5], s[4:5], s[8:9]
	s_or_b64 exec, exec, s[6:7]
	s_and_saveexec_b64 s[6:7], s[4:5]
	s_cbranch_execnz .LBB23_507
	s_branch .LBB23_508
.LBB23_2557:
	s_movk_i32 s4, 0x80
	v_cmp_eq_u16_sdwa s[12:13], v5, s4 src0_sel:BYTE_3 src1_sel:DWORD
	s_mov_b64 s[4:5], -1
                                        ; implicit-def: $sgpr10
	s_and_saveexec_b64 s[8:9], s[12:13]
; %bb.2558:
	s_mov_b32 s10, 0x7f800001
	s_xor_b64 s[4:5], exec, -1
; %bb.2559:
	s_or_b64 exec, exec, s[8:9]
	s_and_b64 s[4:5], s[4:5], exec
	s_or_saveexec_b64 s[6:7], s[6:7]
	v_mov_b32_e32 v3, s10
	s_xor_b64 exec, exec, s[6:7]
	s_cbranch_execz .LBB23_510
.LBB23_2560:
	v_mov_b32_e32 v3, 0
	v_cmp_ne_u16_sdwa s[8:9], v5, v3 src0_sel:BYTE_3 src1_sel:DWORD
	s_andn2_b64 s[4:5], s[4:5], exec
	s_and_b64 s[8:9], s[8:9], exec
	s_or_b64 s[4:5], s[4:5], s[8:9]
	s_or_b64 exec, exec, s[6:7]
	s_and_saveexec_b64 s[6:7], s[4:5]
	s_cbranch_execnz .LBB23_511
	s_branch .LBB23_512
.LBB23_2561:
	s_movk_i32 s4, 0x80
	v_cmp_eq_u16_sdwa s[12:13], v14, s4 src0_sel:BYTE_0 src1_sel:DWORD
	s_mov_b64 s[4:5], -1
                                        ; implicit-def: $sgpr10
	s_and_saveexec_b64 s[8:9], s[12:13]
; %bb.2562:
	s_mov_b32 s10, 0x7f800001
	s_xor_b64 s[4:5], exec, -1
; %bb.2563:
	s_or_b64 exec, exec, s[8:9]
	s_and_b64 s[4:5], s[4:5], exec
	s_or_saveexec_b64 s[6:7], s[6:7]
	v_mov_b32_e32 v20, s10
	s_xor_b64 exec, exec, s[6:7]
	s_cbranch_execz .LBB23_514
.LBB23_2564:
	v_mov_b32_e32 v20, 0
	v_cmp_ne_u16_sdwa s[8:9], v14, v20 src0_sel:BYTE_0 src1_sel:DWORD
	s_andn2_b64 s[4:5], s[4:5], exec
	s_and_b64 s[8:9], s[8:9], exec
	s_or_b64 s[4:5], s[4:5], s[8:9]
	s_or_b64 exec, exec, s[6:7]
	s_and_saveexec_b64 s[6:7], s[4:5]
	s_cbranch_execnz .LBB23_515
	s_branch .LBB23_516
.LBB23_2565:
	s_movk_i32 s4, 0x80
	v_cmp_eq_u16_sdwa s[12:13], v10, s4 src0_sel:BYTE_0 src1_sel:DWORD
	s_mov_b64 s[4:5], -1
                                        ; implicit-def: $sgpr10
	s_and_saveexec_b64 s[8:9], s[12:13]
; %bb.2566:
	s_mov_b32 s10, 0x7f800001
	s_xor_b64 s[4:5], exec, -1
; %bb.2567:
	s_or_b64 exec, exec, s[8:9]
	s_and_b64 s[4:5], s[4:5], exec
	s_or_saveexec_b64 s[6:7], s[6:7]
	v_mov_b32_e32 v21, s10
	s_xor_b64 exec, exec, s[6:7]
	s_cbranch_execz .LBB23_518
.LBB23_2568:
	v_mov_b32_e32 v21, 0
	v_cmp_ne_u16_sdwa s[8:9], v10, v21 src0_sel:BYTE_0 src1_sel:DWORD
	s_andn2_b64 s[4:5], s[4:5], exec
	s_and_b64 s[8:9], s[8:9], exec
	s_or_b64 s[4:5], s[4:5], s[8:9]
	s_or_b64 exec, exec, s[6:7]
	s_and_saveexec_b64 s[6:7], s[4:5]
	s_cbranch_execnz .LBB23_519
	s_branch .LBB23_520
.LBB23_2569:
	s_movk_i32 s4, 0x80
	v_cmp_eq_u16_sdwa s[12:13], v21, s4 src0_sel:BYTE_0 src1_sel:DWORD
	s_mov_b64 s[4:5], -1
                                        ; implicit-def: $sgpr10
	s_and_saveexec_b64 s[8:9], s[12:13]
; %bb.2570:
	s_mov_b32 s10, 0x7f800001
	s_xor_b64 s[4:5], exec, -1
; %bb.2571:
	s_or_b64 exec, exec, s[8:9]
	s_and_b64 s[4:5], s[4:5], exec
	s_or_saveexec_b64 s[6:7], s[6:7]
	v_mov_b32_e32 v20, s10
	s_xor_b64 exec, exec, s[6:7]
	s_cbranch_execz .LBB23_522
.LBB23_2572:
	v_mov_b32_e32 v20, 0
	v_cmp_ne_u16_sdwa s[8:9], v21, v20 src0_sel:BYTE_0 src1_sel:DWORD
	s_andn2_b64 s[4:5], s[4:5], exec
	s_and_b64 s[8:9], s[8:9], exec
	s_or_b64 s[4:5], s[4:5], s[8:9]
	s_or_b64 exec, exec, s[6:7]
	s_and_saveexec_b64 s[6:7], s[4:5]
	s_cbranch_execnz .LBB23_523
	s_branch .LBB23_524
.LBB23_2573:
	s_movk_i32 s4, 0x80
	v_cmp_eq_u16_sdwa s[12:13], v21, s4 src0_sel:BYTE_0 src1_sel:DWORD
	s_mov_b64 s[4:5], -1
                                        ; implicit-def: $sgpr10
	s_and_saveexec_b64 s[8:9], s[12:13]
; %bb.2574:
	s_mov_b32 s10, 0x7f800001
	s_xor_b64 s[4:5], exec, -1
; %bb.2575:
	s_or_b64 exec, exec, s[8:9]
	s_and_b64 s[4:5], s[4:5], exec
	s_or_saveexec_b64 s[6:7], s[6:7]
	v_mov_b32_e32 v22, s10
	s_xor_b64 exec, exec, s[6:7]
	s_cbranch_execz .LBB23_526
.LBB23_2576:
	v_mov_b32_e32 v22, 0
	v_cmp_ne_u16_sdwa s[8:9], v21, v22 src0_sel:BYTE_0 src1_sel:DWORD
	s_andn2_b64 s[4:5], s[4:5], exec
	s_and_b64 s[8:9], s[8:9], exec
	s_or_b64 s[4:5], s[4:5], s[8:9]
	s_or_b64 exec, exec, s[6:7]
	s_and_saveexec_b64 s[6:7], s[4:5]
	s_cbranch_execnz .LBB23_527
	s_branch .LBB23_528
.LBB23_2577:
	s_movk_i32 s4, 0x80
	v_cmp_eq_u16_e32 vcc, s4, v21
	s_mov_b64 s[4:5], -1
                                        ; implicit-def: $sgpr10
	s_and_saveexec_b64 s[8:9], vcc
; %bb.2578:
	s_mov_b32 s10, 0x7f800001
	s_xor_b64 s[4:5], exec, -1
; %bb.2579:
	s_or_b64 exec, exec, s[8:9]
	s_and_b64 s[4:5], s[4:5], exec
                                        ; implicit-def: $vgpr21
	s_or_saveexec_b64 s[6:7], s[6:7]
	v_mov_b32_e32 v20, s10
	s_xor_b64 exec, exec, s[6:7]
	s_cbranch_execz .LBB23_530
.LBB23_2580:
	v_cmp_ne_u16_e32 vcc, 0, v21
	s_andn2_b64 s[4:5], s[4:5], exec
	s_and_b64 s[8:9], vcc, exec
	v_mov_b32_e32 v20, 0
	s_or_b64 s[4:5], s[4:5], s[8:9]
	s_or_b64 exec, exec, s[6:7]
	s_and_saveexec_b64 s[6:7], s[4:5]
	s_cbranch_execnz .LBB23_531
	s_branch .LBB23_532
.LBB23_2581:
	s_movk_i32 s4, 0x80
	v_cmp_eq_u16_e32 vcc, s4, v21
	s_mov_b64 s[4:5], -1
                                        ; implicit-def: $sgpr10
	s_and_saveexec_b64 s[8:9], vcc
; %bb.2582:
	s_mov_b32 s10, 0x7f800001
	s_xor_b64 s[4:5], exec, -1
; %bb.2583:
	s_or_b64 exec, exec, s[8:9]
	s_and_b64 s[4:5], s[4:5], exec
                                        ; implicit-def: $vgpr21
	s_or_saveexec_b64 s[6:7], s[6:7]
	v_mov_b32_e32 v22, s10
	s_xor_b64 exec, exec, s[6:7]
	s_cbranch_execz .LBB23_534
.LBB23_2584:
	v_cmp_ne_u16_e32 vcc, 0, v21
	s_andn2_b64 s[4:5], s[4:5], exec
	s_and_b64 s[8:9], vcc, exec
	v_mov_b32_e32 v22, 0
	s_or_b64 s[4:5], s[4:5], s[8:9]
	s_or_b64 exec, exec, s[6:7]
	s_and_saveexec_b64 s[6:7], s[4:5]
	s_cbranch_execnz .LBB23_535
	s_branch .LBB23_536
.LBB23_2585:
	s_movk_i32 s4, 0x80
	v_cmp_eq_u16_sdwa s[12:13], v14, s4 src0_sel:BYTE_3 src1_sel:DWORD
	s_mov_b64 s[4:5], -1
                                        ; implicit-def: $sgpr10
	s_and_saveexec_b64 s[8:9], s[12:13]
; %bb.2586:
	s_mov_b32 s10, 0x7f800001
	s_xor_b64 s[4:5], exec, -1
; %bb.2587:
	s_or_b64 exec, exec, s[8:9]
	s_and_b64 s[4:5], s[4:5], exec
	s_or_saveexec_b64 s[6:7], s[6:7]
	v_mov_b32_e32 v20, s10
	s_xor_b64 exec, exec, s[6:7]
	s_cbranch_execz .LBB23_538
.LBB23_2588:
	v_mov_b32_e32 v20, 0
	v_cmp_ne_u16_sdwa s[8:9], v14, v20 src0_sel:BYTE_3 src1_sel:DWORD
	s_andn2_b64 s[4:5], s[4:5], exec
	s_and_b64 s[8:9], s[8:9], exec
	s_or_b64 s[4:5], s[4:5], s[8:9]
	s_or_b64 exec, exec, s[6:7]
	s_and_saveexec_b64 s[6:7], s[4:5]
	s_cbranch_execnz .LBB23_539
	s_branch .LBB23_540
.LBB23_2589:
	s_movk_i32 s4, 0x80
	v_cmp_eq_u16_sdwa s[12:13], v10, s4 src0_sel:BYTE_3 src1_sel:DWORD
	s_mov_b64 s[4:5], -1
                                        ; implicit-def: $sgpr10
	s_and_saveexec_b64 s[8:9], s[12:13]
; %bb.2590:
	s_mov_b32 s10, 0x7f800001
	s_xor_b64 s[4:5], exec, -1
; %bb.2591:
	s_or_b64 exec, exec, s[8:9]
	s_and_b64 s[4:5], s[4:5], exec
	s_or_saveexec_b64 s[6:7], s[6:7]
	v_mov_b32_e32 v14, s10
	s_xor_b64 exec, exec, s[6:7]
	s_cbranch_execz .LBB23_542
.LBB23_2592:
	v_mov_b32_e32 v14, 0
	v_cmp_ne_u16_sdwa s[8:9], v10, v14 src0_sel:BYTE_3 src1_sel:DWORD
	s_andn2_b64 s[4:5], s[4:5], exec
	s_and_b64 s[8:9], s[8:9], exec
	s_or_b64 s[4:5], s[4:5], s[8:9]
	s_or_b64 exec, exec, s[6:7]
	s_and_saveexec_b64 s[6:7], s[4:5]
	s_cbranch_execnz .LBB23_543
	s_branch .LBB23_544
.LBB23_2593:
	s_movk_i32 s4, 0x80
	v_cmp_eq_u16_sdwa s[12:13], v15, s4 src0_sel:BYTE_0 src1_sel:DWORD
	s_mov_b64 s[4:5], -1
                                        ; implicit-def: $sgpr10
	s_and_saveexec_b64 s[8:9], s[12:13]
; %bb.2594:
	s_mov_b32 s10, 0x7f800001
	s_xor_b64 s[4:5], exec, -1
; %bb.2595:
	s_or_b64 exec, exec, s[8:9]
	s_and_b64 s[4:5], s[4:5], exec
	s_or_saveexec_b64 s[6:7], s[6:7]
	v_mov_b32_e32 v10, s10
	s_xor_b64 exec, exec, s[6:7]
	s_cbranch_execz .LBB23_546
.LBB23_2596:
	v_mov_b32_e32 v10, 0
	v_cmp_ne_u16_sdwa s[8:9], v15, v10 src0_sel:BYTE_0 src1_sel:DWORD
	s_andn2_b64 s[4:5], s[4:5], exec
	s_and_b64 s[8:9], s[8:9], exec
	s_or_b64 s[4:5], s[4:5], s[8:9]
	s_or_b64 exec, exec, s[6:7]
	s_and_saveexec_b64 s[6:7], s[4:5]
	s_cbranch_execnz .LBB23_547
	s_branch .LBB23_548
.LBB23_2597:
	s_movk_i32 s4, 0x80
	v_cmp_eq_u16_sdwa s[12:13], v11, s4 src0_sel:BYTE_0 src1_sel:DWORD
	s_mov_b64 s[4:5], -1
                                        ; implicit-def: $sgpr10
	s_and_saveexec_b64 s[8:9], s[12:13]
; %bb.2598:
	s_mov_b32 s10, 0x7f800001
	s_xor_b64 s[4:5], exec, -1
; %bb.2599:
	s_or_b64 exec, exec, s[8:9]
	s_and_b64 s[4:5], s[4:5], exec
	s_or_saveexec_b64 s[6:7], s[6:7]
	v_mov_b32_e32 v14, s10
	s_xor_b64 exec, exec, s[6:7]
	s_cbranch_execz .LBB23_550
.LBB23_2600:
	v_mov_b32_e32 v14, 0
	v_cmp_ne_u16_sdwa s[8:9], v11, v14 src0_sel:BYTE_0 src1_sel:DWORD
	s_andn2_b64 s[4:5], s[4:5], exec
	s_and_b64 s[8:9], s[8:9], exec
	s_or_b64 s[4:5], s[4:5], s[8:9]
	s_or_b64 exec, exec, s[6:7]
	s_and_saveexec_b64 s[6:7], s[4:5]
	s_cbranch_execnz .LBB23_551
	s_branch .LBB23_552
.LBB23_2601:
	s_movk_i32 s4, 0x80
	v_cmp_eq_u16_sdwa s[12:13], v14, s4 src0_sel:BYTE_0 src1_sel:DWORD
	s_mov_b64 s[4:5], -1
                                        ; implicit-def: $sgpr10
	s_and_saveexec_b64 s[8:9], s[12:13]
; %bb.2602:
	s_mov_b32 s10, 0x7f800001
	s_xor_b64 s[4:5], exec, -1
; %bb.2603:
	s_or_b64 exec, exec, s[8:9]
	s_and_b64 s[4:5], s[4:5], exec
	s_or_saveexec_b64 s[6:7], s[6:7]
	v_mov_b32_e32 v10, s10
	s_xor_b64 exec, exec, s[6:7]
	s_cbranch_execz .LBB23_554
.LBB23_2604:
	v_mov_b32_e32 v10, 0
	v_cmp_ne_u16_sdwa s[8:9], v14, v10 src0_sel:BYTE_0 src1_sel:DWORD
	s_andn2_b64 s[4:5], s[4:5], exec
	s_and_b64 s[8:9], s[8:9], exec
	s_or_b64 s[4:5], s[4:5], s[8:9]
	s_or_b64 exec, exec, s[6:7]
	s_and_saveexec_b64 s[6:7], s[4:5]
	s_cbranch_execnz .LBB23_555
	s_branch .LBB23_556
.LBB23_2605:
	s_movk_i32 s4, 0x80
	v_cmp_eq_u16_sdwa s[12:13], v14, s4 src0_sel:BYTE_0 src1_sel:DWORD
	s_mov_b64 s[4:5], -1
                                        ; implicit-def: $sgpr10
	s_and_saveexec_b64 s[8:9], s[12:13]
; %bb.2606:
	s_mov_b32 s10, 0x7f800001
	s_xor_b64 s[4:5], exec, -1
; %bb.2607:
	s_or_b64 exec, exec, s[8:9]
	s_and_b64 s[4:5], s[4:5], exec
	s_or_saveexec_b64 s[6:7], s[6:7]
	v_mov_b32_e32 v20, s10
	s_xor_b64 exec, exec, s[6:7]
	s_cbranch_execz .LBB23_558
.LBB23_2608:
	v_mov_b32_e32 v20, 0
	v_cmp_ne_u16_sdwa s[8:9], v14, v20 src0_sel:BYTE_0 src1_sel:DWORD
	s_andn2_b64 s[4:5], s[4:5], exec
	s_and_b64 s[8:9], s[8:9], exec
	s_or_b64 s[4:5], s[4:5], s[8:9]
	s_or_b64 exec, exec, s[6:7]
	s_and_saveexec_b64 s[6:7], s[4:5]
	s_cbranch_execnz .LBB23_559
	s_branch .LBB23_560
.LBB23_2609:
	s_movk_i32 s4, 0x80
	v_cmp_eq_u16_e32 vcc, s4, v14
	s_mov_b64 s[4:5], -1
                                        ; implicit-def: $sgpr10
	s_and_saveexec_b64 s[8:9], vcc
; %bb.2610:
	s_mov_b32 s10, 0x7f800001
	s_xor_b64 s[4:5], exec, -1
; %bb.2611:
	s_or_b64 exec, exec, s[8:9]
	s_and_b64 s[4:5], s[4:5], exec
                                        ; implicit-def: $vgpr14
	s_or_saveexec_b64 s[6:7], s[6:7]
	v_mov_b32_e32 v10, s10
	s_xor_b64 exec, exec, s[6:7]
	s_cbranch_execz .LBB23_562
.LBB23_2612:
	v_cmp_ne_u16_e32 vcc, 0, v14
	s_andn2_b64 s[4:5], s[4:5], exec
	s_and_b64 s[8:9], vcc, exec
	v_mov_b32_e32 v10, 0
	s_or_b64 s[4:5], s[4:5], s[8:9]
	s_or_b64 exec, exec, s[6:7]
	s_and_saveexec_b64 s[6:7], s[4:5]
	s_cbranch_execnz .LBB23_563
	s_branch .LBB23_564
.LBB23_2613:
	s_movk_i32 s4, 0x80
	v_cmp_eq_u16_e32 vcc, s4, v14
	s_mov_b64 s[4:5], -1
                                        ; implicit-def: $sgpr10
	s_and_saveexec_b64 s[8:9], vcc
; %bb.2614:
	s_mov_b32 s10, 0x7f800001
	s_xor_b64 s[4:5], exec, -1
; %bb.2615:
	s_or_b64 exec, exec, s[8:9]
	s_and_b64 s[4:5], s[4:5], exec
                                        ; implicit-def: $vgpr14
	s_or_saveexec_b64 s[6:7], s[6:7]
	v_mov_b32_e32 v20, s10
	s_xor_b64 exec, exec, s[6:7]
	s_cbranch_execz .LBB23_566
.LBB23_2616:
	v_cmp_ne_u16_e32 vcc, 0, v14
	s_andn2_b64 s[4:5], s[4:5], exec
	s_and_b64 s[8:9], vcc, exec
	v_mov_b32_e32 v20, 0
	s_or_b64 s[4:5], s[4:5], s[8:9]
	s_or_b64 exec, exec, s[6:7]
	s_and_saveexec_b64 s[6:7], s[4:5]
	s_cbranch_execnz .LBB23_567
	s_branch .LBB23_568
.LBB23_2617:
	s_movk_i32 s4, 0x80
	v_cmp_eq_u16_sdwa s[12:13], v15, s4 src0_sel:BYTE_3 src1_sel:DWORD
	s_mov_b64 s[4:5], -1
                                        ; implicit-def: $sgpr10
	s_and_saveexec_b64 s[8:9], s[12:13]
; %bb.2618:
	s_mov_b32 s10, 0x7f800001
	s_xor_b64 s[4:5], exec, -1
; %bb.2619:
	s_or_b64 exec, exec, s[8:9]
	s_and_b64 s[4:5], s[4:5], exec
	s_or_saveexec_b64 s[6:7], s[6:7]
	v_mov_b32_e32 v10, s10
	s_xor_b64 exec, exec, s[6:7]
	s_cbranch_execz .LBB23_570
.LBB23_2620:
	v_mov_b32_e32 v10, 0
	v_cmp_ne_u16_sdwa s[8:9], v15, v10 src0_sel:BYTE_3 src1_sel:DWORD
	s_andn2_b64 s[4:5], s[4:5], exec
	s_and_b64 s[8:9], s[8:9], exec
	s_or_b64 s[4:5], s[4:5], s[8:9]
	s_or_b64 exec, exec, s[6:7]
	s_and_saveexec_b64 s[6:7], s[4:5]
	s_cbranch_execnz .LBB23_571
	s_branch .LBB23_572
.LBB23_2621:
	s_movk_i32 s4, 0x80
	v_cmp_eq_u16_sdwa s[12:13], v11, s4 src0_sel:BYTE_3 src1_sel:DWORD
	s_mov_b64 s[4:5], -1
                                        ; implicit-def: $sgpr10
	s_and_saveexec_b64 s[8:9], s[12:13]
; %bb.2622:
	s_mov_b32 s10, 0x7f800001
	s_xor_b64 s[4:5], exec, -1
; %bb.2623:
	s_or_b64 exec, exec, s[8:9]
	s_and_b64 s[4:5], s[4:5], exec
	s_or_saveexec_b64 s[6:7], s[6:7]
	v_mov_b32_e32 v14, s10
	s_xor_b64 exec, exec, s[6:7]
	s_cbranch_execz .LBB23_574
.LBB23_2624:
	v_mov_b32_e32 v14, 0
	v_cmp_ne_u16_sdwa s[8:9], v11, v14 src0_sel:BYTE_3 src1_sel:DWORD
	s_andn2_b64 s[4:5], s[4:5], exec
	s_and_b64 s[8:9], s[8:9], exec
	s_or_b64 s[4:5], s[4:5], s[8:9]
	s_or_b64 exec, exec, s[6:7]
	s_and_saveexec_b64 s[6:7], s[4:5]
	s_cbranch_execnz .LBB23_575
	s_branch .LBB23_576
.LBB23_2625:
	s_movk_i32 s4, 0x80
	v_cmp_eq_u16_sdwa s[12:13], v16, s4 src0_sel:BYTE_0 src1_sel:DWORD
	s_mov_b64 s[4:5], -1
                                        ; implicit-def: $sgpr10
	s_and_saveexec_b64 s[8:9], s[12:13]
; %bb.2626:
	s_mov_b32 s10, 0x7f800001
	s_xor_b64 s[4:5], exec, -1
; %bb.2627:
	s_or_b64 exec, exec, s[8:9]
	s_and_b64 s[4:5], s[4:5], exec
	s_or_saveexec_b64 s[6:7], s[6:7]
	v_mov_b32_e32 v10, s10
	s_xor_b64 exec, exec, s[6:7]
	s_cbranch_execz .LBB23_578
.LBB23_2628:
	v_mov_b32_e32 v10, 0
	v_cmp_ne_u16_sdwa s[8:9], v16, v10 src0_sel:BYTE_0 src1_sel:DWORD
	s_andn2_b64 s[4:5], s[4:5], exec
	s_and_b64 s[8:9], s[8:9], exec
	s_or_b64 s[4:5], s[4:5], s[8:9]
	s_or_b64 exec, exec, s[6:7]
	s_and_saveexec_b64 s[6:7], s[4:5]
	s_cbranch_execnz .LBB23_579
	s_branch .LBB23_580
.LBB23_2629:
	s_movk_i32 s4, 0x80
	v_cmp_eq_u16_sdwa s[12:13], v12, s4 src0_sel:BYTE_0 src1_sel:DWORD
	s_mov_b64 s[4:5], -1
                                        ; implicit-def: $sgpr10
	s_and_saveexec_b64 s[8:9], s[12:13]
; %bb.2630:
	s_mov_b32 s10, 0x7f800001
	s_xor_b64 s[4:5], exec, -1
; %bb.2631:
	s_or_b64 exec, exec, s[8:9]
	s_and_b64 s[4:5], s[4:5], exec
	s_or_saveexec_b64 s[6:7], s[6:7]
	v_mov_b32_e32 v11, s10
	s_xor_b64 exec, exec, s[6:7]
	s_cbranch_execz .LBB23_582
.LBB23_2632:
	v_mov_b32_e32 v11, 0
	v_cmp_ne_u16_sdwa s[8:9], v12, v11 src0_sel:BYTE_0 src1_sel:DWORD
	s_andn2_b64 s[4:5], s[4:5], exec
	s_and_b64 s[8:9], s[8:9], exec
	s_or_b64 s[4:5], s[4:5], s[8:9]
	s_or_b64 exec, exec, s[6:7]
	s_and_saveexec_b64 s[6:7], s[4:5]
	s_cbranch_execnz .LBB23_583
	s_branch .LBB23_584
.LBB23_2633:
	s_movk_i32 s4, 0x80
	v_cmp_eq_u16_sdwa s[12:13], v11, s4 src0_sel:BYTE_0 src1_sel:DWORD
	s_mov_b64 s[4:5], -1
                                        ; implicit-def: $sgpr10
	s_and_saveexec_b64 s[8:9], s[12:13]
; %bb.2634:
	s_mov_b32 s10, 0x7f800001
	s_xor_b64 s[4:5], exec, -1
; %bb.2635:
	s_or_b64 exec, exec, s[8:9]
	s_and_b64 s[4:5], s[4:5], exec
	s_or_saveexec_b64 s[6:7], s[6:7]
	v_mov_b32_e32 v10, s10
	s_xor_b64 exec, exec, s[6:7]
	s_cbranch_execz .LBB23_586
.LBB23_2636:
	v_mov_b32_e32 v10, 0
	v_cmp_ne_u16_sdwa s[8:9], v11, v10 src0_sel:BYTE_0 src1_sel:DWORD
	s_andn2_b64 s[4:5], s[4:5], exec
	s_and_b64 s[8:9], s[8:9], exec
	s_or_b64 s[4:5], s[4:5], s[8:9]
	s_or_b64 exec, exec, s[6:7]
	s_and_saveexec_b64 s[6:7], s[4:5]
	s_cbranch_execnz .LBB23_587
	s_branch .LBB23_588
.LBB23_2637:
	s_movk_i32 s4, 0x80
	v_cmp_eq_u16_sdwa s[12:13], v11, s4 src0_sel:BYTE_0 src1_sel:DWORD
	s_mov_b64 s[4:5], -1
                                        ; implicit-def: $sgpr10
	s_and_saveexec_b64 s[8:9], s[12:13]
; %bb.2638:
	s_mov_b32 s10, 0x7f800001
	s_xor_b64 s[4:5], exec, -1
; %bb.2639:
	s_or_b64 exec, exec, s[8:9]
	s_and_b64 s[4:5], s[4:5], exec
	s_or_saveexec_b64 s[6:7], s[6:7]
	v_mov_b32_e32 v14, s10
	s_xor_b64 exec, exec, s[6:7]
	s_cbranch_execz .LBB23_590
.LBB23_2640:
	v_mov_b32_e32 v14, 0
	v_cmp_ne_u16_sdwa s[8:9], v11, v14 src0_sel:BYTE_0 src1_sel:DWORD
	s_andn2_b64 s[4:5], s[4:5], exec
	s_and_b64 s[8:9], s[8:9], exec
	s_or_b64 s[4:5], s[4:5], s[8:9]
	s_or_b64 exec, exec, s[6:7]
	s_and_saveexec_b64 s[6:7], s[4:5]
	s_cbranch_execnz .LBB23_591
	s_branch .LBB23_592
.LBB23_2641:
	s_movk_i32 s4, 0x80
	v_cmp_eq_u16_e32 vcc, s4, v11
	s_mov_b64 s[4:5], -1
                                        ; implicit-def: $sgpr10
	s_and_saveexec_b64 s[8:9], vcc
; %bb.2642:
	s_mov_b32 s10, 0x7f800001
	s_xor_b64 s[4:5], exec, -1
; %bb.2643:
	s_or_b64 exec, exec, s[8:9]
	s_and_b64 s[4:5], s[4:5], exec
                                        ; implicit-def: $vgpr11
	s_or_saveexec_b64 s[6:7], s[6:7]
	v_mov_b32_e32 v10, s10
	s_xor_b64 exec, exec, s[6:7]
	s_cbranch_execz .LBB23_594
.LBB23_2644:
	v_cmp_ne_u16_e32 vcc, 0, v11
	s_andn2_b64 s[4:5], s[4:5], exec
	s_and_b64 s[8:9], vcc, exec
	v_mov_b32_e32 v10, 0
	s_or_b64 s[4:5], s[4:5], s[8:9]
	s_or_b64 exec, exec, s[6:7]
	s_and_saveexec_b64 s[6:7], s[4:5]
	s_cbranch_execnz .LBB23_595
	s_branch .LBB23_596
.LBB23_2645:
	s_movk_i32 s4, 0x80
	v_cmp_eq_u16_e32 vcc, s4, v11
	s_mov_b64 s[4:5], -1
                                        ; implicit-def: $sgpr10
	s_and_saveexec_b64 s[8:9], vcc
; %bb.2646:
	s_mov_b32 s10, 0x7f800001
	s_xor_b64 s[4:5], exec, -1
; %bb.2647:
	s_or_b64 exec, exec, s[8:9]
	s_and_b64 s[4:5], s[4:5], exec
                                        ; implicit-def: $vgpr11
	s_or_saveexec_b64 s[6:7], s[6:7]
	v_mov_b32_e32 v14, s10
	s_xor_b64 exec, exec, s[6:7]
	s_cbranch_execz .LBB23_598
.LBB23_2648:
	v_cmp_ne_u16_e32 vcc, 0, v11
	s_andn2_b64 s[4:5], s[4:5], exec
	s_and_b64 s[8:9], vcc, exec
	v_mov_b32_e32 v14, 0
	s_or_b64 s[4:5], s[4:5], s[8:9]
	s_or_b64 exec, exec, s[6:7]
	s_and_saveexec_b64 s[6:7], s[4:5]
	s_cbranch_execnz .LBB23_599
	s_branch .LBB23_600
.LBB23_2649:
	s_movk_i32 s4, 0x80
	v_cmp_eq_u16_sdwa s[12:13], v16, s4 src0_sel:BYTE_3 src1_sel:DWORD
	s_mov_b64 s[4:5], -1
                                        ; implicit-def: $sgpr10
	s_and_saveexec_b64 s[8:9], s[12:13]
; %bb.2650:
	s_mov_b32 s10, 0x7f800001
	s_xor_b64 s[4:5], exec, -1
; %bb.2651:
	s_or_b64 exec, exec, s[8:9]
	s_and_b64 s[4:5], s[4:5], exec
	s_or_saveexec_b64 s[6:7], s[6:7]
	v_mov_b32_e32 v10, s10
	s_xor_b64 exec, exec, s[6:7]
	s_cbranch_execz .LBB23_602
.LBB23_2652:
	v_mov_b32_e32 v10, 0
	v_cmp_ne_u16_sdwa s[8:9], v16, v10 src0_sel:BYTE_3 src1_sel:DWORD
	s_andn2_b64 s[4:5], s[4:5], exec
	s_and_b64 s[8:9], s[8:9], exec
	s_or_b64 s[4:5], s[4:5], s[8:9]
	s_or_b64 exec, exec, s[6:7]
	s_and_saveexec_b64 s[6:7], s[4:5]
	s_cbranch_execnz .LBB23_603
	s_branch .LBB23_604
.LBB23_2653:
	s_movk_i32 s4, 0x80
	v_cmp_eq_u16_sdwa s[12:13], v12, s4 src0_sel:BYTE_3 src1_sel:DWORD
	s_mov_b64 s[4:5], -1
                                        ; implicit-def: $sgpr10
	s_and_saveexec_b64 s[8:9], s[12:13]
; %bb.2654:
	s_mov_b32 s10, 0x7f800001
	s_xor_b64 s[4:5], exec, -1
; %bb.2655:
	s_or_b64 exec, exec, s[8:9]
	s_and_b64 s[4:5], s[4:5], exec
	s_or_saveexec_b64 s[6:7], s[6:7]
	v_mov_b32_e32 v11, s10
	s_xor_b64 exec, exec, s[6:7]
	s_cbranch_execz .LBB23_606
.LBB23_2656:
	v_mov_b32_e32 v11, 0
	v_cmp_ne_u16_sdwa s[8:9], v12, v11 src0_sel:BYTE_3 src1_sel:DWORD
	s_andn2_b64 s[4:5], s[4:5], exec
	s_and_b64 s[8:9], s[8:9], exec
	s_or_b64 s[4:5], s[4:5], s[8:9]
	s_or_b64 exec, exec, s[6:7]
	s_and_saveexec_b64 s[6:7], s[4:5]
	s_cbranch_execnz .LBB23_607
	s_branch .LBB23_608
.LBB23_2657:
	s_movk_i32 s4, 0x80
	v_cmp_eq_u16_sdwa s[12:13], v17, s4 src0_sel:BYTE_0 src1_sel:DWORD
	s_mov_b64 s[4:5], -1
                                        ; implicit-def: $sgpr10
	s_and_saveexec_b64 s[8:9], s[12:13]
; %bb.2658:
	s_mov_b32 s10, 0x7f800001
	s_xor_b64 s[4:5], exec, -1
; %bb.2659:
	s_or_b64 exec, exec, s[8:9]
	s_and_b64 s[4:5], s[4:5], exec
	s_or_saveexec_b64 s[6:7], s[6:7]
	v_mov_b32_e32 v10, s10
	s_xor_b64 exec, exec, s[6:7]
	s_cbranch_execz .LBB23_610
.LBB23_2660:
	v_mov_b32_e32 v10, 0
	v_cmp_ne_u16_sdwa s[8:9], v17, v10 src0_sel:BYTE_0 src1_sel:DWORD
	s_andn2_b64 s[4:5], s[4:5], exec
	s_and_b64 s[8:9], s[8:9], exec
	s_or_b64 s[4:5], s[4:5], s[8:9]
	s_or_b64 exec, exec, s[6:7]
	s_and_saveexec_b64 s[6:7], s[4:5]
	s_cbranch_execnz .LBB23_611
	s_branch .LBB23_612
.LBB23_2661:
	s_movk_i32 s4, 0x80
	v_cmp_eq_u16_sdwa s[12:13], v13, s4 src0_sel:BYTE_0 src1_sel:DWORD
	s_mov_b64 s[4:5], -1
                                        ; implicit-def: $sgpr10
	s_and_saveexec_b64 s[8:9], s[12:13]
; %bb.2662:
	s_mov_b32 s10, 0x7f800001
	s_xor_b64 s[4:5], exec, -1
; %bb.2663:
	s_or_b64 exec, exec, s[8:9]
	s_and_b64 s[4:5], s[4:5], exec
	s_or_saveexec_b64 s[6:7], s[6:7]
	v_mov_b32_e32 v11, s10
	s_xor_b64 exec, exec, s[6:7]
	s_cbranch_execz .LBB23_614
.LBB23_2664:
	v_mov_b32_e32 v11, 0
	v_cmp_ne_u16_sdwa s[8:9], v13, v11 src0_sel:BYTE_0 src1_sel:DWORD
	s_andn2_b64 s[4:5], s[4:5], exec
	s_and_b64 s[8:9], s[8:9], exec
	s_or_b64 s[4:5], s[4:5], s[8:9]
	s_or_b64 exec, exec, s[6:7]
	s_and_saveexec_b64 s[6:7], s[4:5]
	s_cbranch_execnz .LBB23_615
	s_branch .LBB23_616
.LBB23_2665:
	s_movk_i32 s4, 0x80
	v_cmp_eq_u16_sdwa s[12:13], v11, s4 src0_sel:BYTE_0 src1_sel:DWORD
	s_mov_b64 s[4:5], -1
                                        ; implicit-def: $sgpr10
	s_and_saveexec_b64 s[8:9], s[12:13]
; %bb.2666:
	s_mov_b32 s10, 0x7f800001
	s_xor_b64 s[4:5], exec, -1
; %bb.2667:
	s_or_b64 exec, exec, s[8:9]
	s_and_b64 s[4:5], s[4:5], exec
	s_or_saveexec_b64 s[6:7], s[6:7]
	v_mov_b32_e32 v10, s10
	s_xor_b64 exec, exec, s[6:7]
	s_cbranch_execz .LBB23_618
.LBB23_2668:
	v_mov_b32_e32 v10, 0
	v_cmp_ne_u16_sdwa s[8:9], v11, v10 src0_sel:BYTE_0 src1_sel:DWORD
	s_andn2_b64 s[4:5], s[4:5], exec
	s_and_b64 s[8:9], s[8:9], exec
	s_or_b64 s[4:5], s[4:5], s[8:9]
	s_or_b64 exec, exec, s[6:7]
	s_and_saveexec_b64 s[6:7], s[4:5]
	s_cbranch_execnz .LBB23_619
	s_branch .LBB23_620
.LBB23_2669:
	s_movk_i32 s4, 0x80
	v_cmp_eq_u16_sdwa s[12:13], v11, s4 src0_sel:BYTE_0 src1_sel:DWORD
	s_mov_b64 s[4:5], -1
                                        ; implicit-def: $sgpr10
	s_and_saveexec_b64 s[8:9], s[12:13]
; %bb.2670:
	s_mov_b32 s10, 0x7f800001
	s_xor_b64 s[4:5], exec, -1
; %bb.2671:
	s_or_b64 exec, exec, s[8:9]
	s_and_b64 s[4:5], s[4:5], exec
	s_or_saveexec_b64 s[6:7], s[6:7]
	v_mov_b32_e32 v12, s10
	s_xor_b64 exec, exec, s[6:7]
	s_cbranch_execz .LBB23_622
.LBB23_2672:
	v_mov_b32_e32 v12, 0
	v_cmp_ne_u16_sdwa s[8:9], v11, v12 src0_sel:BYTE_0 src1_sel:DWORD
	s_andn2_b64 s[4:5], s[4:5], exec
	s_and_b64 s[8:9], s[8:9], exec
	s_or_b64 s[4:5], s[4:5], s[8:9]
	s_or_b64 exec, exec, s[6:7]
	s_and_saveexec_b64 s[6:7], s[4:5]
	s_cbranch_execnz .LBB23_623
	s_branch .LBB23_624
.LBB23_2673:
	s_movk_i32 s4, 0x80
	v_cmp_eq_u16_e32 vcc, s4, v11
	s_mov_b64 s[4:5], -1
                                        ; implicit-def: $sgpr10
	s_and_saveexec_b64 s[8:9], vcc
; %bb.2674:
	s_mov_b32 s10, 0x7f800001
	s_xor_b64 s[4:5], exec, -1
; %bb.2675:
	s_or_b64 exec, exec, s[8:9]
	s_and_b64 s[4:5], s[4:5], exec
                                        ; implicit-def: $vgpr11
	s_or_saveexec_b64 s[6:7], s[6:7]
	v_mov_b32_e32 v10, s10
	s_xor_b64 exec, exec, s[6:7]
	s_cbranch_execz .LBB23_626
.LBB23_2676:
	v_cmp_ne_u16_e32 vcc, 0, v11
	s_andn2_b64 s[4:5], s[4:5], exec
	s_and_b64 s[8:9], vcc, exec
	v_mov_b32_e32 v10, 0
	s_or_b64 s[4:5], s[4:5], s[8:9]
	s_or_b64 exec, exec, s[6:7]
	s_and_saveexec_b64 s[6:7], s[4:5]
	s_cbranch_execnz .LBB23_627
	s_branch .LBB23_628
.LBB23_2677:
	s_movk_i32 s4, 0x80
	v_cmp_eq_u16_e32 vcc, s4, v11
	s_mov_b64 s[4:5], -1
                                        ; implicit-def: $sgpr10
	s_and_saveexec_b64 s[8:9], vcc
; %bb.2678:
	s_mov_b32 s10, 0x7f800001
	s_xor_b64 s[4:5], exec, -1
; %bb.2679:
	s_or_b64 exec, exec, s[8:9]
	s_and_b64 s[4:5], s[4:5], exec
                                        ; implicit-def: $vgpr11
	s_or_saveexec_b64 s[6:7], s[6:7]
	v_mov_b32_e32 v12, s10
	s_xor_b64 exec, exec, s[6:7]
	s_cbranch_execz .LBB23_630
.LBB23_2680:
	v_cmp_ne_u16_e32 vcc, 0, v11
	s_andn2_b64 s[4:5], s[4:5], exec
	s_and_b64 s[8:9], vcc, exec
	v_mov_b32_e32 v12, 0
	s_or_b64 s[4:5], s[4:5], s[8:9]
	s_or_b64 exec, exec, s[6:7]
	s_and_saveexec_b64 s[6:7], s[4:5]
	s_cbranch_execnz .LBB23_631
	s_branch .LBB23_632
.LBB23_2681:
	s_movk_i32 s4, 0x80
	v_cmp_eq_u16_sdwa s[12:13], v17, s4 src0_sel:BYTE_3 src1_sel:DWORD
	s_mov_b64 s[4:5], -1
                                        ; implicit-def: $sgpr10
	s_and_saveexec_b64 s[8:9], s[12:13]
; %bb.2682:
	s_mov_b32 s10, 0x7f800001
	s_xor_b64 s[4:5], exec, -1
; %bb.2683:
	s_or_b64 exec, exec, s[8:9]
	s_and_b64 s[4:5], s[4:5], exec
	s_or_saveexec_b64 s[6:7], s[6:7]
	v_mov_b32_e32 v10, s10
	s_xor_b64 exec, exec, s[6:7]
	s_cbranch_execz .LBB23_634
.LBB23_2684:
	v_mov_b32_e32 v10, 0
	v_cmp_ne_u16_sdwa s[8:9], v17, v10 src0_sel:BYTE_3 src1_sel:DWORD
	s_andn2_b64 s[4:5], s[4:5], exec
	s_and_b64 s[8:9], s[8:9], exec
	s_or_b64 s[4:5], s[4:5], s[8:9]
	s_or_b64 exec, exec, s[6:7]
	s_and_saveexec_b64 s[6:7], s[4:5]
	s_cbranch_execnz .LBB23_635
	s_branch .LBB23_636
.LBB23_2685:
	s_movk_i32 s4, 0x80
	v_cmp_eq_u16_sdwa s[12:13], v13, s4 src0_sel:BYTE_3 src1_sel:DWORD
	s_mov_b64 s[4:5], -1
                                        ; implicit-def: $sgpr10
	s_and_saveexec_b64 s[8:9], s[12:13]
; %bb.2686:
	s_mov_b32 s10, 0x7f800001
	s_xor_b64 s[4:5], exec, -1
; %bb.2687:
	s_or_b64 exec, exec, s[8:9]
	s_and_b64 s[4:5], s[4:5], exec
	s_or_saveexec_b64 s[6:7], s[6:7]
	v_mov_b32_e32 v11, s10
	s_xor_b64 exec, exec, s[6:7]
	s_cbranch_execz .LBB23_638
.LBB23_2688:
	v_mov_b32_e32 v11, 0
	v_cmp_ne_u16_sdwa s[8:9], v13, v11 src0_sel:BYTE_3 src1_sel:DWORD
	s_andn2_b64 s[4:5], s[4:5], exec
	s_and_b64 s[8:9], s[8:9], exec
	s_or_b64 s[4:5], s[4:5], s[8:9]
	s_or_b64 exec, exec, s[6:7]
	s_and_saveexec_b64 s[6:7], s[4:5]
	s_cbranch_execnz .LBB23_639
	s_branch .LBB23_640
.LBB23_2689:
	s_movk_i32 s4, 0x80
	v_cmp_eq_u16_sdwa s[12:13], v6, s4 src0_sel:BYTE_0 src1_sel:DWORD
	s_mov_b64 s[4:5], -1
                                        ; implicit-def: $sgpr10
	s_and_saveexec_b64 s[8:9], s[12:13]
; %bb.2690:
	s_mov_b32 s10, 0x7f800001
	s_xor_b64 s[4:5], exec, -1
; %bb.2691:
	s_or_b64 exec, exec, s[8:9]
	s_and_b64 s[4:5], s[4:5], exec
	s_or_saveexec_b64 s[6:7], s[6:7]
	v_mov_b32_e32 v10, s10
	s_xor_b64 exec, exec, s[6:7]
	s_cbranch_execz .LBB23_642
.LBB23_2692:
	v_mov_b32_e32 v10, 0
	v_cmp_ne_u16_sdwa s[8:9], v6, v10 src0_sel:BYTE_0 src1_sel:DWORD
	s_andn2_b64 s[4:5], s[4:5], exec
	s_and_b64 s[8:9], s[8:9], exec
	s_or_b64 s[4:5], s[4:5], s[8:9]
	s_or_b64 exec, exec, s[6:7]
	s_and_saveexec_b64 s[6:7], s[4:5]
	s_cbranch_execnz .LBB23_643
	s_branch .LBB23_644
.LBB23_2693:
	s_movk_i32 s4, 0x80
	v_cmp_eq_u16_sdwa s[12:13], v2, s4 src0_sel:BYTE_0 src1_sel:DWORD
	s_mov_b64 s[4:5], -1
                                        ; implicit-def: $sgpr10
	s_and_saveexec_b64 s[8:9], s[12:13]
; %bb.2694:
	s_mov_b32 s10, 0x7f800001
	s_xor_b64 s[4:5], exec, -1
; %bb.2695:
	s_or_b64 exec, exec, s[8:9]
	s_and_b64 s[4:5], s[4:5], exec
	s_or_saveexec_b64 s[6:7], s[6:7]
	v_mov_b32_e32 v11, s10
	s_xor_b64 exec, exec, s[6:7]
	s_cbranch_execz .LBB23_646
.LBB23_2696:
	v_mov_b32_e32 v11, 0
	v_cmp_ne_u16_sdwa s[8:9], v2, v11 src0_sel:BYTE_0 src1_sel:DWORD
	s_andn2_b64 s[4:5], s[4:5], exec
	s_and_b64 s[8:9], s[8:9], exec
	s_or_b64 s[4:5], s[4:5], s[8:9]
	s_or_b64 exec, exec, s[6:7]
	s_and_saveexec_b64 s[6:7], s[4:5]
	s_cbranch_execnz .LBB23_647
	s_branch .LBB23_648
.LBB23_2697:
	s_movk_i32 s4, 0x80
	v_cmp_eq_u16_sdwa s[12:13], v11, s4 src0_sel:BYTE_0 src1_sel:DWORD
	s_mov_b64 s[4:5], -1
                                        ; implicit-def: $sgpr10
	s_and_saveexec_b64 s[8:9], s[12:13]
; %bb.2698:
	s_mov_b32 s10, 0x7f800001
	s_xor_b64 s[4:5], exec, -1
; %bb.2699:
	s_or_b64 exec, exec, s[8:9]
	s_and_b64 s[4:5], s[4:5], exec
	s_or_saveexec_b64 s[6:7], s[6:7]
	v_mov_b32_e32 v10, s10
	s_xor_b64 exec, exec, s[6:7]
	s_cbranch_execz .LBB23_650
.LBB23_2700:
	v_mov_b32_e32 v10, 0
	v_cmp_ne_u16_sdwa s[8:9], v11, v10 src0_sel:BYTE_0 src1_sel:DWORD
	s_andn2_b64 s[4:5], s[4:5], exec
	s_and_b64 s[8:9], s[8:9], exec
	s_or_b64 s[4:5], s[4:5], s[8:9]
	s_or_b64 exec, exec, s[6:7]
	s_and_saveexec_b64 s[6:7], s[4:5]
	s_cbranch_execnz .LBB23_651
	s_branch .LBB23_652
.LBB23_2701:
	s_movk_i32 s4, 0x80
	v_cmp_eq_u16_sdwa s[12:13], v11, s4 src0_sel:BYTE_0 src1_sel:DWORD
	s_mov_b64 s[4:5], -1
                                        ; implicit-def: $sgpr10
	s_and_saveexec_b64 s[8:9], s[12:13]
; %bb.2702:
	s_mov_b32 s10, 0x7f800001
	s_xor_b64 s[4:5], exec, -1
; %bb.2703:
	s_or_b64 exec, exec, s[8:9]
	s_and_b64 s[4:5], s[4:5], exec
	s_or_saveexec_b64 s[6:7], s[6:7]
	v_mov_b32_e32 v12, s10
	s_xor_b64 exec, exec, s[6:7]
	s_cbranch_execz .LBB23_654
.LBB23_2704:
	v_mov_b32_e32 v12, 0
	v_cmp_ne_u16_sdwa s[8:9], v11, v12 src0_sel:BYTE_0 src1_sel:DWORD
	s_andn2_b64 s[4:5], s[4:5], exec
	s_and_b64 s[8:9], s[8:9], exec
	s_or_b64 s[4:5], s[4:5], s[8:9]
	s_or_b64 exec, exec, s[6:7]
	s_and_saveexec_b64 s[6:7], s[4:5]
	s_cbranch_execnz .LBB23_655
	s_branch .LBB23_656
.LBB23_2705:
	s_movk_i32 s4, 0x80
	v_cmp_eq_u16_e32 vcc, s4, v11
	s_mov_b64 s[4:5], -1
                                        ; implicit-def: $sgpr10
	s_and_saveexec_b64 s[8:9], vcc
; %bb.2706:
	s_mov_b32 s10, 0x7f800001
	s_xor_b64 s[4:5], exec, -1
; %bb.2707:
	s_or_b64 exec, exec, s[8:9]
	s_and_b64 s[4:5], s[4:5], exec
                                        ; implicit-def: $vgpr11
	s_or_saveexec_b64 s[6:7], s[6:7]
	v_mov_b32_e32 v10, s10
	s_xor_b64 exec, exec, s[6:7]
	s_cbranch_execz .LBB23_658
.LBB23_2708:
	v_cmp_ne_u16_e32 vcc, 0, v11
	s_andn2_b64 s[4:5], s[4:5], exec
	s_and_b64 s[8:9], vcc, exec
	v_mov_b32_e32 v10, 0
	s_or_b64 s[4:5], s[4:5], s[8:9]
	s_or_b64 exec, exec, s[6:7]
	s_and_saveexec_b64 s[6:7], s[4:5]
	s_cbranch_execnz .LBB23_659
	s_branch .LBB23_660
.LBB23_2709:
	s_movk_i32 s4, 0x80
	v_cmp_eq_u16_e32 vcc, s4, v11
	s_mov_b64 s[4:5], -1
                                        ; implicit-def: $sgpr10
	s_and_saveexec_b64 s[8:9], vcc
; %bb.2710:
	s_mov_b32 s10, 0x7f800001
	s_xor_b64 s[4:5], exec, -1
; %bb.2711:
	s_or_b64 exec, exec, s[8:9]
	s_and_b64 s[4:5], s[4:5], exec
                                        ; implicit-def: $vgpr11
	s_or_saveexec_b64 s[6:7], s[6:7]
	v_mov_b32_e32 v12, s10
	s_xor_b64 exec, exec, s[6:7]
	s_cbranch_execz .LBB23_662
.LBB23_2712:
	v_cmp_ne_u16_e32 vcc, 0, v11
	s_andn2_b64 s[4:5], s[4:5], exec
	s_and_b64 s[8:9], vcc, exec
	v_mov_b32_e32 v12, 0
	s_or_b64 s[4:5], s[4:5], s[8:9]
	s_or_b64 exec, exec, s[6:7]
	s_and_saveexec_b64 s[6:7], s[4:5]
	s_cbranch_execnz .LBB23_663
	s_branch .LBB23_664
.LBB23_2713:
	s_movk_i32 s4, 0x80
	v_cmp_eq_u16_sdwa s[12:13], v6, s4 src0_sel:BYTE_3 src1_sel:DWORD
	s_mov_b64 s[4:5], -1
                                        ; implicit-def: $sgpr10
	s_and_saveexec_b64 s[8:9], s[12:13]
; %bb.2714:
	s_mov_b32 s10, 0x7f800001
	s_xor_b64 s[4:5], exec, -1
; %bb.2715:
	s_or_b64 exec, exec, s[8:9]
	s_and_b64 s[4:5], s[4:5], exec
	s_or_saveexec_b64 s[6:7], s[6:7]
	v_mov_b32_e32 v10, s10
	s_xor_b64 exec, exec, s[6:7]
	s_cbranch_execz .LBB23_666
.LBB23_2716:
	v_mov_b32_e32 v10, 0
	v_cmp_ne_u16_sdwa s[8:9], v6, v10 src0_sel:BYTE_3 src1_sel:DWORD
	s_andn2_b64 s[4:5], s[4:5], exec
	s_and_b64 s[8:9], s[8:9], exec
	s_or_b64 s[4:5], s[4:5], s[8:9]
	s_or_b64 exec, exec, s[6:7]
	s_and_saveexec_b64 s[6:7], s[4:5]
	s_cbranch_execnz .LBB23_667
	s_branch .LBB23_668
.LBB23_2717:
	s_movk_i32 s4, 0x80
	v_cmp_eq_u16_sdwa s[12:13], v2, s4 src0_sel:BYTE_3 src1_sel:DWORD
	s_mov_b64 s[4:5], -1
                                        ; implicit-def: $sgpr10
	s_and_saveexec_b64 s[8:9], s[12:13]
; %bb.2718:
	s_mov_b32 s10, 0x7f800001
	s_xor_b64 s[4:5], exec, -1
; %bb.2719:
	s_or_b64 exec, exec, s[8:9]
	s_and_b64 s[4:5], s[4:5], exec
	s_or_saveexec_b64 s[6:7], s[6:7]
	v_mov_b32_e32 v6, s10
	s_xor_b64 exec, exec, s[6:7]
	s_cbranch_execz .LBB23_670
.LBB23_2720:
	v_mov_b32_e32 v6, 0
	v_cmp_ne_u16_sdwa s[8:9], v2, v6 src0_sel:BYTE_3 src1_sel:DWORD
	s_andn2_b64 s[4:5], s[4:5], exec
	s_and_b64 s[8:9], s[8:9], exec
	s_or_b64 s[4:5], s[4:5], s[8:9]
	s_or_b64 exec, exec, s[6:7]
	s_and_saveexec_b64 s[6:7], s[4:5]
	s_cbranch_execnz .LBB23_671
	s_branch .LBB23_672
.LBB23_2721:
	s_movk_i32 s4, 0x80
	v_cmp_eq_u16_sdwa s[12:13], v7, s4 src0_sel:BYTE_0 src1_sel:DWORD
	s_mov_b64 s[4:5], -1
                                        ; implicit-def: $sgpr10
	s_and_saveexec_b64 s[8:9], s[12:13]
; %bb.2722:
	s_mov_b32 s10, 0x7f800001
	s_xor_b64 s[4:5], exec, -1
; %bb.2723:
	s_or_b64 exec, exec, s[8:9]
	s_and_b64 s[4:5], s[4:5], exec
	s_or_saveexec_b64 s[6:7], s[6:7]
	v_mov_b32_e32 v2, s10
	s_xor_b64 exec, exec, s[6:7]
	s_cbranch_execz .LBB23_674
.LBB23_2724:
	v_mov_b32_e32 v2, 0
	v_cmp_ne_u16_sdwa s[8:9], v7, v2 src0_sel:BYTE_0 src1_sel:DWORD
	s_andn2_b64 s[4:5], s[4:5], exec
	s_and_b64 s[8:9], s[8:9], exec
	s_or_b64 s[4:5], s[4:5], s[8:9]
	s_or_b64 exec, exec, s[6:7]
	s_and_saveexec_b64 s[6:7], s[4:5]
	s_cbranch_execnz .LBB23_675
	s_branch .LBB23_676
.LBB23_2725:
	s_movk_i32 s4, 0x80
	v_cmp_eq_u16_sdwa s[12:13], v3, s4 src0_sel:BYTE_0 src1_sel:DWORD
	s_mov_b64 s[4:5], -1
                                        ; implicit-def: $sgpr10
	s_and_saveexec_b64 s[8:9], s[12:13]
; %bb.2726:
	s_mov_b32 s10, 0x7f800001
	s_xor_b64 s[4:5], exec, -1
; %bb.2727:
	s_or_b64 exec, exec, s[8:9]
	s_and_b64 s[4:5], s[4:5], exec
	s_or_saveexec_b64 s[6:7], s[6:7]
	v_mov_b32_e32 v6, s10
	s_xor_b64 exec, exec, s[6:7]
	s_cbranch_execz .LBB23_678
.LBB23_2728:
	v_mov_b32_e32 v6, 0
	v_cmp_ne_u16_sdwa s[8:9], v3, v6 src0_sel:BYTE_0 src1_sel:DWORD
	s_andn2_b64 s[4:5], s[4:5], exec
	s_and_b64 s[8:9], s[8:9], exec
	s_or_b64 s[4:5], s[4:5], s[8:9]
	s_or_b64 exec, exec, s[6:7]
	s_and_saveexec_b64 s[6:7], s[4:5]
	s_cbranch_execnz .LBB23_679
	s_branch .LBB23_680
.LBB23_2729:
	s_movk_i32 s4, 0x80
	v_cmp_eq_u16_sdwa s[12:13], v6, s4 src0_sel:BYTE_0 src1_sel:DWORD
	s_mov_b64 s[4:5], -1
                                        ; implicit-def: $sgpr10
	s_and_saveexec_b64 s[8:9], s[12:13]
; %bb.2730:
	s_mov_b32 s10, 0x7f800001
	s_xor_b64 s[4:5], exec, -1
; %bb.2731:
	s_or_b64 exec, exec, s[8:9]
	s_and_b64 s[4:5], s[4:5], exec
	s_or_saveexec_b64 s[6:7], s[6:7]
	v_mov_b32_e32 v2, s10
	s_xor_b64 exec, exec, s[6:7]
	s_cbranch_execz .LBB23_682
.LBB23_2732:
	v_mov_b32_e32 v2, 0
	v_cmp_ne_u16_sdwa s[8:9], v6, v2 src0_sel:BYTE_0 src1_sel:DWORD
	s_andn2_b64 s[4:5], s[4:5], exec
	s_and_b64 s[8:9], s[8:9], exec
	s_or_b64 s[4:5], s[4:5], s[8:9]
	s_or_b64 exec, exec, s[6:7]
	s_and_saveexec_b64 s[6:7], s[4:5]
	s_cbranch_execnz .LBB23_683
	s_branch .LBB23_684
.LBB23_2733:
	s_movk_i32 s4, 0x80
	v_cmp_eq_u16_sdwa s[12:13], v6, s4 src0_sel:BYTE_0 src1_sel:DWORD
	s_mov_b64 s[4:5], -1
                                        ; implicit-def: $sgpr10
	s_and_saveexec_b64 s[8:9], s[12:13]
; %bb.2734:
	s_mov_b32 s10, 0x7f800001
	s_xor_b64 s[4:5], exec, -1
; %bb.2735:
	s_or_b64 exec, exec, s[8:9]
	s_and_b64 s[4:5], s[4:5], exec
	s_or_saveexec_b64 s[6:7], s[6:7]
	v_mov_b32_e32 v10, s10
	s_xor_b64 exec, exec, s[6:7]
	s_cbranch_execz .LBB23_686
.LBB23_2736:
	v_mov_b32_e32 v10, 0
	v_cmp_ne_u16_sdwa s[8:9], v6, v10 src0_sel:BYTE_0 src1_sel:DWORD
	s_andn2_b64 s[4:5], s[4:5], exec
	s_and_b64 s[8:9], s[8:9], exec
	s_or_b64 s[4:5], s[4:5], s[8:9]
	s_or_b64 exec, exec, s[6:7]
	s_and_saveexec_b64 s[6:7], s[4:5]
	s_cbranch_execnz .LBB23_687
	s_branch .LBB23_688
.LBB23_2737:
	s_movk_i32 s4, 0x80
	v_cmp_eq_u16_e32 vcc, s4, v6
	s_mov_b64 s[4:5], -1
                                        ; implicit-def: $sgpr10
	s_and_saveexec_b64 s[8:9], vcc
; %bb.2738:
	s_mov_b32 s10, 0x7f800001
	s_xor_b64 s[4:5], exec, -1
; %bb.2739:
	s_or_b64 exec, exec, s[8:9]
	s_and_b64 s[4:5], s[4:5], exec
                                        ; implicit-def: $vgpr6
	s_or_saveexec_b64 s[6:7], s[6:7]
	v_mov_b32_e32 v2, s10
	s_xor_b64 exec, exec, s[6:7]
	s_cbranch_execz .LBB23_690
.LBB23_2740:
	v_cmp_ne_u16_e32 vcc, 0, v6
	s_andn2_b64 s[4:5], s[4:5], exec
	s_and_b64 s[8:9], vcc, exec
	v_mov_b32_e32 v2, 0
	s_or_b64 s[4:5], s[4:5], s[8:9]
	s_or_b64 exec, exec, s[6:7]
	s_and_saveexec_b64 s[6:7], s[4:5]
	s_cbranch_execnz .LBB23_691
	s_branch .LBB23_692
.LBB23_2741:
	s_movk_i32 s4, 0x80
	v_cmp_eq_u16_e32 vcc, s4, v6
	s_mov_b64 s[4:5], -1
                                        ; implicit-def: $sgpr10
	s_and_saveexec_b64 s[8:9], vcc
; %bb.2742:
	s_mov_b32 s10, 0x7f800001
	s_xor_b64 s[4:5], exec, -1
; %bb.2743:
	s_or_b64 exec, exec, s[8:9]
	s_and_b64 s[4:5], s[4:5], exec
                                        ; implicit-def: $vgpr6
	s_or_saveexec_b64 s[6:7], s[6:7]
	v_mov_b32_e32 v10, s10
	s_xor_b64 exec, exec, s[6:7]
	s_cbranch_execz .LBB23_694
.LBB23_2744:
	v_cmp_ne_u16_e32 vcc, 0, v6
	s_andn2_b64 s[4:5], s[4:5], exec
	s_and_b64 s[8:9], vcc, exec
	v_mov_b32_e32 v10, 0
	s_or_b64 s[4:5], s[4:5], s[8:9]
	s_or_b64 exec, exec, s[6:7]
	s_and_saveexec_b64 s[6:7], s[4:5]
	s_cbranch_execnz .LBB23_695
	s_branch .LBB23_696
.LBB23_2745:
	s_movk_i32 s4, 0x80
	v_cmp_eq_u16_sdwa s[12:13], v7, s4 src0_sel:BYTE_3 src1_sel:DWORD
	s_mov_b64 s[4:5], -1
                                        ; implicit-def: $sgpr10
	s_and_saveexec_b64 s[8:9], s[12:13]
; %bb.2746:
	s_mov_b32 s10, 0x7f800001
	s_xor_b64 s[4:5], exec, -1
; %bb.2747:
	s_or_b64 exec, exec, s[8:9]
	s_and_b64 s[4:5], s[4:5], exec
	s_or_saveexec_b64 s[6:7], s[6:7]
	v_mov_b32_e32 v2, s10
	s_xor_b64 exec, exec, s[6:7]
	s_cbranch_execz .LBB23_698
.LBB23_2748:
	v_mov_b32_e32 v2, 0
	v_cmp_ne_u16_sdwa s[8:9], v7, v2 src0_sel:BYTE_3 src1_sel:DWORD
	s_andn2_b64 s[4:5], s[4:5], exec
	s_and_b64 s[8:9], s[8:9], exec
	s_or_b64 s[4:5], s[4:5], s[8:9]
	s_or_b64 exec, exec, s[6:7]
	s_and_saveexec_b64 s[6:7], s[4:5]
	s_cbranch_execnz .LBB23_699
	s_branch .LBB23_700
.LBB23_2749:
	s_movk_i32 s4, 0x80
	v_cmp_eq_u16_sdwa s[12:13], v3, s4 src0_sel:BYTE_3 src1_sel:DWORD
	s_mov_b64 s[4:5], -1
                                        ; implicit-def: $sgpr10
	s_and_saveexec_b64 s[8:9], s[12:13]
; %bb.2750:
	s_mov_b32 s10, 0x7f800001
	s_xor_b64 s[4:5], exec, -1
; %bb.2751:
	s_or_b64 exec, exec, s[8:9]
	s_and_b64 s[4:5], s[4:5], exec
	s_or_saveexec_b64 s[6:7], s[6:7]
	v_mov_b32_e32 v6, s10
	s_xor_b64 exec, exec, s[6:7]
	s_cbranch_execz .LBB23_702
.LBB23_2752:
	v_mov_b32_e32 v6, 0
	v_cmp_ne_u16_sdwa s[8:9], v3, v6 src0_sel:BYTE_3 src1_sel:DWORD
	s_andn2_b64 s[4:5], s[4:5], exec
	s_and_b64 s[8:9], s[8:9], exec
	s_or_b64 s[4:5], s[4:5], s[8:9]
	s_or_b64 exec, exec, s[6:7]
	s_and_saveexec_b64 s[6:7], s[4:5]
	s_cbranch_execnz .LBB23_703
	s_branch .LBB23_704
.LBB23_2753:
	s_movk_i32 s4, 0x80
	v_cmp_eq_u16_sdwa s[12:13], v8, s4 src0_sel:BYTE_0 src1_sel:DWORD
	s_mov_b64 s[4:5], -1
                                        ; implicit-def: $sgpr10
	s_and_saveexec_b64 s[8:9], s[12:13]
; %bb.2754:
	s_mov_b32 s10, 0x7f800001
	s_xor_b64 s[4:5], exec, -1
; %bb.2755:
	s_or_b64 exec, exec, s[8:9]
	s_and_b64 s[4:5], s[4:5], exec
	s_or_saveexec_b64 s[6:7], s[6:7]
	v_mov_b32_e32 v2, s10
	s_xor_b64 exec, exec, s[6:7]
	s_cbranch_execz .LBB23_706
.LBB23_2756:
	v_mov_b32_e32 v2, 0
	v_cmp_ne_u16_sdwa s[8:9], v8, v2 src0_sel:BYTE_0 src1_sel:DWORD
	s_andn2_b64 s[4:5], s[4:5], exec
	s_and_b64 s[8:9], s[8:9], exec
	s_or_b64 s[4:5], s[4:5], s[8:9]
	s_or_b64 exec, exec, s[6:7]
	s_and_saveexec_b64 s[6:7], s[4:5]
	s_cbranch_execnz .LBB23_707
	s_branch .LBB23_708
.LBB23_2757:
	s_movk_i32 s4, 0x80
	v_cmp_eq_u16_sdwa s[12:13], v4, s4 src0_sel:BYTE_0 src1_sel:DWORD
	s_mov_b64 s[4:5], -1
                                        ; implicit-def: $sgpr10
	s_and_saveexec_b64 s[8:9], s[12:13]
; %bb.2758:
	s_mov_b32 s10, 0x7f800001
	s_xor_b64 s[4:5], exec, -1
; %bb.2759:
	s_or_b64 exec, exec, s[8:9]
	s_and_b64 s[4:5], s[4:5], exec
	s_or_saveexec_b64 s[6:7], s[6:7]
	v_mov_b32_e32 v3, s10
	s_xor_b64 exec, exec, s[6:7]
	s_cbranch_execz .LBB23_710
.LBB23_2760:
	v_mov_b32_e32 v3, 0
	v_cmp_ne_u16_sdwa s[8:9], v4, v3 src0_sel:BYTE_0 src1_sel:DWORD
	s_andn2_b64 s[4:5], s[4:5], exec
	s_and_b64 s[8:9], s[8:9], exec
	s_or_b64 s[4:5], s[4:5], s[8:9]
	s_or_b64 exec, exec, s[6:7]
	s_and_saveexec_b64 s[6:7], s[4:5]
	s_cbranch_execnz .LBB23_711
	s_branch .LBB23_712
.LBB23_2761:
	s_movk_i32 s4, 0x80
	v_cmp_eq_u16_sdwa s[12:13], v3, s4 src0_sel:BYTE_0 src1_sel:DWORD
	s_mov_b64 s[4:5], -1
                                        ; implicit-def: $sgpr10
	s_and_saveexec_b64 s[8:9], s[12:13]
; %bb.2762:
	s_mov_b32 s10, 0x7f800001
	s_xor_b64 s[4:5], exec, -1
; %bb.2763:
	s_or_b64 exec, exec, s[8:9]
	s_and_b64 s[4:5], s[4:5], exec
	s_or_saveexec_b64 s[6:7], s[6:7]
	v_mov_b32_e32 v2, s10
	s_xor_b64 exec, exec, s[6:7]
	s_cbranch_execz .LBB23_714
.LBB23_2764:
	v_mov_b32_e32 v2, 0
	v_cmp_ne_u16_sdwa s[8:9], v3, v2 src0_sel:BYTE_0 src1_sel:DWORD
	s_andn2_b64 s[4:5], s[4:5], exec
	s_and_b64 s[8:9], s[8:9], exec
	s_or_b64 s[4:5], s[4:5], s[8:9]
	s_or_b64 exec, exec, s[6:7]
	s_and_saveexec_b64 s[6:7], s[4:5]
	s_cbranch_execnz .LBB23_715
	s_branch .LBB23_716
.LBB23_2765:
	s_movk_i32 s4, 0x80
	v_cmp_eq_u16_sdwa s[12:13], v3, s4 src0_sel:BYTE_0 src1_sel:DWORD
	s_mov_b64 s[4:5], -1
                                        ; implicit-def: $sgpr10
	s_and_saveexec_b64 s[8:9], s[12:13]
; %bb.2766:
	s_mov_b32 s10, 0x7f800001
	s_xor_b64 s[4:5], exec, -1
; %bb.2767:
	s_or_b64 exec, exec, s[8:9]
	s_and_b64 s[4:5], s[4:5], exec
	s_or_saveexec_b64 s[6:7], s[6:7]
	v_mov_b32_e32 v6, s10
	s_xor_b64 exec, exec, s[6:7]
	s_cbranch_execz .LBB23_718
.LBB23_2768:
	v_mov_b32_e32 v6, 0
	v_cmp_ne_u16_sdwa s[8:9], v3, v6 src0_sel:BYTE_0 src1_sel:DWORD
	s_andn2_b64 s[4:5], s[4:5], exec
	s_and_b64 s[8:9], s[8:9], exec
	s_or_b64 s[4:5], s[4:5], s[8:9]
	s_or_b64 exec, exec, s[6:7]
	s_and_saveexec_b64 s[6:7], s[4:5]
	s_cbranch_execnz .LBB23_719
	s_branch .LBB23_720
.LBB23_2769:
	s_movk_i32 s4, 0x80
	v_cmp_eq_u16_e32 vcc, s4, v3
	s_mov_b64 s[4:5], -1
                                        ; implicit-def: $sgpr10
	s_and_saveexec_b64 s[8:9], vcc
; %bb.2770:
	s_mov_b32 s10, 0x7f800001
	s_xor_b64 s[4:5], exec, -1
; %bb.2771:
	s_or_b64 exec, exec, s[8:9]
	s_and_b64 s[4:5], s[4:5], exec
                                        ; implicit-def: $vgpr3
	s_or_saveexec_b64 s[6:7], s[6:7]
	v_mov_b32_e32 v2, s10
	s_xor_b64 exec, exec, s[6:7]
	s_cbranch_execz .LBB23_722
.LBB23_2772:
	v_cmp_ne_u16_e32 vcc, 0, v3
	s_andn2_b64 s[4:5], s[4:5], exec
	s_and_b64 s[8:9], vcc, exec
	v_mov_b32_e32 v2, 0
	s_or_b64 s[4:5], s[4:5], s[8:9]
	s_or_b64 exec, exec, s[6:7]
	s_and_saveexec_b64 s[6:7], s[4:5]
	s_cbranch_execnz .LBB23_723
	s_branch .LBB23_724
.LBB23_2773:
	s_movk_i32 s4, 0x80
	v_cmp_eq_u16_e32 vcc, s4, v3
	s_mov_b64 s[4:5], -1
                                        ; implicit-def: $sgpr10
	s_and_saveexec_b64 s[8:9], vcc
; %bb.2774:
	s_mov_b32 s10, 0x7f800001
	s_xor_b64 s[4:5], exec, -1
; %bb.2775:
	s_or_b64 exec, exec, s[8:9]
	s_and_b64 s[4:5], s[4:5], exec
                                        ; implicit-def: $vgpr3
	s_or_saveexec_b64 s[6:7], s[6:7]
	v_mov_b32_e32 v6, s10
	s_xor_b64 exec, exec, s[6:7]
	s_cbranch_execz .LBB23_726
.LBB23_2776:
	v_cmp_ne_u16_e32 vcc, 0, v3
	s_andn2_b64 s[4:5], s[4:5], exec
	s_and_b64 s[8:9], vcc, exec
	v_mov_b32_e32 v6, 0
	s_or_b64 s[4:5], s[4:5], s[8:9]
	s_or_b64 exec, exec, s[6:7]
	s_and_saveexec_b64 s[6:7], s[4:5]
	s_cbranch_execnz .LBB23_727
	s_branch .LBB23_728
.LBB23_2777:
	s_movk_i32 s4, 0x80
	v_cmp_eq_u16_sdwa s[12:13], v8, s4 src0_sel:BYTE_3 src1_sel:DWORD
	s_mov_b64 s[4:5], -1
                                        ; implicit-def: $sgpr10
	s_and_saveexec_b64 s[8:9], s[12:13]
; %bb.2778:
	s_mov_b32 s10, 0x7f800001
	s_xor_b64 s[4:5], exec, -1
; %bb.2779:
	s_or_b64 exec, exec, s[8:9]
	s_and_b64 s[4:5], s[4:5], exec
	s_or_saveexec_b64 s[6:7], s[6:7]
	v_mov_b32_e32 v2, s10
	s_xor_b64 exec, exec, s[6:7]
	s_cbranch_execz .LBB23_730
.LBB23_2780:
	v_mov_b32_e32 v2, 0
	v_cmp_ne_u16_sdwa s[8:9], v8, v2 src0_sel:BYTE_3 src1_sel:DWORD
	s_andn2_b64 s[4:5], s[4:5], exec
	s_and_b64 s[8:9], s[8:9], exec
	s_or_b64 s[4:5], s[4:5], s[8:9]
	s_or_b64 exec, exec, s[6:7]
	s_and_saveexec_b64 s[6:7], s[4:5]
	s_cbranch_execnz .LBB23_731
	s_branch .LBB23_732
.LBB23_2781:
	s_movk_i32 s4, 0x80
	v_cmp_eq_u16_sdwa s[12:13], v4, s4 src0_sel:BYTE_3 src1_sel:DWORD
	s_mov_b64 s[4:5], -1
                                        ; implicit-def: $sgpr10
	s_and_saveexec_b64 s[8:9], s[12:13]
; %bb.2782:
	s_mov_b32 s10, 0x7f800001
	s_xor_b64 s[4:5], exec, -1
; %bb.2783:
	s_or_b64 exec, exec, s[8:9]
	s_and_b64 s[4:5], s[4:5], exec
	s_or_saveexec_b64 s[6:7], s[6:7]
	v_mov_b32_e32 v3, s10
	s_xor_b64 exec, exec, s[6:7]
	s_cbranch_execz .LBB23_734
.LBB23_2784:
	v_mov_b32_e32 v3, 0
	v_cmp_ne_u16_sdwa s[8:9], v4, v3 src0_sel:BYTE_3 src1_sel:DWORD
	s_andn2_b64 s[4:5], s[4:5], exec
	s_and_b64 s[8:9], s[8:9], exec
	s_or_b64 s[4:5], s[4:5], s[8:9]
	s_or_b64 exec, exec, s[6:7]
	s_and_saveexec_b64 s[6:7], s[4:5]
	s_cbranch_execnz .LBB23_735
	s_branch .LBB23_736
.LBB23_2785:
	s_movk_i32 s4, 0x80
	v_cmp_eq_u16_sdwa s[12:13], v9, s4 src0_sel:BYTE_0 src1_sel:DWORD
	s_mov_b64 s[4:5], -1
                                        ; implicit-def: $sgpr10
	s_and_saveexec_b64 s[8:9], s[12:13]
; %bb.2786:
	s_mov_b32 s10, 0x7f800001
	s_xor_b64 s[4:5], exec, -1
; %bb.2787:
	s_or_b64 exec, exec, s[8:9]
	s_and_b64 s[4:5], s[4:5], exec
	s_or_saveexec_b64 s[6:7], s[6:7]
	v_mov_b32_e32 v2, s10
	s_xor_b64 exec, exec, s[6:7]
	s_cbranch_execz .LBB23_738
.LBB23_2788:
	v_mov_b32_e32 v2, 0
	v_cmp_ne_u16_sdwa s[8:9], v9, v2 src0_sel:BYTE_0 src1_sel:DWORD
	s_andn2_b64 s[4:5], s[4:5], exec
	s_and_b64 s[8:9], s[8:9], exec
	s_or_b64 s[4:5], s[4:5], s[8:9]
	s_or_b64 exec, exec, s[6:7]
	s_and_saveexec_b64 s[6:7], s[4:5]
	s_cbranch_execnz .LBB23_739
	s_branch .LBB23_740
.LBB23_2789:
	s_movk_i32 s4, 0x80
	v_cmp_eq_u16_sdwa s[12:13], v5, s4 src0_sel:BYTE_0 src1_sel:DWORD
	s_mov_b64 s[4:5], -1
                                        ; implicit-def: $sgpr10
	s_and_saveexec_b64 s[8:9], s[12:13]
; %bb.2790:
	s_mov_b32 s10, 0x7f800001
	s_xor_b64 s[4:5], exec, -1
; %bb.2791:
	s_or_b64 exec, exec, s[8:9]
	s_and_b64 s[4:5], s[4:5], exec
	s_or_saveexec_b64 s[6:7], s[6:7]
	v_mov_b32_e32 v3, s10
	s_xor_b64 exec, exec, s[6:7]
	s_cbranch_execz .LBB23_742
.LBB23_2792:
	v_mov_b32_e32 v3, 0
	v_cmp_ne_u16_sdwa s[8:9], v5, v3 src0_sel:BYTE_0 src1_sel:DWORD
	s_andn2_b64 s[4:5], s[4:5], exec
	s_and_b64 s[8:9], s[8:9], exec
	s_or_b64 s[4:5], s[4:5], s[8:9]
	s_or_b64 exec, exec, s[6:7]
	s_and_saveexec_b64 s[6:7], s[4:5]
	s_cbranch_execnz .LBB23_743
	s_branch .LBB23_744
.LBB23_2793:
	s_movk_i32 s4, 0x80
	v_cmp_eq_u16_sdwa s[12:13], v3, s4 src0_sel:BYTE_0 src1_sel:DWORD
	s_mov_b64 s[4:5], -1
                                        ; implicit-def: $sgpr10
	s_and_saveexec_b64 s[8:9], s[12:13]
; %bb.2794:
	s_mov_b32 s10, 0x7f800001
	s_xor_b64 s[4:5], exec, -1
; %bb.2795:
	s_or_b64 exec, exec, s[8:9]
	s_and_b64 s[4:5], s[4:5], exec
	s_or_saveexec_b64 s[6:7], s[6:7]
	v_mov_b32_e32 v2, s10
	s_xor_b64 exec, exec, s[6:7]
	s_cbranch_execz .LBB23_746
.LBB23_2796:
	v_mov_b32_e32 v2, 0
	v_cmp_ne_u16_sdwa s[8:9], v3, v2 src0_sel:BYTE_0 src1_sel:DWORD
	s_andn2_b64 s[4:5], s[4:5], exec
	s_and_b64 s[8:9], s[8:9], exec
	s_or_b64 s[4:5], s[4:5], s[8:9]
	s_or_b64 exec, exec, s[6:7]
	s_and_saveexec_b64 s[6:7], s[4:5]
	s_cbranch_execnz .LBB23_747
	s_branch .LBB23_748
.LBB23_2797:
	s_movk_i32 s4, 0x80
	v_cmp_eq_u16_sdwa s[12:13], v3, s4 src0_sel:BYTE_0 src1_sel:DWORD
	s_mov_b64 s[4:5], -1
                                        ; implicit-def: $sgpr10
	s_and_saveexec_b64 s[8:9], s[12:13]
; %bb.2798:
	s_mov_b32 s10, 0x7f800001
	s_xor_b64 s[4:5], exec, -1
; %bb.2799:
	s_or_b64 exec, exec, s[8:9]
	s_and_b64 s[4:5], s[4:5], exec
	s_or_saveexec_b64 s[6:7], s[6:7]
	v_mov_b32_e32 v4, s10
	s_xor_b64 exec, exec, s[6:7]
	s_cbranch_execz .LBB23_750
.LBB23_2800:
	v_mov_b32_e32 v4, 0
	v_cmp_ne_u16_sdwa s[8:9], v3, v4 src0_sel:BYTE_0 src1_sel:DWORD
	s_andn2_b64 s[4:5], s[4:5], exec
	s_and_b64 s[8:9], s[8:9], exec
	s_or_b64 s[4:5], s[4:5], s[8:9]
	s_or_b64 exec, exec, s[6:7]
	s_and_saveexec_b64 s[6:7], s[4:5]
	s_cbranch_execnz .LBB23_751
	s_branch .LBB23_752
.LBB23_2801:
	s_movk_i32 s4, 0x80
	v_cmp_eq_u16_e32 vcc, s4, v3
	s_mov_b64 s[4:5], -1
                                        ; implicit-def: $sgpr10
	s_and_saveexec_b64 s[8:9], vcc
; %bb.2802:
	s_mov_b32 s10, 0x7f800001
	s_xor_b64 s[4:5], exec, -1
; %bb.2803:
	s_or_b64 exec, exec, s[8:9]
	s_and_b64 s[4:5], s[4:5], exec
                                        ; implicit-def: $vgpr3
	s_or_saveexec_b64 s[6:7], s[6:7]
	v_mov_b32_e32 v2, s10
	s_xor_b64 exec, exec, s[6:7]
	s_cbranch_execz .LBB23_754
.LBB23_2804:
	v_cmp_ne_u16_e32 vcc, 0, v3
	s_andn2_b64 s[4:5], s[4:5], exec
	s_and_b64 s[8:9], vcc, exec
	v_mov_b32_e32 v2, 0
	s_or_b64 s[4:5], s[4:5], s[8:9]
	s_or_b64 exec, exec, s[6:7]
	s_and_saveexec_b64 s[6:7], s[4:5]
	s_cbranch_execnz .LBB23_755
	s_branch .LBB23_756
.LBB23_2805:
	s_movk_i32 s4, 0x80
	v_cmp_eq_u16_e32 vcc, s4, v3
	s_mov_b64 s[4:5], -1
                                        ; implicit-def: $sgpr10
	s_and_saveexec_b64 s[8:9], vcc
; %bb.2806:
	s_mov_b32 s10, 0x7f800001
	s_xor_b64 s[4:5], exec, -1
; %bb.2807:
	s_or_b64 exec, exec, s[8:9]
	s_and_b64 s[4:5], s[4:5], exec
                                        ; implicit-def: $vgpr3
	s_or_saveexec_b64 s[6:7], s[6:7]
	v_mov_b32_e32 v4, s10
	s_xor_b64 exec, exec, s[6:7]
	s_cbranch_execz .LBB23_758
.LBB23_2808:
	v_cmp_ne_u16_e32 vcc, 0, v3
	s_andn2_b64 s[4:5], s[4:5], exec
	s_and_b64 s[8:9], vcc, exec
	v_mov_b32_e32 v4, 0
	s_or_b64 s[4:5], s[4:5], s[8:9]
	s_or_b64 exec, exec, s[6:7]
	s_and_saveexec_b64 s[6:7], s[4:5]
	s_cbranch_execnz .LBB23_759
	s_branch .LBB23_760
.LBB23_2809:
	s_movk_i32 s4, 0x80
	v_cmp_eq_u16_sdwa s[12:13], v9, s4 src0_sel:BYTE_3 src1_sel:DWORD
	s_mov_b64 s[4:5], -1
                                        ; implicit-def: $sgpr10
	s_and_saveexec_b64 s[8:9], s[12:13]
; %bb.2810:
	s_mov_b32 s10, 0x7f800001
	s_xor_b64 s[4:5], exec, -1
; %bb.2811:
	s_or_b64 exec, exec, s[8:9]
	s_and_b64 s[4:5], s[4:5], exec
	s_or_saveexec_b64 s[6:7], s[6:7]
	v_mov_b32_e32 v2, s10
	s_xor_b64 exec, exec, s[6:7]
	s_cbranch_execz .LBB23_762
.LBB23_2812:
	v_mov_b32_e32 v2, 0
	v_cmp_ne_u16_sdwa s[8:9], v9, v2 src0_sel:BYTE_3 src1_sel:DWORD
	s_andn2_b64 s[4:5], s[4:5], exec
	s_and_b64 s[8:9], s[8:9], exec
	s_or_b64 s[4:5], s[4:5], s[8:9]
	s_or_b64 exec, exec, s[6:7]
	s_and_saveexec_b64 s[6:7], s[4:5]
	s_cbranch_execnz .LBB23_763
	s_branch .LBB23_764
.LBB23_2813:
	s_movk_i32 s4, 0x80
	v_cmp_eq_u16_sdwa s[12:13], v5, s4 src0_sel:BYTE_3 src1_sel:DWORD
	s_mov_b64 s[4:5], -1
                                        ; implicit-def: $sgpr10
	s_and_saveexec_b64 s[8:9], s[12:13]
; %bb.2814:
	s_mov_b32 s10, 0x7f800001
	s_xor_b64 s[4:5], exec, -1
; %bb.2815:
	s_or_b64 exec, exec, s[8:9]
	s_and_b64 s[4:5], s[4:5], exec
	s_or_saveexec_b64 s[6:7], s[6:7]
	v_mov_b32_e32 v3, s10
	s_xor_b64 exec, exec, s[6:7]
	s_cbranch_execz .LBB23_766
.LBB23_2816:
	v_mov_b32_e32 v3, 0
	v_cmp_ne_u16_sdwa s[8:9], v5, v3 src0_sel:BYTE_3 src1_sel:DWORD
	s_andn2_b64 s[4:5], s[4:5], exec
	s_and_b64 s[8:9], s[8:9], exec
	s_or_b64 s[4:5], s[4:5], s[8:9]
	s_or_b64 exec, exec, s[6:7]
	s_and_saveexec_b64 s[6:7], s[4:5]
	s_cbranch_execnz .LBB23_767
	s_branch .LBB23_768
.LBB23_2817:
	s_movk_i32 s4, 0x80
	v_cmp_eq_u16_sdwa s[12:13], v14, s4 src0_sel:BYTE_0 src1_sel:DWORD
	s_mov_b64 s[4:5], -1
                                        ; implicit-def: $sgpr10
	s_and_saveexec_b64 s[8:9], s[12:13]
; %bb.2818:
	s_mov_b32 s10, 0x7f800001
	s_xor_b64 s[4:5], exec, -1
; %bb.2819:
	s_or_b64 exec, exec, s[8:9]
	s_and_b64 s[4:5], s[4:5], exec
	s_or_saveexec_b64 s[6:7], s[6:7]
	v_mov_b32_e32 v20, s10
	s_xor_b64 exec, exec, s[6:7]
	s_cbranch_execz .LBB23_770
.LBB23_2820:
	v_mov_b32_e32 v20, 0
	v_cmp_ne_u16_sdwa s[8:9], v14, v20 src0_sel:BYTE_0 src1_sel:DWORD
	s_andn2_b64 s[4:5], s[4:5], exec
	s_and_b64 s[8:9], s[8:9], exec
	s_or_b64 s[4:5], s[4:5], s[8:9]
	s_or_b64 exec, exec, s[6:7]
	s_and_saveexec_b64 s[6:7], s[4:5]
	s_cbranch_execnz .LBB23_771
	s_branch .LBB23_772
.LBB23_2821:
	s_movk_i32 s4, 0x80
	v_cmp_eq_u16_sdwa s[12:13], v10, s4 src0_sel:BYTE_0 src1_sel:DWORD
	s_mov_b64 s[4:5], -1
                                        ; implicit-def: $sgpr10
	s_and_saveexec_b64 s[8:9], s[12:13]
; %bb.2822:
	s_mov_b32 s10, 0x7f800001
	s_xor_b64 s[4:5], exec, -1
; %bb.2823:
	s_or_b64 exec, exec, s[8:9]
	s_and_b64 s[4:5], s[4:5], exec
	s_or_saveexec_b64 s[6:7], s[6:7]
	v_mov_b32_e32 v21, s10
	s_xor_b64 exec, exec, s[6:7]
	s_cbranch_execz .LBB23_774
.LBB23_2824:
	v_mov_b32_e32 v21, 0
	v_cmp_ne_u16_sdwa s[8:9], v10, v21 src0_sel:BYTE_0 src1_sel:DWORD
	s_andn2_b64 s[4:5], s[4:5], exec
	s_and_b64 s[8:9], s[8:9], exec
	s_or_b64 s[4:5], s[4:5], s[8:9]
	s_or_b64 exec, exec, s[6:7]
	s_and_saveexec_b64 s[6:7], s[4:5]
	s_cbranch_execnz .LBB23_775
	s_branch .LBB23_776
.LBB23_2825:
	s_movk_i32 s4, 0x80
	v_cmp_eq_u16_sdwa s[12:13], v21, s4 src0_sel:BYTE_0 src1_sel:DWORD
	s_mov_b64 s[4:5], -1
                                        ; implicit-def: $sgpr10
	s_and_saveexec_b64 s[8:9], s[12:13]
; %bb.2826:
	s_mov_b32 s10, 0x7f800001
	s_xor_b64 s[4:5], exec, -1
; %bb.2827:
	s_or_b64 exec, exec, s[8:9]
	s_and_b64 s[4:5], s[4:5], exec
	s_or_saveexec_b64 s[6:7], s[6:7]
	v_mov_b32_e32 v20, s10
	s_xor_b64 exec, exec, s[6:7]
	s_cbranch_execz .LBB23_778
.LBB23_2828:
	v_mov_b32_e32 v20, 0
	v_cmp_ne_u16_sdwa s[8:9], v21, v20 src0_sel:BYTE_0 src1_sel:DWORD
	s_andn2_b64 s[4:5], s[4:5], exec
	s_and_b64 s[8:9], s[8:9], exec
	s_or_b64 s[4:5], s[4:5], s[8:9]
	s_or_b64 exec, exec, s[6:7]
	s_and_saveexec_b64 s[6:7], s[4:5]
	s_cbranch_execnz .LBB23_779
	s_branch .LBB23_780
.LBB23_2829:
	s_movk_i32 s4, 0x80
	v_cmp_eq_u16_sdwa s[12:13], v21, s4 src0_sel:BYTE_0 src1_sel:DWORD
	s_mov_b64 s[4:5], -1
                                        ; implicit-def: $sgpr10
	s_and_saveexec_b64 s[8:9], s[12:13]
; %bb.2830:
	s_mov_b32 s10, 0x7f800001
	s_xor_b64 s[4:5], exec, -1
; %bb.2831:
	s_or_b64 exec, exec, s[8:9]
	s_and_b64 s[4:5], s[4:5], exec
	s_or_saveexec_b64 s[6:7], s[6:7]
	v_mov_b32_e32 v22, s10
	s_xor_b64 exec, exec, s[6:7]
	s_cbranch_execz .LBB23_782
.LBB23_2832:
	v_mov_b32_e32 v22, 0
	v_cmp_ne_u16_sdwa s[8:9], v21, v22 src0_sel:BYTE_0 src1_sel:DWORD
	s_andn2_b64 s[4:5], s[4:5], exec
	s_and_b64 s[8:9], s[8:9], exec
	s_or_b64 s[4:5], s[4:5], s[8:9]
	s_or_b64 exec, exec, s[6:7]
	s_and_saveexec_b64 s[6:7], s[4:5]
	s_cbranch_execnz .LBB23_783
	s_branch .LBB23_784
.LBB23_2833:
	s_movk_i32 s4, 0x80
	v_cmp_eq_u16_e32 vcc, s4, v21
	s_mov_b64 s[4:5], -1
                                        ; implicit-def: $sgpr10
	s_and_saveexec_b64 s[8:9], vcc
; %bb.2834:
	s_mov_b32 s10, 0x7f800001
	s_xor_b64 s[4:5], exec, -1
; %bb.2835:
	s_or_b64 exec, exec, s[8:9]
	s_and_b64 s[4:5], s[4:5], exec
                                        ; implicit-def: $vgpr21
	s_or_saveexec_b64 s[6:7], s[6:7]
	v_mov_b32_e32 v20, s10
	s_xor_b64 exec, exec, s[6:7]
	s_cbranch_execz .LBB23_786
.LBB23_2836:
	v_cmp_ne_u16_e32 vcc, 0, v21
	s_andn2_b64 s[4:5], s[4:5], exec
	s_and_b64 s[8:9], vcc, exec
	v_mov_b32_e32 v20, 0
	s_or_b64 s[4:5], s[4:5], s[8:9]
	s_or_b64 exec, exec, s[6:7]
	s_and_saveexec_b64 s[6:7], s[4:5]
	s_cbranch_execnz .LBB23_787
	s_branch .LBB23_788
.LBB23_2837:
	s_movk_i32 s4, 0x80
	v_cmp_eq_u16_e32 vcc, s4, v21
	s_mov_b64 s[4:5], -1
                                        ; implicit-def: $sgpr10
	s_and_saveexec_b64 s[8:9], vcc
; %bb.2838:
	s_mov_b32 s10, 0x7f800001
	s_xor_b64 s[4:5], exec, -1
; %bb.2839:
	s_or_b64 exec, exec, s[8:9]
	s_and_b64 s[4:5], s[4:5], exec
                                        ; implicit-def: $vgpr21
	s_or_saveexec_b64 s[6:7], s[6:7]
	v_mov_b32_e32 v22, s10
	s_xor_b64 exec, exec, s[6:7]
	s_cbranch_execz .LBB23_790
.LBB23_2840:
	v_cmp_ne_u16_e32 vcc, 0, v21
	s_andn2_b64 s[4:5], s[4:5], exec
	s_and_b64 s[8:9], vcc, exec
	v_mov_b32_e32 v22, 0
	s_or_b64 s[4:5], s[4:5], s[8:9]
	s_or_b64 exec, exec, s[6:7]
	s_and_saveexec_b64 s[6:7], s[4:5]
	s_cbranch_execnz .LBB23_791
	s_branch .LBB23_792
.LBB23_2841:
	s_movk_i32 s4, 0x80
	v_cmp_eq_u16_sdwa s[12:13], v14, s4 src0_sel:BYTE_3 src1_sel:DWORD
	s_mov_b64 s[4:5], -1
                                        ; implicit-def: $sgpr10
	s_and_saveexec_b64 s[8:9], s[12:13]
; %bb.2842:
	s_mov_b32 s10, 0x7f800001
	s_xor_b64 s[4:5], exec, -1
; %bb.2843:
	s_or_b64 exec, exec, s[8:9]
	s_and_b64 s[4:5], s[4:5], exec
	s_or_saveexec_b64 s[6:7], s[6:7]
	v_mov_b32_e32 v20, s10
	s_xor_b64 exec, exec, s[6:7]
	s_cbranch_execz .LBB23_794
.LBB23_2844:
	v_mov_b32_e32 v20, 0
	v_cmp_ne_u16_sdwa s[8:9], v14, v20 src0_sel:BYTE_3 src1_sel:DWORD
	s_andn2_b64 s[4:5], s[4:5], exec
	s_and_b64 s[8:9], s[8:9], exec
	s_or_b64 s[4:5], s[4:5], s[8:9]
	s_or_b64 exec, exec, s[6:7]
	s_and_saveexec_b64 s[6:7], s[4:5]
	s_cbranch_execnz .LBB23_795
	s_branch .LBB23_796
.LBB23_2845:
	s_movk_i32 s4, 0x80
	v_cmp_eq_u16_sdwa s[12:13], v10, s4 src0_sel:BYTE_3 src1_sel:DWORD
	s_mov_b64 s[4:5], -1
                                        ; implicit-def: $sgpr10
	s_and_saveexec_b64 s[8:9], s[12:13]
; %bb.2846:
	s_mov_b32 s10, 0x7f800001
	s_xor_b64 s[4:5], exec, -1
; %bb.2847:
	s_or_b64 exec, exec, s[8:9]
	s_and_b64 s[4:5], s[4:5], exec
	s_or_saveexec_b64 s[6:7], s[6:7]
	v_mov_b32_e32 v14, s10
	s_xor_b64 exec, exec, s[6:7]
	s_cbranch_execz .LBB23_798
.LBB23_2848:
	v_mov_b32_e32 v14, 0
	v_cmp_ne_u16_sdwa s[8:9], v10, v14 src0_sel:BYTE_3 src1_sel:DWORD
	s_andn2_b64 s[4:5], s[4:5], exec
	s_and_b64 s[8:9], s[8:9], exec
	s_or_b64 s[4:5], s[4:5], s[8:9]
	s_or_b64 exec, exec, s[6:7]
	s_and_saveexec_b64 s[6:7], s[4:5]
	s_cbranch_execnz .LBB23_799
	s_branch .LBB23_800
.LBB23_2849:
	s_movk_i32 s4, 0x80
	v_cmp_eq_u16_sdwa s[12:13], v15, s4 src0_sel:BYTE_0 src1_sel:DWORD
	s_mov_b64 s[4:5], -1
                                        ; implicit-def: $sgpr10
	s_and_saveexec_b64 s[8:9], s[12:13]
; %bb.2850:
	s_mov_b32 s10, 0x7f800001
	s_xor_b64 s[4:5], exec, -1
; %bb.2851:
	s_or_b64 exec, exec, s[8:9]
	s_and_b64 s[4:5], s[4:5], exec
	s_or_saveexec_b64 s[6:7], s[6:7]
	v_mov_b32_e32 v10, s10
	s_xor_b64 exec, exec, s[6:7]
	s_cbranch_execz .LBB23_802
.LBB23_2852:
	v_mov_b32_e32 v10, 0
	v_cmp_ne_u16_sdwa s[8:9], v15, v10 src0_sel:BYTE_0 src1_sel:DWORD
	s_andn2_b64 s[4:5], s[4:5], exec
	s_and_b64 s[8:9], s[8:9], exec
	s_or_b64 s[4:5], s[4:5], s[8:9]
	s_or_b64 exec, exec, s[6:7]
	s_and_saveexec_b64 s[6:7], s[4:5]
	s_cbranch_execnz .LBB23_803
	s_branch .LBB23_804
.LBB23_2853:
	s_movk_i32 s4, 0x80
	v_cmp_eq_u16_sdwa s[12:13], v11, s4 src0_sel:BYTE_0 src1_sel:DWORD
	s_mov_b64 s[4:5], -1
                                        ; implicit-def: $sgpr10
	s_and_saveexec_b64 s[8:9], s[12:13]
; %bb.2854:
	s_mov_b32 s10, 0x7f800001
	s_xor_b64 s[4:5], exec, -1
; %bb.2855:
	s_or_b64 exec, exec, s[8:9]
	s_and_b64 s[4:5], s[4:5], exec
	s_or_saveexec_b64 s[6:7], s[6:7]
	v_mov_b32_e32 v14, s10
	s_xor_b64 exec, exec, s[6:7]
	s_cbranch_execz .LBB23_806
.LBB23_2856:
	v_mov_b32_e32 v14, 0
	v_cmp_ne_u16_sdwa s[8:9], v11, v14 src0_sel:BYTE_0 src1_sel:DWORD
	s_andn2_b64 s[4:5], s[4:5], exec
	s_and_b64 s[8:9], s[8:9], exec
	s_or_b64 s[4:5], s[4:5], s[8:9]
	s_or_b64 exec, exec, s[6:7]
	s_and_saveexec_b64 s[6:7], s[4:5]
	s_cbranch_execnz .LBB23_807
	s_branch .LBB23_808
.LBB23_2857:
	s_movk_i32 s4, 0x80
	v_cmp_eq_u16_sdwa s[12:13], v14, s4 src0_sel:BYTE_0 src1_sel:DWORD
	s_mov_b64 s[4:5], -1
                                        ; implicit-def: $sgpr10
	s_and_saveexec_b64 s[8:9], s[12:13]
; %bb.2858:
	s_mov_b32 s10, 0x7f800001
	s_xor_b64 s[4:5], exec, -1
; %bb.2859:
	s_or_b64 exec, exec, s[8:9]
	s_and_b64 s[4:5], s[4:5], exec
	s_or_saveexec_b64 s[6:7], s[6:7]
	v_mov_b32_e32 v10, s10
	s_xor_b64 exec, exec, s[6:7]
	s_cbranch_execz .LBB23_810
.LBB23_2860:
	v_mov_b32_e32 v10, 0
	v_cmp_ne_u16_sdwa s[8:9], v14, v10 src0_sel:BYTE_0 src1_sel:DWORD
	s_andn2_b64 s[4:5], s[4:5], exec
	s_and_b64 s[8:9], s[8:9], exec
	s_or_b64 s[4:5], s[4:5], s[8:9]
	s_or_b64 exec, exec, s[6:7]
	s_and_saveexec_b64 s[6:7], s[4:5]
	s_cbranch_execnz .LBB23_811
	s_branch .LBB23_812
.LBB23_2861:
	s_movk_i32 s4, 0x80
	v_cmp_eq_u16_sdwa s[12:13], v14, s4 src0_sel:BYTE_0 src1_sel:DWORD
	s_mov_b64 s[4:5], -1
                                        ; implicit-def: $sgpr10
	s_and_saveexec_b64 s[8:9], s[12:13]
; %bb.2862:
	s_mov_b32 s10, 0x7f800001
	s_xor_b64 s[4:5], exec, -1
; %bb.2863:
	s_or_b64 exec, exec, s[8:9]
	s_and_b64 s[4:5], s[4:5], exec
	s_or_saveexec_b64 s[6:7], s[6:7]
	v_mov_b32_e32 v20, s10
	s_xor_b64 exec, exec, s[6:7]
	s_cbranch_execz .LBB23_814
.LBB23_2864:
	v_mov_b32_e32 v20, 0
	v_cmp_ne_u16_sdwa s[8:9], v14, v20 src0_sel:BYTE_0 src1_sel:DWORD
	s_andn2_b64 s[4:5], s[4:5], exec
	s_and_b64 s[8:9], s[8:9], exec
	s_or_b64 s[4:5], s[4:5], s[8:9]
	s_or_b64 exec, exec, s[6:7]
	s_and_saveexec_b64 s[6:7], s[4:5]
	s_cbranch_execnz .LBB23_815
	s_branch .LBB23_816
.LBB23_2865:
	s_movk_i32 s4, 0x80
	v_cmp_eq_u16_e32 vcc, s4, v14
	s_mov_b64 s[4:5], -1
                                        ; implicit-def: $sgpr10
	s_and_saveexec_b64 s[8:9], vcc
; %bb.2866:
	s_mov_b32 s10, 0x7f800001
	s_xor_b64 s[4:5], exec, -1
; %bb.2867:
	s_or_b64 exec, exec, s[8:9]
	s_and_b64 s[4:5], s[4:5], exec
                                        ; implicit-def: $vgpr14
	s_or_saveexec_b64 s[6:7], s[6:7]
	v_mov_b32_e32 v10, s10
	s_xor_b64 exec, exec, s[6:7]
	s_cbranch_execz .LBB23_818
.LBB23_2868:
	v_cmp_ne_u16_e32 vcc, 0, v14
	s_andn2_b64 s[4:5], s[4:5], exec
	s_and_b64 s[8:9], vcc, exec
	v_mov_b32_e32 v10, 0
	s_or_b64 s[4:5], s[4:5], s[8:9]
	s_or_b64 exec, exec, s[6:7]
	s_and_saveexec_b64 s[6:7], s[4:5]
	s_cbranch_execnz .LBB23_819
	s_branch .LBB23_820
.LBB23_2869:
	s_movk_i32 s4, 0x80
	v_cmp_eq_u16_e32 vcc, s4, v14
	s_mov_b64 s[4:5], -1
                                        ; implicit-def: $sgpr10
	s_and_saveexec_b64 s[8:9], vcc
; %bb.2870:
	s_mov_b32 s10, 0x7f800001
	s_xor_b64 s[4:5], exec, -1
; %bb.2871:
	s_or_b64 exec, exec, s[8:9]
	s_and_b64 s[4:5], s[4:5], exec
                                        ; implicit-def: $vgpr14
	s_or_saveexec_b64 s[6:7], s[6:7]
	v_mov_b32_e32 v20, s10
	s_xor_b64 exec, exec, s[6:7]
	s_cbranch_execz .LBB23_822
.LBB23_2872:
	v_cmp_ne_u16_e32 vcc, 0, v14
	s_andn2_b64 s[4:5], s[4:5], exec
	s_and_b64 s[8:9], vcc, exec
	v_mov_b32_e32 v20, 0
	s_or_b64 s[4:5], s[4:5], s[8:9]
	s_or_b64 exec, exec, s[6:7]
	s_and_saveexec_b64 s[6:7], s[4:5]
	s_cbranch_execnz .LBB23_823
	s_branch .LBB23_824
.LBB23_2873:
	s_movk_i32 s4, 0x80
	v_cmp_eq_u16_sdwa s[12:13], v15, s4 src0_sel:BYTE_3 src1_sel:DWORD
	s_mov_b64 s[4:5], -1
                                        ; implicit-def: $sgpr10
	s_and_saveexec_b64 s[8:9], s[12:13]
; %bb.2874:
	s_mov_b32 s10, 0x7f800001
	s_xor_b64 s[4:5], exec, -1
; %bb.2875:
	s_or_b64 exec, exec, s[8:9]
	s_and_b64 s[4:5], s[4:5], exec
	s_or_saveexec_b64 s[6:7], s[6:7]
	v_mov_b32_e32 v10, s10
	s_xor_b64 exec, exec, s[6:7]
	s_cbranch_execz .LBB23_826
.LBB23_2876:
	v_mov_b32_e32 v10, 0
	v_cmp_ne_u16_sdwa s[8:9], v15, v10 src0_sel:BYTE_3 src1_sel:DWORD
	s_andn2_b64 s[4:5], s[4:5], exec
	s_and_b64 s[8:9], s[8:9], exec
	s_or_b64 s[4:5], s[4:5], s[8:9]
	s_or_b64 exec, exec, s[6:7]
	s_and_saveexec_b64 s[6:7], s[4:5]
	s_cbranch_execnz .LBB23_827
	s_branch .LBB23_828
.LBB23_2877:
	s_movk_i32 s4, 0x80
	v_cmp_eq_u16_sdwa s[12:13], v11, s4 src0_sel:BYTE_3 src1_sel:DWORD
	s_mov_b64 s[4:5], -1
                                        ; implicit-def: $sgpr10
	s_and_saveexec_b64 s[8:9], s[12:13]
; %bb.2878:
	s_mov_b32 s10, 0x7f800001
	s_xor_b64 s[4:5], exec, -1
; %bb.2879:
	s_or_b64 exec, exec, s[8:9]
	s_and_b64 s[4:5], s[4:5], exec
	s_or_saveexec_b64 s[6:7], s[6:7]
	v_mov_b32_e32 v14, s10
	s_xor_b64 exec, exec, s[6:7]
	s_cbranch_execz .LBB23_830
.LBB23_2880:
	v_mov_b32_e32 v14, 0
	v_cmp_ne_u16_sdwa s[8:9], v11, v14 src0_sel:BYTE_3 src1_sel:DWORD
	s_andn2_b64 s[4:5], s[4:5], exec
	s_and_b64 s[8:9], s[8:9], exec
	s_or_b64 s[4:5], s[4:5], s[8:9]
	s_or_b64 exec, exec, s[6:7]
	s_and_saveexec_b64 s[6:7], s[4:5]
	s_cbranch_execnz .LBB23_831
	s_branch .LBB23_832
.LBB23_2881:
	s_movk_i32 s4, 0x80
	v_cmp_eq_u16_sdwa s[12:13], v16, s4 src0_sel:BYTE_0 src1_sel:DWORD
	s_mov_b64 s[4:5], -1
                                        ; implicit-def: $sgpr10
	s_and_saveexec_b64 s[8:9], s[12:13]
; %bb.2882:
	s_mov_b32 s10, 0x7f800001
	s_xor_b64 s[4:5], exec, -1
; %bb.2883:
	s_or_b64 exec, exec, s[8:9]
	s_and_b64 s[4:5], s[4:5], exec
	s_or_saveexec_b64 s[6:7], s[6:7]
	v_mov_b32_e32 v10, s10
	s_xor_b64 exec, exec, s[6:7]
	s_cbranch_execz .LBB23_834
.LBB23_2884:
	v_mov_b32_e32 v10, 0
	v_cmp_ne_u16_sdwa s[8:9], v16, v10 src0_sel:BYTE_0 src1_sel:DWORD
	s_andn2_b64 s[4:5], s[4:5], exec
	s_and_b64 s[8:9], s[8:9], exec
	s_or_b64 s[4:5], s[4:5], s[8:9]
	s_or_b64 exec, exec, s[6:7]
	s_and_saveexec_b64 s[6:7], s[4:5]
	s_cbranch_execnz .LBB23_835
	s_branch .LBB23_836
.LBB23_2885:
	s_movk_i32 s4, 0x80
	v_cmp_eq_u16_sdwa s[12:13], v12, s4 src0_sel:BYTE_0 src1_sel:DWORD
	s_mov_b64 s[4:5], -1
                                        ; implicit-def: $sgpr10
	s_and_saveexec_b64 s[8:9], s[12:13]
; %bb.2886:
	s_mov_b32 s10, 0x7f800001
	s_xor_b64 s[4:5], exec, -1
; %bb.2887:
	s_or_b64 exec, exec, s[8:9]
	s_and_b64 s[4:5], s[4:5], exec
	s_or_saveexec_b64 s[6:7], s[6:7]
	v_mov_b32_e32 v11, s10
	s_xor_b64 exec, exec, s[6:7]
	s_cbranch_execz .LBB23_838
.LBB23_2888:
	v_mov_b32_e32 v11, 0
	v_cmp_ne_u16_sdwa s[8:9], v12, v11 src0_sel:BYTE_0 src1_sel:DWORD
	s_andn2_b64 s[4:5], s[4:5], exec
	s_and_b64 s[8:9], s[8:9], exec
	s_or_b64 s[4:5], s[4:5], s[8:9]
	s_or_b64 exec, exec, s[6:7]
	s_and_saveexec_b64 s[6:7], s[4:5]
	s_cbranch_execnz .LBB23_839
	s_branch .LBB23_840
.LBB23_2889:
	s_movk_i32 s4, 0x80
	v_cmp_eq_u16_sdwa s[12:13], v11, s4 src0_sel:BYTE_0 src1_sel:DWORD
	s_mov_b64 s[4:5], -1
                                        ; implicit-def: $sgpr10
	s_and_saveexec_b64 s[8:9], s[12:13]
; %bb.2890:
	s_mov_b32 s10, 0x7f800001
	s_xor_b64 s[4:5], exec, -1
; %bb.2891:
	s_or_b64 exec, exec, s[8:9]
	s_and_b64 s[4:5], s[4:5], exec
	s_or_saveexec_b64 s[6:7], s[6:7]
	v_mov_b32_e32 v10, s10
	s_xor_b64 exec, exec, s[6:7]
	s_cbranch_execz .LBB23_842
.LBB23_2892:
	v_mov_b32_e32 v10, 0
	v_cmp_ne_u16_sdwa s[8:9], v11, v10 src0_sel:BYTE_0 src1_sel:DWORD
	s_andn2_b64 s[4:5], s[4:5], exec
	s_and_b64 s[8:9], s[8:9], exec
	s_or_b64 s[4:5], s[4:5], s[8:9]
	s_or_b64 exec, exec, s[6:7]
	s_and_saveexec_b64 s[6:7], s[4:5]
	s_cbranch_execnz .LBB23_843
	s_branch .LBB23_844
.LBB23_2893:
	s_movk_i32 s4, 0x80
	v_cmp_eq_u16_sdwa s[12:13], v11, s4 src0_sel:BYTE_0 src1_sel:DWORD
	s_mov_b64 s[4:5], -1
                                        ; implicit-def: $sgpr10
	s_and_saveexec_b64 s[8:9], s[12:13]
; %bb.2894:
	s_mov_b32 s10, 0x7f800001
	s_xor_b64 s[4:5], exec, -1
; %bb.2895:
	s_or_b64 exec, exec, s[8:9]
	s_and_b64 s[4:5], s[4:5], exec
	s_or_saveexec_b64 s[6:7], s[6:7]
	v_mov_b32_e32 v14, s10
	s_xor_b64 exec, exec, s[6:7]
	s_cbranch_execz .LBB23_846
.LBB23_2896:
	v_mov_b32_e32 v14, 0
	v_cmp_ne_u16_sdwa s[8:9], v11, v14 src0_sel:BYTE_0 src1_sel:DWORD
	s_andn2_b64 s[4:5], s[4:5], exec
	s_and_b64 s[8:9], s[8:9], exec
	s_or_b64 s[4:5], s[4:5], s[8:9]
	s_or_b64 exec, exec, s[6:7]
	s_and_saveexec_b64 s[6:7], s[4:5]
	s_cbranch_execnz .LBB23_847
	s_branch .LBB23_848
.LBB23_2897:
	s_movk_i32 s4, 0x80
	v_cmp_eq_u16_e32 vcc, s4, v11
	s_mov_b64 s[4:5], -1
                                        ; implicit-def: $sgpr10
	s_and_saveexec_b64 s[8:9], vcc
; %bb.2898:
	s_mov_b32 s10, 0x7f800001
	s_xor_b64 s[4:5], exec, -1
; %bb.2899:
	s_or_b64 exec, exec, s[8:9]
	s_and_b64 s[4:5], s[4:5], exec
                                        ; implicit-def: $vgpr11
	s_or_saveexec_b64 s[6:7], s[6:7]
	v_mov_b32_e32 v10, s10
	s_xor_b64 exec, exec, s[6:7]
	s_cbranch_execz .LBB23_850
.LBB23_2900:
	v_cmp_ne_u16_e32 vcc, 0, v11
	s_andn2_b64 s[4:5], s[4:5], exec
	s_and_b64 s[8:9], vcc, exec
	v_mov_b32_e32 v10, 0
	s_or_b64 s[4:5], s[4:5], s[8:9]
	s_or_b64 exec, exec, s[6:7]
	s_and_saveexec_b64 s[6:7], s[4:5]
	s_cbranch_execnz .LBB23_851
	s_branch .LBB23_852
.LBB23_2901:
	s_movk_i32 s4, 0x80
	v_cmp_eq_u16_e32 vcc, s4, v11
	s_mov_b64 s[4:5], -1
                                        ; implicit-def: $sgpr10
	s_and_saveexec_b64 s[8:9], vcc
; %bb.2902:
	s_mov_b32 s10, 0x7f800001
	s_xor_b64 s[4:5], exec, -1
; %bb.2903:
	s_or_b64 exec, exec, s[8:9]
	s_and_b64 s[4:5], s[4:5], exec
                                        ; implicit-def: $vgpr11
	s_or_saveexec_b64 s[6:7], s[6:7]
	v_mov_b32_e32 v14, s10
	s_xor_b64 exec, exec, s[6:7]
	s_cbranch_execz .LBB23_854
.LBB23_2904:
	v_cmp_ne_u16_e32 vcc, 0, v11
	s_andn2_b64 s[4:5], s[4:5], exec
	s_and_b64 s[8:9], vcc, exec
	v_mov_b32_e32 v14, 0
	s_or_b64 s[4:5], s[4:5], s[8:9]
	s_or_b64 exec, exec, s[6:7]
	s_and_saveexec_b64 s[6:7], s[4:5]
	s_cbranch_execnz .LBB23_855
	s_branch .LBB23_856
.LBB23_2905:
	s_movk_i32 s4, 0x80
	v_cmp_eq_u16_sdwa s[12:13], v16, s4 src0_sel:BYTE_3 src1_sel:DWORD
	s_mov_b64 s[4:5], -1
                                        ; implicit-def: $sgpr10
	s_and_saveexec_b64 s[8:9], s[12:13]
; %bb.2906:
	s_mov_b32 s10, 0x7f800001
	s_xor_b64 s[4:5], exec, -1
; %bb.2907:
	s_or_b64 exec, exec, s[8:9]
	s_and_b64 s[4:5], s[4:5], exec
	s_or_saveexec_b64 s[6:7], s[6:7]
	v_mov_b32_e32 v10, s10
	s_xor_b64 exec, exec, s[6:7]
	s_cbranch_execz .LBB23_858
.LBB23_2908:
	v_mov_b32_e32 v10, 0
	v_cmp_ne_u16_sdwa s[8:9], v16, v10 src0_sel:BYTE_3 src1_sel:DWORD
	s_andn2_b64 s[4:5], s[4:5], exec
	s_and_b64 s[8:9], s[8:9], exec
	s_or_b64 s[4:5], s[4:5], s[8:9]
	s_or_b64 exec, exec, s[6:7]
	s_and_saveexec_b64 s[6:7], s[4:5]
	s_cbranch_execnz .LBB23_859
	s_branch .LBB23_860
.LBB23_2909:
	s_movk_i32 s4, 0x80
	v_cmp_eq_u16_sdwa s[12:13], v12, s4 src0_sel:BYTE_3 src1_sel:DWORD
	s_mov_b64 s[4:5], -1
                                        ; implicit-def: $sgpr10
	s_and_saveexec_b64 s[8:9], s[12:13]
; %bb.2910:
	s_mov_b32 s10, 0x7f800001
	s_xor_b64 s[4:5], exec, -1
; %bb.2911:
	s_or_b64 exec, exec, s[8:9]
	s_and_b64 s[4:5], s[4:5], exec
	s_or_saveexec_b64 s[6:7], s[6:7]
	v_mov_b32_e32 v11, s10
	s_xor_b64 exec, exec, s[6:7]
	s_cbranch_execz .LBB23_862
.LBB23_2912:
	v_mov_b32_e32 v11, 0
	v_cmp_ne_u16_sdwa s[8:9], v12, v11 src0_sel:BYTE_3 src1_sel:DWORD
	s_andn2_b64 s[4:5], s[4:5], exec
	s_and_b64 s[8:9], s[8:9], exec
	s_or_b64 s[4:5], s[4:5], s[8:9]
	s_or_b64 exec, exec, s[6:7]
	s_and_saveexec_b64 s[6:7], s[4:5]
	s_cbranch_execnz .LBB23_863
	s_branch .LBB23_864
.LBB23_2913:
	s_movk_i32 s4, 0x80
	v_cmp_eq_u16_sdwa s[12:13], v17, s4 src0_sel:BYTE_0 src1_sel:DWORD
	s_mov_b64 s[4:5], -1
                                        ; implicit-def: $sgpr10
	s_and_saveexec_b64 s[8:9], s[12:13]
; %bb.2914:
	s_mov_b32 s10, 0x7f800001
	s_xor_b64 s[4:5], exec, -1
; %bb.2915:
	s_or_b64 exec, exec, s[8:9]
	s_and_b64 s[4:5], s[4:5], exec
	s_or_saveexec_b64 s[6:7], s[6:7]
	v_mov_b32_e32 v10, s10
	s_xor_b64 exec, exec, s[6:7]
	s_cbranch_execz .LBB23_866
.LBB23_2916:
	v_mov_b32_e32 v10, 0
	v_cmp_ne_u16_sdwa s[8:9], v17, v10 src0_sel:BYTE_0 src1_sel:DWORD
	s_andn2_b64 s[4:5], s[4:5], exec
	s_and_b64 s[8:9], s[8:9], exec
	s_or_b64 s[4:5], s[4:5], s[8:9]
	s_or_b64 exec, exec, s[6:7]
	s_and_saveexec_b64 s[6:7], s[4:5]
	s_cbranch_execnz .LBB23_867
	s_branch .LBB23_868
.LBB23_2917:
	s_movk_i32 s4, 0x80
	v_cmp_eq_u16_sdwa s[12:13], v13, s4 src0_sel:BYTE_0 src1_sel:DWORD
	s_mov_b64 s[4:5], -1
                                        ; implicit-def: $sgpr10
	s_and_saveexec_b64 s[8:9], s[12:13]
; %bb.2918:
	s_mov_b32 s10, 0x7f800001
	s_xor_b64 s[4:5], exec, -1
; %bb.2919:
	s_or_b64 exec, exec, s[8:9]
	s_and_b64 s[4:5], s[4:5], exec
	s_or_saveexec_b64 s[6:7], s[6:7]
	v_mov_b32_e32 v11, s10
	s_xor_b64 exec, exec, s[6:7]
	s_cbranch_execz .LBB23_870
.LBB23_2920:
	v_mov_b32_e32 v11, 0
	v_cmp_ne_u16_sdwa s[8:9], v13, v11 src0_sel:BYTE_0 src1_sel:DWORD
	s_andn2_b64 s[4:5], s[4:5], exec
	s_and_b64 s[8:9], s[8:9], exec
	s_or_b64 s[4:5], s[4:5], s[8:9]
	s_or_b64 exec, exec, s[6:7]
	s_and_saveexec_b64 s[6:7], s[4:5]
	s_cbranch_execnz .LBB23_871
	s_branch .LBB23_872
.LBB23_2921:
	s_movk_i32 s4, 0x80
	v_cmp_eq_u16_sdwa s[12:13], v11, s4 src0_sel:BYTE_0 src1_sel:DWORD
	s_mov_b64 s[4:5], -1
                                        ; implicit-def: $sgpr10
	s_and_saveexec_b64 s[8:9], s[12:13]
; %bb.2922:
	s_mov_b32 s10, 0x7f800001
	s_xor_b64 s[4:5], exec, -1
; %bb.2923:
	s_or_b64 exec, exec, s[8:9]
	s_and_b64 s[4:5], s[4:5], exec
	s_or_saveexec_b64 s[6:7], s[6:7]
	v_mov_b32_e32 v10, s10
	s_xor_b64 exec, exec, s[6:7]
	s_cbranch_execz .LBB23_874
.LBB23_2924:
	v_mov_b32_e32 v10, 0
	v_cmp_ne_u16_sdwa s[8:9], v11, v10 src0_sel:BYTE_0 src1_sel:DWORD
	s_andn2_b64 s[4:5], s[4:5], exec
	s_and_b64 s[8:9], s[8:9], exec
	s_or_b64 s[4:5], s[4:5], s[8:9]
	s_or_b64 exec, exec, s[6:7]
	s_and_saveexec_b64 s[6:7], s[4:5]
	s_cbranch_execnz .LBB23_875
	s_branch .LBB23_876
.LBB23_2925:
	s_movk_i32 s4, 0x80
	v_cmp_eq_u16_sdwa s[12:13], v11, s4 src0_sel:BYTE_0 src1_sel:DWORD
	s_mov_b64 s[4:5], -1
                                        ; implicit-def: $sgpr10
	s_and_saveexec_b64 s[8:9], s[12:13]
; %bb.2926:
	s_mov_b32 s10, 0x7f800001
	s_xor_b64 s[4:5], exec, -1
; %bb.2927:
	s_or_b64 exec, exec, s[8:9]
	s_and_b64 s[4:5], s[4:5], exec
	s_or_saveexec_b64 s[6:7], s[6:7]
	v_mov_b32_e32 v12, s10
	s_xor_b64 exec, exec, s[6:7]
	s_cbranch_execz .LBB23_878
.LBB23_2928:
	v_mov_b32_e32 v12, 0
	v_cmp_ne_u16_sdwa s[8:9], v11, v12 src0_sel:BYTE_0 src1_sel:DWORD
	s_andn2_b64 s[4:5], s[4:5], exec
	s_and_b64 s[8:9], s[8:9], exec
	s_or_b64 s[4:5], s[4:5], s[8:9]
	s_or_b64 exec, exec, s[6:7]
	s_and_saveexec_b64 s[6:7], s[4:5]
	s_cbranch_execnz .LBB23_879
	s_branch .LBB23_880
.LBB23_2929:
	s_movk_i32 s4, 0x80
	v_cmp_eq_u16_e32 vcc, s4, v11
	s_mov_b64 s[4:5], -1
                                        ; implicit-def: $sgpr10
	s_and_saveexec_b64 s[8:9], vcc
; %bb.2930:
	s_mov_b32 s10, 0x7f800001
	s_xor_b64 s[4:5], exec, -1
; %bb.2931:
	s_or_b64 exec, exec, s[8:9]
	s_and_b64 s[4:5], s[4:5], exec
                                        ; implicit-def: $vgpr11
	s_or_saveexec_b64 s[6:7], s[6:7]
	v_mov_b32_e32 v10, s10
	s_xor_b64 exec, exec, s[6:7]
	s_cbranch_execz .LBB23_882
.LBB23_2932:
	v_cmp_ne_u16_e32 vcc, 0, v11
	s_andn2_b64 s[4:5], s[4:5], exec
	s_and_b64 s[8:9], vcc, exec
	v_mov_b32_e32 v10, 0
	s_or_b64 s[4:5], s[4:5], s[8:9]
	s_or_b64 exec, exec, s[6:7]
	s_and_saveexec_b64 s[6:7], s[4:5]
	s_cbranch_execnz .LBB23_883
	s_branch .LBB23_884
.LBB23_2933:
	s_movk_i32 s4, 0x80
	v_cmp_eq_u16_e32 vcc, s4, v11
	s_mov_b64 s[4:5], -1
                                        ; implicit-def: $sgpr10
	s_and_saveexec_b64 s[8:9], vcc
; %bb.2934:
	s_mov_b32 s10, 0x7f800001
	s_xor_b64 s[4:5], exec, -1
; %bb.2935:
	s_or_b64 exec, exec, s[8:9]
	s_and_b64 s[4:5], s[4:5], exec
                                        ; implicit-def: $vgpr11
	s_or_saveexec_b64 s[6:7], s[6:7]
	v_mov_b32_e32 v12, s10
	s_xor_b64 exec, exec, s[6:7]
	s_cbranch_execz .LBB23_886
.LBB23_2936:
	v_cmp_ne_u16_e32 vcc, 0, v11
	s_andn2_b64 s[4:5], s[4:5], exec
	s_and_b64 s[8:9], vcc, exec
	v_mov_b32_e32 v12, 0
	s_or_b64 s[4:5], s[4:5], s[8:9]
	s_or_b64 exec, exec, s[6:7]
	s_and_saveexec_b64 s[6:7], s[4:5]
	s_cbranch_execnz .LBB23_887
	s_branch .LBB23_888
.LBB23_2937:
	s_movk_i32 s4, 0x80
	v_cmp_eq_u16_sdwa s[12:13], v17, s4 src0_sel:BYTE_3 src1_sel:DWORD
	s_mov_b64 s[4:5], -1
                                        ; implicit-def: $sgpr10
	s_and_saveexec_b64 s[8:9], s[12:13]
; %bb.2938:
	s_mov_b32 s10, 0x7f800001
	s_xor_b64 s[4:5], exec, -1
; %bb.2939:
	s_or_b64 exec, exec, s[8:9]
	s_and_b64 s[4:5], s[4:5], exec
	s_or_saveexec_b64 s[6:7], s[6:7]
	v_mov_b32_e32 v10, s10
	s_xor_b64 exec, exec, s[6:7]
	s_cbranch_execz .LBB23_890
.LBB23_2940:
	v_mov_b32_e32 v10, 0
	v_cmp_ne_u16_sdwa s[8:9], v17, v10 src0_sel:BYTE_3 src1_sel:DWORD
	s_andn2_b64 s[4:5], s[4:5], exec
	s_and_b64 s[8:9], s[8:9], exec
	s_or_b64 s[4:5], s[4:5], s[8:9]
	s_or_b64 exec, exec, s[6:7]
	s_and_saveexec_b64 s[6:7], s[4:5]
	s_cbranch_execnz .LBB23_891
	s_branch .LBB23_892
.LBB23_2941:
	s_movk_i32 s4, 0x80
	v_cmp_eq_u16_sdwa s[12:13], v13, s4 src0_sel:BYTE_3 src1_sel:DWORD
	s_mov_b64 s[4:5], -1
                                        ; implicit-def: $sgpr10
	s_and_saveexec_b64 s[8:9], s[12:13]
; %bb.2942:
	s_mov_b32 s10, 0x7f800001
	s_xor_b64 s[4:5], exec, -1
; %bb.2943:
	s_or_b64 exec, exec, s[8:9]
	s_and_b64 s[4:5], s[4:5], exec
	s_or_saveexec_b64 s[6:7], s[6:7]
	v_mov_b32_e32 v11, s10
	s_xor_b64 exec, exec, s[6:7]
	s_cbranch_execz .LBB23_894
.LBB23_2944:
	v_mov_b32_e32 v11, 0
	v_cmp_ne_u16_sdwa s[8:9], v13, v11 src0_sel:BYTE_3 src1_sel:DWORD
	s_andn2_b64 s[4:5], s[4:5], exec
	s_and_b64 s[8:9], s[8:9], exec
	s_or_b64 s[4:5], s[4:5], s[8:9]
	s_or_b64 exec, exec, s[6:7]
	s_and_saveexec_b64 s[6:7], s[4:5]
	s_cbranch_execnz .LBB23_895
	s_branch .LBB23_896
.LBB23_2945:
	s_movk_i32 s4, 0x80
	v_cmp_eq_u16_sdwa s[12:13], v6, s4 src0_sel:BYTE_0 src1_sel:DWORD
	s_mov_b64 s[4:5], -1
                                        ; implicit-def: $sgpr10
	s_and_saveexec_b64 s[8:9], s[12:13]
; %bb.2946:
	s_mov_b32 s10, 0x7f800001
	s_xor_b64 s[4:5], exec, -1
; %bb.2947:
	s_or_b64 exec, exec, s[8:9]
	s_and_b64 s[4:5], s[4:5], exec
	s_or_saveexec_b64 s[6:7], s[6:7]
	v_mov_b32_e32 v10, s10
	s_xor_b64 exec, exec, s[6:7]
	s_cbranch_execz .LBB23_898
.LBB23_2948:
	v_mov_b32_e32 v10, 0
	v_cmp_ne_u16_sdwa s[8:9], v6, v10 src0_sel:BYTE_0 src1_sel:DWORD
	s_andn2_b64 s[4:5], s[4:5], exec
	s_and_b64 s[8:9], s[8:9], exec
	s_or_b64 s[4:5], s[4:5], s[8:9]
	s_or_b64 exec, exec, s[6:7]
	s_and_saveexec_b64 s[6:7], s[4:5]
	s_cbranch_execnz .LBB23_899
	s_branch .LBB23_900
.LBB23_2949:
	s_movk_i32 s4, 0x80
	v_cmp_eq_u16_sdwa s[12:13], v2, s4 src0_sel:BYTE_0 src1_sel:DWORD
	s_mov_b64 s[4:5], -1
                                        ; implicit-def: $sgpr10
	s_and_saveexec_b64 s[8:9], s[12:13]
; %bb.2950:
	s_mov_b32 s10, 0x7f800001
	s_xor_b64 s[4:5], exec, -1
; %bb.2951:
	s_or_b64 exec, exec, s[8:9]
	s_and_b64 s[4:5], s[4:5], exec
	s_or_saveexec_b64 s[6:7], s[6:7]
	v_mov_b32_e32 v11, s10
	s_xor_b64 exec, exec, s[6:7]
	s_cbranch_execz .LBB23_902
.LBB23_2952:
	v_mov_b32_e32 v11, 0
	v_cmp_ne_u16_sdwa s[8:9], v2, v11 src0_sel:BYTE_0 src1_sel:DWORD
	s_andn2_b64 s[4:5], s[4:5], exec
	s_and_b64 s[8:9], s[8:9], exec
	s_or_b64 s[4:5], s[4:5], s[8:9]
	s_or_b64 exec, exec, s[6:7]
	s_and_saveexec_b64 s[6:7], s[4:5]
	s_cbranch_execnz .LBB23_903
	s_branch .LBB23_904
.LBB23_2953:
	s_movk_i32 s4, 0x80
	v_cmp_eq_u16_sdwa s[12:13], v11, s4 src0_sel:BYTE_0 src1_sel:DWORD
	s_mov_b64 s[4:5], -1
                                        ; implicit-def: $sgpr10
	s_and_saveexec_b64 s[8:9], s[12:13]
; %bb.2954:
	s_mov_b32 s10, 0x7f800001
	s_xor_b64 s[4:5], exec, -1
; %bb.2955:
	s_or_b64 exec, exec, s[8:9]
	s_and_b64 s[4:5], s[4:5], exec
	s_or_saveexec_b64 s[6:7], s[6:7]
	v_mov_b32_e32 v10, s10
	s_xor_b64 exec, exec, s[6:7]
	s_cbranch_execz .LBB23_906
.LBB23_2956:
	v_mov_b32_e32 v10, 0
	v_cmp_ne_u16_sdwa s[8:9], v11, v10 src0_sel:BYTE_0 src1_sel:DWORD
	s_andn2_b64 s[4:5], s[4:5], exec
	s_and_b64 s[8:9], s[8:9], exec
	s_or_b64 s[4:5], s[4:5], s[8:9]
	s_or_b64 exec, exec, s[6:7]
	s_and_saveexec_b64 s[6:7], s[4:5]
	s_cbranch_execnz .LBB23_907
	s_branch .LBB23_908
.LBB23_2957:
	s_movk_i32 s4, 0x80
	v_cmp_eq_u16_sdwa s[12:13], v11, s4 src0_sel:BYTE_0 src1_sel:DWORD
	s_mov_b64 s[4:5], -1
                                        ; implicit-def: $sgpr10
	s_and_saveexec_b64 s[8:9], s[12:13]
; %bb.2958:
	s_mov_b32 s10, 0x7f800001
	s_xor_b64 s[4:5], exec, -1
; %bb.2959:
	s_or_b64 exec, exec, s[8:9]
	s_and_b64 s[4:5], s[4:5], exec
	s_or_saveexec_b64 s[6:7], s[6:7]
	v_mov_b32_e32 v12, s10
	s_xor_b64 exec, exec, s[6:7]
	s_cbranch_execz .LBB23_910
.LBB23_2960:
	v_mov_b32_e32 v12, 0
	v_cmp_ne_u16_sdwa s[8:9], v11, v12 src0_sel:BYTE_0 src1_sel:DWORD
	s_andn2_b64 s[4:5], s[4:5], exec
	s_and_b64 s[8:9], s[8:9], exec
	s_or_b64 s[4:5], s[4:5], s[8:9]
	s_or_b64 exec, exec, s[6:7]
	s_and_saveexec_b64 s[6:7], s[4:5]
	s_cbranch_execnz .LBB23_911
	s_branch .LBB23_912
.LBB23_2961:
	s_movk_i32 s4, 0x80
	v_cmp_eq_u16_e32 vcc, s4, v11
	s_mov_b64 s[4:5], -1
                                        ; implicit-def: $sgpr10
	s_and_saveexec_b64 s[8:9], vcc
; %bb.2962:
	s_mov_b32 s10, 0x7f800001
	s_xor_b64 s[4:5], exec, -1
; %bb.2963:
	s_or_b64 exec, exec, s[8:9]
	s_and_b64 s[4:5], s[4:5], exec
                                        ; implicit-def: $vgpr11
	s_or_saveexec_b64 s[6:7], s[6:7]
	v_mov_b32_e32 v10, s10
	s_xor_b64 exec, exec, s[6:7]
	s_cbranch_execz .LBB23_914
.LBB23_2964:
	v_cmp_ne_u16_e32 vcc, 0, v11
	s_andn2_b64 s[4:5], s[4:5], exec
	s_and_b64 s[8:9], vcc, exec
	v_mov_b32_e32 v10, 0
	s_or_b64 s[4:5], s[4:5], s[8:9]
	s_or_b64 exec, exec, s[6:7]
	s_and_saveexec_b64 s[6:7], s[4:5]
	s_cbranch_execnz .LBB23_915
	s_branch .LBB23_916
.LBB23_2965:
	s_movk_i32 s4, 0x80
	v_cmp_eq_u16_e32 vcc, s4, v11
	s_mov_b64 s[4:5], -1
                                        ; implicit-def: $sgpr10
	s_and_saveexec_b64 s[8:9], vcc
; %bb.2966:
	s_mov_b32 s10, 0x7f800001
	s_xor_b64 s[4:5], exec, -1
; %bb.2967:
	s_or_b64 exec, exec, s[8:9]
	s_and_b64 s[4:5], s[4:5], exec
                                        ; implicit-def: $vgpr11
	s_or_saveexec_b64 s[6:7], s[6:7]
	v_mov_b32_e32 v12, s10
	s_xor_b64 exec, exec, s[6:7]
	s_cbranch_execz .LBB23_918
.LBB23_2968:
	v_cmp_ne_u16_e32 vcc, 0, v11
	s_andn2_b64 s[4:5], s[4:5], exec
	s_and_b64 s[8:9], vcc, exec
	v_mov_b32_e32 v12, 0
	s_or_b64 s[4:5], s[4:5], s[8:9]
	s_or_b64 exec, exec, s[6:7]
	s_and_saveexec_b64 s[6:7], s[4:5]
	s_cbranch_execnz .LBB23_919
	s_branch .LBB23_920
.LBB23_2969:
	s_movk_i32 s4, 0x80
	v_cmp_eq_u16_sdwa s[12:13], v6, s4 src0_sel:BYTE_3 src1_sel:DWORD
	s_mov_b64 s[4:5], -1
                                        ; implicit-def: $sgpr10
	s_and_saveexec_b64 s[8:9], s[12:13]
; %bb.2970:
	s_mov_b32 s10, 0x7f800001
	s_xor_b64 s[4:5], exec, -1
; %bb.2971:
	s_or_b64 exec, exec, s[8:9]
	s_and_b64 s[4:5], s[4:5], exec
	s_or_saveexec_b64 s[6:7], s[6:7]
	v_mov_b32_e32 v10, s10
	s_xor_b64 exec, exec, s[6:7]
	s_cbranch_execz .LBB23_922
.LBB23_2972:
	v_mov_b32_e32 v10, 0
	v_cmp_ne_u16_sdwa s[8:9], v6, v10 src0_sel:BYTE_3 src1_sel:DWORD
	s_andn2_b64 s[4:5], s[4:5], exec
	s_and_b64 s[8:9], s[8:9], exec
	s_or_b64 s[4:5], s[4:5], s[8:9]
	s_or_b64 exec, exec, s[6:7]
	s_and_saveexec_b64 s[6:7], s[4:5]
	s_cbranch_execnz .LBB23_923
	s_branch .LBB23_924
.LBB23_2973:
	s_movk_i32 s4, 0x80
	v_cmp_eq_u16_sdwa s[12:13], v2, s4 src0_sel:BYTE_3 src1_sel:DWORD
	s_mov_b64 s[4:5], -1
                                        ; implicit-def: $sgpr10
	s_and_saveexec_b64 s[8:9], s[12:13]
; %bb.2974:
	s_mov_b32 s10, 0x7f800001
	s_xor_b64 s[4:5], exec, -1
; %bb.2975:
	s_or_b64 exec, exec, s[8:9]
	s_and_b64 s[4:5], s[4:5], exec
	s_or_saveexec_b64 s[6:7], s[6:7]
	v_mov_b32_e32 v6, s10
	s_xor_b64 exec, exec, s[6:7]
	s_cbranch_execz .LBB23_926
.LBB23_2976:
	v_mov_b32_e32 v6, 0
	v_cmp_ne_u16_sdwa s[8:9], v2, v6 src0_sel:BYTE_3 src1_sel:DWORD
	s_andn2_b64 s[4:5], s[4:5], exec
	s_and_b64 s[8:9], s[8:9], exec
	s_or_b64 s[4:5], s[4:5], s[8:9]
	s_or_b64 exec, exec, s[6:7]
	s_and_saveexec_b64 s[6:7], s[4:5]
	s_cbranch_execnz .LBB23_927
	s_branch .LBB23_928
.LBB23_2977:
	s_movk_i32 s4, 0x80
	v_cmp_eq_u16_sdwa s[12:13], v7, s4 src0_sel:BYTE_0 src1_sel:DWORD
	s_mov_b64 s[4:5], -1
                                        ; implicit-def: $sgpr10
	s_and_saveexec_b64 s[8:9], s[12:13]
; %bb.2978:
	s_mov_b32 s10, 0x7f800001
	s_xor_b64 s[4:5], exec, -1
; %bb.2979:
	s_or_b64 exec, exec, s[8:9]
	s_and_b64 s[4:5], s[4:5], exec
	s_or_saveexec_b64 s[6:7], s[6:7]
	v_mov_b32_e32 v2, s10
	s_xor_b64 exec, exec, s[6:7]
	s_cbranch_execz .LBB23_930
.LBB23_2980:
	v_mov_b32_e32 v2, 0
	v_cmp_ne_u16_sdwa s[8:9], v7, v2 src0_sel:BYTE_0 src1_sel:DWORD
	s_andn2_b64 s[4:5], s[4:5], exec
	s_and_b64 s[8:9], s[8:9], exec
	s_or_b64 s[4:5], s[4:5], s[8:9]
	s_or_b64 exec, exec, s[6:7]
	s_and_saveexec_b64 s[6:7], s[4:5]
	s_cbranch_execnz .LBB23_931
	s_branch .LBB23_932
.LBB23_2981:
	s_movk_i32 s4, 0x80
	v_cmp_eq_u16_sdwa s[12:13], v3, s4 src0_sel:BYTE_0 src1_sel:DWORD
	s_mov_b64 s[4:5], -1
                                        ; implicit-def: $sgpr10
	s_and_saveexec_b64 s[8:9], s[12:13]
; %bb.2982:
	s_mov_b32 s10, 0x7f800001
	s_xor_b64 s[4:5], exec, -1
; %bb.2983:
	s_or_b64 exec, exec, s[8:9]
	s_and_b64 s[4:5], s[4:5], exec
	s_or_saveexec_b64 s[6:7], s[6:7]
	v_mov_b32_e32 v6, s10
	s_xor_b64 exec, exec, s[6:7]
	s_cbranch_execz .LBB23_934
.LBB23_2984:
	v_mov_b32_e32 v6, 0
	v_cmp_ne_u16_sdwa s[8:9], v3, v6 src0_sel:BYTE_0 src1_sel:DWORD
	s_andn2_b64 s[4:5], s[4:5], exec
	s_and_b64 s[8:9], s[8:9], exec
	s_or_b64 s[4:5], s[4:5], s[8:9]
	s_or_b64 exec, exec, s[6:7]
	s_and_saveexec_b64 s[6:7], s[4:5]
	s_cbranch_execnz .LBB23_935
	s_branch .LBB23_936
.LBB23_2985:
	s_movk_i32 s4, 0x80
	v_cmp_eq_u16_sdwa s[12:13], v6, s4 src0_sel:BYTE_0 src1_sel:DWORD
	s_mov_b64 s[4:5], -1
                                        ; implicit-def: $sgpr10
	s_and_saveexec_b64 s[8:9], s[12:13]
; %bb.2986:
	s_mov_b32 s10, 0x7f800001
	s_xor_b64 s[4:5], exec, -1
; %bb.2987:
	s_or_b64 exec, exec, s[8:9]
	s_and_b64 s[4:5], s[4:5], exec
	s_or_saveexec_b64 s[6:7], s[6:7]
	v_mov_b32_e32 v2, s10
	s_xor_b64 exec, exec, s[6:7]
	s_cbranch_execz .LBB23_938
.LBB23_2988:
	v_mov_b32_e32 v2, 0
	v_cmp_ne_u16_sdwa s[8:9], v6, v2 src0_sel:BYTE_0 src1_sel:DWORD
	s_andn2_b64 s[4:5], s[4:5], exec
	s_and_b64 s[8:9], s[8:9], exec
	s_or_b64 s[4:5], s[4:5], s[8:9]
	s_or_b64 exec, exec, s[6:7]
	s_and_saveexec_b64 s[6:7], s[4:5]
	s_cbranch_execnz .LBB23_939
	s_branch .LBB23_940
.LBB23_2989:
	s_movk_i32 s4, 0x80
	v_cmp_eq_u16_sdwa s[12:13], v6, s4 src0_sel:BYTE_0 src1_sel:DWORD
	s_mov_b64 s[4:5], -1
                                        ; implicit-def: $sgpr10
	s_and_saveexec_b64 s[8:9], s[12:13]
; %bb.2990:
	s_mov_b32 s10, 0x7f800001
	s_xor_b64 s[4:5], exec, -1
; %bb.2991:
	s_or_b64 exec, exec, s[8:9]
	s_and_b64 s[4:5], s[4:5], exec
	s_or_saveexec_b64 s[6:7], s[6:7]
	v_mov_b32_e32 v10, s10
	s_xor_b64 exec, exec, s[6:7]
	s_cbranch_execz .LBB23_942
.LBB23_2992:
	v_mov_b32_e32 v10, 0
	v_cmp_ne_u16_sdwa s[8:9], v6, v10 src0_sel:BYTE_0 src1_sel:DWORD
	s_andn2_b64 s[4:5], s[4:5], exec
	s_and_b64 s[8:9], s[8:9], exec
	s_or_b64 s[4:5], s[4:5], s[8:9]
	s_or_b64 exec, exec, s[6:7]
	s_and_saveexec_b64 s[6:7], s[4:5]
	s_cbranch_execnz .LBB23_943
	s_branch .LBB23_944
.LBB23_2993:
	s_movk_i32 s4, 0x80
	v_cmp_eq_u16_e32 vcc, s4, v6
	s_mov_b64 s[4:5], -1
                                        ; implicit-def: $sgpr10
	s_and_saveexec_b64 s[8:9], vcc
; %bb.2994:
	s_mov_b32 s10, 0x7f800001
	s_xor_b64 s[4:5], exec, -1
; %bb.2995:
	s_or_b64 exec, exec, s[8:9]
	s_and_b64 s[4:5], s[4:5], exec
                                        ; implicit-def: $vgpr6
	s_or_saveexec_b64 s[6:7], s[6:7]
	v_mov_b32_e32 v2, s10
	s_xor_b64 exec, exec, s[6:7]
	s_cbranch_execz .LBB23_946
.LBB23_2996:
	v_cmp_ne_u16_e32 vcc, 0, v6
	s_andn2_b64 s[4:5], s[4:5], exec
	s_and_b64 s[8:9], vcc, exec
	v_mov_b32_e32 v2, 0
	s_or_b64 s[4:5], s[4:5], s[8:9]
	s_or_b64 exec, exec, s[6:7]
	s_and_saveexec_b64 s[6:7], s[4:5]
	s_cbranch_execnz .LBB23_947
	s_branch .LBB23_948
.LBB23_2997:
	s_movk_i32 s4, 0x80
	v_cmp_eq_u16_e32 vcc, s4, v6
	s_mov_b64 s[4:5], -1
                                        ; implicit-def: $sgpr10
	s_and_saveexec_b64 s[8:9], vcc
; %bb.2998:
	s_mov_b32 s10, 0x7f800001
	s_xor_b64 s[4:5], exec, -1
; %bb.2999:
	s_or_b64 exec, exec, s[8:9]
	s_and_b64 s[4:5], s[4:5], exec
                                        ; implicit-def: $vgpr6
	s_or_saveexec_b64 s[6:7], s[6:7]
	v_mov_b32_e32 v10, s10
	s_xor_b64 exec, exec, s[6:7]
	s_cbranch_execz .LBB23_950
.LBB23_3000:
	v_cmp_ne_u16_e32 vcc, 0, v6
	s_andn2_b64 s[4:5], s[4:5], exec
	s_and_b64 s[8:9], vcc, exec
	v_mov_b32_e32 v10, 0
	s_or_b64 s[4:5], s[4:5], s[8:9]
	s_or_b64 exec, exec, s[6:7]
	s_and_saveexec_b64 s[6:7], s[4:5]
	s_cbranch_execnz .LBB23_951
	s_branch .LBB23_952
.LBB23_3001:
	s_movk_i32 s4, 0x80
	v_cmp_eq_u16_sdwa s[12:13], v7, s4 src0_sel:BYTE_3 src1_sel:DWORD
	s_mov_b64 s[4:5], -1
                                        ; implicit-def: $sgpr10
	s_and_saveexec_b64 s[8:9], s[12:13]
; %bb.3002:
	s_mov_b32 s10, 0x7f800001
	s_xor_b64 s[4:5], exec, -1
; %bb.3003:
	s_or_b64 exec, exec, s[8:9]
	s_and_b64 s[4:5], s[4:5], exec
	s_or_saveexec_b64 s[6:7], s[6:7]
	v_mov_b32_e32 v2, s10
	s_xor_b64 exec, exec, s[6:7]
	s_cbranch_execz .LBB23_954
.LBB23_3004:
	v_mov_b32_e32 v2, 0
	v_cmp_ne_u16_sdwa s[8:9], v7, v2 src0_sel:BYTE_3 src1_sel:DWORD
	s_andn2_b64 s[4:5], s[4:5], exec
	s_and_b64 s[8:9], s[8:9], exec
	s_or_b64 s[4:5], s[4:5], s[8:9]
	s_or_b64 exec, exec, s[6:7]
	s_and_saveexec_b64 s[6:7], s[4:5]
	s_cbranch_execnz .LBB23_955
	s_branch .LBB23_956
.LBB23_3005:
	s_movk_i32 s4, 0x80
	v_cmp_eq_u16_sdwa s[12:13], v3, s4 src0_sel:BYTE_3 src1_sel:DWORD
	s_mov_b64 s[4:5], -1
                                        ; implicit-def: $sgpr10
	s_and_saveexec_b64 s[8:9], s[12:13]
; %bb.3006:
	s_mov_b32 s10, 0x7f800001
	s_xor_b64 s[4:5], exec, -1
; %bb.3007:
	s_or_b64 exec, exec, s[8:9]
	s_and_b64 s[4:5], s[4:5], exec
	s_or_saveexec_b64 s[6:7], s[6:7]
	v_mov_b32_e32 v6, s10
	s_xor_b64 exec, exec, s[6:7]
	s_cbranch_execz .LBB23_958
.LBB23_3008:
	v_mov_b32_e32 v6, 0
	v_cmp_ne_u16_sdwa s[8:9], v3, v6 src0_sel:BYTE_3 src1_sel:DWORD
	s_andn2_b64 s[4:5], s[4:5], exec
	s_and_b64 s[8:9], s[8:9], exec
	s_or_b64 s[4:5], s[4:5], s[8:9]
	s_or_b64 exec, exec, s[6:7]
	s_and_saveexec_b64 s[6:7], s[4:5]
	s_cbranch_execnz .LBB23_959
	s_branch .LBB23_960
.LBB23_3009:
	s_movk_i32 s4, 0x80
	v_cmp_eq_u16_sdwa s[12:13], v8, s4 src0_sel:BYTE_0 src1_sel:DWORD
	s_mov_b64 s[4:5], -1
                                        ; implicit-def: $sgpr10
	s_and_saveexec_b64 s[8:9], s[12:13]
; %bb.3010:
	s_mov_b32 s10, 0x7f800001
	s_xor_b64 s[4:5], exec, -1
; %bb.3011:
	s_or_b64 exec, exec, s[8:9]
	s_and_b64 s[4:5], s[4:5], exec
	s_or_saveexec_b64 s[6:7], s[6:7]
	v_mov_b32_e32 v2, s10
	s_xor_b64 exec, exec, s[6:7]
	s_cbranch_execz .LBB23_962
.LBB23_3012:
	v_mov_b32_e32 v2, 0
	v_cmp_ne_u16_sdwa s[8:9], v8, v2 src0_sel:BYTE_0 src1_sel:DWORD
	s_andn2_b64 s[4:5], s[4:5], exec
	s_and_b64 s[8:9], s[8:9], exec
	s_or_b64 s[4:5], s[4:5], s[8:9]
	s_or_b64 exec, exec, s[6:7]
	s_and_saveexec_b64 s[6:7], s[4:5]
	s_cbranch_execnz .LBB23_963
	s_branch .LBB23_964
.LBB23_3013:
	s_movk_i32 s4, 0x80
	v_cmp_eq_u16_sdwa s[12:13], v4, s4 src0_sel:BYTE_0 src1_sel:DWORD
	s_mov_b64 s[4:5], -1
                                        ; implicit-def: $sgpr10
	s_and_saveexec_b64 s[8:9], s[12:13]
; %bb.3014:
	s_mov_b32 s10, 0x7f800001
	s_xor_b64 s[4:5], exec, -1
; %bb.3015:
	s_or_b64 exec, exec, s[8:9]
	s_and_b64 s[4:5], s[4:5], exec
	s_or_saveexec_b64 s[6:7], s[6:7]
	v_mov_b32_e32 v3, s10
	s_xor_b64 exec, exec, s[6:7]
	s_cbranch_execz .LBB23_966
.LBB23_3016:
	v_mov_b32_e32 v3, 0
	v_cmp_ne_u16_sdwa s[8:9], v4, v3 src0_sel:BYTE_0 src1_sel:DWORD
	s_andn2_b64 s[4:5], s[4:5], exec
	s_and_b64 s[8:9], s[8:9], exec
	s_or_b64 s[4:5], s[4:5], s[8:9]
	s_or_b64 exec, exec, s[6:7]
	s_and_saveexec_b64 s[6:7], s[4:5]
	s_cbranch_execnz .LBB23_967
	s_branch .LBB23_968
.LBB23_3017:
	s_movk_i32 s4, 0x80
	v_cmp_eq_u16_sdwa s[12:13], v3, s4 src0_sel:BYTE_0 src1_sel:DWORD
	s_mov_b64 s[4:5], -1
                                        ; implicit-def: $sgpr10
	s_and_saveexec_b64 s[8:9], s[12:13]
; %bb.3018:
	s_mov_b32 s10, 0x7f800001
	s_xor_b64 s[4:5], exec, -1
; %bb.3019:
	s_or_b64 exec, exec, s[8:9]
	s_and_b64 s[4:5], s[4:5], exec
	s_or_saveexec_b64 s[6:7], s[6:7]
	v_mov_b32_e32 v2, s10
	s_xor_b64 exec, exec, s[6:7]
	s_cbranch_execz .LBB23_970
.LBB23_3020:
	v_mov_b32_e32 v2, 0
	v_cmp_ne_u16_sdwa s[8:9], v3, v2 src0_sel:BYTE_0 src1_sel:DWORD
	s_andn2_b64 s[4:5], s[4:5], exec
	s_and_b64 s[8:9], s[8:9], exec
	s_or_b64 s[4:5], s[4:5], s[8:9]
	s_or_b64 exec, exec, s[6:7]
	s_and_saveexec_b64 s[6:7], s[4:5]
	s_cbranch_execnz .LBB23_971
	s_branch .LBB23_972
.LBB23_3021:
	s_movk_i32 s4, 0x80
	v_cmp_eq_u16_sdwa s[12:13], v3, s4 src0_sel:BYTE_0 src1_sel:DWORD
	s_mov_b64 s[4:5], -1
                                        ; implicit-def: $sgpr10
	s_and_saveexec_b64 s[8:9], s[12:13]
; %bb.3022:
	s_mov_b32 s10, 0x7f800001
	s_xor_b64 s[4:5], exec, -1
; %bb.3023:
	s_or_b64 exec, exec, s[8:9]
	s_and_b64 s[4:5], s[4:5], exec
	s_or_saveexec_b64 s[6:7], s[6:7]
	v_mov_b32_e32 v6, s10
	s_xor_b64 exec, exec, s[6:7]
	s_cbranch_execz .LBB23_974
.LBB23_3024:
	v_mov_b32_e32 v6, 0
	v_cmp_ne_u16_sdwa s[8:9], v3, v6 src0_sel:BYTE_0 src1_sel:DWORD
	s_andn2_b64 s[4:5], s[4:5], exec
	s_and_b64 s[8:9], s[8:9], exec
	s_or_b64 s[4:5], s[4:5], s[8:9]
	s_or_b64 exec, exec, s[6:7]
	s_and_saveexec_b64 s[6:7], s[4:5]
	s_cbranch_execnz .LBB23_975
	s_branch .LBB23_976
.LBB23_3025:
	s_movk_i32 s4, 0x80
	v_cmp_eq_u16_e32 vcc, s4, v3
	s_mov_b64 s[4:5], -1
                                        ; implicit-def: $sgpr10
	s_and_saveexec_b64 s[8:9], vcc
; %bb.3026:
	s_mov_b32 s10, 0x7f800001
	s_xor_b64 s[4:5], exec, -1
; %bb.3027:
	s_or_b64 exec, exec, s[8:9]
	s_and_b64 s[4:5], s[4:5], exec
                                        ; implicit-def: $vgpr3
	s_or_saveexec_b64 s[6:7], s[6:7]
	v_mov_b32_e32 v2, s10
	s_xor_b64 exec, exec, s[6:7]
	s_cbranch_execz .LBB23_978
.LBB23_3028:
	v_cmp_ne_u16_e32 vcc, 0, v3
	s_andn2_b64 s[4:5], s[4:5], exec
	s_and_b64 s[8:9], vcc, exec
	v_mov_b32_e32 v2, 0
	s_or_b64 s[4:5], s[4:5], s[8:9]
	s_or_b64 exec, exec, s[6:7]
	s_and_saveexec_b64 s[6:7], s[4:5]
	s_cbranch_execnz .LBB23_979
	s_branch .LBB23_980
.LBB23_3029:
	s_movk_i32 s4, 0x80
	v_cmp_eq_u16_e32 vcc, s4, v3
	s_mov_b64 s[4:5], -1
                                        ; implicit-def: $sgpr10
	s_and_saveexec_b64 s[8:9], vcc
; %bb.3030:
	s_mov_b32 s10, 0x7f800001
	s_xor_b64 s[4:5], exec, -1
; %bb.3031:
	s_or_b64 exec, exec, s[8:9]
	s_and_b64 s[4:5], s[4:5], exec
                                        ; implicit-def: $vgpr3
	s_or_saveexec_b64 s[6:7], s[6:7]
	v_mov_b32_e32 v6, s10
	s_xor_b64 exec, exec, s[6:7]
	s_cbranch_execz .LBB23_982
.LBB23_3032:
	v_cmp_ne_u16_e32 vcc, 0, v3
	s_andn2_b64 s[4:5], s[4:5], exec
	s_and_b64 s[8:9], vcc, exec
	v_mov_b32_e32 v6, 0
	s_or_b64 s[4:5], s[4:5], s[8:9]
	s_or_b64 exec, exec, s[6:7]
	s_and_saveexec_b64 s[6:7], s[4:5]
	s_cbranch_execnz .LBB23_983
	s_branch .LBB23_984
.LBB23_3033:
	s_movk_i32 s4, 0x80
	v_cmp_eq_u16_sdwa s[12:13], v8, s4 src0_sel:BYTE_3 src1_sel:DWORD
	s_mov_b64 s[4:5], -1
                                        ; implicit-def: $sgpr10
	s_and_saveexec_b64 s[8:9], s[12:13]
; %bb.3034:
	s_mov_b32 s10, 0x7f800001
	s_xor_b64 s[4:5], exec, -1
; %bb.3035:
	s_or_b64 exec, exec, s[8:9]
	s_and_b64 s[4:5], s[4:5], exec
	s_or_saveexec_b64 s[6:7], s[6:7]
	v_mov_b32_e32 v2, s10
	s_xor_b64 exec, exec, s[6:7]
	s_cbranch_execz .LBB23_986
.LBB23_3036:
	v_mov_b32_e32 v2, 0
	v_cmp_ne_u16_sdwa s[8:9], v8, v2 src0_sel:BYTE_3 src1_sel:DWORD
	s_andn2_b64 s[4:5], s[4:5], exec
	s_and_b64 s[8:9], s[8:9], exec
	s_or_b64 s[4:5], s[4:5], s[8:9]
	s_or_b64 exec, exec, s[6:7]
	s_and_saveexec_b64 s[6:7], s[4:5]
	s_cbranch_execnz .LBB23_987
	s_branch .LBB23_988
.LBB23_3037:
	s_movk_i32 s4, 0x80
	v_cmp_eq_u16_sdwa s[12:13], v4, s4 src0_sel:BYTE_3 src1_sel:DWORD
	s_mov_b64 s[4:5], -1
                                        ; implicit-def: $sgpr10
	s_and_saveexec_b64 s[8:9], s[12:13]
; %bb.3038:
	s_mov_b32 s10, 0x7f800001
	s_xor_b64 s[4:5], exec, -1
; %bb.3039:
	s_or_b64 exec, exec, s[8:9]
	s_and_b64 s[4:5], s[4:5], exec
	s_or_saveexec_b64 s[6:7], s[6:7]
	v_mov_b32_e32 v3, s10
	s_xor_b64 exec, exec, s[6:7]
	s_cbranch_execz .LBB23_990
.LBB23_3040:
	v_mov_b32_e32 v3, 0
	v_cmp_ne_u16_sdwa s[8:9], v4, v3 src0_sel:BYTE_3 src1_sel:DWORD
	s_andn2_b64 s[4:5], s[4:5], exec
	s_and_b64 s[8:9], s[8:9], exec
	s_or_b64 s[4:5], s[4:5], s[8:9]
	s_or_b64 exec, exec, s[6:7]
	s_and_saveexec_b64 s[6:7], s[4:5]
	s_cbranch_execnz .LBB23_991
	s_branch .LBB23_992
.LBB23_3041:
	s_movk_i32 s4, 0x80
	v_cmp_eq_u16_sdwa s[12:13], v9, s4 src0_sel:BYTE_0 src1_sel:DWORD
	s_mov_b64 s[4:5], -1
                                        ; implicit-def: $sgpr10
	s_and_saveexec_b64 s[8:9], s[12:13]
; %bb.3042:
	s_mov_b32 s10, 0x7f800001
	s_xor_b64 s[4:5], exec, -1
; %bb.3043:
	s_or_b64 exec, exec, s[8:9]
	s_and_b64 s[4:5], s[4:5], exec
	s_or_saveexec_b64 s[6:7], s[6:7]
	v_mov_b32_e32 v2, s10
	s_xor_b64 exec, exec, s[6:7]
	s_cbranch_execz .LBB23_994
.LBB23_3044:
	v_mov_b32_e32 v2, 0
	v_cmp_ne_u16_sdwa s[8:9], v9, v2 src0_sel:BYTE_0 src1_sel:DWORD
	s_andn2_b64 s[4:5], s[4:5], exec
	s_and_b64 s[8:9], s[8:9], exec
	s_or_b64 s[4:5], s[4:5], s[8:9]
	s_or_b64 exec, exec, s[6:7]
	s_and_saveexec_b64 s[6:7], s[4:5]
	s_cbranch_execnz .LBB23_995
	s_branch .LBB23_996
.LBB23_3045:
	s_movk_i32 s4, 0x80
	v_cmp_eq_u16_sdwa s[12:13], v5, s4 src0_sel:BYTE_0 src1_sel:DWORD
	s_mov_b64 s[4:5], -1
                                        ; implicit-def: $sgpr10
	s_and_saveexec_b64 s[8:9], s[12:13]
; %bb.3046:
	s_mov_b32 s10, 0x7f800001
	s_xor_b64 s[4:5], exec, -1
; %bb.3047:
	s_or_b64 exec, exec, s[8:9]
	s_and_b64 s[4:5], s[4:5], exec
	s_or_saveexec_b64 s[6:7], s[6:7]
	v_mov_b32_e32 v3, s10
	s_xor_b64 exec, exec, s[6:7]
	s_cbranch_execz .LBB23_998
.LBB23_3048:
	v_mov_b32_e32 v3, 0
	v_cmp_ne_u16_sdwa s[8:9], v5, v3 src0_sel:BYTE_0 src1_sel:DWORD
	s_andn2_b64 s[4:5], s[4:5], exec
	s_and_b64 s[8:9], s[8:9], exec
	s_or_b64 s[4:5], s[4:5], s[8:9]
	s_or_b64 exec, exec, s[6:7]
	s_and_saveexec_b64 s[6:7], s[4:5]
	s_cbranch_execnz .LBB23_999
	s_branch .LBB23_1000
.LBB23_3049:
	s_movk_i32 s4, 0x80
	v_cmp_eq_u16_sdwa s[12:13], v3, s4 src0_sel:BYTE_0 src1_sel:DWORD
	s_mov_b64 s[4:5], -1
                                        ; implicit-def: $sgpr10
	s_and_saveexec_b64 s[8:9], s[12:13]
; %bb.3050:
	s_mov_b32 s10, 0x7f800001
	s_xor_b64 s[4:5], exec, -1
; %bb.3051:
	s_or_b64 exec, exec, s[8:9]
	s_and_b64 s[4:5], s[4:5], exec
	s_or_saveexec_b64 s[6:7], s[6:7]
	v_mov_b32_e32 v2, s10
	s_xor_b64 exec, exec, s[6:7]
	s_cbranch_execz .LBB23_1002
.LBB23_3052:
	v_mov_b32_e32 v2, 0
	v_cmp_ne_u16_sdwa s[8:9], v3, v2 src0_sel:BYTE_0 src1_sel:DWORD
	s_andn2_b64 s[4:5], s[4:5], exec
	s_and_b64 s[8:9], s[8:9], exec
	s_or_b64 s[4:5], s[4:5], s[8:9]
	s_or_b64 exec, exec, s[6:7]
	s_and_saveexec_b64 s[6:7], s[4:5]
	s_cbranch_execnz .LBB23_1003
	s_branch .LBB23_1004
.LBB23_3053:
	s_movk_i32 s4, 0x80
	v_cmp_eq_u16_sdwa s[12:13], v3, s4 src0_sel:BYTE_0 src1_sel:DWORD
	s_mov_b64 s[4:5], -1
                                        ; implicit-def: $sgpr10
	s_and_saveexec_b64 s[8:9], s[12:13]
; %bb.3054:
	s_mov_b32 s10, 0x7f800001
	s_xor_b64 s[4:5], exec, -1
; %bb.3055:
	s_or_b64 exec, exec, s[8:9]
	s_and_b64 s[4:5], s[4:5], exec
	s_or_saveexec_b64 s[6:7], s[6:7]
	v_mov_b32_e32 v4, s10
	s_xor_b64 exec, exec, s[6:7]
	s_cbranch_execz .LBB23_1006
.LBB23_3056:
	v_mov_b32_e32 v4, 0
	v_cmp_ne_u16_sdwa s[8:9], v3, v4 src0_sel:BYTE_0 src1_sel:DWORD
	s_andn2_b64 s[4:5], s[4:5], exec
	s_and_b64 s[8:9], s[8:9], exec
	s_or_b64 s[4:5], s[4:5], s[8:9]
	s_or_b64 exec, exec, s[6:7]
	s_and_saveexec_b64 s[6:7], s[4:5]
	s_cbranch_execnz .LBB23_1007
	s_branch .LBB23_1008
.LBB23_3057:
	s_movk_i32 s4, 0x80
	v_cmp_eq_u16_e32 vcc, s4, v3
	s_mov_b64 s[4:5], -1
                                        ; implicit-def: $sgpr10
	s_and_saveexec_b64 s[8:9], vcc
; %bb.3058:
	s_mov_b32 s10, 0x7f800001
	s_xor_b64 s[4:5], exec, -1
; %bb.3059:
	s_or_b64 exec, exec, s[8:9]
	s_and_b64 s[4:5], s[4:5], exec
                                        ; implicit-def: $vgpr3
	s_or_saveexec_b64 s[6:7], s[6:7]
	v_mov_b32_e32 v2, s10
	s_xor_b64 exec, exec, s[6:7]
	s_cbranch_execz .LBB23_1010
.LBB23_3060:
	v_cmp_ne_u16_e32 vcc, 0, v3
	s_andn2_b64 s[4:5], s[4:5], exec
	s_and_b64 s[8:9], vcc, exec
	v_mov_b32_e32 v2, 0
	s_or_b64 s[4:5], s[4:5], s[8:9]
	s_or_b64 exec, exec, s[6:7]
	s_and_saveexec_b64 s[6:7], s[4:5]
	s_cbranch_execnz .LBB23_1011
	s_branch .LBB23_1012
.LBB23_3061:
	s_movk_i32 s4, 0x80
	v_cmp_eq_u16_e32 vcc, s4, v3
	s_mov_b64 s[4:5], -1
                                        ; implicit-def: $sgpr10
	s_and_saveexec_b64 s[8:9], vcc
; %bb.3062:
	s_mov_b32 s10, 0x7f800001
	s_xor_b64 s[4:5], exec, -1
; %bb.3063:
	s_or_b64 exec, exec, s[8:9]
	s_and_b64 s[4:5], s[4:5], exec
                                        ; implicit-def: $vgpr3
	s_or_saveexec_b64 s[6:7], s[6:7]
	v_mov_b32_e32 v4, s10
	s_xor_b64 exec, exec, s[6:7]
	s_cbranch_execz .LBB23_1014
.LBB23_3064:
	v_cmp_ne_u16_e32 vcc, 0, v3
	s_andn2_b64 s[4:5], s[4:5], exec
	s_and_b64 s[8:9], vcc, exec
	v_mov_b32_e32 v4, 0
	s_or_b64 s[4:5], s[4:5], s[8:9]
	s_or_b64 exec, exec, s[6:7]
	s_and_saveexec_b64 s[6:7], s[4:5]
	s_cbranch_execnz .LBB23_1015
	s_branch .LBB23_1016
.LBB23_3065:
	s_movk_i32 s4, 0x80
	v_cmp_eq_u16_sdwa s[12:13], v9, s4 src0_sel:BYTE_3 src1_sel:DWORD
	s_mov_b64 s[4:5], -1
                                        ; implicit-def: $sgpr10
	s_and_saveexec_b64 s[8:9], s[12:13]
; %bb.3066:
	s_mov_b32 s10, 0x7f800001
	s_xor_b64 s[4:5], exec, -1
; %bb.3067:
	s_or_b64 exec, exec, s[8:9]
	s_and_b64 s[4:5], s[4:5], exec
	s_or_saveexec_b64 s[6:7], s[6:7]
	v_mov_b32_e32 v2, s10
	s_xor_b64 exec, exec, s[6:7]
	s_cbranch_execz .LBB23_1018
.LBB23_3068:
	v_mov_b32_e32 v2, 0
	v_cmp_ne_u16_sdwa s[8:9], v9, v2 src0_sel:BYTE_3 src1_sel:DWORD
	s_andn2_b64 s[4:5], s[4:5], exec
	s_and_b64 s[8:9], s[8:9], exec
	s_or_b64 s[4:5], s[4:5], s[8:9]
	s_or_b64 exec, exec, s[6:7]
	s_and_saveexec_b64 s[6:7], s[4:5]
	s_cbranch_execnz .LBB23_1019
	s_branch .LBB23_1020
.LBB23_3069:
	s_movk_i32 s4, 0x80
	v_cmp_eq_u16_sdwa s[12:13], v5, s4 src0_sel:BYTE_3 src1_sel:DWORD
	s_mov_b64 s[4:5], -1
                                        ; implicit-def: $sgpr10
	s_and_saveexec_b64 s[8:9], s[12:13]
; %bb.3070:
	s_mov_b32 s10, 0x7f800001
	s_xor_b64 s[4:5], exec, -1
; %bb.3071:
	s_or_b64 exec, exec, s[8:9]
	s_and_b64 s[4:5], s[4:5], exec
	s_or_saveexec_b64 s[6:7], s[6:7]
	v_mov_b32_e32 v3, s10
	s_xor_b64 exec, exec, s[6:7]
	s_cbranch_execz .LBB23_1022
.LBB23_3072:
	v_mov_b32_e32 v3, 0
	v_cmp_ne_u16_sdwa s[8:9], v5, v3 src0_sel:BYTE_3 src1_sel:DWORD
	s_andn2_b64 s[4:5], s[4:5], exec
	s_and_b64 s[8:9], s[8:9], exec
	s_or_b64 s[4:5], s[4:5], s[8:9]
	s_or_b64 exec, exec, s[6:7]
	s_and_saveexec_b64 s[6:7], s[4:5]
	s_cbranch_execnz .LBB23_1023
	s_branch .LBB23_1024
.LBB23_3073:
	s_movk_i32 s4, 0x80
	v_cmp_eq_u16_sdwa s[12:13], v14, s4 src0_sel:BYTE_0 src1_sel:DWORD
	s_mov_b64 s[4:5], -1
                                        ; implicit-def: $sgpr10
	s_and_saveexec_b64 s[8:9], s[12:13]
; %bb.3074:
	s_mov_b32 s10, 0x7f800001
	s_xor_b64 s[4:5], exec, -1
; %bb.3075:
	s_or_b64 exec, exec, s[8:9]
	s_and_b64 s[4:5], s[4:5], exec
	s_or_saveexec_b64 s[6:7], s[6:7]
	v_mov_b32_e32 v20, s10
	s_xor_b64 exec, exec, s[6:7]
	s_cbranch_execz .LBB23_1026
.LBB23_3076:
	v_mov_b32_e32 v20, 0
	v_cmp_ne_u16_sdwa s[8:9], v14, v20 src0_sel:BYTE_0 src1_sel:DWORD
	s_andn2_b64 s[4:5], s[4:5], exec
	s_and_b64 s[8:9], s[8:9], exec
	s_or_b64 s[4:5], s[4:5], s[8:9]
	s_or_b64 exec, exec, s[6:7]
	s_and_saveexec_b64 s[6:7], s[4:5]
	s_cbranch_execnz .LBB23_1027
	s_branch .LBB23_1028
.LBB23_3077:
	s_movk_i32 s4, 0x80
	v_cmp_eq_u16_sdwa s[12:13], v10, s4 src0_sel:BYTE_0 src1_sel:DWORD
	s_mov_b64 s[4:5], -1
                                        ; implicit-def: $sgpr10
	s_and_saveexec_b64 s[8:9], s[12:13]
; %bb.3078:
	s_mov_b32 s10, 0x7f800001
	s_xor_b64 s[4:5], exec, -1
; %bb.3079:
	s_or_b64 exec, exec, s[8:9]
	s_and_b64 s[4:5], s[4:5], exec
	s_or_saveexec_b64 s[6:7], s[6:7]
	v_mov_b32_e32 v21, s10
	s_xor_b64 exec, exec, s[6:7]
	s_cbranch_execz .LBB23_1030
.LBB23_3080:
	v_mov_b32_e32 v21, 0
	v_cmp_ne_u16_sdwa s[8:9], v10, v21 src0_sel:BYTE_0 src1_sel:DWORD
	s_andn2_b64 s[4:5], s[4:5], exec
	s_and_b64 s[8:9], s[8:9], exec
	s_or_b64 s[4:5], s[4:5], s[8:9]
	s_or_b64 exec, exec, s[6:7]
	s_and_saveexec_b64 s[6:7], s[4:5]
	s_cbranch_execnz .LBB23_1031
	s_branch .LBB23_1032
.LBB23_3081:
	s_movk_i32 s4, 0x80
	v_cmp_eq_u16_sdwa s[12:13], v21, s4 src0_sel:BYTE_0 src1_sel:DWORD
	s_mov_b64 s[4:5], -1
                                        ; implicit-def: $sgpr10
	s_and_saveexec_b64 s[8:9], s[12:13]
; %bb.3082:
	s_mov_b32 s10, 0x7f800001
	s_xor_b64 s[4:5], exec, -1
; %bb.3083:
	s_or_b64 exec, exec, s[8:9]
	s_and_b64 s[4:5], s[4:5], exec
	s_or_saveexec_b64 s[6:7], s[6:7]
	v_mov_b32_e32 v20, s10
	s_xor_b64 exec, exec, s[6:7]
	s_cbranch_execz .LBB23_1034
.LBB23_3084:
	v_mov_b32_e32 v20, 0
	v_cmp_ne_u16_sdwa s[8:9], v21, v20 src0_sel:BYTE_0 src1_sel:DWORD
	s_andn2_b64 s[4:5], s[4:5], exec
	s_and_b64 s[8:9], s[8:9], exec
	s_or_b64 s[4:5], s[4:5], s[8:9]
	s_or_b64 exec, exec, s[6:7]
	s_and_saveexec_b64 s[6:7], s[4:5]
	s_cbranch_execnz .LBB23_1035
	s_branch .LBB23_1036
.LBB23_3085:
	s_movk_i32 s4, 0x80
	v_cmp_eq_u16_sdwa s[12:13], v21, s4 src0_sel:BYTE_0 src1_sel:DWORD
	s_mov_b64 s[4:5], -1
                                        ; implicit-def: $sgpr10
	s_and_saveexec_b64 s[8:9], s[12:13]
; %bb.3086:
	s_mov_b32 s10, 0x7f800001
	s_xor_b64 s[4:5], exec, -1
; %bb.3087:
	s_or_b64 exec, exec, s[8:9]
	s_and_b64 s[4:5], s[4:5], exec
	s_or_saveexec_b64 s[6:7], s[6:7]
	v_mov_b32_e32 v22, s10
	s_xor_b64 exec, exec, s[6:7]
	s_cbranch_execz .LBB23_1038
.LBB23_3088:
	v_mov_b32_e32 v22, 0
	v_cmp_ne_u16_sdwa s[8:9], v21, v22 src0_sel:BYTE_0 src1_sel:DWORD
	s_andn2_b64 s[4:5], s[4:5], exec
	s_and_b64 s[8:9], s[8:9], exec
	s_or_b64 s[4:5], s[4:5], s[8:9]
	s_or_b64 exec, exec, s[6:7]
	s_and_saveexec_b64 s[6:7], s[4:5]
	s_cbranch_execnz .LBB23_1039
	s_branch .LBB23_1040
.LBB23_3089:
	s_movk_i32 s4, 0x80
	v_cmp_eq_u16_e32 vcc, s4, v21
	s_mov_b64 s[4:5], -1
                                        ; implicit-def: $sgpr10
	s_and_saveexec_b64 s[8:9], vcc
; %bb.3090:
	s_mov_b32 s10, 0x7f800001
	s_xor_b64 s[4:5], exec, -1
; %bb.3091:
	s_or_b64 exec, exec, s[8:9]
	s_and_b64 s[4:5], s[4:5], exec
                                        ; implicit-def: $vgpr21
	s_or_saveexec_b64 s[6:7], s[6:7]
	v_mov_b32_e32 v20, s10
	s_xor_b64 exec, exec, s[6:7]
	s_cbranch_execz .LBB23_1042
.LBB23_3092:
	v_cmp_ne_u16_e32 vcc, 0, v21
	s_andn2_b64 s[4:5], s[4:5], exec
	s_and_b64 s[8:9], vcc, exec
	v_mov_b32_e32 v20, 0
	s_or_b64 s[4:5], s[4:5], s[8:9]
	s_or_b64 exec, exec, s[6:7]
	s_and_saveexec_b64 s[6:7], s[4:5]
	s_cbranch_execnz .LBB23_1043
	s_branch .LBB23_1044
.LBB23_3093:
	s_movk_i32 s4, 0x80
	v_cmp_eq_u16_e32 vcc, s4, v21
	s_mov_b64 s[4:5], -1
                                        ; implicit-def: $sgpr10
	s_and_saveexec_b64 s[8:9], vcc
; %bb.3094:
	s_mov_b32 s10, 0x7f800001
	s_xor_b64 s[4:5], exec, -1
; %bb.3095:
	s_or_b64 exec, exec, s[8:9]
	s_and_b64 s[4:5], s[4:5], exec
                                        ; implicit-def: $vgpr21
	s_or_saveexec_b64 s[6:7], s[6:7]
	v_mov_b32_e32 v22, s10
	s_xor_b64 exec, exec, s[6:7]
	s_cbranch_execz .LBB23_1046
.LBB23_3096:
	v_cmp_ne_u16_e32 vcc, 0, v21
	s_andn2_b64 s[4:5], s[4:5], exec
	s_and_b64 s[8:9], vcc, exec
	v_mov_b32_e32 v22, 0
	s_or_b64 s[4:5], s[4:5], s[8:9]
	s_or_b64 exec, exec, s[6:7]
	s_and_saveexec_b64 s[6:7], s[4:5]
	s_cbranch_execnz .LBB23_1047
	s_branch .LBB23_1048
.LBB23_3097:
	s_movk_i32 s4, 0x80
	v_cmp_eq_u16_sdwa s[12:13], v14, s4 src0_sel:BYTE_3 src1_sel:DWORD
	s_mov_b64 s[4:5], -1
                                        ; implicit-def: $sgpr10
	s_and_saveexec_b64 s[8:9], s[12:13]
; %bb.3098:
	s_mov_b32 s10, 0x7f800001
	s_xor_b64 s[4:5], exec, -1
; %bb.3099:
	s_or_b64 exec, exec, s[8:9]
	s_and_b64 s[4:5], s[4:5], exec
	s_or_saveexec_b64 s[6:7], s[6:7]
	v_mov_b32_e32 v20, s10
	s_xor_b64 exec, exec, s[6:7]
	s_cbranch_execz .LBB23_1050
.LBB23_3100:
	v_mov_b32_e32 v20, 0
	v_cmp_ne_u16_sdwa s[8:9], v14, v20 src0_sel:BYTE_3 src1_sel:DWORD
	s_andn2_b64 s[4:5], s[4:5], exec
	s_and_b64 s[8:9], s[8:9], exec
	s_or_b64 s[4:5], s[4:5], s[8:9]
	s_or_b64 exec, exec, s[6:7]
	s_and_saveexec_b64 s[6:7], s[4:5]
	s_cbranch_execnz .LBB23_1051
	s_branch .LBB23_1052
.LBB23_3101:
	s_movk_i32 s4, 0x80
	v_cmp_eq_u16_sdwa s[12:13], v10, s4 src0_sel:BYTE_3 src1_sel:DWORD
	s_mov_b64 s[4:5], -1
                                        ; implicit-def: $sgpr10
	s_and_saveexec_b64 s[8:9], s[12:13]
; %bb.3102:
	s_mov_b32 s10, 0x7f800001
	s_xor_b64 s[4:5], exec, -1
; %bb.3103:
	s_or_b64 exec, exec, s[8:9]
	s_and_b64 s[4:5], s[4:5], exec
	s_or_saveexec_b64 s[6:7], s[6:7]
	v_mov_b32_e32 v14, s10
	s_xor_b64 exec, exec, s[6:7]
	s_cbranch_execz .LBB23_1054
.LBB23_3104:
	v_mov_b32_e32 v14, 0
	v_cmp_ne_u16_sdwa s[8:9], v10, v14 src0_sel:BYTE_3 src1_sel:DWORD
	s_andn2_b64 s[4:5], s[4:5], exec
	s_and_b64 s[8:9], s[8:9], exec
	s_or_b64 s[4:5], s[4:5], s[8:9]
	s_or_b64 exec, exec, s[6:7]
	s_and_saveexec_b64 s[6:7], s[4:5]
	s_cbranch_execnz .LBB23_1055
	s_branch .LBB23_1056
.LBB23_3105:
	s_movk_i32 s4, 0x80
	v_cmp_eq_u16_sdwa s[12:13], v15, s4 src0_sel:BYTE_0 src1_sel:DWORD
	s_mov_b64 s[4:5], -1
                                        ; implicit-def: $sgpr10
	s_and_saveexec_b64 s[8:9], s[12:13]
; %bb.3106:
	s_mov_b32 s10, 0x7f800001
	s_xor_b64 s[4:5], exec, -1
; %bb.3107:
	s_or_b64 exec, exec, s[8:9]
	s_and_b64 s[4:5], s[4:5], exec
	s_or_saveexec_b64 s[6:7], s[6:7]
	v_mov_b32_e32 v10, s10
	s_xor_b64 exec, exec, s[6:7]
	s_cbranch_execz .LBB23_1058
.LBB23_3108:
	v_mov_b32_e32 v10, 0
	v_cmp_ne_u16_sdwa s[8:9], v15, v10 src0_sel:BYTE_0 src1_sel:DWORD
	s_andn2_b64 s[4:5], s[4:5], exec
	s_and_b64 s[8:9], s[8:9], exec
	s_or_b64 s[4:5], s[4:5], s[8:9]
	s_or_b64 exec, exec, s[6:7]
	s_and_saveexec_b64 s[6:7], s[4:5]
	s_cbranch_execnz .LBB23_1059
	s_branch .LBB23_1060
.LBB23_3109:
	s_movk_i32 s4, 0x80
	v_cmp_eq_u16_sdwa s[12:13], v11, s4 src0_sel:BYTE_0 src1_sel:DWORD
	s_mov_b64 s[4:5], -1
                                        ; implicit-def: $sgpr10
	s_and_saveexec_b64 s[8:9], s[12:13]
; %bb.3110:
	s_mov_b32 s10, 0x7f800001
	s_xor_b64 s[4:5], exec, -1
; %bb.3111:
	s_or_b64 exec, exec, s[8:9]
	s_and_b64 s[4:5], s[4:5], exec
	s_or_saveexec_b64 s[6:7], s[6:7]
	v_mov_b32_e32 v14, s10
	s_xor_b64 exec, exec, s[6:7]
	s_cbranch_execz .LBB23_1062
.LBB23_3112:
	v_mov_b32_e32 v14, 0
	v_cmp_ne_u16_sdwa s[8:9], v11, v14 src0_sel:BYTE_0 src1_sel:DWORD
	s_andn2_b64 s[4:5], s[4:5], exec
	s_and_b64 s[8:9], s[8:9], exec
	s_or_b64 s[4:5], s[4:5], s[8:9]
	s_or_b64 exec, exec, s[6:7]
	s_and_saveexec_b64 s[6:7], s[4:5]
	s_cbranch_execnz .LBB23_1063
	s_branch .LBB23_1064
.LBB23_3113:
	s_movk_i32 s4, 0x80
	v_cmp_eq_u16_sdwa s[12:13], v14, s4 src0_sel:BYTE_0 src1_sel:DWORD
	s_mov_b64 s[4:5], -1
                                        ; implicit-def: $sgpr10
	s_and_saveexec_b64 s[8:9], s[12:13]
; %bb.3114:
	s_mov_b32 s10, 0x7f800001
	s_xor_b64 s[4:5], exec, -1
; %bb.3115:
	s_or_b64 exec, exec, s[8:9]
	s_and_b64 s[4:5], s[4:5], exec
	s_or_saveexec_b64 s[6:7], s[6:7]
	v_mov_b32_e32 v10, s10
	s_xor_b64 exec, exec, s[6:7]
	s_cbranch_execz .LBB23_1066
.LBB23_3116:
	v_mov_b32_e32 v10, 0
	v_cmp_ne_u16_sdwa s[8:9], v14, v10 src0_sel:BYTE_0 src1_sel:DWORD
	s_andn2_b64 s[4:5], s[4:5], exec
	s_and_b64 s[8:9], s[8:9], exec
	s_or_b64 s[4:5], s[4:5], s[8:9]
	s_or_b64 exec, exec, s[6:7]
	s_and_saveexec_b64 s[6:7], s[4:5]
	s_cbranch_execnz .LBB23_1067
	s_branch .LBB23_1068
.LBB23_3117:
	s_movk_i32 s4, 0x80
	v_cmp_eq_u16_sdwa s[12:13], v14, s4 src0_sel:BYTE_0 src1_sel:DWORD
	s_mov_b64 s[4:5], -1
                                        ; implicit-def: $sgpr10
	s_and_saveexec_b64 s[8:9], s[12:13]
; %bb.3118:
	s_mov_b32 s10, 0x7f800001
	s_xor_b64 s[4:5], exec, -1
; %bb.3119:
	s_or_b64 exec, exec, s[8:9]
	s_and_b64 s[4:5], s[4:5], exec
	s_or_saveexec_b64 s[6:7], s[6:7]
	v_mov_b32_e32 v20, s10
	s_xor_b64 exec, exec, s[6:7]
	s_cbranch_execz .LBB23_1070
.LBB23_3120:
	v_mov_b32_e32 v20, 0
	v_cmp_ne_u16_sdwa s[8:9], v14, v20 src0_sel:BYTE_0 src1_sel:DWORD
	s_andn2_b64 s[4:5], s[4:5], exec
	s_and_b64 s[8:9], s[8:9], exec
	s_or_b64 s[4:5], s[4:5], s[8:9]
	s_or_b64 exec, exec, s[6:7]
	s_and_saveexec_b64 s[6:7], s[4:5]
	s_cbranch_execnz .LBB23_1071
	s_branch .LBB23_1072
.LBB23_3121:
	s_movk_i32 s4, 0x80
	v_cmp_eq_u16_e32 vcc, s4, v14
	s_mov_b64 s[4:5], -1
                                        ; implicit-def: $sgpr10
	s_and_saveexec_b64 s[8:9], vcc
; %bb.3122:
	s_mov_b32 s10, 0x7f800001
	s_xor_b64 s[4:5], exec, -1
; %bb.3123:
	s_or_b64 exec, exec, s[8:9]
	s_and_b64 s[4:5], s[4:5], exec
                                        ; implicit-def: $vgpr14
	s_or_saveexec_b64 s[6:7], s[6:7]
	v_mov_b32_e32 v10, s10
	s_xor_b64 exec, exec, s[6:7]
	s_cbranch_execz .LBB23_1074
.LBB23_3124:
	v_cmp_ne_u16_e32 vcc, 0, v14
	s_andn2_b64 s[4:5], s[4:5], exec
	s_and_b64 s[8:9], vcc, exec
	v_mov_b32_e32 v10, 0
	s_or_b64 s[4:5], s[4:5], s[8:9]
	s_or_b64 exec, exec, s[6:7]
	s_and_saveexec_b64 s[6:7], s[4:5]
	s_cbranch_execnz .LBB23_1075
	s_branch .LBB23_1076
.LBB23_3125:
	s_movk_i32 s4, 0x80
	v_cmp_eq_u16_e32 vcc, s4, v14
	s_mov_b64 s[4:5], -1
                                        ; implicit-def: $sgpr10
	s_and_saveexec_b64 s[8:9], vcc
; %bb.3126:
	s_mov_b32 s10, 0x7f800001
	s_xor_b64 s[4:5], exec, -1
; %bb.3127:
	s_or_b64 exec, exec, s[8:9]
	s_and_b64 s[4:5], s[4:5], exec
                                        ; implicit-def: $vgpr14
	s_or_saveexec_b64 s[6:7], s[6:7]
	v_mov_b32_e32 v20, s10
	s_xor_b64 exec, exec, s[6:7]
	s_cbranch_execz .LBB23_1078
.LBB23_3128:
	v_cmp_ne_u16_e32 vcc, 0, v14
	s_andn2_b64 s[4:5], s[4:5], exec
	s_and_b64 s[8:9], vcc, exec
	v_mov_b32_e32 v20, 0
	s_or_b64 s[4:5], s[4:5], s[8:9]
	s_or_b64 exec, exec, s[6:7]
	s_and_saveexec_b64 s[6:7], s[4:5]
	s_cbranch_execnz .LBB23_1079
	s_branch .LBB23_1080
.LBB23_3129:
	s_movk_i32 s4, 0x80
	v_cmp_eq_u16_sdwa s[12:13], v15, s4 src0_sel:BYTE_3 src1_sel:DWORD
	s_mov_b64 s[4:5], -1
                                        ; implicit-def: $sgpr10
	s_and_saveexec_b64 s[8:9], s[12:13]
; %bb.3130:
	s_mov_b32 s10, 0x7f800001
	s_xor_b64 s[4:5], exec, -1
; %bb.3131:
	s_or_b64 exec, exec, s[8:9]
	s_and_b64 s[4:5], s[4:5], exec
	s_or_saveexec_b64 s[6:7], s[6:7]
	v_mov_b32_e32 v10, s10
	s_xor_b64 exec, exec, s[6:7]
	s_cbranch_execz .LBB23_1082
.LBB23_3132:
	v_mov_b32_e32 v10, 0
	v_cmp_ne_u16_sdwa s[8:9], v15, v10 src0_sel:BYTE_3 src1_sel:DWORD
	s_andn2_b64 s[4:5], s[4:5], exec
	s_and_b64 s[8:9], s[8:9], exec
	s_or_b64 s[4:5], s[4:5], s[8:9]
	s_or_b64 exec, exec, s[6:7]
	s_and_saveexec_b64 s[6:7], s[4:5]
	s_cbranch_execnz .LBB23_1083
	s_branch .LBB23_1084
.LBB23_3133:
	s_movk_i32 s4, 0x80
	v_cmp_eq_u16_sdwa s[12:13], v11, s4 src0_sel:BYTE_3 src1_sel:DWORD
	s_mov_b64 s[4:5], -1
                                        ; implicit-def: $sgpr10
	s_and_saveexec_b64 s[8:9], s[12:13]
; %bb.3134:
	s_mov_b32 s10, 0x7f800001
	s_xor_b64 s[4:5], exec, -1
; %bb.3135:
	s_or_b64 exec, exec, s[8:9]
	s_and_b64 s[4:5], s[4:5], exec
	s_or_saveexec_b64 s[6:7], s[6:7]
	v_mov_b32_e32 v14, s10
	s_xor_b64 exec, exec, s[6:7]
	s_cbranch_execz .LBB23_1086
.LBB23_3136:
	v_mov_b32_e32 v14, 0
	v_cmp_ne_u16_sdwa s[8:9], v11, v14 src0_sel:BYTE_3 src1_sel:DWORD
	s_andn2_b64 s[4:5], s[4:5], exec
	s_and_b64 s[8:9], s[8:9], exec
	s_or_b64 s[4:5], s[4:5], s[8:9]
	s_or_b64 exec, exec, s[6:7]
	s_and_saveexec_b64 s[6:7], s[4:5]
	s_cbranch_execnz .LBB23_1087
	s_branch .LBB23_1088
.LBB23_3137:
	s_movk_i32 s4, 0x80
	v_cmp_eq_u16_sdwa s[12:13], v16, s4 src0_sel:BYTE_0 src1_sel:DWORD
	s_mov_b64 s[4:5], -1
                                        ; implicit-def: $sgpr10
	s_and_saveexec_b64 s[8:9], s[12:13]
; %bb.3138:
	s_mov_b32 s10, 0x7f800001
	s_xor_b64 s[4:5], exec, -1
; %bb.3139:
	s_or_b64 exec, exec, s[8:9]
	s_and_b64 s[4:5], s[4:5], exec
	s_or_saveexec_b64 s[6:7], s[6:7]
	v_mov_b32_e32 v10, s10
	s_xor_b64 exec, exec, s[6:7]
	s_cbranch_execz .LBB23_1090
.LBB23_3140:
	v_mov_b32_e32 v10, 0
	v_cmp_ne_u16_sdwa s[8:9], v16, v10 src0_sel:BYTE_0 src1_sel:DWORD
	s_andn2_b64 s[4:5], s[4:5], exec
	s_and_b64 s[8:9], s[8:9], exec
	s_or_b64 s[4:5], s[4:5], s[8:9]
	s_or_b64 exec, exec, s[6:7]
	s_and_saveexec_b64 s[6:7], s[4:5]
	s_cbranch_execnz .LBB23_1091
	s_branch .LBB23_1092
.LBB23_3141:
	s_movk_i32 s4, 0x80
	v_cmp_eq_u16_sdwa s[12:13], v12, s4 src0_sel:BYTE_0 src1_sel:DWORD
	s_mov_b64 s[4:5], -1
                                        ; implicit-def: $sgpr10
	s_and_saveexec_b64 s[8:9], s[12:13]
; %bb.3142:
	s_mov_b32 s10, 0x7f800001
	s_xor_b64 s[4:5], exec, -1
; %bb.3143:
	s_or_b64 exec, exec, s[8:9]
	s_and_b64 s[4:5], s[4:5], exec
	s_or_saveexec_b64 s[6:7], s[6:7]
	v_mov_b32_e32 v11, s10
	s_xor_b64 exec, exec, s[6:7]
	s_cbranch_execz .LBB23_1094
.LBB23_3144:
	v_mov_b32_e32 v11, 0
	v_cmp_ne_u16_sdwa s[8:9], v12, v11 src0_sel:BYTE_0 src1_sel:DWORD
	s_andn2_b64 s[4:5], s[4:5], exec
	s_and_b64 s[8:9], s[8:9], exec
	s_or_b64 s[4:5], s[4:5], s[8:9]
	s_or_b64 exec, exec, s[6:7]
	s_and_saveexec_b64 s[6:7], s[4:5]
	s_cbranch_execnz .LBB23_1095
	s_branch .LBB23_1096
.LBB23_3145:
	s_movk_i32 s4, 0x80
	v_cmp_eq_u16_sdwa s[12:13], v11, s4 src0_sel:BYTE_0 src1_sel:DWORD
	s_mov_b64 s[4:5], -1
                                        ; implicit-def: $sgpr10
	s_and_saveexec_b64 s[8:9], s[12:13]
; %bb.3146:
	s_mov_b32 s10, 0x7f800001
	s_xor_b64 s[4:5], exec, -1
; %bb.3147:
	s_or_b64 exec, exec, s[8:9]
	s_and_b64 s[4:5], s[4:5], exec
	s_or_saveexec_b64 s[6:7], s[6:7]
	v_mov_b32_e32 v10, s10
	s_xor_b64 exec, exec, s[6:7]
	s_cbranch_execz .LBB23_1098
.LBB23_3148:
	v_mov_b32_e32 v10, 0
	v_cmp_ne_u16_sdwa s[8:9], v11, v10 src0_sel:BYTE_0 src1_sel:DWORD
	s_andn2_b64 s[4:5], s[4:5], exec
	s_and_b64 s[8:9], s[8:9], exec
	s_or_b64 s[4:5], s[4:5], s[8:9]
	s_or_b64 exec, exec, s[6:7]
	s_and_saveexec_b64 s[6:7], s[4:5]
	s_cbranch_execnz .LBB23_1099
	s_branch .LBB23_1100
.LBB23_3149:
	s_movk_i32 s4, 0x80
	v_cmp_eq_u16_sdwa s[12:13], v11, s4 src0_sel:BYTE_0 src1_sel:DWORD
	s_mov_b64 s[4:5], -1
                                        ; implicit-def: $sgpr10
	s_and_saveexec_b64 s[8:9], s[12:13]
; %bb.3150:
	s_mov_b32 s10, 0x7f800001
	s_xor_b64 s[4:5], exec, -1
; %bb.3151:
	s_or_b64 exec, exec, s[8:9]
	s_and_b64 s[4:5], s[4:5], exec
	s_or_saveexec_b64 s[6:7], s[6:7]
	v_mov_b32_e32 v14, s10
	s_xor_b64 exec, exec, s[6:7]
	s_cbranch_execz .LBB23_1102
.LBB23_3152:
	v_mov_b32_e32 v14, 0
	v_cmp_ne_u16_sdwa s[8:9], v11, v14 src0_sel:BYTE_0 src1_sel:DWORD
	s_andn2_b64 s[4:5], s[4:5], exec
	s_and_b64 s[8:9], s[8:9], exec
	s_or_b64 s[4:5], s[4:5], s[8:9]
	s_or_b64 exec, exec, s[6:7]
	s_and_saveexec_b64 s[6:7], s[4:5]
	s_cbranch_execnz .LBB23_1103
	s_branch .LBB23_1104
.LBB23_3153:
	s_movk_i32 s4, 0x80
	v_cmp_eq_u16_e32 vcc, s4, v11
	s_mov_b64 s[4:5], -1
                                        ; implicit-def: $sgpr10
	s_and_saveexec_b64 s[8:9], vcc
; %bb.3154:
	s_mov_b32 s10, 0x7f800001
	s_xor_b64 s[4:5], exec, -1
; %bb.3155:
	s_or_b64 exec, exec, s[8:9]
	s_and_b64 s[4:5], s[4:5], exec
                                        ; implicit-def: $vgpr11
	s_or_saveexec_b64 s[6:7], s[6:7]
	v_mov_b32_e32 v10, s10
	s_xor_b64 exec, exec, s[6:7]
	s_cbranch_execz .LBB23_1106
.LBB23_3156:
	v_cmp_ne_u16_e32 vcc, 0, v11
	s_andn2_b64 s[4:5], s[4:5], exec
	s_and_b64 s[8:9], vcc, exec
	v_mov_b32_e32 v10, 0
	s_or_b64 s[4:5], s[4:5], s[8:9]
	s_or_b64 exec, exec, s[6:7]
	s_and_saveexec_b64 s[6:7], s[4:5]
	s_cbranch_execnz .LBB23_1107
	s_branch .LBB23_1108
.LBB23_3157:
	s_movk_i32 s4, 0x80
	v_cmp_eq_u16_e32 vcc, s4, v11
	s_mov_b64 s[4:5], -1
                                        ; implicit-def: $sgpr10
	s_and_saveexec_b64 s[8:9], vcc
; %bb.3158:
	s_mov_b32 s10, 0x7f800001
	s_xor_b64 s[4:5], exec, -1
; %bb.3159:
	s_or_b64 exec, exec, s[8:9]
	s_and_b64 s[4:5], s[4:5], exec
                                        ; implicit-def: $vgpr11
	s_or_saveexec_b64 s[6:7], s[6:7]
	v_mov_b32_e32 v14, s10
	s_xor_b64 exec, exec, s[6:7]
	s_cbranch_execz .LBB23_1110
.LBB23_3160:
	v_cmp_ne_u16_e32 vcc, 0, v11
	s_andn2_b64 s[4:5], s[4:5], exec
	s_and_b64 s[8:9], vcc, exec
	v_mov_b32_e32 v14, 0
	s_or_b64 s[4:5], s[4:5], s[8:9]
	s_or_b64 exec, exec, s[6:7]
	s_and_saveexec_b64 s[6:7], s[4:5]
	s_cbranch_execnz .LBB23_1111
	s_branch .LBB23_1112
.LBB23_3161:
	s_movk_i32 s4, 0x80
	v_cmp_eq_u16_sdwa s[12:13], v16, s4 src0_sel:BYTE_3 src1_sel:DWORD
	s_mov_b64 s[4:5], -1
                                        ; implicit-def: $sgpr10
	s_and_saveexec_b64 s[8:9], s[12:13]
; %bb.3162:
	s_mov_b32 s10, 0x7f800001
	s_xor_b64 s[4:5], exec, -1
; %bb.3163:
	s_or_b64 exec, exec, s[8:9]
	s_and_b64 s[4:5], s[4:5], exec
	s_or_saveexec_b64 s[6:7], s[6:7]
	v_mov_b32_e32 v10, s10
	s_xor_b64 exec, exec, s[6:7]
	s_cbranch_execz .LBB23_1114
.LBB23_3164:
	v_mov_b32_e32 v10, 0
	v_cmp_ne_u16_sdwa s[8:9], v16, v10 src0_sel:BYTE_3 src1_sel:DWORD
	s_andn2_b64 s[4:5], s[4:5], exec
	s_and_b64 s[8:9], s[8:9], exec
	s_or_b64 s[4:5], s[4:5], s[8:9]
	s_or_b64 exec, exec, s[6:7]
	s_and_saveexec_b64 s[6:7], s[4:5]
	s_cbranch_execnz .LBB23_1115
	s_branch .LBB23_1116
.LBB23_3165:
	s_movk_i32 s4, 0x80
	v_cmp_eq_u16_sdwa s[12:13], v12, s4 src0_sel:BYTE_3 src1_sel:DWORD
	s_mov_b64 s[4:5], -1
                                        ; implicit-def: $sgpr10
	s_and_saveexec_b64 s[8:9], s[12:13]
; %bb.3166:
	s_mov_b32 s10, 0x7f800001
	s_xor_b64 s[4:5], exec, -1
; %bb.3167:
	s_or_b64 exec, exec, s[8:9]
	s_and_b64 s[4:5], s[4:5], exec
	s_or_saveexec_b64 s[6:7], s[6:7]
	v_mov_b32_e32 v11, s10
	s_xor_b64 exec, exec, s[6:7]
	s_cbranch_execz .LBB23_1118
.LBB23_3168:
	v_mov_b32_e32 v11, 0
	v_cmp_ne_u16_sdwa s[8:9], v12, v11 src0_sel:BYTE_3 src1_sel:DWORD
	s_andn2_b64 s[4:5], s[4:5], exec
	s_and_b64 s[8:9], s[8:9], exec
	s_or_b64 s[4:5], s[4:5], s[8:9]
	s_or_b64 exec, exec, s[6:7]
	s_and_saveexec_b64 s[6:7], s[4:5]
	s_cbranch_execnz .LBB23_1119
	s_branch .LBB23_1120
.LBB23_3169:
	s_movk_i32 s4, 0x80
	v_cmp_eq_u16_sdwa s[12:13], v17, s4 src0_sel:BYTE_0 src1_sel:DWORD
	s_mov_b64 s[4:5], -1
                                        ; implicit-def: $sgpr10
	s_and_saveexec_b64 s[8:9], s[12:13]
; %bb.3170:
	s_mov_b32 s10, 0x7f800001
	s_xor_b64 s[4:5], exec, -1
; %bb.3171:
	s_or_b64 exec, exec, s[8:9]
	s_and_b64 s[4:5], s[4:5], exec
	s_or_saveexec_b64 s[6:7], s[6:7]
	v_mov_b32_e32 v10, s10
	s_xor_b64 exec, exec, s[6:7]
	s_cbranch_execz .LBB23_1122
.LBB23_3172:
	v_mov_b32_e32 v10, 0
	v_cmp_ne_u16_sdwa s[8:9], v17, v10 src0_sel:BYTE_0 src1_sel:DWORD
	s_andn2_b64 s[4:5], s[4:5], exec
	s_and_b64 s[8:9], s[8:9], exec
	s_or_b64 s[4:5], s[4:5], s[8:9]
	s_or_b64 exec, exec, s[6:7]
	s_and_saveexec_b64 s[6:7], s[4:5]
	s_cbranch_execnz .LBB23_1123
	s_branch .LBB23_1124
.LBB23_3173:
	s_movk_i32 s4, 0x80
	v_cmp_eq_u16_sdwa s[12:13], v13, s4 src0_sel:BYTE_0 src1_sel:DWORD
	s_mov_b64 s[4:5], -1
                                        ; implicit-def: $sgpr10
	s_and_saveexec_b64 s[8:9], s[12:13]
; %bb.3174:
	s_mov_b32 s10, 0x7f800001
	s_xor_b64 s[4:5], exec, -1
; %bb.3175:
	s_or_b64 exec, exec, s[8:9]
	s_and_b64 s[4:5], s[4:5], exec
	s_or_saveexec_b64 s[6:7], s[6:7]
	v_mov_b32_e32 v11, s10
	s_xor_b64 exec, exec, s[6:7]
	s_cbranch_execz .LBB23_1126
.LBB23_3176:
	v_mov_b32_e32 v11, 0
	v_cmp_ne_u16_sdwa s[8:9], v13, v11 src0_sel:BYTE_0 src1_sel:DWORD
	s_andn2_b64 s[4:5], s[4:5], exec
	s_and_b64 s[8:9], s[8:9], exec
	s_or_b64 s[4:5], s[4:5], s[8:9]
	s_or_b64 exec, exec, s[6:7]
	s_and_saveexec_b64 s[6:7], s[4:5]
	s_cbranch_execnz .LBB23_1127
	s_branch .LBB23_1128
.LBB23_3177:
	s_movk_i32 s4, 0x80
	v_cmp_eq_u16_sdwa s[12:13], v11, s4 src0_sel:BYTE_0 src1_sel:DWORD
	s_mov_b64 s[4:5], -1
                                        ; implicit-def: $sgpr10
	s_and_saveexec_b64 s[8:9], s[12:13]
; %bb.3178:
	s_mov_b32 s10, 0x7f800001
	s_xor_b64 s[4:5], exec, -1
; %bb.3179:
	s_or_b64 exec, exec, s[8:9]
	s_and_b64 s[4:5], s[4:5], exec
	s_or_saveexec_b64 s[6:7], s[6:7]
	v_mov_b32_e32 v10, s10
	s_xor_b64 exec, exec, s[6:7]
	s_cbranch_execz .LBB23_1130
.LBB23_3180:
	v_mov_b32_e32 v10, 0
	v_cmp_ne_u16_sdwa s[8:9], v11, v10 src0_sel:BYTE_0 src1_sel:DWORD
	s_andn2_b64 s[4:5], s[4:5], exec
	s_and_b64 s[8:9], s[8:9], exec
	s_or_b64 s[4:5], s[4:5], s[8:9]
	s_or_b64 exec, exec, s[6:7]
	s_and_saveexec_b64 s[6:7], s[4:5]
	s_cbranch_execnz .LBB23_1131
	s_branch .LBB23_1132
.LBB23_3181:
	s_movk_i32 s4, 0x80
	v_cmp_eq_u16_sdwa s[12:13], v11, s4 src0_sel:BYTE_0 src1_sel:DWORD
	s_mov_b64 s[4:5], -1
                                        ; implicit-def: $sgpr10
	s_and_saveexec_b64 s[8:9], s[12:13]
; %bb.3182:
	s_mov_b32 s10, 0x7f800001
	s_xor_b64 s[4:5], exec, -1
; %bb.3183:
	s_or_b64 exec, exec, s[8:9]
	s_and_b64 s[4:5], s[4:5], exec
	s_or_saveexec_b64 s[6:7], s[6:7]
	v_mov_b32_e32 v12, s10
	s_xor_b64 exec, exec, s[6:7]
	s_cbranch_execz .LBB23_1134
.LBB23_3184:
	v_mov_b32_e32 v12, 0
	v_cmp_ne_u16_sdwa s[8:9], v11, v12 src0_sel:BYTE_0 src1_sel:DWORD
	s_andn2_b64 s[4:5], s[4:5], exec
	s_and_b64 s[8:9], s[8:9], exec
	s_or_b64 s[4:5], s[4:5], s[8:9]
	s_or_b64 exec, exec, s[6:7]
	s_and_saveexec_b64 s[6:7], s[4:5]
	s_cbranch_execnz .LBB23_1135
	s_branch .LBB23_1136
.LBB23_3185:
	s_movk_i32 s4, 0x80
	v_cmp_eq_u16_e32 vcc, s4, v11
	s_mov_b64 s[4:5], -1
                                        ; implicit-def: $sgpr10
	s_and_saveexec_b64 s[8:9], vcc
; %bb.3186:
	s_mov_b32 s10, 0x7f800001
	s_xor_b64 s[4:5], exec, -1
; %bb.3187:
	s_or_b64 exec, exec, s[8:9]
	s_and_b64 s[4:5], s[4:5], exec
                                        ; implicit-def: $vgpr11
	s_or_saveexec_b64 s[6:7], s[6:7]
	v_mov_b32_e32 v10, s10
	s_xor_b64 exec, exec, s[6:7]
	s_cbranch_execz .LBB23_1138
.LBB23_3188:
	v_cmp_ne_u16_e32 vcc, 0, v11
	s_andn2_b64 s[4:5], s[4:5], exec
	s_and_b64 s[8:9], vcc, exec
	v_mov_b32_e32 v10, 0
	s_or_b64 s[4:5], s[4:5], s[8:9]
	s_or_b64 exec, exec, s[6:7]
	s_and_saveexec_b64 s[6:7], s[4:5]
	s_cbranch_execnz .LBB23_1139
	s_branch .LBB23_1140
.LBB23_3189:
	s_movk_i32 s4, 0x80
	v_cmp_eq_u16_e32 vcc, s4, v11
	s_mov_b64 s[4:5], -1
                                        ; implicit-def: $sgpr10
	s_and_saveexec_b64 s[8:9], vcc
; %bb.3190:
	s_mov_b32 s10, 0x7f800001
	s_xor_b64 s[4:5], exec, -1
; %bb.3191:
	s_or_b64 exec, exec, s[8:9]
	s_and_b64 s[4:5], s[4:5], exec
                                        ; implicit-def: $vgpr11
	s_or_saveexec_b64 s[6:7], s[6:7]
	v_mov_b32_e32 v12, s10
	s_xor_b64 exec, exec, s[6:7]
	s_cbranch_execz .LBB23_1142
.LBB23_3192:
	v_cmp_ne_u16_e32 vcc, 0, v11
	s_andn2_b64 s[4:5], s[4:5], exec
	s_and_b64 s[8:9], vcc, exec
	v_mov_b32_e32 v12, 0
	s_or_b64 s[4:5], s[4:5], s[8:9]
	s_or_b64 exec, exec, s[6:7]
	s_and_saveexec_b64 s[6:7], s[4:5]
	s_cbranch_execnz .LBB23_1143
	s_branch .LBB23_1144
.LBB23_3193:
	s_movk_i32 s4, 0x80
	v_cmp_eq_u16_sdwa s[12:13], v17, s4 src0_sel:BYTE_3 src1_sel:DWORD
	s_mov_b64 s[4:5], -1
                                        ; implicit-def: $sgpr10
	s_and_saveexec_b64 s[8:9], s[12:13]
; %bb.3194:
	s_mov_b32 s10, 0x7f800001
	s_xor_b64 s[4:5], exec, -1
; %bb.3195:
	s_or_b64 exec, exec, s[8:9]
	s_and_b64 s[4:5], s[4:5], exec
	s_or_saveexec_b64 s[6:7], s[6:7]
	v_mov_b32_e32 v10, s10
	s_xor_b64 exec, exec, s[6:7]
	s_cbranch_execz .LBB23_1146
.LBB23_3196:
	v_mov_b32_e32 v10, 0
	v_cmp_ne_u16_sdwa s[8:9], v17, v10 src0_sel:BYTE_3 src1_sel:DWORD
	s_andn2_b64 s[4:5], s[4:5], exec
	s_and_b64 s[8:9], s[8:9], exec
	s_or_b64 s[4:5], s[4:5], s[8:9]
	s_or_b64 exec, exec, s[6:7]
	s_and_saveexec_b64 s[6:7], s[4:5]
	s_cbranch_execnz .LBB23_1147
	s_branch .LBB23_1148
.LBB23_3197:
	s_movk_i32 s4, 0x80
	v_cmp_eq_u16_sdwa s[12:13], v13, s4 src0_sel:BYTE_3 src1_sel:DWORD
	s_mov_b64 s[4:5], -1
                                        ; implicit-def: $sgpr10
	s_and_saveexec_b64 s[8:9], s[12:13]
; %bb.3198:
	s_mov_b32 s10, 0x7f800001
	s_xor_b64 s[4:5], exec, -1
; %bb.3199:
	s_or_b64 exec, exec, s[8:9]
	s_and_b64 s[4:5], s[4:5], exec
	s_or_saveexec_b64 s[6:7], s[6:7]
	v_mov_b32_e32 v11, s10
	s_xor_b64 exec, exec, s[6:7]
	s_cbranch_execz .LBB23_1150
.LBB23_3200:
	v_mov_b32_e32 v11, 0
	v_cmp_ne_u16_sdwa s[8:9], v13, v11 src0_sel:BYTE_3 src1_sel:DWORD
	s_andn2_b64 s[4:5], s[4:5], exec
	s_and_b64 s[8:9], s[8:9], exec
	s_or_b64 s[4:5], s[4:5], s[8:9]
	s_or_b64 exec, exec, s[6:7]
	s_and_saveexec_b64 s[6:7], s[4:5]
	s_cbranch_execnz .LBB23_1151
	s_branch .LBB23_1152
.LBB23_3201:
	s_movk_i32 s4, 0x80
	v_cmp_eq_u16_sdwa s[12:13], v6, s4 src0_sel:BYTE_0 src1_sel:DWORD
	s_mov_b64 s[4:5], -1
                                        ; implicit-def: $sgpr10
	s_and_saveexec_b64 s[8:9], s[12:13]
; %bb.3202:
	s_mov_b32 s10, 0x7f800001
	s_xor_b64 s[4:5], exec, -1
; %bb.3203:
	s_or_b64 exec, exec, s[8:9]
	s_and_b64 s[4:5], s[4:5], exec
	s_or_saveexec_b64 s[6:7], s[6:7]
	v_mov_b32_e32 v10, s10
	s_xor_b64 exec, exec, s[6:7]
	s_cbranch_execz .LBB23_1154
.LBB23_3204:
	v_mov_b32_e32 v10, 0
	v_cmp_ne_u16_sdwa s[8:9], v6, v10 src0_sel:BYTE_0 src1_sel:DWORD
	s_andn2_b64 s[4:5], s[4:5], exec
	s_and_b64 s[8:9], s[8:9], exec
	s_or_b64 s[4:5], s[4:5], s[8:9]
	s_or_b64 exec, exec, s[6:7]
	s_and_saveexec_b64 s[6:7], s[4:5]
	s_cbranch_execnz .LBB23_1155
	s_branch .LBB23_1156
.LBB23_3205:
	s_movk_i32 s4, 0x80
	v_cmp_eq_u16_sdwa s[12:13], v2, s4 src0_sel:BYTE_0 src1_sel:DWORD
	s_mov_b64 s[4:5], -1
                                        ; implicit-def: $sgpr10
	s_and_saveexec_b64 s[8:9], s[12:13]
; %bb.3206:
	s_mov_b32 s10, 0x7f800001
	s_xor_b64 s[4:5], exec, -1
; %bb.3207:
	s_or_b64 exec, exec, s[8:9]
	s_and_b64 s[4:5], s[4:5], exec
	s_or_saveexec_b64 s[6:7], s[6:7]
	v_mov_b32_e32 v11, s10
	s_xor_b64 exec, exec, s[6:7]
	s_cbranch_execz .LBB23_1158
.LBB23_3208:
	v_mov_b32_e32 v11, 0
	v_cmp_ne_u16_sdwa s[8:9], v2, v11 src0_sel:BYTE_0 src1_sel:DWORD
	s_andn2_b64 s[4:5], s[4:5], exec
	s_and_b64 s[8:9], s[8:9], exec
	s_or_b64 s[4:5], s[4:5], s[8:9]
	s_or_b64 exec, exec, s[6:7]
	s_and_saveexec_b64 s[6:7], s[4:5]
	s_cbranch_execnz .LBB23_1159
	s_branch .LBB23_1160
.LBB23_3209:
	s_movk_i32 s4, 0x80
	v_cmp_eq_u16_sdwa s[12:13], v11, s4 src0_sel:BYTE_0 src1_sel:DWORD
	s_mov_b64 s[4:5], -1
                                        ; implicit-def: $sgpr10
	s_and_saveexec_b64 s[8:9], s[12:13]
; %bb.3210:
	s_mov_b32 s10, 0x7f800001
	s_xor_b64 s[4:5], exec, -1
; %bb.3211:
	s_or_b64 exec, exec, s[8:9]
	s_and_b64 s[4:5], s[4:5], exec
	s_or_saveexec_b64 s[6:7], s[6:7]
	v_mov_b32_e32 v10, s10
	s_xor_b64 exec, exec, s[6:7]
	s_cbranch_execz .LBB23_1162
.LBB23_3212:
	v_mov_b32_e32 v10, 0
	v_cmp_ne_u16_sdwa s[8:9], v11, v10 src0_sel:BYTE_0 src1_sel:DWORD
	s_andn2_b64 s[4:5], s[4:5], exec
	s_and_b64 s[8:9], s[8:9], exec
	s_or_b64 s[4:5], s[4:5], s[8:9]
	s_or_b64 exec, exec, s[6:7]
	s_and_saveexec_b64 s[6:7], s[4:5]
	s_cbranch_execnz .LBB23_1163
	s_branch .LBB23_1164
.LBB23_3213:
	s_movk_i32 s4, 0x80
	v_cmp_eq_u16_sdwa s[12:13], v11, s4 src0_sel:BYTE_0 src1_sel:DWORD
	s_mov_b64 s[4:5], -1
                                        ; implicit-def: $sgpr10
	s_and_saveexec_b64 s[8:9], s[12:13]
; %bb.3214:
	s_mov_b32 s10, 0x7f800001
	s_xor_b64 s[4:5], exec, -1
; %bb.3215:
	s_or_b64 exec, exec, s[8:9]
	s_and_b64 s[4:5], s[4:5], exec
	s_or_saveexec_b64 s[6:7], s[6:7]
	v_mov_b32_e32 v12, s10
	s_xor_b64 exec, exec, s[6:7]
	s_cbranch_execz .LBB23_1166
.LBB23_3216:
	v_mov_b32_e32 v12, 0
	v_cmp_ne_u16_sdwa s[8:9], v11, v12 src0_sel:BYTE_0 src1_sel:DWORD
	s_andn2_b64 s[4:5], s[4:5], exec
	s_and_b64 s[8:9], s[8:9], exec
	s_or_b64 s[4:5], s[4:5], s[8:9]
	s_or_b64 exec, exec, s[6:7]
	s_and_saveexec_b64 s[6:7], s[4:5]
	s_cbranch_execnz .LBB23_1167
	s_branch .LBB23_1168
.LBB23_3217:
	s_movk_i32 s4, 0x80
	v_cmp_eq_u16_e32 vcc, s4, v11
	s_mov_b64 s[4:5], -1
                                        ; implicit-def: $sgpr10
	s_and_saveexec_b64 s[8:9], vcc
; %bb.3218:
	s_mov_b32 s10, 0x7f800001
	s_xor_b64 s[4:5], exec, -1
; %bb.3219:
	s_or_b64 exec, exec, s[8:9]
	s_and_b64 s[4:5], s[4:5], exec
                                        ; implicit-def: $vgpr11
	s_or_saveexec_b64 s[6:7], s[6:7]
	v_mov_b32_e32 v10, s10
	s_xor_b64 exec, exec, s[6:7]
	s_cbranch_execz .LBB23_1170
.LBB23_3220:
	v_cmp_ne_u16_e32 vcc, 0, v11
	s_andn2_b64 s[4:5], s[4:5], exec
	s_and_b64 s[8:9], vcc, exec
	v_mov_b32_e32 v10, 0
	s_or_b64 s[4:5], s[4:5], s[8:9]
	s_or_b64 exec, exec, s[6:7]
	s_and_saveexec_b64 s[6:7], s[4:5]
	s_cbranch_execnz .LBB23_1171
	s_branch .LBB23_1172
.LBB23_3221:
	s_movk_i32 s4, 0x80
	v_cmp_eq_u16_e32 vcc, s4, v11
	s_mov_b64 s[4:5], -1
                                        ; implicit-def: $sgpr10
	s_and_saveexec_b64 s[8:9], vcc
; %bb.3222:
	s_mov_b32 s10, 0x7f800001
	s_xor_b64 s[4:5], exec, -1
; %bb.3223:
	s_or_b64 exec, exec, s[8:9]
	s_and_b64 s[4:5], s[4:5], exec
                                        ; implicit-def: $vgpr11
	s_or_saveexec_b64 s[6:7], s[6:7]
	v_mov_b32_e32 v12, s10
	s_xor_b64 exec, exec, s[6:7]
	s_cbranch_execz .LBB23_1174
.LBB23_3224:
	v_cmp_ne_u16_e32 vcc, 0, v11
	s_andn2_b64 s[4:5], s[4:5], exec
	s_and_b64 s[8:9], vcc, exec
	v_mov_b32_e32 v12, 0
	s_or_b64 s[4:5], s[4:5], s[8:9]
	s_or_b64 exec, exec, s[6:7]
	s_and_saveexec_b64 s[6:7], s[4:5]
	s_cbranch_execnz .LBB23_1175
	s_branch .LBB23_1176
.LBB23_3225:
	s_movk_i32 s4, 0x80
	v_cmp_eq_u16_sdwa s[12:13], v6, s4 src0_sel:BYTE_3 src1_sel:DWORD
	s_mov_b64 s[4:5], -1
                                        ; implicit-def: $sgpr10
	s_and_saveexec_b64 s[8:9], s[12:13]
; %bb.3226:
	s_mov_b32 s10, 0x7f800001
	s_xor_b64 s[4:5], exec, -1
; %bb.3227:
	s_or_b64 exec, exec, s[8:9]
	s_and_b64 s[4:5], s[4:5], exec
	s_or_saveexec_b64 s[6:7], s[6:7]
	v_mov_b32_e32 v10, s10
	s_xor_b64 exec, exec, s[6:7]
	s_cbranch_execz .LBB23_1178
.LBB23_3228:
	v_mov_b32_e32 v10, 0
	v_cmp_ne_u16_sdwa s[8:9], v6, v10 src0_sel:BYTE_3 src1_sel:DWORD
	s_andn2_b64 s[4:5], s[4:5], exec
	s_and_b64 s[8:9], s[8:9], exec
	s_or_b64 s[4:5], s[4:5], s[8:9]
	s_or_b64 exec, exec, s[6:7]
	s_and_saveexec_b64 s[6:7], s[4:5]
	s_cbranch_execnz .LBB23_1179
	s_branch .LBB23_1180
.LBB23_3229:
	s_movk_i32 s4, 0x80
	v_cmp_eq_u16_sdwa s[12:13], v2, s4 src0_sel:BYTE_3 src1_sel:DWORD
	s_mov_b64 s[4:5], -1
                                        ; implicit-def: $sgpr10
	s_and_saveexec_b64 s[8:9], s[12:13]
; %bb.3230:
	s_mov_b32 s10, 0x7f800001
	s_xor_b64 s[4:5], exec, -1
; %bb.3231:
	s_or_b64 exec, exec, s[8:9]
	s_and_b64 s[4:5], s[4:5], exec
	s_or_saveexec_b64 s[6:7], s[6:7]
	v_mov_b32_e32 v6, s10
	s_xor_b64 exec, exec, s[6:7]
	s_cbranch_execz .LBB23_1182
.LBB23_3232:
	v_mov_b32_e32 v6, 0
	v_cmp_ne_u16_sdwa s[8:9], v2, v6 src0_sel:BYTE_3 src1_sel:DWORD
	s_andn2_b64 s[4:5], s[4:5], exec
	s_and_b64 s[8:9], s[8:9], exec
	s_or_b64 s[4:5], s[4:5], s[8:9]
	s_or_b64 exec, exec, s[6:7]
	s_and_saveexec_b64 s[6:7], s[4:5]
	s_cbranch_execnz .LBB23_1183
	s_branch .LBB23_1184
.LBB23_3233:
	s_movk_i32 s4, 0x80
	v_cmp_eq_u16_sdwa s[12:13], v7, s4 src0_sel:BYTE_0 src1_sel:DWORD
	s_mov_b64 s[4:5], -1
                                        ; implicit-def: $sgpr10
	s_and_saveexec_b64 s[8:9], s[12:13]
; %bb.3234:
	s_mov_b32 s10, 0x7f800001
	s_xor_b64 s[4:5], exec, -1
; %bb.3235:
	s_or_b64 exec, exec, s[8:9]
	s_and_b64 s[4:5], s[4:5], exec
	s_or_saveexec_b64 s[6:7], s[6:7]
	v_mov_b32_e32 v2, s10
	s_xor_b64 exec, exec, s[6:7]
	s_cbranch_execz .LBB23_1186
.LBB23_3236:
	v_mov_b32_e32 v2, 0
	v_cmp_ne_u16_sdwa s[8:9], v7, v2 src0_sel:BYTE_0 src1_sel:DWORD
	s_andn2_b64 s[4:5], s[4:5], exec
	s_and_b64 s[8:9], s[8:9], exec
	s_or_b64 s[4:5], s[4:5], s[8:9]
	s_or_b64 exec, exec, s[6:7]
	s_and_saveexec_b64 s[6:7], s[4:5]
	s_cbranch_execnz .LBB23_1187
	s_branch .LBB23_1188
.LBB23_3237:
	s_movk_i32 s4, 0x80
	v_cmp_eq_u16_sdwa s[12:13], v3, s4 src0_sel:BYTE_0 src1_sel:DWORD
	s_mov_b64 s[4:5], -1
                                        ; implicit-def: $sgpr10
	s_and_saveexec_b64 s[8:9], s[12:13]
; %bb.3238:
	s_mov_b32 s10, 0x7f800001
	s_xor_b64 s[4:5], exec, -1
; %bb.3239:
	s_or_b64 exec, exec, s[8:9]
	s_and_b64 s[4:5], s[4:5], exec
	s_or_saveexec_b64 s[6:7], s[6:7]
	v_mov_b32_e32 v6, s10
	s_xor_b64 exec, exec, s[6:7]
	s_cbranch_execz .LBB23_1190
.LBB23_3240:
	v_mov_b32_e32 v6, 0
	v_cmp_ne_u16_sdwa s[8:9], v3, v6 src0_sel:BYTE_0 src1_sel:DWORD
	s_andn2_b64 s[4:5], s[4:5], exec
	s_and_b64 s[8:9], s[8:9], exec
	s_or_b64 s[4:5], s[4:5], s[8:9]
	s_or_b64 exec, exec, s[6:7]
	s_and_saveexec_b64 s[6:7], s[4:5]
	s_cbranch_execnz .LBB23_1191
	s_branch .LBB23_1192
.LBB23_3241:
	s_movk_i32 s4, 0x80
	v_cmp_eq_u16_sdwa s[12:13], v6, s4 src0_sel:BYTE_0 src1_sel:DWORD
	s_mov_b64 s[4:5], -1
                                        ; implicit-def: $sgpr10
	s_and_saveexec_b64 s[8:9], s[12:13]
; %bb.3242:
	s_mov_b32 s10, 0x7f800001
	s_xor_b64 s[4:5], exec, -1
; %bb.3243:
	s_or_b64 exec, exec, s[8:9]
	s_and_b64 s[4:5], s[4:5], exec
	s_or_saveexec_b64 s[6:7], s[6:7]
	v_mov_b32_e32 v2, s10
	s_xor_b64 exec, exec, s[6:7]
	s_cbranch_execz .LBB23_1194
.LBB23_3244:
	v_mov_b32_e32 v2, 0
	v_cmp_ne_u16_sdwa s[8:9], v6, v2 src0_sel:BYTE_0 src1_sel:DWORD
	s_andn2_b64 s[4:5], s[4:5], exec
	s_and_b64 s[8:9], s[8:9], exec
	s_or_b64 s[4:5], s[4:5], s[8:9]
	s_or_b64 exec, exec, s[6:7]
	s_and_saveexec_b64 s[6:7], s[4:5]
	s_cbranch_execnz .LBB23_1195
	s_branch .LBB23_1196
.LBB23_3245:
	s_movk_i32 s4, 0x80
	v_cmp_eq_u16_sdwa s[12:13], v6, s4 src0_sel:BYTE_0 src1_sel:DWORD
	s_mov_b64 s[4:5], -1
                                        ; implicit-def: $sgpr10
	s_and_saveexec_b64 s[8:9], s[12:13]
; %bb.3246:
	s_mov_b32 s10, 0x7f800001
	s_xor_b64 s[4:5], exec, -1
; %bb.3247:
	s_or_b64 exec, exec, s[8:9]
	s_and_b64 s[4:5], s[4:5], exec
	s_or_saveexec_b64 s[6:7], s[6:7]
	v_mov_b32_e32 v10, s10
	s_xor_b64 exec, exec, s[6:7]
	s_cbranch_execz .LBB23_1198
.LBB23_3248:
	v_mov_b32_e32 v10, 0
	v_cmp_ne_u16_sdwa s[8:9], v6, v10 src0_sel:BYTE_0 src1_sel:DWORD
	s_andn2_b64 s[4:5], s[4:5], exec
	s_and_b64 s[8:9], s[8:9], exec
	s_or_b64 s[4:5], s[4:5], s[8:9]
	s_or_b64 exec, exec, s[6:7]
	s_and_saveexec_b64 s[6:7], s[4:5]
	s_cbranch_execnz .LBB23_1199
	s_branch .LBB23_1200
.LBB23_3249:
	s_movk_i32 s4, 0x80
	v_cmp_eq_u16_e32 vcc, s4, v6
	s_mov_b64 s[4:5], -1
                                        ; implicit-def: $sgpr10
	s_and_saveexec_b64 s[8:9], vcc
; %bb.3250:
	s_mov_b32 s10, 0x7f800001
	s_xor_b64 s[4:5], exec, -1
; %bb.3251:
	s_or_b64 exec, exec, s[8:9]
	s_and_b64 s[4:5], s[4:5], exec
                                        ; implicit-def: $vgpr6
	s_or_saveexec_b64 s[6:7], s[6:7]
	v_mov_b32_e32 v2, s10
	s_xor_b64 exec, exec, s[6:7]
	s_cbranch_execz .LBB23_1202
.LBB23_3252:
	v_cmp_ne_u16_e32 vcc, 0, v6
	s_andn2_b64 s[4:5], s[4:5], exec
	s_and_b64 s[8:9], vcc, exec
	v_mov_b32_e32 v2, 0
	s_or_b64 s[4:5], s[4:5], s[8:9]
	s_or_b64 exec, exec, s[6:7]
	s_and_saveexec_b64 s[6:7], s[4:5]
	s_cbranch_execnz .LBB23_1203
	s_branch .LBB23_1204
.LBB23_3253:
	s_movk_i32 s4, 0x80
	v_cmp_eq_u16_e32 vcc, s4, v6
	s_mov_b64 s[4:5], -1
                                        ; implicit-def: $sgpr10
	s_and_saveexec_b64 s[8:9], vcc
; %bb.3254:
	s_mov_b32 s10, 0x7f800001
	s_xor_b64 s[4:5], exec, -1
; %bb.3255:
	s_or_b64 exec, exec, s[8:9]
	s_and_b64 s[4:5], s[4:5], exec
                                        ; implicit-def: $vgpr6
	s_or_saveexec_b64 s[6:7], s[6:7]
	v_mov_b32_e32 v10, s10
	s_xor_b64 exec, exec, s[6:7]
	s_cbranch_execz .LBB23_1206
.LBB23_3256:
	v_cmp_ne_u16_e32 vcc, 0, v6
	s_andn2_b64 s[4:5], s[4:5], exec
	s_and_b64 s[8:9], vcc, exec
	v_mov_b32_e32 v10, 0
	s_or_b64 s[4:5], s[4:5], s[8:9]
	s_or_b64 exec, exec, s[6:7]
	s_and_saveexec_b64 s[6:7], s[4:5]
	s_cbranch_execnz .LBB23_1207
	s_branch .LBB23_1208
.LBB23_3257:
	s_movk_i32 s4, 0x80
	v_cmp_eq_u16_sdwa s[12:13], v7, s4 src0_sel:BYTE_3 src1_sel:DWORD
	s_mov_b64 s[4:5], -1
                                        ; implicit-def: $sgpr10
	s_and_saveexec_b64 s[8:9], s[12:13]
; %bb.3258:
	s_mov_b32 s10, 0x7f800001
	s_xor_b64 s[4:5], exec, -1
; %bb.3259:
	s_or_b64 exec, exec, s[8:9]
	s_and_b64 s[4:5], s[4:5], exec
	s_or_saveexec_b64 s[6:7], s[6:7]
	v_mov_b32_e32 v2, s10
	s_xor_b64 exec, exec, s[6:7]
	s_cbranch_execz .LBB23_1210
.LBB23_3260:
	v_mov_b32_e32 v2, 0
	v_cmp_ne_u16_sdwa s[8:9], v7, v2 src0_sel:BYTE_3 src1_sel:DWORD
	s_andn2_b64 s[4:5], s[4:5], exec
	s_and_b64 s[8:9], s[8:9], exec
	s_or_b64 s[4:5], s[4:5], s[8:9]
	s_or_b64 exec, exec, s[6:7]
	s_and_saveexec_b64 s[6:7], s[4:5]
	s_cbranch_execnz .LBB23_1211
	s_branch .LBB23_1212
.LBB23_3261:
	s_movk_i32 s4, 0x80
	v_cmp_eq_u16_sdwa s[12:13], v3, s4 src0_sel:BYTE_3 src1_sel:DWORD
	s_mov_b64 s[4:5], -1
                                        ; implicit-def: $sgpr10
	s_and_saveexec_b64 s[8:9], s[12:13]
; %bb.3262:
	s_mov_b32 s10, 0x7f800001
	s_xor_b64 s[4:5], exec, -1
; %bb.3263:
	s_or_b64 exec, exec, s[8:9]
	s_and_b64 s[4:5], s[4:5], exec
	s_or_saveexec_b64 s[6:7], s[6:7]
	v_mov_b32_e32 v6, s10
	s_xor_b64 exec, exec, s[6:7]
	s_cbranch_execz .LBB23_1214
.LBB23_3264:
	v_mov_b32_e32 v6, 0
	v_cmp_ne_u16_sdwa s[8:9], v3, v6 src0_sel:BYTE_3 src1_sel:DWORD
	s_andn2_b64 s[4:5], s[4:5], exec
	s_and_b64 s[8:9], s[8:9], exec
	s_or_b64 s[4:5], s[4:5], s[8:9]
	s_or_b64 exec, exec, s[6:7]
	s_and_saveexec_b64 s[6:7], s[4:5]
	s_cbranch_execnz .LBB23_1215
	s_branch .LBB23_1216
.LBB23_3265:
	s_movk_i32 s4, 0x80
	v_cmp_eq_u16_sdwa s[12:13], v8, s4 src0_sel:BYTE_0 src1_sel:DWORD
	s_mov_b64 s[4:5], -1
                                        ; implicit-def: $sgpr10
	s_and_saveexec_b64 s[8:9], s[12:13]
; %bb.3266:
	s_mov_b32 s10, 0x7f800001
	s_xor_b64 s[4:5], exec, -1
; %bb.3267:
	s_or_b64 exec, exec, s[8:9]
	s_and_b64 s[4:5], s[4:5], exec
	s_or_saveexec_b64 s[6:7], s[6:7]
	v_mov_b32_e32 v2, s10
	s_xor_b64 exec, exec, s[6:7]
	s_cbranch_execz .LBB23_1218
.LBB23_3268:
	v_mov_b32_e32 v2, 0
	v_cmp_ne_u16_sdwa s[8:9], v8, v2 src0_sel:BYTE_0 src1_sel:DWORD
	s_andn2_b64 s[4:5], s[4:5], exec
	s_and_b64 s[8:9], s[8:9], exec
	s_or_b64 s[4:5], s[4:5], s[8:9]
	s_or_b64 exec, exec, s[6:7]
	s_and_saveexec_b64 s[6:7], s[4:5]
	s_cbranch_execnz .LBB23_1219
	s_branch .LBB23_1220
.LBB23_3269:
	s_movk_i32 s4, 0x80
	v_cmp_eq_u16_sdwa s[12:13], v4, s4 src0_sel:BYTE_0 src1_sel:DWORD
	s_mov_b64 s[4:5], -1
                                        ; implicit-def: $sgpr10
	s_and_saveexec_b64 s[8:9], s[12:13]
; %bb.3270:
	s_mov_b32 s10, 0x7f800001
	s_xor_b64 s[4:5], exec, -1
; %bb.3271:
	s_or_b64 exec, exec, s[8:9]
	s_and_b64 s[4:5], s[4:5], exec
	s_or_saveexec_b64 s[6:7], s[6:7]
	v_mov_b32_e32 v3, s10
	s_xor_b64 exec, exec, s[6:7]
	s_cbranch_execz .LBB23_1222
.LBB23_3272:
	v_mov_b32_e32 v3, 0
	v_cmp_ne_u16_sdwa s[8:9], v4, v3 src0_sel:BYTE_0 src1_sel:DWORD
	s_andn2_b64 s[4:5], s[4:5], exec
	s_and_b64 s[8:9], s[8:9], exec
	s_or_b64 s[4:5], s[4:5], s[8:9]
	s_or_b64 exec, exec, s[6:7]
	s_and_saveexec_b64 s[6:7], s[4:5]
	s_cbranch_execnz .LBB23_1223
	s_branch .LBB23_1224
.LBB23_3273:
	s_movk_i32 s4, 0x80
	v_cmp_eq_u16_sdwa s[12:13], v3, s4 src0_sel:BYTE_0 src1_sel:DWORD
	s_mov_b64 s[4:5], -1
                                        ; implicit-def: $sgpr10
	s_and_saveexec_b64 s[8:9], s[12:13]
; %bb.3274:
	s_mov_b32 s10, 0x7f800001
	s_xor_b64 s[4:5], exec, -1
; %bb.3275:
	s_or_b64 exec, exec, s[8:9]
	s_and_b64 s[4:5], s[4:5], exec
	s_or_saveexec_b64 s[6:7], s[6:7]
	v_mov_b32_e32 v2, s10
	s_xor_b64 exec, exec, s[6:7]
	s_cbranch_execz .LBB23_1226
.LBB23_3276:
	v_mov_b32_e32 v2, 0
	v_cmp_ne_u16_sdwa s[8:9], v3, v2 src0_sel:BYTE_0 src1_sel:DWORD
	s_andn2_b64 s[4:5], s[4:5], exec
	s_and_b64 s[8:9], s[8:9], exec
	s_or_b64 s[4:5], s[4:5], s[8:9]
	s_or_b64 exec, exec, s[6:7]
	s_and_saveexec_b64 s[6:7], s[4:5]
	s_cbranch_execnz .LBB23_1227
	s_branch .LBB23_1228
.LBB23_3277:
	s_movk_i32 s4, 0x80
	v_cmp_eq_u16_sdwa s[12:13], v3, s4 src0_sel:BYTE_0 src1_sel:DWORD
	s_mov_b64 s[4:5], -1
                                        ; implicit-def: $sgpr10
	s_and_saveexec_b64 s[8:9], s[12:13]
; %bb.3278:
	s_mov_b32 s10, 0x7f800001
	s_xor_b64 s[4:5], exec, -1
; %bb.3279:
	s_or_b64 exec, exec, s[8:9]
	s_and_b64 s[4:5], s[4:5], exec
	s_or_saveexec_b64 s[6:7], s[6:7]
	v_mov_b32_e32 v6, s10
	s_xor_b64 exec, exec, s[6:7]
	s_cbranch_execz .LBB23_1230
.LBB23_3280:
	v_mov_b32_e32 v6, 0
	v_cmp_ne_u16_sdwa s[8:9], v3, v6 src0_sel:BYTE_0 src1_sel:DWORD
	s_andn2_b64 s[4:5], s[4:5], exec
	s_and_b64 s[8:9], s[8:9], exec
	s_or_b64 s[4:5], s[4:5], s[8:9]
	s_or_b64 exec, exec, s[6:7]
	s_and_saveexec_b64 s[6:7], s[4:5]
	s_cbranch_execnz .LBB23_1231
	s_branch .LBB23_1232
.LBB23_3281:
	s_movk_i32 s4, 0x80
	v_cmp_eq_u16_e32 vcc, s4, v3
	s_mov_b64 s[4:5], -1
                                        ; implicit-def: $sgpr10
	s_and_saveexec_b64 s[8:9], vcc
; %bb.3282:
	s_mov_b32 s10, 0x7f800001
	s_xor_b64 s[4:5], exec, -1
; %bb.3283:
	s_or_b64 exec, exec, s[8:9]
	s_and_b64 s[4:5], s[4:5], exec
                                        ; implicit-def: $vgpr3
	s_or_saveexec_b64 s[6:7], s[6:7]
	v_mov_b32_e32 v2, s10
	s_xor_b64 exec, exec, s[6:7]
	s_cbranch_execz .LBB23_1234
.LBB23_3284:
	v_cmp_ne_u16_e32 vcc, 0, v3
	s_andn2_b64 s[4:5], s[4:5], exec
	s_and_b64 s[8:9], vcc, exec
	v_mov_b32_e32 v2, 0
	s_or_b64 s[4:5], s[4:5], s[8:9]
	s_or_b64 exec, exec, s[6:7]
	s_and_saveexec_b64 s[6:7], s[4:5]
	s_cbranch_execnz .LBB23_1235
	s_branch .LBB23_1236
.LBB23_3285:
	s_movk_i32 s4, 0x80
	v_cmp_eq_u16_e32 vcc, s4, v3
	s_mov_b64 s[4:5], -1
                                        ; implicit-def: $sgpr10
	s_and_saveexec_b64 s[8:9], vcc
; %bb.3286:
	s_mov_b32 s10, 0x7f800001
	s_xor_b64 s[4:5], exec, -1
; %bb.3287:
	s_or_b64 exec, exec, s[8:9]
	s_and_b64 s[4:5], s[4:5], exec
                                        ; implicit-def: $vgpr3
	s_or_saveexec_b64 s[6:7], s[6:7]
	v_mov_b32_e32 v6, s10
	s_xor_b64 exec, exec, s[6:7]
	s_cbranch_execz .LBB23_1238
.LBB23_3288:
	v_cmp_ne_u16_e32 vcc, 0, v3
	s_andn2_b64 s[4:5], s[4:5], exec
	s_and_b64 s[8:9], vcc, exec
	v_mov_b32_e32 v6, 0
	s_or_b64 s[4:5], s[4:5], s[8:9]
	s_or_b64 exec, exec, s[6:7]
	s_and_saveexec_b64 s[6:7], s[4:5]
	s_cbranch_execnz .LBB23_1239
	s_branch .LBB23_1240
.LBB23_3289:
	s_movk_i32 s4, 0x80
	v_cmp_eq_u16_sdwa s[12:13], v8, s4 src0_sel:BYTE_3 src1_sel:DWORD
	s_mov_b64 s[4:5], -1
                                        ; implicit-def: $sgpr10
	s_and_saveexec_b64 s[8:9], s[12:13]
; %bb.3290:
	s_mov_b32 s10, 0x7f800001
	s_xor_b64 s[4:5], exec, -1
; %bb.3291:
	s_or_b64 exec, exec, s[8:9]
	s_and_b64 s[4:5], s[4:5], exec
	s_or_saveexec_b64 s[6:7], s[6:7]
	v_mov_b32_e32 v2, s10
	s_xor_b64 exec, exec, s[6:7]
	s_cbranch_execz .LBB23_1242
.LBB23_3292:
	v_mov_b32_e32 v2, 0
	v_cmp_ne_u16_sdwa s[8:9], v8, v2 src0_sel:BYTE_3 src1_sel:DWORD
	s_andn2_b64 s[4:5], s[4:5], exec
	s_and_b64 s[8:9], s[8:9], exec
	s_or_b64 s[4:5], s[4:5], s[8:9]
	s_or_b64 exec, exec, s[6:7]
	s_and_saveexec_b64 s[6:7], s[4:5]
	s_cbranch_execnz .LBB23_1243
	s_branch .LBB23_1244
.LBB23_3293:
	s_movk_i32 s4, 0x80
	v_cmp_eq_u16_sdwa s[12:13], v4, s4 src0_sel:BYTE_3 src1_sel:DWORD
	s_mov_b64 s[4:5], -1
                                        ; implicit-def: $sgpr10
	s_and_saveexec_b64 s[8:9], s[12:13]
; %bb.3294:
	s_mov_b32 s10, 0x7f800001
	s_xor_b64 s[4:5], exec, -1
; %bb.3295:
	s_or_b64 exec, exec, s[8:9]
	s_and_b64 s[4:5], s[4:5], exec
	s_or_saveexec_b64 s[6:7], s[6:7]
	v_mov_b32_e32 v3, s10
	s_xor_b64 exec, exec, s[6:7]
	s_cbranch_execz .LBB23_1246
.LBB23_3296:
	v_mov_b32_e32 v3, 0
	v_cmp_ne_u16_sdwa s[8:9], v4, v3 src0_sel:BYTE_3 src1_sel:DWORD
	s_andn2_b64 s[4:5], s[4:5], exec
	s_and_b64 s[8:9], s[8:9], exec
	s_or_b64 s[4:5], s[4:5], s[8:9]
	s_or_b64 exec, exec, s[6:7]
	s_and_saveexec_b64 s[6:7], s[4:5]
	s_cbranch_execnz .LBB23_1247
	s_branch .LBB23_1248
.LBB23_3297:
	s_movk_i32 s4, 0x80
	v_cmp_eq_u16_sdwa s[12:13], v9, s4 src0_sel:BYTE_0 src1_sel:DWORD
	s_mov_b64 s[4:5], -1
                                        ; implicit-def: $sgpr10
	s_and_saveexec_b64 s[8:9], s[12:13]
; %bb.3298:
	s_mov_b32 s10, 0x7f800001
	s_xor_b64 s[4:5], exec, -1
; %bb.3299:
	s_or_b64 exec, exec, s[8:9]
	s_and_b64 s[4:5], s[4:5], exec
	s_or_saveexec_b64 s[6:7], s[6:7]
	v_mov_b32_e32 v2, s10
	s_xor_b64 exec, exec, s[6:7]
	s_cbranch_execz .LBB23_1250
.LBB23_3300:
	v_mov_b32_e32 v2, 0
	v_cmp_ne_u16_sdwa s[8:9], v9, v2 src0_sel:BYTE_0 src1_sel:DWORD
	s_andn2_b64 s[4:5], s[4:5], exec
	s_and_b64 s[8:9], s[8:9], exec
	s_or_b64 s[4:5], s[4:5], s[8:9]
	s_or_b64 exec, exec, s[6:7]
	s_and_saveexec_b64 s[6:7], s[4:5]
	s_cbranch_execnz .LBB23_1251
	s_branch .LBB23_1252
.LBB23_3301:
	s_movk_i32 s4, 0x80
	v_cmp_eq_u16_sdwa s[12:13], v5, s4 src0_sel:BYTE_0 src1_sel:DWORD
	s_mov_b64 s[4:5], -1
                                        ; implicit-def: $sgpr10
	s_and_saveexec_b64 s[8:9], s[12:13]
; %bb.3302:
	s_mov_b32 s10, 0x7f800001
	s_xor_b64 s[4:5], exec, -1
; %bb.3303:
	s_or_b64 exec, exec, s[8:9]
	s_and_b64 s[4:5], s[4:5], exec
	s_or_saveexec_b64 s[6:7], s[6:7]
	v_mov_b32_e32 v3, s10
	s_xor_b64 exec, exec, s[6:7]
	s_cbranch_execz .LBB23_1254
.LBB23_3304:
	v_mov_b32_e32 v3, 0
	v_cmp_ne_u16_sdwa s[8:9], v5, v3 src0_sel:BYTE_0 src1_sel:DWORD
	s_andn2_b64 s[4:5], s[4:5], exec
	s_and_b64 s[8:9], s[8:9], exec
	s_or_b64 s[4:5], s[4:5], s[8:9]
	s_or_b64 exec, exec, s[6:7]
	s_and_saveexec_b64 s[6:7], s[4:5]
	s_cbranch_execnz .LBB23_1255
	s_branch .LBB23_1256
.LBB23_3305:
	s_movk_i32 s4, 0x80
	v_cmp_eq_u16_sdwa s[12:13], v3, s4 src0_sel:BYTE_0 src1_sel:DWORD
	s_mov_b64 s[4:5], -1
                                        ; implicit-def: $sgpr10
	s_and_saveexec_b64 s[8:9], s[12:13]
; %bb.3306:
	s_mov_b32 s10, 0x7f800001
	s_xor_b64 s[4:5], exec, -1
; %bb.3307:
	s_or_b64 exec, exec, s[8:9]
	s_and_b64 s[4:5], s[4:5], exec
	s_or_saveexec_b64 s[6:7], s[6:7]
	v_mov_b32_e32 v2, s10
	s_xor_b64 exec, exec, s[6:7]
	s_cbranch_execz .LBB23_1258
.LBB23_3308:
	v_mov_b32_e32 v2, 0
	v_cmp_ne_u16_sdwa s[8:9], v3, v2 src0_sel:BYTE_0 src1_sel:DWORD
	s_andn2_b64 s[4:5], s[4:5], exec
	s_and_b64 s[8:9], s[8:9], exec
	s_or_b64 s[4:5], s[4:5], s[8:9]
	s_or_b64 exec, exec, s[6:7]
	s_and_saveexec_b64 s[6:7], s[4:5]
	s_cbranch_execnz .LBB23_1259
	s_branch .LBB23_1260
.LBB23_3309:
	s_movk_i32 s4, 0x80
	v_cmp_eq_u16_sdwa s[12:13], v3, s4 src0_sel:BYTE_0 src1_sel:DWORD
	s_mov_b64 s[4:5], -1
                                        ; implicit-def: $sgpr10
	s_and_saveexec_b64 s[8:9], s[12:13]
; %bb.3310:
	s_mov_b32 s10, 0x7f800001
	s_xor_b64 s[4:5], exec, -1
; %bb.3311:
	s_or_b64 exec, exec, s[8:9]
	s_and_b64 s[4:5], s[4:5], exec
	s_or_saveexec_b64 s[6:7], s[6:7]
	v_mov_b32_e32 v4, s10
	s_xor_b64 exec, exec, s[6:7]
	s_cbranch_execz .LBB23_1262
.LBB23_3312:
	v_mov_b32_e32 v4, 0
	v_cmp_ne_u16_sdwa s[8:9], v3, v4 src0_sel:BYTE_0 src1_sel:DWORD
	s_andn2_b64 s[4:5], s[4:5], exec
	s_and_b64 s[8:9], s[8:9], exec
	s_or_b64 s[4:5], s[4:5], s[8:9]
	s_or_b64 exec, exec, s[6:7]
	s_and_saveexec_b64 s[6:7], s[4:5]
	s_cbranch_execnz .LBB23_1263
	s_branch .LBB23_1264
.LBB23_3313:
	s_movk_i32 s4, 0x80
	v_cmp_eq_u16_e32 vcc, s4, v3
	s_mov_b64 s[4:5], -1
                                        ; implicit-def: $sgpr10
	s_and_saveexec_b64 s[8:9], vcc
; %bb.3314:
	s_mov_b32 s10, 0x7f800001
	s_xor_b64 s[4:5], exec, -1
; %bb.3315:
	s_or_b64 exec, exec, s[8:9]
	s_and_b64 s[4:5], s[4:5], exec
                                        ; implicit-def: $vgpr3
	s_or_saveexec_b64 s[6:7], s[6:7]
	v_mov_b32_e32 v2, s10
	s_xor_b64 exec, exec, s[6:7]
	s_cbranch_execz .LBB23_1266
.LBB23_3316:
	v_cmp_ne_u16_e32 vcc, 0, v3
	s_andn2_b64 s[4:5], s[4:5], exec
	s_and_b64 s[8:9], vcc, exec
	v_mov_b32_e32 v2, 0
	s_or_b64 s[4:5], s[4:5], s[8:9]
	s_or_b64 exec, exec, s[6:7]
	s_and_saveexec_b64 s[6:7], s[4:5]
	s_cbranch_execnz .LBB23_1267
	s_branch .LBB23_1268
.LBB23_3317:
	s_movk_i32 s4, 0x80
	v_cmp_eq_u16_e32 vcc, s4, v3
	s_mov_b64 s[4:5], -1
                                        ; implicit-def: $sgpr10
	s_and_saveexec_b64 s[8:9], vcc
; %bb.3318:
	s_mov_b32 s10, 0x7f800001
	s_xor_b64 s[4:5], exec, -1
; %bb.3319:
	s_or_b64 exec, exec, s[8:9]
	s_and_b64 s[4:5], s[4:5], exec
                                        ; implicit-def: $vgpr3
	s_or_saveexec_b64 s[6:7], s[6:7]
	v_mov_b32_e32 v4, s10
	s_xor_b64 exec, exec, s[6:7]
	s_cbranch_execz .LBB23_1270
.LBB23_3320:
	v_cmp_ne_u16_e32 vcc, 0, v3
	s_andn2_b64 s[4:5], s[4:5], exec
	s_and_b64 s[8:9], vcc, exec
	v_mov_b32_e32 v4, 0
	s_or_b64 s[4:5], s[4:5], s[8:9]
	s_or_b64 exec, exec, s[6:7]
	s_and_saveexec_b64 s[6:7], s[4:5]
	s_cbranch_execnz .LBB23_1271
	s_branch .LBB23_1272
.LBB23_3321:
	s_movk_i32 s4, 0x80
	v_cmp_eq_u16_sdwa s[12:13], v9, s4 src0_sel:BYTE_3 src1_sel:DWORD
	s_mov_b64 s[4:5], -1
                                        ; implicit-def: $sgpr10
	s_and_saveexec_b64 s[8:9], s[12:13]
; %bb.3322:
	s_mov_b32 s10, 0x7f800001
	s_xor_b64 s[4:5], exec, -1
; %bb.3323:
	s_or_b64 exec, exec, s[8:9]
	s_and_b64 s[4:5], s[4:5], exec
	s_or_saveexec_b64 s[6:7], s[6:7]
	v_mov_b32_e32 v2, s10
	s_xor_b64 exec, exec, s[6:7]
	s_cbranch_execz .LBB23_1274
.LBB23_3324:
	v_mov_b32_e32 v2, 0
	v_cmp_ne_u16_sdwa s[8:9], v9, v2 src0_sel:BYTE_3 src1_sel:DWORD
	s_andn2_b64 s[4:5], s[4:5], exec
	s_and_b64 s[8:9], s[8:9], exec
	s_or_b64 s[4:5], s[4:5], s[8:9]
	s_or_b64 exec, exec, s[6:7]
	s_and_saveexec_b64 s[6:7], s[4:5]
	s_cbranch_execnz .LBB23_1275
	s_branch .LBB23_1276
.LBB23_3325:
	s_movk_i32 s4, 0x80
	v_cmp_eq_u16_sdwa s[12:13], v5, s4 src0_sel:BYTE_3 src1_sel:DWORD
	s_mov_b64 s[4:5], -1
                                        ; implicit-def: $sgpr10
	s_and_saveexec_b64 s[8:9], s[12:13]
; %bb.3326:
	s_mov_b32 s10, 0x7f800001
	s_xor_b64 s[4:5], exec, -1
; %bb.3327:
	s_or_b64 exec, exec, s[8:9]
	s_and_b64 s[4:5], s[4:5], exec
	s_or_saveexec_b64 s[6:7], s[6:7]
	v_mov_b32_e32 v3, s10
	s_xor_b64 exec, exec, s[6:7]
	s_cbranch_execz .LBB23_1278
.LBB23_3328:
	v_mov_b32_e32 v3, 0
	v_cmp_ne_u16_sdwa s[8:9], v5, v3 src0_sel:BYTE_3 src1_sel:DWORD
	s_andn2_b64 s[4:5], s[4:5], exec
	s_and_b64 s[8:9], s[8:9], exec
	s_or_b64 s[4:5], s[4:5], s[8:9]
	s_or_b64 exec, exec, s[6:7]
	s_and_saveexec_b64 s[6:7], s[4:5]
	s_cbranch_execnz .LBB23_1279
	s_branch .LBB23_1280
.LBB23_3329:
	s_movk_i32 s4, 0x80
	v_cmp_eq_u16_sdwa s[12:13], v14, s4 src0_sel:BYTE_0 src1_sel:DWORD
	s_mov_b64 s[4:5], -1
                                        ; implicit-def: $sgpr10
	s_and_saveexec_b64 s[8:9], s[12:13]
; %bb.3330:
	s_mov_b32 s10, 0x7f800001
	s_xor_b64 s[4:5], exec, -1
; %bb.3331:
	s_or_b64 exec, exec, s[8:9]
	s_and_b64 s[4:5], s[4:5], exec
	s_or_saveexec_b64 s[6:7], s[6:7]
	v_mov_b32_e32 v20, s10
	s_xor_b64 exec, exec, s[6:7]
	s_cbranch_execz .LBB23_1282
.LBB23_3332:
	v_mov_b32_e32 v20, 0
	v_cmp_ne_u16_sdwa s[8:9], v14, v20 src0_sel:BYTE_0 src1_sel:DWORD
	s_andn2_b64 s[4:5], s[4:5], exec
	s_and_b64 s[8:9], s[8:9], exec
	s_or_b64 s[4:5], s[4:5], s[8:9]
	s_or_b64 exec, exec, s[6:7]
	s_and_saveexec_b64 s[6:7], s[4:5]
	s_cbranch_execnz .LBB23_1283
	s_branch .LBB23_1284
.LBB23_3333:
	s_movk_i32 s4, 0x80
	v_cmp_eq_u16_sdwa s[12:13], v10, s4 src0_sel:BYTE_0 src1_sel:DWORD
	s_mov_b64 s[4:5], -1
                                        ; implicit-def: $sgpr10
	s_and_saveexec_b64 s[8:9], s[12:13]
; %bb.3334:
	s_mov_b32 s10, 0x7f800001
	s_xor_b64 s[4:5], exec, -1
; %bb.3335:
	s_or_b64 exec, exec, s[8:9]
	s_and_b64 s[4:5], s[4:5], exec
	s_or_saveexec_b64 s[6:7], s[6:7]
	v_mov_b32_e32 v21, s10
	s_xor_b64 exec, exec, s[6:7]
	s_cbranch_execz .LBB23_1286
.LBB23_3336:
	v_mov_b32_e32 v21, 0
	v_cmp_ne_u16_sdwa s[8:9], v10, v21 src0_sel:BYTE_0 src1_sel:DWORD
	s_andn2_b64 s[4:5], s[4:5], exec
	s_and_b64 s[8:9], s[8:9], exec
	s_or_b64 s[4:5], s[4:5], s[8:9]
	s_or_b64 exec, exec, s[6:7]
	s_and_saveexec_b64 s[6:7], s[4:5]
	s_cbranch_execnz .LBB23_1287
	s_branch .LBB23_1288
.LBB23_3337:
	s_movk_i32 s4, 0x80
	v_cmp_eq_u16_sdwa s[12:13], v21, s4 src0_sel:BYTE_0 src1_sel:DWORD
	s_mov_b64 s[4:5], -1
                                        ; implicit-def: $sgpr10
	s_and_saveexec_b64 s[8:9], s[12:13]
; %bb.3338:
	s_mov_b32 s10, 0x7f800001
	s_xor_b64 s[4:5], exec, -1
; %bb.3339:
	s_or_b64 exec, exec, s[8:9]
	s_and_b64 s[4:5], s[4:5], exec
	s_or_saveexec_b64 s[6:7], s[6:7]
	v_mov_b32_e32 v20, s10
	s_xor_b64 exec, exec, s[6:7]
	s_cbranch_execz .LBB23_1290
.LBB23_3340:
	v_mov_b32_e32 v20, 0
	v_cmp_ne_u16_sdwa s[8:9], v21, v20 src0_sel:BYTE_0 src1_sel:DWORD
	s_andn2_b64 s[4:5], s[4:5], exec
	s_and_b64 s[8:9], s[8:9], exec
	s_or_b64 s[4:5], s[4:5], s[8:9]
	s_or_b64 exec, exec, s[6:7]
	s_and_saveexec_b64 s[6:7], s[4:5]
	s_cbranch_execnz .LBB23_1291
	s_branch .LBB23_1292
.LBB23_3341:
	s_movk_i32 s4, 0x80
	v_cmp_eq_u16_sdwa s[12:13], v21, s4 src0_sel:BYTE_0 src1_sel:DWORD
	s_mov_b64 s[4:5], -1
                                        ; implicit-def: $sgpr10
	s_and_saveexec_b64 s[8:9], s[12:13]
; %bb.3342:
	s_mov_b32 s10, 0x7f800001
	s_xor_b64 s[4:5], exec, -1
; %bb.3343:
	s_or_b64 exec, exec, s[8:9]
	s_and_b64 s[4:5], s[4:5], exec
	s_or_saveexec_b64 s[6:7], s[6:7]
	v_mov_b32_e32 v22, s10
	s_xor_b64 exec, exec, s[6:7]
	s_cbranch_execz .LBB23_1294
.LBB23_3344:
	v_mov_b32_e32 v22, 0
	v_cmp_ne_u16_sdwa s[8:9], v21, v22 src0_sel:BYTE_0 src1_sel:DWORD
	s_andn2_b64 s[4:5], s[4:5], exec
	s_and_b64 s[8:9], s[8:9], exec
	s_or_b64 s[4:5], s[4:5], s[8:9]
	s_or_b64 exec, exec, s[6:7]
	s_and_saveexec_b64 s[6:7], s[4:5]
	s_cbranch_execnz .LBB23_1295
	s_branch .LBB23_1296
.LBB23_3345:
	s_movk_i32 s4, 0x80
	v_cmp_eq_u16_e32 vcc, s4, v21
	s_mov_b64 s[4:5], -1
                                        ; implicit-def: $sgpr10
	s_and_saveexec_b64 s[8:9], vcc
; %bb.3346:
	s_mov_b32 s10, 0x7f800001
	s_xor_b64 s[4:5], exec, -1
; %bb.3347:
	s_or_b64 exec, exec, s[8:9]
	s_and_b64 s[4:5], s[4:5], exec
                                        ; implicit-def: $vgpr21
	s_or_saveexec_b64 s[6:7], s[6:7]
	v_mov_b32_e32 v20, s10
	s_xor_b64 exec, exec, s[6:7]
	s_cbranch_execz .LBB23_1298
.LBB23_3348:
	v_cmp_ne_u16_e32 vcc, 0, v21
	s_andn2_b64 s[4:5], s[4:5], exec
	s_and_b64 s[8:9], vcc, exec
	v_mov_b32_e32 v20, 0
	s_or_b64 s[4:5], s[4:5], s[8:9]
	s_or_b64 exec, exec, s[6:7]
	s_and_saveexec_b64 s[6:7], s[4:5]
	s_cbranch_execnz .LBB23_1299
	s_branch .LBB23_1300
.LBB23_3349:
	s_movk_i32 s4, 0x80
	v_cmp_eq_u16_e32 vcc, s4, v21
	s_mov_b64 s[4:5], -1
                                        ; implicit-def: $sgpr10
	s_and_saveexec_b64 s[8:9], vcc
; %bb.3350:
	s_mov_b32 s10, 0x7f800001
	s_xor_b64 s[4:5], exec, -1
; %bb.3351:
	s_or_b64 exec, exec, s[8:9]
	s_and_b64 s[4:5], s[4:5], exec
                                        ; implicit-def: $vgpr21
	s_or_saveexec_b64 s[6:7], s[6:7]
	v_mov_b32_e32 v22, s10
	s_xor_b64 exec, exec, s[6:7]
	s_cbranch_execz .LBB23_1302
.LBB23_3352:
	v_cmp_ne_u16_e32 vcc, 0, v21
	s_andn2_b64 s[4:5], s[4:5], exec
	s_and_b64 s[8:9], vcc, exec
	v_mov_b32_e32 v22, 0
	s_or_b64 s[4:5], s[4:5], s[8:9]
	s_or_b64 exec, exec, s[6:7]
	s_and_saveexec_b64 s[6:7], s[4:5]
	s_cbranch_execnz .LBB23_1303
	s_branch .LBB23_1304
.LBB23_3353:
	s_movk_i32 s4, 0x80
	v_cmp_eq_u16_sdwa s[12:13], v14, s4 src0_sel:BYTE_3 src1_sel:DWORD
	s_mov_b64 s[4:5], -1
                                        ; implicit-def: $sgpr10
	s_and_saveexec_b64 s[8:9], s[12:13]
; %bb.3354:
	s_mov_b32 s10, 0x7f800001
	s_xor_b64 s[4:5], exec, -1
; %bb.3355:
	s_or_b64 exec, exec, s[8:9]
	s_and_b64 s[4:5], s[4:5], exec
	s_or_saveexec_b64 s[6:7], s[6:7]
	v_mov_b32_e32 v20, s10
	s_xor_b64 exec, exec, s[6:7]
	s_cbranch_execz .LBB23_1306
.LBB23_3356:
	v_mov_b32_e32 v20, 0
	v_cmp_ne_u16_sdwa s[8:9], v14, v20 src0_sel:BYTE_3 src1_sel:DWORD
	s_andn2_b64 s[4:5], s[4:5], exec
	s_and_b64 s[8:9], s[8:9], exec
	s_or_b64 s[4:5], s[4:5], s[8:9]
	s_or_b64 exec, exec, s[6:7]
	s_and_saveexec_b64 s[6:7], s[4:5]
	s_cbranch_execnz .LBB23_1307
	s_branch .LBB23_1308
.LBB23_3357:
	s_movk_i32 s4, 0x80
	v_cmp_eq_u16_sdwa s[12:13], v10, s4 src0_sel:BYTE_3 src1_sel:DWORD
	s_mov_b64 s[4:5], -1
                                        ; implicit-def: $sgpr10
	s_and_saveexec_b64 s[8:9], s[12:13]
; %bb.3358:
	s_mov_b32 s10, 0x7f800001
	s_xor_b64 s[4:5], exec, -1
; %bb.3359:
	s_or_b64 exec, exec, s[8:9]
	s_and_b64 s[4:5], s[4:5], exec
	s_or_saveexec_b64 s[6:7], s[6:7]
	v_mov_b32_e32 v14, s10
	s_xor_b64 exec, exec, s[6:7]
	s_cbranch_execz .LBB23_1310
.LBB23_3360:
	v_mov_b32_e32 v14, 0
	v_cmp_ne_u16_sdwa s[8:9], v10, v14 src0_sel:BYTE_3 src1_sel:DWORD
	s_andn2_b64 s[4:5], s[4:5], exec
	s_and_b64 s[8:9], s[8:9], exec
	s_or_b64 s[4:5], s[4:5], s[8:9]
	s_or_b64 exec, exec, s[6:7]
	s_and_saveexec_b64 s[6:7], s[4:5]
	s_cbranch_execnz .LBB23_1311
	s_branch .LBB23_1312
.LBB23_3361:
	s_movk_i32 s4, 0x80
	v_cmp_eq_u16_sdwa s[12:13], v15, s4 src0_sel:BYTE_0 src1_sel:DWORD
	s_mov_b64 s[4:5], -1
                                        ; implicit-def: $sgpr10
	s_and_saveexec_b64 s[8:9], s[12:13]
; %bb.3362:
	s_mov_b32 s10, 0x7f800001
	s_xor_b64 s[4:5], exec, -1
; %bb.3363:
	s_or_b64 exec, exec, s[8:9]
	s_and_b64 s[4:5], s[4:5], exec
	s_or_saveexec_b64 s[6:7], s[6:7]
	v_mov_b32_e32 v10, s10
	s_xor_b64 exec, exec, s[6:7]
	s_cbranch_execz .LBB23_1314
.LBB23_3364:
	v_mov_b32_e32 v10, 0
	v_cmp_ne_u16_sdwa s[8:9], v15, v10 src0_sel:BYTE_0 src1_sel:DWORD
	s_andn2_b64 s[4:5], s[4:5], exec
	s_and_b64 s[8:9], s[8:9], exec
	s_or_b64 s[4:5], s[4:5], s[8:9]
	s_or_b64 exec, exec, s[6:7]
	s_and_saveexec_b64 s[6:7], s[4:5]
	s_cbranch_execnz .LBB23_1315
	s_branch .LBB23_1316
.LBB23_3365:
	s_movk_i32 s4, 0x80
	v_cmp_eq_u16_sdwa s[12:13], v11, s4 src0_sel:BYTE_0 src1_sel:DWORD
	s_mov_b64 s[4:5], -1
                                        ; implicit-def: $sgpr10
	s_and_saveexec_b64 s[8:9], s[12:13]
; %bb.3366:
	s_mov_b32 s10, 0x7f800001
	s_xor_b64 s[4:5], exec, -1
; %bb.3367:
	s_or_b64 exec, exec, s[8:9]
	s_and_b64 s[4:5], s[4:5], exec
	s_or_saveexec_b64 s[6:7], s[6:7]
	v_mov_b32_e32 v14, s10
	s_xor_b64 exec, exec, s[6:7]
	s_cbranch_execz .LBB23_1318
.LBB23_3368:
	v_mov_b32_e32 v14, 0
	v_cmp_ne_u16_sdwa s[8:9], v11, v14 src0_sel:BYTE_0 src1_sel:DWORD
	s_andn2_b64 s[4:5], s[4:5], exec
	s_and_b64 s[8:9], s[8:9], exec
	s_or_b64 s[4:5], s[4:5], s[8:9]
	s_or_b64 exec, exec, s[6:7]
	s_and_saveexec_b64 s[6:7], s[4:5]
	s_cbranch_execnz .LBB23_1319
	s_branch .LBB23_1320
.LBB23_3369:
	s_movk_i32 s4, 0x80
	v_cmp_eq_u16_sdwa s[12:13], v14, s4 src0_sel:BYTE_0 src1_sel:DWORD
	s_mov_b64 s[4:5], -1
                                        ; implicit-def: $sgpr10
	s_and_saveexec_b64 s[8:9], s[12:13]
; %bb.3370:
	s_mov_b32 s10, 0x7f800001
	s_xor_b64 s[4:5], exec, -1
; %bb.3371:
	s_or_b64 exec, exec, s[8:9]
	s_and_b64 s[4:5], s[4:5], exec
	s_or_saveexec_b64 s[6:7], s[6:7]
	v_mov_b32_e32 v10, s10
	s_xor_b64 exec, exec, s[6:7]
	s_cbranch_execz .LBB23_1322
.LBB23_3372:
	v_mov_b32_e32 v10, 0
	v_cmp_ne_u16_sdwa s[8:9], v14, v10 src0_sel:BYTE_0 src1_sel:DWORD
	s_andn2_b64 s[4:5], s[4:5], exec
	s_and_b64 s[8:9], s[8:9], exec
	s_or_b64 s[4:5], s[4:5], s[8:9]
	s_or_b64 exec, exec, s[6:7]
	s_and_saveexec_b64 s[6:7], s[4:5]
	s_cbranch_execnz .LBB23_1323
	s_branch .LBB23_1324
.LBB23_3373:
	s_movk_i32 s4, 0x80
	v_cmp_eq_u16_sdwa s[12:13], v14, s4 src0_sel:BYTE_0 src1_sel:DWORD
	s_mov_b64 s[4:5], -1
                                        ; implicit-def: $sgpr10
	s_and_saveexec_b64 s[8:9], s[12:13]
; %bb.3374:
	s_mov_b32 s10, 0x7f800001
	s_xor_b64 s[4:5], exec, -1
; %bb.3375:
	s_or_b64 exec, exec, s[8:9]
	s_and_b64 s[4:5], s[4:5], exec
	s_or_saveexec_b64 s[6:7], s[6:7]
	v_mov_b32_e32 v20, s10
	s_xor_b64 exec, exec, s[6:7]
	s_cbranch_execz .LBB23_1326
.LBB23_3376:
	v_mov_b32_e32 v20, 0
	v_cmp_ne_u16_sdwa s[8:9], v14, v20 src0_sel:BYTE_0 src1_sel:DWORD
	s_andn2_b64 s[4:5], s[4:5], exec
	s_and_b64 s[8:9], s[8:9], exec
	s_or_b64 s[4:5], s[4:5], s[8:9]
	s_or_b64 exec, exec, s[6:7]
	s_and_saveexec_b64 s[6:7], s[4:5]
	s_cbranch_execnz .LBB23_1327
	s_branch .LBB23_1328
.LBB23_3377:
	s_movk_i32 s4, 0x80
	v_cmp_eq_u16_e32 vcc, s4, v14
	s_mov_b64 s[4:5], -1
                                        ; implicit-def: $sgpr10
	s_and_saveexec_b64 s[8:9], vcc
; %bb.3378:
	s_mov_b32 s10, 0x7f800001
	s_xor_b64 s[4:5], exec, -1
; %bb.3379:
	s_or_b64 exec, exec, s[8:9]
	s_and_b64 s[4:5], s[4:5], exec
                                        ; implicit-def: $vgpr14
	s_or_saveexec_b64 s[6:7], s[6:7]
	v_mov_b32_e32 v10, s10
	s_xor_b64 exec, exec, s[6:7]
	s_cbranch_execz .LBB23_1330
.LBB23_3380:
	v_cmp_ne_u16_e32 vcc, 0, v14
	s_andn2_b64 s[4:5], s[4:5], exec
	s_and_b64 s[8:9], vcc, exec
	v_mov_b32_e32 v10, 0
	s_or_b64 s[4:5], s[4:5], s[8:9]
	s_or_b64 exec, exec, s[6:7]
	s_and_saveexec_b64 s[6:7], s[4:5]
	s_cbranch_execnz .LBB23_1331
	s_branch .LBB23_1332
.LBB23_3381:
	s_movk_i32 s4, 0x80
	v_cmp_eq_u16_e32 vcc, s4, v14
	s_mov_b64 s[4:5], -1
                                        ; implicit-def: $sgpr10
	s_and_saveexec_b64 s[8:9], vcc
; %bb.3382:
	s_mov_b32 s10, 0x7f800001
	s_xor_b64 s[4:5], exec, -1
; %bb.3383:
	s_or_b64 exec, exec, s[8:9]
	s_and_b64 s[4:5], s[4:5], exec
                                        ; implicit-def: $vgpr14
	s_or_saveexec_b64 s[6:7], s[6:7]
	v_mov_b32_e32 v20, s10
	s_xor_b64 exec, exec, s[6:7]
	s_cbranch_execz .LBB23_1334
.LBB23_3384:
	v_cmp_ne_u16_e32 vcc, 0, v14
	s_andn2_b64 s[4:5], s[4:5], exec
	s_and_b64 s[8:9], vcc, exec
	v_mov_b32_e32 v20, 0
	s_or_b64 s[4:5], s[4:5], s[8:9]
	s_or_b64 exec, exec, s[6:7]
	s_and_saveexec_b64 s[6:7], s[4:5]
	s_cbranch_execnz .LBB23_1335
	s_branch .LBB23_1336
.LBB23_3385:
	s_movk_i32 s4, 0x80
	v_cmp_eq_u16_sdwa s[12:13], v15, s4 src0_sel:BYTE_3 src1_sel:DWORD
	s_mov_b64 s[4:5], -1
                                        ; implicit-def: $sgpr10
	s_and_saveexec_b64 s[8:9], s[12:13]
; %bb.3386:
	s_mov_b32 s10, 0x7f800001
	s_xor_b64 s[4:5], exec, -1
; %bb.3387:
	s_or_b64 exec, exec, s[8:9]
	s_and_b64 s[4:5], s[4:5], exec
	s_or_saveexec_b64 s[6:7], s[6:7]
	v_mov_b32_e32 v10, s10
	s_xor_b64 exec, exec, s[6:7]
	s_cbranch_execz .LBB23_1338
.LBB23_3388:
	v_mov_b32_e32 v10, 0
	v_cmp_ne_u16_sdwa s[8:9], v15, v10 src0_sel:BYTE_3 src1_sel:DWORD
	s_andn2_b64 s[4:5], s[4:5], exec
	s_and_b64 s[8:9], s[8:9], exec
	s_or_b64 s[4:5], s[4:5], s[8:9]
	s_or_b64 exec, exec, s[6:7]
	s_and_saveexec_b64 s[6:7], s[4:5]
	s_cbranch_execnz .LBB23_1339
	s_branch .LBB23_1340
.LBB23_3389:
	s_movk_i32 s4, 0x80
	v_cmp_eq_u16_sdwa s[12:13], v11, s4 src0_sel:BYTE_3 src1_sel:DWORD
	s_mov_b64 s[4:5], -1
                                        ; implicit-def: $sgpr10
	s_and_saveexec_b64 s[8:9], s[12:13]
; %bb.3390:
	s_mov_b32 s10, 0x7f800001
	s_xor_b64 s[4:5], exec, -1
; %bb.3391:
	s_or_b64 exec, exec, s[8:9]
	s_and_b64 s[4:5], s[4:5], exec
	s_or_saveexec_b64 s[6:7], s[6:7]
	v_mov_b32_e32 v14, s10
	s_xor_b64 exec, exec, s[6:7]
	s_cbranch_execz .LBB23_1342
.LBB23_3392:
	v_mov_b32_e32 v14, 0
	v_cmp_ne_u16_sdwa s[8:9], v11, v14 src0_sel:BYTE_3 src1_sel:DWORD
	s_andn2_b64 s[4:5], s[4:5], exec
	s_and_b64 s[8:9], s[8:9], exec
	s_or_b64 s[4:5], s[4:5], s[8:9]
	s_or_b64 exec, exec, s[6:7]
	s_and_saveexec_b64 s[6:7], s[4:5]
	s_cbranch_execnz .LBB23_1343
	s_branch .LBB23_1344
.LBB23_3393:
	s_movk_i32 s4, 0x80
	v_cmp_eq_u16_sdwa s[12:13], v16, s4 src0_sel:BYTE_0 src1_sel:DWORD
	s_mov_b64 s[4:5], -1
                                        ; implicit-def: $sgpr10
	s_and_saveexec_b64 s[8:9], s[12:13]
; %bb.3394:
	s_mov_b32 s10, 0x7f800001
	s_xor_b64 s[4:5], exec, -1
; %bb.3395:
	s_or_b64 exec, exec, s[8:9]
	s_and_b64 s[4:5], s[4:5], exec
	s_or_saveexec_b64 s[6:7], s[6:7]
	v_mov_b32_e32 v10, s10
	s_xor_b64 exec, exec, s[6:7]
	s_cbranch_execz .LBB23_1346
.LBB23_3396:
	v_mov_b32_e32 v10, 0
	v_cmp_ne_u16_sdwa s[8:9], v16, v10 src0_sel:BYTE_0 src1_sel:DWORD
	s_andn2_b64 s[4:5], s[4:5], exec
	s_and_b64 s[8:9], s[8:9], exec
	s_or_b64 s[4:5], s[4:5], s[8:9]
	s_or_b64 exec, exec, s[6:7]
	s_and_saveexec_b64 s[6:7], s[4:5]
	s_cbranch_execnz .LBB23_1347
	s_branch .LBB23_1348
.LBB23_3397:
	s_movk_i32 s4, 0x80
	v_cmp_eq_u16_sdwa s[12:13], v12, s4 src0_sel:BYTE_0 src1_sel:DWORD
	s_mov_b64 s[4:5], -1
                                        ; implicit-def: $sgpr10
	s_and_saveexec_b64 s[8:9], s[12:13]
; %bb.3398:
	s_mov_b32 s10, 0x7f800001
	s_xor_b64 s[4:5], exec, -1
; %bb.3399:
	s_or_b64 exec, exec, s[8:9]
	s_and_b64 s[4:5], s[4:5], exec
	s_or_saveexec_b64 s[6:7], s[6:7]
	v_mov_b32_e32 v11, s10
	s_xor_b64 exec, exec, s[6:7]
	s_cbranch_execz .LBB23_1350
.LBB23_3400:
	v_mov_b32_e32 v11, 0
	v_cmp_ne_u16_sdwa s[8:9], v12, v11 src0_sel:BYTE_0 src1_sel:DWORD
	s_andn2_b64 s[4:5], s[4:5], exec
	s_and_b64 s[8:9], s[8:9], exec
	s_or_b64 s[4:5], s[4:5], s[8:9]
	s_or_b64 exec, exec, s[6:7]
	s_and_saveexec_b64 s[6:7], s[4:5]
	s_cbranch_execnz .LBB23_1351
	s_branch .LBB23_1352
.LBB23_3401:
	s_movk_i32 s4, 0x80
	v_cmp_eq_u16_sdwa s[12:13], v11, s4 src0_sel:BYTE_0 src1_sel:DWORD
	s_mov_b64 s[4:5], -1
                                        ; implicit-def: $sgpr10
	s_and_saveexec_b64 s[8:9], s[12:13]
; %bb.3402:
	s_mov_b32 s10, 0x7f800001
	s_xor_b64 s[4:5], exec, -1
; %bb.3403:
	s_or_b64 exec, exec, s[8:9]
	s_and_b64 s[4:5], s[4:5], exec
	s_or_saveexec_b64 s[6:7], s[6:7]
	v_mov_b32_e32 v10, s10
	s_xor_b64 exec, exec, s[6:7]
	s_cbranch_execz .LBB23_1354
.LBB23_3404:
	v_mov_b32_e32 v10, 0
	v_cmp_ne_u16_sdwa s[8:9], v11, v10 src0_sel:BYTE_0 src1_sel:DWORD
	s_andn2_b64 s[4:5], s[4:5], exec
	s_and_b64 s[8:9], s[8:9], exec
	s_or_b64 s[4:5], s[4:5], s[8:9]
	s_or_b64 exec, exec, s[6:7]
	s_and_saveexec_b64 s[6:7], s[4:5]
	s_cbranch_execnz .LBB23_1355
	s_branch .LBB23_1356
.LBB23_3405:
	s_movk_i32 s4, 0x80
	v_cmp_eq_u16_sdwa s[12:13], v11, s4 src0_sel:BYTE_0 src1_sel:DWORD
	s_mov_b64 s[4:5], -1
                                        ; implicit-def: $sgpr10
	s_and_saveexec_b64 s[8:9], s[12:13]
; %bb.3406:
	s_mov_b32 s10, 0x7f800001
	s_xor_b64 s[4:5], exec, -1
; %bb.3407:
	s_or_b64 exec, exec, s[8:9]
	s_and_b64 s[4:5], s[4:5], exec
	s_or_saveexec_b64 s[6:7], s[6:7]
	v_mov_b32_e32 v14, s10
	s_xor_b64 exec, exec, s[6:7]
	s_cbranch_execz .LBB23_1358
.LBB23_3408:
	v_mov_b32_e32 v14, 0
	v_cmp_ne_u16_sdwa s[8:9], v11, v14 src0_sel:BYTE_0 src1_sel:DWORD
	s_andn2_b64 s[4:5], s[4:5], exec
	s_and_b64 s[8:9], s[8:9], exec
	s_or_b64 s[4:5], s[4:5], s[8:9]
	s_or_b64 exec, exec, s[6:7]
	s_and_saveexec_b64 s[6:7], s[4:5]
	s_cbranch_execnz .LBB23_1359
	s_branch .LBB23_1360
.LBB23_3409:
	s_movk_i32 s4, 0x80
	v_cmp_eq_u16_e32 vcc, s4, v11
	s_mov_b64 s[4:5], -1
                                        ; implicit-def: $sgpr10
	s_and_saveexec_b64 s[8:9], vcc
; %bb.3410:
	s_mov_b32 s10, 0x7f800001
	s_xor_b64 s[4:5], exec, -1
; %bb.3411:
	s_or_b64 exec, exec, s[8:9]
	s_and_b64 s[4:5], s[4:5], exec
                                        ; implicit-def: $vgpr11
	s_or_saveexec_b64 s[6:7], s[6:7]
	v_mov_b32_e32 v10, s10
	s_xor_b64 exec, exec, s[6:7]
	s_cbranch_execz .LBB23_1362
.LBB23_3412:
	v_cmp_ne_u16_e32 vcc, 0, v11
	s_andn2_b64 s[4:5], s[4:5], exec
	s_and_b64 s[8:9], vcc, exec
	v_mov_b32_e32 v10, 0
	s_or_b64 s[4:5], s[4:5], s[8:9]
	s_or_b64 exec, exec, s[6:7]
	s_and_saveexec_b64 s[6:7], s[4:5]
	s_cbranch_execnz .LBB23_1363
	s_branch .LBB23_1364
.LBB23_3413:
	s_movk_i32 s4, 0x80
	v_cmp_eq_u16_e32 vcc, s4, v11
	s_mov_b64 s[4:5], -1
                                        ; implicit-def: $sgpr10
	s_and_saveexec_b64 s[8:9], vcc
; %bb.3414:
	s_mov_b32 s10, 0x7f800001
	s_xor_b64 s[4:5], exec, -1
; %bb.3415:
	s_or_b64 exec, exec, s[8:9]
	s_and_b64 s[4:5], s[4:5], exec
                                        ; implicit-def: $vgpr11
	s_or_saveexec_b64 s[6:7], s[6:7]
	v_mov_b32_e32 v14, s10
	s_xor_b64 exec, exec, s[6:7]
	s_cbranch_execz .LBB23_1366
.LBB23_3416:
	v_cmp_ne_u16_e32 vcc, 0, v11
	s_andn2_b64 s[4:5], s[4:5], exec
	s_and_b64 s[8:9], vcc, exec
	v_mov_b32_e32 v14, 0
	s_or_b64 s[4:5], s[4:5], s[8:9]
	s_or_b64 exec, exec, s[6:7]
	s_and_saveexec_b64 s[6:7], s[4:5]
	s_cbranch_execnz .LBB23_1367
	s_branch .LBB23_1368
.LBB23_3417:
	s_movk_i32 s4, 0x80
	v_cmp_eq_u16_sdwa s[12:13], v16, s4 src0_sel:BYTE_3 src1_sel:DWORD
	s_mov_b64 s[4:5], -1
                                        ; implicit-def: $sgpr10
	s_and_saveexec_b64 s[8:9], s[12:13]
; %bb.3418:
	s_mov_b32 s10, 0x7f800001
	s_xor_b64 s[4:5], exec, -1
; %bb.3419:
	s_or_b64 exec, exec, s[8:9]
	s_and_b64 s[4:5], s[4:5], exec
	s_or_saveexec_b64 s[6:7], s[6:7]
	v_mov_b32_e32 v10, s10
	s_xor_b64 exec, exec, s[6:7]
	s_cbranch_execz .LBB23_1370
.LBB23_3420:
	v_mov_b32_e32 v10, 0
	v_cmp_ne_u16_sdwa s[8:9], v16, v10 src0_sel:BYTE_3 src1_sel:DWORD
	s_andn2_b64 s[4:5], s[4:5], exec
	s_and_b64 s[8:9], s[8:9], exec
	s_or_b64 s[4:5], s[4:5], s[8:9]
	s_or_b64 exec, exec, s[6:7]
	s_and_saveexec_b64 s[6:7], s[4:5]
	s_cbranch_execnz .LBB23_1371
	s_branch .LBB23_1372
.LBB23_3421:
	s_movk_i32 s4, 0x80
	v_cmp_eq_u16_sdwa s[12:13], v12, s4 src0_sel:BYTE_3 src1_sel:DWORD
	s_mov_b64 s[4:5], -1
                                        ; implicit-def: $sgpr10
	s_and_saveexec_b64 s[8:9], s[12:13]
; %bb.3422:
	s_mov_b32 s10, 0x7f800001
	s_xor_b64 s[4:5], exec, -1
; %bb.3423:
	s_or_b64 exec, exec, s[8:9]
	s_and_b64 s[4:5], s[4:5], exec
	s_or_saveexec_b64 s[6:7], s[6:7]
	v_mov_b32_e32 v11, s10
	s_xor_b64 exec, exec, s[6:7]
	s_cbranch_execz .LBB23_1374
.LBB23_3424:
	v_mov_b32_e32 v11, 0
	v_cmp_ne_u16_sdwa s[8:9], v12, v11 src0_sel:BYTE_3 src1_sel:DWORD
	s_andn2_b64 s[4:5], s[4:5], exec
	s_and_b64 s[8:9], s[8:9], exec
	s_or_b64 s[4:5], s[4:5], s[8:9]
	s_or_b64 exec, exec, s[6:7]
	s_and_saveexec_b64 s[6:7], s[4:5]
	s_cbranch_execnz .LBB23_1375
	s_branch .LBB23_1376
.LBB23_3425:
	s_movk_i32 s4, 0x80
	v_cmp_eq_u16_sdwa s[12:13], v17, s4 src0_sel:BYTE_0 src1_sel:DWORD
	s_mov_b64 s[4:5], -1
                                        ; implicit-def: $sgpr10
	s_and_saveexec_b64 s[8:9], s[12:13]
; %bb.3426:
	s_mov_b32 s10, 0x7f800001
	s_xor_b64 s[4:5], exec, -1
; %bb.3427:
	s_or_b64 exec, exec, s[8:9]
	s_and_b64 s[4:5], s[4:5], exec
	s_or_saveexec_b64 s[6:7], s[6:7]
	v_mov_b32_e32 v10, s10
	s_xor_b64 exec, exec, s[6:7]
	s_cbranch_execz .LBB23_1378
.LBB23_3428:
	v_mov_b32_e32 v10, 0
	v_cmp_ne_u16_sdwa s[8:9], v17, v10 src0_sel:BYTE_0 src1_sel:DWORD
	s_andn2_b64 s[4:5], s[4:5], exec
	s_and_b64 s[8:9], s[8:9], exec
	s_or_b64 s[4:5], s[4:5], s[8:9]
	s_or_b64 exec, exec, s[6:7]
	s_and_saveexec_b64 s[6:7], s[4:5]
	s_cbranch_execnz .LBB23_1379
	s_branch .LBB23_1380
.LBB23_3429:
	s_movk_i32 s4, 0x80
	v_cmp_eq_u16_sdwa s[12:13], v13, s4 src0_sel:BYTE_0 src1_sel:DWORD
	s_mov_b64 s[4:5], -1
                                        ; implicit-def: $sgpr10
	s_and_saveexec_b64 s[8:9], s[12:13]
; %bb.3430:
	s_mov_b32 s10, 0x7f800001
	s_xor_b64 s[4:5], exec, -1
; %bb.3431:
	s_or_b64 exec, exec, s[8:9]
	s_and_b64 s[4:5], s[4:5], exec
	s_or_saveexec_b64 s[6:7], s[6:7]
	v_mov_b32_e32 v11, s10
	s_xor_b64 exec, exec, s[6:7]
	s_cbranch_execz .LBB23_1382
.LBB23_3432:
	v_mov_b32_e32 v11, 0
	v_cmp_ne_u16_sdwa s[8:9], v13, v11 src0_sel:BYTE_0 src1_sel:DWORD
	s_andn2_b64 s[4:5], s[4:5], exec
	s_and_b64 s[8:9], s[8:9], exec
	s_or_b64 s[4:5], s[4:5], s[8:9]
	s_or_b64 exec, exec, s[6:7]
	s_and_saveexec_b64 s[6:7], s[4:5]
	s_cbranch_execnz .LBB23_1383
	s_branch .LBB23_1384
.LBB23_3433:
	s_movk_i32 s4, 0x80
	v_cmp_eq_u16_sdwa s[12:13], v11, s4 src0_sel:BYTE_0 src1_sel:DWORD
	s_mov_b64 s[4:5], -1
                                        ; implicit-def: $sgpr10
	s_and_saveexec_b64 s[8:9], s[12:13]
; %bb.3434:
	s_mov_b32 s10, 0x7f800001
	s_xor_b64 s[4:5], exec, -1
; %bb.3435:
	s_or_b64 exec, exec, s[8:9]
	s_and_b64 s[4:5], s[4:5], exec
	s_or_saveexec_b64 s[6:7], s[6:7]
	v_mov_b32_e32 v10, s10
	s_xor_b64 exec, exec, s[6:7]
	s_cbranch_execz .LBB23_1386
.LBB23_3436:
	v_mov_b32_e32 v10, 0
	v_cmp_ne_u16_sdwa s[8:9], v11, v10 src0_sel:BYTE_0 src1_sel:DWORD
	s_andn2_b64 s[4:5], s[4:5], exec
	s_and_b64 s[8:9], s[8:9], exec
	s_or_b64 s[4:5], s[4:5], s[8:9]
	s_or_b64 exec, exec, s[6:7]
	s_and_saveexec_b64 s[6:7], s[4:5]
	s_cbranch_execnz .LBB23_1387
	s_branch .LBB23_1388
.LBB23_3437:
	s_movk_i32 s4, 0x80
	v_cmp_eq_u16_sdwa s[12:13], v11, s4 src0_sel:BYTE_0 src1_sel:DWORD
	s_mov_b64 s[4:5], -1
                                        ; implicit-def: $sgpr10
	s_and_saveexec_b64 s[8:9], s[12:13]
; %bb.3438:
	s_mov_b32 s10, 0x7f800001
	s_xor_b64 s[4:5], exec, -1
; %bb.3439:
	s_or_b64 exec, exec, s[8:9]
	s_and_b64 s[4:5], s[4:5], exec
	s_or_saveexec_b64 s[6:7], s[6:7]
	v_mov_b32_e32 v12, s10
	s_xor_b64 exec, exec, s[6:7]
	s_cbranch_execz .LBB23_1390
.LBB23_3440:
	v_mov_b32_e32 v12, 0
	v_cmp_ne_u16_sdwa s[8:9], v11, v12 src0_sel:BYTE_0 src1_sel:DWORD
	s_andn2_b64 s[4:5], s[4:5], exec
	s_and_b64 s[8:9], s[8:9], exec
	s_or_b64 s[4:5], s[4:5], s[8:9]
	s_or_b64 exec, exec, s[6:7]
	s_and_saveexec_b64 s[6:7], s[4:5]
	s_cbranch_execnz .LBB23_1391
	s_branch .LBB23_1392
.LBB23_3441:
	s_movk_i32 s4, 0x80
	v_cmp_eq_u16_e32 vcc, s4, v11
	s_mov_b64 s[4:5], -1
                                        ; implicit-def: $sgpr10
	s_and_saveexec_b64 s[8:9], vcc
; %bb.3442:
	s_mov_b32 s10, 0x7f800001
	s_xor_b64 s[4:5], exec, -1
; %bb.3443:
	s_or_b64 exec, exec, s[8:9]
	s_and_b64 s[4:5], s[4:5], exec
                                        ; implicit-def: $vgpr11
	s_or_saveexec_b64 s[6:7], s[6:7]
	v_mov_b32_e32 v10, s10
	s_xor_b64 exec, exec, s[6:7]
	s_cbranch_execz .LBB23_1394
.LBB23_3444:
	v_cmp_ne_u16_e32 vcc, 0, v11
	s_andn2_b64 s[4:5], s[4:5], exec
	s_and_b64 s[8:9], vcc, exec
	v_mov_b32_e32 v10, 0
	s_or_b64 s[4:5], s[4:5], s[8:9]
	s_or_b64 exec, exec, s[6:7]
	s_and_saveexec_b64 s[6:7], s[4:5]
	s_cbranch_execnz .LBB23_1395
	s_branch .LBB23_1396
.LBB23_3445:
	s_movk_i32 s4, 0x80
	v_cmp_eq_u16_e32 vcc, s4, v11
	s_mov_b64 s[4:5], -1
                                        ; implicit-def: $sgpr10
	s_and_saveexec_b64 s[8:9], vcc
; %bb.3446:
	s_mov_b32 s10, 0x7f800001
	s_xor_b64 s[4:5], exec, -1
; %bb.3447:
	s_or_b64 exec, exec, s[8:9]
	s_and_b64 s[4:5], s[4:5], exec
                                        ; implicit-def: $vgpr11
	s_or_saveexec_b64 s[6:7], s[6:7]
	v_mov_b32_e32 v12, s10
	s_xor_b64 exec, exec, s[6:7]
	s_cbranch_execz .LBB23_1398
.LBB23_3448:
	v_cmp_ne_u16_e32 vcc, 0, v11
	s_andn2_b64 s[4:5], s[4:5], exec
	s_and_b64 s[8:9], vcc, exec
	v_mov_b32_e32 v12, 0
	s_or_b64 s[4:5], s[4:5], s[8:9]
	s_or_b64 exec, exec, s[6:7]
	s_and_saveexec_b64 s[6:7], s[4:5]
	s_cbranch_execnz .LBB23_1399
	s_branch .LBB23_1400
.LBB23_3449:
	s_movk_i32 s4, 0x80
	v_cmp_eq_u16_sdwa s[12:13], v17, s4 src0_sel:BYTE_3 src1_sel:DWORD
	s_mov_b64 s[4:5], -1
                                        ; implicit-def: $sgpr10
	s_and_saveexec_b64 s[8:9], s[12:13]
; %bb.3450:
	s_mov_b32 s10, 0x7f800001
	s_xor_b64 s[4:5], exec, -1
; %bb.3451:
	s_or_b64 exec, exec, s[8:9]
	s_and_b64 s[4:5], s[4:5], exec
	s_or_saveexec_b64 s[6:7], s[6:7]
	v_mov_b32_e32 v10, s10
	s_xor_b64 exec, exec, s[6:7]
	s_cbranch_execz .LBB23_1402
.LBB23_3452:
	v_mov_b32_e32 v10, 0
	v_cmp_ne_u16_sdwa s[8:9], v17, v10 src0_sel:BYTE_3 src1_sel:DWORD
	s_andn2_b64 s[4:5], s[4:5], exec
	s_and_b64 s[8:9], s[8:9], exec
	s_or_b64 s[4:5], s[4:5], s[8:9]
	s_or_b64 exec, exec, s[6:7]
	s_and_saveexec_b64 s[6:7], s[4:5]
	s_cbranch_execnz .LBB23_1403
	s_branch .LBB23_1404
.LBB23_3453:
	s_movk_i32 s4, 0x80
	v_cmp_eq_u16_sdwa s[12:13], v13, s4 src0_sel:BYTE_3 src1_sel:DWORD
	s_mov_b64 s[4:5], -1
                                        ; implicit-def: $sgpr10
	s_and_saveexec_b64 s[8:9], s[12:13]
; %bb.3454:
	s_mov_b32 s10, 0x7f800001
	s_xor_b64 s[4:5], exec, -1
; %bb.3455:
	s_or_b64 exec, exec, s[8:9]
	s_and_b64 s[4:5], s[4:5], exec
	s_or_saveexec_b64 s[6:7], s[6:7]
	v_mov_b32_e32 v11, s10
	s_xor_b64 exec, exec, s[6:7]
	s_cbranch_execz .LBB23_1406
.LBB23_3456:
	v_mov_b32_e32 v11, 0
	v_cmp_ne_u16_sdwa s[8:9], v13, v11 src0_sel:BYTE_3 src1_sel:DWORD
	s_andn2_b64 s[4:5], s[4:5], exec
	s_and_b64 s[8:9], s[8:9], exec
	s_or_b64 s[4:5], s[4:5], s[8:9]
	s_or_b64 exec, exec, s[6:7]
	s_and_saveexec_b64 s[6:7], s[4:5]
	s_cbranch_execnz .LBB23_1407
	s_branch .LBB23_1408
.LBB23_3457:
	s_movk_i32 s4, 0x80
	v_cmp_eq_u16_sdwa s[12:13], v6, s4 src0_sel:BYTE_0 src1_sel:DWORD
	s_mov_b64 s[4:5], -1
                                        ; implicit-def: $sgpr10
	s_and_saveexec_b64 s[8:9], s[12:13]
; %bb.3458:
	s_mov_b32 s10, 0x7f800001
	s_xor_b64 s[4:5], exec, -1
; %bb.3459:
	s_or_b64 exec, exec, s[8:9]
	s_and_b64 s[4:5], s[4:5], exec
	s_or_saveexec_b64 s[6:7], s[6:7]
	v_mov_b32_e32 v10, s10
	s_xor_b64 exec, exec, s[6:7]
	s_cbranch_execz .LBB23_1410
.LBB23_3460:
	v_mov_b32_e32 v10, 0
	v_cmp_ne_u16_sdwa s[8:9], v6, v10 src0_sel:BYTE_0 src1_sel:DWORD
	s_andn2_b64 s[4:5], s[4:5], exec
	s_and_b64 s[8:9], s[8:9], exec
	s_or_b64 s[4:5], s[4:5], s[8:9]
	s_or_b64 exec, exec, s[6:7]
	s_and_saveexec_b64 s[6:7], s[4:5]
	s_cbranch_execnz .LBB23_1411
	s_branch .LBB23_1412
.LBB23_3461:
	s_movk_i32 s4, 0x80
	v_cmp_eq_u16_sdwa s[12:13], v2, s4 src0_sel:BYTE_0 src1_sel:DWORD
	s_mov_b64 s[4:5], -1
                                        ; implicit-def: $sgpr10
	s_and_saveexec_b64 s[8:9], s[12:13]
; %bb.3462:
	s_mov_b32 s10, 0x7f800001
	s_xor_b64 s[4:5], exec, -1
; %bb.3463:
	s_or_b64 exec, exec, s[8:9]
	s_and_b64 s[4:5], s[4:5], exec
	s_or_saveexec_b64 s[6:7], s[6:7]
	v_mov_b32_e32 v11, s10
	s_xor_b64 exec, exec, s[6:7]
	s_cbranch_execz .LBB23_1414
.LBB23_3464:
	v_mov_b32_e32 v11, 0
	v_cmp_ne_u16_sdwa s[8:9], v2, v11 src0_sel:BYTE_0 src1_sel:DWORD
	s_andn2_b64 s[4:5], s[4:5], exec
	s_and_b64 s[8:9], s[8:9], exec
	s_or_b64 s[4:5], s[4:5], s[8:9]
	s_or_b64 exec, exec, s[6:7]
	s_and_saveexec_b64 s[6:7], s[4:5]
	s_cbranch_execnz .LBB23_1415
	s_branch .LBB23_1416
.LBB23_3465:
	s_movk_i32 s4, 0x80
	v_cmp_eq_u16_sdwa s[12:13], v11, s4 src0_sel:BYTE_0 src1_sel:DWORD
	s_mov_b64 s[4:5], -1
                                        ; implicit-def: $sgpr10
	s_and_saveexec_b64 s[8:9], s[12:13]
; %bb.3466:
	s_mov_b32 s10, 0x7f800001
	s_xor_b64 s[4:5], exec, -1
; %bb.3467:
	s_or_b64 exec, exec, s[8:9]
	s_and_b64 s[4:5], s[4:5], exec
	s_or_saveexec_b64 s[6:7], s[6:7]
	v_mov_b32_e32 v10, s10
	s_xor_b64 exec, exec, s[6:7]
	s_cbranch_execz .LBB23_1418
.LBB23_3468:
	v_mov_b32_e32 v10, 0
	v_cmp_ne_u16_sdwa s[8:9], v11, v10 src0_sel:BYTE_0 src1_sel:DWORD
	s_andn2_b64 s[4:5], s[4:5], exec
	s_and_b64 s[8:9], s[8:9], exec
	s_or_b64 s[4:5], s[4:5], s[8:9]
	s_or_b64 exec, exec, s[6:7]
	s_and_saveexec_b64 s[6:7], s[4:5]
	s_cbranch_execnz .LBB23_1419
	s_branch .LBB23_1420
.LBB23_3469:
	s_movk_i32 s4, 0x80
	v_cmp_eq_u16_sdwa s[12:13], v11, s4 src0_sel:BYTE_0 src1_sel:DWORD
	s_mov_b64 s[4:5], -1
                                        ; implicit-def: $sgpr10
	s_and_saveexec_b64 s[8:9], s[12:13]
; %bb.3470:
	s_mov_b32 s10, 0x7f800001
	s_xor_b64 s[4:5], exec, -1
; %bb.3471:
	s_or_b64 exec, exec, s[8:9]
	s_and_b64 s[4:5], s[4:5], exec
	s_or_saveexec_b64 s[6:7], s[6:7]
	v_mov_b32_e32 v12, s10
	s_xor_b64 exec, exec, s[6:7]
	s_cbranch_execz .LBB23_1422
.LBB23_3472:
	v_mov_b32_e32 v12, 0
	v_cmp_ne_u16_sdwa s[8:9], v11, v12 src0_sel:BYTE_0 src1_sel:DWORD
	s_andn2_b64 s[4:5], s[4:5], exec
	s_and_b64 s[8:9], s[8:9], exec
	s_or_b64 s[4:5], s[4:5], s[8:9]
	s_or_b64 exec, exec, s[6:7]
	s_and_saveexec_b64 s[6:7], s[4:5]
	s_cbranch_execnz .LBB23_1423
	s_branch .LBB23_1424
.LBB23_3473:
	s_movk_i32 s4, 0x80
	v_cmp_eq_u16_e32 vcc, s4, v11
	s_mov_b64 s[4:5], -1
                                        ; implicit-def: $sgpr10
	s_and_saveexec_b64 s[8:9], vcc
; %bb.3474:
	s_mov_b32 s10, 0x7f800001
	s_xor_b64 s[4:5], exec, -1
; %bb.3475:
	s_or_b64 exec, exec, s[8:9]
	s_and_b64 s[4:5], s[4:5], exec
                                        ; implicit-def: $vgpr11
	s_or_saveexec_b64 s[6:7], s[6:7]
	v_mov_b32_e32 v10, s10
	s_xor_b64 exec, exec, s[6:7]
	s_cbranch_execz .LBB23_1426
.LBB23_3476:
	v_cmp_ne_u16_e32 vcc, 0, v11
	s_andn2_b64 s[4:5], s[4:5], exec
	s_and_b64 s[8:9], vcc, exec
	v_mov_b32_e32 v10, 0
	s_or_b64 s[4:5], s[4:5], s[8:9]
	s_or_b64 exec, exec, s[6:7]
	s_and_saveexec_b64 s[6:7], s[4:5]
	s_cbranch_execnz .LBB23_1427
	s_branch .LBB23_1428
.LBB23_3477:
	s_movk_i32 s4, 0x80
	v_cmp_eq_u16_e32 vcc, s4, v11
	s_mov_b64 s[4:5], -1
                                        ; implicit-def: $sgpr10
	s_and_saveexec_b64 s[8:9], vcc
; %bb.3478:
	s_mov_b32 s10, 0x7f800001
	s_xor_b64 s[4:5], exec, -1
; %bb.3479:
	s_or_b64 exec, exec, s[8:9]
	s_and_b64 s[4:5], s[4:5], exec
                                        ; implicit-def: $vgpr11
	s_or_saveexec_b64 s[6:7], s[6:7]
	v_mov_b32_e32 v12, s10
	s_xor_b64 exec, exec, s[6:7]
	s_cbranch_execz .LBB23_1430
.LBB23_3480:
	v_cmp_ne_u16_e32 vcc, 0, v11
	s_andn2_b64 s[4:5], s[4:5], exec
	s_and_b64 s[8:9], vcc, exec
	v_mov_b32_e32 v12, 0
	s_or_b64 s[4:5], s[4:5], s[8:9]
	s_or_b64 exec, exec, s[6:7]
	s_and_saveexec_b64 s[6:7], s[4:5]
	s_cbranch_execnz .LBB23_1431
	s_branch .LBB23_1432
.LBB23_3481:
	s_movk_i32 s4, 0x80
	v_cmp_eq_u16_sdwa s[12:13], v6, s4 src0_sel:BYTE_3 src1_sel:DWORD
	s_mov_b64 s[4:5], -1
                                        ; implicit-def: $sgpr10
	s_and_saveexec_b64 s[8:9], s[12:13]
; %bb.3482:
	s_mov_b32 s10, 0x7f800001
	s_xor_b64 s[4:5], exec, -1
; %bb.3483:
	s_or_b64 exec, exec, s[8:9]
	s_and_b64 s[4:5], s[4:5], exec
	s_or_saveexec_b64 s[6:7], s[6:7]
	v_mov_b32_e32 v10, s10
	s_xor_b64 exec, exec, s[6:7]
	s_cbranch_execz .LBB23_1434
.LBB23_3484:
	v_mov_b32_e32 v10, 0
	v_cmp_ne_u16_sdwa s[8:9], v6, v10 src0_sel:BYTE_3 src1_sel:DWORD
	s_andn2_b64 s[4:5], s[4:5], exec
	s_and_b64 s[8:9], s[8:9], exec
	s_or_b64 s[4:5], s[4:5], s[8:9]
	s_or_b64 exec, exec, s[6:7]
	s_and_saveexec_b64 s[6:7], s[4:5]
	s_cbranch_execnz .LBB23_1435
	s_branch .LBB23_1436
.LBB23_3485:
	s_movk_i32 s4, 0x80
	v_cmp_eq_u16_sdwa s[12:13], v2, s4 src0_sel:BYTE_3 src1_sel:DWORD
	s_mov_b64 s[4:5], -1
                                        ; implicit-def: $sgpr10
	s_and_saveexec_b64 s[8:9], s[12:13]
; %bb.3486:
	s_mov_b32 s10, 0x7f800001
	s_xor_b64 s[4:5], exec, -1
; %bb.3487:
	s_or_b64 exec, exec, s[8:9]
	s_and_b64 s[4:5], s[4:5], exec
	s_or_saveexec_b64 s[6:7], s[6:7]
	v_mov_b32_e32 v6, s10
	s_xor_b64 exec, exec, s[6:7]
	s_cbranch_execz .LBB23_1438
.LBB23_3488:
	v_mov_b32_e32 v6, 0
	v_cmp_ne_u16_sdwa s[8:9], v2, v6 src0_sel:BYTE_3 src1_sel:DWORD
	s_andn2_b64 s[4:5], s[4:5], exec
	s_and_b64 s[8:9], s[8:9], exec
	s_or_b64 s[4:5], s[4:5], s[8:9]
	s_or_b64 exec, exec, s[6:7]
	s_and_saveexec_b64 s[6:7], s[4:5]
	s_cbranch_execnz .LBB23_1439
	s_branch .LBB23_1440
.LBB23_3489:
	s_movk_i32 s4, 0x80
	v_cmp_eq_u16_sdwa s[12:13], v7, s4 src0_sel:BYTE_0 src1_sel:DWORD
	s_mov_b64 s[4:5], -1
                                        ; implicit-def: $sgpr10
	s_and_saveexec_b64 s[8:9], s[12:13]
; %bb.3490:
	s_mov_b32 s10, 0x7f800001
	s_xor_b64 s[4:5], exec, -1
; %bb.3491:
	s_or_b64 exec, exec, s[8:9]
	s_and_b64 s[4:5], s[4:5], exec
	s_or_saveexec_b64 s[6:7], s[6:7]
	v_mov_b32_e32 v2, s10
	s_xor_b64 exec, exec, s[6:7]
	s_cbranch_execz .LBB23_1442
.LBB23_3492:
	v_mov_b32_e32 v2, 0
	v_cmp_ne_u16_sdwa s[8:9], v7, v2 src0_sel:BYTE_0 src1_sel:DWORD
	s_andn2_b64 s[4:5], s[4:5], exec
	s_and_b64 s[8:9], s[8:9], exec
	s_or_b64 s[4:5], s[4:5], s[8:9]
	s_or_b64 exec, exec, s[6:7]
	s_and_saveexec_b64 s[6:7], s[4:5]
	s_cbranch_execnz .LBB23_1443
	s_branch .LBB23_1444
.LBB23_3493:
	s_movk_i32 s4, 0x80
	v_cmp_eq_u16_sdwa s[12:13], v3, s4 src0_sel:BYTE_0 src1_sel:DWORD
	s_mov_b64 s[4:5], -1
                                        ; implicit-def: $sgpr10
	s_and_saveexec_b64 s[8:9], s[12:13]
; %bb.3494:
	s_mov_b32 s10, 0x7f800001
	s_xor_b64 s[4:5], exec, -1
; %bb.3495:
	s_or_b64 exec, exec, s[8:9]
	s_and_b64 s[4:5], s[4:5], exec
	s_or_saveexec_b64 s[6:7], s[6:7]
	v_mov_b32_e32 v6, s10
	s_xor_b64 exec, exec, s[6:7]
	s_cbranch_execz .LBB23_1446
.LBB23_3496:
	v_mov_b32_e32 v6, 0
	v_cmp_ne_u16_sdwa s[8:9], v3, v6 src0_sel:BYTE_0 src1_sel:DWORD
	s_andn2_b64 s[4:5], s[4:5], exec
	s_and_b64 s[8:9], s[8:9], exec
	s_or_b64 s[4:5], s[4:5], s[8:9]
	s_or_b64 exec, exec, s[6:7]
	s_and_saveexec_b64 s[6:7], s[4:5]
	s_cbranch_execnz .LBB23_1447
	s_branch .LBB23_1448
.LBB23_3497:
	s_movk_i32 s4, 0x80
	v_cmp_eq_u16_sdwa s[12:13], v6, s4 src0_sel:BYTE_0 src1_sel:DWORD
	s_mov_b64 s[4:5], -1
                                        ; implicit-def: $sgpr10
	s_and_saveexec_b64 s[8:9], s[12:13]
; %bb.3498:
	s_mov_b32 s10, 0x7f800001
	s_xor_b64 s[4:5], exec, -1
; %bb.3499:
	s_or_b64 exec, exec, s[8:9]
	s_and_b64 s[4:5], s[4:5], exec
	s_or_saveexec_b64 s[6:7], s[6:7]
	v_mov_b32_e32 v2, s10
	s_xor_b64 exec, exec, s[6:7]
	s_cbranch_execz .LBB23_1450
.LBB23_3500:
	v_mov_b32_e32 v2, 0
	v_cmp_ne_u16_sdwa s[8:9], v6, v2 src0_sel:BYTE_0 src1_sel:DWORD
	s_andn2_b64 s[4:5], s[4:5], exec
	s_and_b64 s[8:9], s[8:9], exec
	s_or_b64 s[4:5], s[4:5], s[8:9]
	s_or_b64 exec, exec, s[6:7]
	s_and_saveexec_b64 s[6:7], s[4:5]
	s_cbranch_execnz .LBB23_1451
	s_branch .LBB23_1452
.LBB23_3501:
	s_movk_i32 s4, 0x80
	v_cmp_eq_u16_sdwa s[12:13], v6, s4 src0_sel:BYTE_0 src1_sel:DWORD
	s_mov_b64 s[4:5], -1
                                        ; implicit-def: $sgpr10
	s_and_saveexec_b64 s[8:9], s[12:13]
; %bb.3502:
	s_mov_b32 s10, 0x7f800001
	s_xor_b64 s[4:5], exec, -1
; %bb.3503:
	s_or_b64 exec, exec, s[8:9]
	s_and_b64 s[4:5], s[4:5], exec
	s_or_saveexec_b64 s[6:7], s[6:7]
	v_mov_b32_e32 v10, s10
	s_xor_b64 exec, exec, s[6:7]
	s_cbranch_execz .LBB23_1454
.LBB23_3504:
	v_mov_b32_e32 v10, 0
	v_cmp_ne_u16_sdwa s[8:9], v6, v10 src0_sel:BYTE_0 src1_sel:DWORD
	s_andn2_b64 s[4:5], s[4:5], exec
	s_and_b64 s[8:9], s[8:9], exec
	s_or_b64 s[4:5], s[4:5], s[8:9]
	s_or_b64 exec, exec, s[6:7]
	s_and_saveexec_b64 s[6:7], s[4:5]
	s_cbranch_execnz .LBB23_1455
	s_branch .LBB23_1456
.LBB23_3505:
	s_movk_i32 s4, 0x80
	v_cmp_eq_u16_e32 vcc, s4, v6
	s_mov_b64 s[4:5], -1
                                        ; implicit-def: $sgpr10
	s_and_saveexec_b64 s[8:9], vcc
; %bb.3506:
	s_mov_b32 s10, 0x7f800001
	s_xor_b64 s[4:5], exec, -1
; %bb.3507:
	s_or_b64 exec, exec, s[8:9]
	s_and_b64 s[4:5], s[4:5], exec
                                        ; implicit-def: $vgpr6
	s_or_saveexec_b64 s[6:7], s[6:7]
	v_mov_b32_e32 v2, s10
	s_xor_b64 exec, exec, s[6:7]
	s_cbranch_execz .LBB23_1458
.LBB23_3508:
	v_cmp_ne_u16_e32 vcc, 0, v6
	s_andn2_b64 s[4:5], s[4:5], exec
	s_and_b64 s[8:9], vcc, exec
	v_mov_b32_e32 v2, 0
	s_or_b64 s[4:5], s[4:5], s[8:9]
	s_or_b64 exec, exec, s[6:7]
	s_and_saveexec_b64 s[6:7], s[4:5]
	s_cbranch_execnz .LBB23_1459
	s_branch .LBB23_1460
.LBB23_3509:
	s_movk_i32 s4, 0x80
	v_cmp_eq_u16_e32 vcc, s4, v6
	s_mov_b64 s[4:5], -1
                                        ; implicit-def: $sgpr10
	s_and_saveexec_b64 s[8:9], vcc
; %bb.3510:
	s_mov_b32 s10, 0x7f800001
	s_xor_b64 s[4:5], exec, -1
; %bb.3511:
	s_or_b64 exec, exec, s[8:9]
	s_and_b64 s[4:5], s[4:5], exec
                                        ; implicit-def: $vgpr6
	s_or_saveexec_b64 s[6:7], s[6:7]
	v_mov_b32_e32 v10, s10
	s_xor_b64 exec, exec, s[6:7]
	s_cbranch_execz .LBB23_1462
.LBB23_3512:
	v_cmp_ne_u16_e32 vcc, 0, v6
	s_andn2_b64 s[4:5], s[4:5], exec
	s_and_b64 s[8:9], vcc, exec
	v_mov_b32_e32 v10, 0
	s_or_b64 s[4:5], s[4:5], s[8:9]
	s_or_b64 exec, exec, s[6:7]
	s_and_saveexec_b64 s[6:7], s[4:5]
	s_cbranch_execnz .LBB23_1463
	s_branch .LBB23_1464
.LBB23_3513:
	s_movk_i32 s4, 0x80
	v_cmp_eq_u16_sdwa s[12:13], v7, s4 src0_sel:BYTE_3 src1_sel:DWORD
	s_mov_b64 s[4:5], -1
                                        ; implicit-def: $sgpr10
	s_and_saveexec_b64 s[8:9], s[12:13]
; %bb.3514:
	s_mov_b32 s10, 0x7f800001
	s_xor_b64 s[4:5], exec, -1
; %bb.3515:
	s_or_b64 exec, exec, s[8:9]
	s_and_b64 s[4:5], s[4:5], exec
	s_or_saveexec_b64 s[6:7], s[6:7]
	v_mov_b32_e32 v2, s10
	s_xor_b64 exec, exec, s[6:7]
	s_cbranch_execz .LBB23_1466
.LBB23_3516:
	v_mov_b32_e32 v2, 0
	v_cmp_ne_u16_sdwa s[8:9], v7, v2 src0_sel:BYTE_3 src1_sel:DWORD
	s_andn2_b64 s[4:5], s[4:5], exec
	s_and_b64 s[8:9], s[8:9], exec
	s_or_b64 s[4:5], s[4:5], s[8:9]
	s_or_b64 exec, exec, s[6:7]
	s_and_saveexec_b64 s[6:7], s[4:5]
	s_cbranch_execnz .LBB23_1467
	s_branch .LBB23_1468
.LBB23_3517:
	s_movk_i32 s4, 0x80
	v_cmp_eq_u16_sdwa s[12:13], v3, s4 src0_sel:BYTE_3 src1_sel:DWORD
	s_mov_b64 s[4:5], -1
                                        ; implicit-def: $sgpr10
	s_and_saveexec_b64 s[8:9], s[12:13]
; %bb.3518:
	s_mov_b32 s10, 0x7f800001
	s_xor_b64 s[4:5], exec, -1
; %bb.3519:
	s_or_b64 exec, exec, s[8:9]
	s_and_b64 s[4:5], s[4:5], exec
	s_or_saveexec_b64 s[6:7], s[6:7]
	v_mov_b32_e32 v6, s10
	s_xor_b64 exec, exec, s[6:7]
	s_cbranch_execz .LBB23_1470
.LBB23_3520:
	v_mov_b32_e32 v6, 0
	v_cmp_ne_u16_sdwa s[8:9], v3, v6 src0_sel:BYTE_3 src1_sel:DWORD
	s_andn2_b64 s[4:5], s[4:5], exec
	s_and_b64 s[8:9], s[8:9], exec
	s_or_b64 s[4:5], s[4:5], s[8:9]
	s_or_b64 exec, exec, s[6:7]
	s_and_saveexec_b64 s[6:7], s[4:5]
	s_cbranch_execnz .LBB23_1471
	s_branch .LBB23_1472
.LBB23_3521:
	s_movk_i32 s4, 0x80
	v_cmp_eq_u16_sdwa s[12:13], v8, s4 src0_sel:BYTE_0 src1_sel:DWORD
	s_mov_b64 s[4:5], -1
                                        ; implicit-def: $sgpr10
	s_and_saveexec_b64 s[8:9], s[12:13]
; %bb.3522:
	s_mov_b32 s10, 0x7f800001
	s_xor_b64 s[4:5], exec, -1
; %bb.3523:
	s_or_b64 exec, exec, s[8:9]
	s_and_b64 s[4:5], s[4:5], exec
	s_or_saveexec_b64 s[6:7], s[6:7]
	v_mov_b32_e32 v2, s10
	s_xor_b64 exec, exec, s[6:7]
	s_cbranch_execz .LBB23_1474
.LBB23_3524:
	v_mov_b32_e32 v2, 0
	v_cmp_ne_u16_sdwa s[8:9], v8, v2 src0_sel:BYTE_0 src1_sel:DWORD
	s_andn2_b64 s[4:5], s[4:5], exec
	s_and_b64 s[8:9], s[8:9], exec
	s_or_b64 s[4:5], s[4:5], s[8:9]
	s_or_b64 exec, exec, s[6:7]
	s_and_saveexec_b64 s[6:7], s[4:5]
	s_cbranch_execnz .LBB23_1475
	s_branch .LBB23_1476
.LBB23_3525:
	s_movk_i32 s4, 0x80
	v_cmp_eq_u16_sdwa s[12:13], v4, s4 src0_sel:BYTE_0 src1_sel:DWORD
	s_mov_b64 s[4:5], -1
                                        ; implicit-def: $sgpr10
	s_and_saveexec_b64 s[8:9], s[12:13]
; %bb.3526:
	s_mov_b32 s10, 0x7f800001
	s_xor_b64 s[4:5], exec, -1
; %bb.3527:
	s_or_b64 exec, exec, s[8:9]
	s_and_b64 s[4:5], s[4:5], exec
	s_or_saveexec_b64 s[6:7], s[6:7]
	v_mov_b32_e32 v3, s10
	s_xor_b64 exec, exec, s[6:7]
	s_cbranch_execz .LBB23_1478
.LBB23_3528:
	v_mov_b32_e32 v3, 0
	v_cmp_ne_u16_sdwa s[8:9], v4, v3 src0_sel:BYTE_0 src1_sel:DWORD
	s_andn2_b64 s[4:5], s[4:5], exec
	s_and_b64 s[8:9], s[8:9], exec
	s_or_b64 s[4:5], s[4:5], s[8:9]
	s_or_b64 exec, exec, s[6:7]
	s_and_saveexec_b64 s[6:7], s[4:5]
	s_cbranch_execnz .LBB23_1479
	s_branch .LBB23_1480
.LBB23_3529:
	s_movk_i32 s4, 0x80
	v_cmp_eq_u16_sdwa s[12:13], v3, s4 src0_sel:BYTE_0 src1_sel:DWORD
	s_mov_b64 s[4:5], -1
                                        ; implicit-def: $sgpr10
	s_and_saveexec_b64 s[8:9], s[12:13]
; %bb.3530:
	s_mov_b32 s10, 0x7f800001
	s_xor_b64 s[4:5], exec, -1
; %bb.3531:
	s_or_b64 exec, exec, s[8:9]
	s_and_b64 s[4:5], s[4:5], exec
	s_or_saveexec_b64 s[6:7], s[6:7]
	v_mov_b32_e32 v2, s10
	s_xor_b64 exec, exec, s[6:7]
	s_cbranch_execz .LBB23_1482
.LBB23_3532:
	v_mov_b32_e32 v2, 0
	v_cmp_ne_u16_sdwa s[8:9], v3, v2 src0_sel:BYTE_0 src1_sel:DWORD
	s_andn2_b64 s[4:5], s[4:5], exec
	s_and_b64 s[8:9], s[8:9], exec
	s_or_b64 s[4:5], s[4:5], s[8:9]
	s_or_b64 exec, exec, s[6:7]
	s_and_saveexec_b64 s[6:7], s[4:5]
	s_cbranch_execnz .LBB23_1483
	s_branch .LBB23_1484
.LBB23_3533:
	s_movk_i32 s4, 0x80
	v_cmp_eq_u16_sdwa s[12:13], v3, s4 src0_sel:BYTE_0 src1_sel:DWORD
	s_mov_b64 s[4:5], -1
                                        ; implicit-def: $sgpr10
	s_and_saveexec_b64 s[8:9], s[12:13]
; %bb.3534:
	s_mov_b32 s10, 0x7f800001
	s_xor_b64 s[4:5], exec, -1
; %bb.3535:
	s_or_b64 exec, exec, s[8:9]
	s_and_b64 s[4:5], s[4:5], exec
	s_or_saveexec_b64 s[6:7], s[6:7]
	v_mov_b32_e32 v6, s10
	s_xor_b64 exec, exec, s[6:7]
	s_cbranch_execz .LBB23_1486
.LBB23_3536:
	v_mov_b32_e32 v6, 0
	v_cmp_ne_u16_sdwa s[8:9], v3, v6 src0_sel:BYTE_0 src1_sel:DWORD
	s_andn2_b64 s[4:5], s[4:5], exec
	s_and_b64 s[8:9], s[8:9], exec
	s_or_b64 s[4:5], s[4:5], s[8:9]
	s_or_b64 exec, exec, s[6:7]
	s_and_saveexec_b64 s[6:7], s[4:5]
	s_cbranch_execnz .LBB23_1487
	s_branch .LBB23_1488
.LBB23_3537:
	s_movk_i32 s4, 0x80
	v_cmp_eq_u16_e32 vcc, s4, v3
	s_mov_b64 s[4:5], -1
                                        ; implicit-def: $sgpr10
	s_and_saveexec_b64 s[8:9], vcc
; %bb.3538:
	s_mov_b32 s10, 0x7f800001
	s_xor_b64 s[4:5], exec, -1
; %bb.3539:
	s_or_b64 exec, exec, s[8:9]
	s_and_b64 s[4:5], s[4:5], exec
                                        ; implicit-def: $vgpr3
	s_or_saveexec_b64 s[6:7], s[6:7]
	v_mov_b32_e32 v2, s10
	s_xor_b64 exec, exec, s[6:7]
	s_cbranch_execz .LBB23_1490
.LBB23_3540:
	v_cmp_ne_u16_e32 vcc, 0, v3
	s_andn2_b64 s[4:5], s[4:5], exec
	s_and_b64 s[8:9], vcc, exec
	v_mov_b32_e32 v2, 0
	s_or_b64 s[4:5], s[4:5], s[8:9]
	s_or_b64 exec, exec, s[6:7]
	s_and_saveexec_b64 s[6:7], s[4:5]
	s_cbranch_execnz .LBB23_1491
	s_branch .LBB23_1492
.LBB23_3541:
	s_movk_i32 s4, 0x80
	v_cmp_eq_u16_e32 vcc, s4, v3
	s_mov_b64 s[4:5], -1
                                        ; implicit-def: $sgpr10
	s_and_saveexec_b64 s[8:9], vcc
; %bb.3542:
	s_mov_b32 s10, 0x7f800001
	s_xor_b64 s[4:5], exec, -1
; %bb.3543:
	s_or_b64 exec, exec, s[8:9]
	s_and_b64 s[4:5], s[4:5], exec
                                        ; implicit-def: $vgpr3
	s_or_saveexec_b64 s[6:7], s[6:7]
	v_mov_b32_e32 v6, s10
	s_xor_b64 exec, exec, s[6:7]
	s_cbranch_execz .LBB23_1494
.LBB23_3544:
	v_cmp_ne_u16_e32 vcc, 0, v3
	s_andn2_b64 s[4:5], s[4:5], exec
	s_and_b64 s[8:9], vcc, exec
	v_mov_b32_e32 v6, 0
	s_or_b64 s[4:5], s[4:5], s[8:9]
	s_or_b64 exec, exec, s[6:7]
	s_and_saveexec_b64 s[6:7], s[4:5]
	s_cbranch_execnz .LBB23_1495
	s_branch .LBB23_1496
.LBB23_3545:
	s_movk_i32 s4, 0x80
	v_cmp_eq_u16_sdwa s[12:13], v8, s4 src0_sel:BYTE_3 src1_sel:DWORD
	s_mov_b64 s[4:5], -1
                                        ; implicit-def: $sgpr10
	s_and_saveexec_b64 s[8:9], s[12:13]
; %bb.3546:
	s_mov_b32 s10, 0x7f800001
	s_xor_b64 s[4:5], exec, -1
; %bb.3547:
	s_or_b64 exec, exec, s[8:9]
	s_and_b64 s[4:5], s[4:5], exec
	s_or_saveexec_b64 s[6:7], s[6:7]
	v_mov_b32_e32 v2, s10
	s_xor_b64 exec, exec, s[6:7]
	s_cbranch_execz .LBB23_1498
.LBB23_3548:
	v_mov_b32_e32 v2, 0
	v_cmp_ne_u16_sdwa s[8:9], v8, v2 src0_sel:BYTE_3 src1_sel:DWORD
	s_andn2_b64 s[4:5], s[4:5], exec
	s_and_b64 s[8:9], s[8:9], exec
	s_or_b64 s[4:5], s[4:5], s[8:9]
	s_or_b64 exec, exec, s[6:7]
	s_and_saveexec_b64 s[6:7], s[4:5]
	s_cbranch_execnz .LBB23_1499
	s_branch .LBB23_1500
.LBB23_3549:
	s_movk_i32 s4, 0x80
	v_cmp_eq_u16_sdwa s[12:13], v4, s4 src0_sel:BYTE_3 src1_sel:DWORD
	s_mov_b64 s[4:5], -1
                                        ; implicit-def: $sgpr10
	s_and_saveexec_b64 s[8:9], s[12:13]
; %bb.3550:
	s_mov_b32 s10, 0x7f800001
	s_xor_b64 s[4:5], exec, -1
; %bb.3551:
	s_or_b64 exec, exec, s[8:9]
	s_and_b64 s[4:5], s[4:5], exec
	s_or_saveexec_b64 s[6:7], s[6:7]
	v_mov_b32_e32 v3, s10
	s_xor_b64 exec, exec, s[6:7]
	s_cbranch_execz .LBB23_1502
.LBB23_3552:
	v_mov_b32_e32 v3, 0
	v_cmp_ne_u16_sdwa s[8:9], v4, v3 src0_sel:BYTE_3 src1_sel:DWORD
	s_andn2_b64 s[4:5], s[4:5], exec
	s_and_b64 s[8:9], s[8:9], exec
	s_or_b64 s[4:5], s[4:5], s[8:9]
	s_or_b64 exec, exec, s[6:7]
	s_and_saveexec_b64 s[6:7], s[4:5]
	s_cbranch_execnz .LBB23_1503
	s_branch .LBB23_1504
.LBB23_3553:
	s_movk_i32 s4, 0x80
	v_cmp_eq_u16_sdwa s[12:13], v9, s4 src0_sel:BYTE_0 src1_sel:DWORD
	s_mov_b64 s[4:5], -1
                                        ; implicit-def: $sgpr10
	s_and_saveexec_b64 s[8:9], s[12:13]
; %bb.3554:
	s_mov_b32 s10, 0x7f800001
	s_xor_b64 s[4:5], exec, -1
; %bb.3555:
	s_or_b64 exec, exec, s[8:9]
	s_and_b64 s[4:5], s[4:5], exec
	s_or_saveexec_b64 s[6:7], s[6:7]
	v_mov_b32_e32 v2, s10
	s_xor_b64 exec, exec, s[6:7]
	s_cbranch_execz .LBB23_1506
.LBB23_3556:
	v_mov_b32_e32 v2, 0
	v_cmp_ne_u16_sdwa s[8:9], v9, v2 src0_sel:BYTE_0 src1_sel:DWORD
	s_andn2_b64 s[4:5], s[4:5], exec
	s_and_b64 s[8:9], s[8:9], exec
	s_or_b64 s[4:5], s[4:5], s[8:9]
	s_or_b64 exec, exec, s[6:7]
	s_and_saveexec_b64 s[6:7], s[4:5]
	s_cbranch_execnz .LBB23_1507
	s_branch .LBB23_1508
.LBB23_3557:
	s_movk_i32 s4, 0x80
	v_cmp_eq_u16_sdwa s[12:13], v5, s4 src0_sel:BYTE_0 src1_sel:DWORD
	s_mov_b64 s[4:5], -1
                                        ; implicit-def: $sgpr10
	s_and_saveexec_b64 s[8:9], s[12:13]
; %bb.3558:
	s_mov_b32 s10, 0x7f800001
	s_xor_b64 s[4:5], exec, -1
; %bb.3559:
	s_or_b64 exec, exec, s[8:9]
	s_and_b64 s[4:5], s[4:5], exec
	s_or_saveexec_b64 s[6:7], s[6:7]
	v_mov_b32_e32 v3, s10
	s_xor_b64 exec, exec, s[6:7]
	s_cbranch_execz .LBB23_1510
.LBB23_3560:
	v_mov_b32_e32 v3, 0
	v_cmp_ne_u16_sdwa s[8:9], v5, v3 src0_sel:BYTE_0 src1_sel:DWORD
	s_andn2_b64 s[4:5], s[4:5], exec
	s_and_b64 s[8:9], s[8:9], exec
	s_or_b64 s[4:5], s[4:5], s[8:9]
	s_or_b64 exec, exec, s[6:7]
	s_and_saveexec_b64 s[6:7], s[4:5]
	s_cbranch_execnz .LBB23_1511
	s_branch .LBB23_1512
.LBB23_3561:
	s_movk_i32 s4, 0x80
	v_cmp_eq_u16_sdwa s[12:13], v3, s4 src0_sel:BYTE_0 src1_sel:DWORD
	s_mov_b64 s[4:5], -1
                                        ; implicit-def: $sgpr10
	s_and_saveexec_b64 s[8:9], s[12:13]
; %bb.3562:
	s_mov_b32 s10, 0x7f800001
	s_xor_b64 s[4:5], exec, -1
; %bb.3563:
	s_or_b64 exec, exec, s[8:9]
	s_and_b64 s[4:5], s[4:5], exec
	s_or_saveexec_b64 s[6:7], s[6:7]
	v_mov_b32_e32 v2, s10
	s_xor_b64 exec, exec, s[6:7]
	s_cbranch_execz .LBB23_1514
.LBB23_3564:
	v_mov_b32_e32 v2, 0
	v_cmp_ne_u16_sdwa s[8:9], v3, v2 src0_sel:BYTE_0 src1_sel:DWORD
	s_andn2_b64 s[4:5], s[4:5], exec
	s_and_b64 s[8:9], s[8:9], exec
	s_or_b64 s[4:5], s[4:5], s[8:9]
	s_or_b64 exec, exec, s[6:7]
	s_and_saveexec_b64 s[6:7], s[4:5]
	s_cbranch_execnz .LBB23_1515
	s_branch .LBB23_1516
.LBB23_3565:
	s_movk_i32 s4, 0x80
	v_cmp_eq_u16_sdwa s[12:13], v3, s4 src0_sel:BYTE_0 src1_sel:DWORD
	s_mov_b64 s[4:5], -1
                                        ; implicit-def: $sgpr10
	s_and_saveexec_b64 s[8:9], s[12:13]
; %bb.3566:
	s_mov_b32 s10, 0x7f800001
	s_xor_b64 s[4:5], exec, -1
; %bb.3567:
	s_or_b64 exec, exec, s[8:9]
	s_and_b64 s[4:5], s[4:5], exec
	s_or_saveexec_b64 s[6:7], s[6:7]
	v_mov_b32_e32 v4, s10
	s_xor_b64 exec, exec, s[6:7]
	s_cbranch_execz .LBB23_1518
.LBB23_3568:
	v_mov_b32_e32 v4, 0
	v_cmp_ne_u16_sdwa s[8:9], v3, v4 src0_sel:BYTE_0 src1_sel:DWORD
	s_andn2_b64 s[4:5], s[4:5], exec
	s_and_b64 s[8:9], s[8:9], exec
	s_or_b64 s[4:5], s[4:5], s[8:9]
	s_or_b64 exec, exec, s[6:7]
	s_and_saveexec_b64 s[6:7], s[4:5]
	s_cbranch_execnz .LBB23_1519
	s_branch .LBB23_1520
.LBB23_3569:
	s_movk_i32 s4, 0x80
	v_cmp_eq_u16_e32 vcc, s4, v3
	s_mov_b64 s[4:5], -1
                                        ; implicit-def: $sgpr10
	s_and_saveexec_b64 s[8:9], vcc
; %bb.3570:
	s_mov_b32 s10, 0x7f800001
	s_xor_b64 s[4:5], exec, -1
; %bb.3571:
	s_or_b64 exec, exec, s[8:9]
	s_and_b64 s[4:5], s[4:5], exec
                                        ; implicit-def: $vgpr3
	s_or_saveexec_b64 s[6:7], s[6:7]
	v_mov_b32_e32 v2, s10
	s_xor_b64 exec, exec, s[6:7]
	s_cbranch_execz .LBB23_1522
.LBB23_3572:
	v_cmp_ne_u16_e32 vcc, 0, v3
	s_andn2_b64 s[4:5], s[4:5], exec
	s_and_b64 s[8:9], vcc, exec
	v_mov_b32_e32 v2, 0
	s_or_b64 s[4:5], s[4:5], s[8:9]
	s_or_b64 exec, exec, s[6:7]
	s_and_saveexec_b64 s[6:7], s[4:5]
	s_cbranch_execnz .LBB23_1523
	s_branch .LBB23_1524
.LBB23_3573:
	s_movk_i32 s4, 0x80
	v_cmp_eq_u16_e32 vcc, s4, v3
	s_mov_b64 s[4:5], -1
                                        ; implicit-def: $sgpr10
	s_and_saveexec_b64 s[8:9], vcc
; %bb.3574:
	s_mov_b32 s10, 0x7f800001
	s_xor_b64 s[4:5], exec, -1
; %bb.3575:
	s_or_b64 exec, exec, s[8:9]
	s_and_b64 s[4:5], s[4:5], exec
                                        ; implicit-def: $vgpr3
	s_or_saveexec_b64 s[6:7], s[6:7]
	v_mov_b32_e32 v4, s10
	s_xor_b64 exec, exec, s[6:7]
	s_cbranch_execz .LBB23_1526
.LBB23_3576:
	v_cmp_ne_u16_e32 vcc, 0, v3
	s_andn2_b64 s[4:5], s[4:5], exec
	s_and_b64 s[8:9], vcc, exec
	v_mov_b32_e32 v4, 0
	s_or_b64 s[4:5], s[4:5], s[8:9]
	s_or_b64 exec, exec, s[6:7]
	s_and_saveexec_b64 s[6:7], s[4:5]
	s_cbranch_execnz .LBB23_1527
	s_branch .LBB23_1528
.LBB23_3577:
	s_movk_i32 s4, 0x80
	v_cmp_eq_u16_sdwa s[12:13], v9, s4 src0_sel:BYTE_3 src1_sel:DWORD
	s_mov_b64 s[4:5], -1
                                        ; implicit-def: $sgpr10
	s_and_saveexec_b64 s[8:9], s[12:13]
; %bb.3578:
	s_mov_b32 s10, 0x7f800001
	s_xor_b64 s[4:5], exec, -1
; %bb.3579:
	s_or_b64 exec, exec, s[8:9]
	s_and_b64 s[4:5], s[4:5], exec
	s_or_saveexec_b64 s[6:7], s[6:7]
	v_mov_b32_e32 v2, s10
	s_xor_b64 exec, exec, s[6:7]
	s_cbranch_execz .LBB23_1530
.LBB23_3580:
	v_mov_b32_e32 v2, 0
	v_cmp_ne_u16_sdwa s[8:9], v9, v2 src0_sel:BYTE_3 src1_sel:DWORD
	s_andn2_b64 s[4:5], s[4:5], exec
	s_and_b64 s[8:9], s[8:9], exec
	s_or_b64 s[4:5], s[4:5], s[8:9]
	s_or_b64 exec, exec, s[6:7]
	s_and_saveexec_b64 s[6:7], s[4:5]
	s_cbranch_execnz .LBB23_1531
	s_branch .LBB23_1532
.LBB23_3581:
	s_movk_i32 s4, 0x80
	v_cmp_eq_u16_sdwa s[12:13], v5, s4 src0_sel:BYTE_3 src1_sel:DWORD
	s_mov_b64 s[4:5], -1
                                        ; implicit-def: $sgpr10
	s_and_saveexec_b64 s[8:9], s[12:13]
; %bb.3582:
	s_mov_b32 s10, 0x7f800001
	s_xor_b64 s[4:5], exec, -1
; %bb.3583:
	s_or_b64 exec, exec, s[8:9]
	s_and_b64 s[4:5], s[4:5], exec
	s_or_saveexec_b64 s[6:7], s[6:7]
	v_mov_b32_e32 v3, s10
	s_xor_b64 exec, exec, s[6:7]
	s_cbranch_execz .LBB23_1534
.LBB23_3584:
	v_mov_b32_e32 v3, 0
	v_cmp_ne_u16_sdwa s[8:9], v5, v3 src0_sel:BYTE_3 src1_sel:DWORD
	s_andn2_b64 s[4:5], s[4:5], exec
	s_and_b64 s[8:9], s[8:9], exec
	s_or_b64 s[4:5], s[4:5], s[8:9]
	s_or_b64 exec, exec, s[6:7]
	s_and_saveexec_b64 s[6:7], s[4:5]
	s_cbranch_execnz .LBB23_1535
	s_branch .LBB23_1536
.LBB23_3585:
	s_movk_i32 s4, 0x80
	v_cmp_eq_u16_sdwa s[12:13], v14, s4 src0_sel:BYTE_0 src1_sel:DWORD
	s_mov_b64 s[4:5], -1
                                        ; implicit-def: $sgpr10
	s_and_saveexec_b64 s[8:9], s[12:13]
; %bb.3586:
	s_mov_b32 s10, 0x7f800001
	s_xor_b64 s[4:5], exec, -1
; %bb.3587:
	s_or_b64 exec, exec, s[8:9]
	s_and_b64 s[4:5], s[4:5], exec
	s_or_saveexec_b64 s[6:7], s[6:7]
	v_mov_b32_e32 v20, s10
	s_xor_b64 exec, exec, s[6:7]
	s_cbranch_execz .LBB23_1538
.LBB23_3588:
	v_mov_b32_e32 v20, 0
	v_cmp_ne_u16_sdwa s[8:9], v14, v20 src0_sel:BYTE_0 src1_sel:DWORD
	s_andn2_b64 s[4:5], s[4:5], exec
	s_and_b64 s[8:9], s[8:9], exec
	s_or_b64 s[4:5], s[4:5], s[8:9]
	s_or_b64 exec, exec, s[6:7]
	s_and_saveexec_b64 s[6:7], s[4:5]
	s_cbranch_execnz .LBB23_1539
	s_branch .LBB23_1540
.LBB23_3589:
	s_movk_i32 s4, 0x80
	v_cmp_eq_u16_sdwa s[12:13], v10, s4 src0_sel:BYTE_0 src1_sel:DWORD
	s_mov_b64 s[4:5], -1
                                        ; implicit-def: $sgpr10
	s_and_saveexec_b64 s[8:9], s[12:13]
; %bb.3590:
	s_mov_b32 s10, 0x7f800001
	s_xor_b64 s[4:5], exec, -1
; %bb.3591:
	s_or_b64 exec, exec, s[8:9]
	s_and_b64 s[4:5], s[4:5], exec
	s_or_saveexec_b64 s[6:7], s[6:7]
	v_mov_b32_e32 v21, s10
	s_xor_b64 exec, exec, s[6:7]
	s_cbranch_execz .LBB23_1542
.LBB23_3592:
	v_mov_b32_e32 v21, 0
	v_cmp_ne_u16_sdwa s[8:9], v10, v21 src0_sel:BYTE_0 src1_sel:DWORD
	s_andn2_b64 s[4:5], s[4:5], exec
	s_and_b64 s[8:9], s[8:9], exec
	s_or_b64 s[4:5], s[4:5], s[8:9]
	s_or_b64 exec, exec, s[6:7]
	s_and_saveexec_b64 s[6:7], s[4:5]
	s_cbranch_execnz .LBB23_1543
	s_branch .LBB23_1544
.LBB23_3593:
	s_movk_i32 s4, 0x80
	v_cmp_eq_u16_sdwa s[12:13], v21, s4 src0_sel:BYTE_0 src1_sel:DWORD
	s_mov_b64 s[4:5], -1
                                        ; implicit-def: $sgpr10
	s_and_saveexec_b64 s[8:9], s[12:13]
; %bb.3594:
	s_mov_b32 s10, 0x7f800001
	s_xor_b64 s[4:5], exec, -1
; %bb.3595:
	s_or_b64 exec, exec, s[8:9]
	s_and_b64 s[4:5], s[4:5], exec
	s_or_saveexec_b64 s[6:7], s[6:7]
	v_mov_b32_e32 v20, s10
	s_xor_b64 exec, exec, s[6:7]
	s_cbranch_execz .LBB23_1546
.LBB23_3596:
	v_mov_b32_e32 v20, 0
	v_cmp_ne_u16_sdwa s[8:9], v21, v20 src0_sel:BYTE_0 src1_sel:DWORD
	s_andn2_b64 s[4:5], s[4:5], exec
	s_and_b64 s[8:9], s[8:9], exec
	s_or_b64 s[4:5], s[4:5], s[8:9]
	s_or_b64 exec, exec, s[6:7]
	s_and_saveexec_b64 s[6:7], s[4:5]
	s_cbranch_execnz .LBB23_1547
	s_branch .LBB23_1548
.LBB23_3597:
	s_movk_i32 s4, 0x80
	v_cmp_eq_u16_sdwa s[12:13], v21, s4 src0_sel:BYTE_0 src1_sel:DWORD
	s_mov_b64 s[4:5], -1
                                        ; implicit-def: $sgpr10
	s_and_saveexec_b64 s[8:9], s[12:13]
; %bb.3598:
	s_mov_b32 s10, 0x7f800001
	s_xor_b64 s[4:5], exec, -1
; %bb.3599:
	s_or_b64 exec, exec, s[8:9]
	s_and_b64 s[4:5], s[4:5], exec
	s_or_saveexec_b64 s[6:7], s[6:7]
	v_mov_b32_e32 v22, s10
	s_xor_b64 exec, exec, s[6:7]
	s_cbranch_execz .LBB23_1550
.LBB23_3600:
	v_mov_b32_e32 v22, 0
	v_cmp_ne_u16_sdwa s[8:9], v21, v22 src0_sel:BYTE_0 src1_sel:DWORD
	s_andn2_b64 s[4:5], s[4:5], exec
	s_and_b64 s[8:9], s[8:9], exec
	s_or_b64 s[4:5], s[4:5], s[8:9]
	s_or_b64 exec, exec, s[6:7]
	s_and_saveexec_b64 s[6:7], s[4:5]
	s_cbranch_execnz .LBB23_1551
	s_branch .LBB23_1552
.LBB23_3601:
	s_movk_i32 s4, 0x80
	v_cmp_eq_u16_e32 vcc, s4, v21
	s_mov_b64 s[4:5], -1
                                        ; implicit-def: $sgpr10
	s_and_saveexec_b64 s[8:9], vcc
; %bb.3602:
	s_mov_b32 s10, 0x7f800001
	s_xor_b64 s[4:5], exec, -1
; %bb.3603:
	s_or_b64 exec, exec, s[8:9]
	s_and_b64 s[4:5], s[4:5], exec
                                        ; implicit-def: $vgpr21
	s_or_saveexec_b64 s[6:7], s[6:7]
	v_mov_b32_e32 v20, s10
	s_xor_b64 exec, exec, s[6:7]
	s_cbranch_execz .LBB23_1554
.LBB23_3604:
	v_cmp_ne_u16_e32 vcc, 0, v21
	s_andn2_b64 s[4:5], s[4:5], exec
	s_and_b64 s[8:9], vcc, exec
	v_mov_b32_e32 v20, 0
	s_or_b64 s[4:5], s[4:5], s[8:9]
	s_or_b64 exec, exec, s[6:7]
	s_and_saveexec_b64 s[6:7], s[4:5]
	s_cbranch_execnz .LBB23_1555
	s_branch .LBB23_1556
.LBB23_3605:
	s_movk_i32 s4, 0x80
	v_cmp_eq_u16_e32 vcc, s4, v21
	s_mov_b64 s[4:5], -1
                                        ; implicit-def: $sgpr10
	s_and_saveexec_b64 s[8:9], vcc
; %bb.3606:
	s_mov_b32 s10, 0x7f800001
	s_xor_b64 s[4:5], exec, -1
; %bb.3607:
	s_or_b64 exec, exec, s[8:9]
	s_and_b64 s[4:5], s[4:5], exec
                                        ; implicit-def: $vgpr21
	s_or_saveexec_b64 s[6:7], s[6:7]
	v_mov_b32_e32 v22, s10
	s_xor_b64 exec, exec, s[6:7]
	s_cbranch_execz .LBB23_1558
.LBB23_3608:
	v_cmp_ne_u16_e32 vcc, 0, v21
	s_andn2_b64 s[4:5], s[4:5], exec
	s_and_b64 s[8:9], vcc, exec
	v_mov_b32_e32 v22, 0
	s_or_b64 s[4:5], s[4:5], s[8:9]
	s_or_b64 exec, exec, s[6:7]
	s_and_saveexec_b64 s[6:7], s[4:5]
	s_cbranch_execnz .LBB23_1559
	s_branch .LBB23_1560
.LBB23_3609:
	s_movk_i32 s4, 0x80
	v_cmp_eq_u16_sdwa s[12:13], v14, s4 src0_sel:BYTE_3 src1_sel:DWORD
	s_mov_b64 s[4:5], -1
                                        ; implicit-def: $sgpr10
	s_and_saveexec_b64 s[8:9], s[12:13]
; %bb.3610:
	s_mov_b32 s10, 0x7f800001
	s_xor_b64 s[4:5], exec, -1
; %bb.3611:
	s_or_b64 exec, exec, s[8:9]
	s_and_b64 s[4:5], s[4:5], exec
	s_or_saveexec_b64 s[6:7], s[6:7]
	v_mov_b32_e32 v20, s10
	s_xor_b64 exec, exec, s[6:7]
	s_cbranch_execz .LBB23_1562
.LBB23_3612:
	v_mov_b32_e32 v20, 0
	v_cmp_ne_u16_sdwa s[8:9], v14, v20 src0_sel:BYTE_3 src1_sel:DWORD
	s_andn2_b64 s[4:5], s[4:5], exec
	s_and_b64 s[8:9], s[8:9], exec
	s_or_b64 s[4:5], s[4:5], s[8:9]
	s_or_b64 exec, exec, s[6:7]
	s_and_saveexec_b64 s[6:7], s[4:5]
	s_cbranch_execnz .LBB23_1563
	s_branch .LBB23_1564
.LBB23_3613:
	s_movk_i32 s4, 0x80
	v_cmp_eq_u16_sdwa s[12:13], v10, s4 src0_sel:BYTE_3 src1_sel:DWORD
	s_mov_b64 s[4:5], -1
                                        ; implicit-def: $sgpr10
	s_and_saveexec_b64 s[8:9], s[12:13]
; %bb.3614:
	s_mov_b32 s10, 0x7f800001
	s_xor_b64 s[4:5], exec, -1
; %bb.3615:
	s_or_b64 exec, exec, s[8:9]
	s_and_b64 s[4:5], s[4:5], exec
	s_or_saveexec_b64 s[6:7], s[6:7]
	v_mov_b32_e32 v14, s10
	s_xor_b64 exec, exec, s[6:7]
	s_cbranch_execz .LBB23_1566
.LBB23_3616:
	v_mov_b32_e32 v14, 0
	v_cmp_ne_u16_sdwa s[8:9], v10, v14 src0_sel:BYTE_3 src1_sel:DWORD
	s_andn2_b64 s[4:5], s[4:5], exec
	s_and_b64 s[8:9], s[8:9], exec
	s_or_b64 s[4:5], s[4:5], s[8:9]
	s_or_b64 exec, exec, s[6:7]
	s_and_saveexec_b64 s[6:7], s[4:5]
	s_cbranch_execnz .LBB23_1567
	s_branch .LBB23_1568
.LBB23_3617:
	s_movk_i32 s4, 0x80
	v_cmp_eq_u16_sdwa s[12:13], v15, s4 src0_sel:BYTE_0 src1_sel:DWORD
	s_mov_b64 s[4:5], -1
                                        ; implicit-def: $sgpr10
	s_and_saveexec_b64 s[8:9], s[12:13]
; %bb.3618:
	s_mov_b32 s10, 0x7f800001
	s_xor_b64 s[4:5], exec, -1
; %bb.3619:
	s_or_b64 exec, exec, s[8:9]
	s_and_b64 s[4:5], s[4:5], exec
	s_or_saveexec_b64 s[6:7], s[6:7]
	v_mov_b32_e32 v10, s10
	s_xor_b64 exec, exec, s[6:7]
	s_cbranch_execz .LBB23_1570
.LBB23_3620:
	v_mov_b32_e32 v10, 0
	v_cmp_ne_u16_sdwa s[8:9], v15, v10 src0_sel:BYTE_0 src1_sel:DWORD
	s_andn2_b64 s[4:5], s[4:5], exec
	s_and_b64 s[8:9], s[8:9], exec
	s_or_b64 s[4:5], s[4:5], s[8:9]
	s_or_b64 exec, exec, s[6:7]
	s_and_saveexec_b64 s[6:7], s[4:5]
	s_cbranch_execnz .LBB23_1571
	s_branch .LBB23_1572
.LBB23_3621:
	s_movk_i32 s4, 0x80
	v_cmp_eq_u16_sdwa s[12:13], v11, s4 src0_sel:BYTE_0 src1_sel:DWORD
	s_mov_b64 s[4:5], -1
                                        ; implicit-def: $sgpr10
	s_and_saveexec_b64 s[8:9], s[12:13]
; %bb.3622:
	s_mov_b32 s10, 0x7f800001
	s_xor_b64 s[4:5], exec, -1
; %bb.3623:
	s_or_b64 exec, exec, s[8:9]
	s_and_b64 s[4:5], s[4:5], exec
	s_or_saveexec_b64 s[6:7], s[6:7]
	v_mov_b32_e32 v14, s10
	s_xor_b64 exec, exec, s[6:7]
	s_cbranch_execz .LBB23_1574
.LBB23_3624:
	v_mov_b32_e32 v14, 0
	v_cmp_ne_u16_sdwa s[8:9], v11, v14 src0_sel:BYTE_0 src1_sel:DWORD
	s_andn2_b64 s[4:5], s[4:5], exec
	s_and_b64 s[8:9], s[8:9], exec
	s_or_b64 s[4:5], s[4:5], s[8:9]
	s_or_b64 exec, exec, s[6:7]
	s_and_saveexec_b64 s[6:7], s[4:5]
	s_cbranch_execnz .LBB23_1575
	s_branch .LBB23_1576
.LBB23_3625:
	s_movk_i32 s4, 0x80
	v_cmp_eq_u16_sdwa s[12:13], v14, s4 src0_sel:BYTE_0 src1_sel:DWORD
	s_mov_b64 s[4:5], -1
                                        ; implicit-def: $sgpr10
	s_and_saveexec_b64 s[8:9], s[12:13]
; %bb.3626:
	s_mov_b32 s10, 0x7f800001
	s_xor_b64 s[4:5], exec, -1
; %bb.3627:
	s_or_b64 exec, exec, s[8:9]
	s_and_b64 s[4:5], s[4:5], exec
	s_or_saveexec_b64 s[6:7], s[6:7]
	v_mov_b32_e32 v10, s10
	s_xor_b64 exec, exec, s[6:7]
	s_cbranch_execz .LBB23_1578
.LBB23_3628:
	v_mov_b32_e32 v10, 0
	v_cmp_ne_u16_sdwa s[8:9], v14, v10 src0_sel:BYTE_0 src1_sel:DWORD
	s_andn2_b64 s[4:5], s[4:5], exec
	s_and_b64 s[8:9], s[8:9], exec
	s_or_b64 s[4:5], s[4:5], s[8:9]
	s_or_b64 exec, exec, s[6:7]
	s_and_saveexec_b64 s[6:7], s[4:5]
	s_cbranch_execnz .LBB23_1579
	s_branch .LBB23_1580
.LBB23_3629:
	s_movk_i32 s4, 0x80
	v_cmp_eq_u16_sdwa s[12:13], v14, s4 src0_sel:BYTE_0 src1_sel:DWORD
	s_mov_b64 s[4:5], -1
                                        ; implicit-def: $sgpr10
	s_and_saveexec_b64 s[8:9], s[12:13]
; %bb.3630:
	s_mov_b32 s10, 0x7f800001
	s_xor_b64 s[4:5], exec, -1
; %bb.3631:
	s_or_b64 exec, exec, s[8:9]
	s_and_b64 s[4:5], s[4:5], exec
	s_or_saveexec_b64 s[6:7], s[6:7]
	v_mov_b32_e32 v20, s10
	s_xor_b64 exec, exec, s[6:7]
	s_cbranch_execz .LBB23_1582
.LBB23_3632:
	v_mov_b32_e32 v20, 0
	v_cmp_ne_u16_sdwa s[8:9], v14, v20 src0_sel:BYTE_0 src1_sel:DWORD
	s_andn2_b64 s[4:5], s[4:5], exec
	s_and_b64 s[8:9], s[8:9], exec
	s_or_b64 s[4:5], s[4:5], s[8:9]
	s_or_b64 exec, exec, s[6:7]
	s_and_saveexec_b64 s[6:7], s[4:5]
	s_cbranch_execnz .LBB23_1583
	s_branch .LBB23_1584
.LBB23_3633:
	s_movk_i32 s4, 0x80
	v_cmp_eq_u16_e32 vcc, s4, v14
	s_mov_b64 s[4:5], -1
                                        ; implicit-def: $sgpr10
	s_and_saveexec_b64 s[8:9], vcc
; %bb.3634:
	s_mov_b32 s10, 0x7f800001
	s_xor_b64 s[4:5], exec, -1
; %bb.3635:
	s_or_b64 exec, exec, s[8:9]
	s_and_b64 s[4:5], s[4:5], exec
                                        ; implicit-def: $vgpr14
	s_or_saveexec_b64 s[6:7], s[6:7]
	v_mov_b32_e32 v10, s10
	s_xor_b64 exec, exec, s[6:7]
	s_cbranch_execz .LBB23_1586
.LBB23_3636:
	v_cmp_ne_u16_e32 vcc, 0, v14
	s_andn2_b64 s[4:5], s[4:5], exec
	s_and_b64 s[8:9], vcc, exec
	v_mov_b32_e32 v10, 0
	s_or_b64 s[4:5], s[4:5], s[8:9]
	s_or_b64 exec, exec, s[6:7]
	s_and_saveexec_b64 s[6:7], s[4:5]
	s_cbranch_execnz .LBB23_1587
	s_branch .LBB23_1588
.LBB23_3637:
	s_movk_i32 s4, 0x80
	v_cmp_eq_u16_e32 vcc, s4, v14
	s_mov_b64 s[4:5], -1
                                        ; implicit-def: $sgpr10
	s_and_saveexec_b64 s[8:9], vcc
; %bb.3638:
	s_mov_b32 s10, 0x7f800001
	s_xor_b64 s[4:5], exec, -1
; %bb.3639:
	s_or_b64 exec, exec, s[8:9]
	s_and_b64 s[4:5], s[4:5], exec
                                        ; implicit-def: $vgpr14
	s_or_saveexec_b64 s[6:7], s[6:7]
	v_mov_b32_e32 v20, s10
	s_xor_b64 exec, exec, s[6:7]
	s_cbranch_execz .LBB23_1590
.LBB23_3640:
	v_cmp_ne_u16_e32 vcc, 0, v14
	s_andn2_b64 s[4:5], s[4:5], exec
	s_and_b64 s[8:9], vcc, exec
	v_mov_b32_e32 v20, 0
	s_or_b64 s[4:5], s[4:5], s[8:9]
	s_or_b64 exec, exec, s[6:7]
	s_and_saveexec_b64 s[6:7], s[4:5]
	s_cbranch_execnz .LBB23_1591
	s_branch .LBB23_1592
.LBB23_3641:
	s_movk_i32 s4, 0x80
	v_cmp_eq_u16_sdwa s[12:13], v15, s4 src0_sel:BYTE_3 src1_sel:DWORD
	s_mov_b64 s[4:5], -1
                                        ; implicit-def: $sgpr10
	s_and_saveexec_b64 s[8:9], s[12:13]
; %bb.3642:
	s_mov_b32 s10, 0x7f800001
	s_xor_b64 s[4:5], exec, -1
; %bb.3643:
	s_or_b64 exec, exec, s[8:9]
	s_and_b64 s[4:5], s[4:5], exec
	s_or_saveexec_b64 s[6:7], s[6:7]
	v_mov_b32_e32 v10, s10
	s_xor_b64 exec, exec, s[6:7]
	s_cbranch_execz .LBB23_1594
.LBB23_3644:
	v_mov_b32_e32 v10, 0
	v_cmp_ne_u16_sdwa s[8:9], v15, v10 src0_sel:BYTE_3 src1_sel:DWORD
	s_andn2_b64 s[4:5], s[4:5], exec
	s_and_b64 s[8:9], s[8:9], exec
	s_or_b64 s[4:5], s[4:5], s[8:9]
	s_or_b64 exec, exec, s[6:7]
	s_and_saveexec_b64 s[6:7], s[4:5]
	s_cbranch_execnz .LBB23_1595
	s_branch .LBB23_1596
.LBB23_3645:
	s_movk_i32 s4, 0x80
	v_cmp_eq_u16_sdwa s[12:13], v11, s4 src0_sel:BYTE_3 src1_sel:DWORD
	s_mov_b64 s[4:5], -1
                                        ; implicit-def: $sgpr10
	s_and_saveexec_b64 s[8:9], s[12:13]
; %bb.3646:
	s_mov_b32 s10, 0x7f800001
	s_xor_b64 s[4:5], exec, -1
; %bb.3647:
	s_or_b64 exec, exec, s[8:9]
	s_and_b64 s[4:5], s[4:5], exec
	s_or_saveexec_b64 s[6:7], s[6:7]
	v_mov_b32_e32 v14, s10
	s_xor_b64 exec, exec, s[6:7]
	s_cbranch_execz .LBB23_1598
.LBB23_3648:
	v_mov_b32_e32 v14, 0
	v_cmp_ne_u16_sdwa s[8:9], v11, v14 src0_sel:BYTE_3 src1_sel:DWORD
	s_andn2_b64 s[4:5], s[4:5], exec
	s_and_b64 s[8:9], s[8:9], exec
	s_or_b64 s[4:5], s[4:5], s[8:9]
	s_or_b64 exec, exec, s[6:7]
	s_and_saveexec_b64 s[6:7], s[4:5]
	s_cbranch_execnz .LBB23_1599
	s_branch .LBB23_1600
.LBB23_3649:
	s_movk_i32 s4, 0x80
	v_cmp_eq_u16_sdwa s[12:13], v16, s4 src0_sel:BYTE_0 src1_sel:DWORD
	s_mov_b64 s[4:5], -1
                                        ; implicit-def: $sgpr10
	s_and_saveexec_b64 s[8:9], s[12:13]
; %bb.3650:
	s_mov_b32 s10, 0x7f800001
	s_xor_b64 s[4:5], exec, -1
; %bb.3651:
	s_or_b64 exec, exec, s[8:9]
	s_and_b64 s[4:5], s[4:5], exec
	s_or_saveexec_b64 s[6:7], s[6:7]
	v_mov_b32_e32 v10, s10
	s_xor_b64 exec, exec, s[6:7]
	s_cbranch_execz .LBB23_1602
.LBB23_3652:
	v_mov_b32_e32 v10, 0
	v_cmp_ne_u16_sdwa s[8:9], v16, v10 src0_sel:BYTE_0 src1_sel:DWORD
	s_andn2_b64 s[4:5], s[4:5], exec
	s_and_b64 s[8:9], s[8:9], exec
	s_or_b64 s[4:5], s[4:5], s[8:9]
	s_or_b64 exec, exec, s[6:7]
	s_and_saveexec_b64 s[6:7], s[4:5]
	s_cbranch_execnz .LBB23_1603
	s_branch .LBB23_1604
.LBB23_3653:
	s_movk_i32 s4, 0x80
	v_cmp_eq_u16_sdwa s[12:13], v12, s4 src0_sel:BYTE_0 src1_sel:DWORD
	s_mov_b64 s[4:5], -1
                                        ; implicit-def: $sgpr10
	s_and_saveexec_b64 s[8:9], s[12:13]
; %bb.3654:
	s_mov_b32 s10, 0x7f800001
	s_xor_b64 s[4:5], exec, -1
; %bb.3655:
	s_or_b64 exec, exec, s[8:9]
	s_and_b64 s[4:5], s[4:5], exec
	s_or_saveexec_b64 s[6:7], s[6:7]
	v_mov_b32_e32 v11, s10
	s_xor_b64 exec, exec, s[6:7]
	s_cbranch_execz .LBB23_1606
.LBB23_3656:
	v_mov_b32_e32 v11, 0
	v_cmp_ne_u16_sdwa s[8:9], v12, v11 src0_sel:BYTE_0 src1_sel:DWORD
	s_andn2_b64 s[4:5], s[4:5], exec
	s_and_b64 s[8:9], s[8:9], exec
	s_or_b64 s[4:5], s[4:5], s[8:9]
	s_or_b64 exec, exec, s[6:7]
	s_and_saveexec_b64 s[6:7], s[4:5]
	s_cbranch_execnz .LBB23_1607
	s_branch .LBB23_1608
.LBB23_3657:
	s_movk_i32 s4, 0x80
	v_cmp_eq_u16_sdwa s[12:13], v11, s4 src0_sel:BYTE_0 src1_sel:DWORD
	s_mov_b64 s[4:5], -1
                                        ; implicit-def: $sgpr10
	s_and_saveexec_b64 s[8:9], s[12:13]
; %bb.3658:
	s_mov_b32 s10, 0x7f800001
	s_xor_b64 s[4:5], exec, -1
; %bb.3659:
	s_or_b64 exec, exec, s[8:9]
	s_and_b64 s[4:5], s[4:5], exec
	s_or_saveexec_b64 s[6:7], s[6:7]
	v_mov_b32_e32 v10, s10
	s_xor_b64 exec, exec, s[6:7]
	s_cbranch_execz .LBB23_1610
.LBB23_3660:
	v_mov_b32_e32 v10, 0
	v_cmp_ne_u16_sdwa s[8:9], v11, v10 src0_sel:BYTE_0 src1_sel:DWORD
	s_andn2_b64 s[4:5], s[4:5], exec
	s_and_b64 s[8:9], s[8:9], exec
	s_or_b64 s[4:5], s[4:5], s[8:9]
	s_or_b64 exec, exec, s[6:7]
	s_and_saveexec_b64 s[6:7], s[4:5]
	s_cbranch_execnz .LBB23_1611
	s_branch .LBB23_1612
.LBB23_3661:
	s_movk_i32 s4, 0x80
	v_cmp_eq_u16_sdwa s[12:13], v11, s4 src0_sel:BYTE_0 src1_sel:DWORD
	s_mov_b64 s[4:5], -1
                                        ; implicit-def: $sgpr10
	s_and_saveexec_b64 s[8:9], s[12:13]
; %bb.3662:
	s_mov_b32 s10, 0x7f800001
	s_xor_b64 s[4:5], exec, -1
; %bb.3663:
	s_or_b64 exec, exec, s[8:9]
	s_and_b64 s[4:5], s[4:5], exec
	s_or_saveexec_b64 s[6:7], s[6:7]
	v_mov_b32_e32 v14, s10
	s_xor_b64 exec, exec, s[6:7]
	s_cbranch_execz .LBB23_1614
.LBB23_3664:
	v_mov_b32_e32 v14, 0
	v_cmp_ne_u16_sdwa s[8:9], v11, v14 src0_sel:BYTE_0 src1_sel:DWORD
	s_andn2_b64 s[4:5], s[4:5], exec
	s_and_b64 s[8:9], s[8:9], exec
	s_or_b64 s[4:5], s[4:5], s[8:9]
	s_or_b64 exec, exec, s[6:7]
	s_and_saveexec_b64 s[6:7], s[4:5]
	s_cbranch_execnz .LBB23_1615
	s_branch .LBB23_1616
.LBB23_3665:
	s_movk_i32 s4, 0x80
	v_cmp_eq_u16_e32 vcc, s4, v11
	s_mov_b64 s[4:5], -1
                                        ; implicit-def: $sgpr10
	s_and_saveexec_b64 s[8:9], vcc
; %bb.3666:
	s_mov_b32 s10, 0x7f800001
	s_xor_b64 s[4:5], exec, -1
; %bb.3667:
	s_or_b64 exec, exec, s[8:9]
	s_and_b64 s[4:5], s[4:5], exec
                                        ; implicit-def: $vgpr11
	s_or_saveexec_b64 s[6:7], s[6:7]
	v_mov_b32_e32 v10, s10
	s_xor_b64 exec, exec, s[6:7]
	s_cbranch_execz .LBB23_1618
.LBB23_3668:
	v_cmp_ne_u16_e32 vcc, 0, v11
	s_andn2_b64 s[4:5], s[4:5], exec
	s_and_b64 s[8:9], vcc, exec
	v_mov_b32_e32 v10, 0
	s_or_b64 s[4:5], s[4:5], s[8:9]
	s_or_b64 exec, exec, s[6:7]
	s_and_saveexec_b64 s[6:7], s[4:5]
	s_cbranch_execnz .LBB23_1619
	s_branch .LBB23_1620
.LBB23_3669:
	s_movk_i32 s4, 0x80
	v_cmp_eq_u16_e32 vcc, s4, v11
	s_mov_b64 s[4:5], -1
                                        ; implicit-def: $sgpr10
	s_and_saveexec_b64 s[8:9], vcc
; %bb.3670:
	s_mov_b32 s10, 0x7f800001
	s_xor_b64 s[4:5], exec, -1
; %bb.3671:
	s_or_b64 exec, exec, s[8:9]
	s_and_b64 s[4:5], s[4:5], exec
                                        ; implicit-def: $vgpr11
	s_or_saveexec_b64 s[6:7], s[6:7]
	v_mov_b32_e32 v14, s10
	s_xor_b64 exec, exec, s[6:7]
	s_cbranch_execz .LBB23_1622
.LBB23_3672:
	v_cmp_ne_u16_e32 vcc, 0, v11
	s_andn2_b64 s[4:5], s[4:5], exec
	s_and_b64 s[8:9], vcc, exec
	v_mov_b32_e32 v14, 0
	s_or_b64 s[4:5], s[4:5], s[8:9]
	s_or_b64 exec, exec, s[6:7]
	s_and_saveexec_b64 s[6:7], s[4:5]
	s_cbranch_execnz .LBB23_1623
	s_branch .LBB23_1624
.LBB23_3673:
	s_movk_i32 s4, 0x80
	v_cmp_eq_u16_sdwa s[12:13], v16, s4 src0_sel:BYTE_3 src1_sel:DWORD
	s_mov_b64 s[4:5], -1
                                        ; implicit-def: $sgpr10
	s_and_saveexec_b64 s[8:9], s[12:13]
; %bb.3674:
	s_mov_b32 s10, 0x7f800001
	s_xor_b64 s[4:5], exec, -1
; %bb.3675:
	s_or_b64 exec, exec, s[8:9]
	s_and_b64 s[4:5], s[4:5], exec
	s_or_saveexec_b64 s[6:7], s[6:7]
	v_mov_b32_e32 v10, s10
	s_xor_b64 exec, exec, s[6:7]
	s_cbranch_execz .LBB23_1626
.LBB23_3676:
	v_mov_b32_e32 v10, 0
	v_cmp_ne_u16_sdwa s[8:9], v16, v10 src0_sel:BYTE_3 src1_sel:DWORD
	s_andn2_b64 s[4:5], s[4:5], exec
	s_and_b64 s[8:9], s[8:9], exec
	s_or_b64 s[4:5], s[4:5], s[8:9]
	s_or_b64 exec, exec, s[6:7]
	s_and_saveexec_b64 s[6:7], s[4:5]
	s_cbranch_execnz .LBB23_1627
	s_branch .LBB23_1628
.LBB23_3677:
	s_movk_i32 s4, 0x80
	v_cmp_eq_u16_sdwa s[12:13], v12, s4 src0_sel:BYTE_3 src1_sel:DWORD
	s_mov_b64 s[4:5], -1
                                        ; implicit-def: $sgpr10
	s_and_saveexec_b64 s[8:9], s[12:13]
; %bb.3678:
	s_mov_b32 s10, 0x7f800001
	s_xor_b64 s[4:5], exec, -1
; %bb.3679:
	s_or_b64 exec, exec, s[8:9]
	s_and_b64 s[4:5], s[4:5], exec
	s_or_saveexec_b64 s[6:7], s[6:7]
	v_mov_b32_e32 v11, s10
	s_xor_b64 exec, exec, s[6:7]
	s_cbranch_execz .LBB23_1630
.LBB23_3680:
	v_mov_b32_e32 v11, 0
	v_cmp_ne_u16_sdwa s[8:9], v12, v11 src0_sel:BYTE_3 src1_sel:DWORD
	s_andn2_b64 s[4:5], s[4:5], exec
	s_and_b64 s[8:9], s[8:9], exec
	s_or_b64 s[4:5], s[4:5], s[8:9]
	s_or_b64 exec, exec, s[6:7]
	s_and_saveexec_b64 s[6:7], s[4:5]
	s_cbranch_execnz .LBB23_1631
	s_branch .LBB23_1632
.LBB23_3681:
	s_movk_i32 s4, 0x80
	v_cmp_eq_u16_sdwa s[12:13], v17, s4 src0_sel:BYTE_0 src1_sel:DWORD
	s_mov_b64 s[4:5], -1
                                        ; implicit-def: $sgpr10
	s_and_saveexec_b64 s[8:9], s[12:13]
; %bb.3682:
	s_mov_b32 s10, 0x7f800001
	s_xor_b64 s[4:5], exec, -1
; %bb.3683:
	s_or_b64 exec, exec, s[8:9]
	s_and_b64 s[4:5], s[4:5], exec
	s_or_saveexec_b64 s[6:7], s[6:7]
	v_mov_b32_e32 v10, s10
	s_xor_b64 exec, exec, s[6:7]
	s_cbranch_execz .LBB23_1634
.LBB23_3684:
	v_mov_b32_e32 v10, 0
	v_cmp_ne_u16_sdwa s[8:9], v17, v10 src0_sel:BYTE_0 src1_sel:DWORD
	s_andn2_b64 s[4:5], s[4:5], exec
	s_and_b64 s[8:9], s[8:9], exec
	s_or_b64 s[4:5], s[4:5], s[8:9]
	s_or_b64 exec, exec, s[6:7]
	s_and_saveexec_b64 s[6:7], s[4:5]
	s_cbranch_execnz .LBB23_1635
	s_branch .LBB23_1636
.LBB23_3685:
	s_movk_i32 s4, 0x80
	v_cmp_eq_u16_sdwa s[12:13], v13, s4 src0_sel:BYTE_0 src1_sel:DWORD
	s_mov_b64 s[4:5], -1
                                        ; implicit-def: $sgpr10
	s_and_saveexec_b64 s[8:9], s[12:13]
; %bb.3686:
	s_mov_b32 s10, 0x7f800001
	s_xor_b64 s[4:5], exec, -1
; %bb.3687:
	s_or_b64 exec, exec, s[8:9]
	s_and_b64 s[4:5], s[4:5], exec
	s_or_saveexec_b64 s[6:7], s[6:7]
	v_mov_b32_e32 v11, s10
	s_xor_b64 exec, exec, s[6:7]
	s_cbranch_execz .LBB23_1638
.LBB23_3688:
	v_mov_b32_e32 v11, 0
	v_cmp_ne_u16_sdwa s[8:9], v13, v11 src0_sel:BYTE_0 src1_sel:DWORD
	s_andn2_b64 s[4:5], s[4:5], exec
	s_and_b64 s[8:9], s[8:9], exec
	s_or_b64 s[4:5], s[4:5], s[8:9]
	s_or_b64 exec, exec, s[6:7]
	s_and_saveexec_b64 s[6:7], s[4:5]
	s_cbranch_execnz .LBB23_1639
	s_branch .LBB23_1640
.LBB23_3689:
	s_movk_i32 s4, 0x80
	v_cmp_eq_u16_sdwa s[12:13], v11, s4 src0_sel:BYTE_0 src1_sel:DWORD
	s_mov_b64 s[4:5], -1
                                        ; implicit-def: $sgpr10
	s_and_saveexec_b64 s[8:9], s[12:13]
; %bb.3690:
	s_mov_b32 s10, 0x7f800001
	s_xor_b64 s[4:5], exec, -1
; %bb.3691:
	s_or_b64 exec, exec, s[8:9]
	s_and_b64 s[4:5], s[4:5], exec
	s_or_saveexec_b64 s[6:7], s[6:7]
	v_mov_b32_e32 v10, s10
	s_xor_b64 exec, exec, s[6:7]
	s_cbranch_execz .LBB23_1642
.LBB23_3692:
	v_mov_b32_e32 v10, 0
	v_cmp_ne_u16_sdwa s[8:9], v11, v10 src0_sel:BYTE_0 src1_sel:DWORD
	s_andn2_b64 s[4:5], s[4:5], exec
	s_and_b64 s[8:9], s[8:9], exec
	s_or_b64 s[4:5], s[4:5], s[8:9]
	s_or_b64 exec, exec, s[6:7]
	s_and_saveexec_b64 s[6:7], s[4:5]
	s_cbranch_execnz .LBB23_1643
	s_branch .LBB23_1644
.LBB23_3693:
	s_movk_i32 s4, 0x80
	v_cmp_eq_u16_sdwa s[12:13], v11, s4 src0_sel:BYTE_0 src1_sel:DWORD
	s_mov_b64 s[4:5], -1
                                        ; implicit-def: $sgpr10
	s_and_saveexec_b64 s[8:9], s[12:13]
; %bb.3694:
	s_mov_b32 s10, 0x7f800001
	s_xor_b64 s[4:5], exec, -1
; %bb.3695:
	s_or_b64 exec, exec, s[8:9]
	s_and_b64 s[4:5], s[4:5], exec
	s_or_saveexec_b64 s[6:7], s[6:7]
	v_mov_b32_e32 v12, s10
	s_xor_b64 exec, exec, s[6:7]
	s_cbranch_execz .LBB23_1646
.LBB23_3696:
	v_mov_b32_e32 v12, 0
	v_cmp_ne_u16_sdwa s[8:9], v11, v12 src0_sel:BYTE_0 src1_sel:DWORD
	s_andn2_b64 s[4:5], s[4:5], exec
	s_and_b64 s[8:9], s[8:9], exec
	s_or_b64 s[4:5], s[4:5], s[8:9]
	s_or_b64 exec, exec, s[6:7]
	s_and_saveexec_b64 s[6:7], s[4:5]
	s_cbranch_execnz .LBB23_1647
	s_branch .LBB23_1648
.LBB23_3697:
	s_movk_i32 s4, 0x80
	v_cmp_eq_u16_e32 vcc, s4, v11
	s_mov_b64 s[4:5], -1
                                        ; implicit-def: $sgpr10
	s_and_saveexec_b64 s[8:9], vcc
; %bb.3698:
	s_mov_b32 s10, 0x7f800001
	s_xor_b64 s[4:5], exec, -1
; %bb.3699:
	s_or_b64 exec, exec, s[8:9]
	s_and_b64 s[4:5], s[4:5], exec
                                        ; implicit-def: $vgpr11
	s_or_saveexec_b64 s[6:7], s[6:7]
	v_mov_b32_e32 v10, s10
	s_xor_b64 exec, exec, s[6:7]
	s_cbranch_execz .LBB23_1650
.LBB23_3700:
	v_cmp_ne_u16_e32 vcc, 0, v11
	s_andn2_b64 s[4:5], s[4:5], exec
	s_and_b64 s[8:9], vcc, exec
	v_mov_b32_e32 v10, 0
	s_or_b64 s[4:5], s[4:5], s[8:9]
	s_or_b64 exec, exec, s[6:7]
	s_and_saveexec_b64 s[6:7], s[4:5]
	s_cbranch_execnz .LBB23_1651
	s_branch .LBB23_1652
.LBB23_3701:
	s_movk_i32 s4, 0x80
	v_cmp_eq_u16_e32 vcc, s4, v11
	s_mov_b64 s[4:5], -1
                                        ; implicit-def: $sgpr10
	s_and_saveexec_b64 s[8:9], vcc
; %bb.3702:
	s_mov_b32 s10, 0x7f800001
	s_xor_b64 s[4:5], exec, -1
; %bb.3703:
	s_or_b64 exec, exec, s[8:9]
	s_and_b64 s[4:5], s[4:5], exec
                                        ; implicit-def: $vgpr11
	s_or_saveexec_b64 s[6:7], s[6:7]
	v_mov_b32_e32 v12, s10
	s_xor_b64 exec, exec, s[6:7]
	s_cbranch_execz .LBB23_1654
.LBB23_3704:
	v_cmp_ne_u16_e32 vcc, 0, v11
	s_andn2_b64 s[4:5], s[4:5], exec
	s_and_b64 s[8:9], vcc, exec
	v_mov_b32_e32 v12, 0
	s_or_b64 s[4:5], s[4:5], s[8:9]
	s_or_b64 exec, exec, s[6:7]
	s_and_saveexec_b64 s[6:7], s[4:5]
	s_cbranch_execnz .LBB23_1655
	s_branch .LBB23_1656
.LBB23_3705:
	s_movk_i32 s4, 0x80
	v_cmp_eq_u16_sdwa s[12:13], v17, s4 src0_sel:BYTE_3 src1_sel:DWORD
	s_mov_b64 s[4:5], -1
                                        ; implicit-def: $sgpr10
	s_and_saveexec_b64 s[8:9], s[12:13]
; %bb.3706:
	s_mov_b32 s10, 0x7f800001
	s_xor_b64 s[4:5], exec, -1
; %bb.3707:
	s_or_b64 exec, exec, s[8:9]
	s_and_b64 s[4:5], s[4:5], exec
	s_or_saveexec_b64 s[6:7], s[6:7]
	v_mov_b32_e32 v10, s10
	s_xor_b64 exec, exec, s[6:7]
	s_cbranch_execz .LBB23_1658
.LBB23_3708:
	v_mov_b32_e32 v10, 0
	v_cmp_ne_u16_sdwa s[8:9], v17, v10 src0_sel:BYTE_3 src1_sel:DWORD
	s_andn2_b64 s[4:5], s[4:5], exec
	s_and_b64 s[8:9], s[8:9], exec
	s_or_b64 s[4:5], s[4:5], s[8:9]
	s_or_b64 exec, exec, s[6:7]
	s_and_saveexec_b64 s[6:7], s[4:5]
	s_cbranch_execnz .LBB23_1659
	s_branch .LBB23_1660
.LBB23_3709:
	s_movk_i32 s4, 0x80
	v_cmp_eq_u16_sdwa s[12:13], v13, s4 src0_sel:BYTE_3 src1_sel:DWORD
	s_mov_b64 s[4:5], -1
                                        ; implicit-def: $sgpr10
	s_and_saveexec_b64 s[8:9], s[12:13]
; %bb.3710:
	s_mov_b32 s10, 0x7f800001
	s_xor_b64 s[4:5], exec, -1
; %bb.3711:
	s_or_b64 exec, exec, s[8:9]
	s_and_b64 s[4:5], s[4:5], exec
	s_or_saveexec_b64 s[6:7], s[6:7]
	v_mov_b32_e32 v11, s10
	s_xor_b64 exec, exec, s[6:7]
	s_cbranch_execz .LBB23_1662
.LBB23_3712:
	v_mov_b32_e32 v11, 0
	v_cmp_ne_u16_sdwa s[8:9], v13, v11 src0_sel:BYTE_3 src1_sel:DWORD
	s_andn2_b64 s[4:5], s[4:5], exec
	s_and_b64 s[8:9], s[8:9], exec
	s_or_b64 s[4:5], s[4:5], s[8:9]
	s_or_b64 exec, exec, s[6:7]
	s_and_saveexec_b64 s[6:7], s[4:5]
	s_cbranch_execnz .LBB23_1663
	s_branch .LBB23_1664
.LBB23_3713:
	s_movk_i32 s4, 0x80
	v_cmp_eq_u16_sdwa s[12:13], v6, s4 src0_sel:BYTE_0 src1_sel:DWORD
	s_mov_b64 s[4:5], -1
                                        ; implicit-def: $sgpr10
	s_and_saveexec_b64 s[8:9], s[12:13]
; %bb.3714:
	s_mov_b32 s10, 0x7f800001
	s_xor_b64 s[4:5], exec, -1
; %bb.3715:
	s_or_b64 exec, exec, s[8:9]
	s_and_b64 s[4:5], s[4:5], exec
	s_or_saveexec_b64 s[6:7], s[6:7]
	v_mov_b32_e32 v10, s10
	s_xor_b64 exec, exec, s[6:7]
	s_cbranch_execz .LBB23_1666
.LBB23_3716:
	v_mov_b32_e32 v10, 0
	v_cmp_ne_u16_sdwa s[8:9], v6, v10 src0_sel:BYTE_0 src1_sel:DWORD
	s_andn2_b64 s[4:5], s[4:5], exec
	s_and_b64 s[8:9], s[8:9], exec
	s_or_b64 s[4:5], s[4:5], s[8:9]
	s_or_b64 exec, exec, s[6:7]
	s_and_saveexec_b64 s[6:7], s[4:5]
	s_cbranch_execnz .LBB23_1667
	s_branch .LBB23_1668
.LBB23_3717:
	s_movk_i32 s4, 0x80
	v_cmp_eq_u16_sdwa s[12:13], v2, s4 src0_sel:BYTE_0 src1_sel:DWORD
	s_mov_b64 s[4:5], -1
                                        ; implicit-def: $sgpr10
	s_and_saveexec_b64 s[8:9], s[12:13]
; %bb.3718:
	s_mov_b32 s10, 0x7f800001
	s_xor_b64 s[4:5], exec, -1
; %bb.3719:
	s_or_b64 exec, exec, s[8:9]
	s_and_b64 s[4:5], s[4:5], exec
	s_or_saveexec_b64 s[6:7], s[6:7]
	v_mov_b32_e32 v11, s10
	s_xor_b64 exec, exec, s[6:7]
	s_cbranch_execz .LBB23_1670
.LBB23_3720:
	v_mov_b32_e32 v11, 0
	v_cmp_ne_u16_sdwa s[8:9], v2, v11 src0_sel:BYTE_0 src1_sel:DWORD
	s_andn2_b64 s[4:5], s[4:5], exec
	s_and_b64 s[8:9], s[8:9], exec
	s_or_b64 s[4:5], s[4:5], s[8:9]
	s_or_b64 exec, exec, s[6:7]
	s_and_saveexec_b64 s[6:7], s[4:5]
	s_cbranch_execnz .LBB23_1671
	s_branch .LBB23_1672
.LBB23_3721:
	s_movk_i32 s4, 0x80
	v_cmp_eq_u16_sdwa s[12:13], v11, s4 src0_sel:BYTE_0 src1_sel:DWORD
	s_mov_b64 s[4:5], -1
                                        ; implicit-def: $sgpr10
	s_and_saveexec_b64 s[8:9], s[12:13]
; %bb.3722:
	s_mov_b32 s10, 0x7f800001
	s_xor_b64 s[4:5], exec, -1
; %bb.3723:
	s_or_b64 exec, exec, s[8:9]
	s_and_b64 s[4:5], s[4:5], exec
	s_or_saveexec_b64 s[6:7], s[6:7]
	v_mov_b32_e32 v10, s10
	s_xor_b64 exec, exec, s[6:7]
	s_cbranch_execz .LBB23_1674
.LBB23_3724:
	v_mov_b32_e32 v10, 0
	v_cmp_ne_u16_sdwa s[8:9], v11, v10 src0_sel:BYTE_0 src1_sel:DWORD
	s_andn2_b64 s[4:5], s[4:5], exec
	s_and_b64 s[8:9], s[8:9], exec
	s_or_b64 s[4:5], s[4:5], s[8:9]
	s_or_b64 exec, exec, s[6:7]
	s_and_saveexec_b64 s[6:7], s[4:5]
	s_cbranch_execnz .LBB23_1675
	s_branch .LBB23_1676
.LBB23_3725:
	s_movk_i32 s4, 0x80
	v_cmp_eq_u16_sdwa s[12:13], v11, s4 src0_sel:BYTE_0 src1_sel:DWORD
	s_mov_b64 s[4:5], -1
                                        ; implicit-def: $sgpr10
	s_and_saveexec_b64 s[8:9], s[12:13]
; %bb.3726:
	s_mov_b32 s10, 0x7f800001
	s_xor_b64 s[4:5], exec, -1
; %bb.3727:
	s_or_b64 exec, exec, s[8:9]
	s_and_b64 s[4:5], s[4:5], exec
	s_or_saveexec_b64 s[6:7], s[6:7]
	v_mov_b32_e32 v12, s10
	s_xor_b64 exec, exec, s[6:7]
	s_cbranch_execz .LBB23_1678
.LBB23_3728:
	v_mov_b32_e32 v12, 0
	v_cmp_ne_u16_sdwa s[8:9], v11, v12 src0_sel:BYTE_0 src1_sel:DWORD
	s_andn2_b64 s[4:5], s[4:5], exec
	s_and_b64 s[8:9], s[8:9], exec
	s_or_b64 s[4:5], s[4:5], s[8:9]
	s_or_b64 exec, exec, s[6:7]
	s_and_saveexec_b64 s[6:7], s[4:5]
	s_cbranch_execnz .LBB23_1679
	s_branch .LBB23_1680
.LBB23_3729:
	s_movk_i32 s4, 0x80
	v_cmp_eq_u16_e32 vcc, s4, v11
	s_mov_b64 s[4:5], -1
                                        ; implicit-def: $sgpr10
	s_and_saveexec_b64 s[8:9], vcc
; %bb.3730:
	s_mov_b32 s10, 0x7f800001
	s_xor_b64 s[4:5], exec, -1
; %bb.3731:
	s_or_b64 exec, exec, s[8:9]
	s_and_b64 s[4:5], s[4:5], exec
                                        ; implicit-def: $vgpr11
	s_or_saveexec_b64 s[6:7], s[6:7]
	v_mov_b32_e32 v10, s10
	s_xor_b64 exec, exec, s[6:7]
	s_cbranch_execz .LBB23_1682
.LBB23_3732:
	v_cmp_ne_u16_e32 vcc, 0, v11
	s_andn2_b64 s[4:5], s[4:5], exec
	s_and_b64 s[8:9], vcc, exec
	v_mov_b32_e32 v10, 0
	s_or_b64 s[4:5], s[4:5], s[8:9]
	s_or_b64 exec, exec, s[6:7]
	s_and_saveexec_b64 s[6:7], s[4:5]
	s_cbranch_execnz .LBB23_1683
	s_branch .LBB23_1684
.LBB23_3733:
	s_movk_i32 s4, 0x80
	v_cmp_eq_u16_e32 vcc, s4, v11
	s_mov_b64 s[4:5], -1
                                        ; implicit-def: $sgpr10
	s_and_saveexec_b64 s[8:9], vcc
; %bb.3734:
	s_mov_b32 s10, 0x7f800001
	s_xor_b64 s[4:5], exec, -1
; %bb.3735:
	s_or_b64 exec, exec, s[8:9]
	s_and_b64 s[4:5], s[4:5], exec
                                        ; implicit-def: $vgpr11
	s_or_saveexec_b64 s[6:7], s[6:7]
	v_mov_b32_e32 v12, s10
	s_xor_b64 exec, exec, s[6:7]
	s_cbranch_execz .LBB23_1686
.LBB23_3736:
	v_cmp_ne_u16_e32 vcc, 0, v11
	s_andn2_b64 s[4:5], s[4:5], exec
	s_and_b64 s[8:9], vcc, exec
	v_mov_b32_e32 v12, 0
	s_or_b64 s[4:5], s[4:5], s[8:9]
	s_or_b64 exec, exec, s[6:7]
	s_and_saveexec_b64 s[6:7], s[4:5]
	s_cbranch_execnz .LBB23_1687
	s_branch .LBB23_1688
.LBB23_3737:
	s_movk_i32 s4, 0x80
	v_cmp_eq_u16_sdwa s[12:13], v6, s4 src0_sel:BYTE_3 src1_sel:DWORD
	s_mov_b64 s[4:5], -1
                                        ; implicit-def: $sgpr10
	s_and_saveexec_b64 s[8:9], s[12:13]
; %bb.3738:
	s_mov_b32 s10, 0x7f800001
	s_xor_b64 s[4:5], exec, -1
; %bb.3739:
	s_or_b64 exec, exec, s[8:9]
	s_and_b64 s[4:5], s[4:5], exec
	s_or_saveexec_b64 s[6:7], s[6:7]
	v_mov_b32_e32 v10, s10
	s_xor_b64 exec, exec, s[6:7]
	s_cbranch_execz .LBB23_1690
.LBB23_3740:
	v_mov_b32_e32 v10, 0
	v_cmp_ne_u16_sdwa s[8:9], v6, v10 src0_sel:BYTE_3 src1_sel:DWORD
	s_andn2_b64 s[4:5], s[4:5], exec
	s_and_b64 s[8:9], s[8:9], exec
	s_or_b64 s[4:5], s[4:5], s[8:9]
	s_or_b64 exec, exec, s[6:7]
	s_and_saveexec_b64 s[6:7], s[4:5]
	s_cbranch_execnz .LBB23_1691
	s_branch .LBB23_1692
.LBB23_3741:
	s_movk_i32 s4, 0x80
	v_cmp_eq_u16_sdwa s[12:13], v2, s4 src0_sel:BYTE_3 src1_sel:DWORD
	s_mov_b64 s[4:5], -1
                                        ; implicit-def: $sgpr10
	s_and_saveexec_b64 s[8:9], s[12:13]
; %bb.3742:
	s_mov_b32 s10, 0x7f800001
	s_xor_b64 s[4:5], exec, -1
; %bb.3743:
	s_or_b64 exec, exec, s[8:9]
	s_and_b64 s[4:5], s[4:5], exec
	s_or_saveexec_b64 s[6:7], s[6:7]
	v_mov_b32_e32 v6, s10
	s_xor_b64 exec, exec, s[6:7]
	s_cbranch_execz .LBB23_1694
.LBB23_3744:
	v_mov_b32_e32 v6, 0
	v_cmp_ne_u16_sdwa s[8:9], v2, v6 src0_sel:BYTE_3 src1_sel:DWORD
	s_andn2_b64 s[4:5], s[4:5], exec
	s_and_b64 s[8:9], s[8:9], exec
	s_or_b64 s[4:5], s[4:5], s[8:9]
	s_or_b64 exec, exec, s[6:7]
	s_and_saveexec_b64 s[6:7], s[4:5]
	s_cbranch_execnz .LBB23_1695
	s_branch .LBB23_1696
.LBB23_3745:
	s_movk_i32 s4, 0x80
	v_cmp_eq_u16_sdwa s[12:13], v7, s4 src0_sel:BYTE_0 src1_sel:DWORD
	s_mov_b64 s[4:5], -1
                                        ; implicit-def: $sgpr10
	s_and_saveexec_b64 s[8:9], s[12:13]
; %bb.3746:
	s_mov_b32 s10, 0x7f800001
	s_xor_b64 s[4:5], exec, -1
; %bb.3747:
	s_or_b64 exec, exec, s[8:9]
	s_and_b64 s[4:5], s[4:5], exec
	s_or_saveexec_b64 s[6:7], s[6:7]
	v_mov_b32_e32 v2, s10
	s_xor_b64 exec, exec, s[6:7]
	s_cbranch_execz .LBB23_1698
.LBB23_3748:
	v_mov_b32_e32 v2, 0
	v_cmp_ne_u16_sdwa s[8:9], v7, v2 src0_sel:BYTE_0 src1_sel:DWORD
	s_andn2_b64 s[4:5], s[4:5], exec
	s_and_b64 s[8:9], s[8:9], exec
	s_or_b64 s[4:5], s[4:5], s[8:9]
	s_or_b64 exec, exec, s[6:7]
	s_and_saveexec_b64 s[6:7], s[4:5]
	s_cbranch_execnz .LBB23_1699
	s_branch .LBB23_1700
.LBB23_3749:
	s_movk_i32 s4, 0x80
	v_cmp_eq_u16_sdwa s[12:13], v3, s4 src0_sel:BYTE_0 src1_sel:DWORD
	s_mov_b64 s[4:5], -1
                                        ; implicit-def: $sgpr10
	s_and_saveexec_b64 s[8:9], s[12:13]
; %bb.3750:
	s_mov_b32 s10, 0x7f800001
	s_xor_b64 s[4:5], exec, -1
; %bb.3751:
	s_or_b64 exec, exec, s[8:9]
	s_and_b64 s[4:5], s[4:5], exec
	s_or_saveexec_b64 s[6:7], s[6:7]
	v_mov_b32_e32 v6, s10
	s_xor_b64 exec, exec, s[6:7]
	s_cbranch_execz .LBB23_1702
.LBB23_3752:
	v_mov_b32_e32 v6, 0
	v_cmp_ne_u16_sdwa s[8:9], v3, v6 src0_sel:BYTE_0 src1_sel:DWORD
	s_andn2_b64 s[4:5], s[4:5], exec
	s_and_b64 s[8:9], s[8:9], exec
	s_or_b64 s[4:5], s[4:5], s[8:9]
	s_or_b64 exec, exec, s[6:7]
	s_and_saveexec_b64 s[6:7], s[4:5]
	s_cbranch_execnz .LBB23_1703
	s_branch .LBB23_1704
.LBB23_3753:
	s_movk_i32 s4, 0x80
	v_cmp_eq_u16_sdwa s[12:13], v6, s4 src0_sel:BYTE_0 src1_sel:DWORD
	s_mov_b64 s[4:5], -1
                                        ; implicit-def: $sgpr10
	s_and_saveexec_b64 s[8:9], s[12:13]
; %bb.3754:
	s_mov_b32 s10, 0x7f800001
	s_xor_b64 s[4:5], exec, -1
; %bb.3755:
	s_or_b64 exec, exec, s[8:9]
	s_and_b64 s[4:5], s[4:5], exec
	s_or_saveexec_b64 s[6:7], s[6:7]
	v_mov_b32_e32 v2, s10
	s_xor_b64 exec, exec, s[6:7]
	s_cbranch_execz .LBB23_1706
.LBB23_3756:
	v_mov_b32_e32 v2, 0
	v_cmp_ne_u16_sdwa s[8:9], v6, v2 src0_sel:BYTE_0 src1_sel:DWORD
	s_andn2_b64 s[4:5], s[4:5], exec
	s_and_b64 s[8:9], s[8:9], exec
	s_or_b64 s[4:5], s[4:5], s[8:9]
	s_or_b64 exec, exec, s[6:7]
	s_and_saveexec_b64 s[6:7], s[4:5]
	s_cbranch_execnz .LBB23_1707
	s_branch .LBB23_1708
.LBB23_3757:
	s_movk_i32 s4, 0x80
	v_cmp_eq_u16_sdwa s[12:13], v6, s4 src0_sel:BYTE_0 src1_sel:DWORD
	s_mov_b64 s[4:5], -1
                                        ; implicit-def: $sgpr10
	s_and_saveexec_b64 s[8:9], s[12:13]
; %bb.3758:
	s_mov_b32 s10, 0x7f800001
	s_xor_b64 s[4:5], exec, -1
; %bb.3759:
	s_or_b64 exec, exec, s[8:9]
	s_and_b64 s[4:5], s[4:5], exec
	s_or_saveexec_b64 s[6:7], s[6:7]
	v_mov_b32_e32 v10, s10
	s_xor_b64 exec, exec, s[6:7]
	s_cbranch_execz .LBB23_1710
.LBB23_3760:
	v_mov_b32_e32 v10, 0
	v_cmp_ne_u16_sdwa s[8:9], v6, v10 src0_sel:BYTE_0 src1_sel:DWORD
	s_andn2_b64 s[4:5], s[4:5], exec
	s_and_b64 s[8:9], s[8:9], exec
	s_or_b64 s[4:5], s[4:5], s[8:9]
	s_or_b64 exec, exec, s[6:7]
	s_and_saveexec_b64 s[6:7], s[4:5]
	s_cbranch_execnz .LBB23_1711
	s_branch .LBB23_1712
.LBB23_3761:
	s_movk_i32 s4, 0x80
	v_cmp_eq_u16_e32 vcc, s4, v6
	s_mov_b64 s[4:5], -1
                                        ; implicit-def: $sgpr10
	s_and_saveexec_b64 s[8:9], vcc
; %bb.3762:
	s_mov_b32 s10, 0x7f800001
	s_xor_b64 s[4:5], exec, -1
; %bb.3763:
	s_or_b64 exec, exec, s[8:9]
	s_and_b64 s[4:5], s[4:5], exec
                                        ; implicit-def: $vgpr6
	s_or_saveexec_b64 s[6:7], s[6:7]
	v_mov_b32_e32 v2, s10
	s_xor_b64 exec, exec, s[6:7]
	s_cbranch_execz .LBB23_1714
.LBB23_3764:
	v_cmp_ne_u16_e32 vcc, 0, v6
	s_andn2_b64 s[4:5], s[4:5], exec
	s_and_b64 s[8:9], vcc, exec
	v_mov_b32_e32 v2, 0
	s_or_b64 s[4:5], s[4:5], s[8:9]
	s_or_b64 exec, exec, s[6:7]
	s_and_saveexec_b64 s[6:7], s[4:5]
	s_cbranch_execnz .LBB23_1715
	s_branch .LBB23_1716
.LBB23_3765:
	s_movk_i32 s4, 0x80
	v_cmp_eq_u16_e32 vcc, s4, v6
	s_mov_b64 s[4:5], -1
                                        ; implicit-def: $sgpr10
	s_and_saveexec_b64 s[8:9], vcc
; %bb.3766:
	s_mov_b32 s10, 0x7f800001
	s_xor_b64 s[4:5], exec, -1
; %bb.3767:
	s_or_b64 exec, exec, s[8:9]
	s_and_b64 s[4:5], s[4:5], exec
                                        ; implicit-def: $vgpr6
	s_or_saveexec_b64 s[6:7], s[6:7]
	v_mov_b32_e32 v10, s10
	s_xor_b64 exec, exec, s[6:7]
	s_cbranch_execz .LBB23_1718
.LBB23_3768:
	v_cmp_ne_u16_e32 vcc, 0, v6
	s_andn2_b64 s[4:5], s[4:5], exec
	s_and_b64 s[8:9], vcc, exec
	v_mov_b32_e32 v10, 0
	s_or_b64 s[4:5], s[4:5], s[8:9]
	s_or_b64 exec, exec, s[6:7]
	s_and_saveexec_b64 s[6:7], s[4:5]
	s_cbranch_execnz .LBB23_1719
	s_branch .LBB23_1720
.LBB23_3769:
	s_movk_i32 s4, 0x80
	v_cmp_eq_u16_sdwa s[12:13], v7, s4 src0_sel:BYTE_3 src1_sel:DWORD
	s_mov_b64 s[4:5], -1
                                        ; implicit-def: $sgpr10
	s_and_saveexec_b64 s[8:9], s[12:13]
; %bb.3770:
	s_mov_b32 s10, 0x7f800001
	s_xor_b64 s[4:5], exec, -1
; %bb.3771:
	s_or_b64 exec, exec, s[8:9]
	s_and_b64 s[4:5], s[4:5], exec
	s_or_saveexec_b64 s[6:7], s[6:7]
	v_mov_b32_e32 v2, s10
	s_xor_b64 exec, exec, s[6:7]
	s_cbranch_execz .LBB23_1722
.LBB23_3772:
	v_mov_b32_e32 v2, 0
	v_cmp_ne_u16_sdwa s[8:9], v7, v2 src0_sel:BYTE_3 src1_sel:DWORD
	s_andn2_b64 s[4:5], s[4:5], exec
	s_and_b64 s[8:9], s[8:9], exec
	s_or_b64 s[4:5], s[4:5], s[8:9]
	s_or_b64 exec, exec, s[6:7]
	s_and_saveexec_b64 s[6:7], s[4:5]
	s_cbranch_execnz .LBB23_1723
	s_branch .LBB23_1724
.LBB23_3773:
	s_movk_i32 s4, 0x80
	v_cmp_eq_u16_sdwa s[12:13], v3, s4 src0_sel:BYTE_3 src1_sel:DWORD
	s_mov_b64 s[4:5], -1
                                        ; implicit-def: $sgpr10
	s_and_saveexec_b64 s[8:9], s[12:13]
; %bb.3774:
	s_mov_b32 s10, 0x7f800001
	s_xor_b64 s[4:5], exec, -1
; %bb.3775:
	s_or_b64 exec, exec, s[8:9]
	s_and_b64 s[4:5], s[4:5], exec
	s_or_saveexec_b64 s[6:7], s[6:7]
	v_mov_b32_e32 v6, s10
	s_xor_b64 exec, exec, s[6:7]
	s_cbranch_execz .LBB23_1726
.LBB23_3776:
	v_mov_b32_e32 v6, 0
	v_cmp_ne_u16_sdwa s[8:9], v3, v6 src0_sel:BYTE_3 src1_sel:DWORD
	s_andn2_b64 s[4:5], s[4:5], exec
	s_and_b64 s[8:9], s[8:9], exec
	s_or_b64 s[4:5], s[4:5], s[8:9]
	s_or_b64 exec, exec, s[6:7]
	s_and_saveexec_b64 s[6:7], s[4:5]
	s_cbranch_execnz .LBB23_1727
	s_branch .LBB23_1728
.LBB23_3777:
	s_movk_i32 s4, 0x80
	v_cmp_eq_u16_sdwa s[12:13], v8, s4 src0_sel:BYTE_0 src1_sel:DWORD
	s_mov_b64 s[4:5], -1
                                        ; implicit-def: $sgpr10
	s_and_saveexec_b64 s[8:9], s[12:13]
; %bb.3778:
	s_mov_b32 s10, 0x7f800001
	s_xor_b64 s[4:5], exec, -1
; %bb.3779:
	s_or_b64 exec, exec, s[8:9]
	s_and_b64 s[4:5], s[4:5], exec
	s_or_saveexec_b64 s[6:7], s[6:7]
	v_mov_b32_e32 v2, s10
	s_xor_b64 exec, exec, s[6:7]
	s_cbranch_execz .LBB23_1730
.LBB23_3780:
	v_mov_b32_e32 v2, 0
	v_cmp_ne_u16_sdwa s[8:9], v8, v2 src0_sel:BYTE_0 src1_sel:DWORD
	s_andn2_b64 s[4:5], s[4:5], exec
	s_and_b64 s[8:9], s[8:9], exec
	s_or_b64 s[4:5], s[4:5], s[8:9]
	s_or_b64 exec, exec, s[6:7]
	s_and_saveexec_b64 s[6:7], s[4:5]
	s_cbranch_execnz .LBB23_1731
	s_branch .LBB23_1732
.LBB23_3781:
	s_movk_i32 s4, 0x80
	v_cmp_eq_u16_sdwa s[12:13], v4, s4 src0_sel:BYTE_0 src1_sel:DWORD
	s_mov_b64 s[4:5], -1
                                        ; implicit-def: $sgpr10
	s_and_saveexec_b64 s[8:9], s[12:13]
; %bb.3782:
	s_mov_b32 s10, 0x7f800001
	s_xor_b64 s[4:5], exec, -1
; %bb.3783:
	s_or_b64 exec, exec, s[8:9]
	s_and_b64 s[4:5], s[4:5], exec
	s_or_saveexec_b64 s[6:7], s[6:7]
	v_mov_b32_e32 v3, s10
	s_xor_b64 exec, exec, s[6:7]
	s_cbranch_execz .LBB23_1734
.LBB23_3784:
	v_mov_b32_e32 v3, 0
	v_cmp_ne_u16_sdwa s[8:9], v4, v3 src0_sel:BYTE_0 src1_sel:DWORD
	s_andn2_b64 s[4:5], s[4:5], exec
	s_and_b64 s[8:9], s[8:9], exec
	s_or_b64 s[4:5], s[4:5], s[8:9]
	s_or_b64 exec, exec, s[6:7]
	s_and_saveexec_b64 s[6:7], s[4:5]
	s_cbranch_execnz .LBB23_1735
	s_branch .LBB23_1736
.LBB23_3785:
	s_movk_i32 s4, 0x80
	v_cmp_eq_u16_sdwa s[12:13], v3, s4 src0_sel:BYTE_0 src1_sel:DWORD
	s_mov_b64 s[4:5], -1
                                        ; implicit-def: $sgpr10
	s_and_saveexec_b64 s[8:9], s[12:13]
; %bb.3786:
	s_mov_b32 s10, 0x7f800001
	s_xor_b64 s[4:5], exec, -1
; %bb.3787:
	s_or_b64 exec, exec, s[8:9]
	s_and_b64 s[4:5], s[4:5], exec
	s_or_saveexec_b64 s[6:7], s[6:7]
	v_mov_b32_e32 v2, s10
	s_xor_b64 exec, exec, s[6:7]
	s_cbranch_execz .LBB23_1738
.LBB23_3788:
	v_mov_b32_e32 v2, 0
	v_cmp_ne_u16_sdwa s[8:9], v3, v2 src0_sel:BYTE_0 src1_sel:DWORD
	s_andn2_b64 s[4:5], s[4:5], exec
	s_and_b64 s[8:9], s[8:9], exec
	s_or_b64 s[4:5], s[4:5], s[8:9]
	s_or_b64 exec, exec, s[6:7]
	s_and_saveexec_b64 s[6:7], s[4:5]
	s_cbranch_execnz .LBB23_1739
	s_branch .LBB23_1740
.LBB23_3789:
	s_movk_i32 s4, 0x80
	v_cmp_eq_u16_sdwa s[12:13], v3, s4 src0_sel:BYTE_0 src1_sel:DWORD
	s_mov_b64 s[4:5], -1
                                        ; implicit-def: $sgpr10
	s_and_saveexec_b64 s[8:9], s[12:13]
; %bb.3790:
	s_mov_b32 s10, 0x7f800001
	s_xor_b64 s[4:5], exec, -1
; %bb.3791:
	s_or_b64 exec, exec, s[8:9]
	s_and_b64 s[4:5], s[4:5], exec
	s_or_saveexec_b64 s[6:7], s[6:7]
	v_mov_b32_e32 v6, s10
	s_xor_b64 exec, exec, s[6:7]
	s_cbranch_execz .LBB23_1742
.LBB23_3792:
	v_mov_b32_e32 v6, 0
	v_cmp_ne_u16_sdwa s[8:9], v3, v6 src0_sel:BYTE_0 src1_sel:DWORD
	s_andn2_b64 s[4:5], s[4:5], exec
	s_and_b64 s[8:9], s[8:9], exec
	s_or_b64 s[4:5], s[4:5], s[8:9]
	s_or_b64 exec, exec, s[6:7]
	s_and_saveexec_b64 s[6:7], s[4:5]
	s_cbranch_execnz .LBB23_1743
	s_branch .LBB23_1744
.LBB23_3793:
	s_movk_i32 s4, 0x80
	v_cmp_eq_u16_e32 vcc, s4, v3
	s_mov_b64 s[4:5], -1
                                        ; implicit-def: $sgpr10
	s_and_saveexec_b64 s[8:9], vcc
; %bb.3794:
	s_mov_b32 s10, 0x7f800001
	s_xor_b64 s[4:5], exec, -1
; %bb.3795:
	s_or_b64 exec, exec, s[8:9]
	s_and_b64 s[4:5], s[4:5], exec
                                        ; implicit-def: $vgpr3
	s_or_saveexec_b64 s[6:7], s[6:7]
	v_mov_b32_e32 v2, s10
	s_xor_b64 exec, exec, s[6:7]
	s_cbranch_execz .LBB23_1746
.LBB23_3796:
	v_cmp_ne_u16_e32 vcc, 0, v3
	s_andn2_b64 s[4:5], s[4:5], exec
	s_and_b64 s[8:9], vcc, exec
	v_mov_b32_e32 v2, 0
	s_or_b64 s[4:5], s[4:5], s[8:9]
	s_or_b64 exec, exec, s[6:7]
	s_and_saveexec_b64 s[6:7], s[4:5]
	s_cbranch_execnz .LBB23_1747
	s_branch .LBB23_1748
.LBB23_3797:
	s_movk_i32 s4, 0x80
	v_cmp_eq_u16_e32 vcc, s4, v3
	s_mov_b64 s[4:5], -1
                                        ; implicit-def: $sgpr10
	s_and_saveexec_b64 s[8:9], vcc
; %bb.3798:
	s_mov_b32 s10, 0x7f800001
	s_xor_b64 s[4:5], exec, -1
; %bb.3799:
	s_or_b64 exec, exec, s[8:9]
	s_and_b64 s[4:5], s[4:5], exec
                                        ; implicit-def: $vgpr3
	s_or_saveexec_b64 s[6:7], s[6:7]
	v_mov_b32_e32 v6, s10
	s_xor_b64 exec, exec, s[6:7]
	s_cbranch_execz .LBB23_1750
.LBB23_3800:
	v_cmp_ne_u16_e32 vcc, 0, v3
	s_andn2_b64 s[4:5], s[4:5], exec
	s_and_b64 s[8:9], vcc, exec
	v_mov_b32_e32 v6, 0
	s_or_b64 s[4:5], s[4:5], s[8:9]
	s_or_b64 exec, exec, s[6:7]
	s_and_saveexec_b64 s[6:7], s[4:5]
	s_cbranch_execnz .LBB23_1751
	s_branch .LBB23_1752
.LBB23_3801:
	s_movk_i32 s4, 0x80
	v_cmp_eq_u16_sdwa s[12:13], v8, s4 src0_sel:BYTE_3 src1_sel:DWORD
	s_mov_b64 s[4:5], -1
                                        ; implicit-def: $sgpr10
	s_and_saveexec_b64 s[8:9], s[12:13]
; %bb.3802:
	s_mov_b32 s10, 0x7f800001
	s_xor_b64 s[4:5], exec, -1
; %bb.3803:
	s_or_b64 exec, exec, s[8:9]
	s_and_b64 s[4:5], s[4:5], exec
	s_or_saveexec_b64 s[6:7], s[6:7]
	v_mov_b32_e32 v2, s10
	s_xor_b64 exec, exec, s[6:7]
	s_cbranch_execz .LBB23_1754
.LBB23_3804:
	v_mov_b32_e32 v2, 0
	v_cmp_ne_u16_sdwa s[8:9], v8, v2 src0_sel:BYTE_3 src1_sel:DWORD
	s_andn2_b64 s[4:5], s[4:5], exec
	s_and_b64 s[8:9], s[8:9], exec
	s_or_b64 s[4:5], s[4:5], s[8:9]
	s_or_b64 exec, exec, s[6:7]
	s_and_saveexec_b64 s[6:7], s[4:5]
	s_cbranch_execnz .LBB23_1755
	s_branch .LBB23_1756
.LBB23_3805:
	s_movk_i32 s4, 0x80
	v_cmp_eq_u16_sdwa s[12:13], v4, s4 src0_sel:BYTE_3 src1_sel:DWORD
	s_mov_b64 s[4:5], -1
                                        ; implicit-def: $sgpr10
	s_and_saveexec_b64 s[8:9], s[12:13]
; %bb.3806:
	s_mov_b32 s10, 0x7f800001
	s_xor_b64 s[4:5], exec, -1
; %bb.3807:
	s_or_b64 exec, exec, s[8:9]
	s_and_b64 s[4:5], s[4:5], exec
	s_or_saveexec_b64 s[6:7], s[6:7]
	v_mov_b32_e32 v3, s10
	s_xor_b64 exec, exec, s[6:7]
	s_cbranch_execz .LBB23_1758
.LBB23_3808:
	v_mov_b32_e32 v3, 0
	v_cmp_ne_u16_sdwa s[8:9], v4, v3 src0_sel:BYTE_3 src1_sel:DWORD
	s_andn2_b64 s[4:5], s[4:5], exec
	s_and_b64 s[8:9], s[8:9], exec
	s_or_b64 s[4:5], s[4:5], s[8:9]
	s_or_b64 exec, exec, s[6:7]
	s_and_saveexec_b64 s[6:7], s[4:5]
	s_cbranch_execnz .LBB23_1759
	s_branch .LBB23_1760
.LBB23_3809:
	s_movk_i32 s4, 0x80
	v_cmp_eq_u16_sdwa s[12:13], v9, s4 src0_sel:BYTE_0 src1_sel:DWORD
	s_mov_b64 s[4:5], -1
                                        ; implicit-def: $sgpr10
	s_and_saveexec_b64 s[8:9], s[12:13]
; %bb.3810:
	s_mov_b32 s10, 0x7f800001
	s_xor_b64 s[4:5], exec, -1
; %bb.3811:
	s_or_b64 exec, exec, s[8:9]
	s_and_b64 s[4:5], s[4:5], exec
	s_or_saveexec_b64 s[6:7], s[6:7]
	v_mov_b32_e32 v2, s10
	s_xor_b64 exec, exec, s[6:7]
	s_cbranch_execz .LBB23_1762
.LBB23_3812:
	v_mov_b32_e32 v2, 0
	v_cmp_ne_u16_sdwa s[8:9], v9, v2 src0_sel:BYTE_0 src1_sel:DWORD
	s_andn2_b64 s[4:5], s[4:5], exec
	s_and_b64 s[8:9], s[8:9], exec
	s_or_b64 s[4:5], s[4:5], s[8:9]
	s_or_b64 exec, exec, s[6:7]
	s_and_saveexec_b64 s[6:7], s[4:5]
	s_cbranch_execnz .LBB23_1763
	s_branch .LBB23_1764
.LBB23_3813:
	s_movk_i32 s4, 0x80
	v_cmp_eq_u16_sdwa s[12:13], v5, s4 src0_sel:BYTE_0 src1_sel:DWORD
	s_mov_b64 s[4:5], -1
                                        ; implicit-def: $sgpr10
	s_and_saveexec_b64 s[8:9], s[12:13]
; %bb.3814:
	s_mov_b32 s10, 0x7f800001
	s_xor_b64 s[4:5], exec, -1
; %bb.3815:
	s_or_b64 exec, exec, s[8:9]
	s_and_b64 s[4:5], s[4:5], exec
	s_or_saveexec_b64 s[6:7], s[6:7]
	v_mov_b32_e32 v3, s10
	s_xor_b64 exec, exec, s[6:7]
	s_cbranch_execz .LBB23_1766
.LBB23_3816:
	v_mov_b32_e32 v3, 0
	v_cmp_ne_u16_sdwa s[8:9], v5, v3 src0_sel:BYTE_0 src1_sel:DWORD
	s_andn2_b64 s[4:5], s[4:5], exec
	s_and_b64 s[8:9], s[8:9], exec
	s_or_b64 s[4:5], s[4:5], s[8:9]
	s_or_b64 exec, exec, s[6:7]
	s_and_saveexec_b64 s[6:7], s[4:5]
	s_cbranch_execnz .LBB23_1767
	s_branch .LBB23_1768
.LBB23_3817:
	s_movk_i32 s4, 0x80
	v_cmp_eq_u16_sdwa s[12:13], v3, s4 src0_sel:BYTE_0 src1_sel:DWORD
	s_mov_b64 s[4:5], -1
                                        ; implicit-def: $sgpr10
	s_and_saveexec_b64 s[8:9], s[12:13]
; %bb.3818:
	s_mov_b32 s10, 0x7f800001
	s_xor_b64 s[4:5], exec, -1
; %bb.3819:
	s_or_b64 exec, exec, s[8:9]
	s_and_b64 s[4:5], s[4:5], exec
	s_or_saveexec_b64 s[6:7], s[6:7]
	v_mov_b32_e32 v2, s10
	s_xor_b64 exec, exec, s[6:7]
	s_cbranch_execz .LBB23_1770
.LBB23_3820:
	v_mov_b32_e32 v2, 0
	v_cmp_ne_u16_sdwa s[8:9], v3, v2 src0_sel:BYTE_0 src1_sel:DWORD
	s_andn2_b64 s[4:5], s[4:5], exec
	s_and_b64 s[8:9], s[8:9], exec
	s_or_b64 s[4:5], s[4:5], s[8:9]
	s_or_b64 exec, exec, s[6:7]
	s_and_saveexec_b64 s[6:7], s[4:5]
	s_cbranch_execnz .LBB23_1771
	s_branch .LBB23_1772
.LBB23_3821:
	s_movk_i32 s4, 0x80
	v_cmp_eq_u16_sdwa s[12:13], v3, s4 src0_sel:BYTE_0 src1_sel:DWORD
	s_mov_b64 s[4:5], -1
                                        ; implicit-def: $sgpr10
	s_and_saveexec_b64 s[8:9], s[12:13]
; %bb.3822:
	s_mov_b32 s10, 0x7f800001
	s_xor_b64 s[4:5], exec, -1
; %bb.3823:
	s_or_b64 exec, exec, s[8:9]
	s_and_b64 s[4:5], s[4:5], exec
	s_or_saveexec_b64 s[6:7], s[6:7]
	v_mov_b32_e32 v4, s10
	s_xor_b64 exec, exec, s[6:7]
	s_cbranch_execz .LBB23_1774
.LBB23_3824:
	v_mov_b32_e32 v4, 0
	v_cmp_ne_u16_sdwa s[8:9], v3, v4 src0_sel:BYTE_0 src1_sel:DWORD
	s_andn2_b64 s[4:5], s[4:5], exec
	s_and_b64 s[8:9], s[8:9], exec
	s_or_b64 s[4:5], s[4:5], s[8:9]
	s_or_b64 exec, exec, s[6:7]
	s_and_saveexec_b64 s[6:7], s[4:5]
	s_cbranch_execnz .LBB23_1775
	s_branch .LBB23_1776
.LBB23_3825:
	s_movk_i32 s4, 0x80
	v_cmp_eq_u16_e32 vcc, s4, v3
	s_mov_b64 s[4:5], -1
                                        ; implicit-def: $sgpr10
	s_and_saveexec_b64 s[8:9], vcc
; %bb.3826:
	s_mov_b32 s10, 0x7f800001
	s_xor_b64 s[4:5], exec, -1
; %bb.3827:
	s_or_b64 exec, exec, s[8:9]
	s_and_b64 s[4:5], s[4:5], exec
                                        ; implicit-def: $vgpr3
	s_or_saveexec_b64 s[6:7], s[6:7]
	v_mov_b32_e32 v2, s10
	s_xor_b64 exec, exec, s[6:7]
	s_cbranch_execz .LBB23_1778
.LBB23_3828:
	v_cmp_ne_u16_e32 vcc, 0, v3
	s_andn2_b64 s[4:5], s[4:5], exec
	s_and_b64 s[8:9], vcc, exec
	v_mov_b32_e32 v2, 0
	s_or_b64 s[4:5], s[4:5], s[8:9]
	s_or_b64 exec, exec, s[6:7]
	s_and_saveexec_b64 s[6:7], s[4:5]
	s_cbranch_execnz .LBB23_1779
	s_branch .LBB23_1780
.LBB23_3829:
	s_movk_i32 s4, 0x80
	v_cmp_eq_u16_e32 vcc, s4, v3
	s_mov_b64 s[4:5], -1
                                        ; implicit-def: $sgpr10
	s_and_saveexec_b64 s[8:9], vcc
; %bb.3830:
	s_mov_b32 s10, 0x7f800001
	s_xor_b64 s[4:5], exec, -1
; %bb.3831:
	s_or_b64 exec, exec, s[8:9]
	s_and_b64 s[4:5], s[4:5], exec
                                        ; implicit-def: $vgpr3
	s_or_saveexec_b64 s[6:7], s[6:7]
	v_mov_b32_e32 v4, s10
	s_xor_b64 exec, exec, s[6:7]
	s_cbranch_execz .LBB23_1782
.LBB23_3832:
	v_cmp_ne_u16_e32 vcc, 0, v3
	s_andn2_b64 s[4:5], s[4:5], exec
	s_and_b64 s[8:9], vcc, exec
	v_mov_b32_e32 v4, 0
	s_or_b64 s[4:5], s[4:5], s[8:9]
	s_or_b64 exec, exec, s[6:7]
	s_and_saveexec_b64 s[6:7], s[4:5]
	s_cbranch_execnz .LBB23_1783
	s_branch .LBB23_1784
.LBB23_3833:
	s_movk_i32 s4, 0x80
	v_cmp_eq_u16_sdwa s[12:13], v9, s4 src0_sel:BYTE_3 src1_sel:DWORD
	s_mov_b64 s[4:5], -1
                                        ; implicit-def: $sgpr10
	s_and_saveexec_b64 s[8:9], s[12:13]
; %bb.3834:
	s_mov_b32 s10, 0x7f800001
	s_xor_b64 s[4:5], exec, -1
; %bb.3835:
	s_or_b64 exec, exec, s[8:9]
	s_and_b64 s[4:5], s[4:5], exec
	s_or_saveexec_b64 s[6:7], s[6:7]
	v_mov_b32_e32 v2, s10
	s_xor_b64 exec, exec, s[6:7]
	s_cbranch_execz .LBB23_1786
.LBB23_3836:
	v_mov_b32_e32 v2, 0
	v_cmp_ne_u16_sdwa s[8:9], v9, v2 src0_sel:BYTE_3 src1_sel:DWORD
	s_andn2_b64 s[4:5], s[4:5], exec
	s_and_b64 s[8:9], s[8:9], exec
	s_or_b64 s[4:5], s[4:5], s[8:9]
	s_or_b64 exec, exec, s[6:7]
	s_and_saveexec_b64 s[6:7], s[4:5]
	s_cbranch_execnz .LBB23_1787
	s_branch .LBB23_1788
.LBB23_3837:
	s_movk_i32 s4, 0x80
	v_cmp_eq_u16_sdwa s[12:13], v5, s4 src0_sel:BYTE_3 src1_sel:DWORD
	s_mov_b64 s[4:5], -1
                                        ; implicit-def: $sgpr10
	s_and_saveexec_b64 s[8:9], s[12:13]
; %bb.3838:
	s_mov_b32 s10, 0x7f800001
	s_xor_b64 s[4:5], exec, -1
; %bb.3839:
	s_or_b64 exec, exec, s[8:9]
	s_and_b64 s[4:5], s[4:5], exec
	s_or_saveexec_b64 s[6:7], s[6:7]
	v_mov_b32_e32 v3, s10
	s_xor_b64 exec, exec, s[6:7]
	s_cbranch_execz .LBB23_1790
.LBB23_3840:
	v_mov_b32_e32 v3, 0
	v_cmp_ne_u16_sdwa s[8:9], v5, v3 src0_sel:BYTE_3 src1_sel:DWORD
	s_andn2_b64 s[4:5], s[4:5], exec
	s_and_b64 s[8:9], s[8:9], exec
	s_or_b64 s[4:5], s[4:5], s[8:9]
	s_or_b64 exec, exec, s[6:7]
	s_and_saveexec_b64 s[6:7], s[4:5]
	s_cbranch_execnz .LBB23_1791
	s_branch .LBB23_1792
.LBB23_3841:
	s_movk_i32 s4, 0x80
	v_cmp_eq_u16_sdwa s[12:13], v12, s4 src0_sel:BYTE_0 src1_sel:DWORD
	s_mov_b64 s[4:5], -1
                                        ; implicit-def: $sgpr10
	s_and_saveexec_b64 s[8:9], s[12:13]
; %bb.3842:
	s_mov_b32 s10, 0x7f800001
	s_xor_b64 s[4:5], exec, -1
; %bb.3843:
	s_or_b64 exec, exec, s[8:9]
	s_and_b64 s[4:5], s[4:5], exec
	s_or_saveexec_b64 s[6:7], s[6:7]
	v_mov_b32_e32 v18, s10
	s_xor_b64 exec, exec, s[6:7]
	s_cbranch_execz .LBB23_1794
.LBB23_3844:
	v_mov_b32_e32 v18, 0
	v_cmp_ne_u16_sdwa s[8:9], v12, v18 src0_sel:BYTE_0 src1_sel:DWORD
	s_andn2_b64 s[4:5], s[4:5], exec
	s_and_b64 s[8:9], s[8:9], exec
	s_or_b64 s[4:5], s[4:5], s[8:9]
	s_or_b64 exec, exec, s[6:7]
	s_and_saveexec_b64 s[6:7], s[4:5]
	s_cbranch_execnz .LBB23_1795
	s_branch .LBB23_1796
.LBB23_3845:
	s_movk_i32 s4, 0x80
	v_cmp_eq_u16_sdwa s[12:13], v8, s4 src0_sel:BYTE_0 src1_sel:DWORD
	s_mov_b64 s[4:5], -1
                                        ; implicit-def: $sgpr10
	s_and_saveexec_b64 s[8:9], s[12:13]
; %bb.3846:
	s_mov_b32 s10, 0x7f800001
	s_xor_b64 s[4:5], exec, -1
; %bb.3847:
	s_or_b64 exec, exec, s[8:9]
	s_and_b64 s[4:5], s[4:5], exec
	s_or_saveexec_b64 s[6:7], s[6:7]
	v_mov_b32_e32 v19, s10
	s_xor_b64 exec, exec, s[6:7]
	s_cbranch_execz .LBB23_1798
.LBB23_3848:
	v_mov_b32_e32 v19, 0
	v_cmp_ne_u16_sdwa s[8:9], v8, v19 src0_sel:BYTE_0 src1_sel:DWORD
	s_andn2_b64 s[4:5], s[4:5], exec
	s_and_b64 s[8:9], s[8:9], exec
	s_or_b64 s[4:5], s[4:5], s[8:9]
	s_or_b64 exec, exec, s[6:7]
	s_and_saveexec_b64 s[6:7], s[4:5]
	s_cbranch_execnz .LBB23_1799
	s_branch .LBB23_1800
.LBB23_3849:
	s_movk_i32 s4, 0x80
	v_cmp_eq_u16_sdwa s[12:13], v19, s4 src0_sel:BYTE_0 src1_sel:DWORD
	s_mov_b64 s[4:5], -1
                                        ; implicit-def: $sgpr10
	s_and_saveexec_b64 s[8:9], s[12:13]
; %bb.3850:
	s_mov_b32 s10, 0x7f800001
	s_xor_b64 s[4:5], exec, -1
; %bb.3851:
	s_or_b64 exec, exec, s[8:9]
	s_and_b64 s[4:5], s[4:5], exec
	s_or_saveexec_b64 s[6:7], s[6:7]
	v_mov_b32_e32 v18, s10
	s_xor_b64 exec, exec, s[6:7]
	s_cbranch_execz .LBB23_1802
.LBB23_3852:
	v_mov_b32_e32 v18, 0
	v_cmp_ne_u16_sdwa s[8:9], v19, v18 src0_sel:BYTE_0 src1_sel:DWORD
	s_andn2_b64 s[4:5], s[4:5], exec
	s_and_b64 s[8:9], s[8:9], exec
	s_or_b64 s[4:5], s[4:5], s[8:9]
	s_or_b64 exec, exec, s[6:7]
	s_and_saveexec_b64 s[6:7], s[4:5]
	s_cbranch_execnz .LBB23_1803
	s_branch .LBB23_1804
.LBB23_3853:
	s_movk_i32 s4, 0x80
	v_cmp_eq_u16_sdwa s[12:13], v19, s4 src0_sel:BYTE_0 src1_sel:DWORD
	s_mov_b64 s[4:5], -1
                                        ; implicit-def: $sgpr10
	s_and_saveexec_b64 s[8:9], s[12:13]
; %bb.3854:
	s_mov_b32 s10, 0x7f800001
	s_xor_b64 s[4:5], exec, -1
; %bb.3855:
	s_or_b64 exec, exec, s[8:9]
	s_and_b64 s[4:5], s[4:5], exec
	s_or_saveexec_b64 s[6:7], s[6:7]
	v_mov_b32_e32 v20, s10
	s_xor_b64 exec, exec, s[6:7]
	s_cbranch_execz .LBB23_1806
.LBB23_3856:
	v_mov_b32_e32 v20, 0
	v_cmp_ne_u16_sdwa s[8:9], v19, v20 src0_sel:BYTE_0 src1_sel:DWORD
	s_andn2_b64 s[4:5], s[4:5], exec
	s_and_b64 s[8:9], s[8:9], exec
	s_or_b64 s[4:5], s[4:5], s[8:9]
	s_or_b64 exec, exec, s[6:7]
	s_and_saveexec_b64 s[6:7], s[4:5]
	s_cbranch_execnz .LBB23_1807
	s_branch .LBB23_1808
.LBB23_3857:
	s_movk_i32 s4, 0x80
	v_cmp_eq_u16_e32 vcc, s4, v19
	s_mov_b64 s[4:5], -1
                                        ; implicit-def: $sgpr10
	s_and_saveexec_b64 s[8:9], vcc
; %bb.3858:
	s_mov_b32 s10, 0x7f800001
	s_xor_b64 s[4:5], exec, -1
; %bb.3859:
	s_or_b64 exec, exec, s[8:9]
	s_and_b64 s[4:5], s[4:5], exec
                                        ; implicit-def: $vgpr19
	s_or_saveexec_b64 s[6:7], s[6:7]
	v_mov_b32_e32 v18, s10
	s_xor_b64 exec, exec, s[6:7]
	s_cbranch_execz .LBB23_1810
.LBB23_3860:
	v_cmp_ne_u16_e32 vcc, 0, v19
	s_andn2_b64 s[4:5], s[4:5], exec
	s_and_b64 s[8:9], vcc, exec
	v_mov_b32_e32 v18, 0
	s_or_b64 s[4:5], s[4:5], s[8:9]
	s_or_b64 exec, exec, s[6:7]
	s_and_saveexec_b64 s[6:7], s[4:5]
	s_cbranch_execnz .LBB23_1811
	s_branch .LBB23_1812
.LBB23_3861:
	s_movk_i32 s4, 0x80
	v_cmp_eq_u16_e32 vcc, s4, v19
	s_mov_b64 s[4:5], -1
                                        ; implicit-def: $sgpr10
	s_and_saveexec_b64 s[8:9], vcc
; %bb.3862:
	s_mov_b32 s10, 0x7f800001
	s_xor_b64 s[4:5], exec, -1
; %bb.3863:
	s_or_b64 exec, exec, s[8:9]
	s_and_b64 s[4:5], s[4:5], exec
                                        ; implicit-def: $vgpr19
	s_or_saveexec_b64 s[6:7], s[6:7]
	v_mov_b32_e32 v20, s10
	s_xor_b64 exec, exec, s[6:7]
	s_cbranch_execz .LBB23_1814
.LBB23_3864:
	v_cmp_ne_u16_e32 vcc, 0, v19
	s_andn2_b64 s[4:5], s[4:5], exec
	s_and_b64 s[8:9], vcc, exec
	v_mov_b32_e32 v20, 0
	s_or_b64 s[4:5], s[4:5], s[8:9]
	s_or_b64 exec, exec, s[6:7]
	s_and_saveexec_b64 s[6:7], s[4:5]
	s_cbranch_execnz .LBB23_1815
	s_branch .LBB23_1816
.LBB23_3865:
	s_movk_i32 s4, 0x80
	v_cmp_eq_u16_sdwa s[12:13], v12, s4 src0_sel:BYTE_3 src1_sel:DWORD
	s_mov_b64 s[4:5], -1
                                        ; implicit-def: $sgpr10
	s_and_saveexec_b64 s[8:9], s[12:13]
; %bb.3866:
	s_mov_b32 s10, 0x7f800001
	s_xor_b64 s[4:5], exec, -1
; %bb.3867:
	s_or_b64 exec, exec, s[8:9]
	s_and_b64 s[4:5], s[4:5], exec
	s_or_saveexec_b64 s[6:7], s[6:7]
	v_mov_b32_e32 v18, s10
	s_xor_b64 exec, exec, s[6:7]
	s_cbranch_execz .LBB23_1818
.LBB23_3868:
	v_mov_b32_e32 v18, 0
	v_cmp_ne_u16_sdwa s[8:9], v12, v18 src0_sel:BYTE_3 src1_sel:DWORD
	s_andn2_b64 s[4:5], s[4:5], exec
	s_and_b64 s[8:9], s[8:9], exec
	s_or_b64 s[4:5], s[4:5], s[8:9]
	s_or_b64 exec, exec, s[6:7]
	s_and_saveexec_b64 s[6:7], s[4:5]
	s_cbranch_execnz .LBB23_1819
	s_branch .LBB23_1820
.LBB23_3869:
	s_movk_i32 s4, 0x80
	v_cmp_eq_u16_sdwa s[12:13], v8, s4 src0_sel:BYTE_3 src1_sel:DWORD
	s_mov_b64 s[4:5], -1
                                        ; implicit-def: $sgpr10
	s_and_saveexec_b64 s[8:9], s[12:13]
; %bb.3870:
	s_mov_b32 s10, 0x7f800001
	s_xor_b64 s[4:5], exec, -1
; %bb.3871:
	s_or_b64 exec, exec, s[8:9]
	s_and_b64 s[4:5], s[4:5], exec
	s_or_saveexec_b64 s[6:7], s[6:7]
	v_mov_b32_e32 v12, s10
	s_xor_b64 exec, exec, s[6:7]
	s_cbranch_execz .LBB23_1822
.LBB23_3872:
	v_mov_b32_e32 v12, 0
	v_cmp_ne_u16_sdwa s[8:9], v8, v12 src0_sel:BYTE_3 src1_sel:DWORD
	s_andn2_b64 s[4:5], s[4:5], exec
	s_and_b64 s[8:9], s[8:9], exec
	s_or_b64 s[4:5], s[4:5], s[8:9]
	s_or_b64 exec, exec, s[6:7]
	s_and_saveexec_b64 s[6:7], s[4:5]
	s_cbranch_execnz .LBB23_1823
	s_branch .LBB23_1824
.LBB23_3873:
	s_movk_i32 s4, 0x80
	v_cmp_eq_u16_sdwa s[12:13], v13, s4 src0_sel:BYTE_0 src1_sel:DWORD
	s_mov_b64 s[4:5], -1
                                        ; implicit-def: $sgpr10
	s_and_saveexec_b64 s[8:9], s[12:13]
; %bb.3874:
	s_mov_b32 s10, 0x7f800001
	s_xor_b64 s[4:5], exec, -1
; %bb.3875:
	s_or_b64 exec, exec, s[8:9]
	s_and_b64 s[4:5], s[4:5], exec
	s_or_saveexec_b64 s[6:7], s[6:7]
	v_mov_b32_e32 v8, s10
	s_xor_b64 exec, exec, s[6:7]
	s_cbranch_execz .LBB23_1826
.LBB23_3876:
	v_mov_b32_e32 v8, 0
	v_cmp_ne_u16_sdwa s[8:9], v13, v8 src0_sel:BYTE_0 src1_sel:DWORD
	s_andn2_b64 s[4:5], s[4:5], exec
	s_and_b64 s[8:9], s[8:9], exec
	s_or_b64 s[4:5], s[4:5], s[8:9]
	s_or_b64 exec, exec, s[6:7]
	s_and_saveexec_b64 s[6:7], s[4:5]
	s_cbranch_execnz .LBB23_1827
	s_branch .LBB23_1828
.LBB23_3877:
	s_movk_i32 s4, 0x80
	v_cmp_eq_u16_sdwa s[12:13], v9, s4 src0_sel:BYTE_0 src1_sel:DWORD
	s_mov_b64 s[4:5], -1
                                        ; implicit-def: $sgpr10
	s_and_saveexec_b64 s[8:9], s[12:13]
; %bb.3878:
	s_mov_b32 s10, 0x7f800001
	s_xor_b64 s[4:5], exec, -1
; %bb.3879:
	s_or_b64 exec, exec, s[8:9]
	s_and_b64 s[4:5], s[4:5], exec
	s_or_saveexec_b64 s[6:7], s[6:7]
	v_mov_b32_e32 v12, s10
	s_xor_b64 exec, exec, s[6:7]
	s_cbranch_execz .LBB23_1830
.LBB23_3880:
	v_mov_b32_e32 v12, 0
	v_cmp_ne_u16_sdwa s[8:9], v9, v12 src0_sel:BYTE_0 src1_sel:DWORD
	s_andn2_b64 s[4:5], s[4:5], exec
	s_and_b64 s[8:9], s[8:9], exec
	s_or_b64 s[4:5], s[4:5], s[8:9]
	s_or_b64 exec, exec, s[6:7]
	s_and_saveexec_b64 s[6:7], s[4:5]
	s_cbranch_execnz .LBB23_1831
	s_branch .LBB23_1832
.LBB23_3881:
	s_movk_i32 s4, 0x80
	v_cmp_eq_u16_sdwa s[12:13], v12, s4 src0_sel:BYTE_0 src1_sel:DWORD
	s_mov_b64 s[4:5], -1
                                        ; implicit-def: $sgpr10
	s_and_saveexec_b64 s[8:9], s[12:13]
; %bb.3882:
	s_mov_b32 s10, 0x7f800001
	s_xor_b64 s[4:5], exec, -1
; %bb.3883:
	s_or_b64 exec, exec, s[8:9]
	s_and_b64 s[4:5], s[4:5], exec
	s_or_saveexec_b64 s[6:7], s[6:7]
	v_mov_b32_e32 v8, s10
	s_xor_b64 exec, exec, s[6:7]
	s_cbranch_execz .LBB23_1834
.LBB23_3884:
	v_mov_b32_e32 v8, 0
	v_cmp_ne_u16_sdwa s[8:9], v12, v8 src0_sel:BYTE_0 src1_sel:DWORD
	s_andn2_b64 s[4:5], s[4:5], exec
	s_and_b64 s[8:9], s[8:9], exec
	s_or_b64 s[4:5], s[4:5], s[8:9]
	s_or_b64 exec, exec, s[6:7]
	s_and_saveexec_b64 s[6:7], s[4:5]
	s_cbranch_execnz .LBB23_1835
	s_branch .LBB23_1836
.LBB23_3885:
	s_movk_i32 s4, 0x80
	v_cmp_eq_u16_sdwa s[12:13], v12, s4 src0_sel:BYTE_0 src1_sel:DWORD
	s_mov_b64 s[4:5], -1
                                        ; implicit-def: $sgpr10
	s_and_saveexec_b64 s[8:9], s[12:13]
; %bb.3886:
	s_mov_b32 s10, 0x7f800001
	s_xor_b64 s[4:5], exec, -1
; %bb.3887:
	s_or_b64 exec, exec, s[8:9]
	s_and_b64 s[4:5], s[4:5], exec
	s_or_saveexec_b64 s[6:7], s[6:7]
	v_mov_b32_e32 v18, s10
	s_xor_b64 exec, exec, s[6:7]
	s_cbranch_execz .LBB23_1838
.LBB23_3888:
	v_mov_b32_e32 v18, 0
	v_cmp_ne_u16_sdwa s[8:9], v12, v18 src0_sel:BYTE_0 src1_sel:DWORD
	s_andn2_b64 s[4:5], s[4:5], exec
	s_and_b64 s[8:9], s[8:9], exec
	s_or_b64 s[4:5], s[4:5], s[8:9]
	s_or_b64 exec, exec, s[6:7]
	s_and_saveexec_b64 s[6:7], s[4:5]
	s_cbranch_execnz .LBB23_1839
	s_branch .LBB23_1840
.LBB23_3889:
	s_movk_i32 s4, 0x80
	v_cmp_eq_u16_e32 vcc, s4, v12
	s_mov_b64 s[4:5], -1
                                        ; implicit-def: $sgpr10
	s_and_saveexec_b64 s[8:9], vcc
; %bb.3890:
	s_mov_b32 s10, 0x7f800001
	s_xor_b64 s[4:5], exec, -1
; %bb.3891:
	s_or_b64 exec, exec, s[8:9]
	s_and_b64 s[4:5], s[4:5], exec
                                        ; implicit-def: $vgpr12
	s_or_saveexec_b64 s[6:7], s[6:7]
	v_mov_b32_e32 v8, s10
	s_xor_b64 exec, exec, s[6:7]
	s_cbranch_execz .LBB23_1842
.LBB23_3892:
	v_cmp_ne_u16_e32 vcc, 0, v12
	s_andn2_b64 s[4:5], s[4:5], exec
	s_and_b64 s[8:9], vcc, exec
	v_mov_b32_e32 v8, 0
	s_or_b64 s[4:5], s[4:5], s[8:9]
	s_or_b64 exec, exec, s[6:7]
	s_and_saveexec_b64 s[6:7], s[4:5]
	s_cbranch_execnz .LBB23_1843
	s_branch .LBB23_1844
.LBB23_3893:
	s_movk_i32 s4, 0x80
	v_cmp_eq_u16_e32 vcc, s4, v12
	s_mov_b64 s[4:5], -1
                                        ; implicit-def: $sgpr10
	s_and_saveexec_b64 s[8:9], vcc
; %bb.3894:
	s_mov_b32 s10, 0x7f800001
	s_xor_b64 s[4:5], exec, -1
; %bb.3895:
	s_or_b64 exec, exec, s[8:9]
	s_and_b64 s[4:5], s[4:5], exec
                                        ; implicit-def: $vgpr12
	s_or_saveexec_b64 s[6:7], s[6:7]
	v_mov_b32_e32 v18, s10
	s_xor_b64 exec, exec, s[6:7]
	s_cbranch_execz .LBB23_1846
.LBB23_3896:
	v_cmp_ne_u16_e32 vcc, 0, v12
	s_andn2_b64 s[4:5], s[4:5], exec
	s_and_b64 s[8:9], vcc, exec
	v_mov_b32_e32 v18, 0
	s_or_b64 s[4:5], s[4:5], s[8:9]
	s_or_b64 exec, exec, s[6:7]
	s_and_saveexec_b64 s[6:7], s[4:5]
	s_cbranch_execnz .LBB23_1847
	s_branch .LBB23_1848
.LBB23_3897:
	s_movk_i32 s4, 0x80
	v_cmp_eq_u16_sdwa s[12:13], v13, s4 src0_sel:BYTE_3 src1_sel:DWORD
	s_mov_b64 s[4:5], -1
                                        ; implicit-def: $sgpr10
	s_and_saveexec_b64 s[8:9], s[12:13]
; %bb.3898:
	s_mov_b32 s10, 0x7f800001
	s_xor_b64 s[4:5], exec, -1
; %bb.3899:
	s_or_b64 exec, exec, s[8:9]
	s_and_b64 s[4:5], s[4:5], exec
	s_or_saveexec_b64 s[6:7], s[6:7]
	v_mov_b32_e32 v8, s10
	s_xor_b64 exec, exec, s[6:7]
	s_cbranch_execz .LBB23_1850
.LBB23_3900:
	v_mov_b32_e32 v8, 0
	v_cmp_ne_u16_sdwa s[8:9], v13, v8 src0_sel:BYTE_3 src1_sel:DWORD
	s_andn2_b64 s[4:5], s[4:5], exec
	s_and_b64 s[8:9], s[8:9], exec
	s_or_b64 s[4:5], s[4:5], s[8:9]
	s_or_b64 exec, exec, s[6:7]
	s_and_saveexec_b64 s[6:7], s[4:5]
	s_cbranch_execnz .LBB23_1851
	s_branch .LBB23_1852
.LBB23_3901:
	s_movk_i32 s4, 0x80
	v_cmp_eq_u16_sdwa s[12:13], v9, s4 src0_sel:BYTE_3 src1_sel:DWORD
	s_mov_b64 s[4:5], -1
                                        ; implicit-def: $sgpr10
	s_and_saveexec_b64 s[8:9], s[12:13]
; %bb.3902:
	s_mov_b32 s10, 0x7f800001
	s_xor_b64 s[4:5], exec, -1
; %bb.3903:
	s_or_b64 exec, exec, s[8:9]
	s_and_b64 s[4:5], s[4:5], exec
	s_or_saveexec_b64 s[6:7], s[6:7]
	v_mov_b32_e32 v12, s10
	s_xor_b64 exec, exec, s[6:7]
	s_cbranch_execz .LBB23_1854
.LBB23_3904:
	v_mov_b32_e32 v12, 0
	v_cmp_ne_u16_sdwa s[8:9], v9, v12 src0_sel:BYTE_3 src1_sel:DWORD
	s_andn2_b64 s[4:5], s[4:5], exec
	s_and_b64 s[8:9], s[8:9], exec
	s_or_b64 s[4:5], s[4:5], s[8:9]
	s_or_b64 exec, exec, s[6:7]
	s_and_saveexec_b64 s[6:7], s[4:5]
	s_cbranch_execnz .LBB23_1855
	s_branch .LBB23_1856
.LBB23_3905:
	s_movk_i32 s4, 0x80
	v_cmp_eq_u16_sdwa s[12:13], v14, s4 src0_sel:BYTE_0 src1_sel:DWORD
	s_mov_b64 s[4:5], -1
                                        ; implicit-def: $sgpr10
	s_and_saveexec_b64 s[8:9], s[12:13]
; %bb.3906:
	s_mov_b32 s10, 0x7f800001
	s_xor_b64 s[4:5], exec, -1
; %bb.3907:
	s_or_b64 exec, exec, s[8:9]
	s_and_b64 s[4:5], s[4:5], exec
	s_or_saveexec_b64 s[6:7], s[6:7]
	v_mov_b32_e32 v8, s10
	s_xor_b64 exec, exec, s[6:7]
	s_cbranch_execz .LBB23_1858
.LBB23_3908:
	v_mov_b32_e32 v8, 0
	v_cmp_ne_u16_sdwa s[8:9], v14, v8 src0_sel:BYTE_0 src1_sel:DWORD
	s_andn2_b64 s[4:5], s[4:5], exec
	s_and_b64 s[8:9], s[8:9], exec
	s_or_b64 s[4:5], s[4:5], s[8:9]
	s_or_b64 exec, exec, s[6:7]
	s_and_saveexec_b64 s[6:7], s[4:5]
	s_cbranch_execnz .LBB23_1859
	s_branch .LBB23_1860
.LBB23_3909:
	s_movk_i32 s4, 0x80
	v_cmp_eq_u16_sdwa s[12:13], v10, s4 src0_sel:BYTE_0 src1_sel:DWORD
	s_mov_b64 s[4:5], -1
                                        ; implicit-def: $sgpr10
	s_and_saveexec_b64 s[8:9], s[12:13]
; %bb.3910:
	s_mov_b32 s10, 0x7f800001
	s_xor_b64 s[4:5], exec, -1
; %bb.3911:
	s_or_b64 exec, exec, s[8:9]
	s_and_b64 s[4:5], s[4:5], exec
	s_or_saveexec_b64 s[6:7], s[6:7]
	v_mov_b32_e32 v9, s10
	s_xor_b64 exec, exec, s[6:7]
	s_cbranch_execz .LBB23_1862
.LBB23_3912:
	v_mov_b32_e32 v9, 0
	v_cmp_ne_u16_sdwa s[8:9], v10, v9 src0_sel:BYTE_0 src1_sel:DWORD
	s_andn2_b64 s[4:5], s[4:5], exec
	s_and_b64 s[8:9], s[8:9], exec
	s_or_b64 s[4:5], s[4:5], s[8:9]
	s_or_b64 exec, exec, s[6:7]
	s_and_saveexec_b64 s[6:7], s[4:5]
	s_cbranch_execnz .LBB23_1863
	s_branch .LBB23_1864
.LBB23_3913:
	s_movk_i32 s4, 0x80
	v_cmp_eq_u16_sdwa s[12:13], v9, s4 src0_sel:BYTE_0 src1_sel:DWORD
	s_mov_b64 s[4:5], -1
                                        ; implicit-def: $sgpr10
	s_and_saveexec_b64 s[8:9], s[12:13]
; %bb.3914:
	s_mov_b32 s10, 0x7f800001
	s_xor_b64 s[4:5], exec, -1
; %bb.3915:
	s_or_b64 exec, exec, s[8:9]
	s_and_b64 s[4:5], s[4:5], exec
	s_or_saveexec_b64 s[6:7], s[6:7]
	v_mov_b32_e32 v8, s10
	s_xor_b64 exec, exec, s[6:7]
	s_cbranch_execz .LBB23_1866
.LBB23_3916:
	v_mov_b32_e32 v8, 0
	v_cmp_ne_u16_sdwa s[8:9], v9, v8 src0_sel:BYTE_0 src1_sel:DWORD
	s_andn2_b64 s[4:5], s[4:5], exec
	s_and_b64 s[8:9], s[8:9], exec
	s_or_b64 s[4:5], s[4:5], s[8:9]
	s_or_b64 exec, exec, s[6:7]
	s_and_saveexec_b64 s[6:7], s[4:5]
	s_cbranch_execnz .LBB23_1867
	s_branch .LBB23_1868
.LBB23_3917:
	s_movk_i32 s4, 0x80
	v_cmp_eq_u16_sdwa s[12:13], v9, s4 src0_sel:BYTE_0 src1_sel:DWORD
	s_mov_b64 s[4:5], -1
                                        ; implicit-def: $sgpr10
	s_and_saveexec_b64 s[8:9], s[12:13]
; %bb.3918:
	s_mov_b32 s10, 0x7f800001
	s_xor_b64 s[4:5], exec, -1
; %bb.3919:
	s_or_b64 exec, exec, s[8:9]
	s_and_b64 s[4:5], s[4:5], exec
	s_or_saveexec_b64 s[6:7], s[6:7]
	v_mov_b32_e32 v12, s10
	s_xor_b64 exec, exec, s[6:7]
	s_cbranch_execz .LBB23_1870
.LBB23_3920:
	v_mov_b32_e32 v12, 0
	v_cmp_ne_u16_sdwa s[8:9], v9, v12 src0_sel:BYTE_0 src1_sel:DWORD
	s_andn2_b64 s[4:5], s[4:5], exec
	s_and_b64 s[8:9], s[8:9], exec
	s_or_b64 s[4:5], s[4:5], s[8:9]
	s_or_b64 exec, exec, s[6:7]
	s_and_saveexec_b64 s[6:7], s[4:5]
	s_cbranch_execnz .LBB23_1871
	s_branch .LBB23_1872
.LBB23_3921:
	s_movk_i32 s4, 0x80
	v_cmp_eq_u16_e32 vcc, s4, v9
	s_mov_b64 s[4:5], -1
                                        ; implicit-def: $sgpr10
	s_and_saveexec_b64 s[8:9], vcc
; %bb.3922:
	s_mov_b32 s10, 0x7f800001
	s_xor_b64 s[4:5], exec, -1
; %bb.3923:
	s_or_b64 exec, exec, s[8:9]
	s_and_b64 s[4:5], s[4:5], exec
                                        ; implicit-def: $vgpr9
	s_or_saveexec_b64 s[6:7], s[6:7]
	v_mov_b32_e32 v8, s10
	s_xor_b64 exec, exec, s[6:7]
	s_cbranch_execz .LBB23_1874
.LBB23_3924:
	v_cmp_ne_u16_e32 vcc, 0, v9
	s_andn2_b64 s[4:5], s[4:5], exec
	s_and_b64 s[8:9], vcc, exec
	v_mov_b32_e32 v8, 0
	s_or_b64 s[4:5], s[4:5], s[8:9]
	s_or_b64 exec, exec, s[6:7]
	s_and_saveexec_b64 s[6:7], s[4:5]
	s_cbranch_execnz .LBB23_1875
	s_branch .LBB23_1876
.LBB23_3925:
	s_movk_i32 s4, 0x80
	v_cmp_eq_u16_e32 vcc, s4, v9
	s_mov_b64 s[4:5], -1
                                        ; implicit-def: $sgpr10
	s_and_saveexec_b64 s[8:9], vcc
; %bb.3926:
	s_mov_b32 s10, 0x7f800001
	s_xor_b64 s[4:5], exec, -1
; %bb.3927:
	s_or_b64 exec, exec, s[8:9]
	s_and_b64 s[4:5], s[4:5], exec
                                        ; implicit-def: $vgpr9
	s_or_saveexec_b64 s[6:7], s[6:7]
	v_mov_b32_e32 v12, s10
	s_xor_b64 exec, exec, s[6:7]
	s_cbranch_execz .LBB23_1878
.LBB23_3928:
	v_cmp_ne_u16_e32 vcc, 0, v9
	s_andn2_b64 s[4:5], s[4:5], exec
	s_and_b64 s[8:9], vcc, exec
	v_mov_b32_e32 v12, 0
	s_or_b64 s[4:5], s[4:5], s[8:9]
	s_or_b64 exec, exec, s[6:7]
	s_and_saveexec_b64 s[6:7], s[4:5]
	s_cbranch_execnz .LBB23_1879
	s_branch .LBB23_1880
.LBB23_3929:
	s_movk_i32 s4, 0x80
	v_cmp_eq_u16_sdwa s[12:13], v14, s4 src0_sel:BYTE_3 src1_sel:DWORD
	s_mov_b64 s[4:5], -1
                                        ; implicit-def: $sgpr10
	s_and_saveexec_b64 s[8:9], s[12:13]
; %bb.3930:
	s_mov_b32 s10, 0x7f800001
	s_xor_b64 s[4:5], exec, -1
; %bb.3931:
	s_or_b64 exec, exec, s[8:9]
	s_and_b64 s[4:5], s[4:5], exec
	s_or_saveexec_b64 s[6:7], s[6:7]
	v_mov_b32_e32 v8, s10
	s_xor_b64 exec, exec, s[6:7]
	s_cbranch_execz .LBB23_1882
.LBB23_3932:
	v_mov_b32_e32 v8, 0
	v_cmp_ne_u16_sdwa s[8:9], v14, v8 src0_sel:BYTE_3 src1_sel:DWORD
	s_andn2_b64 s[4:5], s[4:5], exec
	s_and_b64 s[8:9], s[8:9], exec
	s_or_b64 s[4:5], s[4:5], s[8:9]
	s_or_b64 exec, exec, s[6:7]
	s_and_saveexec_b64 s[6:7], s[4:5]
	s_cbranch_execnz .LBB23_1883
	s_branch .LBB23_1884
.LBB23_3933:
	s_movk_i32 s4, 0x80
	v_cmp_eq_u16_sdwa s[12:13], v10, s4 src0_sel:BYTE_3 src1_sel:DWORD
	s_mov_b64 s[4:5], -1
                                        ; implicit-def: $sgpr10
	s_and_saveexec_b64 s[8:9], s[12:13]
; %bb.3934:
	s_mov_b32 s10, 0x7f800001
	s_xor_b64 s[4:5], exec, -1
; %bb.3935:
	s_or_b64 exec, exec, s[8:9]
	s_and_b64 s[4:5], s[4:5], exec
	s_or_saveexec_b64 s[6:7], s[6:7]
	v_mov_b32_e32 v9, s10
	s_xor_b64 exec, exec, s[6:7]
	s_cbranch_execz .LBB23_1886
.LBB23_3936:
	v_mov_b32_e32 v9, 0
	v_cmp_ne_u16_sdwa s[8:9], v10, v9 src0_sel:BYTE_3 src1_sel:DWORD
	s_andn2_b64 s[4:5], s[4:5], exec
	s_and_b64 s[8:9], s[8:9], exec
	s_or_b64 s[4:5], s[4:5], s[8:9]
	s_or_b64 exec, exec, s[6:7]
	s_and_saveexec_b64 s[6:7], s[4:5]
	s_cbranch_execnz .LBB23_1887
	s_branch .LBB23_1888
.LBB23_3937:
	s_movk_i32 s4, 0x80
	v_cmp_eq_u16_sdwa s[12:13], v15, s4 src0_sel:BYTE_0 src1_sel:DWORD
	s_mov_b64 s[4:5], -1
                                        ; implicit-def: $sgpr10
	s_and_saveexec_b64 s[8:9], s[12:13]
; %bb.3938:
	s_mov_b32 s10, 0x7f800001
	s_xor_b64 s[4:5], exec, -1
; %bb.3939:
	s_or_b64 exec, exec, s[8:9]
	s_and_b64 s[4:5], s[4:5], exec
	s_or_saveexec_b64 s[6:7], s[6:7]
	v_mov_b32_e32 v8, s10
	s_xor_b64 exec, exec, s[6:7]
	s_cbranch_execz .LBB23_1890
.LBB23_3940:
	v_mov_b32_e32 v8, 0
	v_cmp_ne_u16_sdwa s[8:9], v15, v8 src0_sel:BYTE_0 src1_sel:DWORD
	s_andn2_b64 s[4:5], s[4:5], exec
	s_and_b64 s[8:9], s[8:9], exec
	s_or_b64 s[4:5], s[4:5], s[8:9]
	s_or_b64 exec, exec, s[6:7]
	s_and_saveexec_b64 s[6:7], s[4:5]
	s_cbranch_execnz .LBB23_1891
	s_branch .LBB23_1892
.LBB23_3941:
	s_movk_i32 s4, 0x80
	v_cmp_eq_u16_sdwa s[12:13], v11, s4 src0_sel:BYTE_0 src1_sel:DWORD
	s_mov_b64 s[4:5], -1
                                        ; implicit-def: $sgpr10
	s_and_saveexec_b64 s[8:9], s[12:13]
; %bb.3942:
	s_mov_b32 s10, 0x7f800001
	s_xor_b64 s[4:5], exec, -1
; %bb.3943:
	s_or_b64 exec, exec, s[8:9]
	s_and_b64 s[4:5], s[4:5], exec
	s_or_saveexec_b64 s[6:7], s[6:7]
	v_mov_b32_e32 v9, s10
	s_xor_b64 exec, exec, s[6:7]
	s_cbranch_execz .LBB23_1894
.LBB23_3944:
	v_mov_b32_e32 v9, 0
	v_cmp_ne_u16_sdwa s[8:9], v11, v9 src0_sel:BYTE_0 src1_sel:DWORD
	s_andn2_b64 s[4:5], s[4:5], exec
	s_and_b64 s[8:9], s[8:9], exec
	s_or_b64 s[4:5], s[4:5], s[8:9]
	s_or_b64 exec, exec, s[6:7]
	s_and_saveexec_b64 s[6:7], s[4:5]
	s_cbranch_execnz .LBB23_1895
	s_branch .LBB23_1896
.LBB23_3945:
	s_movk_i32 s4, 0x80
	v_cmp_eq_u16_sdwa s[12:13], v9, s4 src0_sel:BYTE_0 src1_sel:DWORD
	s_mov_b64 s[4:5], -1
                                        ; implicit-def: $sgpr10
	s_and_saveexec_b64 s[8:9], s[12:13]
; %bb.3946:
	s_mov_b32 s10, 0x7f800001
	s_xor_b64 s[4:5], exec, -1
; %bb.3947:
	s_or_b64 exec, exec, s[8:9]
	s_and_b64 s[4:5], s[4:5], exec
	s_or_saveexec_b64 s[6:7], s[6:7]
	v_mov_b32_e32 v8, s10
	s_xor_b64 exec, exec, s[6:7]
	s_cbranch_execz .LBB23_1898
.LBB23_3948:
	v_mov_b32_e32 v8, 0
	v_cmp_ne_u16_sdwa s[8:9], v9, v8 src0_sel:BYTE_0 src1_sel:DWORD
	s_andn2_b64 s[4:5], s[4:5], exec
	s_and_b64 s[8:9], s[8:9], exec
	s_or_b64 s[4:5], s[4:5], s[8:9]
	s_or_b64 exec, exec, s[6:7]
	s_and_saveexec_b64 s[6:7], s[4:5]
	s_cbranch_execnz .LBB23_1899
	s_branch .LBB23_1900
.LBB23_3949:
	s_movk_i32 s4, 0x80
	v_cmp_eq_u16_sdwa s[12:13], v9, s4 src0_sel:BYTE_0 src1_sel:DWORD
	s_mov_b64 s[4:5], -1
                                        ; implicit-def: $sgpr10
	s_and_saveexec_b64 s[8:9], s[12:13]
; %bb.3950:
	s_mov_b32 s10, 0x7f800001
	s_xor_b64 s[4:5], exec, -1
; %bb.3951:
	s_or_b64 exec, exec, s[8:9]
	s_and_b64 s[4:5], s[4:5], exec
	s_or_saveexec_b64 s[6:7], s[6:7]
	v_mov_b32_e32 v10, s10
	s_xor_b64 exec, exec, s[6:7]
	s_cbranch_execz .LBB23_1902
.LBB23_3952:
	v_mov_b32_e32 v10, 0
	v_cmp_ne_u16_sdwa s[8:9], v9, v10 src0_sel:BYTE_0 src1_sel:DWORD
	s_andn2_b64 s[4:5], s[4:5], exec
	s_and_b64 s[8:9], s[8:9], exec
	s_or_b64 s[4:5], s[4:5], s[8:9]
	s_or_b64 exec, exec, s[6:7]
	s_and_saveexec_b64 s[6:7], s[4:5]
	s_cbranch_execnz .LBB23_1903
	s_branch .LBB23_1904
.LBB23_3953:
	s_movk_i32 s4, 0x80
	v_cmp_eq_u16_e32 vcc, s4, v9
	s_mov_b64 s[4:5], -1
                                        ; implicit-def: $sgpr10
	s_and_saveexec_b64 s[8:9], vcc
; %bb.3954:
	s_mov_b32 s10, 0x7f800001
	s_xor_b64 s[4:5], exec, -1
; %bb.3955:
	s_or_b64 exec, exec, s[8:9]
	s_and_b64 s[4:5], s[4:5], exec
                                        ; implicit-def: $vgpr9
	s_or_saveexec_b64 s[6:7], s[6:7]
	v_mov_b32_e32 v8, s10
	s_xor_b64 exec, exec, s[6:7]
	s_cbranch_execz .LBB23_1906
.LBB23_3956:
	v_cmp_ne_u16_e32 vcc, 0, v9
	s_andn2_b64 s[4:5], s[4:5], exec
	s_and_b64 s[8:9], vcc, exec
	v_mov_b32_e32 v8, 0
	s_or_b64 s[4:5], s[4:5], s[8:9]
	s_or_b64 exec, exec, s[6:7]
	s_and_saveexec_b64 s[6:7], s[4:5]
	s_cbranch_execnz .LBB23_1907
	s_branch .LBB23_1908
.LBB23_3957:
	s_movk_i32 s4, 0x80
	v_cmp_eq_u16_e32 vcc, s4, v9
	s_mov_b64 s[4:5], -1
                                        ; implicit-def: $sgpr10
	s_and_saveexec_b64 s[8:9], vcc
; %bb.3958:
	s_mov_b32 s10, 0x7f800001
	s_xor_b64 s[4:5], exec, -1
; %bb.3959:
	s_or_b64 exec, exec, s[8:9]
	s_and_b64 s[4:5], s[4:5], exec
                                        ; implicit-def: $vgpr9
	s_or_saveexec_b64 s[6:7], s[6:7]
	v_mov_b32_e32 v10, s10
	s_xor_b64 exec, exec, s[6:7]
	s_cbranch_execz .LBB23_1910
.LBB23_3960:
	v_cmp_ne_u16_e32 vcc, 0, v9
	s_andn2_b64 s[4:5], s[4:5], exec
	s_and_b64 s[8:9], vcc, exec
	v_mov_b32_e32 v10, 0
	s_or_b64 s[4:5], s[4:5], s[8:9]
	s_or_b64 exec, exec, s[6:7]
	s_and_saveexec_b64 s[6:7], s[4:5]
	s_cbranch_execnz .LBB23_1911
	s_branch .LBB23_1912
.LBB23_3961:
	s_movk_i32 s4, 0x80
	v_cmp_eq_u16_sdwa s[12:13], v15, s4 src0_sel:BYTE_3 src1_sel:DWORD
	s_mov_b64 s[4:5], -1
                                        ; implicit-def: $sgpr10
	s_and_saveexec_b64 s[8:9], s[12:13]
; %bb.3962:
	s_mov_b32 s10, 0x7f800001
	s_xor_b64 s[4:5], exec, -1
; %bb.3963:
	s_or_b64 exec, exec, s[8:9]
	s_and_b64 s[4:5], s[4:5], exec
	s_or_saveexec_b64 s[6:7], s[6:7]
	v_mov_b32_e32 v8, s10
	s_xor_b64 exec, exec, s[6:7]
	s_cbranch_execz .LBB23_1914
.LBB23_3964:
	v_mov_b32_e32 v8, 0
	v_cmp_ne_u16_sdwa s[8:9], v15, v8 src0_sel:BYTE_3 src1_sel:DWORD
	s_andn2_b64 s[4:5], s[4:5], exec
	s_and_b64 s[8:9], s[8:9], exec
	s_or_b64 s[4:5], s[4:5], s[8:9]
	s_or_b64 exec, exec, s[6:7]
	s_and_saveexec_b64 s[6:7], s[4:5]
	s_cbranch_execnz .LBB23_1915
	s_branch .LBB23_1916
.LBB23_3965:
	s_movk_i32 s4, 0x80
	v_cmp_eq_u16_sdwa s[12:13], v11, s4 src0_sel:BYTE_3 src1_sel:DWORD
	s_mov_b64 s[4:5], -1
                                        ; implicit-def: $sgpr10
	s_and_saveexec_b64 s[8:9], s[12:13]
; %bb.3966:
	s_mov_b32 s10, 0x7f800001
	s_xor_b64 s[4:5], exec, -1
; %bb.3967:
	s_or_b64 exec, exec, s[8:9]
	s_and_b64 s[4:5], s[4:5], exec
	s_or_saveexec_b64 s[6:7], s[6:7]
	v_mov_b32_e32 v9, s10
	s_xor_b64 exec, exec, s[6:7]
	s_cbranch_execz .LBB23_1918
.LBB23_3968:
	v_mov_b32_e32 v9, 0
	v_cmp_ne_u16_sdwa s[8:9], v11, v9 src0_sel:BYTE_3 src1_sel:DWORD
	s_andn2_b64 s[4:5], s[4:5], exec
	s_and_b64 s[8:9], s[8:9], exec
	s_or_b64 s[4:5], s[4:5], s[8:9]
	s_or_b64 exec, exec, s[6:7]
	s_and_saveexec_b64 s[6:7], s[4:5]
	s_cbranch_execnz .LBB23_1919
	s_branch .LBB23_1920
.LBB23_3969:
	s_movk_i32 s4, 0x80
	v_cmp_eq_u16_sdwa s[12:13], v4, s4 src0_sel:BYTE_0 src1_sel:DWORD
	s_mov_b64 s[4:5], -1
                                        ; implicit-def: $sgpr10
	s_and_saveexec_b64 s[8:9], s[12:13]
; %bb.3970:
	s_mov_b32 s10, 0x7f800001
	s_xor_b64 s[4:5], exec, -1
; %bb.3971:
	s_or_b64 exec, exec, s[8:9]
	s_and_b64 s[4:5], s[4:5], exec
	s_or_saveexec_b64 s[6:7], s[6:7]
	v_mov_b32_e32 v8, s10
	s_xor_b64 exec, exec, s[6:7]
	s_cbranch_execz .LBB23_1922
.LBB23_3972:
	v_mov_b32_e32 v8, 0
	v_cmp_ne_u16_sdwa s[8:9], v4, v8 src0_sel:BYTE_0 src1_sel:DWORD
	s_andn2_b64 s[4:5], s[4:5], exec
	s_and_b64 s[8:9], s[8:9], exec
	s_or_b64 s[4:5], s[4:5], s[8:9]
	s_or_b64 exec, exec, s[6:7]
	s_and_saveexec_b64 s[6:7], s[4:5]
	s_cbranch_execnz .LBB23_1923
	s_branch .LBB23_1924
.LBB23_3973:
	s_movk_i32 s4, 0x80
	v_cmp_eq_u16_sdwa s[12:13], v0, s4 src0_sel:BYTE_0 src1_sel:DWORD
	s_mov_b64 s[4:5], -1
                                        ; implicit-def: $sgpr10
	s_and_saveexec_b64 s[8:9], s[12:13]
; %bb.3974:
	s_mov_b32 s10, 0x7f800001
	s_xor_b64 s[4:5], exec, -1
; %bb.3975:
	s_or_b64 exec, exec, s[8:9]
	s_and_b64 s[4:5], s[4:5], exec
	s_or_saveexec_b64 s[6:7], s[6:7]
	v_mov_b32_e32 v9, s10
	s_xor_b64 exec, exec, s[6:7]
	s_cbranch_execz .LBB23_1926
.LBB23_3976:
	v_mov_b32_e32 v9, 0
	v_cmp_ne_u16_sdwa s[8:9], v0, v9 src0_sel:BYTE_0 src1_sel:DWORD
	s_andn2_b64 s[4:5], s[4:5], exec
	s_and_b64 s[8:9], s[8:9], exec
	s_or_b64 s[4:5], s[4:5], s[8:9]
	s_or_b64 exec, exec, s[6:7]
	s_and_saveexec_b64 s[6:7], s[4:5]
	s_cbranch_execnz .LBB23_1927
	s_branch .LBB23_1928
.LBB23_3977:
	s_movk_i32 s4, 0x80
	v_cmp_eq_u16_sdwa s[12:13], v9, s4 src0_sel:BYTE_0 src1_sel:DWORD
	s_mov_b64 s[4:5], -1
                                        ; implicit-def: $sgpr10
	s_and_saveexec_b64 s[8:9], s[12:13]
; %bb.3978:
	s_mov_b32 s10, 0x7f800001
	s_xor_b64 s[4:5], exec, -1
; %bb.3979:
	s_or_b64 exec, exec, s[8:9]
	s_and_b64 s[4:5], s[4:5], exec
	s_or_saveexec_b64 s[6:7], s[6:7]
	v_mov_b32_e32 v8, s10
	s_xor_b64 exec, exec, s[6:7]
	s_cbranch_execz .LBB23_1930
.LBB23_3980:
	v_mov_b32_e32 v8, 0
	v_cmp_ne_u16_sdwa s[8:9], v9, v8 src0_sel:BYTE_0 src1_sel:DWORD
	s_andn2_b64 s[4:5], s[4:5], exec
	s_and_b64 s[8:9], s[8:9], exec
	s_or_b64 s[4:5], s[4:5], s[8:9]
	s_or_b64 exec, exec, s[6:7]
	s_and_saveexec_b64 s[6:7], s[4:5]
	s_cbranch_execnz .LBB23_1931
	s_branch .LBB23_1932
.LBB23_3981:
	s_movk_i32 s4, 0x80
	v_cmp_eq_u16_sdwa s[12:13], v9, s4 src0_sel:BYTE_0 src1_sel:DWORD
	s_mov_b64 s[4:5], -1
                                        ; implicit-def: $sgpr10
	s_and_saveexec_b64 s[8:9], s[12:13]
; %bb.3982:
	s_mov_b32 s10, 0x7f800001
	s_xor_b64 s[4:5], exec, -1
; %bb.3983:
	s_or_b64 exec, exec, s[8:9]
	s_and_b64 s[4:5], s[4:5], exec
	s_or_saveexec_b64 s[6:7], s[6:7]
	v_mov_b32_e32 v10, s10
	s_xor_b64 exec, exec, s[6:7]
	s_cbranch_execz .LBB23_1934
.LBB23_3984:
	v_mov_b32_e32 v10, 0
	v_cmp_ne_u16_sdwa s[8:9], v9, v10 src0_sel:BYTE_0 src1_sel:DWORD
	s_andn2_b64 s[4:5], s[4:5], exec
	s_and_b64 s[8:9], s[8:9], exec
	s_or_b64 s[4:5], s[4:5], s[8:9]
	s_or_b64 exec, exec, s[6:7]
	s_and_saveexec_b64 s[6:7], s[4:5]
	s_cbranch_execnz .LBB23_1935
	s_branch .LBB23_1936
.LBB23_3985:
	s_movk_i32 s4, 0x80
	v_cmp_eq_u16_e32 vcc, s4, v9
	s_mov_b64 s[4:5], -1
                                        ; implicit-def: $sgpr10
	s_and_saveexec_b64 s[8:9], vcc
; %bb.3986:
	s_mov_b32 s10, 0x7f800001
	s_xor_b64 s[4:5], exec, -1
; %bb.3987:
	s_or_b64 exec, exec, s[8:9]
	s_and_b64 s[4:5], s[4:5], exec
                                        ; implicit-def: $vgpr9
	s_or_saveexec_b64 s[6:7], s[6:7]
	v_mov_b32_e32 v8, s10
	s_xor_b64 exec, exec, s[6:7]
	s_cbranch_execz .LBB23_1938
.LBB23_3988:
	v_cmp_ne_u16_e32 vcc, 0, v9
	s_andn2_b64 s[4:5], s[4:5], exec
	s_and_b64 s[8:9], vcc, exec
	v_mov_b32_e32 v8, 0
	s_or_b64 s[4:5], s[4:5], s[8:9]
	s_or_b64 exec, exec, s[6:7]
	s_and_saveexec_b64 s[6:7], s[4:5]
	s_cbranch_execnz .LBB23_1939
	s_branch .LBB23_1940
.LBB23_3989:
	s_movk_i32 s4, 0x80
	v_cmp_eq_u16_e32 vcc, s4, v9
	s_mov_b64 s[4:5], -1
                                        ; implicit-def: $sgpr10
	s_and_saveexec_b64 s[8:9], vcc
; %bb.3990:
	s_mov_b32 s10, 0x7f800001
	s_xor_b64 s[4:5], exec, -1
; %bb.3991:
	s_or_b64 exec, exec, s[8:9]
	s_and_b64 s[4:5], s[4:5], exec
                                        ; implicit-def: $vgpr9
	s_or_saveexec_b64 s[6:7], s[6:7]
	v_mov_b32_e32 v10, s10
	s_xor_b64 exec, exec, s[6:7]
	s_cbranch_execz .LBB23_1942
.LBB23_3992:
	v_cmp_ne_u16_e32 vcc, 0, v9
	s_andn2_b64 s[4:5], s[4:5], exec
	s_and_b64 s[8:9], vcc, exec
	v_mov_b32_e32 v10, 0
	s_or_b64 s[4:5], s[4:5], s[8:9]
	s_or_b64 exec, exec, s[6:7]
	s_and_saveexec_b64 s[6:7], s[4:5]
	s_cbranch_execnz .LBB23_1943
	s_branch .LBB23_1944
.LBB23_3993:
	s_movk_i32 s4, 0x80
	v_cmp_eq_u16_sdwa s[12:13], v4, s4 src0_sel:BYTE_3 src1_sel:DWORD
	s_mov_b64 s[4:5], -1
                                        ; implicit-def: $sgpr10
	s_and_saveexec_b64 s[8:9], s[12:13]
; %bb.3994:
	s_mov_b32 s10, 0x7f800001
	s_xor_b64 s[4:5], exec, -1
; %bb.3995:
	s_or_b64 exec, exec, s[8:9]
	s_and_b64 s[4:5], s[4:5], exec
	s_or_saveexec_b64 s[6:7], s[6:7]
	v_mov_b32_e32 v8, s10
	s_xor_b64 exec, exec, s[6:7]
	s_cbranch_execz .LBB23_1946
.LBB23_3996:
	v_mov_b32_e32 v8, 0
	v_cmp_ne_u16_sdwa s[8:9], v4, v8 src0_sel:BYTE_3 src1_sel:DWORD
	s_andn2_b64 s[4:5], s[4:5], exec
	s_and_b64 s[8:9], s[8:9], exec
	s_or_b64 s[4:5], s[4:5], s[8:9]
	s_or_b64 exec, exec, s[6:7]
	s_and_saveexec_b64 s[6:7], s[4:5]
	s_cbranch_execnz .LBB23_1947
	s_branch .LBB23_1948
.LBB23_3997:
	s_movk_i32 s4, 0x80
	v_cmp_eq_u16_sdwa s[12:13], v0, s4 src0_sel:BYTE_3 src1_sel:DWORD
	s_mov_b64 s[4:5], -1
                                        ; implicit-def: $sgpr10
	s_and_saveexec_b64 s[8:9], s[12:13]
; %bb.3998:
	s_mov_b32 s10, 0x7f800001
	s_xor_b64 s[4:5], exec, -1
; %bb.3999:
	s_or_b64 exec, exec, s[8:9]
	s_and_b64 s[4:5], s[4:5], exec
	s_or_saveexec_b64 s[6:7], s[6:7]
	v_mov_b32_e32 v4, s10
	s_xor_b64 exec, exec, s[6:7]
	s_cbranch_execz .LBB23_1950
.LBB23_4000:
	v_mov_b32_e32 v4, 0
	v_cmp_ne_u16_sdwa s[8:9], v0, v4 src0_sel:BYTE_3 src1_sel:DWORD
	s_andn2_b64 s[4:5], s[4:5], exec
	s_and_b64 s[8:9], s[8:9], exec
	s_or_b64 s[4:5], s[4:5], s[8:9]
	s_or_b64 exec, exec, s[6:7]
	s_and_saveexec_b64 s[6:7], s[4:5]
	s_cbranch_execnz .LBB23_1951
	s_branch .LBB23_1952
.LBB23_4001:
	s_movk_i32 s4, 0x80
	v_cmp_eq_u16_sdwa s[12:13], v5, s4 src0_sel:BYTE_0 src1_sel:DWORD
	s_mov_b64 s[4:5], -1
                                        ; implicit-def: $sgpr10
	s_and_saveexec_b64 s[8:9], s[12:13]
; %bb.4002:
	s_mov_b32 s10, 0x7f800001
	s_xor_b64 s[4:5], exec, -1
; %bb.4003:
	s_or_b64 exec, exec, s[8:9]
	s_and_b64 s[4:5], s[4:5], exec
	s_or_saveexec_b64 s[6:7], s[6:7]
	v_mov_b32_e32 v0, s10
	s_xor_b64 exec, exec, s[6:7]
	s_cbranch_execz .LBB23_1954
.LBB23_4004:
	v_mov_b32_e32 v0, 0
	v_cmp_ne_u16_sdwa s[8:9], v5, v0 src0_sel:BYTE_0 src1_sel:DWORD
	s_andn2_b64 s[4:5], s[4:5], exec
	s_and_b64 s[8:9], s[8:9], exec
	s_or_b64 s[4:5], s[4:5], s[8:9]
	s_or_b64 exec, exec, s[6:7]
	s_and_saveexec_b64 s[6:7], s[4:5]
	s_cbranch_execnz .LBB23_1955
	s_branch .LBB23_1956
.LBB23_4005:
	s_movk_i32 s4, 0x80
	v_cmp_eq_u16_sdwa s[12:13], v1, s4 src0_sel:BYTE_0 src1_sel:DWORD
	s_mov_b64 s[4:5], -1
                                        ; implicit-def: $sgpr10
	s_and_saveexec_b64 s[8:9], s[12:13]
; %bb.4006:
	s_mov_b32 s10, 0x7f800001
	s_xor_b64 s[4:5], exec, -1
; %bb.4007:
	s_or_b64 exec, exec, s[8:9]
	s_and_b64 s[4:5], s[4:5], exec
	s_or_saveexec_b64 s[6:7], s[6:7]
	v_mov_b32_e32 v4, s10
	s_xor_b64 exec, exec, s[6:7]
	s_cbranch_execz .LBB23_1958
.LBB23_4008:
	v_mov_b32_e32 v4, 0
	v_cmp_ne_u16_sdwa s[8:9], v1, v4 src0_sel:BYTE_0 src1_sel:DWORD
	s_andn2_b64 s[4:5], s[4:5], exec
	s_and_b64 s[8:9], s[8:9], exec
	s_or_b64 s[4:5], s[4:5], s[8:9]
	s_or_b64 exec, exec, s[6:7]
	s_and_saveexec_b64 s[6:7], s[4:5]
	s_cbranch_execnz .LBB23_1959
	s_branch .LBB23_1960
.LBB23_4009:
	s_movk_i32 s4, 0x80
	v_cmp_eq_u16_sdwa s[12:13], v4, s4 src0_sel:BYTE_0 src1_sel:DWORD
	s_mov_b64 s[4:5], -1
                                        ; implicit-def: $sgpr10
	s_and_saveexec_b64 s[8:9], s[12:13]
; %bb.4010:
	s_mov_b32 s10, 0x7f800001
	s_xor_b64 s[4:5], exec, -1
; %bb.4011:
	s_or_b64 exec, exec, s[8:9]
	s_and_b64 s[4:5], s[4:5], exec
	s_or_saveexec_b64 s[6:7], s[6:7]
	v_mov_b32_e32 v0, s10
	s_xor_b64 exec, exec, s[6:7]
	s_cbranch_execz .LBB23_1962
.LBB23_4012:
	v_mov_b32_e32 v0, 0
	v_cmp_ne_u16_sdwa s[8:9], v4, v0 src0_sel:BYTE_0 src1_sel:DWORD
	s_andn2_b64 s[4:5], s[4:5], exec
	s_and_b64 s[8:9], s[8:9], exec
	s_or_b64 s[4:5], s[4:5], s[8:9]
	s_or_b64 exec, exec, s[6:7]
	s_and_saveexec_b64 s[6:7], s[4:5]
	s_cbranch_execnz .LBB23_1963
	s_branch .LBB23_1964
.LBB23_4013:
	s_movk_i32 s4, 0x80
	v_cmp_eq_u16_sdwa s[12:13], v4, s4 src0_sel:BYTE_0 src1_sel:DWORD
	s_mov_b64 s[4:5], -1
                                        ; implicit-def: $sgpr10
	s_and_saveexec_b64 s[8:9], s[12:13]
; %bb.4014:
	s_mov_b32 s10, 0x7f800001
	s_xor_b64 s[4:5], exec, -1
; %bb.4015:
	s_or_b64 exec, exec, s[8:9]
	s_and_b64 s[4:5], s[4:5], exec
	s_or_saveexec_b64 s[6:7], s[6:7]
	v_mov_b32_e32 v8, s10
	s_xor_b64 exec, exec, s[6:7]
	s_cbranch_execz .LBB23_1966
.LBB23_4016:
	v_mov_b32_e32 v8, 0
	v_cmp_ne_u16_sdwa s[8:9], v4, v8 src0_sel:BYTE_0 src1_sel:DWORD
	s_andn2_b64 s[4:5], s[4:5], exec
	s_and_b64 s[8:9], s[8:9], exec
	s_or_b64 s[4:5], s[4:5], s[8:9]
	s_or_b64 exec, exec, s[6:7]
	s_and_saveexec_b64 s[6:7], s[4:5]
	s_cbranch_execnz .LBB23_1967
	s_branch .LBB23_1968
.LBB23_4017:
	s_movk_i32 s4, 0x80
	v_cmp_eq_u16_e32 vcc, s4, v4
	s_mov_b64 s[4:5], -1
                                        ; implicit-def: $sgpr10
	s_and_saveexec_b64 s[8:9], vcc
; %bb.4018:
	s_mov_b32 s10, 0x7f800001
	s_xor_b64 s[4:5], exec, -1
; %bb.4019:
	s_or_b64 exec, exec, s[8:9]
	s_and_b64 s[4:5], s[4:5], exec
                                        ; implicit-def: $vgpr4
	s_or_saveexec_b64 s[6:7], s[6:7]
	v_mov_b32_e32 v0, s10
	s_xor_b64 exec, exec, s[6:7]
	s_cbranch_execz .LBB23_1970
.LBB23_4020:
	v_cmp_ne_u16_e32 vcc, 0, v4
	s_andn2_b64 s[4:5], s[4:5], exec
	s_and_b64 s[8:9], vcc, exec
	v_mov_b32_e32 v0, 0
	s_or_b64 s[4:5], s[4:5], s[8:9]
	s_or_b64 exec, exec, s[6:7]
	s_and_saveexec_b64 s[6:7], s[4:5]
	s_cbranch_execnz .LBB23_1971
	s_branch .LBB23_1972
.LBB23_4021:
	s_movk_i32 s4, 0x80
	v_cmp_eq_u16_e32 vcc, s4, v4
	s_mov_b64 s[4:5], -1
                                        ; implicit-def: $sgpr10
	s_and_saveexec_b64 s[8:9], vcc
; %bb.4022:
	s_mov_b32 s10, 0x7f800001
	s_xor_b64 s[4:5], exec, -1
; %bb.4023:
	s_or_b64 exec, exec, s[8:9]
	s_and_b64 s[4:5], s[4:5], exec
                                        ; implicit-def: $vgpr4
	s_or_saveexec_b64 s[6:7], s[6:7]
	v_mov_b32_e32 v8, s10
	s_xor_b64 exec, exec, s[6:7]
	s_cbranch_execz .LBB23_1974
.LBB23_4024:
	v_cmp_ne_u16_e32 vcc, 0, v4
	s_andn2_b64 s[4:5], s[4:5], exec
	s_and_b64 s[8:9], vcc, exec
	v_mov_b32_e32 v8, 0
	s_or_b64 s[4:5], s[4:5], s[8:9]
	s_or_b64 exec, exec, s[6:7]
	s_and_saveexec_b64 s[6:7], s[4:5]
	s_cbranch_execnz .LBB23_1975
	s_branch .LBB23_1976
.LBB23_4025:
	s_movk_i32 s4, 0x80
	v_cmp_eq_u16_sdwa s[12:13], v5, s4 src0_sel:BYTE_3 src1_sel:DWORD
	s_mov_b64 s[4:5], -1
                                        ; implicit-def: $sgpr10
	s_and_saveexec_b64 s[8:9], s[12:13]
; %bb.4026:
	s_mov_b32 s10, 0x7f800001
	s_xor_b64 s[4:5], exec, -1
; %bb.4027:
	s_or_b64 exec, exec, s[8:9]
	s_and_b64 s[4:5], s[4:5], exec
	s_or_saveexec_b64 s[6:7], s[6:7]
	v_mov_b32_e32 v0, s10
	s_xor_b64 exec, exec, s[6:7]
	s_cbranch_execz .LBB23_1978
.LBB23_4028:
	v_mov_b32_e32 v0, 0
	v_cmp_ne_u16_sdwa s[8:9], v5, v0 src0_sel:BYTE_3 src1_sel:DWORD
	s_andn2_b64 s[4:5], s[4:5], exec
	s_and_b64 s[8:9], s[8:9], exec
	s_or_b64 s[4:5], s[4:5], s[8:9]
	s_or_b64 exec, exec, s[6:7]
	s_and_saveexec_b64 s[6:7], s[4:5]
	s_cbranch_execnz .LBB23_1979
	s_branch .LBB23_1980
.LBB23_4029:
	s_movk_i32 s4, 0x80
	v_cmp_eq_u16_sdwa s[12:13], v1, s4 src0_sel:BYTE_3 src1_sel:DWORD
	s_mov_b64 s[4:5], -1
                                        ; implicit-def: $sgpr10
	s_and_saveexec_b64 s[8:9], s[12:13]
; %bb.4030:
	s_mov_b32 s10, 0x7f800001
	s_xor_b64 s[4:5], exec, -1
; %bb.4031:
	s_or_b64 exec, exec, s[8:9]
	s_and_b64 s[4:5], s[4:5], exec
	s_or_saveexec_b64 s[6:7], s[6:7]
	v_mov_b32_e32 v4, s10
	s_xor_b64 exec, exec, s[6:7]
	s_cbranch_execz .LBB23_1982
.LBB23_4032:
	v_mov_b32_e32 v4, 0
	v_cmp_ne_u16_sdwa s[8:9], v1, v4 src0_sel:BYTE_3 src1_sel:DWORD
	s_andn2_b64 s[4:5], s[4:5], exec
	s_and_b64 s[8:9], s[8:9], exec
	s_or_b64 s[4:5], s[4:5], s[8:9]
	s_or_b64 exec, exec, s[6:7]
	s_and_saveexec_b64 s[6:7], s[4:5]
	s_cbranch_execnz .LBB23_1983
	s_branch .LBB23_1984
.LBB23_4033:
	s_movk_i32 s4, 0x80
	v_cmp_eq_u16_sdwa s[12:13], v6, s4 src0_sel:BYTE_0 src1_sel:DWORD
	s_mov_b64 s[4:5], -1
                                        ; implicit-def: $sgpr10
	s_and_saveexec_b64 s[8:9], s[12:13]
; %bb.4034:
	s_mov_b32 s10, 0x7f800001
	s_xor_b64 s[4:5], exec, -1
; %bb.4035:
	s_or_b64 exec, exec, s[8:9]
	s_and_b64 s[4:5], s[4:5], exec
	s_or_saveexec_b64 s[6:7], s[6:7]
	v_mov_b32_e32 v0, s10
	s_xor_b64 exec, exec, s[6:7]
	s_cbranch_execz .LBB23_1986
.LBB23_4036:
	v_mov_b32_e32 v0, 0
	v_cmp_ne_u16_sdwa s[8:9], v6, v0 src0_sel:BYTE_0 src1_sel:DWORD
	s_andn2_b64 s[4:5], s[4:5], exec
	s_and_b64 s[8:9], s[8:9], exec
	s_or_b64 s[4:5], s[4:5], s[8:9]
	s_or_b64 exec, exec, s[6:7]
	s_and_saveexec_b64 s[6:7], s[4:5]
	s_cbranch_execnz .LBB23_1987
	s_branch .LBB23_1988
.LBB23_4037:
	s_movk_i32 s4, 0x80
	v_cmp_eq_u16_sdwa s[12:13], v2, s4 src0_sel:BYTE_0 src1_sel:DWORD
	s_mov_b64 s[4:5], -1
                                        ; implicit-def: $sgpr10
	s_and_saveexec_b64 s[8:9], s[12:13]
; %bb.4038:
	s_mov_b32 s10, 0x7f800001
	s_xor_b64 s[4:5], exec, -1
; %bb.4039:
	s_or_b64 exec, exec, s[8:9]
	s_and_b64 s[4:5], s[4:5], exec
	s_or_saveexec_b64 s[6:7], s[6:7]
	v_mov_b32_e32 v1, s10
	s_xor_b64 exec, exec, s[6:7]
	s_cbranch_execz .LBB23_1990
.LBB23_4040:
	v_mov_b32_e32 v1, 0
	v_cmp_ne_u16_sdwa s[8:9], v2, v1 src0_sel:BYTE_0 src1_sel:DWORD
	s_andn2_b64 s[4:5], s[4:5], exec
	s_and_b64 s[8:9], s[8:9], exec
	s_or_b64 s[4:5], s[4:5], s[8:9]
	s_or_b64 exec, exec, s[6:7]
	s_and_saveexec_b64 s[6:7], s[4:5]
	s_cbranch_execnz .LBB23_1991
	s_branch .LBB23_1992
.LBB23_4041:
	s_movk_i32 s4, 0x80
	v_cmp_eq_u16_sdwa s[12:13], v1, s4 src0_sel:BYTE_0 src1_sel:DWORD
	s_mov_b64 s[4:5], -1
                                        ; implicit-def: $sgpr10
	s_and_saveexec_b64 s[8:9], s[12:13]
; %bb.4042:
	s_mov_b32 s10, 0x7f800001
	s_xor_b64 s[4:5], exec, -1
; %bb.4043:
	s_or_b64 exec, exec, s[8:9]
	s_and_b64 s[4:5], s[4:5], exec
	s_or_saveexec_b64 s[6:7], s[6:7]
	v_mov_b32_e32 v0, s10
	s_xor_b64 exec, exec, s[6:7]
	s_cbranch_execz .LBB23_1994
.LBB23_4044:
	v_mov_b32_e32 v0, 0
	v_cmp_ne_u16_sdwa s[8:9], v1, v0 src0_sel:BYTE_0 src1_sel:DWORD
	s_andn2_b64 s[4:5], s[4:5], exec
	s_and_b64 s[8:9], s[8:9], exec
	s_or_b64 s[4:5], s[4:5], s[8:9]
	s_or_b64 exec, exec, s[6:7]
	s_and_saveexec_b64 s[6:7], s[4:5]
	s_cbranch_execnz .LBB23_1995
	s_branch .LBB23_1996
.LBB23_4045:
	s_movk_i32 s4, 0x80
	v_cmp_eq_u16_sdwa s[12:13], v1, s4 src0_sel:BYTE_0 src1_sel:DWORD
	s_mov_b64 s[4:5], -1
                                        ; implicit-def: $sgpr10
	s_and_saveexec_b64 s[8:9], s[12:13]
; %bb.4046:
	s_mov_b32 s10, 0x7f800001
	s_xor_b64 s[4:5], exec, -1
; %bb.4047:
	s_or_b64 exec, exec, s[8:9]
	s_and_b64 s[4:5], s[4:5], exec
	s_or_saveexec_b64 s[6:7], s[6:7]
	v_mov_b32_e32 v4, s10
	s_xor_b64 exec, exec, s[6:7]
	s_cbranch_execz .LBB23_1998
.LBB23_4048:
	v_mov_b32_e32 v4, 0
	v_cmp_ne_u16_sdwa s[8:9], v1, v4 src0_sel:BYTE_0 src1_sel:DWORD
	s_andn2_b64 s[4:5], s[4:5], exec
	s_and_b64 s[8:9], s[8:9], exec
	s_or_b64 s[4:5], s[4:5], s[8:9]
	s_or_b64 exec, exec, s[6:7]
	s_and_saveexec_b64 s[6:7], s[4:5]
	s_cbranch_execnz .LBB23_1999
	s_branch .LBB23_2000
.LBB23_4049:
	s_movk_i32 s4, 0x80
	v_cmp_eq_u16_e32 vcc, s4, v1
	s_mov_b64 s[4:5], -1
                                        ; implicit-def: $sgpr10
	s_and_saveexec_b64 s[8:9], vcc
; %bb.4050:
	s_mov_b32 s10, 0x7f800001
	s_xor_b64 s[4:5], exec, -1
; %bb.4051:
	s_or_b64 exec, exec, s[8:9]
	s_and_b64 s[4:5], s[4:5], exec
                                        ; implicit-def: $vgpr1
	s_or_saveexec_b64 s[6:7], s[6:7]
	v_mov_b32_e32 v0, s10
	s_xor_b64 exec, exec, s[6:7]
	s_cbranch_execz .LBB23_2002
.LBB23_4052:
	v_cmp_ne_u16_e32 vcc, 0, v1
	s_andn2_b64 s[4:5], s[4:5], exec
	s_and_b64 s[8:9], vcc, exec
	v_mov_b32_e32 v0, 0
	s_or_b64 s[4:5], s[4:5], s[8:9]
	s_or_b64 exec, exec, s[6:7]
	s_and_saveexec_b64 s[6:7], s[4:5]
	s_cbranch_execnz .LBB23_2003
	s_branch .LBB23_2004
.LBB23_4053:
	s_movk_i32 s4, 0x80
	v_cmp_eq_u16_e32 vcc, s4, v1
	s_mov_b64 s[4:5], -1
                                        ; implicit-def: $sgpr10
	s_and_saveexec_b64 s[8:9], vcc
; %bb.4054:
	s_mov_b32 s10, 0x7f800001
	s_xor_b64 s[4:5], exec, -1
; %bb.4055:
	s_or_b64 exec, exec, s[8:9]
	s_and_b64 s[4:5], s[4:5], exec
                                        ; implicit-def: $vgpr1
	s_or_saveexec_b64 s[6:7], s[6:7]
	v_mov_b32_e32 v4, s10
	s_xor_b64 exec, exec, s[6:7]
	s_cbranch_execz .LBB23_2006
.LBB23_4056:
	v_cmp_ne_u16_e32 vcc, 0, v1
	s_andn2_b64 s[4:5], s[4:5], exec
	s_and_b64 s[8:9], vcc, exec
	v_mov_b32_e32 v4, 0
	s_or_b64 s[4:5], s[4:5], s[8:9]
	s_or_b64 exec, exec, s[6:7]
	s_and_saveexec_b64 s[6:7], s[4:5]
	s_cbranch_execnz .LBB23_2007
	s_branch .LBB23_2008
.LBB23_4057:
	s_movk_i32 s4, 0x80
	v_cmp_eq_u16_sdwa s[12:13], v6, s4 src0_sel:BYTE_3 src1_sel:DWORD
	s_mov_b64 s[4:5], -1
                                        ; implicit-def: $sgpr10
	s_and_saveexec_b64 s[8:9], s[12:13]
; %bb.4058:
	s_mov_b32 s10, 0x7f800001
	s_xor_b64 s[4:5], exec, -1
; %bb.4059:
	s_or_b64 exec, exec, s[8:9]
	s_and_b64 s[4:5], s[4:5], exec
	s_or_saveexec_b64 s[6:7], s[6:7]
	v_mov_b32_e32 v0, s10
	s_xor_b64 exec, exec, s[6:7]
	s_cbranch_execz .LBB23_2010
.LBB23_4060:
	v_mov_b32_e32 v0, 0
	v_cmp_ne_u16_sdwa s[8:9], v6, v0 src0_sel:BYTE_3 src1_sel:DWORD
	s_andn2_b64 s[4:5], s[4:5], exec
	s_and_b64 s[8:9], s[8:9], exec
	s_or_b64 s[4:5], s[4:5], s[8:9]
	s_or_b64 exec, exec, s[6:7]
	s_and_saveexec_b64 s[6:7], s[4:5]
	s_cbranch_execnz .LBB23_2011
	s_branch .LBB23_2012
.LBB23_4061:
	s_movk_i32 s4, 0x80
	v_cmp_eq_u16_sdwa s[12:13], v2, s4 src0_sel:BYTE_3 src1_sel:DWORD
	s_mov_b64 s[4:5], -1
                                        ; implicit-def: $sgpr10
	s_and_saveexec_b64 s[8:9], s[12:13]
; %bb.4062:
	s_mov_b32 s10, 0x7f800001
	s_xor_b64 s[4:5], exec, -1
; %bb.4063:
	s_or_b64 exec, exec, s[8:9]
	s_and_b64 s[4:5], s[4:5], exec
	s_or_saveexec_b64 s[6:7], s[6:7]
	v_mov_b32_e32 v1, s10
	s_xor_b64 exec, exec, s[6:7]
	s_cbranch_execz .LBB23_2014
.LBB23_4064:
	v_mov_b32_e32 v1, 0
	v_cmp_ne_u16_sdwa s[8:9], v2, v1 src0_sel:BYTE_3 src1_sel:DWORD
	s_andn2_b64 s[4:5], s[4:5], exec
	s_and_b64 s[8:9], s[8:9], exec
	s_or_b64 s[4:5], s[4:5], s[8:9]
	s_or_b64 exec, exec, s[6:7]
	s_and_saveexec_b64 s[6:7], s[4:5]
	s_cbranch_execnz .LBB23_2015
	s_branch .LBB23_2016
.LBB23_4065:
	s_movk_i32 s4, 0x80
	v_cmp_eq_u16_sdwa s[12:13], v7, s4 src0_sel:BYTE_0 src1_sel:DWORD
	s_mov_b64 s[4:5], -1
                                        ; implicit-def: $sgpr10
	s_and_saveexec_b64 s[8:9], s[12:13]
; %bb.4066:
	s_mov_b32 s10, 0x7f800001
	s_xor_b64 s[4:5], exec, -1
; %bb.4067:
	s_or_b64 exec, exec, s[8:9]
	s_and_b64 s[4:5], s[4:5], exec
	s_or_saveexec_b64 s[6:7], s[6:7]
	v_mov_b32_e32 v0, s10
	s_xor_b64 exec, exec, s[6:7]
	s_cbranch_execz .LBB23_2018
.LBB23_4068:
	v_mov_b32_e32 v0, 0
	v_cmp_ne_u16_sdwa s[8:9], v7, v0 src0_sel:BYTE_0 src1_sel:DWORD
	s_andn2_b64 s[4:5], s[4:5], exec
	s_and_b64 s[8:9], s[8:9], exec
	s_or_b64 s[4:5], s[4:5], s[8:9]
	s_or_b64 exec, exec, s[6:7]
	s_and_saveexec_b64 s[6:7], s[4:5]
	s_cbranch_execnz .LBB23_2019
	s_branch .LBB23_2020
.LBB23_4069:
	s_movk_i32 s4, 0x80
	v_cmp_eq_u16_sdwa s[12:13], v3, s4 src0_sel:BYTE_0 src1_sel:DWORD
	s_mov_b64 s[4:5], -1
                                        ; implicit-def: $sgpr10
	s_and_saveexec_b64 s[8:9], s[12:13]
; %bb.4070:
	s_mov_b32 s10, 0x7f800001
	s_xor_b64 s[4:5], exec, -1
; %bb.4071:
	s_or_b64 exec, exec, s[8:9]
	s_and_b64 s[4:5], s[4:5], exec
	s_or_saveexec_b64 s[6:7], s[6:7]
	v_mov_b32_e32 v1, s10
	s_xor_b64 exec, exec, s[6:7]
	s_cbranch_execz .LBB23_2022
.LBB23_4072:
	v_mov_b32_e32 v1, 0
	v_cmp_ne_u16_sdwa s[8:9], v3, v1 src0_sel:BYTE_0 src1_sel:DWORD
	s_andn2_b64 s[4:5], s[4:5], exec
	s_and_b64 s[8:9], s[8:9], exec
	s_or_b64 s[4:5], s[4:5], s[8:9]
	s_or_b64 exec, exec, s[6:7]
	s_and_saveexec_b64 s[6:7], s[4:5]
	s_cbranch_execnz .LBB23_2023
	s_branch .LBB23_2024
.LBB23_4073:
	s_movk_i32 s4, 0x80
	v_cmp_eq_u16_sdwa s[12:13], v1, s4 src0_sel:BYTE_0 src1_sel:DWORD
	s_mov_b64 s[4:5], -1
                                        ; implicit-def: $sgpr10
	s_and_saveexec_b64 s[8:9], s[12:13]
; %bb.4074:
	s_mov_b32 s10, 0x7f800001
	s_xor_b64 s[4:5], exec, -1
; %bb.4075:
	s_or_b64 exec, exec, s[8:9]
	s_and_b64 s[4:5], s[4:5], exec
	s_or_saveexec_b64 s[6:7], s[6:7]
	v_mov_b32_e32 v0, s10
	s_xor_b64 exec, exec, s[6:7]
	s_cbranch_execz .LBB23_2026
.LBB23_4076:
	v_mov_b32_e32 v0, 0
	v_cmp_ne_u16_sdwa s[8:9], v1, v0 src0_sel:BYTE_0 src1_sel:DWORD
	s_andn2_b64 s[4:5], s[4:5], exec
	s_and_b64 s[8:9], s[8:9], exec
	s_or_b64 s[4:5], s[4:5], s[8:9]
	s_or_b64 exec, exec, s[6:7]
	s_and_saveexec_b64 s[6:7], s[4:5]
	s_cbranch_execnz .LBB23_2027
	s_branch .LBB23_2028
.LBB23_4077:
	s_movk_i32 s4, 0x80
	v_cmp_eq_u16_sdwa s[12:13], v1, s4 src0_sel:BYTE_0 src1_sel:DWORD
	s_mov_b64 s[4:5], -1
                                        ; implicit-def: $sgpr10
	s_and_saveexec_b64 s[8:9], s[12:13]
; %bb.4078:
	s_mov_b32 s10, 0x7f800001
	s_xor_b64 s[4:5], exec, -1
; %bb.4079:
	s_or_b64 exec, exec, s[8:9]
	s_and_b64 s[4:5], s[4:5], exec
	s_or_saveexec_b64 s[6:7], s[6:7]
	v_mov_b32_e32 v2, s10
	s_xor_b64 exec, exec, s[6:7]
	s_cbranch_execz .LBB23_2030
.LBB23_4080:
	v_mov_b32_e32 v2, 0
	v_cmp_ne_u16_sdwa s[8:9], v1, v2 src0_sel:BYTE_0 src1_sel:DWORD
	s_andn2_b64 s[4:5], s[4:5], exec
	s_and_b64 s[8:9], s[8:9], exec
	s_or_b64 s[4:5], s[4:5], s[8:9]
	s_or_b64 exec, exec, s[6:7]
	s_and_saveexec_b64 s[6:7], s[4:5]
	s_cbranch_execnz .LBB23_2031
	s_branch .LBB23_2032
.LBB23_4081:
	s_movk_i32 s4, 0x80
	v_cmp_eq_u16_e32 vcc, s4, v1
	s_mov_b64 s[4:5], -1
                                        ; implicit-def: $sgpr10
	s_and_saveexec_b64 s[8:9], vcc
; %bb.4082:
	s_mov_b32 s10, 0x7f800001
	s_xor_b64 s[4:5], exec, -1
; %bb.4083:
	s_or_b64 exec, exec, s[8:9]
	s_and_b64 s[4:5], s[4:5], exec
                                        ; implicit-def: $vgpr1
	s_or_saveexec_b64 s[6:7], s[6:7]
	v_mov_b32_e32 v0, s10
	s_xor_b64 exec, exec, s[6:7]
	s_cbranch_execz .LBB23_2034
.LBB23_4084:
	v_cmp_ne_u16_e32 vcc, 0, v1
	s_andn2_b64 s[4:5], s[4:5], exec
	s_and_b64 s[8:9], vcc, exec
	v_mov_b32_e32 v0, 0
	s_or_b64 s[4:5], s[4:5], s[8:9]
	s_or_b64 exec, exec, s[6:7]
	s_and_saveexec_b64 s[6:7], s[4:5]
	s_cbranch_execnz .LBB23_2035
	s_branch .LBB23_2036
.LBB23_4085:
	s_movk_i32 s4, 0x80
	v_cmp_eq_u16_e32 vcc, s4, v1
	s_mov_b64 s[4:5], -1
                                        ; implicit-def: $sgpr10
	s_and_saveexec_b64 s[8:9], vcc
; %bb.4086:
	s_mov_b32 s10, 0x7f800001
	s_xor_b64 s[4:5], exec, -1
; %bb.4087:
	s_or_b64 exec, exec, s[8:9]
	s_and_b64 s[4:5], s[4:5], exec
                                        ; implicit-def: $vgpr1
	s_or_saveexec_b64 s[6:7], s[6:7]
	v_mov_b32_e32 v2, s10
	s_xor_b64 exec, exec, s[6:7]
	s_cbranch_execz .LBB23_2038
.LBB23_4088:
	v_cmp_ne_u16_e32 vcc, 0, v1
	s_andn2_b64 s[4:5], s[4:5], exec
	s_and_b64 s[8:9], vcc, exec
	v_mov_b32_e32 v2, 0
	s_or_b64 s[4:5], s[4:5], s[8:9]
	s_or_b64 exec, exec, s[6:7]
	s_and_saveexec_b64 s[6:7], s[4:5]
	s_cbranch_execnz .LBB23_2039
	s_branch .LBB23_2040
.LBB23_4089:
	s_movk_i32 s4, 0x80
	v_cmp_eq_u16_sdwa s[12:13], v7, s4 src0_sel:BYTE_3 src1_sel:DWORD
	s_mov_b64 s[4:5], -1
                                        ; implicit-def: $sgpr10
	s_and_saveexec_b64 s[8:9], s[12:13]
; %bb.4090:
	s_mov_b32 s10, 0x7f800001
	s_xor_b64 s[4:5], exec, -1
; %bb.4091:
	s_or_b64 exec, exec, s[8:9]
	s_and_b64 s[4:5], s[4:5], exec
	s_or_saveexec_b64 s[6:7], s[6:7]
	v_mov_b32_e32 v0, s10
	s_xor_b64 exec, exec, s[6:7]
	s_cbranch_execz .LBB23_2042
.LBB23_4092:
	v_mov_b32_e32 v0, 0
	v_cmp_ne_u16_sdwa s[8:9], v7, v0 src0_sel:BYTE_3 src1_sel:DWORD
	s_andn2_b64 s[4:5], s[4:5], exec
	s_and_b64 s[8:9], s[8:9], exec
	s_or_b64 s[4:5], s[4:5], s[8:9]
	s_or_b64 exec, exec, s[6:7]
	s_and_saveexec_b64 s[6:7], s[4:5]
	s_cbranch_execnz .LBB23_2043
	s_branch .LBB23_2044
.LBB23_4093:
	s_movk_i32 s4, 0x80
	v_cmp_eq_u16_sdwa s[12:13], v3, s4 src0_sel:BYTE_3 src1_sel:DWORD
	s_mov_b64 s[4:5], -1
                                        ; implicit-def: $sgpr10
	s_and_saveexec_b64 s[8:9], s[12:13]
; %bb.4094:
	s_mov_b32 s10, 0x7f800001
	s_xor_b64 s[4:5], exec, -1
; %bb.4095:
	s_or_b64 exec, exec, s[8:9]
	s_and_b64 s[4:5], s[4:5], exec
	s_or_saveexec_b64 s[6:7], s[6:7]
	v_mov_b32_e32 v1, s10
	s_xor_b64 exec, exec, s[6:7]
	s_cbranch_execz .LBB23_2046
.LBB23_4096:
	v_mov_b32_e32 v1, 0
	v_cmp_ne_u16_sdwa s[8:9], v3, v1 src0_sel:BYTE_3 src1_sel:DWORD
	s_andn2_b64 s[4:5], s[4:5], exec
	s_and_b64 s[8:9], s[8:9], exec
	s_or_b64 s[4:5], s[4:5], s[8:9]
	s_or_b64 exec, exec, s[6:7]
	s_and_saveexec_b64 s[6:7], s[4:5]
	s_cbranch_execnz .LBB23_2047
	s_branch .LBB23_2048
.Lfunc_end23:
	.size	_ZNK2ck6detail7applierIiJLi0ELi1ELi2ELi3ELi4ELi5ELi6ELi7EEEclIZNKS_11static_fordINS_8SequenceIJLi1ELi8EEEENS5_IJLi0ELi1EEEEEclIZZNKS_52BlockwiseGemmXdlops_pipeline_bpreshuffle_bdequant_v3ILNS_26BlockGemmPipelineSchedulerE0ELi256ENS_9f8_fnuz_tENS_7pk_i4_tESC_fNS_16TensorDescriptorINS_5TupleIJNS_5EmbedINSF_IJNS_17integral_constantIiLi8EEENSH_IiLi256EEENSH_IiLi16EEEEEENSF_IJSK_NSH_IiLi128EEENSH_IiLi1EEEEEELb0EEENS_3XorINSF_IJSJ_SI_EEELb1EEENS_11PassThroughISK_EENS_7UnMergeINSF_IJSI_SN_EEELb0EEENST_ISJ_EESU_NST_ISI_EENS_21Merge_v3_division_modINSF_IJSJ_SN_EEEEESU_EEENSF_IJNS5_IJLi0EEEENS5_IJLi2ELi1EEEENS5_IJLi3EEEENS5_IJLi5EEEENS5_IJLi4EEEENS5_IJLi6EEEENS5_IJLi7EEEENS5_IJLi9ELi8EEEENS5_IJLi10EEEEEEENSF_IJNS5_IJLi1ELi2ELi3EEEENS5_IJLi4ELi5EEEES19_NS5_IJLi7ELi8EEEENS5_IJLi9EEEES1C_NS5_IJLi11EEEENS5_IJLi12EEEENS5_IJLi13EEEEEEENS5_IJLi11ELi12ELi13EEEENSH_IlLl32768EEEEENSE_INSF_IJNSV_INSF_IJSI_SN_SN_NSH_IiLi32EEEEEELb0EEEEEENSF_IJS14_EEENSF_IJNS5_IJLi1ELi2ELi3ELi4EEEEEEES1U_NSH_IlLl256EEEEENSE_INSF_IJSP_SS_SU_SX_SY_SU_SZ_S12_SU_NS10_INSF_IJSI_SK_EEEEENSV_INSF_IJSI_NSH_IiLi2EEESK_EEELb0EEEEEENSF_IJS14_S15_S16_S17_S18_S19_S1A_S1B_S1C_NS5_IJLi11ELi13EEEES1J_EEENSF_IJS1E_S1F_S19_S1G_S1H_S1C_S1I_S1J_S1K_NS5_IJLi14EEEENS5_IJLi15ELi16ELi17EEEEEEENS5_IJLi15ELi16ELi17ELi14EEEES1N_EENSE_INSF_IJS1R_NS10_ISW_EES22_EEENSF_IJS14_NS5_IJLi1ELi3EEEENS5_IJLi2EEEEEEENSF_IJS1U_S17_NS5_IJLi6ELi7ELi8EEEEEEENS5_IJLi6ELi7ELi8ELi5EEEES1W_EELi16ELi32ELi256ELi256ELi128ELi16ELi16ELi8ELi8ELi32ELb0EE3RunILb1ELNS_10TailNumberE0ENSE_INSF_IJNSG_INSF_IJiiEEENSF_IJiSN_EEELb0EEENSV_IS2N_Lb0EEENST_IiEEEEENSF_IJS14_S2E_NS5_IJLi1EEEEEEENSF_IJNS5_IJLi1ELi2EEEENS5_IJLi3ELi4EEEES17_EEENS5_IJLi3ELi5ELi4EEEElEES1O_NS_35ThreadGroupTensorSliceTransfer_v4r1INS_15ThisThreadBlockILi256EEENS_16tensor_operation12element_wise11PassThroughES35_LNS_25InMemoryDataOperationEnumE0ENS5_IJLi8ELi256ELi16EEEENS5_IJLi8ELi32ELi1EEEENS5_IJLi1ELi0ELi2EEEESC_SC_RKS2Z_KS1O_S39_NS5_IJLi0ELi1ELi2EEEELi2ELi2ELi16ELi16ELi1ELi1ELb0ELb1ELi2EiEENS_13DynamicBufferILNS_16AddressSpaceEnumE1EKSC_lLb1ELNS_22AmdBufferCoherenceEnumE0EiEENSF_IJNS3F_ILS3G_2ESC_S1N_Lb1ELS3I_0EiEES3K_EEENSF_IJiiiEEENSE_INSF_IJNSG_INSF_IJiiiiEEENSF_IJiiiSN_EEELb0EEEEEES1T_S1V_S1U_lEENS_32ThreadwiseTensorSliceTransfer_v2ISD_SD_RKS3R_KS1X_NS5_IJLi8ELi1ELi1ELi32EEEENS5_IJLi1ELi2ELi0ELi3EEEELi3ELi32ELi0ELb1ELb0ELb0EEENS3F_ILS3G_1EKSD_lLb1ELS3I_0EiEENSF_IJNS_12StaticBufferILS3G_4ESD_Li256ELb1EEES42_EEES3N_NS_25StaticBufferTupleOfVectorILS3G_4EfLi64ELi4ELb1ELb0EEEEEvRKT1_RKT2_RT3_RKT4_RT5_RKT6_RKT7_RT8_RKT9_RT10_RKT11_RT12_iENKUlT_E0_clINSH_IiLi5EEEEEDaS51_EUlS51_E_EEvS51_EUlS51_E_EEvS51_, .Lfunc_end23-_ZNK2ck6detail7applierIiJLi0ELi1ELi2ELi3ELi4ELi5ELi6ELi7EEEclIZNKS_11static_fordINS_8SequenceIJLi1ELi8EEEENS5_IJLi0ELi1EEEEEclIZZNKS_52BlockwiseGemmXdlops_pipeline_bpreshuffle_bdequant_v3ILNS_26BlockGemmPipelineSchedulerE0ELi256ENS_9f8_fnuz_tENS_7pk_i4_tESC_fNS_16TensorDescriptorINS_5TupleIJNS_5EmbedINSF_IJNS_17integral_constantIiLi8EEENSH_IiLi256EEENSH_IiLi16EEEEEENSF_IJSK_NSH_IiLi128EEENSH_IiLi1EEEEEELb0EEENS_3XorINSF_IJSJ_SI_EEELb1EEENS_11PassThroughISK_EENS_7UnMergeINSF_IJSI_SN_EEELb0EEENST_ISJ_EESU_NST_ISI_EENS_21Merge_v3_division_modINSF_IJSJ_SN_EEEEESU_EEENSF_IJNS5_IJLi0EEEENS5_IJLi2ELi1EEEENS5_IJLi3EEEENS5_IJLi5EEEENS5_IJLi4EEEENS5_IJLi6EEEENS5_IJLi7EEEENS5_IJLi9ELi8EEEENS5_IJLi10EEEEEEENSF_IJNS5_IJLi1ELi2ELi3EEEENS5_IJLi4ELi5EEEES19_NS5_IJLi7ELi8EEEENS5_IJLi9EEEES1C_NS5_IJLi11EEEENS5_IJLi12EEEENS5_IJLi13EEEEEEENS5_IJLi11ELi12ELi13EEEENSH_IlLl32768EEEEENSE_INSF_IJNSV_INSF_IJSI_SN_SN_NSH_IiLi32EEEEEELb0EEEEEENSF_IJS14_EEENSF_IJNS5_IJLi1ELi2ELi3ELi4EEEEEEES1U_NSH_IlLl256EEEEENSE_INSF_IJSP_SS_SU_SX_SY_SU_SZ_S12_SU_NS10_INSF_IJSI_SK_EEEEENSV_INSF_IJSI_NSH_IiLi2EEESK_EEELb0EEEEEENSF_IJS14_S15_S16_S17_S18_S19_S1A_S1B_S1C_NS5_IJLi11ELi13EEEES1J_EEENSF_IJS1E_S1F_S19_S1G_S1H_S1C_S1I_S1J_S1K_NS5_IJLi14EEEENS5_IJLi15ELi16ELi17EEEEEEENS5_IJLi15ELi16ELi17ELi14EEEES1N_EENSE_INSF_IJS1R_NS10_ISW_EES22_EEENSF_IJS14_NS5_IJLi1ELi3EEEENS5_IJLi2EEEEEEENSF_IJS1U_S17_NS5_IJLi6ELi7ELi8EEEEEEENS5_IJLi6ELi7ELi8ELi5EEEES1W_EELi16ELi32ELi256ELi256ELi128ELi16ELi16ELi8ELi8ELi32ELb0EE3RunILb1ELNS_10TailNumberE0ENSE_INSF_IJNSG_INSF_IJiiEEENSF_IJiSN_EEELb0EEENSV_IS2N_Lb0EEENST_IiEEEEENSF_IJS14_S2E_NS5_IJLi1EEEEEEENSF_IJNS5_IJLi1ELi2EEEENS5_IJLi3ELi4EEEES17_EEENS5_IJLi3ELi5ELi4EEEElEES1O_NS_35ThreadGroupTensorSliceTransfer_v4r1INS_15ThisThreadBlockILi256EEENS_16tensor_operation12element_wise11PassThroughES35_LNS_25InMemoryDataOperationEnumE0ENS5_IJLi8ELi256ELi16EEEENS5_IJLi8ELi32ELi1EEEENS5_IJLi1ELi0ELi2EEEESC_SC_RKS2Z_KS1O_S39_NS5_IJLi0ELi1ELi2EEEELi2ELi2ELi16ELi16ELi1ELi1ELb0ELb1ELi2EiEENS_13DynamicBufferILNS_16AddressSpaceEnumE1EKSC_lLb1ELNS_22AmdBufferCoherenceEnumE0EiEENSF_IJNS3F_ILS3G_2ESC_S1N_Lb1ELS3I_0EiEES3K_EEENSF_IJiiiEEENSE_INSF_IJNSG_INSF_IJiiiiEEENSF_IJiiiSN_EEELb0EEEEEES1T_S1V_S1U_lEENS_32ThreadwiseTensorSliceTransfer_v2ISD_SD_RKS3R_KS1X_NS5_IJLi8ELi1ELi1ELi32EEEENS5_IJLi1ELi2ELi0ELi3EEEELi3ELi32ELi0ELb1ELb0ELb0EEENS3F_ILS3G_1EKSD_lLb1ELS3I_0EiEENSF_IJNS_12StaticBufferILS3G_4ESD_Li256ELb1EEES42_EEES3N_NS_25StaticBufferTupleOfVectorILS3G_4EfLi64ELi4ELb1ELb0EEEEEvRKT1_RKT2_RT3_RKT4_RT5_RKT6_RKT7_RT8_RKT9_RT10_RKT11_RT12_iENKUlT_E0_clINSH_IiLi5EEEEEDaS51_EUlS51_E_EEvS51_EUlS51_E_EEvS51_
                                        ; -- End function
	.section	.AMDGPU.csdata,"",@progbits
; Function info:
; codeLenInByte = 133608
; NumSgprs: 36
; NumVgprs: 26
; NumAgprs: 4
; TotalNumVgprs: 32
; ScratchSize: 0
; MemoryBound: 1
	.text
	.p2align	2                               ; -- Begin function _ZNK2ck6detail7applierIiJLi0ELi1ELi2ELi3ELi4ELi5ELi6ELi7EEEclIZNKS_11static_fordINS_8SequenceIJLi1ELi8EEEENS5_IJLi0ELi1EEEEEclIZZNKS_52BlockwiseGemmXdlops_pipeline_bpreshuffle_bdequant_v3ILNS_26BlockGemmPipelineSchedulerE0ELi256ENS_9f8_fnuz_tENS_7pk_i4_tESC_fNS_16TensorDescriptorINS_5TupleIJNS_5EmbedINSF_IJNS_17integral_constantIiLi8EEENSH_IiLi256EEENSH_IiLi16EEEEEENSF_IJSK_NSH_IiLi128EEENSH_IiLi1EEEEEELb0EEENS_3XorINSF_IJSJ_SI_EEELb1EEENS_11PassThroughISK_EENS_7UnMergeINSF_IJSI_SN_EEELb0EEENST_ISJ_EESU_NST_ISI_EENS_21Merge_v3_division_modINSF_IJSJ_SN_EEEEESU_EEENSF_IJNS5_IJLi0EEEENS5_IJLi2ELi1EEEENS5_IJLi3EEEENS5_IJLi5EEEENS5_IJLi4EEEENS5_IJLi6EEEENS5_IJLi7EEEENS5_IJLi9ELi8EEEENS5_IJLi10EEEEEEENSF_IJNS5_IJLi1ELi2ELi3EEEENS5_IJLi4ELi5EEEES19_NS5_IJLi7ELi8EEEENS5_IJLi9EEEES1C_NS5_IJLi11EEEENS5_IJLi12EEEENS5_IJLi13EEEEEEENS5_IJLi11ELi12ELi13EEEENSH_IlLl32768EEEEENSE_INSF_IJNSV_INSF_IJSI_SN_SN_NSH_IiLi32EEEEEELb0EEEEEENSF_IJS14_EEENSF_IJNS5_IJLi1ELi2ELi3ELi4EEEEEEES1U_NSH_IlLl256EEEEENSE_INSF_IJSP_SS_SU_SX_SY_SU_SZ_S12_SU_NS10_INSF_IJSI_SK_EEEEENSV_INSF_IJSI_NSH_IiLi2EEESK_EEELb0EEEEEENSF_IJS14_S15_S16_S17_S18_S19_S1A_S1B_S1C_NS5_IJLi11ELi13EEEES1J_EEENSF_IJS1E_S1F_S19_S1G_S1H_S1C_S1I_S1J_S1K_NS5_IJLi14EEEENS5_IJLi15ELi16ELi17EEEEEEENS5_IJLi15ELi16ELi17ELi14EEEES1N_EENSE_INSF_IJS1R_NS10_ISW_EES22_EEENSF_IJS14_NS5_IJLi1ELi3EEEENS5_IJLi2EEEEEEENSF_IJS1U_S17_NS5_IJLi6ELi7ELi8EEEEEEENS5_IJLi6ELi7ELi8ELi5EEEES1W_EELi16ELi32ELi256ELi256ELi128ELi16ELi16ELi8ELi8ELi32ELb0EE3RunILb1ELNS_10TailNumberE0ENSE_INSF_IJNSG_INSF_IJiiEEENSF_IJiSN_EEELb0EEENSV_IS2N_Lb0EEENST_IiEEEEENSF_IJS14_S2E_NS5_IJLi1EEEEEEENSF_IJNS5_IJLi1ELi2EEEENS5_IJLi3ELi4EEEES17_EEENS5_IJLi3ELi5ELi4EEEElEES1O_NS_35ThreadGroupTensorSliceTransfer_v4r1INS_15ThisThreadBlockILi256EEENS_16tensor_operation12element_wise11PassThroughES35_LNS_25InMemoryDataOperationEnumE0ENS5_IJLi8ELi256ELi16EEEENS5_IJLi8ELi32ELi1EEEENS5_IJLi1ELi0ELi2EEEESC_SC_RKS2Z_KS1O_S39_NS5_IJLi0ELi1ELi2EEEELi2ELi2ELi16ELi16ELi1ELi1ELb0ELb1ELi2EiEENS_13DynamicBufferILNS_16AddressSpaceEnumE1EKSC_lLb1ELNS_22AmdBufferCoherenceEnumE0EiEENSF_IJNS3F_ILS3G_2ESC_S1N_Lb1ELS3I_0EiEES3K_EEENSF_IJiiiEEENSE_INSF_IJNSG_INSF_IJiiiiEEENSF_IJiiiSN_EEELb0EEEEEES1T_S1V_S1U_lEENS_32ThreadwiseTensorSliceTransfer_v2ISD_SD_RKS3R_KS1X_NS5_IJLi8ELi1ELi1ELi32EEEENS5_IJLi1ELi2ELi0ELi3EEEELi3ELi32ELi0ELb1ELb0ELb0EEENS3F_ILS3G_1EKSD_lLb1ELS3I_0EiEENSF_IJNS_12StaticBufferILS3G_4ESD_Li256ELb1EEES42_EEES3N_NS_25StaticBufferTupleOfVectorILS3G_4EfLi64ELi4ELb1ELb0EEEEEvRKT1_RKT2_RT3_RKT4_RT5_RKT6_RKT7_RT8_RKT9_RT10_RKT11_RT12_iENKUlT_E0_clINSH_IiLi6EEEEEDaS51_EUlS51_E_EEvS51_EUlS51_E_EEvS51_
	.type	_ZNK2ck6detail7applierIiJLi0ELi1ELi2ELi3ELi4ELi5ELi6ELi7EEEclIZNKS_11static_fordINS_8SequenceIJLi1ELi8EEEENS5_IJLi0ELi1EEEEEclIZZNKS_52BlockwiseGemmXdlops_pipeline_bpreshuffle_bdequant_v3ILNS_26BlockGemmPipelineSchedulerE0ELi256ENS_9f8_fnuz_tENS_7pk_i4_tESC_fNS_16TensorDescriptorINS_5TupleIJNS_5EmbedINSF_IJNS_17integral_constantIiLi8EEENSH_IiLi256EEENSH_IiLi16EEEEEENSF_IJSK_NSH_IiLi128EEENSH_IiLi1EEEEEELb0EEENS_3XorINSF_IJSJ_SI_EEELb1EEENS_11PassThroughISK_EENS_7UnMergeINSF_IJSI_SN_EEELb0EEENST_ISJ_EESU_NST_ISI_EENS_21Merge_v3_division_modINSF_IJSJ_SN_EEEEESU_EEENSF_IJNS5_IJLi0EEEENS5_IJLi2ELi1EEEENS5_IJLi3EEEENS5_IJLi5EEEENS5_IJLi4EEEENS5_IJLi6EEEENS5_IJLi7EEEENS5_IJLi9ELi8EEEENS5_IJLi10EEEEEEENSF_IJNS5_IJLi1ELi2ELi3EEEENS5_IJLi4ELi5EEEES19_NS5_IJLi7ELi8EEEENS5_IJLi9EEEES1C_NS5_IJLi11EEEENS5_IJLi12EEEENS5_IJLi13EEEEEEENS5_IJLi11ELi12ELi13EEEENSH_IlLl32768EEEEENSE_INSF_IJNSV_INSF_IJSI_SN_SN_NSH_IiLi32EEEEEELb0EEEEEENSF_IJS14_EEENSF_IJNS5_IJLi1ELi2ELi3ELi4EEEEEEES1U_NSH_IlLl256EEEEENSE_INSF_IJSP_SS_SU_SX_SY_SU_SZ_S12_SU_NS10_INSF_IJSI_SK_EEEEENSV_INSF_IJSI_NSH_IiLi2EEESK_EEELb0EEEEEENSF_IJS14_S15_S16_S17_S18_S19_S1A_S1B_S1C_NS5_IJLi11ELi13EEEES1J_EEENSF_IJS1E_S1F_S19_S1G_S1H_S1C_S1I_S1J_S1K_NS5_IJLi14EEEENS5_IJLi15ELi16ELi17EEEEEEENS5_IJLi15ELi16ELi17ELi14EEEES1N_EENSE_INSF_IJS1R_NS10_ISW_EES22_EEENSF_IJS14_NS5_IJLi1ELi3EEEENS5_IJLi2EEEEEEENSF_IJS1U_S17_NS5_IJLi6ELi7ELi8EEEEEEENS5_IJLi6ELi7ELi8ELi5EEEES1W_EELi16ELi32ELi256ELi256ELi128ELi16ELi16ELi8ELi8ELi32ELb0EE3RunILb1ELNS_10TailNumberE0ENSE_INSF_IJNSG_INSF_IJiiEEENSF_IJiSN_EEELb0EEENSV_IS2N_Lb0EEENST_IiEEEEENSF_IJS14_S2E_NS5_IJLi1EEEEEEENSF_IJNS5_IJLi1ELi2EEEENS5_IJLi3ELi4EEEES17_EEENS5_IJLi3ELi5ELi4EEEElEES1O_NS_35ThreadGroupTensorSliceTransfer_v4r1INS_15ThisThreadBlockILi256EEENS_16tensor_operation12element_wise11PassThroughES35_LNS_25InMemoryDataOperationEnumE0ENS5_IJLi8ELi256ELi16EEEENS5_IJLi8ELi32ELi1EEEENS5_IJLi1ELi0ELi2EEEESC_SC_RKS2Z_KS1O_S39_NS5_IJLi0ELi1ELi2EEEELi2ELi2ELi16ELi16ELi1ELi1ELb0ELb1ELi2EiEENS_13DynamicBufferILNS_16AddressSpaceEnumE1EKSC_lLb1ELNS_22AmdBufferCoherenceEnumE0EiEENSF_IJNS3F_ILS3G_2ESC_S1N_Lb1ELS3I_0EiEES3K_EEENSF_IJiiiEEENSE_INSF_IJNSG_INSF_IJiiiiEEENSF_IJiiiSN_EEELb0EEEEEES1T_S1V_S1U_lEENS_32ThreadwiseTensorSliceTransfer_v2ISD_SD_RKS3R_KS1X_NS5_IJLi8ELi1ELi1ELi32EEEENS5_IJLi1ELi2ELi0ELi3EEEELi3ELi32ELi0ELb1ELb0ELb0EEENS3F_ILS3G_1EKSD_lLb1ELS3I_0EiEENSF_IJNS_12StaticBufferILS3G_4ESD_Li256ELb1EEES42_EEES3N_NS_25StaticBufferTupleOfVectorILS3G_4EfLi64ELi4ELb1ELb0EEEEEvRKT1_RKT2_RT3_RKT4_RT5_RKT6_RKT7_RT8_RKT9_RT10_RKT11_RT12_iENKUlT_E0_clINSH_IiLi6EEEEEDaS51_EUlS51_E_EEvS51_EUlS51_E_EEvS51_,@function
_ZNK2ck6detail7applierIiJLi0ELi1ELi2ELi3ELi4ELi5ELi6ELi7EEEclIZNKS_11static_fordINS_8SequenceIJLi1ELi8EEEENS5_IJLi0ELi1EEEEEclIZZNKS_52BlockwiseGemmXdlops_pipeline_bpreshuffle_bdequant_v3ILNS_26BlockGemmPipelineSchedulerE0ELi256ENS_9f8_fnuz_tENS_7pk_i4_tESC_fNS_16TensorDescriptorINS_5TupleIJNS_5EmbedINSF_IJNS_17integral_constantIiLi8EEENSH_IiLi256EEENSH_IiLi16EEEEEENSF_IJSK_NSH_IiLi128EEENSH_IiLi1EEEEEELb0EEENS_3XorINSF_IJSJ_SI_EEELb1EEENS_11PassThroughISK_EENS_7UnMergeINSF_IJSI_SN_EEELb0EEENST_ISJ_EESU_NST_ISI_EENS_21Merge_v3_division_modINSF_IJSJ_SN_EEEEESU_EEENSF_IJNS5_IJLi0EEEENS5_IJLi2ELi1EEEENS5_IJLi3EEEENS5_IJLi5EEEENS5_IJLi4EEEENS5_IJLi6EEEENS5_IJLi7EEEENS5_IJLi9ELi8EEEENS5_IJLi10EEEEEEENSF_IJNS5_IJLi1ELi2ELi3EEEENS5_IJLi4ELi5EEEES19_NS5_IJLi7ELi8EEEENS5_IJLi9EEEES1C_NS5_IJLi11EEEENS5_IJLi12EEEENS5_IJLi13EEEEEEENS5_IJLi11ELi12ELi13EEEENSH_IlLl32768EEEEENSE_INSF_IJNSV_INSF_IJSI_SN_SN_NSH_IiLi32EEEEEELb0EEEEEENSF_IJS14_EEENSF_IJNS5_IJLi1ELi2ELi3ELi4EEEEEEES1U_NSH_IlLl256EEEEENSE_INSF_IJSP_SS_SU_SX_SY_SU_SZ_S12_SU_NS10_INSF_IJSI_SK_EEEEENSV_INSF_IJSI_NSH_IiLi2EEESK_EEELb0EEEEEENSF_IJS14_S15_S16_S17_S18_S19_S1A_S1B_S1C_NS5_IJLi11ELi13EEEES1J_EEENSF_IJS1E_S1F_S19_S1G_S1H_S1C_S1I_S1J_S1K_NS5_IJLi14EEEENS5_IJLi15ELi16ELi17EEEEEEENS5_IJLi15ELi16ELi17ELi14EEEES1N_EENSE_INSF_IJS1R_NS10_ISW_EES22_EEENSF_IJS14_NS5_IJLi1ELi3EEEENS5_IJLi2EEEEEEENSF_IJS1U_S17_NS5_IJLi6ELi7ELi8EEEEEEENS5_IJLi6ELi7ELi8ELi5EEEES1W_EELi16ELi32ELi256ELi256ELi128ELi16ELi16ELi8ELi8ELi32ELb0EE3RunILb1ELNS_10TailNumberE0ENSE_INSF_IJNSG_INSF_IJiiEEENSF_IJiSN_EEELb0EEENSV_IS2N_Lb0EEENST_IiEEEEENSF_IJS14_S2E_NS5_IJLi1EEEEEEENSF_IJNS5_IJLi1ELi2EEEENS5_IJLi3ELi4EEEES17_EEENS5_IJLi3ELi5ELi4EEEElEES1O_NS_35ThreadGroupTensorSliceTransfer_v4r1INS_15ThisThreadBlockILi256EEENS_16tensor_operation12element_wise11PassThroughES35_LNS_25InMemoryDataOperationEnumE0ENS5_IJLi8ELi256ELi16EEEENS5_IJLi8ELi32ELi1EEEENS5_IJLi1ELi0ELi2EEEESC_SC_RKS2Z_KS1O_S39_NS5_IJLi0ELi1ELi2EEEELi2ELi2ELi16ELi16ELi1ELi1ELb0ELb1ELi2EiEENS_13DynamicBufferILNS_16AddressSpaceEnumE1EKSC_lLb1ELNS_22AmdBufferCoherenceEnumE0EiEENSF_IJNS3F_ILS3G_2ESC_S1N_Lb1ELS3I_0EiEES3K_EEENSF_IJiiiEEENSE_INSF_IJNSG_INSF_IJiiiiEEENSF_IJiiiSN_EEELb0EEEEEES1T_S1V_S1U_lEENS_32ThreadwiseTensorSliceTransfer_v2ISD_SD_RKS3R_KS1X_NS5_IJLi8ELi1ELi1ELi32EEEENS5_IJLi1ELi2ELi0ELi3EEEELi3ELi32ELi0ELb1ELb0ELb0EEENS3F_ILS3G_1EKSD_lLb1ELS3I_0EiEENSF_IJNS_12StaticBufferILS3G_4ESD_Li256ELb1EEES42_EEES3N_NS_25StaticBufferTupleOfVectorILS3G_4EfLi64ELi4ELb1ELb0EEEEEvRKT1_RKT2_RT3_RKT4_RT5_RKT6_RKT7_RT8_RKT9_RT10_RKT11_RT12_iENKUlT_E0_clINSH_IiLi6EEEEEDaS51_EUlS51_E_EEvS51_EUlS51_E_EEvS51_: ; @_ZNK2ck6detail7applierIiJLi0ELi1ELi2ELi3ELi4ELi5ELi6ELi7EEEclIZNKS_11static_fordINS_8SequenceIJLi1ELi8EEEENS5_IJLi0ELi1EEEEEclIZZNKS_52BlockwiseGemmXdlops_pipeline_bpreshuffle_bdequant_v3ILNS_26BlockGemmPipelineSchedulerE0ELi256ENS_9f8_fnuz_tENS_7pk_i4_tESC_fNS_16TensorDescriptorINS_5TupleIJNS_5EmbedINSF_IJNS_17integral_constantIiLi8EEENSH_IiLi256EEENSH_IiLi16EEEEEENSF_IJSK_NSH_IiLi128EEENSH_IiLi1EEEEEELb0EEENS_3XorINSF_IJSJ_SI_EEELb1EEENS_11PassThroughISK_EENS_7UnMergeINSF_IJSI_SN_EEELb0EEENST_ISJ_EESU_NST_ISI_EENS_21Merge_v3_division_modINSF_IJSJ_SN_EEEEESU_EEENSF_IJNS5_IJLi0EEEENS5_IJLi2ELi1EEEENS5_IJLi3EEEENS5_IJLi5EEEENS5_IJLi4EEEENS5_IJLi6EEEENS5_IJLi7EEEENS5_IJLi9ELi8EEEENS5_IJLi10EEEEEEENSF_IJNS5_IJLi1ELi2ELi3EEEENS5_IJLi4ELi5EEEES19_NS5_IJLi7ELi8EEEENS5_IJLi9EEEES1C_NS5_IJLi11EEEENS5_IJLi12EEEENS5_IJLi13EEEEEEENS5_IJLi11ELi12ELi13EEEENSH_IlLl32768EEEEENSE_INSF_IJNSV_INSF_IJSI_SN_SN_NSH_IiLi32EEEEEELb0EEEEEENSF_IJS14_EEENSF_IJNS5_IJLi1ELi2ELi3ELi4EEEEEEES1U_NSH_IlLl256EEEEENSE_INSF_IJSP_SS_SU_SX_SY_SU_SZ_S12_SU_NS10_INSF_IJSI_SK_EEEEENSV_INSF_IJSI_NSH_IiLi2EEESK_EEELb0EEEEEENSF_IJS14_S15_S16_S17_S18_S19_S1A_S1B_S1C_NS5_IJLi11ELi13EEEES1J_EEENSF_IJS1E_S1F_S19_S1G_S1H_S1C_S1I_S1J_S1K_NS5_IJLi14EEEENS5_IJLi15ELi16ELi17EEEEEEENS5_IJLi15ELi16ELi17ELi14EEEES1N_EENSE_INSF_IJS1R_NS10_ISW_EES22_EEENSF_IJS14_NS5_IJLi1ELi3EEEENS5_IJLi2EEEEEEENSF_IJS1U_S17_NS5_IJLi6ELi7ELi8EEEEEEENS5_IJLi6ELi7ELi8ELi5EEEES1W_EELi16ELi32ELi256ELi256ELi128ELi16ELi16ELi8ELi8ELi32ELb0EE3RunILb1ELNS_10TailNumberE0ENSE_INSF_IJNSG_INSF_IJiiEEENSF_IJiSN_EEELb0EEENSV_IS2N_Lb0EEENST_IiEEEEENSF_IJS14_S2E_NS5_IJLi1EEEEEEENSF_IJNS5_IJLi1ELi2EEEENS5_IJLi3ELi4EEEES17_EEENS5_IJLi3ELi5ELi4EEEElEES1O_NS_35ThreadGroupTensorSliceTransfer_v4r1INS_15ThisThreadBlockILi256EEENS_16tensor_operation12element_wise11PassThroughES35_LNS_25InMemoryDataOperationEnumE0ENS5_IJLi8ELi256ELi16EEEENS5_IJLi8ELi32ELi1EEEENS5_IJLi1ELi0ELi2EEEESC_SC_RKS2Z_KS1O_S39_NS5_IJLi0ELi1ELi2EEEELi2ELi2ELi16ELi16ELi1ELi1ELb0ELb1ELi2EiEENS_13DynamicBufferILNS_16AddressSpaceEnumE1EKSC_lLb1ELNS_22AmdBufferCoherenceEnumE0EiEENSF_IJNS3F_ILS3G_2ESC_S1N_Lb1ELS3I_0EiEES3K_EEENSF_IJiiiEEENSE_INSF_IJNSG_INSF_IJiiiiEEENSF_IJiiiSN_EEELb0EEEEEES1T_S1V_S1U_lEENS_32ThreadwiseTensorSliceTransfer_v2ISD_SD_RKS3R_KS1X_NS5_IJLi8ELi1ELi1ELi32EEEENS5_IJLi1ELi2ELi0ELi3EEEELi3ELi32ELi0ELb1ELb0ELb0EEENS3F_ILS3G_1EKSD_lLb1ELS3I_0EiEENSF_IJNS_12StaticBufferILS3G_4ESD_Li256ELb1EEES42_EEES3N_NS_25StaticBufferTupleOfVectorILS3G_4EfLi64ELi4ELb1ELb0EEEEEvRKT1_RKT2_RT3_RKT4_RT5_RKT6_RKT7_RT8_RKT9_RT10_RKT11_RT12_iENKUlT_E0_clINSH_IiLi6EEEEEDaS51_EUlS51_E_EEvS51_EUlS51_E_EEvS51_
; %bb.0:
	s_waitcnt vmcnt(0) expcnt(0) lgkmcnt(0)
	flat_load_dwordx4 v[20:23], v[0:1] offset:8
	flat_load_dwordx2 v[18:19], v[0:1] offset:24
	s_movk_i32 s4, 0x7f
                                        ; implicit-def: $sgpr10
	s_waitcnt vmcnt(0) lgkmcnt(0)
	flat_load_dwordx4 v[14:17], v[20:21]
	flat_load_dwordx4 v[10:13], v[22:23]
	flat_load_dwordx4 v[6:9], v[20:21] offset:16
	flat_load_dwordx4 v[2:5], v[22:23] offset:16
	s_waitcnt vmcnt(0) lgkmcnt(0)
	v_cmp_gt_i16_sdwa s[6:7], v14, s4 src0_sel:BYTE_0 src1_sel:DWORD
	s_mov_b64 s[4:5], 0
	s_and_saveexec_b64 s[8:9], s[6:7]
	s_xor_b64 s[6:7], exec, s[8:9]
	s_cbranch_execnz .LBB24_2049
; %bb.1:
	s_or_saveexec_b64 s[6:7], s[6:7]
	v_mov_b32_e32 v20, s10
	s_xor_b64 exec, exec, s[6:7]
	s_cbranch_execnz .LBB24_2052
.LBB24_2:
	s_or_b64 exec, exec, s[6:7]
	s_and_saveexec_b64 s[6:7], s[4:5]
	s_cbranch_execz .LBB24_4
.LBB24_3:
	v_and_b32_e32 v20, 7, v14
	v_ffbh_u32_e32 v22, v20
	v_min_u32_e32 v22, 32, v22
	v_lshrrev_b16_e32 v21, 3, v14
	v_subrev_u32_e32 v23, 28, v22
	v_and_b32_e32 v21, 15, v21
	v_lshlrev_b32_e32 v23, v23, v14
	v_sub_u32_e32 v22, 29, v22
	v_and_b32_e32 v23, 7, v23
	v_cmp_eq_u16_e32 vcc, 0, v21
	v_cndmask_b32_e32 v20, v20, v23, vcc
	v_cndmask_b32_e32 v21, v21, v22, vcc
	v_lshlrev_b32_e32 v22, 24, v14
	v_mov_b32_e32 v23, 0x3b800000
	v_lshlrev_b32_e32 v20, 20, v20
	v_and_b32_e32 v22, 0x80000000, v22
	v_lshl_add_u32 v21, v21, 23, v23
	v_or3_b32 v20, v22, v21, v20
.LBB24_4:
	s_or_b64 exec, exec, s[6:7]
	s_movk_i32 s4, 0x7f
	v_cmp_gt_i16_sdwa s[6:7], v10, s4 src0_sel:BYTE_0 src1_sel:DWORD
	s_mov_b64 s[4:5], 0
                                        ; implicit-def: $sgpr10
	s_and_saveexec_b64 s[8:9], s[6:7]
	s_xor_b64 s[6:7], exec, s[8:9]
	s_cbranch_execnz .LBB24_2053
; %bb.5:
	s_or_saveexec_b64 s[6:7], s[6:7]
	v_mov_b32_e32 v21, s10
	s_xor_b64 exec, exec, s[6:7]
	s_cbranch_execnz .LBB24_2056
.LBB24_6:
	s_or_b64 exec, exec, s[6:7]
	s_and_saveexec_b64 s[6:7], s[4:5]
	s_cbranch_execz .LBB24_8
.LBB24_7:
	v_and_b32_e32 v21, 7, v10
	v_ffbh_u32_e32 v23, v21
	v_min_u32_e32 v23, 32, v23
	v_lshrrev_b16_e32 v22, 3, v10
	v_subrev_u32_e32 v24, 28, v23
	v_and_b32_e32 v22, 15, v22
	v_lshlrev_b32_e32 v24, v24, v10
	v_sub_u32_e32 v23, 29, v23
	v_and_b32_e32 v24, 7, v24
	v_cmp_eq_u16_e32 vcc, 0, v22
	v_cndmask_b32_e32 v21, v21, v24, vcc
	v_cndmask_b32_e32 v22, v22, v23, vcc
	v_lshlrev_b32_e32 v23, 24, v10
	v_mov_b32_e32 v24, 0x3b800000
	v_lshlrev_b32_e32 v21, 20, v21
	v_and_b32_e32 v23, 0x80000000, v23
	v_lshl_add_u32 v22, v22, 23, v24
	v_or3_b32 v21, v23, v22, v21
.LBB24_8:
	s_or_b64 exec, exec, s[6:7]
	flat_load_dwordx4 a[0:3], v[18:19] offset:768
	s_movk_i32 s4, 0x7f
                                        ; implicit-def: $sgpr10
	s_waitcnt vmcnt(0) lgkmcnt(0)
	v_mfma_f32_16x16x4f32 a[0:3], v20, v21, a[0:3]
	v_lshrrev_b32_e32 v21, 8, v14
	v_cmp_gt_i16_sdwa s[6:7], v21, s4 src0_sel:BYTE_0 src1_sel:DWORD
	s_mov_b64 s[4:5], 0
	s_and_saveexec_b64 s[8:9], s[6:7]
	s_xor_b64 s[6:7], exec, s[8:9]
	s_cbranch_execnz .LBB24_2057
; %bb.9:
	s_or_saveexec_b64 s[6:7], s[6:7]
	v_mov_b32_e32 v20, s10
	s_xor_b64 exec, exec, s[6:7]
	s_cbranch_execnz .LBB24_2060
.LBB24_10:
	s_or_b64 exec, exec, s[6:7]
	s_and_saveexec_b64 s[6:7], s[4:5]
	s_cbranch_execz .LBB24_12
.LBB24_11:
	v_bfe_u32 v20, v14, 8, 3
	v_ffbh_u32_e32 v23, v20
	v_min_u32_e32 v23, 32, v23
	v_lshrrev_b16_e32 v22, 3, v21
	v_subrev_u32_e32 v24, 28, v23
	v_and_b32_e32 v22, 15, v22
	v_lshlrev_b32_e32 v21, v24, v21
	v_sub_u32_e32 v23, 29, v23
	v_and_b32_e32 v21, 7, v21
	v_cmp_eq_u16_e32 vcc, 0, v22
	v_cndmask_b32_e32 v20, v20, v21, vcc
	v_cndmask_b32_e32 v21, v22, v23, vcc
	v_lshlrev_b32_e32 v22, 16, v14
	v_mov_b32_e32 v23, 0x3b800000
	v_lshlrev_b32_e32 v20, 20, v20
	v_and_b32_e32 v22, 0x80000000, v22
	v_lshl_add_u32 v21, v21, 23, v23
	v_or3_b32 v20, v22, v21, v20
.LBB24_12:
	s_or_b64 exec, exec, s[6:7]
	v_lshrrev_b32_e32 v21, 8, v10
	s_movk_i32 s4, 0x7f
	v_cmp_gt_i16_sdwa s[6:7], v21, s4 src0_sel:BYTE_0 src1_sel:DWORD
	s_mov_b64 s[4:5], 0
                                        ; implicit-def: $sgpr10
	s_and_saveexec_b64 s[8:9], s[6:7]
	s_xor_b64 s[6:7], exec, s[8:9]
	s_cbranch_execnz .LBB24_2061
; %bb.13:
	s_or_saveexec_b64 s[6:7], s[6:7]
	v_mov_b32_e32 v22, s10
	s_xor_b64 exec, exec, s[6:7]
	s_cbranch_execnz .LBB24_2064
.LBB24_14:
	s_or_b64 exec, exec, s[6:7]
	s_and_saveexec_b64 s[6:7], s[4:5]
	s_cbranch_execz .LBB24_16
.LBB24_15:
	v_bfe_u32 v22, v10, 8, 3
	v_ffbh_u32_e32 v24, v22
	v_min_u32_e32 v24, 32, v24
	v_lshrrev_b16_e32 v23, 3, v21
	v_subrev_u32_e32 v25, 28, v24
	v_and_b32_e32 v23, 15, v23
	v_lshlrev_b32_e32 v21, v25, v21
	v_sub_u32_e32 v24, 29, v24
	v_and_b32_e32 v21, 7, v21
	v_cmp_eq_u16_e32 vcc, 0, v23
	v_cndmask_b32_e32 v21, v22, v21, vcc
	v_cndmask_b32_e32 v22, v23, v24, vcc
	v_lshlrev_b32_e32 v23, 16, v10
	v_mov_b32_e32 v24, 0x3b800000
	v_lshlrev_b32_e32 v21, 20, v21
	v_and_b32_e32 v23, 0x80000000, v23
	v_lshl_add_u32 v22, v22, 23, v24
	v_or3_b32 v22, v23, v22, v21
.LBB24_16:
	s_or_b64 exec, exec, s[6:7]
	s_nop 0
	v_mfma_f32_16x16x4f32 a[0:3], v20, v22, a[0:3]
	s_movk_i32 s4, 0xff
	v_and_b32_sdwa v21, v14, s4 dst_sel:DWORD dst_unused:UNUSED_PAD src0_sel:WORD_1 src1_sel:DWORD
	s_movk_i32 s4, 0x7f
	v_cmp_lt_i16_e32 vcc, s4, v21
	s_mov_b64 s[4:5], 0
                                        ; implicit-def: $sgpr10
	s_and_saveexec_b64 s[6:7], vcc
	s_xor_b64 s[6:7], exec, s[6:7]
	s_cbranch_execnz .LBB24_2065
; %bb.17:
	s_or_saveexec_b64 s[6:7], s[6:7]
	v_mov_b32_e32 v20, s10
	s_xor_b64 exec, exec, s[6:7]
	s_cbranch_execnz .LBB24_2068
.LBB24_18:
	s_or_b64 exec, exec, s[6:7]
	s_and_saveexec_b64 s[6:7], s[4:5]
	s_cbranch_execz .LBB24_20
.LBB24_19:
	v_bfe_u32 v20, v14, 16, 3
	v_ffbh_u32_e32 v23, v20
	v_min_u32_e32 v23, 32, v23
	v_lshrrev_b32_e32 v21, 19, v14
	v_subrev_u32_e32 v24, 28, v23
	v_and_b32_e32 v21, 15, v21
	v_lshlrev_b32_sdwa v24, v24, v14 dst_sel:DWORD dst_unused:UNUSED_PAD src0_sel:DWORD src1_sel:WORD_1
	v_bfe_u32 v22, v14, 19, 4
	v_sub_u32_e32 v23, 29, v23
	v_and_b32_e32 v24, 7, v24
	v_cmp_eq_u16_e32 vcc, 0, v21
	v_cndmask_b32_e32 v20, v20, v24, vcc
	v_cndmask_b32_e32 v21, v22, v23, vcc
	v_lshlrev_b32_e32 v22, 8, v14
	v_mov_b32_e32 v23, 0x3b800000
	v_lshlrev_b32_e32 v20, 20, v20
	v_and_b32_e32 v22, 0x80000000, v22
	v_lshl_add_u32 v21, v21, 23, v23
	v_or3_b32 v20, v22, v21, v20
.LBB24_20:
	s_or_b64 exec, exec, s[6:7]
	s_movk_i32 s4, 0xff
	v_and_b32_sdwa v21, v10, s4 dst_sel:DWORD dst_unused:UNUSED_PAD src0_sel:WORD_1 src1_sel:DWORD
	s_movk_i32 s4, 0x7f
	v_cmp_lt_i16_e32 vcc, s4, v21
	s_mov_b64 s[4:5], 0
                                        ; implicit-def: $sgpr10
	s_and_saveexec_b64 s[6:7], vcc
	s_xor_b64 s[6:7], exec, s[6:7]
	s_cbranch_execnz .LBB24_2069
; %bb.21:
	s_or_saveexec_b64 s[6:7], s[6:7]
	v_mov_b32_e32 v22, s10
	s_xor_b64 exec, exec, s[6:7]
	s_cbranch_execnz .LBB24_2072
.LBB24_22:
	s_or_b64 exec, exec, s[6:7]
	s_and_saveexec_b64 s[6:7], s[4:5]
	s_cbranch_execz .LBB24_24
.LBB24_23:
	v_bfe_u32 v21, v10, 16, 3
	v_ffbh_u32_e32 v24, v21
	v_min_u32_e32 v24, 32, v24
	v_lshrrev_b32_e32 v22, 19, v10
	v_subrev_u32_e32 v25, 28, v24
	v_and_b32_e32 v22, 15, v22
	v_lshlrev_b32_sdwa v25, v25, v10 dst_sel:DWORD dst_unused:UNUSED_PAD src0_sel:DWORD src1_sel:WORD_1
	v_bfe_u32 v23, v10, 19, 4
	v_sub_u32_e32 v24, 29, v24
	v_and_b32_e32 v25, 7, v25
	v_cmp_eq_u16_e32 vcc, 0, v22
	v_cndmask_b32_e32 v21, v21, v25, vcc
	v_cndmask_b32_e32 v22, v23, v24, vcc
	v_lshlrev_b32_e32 v23, 8, v10
	v_mov_b32_e32 v24, 0x3b800000
	v_lshlrev_b32_e32 v21, 20, v21
	v_and_b32_e32 v23, 0x80000000, v23
	v_lshl_add_u32 v22, v22, 23, v24
	v_or3_b32 v22, v23, v22, v21
.LBB24_24:
	s_or_b64 exec, exec, s[6:7]
	s_nop 0
	v_mfma_f32_16x16x4f32 a[0:3], v20, v22, a[0:3]
	s_movk_i32 s4, 0x7f
	v_cmp_gt_i16_sdwa s[6:7], v14, s4 src0_sel:BYTE_3 src1_sel:DWORD
	s_mov_b64 s[4:5], 0
                                        ; implicit-def: $sgpr10
	s_and_saveexec_b64 s[8:9], s[6:7]
	s_xor_b64 s[6:7], exec, s[8:9]
	s_cbranch_execnz .LBB24_2073
; %bb.25:
	s_or_saveexec_b64 s[6:7], s[6:7]
	v_mov_b32_e32 v20, s10
	s_xor_b64 exec, exec, s[6:7]
	s_cbranch_execnz .LBB24_2076
.LBB24_26:
	s_or_b64 exec, exec, s[6:7]
	s_and_saveexec_b64 s[6:7], s[4:5]
	s_cbranch_execz .LBB24_28
.LBB24_27:
	v_bfe_u32 v20, v14, 24, 3
	v_ffbh_u32_e32 v24, v20
	v_min_u32_e32 v24, 32, v24
	v_lshrrev_b32_e32 v22, 27, v14
	v_subrev_u32_e32 v25, 28, v24
	v_and_b32_e32 v21, 0x80000000, v14
	v_and_b32_e32 v22, 15, v22
	v_bfe_u32 v23, v14, 27, 4
	v_lshlrev_b32_sdwa v14, v25, v14 dst_sel:DWORD dst_unused:UNUSED_PAD src0_sel:DWORD src1_sel:BYTE_3
	v_sub_u32_e32 v24, 29, v24
	v_and_b32_e32 v14, 7, v14
	v_cmp_eq_u16_e32 vcc, 0, v22
	v_cndmask_b32_e32 v14, v20, v14, vcc
	v_cndmask_b32_e32 v20, v23, v24, vcc
	v_mov_b32_e32 v22, 0x3b800000
	v_lshlrev_b32_e32 v14, 20, v14
	v_lshl_add_u32 v20, v20, 23, v22
	v_or3_b32 v20, v21, v20, v14
.LBB24_28:
	s_or_b64 exec, exec, s[6:7]
	s_movk_i32 s4, 0x7f
	v_cmp_gt_i16_sdwa s[6:7], v10, s4 src0_sel:BYTE_3 src1_sel:DWORD
	s_mov_b64 s[4:5], 0
                                        ; implicit-def: $sgpr10
	s_and_saveexec_b64 s[8:9], s[6:7]
	s_xor_b64 s[6:7], exec, s[8:9]
	s_cbranch_execnz .LBB24_2077
; %bb.29:
	s_or_saveexec_b64 s[6:7], s[6:7]
	v_mov_b32_e32 v14, s10
	s_xor_b64 exec, exec, s[6:7]
	s_cbranch_execnz .LBB24_2080
.LBB24_30:
	s_or_b64 exec, exec, s[6:7]
	s_and_saveexec_b64 s[6:7], s[4:5]
	s_cbranch_execz .LBB24_32
.LBB24_31:
	v_bfe_u32 v14, v10, 24, 3
	v_ffbh_u32_e32 v24, v14
	v_min_u32_e32 v24, 32, v24
	v_lshrrev_b32_e32 v22, 27, v10
	v_subrev_u32_e32 v25, 28, v24
	v_and_b32_e32 v21, 0x80000000, v10
	v_and_b32_e32 v22, 15, v22
	v_bfe_u32 v23, v10, 27, 4
	v_lshlrev_b32_sdwa v10, v25, v10 dst_sel:DWORD dst_unused:UNUSED_PAD src0_sel:DWORD src1_sel:BYTE_3
	v_sub_u32_e32 v24, 29, v24
	v_and_b32_e32 v10, 7, v10
	v_cmp_eq_u16_e32 vcc, 0, v22
	v_cndmask_b32_e32 v10, v14, v10, vcc
	v_cndmask_b32_e32 v14, v23, v24, vcc
	v_mov_b32_e32 v22, 0x3b800000
	v_lshlrev_b32_e32 v10, 20, v10
	v_lshl_add_u32 v14, v14, 23, v22
	v_or3_b32 v14, v21, v14, v10
.LBB24_32:
	s_or_b64 exec, exec, s[6:7]
	s_nop 0
	v_mfma_f32_16x16x4f32 a[0:3], v20, v14, a[0:3]
	s_movk_i32 s4, 0x7f
	v_cmp_gt_i16_sdwa s[6:7], v15, s4 src0_sel:BYTE_0 src1_sel:DWORD
	s_mov_b64 s[4:5], 0
                                        ; implicit-def: $sgpr10
	s_and_saveexec_b64 s[8:9], s[6:7]
	s_xor_b64 s[6:7], exec, s[8:9]
	s_cbranch_execnz .LBB24_2081
; %bb.33:
	s_or_saveexec_b64 s[6:7], s[6:7]
	v_mov_b32_e32 v10, s10
	s_xor_b64 exec, exec, s[6:7]
	s_cbranch_execnz .LBB24_2084
.LBB24_34:
	s_or_b64 exec, exec, s[6:7]
	s_and_saveexec_b64 s[6:7], s[4:5]
	s_cbranch_execz .LBB24_36
.LBB24_35:
	v_and_b32_e32 v10, 7, v15
	v_ffbh_u32_e32 v20, v10
	v_min_u32_e32 v20, 32, v20
	v_lshrrev_b16_e32 v14, 3, v15
	v_subrev_u32_e32 v21, 28, v20
	v_and_b32_e32 v14, 15, v14
	v_lshlrev_b32_e32 v21, v21, v15
	v_sub_u32_e32 v20, 29, v20
	v_and_b32_e32 v21, 7, v21
	v_cmp_eq_u16_e32 vcc, 0, v14
	v_cndmask_b32_e32 v10, v10, v21, vcc
	v_cndmask_b32_e32 v14, v14, v20, vcc
	v_lshlrev_b32_e32 v20, 24, v15
	v_mov_b32_e32 v21, 0x3b800000
	v_lshlrev_b32_e32 v10, 20, v10
	v_and_b32_e32 v20, 0x80000000, v20
	v_lshl_add_u32 v14, v14, 23, v21
	v_or3_b32 v10, v20, v14, v10
.LBB24_36:
	s_or_b64 exec, exec, s[6:7]
	s_movk_i32 s4, 0x7f
	v_cmp_gt_i16_sdwa s[6:7], v11, s4 src0_sel:BYTE_0 src1_sel:DWORD
	s_mov_b64 s[4:5], 0
                                        ; implicit-def: $sgpr10
	s_and_saveexec_b64 s[8:9], s[6:7]
	s_xor_b64 s[6:7], exec, s[8:9]
	s_cbranch_execnz .LBB24_2085
; %bb.37:
	s_or_saveexec_b64 s[6:7], s[6:7]
	v_mov_b32_e32 v14, s10
	s_xor_b64 exec, exec, s[6:7]
	s_cbranch_execnz .LBB24_2088
.LBB24_38:
	s_or_b64 exec, exec, s[6:7]
	s_and_saveexec_b64 s[6:7], s[4:5]
	s_cbranch_execz .LBB24_40
.LBB24_39:
	v_and_b32_e32 v14, 7, v11
	v_ffbh_u32_e32 v21, v14
	v_min_u32_e32 v21, 32, v21
	v_lshrrev_b16_e32 v20, 3, v11
	v_subrev_u32_e32 v22, 28, v21
	v_and_b32_e32 v20, 15, v20
	v_lshlrev_b32_e32 v22, v22, v11
	v_sub_u32_e32 v21, 29, v21
	v_and_b32_e32 v22, 7, v22
	v_cmp_eq_u16_e32 vcc, 0, v20
	v_cndmask_b32_e32 v14, v14, v22, vcc
	v_cndmask_b32_e32 v20, v20, v21, vcc
	v_lshlrev_b32_e32 v21, 24, v11
	v_mov_b32_e32 v22, 0x3b800000
	v_lshlrev_b32_e32 v14, 20, v14
	v_and_b32_e32 v21, 0x80000000, v21
	v_lshl_add_u32 v20, v20, 23, v22
	v_or3_b32 v14, v21, v20, v14
.LBB24_40:
	s_or_b64 exec, exec, s[6:7]
	s_nop 0
	v_mfma_f32_16x16x4f32 a[0:3], v10, v14, a[0:3]
	v_lshrrev_b32_e32 v14, 8, v15
	s_movk_i32 s4, 0x7f
	v_cmp_gt_i16_sdwa s[6:7], v14, s4 src0_sel:BYTE_0 src1_sel:DWORD
	s_mov_b64 s[4:5], 0
                                        ; implicit-def: $sgpr10
	s_and_saveexec_b64 s[8:9], s[6:7]
	s_xor_b64 s[6:7], exec, s[8:9]
	s_cbranch_execnz .LBB24_2089
; %bb.41:
	s_or_saveexec_b64 s[6:7], s[6:7]
	v_mov_b32_e32 v10, s10
	s_xor_b64 exec, exec, s[6:7]
	s_cbranch_execnz .LBB24_2092
.LBB24_42:
	s_or_b64 exec, exec, s[6:7]
	s_and_saveexec_b64 s[6:7], s[4:5]
	s_cbranch_execz .LBB24_44
.LBB24_43:
	v_bfe_u32 v10, v15, 8, 3
	v_ffbh_u32_e32 v21, v10
	v_min_u32_e32 v21, 32, v21
	v_lshrrev_b16_e32 v20, 3, v14
	v_subrev_u32_e32 v22, 28, v21
	v_and_b32_e32 v20, 15, v20
	v_lshlrev_b32_e32 v14, v22, v14
	v_sub_u32_e32 v21, 29, v21
	v_and_b32_e32 v14, 7, v14
	v_cmp_eq_u16_e32 vcc, 0, v20
	v_cndmask_b32_e32 v10, v10, v14, vcc
	v_cndmask_b32_e32 v14, v20, v21, vcc
	v_lshlrev_b32_e32 v20, 16, v15
	v_mov_b32_e32 v21, 0x3b800000
	v_lshlrev_b32_e32 v10, 20, v10
	v_and_b32_e32 v20, 0x80000000, v20
	v_lshl_add_u32 v14, v14, 23, v21
	v_or3_b32 v10, v20, v14, v10
.LBB24_44:
	s_or_b64 exec, exec, s[6:7]
	v_lshrrev_b32_e32 v14, 8, v11
	s_movk_i32 s4, 0x7f
	v_cmp_gt_i16_sdwa s[6:7], v14, s4 src0_sel:BYTE_0 src1_sel:DWORD
	s_mov_b64 s[4:5], 0
                                        ; implicit-def: $sgpr10
	s_and_saveexec_b64 s[8:9], s[6:7]
	s_xor_b64 s[6:7], exec, s[8:9]
	s_cbranch_execnz .LBB24_2093
; %bb.45:
	s_or_saveexec_b64 s[6:7], s[6:7]
	v_mov_b32_e32 v20, s10
	s_xor_b64 exec, exec, s[6:7]
	s_cbranch_execnz .LBB24_2096
.LBB24_46:
	s_or_b64 exec, exec, s[6:7]
	s_and_saveexec_b64 s[6:7], s[4:5]
	s_cbranch_execz .LBB24_48
.LBB24_47:
	v_bfe_u32 v20, v11, 8, 3
	v_ffbh_u32_e32 v22, v20
	v_min_u32_e32 v22, 32, v22
	v_lshrrev_b16_e32 v21, 3, v14
	v_subrev_u32_e32 v23, 28, v22
	v_and_b32_e32 v21, 15, v21
	v_lshlrev_b32_e32 v14, v23, v14
	v_sub_u32_e32 v22, 29, v22
	v_and_b32_e32 v14, 7, v14
	v_cmp_eq_u16_e32 vcc, 0, v21
	v_cndmask_b32_e32 v14, v20, v14, vcc
	v_cndmask_b32_e32 v20, v21, v22, vcc
	v_lshlrev_b32_e32 v21, 16, v11
	v_mov_b32_e32 v22, 0x3b800000
	v_lshlrev_b32_e32 v14, 20, v14
	v_and_b32_e32 v21, 0x80000000, v21
	v_lshl_add_u32 v20, v20, 23, v22
	v_or3_b32 v20, v21, v20, v14
.LBB24_48:
	s_or_b64 exec, exec, s[6:7]
	s_nop 0
	v_mfma_f32_16x16x4f32 a[0:3], v10, v20, a[0:3]
	s_movk_i32 s4, 0xff
	v_and_b32_sdwa v14, v15, s4 dst_sel:DWORD dst_unused:UNUSED_PAD src0_sel:WORD_1 src1_sel:DWORD
	s_movk_i32 s4, 0x7f
	v_cmp_lt_i16_e32 vcc, s4, v14
	s_mov_b64 s[4:5], 0
                                        ; implicit-def: $sgpr10
	s_and_saveexec_b64 s[6:7], vcc
	s_xor_b64 s[6:7], exec, s[6:7]
	s_cbranch_execnz .LBB24_2097
; %bb.49:
	s_or_saveexec_b64 s[6:7], s[6:7]
	v_mov_b32_e32 v10, s10
	s_xor_b64 exec, exec, s[6:7]
	s_cbranch_execnz .LBB24_2100
.LBB24_50:
	s_or_b64 exec, exec, s[6:7]
	s_and_saveexec_b64 s[6:7], s[4:5]
	s_cbranch_execz .LBB24_52
.LBB24_51:
	v_bfe_u32 v10, v15, 16, 3
	v_ffbh_u32_e32 v21, v10
	v_min_u32_e32 v21, 32, v21
	v_lshrrev_b32_e32 v14, 19, v15
	v_subrev_u32_e32 v22, 28, v21
	v_and_b32_e32 v14, 15, v14
	v_lshlrev_b32_sdwa v22, v22, v15 dst_sel:DWORD dst_unused:UNUSED_PAD src0_sel:DWORD src1_sel:WORD_1
	v_bfe_u32 v20, v15, 19, 4
	v_sub_u32_e32 v21, 29, v21
	v_and_b32_e32 v22, 7, v22
	v_cmp_eq_u16_e32 vcc, 0, v14
	v_cndmask_b32_e32 v10, v10, v22, vcc
	v_cndmask_b32_e32 v14, v20, v21, vcc
	v_lshlrev_b32_e32 v20, 8, v15
	v_mov_b32_e32 v21, 0x3b800000
	v_lshlrev_b32_e32 v10, 20, v10
	v_and_b32_e32 v20, 0x80000000, v20
	v_lshl_add_u32 v14, v14, 23, v21
	v_or3_b32 v10, v20, v14, v10
.LBB24_52:
	s_or_b64 exec, exec, s[6:7]
	s_movk_i32 s4, 0xff
	v_and_b32_sdwa v14, v11, s4 dst_sel:DWORD dst_unused:UNUSED_PAD src0_sel:WORD_1 src1_sel:DWORD
	s_movk_i32 s4, 0x7f
	v_cmp_lt_i16_e32 vcc, s4, v14
	s_mov_b64 s[4:5], 0
                                        ; implicit-def: $sgpr10
	s_and_saveexec_b64 s[6:7], vcc
	s_xor_b64 s[6:7], exec, s[6:7]
	s_cbranch_execnz .LBB24_2101
; %bb.53:
	s_or_saveexec_b64 s[6:7], s[6:7]
	v_mov_b32_e32 v20, s10
	s_xor_b64 exec, exec, s[6:7]
	s_cbranch_execnz .LBB24_2104
.LBB24_54:
	s_or_b64 exec, exec, s[6:7]
	s_and_saveexec_b64 s[6:7], s[4:5]
	s_cbranch_execz .LBB24_56
.LBB24_55:
	v_bfe_u32 v14, v11, 16, 3
	v_ffbh_u32_e32 v22, v14
	v_min_u32_e32 v22, 32, v22
	v_lshrrev_b32_e32 v20, 19, v11
	v_subrev_u32_e32 v23, 28, v22
	v_and_b32_e32 v20, 15, v20
	v_lshlrev_b32_sdwa v23, v23, v11 dst_sel:DWORD dst_unused:UNUSED_PAD src0_sel:DWORD src1_sel:WORD_1
	v_bfe_u32 v21, v11, 19, 4
	v_sub_u32_e32 v22, 29, v22
	v_and_b32_e32 v23, 7, v23
	v_cmp_eq_u16_e32 vcc, 0, v20
	v_cndmask_b32_e32 v14, v14, v23, vcc
	v_cndmask_b32_e32 v20, v21, v22, vcc
	v_lshlrev_b32_e32 v21, 8, v11
	v_mov_b32_e32 v22, 0x3b800000
	v_lshlrev_b32_e32 v14, 20, v14
	v_and_b32_e32 v21, 0x80000000, v21
	v_lshl_add_u32 v20, v20, 23, v22
	v_or3_b32 v20, v21, v20, v14
.LBB24_56:
	s_or_b64 exec, exec, s[6:7]
	s_nop 0
	v_mfma_f32_16x16x4f32 a[0:3], v10, v20, a[0:3]
	s_movk_i32 s4, 0x7f
	v_cmp_gt_i16_sdwa s[6:7], v15, s4 src0_sel:BYTE_3 src1_sel:DWORD
	s_mov_b64 s[4:5], 0
                                        ; implicit-def: $sgpr10
	s_and_saveexec_b64 s[8:9], s[6:7]
	s_xor_b64 s[6:7], exec, s[8:9]
	s_cbranch_execnz .LBB24_2105
; %bb.57:
	s_or_saveexec_b64 s[6:7], s[6:7]
	v_mov_b32_e32 v10, s10
	s_xor_b64 exec, exec, s[6:7]
	s_cbranch_execnz .LBB24_2108
.LBB24_58:
	s_or_b64 exec, exec, s[6:7]
	s_and_saveexec_b64 s[6:7], s[4:5]
	s_cbranch_execz .LBB24_60
.LBB24_59:
	v_bfe_u32 v10, v15, 24, 3
	v_ffbh_u32_e32 v22, v10
	v_min_u32_e32 v22, 32, v22
	v_lshrrev_b32_e32 v20, 27, v15
	v_subrev_u32_e32 v23, 28, v22
	v_and_b32_e32 v14, 0x80000000, v15
	v_and_b32_e32 v20, 15, v20
	v_bfe_u32 v21, v15, 27, 4
	v_lshlrev_b32_sdwa v15, v23, v15 dst_sel:DWORD dst_unused:UNUSED_PAD src0_sel:DWORD src1_sel:BYTE_3
	v_sub_u32_e32 v22, 29, v22
	v_and_b32_e32 v15, 7, v15
	v_cmp_eq_u16_e32 vcc, 0, v20
	v_cndmask_b32_e32 v10, v10, v15, vcc
	v_cndmask_b32_e32 v15, v21, v22, vcc
	v_mov_b32_e32 v20, 0x3b800000
	v_lshlrev_b32_e32 v10, 20, v10
	v_lshl_add_u32 v15, v15, 23, v20
	v_or3_b32 v10, v14, v15, v10
.LBB24_60:
	s_or_b64 exec, exec, s[6:7]
	s_movk_i32 s4, 0x7f
	v_cmp_gt_i16_sdwa s[6:7], v11, s4 src0_sel:BYTE_3 src1_sel:DWORD
	s_mov_b64 s[4:5], 0
                                        ; implicit-def: $sgpr10
	s_and_saveexec_b64 s[8:9], s[6:7]
	s_xor_b64 s[6:7], exec, s[8:9]
	s_cbranch_execnz .LBB24_2109
; %bb.61:
	s_or_saveexec_b64 s[6:7], s[6:7]
	v_mov_b32_e32 v14, s10
	s_xor_b64 exec, exec, s[6:7]
	s_cbranch_execnz .LBB24_2112
.LBB24_62:
	s_or_b64 exec, exec, s[6:7]
	s_and_saveexec_b64 s[6:7], s[4:5]
	s_cbranch_execz .LBB24_64
.LBB24_63:
	v_bfe_u32 v14, v11, 24, 3
	v_ffbh_u32_e32 v22, v14
	v_min_u32_e32 v22, 32, v22
	v_lshrrev_b32_e32 v20, 27, v11
	v_subrev_u32_e32 v23, 28, v22
	v_and_b32_e32 v15, 0x80000000, v11
	v_and_b32_e32 v20, 15, v20
	v_bfe_u32 v21, v11, 27, 4
	v_lshlrev_b32_sdwa v11, v23, v11 dst_sel:DWORD dst_unused:UNUSED_PAD src0_sel:DWORD src1_sel:BYTE_3
	v_sub_u32_e32 v22, 29, v22
	v_and_b32_e32 v11, 7, v11
	v_cmp_eq_u16_e32 vcc, 0, v20
	v_cndmask_b32_e32 v11, v14, v11, vcc
	v_cndmask_b32_e32 v14, v21, v22, vcc
	v_mov_b32_e32 v20, 0x3b800000
	v_lshlrev_b32_e32 v11, 20, v11
	v_lshl_add_u32 v14, v14, 23, v20
	v_or3_b32 v14, v15, v14, v11
.LBB24_64:
	s_or_b64 exec, exec, s[6:7]
	s_nop 0
	v_mfma_f32_16x16x4f32 a[0:3], v10, v14, a[0:3]
	s_movk_i32 s4, 0x7f
	v_cmp_gt_i16_sdwa s[6:7], v16, s4 src0_sel:BYTE_0 src1_sel:DWORD
	s_mov_b64 s[4:5], 0
                                        ; implicit-def: $sgpr10
	s_and_saveexec_b64 s[8:9], s[6:7]
	s_xor_b64 s[6:7], exec, s[8:9]
	s_cbranch_execnz .LBB24_2113
; %bb.65:
	s_or_saveexec_b64 s[6:7], s[6:7]
	v_mov_b32_e32 v10, s10
	s_xor_b64 exec, exec, s[6:7]
	s_cbranch_execnz .LBB24_2116
.LBB24_66:
	s_or_b64 exec, exec, s[6:7]
	s_and_saveexec_b64 s[6:7], s[4:5]
	s_cbranch_execz .LBB24_68
.LBB24_67:
	v_and_b32_e32 v10, 7, v16
	v_ffbh_u32_e32 v14, v10
	v_min_u32_e32 v14, 32, v14
	v_lshrrev_b16_e32 v11, 3, v16
	v_subrev_u32_e32 v15, 28, v14
	v_and_b32_e32 v11, 15, v11
	v_lshlrev_b32_e32 v15, v15, v16
	v_sub_u32_e32 v14, 29, v14
	v_and_b32_e32 v15, 7, v15
	v_cmp_eq_u16_e32 vcc, 0, v11
	v_cndmask_b32_e32 v10, v10, v15, vcc
	v_cndmask_b32_e32 v11, v11, v14, vcc
	v_lshlrev_b32_e32 v14, 24, v16
	v_mov_b32_e32 v15, 0x3b800000
	v_lshlrev_b32_e32 v10, 20, v10
	v_and_b32_e32 v14, 0x80000000, v14
	v_lshl_add_u32 v11, v11, 23, v15
	v_or3_b32 v10, v14, v11, v10
.LBB24_68:
	s_or_b64 exec, exec, s[6:7]
	s_movk_i32 s4, 0x7f
	v_cmp_gt_i16_sdwa s[6:7], v12, s4 src0_sel:BYTE_0 src1_sel:DWORD
	s_mov_b64 s[4:5], 0
                                        ; implicit-def: $sgpr10
	s_and_saveexec_b64 s[8:9], s[6:7]
	s_xor_b64 s[6:7], exec, s[8:9]
	s_cbranch_execnz .LBB24_2117
; %bb.69:
	s_or_saveexec_b64 s[6:7], s[6:7]
	v_mov_b32_e32 v11, s10
	s_xor_b64 exec, exec, s[6:7]
	s_cbranch_execnz .LBB24_2120
.LBB24_70:
	s_or_b64 exec, exec, s[6:7]
	s_and_saveexec_b64 s[6:7], s[4:5]
	s_cbranch_execz .LBB24_72
.LBB24_71:
	v_and_b32_e32 v11, 7, v12
	v_ffbh_u32_e32 v15, v11
	v_min_u32_e32 v15, 32, v15
	v_lshrrev_b16_e32 v14, 3, v12
	v_subrev_u32_e32 v20, 28, v15
	v_and_b32_e32 v14, 15, v14
	v_lshlrev_b32_e32 v20, v20, v12
	v_sub_u32_e32 v15, 29, v15
	v_and_b32_e32 v20, 7, v20
	v_cmp_eq_u16_e32 vcc, 0, v14
	v_cndmask_b32_e32 v11, v11, v20, vcc
	v_cndmask_b32_e32 v14, v14, v15, vcc
	v_lshlrev_b32_e32 v15, 24, v12
	v_mov_b32_e32 v20, 0x3b800000
	v_lshlrev_b32_e32 v11, 20, v11
	v_and_b32_e32 v15, 0x80000000, v15
	v_lshl_add_u32 v14, v14, 23, v20
	v_or3_b32 v11, v15, v14, v11
.LBB24_72:
	s_or_b64 exec, exec, s[6:7]
	s_nop 0
	v_mfma_f32_16x16x4f32 a[0:3], v10, v11, a[0:3]
	v_lshrrev_b32_e32 v11, 8, v16
	s_movk_i32 s4, 0x7f
	v_cmp_gt_i16_sdwa s[6:7], v11, s4 src0_sel:BYTE_0 src1_sel:DWORD
	s_mov_b64 s[4:5], 0
                                        ; implicit-def: $sgpr10
	s_and_saveexec_b64 s[8:9], s[6:7]
	s_xor_b64 s[6:7], exec, s[8:9]
	s_cbranch_execnz .LBB24_2121
; %bb.73:
	s_or_saveexec_b64 s[6:7], s[6:7]
	v_mov_b32_e32 v10, s10
	s_xor_b64 exec, exec, s[6:7]
	s_cbranch_execnz .LBB24_2124
.LBB24_74:
	s_or_b64 exec, exec, s[6:7]
	s_and_saveexec_b64 s[6:7], s[4:5]
	s_cbranch_execz .LBB24_76
.LBB24_75:
	v_bfe_u32 v10, v16, 8, 3
	v_ffbh_u32_e32 v15, v10
	v_min_u32_e32 v15, 32, v15
	v_lshrrev_b16_e32 v14, 3, v11
	v_subrev_u32_e32 v20, 28, v15
	v_and_b32_e32 v14, 15, v14
	v_lshlrev_b32_e32 v11, v20, v11
	v_sub_u32_e32 v15, 29, v15
	v_and_b32_e32 v11, 7, v11
	v_cmp_eq_u16_e32 vcc, 0, v14
	v_cndmask_b32_e32 v10, v10, v11, vcc
	v_cndmask_b32_e32 v11, v14, v15, vcc
	v_lshlrev_b32_e32 v14, 16, v16
	v_mov_b32_e32 v15, 0x3b800000
	v_lshlrev_b32_e32 v10, 20, v10
	v_and_b32_e32 v14, 0x80000000, v14
	v_lshl_add_u32 v11, v11, 23, v15
	v_or3_b32 v10, v14, v11, v10
.LBB24_76:
	s_or_b64 exec, exec, s[6:7]
	v_lshrrev_b32_e32 v11, 8, v12
	s_movk_i32 s4, 0x7f
	v_cmp_gt_i16_sdwa s[6:7], v11, s4 src0_sel:BYTE_0 src1_sel:DWORD
	s_mov_b64 s[4:5], 0
                                        ; implicit-def: $sgpr10
	s_and_saveexec_b64 s[8:9], s[6:7]
	s_xor_b64 s[6:7], exec, s[8:9]
	s_cbranch_execnz .LBB24_2125
; %bb.77:
	s_or_saveexec_b64 s[6:7], s[6:7]
	v_mov_b32_e32 v14, s10
	s_xor_b64 exec, exec, s[6:7]
	s_cbranch_execnz .LBB24_2128
.LBB24_78:
	s_or_b64 exec, exec, s[6:7]
	s_and_saveexec_b64 s[6:7], s[4:5]
	s_cbranch_execz .LBB24_80
.LBB24_79:
	v_bfe_u32 v14, v12, 8, 3
	v_ffbh_u32_e32 v20, v14
	v_min_u32_e32 v20, 32, v20
	v_lshrrev_b16_e32 v15, 3, v11
	v_subrev_u32_e32 v21, 28, v20
	v_and_b32_e32 v15, 15, v15
	v_lshlrev_b32_e32 v11, v21, v11
	v_sub_u32_e32 v20, 29, v20
	v_and_b32_e32 v11, 7, v11
	v_cmp_eq_u16_e32 vcc, 0, v15
	v_cndmask_b32_e32 v11, v14, v11, vcc
	v_cndmask_b32_e32 v14, v15, v20, vcc
	v_lshlrev_b32_e32 v15, 16, v12
	v_mov_b32_e32 v20, 0x3b800000
	v_lshlrev_b32_e32 v11, 20, v11
	v_and_b32_e32 v15, 0x80000000, v15
	v_lshl_add_u32 v14, v14, 23, v20
	v_or3_b32 v14, v15, v14, v11
.LBB24_80:
	s_or_b64 exec, exec, s[6:7]
	s_nop 0
	v_mfma_f32_16x16x4f32 a[0:3], v10, v14, a[0:3]
	s_movk_i32 s4, 0xff
	v_and_b32_sdwa v11, v16, s4 dst_sel:DWORD dst_unused:UNUSED_PAD src0_sel:WORD_1 src1_sel:DWORD
	s_movk_i32 s4, 0x7f
	v_cmp_lt_i16_e32 vcc, s4, v11
	s_mov_b64 s[4:5], 0
                                        ; implicit-def: $sgpr10
	s_and_saveexec_b64 s[6:7], vcc
	s_xor_b64 s[6:7], exec, s[6:7]
	s_cbranch_execnz .LBB24_2129
; %bb.81:
	s_or_saveexec_b64 s[6:7], s[6:7]
	v_mov_b32_e32 v10, s10
	s_xor_b64 exec, exec, s[6:7]
	s_cbranch_execnz .LBB24_2132
.LBB24_82:
	s_or_b64 exec, exec, s[6:7]
	s_and_saveexec_b64 s[6:7], s[4:5]
	s_cbranch_execz .LBB24_84
.LBB24_83:
	v_bfe_u32 v10, v16, 16, 3
	v_ffbh_u32_e32 v15, v10
	v_min_u32_e32 v15, 32, v15
	v_lshrrev_b32_e32 v11, 19, v16
	v_subrev_u32_e32 v20, 28, v15
	v_and_b32_e32 v11, 15, v11
	v_lshlrev_b32_sdwa v20, v20, v16 dst_sel:DWORD dst_unused:UNUSED_PAD src0_sel:DWORD src1_sel:WORD_1
	v_bfe_u32 v14, v16, 19, 4
	v_sub_u32_e32 v15, 29, v15
	v_and_b32_e32 v20, 7, v20
	v_cmp_eq_u16_e32 vcc, 0, v11
	v_cndmask_b32_e32 v10, v10, v20, vcc
	v_cndmask_b32_e32 v11, v14, v15, vcc
	v_lshlrev_b32_e32 v14, 8, v16
	v_mov_b32_e32 v15, 0x3b800000
	v_lshlrev_b32_e32 v10, 20, v10
	v_and_b32_e32 v14, 0x80000000, v14
	v_lshl_add_u32 v11, v11, 23, v15
	v_or3_b32 v10, v14, v11, v10
.LBB24_84:
	s_or_b64 exec, exec, s[6:7]
	s_movk_i32 s4, 0xff
	v_and_b32_sdwa v11, v12, s4 dst_sel:DWORD dst_unused:UNUSED_PAD src0_sel:WORD_1 src1_sel:DWORD
	s_movk_i32 s4, 0x7f
	v_cmp_lt_i16_e32 vcc, s4, v11
	s_mov_b64 s[4:5], 0
                                        ; implicit-def: $sgpr10
	s_and_saveexec_b64 s[6:7], vcc
	s_xor_b64 s[6:7], exec, s[6:7]
	s_cbranch_execnz .LBB24_2133
; %bb.85:
	s_or_saveexec_b64 s[6:7], s[6:7]
	v_mov_b32_e32 v14, s10
	s_xor_b64 exec, exec, s[6:7]
	s_cbranch_execnz .LBB24_2136
.LBB24_86:
	s_or_b64 exec, exec, s[6:7]
	s_and_saveexec_b64 s[6:7], s[4:5]
	s_cbranch_execz .LBB24_88
.LBB24_87:
	v_bfe_u32 v11, v12, 16, 3
	v_ffbh_u32_e32 v20, v11
	v_min_u32_e32 v20, 32, v20
	v_lshrrev_b32_e32 v14, 19, v12
	v_subrev_u32_e32 v21, 28, v20
	v_and_b32_e32 v14, 15, v14
	v_lshlrev_b32_sdwa v21, v21, v12 dst_sel:DWORD dst_unused:UNUSED_PAD src0_sel:DWORD src1_sel:WORD_1
	v_bfe_u32 v15, v12, 19, 4
	v_sub_u32_e32 v20, 29, v20
	v_and_b32_e32 v21, 7, v21
	v_cmp_eq_u16_e32 vcc, 0, v14
	v_cndmask_b32_e32 v11, v11, v21, vcc
	v_cndmask_b32_e32 v14, v15, v20, vcc
	v_lshlrev_b32_e32 v15, 8, v12
	v_mov_b32_e32 v20, 0x3b800000
	v_lshlrev_b32_e32 v11, 20, v11
	v_and_b32_e32 v15, 0x80000000, v15
	v_lshl_add_u32 v14, v14, 23, v20
	v_or3_b32 v14, v15, v14, v11
.LBB24_88:
	s_or_b64 exec, exec, s[6:7]
	s_nop 0
	v_mfma_f32_16x16x4f32 a[0:3], v10, v14, a[0:3]
	s_movk_i32 s4, 0x7f
	v_cmp_gt_i16_sdwa s[6:7], v16, s4 src0_sel:BYTE_3 src1_sel:DWORD
	s_mov_b64 s[4:5], 0
                                        ; implicit-def: $sgpr10
	s_and_saveexec_b64 s[8:9], s[6:7]
	s_xor_b64 s[6:7], exec, s[8:9]
	s_cbranch_execnz .LBB24_2137
; %bb.89:
	s_or_saveexec_b64 s[6:7], s[6:7]
	v_mov_b32_e32 v10, s10
	s_xor_b64 exec, exec, s[6:7]
	s_cbranch_execnz .LBB24_2140
.LBB24_90:
	s_or_b64 exec, exec, s[6:7]
	s_and_saveexec_b64 s[6:7], s[4:5]
	s_cbranch_execz .LBB24_92
.LBB24_91:
	v_bfe_u32 v10, v16, 24, 3
	v_ffbh_u32_e32 v20, v10
	v_min_u32_e32 v20, 32, v20
	v_lshrrev_b32_e32 v14, 27, v16
	v_subrev_u32_e32 v21, 28, v20
	v_and_b32_e32 v11, 0x80000000, v16
	v_and_b32_e32 v14, 15, v14
	v_bfe_u32 v15, v16, 27, 4
	v_lshlrev_b32_sdwa v16, v21, v16 dst_sel:DWORD dst_unused:UNUSED_PAD src0_sel:DWORD src1_sel:BYTE_3
	v_sub_u32_e32 v20, 29, v20
	v_and_b32_e32 v16, 7, v16
	v_cmp_eq_u16_e32 vcc, 0, v14
	v_cndmask_b32_e32 v10, v10, v16, vcc
	v_cndmask_b32_e32 v14, v15, v20, vcc
	v_mov_b32_e32 v15, 0x3b800000
	v_lshlrev_b32_e32 v10, 20, v10
	v_lshl_add_u32 v14, v14, 23, v15
	v_or3_b32 v10, v11, v14, v10
.LBB24_92:
	s_or_b64 exec, exec, s[6:7]
	s_movk_i32 s4, 0x7f
	v_cmp_gt_i16_sdwa s[6:7], v12, s4 src0_sel:BYTE_3 src1_sel:DWORD
	s_mov_b64 s[4:5], 0
                                        ; implicit-def: $sgpr10
	s_and_saveexec_b64 s[8:9], s[6:7]
	s_xor_b64 s[6:7], exec, s[8:9]
	s_cbranch_execnz .LBB24_2141
; %bb.93:
	s_or_saveexec_b64 s[6:7], s[6:7]
	v_mov_b32_e32 v11, s10
	s_xor_b64 exec, exec, s[6:7]
	s_cbranch_execnz .LBB24_2144
.LBB24_94:
	s_or_b64 exec, exec, s[6:7]
	s_and_saveexec_b64 s[6:7], s[4:5]
	s_cbranch_execz .LBB24_96
.LBB24_95:
	v_bfe_u32 v11, v12, 24, 3
	v_ffbh_u32_e32 v20, v11
	v_min_u32_e32 v20, 32, v20
	v_lshrrev_b32_e32 v15, 27, v12
	v_subrev_u32_e32 v21, 28, v20
	v_and_b32_e32 v14, 0x80000000, v12
	v_and_b32_e32 v15, 15, v15
	v_bfe_u32 v16, v12, 27, 4
	v_lshlrev_b32_sdwa v12, v21, v12 dst_sel:DWORD dst_unused:UNUSED_PAD src0_sel:DWORD src1_sel:BYTE_3
	v_sub_u32_e32 v20, 29, v20
	v_and_b32_e32 v12, 7, v12
	v_cmp_eq_u16_e32 vcc, 0, v15
	v_cndmask_b32_e32 v11, v11, v12, vcc
	v_cndmask_b32_e32 v12, v16, v20, vcc
	v_mov_b32_e32 v15, 0x3b800000
	v_lshlrev_b32_e32 v11, 20, v11
	v_lshl_add_u32 v12, v12, 23, v15
	v_or3_b32 v11, v14, v12, v11
.LBB24_96:
	s_or_b64 exec, exec, s[6:7]
	s_nop 0
	v_mfma_f32_16x16x4f32 a[0:3], v10, v11, a[0:3]
	s_movk_i32 s4, 0x7f
	v_cmp_gt_i16_sdwa s[6:7], v17, s4 src0_sel:BYTE_0 src1_sel:DWORD
	s_mov_b64 s[4:5], 0
                                        ; implicit-def: $sgpr10
	s_and_saveexec_b64 s[8:9], s[6:7]
	s_xor_b64 s[6:7], exec, s[8:9]
	s_cbranch_execnz .LBB24_2145
; %bb.97:
	s_or_saveexec_b64 s[6:7], s[6:7]
	v_mov_b32_e32 v10, s10
	s_xor_b64 exec, exec, s[6:7]
	s_cbranch_execnz .LBB24_2148
.LBB24_98:
	s_or_b64 exec, exec, s[6:7]
	s_and_saveexec_b64 s[6:7], s[4:5]
	s_cbranch_execz .LBB24_100
.LBB24_99:
	v_and_b32_e32 v10, 7, v17
	v_ffbh_u32_e32 v12, v10
	v_min_u32_e32 v12, 32, v12
	v_lshrrev_b16_e32 v11, 3, v17
	v_subrev_u32_e32 v14, 28, v12
	v_and_b32_e32 v11, 15, v11
	v_lshlrev_b32_e32 v14, v14, v17
	v_sub_u32_e32 v12, 29, v12
	v_and_b32_e32 v14, 7, v14
	v_cmp_eq_u16_e32 vcc, 0, v11
	v_cndmask_b32_e32 v10, v10, v14, vcc
	v_cndmask_b32_e32 v11, v11, v12, vcc
	v_lshlrev_b32_e32 v12, 24, v17
	v_mov_b32_e32 v14, 0x3b800000
	v_lshlrev_b32_e32 v10, 20, v10
	v_and_b32_e32 v12, 0x80000000, v12
	v_lshl_add_u32 v11, v11, 23, v14
	v_or3_b32 v10, v12, v11, v10
.LBB24_100:
	s_or_b64 exec, exec, s[6:7]
	s_movk_i32 s4, 0x7f
	v_cmp_gt_i16_sdwa s[6:7], v13, s4 src0_sel:BYTE_0 src1_sel:DWORD
	s_mov_b64 s[4:5], 0
                                        ; implicit-def: $sgpr10
	s_and_saveexec_b64 s[8:9], s[6:7]
	s_xor_b64 s[6:7], exec, s[8:9]
	s_cbranch_execnz .LBB24_2149
; %bb.101:
	s_or_saveexec_b64 s[6:7], s[6:7]
	v_mov_b32_e32 v11, s10
	s_xor_b64 exec, exec, s[6:7]
	s_cbranch_execnz .LBB24_2152
.LBB24_102:
	s_or_b64 exec, exec, s[6:7]
	s_and_saveexec_b64 s[6:7], s[4:5]
	s_cbranch_execz .LBB24_104
.LBB24_103:
	v_and_b32_e32 v11, 7, v13
	v_ffbh_u32_e32 v14, v11
	v_min_u32_e32 v14, 32, v14
	v_lshrrev_b16_e32 v12, 3, v13
	v_subrev_u32_e32 v15, 28, v14
	v_and_b32_e32 v12, 15, v12
	v_lshlrev_b32_e32 v15, v15, v13
	v_sub_u32_e32 v14, 29, v14
	v_and_b32_e32 v15, 7, v15
	v_cmp_eq_u16_e32 vcc, 0, v12
	v_cndmask_b32_e32 v11, v11, v15, vcc
	v_cndmask_b32_e32 v12, v12, v14, vcc
	v_lshlrev_b32_e32 v14, 24, v13
	v_mov_b32_e32 v15, 0x3b800000
	v_lshlrev_b32_e32 v11, 20, v11
	v_and_b32_e32 v14, 0x80000000, v14
	v_lshl_add_u32 v12, v12, 23, v15
	v_or3_b32 v11, v14, v12, v11
.LBB24_104:
	s_or_b64 exec, exec, s[6:7]
	s_nop 0
	v_mfma_f32_16x16x4f32 a[0:3], v10, v11, a[0:3]
	v_lshrrev_b32_e32 v11, 8, v17
	s_movk_i32 s4, 0x7f
	v_cmp_gt_i16_sdwa s[6:7], v11, s4 src0_sel:BYTE_0 src1_sel:DWORD
	s_mov_b64 s[4:5], 0
                                        ; implicit-def: $sgpr10
	s_and_saveexec_b64 s[8:9], s[6:7]
	s_xor_b64 s[6:7], exec, s[8:9]
	s_cbranch_execnz .LBB24_2153
; %bb.105:
	s_or_saveexec_b64 s[6:7], s[6:7]
	v_mov_b32_e32 v10, s10
	s_xor_b64 exec, exec, s[6:7]
	s_cbranch_execnz .LBB24_2156
.LBB24_106:
	s_or_b64 exec, exec, s[6:7]
	s_and_saveexec_b64 s[6:7], s[4:5]
	s_cbranch_execz .LBB24_108
.LBB24_107:
	v_bfe_u32 v10, v17, 8, 3
	v_ffbh_u32_e32 v14, v10
	v_min_u32_e32 v14, 32, v14
	v_lshrrev_b16_e32 v12, 3, v11
	v_subrev_u32_e32 v15, 28, v14
	v_and_b32_e32 v12, 15, v12
	v_lshlrev_b32_e32 v11, v15, v11
	v_sub_u32_e32 v14, 29, v14
	v_and_b32_e32 v11, 7, v11
	v_cmp_eq_u16_e32 vcc, 0, v12
	v_cndmask_b32_e32 v10, v10, v11, vcc
	v_cndmask_b32_e32 v11, v12, v14, vcc
	v_lshlrev_b32_e32 v12, 16, v17
	v_mov_b32_e32 v14, 0x3b800000
	v_lshlrev_b32_e32 v10, 20, v10
	v_and_b32_e32 v12, 0x80000000, v12
	v_lshl_add_u32 v11, v11, 23, v14
	v_or3_b32 v10, v12, v11, v10
.LBB24_108:
	s_or_b64 exec, exec, s[6:7]
	v_lshrrev_b32_e32 v11, 8, v13
	s_movk_i32 s4, 0x7f
	v_cmp_gt_i16_sdwa s[6:7], v11, s4 src0_sel:BYTE_0 src1_sel:DWORD
	s_mov_b64 s[4:5], 0
                                        ; implicit-def: $sgpr10
	s_and_saveexec_b64 s[8:9], s[6:7]
	s_xor_b64 s[6:7], exec, s[8:9]
	s_cbranch_execnz .LBB24_2157
; %bb.109:
	s_or_saveexec_b64 s[6:7], s[6:7]
	v_mov_b32_e32 v12, s10
	s_xor_b64 exec, exec, s[6:7]
	s_cbranch_execnz .LBB24_2160
.LBB24_110:
	s_or_b64 exec, exec, s[6:7]
	s_and_saveexec_b64 s[6:7], s[4:5]
	s_cbranch_execz .LBB24_112
.LBB24_111:
	v_bfe_u32 v12, v13, 8, 3
	v_ffbh_u32_e32 v15, v12
	v_min_u32_e32 v15, 32, v15
	v_lshrrev_b16_e32 v14, 3, v11
	v_subrev_u32_e32 v16, 28, v15
	v_and_b32_e32 v14, 15, v14
	v_lshlrev_b32_e32 v11, v16, v11
	v_sub_u32_e32 v15, 29, v15
	v_and_b32_e32 v11, 7, v11
	v_cmp_eq_u16_e32 vcc, 0, v14
	v_cndmask_b32_e32 v11, v12, v11, vcc
	v_cndmask_b32_e32 v12, v14, v15, vcc
	v_lshlrev_b32_e32 v14, 16, v13
	v_mov_b32_e32 v15, 0x3b800000
	v_lshlrev_b32_e32 v11, 20, v11
	v_and_b32_e32 v14, 0x80000000, v14
	v_lshl_add_u32 v12, v12, 23, v15
	v_or3_b32 v12, v14, v12, v11
.LBB24_112:
	s_or_b64 exec, exec, s[6:7]
	s_nop 0
	v_mfma_f32_16x16x4f32 a[0:3], v10, v12, a[0:3]
	s_movk_i32 s4, 0xff
	v_and_b32_sdwa v11, v17, s4 dst_sel:DWORD dst_unused:UNUSED_PAD src0_sel:WORD_1 src1_sel:DWORD
	s_movk_i32 s4, 0x7f
	v_cmp_lt_i16_e32 vcc, s4, v11
	s_mov_b64 s[4:5], 0
                                        ; implicit-def: $sgpr10
	s_and_saveexec_b64 s[6:7], vcc
	s_xor_b64 s[6:7], exec, s[6:7]
	s_cbranch_execnz .LBB24_2161
; %bb.113:
	s_or_saveexec_b64 s[6:7], s[6:7]
	v_mov_b32_e32 v10, s10
	s_xor_b64 exec, exec, s[6:7]
	s_cbranch_execnz .LBB24_2164
.LBB24_114:
	s_or_b64 exec, exec, s[6:7]
	s_and_saveexec_b64 s[6:7], s[4:5]
	s_cbranch_execz .LBB24_116
.LBB24_115:
	v_bfe_u32 v10, v17, 16, 3
	v_ffbh_u32_e32 v14, v10
	v_min_u32_e32 v14, 32, v14
	v_lshrrev_b32_e32 v11, 19, v17
	v_subrev_u32_e32 v15, 28, v14
	v_and_b32_e32 v11, 15, v11
	v_lshlrev_b32_sdwa v15, v15, v17 dst_sel:DWORD dst_unused:UNUSED_PAD src0_sel:DWORD src1_sel:WORD_1
	v_bfe_u32 v12, v17, 19, 4
	v_sub_u32_e32 v14, 29, v14
	v_and_b32_e32 v15, 7, v15
	v_cmp_eq_u16_e32 vcc, 0, v11
	v_cndmask_b32_e32 v10, v10, v15, vcc
	v_cndmask_b32_e32 v11, v12, v14, vcc
	v_lshlrev_b32_e32 v12, 8, v17
	v_mov_b32_e32 v14, 0x3b800000
	v_lshlrev_b32_e32 v10, 20, v10
	v_and_b32_e32 v12, 0x80000000, v12
	v_lshl_add_u32 v11, v11, 23, v14
	v_or3_b32 v10, v12, v11, v10
.LBB24_116:
	s_or_b64 exec, exec, s[6:7]
	s_movk_i32 s4, 0xff
	v_and_b32_sdwa v11, v13, s4 dst_sel:DWORD dst_unused:UNUSED_PAD src0_sel:WORD_1 src1_sel:DWORD
	s_movk_i32 s4, 0x7f
	v_cmp_lt_i16_e32 vcc, s4, v11
	s_mov_b64 s[4:5], 0
                                        ; implicit-def: $sgpr10
	s_and_saveexec_b64 s[6:7], vcc
	s_xor_b64 s[6:7], exec, s[6:7]
	s_cbranch_execnz .LBB24_2165
; %bb.117:
	s_or_saveexec_b64 s[6:7], s[6:7]
	v_mov_b32_e32 v12, s10
	s_xor_b64 exec, exec, s[6:7]
	s_cbranch_execnz .LBB24_2168
.LBB24_118:
	s_or_b64 exec, exec, s[6:7]
	s_and_saveexec_b64 s[6:7], s[4:5]
	s_cbranch_execz .LBB24_120
.LBB24_119:
	v_bfe_u32 v11, v13, 16, 3
	v_ffbh_u32_e32 v15, v11
	v_min_u32_e32 v15, 32, v15
	v_lshrrev_b32_e32 v12, 19, v13
	v_subrev_u32_e32 v16, 28, v15
	v_and_b32_e32 v12, 15, v12
	v_lshlrev_b32_sdwa v16, v16, v13 dst_sel:DWORD dst_unused:UNUSED_PAD src0_sel:DWORD src1_sel:WORD_1
	v_bfe_u32 v14, v13, 19, 4
	v_sub_u32_e32 v15, 29, v15
	v_and_b32_e32 v16, 7, v16
	v_cmp_eq_u16_e32 vcc, 0, v12
	v_cndmask_b32_e32 v11, v11, v16, vcc
	v_cndmask_b32_e32 v12, v14, v15, vcc
	v_lshlrev_b32_e32 v14, 8, v13
	v_mov_b32_e32 v15, 0x3b800000
	v_lshlrev_b32_e32 v11, 20, v11
	v_and_b32_e32 v14, 0x80000000, v14
	v_lshl_add_u32 v12, v12, 23, v15
	v_or3_b32 v12, v14, v12, v11
.LBB24_120:
	s_or_b64 exec, exec, s[6:7]
	s_nop 0
	v_mfma_f32_16x16x4f32 a[0:3], v10, v12, a[0:3]
	s_movk_i32 s4, 0x7f
	v_cmp_gt_i16_sdwa s[6:7], v17, s4 src0_sel:BYTE_3 src1_sel:DWORD
	s_mov_b64 s[4:5], 0
                                        ; implicit-def: $sgpr10
	s_and_saveexec_b64 s[8:9], s[6:7]
	s_xor_b64 s[6:7], exec, s[8:9]
	s_cbranch_execnz .LBB24_2169
; %bb.121:
	s_or_saveexec_b64 s[6:7], s[6:7]
	v_mov_b32_e32 v10, s10
	s_xor_b64 exec, exec, s[6:7]
	s_cbranch_execnz .LBB24_2172
.LBB24_122:
	s_or_b64 exec, exec, s[6:7]
	s_and_saveexec_b64 s[6:7], s[4:5]
	s_cbranch_execz .LBB24_124
.LBB24_123:
	v_bfe_u32 v10, v17, 24, 3
	v_ffbh_u32_e32 v15, v10
	v_min_u32_e32 v15, 32, v15
	v_lshrrev_b32_e32 v12, 27, v17
	v_subrev_u32_e32 v16, 28, v15
	v_and_b32_e32 v12, 15, v12
	v_lshlrev_b32_sdwa v16, v16, v17 dst_sel:DWORD dst_unused:UNUSED_PAD src0_sel:DWORD src1_sel:BYTE_3
	v_bfe_u32 v14, v17, 27, 4
	v_sub_u32_e32 v15, 29, v15
	v_and_b32_e32 v16, 7, v16
	v_cmp_eq_u16_e32 vcc, 0, v12
	v_cndmask_b32_e32 v10, v10, v16, vcc
	v_cndmask_b32_e32 v12, v14, v15, vcc
	v_mov_b32_e32 v14, 0x3b800000
	v_and_b32_e32 v11, 0x80000000, v17
	v_lshlrev_b32_e32 v10, 20, v10
	v_lshl_add_u32 v12, v12, 23, v14
	v_or3_b32 v10, v11, v12, v10
.LBB24_124:
	s_or_b64 exec, exec, s[6:7]
	s_movk_i32 s4, 0x7f
	v_cmp_gt_i16_sdwa s[6:7], v13, s4 src0_sel:BYTE_3 src1_sel:DWORD
	s_mov_b64 s[4:5], 0
                                        ; implicit-def: $sgpr10
	s_and_saveexec_b64 s[8:9], s[6:7]
	s_xor_b64 s[6:7], exec, s[8:9]
	s_cbranch_execnz .LBB24_2173
; %bb.125:
	s_or_saveexec_b64 s[6:7], s[6:7]
	v_mov_b32_e32 v11, s10
	s_xor_b64 exec, exec, s[6:7]
	s_cbranch_execnz .LBB24_2176
.LBB24_126:
	s_or_b64 exec, exec, s[6:7]
	s_and_saveexec_b64 s[6:7], s[4:5]
	s_cbranch_execz .LBB24_128
.LBB24_127:
	v_bfe_u32 v11, v13, 24, 3
	v_ffbh_u32_e32 v16, v11
	v_min_u32_e32 v16, 32, v16
	v_lshrrev_b32_e32 v14, 27, v13
	v_subrev_u32_e32 v17, 28, v16
	v_and_b32_e32 v12, 0x80000000, v13
	v_and_b32_e32 v14, 15, v14
	v_bfe_u32 v15, v13, 27, 4
	v_lshlrev_b32_sdwa v13, v17, v13 dst_sel:DWORD dst_unused:UNUSED_PAD src0_sel:DWORD src1_sel:BYTE_3
	v_sub_u32_e32 v16, 29, v16
	v_and_b32_e32 v13, 7, v13
	v_cmp_eq_u16_e32 vcc, 0, v14
	v_cndmask_b32_e32 v11, v11, v13, vcc
	v_cndmask_b32_e32 v13, v15, v16, vcc
	v_mov_b32_e32 v14, 0x3b800000
	v_lshlrev_b32_e32 v11, 20, v11
	v_lshl_add_u32 v13, v13, 23, v14
	v_or3_b32 v11, v12, v13, v11
.LBB24_128:
	s_or_b64 exec, exec, s[6:7]
	s_nop 0
	v_mfma_f32_16x16x4f32 a[0:3], v10, v11, a[0:3]
	s_movk_i32 s4, 0x7f
	v_cmp_gt_i16_sdwa s[6:7], v6, s4 src0_sel:BYTE_0 src1_sel:DWORD
	s_mov_b64 s[4:5], 0
                                        ; implicit-def: $sgpr10
	s_and_saveexec_b64 s[8:9], s[6:7]
	s_xor_b64 s[6:7], exec, s[8:9]
	s_cbranch_execnz .LBB24_2177
; %bb.129:
	s_or_saveexec_b64 s[6:7], s[6:7]
	v_mov_b32_e32 v10, s10
	s_xor_b64 exec, exec, s[6:7]
	s_cbranch_execnz .LBB24_2180
.LBB24_130:
	s_or_b64 exec, exec, s[6:7]
	s_and_saveexec_b64 s[6:7], s[4:5]
	s_cbranch_execz .LBB24_132
.LBB24_131:
	v_and_b32_e32 v10, 7, v6
	v_ffbh_u32_e32 v12, v10
	v_min_u32_e32 v12, 32, v12
	v_lshrrev_b16_e32 v11, 3, v6
	v_subrev_u32_e32 v13, 28, v12
	v_and_b32_e32 v11, 15, v11
	v_lshlrev_b32_e32 v13, v13, v6
	v_sub_u32_e32 v12, 29, v12
	v_and_b32_e32 v13, 7, v13
	v_cmp_eq_u16_e32 vcc, 0, v11
	v_cndmask_b32_e32 v10, v10, v13, vcc
	v_cndmask_b32_e32 v11, v11, v12, vcc
	v_lshlrev_b32_e32 v12, 24, v6
	v_mov_b32_e32 v13, 0x3b800000
	v_lshlrev_b32_e32 v10, 20, v10
	v_and_b32_e32 v12, 0x80000000, v12
	v_lshl_add_u32 v11, v11, 23, v13
	v_or3_b32 v10, v12, v11, v10
.LBB24_132:
	s_or_b64 exec, exec, s[6:7]
	s_movk_i32 s4, 0x7f
	v_cmp_gt_i16_sdwa s[6:7], v2, s4 src0_sel:BYTE_0 src1_sel:DWORD
	s_mov_b64 s[4:5], 0
                                        ; implicit-def: $sgpr10
	s_and_saveexec_b64 s[8:9], s[6:7]
	s_xor_b64 s[6:7], exec, s[8:9]
	s_cbranch_execnz .LBB24_2181
; %bb.133:
	s_or_saveexec_b64 s[6:7], s[6:7]
	v_mov_b32_e32 v11, s10
	s_xor_b64 exec, exec, s[6:7]
	s_cbranch_execnz .LBB24_2184
.LBB24_134:
	s_or_b64 exec, exec, s[6:7]
	s_and_saveexec_b64 s[6:7], s[4:5]
	s_cbranch_execz .LBB24_136
.LBB24_135:
	v_and_b32_e32 v11, 7, v2
	v_ffbh_u32_e32 v13, v11
	v_min_u32_e32 v13, 32, v13
	v_lshrrev_b16_e32 v12, 3, v2
	v_subrev_u32_e32 v14, 28, v13
	v_and_b32_e32 v12, 15, v12
	v_lshlrev_b32_e32 v14, v14, v2
	v_sub_u32_e32 v13, 29, v13
	v_and_b32_e32 v14, 7, v14
	v_cmp_eq_u16_e32 vcc, 0, v12
	v_cndmask_b32_e32 v11, v11, v14, vcc
	v_cndmask_b32_e32 v12, v12, v13, vcc
	v_lshlrev_b32_e32 v13, 24, v2
	v_mov_b32_e32 v14, 0x3b800000
	v_lshlrev_b32_e32 v11, 20, v11
	v_and_b32_e32 v13, 0x80000000, v13
	v_lshl_add_u32 v12, v12, 23, v14
	v_or3_b32 v11, v13, v12, v11
.LBB24_136:
	s_or_b64 exec, exec, s[6:7]
	s_nop 0
	v_mfma_f32_16x16x4f32 a[0:3], v10, v11, a[0:3]
	v_lshrrev_b32_e32 v11, 8, v6
	s_movk_i32 s4, 0x7f
	v_cmp_gt_i16_sdwa s[6:7], v11, s4 src0_sel:BYTE_0 src1_sel:DWORD
	s_mov_b64 s[4:5], 0
                                        ; implicit-def: $sgpr10
	s_and_saveexec_b64 s[8:9], s[6:7]
	s_xor_b64 s[6:7], exec, s[8:9]
	s_cbranch_execnz .LBB24_2185
; %bb.137:
	s_or_saveexec_b64 s[6:7], s[6:7]
	v_mov_b32_e32 v10, s10
	s_xor_b64 exec, exec, s[6:7]
	s_cbranch_execnz .LBB24_2188
.LBB24_138:
	s_or_b64 exec, exec, s[6:7]
	s_and_saveexec_b64 s[6:7], s[4:5]
	s_cbranch_execz .LBB24_140
.LBB24_139:
	v_bfe_u32 v10, v6, 8, 3
	v_ffbh_u32_e32 v13, v10
	v_min_u32_e32 v13, 32, v13
	v_lshrrev_b16_e32 v12, 3, v11
	v_subrev_u32_e32 v14, 28, v13
	v_and_b32_e32 v12, 15, v12
	v_lshlrev_b32_e32 v11, v14, v11
	v_sub_u32_e32 v13, 29, v13
	v_and_b32_e32 v11, 7, v11
	v_cmp_eq_u16_e32 vcc, 0, v12
	v_cndmask_b32_e32 v10, v10, v11, vcc
	v_cndmask_b32_e32 v11, v12, v13, vcc
	v_lshlrev_b32_e32 v12, 16, v6
	v_mov_b32_e32 v13, 0x3b800000
	v_lshlrev_b32_e32 v10, 20, v10
	v_and_b32_e32 v12, 0x80000000, v12
	v_lshl_add_u32 v11, v11, 23, v13
	v_or3_b32 v10, v12, v11, v10
.LBB24_140:
	s_or_b64 exec, exec, s[6:7]
	v_lshrrev_b32_e32 v11, 8, v2
	s_movk_i32 s4, 0x7f
	v_cmp_gt_i16_sdwa s[6:7], v11, s4 src0_sel:BYTE_0 src1_sel:DWORD
	s_mov_b64 s[4:5], 0
                                        ; implicit-def: $sgpr10
	s_and_saveexec_b64 s[8:9], s[6:7]
	s_xor_b64 s[6:7], exec, s[8:9]
	s_cbranch_execnz .LBB24_2189
; %bb.141:
	s_or_saveexec_b64 s[6:7], s[6:7]
	v_mov_b32_e32 v12, s10
	s_xor_b64 exec, exec, s[6:7]
	s_cbranch_execnz .LBB24_2192
.LBB24_142:
	s_or_b64 exec, exec, s[6:7]
	s_and_saveexec_b64 s[6:7], s[4:5]
	s_cbranch_execz .LBB24_144
.LBB24_143:
	v_bfe_u32 v12, v2, 8, 3
	v_ffbh_u32_e32 v14, v12
	v_min_u32_e32 v14, 32, v14
	v_lshrrev_b16_e32 v13, 3, v11
	v_subrev_u32_e32 v15, 28, v14
	v_and_b32_e32 v13, 15, v13
	v_lshlrev_b32_e32 v11, v15, v11
	v_sub_u32_e32 v14, 29, v14
	v_and_b32_e32 v11, 7, v11
	v_cmp_eq_u16_e32 vcc, 0, v13
	v_cndmask_b32_e32 v11, v12, v11, vcc
	v_cndmask_b32_e32 v12, v13, v14, vcc
	v_lshlrev_b32_e32 v13, 16, v2
	v_mov_b32_e32 v14, 0x3b800000
	v_lshlrev_b32_e32 v11, 20, v11
	v_and_b32_e32 v13, 0x80000000, v13
	v_lshl_add_u32 v12, v12, 23, v14
	v_or3_b32 v12, v13, v12, v11
.LBB24_144:
	s_or_b64 exec, exec, s[6:7]
	s_nop 0
	v_mfma_f32_16x16x4f32 a[0:3], v10, v12, a[0:3]
	s_movk_i32 s4, 0xff
	v_and_b32_sdwa v11, v6, s4 dst_sel:DWORD dst_unused:UNUSED_PAD src0_sel:WORD_1 src1_sel:DWORD
	s_movk_i32 s4, 0x7f
	v_cmp_lt_i16_e32 vcc, s4, v11
	s_mov_b64 s[4:5], 0
                                        ; implicit-def: $sgpr10
	s_and_saveexec_b64 s[6:7], vcc
	s_xor_b64 s[6:7], exec, s[6:7]
	s_cbranch_execnz .LBB24_2193
; %bb.145:
	s_or_saveexec_b64 s[6:7], s[6:7]
	v_mov_b32_e32 v10, s10
	s_xor_b64 exec, exec, s[6:7]
	s_cbranch_execnz .LBB24_2196
.LBB24_146:
	s_or_b64 exec, exec, s[6:7]
	s_and_saveexec_b64 s[6:7], s[4:5]
	s_cbranch_execz .LBB24_148
.LBB24_147:
	v_bfe_u32 v10, v6, 16, 3
	v_ffbh_u32_e32 v13, v10
	v_min_u32_e32 v13, 32, v13
	v_lshrrev_b32_e32 v11, 19, v6
	v_subrev_u32_e32 v14, 28, v13
	v_and_b32_e32 v11, 15, v11
	v_lshlrev_b32_sdwa v14, v14, v6 dst_sel:DWORD dst_unused:UNUSED_PAD src0_sel:DWORD src1_sel:WORD_1
	v_bfe_u32 v12, v6, 19, 4
	v_sub_u32_e32 v13, 29, v13
	v_and_b32_e32 v14, 7, v14
	v_cmp_eq_u16_e32 vcc, 0, v11
	v_cndmask_b32_e32 v10, v10, v14, vcc
	v_cndmask_b32_e32 v11, v12, v13, vcc
	v_lshlrev_b32_e32 v12, 8, v6
	v_mov_b32_e32 v13, 0x3b800000
	v_lshlrev_b32_e32 v10, 20, v10
	v_and_b32_e32 v12, 0x80000000, v12
	v_lshl_add_u32 v11, v11, 23, v13
	v_or3_b32 v10, v12, v11, v10
.LBB24_148:
	s_or_b64 exec, exec, s[6:7]
	s_movk_i32 s4, 0xff
	v_and_b32_sdwa v11, v2, s4 dst_sel:DWORD dst_unused:UNUSED_PAD src0_sel:WORD_1 src1_sel:DWORD
	s_movk_i32 s4, 0x7f
	v_cmp_lt_i16_e32 vcc, s4, v11
	s_mov_b64 s[4:5], 0
                                        ; implicit-def: $sgpr10
	s_and_saveexec_b64 s[6:7], vcc
	s_xor_b64 s[6:7], exec, s[6:7]
	s_cbranch_execnz .LBB24_2197
; %bb.149:
	s_or_saveexec_b64 s[6:7], s[6:7]
	v_mov_b32_e32 v12, s10
	s_xor_b64 exec, exec, s[6:7]
	s_cbranch_execnz .LBB24_2200
.LBB24_150:
	s_or_b64 exec, exec, s[6:7]
	s_and_saveexec_b64 s[6:7], s[4:5]
	s_cbranch_execz .LBB24_152
.LBB24_151:
	v_bfe_u32 v11, v2, 16, 3
	v_ffbh_u32_e32 v14, v11
	v_min_u32_e32 v14, 32, v14
	v_lshrrev_b32_e32 v12, 19, v2
	v_subrev_u32_e32 v15, 28, v14
	v_and_b32_e32 v12, 15, v12
	v_lshlrev_b32_sdwa v15, v15, v2 dst_sel:DWORD dst_unused:UNUSED_PAD src0_sel:DWORD src1_sel:WORD_1
	v_bfe_u32 v13, v2, 19, 4
	v_sub_u32_e32 v14, 29, v14
	v_and_b32_e32 v15, 7, v15
	v_cmp_eq_u16_e32 vcc, 0, v12
	v_cndmask_b32_e32 v11, v11, v15, vcc
	v_cndmask_b32_e32 v12, v13, v14, vcc
	v_lshlrev_b32_e32 v13, 8, v2
	v_mov_b32_e32 v14, 0x3b800000
	v_lshlrev_b32_e32 v11, 20, v11
	v_and_b32_e32 v13, 0x80000000, v13
	v_lshl_add_u32 v12, v12, 23, v14
	v_or3_b32 v12, v13, v12, v11
.LBB24_152:
	s_or_b64 exec, exec, s[6:7]
	s_nop 0
	v_mfma_f32_16x16x4f32 a[0:3], v10, v12, a[0:3]
	s_movk_i32 s4, 0x7f
	v_cmp_gt_i16_sdwa s[6:7], v6, s4 src0_sel:BYTE_3 src1_sel:DWORD
	s_mov_b64 s[4:5], 0
                                        ; implicit-def: $sgpr10
	s_and_saveexec_b64 s[8:9], s[6:7]
	s_xor_b64 s[6:7], exec, s[8:9]
	s_cbranch_execnz .LBB24_2201
; %bb.153:
	s_or_saveexec_b64 s[6:7], s[6:7]
	v_mov_b32_e32 v10, s10
	s_xor_b64 exec, exec, s[6:7]
	s_cbranch_execnz .LBB24_2204
.LBB24_154:
	s_or_b64 exec, exec, s[6:7]
	s_and_saveexec_b64 s[6:7], s[4:5]
	s_cbranch_execz .LBB24_156
.LBB24_155:
	v_bfe_u32 v10, v6, 24, 3
	v_ffbh_u32_e32 v14, v10
	v_min_u32_e32 v14, 32, v14
	v_lshrrev_b32_e32 v12, 27, v6
	v_subrev_u32_e32 v15, 28, v14
	v_and_b32_e32 v11, 0x80000000, v6
	v_and_b32_e32 v12, 15, v12
	v_bfe_u32 v13, v6, 27, 4
	v_lshlrev_b32_sdwa v6, v15, v6 dst_sel:DWORD dst_unused:UNUSED_PAD src0_sel:DWORD src1_sel:BYTE_3
	v_sub_u32_e32 v14, 29, v14
	v_and_b32_e32 v6, 7, v6
	v_cmp_eq_u16_e32 vcc, 0, v12
	v_cndmask_b32_e32 v6, v10, v6, vcc
	v_cndmask_b32_e32 v10, v13, v14, vcc
	v_mov_b32_e32 v12, 0x3b800000
	v_lshlrev_b32_e32 v6, 20, v6
	v_lshl_add_u32 v10, v10, 23, v12
	v_or3_b32 v10, v11, v10, v6
.LBB24_156:
	s_or_b64 exec, exec, s[6:7]
	s_movk_i32 s4, 0x7f
	v_cmp_gt_i16_sdwa s[6:7], v2, s4 src0_sel:BYTE_3 src1_sel:DWORD
	s_mov_b64 s[4:5], 0
                                        ; implicit-def: $sgpr10
	s_and_saveexec_b64 s[8:9], s[6:7]
	s_xor_b64 s[6:7], exec, s[8:9]
	s_cbranch_execnz .LBB24_2205
; %bb.157:
	s_or_saveexec_b64 s[6:7], s[6:7]
	v_mov_b32_e32 v6, s10
	s_xor_b64 exec, exec, s[6:7]
	s_cbranch_execnz .LBB24_2208
.LBB24_158:
	s_or_b64 exec, exec, s[6:7]
	s_and_saveexec_b64 s[6:7], s[4:5]
	s_cbranch_execz .LBB24_160
.LBB24_159:
	v_bfe_u32 v6, v2, 24, 3
	v_ffbh_u32_e32 v14, v6
	v_min_u32_e32 v14, 32, v14
	v_lshrrev_b32_e32 v12, 27, v2
	v_subrev_u32_e32 v15, 28, v14
	v_and_b32_e32 v11, 0x80000000, v2
	v_and_b32_e32 v12, 15, v12
	v_bfe_u32 v13, v2, 27, 4
	v_lshlrev_b32_sdwa v2, v15, v2 dst_sel:DWORD dst_unused:UNUSED_PAD src0_sel:DWORD src1_sel:BYTE_3
	v_sub_u32_e32 v14, 29, v14
	v_and_b32_e32 v2, 7, v2
	v_cmp_eq_u16_e32 vcc, 0, v12
	v_cndmask_b32_e32 v2, v6, v2, vcc
	v_cndmask_b32_e32 v6, v13, v14, vcc
	v_mov_b32_e32 v12, 0x3b800000
	v_lshlrev_b32_e32 v2, 20, v2
	v_lshl_add_u32 v6, v6, 23, v12
	v_or3_b32 v6, v11, v6, v2
.LBB24_160:
	s_or_b64 exec, exec, s[6:7]
	s_nop 0
	v_mfma_f32_16x16x4f32 a[0:3], v10, v6, a[0:3]
	s_movk_i32 s4, 0x7f
	v_cmp_gt_i16_sdwa s[6:7], v7, s4 src0_sel:BYTE_0 src1_sel:DWORD
	s_mov_b64 s[4:5], 0
                                        ; implicit-def: $sgpr10
	s_and_saveexec_b64 s[8:9], s[6:7]
	s_xor_b64 s[6:7], exec, s[8:9]
	s_cbranch_execnz .LBB24_2209
; %bb.161:
	s_or_saveexec_b64 s[6:7], s[6:7]
	v_mov_b32_e32 v2, s10
	s_xor_b64 exec, exec, s[6:7]
	s_cbranch_execnz .LBB24_2212
.LBB24_162:
	s_or_b64 exec, exec, s[6:7]
	s_and_saveexec_b64 s[6:7], s[4:5]
	s_cbranch_execz .LBB24_164
.LBB24_163:
	v_and_b32_e32 v2, 7, v7
	v_ffbh_u32_e32 v10, v2
	v_min_u32_e32 v10, 32, v10
	v_lshrrev_b16_e32 v6, 3, v7
	v_subrev_u32_e32 v11, 28, v10
	v_and_b32_e32 v6, 15, v6
	v_lshlrev_b32_e32 v11, v11, v7
	v_sub_u32_e32 v10, 29, v10
	v_and_b32_e32 v11, 7, v11
	v_cmp_eq_u16_e32 vcc, 0, v6
	v_cndmask_b32_e32 v2, v2, v11, vcc
	v_cndmask_b32_e32 v6, v6, v10, vcc
	v_lshlrev_b32_e32 v10, 24, v7
	v_mov_b32_e32 v11, 0x3b800000
	v_lshlrev_b32_e32 v2, 20, v2
	v_and_b32_e32 v10, 0x80000000, v10
	v_lshl_add_u32 v6, v6, 23, v11
	v_or3_b32 v2, v10, v6, v2
.LBB24_164:
	s_or_b64 exec, exec, s[6:7]
	s_movk_i32 s4, 0x7f
	v_cmp_gt_i16_sdwa s[6:7], v3, s4 src0_sel:BYTE_0 src1_sel:DWORD
	s_mov_b64 s[4:5], 0
                                        ; implicit-def: $sgpr10
	s_and_saveexec_b64 s[8:9], s[6:7]
	s_xor_b64 s[6:7], exec, s[8:9]
	s_cbranch_execnz .LBB24_2213
; %bb.165:
	s_or_saveexec_b64 s[6:7], s[6:7]
	v_mov_b32_e32 v6, s10
	s_xor_b64 exec, exec, s[6:7]
	s_cbranch_execnz .LBB24_2216
.LBB24_166:
	s_or_b64 exec, exec, s[6:7]
	s_and_saveexec_b64 s[6:7], s[4:5]
	s_cbranch_execz .LBB24_168
.LBB24_167:
	v_and_b32_e32 v6, 7, v3
	v_ffbh_u32_e32 v11, v6
	v_min_u32_e32 v11, 32, v11
	v_lshrrev_b16_e32 v10, 3, v3
	v_subrev_u32_e32 v12, 28, v11
	v_and_b32_e32 v10, 15, v10
	v_lshlrev_b32_e32 v12, v12, v3
	v_sub_u32_e32 v11, 29, v11
	v_and_b32_e32 v12, 7, v12
	v_cmp_eq_u16_e32 vcc, 0, v10
	v_cndmask_b32_e32 v6, v6, v12, vcc
	v_cndmask_b32_e32 v10, v10, v11, vcc
	v_lshlrev_b32_e32 v11, 24, v3
	v_mov_b32_e32 v12, 0x3b800000
	v_lshlrev_b32_e32 v6, 20, v6
	v_and_b32_e32 v11, 0x80000000, v11
	v_lshl_add_u32 v10, v10, 23, v12
	v_or3_b32 v6, v11, v10, v6
.LBB24_168:
	s_or_b64 exec, exec, s[6:7]
	s_nop 0
	v_mfma_f32_16x16x4f32 a[0:3], v2, v6, a[0:3]
	v_lshrrev_b32_e32 v6, 8, v7
	s_movk_i32 s4, 0x7f
	v_cmp_gt_i16_sdwa s[6:7], v6, s4 src0_sel:BYTE_0 src1_sel:DWORD
	s_mov_b64 s[4:5], 0
                                        ; implicit-def: $sgpr10
	s_and_saveexec_b64 s[8:9], s[6:7]
	s_xor_b64 s[6:7], exec, s[8:9]
	s_cbranch_execnz .LBB24_2217
; %bb.169:
	s_or_saveexec_b64 s[6:7], s[6:7]
	v_mov_b32_e32 v2, s10
	s_xor_b64 exec, exec, s[6:7]
	s_cbranch_execnz .LBB24_2220
.LBB24_170:
	s_or_b64 exec, exec, s[6:7]
	s_and_saveexec_b64 s[6:7], s[4:5]
	s_cbranch_execz .LBB24_172
.LBB24_171:
	v_bfe_u32 v2, v7, 8, 3
	v_ffbh_u32_e32 v11, v2
	v_min_u32_e32 v11, 32, v11
	v_lshrrev_b16_e32 v10, 3, v6
	v_subrev_u32_e32 v12, 28, v11
	v_and_b32_e32 v10, 15, v10
	v_lshlrev_b32_e32 v6, v12, v6
	v_sub_u32_e32 v11, 29, v11
	v_and_b32_e32 v6, 7, v6
	v_cmp_eq_u16_e32 vcc, 0, v10
	v_cndmask_b32_e32 v2, v2, v6, vcc
	v_cndmask_b32_e32 v6, v10, v11, vcc
	v_lshlrev_b32_e32 v10, 16, v7
	v_mov_b32_e32 v11, 0x3b800000
	v_lshlrev_b32_e32 v2, 20, v2
	v_and_b32_e32 v10, 0x80000000, v10
	v_lshl_add_u32 v6, v6, 23, v11
	v_or3_b32 v2, v10, v6, v2
.LBB24_172:
	s_or_b64 exec, exec, s[6:7]
	v_lshrrev_b32_e32 v6, 8, v3
	s_movk_i32 s4, 0x7f
	v_cmp_gt_i16_sdwa s[6:7], v6, s4 src0_sel:BYTE_0 src1_sel:DWORD
	s_mov_b64 s[4:5], 0
                                        ; implicit-def: $sgpr10
	s_and_saveexec_b64 s[8:9], s[6:7]
	s_xor_b64 s[6:7], exec, s[8:9]
	s_cbranch_execnz .LBB24_2221
; %bb.173:
	s_or_saveexec_b64 s[6:7], s[6:7]
	v_mov_b32_e32 v10, s10
	s_xor_b64 exec, exec, s[6:7]
	s_cbranch_execnz .LBB24_2224
.LBB24_174:
	s_or_b64 exec, exec, s[6:7]
	s_and_saveexec_b64 s[6:7], s[4:5]
	s_cbranch_execz .LBB24_176
.LBB24_175:
	v_bfe_u32 v10, v3, 8, 3
	v_ffbh_u32_e32 v12, v10
	v_min_u32_e32 v12, 32, v12
	v_lshrrev_b16_e32 v11, 3, v6
	v_subrev_u32_e32 v13, 28, v12
	v_and_b32_e32 v11, 15, v11
	v_lshlrev_b32_e32 v6, v13, v6
	v_sub_u32_e32 v12, 29, v12
	v_and_b32_e32 v6, 7, v6
	v_cmp_eq_u16_e32 vcc, 0, v11
	v_cndmask_b32_e32 v6, v10, v6, vcc
	v_cndmask_b32_e32 v10, v11, v12, vcc
	v_lshlrev_b32_e32 v11, 16, v3
	v_mov_b32_e32 v12, 0x3b800000
	v_lshlrev_b32_e32 v6, 20, v6
	v_and_b32_e32 v11, 0x80000000, v11
	v_lshl_add_u32 v10, v10, 23, v12
	v_or3_b32 v10, v11, v10, v6
.LBB24_176:
	s_or_b64 exec, exec, s[6:7]
	s_nop 0
	v_mfma_f32_16x16x4f32 a[0:3], v2, v10, a[0:3]
	s_movk_i32 s4, 0xff
	v_and_b32_sdwa v6, v7, s4 dst_sel:DWORD dst_unused:UNUSED_PAD src0_sel:WORD_1 src1_sel:DWORD
	s_movk_i32 s4, 0x7f
	v_cmp_lt_i16_e32 vcc, s4, v6
	s_mov_b64 s[4:5], 0
                                        ; implicit-def: $sgpr10
	s_and_saveexec_b64 s[6:7], vcc
	s_xor_b64 s[6:7], exec, s[6:7]
	s_cbranch_execnz .LBB24_2225
; %bb.177:
	s_or_saveexec_b64 s[6:7], s[6:7]
	v_mov_b32_e32 v2, s10
	s_xor_b64 exec, exec, s[6:7]
	s_cbranch_execnz .LBB24_2228
.LBB24_178:
	s_or_b64 exec, exec, s[6:7]
	s_and_saveexec_b64 s[6:7], s[4:5]
	s_cbranch_execz .LBB24_180
.LBB24_179:
	v_bfe_u32 v2, v7, 16, 3
	v_ffbh_u32_e32 v11, v2
	v_min_u32_e32 v11, 32, v11
	v_lshrrev_b32_e32 v6, 19, v7
	v_subrev_u32_e32 v12, 28, v11
	v_and_b32_e32 v6, 15, v6
	v_lshlrev_b32_sdwa v12, v12, v7 dst_sel:DWORD dst_unused:UNUSED_PAD src0_sel:DWORD src1_sel:WORD_1
	v_bfe_u32 v10, v7, 19, 4
	v_sub_u32_e32 v11, 29, v11
	v_and_b32_e32 v12, 7, v12
	v_cmp_eq_u16_e32 vcc, 0, v6
	v_cndmask_b32_e32 v2, v2, v12, vcc
	v_cndmask_b32_e32 v6, v10, v11, vcc
	v_lshlrev_b32_e32 v10, 8, v7
	v_mov_b32_e32 v11, 0x3b800000
	v_lshlrev_b32_e32 v2, 20, v2
	v_and_b32_e32 v10, 0x80000000, v10
	v_lshl_add_u32 v6, v6, 23, v11
	v_or3_b32 v2, v10, v6, v2
.LBB24_180:
	s_or_b64 exec, exec, s[6:7]
	s_movk_i32 s4, 0xff
	v_and_b32_sdwa v6, v3, s4 dst_sel:DWORD dst_unused:UNUSED_PAD src0_sel:WORD_1 src1_sel:DWORD
	s_movk_i32 s4, 0x7f
	v_cmp_lt_i16_e32 vcc, s4, v6
	s_mov_b64 s[4:5], 0
                                        ; implicit-def: $sgpr10
	s_and_saveexec_b64 s[6:7], vcc
	s_xor_b64 s[6:7], exec, s[6:7]
	s_cbranch_execnz .LBB24_2229
; %bb.181:
	s_or_saveexec_b64 s[6:7], s[6:7]
	v_mov_b32_e32 v10, s10
	s_xor_b64 exec, exec, s[6:7]
	s_cbranch_execnz .LBB24_2232
.LBB24_182:
	s_or_b64 exec, exec, s[6:7]
	s_and_saveexec_b64 s[6:7], s[4:5]
	s_cbranch_execz .LBB24_184
.LBB24_183:
	v_bfe_u32 v6, v3, 16, 3
	v_ffbh_u32_e32 v12, v6
	v_min_u32_e32 v12, 32, v12
	v_lshrrev_b32_e32 v10, 19, v3
	v_subrev_u32_e32 v13, 28, v12
	v_and_b32_e32 v10, 15, v10
	v_lshlrev_b32_sdwa v13, v13, v3 dst_sel:DWORD dst_unused:UNUSED_PAD src0_sel:DWORD src1_sel:WORD_1
	v_bfe_u32 v11, v3, 19, 4
	v_sub_u32_e32 v12, 29, v12
	v_and_b32_e32 v13, 7, v13
	v_cmp_eq_u16_e32 vcc, 0, v10
	v_cndmask_b32_e32 v6, v6, v13, vcc
	v_cndmask_b32_e32 v10, v11, v12, vcc
	v_lshlrev_b32_e32 v11, 8, v3
	v_mov_b32_e32 v12, 0x3b800000
	v_lshlrev_b32_e32 v6, 20, v6
	v_and_b32_e32 v11, 0x80000000, v11
	v_lshl_add_u32 v10, v10, 23, v12
	v_or3_b32 v10, v11, v10, v6
.LBB24_184:
	s_or_b64 exec, exec, s[6:7]
	s_nop 0
	v_mfma_f32_16x16x4f32 a[0:3], v2, v10, a[0:3]
	s_movk_i32 s4, 0x7f
	v_cmp_gt_i16_sdwa s[6:7], v7, s4 src0_sel:BYTE_3 src1_sel:DWORD
	s_mov_b64 s[4:5], 0
                                        ; implicit-def: $sgpr10
	s_and_saveexec_b64 s[8:9], s[6:7]
	s_xor_b64 s[6:7], exec, s[8:9]
	s_cbranch_execnz .LBB24_2233
; %bb.185:
	s_or_saveexec_b64 s[6:7], s[6:7]
	v_mov_b32_e32 v2, s10
	s_xor_b64 exec, exec, s[6:7]
	s_cbranch_execnz .LBB24_2236
.LBB24_186:
	s_or_b64 exec, exec, s[6:7]
	s_and_saveexec_b64 s[6:7], s[4:5]
	s_cbranch_execz .LBB24_188
.LBB24_187:
	v_bfe_u32 v2, v7, 24, 3
	v_ffbh_u32_e32 v12, v2
	v_min_u32_e32 v12, 32, v12
	v_lshrrev_b32_e32 v10, 27, v7
	v_subrev_u32_e32 v13, 28, v12
	v_and_b32_e32 v6, 0x80000000, v7
	v_and_b32_e32 v10, 15, v10
	v_bfe_u32 v11, v7, 27, 4
	v_lshlrev_b32_sdwa v7, v13, v7 dst_sel:DWORD dst_unused:UNUSED_PAD src0_sel:DWORD src1_sel:BYTE_3
	v_sub_u32_e32 v12, 29, v12
	v_and_b32_e32 v7, 7, v7
	v_cmp_eq_u16_e32 vcc, 0, v10
	v_cndmask_b32_e32 v2, v2, v7, vcc
	v_cndmask_b32_e32 v7, v11, v12, vcc
	v_mov_b32_e32 v10, 0x3b800000
	v_lshlrev_b32_e32 v2, 20, v2
	v_lshl_add_u32 v7, v7, 23, v10
	v_or3_b32 v2, v6, v7, v2
.LBB24_188:
	s_or_b64 exec, exec, s[6:7]
	s_movk_i32 s4, 0x7f
	v_cmp_gt_i16_sdwa s[6:7], v3, s4 src0_sel:BYTE_3 src1_sel:DWORD
	s_mov_b64 s[4:5], 0
                                        ; implicit-def: $sgpr10
	s_and_saveexec_b64 s[8:9], s[6:7]
	s_xor_b64 s[6:7], exec, s[8:9]
	s_cbranch_execnz .LBB24_2237
; %bb.189:
	s_or_saveexec_b64 s[6:7], s[6:7]
	v_mov_b32_e32 v6, s10
	s_xor_b64 exec, exec, s[6:7]
	s_cbranch_execnz .LBB24_2240
.LBB24_190:
	s_or_b64 exec, exec, s[6:7]
	s_and_saveexec_b64 s[6:7], s[4:5]
	s_cbranch_execz .LBB24_192
.LBB24_191:
	v_bfe_u32 v6, v3, 24, 3
	v_ffbh_u32_e32 v12, v6
	v_min_u32_e32 v12, 32, v12
	v_lshrrev_b32_e32 v10, 27, v3
	v_subrev_u32_e32 v13, 28, v12
	v_and_b32_e32 v7, 0x80000000, v3
	v_and_b32_e32 v10, 15, v10
	v_bfe_u32 v11, v3, 27, 4
	v_lshlrev_b32_sdwa v3, v13, v3 dst_sel:DWORD dst_unused:UNUSED_PAD src0_sel:DWORD src1_sel:BYTE_3
	v_sub_u32_e32 v12, 29, v12
	v_and_b32_e32 v3, 7, v3
	v_cmp_eq_u16_e32 vcc, 0, v10
	v_cndmask_b32_e32 v3, v6, v3, vcc
	v_cndmask_b32_e32 v6, v11, v12, vcc
	v_mov_b32_e32 v10, 0x3b800000
	v_lshlrev_b32_e32 v3, 20, v3
	v_lshl_add_u32 v6, v6, 23, v10
	v_or3_b32 v6, v7, v6, v3
.LBB24_192:
	s_or_b64 exec, exec, s[6:7]
	s_nop 0
	v_mfma_f32_16x16x4f32 a[0:3], v2, v6, a[0:3]
	s_movk_i32 s4, 0x7f
	v_cmp_gt_i16_sdwa s[6:7], v8, s4 src0_sel:BYTE_0 src1_sel:DWORD
	s_mov_b64 s[4:5], 0
                                        ; implicit-def: $sgpr10
	s_and_saveexec_b64 s[8:9], s[6:7]
	s_xor_b64 s[6:7], exec, s[8:9]
	s_cbranch_execnz .LBB24_2241
; %bb.193:
	s_or_saveexec_b64 s[6:7], s[6:7]
	v_mov_b32_e32 v2, s10
	s_xor_b64 exec, exec, s[6:7]
	s_cbranch_execnz .LBB24_2244
.LBB24_194:
	s_or_b64 exec, exec, s[6:7]
	s_and_saveexec_b64 s[6:7], s[4:5]
	s_cbranch_execz .LBB24_196
.LBB24_195:
	v_and_b32_e32 v2, 7, v8
	v_ffbh_u32_e32 v6, v2
	v_min_u32_e32 v6, 32, v6
	v_lshrrev_b16_e32 v3, 3, v8
	v_subrev_u32_e32 v7, 28, v6
	v_and_b32_e32 v3, 15, v3
	v_lshlrev_b32_e32 v7, v7, v8
	v_sub_u32_e32 v6, 29, v6
	v_and_b32_e32 v7, 7, v7
	v_cmp_eq_u16_e32 vcc, 0, v3
	v_cndmask_b32_e32 v2, v2, v7, vcc
	v_cndmask_b32_e32 v3, v3, v6, vcc
	v_lshlrev_b32_e32 v6, 24, v8
	v_mov_b32_e32 v7, 0x3b800000
	v_lshlrev_b32_e32 v2, 20, v2
	v_and_b32_e32 v6, 0x80000000, v6
	v_lshl_add_u32 v3, v3, 23, v7
	v_or3_b32 v2, v6, v3, v2
.LBB24_196:
	s_or_b64 exec, exec, s[6:7]
	s_movk_i32 s4, 0x7f
	v_cmp_gt_i16_sdwa s[6:7], v4, s4 src0_sel:BYTE_0 src1_sel:DWORD
	s_mov_b64 s[4:5], 0
                                        ; implicit-def: $sgpr10
	s_and_saveexec_b64 s[8:9], s[6:7]
	s_xor_b64 s[6:7], exec, s[8:9]
	s_cbranch_execnz .LBB24_2245
; %bb.197:
	s_or_saveexec_b64 s[6:7], s[6:7]
	v_mov_b32_e32 v3, s10
	s_xor_b64 exec, exec, s[6:7]
	s_cbranch_execnz .LBB24_2248
.LBB24_198:
	s_or_b64 exec, exec, s[6:7]
	s_and_saveexec_b64 s[6:7], s[4:5]
	s_cbranch_execz .LBB24_200
.LBB24_199:
	v_and_b32_e32 v3, 7, v4
	v_ffbh_u32_e32 v7, v3
	v_min_u32_e32 v7, 32, v7
	v_lshrrev_b16_e32 v6, 3, v4
	v_subrev_u32_e32 v10, 28, v7
	v_and_b32_e32 v6, 15, v6
	v_lshlrev_b32_e32 v10, v10, v4
	v_sub_u32_e32 v7, 29, v7
	v_and_b32_e32 v10, 7, v10
	v_cmp_eq_u16_e32 vcc, 0, v6
	v_cndmask_b32_e32 v3, v3, v10, vcc
	v_cndmask_b32_e32 v6, v6, v7, vcc
	v_lshlrev_b32_e32 v7, 24, v4
	v_mov_b32_e32 v10, 0x3b800000
	v_lshlrev_b32_e32 v3, 20, v3
	v_and_b32_e32 v7, 0x80000000, v7
	v_lshl_add_u32 v6, v6, 23, v10
	v_or3_b32 v3, v7, v6, v3
.LBB24_200:
	s_or_b64 exec, exec, s[6:7]
	s_nop 0
	v_mfma_f32_16x16x4f32 a[0:3], v2, v3, a[0:3]
	v_lshrrev_b32_e32 v3, 8, v8
	s_movk_i32 s4, 0x7f
	v_cmp_gt_i16_sdwa s[6:7], v3, s4 src0_sel:BYTE_0 src1_sel:DWORD
	s_mov_b64 s[4:5], 0
                                        ; implicit-def: $sgpr10
	s_and_saveexec_b64 s[8:9], s[6:7]
	s_xor_b64 s[6:7], exec, s[8:9]
	s_cbranch_execnz .LBB24_2249
; %bb.201:
	s_or_saveexec_b64 s[6:7], s[6:7]
	v_mov_b32_e32 v2, s10
	s_xor_b64 exec, exec, s[6:7]
	s_cbranch_execnz .LBB24_2252
.LBB24_202:
	s_or_b64 exec, exec, s[6:7]
	s_and_saveexec_b64 s[6:7], s[4:5]
	s_cbranch_execz .LBB24_204
.LBB24_203:
	v_bfe_u32 v2, v8, 8, 3
	v_ffbh_u32_e32 v7, v2
	v_min_u32_e32 v7, 32, v7
	v_lshrrev_b16_e32 v6, 3, v3
	v_subrev_u32_e32 v10, 28, v7
	v_and_b32_e32 v6, 15, v6
	v_lshlrev_b32_e32 v3, v10, v3
	v_sub_u32_e32 v7, 29, v7
	v_and_b32_e32 v3, 7, v3
	v_cmp_eq_u16_e32 vcc, 0, v6
	v_cndmask_b32_e32 v2, v2, v3, vcc
	v_cndmask_b32_e32 v3, v6, v7, vcc
	v_lshlrev_b32_e32 v6, 16, v8
	v_mov_b32_e32 v7, 0x3b800000
	v_lshlrev_b32_e32 v2, 20, v2
	v_and_b32_e32 v6, 0x80000000, v6
	v_lshl_add_u32 v3, v3, 23, v7
	v_or3_b32 v2, v6, v3, v2
.LBB24_204:
	s_or_b64 exec, exec, s[6:7]
	v_lshrrev_b32_e32 v3, 8, v4
	s_movk_i32 s4, 0x7f
	v_cmp_gt_i16_sdwa s[6:7], v3, s4 src0_sel:BYTE_0 src1_sel:DWORD
	s_mov_b64 s[4:5], 0
                                        ; implicit-def: $sgpr10
	s_and_saveexec_b64 s[8:9], s[6:7]
	s_xor_b64 s[6:7], exec, s[8:9]
	s_cbranch_execnz .LBB24_2253
; %bb.205:
	s_or_saveexec_b64 s[6:7], s[6:7]
	v_mov_b32_e32 v6, s10
	s_xor_b64 exec, exec, s[6:7]
	s_cbranch_execnz .LBB24_2256
.LBB24_206:
	s_or_b64 exec, exec, s[6:7]
	s_and_saveexec_b64 s[6:7], s[4:5]
	s_cbranch_execz .LBB24_208
.LBB24_207:
	v_bfe_u32 v6, v4, 8, 3
	v_ffbh_u32_e32 v10, v6
	v_min_u32_e32 v10, 32, v10
	v_lshrrev_b16_e32 v7, 3, v3
	v_subrev_u32_e32 v11, 28, v10
	v_and_b32_e32 v7, 15, v7
	v_lshlrev_b32_e32 v3, v11, v3
	v_sub_u32_e32 v10, 29, v10
	v_and_b32_e32 v3, 7, v3
	v_cmp_eq_u16_e32 vcc, 0, v7
	v_cndmask_b32_e32 v3, v6, v3, vcc
	v_cndmask_b32_e32 v6, v7, v10, vcc
	v_lshlrev_b32_e32 v7, 16, v4
	v_mov_b32_e32 v10, 0x3b800000
	v_lshlrev_b32_e32 v3, 20, v3
	v_and_b32_e32 v7, 0x80000000, v7
	v_lshl_add_u32 v6, v6, 23, v10
	v_or3_b32 v6, v7, v6, v3
.LBB24_208:
	s_or_b64 exec, exec, s[6:7]
	s_nop 0
	v_mfma_f32_16x16x4f32 a[0:3], v2, v6, a[0:3]
	s_movk_i32 s4, 0xff
	v_and_b32_sdwa v3, v8, s4 dst_sel:DWORD dst_unused:UNUSED_PAD src0_sel:WORD_1 src1_sel:DWORD
	s_movk_i32 s4, 0x7f
	v_cmp_lt_i16_e32 vcc, s4, v3
	s_mov_b64 s[4:5], 0
                                        ; implicit-def: $sgpr10
	s_and_saveexec_b64 s[6:7], vcc
	s_xor_b64 s[6:7], exec, s[6:7]
	s_cbranch_execnz .LBB24_2257
; %bb.209:
	s_or_saveexec_b64 s[6:7], s[6:7]
	v_mov_b32_e32 v2, s10
	s_xor_b64 exec, exec, s[6:7]
	s_cbranch_execnz .LBB24_2260
.LBB24_210:
	s_or_b64 exec, exec, s[6:7]
	s_and_saveexec_b64 s[6:7], s[4:5]
	s_cbranch_execz .LBB24_212
.LBB24_211:
	v_bfe_u32 v2, v8, 16, 3
	v_ffbh_u32_e32 v7, v2
	v_min_u32_e32 v7, 32, v7
	v_lshrrev_b32_e32 v3, 19, v8
	v_subrev_u32_e32 v10, 28, v7
	v_and_b32_e32 v3, 15, v3
	v_lshlrev_b32_sdwa v10, v10, v8 dst_sel:DWORD dst_unused:UNUSED_PAD src0_sel:DWORD src1_sel:WORD_1
	v_bfe_u32 v6, v8, 19, 4
	v_sub_u32_e32 v7, 29, v7
	v_and_b32_e32 v10, 7, v10
	v_cmp_eq_u16_e32 vcc, 0, v3
	v_cndmask_b32_e32 v2, v2, v10, vcc
	v_cndmask_b32_e32 v3, v6, v7, vcc
	v_lshlrev_b32_e32 v6, 8, v8
	v_mov_b32_e32 v7, 0x3b800000
	v_lshlrev_b32_e32 v2, 20, v2
	v_and_b32_e32 v6, 0x80000000, v6
	v_lshl_add_u32 v3, v3, 23, v7
	v_or3_b32 v2, v6, v3, v2
.LBB24_212:
	s_or_b64 exec, exec, s[6:7]
	s_movk_i32 s4, 0xff
	v_and_b32_sdwa v3, v4, s4 dst_sel:DWORD dst_unused:UNUSED_PAD src0_sel:WORD_1 src1_sel:DWORD
	s_movk_i32 s4, 0x7f
	v_cmp_lt_i16_e32 vcc, s4, v3
	s_mov_b64 s[4:5], 0
                                        ; implicit-def: $sgpr10
	s_and_saveexec_b64 s[6:7], vcc
	s_xor_b64 s[6:7], exec, s[6:7]
	s_cbranch_execnz .LBB24_2261
; %bb.213:
	s_or_saveexec_b64 s[6:7], s[6:7]
	v_mov_b32_e32 v6, s10
	s_xor_b64 exec, exec, s[6:7]
	s_cbranch_execnz .LBB24_2264
.LBB24_214:
	s_or_b64 exec, exec, s[6:7]
	s_and_saveexec_b64 s[6:7], s[4:5]
	s_cbranch_execz .LBB24_216
.LBB24_215:
	v_bfe_u32 v3, v4, 16, 3
	v_ffbh_u32_e32 v10, v3
	v_min_u32_e32 v10, 32, v10
	v_lshrrev_b32_e32 v6, 19, v4
	v_subrev_u32_e32 v11, 28, v10
	v_and_b32_e32 v6, 15, v6
	v_lshlrev_b32_sdwa v11, v11, v4 dst_sel:DWORD dst_unused:UNUSED_PAD src0_sel:DWORD src1_sel:WORD_1
	v_bfe_u32 v7, v4, 19, 4
	v_sub_u32_e32 v10, 29, v10
	v_and_b32_e32 v11, 7, v11
	v_cmp_eq_u16_e32 vcc, 0, v6
	v_cndmask_b32_e32 v3, v3, v11, vcc
	v_cndmask_b32_e32 v6, v7, v10, vcc
	v_lshlrev_b32_e32 v7, 8, v4
	v_mov_b32_e32 v10, 0x3b800000
	v_lshlrev_b32_e32 v3, 20, v3
	v_and_b32_e32 v7, 0x80000000, v7
	v_lshl_add_u32 v6, v6, 23, v10
	v_or3_b32 v6, v7, v6, v3
.LBB24_216:
	s_or_b64 exec, exec, s[6:7]
	s_nop 0
	v_mfma_f32_16x16x4f32 a[0:3], v2, v6, a[0:3]
	s_movk_i32 s4, 0x7f
	v_cmp_gt_i16_sdwa s[6:7], v8, s4 src0_sel:BYTE_3 src1_sel:DWORD
	s_mov_b64 s[4:5], 0
                                        ; implicit-def: $sgpr10
	s_and_saveexec_b64 s[8:9], s[6:7]
	s_xor_b64 s[6:7], exec, s[8:9]
	s_cbranch_execnz .LBB24_2265
; %bb.217:
	s_or_saveexec_b64 s[6:7], s[6:7]
	v_mov_b32_e32 v2, s10
	s_xor_b64 exec, exec, s[6:7]
	s_cbranch_execnz .LBB24_2268
.LBB24_218:
	s_or_b64 exec, exec, s[6:7]
	s_and_saveexec_b64 s[6:7], s[4:5]
	s_cbranch_execz .LBB24_220
.LBB24_219:
	v_bfe_u32 v2, v8, 24, 3
	v_ffbh_u32_e32 v10, v2
	v_min_u32_e32 v10, 32, v10
	v_lshrrev_b32_e32 v6, 27, v8
	v_subrev_u32_e32 v11, 28, v10
	v_and_b32_e32 v3, 0x80000000, v8
	v_and_b32_e32 v6, 15, v6
	v_bfe_u32 v7, v8, 27, 4
	v_lshlrev_b32_sdwa v8, v11, v8 dst_sel:DWORD dst_unused:UNUSED_PAD src0_sel:DWORD src1_sel:BYTE_3
	v_sub_u32_e32 v10, 29, v10
	v_and_b32_e32 v8, 7, v8
	v_cmp_eq_u16_e32 vcc, 0, v6
	v_cndmask_b32_e32 v2, v2, v8, vcc
	v_cndmask_b32_e32 v6, v7, v10, vcc
	v_mov_b32_e32 v7, 0x3b800000
	v_lshlrev_b32_e32 v2, 20, v2
	v_lshl_add_u32 v6, v6, 23, v7
	v_or3_b32 v2, v3, v6, v2
.LBB24_220:
	s_or_b64 exec, exec, s[6:7]
	s_movk_i32 s4, 0x7f
	v_cmp_gt_i16_sdwa s[6:7], v4, s4 src0_sel:BYTE_3 src1_sel:DWORD
	s_mov_b64 s[4:5], 0
                                        ; implicit-def: $sgpr10
	s_and_saveexec_b64 s[8:9], s[6:7]
	s_xor_b64 s[6:7], exec, s[8:9]
	s_cbranch_execnz .LBB24_2269
; %bb.221:
	s_or_saveexec_b64 s[6:7], s[6:7]
	v_mov_b32_e32 v3, s10
	s_xor_b64 exec, exec, s[6:7]
	s_cbranch_execnz .LBB24_2272
.LBB24_222:
	s_or_b64 exec, exec, s[6:7]
	s_and_saveexec_b64 s[6:7], s[4:5]
	s_cbranch_execz .LBB24_224
.LBB24_223:
	v_bfe_u32 v3, v4, 24, 3
	v_ffbh_u32_e32 v10, v3
	v_min_u32_e32 v10, 32, v10
	v_lshrrev_b32_e32 v7, 27, v4
	v_subrev_u32_e32 v11, 28, v10
	v_and_b32_e32 v6, 0x80000000, v4
	v_and_b32_e32 v7, 15, v7
	v_bfe_u32 v8, v4, 27, 4
	v_lshlrev_b32_sdwa v4, v11, v4 dst_sel:DWORD dst_unused:UNUSED_PAD src0_sel:DWORD src1_sel:BYTE_3
	v_sub_u32_e32 v10, 29, v10
	v_and_b32_e32 v4, 7, v4
	v_cmp_eq_u16_e32 vcc, 0, v7
	v_cndmask_b32_e32 v3, v3, v4, vcc
	v_cndmask_b32_e32 v4, v8, v10, vcc
	v_mov_b32_e32 v7, 0x3b800000
	v_lshlrev_b32_e32 v3, 20, v3
	v_lshl_add_u32 v4, v4, 23, v7
	v_or3_b32 v3, v6, v4, v3
.LBB24_224:
	s_or_b64 exec, exec, s[6:7]
	s_nop 0
	v_mfma_f32_16x16x4f32 a[0:3], v2, v3, a[0:3]
	s_movk_i32 s4, 0x7f
	v_cmp_gt_i16_sdwa s[6:7], v9, s4 src0_sel:BYTE_0 src1_sel:DWORD
	s_mov_b64 s[4:5], 0
                                        ; implicit-def: $sgpr10
	s_and_saveexec_b64 s[8:9], s[6:7]
	s_xor_b64 s[6:7], exec, s[8:9]
	s_cbranch_execnz .LBB24_2273
; %bb.225:
	s_or_saveexec_b64 s[6:7], s[6:7]
	v_mov_b32_e32 v2, s10
	s_xor_b64 exec, exec, s[6:7]
	s_cbranch_execnz .LBB24_2276
.LBB24_226:
	s_or_b64 exec, exec, s[6:7]
	s_and_saveexec_b64 s[6:7], s[4:5]
	s_cbranch_execz .LBB24_228
.LBB24_227:
	v_mov_b32_e32 v2, 8
	v_and_b32_e32 v3, 7, v9
	v_lshrrev_b32_sdwa v2, v2, v9 dst_sel:BYTE_1 dst_unused:UNUSED_PAD src0_sel:DWORD src1_sel:DWORD
	v_ffbh_u32_e32 v4, v3
	v_or_b32_sdwa v2, v9, v2 dst_sel:DWORD dst_unused:UNUSED_PAD src0_sel:BYTE_0 src1_sel:DWORD
	v_min_u32_e32 v4, 32, v4
	v_lshrrev_b16_e32 v2, 3, v2
	v_subrev_u32_e32 v6, 28, v4
	v_and_b32_e32 v2, 15, v2
	v_lshlrev_b32_e32 v6, v6, v9
	v_sub_u32_e32 v4, 29, v4
	v_and_b32_e32 v6, 7, v6
	v_cmp_eq_u16_e32 vcc, 0, v2
	v_cndmask_b32_e32 v3, v3, v6, vcc
	v_cndmask_b32_e32 v2, v2, v4, vcc
	v_lshlrev_b32_e32 v4, 24, v9
	v_mov_b32_e32 v6, 0x3b800000
	v_lshlrev_b32_e32 v3, 20, v3
	v_and_b32_e32 v4, 0x80000000, v4
	v_lshl_add_u32 v2, v2, 23, v6
	v_or3_b32 v2, v4, v2, v3
.LBB24_228:
	s_or_b64 exec, exec, s[6:7]
	s_movk_i32 s4, 0x7f
	v_cmp_gt_i16_sdwa s[6:7], v5, s4 src0_sel:BYTE_0 src1_sel:DWORD
	s_mov_b64 s[4:5], 0
                                        ; implicit-def: $sgpr10
	s_and_saveexec_b64 s[8:9], s[6:7]
	s_xor_b64 s[6:7], exec, s[8:9]
	s_cbranch_execnz .LBB24_2277
; %bb.229:
	s_or_saveexec_b64 s[6:7], s[6:7]
	v_mov_b32_e32 v3, s10
	s_xor_b64 exec, exec, s[6:7]
	s_cbranch_execnz .LBB24_2280
.LBB24_230:
	s_or_b64 exec, exec, s[6:7]
	s_and_saveexec_b64 s[6:7], s[4:5]
	s_cbranch_execz .LBB24_232
.LBB24_231:
	v_mov_b32_e32 v3, 8
	v_and_b32_e32 v4, 7, v5
	v_lshrrev_b32_sdwa v3, v3, v5 dst_sel:BYTE_1 dst_unused:UNUSED_PAD src0_sel:DWORD src1_sel:DWORD
	v_ffbh_u32_e32 v6, v4
	v_or_b32_sdwa v3, v5, v3 dst_sel:DWORD dst_unused:UNUSED_PAD src0_sel:BYTE_0 src1_sel:DWORD
	v_min_u32_e32 v6, 32, v6
	v_lshrrev_b16_e32 v3, 3, v3
	v_subrev_u32_e32 v7, 28, v6
	v_and_b32_e32 v3, 15, v3
	v_lshlrev_b32_e32 v7, v7, v5
	v_sub_u32_e32 v6, 29, v6
	v_and_b32_e32 v7, 7, v7
	v_cmp_eq_u16_e32 vcc, 0, v3
	v_cndmask_b32_e32 v4, v4, v7, vcc
	v_cndmask_b32_e32 v3, v3, v6, vcc
	v_lshlrev_b32_e32 v6, 24, v5
	v_mov_b32_e32 v7, 0x3b800000
	v_lshlrev_b32_e32 v4, 20, v4
	v_and_b32_e32 v6, 0x80000000, v6
	v_lshl_add_u32 v3, v3, 23, v7
	v_or3_b32 v3, v6, v3, v4
.LBB24_232:
	s_or_b64 exec, exec, s[6:7]
	s_nop 0
	v_mfma_f32_16x16x4f32 a[0:3], v2, v3, a[0:3]
	v_lshrrev_b32_e32 v3, 8, v9
	s_movk_i32 s4, 0x7f
	v_cmp_gt_i16_sdwa s[6:7], v3, s4 src0_sel:BYTE_0 src1_sel:DWORD
	s_mov_b64 s[4:5], 0
                                        ; implicit-def: $sgpr10
	s_and_saveexec_b64 s[8:9], s[6:7]
	s_xor_b64 s[6:7], exec, s[8:9]
	s_cbranch_execnz .LBB24_2281
; %bb.233:
	s_or_saveexec_b64 s[6:7], s[6:7]
	v_mov_b32_e32 v2, s10
	s_xor_b64 exec, exec, s[6:7]
	s_cbranch_execnz .LBB24_2284
.LBB24_234:
	s_or_b64 exec, exec, s[6:7]
	s_and_saveexec_b64 s[6:7], s[4:5]
	s_cbranch_execz .LBB24_236
.LBB24_235:
	v_bfe_u32 v2, v9, 8, 3
	v_ffbh_u32_e32 v6, v2
	v_min_u32_e32 v6, 32, v6
	v_lshrrev_b16_e32 v4, 3, v3
	v_subrev_u32_e32 v7, 28, v6
	v_and_b32_e32 v4, 15, v4
	v_lshlrev_b32_e32 v3, v7, v3
	v_sub_u32_e32 v6, 29, v6
	v_and_b32_e32 v3, 7, v3
	v_cmp_eq_u16_e32 vcc, 0, v4
	v_cndmask_b32_e32 v2, v2, v3, vcc
	v_cndmask_b32_e32 v3, v4, v6, vcc
	v_lshlrev_b32_e32 v4, 16, v9
	v_mov_b32_e32 v6, 0x3b800000
	v_lshlrev_b32_e32 v2, 20, v2
	v_and_b32_e32 v4, 0x80000000, v4
	v_lshl_add_u32 v3, v3, 23, v6
	v_or3_b32 v2, v4, v3, v2
.LBB24_236:
	s_or_b64 exec, exec, s[6:7]
	v_lshrrev_b32_e32 v3, 8, v5
	s_movk_i32 s4, 0x7f
	v_cmp_gt_i16_sdwa s[6:7], v3, s4 src0_sel:BYTE_0 src1_sel:DWORD
	s_mov_b64 s[4:5], 0
                                        ; implicit-def: $sgpr10
	s_and_saveexec_b64 s[8:9], s[6:7]
	s_xor_b64 s[6:7], exec, s[8:9]
	s_cbranch_execnz .LBB24_2285
; %bb.237:
	s_or_saveexec_b64 s[6:7], s[6:7]
	v_mov_b32_e32 v4, s10
	s_xor_b64 exec, exec, s[6:7]
	s_cbranch_execnz .LBB24_2288
.LBB24_238:
	s_or_b64 exec, exec, s[6:7]
	s_and_saveexec_b64 s[6:7], s[4:5]
	s_cbranch_execz .LBB24_240
.LBB24_239:
	v_bfe_u32 v4, v5, 8, 3
	v_ffbh_u32_e32 v7, v4
	v_min_u32_e32 v7, 32, v7
	v_lshrrev_b16_e32 v6, 3, v3
	v_subrev_u32_e32 v8, 28, v7
	v_and_b32_e32 v6, 15, v6
	v_lshlrev_b32_e32 v3, v8, v3
	v_sub_u32_e32 v7, 29, v7
	v_and_b32_e32 v3, 7, v3
	v_cmp_eq_u16_e32 vcc, 0, v6
	v_cndmask_b32_e32 v3, v4, v3, vcc
	v_cndmask_b32_e32 v4, v6, v7, vcc
	v_lshlrev_b32_e32 v6, 16, v5
	v_mov_b32_e32 v7, 0x3b800000
	v_lshlrev_b32_e32 v3, 20, v3
	v_and_b32_e32 v6, 0x80000000, v6
	v_lshl_add_u32 v4, v4, 23, v7
	v_or3_b32 v4, v6, v4, v3
.LBB24_240:
	s_or_b64 exec, exec, s[6:7]
	s_nop 0
	v_mfma_f32_16x16x4f32 a[0:3], v2, v4, a[0:3]
	s_movk_i32 s4, 0xff
	v_and_b32_sdwa v3, v9, s4 dst_sel:DWORD dst_unused:UNUSED_PAD src0_sel:WORD_1 src1_sel:DWORD
	s_movk_i32 s4, 0x7f
	v_cmp_lt_i16_e32 vcc, s4, v3
	s_mov_b64 s[4:5], 0
                                        ; implicit-def: $sgpr10
	s_and_saveexec_b64 s[6:7], vcc
	s_xor_b64 s[6:7], exec, s[6:7]
	s_cbranch_execnz .LBB24_2289
; %bb.241:
	s_or_saveexec_b64 s[6:7], s[6:7]
	v_mov_b32_e32 v2, s10
	s_xor_b64 exec, exec, s[6:7]
	s_cbranch_execnz .LBB24_2292
.LBB24_242:
	s_or_b64 exec, exec, s[6:7]
	s_and_saveexec_b64 s[6:7], s[4:5]
	s_cbranch_execz .LBB24_244
.LBB24_243:
	v_bfe_u32 v2, v9, 16, 3
	v_ffbh_u32_e32 v6, v2
	v_min_u32_e32 v6, 32, v6
	v_lshrrev_b32_e32 v3, 19, v9
	v_subrev_u32_e32 v7, 28, v6
	v_and_b32_e32 v3, 15, v3
	v_lshlrev_b32_sdwa v7, v7, v9 dst_sel:DWORD dst_unused:UNUSED_PAD src0_sel:DWORD src1_sel:WORD_1
	v_bfe_u32 v4, v9, 19, 4
	v_sub_u32_e32 v6, 29, v6
	v_and_b32_e32 v7, 7, v7
	v_cmp_eq_u16_e32 vcc, 0, v3
	v_cndmask_b32_e32 v2, v2, v7, vcc
	v_cndmask_b32_e32 v3, v4, v6, vcc
	v_lshlrev_b32_e32 v4, 8, v9
	v_mov_b32_e32 v6, 0x3b800000
	v_lshlrev_b32_e32 v2, 20, v2
	v_and_b32_e32 v4, 0x80000000, v4
	v_lshl_add_u32 v3, v3, 23, v6
	v_or3_b32 v2, v4, v3, v2
.LBB24_244:
	s_or_b64 exec, exec, s[6:7]
	s_movk_i32 s4, 0xff
	v_and_b32_sdwa v3, v5, s4 dst_sel:DWORD dst_unused:UNUSED_PAD src0_sel:WORD_1 src1_sel:DWORD
	s_movk_i32 s4, 0x7f
	v_cmp_lt_i16_e32 vcc, s4, v3
	s_mov_b64 s[4:5], 0
                                        ; implicit-def: $sgpr10
	s_and_saveexec_b64 s[6:7], vcc
	s_xor_b64 s[6:7], exec, s[6:7]
	s_cbranch_execnz .LBB24_2293
; %bb.245:
	s_or_saveexec_b64 s[6:7], s[6:7]
	v_mov_b32_e32 v4, s10
	s_xor_b64 exec, exec, s[6:7]
	s_cbranch_execnz .LBB24_2296
.LBB24_246:
	s_or_b64 exec, exec, s[6:7]
	s_and_saveexec_b64 s[6:7], s[4:5]
	s_cbranch_execz .LBB24_248
.LBB24_247:
	v_bfe_u32 v3, v5, 16, 3
	v_ffbh_u32_e32 v7, v3
	v_min_u32_e32 v7, 32, v7
	v_lshrrev_b32_e32 v4, 19, v5
	v_subrev_u32_e32 v8, 28, v7
	v_and_b32_e32 v4, 15, v4
	v_lshlrev_b32_sdwa v8, v8, v5 dst_sel:DWORD dst_unused:UNUSED_PAD src0_sel:DWORD src1_sel:WORD_1
	v_bfe_u32 v6, v5, 19, 4
	v_sub_u32_e32 v7, 29, v7
	v_and_b32_e32 v8, 7, v8
	v_cmp_eq_u16_e32 vcc, 0, v4
	v_cndmask_b32_e32 v3, v3, v8, vcc
	v_cndmask_b32_e32 v4, v6, v7, vcc
	v_lshlrev_b32_e32 v6, 8, v5
	v_mov_b32_e32 v7, 0x3b800000
	v_lshlrev_b32_e32 v3, 20, v3
	v_and_b32_e32 v6, 0x80000000, v6
	v_lshl_add_u32 v4, v4, 23, v7
	v_or3_b32 v4, v6, v4, v3
.LBB24_248:
	s_or_b64 exec, exec, s[6:7]
	s_nop 0
	v_mfma_f32_16x16x4f32 a[0:3], v2, v4, a[0:3]
	s_movk_i32 s4, 0x7f
	v_cmp_gt_i16_sdwa s[6:7], v9, s4 src0_sel:BYTE_3 src1_sel:DWORD
	s_mov_b64 s[4:5], 0
                                        ; implicit-def: $sgpr10
	s_and_saveexec_b64 s[8:9], s[6:7]
	s_xor_b64 s[6:7], exec, s[8:9]
	s_cbranch_execnz .LBB24_2297
; %bb.249:
	s_or_saveexec_b64 s[6:7], s[6:7]
	v_mov_b32_e32 v2, s10
	s_xor_b64 exec, exec, s[6:7]
	s_cbranch_execnz .LBB24_2300
.LBB24_250:
	s_or_b64 exec, exec, s[6:7]
	s_and_saveexec_b64 s[6:7], s[4:5]
	s_cbranch_execz .LBB24_252
.LBB24_251:
	v_bfe_u32 v2, v9, 24, 3
	v_ffbh_u32_e32 v7, v2
	v_min_u32_e32 v7, 32, v7
	v_lshrrev_b32_e32 v4, 27, v9
	v_subrev_u32_e32 v8, 28, v7
	v_and_b32_e32 v4, 15, v4
	v_lshlrev_b32_sdwa v8, v8, v9 dst_sel:DWORD dst_unused:UNUSED_PAD src0_sel:DWORD src1_sel:BYTE_3
	v_bfe_u32 v6, v9, 27, 4
	v_sub_u32_e32 v7, 29, v7
	v_and_b32_e32 v8, 7, v8
	v_cmp_eq_u16_e32 vcc, 0, v4
	v_cndmask_b32_e32 v2, v2, v8, vcc
	v_cndmask_b32_e32 v4, v6, v7, vcc
	v_mov_b32_e32 v6, 0x3b800000
	v_and_b32_e32 v3, 0x80000000, v9
	v_lshlrev_b32_e32 v2, 20, v2
	v_lshl_add_u32 v4, v4, 23, v6
	v_or3_b32 v2, v3, v4, v2
.LBB24_252:
	s_or_b64 exec, exec, s[6:7]
	s_movk_i32 s4, 0x7f
	v_cmp_gt_i16_sdwa s[6:7], v5, s4 src0_sel:BYTE_3 src1_sel:DWORD
	s_mov_b64 s[4:5], 0
                                        ; implicit-def: $sgpr10
	s_and_saveexec_b64 s[8:9], s[6:7]
	s_xor_b64 s[6:7], exec, s[8:9]
	s_cbranch_execnz .LBB24_2301
; %bb.253:
	s_or_saveexec_b64 s[6:7], s[6:7]
	v_mov_b32_e32 v3, s10
	s_xor_b64 exec, exec, s[6:7]
	s_cbranch_execnz .LBB24_2304
.LBB24_254:
	s_or_b64 exec, exec, s[6:7]
	s_and_saveexec_b64 s[6:7], s[4:5]
	s_cbranch_execz .LBB24_256
.LBB24_255:
	v_bfe_u32 v3, v5, 24, 3
	v_ffbh_u32_e32 v8, v3
	v_min_u32_e32 v8, 32, v8
	v_lshrrev_b32_e32 v6, 27, v5
	v_subrev_u32_e32 v9, 28, v8
	v_and_b32_e32 v4, 0x80000000, v5
	v_and_b32_e32 v6, 15, v6
	v_bfe_u32 v7, v5, 27, 4
	v_lshlrev_b32_sdwa v5, v9, v5 dst_sel:DWORD dst_unused:UNUSED_PAD src0_sel:DWORD src1_sel:BYTE_3
	v_sub_u32_e32 v8, 29, v8
	v_and_b32_e32 v5, 7, v5
	v_cmp_eq_u16_e32 vcc, 0, v6
	v_cndmask_b32_e32 v3, v3, v5, vcc
	v_cndmask_b32_e32 v5, v7, v8, vcc
	v_mov_b32_e32 v6, 0x3b800000
	v_lshlrev_b32_e32 v3, 20, v3
	v_lshl_add_u32 v5, v5, 23, v6
	v_or3_b32 v3, v4, v5, v3
.LBB24_256:
	s_or_b64 exec, exec, s[6:7]
	s_nop 0
	v_mfma_f32_16x16x4f32 a[0:3], v2, v3, a[0:3]
	s_movk_i32 s4, 0x7f
                                        ; implicit-def: $sgpr10
	s_nop 7
	s_nop 1
	flat_store_dwordx4 v[18:19], a[0:3] offset:768
	flat_load_dwordx4 v[20:23], v[0:1] offset:8
	s_nop 0
	flat_load_dwordx2 v[18:19], v[0:1] offset:24
	s_waitcnt vmcnt(0) lgkmcnt(0)
	flat_load_dwordx4 v[14:17], v[20:21]
	flat_load_dwordx4 v[6:9], v[20:21] offset:16
	flat_load_dwordx4 v[10:13], v[22:23] offset:32
	;; [unrolled: 1-line block ×3, first 2 shown]
	s_waitcnt vmcnt(0) lgkmcnt(0)
	v_cmp_gt_i16_sdwa s[6:7], v14, s4 src0_sel:BYTE_0 src1_sel:DWORD
	s_mov_b64 s[4:5], 0
	s_and_saveexec_b64 s[8:9], s[6:7]
	s_xor_b64 s[6:7], exec, s[8:9]
	s_cbranch_execnz .LBB24_2305
; %bb.257:
	s_or_saveexec_b64 s[6:7], s[6:7]
	v_mov_b32_e32 v20, s10
	s_xor_b64 exec, exec, s[6:7]
	s_cbranch_execnz .LBB24_2308
.LBB24_258:
	s_or_b64 exec, exec, s[6:7]
	s_and_saveexec_b64 s[6:7], s[4:5]
	s_cbranch_execz .LBB24_260
.LBB24_259:
	v_and_b32_e32 v20, 7, v14
	v_ffbh_u32_e32 v22, v20
	v_min_u32_e32 v22, 32, v22
	v_lshrrev_b16_e32 v21, 3, v14
	v_subrev_u32_e32 v23, 28, v22
	v_and_b32_e32 v21, 15, v21
	v_lshlrev_b32_e32 v23, v23, v14
	v_sub_u32_e32 v22, 29, v22
	v_and_b32_e32 v23, 7, v23
	v_cmp_eq_u16_e32 vcc, 0, v21
	v_cndmask_b32_e32 v20, v20, v23, vcc
	v_cndmask_b32_e32 v21, v21, v22, vcc
	v_lshlrev_b32_e32 v22, 24, v14
	v_mov_b32_e32 v23, 0x3b800000
	v_lshlrev_b32_e32 v20, 20, v20
	v_and_b32_e32 v22, 0x80000000, v22
	v_lshl_add_u32 v21, v21, 23, v23
	v_or3_b32 v20, v22, v21, v20
.LBB24_260:
	s_or_b64 exec, exec, s[6:7]
	s_movk_i32 s4, 0x7f
	v_cmp_gt_i16_sdwa s[6:7], v10, s4 src0_sel:BYTE_0 src1_sel:DWORD
	s_mov_b64 s[4:5], 0
                                        ; implicit-def: $sgpr10
	s_and_saveexec_b64 s[8:9], s[6:7]
	s_xor_b64 s[6:7], exec, s[8:9]
	s_cbranch_execnz .LBB24_2309
; %bb.261:
	s_or_saveexec_b64 s[6:7], s[6:7]
	v_mov_b32_e32 v21, s10
	s_xor_b64 exec, exec, s[6:7]
	s_cbranch_execnz .LBB24_2312
.LBB24_262:
	s_or_b64 exec, exec, s[6:7]
	s_and_saveexec_b64 s[6:7], s[4:5]
	s_cbranch_execz .LBB24_264
.LBB24_263:
	v_and_b32_e32 v21, 7, v10
	v_ffbh_u32_e32 v23, v21
	v_min_u32_e32 v23, 32, v23
	v_lshrrev_b16_e32 v22, 3, v10
	v_subrev_u32_e32 v24, 28, v23
	v_and_b32_e32 v22, 15, v22
	v_lshlrev_b32_e32 v24, v24, v10
	v_sub_u32_e32 v23, 29, v23
	v_and_b32_e32 v24, 7, v24
	v_cmp_eq_u16_e32 vcc, 0, v22
	v_cndmask_b32_e32 v21, v21, v24, vcc
	v_cndmask_b32_e32 v22, v22, v23, vcc
	v_lshlrev_b32_e32 v23, 24, v10
	v_mov_b32_e32 v24, 0x3b800000
	v_lshlrev_b32_e32 v21, 20, v21
	v_and_b32_e32 v23, 0x80000000, v23
	v_lshl_add_u32 v22, v22, 23, v24
	v_or3_b32 v21, v23, v22, v21
.LBB24_264:
	s_or_b64 exec, exec, s[6:7]
	flat_load_dwordx4 a[0:3], v[18:19] offset:784
	s_movk_i32 s4, 0x7f
                                        ; implicit-def: $sgpr10
	s_waitcnt vmcnt(0) lgkmcnt(0)
	v_mfma_f32_16x16x4f32 a[0:3], v20, v21, a[0:3]
	v_lshrrev_b32_e32 v21, 8, v14
	v_cmp_gt_i16_sdwa s[6:7], v21, s4 src0_sel:BYTE_0 src1_sel:DWORD
	s_mov_b64 s[4:5], 0
	s_and_saveexec_b64 s[8:9], s[6:7]
	s_xor_b64 s[6:7], exec, s[8:9]
	s_cbranch_execnz .LBB24_2313
; %bb.265:
	s_or_saveexec_b64 s[6:7], s[6:7]
	v_mov_b32_e32 v20, s10
	s_xor_b64 exec, exec, s[6:7]
	s_cbranch_execnz .LBB24_2316
.LBB24_266:
	s_or_b64 exec, exec, s[6:7]
	s_and_saveexec_b64 s[6:7], s[4:5]
	s_cbranch_execz .LBB24_268
.LBB24_267:
	v_bfe_u32 v20, v14, 8, 3
	v_ffbh_u32_e32 v23, v20
	v_min_u32_e32 v23, 32, v23
	v_lshrrev_b16_e32 v22, 3, v21
	v_subrev_u32_e32 v24, 28, v23
	v_and_b32_e32 v22, 15, v22
	v_lshlrev_b32_e32 v21, v24, v21
	v_sub_u32_e32 v23, 29, v23
	v_and_b32_e32 v21, 7, v21
	v_cmp_eq_u16_e32 vcc, 0, v22
	v_cndmask_b32_e32 v20, v20, v21, vcc
	v_cndmask_b32_e32 v21, v22, v23, vcc
	v_lshlrev_b32_e32 v22, 16, v14
	v_mov_b32_e32 v23, 0x3b800000
	v_lshlrev_b32_e32 v20, 20, v20
	v_and_b32_e32 v22, 0x80000000, v22
	v_lshl_add_u32 v21, v21, 23, v23
	v_or3_b32 v20, v22, v21, v20
.LBB24_268:
	s_or_b64 exec, exec, s[6:7]
	v_lshrrev_b32_e32 v21, 8, v10
	s_movk_i32 s4, 0x7f
	v_cmp_gt_i16_sdwa s[6:7], v21, s4 src0_sel:BYTE_0 src1_sel:DWORD
	s_mov_b64 s[4:5], 0
                                        ; implicit-def: $sgpr10
	s_and_saveexec_b64 s[8:9], s[6:7]
	s_xor_b64 s[6:7], exec, s[8:9]
	s_cbranch_execnz .LBB24_2317
; %bb.269:
	s_or_saveexec_b64 s[6:7], s[6:7]
	v_mov_b32_e32 v22, s10
	s_xor_b64 exec, exec, s[6:7]
	s_cbranch_execnz .LBB24_2320
.LBB24_270:
	s_or_b64 exec, exec, s[6:7]
	s_and_saveexec_b64 s[6:7], s[4:5]
	s_cbranch_execz .LBB24_272
.LBB24_271:
	v_bfe_u32 v22, v10, 8, 3
	v_ffbh_u32_e32 v24, v22
	v_min_u32_e32 v24, 32, v24
	v_lshrrev_b16_e32 v23, 3, v21
	v_subrev_u32_e32 v25, 28, v24
	v_and_b32_e32 v23, 15, v23
	v_lshlrev_b32_e32 v21, v25, v21
	v_sub_u32_e32 v24, 29, v24
	v_and_b32_e32 v21, 7, v21
	v_cmp_eq_u16_e32 vcc, 0, v23
	v_cndmask_b32_e32 v21, v22, v21, vcc
	v_cndmask_b32_e32 v22, v23, v24, vcc
	v_lshlrev_b32_e32 v23, 16, v10
	v_mov_b32_e32 v24, 0x3b800000
	v_lshlrev_b32_e32 v21, 20, v21
	v_and_b32_e32 v23, 0x80000000, v23
	v_lshl_add_u32 v22, v22, 23, v24
	v_or3_b32 v22, v23, v22, v21
.LBB24_272:
	s_or_b64 exec, exec, s[6:7]
	s_nop 0
	v_mfma_f32_16x16x4f32 a[0:3], v20, v22, a[0:3]
	s_movk_i32 s4, 0xff
	v_and_b32_sdwa v21, v14, s4 dst_sel:DWORD dst_unused:UNUSED_PAD src0_sel:WORD_1 src1_sel:DWORD
	s_movk_i32 s4, 0x7f
	v_cmp_lt_i16_e32 vcc, s4, v21
	s_mov_b64 s[4:5], 0
                                        ; implicit-def: $sgpr10
	s_and_saveexec_b64 s[6:7], vcc
	s_xor_b64 s[6:7], exec, s[6:7]
	s_cbranch_execnz .LBB24_2321
; %bb.273:
	s_or_saveexec_b64 s[6:7], s[6:7]
	v_mov_b32_e32 v20, s10
	s_xor_b64 exec, exec, s[6:7]
	s_cbranch_execnz .LBB24_2324
.LBB24_274:
	s_or_b64 exec, exec, s[6:7]
	s_and_saveexec_b64 s[6:7], s[4:5]
	s_cbranch_execz .LBB24_276
.LBB24_275:
	v_bfe_u32 v20, v14, 16, 3
	v_ffbh_u32_e32 v23, v20
	v_min_u32_e32 v23, 32, v23
	v_lshrrev_b32_e32 v21, 19, v14
	v_subrev_u32_e32 v24, 28, v23
	v_and_b32_e32 v21, 15, v21
	v_lshlrev_b32_sdwa v24, v24, v14 dst_sel:DWORD dst_unused:UNUSED_PAD src0_sel:DWORD src1_sel:WORD_1
	v_bfe_u32 v22, v14, 19, 4
	v_sub_u32_e32 v23, 29, v23
	v_and_b32_e32 v24, 7, v24
	v_cmp_eq_u16_e32 vcc, 0, v21
	v_cndmask_b32_e32 v20, v20, v24, vcc
	v_cndmask_b32_e32 v21, v22, v23, vcc
	v_lshlrev_b32_e32 v22, 8, v14
	v_mov_b32_e32 v23, 0x3b800000
	v_lshlrev_b32_e32 v20, 20, v20
	v_and_b32_e32 v22, 0x80000000, v22
	v_lshl_add_u32 v21, v21, 23, v23
	v_or3_b32 v20, v22, v21, v20
.LBB24_276:
	s_or_b64 exec, exec, s[6:7]
	s_movk_i32 s4, 0xff
	v_and_b32_sdwa v21, v10, s4 dst_sel:DWORD dst_unused:UNUSED_PAD src0_sel:WORD_1 src1_sel:DWORD
	s_movk_i32 s4, 0x7f
	v_cmp_lt_i16_e32 vcc, s4, v21
	s_mov_b64 s[4:5], 0
                                        ; implicit-def: $sgpr10
	s_and_saveexec_b64 s[6:7], vcc
	s_xor_b64 s[6:7], exec, s[6:7]
	s_cbranch_execnz .LBB24_2325
; %bb.277:
	s_or_saveexec_b64 s[6:7], s[6:7]
	v_mov_b32_e32 v22, s10
	s_xor_b64 exec, exec, s[6:7]
	s_cbranch_execnz .LBB24_2328
.LBB24_278:
	s_or_b64 exec, exec, s[6:7]
	s_and_saveexec_b64 s[6:7], s[4:5]
	s_cbranch_execz .LBB24_280
.LBB24_279:
	v_bfe_u32 v21, v10, 16, 3
	v_ffbh_u32_e32 v24, v21
	v_min_u32_e32 v24, 32, v24
	v_lshrrev_b32_e32 v22, 19, v10
	v_subrev_u32_e32 v25, 28, v24
	v_and_b32_e32 v22, 15, v22
	v_lshlrev_b32_sdwa v25, v25, v10 dst_sel:DWORD dst_unused:UNUSED_PAD src0_sel:DWORD src1_sel:WORD_1
	v_bfe_u32 v23, v10, 19, 4
	v_sub_u32_e32 v24, 29, v24
	v_and_b32_e32 v25, 7, v25
	v_cmp_eq_u16_e32 vcc, 0, v22
	v_cndmask_b32_e32 v21, v21, v25, vcc
	v_cndmask_b32_e32 v22, v23, v24, vcc
	v_lshlrev_b32_e32 v23, 8, v10
	v_mov_b32_e32 v24, 0x3b800000
	v_lshlrev_b32_e32 v21, 20, v21
	v_and_b32_e32 v23, 0x80000000, v23
	v_lshl_add_u32 v22, v22, 23, v24
	v_or3_b32 v22, v23, v22, v21
.LBB24_280:
	s_or_b64 exec, exec, s[6:7]
	s_nop 0
	v_mfma_f32_16x16x4f32 a[0:3], v20, v22, a[0:3]
	s_movk_i32 s4, 0x7f
	v_cmp_gt_i16_sdwa s[6:7], v14, s4 src0_sel:BYTE_3 src1_sel:DWORD
	s_mov_b64 s[4:5], 0
                                        ; implicit-def: $sgpr10
	s_and_saveexec_b64 s[8:9], s[6:7]
	s_xor_b64 s[6:7], exec, s[8:9]
	s_cbranch_execnz .LBB24_2329
; %bb.281:
	s_or_saveexec_b64 s[6:7], s[6:7]
	v_mov_b32_e32 v20, s10
	s_xor_b64 exec, exec, s[6:7]
	s_cbranch_execnz .LBB24_2332
.LBB24_282:
	s_or_b64 exec, exec, s[6:7]
	s_and_saveexec_b64 s[6:7], s[4:5]
	s_cbranch_execz .LBB24_284
.LBB24_283:
	v_bfe_u32 v20, v14, 24, 3
	v_ffbh_u32_e32 v24, v20
	v_min_u32_e32 v24, 32, v24
	v_lshrrev_b32_e32 v22, 27, v14
	v_subrev_u32_e32 v25, 28, v24
	v_and_b32_e32 v21, 0x80000000, v14
	v_and_b32_e32 v22, 15, v22
	v_bfe_u32 v23, v14, 27, 4
	v_lshlrev_b32_sdwa v14, v25, v14 dst_sel:DWORD dst_unused:UNUSED_PAD src0_sel:DWORD src1_sel:BYTE_3
	v_sub_u32_e32 v24, 29, v24
	v_and_b32_e32 v14, 7, v14
	v_cmp_eq_u16_e32 vcc, 0, v22
	v_cndmask_b32_e32 v14, v20, v14, vcc
	v_cndmask_b32_e32 v20, v23, v24, vcc
	v_mov_b32_e32 v22, 0x3b800000
	v_lshlrev_b32_e32 v14, 20, v14
	v_lshl_add_u32 v20, v20, 23, v22
	v_or3_b32 v20, v21, v20, v14
.LBB24_284:
	s_or_b64 exec, exec, s[6:7]
	s_movk_i32 s4, 0x7f
	v_cmp_gt_i16_sdwa s[6:7], v10, s4 src0_sel:BYTE_3 src1_sel:DWORD
	s_mov_b64 s[4:5], 0
                                        ; implicit-def: $sgpr10
	s_and_saveexec_b64 s[8:9], s[6:7]
	s_xor_b64 s[6:7], exec, s[8:9]
	s_cbranch_execnz .LBB24_2333
; %bb.285:
	s_or_saveexec_b64 s[6:7], s[6:7]
	v_mov_b32_e32 v14, s10
	s_xor_b64 exec, exec, s[6:7]
	s_cbranch_execnz .LBB24_2336
.LBB24_286:
	s_or_b64 exec, exec, s[6:7]
	s_and_saveexec_b64 s[6:7], s[4:5]
	s_cbranch_execz .LBB24_288
.LBB24_287:
	v_bfe_u32 v14, v10, 24, 3
	v_ffbh_u32_e32 v24, v14
	v_min_u32_e32 v24, 32, v24
	v_lshrrev_b32_e32 v22, 27, v10
	v_subrev_u32_e32 v25, 28, v24
	v_and_b32_e32 v21, 0x80000000, v10
	v_and_b32_e32 v22, 15, v22
	v_bfe_u32 v23, v10, 27, 4
	v_lshlrev_b32_sdwa v10, v25, v10 dst_sel:DWORD dst_unused:UNUSED_PAD src0_sel:DWORD src1_sel:BYTE_3
	v_sub_u32_e32 v24, 29, v24
	v_and_b32_e32 v10, 7, v10
	v_cmp_eq_u16_e32 vcc, 0, v22
	v_cndmask_b32_e32 v10, v14, v10, vcc
	v_cndmask_b32_e32 v14, v23, v24, vcc
	v_mov_b32_e32 v22, 0x3b800000
	v_lshlrev_b32_e32 v10, 20, v10
	v_lshl_add_u32 v14, v14, 23, v22
	v_or3_b32 v14, v21, v14, v10
.LBB24_288:
	s_or_b64 exec, exec, s[6:7]
	s_nop 0
	v_mfma_f32_16x16x4f32 a[0:3], v20, v14, a[0:3]
	s_movk_i32 s4, 0x7f
	v_cmp_gt_i16_sdwa s[6:7], v15, s4 src0_sel:BYTE_0 src1_sel:DWORD
	s_mov_b64 s[4:5], 0
                                        ; implicit-def: $sgpr10
	s_and_saveexec_b64 s[8:9], s[6:7]
	s_xor_b64 s[6:7], exec, s[8:9]
	s_cbranch_execnz .LBB24_2337
; %bb.289:
	s_or_saveexec_b64 s[6:7], s[6:7]
	v_mov_b32_e32 v10, s10
	s_xor_b64 exec, exec, s[6:7]
	s_cbranch_execnz .LBB24_2340
.LBB24_290:
	s_or_b64 exec, exec, s[6:7]
	s_and_saveexec_b64 s[6:7], s[4:5]
	s_cbranch_execz .LBB24_292
.LBB24_291:
	v_and_b32_e32 v10, 7, v15
	v_ffbh_u32_e32 v20, v10
	v_min_u32_e32 v20, 32, v20
	v_lshrrev_b16_e32 v14, 3, v15
	v_subrev_u32_e32 v21, 28, v20
	v_and_b32_e32 v14, 15, v14
	v_lshlrev_b32_e32 v21, v21, v15
	v_sub_u32_e32 v20, 29, v20
	v_and_b32_e32 v21, 7, v21
	v_cmp_eq_u16_e32 vcc, 0, v14
	v_cndmask_b32_e32 v10, v10, v21, vcc
	v_cndmask_b32_e32 v14, v14, v20, vcc
	v_lshlrev_b32_e32 v20, 24, v15
	v_mov_b32_e32 v21, 0x3b800000
	v_lshlrev_b32_e32 v10, 20, v10
	v_and_b32_e32 v20, 0x80000000, v20
	v_lshl_add_u32 v14, v14, 23, v21
	v_or3_b32 v10, v20, v14, v10
.LBB24_292:
	s_or_b64 exec, exec, s[6:7]
	s_movk_i32 s4, 0x7f
	v_cmp_gt_i16_sdwa s[6:7], v11, s4 src0_sel:BYTE_0 src1_sel:DWORD
	s_mov_b64 s[4:5], 0
                                        ; implicit-def: $sgpr10
	s_and_saveexec_b64 s[8:9], s[6:7]
	s_xor_b64 s[6:7], exec, s[8:9]
	s_cbranch_execnz .LBB24_2341
; %bb.293:
	s_or_saveexec_b64 s[6:7], s[6:7]
	v_mov_b32_e32 v14, s10
	s_xor_b64 exec, exec, s[6:7]
	s_cbranch_execnz .LBB24_2344
.LBB24_294:
	s_or_b64 exec, exec, s[6:7]
	s_and_saveexec_b64 s[6:7], s[4:5]
	s_cbranch_execz .LBB24_296
.LBB24_295:
	v_and_b32_e32 v14, 7, v11
	v_ffbh_u32_e32 v21, v14
	v_min_u32_e32 v21, 32, v21
	v_lshrrev_b16_e32 v20, 3, v11
	v_subrev_u32_e32 v22, 28, v21
	v_and_b32_e32 v20, 15, v20
	v_lshlrev_b32_e32 v22, v22, v11
	v_sub_u32_e32 v21, 29, v21
	v_and_b32_e32 v22, 7, v22
	v_cmp_eq_u16_e32 vcc, 0, v20
	v_cndmask_b32_e32 v14, v14, v22, vcc
	v_cndmask_b32_e32 v20, v20, v21, vcc
	v_lshlrev_b32_e32 v21, 24, v11
	v_mov_b32_e32 v22, 0x3b800000
	v_lshlrev_b32_e32 v14, 20, v14
	v_and_b32_e32 v21, 0x80000000, v21
	v_lshl_add_u32 v20, v20, 23, v22
	v_or3_b32 v14, v21, v20, v14
.LBB24_296:
	s_or_b64 exec, exec, s[6:7]
	s_nop 0
	v_mfma_f32_16x16x4f32 a[0:3], v10, v14, a[0:3]
	v_lshrrev_b32_e32 v14, 8, v15
	s_movk_i32 s4, 0x7f
	v_cmp_gt_i16_sdwa s[6:7], v14, s4 src0_sel:BYTE_0 src1_sel:DWORD
	s_mov_b64 s[4:5], 0
                                        ; implicit-def: $sgpr10
	s_and_saveexec_b64 s[8:9], s[6:7]
	s_xor_b64 s[6:7], exec, s[8:9]
	s_cbranch_execnz .LBB24_2345
; %bb.297:
	s_or_saveexec_b64 s[6:7], s[6:7]
	v_mov_b32_e32 v10, s10
	s_xor_b64 exec, exec, s[6:7]
	s_cbranch_execnz .LBB24_2348
.LBB24_298:
	s_or_b64 exec, exec, s[6:7]
	s_and_saveexec_b64 s[6:7], s[4:5]
	s_cbranch_execz .LBB24_300
.LBB24_299:
	v_bfe_u32 v10, v15, 8, 3
	v_ffbh_u32_e32 v21, v10
	v_min_u32_e32 v21, 32, v21
	v_lshrrev_b16_e32 v20, 3, v14
	v_subrev_u32_e32 v22, 28, v21
	v_and_b32_e32 v20, 15, v20
	v_lshlrev_b32_e32 v14, v22, v14
	v_sub_u32_e32 v21, 29, v21
	v_and_b32_e32 v14, 7, v14
	v_cmp_eq_u16_e32 vcc, 0, v20
	v_cndmask_b32_e32 v10, v10, v14, vcc
	v_cndmask_b32_e32 v14, v20, v21, vcc
	v_lshlrev_b32_e32 v20, 16, v15
	v_mov_b32_e32 v21, 0x3b800000
	v_lshlrev_b32_e32 v10, 20, v10
	v_and_b32_e32 v20, 0x80000000, v20
	v_lshl_add_u32 v14, v14, 23, v21
	v_or3_b32 v10, v20, v14, v10
.LBB24_300:
	s_or_b64 exec, exec, s[6:7]
	v_lshrrev_b32_e32 v14, 8, v11
	s_movk_i32 s4, 0x7f
	v_cmp_gt_i16_sdwa s[6:7], v14, s4 src0_sel:BYTE_0 src1_sel:DWORD
	s_mov_b64 s[4:5], 0
                                        ; implicit-def: $sgpr10
	s_and_saveexec_b64 s[8:9], s[6:7]
	s_xor_b64 s[6:7], exec, s[8:9]
	s_cbranch_execnz .LBB24_2349
; %bb.301:
	s_or_saveexec_b64 s[6:7], s[6:7]
	v_mov_b32_e32 v20, s10
	s_xor_b64 exec, exec, s[6:7]
	s_cbranch_execnz .LBB24_2352
.LBB24_302:
	s_or_b64 exec, exec, s[6:7]
	s_and_saveexec_b64 s[6:7], s[4:5]
	s_cbranch_execz .LBB24_304
.LBB24_303:
	v_bfe_u32 v20, v11, 8, 3
	v_ffbh_u32_e32 v22, v20
	v_min_u32_e32 v22, 32, v22
	v_lshrrev_b16_e32 v21, 3, v14
	v_subrev_u32_e32 v23, 28, v22
	v_and_b32_e32 v21, 15, v21
	v_lshlrev_b32_e32 v14, v23, v14
	v_sub_u32_e32 v22, 29, v22
	v_and_b32_e32 v14, 7, v14
	v_cmp_eq_u16_e32 vcc, 0, v21
	v_cndmask_b32_e32 v14, v20, v14, vcc
	v_cndmask_b32_e32 v20, v21, v22, vcc
	v_lshlrev_b32_e32 v21, 16, v11
	v_mov_b32_e32 v22, 0x3b800000
	v_lshlrev_b32_e32 v14, 20, v14
	v_and_b32_e32 v21, 0x80000000, v21
	v_lshl_add_u32 v20, v20, 23, v22
	v_or3_b32 v20, v21, v20, v14
.LBB24_304:
	s_or_b64 exec, exec, s[6:7]
	s_nop 0
	v_mfma_f32_16x16x4f32 a[0:3], v10, v20, a[0:3]
	s_movk_i32 s4, 0xff
	v_and_b32_sdwa v14, v15, s4 dst_sel:DWORD dst_unused:UNUSED_PAD src0_sel:WORD_1 src1_sel:DWORD
	s_movk_i32 s4, 0x7f
	v_cmp_lt_i16_e32 vcc, s4, v14
	s_mov_b64 s[4:5], 0
                                        ; implicit-def: $sgpr10
	s_and_saveexec_b64 s[6:7], vcc
	s_xor_b64 s[6:7], exec, s[6:7]
	s_cbranch_execnz .LBB24_2353
; %bb.305:
	s_or_saveexec_b64 s[6:7], s[6:7]
	v_mov_b32_e32 v10, s10
	s_xor_b64 exec, exec, s[6:7]
	s_cbranch_execnz .LBB24_2356
.LBB24_306:
	s_or_b64 exec, exec, s[6:7]
	s_and_saveexec_b64 s[6:7], s[4:5]
	s_cbranch_execz .LBB24_308
.LBB24_307:
	v_bfe_u32 v10, v15, 16, 3
	v_ffbh_u32_e32 v21, v10
	v_min_u32_e32 v21, 32, v21
	v_lshrrev_b32_e32 v14, 19, v15
	v_subrev_u32_e32 v22, 28, v21
	v_and_b32_e32 v14, 15, v14
	v_lshlrev_b32_sdwa v22, v22, v15 dst_sel:DWORD dst_unused:UNUSED_PAD src0_sel:DWORD src1_sel:WORD_1
	v_bfe_u32 v20, v15, 19, 4
	v_sub_u32_e32 v21, 29, v21
	v_and_b32_e32 v22, 7, v22
	v_cmp_eq_u16_e32 vcc, 0, v14
	v_cndmask_b32_e32 v10, v10, v22, vcc
	v_cndmask_b32_e32 v14, v20, v21, vcc
	v_lshlrev_b32_e32 v20, 8, v15
	v_mov_b32_e32 v21, 0x3b800000
	v_lshlrev_b32_e32 v10, 20, v10
	v_and_b32_e32 v20, 0x80000000, v20
	v_lshl_add_u32 v14, v14, 23, v21
	v_or3_b32 v10, v20, v14, v10
.LBB24_308:
	s_or_b64 exec, exec, s[6:7]
	s_movk_i32 s4, 0xff
	v_and_b32_sdwa v14, v11, s4 dst_sel:DWORD dst_unused:UNUSED_PAD src0_sel:WORD_1 src1_sel:DWORD
	s_movk_i32 s4, 0x7f
	v_cmp_lt_i16_e32 vcc, s4, v14
	s_mov_b64 s[4:5], 0
                                        ; implicit-def: $sgpr10
	s_and_saveexec_b64 s[6:7], vcc
	s_xor_b64 s[6:7], exec, s[6:7]
	s_cbranch_execnz .LBB24_2357
; %bb.309:
	s_or_saveexec_b64 s[6:7], s[6:7]
	v_mov_b32_e32 v20, s10
	s_xor_b64 exec, exec, s[6:7]
	s_cbranch_execnz .LBB24_2360
.LBB24_310:
	s_or_b64 exec, exec, s[6:7]
	s_and_saveexec_b64 s[6:7], s[4:5]
	s_cbranch_execz .LBB24_312
.LBB24_311:
	v_bfe_u32 v14, v11, 16, 3
	v_ffbh_u32_e32 v22, v14
	v_min_u32_e32 v22, 32, v22
	v_lshrrev_b32_e32 v20, 19, v11
	v_subrev_u32_e32 v23, 28, v22
	v_and_b32_e32 v20, 15, v20
	v_lshlrev_b32_sdwa v23, v23, v11 dst_sel:DWORD dst_unused:UNUSED_PAD src0_sel:DWORD src1_sel:WORD_1
	v_bfe_u32 v21, v11, 19, 4
	v_sub_u32_e32 v22, 29, v22
	v_and_b32_e32 v23, 7, v23
	v_cmp_eq_u16_e32 vcc, 0, v20
	v_cndmask_b32_e32 v14, v14, v23, vcc
	v_cndmask_b32_e32 v20, v21, v22, vcc
	v_lshlrev_b32_e32 v21, 8, v11
	v_mov_b32_e32 v22, 0x3b800000
	v_lshlrev_b32_e32 v14, 20, v14
	v_and_b32_e32 v21, 0x80000000, v21
	v_lshl_add_u32 v20, v20, 23, v22
	v_or3_b32 v20, v21, v20, v14
.LBB24_312:
	s_or_b64 exec, exec, s[6:7]
	s_nop 0
	v_mfma_f32_16x16x4f32 a[0:3], v10, v20, a[0:3]
	s_movk_i32 s4, 0x7f
	v_cmp_gt_i16_sdwa s[6:7], v15, s4 src0_sel:BYTE_3 src1_sel:DWORD
	s_mov_b64 s[4:5], 0
                                        ; implicit-def: $sgpr10
	s_and_saveexec_b64 s[8:9], s[6:7]
	s_xor_b64 s[6:7], exec, s[8:9]
	s_cbranch_execnz .LBB24_2361
; %bb.313:
	s_or_saveexec_b64 s[6:7], s[6:7]
	v_mov_b32_e32 v10, s10
	s_xor_b64 exec, exec, s[6:7]
	s_cbranch_execnz .LBB24_2364
.LBB24_314:
	s_or_b64 exec, exec, s[6:7]
	s_and_saveexec_b64 s[6:7], s[4:5]
	s_cbranch_execz .LBB24_316
.LBB24_315:
	v_bfe_u32 v10, v15, 24, 3
	v_ffbh_u32_e32 v22, v10
	v_min_u32_e32 v22, 32, v22
	v_lshrrev_b32_e32 v20, 27, v15
	v_subrev_u32_e32 v23, 28, v22
	v_and_b32_e32 v14, 0x80000000, v15
	v_and_b32_e32 v20, 15, v20
	v_bfe_u32 v21, v15, 27, 4
	v_lshlrev_b32_sdwa v15, v23, v15 dst_sel:DWORD dst_unused:UNUSED_PAD src0_sel:DWORD src1_sel:BYTE_3
	v_sub_u32_e32 v22, 29, v22
	v_and_b32_e32 v15, 7, v15
	v_cmp_eq_u16_e32 vcc, 0, v20
	v_cndmask_b32_e32 v10, v10, v15, vcc
	v_cndmask_b32_e32 v15, v21, v22, vcc
	v_mov_b32_e32 v20, 0x3b800000
	v_lshlrev_b32_e32 v10, 20, v10
	v_lshl_add_u32 v15, v15, 23, v20
	v_or3_b32 v10, v14, v15, v10
.LBB24_316:
	s_or_b64 exec, exec, s[6:7]
	s_movk_i32 s4, 0x7f
	v_cmp_gt_i16_sdwa s[6:7], v11, s4 src0_sel:BYTE_3 src1_sel:DWORD
	s_mov_b64 s[4:5], 0
                                        ; implicit-def: $sgpr10
	s_and_saveexec_b64 s[8:9], s[6:7]
	s_xor_b64 s[6:7], exec, s[8:9]
	s_cbranch_execnz .LBB24_2365
; %bb.317:
	s_or_saveexec_b64 s[6:7], s[6:7]
	v_mov_b32_e32 v14, s10
	s_xor_b64 exec, exec, s[6:7]
	s_cbranch_execnz .LBB24_2368
.LBB24_318:
	s_or_b64 exec, exec, s[6:7]
	s_and_saveexec_b64 s[6:7], s[4:5]
	s_cbranch_execz .LBB24_320
.LBB24_319:
	v_bfe_u32 v14, v11, 24, 3
	v_ffbh_u32_e32 v22, v14
	v_min_u32_e32 v22, 32, v22
	v_lshrrev_b32_e32 v20, 27, v11
	v_subrev_u32_e32 v23, 28, v22
	v_and_b32_e32 v15, 0x80000000, v11
	v_and_b32_e32 v20, 15, v20
	v_bfe_u32 v21, v11, 27, 4
	v_lshlrev_b32_sdwa v11, v23, v11 dst_sel:DWORD dst_unused:UNUSED_PAD src0_sel:DWORD src1_sel:BYTE_3
	v_sub_u32_e32 v22, 29, v22
	v_and_b32_e32 v11, 7, v11
	v_cmp_eq_u16_e32 vcc, 0, v20
	v_cndmask_b32_e32 v11, v14, v11, vcc
	v_cndmask_b32_e32 v14, v21, v22, vcc
	v_mov_b32_e32 v20, 0x3b800000
	v_lshlrev_b32_e32 v11, 20, v11
	v_lshl_add_u32 v14, v14, 23, v20
	v_or3_b32 v14, v15, v14, v11
.LBB24_320:
	s_or_b64 exec, exec, s[6:7]
	s_nop 0
	v_mfma_f32_16x16x4f32 a[0:3], v10, v14, a[0:3]
	s_movk_i32 s4, 0x7f
	v_cmp_gt_i16_sdwa s[6:7], v16, s4 src0_sel:BYTE_0 src1_sel:DWORD
	s_mov_b64 s[4:5], 0
                                        ; implicit-def: $sgpr10
	s_and_saveexec_b64 s[8:9], s[6:7]
	s_xor_b64 s[6:7], exec, s[8:9]
	s_cbranch_execnz .LBB24_2369
; %bb.321:
	s_or_saveexec_b64 s[6:7], s[6:7]
	v_mov_b32_e32 v10, s10
	s_xor_b64 exec, exec, s[6:7]
	s_cbranch_execnz .LBB24_2372
.LBB24_322:
	s_or_b64 exec, exec, s[6:7]
	s_and_saveexec_b64 s[6:7], s[4:5]
	s_cbranch_execz .LBB24_324
.LBB24_323:
	v_and_b32_e32 v10, 7, v16
	v_ffbh_u32_e32 v14, v10
	v_min_u32_e32 v14, 32, v14
	v_lshrrev_b16_e32 v11, 3, v16
	v_subrev_u32_e32 v15, 28, v14
	v_and_b32_e32 v11, 15, v11
	v_lshlrev_b32_e32 v15, v15, v16
	v_sub_u32_e32 v14, 29, v14
	v_and_b32_e32 v15, 7, v15
	v_cmp_eq_u16_e32 vcc, 0, v11
	v_cndmask_b32_e32 v10, v10, v15, vcc
	v_cndmask_b32_e32 v11, v11, v14, vcc
	v_lshlrev_b32_e32 v14, 24, v16
	v_mov_b32_e32 v15, 0x3b800000
	v_lshlrev_b32_e32 v10, 20, v10
	v_and_b32_e32 v14, 0x80000000, v14
	v_lshl_add_u32 v11, v11, 23, v15
	v_or3_b32 v10, v14, v11, v10
.LBB24_324:
	s_or_b64 exec, exec, s[6:7]
	s_movk_i32 s4, 0x7f
	v_cmp_gt_i16_sdwa s[6:7], v12, s4 src0_sel:BYTE_0 src1_sel:DWORD
	s_mov_b64 s[4:5], 0
                                        ; implicit-def: $sgpr10
	s_and_saveexec_b64 s[8:9], s[6:7]
	s_xor_b64 s[6:7], exec, s[8:9]
	s_cbranch_execnz .LBB24_2373
; %bb.325:
	s_or_saveexec_b64 s[6:7], s[6:7]
	v_mov_b32_e32 v11, s10
	s_xor_b64 exec, exec, s[6:7]
	s_cbranch_execnz .LBB24_2376
.LBB24_326:
	s_or_b64 exec, exec, s[6:7]
	s_and_saveexec_b64 s[6:7], s[4:5]
	s_cbranch_execz .LBB24_328
.LBB24_327:
	v_and_b32_e32 v11, 7, v12
	v_ffbh_u32_e32 v15, v11
	v_min_u32_e32 v15, 32, v15
	v_lshrrev_b16_e32 v14, 3, v12
	v_subrev_u32_e32 v20, 28, v15
	v_and_b32_e32 v14, 15, v14
	v_lshlrev_b32_e32 v20, v20, v12
	v_sub_u32_e32 v15, 29, v15
	v_and_b32_e32 v20, 7, v20
	v_cmp_eq_u16_e32 vcc, 0, v14
	v_cndmask_b32_e32 v11, v11, v20, vcc
	v_cndmask_b32_e32 v14, v14, v15, vcc
	v_lshlrev_b32_e32 v15, 24, v12
	v_mov_b32_e32 v20, 0x3b800000
	v_lshlrev_b32_e32 v11, 20, v11
	v_and_b32_e32 v15, 0x80000000, v15
	v_lshl_add_u32 v14, v14, 23, v20
	v_or3_b32 v11, v15, v14, v11
.LBB24_328:
	s_or_b64 exec, exec, s[6:7]
	s_nop 0
	v_mfma_f32_16x16x4f32 a[0:3], v10, v11, a[0:3]
	v_lshrrev_b32_e32 v11, 8, v16
	s_movk_i32 s4, 0x7f
	v_cmp_gt_i16_sdwa s[6:7], v11, s4 src0_sel:BYTE_0 src1_sel:DWORD
	s_mov_b64 s[4:5], 0
                                        ; implicit-def: $sgpr10
	s_and_saveexec_b64 s[8:9], s[6:7]
	s_xor_b64 s[6:7], exec, s[8:9]
	s_cbranch_execnz .LBB24_2377
; %bb.329:
	s_or_saveexec_b64 s[6:7], s[6:7]
	v_mov_b32_e32 v10, s10
	s_xor_b64 exec, exec, s[6:7]
	s_cbranch_execnz .LBB24_2380
.LBB24_330:
	s_or_b64 exec, exec, s[6:7]
	s_and_saveexec_b64 s[6:7], s[4:5]
	s_cbranch_execz .LBB24_332
.LBB24_331:
	v_bfe_u32 v10, v16, 8, 3
	v_ffbh_u32_e32 v15, v10
	v_min_u32_e32 v15, 32, v15
	v_lshrrev_b16_e32 v14, 3, v11
	v_subrev_u32_e32 v20, 28, v15
	v_and_b32_e32 v14, 15, v14
	v_lshlrev_b32_e32 v11, v20, v11
	v_sub_u32_e32 v15, 29, v15
	v_and_b32_e32 v11, 7, v11
	v_cmp_eq_u16_e32 vcc, 0, v14
	v_cndmask_b32_e32 v10, v10, v11, vcc
	v_cndmask_b32_e32 v11, v14, v15, vcc
	v_lshlrev_b32_e32 v14, 16, v16
	v_mov_b32_e32 v15, 0x3b800000
	v_lshlrev_b32_e32 v10, 20, v10
	v_and_b32_e32 v14, 0x80000000, v14
	v_lshl_add_u32 v11, v11, 23, v15
	v_or3_b32 v10, v14, v11, v10
.LBB24_332:
	s_or_b64 exec, exec, s[6:7]
	v_lshrrev_b32_e32 v11, 8, v12
	s_movk_i32 s4, 0x7f
	v_cmp_gt_i16_sdwa s[6:7], v11, s4 src0_sel:BYTE_0 src1_sel:DWORD
	s_mov_b64 s[4:5], 0
                                        ; implicit-def: $sgpr10
	s_and_saveexec_b64 s[8:9], s[6:7]
	s_xor_b64 s[6:7], exec, s[8:9]
	s_cbranch_execnz .LBB24_2381
; %bb.333:
	s_or_saveexec_b64 s[6:7], s[6:7]
	v_mov_b32_e32 v14, s10
	s_xor_b64 exec, exec, s[6:7]
	s_cbranch_execnz .LBB24_2384
.LBB24_334:
	s_or_b64 exec, exec, s[6:7]
	s_and_saveexec_b64 s[6:7], s[4:5]
	s_cbranch_execz .LBB24_336
.LBB24_335:
	v_bfe_u32 v14, v12, 8, 3
	v_ffbh_u32_e32 v20, v14
	v_min_u32_e32 v20, 32, v20
	v_lshrrev_b16_e32 v15, 3, v11
	v_subrev_u32_e32 v21, 28, v20
	v_and_b32_e32 v15, 15, v15
	v_lshlrev_b32_e32 v11, v21, v11
	v_sub_u32_e32 v20, 29, v20
	v_and_b32_e32 v11, 7, v11
	v_cmp_eq_u16_e32 vcc, 0, v15
	v_cndmask_b32_e32 v11, v14, v11, vcc
	v_cndmask_b32_e32 v14, v15, v20, vcc
	v_lshlrev_b32_e32 v15, 16, v12
	v_mov_b32_e32 v20, 0x3b800000
	v_lshlrev_b32_e32 v11, 20, v11
	v_and_b32_e32 v15, 0x80000000, v15
	v_lshl_add_u32 v14, v14, 23, v20
	v_or3_b32 v14, v15, v14, v11
.LBB24_336:
	s_or_b64 exec, exec, s[6:7]
	s_nop 0
	v_mfma_f32_16x16x4f32 a[0:3], v10, v14, a[0:3]
	s_movk_i32 s4, 0xff
	v_and_b32_sdwa v11, v16, s4 dst_sel:DWORD dst_unused:UNUSED_PAD src0_sel:WORD_1 src1_sel:DWORD
	s_movk_i32 s4, 0x7f
	v_cmp_lt_i16_e32 vcc, s4, v11
	s_mov_b64 s[4:5], 0
                                        ; implicit-def: $sgpr10
	s_and_saveexec_b64 s[6:7], vcc
	s_xor_b64 s[6:7], exec, s[6:7]
	s_cbranch_execnz .LBB24_2385
; %bb.337:
	s_or_saveexec_b64 s[6:7], s[6:7]
	v_mov_b32_e32 v10, s10
	s_xor_b64 exec, exec, s[6:7]
	s_cbranch_execnz .LBB24_2388
.LBB24_338:
	s_or_b64 exec, exec, s[6:7]
	s_and_saveexec_b64 s[6:7], s[4:5]
	s_cbranch_execz .LBB24_340
.LBB24_339:
	v_bfe_u32 v10, v16, 16, 3
	v_ffbh_u32_e32 v15, v10
	v_min_u32_e32 v15, 32, v15
	v_lshrrev_b32_e32 v11, 19, v16
	v_subrev_u32_e32 v20, 28, v15
	v_and_b32_e32 v11, 15, v11
	v_lshlrev_b32_sdwa v20, v20, v16 dst_sel:DWORD dst_unused:UNUSED_PAD src0_sel:DWORD src1_sel:WORD_1
	v_bfe_u32 v14, v16, 19, 4
	v_sub_u32_e32 v15, 29, v15
	v_and_b32_e32 v20, 7, v20
	v_cmp_eq_u16_e32 vcc, 0, v11
	v_cndmask_b32_e32 v10, v10, v20, vcc
	v_cndmask_b32_e32 v11, v14, v15, vcc
	v_lshlrev_b32_e32 v14, 8, v16
	v_mov_b32_e32 v15, 0x3b800000
	v_lshlrev_b32_e32 v10, 20, v10
	v_and_b32_e32 v14, 0x80000000, v14
	v_lshl_add_u32 v11, v11, 23, v15
	v_or3_b32 v10, v14, v11, v10
.LBB24_340:
	s_or_b64 exec, exec, s[6:7]
	s_movk_i32 s4, 0xff
	v_and_b32_sdwa v11, v12, s4 dst_sel:DWORD dst_unused:UNUSED_PAD src0_sel:WORD_1 src1_sel:DWORD
	s_movk_i32 s4, 0x7f
	v_cmp_lt_i16_e32 vcc, s4, v11
	s_mov_b64 s[4:5], 0
                                        ; implicit-def: $sgpr10
	s_and_saveexec_b64 s[6:7], vcc
	s_xor_b64 s[6:7], exec, s[6:7]
	s_cbranch_execnz .LBB24_2389
; %bb.341:
	s_or_saveexec_b64 s[6:7], s[6:7]
	v_mov_b32_e32 v14, s10
	s_xor_b64 exec, exec, s[6:7]
	s_cbranch_execnz .LBB24_2392
.LBB24_342:
	s_or_b64 exec, exec, s[6:7]
	s_and_saveexec_b64 s[6:7], s[4:5]
	s_cbranch_execz .LBB24_344
.LBB24_343:
	v_bfe_u32 v11, v12, 16, 3
	v_ffbh_u32_e32 v20, v11
	v_min_u32_e32 v20, 32, v20
	v_lshrrev_b32_e32 v14, 19, v12
	v_subrev_u32_e32 v21, 28, v20
	v_and_b32_e32 v14, 15, v14
	v_lshlrev_b32_sdwa v21, v21, v12 dst_sel:DWORD dst_unused:UNUSED_PAD src0_sel:DWORD src1_sel:WORD_1
	v_bfe_u32 v15, v12, 19, 4
	v_sub_u32_e32 v20, 29, v20
	v_and_b32_e32 v21, 7, v21
	v_cmp_eq_u16_e32 vcc, 0, v14
	v_cndmask_b32_e32 v11, v11, v21, vcc
	v_cndmask_b32_e32 v14, v15, v20, vcc
	v_lshlrev_b32_e32 v15, 8, v12
	v_mov_b32_e32 v20, 0x3b800000
	v_lshlrev_b32_e32 v11, 20, v11
	v_and_b32_e32 v15, 0x80000000, v15
	v_lshl_add_u32 v14, v14, 23, v20
	v_or3_b32 v14, v15, v14, v11
.LBB24_344:
	s_or_b64 exec, exec, s[6:7]
	s_nop 0
	v_mfma_f32_16x16x4f32 a[0:3], v10, v14, a[0:3]
	s_movk_i32 s4, 0x7f
	v_cmp_gt_i16_sdwa s[6:7], v16, s4 src0_sel:BYTE_3 src1_sel:DWORD
	s_mov_b64 s[4:5], 0
                                        ; implicit-def: $sgpr10
	s_and_saveexec_b64 s[8:9], s[6:7]
	s_xor_b64 s[6:7], exec, s[8:9]
	s_cbranch_execnz .LBB24_2393
; %bb.345:
	s_or_saveexec_b64 s[6:7], s[6:7]
	v_mov_b32_e32 v10, s10
	s_xor_b64 exec, exec, s[6:7]
	s_cbranch_execnz .LBB24_2396
.LBB24_346:
	s_or_b64 exec, exec, s[6:7]
	s_and_saveexec_b64 s[6:7], s[4:5]
	s_cbranch_execz .LBB24_348
.LBB24_347:
	v_bfe_u32 v10, v16, 24, 3
	v_ffbh_u32_e32 v20, v10
	v_min_u32_e32 v20, 32, v20
	v_lshrrev_b32_e32 v14, 27, v16
	v_subrev_u32_e32 v21, 28, v20
	v_and_b32_e32 v11, 0x80000000, v16
	v_and_b32_e32 v14, 15, v14
	v_bfe_u32 v15, v16, 27, 4
	v_lshlrev_b32_sdwa v16, v21, v16 dst_sel:DWORD dst_unused:UNUSED_PAD src0_sel:DWORD src1_sel:BYTE_3
	v_sub_u32_e32 v20, 29, v20
	v_and_b32_e32 v16, 7, v16
	v_cmp_eq_u16_e32 vcc, 0, v14
	v_cndmask_b32_e32 v10, v10, v16, vcc
	v_cndmask_b32_e32 v14, v15, v20, vcc
	v_mov_b32_e32 v15, 0x3b800000
	v_lshlrev_b32_e32 v10, 20, v10
	v_lshl_add_u32 v14, v14, 23, v15
	v_or3_b32 v10, v11, v14, v10
.LBB24_348:
	s_or_b64 exec, exec, s[6:7]
	s_movk_i32 s4, 0x7f
	v_cmp_gt_i16_sdwa s[6:7], v12, s4 src0_sel:BYTE_3 src1_sel:DWORD
	s_mov_b64 s[4:5], 0
                                        ; implicit-def: $sgpr10
	s_and_saveexec_b64 s[8:9], s[6:7]
	s_xor_b64 s[6:7], exec, s[8:9]
	s_cbranch_execnz .LBB24_2397
; %bb.349:
	s_or_saveexec_b64 s[6:7], s[6:7]
	v_mov_b32_e32 v11, s10
	s_xor_b64 exec, exec, s[6:7]
	s_cbranch_execnz .LBB24_2400
.LBB24_350:
	s_or_b64 exec, exec, s[6:7]
	s_and_saveexec_b64 s[6:7], s[4:5]
	s_cbranch_execz .LBB24_352
.LBB24_351:
	v_bfe_u32 v11, v12, 24, 3
	v_ffbh_u32_e32 v20, v11
	v_min_u32_e32 v20, 32, v20
	v_lshrrev_b32_e32 v15, 27, v12
	v_subrev_u32_e32 v21, 28, v20
	v_and_b32_e32 v14, 0x80000000, v12
	v_and_b32_e32 v15, 15, v15
	v_bfe_u32 v16, v12, 27, 4
	v_lshlrev_b32_sdwa v12, v21, v12 dst_sel:DWORD dst_unused:UNUSED_PAD src0_sel:DWORD src1_sel:BYTE_3
	v_sub_u32_e32 v20, 29, v20
	v_and_b32_e32 v12, 7, v12
	v_cmp_eq_u16_e32 vcc, 0, v15
	v_cndmask_b32_e32 v11, v11, v12, vcc
	v_cndmask_b32_e32 v12, v16, v20, vcc
	v_mov_b32_e32 v15, 0x3b800000
	v_lshlrev_b32_e32 v11, 20, v11
	v_lshl_add_u32 v12, v12, 23, v15
	v_or3_b32 v11, v14, v12, v11
.LBB24_352:
	s_or_b64 exec, exec, s[6:7]
	s_nop 0
	v_mfma_f32_16x16x4f32 a[0:3], v10, v11, a[0:3]
	s_movk_i32 s4, 0x7f
	v_cmp_gt_i16_sdwa s[6:7], v17, s4 src0_sel:BYTE_0 src1_sel:DWORD
	s_mov_b64 s[4:5], 0
                                        ; implicit-def: $sgpr10
	s_and_saveexec_b64 s[8:9], s[6:7]
	s_xor_b64 s[6:7], exec, s[8:9]
	s_cbranch_execnz .LBB24_2401
; %bb.353:
	s_or_saveexec_b64 s[6:7], s[6:7]
	v_mov_b32_e32 v10, s10
	s_xor_b64 exec, exec, s[6:7]
	s_cbranch_execnz .LBB24_2404
.LBB24_354:
	s_or_b64 exec, exec, s[6:7]
	s_and_saveexec_b64 s[6:7], s[4:5]
	s_cbranch_execz .LBB24_356
.LBB24_355:
	v_and_b32_e32 v10, 7, v17
	v_ffbh_u32_e32 v12, v10
	v_min_u32_e32 v12, 32, v12
	v_lshrrev_b16_e32 v11, 3, v17
	v_subrev_u32_e32 v14, 28, v12
	v_and_b32_e32 v11, 15, v11
	v_lshlrev_b32_e32 v14, v14, v17
	v_sub_u32_e32 v12, 29, v12
	v_and_b32_e32 v14, 7, v14
	v_cmp_eq_u16_e32 vcc, 0, v11
	v_cndmask_b32_e32 v10, v10, v14, vcc
	v_cndmask_b32_e32 v11, v11, v12, vcc
	v_lshlrev_b32_e32 v12, 24, v17
	v_mov_b32_e32 v14, 0x3b800000
	v_lshlrev_b32_e32 v10, 20, v10
	v_and_b32_e32 v12, 0x80000000, v12
	v_lshl_add_u32 v11, v11, 23, v14
	v_or3_b32 v10, v12, v11, v10
.LBB24_356:
	s_or_b64 exec, exec, s[6:7]
	s_movk_i32 s4, 0x7f
	v_cmp_gt_i16_sdwa s[6:7], v13, s4 src0_sel:BYTE_0 src1_sel:DWORD
	s_mov_b64 s[4:5], 0
                                        ; implicit-def: $sgpr10
	s_and_saveexec_b64 s[8:9], s[6:7]
	s_xor_b64 s[6:7], exec, s[8:9]
	s_cbranch_execnz .LBB24_2405
; %bb.357:
	s_or_saveexec_b64 s[6:7], s[6:7]
	v_mov_b32_e32 v11, s10
	s_xor_b64 exec, exec, s[6:7]
	s_cbranch_execnz .LBB24_2408
.LBB24_358:
	s_or_b64 exec, exec, s[6:7]
	s_and_saveexec_b64 s[6:7], s[4:5]
	s_cbranch_execz .LBB24_360
.LBB24_359:
	v_and_b32_e32 v11, 7, v13
	v_ffbh_u32_e32 v14, v11
	v_min_u32_e32 v14, 32, v14
	v_lshrrev_b16_e32 v12, 3, v13
	v_subrev_u32_e32 v15, 28, v14
	v_and_b32_e32 v12, 15, v12
	v_lshlrev_b32_e32 v15, v15, v13
	v_sub_u32_e32 v14, 29, v14
	v_and_b32_e32 v15, 7, v15
	v_cmp_eq_u16_e32 vcc, 0, v12
	v_cndmask_b32_e32 v11, v11, v15, vcc
	v_cndmask_b32_e32 v12, v12, v14, vcc
	v_lshlrev_b32_e32 v14, 24, v13
	v_mov_b32_e32 v15, 0x3b800000
	v_lshlrev_b32_e32 v11, 20, v11
	v_and_b32_e32 v14, 0x80000000, v14
	v_lshl_add_u32 v12, v12, 23, v15
	v_or3_b32 v11, v14, v12, v11
.LBB24_360:
	s_or_b64 exec, exec, s[6:7]
	s_nop 0
	v_mfma_f32_16x16x4f32 a[0:3], v10, v11, a[0:3]
	v_lshrrev_b32_e32 v11, 8, v17
	s_movk_i32 s4, 0x7f
	v_cmp_gt_i16_sdwa s[6:7], v11, s4 src0_sel:BYTE_0 src1_sel:DWORD
	s_mov_b64 s[4:5], 0
                                        ; implicit-def: $sgpr10
	s_and_saveexec_b64 s[8:9], s[6:7]
	s_xor_b64 s[6:7], exec, s[8:9]
	s_cbranch_execnz .LBB24_2409
; %bb.361:
	s_or_saveexec_b64 s[6:7], s[6:7]
	v_mov_b32_e32 v10, s10
	s_xor_b64 exec, exec, s[6:7]
	s_cbranch_execnz .LBB24_2412
.LBB24_362:
	s_or_b64 exec, exec, s[6:7]
	s_and_saveexec_b64 s[6:7], s[4:5]
	s_cbranch_execz .LBB24_364
.LBB24_363:
	v_bfe_u32 v10, v17, 8, 3
	v_ffbh_u32_e32 v14, v10
	v_min_u32_e32 v14, 32, v14
	v_lshrrev_b16_e32 v12, 3, v11
	v_subrev_u32_e32 v15, 28, v14
	v_and_b32_e32 v12, 15, v12
	v_lshlrev_b32_e32 v11, v15, v11
	v_sub_u32_e32 v14, 29, v14
	v_and_b32_e32 v11, 7, v11
	v_cmp_eq_u16_e32 vcc, 0, v12
	v_cndmask_b32_e32 v10, v10, v11, vcc
	v_cndmask_b32_e32 v11, v12, v14, vcc
	v_lshlrev_b32_e32 v12, 16, v17
	v_mov_b32_e32 v14, 0x3b800000
	v_lshlrev_b32_e32 v10, 20, v10
	v_and_b32_e32 v12, 0x80000000, v12
	v_lshl_add_u32 v11, v11, 23, v14
	v_or3_b32 v10, v12, v11, v10
.LBB24_364:
	s_or_b64 exec, exec, s[6:7]
	v_lshrrev_b32_e32 v11, 8, v13
	s_movk_i32 s4, 0x7f
	v_cmp_gt_i16_sdwa s[6:7], v11, s4 src0_sel:BYTE_0 src1_sel:DWORD
	s_mov_b64 s[4:5], 0
                                        ; implicit-def: $sgpr10
	s_and_saveexec_b64 s[8:9], s[6:7]
	s_xor_b64 s[6:7], exec, s[8:9]
	s_cbranch_execnz .LBB24_2413
; %bb.365:
	s_or_saveexec_b64 s[6:7], s[6:7]
	v_mov_b32_e32 v12, s10
	s_xor_b64 exec, exec, s[6:7]
	s_cbranch_execnz .LBB24_2416
.LBB24_366:
	s_or_b64 exec, exec, s[6:7]
	s_and_saveexec_b64 s[6:7], s[4:5]
	s_cbranch_execz .LBB24_368
.LBB24_367:
	v_bfe_u32 v12, v13, 8, 3
	v_ffbh_u32_e32 v15, v12
	v_min_u32_e32 v15, 32, v15
	v_lshrrev_b16_e32 v14, 3, v11
	v_subrev_u32_e32 v16, 28, v15
	v_and_b32_e32 v14, 15, v14
	v_lshlrev_b32_e32 v11, v16, v11
	v_sub_u32_e32 v15, 29, v15
	v_and_b32_e32 v11, 7, v11
	v_cmp_eq_u16_e32 vcc, 0, v14
	v_cndmask_b32_e32 v11, v12, v11, vcc
	v_cndmask_b32_e32 v12, v14, v15, vcc
	v_lshlrev_b32_e32 v14, 16, v13
	v_mov_b32_e32 v15, 0x3b800000
	v_lshlrev_b32_e32 v11, 20, v11
	v_and_b32_e32 v14, 0x80000000, v14
	v_lshl_add_u32 v12, v12, 23, v15
	v_or3_b32 v12, v14, v12, v11
.LBB24_368:
	s_or_b64 exec, exec, s[6:7]
	s_nop 0
	v_mfma_f32_16x16x4f32 a[0:3], v10, v12, a[0:3]
	s_movk_i32 s4, 0xff
	v_and_b32_sdwa v11, v17, s4 dst_sel:DWORD dst_unused:UNUSED_PAD src0_sel:WORD_1 src1_sel:DWORD
	s_movk_i32 s4, 0x7f
	v_cmp_lt_i16_e32 vcc, s4, v11
	s_mov_b64 s[4:5], 0
                                        ; implicit-def: $sgpr10
	s_and_saveexec_b64 s[6:7], vcc
	s_xor_b64 s[6:7], exec, s[6:7]
	s_cbranch_execnz .LBB24_2417
; %bb.369:
	s_or_saveexec_b64 s[6:7], s[6:7]
	v_mov_b32_e32 v10, s10
	s_xor_b64 exec, exec, s[6:7]
	s_cbranch_execnz .LBB24_2420
.LBB24_370:
	s_or_b64 exec, exec, s[6:7]
	s_and_saveexec_b64 s[6:7], s[4:5]
	s_cbranch_execz .LBB24_372
.LBB24_371:
	v_bfe_u32 v10, v17, 16, 3
	v_ffbh_u32_e32 v14, v10
	v_min_u32_e32 v14, 32, v14
	v_lshrrev_b32_e32 v11, 19, v17
	v_subrev_u32_e32 v15, 28, v14
	v_and_b32_e32 v11, 15, v11
	v_lshlrev_b32_sdwa v15, v15, v17 dst_sel:DWORD dst_unused:UNUSED_PAD src0_sel:DWORD src1_sel:WORD_1
	v_bfe_u32 v12, v17, 19, 4
	v_sub_u32_e32 v14, 29, v14
	v_and_b32_e32 v15, 7, v15
	v_cmp_eq_u16_e32 vcc, 0, v11
	v_cndmask_b32_e32 v10, v10, v15, vcc
	v_cndmask_b32_e32 v11, v12, v14, vcc
	v_lshlrev_b32_e32 v12, 8, v17
	v_mov_b32_e32 v14, 0x3b800000
	v_lshlrev_b32_e32 v10, 20, v10
	v_and_b32_e32 v12, 0x80000000, v12
	v_lshl_add_u32 v11, v11, 23, v14
	v_or3_b32 v10, v12, v11, v10
.LBB24_372:
	s_or_b64 exec, exec, s[6:7]
	s_movk_i32 s4, 0xff
	v_and_b32_sdwa v11, v13, s4 dst_sel:DWORD dst_unused:UNUSED_PAD src0_sel:WORD_1 src1_sel:DWORD
	s_movk_i32 s4, 0x7f
	v_cmp_lt_i16_e32 vcc, s4, v11
	s_mov_b64 s[4:5], 0
                                        ; implicit-def: $sgpr10
	s_and_saveexec_b64 s[6:7], vcc
	s_xor_b64 s[6:7], exec, s[6:7]
	s_cbranch_execnz .LBB24_2421
; %bb.373:
	s_or_saveexec_b64 s[6:7], s[6:7]
	v_mov_b32_e32 v12, s10
	s_xor_b64 exec, exec, s[6:7]
	s_cbranch_execnz .LBB24_2424
.LBB24_374:
	s_or_b64 exec, exec, s[6:7]
	s_and_saveexec_b64 s[6:7], s[4:5]
	s_cbranch_execz .LBB24_376
.LBB24_375:
	v_bfe_u32 v11, v13, 16, 3
	v_ffbh_u32_e32 v15, v11
	v_min_u32_e32 v15, 32, v15
	v_lshrrev_b32_e32 v12, 19, v13
	v_subrev_u32_e32 v16, 28, v15
	v_and_b32_e32 v12, 15, v12
	v_lshlrev_b32_sdwa v16, v16, v13 dst_sel:DWORD dst_unused:UNUSED_PAD src0_sel:DWORD src1_sel:WORD_1
	v_bfe_u32 v14, v13, 19, 4
	v_sub_u32_e32 v15, 29, v15
	v_and_b32_e32 v16, 7, v16
	v_cmp_eq_u16_e32 vcc, 0, v12
	v_cndmask_b32_e32 v11, v11, v16, vcc
	v_cndmask_b32_e32 v12, v14, v15, vcc
	v_lshlrev_b32_e32 v14, 8, v13
	v_mov_b32_e32 v15, 0x3b800000
	v_lshlrev_b32_e32 v11, 20, v11
	v_and_b32_e32 v14, 0x80000000, v14
	v_lshl_add_u32 v12, v12, 23, v15
	v_or3_b32 v12, v14, v12, v11
.LBB24_376:
	s_or_b64 exec, exec, s[6:7]
	s_nop 0
	v_mfma_f32_16x16x4f32 a[0:3], v10, v12, a[0:3]
	s_movk_i32 s4, 0x7f
	v_cmp_gt_i16_sdwa s[6:7], v17, s4 src0_sel:BYTE_3 src1_sel:DWORD
	s_mov_b64 s[4:5], 0
                                        ; implicit-def: $sgpr10
	s_and_saveexec_b64 s[8:9], s[6:7]
	s_xor_b64 s[6:7], exec, s[8:9]
	s_cbranch_execnz .LBB24_2425
; %bb.377:
	s_or_saveexec_b64 s[6:7], s[6:7]
	v_mov_b32_e32 v10, s10
	s_xor_b64 exec, exec, s[6:7]
	s_cbranch_execnz .LBB24_2428
.LBB24_378:
	s_or_b64 exec, exec, s[6:7]
	s_and_saveexec_b64 s[6:7], s[4:5]
	s_cbranch_execz .LBB24_380
.LBB24_379:
	v_bfe_u32 v10, v17, 24, 3
	v_ffbh_u32_e32 v15, v10
	v_min_u32_e32 v15, 32, v15
	v_lshrrev_b32_e32 v12, 27, v17
	v_subrev_u32_e32 v16, 28, v15
	v_and_b32_e32 v12, 15, v12
	v_lshlrev_b32_sdwa v16, v16, v17 dst_sel:DWORD dst_unused:UNUSED_PAD src0_sel:DWORD src1_sel:BYTE_3
	v_bfe_u32 v14, v17, 27, 4
	v_sub_u32_e32 v15, 29, v15
	v_and_b32_e32 v16, 7, v16
	v_cmp_eq_u16_e32 vcc, 0, v12
	v_cndmask_b32_e32 v10, v10, v16, vcc
	v_cndmask_b32_e32 v12, v14, v15, vcc
	v_mov_b32_e32 v14, 0x3b800000
	v_and_b32_e32 v11, 0x80000000, v17
	v_lshlrev_b32_e32 v10, 20, v10
	v_lshl_add_u32 v12, v12, 23, v14
	v_or3_b32 v10, v11, v12, v10
.LBB24_380:
	s_or_b64 exec, exec, s[6:7]
	s_movk_i32 s4, 0x7f
	v_cmp_gt_i16_sdwa s[6:7], v13, s4 src0_sel:BYTE_3 src1_sel:DWORD
	s_mov_b64 s[4:5], 0
                                        ; implicit-def: $sgpr10
	s_and_saveexec_b64 s[8:9], s[6:7]
	s_xor_b64 s[6:7], exec, s[8:9]
	s_cbranch_execnz .LBB24_2429
; %bb.381:
	s_or_saveexec_b64 s[6:7], s[6:7]
	v_mov_b32_e32 v11, s10
	s_xor_b64 exec, exec, s[6:7]
	s_cbranch_execnz .LBB24_2432
.LBB24_382:
	s_or_b64 exec, exec, s[6:7]
	s_and_saveexec_b64 s[6:7], s[4:5]
	s_cbranch_execz .LBB24_384
.LBB24_383:
	v_bfe_u32 v11, v13, 24, 3
	v_ffbh_u32_e32 v16, v11
	v_min_u32_e32 v16, 32, v16
	v_lshrrev_b32_e32 v14, 27, v13
	v_subrev_u32_e32 v17, 28, v16
	v_and_b32_e32 v12, 0x80000000, v13
	v_and_b32_e32 v14, 15, v14
	v_bfe_u32 v15, v13, 27, 4
	v_lshlrev_b32_sdwa v13, v17, v13 dst_sel:DWORD dst_unused:UNUSED_PAD src0_sel:DWORD src1_sel:BYTE_3
	v_sub_u32_e32 v16, 29, v16
	v_and_b32_e32 v13, 7, v13
	v_cmp_eq_u16_e32 vcc, 0, v14
	v_cndmask_b32_e32 v11, v11, v13, vcc
	v_cndmask_b32_e32 v13, v15, v16, vcc
	v_mov_b32_e32 v14, 0x3b800000
	v_lshlrev_b32_e32 v11, 20, v11
	v_lshl_add_u32 v13, v13, 23, v14
	v_or3_b32 v11, v12, v13, v11
.LBB24_384:
	s_or_b64 exec, exec, s[6:7]
	s_nop 0
	v_mfma_f32_16x16x4f32 a[0:3], v10, v11, a[0:3]
	s_movk_i32 s4, 0x7f
	v_cmp_gt_i16_sdwa s[6:7], v6, s4 src0_sel:BYTE_0 src1_sel:DWORD
	s_mov_b64 s[4:5], 0
                                        ; implicit-def: $sgpr10
	s_and_saveexec_b64 s[8:9], s[6:7]
	s_xor_b64 s[6:7], exec, s[8:9]
	s_cbranch_execnz .LBB24_2433
; %bb.385:
	s_or_saveexec_b64 s[6:7], s[6:7]
	v_mov_b32_e32 v10, s10
	s_xor_b64 exec, exec, s[6:7]
	s_cbranch_execnz .LBB24_2436
.LBB24_386:
	s_or_b64 exec, exec, s[6:7]
	s_and_saveexec_b64 s[6:7], s[4:5]
	s_cbranch_execz .LBB24_388
.LBB24_387:
	v_and_b32_e32 v10, 7, v6
	v_ffbh_u32_e32 v12, v10
	v_min_u32_e32 v12, 32, v12
	v_lshrrev_b16_e32 v11, 3, v6
	v_subrev_u32_e32 v13, 28, v12
	v_and_b32_e32 v11, 15, v11
	v_lshlrev_b32_e32 v13, v13, v6
	v_sub_u32_e32 v12, 29, v12
	v_and_b32_e32 v13, 7, v13
	v_cmp_eq_u16_e32 vcc, 0, v11
	v_cndmask_b32_e32 v10, v10, v13, vcc
	v_cndmask_b32_e32 v11, v11, v12, vcc
	v_lshlrev_b32_e32 v12, 24, v6
	v_mov_b32_e32 v13, 0x3b800000
	v_lshlrev_b32_e32 v10, 20, v10
	v_and_b32_e32 v12, 0x80000000, v12
	v_lshl_add_u32 v11, v11, 23, v13
	v_or3_b32 v10, v12, v11, v10
.LBB24_388:
	s_or_b64 exec, exec, s[6:7]
	s_movk_i32 s4, 0x7f
	v_cmp_gt_i16_sdwa s[6:7], v2, s4 src0_sel:BYTE_0 src1_sel:DWORD
	s_mov_b64 s[4:5], 0
                                        ; implicit-def: $sgpr10
	s_and_saveexec_b64 s[8:9], s[6:7]
	s_xor_b64 s[6:7], exec, s[8:9]
	s_cbranch_execnz .LBB24_2437
; %bb.389:
	s_or_saveexec_b64 s[6:7], s[6:7]
	v_mov_b32_e32 v11, s10
	s_xor_b64 exec, exec, s[6:7]
	s_cbranch_execnz .LBB24_2440
.LBB24_390:
	s_or_b64 exec, exec, s[6:7]
	s_and_saveexec_b64 s[6:7], s[4:5]
	s_cbranch_execz .LBB24_392
.LBB24_391:
	v_and_b32_e32 v11, 7, v2
	v_ffbh_u32_e32 v13, v11
	v_min_u32_e32 v13, 32, v13
	v_lshrrev_b16_e32 v12, 3, v2
	v_subrev_u32_e32 v14, 28, v13
	v_and_b32_e32 v12, 15, v12
	v_lshlrev_b32_e32 v14, v14, v2
	v_sub_u32_e32 v13, 29, v13
	v_and_b32_e32 v14, 7, v14
	v_cmp_eq_u16_e32 vcc, 0, v12
	v_cndmask_b32_e32 v11, v11, v14, vcc
	v_cndmask_b32_e32 v12, v12, v13, vcc
	v_lshlrev_b32_e32 v13, 24, v2
	v_mov_b32_e32 v14, 0x3b800000
	v_lshlrev_b32_e32 v11, 20, v11
	v_and_b32_e32 v13, 0x80000000, v13
	v_lshl_add_u32 v12, v12, 23, v14
	v_or3_b32 v11, v13, v12, v11
.LBB24_392:
	s_or_b64 exec, exec, s[6:7]
	s_nop 0
	v_mfma_f32_16x16x4f32 a[0:3], v10, v11, a[0:3]
	v_lshrrev_b32_e32 v11, 8, v6
	s_movk_i32 s4, 0x7f
	v_cmp_gt_i16_sdwa s[6:7], v11, s4 src0_sel:BYTE_0 src1_sel:DWORD
	s_mov_b64 s[4:5], 0
                                        ; implicit-def: $sgpr10
	s_and_saveexec_b64 s[8:9], s[6:7]
	s_xor_b64 s[6:7], exec, s[8:9]
	s_cbranch_execnz .LBB24_2441
; %bb.393:
	s_or_saveexec_b64 s[6:7], s[6:7]
	v_mov_b32_e32 v10, s10
	s_xor_b64 exec, exec, s[6:7]
	s_cbranch_execnz .LBB24_2444
.LBB24_394:
	s_or_b64 exec, exec, s[6:7]
	s_and_saveexec_b64 s[6:7], s[4:5]
	s_cbranch_execz .LBB24_396
.LBB24_395:
	v_bfe_u32 v10, v6, 8, 3
	v_ffbh_u32_e32 v13, v10
	v_min_u32_e32 v13, 32, v13
	v_lshrrev_b16_e32 v12, 3, v11
	v_subrev_u32_e32 v14, 28, v13
	v_and_b32_e32 v12, 15, v12
	v_lshlrev_b32_e32 v11, v14, v11
	v_sub_u32_e32 v13, 29, v13
	v_and_b32_e32 v11, 7, v11
	v_cmp_eq_u16_e32 vcc, 0, v12
	v_cndmask_b32_e32 v10, v10, v11, vcc
	v_cndmask_b32_e32 v11, v12, v13, vcc
	v_lshlrev_b32_e32 v12, 16, v6
	v_mov_b32_e32 v13, 0x3b800000
	v_lshlrev_b32_e32 v10, 20, v10
	v_and_b32_e32 v12, 0x80000000, v12
	v_lshl_add_u32 v11, v11, 23, v13
	v_or3_b32 v10, v12, v11, v10
.LBB24_396:
	s_or_b64 exec, exec, s[6:7]
	v_lshrrev_b32_e32 v11, 8, v2
	s_movk_i32 s4, 0x7f
	v_cmp_gt_i16_sdwa s[6:7], v11, s4 src0_sel:BYTE_0 src1_sel:DWORD
	s_mov_b64 s[4:5], 0
                                        ; implicit-def: $sgpr10
	s_and_saveexec_b64 s[8:9], s[6:7]
	s_xor_b64 s[6:7], exec, s[8:9]
	s_cbranch_execnz .LBB24_2445
; %bb.397:
	s_or_saveexec_b64 s[6:7], s[6:7]
	v_mov_b32_e32 v12, s10
	s_xor_b64 exec, exec, s[6:7]
	s_cbranch_execnz .LBB24_2448
.LBB24_398:
	s_or_b64 exec, exec, s[6:7]
	s_and_saveexec_b64 s[6:7], s[4:5]
	s_cbranch_execz .LBB24_400
.LBB24_399:
	v_bfe_u32 v12, v2, 8, 3
	v_ffbh_u32_e32 v14, v12
	v_min_u32_e32 v14, 32, v14
	v_lshrrev_b16_e32 v13, 3, v11
	v_subrev_u32_e32 v15, 28, v14
	v_and_b32_e32 v13, 15, v13
	v_lshlrev_b32_e32 v11, v15, v11
	v_sub_u32_e32 v14, 29, v14
	v_and_b32_e32 v11, 7, v11
	v_cmp_eq_u16_e32 vcc, 0, v13
	v_cndmask_b32_e32 v11, v12, v11, vcc
	v_cndmask_b32_e32 v12, v13, v14, vcc
	v_lshlrev_b32_e32 v13, 16, v2
	v_mov_b32_e32 v14, 0x3b800000
	v_lshlrev_b32_e32 v11, 20, v11
	v_and_b32_e32 v13, 0x80000000, v13
	v_lshl_add_u32 v12, v12, 23, v14
	v_or3_b32 v12, v13, v12, v11
.LBB24_400:
	s_or_b64 exec, exec, s[6:7]
	s_nop 0
	v_mfma_f32_16x16x4f32 a[0:3], v10, v12, a[0:3]
	s_movk_i32 s4, 0xff
	v_and_b32_sdwa v11, v6, s4 dst_sel:DWORD dst_unused:UNUSED_PAD src0_sel:WORD_1 src1_sel:DWORD
	s_movk_i32 s4, 0x7f
	v_cmp_lt_i16_e32 vcc, s4, v11
	s_mov_b64 s[4:5], 0
                                        ; implicit-def: $sgpr10
	s_and_saveexec_b64 s[6:7], vcc
	s_xor_b64 s[6:7], exec, s[6:7]
	s_cbranch_execnz .LBB24_2449
; %bb.401:
	s_or_saveexec_b64 s[6:7], s[6:7]
	v_mov_b32_e32 v10, s10
	s_xor_b64 exec, exec, s[6:7]
	s_cbranch_execnz .LBB24_2452
.LBB24_402:
	s_or_b64 exec, exec, s[6:7]
	s_and_saveexec_b64 s[6:7], s[4:5]
	s_cbranch_execz .LBB24_404
.LBB24_403:
	v_bfe_u32 v10, v6, 16, 3
	v_ffbh_u32_e32 v13, v10
	v_min_u32_e32 v13, 32, v13
	v_lshrrev_b32_e32 v11, 19, v6
	v_subrev_u32_e32 v14, 28, v13
	v_and_b32_e32 v11, 15, v11
	v_lshlrev_b32_sdwa v14, v14, v6 dst_sel:DWORD dst_unused:UNUSED_PAD src0_sel:DWORD src1_sel:WORD_1
	v_bfe_u32 v12, v6, 19, 4
	v_sub_u32_e32 v13, 29, v13
	v_and_b32_e32 v14, 7, v14
	v_cmp_eq_u16_e32 vcc, 0, v11
	v_cndmask_b32_e32 v10, v10, v14, vcc
	v_cndmask_b32_e32 v11, v12, v13, vcc
	v_lshlrev_b32_e32 v12, 8, v6
	v_mov_b32_e32 v13, 0x3b800000
	v_lshlrev_b32_e32 v10, 20, v10
	v_and_b32_e32 v12, 0x80000000, v12
	v_lshl_add_u32 v11, v11, 23, v13
	v_or3_b32 v10, v12, v11, v10
.LBB24_404:
	s_or_b64 exec, exec, s[6:7]
	s_movk_i32 s4, 0xff
	v_and_b32_sdwa v11, v2, s4 dst_sel:DWORD dst_unused:UNUSED_PAD src0_sel:WORD_1 src1_sel:DWORD
	s_movk_i32 s4, 0x7f
	v_cmp_lt_i16_e32 vcc, s4, v11
	s_mov_b64 s[4:5], 0
                                        ; implicit-def: $sgpr10
	s_and_saveexec_b64 s[6:7], vcc
	s_xor_b64 s[6:7], exec, s[6:7]
	s_cbranch_execnz .LBB24_2453
; %bb.405:
	s_or_saveexec_b64 s[6:7], s[6:7]
	v_mov_b32_e32 v12, s10
	s_xor_b64 exec, exec, s[6:7]
	s_cbranch_execnz .LBB24_2456
.LBB24_406:
	s_or_b64 exec, exec, s[6:7]
	s_and_saveexec_b64 s[6:7], s[4:5]
	s_cbranch_execz .LBB24_408
.LBB24_407:
	v_bfe_u32 v11, v2, 16, 3
	v_ffbh_u32_e32 v14, v11
	v_min_u32_e32 v14, 32, v14
	v_lshrrev_b32_e32 v12, 19, v2
	v_subrev_u32_e32 v15, 28, v14
	v_and_b32_e32 v12, 15, v12
	v_lshlrev_b32_sdwa v15, v15, v2 dst_sel:DWORD dst_unused:UNUSED_PAD src0_sel:DWORD src1_sel:WORD_1
	v_bfe_u32 v13, v2, 19, 4
	v_sub_u32_e32 v14, 29, v14
	v_and_b32_e32 v15, 7, v15
	v_cmp_eq_u16_e32 vcc, 0, v12
	v_cndmask_b32_e32 v11, v11, v15, vcc
	v_cndmask_b32_e32 v12, v13, v14, vcc
	v_lshlrev_b32_e32 v13, 8, v2
	v_mov_b32_e32 v14, 0x3b800000
	v_lshlrev_b32_e32 v11, 20, v11
	v_and_b32_e32 v13, 0x80000000, v13
	v_lshl_add_u32 v12, v12, 23, v14
	v_or3_b32 v12, v13, v12, v11
.LBB24_408:
	s_or_b64 exec, exec, s[6:7]
	s_nop 0
	v_mfma_f32_16x16x4f32 a[0:3], v10, v12, a[0:3]
	s_movk_i32 s4, 0x7f
	v_cmp_gt_i16_sdwa s[6:7], v6, s4 src0_sel:BYTE_3 src1_sel:DWORD
	s_mov_b64 s[4:5], 0
                                        ; implicit-def: $sgpr10
	s_and_saveexec_b64 s[8:9], s[6:7]
	s_xor_b64 s[6:7], exec, s[8:9]
	s_cbranch_execnz .LBB24_2457
; %bb.409:
	s_or_saveexec_b64 s[6:7], s[6:7]
	v_mov_b32_e32 v10, s10
	s_xor_b64 exec, exec, s[6:7]
	s_cbranch_execnz .LBB24_2460
.LBB24_410:
	s_or_b64 exec, exec, s[6:7]
	s_and_saveexec_b64 s[6:7], s[4:5]
	s_cbranch_execz .LBB24_412
.LBB24_411:
	v_bfe_u32 v10, v6, 24, 3
	v_ffbh_u32_e32 v14, v10
	v_min_u32_e32 v14, 32, v14
	v_lshrrev_b32_e32 v12, 27, v6
	v_subrev_u32_e32 v15, 28, v14
	v_and_b32_e32 v11, 0x80000000, v6
	v_and_b32_e32 v12, 15, v12
	v_bfe_u32 v13, v6, 27, 4
	v_lshlrev_b32_sdwa v6, v15, v6 dst_sel:DWORD dst_unused:UNUSED_PAD src0_sel:DWORD src1_sel:BYTE_3
	v_sub_u32_e32 v14, 29, v14
	v_and_b32_e32 v6, 7, v6
	v_cmp_eq_u16_e32 vcc, 0, v12
	v_cndmask_b32_e32 v6, v10, v6, vcc
	v_cndmask_b32_e32 v10, v13, v14, vcc
	v_mov_b32_e32 v12, 0x3b800000
	v_lshlrev_b32_e32 v6, 20, v6
	v_lshl_add_u32 v10, v10, 23, v12
	v_or3_b32 v10, v11, v10, v6
.LBB24_412:
	s_or_b64 exec, exec, s[6:7]
	s_movk_i32 s4, 0x7f
	v_cmp_gt_i16_sdwa s[6:7], v2, s4 src0_sel:BYTE_3 src1_sel:DWORD
	s_mov_b64 s[4:5], 0
                                        ; implicit-def: $sgpr10
	s_and_saveexec_b64 s[8:9], s[6:7]
	s_xor_b64 s[6:7], exec, s[8:9]
	s_cbranch_execnz .LBB24_2461
; %bb.413:
	s_or_saveexec_b64 s[6:7], s[6:7]
	v_mov_b32_e32 v6, s10
	s_xor_b64 exec, exec, s[6:7]
	s_cbranch_execnz .LBB24_2464
.LBB24_414:
	s_or_b64 exec, exec, s[6:7]
	s_and_saveexec_b64 s[6:7], s[4:5]
	s_cbranch_execz .LBB24_416
.LBB24_415:
	v_bfe_u32 v6, v2, 24, 3
	v_ffbh_u32_e32 v14, v6
	v_min_u32_e32 v14, 32, v14
	v_lshrrev_b32_e32 v12, 27, v2
	v_subrev_u32_e32 v15, 28, v14
	v_and_b32_e32 v11, 0x80000000, v2
	v_and_b32_e32 v12, 15, v12
	v_bfe_u32 v13, v2, 27, 4
	v_lshlrev_b32_sdwa v2, v15, v2 dst_sel:DWORD dst_unused:UNUSED_PAD src0_sel:DWORD src1_sel:BYTE_3
	v_sub_u32_e32 v14, 29, v14
	v_and_b32_e32 v2, 7, v2
	v_cmp_eq_u16_e32 vcc, 0, v12
	v_cndmask_b32_e32 v2, v6, v2, vcc
	v_cndmask_b32_e32 v6, v13, v14, vcc
	v_mov_b32_e32 v12, 0x3b800000
	v_lshlrev_b32_e32 v2, 20, v2
	v_lshl_add_u32 v6, v6, 23, v12
	v_or3_b32 v6, v11, v6, v2
.LBB24_416:
	s_or_b64 exec, exec, s[6:7]
	s_nop 0
	v_mfma_f32_16x16x4f32 a[0:3], v10, v6, a[0:3]
	s_movk_i32 s4, 0x7f
	v_cmp_gt_i16_sdwa s[6:7], v7, s4 src0_sel:BYTE_0 src1_sel:DWORD
	s_mov_b64 s[4:5], 0
                                        ; implicit-def: $sgpr10
	s_and_saveexec_b64 s[8:9], s[6:7]
	s_xor_b64 s[6:7], exec, s[8:9]
	s_cbranch_execnz .LBB24_2465
; %bb.417:
	s_or_saveexec_b64 s[6:7], s[6:7]
	v_mov_b32_e32 v2, s10
	s_xor_b64 exec, exec, s[6:7]
	s_cbranch_execnz .LBB24_2468
.LBB24_418:
	s_or_b64 exec, exec, s[6:7]
	s_and_saveexec_b64 s[6:7], s[4:5]
	s_cbranch_execz .LBB24_420
.LBB24_419:
	v_and_b32_e32 v2, 7, v7
	v_ffbh_u32_e32 v10, v2
	v_min_u32_e32 v10, 32, v10
	v_lshrrev_b16_e32 v6, 3, v7
	v_subrev_u32_e32 v11, 28, v10
	v_and_b32_e32 v6, 15, v6
	v_lshlrev_b32_e32 v11, v11, v7
	v_sub_u32_e32 v10, 29, v10
	v_and_b32_e32 v11, 7, v11
	v_cmp_eq_u16_e32 vcc, 0, v6
	v_cndmask_b32_e32 v2, v2, v11, vcc
	v_cndmask_b32_e32 v6, v6, v10, vcc
	v_lshlrev_b32_e32 v10, 24, v7
	v_mov_b32_e32 v11, 0x3b800000
	v_lshlrev_b32_e32 v2, 20, v2
	v_and_b32_e32 v10, 0x80000000, v10
	v_lshl_add_u32 v6, v6, 23, v11
	v_or3_b32 v2, v10, v6, v2
.LBB24_420:
	s_or_b64 exec, exec, s[6:7]
	s_movk_i32 s4, 0x7f
	v_cmp_gt_i16_sdwa s[6:7], v3, s4 src0_sel:BYTE_0 src1_sel:DWORD
	s_mov_b64 s[4:5], 0
                                        ; implicit-def: $sgpr10
	s_and_saveexec_b64 s[8:9], s[6:7]
	s_xor_b64 s[6:7], exec, s[8:9]
	s_cbranch_execnz .LBB24_2469
; %bb.421:
	s_or_saveexec_b64 s[6:7], s[6:7]
	v_mov_b32_e32 v6, s10
	s_xor_b64 exec, exec, s[6:7]
	s_cbranch_execnz .LBB24_2472
.LBB24_422:
	s_or_b64 exec, exec, s[6:7]
	s_and_saveexec_b64 s[6:7], s[4:5]
	s_cbranch_execz .LBB24_424
.LBB24_423:
	v_and_b32_e32 v6, 7, v3
	v_ffbh_u32_e32 v11, v6
	v_min_u32_e32 v11, 32, v11
	v_lshrrev_b16_e32 v10, 3, v3
	v_subrev_u32_e32 v12, 28, v11
	v_and_b32_e32 v10, 15, v10
	v_lshlrev_b32_e32 v12, v12, v3
	v_sub_u32_e32 v11, 29, v11
	v_and_b32_e32 v12, 7, v12
	v_cmp_eq_u16_e32 vcc, 0, v10
	v_cndmask_b32_e32 v6, v6, v12, vcc
	v_cndmask_b32_e32 v10, v10, v11, vcc
	v_lshlrev_b32_e32 v11, 24, v3
	v_mov_b32_e32 v12, 0x3b800000
	v_lshlrev_b32_e32 v6, 20, v6
	v_and_b32_e32 v11, 0x80000000, v11
	v_lshl_add_u32 v10, v10, 23, v12
	v_or3_b32 v6, v11, v10, v6
.LBB24_424:
	s_or_b64 exec, exec, s[6:7]
	s_nop 0
	v_mfma_f32_16x16x4f32 a[0:3], v2, v6, a[0:3]
	v_lshrrev_b32_e32 v6, 8, v7
	s_movk_i32 s4, 0x7f
	v_cmp_gt_i16_sdwa s[6:7], v6, s4 src0_sel:BYTE_0 src1_sel:DWORD
	s_mov_b64 s[4:5], 0
                                        ; implicit-def: $sgpr10
	s_and_saveexec_b64 s[8:9], s[6:7]
	s_xor_b64 s[6:7], exec, s[8:9]
	s_cbranch_execnz .LBB24_2473
; %bb.425:
	s_or_saveexec_b64 s[6:7], s[6:7]
	v_mov_b32_e32 v2, s10
	s_xor_b64 exec, exec, s[6:7]
	s_cbranch_execnz .LBB24_2476
.LBB24_426:
	s_or_b64 exec, exec, s[6:7]
	s_and_saveexec_b64 s[6:7], s[4:5]
	s_cbranch_execz .LBB24_428
.LBB24_427:
	v_bfe_u32 v2, v7, 8, 3
	v_ffbh_u32_e32 v11, v2
	v_min_u32_e32 v11, 32, v11
	v_lshrrev_b16_e32 v10, 3, v6
	v_subrev_u32_e32 v12, 28, v11
	v_and_b32_e32 v10, 15, v10
	v_lshlrev_b32_e32 v6, v12, v6
	v_sub_u32_e32 v11, 29, v11
	v_and_b32_e32 v6, 7, v6
	v_cmp_eq_u16_e32 vcc, 0, v10
	v_cndmask_b32_e32 v2, v2, v6, vcc
	v_cndmask_b32_e32 v6, v10, v11, vcc
	v_lshlrev_b32_e32 v10, 16, v7
	v_mov_b32_e32 v11, 0x3b800000
	v_lshlrev_b32_e32 v2, 20, v2
	v_and_b32_e32 v10, 0x80000000, v10
	v_lshl_add_u32 v6, v6, 23, v11
	v_or3_b32 v2, v10, v6, v2
.LBB24_428:
	s_or_b64 exec, exec, s[6:7]
	v_lshrrev_b32_e32 v6, 8, v3
	s_movk_i32 s4, 0x7f
	v_cmp_gt_i16_sdwa s[6:7], v6, s4 src0_sel:BYTE_0 src1_sel:DWORD
	s_mov_b64 s[4:5], 0
                                        ; implicit-def: $sgpr10
	s_and_saveexec_b64 s[8:9], s[6:7]
	s_xor_b64 s[6:7], exec, s[8:9]
	s_cbranch_execnz .LBB24_2477
; %bb.429:
	s_or_saveexec_b64 s[6:7], s[6:7]
	v_mov_b32_e32 v10, s10
	s_xor_b64 exec, exec, s[6:7]
	s_cbranch_execnz .LBB24_2480
.LBB24_430:
	s_or_b64 exec, exec, s[6:7]
	s_and_saveexec_b64 s[6:7], s[4:5]
	s_cbranch_execz .LBB24_432
.LBB24_431:
	v_bfe_u32 v10, v3, 8, 3
	v_ffbh_u32_e32 v12, v10
	v_min_u32_e32 v12, 32, v12
	v_lshrrev_b16_e32 v11, 3, v6
	v_subrev_u32_e32 v13, 28, v12
	v_and_b32_e32 v11, 15, v11
	v_lshlrev_b32_e32 v6, v13, v6
	v_sub_u32_e32 v12, 29, v12
	v_and_b32_e32 v6, 7, v6
	v_cmp_eq_u16_e32 vcc, 0, v11
	v_cndmask_b32_e32 v6, v10, v6, vcc
	v_cndmask_b32_e32 v10, v11, v12, vcc
	v_lshlrev_b32_e32 v11, 16, v3
	v_mov_b32_e32 v12, 0x3b800000
	v_lshlrev_b32_e32 v6, 20, v6
	v_and_b32_e32 v11, 0x80000000, v11
	v_lshl_add_u32 v10, v10, 23, v12
	v_or3_b32 v10, v11, v10, v6
.LBB24_432:
	s_or_b64 exec, exec, s[6:7]
	s_nop 0
	v_mfma_f32_16x16x4f32 a[0:3], v2, v10, a[0:3]
	s_movk_i32 s4, 0xff
	v_and_b32_sdwa v6, v7, s4 dst_sel:DWORD dst_unused:UNUSED_PAD src0_sel:WORD_1 src1_sel:DWORD
	s_movk_i32 s4, 0x7f
	v_cmp_lt_i16_e32 vcc, s4, v6
	s_mov_b64 s[4:5], 0
                                        ; implicit-def: $sgpr10
	s_and_saveexec_b64 s[6:7], vcc
	s_xor_b64 s[6:7], exec, s[6:7]
	s_cbranch_execnz .LBB24_2481
; %bb.433:
	s_or_saveexec_b64 s[6:7], s[6:7]
	v_mov_b32_e32 v2, s10
	s_xor_b64 exec, exec, s[6:7]
	s_cbranch_execnz .LBB24_2484
.LBB24_434:
	s_or_b64 exec, exec, s[6:7]
	s_and_saveexec_b64 s[6:7], s[4:5]
	s_cbranch_execz .LBB24_436
.LBB24_435:
	v_bfe_u32 v2, v7, 16, 3
	v_ffbh_u32_e32 v11, v2
	v_min_u32_e32 v11, 32, v11
	v_lshrrev_b32_e32 v6, 19, v7
	v_subrev_u32_e32 v12, 28, v11
	v_and_b32_e32 v6, 15, v6
	v_lshlrev_b32_sdwa v12, v12, v7 dst_sel:DWORD dst_unused:UNUSED_PAD src0_sel:DWORD src1_sel:WORD_1
	v_bfe_u32 v10, v7, 19, 4
	v_sub_u32_e32 v11, 29, v11
	v_and_b32_e32 v12, 7, v12
	v_cmp_eq_u16_e32 vcc, 0, v6
	v_cndmask_b32_e32 v2, v2, v12, vcc
	v_cndmask_b32_e32 v6, v10, v11, vcc
	v_lshlrev_b32_e32 v10, 8, v7
	v_mov_b32_e32 v11, 0x3b800000
	v_lshlrev_b32_e32 v2, 20, v2
	v_and_b32_e32 v10, 0x80000000, v10
	v_lshl_add_u32 v6, v6, 23, v11
	v_or3_b32 v2, v10, v6, v2
.LBB24_436:
	s_or_b64 exec, exec, s[6:7]
	s_movk_i32 s4, 0xff
	v_and_b32_sdwa v6, v3, s4 dst_sel:DWORD dst_unused:UNUSED_PAD src0_sel:WORD_1 src1_sel:DWORD
	s_movk_i32 s4, 0x7f
	v_cmp_lt_i16_e32 vcc, s4, v6
	s_mov_b64 s[4:5], 0
                                        ; implicit-def: $sgpr10
	s_and_saveexec_b64 s[6:7], vcc
	s_xor_b64 s[6:7], exec, s[6:7]
	s_cbranch_execnz .LBB24_2485
; %bb.437:
	s_or_saveexec_b64 s[6:7], s[6:7]
	v_mov_b32_e32 v10, s10
	s_xor_b64 exec, exec, s[6:7]
	s_cbranch_execnz .LBB24_2488
.LBB24_438:
	s_or_b64 exec, exec, s[6:7]
	s_and_saveexec_b64 s[6:7], s[4:5]
	s_cbranch_execz .LBB24_440
.LBB24_439:
	v_bfe_u32 v6, v3, 16, 3
	v_ffbh_u32_e32 v12, v6
	v_min_u32_e32 v12, 32, v12
	v_lshrrev_b32_e32 v10, 19, v3
	v_subrev_u32_e32 v13, 28, v12
	v_and_b32_e32 v10, 15, v10
	v_lshlrev_b32_sdwa v13, v13, v3 dst_sel:DWORD dst_unused:UNUSED_PAD src0_sel:DWORD src1_sel:WORD_1
	v_bfe_u32 v11, v3, 19, 4
	v_sub_u32_e32 v12, 29, v12
	v_and_b32_e32 v13, 7, v13
	v_cmp_eq_u16_e32 vcc, 0, v10
	v_cndmask_b32_e32 v6, v6, v13, vcc
	v_cndmask_b32_e32 v10, v11, v12, vcc
	v_lshlrev_b32_e32 v11, 8, v3
	v_mov_b32_e32 v12, 0x3b800000
	v_lshlrev_b32_e32 v6, 20, v6
	v_and_b32_e32 v11, 0x80000000, v11
	v_lshl_add_u32 v10, v10, 23, v12
	v_or3_b32 v10, v11, v10, v6
.LBB24_440:
	s_or_b64 exec, exec, s[6:7]
	s_nop 0
	v_mfma_f32_16x16x4f32 a[0:3], v2, v10, a[0:3]
	s_movk_i32 s4, 0x7f
	v_cmp_gt_i16_sdwa s[6:7], v7, s4 src0_sel:BYTE_3 src1_sel:DWORD
	s_mov_b64 s[4:5], 0
                                        ; implicit-def: $sgpr10
	s_and_saveexec_b64 s[8:9], s[6:7]
	s_xor_b64 s[6:7], exec, s[8:9]
	s_cbranch_execnz .LBB24_2489
; %bb.441:
	s_or_saveexec_b64 s[6:7], s[6:7]
	v_mov_b32_e32 v2, s10
	s_xor_b64 exec, exec, s[6:7]
	s_cbranch_execnz .LBB24_2492
.LBB24_442:
	s_or_b64 exec, exec, s[6:7]
	s_and_saveexec_b64 s[6:7], s[4:5]
	s_cbranch_execz .LBB24_444
.LBB24_443:
	v_bfe_u32 v2, v7, 24, 3
	v_ffbh_u32_e32 v12, v2
	v_min_u32_e32 v12, 32, v12
	v_lshrrev_b32_e32 v10, 27, v7
	v_subrev_u32_e32 v13, 28, v12
	v_and_b32_e32 v6, 0x80000000, v7
	v_and_b32_e32 v10, 15, v10
	v_bfe_u32 v11, v7, 27, 4
	v_lshlrev_b32_sdwa v7, v13, v7 dst_sel:DWORD dst_unused:UNUSED_PAD src0_sel:DWORD src1_sel:BYTE_3
	v_sub_u32_e32 v12, 29, v12
	v_and_b32_e32 v7, 7, v7
	v_cmp_eq_u16_e32 vcc, 0, v10
	v_cndmask_b32_e32 v2, v2, v7, vcc
	v_cndmask_b32_e32 v7, v11, v12, vcc
	v_mov_b32_e32 v10, 0x3b800000
	v_lshlrev_b32_e32 v2, 20, v2
	v_lshl_add_u32 v7, v7, 23, v10
	v_or3_b32 v2, v6, v7, v2
.LBB24_444:
	s_or_b64 exec, exec, s[6:7]
	s_movk_i32 s4, 0x7f
	v_cmp_gt_i16_sdwa s[6:7], v3, s4 src0_sel:BYTE_3 src1_sel:DWORD
	s_mov_b64 s[4:5], 0
                                        ; implicit-def: $sgpr10
	s_and_saveexec_b64 s[8:9], s[6:7]
	s_xor_b64 s[6:7], exec, s[8:9]
	s_cbranch_execnz .LBB24_2493
; %bb.445:
	s_or_saveexec_b64 s[6:7], s[6:7]
	v_mov_b32_e32 v6, s10
	s_xor_b64 exec, exec, s[6:7]
	s_cbranch_execnz .LBB24_2496
.LBB24_446:
	s_or_b64 exec, exec, s[6:7]
	s_and_saveexec_b64 s[6:7], s[4:5]
	s_cbranch_execz .LBB24_448
.LBB24_447:
	v_bfe_u32 v6, v3, 24, 3
	v_ffbh_u32_e32 v12, v6
	v_min_u32_e32 v12, 32, v12
	v_lshrrev_b32_e32 v10, 27, v3
	v_subrev_u32_e32 v13, 28, v12
	v_and_b32_e32 v7, 0x80000000, v3
	v_and_b32_e32 v10, 15, v10
	v_bfe_u32 v11, v3, 27, 4
	v_lshlrev_b32_sdwa v3, v13, v3 dst_sel:DWORD dst_unused:UNUSED_PAD src0_sel:DWORD src1_sel:BYTE_3
	v_sub_u32_e32 v12, 29, v12
	v_and_b32_e32 v3, 7, v3
	v_cmp_eq_u16_e32 vcc, 0, v10
	v_cndmask_b32_e32 v3, v6, v3, vcc
	v_cndmask_b32_e32 v6, v11, v12, vcc
	v_mov_b32_e32 v10, 0x3b800000
	v_lshlrev_b32_e32 v3, 20, v3
	v_lshl_add_u32 v6, v6, 23, v10
	v_or3_b32 v6, v7, v6, v3
.LBB24_448:
	s_or_b64 exec, exec, s[6:7]
	s_nop 0
	v_mfma_f32_16x16x4f32 a[0:3], v2, v6, a[0:3]
	s_movk_i32 s4, 0x7f
	v_cmp_gt_i16_sdwa s[6:7], v8, s4 src0_sel:BYTE_0 src1_sel:DWORD
	s_mov_b64 s[4:5], 0
                                        ; implicit-def: $sgpr10
	s_and_saveexec_b64 s[8:9], s[6:7]
	s_xor_b64 s[6:7], exec, s[8:9]
	s_cbranch_execnz .LBB24_2497
; %bb.449:
	s_or_saveexec_b64 s[6:7], s[6:7]
	v_mov_b32_e32 v2, s10
	s_xor_b64 exec, exec, s[6:7]
	s_cbranch_execnz .LBB24_2500
.LBB24_450:
	s_or_b64 exec, exec, s[6:7]
	s_and_saveexec_b64 s[6:7], s[4:5]
	s_cbranch_execz .LBB24_452
.LBB24_451:
	v_and_b32_e32 v2, 7, v8
	v_ffbh_u32_e32 v6, v2
	v_min_u32_e32 v6, 32, v6
	v_lshrrev_b16_e32 v3, 3, v8
	v_subrev_u32_e32 v7, 28, v6
	v_and_b32_e32 v3, 15, v3
	v_lshlrev_b32_e32 v7, v7, v8
	v_sub_u32_e32 v6, 29, v6
	v_and_b32_e32 v7, 7, v7
	v_cmp_eq_u16_e32 vcc, 0, v3
	v_cndmask_b32_e32 v2, v2, v7, vcc
	v_cndmask_b32_e32 v3, v3, v6, vcc
	v_lshlrev_b32_e32 v6, 24, v8
	v_mov_b32_e32 v7, 0x3b800000
	v_lshlrev_b32_e32 v2, 20, v2
	v_and_b32_e32 v6, 0x80000000, v6
	v_lshl_add_u32 v3, v3, 23, v7
	v_or3_b32 v2, v6, v3, v2
.LBB24_452:
	s_or_b64 exec, exec, s[6:7]
	s_movk_i32 s4, 0x7f
	v_cmp_gt_i16_sdwa s[6:7], v4, s4 src0_sel:BYTE_0 src1_sel:DWORD
	s_mov_b64 s[4:5], 0
                                        ; implicit-def: $sgpr10
	s_and_saveexec_b64 s[8:9], s[6:7]
	s_xor_b64 s[6:7], exec, s[8:9]
	s_cbranch_execnz .LBB24_2501
; %bb.453:
	s_or_saveexec_b64 s[6:7], s[6:7]
	v_mov_b32_e32 v3, s10
	s_xor_b64 exec, exec, s[6:7]
	s_cbranch_execnz .LBB24_2504
.LBB24_454:
	s_or_b64 exec, exec, s[6:7]
	s_and_saveexec_b64 s[6:7], s[4:5]
	s_cbranch_execz .LBB24_456
.LBB24_455:
	v_and_b32_e32 v3, 7, v4
	v_ffbh_u32_e32 v7, v3
	v_min_u32_e32 v7, 32, v7
	v_lshrrev_b16_e32 v6, 3, v4
	v_subrev_u32_e32 v10, 28, v7
	v_and_b32_e32 v6, 15, v6
	v_lshlrev_b32_e32 v10, v10, v4
	v_sub_u32_e32 v7, 29, v7
	v_and_b32_e32 v10, 7, v10
	v_cmp_eq_u16_e32 vcc, 0, v6
	v_cndmask_b32_e32 v3, v3, v10, vcc
	v_cndmask_b32_e32 v6, v6, v7, vcc
	v_lshlrev_b32_e32 v7, 24, v4
	v_mov_b32_e32 v10, 0x3b800000
	v_lshlrev_b32_e32 v3, 20, v3
	v_and_b32_e32 v7, 0x80000000, v7
	v_lshl_add_u32 v6, v6, 23, v10
	v_or3_b32 v3, v7, v6, v3
.LBB24_456:
	s_or_b64 exec, exec, s[6:7]
	s_nop 0
	v_mfma_f32_16x16x4f32 a[0:3], v2, v3, a[0:3]
	v_lshrrev_b32_e32 v3, 8, v8
	s_movk_i32 s4, 0x7f
	v_cmp_gt_i16_sdwa s[6:7], v3, s4 src0_sel:BYTE_0 src1_sel:DWORD
	s_mov_b64 s[4:5], 0
                                        ; implicit-def: $sgpr10
	s_and_saveexec_b64 s[8:9], s[6:7]
	s_xor_b64 s[6:7], exec, s[8:9]
	s_cbranch_execnz .LBB24_2505
; %bb.457:
	s_or_saveexec_b64 s[6:7], s[6:7]
	v_mov_b32_e32 v2, s10
	s_xor_b64 exec, exec, s[6:7]
	s_cbranch_execnz .LBB24_2508
.LBB24_458:
	s_or_b64 exec, exec, s[6:7]
	s_and_saveexec_b64 s[6:7], s[4:5]
	s_cbranch_execz .LBB24_460
.LBB24_459:
	v_bfe_u32 v2, v8, 8, 3
	v_ffbh_u32_e32 v7, v2
	v_min_u32_e32 v7, 32, v7
	v_lshrrev_b16_e32 v6, 3, v3
	v_subrev_u32_e32 v10, 28, v7
	v_and_b32_e32 v6, 15, v6
	v_lshlrev_b32_e32 v3, v10, v3
	v_sub_u32_e32 v7, 29, v7
	v_and_b32_e32 v3, 7, v3
	v_cmp_eq_u16_e32 vcc, 0, v6
	v_cndmask_b32_e32 v2, v2, v3, vcc
	v_cndmask_b32_e32 v3, v6, v7, vcc
	v_lshlrev_b32_e32 v6, 16, v8
	v_mov_b32_e32 v7, 0x3b800000
	v_lshlrev_b32_e32 v2, 20, v2
	v_and_b32_e32 v6, 0x80000000, v6
	v_lshl_add_u32 v3, v3, 23, v7
	v_or3_b32 v2, v6, v3, v2
.LBB24_460:
	s_or_b64 exec, exec, s[6:7]
	v_lshrrev_b32_e32 v3, 8, v4
	s_movk_i32 s4, 0x7f
	v_cmp_gt_i16_sdwa s[6:7], v3, s4 src0_sel:BYTE_0 src1_sel:DWORD
	s_mov_b64 s[4:5], 0
                                        ; implicit-def: $sgpr10
	s_and_saveexec_b64 s[8:9], s[6:7]
	s_xor_b64 s[6:7], exec, s[8:9]
	s_cbranch_execnz .LBB24_2509
; %bb.461:
	s_or_saveexec_b64 s[6:7], s[6:7]
	v_mov_b32_e32 v6, s10
	s_xor_b64 exec, exec, s[6:7]
	s_cbranch_execnz .LBB24_2512
.LBB24_462:
	s_or_b64 exec, exec, s[6:7]
	s_and_saveexec_b64 s[6:7], s[4:5]
	s_cbranch_execz .LBB24_464
.LBB24_463:
	v_bfe_u32 v6, v4, 8, 3
	v_ffbh_u32_e32 v10, v6
	v_min_u32_e32 v10, 32, v10
	v_lshrrev_b16_e32 v7, 3, v3
	v_subrev_u32_e32 v11, 28, v10
	v_and_b32_e32 v7, 15, v7
	v_lshlrev_b32_e32 v3, v11, v3
	v_sub_u32_e32 v10, 29, v10
	v_and_b32_e32 v3, 7, v3
	v_cmp_eq_u16_e32 vcc, 0, v7
	v_cndmask_b32_e32 v3, v6, v3, vcc
	v_cndmask_b32_e32 v6, v7, v10, vcc
	v_lshlrev_b32_e32 v7, 16, v4
	v_mov_b32_e32 v10, 0x3b800000
	v_lshlrev_b32_e32 v3, 20, v3
	v_and_b32_e32 v7, 0x80000000, v7
	v_lshl_add_u32 v6, v6, 23, v10
	v_or3_b32 v6, v7, v6, v3
.LBB24_464:
	s_or_b64 exec, exec, s[6:7]
	s_nop 0
	v_mfma_f32_16x16x4f32 a[0:3], v2, v6, a[0:3]
	s_movk_i32 s4, 0xff
	v_and_b32_sdwa v3, v8, s4 dst_sel:DWORD dst_unused:UNUSED_PAD src0_sel:WORD_1 src1_sel:DWORD
	s_movk_i32 s4, 0x7f
	v_cmp_lt_i16_e32 vcc, s4, v3
	s_mov_b64 s[4:5], 0
                                        ; implicit-def: $sgpr10
	s_and_saveexec_b64 s[6:7], vcc
	s_xor_b64 s[6:7], exec, s[6:7]
	s_cbranch_execnz .LBB24_2513
; %bb.465:
	s_or_saveexec_b64 s[6:7], s[6:7]
	v_mov_b32_e32 v2, s10
	s_xor_b64 exec, exec, s[6:7]
	s_cbranch_execnz .LBB24_2516
.LBB24_466:
	s_or_b64 exec, exec, s[6:7]
	s_and_saveexec_b64 s[6:7], s[4:5]
	s_cbranch_execz .LBB24_468
.LBB24_467:
	v_bfe_u32 v2, v8, 16, 3
	v_ffbh_u32_e32 v7, v2
	v_min_u32_e32 v7, 32, v7
	v_lshrrev_b32_e32 v3, 19, v8
	v_subrev_u32_e32 v10, 28, v7
	v_and_b32_e32 v3, 15, v3
	v_lshlrev_b32_sdwa v10, v10, v8 dst_sel:DWORD dst_unused:UNUSED_PAD src0_sel:DWORD src1_sel:WORD_1
	v_bfe_u32 v6, v8, 19, 4
	v_sub_u32_e32 v7, 29, v7
	v_and_b32_e32 v10, 7, v10
	v_cmp_eq_u16_e32 vcc, 0, v3
	v_cndmask_b32_e32 v2, v2, v10, vcc
	v_cndmask_b32_e32 v3, v6, v7, vcc
	v_lshlrev_b32_e32 v6, 8, v8
	v_mov_b32_e32 v7, 0x3b800000
	v_lshlrev_b32_e32 v2, 20, v2
	v_and_b32_e32 v6, 0x80000000, v6
	v_lshl_add_u32 v3, v3, 23, v7
	v_or3_b32 v2, v6, v3, v2
.LBB24_468:
	s_or_b64 exec, exec, s[6:7]
	s_movk_i32 s4, 0xff
	v_and_b32_sdwa v3, v4, s4 dst_sel:DWORD dst_unused:UNUSED_PAD src0_sel:WORD_1 src1_sel:DWORD
	s_movk_i32 s4, 0x7f
	v_cmp_lt_i16_e32 vcc, s4, v3
	s_mov_b64 s[4:5], 0
                                        ; implicit-def: $sgpr10
	s_and_saveexec_b64 s[6:7], vcc
	s_xor_b64 s[6:7], exec, s[6:7]
	s_cbranch_execnz .LBB24_2517
; %bb.469:
	s_or_saveexec_b64 s[6:7], s[6:7]
	v_mov_b32_e32 v6, s10
	s_xor_b64 exec, exec, s[6:7]
	s_cbranch_execnz .LBB24_2520
.LBB24_470:
	s_or_b64 exec, exec, s[6:7]
	s_and_saveexec_b64 s[6:7], s[4:5]
	s_cbranch_execz .LBB24_472
.LBB24_471:
	v_bfe_u32 v3, v4, 16, 3
	v_ffbh_u32_e32 v10, v3
	v_min_u32_e32 v10, 32, v10
	v_lshrrev_b32_e32 v6, 19, v4
	v_subrev_u32_e32 v11, 28, v10
	v_and_b32_e32 v6, 15, v6
	v_lshlrev_b32_sdwa v11, v11, v4 dst_sel:DWORD dst_unused:UNUSED_PAD src0_sel:DWORD src1_sel:WORD_1
	v_bfe_u32 v7, v4, 19, 4
	v_sub_u32_e32 v10, 29, v10
	v_and_b32_e32 v11, 7, v11
	v_cmp_eq_u16_e32 vcc, 0, v6
	v_cndmask_b32_e32 v3, v3, v11, vcc
	v_cndmask_b32_e32 v6, v7, v10, vcc
	v_lshlrev_b32_e32 v7, 8, v4
	v_mov_b32_e32 v10, 0x3b800000
	v_lshlrev_b32_e32 v3, 20, v3
	v_and_b32_e32 v7, 0x80000000, v7
	v_lshl_add_u32 v6, v6, 23, v10
	v_or3_b32 v6, v7, v6, v3
.LBB24_472:
	s_or_b64 exec, exec, s[6:7]
	s_nop 0
	v_mfma_f32_16x16x4f32 a[0:3], v2, v6, a[0:3]
	s_movk_i32 s4, 0x7f
	v_cmp_gt_i16_sdwa s[6:7], v8, s4 src0_sel:BYTE_3 src1_sel:DWORD
	s_mov_b64 s[4:5], 0
                                        ; implicit-def: $sgpr10
	s_and_saveexec_b64 s[8:9], s[6:7]
	s_xor_b64 s[6:7], exec, s[8:9]
	s_cbranch_execnz .LBB24_2521
; %bb.473:
	s_or_saveexec_b64 s[6:7], s[6:7]
	v_mov_b32_e32 v2, s10
	s_xor_b64 exec, exec, s[6:7]
	s_cbranch_execnz .LBB24_2524
.LBB24_474:
	s_or_b64 exec, exec, s[6:7]
	s_and_saveexec_b64 s[6:7], s[4:5]
	s_cbranch_execz .LBB24_476
.LBB24_475:
	v_bfe_u32 v2, v8, 24, 3
	v_ffbh_u32_e32 v10, v2
	v_min_u32_e32 v10, 32, v10
	v_lshrrev_b32_e32 v6, 27, v8
	v_subrev_u32_e32 v11, 28, v10
	v_and_b32_e32 v3, 0x80000000, v8
	v_and_b32_e32 v6, 15, v6
	v_bfe_u32 v7, v8, 27, 4
	v_lshlrev_b32_sdwa v8, v11, v8 dst_sel:DWORD dst_unused:UNUSED_PAD src0_sel:DWORD src1_sel:BYTE_3
	v_sub_u32_e32 v10, 29, v10
	v_and_b32_e32 v8, 7, v8
	v_cmp_eq_u16_e32 vcc, 0, v6
	v_cndmask_b32_e32 v2, v2, v8, vcc
	v_cndmask_b32_e32 v6, v7, v10, vcc
	v_mov_b32_e32 v7, 0x3b800000
	v_lshlrev_b32_e32 v2, 20, v2
	v_lshl_add_u32 v6, v6, 23, v7
	v_or3_b32 v2, v3, v6, v2
.LBB24_476:
	s_or_b64 exec, exec, s[6:7]
	s_movk_i32 s4, 0x7f
	v_cmp_gt_i16_sdwa s[6:7], v4, s4 src0_sel:BYTE_3 src1_sel:DWORD
	s_mov_b64 s[4:5], 0
                                        ; implicit-def: $sgpr10
	s_and_saveexec_b64 s[8:9], s[6:7]
	s_xor_b64 s[6:7], exec, s[8:9]
	s_cbranch_execnz .LBB24_2525
; %bb.477:
	s_or_saveexec_b64 s[6:7], s[6:7]
	v_mov_b32_e32 v3, s10
	s_xor_b64 exec, exec, s[6:7]
	s_cbranch_execnz .LBB24_2528
.LBB24_478:
	s_or_b64 exec, exec, s[6:7]
	s_and_saveexec_b64 s[6:7], s[4:5]
	s_cbranch_execz .LBB24_480
.LBB24_479:
	v_bfe_u32 v3, v4, 24, 3
	v_ffbh_u32_e32 v10, v3
	v_min_u32_e32 v10, 32, v10
	v_lshrrev_b32_e32 v7, 27, v4
	v_subrev_u32_e32 v11, 28, v10
	v_and_b32_e32 v6, 0x80000000, v4
	v_and_b32_e32 v7, 15, v7
	v_bfe_u32 v8, v4, 27, 4
	v_lshlrev_b32_sdwa v4, v11, v4 dst_sel:DWORD dst_unused:UNUSED_PAD src0_sel:DWORD src1_sel:BYTE_3
	v_sub_u32_e32 v10, 29, v10
	v_and_b32_e32 v4, 7, v4
	v_cmp_eq_u16_e32 vcc, 0, v7
	v_cndmask_b32_e32 v3, v3, v4, vcc
	v_cndmask_b32_e32 v4, v8, v10, vcc
	v_mov_b32_e32 v7, 0x3b800000
	v_lshlrev_b32_e32 v3, 20, v3
	v_lshl_add_u32 v4, v4, 23, v7
	v_or3_b32 v3, v6, v4, v3
.LBB24_480:
	s_or_b64 exec, exec, s[6:7]
	s_nop 0
	v_mfma_f32_16x16x4f32 a[0:3], v2, v3, a[0:3]
	s_movk_i32 s4, 0x7f
	v_cmp_gt_i16_sdwa s[6:7], v9, s4 src0_sel:BYTE_0 src1_sel:DWORD
	s_mov_b64 s[4:5], 0
                                        ; implicit-def: $sgpr10
	s_and_saveexec_b64 s[8:9], s[6:7]
	s_xor_b64 s[6:7], exec, s[8:9]
	s_cbranch_execnz .LBB24_2529
; %bb.481:
	s_or_saveexec_b64 s[6:7], s[6:7]
	v_mov_b32_e32 v2, s10
	s_xor_b64 exec, exec, s[6:7]
	s_cbranch_execnz .LBB24_2532
.LBB24_482:
	s_or_b64 exec, exec, s[6:7]
	s_and_saveexec_b64 s[6:7], s[4:5]
	s_cbranch_execz .LBB24_484
.LBB24_483:
	v_mov_b32_e32 v2, 8
	v_and_b32_e32 v3, 7, v9
	v_lshrrev_b32_sdwa v2, v2, v9 dst_sel:BYTE_1 dst_unused:UNUSED_PAD src0_sel:DWORD src1_sel:DWORD
	v_ffbh_u32_e32 v4, v3
	v_or_b32_sdwa v2, v9, v2 dst_sel:DWORD dst_unused:UNUSED_PAD src0_sel:BYTE_0 src1_sel:DWORD
	v_min_u32_e32 v4, 32, v4
	v_lshrrev_b16_e32 v2, 3, v2
	v_subrev_u32_e32 v6, 28, v4
	v_and_b32_e32 v2, 15, v2
	v_lshlrev_b32_e32 v6, v6, v9
	v_sub_u32_e32 v4, 29, v4
	v_and_b32_e32 v6, 7, v6
	v_cmp_eq_u16_e32 vcc, 0, v2
	v_cndmask_b32_e32 v3, v3, v6, vcc
	v_cndmask_b32_e32 v2, v2, v4, vcc
	v_lshlrev_b32_e32 v4, 24, v9
	v_mov_b32_e32 v6, 0x3b800000
	v_lshlrev_b32_e32 v3, 20, v3
	v_and_b32_e32 v4, 0x80000000, v4
	v_lshl_add_u32 v2, v2, 23, v6
	v_or3_b32 v2, v4, v2, v3
.LBB24_484:
	s_or_b64 exec, exec, s[6:7]
	s_movk_i32 s4, 0x7f
	v_cmp_gt_i16_sdwa s[6:7], v5, s4 src0_sel:BYTE_0 src1_sel:DWORD
	s_mov_b64 s[4:5], 0
                                        ; implicit-def: $sgpr10
	s_and_saveexec_b64 s[8:9], s[6:7]
	s_xor_b64 s[6:7], exec, s[8:9]
	s_cbranch_execnz .LBB24_2533
; %bb.485:
	s_or_saveexec_b64 s[6:7], s[6:7]
	v_mov_b32_e32 v3, s10
	s_xor_b64 exec, exec, s[6:7]
	s_cbranch_execnz .LBB24_2536
.LBB24_486:
	s_or_b64 exec, exec, s[6:7]
	s_and_saveexec_b64 s[6:7], s[4:5]
	s_cbranch_execz .LBB24_488
.LBB24_487:
	v_mov_b32_e32 v3, 8
	v_and_b32_e32 v4, 7, v5
	v_lshrrev_b32_sdwa v3, v3, v5 dst_sel:BYTE_1 dst_unused:UNUSED_PAD src0_sel:DWORD src1_sel:DWORD
	v_ffbh_u32_e32 v6, v4
	v_or_b32_sdwa v3, v5, v3 dst_sel:DWORD dst_unused:UNUSED_PAD src0_sel:BYTE_0 src1_sel:DWORD
	v_min_u32_e32 v6, 32, v6
	v_lshrrev_b16_e32 v3, 3, v3
	v_subrev_u32_e32 v7, 28, v6
	v_and_b32_e32 v3, 15, v3
	v_lshlrev_b32_e32 v7, v7, v5
	v_sub_u32_e32 v6, 29, v6
	v_and_b32_e32 v7, 7, v7
	v_cmp_eq_u16_e32 vcc, 0, v3
	v_cndmask_b32_e32 v4, v4, v7, vcc
	v_cndmask_b32_e32 v3, v3, v6, vcc
	v_lshlrev_b32_e32 v6, 24, v5
	v_mov_b32_e32 v7, 0x3b800000
	v_lshlrev_b32_e32 v4, 20, v4
	v_and_b32_e32 v6, 0x80000000, v6
	v_lshl_add_u32 v3, v3, 23, v7
	v_or3_b32 v3, v6, v3, v4
.LBB24_488:
	s_or_b64 exec, exec, s[6:7]
	s_nop 0
	v_mfma_f32_16x16x4f32 a[0:3], v2, v3, a[0:3]
	v_lshrrev_b32_e32 v3, 8, v9
	s_movk_i32 s4, 0x7f
	v_cmp_gt_i16_sdwa s[6:7], v3, s4 src0_sel:BYTE_0 src1_sel:DWORD
	s_mov_b64 s[4:5], 0
                                        ; implicit-def: $sgpr10
	s_and_saveexec_b64 s[8:9], s[6:7]
	s_xor_b64 s[6:7], exec, s[8:9]
	s_cbranch_execnz .LBB24_2537
; %bb.489:
	s_or_saveexec_b64 s[6:7], s[6:7]
	v_mov_b32_e32 v2, s10
	s_xor_b64 exec, exec, s[6:7]
	s_cbranch_execnz .LBB24_2540
.LBB24_490:
	s_or_b64 exec, exec, s[6:7]
	s_and_saveexec_b64 s[6:7], s[4:5]
	s_cbranch_execz .LBB24_492
.LBB24_491:
	v_bfe_u32 v2, v9, 8, 3
	v_ffbh_u32_e32 v6, v2
	v_min_u32_e32 v6, 32, v6
	v_lshrrev_b16_e32 v4, 3, v3
	v_subrev_u32_e32 v7, 28, v6
	v_and_b32_e32 v4, 15, v4
	v_lshlrev_b32_e32 v3, v7, v3
	v_sub_u32_e32 v6, 29, v6
	v_and_b32_e32 v3, 7, v3
	v_cmp_eq_u16_e32 vcc, 0, v4
	v_cndmask_b32_e32 v2, v2, v3, vcc
	v_cndmask_b32_e32 v3, v4, v6, vcc
	v_lshlrev_b32_e32 v4, 16, v9
	v_mov_b32_e32 v6, 0x3b800000
	v_lshlrev_b32_e32 v2, 20, v2
	v_and_b32_e32 v4, 0x80000000, v4
	v_lshl_add_u32 v3, v3, 23, v6
	v_or3_b32 v2, v4, v3, v2
.LBB24_492:
	s_or_b64 exec, exec, s[6:7]
	v_lshrrev_b32_e32 v3, 8, v5
	s_movk_i32 s4, 0x7f
	v_cmp_gt_i16_sdwa s[6:7], v3, s4 src0_sel:BYTE_0 src1_sel:DWORD
	s_mov_b64 s[4:5], 0
                                        ; implicit-def: $sgpr10
	s_and_saveexec_b64 s[8:9], s[6:7]
	s_xor_b64 s[6:7], exec, s[8:9]
	s_cbranch_execnz .LBB24_2541
; %bb.493:
	s_or_saveexec_b64 s[6:7], s[6:7]
	v_mov_b32_e32 v4, s10
	s_xor_b64 exec, exec, s[6:7]
	s_cbranch_execnz .LBB24_2544
.LBB24_494:
	s_or_b64 exec, exec, s[6:7]
	s_and_saveexec_b64 s[6:7], s[4:5]
	s_cbranch_execz .LBB24_496
.LBB24_495:
	v_bfe_u32 v4, v5, 8, 3
	v_ffbh_u32_e32 v7, v4
	v_min_u32_e32 v7, 32, v7
	v_lshrrev_b16_e32 v6, 3, v3
	v_subrev_u32_e32 v8, 28, v7
	v_and_b32_e32 v6, 15, v6
	v_lshlrev_b32_e32 v3, v8, v3
	v_sub_u32_e32 v7, 29, v7
	v_and_b32_e32 v3, 7, v3
	v_cmp_eq_u16_e32 vcc, 0, v6
	v_cndmask_b32_e32 v3, v4, v3, vcc
	v_cndmask_b32_e32 v4, v6, v7, vcc
	v_lshlrev_b32_e32 v6, 16, v5
	v_mov_b32_e32 v7, 0x3b800000
	v_lshlrev_b32_e32 v3, 20, v3
	v_and_b32_e32 v6, 0x80000000, v6
	v_lshl_add_u32 v4, v4, 23, v7
	v_or3_b32 v4, v6, v4, v3
.LBB24_496:
	s_or_b64 exec, exec, s[6:7]
	s_nop 0
	v_mfma_f32_16x16x4f32 a[0:3], v2, v4, a[0:3]
	s_movk_i32 s4, 0xff
	v_and_b32_sdwa v3, v9, s4 dst_sel:DWORD dst_unused:UNUSED_PAD src0_sel:WORD_1 src1_sel:DWORD
	s_movk_i32 s4, 0x7f
	v_cmp_lt_i16_e32 vcc, s4, v3
	s_mov_b64 s[4:5], 0
                                        ; implicit-def: $sgpr10
	s_and_saveexec_b64 s[6:7], vcc
	s_xor_b64 s[6:7], exec, s[6:7]
	s_cbranch_execnz .LBB24_2545
; %bb.497:
	s_or_saveexec_b64 s[6:7], s[6:7]
	v_mov_b32_e32 v2, s10
	s_xor_b64 exec, exec, s[6:7]
	s_cbranch_execnz .LBB24_2548
.LBB24_498:
	s_or_b64 exec, exec, s[6:7]
	s_and_saveexec_b64 s[6:7], s[4:5]
	s_cbranch_execz .LBB24_500
.LBB24_499:
	v_bfe_u32 v2, v9, 16, 3
	v_ffbh_u32_e32 v6, v2
	v_min_u32_e32 v6, 32, v6
	v_lshrrev_b32_e32 v3, 19, v9
	v_subrev_u32_e32 v7, 28, v6
	v_and_b32_e32 v3, 15, v3
	v_lshlrev_b32_sdwa v7, v7, v9 dst_sel:DWORD dst_unused:UNUSED_PAD src0_sel:DWORD src1_sel:WORD_1
	v_bfe_u32 v4, v9, 19, 4
	v_sub_u32_e32 v6, 29, v6
	v_and_b32_e32 v7, 7, v7
	v_cmp_eq_u16_e32 vcc, 0, v3
	v_cndmask_b32_e32 v2, v2, v7, vcc
	v_cndmask_b32_e32 v3, v4, v6, vcc
	v_lshlrev_b32_e32 v4, 8, v9
	v_mov_b32_e32 v6, 0x3b800000
	v_lshlrev_b32_e32 v2, 20, v2
	v_and_b32_e32 v4, 0x80000000, v4
	v_lshl_add_u32 v3, v3, 23, v6
	v_or3_b32 v2, v4, v3, v2
.LBB24_500:
	s_or_b64 exec, exec, s[6:7]
	s_movk_i32 s4, 0xff
	v_and_b32_sdwa v3, v5, s4 dst_sel:DWORD dst_unused:UNUSED_PAD src0_sel:WORD_1 src1_sel:DWORD
	s_movk_i32 s4, 0x7f
	v_cmp_lt_i16_e32 vcc, s4, v3
	s_mov_b64 s[4:5], 0
                                        ; implicit-def: $sgpr10
	s_and_saveexec_b64 s[6:7], vcc
	s_xor_b64 s[6:7], exec, s[6:7]
	s_cbranch_execnz .LBB24_2549
; %bb.501:
	s_or_saveexec_b64 s[6:7], s[6:7]
	v_mov_b32_e32 v4, s10
	s_xor_b64 exec, exec, s[6:7]
	s_cbranch_execnz .LBB24_2552
.LBB24_502:
	s_or_b64 exec, exec, s[6:7]
	s_and_saveexec_b64 s[6:7], s[4:5]
	s_cbranch_execz .LBB24_504
.LBB24_503:
	v_bfe_u32 v3, v5, 16, 3
	v_ffbh_u32_e32 v7, v3
	v_min_u32_e32 v7, 32, v7
	v_lshrrev_b32_e32 v4, 19, v5
	v_subrev_u32_e32 v8, 28, v7
	v_and_b32_e32 v4, 15, v4
	v_lshlrev_b32_sdwa v8, v8, v5 dst_sel:DWORD dst_unused:UNUSED_PAD src0_sel:DWORD src1_sel:WORD_1
	v_bfe_u32 v6, v5, 19, 4
	v_sub_u32_e32 v7, 29, v7
	v_and_b32_e32 v8, 7, v8
	v_cmp_eq_u16_e32 vcc, 0, v4
	v_cndmask_b32_e32 v3, v3, v8, vcc
	v_cndmask_b32_e32 v4, v6, v7, vcc
	v_lshlrev_b32_e32 v6, 8, v5
	v_mov_b32_e32 v7, 0x3b800000
	v_lshlrev_b32_e32 v3, 20, v3
	v_and_b32_e32 v6, 0x80000000, v6
	v_lshl_add_u32 v4, v4, 23, v7
	v_or3_b32 v4, v6, v4, v3
.LBB24_504:
	s_or_b64 exec, exec, s[6:7]
	s_nop 0
	v_mfma_f32_16x16x4f32 a[0:3], v2, v4, a[0:3]
	s_movk_i32 s4, 0x7f
	v_cmp_gt_i16_sdwa s[6:7], v9, s4 src0_sel:BYTE_3 src1_sel:DWORD
	s_mov_b64 s[4:5], 0
                                        ; implicit-def: $sgpr10
	s_and_saveexec_b64 s[8:9], s[6:7]
	s_xor_b64 s[6:7], exec, s[8:9]
	s_cbranch_execnz .LBB24_2553
; %bb.505:
	s_or_saveexec_b64 s[6:7], s[6:7]
	v_mov_b32_e32 v2, s10
	s_xor_b64 exec, exec, s[6:7]
	s_cbranch_execnz .LBB24_2556
.LBB24_506:
	s_or_b64 exec, exec, s[6:7]
	s_and_saveexec_b64 s[6:7], s[4:5]
	s_cbranch_execz .LBB24_508
.LBB24_507:
	v_bfe_u32 v2, v9, 24, 3
	v_ffbh_u32_e32 v7, v2
	v_min_u32_e32 v7, 32, v7
	v_lshrrev_b32_e32 v4, 27, v9
	v_subrev_u32_e32 v8, 28, v7
	v_and_b32_e32 v4, 15, v4
	v_lshlrev_b32_sdwa v8, v8, v9 dst_sel:DWORD dst_unused:UNUSED_PAD src0_sel:DWORD src1_sel:BYTE_3
	v_bfe_u32 v6, v9, 27, 4
	v_sub_u32_e32 v7, 29, v7
	v_and_b32_e32 v8, 7, v8
	v_cmp_eq_u16_e32 vcc, 0, v4
	v_cndmask_b32_e32 v2, v2, v8, vcc
	v_cndmask_b32_e32 v4, v6, v7, vcc
	v_mov_b32_e32 v6, 0x3b800000
	v_and_b32_e32 v3, 0x80000000, v9
	v_lshlrev_b32_e32 v2, 20, v2
	v_lshl_add_u32 v4, v4, 23, v6
	v_or3_b32 v2, v3, v4, v2
.LBB24_508:
	s_or_b64 exec, exec, s[6:7]
	s_movk_i32 s4, 0x7f
	v_cmp_gt_i16_sdwa s[6:7], v5, s4 src0_sel:BYTE_3 src1_sel:DWORD
	s_mov_b64 s[4:5], 0
                                        ; implicit-def: $sgpr10
	s_and_saveexec_b64 s[8:9], s[6:7]
	s_xor_b64 s[6:7], exec, s[8:9]
	s_cbranch_execnz .LBB24_2557
; %bb.509:
	s_or_saveexec_b64 s[6:7], s[6:7]
	v_mov_b32_e32 v3, s10
	s_xor_b64 exec, exec, s[6:7]
	s_cbranch_execnz .LBB24_2560
.LBB24_510:
	s_or_b64 exec, exec, s[6:7]
	s_and_saveexec_b64 s[6:7], s[4:5]
	s_cbranch_execz .LBB24_512
.LBB24_511:
	v_bfe_u32 v3, v5, 24, 3
	v_ffbh_u32_e32 v8, v3
	v_min_u32_e32 v8, 32, v8
	v_lshrrev_b32_e32 v6, 27, v5
	v_subrev_u32_e32 v9, 28, v8
	v_and_b32_e32 v4, 0x80000000, v5
	v_and_b32_e32 v6, 15, v6
	v_bfe_u32 v7, v5, 27, 4
	v_lshlrev_b32_sdwa v5, v9, v5 dst_sel:DWORD dst_unused:UNUSED_PAD src0_sel:DWORD src1_sel:BYTE_3
	v_sub_u32_e32 v8, 29, v8
	v_and_b32_e32 v5, 7, v5
	v_cmp_eq_u16_e32 vcc, 0, v6
	v_cndmask_b32_e32 v3, v3, v5, vcc
	v_cndmask_b32_e32 v5, v7, v8, vcc
	v_mov_b32_e32 v6, 0x3b800000
	v_lshlrev_b32_e32 v3, 20, v3
	v_lshl_add_u32 v5, v5, 23, v6
	v_or3_b32 v3, v4, v5, v3
.LBB24_512:
	s_or_b64 exec, exec, s[6:7]
	s_nop 0
	v_mfma_f32_16x16x4f32 a[0:3], v2, v3, a[0:3]
	s_movk_i32 s4, 0x7f
                                        ; implicit-def: $sgpr10
	s_nop 7
	s_nop 1
	flat_store_dwordx4 v[18:19], a[0:3] offset:784
	flat_load_dwordx4 v[20:23], v[0:1] offset:8
	s_nop 0
	flat_load_dwordx2 v[18:19], v[0:1] offset:24
	s_waitcnt vmcnt(0) lgkmcnt(0)
	flat_load_dwordx4 v[14:17], v[20:21]
	flat_load_dwordx4 v[6:9], v[20:21] offset:16
	flat_load_dwordx4 v[10:13], v[22:23] offset:64
	;; [unrolled: 1-line block ×3, first 2 shown]
	s_waitcnt vmcnt(0) lgkmcnt(0)
	v_cmp_gt_i16_sdwa s[6:7], v14, s4 src0_sel:BYTE_0 src1_sel:DWORD
	s_mov_b64 s[4:5], 0
	s_and_saveexec_b64 s[8:9], s[6:7]
	s_xor_b64 s[6:7], exec, s[8:9]
	s_cbranch_execnz .LBB24_2561
; %bb.513:
	s_or_saveexec_b64 s[6:7], s[6:7]
	v_mov_b32_e32 v20, s10
	s_xor_b64 exec, exec, s[6:7]
	s_cbranch_execnz .LBB24_2564
.LBB24_514:
	s_or_b64 exec, exec, s[6:7]
	s_and_saveexec_b64 s[6:7], s[4:5]
	s_cbranch_execz .LBB24_516
.LBB24_515:
	v_and_b32_e32 v20, 7, v14
	v_ffbh_u32_e32 v22, v20
	v_min_u32_e32 v22, 32, v22
	v_lshrrev_b16_e32 v21, 3, v14
	v_subrev_u32_e32 v23, 28, v22
	v_and_b32_e32 v21, 15, v21
	v_lshlrev_b32_e32 v23, v23, v14
	v_sub_u32_e32 v22, 29, v22
	v_and_b32_e32 v23, 7, v23
	v_cmp_eq_u16_e32 vcc, 0, v21
	v_cndmask_b32_e32 v20, v20, v23, vcc
	v_cndmask_b32_e32 v21, v21, v22, vcc
	v_lshlrev_b32_e32 v22, 24, v14
	v_mov_b32_e32 v23, 0x3b800000
	v_lshlrev_b32_e32 v20, 20, v20
	v_and_b32_e32 v22, 0x80000000, v22
	v_lshl_add_u32 v21, v21, 23, v23
	v_or3_b32 v20, v22, v21, v20
.LBB24_516:
	s_or_b64 exec, exec, s[6:7]
	s_movk_i32 s4, 0x7f
	v_cmp_gt_i16_sdwa s[6:7], v10, s4 src0_sel:BYTE_0 src1_sel:DWORD
	s_mov_b64 s[4:5], 0
                                        ; implicit-def: $sgpr10
	s_and_saveexec_b64 s[8:9], s[6:7]
	s_xor_b64 s[6:7], exec, s[8:9]
	s_cbranch_execnz .LBB24_2565
; %bb.517:
	s_or_saveexec_b64 s[6:7], s[6:7]
	v_mov_b32_e32 v21, s10
	s_xor_b64 exec, exec, s[6:7]
	s_cbranch_execnz .LBB24_2568
.LBB24_518:
	s_or_b64 exec, exec, s[6:7]
	s_and_saveexec_b64 s[6:7], s[4:5]
	s_cbranch_execz .LBB24_520
.LBB24_519:
	v_and_b32_e32 v21, 7, v10
	v_ffbh_u32_e32 v23, v21
	v_min_u32_e32 v23, 32, v23
	v_lshrrev_b16_e32 v22, 3, v10
	v_subrev_u32_e32 v24, 28, v23
	v_and_b32_e32 v22, 15, v22
	v_lshlrev_b32_e32 v24, v24, v10
	v_sub_u32_e32 v23, 29, v23
	v_and_b32_e32 v24, 7, v24
	v_cmp_eq_u16_e32 vcc, 0, v22
	v_cndmask_b32_e32 v21, v21, v24, vcc
	v_cndmask_b32_e32 v22, v22, v23, vcc
	v_lshlrev_b32_e32 v23, 24, v10
	v_mov_b32_e32 v24, 0x3b800000
	v_lshlrev_b32_e32 v21, 20, v21
	v_and_b32_e32 v23, 0x80000000, v23
	v_lshl_add_u32 v22, v22, 23, v24
	v_or3_b32 v21, v23, v22, v21
.LBB24_520:
	s_or_b64 exec, exec, s[6:7]
	flat_load_dwordx4 a[0:3], v[18:19] offset:800
	s_movk_i32 s4, 0x7f
                                        ; implicit-def: $sgpr10
	s_waitcnt vmcnt(0) lgkmcnt(0)
	v_mfma_f32_16x16x4f32 a[0:3], v20, v21, a[0:3]
	v_lshrrev_b32_e32 v21, 8, v14
	v_cmp_gt_i16_sdwa s[6:7], v21, s4 src0_sel:BYTE_0 src1_sel:DWORD
	s_mov_b64 s[4:5], 0
	s_and_saveexec_b64 s[8:9], s[6:7]
	s_xor_b64 s[6:7], exec, s[8:9]
	s_cbranch_execnz .LBB24_2569
; %bb.521:
	s_or_saveexec_b64 s[6:7], s[6:7]
	v_mov_b32_e32 v20, s10
	s_xor_b64 exec, exec, s[6:7]
	s_cbranch_execnz .LBB24_2572
.LBB24_522:
	s_or_b64 exec, exec, s[6:7]
	s_and_saveexec_b64 s[6:7], s[4:5]
	s_cbranch_execz .LBB24_524
.LBB24_523:
	v_bfe_u32 v20, v14, 8, 3
	v_ffbh_u32_e32 v23, v20
	v_min_u32_e32 v23, 32, v23
	v_lshrrev_b16_e32 v22, 3, v21
	v_subrev_u32_e32 v24, 28, v23
	v_and_b32_e32 v22, 15, v22
	v_lshlrev_b32_e32 v21, v24, v21
	v_sub_u32_e32 v23, 29, v23
	v_and_b32_e32 v21, 7, v21
	v_cmp_eq_u16_e32 vcc, 0, v22
	v_cndmask_b32_e32 v20, v20, v21, vcc
	v_cndmask_b32_e32 v21, v22, v23, vcc
	v_lshlrev_b32_e32 v22, 16, v14
	v_mov_b32_e32 v23, 0x3b800000
	v_lshlrev_b32_e32 v20, 20, v20
	v_and_b32_e32 v22, 0x80000000, v22
	v_lshl_add_u32 v21, v21, 23, v23
	v_or3_b32 v20, v22, v21, v20
.LBB24_524:
	s_or_b64 exec, exec, s[6:7]
	v_lshrrev_b32_e32 v21, 8, v10
	s_movk_i32 s4, 0x7f
	v_cmp_gt_i16_sdwa s[6:7], v21, s4 src0_sel:BYTE_0 src1_sel:DWORD
	s_mov_b64 s[4:5], 0
                                        ; implicit-def: $sgpr10
	s_and_saveexec_b64 s[8:9], s[6:7]
	s_xor_b64 s[6:7], exec, s[8:9]
	s_cbranch_execnz .LBB24_2573
; %bb.525:
	s_or_saveexec_b64 s[6:7], s[6:7]
	v_mov_b32_e32 v22, s10
	s_xor_b64 exec, exec, s[6:7]
	s_cbranch_execnz .LBB24_2576
.LBB24_526:
	s_or_b64 exec, exec, s[6:7]
	s_and_saveexec_b64 s[6:7], s[4:5]
	s_cbranch_execz .LBB24_528
.LBB24_527:
	v_bfe_u32 v22, v10, 8, 3
	v_ffbh_u32_e32 v24, v22
	v_min_u32_e32 v24, 32, v24
	v_lshrrev_b16_e32 v23, 3, v21
	v_subrev_u32_e32 v25, 28, v24
	v_and_b32_e32 v23, 15, v23
	v_lshlrev_b32_e32 v21, v25, v21
	v_sub_u32_e32 v24, 29, v24
	v_and_b32_e32 v21, 7, v21
	v_cmp_eq_u16_e32 vcc, 0, v23
	v_cndmask_b32_e32 v21, v22, v21, vcc
	v_cndmask_b32_e32 v22, v23, v24, vcc
	v_lshlrev_b32_e32 v23, 16, v10
	v_mov_b32_e32 v24, 0x3b800000
	v_lshlrev_b32_e32 v21, 20, v21
	v_and_b32_e32 v23, 0x80000000, v23
	v_lshl_add_u32 v22, v22, 23, v24
	v_or3_b32 v22, v23, v22, v21
.LBB24_528:
	s_or_b64 exec, exec, s[6:7]
	s_nop 0
	v_mfma_f32_16x16x4f32 a[0:3], v20, v22, a[0:3]
	s_movk_i32 s4, 0xff
	v_and_b32_sdwa v21, v14, s4 dst_sel:DWORD dst_unused:UNUSED_PAD src0_sel:WORD_1 src1_sel:DWORD
	s_movk_i32 s4, 0x7f
	v_cmp_lt_i16_e32 vcc, s4, v21
	s_mov_b64 s[4:5], 0
                                        ; implicit-def: $sgpr10
	s_and_saveexec_b64 s[6:7], vcc
	s_xor_b64 s[6:7], exec, s[6:7]
	s_cbranch_execnz .LBB24_2577
; %bb.529:
	s_or_saveexec_b64 s[6:7], s[6:7]
	v_mov_b32_e32 v20, s10
	s_xor_b64 exec, exec, s[6:7]
	s_cbranch_execnz .LBB24_2580
.LBB24_530:
	s_or_b64 exec, exec, s[6:7]
	s_and_saveexec_b64 s[6:7], s[4:5]
	s_cbranch_execz .LBB24_532
.LBB24_531:
	v_bfe_u32 v20, v14, 16, 3
	v_ffbh_u32_e32 v23, v20
	v_min_u32_e32 v23, 32, v23
	v_lshrrev_b32_e32 v21, 19, v14
	v_subrev_u32_e32 v24, 28, v23
	v_and_b32_e32 v21, 15, v21
	v_lshlrev_b32_sdwa v24, v24, v14 dst_sel:DWORD dst_unused:UNUSED_PAD src0_sel:DWORD src1_sel:WORD_1
	v_bfe_u32 v22, v14, 19, 4
	v_sub_u32_e32 v23, 29, v23
	v_and_b32_e32 v24, 7, v24
	v_cmp_eq_u16_e32 vcc, 0, v21
	v_cndmask_b32_e32 v20, v20, v24, vcc
	v_cndmask_b32_e32 v21, v22, v23, vcc
	v_lshlrev_b32_e32 v22, 8, v14
	v_mov_b32_e32 v23, 0x3b800000
	v_lshlrev_b32_e32 v20, 20, v20
	v_and_b32_e32 v22, 0x80000000, v22
	v_lshl_add_u32 v21, v21, 23, v23
	v_or3_b32 v20, v22, v21, v20
.LBB24_532:
	s_or_b64 exec, exec, s[6:7]
	s_movk_i32 s4, 0xff
	v_and_b32_sdwa v21, v10, s4 dst_sel:DWORD dst_unused:UNUSED_PAD src0_sel:WORD_1 src1_sel:DWORD
	s_movk_i32 s4, 0x7f
	v_cmp_lt_i16_e32 vcc, s4, v21
	s_mov_b64 s[4:5], 0
                                        ; implicit-def: $sgpr10
	s_and_saveexec_b64 s[6:7], vcc
	s_xor_b64 s[6:7], exec, s[6:7]
	s_cbranch_execnz .LBB24_2581
; %bb.533:
	s_or_saveexec_b64 s[6:7], s[6:7]
	v_mov_b32_e32 v22, s10
	s_xor_b64 exec, exec, s[6:7]
	s_cbranch_execnz .LBB24_2584
.LBB24_534:
	s_or_b64 exec, exec, s[6:7]
	s_and_saveexec_b64 s[6:7], s[4:5]
	s_cbranch_execz .LBB24_536
.LBB24_535:
	v_bfe_u32 v21, v10, 16, 3
	v_ffbh_u32_e32 v24, v21
	v_min_u32_e32 v24, 32, v24
	v_lshrrev_b32_e32 v22, 19, v10
	v_subrev_u32_e32 v25, 28, v24
	v_and_b32_e32 v22, 15, v22
	v_lshlrev_b32_sdwa v25, v25, v10 dst_sel:DWORD dst_unused:UNUSED_PAD src0_sel:DWORD src1_sel:WORD_1
	v_bfe_u32 v23, v10, 19, 4
	v_sub_u32_e32 v24, 29, v24
	v_and_b32_e32 v25, 7, v25
	v_cmp_eq_u16_e32 vcc, 0, v22
	v_cndmask_b32_e32 v21, v21, v25, vcc
	v_cndmask_b32_e32 v22, v23, v24, vcc
	v_lshlrev_b32_e32 v23, 8, v10
	v_mov_b32_e32 v24, 0x3b800000
	v_lshlrev_b32_e32 v21, 20, v21
	v_and_b32_e32 v23, 0x80000000, v23
	v_lshl_add_u32 v22, v22, 23, v24
	v_or3_b32 v22, v23, v22, v21
.LBB24_536:
	s_or_b64 exec, exec, s[6:7]
	s_nop 0
	v_mfma_f32_16x16x4f32 a[0:3], v20, v22, a[0:3]
	s_movk_i32 s4, 0x7f
	v_cmp_gt_i16_sdwa s[6:7], v14, s4 src0_sel:BYTE_3 src1_sel:DWORD
	s_mov_b64 s[4:5], 0
                                        ; implicit-def: $sgpr10
	s_and_saveexec_b64 s[8:9], s[6:7]
	s_xor_b64 s[6:7], exec, s[8:9]
	s_cbranch_execnz .LBB24_2585
; %bb.537:
	s_or_saveexec_b64 s[6:7], s[6:7]
	v_mov_b32_e32 v20, s10
	s_xor_b64 exec, exec, s[6:7]
	s_cbranch_execnz .LBB24_2588
.LBB24_538:
	s_or_b64 exec, exec, s[6:7]
	s_and_saveexec_b64 s[6:7], s[4:5]
	s_cbranch_execz .LBB24_540
.LBB24_539:
	v_bfe_u32 v20, v14, 24, 3
	v_ffbh_u32_e32 v24, v20
	v_min_u32_e32 v24, 32, v24
	v_lshrrev_b32_e32 v22, 27, v14
	v_subrev_u32_e32 v25, 28, v24
	v_and_b32_e32 v21, 0x80000000, v14
	v_and_b32_e32 v22, 15, v22
	v_bfe_u32 v23, v14, 27, 4
	v_lshlrev_b32_sdwa v14, v25, v14 dst_sel:DWORD dst_unused:UNUSED_PAD src0_sel:DWORD src1_sel:BYTE_3
	v_sub_u32_e32 v24, 29, v24
	v_and_b32_e32 v14, 7, v14
	v_cmp_eq_u16_e32 vcc, 0, v22
	v_cndmask_b32_e32 v14, v20, v14, vcc
	v_cndmask_b32_e32 v20, v23, v24, vcc
	v_mov_b32_e32 v22, 0x3b800000
	v_lshlrev_b32_e32 v14, 20, v14
	v_lshl_add_u32 v20, v20, 23, v22
	v_or3_b32 v20, v21, v20, v14
.LBB24_540:
	s_or_b64 exec, exec, s[6:7]
	s_movk_i32 s4, 0x7f
	v_cmp_gt_i16_sdwa s[6:7], v10, s4 src0_sel:BYTE_3 src1_sel:DWORD
	s_mov_b64 s[4:5], 0
                                        ; implicit-def: $sgpr10
	s_and_saveexec_b64 s[8:9], s[6:7]
	s_xor_b64 s[6:7], exec, s[8:9]
	s_cbranch_execnz .LBB24_2589
; %bb.541:
	s_or_saveexec_b64 s[6:7], s[6:7]
	v_mov_b32_e32 v14, s10
	s_xor_b64 exec, exec, s[6:7]
	s_cbranch_execnz .LBB24_2592
.LBB24_542:
	s_or_b64 exec, exec, s[6:7]
	s_and_saveexec_b64 s[6:7], s[4:5]
	s_cbranch_execz .LBB24_544
.LBB24_543:
	v_bfe_u32 v14, v10, 24, 3
	v_ffbh_u32_e32 v24, v14
	v_min_u32_e32 v24, 32, v24
	v_lshrrev_b32_e32 v22, 27, v10
	v_subrev_u32_e32 v25, 28, v24
	v_and_b32_e32 v21, 0x80000000, v10
	v_and_b32_e32 v22, 15, v22
	v_bfe_u32 v23, v10, 27, 4
	v_lshlrev_b32_sdwa v10, v25, v10 dst_sel:DWORD dst_unused:UNUSED_PAD src0_sel:DWORD src1_sel:BYTE_3
	v_sub_u32_e32 v24, 29, v24
	v_and_b32_e32 v10, 7, v10
	v_cmp_eq_u16_e32 vcc, 0, v22
	v_cndmask_b32_e32 v10, v14, v10, vcc
	v_cndmask_b32_e32 v14, v23, v24, vcc
	v_mov_b32_e32 v22, 0x3b800000
	v_lshlrev_b32_e32 v10, 20, v10
	v_lshl_add_u32 v14, v14, 23, v22
	v_or3_b32 v14, v21, v14, v10
.LBB24_544:
	s_or_b64 exec, exec, s[6:7]
	s_nop 0
	v_mfma_f32_16x16x4f32 a[0:3], v20, v14, a[0:3]
	s_movk_i32 s4, 0x7f
	v_cmp_gt_i16_sdwa s[6:7], v15, s4 src0_sel:BYTE_0 src1_sel:DWORD
	s_mov_b64 s[4:5], 0
                                        ; implicit-def: $sgpr10
	s_and_saveexec_b64 s[8:9], s[6:7]
	s_xor_b64 s[6:7], exec, s[8:9]
	s_cbranch_execnz .LBB24_2593
; %bb.545:
	s_or_saveexec_b64 s[6:7], s[6:7]
	v_mov_b32_e32 v10, s10
	s_xor_b64 exec, exec, s[6:7]
	s_cbranch_execnz .LBB24_2596
.LBB24_546:
	s_or_b64 exec, exec, s[6:7]
	s_and_saveexec_b64 s[6:7], s[4:5]
	s_cbranch_execz .LBB24_548
.LBB24_547:
	v_and_b32_e32 v10, 7, v15
	v_ffbh_u32_e32 v20, v10
	v_min_u32_e32 v20, 32, v20
	v_lshrrev_b16_e32 v14, 3, v15
	v_subrev_u32_e32 v21, 28, v20
	v_and_b32_e32 v14, 15, v14
	v_lshlrev_b32_e32 v21, v21, v15
	v_sub_u32_e32 v20, 29, v20
	v_and_b32_e32 v21, 7, v21
	v_cmp_eq_u16_e32 vcc, 0, v14
	v_cndmask_b32_e32 v10, v10, v21, vcc
	v_cndmask_b32_e32 v14, v14, v20, vcc
	v_lshlrev_b32_e32 v20, 24, v15
	v_mov_b32_e32 v21, 0x3b800000
	v_lshlrev_b32_e32 v10, 20, v10
	v_and_b32_e32 v20, 0x80000000, v20
	v_lshl_add_u32 v14, v14, 23, v21
	v_or3_b32 v10, v20, v14, v10
.LBB24_548:
	s_or_b64 exec, exec, s[6:7]
	s_movk_i32 s4, 0x7f
	v_cmp_gt_i16_sdwa s[6:7], v11, s4 src0_sel:BYTE_0 src1_sel:DWORD
	s_mov_b64 s[4:5], 0
                                        ; implicit-def: $sgpr10
	s_and_saveexec_b64 s[8:9], s[6:7]
	s_xor_b64 s[6:7], exec, s[8:9]
	s_cbranch_execnz .LBB24_2597
; %bb.549:
	s_or_saveexec_b64 s[6:7], s[6:7]
	v_mov_b32_e32 v14, s10
	s_xor_b64 exec, exec, s[6:7]
	s_cbranch_execnz .LBB24_2600
.LBB24_550:
	s_or_b64 exec, exec, s[6:7]
	s_and_saveexec_b64 s[6:7], s[4:5]
	s_cbranch_execz .LBB24_552
.LBB24_551:
	v_and_b32_e32 v14, 7, v11
	v_ffbh_u32_e32 v21, v14
	v_min_u32_e32 v21, 32, v21
	v_lshrrev_b16_e32 v20, 3, v11
	v_subrev_u32_e32 v22, 28, v21
	v_and_b32_e32 v20, 15, v20
	v_lshlrev_b32_e32 v22, v22, v11
	v_sub_u32_e32 v21, 29, v21
	v_and_b32_e32 v22, 7, v22
	v_cmp_eq_u16_e32 vcc, 0, v20
	v_cndmask_b32_e32 v14, v14, v22, vcc
	v_cndmask_b32_e32 v20, v20, v21, vcc
	v_lshlrev_b32_e32 v21, 24, v11
	v_mov_b32_e32 v22, 0x3b800000
	v_lshlrev_b32_e32 v14, 20, v14
	v_and_b32_e32 v21, 0x80000000, v21
	v_lshl_add_u32 v20, v20, 23, v22
	v_or3_b32 v14, v21, v20, v14
.LBB24_552:
	s_or_b64 exec, exec, s[6:7]
	s_nop 0
	v_mfma_f32_16x16x4f32 a[0:3], v10, v14, a[0:3]
	v_lshrrev_b32_e32 v14, 8, v15
	s_movk_i32 s4, 0x7f
	v_cmp_gt_i16_sdwa s[6:7], v14, s4 src0_sel:BYTE_0 src1_sel:DWORD
	s_mov_b64 s[4:5], 0
                                        ; implicit-def: $sgpr10
	s_and_saveexec_b64 s[8:9], s[6:7]
	s_xor_b64 s[6:7], exec, s[8:9]
	s_cbranch_execnz .LBB24_2601
; %bb.553:
	s_or_saveexec_b64 s[6:7], s[6:7]
	v_mov_b32_e32 v10, s10
	s_xor_b64 exec, exec, s[6:7]
	s_cbranch_execnz .LBB24_2604
.LBB24_554:
	s_or_b64 exec, exec, s[6:7]
	s_and_saveexec_b64 s[6:7], s[4:5]
	s_cbranch_execz .LBB24_556
.LBB24_555:
	v_bfe_u32 v10, v15, 8, 3
	v_ffbh_u32_e32 v21, v10
	v_min_u32_e32 v21, 32, v21
	v_lshrrev_b16_e32 v20, 3, v14
	v_subrev_u32_e32 v22, 28, v21
	v_and_b32_e32 v20, 15, v20
	v_lshlrev_b32_e32 v14, v22, v14
	v_sub_u32_e32 v21, 29, v21
	v_and_b32_e32 v14, 7, v14
	v_cmp_eq_u16_e32 vcc, 0, v20
	v_cndmask_b32_e32 v10, v10, v14, vcc
	v_cndmask_b32_e32 v14, v20, v21, vcc
	v_lshlrev_b32_e32 v20, 16, v15
	v_mov_b32_e32 v21, 0x3b800000
	v_lshlrev_b32_e32 v10, 20, v10
	v_and_b32_e32 v20, 0x80000000, v20
	v_lshl_add_u32 v14, v14, 23, v21
	v_or3_b32 v10, v20, v14, v10
.LBB24_556:
	s_or_b64 exec, exec, s[6:7]
	v_lshrrev_b32_e32 v14, 8, v11
	s_movk_i32 s4, 0x7f
	v_cmp_gt_i16_sdwa s[6:7], v14, s4 src0_sel:BYTE_0 src1_sel:DWORD
	s_mov_b64 s[4:5], 0
                                        ; implicit-def: $sgpr10
	s_and_saveexec_b64 s[8:9], s[6:7]
	s_xor_b64 s[6:7], exec, s[8:9]
	s_cbranch_execnz .LBB24_2605
; %bb.557:
	s_or_saveexec_b64 s[6:7], s[6:7]
	v_mov_b32_e32 v20, s10
	s_xor_b64 exec, exec, s[6:7]
	s_cbranch_execnz .LBB24_2608
.LBB24_558:
	s_or_b64 exec, exec, s[6:7]
	s_and_saveexec_b64 s[6:7], s[4:5]
	s_cbranch_execz .LBB24_560
.LBB24_559:
	v_bfe_u32 v20, v11, 8, 3
	v_ffbh_u32_e32 v22, v20
	v_min_u32_e32 v22, 32, v22
	v_lshrrev_b16_e32 v21, 3, v14
	v_subrev_u32_e32 v23, 28, v22
	v_and_b32_e32 v21, 15, v21
	v_lshlrev_b32_e32 v14, v23, v14
	v_sub_u32_e32 v22, 29, v22
	v_and_b32_e32 v14, 7, v14
	v_cmp_eq_u16_e32 vcc, 0, v21
	v_cndmask_b32_e32 v14, v20, v14, vcc
	v_cndmask_b32_e32 v20, v21, v22, vcc
	v_lshlrev_b32_e32 v21, 16, v11
	v_mov_b32_e32 v22, 0x3b800000
	v_lshlrev_b32_e32 v14, 20, v14
	v_and_b32_e32 v21, 0x80000000, v21
	v_lshl_add_u32 v20, v20, 23, v22
	v_or3_b32 v20, v21, v20, v14
.LBB24_560:
	s_or_b64 exec, exec, s[6:7]
	s_nop 0
	v_mfma_f32_16x16x4f32 a[0:3], v10, v20, a[0:3]
	s_movk_i32 s4, 0xff
	v_and_b32_sdwa v14, v15, s4 dst_sel:DWORD dst_unused:UNUSED_PAD src0_sel:WORD_1 src1_sel:DWORD
	s_movk_i32 s4, 0x7f
	v_cmp_lt_i16_e32 vcc, s4, v14
	s_mov_b64 s[4:5], 0
                                        ; implicit-def: $sgpr10
	s_and_saveexec_b64 s[6:7], vcc
	s_xor_b64 s[6:7], exec, s[6:7]
	s_cbranch_execnz .LBB24_2609
; %bb.561:
	s_or_saveexec_b64 s[6:7], s[6:7]
	v_mov_b32_e32 v10, s10
	s_xor_b64 exec, exec, s[6:7]
	s_cbranch_execnz .LBB24_2612
.LBB24_562:
	s_or_b64 exec, exec, s[6:7]
	s_and_saveexec_b64 s[6:7], s[4:5]
	s_cbranch_execz .LBB24_564
.LBB24_563:
	v_bfe_u32 v10, v15, 16, 3
	v_ffbh_u32_e32 v21, v10
	v_min_u32_e32 v21, 32, v21
	v_lshrrev_b32_e32 v14, 19, v15
	v_subrev_u32_e32 v22, 28, v21
	v_and_b32_e32 v14, 15, v14
	v_lshlrev_b32_sdwa v22, v22, v15 dst_sel:DWORD dst_unused:UNUSED_PAD src0_sel:DWORD src1_sel:WORD_1
	v_bfe_u32 v20, v15, 19, 4
	v_sub_u32_e32 v21, 29, v21
	v_and_b32_e32 v22, 7, v22
	v_cmp_eq_u16_e32 vcc, 0, v14
	v_cndmask_b32_e32 v10, v10, v22, vcc
	v_cndmask_b32_e32 v14, v20, v21, vcc
	v_lshlrev_b32_e32 v20, 8, v15
	v_mov_b32_e32 v21, 0x3b800000
	v_lshlrev_b32_e32 v10, 20, v10
	v_and_b32_e32 v20, 0x80000000, v20
	v_lshl_add_u32 v14, v14, 23, v21
	v_or3_b32 v10, v20, v14, v10
.LBB24_564:
	s_or_b64 exec, exec, s[6:7]
	s_movk_i32 s4, 0xff
	v_and_b32_sdwa v14, v11, s4 dst_sel:DWORD dst_unused:UNUSED_PAD src0_sel:WORD_1 src1_sel:DWORD
	s_movk_i32 s4, 0x7f
	v_cmp_lt_i16_e32 vcc, s4, v14
	s_mov_b64 s[4:5], 0
                                        ; implicit-def: $sgpr10
	s_and_saveexec_b64 s[6:7], vcc
	s_xor_b64 s[6:7], exec, s[6:7]
	s_cbranch_execnz .LBB24_2613
; %bb.565:
	s_or_saveexec_b64 s[6:7], s[6:7]
	v_mov_b32_e32 v20, s10
	s_xor_b64 exec, exec, s[6:7]
	s_cbranch_execnz .LBB24_2616
.LBB24_566:
	s_or_b64 exec, exec, s[6:7]
	s_and_saveexec_b64 s[6:7], s[4:5]
	s_cbranch_execz .LBB24_568
.LBB24_567:
	v_bfe_u32 v14, v11, 16, 3
	v_ffbh_u32_e32 v22, v14
	v_min_u32_e32 v22, 32, v22
	v_lshrrev_b32_e32 v20, 19, v11
	v_subrev_u32_e32 v23, 28, v22
	v_and_b32_e32 v20, 15, v20
	v_lshlrev_b32_sdwa v23, v23, v11 dst_sel:DWORD dst_unused:UNUSED_PAD src0_sel:DWORD src1_sel:WORD_1
	v_bfe_u32 v21, v11, 19, 4
	v_sub_u32_e32 v22, 29, v22
	v_and_b32_e32 v23, 7, v23
	v_cmp_eq_u16_e32 vcc, 0, v20
	v_cndmask_b32_e32 v14, v14, v23, vcc
	v_cndmask_b32_e32 v20, v21, v22, vcc
	v_lshlrev_b32_e32 v21, 8, v11
	v_mov_b32_e32 v22, 0x3b800000
	v_lshlrev_b32_e32 v14, 20, v14
	v_and_b32_e32 v21, 0x80000000, v21
	v_lshl_add_u32 v20, v20, 23, v22
	v_or3_b32 v20, v21, v20, v14
.LBB24_568:
	s_or_b64 exec, exec, s[6:7]
	s_nop 0
	v_mfma_f32_16x16x4f32 a[0:3], v10, v20, a[0:3]
	s_movk_i32 s4, 0x7f
	v_cmp_gt_i16_sdwa s[6:7], v15, s4 src0_sel:BYTE_3 src1_sel:DWORD
	s_mov_b64 s[4:5], 0
                                        ; implicit-def: $sgpr10
	s_and_saveexec_b64 s[8:9], s[6:7]
	s_xor_b64 s[6:7], exec, s[8:9]
	s_cbranch_execnz .LBB24_2617
; %bb.569:
	s_or_saveexec_b64 s[6:7], s[6:7]
	v_mov_b32_e32 v10, s10
	s_xor_b64 exec, exec, s[6:7]
	s_cbranch_execnz .LBB24_2620
.LBB24_570:
	s_or_b64 exec, exec, s[6:7]
	s_and_saveexec_b64 s[6:7], s[4:5]
	s_cbranch_execz .LBB24_572
.LBB24_571:
	v_bfe_u32 v10, v15, 24, 3
	v_ffbh_u32_e32 v22, v10
	v_min_u32_e32 v22, 32, v22
	v_lshrrev_b32_e32 v20, 27, v15
	v_subrev_u32_e32 v23, 28, v22
	v_and_b32_e32 v14, 0x80000000, v15
	v_and_b32_e32 v20, 15, v20
	v_bfe_u32 v21, v15, 27, 4
	v_lshlrev_b32_sdwa v15, v23, v15 dst_sel:DWORD dst_unused:UNUSED_PAD src0_sel:DWORD src1_sel:BYTE_3
	v_sub_u32_e32 v22, 29, v22
	v_and_b32_e32 v15, 7, v15
	v_cmp_eq_u16_e32 vcc, 0, v20
	v_cndmask_b32_e32 v10, v10, v15, vcc
	v_cndmask_b32_e32 v15, v21, v22, vcc
	v_mov_b32_e32 v20, 0x3b800000
	v_lshlrev_b32_e32 v10, 20, v10
	v_lshl_add_u32 v15, v15, 23, v20
	v_or3_b32 v10, v14, v15, v10
.LBB24_572:
	s_or_b64 exec, exec, s[6:7]
	s_movk_i32 s4, 0x7f
	v_cmp_gt_i16_sdwa s[6:7], v11, s4 src0_sel:BYTE_3 src1_sel:DWORD
	s_mov_b64 s[4:5], 0
                                        ; implicit-def: $sgpr10
	s_and_saveexec_b64 s[8:9], s[6:7]
	s_xor_b64 s[6:7], exec, s[8:9]
	s_cbranch_execnz .LBB24_2621
; %bb.573:
	s_or_saveexec_b64 s[6:7], s[6:7]
	v_mov_b32_e32 v14, s10
	s_xor_b64 exec, exec, s[6:7]
	s_cbranch_execnz .LBB24_2624
.LBB24_574:
	s_or_b64 exec, exec, s[6:7]
	s_and_saveexec_b64 s[6:7], s[4:5]
	s_cbranch_execz .LBB24_576
.LBB24_575:
	v_bfe_u32 v14, v11, 24, 3
	v_ffbh_u32_e32 v22, v14
	v_min_u32_e32 v22, 32, v22
	v_lshrrev_b32_e32 v20, 27, v11
	v_subrev_u32_e32 v23, 28, v22
	v_and_b32_e32 v15, 0x80000000, v11
	v_and_b32_e32 v20, 15, v20
	v_bfe_u32 v21, v11, 27, 4
	v_lshlrev_b32_sdwa v11, v23, v11 dst_sel:DWORD dst_unused:UNUSED_PAD src0_sel:DWORD src1_sel:BYTE_3
	v_sub_u32_e32 v22, 29, v22
	v_and_b32_e32 v11, 7, v11
	v_cmp_eq_u16_e32 vcc, 0, v20
	v_cndmask_b32_e32 v11, v14, v11, vcc
	v_cndmask_b32_e32 v14, v21, v22, vcc
	v_mov_b32_e32 v20, 0x3b800000
	v_lshlrev_b32_e32 v11, 20, v11
	v_lshl_add_u32 v14, v14, 23, v20
	v_or3_b32 v14, v15, v14, v11
.LBB24_576:
	s_or_b64 exec, exec, s[6:7]
	s_nop 0
	v_mfma_f32_16x16x4f32 a[0:3], v10, v14, a[0:3]
	s_movk_i32 s4, 0x7f
	v_cmp_gt_i16_sdwa s[6:7], v16, s4 src0_sel:BYTE_0 src1_sel:DWORD
	s_mov_b64 s[4:5], 0
                                        ; implicit-def: $sgpr10
	s_and_saveexec_b64 s[8:9], s[6:7]
	s_xor_b64 s[6:7], exec, s[8:9]
	s_cbranch_execnz .LBB24_2625
; %bb.577:
	s_or_saveexec_b64 s[6:7], s[6:7]
	v_mov_b32_e32 v10, s10
	s_xor_b64 exec, exec, s[6:7]
	s_cbranch_execnz .LBB24_2628
.LBB24_578:
	s_or_b64 exec, exec, s[6:7]
	s_and_saveexec_b64 s[6:7], s[4:5]
	s_cbranch_execz .LBB24_580
.LBB24_579:
	v_and_b32_e32 v10, 7, v16
	v_ffbh_u32_e32 v14, v10
	v_min_u32_e32 v14, 32, v14
	v_lshrrev_b16_e32 v11, 3, v16
	v_subrev_u32_e32 v15, 28, v14
	v_and_b32_e32 v11, 15, v11
	v_lshlrev_b32_e32 v15, v15, v16
	v_sub_u32_e32 v14, 29, v14
	v_and_b32_e32 v15, 7, v15
	v_cmp_eq_u16_e32 vcc, 0, v11
	v_cndmask_b32_e32 v10, v10, v15, vcc
	v_cndmask_b32_e32 v11, v11, v14, vcc
	v_lshlrev_b32_e32 v14, 24, v16
	v_mov_b32_e32 v15, 0x3b800000
	v_lshlrev_b32_e32 v10, 20, v10
	v_and_b32_e32 v14, 0x80000000, v14
	v_lshl_add_u32 v11, v11, 23, v15
	v_or3_b32 v10, v14, v11, v10
.LBB24_580:
	s_or_b64 exec, exec, s[6:7]
	s_movk_i32 s4, 0x7f
	v_cmp_gt_i16_sdwa s[6:7], v12, s4 src0_sel:BYTE_0 src1_sel:DWORD
	s_mov_b64 s[4:5], 0
                                        ; implicit-def: $sgpr10
	s_and_saveexec_b64 s[8:9], s[6:7]
	s_xor_b64 s[6:7], exec, s[8:9]
	s_cbranch_execnz .LBB24_2629
; %bb.581:
	s_or_saveexec_b64 s[6:7], s[6:7]
	v_mov_b32_e32 v11, s10
	s_xor_b64 exec, exec, s[6:7]
	s_cbranch_execnz .LBB24_2632
.LBB24_582:
	s_or_b64 exec, exec, s[6:7]
	s_and_saveexec_b64 s[6:7], s[4:5]
	s_cbranch_execz .LBB24_584
.LBB24_583:
	v_and_b32_e32 v11, 7, v12
	v_ffbh_u32_e32 v15, v11
	v_min_u32_e32 v15, 32, v15
	v_lshrrev_b16_e32 v14, 3, v12
	v_subrev_u32_e32 v20, 28, v15
	v_and_b32_e32 v14, 15, v14
	v_lshlrev_b32_e32 v20, v20, v12
	v_sub_u32_e32 v15, 29, v15
	v_and_b32_e32 v20, 7, v20
	v_cmp_eq_u16_e32 vcc, 0, v14
	v_cndmask_b32_e32 v11, v11, v20, vcc
	v_cndmask_b32_e32 v14, v14, v15, vcc
	v_lshlrev_b32_e32 v15, 24, v12
	v_mov_b32_e32 v20, 0x3b800000
	v_lshlrev_b32_e32 v11, 20, v11
	v_and_b32_e32 v15, 0x80000000, v15
	v_lshl_add_u32 v14, v14, 23, v20
	v_or3_b32 v11, v15, v14, v11
.LBB24_584:
	s_or_b64 exec, exec, s[6:7]
	s_nop 0
	v_mfma_f32_16x16x4f32 a[0:3], v10, v11, a[0:3]
	v_lshrrev_b32_e32 v11, 8, v16
	s_movk_i32 s4, 0x7f
	v_cmp_gt_i16_sdwa s[6:7], v11, s4 src0_sel:BYTE_0 src1_sel:DWORD
	s_mov_b64 s[4:5], 0
                                        ; implicit-def: $sgpr10
	s_and_saveexec_b64 s[8:9], s[6:7]
	s_xor_b64 s[6:7], exec, s[8:9]
	s_cbranch_execnz .LBB24_2633
; %bb.585:
	s_or_saveexec_b64 s[6:7], s[6:7]
	v_mov_b32_e32 v10, s10
	s_xor_b64 exec, exec, s[6:7]
	s_cbranch_execnz .LBB24_2636
.LBB24_586:
	s_or_b64 exec, exec, s[6:7]
	s_and_saveexec_b64 s[6:7], s[4:5]
	s_cbranch_execz .LBB24_588
.LBB24_587:
	v_bfe_u32 v10, v16, 8, 3
	v_ffbh_u32_e32 v15, v10
	v_min_u32_e32 v15, 32, v15
	v_lshrrev_b16_e32 v14, 3, v11
	v_subrev_u32_e32 v20, 28, v15
	v_and_b32_e32 v14, 15, v14
	v_lshlrev_b32_e32 v11, v20, v11
	v_sub_u32_e32 v15, 29, v15
	v_and_b32_e32 v11, 7, v11
	v_cmp_eq_u16_e32 vcc, 0, v14
	v_cndmask_b32_e32 v10, v10, v11, vcc
	v_cndmask_b32_e32 v11, v14, v15, vcc
	v_lshlrev_b32_e32 v14, 16, v16
	v_mov_b32_e32 v15, 0x3b800000
	v_lshlrev_b32_e32 v10, 20, v10
	v_and_b32_e32 v14, 0x80000000, v14
	v_lshl_add_u32 v11, v11, 23, v15
	v_or3_b32 v10, v14, v11, v10
.LBB24_588:
	s_or_b64 exec, exec, s[6:7]
	v_lshrrev_b32_e32 v11, 8, v12
	s_movk_i32 s4, 0x7f
	v_cmp_gt_i16_sdwa s[6:7], v11, s4 src0_sel:BYTE_0 src1_sel:DWORD
	s_mov_b64 s[4:5], 0
                                        ; implicit-def: $sgpr10
	s_and_saveexec_b64 s[8:9], s[6:7]
	s_xor_b64 s[6:7], exec, s[8:9]
	s_cbranch_execnz .LBB24_2637
; %bb.589:
	s_or_saveexec_b64 s[6:7], s[6:7]
	v_mov_b32_e32 v14, s10
	s_xor_b64 exec, exec, s[6:7]
	s_cbranch_execnz .LBB24_2640
.LBB24_590:
	s_or_b64 exec, exec, s[6:7]
	s_and_saveexec_b64 s[6:7], s[4:5]
	s_cbranch_execz .LBB24_592
.LBB24_591:
	v_bfe_u32 v14, v12, 8, 3
	v_ffbh_u32_e32 v20, v14
	v_min_u32_e32 v20, 32, v20
	v_lshrrev_b16_e32 v15, 3, v11
	v_subrev_u32_e32 v21, 28, v20
	v_and_b32_e32 v15, 15, v15
	v_lshlrev_b32_e32 v11, v21, v11
	v_sub_u32_e32 v20, 29, v20
	v_and_b32_e32 v11, 7, v11
	v_cmp_eq_u16_e32 vcc, 0, v15
	v_cndmask_b32_e32 v11, v14, v11, vcc
	v_cndmask_b32_e32 v14, v15, v20, vcc
	v_lshlrev_b32_e32 v15, 16, v12
	v_mov_b32_e32 v20, 0x3b800000
	v_lshlrev_b32_e32 v11, 20, v11
	v_and_b32_e32 v15, 0x80000000, v15
	v_lshl_add_u32 v14, v14, 23, v20
	v_or3_b32 v14, v15, v14, v11
.LBB24_592:
	s_or_b64 exec, exec, s[6:7]
	s_nop 0
	v_mfma_f32_16x16x4f32 a[0:3], v10, v14, a[0:3]
	s_movk_i32 s4, 0xff
	v_and_b32_sdwa v11, v16, s4 dst_sel:DWORD dst_unused:UNUSED_PAD src0_sel:WORD_1 src1_sel:DWORD
	s_movk_i32 s4, 0x7f
	v_cmp_lt_i16_e32 vcc, s4, v11
	s_mov_b64 s[4:5], 0
                                        ; implicit-def: $sgpr10
	s_and_saveexec_b64 s[6:7], vcc
	s_xor_b64 s[6:7], exec, s[6:7]
	s_cbranch_execnz .LBB24_2641
; %bb.593:
	s_or_saveexec_b64 s[6:7], s[6:7]
	v_mov_b32_e32 v10, s10
	s_xor_b64 exec, exec, s[6:7]
	s_cbranch_execnz .LBB24_2644
.LBB24_594:
	s_or_b64 exec, exec, s[6:7]
	s_and_saveexec_b64 s[6:7], s[4:5]
	s_cbranch_execz .LBB24_596
.LBB24_595:
	v_bfe_u32 v10, v16, 16, 3
	v_ffbh_u32_e32 v15, v10
	v_min_u32_e32 v15, 32, v15
	v_lshrrev_b32_e32 v11, 19, v16
	v_subrev_u32_e32 v20, 28, v15
	v_and_b32_e32 v11, 15, v11
	v_lshlrev_b32_sdwa v20, v20, v16 dst_sel:DWORD dst_unused:UNUSED_PAD src0_sel:DWORD src1_sel:WORD_1
	v_bfe_u32 v14, v16, 19, 4
	v_sub_u32_e32 v15, 29, v15
	v_and_b32_e32 v20, 7, v20
	v_cmp_eq_u16_e32 vcc, 0, v11
	v_cndmask_b32_e32 v10, v10, v20, vcc
	v_cndmask_b32_e32 v11, v14, v15, vcc
	v_lshlrev_b32_e32 v14, 8, v16
	v_mov_b32_e32 v15, 0x3b800000
	v_lshlrev_b32_e32 v10, 20, v10
	v_and_b32_e32 v14, 0x80000000, v14
	v_lshl_add_u32 v11, v11, 23, v15
	v_or3_b32 v10, v14, v11, v10
.LBB24_596:
	s_or_b64 exec, exec, s[6:7]
	s_movk_i32 s4, 0xff
	v_and_b32_sdwa v11, v12, s4 dst_sel:DWORD dst_unused:UNUSED_PAD src0_sel:WORD_1 src1_sel:DWORD
	s_movk_i32 s4, 0x7f
	v_cmp_lt_i16_e32 vcc, s4, v11
	s_mov_b64 s[4:5], 0
                                        ; implicit-def: $sgpr10
	s_and_saveexec_b64 s[6:7], vcc
	s_xor_b64 s[6:7], exec, s[6:7]
	s_cbranch_execnz .LBB24_2645
; %bb.597:
	s_or_saveexec_b64 s[6:7], s[6:7]
	v_mov_b32_e32 v14, s10
	s_xor_b64 exec, exec, s[6:7]
	s_cbranch_execnz .LBB24_2648
.LBB24_598:
	s_or_b64 exec, exec, s[6:7]
	s_and_saveexec_b64 s[6:7], s[4:5]
	s_cbranch_execz .LBB24_600
.LBB24_599:
	v_bfe_u32 v11, v12, 16, 3
	v_ffbh_u32_e32 v20, v11
	v_min_u32_e32 v20, 32, v20
	v_lshrrev_b32_e32 v14, 19, v12
	v_subrev_u32_e32 v21, 28, v20
	v_and_b32_e32 v14, 15, v14
	v_lshlrev_b32_sdwa v21, v21, v12 dst_sel:DWORD dst_unused:UNUSED_PAD src0_sel:DWORD src1_sel:WORD_1
	v_bfe_u32 v15, v12, 19, 4
	v_sub_u32_e32 v20, 29, v20
	v_and_b32_e32 v21, 7, v21
	v_cmp_eq_u16_e32 vcc, 0, v14
	v_cndmask_b32_e32 v11, v11, v21, vcc
	v_cndmask_b32_e32 v14, v15, v20, vcc
	v_lshlrev_b32_e32 v15, 8, v12
	v_mov_b32_e32 v20, 0x3b800000
	v_lshlrev_b32_e32 v11, 20, v11
	v_and_b32_e32 v15, 0x80000000, v15
	v_lshl_add_u32 v14, v14, 23, v20
	v_or3_b32 v14, v15, v14, v11
.LBB24_600:
	s_or_b64 exec, exec, s[6:7]
	s_nop 0
	v_mfma_f32_16x16x4f32 a[0:3], v10, v14, a[0:3]
	s_movk_i32 s4, 0x7f
	v_cmp_gt_i16_sdwa s[6:7], v16, s4 src0_sel:BYTE_3 src1_sel:DWORD
	s_mov_b64 s[4:5], 0
                                        ; implicit-def: $sgpr10
	s_and_saveexec_b64 s[8:9], s[6:7]
	s_xor_b64 s[6:7], exec, s[8:9]
	s_cbranch_execnz .LBB24_2649
; %bb.601:
	s_or_saveexec_b64 s[6:7], s[6:7]
	v_mov_b32_e32 v10, s10
	s_xor_b64 exec, exec, s[6:7]
	s_cbranch_execnz .LBB24_2652
.LBB24_602:
	s_or_b64 exec, exec, s[6:7]
	s_and_saveexec_b64 s[6:7], s[4:5]
	s_cbranch_execz .LBB24_604
.LBB24_603:
	v_bfe_u32 v10, v16, 24, 3
	v_ffbh_u32_e32 v20, v10
	v_min_u32_e32 v20, 32, v20
	v_lshrrev_b32_e32 v14, 27, v16
	v_subrev_u32_e32 v21, 28, v20
	v_and_b32_e32 v11, 0x80000000, v16
	v_and_b32_e32 v14, 15, v14
	v_bfe_u32 v15, v16, 27, 4
	v_lshlrev_b32_sdwa v16, v21, v16 dst_sel:DWORD dst_unused:UNUSED_PAD src0_sel:DWORD src1_sel:BYTE_3
	v_sub_u32_e32 v20, 29, v20
	v_and_b32_e32 v16, 7, v16
	v_cmp_eq_u16_e32 vcc, 0, v14
	v_cndmask_b32_e32 v10, v10, v16, vcc
	v_cndmask_b32_e32 v14, v15, v20, vcc
	v_mov_b32_e32 v15, 0x3b800000
	v_lshlrev_b32_e32 v10, 20, v10
	v_lshl_add_u32 v14, v14, 23, v15
	v_or3_b32 v10, v11, v14, v10
.LBB24_604:
	s_or_b64 exec, exec, s[6:7]
	s_movk_i32 s4, 0x7f
	v_cmp_gt_i16_sdwa s[6:7], v12, s4 src0_sel:BYTE_3 src1_sel:DWORD
	s_mov_b64 s[4:5], 0
                                        ; implicit-def: $sgpr10
	s_and_saveexec_b64 s[8:9], s[6:7]
	s_xor_b64 s[6:7], exec, s[8:9]
	s_cbranch_execnz .LBB24_2653
; %bb.605:
	s_or_saveexec_b64 s[6:7], s[6:7]
	v_mov_b32_e32 v11, s10
	s_xor_b64 exec, exec, s[6:7]
	s_cbranch_execnz .LBB24_2656
.LBB24_606:
	s_or_b64 exec, exec, s[6:7]
	s_and_saveexec_b64 s[6:7], s[4:5]
	s_cbranch_execz .LBB24_608
.LBB24_607:
	v_bfe_u32 v11, v12, 24, 3
	v_ffbh_u32_e32 v20, v11
	v_min_u32_e32 v20, 32, v20
	v_lshrrev_b32_e32 v15, 27, v12
	v_subrev_u32_e32 v21, 28, v20
	v_and_b32_e32 v14, 0x80000000, v12
	v_and_b32_e32 v15, 15, v15
	v_bfe_u32 v16, v12, 27, 4
	v_lshlrev_b32_sdwa v12, v21, v12 dst_sel:DWORD dst_unused:UNUSED_PAD src0_sel:DWORD src1_sel:BYTE_3
	v_sub_u32_e32 v20, 29, v20
	v_and_b32_e32 v12, 7, v12
	v_cmp_eq_u16_e32 vcc, 0, v15
	v_cndmask_b32_e32 v11, v11, v12, vcc
	v_cndmask_b32_e32 v12, v16, v20, vcc
	v_mov_b32_e32 v15, 0x3b800000
	v_lshlrev_b32_e32 v11, 20, v11
	v_lshl_add_u32 v12, v12, 23, v15
	v_or3_b32 v11, v14, v12, v11
.LBB24_608:
	s_or_b64 exec, exec, s[6:7]
	s_nop 0
	v_mfma_f32_16x16x4f32 a[0:3], v10, v11, a[0:3]
	s_movk_i32 s4, 0x7f
	v_cmp_gt_i16_sdwa s[6:7], v17, s4 src0_sel:BYTE_0 src1_sel:DWORD
	s_mov_b64 s[4:5], 0
                                        ; implicit-def: $sgpr10
	s_and_saveexec_b64 s[8:9], s[6:7]
	s_xor_b64 s[6:7], exec, s[8:9]
	s_cbranch_execnz .LBB24_2657
; %bb.609:
	s_or_saveexec_b64 s[6:7], s[6:7]
	v_mov_b32_e32 v10, s10
	s_xor_b64 exec, exec, s[6:7]
	s_cbranch_execnz .LBB24_2660
.LBB24_610:
	s_or_b64 exec, exec, s[6:7]
	s_and_saveexec_b64 s[6:7], s[4:5]
	s_cbranch_execz .LBB24_612
.LBB24_611:
	v_and_b32_e32 v10, 7, v17
	v_ffbh_u32_e32 v12, v10
	v_min_u32_e32 v12, 32, v12
	v_lshrrev_b16_e32 v11, 3, v17
	v_subrev_u32_e32 v14, 28, v12
	v_and_b32_e32 v11, 15, v11
	v_lshlrev_b32_e32 v14, v14, v17
	v_sub_u32_e32 v12, 29, v12
	v_and_b32_e32 v14, 7, v14
	v_cmp_eq_u16_e32 vcc, 0, v11
	v_cndmask_b32_e32 v10, v10, v14, vcc
	v_cndmask_b32_e32 v11, v11, v12, vcc
	v_lshlrev_b32_e32 v12, 24, v17
	v_mov_b32_e32 v14, 0x3b800000
	v_lshlrev_b32_e32 v10, 20, v10
	v_and_b32_e32 v12, 0x80000000, v12
	v_lshl_add_u32 v11, v11, 23, v14
	v_or3_b32 v10, v12, v11, v10
.LBB24_612:
	s_or_b64 exec, exec, s[6:7]
	s_movk_i32 s4, 0x7f
	v_cmp_gt_i16_sdwa s[6:7], v13, s4 src0_sel:BYTE_0 src1_sel:DWORD
	s_mov_b64 s[4:5], 0
                                        ; implicit-def: $sgpr10
	s_and_saveexec_b64 s[8:9], s[6:7]
	s_xor_b64 s[6:7], exec, s[8:9]
	s_cbranch_execnz .LBB24_2661
; %bb.613:
	s_or_saveexec_b64 s[6:7], s[6:7]
	v_mov_b32_e32 v11, s10
	s_xor_b64 exec, exec, s[6:7]
	s_cbranch_execnz .LBB24_2664
.LBB24_614:
	s_or_b64 exec, exec, s[6:7]
	s_and_saveexec_b64 s[6:7], s[4:5]
	s_cbranch_execz .LBB24_616
.LBB24_615:
	v_and_b32_e32 v11, 7, v13
	v_ffbh_u32_e32 v14, v11
	v_min_u32_e32 v14, 32, v14
	v_lshrrev_b16_e32 v12, 3, v13
	v_subrev_u32_e32 v15, 28, v14
	v_and_b32_e32 v12, 15, v12
	v_lshlrev_b32_e32 v15, v15, v13
	v_sub_u32_e32 v14, 29, v14
	v_and_b32_e32 v15, 7, v15
	v_cmp_eq_u16_e32 vcc, 0, v12
	v_cndmask_b32_e32 v11, v11, v15, vcc
	v_cndmask_b32_e32 v12, v12, v14, vcc
	v_lshlrev_b32_e32 v14, 24, v13
	v_mov_b32_e32 v15, 0x3b800000
	v_lshlrev_b32_e32 v11, 20, v11
	v_and_b32_e32 v14, 0x80000000, v14
	v_lshl_add_u32 v12, v12, 23, v15
	v_or3_b32 v11, v14, v12, v11
.LBB24_616:
	s_or_b64 exec, exec, s[6:7]
	s_nop 0
	v_mfma_f32_16x16x4f32 a[0:3], v10, v11, a[0:3]
	v_lshrrev_b32_e32 v11, 8, v17
	s_movk_i32 s4, 0x7f
	v_cmp_gt_i16_sdwa s[6:7], v11, s4 src0_sel:BYTE_0 src1_sel:DWORD
	s_mov_b64 s[4:5], 0
                                        ; implicit-def: $sgpr10
	s_and_saveexec_b64 s[8:9], s[6:7]
	s_xor_b64 s[6:7], exec, s[8:9]
	s_cbranch_execnz .LBB24_2665
; %bb.617:
	s_or_saveexec_b64 s[6:7], s[6:7]
	v_mov_b32_e32 v10, s10
	s_xor_b64 exec, exec, s[6:7]
	s_cbranch_execnz .LBB24_2668
.LBB24_618:
	s_or_b64 exec, exec, s[6:7]
	s_and_saveexec_b64 s[6:7], s[4:5]
	s_cbranch_execz .LBB24_620
.LBB24_619:
	v_bfe_u32 v10, v17, 8, 3
	v_ffbh_u32_e32 v14, v10
	v_min_u32_e32 v14, 32, v14
	v_lshrrev_b16_e32 v12, 3, v11
	v_subrev_u32_e32 v15, 28, v14
	v_and_b32_e32 v12, 15, v12
	v_lshlrev_b32_e32 v11, v15, v11
	v_sub_u32_e32 v14, 29, v14
	v_and_b32_e32 v11, 7, v11
	v_cmp_eq_u16_e32 vcc, 0, v12
	v_cndmask_b32_e32 v10, v10, v11, vcc
	v_cndmask_b32_e32 v11, v12, v14, vcc
	v_lshlrev_b32_e32 v12, 16, v17
	v_mov_b32_e32 v14, 0x3b800000
	v_lshlrev_b32_e32 v10, 20, v10
	v_and_b32_e32 v12, 0x80000000, v12
	v_lshl_add_u32 v11, v11, 23, v14
	v_or3_b32 v10, v12, v11, v10
.LBB24_620:
	s_or_b64 exec, exec, s[6:7]
	v_lshrrev_b32_e32 v11, 8, v13
	s_movk_i32 s4, 0x7f
	v_cmp_gt_i16_sdwa s[6:7], v11, s4 src0_sel:BYTE_0 src1_sel:DWORD
	s_mov_b64 s[4:5], 0
                                        ; implicit-def: $sgpr10
	s_and_saveexec_b64 s[8:9], s[6:7]
	s_xor_b64 s[6:7], exec, s[8:9]
	s_cbranch_execnz .LBB24_2669
; %bb.621:
	s_or_saveexec_b64 s[6:7], s[6:7]
	v_mov_b32_e32 v12, s10
	s_xor_b64 exec, exec, s[6:7]
	s_cbranch_execnz .LBB24_2672
.LBB24_622:
	s_or_b64 exec, exec, s[6:7]
	s_and_saveexec_b64 s[6:7], s[4:5]
	s_cbranch_execz .LBB24_624
.LBB24_623:
	v_bfe_u32 v12, v13, 8, 3
	v_ffbh_u32_e32 v15, v12
	v_min_u32_e32 v15, 32, v15
	v_lshrrev_b16_e32 v14, 3, v11
	v_subrev_u32_e32 v16, 28, v15
	v_and_b32_e32 v14, 15, v14
	v_lshlrev_b32_e32 v11, v16, v11
	v_sub_u32_e32 v15, 29, v15
	v_and_b32_e32 v11, 7, v11
	v_cmp_eq_u16_e32 vcc, 0, v14
	v_cndmask_b32_e32 v11, v12, v11, vcc
	v_cndmask_b32_e32 v12, v14, v15, vcc
	v_lshlrev_b32_e32 v14, 16, v13
	v_mov_b32_e32 v15, 0x3b800000
	v_lshlrev_b32_e32 v11, 20, v11
	v_and_b32_e32 v14, 0x80000000, v14
	v_lshl_add_u32 v12, v12, 23, v15
	v_or3_b32 v12, v14, v12, v11
.LBB24_624:
	s_or_b64 exec, exec, s[6:7]
	s_nop 0
	v_mfma_f32_16x16x4f32 a[0:3], v10, v12, a[0:3]
	s_movk_i32 s4, 0xff
	v_and_b32_sdwa v11, v17, s4 dst_sel:DWORD dst_unused:UNUSED_PAD src0_sel:WORD_1 src1_sel:DWORD
	s_movk_i32 s4, 0x7f
	v_cmp_lt_i16_e32 vcc, s4, v11
	s_mov_b64 s[4:5], 0
                                        ; implicit-def: $sgpr10
	s_and_saveexec_b64 s[6:7], vcc
	s_xor_b64 s[6:7], exec, s[6:7]
	s_cbranch_execnz .LBB24_2673
; %bb.625:
	s_or_saveexec_b64 s[6:7], s[6:7]
	v_mov_b32_e32 v10, s10
	s_xor_b64 exec, exec, s[6:7]
	s_cbranch_execnz .LBB24_2676
.LBB24_626:
	s_or_b64 exec, exec, s[6:7]
	s_and_saveexec_b64 s[6:7], s[4:5]
	s_cbranch_execz .LBB24_628
.LBB24_627:
	v_bfe_u32 v10, v17, 16, 3
	v_ffbh_u32_e32 v14, v10
	v_min_u32_e32 v14, 32, v14
	v_lshrrev_b32_e32 v11, 19, v17
	v_subrev_u32_e32 v15, 28, v14
	v_and_b32_e32 v11, 15, v11
	v_lshlrev_b32_sdwa v15, v15, v17 dst_sel:DWORD dst_unused:UNUSED_PAD src0_sel:DWORD src1_sel:WORD_1
	v_bfe_u32 v12, v17, 19, 4
	v_sub_u32_e32 v14, 29, v14
	v_and_b32_e32 v15, 7, v15
	v_cmp_eq_u16_e32 vcc, 0, v11
	v_cndmask_b32_e32 v10, v10, v15, vcc
	v_cndmask_b32_e32 v11, v12, v14, vcc
	v_lshlrev_b32_e32 v12, 8, v17
	v_mov_b32_e32 v14, 0x3b800000
	v_lshlrev_b32_e32 v10, 20, v10
	v_and_b32_e32 v12, 0x80000000, v12
	v_lshl_add_u32 v11, v11, 23, v14
	v_or3_b32 v10, v12, v11, v10
.LBB24_628:
	s_or_b64 exec, exec, s[6:7]
	s_movk_i32 s4, 0xff
	v_and_b32_sdwa v11, v13, s4 dst_sel:DWORD dst_unused:UNUSED_PAD src0_sel:WORD_1 src1_sel:DWORD
	s_movk_i32 s4, 0x7f
	v_cmp_lt_i16_e32 vcc, s4, v11
	s_mov_b64 s[4:5], 0
                                        ; implicit-def: $sgpr10
	s_and_saveexec_b64 s[6:7], vcc
	s_xor_b64 s[6:7], exec, s[6:7]
	s_cbranch_execnz .LBB24_2677
; %bb.629:
	s_or_saveexec_b64 s[6:7], s[6:7]
	v_mov_b32_e32 v12, s10
	s_xor_b64 exec, exec, s[6:7]
	s_cbranch_execnz .LBB24_2680
.LBB24_630:
	s_or_b64 exec, exec, s[6:7]
	s_and_saveexec_b64 s[6:7], s[4:5]
	s_cbranch_execz .LBB24_632
.LBB24_631:
	v_bfe_u32 v11, v13, 16, 3
	v_ffbh_u32_e32 v15, v11
	v_min_u32_e32 v15, 32, v15
	v_lshrrev_b32_e32 v12, 19, v13
	v_subrev_u32_e32 v16, 28, v15
	v_and_b32_e32 v12, 15, v12
	v_lshlrev_b32_sdwa v16, v16, v13 dst_sel:DWORD dst_unused:UNUSED_PAD src0_sel:DWORD src1_sel:WORD_1
	v_bfe_u32 v14, v13, 19, 4
	v_sub_u32_e32 v15, 29, v15
	v_and_b32_e32 v16, 7, v16
	v_cmp_eq_u16_e32 vcc, 0, v12
	v_cndmask_b32_e32 v11, v11, v16, vcc
	v_cndmask_b32_e32 v12, v14, v15, vcc
	v_lshlrev_b32_e32 v14, 8, v13
	v_mov_b32_e32 v15, 0x3b800000
	v_lshlrev_b32_e32 v11, 20, v11
	v_and_b32_e32 v14, 0x80000000, v14
	v_lshl_add_u32 v12, v12, 23, v15
	v_or3_b32 v12, v14, v12, v11
.LBB24_632:
	s_or_b64 exec, exec, s[6:7]
	s_nop 0
	v_mfma_f32_16x16x4f32 a[0:3], v10, v12, a[0:3]
	s_movk_i32 s4, 0x7f
	v_cmp_gt_i16_sdwa s[6:7], v17, s4 src0_sel:BYTE_3 src1_sel:DWORD
	s_mov_b64 s[4:5], 0
                                        ; implicit-def: $sgpr10
	s_and_saveexec_b64 s[8:9], s[6:7]
	s_xor_b64 s[6:7], exec, s[8:9]
	s_cbranch_execnz .LBB24_2681
; %bb.633:
	s_or_saveexec_b64 s[6:7], s[6:7]
	v_mov_b32_e32 v10, s10
	s_xor_b64 exec, exec, s[6:7]
	s_cbranch_execnz .LBB24_2684
.LBB24_634:
	s_or_b64 exec, exec, s[6:7]
	s_and_saveexec_b64 s[6:7], s[4:5]
	s_cbranch_execz .LBB24_636
.LBB24_635:
	v_bfe_u32 v10, v17, 24, 3
	v_ffbh_u32_e32 v15, v10
	v_min_u32_e32 v15, 32, v15
	v_lshrrev_b32_e32 v12, 27, v17
	v_subrev_u32_e32 v16, 28, v15
	v_and_b32_e32 v12, 15, v12
	v_lshlrev_b32_sdwa v16, v16, v17 dst_sel:DWORD dst_unused:UNUSED_PAD src0_sel:DWORD src1_sel:BYTE_3
	v_bfe_u32 v14, v17, 27, 4
	v_sub_u32_e32 v15, 29, v15
	v_and_b32_e32 v16, 7, v16
	v_cmp_eq_u16_e32 vcc, 0, v12
	v_cndmask_b32_e32 v10, v10, v16, vcc
	v_cndmask_b32_e32 v12, v14, v15, vcc
	v_mov_b32_e32 v14, 0x3b800000
	v_and_b32_e32 v11, 0x80000000, v17
	v_lshlrev_b32_e32 v10, 20, v10
	v_lshl_add_u32 v12, v12, 23, v14
	v_or3_b32 v10, v11, v12, v10
.LBB24_636:
	s_or_b64 exec, exec, s[6:7]
	s_movk_i32 s4, 0x7f
	v_cmp_gt_i16_sdwa s[6:7], v13, s4 src0_sel:BYTE_3 src1_sel:DWORD
	s_mov_b64 s[4:5], 0
                                        ; implicit-def: $sgpr10
	s_and_saveexec_b64 s[8:9], s[6:7]
	s_xor_b64 s[6:7], exec, s[8:9]
	s_cbranch_execnz .LBB24_2685
; %bb.637:
	s_or_saveexec_b64 s[6:7], s[6:7]
	v_mov_b32_e32 v11, s10
	s_xor_b64 exec, exec, s[6:7]
	s_cbranch_execnz .LBB24_2688
.LBB24_638:
	s_or_b64 exec, exec, s[6:7]
	s_and_saveexec_b64 s[6:7], s[4:5]
	s_cbranch_execz .LBB24_640
.LBB24_639:
	v_bfe_u32 v11, v13, 24, 3
	v_ffbh_u32_e32 v16, v11
	v_min_u32_e32 v16, 32, v16
	v_lshrrev_b32_e32 v14, 27, v13
	v_subrev_u32_e32 v17, 28, v16
	v_and_b32_e32 v12, 0x80000000, v13
	v_and_b32_e32 v14, 15, v14
	v_bfe_u32 v15, v13, 27, 4
	v_lshlrev_b32_sdwa v13, v17, v13 dst_sel:DWORD dst_unused:UNUSED_PAD src0_sel:DWORD src1_sel:BYTE_3
	v_sub_u32_e32 v16, 29, v16
	v_and_b32_e32 v13, 7, v13
	v_cmp_eq_u16_e32 vcc, 0, v14
	v_cndmask_b32_e32 v11, v11, v13, vcc
	v_cndmask_b32_e32 v13, v15, v16, vcc
	v_mov_b32_e32 v14, 0x3b800000
	v_lshlrev_b32_e32 v11, 20, v11
	v_lshl_add_u32 v13, v13, 23, v14
	v_or3_b32 v11, v12, v13, v11
.LBB24_640:
	s_or_b64 exec, exec, s[6:7]
	s_nop 0
	v_mfma_f32_16x16x4f32 a[0:3], v10, v11, a[0:3]
	s_movk_i32 s4, 0x7f
	v_cmp_gt_i16_sdwa s[6:7], v6, s4 src0_sel:BYTE_0 src1_sel:DWORD
	s_mov_b64 s[4:5], 0
                                        ; implicit-def: $sgpr10
	s_and_saveexec_b64 s[8:9], s[6:7]
	s_xor_b64 s[6:7], exec, s[8:9]
	s_cbranch_execnz .LBB24_2689
; %bb.641:
	s_or_saveexec_b64 s[6:7], s[6:7]
	v_mov_b32_e32 v10, s10
	s_xor_b64 exec, exec, s[6:7]
	s_cbranch_execnz .LBB24_2692
.LBB24_642:
	s_or_b64 exec, exec, s[6:7]
	s_and_saveexec_b64 s[6:7], s[4:5]
	s_cbranch_execz .LBB24_644
.LBB24_643:
	v_and_b32_e32 v10, 7, v6
	v_ffbh_u32_e32 v12, v10
	v_min_u32_e32 v12, 32, v12
	v_lshrrev_b16_e32 v11, 3, v6
	v_subrev_u32_e32 v13, 28, v12
	v_and_b32_e32 v11, 15, v11
	v_lshlrev_b32_e32 v13, v13, v6
	v_sub_u32_e32 v12, 29, v12
	v_and_b32_e32 v13, 7, v13
	v_cmp_eq_u16_e32 vcc, 0, v11
	v_cndmask_b32_e32 v10, v10, v13, vcc
	v_cndmask_b32_e32 v11, v11, v12, vcc
	v_lshlrev_b32_e32 v12, 24, v6
	v_mov_b32_e32 v13, 0x3b800000
	v_lshlrev_b32_e32 v10, 20, v10
	v_and_b32_e32 v12, 0x80000000, v12
	v_lshl_add_u32 v11, v11, 23, v13
	v_or3_b32 v10, v12, v11, v10
.LBB24_644:
	s_or_b64 exec, exec, s[6:7]
	s_movk_i32 s4, 0x7f
	v_cmp_gt_i16_sdwa s[6:7], v2, s4 src0_sel:BYTE_0 src1_sel:DWORD
	s_mov_b64 s[4:5], 0
                                        ; implicit-def: $sgpr10
	s_and_saveexec_b64 s[8:9], s[6:7]
	s_xor_b64 s[6:7], exec, s[8:9]
	s_cbranch_execnz .LBB24_2693
; %bb.645:
	s_or_saveexec_b64 s[6:7], s[6:7]
	v_mov_b32_e32 v11, s10
	s_xor_b64 exec, exec, s[6:7]
	s_cbranch_execnz .LBB24_2696
.LBB24_646:
	s_or_b64 exec, exec, s[6:7]
	s_and_saveexec_b64 s[6:7], s[4:5]
	s_cbranch_execz .LBB24_648
.LBB24_647:
	v_and_b32_e32 v11, 7, v2
	v_ffbh_u32_e32 v13, v11
	v_min_u32_e32 v13, 32, v13
	v_lshrrev_b16_e32 v12, 3, v2
	v_subrev_u32_e32 v14, 28, v13
	v_and_b32_e32 v12, 15, v12
	v_lshlrev_b32_e32 v14, v14, v2
	v_sub_u32_e32 v13, 29, v13
	v_and_b32_e32 v14, 7, v14
	v_cmp_eq_u16_e32 vcc, 0, v12
	v_cndmask_b32_e32 v11, v11, v14, vcc
	v_cndmask_b32_e32 v12, v12, v13, vcc
	v_lshlrev_b32_e32 v13, 24, v2
	v_mov_b32_e32 v14, 0x3b800000
	v_lshlrev_b32_e32 v11, 20, v11
	v_and_b32_e32 v13, 0x80000000, v13
	v_lshl_add_u32 v12, v12, 23, v14
	v_or3_b32 v11, v13, v12, v11
.LBB24_648:
	s_or_b64 exec, exec, s[6:7]
	s_nop 0
	v_mfma_f32_16x16x4f32 a[0:3], v10, v11, a[0:3]
	v_lshrrev_b32_e32 v11, 8, v6
	s_movk_i32 s4, 0x7f
	v_cmp_gt_i16_sdwa s[6:7], v11, s4 src0_sel:BYTE_0 src1_sel:DWORD
	s_mov_b64 s[4:5], 0
                                        ; implicit-def: $sgpr10
	s_and_saveexec_b64 s[8:9], s[6:7]
	s_xor_b64 s[6:7], exec, s[8:9]
	s_cbranch_execnz .LBB24_2697
; %bb.649:
	s_or_saveexec_b64 s[6:7], s[6:7]
	v_mov_b32_e32 v10, s10
	s_xor_b64 exec, exec, s[6:7]
	s_cbranch_execnz .LBB24_2700
.LBB24_650:
	s_or_b64 exec, exec, s[6:7]
	s_and_saveexec_b64 s[6:7], s[4:5]
	s_cbranch_execz .LBB24_652
.LBB24_651:
	v_bfe_u32 v10, v6, 8, 3
	v_ffbh_u32_e32 v13, v10
	v_min_u32_e32 v13, 32, v13
	v_lshrrev_b16_e32 v12, 3, v11
	v_subrev_u32_e32 v14, 28, v13
	v_and_b32_e32 v12, 15, v12
	v_lshlrev_b32_e32 v11, v14, v11
	v_sub_u32_e32 v13, 29, v13
	v_and_b32_e32 v11, 7, v11
	v_cmp_eq_u16_e32 vcc, 0, v12
	v_cndmask_b32_e32 v10, v10, v11, vcc
	v_cndmask_b32_e32 v11, v12, v13, vcc
	v_lshlrev_b32_e32 v12, 16, v6
	v_mov_b32_e32 v13, 0x3b800000
	v_lshlrev_b32_e32 v10, 20, v10
	v_and_b32_e32 v12, 0x80000000, v12
	v_lshl_add_u32 v11, v11, 23, v13
	v_or3_b32 v10, v12, v11, v10
.LBB24_652:
	s_or_b64 exec, exec, s[6:7]
	v_lshrrev_b32_e32 v11, 8, v2
	s_movk_i32 s4, 0x7f
	v_cmp_gt_i16_sdwa s[6:7], v11, s4 src0_sel:BYTE_0 src1_sel:DWORD
	s_mov_b64 s[4:5], 0
                                        ; implicit-def: $sgpr10
	s_and_saveexec_b64 s[8:9], s[6:7]
	s_xor_b64 s[6:7], exec, s[8:9]
	s_cbranch_execnz .LBB24_2701
; %bb.653:
	s_or_saveexec_b64 s[6:7], s[6:7]
	v_mov_b32_e32 v12, s10
	s_xor_b64 exec, exec, s[6:7]
	s_cbranch_execnz .LBB24_2704
.LBB24_654:
	s_or_b64 exec, exec, s[6:7]
	s_and_saveexec_b64 s[6:7], s[4:5]
	s_cbranch_execz .LBB24_656
.LBB24_655:
	v_bfe_u32 v12, v2, 8, 3
	v_ffbh_u32_e32 v14, v12
	v_min_u32_e32 v14, 32, v14
	v_lshrrev_b16_e32 v13, 3, v11
	v_subrev_u32_e32 v15, 28, v14
	v_and_b32_e32 v13, 15, v13
	v_lshlrev_b32_e32 v11, v15, v11
	v_sub_u32_e32 v14, 29, v14
	v_and_b32_e32 v11, 7, v11
	v_cmp_eq_u16_e32 vcc, 0, v13
	v_cndmask_b32_e32 v11, v12, v11, vcc
	v_cndmask_b32_e32 v12, v13, v14, vcc
	v_lshlrev_b32_e32 v13, 16, v2
	v_mov_b32_e32 v14, 0x3b800000
	v_lshlrev_b32_e32 v11, 20, v11
	v_and_b32_e32 v13, 0x80000000, v13
	v_lshl_add_u32 v12, v12, 23, v14
	v_or3_b32 v12, v13, v12, v11
.LBB24_656:
	s_or_b64 exec, exec, s[6:7]
	s_nop 0
	v_mfma_f32_16x16x4f32 a[0:3], v10, v12, a[0:3]
	s_movk_i32 s4, 0xff
	v_and_b32_sdwa v11, v6, s4 dst_sel:DWORD dst_unused:UNUSED_PAD src0_sel:WORD_1 src1_sel:DWORD
	s_movk_i32 s4, 0x7f
	v_cmp_lt_i16_e32 vcc, s4, v11
	s_mov_b64 s[4:5], 0
                                        ; implicit-def: $sgpr10
	s_and_saveexec_b64 s[6:7], vcc
	s_xor_b64 s[6:7], exec, s[6:7]
	s_cbranch_execnz .LBB24_2705
; %bb.657:
	s_or_saveexec_b64 s[6:7], s[6:7]
	v_mov_b32_e32 v10, s10
	s_xor_b64 exec, exec, s[6:7]
	s_cbranch_execnz .LBB24_2708
.LBB24_658:
	s_or_b64 exec, exec, s[6:7]
	s_and_saveexec_b64 s[6:7], s[4:5]
	s_cbranch_execz .LBB24_660
.LBB24_659:
	v_bfe_u32 v10, v6, 16, 3
	v_ffbh_u32_e32 v13, v10
	v_min_u32_e32 v13, 32, v13
	v_lshrrev_b32_e32 v11, 19, v6
	v_subrev_u32_e32 v14, 28, v13
	v_and_b32_e32 v11, 15, v11
	v_lshlrev_b32_sdwa v14, v14, v6 dst_sel:DWORD dst_unused:UNUSED_PAD src0_sel:DWORD src1_sel:WORD_1
	v_bfe_u32 v12, v6, 19, 4
	v_sub_u32_e32 v13, 29, v13
	v_and_b32_e32 v14, 7, v14
	v_cmp_eq_u16_e32 vcc, 0, v11
	v_cndmask_b32_e32 v10, v10, v14, vcc
	v_cndmask_b32_e32 v11, v12, v13, vcc
	v_lshlrev_b32_e32 v12, 8, v6
	v_mov_b32_e32 v13, 0x3b800000
	v_lshlrev_b32_e32 v10, 20, v10
	v_and_b32_e32 v12, 0x80000000, v12
	v_lshl_add_u32 v11, v11, 23, v13
	v_or3_b32 v10, v12, v11, v10
.LBB24_660:
	s_or_b64 exec, exec, s[6:7]
	s_movk_i32 s4, 0xff
	v_and_b32_sdwa v11, v2, s4 dst_sel:DWORD dst_unused:UNUSED_PAD src0_sel:WORD_1 src1_sel:DWORD
	s_movk_i32 s4, 0x7f
	v_cmp_lt_i16_e32 vcc, s4, v11
	s_mov_b64 s[4:5], 0
                                        ; implicit-def: $sgpr10
	s_and_saveexec_b64 s[6:7], vcc
	s_xor_b64 s[6:7], exec, s[6:7]
	s_cbranch_execnz .LBB24_2709
; %bb.661:
	s_or_saveexec_b64 s[6:7], s[6:7]
	v_mov_b32_e32 v12, s10
	s_xor_b64 exec, exec, s[6:7]
	s_cbranch_execnz .LBB24_2712
.LBB24_662:
	s_or_b64 exec, exec, s[6:7]
	s_and_saveexec_b64 s[6:7], s[4:5]
	s_cbranch_execz .LBB24_664
.LBB24_663:
	v_bfe_u32 v11, v2, 16, 3
	v_ffbh_u32_e32 v14, v11
	v_min_u32_e32 v14, 32, v14
	v_lshrrev_b32_e32 v12, 19, v2
	v_subrev_u32_e32 v15, 28, v14
	v_and_b32_e32 v12, 15, v12
	v_lshlrev_b32_sdwa v15, v15, v2 dst_sel:DWORD dst_unused:UNUSED_PAD src0_sel:DWORD src1_sel:WORD_1
	v_bfe_u32 v13, v2, 19, 4
	v_sub_u32_e32 v14, 29, v14
	v_and_b32_e32 v15, 7, v15
	v_cmp_eq_u16_e32 vcc, 0, v12
	v_cndmask_b32_e32 v11, v11, v15, vcc
	v_cndmask_b32_e32 v12, v13, v14, vcc
	v_lshlrev_b32_e32 v13, 8, v2
	v_mov_b32_e32 v14, 0x3b800000
	v_lshlrev_b32_e32 v11, 20, v11
	v_and_b32_e32 v13, 0x80000000, v13
	v_lshl_add_u32 v12, v12, 23, v14
	v_or3_b32 v12, v13, v12, v11
.LBB24_664:
	s_or_b64 exec, exec, s[6:7]
	s_nop 0
	v_mfma_f32_16x16x4f32 a[0:3], v10, v12, a[0:3]
	s_movk_i32 s4, 0x7f
	v_cmp_gt_i16_sdwa s[6:7], v6, s4 src0_sel:BYTE_3 src1_sel:DWORD
	s_mov_b64 s[4:5], 0
                                        ; implicit-def: $sgpr10
	s_and_saveexec_b64 s[8:9], s[6:7]
	s_xor_b64 s[6:7], exec, s[8:9]
	s_cbranch_execnz .LBB24_2713
; %bb.665:
	s_or_saveexec_b64 s[6:7], s[6:7]
	v_mov_b32_e32 v10, s10
	s_xor_b64 exec, exec, s[6:7]
	s_cbranch_execnz .LBB24_2716
.LBB24_666:
	s_or_b64 exec, exec, s[6:7]
	s_and_saveexec_b64 s[6:7], s[4:5]
	s_cbranch_execz .LBB24_668
.LBB24_667:
	v_bfe_u32 v10, v6, 24, 3
	v_ffbh_u32_e32 v14, v10
	v_min_u32_e32 v14, 32, v14
	v_lshrrev_b32_e32 v12, 27, v6
	v_subrev_u32_e32 v15, 28, v14
	v_and_b32_e32 v11, 0x80000000, v6
	v_and_b32_e32 v12, 15, v12
	v_bfe_u32 v13, v6, 27, 4
	v_lshlrev_b32_sdwa v6, v15, v6 dst_sel:DWORD dst_unused:UNUSED_PAD src0_sel:DWORD src1_sel:BYTE_3
	v_sub_u32_e32 v14, 29, v14
	v_and_b32_e32 v6, 7, v6
	v_cmp_eq_u16_e32 vcc, 0, v12
	v_cndmask_b32_e32 v6, v10, v6, vcc
	v_cndmask_b32_e32 v10, v13, v14, vcc
	v_mov_b32_e32 v12, 0x3b800000
	v_lshlrev_b32_e32 v6, 20, v6
	v_lshl_add_u32 v10, v10, 23, v12
	v_or3_b32 v10, v11, v10, v6
.LBB24_668:
	s_or_b64 exec, exec, s[6:7]
	s_movk_i32 s4, 0x7f
	v_cmp_gt_i16_sdwa s[6:7], v2, s4 src0_sel:BYTE_3 src1_sel:DWORD
	s_mov_b64 s[4:5], 0
                                        ; implicit-def: $sgpr10
	s_and_saveexec_b64 s[8:9], s[6:7]
	s_xor_b64 s[6:7], exec, s[8:9]
	s_cbranch_execnz .LBB24_2717
; %bb.669:
	s_or_saveexec_b64 s[6:7], s[6:7]
	v_mov_b32_e32 v6, s10
	s_xor_b64 exec, exec, s[6:7]
	s_cbranch_execnz .LBB24_2720
.LBB24_670:
	s_or_b64 exec, exec, s[6:7]
	s_and_saveexec_b64 s[6:7], s[4:5]
	s_cbranch_execz .LBB24_672
.LBB24_671:
	v_bfe_u32 v6, v2, 24, 3
	v_ffbh_u32_e32 v14, v6
	v_min_u32_e32 v14, 32, v14
	v_lshrrev_b32_e32 v12, 27, v2
	v_subrev_u32_e32 v15, 28, v14
	v_and_b32_e32 v11, 0x80000000, v2
	v_and_b32_e32 v12, 15, v12
	v_bfe_u32 v13, v2, 27, 4
	v_lshlrev_b32_sdwa v2, v15, v2 dst_sel:DWORD dst_unused:UNUSED_PAD src0_sel:DWORD src1_sel:BYTE_3
	v_sub_u32_e32 v14, 29, v14
	v_and_b32_e32 v2, 7, v2
	v_cmp_eq_u16_e32 vcc, 0, v12
	v_cndmask_b32_e32 v2, v6, v2, vcc
	v_cndmask_b32_e32 v6, v13, v14, vcc
	v_mov_b32_e32 v12, 0x3b800000
	v_lshlrev_b32_e32 v2, 20, v2
	v_lshl_add_u32 v6, v6, 23, v12
	v_or3_b32 v6, v11, v6, v2
.LBB24_672:
	s_or_b64 exec, exec, s[6:7]
	s_nop 0
	v_mfma_f32_16x16x4f32 a[0:3], v10, v6, a[0:3]
	s_movk_i32 s4, 0x7f
	v_cmp_gt_i16_sdwa s[6:7], v7, s4 src0_sel:BYTE_0 src1_sel:DWORD
	s_mov_b64 s[4:5], 0
                                        ; implicit-def: $sgpr10
	s_and_saveexec_b64 s[8:9], s[6:7]
	s_xor_b64 s[6:7], exec, s[8:9]
	s_cbranch_execnz .LBB24_2721
; %bb.673:
	s_or_saveexec_b64 s[6:7], s[6:7]
	v_mov_b32_e32 v2, s10
	s_xor_b64 exec, exec, s[6:7]
	s_cbranch_execnz .LBB24_2724
.LBB24_674:
	s_or_b64 exec, exec, s[6:7]
	s_and_saveexec_b64 s[6:7], s[4:5]
	s_cbranch_execz .LBB24_676
.LBB24_675:
	v_and_b32_e32 v2, 7, v7
	v_ffbh_u32_e32 v10, v2
	v_min_u32_e32 v10, 32, v10
	v_lshrrev_b16_e32 v6, 3, v7
	v_subrev_u32_e32 v11, 28, v10
	v_and_b32_e32 v6, 15, v6
	v_lshlrev_b32_e32 v11, v11, v7
	v_sub_u32_e32 v10, 29, v10
	v_and_b32_e32 v11, 7, v11
	v_cmp_eq_u16_e32 vcc, 0, v6
	v_cndmask_b32_e32 v2, v2, v11, vcc
	v_cndmask_b32_e32 v6, v6, v10, vcc
	v_lshlrev_b32_e32 v10, 24, v7
	v_mov_b32_e32 v11, 0x3b800000
	v_lshlrev_b32_e32 v2, 20, v2
	v_and_b32_e32 v10, 0x80000000, v10
	v_lshl_add_u32 v6, v6, 23, v11
	v_or3_b32 v2, v10, v6, v2
.LBB24_676:
	s_or_b64 exec, exec, s[6:7]
	s_movk_i32 s4, 0x7f
	v_cmp_gt_i16_sdwa s[6:7], v3, s4 src0_sel:BYTE_0 src1_sel:DWORD
	s_mov_b64 s[4:5], 0
                                        ; implicit-def: $sgpr10
	s_and_saveexec_b64 s[8:9], s[6:7]
	s_xor_b64 s[6:7], exec, s[8:9]
	s_cbranch_execnz .LBB24_2725
; %bb.677:
	s_or_saveexec_b64 s[6:7], s[6:7]
	v_mov_b32_e32 v6, s10
	s_xor_b64 exec, exec, s[6:7]
	s_cbranch_execnz .LBB24_2728
.LBB24_678:
	s_or_b64 exec, exec, s[6:7]
	s_and_saveexec_b64 s[6:7], s[4:5]
	s_cbranch_execz .LBB24_680
.LBB24_679:
	v_and_b32_e32 v6, 7, v3
	v_ffbh_u32_e32 v11, v6
	v_min_u32_e32 v11, 32, v11
	v_lshrrev_b16_e32 v10, 3, v3
	v_subrev_u32_e32 v12, 28, v11
	v_and_b32_e32 v10, 15, v10
	v_lshlrev_b32_e32 v12, v12, v3
	v_sub_u32_e32 v11, 29, v11
	v_and_b32_e32 v12, 7, v12
	v_cmp_eq_u16_e32 vcc, 0, v10
	v_cndmask_b32_e32 v6, v6, v12, vcc
	v_cndmask_b32_e32 v10, v10, v11, vcc
	v_lshlrev_b32_e32 v11, 24, v3
	v_mov_b32_e32 v12, 0x3b800000
	v_lshlrev_b32_e32 v6, 20, v6
	v_and_b32_e32 v11, 0x80000000, v11
	v_lshl_add_u32 v10, v10, 23, v12
	v_or3_b32 v6, v11, v10, v6
.LBB24_680:
	s_or_b64 exec, exec, s[6:7]
	s_nop 0
	v_mfma_f32_16x16x4f32 a[0:3], v2, v6, a[0:3]
	v_lshrrev_b32_e32 v6, 8, v7
	s_movk_i32 s4, 0x7f
	v_cmp_gt_i16_sdwa s[6:7], v6, s4 src0_sel:BYTE_0 src1_sel:DWORD
	s_mov_b64 s[4:5], 0
                                        ; implicit-def: $sgpr10
	s_and_saveexec_b64 s[8:9], s[6:7]
	s_xor_b64 s[6:7], exec, s[8:9]
	s_cbranch_execnz .LBB24_2729
; %bb.681:
	s_or_saveexec_b64 s[6:7], s[6:7]
	v_mov_b32_e32 v2, s10
	s_xor_b64 exec, exec, s[6:7]
	s_cbranch_execnz .LBB24_2732
.LBB24_682:
	s_or_b64 exec, exec, s[6:7]
	s_and_saveexec_b64 s[6:7], s[4:5]
	s_cbranch_execz .LBB24_684
.LBB24_683:
	v_bfe_u32 v2, v7, 8, 3
	v_ffbh_u32_e32 v11, v2
	v_min_u32_e32 v11, 32, v11
	v_lshrrev_b16_e32 v10, 3, v6
	v_subrev_u32_e32 v12, 28, v11
	v_and_b32_e32 v10, 15, v10
	v_lshlrev_b32_e32 v6, v12, v6
	v_sub_u32_e32 v11, 29, v11
	v_and_b32_e32 v6, 7, v6
	v_cmp_eq_u16_e32 vcc, 0, v10
	v_cndmask_b32_e32 v2, v2, v6, vcc
	v_cndmask_b32_e32 v6, v10, v11, vcc
	v_lshlrev_b32_e32 v10, 16, v7
	v_mov_b32_e32 v11, 0x3b800000
	v_lshlrev_b32_e32 v2, 20, v2
	v_and_b32_e32 v10, 0x80000000, v10
	v_lshl_add_u32 v6, v6, 23, v11
	v_or3_b32 v2, v10, v6, v2
.LBB24_684:
	s_or_b64 exec, exec, s[6:7]
	v_lshrrev_b32_e32 v6, 8, v3
	s_movk_i32 s4, 0x7f
	v_cmp_gt_i16_sdwa s[6:7], v6, s4 src0_sel:BYTE_0 src1_sel:DWORD
	s_mov_b64 s[4:5], 0
                                        ; implicit-def: $sgpr10
	s_and_saveexec_b64 s[8:9], s[6:7]
	s_xor_b64 s[6:7], exec, s[8:9]
	s_cbranch_execnz .LBB24_2733
; %bb.685:
	s_or_saveexec_b64 s[6:7], s[6:7]
	v_mov_b32_e32 v10, s10
	s_xor_b64 exec, exec, s[6:7]
	s_cbranch_execnz .LBB24_2736
.LBB24_686:
	s_or_b64 exec, exec, s[6:7]
	s_and_saveexec_b64 s[6:7], s[4:5]
	s_cbranch_execz .LBB24_688
.LBB24_687:
	v_bfe_u32 v10, v3, 8, 3
	v_ffbh_u32_e32 v12, v10
	v_min_u32_e32 v12, 32, v12
	v_lshrrev_b16_e32 v11, 3, v6
	v_subrev_u32_e32 v13, 28, v12
	v_and_b32_e32 v11, 15, v11
	v_lshlrev_b32_e32 v6, v13, v6
	v_sub_u32_e32 v12, 29, v12
	v_and_b32_e32 v6, 7, v6
	v_cmp_eq_u16_e32 vcc, 0, v11
	v_cndmask_b32_e32 v6, v10, v6, vcc
	v_cndmask_b32_e32 v10, v11, v12, vcc
	v_lshlrev_b32_e32 v11, 16, v3
	v_mov_b32_e32 v12, 0x3b800000
	v_lshlrev_b32_e32 v6, 20, v6
	v_and_b32_e32 v11, 0x80000000, v11
	v_lshl_add_u32 v10, v10, 23, v12
	v_or3_b32 v10, v11, v10, v6
.LBB24_688:
	s_or_b64 exec, exec, s[6:7]
	s_nop 0
	v_mfma_f32_16x16x4f32 a[0:3], v2, v10, a[0:3]
	s_movk_i32 s4, 0xff
	v_and_b32_sdwa v6, v7, s4 dst_sel:DWORD dst_unused:UNUSED_PAD src0_sel:WORD_1 src1_sel:DWORD
	s_movk_i32 s4, 0x7f
	v_cmp_lt_i16_e32 vcc, s4, v6
	s_mov_b64 s[4:5], 0
                                        ; implicit-def: $sgpr10
	s_and_saveexec_b64 s[6:7], vcc
	s_xor_b64 s[6:7], exec, s[6:7]
	s_cbranch_execnz .LBB24_2737
; %bb.689:
	s_or_saveexec_b64 s[6:7], s[6:7]
	v_mov_b32_e32 v2, s10
	s_xor_b64 exec, exec, s[6:7]
	s_cbranch_execnz .LBB24_2740
.LBB24_690:
	s_or_b64 exec, exec, s[6:7]
	s_and_saveexec_b64 s[6:7], s[4:5]
	s_cbranch_execz .LBB24_692
.LBB24_691:
	v_bfe_u32 v2, v7, 16, 3
	v_ffbh_u32_e32 v11, v2
	v_min_u32_e32 v11, 32, v11
	v_lshrrev_b32_e32 v6, 19, v7
	v_subrev_u32_e32 v12, 28, v11
	v_and_b32_e32 v6, 15, v6
	v_lshlrev_b32_sdwa v12, v12, v7 dst_sel:DWORD dst_unused:UNUSED_PAD src0_sel:DWORD src1_sel:WORD_1
	v_bfe_u32 v10, v7, 19, 4
	v_sub_u32_e32 v11, 29, v11
	v_and_b32_e32 v12, 7, v12
	v_cmp_eq_u16_e32 vcc, 0, v6
	v_cndmask_b32_e32 v2, v2, v12, vcc
	v_cndmask_b32_e32 v6, v10, v11, vcc
	v_lshlrev_b32_e32 v10, 8, v7
	v_mov_b32_e32 v11, 0x3b800000
	v_lshlrev_b32_e32 v2, 20, v2
	v_and_b32_e32 v10, 0x80000000, v10
	v_lshl_add_u32 v6, v6, 23, v11
	v_or3_b32 v2, v10, v6, v2
.LBB24_692:
	s_or_b64 exec, exec, s[6:7]
	s_movk_i32 s4, 0xff
	v_and_b32_sdwa v6, v3, s4 dst_sel:DWORD dst_unused:UNUSED_PAD src0_sel:WORD_1 src1_sel:DWORD
	s_movk_i32 s4, 0x7f
	v_cmp_lt_i16_e32 vcc, s4, v6
	s_mov_b64 s[4:5], 0
                                        ; implicit-def: $sgpr10
	s_and_saveexec_b64 s[6:7], vcc
	s_xor_b64 s[6:7], exec, s[6:7]
	s_cbranch_execnz .LBB24_2741
; %bb.693:
	s_or_saveexec_b64 s[6:7], s[6:7]
	v_mov_b32_e32 v10, s10
	s_xor_b64 exec, exec, s[6:7]
	s_cbranch_execnz .LBB24_2744
.LBB24_694:
	s_or_b64 exec, exec, s[6:7]
	s_and_saveexec_b64 s[6:7], s[4:5]
	s_cbranch_execz .LBB24_696
.LBB24_695:
	v_bfe_u32 v6, v3, 16, 3
	v_ffbh_u32_e32 v12, v6
	v_min_u32_e32 v12, 32, v12
	v_lshrrev_b32_e32 v10, 19, v3
	v_subrev_u32_e32 v13, 28, v12
	v_and_b32_e32 v10, 15, v10
	v_lshlrev_b32_sdwa v13, v13, v3 dst_sel:DWORD dst_unused:UNUSED_PAD src0_sel:DWORD src1_sel:WORD_1
	v_bfe_u32 v11, v3, 19, 4
	v_sub_u32_e32 v12, 29, v12
	v_and_b32_e32 v13, 7, v13
	v_cmp_eq_u16_e32 vcc, 0, v10
	v_cndmask_b32_e32 v6, v6, v13, vcc
	v_cndmask_b32_e32 v10, v11, v12, vcc
	v_lshlrev_b32_e32 v11, 8, v3
	v_mov_b32_e32 v12, 0x3b800000
	v_lshlrev_b32_e32 v6, 20, v6
	v_and_b32_e32 v11, 0x80000000, v11
	v_lshl_add_u32 v10, v10, 23, v12
	v_or3_b32 v10, v11, v10, v6
.LBB24_696:
	s_or_b64 exec, exec, s[6:7]
	s_nop 0
	v_mfma_f32_16x16x4f32 a[0:3], v2, v10, a[0:3]
	s_movk_i32 s4, 0x7f
	v_cmp_gt_i16_sdwa s[6:7], v7, s4 src0_sel:BYTE_3 src1_sel:DWORD
	s_mov_b64 s[4:5], 0
                                        ; implicit-def: $sgpr10
	s_and_saveexec_b64 s[8:9], s[6:7]
	s_xor_b64 s[6:7], exec, s[8:9]
	s_cbranch_execnz .LBB24_2745
; %bb.697:
	s_or_saveexec_b64 s[6:7], s[6:7]
	v_mov_b32_e32 v2, s10
	s_xor_b64 exec, exec, s[6:7]
	s_cbranch_execnz .LBB24_2748
.LBB24_698:
	s_or_b64 exec, exec, s[6:7]
	s_and_saveexec_b64 s[6:7], s[4:5]
	s_cbranch_execz .LBB24_700
.LBB24_699:
	v_bfe_u32 v2, v7, 24, 3
	v_ffbh_u32_e32 v12, v2
	v_min_u32_e32 v12, 32, v12
	v_lshrrev_b32_e32 v10, 27, v7
	v_subrev_u32_e32 v13, 28, v12
	v_and_b32_e32 v6, 0x80000000, v7
	v_and_b32_e32 v10, 15, v10
	v_bfe_u32 v11, v7, 27, 4
	v_lshlrev_b32_sdwa v7, v13, v7 dst_sel:DWORD dst_unused:UNUSED_PAD src0_sel:DWORD src1_sel:BYTE_3
	v_sub_u32_e32 v12, 29, v12
	v_and_b32_e32 v7, 7, v7
	v_cmp_eq_u16_e32 vcc, 0, v10
	v_cndmask_b32_e32 v2, v2, v7, vcc
	v_cndmask_b32_e32 v7, v11, v12, vcc
	v_mov_b32_e32 v10, 0x3b800000
	v_lshlrev_b32_e32 v2, 20, v2
	v_lshl_add_u32 v7, v7, 23, v10
	v_or3_b32 v2, v6, v7, v2
.LBB24_700:
	s_or_b64 exec, exec, s[6:7]
	s_movk_i32 s4, 0x7f
	v_cmp_gt_i16_sdwa s[6:7], v3, s4 src0_sel:BYTE_3 src1_sel:DWORD
	s_mov_b64 s[4:5], 0
                                        ; implicit-def: $sgpr10
	s_and_saveexec_b64 s[8:9], s[6:7]
	s_xor_b64 s[6:7], exec, s[8:9]
	s_cbranch_execnz .LBB24_2749
; %bb.701:
	s_or_saveexec_b64 s[6:7], s[6:7]
	v_mov_b32_e32 v6, s10
	s_xor_b64 exec, exec, s[6:7]
	s_cbranch_execnz .LBB24_2752
.LBB24_702:
	s_or_b64 exec, exec, s[6:7]
	s_and_saveexec_b64 s[6:7], s[4:5]
	s_cbranch_execz .LBB24_704
.LBB24_703:
	v_bfe_u32 v6, v3, 24, 3
	v_ffbh_u32_e32 v12, v6
	v_min_u32_e32 v12, 32, v12
	v_lshrrev_b32_e32 v10, 27, v3
	v_subrev_u32_e32 v13, 28, v12
	v_and_b32_e32 v7, 0x80000000, v3
	v_and_b32_e32 v10, 15, v10
	v_bfe_u32 v11, v3, 27, 4
	v_lshlrev_b32_sdwa v3, v13, v3 dst_sel:DWORD dst_unused:UNUSED_PAD src0_sel:DWORD src1_sel:BYTE_3
	v_sub_u32_e32 v12, 29, v12
	v_and_b32_e32 v3, 7, v3
	v_cmp_eq_u16_e32 vcc, 0, v10
	v_cndmask_b32_e32 v3, v6, v3, vcc
	v_cndmask_b32_e32 v6, v11, v12, vcc
	v_mov_b32_e32 v10, 0x3b800000
	v_lshlrev_b32_e32 v3, 20, v3
	v_lshl_add_u32 v6, v6, 23, v10
	v_or3_b32 v6, v7, v6, v3
.LBB24_704:
	s_or_b64 exec, exec, s[6:7]
	s_nop 0
	v_mfma_f32_16x16x4f32 a[0:3], v2, v6, a[0:3]
	s_movk_i32 s4, 0x7f
	v_cmp_gt_i16_sdwa s[6:7], v8, s4 src0_sel:BYTE_0 src1_sel:DWORD
	s_mov_b64 s[4:5], 0
                                        ; implicit-def: $sgpr10
	s_and_saveexec_b64 s[8:9], s[6:7]
	s_xor_b64 s[6:7], exec, s[8:9]
	s_cbranch_execnz .LBB24_2753
; %bb.705:
	s_or_saveexec_b64 s[6:7], s[6:7]
	v_mov_b32_e32 v2, s10
	s_xor_b64 exec, exec, s[6:7]
	s_cbranch_execnz .LBB24_2756
.LBB24_706:
	s_or_b64 exec, exec, s[6:7]
	s_and_saveexec_b64 s[6:7], s[4:5]
	s_cbranch_execz .LBB24_708
.LBB24_707:
	v_and_b32_e32 v2, 7, v8
	v_ffbh_u32_e32 v6, v2
	v_min_u32_e32 v6, 32, v6
	v_lshrrev_b16_e32 v3, 3, v8
	v_subrev_u32_e32 v7, 28, v6
	v_and_b32_e32 v3, 15, v3
	v_lshlrev_b32_e32 v7, v7, v8
	v_sub_u32_e32 v6, 29, v6
	v_and_b32_e32 v7, 7, v7
	v_cmp_eq_u16_e32 vcc, 0, v3
	v_cndmask_b32_e32 v2, v2, v7, vcc
	v_cndmask_b32_e32 v3, v3, v6, vcc
	v_lshlrev_b32_e32 v6, 24, v8
	v_mov_b32_e32 v7, 0x3b800000
	v_lshlrev_b32_e32 v2, 20, v2
	v_and_b32_e32 v6, 0x80000000, v6
	v_lshl_add_u32 v3, v3, 23, v7
	v_or3_b32 v2, v6, v3, v2
.LBB24_708:
	s_or_b64 exec, exec, s[6:7]
	s_movk_i32 s4, 0x7f
	v_cmp_gt_i16_sdwa s[6:7], v4, s4 src0_sel:BYTE_0 src1_sel:DWORD
	s_mov_b64 s[4:5], 0
                                        ; implicit-def: $sgpr10
	s_and_saveexec_b64 s[8:9], s[6:7]
	s_xor_b64 s[6:7], exec, s[8:9]
	s_cbranch_execnz .LBB24_2757
; %bb.709:
	s_or_saveexec_b64 s[6:7], s[6:7]
	v_mov_b32_e32 v3, s10
	s_xor_b64 exec, exec, s[6:7]
	s_cbranch_execnz .LBB24_2760
.LBB24_710:
	s_or_b64 exec, exec, s[6:7]
	s_and_saveexec_b64 s[6:7], s[4:5]
	s_cbranch_execz .LBB24_712
.LBB24_711:
	v_and_b32_e32 v3, 7, v4
	v_ffbh_u32_e32 v7, v3
	v_min_u32_e32 v7, 32, v7
	v_lshrrev_b16_e32 v6, 3, v4
	v_subrev_u32_e32 v10, 28, v7
	v_and_b32_e32 v6, 15, v6
	v_lshlrev_b32_e32 v10, v10, v4
	v_sub_u32_e32 v7, 29, v7
	v_and_b32_e32 v10, 7, v10
	v_cmp_eq_u16_e32 vcc, 0, v6
	v_cndmask_b32_e32 v3, v3, v10, vcc
	v_cndmask_b32_e32 v6, v6, v7, vcc
	v_lshlrev_b32_e32 v7, 24, v4
	v_mov_b32_e32 v10, 0x3b800000
	v_lshlrev_b32_e32 v3, 20, v3
	v_and_b32_e32 v7, 0x80000000, v7
	v_lshl_add_u32 v6, v6, 23, v10
	v_or3_b32 v3, v7, v6, v3
.LBB24_712:
	s_or_b64 exec, exec, s[6:7]
	s_nop 0
	v_mfma_f32_16x16x4f32 a[0:3], v2, v3, a[0:3]
	v_lshrrev_b32_e32 v3, 8, v8
	s_movk_i32 s4, 0x7f
	v_cmp_gt_i16_sdwa s[6:7], v3, s4 src0_sel:BYTE_0 src1_sel:DWORD
	s_mov_b64 s[4:5], 0
                                        ; implicit-def: $sgpr10
	s_and_saveexec_b64 s[8:9], s[6:7]
	s_xor_b64 s[6:7], exec, s[8:9]
	s_cbranch_execnz .LBB24_2761
; %bb.713:
	s_or_saveexec_b64 s[6:7], s[6:7]
	v_mov_b32_e32 v2, s10
	s_xor_b64 exec, exec, s[6:7]
	s_cbranch_execnz .LBB24_2764
.LBB24_714:
	s_or_b64 exec, exec, s[6:7]
	s_and_saveexec_b64 s[6:7], s[4:5]
	s_cbranch_execz .LBB24_716
.LBB24_715:
	v_bfe_u32 v2, v8, 8, 3
	v_ffbh_u32_e32 v7, v2
	v_min_u32_e32 v7, 32, v7
	v_lshrrev_b16_e32 v6, 3, v3
	v_subrev_u32_e32 v10, 28, v7
	v_and_b32_e32 v6, 15, v6
	v_lshlrev_b32_e32 v3, v10, v3
	v_sub_u32_e32 v7, 29, v7
	v_and_b32_e32 v3, 7, v3
	v_cmp_eq_u16_e32 vcc, 0, v6
	v_cndmask_b32_e32 v2, v2, v3, vcc
	v_cndmask_b32_e32 v3, v6, v7, vcc
	v_lshlrev_b32_e32 v6, 16, v8
	v_mov_b32_e32 v7, 0x3b800000
	v_lshlrev_b32_e32 v2, 20, v2
	v_and_b32_e32 v6, 0x80000000, v6
	v_lshl_add_u32 v3, v3, 23, v7
	v_or3_b32 v2, v6, v3, v2
.LBB24_716:
	s_or_b64 exec, exec, s[6:7]
	v_lshrrev_b32_e32 v3, 8, v4
	s_movk_i32 s4, 0x7f
	v_cmp_gt_i16_sdwa s[6:7], v3, s4 src0_sel:BYTE_0 src1_sel:DWORD
	s_mov_b64 s[4:5], 0
                                        ; implicit-def: $sgpr10
	s_and_saveexec_b64 s[8:9], s[6:7]
	s_xor_b64 s[6:7], exec, s[8:9]
	s_cbranch_execnz .LBB24_2765
; %bb.717:
	s_or_saveexec_b64 s[6:7], s[6:7]
	v_mov_b32_e32 v6, s10
	s_xor_b64 exec, exec, s[6:7]
	s_cbranch_execnz .LBB24_2768
.LBB24_718:
	s_or_b64 exec, exec, s[6:7]
	s_and_saveexec_b64 s[6:7], s[4:5]
	s_cbranch_execz .LBB24_720
.LBB24_719:
	v_bfe_u32 v6, v4, 8, 3
	v_ffbh_u32_e32 v10, v6
	v_min_u32_e32 v10, 32, v10
	v_lshrrev_b16_e32 v7, 3, v3
	v_subrev_u32_e32 v11, 28, v10
	v_and_b32_e32 v7, 15, v7
	v_lshlrev_b32_e32 v3, v11, v3
	v_sub_u32_e32 v10, 29, v10
	v_and_b32_e32 v3, 7, v3
	v_cmp_eq_u16_e32 vcc, 0, v7
	v_cndmask_b32_e32 v3, v6, v3, vcc
	v_cndmask_b32_e32 v6, v7, v10, vcc
	v_lshlrev_b32_e32 v7, 16, v4
	v_mov_b32_e32 v10, 0x3b800000
	v_lshlrev_b32_e32 v3, 20, v3
	v_and_b32_e32 v7, 0x80000000, v7
	v_lshl_add_u32 v6, v6, 23, v10
	v_or3_b32 v6, v7, v6, v3
.LBB24_720:
	s_or_b64 exec, exec, s[6:7]
	s_nop 0
	v_mfma_f32_16x16x4f32 a[0:3], v2, v6, a[0:3]
	s_movk_i32 s4, 0xff
	v_and_b32_sdwa v3, v8, s4 dst_sel:DWORD dst_unused:UNUSED_PAD src0_sel:WORD_1 src1_sel:DWORD
	s_movk_i32 s4, 0x7f
	v_cmp_lt_i16_e32 vcc, s4, v3
	s_mov_b64 s[4:5], 0
                                        ; implicit-def: $sgpr10
	s_and_saveexec_b64 s[6:7], vcc
	s_xor_b64 s[6:7], exec, s[6:7]
	s_cbranch_execnz .LBB24_2769
; %bb.721:
	s_or_saveexec_b64 s[6:7], s[6:7]
	v_mov_b32_e32 v2, s10
	s_xor_b64 exec, exec, s[6:7]
	s_cbranch_execnz .LBB24_2772
.LBB24_722:
	s_or_b64 exec, exec, s[6:7]
	s_and_saveexec_b64 s[6:7], s[4:5]
	s_cbranch_execz .LBB24_724
.LBB24_723:
	v_bfe_u32 v2, v8, 16, 3
	v_ffbh_u32_e32 v7, v2
	v_min_u32_e32 v7, 32, v7
	v_lshrrev_b32_e32 v3, 19, v8
	v_subrev_u32_e32 v10, 28, v7
	v_and_b32_e32 v3, 15, v3
	v_lshlrev_b32_sdwa v10, v10, v8 dst_sel:DWORD dst_unused:UNUSED_PAD src0_sel:DWORD src1_sel:WORD_1
	v_bfe_u32 v6, v8, 19, 4
	v_sub_u32_e32 v7, 29, v7
	v_and_b32_e32 v10, 7, v10
	v_cmp_eq_u16_e32 vcc, 0, v3
	v_cndmask_b32_e32 v2, v2, v10, vcc
	v_cndmask_b32_e32 v3, v6, v7, vcc
	v_lshlrev_b32_e32 v6, 8, v8
	v_mov_b32_e32 v7, 0x3b800000
	v_lshlrev_b32_e32 v2, 20, v2
	v_and_b32_e32 v6, 0x80000000, v6
	v_lshl_add_u32 v3, v3, 23, v7
	v_or3_b32 v2, v6, v3, v2
.LBB24_724:
	s_or_b64 exec, exec, s[6:7]
	s_movk_i32 s4, 0xff
	v_and_b32_sdwa v3, v4, s4 dst_sel:DWORD dst_unused:UNUSED_PAD src0_sel:WORD_1 src1_sel:DWORD
	s_movk_i32 s4, 0x7f
	v_cmp_lt_i16_e32 vcc, s4, v3
	s_mov_b64 s[4:5], 0
                                        ; implicit-def: $sgpr10
	s_and_saveexec_b64 s[6:7], vcc
	s_xor_b64 s[6:7], exec, s[6:7]
	s_cbranch_execnz .LBB24_2773
; %bb.725:
	s_or_saveexec_b64 s[6:7], s[6:7]
	v_mov_b32_e32 v6, s10
	s_xor_b64 exec, exec, s[6:7]
	s_cbranch_execnz .LBB24_2776
.LBB24_726:
	s_or_b64 exec, exec, s[6:7]
	s_and_saveexec_b64 s[6:7], s[4:5]
	s_cbranch_execz .LBB24_728
.LBB24_727:
	v_bfe_u32 v3, v4, 16, 3
	v_ffbh_u32_e32 v10, v3
	v_min_u32_e32 v10, 32, v10
	v_lshrrev_b32_e32 v6, 19, v4
	v_subrev_u32_e32 v11, 28, v10
	v_and_b32_e32 v6, 15, v6
	v_lshlrev_b32_sdwa v11, v11, v4 dst_sel:DWORD dst_unused:UNUSED_PAD src0_sel:DWORD src1_sel:WORD_1
	v_bfe_u32 v7, v4, 19, 4
	v_sub_u32_e32 v10, 29, v10
	v_and_b32_e32 v11, 7, v11
	v_cmp_eq_u16_e32 vcc, 0, v6
	v_cndmask_b32_e32 v3, v3, v11, vcc
	v_cndmask_b32_e32 v6, v7, v10, vcc
	v_lshlrev_b32_e32 v7, 8, v4
	v_mov_b32_e32 v10, 0x3b800000
	v_lshlrev_b32_e32 v3, 20, v3
	v_and_b32_e32 v7, 0x80000000, v7
	v_lshl_add_u32 v6, v6, 23, v10
	v_or3_b32 v6, v7, v6, v3
.LBB24_728:
	s_or_b64 exec, exec, s[6:7]
	s_nop 0
	v_mfma_f32_16x16x4f32 a[0:3], v2, v6, a[0:3]
	s_movk_i32 s4, 0x7f
	v_cmp_gt_i16_sdwa s[6:7], v8, s4 src0_sel:BYTE_3 src1_sel:DWORD
	s_mov_b64 s[4:5], 0
                                        ; implicit-def: $sgpr10
	s_and_saveexec_b64 s[8:9], s[6:7]
	s_xor_b64 s[6:7], exec, s[8:9]
	s_cbranch_execnz .LBB24_2777
; %bb.729:
	s_or_saveexec_b64 s[6:7], s[6:7]
	v_mov_b32_e32 v2, s10
	s_xor_b64 exec, exec, s[6:7]
	s_cbranch_execnz .LBB24_2780
.LBB24_730:
	s_or_b64 exec, exec, s[6:7]
	s_and_saveexec_b64 s[6:7], s[4:5]
	s_cbranch_execz .LBB24_732
.LBB24_731:
	v_bfe_u32 v2, v8, 24, 3
	v_ffbh_u32_e32 v10, v2
	v_min_u32_e32 v10, 32, v10
	v_lshrrev_b32_e32 v6, 27, v8
	v_subrev_u32_e32 v11, 28, v10
	v_and_b32_e32 v3, 0x80000000, v8
	v_and_b32_e32 v6, 15, v6
	v_bfe_u32 v7, v8, 27, 4
	v_lshlrev_b32_sdwa v8, v11, v8 dst_sel:DWORD dst_unused:UNUSED_PAD src0_sel:DWORD src1_sel:BYTE_3
	v_sub_u32_e32 v10, 29, v10
	v_and_b32_e32 v8, 7, v8
	v_cmp_eq_u16_e32 vcc, 0, v6
	v_cndmask_b32_e32 v2, v2, v8, vcc
	v_cndmask_b32_e32 v6, v7, v10, vcc
	v_mov_b32_e32 v7, 0x3b800000
	v_lshlrev_b32_e32 v2, 20, v2
	v_lshl_add_u32 v6, v6, 23, v7
	v_or3_b32 v2, v3, v6, v2
.LBB24_732:
	s_or_b64 exec, exec, s[6:7]
	s_movk_i32 s4, 0x7f
	v_cmp_gt_i16_sdwa s[6:7], v4, s4 src0_sel:BYTE_3 src1_sel:DWORD
	s_mov_b64 s[4:5], 0
                                        ; implicit-def: $sgpr10
	s_and_saveexec_b64 s[8:9], s[6:7]
	s_xor_b64 s[6:7], exec, s[8:9]
	s_cbranch_execnz .LBB24_2781
; %bb.733:
	s_or_saveexec_b64 s[6:7], s[6:7]
	v_mov_b32_e32 v3, s10
	s_xor_b64 exec, exec, s[6:7]
	s_cbranch_execnz .LBB24_2784
.LBB24_734:
	s_or_b64 exec, exec, s[6:7]
	s_and_saveexec_b64 s[6:7], s[4:5]
	s_cbranch_execz .LBB24_736
.LBB24_735:
	v_bfe_u32 v3, v4, 24, 3
	v_ffbh_u32_e32 v10, v3
	v_min_u32_e32 v10, 32, v10
	v_lshrrev_b32_e32 v7, 27, v4
	v_subrev_u32_e32 v11, 28, v10
	v_and_b32_e32 v6, 0x80000000, v4
	v_and_b32_e32 v7, 15, v7
	v_bfe_u32 v8, v4, 27, 4
	v_lshlrev_b32_sdwa v4, v11, v4 dst_sel:DWORD dst_unused:UNUSED_PAD src0_sel:DWORD src1_sel:BYTE_3
	v_sub_u32_e32 v10, 29, v10
	v_and_b32_e32 v4, 7, v4
	v_cmp_eq_u16_e32 vcc, 0, v7
	v_cndmask_b32_e32 v3, v3, v4, vcc
	v_cndmask_b32_e32 v4, v8, v10, vcc
	v_mov_b32_e32 v7, 0x3b800000
	v_lshlrev_b32_e32 v3, 20, v3
	v_lshl_add_u32 v4, v4, 23, v7
	v_or3_b32 v3, v6, v4, v3
.LBB24_736:
	s_or_b64 exec, exec, s[6:7]
	s_nop 0
	v_mfma_f32_16x16x4f32 a[0:3], v2, v3, a[0:3]
	s_movk_i32 s4, 0x7f
	v_cmp_gt_i16_sdwa s[6:7], v9, s4 src0_sel:BYTE_0 src1_sel:DWORD
	s_mov_b64 s[4:5], 0
                                        ; implicit-def: $sgpr10
	s_and_saveexec_b64 s[8:9], s[6:7]
	s_xor_b64 s[6:7], exec, s[8:9]
	s_cbranch_execnz .LBB24_2785
; %bb.737:
	s_or_saveexec_b64 s[6:7], s[6:7]
	v_mov_b32_e32 v2, s10
	s_xor_b64 exec, exec, s[6:7]
	s_cbranch_execnz .LBB24_2788
.LBB24_738:
	s_or_b64 exec, exec, s[6:7]
	s_and_saveexec_b64 s[6:7], s[4:5]
	s_cbranch_execz .LBB24_740
.LBB24_739:
	v_mov_b32_e32 v2, 8
	v_and_b32_e32 v3, 7, v9
	v_lshrrev_b32_sdwa v2, v2, v9 dst_sel:BYTE_1 dst_unused:UNUSED_PAD src0_sel:DWORD src1_sel:DWORD
	v_ffbh_u32_e32 v4, v3
	v_or_b32_sdwa v2, v9, v2 dst_sel:DWORD dst_unused:UNUSED_PAD src0_sel:BYTE_0 src1_sel:DWORD
	v_min_u32_e32 v4, 32, v4
	v_lshrrev_b16_e32 v2, 3, v2
	v_subrev_u32_e32 v6, 28, v4
	v_and_b32_e32 v2, 15, v2
	v_lshlrev_b32_e32 v6, v6, v9
	v_sub_u32_e32 v4, 29, v4
	v_and_b32_e32 v6, 7, v6
	v_cmp_eq_u16_e32 vcc, 0, v2
	v_cndmask_b32_e32 v3, v3, v6, vcc
	v_cndmask_b32_e32 v2, v2, v4, vcc
	v_lshlrev_b32_e32 v4, 24, v9
	v_mov_b32_e32 v6, 0x3b800000
	v_lshlrev_b32_e32 v3, 20, v3
	v_and_b32_e32 v4, 0x80000000, v4
	v_lshl_add_u32 v2, v2, 23, v6
	v_or3_b32 v2, v4, v2, v3
.LBB24_740:
	s_or_b64 exec, exec, s[6:7]
	s_movk_i32 s4, 0x7f
	v_cmp_gt_i16_sdwa s[6:7], v5, s4 src0_sel:BYTE_0 src1_sel:DWORD
	s_mov_b64 s[4:5], 0
                                        ; implicit-def: $sgpr10
	s_and_saveexec_b64 s[8:9], s[6:7]
	s_xor_b64 s[6:7], exec, s[8:9]
	s_cbranch_execnz .LBB24_2789
; %bb.741:
	s_or_saveexec_b64 s[6:7], s[6:7]
	v_mov_b32_e32 v3, s10
	s_xor_b64 exec, exec, s[6:7]
	s_cbranch_execnz .LBB24_2792
.LBB24_742:
	s_or_b64 exec, exec, s[6:7]
	s_and_saveexec_b64 s[6:7], s[4:5]
	s_cbranch_execz .LBB24_744
.LBB24_743:
	v_mov_b32_e32 v3, 8
	v_and_b32_e32 v4, 7, v5
	v_lshrrev_b32_sdwa v3, v3, v5 dst_sel:BYTE_1 dst_unused:UNUSED_PAD src0_sel:DWORD src1_sel:DWORD
	v_ffbh_u32_e32 v6, v4
	v_or_b32_sdwa v3, v5, v3 dst_sel:DWORD dst_unused:UNUSED_PAD src0_sel:BYTE_0 src1_sel:DWORD
	v_min_u32_e32 v6, 32, v6
	v_lshrrev_b16_e32 v3, 3, v3
	v_subrev_u32_e32 v7, 28, v6
	v_and_b32_e32 v3, 15, v3
	v_lshlrev_b32_e32 v7, v7, v5
	v_sub_u32_e32 v6, 29, v6
	v_and_b32_e32 v7, 7, v7
	v_cmp_eq_u16_e32 vcc, 0, v3
	v_cndmask_b32_e32 v4, v4, v7, vcc
	v_cndmask_b32_e32 v3, v3, v6, vcc
	v_lshlrev_b32_e32 v6, 24, v5
	v_mov_b32_e32 v7, 0x3b800000
	v_lshlrev_b32_e32 v4, 20, v4
	v_and_b32_e32 v6, 0x80000000, v6
	v_lshl_add_u32 v3, v3, 23, v7
	v_or3_b32 v3, v6, v3, v4
.LBB24_744:
	s_or_b64 exec, exec, s[6:7]
	s_nop 0
	v_mfma_f32_16x16x4f32 a[0:3], v2, v3, a[0:3]
	v_lshrrev_b32_e32 v3, 8, v9
	s_movk_i32 s4, 0x7f
	v_cmp_gt_i16_sdwa s[6:7], v3, s4 src0_sel:BYTE_0 src1_sel:DWORD
	s_mov_b64 s[4:5], 0
                                        ; implicit-def: $sgpr10
	s_and_saveexec_b64 s[8:9], s[6:7]
	s_xor_b64 s[6:7], exec, s[8:9]
	s_cbranch_execnz .LBB24_2793
; %bb.745:
	s_or_saveexec_b64 s[6:7], s[6:7]
	v_mov_b32_e32 v2, s10
	s_xor_b64 exec, exec, s[6:7]
	s_cbranch_execnz .LBB24_2796
.LBB24_746:
	s_or_b64 exec, exec, s[6:7]
	s_and_saveexec_b64 s[6:7], s[4:5]
	s_cbranch_execz .LBB24_748
.LBB24_747:
	v_bfe_u32 v2, v9, 8, 3
	v_ffbh_u32_e32 v6, v2
	v_min_u32_e32 v6, 32, v6
	v_lshrrev_b16_e32 v4, 3, v3
	v_subrev_u32_e32 v7, 28, v6
	v_and_b32_e32 v4, 15, v4
	v_lshlrev_b32_e32 v3, v7, v3
	v_sub_u32_e32 v6, 29, v6
	v_and_b32_e32 v3, 7, v3
	v_cmp_eq_u16_e32 vcc, 0, v4
	v_cndmask_b32_e32 v2, v2, v3, vcc
	v_cndmask_b32_e32 v3, v4, v6, vcc
	v_lshlrev_b32_e32 v4, 16, v9
	v_mov_b32_e32 v6, 0x3b800000
	v_lshlrev_b32_e32 v2, 20, v2
	v_and_b32_e32 v4, 0x80000000, v4
	v_lshl_add_u32 v3, v3, 23, v6
	v_or3_b32 v2, v4, v3, v2
.LBB24_748:
	s_or_b64 exec, exec, s[6:7]
	v_lshrrev_b32_e32 v3, 8, v5
	s_movk_i32 s4, 0x7f
	v_cmp_gt_i16_sdwa s[6:7], v3, s4 src0_sel:BYTE_0 src1_sel:DWORD
	s_mov_b64 s[4:5], 0
                                        ; implicit-def: $sgpr10
	s_and_saveexec_b64 s[8:9], s[6:7]
	s_xor_b64 s[6:7], exec, s[8:9]
	s_cbranch_execnz .LBB24_2797
; %bb.749:
	s_or_saveexec_b64 s[6:7], s[6:7]
	v_mov_b32_e32 v4, s10
	s_xor_b64 exec, exec, s[6:7]
	s_cbranch_execnz .LBB24_2800
.LBB24_750:
	s_or_b64 exec, exec, s[6:7]
	s_and_saveexec_b64 s[6:7], s[4:5]
	s_cbranch_execz .LBB24_752
.LBB24_751:
	v_bfe_u32 v4, v5, 8, 3
	v_ffbh_u32_e32 v7, v4
	v_min_u32_e32 v7, 32, v7
	v_lshrrev_b16_e32 v6, 3, v3
	v_subrev_u32_e32 v8, 28, v7
	v_and_b32_e32 v6, 15, v6
	v_lshlrev_b32_e32 v3, v8, v3
	v_sub_u32_e32 v7, 29, v7
	v_and_b32_e32 v3, 7, v3
	v_cmp_eq_u16_e32 vcc, 0, v6
	v_cndmask_b32_e32 v3, v4, v3, vcc
	v_cndmask_b32_e32 v4, v6, v7, vcc
	v_lshlrev_b32_e32 v6, 16, v5
	v_mov_b32_e32 v7, 0x3b800000
	v_lshlrev_b32_e32 v3, 20, v3
	v_and_b32_e32 v6, 0x80000000, v6
	v_lshl_add_u32 v4, v4, 23, v7
	v_or3_b32 v4, v6, v4, v3
.LBB24_752:
	s_or_b64 exec, exec, s[6:7]
	s_nop 0
	v_mfma_f32_16x16x4f32 a[0:3], v2, v4, a[0:3]
	s_movk_i32 s4, 0xff
	v_and_b32_sdwa v3, v9, s4 dst_sel:DWORD dst_unused:UNUSED_PAD src0_sel:WORD_1 src1_sel:DWORD
	s_movk_i32 s4, 0x7f
	v_cmp_lt_i16_e32 vcc, s4, v3
	s_mov_b64 s[4:5], 0
                                        ; implicit-def: $sgpr10
	s_and_saveexec_b64 s[6:7], vcc
	s_xor_b64 s[6:7], exec, s[6:7]
	s_cbranch_execnz .LBB24_2801
; %bb.753:
	s_or_saveexec_b64 s[6:7], s[6:7]
	v_mov_b32_e32 v2, s10
	s_xor_b64 exec, exec, s[6:7]
	s_cbranch_execnz .LBB24_2804
.LBB24_754:
	s_or_b64 exec, exec, s[6:7]
	s_and_saveexec_b64 s[6:7], s[4:5]
	s_cbranch_execz .LBB24_756
.LBB24_755:
	v_bfe_u32 v2, v9, 16, 3
	v_ffbh_u32_e32 v6, v2
	v_min_u32_e32 v6, 32, v6
	v_lshrrev_b32_e32 v3, 19, v9
	v_subrev_u32_e32 v7, 28, v6
	v_and_b32_e32 v3, 15, v3
	v_lshlrev_b32_sdwa v7, v7, v9 dst_sel:DWORD dst_unused:UNUSED_PAD src0_sel:DWORD src1_sel:WORD_1
	v_bfe_u32 v4, v9, 19, 4
	v_sub_u32_e32 v6, 29, v6
	v_and_b32_e32 v7, 7, v7
	v_cmp_eq_u16_e32 vcc, 0, v3
	v_cndmask_b32_e32 v2, v2, v7, vcc
	v_cndmask_b32_e32 v3, v4, v6, vcc
	v_lshlrev_b32_e32 v4, 8, v9
	v_mov_b32_e32 v6, 0x3b800000
	v_lshlrev_b32_e32 v2, 20, v2
	v_and_b32_e32 v4, 0x80000000, v4
	v_lshl_add_u32 v3, v3, 23, v6
	v_or3_b32 v2, v4, v3, v2
.LBB24_756:
	s_or_b64 exec, exec, s[6:7]
	s_movk_i32 s4, 0xff
	v_and_b32_sdwa v3, v5, s4 dst_sel:DWORD dst_unused:UNUSED_PAD src0_sel:WORD_1 src1_sel:DWORD
	s_movk_i32 s4, 0x7f
	v_cmp_lt_i16_e32 vcc, s4, v3
	s_mov_b64 s[4:5], 0
                                        ; implicit-def: $sgpr10
	s_and_saveexec_b64 s[6:7], vcc
	s_xor_b64 s[6:7], exec, s[6:7]
	s_cbranch_execnz .LBB24_2805
; %bb.757:
	s_or_saveexec_b64 s[6:7], s[6:7]
	v_mov_b32_e32 v4, s10
	s_xor_b64 exec, exec, s[6:7]
	s_cbranch_execnz .LBB24_2808
.LBB24_758:
	s_or_b64 exec, exec, s[6:7]
	s_and_saveexec_b64 s[6:7], s[4:5]
	s_cbranch_execz .LBB24_760
.LBB24_759:
	v_bfe_u32 v3, v5, 16, 3
	v_ffbh_u32_e32 v7, v3
	v_min_u32_e32 v7, 32, v7
	v_lshrrev_b32_e32 v4, 19, v5
	v_subrev_u32_e32 v8, 28, v7
	v_and_b32_e32 v4, 15, v4
	v_lshlrev_b32_sdwa v8, v8, v5 dst_sel:DWORD dst_unused:UNUSED_PAD src0_sel:DWORD src1_sel:WORD_1
	v_bfe_u32 v6, v5, 19, 4
	v_sub_u32_e32 v7, 29, v7
	v_and_b32_e32 v8, 7, v8
	v_cmp_eq_u16_e32 vcc, 0, v4
	v_cndmask_b32_e32 v3, v3, v8, vcc
	v_cndmask_b32_e32 v4, v6, v7, vcc
	v_lshlrev_b32_e32 v6, 8, v5
	v_mov_b32_e32 v7, 0x3b800000
	v_lshlrev_b32_e32 v3, 20, v3
	v_and_b32_e32 v6, 0x80000000, v6
	v_lshl_add_u32 v4, v4, 23, v7
	v_or3_b32 v4, v6, v4, v3
.LBB24_760:
	s_or_b64 exec, exec, s[6:7]
	s_nop 0
	v_mfma_f32_16x16x4f32 a[0:3], v2, v4, a[0:3]
	s_movk_i32 s4, 0x7f
	v_cmp_gt_i16_sdwa s[6:7], v9, s4 src0_sel:BYTE_3 src1_sel:DWORD
	s_mov_b64 s[4:5], 0
                                        ; implicit-def: $sgpr10
	s_and_saveexec_b64 s[8:9], s[6:7]
	s_xor_b64 s[6:7], exec, s[8:9]
	s_cbranch_execnz .LBB24_2809
; %bb.761:
	s_or_saveexec_b64 s[6:7], s[6:7]
	v_mov_b32_e32 v2, s10
	s_xor_b64 exec, exec, s[6:7]
	s_cbranch_execnz .LBB24_2812
.LBB24_762:
	s_or_b64 exec, exec, s[6:7]
	s_and_saveexec_b64 s[6:7], s[4:5]
	s_cbranch_execz .LBB24_764
.LBB24_763:
	v_bfe_u32 v2, v9, 24, 3
	v_ffbh_u32_e32 v7, v2
	v_min_u32_e32 v7, 32, v7
	v_lshrrev_b32_e32 v4, 27, v9
	v_subrev_u32_e32 v8, 28, v7
	v_and_b32_e32 v4, 15, v4
	v_lshlrev_b32_sdwa v8, v8, v9 dst_sel:DWORD dst_unused:UNUSED_PAD src0_sel:DWORD src1_sel:BYTE_3
	v_bfe_u32 v6, v9, 27, 4
	v_sub_u32_e32 v7, 29, v7
	v_and_b32_e32 v8, 7, v8
	v_cmp_eq_u16_e32 vcc, 0, v4
	v_cndmask_b32_e32 v2, v2, v8, vcc
	v_cndmask_b32_e32 v4, v6, v7, vcc
	v_mov_b32_e32 v6, 0x3b800000
	v_and_b32_e32 v3, 0x80000000, v9
	v_lshlrev_b32_e32 v2, 20, v2
	v_lshl_add_u32 v4, v4, 23, v6
	v_or3_b32 v2, v3, v4, v2
.LBB24_764:
	s_or_b64 exec, exec, s[6:7]
	s_movk_i32 s4, 0x7f
	v_cmp_gt_i16_sdwa s[6:7], v5, s4 src0_sel:BYTE_3 src1_sel:DWORD
	s_mov_b64 s[4:5], 0
                                        ; implicit-def: $sgpr10
	s_and_saveexec_b64 s[8:9], s[6:7]
	s_xor_b64 s[6:7], exec, s[8:9]
	s_cbranch_execnz .LBB24_2813
; %bb.765:
	s_or_saveexec_b64 s[6:7], s[6:7]
	v_mov_b32_e32 v3, s10
	s_xor_b64 exec, exec, s[6:7]
	s_cbranch_execnz .LBB24_2816
.LBB24_766:
	s_or_b64 exec, exec, s[6:7]
	s_and_saveexec_b64 s[6:7], s[4:5]
	s_cbranch_execz .LBB24_768
.LBB24_767:
	v_bfe_u32 v3, v5, 24, 3
	v_ffbh_u32_e32 v8, v3
	v_min_u32_e32 v8, 32, v8
	v_lshrrev_b32_e32 v6, 27, v5
	v_subrev_u32_e32 v9, 28, v8
	v_and_b32_e32 v4, 0x80000000, v5
	v_and_b32_e32 v6, 15, v6
	v_bfe_u32 v7, v5, 27, 4
	v_lshlrev_b32_sdwa v5, v9, v5 dst_sel:DWORD dst_unused:UNUSED_PAD src0_sel:DWORD src1_sel:BYTE_3
	v_sub_u32_e32 v8, 29, v8
	v_and_b32_e32 v5, 7, v5
	v_cmp_eq_u16_e32 vcc, 0, v6
	v_cndmask_b32_e32 v3, v3, v5, vcc
	v_cndmask_b32_e32 v5, v7, v8, vcc
	v_mov_b32_e32 v6, 0x3b800000
	v_lshlrev_b32_e32 v3, 20, v3
	v_lshl_add_u32 v5, v5, 23, v6
	v_or3_b32 v3, v4, v5, v3
.LBB24_768:
	s_or_b64 exec, exec, s[6:7]
	s_nop 0
	v_mfma_f32_16x16x4f32 a[0:3], v2, v3, a[0:3]
	s_movk_i32 s4, 0x7f
                                        ; implicit-def: $sgpr10
	s_nop 7
	s_nop 1
	flat_store_dwordx4 v[18:19], a[0:3] offset:800
	flat_load_dwordx4 v[20:23], v[0:1] offset:8
	s_nop 0
	flat_load_dwordx2 v[18:19], v[0:1] offset:24
	s_waitcnt vmcnt(0) lgkmcnt(0)
	flat_load_dwordx4 v[14:17], v[20:21]
	flat_load_dwordx4 v[6:9], v[20:21] offset:16
	flat_load_dwordx4 v[10:13], v[22:23] offset:96
	;; [unrolled: 1-line block ×3, first 2 shown]
	s_waitcnt vmcnt(0) lgkmcnt(0)
	v_cmp_gt_i16_sdwa s[6:7], v14, s4 src0_sel:BYTE_0 src1_sel:DWORD
	s_mov_b64 s[4:5], 0
	s_and_saveexec_b64 s[8:9], s[6:7]
	s_xor_b64 s[6:7], exec, s[8:9]
	s_cbranch_execnz .LBB24_2817
; %bb.769:
	s_or_saveexec_b64 s[6:7], s[6:7]
	v_mov_b32_e32 v20, s10
	s_xor_b64 exec, exec, s[6:7]
	s_cbranch_execnz .LBB24_2820
.LBB24_770:
	s_or_b64 exec, exec, s[6:7]
	s_and_saveexec_b64 s[6:7], s[4:5]
	s_cbranch_execz .LBB24_772
.LBB24_771:
	v_and_b32_e32 v20, 7, v14
	v_ffbh_u32_e32 v22, v20
	v_min_u32_e32 v22, 32, v22
	v_lshrrev_b16_e32 v21, 3, v14
	v_subrev_u32_e32 v23, 28, v22
	v_and_b32_e32 v21, 15, v21
	v_lshlrev_b32_e32 v23, v23, v14
	v_sub_u32_e32 v22, 29, v22
	v_and_b32_e32 v23, 7, v23
	v_cmp_eq_u16_e32 vcc, 0, v21
	v_cndmask_b32_e32 v20, v20, v23, vcc
	v_cndmask_b32_e32 v21, v21, v22, vcc
	v_lshlrev_b32_e32 v22, 24, v14
	v_mov_b32_e32 v23, 0x3b800000
	v_lshlrev_b32_e32 v20, 20, v20
	v_and_b32_e32 v22, 0x80000000, v22
	v_lshl_add_u32 v21, v21, 23, v23
	v_or3_b32 v20, v22, v21, v20
.LBB24_772:
	s_or_b64 exec, exec, s[6:7]
	s_movk_i32 s4, 0x7f
	v_cmp_gt_i16_sdwa s[6:7], v10, s4 src0_sel:BYTE_0 src1_sel:DWORD
	s_mov_b64 s[4:5], 0
                                        ; implicit-def: $sgpr10
	s_and_saveexec_b64 s[8:9], s[6:7]
	s_xor_b64 s[6:7], exec, s[8:9]
	s_cbranch_execnz .LBB24_2821
; %bb.773:
	s_or_saveexec_b64 s[6:7], s[6:7]
	v_mov_b32_e32 v21, s10
	s_xor_b64 exec, exec, s[6:7]
	s_cbranch_execnz .LBB24_2824
.LBB24_774:
	s_or_b64 exec, exec, s[6:7]
	s_and_saveexec_b64 s[6:7], s[4:5]
	s_cbranch_execz .LBB24_776
.LBB24_775:
	v_and_b32_e32 v21, 7, v10
	v_ffbh_u32_e32 v23, v21
	v_min_u32_e32 v23, 32, v23
	v_lshrrev_b16_e32 v22, 3, v10
	v_subrev_u32_e32 v24, 28, v23
	v_and_b32_e32 v22, 15, v22
	v_lshlrev_b32_e32 v24, v24, v10
	v_sub_u32_e32 v23, 29, v23
	v_and_b32_e32 v24, 7, v24
	v_cmp_eq_u16_e32 vcc, 0, v22
	v_cndmask_b32_e32 v21, v21, v24, vcc
	v_cndmask_b32_e32 v22, v22, v23, vcc
	v_lshlrev_b32_e32 v23, 24, v10
	v_mov_b32_e32 v24, 0x3b800000
	v_lshlrev_b32_e32 v21, 20, v21
	v_and_b32_e32 v23, 0x80000000, v23
	v_lshl_add_u32 v22, v22, 23, v24
	v_or3_b32 v21, v23, v22, v21
.LBB24_776:
	s_or_b64 exec, exec, s[6:7]
	flat_load_dwordx4 a[0:3], v[18:19] offset:816
	s_movk_i32 s4, 0x7f
                                        ; implicit-def: $sgpr10
	s_waitcnt vmcnt(0) lgkmcnt(0)
	v_mfma_f32_16x16x4f32 a[0:3], v20, v21, a[0:3]
	v_lshrrev_b32_e32 v21, 8, v14
	v_cmp_gt_i16_sdwa s[6:7], v21, s4 src0_sel:BYTE_0 src1_sel:DWORD
	s_mov_b64 s[4:5], 0
	s_and_saveexec_b64 s[8:9], s[6:7]
	s_xor_b64 s[6:7], exec, s[8:9]
	s_cbranch_execnz .LBB24_2825
; %bb.777:
	s_or_saveexec_b64 s[6:7], s[6:7]
	v_mov_b32_e32 v20, s10
	s_xor_b64 exec, exec, s[6:7]
	s_cbranch_execnz .LBB24_2828
.LBB24_778:
	s_or_b64 exec, exec, s[6:7]
	s_and_saveexec_b64 s[6:7], s[4:5]
	s_cbranch_execz .LBB24_780
.LBB24_779:
	v_bfe_u32 v20, v14, 8, 3
	v_ffbh_u32_e32 v23, v20
	v_min_u32_e32 v23, 32, v23
	v_lshrrev_b16_e32 v22, 3, v21
	v_subrev_u32_e32 v24, 28, v23
	v_and_b32_e32 v22, 15, v22
	v_lshlrev_b32_e32 v21, v24, v21
	v_sub_u32_e32 v23, 29, v23
	v_and_b32_e32 v21, 7, v21
	v_cmp_eq_u16_e32 vcc, 0, v22
	v_cndmask_b32_e32 v20, v20, v21, vcc
	v_cndmask_b32_e32 v21, v22, v23, vcc
	v_lshlrev_b32_e32 v22, 16, v14
	v_mov_b32_e32 v23, 0x3b800000
	v_lshlrev_b32_e32 v20, 20, v20
	v_and_b32_e32 v22, 0x80000000, v22
	v_lshl_add_u32 v21, v21, 23, v23
	v_or3_b32 v20, v22, v21, v20
.LBB24_780:
	s_or_b64 exec, exec, s[6:7]
	v_lshrrev_b32_e32 v21, 8, v10
	s_movk_i32 s4, 0x7f
	v_cmp_gt_i16_sdwa s[6:7], v21, s4 src0_sel:BYTE_0 src1_sel:DWORD
	s_mov_b64 s[4:5], 0
                                        ; implicit-def: $sgpr10
	s_and_saveexec_b64 s[8:9], s[6:7]
	s_xor_b64 s[6:7], exec, s[8:9]
	s_cbranch_execnz .LBB24_2829
; %bb.781:
	s_or_saveexec_b64 s[6:7], s[6:7]
	v_mov_b32_e32 v22, s10
	s_xor_b64 exec, exec, s[6:7]
	s_cbranch_execnz .LBB24_2832
.LBB24_782:
	s_or_b64 exec, exec, s[6:7]
	s_and_saveexec_b64 s[6:7], s[4:5]
	s_cbranch_execz .LBB24_784
.LBB24_783:
	v_bfe_u32 v22, v10, 8, 3
	v_ffbh_u32_e32 v24, v22
	v_min_u32_e32 v24, 32, v24
	v_lshrrev_b16_e32 v23, 3, v21
	v_subrev_u32_e32 v25, 28, v24
	v_and_b32_e32 v23, 15, v23
	v_lshlrev_b32_e32 v21, v25, v21
	v_sub_u32_e32 v24, 29, v24
	v_and_b32_e32 v21, 7, v21
	v_cmp_eq_u16_e32 vcc, 0, v23
	v_cndmask_b32_e32 v21, v22, v21, vcc
	v_cndmask_b32_e32 v22, v23, v24, vcc
	v_lshlrev_b32_e32 v23, 16, v10
	v_mov_b32_e32 v24, 0x3b800000
	v_lshlrev_b32_e32 v21, 20, v21
	v_and_b32_e32 v23, 0x80000000, v23
	v_lshl_add_u32 v22, v22, 23, v24
	v_or3_b32 v22, v23, v22, v21
.LBB24_784:
	s_or_b64 exec, exec, s[6:7]
	s_nop 0
	v_mfma_f32_16x16x4f32 a[0:3], v20, v22, a[0:3]
	s_movk_i32 s4, 0xff
	v_and_b32_sdwa v21, v14, s4 dst_sel:DWORD dst_unused:UNUSED_PAD src0_sel:WORD_1 src1_sel:DWORD
	s_movk_i32 s4, 0x7f
	v_cmp_lt_i16_e32 vcc, s4, v21
	s_mov_b64 s[4:5], 0
                                        ; implicit-def: $sgpr10
	s_and_saveexec_b64 s[6:7], vcc
	s_xor_b64 s[6:7], exec, s[6:7]
	s_cbranch_execnz .LBB24_2833
; %bb.785:
	s_or_saveexec_b64 s[6:7], s[6:7]
	v_mov_b32_e32 v20, s10
	s_xor_b64 exec, exec, s[6:7]
	s_cbranch_execnz .LBB24_2836
.LBB24_786:
	s_or_b64 exec, exec, s[6:7]
	s_and_saveexec_b64 s[6:7], s[4:5]
	s_cbranch_execz .LBB24_788
.LBB24_787:
	v_bfe_u32 v20, v14, 16, 3
	v_ffbh_u32_e32 v23, v20
	v_min_u32_e32 v23, 32, v23
	v_lshrrev_b32_e32 v21, 19, v14
	v_subrev_u32_e32 v24, 28, v23
	v_and_b32_e32 v21, 15, v21
	v_lshlrev_b32_sdwa v24, v24, v14 dst_sel:DWORD dst_unused:UNUSED_PAD src0_sel:DWORD src1_sel:WORD_1
	v_bfe_u32 v22, v14, 19, 4
	v_sub_u32_e32 v23, 29, v23
	v_and_b32_e32 v24, 7, v24
	v_cmp_eq_u16_e32 vcc, 0, v21
	v_cndmask_b32_e32 v20, v20, v24, vcc
	v_cndmask_b32_e32 v21, v22, v23, vcc
	v_lshlrev_b32_e32 v22, 8, v14
	v_mov_b32_e32 v23, 0x3b800000
	v_lshlrev_b32_e32 v20, 20, v20
	v_and_b32_e32 v22, 0x80000000, v22
	v_lshl_add_u32 v21, v21, 23, v23
	v_or3_b32 v20, v22, v21, v20
.LBB24_788:
	s_or_b64 exec, exec, s[6:7]
	s_movk_i32 s4, 0xff
	v_and_b32_sdwa v21, v10, s4 dst_sel:DWORD dst_unused:UNUSED_PAD src0_sel:WORD_1 src1_sel:DWORD
	s_movk_i32 s4, 0x7f
	v_cmp_lt_i16_e32 vcc, s4, v21
	s_mov_b64 s[4:5], 0
                                        ; implicit-def: $sgpr10
	s_and_saveexec_b64 s[6:7], vcc
	s_xor_b64 s[6:7], exec, s[6:7]
	s_cbranch_execnz .LBB24_2837
; %bb.789:
	s_or_saveexec_b64 s[6:7], s[6:7]
	v_mov_b32_e32 v22, s10
	s_xor_b64 exec, exec, s[6:7]
	s_cbranch_execnz .LBB24_2840
.LBB24_790:
	s_or_b64 exec, exec, s[6:7]
	s_and_saveexec_b64 s[6:7], s[4:5]
	s_cbranch_execz .LBB24_792
.LBB24_791:
	v_bfe_u32 v21, v10, 16, 3
	v_ffbh_u32_e32 v24, v21
	v_min_u32_e32 v24, 32, v24
	v_lshrrev_b32_e32 v22, 19, v10
	v_subrev_u32_e32 v25, 28, v24
	v_and_b32_e32 v22, 15, v22
	v_lshlrev_b32_sdwa v25, v25, v10 dst_sel:DWORD dst_unused:UNUSED_PAD src0_sel:DWORD src1_sel:WORD_1
	v_bfe_u32 v23, v10, 19, 4
	v_sub_u32_e32 v24, 29, v24
	v_and_b32_e32 v25, 7, v25
	v_cmp_eq_u16_e32 vcc, 0, v22
	v_cndmask_b32_e32 v21, v21, v25, vcc
	v_cndmask_b32_e32 v22, v23, v24, vcc
	v_lshlrev_b32_e32 v23, 8, v10
	v_mov_b32_e32 v24, 0x3b800000
	v_lshlrev_b32_e32 v21, 20, v21
	v_and_b32_e32 v23, 0x80000000, v23
	v_lshl_add_u32 v22, v22, 23, v24
	v_or3_b32 v22, v23, v22, v21
.LBB24_792:
	s_or_b64 exec, exec, s[6:7]
	s_nop 0
	v_mfma_f32_16x16x4f32 a[0:3], v20, v22, a[0:3]
	s_movk_i32 s4, 0x7f
	v_cmp_gt_i16_sdwa s[6:7], v14, s4 src0_sel:BYTE_3 src1_sel:DWORD
	s_mov_b64 s[4:5], 0
                                        ; implicit-def: $sgpr10
	s_and_saveexec_b64 s[8:9], s[6:7]
	s_xor_b64 s[6:7], exec, s[8:9]
	s_cbranch_execnz .LBB24_2841
; %bb.793:
	s_or_saveexec_b64 s[6:7], s[6:7]
	v_mov_b32_e32 v20, s10
	s_xor_b64 exec, exec, s[6:7]
	s_cbranch_execnz .LBB24_2844
.LBB24_794:
	s_or_b64 exec, exec, s[6:7]
	s_and_saveexec_b64 s[6:7], s[4:5]
	s_cbranch_execz .LBB24_796
.LBB24_795:
	v_bfe_u32 v20, v14, 24, 3
	v_ffbh_u32_e32 v24, v20
	v_min_u32_e32 v24, 32, v24
	v_lshrrev_b32_e32 v22, 27, v14
	v_subrev_u32_e32 v25, 28, v24
	v_and_b32_e32 v21, 0x80000000, v14
	v_and_b32_e32 v22, 15, v22
	v_bfe_u32 v23, v14, 27, 4
	v_lshlrev_b32_sdwa v14, v25, v14 dst_sel:DWORD dst_unused:UNUSED_PAD src0_sel:DWORD src1_sel:BYTE_3
	v_sub_u32_e32 v24, 29, v24
	v_and_b32_e32 v14, 7, v14
	v_cmp_eq_u16_e32 vcc, 0, v22
	v_cndmask_b32_e32 v14, v20, v14, vcc
	v_cndmask_b32_e32 v20, v23, v24, vcc
	v_mov_b32_e32 v22, 0x3b800000
	v_lshlrev_b32_e32 v14, 20, v14
	v_lshl_add_u32 v20, v20, 23, v22
	v_or3_b32 v20, v21, v20, v14
.LBB24_796:
	s_or_b64 exec, exec, s[6:7]
	s_movk_i32 s4, 0x7f
	v_cmp_gt_i16_sdwa s[6:7], v10, s4 src0_sel:BYTE_3 src1_sel:DWORD
	s_mov_b64 s[4:5], 0
                                        ; implicit-def: $sgpr10
	s_and_saveexec_b64 s[8:9], s[6:7]
	s_xor_b64 s[6:7], exec, s[8:9]
	s_cbranch_execnz .LBB24_2845
; %bb.797:
	s_or_saveexec_b64 s[6:7], s[6:7]
	v_mov_b32_e32 v14, s10
	s_xor_b64 exec, exec, s[6:7]
	s_cbranch_execnz .LBB24_2848
.LBB24_798:
	s_or_b64 exec, exec, s[6:7]
	s_and_saveexec_b64 s[6:7], s[4:5]
	s_cbranch_execz .LBB24_800
.LBB24_799:
	v_bfe_u32 v14, v10, 24, 3
	v_ffbh_u32_e32 v24, v14
	v_min_u32_e32 v24, 32, v24
	v_lshrrev_b32_e32 v22, 27, v10
	v_subrev_u32_e32 v25, 28, v24
	v_and_b32_e32 v21, 0x80000000, v10
	v_and_b32_e32 v22, 15, v22
	v_bfe_u32 v23, v10, 27, 4
	v_lshlrev_b32_sdwa v10, v25, v10 dst_sel:DWORD dst_unused:UNUSED_PAD src0_sel:DWORD src1_sel:BYTE_3
	v_sub_u32_e32 v24, 29, v24
	v_and_b32_e32 v10, 7, v10
	v_cmp_eq_u16_e32 vcc, 0, v22
	v_cndmask_b32_e32 v10, v14, v10, vcc
	v_cndmask_b32_e32 v14, v23, v24, vcc
	v_mov_b32_e32 v22, 0x3b800000
	v_lshlrev_b32_e32 v10, 20, v10
	v_lshl_add_u32 v14, v14, 23, v22
	v_or3_b32 v14, v21, v14, v10
.LBB24_800:
	s_or_b64 exec, exec, s[6:7]
	s_nop 0
	v_mfma_f32_16x16x4f32 a[0:3], v20, v14, a[0:3]
	s_movk_i32 s4, 0x7f
	v_cmp_gt_i16_sdwa s[6:7], v15, s4 src0_sel:BYTE_0 src1_sel:DWORD
	s_mov_b64 s[4:5], 0
                                        ; implicit-def: $sgpr10
	s_and_saveexec_b64 s[8:9], s[6:7]
	s_xor_b64 s[6:7], exec, s[8:9]
	s_cbranch_execnz .LBB24_2849
; %bb.801:
	s_or_saveexec_b64 s[6:7], s[6:7]
	v_mov_b32_e32 v10, s10
	s_xor_b64 exec, exec, s[6:7]
	s_cbranch_execnz .LBB24_2852
.LBB24_802:
	s_or_b64 exec, exec, s[6:7]
	s_and_saveexec_b64 s[6:7], s[4:5]
	s_cbranch_execz .LBB24_804
.LBB24_803:
	v_and_b32_e32 v10, 7, v15
	v_ffbh_u32_e32 v20, v10
	v_min_u32_e32 v20, 32, v20
	v_lshrrev_b16_e32 v14, 3, v15
	v_subrev_u32_e32 v21, 28, v20
	v_and_b32_e32 v14, 15, v14
	v_lshlrev_b32_e32 v21, v21, v15
	v_sub_u32_e32 v20, 29, v20
	v_and_b32_e32 v21, 7, v21
	v_cmp_eq_u16_e32 vcc, 0, v14
	v_cndmask_b32_e32 v10, v10, v21, vcc
	v_cndmask_b32_e32 v14, v14, v20, vcc
	v_lshlrev_b32_e32 v20, 24, v15
	v_mov_b32_e32 v21, 0x3b800000
	v_lshlrev_b32_e32 v10, 20, v10
	v_and_b32_e32 v20, 0x80000000, v20
	v_lshl_add_u32 v14, v14, 23, v21
	v_or3_b32 v10, v20, v14, v10
.LBB24_804:
	s_or_b64 exec, exec, s[6:7]
	s_movk_i32 s4, 0x7f
	v_cmp_gt_i16_sdwa s[6:7], v11, s4 src0_sel:BYTE_0 src1_sel:DWORD
	s_mov_b64 s[4:5], 0
                                        ; implicit-def: $sgpr10
	s_and_saveexec_b64 s[8:9], s[6:7]
	s_xor_b64 s[6:7], exec, s[8:9]
	s_cbranch_execnz .LBB24_2853
; %bb.805:
	s_or_saveexec_b64 s[6:7], s[6:7]
	v_mov_b32_e32 v14, s10
	s_xor_b64 exec, exec, s[6:7]
	s_cbranch_execnz .LBB24_2856
.LBB24_806:
	s_or_b64 exec, exec, s[6:7]
	s_and_saveexec_b64 s[6:7], s[4:5]
	s_cbranch_execz .LBB24_808
.LBB24_807:
	v_and_b32_e32 v14, 7, v11
	v_ffbh_u32_e32 v21, v14
	v_min_u32_e32 v21, 32, v21
	v_lshrrev_b16_e32 v20, 3, v11
	v_subrev_u32_e32 v22, 28, v21
	v_and_b32_e32 v20, 15, v20
	v_lshlrev_b32_e32 v22, v22, v11
	v_sub_u32_e32 v21, 29, v21
	v_and_b32_e32 v22, 7, v22
	v_cmp_eq_u16_e32 vcc, 0, v20
	v_cndmask_b32_e32 v14, v14, v22, vcc
	v_cndmask_b32_e32 v20, v20, v21, vcc
	v_lshlrev_b32_e32 v21, 24, v11
	v_mov_b32_e32 v22, 0x3b800000
	v_lshlrev_b32_e32 v14, 20, v14
	v_and_b32_e32 v21, 0x80000000, v21
	v_lshl_add_u32 v20, v20, 23, v22
	v_or3_b32 v14, v21, v20, v14
.LBB24_808:
	s_or_b64 exec, exec, s[6:7]
	s_nop 0
	v_mfma_f32_16x16x4f32 a[0:3], v10, v14, a[0:3]
	v_lshrrev_b32_e32 v14, 8, v15
	s_movk_i32 s4, 0x7f
	v_cmp_gt_i16_sdwa s[6:7], v14, s4 src0_sel:BYTE_0 src1_sel:DWORD
	s_mov_b64 s[4:5], 0
                                        ; implicit-def: $sgpr10
	s_and_saveexec_b64 s[8:9], s[6:7]
	s_xor_b64 s[6:7], exec, s[8:9]
	s_cbranch_execnz .LBB24_2857
; %bb.809:
	s_or_saveexec_b64 s[6:7], s[6:7]
	v_mov_b32_e32 v10, s10
	s_xor_b64 exec, exec, s[6:7]
	s_cbranch_execnz .LBB24_2860
.LBB24_810:
	s_or_b64 exec, exec, s[6:7]
	s_and_saveexec_b64 s[6:7], s[4:5]
	s_cbranch_execz .LBB24_812
.LBB24_811:
	v_bfe_u32 v10, v15, 8, 3
	v_ffbh_u32_e32 v21, v10
	v_min_u32_e32 v21, 32, v21
	v_lshrrev_b16_e32 v20, 3, v14
	v_subrev_u32_e32 v22, 28, v21
	v_and_b32_e32 v20, 15, v20
	v_lshlrev_b32_e32 v14, v22, v14
	v_sub_u32_e32 v21, 29, v21
	v_and_b32_e32 v14, 7, v14
	v_cmp_eq_u16_e32 vcc, 0, v20
	v_cndmask_b32_e32 v10, v10, v14, vcc
	v_cndmask_b32_e32 v14, v20, v21, vcc
	v_lshlrev_b32_e32 v20, 16, v15
	v_mov_b32_e32 v21, 0x3b800000
	v_lshlrev_b32_e32 v10, 20, v10
	v_and_b32_e32 v20, 0x80000000, v20
	v_lshl_add_u32 v14, v14, 23, v21
	v_or3_b32 v10, v20, v14, v10
.LBB24_812:
	s_or_b64 exec, exec, s[6:7]
	v_lshrrev_b32_e32 v14, 8, v11
	s_movk_i32 s4, 0x7f
	v_cmp_gt_i16_sdwa s[6:7], v14, s4 src0_sel:BYTE_0 src1_sel:DWORD
	s_mov_b64 s[4:5], 0
                                        ; implicit-def: $sgpr10
	s_and_saveexec_b64 s[8:9], s[6:7]
	s_xor_b64 s[6:7], exec, s[8:9]
	s_cbranch_execnz .LBB24_2861
; %bb.813:
	s_or_saveexec_b64 s[6:7], s[6:7]
	v_mov_b32_e32 v20, s10
	s_xor_b64 exec, exec, s[6:7]
	s_cbranch_execnz .LBB24_2864
.LBB24_814:
	s_or_b64 exec, exec, s[6:7]
	s_and_saveexec_b64 s[6:7], s[4:5]
	s_cbranch_execz .LBB24_816
.LBB24_815:
	v_bfe_u32 v20, v11, 8, 3
	v_ffbh_u32_e32 v22, v20
	v_min_u32_e32 v22, 32, v22
	v_lshrrev_b16_e32 v21, 3, v14
	v_subrev_u32_e32 v23, 28, v22
	v_and_b32_e32 v21, 15, v21
	v_lshlrev_b32_e32 v14, v23, v14
	v_sub_u32_e32 v22, 29, v22
	v_and_b32_e32 v14, 7, v14
	v_cmp_eq_u16_e32 vcc, 0, v21
	v_cndmask_b32_e32 v14, v20, v14, vcc
	v_cndmask_b32_e32 v20, v21, v22, vcc
	v_lshlrev_b32_e32 v21, 16, v11
	v_mov_b32_e32 v22, 0x3b800000
	v_lshlrev_b32_e32 v14, 20, v14
	v_and_b32_e32 v21, 0x80000000, v21
	v_lshl_add_u32 v20, v20, 23, v22
	v_or3_b32 v20, v21, v20, v14
.LBB24_816:
	s_or_b64 exec, exec, s[6:7]
	s_nop 0
	v_mfma_f32_16x16x4f32 a[0:3], v10, v20, a[0:3]
	s_movk_i32 s4, 0xff
	v_and_b32_sdwa v14, v15, s4 dst_sel:DWORD dst_unused:UNUSED_PAD src0_sel:WORD_1 src1_sel:DWORD
	s_movk_i32 s4, 0x7f
	v_cmp_lt_i16_e32 vcc, s4, v14
	s_mov_b64 s[4:5], 0
                                        ; implicit-def: $sgpr10
	s_and_saveexec_b64 s[6:7], vcc
	s_xor_b64 s[6:7], exec, s[6:7]
	s_cbranch_execnz .LBB24_2865
; %bb.817:
	s_or_saveexec_b64 s[6:7], s[6:7]
	v_mov_b32_e32 v10, s10
	s_xor_b64 exec, exec, s[6:7]
	s_cbranch_execnz .LBB24_2868
.LBB24_818:
	s_or_b64 exec, exec, s[6:7]
	s_and_saveexec_b64 s[6:7], s[4:5]
	s_cbranch_execz .LBB24_820
.LBB24_819:
	v_bfe_u32 v10, v15, 16, 3
	v_ffbh_u32_e32 v21, v10
	v_min_u32_e32 v21, 32, v21
	v_lshrrev_b32_e32 v14, 19, v15
	v_subrev_u32_e32 v22, 28, v21
	v_and_b32_e32 v14, 15, v14
	v_lshlrev_b32_sdwa v22, v22, v15 dst_sel:DWORD dst_unused:UNUSED_PAD src0_sel:DWORD src1_sel:WORD_1
	v_bfe_u32 v20, v15, 19, 4
	v_sub_u32_e32 v21, 29, v21
	v_and_b32_e32 v22, 7, v22
	v_cmp_eq_u16_e32 vcc, 0, v14
	v_cndmask_b32_e32 v10, v10, v22, vcc
	v_cndmask_b32_e32 v14, v20, v21, vcc
	v_lshlrev_b32_e32 v20, 8, v15
	v_mov_b32_e32 v21, 0x3b800000
	v_lshlrev_b32_e32 v10, 20, v10
	v_and_b32_e32 v20, 0x80000000, v20
	v_lshl_add_u32 v14, v14, 23, v21
	v_or3_b32 v10, v20, v14, v10
.LBB24_820:
	s_or_b64 exec, exec, s[6:7]
	s_movk_i32 s4, 0xff
	v_and_b32_sdwa v14, v11, s4 dst_sel:DWORD dst_unused:UNUSED_PAD src0_sel:WORD_1 src1_sel:DWORD
	s_movk_i32 s4, 0x7f
	v_cmp_lt_i16_e32 vcc, s4, v14
	s_mov_b64 s[4:5], 0
                                        ; implicit-def: $sgpr10
	s_and_saveexec_b64 s[6:7], vcc
	s_xor_b64 s[6:7], exec, s[6:7]
	s_cbranch_execnz .LBB24_2869
; %bb.821:
	s_or_saveexec_b64 s[6:7], s[6:7]
	v_mov_b32_e32 v20, s10
	s_xor_b64 exec, exec, s[6:7]
	s_cbranch_execnz .LBB24_2872
.LBB24_822:
	s_or_b64 exec, exec, s[6:7]
	s_and_saveexec_b64 s[6:7], s[4:5]
	s_cbranch_execz .LBB24_824
.LBB24_823:
	v_bfe_u32 v14, v11, 16, 3
	v_ffbh_u32_e32 v22, v14
	v_min_u32_e32 v22, 32, v22
	v_lshrrev_b32_e32 v20, 19, v11
	v_subrev_u32_e32 v23, 28, v22
	v_and_b32_e32 v20, 15, v20
	v_lshlrev_b32_sdwa v23, v23, v11 dst_sel:DWORD dst_unused:UNUSED_PAD src0_sel:DWORD src1_sel:WORD_1
	v_bfe_u32 v21, v11, 19, 4
	v_sub_u32_e32 v22, 29, v22
	v_and_b32_e32 v23, 7, v23
	v_cmp_eq_u16_e32 vcc, 0, v20
	v_cndmask_b32_e32 v14, v14, v23, vcc
	v_cndmask_b32_e32 v20, v21, v22, vcc
	v_lshlrev_b32_e32 v21, 8, v11
	v_mov_b32_e32 v22, 0x3b800000
	v_lshlrev_b32_e32 v14, 20, v14
	v_and_b32_e32 v21, 0x80000000, v21
	v_lshl_add_u32 v20, v20, 23, v22
	v_or3_b32 v20, v21, v20, v14
.LBB24_824:
	s_or_b64 exec, exec, s[6:7]
	s_nop 0
	v_mfma_f32_16x16x4f32 a[0:3], v10, v20, a[0:3]
	s_movk_i32 s4, 0x7f
	v_cmp_gt_i16_sdwa s[6:7], v15, s4 src0_sel:BYTE_3 src1_sel:DWORD
	s_mov_b64 s[4:5], 0
                                        ; implicit-def: $sgpr10
	s_and_saveexec_b64 s[8:9], s[6:7]
	s_xor_b64 s[6:7], exec, s[8:9]
	s_cbranch_execnz .LBB24_2873
; %bb.825:
	s_or_saveexec_b64 s[6:7], s[6:7]
	v_mov_b32_e32 v10, s10
	s_xor_b64 exec, exec, s[6:7]
	s_cbranch_execnz .LBB24_2876
.LBB24_826:
	s_or_b64 exec, exec, s[6:7]
	s_and_saveexec_b64 s[6:7], s[4:5]
	s_cbranch_execz .LBB24_828
.LBB24_827:
	v_bfe_u32 v10, v15, 24, 3
	v_ffbh_u32_e32 v22, v10
	v_min_u32_e32 v22, 32, v22
	v_lshrrev_b32_e32 v20, 27, v15
	v_subrev_u32_e32 v23, 28, v22
	v_and_b32_e32 v14, 0x80000000, v15
	v_and_b32_e32 v20, 15, v20
	v_bfe_u32 v21, v15, 27, 4
	v_lshlrev_b32_sdwa v15, v23, v15 dst_sel:DWORD dst_unused:UNUSED_PAD src0_sel:DWORD src1_sel:BYTE_3
	v_sub_u32_e32 v22, 29, v22
	v_and_b32_e32 v15, 7, v15
	v_cmp_eq_u16_e32 vcc, 0, v20
	v_cndmask_b32_e32 v10, v10, v15, vcc
	v_cndmask_b32_e32 v15, v21, v22, vcc
	v_mov_b32_e32 v20, 0x3b800000
	v_lshlrev_b32_e32 v10, 20, v10
	v_lshl_add_u32 v15, v15, 23, v20
	v_or3_b32 v10, v14, v15, v10
.LBB24_828:
	s_or_b64 exec, exec, s[6:7]
	s_movk_i32 s4, 0x7f
	v_cmp_gt_i16_sdwa s[6:7], v11, s4 src0_sel:BYTE_3 src1_sel:DWORD
	s_mov_b64 s[4:5], 0
                                        ; implicit-def: $sgpr10
	s_and_saveexec_b64 s[8:9], s[6:7]
	s_xor_b64 s[6:7], exec, s[8:9]
	s_cbranch_execnz .LBB24_2877
; %bb.829:
	s_or_saveexec_b64 s[6:7], s[6:7]
	v_mov_b32_e32 v14, s10
	s_xor_b64 exec, exec, s[6:7]
	s_cbranch_execnz .LBB24_2880
.LBB24_830:
	s_or_b64 exec, exec, s[6:7]
	s_and_saveexec_b64 s[6:7], s[4:5]
	s_cbranch_execz .LBB24_832
.LBB24_831:
	v_bfe_u32 v14, v11, 24, 3
	v_ffbh_u32_e32 v22, v14
	v_min_u32_e32 v22, 32, v22
	v_lshrrev_b32_e32 v20, 27, v11
	v_subrev_u32_e32 v23, 28, v22
	v_and_b32_e32 v15, 0x80000000, v11
	v_and_b32_e32 v20, 15, v20
	v_bfe_u32 v21, v11, 27, 4
	v_lshlrev_b32_sdwa v11, v23, v11 dst_sel:DWORD dst_unused:UNUSED_PAD src0_sel:DWORD src1_sel:BYTE_3
	v_sub_u32_e32 v22, 29, v22
	v_and_b32_e32 v11, 7, v11
	v_cmp_eq_u16_e32 vcc, 0, v20
	v_cndmask_b32_e32 v11, v14, v11, vcc
	v_cndmask_b32_e32 v14, v21, v22, vcc
	v_mov_b32_e32 v20, 0x3b800000
	v_lshlrev_b32_e32 v11, 20, v11
	v_lshl_add_u32 v14, v14, 23, v20
	v_or3_b32 v14, v15, v14, v11
.LBB24_832:
	s_or_b64 exec, exec, s[6:7]
	s_nop 0
	v_mfma_f32_16x16x4f32 a[0:3], v10, v14, a[0:3]
	s_movk_i32 s4, 0x7f
	v_cmp_gt_i16_sdwa s[6:7], v16, s4 src0_sel:BYTE_0 src1_sel:DWORD
	s_mov_b64 s[4:5], 0
                                        ; implicit-def: $sgpr10
	s_and_saveexec_b64 s[8:9], s[6:7]
	s_xor_b64 s[6:7], exec, s[8:9]
	s_cbranch_execnz .LBB24_2881
; %bb.833:
	s_or_saveexec_b64 s[6:7], s[6:7]
	v_mov_b32_e32 v10, s10
	s_xor_b64 exec, exec, s[6:7]
	s_cbranch_execnz .LBB24_2884
.LBB24_834:
	s_or_b64 exec, exec, s[6:7]
	s_and_saveexec_b64 s[6:7], s[4:5]
	s_cbranch_execz .LBB24_836
.LBB24_835:
	v_and_b32_e32 v10, 7, v16
	v_ffbh_u32_e32 v14, v10
	v_min_u32_e32 v14, 32, v14
	v_lshrrev_b16_e32 v11, 3, v16
	v_subrev_u32_e32 v15, 28, v14
	v_and_b32_e32 v11, 15, v11
	v_lshlrev_b32_e32 v15, v15, v16
	v_sub_u32_e32 v14, 29, v14
	v_and_b32_e32 v15, 7, v15
	v_cmp_eq_u16_e32 vcc, 0, v11
	v_cndmask_b32_e32 v10, v10, v15, vcc
	v_cndmask_b32_e32 v11, v11, v14, vcc
	v_lshlrev_b32_e32 v14, 24, v16
	v_mov_b32_e32 v15, 0x3b800000
	v_lshlrev_b32_e32 v10, 20, v10
	v_and_b32_e32 v14, 0x80000000, v14
	v_lshl_add_u32 v11, v11, 23, v15
	v_or3_b32 v10, v14, v11, v10
.LBB24_836:
	s_or_b64 exec, exec, s[6:7]
	s_movk_i32 s4, 0x7f
	v_cmp_gt_i16_sdwa s[6:7], v12, s4 src0_sel:BYTE_0 src1_sel:DWORD
	s_mov_b64 s[4:5], 0
                                        ; implicit-def: $sgpr10
	s_and_saveexec_b64 s[8:9], s[6:7]
	s_xor_b64 s[6:7], exec, s[8:9]
	s_cbranch_execnz .LBB24_2885
; %bb.837:
	s_or_saveexec_b64 s[6:7], s[6:7]
	v_mov_b32_e32 v11, s10
	s_xor_b64 exec, exec, s[6:7]
	s_cbranch_execnz .LBB24_2888
.LBB24_838:
	s_or_b64 exec, exec, s[6:7]
	s_and_saveexec_b64 s[6:7], s[4:5]
	s_cbranch_execz .LBB24_840
.LBB24_839:
	v_and_b32_e32 v11, 7, v12
	v_ffbh_u32_e32 v15, v11
	v_min_u32_e32 v15, 32, v15
	v_lshrrev_b16_e32 v14, 3, v12
	v_subrev_u32_e32 v20, 28, v15
	v_and_b32_e32 v14, 15, v14
	v_lshlrev_b32_e32 v20, v20, v12
	v_sub_u32_e32 v15, 29, v15
	v_and_b32_e32 v20, 7, v20
	v_cmp_eq_u16_e32 vcc, 0, v14
	v_cndmask_b32_e32 v11, v11, v20, vcc
	v_cndmask_b32_e32 v14, v14, v15, vcc
	v_lshlrev_b32_e32 v15, 24, v12
	v_mov_b32_e32 v20, 0x3b800000
	v_lshlrev_b32_e32 v11, 20, v11
	v_and_b32_e32 v15, 0x80000000, v15
	v_lshl_add_u32 v14, v14, 23, v20
	v_or3_b32 v11, v15, v14, v11
.LBB24_840:
	s_or_b64 exec, exec, s[6:7]
	s_nop 0
	v_mfma_f32_16x16x4f32 a[0:3], v10, v11, a[0:3]
	v_lshrrev_b32_e32 v11, 8, v16
	s_movk_i32 s4, 0x7f
	v_cmp_gt_i16_sdwa s[6:7], v11, s4 src0_sel:BYTE_0 src1_sel:DWORD
	s_mov_b64 s[4:5], 0
                                        ; implicit-def: $sgpr10
	s_and_saveexec_b64 s[8:9], s[6:7]
	s_xor_b64 s[6:7], exec, s[8:9]
	s_cbranch_execnz .LBB24_2889
; %bb.841:
	s_or_saveexec_b64 s[6:7], s[6:7]
	v_mov_b32_e32 v10, s10
	s_xor_b64 exec, exec, s[6:7]
	s_cbranch_execnz .LBB24_2892
.LBB24_842:
	s_or_b64 exec, exec, s[6:7]
	s_and_saveexec_b64 s[6:7], s[4:5]
	s_cbranch_execz .LBB24_844
.LBB24_843:
	v_bfe_u32 v10, v16, 8, 3
	v_ffbh_u32_e32 v15, v10
	v_min_u32_e32 v15, 32, v15
	v_lshrrev_b16_e32 v14, 3, v11
	v_subrev_u32_e32 v20, 28, v15
	v_and_b32_e32 v14, 15, v14
	v_lshlrev_b32_e32 v11, v20, v11
	v_sub_u32_e32 v15, 29, v15
	v_and_b32_e32 v11, 7, v11
	v_cmp_eq_u16_e32 vcc, 0, v14
	v_cndmask_b32_e32 v10, v10, v11, vcc
	v_cndmask_b32_e32 v11, v14, v15, vcc
	v_lshlrev_b32_e32 v14, 16, v16
	v_mov_b32_e32 v15, 0x3b800000
	v_lshlrev_b32_e32 v10, 20, v10
	v_and_b32_e32 v14, 0x80000000, v14
	v_lshl_add_u32 v11, v11, 23, v15
	v_or3_b32 v10, v14, v11, v10
.LBB24_844:
	s_or_b64 exec, exec, s[6:7]
	v_lshrrev_b32_e32 v11, 8, v12
	s_movk_i32 s4, 0x7f
	v_cmp_gt_i16_sdwa s[6:7], v11, s4 src0_sel:BYTE_0 src1_sel:DWORD
	s_mov_b64 s[4:5], 0
                                        ; implicit-def: $sgpr10
	s_and_saveexec_b64 s[8:9], s[6:7]
	s_xor_b64 s[6:7], exec, s[8:9]
	s_cbranch_execnz .LBB24_2893
; %bb.845:
	s_or_saveexec_b64 s[6:7], s[6:7]
	v_mov_b32_e32 v14, s10
	s_xor_b64 exec, exec, s[6:7]
	s_cbranch_execnz .LBB24_2896
.LBB24_846:
	s_or_b64 exec, exec, s[6:7]
	s_and_saveexec_b64 s[6:7], s[4:5]
	s_cbranch_execz .LBB24_848
.LBB24_847:
	v_bfe_u32 v14, v12, 8, 3
	v_ffbh_u32_e32 v20, v14
	v_min_u32_e32 v20, 32, v20
	v_lshrrev_b16_e32 v15, 3, v11
	v_subrev_u32_e32 v21, 28, v20
	v_and_b32_e32 v15, 15, v15
	v_lshlrev_b32_e32 v11, v21, v11
	v_sub_u32_e32 v20, 29, v20
	v_and_b32_e32 v11, 7, v11
	v_cmp_eq_u16_e32 vcc, 0, v15
	v_cndmask_b32_e32 v11, v14, v11, vcc
	v_cndmask_b32_e32 v14, v15, v20, vcc
	v_lshlrev_b32_e32 v15, 16, v12
	v_mov_b32_e32 v20, 0x3b800000
	v_lshlrev_b32_e32 v11, 20, v11
	v_and_b32_e32 v15, 0x80000000, v15
	v_lshl_add_u32 v14, v14, 23, v20
	v_or3_b32 v14, v15, v14, v11
.LBB24_848:
	s_or_b64 exec, exec, s[6:7]
	s_nop 0
	v_mfma_f32_16x16x4f32 a[0:3], v10, v14, a[0:3]
	s_movk_i32 s4, 0xff
	v_and_b32_sdwa v11, v16, s4 dst_sel:DWORD dst_unused:UNUSED_PAD src0_sel:WORD_1 src1_sel:DWORD
	s_movk_i32 s4, 0x7f
	v_cmp_lt_i16_e32 vcc, s4, v11
	s_mov_b64 s[4:5], 0
                                        ; implicit-def: $sgpr10
	s_and_saveexec_b64 s[6:7], vcc
	s_xor_b64 s[6:7], exec, s[6:7]
	s_cbranch_execnz .LBB24_2897
; %bb.849:
	s_or_saveexec_b64 s[6:7], s[6:7]
	v_mov_b32_e32 v10, s10
	s_xor_b64 exec, exec, s[6:7]
	s_cbranch_execnz .LBB24_2900
.LBB24_850:
	s_or_b64 exec, exec, s[6:7]
	s_and_saveexec_b64 s[6:7], s[4:5]
	s_cbranch_execz .LBB24_852
.LBB24_851:
	v_bfe_u32 v10, v16, 16, 3
	v_ffbh_u32_e32 v15, v10
	v_min_u32_e32 v15, 32, v15
	v_lshrrev_b32_e32 v11, 19, v16
	v_subrev_u32_e32 v20, 28, v15
	v_and_b32_e32 v11, 15, v11
	v_lshlrev_b32_sdwa v20, v20, v16 dst_sel:DWORD dst_unused:UNUSED_PAD src0_sel:DWORD src1_sel:WORD_1
	v_bfe_u32 v14, v16, 19, 4
	v_sub_u32_e32 v15, 29, v15
	v_and_b32_e32 v20, 7, v20
	v_cmp_eq_u16_e32 vcc, 0, v11
	v_cndmask_b32_e32 v10, v10, v20, vcc
	v_cndmask_b32_e32 v11, v14, v15, vcc
	v_lshlrev_b32_e32 v14, 8, v16
	v_mov_b32_e32 v15, 0x3b800000
	v_lshlrev_b32_e32 v10, 20, v10
	v_and_b32_e32 v14, 0x80000000, v14
	v_lshl_add_u32 v11, v11, 23, v15
	v_or3_b32 v10, v14, v11, v10
.LBB24_852:
	s_or_b64 exec, exec, s[6:7]
	s_movk_i32 s4, 0xff
	v_and_b32_sdwa v11, v12, s4 dst_sel:DWORD dst_unused:UNUSED_PAD src0_sel:WORD_1 src1_sel:DWORD
	s_movk_i32 s4, 0x7f
	v_cmp_lt_i16_e32 vcc, s4, v11
	s_mov_b64 s[4:5], 0
                                        ; implicit-def: $sgpr10
	s_and_saveexec_b64 s[6:7], vcc
	s_xor_b64 s[6:7], exec, s[6:7]
	s_cbranch_execnz .LBB24_2901
; %bb.853:
	s_or_saveexec_b64 s[6:7], s[6:7]
	v_mov_b32_e32 v14, s10
	s_xor_b64 exec, exec, s[6:7]
	s_cbranch_execnz .LBB24_2904
.LBB24_854:
	s_or_b64 exec, exec, s[6:7]
	s_and_saveexec_b64 s[6:7], s[4:5]
	s_cbranch_execz .LBB24_856
.LBB24_855:
	v_bfe_u32 v11, v12, 16, 3
	v_ffbh_u32_e32 v20, v11
	v_min_u32_e32 v20, 32, v20
	v_lshrrev_b32_e32 v14, 19, v12
	v_subrev_u32_e32 v21, 28, v20
	v_and_b32_e32 v14, 15, v14
	v_lshlrev_b32_sdwa v21, v21, v12 dst_sel:DWORD dst_unused:UNUSED_PAD src0_sel:DWORD src1_sel:WORD_1
	v_bfe_u32 v15, v12, 19, 4
	v_sub_u32_e32 v20, 29, v20
	v_and_b32_e32 v21, 7, v21
	v_cmp_eq_u16_e32 vcc, 0, v14
	v_cndmask_b32_e32 v11, v11, v21, vcc
	v_cndmask_b32_e32 v14, v15, v20, vcc
	v_lshlrev_b32_e32 v15, 8, v12
	v_mov_b32_e32 v20, 0x3b800000
	v_lshlrev_b32_e32 v11, 20, v11
	v_and_b32_e32 v15, 0x80000000, v15
	v_lshl_add_u32 v14, v14, 23, v20
	v_or3_b32 v14, v15, v14, v11
.LBB24_856:
	s_or_b64 exec, exec, s[6:7]
	s_nop 0
	v_mfma_f32_16x16x4f32 a[0:3], v10, v14, a[0:3]
	s_movk_i32 s4, 0x7f
	v_cmp_gt_i16_sdwa s[6:7], v16, s4 src0_sel:BYTE_3 src1_sel:DWORD
	s_mov_b64 s[4:5], 0
                                        ; implicit-def: $sgpr10
	s_and_saveexec_b64 s[8:9], s[6:7]
	s_xor_b64 s[6:7], exec, s[8:9]
	s_cbranch_execnz .LBB24_2905
; %bb.857:
	s_or_saveexec_b64 s[6:7], s[6:7]
	v_mov_b32_e32 v10, s10
	s_xor_b64 exec, exec, s[6:7]
	s_cbranch_execnz .LBB24_2908
.LBB24_858:
	s_or_b64 exec, exec, s[6:7]
	s_and_saveexec_b64 s[6:7], s[4:5]
	s_cbranch_execz .LBB24_860
.LBB24_859:
	v_bfe_u32 v10, v16, 24, 3
	v_ffbh_u32_e32 v20, v10
	v_min_u32_e32 v20, 32, v20
	v_lshrrev_b32_e32 v14, 27, v16
	v_subrev_u32_e32 v21, 28, v20
	v_and_b32_e32 v11, 0x80000000, v16
	v_and_b32_e32 v14, 15, v14
	v_bfe_u32 v15, v16, 27, 4
	v_lshlrev_b32_sdwa v16, v21, v16 dst_sel:DWORD dst_unused:UNUSED_PAD src0_sel:DWORD src1_sel:BYTE_3
	v_sub_u32_e32 v20, 29, v20
	v_and_b32_e32 v16, 7, v16
	v_cmp_eq_u16_e32 vcc, 0, v14
	v_cndmask_b32_e32 v10, v10, v16, vcc
	v_cndmask_b32_e32 v14, v15, v20, vcc
	v_mov_b32_e32 v15, 0x3b800000
	v_lshlrev_b32_e32 v10, 20, v10
	v_lshl_add_u32 v14, v14, 23, v15
	v_or3_b32 v10, v11, v14, v10
.LBB24_860:
	s_or_b64 exec, exec, s[6:7]
	s_movk_i32 s4, 0x7f
	v_cmp_gt_i16_sdwa s[6:7], v12, s4 src0_sel:BYTE_3 src1_sel:DWORD
	s_mov_b64 s[4:5], 0
                                        ; implicit-def: $sgpr10
	s_and_saveexec_b64 s[8:9], s[6:7]
	s_xor_b64 s[6:7], exec, s[8:9]
	s_cbranch_execnz .LBB24_2909
; %bb.861:
	s_or_saveexec_b64 s[6:7], s[6:7]
	v_mov_b32_e32 v11, s10
	s_xor_b64 exec, exec, s[6:7]
	s_cbranch_execnz .LBB24_2912
.LBB24_862:
	s_or_b64 exec, exec, s[6:7]
	s_and_saveexec_b64 s[6:7], s[4:5]
	s_cbranch_execz .LBB24_864
.LBB24_863:
	v_bfe_u32 v11, v12, 24, 3
	v_ffbh_u32_e32 v20, v11
	v_min_u32_e32 v20, 32, v20
	v_lshrrev_b32_e32 v15, 27, v12
	v_subrev_u32_e32 v21, 28, v20
	v_and_b32_e32 v14, 0x80000000, v12
	v_and_b32_e32 v15, 15, v15
	v_bfe_u32 v16, v12, 27, 4
	v_lshlrev_b32_sdwa v12, v21, v12 dst_sel:DWORD dst_unused:UNUSED_PAD src0_sel:DWORD src1_sel:BYTE_3
	v_sub_u32_e32 v20, 29, v20
	v_and_b32_e32 v12, 7, v12
	v_cmp_eq_u16_e32 vcc, 0, v15
	v_cndmask_b32_e32 v11, v11, v12, vcc
	v_cndmask_b32_e32 v12, v16, v20, vcc
	v_mov_b32_e32 v15, 0x3b800000
	v_lshlrev_b32_e32 v11, 20, v11
	v_lshl_add_u32 v12, v12, 23, v15
	v_or3_b32 v11, v14, v12, v11
.LBB24_864:
	s_or_b64 exec, exec, s[6:7]
	s_nop 0
	v_mfma_f32_16x16x4f32 a[0:3], v10, v11, a[0:3]
	s_movk_i32 s4, 0x7f
	v_cmp_gt_i16_sdwa s[6:7], v17, s4 src0_sel:BYTE_0 src1_sel:DWORD
	s_mov_b64 s[4:5], 0
                                        ; implicit-def: $sgpr10
	s_and_saveexec_b64 s[8:9], s[6:7]
	s_xor_b64 s[6:7], exec, s[8:9]
	s_cbranch_execnz .LBB24_2913
; %bb.865:
	s_or_saveexec_b64 s[6:7], s[6:7]
	v_mov_b32_e32 v10, s10
	s_xor_b64 exec, exec, s[6:7]
	s_cbranch_execnz .LBB24_2916
.LBB24_866:
	s_or_b64 exec, exec, s[6:7]
	s_and_saveexec_b64 s[6:7], s[4:5]
	s_cbranch_execz .LBB24_868
.LBB24_867:
	v_and_b32_e32 v10, 7, v17
	v_ffbh_u32_e32 v12, v10
	v_min_u32_e32 v12, 32, v12
	v_lshrrev_b16_e32 v11, 3, v17
	v_subrev_u32_e32 v14, 28, v12
	v_and_b32_e32 v11, 15, v11
	v_lshlrev_b32_e32 v14, v14, v17
	v_sub_u32_e32 v12, 29, v12
	v_and_b32_e32 v14, 7, v14
	v_cmp_eq_u16_e32 vcc, 0, v11
	v_cndmask_b32_e32 v10, v10, v14, vcc
	v_cndmask_b32_e32 v11, v11, v12, vcc
	v_lshlrev_b32_e32 v12, 24, v17
	v_mov_b32_e32 v14, 0x3b800000
	v_lshlrev_b32_e32 v10, 20, v10
	v_and_b32_e32 v12, 0x80000000, v12
	v_lshl_add_u32 v11, v11, 23, v14
	v_or3_b32 v10, v12, v11, v10
.LBB24_868:
	s_or_b64 exec, exec, s[6:7]
	s_movk_i32 s4, 0x7f
	v_cmp_gt_i16_sdwa s[6:7], v13, s4 src0_sel:BYTE_0 src1_sel:DWORD
	s_mov_b64 s[4:5], 0
                                        ; implicit-def: $sgpr10
	s_and_saveexec_b64 s[8:9], s[6:7]
	s_xor_b64 s[6:7], exec, s[8:9]
	s_cbranch_execnz .LBB24_2917
; %bb.869:
	s_or_saveexec_b64 s[6:7], s[6:7]
	v_mov_b32_e32 v11, s10
	s_xor_b64 exec, exec, s[6:7]
	s_cbranch_execnz .LBB24_2920
.LBB24_870:
	s_or_b64 exec, exec, s[6:7]
	s_and_saveexec_b64 s[6:7], s[4:5]
	s_cbranch_execz .LBB24_872
.LBB24_871:
	v_and_b32_e32 v11, 7, v13
	v_ffbh_u32_e32 v14, v11
	v_min_u32_e32 v14, 32, v14
	v_lshrrev_b16_e32 v12, 3, v13
	v_subrev_u32_e32 v15, 28, v14
	v_and_b32_e32 v12, 15, v12
	v_lshlrev_b32_e32 v15, v15, v13
	v_sub_u32_e32 v14, 29, v14
	v_and_b32_e32 v15, 7, v15
	v_cmp_eq_u16_e32 vcc, 0, v12
	v_cndmask_b32_e32 v11, v11, v15, vcc
	v_cndmask_b32_e32 v12, v12, v14, vcc
	v_lshlrev_b32_e32 v14, 24, v13
	v_mov_b32_e32 v15, 0x3b800000
	v_lshlrev_b32_e32 v11, 20, v11
	v_and_b32_e32 v14, 0x80000000, v14
	v_lshl_add_u32 v12, v12, 23, v15
	v_or3_b32 v11, v14, v12, v11
.LBB24_872:
	s_or_b64 exec, exec, s[6:7]
	s_nop 0
	v_mfma_f32_16x16x4f32 a[0:3], v10, v11, a[0:3]
	v_lshrrev_b32_e32 v11, 8, v17
	s_movk_i32 s4, 0x7f
	v_cmp_gt_i16_sdwa s[6:7], v11, s4 src0_sel:BYTE_0 src1_sel:DWORD
	s_mov_b64 s[4:5], 0
                                        ; implicit-def: $sgpr10
	s_and_saveexec_b64 s[8:9], s[6:7]
	s_xor_b64 s[6:7], exec, s[8:9]
	s_cbranch_execnz .LBB24_2921
; %bb.873:
	s_or_saveexec_b64 s[6:7], s[6:7]
	v_mov_b32_e32 v10, s10
	s_xor_b64 exec, exec, s[6:7]
	s_cbranch_execnz .LBB24_2924
.LBB24_874:
	s_or_b64 exec, exec, s[6:7]
	s_and_saveexec_b64 s[6:7], s[4:5]
	s_cbranch_execz .LBB24_876
.LBB24_875:
	v_bfe_u32 v10, v17, 8, 3
	v_ffbh_u32_e32 v14, v10
	v_min_u32_e32 v14, 32, v14
	v_lshrrev_b16_e32 v12, 3, v11
	v_subrev_u32_e32 v15, 28, v14
	v_and_b32_e32 v12, 15, v12
	v_lshlrev_b32_e32 v11, v15, v11
	v_sub_u32_e32 v14, 29, v14
	v_and_b32_e32 v11, 7, v11
	v_cmp_eq_u16_e32 vcc, 0, v12
	v_cndmask_b32_e32 v10, v10, v11, vcc
	v_cndmask_b32_e32 v11, v12, v14, vcc
	v_lshlrev_b32_e32 v12, 16, v17
	v_mov_b32_e32 v14, 0x3b800000
	v_lshlrev_b32_e32 v10, 20, v10
	v_and_b32_e32 v12, 0x80000000, v12
	v_lshl_add_u32 v11, v11, 23, v14
	v_or3_b32 v10, v12, v11, v10
.LBB24_876:
	s_or_b64 exec, exec, s[6:7]
	v_lshrrev_b32_e32 v11, 8, v13
	s_movk_i32 s4, 0x7f
	v_cmp_gt_i16_sdwa s[6:7], v11, s4 src0_sel:BYTE_0 src1_sel:DWORD
	s_mov_b64 s[4:5], 0
                                        ; implicit-def: $sgpr10
	s_and_saveexec_b64 s[8:9], s[6:7]
	s_xor_b64 s[6:7], exec, s[8:9]
	s_cbranch_execnz .LBB24_2925
; %bb.877:
	s_or_saveexec_b64 s[6:7], s[6:7]
	v_mov_b32_e32 v12, s10
	s_xor_b64 exec, exec, s[6:7]
	s_cbranch_execnz .LBB24_2928
.LBB24_878:
	s_or_b64 exec, exec, s[6:7]
	s_and_saveexec_b64 s[6:7], s[4:5]
	s_cbranch_execz .LBB24_880
.LBB24_879:
	v_bfe_u32 v12, v13, 8, 3
	v_ffbh_u32_e32 v15, v12
	v_min_u32_e32 v15, 32, v15
	v_lshrrev_b16_e32 v14, 3, v11
	v_subrev_u32_e32 v16, 28, v15
	v_and_b32_e32 v14, 15, v14
	v_lshlrev_b32_e32 v11, v16, v11
	v_sub_u32_e32 v15, 29, v15
	v_and_b32_e32 v11, 7, v11
	v_cmp_eq_u16_e32 vcc, 0, v14
	v_cndmask_b32_e32 v11, v12, v11, vcc
	v_cndmask_b32_e32 v12, v14, v15, vcc
	v_lshlrev_b32_e32 v14, 16, v13
	v_mov_b32_e32 v15, 0x3b800000
	v_lshlrev_b32_e32 v11, 20, v11
	v_and_b32_e32 v14, 0x80000000, v14
	v_lshl_add_u32 v12, v12, 23, v15
	v_or3_b32 v12, v14, v12, v11
.LBB24_880:
	s_or_b64 exec, exec, s[6:7]
	s_nop 0
	v_mfma_f32_16x16x4f32 a[0:3], v10, v12, a[0:3]
	s_movk_i32 s4, 0xff
	v_and_b32_sdwa v11, v17, s4 dst_sel:DWORD dst_unused:UNUSED_PAD src0_sel:WORD_1 src1_sel:DWORD
	s_movk_i32 s4, 0x7f
	v_cmp_lt_i16_e32 vcc, s4, v11
	s_mov_b64 s[4:5], 0
                                        ; implicit-def: $sgpr10
	s_and_saveexec_b64 s[6:7], vcc
	s_xor_b64 s[6:7], exec, s[6:7]
	s_cbranch_execnz .LBB24_2929
; %bb.881:
	s_or_saveexec_b64 s[6:7], s[6:7]
	v_mov_b32_e32 v10, s10
	s_xor_b64 exec, exec, s[6:7]
	s_cbranch_execnz .LBB24_2932
.LBB24_882:
	s_or_b64 exec, exec, s[6:7]
	s_and_saveexec_b64 s[6:7], s[4:5]
	s_cbranch_execz .LBB24_884
.LBB24_883:
	v_bfe_u32 v10, v17, 16, 3
	v_ffbh_u32_e32 v14, v10
	v_min_u32_e32 v14, 32, v14
	v_lshrrev_b32_e32 v11, 19, v17
	v_subrev_u32_e32 v15, 28, v14
	v_and_b32_e32 v11, 15, v11
	v_lshlrev_b32_sdwa v15, v15, v17 dst_sel:DWORD dst_unused:UNUSED_PAD src0_sel:DWORD src1_sel:WORD_1
	v_bfe_u32 v12, v17, 19, 4
	v_sub_u32_e32 v14, 29, v14
	v_and_b32_e32 v15, 7, v15
	v_cmp_eq_u16_e32 vcc, 0, v11
	v_cndmask_b32_e32 v10, v10, v15, vcc
	v_cndmask_b32_e32 v11, v12, v14, vcc
	v_lshlrev_b32_e32 v12, 8, v17
	v_mov_b32_e32 v14, 0x3b800000
	v_lshlrev_b32_e32 v10, 20, v10
	v_and_b32_e32 v12, 0x80000000, v12
	v_lshl_add_u32 v11, v11, 23, v14
	v_or3_b32 v10, v12, v11, v10
.LBB24_884:
	s_or_b64 exec, exec, s[6:7]
	s_movk_i32 s4, 0xff
	v_and_b32_sdwa v11, v13, s4 dst_sel:DWORD dst_unused:UNUSED_PAD src0_sel:WORD_1 src1_sel:DWORD
	s_movk_i32 s4, 0x7f
	v_cmp_lt_i16_e32 vcc, s4, v11
	s_mov_b64 s[4:5], 0
                                        ; implicit-def: $sgpr10
	s_and_saveexec_b64 s[6:7], vcc
	s_xor_b64 s[6:7], exec, s[6:7]
	s_cbranch_execnz .LBB24_2933
; %bb.885:
	s_or_saveexec_b64 s[6:7], s[6:7]
	v_mov_b32_e32 v12, s10
	s_xor_b64 exec, exec, s[6:7]
	s_cbranch_execnz .LBB24_2936
.LBB24_886:
	s_or_b64 exec, exec, s[6:7]
	s_and_saveexec_b64 s[6:7], s[4:5]
	s_cbranch_execz .LBB24_888
.LBB24_887:
	v_bfe_u32 v11, v13, 16, 3
	v_ffbh_u32_e32 v15, v11
	v_min_u32_e32 v15, 32, v15
	v_lshrrev_b32_e32 v12, 19, v13
	v_subrev_u32_e32 v16, 28, v15
	v_and_b32_e32 v12, 15, v12
	v_lshlrev_b32_sdwa v16, v16, v13 dst_sel:DWORD dst_unused:UNUSED_PAD src0_sel:DWORD src1_sel:WORD_1
	v_bfe_u32 v14, v13, 19, 4
	v_sub_u32_e32 v15, 29, v15
	v_and_b32_e32 v16, 7, v16
	v_cmp_eq_u16_e32 vcc, 0, v12
	v_cndmask_b32_e32 v11, v11, v16, vcc
	v_cndmask_b32_e32 v12, v14, v15, vcc
	v_lshlrev_b32_e32 v14, 8, v13
	v_mov_b32_e32 v15, 0x3b800000
	v_lshlrev_b32_e32 v11, 20, v11
	v_and_b32_e32 v14, 0x80000000, v14
	v_lshl_add_u32 v12, v12, 23, v15
	v_or3_b32 v12, v14, v12, v11
.LBB24_888:
	s_or_b64 exec, exec, s[6:7]
	s_nop 0
	v_mfma_f32_16x16x4f32 a[0:3], v10, v12, a[0:3]
	s_movk_i32 s4, 0x7f
	v_cmp_gt_i16_sdwa s[6:7], v17, s4 src0_sel:BYTE_3 src1_sel:DWORD
	s_mov_b64 s[4:5], 0
                                        ; implicit-def: $sgpr10
	s_and_saveexec_b64 s[8:9], s[6:7]
	s_xor_b64 s[6:7], exec, s[8:9]
	s_cbranch_execnz .LBB24_2937
; %bb.889:
	s_or_saveexec_b64 s[6:7], s[6:7]
	v_mov_b32_e32 v10, s10
	s_xor_b64 exec, exec, s[6:7]
	s_cbranch_execnz .LBB24_2940
.LBB24_890:
	s_or_b64 exec, exec, s[6:7]
	s_and_saveexec_b64 s[6:7], s[4:5]
	s_cbranch_execz .LBB24_892
.LBB24_891:
	v_bfe_u32 v10, v17, 24, 3
	v_ffbh_u32_e32 v15, v10
	v_min_u32_e32 v15, 32, v15
	v_lshrrev_b32_e32 v12, 27, v17
	v_subrev_u32_e32 v16, 28, v15
	v_and_b32_e32 v12, 15, v12
	v_lshlrev_b32_sdwa v16, v16, v17 dst_sel:DWORD dst_unused:UNUSED_PAD src0_sel:DWORD src1_sel:BYTE_3
	v_bfe_u32 v14, v17, 27, 4
	v_sub_u32_e32 v15, 29, v15
	v_and_b32_e32 v16, 7, v16
	v_cmp_eq_u16_e32 vcc, 0, v12
	v_cndmask_b32_e32 v10, v10, v16, vcc
	v_cndmask_b32_e32 v12, v14, v15, vcc
	v_mov_b32_e32 v14, 0x3b800000
	v_and_b32_e32 v11, 0x80000000, v17
	v_lshlrev_b32_e32 v10, 20, v10
	v_lshl_add_u32 v12, v12, 23, v14
	v_or3_b32 v10, v11, v12, v10
.LBB24_892:
	s_or_b64 exec, exec, s[6:7]
	s_movk_i32 s4, 0x7f
	v_cmp_gt_i16_sdwa s[6:7], v13, s4 src0_sel:BYTE_3 src1_sel:DWORD
	s_mov_b64 s[4:5], 0
                                        ; implicit-def: $sgpr10
	s_and_saveexec_b64 s[8:9], s[6:7]
	s_xor_b64 s[6:7], exec, s[8:9]
	s_cbranch_execnz .LBB24_2941
; %bb.893:
	s_or_saveexec_b64 s[6:7], s[6:7]
	v_mov_b32_e32 v11, s10
	s_xor_b64 exec, exec, s[6:7]
	s_cbranch_execnz .LBB24_2944
.LBB24_894:
	s_or_b64 exec, exec, s[6:7]
	s_and_saveexec_b64 s[6:7], s[4:5]
	s_cbranch_execz .LBB24_896
.LBB24_895:
	v_bfe_u32 v11, v13, 24, 3
	v_ffbh_u32_e32 v16, v11
	v_min_u32_e32 v16, 32, v16
	v_lshrrev_b32_e32 v14, 27, v13
	v_subrev_u32_e32 v17, 28, v16
	v_and_b32_e32 v12, 0x80000000, v13
	v_and_b32_e32 v14, 15, v14
	v_bfe_u32 v15, v13, 27, 4
	v_lshlrev_b32_sdwa v13, v17, v13 dst_sel:DWORD dst_unused:UNUSED_PAD src0_sel:DWORD src1_sel:BYTE_3
	v_sub_u32_e32 v16, 29, v16
	v_and_b32_e32 v13, 7, v13
	v_cmp_eq_u16_e32 vcc, 0, v14
	v_cndmask_b32_e32 v11, v11, v13, vcc
	v_cndmask_b32_e32 v13, v15, v16, vcc
	v_mov_b32_e32 v14, 0x3b800000
	v_lshlrev_b32_e32 v11, 20, v11
	v_lshl_add_u32 v13, v13, 23, v14
	v_or3_b32 v11, v12, v13, v11
.LBB24_896:
	s_or_b64 exec, exec, s[6:7]
	s_nop 0
	v_mfma_f32_16x16x4f32 a[0:3], v10, v11, a[0:3]
	s_movk_i32 s4, 0x7f
	v_cmp_gt_i16_sdwa s[6:7], v6, s4 src0_sel:BYTE_0 src1_sel:DWORD
	s_mov_b64 s[4:5], 0
                                        ; implicit-def: $sgpr10
	s_and_saveexec_b64 s[8:9], s[6:7]
	s_xor_b64 s[6:7], exec, s[8:9]
	s_cbranch_execnz .LBB24_2945
; %bb.897:
	s_or_saveexec_b64 s[6:7], s[6:7]
	v_mov_b32_e32 v10, s10
	s_xor_b64 exec, exec, s[6:7]
	s_cbranch_execnz .LBB24_2948
.LBB24_898:
	s_or_b64 exec, exec, s[6:7]
	s_and_saveexec_b64 s[6:7], s[4:5]
	s_cbranch_execz .LBB24_900
.LBB24_899:
	v_and_b32_e32 v10, 7, v6
	v_ffbh_u32_e32 v12, v10
	v_min_u32_e32 v12, 32, v12
	v_lshrrev_b16_e32 v11, 3, v6
	v_subrev_u32_e32 v13, 28, v12
	v_and_b32_e32 v11, 15, v11
	v_lshlrev_b32_e32 v13, v13, v6
	v_sub_u32_e32 v12, 29, v12
	v_and_b32_e32 v13, 7, v13
	v_cmp_eq_u16_e32 vcc, 0, v11
	v_cndmask_b32_e32 v10, v10, v13, vcc
	v_cndmask_b32_e32 v11, v11, v12, vcc
	v_lshlrev_b32_e32 v12, 24, v6
	v_mov_b32_e32 v13, 0x3b800000
	v_lshlrev_b32_e32 v10, 20, v10
	v_and_b32_e32 v12, 0x80000000, v12
	v_lshl_add_u32 v11, v11, 23, v13
	v_or3_b32 v10, v12, v11, v10
.LBB24_900:
	s_or_b64 exec, exec, s[6:7]
	s_movk_i32 s4, 0x7f
	v_cmp_gt_i16_sdwa s[6:7], v2, s4 src0_sel:BYTE_0 src1_sel:DWORD
	s_mov_b64 s[4:5], 0
                                        ; implicit-def: $sgpr10
	s_and_saveexec_b64 s[8:9], s[6:7]
	s_xor_b64 s[6:7], exec, s[8:9]
	s_cbranch_execnz .LBB24_2949
; %bb.901:
	s_or_saveexec_b64 s[6:7], s[6:7]
	v_mov_b32_e32 v11, s10
	s_xor_b64 exec, exec, s[6:7]
	s_cbranch_execnz .LBB24_2952
.LBB24_902:
	s_or_b64 exec, exec, s[6:7]
	s_and_saveexec_b64 s[6:7], s[4:5]
	s_cbranch_execz .LBB24_904
.LBB24_903:
	v_and_b32_e32 v11, 7, v2
	v_ffbh_u32_e32 v13, v11
	v_min_u32_e32 v13, 32, v13
	v_lshrrev_b16_e32 v12, 3, v2
	v_subrev_u32_e32 v14, 28, v13
	v_and_b32_e32 v12, 15, v12
	v_lshlrev_b32_e32 v14, v14, v2
	v_sub_u32_e32 v13, 29, v13
	v_and_b32_e32 v14, 7, v14
	v_cmp_eq_u16_e32 vcc, 0, v12
	v_cndmask_b32_e32 v11, v11, v14, vcc
	v_cndmask_b32_e32 v12, v12, v13, vcc
	v_lshlrev_b32_e32 v13, 24, v2
	v_mov_b32_e32 v14, 0x3b800000
	v_lshlrev_b32_e32 v11, 20, v11
	v_and_b32_e32 v13, 0x80000000, v13
	v_lshl_add_u32 v12, v12, 23, v14
	v_or3_b32 v11, v13, v12, v11
.LBB24_904:
	s_or_b64 exec, exec, s[6:7]
	s_nop 0
	v_mfma_f32_16x16x4f32 a[0:3], v10, v11, a[0:3]
	v_lshrrev_b32_e32 v11, 8, v6
	s_movk_i32 s4, 0x7f
	v_cmp_gt_i16_sdwa s[6:7], v11, s4 src0_sel:BYTE_0 src1_sel:DWORD
	s_mov_b64 s[4:5], 0
                                        ; implicit-def: $sgpr10
	s_and_saveexec_b64 s[8:9], s[6:7]
	s_xor_b64 s[6:7], exec, s[8:9]
	s_cbranch_execnz .LBB24_2953
; %bb.905:
	s_or_saveexec_b64 s[6:7], s[6:7]
	v_mov_b32_e32 v10, s10
	s_xor_b64 exec, exec, s[6:7]
	s_cbranch_execnz .LBB24_2956
.LBB24_906:
	s_or_b64 exec, exec, s[6:7]
	s_and_saveexec_b64 s[6:7], s[4:5]
	s_cbranch_execz .LBB24_908
.LBB24_907:
	v_bfe_u32 v10, v6, 8, 3
	v_ffbh_u32_e32 v13, v10
	v_min_u32_e32 v13, 32, v13
	v_lshrrev_b16_e32 v12, 3, v11
	v_subrev_u32_e32 v14, 28, v13
	v_and_b32_e32 v12, 15, v12
	v_lshlrev_b32_e32 v11, v14, v11
	v_sub_u32_e32 v13, 29, v13
	v_and_b32_e32 v11, 7, v11
	v_cmp_eq_u16_e32 vcc, 0, v12
	v_cndmask_b32_e32 v10, v10, v11, vcc
	v_cndmask_b32_e32 v11, v12, v13, vcc
	v_lshlrev_b32_e32 v12, 16, v6
	v_mov_b32_e32 v13, 0x3b800000
	v_lshlrev_b32_e32 v10, 20, v10
	v_and_b32_e32 v12, 0x80000000, v12
	v_lshl_add_u32 v11, v11, 23, v13
	v_or3_b32 v10, v12, v11, v10
.LBB24_908:
	s_or_b64 exec, exec, s[6:7]
	v_lshrrev_b32_e32 v11, 8, v2
	s_movk_i32 s4, 0x7f
	v_cmp_gt_i16_sdwa s[6:7], v11, s4 src0_sel:BYTE_0 src1_sel:DWORD
	s_mov_b64 s[4:5], 0
                                        ; implicit-def: $sgpr10
	s_and_saveexec_b64 s[8:9], s[6:7]
	s_xor_b64 s[6:7], exec, s[8:9]
	s_cbranch_execnz .LBB24_2957
; %bb.909:
	s_or_saveexec_b64 s[6:7], s[6:7]
	v_mov_b32_e32 v12, s10
	s_xor_b64 exec, exec, s[6:7]
	s_cbranch_execnz .LBB24_2960
.LBB24_910:
	s_or_b64 exec, exec, s[6:7]
	s_and_saveexec_b64 s[6:7], s[4:5]
	s_cbranch_execz .LBB24_912
.LBB24_911:
	v_bfe_u32 v12, v2, 8, 3
	v_ffbh_u32_e32 v14, v12
	v_min_u32_e32 v14, 32, v14
	v_lshrrev_b16_e32 v13, 3, v11
	v_subrev_u32_e32 v15, 28, v14
	v_and_b32_e32 v13, 15, v13
	v_lshlrev_b32_e32 v11, v15, v11
	v_sub_u32_e32 v14, 29, v14
	v_and_b32_e32 v11, 7, v11
	v_cmp_eq_u16_e32 vcc, 0, v13
	v_cndmask_b32_e32 v11, v12, v11, vcc
	v_cndmask_b32_e32 v12, v13, v14, vcc
	v_lshlrev_b32_e32 v13, 16, v2
	v_mov_b32_e32 v14, 0x3b800000
	v_lshlrev_b32_e32 v11, 20, v11
	v_and_b32_e32 v13, 0x80000000, v13
	v_lshl_add_u32 v12, v12, 23, v14
	v_or3_b32 v12, v13, v12, v11
.LBB24_912:
	s_or_b64 exec, exec, s[6:7]
	s_nop 0
	v_mfma_f32_16x16x4f32 a[0:3], v10, v12, a[0:3]
	s_movk_i32 s4, 0xff
	v_and_b32_sdwa v11, v6, s4 dst_sel:DWORD dst_unused:UNUSED_PAD src0_sel:WORD_1 src1_sel:DWORD
	s_movk_i32 s4, 0x7f
	v_cmp_lt_i16_e32 vcc, s4, v11
	s_mov_b64 s[4:5], 0
                                        ; implicit-def: $sgpr10
	s_and_saveexec_b64 s[6:7], vcc
	s_xor_b64 s[6:7], exec, s[6:7]
	s_cbranch_execnz .LBB24_2961
; %bb.913:
	s_or_saveexec_b64 s[6:7], s[6:7]
	v_mov_b32_e32 v10, s10
	s_xor_b64 exec, exec, s[6:7]
	s_cbranch_execnz .LBB24_2964
.LBB24_914:
	s_or_b64 exec, exec, s[6:7]
	s_and_saveexec_b64 s[6:7], s[4:5]
	s_cbranch_execz .LBB24_916
.LBB24_915:
	v_bfe_u32 v10, v6, 16, 3
	v_ffbh_u32_e32 v13, v10
	v_min_u32_e32 v13, 32, v13
	v_lshrrev_b32_e32 v11, 19, v6
	v_subrev_u32_e32 v14, 28, v13
	v_and_b32_e32 v11, 15, v11
	v_lshlrev_b32_sdwa v14, v14, v6 dst_sel:DWORD dst_unused:UNUSED_PAD src0_sel:DWORD src1_sel:WORD_1
	v_bfe_u32 v12, v6, 19, 4
	v_sub_u32_e32 v13, 29, v13
	v_and_b32_e32 v14, 7, v14
	v_cmp_eq_u16_e32 vcc, 0, v11
	v_cndmask_b32_e32 v10, v10, v14, vcc
	v_cndmask_b32_e32 v11, v12, v13, vcc
	v_lshlrev_b32_e32 v12, 8, v6
	v_mov_b32_e32 v13, 0x3b800000
	v_lshlrev_b32_e32 v10, 20, v10
	v_and_b32_e32 v12, 0x80000000, v12
	v_lshl_add_u32 v11, v11, 23, v13
	v_or3_b32 v10, v12, v11, v10
.LBB24_916:
	s_or_b64 exec, exec, s[6:7]
	s_movk_i32 s4, 0xff
	v_and_b32_sdwa v11, v2, s4 dst_sel:DWORD dst_unused:UNUSED_PAD src0_sel:WORD_1 src1_sel:DWORD
	s_movk_i32 s4, 0x7f
	v_cmp_lt_i16_e32 vcc, s4, v11
	s_mov_b64 s[4:5], 0
                                        ; implicit-def: $sgpr10
	s_and_saveexec_b64 s[6:7], vcc
	s_xor_b64 s[6:7], exec, s[6:7]
	s_cbranch_execnz .LBB24_2965
; %bb.917:
	s_or_saveexec_b64 s[6:7], s[6:7]
	v_mov_b32_e32 v12, s10
	s_xor_b64 exec, exec, s[6:7]
	s_cbranch_execnz .LBB24_2968
.LBB24_918:
	s_or_b64 exec, exec, s[6:7]
	s_and_saveexec_b64 s[6:7], s[4:5]
	s_cbranch_execz .LBB24_920
.LBB24_919:
	v_bfe_u32 v11, v2, 16, 3
	v_ffbh_u32_e32 v14, v11
	v_min_u32_e32 v14, 32, v14
	v_lshrrev_b32_e32 v12, 19, v2
	v_subrev_u32_e32 v15, 28, v14
	v_and_b32_e32 v12, 15, v12
	v_lshlrev_b32_sdwa v15, v15, v2 dst_sel:DWORD dst_unused:UNUSED_PAD src0_sel:DWORD src1_sel:WORD_1
	v_bfe_u32 v13, v2, 19, 4
	v_sub_u32_e32 v14, 29, v14
	v_and_b32_e32 v15, 7, v15
	v_cmp_eq_u16_e32 vcc, 0, v12
	v_cndmask_b32_e32 v11, v11, v15, vcc
	v_cndmask_b32_e32 v12, v13, v14, vcc
	v_lshlrev_b32_e32 v13, 8, v2
	v_mov_b32_e32 v14, 0x3b800000
	v_lshlrev_b32_e32 v11, 20, v11
	v_and_b32_e32 v13, 0x80000000, v13
	v_lshl_add_u32 v12, v12, 23, v14
	v_or3_b32 v12, v13, v12, v11
.LBB24_920:
	s_or_b64 exec, exec, s[6:7]
	s_nop 0
	v_mfma_f32_16x16x4f32 a[0:3], v10, v12, a[0:3]
	s_movk_i32 s4, 0x7f
	v_cmp_gt_i16_sdwa s[6:7], v6, s4 src0_sel:BYTE_3 src1_sel:DWORD
	s_mov_b64 s[4:5], 0
                                        ; implicit-def: $sgpr10
	s_and_saveexec_b64 s[8:9], s[6:7]
	s_xor_b64 s[6:7], exec, s[8:9]
	s_cbranch_execnz .LBB24_2969
; %bb.921:
	s_or_saveexec_b64 s[6:7], s[6:7]
	v_mov_b32_e32 v10, s10
	s_xor_b64 exec, exec, s[6:7]
	s_cbranch_execnz .LBB24_2972
.LBB24_922:
	s_or_b64 exec, exec, s[6:7]
	s_and_saveexec_b64 s[6:7], s[4:5]
	s_cbranch_execz .LBB24_924
.LBB24_923:
	v_bfe_u32 v10, v6, 24, 3
	v_ffbh_u32_e32 v14, v10
	v_min_u32_e32 v14, 32, v14
	v_lshrrev_b32_e32 v12, 27, v6
	v_subrev_u32_e32 v15, 28, v14
	v_and_b32_e32 v11, 0x80000000, v6
	v_and_b32_e32 v12, 15, v12
	v_bfe_u32 v13, v6, 27, 4
	v_lshlrev_b32_sdwa v6, v15, v6 dst_sel:DWORD dst_unused:UNUSED_PAD src0_sel:DWORD src1_sel:BYTE_3
	v_sub_u32_e32 v14, 29, v14
	v_and_b32_e32 v6, 7, v6
	v_cmp_eq_u16_e32 vcc, 0, v12
	v_cndmask_b32_e32 v6, v10, v6, vcc
	v_cndmask_b32_e32 v10, v13, v14, vcc
	v_mov_b32_e32 v12, 0x3b800000
	v_lshlrev_b32_e32 v6, 20, v6
	v_lshl_add_u32 v10, v10, 23, v12
	v_or3_b32 v10, v11, v10, v6
.LBB24_924:
	s_or_b64 exec, exec, s[6:7]
	s_movk_i32 s4, 0x7f
	v_cmp_gt_i16_sdwa s[6:7], v2, s4 src0_sel:BYTE_3 src1_sel:DWORD
	s_mov_b64 s[4:5], 0
                                        ; implicit-def: $sgpr10
	s_and_saveexec_b64 s[8:9], s[6:7]
	s_xor_b64 s[6:7], exec, s[8:9]
	s_cbranch_execnz .LBB24_2973
; %bb.925:
	s_or_saveexec_b64 s[6:7], s[6:7]
	v_mov_b32_e32 v6, s10
	s_xor_b64 exec, exec, s[6:7]
	s_cbranch_execnz .LBB24_2976
.LBB24_926:
	s_or_b64 exec, exec, s[6:7]
	s_and_saveexec_b64 s[6:7], s[4:5]
	s_cbranch_execz .LBB24_928
.LBB24_927:
	v_bfe_u32 v6, v2, 24, 3
	v_ffbh_u32_e32 v14, v6
	v_min_u32_e32 v14, 32, v14
	v_lshrrev_b32_e32 v12, 27, v2
	v_subrev_u32_e32 v15, 28, v14
	v_and_b32_e32 v11, 0x80000000, v2
	v_and_b32_e32 v12, 15, v12
	v_bfe_u32 v13, v2, 27, 4
	v_lshlrev_b32_sdwa v2, v15, v2 dst_sel:DWORD dst_unused:UNUSED_PAD src0_sel:DWORD src1_sel:BYTE_3
	v_sub_u32_e32 v14, 29, v14
	v_and_b32_e32 v2, 7, v2
	v_cmp_eq_u16_e32 vcc, 0, v12
	v_cndmask_b32_e32 v2, v6, v2, vcc
	v_cndmask_b32_e32 v6, v13, v14, vcc
	v_mov_b32_e32 v12, 0x3b800000
	v_lshlrev_b32_e32 v2, 20, v2
	v_lshl_add_u32 v6, v6, 23, v12
	v_or3_b32 v6, v11, v6, v2
.LBB24_928:
	s_or_b64 exec, exec, s[6:7]
	s_nop 0
	v_mfma_f32_16x16x4f32 a[0:3], v10, v6, a[0:3]
	s_movk_i32 s4, 0x7f
	v_cmp_gt_i16_sdwa s[6:7], v7, s4 src0_sel:BYTE_0 src1_sel:DWORD
	s_mov_b64 s[4:5], 0
                                        ; implicit-def: $sgpr10
	s_and_saveexec_b64 s[8:9], s[6:7]
	s_xor_b64 s[6:7], exec, s[8:9]
	s_cbranch_execnz .LBB24_2977
; %bb.929:
	s_or_saveexec_b64 s[6:7], s[6:7]
	v_mov_b32_e32 v2, s10
	s_xor_b64 exec, exec, s[6:7]
	s_cbranch_execnz .LBB24_2980
.LBB24_930:
	s_or_b64 exec, exec, s[6:7]
	s_and_saveexec_b64 s[6:7], s[4:5]
	s_cbranch_execz .LBB24_932
.LBB24_931:
	v_and_b32_e32 v2, 7, v7
	v_ffbh_u32_e32 v10, v2
	v_min_u32_e32 v10, 32, v10
	v_lshrrev_b16_e32 v6, 3, v7
	v_subrev_u32_e32 v11, 28, v10
	v_and_b32_e32 v6, 15, v6
	v_lshlrev_b32_e32 v11, v11, v7
	v_sub_u32_e32 v10, 29, v10
	v_and_b32_e32 v11, 7, v11
	v_cmp_eq_u16_e32 vcc, 0, v6
	v_cndmask_b32_e32 v2, v2, v11, vcc
	v_cndmask_b32_e32 v6, v6, v10, vcc
	v_lshlrev_b32_e32 v10, 24, v7
	v_mov_b32_e32 v11, 0x3b800000
	v_lshlrev_b32_e32 v2, 20, v2
	v_and_b32_e32 v10, 0x80000000, v10
	v_lshl_add_u32 v6, v6, 23, v11
	v_or3_b32 v2, v10, v6, v2
.LBB24_932:
	s_or_b64 exec, exec, s[6:7]
	s_movk_i32 s4, 0x7f
	v_cmp_gt_i16_sdwa s[6:7], v3, s4 src0_sel:BYTE_0 src1_sel:DWORD
	s_mov_b64 s[4:5], 0
                                        ; implicit-def: $sgpr10
	s_and_saveexec_b64 s[8:9], s[6:7]
	s_xor_b64 s[6:7], exec, s[8:9]
	s_cbranch_execnz .LBB24_2981
; %bb.933:
	s_or_saveexec_b64 s[6:7], s[6:7]
	v_mov_b32_e32 v6, s10
	s_xor_b64 exec, exec, s[6:7]
	s_cbranch_execnz .LBB24_2984
.LBB24_934:
	s_or_b64 exec, exec, s[6:7]
	s_and_saveexec_b64 s[6:7], s[4:5]
	s_cbranch_execz .LBB24_936
.LBB24_935:
	v_and_b32_e32 v6, 7, v3
	v_ffbh_u32_e32 v11, v6
	v_min_u32_e32 v11, 32, v11
	v_lshrrev_b16_e32 v10, 3, v3
	v_subrev_u32_e32 v12, 28, v11
	v_and_b32_e32 v10, 15, v10
	v_lshlrev_b32_e32 v12, v12, v3
	v_sub_u32_e32 v11, 29, v11
	v_and_b32_e32 v12, 7, v12
	v_cmp_eq_u16_e32 vcc, 0, v10
	v_cndmask_b32_e32 v6, v6, v12, vcc
	v_cndmask_b32_e32 v10, v10, v11, vcc
	v_lshlrev_b32_e32 v11, 24, v3
	v_mov_b32_e32 v12, 0x3b800000
	v_lshlrev_b32_e32 v6, 20, v6
	v_and_b32_e32 v11, 0x80000000, v11
	v_lshl_add_u32 v10, v10, 23, v12
	v_or3_b32 v6, v11, v10, v6
.LBB24_936:
	s_or_b64 exec, exec, s[6:7]
	s_nop 0
	v_mfma_f32_16x16x4f32 a[0:3], v2, v6, a[0:3]
	v_lshrrev_b32_e32 v6, 8, v7
	s_movk_i32 s4, 0x7f
	v_cmp_gt_i16_sdwa s[6:7], v6, s4 src0_sel:BYTE_0 src1_sel:DWORD
	s_mov_b64 s[4:5], 0
                                        ; implicit-def: $sgpr10
	s_and_saveexec_b64 s[8:9], s[6:7]
	s_xor_b64 s[6:7], exec, s[8:9]
	s_cbranch_execnz .LBB24_2985
; %bb.937:
	s_or_saveexec_b64 s[6:7], s[6:7]
	v_mov_b32_e32 v2, s10
	s_xor_b64 exec, exec, s[6:7]
	s_cbranch_execnz .LBB24_2988
.LBB24_938:
	s_or_b64 exec, exec, s[6:7]
	s_and_saveexec_b64 s[6:7], s[4:5]
	s_cbranch_execz .LBB24_940
.LBB24_939:
	v_bfe_u32 v2, v7, 8, 3
	v_ffbh_u32_e32 v11, v2
	v_min_u32_e32 v11, 32, v11
	v_lshrrev_b16_e32 v10, 3, v6
	v_subrev_u32_e32 v12, 28, v11
	v_and_b32_e32 v10, 15, v10
	v_lshlrev_b32_e32 v6, v12, v6
	v_sub_u32_e32 v11, 29, v11
	v_and_b32_e32 v6, 7, v6
	v_cmp_eq_u16_e32 vcc, 0, v10
	v_cndmask_b32_e32 v2, v2, v6, vcc
	v_cndmask_b32_e32 v6, v10, v11, vcc
	v_lshlrev_b32_e32 v10, 16, v7
	v_mov_b32_e32 v11, 0x3b800000
	v_lshlrev_b32_e32 v2, 20, v2
	v_and_b32_e32 v10, 0x80000000, v10
	v_lshl_add_u32 v6, v6, 23, v11
	v_or3_b32 v2, v10, v6, v2
.LBB24_940:
	s_or_b64 exec, exec, s[6:7]
	v_lshrrev_b32_e32 v6, 8, v3
	s_movk_i32 s4, 0x7f
	v_cmp_gt_i16_sdwa s[6:7], v6, s4 src0_sel:BYTE_0 src1_sel:DWORD
	s_mov_b64 s[4:5], 0
                                        ; implicit-def: $sgpr10
	s_and_saveexec_b64 s[8:9], s[6:7]
	s_xor_b64 s[6:7], exec, s[8:9]
	s_cbranch_execnz .LBB24_2989
; %bb.941:
	s_or_saveexec_b64 s[6:7], s[6:7]
	v_mov_b32_e32 v10, s10
	s_xor_b64 exec, exec, s[6:7]
	s_cbranch_execnz .LBB24_2992
.LBB24_942:
	s_or_b64 exec, exec, s[6:7]
	s_and_saveexec_b64 s[6:7], s[4:5]
	s_cbranch_execz .LBB24_944
.LBB24_943:
	v_bfe_u32 v10, v3, 8, 3
	v_ffbh_u32_e32 v12, v10
	v_min_u32_e32 v12, 32, v12
	v_lshrrev_b16_e32 v11, 3, v6
	v_subrev_u32_e32 v13, 28, v12
	v_and_b32_e32 v11, 15, v11
	v_lshlrev_b32_e32 v6, v13, v6
	v_sub_u32_e32 v12, 29, v12
	v_and_b32_e32 v6, 7, v6
	v_cmp_eq_u16_e32 vcc, 0, v11
	v_cndmask_b32_e32 v6, v10, v6, vcc
	v_cndmask_b32_e32 v10, v11, v12, vcc
	v_lshlrev_b32_e32 v11, 16, v3
	v_mov_b32_e32 v12, 0x3b800000
	v_lshlrev_b32_e32 v6, 20, v6
	v_and_b32_e32 v11, 0x80000000, v11
	v_lshl_add_u32 v10, v10, 23, v12
	v_or3_b32 v10, v11, v10, v6
.LBB24_944:
	s_or_b64 exec, exec, s[6:7]
	s_nop 0
	v_mfma_f32_16x16x4f32 a[0:3], v2, v10, a[0:3]
	s_movk_i32 s4, 0xff
	v_and_b32_sdwa v6, v7, s4 dst_sel:DWORD dst_unused:UNUSED_PAD src0_sel:WORD_1 src1_sel:DWORD
	s_movk_i32 s4, 0x7f
	v_cmp_lt_i16_e32 vcc, s4, v6
	s_mov_b64 s[4:5], 0
                                        ; implicit-def: $sgpr10
	s_and_saveexec_b64 s[6:7], vcc
	s_xor_b64 s[6:7], exec, s[6:7]
	s_cbranch_execnz .LBB24_2993
; %bb.945:
	s_or_saveexec_b64 s[6:7], s[6:7]
	v_mov_b32_e32 v2, s10
	s_xor_b64 exec, exec, s[6:7]
	s_cbranch_execnz .LBB24_2996
.LBB24_946:
	s_or_b64 exec, exec, s[6:7]
	s_and_saveexec_b64 s[6:7], s[4:5]
	s_cbranch_execz .LBB24_948
.LBB24_947:
	v_bfe_u32 v2, v7, 16, 3
	v_ffbh_u32_e32 v11, v2
	v_min_u32_e32 v11, 32, v11
	v_lshrrev_b32_e32 v6, 19, v7
	v_subrev_u32_e32 v12, 28, v11
	v_and_b32_e32 v6, 15, v6
	v_lshlrev_b32_sdwa v12, v12, v7 dst_sel:DWORD dst_unused:UNUSED_PAD src0_sel:DWORD src1_sel:WORD_1
	v_bfe_u32 v10, v7, 19, 4
	v_sub_u32_e32 v11, 29, v11
	v_and_b32_e32 v12, 7, v12
	v_cmp_eq_u16_e32 vcc, 0, v6
	v_cndmask_b32_e32 v2, v2, v12, vcc
	v_cndmask_b32_e32 v6, v10, v11, vcc
	v_lshlrev_b32_e32 v10, 8, v7
	v_mov_b32_e32 v11, 0x3b800000
	v_lshlrev_b32_e32 v2, 20, v2
	v_and_b32_e32 v10, 0x80000000, v10
	v_lshl_add_u32 v6, v6, 23, v11
	v_or3_b32 v2, v10, v6, v2
.LBB24_948:
	s_or_b64 exec, exec, s[6:7]
	s_movk_i32 s4, 0xff
	v_and_b32_sdwa v6, v3, s4 dst_sel:DWORD dst_unused:UNUSED_PAD src0_sel:WORD_1 src1_sel:DWORD
	s_movk_i32 s4, 0x7f
	v_cmp_lt_i16_e32 vcc, s4, v6
	s_mov_b64 s[4:5], 0
                                        ; implicit-def: $sgpr10
	s_and_saveexec_b64 s[6:7], vcc
	s_xor_b64 s[6:7], exec, s[6:7]
	s_cbranch_execnz .LBB24_2997
; %bb.949:
	s_or_saveexec_b64 s[6:7], s[6:7]
	v_mov_b32_e32 v10, s10
	s_xor_b64 exec, exec, s[6:7]
	s_cbranch_execnz .LBB24_3000
.LBB24_950:
	s_or_b64 exec, exec, s[6:7]
	s_and_saveexec_b64 s[6:7], s[4:5]
	s_cbranch_execz .LBB24_952
.LBB24_951:
	v_bfe_u32 v6, v3, 16, 3
	v_ffbh_u32_e32 v12, v6
	v_min_u32_e32 v12, 32, v12
	v_lshrrev_b32_e32 v10, 19, v3
	v_subrev_u32_e32 v13, 28, v12
	v_and_b32_e32 v10, 15, v10
	v_lshlrev_b32_sdwa v13, v13, v3 dst_sel:DWORD dst_unused:UNUSED_PAD src0_sel:DWORD src1_sel:WORD_1
	v_bfe_u32 v11, v3, 19, 4
	v_sub_u32_e32 v12, 29, v12
	v_and_b32_e32 v13, 7, v13
	v_cmp_eq_u16_e32 vcc, 0, v10
	v_cndmask_b32_e32 v6, v6, v13, vcc
	v_cndmask_b32_e32 v10, v11, v12, vcc
	v_lshlrev_b32_e32 v11, 8, v3
	v_mov_b32_e32 v12, 0x3b800000
	v_lshlrev_b32_e32 v6, 20, v6
	v_and_b32_e32 v11, 0x80000000, v11
	v_lshl_add_u32 v10, v10, 23, v12
	v_or3_b32 v10, v11, v10, v6
.LBB24_952:
	s_or_b64 exec, exec, s[6:7]
	s_nop 0
	v_mfma_f32_16x16x4f32 a[0:3], v2, v10, a[0:3]
	s_movk_i32 s4, 0x7f
	v_cmp_gt_i16_sdwa s[6:7], v7, s4 src0_sel:BYTE_3 src1_sel:DWORD
	s_mov_b64 s[4:5], 0
                                        ; implicit-def: $sgpr10
	s_and_saveexec_b64 s[8:9], s[6:7]
	s_xor_b64 s[6:7], exec, s[8:9]
	s_cbranch_execnz .LBB24_3001
; %bb.953:
	s_or_saveexec_b64 s[6:7], s[6:7]
	v_mov_b32_e32 v2, s10
	s_xor_b64 exec, exec, s[6:7]
	s_cbranch_execnz .LBB24_3004
.LBB24_954:
	s_or_b64 exec, exec, s[6:7]
	s_and_saveexec_b64 s[6:7], s[4:5]
	s_cbranch_execz .LBB24_956
.LBB24_955:
	v_bfe_u32 v2, v7, 24, 3
	v_ffbh_u32_e32 v12, v2
	v_min_u32_e32 v12, 32, v12
	v_lshrrev_b32_e32 v10, 27, v7
	v_subrev_u32_e32 v13, 28, v12
	v_and_b32_e32 v6, 0x80000000, v7
	v_and_b32_e32 v10, 15, v10
	v_bfe_u32 v11, v7, 27, 4
	v_lshlrev_b32_sdwa v7, v13, v7 dst_sel:DWORD dst_unused:UNUSED_PAD src0_sel:DWORD src1_sel:BYTE_3
	v_sub_u32_e32 v12, 29, v12
	v_and_b32_e32 v7, 7, v7
	v_cmp_eq_u16_e32 vcc, 0, v10
	v_cndmask_b32_e32 v2, v2, v7, vcc
	v_cndmask_b32_e32 v7, v11, v12, vcc
	v_mov_b32_e32 v10, 0x3b800000
	v_lshlrev_b32_e32 v2, 20, v2
	v_lshl_add_u32 v7, v7, 23, v10
	v_or3_b32 v2, v6, v7, v2
.LBB24_956:
	s_or_b64 exec, exec, s[6:7]
	s_movk_i32 s4, 0x7f
	v_cmp_gt_i16_sdwa s[6:7], v3, s4 src0_sel:BYTE_3 src1_sel:DWORD
	s_mov_b64 s[4:5], 0
                                        ; implicit-def: $sgpr10
	s_and_saveexec_b64 s[8:9], s[6:7]
	s_xor_b64 s[6:7], exec, s[8:9]
	s_cbranch_execnz .LBB24_3005
; %bb.957:
	s_or_saveexec_b64 s[6:7], s[6:7]
	v_mov_b32_e32 v6, s10
	s_xor_b64 exec, exec, s[6:7]
	s_cbranch_execnz .LBB24_3008
.LBB24_958:
	s_or_b64 exec, exec, s[6:7]
	s_and_saveexec_b64 s[6:7], s[4:5]
	s_cbranch_execz .LBB24_960
.LBB24_959:
	v_bfe_u32 v6, v3, 24, 3
	v_ffbh_u32_e32 v12, v6
	v_min_u32_e32 v12, 32, v12
	v_lshrrev_b32_e32 v10, 27, v3
	v_subrev_u32_e32 v13, 28, v12
	v_and_b32_e32 v7, 0x80000000, v3
	v_and_b32_e32 v10, 15, v10
	v_bfe_u32 v11, v3, 27, 4
	v_lshlrev_b32_sdwa v3, v13, v3 dst_sel:DWORD dst_unused:UNUSED_PAD src0_sel:DWORD src1_sel:BYTE_3
	v_sub_u32_e32 v12, 29, v12
	v_and_b32_e32 v3, 7, v3
	v_cmp_eq_u16_e32 vcc, 0, v10
	v_cndmask_b32_e32 v3, v6, v3, vcc
	v_cndmask_b32_e32 v6, v11, v12, vcc
	v_mov_b32_e32 v10, 0x3b800000
	v_lshlrev_b32_e32 v3, 20, v3
	v_lshl_add_u32 v6, v6, 23, v10
	v_or3_b32 v6, v7, v6, v3
.LBB24_960:
	s_or_b64 exec, exec, s[6:7]
	s_nop 0
	v_mfma_f32_16x16x4f32 a[0:3], v2, v6, a[0:3]
	s_movk_i32 s4, 0x7f
	v_cmp_gt_i16_sdwa s[6:7], v8, s4 src0_sel:BYTE_0 src1_sel:DWORD
	s_mov_b64 s[4:5], 0
                                        ; implicit-def: $sgpr10
	s_and_saveexec_b64 s[8:9], s[6:7]
	s_xor_b64 s[6:7], exec, s[8:9]
	s_cbranch_execnz .LBB24_3009
; %bb.961:
	s_or_saveexec_b64 s[6:7], s[6:7]
	v_mov_b32_e32 v2, s10
	s_xor_b64 exec, exec, s[6:7]
	s_cbranch_execnz .LBB24_3012
.LBB24_962:
	s_or_b64 exec, exec, s[6:7]
	s_and_saveexec_b64 s[6:7], s[4:5]
	s_cbranch_execz .LBB24_964
.LBB24_963:
	v_and_b32_e32 v2, 7, v8
	v_ffbh_u32_e32 v6, v2
	v_min_u32_e32 v6, 32, v6
	v_lshrrev_b16_e32 v3, 3, v8
	v_subrev_u32_e32 v7, 28, v6
	v_and_b32_e32 v3, 15, v3
	v_lshlrev_b32_e32 v7, v7, v8
	v_sub_u32_e32 v6, 29, v6
	v_and_b32_e32 v7, 7, v7
	v_cmp_eq_u16_e32 vcc, 0, v3
	v_cndmask_b32_e32 v2, v2, v7, vcc
	v_cndmask_b32_e32 v3, v3, v6, vcc
	v_lshlrev_b32_e32 v6, 24, v8
	v_mov_b32_e32 v7, 0x3b800000
	v_lshlrev_b32_e32 v2, 20, v2
	v_and_b32_e32 v6, 0x80000000, v6
	v_lshl_add_u32 v3, v3, 23, v7
	v_or3_b32 v2, v6, v3, v2
.LBB24_964:
	s_or_b64 exec, exec, s[6:7]
	s_movk_i32 s4, 0x7f
	v_cmp_gt_i16_sdwa s[6:7], v4, s4 src0_sel:BYTE_0 src1_sel:DWORD
	s_mov_b64 s[4:5], 0
                                        ; implicit-def: $sgpr10
	s_and_saveexec_b64 s[8:9], s[6:7]
	s_xor_b64 s[6:7], exec, s[8:9]
	s_cbranch_execnz .LBB24_3013
; %bb.965:
	s_or_saveexec_b64 s[6:7], s[6:7]
	v_mov_b32_e32 v3, s10
	s_xor_b64 exec, exec, s[6:7]
	s_cbranch_execnz .LBB24_3016
.LBB24_966:
	s_or_b64 exec, exec, s[6:7]
	s_and_saveexec_b64 s[6:7], s[4:5]
	s_cbranch_execz .LBB24_968
.LBB24_967:
	v_and_b32_e32 v3, 7, v4
	v_ffbh_u32_e32 v7, v3
	v_min_u32_e32 v7, 32, v7
	v_lshrrev_b16_e32 v6, 3, v4
	v_subrev_u32_e32 v10, 28, v7
	v_and_b32_e32 v6, 15, v6
	v_lshlrev_b32_e32 v10, v10, v4
	v_sub_u32_e32 v7, 29, v7
	v_and_b32_e32 v10, 7, v10
	v_cmp_eq_u16_e32 vcc, 0, v6
	v_cndmask_b32_e32 v3, v3, v10, vcc
	v_cndmask_b32_e32 v6, v6, v7, vcc
	v_lshlrev_b32_e32 v7, 24, v4
	v_mov_b32_e32 v10, 0x3b800000
	v_lshlrev_b32_e32 v3, 20, v3
	v_and_b32_e32 v7, 0x80000000, v7
	v_lshl_add_u32 v6, v6, 23, v10
	v_or3_b32 v3, v7, v6, v3
.LBB24_968:
	s_or_b64 exec, exec, s[6:7]
	s_nop 0
	v_mfma_f32_16x16x4f32 a[0:3], v2, v3, a[0:3]
	v_lshrrev_b32_e32 v3, 8, v8
	s_movk_i32 s4, 0x7f
	v_cmp_gt_i16_sdwa s[6:7], v3, s4 src0_sel:BYTE_0 src1_sel:DWORD
	s_mov_b64 s[4:5], 0
                                        ; implicit-def: $sgpr10
	s_and_saveexec_b64 s[8:9], s[6:7]
	s_xor_b64 s[6:7], exec, s[8:9]
	s_cbranch_execnz .LBB24_3017
; %bb.969:
	s_or_saveexec_b64 s[6:7], s[6:7]
	v_mov_b32_e32 v2, s10
	s_xor_b64 exec, exec, s[6:7]
	s_cbranch_execnz .LBB24_3020
.LBB24_970:
	s_or_b64 exec, exec, s[6:7]
	s_and_saveexec_b64 s[6:7], s[4:5]
	s_cbranch_execz .LBB24_972
.LBB24_971:
	v_bfe_u32 v2, v8, 8, 3
	v_ffbh_u32_e32 v7, v2
	v_min_u32_e32 v7, 32, v7
	v_lshrrev_b16_e32 v6, 3, v3
	v_subrev_u32_e32 v10, 28, v7
	v_and_b32_e32 v6, 15, v6
	v_lshlrev_b32_e32 v3, v10, v3
	v_sub_u32_e32 v7, 29, v7
	v_and_b32_e32 v3, 7, v3
	v_cmp_eq_u16_e32 vcc, 0, v6
	v_cndmask_b32_e32 v2, v2, v3, vcc
	v_cndmask_b32_e32 v3, v6, v7, vcc
	v_lshlrev_b32_e32 v6, 16, v8
	v_mov_b32_e32 v7, 0x3b800000
	v_lshlrev_b32_e32 v2, 20, v2
	v_and_b32_e32 v6, 0x80000000, v6
	v_lshl_add_u32 v3, v3, 23, v7
	v_or3_b32 v2, v6, v3, v2
.LBB24_972:
	s_or_b64 exec, exec, s[6:7]
	v_lshrrev_b32_e32 v3, 8, v4
	s_movk_i32 s4, 0x7f
	v_cmp_gt_i16_sdwa s[6:7], v3, s4 src0_sel:BYTE_0 src1_sel:DWORD
	s_mov_b64 s[4:5], 0
                                        ; implicit-def: $sgpr10
	s_and_saveexec_b64 s[8:9], s[6:7]
	s_xor_b64 s[6:7], exec, s[8:9]
	s_cbranch_execnz .LBB24_3021
; %bb.973:
	s_or_saveexec_b64 s[6:7], s[6:7]
	v_mov_b32_e32 v6, s10
	s_xor_b64 exec, exec, s[6:7]
	s_cbranch_execnz .LBB24_3024
.LBB24_974:
	s_or_b64 exec, exec, s[6:7]
	s_and_saveexec_b64 s[6:7], s[4:5]
	s_cbranch_execz .LBB24_976
.LBB24_975:
	v_bfe_u32 v6, v4, 8, 3
	v_ffbh_u32_e32 v10, v6
	v_min_u32_e32 v10, 32, v10
	v_lshrrev_b16_e32 v7, 3, v3
	v_subrev_u32_e32 v11, 28, v10
	v_and_b32_e32 v7, 15, v7
	v_lshlrev_b32_e32 v3, v11, v3
	v_sub_u32_e32 v10, 29, v10
	v_and_b32_e32 v3, 7, v3
	v_cmp_eq_u16_e32 vcc, 0, v7
	v_cndmask_b32_e32 v3, v6, v3, vcc
	v_cndmask_b32_e32 v6, v7, v10, vcc
	v_lshlrev_b32_e32 v7, 16, v4
	v_mov_b32_e32 v10, 0x3b800000
	v_lshlrev_b32_e32 v3, 20, v3
	v_and_b32_e32 v7, 0x80000000, v7
	v_lshl_add_u32 v6, v6, 23, v10
	v_or3_b32 v6, v7, v6, v3
.LBB24_976:
	s_or_b64 exec, exec, s[6:7]
	s_nop 0
	v_mfma_f32_16x16x4f32 a[0:3], v2, v6, a[0:3]
	s_movk_i32 s4, 0xff
	v_and_b32_sdwa v3, v8, s4 dst_sel:DWORD dst_unused:UNUSED_PAD src0_sel:WORD_1 src1_sel:DWORD
	s_movk_i32 s4, 0x7f
	v_cmp_lt_i16_e32 vcc, s4, v3
	s_mov_b64 s[4:5], 0
                                        ; implicit-def: $sgpr10
	s_and_saveexec_b64 s[6:7], vcc
	s_xor_b64 s[6:7], exec, s[6:7]
	s_cbranch_execnz .LBB24_3025
; %bb.977:
	s_or_saveexec_b64 s[6:7], s[6:7]
	v_mov_b32_e32 v2, s10
	s_xor_b64 exec, exec, s[6:7]
	s_cbranch_execnz .LBB24_3028
.LBB24_978:
	s_or_b64 exec, exec, s[6:7]
	s_and_saveexec_b64 s[6:7], s[4:5]
	s_cbranch_execz .LBB24_980
.LBB24_979:
	v_bfe_u32 v2, v8, 16, 3
	v_ffbh_u32_e32 v7, v2
	v_min_u32_e32 v7, 32, v7
	v_lshrrev_b32_e32 v3, 19, v8
	v_subrev_u32_e32 v10, 28, v7
	v_and_b32_e32 v3, 15, v3
	v_lshlrev_b32_sdwa v10, v10, v8 dst_sel:DWORD dst_unused:UNUSED_PAD src0_sel:DWORD src1_sel:WORD_1
	v_bfe_u32 v6, v8, 19, 4
	v_sub_u32_e32 v7, 29, v7
	v_and_b32_e32 v10, 7, v10
	v_cmp_eq_u16_e32 vcc, 0, v3
	v_cndmask_b32_e32 v2, v2, v10, vcc
	v_cndmask_b32_e32 v3, v6, v7, vcc
	v_lshlrev_b32_e32 v6, 8, v8
	v_mov_b32_e32 v7, 0x3b800000
	v_lshlrev_b32_e32 v2, 20, v2
	v_and_b32_e32 v6, 0x80000000, v6
	v_lshl_add_u32 v3, v3, 23, v7
	v_or3_b32 v2, v6, v3, v2
.LBB24_980:
	s_or_b64 exec, exec, s[6:7]
	s_movk_i32 s4, 0xff
	v_and_b32_sdwa v3, v4, s4 dst_sel:DWORD dst_unused:UNUSED_PAD src0_sel:WORD_1 src1_sel:DWORD
	s_movk_i32 s4, 0x7f
	v_cmp_lt_i16_e32 vcc, s4, v3
	s_mov_b64 s[4:5], 0
                                        ; implicit-def: $sgpr10
	s_and_saveexec_b64 s[6:7], vcc
	s_xor_b64 s[6:7], exec, s[6:7]
	s_cbranch_execnz .LBB24_3029
; %bb.981:
	s_or_saveexec_b64 s[6:7], s[6:7]
	v_mov_b32_e32 v6, s10
	s_xor_b64 exec, exec, s[6:7]
	s_cbranch_execnz .LBB24_3032
.LBB24_982:
	s_or_b64 exec, exec, s[6:7]
	s_and_saveexec_b64 s[6:7], s[4:5]
	s_cbranch_execz .LBB24_984
.LBB24_983:
	v_bfe_u32 v3, v4, 16, 3
	v_ffbh_u32_e32 v10, v3
	v_min_u32_e32 v10, 32, v10
	v_lshrrev_b32_e32 v6, 19, v4
	v_subrev_u32_e32 v11, 28, v10
	v_and_b32_e32 v6, 15, v6
	v_lshlrev_b32_sdwa v11, v11, v4 dst_sel:DWORD dst_unused:UNUSED_PAD src0_sel:DWORD src1_sel:WORD_1
	v_bfe_u32 v7, v4, 19, 4
	v_sub_u32_e32 v10, 29, v10
	v_and_b32_e32 v11, 7, v11
	v_cmp_eq_u16_e32 vcc, 0, v6
	v_cndmask_b32_e32 v3, v3, v11, vcc
	v_cndmask_b32_e32 v6, v7, v10, vcc
	v_lshlrev_b32_e32 v7, 8, v4
	v_mov_b32_e32 v10, 0x3b800000
	v_lshlrev_b32_e32 v3, 20, v3
	v_and_b32_e32 v7, 0x80000000, v7
	v_lshl_add_u32 v6, v6, 23, v10
	v_or3_b32 v6, v7, v6, v3
.LBB24_984:
	s_or_b64 exec, exec, s[6:7]
	s_nop 0
	v_mfma_f32_16x16x4f32 a[0:3], v2, v6, a[0:3]
	s_movk_i32 s4, 0x7f
	v_cmp_gt_i16_sdwa s[6:7], v8, s4 src0_sel:BYTE_3 src1_sel:DWORD
	s_mov_b64 s[4:5], 0
                                        ; implicit-def: $sgpr10
	s_and_saveexec_b64 s[8:9], s[6:7]
	s_xor_b64 s[6:7], exec, s[8:9]
	s_cbranch_execnz .LBB24_3033
; %bb.985:
	s_or_saveexec_b64 s[6:7], s[6:7]
	v_mov_b32_e32 v2, s10
	s_xor_b64 exec, exec, s[6:7]
	s_cbranch_execnz .LBB24_3036
.LBB24_986:
	s_or_b64 exec, exec, s[6:7]
	s_and_saveexec_b64 s[6:7], s[4:5]
	s_cbranch_execz .LBB24_988
.LBB24_987:
	v_bfe_u32 v2, v8, 24, 3
	v_ffbh_u32_e32 v10, v2
	v_min_u32_e32 v10, 32, v10
	v_lshrrev_b32_e32 v6, 27, v8
	v_subrev_u32_e32 v11, 28, v10
	v_and_b32_e32 v3, 0x80000000, v8
	v_and_b32_e32 v6, 15, v6
	v_bfe_u32 v7, v8, 27, 4
	v_lshlrev_b32_sdwa v8, v11, v8 dst_sel:DWORD dst_unused:UNUSED_PAD src0_sel:DWORD src1_sel:BYTE_3
	v_sub_u32_e32 v10, 29, v10
	v_and_b32_e32 v8, 7, v8
	v_cmp_eq_u16_e32 vcc, 0, v6
	v_cndmask_b32_e32 v2, v2, v8, vcc
	v_cndmask_b32_e32 v6, v7, v10, vcc
	v_mov_b32_e32 v7, 0x3b800000
	v_lshlrev_b32_e32 v2, 20, v2
	v_lshl_add_u32 v6, v6, 23, v7
	v_or3_b32 v2, v3, v6, v2
.LBB24_988:
	s_or_b64 exec, exec, s[6:7]
	s_movk_i32 s4, 0x7f
	v_cmp_gt_i16_sdwa s[6:7], v4, s4 src0_sel:BYTE_3 src1_sel:DWORD
	s_mov_b64 s[4:5], 0
                                        ; implicit-def: $sgpr10
	s_and_saveexec_b64 s[8:9], s[6:7]
	s_xor_b64 s[6:7], exec, s[8:9]
	s_cbranch_execnz .LBB24_3037
; %bb.989:
	s_or_saveexec_b64 s[6:7], s[6:7]
	v_mov_b32_e32 v3, s10
	s_xor_b64 exec, exec, s[6:7]
	s_cbranch_execnz .LBB24_3040
.LBB24_990:
	s_or_b64 exec, exec, s[6:7]
	s_and_saveexec_b64 s[6:7], s[4:5]
	s_cbranch_execz .LBB24_992
.LBB24_991:
	v_bfe_u32 v3, v4, 24, 3
	v_ffbh_u32_e32 v10, v3
	v_min_u32_e32 v10, 32, v10
	v_lshrrev_b32_e32 v7, 27, v4
	v_subrev_u32_e32 v11, 28, v10
	v_and_b32_e32 v6, 0x80000000, v4
	v_and_b32_e32 v7, 15, v7
	v_bfe_u32 v8, v4, 27, 4
	v_lshlrev_b32_sdwa v4, v11, v4 dst_sel:DWORD dst_unused:UNUSED_PAD src0_sel:DWORD src1_sel:BYTE_3
	v_sub_u32_e32 v10, 29, v10
	v_and_b32_e32 v4, 7, v4
	v_cmp_eq_u16_e32 vcc, 0, v7
	v_cndmask_b32_e32 v3, v3, v4, vcc
	v_cndmask_b32_e32 v4, v8, v10, vcc
	v_mov_b32_e32 v7, 0x3b800000
	v_lshlrev_b32_e32 v3, 20, v3
	v_lshl_add_u32 v4, v4, 23, v7
	v_or3_b32 v3, v6, v4, v3
.LBB24_992:
	s_or_b64 exec, exec, s[6:7]
	s_nop 0
	v_mfma_f32_16x16x4f32 a[0:3], v2, v3, a[0:3]
	s_movk_i32 s4, 0x7f
	v_cmp_gt_i16_sdwa s[6:7], v9, s4 src0_sel:BYTE_0 src1_sel:DWORD
	s_mov_b64 s[4:5], 0
                                        ; implicit-def: $sgpr10
	s_and_saveexec_b64 s[8:9], s[6:7]
	s_xor_b64 s[6:7], exec, s[8:9]
	s_cbranch_execnz .LBB24_3041
; %bb.993:
	s_or_saveexec_b64 s[6:7], s[6:7]
	v_mov_b32_e32 v2, s10
	s_xor_b64 exec, exec, s[6:7]
	s_cbranch_execnz .LBB24_3044
.LBB24_994:
	s_or_b64 exec, exec, s[6:7]
	s_and_saveexec_b64 s[6:7], s[4:5]
	s_cbranch_execz .LBB24_996
.LBB24_995:
	v_mov_b32_e32 v2, 8
	v_and_b32_e32 v3, 7, v9
	v_lshrrev_b32_sdwa v2, v2, v9 dst_sel:BYTE_1 dst_unused:UNUSED_PAD src0_sel:DWORD src1_sel:DWORD
	v_ffbh_u32_e32 v4, v3
	v_or_b32_sdwa v2, v9, v2 dst_sel:DWORD dst_unused:UNUSED_PAD src0_sel:BYTE_0 src1_sel:DWORD
	v_min_u32_e32 v4, 32, v4
	v_lshrrev_b16_e32 v2, 3, v2
	v_subrev_u32_e32 v6, 28, v4
	v_and_b32_e32 v2, 15, v2
	v_lshlrev_b32_e32 v6, v6, v9
	v_sub_u32_e32 v4, 29, v4
	v_and_b32_e32 v6, 7, v6
	v_cmp_eq_u16_e32 vcc, 0, v2
	v_cndmask_b32_e32 v3, v3, v6, vcc
	v_cndmask_b32_e32 v2, v2, v4, vcc
	v_lshlrev_b32_e32 v4, 24, v9
	v_mov_b32_e32 v6, 0x3b800000
	v_lshlrev_b32_e32 v3, 20, v3
	v_and_b32_e32 v4, 0x80000000, v4
	v_lshl_add_u32 v2, v2, 23, v6
	v_or3_b32 v2, v4, v2, v3
.LBB24_996:
	s_or_b64 exec, exec, s[6:7]
	s_movk_i32 s4, 0x7f
	v_cmp_gt_i16_sdwa s[6:7], v5, s4 src0_sel:BYTE_0 src1_sel:DWORD
	s_mov_b64 s[4:5], 0
                                        ; implicit-def: $sgpr10
	s_and_saveexec_b64 s[8:9], s[6:7]
	s_xor_b64 s[6:7], exec, s[8:9]
	s_cbranch_execnz .LBB24_3045
; %bb.997:
	s_or_saveexec_b64 s[6:7], s[6:7]
	v_mov_b32_e32 v3, s10
	s_xor_b64 exec, exec, s[6:7]
	s_cbranch_execnz .LBB24_3048
.LBB24_998:
	s_or_b64 exec, exec, s[6:7]
	s_and_saveexec_b64 s[6:7], s[4:5]
	s_cbranch_execz .LBB24_1000
.LBB24_999:
	v_mov_b32_e32 v3, 8
	v_and_b32_e32 v4, 7, v5
	v_lshrrev_b32_sdwa v3, v3, v5 dst_sel:BYTE_1 dst_unused:UNUSED_PAD src0_sel:DWORD src1_sel:DWORD
	v_ffbh_u32_e32 v6, v4
	v_or_b32_sdwa v3, v5, v3 dst_sel:DWORD dst_unused:UNUSED_PAD src0_sel:BYTE_0 src1_sel:DWORD
	v_min_u32_e32 v6, 32, v6
	v_lshrrev_b16_e32 v3, 3, v3
	v_subrev_u32_e32 v7, 28, v6
	v_and_b32_e32 v3, 15, v3
	v_lshlrev_b32_e32 v7, v7, v5
	v_sub_u32_e32 v6, 29, v6
	v_and_b32_e32 v7, 7, v7
	v_cmp_eq_u16_e32 vcc, 0, v3
	v_cndmask_b32_e32 v4, v4, v7, vcc
	v_cndmask_b32_e32 v3, v3, v6, vcc
	v_lshlrev_b32_e32 v6, 24, v5
	v_mov_b32_e32 v7, 0x3b800000
	v_lshlrev_b32_e32 v4, 20, v4
	v_and_b32_e32 v6, 0x80000000, v6
	v_lshl_add_u32 v3, v3, 23, v7
	v_or3_b32 v3, v6, v3, v4
.LBB24_1000:
	s_or_b64 exec, exec, s[6:7]
	s_nop 0
	v_mfma_f32_16x16x4f32 a[0:3], v2, v3, a[0:3]
	v_lshrrev_b32_e32 v3, 8, v9
	s_movk_i32 s4, 0x7f
	v_cmp_gt_i16_sdwa s[6:7], v3, s4 src0_sel:BYTE_0 src1_sel:DWORD
	s_mov_b64 s[4:5], 0
                                        ; implicit-def: $sgpr10
	s_and_saveexec_b64 s[8:9], s[6:7]
	s_xor_b64 s[6:7], exec, s[8:9]
	s_cbranch_execnz .LBB24_3049
; %bb.1001:
	s_or_saveexec_b64 s[6:7], s[6:7]
	v_mov_b32_e32 v2, s10
	s_xor_b64 exec, exec, s[6:7]
	s_cbranch_execnz .LBB24_3052
.LBB24_1002:
	s_or_b64 exec, exec, s[6:7]
	s_and_saveexec_b64 s[6:7], s[4:5]
	s_cbranch_execz .LBB24_1004
.LBB24_1003:
	v_bfe_u32 v2, v9, 8, 3
	v_ffbh_u32_e32 v6, v2
	v_min_u32_e32 v6, 32, v6
	v_lshrrev_b16_e32 v4, 3, v3
	v_subrev_u32_e32 v7, 28, v6
	v_and_b32_e32 v4, 15, v4
	v_lshlrev_b32_e32 v3, v7, v3
	v_sub_u32_e32 v6, 29, v6
	v_and_b32_e32 v3, 7, v3
	v_cmp_eq_u16_e32 vcc, 0, v4
	v_cndmask_b32_e32 v2, v2, v3, vcc
	v_cndmask_b32_e32 v3, v4, v6, vcc
	v_lshlrev_b32_e32 v4, 16, v9
	v_mov_b32_e32 v6, 0x3b800000
	v_lshlrev_b32_e32 v2, 20, v2
	v_and_b32_e32 v4, 0x80000000, v4
	v_lshl_add_u32 v3, v3, 23, v6
	v_or3_b32 v2, v4, v3, v2
.LBB24_1004:
	s_or_b64 exec, exec, s[6:7]
	v_lshrrev_b32_e32 v3, 8, v5
	s_movk_i32 s4, 0x7f
	v_cmp_gt_i16_sdwa s[6:7], v3, s4 src0_sel:BYTE_0 src1_sel:DWORD
	s_mov_b64 s[4:5], 0
                                        ; implicit-def: $sgpr10
	s_and_saveexec_b64 s[8:9], s[6:7]
	s_xor_b64 s[6:7], exec, s[8:9]
	s_cbranch_execnz .LBB24_3053
; %bb.1005:
	s_or_saveexec_b64 s[6:7], s[6:7]
	v_mov_b32_e32 v4, s10
	s_xor_b64 exec, exec, s[6:7]
	s_cbranch_execnz .LBB24_3056
.LBB24_1006:
	s_or_b64 exec, exec, s[6:7]
	s_and_saveexec_b64 s[6:7], s[4:5]
	s_cbranch_execz .LBB24_1008
.LBB24_1007:
	v_bfe_u32 v4, v5, 8, 3
	v_ffbh_u32_e32 v7, v4
	v_min_u32_e32 v7, 32, v7
	v_lshrrev_b16_e32 v6, 3, v3
	v_subrev_u32_e32 v8, 28, v7
	v_and_b32_e32 v6, 15, v6
	v_lshlrev_b32_e32 v3, v8, v3
	v_sub_u32_e32 v7, 29, v7
	v_and_b32_e32 v3, 7, v3
	v_cmp_eq_u16_e32 vcc, 0, v6
	v_cndmask_b32_e32 v3, v4, v3, vcc
	v_cndmask_b32_e32 v4, v6, v7, vcc
	v_lshlrev_b32_e32 v6, 16, v5
	v_mov_b32_e32 v7, 0x3b800000
	v_lshlrev_b32_e32 v3, 20, v3
	v_and_b32_e32 v6, 0x80000000, v6
	v_lshl_add_u32 v4, v4, 23, v7
	v_or3_b32 v4, v6, v4, v3
.LBB24_1008:
	s_or_b64 exec, exec, s[6:7]
	s_nop 0
	v_mfma_f32_16x16x4f32 a[0:3], v2, v4, a[0:3]
	s_movk_i32 s4, 0xff
	v_and_b32_sdwa v3, v9, s4 dst_sel:DWORD dst_unused:UNUSED_PAD src0_sel:WORD_1 src1_sel:DWORD
	s_movk_i32 s4, 0x7f
	v_cmp_lt_i16_e32 vcc, s4, v3
	s_mov_b64 s[4:5], 0
                                        ; implicit-def: $sgpr10
	s_and_saveexec_b64 s[6:7], vcc
	s_xor_b64 s[6:7], exec, s[6:7]
	s_cbranch_execnz .LBB24_3057
; %bb.1009:
	s_or_saveexec_b64 s[6:7], s[6:7]
	v_mov_b32_e32 v2, s10
	s_xor_b64 exec, exec, s[6:7]
	s_cbranch_execnz .LBB24_3060
.LBB24_1010:
	s_or_b64 exec, exec, s[6:7]
	s_and_saveexec_b64 s[6:7], s[4:5]
	s_cbranch_execz .LBB24_1012
.LBB24_1011:
	v_bfe_u32 v2, v9, 16, 3
	v_ffbh_u32_e32 v6, v2
	v_min_u32_e32 v6, 32, v6
	v_lshrrev_b32_e32 v3, 19, v9
	v_subrev_u32_e32 v7, 28, v6
	v_and_b32_e32 v3, 15, v3
	v_lshlrev_b32_sdwa v7, v7, v9 dst_sel:DWORD dst_unused:UNUSED_PAD src0_sel:DWORD src1_sel:WORD_1
	v_bfe_u32 v4, v9, 19, 4
	v_sub_u32_e32 v6, 29, v6
	v_and_b32_e32 v7, 7, v7
	v_cmp_eq_u16_e32 vcc, 0, v3
	v_cndmask_b32_e32 v2, v2, v7, vcc
	v_cndmask_b32_e32 v3, v4, v6, vcc
	v_lshlrev_b32_e32 v4, 8, v9
	v_mov_b32_e32 v6, 0x3b800000
	v_lshlrev_b32_e32 v2, 20, v2
	v_and_b32_e32 v4, 0x80000000, v4
	v_lshl_add_u32 v3, v3, 23, v6
	v_or3_b32 v2, v4, v3, v2
.LBB24_1012:
	s_or_b64 exec, exec, s[6:7]
	s_movk_i32 s4, 0xff
	v_and_b32_sdwa v3, v5, s4 dst_sel:DWORD dst_unused:UNUSED_PAD src0_sel:WORD_1 src1_sel:DWORD
	s_movk_i32 s4, 0x7f
	v_cmp_lt_i16_e32 vcc, s4, v3
	s_mov_b64 s[4:5], 0
                                        ; implicit-def: $sgpr10
	s_and_saveexec_b64 s[6:7], vcc
	s_xor_b64 s[6:7], exec, s[6:7]
	s_cbranch_execnz .LBB24_3061
; %bb.1013:
	s_or_saveexec_b64 s[6:7], s[6:7]
	v_mov_b32_e32 v4, s10
	s_xor_b64 exec, exec, s[6:7]
	s_cbranch_execnz .LBB24_3064
.LBB24_1014:
	s_or_b64 exec, exec, s[6:7]
	s_and_saveexec_b64 s[6:7], s[4:5]
	s_cbranch_execz .LBB24_1016
.LBB24_1015:
	v_bfe_u32 v3, v5, 16, 3
	v_ffbh_u32_e32 v7, v3
	v_min_u32_e32 v7, 32, v7
	v_lshrrev_b32_e32 v4, 19, v5
	v_subrev_u32_e32 v8, 28, v7
	v_and_b32_e32 v4, 15, v4
	v_lshlrev_b32_sdwa v8, v8, v5 dst_sel:DWORD dst_unused:UNUSED_PAD src0_sel:DWORD src1_sel:WORD_1
	v_bfe_u32 v6, v5, 19, 4
	v_sub_u32_e32 v7, 29, v7
	v_and_b32_e32 v8, 7, v8
	v_cmp_eq_u16_e32 vcc, 0, v4
	v_cndmask_b32_e32 v3, v3, v8, vcc
	v_cndmask_b32_e32 v4, v6, v7, vcc
	v_lshlrev_b32_e32 v6, 8, v5
	v_mov_b32_e32 v7, 0x3b800000
	v_lshlrev_b32_e32 v3, 20, v3
	v_and_b32_e32 v6, 0x80000000, v6
	v_lshl_add_u32 v4, v4, 23, v7
	v_or3_b32 v4, v6, v4, v3
.LBB24_1016:
	s_or_b64 exec, exec, s[6:7]
	s_nop 0
	v_mfma_f32_16x16x4f32 a[0:3], v2, v4, a[0:3]
	s_movk_i32 s4, 0x7f
	v_cmp_gt_i16_sdwa s[6:7], v9, s4 src0_sel:BYTE_3 src1_sel:DWORD
	s_mov_b64 s[4:5], 0
                                        ; implicit-def: $sgpr10
	s_and_saveexec_b64 s[8:9], s[6:7]
	s_xor_b64 s[6:7], exec, s[8:9]
	s_cbranch_execnz .LBB24_3065
; %bb.1017:
	s_or_saveexec_b64 s[6:7], s[6:7]
	v_mov_b32_e32 v2, s10
	s_xor_b64 exec, exec, s[6:7]
	s_cbranch_execnz .LBB24_3068
.LBB24_1018:
	s_or_b64 exec, exec, s[6:7]
	s_and_saveexec_b64 s[6:7], s[4:5]
	s_cbranch_execz .LBB24_1020
.LBB24_1019:
	v_bfe_u32 v2, v9, 24, 3
	v_ffbh_u32_e32 v7, v2
	v_min_u32_e32 v7, 32, v7
	v_lshrrev_b32_e32 v4, 27, v9
	v_subrev_u32_e32 v8, 28, v7
	v_and_b32_e32 v4, 15, v4
	v_lshlrev_b32_sdwa v8, v8, v9 dst_sel:DWORD dst_unused:UNUSED_PAD src0_sel:DWORD src1_sel:BYTE_3
	v_bfe_u32 v6, v9, 27, 4
	v_sub_u32_e32 v7, 29, v7
	v_and_b32_e32 v8, 7, v8
	v_cmp_eq_u16_e32 vcc, 0, v4
	v_cndmask_b32_e32 v2, v2, v8, vcc
	v_cndmask_b32_e32 v4, v6, v7, vcc
	v_mov_b32_e32 v6, 0x3b800000
	v_and_b32_e32 v3, 0x80000000, v9
	v_lshlrev_b32_e32 v2, 20, v2
	v_lshl_add_u32 v4, v4, 23, v6
	v_or3_b32 v2, v3, v4, v2
.LBB24_1020:
	s_or_b64 exec, exec, s[6:7]
	s_movk_i32 s4, 0x7f
	v_cmp_gt_i16_sdwa s[6:7], v5, s4 src0_sel:BYTE_3 src1_sel:DWORD
	s_mov_b64 s[4:5], 0
                                        ; implicit-def: $sgpr10
	s_and_saveexec_b64 s[8:9], s[6:7]
	s_xor_b64 s[6:7], exec, s[8:9]
	s_cbranch_execnz .LBB24_3069
; %bb.1021:
	s_or_saveexec_b64 s[6:7], s[6:7]
	v_mov_b32_e32 v3, s10
	s_xor_b64 exec, exec, s[6:7]
	s_cbranch_execnz .LBB24_3072
.LBB24_1022:
	s_or_b64 exec, exec, s[6:7]
	s_and_saveexec_b64 s[6:7], s[4:5]
	s_cbranch_execz .LBB24_1024
.LBB24_1023:
	v_bfe_u32 v3, v5, 24, 3
	v_ffbh_u32_e32 v8, v3
	v_min_u32_e32 v8, 32, v8
	v_lshrrev_b32_e32 v6, 27, v5
	v_subrev_u32_e32 v9, 28, v8
	v_and_b32_e32 v4, 0x80000000, v5
	v_and_b32_e32 v6, 15, v6
	v_bfe_u32 v7, v5, 27, 4
	v_lshlrev_b32_sdwa v5, v9, v5 dst_sel:DWORD dst_unused:UNUSED_PAD src0_sel:DWORD src1_sel:BYTE_3
	v_sub_u32_e32 v8, 29, v8
	v_and_b32_e32 v5, 7, v5
	v_cmp_eq_u16_e32 vcc, 0, v6
	v_cndmask_b32_e32 v3, v3, v5, vcc
	v_cndmask_b32_e32 v5, v7, v8, vcc
	v_mov_b32_e32 v6, 0x3b800000
	v_lshlrev_b32_e32 v3, 20, v3
	v_lshl_add_u32 v5, v5, 23, v6
	v_or3_b32 v3, v4, v5, v3
.LBB24_1024:
	s_or_b64 exec, exec, s[6:7]
	s_nop 0
	v_mfma_f32_16x16x4f32 a[0:3], v2, v3, a[0:3]
	s_movk_i32 s4, 0x7f
                                        ; implicit-def: $sgpr10
	s_nop 7
	s_nop 1
	flat_store_dwordx4 v[18:19], a[0:3] offset:816
	flat_load_dwordx4 v[20:23], v[0:1] offset:8
	s_nop 0
	flat_load_dwordx2 v[18:19], v[0:1] offset:24
	s_waitcnt vmcnt(0) lgkmcnt(0)
	flat_load_dwordx4 v[14:17], v[20:21]
	flat_load_dwordx4 v[6:9], v[20:21] offset:16
	flat_load_dwordx4 v[10:13], v[22:23] offset:128
	;; [unrolled: 1-line block ×3, first 2 shown]
	s_waitcnt vmcnt(0) lgkmcnt(0)
	v_cmp_gt_i16_sdwa s[6:7], v14, s4 src0_sel:BYTE_0 src1_sel:DWORD
	s_mov_b64 s[4:5], 0
	s_and_saveexec_b64 s[8:9], s[6:7]
	s_xor_b64 s[6:7], exec, s[8:9]
	s_cbranch_execnz .LBB24_3073
; %bb.1025:
	s_or_saveexec_b64 s[6:7], s[6:7]
	v_mov_b32_e32 v20, s10
	s_xor_b64 exec, exec, s[6:7]
	s_cbranch_execnz .LBB24_3076
.LBB24_1026:
	s_or_b64 exec, exec, s[6:7]
	s_and_saveexec_b64 s[6:7], s[4:5]
	s_cbranch_execz .LBB24_1028
.LBB24_1027:
	v_and_b32_e32 v20, 7, v14
	v_ffbh_u32_e32 v22, v20
	v_min_u32_e32 v22, 32, v22
	v_lshrrev_b16_e32 v21, 3, v14
	v_subrev_u32_e32 v23, 28, v22
	v_and_b32_e32 v21, 15, v21
	v_lshlrev_b32_e32 v23, v23, v14
	v_sub_u32_e32 v22, 29, v22
	v_and_b32_e32 v23, 7, v23
	v_cmp_eq_u16_e32 vcc, 0, v21
	v_cndmask_b32_e32 v20, v20, v23, vcc
	v_cndmask_b32_e32 v21, v21, v22, vcc
	v_lshlrev_b32_e32 v22, 24, v14
	v_mov_b32_e32 v23, 0x3b800000
	v_lshlrev_b32_e32 v20, 20, v20
	v_and_b32_e32 v22, 0x80000000, v22
	v_lshl_add_u32 v21, v21, 23, v23
	v_or3_b32 v20, v22, v21, v20
.LBB24_1028:
	s_or_b64 exec, exec, s[6:7]
	s_movk_i32 s4, 0x7f
	v_cmp_gt_i16_sdwa s[6:7], v10, s4 src0_sel:BYTE_0 src1_sel:DWORD
	s_mov_b64 s[4:5], 0
                                        ; implicit-def: $sgpr10
	s_and_saveexec_b64 s[8:9], s[6:7]
	s_xor_b64 s[6:7], exec, s[8:9]
	s_cbranch_execnz .LBB24_3077
; %bb.1029:
	s_or_saveexec_b64 s[6:7], s[6:7]
	v_mov_b32_e32 v21, s10
	s_xor_b64 exec, exec, s[6:7]
	s_cbranch_execnz .LBB24_3080
.LBB24_1030:
	s_or_b64 exec, exec, s[6:7]
	s_and_saveexec_b64 s[6:7], s[4:5]
	s_cbranch_execz .LBB24_1032
.LBB24_1031:
	v_and_b32_e32 v21, 7, v10
	v_ffbh_u32_e32 v23, v21
	v_min_u32_e32 v23, 32, v23
	v_lshrrev_b16_e32 v22, 3, v10
	v_subrev_u32_e32 v24, 28, v23
	v_and_b32_e32 v22, 15, v22
	v_lshlrev_b32_e32 v24, v24, v10
	v_sub_u32_e32 v23, 29, v23
	v_and_b32_e32 v24, 7, v24
	v_cmp_eq_u16_e32 vcc, 0, v22
	v_cndmask_b32_e32 v21, v21, v24, vcc
	v_cndmask_b32_e32 v22, v22, v23, vcc
	v_lshlrev_b32_e32 v23, 24, v10
	v_mov_b32_e32 v24, 0x3b800000
	v_lshlrev_b32_e32 v21, 20, v21
	v_and_b32_e32 v23, 0x80000000, v23
	v_lshl_add_u32 v22, v22, 23, v24
	v_or3_b32 v21, v23, v22, v21
.LBB24_1032:
	s_or_b64 exec, exec, s[6:7]
	flat_load_dwordx4 a[0:3], v[18:19] offset:832
	s_movk_i32 s4, 0x7f
                                        ; implicit-def: $sgpr10
	s_waitcnt vmcnt(0) lgkmcnt(0)
	v_mfma_f32_16x16x4f32 a[0:3], v20, v21, a[0:3]
	v_lshrrev_b32_e32 v21, 8, v14
	v_cmp_gt_i16_sdwa s[6:7], v21, s4 src0_sel:BYTE_0 src1_sel:DWORD
	s_mov_b64 s[4:5], 0
	s_and_saveexec_b64 s[8:9], s[6:7]
	s_xor_b64 s[6:7], exec, s[8:9]
	s_cbranch_execnz .LBB24_3081
; %bb.1033:
	s_or_saveexec_b64 s[6:7], s[6:7]
	v_mov_b32_e32 v20, s10
	s_xor_b64 exec, exec, s[6:7]
	s_cbranch_execnz .LBB24_3084
.LBB24_1034:
	s_or_b64 exec, exec, s[6:7]
	s_and_saveexec_b64 s[6:7], s[4:5]
	s_cbranch_execz .LBB24_1036
.LBB24_1035:
	v_bfe_u32 v20, v14, 8, 3
	v_ffbh_u32_e32 v23, v20
	v_min_u32_e32 v23, 32, v23
	v_lshrrev_b16_e32 v22, 3, v21
	v_subrev_u32_e32 v24, 28, v23
	v_and_b32_e32 v22, 15, v22
	v_lshlrev_b32_e32 v21, v24, v21
	v_sub_u32_e32 v23, 29, v23
	v_and_b32_e32 v21, 7, v21
	v_cmp_eq_u16_e32 vcc, 0, v22
	v_cndmask_b32_e32 v20, v20, v21, vcc
	v_cndmask_b32_e32 v21, v22, v23, vcc
	v_lshlrev_b32_e32 v22, 16, v14
	v_mov_b32_e32 v23, 0x3b800000
	v_lshlrev_b32_e32 v20, 20, v20
	v_and_b32_e32 v22, 0x80000000, v22
	v_lshl_add_u32 v21, v21, 23, v23
	v_or3_b32 v20, v22, v21, v20
.LBB24_1036:
	s_or_b64 exec, exec, s[6:7]
	v_lshrrev_b32_e32 v21, 8, v10
	s_movk_i32 s4, 0x7f
	v_cmp_gt_i16_sdwa s[6:7], v21, s4 src0_sel:BYTE_0 src1_sel:DWORD
	s_mov_b64 s[4:5], 0
                                        ; implicit-def: $sgpr10
	s_and_saveexec_b64 s[8:9], s[6:7]
	s_xor_b64 s[6:7], exec, s[8:9]
	s_cbranch_execnz .LBB24_3085
; %bb.1037:
	s_or_saveexec_b64 s[6:7], s[6:7]
	v_mov_b32_e32 v22, s10
	s_xor_b64 exec, exec, s[6:7]
	s_cbranch_execnz .LBB24_3088
.LBB24_1038:
	s_or_b64 exec, exec, s[6:7]
	s_and_saveexec_b64 s[6:7], s[4:5]
	s_cbranch_execz .LBB24_1040
.LBB24_1039:
	v_bfe_u32 v22, v10, 8, 3
	v_ffbh_u32_e32 v24, v22
	v_min_u32_e32 v24, 32, v24
	v_lshrrev_b16_e32 v23, 3, v21
	v_subrev_u32_e32 v25, 28, v24
	v_and_b32_e32 v23, 15, v23
	v_lshlrev_b32_e32 v21, v25, v21
	v_sub_u32_e32 v24, 29, v24
	v_and_b32_e32 v21, 7, v21
	v_cmp_eq_u16_e32 vcc, 0, v23
	v_cndmask_b32_e32 v21, v22, v21, vcc
	v_cndmask_b32_e32 v22, v23, v24, vcc
	v_lshlrev_b32_e32 v23, 16, v10
	v_mov_b32_e32 v24, 0x3b800000
	v_lshlrev_b32_e32 v21, 20, v21
	v_and_b32_e32 v23, 0x80000000, v23
	v_lshl_add_u32 v22, v22, 23, v24
	v_or3_b32 v22, v23, v22, v21
.LBB24_1040:
	s_or_b64 exec, exec, s[6:7]
	s_nop 0
	v_mfma_f32_16x16x4f32 a[0:3], v20, v22, a[0:3]
	s_movk_i32 s4, 0xff
	v_and_b32_sdwa v21, v14, s4 dst_sel:DWORD dst_unused:UNUSED_PAD src0_sel:WORD_1 src1_sel:DWORD
	s_movk_i32 s4, 0x7f
	v_cmp_lt_i16_e32 vcc, s4, v21
	s_mov_b64 s[4:5], 0
                                        ; implicit-def: $sgpr10
	s_and_saveexec_b64 s[6:7], vcc
	s_xor_b64 s[6:7], exec, s[6:7]
	s_cbranch_execnz .LBB24_3089
; %bb.1041:
	s_or_saveexec_b64 s[6:7], s[6:7]
	v_mov_b32_e32 v20, s10
	s_xor_b64 exec, exec, s[6:7]
	s_cbranch_execnz .LBB24_3092
.LBB24_1042:
	s_or_b64 exec, exec, s[6:7]
	s_and_saveexec_b64 s[6:7], s[4:5]
	s_cbranch_execz .LBB24_1044
.LBB24_1043:
	v_bfe_u32 v20, v14, 16, 3
	v_ffbh_u32_e32 v23, v20
	v_min_u32_e32 v23, 32, v23
	v_lshrrev_b32_e32 v21, 19, v14
	v_subrev_u32_e32 v24, 28, v23
	v_and_b32_e32 v21, 15, v21
	v_lshlrev_b32_sdwa v24, v24, v14 dst_sel:DWORD dst_unused:UNUSED_PAD src0_sel:DWORD src1_sel:WORD_1
	v_bfe_u32 v22, v14, 19, 4
	v_sub_u32_e32 v23, 29, v23
	v_and_b32_e32 v24, 7, v24
	v_cmp_eq_u16_e32 vcc, 0, v21
	v_cndmask_b32_e32 v20, v20, v24, vcc
	v_cndmask_b32_e32 v21, v22, v23, vcc
	v_lshlrev_b32_e32 v22, 8, v14
	v_mov_b32_e32 v23, 0x3b800000
	v_lshlrev_b32_e32 v20, 20, v20
	v_and_b32_e32 v22, 0x80000000, v22
	v_lshl_add_u32 v21, v21, 23, v23
	v_or3_b32 v20, v22, v21, v20
.LBB24_1044:
	s_or_b64 exec, exec, s[6:7]
	s_movk_i32 s4, 0xff
	v_and_b32_sdwa v21, v10, s4 dst_sel:DWORD dst_unused:UNUSED_PAD src0_sel:WORD_1 src1_sel:DWORD
	s_movk_i32 s4, 0x7f
	v_cmp_lt_i16_e32 vcc, s4, v21
	s_mov_b64 s[4:5], 0
                                        ; implicit-def: $sgpr10
	s_and_saveexec_b64 s[6:7], vcc
	s_xor_b64 s[6:7], exec, s[6:7]
	s_cbranch_execnz .LBB24_3093
; %bb.1045:
	s_or_saveexec_b64 s[6:7], s[6:7]
	v_mov_b32_e32 v22, s10
	s_xor_b64 exec, exec, s[6:7]
	s_cbranch_execnz .LBB24_3096
.LBB24_1046:
	s_or_b64 exec, exec, s[6:7]
	s_and_saveexec_b64 s[6:7], s[4:5]
	s_cbranch_execz .LBB24_1048
.LBB24_1047:
	v_bfe_u32 v21, v10, 16, 3
	v_ffbh_u32_e32 v24, v21
	v_min_u32_e32 v24, 32, v24
	v_lshrrev_b32_e32 v22, 19, v10
	v_subrev_u32_e32 v25, 28, v24
	v_and_b32_e32 v22, 15, v22
	v_lshlrev_b32_sdwa v25, v25, v10 dst_sel:DWORD dst_unused:UNUSED_PAD src0_sel:DWORD src1_sel:WORD_1
	v_bfe_u32 v23, v10, 19, 4
	v_sub_u32_e32 v24, 29, v24
	v_and_b32_e32 v25, 7, v25
	v_cmp_eq_u16_e32 vcc, 0, v22
	v_cndmask_b32_e32 v21, v21, v25, vcc
	v_cndmask_b32_e32 v22, v23, v24, vcc
	v_lshlrev_b32_e32 v23, 8, v10
	v_mov_b32_e32 v24, 0x3b800000
	v_lshlrev_b32_e32 v21, 20, v21
	v_and_b32_e32 v23, 0x80000000, v23
	v_lshl_add_u32 v22, v22, 23, v24
	v_or3_b32 v22, v23, v22, v21
.LBB24_1048:
	s_or_b64 exec, exec, s[6:7]
	s_nop 0
	v_mfma_f32_16x16x4f32 a[0:3], v20, v22, a[0:3]
	s_movk_i32 s4, 0x7f
	v_cmp_gt_i16_sdwa s[6:7], v14, s4 src0_sel:BYTE_3 src1_sel:DWORD
	s_mov_b64 s[4:5], 0
                                        ; implicit-def: $sgpr10
	s_and_saveexec_b64 s[8:9], s[6:7]
	s_xor_b64 s[6:7], exec, s[8:9]
	s_cbranch_execnz .LBB24_3097
; %bb.1049:
	s_or_saveexec_b64 s[6:7], s[6:7]
	v_mov_b32_e32 v20, s10
	s_xor_b64 exec, exec, s[6:7]
	s_cbranch_execnz .LBB24_3100
.LBB24_1050:
	s_or_b64 exec, exec, s[6:7]
	s_and_saveexec_b64 s[6:7], s[4:5]
	s_cbranch_execz .LBB24_1052
.LBB24_1051:
	v_bfe_u32 v20, v14, 24, 3
	v_ffbh_u32_e32 v24, v20
	v_min_u32_e32 v24, 32, v24
	v_lshrrev_b32_e32 v22, 27, v14
	v_subrev_u32_e32 v25, 28, v24
	v_and_b32_e32 v21, 0x80000000, v14
	v_and_b32_e32 v22, 15, v22
	v_bfe_u32 v23, v14, 27, 4
	v_lshlrev_b32_sdwa v14, v25, v14 dst_sel:DWORD dst_unused:UNUSED_PAD src0_sel:DWORD src1_sel:BYTE_3
	v_sub_u32_e32 v24, 29, v24
	v_and_b32_e32 v14, 7, v14
	v_cmp_eq_u16_e32 vcc, 0, v22
	v_cndmask_b32_e32 v14, v20, v14, vcc
	v_cndmask_b32_e32 v20, v23, v24, vcc
	v_mov_b32_e32 v22, 0x3b800000
	v_lshlrev_b32_e32 v14, 20, v14
	v_lshl_add_u32 v20, v20, 23, v22
	v_or3_b32 v20, v21, v20, v14
.LBB24_1052:
	s_or_b64 exec, exec, s[6:7]
	s_movk_i32 s4, 0x7f
	v_cmp_gt_i16_sdwa s[6:7], v10, s4 src0_sel:BYTE_3 src1_sel:DWORD
	s_mov_b64 s[4:5], 0
                                        ; implicit-def: $sgpr10
	s_and_saveexec_b64 s[8:9], s[6:7]
	s_xor_b64 s[6:7], exec, s[8:9]
	s_cbranch_execnz .LBB24_3101
; %bb.1053:
	s_or_saveexec_b64 s[6:7], s[6:7]
	v_mov_b32_e32 v14, s10
	s_xor_b64 exec, exec, s[6:7]
	s_cbranch_execnz .LBB24_3104
.LBB24_1054:
	s_or_b64 exec, exec, s[6:7]
	s_and_saveexec_b64 s[6:7], s[4:5]
	s_cbranch_execz .LBB24_1056
.LBB24_1055:
	v_bfe_u32 v14, v10, 24, 3
	v_ffbh_u32_e32 v24, v14
	v_min_u32_e32 v24, 32, v24
	v_lshrrev_b32_e32 v22, 27, v10
	v_subrev_u32_e32 v25, 28, v24
	v_and_b32_e32 v21, 0x80000000, v10
	v_and_b32_e32 v22, 15, v22
	v_bfe_u32 v23, v10, 27, 4
	v_lshlrev_b32_sdwa v10, v25, v10 dst_sel:DWORD dst_unused:UNUSED_PAD src0_sel:DWORD src1_sel:BYTE_3
	v_sub_u32_e32 v24, 29, v24
	v_and_b32_e32 v10, 7, v10
	v_cmp_eq_u16_e32 vcc, 0, v22
	v_cndmask_b32_e32 v10, v14, v10, vcc
	v_cndmask_b32_e32 v14, v23, v24, vcc
	v_mov_b32_e32 v22, 0x3b800000
	v_lshlrev_b32_e32 v10, 20, v10
	v_lshl_add_u32 v14, v14, 23, v22
	v_or3_b32 v14, v21, v14, v10
.LBB24_1056:
	s_or_b64 exec, exec, s[6:7]
	s_nop 0
	v_mfma_f32_16x16x4f32 a[0:3], v20, v14, a[0:3]
	s_movk_i32 s4, 0x7f
	v_cmp_gt_i16_sdwa s[6:7], v15, s4 src0_sel:BYTE_0 src1_sel:DWORD
	s_mov_b64 s[4:5], 0
                                        ; implicit-def: $sgpr10
	s_and_saveexec_b64 s[8:9], s[6:7]
	s_xor_b64 s[6:7], exec, s[8:9]
	s_cbranch_execnz .LBB24_3105
; %bb.1057:
	s_or_saveexec_b64 s[6:7], s[6:7]
	v_mov_b32_e32 v10, s10
	s_xor_b64 exec, exec, s[6:7]
	s_cbranch_execnz .LBB24_3108
.LBB24_1058:
	s_or_b64 exec, exec, s[6:7]
	s_and_saveexec_b64 s[6:7], s[4:5]
	s_cbranch_execz .LBB24_1060
.LBB24_1059:
	v_and_b32_e32 v10, 7, v15
	v_ffbh_u32_e32 v20, v10
	v_min_u32_e32 v20, 32, v20
	v_lshrrev_b16_e32 v14, 3, v15
	v_subrev_u32_e32 v21, 28, v20
	v_and_b32_e32 v14, 15, v14
	v_lshlrev_b32_e32 v21, v21, v15
	v_sub_u32_e32 v20, 29, v20
	v_and_b32_e32 v21, 7, v21
	v_cmp_eq_u16_e32 vcc, 0, v14
	v_cndmask_b32_e32 v10, v10, v21, vcc
	v_cndmask_b32_e32 v14, v14, v20, vcc
	v_lshlrev_b32_e32 v20, 24, v15
	v_mov_b32_e32 v21, 0x3b800000
	v_lshlrev_b32_e32 v10, 20, v10
	v_and_b32_e32 v20, 0x80000000, v20
	v_lshl_add_u32 v14, v14, 23, v21
	v_or3_b32 v10, v20, v14, v10
.LBB24_1060:
	s_or_b64 exec, exec, s[6:7]
	s_movk_i32 s4, 0x7f
	v_cmp_gt_i16_sdwa s[6:7], v11, s4 src0_sel:BYTE_0 src1_sel:DWORD
	s_mov_b64 s[4:5], 0
                                        ; implicit-def: $sgpr10
	s_and_saveexec_b64 s[8:9], s[6:7]
	s_xor_b64 s[6:7], exec, s[8:9]
	s_cbranch_execnz .LBB24_3109
; %bb.1061:
	s_or_saveexec_b64 s[6:7], s[6:7]
	v_mov_b32_e32 v14, s10
	s_xor_b64 exec, exec, s[6:7]
	s_cbranch_execnz .LBB24_3112
.LBB24_1062:
	s_or_b64 exec, exec, s[6:7]
	s_and_saveexec_b64 s[6:7], s[4:5]
	s_cbranch_execz .LBB24_1064
.LBB24_1063:
	v_and_b32_e32 v14, 7, v11
	v_ffbh_u32_e32 v21, v14
	v_min_u32_e32 v21, 32, v21
	v_lshrrev_b16_e32 v20, 3, v11
	v_subrev_u32_e32 v22, 28, v21
	v_and_b32_e32 v20, 15, v20
	v_lshlrev_b32_e32 v22, v22, v11
	v_sub_u32_e32 v21, 29, v21
	v_and_b32_e32 v22, 7, v22
	v_cmp_eq_u16_e32 vcc, 0, v20
	v_cndmask_b32_e32 v14, v14, v22, vcc
	v_cndmask_b32_e32 v20, v20, v21, vcc
	v_lshlrev_b32_e32 v21, 24, v11
	v_mov_b32_e32 v22, 0x3b800000
	v_lshlrev_b32_e32 v14, 20, v14
	v_and_b32_e32 v21, 0x80000000, v21
	v_lshl_add_u32 v20, v20, 23, v22
	v_or3_b32 v14, v21, v20, v14
.LBB24_1064:
	s_or_b64 exec, exec, s[6:7]
	s_nop 0
	v_mfma_f32_16x16x4f32 a[0:3], v10, v14, a[0:3]
	v_lshrrev_b32_e32 v14, 8, v15
	s_movk_i32 s4, 0x7f
	v_cmp_gt_i16_sdwa s[6:7], v14, s4 src0_sel:BYTE_0 src1_sel:DWORD
	s_mov_b64 s[4:5], 0
                                        ; implicit-def: $sgpr10
	s_and_saveexec_b64 s[8:9], s[6:7]
	s_xor_b64 s[6:7], exec, s[8:9]
	s_cbranch_execnz .LBB24_3113
; %bb.1065:
	s_or_saveexec_b64 s[6:7], s[6:7]
	v_mov_b32_e32 v10, s10
	s_xor_b64 exec, exec, s[6:7]
	s_cbranch_execnz .LBB24_3116
.LBB24_1066:
	s_or_b64 exec, exec, s[6:7]
	s_and_saveexec_b64 s[6:7], s[4:5]
	s_cbranch_execz .LBB24_1068
.LBB24_1067:
	v_bfe_u32 v10, v15, 8, 3
	v_ffbh_u32_e32 v21, v10
	v_min_u32_e32 v21, 32, v21
	v_lshrrev_b16_e32 v20, 3, v14
	v_subrev_u32_e32 v22, 28, v21
	v_and_b32_e32 v20, 15, v20
	v_lshlrev_b32_e32 v14, v22, v14
	v_sub_u32_e32 v21, 29, v21
	v_and_b32_e32 v14, 7, v14
	v_cmp_eq_u16_e32 vcc, 0, v20
	v_cndmask_b32_e32 v10, v10, v14, vcc
	v_cndmask_b32_e32 v14, v20, v21, vcc
	v_lshlrev_b32_e32 v20, 16, v15
	v_mov_b32_e32 v21, 0x3b800000
	v_lshlrev_b32_e32 v10, 20, v10
	v_and_b32_e32 v20, 0x80000000, v20
	v_lshl_add_u32 v14, v14, 23, v21
	v_or3_b32 v10, v20, v14, v10
.LBB24_1068:
	s_or_b64 exec, exec, s[6:7]
	v_lshrrev_b32_e32 v14, 8, v11
	s_movk_i32 s4, 0x7f
	v_cmp_gt_i16_sdwa s[6:7], v14, s4 src0_sel:BYTE_0 src1_sel:DWORD
	s_mov_b64 s[4:5], 0
                                        ; implicit-def: $sgpr10
	s_and_saveexec_b64 s[8:9], s[6:7]
	s_xor_b64 s[6:7], exec, s[8:9]
	s_cbranch_execnz .LBB24_3117
; %bb.1069:
	s_or_saveexec_b64 s[6:7], s[6:7]
	v_mov_b32_e32 v20, s10
	s_xor_b64 exec, exec, s[6:7]
	s_cbranch_execnz .LBB24_3120
.LBB24_1070:
	s_or_b64 exec, exec, s[6:7]
	s_and_saveexec_b64 s[6:7], s[4:5]
	s_cbranch_execz .LBB24_1072
.LBB24_1071:
	v_bfe_u32 v20, v11, 8, 3
	v_ffbh_u32_e32 v22, v20
	v_min_u32_e32 v22, 32, v22
	v_lshrrev_b16_e32 v21, 3, v14
	v_subrev_u32_e32 v23, 28, v22
	v_and_b32_e32 v21, 15, v21
	v_lshlrev_b32_e32 v14, v23, v14
	v_sub_u32_e32 v22, 29, v22
	v_and_b32_e32 v14, 7, v14
	v_cmp_eq_u16_e32 vcc, 0, v21
	v_cndmask_b32_e32 v14, v20, v14, vcc
	v_cndmask_b32_e32 v20, v21, v22, vcc
	v_lshlrev_b32_e32 v21, 16, v11
	v_mov_b32_e32 v22, 0x3b800000
	v_lshlrev_b32_e32 v14, 20, v14
	v_and_b32_e32 v21, 0x80000000, v21
	v_lshl_add_u32 v20, v20, 23, v22
	v_or3_b32 v20, v21, v20, v14
.LBB24_1072:
	s_or_b64 exec, exec, s[6:7]
	s_nop 0
	v_mfma_f32_16x16x4f32 a[0:3], v10, v20, a[0:3]
	s_movk_i32 s4, 0xff
	v_and_b32_sdwa v14, v15, s4 dst_sel:DWORD dst_unused:UNUSED_PAD src0_sel:WORD_1 src1_sel:DWORD
	s_movk_i32 s4, 0x7f
	v_cmp_lt_i16_e32 vcc, s4, v14
	s_mov_b64 s[4:5], 0
                                        ; implicit-def: $sgpr10
	s_and_saveexec_b64 s[6:7], vcc
	s_xor_b64 s[6:7], exec, s[6:7]
	s_cbranch_execnz .LBB24_3121
; %bb.1073:
	s_or_saveexec_b64 s[6:7], s[6:7]
	v_mov_b32_e32 v10, s10
	s_xor_b64 exec, exec, s[6:7]
	s_cbranch_execnz .LBB24_3124
.LBB24_1074:
	s_or_b64 exec, exec, s[6:7]
	s_and_saveexec_b64 s[6:7], s[4:5]
	s_cbranch_execz .LBB24_1076
.LBB24_1075:
	v_bfe_u32 v10, v15, 16, 3
	v_ffbh_u32_e32 v21, v10
	v_min_u32_e32 v21, 32, v21
	v_lshrrev_b32_e32 v14, 19, v15
	v_subrev_u32_e32 v22, 28, v21
	v_and_b32_e32 v14, 15, v14
	v_lshlrev_b32_sdwa v22, v22, v15 dst_sel:DWORD dst_unused:UNUSED_PAD src0_sel:DWORD src1_sel:WORD_1
	v_bfe_u32 v20, v15, 19, 4
	v_sub_u32_e32 v21, 29, v21
	v_and_b32_e32 v22, 7, v22
	v_cmp_eq_u16_e32 vcc, 0, v14
	v_cndmask_b32_e32 v10, v10, v22, vcc
	v_cndmask_b32_e32 v14, v20, v21, vcc
	v_lshlrev_b32_e32 v20, 8, v15
	v_mov_b32_e32 v21, 0x3b800000
	v_lshlrev_b32_e32 v10, 20, v10
	v_and_b32_e32 v20, 0x80000000, v20
	v_lshl_add_u32 v14, v14, 23, v21
	v_or3_b32 v10, v20, v14, v10
.LBB24_1076:
	s_or_b64 exec, exec, s[6:7]
	s_movk_i32 s4, 0xff
	v_and_b32_sdwa v14, v11, s4 dst_sel:DWORD dst_unused:UNUSED_PAD src0_sel:WORD_1 src1_sel:DWORD
	s_movk_i32 s4, 0x7f
	v_cmp_lt_i16_e32 vcc, s4, v14
	s_mov_b64 s[4:5], 0
                                        ; implicit-def: $sgpr10
	s_and_saveexec_b64 s[6:7], vcc
	s_xor_b64 s[6:7], exec, s[6:7]
	s_cbranch_execnz .LBB24_3125
; %bb.1077:
	s_or_saveexec_b64 s[6:7], s[6:7]
	v_mov_b32_e32 v20, s10
	s_xor_b64 exec, exec, s[6:7]
	s_cbranch_execnz .LBB24_3128
.LBB24_1078:
	s_or_b64 exec, exec, s[6:7]
	s_and_saveexec_b64 s[6:7], s[4:5]
	s_cbranch_execz .LBB24_1080
.LBB24_1079:
	v_bfe_u32 v14, v11, 16, 3
	v_ffbh_u32_e32 v22, v14
	v_min_u32_e32 v22, 32, v22
	v_lshrrev_b32_e32 v20, 19, v11
	v_subrev_u32_e32 v23, 28, v22
	v_and_b32_e32 v20, 15, v20
	v_lshlrev_b32_sdwa v23, v23, v11 dst_sel:DWORD dst_unused:UNUSED_PAD src0_sel:DWORD src1_sel:WORD_1
	v_bfe_u32 v21, v11, 19, 4
	v_sub_u32_e32 v22, 29, v22
	v_and_b32_e32 v23, 7, v23
	v_cmp_eq_u16_e32 vcc, 0, v20
	v_cndmask_b32_e32 v14, v14, v23, vcc
	v_cndmask_b32_e32 v20, v21, v22, vcc
	v_lshlrev_b32_e32 v21, 8, v11
	v_mov_b32_e32 v22, 0x3b800000
	v_lshlrev_b32_e32 v14, 20, v14
	v_and_b32_e32 v21, 0x80000000, v21
	v_lshl_add_u32 v20, v20, 23, v22
	v_or3_b32 v20, v21, v20, v14
.LBB24_1080:
	s_or_b64 exec, exec, s[6:7]
	s_nop 0
	v_mfma_f32_16x16x4f32 a[0:3], v10, v20, a[0:3]
	s_movk_i32 s4, 0x7f
	v_cmp_gt_i16_sdwa s[6:7], v15, s4 src0_sel:BYTE_3 src1_sel:DWORD
	s_mov_b64 s[4:5], 0
                                        ; implicit-def: $sgpr10
	s_and_saveexec_b64 s[8:9], s[6:7]
	s_xor_b64 s[6:7], exec, s[8:9]
	s_cbranch_execnz .LBB24_3129
; %bb.1081:
	s_or_saveexec_b64 s[6:7], s[6:7]
	v_mov_b32_e32 v10, s10
	s_xor_b64 exec, exec, s[6:7]
	s_cbranch_execnz .LBB24_3132
.LBB24_1082:
	s_or_b64 exec, exec, s[6:7]
	s_and_saveexec_b64 s[6:7], s[4:5]
	s_cbranch_execz .LBB24_1084
.LBB24_1083:
	v_bfe_u32 v10, v15, 24, 3
	v_ffbh_u32_e32 v22, v10
	v_min_u32_e32 v22, 32, v22
	v_lshrrev_b32_e32 v20, 27, v15
	v_subrev_u32_e32 v23, 28, v22
	v_and_b32_e32 v14, 0x80000000, v15
	v_and_b32_e32 v20, 15, v20
	v_bfe_u32 v21, v15, 27, 4
	v_lshlrev_b32_sdwa v15, v23, v15 dst_sel:DWORD dst_unused:UNUSED_PAD src0_sel:DWORD src1_sel:BYTE_3
	v_sub_u32_e32 v22, 29, v22
	v_and_b32_e32 v15, 7, v15
	v_cmp_eq_u16_e32 vcc, 0, v20
	v_cndmask_b32_e32 v10, v10, v15, vcc
	v_cndmask_b32_e32 v15, v21, v22, vcc
	v_mov_b32_e32 v20, 0x3b800000
	v_lshlrev_b32_e32 v10, 20, v10
	v_lshl_add_u32 v15, v15, 23, v20
	v_or3_b32 v10, v14, v15, v10
.LBB24_1084:
	s_or_b64 exec, exec, s[6:7]
	s_movk_i32 s4, 0x7f
	v_cmp_gt_i16_sdwa s[6:7], v11, s4 src0_sel:BYTE_3 src1_sel:DWORD
	s_mov_b64 s[4:5], 0
                                        ; implicit-def: $sgpr10
	s_and_saveexec_b64 s[8:9], s[6:7]
	s_xor_b64 s[6:7], exec, s[8:9]
	s_cbranch_execnz .LBB24_3133
; %bb.1085:
	s_or_saveexec_b64 s[6:7], s[6:7]
	v_mov_b32_e32 v14, s10
	s_xor_b64 exec, exec, s[6:7]
	s_cbranch_execnz .LBB24_3136
.LBB24_1086:
	s_or_b64 exec, exec, s[6:7]
	s_and_saveexec_b64 s[6:7], s[4:5]
	s_cbranch_execz .LBB24_1088
.LBB24_1087:
	v_bfe_u32 v14, v11, 24, 3
	v_ffbh_u32_e32 v22, v14
	v_min_u32_e32 v22, 32, v22
	v_lshrrev_b32_e32 v20, 27, v11
	v_subrev_u32_e32 v23, 28, v22
	v_and_b32_e32 v15, 0x80000000, v11
	v_and_b32_e32 v20, 15, v20
	v_bfe_u32 v21, v11, 27, 4
	v_lshlrev_b32_sdwa v11, v23, v11 dst_sel:DWORD dst_unused:UNUSED_PAD src0_sel:DWORD src1_sel:BYTE_3
	v_sub_u32_e32 v22, 29, v22
	v_and_b32_e32 v11, 7, v11
	v_cmp_eq_u16_e32 vcc, 0, v20
	v_cndmask_b32_e32 v11, v14, v11, vcc
	v_cndmask_b32_e32 v14, v21, v22, vcc
	v_mov_b32_e32 v20, 0x3b800000
	v_lshlrev_b32_e32 v11, 20, v11
	v_lshl_add_u32 v14, v14, 23, v20
	v_or3_b32 v14, v15, v14, v11
.LBB24_1088:
	s_or_b64 exec, exec, s[6:7]
	s_nop 0
	v_mfma_f32_16x16x4f32 a[0:3], v10, v14, a[0:3]
	s_movk_i32 s4, 0x7f
	v_cmp_gt_i16_sdwa s[6:7], v16, s4 src0_sel:BYTE_0 src1_sel:DWORD
	s_mov_b64 s[4:5], 0
                                        ; implicit-def: $sgpr10
	s_and_saveexec_b64 s[8:9], s[6:7]
	s_xor_b64 s[6:7], exec, s[8:9]
	s_cbranch_execnz .LBB24_3137
; %bb.1089:
	s_or_saveexec_b64 s[6:7], s[6:7]
	v_mov_b32_e32 v10, s10
	s_xor_b64 exec, exec, s[6:7]
	s_cbranch_execnz .LBB24_3140
.LBB24_1090:
	s_or_b64 exec, exec, s[6:7]
	s_and_saveexec_b64 s[6:7], s[4:5]
	s_cbranch_execz .LBB24_1092
.LBB24_1091:
	v_and_b32_e32 v10, 7, v16
	v_ffbh_u32_e32 v14, v10
	v_min_u32_e32 v14, 32, v14
	v_lshrrev_b16_e32 v11, 3, v16
	v_subrev_u32_e32 v15, 28, v14
	v_and_b32_e32 v11, 15, v11
	v_lshlrev_b32_e32 v15, v15, v16
	v_sub_u32_e32 v14, 29, v14
	v_and_b32_e32 v15, 7, v15
	v_cmp_eq_u16_e32 vcc, 0, v11
	v_cndmask_b32_e32 v10, v10, v15, vcc
	v_cndmask_b32_e32 v11, v11, v14, vcc
	v_lshlrev_b32_e32 v14, 24, v16
	v_mov_b32_e32 v15, 0x3b800000
	v_lshlrev_b32_e32 v10, 20, v10
	v_and_b32_e32 v14, 0x80000000, v14
	v_lshl_add_u32 v11, v11, 23, v15
	v_or3_b32 v10, v14, v11, v10
.LBB24_1092:
	s_or_b64 exec, exec, s[6:7]
	s_movk_i32 s4, 0x7f
	v_cmp_gt_i16_sdwa s[6:7], v12, s4 src0_sel:BYTE_0 src1_sel:DWORD
	s_mov_b64 s[4:5], 0
                                        ; implicit-def: $sgpr10
	s_and_saveexec_b64 s[8:9], s[6:7]
	s_xor_b64 s[6:7], exec, s[8:9]
	s_cbranch_execnz .LBB24_3141
; %bb.1093:
	s_or_saveexec_b64 s[6:7], s[6:7]
	v_mov_b32_e32 v11, s10
	s_xor_b64 exec, exec, s[6:7]
	s_cbranch_execnz .LBB24_3144
.LBB24_1094:
	s_or_b64 exec, exec, s[6:7]
	s_and_saveexec_b64 s[6:7], s[4:5]
	s_cbranch_execz .LBB24_1096
.LBB24_1095:
	v_and_b32_e32 v11, 7, v12
	v_ffbh_u32_e32 v15, v11
	v_min_u32_e32 v15, 32, v15
	v_lshrrev_b16_e32 v14, 3, v12
	v_subrev_u32_e32 v20, 28, v15
	v_and_b32_e32 v14, 15, v14
	v_lshlrev_b32_e32 v20, v20, v12
	v_sub_u32_e32 v15, 29, v15
	v_and_b32_e32 v20, 7, v20
	v_cmp_eq_u16_e32 vcc, 0, v14
	v_cndmask_b32_e32 v11, v11, v20, vcc
	v_cndmask_b32_e32 v14, v14, v15, vcc
	v_lshlrev_b32_e32 v15, 24, v12
	v_mov_b32_e32 v20, 0x3b800000
	v_lshlrev_b32_e32 v11, 20, v11
	v_and_b32_e32 v15, 0x80000000, v15
	v_lshl_add_u32 v14, v14, 23, v20
	v_or3_b32 v11, v15, v14, v11
.LBB24_1096:
	s_or_b64 exec, exec, s[6:7]
	s_nop 0
	v_mfma_f32_16x16x4f32 a[0:3], v10, v11, a[0:3]
	v_lshrrev_b32_e32 v11, 8, v16
	s_movk_i32 s4, 0x7f
	v_cmp_gt_i16_sdwa s[6:7], v11, s4 src0_sel:BYTE_0 src1_sel:DWORD
	s_mov_b64 s[4:5], 0
                                        ; implicit-def: $sgpr10
	s_and_saveexec_b64 s[8:9], s[6:7]
	s_xor_b64 s[6:7], exec, s[8:9]
	s_cbranch_execnz .LBB24_3145
; %bb.1097:
	s_or_saveexec_b64 s[6:7], s[6:7]
	v_mov_b32_e32 v10, s10
	s_xor_b64 exec, exec, s[6:7]
	s_cbranch_execnz .LBB24_3148
.LBB24_1098:
	s_or_b64 exec, exec, s[6:7]
	s_and_saveexec_b64 s[6:7], s[4:5]
	s_cbranch_execz .LBB24_1100
.LBB24_1099:
	v_bfe_u32 v10, v16, 8, 3
	v_ffbh_u32_e32 v15, v10
	v_min_u32_e32 v15, 32, v15
	v_lshrrev_b16_e32 v14, 3, v11
	v_subrev_u32_e32 v20, 28, v15
	v_and_b32_e32 v14, 15, v14
	v_lshlrev_b32_e32 v11, v20, v11
	v_sub_u32_e32 v15, 29, v15
	v_and_b32_e32 v11, 7, v11
	v_cmp_eq_u16_e32 vcc, 0, v14
	v_cndmask_b32_e32 v10, v10, v11, vcc
	v_cndmask_b32_e32 v11, v14, v15, vcc
	v_lshlrev_b32_e32 v14, 16, v16
	v_mov_b32_e32 v15, 0x3b800000
	v_lshlrev_b32_e32 v10, 20, v10
	v_and_b32_e32 v14, 0x80000000, v14
	v_lshl_add_u32 v11, v11, 23, v15
	v_or3_b32 v10, v14, v11, v10
.LBB24_1100:
	s_or_b64 exec, exec, s[6:7]
	v_lshrrev_b32_e32 v11, 8, v12
	s_movk_i32 s4, 0x7f
	v_cmp_gt_i16_sdwa s[6:7], v11, s4 src0_sel:BYTE_0 src1_sel:DWORD
	s_mov_b64 s[4:5], 0
                                        ; implicit-def: $sgpr10
	s_and_saveexec_b64 s[8:9], s[6:7]
	s_xor_b64 s[6:7], exec, s[8:9]
	s_cbranch_execnz .LBB24_3149
; %bb.1101:
	s_or_saveexec_b64 s[6:7], s[6:7]
	v_mov_b32_e32 v14, s10
	s_xor_b64 exec, exec, s[6:7]
	s_cbranch_execnz .LBB24_3152
.LBB24_1102:
	s_or_b64 exec, exec, s[6:7]
	s_and_saveexec_b64 s[6:7], s[4:5]
	s_cbranch_execz .LBB24_1104
.LBB24_1103:
	v_bfe_u32 v14, v12, 8, 3
	v_ffbh_u32_e32 v20, v14
	v_min_u32_e32 v20, 32, v20
	v_lshrrev_b16_e32 v15, 3, v11
	v_subrev_u32_e32 v21, 28, v20
	v_and_b32_e32 v15, 15, v15
	v_lshlrev_b32_e32 v11, v21, v11
	v_sub_u32_e32 v20, 29, v20
	v_and_b32_e32 v11, 7, v11
	v_cmp_eq_u16_e32 vcc, 0, v15
	v_cndmask_b32_e32 v11, v14, v11, vcc
	v_cndmask_b32_e32 v14, v15, v20, vcc
	v_lshlrev_b32_e32 v15, 16, v12
	v_mov_b32_e32 v20, 0x3b800000
	v_lshlrev_b32_e32 v11, 20, v11
	v_and_b32_e32 v15, 0x80000000, v15
	v_lshl_add_u32 v14, v14, 23, v20
	v_or3_b32 v14, v15, v14, v11
.LBB24_1104:
	s_or_b64 exec, exec, s[6:7]
	s_nop 0
	v_mfma_f32_16x16x4f32 a[0:3], v10, v14, a[0:3]
	s_movk_i32 s4, 0xff
	v_and_b32_sdwa v11, v16, s4 dst_sel:DWORD dst_unused:UNUSED_PAD src0_sel:WORD_1 src1_sel:DWORD
	s_movk_i32 s4, 0x7f
	v_cmp_lt_i16_e32 vcc, s4, v11
	s_mov_b64 s[4:5], 0
                                        ; implicit-def: $sgpr10
	s_and_saveexec_b64 s[6:7], vcc
	s_xor_b64 s[6:7], exec, s[6:7]
	s_cbranch_execnz .LBB24_3153
; %bb.1105:
	s_or_saveexec_b64 s[6:7], s[6:7]
	v_mov_b32_e32 v10, s10
	s_xor_b64 exec, exec, s[6:7]
	s_cbranch_execnz .LBB24_3156
.LBB24_1106:
	s_or_b64 exec, exec, s[6:7]
	s_and_saveexec_b64 s[6:7], s[4:5]
	s_cbranch_execz .LBB24_1108
.LBB24_1107:
	v_bfe_u32 v10, v16, 16, 3
	v_ffbh_u32_e32 v15, v10
	v_min_u32_e32 v15, 32, v15
	v_lshrrev_b32_e32 v11, 19, v16
	v_subrev_u32_e32 v20, 28, v15
	v_and_b32_e32 v11, 15, v11
	v_lshlrev_b32_sdwa v20, v20, v16 dst_sel:DWORD dst_unused:UNUSED_PAD src0_sel:DWORD src1_sel:WORD_1
	v_bfe_u32 v14, v16, 19, 4
	v_sub_u32_e32 v15, 29, v15
	v_and_b32_e32 v20, 7, v20
	v_cmp_eq_u16_e32 vcc, 0, v11
	v_cndmask_b32_e32 v10, v10, v20, vcc
	v_cndmask_b32_e32 v11, v14, v15, vcc
	v_lshlrev_b32_e32 v14, 8, v16
	v_mov_b32_e32 v15, 0x3b800000
	v_lshlrev_b32_e32 v10, 20, v10
	v_and_b32_e32 v14, 0x80000000, v14
	v_lshl_add_u32 v11, v11, 23, v15
	v_or3_b32 v10, v14, v11, v10
.LBB24_1108:
	s_or_b64 exec, exec, s[6:7]
	s_movk_i32 s4, 0xff
	v_and_b32_sdwa v11, v12, s4 dst_sel:DWORD dst_unused:UNUSED_PAD src0_sel:WORD_1 src1_sel:DWORD
	s_movk_i32 s4, 0x7f
	v_cmp_lt_i16_e32 vcc, s4, v11
	s_mov_b64 s[4:5], 0
                                        ; implicit-def: $sgpr10
	s_and_saveexec_b64 s[6:7], vcc
	s_xor_b64 s[6:7], exec, s[6:7]
	s_cbranch_execnz .LBB24_3157
; %bb.1109:
	s_or_saveexec_b64 s[6:7], s[6:7]
	v_mov_b32_e32 v14, s10
	s_xor_b64 exec, exec, s[6:7]
	s_cbranch_execnz .LBB24_3160
.LBB24_1110:
	s_or_b64 exec, exec, s[6:7]
	s_and_saveexec_b64 s[6:7], s[4:5]
	s_cbranch_execz .LBB24_1112
.LBB24_1111:
	v_bfe_u32 v11, v12, 16, 3
	v_ffbh_u32_e32 v20, v11
	v_min_u32_e32 v20, 32, v20
	v_lshrrev_b32_e32 v14, 19, v12
	v_subrev_u32_e32 v21, 28, v20
	v_and_b32_e32 v14, 15, v14
	v_lshlrev_b32_sdwa v21, v21, v12 dst_sel:DWORD dst_unused:UNUSED_PAD src0_sel:DWORD src1_sel:WORD_1
	v_bfe_u32 v15, v12, 19, 4
	v_sub_u32_e32 v20, 29, v20
	v_and_b32_e32 v21, 7, v21
	v_cmp_eq_u16_e32 vcc, 0, v14
	v_cndmask_b32_e32 v11, v11, v21, vcc
	v_cndmask_b32_e32 v14, v15, v20, vcc
	v_lshlrev_b32_e32 v15, 8, v12
	v_mov_b32_e32 v20, 0x3b800000
	v_lshlrev_b32_e32 v11, 20, v11
	v_and_b32_e32 v15, 0x80000000, v15
	v_lshl_add_u32 v14, v14, 23, v20
	v_or3_b32 v14, v15, v14, v11
.LBB24_1112:
	s_or_b64 exec, exec, s[6:7]
	s_nop 0
	v_mfma_f32_16x16x4f32 a[0:3], v10, v14, a[0:3]
	s_movk_i32 s4, 0x7f
	v_cmp_gt_i16_sdwa s[6:7], v16, s4 src0_sel:BYTE_3 src1_sel:DWORD
	s_mov_b64 s[4:5], 0
                                        ; implicit-def: $sgpr10
	s_and_saveexec_b64 s[8:9], s[6:7]
	s_xor_b64 s[6:7], exec, s[8:9]
	s_cbranch_execnz .LBB24_3161
; %bb.1113:
	s_or_saveexec_b64 s[6:7], s[6:7]
	v_mov_b32_e32 v10, s10
	s_xor_b64 exec, exec, s[6:7]
	s_cbranch_execnz .LBB24_3164
.LBB24_1114:
	s_or_b64 exec, exec, s[6:7]
	s_and_saveexec_b64 s[6:7], s[4:5]
	s_cbranch_execz .LBB24_1116
.LBB24_1115:
	v_bfe_u32 v10, v16, 24, 3
	v_ffbh_u32_e32 v20, v10
	v_min_u32_e32 v20, 32, v20
	v_lshrrev_b32_e32 v14, 27, v16
	v_subrev_u32_e32 v21, 28, v20
	v_and_b32_e32 v11, 0x80000000, v16
	v_and_b32_e32 v14, 15, v14
	v_bfe_u32 v15, v16, 27, 4
	v_lshlrev_b32_sdwa v16, v21, v16 dst_sel:DWORD dst_unused:UNUSED_PAD src0_sel:DWORD src1_sel:BYTE_3
	v_sub_u32_e32 v20, 29, v20
	v_and_b32_e32 v16, 7, v16
	v_cmp_eq_u16_e32 vcc, 0, v14
	v_cndmask_b32_e32 v10, v10, v16, vcc
	v_cndmask_b32_e32 v14, v15, v20, vcc
	v_mov_b32_e32 v15, 0x3b800000
	v_lshlrev_b32_e32 v10, 20, v10
	v_lshl_add_u32 v14, v14, 23, v15
	v_or3_b32 v10, v11, v14, v10
.LBB24_1116:
	s_or_b64 exec, exec, s[6:7]
	s_movk_i32 s4, 0x7f
	v_cmp_gt_i16_sdwa s[6:7], v12, s4 src0_sel:BYTE_3 src1_sel:DWORD
	s_mov_b64 s[4:5], 0
                                        ; implicit-def: $sgpr10
	s_and_saveexec_b64 s[8:9], s[6:7]
	s_xor_b64 s[6:7], exec, s[8:9]
	s_cbranch_execnz .LBB24_3165
; %bb.1117:
	s_or_saveexec_b64 s[6:7], s[6:7]
	v_mov_b32_e32 v11, s10
	s_xor_b64 exec, exec, s[6:7]
	s_cbranch_execnz .LBB24_3168
.LBB24_1118:
	s_or_b64 exec, exec, s[6:7]
	s_and_saveexec_b64 s[6:7], s[4:5]
	s_cbranch_execz .LBB24_1120
.LBB24_1119:
	v_bfe_u32 v11, v12, 24, 3
	v_ffbh_u32_e32 v20, v11
	v_min_u32_e32 v20, 32, v20
	v_lshrrev_b32_e32 v15, 27, v12
	v_subrev_u32_e32 v21, 28, v20
	v_and_b32_e32 v14, 0x80000000, v12
	v_and_b32_e32 v15, 15, v15
	v_bfe_u32 v16, v12, 27, 4
	v_lshlrev_b32_sdwa v12, v21, v12 dst_sel:DWORD dst_unused:UNUSED_PAD src0_sel:DWORD src1_sel:BYTE_3
	v_sub_u32_e32 v20, 29, v20
	v_and_b32_e32 v12, 7, v12
	v_cmp_eq_u16_e32 vcc, 0, v15
	v_cndmask_b32_e32 v11, v11, v12, vcc
	v_cndmask_b32_e32 v12, v16, v20, vcc
	v_mov_b32_e32 v15, 0x3b800000
	v_lshlrev_b32_e32 v11, 20, v11
	v_lshl_add_u32 v12, v12, 23, v15
	v_or3_b32 v11, v14, v12, v11
.LBB24_1120:
	s_or_b64 exec, exec, s[6:7]
	s_nop 0
	v_mfma_f32_16x16x4f32 a[0:3], v10, v11, a[0:3]
	s_movk_i32 s4, 0x7f
	v_cmp_gt_i16_sdwa s[6:7], v17, s4 src0_sel:BYTE_0 src1_sel:DWORD
	s_mov_b64 s[4:5], 0
                                        ; implicit-def: $sgpr10
	s_and_saveexec_b64 s[8:9], s[6:7]
	s_xor_b64 s[6:7], exec, s[8:9]
	s_cbranch_execnz .LBB24_3169
; %bb.1121:
	s_or_saveexec_b64 s[6:7], s[6:7]
	v_mov_b32_e32 v10, s10
	s_xor_b64 exec, exec, s[6:7]
	s_cbranch_execnz .LBB24_3172
.LBB24_1122:
	s_or_b64 exec, exec, s[6:7]
	s_and_saveexec_b64 s[6:7], s[4:5]
	s_cbranch_execz .LBB24_1124
.LBB24_1123:
	v_and_b32_e32 v10, 7, v17
	v_ffbh_u32_e32 v12, v10
	v_min_u32_e32 v12, 32, v12
	v_lshrrev_b16_e32 v11, 3, v17
	v_subrev_u32_e32 v14, 28, v12
	v_and_b32_e32 v11, 15, v11
	v_lshlrev_b32_e32 v14, v14, v17
	v_sub_u32_e32 v12, 29, v12
	v_and_b32_e32 v14, 7, v14
	v_cmp_eq_u16_e32 vcc, 0, v11
	v_cndmask_b32_e32 v10, v10, v14, vcc
	v_cndmask_b32_e32 v11, v11, v12, vcc
	v_lshlrev_b32_e32 v12, 24, v17
	v_mov_b32_e32 v14, 0x3b800000
	v_lshlrev_b32_e32 v10, 20, v10
	v_and_b32_e32 v12, 0x80000000, v12
	v_lshl_add_u32 v11, v11, 23, v14
	v_or3_b32 v10, v12, v11, v10
.LBB24_1124:
	s_or_b64 exec, exec, s[6:7]
	s_movk_i32 s4, 0x7f
	v_cmp_gt_i16_sdwa s[6:7], v13, s4 src0_sel:BYTE_0 src1_sel:DWORD
	s_mov_b64 s[4:5], 0
                                        ; implicit-def: $sgpr10
	s_and_saveexec_b64 s[8:9], s[6:7]
	s_xor_b64 s[6:7], exec, s[8:9]
	s_cbranch_execnz .LBB24_3173
; %bb.1125:
	s_or_saveexec_b64 s[6:7], s[6:7]
	v_mov_b32_e32 v11, s10
	s_xor_b64 exec, exec, s[6:7]
	s_cbranch_execnz .LBB24_3176
.LBB24_1126:
	s_or_b64 exec, exec, s[6:7]
	s_and_saveexec_b64 s[6:7], s[4:5]
	s_cbranch_execz .LBB24_1128
.LBB24_1127:
	v_and_b32_e32 v11, 7, v13
	v_ffbh_u32_e32 v14, v11
	v_min_u32_e32 v14, 32, v14
	v_lshrrev_b16_e32 v12, 3, v13
	v_subrev_u32_e32 v15, 28, v14
	v_and_b32_e32 v12, 15, v12
	v_lshlrev_b32_e32 v15, v15, v13
	v_sub_u32_e32 v14, 29, v14
	v_and_b32_e32 v15, 7, v15
	v_cmp_eq_u16_e32 vcc, 0, v12
	v_cndmask_b32_e32 v11, v11, v15, vcc
	v_cndmask_b32_e32 v12, v12, v14, vcc
	v_lshlrev_b32_e32 v14, 24, v13
	v_mov_b32_e32 v15, 0x3b800000
	v_lshlrev_b32_e32 v11, 20, v11
	v_and_b32_e32 v14, 0x80000000, v14
	v_lshl_add_u32 v12, v12, 23, v15
	v_or3_b32 v11, v14, v12, v11
.LBB24_1128:
	s_or_b64 exec, exec, s[6:7]
	s_nop 0
	v_mfma_f32_16x16x4f32 a[0:3], v10, v11, a[0:3]
	v_lshrrev_b32_e32 v11, 8, v17
	s_movk_i32 s4, 0x7f
	v_cmp_gt_i16_sdwa s[6:7], v11, s4 src0_sel:BYTE_0 src1_sel:DWORD
	s_mov_b64 s[4:5], 0
                                        ; implicit-def: $sgpr10
	s_and_saveexec_b64 s[8:9], s[6:7]
	s_xor_b64 s[6:7], exec, s[8:9]
	s_cbranch_execnz .LBB24_3177
; %bb.1129:
	s_or_saveexec_b64 s[6:7], s[6:7]
	v_mov_b32_e32 v10, s10
	s_xor_b64 exec, exec, s[6:7]
	s_cbranch_execnz .LBB24_3180
.LBB24_1130:
	s_or_b64 exec, exec, s[6:7]
	s_and_saveexec_b64 s[6:7], s[4:5]
	s_cbranch_execz .LBB24_1132
.LBB24_1131:
	v_bfe_u32 v10, v17, 8, 3
	v_ffbh_u32_e32 v14, v10
	v_min_u32_e32 v14, 32, v14
	v_lshrrev_b16_e32 v12, 3, v11
	v_subrev_u32_e32 v15, 28, v14
	v_and_b32_e32 v12, 15, v12
	v_lshlrev_b32_e32 v11, v15, v11
	v_sub_u32_e32 v14, 29, v14
	v_and_b32_e32 v11, 7, v11
	v_cmp_eq_u16_e32 vcc, 0, v12
	v_cndmask_b32_e32 v10, v10, v11, vcc
	v_cndmask_b32_e32 v11, v12, v14, vcc
	v_lshlrev_b32_e32 v12, 16, v17
	v_mov_b32_e32 v14, 0x3b800000
	v_lshlrev_b32_e32 v10, 20, v10
	v_and_b32_e32 v12, 0x80000000, v12
	v_lshl_add_u32 v11, v11, 23, v14
	v_or3_b32 v10, v12, v11, v10
.LBB24_1132:
	s_or_b64 exec, exec, s[6:7]
	v_lshrrev_b32_e32 v11, 8, v13
	s_movk_i32 s4, 0x7f
	v_cmp_gt_i16_sdwa s[6:7], v11, s4 src0_sel:BYTE_0 src1_sel:DWORD
	s_mov_b64 s[4:5], 0
                                        ; implicit-def: $sgpr10
	s_and_saveexec_b64 s[8:9], s[6:7]
	s_xor_b64 s[6:7], exec, s[8:9]
	s_cbranch_execnz .LBB24_3181
; %bb.1133:
	s_or_saveexec_b64 s[6:7], s[6:7]
	v_mov_b32_e32 v12, s10
	s_xor_b64 exec, exec, s[6:7]
	s_cbranch_execnz .LBB24_3184
.LBB24_1134:
	s_or_b64 exec, exec, s[6:7]
	s_and_saveexec_b64 s[6:7], s[4:5]
	s_cbranch_execz .LBB24_1136
.LBB24_1135:
	v_bfe_u32 v12, v13, 8, 3
	v_ffbh_u32_e32 v15, v12
	v_min_u32_e32 v15, 32, v15
	v_lshrrev_b16_e32 v14, 3, v11
	v_subrev_u32_e32 v16, 28, v15
	v_and_b32_e32 v14, 15, v14
	v_lshlrev_b32_e32 v11, v16, v11
	v_sub_u32_e32 v15, 29, v15
	v_and_b32_e32 v11, 7, v11
	v_cmp_eq_u16_e32 vcc, 0, v14
	v_cndmask_b32_e32 v11, v12, v11, vcc
	v_cndmask_b32_e32 v12, v14, v15, vcc
	v_lshlrev_b32_e32 v14, 16, v13
	v_mov_b32_e32 v15, 0x3b800000
	v_lshlrev_b32_e32 v11, 20, v11
	v_and_b32_e32 v14, 0x80000000, v14
	v_lshl_add_u32 v12, v12, 23, v15
	v_or3_b32 v12, v14, v12, v11
.LBB24_1136:
	s_or_b64 exec, exec, s[6:7]
	s_nop 0
	v_mfma_f32_16x16x4f32 a[0:3], v10, v12, a[0:3]
	s_movk_i32 s4, 0xff
	v_and_b32_sdwa v11, v17, s4 dst_sel:DWORD dst_unused:UNUSED_PAD src0_sel:WORD_1 src1_sel:DWORD
	s_movk_i32 s4, 0x7f
	v_cmp_lt_i16_e32 vcc, s4, v11
	s_mov_b64 s[4:5], 0
                                        ; implicit-def: $sgpr10
	s_and_saveexec_b64 s[6:7], vcc
	s_xor_b64 s[6:7], exec, s[6:7]
	s_cbranch_execnz .LBB24_3185
; %bb.1137:
	s_or_saveexec_b64 s[6:7], s[6:7]
	v_mov_b32_e32 v10, s10
	s_xor_b64 exec, exec, s[6:7]
	s_cbranch_execnz .LBB24_3188
.LBB24_1138:
	s_or_b64 exec, exec, s[6:7]
	s_and_saveexec_b64 s[6:7], s[4:5]
	s_cbranch_execz .LBB24_1140
.LBB24_1139:
	v_bfe_u32 v10, v17, 16, 3
	v_ffbh_u32_e32 v14, v10
	v_min_u32_e32 v14, 32, v14
	v_lshrrev_b32_e32 v11, 19, v17
	v_subrev_u32_e32 v15, 28, v14
	v_and_b32_e32 v11, 15, v11
	v_lshlrev_b32_sdwa v15, v15, v17 dst_sel:DWORD dst_unused:UNUSED_PAD src0_sel:DWORD src1_sel:WORD_1
	v_bfe_u32 v12, v17, 19, 4
	v_sub_u32_e32 v14, 29, v14
	v_and_b32_e32 v15, 7, v15
	v_cmp_eq_u16_e32 vcc, 0, v11
	v_cndmask_b32_e32 v10, v10, v15, vcc
	v_cndmask_b32_e32 v11, v12, v14, vcc
	v_lshlrev_b32_e32 v12, 8, v17
	v_mov_b32_e32 v14, 0x3b800000
	v_lshlrev_b32_e32 v10, 20, v10
	v_and_b32_e32 v12, 0x80000000, v12
	v_lshl_add_u32 v11, v11, 23, v14
	v_or3_b32 v10, v12, v11, v10
.LBB24_1140:
	s_or_b64 exec, exec, s[6:7]
	s_movk_i32 s4, 0xff
	v_and_b32_sdwa v11, v13, s4 dst_sel:DWORD dst_unused:UNUSED_PAD src0_sel:WORD_1 src1_sel:DWORD
	s_movk_i32 s4, 0x7f
	v_cmp_lt_i16_e32 vcc, s4, v11
	s_mov_b64 s[4:5], 0
                                        ; implicit-def: $sgpr10
	s_and_saveexec_b64 s[6:7], vcc
	s_xor_b64 s[6:7], exec, s[6:7]
	s_cbranch_execnz .LBB24_3189
; %bb.1141:
	s_or_saveexec_b64 s[6:7], s[6:7]
	v_mov_b32_e32 v12, s10
	s_xor_b64 exec, exec, s[6:7]
	s_cbranch_execnz .LBB24_3192
.LBB24_1142:
	s_or_b64 exec, exec, s[6:7]
	s_and_saveexec_b64 s[6:7], s[4:5]
	s_cbranch_execz .LBB24_1144
.LBB24_1143:
	v_bfe_u32 v11, v13, 16, 3
	v_ffbh_u32_e32 v15, v11
	v_min_u32_e32 v15, 32, v15
	v_lshrrev_b32_e32 v12, 19, v13
	v_subrev_u32_e32 v16, 28, v15
	v_and_b32_e32 v12, 15, v12
	v_lshlrev_b32_sdwa v16, v16, v13 dst_sel:DWORD dst_unused:UNUSED_PAD src0_sel:DWORD src1_sel:WORD_1
	v_bfe_u32 v14, v13, 19, 4
	v_sub_u32_e32 v15, 29, v15
	v_and_b32_e32 v16, 7, v16
	v_cmp_eq_u16_e32 vcc, 0, v12
	v_cndmask_b32_e32 v11, v11, v16, vcc
	v_cndmask_b32_e32 v12, v14, v15, vcc
	v_lshlrev_b32_e32 v14, 8, v13
	v_mov_b32_e32 v15, 0x3b800000
	v_lshlrev_b32_e32 v11, 20, v11
	v_and_b32_e32 v14, 0x80000000, v14
	v_lshl_add_u32 v12, v12, 23, v15
	v_or3_b32 v12, v14, v12, v11
.LBB24_1144:
	s_or_b64 exec, exec, s[6:7]
	s_nop 0
	v_mfma_f32_16x16x4f32 a[0:3], v10, v12, a[0:3]
	s_movk_i32 s4, 0x7f
	v_cmp_gt_i16_sdwa s[6:7], v17, s4 src0_sel:BYTE_3 src1_sel:DWORD
	s_mov_b64 s[4:5], 0
                                        ; implicit-def: $sgpr10
	s_and_saveexec_b64 s[8:9], s[6:7]
	s_xor_b64 s[6:7], exec, s[8:9]
	s_cbranch_execnz .LBB24_3193
; %bb.1145:
	s_or_saveexec_b64 s[6:7], s[6:7]
	v_mov_b32_e32 v10, s10
	s_xor_b64 exec, exec, s[6:7]
	s_cbranch_execnz .LBB24_3196
.LBB24_1146:
	s_or_b64 exec, exec, s[6:7]
	s_and_saveexec_b64 s[6:7], s[4:5]
	s_cbranch_execz .LBB24_1148
.LBB24_1147:
	v_bfe_u32 v10, v17, 24, 3
	v_ffbh_u32_e32 v15, v10
	v_min_u32_e32 v15, 32, v15
	v_lshrrev_b32_e32 v12, 27, v17
	v_subrev_u32_e32 v16, 28, v15
	v_and_b32_e32 v12, 15, v12
	v_lshlrev_b32_sdwa v16, v16, v17 dst_sel:DWORD dst_unused:UNUSED_PAD src0_sel:DWORD src1_sel:BYTE_3
	v_bfe_u32 v14, v17, 27, 4
	v_sub_u32_e32 v15, 29, v15
	v_and_b32_e32 v16, 7, v16
	v_cmp_eq_u16_e32 vcc, 0, v12
	v_cndmask_b32_e32 v10, v10, v16, vcc
	v_cndmask_b32_e32 v12, v14, v15, vcc
	v_mov_b32_e32 v14, 0x3b800000
	v_and_b32_e32 v11, 0x80000000, v17
	v_lshlrev_b32_e32 v10, 20, v10
	v_lshl_add_u32 v12, v12, 23, v14
	v_or3_b32 v10, v11, v12, v10
.LBB24_1148:
	s_or_b64 exec, exec, s[6:7]
	s_movk_i32 s4, 0x7f
	v_cmp_gt_i16_sdwa s[6:7], v13, s4 src0_sel:BYTE_3 src1_sel:DWORD
	s_mov_b64 s[4:5], 0
                                        ; implicit-def: $sgpr10
	s_and_saveexec_b64 s[8:9], s[6:7]
	s_xor_b64 s[6:7], exec, s[8:9]
	s_cbranch_execnz .LBB24_3197
; %bb.1149:
	s_or_saveexec_b64 s[6:7], s[6:7]
	v_mov_b32_e32 v11, s10
	s_xor_b64 exec, exec, s[6:7]
	s_cbranch_execnz .LBB24_3200
.LBB24_1150:
	s_or_b64 exec, exec, s[6:7]
	s_and_saveexec_b64 s[6:7], s[4:5]
	s_cbranch_execz .LBB24_1152
.LBB24_1151:
	v_bfe_u32 v11, v13, 24, 3
	v_ffbh_u32_e32 v16, v11
	v_min_u32_e32 v16, 32, v16
	v_lshrrev_b32_e32 v14, 27, v13
	v_subrev_u32_e32 v17, 28, v16
	v_and_b32_e32 v12, 0x80000000, v13
	v_and_b32_e32 v14, 15, v14
	v_bfe_u32 v15, v13, 27, 4
	v_lshlrev_b32_sdwa v13, v17, v13 dst_sel:DWORD dst_unused:UNUSED_PAD src0_sel:DWORD src1_sel:BYTE_3
	v_sub_u32_e32 v16, 29, v16
	v_and_b32_e32 v13, 7, v13
	v_cmp_eq_u16_e32 vcc, 0, v14
	v_cndmask_b32_e32 v11, v11, v13, vcc
	v_cndmask_b32_e32 v13, v15, v16, vcc
	v_mov_b32_e32 v14, 0x3b800000
	v_lshlrev_b32_e32 v11, 20, v11
	v_lshl_add_u32 v13, v13, 23, v14
	v_or3_b32 v11, v12, v13, v11
.LBB24_1152:
	s_or_b64 exec, exec, s[6:7]
	s_nop 0
	v_mfma_f32_16x16x4f32 a[0:3], v10, v11, a[0:3]
	s_movk_i32 s4, 0x7f
	v_cmp_gt_i16_sdwa s[6:7], v6, s4 src0_sel:BYTE_0 src1_sel:DWORD
	s_mov_b64 s[4:5], 0
                                        ; implicit-def: $sgpr10
	s_and_saveexec_b64 s[8:9], s[6:7]
	s_xor_b64 s[6:7], exec, s[8:9]
	s_cbranch_execnz .LBB24_3201
; %bb.1153:
	s_or_saveexec_b64 s[6:7], s[6:7]
	v_mov_b32_e32 v10, s10
	s_xor_b64 exec, exec, s[6:7]
	s_cbranch_execnz .LBB24_3204
.LBB24_1154:
	s_or_b64 exec, exec, s[6:7]
	s_and_saveexec_b64 s[6:7], s[4:5]
	s_cbranch_execz .LBB24_1156
.LBB24_1155:
	v_and_b32_e32 v10, 7, v6
	v_ffbh_u32_e32 v12, v10
	v_min_u32_e32 v12, 32, v12
	v_lshrrev_b16_e32 v11, 3, v6
	v_subrev_u32_e32 v13, 28, v12
	v_and_b32_e32 v11, 15, v11
	v_lshlrev_b32_e32 v13, v13, v6
	v_sub_u32_e32 v12, 29, v12
	v_and_b32_e32 v13, 7, v13
	v_cmp_eq_u16_e32 vcc, 0, v11
	v_cndmask_b32_e32 v10, v10, v13, vcc
	v_cndmask_b32_e32 v11, v11, v12, vcc
	v_lshlrev_b32_e32 v12, 24, v6
	v_mov_b32_e32 v13, 0x3b800000
	v_lshlrev_b32_e32 v10, 20, v10
	v_and_b32_e32 v12, 0x80000000, v12
	v_lshl_add_u32 v11, v11, 23, v13
	v_or3_b32 v10, v12, v11, v10
.LBB24_1156:
	s_or_b64 exec, exec, s[6:7]
	s_movk_i32 s4, 0x7f
	v_cmp_gt_i16_sdwa s[6:7], v2, s4 src0_sel:BYTE_0 src1_sel:DWORD
	s_mov_b64 s[4:5], 0
                                        ; implicit-def: $sgpr10
	s_and_saveexec_b64 s[8:9], s[6:7]
	s_xor_b64 s[6:7], exec, s[8:9]
	s_cbranch_execnz .LBB24_3205
; %bb.1157:
	s_or_saveexec_b64 s[6:7], s[6:7]
	v_mov_b32_e32 v11, s10
	s_xor_b64 exec, exec, s[6:7]
	s_cbranch_execnz .LBB24_3208
.LBB24_1158:
	s_or_b64 exec, exec, s[6:7]
	s_and_saveexec_b64 s[6:7], s[4:5]
	s_cbranch_execz .LBB24_1160
.LBB24_1159:
	v_and_b32_e32 v11, 7, v2
	v_ffbh_u32_e32 v13, v11
	v_min_u32_e32 v13, 32, v13
	v_lshrrev_b16_e32 v12, 3, v2
	v_subrev_u32_e32 v14, 28, v13
	v_and_b32_e32 v12, 15, v12
	v_lshlrev_b32_e32 v14, v14, v2
	v_sub_u32_e32 v13, 29, v13
	v_and_b32_e32 v14, 7, v14
	v_cmp_eq_u16_e32 vcc, 0, v12
	v_cndmask_b32_e32 v11, v11, v14, vcc
	v_cndmask_b32_e32 v12, v12, v13, vcc
	v_lshlrev_b32_e32 v13, 24, v2
	v_mov_b32_e32 v14, 0x3b800000
	v_lshlrev_b32_e32 v11, 20, v11
	v_and_b32_e32 v13, 0x80000000, v13
	v_lshl_add_u32 v12, v12, 23, v14
	v_or3_b32 v11, v13, v12, v11
.LBB24_1160:
	s_or_b64 exec, exec, s[6:7]
	s_nop 0
	v_mfma_f32_16x16x4f32 a[0:3], v10, v11, a[0:3]
	v_lshrrev_b32_e32 v11, 8, v6
	s_movk_i32 s4, 0x7f
	v_cmp_gt_i16_sdwa s[6:7], v11, s4 src0_sel:BYTE_0 src1_sel:DWORD
	s_mov_b64 s[4:5], 0
                                        ; implicit-def: $sgpr10
	s_and_saveexec_b64 s[8:9], s[6:7]
	s_xor_b64 s[6:7], exec, s[8:9]
	s_cbranch_execnz .LBB24_3209
; %bb.1161:
	s_or_saveexec_b64 s[6:7], s[6:7]
	v_mov_b32_e32 v10, s10
	s_xor_b64 exec, exec, s[6:7]
	s_cbranch_execnz .LBB24_3212
.LBB24_1162:
	s_or_b64 exec, exec, s[6:7]
	s_and_saveexec_b64 s[6:7], s[4:5]
	s_cbranch_execz .LBB24_1164
.LBB24_1163:
	v_bfe_u32 v10, v6, 8, 3
	v_ffbh_u32_e32 v13, v10
	v_min_u32_e32 v13, 32, v13
	v_lshrrev_b16_e32 v12, 3, v11
	v_subrev_u32_e32 v14, 28, v13
	v_and_b32_e32 v12, 15, v12
	v_lshlrev_b32_e32 v11, v14, v11
	v_sub_u32_e32 v13, 29, v13
	v_and_b32_e32 v11, 7, v11
	v_cmp_eq_u16_e32 vcc, 0, v12
	v_cndmask_b32_e32 v10, v10, v11, vcc
	v_cndmask_b32_e32 v11, v12, v13, vcc
	v_lshlrev_b32_e32 v12, 16, v6
	v_mov_b32_e32 v13, 0x3b800000
	v_lshlrev_b32_e32 v10, 20, v10
	v_and_b32_e32 v12, 0x80000000, v12
	v_lshl_add_u32 v11, v11, 23, v13
	v_or3_b32 v10, v12, v11, v10
.LBB24_1164:
	s_or_b64 exec, exec, s[6:7]
	v_lshrrev_b32_e32 v11, 8, v2
	s_movk_i32 s4, 0x7f
	v_cmp_gt_i16_sdwa s[6:7], v11, s4 src0_sel:BYTE_0 src1_sel:DWORD
	s_mov_b64 s[4:5], 0
                                        ; implicit-def: $sgpr10
	s_and_saveexec_b64 s[8:9], s[6:7]
	s_xor_b64 s[6:7], exec, s[8:9]
	s_cbranch_execnz .LBB24_3213
; %bb.1165:
	s_or_saveexec_b64 s[6:7], s[6:7]
	v_mov_b32_e32 v12, s10
	s_xor_b64 exec, exec, s[6:7]
	s_cbranch_execnz .LBB24_3216
.LBB24_1166:
	s_or_b64 exec, exec, s[6:7]
	s_and_saveexec_b64 s[6:7], s[4:5]
	s_cbranch_execz .LBB24_1168
.LBB24_1167:
	v_bfe_u32 v12, v2, 8, 3
	v_ffbh_u32_e32 v14, v12
	v_min_u32_e32 v14, 32, v14
	v_lshrrev_b16_e32 v13, 3, v11
	v_subrev_u32_e32 v15, 28, v14
	v_and_b32_e32 v13, 15, v13
	v_lshlrev_b32_e32 v11, v15, v11
	v_sub_u32_e32 v14, 29, v14
	v_and_b32_e32 v11, 7, v11
	v_cmp_eq_u16_e32 vcc, 0, v13
	v_cndmask_b32_e32 v11, v12, v11, vcc
	v_cndmask_b32_e32 v12, v13, v14, vcc
	v_lshlrev_b32_e32 v13, 16, v2
	v_mov_b32_e32 v14, 0x3b800000
	v_lshlrev_b32_e32 v11, 20, v11
	v_and_b32_e32 v13, 0x80000000, v13
	v_lshl_add_u32 v12, v12, 23, v14
	v_or3_b32 v12, v13, v12, v11
.LBB24_1168:
	s_or_b64 exec, exec, s[6:7]
	s_nop 0
	v_mfma_f32_16x16x4f32 a[0:3], v10, v12, a[0:3]
	s_movk_i32 s4, 0xff
	v_and_b32_sdwa v11, v6, s4 dst_sel:DWORD dst_unused:UNUSED_PAD src0_sel:WORD_1 src1_sel:DWORD
	s_movk_i32 s4, 0x7f
	v_cmp_lt_i16_e32 vcc, s4, v11
	s_mov_b64 s[4:5], 0
                                        ; implicit-def: $sgpr10
	s_and_saveexec_b64 s[6:7], vcc
	s_xor_b64 s[6:7], exec, s[6:7]
	s_cbranch_execnz .LBB24_3217
; %bb.1169:
	s_or_saveexec_b64 s[6:7], s[6:7]
	v_mov_b32_e32 v10, s10
	s_xor_b64 exec, exec, s[6:7]
	s_cbranch_execnz .LBB24_3220
.LBB24_1170:
	s_or_b64 exec, exec, s[6:7]
	s_and_saveexec_b64 s[6:7], s[4:5]
	s_cbranch_execz .LBB24_1172
.LBB24_1171:
	v_bfe_u32 v10, v6, 16, 3
	v_ffbh_u32_e32 v13, v10
	v_min_u32_e32 v13, 32, v13
	v_lshrrev_b32_e32 v11, 19, v6
	v_subrev_u32_e32 v14, 28, v13
	v_and_b32_e32 v11, 15, v11
	v_lshlrev_b32_sdwa v14, v14, v6 dst_sel:DWORD dst_unused:UNUSED_PAD src0_sel:DWORD src1_sel:WORD_1
	v_bfe_u32 v12, v6, 19, 4
	v_sub_u32_e32 v13, 29, v13
	v_and_b32_e32 v14, 7, v14
	v_cmp_eq_u16_e32 vcc, 0, v11
	v_cndmask_b32_e32 v10, v10, v14, vcc
	v_cndmask_b32_e32 v11, v12, v13, vcc
	v_lshlrev_b32_e32 v12, 8, v6
	v_mov_b32_e32 v13, 0x3b800000
	v_lshlrev_b32_e32 v10, 20, v10
	v_and_b32_e32 v12, 0x80000000, v12
	v_lshl_add_u32 v11, v11, 23, v13
	v_or3_b32 v10, v12, v11, v10
.LBB24_1172:
	s_or_b64 exec, exec, s[6:7]
	s_movk_i32 s4, 0xff
	v_and_b32_sdwa v11, v2, s4 dst_sel:DWORD dst_unused:UNUSED_PAD src0_sel:WORD_1 src1_sel:DWORD
	s_movk_i32 s4, 0x7f
	v_cmp_lt_i16_e32 vcc, s4, v11
	s_mov_b64 s[4:5], 0
                                        ; implicit-def: $sgpr10
	s_and_saveexec_b64 s[6:7], vcc
	s_xor_b64 s[6:7], exec, s[6:7]
	s_cbranch_execnz .LBB24_3221
; %bb.1173:
	s_or_saveexec_b64 s[6:7], s[6:7]
	v_mov_b32_e32 v12, s10
	s_xor_b64 exec, exec, s[6:7]
	s_cbranch_execnz .LBB24_3224
.LBB24_1174:
	s_or_b64 exec, exec, s[6:7]
	s_and_saveexec_b64 s[6:7], s[4:5]
	s_cbranch_execz .LBB24_1176
.LBB24_1175:
	v_bfe_u32 v11, v2, 16, 3
	v_ffbh_u32_e32 v14, v11
	v_min_u32_e32 v14, 32, v14
	v_lshrrev_b32_e32 v12, 19, v2
	v_subrev_u32_e32 v15, 28, v14
	v_and_b32_e32 v12, 15, v12
	v_lshlrev_b32_sdwa v15, v15, v2 dst_sel:DWORD dst_unused:UNUSED_PAD src0_sel:DWORD src1_sel:WORD_1
	v_bfe_u32 v13, v2, 19, 4
	v_sub_u32_e32 v14, 29, v14
	v_and_b32_e32 v15, 7, v15
	v_cmp_eq_u16_e32 vcc, 0, v12
	v_cndmask_b32_e32 v11, v11, v15, vcc
	v_cndmask_b32_e32 v12, v13, v14, vcc
	v_lshlrev_b32_e32 v13, 8, v2
	v_mov_b32_e32 v14, 0x3b800000
	v_lshlrev_b32_e32 v11, 20, v11
	v_and_b32_e32 v13, 0x80000000, v13
	v_lshl_add_u32 v12, v12, 23, v14
	v_or3_b32 v12, v13, v12, v11
.LBB24_1176:
	s_or_b64 exec, exec, s[6:7]
	s_nop 0
	v_mfma_f32_16x16x4f32 a[0:3], v10, v12, a[0:3]
	s_movk_i32 s4, 0x7f
	v_cmp_gt_i16_sdwa s[6:7], v6, s4 src0_sel:BYTE_3 src1_sel:DWORD
	s_mov_b64 s[4:5], 0
                                        ; implicit-def: $sgpr10
	s_and_saveexec_b64 s[8:9], s[6:7]
	s_xor_b64 s[6:7], exec, s[8:9]
	s_cbranch_execnz .LBB24_3225
; %bb.1177:
	s_or_saveexec_b64 s[6:7], s[6:7]
	v_mov_b32_e32 v10, s10
	s_xor_b64 exec, exec, s[6:7]
	s_cbranch_execnz .LBB24_3228
.LBB24_1178:
	s_or_b64 exec, exec, s[6:7]
	s_and_saveexec_b64 s[6:7], s[4:5]
	s_cbranch_execz .LBB24_1180
.LBB24_1179:
	v_bfe_u32 v10, v6, 24, 3
	v_ffbh_u32_e32 v14, v10
	v_min_u32_e32 v14, 32, v14
	v_lshrrev_b32_e32 v12, 27, v6
	v_subrev_u32_e32 v15, 28, v14
	v_and_b32_e32 v11, 0x80000000, v6
	v_and_b32_e32 v12, 15, v12
	v_bfe_u32 v13, v6, 27, 4
	v_lshlrev_b32_sdwa v6, v15, v6 dst_sel:DWORD dst_unused:UNUSED_PAD src0_sel:DWORD src1_sel:BYTE_3
	v_sub_u32_e32 v14, 29, v14
	v_and_b32_e32 v6, 7, v6
	v_cmp_eq_u16_e32 vcc, 0, v12
	v_cndmask_b32_e32 v6, v10, v6, vcc
	v_cndmask_b32_e32 v10, v13, v14, vcc
	v_mov_b32_e32 v12, 0x3b800000
	v_lshlrev_b32_e32 v6, 20, v6
	v_lshl_add_u32 v10, v10, 23, v12
	v_or3_b32 v10, v11, v10, v6
.LBB24_1180:
	s_or_b64 exec, exec, s[6:7]
	s_movk_i32 s4, 0x7f
	v_cmp_gt_i16_sdwa s[6:7], v2, s4 src0_sel:BYTE_3 src1_sel:DWORD
	s_mov_b64 s[4:5], 0
                                        ; implicit-def: $sgpr10
	s_and_saveexec_b64 s[8:9], s[6:7]
	s_xor_b64 s[6:7], exec, s[8:9]
	s_cbranch_execnz .LBB24_3229
; %bb.1181:
	s_or_saveexec_b64 s[6:7], s[6:7]
	v_mov_b32_e32 v6, s10
	s_xor_b64 exec, exec, s[6:7]
	s_cbranch_execnz .LBB24_3232
.LBB24_1182:
	s_or_b64 exec, exec, s[6:7]
	s_and_saveexec_b64 s[6:7], s[4:5]
	s_cbranch_execz .LBB24_1184
.LBB24_1183:
	v_bfe_u32 v6, v2, 24, 3
	v_ffbh_u32_e32 v14, v6
	v_min_u32_e32 v14, 32, v14
	v_lshrrev_b32_e32 v12, 27, v2
	v_subrev_u32_e32 v15, 28, v14
	v_and_b32_e32 v11, 0x80000000, v2
	v_and_b32_e32 v12, 15, v12
	v_bfe_u32 v13, v2, 27, 4
	v_lshlrev_b32_sdwa v2, v15, v2 dst_sel:DWORD dst_unused:UNUSED_PAD src0_sel:DWORD src1_sel:BYTE_3
	v_sub_u32_e32 v14, 29, v14
	v_and_b32_e32 v2, 7, v2
	v_cmp_eq_u16_e32 vcc, 0, v12
	v_cndmask_b32_e32 v2, v6, v2, vcc
	v_cndmask_b32_e32 v6, v13, v14, vcc
	v_mov_b32_e32 v12, 0x3b800000
	v_lshlrev_b32_e32 v2, 20, v2
	v_lshl_add_u32 v6, v6, 23, v12
	v_or3_b32 v6, v11, v6, v2
.LBB24_1184:
	s_or_b64 exec, exec, s[6:7]
	s_nop 0
	v_mfma_f32_16x16x4f32 a[0:3], v10, v6, a[0:3]
	s_movk_i32 s4, 0x7f
	v_cmp_gt_i16_sdwa s[6:7], v7, s4 src0_sel:BYTE_0 src1_sel:DWORD
	s_mov_b64 s[4:5], 0
                                        ; implicit-def: $sgpr10
	s_and_saveexec_b64 s[8:9], s[6:7]
	s_xor_b64 s[6:7], exec, s[8:9]
	s_cbranch_execnz .LBB24_3233
; %bb.1185:
	s_or_saveexec_b64 s[6:7], s[6:7]
	v_mov_b32_e32 v2, s10
	s_xor_b64 exec, exec, s[6:7]
	s_cbranch_execnz .LBB24_3236
.LBB24_1186:
	s_or_b64 exec, exec, s[6:7]
	s_and_saveexec_b64 s[6:7], s[4:5]
	s_cbranch_execz .LBB24_1188
.LBB24_1187:
	v_and_b32_e32 v2, 7, v7
	v_ffbh_u32_e32 v10, v2
	v_min_u32_e32 v10, 32, v10
	v_lshrrev_b16_e32 v6, 3, v7
	v_subrev_u32_e32 v11, 28, v10
	v_and_b32_e32 v6, 15, v6
	v_lshlrev_b32_e32 v11, v11, v7
	v_sub_u32_e32 v10, 29, v10
	v_and_b32_e32 v11, 7, v11
	v_cmp_eq_u16_e32 vcc, 0, v6
	v_cndmask_b32_e32 v2, v2, v11, vcc
	v_cndmask_b32_e32 v6, v6, v10, vcc
	v_lshlrev_b32_e32 v10, 24, v7
	v_mov_b32_e32 v11, 0x3b800000
	v_lshlrev_b32_e32 v2, 20, v2
	v_and_b32_e32 v10, 0x80000000, v10
	v_lshl_add_u32 v6, v6, 23, v11
	v_or3_b32 v2, v10, v6, v2
.LBB24_1188:
	s_or_b64 exec, exec, s[6:7]
	s_movk_i32 s4, 0x7f
	v_cmp_gt_i16_sdwa s[6:7], v3, s4 src0_sel:BYTE_0 src1_sel:DWORD
	s_mov_b64 s[4:5], 0
                                        ; implicit-def: $sgpr10
	s_and_saveexec_b64 s[8:9], s[6:7]
	s_xor_b64 s[6:7], exec, s[8:9]
	s_cbranch_execnz .LBB24_3237
; %bb.1189:
	s_or_saveexec_b64 s[6:7], s[6:7]
	v_mov_b32_e32 v6, s10
	s_xor_b64 exec, exec, s[6:7]
	s_cbranch_execnz .LBB24_3240
.LBB24_1190:
	s_or_b64 exec, exec, s[6:7]
	s_and_saveexec_b64 s[6:7], s[4:5]
	s_cbranch_execz .LBB24_1192
.LBB24_1191:
	v_and_b32_e32 v6, 7, v3
	v_ffbh_u32_e32 v11, v6
	v_min_u32_e32 v11, 32, v11
	v_lshrrev_b16_e32 v10, 3, v3
	v_subrev_u32_e32 v12, 28, v11
	v_and_b32_e32 v10, 15, v10
	v_lshlrev_b32_e32 v12, v12, v3
	v_sub_u32_e32 v11, 29, v11
	v_and_b32_e32 v12, 7, v12
	v_cmp_eq_u16_e32 vcc, 0, v10
	v_cndmask_b32_e32 v6, v6, v12, vcc
	v_cndmask_b32_e32 v10, v10, v11, vcc
	v_lshlrev_b32_e32 v11, 24, v3
	v_mov_b32_e32 v12, 0x3b800000
	v_lshlrev_b32_e32 v6, 20, v6
	v_and_b32_e32 v11, 0x80000000, v11
	v_lshl_add_u32 v10, v10, 23, v12
	v_or3_b32 v6, v11, v10, v6
.LBB24_1192:
	s_or_b64 exec, exec, s[6:7]
	s_nop 0
	v_mfma_f32_16x16x4f32 a[0:3], v2, v6, a[0:3]
	v_lshrrev_b32_e32 v6, 8, v7
	s_movk_i32 s4, 0x7f
	v_cmp_gt_i16_sdwa s[6:7], v6, s4 src0_sel:BYTE_0 src1_sel:DWORD
	s_mov_b64 s[4:5], 0
                                        ; implicit-def: $sgpr10
	s_and_saveexec_b64 s[8:9], s[6:7]
	s_xor_b64 s[6:7], exec, s[8:9]
	s_cbranch_execnz .LBB24_3241
; %bb.1193:
	s_or_saveexec_b64 s[6:7], s[6:7]
	v_mov_b32_e32 v2, s10
	s_xor_b64 exec, exec, s[6:7]
	s_cbranch_execnz .LBB24_3244
.LBB24_1194:
	s_or_b64 exec, exec, s[6:7]
	s_and_saveexec_b64 s[6:7], s[4:5]
	s_cbranch_execz .LBB24_1196
.LBB24_1195:
	v_bfe_u32 v2, v7, 8, 3
	v_ffbh_u32_e32 v11, v2
	v_min_u32_e32 v11, 32, v11
	v_lshrrev_b16_e32 v10, 3, v6
	v_subrev_u32_e32 v12, 28, v11
	v_and_b32_e32 v10, 15, v10
	v_lshlrev_b32_e32 v6, v12, v6
	v_sub_u32_e32 v11, 29, v11
	v_and_b32_e32 v6, 7, v6
	v_cmp_eq_u16_e32 vcc, 0, v10
	v_cndmask_b32_e32 v2, v2, v6, vcc
	v_cndmask_b32_e32 v6, v10, v11, vcc
	v_lshlrev_b32_e32 v10, 16, v7
	v_mov_b32_e32 v11, 0x3b800000
	v_lshlrev_b32_e32 v2, 20, v2
	v_and_b32_e32 v10, 0x80000000, v10
	v_lshl_add_u32 v6, v6, 23, v11
	v_or3_b32 v2, v10, v6, v2
.LBB24_1196:
	s_or_b64 exec, exec, s[6:7]
	v_lshrrev_b32_e32 v6, 8, v3
	s_movk_i32 s4, 0x7f
	v_cmp_gt_i16_sdwa s[6:7], v6, s4 src0_sel:BYTE_0 src1_sel:DWORD
	s_mov_b64 s[4:5], 0
                                        ; implicit-def: $sgpr10
	s_and_saveexec_b64 s[8:9], s[6:7]
	s_xor_b64 s[6:7], exec, s[8:9]
	s_cbranch_execnz .LBB24_3245
; %bb.1197:
	s_or_saveexec_b64 s[6:7], s[6:7]
	v_mov_b32_e32 v10, s10
	s_xor_b64 exec, exec, s[6:7]
	s_cbranch_execnz .LBB24_3248
.LBB24_1198:
	s_or_b64 exec, exec, s[6:7]
	s_and_saveexec_b64 s[6:7], s[4:5]
	s_cbranch_execz .LBB24_1200
.LBB24_1199:
	v_bfe_u32 v10, v3, 8, 3
	v_ffbh_u32_e32 v12, v10
	v_min_u32_e32 v12, 32, v12
	v_lshrrev_b16_e32 v11, 3, v6
	v_subrev_u32_e32 v13, 28, v12
	v_and_b32_e32 v11, 15, v11
	v_lshlrev_b32_e32 v6, v13, v6
	v_sub_u32_e32 v12, 29, v12
	v_and_b32_e32 v6, 7, v6
	v_cmp_eq_u16_e32 vcc, 0, v11
	v_cndmask_b32_e32 v6, v10, v6, vcc
	v_cndmask_b32_e32 v10, v11, v12, vcc
	v_lshlrev_b32_e32 v11, 16, v3
	v_mov_b32_e32 v12, 0x3b800000
	v_lshlrev_b32_e32 v6, 20, v6
	v_and_b32_e32 v11, 0x80000000, v11
	v_lshl_add_u32 v10, v10, 23, v12
	v_or3_b32 v10, v11, v10, v6
.LBB24_1200:
	s_or_b64 exec, exec, s[6:7]
	s_nop 0
	v_mfma_f32_16x16x4f32 a[0:3], v2, v10, a[0:3]
	s_movk_i32 s4, 0xff
	v_and_b32_sdwa v6, v7, s4 dst_sel:DWORD dst_unused:UNUSED_PAD src0_sel:WORD_1 src1_sel:DWORD
	s_movk_i32 s4, 0x7f
	v_cmp_lt_i16_e32 vcc, s4, v6
	s_mov_b64 s[4:5], 0
                                        ; implicit-def: $sgpr10
	s_and_saveexec_b64 s[6:7], vcc
	s_xor_b64 s[6:7], exec, s[6:7]
	s_cbranch_execnz .LBB24_3249
; %bb.1201:
	s_or_saveexec_b64 s[6:7], s[6:7]
	v_mov_b32_e32 v2, s10
	s_xor_b64 exec, exec, s[6:7]
	s_cbranch_execnz .LBB24_3252
.LBB24_1202:
	s_or_b64 exec, exec, s[6:7]
	s_and_saveexec_b64 s[6:7], s[4:5]
	s_cbranch_execz .LBB24_1204
.LBB24_1203:
	v_bfe_u32 v2, v7, 16, 3
	v_ffbh_u32_e32 v11, v2
	v_min_u32_e32 v11, 32, v11
	v_lshrrev_b32_e32 v6, 19, v7
	v_subrev_u32_e32 v12, 28, v11
	v_and_b32_e32 v6, 15, v6
	v_lshlrev_b32_sdwa v12, v12, v7 dst_sel:DWORD dst_unused:UNUSED_PAD src0_sel:DWORD src1_sel:WORD_1
	v_bfe_u32 v10, v7, 19, 4
	v_sub_u32_e32 v11, 29, v11
	v_and_b32_e32 v12, 7, v12
	v_cmp_eq_u16_e32 vcc, 0, v6
	v_cndmask_b32_e32 v2, v2, v12, vcc
	v_cndmask_b32_e32 v6, v10, v11, vcc
	v_lshlrev_b32_e32 v10, 8, v7
	v_mov_b32_e32 v11, 0x3b800000
	v_lshlrev_b32_e32 v2, 20, v2
	v_and_b32_e32 v10, 0x80000000, v10
	v_lshl_add_u32 v6, v6, 23, v11
	v_or3_b32 v2, v10, v6, v2
.LBB24_1204:
	s_or_b64 exec, exec, s[6:7]
	s_movk_i32 s4, 0xff
	v_and_b32_sdwa v6, v3, s4 dst_sel:DWORD dst_unused:UNUSED_PAD src0_sel:WORD_1 src1_sel:DWORD
	s_movk_i32 s4, 0x7f
	v_cmp_lt_i16_e32 vcc, s4, v6
	s_mov_b64 s[4:5], 0
                                        ; implicit-def: $sgpr10
	s_and_saveexec_b64 s[6:7], vcc
	s_xor_b64 s[6:7], exec, s[6:7]
	s_cbranch_execnz .LBB24_3253
; %bb.1205:
	s_or_saveexec_b64 s[6:7], s[6:7]
	v_mov_b32_e32 v10, s10
	s_xor_b64 exec, exec, s[6:7]
	s_cbranch_execnz .LBB24_3256
.LBB24_1206:
	s_or_b64 exec, exec, s[6:7]
	s_and_saveexec_b64 s[6:7], s[4:5]
	s_cbranch_execz .LBB24_1208
.LBB24_1207:
	v_bfe_u32 v6, v3, 16, 3
	v_ffbh_u32_e32 v12, v6
	v_min_u32_e32 v12, 32, v12
	v_lshrrev_b32_e32 v10, 19, v3
	v_subrev_u32_e32 v13, 28, v12
	v_and_b32_e32 v10, 15, v10
	v_lshlrev_b32_sdwa v13, v13, v3 dst_sel:DWORD dst_unused:UNUSED_PAD src0_sel:DWORD src1_sel:WORD_1
	v_bfe_u32 v11, v3, 19, 4
	v_sub_u32_e32 v12, 29, v12
	v_and_b32_e32 v13, 7, v13
	v_cmp_eq_u16_e32 vcc, 0, v10
	v_cndmask_b32_e32 v6, v6, v13, vcc
	v_cndmask_b32_e32 v10, v11, v12, vcc
	v_lshlrev_b32_e32 v11, 8, v3
	v_mov_b32_e32 v12, 0x3b800000
	v_lshlrev_b32_e32 v6, 20, v6
	v_and_b32_e32 v11, 0x80000000, v11
	v_lshl_add_u32 v10, v10, 23, v12
	v_or3_b32 v10, v11, v10, v6
.LBB24_1208:
	s_or_b64 exec, exec, s[6:7]
	s_nop 0
	v_mfma_f32_16x16x4f32 a[0:3], v2, v10, a[0:3]
	s_movk_i32 s4, 0x7f
	v_cmp_gt_i16_sdwa s[6:7], v7, s4 src0_sel:BYTE_3 src1_sel:DWORD
	s_mov_b64 s[4:5], 0
                                        ; implicit-def: $sgpr10
	s_and_saveexec_b64 s[8:9], s[6:7]
	s_xor_b64 s[6:7], exec, s[8:9]
	s_cbranch_execnz .LBB24_3257
; %bb.1209:
	s_or_saveexec_b64 s[6:7], s[6:7]
	v_mov_b32_e32 v2, s10
	s_xor_b64 exec, exec, s[6:7]
	s_cbranch_execnz .LBB24_3260
.LBB24_1210:
	s_or_b64 exec, exec, s[6:7]
	s_and_saveexec_b64 s[6:7], s[4:5]
	s_cbranch_execz .LBB24_1212
.LBB24_1211:
	v_bfe_u32 v2, v7, 24, 3
	v_ffbh_u32_e32 v12, v2
	v_min_u32_e32 v12, 32, v12
	v_lshrrev_b32_e32 v10, 27, v7
	v_subrev_u32_e32 v13, 28, v12
	v_and_b32_e32 v6, 0x80000000, v7
	v_and_b32_e32 v10, 15, v10
	v_bfe_u32 v11, v7, 27, 4
	v_lshlrev_b32_sdwa v7, v13, v7 dst_sel:DWORD dst_unused:UNUSED_PAD src0_sel:DWORD src1_sel:BYTE_3
	v_sub_u32_e32 v12, 29, v12
	v_and_b32_e32 v7, 7, v7
	v_cmp_eq_u16_e32 vcc, 0, v10
	v_cndmask_b32_e32 v2, v2, v7, vcc
	v_cndmask_b32_e32 v7, v11, v12, vcc
	v_mov_b32_e32 v10, 0x3b800000
	v_lshlrev_b32_e32 v2, 20, v2
	v_lshl_add_u32 v7, v7, 23, v10
	v_or3_b32 v2, v6, v7, v2
.LBB24_1212:
	s_or_b64 exec, exec, s[6:7]
	s_movk_i32 s4, 0x7f
	v_cmp_gt_i16_sdwa s[6:7], v3, s4 src0_sel:BYTE_3 src1_sel:DWORD
	s_mov_b64 s[4:5], 0
                                        ; implicit-def: $sgpr10
	s_and_saveexec_b64 s[8:9], s[6:7]
	s_xor_b64 s[6:7], exec, s[8:9]
	s_cbranch_execnz .LBB24_3261
; %bb.1213:
	s_or_saveexec_b64 s[6:7], s[6:7]
	v_mov_b32_e32 v6, s10
	s_xor_b64 exec, exec, s[6:7]
	s_cbranch_execnz .LBB24_3264
.LBB24_1214:
	s_or_b64 exec, exec, s[6:7]
	s_and_saveexec_b64 s[6:7], s[4:5]
	s_cbranch_execz .LBB24_1216
.LBB24_1215:
	v_bfe_u32 v6, v3, 24, 3
	v_ffbh_u32_e32 v12, v6
	v_min_u32_e32 v12, 32, v12
	v_lshrrev_b32_e32 v10, 27, v3
	v_subrev_u32_e32 v13, 28, v12
	v_and_b32_e32 v7, 0x80000000, v3
	v_and_b32_e32 v10, 15, v10
	v_bfe_u32 v11, v3, 27, 4
	v_lshlrev_b32_sdwa v3, v13, v3 dst_sel:DWORD dst_unused:UNUSED_PAD src0_sel:DWORD src1_sel:BYTE_3
	v_sub_u32_e32 v12, 29, v12
	v_and_b32_e32 v3, 7, v3
	v_cmp_eq_u16_e32 vcc, 0, v10
	v_cndmask_b32_e32 v3, v6, v3, vcc
	v_cndmask_b32_e32 v6, v11, v12, vcc
	v_mov_b32_e32 v10, 0x3b800000
	v_lshlrev_b32_e32 v3, 20, v3
	v_lshl_add_u32 v6, v6, 23, v10
	v_or3_b32 v6, v7, v6, v3
.LBB24_1216:
	s_or_b64 exec, exec, s[6:7]
	s_nop 0
	v_mfma_f32_16x16x4f32 a[0:3], v2, v6, a[0:3]
	s_movk_i32 s4, 0x7f
	v_cmp_gt_i16_sdwa s[6:7], v8, s4 src0_sel:BYTE_0 src1_sel:DWORD
	s_mov_b64 s[4:5], 0
                                        ; implicit-def: $sgpr10
	s_and_saveexec_b64 s[8:9], s[6:7]
	s_xor_b64 s[6:7], exec, s[8:9]
	s_cbranch_execnz .LBB24_3265
; %bb.1217:
	s_or_saveexec_b64 s[6:7], s[6:7]
	v_mov_b32_e32 v2, s10
	s_xor_b64 exec, exec, s[6:7]
	s_cbranch_execnz .LBB24_3268
.LBB24_1218:
	s_or_b64 exec, exec, s[6:7]
	s_and_saveexec_b64 s[6:7], s[4:5]
	s_cbranch_execz .LBB24_1220
.LBB24_1219:
	v_and_b32_e32 v2, 7, v8
	v_ffbh_u32_e32 v6, v2
	v_min_u32_e32 v6, 32, v6
	v_lshrrev_b16_e32 v3, 3, v8
	v_subrev_u32_e32 v7, 28, v6
	v_and_b32_e32 v3, 15, v3
	v_lshlrev_b32_e32 v7, v7, v8
	v_sub_u32_e32 v6, 29, v6
	v_and_b32_e32 v7, 7, v7
	v_cmp_eq_u16_e32 vcc, 0, v3
	v_cndmask_b32_e32 v2, v2, v7, vcc
	v_cndmask_b32_e32 v3, v3, v6, vcc
	v_lshlrev_b32_e32 v6, 24, v8
	v_mov_b32_e32 v7, 0x3b800000
	v_lshlrev_b32_e32 v2, 20, v2
	v_and_b32_e32 v6, 0x80000000, v6
	v_lshl_add_u32 v3, v3, 23, v7
	v_or3_b32 v2, v6, v3, v2
.LBB24_1220:
	s_or_b64 exec, exec, s[6:7]
	s_movk_i32 s4, 0x7f
	v_cmp_gt_i16_sdwa s[6:7], v4, s4 src0_sel:BYTE_0 src1_sel:DWORD
	s_mov_b64 s[4:5], 0
                                        ; implicit-def: $sgpr10
	s_and_saveexec_b64 s[8:9], s[6:7]
	s_xor_b64 s[6:7], exec, s[8:9]
	s_cbranch_execnz .LBB24_3269
; %bb.1221:
	s_or_saveexec_b64 s[6:7], s[6:7]
	v_mov_b32_e32 v3, s10
	s_xor_b64 exec, exec, s[6:7]
	s_cbranch_execnz .LBB24_3272
.LBB24_1222:
	s_or_b64 exec, exec, s[6:7]
	s_and_saveexec_b64 s[6:7], s[4:5]
	s_cbranch_execz .LBB24_1224
.LBB24_1223:
	v_and_b32_e32 v3, 7, v4
	v_ffbh_u32_e32 v7, v3
	v_min_u32_e32 v7, 32, v7
	v_lshrrev_b16_e32 v6, 3, v4
	v_subrev_u32_e32 v10, 28, v7
	v_and_b32_e32 v6, 15, v6
	v_lshlrev_b32_e32 v10, v10, v4
	v_sub_u32_e32 v7, 29, v7
	v_and_b32_e32 v10, 7, v10
	v_cmp_eq_u16_e32 vcc, 0, v6
	v_cndmask_b32_e32 v3, v3, v10, vcc
	v_cndmask_b32_e32 v6, v6, v7, vcc
	v_lshlrev_b32_e32 v7, 24, v4
	v_mov_b32_e32 v10, 0x3b800000
	v_lshlrev_b32_e32 v3, 20, v3
	v_and_b32_e32 v7, 0x80000000, v7
	v_lshl_add_u32 v6, v6, 23, v10
	v_or3_b32 v3, v7, v6, v3
.LBB24_1224:
	s_or_b64 exec, exec, s[6:7]
	s_nop 0
	v_mfma_f32_16x16x4f32 a[0:3], v2, v3, a[0:3]
	v_lshrrev_b32_e32 v3, 8, v8
	s_movk_i32 s4, 0x7f
	v_cmp_gt_i16_sdwa s[6:7], v3, s4 src0_sel:BYTE_0 src1_sel:DWORD
	s_mov_b64 s[4:5], 0
                                        ; implicit-def: $sgpr10
	s_and_saveexec_b64 s[8:9], s[6:7]
	s_xor_b64 s[6:7], exec, s[8:9]
	s_cbranch_execnz .LBB24_3273
; %bb.1225:
	s_or_saveexec_b64 s[6:7], s[6:7]
	v_mov_b32_e32 v2, s10
	s_xor_b64 exec, exec, s[6:7]
	s_cbranch_execnz .LBB24_3276
.LBB24_1226:
	s_or_b64 exec, exec, s[6:7]
	s_and_saveexec_b64 s[6:7], s[4:5]
	s_cbranch_execz .LBB24_1228
.LBB24_1227:
	v_bfe_u32 v2, v8, 8, 3
	v_ffbh_u32_e32 v7, v2
	v_min_u32_e32 v7, 32, v7
	v_lshrrev_b16_e32 v6, 3, v3
	v_subrev_u32_e32 v10, 28, v7
	v_and_b32_e32 v6, 15, v6
	v_lshlrev_b32_e32 v3, v10, v3
	v_sub_u32_e32 v7, 29, v7
	v_and_b32_e32 v3, 7, v3
	v_cmp_eq_u16_e32 vcc, 0, v6
	v_cndmask_b32_e32 v2, v2, v3, vcc
	v_cndmask_b32_e32 v3, v6, v7, vcc
	v_lshlrev_b32_e32 v6, 16, v8
	v_mov_b32_e32 v7, 0x3b800000
	v_lshlrev_b32_e32 v2, 20, v2
	v_and_b32_e32 v6, 0x80000000, v6
	v_lshl_add_u32 v3, v3, 23, v7
	v_or3_b32 v2, v6, v3, v2
.LBB24_1228:
	s_or_b64 exec, exec, s[6:7]
	v_lshrrev_b32_e32 v3, 8, v4
	s_movk_i32 s4, 0x7f
	v_cmp_gt_i16_sdwa s[6:7], v3, s4 src0_sel:BYTE_0 src1_sel:DWORD
	s_mov_b64 s[4:5], 0
                                        ; implicit-def: $sgpr10
	s_and_saveexec_b64 s[8:9], s[6:7]
	s_xor_b64 s[6:7], exec, s[8:9]
	s_cbranch_execnz .LBB24_3277
; %bb.1229:
	s_or_saveexec_b64 s[6:7], s[6:7]
	v_mov_b32_e32 v6, s10
	s_xor_b64 exec, exec, s[6:7]
	s_cbranch_execnz .LBB24_3280
.LBB24_1230:
	s_or_b64 exec, exec, s[6:7]
	s_and_saveexec_b64 s[6:7], s[4:5]
	s_cbranch_execz .LBB24_1232
.LBB24_1231:
	v_bfe_u32 v6, v4, 8, 3
	v_ffbh_u32_e32 v10, v6
	v_min_u32_e32 v10, 32, v10
	v_lshrrev_b16_e32 v7, 3, v3
	v_subrev_u32_e32 v11, 28, v10
	v_and_b32_e32 v7, 15, v7
	v_lshlrev_b32_e32 v3, v11, v3
	v_sub_u32_e32 v10, 29, v10
	v_and_b32_e32 v3, 7, v3
	v_cmp_eq_u16_e32 vcc, 0, v7
	v_cndmask_b32_e32 v3, v6, v3, vcc
	v_cndmask_b32_e32 v6, v7, v10, vcc
	v_lshlrev_b32_e32 v7, 16, v4
	v_mov_b32_e32 v10, 0x3b800000
	v_lshlrev_b32_e32 v3, 20, v3
	v_and_b32_e32 v7, 0x80000000, v7
	v_lshl_add_u32 v6, v6, 23, v10
	v_or3_b32 v6, v7, v6, v3
.LBB24_1232:
	s_or_b64 exec, exec, s[6:7]
	s_nop 0
	v_mfma_f32_16x16x4f32 a[0:3], v2, v6, a[0:3]
	s_movk_i32 s4, 0xff
	v_and_b32_sdwa v3, v8, s4 dst_sel:DWORD dst_unused:UNUSED_PAD src0_sel:WORD_1 src1_sel:DWORD
	s_movk_i32 s4, 0x7f
	v_cmp_lt_i16_e32 vcc, s4, v3
	s_mov_b64 s[4:5], 0
                                        ; implicit-def: $sgpr10
	s_and_saveexec_b64 s[6:7], vcc
	s_xor_b64 s[6:7], exec, s[6:7]
	s_cbranch_execnz .LBB24_3281
; %bb.1233:
	s_or_saveexec_b64 s[6:7], s[6:7]
	v_mov_b32_e32 v2, s10
	s_xor_b64 exec, exec, s[6:7]
	s_cbranch_execnz .LBB24_3284
.LBB24_1234:
	s_or_b64 exec, exec, s[6:7]
	s_and_saveexec_b64 s[6:7], s[4:5]
	s_cbranch_execz .LBB24_1236
.LBB24_1235:
	v_bfe_u32 v2, v8, 16, 3
	v_ffbh_u32_e32 v7, v2
	v_min_u32_e32 v7, 32, v7
	v_lshrrev_b32_e32 v3, 19, v8
	v_subrev_u32_e32 v10, 28, v7
	v_and_b32_e32 v3, 15, v3
	v_lshlrev_b32_sdwa v10, v10, v8 dst_sel:DWORD dst_unused:UNUSED_PAD src0_sel:DWORD src1_sel:WORD_1
	v_bfe_u32 v6, v8, 19, 4
	v_sub_u32_e32 v7, 29, v7
	v_and_b32_e32 v10, 7, v10
	v_cmp_eq_u16_e32 vcc, 0, v3
	v_cndmask_b32_e32 v2, v2, v10, vcc
	v_cndmask_b32_e32 v3, v6, v7, vcc
	v_lshlrev_b32_e32 v6, 8, v8
	v_mov_b32_e32 v7, 0x3b800000
	v_lshlrev_b32_e32 v2, 20, v2
	v_and_b32_e32 v6, 0x80000000, v6
	v_lshl_add_u32 v3, v3, 23, v7
	v_or3_b32 v2, v6, v3, v2
.LBB24_1236:
	s_or_b64 exec, exec, s[6:7]
	s_movk_i32 s4, 0xff
	v_and_b32_sdwa v3, v4, s4 dst_sel:DWORD dst_unused:UNUSED_PAD src0_sel:WORD_1 src1_sel:DWORD
	s_movk_i32 s4, 0x7f
	v_cmp_lt_i16_e32 vcc, s4, v3
	s_mov_b64 s[4:5], 0
                                        ; implicit-def: $sgpr10
	s_and_saveexec_b64 s[6:7], vcc
	s_xor_b64 s[6:7], exec, s[6:7]
	s_cbranch_execnz .LBB24_3285
; %bb.1237:
	s_or_saveexec_b64 s[6:7], s[6:7]
	v_mov_b32_e32 v6, s10
	s_xor_b64 exec, exec, s[6:7]
	s_cbranch_execnz .LBB24_3288
.LBB24_1238:
	s_or_b64 exec, exec, s[6:7]
	s_and_saveexec_b64 s[6:7], s[4:5]
	s_cbranch_execz .LBB24_1240
.LBB24_1239:
	v_bfe_u32 v3, v4, 16, 3
	v_ffbh_u32_e32 v10, v3
	v_min_u32_e32 v10, 32, v10
	v_lshrrev_b32_e32 v6, 19, v4
	v_subrev_u32_e32 v11, 28, v10
	v_and_b32_e32 v6, 15, v6
	v_lshlrev_b32_sdwa v11, v11, v4 dst_sel:DWORD dst_unused:UNUSED_PAD src0_sel:DWORD src1_sel:WORD_1
	v_bfe_u32 v7, v4, 19, 4
	v_sub_u32_e32 v10, 29, v10
	v_and_b32_e32 v11, 7, v11
	v_cmp_eq_u16_e32 vcc, 0, v6
	v_cndmask_b32_e32 v3, v3, v11, vcc
	v_cndmask_b32_e32 v6, v7, v10, vcc
	v_lshlrev_b32_e32 v7, 8, v4
	v_mov_b32_e32 v10, 0x3b800000
	v_lshlrev_b32_e32 v3, 20, v3
	v_and_b32_e32 v7, 0x80000000, v7
	v_lshl_add_u32 v6, v6, 23, v10
	v_or3_b32 v6, v7, v6, v3
.LBB24_1240:
	s_or_b64 exec, exec, s[6:7]
	s_nop 0
	v_mfma_f32_16x16x4f32 a[0:3], v2, v6, a[0:3]
	s_movk_i32 s4, 0x7f
	v_cmp_gt_i16_sdwa s[6:7], v8, s4 src0_sel:BYTE_3 src1_sel:DWORD
	s_mov_b64 s[4:5], 0
                                        ; implicit-def: $sgpr10
	s_and_saveexec_b64 s[8:9], s[6:7]
	s_xor_b64 s[6:7], exec, s[8:9]
	s_cbranch_execnz .LBB24_3289
; %bb.1241:
	s_or_saveexec_b64 s[6:7], s[6:7]
	v_mov_b32_e32 v2, s10
	s_xor_b64 exec, exec, s[6:7]
	s_cbranch_execnz .LBB24_3292
.LBB24_1242:
	s_or_b64 exec, exec, s[6:7]
	s_and_saveexec_b64 s[6:7], s[4:5]
	s_cbranch_execz .LBB24_1244
.LBB24_1243:
	v_bfe_u32 v2, v8, 24, 3
	v_ffbh_u32_e32 v10, v2
	v_min_u32_e32 v10, 32, v10
	v_lshrrev_b32_e32 v6, 27, v8
	v_subrev_u32_e32 v11, 28, v10
	v_and_b32_e32 v3, 0x80000000, v8
	v_and_b32_e32 v6, 15, v6
	v_bfe_u32 v7, v8, 27, 4
	v_lshlrev_b32_sdwa v8, v11, v8 dst_sel:DWORD dst_unused:UNUSED_PAD src0_sel:DWORD src1_sel:BYTE_3
	v_sub_u32_e32 v10, 29, v10
	v_and_b32_e32 v8, 7, v8
	v_cmp_eq_u16_e32 vcc, 0, v6
	v_cndmask_b32_e32 v2, v2, v8, vcc
	v_cndmask_b32_e32 v6, v7, v10, vcc
	v_mov_b32_e32 v7, 0x3b800000
	v_lshlrev_b32_e32 v2, 20, v2
	v_lshl_add_u32 v6, v6, 23, v7
	v_or3_b32 v2, v3, v6, v2
.LBB24_1244:
	s_or_b64 exec, exec, s[6:7]
	s_movk_i32 s4, 0x7f
	v_cmp_gt_i16_sdwa s[6:7], v4, s4 src0_sel:BYTE_3 src1_sel:DWORD
	s_mov_b64 s[4:5], 0
                                        ; implicit-def: $sgpr10
	s_and_saveexec_b64 s[8:9], s[6:7]
	s_xor_b64 s[6:7], exec, s[8:9]
	s_cbranch_execnz .LBB24_3293
; %bb.1245:
	s_or_saveexec_b64 s[6:7], s[6:7]
	v_mov_b32_e32 v3, s10
	s_xor_b64 exec, exec, s[6:7]
	s_cbranch_execnz .LBB24_3296
.LBB24_1246:
	s_or_b64 exec, exec, s[6:7]
	s_and_saveexec_b64 s[6:7], s[4:5]
	s_cbranch_execz .LBB24_1248
.LBB24_1247:
	v_bfe_u32 v3, v4, 24, 3
	v_ffbh_u32_e32 v10, v3
	v_min_u32_e32 v10, 32, v10
	v_lshrrev_b32_e32 v7, 27, v4
	v_subrev_u32_e32 v11, 28, v10
	v_and_b32_e32 v6, 0x80000000, v4
	v_and_b32_e32 v7, 15, v7
	v_bfe_u32 v8, v4, 27, 4
	v_lshlrev_b32_sdwa v4, v11, v4 dst_sel:DWORD dst_unused:UNUSED_PAD src0_sel:DWORD src1_sel:BYTE_3
	v_sub_u32_e32 v10, 29, v10
	v_and_b32_e32 v4, 7, v4
	v_cmp_eq_u16_e32 vcc, 0, v7
	v_cndmask_b32_e32 v3, v3, v4, vcc
	v_cndmask_b32_e32 v4, v8, v10, vcc
	v_mov_b32_e32 v7, 0x3b800000
	v_lshlrev_b32_e32 v3, 20, v3
	v_lshl_add_u32 v4, v4, 23, v7
	v_or3_b32 v3, v6, v4, v3
.LBB24_1248:
	s_or_b64 exec, exec, s[6:7]
	s_nop 0
	v_mfma_f32_16x16x4f32 a[0:3], v2, v3, a[0:3]
	s_movk_i32 s4, 0x7f
	v_cmp_gt_i16_sdwa s[6:7], v9, s4 src0_sel:BYTE_0 src1_sel:DWORD
	s_mov_b64 s[4:5], 0
                                        ; implicit-def: $sgpr10
	s_and_saveexec_b64 s[8:9], s[6:7]
	s_xor_b64 s[6:7], exec, s[8:9]
	s_cbranch_execnz .LBB24_3297
; %bb.1249:
	s_or_saveexec_b64 s[6:7], s[6:7]
	v_mov_b32_e32 v2, s10
	s_xor_b64 exec, exec, s[6:7]
	s_cbranch_execnz .LBB24_3300
.LBB24_1250:
	s_or_b64 exec, exec, s[6:7]
	s_and_saveexec_b64 s[6:7], s[4:5]
	s_cbranch_execz .LBB24_1252
.LBB24_1251:
	v_mov_b32_e32 v2, 8
	v_and_b32_e32 v3, 7, v9
	v_lshrrev_b32_sdwa v2, v2, v9 dst_sel:BYTE_1 dst_unused:UNUSED_PAD src0_sel:DWORD src1_sel:DWORD
	v_ffbh_u32_e32 v4, v3
	v_or_b32_sdwa v2, v9, v2 dst_sel:DWORD dst_unused:UNUSED_PAD src0_sel:BYTE_0 src1_sel:DWORD
	v_min_u32_e32 v4, 32, v4
	v_lshrrev_b16_e32 v2, 3, v2
	v_subrev_u32_e32 v6, 28, v4
	v_and_b32_e32 v2, 15, v2
	v_lshlrev_b32_e32 v6, v6, v9
	v_sub_u32_e32 v4, 29, v4
	v_and_b32_e32 v6, 7, v6
	v_cmp_eq_u16_e32 vcc, 0, v2
	v_cndmask_b32_e32 v3, v3, v6, vcc
	v_cndmask_b32_e32 v2, v2, v4, vcc
	v_lshlrev_b32_e32 v4, 24, v9
	v_mov_b32_e32 v6, 0x3b800000
	v_lshlrev_b32_e32 v3, 20, v3
	v_and_b32_e32 v4, 0x80000000, v4
	v_lshl_add_u32 v2, v2, 23, v6
	v_or3_b32 v2, v4, v2, v3
.LBB24_1252:
	s_or_b64 exec, exec, s[6:7]
	s_movk_i32 s4, 0x7f
	v_cmp_gt_i16_sdwa s[6:7], v5, s4 src0_sel:BYTE_0 src1_sel:DWORD
	s_mov_b64 s[4:5], 0
                                        ; implicit-def: $sgpr10
	s_and_saveexec_b64 s[8:9], s[6:7]
	s_xor_b64 s[6:7], exec, s[8:9]
	s_cbranch_execnz .LBB24_3301
; %bb.1253:
	s_or_saveexec_b64 s[6:7], s[6:7]
	v_mov_b32_e32 v3, s10
	s_xor_b64 exec, exec, s[6:7]
	s_cbranch_execnz .LBB24_3304
.LBB24_1254:
	s_or_b64 exec, exec, s[6:7]
	s_and_saveexec_b64 s[6:7], s[4:5]
	s_cbranch_execz .LBB24_1256
.LBB24_1255:
	v_mov_b32_e32 v3, 8
	v_and_b32_e32 v4, 7, v5
	v_lshrrev_b32_sdwa v3, v3, v5 dst_sel:BYTE_1 dst_unused:UNUSED_PAD src0_sel:DWORD src1_sel:DWORD
	v_ffbh_u32_e32 v6, v4
	v_or_b32_sdwa v3, v5, v3 dst_sel:DWORD dst_unused:UNUSED_PAD src0_sel:BYTE_0 src1_sel:DWORD
	v_min_u32_e32 v6, 32, v6
	v_lshrrev_b16_e32 v3, 3, v3
	v_subrev_u32_e32 v7, 28, v6
	v_and_b32_e32 v3, 15, v3
	v_lshlrev_b32_e32 v7, v7, v5
	v_sub_u32_e32 v6, 29, v6
	v_and_b32_e32 v7, 7, v7
	v_cmp_eq_u16_e32 vcc, 0, v3
	v_cndmask_b32_e32 v4, v4, v7, vcc
	v_cndmask_b32_e32 v3, v3, v6, vcc
	v_lshlrev_b32_e32 v6, 24, v5
	v_mov_b32_e32 v7, 0x3b800000
	v_lshlrev_b32_e32 v4, 20, v4
	v_and_b32_e32 v6, 0x80000000, v6
	v_lshl_add_u32 v3, v3, 23, v7
	v_or3_b32 v3, v6, v3, v4
.LBB24_1256:
	s_or_b64 exec, exec, s[6:7]
	s_nop 0
	v_mfma_f32_16x16x4f32 a[0:3], v2, v3, a[0:3]
	v_lshrrev_b32_e32 v3, 8, v9
	s_movk_i32 s4, 0x7f
	v_cmp_gt_i16_sdwa s[6:7], v3, s4 src0_sel:BYTE_0 src1_sel:DWORD
	s_mov_b64 s[4:5], 0
                                        ; implicit-def: $sgpr10
	s_and_saveexec_b64 s[8:9], s[6:7]
	s_xor_b64 s[6:7], exec, s[8:9]
	s_cbranch_execnz .LBB24_3305
; %bb.1257:
	s_or_saveexec_b64 s[6:7], s[6:7]
	v_mov_b32_e32 v2, s10
	s_xor_b64 exec, exec, s[6:7]
	s_cbranch_execnz .LBB24_3308
.LBB24_1258:
	s_or_b64 exec, exec, s[6:7]
	s_and_saveexec_b64 s[6:7], s[4:5]
	s_cbranch_execz .LBB24_1260
.LBB24_1259:
	v_bfe_u32 v2, v9, 8, 3
	v_ffbh_u32_e32 v6, v2
	v_min_u32_e32 v6, 32, v6
	v_lshrrev_b16_e32 v4, 3, v3
	v_subrev_u32_e32 v7, 28, v6
	v_and_b32_e32 v4, 15, v4
	v_lshlrev_b32_e32 v3, v7, v3
	v_sub_u32_e32 v6, 29, v6
	v_and_b32_e32 v3, 7, v3
	v_cmp_eq_u16_e32 vcc, 0, v4
	v_cndmask_b32_e32 v2, v2, v3, vcc
	v_cndmask_b32_e32 v3, v4, v6, vcc
	v_lshlrev_b32_e32 v4, 16, v9
	v_mov_b32_e32 v6, 0x3b800000
	v_lshlrev_b32_e32 v2, 20, v2
	v_and_b32_e32 v4, 0x80000000, v4
	v_lshl_add_u32 v3, v3, 23, v6
	v_or3_b32 v2, v4, v3, v2
.LBB24_1260:
	s_or_b64 exec, exec, s[6:7]
	v_lshrrev_b32_e32 v3, 8, v5
	s_movk_i32 s4, 0x7f
	v_cmp_gt_i16_sdwa s[6:7], v3, s4 src0_sel:BYTE_0 src1_sel:DWORD
	s_mov_b64 s[4:5], 0
                                        ; implicit-def: $sgpr10
	s_and_saveexec_b64 s[8:9], s[6:7]
	s_xor_b64 s[6:7], exec, s[8:9]
	s_cbranch_execnz .LBB24_3309
; %bb.1261:
	s_or_saveexec_b64 s[6:7], s[6:7]
	v_mov_b32_e32 v4, s10
	s_xor_b64 exec, exec, s[6:7]
	s_cbranch_execnz .LBB24_3312
.LBB24_1262:
	s_or_b64 exec, exec, s[6:7]
	s_and_saveexec_b64 s[6:7], s[4:5]
	s_cbranch_execz .LBB24_1264
.LBB24_1263:
	v_bfe_u32 v4, v5, 8, 3
	v_ffbh_u32_e32 v7, v4
	v_min_u32_e32 v7, 32, v7
	v_lshrrev_b16_e32 v6, 3, v3
	v_subrev_u32_e32 v8, 28, v7
	v_and_b32_e32 v6, 15, v6
	v_lshlrev_b32_e32 v3, v8, v3
	v_sub_u32_e32 v7, 29, v7
	v_and_b32_e32 v3, 7, v3
	v_cmp_eq_u16_e32 vcc, 0, v6
	v_cndmask_b32_e32 v3, v4, v3, vcc
	v_cndmask_b32_e32 v4, v6, v7, vcc
	v_lshlrev_b32_e32 v6, 16, v5
	v_mov_b32_e32 v7, 0x3b800000
	v_lshlrev_b32_e32 v3, 20, v3
	v_and_b32_e32 v6, 0x80000000, v6
	v_lshl_add_u32 v4, v4, 23, v7
	v_or3_b32 v4, v6, v4, v3
.LBB24_1264:
	s_or_b64 exec, exec, s[6:7]
	s_nop 0
	v_mfma_f32_16x16x4f32 a[0:3], v2, v4, a[0:3]
	s_movk_i32 s4, 0xff
	v_and_b32_sdwa v3, v9, s4 dst_sel:DWORD dst_unused:UNUSED_PAD src0_sel:WORD_1 src1_sel:DWORD
	s_movk_i32 s4, 0x7f
	v_cmp_lt_i16_e32 vcc, s4, v3
	s_mov_b64 s[4:5], 0
                                        ; implicit-def: $sgpr10
	s_and_saveexec_b64 s[6:7], vcc
	s_xor_b64 s[6:7], exec, s[6:7]
	s_cbranch_execnz .LBB24_3313
; %bb.1265:
	s_or_saveexec_b64 s[6:7], s[6:7]
	v_mov_b32_e32 v2, s10
	s_xor_b64 exec, exec, s[6:7]
	s_cbranch_execnz .LBB24_3316
.LBB24_1266:
	s_or_b64 exec, exec, s[6:7]
	s_and_saveexec_b64 s[6:7], s[4:5]
	s_cbranch_execz .LBB24_1268
.LBB24_1267:
	v_bfe_u32 v2, v9, 16, 3
	v_ffbh_u32_e32 v6, v2
	v_min_u32_e32 v6, 32, v6
	v_lshrrev_b32_e32 v3, 19, v9
	v_subrev_u32_e32 v7, 28, v6
	v_and_b32_e32 v3, 15, v3
	v_lshlrev_b32_sdwa v7, v7, v9 dst_sel:DWORD dst_unused:UNUSED_PAD src0_sel:DWORD src1_sel:WORD_1
	v_bfe_u32 v4, v9, 19, 4
	v_sub_u32_e32 v6, 29, v6
	v_and_b32_e32 v7, 7, v7
	v_cmp_eq_u16_e32 vcc, 0, v3
	v_cndmask_b32_e32 v2, v2, v7, vcc
	v_cndmask_b32_e32 v3, v4, v6, vcc
	v_lshlrev_b32_e32 v4, 8, v9
	v_mov_b32_e32 v6, 0x3b800000
	v_lshlrev_b32_e32 v2, 20, v2
	v_and_b32_e32 v4, 0x80000000, v4
	v_lshl_add_u32 v3, v3, 23, v6
	v_or3_b32 v2, v4, v3, v2
.LBB24_1268:
	s_or_b64 exec, exec, s[6:7]
	s_movk_i32 s4, 0xff
	v_and_b32_sdwa v3, v5, s4 dst_sel:DWORD dst_unused:UNUSED_PAD src0_sel:WORD_1 src1_sel:DWORD
	s_movk_i32 s4, 0x7f
	v_cmp_lt_i16_e32 vcc, s4, v3
	s_mov_b64 s[4:5], 0
                                        ; implicit-def: $sgpr10
	s_and_saveexec_b64 s[6:7], vcc
	s_xor_b64 s[6:7], exec, s[6:7]
	s_cbranch_execnz .LBB24_3317
; %bb.1269:
	s_or_saveexec_b64 s[6:7], s[6:7]
	v_mov_b32_e32 v4, s10
	s_xor_b64 exec, exec, s[6:7]
	s_cbranch_execnz .LBB24_3320
.LBB24_1270:
	s_or_b64 exec, exec, s[6:7]
	s_and_saveexec_b64 s[6:7], s[4:5]
	s_cbranch_execz .LBB24_1272
.LBB24_1271:
	v_bfe_u32 v3, v5, 16, 3
	v_ffbh_u32_e32 v7, v3
	v_min_u32_e32 v7, 32, v7
	v_lshrrev_b32_e32 v4, 19, v5
	v_subrev_u32_e32 v8, 28, v7
	v_and_b32_e32 v4, 15, v4
	v_lshlrev_b32_sdwa v8, v8, v5 dst_sel:DWORD dst_unused:UNUSED_PAD src0_sel:DWORD src1_sel:WORD_1
	v_bfe_u32 v6, v5, 19, 4
	v_sub_u32_e32 v7, 29, v7
	v_and_b32_e32 v8, 7, v8
	v_cmp_eq_u16_e32 vcc, 0, v4
	v_cndmask_b32_e32 v3, v3, v8, vcc
	v_cndmask_b32_e32 v4, v6, v7, vcc
	v_lshlrev_b32_e32 v6, 8, v5
	v_mov_b32_e32 v7, 0x3b800000
	v_lshlrev_b32_e32 v3, 20, v3
	v_and_b32_e32 v6, 0x80000000, v6
	v_lshl_add_u32 v4, v4, 23, v7
	v_or3_b32 v4, v6, v4, v3
.LBB24_1272:
	s_or_b64 exec, exec, s[6:7]
	s_nop 0
	v_mfma_f32_16x16x4f32 a[0:3], v2, v4, a[0:3]
	s_movk_i32 s4, 0x7f
	v_cmp_gt_i16_sdwa s[6:7], v9, s4 src0_sel:BYTE_3 src1_sel:DWORD
	s_mov_b64 s[4:5], 0
                                        ; implicit-def: $sgpr10
	s_and_saveexec_b64 s[8:9], s[6:7]
	s_xor_b64 s[6:7], exec, s[8:9]
	s_cbranch_execnz .LBB24_3321
; %bb.1273:
	s_or_saveexec_b64 s[6:7], s[6:7]
	v_mov_b32_e32 v2, s10
	s_xor_b64 exec, exec, s[6:7]
	s_cbranch_execnz .LBB24_3324
.LBB24_1274:
	s_or_b64 exec, exec, s[6:7]
	s_and_saveexec_b64 s[6:7], s[4:5]
	s_cbranch_execz .LBB24_1276
.LBB24_1275:
	v_bfe_u32 v2, v9, 24, 3
	v_ffbh_u32_e32 v7, v2
	v_min_u32_e32 v7, 32, v7
	v_lshrrev_b32_e32 v4, 27, v9
	v_subrev_u32_e32 v8, 28, v7
	v_and_b32_e32 v4, 15, v4
	v_lshlrev_b32_sdwa v8, v8, v9 dst_sel:DWORD dst_unused:UNUSED_PAD src0_sel:DWORD src1_sel:BYTE_3
	v_bfe_u32 v6, v9, 27, 4
	v_sub_u32_e32 v7, 29, v7
	v_and_b32_e32 v8, 7, v8
	v_cmp_eq_u16_e32 vcc, 0, v4
	v_cndmask_b32_e32 v2, v2, v8, vcc
	v_cndmask_b32_e32 v4, v6, v7, vcc
	v_mov_b32_e32 v6, 0x3b800000
	v_and_b32_e32 v3, 0x80000000, v9
	v_lshlrev_b32_e32 v2, 20, v2
	v_lshl_add_u32 v4, v4, 23, v6
	v_or3_b32 v2, v3, v4, v2
.LBB24_1276:
	s_or_b64 exec, exec, s[6:7]
	s_movk_i32 s4, 0x7f
	v_cmp_gt_i16_sdwa s[6:7], v5, s4 src0_sel:BYTE_3 src1_sel:DWORD
	s_mov_b64 s[4:5], 0
                                        ; implicit-def: $sgpr10
	s_and_saveexec_b64 s[8:9], s[6:7]
	s_xor_b64 s[6:7], exec, s[8:9]
	s_cbranch_execnz .LBB24_3325
; %bb.1277:
	s_or_saveexec_b64 s[6:7], s[6:7]
	v_mov_b32_e32 v3, s10
	s_xor_b64 exec, exec, s[6:7]
	s_cbranch_execnz .LBB24_3328
.LBB24_1278:
	s_or_b64 exec, exec, s[6:7]
	s_and_saveexec_b64 s[6:7], s[4:5]
	s_cbranch_execz .LBB24_1280
.LBB24_1279:
	v_bfe_u32 v3, v5, 24, 3
	v_ffbh_u32_e32 v8, v3
	v_min_u32_e32 v8, 32, v8
	v_lshrrev_b32_e32 v6, 27, v5
	v_subrev_u32_e32 v9, 28, v8
	v_and_b32_e32 v4, 0x80000000, v5
	v_and_b32_e32 v6, 15, v6
	v_bfe_u32 v7, v5, 27, 4
	v_lshlrev_b32_sdwa v5, v9, v5 dst_sel:DWORD dst_unused:UNUSED_PAD src0_sel:DWORD src1_sel:BYTE_3
	v_sub_u32_e32 v8, 29, v8
	v_and_b32_e32 v5, 7, v5
	v_cmp_eq_u16_e32 vcc, 0, v6
	v_cndmask_b32_e32 v3, v3, v5, vcc
	v_cndmask_b32_e32 v5, v7, v8, vcc
	v_mov_b32_e32 v6, 0x3b800000
	v_lshlrev_b32_e32 v3, 20, v3
	v_lshl_add_u32 v5, v5, 23, v6
	v_or3_b32 v3, v4, v5, v3
.LBB24_1280:
	s_or_b64 exec, exec, s[6:7]
	s_nop 0
	v_mfma_f32_16x16x4f32 a[0:3], v2, v3, a[0:3]
	s_movk_i32 s4, 0x7f
                                        ; implicit-def: $sgpr10
	s_nop 7
	s_nop 1
	flat_store_dwordx4 v[18:19], a[0:3] offset:832
	flat_load_dwordx4 v[20:23], v[0:1] offset:8
	s_nop 0
	flat_load_dwordx2 v[18:19], v[0:1] offset:24
	s_waitcnt vmcnt(0) lgkmcnt(0)
	flat_load_dwordx4 v[14:17], v[20:21]
	flat_load_dwordx4 v[6:9], v[20:21] offset:16
	flat_load_dwordx4 v[10:13], v[22:23] offset:160
	;; [unrolled: 1-line block ×3, first 2 shown]
	s_waitcnt vmcnt(0) lgkmcnt(0)
	v_cmp_gt_i16_sdwa s[6:7], v14, s4 src0_sel:BYTE_0 src1_sel:DWORD
	s_mov_b64 s[4:5], 0
	s_and_saveexec_b64 s[8:9], s[6:7]
	s_xor_b64 s[6:7], exec, s[8:9]
	s_cbranch_execnz .LBB24_3329
; %bb.1281:
	s_or_saveexec_b64 s[6:7], s[6:7]
	v_mov_b32_e32 v20, s10
	s_xor_b64 exec, exec, s[6:7]
	s_cbranch_execnz .LBB24_3332
.LBB24_1282:
	s_or_b64 exec, exec, s[6:7]
	s_and_saveexec_b64 s[6:7], s[4:5]
	s_cbranch_execz .LBB24_1284
.LBB24_1283:
	v_and_b32_e32 v20, 7, v14
	v_ffbh_u32_e32 v22, v20
	v_min_u32_e32 v22, 32, v22
	v_lshrrev_b16_e32 v21, 3, v14
	v_subrev_u32_e32 v23, 28, v22
	v_and_b32_e32 v21, 15, v21
	v_lshlrev_b32_e32 v23, v23, v14
	v_sub_u32_e32 v22, 29, v22
	v_and_b32_e32 v23, 7, v23
	v_cmp_eq_u16_e32 vcc, 0, v21
	v_cndmask_b32_e32 v20, v20, v23, vcc
	v_cndmask_b32_e32 v21, v21, v22, vcc
	v_lshlrev_b32_e32 v22, 24, v14
	v_mov_b32_e32 v23, 0x3b800000
	v_lshlrev_b32_e32 v20, 20, v20
	v_and_b32_e32 v22, 0x80000000, v22
	v_lshl_add_u32 v21, v21, 23, v23
	v_or3_b32 v20, v22, v21, v20
.LBB24_1284:
	s_or_b64 exec, exec, s[6:7]
	s_movk_i32 s4, 0x7f
	v_cmp_gt_i16_sdwa s[6:7], v10, s4 src0_sel:BYTE_0 src1_sel:DWORD
	s_mov_b64 s[4:5], 0
                                        ; implicit-def: $sgpr10
	s_and_saveexec_b64 s[8:9], s[6:7]
	s_xor_b64 s[6:7], exec, s[8:9]
	s_cbranch_execnz .LBB24_3333
; %bb.1285:
	s_or_saveexec_b64 s[6:7], s[6:7]
	v_mov_b32_e32 v21, s10
	s_xor_b64 exec, exec, s[6:7]
	s_cbranch_execnz .LBB24_3336
.LBB24_1286:
	s_or_b64 exec, exec, s[6:7]
	s_and_saveexec_b64 s[6:7], s[4:5]
	s_cbranch_execz .LBB24_1288
.LBB24_1287:
	v_and_b32_e32 v21, 7, v10
	v_ffbh_u32_e32 v23, v21
	v_min_u32_e32 v23, 32, v23
	v_lshrrev_b16_e32 v22, 3, v10
	v_subrev_u32_e32 v24, 28, v23
	v_and_b32_e32 v22, 15, v22
	v_lshlrev_b32_e32 v24, v24, v10
	v_sub_u32_e32 v23, 29, v23
	v_and_b32_e32 v24, 7, v24
	v_cmp_eq_u16_e32 vcc, 0, v22
	v_cndmask_b32_e32 v21, v21, v24, vcc
	v_cndmask_b32_e32 v22, v22, v23, vcc
	v_lshlrev_b32_e32 v23, 24, v10
	v_mov_b32_e32 v24, 0x3b800000
	v_lshlrev_b32_e32 v21, 20, v21
	v_and_b32_e32 v23, 0x80000000, v23
	v_lshl_add_u32 v22, v22, 23, v24
	v_or3_b32 v21, v23, v22, v21
.LBB24_1288:
	s_or_b64 exec, exec, s[6:7]
	flat_load_dwordx4 a[0:3], v[18:19] offset:848
	s_movk_i32 s4, 0x7f
                                        ; implicit-def: $sgpr10
	s_waitcnt vmcnt(0) lgkmcnt(0)
	v_mfma_f32_16x16x4f32 a[0:3], v20, v21, a[0:3]
	v_lshrrev_b32_e32 v21, 8, v14
	v_cmp_gt_i16_sdwa s[6:7], v21, s4 src0_sel:BYTE_0 src1_sel:DWORD
	s_mov_b64 s[4:5], 0
	s_and_saveexec_b64 s[8:9], s[6:7]
	s_xor_b64 s[6:7], exec, s[8:9]
	s_cbranch_execnz .LBB24_3337
; %bb.1289:
	s_or_saveexec_b64 s[6:7], s[6:7]
	v_mov_b32_e32 v20, s10
	s_xor_b64 exec, exec, s[6:7]
	s_cbranch_execnz .LBB24_3340
.LBB24_1290:
	s_or_b64 exec, exec, s[6:7]
	s_and_saveexec_b64 s[6:7], s[4:5]
	s_cbranch_execz .LBB24_1292
.LBB24_1291:
	v_bfe_u32 v20, v14, 8, 3
	v_ffbh_u32_e32 v23, v20
	v_min_u32_e32 v23, 32, v23
	v_lshrrev_b16_e32 v22, 3, v21
	v_subrev_u32_e32 v24, 28, v23
	v_and_b32_e32 v22, 15, v22
	v_lshlrev_b32_e32 v21, v24, v21
	v_sub_u32_e32 v23, 29, v23
	v_and_b32_e32 v21, 7, v21
	v_cmp_eq_u16_e32 vcc, 0, v22
	v_cndmask_b32_e32 v20, v20, v21, vcc
	v_cndmask_b32_e32 v21, v22, v23, vcc
	v_lshlrev_b32_e32 v22, 16, v14
	v_mov_b32_e32 v23, 0x3b800000
	v_lshlrev_b32_e32 v20, 20, v20
	v_and_b32_e32 v22, 0x80000000, v22
	v_lshl_add_u32 v21, v21, 23, v23
	v_or3_b32 v20, v22, v21, v20
.LBB24_1292:
	s_or_b64 exec, exec, s[6:7]
	v_lshrrev_b32_e32 v21, 8, v10
	s_movk_i32 s4, 0x7f
	v_cmp_gt_i16_sdwa s[6:7], v21, s4 src0_sel:BYTE_0 src1_sel:DWORD
	s_mov_b64 s[4:5], 0
                                        ; implicit-def: $sgpr10
	s_and_saveexec_b64 s[8:9], s[6:7]
	s_xor_b64 s[6:7], exec, s[8:9]
	s_cbranch_execnz .LBB24_3341
; %bb.1293:
	s_or_saveexec_b64 s[6:7], s[6:7]
	v_mov_b32_e32 v22, s10
	s_xor_b64 exec, exec, s[6:7]
	s_cbranch_execnz .LBB24_3344
.LBB24_1294:
	s_or_b64 exec, exec, s[6:7]
	s_and_saveexec_b64 s[6:7], s[4:5]
	s_cbranch_execz .LBB24_1296
.LBB24_1295:
	v_bfe_u32 v22, v10, 8, 3
	v_ffbh_u32_e32 v24, v22
	v_min_u32_e32 v24, 32, v24
	v_lshrrev_b16_e32 v23, 3, v21
	v_subrev_u32_e32 v25, 28, v24
	v_and_b32_e32 v23, 15, v23
	v_lshlrev_b32_e32 v21, v25, v21
	v_sub_u32_e32 v24, 29, v24
	v_and_b32_e32 v21, 7, v21
	v_cmp_eq_u16_e32 vcc, 0, v23
	v_cndmask_b32_e32 v21, v22, v21, vcc
	v_cndmask_b32_e32 v22, v23, v24, vcc
	v_lshlrev_b32_e32 v23, 16, v10
	v_mov_b32_e32 v24, 0x3b800000
	v_lshlrev_b32_e32 v21, 20, v21
	v_and_b32_e32 v23, 0x80000000, v23
	v_lshl_add_u32 v22, v22, 23, v24
	v_or3_b32 v22, v23, v22, v21
.LBB24_1296:
	s_or_b64 exec, exec, s[6:7]
	s_nop 0
	v_mfma_f32_16x16x4f32 a[0:3], v20, v22, a[0:3]
	s_movk_i32 s4, 0xff
	v_and_b32_sdwa v21, v14, s4 dst_sel:DWORD dst_unused:UNUSED_PAD src0_sel:WORD_1 src1_sel:DWORD
	s_movk_i32 s4, 0x7f
	v_cmp_lt_i16_e32 vcc, s4, v21
	s_mov_b64 s[4:5], 0
                                        ; implicit-def: $sgpr10
	s_and_saveexec_b64 s[6:7], vcc
	s_xor_b64 s[6:7], exec, s[6:7]
	s_cbranch_execnz .LBB24_3345
; %bb.1297:
	s_or_saveexec_b64 s[6:7], s[6:7]
	v_mov_b32_e32 v20, s10
	s_xor_b64 exec, exec, s[6:7]
	s_cbranch_execnz .LBB24_3348
.LBB24_1298:
	s_or_b64 exec, exec, s[6:7]
	s_and_saveexec_b64 s[6:7], s[4:5]
	s_cbranch_execz .LBB24_1300
.LBB24_1299:
	v_bfe_u32 v20, v14, 16, 3
	v_ffbh_u32_e32 v23, v20
	v_min_u32_e32 v23, 32, v23
	v_lshrrev_b32_e32 v21, 19, v14
	v_subrev_u32_e32 v24, 28, v23
	v_and_b32_e32 v21, 15, v21
	v_lshlrev_b32_sdwa v24, v24, v14 dst_sel:DWORD dst_unused:UNUSED_PAD src0_sel:DWORD src1_sel:WORD_1
	v_bfe_u32 v22, v14, 19, 4
	v_sub_u32_e32 v23, 29, v23
	v_and_b32_e32 v24, 7, v24
	v_cmp_eq_u16_e32 vcc, 0, v21
	v_cndmask_b32_e32 v20, v20, v24, vcc
	v_cndmask_b32_e32 v21, v22, v23, vcc
	v_lshlrev_b32_e32 v22, 8, v14
	v_mov_b32_e32 v23, 0x3b800000
	v_lshlrev_b32_e32 v20, 20, v20
	v_and_b32_e32 v22, 0x80000000, v22
	v_lshl_add_u32 v21, v21, 23, v23
	v_or3_b32 v20, v22, v21, v20
.LBB24_1300:
	s_or_b64 exec, exec, s[6:7]
	s_movk_i32 s4, 0xff
	v_and_b32_sdwa v21, v10, s4 dst_sel:DWORD dst_unused:UNUSED_PAD src0_sel:WORD_1 src1_sel:DWORD
	s_movk_i32 s4, 0x7f
	v_cmp_lt_i16_e32 vcc, s4, v21
	s_mov_b64 s[4:5], 0
                                        ; implicit-def: $sgpr10
	s_and_saveexec_b64 s[6:7], vcc
	s_xor_b64 s[6:7], exec, s[6:7]
	s_cbranch_execnz .LBB24_3349
; %bb.1301:
	s_or_saveexec_b64 s[6:7], s[6:7]
	v_mov_b32_e32 v22, s10
	s_xor_b64 exec, exec, s[6:7]
	s_cbranch_execnz .LBB24_3352
.LBB24_1302:
	s_or_b64 exec, exec, s[6:7]
	s_and_saveexec_b64 s[6:7], s[4:5]
	s_cbranch_execz .LBB24_1304
.LBB24_1303:
	v_bfe_u32 v21, v10, 16, 3
	v_ffbh_u32_e32 v24, v21
	v_min_u32_e32 v24, 32, v24
	v_lshrrev_b32_e32 v22, 19, v10
	v_subrev_u32_e32 v25, 28, v24
	v_and_b32_e32 v22, 15, v22
	v_lshlrev_b32_sdwa v25, v25, v10 dst_sel:DWORD dst_unused:UNUSED_PAD src0_sel:DWORD src1_sel:WORD_1
	v_bfe_u32 v23, v10, 19, 4
	v_sub_u32_e32 v24, 29, v24
	v_and_b32_e32 v25, 7, v25
	v_cmp_eq_u16_e32 vcc, 0, v22
	v_cndmask_b32_e32 v21, v21, v25, vcc
	v_cndmask_b32_e32 v22, v23, v24, vcc
	v_lshlrev_b32_e32 v23, 8, v10
	v_mov_b32_e32 v24, 0x3b800000
	v_lshlrev_b32_e32 v21, 20, v21
	v_and_b32_e32 v23, 0x80000000, v23
	v_lshl_add_u32 v22, v22, 23, v24
	v_or3_b32 v22, v23, v22, v21
.LBB24_1304:
	s_or_b64 exec, exec, s[6:7]
	s_nop 0
	v_mfma_f32_16x16x4f32 a[0:3], v20, v22, a[0:3]
	s_movk_i32 s4, 0x7f
	v_cmp_gt_i16_sdwa s[6:7], v14, s4 src0_sel:BYTE_3 src1_sel:DWORD
	s_mov_b64 s[4:5], 0
                                        ; implicit-def: $sgpr10
	s_and_saveexec_b64 s[8:9], s[6:7]
	s_xor_b64 s[6:7], exec, s[8:9]
	s_cbranch_execnz .LBB24_3353
; %bb.1305:
	s_or_saveexec_b64 s[6:7], s[6:7]
	v_mov_b32_e32 v20, s10
	s_xor_b64 exec, exec, s[6:7]
	s_cbranch_execnz .LBB24_3356
.LBB24_1306:
	s_or_b64 exec, exec, s[6:7]
	s_and_saveexec_b64 s[6:7], s[4:5]
	s_cbranch_execz .LBB24_1308
.LBB24_1307:
	v_bfe_u32 v20, v14, 24, 3
	v_ffbh_u32_e32 v24, v20
	v_min_u32_e32 v24, 32, v24
	v_lshrrev_b32_e32 v22, 27, v14
	v_subrev_u32_e32 v25, 28, v24
	v_and_b32_e32 v21, 0x80000000, v14
	v_and_b32_e32 v22, 15, v22
	v_bfe_u32 v23, v14, 27, 4
	v_lshlrev_b32_sdwa v14, v25, v14 dst_sel:DWORD dst_unused:UNUSED_PAD src0_sel:DWORD src1_sel:BYTE_3
	v_sub_u32_e32 v24, 29, v24
	v_and_b32_e32 v14, 7, v14
	v_cmp_eq_u16_e32 vcc, 0, v22
	v_cndmask_b32_e32 v14, v20, v14, vcc
	v_cndmask_b32_e32 v20, v23, v24, vcc
	v_mov_b32_e32 v22, 0x3b800000
	v_lshlrev_b32_e32 v14, 20, v14
	v_lshl_add_u32 v20, v20, 23, v22
	v_or3_b32 v20, v21, v20, v14
.LBB24_1308:
	s_or_b64 exec, exec, s[6:7]
	s_movk_i32 s4, 0x7f
	v_cmp_gt_i16_sdwa s[6:7], v10, s4 src0_sel:BYTE_3 src1_sel:DWORD
	s_mov_b64 s[4:5], 0
                                        ; implicit-def: $sgpr10
	s_and_saveexec_b64 s[8:9], s[6:7]
	s_xor_b64 s[6:7], exec, s[8:9]
	s_cbranch_execnz .LBB24_3357
; %bb.1309:
	s_or_saveexec_b64 s[6:7], s[6:7]
	v_mov_b32_e32 v14, s10
	s_xor_b64 exec, exec, s[6:7]
	s_cbranch_execnz .LBB24_3360
.LBB24_1310:
	s_or_b64 exec, exec, s[6:7]
	s_and_saveexec_b64 s[6:7], s[4:5]
	s_cbranch_execz .LBB24_1312
.LBB24_1311:
	v_bfe_u32 v14, v10, 24, 3
	v_ffbh_u32_e32 v24, v14
	v_min_u32_e32 v24, 32, v24
	v_lshrrev_b32_e32 v22, 27, v10
	v_subrev_u32_e32 v25, 28, v24
	v_and_b32_e32 v21, 0x80000000, v10
	v_and_b32_e32 v22, 15, v22
	v_bfe_u32 v23, v10, 27, 4
	v_lshlrev_b32_sdwa v10, v25, v10 dst_sel:DWORD dst_unused:UNUSED_PAD src0_sel:DWORD src1_sel:BYTE_3
	v_sub_u32_e32 v24, 29, v24
	v_and_b32_e32 v10, 7, v10
	v_cmp_eq_u16_e32 vcc, 0, v22
	v_cndmask_b32_e32 v10, v14, v10, vcc
	v_cndmask_b32_e32 v14, v23, v24, vcc
	v_mov_b32_e32 v22, 0x3b800000
	v_lshlrev_b32_e32 v10, 20, v10
	v_lshl_add_u32 v14, v14, 23, v22
	v_or3_b32 v14, v21, v14, v10
.LBB24_1312:
	s_or_b64 exec, exec, s[6:7]
	s_nop 0
	v_mfma_f32_16x16x4f32 a[0:3], v20, v14, a[0:3]
	s_movk_i32 s4, 0x7f
	v_cmp_gt_i16_sdwa s[6:7], v15, s4 src0_sel:BYTE_0 src1_sel:DWORD
	s_mov_b64 s[4:5], 0
                                        ; implicit-def: $sgpr10
	s_and_saveexec_b64 s[8:9], s[6:7]
	s_xor_b64 s[6:7], exec, s[8:9]
	s_cbranch_execnz .LBB24_3361
; %bb.1313:
	s_or_saveexec_b64 s[6:7], s[6:7]
	v_mov_b32_e32 v10, s10
	s_xor_b64 exec, exec, s[6:7]
	s_cbranch_execnz .LBB24_3364
.LBB24_1314:
	s_or_b64 exec, exec, s[6:7]
	s_and_saveexec_b64 s[6:7], s[4:5]
	s_cbranch_execz .LBB24_1316
.LBB24_1315:
	v_and_b32_e32 v10, 7, v15
	v_ffbh_u32_e32 v20, v10
	v_min_u32_e32 v20, 32, v20
	v_lshrrev_b16_e32 v14, 3, v15
	v_subrev_u32_e32 v21, 28, v20
	v_and_b32_e32 v14, 15, v14
	v_lshlrev_b32_e32 v21, v21, v15
	v_sub_u32_e32 v20, 29, v20
	v_and_b32_e32 v21, 7, v21
	v_cmp_eq_u16_e32 vcc, 0, v14
	v_cndmask_b32_e32 v10, v10, v21, vcc
	v_cndmask_b32_e32 v14, v14, v20, vcc
	v_lshlrev_b32_e32 v20, 24, v15
	v_mov_b32_e32 v21, 0x3b800000
	v_lshlrev_b32_e32 v10, 20, v10
	v_and_b32_e32 v20, 0x80000000, v20
	v_lshl_add_u32 v14, v14, 23, v21
	v_or3_b32 v10, v20, v14, v10
.LBB24_1316:
	s_or_b64 exec, exec, s[6:7]
	s_movk_i32 s4, 0x7f
	v_cmp_gt_i16_sdwa s[6:7], v11, s4 src0_sel:BYTE_0 src1_sel:DWORD
	s_mov_b64 s[4:5], 0
                                        ; implicit-def: $sgpr10
	s_and_saveexec_b64 s[8:9], s[6:7]
	s_xor_b64 s[6:7], exec, s[8:9]
	s_cbranch_execnz .LBB24_3365
; %bb.1317:
	s_or_saveexec_b64 s[6:7], s[6:7]
	v_mov_b32_e32 v14, s10
	s_xor_b64 exec, exec, s[6:7]
	s_cbranch_execnz .LBB24_3368
.LBB24_1318:
	s_or_b64 exec, exec, s[6:7]
	s_and_saveexec_b64 s[6:7], s[4:5]
	s_cbranch_execz .LBB24_1320
.LBB24_1319:
	v_and_b32_e32 v14, 7, v11
	v_ffbh_u32_e32 v21, v14
	v_min_u32_e32 v21, 32, v21
	v_lshrrev_b16_e32 v20, 3, v11
	v_subrev_u32_e32 v22, 28, v21
	v_and_b32_e32 v20, 15, v20
	v_lshlrev_b32_e32 v22, v22, v11
	v_sub_u32_e32 v21, 29, v21
	v_and_b32_e32 v22, 7, v22
	v_cmp_eq_u16_e32 vcc, 0, v20
	v_cndmask_b32_e32 v14, v14, v22, vcc
	v_cndmask_b32_e32 v20, v20, v21, vcc
	v_lshlrev_b32_e32 v21, 24, v11
	v_mov_b32_e32 v22, 0x3b800000
	v_lshlrev_b32_e32 v14, 20, v14
	v_and_b32_e32 v21, 0x80000000, v21
	v_lshl_add_u32 v20, v20, 23, v22
	v_or3_b32 v14, v21, v20, v14
.LBB24_1320:
	s_or_b64 exec, exec, s[6:7]
	s_nop 0
	v_mfma_f32_16x16x4f32 a[0:3], v10, v14, a[0:3]
	v_lshrrev_b32_e32 v14, 8, v15
	s_movk_i32 s4, 0x7f
	v_cmp_gt_i16_sdwa s[6:7], v14, s4 src0_sel:BYTE_0 src1_sel:DWORD
	s_mov_b64 s[4:5], 0
                                        ; implicit-def: $sgpr10
	s_and_saveexec_b64 s[8:9], s[6:7]
	s_xor_b64 s[6:7], exec, s[8:9]
	s_cbranch_execnz .LBB24_3369
; %bb.1321:
	s_or_saveexec_b64 s[6:7], s[6:7]
	v_mov_b32_e32 v10, s10
	s_xor_b64 exec, exec, s[6:7]
	s_cbranch_execnz .LBB24_3372
.LBB24_1322:
	s_or_b64 exec, exec, s[6:7]
	s_and_saveexec_b64 s[6:7], s[4:5]
	s_cbranch_execz .LBB24_1324
.LBB24_1323:
	v_bfe_u32 v10, v15, 8, 3
	v_ffbh_u32_e32 v21, v10
	v_min_u32_e32 v21, 32, v21
	v_lshrrev_b16_e32 v20, 3, v14
	v_subrev_u32_e32 v22, 28, v21
	v_and_b32_e32 v20, 15, v20
	v_lshlrev_b32_e32 v14, v22, v14
	v_sub_u32_e32 v21, 29, v21
	v_and_b32_e32 v14, 7, v14
	v_cmp_eq_u16_e32 vcc, 0, v20
	v_cndmask_b32_e32 v10, v10, v14, vcc
	v_cndmask_b32_e32 v14, v20, v21, vcc
	v_lshlrev_b32_e32 v20, 16, v15
	v_mov_b32_e32 v21, 0x3b800000
	v_lshlrev_b32_e32 v10, 20, v10
	v_and_b32_e32 v20, 0x80000000, v20
	v_lshl_add_u32 v14, v14, 23, v21
	v_or3_b32 v10, v20, v14, v10
.LBB24_1324:
	s_or_b64 exec, exec, s[6:7]
	v_lshrrev_b32_e32 v14, 8, v11
	s_movk_i32 s4, 0x7f
	v_cmp_gt_i16_sdwa s[6:7], v14, s4 src0_sel:BYTE_0 src1_sel:DWORD
	s_mov_b64 s[4:5], 0
                                        ; implicit-def: $sgpr10
	s_and_saveexec_b64 s[8:9], s[6:7]
	s_xor_b64 s[6:7], exec, s[8:9]
	s_cbranch_execnz .LBB24_3373
; %bb.1325:
	s_or_saveexec_b64 s[6:7], s[6:7]
	v_mov_b32_e32 v20, s10
	s_xor_b64 exec, exec, s[6:7]
	s_cbranch_execnz .LBB24_3376
.LBB24_1326:
	s_or_b64 exec, exec, s[6:7]
	s_and_saveexec_b64 s[6:7], s[4:5]
	s_cbranch_execz .LBB24_1328
.LBB24_1327:
	v_bfe_u32 v20, v11, 8, 3
	v_ffbh_u32_e32 v22, v20
	v_min_u32_e32 v22, 32, v22
	v_lshrrev_b16_e32 v21, 3, v14
	v_subrev_u32_e32 v23, 28, v22
	v_and_b32_e32 v21, 15, v21
	v_lshlrev_b32_e32 v14, v23, v14
	v_sub_u32_e32 v22, 29, v22
	v_and_b32_e32 v14, 7, v14
	v_cmp_eq_u16_e32 vcc, 0, v21
	v_cndmask_b32_e32 v14, v20, v14, vcc
	v_cndmask_b32_e32 v20, v21, v22, vcc
	v_lshlrev_b32_e32 v21, 16, v11
	v_mov_b32_e32 v22, 0x3b800000
	v_lshlrev_b32_e32 v14, 20, v14
	v_and_b32_e32 v21, 0x80000000, v21
	v_lshl_add_u32 v20, v20, 23, v22
	v_or3_b32 v20, v21, v20, v14
.LBB24_1328:
	s_or_b64 exec, exec, s[6:7]
	s_nop 0
	v_mfma_f32_16x16x4f32 a[0:3], v10, v20, a[0:3]
	s_movk_i32 s4, 0xff
	v_and_b32_sdwa v14, v15, s4 dst_sel:DWORD dst_unused:UNUSED_PAD src0_sel:WORD_1 src1_sel:DWORD
	s_movk_i32 s4, 0x7f
	v_cmp_lt_i16_e32 vcc, s4, v14
	s_mov_b64 s[4:5], 0
                                        ; implicit-def: $sgpr10
	s_and_saveexec_b64 s[6:7], vcc
	s_xor_b64 s[6:7], exec, s[6:7]
	s_cbranch_execnz .LBB24_3377
; %bb.1329:
	s_or_saveexec_b64 s[6:7], s[6:7]
	v_mov_b32_e32 v10, s10
	s_xor_b64 exec, exec, s[6:7]
	s_cbranch_execnz .LBB24_3380
.LBB24_1330:
	s_or_b64 exec, exec, s[6:7]
	s_and_saveexec_b64 s[6:7], s[4:5]
	s_cbranch_execz .LBB24_1332
.LBB24_1331:
	v_bfe_u32 v10, v15, 16, 3
	v_ffbh_u32_e32 v21, v10
	v_min_u32_e32 v21, 32, v21
	v_lshrrev_b32_e32 v14, 19, v15
	v_subrev_u32_e32 v22, 28, v21
	v_and_b32_e32 v14, 15, v14
	v_lshlrev_b32_sdwa v22, v22, v15 dst_sel:DWORD dst_unused:UNUSED_PAD src0_sel:DWORD src1_sel:WORD_1
	v_bfe_u32 v20, v15, 19, 4
	v_sub_u32_e32 v21, 29, v21
	v_and_b32_e32 v22, 7, v22
	v_cmp_eq_u16_e32 vcc, 0, v14
	v_cndmask_b32_e32 v10, v10, v22, vcc
	v_cndmask_b32_e32 v14, v20, v21, vcc
	v_lshlrev_b32_e32 v20, 8, v15
	v_mov_b32_e32 v21, 0x3b800000
	v_lshlrev_b32_e32 v10, 20, v10
	v_and_b32_e32 v20, 0x80000000, v20
	v_lshl_add_u32 v14, v14, 23, v21
	v_or3_b32 v10, v20, v14, v10
.LBB24_1332:
	s_or_b64 exec, exec, s[6:7]
	s_movk_i32 s4, 0xff
	v_and_b32_sdwa v14, v11, s4 dst_sel:DWORD dst_unused:UNUSED_PAD src0_sel:WORD_1 src1_sel:DWORD
	s_movk_i32 s4, 0x7f
	v_cmp_lt_i16_e32 vcc, s4, v14
	s_mov_b64 s[4:5], 0
                                        ; implicit-def: $sgpr10
	s_and_saveexec_b64 s[6:7], vcc
	s_xor_b64 s[6:7], exec, s[6:7]
	s_cbranch_execnz .LBB24_3381
; %bb.1333:
	s_or_saveexec_b64 s[6:7], s[6:7]
	v_mov_b32_e32 v20, s10
	s_xor_b64 exec, exec, s[6:7]
	s_cbranch_execnz .LBB24_3384
.LBB24_1334:
	s_or_b64 exec, exec, s[6:7]
	s_and_saveexec_b64 s[6:7], s[4:5]
	s_cbranch_execz .LBB24_1336
.LBB24_1335:
	v_bfe_u32 v14, v11, 16, 3
	v_ffbh_u32_e32 v22, v14
	v_min_u32_e32 v22, 32, v22
	v_lshrrev_b32_e32 v20, 19, v11
	v_subrev_u32_e32 v23, 28, v22
	v_and_b32_e32 v20, 15, v20
	v_lshlrev_b32_sdwa v23, v23, v11 dst_sel:DWORD dst_unused:UNUSED_PAD src0_sel:DWORD src1_sel:WORD_1
	v_bfe_u32 v21, v11, 19, 4
	v_sub_u32_e32 v22, 29, v22
	v_and_b32_e32 v23, 7, v23
	v_cmp_eq_u16_e32 vcc, 0, v20
	v_cndmask_b32_e32 v14, v14, v23, vcc
	v_cndmask_b32_e32 v20, v21, v22, vcc
	v_lshlrev_b32_e32 v21, 8, v11
	v_mov_b32_e32 v22, 0x3b800000
	v_lshlrev_b32_e32 v14, 20, v14
	v_and_b32_e32 v21, 0x80000000, v21
	v_lshl_add_u32 v20, v20, 23, v22
	v_or3_b32 v20, v21, v20, v14
.LBB24_1336:
	s_or_b64 exec, exec, s[6:7]
	s_nop 0
	v_mfma_f32_16x16x4f32 a[0:3], v10, v20, a[0:3]
	s_movk_i32 s4, 0x7f
	v_cmp_gt_i16_sdwa s[6:7], v15, s4 src0_sel:BYTE_3 src1_sel:DWORD
	s_mov_b64 s[4:5], 0
                                        ; implicit-def: $sgpr10
	s_and_saveexec_b64 s[8:9], s[6:7]
	s_xor_b64 s[6:7], exec, s[8:9]
	s_cbranch_execnz .LBB24_3385
; %bb.1337:
	s_or_saveexec_b64 s[6:7], s[6:7]
	v_mov_b32_e32 v10, s10
	s_xor_b64 exec, exec, s[6:7]
	s_cbranch_execnz .LBB24_3388
.LBB24_1338:
	s_or_b64 exec, exec, s[6:7]
	s_and_saveexec_b64 s[6:7], s[4:5]
	s_cbranch_execz .LBB24_1340
.LBB24_1339:
	v_bfe_u32 v10, v15, 24, 3
	v_ffbh_u32_e32 v22, v10
	v_min_u32_e32 v22, 32, v22
	v_lshrrev_b32_e32 v20, 27, v15
	v_subrev_u32_e32 v23, 28, v22
	v_and_b32_e32 v14, 0x80000000, v15
	v_and_b32_e32 v20, 15, v20
	v_bfe_u32 v21, v15, 27, 4
	v_lshlrev_b32_sdwa v15, v23, v15 dst_sel:DWORD dst_unused:UNUSED_PAD src0_sel:DWORD src1_sel:BYTE_3
	v_sub_u32_e32 v22, 29, v22
	v_and_b32_e32 v15, 7, v15
	v_cmp_eq_u16_e32 vcc, 0, v20
	v_cndmask_b32_e32 v10, v10, v15, vcc
	v_cndmask_b32_e32 v15, v21, v22, vcc
	v_mov_b32_e32 v20, 0x3b800000
	v_lshlrev_b32_e32 v10, 20, v10
	v_lshl_add_u32 v15, v15, 23, v20
	v_or3_b32 v10, v14, v15, v10
.LBB24_1340:
	s_or_b64 exec, exec, s[6:7]
	s_movk_i32 s4, 0x7f
	v_cmp_gt_i16_sdwa s[6:7], v11, s4 src0_sel:BYTE_3 src1_sel:DWORD
	s_mov_b64 s[4:5], 0
                                        ; implicit-def: $sgpr10
	s_and_saveexec_b64 s[8:9], s[6:7]
	s_xor_b64 s[6:7], exec, s[8:9]
	s_cbranch_execnz .LBB24_3389
; %bb.1341:
	s_or_saveexec_b64 s[6:7], s[6:7]
	v_mov_b32_e32 v14, s10
	s_xor_b64 exec, exec, s[6:7]
	s_cbranch_execnz .LBB24_3392
.LBB24_1342:
	s_or_b64 exec, exec, s[6:7]
	s_and_saveexec_b64 s[6:7], s[4:5]
	s_cbranch_execz .LBB24_1344
.LBB24_1343:
	v_bfe_u32 v14, v11, 24, 3
	v_ffbh_u32_e32 v22, v14
	v_min_u32_e32 v22, 32, v22
	v_lshrrev_b32_e32 v20, 27, v11
	v_subrev_u32_e32 v23, 28, v22
	v_and_b32_e32 v15, 0x80000000, v11
	v_and_b32_e32 v20, 15, v20
	v_bfe_u32 v21, v11, 27, 4
	v_lshlrev_b32_sdwa v11, v23, v11 dst_sel:DWORD dst_unused:UNUSED_PAD src0_sel:DWORD src1_sel:BYTE_3
	v_sub_u32_e32 v22, 29, v22
	v_and_b32_e32 v11, 7, v11
	v_cmp_eq_u16_e32 vcc, 0, v20
	v_cndmask_b32_e32 v11, v14, v11, vcc
	v_cndmask_b32_e32 v14, v21, v22, vcc
	v_mov_b32_e32 v20, 0x3b800000
	v_lshlrev_b32_e32 v11, 20, v11
	v_lshl_add_u32 v14, v14, 23, v20
	v_or3_b32 v14, v15, v14, v11
.LBB24_1344:
	s_or_b64 exec, exec, s[6:7]
	s_nop 0
	v_mfma_f32_16x16x4f32 a[0:3], v10, v14, a[0:3]
	s_movk_i32 s4, 0x7f
	v_cmp_gt_i16_sdwa s[6:7], v16, s4 src0_sel:BYTE_0 src1_sel:DWORD
	s_mov_b64 s[4:5], 0
                                        ; implicit-def: $sgpr10
	s_and_saveexec_b64 s[8:9], s[6:7]
	s_xor_b64 s[6:7], exec, s[8:9]
	s_cbranch_execnz .LBB24_3393
; %bb.1345:
	s_or_saveexec_b64 s[6:7], s[6:7]
	v_mov_b32_e32 v10, s10
	s_xor_b64 exec, exec, s[6:7]
	s_cbranch_execnz .LBB24_3396
.LBB24_1346:
	s_or_b64 exec, exec, s[6:7]
	s_and_saveexec_b64 s[6:7], s[4:5]
	s_cbranch_execz .LBB24_1348
.LBB24_1347:
	v_and_b32_e32 v10, 7, v16
	v_ffbh_u32_e32 v14, v10
	v_min_u32_e32 v14, 32, v14
	v_lshrrev_b16_e32 v11, 3, v16
	v_subrev_u32_e32 v15, 28, v14
	v_and_b32_e32 v11, 15, v11
	v_lshlrev_b32_e32 v15, v15, v16
	v_sub_u32_e32 v14, 29, v14
	v_and_b32_e32 v15, 7, v15
	v_cmp_eq_u16_e32 vcc, 0, v11
	v_cndmask_b32_e32 v10, v10, v15, vcc
	v_cndmask_b32_e32 v11, v11, v14, vcc
	v_lshlrev_b32_e32 v14, 24, v16
	v_mov_b32_e32 v15, 0x3b800000
	v_lshlrev_b32_e32 v10, 20, v10
	v_and_b32_e32 v14, 0x80000000, v14
	v_lshl_add_u32 v11, v11, 23, v15
	v_or3_b32 v10, v14, v11, v10
.LBB24_1348:
	s_or_b64 exec, exec, s[6:7]
	s_movk_i32 s4, 0x7f
	v_cmp_gt_i16_sdwa s[6:7], v12, s4 src0_sel:BYTE_0 src1_sel:DWORD
	s_mov_b64 s[4:5], 0
                                        ; implicit-def: $sgpr10
	s_and_saveexec_b64 s[8:9], s[6:7]
	s_xor_b64 s[6:7], exec, s[8:9]
	s_cbranch_execnz .LBB24_3397
; %bb.1349:
	s_or_saveexec_b64 s[6:7], s[6:7]
	v_mov_b32_e32 v11, s10
	s_xor_b64 exec, exec, s[6:7]
	s_cbranch_execnz .LBB24_3400
.LBB24_1350:
	s_or_b64 exec, exec, s[6:7]
	s_and_saveexec_b64 s[6:7], s[4:5]
	s_cbranch_execz .LBB24_1352
.LBB24_1351:
	v_and_b32_e32 v11, 7, v12
	v_ffbh_u32_e32 v15, v11
	v_min_u32_e32 v15, 32, v15
	v_lshrrev_b16_e32 v14, 3, v12
	v_subrev_u32_e32 v20, 28, v15
	v_and_b32_e32 v14, 15, v14
	v_lshlrev_b32_e32 v20, v20, v12
	v_sub_u32_e32 v15, 29, v15
	v_and_b32_e32 v20, 7, v20
	v_cmp_eq_u16_e32 vcc, 0, v14
	v_cndmask_b32_e32 v11, v11, v20, vcc
	v_cndmask_b32_e32 v14, v14, v15, vcc
	v_lshlrev_b32_e32 v15, 24, v12
	v_mov_b32_e32 v20, 0x3b800000
	v_lshlrev_b32_e32 v11, 20, v11
	v_and_b32_e32 v15, 0x80000000, v15
	v_lshl_add_u32 v14, v14, 23, v20
	v_or3_b32 v11, v15, v14, v11
.LBB24_1352:
	s_or_b64 exec, exec, s[6:7]
	s_nop 0
	v_mfma_f32_16x16x4f32 a[0:3], v10, v11, a[0:3]
	v_lshrrev_b32_e32 v11, 8, v16
	s_movk_i32 s4, 0x7f
	v_cmp_gt_i16_sdwa s[6:7], v11, s4 src0_sel:BYTE_0 src1_sel:DWORD
	s_mov_b64 s[4:5], 0
                                        ; implicit-def: $sgpr10
	s_and_saveexec_b64 s[8:9], s[6:7]
	s_xor_b64 s[6:7], exec, s[8:9]
	s_cbranch_execnz .LBB24_3401
; %bb.1353:
	s_or_saveexec_b64 s[6:7], s[6:7]
	v_mov_b32_e32 v10, s10
	s_xor_b64 exec, exec, s[6:7]
	s_cbranch_execnz .LBB24_3404
.LBB24_1354:
	s_or_b64 exec, exec, s[6:7]
	s_and_saveexec_b64 s[6:7], s[4:5]
	s_cbranch_execz .LBB24_1356
.LBB24_1355:
	v_bfe_u32 v10, v16, 8, 3
	v_ffbh_u32_e32 v15, v10
	v_min_u32_e32 v15, 32, v15
	v_lshrrev_b16_e32 v14, 3, v11
	v_subrev_u32_e32 v20, 28, v15
	v_and_b32_e32 v14, 15, v14
	v_lshlrev_b32_e32 v11, v20, v11
	v_sub_u32_e32 v15, 29, v15
	v_and_b32_e32 v11, 7, v11
	v_cmp_eq_u16_e32 vcc, 0, v14
	v_cndmask_b32_e32 v10, v10, v11, vcc
	v_cndmask_b32_e32 v11, v14, v15, vcc
	v_lshlrev_b32_e32 v14, 16, v16
	v_mov_b32_e32 v15, 0x3b800000
	v_lshlrev_b32_e32 v10, 20, v10
	v_and_b32_e32 v14, 0x80000000, v14
	v_lshl_add_u32 v11, v11, 23, v15
	v_or3_b32 v10, v14, v11, v10
.LBB24_1356:
	s_or_b64 exec, exec, s[6:7]
	v_lshrrev_b32_e32 v11, 8, v12
	s_movk_i32 s4, 0x7f
	v_cmp_gt_i16_sdwa s[6:7], v11, s4 src0_sel:BYTE_0 src1_sel:DWORD
	s_mov_b64 s[4:5], 0
                                        ; implicit-def: $sgpr10
	s_and_saveexec_b64 s[8:9], s[6:7]
	s_xor_b64 s[6:7], exec, s[8:9]
	s_cbranch_execnz .LBB24_3405
; %bb.1357:
	s_or_saveexec_b64 s[6:7], s[6:7]
	v_mov_b32_e32 v14, s10
	s_xor_b64 exec, exec, s[6:7]
	s_cbranch_execnz .LBB24_3408
.LBB24_1358:
	s_or_b64 exec, exec, s[6:7]
	s_and_saveexec_b64 s[6:7], s[4:5]
	s_cbranch_execz .LBB24_1360
.LBB24_1359:
	v_bfe_u32 v14, v12, 8, 3
	v_ffbh_u32_e32 v20, v14
	v_min_u32_e32 v20, 32, v20
	v_lshrrev_b16_e32 v15, 3, v11
	v_subrev_u32_e32 v21, 28, v20
	v_and_b32_e32 v15, 15, v15
	v_lshlrev_b32_e32 v11, v21, v11
	v_sub_u32_e32 v20, 29, v20
	v_and_b32_e32 v11, 7, v11
	v_cmp_eq_u16_e32 vcc, 0, v15
	v_cndmask_b32_e32 v11, v14, v11, vcc
	v_cndmask_b32_e32 v14, v15, v20, vcc
	v_lshlrev_b32_e32 v15, 16, v12
	v_mov_b32_e32 v20, 0x3b800000
	v_lshlrev_b32_e32 v11, 20, v11
	v_and_b32_e32 v15, 0x80000000, v15
	v_lshl_add_u32 v14, v14, 23, v20
	v_or3_b32 v14, v15, v14, v11
.LBB24_1360:
	s_or_b64 exec, exec, s[6:7]
	s_nop 0
	v_mfma_f32_16x16x4f32 a[0:3], v10, v14, a[0:3]
	s_movk_i32 s4, 0xff
	v_and_b32_sdwa v11, v16, s4 dst_sel:DWORD dst_unused:UNUSED_PAD src0_sel:WORD_1 src1_sel:DWORD
	s_movk_i32 s4, 0x7f
	v_cmp_lt_i16_e32 vcc, s4, v11
	s_mov_b64 s[4:5], 0
                                        ; implicit-def: $sgpr10
	s_and_saveexec_b64 s[6:7], vcc
	s_xor_b64 s[6:7], exec, s[6:7]
	s_cbranch_execnz .LBB24_3409
; %bb.1361:
	s_or_saveexec_b64 s[6:7], s[6:7]
	v_mov_b32_e32 v10, s10
	s_xor_b64 exec, exec, s[6:7]
	s_cbranch_execnz .LBB24_3412
.LBB24_1362:
	s_or_b64 exec, exec, s[6:7]
	s_and_saveexec_b64 s[6:7], s[4:5]
	s_cbranch_execz .LBB24_1364
.LBB24_1363:
	v_bfe_u32 v10, v16, 16, 3
	v_ffbh_u32_e32 v15, v10
	v_min_u32_e32 v15, 32, v15
	v_lshrrev_b32_e32 v11, 19, v16
	v_subrev_u32_e32 v20, 28, v15
	v_and_b32_e32 v11, 15, v11
	v_lshlrev_b32_sdwa v20, v20, v16 dst_sel:DWORD dst_unused:UNUSED_PAD src0_sel:DWORD src1_sel:WORD_1
	v_bfe_u32 v14, v16, 19, 4
	v_sub_u32_e32 v15, 29, v15
	v_and_b32_e32 v20, 7, v20
	v_cmp_eq_u16_e32 vcc, 0, v11
	v_cndmask_b32_e32 v10, v10, v20, vcc
	v_cndmask_b32_e32 v11, v14, v15, vcc
	v_lshlrev_b32_e32 v14, 8, v16
	v_mov_b32_e32 v15, 0x3b800000
	v_lshlrev_b32_e32 v10, 20, v10
	v_and_b32_e32 v14, 0x80000000, v14
	v_lshl_add_u32 v11, v11, 23, v15
	v_or3_b32 v10, v14, v11, v10
.LBB24_1364:
	s_or_b64 exec, exec, s[6:7]
	s_movk_i32 s4, 0xff
	v_and_b32_sdwa v11, v12, s4 dst_sel:DWORD dst_unused:UNUSED_PAD src0_sel:WORD_1 src1_sel:DWORD
	s_movk_i32 s4, 0x7f
	v_cmp_lt_i16_e32 vcc, s4, v11
	s_mov_b64 s[4:5], 0
                                        ; implicit-def: $sgpr10
	s_and_saveexec_b64 s[6:7], vcc
	s_xor_b64 s[6:7], exec, s[6:7]
	s_cbranch_execnz .LBB24_3413
; %bb.1365:
	s_or_saveexec_b64 s[6:7], s[6:7]
	v_mov_b32_e32 v14, s10
	s_xor_b64 exec, exec, s[6:7]
	s_cbranch_execnz .LBB24_3416
.LBB24_1366:
	s_or_b64 exec, exec, s[6:7]
	s_and_saveexec_b64 s[6:7], s[4:5]
	s_cbranch_execz .LBB24_1368
.LBB24_1367:
	v_bfe_u32 v11, v12, 16, 3
	v_ffbh_u32_e32 v20, v11
	v_min_u32_e32 v20, 32, v20
	v_lshrrev_b32_e32 v14, 19, v12
	v_subrev_u32_e32 v21, 28, v20
	v_and_b32_e32 v14, 15, v14
	v_lshlrev_b32_sdwa v21, v21, v12 dst_sel:DWORD dst_unused:UNUSED_PAD src0_sel:DWORD src1_sel:WORD_1
	v_bfe_u32 v15, v12, 19, 4
	v_sub_u32_e32 v20, 29, v20
	v_and_b32_e32 v21, 7, v21
	v_cmp_eq_u16_e32 vcc, 0, v14
	v_cndmask_b32_e32 v11, v11, v21, vcc
	v_cndmask_b32_e32 v14, v15, v20, vcc
	v_lshlrev_b32_e32 v15, 8, v12
	v_mov_b32_e32 v20, 0x3b800000
	v_lshlrev_b32_e32 v11, 20, v11
	v_and_b32_e32 v15, 0x80000000, v15
	v_lshl_add_u32 v14, v14, 23, v20
	v_or3_b32 v14, v15, v14, v11
.LBB24_1368:
	s_or_b64 exec, exec, s[6:7]
	s_nop 0
	v_mfma_f32_16x16x4f32 a[0:3], v10, v14, a[0:3]
	s_movk_i32 s4, 0x7f
	v_cmp_gt_i16_sdwa s[6:7], v16, s4 src0_sel:BYTE_3 src1_sel:DWORD
	s_mov_b64 s[4:5], 0
                                        ; implicit-def: $sgpr10
	s_and_saveexec_b64 s[8:9], s[6:7]
	s_xor_b64 s[6:7], exec, s[8:9]
	s_cbranch_execnz .LBB24_3417
; %bb.1369:
	s_or_saveexec_b64 s[6:7], s[6:7]
	v_mov_b32_e32 v10, s10
	s_xor_b64 exec, exec, s[6:7]
	s_cbranch_execnz .LBB24_3420
.LBB24_1370:
	s_or_b64 exec, exec, s[6:7]
	s_and_saveexec_b64 s[6:7], s[4:5]
	s_cbranch_execz .LBB24_1372
.LBB24_1371:
	v_bfe_u32 v10, v16, 24, 3
	v_ffbh_u32_e32 v20, v10
	v_min_u32_e32 v20, 32, v20
	v_lshrrev_b32_e32 v14, 27, v16
	v_subrev_u32_e32 v21, 28, v20
	v_and_b32_e32 v11, 0x80000000, v16
	v_and_b32_e32 v14, 15, v14
	v_bfe_u32 v15, v16, 27, 4
	v_lshlrev_b32_sdwa v16, v21, v16 dst_sel:DWORD dst_unused:UNUSED_PAD src0_sel:DWORD src1_sel:BYTE_3
	v_sub_u32_e32 v20, 29, v20
	v_and_b32_e32 v16, 7, v16
	v_cmp_eq_u16_e32 vcc, 0, v14
	v_cndmask_b32_e32 v10, v10, v16, vcc
	v_cndmask_b32_e32 v14, v15, v20, vcc
	v_mov_b32_e32 v15, 0x3b800000
	v_lshlrev_b32_e32 v10, 20, v10
	v_lshl_add_u32 v14, v14, 23, v15
	v_or3_b32 v10, v11, v14, v10
.LBB24_1372:
	s_or_b64 exec, exec, s[6:7]
	s_movk_i32 s4, 0x7f
	v_cmp_gt_i16_sdwa s[6:7], v12, s4 src0_sel:BYTE_3 src1_sel:DWORD
	s_mov_b64 s[4:5], 0
                                        ; implicit-def: $sgpr10
	s_and_saveexec_b64 s[8:9], s[6:7]
	s_xor_b64 s[6:7], exec, s[8:9]
	s_cbranch_execnz .LBB24_3421
; %bb.1373:
	s_or_saveexec_b64 s[6:7], s[6:7]
	v_mov_b32_e32 v11, s10
	s_xor_b64 exec, exec, s[6:7]
	s_cbranch_execnz .LBB24_3424
.LBB24_1374:
	s_or_b64 exec, exec, s[6:7]
	s_and_saveexec_b64 s[6:7], s[4:5]
	s_cbranch_execz .LBB24_1376
.LBB24_1375:
	v_bfe_u32 v11, v12, 24, 3
	v_ffbh_u32_e32 v20, v11
	v_min_u32_e32 v20, 32, v20
	v_lshrrev_b32_e32 v15, 27, v12
	v_subrev_u32_e32 v21, 28, v20
	v_and_b32_e32 v14, 0x80000000, v12
	v_and_b32_e32 v15, 15, v15
	v_bfe_u32 v16, v12, 27, 4
	v_lshlrev_b32_sdwa v12, v21, v12 dst_sel:DWORD dst_unused:UNUSED_PAD src0_sel:DWORD src1_sel:BYTE_3
	v_sub_u32_e32 v20, 29, v20
	v_and_b32_e32 v12, 7, v12
	v_cmp_eq_u16_e32 vcc, 0, v15
	v_cndmask_b32_e32 v11, v11, v12, vcc
	v_cndmask_b32_e32 v12, v16, v20, vcc
	v_mov_b32_e32 v15, 0x3b800000
	v_lshlrev_b32_e32 v11, 20, v11
	v_lshl_add_u32 v12, v12, 23, v15
	v_or3_b32 v11, v14, v12, v11
.LBB24_1376:
	s_or_b64 exec, exec, s[6:7]
	s_nop 0
	v_mfma_f32_16x16x4f32 a[0:3], v10, v11, a[0:3]
	s_movk_i32 s4, 0x7f
	v_cmp_gt_i16_sdwa s[6:7], v17, s4 src0_sel:BYTE_0 src1_sel:DWORD
	s_mov_b64 s[4:5], 0
                                        ; implicit-def: $sgpr10
	s_and_saveexec_b64 s[8:9], s[6:7]
	s_xor_b64 s[6:7], exec, s[8:9]
	s_cbranch_execnz .LBB24_3425
; %bb.1377:
	s_or_saveexec_b64 s[6:7], s[6:7]
	v_mov_b32_e32 v10, s10
	s_xor_b64 exec, exec, s[6:7]
	s_cbranch_execnz .LBB24_3428
.LBB24_1378:
	s_or_b64 exec, exec, s[6:7]
	s_and_saveexec_b64 s[6:7], s[4:5]
	s_cbranch_execz .LBB24_1380
.LBB24_1379:
	v_and_b32_e32 v10, 7, v17
	v_ffbh_u32_e32 v12, v10
	v_min_u32_e32 v12, 32, v12
	v_lshrrev_b16_e32 v11, 3, v17
	v_subrev_u32_e32 v14, 28, v12
	v_and_b32_e32 v11, 15, v11
	v_lshlrev_b32_e32 v14, v14, v17
	v_sub_u32_e32 v12, 29, v12
	v_and_b32_e32 v14, 7, v14
	v_cmp_eq_u16_e32 vcc, 0, v11
	v_cndmask_b32_e32 v10, v10, v14, vcc
	v_cndmask_b32_e32 v11, v11, v12, vcc
	v_lshlrev_b32_e32 v12, 24, v17
	v_mov_b32_e32 v14, 0x3b800000
	v_lshlrev_b32_e32 v10, 20, v10
	v_and_b32_e32 v12, 0x80000000, v12
	v_lshl_add_u32 v11, v11, 23, v14
	v_or3_b32 v10, v12, v11, v10
.LBB24_1380:
	s_or_b64 exec, exec, s[6:7]
	s_movk_i32 s4, 0x7f
	v_cmp_gt_i16_sdwa s[6:7], v13, s4 src0_sel:BYTE_0 src1_sel:DWORD
	s_mov_b64 s[4:5], 0
                                        ; implicit-def: $sgpr10
	s_and_saveexec_b64 s[8:9], s[6:7]
	s_xor_b64 s[6:7], exec, s[8:9]
	s_cbranch_execnz .LBB24_3429
; %bb.1381:
	s_or_saveexec_b64 s[6:7], s[6:7]
	v_mov_b32_e32 v11, s10
	s_xor_b64 exec, exec, s[6:7]
	s_cbranch_execnz .LBB24_3432
.LBB24_1382:
	s_or_b64 exec, exec, s[6:7]
	s_and_saveexec_b64 s[6:7], s[4:5]
	s_cbranch_execz .LBB24_1384
.LBB24_1383:
	v_and_b32_e32 v11, 7, v13
	v_ffbh_u32_e32 v14, v11
	v_min_u32_e32 v14, 32, v14
	v_lshrrev_b16_e32 v12, 3, v13
	v_subrev_u32_e32 v15, 28, v14
	v_and_b32_e32 v12, 15, v12
	v_lshlrev_b32_e32 v15, v15, v13
	v_sub_u32_e32 v14, 29, v14
	v_and_b32_e32 v15, 7, v15
	v_cmp_eq_u16_e32 vcc, 0, v12
	v_cndmask_b32_e32 v11, v11, v15, vcc
	v_cndmask_b32_e32 v12, v12, v14, vcc
	v_lshlrev_b32_e32 v14, 24, v13
	v_mov_b32_e32 v15, 0x3b800000
	v_lshlrev_b32_e32 v11, 20, v11
	v_and_b32_e32 v14, 0x80000000, v14
	v_lshl_add_u32 v12, v12, 23, v15
	v_or3_b32 v11, v14, v12, v11
.LBB24_1384:
	s_or_b64 exec, exec, s[6:7]
	s_nop 0
	v_mfma_f32_16x16x4f32 a[0:3], v10, v11, a[0:3]
	v_lshrrev_b32_e32 v11, 8, v17
	s_movk_i32 s4, 0x7f
	v_cmp_gt_i16_sdwa s[6:7], v11, s4 src0_sel:BYTE_0 src1_sel:DWORD
	s_mov_b64 s[4:5], 0
                                        ; implicit-def: $sgpr10
	s_and_saveexec_b64 s[8:9], s[6:7]
	s_xor_b64 s[6:7], exec, s[8:9]
	s_cbranch_execnz .LBB24_3433
; %bb.1385:
	s_or_saveexec_b64 s[6:7], s[6:7]
	v_mov_b32_e32 v10, s10
	s_xor_b64 exec, exec, s[6:7]
	s_cbranch_execnz .LBB24_3436
.LBB24_1386:
	s_or_b64 exec, exec, s[6:7]
	s_and_saveexec_b64 s[6:7], s[4:5]
	s_cbranch_execz .LBB24_1388
.LBB24_1387:
	v_bfe_u32 v10, v17, 8, 3
	v_ffbh_u32_e32 v14, v10
	v_min_u32_e32 v14, 32, v14
	v_lshrrev_b16_e32 v12, 3, v11
	v_subrev_u32_e32 v15, 28, v14
	v_and_b32_e32 v12, 15, v12
	v_lshlrev_b32_e32 v11, v15, v11
	v_sub_u32_e32 v14, 29, v14
	v_and_b32_e32 v11, 7, v11
	v_cmp_eq_u16_e32 vcc, 0, v12
	v_cndmask_b32_e32 v10, v10, v11, vcc
	v_cndmask_b32_e32 v11, v12, v14, vcc
	v_lshlrev_b32_e32 v12, 16, v17
	v_mov_b32_e32 v14, 0x3b800000
	v_lshlrev_b32_e32 v10, 20, v10
	v_and_b32_e32 v12, 0x80000000, v12
	v_lshl_add_u32 v11, v11, 23, v14
	v_or3_b32 v10, v12, v11, v10
.LBB24_1388:
	s_or_b64 exec, exec, s[6:7]
	v_lshrrev_b32_e32 v11, 8, v13
	s_movk_i32 s4, 0x7f
	v_cmp_gt_i16_sdwa s[6:7], v11, s4 src0_sel:BYTE_0 src1_sel:DWORD
	s_mov_b64 s[4:5], 0
                                        ; implicit-def: $sgpr10
	s_and_saveexec_b64 s[8:9], s[6:7]
	s_xor_b64 s[6:7], exec, s[8:9]
	s_cbranch_execnz .LBB24_3437
; %bb.1389:
	s_or_saveexec_b64 s[6:7], s[6:7]
	v_mov_b32_e32 v12, s10
	s_xor_b64 exec, exec, s[6:7]
	s_cbranch_execnz .LBB24_3440
.LBB24_1390:
	s_or_b64 exec, exec, s[6:7]
	s_and_saveexec_b64 s[6:7], s[4:5]
	s_cbranch_execz .LBB24_1392
.LBB24_1391:
	v_bfe_u32 v12, v13, 8, 3
	v_ffbh_u32_e32 v15, v12
	v_min_u32_e32 v15, 32, v15
	v_lshrrev_b16_e32 v14, 3, v11
	v_subrev_u32_e32 v16, 28, v15
	v_and_b32_e32 v14, 15, v14
	v_lshlrev_b32_e32 v11, v16, v11
	v_sub_u32_e32 v15, 29, v15
	v_and_b32_e32 v11, 7, v11
	v_cmp_eq_u16_e32 vcc, 0, v14
	v_cndmask_b32_e32 v11, v12, v11, vcc
	v_cndmask_b32_e32 v12, v14, v15, vcc
	v_lshlrev_b32_e32 v14, 16, v13
	v_mov_b32_e32 v15, 0x3b800000
	v_lshlrev_b32_e32 v11, 20, v11
	v_and_b32_e32 v14, 0x80000000, v14
	v_lshl_add_u32 v12, v12, 23, v15
	v_or3_b32 v12, v14, v12, v11
.LBB24_1392:
	s_or_b64 exec, exec, s[6:7]
	s_nop 0
	v_mfma_f32_16x16x4f32 a[0:3], v10, v12, a[0:3]
	s_movk_i32 s4, 0xff
	v_and_b32_sdwa v11, v17, s4 dst_sel:DWORD dst_unused:UNUSED_PAD src0_sel:WORD_1 src1_sel:DWORD
	s_movk_i32 s4, 0x7f
	v_cmp_lt_i16_e32 vcc, s4, v11
	s_mov_b64 s[4:5], 0
                                        ; implicit-def: $sgpr10
	s_and_saveexec_b64 s[6:7], vcc
	s_xor_b64 s[6:7], exec, s[6:7]
	s_cbranch_execnz .LBB24_3441
; %bb.1393:
	s_or_saveexec_b64 s[6:7], s[6:7]
	v_mov_b32_e32 v10, s10
	s_xor_b64 exec, exec, s[6:7]
	s_cbranch_execnz .LBB24_3444
.LBB24_1394:
	s_or_b64 exec, exec, s[6:7]
	s_and_saveexec_b64 s[6:7], s[4:5]
	s_cbranch_execz .LBB24_1396
.LBB24_1395:
	v_bfe_u32 v10, v17, 16, 3
	v_ffbh_u32_e32 v14, v10
	v_min_u32_e32 v14, 32, v14
	v_lshrrev_b32_e32 v11, 19, v17
	v_subrev_u32_e32 v15, 28, v14
	v_and_b32_e32 v11, 15, v11
	v_lshlrev_b32_sdwa v15, v15, v17 dst_sel:DWORD dst_unused:UNUSED_PAD src0_sel:DWORD src1_sel:WORD_1
	v_bfe_u32 v12, v17, 19, 4
	v_sub_u32_e32 v14, 29, v14
	v_and_b32_e32 v15, 7, v15
	v_cmp_eq_u16_e32 vcc, 0, v11
	v_cndmask_b32_e32 v10, v10, v15, vcc
	v_cndmask_b32_e32 v11, v12, v14, vcc
	v_lshlrev_b32_e32 v12, 8, v17
	v_mov_b32_e32 v14, 0x3b800000
	v_lshlrev_b32_e32 v10, 20, v10
	v_and_b32_e32 v12, 0x80000000, v12
	v_lshl_add_u32 v11, v11, 23, v14
	v_or3_b32 v10, v12, v11, v10
.LBB24_1396:
	s_or_b64 exec, exec, s[6:7]
	s_movk_i32 s4, 0xff
	v_and_b32_sdwa v11, v13, s4 dst_sel:DWORD dst_unused:UNUSED_PAD src0_sel:WORD_1 src1_sel:DWORD
	s_movk_i32 s4, 0x7f
	v_cmp_lt_i16_e32 vcc, s4, v11
	s_mov_b64 s[4:5], 0
                                        ; implicit-def: $sgpr10
	s_and_saveexec_b64 s[6:7], vcc
	s_xor_b64 s[6:7], exec, s[6:7]
	s_cbranch_execnz .LBB24_3445
; %bb.1397:
	s_or_saveexec_b64 s[6:7], s[6:7]
	v_mov_b32_e32 v12, s10
	s_xor_b64 exec, exec, s[6:7]
	s_cbranch_execnz .LBB24_3448
.LBB24_1398:
	s_or_b64 exec, exec, s[6:7]
	s_and_saveexec_b64 s[6:7], s[4:5]
	s_cbranch_execz .LBB24_1400
.LBB24_1399:
	v_bfe_u32 v11, v13, 16, 3
	v_ffbh_u32_e32 v15, v11
	v_min_u32_e32 v15, 32, v15
	v_lshrrev_b32_e32 v12, 19, v13
	v_subrev_u32_e32 v16, 28, v15
	v_and_b32_e32 v12, 15, v12
	v_lshlrev_b32_sdwa v16, v16, v13 dst_sel:DWORD dst_unused:UNUSED_PAD src0_sel:DWORD src1_sel:WORD_1
	v_bfe_u32 v14, v13, 19, 4
	v_sub_u32_e32 v15, 29, v15
	v_and_b32_e32 v16, 7, v16
	v_cmp_eq_u16_e32 vcc, 0, v12
	v_cndmask_b32_e32 v11, v11, v16, vcc
	v_cndmask_b32_e32 v12, v14, v15, vcc
	v_lshlrev_b32_e32 v14, 8, v13
	v_mov_b32_e32 v15, 0x3b800000
	v_lshlrev_b32_e32 v11, 20, v11
	v_and_b32_e32 v14, 0x80000000, v14
	v_lshl_add_u32 v12, v12, 23, v15
	v_or3_b32 v12, v14, v12, v11
.LBB24_1400:
	s_or_b64 exec, exec, s[6:7]
	s_nop 0
	v_mfma_f32_16x16x4f32 a[0:3], v10, v12, a[0:3]
	s_movk_i32 s4, 0x7f
	v_cmp_gt_i16_sdwa s[6:7], v17, s4 src0_sel:BYTE_3 src1_sel:DWORD
	s_mov_b64 s[4:5], 0
                                        ; implicit-def: $sgpr10
	s_and_saveexec_b64 s[8:9], s[6:7]
	s_xor_b64 s[6:7], exec, s[8:9]
	s_cbranch_execnz .LBB24_3449
; %bb.1401:
	s_or_saveexec_b64 s[6:7], s[6:7]
	v_mov_b32_e32 v10, s10
	s_xor_b64 exec, exec, s[6:7]
	s_cbranch_execnz .LBB24_3452
.LBB24_1402:
	s_or_b64 exec, exec, s[6:7]
	s_and_saveexec_b64 s[6:7], s[4:5]
	s_cbranch_execz .LBB24_1404
.LBB24_1403:
	v_bfe_u32 v10, v17, 24, 3
	v_ffbh_u32_e32 v15, v10
	v_min_u32_e32 v15, 32, v15
	v_lshrrev_b32_e32 v12, 27, v17
	v_subrev_u32_e32 v16, 28, v15
	v_and_b32_e32 v12, 15, v12
	v_lshlrev_b32_sdwa v16, v16, v17 dst_sel:DWORD dst_unused:UNUSED_PAD src0_sel:DWORD src1_sel:BYTE_3
	v_bfe_u32 v14, v17, 27, 4
	v_sub_u32_e32 v15, 29, v15
	v_and_b32_e32 v16, 7, v16
	v_cmp_eq_u16_e32 vcc, 0, v12
	v_cndmask_b32_e32 v10, v10, v16, vcc
	v_cndmask_b32_e32 v12, v14, v15, vcc
	v_mov_b32_e32 v14, 0x3b800000
	v_and_b32_e32 v11, 0x80000000, v17
	v_lshlrev_b32_e32 v10, 20, v10
	v_lshl_add_u32 v12, v12, 23, v14
	v_or3_b32 v10, v11, v12, v10
.LBB24_1404:
	s_or_b64 exec, exec, s[6:7]
	s_movk_i32 s4, 0x7f
	v_cmp_gt_i16_sdwa s[6:7], v13, s4 src0_sel:BYTE_3 src1_sel:DWORD
	s_mov_b64 s[4:5], 0
                                        ; implicit-def: $sgpr10
	s_and_saveexec_b64 s[8:9], s[6:7]
	s_xor_b64 s[6:7], exec, s[8:9]
	s_cbranch_execnz .LBB24_3453
; %bb.1405:
	s_or_saveexec_b64 s[6:7], s[6:7]
	v_mov_b32_e32 v11, s10
	s_xor_b64 exec, exec, s[6:7]
	s_cbranch_execnz .LBB24_3456
.LBB24_1406:
	s_or_b64 exec, exec, s[6:7]
	s_and_saveexec_b64 s[6:7], s[4:5]
	s_cbranch_execz .LBB24_1408
.LBB24_1407:
	v_bfe_u32 v11, v13, 24, 3
	v_ffbh_u32_e32 v16, v11
	v_min_u32_e32 v16, 32, v16
	v_lshrrev_b32_e32 v14, 27, v13
	v_subrev_u32_e32 v17, 28, v16
	v_and_b32_e32 v12, 0x80000000, v13
	v_and_b32_e32 v14, 15, v14
	v_bfe_u32 v15, v13, 27, 4
	v_lshlrev_b32_sdwa v13, v17, v13 dst_sel:DWORD dst_unused:UNUSED_PAD src0_sel:DWORD src1_sel:BYTE_3
	v_sub_u32_e32 v16, 29, v16
	v_and_b32_e32 v13, 7, v13
	v_cmp_eq_u16_e32 vcc, 0, v14
	v_cndmask_b32_e32 v11, v11, v13, vcc
	v_cndmask_b32_e32 v13, v15, v16, vcc
	v_mov_b32_e32 v14, 0x3b800000
	v_lshlrev_b32_e32 v11, 20, v11
	v_lshl_add_u32 v13, v13, 23, v14
	v_or3_b32 v11, v12, v13, v11
.LBB24_1408:
	s_or_b64 exec, exec, s[6:7]
	s_nop 0
	v_mfma_f32_16x16x4f32 a[0:3], v10, v11, a[0:3]
	s_movk_i32 s4, 0x7f
	v_cmp_gt_i16_sdwa s[6:7], v6, s4 src0_sel:BYTE_0 src1_sel:DWORD
	s_mov_b64 s[4:5], 0
                                        ; implicit-def: $sgpr10
	s_and_saveexec_b64 s[8:9], s[6:7]
	s_xor_b64 s[6:7], exec, s[8:9]
	s_cbranch_execnz .LBB24_3457
; %bb.1409:
	s_or_saveexec_b64 s[6:7], s[6:7]
	v_mov_b32_e32 v10, s10
	s_xor_b64 exec, exec, s[6:7]
	s_cbranch_execnz .LBB24_3460
.LBB24_1410:
	s_or_b64 exec, exec, s[6:7]
	s_and_saveexec_b64 s[6:7], s[4:5]
	s_cbranch_execz .LBB24_1412
.LBB24_1411:
	v_and_b32_e32 v10, 7, v6
	v_ffbh_u32_e32 v12, v10
	v_min_u32_e32 v12, 32, v12
	v_lshrrev_b16_e32 v11, 3, v6
	v_subrev_u32_e32 v13, 28, v12
	v_and_b32_e32 v11, 15, v11
	v_lshlrev_b32_e32 v13, v13, v6
	v_sub_u32_e32 v12, 29, v12
	v_and_b32_e32 v13, 7, v13
	v_cmp_eq_u16_e32 vcc, 0, v11
	v_cndmask_b32_e32 v10, v10, v13, vcc
	v_cndmask_b32_e32 v11, v11, v12, vcc
	v_lshlrev_b32_e32 v12, 24, v6
	v_mov_b32_e32 v13, 0x3b800000
	v_lshlrev_b32_e32 v10, 20, v10
	v_and_b32_e32 v12, 0x80000000, v12
	v_lshl_add_u32 v11, v11, 23, v13
	v_or3_b32 v10, v12, v11, v10
.LBB24_1412:
	s_or_b64 exec, exec, s[6:7]
	s_movk_i32 s4, 0x7f
	v_cmp_gt_i16_sdwa s[6:7], v2, s4 src0_sel:BYTE_0 src1_sel:DWORD
	s_mov_b64 s[4:5], 0
                                        ; implicit-def: $sgpr10
	s_and_saveexec_b64 s[8:9], s[6:7]
	s_xor_b64 s[6:7], exec, s[8:9]
	s_cbranch_execnz .LBB24_3461
; %bb.1413:
	s_or_saveexec_b64 s[6:7], s[6:7]
	v_mov_b32_e32 v11, s10
	s_xor_b64 exec, exec, s[6:7]
	s_cbranch_execnz .LBB24_3464
.LBB24_1414:
	s_or_b64 exec, exec, s[6:7]
	s_and_saveexec_b64 s[6:7], s[4:5]
	s_cbranch_execz .LBB24_1416
.LBB24_1415:
	v_and_b32_e32 v11, 7, v2
	v_ffbh_u32_e32 v13, v11
	v_min_u32_e32 v13, 32, v13
	v_lshrrev_b16_e32 v12, 3, v2
	v_subrev_u32_e32 v14, 28, v13
	v_and_b32_e32 v12, 15, v12
	v_lshlrev_b32_e32 v14, v14, v2
	v_sub_u32_e32 v13, 29, v13
	v_and_b32_e32 v14, 7, v14
	v_cmp_eq_u16_e32 vcc, 0, v12
	v_cndmask_b32_e32 v11, v11, v14, vcc
	v_cndmask_b32_e32 v12, v12, v13, vcc
	v_lshlrev_b32_e32 v13, 24, v2
	v_mov_b32_e32 v14, 0x3b800000
	v_lshlrev_b32_e32 v11, 20, v11
	v_and_b32_e32 v13, 0x80000000, v13
	v_lshl_add_u32 v12, v12, 23, v14
	v_or3_b32 v11, v13, v12, v11
.LBB24_1416:
	s_or_b64 exec, exec, s[6:7]
	s_nop 0
	v_mfma_f32_16x16x4f32 a[0:3], v10, v11, a[0:3]
	v_lshrrev_b32_e32 v11, 8, v6
	s_movk_i32 s4, 0x7f
	v_cmp_gt_i16_sdwa s[6:7], v11, s4 src0_sel:BYTE_0 src1_sel:DWORD
	s_mov_b64 s[4:5], 0
                                        ; implicit-def: $sgpr10
	s_and_saveexec_b64 s[8:9], s[6:7]
	s_xor_b64 s[6:7], exec, s[8:9]
	s_cbranch_execnz .LBB24_3465
; %bb.1417:
	s_or_saveexec_b64 s[6:7], s[6:7]
	v_mov_b32_e32 v10, s10
	s_xor_b64 exec, exec, s[6:7]
	s_cbranch_execnz .LBB24_3468
.LBB24_1418:
	s_or_b64 exec, exec, s[6:7]
	s_and_saveexec_b64 s[6:7], s[4:5]
	s_cbranch_execz .LBB24_1420
.LBB24_1419:
	v_bfe_u32 v10, v6, 8, 3
	v_ffbh_u32_e32 v13, v10
	v_min_u32_e32 v13, 32, v13
	v_lshrrev_b16_e32 v12, 3, v11
	v_subrev_u32_e32 v14, 28, v13
	v_and_b32_e32 v12, 15, v12
	v_lshlrev_b32_e32 v11, v14, v11
	v_sub_u32_e32 v13, 29, v13
	v_and_b32_e32 v11, 7, v11
	v_cmp_eq_u16_e32 vcc, 0, v12
	v_cndmask_b32_e32 v10, v10, v11, vcc
	v_cndmask_b32_e32 v11, v12, v13, vcc
	v_lshlrev_b32_e32 v12, 16, v6
	v_mov_b32_e32 v13, 0x3b800000
	v_lshlrev_b32_e32 v10, 20, v10
	v_and_b32_e32 v12, 0x80000000, v12
	v_lshl_add_u32 v11, v11, 23, v13
	v_or3_b32 v10, v12, v11, v10
.LBB24_1420:
	s_or_b64 exec, exec, s[6:7]
	v_lshrrev_b32_e32 v11, 8, v2
	s_movk_i32 s4, 0x7f
	v_cmp_gt_i16_sdwa s[6:7], v11, s4 src0_sel:BYTE_0 src1_sel:DWORD
	s_mov_b64 s[4:5], 0
                                        ; implicit-def: $sgpr10
	s_and_saveexec_b64 s[8:9], s[6:7]
	s_xor_b64 s[6:7], exec, s[8:9]
	s_cbranch_execnz .LBB24_3469
; %bb.1421:
	s_or_saveexec_b64 s[6:7], s[6:7]
	v_mov_b32_e32 v12, s10
	s_xor_b64 exec, exec, s[6:7]
	s_cbranch_execnz .LBB24_3472
.LBB24_1422:
	s_or_b64 exec, exec, s[6:7]
	s_and_saveexec_b64 s[6:7], s[4:5]
	s_cbranch_execz .LBB24_1424
.LBB24_1423:
	v_bfe_u32 v12, v2, 8, 3
	v_ffbh_u32_e32 v14, v12
	v_min_u32_e32 v14, 32, v14
	v_lshrrev_b16_e32 v13, 3, v11
	v_subrev_u32_e32 v15, 28, v14
	v_and_b32_e32 v13, 15, v13
	v_lshlrev_b32_e32 v11, v15, v11
	v_sub_u32_e32 v14, 29, v14
	v_and_b32_e32 v11, 7, v11
	v_cmp_eq_u16_e32 vcc, 0, v13
	v_cndmask_b32_e32 v11, v12, v11, vcc
	v_cndmask_b32_e32 v12, v13, v14, vcc
	v_lshlrev_b32_e32 v13, 16, v2
	v_mov_b32_e32 v14, 0x3b800000
	v_lshlrev_b32_e32 v11, 20, v11
	v_and_b32_e32 v13, 0x80000000, v13
	v_lshl_add_u32 v12, v12, 23, v14
	v_or3_b32 v12, v13, v12, v11
.LBB24_1424:
	s_or_b64 exec, exec, s[6:7]
	s_nop 0
	v_mfma_f32_16x16x4f32 a[0:3], v10, v12, a[0:3]
	s_movk_i32 s4, 0xff
	v_and_b32_sdwa v11, v6, s4 dst_sel:DWORD dst_unused:UNUSED_PAD src0_sel:WORD_1 src1_sel:DWORD
	s_movk_i32 s4, 0x7f
	v_cmp_lt_i16_e32 vcc, s4, v11
	s_mov_b64 s[4:5], 0
                                        ; implicit-def: $sgpr10
	s_and_saveexec_b64 s[6:7], vcc
	s_xor_b64 s[6:7], exec, s[6:7]
	s_cbranch_execnz .LBB24_3473
; %bb.1425:
	s_or_saveexec_b64 s[6:7], s[6:7]
	v_mov_b32_e32 v10, s10
	s_xor_b64 exec, exec, s[6:7]
	s_cbranch_execnz .LBB24_3476
.LBB24_1426:
	s_or_b64 exec, exec, s[6:7]
	s_and_saveexec_b64 s[6:7], s[4:5]
	s_cbranch_execz .LBB24_1428
.LBB24_1427:
	v_bfe_u32 v10, v6, 16, 3
	v_ffbh_u32_e32 v13, v10
	v_min_u32_e32 v13, 32, v13
	v_lshrrev_b32_e32 v11, 19, v6
	v_subrev_u32_e32 v14, 28, v13
	v_and_b32_e32 v11, 15, v11
	v_lshlrev_b32_sdwa v14, v14, v6 dst_sel:DWORD dst_unused:UNUSED_PAD src0_sel:DWORD src1_sel:WORD_1
	v_bfe_u32 v12, v6, 19, 4
	v_sub_u32_e32 v13, 29, v13
	v_and_b32_e32 v14, 7, v14
	v_cmp_eq_u16_e32 vcc, 0, v11
	v_cndmask_b32_e32 v10, v10, v14, vcc
	v_cndmask_b32_e32 v11, v12, v13, vcc
	v_lshlrev_b32_e32 v12, 8, v6
	v_mov_b32_e32 v13, 0x3b800000
	v_lshlrev_b32_e32 v10, 20, v10
	v_and_b32_e32 v12, 0x80000000, v12
	v_lshl_add_u32 v11, v11, 23, v13
	v_or3_b32 v10, v12, v11, v10
.LBB24_1428:
	s_or_b64 exec, exec, s[6:7]
	s_movk_i32 s4, 0xff
	v_and_b32_sdwa v11, v2, s4 dst_sel:DWORD dst_unused:UNUSED_PAD src0_sel:WORD_1 src1_sel:DWORD
	s_movk_i32 s4, 0x7f
	v_cmp_lt_i16_e32 vcc, s4, v11
	s_mov_b64 s[4:5], 0
                                        ; implicit-def: $sgpr10
	s_and_saveexec_b64 s[6:7], vcc
	s_xor_b64 s[6:7], exec, s[6:7]
	s_cbranch_execnz .LBB24_3477
; %bb.1429:
	s_or_saveexec_b64 s[6:7], s[6:7]
	v_mov_b32_e32 v12, s10
	s_xor_b64 exec, exec, s[6:7]
	s_cbranch_execnz .LBB24_3480
.LBB24_1430:
	s_or_b64 exec, exec, s[6:7]
	s_and_saveexec_b64 s[6:7], s[4:5]
	s_cbranch_execz .LBB24_1432
.LBB24_1431:
	v_bfe_u32 v11, v2, 16, 3
	v_ffbh_u32_e32 v14, v11
	v_min_u32_e32 v14, 32, v14
	v_lshrrev_b32_e32 v12, 19, v2
	v_subrev_u32_e32 v15, 28, v14
	v_and_b32_e32 v12, 15, v12
	v_lshlrev_b32_sdwa v15, v15, v2 dst_sel:DWORD dst_unused:UNUSED_PAD src0_sel:DWORD src1_sel:WORD_1
	v_bfe_u32 v13, v2, 19, 4
	v_sub_u32_e32 v14, 29, v14
	v_and_b32_e32 v15, 7, v15
	v_cmp_eq_u16_e32 vcc, 0, v12
	v_cndmask_b32_e32 v11, v11, v15, vcc
	v_cndmask_b32_e32 v12, v13, v14, vcc
	v_lshlrev_b32_e32 v13, 8, v2
	v_mov_b32_e32 v14, 0x3b800000
	v_lshlrev_b32_e32 v11, 20, v11
	v_and_b32_e32 v13, 0x80000000, v13
	v_lshl_add_u32 v12, v12, 23, v14
	v_or3_b32 v12, v13, v12, v11
.LBB24_1432:
	s_or_b64 exec, exec, s[6:7]
	s_nop 0
	v_mfma_f32_16x16x4f32 a[0:3], v10, v12, a[0:3]
	s_movk_i32 s4, 0x7f
	v_cmp_gt_i16_sdwa s[6:7], v6, s4 src0_sel:BYTE_3 src1_sel:DWORD
	s_mov_b64 s[4:5], 0
                                        ; implicit-def: $sgpr10
	s_and_saveexec_b64 s[8:9], s[6:7]
	s_xor_b64 s[6:7], exec, s[8:9]
	s_cbranch_execnz .LBB24_3481
; %bb.1433:
	s_or_saveexec_b64 s[6:7], s[6:7]
	v_mov_b32_e32 v10, s10
	s_xor_b64 exec, exec, s[6:7]
	s_cbranch_execnz .LBB24_3484
.LBB24_1434:
	s_or_b64 exec, exec, s[6:7]
	s_and_saveexec_b64 s[6:7], s[4:5]
	s_cbranch_execz .LBB24_1436
.LBB24_1435:
	v_bfe_u32 v10, v6, 24, 3
	v_ffbh_u32_e32 v14, v10
	v_min_u32_e32 v14, 32, v14
	v_lshrrev_b32_e32 v12, 27, v6
	v_subrev_u32_e32 v15, 28, v14
	v_and_b32_e32 v11, 0x80000000, v6
	v_and_b32_e32 v12, 15, v12
	v_bfe_u32 v13, v6, 27, 4
	v_lshlrev_b32_sdwa v6, v15, v6 dst_sel:DWORD dst_unused:UNUSED_PAD src0_sel:DWORD src1_sel:BYTE_3
	v_sub_u32_e32 v14, 29, v14
	v_and_b32_e32 v6, 7, v6
	v_cmp_eq_u16_e32 vcc, 0, v12
	v_cndmask_b32_e32 v6, v10, v6, vcc
	v_cndmask_b32_e32 v10, v13, v14, vcc
	v_mov_b32_e32 v12, 0x3b800000
	v_lshlrev_b32_e32 v6, 20, v6
	v_lshl_add_u32 v10, v10, 23, v12
	v_or3_b32 v10, v11, v10, v6
.LBB24_1436:
	s_or_b64 exec, exec, s[6:7]
	s_movk_i32 s4, 0x7f
	v_cmp_gt_i16_sdwa s[6:7], v2, s4 src0_sel:BYTE_3 src1_sel:DWORD
	s_mov_b64 s[4:5], 0
                                        ; implicit-def: $sgpr10
	s_and_saveexec_b64 s[8:9], s[6:7]
	s_xor_b64 s[6:7], exec, s[8:9]
	s_cbranch_execnz .LBB24_3485
; %bb.1437:
	s_or_saveexec_b64 s[6:7], s[6:7]
	v_mov_b32_e32 v6, s10
	s_xor_b64 exec, exec, s[6:7]
	s_cbranch_execnz .LBB24_3488
.LBB24_1438:
	s_or_b64 exec, exec, s[6:7]
	s_and_saveexec_b64 s[6:7], s[4:5]
	s_cbranch_execz .LBB24_1440
.LBB24_1439:
	v_bfe_u32 v6, v2, 24, 3
	v_ffbh_u32_e32 v14, v6
	v_min_u32_e32 v14, 32, v14
	v_lshrrev_b32_e32 v12, 27, v2
	v_subrev_u32_e32 v15, 28, v14
	v_and_b32_e32 v11, 0x80000000, v2
	v_and_b32_e32 v12, 15, v12
	v_bfe_u32 v13, v2, 27, 4
	v_lshlrev_b32_sdwa v2, v15, v2 dst_sel:DWORD dst_unused:UNUSED_PAD src0_sel:DWORD src1_sel:BYTE_3
	v_sub_u32_e32 v14, 29, v14
	v_and_b32_e32 v2, 7, v2
	v_cmp_eq_u16_e32 vcc, 0, v12
	v_cndmask_b32_e32 v2, v6, v2, vcc
	v_cndmask_b32_e32 v6, v13, v14, vcc
	v_mov_b32_e32 v12, 0x3b800000
	v_lshlrev_b32_e32 v2, 20, v2
	v_lshl_add_u32 v6, v6, 23, v12
	v_or3_b32 v6, v11, v6, v2
.LBB24_1440:
	s_or_b64 exec, exec, s[6:7]
	s_nop 0
	v_mfma_f32_16x16x4f32 a[0:3], v10, v6, a[0:3]
	s_movk_i32 s4, 0x7f
	v_cmp_gt_i16_sdwa s[6:7], v7, s4 src0_sel:BYTE_0 src1_sel:DWORD
	s_mov_b64 s[4:5], 0
                                        ; implicit-def: $sgpr10
	s_and_saveexec_b64 s[8:9], s[6:7]
	s_xor_b64 s[6:7], exec, s[8:9]
	s_cbranch_execnz .LBB24_3489
; %bb.1441:
	s_or_saveexec_b64 s[6:7], s[6:7]
	v_mov_b32_e32 v2, s10
	s_xor_b64 exec, exec, s[6:7]
	s_cbranch_execnz .LBB24_3492
.LBB24_1442:
	s_or_b64 exec, exec, s[6:7]
	s_and_saveexec_b64 s[6:7], s[4:5]
	s_cbranch_execz .LBB24_1444
.LBB24_1443:
	v_and_b32_e32 v2, 7, v7
	v_ffbh_u32_e32 v10, v2
	v_min_u32_e32 v10, 32, v10
	v_lshrrev_b16_e32 v6, 3, v7
	v_subrev_u32_e32 v11, 28, v10
	v_and_b32_e32 v6, 15, v6
	v_lshlrev_b32_e32 v11, v11, v7
	v_sub_u32_e32 v10, 29, v10
	v_and_b32_e32 v11, 7, v11
	v_cmp_eq_u16_e32 vcc, 0, v6
	v_cndmask_b32_e32 v2, v2, v11, vcc
	v_cndmask_b32_e32 v6, v6, v10, vcc
	v_lshlrev_b32_e32 v10, 24, v7
	v_mov_b32_e32 v11, 0x3b800000
	v_lshlrev_b32_e32 v2, 20, v2
	v_and_b32_e32 v10, 0x80000000, v10
	v_lshl_add_u32 v6, v6, 23, v11
	v_or3_b32 v2, v10, v6, v2
.LBB24_1444:
	s_or_b64 exec, exec, s[6:7]
	s_movk_i32 s4, 0x7f
	v_cmp_gt_i16_sdwa s[6:7], v3, s4 src0_sel:BYTE_0 src1_sel:DWORD
	s_mov_b64 s[4:5], 0
                                        ; implicit-def: $sgpr10
	s_and_saveexec_b64 s[8:9], s[6:7]
	s_xor_b64 s[6:7], exec, s[8:9]
	s_cbranch_execnz .LBB24_3493
; %bb.1445:
	s_or_saveexec_b64 s[6:7], s[6:7]
	v_mov_b32_e32 v6, s10
	s_xor_b64 exec, exec, s[6:7]
	s_cbranch_execnz .LBB24_3496
.LBB24_1446:
	s_or_b64 exec, exec, s[6:7]
	s_and_saveexec_b64 s[6:7], s[4:5]
	s_cbranch_execz .LBB24_1448
.LBB24_1447:
	v_and_b32_e32 v6, 7, v3
	v_ffbh_u32_e32 v11, v6
	v_min_u32_e32 v11, 32, v11
	v_lshrrev_b16_e32 v10, 3, v3
	v_subrev_u32_e32 v12, 28, v11
	v_and_b32_e32 v10, 15, v10
	v_lshlrev_b32_e32 v12, v12, v3
	v_sub_u32_e32 v11, 29, v11
	v_and_b32_e32 v12, 7, v12
	v_cmp_eq_u16_e32 vcc, 0, v10
	v_cndmask_b32_e32 v6, v6, v12, vcc
	v_cndmask_b32_e32 v10, v10, v11, vcc
	v_lshlrev_b32_e32 v11, 24, v3
	v_mov_b32_e32 v12, 0x3b800000
	v_lshlrev_b32_e32 v6, 20, v6
	v_and_b32_e32 v11, 0x80000000, v11
	v_lshl_add_u32 v10, v10, 23, v12
	v_or3_b32 v6, v11, v10, v6
.LBB24_1448:
	s_or_b64 exec, exec, s[6:7]
	s_nop 0
	v_mfma_f32_16x16x4f32 a[0:3], v2, v6, a[0:3]
	v_lshrrev_b32_e32 v6, 8, v7
	s_movk_i32 s4, 0x7f
	v_cmp_gt_i16_sdwa s[6:7], v6, s4 src0_sel:BYTE_0 src1_sel:DWORD
	s_mov_b64 s[4:5], 0
                                        ; implicit-def: $sgpr10
	s_and_saveexec_b64 s[8:9], s[6:7]
	s_xor_b64 s[6:7], exec, s[8:9]
	s_cbranch_execnz .LBB24_3497
; %bb.1449:
	s_or_saveexec_b64 s[6:7], s[6:7]
	v_mov_b32_e32 v2, s10
	s_xor_b64 exec, exec, s[6:7]
	s_cbranch_execnz .LBB24_3500
.LBB24_1450:
	s_or_b64 exec, exec, s[6:7]
	s_and_saveexec_b64 s[6:7], s[4:5]
	s_cbranch_execz .LBB24_1452
.LBB24_1451:
	v_bfe_u32 v2, v7, 8, 3
	v_ffbh_u32_e32 v11, v2
	v_min_u32_e32 v11, 32, v11
	v_lshrrev_b16_e32 v10, 3, v6
	v_subrev_u32_e32 v12, 28, v11
	v_and_b32_e32 v10, 15, v10
	v_lshlrev_b32_e32 v6, v12, v6
	v_sub_u32_e32 v11, 29, v11
	v_and_b32_e32 v6, 7, v6
	v_cmp_eq_u16_e32 vcc, 0, v10
	v_cndmask_b32_e32 v2, v2, v6, vcc
	v_cndmask_b32_e32 v6, v10, v11, vcc
	v_lshlrev_b32_e32 v10, 16, v7
	v_mov_b32_e32 v11, 0x3b800000
	v_lshlrev_b32_e32 v2, 20, v2
	v_and_b32_e32 v10, 0x80000000, v10
	v_lshl_add_u32 v6, v6, 23, v11
	v_or3_b32 v2, v10, v6, v2
.LBB24_1452:
	s_or_b64 exec, exec, s[6:7]
	v_lshrrev_b32_e32 v6, 8, v3
	s_movk_i32 s4, 0x7f
	v_cmp_gt_i16_sdwa s[6:7], v6, s4 src0_sel:BYTE_0 src1_sel:DWORD
	s_mov_b64 s[4:5], 0
                                        ; implicit-def: $sgpr10
	s_and_saveexec_b64 s[8:9], s[6:7]
	s_xor_b64 s[6:7], exec, s[8:9]
	s_cbranch_execnz .LBB24_3501
; %bb.1453:
	s_or_saveexec_b64 s[6:7], s[6:7]
	v_mov_b32_e32 v10, s10
	s_xor_b64 exec, exec, s[6:7]
	s_cbranch_execnz .LBB24_3504
.LBB24_1454:
	s_or_b64 exec, exec, s[6:7]
	s_and_saveexec_b64 s[6:7], s[4:5]
	s_cbranch_execz .LBB24_1456
.LBB24_1455:
	v_bfe_u32 v10, v3, 8, 3
	v_ffbh_u32_e32 v12, v10
	v_min_u32_e32 v12, 32, v12
	v_lshrrev_b16_e32 v11, 3, v6
	v_subrev_u32_e32 v13, 28, v12
	v_and_b32_e32 v11, 15, v11
	v_lshlrev_b32_e32 v6, v13, v6
	v_sub_u32_e32 v12, 29, v12
	v_and_b32_e32 v6, 7, v6
	v_cmp_eq_u16_e32 vcc, 0, v11
	v_cndmask_b32_e32 v6, v10, v6, vcc
	v_cndmask_b32_e32 v10, v11, v12, vcc
	v_lshlrev_b32_e32 v11, 16, v3
	v_mov_b32_e32 v12, 0x3b800000
	v_lshlrev_b32_e32 v6, 20, v6
	v_and_b32_e32 v11, 0x80000000, v11
	v_lshl_add_u32 v10, v10, 23, v12
	v_or3_b32 v10, v11, v10, v6
.LBB24_1456:
	s_or_b64 exec, exec, s[6:7]
	s_nop 0
	v_mfma_f32_16x16x4f32 a[0:3], v2, v10, a[0:3]
	s_movk_i32 s4, 0xff
	v_and_b32_sdwa v6, v7, s4 dst_sel:DWORD dst_unused:UNUSED_PAD src0_sel:WORD_1 src1_sel:DWORD
	s_movk_i32 s4, 0x7f
	v_cmp_lt_i16_e32 vcc, s4, v6
	s_mov_b64 s[4:5], 0
                                        ; implicit-def: $sgpr10
	s_and_saveexec_b64 s[6:7], vcc
	s_xor_b64 s[6:7], exec, s[6:7]
	s_cbranch_execnz .LBB24_3505
; %bb.1457:
	s_or_saveexec_b64 s[6:7], s[6:7]
	v_mov_b32_e32 v2, s10
	s_xor_b64 exec, exec, s[6:7]
	s_cbranch_execnz .LBB24_3508
.LBB24_1458:
	s_or_b64 exec, exec, s[6:7]
	s_and_saveexec_b64 s[6:7], s[4:5]
	s_cbranch_execz .LBB24_1460
.LBB24_1459:
	v_bfe_u32 v2, v7, 16, 3
	v_ffbh_u32_e32 v11, v2
	v_min_u32_e32 v11, 32, v11
	v_lshrrev_b32_e32 v6, 19, v7
	v_subrev_u32_e32 v12, 28, v11
	v_and_b32_e32 v6, 15, v6
	v_lshlrev_b32_sdwa v12, v12, v7 dst_sel:DWORD dst_unused:UNUSED_PAD src0_sel:DWORD src1_sel:WORD_1
	v_bfe_u32 v10, v7, 19, 4
	v_sub_u32_e32 v11, 29, v11
	v_and_b32_e32 v12, 7, v12
	v_cmp_eq_u16_e32 vcc, 0, v6
	v_cndmask_b32_e32 v2, v2, v12, vcc
	v_cndmask_b32_e32 v6, v10, v11, vcc
	v_lshlrev_b32_e32 v10, 8, v7
	v_mov_b32_e32 v11, 0x3b800000
	v_lshlrev_b32_e32 v2, 20, v2
	v_and_b32_e32 v10, 0x80000000, v10
	v_lshl_add_u32 v6, v6, 23, v11
	v_or3_b32 v2, v10, v6, v2
.LBB24_1460:
	s_or_b64 exec, exec, s[6:7]
	s_movk_i32 s4, 0xff
	v_and_b32_sdwa v6, v3, s4 dst_sel:DWORD dst_unused:UNUSED_PAD src0_sel:WORD_1 src1_sel:DWORD
	s_movk_i32 s4, 0x7f
	v_cmp_lt_i16_e32 vcc, s4, v6
	s_mov_b64 s[4:5], 0
                                        ; implicit-def: $sgpr10
	s_and_saveexec_b64 s[6:7], vcc
	s_xor_b64 s[6:7], exec, s[6:7]
	s_cbranch_execnz .LBB24_3509
; %bb.1461:
	s_or_saveexec_b64 s[6:7], s[6:7]
	v_mov_b32_e32 v10, s10
	s_xor_b64 exec, exec, s[6:7]
	s_cbranch_execnz .LBB24_3512
.LBB24_1462:
	s_or_b64 exec, exec, s[6:7]
	s_and_saveexec_b64 s[6:7], s[4:5]
	s_cbranch_execz .LBB24_1464
.LBB24_1463:
	v_bfe_u32 v6, v3, 16, 3
	v_ffbh_u32_e32 v12, v6
	v_min_u32_e32 v12, 32, v12
	v_lshrrev_b32_e32 v10, 19, v3
	v_subrev_u32_e32 v13, 28, v12
	v_and_b32_e32 v10, 15, v10
	v_lshlrev_b32_sdwa v13, v13, v3 dst_sel:DWORD dst_unused:UNUSED_PAD src0_sel:DWORD src1_sel:WORD_1
	v_bfe_u32 v11, v3, 19, 4
	v_sub_u32_e32 v12, 29, v12
	v_and_b32_e32 v13, 7, v13
	v_cmp_eq_u16_e32 vcc, 0, v10
	v_cndmask_b32_e32 v6, v6, v13, vcc
	v_cndmask_b32_e32 v10, v11, v12, vcc
	v_lshlrev_b32_e32 v11, 8, v3
	v_mov_b32_e32 v12, 0x3b800000
	v_lshlrev_b32_e32 v6, 20, v6
	v_and_b32_e32 v11, 0x80000000, v11
	v_lshl_add_u32 v10, v10, 23, v12
	v_or3_b32 v10, v11, v10, v6
.LBB24_1464:
	s_or_b64 exec, exec, s[6:7]
	s_nop 0
	v_mfma_f32_16x16x4f32 a[0:3], v2, v10, a[0:3]
	s_movk_i32 s4, 0x7f
	v_cmp_gt_i16_sdwa s[6:7], v7, s4 src0_sel:BYTE_3 src1_sel:DWORD
	s_mov_b64 s[4:5], 0
                                        ; implicit-def: $sgpr10
	s_and_saveexec_b64 s[8:9], s[6:7]
	s_xor_b64 s[6:7], exec, s[8:9]
	s_cbranch_execnz .LBB24_3513
; %bb.1465:
	s_or_saveexec_b64 s[6:7], s[6:7]
	v_mov_b32_e32 v2, s10
	s_xor_b64 exec, exec, s[6:7]
	s_cbranch_execnz .LBB24_3516
.LBB24_1466:
	s_or_b64 exec, exec, s[6:7]
	s_and_saveexec_b64 s[6:7], s[4:5]
	s_cbranch_execz .LBB24_1468
.LBB24_1467:
	v_bfe_u32 v2, v7, 24, 3
	v_ffbh_u32_e32 v12, v2
	v_min_u32_e32 v12, 32, v12
	v_lshrrev_b32_e32 v10, 27, v7
	v_subrev_u32_e32 v13, 28, v12
	v_and_b32_e32 v6, 0x80000000, v7
	v_and_b32_e32 v10, 15, v10
	v_bfe_u32 v11, v7, 27, 4
	v_lshlrev_b32_sdwa v7, v13, v7 dst_sel:DWORD dst_unused:UNUSED_PAD src0_sel:DWORD src1_sel:BYTE_3
	v_sub_u32_e32 v12, 29, v12
	v_and_b32_e32 v7, 7, v7
	v_cmp_eq_u16_e32 vcc, 0, v10
	v_cndmask_b32_e32 v2, v2, v7, vcc
	v_cndmask_b32_e32 v7, v11, v12, vcc
	v_mov_b32_e32 v10, 0x3b800000
	v_lshlrev_b32_e32 v2, 20, v2
	v_lshl_add_u32 v7, v7, 23, v10
	v_or3_b32 v2, v6, v7, v2
.LBB24_1468:
	s_or_b64 exec, exec, s[6:7]
	s_movk_i32 s4, 0x7f
	v_cmp_gt_i16_sdwa s[6:7], v3, s4 src0_sel:BYTE_3 src1_sel:DWORD
	s_mov_b64 s[4:5], 0
                                        ; implicit-def: $sgpr10
	s_and_saveexec_b64 s[8:9], s[6:7]
	s_xor_b64 s[6:7], exec, s[8:9]
	s_cbranch_execnz .LBB24_3517
; %bb.1469:
	s_or_saveexec_b64 s[6:7], s[6:7]
	v_mov_b32_e32 v6, s10
	s_xor_b64 exec, exec, s[6:7]
	s_cbranch_execnz .LBB24_3520
.LBB24_1470:
	s_or_b64 exec, exec, s[6:7]
	s_and_saveexec_b64 s[6:7], s[4:5]
	s_cbranch_execz .LBB24_1472
.LBB24_1471:
	v_bfe_u32 v6, v3, 24, 3
	v_ffbh_u32_e32 v12, v6
	v_min_u32_e32 v12, 32, v12
	v_lshrrev_b32_e32 v10, 27, v3
	v_subrev_u32_e32 v13, 28, v12
	v_and_b32_e32 v7, 0x80000000, v3
	v_and_b32_e32 v10, 15, v10
	v_bfe_u32 v11, v3, 27, 4
	v_lshlrev_b32_sdwa v3, v13, v3 dst_sel:DWORD dst_unused:UNUSED_PAD src0_sel:DWORD src1_sel:BYTE_3
	v_sub_u32_e32 v12, 29, v12
	v_and_b32_e32 v3, 7, v3
	v_cmp_eq_u16_e32 vcc, 0, v10
	v_cndmask_b32_e32 v3, v6, v3, vcc
	v_cndmask_b32_e32 v6, v11, v12, vcc
	v_mov_b32_e32 v10, 0x3b800000
	v_lshlrev_b32_e32 v3, 20, v3
	v_lshl_add_u32 v6, v6, 23, v10
	v_or3_b32 v6, v7, v6, v3
.LBB24_1472:
	s_or_b64 exec, exec, s[6:7]
	s_nop 0
	v_mfma_f32_16x16x4f32 a[0:3], v2, v6, a[0:3]
	s_movk_i32 s4, 0x7f
	v_cmp_gt_i16_sdwa s[6:7], v8, s4 src0_sel:BYTE_0 src1_sel:DWORD
	s_mov_b64 s[4:5], 0
                                        ; implicit-def: $sgpr10
	s_and_saveexec_b64 s[8:9], s[6:7]
	s_xor_b64 s[6:7], exec, s[8:9]
	s_cbranch_execnz .LBB24_3521
; %bb.1473:
	s_or_saveexec_b64 s[6:7], s[6:7]
	v_mov_b32_e32 v2, s10
	s_xor_b64 exec, exec, s[6:7]
	s_cbranch_execnz .LBB24_3524
.LBB24_1474:
	s_or_b64 exec, exec, s[6:7]
	s_and_saveexec_b64 s[6:7], s[4:5]
	s_cbranch_execz .LBB24_1476
.LBB24_1475:
	v_and_b32_e32 v2, 7, v8
	v_ffbh_u32_e32 v6, v2
	v_min_u32_e32 v6, 32, v6
	v_lshrrev_b16_e32 v3, 3, v8
	v_subrev_u32_e32 v7, 28, v6
	v_and_b32_e32 v3, 15, v3
	v_lshlrev_b32_e32 v7, v7, v8
	v_sub_u32_e32 v6, 29, v6
	v_and_b32_e32 v7, 7, v7
	v_cmp_eq_u16_e32 vcc, 0, v3
	v_cndmask_b32_e32 v2, v2, v7, vcc
	v_cndmask_b32_e32 v3, v3, v6, vcc
	v_lshlrev_b32_e32 v6, 24, v8
	v_mov_b32_e32 v7, 0x3b800000
	v_lshlrev_b32_e32 v2, 20, v2
	v_and_b32_e32 v6, 0x80000000, v6
	v_lshl_add_u32 v3, v3, 23, v7
	v_or3_b32 v2, v6, v3, v2
.LBB24_1476:
	s_or_b64 exec, exec, s[6:7]
	s_movk_i32 s4, 0x7f
	v_cmp_gt_i16_sdwa s[6:7], v4, s4 src0_sel:BYTE_0 src1_sel:DWORD
	s_mov_b64 s[4:5], 0
                                        ; implicit-def: $sgpr10
	s_and_saveexec_b64 s[8:9], s[6:7]
	s_xor_b64 s[6:7], exec, s[8:9]
	s_cbranch_execnz .LBB24_3525
; %bb.1477:
	s_or_saveexec_b64 s[6:7], s[6:7]
	v_mov_b32_e32 v3, s10
	s_xor_b64 exec, exec, s[6:7]
	s_cbranch_execnz .LBB24_3528
.LBB24_1478:
	s_or_b64 exec, exec, s[6:7]
	s_and_saveexec_b64 s[6:7], s[4:5]
	s_cbranch_execz .LBB24_1480
.LBB24_1479:
	v_and_b32_e32 v3, 7, v4
	v_ffbh_u32_e32 v7, v3
	v_min_u32_e32 v7, 32, v7
	v_lshrrev_b16_e32 v6, 3, v4
	v_subrev_u32_e32 v10, 28, v7
	v_and_b32_e32 v6, 15, v6
	v_lshlrev_b32_e32 v10, v10, v4
	v_sub_u32_e32 v7, 29, v7
	v_and_b32_e32 v10, 7, v10
	v_cmp_eq_u16_e32 vcc, 0, v6
	v_cndmask_b32_e32 v3, v3, v10, vcc
	v_cndmask_b32_e32 v6, v6, v7, vcc
	v_lshlrev_b32_e32 v7, 24, v4
	v_mov_b32_e32 v10, 0x3b800000
	v_lshlrev_b32_e32 v3, 20, v3
	v_and_b32_e32 v7, 0x80000000, v7
	v_lshl_add_u32 v6, v6, 23, v10
	v_or3_b32 v3, v7, v6, v3
.LBB24_1480:
	s_or_b64 exec, exec, s[6:7]
	s_nop 0
	v_mfma_f32_16x16x4f32 a[0:3], v2, v3, a[0:3]
	v_lshrrev_b32_e32 v3, 8, v8
	s_movk_i32 s4, 0x7f
	v_cmp_gt_i16_sdwa s[6:7], v3, s4 src0_sel:BYTE_0 src1_sel:DWORD
	s_mov_b64 s[4:5], 0
                                        ; implicit-def: $sgpr10
	s_and_saveexec_b64 s[8:9], s[6:7]
	s_xor_b64 s[6:7], exec, s[8:9]
	s_cbranch_execnz .LBB24_3529
; %bb.1481:
	s_or_saveexec_b64 s[6:7], s[6:7]
	v_mov_b32_e32 v2, s10
	s_xor_b64 exec, exec, s[6:7]
	s_cbranch_execnz .LBB24_3532
.LBB24_1482:
	s_or_b64 exec, exec, s[6:7]
	s_and_saveexec_b64 s[6:7], s[4:5]
	s_cbranch_execz .LBB24_1484
.LBB24_1483:
	v_bfe_u32 v2, v8, 8, 3
	v_ffbh_u32_e32 v7, v2
	v_min_u32_e32 v7, 32, v7
	v_lshrrev_b16_e32 v6, 3, v3
	v_subrev_u32_e32 v10, 28, v7
	v_and_b32_e32 v6, 15, v6
	v_lshlrev_b32_e32 v3, v10, v3
	v_sub_u32_e32 v7, 29, v7
	v_and_b32_e32 v3, 7, v3
	v_cmp_eq_u16_e32 vcc, 0, v6
	v_cndmask_b32_e32 v2, v2, v3, vcc
	v_cndmask_b32_e32 v3, v6, v7, vcc
	v_lshlrev_b32_e32 v6, 16, v8
	v_mov_b32_e32 v7, 0x3b800000
	v_lshlrev_b32_e32 v2, 20, v2
	v_and_b32_e32 v6, 0x80000000, v6
	v_lshl_add_u32 v3, v3, 23, v7
	v_or3_b32 v2, v6, v3, v2
.LBB24_1484:
	s_or_b64 exec, exec, s[6:7]
	v_lshrrev_b32_e32 v3, 8, v4
	s_movk_i32 s4, 0x7f
	v_cmp_gt_i16_sdwa s[6:7], v3, s4 src0_sel:BYTE_0 src1_sel:DWORD
	s_mov_b64 s[4:5], 0
                                        ; implicit-def: $sgpr10
	s_and_saveexec_b64 s[8:9], s[6:7]
	s_xor_b64 s[6:7], exec, s[8:9]
	s_cbranch_execnz .LBB24_3533
; %bb.1485:
	s_or_saveexec_b64 s[6:7], s[6:7]
	v_mov_b32_e32 v6, s10
	s_xor_b64 exec, exec, s[6:7]
	s_cbranch_execnz .LBB24_3536
.LBB24_1486:
	s_or_b64 exec, exec, s[6:7]
	s_and_saveexec_b64 s[6:7], s[4:5]
	s_cbranch_execz .LBB24_1488
.LBB24_1487:
	v_bfe_u32 v6, v4, 8, 3
	v_ffbh_u32_e32 v10, v6
	v_min_u32_e32 v10, 32, v10
	v_lshrrev_b16_e32 v7, 3, v3
	v_subrev_u32_e32 v11, 28, v10
	v_and_b32_e32 v7, 15, v7
	v_lshlrev_b32_e32 v3, v11, v3
	v_sub_u32_e32 v10, 29, v10
	v_and_b32_e32 v3, 7, v3
	v_cmp_eq_u16_e32 vcc, 0, v7
	v_cndmask_b32_e32 v3, v6, v3, vcc
	v_cndmask_b32_e32 v6, v7, v10, vcc
	v_lshlrev_b32_e32 v7, 16, v4
	v_mov_b32_e32 v10, 0x3b800000
	v_lshlrev_b32_e32 v3, 20, v3
	v_and_b32_e32 v7, 0x80000000, v7
	v_lshl_add_u32 v6, v6, 23, v10
	v_or3_b32 v6, v7, v6, v3
.LBB24_1488:
	s_or_b64 exec, exec, s[6:7]
	s_nop 0
	v_mfma_f32_16x16x4f32 a[0:3], v2, v6, a[0:3]
	s_movk_i32 s4, 0xff
	v_and_b32_sdwa v3, v8, s4 dst_sel:DWORD dst_unused:UNUSED_PAD src0_sel:WORD_1 src1_sel:DWORD
	s_movk_i32 s4, 0x7f
	v_cmp_lt_i16_e32 vcc, s4, v3
	s_mov_b64 s[4:5], 0
                                        ; implicit-def: $sgpr10
	s_and_saveexec_b64 s[6:7], vcc
	s_xor_b64 s[6:7], exec, s[6:7]
	s_cbranch_execnz .LBB24_3537
; %bb.1489:
	s_or_saveexec_b64 s[6:7], s[6:7]
	v_mov_b32_e32 v2, s10
	s_xor_b64 exec, exec, s[6:7]
	s_cbranch_execnz .LBB24_3540
.LBB24_1490:
	s_or_b64 exec, exec, s[6:7]
	s_and_saveexec_b64 s[6:7], s[4:5]
	s_cbranch_execz .LBB24_1492
.LBB24_1491:
	v_bfe_u32 v2, v8, 16, 3
	v_ffbh_u32_e32 v7, v2
	v_min_u32_e32 v7, 32, v7
	v_lshrrev_b32_e32 v3, 19, v8
	v_subrev_u32_e32 v10, 28, v7
	v_and_b32_e32 v3, 15, v3
	v_lshlrev_b32_sdwa v10, v10, v8 dst_sel:DWORD dst_unused:UNUSED_PAD src0_sel:DWORD src1_sel:WORD_1
	v_bfe_u32 v6, v8, 19, 4
	v_sub_u32_e32 v7, 29, v7
	v_and_b32_e32 v10, 7, v10
	v_cmp_eq_u16_e32 vcc, 0, v3
	v_cndmask_b32_e32 v2, v2, v10, vcc
	v_cndmask_b32_e32 v3, v6, v7, vcc
	v_lshlrev_b32_e32 v6, 8, v8
	v_mov_b32_e32 v7, 0x3b800000
	v_lshlrev_b32_e32 v2, 20, v2
	v_and_b32_e32 v6, 0x80000000, v6
	v_lshl_add_u32 v3, v3, 23, v7
	v_or3_b32 v2, v6, v3, v2
.LBB24_1492:
	s_or_b64 exec, exec, s[6:7]
	s_movk_i32 s4, 0xff
	v_and_b32_sdwa v3, v4, s4 dst_sel:DWORD dst_unused:UNUSED_PAD src0_sel:WORD_1 src1_sel:DWORD
	s_movk_i32 s4, 0x7f
	v_cmp_lt_i16_e32 vcc, s4, v3
	s_mov_b64 s[4:5], 0
                                        ; implicit-def: $sgpr10
	s_and_saveexec_b64 s[6:7], vcc
	s_xor_b64 s[6:7], exec, s[6:7]
	s_cbranch_execnz .LBB24_3541
; %bb.1493:
	s_or_saveexec_b64 s[6:7], s[6:7]
	v_mov_b32_e32 v6, s10
	s_xor_b64 exec, exec, s[6:7]
	s_cbranch_execnz .LBB24_3544
.LBB24_1494:
	s_or_b64 exec, exec, s[6:7]
	s_and_saveexec_b64 s[6:7], s[4:5]
	s_cbranch_execz .LBB24_1496
.LBB24_1495:
	v_bfe_u32 v3, v4, 16, 3
	v_ffbh_u32_e32 v10, v3
	v_min_u32_e32 v10, 32, v10
	v_lshrrev_b32_e32 v6, 19, v4
	v_subrev_u32_e32 v11, 28, v10
	v_and_b32_e32 v6, 15, v6
	v_lshlrev_b32_sdwa v11, v11, v4 dst_sel:DWORD dst_unused:UNUSED_PAD src0_sel:DWORD src1_sel:WORD_1
	v_bfe_u32 v7, v4, 19, 4
	v_sub_u32_e32 v10, 29, v10
	v_and_b32_e32 v11, 7, v11
	v_cmp_eq_u16_e32 vcc, 0, v6
	v_cndmask_b32_e32 v3, v3, v11, vcc
	v_cndmask_b32_e32 v6, v7, v10, vcc
	v_lshlrev_b32_e32 v7, 8, v4
	v_mov_b32_e32 v10, 0x3b800000
	v_lshlrev_b32_e32 v3, 20, v3
	v_and_b32_e32 v7, 0x80000000, v7
	v_lshl_add_u32 v6, v6, 23, v10
	v_or3_b32 v6, v7, v6, v3
.LBB24_1496:
	s_or_b64 exec, exec, s[6:7]
	s_nop 0
	v_mfma_f32_16x16x4f32 a[0:3], v2, v6, a[0:3]
	s_movk_i32 s4, 0x7f
	v_cmp_gt_i16_sdwa s[6:7], v8, s4 src0_sel:BYTE_3 src1_sel:DWORD
	s_mov_b64 s[4:5], 0
                                        ; implicit-def: $sgpr10
	s_and_saveexec_b64 s[8:9], s[6:7]
	s_xor_b64 s[6:7], exec, s[8:9]
	s_cbranch_execnz .LBB24_3545
; %bb.1497:
	s_or_saveexec_b64 s[6:7], s[6:7]
	v_mov_b32_e32 v2, s10
	s_xor_b64 exec, exec, s[6:7]
	s_cbranch_execnz .LBB24_3548
.LBB24_1498:
	s_or_b64 exec, exec, s[6:7]
	s_and_saveexec_b64 s[6:7], s[4:5]
	s_cbranch_execz .LBB24_1500
.LBB24_1499:
	v_bfe_u32 v2, v8, 24, 3
	v_ffbh_u32_e32 v10, v2
	v_min_u32_e32 v10, 32, v10
	v_lshrrev_b32_e32 v6, 27, v8
	v_subrev_u32_e32 v11, 28, v10
	v_and_b32_e32 v3, 0x80000000, v8
	v_and_b32_e32 v6, 15, v6
	v_bfe_u32 v7, v8, 27, 4
	v_lshlrev_b32_sdwa v8, v11, v8 dst_sel:DWORD dst_unused:UNUSED_PAD src0_sel:DWORD src1_sel:BYTE_3
	v_sub_u32_e32 v10, 29, v10
	v_and_b32_e32 v8, 7, v8
	v_cmp_eq_u16_e32 vcc, 0, v6
	v_cndmask_b32_e32 v2, v2, v8, vcc
	v_cndmask_b32_e32 v6, v7, v10, vcc
	v_mov_b32_e32 v7, 0x3b800000
	v_lshlrev_b32_e32 v2, 20, v2
	v_lshl_add_u32 v6, v6, 23, v7
	v_or3_b32 v2, v3, v6, v2
.LBB24_1500:
	s_or_b64 exec, exec, s[6:7]
	s_movk_i32 s4, 0x7f
	v_cmp_gt_i16_sdwa s[6:7], v4, s4 src0_sel:BYTE_3 src1_sel:DWORD
	s_mov_b64 s[4:5], 0
                                        ; implicit-def: $sgpr10
	s_and_saveexec_b64 s[8:9], s[6:7]
	s_xor_b64 s[6:7], exec, s[8:9]
	s_cbranch_execnz .LBB24_3549
; %bb.1501:
	s_or_saveexec_b64 s[6:7], s[6:7]
	v_mov_b32_e32 v3, s10
	s_xor_b64 exec, exec, s[6:7]
	s_cbranch_execnz .LBB24_3552
.LBB24_1502:
	s_or_b64 exec, exec, s[6:7]
	s_and_saveexec_b64 s[6:7], s[4:5]
	s_cbranch_execz .LBB24_1504
.LBB24_1503:
	v_bfe_u32 v3, v4, 24, 3
	v_ffbh_u32_e32 v10, v3
	v_min_u32_e32 v10, 32, v10
	v_lshrrev_b32_e32 v7, 27, v4
	v_subrev_u32_e32 v11, 28, v10
	v_and_b32_e32 v6, 0x80000000, v4
	v_and_b32_e32 v7, 15, v7
	v_bfe_u32 v8, v4, 27, 4
	v_lshlrev_b32_sdwa v4, v11, v4 dst_sel:DWORD dst_unused:UNUSED_PAD src0_sel:DWORD src1_sel:BYTE_3
	v_sub_u32_e32 v10, 29, v10
	v_and_b32_e32 v4, 7, v4
	v_cmp_eq_u16_e32 vcc, 0, v7
	v_cndmask_b32_e32 v3, v3, v4, vcc
	v_cndmask_b32_e32 v4, v8, v10, vcc
	v_mov_b32_e32 v7, 0x3b800000
	v_lshlrev_b32_e32 v3, 20, v3
	v_lshl_add_u32 v4, v4, 23, v7
	v_or3_b32 v3, v6, v4, v3
.LBB24_1504:
	s_or_b64 exec, exec, s[6:7]
	s_nop 0
	v_mfma_f32_16x16x4f32 a[0:3], v2, v3, a[0:3]
	s_movk_i32 s4, 0x7f
	v_cmp_gt_i16_sdwa s[6:7], v9, s4 src0_sel:BYTE_0 src1_sel:DWORD
	s_mov_b64 s[4:5], 0
                                        ; implicit-def: $sgpr10
	s_and_saveexec_b64 s[8:9], s[6:7]
	s_xor_b64 s[6:7], exec, s[8:9]
	s_cbranch_execnz .LBB24_3553
; %bb.1505:
	s_or_saveexec_b64 s[6:7], s[6:7]
	v_mov_b32_e32 v2, s10
	s_xor_b64 exec, exec, s[6:7]
	s_cbranch_execnz .LBB24_3556
.LBB24_1506:
	s_or_b64 exec, exec, s[6:7]
	s_and_saveexec_b64 s[6:7], s[4:5]
	s_cbranch_execz .LBB24_1508
.LBB24_1507:
	v_mov_b32_e32 v2, 8
	v_and_b32_e32 v3, 7, v9
	v_lshrrev_b32_sdwa v2, v2, v9 dst_sel:BYTE_1 dst_unused:UNUSED_PAD src0_sel:DWORD src1_sel:DWORD
	v_ffbh_u32_e32 v4, v3
	v_or_b32_sdwa v2, v9, v2 dst_sel:DWORD dst_unused:UNUSED_PAD src0_sel:BYTE_0 src1_sel:DWORD
	v_min_u32_e32 v4, 32, v4
	v_lshrrev_b16_e32 v2, 3, v2
	v_subrev_u32_e32 v6, 28, v4
	v_and_b32_e32 v2, 15, v2
	v_lshlrev_b32_e32 v6, v6, v9
	v_sub_u32_e32 v4, 29, v4
	v_and_b32_e32 v6, 7, v6
	v_cmp_eq_u16_e32 vcc, 0, v2
	v_cndmask_b32_e32 v3, v3, v6, vcc
	v_cndmask_b32_e32 v2, v2, v4, vcc
	v_lshlrev_b32_e32 v4, 24, v9
	v_mov_b32_e32 v6, 0x3b800000
	v_lshlrev_b32_e32 v3, 20, v3
	v_and_b32_e32 v4, 0x80000000, v4
	v_lshl_add_u32 v2, v2, 23, v6
	v_or3_b32 v2, v4, v2, v3
.LBB24_1508:
	s_or_b64 exec, exec, s[6:7]
	s_movk_i32 s4, 0x7f
	v_cmp_gt_i16_sdwa s[6:7], v5, s4 src0_sel:BYTE_0 src1_sel:DWORD
	s_mov_b64 s[4:5], 0
                                        ; implicit-def: $sgpr10
	s_and_saveexec_b64 s[8:9], s[6:7]
	s_xor_b64 s[6:7], exec, s[8:9]
	s_cbranch_execnz .LBB24_3557
; %bb.1509:
	s_or_saveexec_b64 s[6:7], s[6:7]
	v_mov_b32_e32 v3, s10
	s_xor_b64 exec, exec, s[6:7]
	s_cbranch_execnz .LBB24_3560
.LBB24_1510:
	s_or_b64 exec, exec, s[6:7]
	s_and_saveexec_b64 s[6:7], s[4:5]
	s_cbranch_execz .LBB24_1512
.LBB24_1511:
	v_mov_b32_e32 v3, 8
	v_and_b32_e32 v4, 7, v5
	v_lshrrev_b32_sdwa v3, v3, v5 dst_sel:BYTE_1 dst_unused:UNUSED_PAD src0_sel:DWORD src1_sel:DWORD
	v_ffbh_u32_e32 v6, v4
	v_or_b32_sdwa v3, v5, v3 dst_sel:DWORD dst_unused:UNUSED_PAD src0_sel:BYTE_0 src1_sel:DWORD
	v_min_u32_e32 v6, 32, v6
	v_lshrrev_b16_e32 v3, 3, v3
	v_subrev_u32_e32 v7, 28, v6
	v_and_b32_e32 v3, 15, v3
	v_lshlrev_b32_e32 v7, v7, v5
	v_sub_u32_e32 v6, 29, v6
	v_and_b32_e32 v7, 7, v7
	v_cmp_eq_u16_e32 vcc, 0, v3
	v_cndmask_b32_e32 v4, v4, v7, vcc
	v_cndmask_b32_e32 v3, v3, v6, vcc
	v_lshlrev_b32_e32 v6, 24, v5
	v_mov_b32_e32 v7, 0x3b800000
	v_lshlrev_b32_e32 v4, 20, v4
	v_and_b32_e32 v6, 0x80000000, v6
	v_lshl_add_u32 v3, v3, 23, v7
	v_or3_b32 v3, v6, v3, v4
.LBB24_1512:
	s_or_b64 exec, exec, s[6:7]
	s_nop 0
	v_mfma_f32_16x16x4f32 a[0:3], v2, v3, a[0:3]
	v_lshrrev_b32_e32 v3, 8, v9
	s_movk_i32 s4, 0x7f
	v_cmp_gt_i16_sdwa s[6:7], v3, s4 src0_sel:BYTE_0 src1_sel:DWORD
	s_mov_b64 s[4:5], 0
                                        ; implicit-def: $sgpr10
	s_and_saveexec_b64 s[8:9], s[6:7]
	s_xor_b64 s[6:7], exec, s[8:9]
	s_cbranch_execnz .LBB24_3561
; %bb.1513:
	s_or_saveexec_b64 s[6:7], s[6:7]
	v_mov_b32_e32 v2, s10
	s_xor_b64 exec, exec, s[6:7]
	s_cbranch_execnz .LBB24_3564
.LBB24_1514:
	s_or_b64 exec, exec, s[6:7]
	s_and_saveexec_b64 s[6:7], s[4:5]
	s_cbranch_execz .LBB24_1516
.LBB24_1515:
	v_bfe_u32 v2, v9, 8, 3
	v_ffbh_u32_e32 v6, v2
	v_min_u32_e32 v6, 32, v6
	v_lshrrev_b16_e32 v4, 3, v3
	v_subrev_u32_e32 v7, 28, v6
	v_and_b32_e32 v4, 15, v4
	v_lshlrev_b32_e32 v3, v7, v3
	v_sub_u32_e32 v6, 29, v6
	v_and_b32_e32 v3, 7, v3
	v_cmp_eq_u16_e32 vcc, 0, v4
	v_cndmask_b32_e32 v2, v2, v3, vcc
	v_cndmask_b32_e32 v3, v4, v6, vcc
	v_lshlrev_b32_e32 v4, 16, v9
	v_mov_b32_e32 v6, 0x3b800000
	v_lshlrev_b32_e32 v2, 20, v2
	v_and_b32_e32 v4, 0x80000000, v4
	v_lshl_add_u32 v3, v3, 23, v6
	v_or3_b32 v2, v4, v3, v2
.LBB24_1516:
	s_or_b64 exec, exec, s[6:7]
	v_lshrrev_b32_e32 v3, 8, v5
	s_movk_i32 s4, 0x7f
	v_cmp_gt_i16_sdwa s[6:7], v3, s4 src0_sel:BYTE_0 src1_sel:DWORD
	s_mov_b64 s[4:5], 0
                                        ; implicit-def: $sgpr10
	s_and_saveexec_b64 s[8:9], s[6:7]
	s_xor_b64 s[6:7], exec, s[8:9]
	s_cbranch_execnz .LBB24_3565
; %bb.1517:
	s_or_saveexec_b64 s[6:7], s[6:7]
	v_mov_b32_e32 v4, s10
	s_xor_b64 exec, exec, s[6:7]
	s_cbranch_execnz .LBB24_3568
.LBB24_1518:
	s_or_b64 exec, exec, s[6:7]
	s_and_saveexec_b64 s[6:7], s[4:5]
	s_cbranch_execz .LBB24_1520
.LBB24_1519:
	v_bfe_u32 v4, v5, 8, 3
	v_ffbh_u32_e32 v7, v4
	v_min_u32_e32 v7, 32, v7
	v_lshrrev_b16_e32 v6, 3, v3
	v_subrev_u32_e32 v8, 28, v7
	v_and_b32_e32 v6, 15, v6
	v_lshlrev_b32_e32 v3, v8, v3
	v_sub_u32_e32 v7, 29, v7
	v_and_b32_e32 v3, 7, v3
	v_cmp_eq_u16_e32 vcc, 0, v6
	v_cndmask_b32_e32 v3, v4, v3, vcc
	v_cndmask_b32_e32 v4, v6, v7, vcc
	v_lshlrev_b32_e32 v6, 16, v5
	v_mov_b32_e32 v7, 0x3b800000
	v_lshlrev_b32_e32 v3, 20, v3
	v_and_b32_e32 v6, 0x80000000, v6
	v_lshl_add_u32 v4, v4, 23, v7
	v_or3_b32 v4, v6, v4, v3
.LBB24_1520:
	s_or_b64 exec, exec, s[6:7]
	s_nop 0
	v_mfma_f32_16x16x4f32 a[0:3], v2, v4, a[0:3]
	s_movk_i32 s4, 0xff
	v_and_b32_sdwa v3, v9, s4 dst_sel:DWORD dst_unused:UNUSED_PAD src0_sel:WORD_1 src1_sel:DWORD
	s_movk_i32 s4, 0x7f
	v_cmp_lt_i16_e32 vcc, s4, v3
	s_mov_b64 s[4:5], 0
                                        ; implicit-def: $sgpr10
	s_and_saveexec_b64 s[6:7], vcc
	s_xor_b64 s[6:7], exec, s[6:7]
	s_cbranch_execnz .LBB24_3569
; %bb.1521:
	s_or_saveexec_b64 s[6:7], s[6:7]
	v_mov_b32_e32 v2, s10
	s_xor_b64 exec, exec, s[6:7]
	s_cbranch_execnz .LBB24_3572
.LBB24_1522:
	s_or_b64 exec, exec, s[6:7]
	s_and_saveexec_b64 s[6:7], s[4:5]
	s_cbranch_execz .LBB24_1524
.LBB24_1523:
	v_bfe_u32 v2, v9, 16, 3
	v_ffbh_u32_e32 v6, v2
	v_min_u32_e32 v6, 32, v6
	v_lshrrev_b32_e32 v3, 19, v9
	v_subrev_u32_e32 v7, 28, v6
	v_and_b32_e32 v3, 15, v3
	v_lshlrev_b32_sdwa v7, v7, v9 dst_sel:DWORD dst_unused:UNUSED_PAD src0_sel:DWORD src1_sel:WORD_1
	v_bfe_u32 v4, v9, 19, 4
	v_sub_u32_e32 v6, 29, v6
	v_and_b32_e32 v7, 7, v7
	v_cmp_eq_u16_e32 vcc, 0, v3
	v_cndmask_b32_e32 v2, v2, v7, vcc
	v_cndmask_b32_e32 v3, v4, v6, vcc
	v_lshlrev_b32_e32 v4, 8, v9
	v_mov_b32_e32 v6, 0x3b800000
	v_lshlrev_b32_e32 v2, 20, v2
	v_and_b32_e32 v4, 0x80000000, v4
	v_lshl_add_u32 v3, v3, 23, v6
	v_or3_b32 v2, v4, v3, v2
.LBB24_1524:
	s_or_b64 exec, exec, s[6:7]
	s_movk_i32 s4, 0xff
	v_and_b32_sdwa v3, v5, s4 dst_sel:DWORD dst_unused:UNUSED_PAD src0_sel:WORD_1 src1_sel:DWORD
	s_movk_i32 s4, 0x7f
	v_cmp_lt_i16_e32 vcc, s4, v3
	s_mov_b64 s[4:5], 0
                                        ; implicit-def: $sgpr10
	s_and_saveexec_b64 s[6:7], vcc
	s_xor_b64 s[6:7], exec, s[6:7]
	s_cbranch_execnz .LBB24_3573
; %bb.1525:
	s_or_saveexec_b64 s[6:7], s[6:7]
	v_mov_b32_e32 v4, s10
	s_xor_b64 exec, exec, s[6:7]
	s_cbranch_execnz .LBB24_3576
.LBB24_1526:
	s_or_b64 exec, exec, s[6:7]
	s_and_saveexec_b64 s[6:7], s[4:5]
	s_cbranch_execz .LBB24_1528
.LBB24_1527:
	v_bfe_u32 v3, v5, 16, 3
	v_ffbh_u32_e32 v7, v3
	v_min_u32_e32 v7, 32, v7
	v_lshrrev_b32_e32 v4, 19, v5
	v_subrev_u32_e32 v8, 28, v7
	v_and_b32_e32 v4, 15, v4
	v_lshlrev_b32_sdwa v8, v8, v5 dst_sel:DWORD dst_unused:UNUSED_PAD src0_sel:DWORD src1_sel:WORD_1
	v_bfe_u32 v6, v5, 19, 4
	v_sub_u32_e32 v7, 29, v7
	v_and_b32_e32 v8, 7, v8
	v_cmp_eq_u16_e32 vcc, 0, v4
	v_cndmask_b32_e32 v3, v3, v8, vcc
	v_cndmask_b32_e32 v4, v6, v7, vcc
	v_lshlrev_b32_e32 v6, 8, v5
	v_mov_b32_e32 v7, 0x3b800000
	v_lshlrev_b32_e32 v3, 20, v3
	v_and_b32_e32 v6, 0x80000000, v6
	v_lshl_add_u32 v4, v4, 23, v7
	v_or3_b32 v4, v6, v4, v3
.LBB24_1528:
	s_or_b64 exec, exec, s[6:7]
	s_nop 0
	v_mfma_f32_16x16x4f32 a[0:3], v2, v4, a[0:3]
	s_movk_i32 s4, 0x7f
	v_cmp_gt_i16_sdwa s[6:7], v9, s4 src0_sel:BYTE_3 src1_sel:DWORD
	s_mov_b64 s[4:5], 0
                                        ; implicit-def: $sgpr10
	s_and_saveexec_b64 s[8:9], s[6:7]
	s_xor_b64 s[6:7], exec, s[8:9]
	s_cbranch_execnz .LBB24_3577
; %bb.1529:
	s_or_saveexec_b64 s[6:7], s[6:7]
	v_mov_b32_e32 v2, s10
	s_xor_b64 exec, exec, s[6:7]
	s_cbranch_execnz .LBB24_3580
.LBB24_1530:
	s_or_b64 exec, exec, s[6:7]
	s_and_saveexec_b64 s[6:7], s[4:5]
	s_cbranch_execz .LBB24_1532
.LBB24_1531:
	v_bfe_u32 v2, v9, 24, 3
	v_ffbh_u32_e32 v7, v2
	v_min_u32_e32 v7, 32, v7
	v_lshrrev_b32_e32 v4, 27, v9
	v_subrev_u32_e32 v8, 28, v7
	v_and_b32_e32 v4, 15, v4
	v_lshlrev_b32_sdwa v8, v8, v9 dst_sel:DWORD dst_unused:UNUSED_PAD src0_sel:DWORD src1_sel:BYTE_3
	v_bfe_u32 v6, v9, 27, 4
	v_sub_u32_e32 v7, 29, v7
	v_and_b32_e32 v8, 7, v8
	v_cmp_eq_u16_e32 vcc, 0, v4
	v_cndmask_b32_e32 v2, v2, v8, vcc
	v_cndmask_b32_e32 v4, v6, v7, vcc
	v_mov_b32_e32 v6, 0x3b800000
	v_and_b32_e32 v3, 0x80000000, v9
	v_lshlrev_b32_e32 v2, 20, v2
	v_lshl_add_u32 v4, v4, 23, v6
	v_or3_b32 v2, v3, v4, v2
.LBB24_1532:
	s_or_b64 exec, exec, s[6:7]
	s_movk_i32 s4, 0x7f
	v_cmp_gt_i16_sdwa s[6:7], v5, s4 src0_sel:BYTE_3 src1_sel:DWORD
	s_mov_b64 s[4:5], 0
                                        ; implicit-def: $sgpr10
	s_and_saveexec_b64 s[8:9], s[6:7]
	s_xor_b64 s[6:7], exec, s[8:9]
	s_cbranch_execnz .LBB24_3581
; %bb.1533:
	s_or_saveexec_b64 s[6:7], s[6:7]
	v_mov_b32_e32 v3, s10
	s_xor_b64 exec, exec, s[6:7]
	s_cbranch_execnz .LBB24_3584
.LBB24_1534:
	s_or_b64 exec, exec, s[6:7]
	s_and_saveexec_b64 s[6:7], s[4:5]
	s_cbranch_execz .LBB24_1536
.LBB24_1535:
	v_bfe_u32 v3, v5, 24, 3
	v_ffbh_u32_e32 v8, v3
	v_min_u32_e32 v8, 32, v8
	v_lshrrev_b32_e32 v6, 27, v5
	v_subrev_u32_e32 v9, 28, v8
	v_and_b32_e32 v4, 0x80000000, v5
	v_and_b32_e32 v6, 15, v6
	v_bfe_u32 v7, v5, 27, 4
	v_lshlrev_b32_sdwa v5, v9, v5 dst_sel:DWORD dst_unused:UNUSED_PAD src0_sel:DWORD src1_sel:BYTE_3
	v_sub_u32_e32 v8, 29, v8
	v_and_b32_e32 v5, 7, v5
	v_cmp_eq_u16_e32 vcc, 0, v6
	v_cndmask_b32_e32 v3, v3, v5, vcc
	v_cndmask_b32_e32 v5, v7, v8, vcc
	v_mov_b32_e32 v6, 0x3b800000
	v_lshlrev_b32_e32 v3, 20, v3
	v_lshl_add_u32 v5, v5, 23, v6
	v_or3_b32 v3, v4, v5, v3
.LBB24_1536:
	s_or_b64 exec, exec, s[6:7]
	s_nop 0
	v_mfma_f32_16x16x4f32 a[0:3], v2, v3, a[0:3]
	s_movk_i32 s4, 0x7f
                                        ; implicit-def: $sgpr10
	s_nop 7
	s_nop 1
	flat_store_dwordx4 v[18:19], a[0:3] offset:848
	flat_load_dwordx4 v[20:23], v[0:1] offset:8
	s_nop 0
	flat_load_dwordx2 v[18:19], v[0:1] offset:24
	s_waitcnt vmcnt(0) lgkmcnt(0)
	flat_load_dwordx4 v[14:17], v[20:21]
	flat_load_dwordx4 v[6:9], v[20:21] offset:16
	flat_load_dwordx4 v[10:13], v[22:23] offset:192
	;; [unrolled: 1-line block ×3, first 2 shown]
	s_waitcnt vmcnt(0) lgkmcnt(0)
	v_cmp_gt_i16_sdwa s[6:7], v14, s4 src0_sel:BYTE_0 src1_sel:DWORD
	s_mov_b64 s[4:5], 0
	s_and_saveexec_b64 s[8:9], s[6:7]
	s_xor_b64 s[6:7], exec, s[8:9]
	s_cbranch_execnz .LBB24_3585
; %bb.1537:
	s_or_saveexec_b64 s[6:7], s[6:7]
	v_mov_b32_e32 v20, s10
	s_xor_b64 exec, exec, s[6:7]
	s_cbranch_execnz .LBB24_3588
.LBB24_1538:
	s_or_b64 exec, exec, s[6:7]
	s_and_saveexec_b64 s[6:7], s[4:5]
	s_cbranch_execz .LBB24_1540
.LBB24_1539:
	v_and_b32_e32 v20, 7, v14
	v_ffbh_u32_e32 v22, v20
	v_min_u32_e32 v22, 32, v22
	v_lshrrev_b16_e32 v21, 3, v14
	v_subrev_u32_e32 v23, 28, v22
	v_and_b32_e32 v21, 15, v21
	v_lshlrev_b32_e32 v23, v23, v14
	v_sub_u32_e32 v22, 29, v22
	v_and_b32_e32 v23, 7, v23
	v_cmp_eq_u16_e32 vcc, 0, v21
	v_cndmask_b32_e32 v20, v20, v23, vcc
	v_cndmask_b32_e32 v21, v21, v22, vcc
	v_lshlrev_b32_e32 v22, 24, v14
	v_mov_b32_e32 v23, 0x3b800000
	v_lshlrev_b32_e32 v20, 20, v20
	v_and_b32_e32 v22, 0x80000000, v22
	v_lshl_add_u32 v21, v21, 23, v23
	v_or3_b32 v20, v22, v21, v20
.LBB24_1540:
	s_or_b64 exec, exec, s[6:7]
	s_movk_i32 s4, 0x7f
	v_cmp_gt_i16_sdwa s[6:7], v10, s4 src0_sel:BYTE_0 src1_sel:DWORD
	s_mov_b64 s[4:5], 0
                                        ; implicit-def: $sgpr10
	s_and_saveexec_b64 s[8:9], s[6:7]
	s_xor_b64 s[6:7], exec, s[8:9]
	s_cbranch_execnz .LBB24_3589
; %bb.1541:
	s_or_saveexec_b64 s[6:7], s[6:7]
	v_mov_b32_e32 v21, s10
	s_xor_b64 exec, exec, s[6:7]
	s_cbranch_execnz .LBB24_3592
.LBB24_1542:
	s_or_b64 exec, exec, s[6:7]
	s_and_saveexec_b64 s[6:7], s[4:5]
	s_cbranch_execz .LBB24_1544
.LBB24_1543:
	v_and_b32_e32 v21, 7, v10
	v_ffbh_u32_e32 v23, v21
	v_min_u32_e32 v23, 32, v23
	v_lshrrev_b16_e32 v22, 3, v10
	v_subrev_u32_e32 v24, 28, v23
	v_and_b32_e32 v22, 15, v22
	v_lshlrev_b32_e32 v24, v24, v10
	v_sub_u32_e32 v23, 29, v23
	v_and_b32_e32 v24, 7, v24
	v_cmp_eq_u16_e32 vcc, 0, v22
	v_cndmask_b32_e32 v21, v21, v24, vcc
	v_cndmask_b32_e32 v22, v22, v23, vcc
	v_lshlrev_b32_e32 v23, 24, v10
	v_mov_b32_e32 v24, 0x3b800000
	v_lshlrev_b32_e32 v21, 20, v21
	v_and_b32_e32 v23, 0x80000000, v23
	v_lshl_add_u32 v22, v22, 23, v24
	v_or3_b32 v21, v23, v22, v21
.LBB24_1544:
	s_or_b64 exec, exec, s[6:7]
	flat_load_dwordx4 a[0:3], v[18:19] offset:864
	s_movk_i32 s4, 0x7f
                                        ; implicit-def: $sgpr10
	s_waitcnt vmcnt(0) lgkmcnt(0)
	v_mfma_f32_16x16x4f32 a[0:3], v20, v21, a[0:3]
	v_lshrrev_b32_e32 v21, 8, v14
	v_cmp_gt_i16_sdwa s[6:7], v21, s4 src0_sel:BYTE_0 src1_sel:DWORD
	s_mov_b64 s[4:5], 0
	s_and_saveexec_b64 s[8:9], s[6:7]
	s_xor_b64 s[6:7], exec, s[8:9]
	s_cbranch_execnz .LBB24_3593
; %bb.1545:
	s_or_saveexec_b64 s[6:7], s[6:7]
	v_mov_b32_e32 v20, s10
	s_xor_b64 exec, exec, s[6:7]
	s_cbranch_execnz .LBB24_3596
.LBB24_1546:
	s_or_b64 exec, exec, s[6:7]
	s_and_saveexec_b64 s[6:7], s[4:5]
	s_cbranch_execz .LBB24_1548
.LBB24_1547:
	v_bfe_u32 v20, v14, 8, 3
	v_ffbh_u32_e32 v23, v20
	v_min_u32_e32 v23, 32, v23
	v_lshrrev_b16_e32 v22, 3, v21
	v_subrev_u32_e32 v24, 28, v23
	v_and_b32_e32 v22, 15, v22
	v_lshlrev_b32_e32 v21, v24, v21
	v_sub_u32_e32 v23, 29, v23
	v_and_b32_e32 v21, 7, v21
	v_cmp_eq_u16_e32 vcc, 0, v22
	v_cndmask_b32_e32 v20, v20, v21, vcc
	v_cndmask_b32_e32 v21, v22, v23, vcc
	v_lshlrev_b32_e32 v22, 16, v14
	v_mov_b32_e32 v23, 0x3b800000
	v_lshlrev_b32_e32 v20, 20, v20
	v_and_b32_e32 v22, 0x80000000, v22
	v_lshl_add_u32 v21, v21, 23, v23
	v_or3_b32 v20, v22, v21, v20
.LBB24_1548:
	s_or_b64 exec, exec, s[6:7]
	v_lshrrev_b32_e32 v21, 8, v10
	s_movk_i32 s4, 0x7f
	v_cmp_gt_i16_sdwa s[6:7], v21, s4 src0_sel:BYTE_0 src1_sel:DWORD
	s_mov_b64 s[4:5], 0
                                        ; implicit-def: $sgpr10
	s_and_saveexec_b64 s[8:9], s[6:7]
	s_xor_b64 s[6:7], exec, s[8:9]
	s_cbranch_execnz .LBB24_3597
; %bb.1549:
	s_or_saveexec_b64 s[6:7], s[6:7]
	v_mov_b32_e32 v22, s10
	s_xor_b64 exec, exec, s[6:7]
	s_cbranch_execnz .LBB24_3600
.LBB24_1550:
	s_or_b64 exec, exec, s[6:7]
	s_and_saveexec_b64 s[6:7], s[4:5]
	s_cbranch_execz .LBB24_1552
.LBB24_1551:
	v_bfe_u32 v22, v10, 8, 3
	v_ffbh_u32_e32 v24, v22
	v_min_u32_e32 v24, 32, v24
	v_lshrrev_b16_e32 v23, 3, v21
	v_subrev_u32_e32 v25, 28, v24
	v_and_b32_e32 v23, 15, v23
	v_lshlrev_b32_e32 v21, v25, v21
	v_sub_u32_e32 v24, 29, v24
	v_and_b32_e32 v21, 7, v21
	v_cmp_eq_u16_e32 vcc, 0, v23
	v_cndmask_b32_e32 v21, v22, v21, vcc
	v_cndmask_b32_e32 v22, v23, v24, vcc
	v_lshlrev_b32_e32 v23, 16, v10
	v_mov_b32_e32 v24, 0x3b800000
	v_lshlrev_b32_e32 v21, 20, v21
	v_and_b32_e32 v23, 0x80000000, v23
	v_lshl_add_u32 v22, v22, 23, v24
	v_or3_b32 v22, v23, v22, v21
.LBB24_1552:
	s_or_b64 exec, exec, s[6:7]
	s_nop 0
	v_mfma_f32_16x16x4f32 a[0:3], v20, v22, a[0:3]
	s_movk_i32 s4, 0xff
	v_and_b32_sdwa v21, v14, s4 dst_sel:DWORD dst_unused:UNUSED_PAD src0_sel:WORD_1 src1_sel:DWORD
	s_movk_i32 s4, 0x7f
	v_cmp_lt_i16_e32 vcc, s4, v21
	s_mov_b64 s[4:5], 0
                                        ; implicit-def: $sgpr10
	s_and_saveexec_b64 s[6:7], vcc
	s_xor_b64 s[6:7], exec, s[6:7]
	s_cbranch_execnz .LBB24_3601
; %bb.1553:
	s_or_saveexec_b64 s[6:7], s[6:7]
	v_mov_b32_e32 v20, s10
	s_xor_b64 exec, exec, s[6:7]
	s_cbranch_execnz .LBB24_3604
.LBB24_1554:
	s_or_b64 exec, exec, s[6:7]
	s_and_saveexec_b64 s[6:7], s[4:5]
	s_cbranch_execz .LBB24_1556
.LBB24_1555:
	v_bfe_u32 v20, v14, 16, 3
	v_ffbh_u32_e32 v23, v20
	v_min_u32_e32 v23, 32, v23
	v_lshrrev_b32_e32 v21, 19, v14
	v_subrev_u32_e32 v24, 28, v23
	v_and_b32_e32 v21, 15, v21
	v_lshlrev_b32_sdwa v24, v24, v14 dst_sel:DWORD dst_unused:UNUSED_PAD src0_sel:DWORD src1_sel:WORD_1
	v_bfe_u32 v22, v14, 19, 4
	v_sub_u32_e32 v23, 29, v23
	v_and_b32_e32 v24, 7, v24
	v_cmp_eq_u16_e32 vcc, 0, v21
	v_cndmask_b32_e32 v20, v20, v24, vcc
	v_cndmask_b32_e32 v21, v22, v23, vcc
	v_lshlrev_b32_e32 v22, 8, v14
	v_mov_b32_e32 v23, 0x3b800000
	v_lshlrev_b32_e32 v20, 20, v20
	v_and_b32_e32 v22, 0x80000000, v22
	v_lshl_add_u32 v21, v21, 23, v23
	v_or3_b32 v20, v22, v21, v20
.LBB24_1556:
	s_or_b64 exec, exec, s[6:7]
	s_movk_i32 s4, 0xff
	v_and_b32_sdwa v21, v10, s4 dst_sel:DWORD dst_unused:UNUSED_PAD src0_sel:WORD_1 src1_sel:DWORD
	s_movk_i32 s4, 0x7f
	v_cmp_lt_i16_e32 vcc, s4, v21
	s_mov_b64 s[4:5], 0
                                        ; implicit-def: $sgpr10
	s_and_saveexec_b64 s[6:7], vcc
	s_xor_b64 s[6:7], exec, s[6:7]
	s_cbranch_execnz .LBB24_3605
; %bb.1557:
	s_or_saveexec_b64 s[6:7], s[6:7]
	v_mov_b32_e32 v22, s10
	s_xor_b64 exec, exec, s[6:7]
	s_cbranch_execnz .LBB24_3608
.LBB24_1558:
	s_or_b64 exec, exec, s[6:7]
	s_and_saveexec_b64 s[6:7], s[4:5]
	s_cbranch_execz .LBB24_1560
.LBB24_1559:
	v_bfe_u32 v21, v10, 16, 3
	v_ffbh_u32_e32 v24, v21
	v_min_u32_e32 v24, 32, v24
	v_lshrrev_b32_e32 v22, 19, v10
	v_subrev_u32_e32 v25, 28, v24
	v_and_b32_e32 v22, 15, v22
	v_lshlrev_b32_sdwa v25, v25, v10 dst_sel:DWORD dst_unused:UNUSED_PAD src0_sel:DWORD src1_sel:WORD_1
	v_bfe_u32 v23, v10, 19, 4
	v_sub_u32_e32 v24, 29, v24
	v_and_b32_e32 v25, 7, v25
	v_cmp_eq_u16_e32 vcc, 0, v22
	v_cndmask_b32_e32 v21, v21, v25, vcc
	v_cndmask_b32_e32 v22, v23, v24, vcc
	v_lshlrev_b32_e32 v23, 8, v10
	v_mov_b32_e32 v24, 0x3b800000
	v_lshlrev_b32_e32 v21, 20, v21
	v_and_b32_e32 v23, 0x80000000, v23
	v_lshl_add_u32 v22, v22, 23, v24
	v_or3_b32 v22, v23, v22, v21
.LBB24_1560:
	s_or_b64 exec, exec, s[6:7]
	s_nop 0
	v_mfma_f32_16x16x4f32 a[0:3], v20, v22, a[0:3]
	s_movk_i32 s4, 0x7f
	v_cmp_gt_i16_sdwa s[6:7], v14, s4 src0_sel:BYTE_3 src1_sel:DWORD
	s_mov_b64 s[4:5], 0
                                        ; implicit-def: $sgpr10
	s_and_saveexec_b64 s[8:9], s[6:7]
	s_xor_b64 s[6:7], exec, s[8:9]
	s_cbranch_execnz .LBB24_3609
; %bb.1561:
	s_or_saveexec_b64 s[6:7], s[6:7]
	v_mov_b32_e32 v20, s10
	s_xor_b64 exec, exec, s[6:7]
	s_cbranch_execnz .LBB24_3612
.LBB24_1562:
	s_or_b64 exec, exec, s[6:7]
	s_and_saveexec_b64 s[6:7], s[4:5]
	s_cbranch_execz .LBB24_1564
.LBB24_1563:
	v_bfe_u32 v20, v14, 24, 3
	v_ffbh_u32_e32 v24, v20
	v_min_u32_e32 v24, 32, v24
	v_lshrrev_b32_e32 v22, 27, v14
	v_subrev_u32_e32 v25, 28, v24
	v_and_b32_e32 v21, 0x80000000, v14
	v_and_b32_e32 v22, 15, v22
	v_bfe_u32 v23, v14, 27, 4
	v_lshlrev_b32_sdwa v14, v25, v14 dst_sel:DWORD dst_unused:UNUSED_PAD src0_sel:DWORD src1_sel:BYTE_3
	v_sub_u32_e32 v24, 29, v24
	v_and_b32_e32 v14, 7, v14
	v_cmp_eq_u16_e32 vcc, 0, v22
	v_cndmask_b32_e32 v14, v20, v14, vcc
	v_cndmask_b32_e32 v20, v23, v24, vcc
	v_mov_b32_e32 v22, 0x3b800000
	v_lshlrev_b32_e32 v14, 20, v14
	v_lshl_add_u32 v20, v20, 23, v22
	v_or3_b32 v20, v21, v20, v14
.LBB24_1564:
	s_or_b64 exec, exec, s[6:7]
	s_movk_i32 s4, 0x7f
	v_cmp_gt_i16_sdwa s[6:7], v10, s4 src0_sel:BYTE_3 src1_sel:DWORD
	s_mov_b64 s[4:5], 0
                                        ; implicit-def: $sgpr10
	s_and_saveexec_b64 s[8:9], s[6:7]
	s_xor_b64 s[6:7], exec, s[8:9]
	s_cbranch_execnz .LBB24_3613
; %bb.1565:
	s_or_saveexec_b64 s[6:7], s[6:7]
	v_mov_b32_e32 v14, s10
	s_xor_b64 exec, exec, s[6:7]
	s_cbranch_execnz .LBB24_3616
.LBB24_1566:
	s_or_b64 exec, exec, s[6:7]
	s_and_saveexec_b64 s[6:7], s[4:5]
	s_cbranch_execz .LBB24_1568
.LBB24_1567:
	v_bfe_u32 v14, v10, 24, 3
	v_ffbh_u32_e32 v24, v14
	v_min_u32_e32 v24, 32, v24
	v_lshrrev_b32_e32 v22, 27, v10
	v_subrev_u32_e32 v25, 28, v24
	v_and_b32_e32 v21, 0x80000000, v10
	v_and_b32_e32 v22, 15, v22
	v_bfe_u32 v23, v10, 27, 4
	v_lshlrev_b32_sdwa v10, v25, v10 dst_sel:DWORD dst_unused:UNUSED_PAD src0_sel:DWORD src1_sel:BYTE_3
	v_sub_u32_e32 v24, 29, v24
	v_and_b32_e32 v10, 7, v10
	v_cmp_eq_u16_e32 vcc, 0, v22
	v_cndmask_b32_e32 v10, v14, v10, vcc
	v_cndmask_b32_e32 v14, v23, v24, vcc
	v_mov_b32_e32 v22, 0x3b800000
	v_lshlrev_b32_e32 v10, 20, v10
	v_lshl_add_u32 v14, v14, 23, v22
	v_or3_b32 v14, v21, v14, v10
.LBB24_1568:
	s_or_b64 exec, exec, s[6:7]
	s_nop 0
	v_mfma_f32_16x16x4f32 a[0:3], v20, v14, a[0:3]
	s_movk_i32 s4, 0x7f
	v_cmp_gt_i16_sdwa s[6:7], v15, s4 src0_sel:BYTE_0 src1_sel:DWORD
	s_mov_b64 s[4:5], 0
                                        ; implicit-def: $sgpr10
	s_and_saveexec_b64 s[8:9], s[6:7]
	s_xor_b64 s[6:7], exec, s[8:9]
	s_cbranch_execnz .LBB24_3617
; %bb.1569:
	s_or_saveexec_b64 s[6:7], s[6:7]
	v_mov_b32_e32 v10, s10
	s_xor_b64 exec, exec, s[6:7]
	s_cbranch_execnz .LBB24_3620
.LBB24_1570:
	s_or_b64 exec, exec, s[6:7]
	s_and_saveexec_b64 s[6:7], s[4:5]
	s_cbranch_execz .LBB24_1572
.LBB24_1571:
	v_and_b32_e32 v10, 7, v15
	v_ffbh_u32_e32 v20, v10
	v_min_u32_e32 v20, 32, v20
	v_lshrrev_b16_e32 v14, 3, v15
	v_subrev_u32_e32 v21, 28, v20
	v_and_b32_e32 v14, 15, v14
	v_lshlrev_b32_e32 v21, v21, v15
	v_sub_u32_e32 v20, 29, v20
	v_and_b32_e32 v21, 7, v21
	v_cmp_eq_u16_e32 vcc, 0, v14
	v_cndmask_b32_e32 v10, v10, v21, vcc
	v_cndmask_b32_e32 v14, v14, v20, vcc
	v_lshlrev_b32_e32 v20, 24, v15
	v_mov_b32_e32 v21, 0x3b800000
	v_lshlrev_b32_e32 v10, 20, v10
	v_and_b32_e32 v20, 0x80000000, v20
	v_lshl_add_u32 v14, v14, 23, v21
	v_or3_b32 v10, v20, v14, v10
.LBB24_1572:
	s_or_b64 exec, exec, s[6:7]
	s_movk_i32 s4, 0x7f
	v_cmp_gt_i16_sdwa s[6:7], v11, s4 src0_sel:BYTE_0 src1_sel:DWORD
	s_mov_b64 s[4:5], 0
                                        ; implicit-def: $sgpr10
	s_and_saveexec_b64 s[8:9], s[6:7]
	s_xor_b64 s[6:7], exec, s[8:9]
	s_cbranch_execnz .LBB24_3621
; %bb.1573:
	s_or_saveexec_b64 s[6:7], s[6:7]
	v_mov_b32_e32 v14, s10
	s_xor_b64 exec, exec, s[6:7]
	s_cbranch_execnz .LBB24_3624
.LBB24_1574:
	s_or_b64 exec, exec, s[6:7]
	s_and_saveexec_b64 s[6:7], s[4:5]
	s_cbranch_execz .LBB24_1576
.LBB24_1575:
	v_and_b32_e32 v14, 7, v11
	v_ffbh_u32_e32 v21, v14
	v_min_u32_e32 v21, 32, v21
	v_lshrrev_b16_e32 v20, 3, v11
	v_subrev_u32_e32 v22, 28, v21
	v_and_b32_e32 v20, 15, v20
	v_lshlrev_b32_e32 v22, v22, v11
	v_sub_u32_e32 v21, 29, v21
	v_and_b32_e32 v22, 7, v22
	v_cmp_eq_u16_e32 vcc, 0, v20
	v_cndmask_b32_e32 v14, v14, v22, vcc
	v_cndmask_b32_e32 v20, v20, v21, vcc
	v_lshlrev_b32_e32 v21, 24, v11
	v_mov_b32_e32 v22, 0x3b800000
	v_lshlrev_b32_e32 v14, 20, v14
	v_and_b32_e32 v21, 0x80000000, v21
	v_lshl_add_u32 v20, v20, 23, v22
	v_or3_b32 v14, v21, v20, v14
.LBB24_1576:
	s_or_b64 exec, exec, s[6:7]
	s_nop 0
	v_mfma_f32_16x16x4f32 a[0:3], v10, v14, a[0:3]
	v_lshrrev_b32_e32 v14, 8, v15
	s_movk_i32 s4, 0x7f
	v_cmp_gt_i16_sdwa s[6:7], v14, s4 src0_sel:BYTE_0 src1_sel:DWORD
	s_mov_b64 s[4:5], 0
                                        ; implicit-def: $sgpr10
	s_and_saveexec_b64 s[8:9], s[6:7]
	s_xor_b64 s[6:7], exec, s[8:9]
	s_cbranch_execnz .LBB24_3625
; %bb.1577:
	s_or_saveexec_b64 s[6:7], s[6:7]
	v_mov_b32_e32 v10, s10
	s_xor_b64 exec, exec, s[6:7]
	s_cbranch_execnz .LBB24_3628
.LBB24_1578:
	s_or_b64 exec, exec, s[6:7]
	s_and_saveexec_b64 s[6:7], s[4:5]
	s_cbranch_execz .LBB24_1580
.LBB24_1579:
	v_bfe_u32 v10, v15, 8, 3
	v_ffbh_u32_e32 v21, v10
	v_min_u32_e32 v21, 32, v21
	v_lshrrev_b16_e32 v20, 3, v14
	v_subrev_u32_e32 v22, 28, v21
	v_and_b32_e32 v20, 15, v20
	v_lshlrev_b32_e32 v14, v22, v14
	v_sub_u32_e32 v21, 29, v21
	v_and_b32_e32 v14, 7, v14
	v_cmp_eq_u16_e32 vcc, 0, v20
	v_cndmask_b32_e32 v10, v10, v14, vcc
	v_cndmask_b32_e32 v14, v20, v21, vcc
	v_lshlrev_b32_e32 v20, 16, v15
	v_mov_b32_e32 v21, 0x3b800000
	v_lshlrev_b32_e32 v10, 20, v10
	v_and_b32_e32 v20, 0x80000000, v20
	v_lshl_add_u32 v14, v14, 23, v21
	v_or3_b32 v10, v20, v14, v10
.LBB24_1580:
	s_or_b64 exec, exec, s[6:7]
	v_lshrrev_b32_e32 v14, 8, v11
	s_movk_i32 s4, 0x7f
	v_cmp_gt_i16_sdwa s[6:7], v14, s4 src0_sel:BYTE_0 src1_sel:DWORD
	s_mov_b64 s[4:5], 0
                                        ; implicit-def: $sgpr10
	s_and_saveexec_b64 s[8:9], s[6:7]
	s_xor_b64 s[6:7], exec, s[8:9]
	s_cbranch_execnz .LBB24_3629
; %bb.1581:
	s_or_saveexec_b64 s[6:7], s[6:7]
	v_mov_b32_e32 v20, s10
	s_xor_b64 exec, exec, s[6:7]
	s_cbranch_execnz .LBB24_3632
.LBB24_1582:
	s_or_b64 exec, exec, s[6:7]
	s_and_saveexec_b64 s[6:7], s[4:5]
	s_cbranch_execz .LBB24_1584
.LBB24_1583:
	v_bfe_u32 v20, v11, 8, 3
	v_ffbh_u32_e32 v22, v20
	v_min_u32_e32 v22, 32, v22
	v_lshrrev_b16_e32 v21, 3, v14
	v_subrev_u32_e32 v23, 28, v22
	v_and_b32_e32 v21, 15, v21
	v_lshlrev_b32_e32 v14, v23, v14
	v_sub_u32_e32 v22, 29, v22
	v_and_b32_e32 v14, 7, v14
	v_cmp_eq_u16_e32 vcc, 0, v21
	v_cndmask_b32_e32 v14, v20, v14, vcc
	v_cndmask_b32_e32 v20, v21, v22, vcc
	v_lshlrev_b32_e32 v21, 16, v11
	v_mov_b32_e32 v22, 0x3b800000
	v_lshlrev_b32_e32 v14, 20, v14
	v_and_b32_e32 v21, 0x80000000, v21
	v_lshl_add_u32 v20, v20, 23, v22
	v_or3_b32 v20, v21, v20, v14
.LBB24_1584:
	s_or_b64 exec, exec, s[6:7]
	s_nop 0
	v_mfma_f32_16x16x4f32 a[0:3], v10, v20, a[0:3]
	s_movk_i32 s4, 0xff
	v_and_b32_sdwa v14, v15, s4 dst_sel:DWORD dst_unused:UNUSED_PAD src0_sel:WORD_1 src1_sel:DWORD
	s_movk_i32 s4, 0x7f
	v_cmp_lt_i16_e32 vcc, s4, v14
	s_mov_b64 s[4:5], 0
                                        ; implicit-def: $sgpr10
	s_and_saveexec_b64 s[6:7], vcc
	s_xor_b64 s[6:7], exec, s[6:7]
	s_cbranch_execnz .LBB24_3633
; %bb.1585:
	s_or_saveexec_b64 s[6:7], s[6:7]
	v_mov_b32_e32 v10, s10
	s_xor_b64 exec, exec, s[6:7]
	s_cbranch_execnz .LBB24_3636
.LBB24_1586:
	s_or_b64 exec, exec, s[6:7]
	s_and_saveexec_b64 s[6:7], s[4:5]
	s_cbranch_execz .LBB24_1588
.LBB24_1587:
	v_bfe_u32 v10, v15, 16, 3
	v_ffbh_u32_e32 v21, v10
	v_min_u32_e32 v21, 32, v21
	v_lshrrev_b32_e32 v14, 19, v15
	v_subrev_u32_e32 v22, 28, v21
	v_and_b32_e32 v14, 15, v14
	v_lshlrev_b32_sdwa v22, v22, v15 dst_sel:DWORD dst_unused:UNUSED_PAD src0_sel:DWORD src1_sel:WORD_1
	v_bfe_u32 v20, v15, 19, 4
	v_sub_u32_e32 v21, 29, v21
	v_and_b32_e32 v22, 7, v22
	v_cmp_eq_u16_e32 vcc, 0, v14
	v_cndmask_b32_e32 v10, v10, v22, vcc
	v_cndmask_b32_e32 v14, v20, v21, vcc
	v_lshlrev_b32_e32 v20, 8, v15
	v_mov_b32_e32 v21, 0x3b800000
	v_lshlrev_b32_e32 v10, 20, v10
	v_and_b32_e32 v20, 0x80000000, v20
	v_lshl_add_u32 v14, v14, 23, v21
	v_or3_b32 v10, v20, v14, v10
.LBB24_1588:
	s_or_b64 exec, exec, s[6:7]
	s_movk_i32 s4, 0xff
	v_and_b32_sdwa v14, v11, s4 dst_sel:DWORD dst_unused:UNUSED_PAD src0_sel:WORD_1 src1_sel:DWORD
	s_movk_i32 s4, 0x7f
	v_cmp_lt_i16_e32 vcc, s4, v14
	s_mov_b64 s[4:5], 0
                                        ; implicit-def: $sgpr10
	s_and_saveexec_b64 s[6:7], vcc
	s_xor_b64 s[6:7], exec, s[6:7]
	s_cbranch_execnz .LBB24_3637
; %bb.1589:
	s_or_saveexec_b64 s[6:7], s[6:7]
	v_mov_b32_e32 v20, s10
	s_xor_b64 exec, exec, s[6:7]
	s_cbranch_execnz .LBB24_3640
.LBB24_1590:
	s_or_b64 exec, exec, s[6:7]
	s_and_saveexec_b64 s[6:7], s[4:5]
	s_cbranch_execz .LBB24_1592
.LBB24_1591:
	v_bfe_u32 v14, v11, 16, 3
	v_ffbh_u32_e32 v22, v14
	v_min_u32_e32 v22, 32, v22
	v_lshrrev_b32_e32 v20, 19, v11
	v_subrev_u32_e32 v23, 28, v22
	v_and_b32_e32 v20, 15, v20
	v_lshlrev_b32_sdwa v23, v23, v11 dst_sel:DWORD dst_unused:UNUSED_PAD src0_sel:DWORD src1_sel:WORD_1
	v_bfe_u32 v21, v11, 19, 4
	v_sub_u32_e32 v22, 29, v22
	v_and_b32_e32 v23, 7, v23
	v_cmp_eq_u16_e32 vcc, 0, v20
	v_cndmask_b32_e32 v14, v14, v23, vcc
	v_cndmask_b32_e32 v20, v21, v22, vcc
	v_lshlrev_b32_e32 v21, 8, v11
	v_mov_b32_e32 v22, 0x3b800000
	v_lshlrev_b32_e32 v14, 20, v14
	v_and_b32_e32 v21, 0x80000000, v21
	v_lshl_add_u32 v20, v20, 23, v22
	v_or3_b32 v20, v21, v20, v14
.LBB24_1592:
	s_or_b64 exec, exec, s[6:7]
	s_nop 0
	v_mfma_f32_16x16x4f32 a[0:3], v10, v20, a[0:3]
	s_movk_i32 s4, 0x7f
	v_cmp_gt_i16_sdwa s[6:7], v15, s4 src0_sel:BYTE_3 src1_sel:DWORD
	s_mov_b64 s[4:5], 0
                                        ; implicit-def: $sgpr10
	s_and_saveexec_b64 s[8:9], s[6:7]
	s_xor_b64 s[6:7], exec, s[8:9]
	s_cbranch_execnz .LBB24_3641
; %bb.1593:
	s_or_saveexec_b64 s[6:7], s[6:7]
	v_mov_b32_e32 v10, s10
	s_xor_b64 exec, exec, s[6:7]
	s_cbranch_execnz .LBB24_3644
.LBB24_1594:
	s_or_b64 exec, exec, s[6:7]
	s_and_saveexec_b64 s[6:7], s[4:5]
	s_cbranch_execz .LBB24_1596
.LBB24_1595:
	v_bfe_u32 v10, v15, 24, 3
	v_ffbh_u32_e32 v22, v10
	v_min_u32_e32 v22, 32, v22
	v_lshrrev_b32_e32 v20, 27, v15
	v_subrev_u32_e32 v23, 28, v22
	v_and_b32_e32 v14, 0x80000000, v15
	v_and_b32_e32 v20, 15, v20
	v_bfe_u32 v21, v15, 27, 4
	v_lshlrev_b32_sdwa v15, v23, v15 dst_sel:DWORD dst_unused:UNUSED_PAD src0_sel:DWORD src1_sel:BYTE_3
	v_sub_u32_e32 v22, 29, v22
	v_and_b32_e32 v15, 7, v15
	v_cmp_eq_u16_e32 vcc, 0, v20
	v_cndmask_b32_e32 v10, v10, v15, vcc
	v_cndmask_b32_e32 v15, v21, v22, vcc
	v_mov_b32_e32 v20, 0x3b800000
	v_lshlrev_b32_e32 v10, 20, v10
	v_lshl_add_u32 v15, v15, 23, v20
	v_or3_b32 v10, v14, v15, v10
.LBB24_1596:
	s_or_b64 exec, exec, s[6:7]
	s_movk_i32 s4, 0x7f
	v_cmp_gt_i16_sdwa s[6:7], v11, s4 src0_sel:BYTE_3 src1_sel:DWORD
	s_mov_b64 s[4:5], 0
                                        ; implicit-def: $sgpr10
	s_and_saveexec_b64 s[8:9], s[6:7]
	s_xor_b64 s[6:7], exec, s[8:9]
	s_cbranch_execnz .LBB24_3645
; %bb.1597:
	s_or_saveexec_b64 s[6:7], s[6:7]
	v_mov_b32_e32 v14, s10
	s_xor_b64 exec, exec, s[6:7]
	s_cbranch_execnz .LBB24_3648
.LBB24_1598:
	s_or_b64 exec, exec, s[6:7]
	s_and_saveexec_b64 s[6:7], s[4:5]
	s_cbranch_execz .LBB24_1600
.LBB24_1599:
	v_bfe_u32 v14, v11, 24, 3
	v_ffbh_u32_e32 v22, v14
	v_min_u32_e32 v22, 32, v22
	v_lshrrev_b32_e32 v20, 27, v11
	v_subrev_u32_e32 v23, 28, v22
	v_and_b32_e32 v15, 0x80000000, v11
	v_and_b32_e32 v20, 15, v20
	v_bfe_u32 v21, v11, 27, 4
	v_lshlrev_b32_sdwa v11, v23, v11 dst_sel:DWORD dst_unused:UNUSED_PAD src0_sel:DWORD src1_sel:BYTE_3
	v_sub_u32_e32 v22, 29, v22
	v_and_b32_e32 v11, 7, v11
	v_cmp_eq_u16_e32 vcc, 0, v20
	v_cndmask_b32_e32 v11, v14, v11, vcc
	v_cndmask_b32_e32 v14, v21, v22, vcc
	v_mov_b32_e32 v20, 0x3b800000
	v_lshlrev_b32_e32 v11, 20, v11
	v_lshl_add_u32 v14, v14, 23, v20
	v_or3_b32 v14, v15, v14, v11
.LBB24_1600:
	s_or_b64 exec, exec, s[6:7]
	s_nop 0
	v_mfma_f32_16x16x4f32 a[0:3], v10, v14, a[0:3]
	s_movk_i32 s4, 0x7f
	v_cmp_gt_i16_sdwa s[6:7], v16, s4 src0_sel:BYTE_0 src1_sel:DWORD
	s_mov_b64 s[4:5], 0
                                        ; implicit-def: $sgpr10
	s_and_saveexec_b64 s[8:9], s[6:7]
	s_xor_b64 s[6:7], exec, s[8:9]
	s_cbranch_execnz .LBB24_3649
; %bb.1601:
	s_or_saveexec_b64 s[6:7], s[6:7]
	v_mov_b32_e32 v10, s10
	s_xor_b64 exec, exec, s[6:7]
	s_cbranch_execnz .LBB24_3652
.LBB24_1602:
	s_or_b64 exec, exec, s[6:7]
	s_and_saveexec_b64 s[6:7], s[4:5]
	s_cbranch_execz .LBB24_1604
.LBB24_1603:
	v_and_b32_e32 v10, 7, v16
	v_ffbh_u32_e32 v14, v10
	v_min_u32_e32 v14, 32, v14
	v_lshrrev_b16_e32 v11, 3, v16
	v_subrev_u32_e32 v15, 28, v14
	v_and_b32_e32 v11, 15, v11
	v_lshlrev_b32_e32 v15, v15, v16
	v_sub_u32_e32 v14, 29, v14
	v_and_b32_e32 v15, 7, v15
	v_cmp_eq_u16_e32 vcc, 0, v11
	v_cndmask_b32_e32 v10, v10, v15, vcc
	v_cndmask_b32_e32 v11, v11, v14, vcc
	v_lshlrev_b32_e32 v14, 24, v16
	v_mov_b32_e32 v15, 0x3b800000
	v_lshlrev_b32_e32 v10, 20, v10
	v_and_b32_e32 v14, 0x80000000, v14
	v_lshl_add_u32 v11, v11, 23, v15
	v_or3_b32 v10, v14, v11, v10
.LBB24_1604:
	s_or_b64 exec, exec, s[6:7]
	s_movk_i32 s4, 0x7f
	v_cmp_gt_i16_sdwa s[6:7], v12, s4 src0_sel:BYTE_0 src1_sel:DWORD
	s_mov_b64 s[4:5], 0
                                        ; implicit-def: $sgpr10
	s_and_saveexec_b64 s[8:9], s[6:7]
	s_xor_b64 s[6:7], exec, s[8:9]
	s_cbranch_execnz .LBB24_3653
; %bb.1605:
	s_or_saveexec_b64 s[6:7], s[6:7]
	v_mov_b32_e32 v11, s10
	s_xor_b64 exec, exec, s[6:7]
	s_cbranch_execnz .LBB24_3656
.LBB24_1606:
	s_or_b64 exec, exec, s[6:7]
	s_and_saveexec_b64 s[6:7], s[4:5]
	s_cbranch_execz .LBB24_1608
.LBB24_1607:
	v_and_b32_e32 v11, 7, v12
	v_ffbh_u32_e32 v15, v11
	v_min_u32_e32 v15, 32, v15
	v_lshrrev_b16_e32 v14, 3, v12
	v_subrev_u32_e32 v20, 28, v15
	v_and_b32_e32 v14, 15, v14
	v_lshlrev_b32_e32 v20, v20, v12
	v_sub_u32_e32 v15, 29, v15
	v_and_b32_e32 v20, 7, v20
	v_cmp_eq_u16_e32 vcc, 0, v14
	v_cndmask_b32_e32 v11, v11, v20, vcc
	v_cndmask_b32_e32 v14, v14, v15, vcc
	v_lshlrev_b32_e32 v15, 24, v12
	v_mov_b32_e32 v20, 0x3b800000
	v_lshlrev_b32_e32 v11, 20, v11
	v_and_b32_e32 v15, 0x80000000, v15
	v_lshl_add_u32 v14, v14, 23, v20
	v_or3_b32 v11, v15, v14, v11
.LBB24_1608:
	s_or_b64 exec, exec, s[6:7]
	s_nop 0
	v_mfma_f32_16x16x4f32 a[0:3], v10, v11, a[0:3]
	v_lshrrev_b32_e32 v11, 8, v16
	s_movk_i32 s4, 0x7f
	v_cmp_gt_i16_sdwa s[6:7], v11, s4 src0_sel:BYTE_0 src1_sel:DWORD
	s_mov_b64 s[4:5], 0
                                        ; implicit-def: $sgpr10
	s_and_saveexec_b64 s[8:9], s[6:7]
	s_xor_b64 s[6:7], exec, s[8:9]
	s_cbranch_execnz .LBB24_3657
; %bb.1609:
	s_or_saveexec_b64 s[6:7], s[6:7]
	v_mov_b32_e32 v10, s10
	s_xor_b64 exec, exec, s[6:7]
	s_cbranch_execnz .LBB24_3660
.LBB24_1610:
	s_or_b64 exec, exec, s[6:7]
	s_and_saveexec_b64 s[6:7], s[4:5]
	s_cbranch_execz .LBB24_1612
.LBB24_1611:
	v_bfe_u32 v10, v16, 8, 3
	v_ffbh_u32_e32 v15, v10
	v_min_u32_e32 v15, 32, v15
	v_lshrrev_b16_e32 v14, 3, v11
	v_subrev_u32_e32 v20, 28, v15
	v_and_b32_e32 v14, 15, v14
	v_lshlrev_b32_e32 v11, v20, v11
	v_sub_u32_e32 v15, 29, v15
	v_and_b32_e32 v11, 7, v11
	v_cmp_eq_u16_e32 vcc, 0, v14
	v_cndmask_b32_e32 v10, v10, v11, vcc
	v_cndmask_b32_e32 v11, v14, v15, vcc
	v_lshlrev_b32_e32 v14, 16, v16
	v_mov_b32_e32 v15, 0x3b800000
	v_lshlrev_b32_e32 v10, 20, v10
	v_and_b32_e32 v14, 0x80000000, v14
	v_lshl_add_u32 v11, v11, 23, v15
	v_or3_b32 v10, v14, v11, v10
.LBB24_1612:
	s_or_b64 exec, exec, s[6:7]
	v_lshrrev_b32_e32 v11, 8, v12
	s_movk_i32 s4, 0x7f
	v_cmp_gt_i16_sdwa s[6:7], v11, s4 src0_sel:BYTE_0 src1_sel:DWORD
	s_mov_b64 s[4:5], 0
                                        ; implicit-def: $sgpr10
	s_and_saveexec_b64 s[8:9], s[6:7]
	s_xor_b64 s[6:7], exec, s[8:9]
	s_cbranch_execnz .LBB24_3661
; %bb.1613:
	s_or_saveexec_b64 s[6:7], s[6:7]
	v_mov_b32_e32 v14, s10
	s_xor_b64 exec, exec, s[6:7]
	s_cbranch_execnz .LBB24_3664
.LBB24_1614:
	s_or_b64 exec, exec, s[6:7]
	s_and_saveexec_b64 s[6:7], s[4:5]
	s_cbranch_execz .LBB24_1616
.LBB24_1615:
	v_bfe_u32 v14, v12, 8, 3
	v_ffbh_u32_e32 v20, v14
	v_min_u32_e32 v20, 32, v20
	v_lshrrev_b16_e32 v15, 3, v11
	v_subrev_u32_e32 v21, 28, v20
	v_and_b32_e32 v15, 15, v15
	v_lshlrev_b32_e32 v11, v21, v11
	v_sub_u32_e32 v20, 29, v20
	v_and_b32_e32 v11, 7, v11
	v_cmp_eq_u16_e32 vcc, 0, v15
	v_cndmask_b32_e32 v11, v14, v11, vcc
	v_cndmask_b32_e32 v14, v15, v20, vcc
	v_lshlrev_b32_e32 v15, 16, v12
	v_mov_b32_e32 v20, 0x3b800000
	v_lshlrev_b32_e32 v11, 20, v11
	v_and_b32_e32 v15, 0x80000000, v15
	v_lshl_add_u32 v14, v14, 23, v20
	v_or3_b32 v14, v15, v14, v11
.LBB24_1616:
	s_or_b64 exec, exec, s[6:7]
	s_nop 0
	v_mfma_f32_16x16x4f32 a[0:3], v10, v14, a[0:3]
	s_movk_i32 s4, 0xff
	v_and_b32_sdwa v11, v16, s4 dst_sel:DWORD dst_unused:UNUSED_PAD src0_sel:WORD_1 src1_sel:DWORD
	s_movk_i32 s4, 0x7f
	v_cmp_lt_i16_e32 vcc, s4, v11
	s_mov_b64 s[4:5], 0
                                        ; implicit-def: $sgpr10
	s_and_saveexec_b64 s[6:7], vcc
	s_xor_b64 s[6:7], exec, s[6:7]
	s_cbranch_execnz .LBB24_3665
; %bb.1617:
	s_or_saveexec_b64 s[6:7], s[6:7]
	v_mov_b32_e32 v10, s10
	s_xor_b64 exec, exec, s[6:7]
	s_cbranch_execnz .LBB24_3668
.LBB24_1618:
	s_or_b64 exec, exec, s[6:7]
	s_and_saveexec_b64 s[6:7], s[4:5]
	s_cbranch_execz .LBB24_1620
.LBB24_1619:
	v_bfe_u32 v10, v16, 16, 3
	v_ffbh_u32_e32 v15, v10
	v_min_u32_e32 v15, 32, v15
	v_lshrrev_b32_e32 v11, 19, v16
	v_subrev_u32_e32 v20, 28, v15
	v_and_b32_e32 v11, 15, v11
	v_lshlrev_b32_sdwa v20, v20, v16 dst_sel:DWORD dst_unused:UNUSED_PAD src0_sel:DWORD src1_sel:WORD_1
	v_bfe_u32 v14, v16, 19, 4
	v_sub_u32_e32 v15, 29, v15
	v_and_b32_e32 v20, 7, v20
	v_cmp_eq_u16_e32 vcc, 0, v11
	v_cndmask_b32_e32 v10, v10, v20, vcc
	v_cndmask_b32_e32 v11, v14, v15, vcc
	v_lshlrev_b32_e32 v14, 8, v16
	v_mov_b32_e32 v15, 0x3b800000
	v_lshlrev_b32_e32 v10, 20, v10
	v_and_b32_e32 v14, 0x80000000, v14
	v_lshl_add_u32 v11, v11, 23, v15
	v_or3_b32 v10, v14, v11, v10
.LBB24_1620:
	s_or_b64 exec, exec, s[6:7]
	s_movk_i32 s4, 0xff
	v_and_b32_sdwa v11, v12, s4 dst_sel:DWORD dst_unused:UNUSED_PAD src0_sel:WORD_1 src1_sel:DWORD
	s_movk_i32 s4, 0x7f
	v_cmp_lt_i16_e32 vcc, s4, v11
	s_mov_b64 s[4:5], 0
                                        ; implicit-def: $sgpr10
	s_and_saveexec_b64 s[6:7], vcc
	s_xor_b64 s[6:7], exec, s[6:7]
	s_cbranch_execnz .LBB24_3669
; %bb.1621:
	s_or_saveexec_b64 s[6:7], s[6:7]
	v_mov_b32_e32 v14, s10
	s_xor_b64 exec, exec, s[6:7]
	s_cbranch_execnz .LBB24_3672
.LBB24_1622:
	s_or_b64 exec, exec, s[6:7]
	s_and_saveexec_b64 s[6:7], s[4:5]
	s_cbranch_execz .LBB24_1624
.LBB24_1623:
	v_bfe_u32 v11, v12, 16, 3
	v_ffbh_u32_e32 v20, v11
	v_min_u32_e32 v20, 32, v20
	v_lshrrev_b32_e32 v14, 19, v12
	v_subrev_u32_e32 v21, 28, v20
	v_and_b32_e32 v14, 15, v14
	v_lshlrev_b32_sdwa v21, v21, v12 dst_sel:DWORD dst_unused:UNUSED_PAD src0_sel:DWORD src1_sel:WORD_1
	v_bfe_u32 v15, v12, 19, 4
	v_sub_u32_e32 v20, 29, v20
	v_and_b32_e32 v21, 7, v21
	v_cmp_eq_u16_e32 vcc, 0, v14
	v_cndmask_b32_e32 v11, v11, v21, vcc
	v_cndmask_b32_e32 v14, v15, v20, vcc
	v_lshlrev_b32_e32 v15, 8, v12
	v_mov_b32_e32 v20, 0x3b800000
	v_lshlrev_b32_e32 v11, 20, v11
	v_and_b32_e32 v15, 0x80000000, v15
	v_lshl_add_u32 v14, v14, 23, v20
	v_or3_b32 v14, v15, v14, v11
.LBB24_1624:
	s_or_b64 exec, exec, s[6:7]
	s_nop 0
	v_mfma_f32_16x16x4f32 a[0:3], v10, v14, a[0:3]
	s_movk_i32 s4, 0x7f
	v_cmp_gt_i16_sdwa s[6:7], v16, s4 src0_sel:BYTE_3 src1_sel:DWORD
	s_mov_b64 s[4:5], 0
                                        ; implicit-def: $sgpr10
	s_and_saveexec_b64 s[8:9], s[6:7]
	s_xor_b64 s[6:7], exec, s[8:9]
	s_cbranch_execnz .LBB24_3673
; %bb.1625:
	s_or_saveexec_b64 s[6:7], s[6:7]
	v_mov_b32_e32 v10, s10
	s_xor_b64 exec, exec, s[6:7]
	s_cbranch_execnz .LBB24_3676
.LBB24_1626:
	s_or_b64 exec, exec, s[6:7]
	s_and_saveexec_b64 s[6:7], s[4:5]
	s_cbranch_execz .LBB24_1628
.LBB24_1627:
	v_bfe_u32 v10, v16, 24, 3
	v_ffbh_u32_e32 v20, v10
	v_min_u32_e32 v20, 32, v20
	v_lshrrev_b32_e32 v14, 27, v16
	v_subrev_u32_e32 v21, 28, v20
	v_and_b32_e32 v11, 0x80000000, v16
	v_and_b32_e32 v14, 15, v14
	v_bfe_u32 v15, v16, 27, 4
	v_lshlrev_b32_sdwa v16, v21, v16 dst_sel:DWORD dst_unused:UNUSED_PAD src0_sel:DWORD src1_sel:BYTE_3
	v_sub_u32_e32 v20, 29, v20
	v_and_b32_e32 v16, 7, v16
	v_cmp_eq_u16_e32 vcc, 0, v14
	v_cndmask_b32_e32 v10, v10, v16, vcc
	v_cndmask_b32_e32 v14, v15, v20, vcc
	v_mov_b32_e32 v15, 0x3b800000
	v_lshlrev_b32_e32 v10, 20, v10
	v_lshl_add_u32 v14, v14, 23, v15
	v_or3_b32 v10, v11, v14, v10
.LBB24_1628:
	s_or_b64 exec, exec, s[6:7]
	s_movk_i32 s4, 0x7f
	v_cmp_gt_i16_sdwa s[6:7], v12, s4 src0_sel:BYTE_3 src1_sel:DWORD
	s_mov_b64 s[4:5], 0
                                        ; implicit-def: $sgpr10
	s_and_saveexec_b64 s[8:9], s[6:7]
	s_xor_b64 s[6:7], exec, s[8:9]
	s_cbranch_execnz .LBB24_3677
; %bb.1629:
	s_or_saveexec_b64 s[6:7], s[6:7]
	v_mov_b32_e32 v11, s10
	s_xor_b64 exec, exec, s[6:7]
	s_cbranch_execnz .LBB24_3680
.LBB24_1630:
	s_or_b64 exec, exec, s[6:7]
	s_and_saveexec_b64 s[6:7], s[4:5]
	s_cbranch_execz .LBB24_1632
.LBB24_1631:
	v_bfe_u32 v11, v12, 24, 3
	v_ffbh_u32_e32 v20, v11
	v_min_u32_e32 v20, 32, v20
	v_lshrrev_b32_e32 v15, 27, v12
	v_subrev_u32_e32 v21, 28, v20
	v_and_b32_e32 v14, 0x80000000, v12
	v_and_b32_e32 v15, 15, v15
	v_bfe_u32 v16, v12, 27, 4
	v_lshlrev_b32_sdwa v12, v21, v12 dst_sel:DWORD dst_unused:UNUSED_PAD src0_sel:DWORD src1_sel:BYTE_3
	v_sub_u32_e32 v20, 29, v20
	v_and_b32_e32 v12, 7, v12
	v_cmp_eq_u16_e32 vcc, 0, v15
	v_cndmask_b32_e32 v11, v11, v12, vcc
	v_cndmask_b32_e32 v12, v16, v20, vcc
	v_mov_b32_e32 v15, 0x3b800000
	v_lshlrev_b32_e32 v11, 20, v11
	v_lshl_add_u32 v12, v12, 23, v15
	v_or3_b32 v11, v14, v12, v11
.LBB24_1632:
	s_or_b64 exec, exec, s[6:7]
	s_nop 0
	v_mfma_f32_16x16x4f32 a[0:3], v10, v11, a[0:3]
	s_movk_i32 s4, 0x7f
	v_cmp_gt_i16_sdwa s[6:7], v17, s4 src0_sel:BYTE_0 src1_sel:DWORD
	s_mov_b64 s[4:5], 0
                                        ; implicit-def: $sgpr10
	s_and_saveexec_b64 s[8:9], s[6:7]
	s_xor_b64 s[6:7], exec, s[8:9]
	s_cbranch_execnz .LBB24_3681
; %bb.1633:
	s_or_saveexec_b64 s[6:7], s[6:7]
	v_mov_b32_e32 v10, s10
	s_xor_b64 exec, exec, s[6:7]
	s_cbranch_execnz .LBB24_3684
.LBB24_1634:
	s_or_b64 exec, exec, s[6:7]
	s_and_saveexec_b64 s[6:7], s[4:5]
	s_cbranch_execz .LBB24_1636
.LBB24_1635:
	v_and_b32_e32 v10, 7, v17
	v_ffbh_u32_e32 v12, v10
	v_min_u32_e32 v12, 32, v12
	v_lshrrev_b16_e32 v11, 3, v17
	v_subrev_u32_e32 v14, 28, v12
	v_and_b32_e32 v11, 15, v11
	v_lshlrev_b32_e32 v14, v14, v17
	v_sub_u32_e32 v12, 29, v12
	v_and_b32_e32 v14, 7, v14
	v_cmp_eq_u16_e32 vcc, 0, v11
	v_cndmask_b32_e32 v10, v10, v14, vcc
	v_cndmask_b32_e32 v11, v11, v12, vcc
	v_lshlrev_b32_e32 v12, 24, v17
	v_mov_b32_e32 v14, 0x3b800000
	v_lshlrev_b32_e32 v10, 20, v10
	v_and_b32_e32 v12, 0x80000000, v12
	v_lshl_add_u32 v11, v11, 23, v14
	v_or3_b32 v10, v12, v11, v10
.LBB24_1636:
	s_or_b64 exec, exec, s[6:7]
	s_movk_i32 s4, 0x7f
	v_cmp_gt_i16_sdwa s[6:7], v13, s4 src0_sel:BYTE_0 src1_sel:DWORD
	s_mov_b64 s[4:5], 0
                                        ; implicit-def: $sgpr10
	s_and_saveexec_b64 s[8:9], s[6:7]
	s_xor_b64 s[6:7], exec, s[8:9]
	s_cbranch_execnz .LBB24_3685
; %bb.1637:
	s_or_saveexec_b64 s[6:7], s[6:7]
	v_mov_b32_e32 v11, s10
	s_xor_b64 exec, exec, s[6:7]
	s_cbranch_execnz .LBB24_3688
.LBB24_1638:
	s_or_b64 exec, exec, s[6:7]
	s_and_saveexec_b64 s[6:7], s[4:5]
	s_cbranch_execz .LBB24_1640
.LBB24_1639:
	v_and_b32_e32 v11, 7, v13
	v_ffbh_u32_e32 v14, v11
	v_min_u32_e32 v14, 32, v14
	v_lshrrev_b16_e32 v12, 3, v13
	v_subrev_u32_e32 v15, 28, v14
	v_and_b32_e32 v12, 15, v12
	v_lshlrev_b32_e32 v15, v15, v13
	v_sub_u32_e32 v14, 29, v14
	v_and_b32_e32 v15, 7, v15
	v_cmp_eq_u16_e32 vcc, 0, v12
	v_cndmask_b32_e32 v11, v11, v15, vcc
	v_cndmask_b32_e32 v12, v12, v14, vcc
	v_lshlrev_b32_e32 v14, 24, v13
	v_mov_b32_e32 v15, 0x3b800000
	v_lshlrev_b32_e32 v11, 20, v11
	v_and_b32_e32 v14, 0x80000000, v14
	v_lshl_add_u32 v12, v12, 23, v15
	v_or3_b32 v11, v14, v12, v11
.LBB24_1640:
	s_or_b64 exec, exec, s[6:7]
	s_nop 0
	v_mfma_f32_16x16x4f32 a[0:3], v10, v11, a[0:3]
	v_lshrrev_b32_e32 v11, 8, v17
	s_movk_i32 s4, 0x7f
	v_cmp_gt_i16_sdwa s[6:7], v11, s4 src0_sel:BYTE_0 src1_sel:DWORD
	s_mov_b64 s[4:5], 0
                                        ; implicit-def: $sgpr10
	s_and_saveexec_b64 s[8:9], s[6:7]
	s_xor_b64 s[6:7], exec, s[8:9]
	s_cbranch_execnz .LBB24_3689
; %bb.1641:
	s_or_saveexec_b64 s[6:7], s[6:7]
	v_mov_b32_e32 v10, s10
	s_xor_b64 exec, exec, s[6:7]
	s_cbranch_execnz .LBB24_3692
.LBB24_1642:
	s_or_b64 exec, exec, s[6:7]
	s_and_saveexec_b64 s[6:7], s[4:5]
	s_cbranch_execz .LBB24_1644
.LBB24_1643:
	v_bfe_u32 v10, v17, 8, 3
	v_ffbh_u32_e32 v14, v10
	v_min_u32_e32 v14, 32, v14
	v_lshrrev_b16_e32 v12, 3, v11
	v_subrev_u32_e32 v15, 28, v14
	v_and_b32_e32 v12, 15, v12
	v_lshlrev_b32_e32 v11, v15, v11
	v_sub_u32_e32 v14, 29, v14
	v_and_b32_e32 v11, 7, v11
	v_cmp_eq_u16_e32 vcc, 0, v12
	v_cndmask_b32_e32 v10, v10, v11, vcc
	v_cndmask_b32_e32 v11, v12, v14, vcc
	v_lshlrev_b32_e32 v12, 16, v17
	v_mov_b32_e32 v14, 0x3b800000
	v_lshlrev_b32_e32 v10, 20, v10
	v_and_b32_e32 v12, 0x80000000, v12
	v_lshl_add_u32 v11, v11, 23, v14
	v_or3_b32 v10, v12, v11, v10
.LBB24_1644:
	s_or_b64 exec, exec, s[6:7]
	v_lshrrev_b32_e32 v11, 8, v13
	s_movk_i32 s4, 0x7f
	v_cmp_gt_i16_sdwa s[6:7], v11, s4 src0_sel:BYTE_0 src1_sel:DWORD
	s_mov_b64 s[4:5], 0
                                        ; implicit-def: $sgpr10
	s_and_saveexec_b64 s[8:9], s[6:7]
	s_xor_b64 s[6:7], exec, s[8:9]
	s_cbranch_execnz .LBB24_3693
; %bb.1645:
	s_or_saveexec_b64 s[6:7], s[6:7]
	v_mov_b32_e32 v12, s10
	s_xor_b64 exec, exec, s[6:7]
	s_cbranch_execnz .LBB24_3696
.LBB24_1646:
	s_or_b64 exec, exec, s[6:7]
	s_and_saveexec_b64 s[6:7], s[4:5]
	s_cbranch_execz .LBB24_1648
.LBB24_1647:
	v_bfe_u32 v12, v13, 8, 3
	v_ffbh_u32_e32 v15, v12
	v_min_u32_e32 v15, 32, v15
	v_lshrrev_b16_e32 v14, 3, v11
	v_subrev_u32_e32 v16, 28, v15
	v_and_b32_e32 v14, 15, v14
	v_lshlrev_b32_e32 v11, v16, v11
	v_sub_u32_e32 v15, 29, v15
	v_and_b32_e32 v11, 7, v11
	v_cmp_eq_u16_e32 vcc, 0, v14
	v_cndmask_b32_e32 v11, v12, v11, vcc
	v_cndmask_b32_e32 v12, v14, v15, vcc
	v_lshlrev_b32_e32 v14, 16, v13
	v_mov_b32_e32 v15, 0x3b800000
	v_lshlrev_b32_e32 v11, 20, v11
	v_and_b32_e32 v14, 0x80000000, v14
	v_lshl_add_u32 v12, v12, 23, v15
	v_or3_b32 v12, v14, v12, v11
.LBB24_1648:
	s_or_b64 exec, exec, s[6:7]
	s_nop 0
	v_mfma_f32_16x16x4f32 a[0:3], v10, v12, a[0:3]
	s_movk_i32 s4, 0xff
	v_and_b32_sdwa v11, v17, s4 dst_sel:DWORD dst_unused:UNUSED_PAD src0_sel:WORD_1 src1_sel:DWORD
	s_movk_i32 s4, 0x7f
	v_cmp_lt_i16_e32 vcc, s4, v11
	s_mov_b64 s[4:5], 0
                                        ; implicit-def: $sgpr10
	s_and_saveexec_b64 s[6:7], vcc
	s_xor_b64 s[6:7], exec, s[6:7]
	s_cbranch_execnz .LBB24_3697
; %bb.1649:
	s_or_saveexec_b64 s[6:7], s[6:7]
	v_mov_b32_e32 v10, s10
	s_xor_b64 exec, exec, s[6:7]
	s_cbranch_execnz .LBB24_3700
.LBB24_1650:
	s_or_b64 exec, exec, s[6:7]
	s_and_saveexec_b64 s[6:7], s[4:5]
	s_cbranch_execz .LBB24_1652
.LBB24_1651:
	v_bfe_u32 v10, v17, 16, 3
	v_ffbh_u32_e32 v14, v10
	v_min_u32_e32 v14, 32, v14
	v_lshrrev_b32_e32 v11, 19, v17
	v_subrev_u32_e32 v15, 28, v14
	v_and_b32_e32 v11, 15, v11
	v_lshlrev_b32_sdwa v15, v15, v17 dst_sel:DWORD dst_unused:UNUSED_PAD src0_sel:DWORD src1_sel:WORD_1
	v_bfe_u32 v12, v17, 19, 4
	v_sub_u32_e32 v14, 29, v14
	v_and_b32_e32 v15, 7, v15
	v_cmp_eq_u16_e32 vcc, 0, v11
	v_cndmask_b32_e32 v10, v10, v15, vcc
	v_cndmask_b32_e32 v11, v12, v14, vcc
	v_lshlrev_b32_e32 v12, 8, v17
	v_mov_b32_e32 v14, 0x3b800000
	v_lshlrev_b32_e32 v10, 20, v10
	v_and_b32_e32 v12, 0x80000000, v12
	v_lshl_add_u32 v11, v11, 23, v14
	v_or3_b32 v10, v12, v11, v10
.LBB24_1652:
	s_or_b64 exec, exec, s[6:7]
	s_movk_i32 s4, 0xff
	v_and_b32_sdwa v11, v13, s4 dst_sel:DWORD dst_unused:UNUSED_PAD src0_sel:WORD_1 src1_sel:DWORD
	s_movk_i32 s4, 0x7f
	v_cmp_lt_i16_e32 vcc, s4, v11
	s_mov_b64 s[4:5], 0
                                        ; implicit-def: $sgpr10
	s_and_saveexec_b64 s[6:7], vcc
	s_xor_b64 s[6:7], exec, s[6:7]
	s_cbranch_execnz .LBB24_3701
; %bb.1653:
	s_or_saveexec_b64 s[6:7], s[6:7]
	v_mov_b32_e32 v12, s10
	s_xor_b64 exec, exec, s[6:7]
	s_cbranch_execnz .LBB24_3704
.LBB24_1654:
	s_or_b64 exec, exec, s[6:7]
	s_and_saveexec_b64 s[6:7], s[4:5]
	s_cbranch_execz .LBB24_1656
.LBB24_1655:
	v_bfe_u32 v11, v13, 16, 3
	v_ffbh_u32_e32 v15, v11
	v_min_u32_e32 v15, 32, v15
	v_lshrrev_b32_e32 v12, 19, v13
	v_subrev_u32_e32 v16, 28, v15
	v_and_b32_e32 v12, 15, v12
	v_lshlrev_b32_sdwa v16, v16, v13 dst_sel:DWORD dst_unused:UNUSED_PAD src0_sel:DWORD src1_sel:WORD_1
	v_bfe_u32 v14, v13, 19, 4
	v_sub_u32_e32 v15, 29, v15
	v_and_b32_e32 v16, 7, v16
	v_cmp_eq_u16_e32 vcc, 0, v12
	v_cndmask_b32_e32 v11, v11, v16, vcc
	v_cndmask_b32_e32 v12, v14, v15, vcc
	v_lshlrev_b32_e32 v14, 8, v13
	v_mov_b32_e32 v15, 0x3b800000
	v_lshlrev_b32_e32 v11, 20, v11
	v_and_b32_e32 v14, 0x80000000, v14
	v_lshl_add_u32 v12, v12, 23, v15
	v_or3_b32 v12, v14, v12, v11
.LBB24_1656:
	s_or_b64 exec, exec, s[6:7]
	s_nop 0
	v_mfma_f32_16x16x4f32 a[0:3], v10, v12, a[0:3]
	s_movk_i32 s4, 0x7f
	v_cmp_gt_i16_sdwa s[6:7], v17, s4 src0_sel:BYTE_3 src1_sel:DWORD
	s_mov_b64 s[4:5], 0
                                        ; implicit-def: $sgpr10
	s_and_saveexec_b64 s[8:9], s[6:7]
	s_xor_b64 s[6:7], exec, s[8:9]
	s_cbranch_execnz .LBB24_3705
; %bb.1657:
	s_or_saveexec_b64 s[6:7], s[6:7]
	v_mov_b32_e32 v10, s10
	s_xor_b64 exec, exec, s[6:7]
	s_cbranch_execnz .LBB24_3708
.LBB24_1658:
	s_or_b64 exec, exec, s[6:7]
	s_and_saveexec_b64 s[6:7], s[4:5]
	s_cbranch_execz .LBB24_1660
.LBB24_1659:
	v_bfe_u32 v10, v17, 24, 3
	v_ffbh_u32_e32 v15, v10
	v_min_u32_e32 v15, 32, v15
	v_lshrrev_b32_e32 v12, 27, v17
	v_subrev_u32_e32 v16, 28, v15
	v_and_b32_e32 v12, 15, v12
	v_lshlrev_b32_sdwa v16, v16, v17 dst_sel:DWORD dst_unused:UNUSED_PAD src0_sel:DWORD src1_sel:BYTE_3
	v_bfe_u32 v14, v17, 27, 4
	v_sub_u32_e32 v15, 29, v15
	v_and_b32_e32 v16, 7, v16
	v_cmp_eq_u16_e32 vcc, 0, v12
	v_cndmask_b32_e32 v10, v10, v16, vcc
	v_cndmask_b32_e32 v12, v14, v15, vcc
	v_mov_b32_e32 v14, 0x3b800000
	v_and_b32_e32 v11, 0x80000000, v17
	v_lshlrev_b32_e32 v10, 20, v10
	v_lshl_add_u32 v12, v12, 23, v14
	v_or3_b32 v10, v11, v12, v10
.LBB24_1660:
	s_or_b64 exec, exec, s[6:7]
	s_movk_i32 s4, 0x7f
	v_cmp_gt_i16_sdwa s[6:7], v13, s4 src0_sel:BYTE_3 src1_sel:DWORD
	s_mov_b64 s[4:5], 0
                                        ; implicit-def: $sgpr10
	s_and_saveexec_b64 s[8:9], s[6:7]
	s_xor_b64 s[6:7], exec, s[8:9]
	s_cbranch_execnz .LBB24_3709
; %bb.1661:
	s_or_saveexec_b64 s[6:7], s[6:7]
	v_mov_b32_e32 v11, s10
	s_xor_b64 exec, exec, s[6:7]
	s_cbranch_execnz .LBB24_3712
.LBB24_1662:
	s_or_b64 exec, exec, s[6:7]
	s_and_saveexec_b64 s[6:7], s[4:5]
	s_cbranch_execz .LBB24_1664
.LBB24_1663:
	v_bfe_u32 v11, v13, 24, 3
	v_ffbh_u32_e32 v16, v11
	v_min_u32_e32 v16, 32, v16
	v_lshrrev_b32_e32 v14, 27, v13
	v_subrev_u32_e32 v17, 28, v16
	v_and_b32_e32 v12, 0x80000000, v13
	v_and_b32_e32 v14, 15, v14
	v_bfe_u32 v15, v13, 27, 4
	v_lshlrev_b32_sdwa v13, v17, v13 dst_sel:DWORD dst_unused:UNUSED_PAD src0_sel:DWORD src1_sel:BYTE_3
	v_sub_u32_e32 v16, 29, v16
	v_and_b32_e32 v13, 7, v13
	v_cmp_eq_u16_e32 vcc, 0, v14
	v_cndmask_b32_e32 v11, v11, v13, vcc
	v_cndmask_b32_e32 v13, v15, v16, vcc
	v_mov_b32_e32 v14, 0x3b800000
	v_lshlrev_b32_e32 v11, 20, v11
	v_lshl_add_u32 v13, v13, 23, v14
	v_or3_b32 v11, v12, v13, v11
.LBB24_1664:
	s_or_b64 exec, exec, s[6:7]
	s_nop 0
	v_mfma_f32_16x16x4f32 a[0:3], v10, v11, a[0:3]
	s_movk_i32 s4, 0x7f
	v_cmp_gt_i16_sdwa s[6:7], v6, s4 src0_sel:BYTE_0 src1_sel:DWORD
	s_mov_b64 s[4:5], 0
                                        ; implicit-def: $sgpr10
	s_and_saveexec_b64 s[8:9], s[6:7]
	s_xor_b64 s[6:7], exec, s[8:9]
	s_cbranch_execnz .LBB24_3713
; %bb.1665:
	s_or_saveexec_b64 s[6:7], s[6:7]
	v_mov_b32_e32 v10, s10
	s_xor_b64 exec, exec, s[6:7]
	s_cbranch_execnz .LBB24_3716
.LBB24_1666:
	s_or_b64 exec, exec, s[6:7]
	s_and_saveexec_b64 s[6:7], s[4:5]
	s_cbranch_execz .LBB24_1668
.LBB24_1667:
	v_and_b32_e32 v10, 7, v6
	v_ffbh_u32_e32 v12, v10
	v_min_u32_e32 v12, 32, v12
	v_lshrrev_b16_e32 v11, 3, v6
	v_subrev_u32_e32 v13, 28, v12
	v_and_b32_e32 v11, 15, v11
	v_lshlrev_b32_e32 v13, v13, v6
	v_sub_u32_e32 v12, 29, v12
	v_and_b32_e32 v13, 7, v13
	v_cmp_eq_u16_e32 vcc, 0, v11
	v_cndmask_b32_e32 v10, v10, v13, vcc
	v_cndmask_b32_e32 v11, v11, v12, vcc
	v_lshlrev_b32_e32 v12, 24, v6
	v_mov_b32_e32 v13, 0x3b800000
	v_lshlrev_b32_e32 v10, 20, v10
	v_and_b32_e32 v12, 0x80000000, v12
	v_lshl_add_u32 v11, v11, 23, v13
	v_or3_b32 v10, v12, v11, v10
.LBB24_1668:
	s_or_b64 exec, exec, s[6:7]
	s_movk_i32 s4, 0x7f
	v_cmp_gt_i16_sdwa s[6:7], v2, s4 src0_sel:BYTE_0 src1_sel:DWORD
	s_mov_b64 s[4:5], 0
                                        ; implicit-def: $sgpr10
	s_and_saveexec_b64 s[8:9], s[6:7]
	s_xor_b64 s[6:7], exec, s[8:9]
	s_cbranch_execnz .LBB24_3717
; %bb.1669:
	s_or_saveexec_b64 s[6:7], s[6:7]
	v_mov_b32_e32 v11, s10
	s_xor_b64 exec, exec, s[6:7]
	s_cbranch_execnz .LBB24_3720
.LBB24_1670:
	s_or_b64 exec, exec, s[6:7]
	s_and_saveexec_b64 s[6:7], s[4:5]
	s_cbranch_execz .LBB24_1672
.LBB24_1671:
	v_and_b32_e32 v11, 7, v2
	v_ffbh_u32_e32 v13, v11
	v_min_u32_e32 v13, 32, v13
	v_lshrrev_b16_e32 v12, 3, v2
	v_subrev_u32_e32 v14, 28, v13
	v_and_b32_e32 v12, 15, v12
	v_lshlrev_b32_e32 v14, v14, v2
	v_sub_u32_e32 v13, 29, v13
	v_and_b32_e32 v14, 7, v14
	v_cmp_eq_u16_e32 vcc, 0, v12
	v_cndmask_b32_e32 v11, v11, v14, vcc
	v_cndmask_b32_e32 v12, v12, v13, vcc
	v_lshlrev_b32_e32 v13, 24, v2
	v_mov_b32_e32 v14, 0x3b800000
	v_lshlrev_b32_e32 v11, 20, v11
	v_and_b32_e32 v13, 0x80000000, v13
	v_lshl_add_u32 v12, v12, 23, v14
	v_or3_b32 v11, v13, v12, v11
.LBB24_1672:
	s_or_b64 exec, exec, s[6:7]
	s_nop 0
	v_mfma_f32_16x16x4f32 a[0:3], v10, v11, a[0:3]
	v_lshrrev_b32_e32 v11, 8, v6
	s_movk_i32 s4, 0x7f
	v_cmp_gt_i16_sdwa s[6:7], v11, s4 src0_sel:BYTE_0 src1_sel:DWORD
	s_mov_b64 s[4:5], 0
                                        ; implicit-def: $sgpr10
	s_and_saveexec_b64 s[8:9], s[6:7]
	s_xor_b64 s[6:7], exec, s[8:9]
	s_cbranch_execnz .LBB24_3721
; %bb.1673:
	s_or_saveexec_b64 s[6:7], s[6:7]
	v_mov_b32_e32 v10, s10
	s_xor_b64 exec, exec, s[6:7]
	s_cbranch_execnz .LBB24_3724
.LBB24_1674:
	s_or_b64 exec, exec, s[6:7]
	s_and_saveexec_b64 s[6:7], s[4:5]
	s_cbranch_execz .LBB24_1676
.LBB24_1675:
	v_bfe_u32 v10, v6, 8, 3
	v_ffbh_u32_e32 v13, v10
	v_min_u32_e32 v13, 32, v13
	v_lshrrev_b16_e32 v12, 3, v11
	v_subrev_u32_e32 v14, 28, v13
	v_and_b32_e32 v12, 15, v12
	v_lshlrev_b32_e32 v11, v14, v11
	v_sub_u32_e32 v13, 29, v13
	v_and_b32_e32 v11, 7, v11
	v_cmp_eq_u16_e32 vcc, 0, v12
	v_cndmask_b32_e32 v10, v10, v11, vcc
	v_cndmask_b32_e32 v11, v12, v13, vcc
	v_lshlrev_b32_e32 v12, 16, v6
	v_mov_b32_e32 v13, 0x3b800000
	v_lshlrev_b32_e32 v10, 20, v10
	v_and_b32_e32 v12, 0x80000000, v12
	v_lshl_add_u32 v11, v11, 23, v13
	v_or3_b32 v10, v12, v11, v10
.LBB24_1676:
	s_or_b64 exec, exec, s[6:7]
	v_lshrrev_b32_e32 v11, 8, v2
	s_movk_i32 s4, 0x7f
	v_cmp_gt_i16_sdwa s[6:7], v11, s4 src0_sel:BYTE_0 src1_sel:DWORD
	s_mov_b64 s[4:5], 0
                                        ; implicit-def: $sgpr10
	s_and_saveexec_b64 s[8:9], s[6:7]
	s_xor_b64 s[6:7], exec, s[8:9]
	s_cbranch_execnz .LBB24_3725
; %bb.1677:
	s_or_saveexec_b64 s[6:7], s[6:7]
	v_mov_b32_e32 v12, s10
	s_xor_b64 exec, exec, s[6:7]
	s_cbranch_execnz .LBB24_3728
.LBB24_1678:
	s_or_b64 exec, exec, s[6:7]
	s_and_saveexec_b64 s[6:7], s[4:5]
	s_cbranch_execz .LBB24_1680
.LBB24_1679:
	v_bfe_u32 v12, v2, 8, 3
	v_ffbh_u32_e32 v14, v12
	v_min_u32_e32 v14, 32, v14
	v_lshrrev_b16_e32 v13, 3, v11
	v_subrev_u32_e32 v15, 28, v14
	v_and_b32_e32 v13, 15, v13
	v_lshlrev_b32_e32 v11, v15, v11
	v_sub_u32_e32 v14, 29, v14
	v_and_b32_e32 v11, 7, v11
	v_cmp_eq_u16_e32 vcc, 0, v13
	v_cndmask_b32_e32 v11, v12, v11, vcc
	v_cndmask_b32_e32 v12, v13, v14, vcc
	v_lshlrev_b32_e32 v13, 16, v2
	v_mov_b32_e32 v14, 0x3b800000
	v_lshlrev_b32_e32 v11, 20, v11
	v_and_b32_e32 v13, 0x80000000, v13
	v_lshl_add_u32 v12, v12, 23, v14
	v_or3_b32 v12, v13, v12, v11
.LBB24_1680:
	s_or_b64 exec, exec, s[6:7]
	s_nop 0
	v_mfma_f32_16x16x4f32 a[0:3], v10, v12, a[0:3]
	s_movk_i32 s4, 0xff
	v_and_b32_sdwa v11, v6, s4 dst_sel:DWORD dst_unused:UNUSED_PAD src0_sel:WORD_1 src1_sel:DWORD
	s_movk_i32 s4, 0x7f
	v_cmp_lt_i16_e32 vcc, s4, v11
	s_mov_b64 s[4:5], 0
                                        ; implicit-def: $sgpr10
	s_and_saveexec_b64 s[6:7], vcc
	s_xor_b64 s[6:7], exec, s[6:7]
	s_cbranch_execnz .LBB24_3729
; %bb.1681:
	s_or_saveexec_b64 s[6:7], s[6:7]
	v_mov_b32_e32 v10, s10
	s_xor_b64 exec, exec, s[6:7]
	s_cbranch_execnz .LBB24_3732
.LBB24_1682:
	s_or_b64 exec, exec, s[6:7]
	s_and_saveexec_b64 s[6:7], s[4:5]
	s_cbranch_execz .LBB24_1684
.LBB24_1683:
	v_bfe_u32 v10, v6, 16, 3
	v_ffbh_u32_e32 v13, v10
	v_min_u32_e32 v13, 32, v13
	v_lshrrev_b32_e32 v11, 19, v6
	v_subrev_u32_e32 v14, 28, v13
	v_and_b32_e32 v11, 15, v11
	v_lshlrev_b32_sdwa v14, v14, v6 dst_sel:DWORD dst_unused:UNUSED_PAD src0_sel:DWORD src1_sel:WORD_1
	v_bfe_u32 v12, v6, 19, 4
	v_sub_u32_e32 v13, 29, v13
	v_and_b32_e32 v14, 7, v14
	v_cmp_eq_u16_e32 vcc, 0, v11
	v_cndmask_b32_e32 v10, v10, v14, vcc
	v_cndmask_b32_e32 v11, v12, v13, vcc
	v_lshlrev_b32_e32 v12, 8, v6
	v_mov_b32_e32 v13, 0x3b800000
	v_lshlrev_b32_e32 v10, 20, v10
	v_and_b32_e32 v12, 0x80000000, v12
	v_lshl_add_u32 v11, v11, 23, v13
	v_or3_b32 v10, v12, v11, v10
.LBB24_1684:
	s_or_b64 exec, exec, s[6:7]
	s_movk_i32 s4, 0xff
	v_and_b32_sdwa v11, v2, s4 dst_sel:DWORD dst_unused:UNUSED_PAD src0_sel:WORD_1 src1_sel:DWORD
	s_movk_i32 s4, 0x7f
	v_cmp_lt_i16_e32 vcc, s4, v11
	s_mov_b64 s[4:5], 0
                                        ; implicit-def: $sgpr10
	s_and_saveexec_b64 s[6:7], vcc
	s_xor_b64 s[6:7], exec, s[6:7]
	s_cbranch_execnz .LBB24_3733
; %bb.1685:
	s_or_saveexec_b64 s[6:7], s[6:7]
	v_mov_b32_e32 v12, s10
	s_xor_b64 exec, exec, s[6:7]
	s_cbranch_execnz .LBB24_3736
.LBB24_1686:
	s_or_b64 exec, exec, s[6:7]
	s_and_saveexec_b64 s[6:7], s[4:5]
	s_cbranch_execz .LBB24_1688
.LBB24_1687:
	v_bfe_u32 v11, v2, 16, 3
	v_ffbh_u32_e32 v14, v11
	v_min_u32_e32 v14, 32, v14
	v_lshrrev_b32_e32 v12, 19, v2
	v_subrev_u32_e32 v15, 28, v14
	v_and_b32_e32 v12, 15, v12
	v_lshlrev_b32_sdwa v15, v15, v2 dst_sel:DWORD dst_unused:UNUSED_PAD src0_sel:DWORD src1_sel:WORD_1
	v_bfe_u32 v13, v2, 19, 4
	v_sub_u32_e32 v14, 29, v14
	v_and_b32_e32 v15, 7, v15
	v_cmp_eq_u16_e32 vcc, 0, v12
	v_cndmask_b32_e32 v11, v11, v15, vcc
	v_cndmask_b32_e32 v12, v13, v14, vcc
	v_lshlrev_b32_e32 v13, 8, v2
	v_mov_b32_e32 v14, 0x3b800000
	v_lshlrev_b32_e32 v11, 20, v11
	v_and_b32_e32 v13, 0x80000000, v13
	v_lshl_add_u32 v12, v12, 23, v14
	v_or3_b32 v12, v13, v12, v11
.LBB24_1688:
	s_or_b64 exec, exec, s[6:7]
	s_nop 0
	v_mfma_f32_16x16x4f32 a[0:3], v10, v12, a[0:3]
	s_movk_i32 s4, 0x7f
	v_cmp_gt_i16_sdwa s[6:7], v6, s4 src0_sel:BYTE_3 src1_sel:DWORD
	s_mov_b64 s[4:5], 0
                                        ; implicit-def: $sgpr10
	s_and_saveexec_b64 s[8:9], s[6:7]
	s_xor_b64 s[6:7], exec, s[8:9]
	s_cbranch_execnz .LBB24_3737
; %bb.1689:
	s_or_saveexec_b64 s[6:7], s[6:7]
	v_mov_b32_e32 v10, s10
	s_xor_b64 exec, exec, s[6:7]
	s_cbranch_execnz .LBB24_3740
.LBB24_1690:
	s_or_b64 exec, exec, s[6:7]
	s_and_saveexec_b64 s[6:7], s[4:5]
	s_cbranch_execz .LBB24_1692
.LBB24_1691:
	v_bfe_u32 v10, v6, 24, 3
	v_ffbh_u32_e32 v14, v10
	v_min_u32_e32 v14, 32, v14
	v_lshrrev_b32_e32 v12, 27, v6
	v_subrev_u32_e32 v15, 28, v14
	v_and_b32_e32 v11, 0x80000000, v6
	v_and_b32_e32 v12, 15, v12
	v_bfe_u32 v13, v6, 27, 4
	v_lshlrev_b32_sdwa v6, v15, v6 dst_sel:DWORD dst_unused:UNUSED_PAD src0_sel:DWORD src1_sel:BYTE_3
	v_sub_u32_e32 v14, 29, v14
	v_and_b32_e32 v6, 7, v6
	v_cmp_eq_u16_e32 vcc, 0, v12
	v_cndmask_b32_e32 v6, v10, v6, vcc
	v_cndmask_b32_e32 v10, v13, v14, vcc
	v_mov_b32_e32 v12, 0x3b800000
	v_lshlrev_b32_e32 v6, 20, v6
	v_lshl_add_u32 v10, v10, 23, v12
	v_or3_b32 v10, v11, v10, v6
.LBB24_1692:
	s_or_b64 exec, exec, s[6:7]
	s_movk_i32 s4, 0x7f
	v_cmp_gt_i16_sdwa s[6:7], v2, s4 src0_sel:BYTE_3 src1_sel:DWORD
	s_mov_b64 s[4:5], 0
                                        ; implicit-def: $sgpr10
	s_and_saveexec_b64 s[8:9], s[6:7]
	s_xor_b64 s[6:7], exec, s[8:9]
	s_cbranch_execnz .LBB24_3741
; %bb.1693:
	s_or_saveexec_b64 s[6:7], s[6:7]
	v_mov_b32_e32 v6, s10
	s_xor_b64 exec, exec, s[6:7]
	s_cbranch_execnz .LBB24_3744
.LBB24_1694:
	s_or_b64 exec, exec, s[6:7]
	s_and_saveexec_b64 s[6:7], s[4:5]
	s_cbranch_execz .LBB24_1696
.LBB24_1695:
	v_bfe_u32 v6, v2, 24, 3
	v_ffbh_u32_e32 v14, v6
	v_min_u32_e32 v14, 32, v14
	v_lshrrev_b32_e32 v12, 27, v2
	v_subrev_u32_e32 v15, 28, v14
	v_and_b32_e32 v11, 0x80000000, v2
	v_and_b32_e32 v12, 15, v12
	v_bfe_u32 v13, v2, 27, 4
	v_lshlrev_b32_sdwa v2, v15, v2 dst_sel:DWORD dst_unused:UNUSED_PAD src0_sel:DWORD src1_sel:BYTE_3
	v_sub_u32_e32 v14, 29, v14
	v_and_b32_e32 v2, 7, v2
	v_cmp_eq_u16_e32 vcc, 0, v12
	v_cndmask_b32_e32 v2, v6, v2, vcc
	v_cndmask_b32_e32 v6, v13, v14, vcc
	v_mov_b32_e32 v12, 0x3b800000
	v_lshlrev_b32_e32 v2, 20, v2
	v_lshl_add_u32 v6, v6, 23, v12
	v_or3_b32 v6, v11, v6, v2
.LBB24_1696:
	s_or_b64 exec, exec, s[6:7]
	s_nop 0
	v_mfma_f32_16x16x4f32 a[0:3], v10, v6, a[0:3]
	s_movk_i32 s4, 0x7f
	v_cmp_gt_i16_sdwa s[6:7], v7, s4 src0_sel:BYTE_0 src1_sel:DWORD
	s_mov_b64 s[4:5], 0
                                        ; implicit-def: $sgpr10
	s_and_saveexec_b64 s[8:9], s[6:7]
	s_xor_b64 s[6:7], exec, s[8:9]
	s_cbranch_execnz .LBB24_3745
; %bb.1697:
	s_or_saveexec_b64 s[6:7], s[6:7]
	v_mov_b32_e32 v2, s10
	s_xor_b64 exec, exec, s[6:7]
	s_cbranch_execnz .LBB24_3748
.LBB24_1698:
	s_or_b64 exec, exec, s[6:7]
	s_and_saveexec_b64 s[6:7], s[4:5]
	s_cbranch_execz .LBB24_1700
.LBB24_1699:
	v_and_b32_e32 v2, 7, v7
	v_ffbh_u32_e32 v10, v2
	v_min_u32_e32 v10, 32, v10
	v_lshrrev_b16_e32 v6, 3, v7
	v_subrev_u32_e32 v11, 28, v10
	v_and_b32_e32 v6, 15, v6
	v_lshlrev_b32_e32 v11, v11, v7
	v_sub_u32_e32 v10, 29, v10
	v_and_b32_e32 v11, 7, v11
	v_cmp_eq_u16_e32 vcc, 0, v6
	v_cndmask_b32_e32 v2, v2, v11, vcc
	v_cndmask_b32_e32 v6, v6, v10, vcc
	v_lshlrev_b32_e32 v10, 24, v7
	v_mov_b32_e32 v11, 0x3b800000
	v_lshlrev_b32_e32 v2, 20, v2
	v_and_b32_e32 v10, 0x80000000, v10
	v_lshl_add_u32 v6, v6, 23, v11
	v_or3_b32 v2, v10, v6, v2
.LBB24_1700:
	s_or_b64 exec, exec, s[6:7]
	s_movk_i32 s4, 0x7f
	v_cmp_gt_i16_sdwa s[6:7], v3, s4 src0_sel:BYTE_0 src1_sel:DWORD
	s_mov_b64 s[4:5], 0
                                        ; implicit-def: $sgpr10
	s_and_saveexec_b64 s[8:9], s[6:7]
	s_xor_b64 s[6:7], exec, s[8:9]
	s_cbranch_execnz .LBB24_3749
; %bb.1701:
	s_or_saveexec_b64 s[6:7], s[6:7]
	v_mov_b32_e32 v6, s10
	s_xor_b64 exec, exec, s[6:7]
	s_cbranch_execnz .LBB24_3752
.LBB24_1702:
	s_or_b64 exec, exec, s[6:7]
	s_and_saveexec_b64 s[6:7], s[4:5]
	s_cbranch_execz .LBB24_1704
.LBB24_1703:
	v_and_b32_e32 v6, 7, v3
	v_ffbh_u32_e32 v11, v6
	v_min_u32_e32 v11, 32, v11
	v_lshrrev_b16_e32 v10, 3, v3
	v_subrev_u32_e32 v12, 28, v11
	v_and_b32_e32 v10, 15, v10
	v_lshlrev_b32_e32 v12, v12, v3
	v_sub_u32_e32 v11, 29, v11
	v_and_b32_e32 v12, 7, v12
	v_cmp_eq_u16_e32 vcc, 0, v10
	v_cndmask_b32_e32 v6, v6, v12, vcc
	v_cndmask_b32_e32 v10, v10, v11, vcc
	v_lshlrev_b32_e32 v11, 24, v3
	v_mov_b32_e32 v12, 0x3b800000
	v_lshlrev_b32_e32 v6, 20, v6
	v_and_b32_e32 v11, 0x80000000, v11
	v_lshl_add_u32 v10, v10, 23, v12
	v_or3_b32 v6, v11, v10, v6
.LBB24_1704:
	s_or_b64 exec, exec, s[6:7]
	s_nop 0
	v_mfma_f32_16x16x4f32 a[0:3], v2, v6, a[0:3]
	v_lshrrev_b32_e32 v6, 8, v7
	s_movk_i32 s4, 0x7f
	v_cmp_gt_i16_sdwa s[6:7], v6, s4 src0_sel:BYTE_0 src1_sel:DWORD
	s_mov_b64 s[4:5], 0
                                        ; implicit-def: $sgpr10
	s_and_saveexec_b64 s[8:9], s[6:7]
	s_xor_b64 s[6:7], exec, s[8:9]
	s_cbranch_execnz .LBB24_3753
; %bb.1705:
	s_or_saveexec_b64 s[6:7], s[6:7]
	v_mov_b32_e32 v2, s10
	s_xor_b64 exec, exec, s[6:7]
	s_cbranch_execnz .LBB24_3756
.LBB24_1706:
	s_or_b64 exec, exec, s[6:7]
	s_and_saveexec_b64 s[6:7], s[4:5]
	s_cbranch_execz .LBB24_1708
.LBB24_1707:
	v_bfe_u32 v2, v7, 8, 3
	v_ffbh_u32_e32 v11, v2
	v_min_u32_e32 v11, 32, v11
	v_lshrrev_b16_e32 v10, 3, v6
	v_subrev_u32_e32 v12, 28, v11
	v_and_b32_e32 v10, 15, v10
	v_lshlrev_b32_e32 v6, v12, v6
	v_sub_u32_e32 v11, 29, v11
	v_and_b32_e32 v6, 7, v6
	v_cmp_eq_u16_e32 vcc, 0, v10
	v_cndmask_b32_e32 v2, v2, v6, vcc
	v_cndmask_b32_e32 v6, v10, v11, vcc
	v_lshlrev_b32_e32 v10, 16, v7
	v_mov_b32_e32 v11, 0x3b800000
	v_lshlrev_b32_e32 v2, 20, v2
	v_and_b32_e32 v10, 0x80000000, v10
	v_lshl_add_u32 v6, v6, 23, v11
	v_or3_b32 v2, v10, v6, v2
.LBB24_1708:
	s_or_b64 exec, exec, s[6:7]
	v_lshrrev_b32_e32 v6, 8, v3
	s_movk_i32 s4, 0x7f
	v_cmp_gt_i16_sdwa s[6:7], v6, s4 src0_sel:BYTE_0 src1_sel:DWORD
	s_mov_b64 s[4:5], 0
                                        ; implicit-def: $sgpr10
	s_and_saveexec_b64 s[8:9], s[6:7]
	s_xor_b64 s[6:7], exec, s[8:9]
	s_cbranch_execnz .LBB24_3757
; %bb.1709:
	s_or_saveexec_b64 s[6:7], s[6:7]
	v_mov_b32_e32 v10, s10
	s_xor_b64 exec, exec, s[6:7]
	s_cbranch_execnz .LBB24_3760
.LBB24_1710:
	s_or_b64 exec, exec, s[6:7]
	s_and_saveexec_b64 s[6:7], s[4:5]
	s_cbranch_execz .LBB24_1712
.LBB24_1711:
	v_bfe_u32 v10, v3, 8, 3
	v_ffbh_u32_e32 v12, v10
	v_min_u32_e32 v12, 32, v12
	v_lshrrev_b16_e32 v11, 3, v6
	v_subrev_u32_e32 v13, 28, v12
	v_and_b32_e32 v11, 15, v11
	v_lshlrev_b32_e32 v6, v13, v6
	v_sub_u32_e32 v12, 29, v12
	v_and_b32_e32 v6, 7, v6
	v_cmp_eq_u16_e32 vcc, 0, v11
	v_cndmask_b32_e32 v6, v10, v6, vcc
	v_cndmask_b32_e32 v10, v11, v12, vcc
	v_lshlrev_b32_e32 v11, 16, v3
	v_mov_b32_e32 v12, 0x3b800000
	v_lshlrev_b32_e32 v6, 20, v6
	v_and_b32_e32 v11, 0x80000000, v11
	v_lshl_add_u32 v10, v10, 23, v12
	v_or3_b32 v10, v11, v10, v6
.LBB24_1712:
	s_or_b64 exec, exec, s[6:7]
	s_nop 0
	v_mfma_f32_16x16x4f32 a[0:3], v2, v10, a[0:3]
	s_movk_i32 s4, 0xff
	v_and_b32_sdwa v6, v7, s4 dst_sel:DWORD dst_unused:UNUSED_PAD src0_sel:WORD_1 src1_sel:DWORD
	s_movk_i32 s4, 0x7f
	v_cmp_lt_i16_e32 vcc, s4, v6
	s_mov_b64 s[4:5], 0
                                        ; implicit-def: $sgpr10
	s_and_saveexec_b64 s[6:7], vcc
	s_xor_b64 s[6:7], exec, s[6:7]
	s_cbranch_execnz .LBB24_3761
; %bb.1713:
	s_or_saveexec_b64 s[6:7], s[6:7]
	v_mov_b32_e32 v2, s10
	s_xor_b64 exec, exec, s[6:7]
	s_cbranch_execnz .LBB24_3764
.LBB24_1714:
	s_or_b64 exec, exec, s[6:7]
	s_and_saveexec_b64 s[6:7], s[4:5]
	s_cbranch_execz .LBB24_1716
.LBB24_1715:
	v_bfe_u32 v2, v7, 16, 3
	v_ffbh_u32_e32 v11, v2
	v_min_u32_e32 v11, 32, v11
	v_lshrrev_b32_e32 v6, 19, v7
	v_subrev_u32_e32 v12, 28, v11
	v_and_b32_e32 v6, 15, v6
	v_lshlrev_b32_sdwa v12, v12, v7 dst_sel:DWORD dst_unused:UNUSED_PAD src0_sel:DWORD src1_sel:WORD_1
	v_bfe_u32 v10, v7, 19, 4
	v_sub_u32_e32 v11, 29, v11
	v_and_b32_e32 v12, 7, v12
	v_cmp_eq_u16_e32 vcc, 0, v6
	v_cndmask_b32_e32 v2, v2, v12, vcc
	v_cndmask_b32_e32 v6, v10, v11, vcc
	v_lshlrev_b32_e32 v10, 8, v7
	v_mov_b32_e32 v11, 0x3b800000
	v_lshlrev_b32_e32 v2, 20, v2
	v_and_b32_e32 v10, 0x80000000, v10
	v_lshl_add_u32 v6, v6, 23, v11
	v_or3_b32 v2, v10, v6, v2
.LBB24_1716:
	s_or_b64 exec, exec, s[6:7]
	s_movk_i32 s4, 0xff
	v_and_b32_sdwa v6, v3, s4 dst_sel:DWORD dst_unused:UNUSED_PAD src0_sel:WORD_1 src1_sel:DWORD
	s_movk_i32 s4, 0x7f
	v_cmp_lt_i16_e32 vcc, s4, v6
	s_mov_b64 s[4:5], 0
                                        ; implicit-def: $sgpr10
	s_and_saveexec_b64 s[6:7], vcc
	s_xor_b64 s[6:7], exec, s[6:7]
	s_cbranch_execnz .LBB24_3765
; %bb.1717:
	s_or_saveexec_b64 s[6:7], s[6:7]
	v_mov_b32_e32 v10, s10
	s_xor_b64 exec, exec, s[6:7]
	s_cbranch_execnz .LBB24_3768
.LBB24_1718:
	s_or_b64 exec, exec, s[6:7]
	s_and_saveexec_b64 s[6:7], s[4:5]
	s_cbranch_execz .LBB24_1720
.LBB24_1719:
	v_bfe_u32 v6, v3, 16, 3
	v_ffbh_u32_e32 v12, v6
	v_min_u32_e32 v12, 32, v12
	v_lshrrev_b32_e32 v10, 19, v3
	v_subrev_u32_e32 v13, 28, v12
	v_and_b32_e32 v10, 15, v10
	v_lshlrev_b32_sdwa v13, v13, v3 dst_sel:DWORD dst_unused:UNUSED_PAD src0_sel:DWORD src1_sel:WORD_1
	v_bfe_u32 v11, v3, 19, 4
	v_sub_u32_e32 v12, 29, v12
	v_and_b32_e32 v13, 7, v13
	v_cmp_eq_u16_e32 vcc, 0, v10
	v_cndmask_b32_e32 v6, v6, v13, vcc
	v_cndmask_b32_e32 v10, v11, v12, vcc
	v_lshlrev_b32_e32 v11, 8, v3
	v_mov_b32_e32 v12, 0x3b800000
	v_lshlrev_b32_e32 v6, 20, v6
	v_and_b32_e32 v11, 0x80000000, v11
	v_lshl_add_u32 v10, v10, 23, v12
	v_or3_b32 v10, v11, v10, v6
.LBB24_1720:
	s_or_b64 exec, exec, s[6:7]
	s_nop 0
	v_mfma_f32_16x16x4f32 a[0:3], v2, v10, a[0:3]
	s_movk_i32 s4, 0x7f
	v_cmp_gt_i16_sdwa s[6:7], v7, s4 src0_sel:BYTE_3 src1_sel:DWORD
	s_mov_b64 s[4:5], 0
                                        ; implicit-def: $sgpr10
	s_and_saveexec_b64 s[8:9], s[6:7]
	s_xor_b64 s[6:7], exec, s[8:9]
	s_cbranch_execnz .LBB24_3769
; %bb.1721:
	s_or_saveexec_b64 s[6:7], s[6:7]
	v_mov_b32_e32 v2, s10
	s_xor_b64 exec, exec, s[6:7]
	s_cbranch_execnz .LBB24_3772
.LBB24_1722:
	s_or_b64 exec, exec, s[6:7]
	s_and_saveexec_b64 s[6:7], s[4:5]
	s_cbranch_execz .LBB24_1724
.LBB24_1723:
	v_bfe_u32 v2, v7, 24, 3
	v_ffbh_u32_e32 v12, v2
	v_min_u32_e32 v12, 32, v12
	v_lshrrev_b32_e32 v10, 27, v7
	v_subrev_u32_e32 v13, 28, v12
	v_and_b32_e32 v6, 0x80000000, v7
	v_and_b32_e32 v10, 15, v10
	v_bfe_u32 v11, v7, 27, 4
	v_lshlrev_b32_sdwa v7, v13, v7 dst_sel:DWORD dst_unused:UNUSED_PAD src0_sel:DWORD src1_sel:BYTE_3
	v_sub_u32_e32 v12, 29, v12
	v_and_b32_e32 v7, 7, v7
	v_cmp_eq_u16_e32 vcc, 0, v10
	v_cndmask_b32_e32 v2, v2, v7, vcc
	v_cndmask_b32_e32 v7, v11, v12, vcc
	v_mov_b32_e32 v10, 0x3b800000
	v_lshlrev_b32_e32 v2, 20, v2
	v_lshl_add_u32 v7, v7, 23, v10
	v_or3_b32 v2, v6, v7, v2
.LBB24_1724:
	s_or_b64 exec, exec, s[6:7]
	s_movk_i32 s4, 0x7f
	v_cmp_gt_i16_sdwa s[6:7], v3, s4 src0_sel:BYTE_3 src1_sel:DWORD
	s_mov_b64 s[4:5], 0
                                        ; implicit-def: $sgpr10
	s_and_saveexec_b64 s[8:9], s[6:7]
	s_xor_b64 s[6:7], exec, s[8:9]
	s_cbranch_execnz .LBB24_3773
; %bb.1725:
	s_or_saveexec_b64 s[6:7], s[6:7]
	v_mov_b32_e32 v6, s10
	s_xor_b64 exec, exec, s[6:7]
	s_cbranch_execnz .LBB24_3776
.LBB24_1726:
	s_or_b64 exec, exec, s[6:7]
	s_and_saveexec_b64 s[6:7], s[4:5]
	s_cbranch_execz .LBB24_1728
.LBB24_1727:
	v_bfe_u32 v6, v3, 24, 3
	v_ffbh_u32_e32 v12, v6
	v_min_u32_e32 v12, 32, v12
	v_lshrrev_b32_e32 v10, 27, v3
	v_subrev_u32_e32 v13, 28, v12
	v_and_b32_e32 v7, 0x80000000, v3
	v_and_b32_e32 v10, 15, v10
	v_bfe_u32 v11, v3, 27, 4
	v_lshlrev_b32_sdwa v3, v13, v3 dst_sel:DWORD dst_unused:UNUSED_PAD src0_sel:DWORD src1_sel:BYTE_3
	v_sub_u32_e32 v12, 29, v12
	v_and_b32_e32 v3, 7, v3
	v_cmp_eq_u16_e32 vcc, 0, v10
	v_cndmask_b32_e32 v3, v6, v3, vcc
	v_cndmask_b32_e32 v6, v11, v12, vcc
	v_mov_b32_e32 v10, 0x3b800000
	v_lshlrev_b32_e32 v3, 20, v3
	v_lshl_add_u32 v6, v6, 23, v10
	v_or3_b32 v6, v7, v6, v3
.LBB24_1728:
	s_or_b64 exec, exec, s[6:7]
	s_nop 0
	v_mfma_f32_16x16x4f32 a[0:3], v2, v6, a[0:3]
	s_movk_i32 s4, 0x7f
	v_cmp_gt_i16_sdwa s[6:7], v8, s4 src0_sel:BYTE_0 src1_sel:DWORD
	s_mov_b64 s[4:5], 0
                                        ; implicit-def: $sgpr10
	s_and_saveexec_b64 s[8:9], s[6:7]
	s_xor_b64 s[6:7], exec, s[8:9]
	s_cbranch_execnz .LBB24_3777
; %bb.1729:
	s_or_saveexec_b64 s[6:7], s[6:7]
	v_mov_b32_e32 v2, s10
	s_xor_b64 exec, exec, s[6:7]
	s_cbranch_execnz .LBB24_3780
.LBB24_1730:
	s_or_b64 exec, exec, s[6:7]
	s_and_saveexec_b64 s[6:7], s[4:5]
	s_cbranch_execz .LBB24_1732
.LBB24_1731:
	v_and_b32_e32 v2, 7, v8
	v_ffbh_u32_e32 v6, v2
	v_min_u32_e32 v6, 32, v6
	v_lshrrev_b16_e32 v3, 3, v8
	v_subrev_u32_e32 v7, 28, v6
	v_and_b32_e32 v3, 15, v3
	v_lshlrev_b32_e32 v7, v7, v8
	v_sub_u32_e32 v6, 29, v6
	v_and_b32_e32 v7, 7, v7
	v_cmp_eq_u16_e32 vcc, 0, v3
	v_cndmask_b32_e32 v2, v2, v7, vcc
	v_cndmask_b32_e32 v3, v3, v6, vcc
	v_lshlrev_b32_e32 v6, 24, v8
	v_mov_b32_e32 v7, 0x3b800000
	v_lshlrev_b32_e32 v2, 20, v2
	v_and_b32_e32 v6, 0x80000000, v6
	v_lshl_add_u32 v3, v3, 23, v7
	v_or3_b32 v2, v6, v3, v2
.LBB24_1732:
	s_or_b64 exec, exec, s[6:7]
	s_movk_i32 s4, 0x7f
	v_cmp_gt_i16_sdwa s[6:7], v4, s4 src0_sel:BYTE_0 src1_sel:DWORD
	s_mov_b64 s[4:5], 0
                                        ; implicit-def: $sgpr10
	s_and_saveexec_b64 s[8:9], s[6:7]
	s_xor_b64 s[6:7], exec, s[8:9]
	s_cbranch_execnz .LBB24_3781
; %bb.1733:
	s_or_saveexec_b64 s[6:7], s[6:7]
	v_mov_b32_e32 v3, s10
	s_xor_b64 exec, exec, s[6:7]
	s_cbranch_execnz .LBB24_3784
.LBB24_1734:
	s_or_b64 exec, exec, s[6:7]
	s_and_saveexec_b64 s[6:7], s[4:5]
	s_cbranch_execz .LBB24_1736
.LBB24_1735:
	v_and_b32_e32 v3, 7, v4
	v_ffbh_u32_e32 v7, v3
	v_min_u32_e32 v7, 32, v7
	v_lshrrev_b16_e32 v6, 3, v4
	v_subrev_u32_e32 v10, 28, v7
	v_and_b32_e32 v6, 15, v6
	v_lshlrev_b32_e32 v10, v10, v4
	v_sub_u32_e32 v7, 29, v7
	v_and_b32_e32 v10, 7, v10
	v_cmp_eq_u16_e32 vcc, 0, v6
	v_cndmask_b32_e32 v3, v3, v10, vcc
	v_cndmask_b32_e32 v6, v6, v7, vcc
	v_lshlrev_b32_e32 v7, 24, v4
	v_mov_b32_e32 v10, 0x3b800000
	v_lshlrev_b32_e32 v3, 20, v3
	v_and_b32_e32 v7, 0x80000000, v7
	v_lshl_add_u32 v6, v6, 23, v10
	v_or3_b32 v3, v7, v6, v3
.LBB24_1736:
	s_or_b64 exec, exec, s[6:7]
	s_nop 0
	v_mfma_f32_16x16x4f32 a[0:3], v2, v3, a[0:3]
	v_lshrrev_b32_e32 v3, 8, v8
	s_movk_i32 s4, 0x7f
	v_cmp_gt_i16_sdwa s[6:7], v3, s4 src0_sel:BYTE_0 src1_sel:DWORD
	s_mov_b64 s[4:5], 0
                                        ; implicit-def: $sgpr10
	s_and_saveexec_b64 s[8:9], s[6:7]
	s_xor_b64 s[6:7], exec, s[8:9]
	s_cbranch_execnz .LBB24_3785
; %bb.1737:
	s_or_saveexec_b64 s[6:7], s[6:7]
	v_mov_b32_e32 v2, s10
	s_xor_b64 exec, exec, s[6:7]
	s_cbranch_execnz .LBB24_3788
.LBB24_1738:
	s_or_b64 exec, exec, s[6:7]
	s_and_saveexec_b64 s[6:7], s[4:5]
	s_cbranch_execz .LBB24_1740
.LBB24_1739:
	v_bfe_u32 v2, v8, 8, 3
	v_ffbh_u32_e32 v7, v2
	v_min_u32_e32 v7, 32, v7
	v_lshrrev_b16_e32 v6, 3, v3
	v_subrev_u32_e32 v10, 28, v7
	v_and_b32_e32 v6, 15, v6
	v_lshlrev_b32_e32 v3, v10, v3
	v_sub_u32_e32 v7, 29, v7
	v_and_b32_e32 v3, 7, v3
	v_cmp_eq_u16_e32 vcc, 0, v6
	v_cndmask_b32_e32 v2, v2, v3, vcc
	v_cndmask_b32_e32 v3, v6, v7, vcc
	v_lshlrev_b32_e32 v6, 16, v8
	v_mov_b32_e32 v7, 0x3b800000
	v_lshlrev_b32_e32 v2, 20, v2
	v_and_b32_e32 v6, 0x80000000, v6
	v_lshl_add_u32 v3, v3, 23, v7
	v_or3_b32 v2, v6, v3, v2
.LBB24_1740:
	s_or_b64 exec, exec, s[6:7]
	v_lshrrev_b32_e32 v3, 8, v4
	s_movk_i32 s4, 0x7f
	v_cmp_gt_i16_sdwa s[6:7], v3, s4 src0_sel:BYTE_0 src1_sel:DWORD
	s_mov_b64 s[4:5], 0
                                        ; implicit-def: $sgpr10
	s_and_saveexec_b64 s[8:9], s[6:7]
	s_xor_b64 s[6:7], exec, s[8:9]
	s_cbranch_execnz .LBB24_3789
; %bb.1741:
	s_or_saveexec_b64 s[6:7], s[6:7]
	v_mov_b32_e32 v6, s10
	s_xor_b64 exec, exec, s[6:7]
	s_cbranch_execnz .LBB24_3792
.LBB24_1742:
	s_or_b64 exec, exec, s[6:7]
	s_and_saveexec_b64 s[6:7], s[4:5]
	s_cbranch_execz .LBB24_1744
.LBB24_1743:
	v_bfe_u32 v6, v4, 8, 3
	v_ffbh_u32_e32 v10, v6
	v_min_u32_e32 v10, 32, v10
	v_lshrrev_b16_e32 v7, 3, v3
	v_subrev_u32_e32 v11, 28, v10
	v_and_b32_e32 v7, 15, v7
	v_lshlrev_b32_e32 v3, v11, v3
	v_sub_u32_e32 v10, 29, v10
	v_and_b32_e32 v3, 7, v3
	v_cmp_eq_u16_e32 vcc, 0, v7
	v_cndmask_b32_e32 v3, v6, v3, vcc
	v_cndmask_b32_e32 v6, v7, v10, vcc
	v_lshlrev_b32_e32 v7, 16, v4
	v_mov_b32_e32 v10, 0x3b800000
	v_lshlrev_b32_e32 v3, 20, v3
	v_and_b32_e32 v7, 0x80000000, v7
	v_lshl_add_u32 v6, v6, 23, v10
	v_or3_b32 v6, v7, v6, v3
.LBB24_1744:
	s_or_b64 exec, exec, s[6:7]
	s_nop 0
	v_mfma_f32_16x16x4f32 a[0:3], v2, v6, a[0:3]
	s_movk_i32 s4, 0xff
	v_and_b32_sdwa v3, v8, s4 dst_sel:DWORD dst_unused:UNUSED_PAD src0_sel:WORD_1 src1_sel:DWORD
	s_movk_i32 s4, 0x7f
	v_cmp_lt_i16_e32 vcc, s4, v3
	s_mov_b64 s[4:5], 0
                                        ; implicit-def: $sgpr10
	s_and_saveexec_b64 s[6:7], vcc
	s_xor_b64 s[6:7], exec, s[6:7]
	s_cbranch_execnz .LBB24_3793
; %bb.1745:
	s_or_saveexec_b64 s[6:7], s[6:7]
	v_mov_b32_e32 v2, s10
	s_xor_b64 exec, exec, s[6:7]
	s_cbranch_execnz .LBB24_3796
.LBB24_1746:
	s_or_b64 exec, exec, s[6:7]
	s_and_saveexec_b64 s[6:7], s[4:5]
	s_cbranch_execz .LBB24_1748
.LBB24_1747:
	v_bfe_u32 v2, v8, 16, 3
	v_ffbh_u32_e32 v7, v2
	v_min_u32_e32 v7, 32, v7
	v_lshrrev_b32_e32 v3, 19, v8
	v_subrev_u32_e32 v10, 28, v7
	v_and_b32_e32 v3, 15, v3
	v_lshlrev_b32_sdwa v10, v10, v8 dst_sel:DWORD dst_unused:UNUSED_PAD src0_sel:DWORD src1_sel:WORD_1
	v_bfe_u32 v6, v8, 19, 4
	v_sub_u32_e32 v7, 29, v7
	v_and_b32_e32 v10, 7, v10
	v_cmp_eq_u16_e32 vcc, 0, v3
	v_cndmask_b32_e32 v2, v2, v10, vcc
	v_cndmask_b32_e32 v3, v6, v7, vcc
	v_lshlrev_b32_e32 v6, 8, v8
	v_mov_b32_e32 v7, 0x3b800000
	v_lshlrev_b32_e32 v2, 20, v2
	v_and_b32_e32 v6, 0x80000000, v6
	v_lshl_add_u32 v3, v3, 23, v7
	v_or3_b32 v2, v6, v3, v2
.LBB24_1748:
	s_or_b64 exec, exec, s[6:7]
	s_movk_i32 s4, 0xff
	v_and_b32_sdwa v3, v4, s4 dst_sel:DWORD dst_unused:UNUSED_PAD src0_sel:WORD_1 src1_sel:DWORD
	s_movk_i32 s4, 0x7f
	v_cmp_lt_i16_e32 vcc, s4, v3
	s_mov_b64 s[4:5], 0
                                        ; implicit-def: $sgpr10
	s_and_saveexec_b64 s[6:7], vcc
	s_xor_b64 s[6:7], exec, s[6:7]
	s_cbranch_execnz .LBB24_3797
; %bb.1749:
	s_or_saveexec_b64 s[6:7], s[6:7]
	v_mov_b32_e32 v6, s10
	s_xor_b64 exec, exec, s[6:7]
	s_cbranch_execnz .LBB24_3800
.LBB24_1750:
	s_or_b64 exec, exec, s[6:7]
	s_and_saveexec_b64 s[6:7], s[4:5]
	s_cbranch_execz .LBB24_1752
.LBB24_1751:
	v_bfe_u32 v3, v4, 16, 3
	v_ffbh_u32_e32 v10, v3
	v_min_u32_e32 v10, 32, v10
	v_lshrrev_b32_e32 v6, 19, v4
	v_subrev_u32_e32 v11, 28, v10
	v_and_b32_e32 v6, 15, v6
	v_lshlrev_b32_sdwa v11, v11, v4 dst_sel:DWORD dst_unused:UNUSED_PAD src0_sel:DWORD src1_sel:WORD_1
	v_bfe_u32 v7, v4, 19, 4
	v_sub_u32_e32 v10, 29, v10
	v_and_b32_e32 v11, 7, v11
	v_cmp_eq_u16_e32 vcc, 0, v6
	v_cndmask_b32_e32 v3, v3, v11, vcc
	v_cndmask_b32_e32 v6, v7, v10, vcc
	v_lshlrev_b32_e32 v7, 8, v4
	v_mov_b32_e32 v10, 0x3b800000
	v_lshlrev_b32_e32 v3, 20, v3
	v_and_b32_e32 v7, 0x80000000, v7
	v_lshl_add_u32 v6, v6, 23, v10
	v_or3_b32 v6, v7, v6, v3
.LBB24_1752:
	s_or_b64 exec, exec, s[6:7]
	s_nop 0
	v_mfma_f32_16x16x4f32 a[0:3], v2, v6, a[0:3]
	s_movk_i32 s4, 0x7f
	v_cmp_gt_i16_sdwa s[6:7], v8, s4 src0_sel:BYTE_3 src1_sel:DWORD
	s_mov_b64 s[4:5], 0
                                        ; implicit-def: $sgpr10
	s_and_saveexec_b64 s[8:9], s[6:7]
	s_xor_b64 s[6:7], exec, s[8:9]
	s_cbranch_execnz .LBB24_3801
; %bb.1753:
	s_or_saveexec_b64 s[6:7], s[6:7]
	v_mov_b32_e32 v2, s10
	s_xor_b64 exec, exec, s[6:7]
	s_cbranch_execnz .LBB24_3804
.LBB24_1754:
	s_or_b64 exec, exec, s[6:7]
	s_and_saveexec_b64 s[6:7], s[4:5]
	s_cbranch_execz .LBB24_1756
.LBB24_1755:
	v_bfe_u32 v2, v8, 24, 3
	v_ffbh_u32_e32 v10, v2
	v_min_u32_e32 v10, 32, v10
	v_lshrrev_b32_e32 v6, 27, v8
	v_subrev_u32_e32 v11, 28, v10
	v_and_b32_e32 v3, 0x80000000, v8
	v_and_b32_e32 v6, 15, v6
	v_bfe_u32 v7, v8, 27, 4
	v_lshlrev_b32_sdwa v8, v11, v8 dst_sel:DWORD dst_unused:UNUSED_PAD src0_sel:DWORD src1_sel:BYTE_3
	v_sub_u32_e32 v10, 29, v10
	v_and_b32_e32 v8, 7, v8
	v_cmp_eq_u16_e32 vcc, 0, v6
	v_cndmask_b32_e32 v2, v2, v8, vcc
	v_cndmask_b32_e32 v6, v7, v10, vcc
	v_mov_b32_e32 v7, 0x3b800000
	v_lshlrev_b32_e32 v2, 20, v2
	v_lshl_add_u32 v6, v6, 23, v7
	v_or3_b32 v2, v3, v6, v2
.LBB24_1756:
	s_or_b64 exec, exec, s[6:7]
	s_movk_i32 s4, 0x7f
	v_cmp_gt_i16_sdwa s[6:7], v4, s4 src0_sel:BYTE_3 src1_sel:DWORD
	s_mov_b64 s[4:5], 0
                                        ; implicit-def: $sgpr10
	s_and_saveexec_b64 s[8:9], s[6:7]
	s_xor_b64 s[6:7], exec, s[8:9]
	s_cbranch_execnz .LBB24_3805
; %bb.1757:
	s_or_saveexec_b64 s[6:7], s[6:7]
	v_mov_b32_e32 v3, s10
	s_xor_b64 exec, exec, s[6:7]
	s_cbranch_execnz .LBB24_3808
.LBB24_1758:
	s_or_b64 exec, exec, s[6:7]
	s_and_saveexec_b64 s[6:7], s[4:5]
	s_cbranch_execz .LBB24_1760
.LBB24_1759:
	v_bfe_u32 v3, v4, 24, 3
	v_ffbh_u32_e32 v10, v3
	v_min_u32_e32 v10, 32, v10
	v_lshrrev_b32_e32 v7, 27, v4
	v_subrev_u32_e32 v11, 28, v10
	v_and_b32_e32 v6, 0x80000000, v4
	v_and_b32_e32 v7, 15, v7
	v_bfe_u32 v8, v4, 27, 4
	v_lshlrev_b32_sdwa v4, v11, v4 dst_sel:DWORD dst_unused:UNUSED_PAD src0_sel:DWORD src1_sel:BYTE_3
	v_sub_u32_e32 v10, 29, v10
	v_and_b32_e32 v4, 7, v4
	v_cmp_eq_u16_e32 vcc, 0, v7
	v_cndmask_b32_e32 v3, v3, v4, vcc
	v_cndmask_b32_e32 v4, v8, v10, vcc
	v_mov_b32_e32 v7, 0x3b800000
	v_lshlrev_b32_e32 v3, 20, v3
	v_lshl_add_u32 v4, v4, 23, v7
	v_or3_b32 v3, v6, v4, v3
.LBB24_1760:
	s_or_b64 exec, exec, s[6:7]
	s_nop 0
	v_mfma_f32_16x16x4f32 a[0:3], v2, v3, a[0:3]
	s_movk_i32 s4, 0x7f
	v_cmp_gt_i16_sdwa s[6:7], v9, s4 src0_sel:BYTE_0 src1_sel:DWORD
	s_mov_b64 s[4:5], 0
                                        ; implicit-def: $sgpr10
	s_and_saveexec_b64 s[8:9], s[6:7]
	s_xor_b64 s[6:7], exec, s[8:9]
	s_cbranch_execnz .LBB24_3809
; %bb.1761:
	s_or_saveexec_b64 s[6:7], s[6:7]
	v_mov_b32_e32 v2, s10
	s_xor_b64 exec, exec, s[6:7]
	s_cbranch_execnz .LBB24_3812
.LBB24_1762:
	s_or_b64 exec, exec, s[6:7]
	s_and_saveexec_b64 s[6:7], s[4:5]
	s_cbranch_execz .LBB24_1764
.LBB24_1763:
	v_mov_b32_e32 v2, 8
	v_and_b32_e32 v3, 7, v9
	v_lshrrev_b32_sdwa v2, v2, v9 dst_sel:BYTE_1 dst_unused:UNUSED_PAD src0_sel:DWORD src1_sel:DWORD
	v_ffbh_u32_e32 v4, v3
	v_or_b32_sdwa v2, v9, v2 dst_sel:DWORD dst_unused:UNUSED_PAD src0_sel:BYTE_0 src1_sel:DWORD
	v_min_u32_e32 v4, 32, v4
	v_lshrrev_b16_e32 v2, 3, v2
	v_subrev_u32_e32 v6, 28, v4
	v_and_b32_e32 v2, 15, v2
	v_lshlrev_b32_e32 v6, v6, v9
	v_sub_u32_e32 v4, 29, v4
	v_and_b32_e32 v6, 7, v6
	v_cmp_eq_u16_e32 vcc, 0, v2
	v_cndmask_b32_e32 v3, v3, v6, vcc
	v_cndmask_b32_e32 v2, v2, v4, vcc
	v_lshlrev_b32_e32 v4, 24, v9
	v_mov_b32_e32 v6, 0x3b800000
	v_lshlrev_b32_e32 v3, 20, v3
	v_and_b32_e32 v4, 0x80000000, v4
	v_lshl_add_u32 v2, v2, 23, v6
	v_or3_b32 v2, v4, v2, v3
.LBB24_1764:
	s_or_b64 exec, exec, s[6:7]
	s_movk_i32 s4, 0x7f
	v_cmp_gt_i16_sdwa s[6:7], v5, s4 src0_sel:BYTE_0 src1_sel:DWORD
	s_mov_b64 s[4:5], 0
                                        ; implicit-def: $sgpr10
	s_and_saveexec_b64 s[8:9], s[6:7]
	s_xor_b64 s[6:7], exec, s[8:9]
	s_cbranch_execnz .LBB24_3813
; %bb.1765:
	s_or_saveexec_b64 s[6:7], s[6:7]
	v_mov_b32_e32 v3, s10
	s_xor_b64 exec, exec, s[6:7]
	s_cbranch_execnz .LBB24_3816
.LBB24_1766:
	s_or_b64 exec, exec, s[6:7]
	s_and_saveexec_b64 s[6:7], s[4:5]
	s_cbranch_execz .LBB24_1768
.LBB24_1767:
	v_mov_b32_e32 v3, 8
	v_and_b32_e32 v4, 7, v5
	v_lshrrev_b32_sdwa v3, v3, v5 dst_sel:BYTE_1 dst_unused:UNUSED_PAD src0_sel:DWORD src1_sel:DWORD
	v_ffbh_u32_e32 v6, v4
	v_or_b32_sdwa v3, v5, v3 dst_sel:DWORD dst_unused:UNUSED_PAD src0_sel:BYTE_0 src1_sel:DWORD
	v_min_u32_e32 v6, 32, v6
	v_lshrrev_b16_e32 v3, 3, v3
	v_subrev_u32_e32 v7, 28, v6
	v_and_b32_e32 v3, 15, v3
	v_lshlrev_b32_e32 v7, v7, v5
	v_sub_u32_e32 v6, 29, v6
	v_and_b32_e32 v7, 7, v7
	v_cmp_eq_u16_e32 vcc, 0, v3
	v_cndmask_b32_e32 v4, v4, v7, vcc
	v_cndmask_b32_e32 v3, v3, v6, vcc
	v_lshlrev_b32_e32 v6, 24, v5
	v_mov_b32_e32 v7, 0x3b800000
	v_lshlrev_b32_e32 v4, 20, v4
	v_and_b32_e32 v6, 0x80000000, v6
	v_lshl_add_u32 v3, v3, 23, v7
	v_or3_b32 v3, v6, v3, v4
.LBB24_1768:
	s_or_b64 exec, exec, s[6:7]
	s_nop 0
	v_mfma_f32_16x16x4f32 a[0:3], v2, v3, a[0:3]
	v_lshrrev_b32_e32 v3, 8, v9
	s_movk_i32 s4, 0x7f
	v_cmp_gt_i16_sdwa s[6:7], v3, s4 src0_sel:BYTE_0 src1_sel:DWORD
	s_mov_b64 s[4:5], 0
                                        ; implicit-def: $sgpr10
	s_and_saveexec_b64 s[8:9], s[6:7]
	s_xor_b64 s[6:7], exec, s[8:9]
	s_cbranch_execnz .LBB24_3817
; %bb.1769:
	s_or_saveexec_b64 s[6:7], s[6:7]
	v_mov_b32_e32 v2, s10
	s_xor_b64 exec, exec, s[6:7]
	s_cbranch_execnz .LBB24_3820
.LBB24_1770:
	s_or_b64 exec, exec, s[6:7]
	s_and_saveexec_b64 s[6:7], s[4:5]
	s_cbranch_execz .LBB24_1772
.LBB24_1771:
	v_bfe_u32 v2, v9, 8, 3
	v_ffbh_u32_e32 v6, v2
	v_min_u32_e32 v6, 32, v6
	v_lshrrev_b16_e32 v4, 3, v3
	v_subrev_u32_e32 v7, 28, v6
	v_and_b32_e32 v4, 15, v4
	v_lshlrev_b32_e32 v3, v7, v3
	v_sub_u32_e32 v6, 29, v6
	v_and_b32_e32 v3, 7, v3
	v_cmp_eq_u16_e32 vcc, 0, v4
	v_cndmask_b32_e32 v2, v2, v3, vcc
	v_cndmask_b32_e32 v3, v4, v6, vcc
	v_lshlrev_b32_e32 v4, 16, v9
	v_mov_b32_e32 v6, 0x3b800000
	v_lshlrev_b32_e32 v2, 20, v2
	v_and_b32_e32 v4, 0x80000000, v4
	v_lshl_add_u32 v3, v3, 23, v6
	v_or3_b32 v2, v4, v3, v2
.LBB24_1772:
	s_or_b64 exec, exec, s[6:7]
	v_lshrrev_b32_e32 v3, 8, v5
	s_movk_i32 s4, 0x7f
	v_cmp_gt_i16_sdwa s[6:7], v3, s4 src0_sel:BYTE_0 src1_sel:DWORD
	s_mov_b64 s[4:5], 0
                                        ; implicit-def: $sgpr10
	s_and_saveexec_b64 s[8:9], s[6:7]
	s_xor_b64 s[6:7], exec, s[8:9]
	s_cbranch_execnz .LBB24_3821
; %bb.1773:
	s_or_saveexec_b64 s[6:7], s[6:7]
	v_mov_b32_e32 v4, s10
	s_xor_b64 exec, exec, s[6:7]
	s_cbranch_execnz .LBB24_3824
.LBB24_1774:
	s_or_b64 exec, exec, s[6:7]
	s_and_saveexec_b64 s[6:7], s[4:5]
	s_cbranch_execz .LBB24_1776
.LBB24_1775:
	v_bfe_u32 v4, v5, 8, 3
	v_ffbh_u32_e32 v7, v4
	v_min_u32_e32 v7, 32, v7
	v_lshrrev_b16_e32 v6, 3, v3
	v_subrev_u32_e32 v8, 28, v7
	v_and_b32_e32 v6, 15, v6
	v_lshlrev_b32_e32 v3, v8, v3
	v_sub_u32_e32 v7, 29, v7
	v_and_b32_e32 v3, 7, v3
	v_cmp_eq_u16_e32 vcc, 0, v6
	v_cndmask_b32_e32 v3, v4, v3, vcc
	v_cndmask_b32_e32 v4, v6, v7, vcc
	v_lshlrev_b32_e32 v6, 16, v5
	v_mov_b32_e32 v7, 0x3b800000
	v_lshlrev_b32_e32 v3, 20, v3
	v_and_b32_e32 v6, 0x80000000, v6
	v_lshl_add_u32 v4, v4, 23, v7
	v_or3_b32 v4, v6, v4, v3
.LBB24_1776:
	s_or_b64 exec, exec, s[6:7]
	s_nop 0
	v_mfma_f32_16x16x4f32 a[0:3], v2, v4, a[0:3]
	s_movk_i32 s4, 0xff
	v_and_b32_sdwa v3, v9, s4 dst_sel:DWORD dst_unused:UNUSED_PAD src0_sel:WORD_1 src1_sel:DWORD
	s_movk_i32 s4, 0x7f
	v_cmp_lt_i16_e32 vcc, s4, v3
	s_mov_b64 s[4:5], 0
                                        ; implicit-def: $sgpr10
	s_and_saveexec_b64 s[6:7], vcc
	s_xor_b64 s[6:7], exec, s[6:7]
	s_cbranch_execnz .LBB24_3825
; %bb.1777:
	s_or_saveexec_b64 s[6:7], s[6:7]
	v_mov_b32_e32 v2, s10
	s_xor_b64 exec, exec, s[6:7]
	s_cbranch_execnz .LBB24_3828
.LBB24_1778:
	s_or_b64 exec, exec, s[6:7]
	s_and_saveexec_b64 s[6:7], s[4:5]
	s_cbranch_execz .LBB24_1780
.LBB24_1779:
	v_bfe_u32 v2, v9, 16, 3
	v_ffbh_u32_e32 v6, v2
	v_min_u32_e32 v6, 32, v6
	v_lshrrev_b32_e32 v3, 19, v9
	v_subrev_u32_e32 v7, 28, v6
	v_and_b32_e32 v3, 15, v3
	v_lshlrev_b32_sdwa v7, v7, v9 dst_sel:DWORD dst_unused:UNUSED_PAD src0_sel:DWORD src1_sel:WORD_1
	v_bfe_u32 v4, v9, 19, 4
	v_sub_u32_e32 v6, 29, v6
	v_and_b32_e32 v7, 7, v7
	v_cmp_eq_u16_e32 vcc, 0, v3
	v_cndmask_b32_e32 v2, v2, v7, vcc
	v_cndmask_b32_e32 v3, v4, v6, vcc
	v_lshlrev_b32_e32 v4, 8, v9
	v_mov_b32_e32 v6, 0x3b800000
	v_lshlrev_b32_e32 v2, 20, v2
	v_and_b32_e32 v4, 0x80000000, v4
	v_lshl_add_u32 v3, v3, 23, v6
	v_or3_b32 v2, v4, v3, v2
.LBB24_1780:
	s_or_b64 exec, exec, s[6:7]
	s_movk_i32 s4, 0xff
	v_and_b32_sdwa v3, v5, s4 dst_sel:DWORD dst_unused:UNUSED_PAD src0_sel:WORD_1 src1_sel:DWORD
	s_movk_i32 s4, 0x7f
	v_cmp_lt_i16_e32 vcc, s4, v3
	s_mov_b64 s[4:5], 0
                                        ; implicit-def: $sgpr10
	s_and_saveexec_b64 s[6:7], vcc
	s_xor_b64 s[6:7], exec, s[6:7]
	s_cbranch_execnz .LBB24_3829
; %bb.1781:
	s_or_saveexec_b64 s[6:7], s[6:7]
	v_mov_b32_e32 v4, s10
	s_xor_b64 exec, exec, s[6:7]
	s_cbranch_execnz .LBB24_3832
.LBB24_1782:
	s_or_b64 exec, exec, s[6:7]
	s_and_saveexec_b64 s[6:7], s[4:5]
	s_cbranch_execz .LBB24_1784
.LBB24_1783:
	v_bfe_u32 v3, v5, 16, 3
	v_ffbh_u32_e32 v7, v3
	v_min_u32_e32 v7, 32, v7
	v_lshrrev_b32_e32 v4, 19, v5
	v_subrev_u32_e32 v8, 28, v7
	v_and_b32_e32 v4, 15, v4
	v_lshlrev_b32_sdwa v8, v8, v5 dst_sel:DWORD dst_unused:UNUSED_PAD src0_sel:DWORD src1_sel:WORD_1
	v_bfe_u32 v6, v5, 19, 4
	v_sub_u32_e32 v7, 29, v7
	v_and_b32_e32 v8, 7, v8
	v_cmp_eq_u16_e32 vcc, 0, v4
	v_cndmask_b32_e32 v3, v3, v8, vcc
	v_cndmask_b32_e32 v4, v6, v7, vcc
	v_lshlrev_b32_e32 v6, 8, v5
	v_mov_b32_e32 v7, 0x3b800000
	v_lshlrev_b32_e32 v3, 20, v3
	v_and_b32_e32 v6, 0x80000000, v6
	v_lshl_add_u32 v4, v4, 23, v7
	v_or3_b32 v4, v6, v4, v3
.LBB24_1784:
	s_or_b64 exec, exec, s[6:7]
	s_nop 0
	v_mfma_f32_16x16x4f32 a[0:3], v2, v4, a[0:3]
	s_movk_i32 s4, 0x7f
	v_cmp_gt_i16_sdwa s[6:7], v9, s4 src0_sel:BYTE_3 src1_sel:DWORD
	s_mov_b64 s[4:5], 0
                                        ; implicit-def: $sgpr10
	s_and_saveexec_b64 s[8:9], s[6:7]
	s_xor_b64 s[6:7], exec, s[8:9]
	s_cbranch_execnz .LBB24_3833
; %bb.1785:
	s_or_saveexec_b64 s[6:7], s[6:7]
	v_mov_b32_e32 v2, s10
	s_xor_b64 exec, exec, s[6:7]
	s_cbranch_execnz .LBB24_3836
.LBB24_1786:
	s_or_b64 exec, exec, s[6:7]
	s_and_saveexec_b64 s[6:7], s[4:5]
	s_cbranch_execz .LBB24_1788
.LBB24_1787:
	v_bfe_u32 v2, v9, 24, 3
	v_ffbh_u32_e32 v7, v2
	v_min_u32_e32 v7, 32, v7
	v_lshrrev_b32_e32 v4, 27, v9
	v_subrev_u32_e32 v8, 28, v7
	v_and_b32_e32 v4, 15, v4
	v_lshlrev_b32_sdwa v8, v8, v9 dst_sel:DWORD dst_unused:UNUSED_PAD src0_sel:DWORD src1_sel:BYTE_3
	v_bfe_u32 v6, v9, 27, 4
	v_sub_u32_e32 v7, 29, v7
	v_and_b32_e32 v8, 7, v8
	v_cmp_eq_u16_e32 vcc, 0, v4
	v_cndmask_b32_e32 v2, v2, v8, vcc
	v_cndmask_b32_e32 v4, v6, v7, vcc
	v_mov_b32_e32 v6, 0x3b800000
	v_and_b32_e32 v3, 0x80000000, v9
	v_lshlrev_b32_e32 v2, 20, v2
	v_lshl_add_u32 v4, v4, 23, v6
	v_or3_b32 v2, v3, v4, v2
.LBB24_1788:
	s_or_b64 exec, exec, s[6:7]
	s_movk_i32 s4, 0x7f
	v_cmp_gt_i16_sdwa s[6:7], v5, s4 src0_sel:BYTE_3 src1_sel:DWORD
	s_mov_b64 s[4:5], 0
                                        ; implicit-def: $sgpr10
	s_and_saveexec_b64 s[8:9], s[6:7]
	s_xor_b64 s[6:7], exec, s[8:9]
	s_cbranch_execnz .LBB24_3837
; %bb.1789:
	s_or_saveexec_b64 s[6:7], s[6:7]
	v_mov_b32_e32 v3, s10
	s_xor_b64 exec, exec, s[6:7]
	s_cbranch_execnz .LBB24_3840
.LBB24_1790:
	s_or_b64 exec, exec, s[6:7]
	s_and_saveexec_b64 s[6:7], s[4:5]
	s_cbranch_execz .LBB24_1792
.LBB24_1791:
	v_bfe_u32 v3, v5, 24, 3
	v_ffbh_u32_e32 v8, v3
	v_min_u32_e32 v8, 32, v8
	v_lshrrev_b32_e32 v6, 27, v5
	v_subrev_u32_e32 v9, 28, v8
	v_and_b32_e32 v4, 0x80000000, v5
	v_and_b32_e32 v6, 15, v6
	v_bfe_u32 v7, v5, 27, 4
	v_lshlrev_b32_sdwa v5, v9, v5 dst_sel:DWORD dst_unused:UNUSED_PAD src0_sel:DWORD src1_sel:BYTE_3
	v_sub_u32_e32 v8, 29, v8
	v_and_b32_e32 v5, 7, v5
	v_cmp_eq_u16_e32 vcc, 0, v6
	v_cndmask_b32_e32 v3, v3, v5, vcc
	v_cndmask_b32_e32 v5, v7, v8, vcc
	v_mov_b32_e32 v6, 0x3b800000
	v_lshlrev_b32_e32 v3, 20, v3
	v_lshl_add_u32 v5, v5, 23, v6
	v_or3_b32 v3, v4, v5, v3
.LBB24_1792:
	s_or_b64 exec, exec, s[6:7]
	s_nop 0
	v_mfma_f32_16x16x4f32 a[0:3], v2, v3, a[0:3]
	s_movk_i32 s4, 0x7f
                                        ; implicit-def: $sgpr10
	s_nop 7
	s_nop 1
	flat_store_dwordx4 v[18:19], a[0:3] offset:864
	flat_load_dwordx4 v[18:21], v[0:1] offset:8
	s_nop 0
	flat_load_dwordx2 v[16:17], v[0:1] offset:24
	s_waitcnt vmcnt(0) lgkmcnt(0)
	flat_load_dwordx4 v[12:15], v[18:19]
	flat_load_dwordx4 v[4:7], v[18:19] offset:16
	flat_load_dwordx4 v[8:11], v[20:21] offset:224
	;; [unrolled: 1-line block ×3, first 2 shown]
	s_waitcnt vmcnt(0) lgkmcnt(0)
	v_cmp_gt_i16_sdwa s[6:7], v12, s4 src0_sel:BYTE_0 src1_sel:DWORD
	s_mov_b64 s[4:5], 0
	s_and_saveexec_b64 s[8:9], s[6:7]
	s_xor_b64 s[6:7], exec, s[8:9]
	s_cbranch_execnz .LBB24_3841
; %bb.1793:
	s_or_saveexec_b64 s[6:7], s[6:7]
	v_mov_b32_e32 v18, s10
	s_xor_b64 exec, exec, s[6:7]
	s_cbranch_execnz .LBB24_3844
.LBB24_1794:
	s_or_b64 exec, exec, s[6:7]
	s_and_saveexec_b64 s[6:7], s[4:5]
	s_cbranch_execz .LBB24_1796
.LBB24_1795:
	v_and_b32_e32 v18, 7, v12
	v_ffbh_u32_e32 v20, v18
	v_min_u32_e32 v20, 32, v20
	v_lshrrev_b16_e32 v19, 3, v12
	v_subrev_u32_e32 v21, 28, v20
	v_and_b32_e32 v19, 15, v19
	v_lshlrev_b32_e32 v21, v21, v12
	v_sub_u32_e32 v20, 29, v20
	v_and_b32_e32 v21, 7, v21
	v_cmp_eq_u16_e32 vcc, 0, v19
	v_cndmask_b32_e32 v18, v18, v21, vcc
	v_cndmask_b32_e32 v19, v19, v20, vcc
	v_lshlrev_b32_e32 v20, 24, v12
	v_mov_b32_e32 v21, 0x3b800000
	v_lshlrev_b32_e32 v18, 20, v18
	v_and_b32_e32 v20, 0x80000000, v20
	v_lshl_add_u32 v19, v19, 23, v21
	v_or3_b32 v18, v20, v19, v18
.LBB24_1796:
	s_or_b64 exec, exec, s[6:7]
	s_movk_i32 s4, 0x7f
	v_cmp_gt_i16_sdwa s[6:7], v8, s4 src0_sel:BYTE_0 src1_sel:DWORD
	s_mov_b64 s[4:5], 0
                                        ; implicit-def: $sgpr10
	s_and_saveexec_b64 s[8:9], s[6:7]
	s_xor_b64 s[6:7], exec, s[8:9]
	s_cbranch_execnz .LBB24_3845
; %bb.1797:
	s_or_saveexec_b64 s[6:7], s[6:7]
	v_mov_b32_e32 v19, s10
	s_xor_b64 exec, exec, s[6:7]
	s_cbranch_execnz .LBB24_3848
.LBB24_1798:
	s_or_b64 exec, exec, s[6:7]
	s_and_saveexec_b64 s[6:7], s[4:5]
	s_cbranch_execz .LBB24_1800
.LBB24_1799:
	v_and_b32_e32 v19, 7, v8
	v_ffbh_u32_e32 v21, v19
	v_min_u32_e32 v21, 32, v21
	v_lshrrev_b16_e32 v20, 3, v8
	v_subrev_u32_e32 v22, 28, v21
	v_and_b32_e32 v20, 15, v20
	v_lshlrev_b32_e32 v22, v22, v8
	v_sub_u32_e32 v21, 29, v21
	v_and_b32_e32 v22, 7, v22
	v_cmp_eq_u16_e32 vcc, 0, v20
	v_cndmask_b32_e32 v19, v19, v22, vcc
	v_cndmask_b32_e32 v20, v20, v21, vcc
	v_lshlrev_b32_e32 v21, 24, v8
	v_mov_b32_e32 v22, 0x3b800000
	v_lshlrev_b32_e32 v19, 20, v19
	v_and_b32_e32 v21, 0x80000000, v21
	v_lshl_add_u32 v20, v20, 23, v22
	v_or3_b32 v19, v21, v20, v19
.LBB24_1800:
	s_or_b64 exec, exec, s[6:7]
	flat_load_dwordx4 a[0:3], v[16:17] offset:880
	s_movk_i32 s4, 0x7f
                                        ; implicit-def: $sgpr10
	s_waitcnt vmcnt(0) lgkmcnt(0)
	v_mfma_f32_16x16x4f32 a[0:3], v18, v19, a[0:3]
	v_lshrrev_b32_e32 v19, 8, v12
	v_cmp_gt_i16_sdwa s[6:7], v19, s4 src0_sel:BYTE_0 src1_sel:DWORD
	s_mov_b64 s[4:5], 0
	s_and_saveexec_b64 s[8:9], s[6:7]
	s_xor_b64 s[6:7], exec, s[8:9]
	s_cbranch_execnz .LBB24_3849
; %bb.1801:
	s_or_saveexec_b64 s[6:7], s[6:7]
	v_mov_b32_e32 v18, s10
	s_xor_b64 exec, exec, s[6:7]
	s_cbranch_execnz .LBB24_3852
.LBB24_1802:
	s_or_b64 exec, exec, s[6:7]
	s_and_saveexec_b64 s[6:7], s[4:5]
	s_cbranch_execz .LBB24_1804
.LBB24_1803:
	v_bfe_u32 v18, v12, 8, 3
	v_ffbh_u32_e32 v21, v18
	v_min_u32_e32 v21, 32, v21
	v_lshrrev_b16_e32 v20, 3, v19
	v_subrev_u32_e32 v22, 28, v21
	v_and_b32_e32 v20, 15, v20
	v_lshlrev_b32_e32 v19, v22, v19
	v_sub_u32_e32 v21, 29, v21
	v_and_b32_e32 v19, 7, v19
	v_cmp_eq_u16_e32 vcc, 0, v20
	v_cndmask_b32_e32 v18, v18, v19, vcc
	v_cndmask_b32_e32 v19, v20, v21, vcc
	v_lshlrev_b32_e32 v20, 16, v12
	v_mov_b32_e32 v21, 0x3b800000
	v_lshlrev_b32_e32 v18, 20, v18
	v_and_b32_e32 v20, 0x80000000, v20
	v_lshl_add_u32 v19, v19, 23, v21
	v_or3_b32 v18, v20, v19, v18
.LBB24_1804:
	s_or_b64 exec, exec, s[6:7]
	v_lshrrev_b32_e32 v19, 8, v8
	s_movk_i32 s4, 0x7f
	v_cmp_gt_i16_sdwa s[6:7], v19, s4 src0_sel:BYTE_0 src1_sel:DWORD
	s_mov_b64 s[4:5], 0
                                        ; implicit-def: $sgpr10
	s_and_saveexec_b64 s[8:9], s[6:7]
	s_xor_b64 s[6:7], exec, s[8:9]
	s_cbranch_execnz .LBB24_3853
; %bb.1805:
	s_or_saveexec_b64 s[6:7], s[6:7]
	v_mov_b32_e32 v20, s10
	s_xor_b64 exec, exec, s[6:7]
	s_cbranch_execnz .LBB24_3856
.LBB24_1806:
	s_or_b64 exec, exec, s[6:7]
	s_and_saveexec_b64 s[6:7], s[4:5]
	s_cbranch_execz .LBB24_1808
.LBB24_1807:
	v_bfe_u32 v20, v8, 8, 3
	v_ffbh_u32_e32 v22, v20
	v_min_u32_e32 v22, 32, v22
	v_lshrrev_b16_e32 v21, 3, v19
	v_subrev_u32_e32 v23, 28, v22
	v_and_b32_e32 v21, 15, v21
	v_lshlrev_b32_e32 v19, v23, v19
	v_sub_u32_e32 v22, 29, v22
	v_and_b32_e32 v19, 7, v19
	v_cmp_eq_u16_e32 vcc, 0, v21
	v_cndmask_b32_e32 v19, v20, v19, vcc
	v_cndmask_b32_e32 v20, v21, v22, vcc
	v_lshlrev_b32_e32 v21, 16, v8
	v_mov_b32_e32 v22, 0x3b800000
	v_lshlrev_b32_e32 v19, 20, v19
	v_and_b32_e32 v21, 0x80000000, v21
	v_lshl_add_u32 v20, v20, 23, v22
	v_or3_b32 v20, v21, v20, v19
.LBB24_1808:
	s_or_b64 exec, exec, s[6:7]
	s_nop 0
	v_mfma_f32_16x16x4f32 a[0:3], v18, v20, a[0:3]
	s_movk_i32 s4, 0xff
	v_and_b32_sdwa v19, v12, s4 dst_sel:DWORD dst_unused:UNUSED_PAD src0_sel:WORD_1 src1_sel:DWORD
	s_movk_i32 s4, 0x7f
	v_cmp_lt_i16_e32 vcc, s4, v19
	s_mov_b64 s[4:5], 0
                                        ; implicit-def: $sgpr10
	s_and_saveexec_b64 s[6:7], vcc
	s_xor_b64 s[6:7], exec, s[6:7]
	s_cbranch_execnz .LBB24_3857
; %bb.1809:
	s_or_saveexec_b64 s[6:7], s[6:7]
	v_mov_b32_e32 v18, s10
	s_xor_b64 exec, exec, s[6:7]
	s_cbranch_execnz .LBB24_3860
.LBB24_1810:
	s_or_b64 exec, exec, s[6:7]
	s_and_saveexec_b64 s[6:7], s[4:5]
	s_cbranch_execz .LBB24_1812
.LBB24_1811:
	v_bfe_u32 v18, v12, 16, 3
	v_ffbh_u32_e32 v21, v18
	v_min_u32_e32 v21, 32, v21
	v_lshrrev_b32_e32 v19, 19, v12
	v_subrev_u32_e32 v22, 28, v21
	v_and_b32_e32 v19, 15, v19
	v_lshlrev_b32_sdwa v22, v22, v12 dst_sel:DWORD dst_unused:UNUSED_PAD src0_sel:DWORD src1_sel:WORD_1
	v_bfe_u32 v20, v12, 19, 4
	v_sub_u32_e32 v21, 29, v21
	v_and_b32_e32 v22, 7, v22
	v_cmp_eq_u16_e32 vcc, 0, v19
	v_cndmask_b32_e32 v18, v18, v22, vcc
	v_cndmask_b32_e32 v19, v20, v21, vcc
	v_lshlrev_b32_e32 v20, 8, v12
	v_mov_b32_e32 v21, 0x3b800000
	v_lshlrev_b32_e32 v18, 20, v18
	v_and_b32_e32 v20, 0x80000000, v20
	v_lshl_add_u32 v19, v19, 23, v21
	v_or3_b32 v18, v20, v19, v18
.LBB24_1812:
	s_or_b64 exec, exec, s[6:7]
	s_movk_i32 s4, 0xff
	v_and_b32_sdwa v19, v8, s4 dst_sel:DWORD dst_unused:UNUSED_PAD src0_sel:WORD_1 src1_sel:DWORD
	s_movk_i32 s4, 0x7f
	v_cmp_lt_i16_e32 vcc, s4, v19
	s_mov_b64 s[4:5], 0
                                        ; implicit-def: $sgpr10
	s_and_saveexec_b64 s[6:7], vcc
	s_xor_b64 s[6:7], exec, s[6:7]
	s_cbranch_execnz .LBB24_3861
; %bb.1813:
	s_or_saveexec_b64 s[6:7], s[6:7]
	v_mov_b32_e32 v20, s10
	s_xor_b64 exec, exec, s[6:7]
	s_cbranch_execnz .LBB24_3864
.LBB24_1814:
	s_or_b64 exec, exec, s[6:7]
	s_and_saveexec_b64 s[6:7], s[4:5]
	s_cbranch_execz .LBB24_1816
.LBB24_1815:
	v_bfe_u32 v19, v8, 16, 3
	v_ffbh_u32_e32 v22, v19
	v_min_u32_e32 v22, 32, v22
	v_lshrrev_b32_e32 v20, 19, v8
	v_subrev_u32_e32 v23, 28, v22
	v_and_b32_e32 v20, 15, v20
	v_lshlrev_b32_sdwa v23, v23, v8 dst_sel:DWORD dst_unused:UNUSED_PAD src0_sel:DWORD src1_sel:WORD_1
	v_bfe_u32 v21, v8, 19, 4
	v_sub_u32_e32 v22, 29, v22
	v_and_b32_e32 v23, 7, v23
	v_cmp_eq_u16_e32 vcc, 0, v20
	v_cndmask_b32_e32 v19, v19, v23, vcc
	v_cndmask_b32_e32 v20, v21, v22, vcc
	v_lshlrev_b32_e32 v21, 8, v8
	v_mov_b32_e32 v22, 0x3b800000
	v_lshlrev_b32_e32 v19, 20, v19
	v_and_b32_e32 v21, 0x80000000, v21
	v_lshl_add_u32 v20, v20, 23, v22
	v_or3_b32 v20, v21, v20, v19
.LBB24_1816:
	s_or_b64 exec, exec, s[6:7]
	s_nop 0
	v_mfma_f32_16x16x4f32 a[0:3], v18, v20, a[0:3]
	s_movk_i32 s4, 0x7f
	v_cmp_gt_i16_sdwa s[6:7], v12, s4 src0_sel:BYTE_3 src1_sel:DWORD
	s_mov_b64 s[4:5], 0
                                        ; implicit-def: $sgpr10
	s_and_saveexec_b64 s[8:9], s[6:7]
	s_xor_b64 s[6:7], exec, s[8:9]
	s_cbranch_execnz .LBB24_3865
; %bb.1817:
	s_or_saveexec_b64 s[6:7], s[6:7]
	v_mov_b32_e32 v18, s10
	s_xor_b64 exec, exec, s[6:7]
	s_cbranch_execnz .LBB24_3868
.LBB24_1818:
	s_or_b64 exec, exec, s[6:7]
	s_and_saveexec_b64 s[6:7], s[4:5]
	s_cbranch_execz .LBB24_1820
.LBB24_1819:
	v_bfe_u32 v18, v12, 24, 3
	v_ffbh_u32_e32 v22, v18
	v_min_u32_e32 v22, 32, v22
	v_lshrrev_b32_e32 v20, 27, v12
	v_subrev_u32_e32 v23, 28, v22
	v_and_b32_e32 v19, 0x80000000, v12
	v_and_b32_e32 v20, 15, v20
	v_bfe_u32 v21, v12, 27, 4
	v_lshlrev_b32_sdwa v12, v23, v12 dst_sel:DWORD dst_unused:UNUSED_PAD src0_sel:DWORD src1_sel:BYTE_3
	v_sub_u32_e32 v22, 29, v22
	v_and_b32_e32 v12, 7, v12
	v_cmp_eq_u16_e32 vcc, 0, v20
	v_cndmask_b32_e32 v12, v18, v12, vcc
	v_cndmask_b32_e32 v18, v21, v22, vcc
	v_mov_b32_e32 v20, 0x3b800000
	v_lshlrev_b32_e32 v12, 20, v12
	v_lshl_add_u32 v18, v18, 23, v20
	v_or3_b32 v18, v19, v18, v12
.LBB24_1820:
	s_or_b64 exec, exec, s[6:7]
	s_movk_i32 s4, 0x7f
	v_cmp_gt_i16_sdwa s[6:7], v8, s4 src0_sel:BYTE_3 src1_sel:DWORD
	s_mov_b64 s[4:5], 0
                                        ; implicit-def: $sgpr10
	s_and_saveexec_b64 s[8:9], s[6:7]
	s_xor_b64 s[6:7], exec, s[8:9]
	s_cbranch_execnz .LBB24_3869
; %bb.1821:
	s_or_saveexec_b64 s[6:7], s[6:7]
	v_mov_b32_e32 v12, s10
	s_xor_b64 exec, exec, s[6:7]
	s_cbranch_execnz .LBB24_3872
.LBB24_1822:
	s_or_b64 exec, exec, s[6:7]
	s_and_saveexec_b64 s[6:7], s[4:5]
	s_cbranch_execz .LBB24_1824
.LBB24_1823:
	v_bfe_u32 v12, v8, 24, 3
	v_ffbh_u32_e32 v22, v12
	v_min_u32_e32 v22, 32, v22
	v_lshrrev_b32_e32 v20, 27, v8
	v_subrev_u32_e32 v23, 28, v22
	v_and_b32_e32 v19, 0x80000000, v8
	v_and_b32_e32 v20, 15, v20
	v_bfe_u32 v21, v8, 27, 4
	v_lshlrev_b32_sdwa v8, v23, v8 dst_sel:DWORD dst_unused:UNUSED_PAD src0_sel:DWORD src1_sel:BYTE_3
	v_sub_u32_e32 v22, 29, v22
	v_and_b32_e32 v8, 7, v8
	v_cmp_eq_u16_e32 vcc, 0, v20
	v_cndmask_b32_e32 v8, v12, v8, vcc
	v_cndmask_b32_e32 v12, v21, v22, vcc
	v_mov_b32_e32 v20, 0x3b800000
	v_lshlrev_b32_e32 v8, 20, v8
	v_lshl_add_u32 v12, v12, 23, v20
	v_or3_b32 v12, v19, v12, v8
.LBB24_1824:
	s_or_b64 exec, exec, s[6:7]
	s_nop 0
	v_mfma_f32_16x16x4f32 a[0:3], v18, v12, a[0:3]
	s_movk_i32 s4, 0x7f
	v_cmp_gt_i16_sdwa s[6:7], v13, s4 src0_sel:BYTE_0 src1_sel:DWORD
	s_mov_b64 s[4:5], 0
                                        ; implicit-def: $sgpr10
	s_and_saveexec_b64 s[8:9], s[6:7]
	s_xor_b64 s[6:7], exec, s[8:9]
	s_cbranch_execnz .LBB24_3873
; %bb.1825:
	s_or_saveexec_b64 s[6:7], s[6:7]
	v_mov_b32_e32 v8, s10
	s_xor_b64 exec, exec, s[6:7]
	s_cbranch_execnz .LBB24_3876
.LBB24_1826:
	s_or_b64 exec, exec, s[6:7]
	s_and_saveexec_b64 s[6:7], s[4:5]
	s_cbranch_execz .LBB24_1828
.LBB24_1827:
	v_and_b32_e32 v8, 7, v13
	v_ffbh_u32_e32 v18, v8
	v_min_u32_e32 v18, 32, v18
	v_lshrrev_b16_e32 v12, 3, v13
	v_subrev_u32_e32 v19, 28, v18
	v_and_b32_e32 v12, 15, v12
	v_lshlrev_b32_e32 v19, v19, v13
	v_sub_u32_e32 v18, 29, v18
	v_and_b32_e32 v19, 7, v19
	v_cmp_eq_u16_e32 vcc, 0, v12
	v_cndmask_b32_e32 v8, v8, v19, vcc
	v_cndmask_b32_e32 v12, v12, v18, vcc
	v_lshlrev_b32_e32 v18, 24, v13
	v_mov_b32_e32 v19, 0x3b800000
	v_lshlrev_b32_e32 v8, 20, v8
	v_and_b32_e32 v18, 0x80000000, v18
	v_lshl_add_u32 v12, v12, 23, v19
	v_or3_b32 v8, v18, v12, v8
.LBB24_1828:
	s_or_b64 exec, exec, s[6:7]
	s_movk_i32 s4, 0x7f
	v_cmp_gt_i16_sdwa s[6:7], v9, s4 src0_sel:BYTE_0 src1_sel:DWORD
	s_mov_b64 s[4:5], 0
                                        ; implicit-def: $sgpr10
	s_and_saveexec_b64 s[8:9], s[6:7]
	s_xor_b64 s[6:7], exec, s[8:9]
	s_cbranch_execnz .LBB24_3877
; %bb.1829:
	s_or_saveexec_b64 s[6:7], s[6:7]
	v_mov_b32_e32 v12, s10
	s_xor_b64 exec, exec, s[6:7]
	s_cbranch_execnz .LBB24_3880
.LBB24_1830:
	s_or_b64 exec, exec, s[6:7]
	s_and_saveexec_b64 s[6:7], s[4:5]
	s_cbranch_execz .LBB24_1832
.LBB24_1831:
	v_and_b32_e32 v12, 7, v9
	v_ffbh_u32_e32 v19, v12
	v_min_u32_e32 v19, 32, v19
	v_lshrrev_b16_e32 v18, 3, v9
	v_subrev_u32_e32 v20, 28, v19
	v_and_b32_e32 v18, 15, v18
	v_lshlrev_b32_e32 v20, v20, v9
	v_sub_u32_e32 v19, 29, v19
	v_and_b32_e32 v20, 7, v20
	v_cmp_eq_u16_e32 vcc, 0, v18
	v_cndmask_b32_e32 v12, v12, v20, vcc
	v_cndmask_b32_e32 v18, v18, v19, vcc
	v_lshlrev_b32_e32 v19, 24, v9
	v_mov_b32_e32 v20, 0x3b800000
	v_lshlrev_b32_e32 v12, 20, v12
	v_and_b32_e32 v19, 0x80000000, v19
	v_lshl_add_u32 v18, v18, 23, v20
	v_or3_b32 v12, v19, v18, v12
.LBB24_1832:
	s_or_b64 exec, exec, s[6:7]
	s_nop 0
	v_mfma_f32_16x16x4f32 a[0:3], v8, v12, a[0:3]
	v_lshrrev_b32_e32 v12, 8, v13
	s_movk_i32 s4, 0x7f
	v_cmp_gt_i16_sdwa s[6:7], v12, s4 src0_sel:BYTE_0 src1_sel:DWORD
	s_mov_b64 s[4:5], 0
                                        ; implicit-def: $sgpr10
	s_and_saveexec_b64 s[8:9], s[6:7]
	s_xor_b64 s[6:7], exec, s[8:9]
	s_cbranch_execnz .LBB24_3881
; %bb.1833:
	s_or_saveexec_b64 s[6:7], s[6:7]
	v_mov_b32_e32 v8, s10
	s_xor_b64 exec, exec, s[6:7]
	s_cbranch_execnz .LBB24_3884
.LBB24_1834:
	s_or_b64 exec, exec, s[6:7]
	s_and_saveexec_b64 s[6:7], s[4:5]
	s_cbranch_execz .LBB24_1836
.LBB24_1835:
	v_bfe_u32 v8, v13, 8, 3
	v_ffbh_u32_e32 v19, v8
	v_min_u32_e32 v19, 32, v19
	v_lshrrev_b16_e32 v18, 3, v12
	v_subrev_u32_e32 v20, 28, v19
	v_and_b32_e32 v18, 15, v18
	v_lshlrev_b32_e32 v12, v20, v12
	v_sub_u32_e32 v19, 29, v19
	v_and_b32_e32 v12, 7, v12
	v_cmp_eq_u16_e32 vcc, 0, v18
	v_cndmask_b32_e32 v8, v8, v12, vcc
	v_cndmask_b32_e32 v12, v18, v19, vcc
	v_lshlrev_b32_e32 v18, 16, v13
	v_mov_b32_e32 v19, 0x3b800000
	v_lshlrev_b32_e32 v8, 20, v8
	v_and_b32_e32 v18, 0x80000000, v18
	v_lshl_add_u32 v12, v12, 23, v19
	v_or3_b32 v8, v18, v12, v8
.LBB24_1836:
	s_or_b64 exec, exec, s[6:7]
	v_lshrrev_b32_e32 v12, 8, v9
	s_movk_i32 s4, 0x7f
	v_cmp_gt_i16_sdwa s[6:7], v12, s4 src0_sel:BYTE_0 src1_sel:DWORD
	s_mov_b64 s[4:5], 0
                                        ; implicit-def: $sgpr10
	s_and_saveexec_b64 s[8:9], s[6:7]
	s_xor_b64 s[6:7], exec, s[8:9]
	s_cbranch_execnz .LBB24_3885
; %bb.1837:
	s_or_saveexec_b64 s[6:7], s[6:7]
	v_mov_b32_e32 v18, s10
	s_xor_b64 exec, exec, s[6:7]
	s_cbranch_execnz .LBB24_3888
.LBB24_1838:
	s_or_b64 exec, exec, s[6:7]
	s_and_saveexec_b64 s[6:7], s[4:5]
	s_cbranch_execz .LBB24_1840
.LBB24_1839:
	v_bfe_u32 v18, v9, 8, 3
	v_ffbh_u32_e32 v20, v18
	v_min_u32_e32 v20, 32, v20
	v_lshrrev_b16_e32 v19, 3, v12
	v_subrev_u32_e32 v21, 28, v20
	v_and_b32_e32 v19, 15, v19
	v_lshlrev_b32_e32 v12, v21, v12
	v_sub_u32_e32 v20, 29, v20
	v_and_b32_e32 v12, 7, v12
	v_cmp_eq_u16_e32 vcc, 0, v19
	v_cndmask_b32_e32 v12, v18, v12, vcc
	v_cndmask_b32_e32 v18, v19, v20, vcc
	v_lshlrev_b32_e32 v19, 16, v9
	v_mov_b32_e32 v20, 0x3b800000
	v_lshlrev_b32_e32 v12, 20, v12
	v_and_b32_e32 v19, 0x80000000, v19
	v_lshl_add_u32 v18, v18, 23, v20
	v_or3_b32 v18, v19, v18, v12
.LBB24_1840:
	s_or_b64 exec, exec, s[6:7]
	s_nop 0
	v_mfma_f32_16x16x4f32 a[0:3], v8, v18, a[0:3]
	s_movk_i32 s4, 0xff
	v_and_b32_sdwa v12, v13, s4 dst_sel:DWORD dst_unused:UNUSED_PAD src0_sel:WORD_1 src1_sel:DWORD
	s_movk_i32 s4, 0x7f
	v_cmp_lt_i16_e32 vcc, s4, v12
	s_mov_b64 s[4:5], 0
                                        ; implicit-def: $sgpr10
	s_and_saveexec_b64 s[6:7], vcc
	s_xor_b64 s[6:7], exec, s[6:7]
	s_cbranch_execnz .LBB24_3889
; %bb.1841:
	s_or_saveexec_b64 s[6:7], s[6:7]
	v_mov_b32_e32 v8, s10
	s_xor_b64 exec, exec, s[6:7]
	s_cbranch_execnz .LBB24_3892
.LBB24_1842:
	s_or_b64 exec, exec, s[6:7]
	s_and_saveexec_b64 s[6:7], s[4:5]
	s_cbranch_execz .LBB24_1844
.LBB24_1843:
	v_bfe_u32 v8, v13, 16, 3
	v_ffbh_u32_e32 v19, v8
	v_min_u32_e32 v19, 32, v19
	v_lshrrev_b32_e32 v12, 19, v13
	v_subrev_u32_e32 v20, 28, v19
	v_and_b32_e32 v12, 15, v12
	v_lshlrev_b32_sdwa v20, v20, v13 dst_sel:DWORD dst_unused:UNUSED_PAD src0_sel:DWORD src1_sel:WORD_1
	v_bfe_u32 v18, v13, 19, 4
	v_sub_u32_e32 v19, 29, v19
	v_and_b32_e32 v20, 7, v20
	v_cmp_eq_u16_e32 vcc, 0, v12
	v_cndmask_b32_e32 v8, v8, v20, vcc
	v_cndmask_b32_e32 v12, v18, v19, vcc
	v_lshlrev_b32_e32 v18, 8, v13
	v_mov_b32_e32 v19, 0x3b800000
	v_lshlrev_b32_e32 v8, 20, v8
	v_and_b32_e32 v18, 0x80000000, v18
	v_lshl_add_u32 v12, v12, 23, v19
	v_or3_b32 v8, v18, v12, v8
.LBB24_1844:
	s_or_b64 exec, exec, s[6:7]
	s_movk_i32 s4, 0xff
	v_and_b32_sdwa v12, v9, s4 dst_sel:DWORD dst_unused:UNUSED_PAD src0_sel:WORD_1 src1_sel:DWORD
	s_movk_i32 s4, 0x7f
	v_cmp_lt_i16_e32 vcc, s4, v12
	s_mov_b64 s[4:5], 0
                                        ; implicit-def: $sgpr10
	s_and_saveexec_b64 s[6:7], vcc
	s_xor_b64 s[6:7], exec, s[6:7]
	s_cbranch_execnz .LBB24_3893
; %bb.1845:
	s_or_saveexec_b64 s[6:7], s[6:7]
	v_mov_b32_e32 v18, s10
	s_xor_b64 exec, exec, s[6:7]
	s_cbranch_execnz .LBB24_3896
.LBB24_1846:
	s_or_b64 exec, exec, s[6:7]
	s_and_saveexec_b64 s[6:7], s[4:5]
	s_cbranch_execz .LBB24_1848
.LBB24_1847:
	v_bfe_u32 v12, v9, 16, 3
	v_ffbh_u32_e32 v20, v12
	v_min_u32_e32 v20, 32, v20
	v_lshrrev_b32_e32 v18, 19, v9
	v_subrev_u32_e32 v21, 28, v20
	v_and_b32_e32 v18, 15, v18
	v_lshlrev_b32_sdwa v21, v21, v9 dst_sel:DWORD dst_unused:UNUSED_PAD src0_sel:DWORD src1_sel:WORD_1
	v_bfe_u32 v19, v9, 19, 4
	v_sub_u32_e32 v20, 29, v20
	v_and_b32_e32 v21, 7, v21
	v_cmp_eq_u16_e32 vcc, 0, v18
	v_cndmask_b32_e32 v12, v12, v21, vcc
	v_cndmask_b32_e32 v18, v19, v20, vcc
	v_lshlrev_b32_e32 v19, 8, v9
	v_mov_b32_e32 v20, 0x3b800000
	v_lshlrev_b32_e32 v12, 20, v12
	v_and_b32_e32 v19, 0x80000000, v19
	v_lshl_add_u32 v18, v18, 23, v20
	v_or3_b32 v18, v19, v18, v12
.LBB24_1848:
	s_or_b64 exec, exec, s[6:7]
	s_nop 0
	v_mfma_f32_16x16x4f32 a[0:3], v8, v18, a[0:3]
	s_movk_i32 s4, 0x7f
	v_cmp_gt_i16_sdwa s[6:7], v13, s4 src0_sel:BYTE_3 src1_sel:DWORD
	s_mov_b64 s[4:5], 0
                                        ; implicit-def: $sgpr10
	s_and_saveexec_b64 s[8:9], s[6:7]
	s_xor_b64 s[6:7], exec, s[8:9]
	s_cbranch_execnz .LBB24_3897
; %bb.1849:
	s_or_saveexec_b64 s[6:7], s[6:7]
	v_mov_b32_e32 v8, s10
	s_xor_b64 exec, exec, s[6:7]
	s_cbranch_execnz .LBB24_3900
.LBB24_1850:
	s_or_b64 exec, exec, s[6:7]
	s_and_saveexec_b64 s[6:7], s[4:5]
	s_cbranch_execz .LBB24_1852
.LBB24_1851:
	v_bfe_u32 v8, v13, 24, 3
	v_ffbh_u32_e32 v20, v8
	v_min_u32_e32 v20, 32, v20
	v_lshrrev_b32_e32 v18, 27, v13
	v_subrev_u32_e32 v21, 28, v20
	v_and_b32_e32 v12, 0x80000000, v13
	v_and_b32_e32 v18, 15, v18
	v_bfe_u32 v19, v13, 27, 4
	v_lshlrev_b32_sdwa v13, v21, v13 dst_sel:DWORD dst_unused:UNUSED_PAD src0_sel:DWORD src1_sel:BYTE_3
	v_sub_u32_e32 v20, 29, v20
	v_and_b32_e32 v13, 7, v13
	v_cmp_eq_u16_e32 vcc, 0, v18
	v_cndmask_b32_e32 v8, v8, v13, vcc
	v_cndmask_b32_e32 v13, v19, v20, vcc
	v_mov_b32_e32 v18, 0x3b800000
	v_lshlrev_b32_e32 v8, 20, v8
	v_lshl_add_u32 v13, v13, 23, v18
	v_or3_b32 v8, v12, v13, v8
.LBB24_1852:
	s_or_b64 exec, exec, s[6:7]
	s_movk_i32 s4, 0x7f
	v_cmp_gt_i16_sdwa s[6:7], v9, s4 src0_sel:BYTE_3 src1_sel:DWORD
	s_mov_b64 s[4:5], 0
                                        ; implicit-def: $sgpr10
	s_and_saveexec_b64 s[8:9], s[6:7]
	s_xor_b64 s[6:7], exec, s[8:9]
	s_cbranch_execnz .LBB24_3901
; %bb.1853:
	s_or_saveexec_b64 s[6:7], s[6:7]
	v_mov_b32_e32 v12, s10
	s_xor_b64 exec, exec, s[6:7]
	s_cbranch_execnz .LBB24_3904
.LBB24_1854:
	s_or_b64 exec, exec, s[6:7]
	s_and_saveexec_b64 s[6:7], s[4:5]
	s_cbranch_execz .LBB24_1856
.LBB24_1855:
	v_bfe_u32 v12, v9, 24, 3
	v_ffbh_u32_e32 v20, v12
	v_min_u32_e32 v20, 32, v20
	v_lshrrev_b32_e32 v18, 27, v9
	v_subrev_u32_e32 v21, 28, v20
	v_and_b32_e32 v13, 0x80000000, v9
	v_and_b32_e32 v18, 15, v18
	v_bfe_u32 v19, v9, 27, 4
	v_lshlrev_b32_sdwa v9, v21, v9 dst_sel:DWORD dst_unused:UNUSED_PAD src0_sel:DWORD src1_sel:BYTE_3
	v_sub_u32_e32 v20, 29, v20
	v_and_b32_e32 v9, 7, v9
	v_cmp_eq_u16_e32 vcc, 0, v18
	v_cndmask_b32_e32 v9, v12, v9, vcc
	v_cndmask_b32_e32 v12, v19, v20, vcc
	v_mov_b32_e32 v18, 0x3b800000
	v_lshlrev_b32_e32 v9, 20, v9
	v_lshl_add_u32 v12, v12, 23, v18
	v_or3_b32 v12, v13, v12, v9
.LBB24_1856:
	s_or_b64 exec, exec, s[6:7]
	s_nop 0
	v_mfma_f32_16x16x4f32 a[0:3], v8, v12, a[0:3]
	s_movk_i32 s4, 0x7f
	v_cmp_gt_i16_sdwa s[6:7], v14, s4 src0_sel:BYTE_0 src1_sel:DWORD
	s_mov_b64 s[4:5], 0
                                        ; implicit-def: $sgpr10
	s_and_saveexec_b64 s[8:9], s[6:7]
	s_xor_b64 s[6:7], exec, s[8:9]
	s_cbranch_execnz .LBB24_3905
; %bb.1857:
	s_or_saveexec_b64 s[6:7], s[6:7]
	v_mov_b32_e32 v8, s10
	s_xor_b64 exec, exec, s[6:7]
	s_cbranch_execnz .LBB24_3908
.LBB24_1858:
	s_or_b64 exec, exec, s[6:7]
	s_and_saveexec_b64 s[6:7], s[4:5]
	s_cbranch_execz .LBB24_1860
.LBB24_1859:
	v_and_b32_e32 v8, 7, v14
	v_ffbh_u32_e32 v12, v8
	v_min_u32_e32 v12, 32, v12
	v_lshrrev_b16_e32 v9, 3, v14
	v_subrev_u32_e32 v13, 28, v12
	v_and_b32_e32 v9, 15, v9
	v_lshlrev_b32_e32 v13, v13, v14
	v_sub_u32_e32 v12, 29, v12
	v_and_b32_e32 v13, 7, v13
	v_cmp_eq_u16_e32 vcc, 0, v9
	v_cndmask_b32_e32 v8, v8, v13, vcc
	v_cndmask_b32_e32 v9, v9, v12, vcc
	v_lshlrev_b32_e32 v12, 24, v14
	v_mov_b32_e32 v13, 0x3b800000
	v_lshlrev_b32_e32 v8, 20, v8
	v_and_b32_e32 v12, 0x80000000, v12
	v_lshl_add_u32 v9, v9, 23, v13
	v_or3_b32 v8, v12, v9, v8
.LBB24_1860:
	s_or_b64 exec, exec, s[6:7]
	s_movk_i32 s4, 0x7f
	v_cmp_gt_i16_sdwa s[6:7], v10, s4 src0_sel:BYTE_0 src1_sel:DWORD
	s_mov_b64 s[4:5], 0
                                        ; implicit-def: $sgpr10
	s_and_saveexec_b64 s[8:9], s[6:7]
	s_xor_b64 s[6:7], exec, s[8:9]
	s_cbranch_execnz .LBB24_3909
; %bb.1861:
	s_or_saveexec_b64 s[6:7], s[6:7]
	v_mov_b32_e32 v9, s10
	s_xor_b64 exec, exec, s[6:7]
	s_cbranch_execnz .LBB24_3912
.LBB24_1862:
	s_or_b64 exec, exec, s[6:7]
	s_and_saveexec_b64 s[6:7], s[4:5]
	s_cbranch_execz .LBB24_1864
.LBB24_1863:
	v_and_b32_e32 v9, 7, v10
	v_ffbh_u32_e32 v13, v9
	v_min_u32_e32 v13, 32, v13
	v_lshrrev_b16_e32 v12, 3, v10
	v_subrev_u32_e32 v18, 28, v13
	v_and_b32_e32 v12, 15, v12
	v_lshlrev_b32_e32 v18, v18, v10
	v_sub_u32_e32 v13, 29, v13
	v_and_b32_e32 v18, 7, v18
	v_cmp_eq_u16_e32 vcc, 0, v12
	v_cndmask_b32_e32 v9, v9, v18, vcc
	v_cndmask_b32_e32 v12, v12, v13, vcc
	v_lshlrev_b32_e32 v13, 24, v10
	v_mov_b32_e32 v18, 0x3b800000
	v_lshlrev_b32_e32 v9, 20, v9
	v_and_b32_e32 v13, 0x80000000, v13
	v_lshl_add_u32 v12, v12, 23, v18
	v_or3_b32 v9, v13, v12, v9
.LBB24_1864:
	s_or_b64 exec, exec, s[6:7]
	s_nop 0
	v_mfma_f32_16x16x4f32 a[0:3], v8, v9, a[0:3]
	v_lshrrev_b32_e32 v9, 8, v14
	s_movk_i32 s4, 0x7f
	v_cmp_gt_i16_sdwa s[6:7], v9, s4 src0_sel:BYTE_0 src1_sel:DWORD
	s_mov_b64 s[4:5], 0
                                        ; implicit-def: $sgpr10
	s_and_saveexec_b64 s[8:9], s[6:7]
	s_xor_b64 s[6:7], exec, s[8:9]
	s_cbranch_execnz .LBB24_3913
; %bb.1865:
	s_or_saveexec_b64 s[6:7], s[6:7]
	v_mov_b32_e32 v8, s10
	s_xor_b64 exec, exec, s[6:7]
	s_cbranch_execnz .LBB24_3916
.LBB24_1866:
	s_or_b64 exec, exec, s[6:7]
	s_and_saveexec_b64 s[6:7], s[4:5]
	s_cbranch_execz .LBB24_1868
.LBB24_1867:
	v_bfe_u32 v8, v14, 8, 3
	v_ffbh_u32_e32 v13, v8
	v_min_u32_e32 v13, 32, v13
	v_lshrrev_b16_e32 v12, 3, v9
	v_subrev_u32_e32 v18, 28, v13
	v_and_b32_e32 v12, 15, v12
	v_lshlrev_b32_e32 v9, v18, v9
	v_sub_u32_e32 v13, 29, v13
	v_and_b32_e32 v9, 7, v9
	v_cmp_eq_u16_e32 vcc, 0, v12
	v_cndmask_b32_e32 v8, v8, v9, vcc
	v_cndmask_b32_e32 v9, v12, v13, vcc
	v_lshlrev_b32_e32 v12, 16, v14
	v_mov_b32_e32 v13, 0x3b800000
	v_lshlrev_b32_e32 v8, 20, v8
	v_and_b32_e32 v12, 0x80000000, v12
	v_lshl_add_u32 v9, v9, 23, v13
	v_or3_b32 v8, v12, v9, v8
.LBB24_1868:
	s_or_b64 exec, exec, s[6:7]
	v_lshrrev_b32_e32 v9, 8, v10
	s_movk_i32 s4, 0x7f
	v_cmp_gt_i16_sdwa s[6:7], v9, s4 src0_sel:BYTE_0 src1_sel:DWORD
	s_mov_b64 s[4:5], 0
                                        ; implicit-def: $sgpr10
	s_and_saveexec_b64 s[8:9], s[6:7]
	s_xor_b64 s[6:7], exec, s[8:9]
	s_cbranch_execnz .LBB24_3917
; %bb.1869:
	s_or_saveexec_b64 s[6:7], s[6:7]
	v_mov_b32_e32 v12, s10
	s_xor_b64 exec, exec, s[6:7]
	s_cbranch_execnz .LBB24_3920
.LBB24_1870:
	s_or_b64 exec, exec, s[6:7]
	s_and_saveexec_b64 s[6:7], s[4:5]
	s_cbranch_execz .LBB24_1872
.LBB24_1871:
	v_bfe_u32 v12, v10, 8, 3
	v_ffbh_u32_e32 v18, v12
	v_min_u32_e32 v18, 32, v18
	v_lshrrev_b16_e32 v13, 3, v9
	v_subrev_u32_e32 v19, 28, v18
	v_and_b32_e32 v13, 15, v13
	v_lshlrev_b32_e32 v9, v19, v9
	v_sub_u32_e32 v18, 29, v18
	v_and_b32_e32 v9, 7, v9
	v_cmp_eq_u16_e32 vcc, 0, v13
	v_cndmask_b32_e32 v9, v12, v9, vcc
	v_cndmask_b32_e32 v12, v13, v18, vcc
	v_lshlrev_b32_e32 v13, 16, v10
	v_mov_b32_e32 v18, 0x3b800000
	v_lshlrev_b32_e32 v9, 20, v9
	v_and_b32_e32 v13, 0x80000000, v13
	v_lshl_add_u32 v12, v12, 23, v18
	v_or3_b32 v12, v13, v12, v9
.LBB24_1872:
	s_or_b64 exec, exec, s[6:7]
	s_nop 0
	v_mfma_f32_16x16x4f32 a[0:3], v8, v12, a[0:3]
	s_movk_i32 s4, 0xff
	v_and_b32_sdwa v9, v14, s4 dst_sel:DWORD dst_unused:UNUSED_PAD src0_sel:WORD_1 src1_sel:DWORD
	s_movk_i32 s4, 0x7f
	v_cmp_lt_i16_e32 vcc, s4, v9
	s_mov_b64 s[4:5], 0
                                        ; implicit-def: $sgpr10
	s_and_saveexec_b64 s[6:7], vcc
	s_xor_b64 s[6:7], exec, s[6:7]
	s_cbranch_execnz .LBB24_3921
; %bb.1873:
	s_or_saveexec_b64 s[6:7], s[6:7]
	v_mov_b32_e32 v8, s10
	s_xor_b64 exec, exec, s[6:7]
	s_cbranch_execnz .LBB24_3924
.LBB24_1874:
	s_or_b64 exec, exec, s[6:7]
	s_and_saveexec_b64 s[6:7], s[4:5]
	s_cbranch_execz .LBB24_1876
.LBB24_1875:
	v_bfe_u32 v8, v14, 16, 3
	v_ffbh_u32_e32 v13, v8
	v_min_u32_e32 v13, 32, v13
	v_lshrrev_b32_e32 v9, 19, v14
	v_subrev_u32_e32 v18, 28, v13
	v_and_b32_e32 v9, 15, v9
	v_lshlrev_b32_sdwa v18, v18, v14 dst_sel:DWORD dst_unused:UNUSED_PAD src0_sel:DWORD src1_sel:WORD_1
	v_bfe_u32 v12, v14, 19, 4
	v_sub_u32_e32 v13, 29, v13
	v_and_b32_e32 v18, 7, v18
	v_cmp_eq_u16_e32 vcc, 0, v9
	v_cndmask_b32_e32 v8, v8, v18, vcc
	v_cndmask_b32_e32 v9, v12, v13, vcc
	v_lshlrev_b32_e32 v12, 8, v14
	v_mov_b32_e32 v13, 0x3b800000
	v_lshlrev_b32_e32 v8, 20, v8
	v_and_b32_e32 v12, 0x80000000, v12
	v_lshl_add_u32 v9, v9, 23, v13
	v_or3_b32 v8, v12, v9, v8
.LBB24_1876:
	s_or_b64 exec, exec, s[6:7]
	s_movk_i32 s4, 0xff
	v_and_b32_sdwa v9, v10, s4 dst_sel:DWORD dst_unused:UNUSED_PAD src0_sel:WORD_1 src1_sel:DWORD
	s_movk_i32 s4, 0x7f
	v_cmp_lt_i16_e32 vcc, s4, v9
	s_mov_b64 s[4:5], 0
                                        ; implicit-def: $sgpr10
	s_and_saveexec_b64 s[6:7], vcc
	s_xor_b64 s[6:7], exec, s[6:7]
	s_cbranch_execnz .LBB24_3925
; %bb.1877:
	s_or_saveexec_b64 s[6:7], s[6:7]
	v_mov_b32_e32 v12, s10
	s_xor_b64 exec, exec, s[6:7]
	s_cbranch_execnz .LBB24_3928
.LBB24_1878:
	s_or_b64 exec, exec, s[6:7]
	s_and_saveexec_b64 s[6:7], s[4:5]
	s_cbranch_execz .LBB24_1880
.LBB24_1879:
	v_bfe_u32 v9, v10, 16, 3
	v_ffbh_u32_e32 v18, v9
	v_min_u32_e32 v18, 32, v18
	v_lshrrev_b32_e32 v12, 19, v10
	v_subrev_u32_e32 v19, 28, v18
	v_and_b32_e32 v12, 15, v12
	v_lshlrev_b32_sdwa v19, v19, v10 dst_sel:DWORD dst_unused:UNUSED_PAD src0_sel:DWORD src1_sel:WORD_1
	v_bfe_u32 v13, v10, 19, 4
	v_sub_u32_e32 v18, 29, v18
	v_and_b32_e32 v19, 7, v19
	v_cmp_eq_u16_e32 vcc, 0, v12
	v_cndmask_b32_e32 v9, v9, v19, vcc
	v_cndmask_b32_e32 v12, v13, v18, vcc
	v_lshlrev_b32_e32 v13, 8, v10
	v_mov_b32_e32 v18, 0x3b800000
	v_lshlrev_b32_e32 v9, 20, v9
	v_and_b32_e32 v13, 0x80000000, v13
	v_lshl_add_u32 v12, v12, 23, v18
	v_or3_b32 v12, v13, v12, v9
.LBB24_1880:
	s_or_b64 exec, exec, s[6:7]
	s_nop 0
	v_mfma_f32_16x16x4f32 a[0:3], v8, v12, a[0:3]
	s_movk_i32 s4, 0x7f
	v_cmp_gt_i16_sdwa s[6:7], v14, s4 src0_sel:BYTE_3 src1_sel:DWORD
	s_mov_b64 s[4:5], 0
                                        ; implicit-def: $sgpr10
	s_and_saveexec_b64 s[8:9], s[6:7]
	s_xor_b64 s[6:7], exec, s[8:9]
	s_cbranch_execnz .LBB24_3929
; %bb.1881:
	s_or_saveexec_b64 s[6:7], s[6:7]
	v_mov_b32_e32 v8, s10
	s_xor_b64 exec, exec, s[6:7]
	s_cbranch_execnz .LBB24_3932
.LBB24_1882:
	s_or_b64 exec, exec, s[6:7]
	s_and_saveexec_b64 s[6:7], s[4:5]
	s_cbranch_execz .LBB24_1884
.LBB24_1883:
	v_bfe_u32 v8, v14, 24, 3
	v_ffbh_u32_e32 v18, v8
	v_min_u32_e32 v18, 32, v18
	v_lshrrev_b32_e32 v12, 27, v14
	v_subrev_u32_e32 v19, 28, v18
	v_and_b32_e32 v9, 0x80000000, v14
	v_and_b32_e32 v12, 15, v12
	v_bfe_u32 v13, v14, 27, 4
	v_lshlrev_b32_sdwa v14, v19, v14 dst_sel:DWORD dst_unused:UNUSED_PAD src0_sel:DWORD src1_sel:BYTE_3
	v_sub_u32_e32 v18, 29, v18
	v_and_b32_e32 v14, 7, v14
	v_cmp_eq_u16_e32 vcc, 0, v12
	v_cndmask_b32_e32 v8, v8, v14, vcc
	v_cndmask_b32_e32 v12, v13, v18, vcc
	v_mov_b32_e32 v13, 0x3b800000
	v_lshlrev_b32_e32 v8, 20, v8
	v_lshl_add_u32 v12, v12, 23, v13
	v_or3_b32 v8, v9, v12, v8
.LBB24_1884:
	s_or_b64 exec, exec, s[6:7]
	s_movk_i32 s4, 0x7f
	v_cmp_gt_i16_sdwa s[6:7], v10, s4 src0_sel:BYTE_3 src1_sel:DWORD
	s_mov_b64 s[4:5], 0
                                        ; implicit-def: $sgpr10
	s_and_saveexec_b64 s[8:9], s[6:7]
	s_xor_b64 s[6:7], exec, s[8:9]
	s_cbranch_execnz .LBB24_3933
; %bb.1885:
	s_or_saveexec_b64 s[6:7], s[6:7]
	v_mov_b32_e32 v9, s10
	s_xor_b64 exec, exec, s[6:7]
	s_cbranch_execnz .LBB24_3936
.LBB24_1886:
	s_or_b64 exec, exec, s[6:7]
	s_and_saveexec_b64 s[6:7], s[4:5]
	s_cbranch_execz .LBB24_1888
.LBB24_1887:
	v_bfe_u32 v9, v10, 24, 3
	v_ffbh_u32_e32 v18, v9
	v_min_u32_e32 v18, 32, v18
	v_lshrrev_b32_e32 v13, 27, v10
	v_subrev_u32_e32 v19, 28, v18
	v_and_b32_e32 v12, 0x80000000, v10
	v_and_b32_e32 v13, 15, v13
	v_bfe_u32 v14, v10, 27, 4
	v_lshlrev_b32_sdwa v10, v19, v10 dst_sel:DWORD dst_unused:UNUSED_PAD src0_sel:DWORD src1_sel:BYTE_3
	v_sub_u32_e32 v18, 29, v18
	v_and_b32_e32 v10, 7, v10
	v_cmp_eq_u16_e32 vcc, 0, v13
	v_cndmask_b32_e32 v9, v9, v10, vcc
	v_cndmask_b32_e32 v10, v14, v18, vcc
	v_mov_b32_e32 v13, 0x3b800000
	v_lshlrev_b32_e32 v9, 20, v9
	v_lshl_add_u32 v10, v10, 23, v13
	v_or3_b32 v9, v12, v10, v9
.LBB24_1888:
	s_or_b64 exec, exec, s[6:7]
	s_nop 0
	v_mfma_f32_16x16x4f32 a[0:3], v8, v9, a[0:3]
	s_movk_i32 s4, 0x7f
	v_cmp_gt_i16_sdwa s[6:7], v15, s4 src0_sel:BYTE_0 src1_sel:DWORD
	s_mov_b64 s[4:5], 0
                                        ; implicit-def: $sgpr10
	s_and_saveexec_b64 s[8:9], s[6:7]
	s_xor_b64 s[6:7], exec, s[8:9]
	s_cbranch_execnz .LBB24_3937
; %bb.1889:
	s_or_saveexec_b64 s[6:7], s[6:7]
	v_mov_b32_e32 v8, s10
	s_xor_b64 exec, exec, s[6:7]
	s_cbranch_execnz .LBB24_3940
.LBB24_1890:
	s_or_b64 exec, exec, s[6:7]
	s_and_saveexec_b64 s[6:7], s[4:5]
	s_cbranch_execz .LBB24_1892
.LBB24_1891:
	v_and_b32_e32 v8, 7, v15
	v_ffbh_u32_e32 v10, v8
	v_min_u32_e32 v10, 32, v10
	v_lshrrev_b16_e32 v9, 3, v15
	v_subrev_u32_e32 v12, 28, v10
	v_and_b32_e32 v9, 15, v9
	v_lshlrev_b32_e32 v12, v12, v15
	v_sub_u32_e32 v10, 29, v10
	v_and_b32_e32 v12, 7, v12
	v_cmp_eq_u16_e32 vcc, 0, v9
	v_cndmask_b32_e32 v8, v8, v12, vcc
	v_cndmask_b32_e32 v9, v9, v10, vcc
	v_lshlrev_b32_e32 v10, 24, v15
	v_mov_b32_e32 v12, 0x3b800000
	v_lshlrev_b32_e32 v8, 20, v8
	v_and_b32_e32 v10, 0x80000000, v10
	v_lshl_add_u32 v9, v9, 23, v12
	v_or3_b32 v8, v10, v9, v8
.LBB24_1892:
	s_or_b64 exec, exec, s[6:7]
	s_movk_i32 s4, 0x7f
	v_cmp_gt_i16_sdwa s[6:7], v11, s4 src0_sel:BYTE_0 src1_sel:DWORD
	s_mov_b64 s[4:5], 0
                                        ; implicit-def: $sgpr10
	s_and_saveexec_b64 s[8:9], s[6:7]
	s_xor_b64 s[6:7], exec, s[8:9]
	s_cbranch_execnz .LBB24_3941
; %bb.1893:
	s_or_saveexec_b64 s[6:7], s[6:7]
	v_mov_b32_e32 v9, s10
	s_xor_b64 exec, exec, s[6:7]
	s_cbranch_execnz .LBB24_3944
.LBB24_1894:
	s_or_b64 exec, exec, s[6:7]
	s_and_saveexec_b64 s[6:7], s[4:5]
	s_cbranch_execz .LBB24_1896
.LBB24_1895:
	v_and_b32_e32 v9, 7, v11
	v_ffbh_u32_e32 v12, v9
	v_min_u32_e32 v12, 32, v12
	v_lshrrev_b16_e32 v10, 3, v11
	v_subrev_u32_e32 v13, 28, v12
	v_and_b32_e32 v10, 15, v10
	v_lshlrev_b32_e32 v13, v13, v11
	v_sub_u32_e32 v12, 29, v12
	v_and_b32_e32 v13, 7, v13
	v_cmp_eq_u16_e32 vcc, 0, v10
	v_cndmask_b32_e32 v9, v9, v13, vcc
	v_cndmask_b32_e32 v10, v10, v12, vcc
	v_lshlrev_b32_e32 v12, 24, v11
	v_mov_b32_e32 v13, 0x3b800000
	v_lshlrev_b32_e32 v9, 20, v9
	v_and_b32_e32 v12, 0x80000000, v12
	v_lshl_add_u32 v10, v10, 23, v13
	v_or3_b32 v9, v12, v10, v9
.LBB24_1896:
	s_or_b64 exec, exec, s[6:7]
	s_nop 0
	v_mfma_f32_16x16x4f32 a[0:3], v8, v9, a[0:3]
	v_lshrrev_b32_e32 v9, 8, v15
	s_movk_i32 s4, 0x7f
	v_cmp_gt_i16_sdwa s[6:7], v9, s4 src0_sel:BYTE_0 src1_sel:DWORD
	s_mov_b64 s[4:5], 0
                                        ; implicit-def: $sgpr10
	s_and_saveexec_b64 s[8:9], s[6:7]
	s_xor_b64 s[6:7], exec, s[8:9]
	s_cbranch_execnz .LBB24_3945
; %bb.1897:
	s_or_saveexec_b64 s[6:7], s[6:7]
	v_mov_b32_e32 v8, s10
	s_xor_b64 exec, exec, s[6:7]
	s_cbranch_execnz .LBB24_3948
.LBB24_1898:
	s_or_b64 exec, exec, s[6:7]
	s_and_saveexec_b64 s[6:7], s[4:5]
	s_cbranch_execz .LBB24_1900
.LBB24_1899:
	v_bfe_u32 v8, v15, 8, 3
	v_ffbh_u32_e32 v12, v8
	v_min_u32_e32 v12, 32, v12
	v_lshrrev_b16_e32 v10, 3, v9
	v_subrev_u32_e32 v13, 28, v12
	v_and_b32_e32 v10, 15, v10
	v_lshlrev_b32_e32 v9, v13, v9
	v_sub_u32_e32 v12, 29, v12
	v_and_b32_e32 v9, 7, v9
	v_cmp_eq_u16_e32 vcc, 0, v10
	v_cndmask_b32_e32 v8, v8, v9, vcc
	v_cndmask_b32_e32 v9, v10, v12, vcc
	v_lshlrev_b32_e32 v10, 16, v15
	v_mov_b32_e32 v12, 0x3b800000
	v_lshlrev_b32_e32 v8, 20, v8
	v_and_b32_e32 v10, 0x80000000, v10
	v_lshl_add_u32 v9, v9, 23, v12
	v_or3_b32 v8, v10, v9, v8
.LBB24_1900:
	s_or_b64 exec, exec, s[6:7]
	v_lshrrev_b32_e32 v9, 8, v11
	s_movk_i32 s4, 0x7f
	v_cmp_gt_i16_sdwa s[6:7], v9, s4 src0_sel:BYTE_0 src1_sel:DWORD
	s_mov_b64 s[4:5], 0
                                        ; implicit-def: $sgpr10
	s_and_saveexec_b64 s[8:9], s[6:7]
	s_xor_b64 s[6:7], exec, s[8:9]
	s_cbranch_execnz .LBB24_3949
; %bb.1901:
	s_or_saveexec_b64 s[6:7], s[6:7]
	v_mov_b32_e32 v10, s10
	s_xor_b64 exec, exec, s[6:7]
	s_cbranch_execnz .LBB24_3952
.LBB24_1902:
	s_or_b64 exec, exec, s[6:7]
	s_and_saveexec_b64 s[6:7], s[4:5]
	s_cbranch_execz .LBB24_1904
.LBB24_1903:
	v_bfe_u32 v10, v11, 8, 3
	v_ffbh_u32_e32 v13, v10
	v_min_u32_e32 v13, 32, v13
	v_lshrrev_b16_e32 v12, 3, v9
	v_subrev_u32_e32 v14, 28, v13
	v_and_b32_e32 v12, 15, v12
	v_lshlrev_b32_e32 v9, v14, v9
	v_sub_u32_e32 v13, 29, v13
	v_and_b32_e32 v9, 7, v9
	v_cmp_eq_u16_e32 vcc, 0, v12
	v_cndmask_b32_e32 v9, v10, v9, vcc
	v_cndmask_b32_e32 v10, v12, v13, vcc
	v_lshlrev_b32_e32 v12, 16, v11
	v_mov_b32_e32 v13, 0x3b800000
	v_lshlrev_b32_e32 v9, 20, v9
	v_and_b32_e32 v12, 0x80000000, v12
	v_lshl_add_u32 v10, v10, 23, v13
	v_or3_b32 v10, v12, v10, v9
.LBB24_1904:
	s_or_b64 exec, exec, s[6:7]
	s_nop 0
	v_mfma_f32_16x16x4f32 a[0:3], v8, v10, a[0:3]
	s_movk_i32 s4, 0xff
	v_and_b32_sdwa v9, v15, s4 dst_sel:DWORD dst_unused:UNUSED_PAD src0_sel:WORD_1 src1_sel:DWORD
	s_movk_i32 s4, 0x7f
	v_cmp_lt_i16_e32 vcc, s4, v9
	s_mov_b64 s[4:5], 0
                                        ; implicit-def: $sgpr10
	s_and_saveexec_b64 s[6:7], vcc
	s_xor_b64 s[6:7], exec, s[6:7]
	s_cbranch_execnz .LBB24_3953
; %bb.1905:
	s_or_saveexec_b64 s[6:7], s[6:7]
	v_mov_b32_e32 v8, s10
	s_xor_b64 exec, exec, s[6:7]
	s_cbranch_execnz .LBB24_3956
.LBB24_1906:
	s_or_b64 exec, exec, s[6:7]
	s_and_saveexec_b64 s[6:7], s[4:5]
	s_cbranch_execz .LBB24_1908
.LBB24_1907:
	v_bfe_u32 v8, v15, 16, 3
	v_ffbh_u32_e32 v12, v8
	v_min_u32_e32 v12, 32, v12
	v_lshrrev_b32_e32 v9, 19, v15
	v_subrev_u32_e32 v13, 28, v12
	v_and_b32_e32 v9, 15, v9
	v_lshlrev_b32_sdwa v13, v13, v15 dst_sel:DWORD dst_unused:UNUSED_PAD src0_sel:DWORD src1_sel:WORD_1
	v_bfe_u32 v10, v15, 19, 4
	v_sub_u32_e32 v12, 29, v12
	v_and_b32_e32 v13, 7, v13
	v_cmp_eq_u16_e32 vcc, 0, v9
	v_cndmask_b32_e32 v8, v8, v13, vcc
	v_cndmask_b32_e32 v9, v10, v12, vcc
	v_lshlrev_b32_e32 v10, 8, v15
	v_mov_b32_e32 v12, 0x3b800000
	v_lshlrev_b32_e32 v8, 20, v8
	v_and_b32_e32 v10, 0x80000000, v10
	v_lshl_add_u32 v9, v9, 23, v12
	v_or3_b32 v8, v10, v9, v8
.LBB24_1908:
	s_or_b64 exec, exec, s[6:7]
	s_movk_i32 s4, 0xff
	v_and_b32_sdwa v9, v11, s4 dst_sel:DWORD dst_unused:UNUSED_PAD src0_sel:WORD_1 src1_sel:DWORD
	s_movk_i32 s4, 0x7f
	v_cmp_lt_i16_e32 vcc, s4, v9
	s_mov_b64 s[4:5], 0
                                        ; implicit-def: $sgpr10
	s_and_saveexec_b64 s[6:7], vcc
	s_xor_b64 s[6:7], exec, s[6:7]
	s_cbranch_execnz .LBB24_3957
; %bb.1909:
	s_or_saveexec_b64 s[6:7], s[6:7]
	v_mov_b32_e32 v10, s10
	s_xor_b64 exec, exec, s[6:7]
	s_cbranch_execnz .LBB24_3960
.LBB24_1910:
	s_or_b64 exec, exec, s[6:7]
	s_and_saveexec_b64 s[6:7], s[4:5]
	s_cbranch_execz .LBB24_1912
.LBB24_1911:
	v_bfe_u32 v9, v11, 16, 3
	v_ffbh_u32_e32 v13, v9
	v_min_u32_e32 v13, 32, v13
	v_lshrrev_b32_e32 v10, 19, v11
	v_subrev_u32_e32 v14, 28, v13
	v_and_b32_e32 v10, 15, v10
	v_lshlrev_b32_sdwa v14, v14, v11 dst_sel:DWORD dst_unused:UNUSED_PAD src0_sel:DWORD src1_sel:WORD_1
	v_bfe_u32 v12, v11, 19, 4
	v_sub_u32_e32 v13, 29, v13
	v_and_b32_e32 v14, 7, v14
	v_cmp_eq_u16_e32 vcc, 0, v10
	v_cndmask_b32_e32 v9, v9, v14, vcc
	v_cndmask_b32_e32 v10, v12, v13, vcc
	v_lshlrev_b32_e32 v12, 8, v11
	v_mov_b32_e32 v13, 0x3b800000
	v_lshlrev_b32_e32 v9, 20, v9
	v_and_b32_e32 v12, 0x80000000, v12
	v_lshl_add_u32 v10, v10, 23, v13
	v_or3_b32 v10, v12, v10, v9
.LBB24_1912:
	s_or_b64 exec, exec, s[6:7]
	s_nop 0
	v_mfma_f32_16x16x4f32 a[0:3], v8, v10, a[0:3]
	s_movk_i32 s4, 0x7f
	v_cmp_gt_i16_sdwa s[6:7], v15, s4 src0_sel:BYTE_3 src1_sel:DWORD
	s_mov_b64 s[4:5], 0
                                        ; implicit-def: $sgpr10
	s_and_saveexec_b64 s[8:9], s[6:7]
	s_xor_b64 s[6:7], exec, s[8:9]
	s_cbranch_execnz .LBB24_3961
; %bb.1913:
	s_or_saveexec_b64 s[6:7], s[6:7]
	v_mov_b32_e32 v8, s10
	s_xor_b64 exec, exec, s[6:7]
	s_cbranch_execnz .LBB24_3964
.LBB24_1914:
	s_or_b64 exec, exec, s[6:7]
	s_and_saveexec_b64 s[6:7], s[4:5]
	s_cbranch_execz .LBB24_1916
.LBB24_1915:
	v_bfe_u32 v8, v15, 24, 3
	v_ffbh_u32_e32 v13, v8
	v_min_u32_e32 v13, 32, v13
	v_lshrrev_b32_e32 v10, 27, v15
	v_subrev_u32_e32 v14, 28, v13
	v_and_b32_e32 v10, 15, v10
	v_lshlrev_b32_sdwa v14, v14, v15 dst_sel:DWORD dst_unused:UNUSED_PAD src0_sel:DWORD src1_sel:BYTE_3
	v_bfe_u32 v12, v15, 27, 4
	v_sub_u32_e32 v13, 29, v13
	v_and_b32_e32 v14, 7, v14
	v_cmp_eq_u16_e32 vcc, 0, v10
	v_cndmask_b32_e32 v8, v8, v14, vcc
	v_cndmask_b32_e32 v10, v12, v13, vcc
	v_mov_b32_e32 v12, 0x3b800000
	v_and_b32_e32 v9, 0x80000000, v15
	v_lshlrev_b32_e32 v8, 20, v8
	v_lshl_add_u32 v10, v10, 23, v12
	v_or3_b32 v8, v9, v10, v8
.LBB24_1916:
	s_or_b64 exec, exec, s[6:7]
	s_movk_i32 s4, 0x7f
	v_cmp_gt_i16_sdwa s[6:7], v11, s4 src0_sel:BYTE_3 src1_sel:DWORD
	s_mov_b64 s[4:5], 0
                                        ; implicit-def: $sgpr10
	s_and_saveexec_b64 s[8:9], s[6:7]
	s_xor_b64 s[6:7], exec, s[8:9]
	s_cbranch_execnz .LBB24_3965
; %bb.1917:
	s_or_saveexec_b64 s[6:7], s[6:7]
	v_mov_b32_e32 v9, s10
	s_xor_b64 exec, exec, s[6:7]
	s_cbranch_execnz .LBB24_3968
.LBB24_1918:
	s_or_b64 exec, exec, s[6:7]
	s_and_saveexec_b64 s[6:7], s[4:5]
	s_cbranch_execz .LBB24_1920
.LBB24_1919:
	v_bfe_u32 v9, v11, 24, 3
	v_ffbh_u32_e32 v14, v9
	v_min_u32_e32 v14, 32, v14
	v_lshrrev_b32_e32 v12, 27, v11
	v_subrev_u32_e32 v15, 28, v14
	v_and_b32_e32 v10, 0x80000000, v11
	v_and_b32_e32 v12, 15, v12
	v_bfe_u32 v13, v11, 27, 4
	v_lshlrev_b32_sdwa v11, v15, v11 dst_sel:DWORD dst_unused:UNUSED_PAD src0_sel:DWORD src1_sel:BYTE_3
	v_sub_u32_e32 v14, 29, v14
	v_and_b32_e32 v11, 7, v11
	v_cmp_eq_u16_e32 vcc, 0, v12
	v_cndmask_b32_e32 v9, v9, v11, vcc
	v_cndmask_b32_e32 v11, v13, v14, vcc
	v_mov_b32_e32 v12, 0x3b800000
	v_lshlrev_b32_e32 v9, 20, v9
	v_lshl_add_u32 v11, v11, 23, v12
	v_or3_b32 v9, v10, v11, v9
.LBB24_1920:
	s_or_b64 exec, exec, s[6:7]
	s_nop 0
	v_mfma_f32_16x16x4f32 a[0:3], v8, v9, a[0:3]
	s_movk_i32 s4, 0x7f
	v_cmp_gt_i16_sdwa s[6:7], v4, s4 src0_sel:BYTE_0 src1_sel:DWORD
	s_mov_b64 s[4:5], 0
                                        ; implicit-def: $sgpr10
	s_and_saveexec_b64 s[8:9], s[6:7]
	s_xor_b64 s[6:7], exec, s[8:9]
	s_cbranch_execnz .LBB24_3969
; %bb.1921:
	s_or_saveexec_b64 s[6:7], s[6:7]
	v_mov_b32_e32 v8, s10
	s_xor_b64 exec, exec, s[6:7]
	s_cbranch_execnz .LBB24_3972
.LBB24_1922:
	s_or_b64 exec, exec, s[6:7]
	s_and_saveexec_b64 s[6:7], s[4:5]
	s_cbranch_execz .LBB24_1924
.LBB24_1923:
	v_and_b32_e32 v8, 7, v4
	v_ffbh_u32_e32 v10, v8
	v_min_u32_e32 v10, 32, v10
	v_lshrrev_b16_e32 v9, 3, v4
	v_subrev_u32_e32 v11, 28, v10
	v_and_b32_e32 v9, 15, v9
	v_lshlrev_b32_e32 v11, v11, v4
	v_sub_u32_e32 v10, 29, v10
	v_and_b32_e32 v11, 7, v11
	v_cmp_eq_u16_e32 vcc, 0, v9
	v_cndmask_b32_e32 v8, v8, v11, vcc
	v_cndmask_b32_e32 v9, v9, v10, vcc
	v_lshlrev_b32_e32 v10, 24, v4
	v_mov_b32_e32 v11, 0x3b800000
	v_lshlrev_b32_e32 v8, 20, v8
	v_and_b32_e32 v10, 0x80000000, v10
	v_lshl_add_u32 v9, v9, 23, v11
	v_or3_b32 v8, v10, v9, v8
.LBB24_1924:
	s_or_b64 exec, exec, s[6:7]
	s_movk_i32 s4, 0x7f
	v_cmp_gt_i16_sdwa s[6:7], v0, s4 src0_sel:BYTE_0 src1_sel:DWORD
	s_mov_b64 s[4:5], 0
                                        ; implicit-def: $sgpr10
	s_and_saveexec_b64 s[8:9], s[6:7]
	s_xor_b64 s[6:7], exec, s[8:9]
	s_cbranch_execnz .LBB24_3973
; %bb.1925:
	s_or_saveexec_b64 s[6:7], s[6:7]
	v_mov_b32_e32 v9, s10
	s_xor_b64 exec, exec, s[6:7]
	s_cbranch_execnz .LBB24_3976
.LBB24_1926:
	s_or_b64 exec, exec, s[6:7]
	s_and_saveexec_b64 s[6:7], s[4:5]
	s_cbranch_execz .LBB24_1928
.LBB24_1927:
	v_and_b32_e32 v9, 7, v0
	v_ffbh_u32_e32 v11, v9
	v_min_u32_e32 v11, 32, v11
	v_lshrrev_b16_e32 v10, 3, v0
	v_subrev_u32_e32 v12, 28, v11
	v_and_b32_e32 v10, 15, v10
	v_lshlrev_b32_e32 v12, v12, v0
	v_sub_u32_e32 v11, 29, v11
	v_and_b32_e32 v12, 7, v12
	v_cmp_eq_u16_e32 vcc, 0, v10
	v_cndmask_b32_e32 v9, v9, v12, vcc
	v_cndmask_b32_e32 v10, v10, v11, vcc
	v_lshlrev_b32_e32 v11, 24, v0
	v_mov_b32_e32 v12, 0x3b800000
	v_lshlrev_b32_e32 v9, 20, v9
	v_and_b32_e32 v11, 0x80000000, v11
	v_lshl_add_u32 v10, v10, 23, v12
	v_or3_b32 v9, v11, v10, v9
.LBB24_1928:
	s_or_b64 exec, exec, s[6:7]
	s_nop 0
	v_mfma_f32_16x16x4f32 a[0:3], v8, v9, a[0:3]
	v_lshrrev_b32_e32 v9, 8, v4
	s_movk_i32 s4, 0x7f
	v_cmp_gt_i16_sdwa s[6:7], v9, s4 src0_sel:BYTE_0 src1_sel:DWORD
	s_mov_b64 s[4:5], 0
                                        ; implicit-def: $sgpr10
	s_and_saveexec_b64 s[8:9], s[6:7]
	s_xor_b64 s[6:7], exec, s[8:9]
	s_cbranch_execnz .LBB24_3977
; %bb.1929:
	s_or_saveexec_b64 s[6:7], s[6:7]
	v_mov_b32_e32 v8, s10
	s_xor_b64 exec, exec, s[6:7]
	s_cbranch_execnz .LBB24_3980
.LBB24_1930:
	s_or_b64 exec, exec, s[6:7]
	s_and_saveexec_b64 s[6:7], s[4:5]
	s_cbranch_execz .LBB24_1932
.LBB24_1931:
	v_bfe_u32 v8, v4, 8, 3
	v_ffbh_u32_e32 v11, v8
	v_min_u32_e32 v11, 32, v11
	v_lshrrev_b16_e32 v10, 3, v9
	v_subrev_u32_e32 v12, 28, v11
	v_and_b32_e32 v10, 15, v10
	v_lshlrev_b32_e32 v9, v12, v9
	v_sub_u32_e32 v11, 29, v11
	v_and_b32_e32 v9, 7, v9
	v_cmp_eq_u16_e32 vcc, 0, v10
	v_cndmask_b32_e32 v8, v8, v9, vcc
	v_cndmask_b32_e32 v9, v10, v11, vcc
	v_lshlrev_b32_e32 v10, 16, v4
	v_mov_b32_e32 v11, 0x3b800000
	v_lshlrev_b32_e32 v8, 20, v8
	v_and_b32_e32 v10, 0x80000000, v10
	v_lshl_add_u32 v9, v9, 23, v11
	v_or3_b32 v8, v10, v9, v8
.LBB24_1932:
	s_or_b64 exec, exec, s[6:7]
	v_lshrrev_b32_e32 v9, 8, v0
	s_movk_i32 s4, 0x7f
	v_cmp_gt_i16_sdwa s[6:7], v9, s4 src0_sel:BYTE_0 src1_sel:DWORD
	s_mov_b64 s[4:5], 0
                                        ; implicit-def: $sgpr10
	s_and_saveexec_b64 s[8:9], s[6:7]
	s_xor_b64 s[6:7], exec, s[8:9]
	s_cbranch_execnz .LBB24_3981
; %bb.1933:
	s_or_saveexec_b64 s[6:7], s[6:7]
	v_mov_b32_e32 v10, s10
	s_xor_b64 exec, exec, s[6:7]
	s_cbranch_execnz .LBB24_3984
.LBB24_1934:
	s_or_b64 exec, exec, s[6:7]
	s_and_saveexec_b64 s[6:7], s[4:5]
	s_cbranch_execz .LBB24_1936
.LBB24_1935:
	v_bfe_u32 v10, v0, 8, 3
	v_ffbh_u32_e32 v12, v10
	v_min_u32_e32 v12, 32, v12
	v_lshrrev_b16_e32 v11, 3, v9
	v_subrev_u32_e32 v13, 28, v12
	v_and_b32_e32 v11, 15, v11
	v_lshlrev_b32_e32 v9, v13, v9
	v_sub_u32_e32 v12, 29, v12
	v_and_b32_e32 v9, 7, v9
	v_cmp_eq_u16_e32 vcc, 0, v11
	v_cndmask_b32_e32 v9, v10, v9, vcc
	v_cndmask_b32_e32 v10, v11, v12, vcc
	v_lshlrev_b32_e32 v11, 16, v0
	v_mov_b32_e32 v12, 0x3b800000
	v_lshlrev_b32_e32 v9, 20, v9
	v_and_b32_e32 v11, 0x80000000, v11
	v_lshl_add_u32 v10, v10, 23, v12
	v_or3_b32 v10, v11, v10, v9
.LBB24_1936:
	s_or_b64 exec, exec, s[6:7]
	s_nop 0
	v_mfma_f32_16x16x4f32 a[0:3], v8, v10, a[0:3]
	s_movk_i32 s4, 0xff
	v_and_b32_sdwa v9, v4, s4 dst_sel:DWORD dst_unused:UNUSED_PAD src0_sel:WORD_1 src1_sel:DWORD
	s_movk_i32 s4, 0x7f
	v_cmp_lt_i16_e32 vcc, s4, v9
	s_mov_b64 s[4:5], 0
                                        ; implicit-def: $sgpr10
	s_and_saveexec_b64 s[6:7], vcc
	s_xor_b64 s[6:7], exec, s[6:7]
	s_cbranch_execnz .LBB24_3985
; %bb.1937:
	s_or_saveexec_b64 s[6:7], s[6:7]
	v_mov_b32_e32 v8, s10
	s_xor_b64 exec, exec, s[6:7]
	s_cbranch_execnz .LBB24_3988
.LBB24_1938:
	s_or_b64 exec, exec, s[6:7]
	s_and_saveexec_b64 s[6:7], s[4:5]
	s_cbranch_execz .LBB24_1940
.LBB24_1939:
	v_bfe_u32 v8, v4, 16, 3
	v_ffbh_u32_e32 v11, v8
	v_min_u32_e32 v11, 32, v11
	v_lshrrev_b32_e32 v9, 19, v4
	v_subrev_u32_e32 v12, 28, v11
	v_and_b32_e32 v9, 15, v9
	v_lshlrev_b32_sdwa v12, v12, v4 dst_sel:DWORD dst_unused:UNUSED_PAD src0_sel:DWORD src1_sel:WORD_1
	v_bfe_u32 v10, v4, 19, 4
	v_sub_u32_e32 v11, 29, v11
	v_and_b32_e32 v12, 7, v12
	v_cmp_eq_u16_e32 vcc, 0, v9
	v_cndmask_b32_e32 v8, v8, v12, vcc
	v_cndmask_b32_e32 v9, v10, v11, vcc
	v_lshlrev_b32_e32 v10, 8, v4
	v_mov_b32_e32 v11, 0x3b800000
	v_lshlrev_b32_e32 v8, 20, v8
	v_and_b32_e32 v10, 0x80000000, v10
	v_lshl_add_u32 v9, v9, 23, v11
	v_or3_b32 v8, v10, v9, v8
.LBB24_1940:
	s_or_b64 exec, exec, s[6:7]
	s_movk_i32 s4, 0xff
	v_and_b32_sdwa v9, v0, s4 dst_sel:DWORD dst_unused:UNUSED_PAD src0_sel:WORD_1 src1_sel:DWORD
	s_movk_i32 s4, 0x7f
	v_cmp_lt_i16_e32 vcc, s4, v9
	s_mov_b64 s[4:5], 0
                                        ; implicit-def: $sgpr10
	s_and_saveexec_b64 s[6:7], vcc
	s_xor_b64 s[6:7], exec, s[6:7]
	s_cbranch_execnz .LBB24_3989
; %bb.1941:
	s_or_saveexec_b64 s[6:7], s[6:7]
	v_mov_b32_e32 v10, s10
	s_xor_b64 exec, exec, s[6:7]
	s_cbranch_execnz .LBB24_3992
.LBB24_1942:
	s_or_b64 exec, exec, s[6:7]
	s_and_saveexec_b64 s[6:7], s[4:5]
	s_cbranch_execz .LBB24_1944
.LBB24_1943:
	v_bfe_u32 v9, v0, 16, 3
	v_ffbh_u32_e32 v12, v9
	v_min_u32_e32 v12, 32, v12
	v_lshrrev_b32_e32 v10, 19, v0
	v_subrev_u32_e32 v13, 28, v12
	v_and_b32_e32 v10, 15, v10
	v_lshlrev_b32_sdwa v13, v13, v0 dst_sel:DWORD dst_unused:UNUSED_PAD src0_sel:DWORD src1_sel:WORD_1
	v_bfe_u32 v11, v0, 19, 4
	v_sub_u32_e32 v12, 29, v12
	v_and_b32_e32 v13, 7, v13
	v_cmp_eq_u16_e32 vcc, 0, v10
	v_cndmask_b32_e32 v9, v9, v13, vcc
	v_cndmask_b32_e32 v10, v11, v12, vcc
	v_lshlrev_b32_e32 v11, 8, v0
	v_mov_b32_e32 v12, 0x3b800000
	v_lshlrev_b32_e32 v9, 20, v9
	v_and_b32_e32 v11, 0x80000000, v11
	v_lshl_add_u32 v10, v10, 23, v12
	v_or3_b32 v10, v11, v10, v9
.LBB24_1944:
	s_or_b64 exec, exec, s[6:7]
	s_nop 0
	v_mfma_f32_16x16x4f32 a[0:3], v8, v10, a[0:3]
	s_movk_i32 s4, 0x7f
	v_cmp_gt_i16_sdwa s[6:7], v4, s4 src0_sel:BYTE_3 src1_sel:DWORD
	s_mov_b64 s[4:5], 0
                                        ; implicit-def: $sgpr10
	s_and_saveexec_b64 s[8:9], s[6:7]
	s_xor_b64 s[6:7], exec, s[8:9]
	s_cbranch_execnz .LBB24_3993
; %bb.1945:
	s_or_saveexec_b64 s[6:7], s[6:7]
	v_mov_b32_e32 v8, s10
	s_xor_b64 exec, exec, s[6:7]
	s_cbranch_execnz .LBB24_3996
.LBB24_1946:
	s_or_b64 exec, exec, s[6:7]
	s_and_saveexec_b64 s[6:7], s[4:5]
	s_cbranch_execz .LBB24_1948
.LBB24_1947:
	v_bfe_u32 v8, v4, 24, 3
	v_ffbh_u32_e32 v12, v8
	v_min_u32_e32 v12, 32, v12
	v_lshrrev_b32_e32 v10, 27, v4
	v_subrev_u32_e32 v13, 28, v12
	v_and_b32_e32 v9, 0x80000000, v4
	v_and_b32_e32 v10, 15, v10
	v_bfe_u32 v11, v4, 27, 4
	v_lshlrev_b32_sdwa v4, v13, v4 dst_sel:DWORD dst_unused:UNUSED_PAD src0_sel:DWORD src1_sel:BYTE_3
	v_sub_u32_e32 v12, 29, v12
	v_and_b32_e32 v4, 7, v4
	v_cmp_eq_u16_e32 vcc, 0, v10
	v_cndmask_b32_e32 v4, v8, v4, vcc
	v_cndmask_b32_e32 v8, v11, v12, vcc
	v_mov_b32_e32 v10, 0x3b800000
	v_lshlrev_b32_e32 v4, 20, v4
	v_lshl_add_u32 v8, v8, 23, v10
	v_or3_b32 v8, v9, v8, v4
.LBB24_1948:
	s_or_b64 exec, exec, s[6:7]
	s_movk_i32 s4, 0x7f
	v_cmp_gt_i16_sdwa s[6:7], v0, s4 src0_sel:BYTE_3 src1_sel:DWORD
	s_mov_b64 s[4:5], 0
                                        ; implicit-def: $sgpr10
	s_and_saveexec_b64 s[8:9], s[6:7]
	s_xor_b64 s[6:7], exec, s[8:9]
	s_cbranch_execnz .LBB24_3997
; %bb.1949:
	s_or_saveexec_b64 s[6:7], s[6:7]
	v_mov_b32_e32 v4, s10
	s_xor_b64 exec, exec, s[6:7]
	s_cbranch_execnz .LBB24_4000
.LBB24_1950:
	s_or_b64 exec, exec, s[6:7]
	s_and_saveexec_b64 s[6:7], s[4:5]
	s_cbranch_execz .LBB24_1952
.LBB24_1951:
	v_bfe_u32 v4, v0, 24, 3
	v_ffbh_u32_e32 v12, v4
	v_min_u32_e32 v12, 32, v12
	v_lshrrev_b32_e32 v10, 27, v0
	v_subrev_u32_e32 v13, 28, v12
	v_and_b32_e32 v9, 0x80000000, v0
	v_and_b32_e32 v10, 15, v10
	v_bfe_u32 v11, v0, 27, 4
	v_lshlrev_b32_sdwa v0, v13, v0 dst_sel:DWORD dst_unused:UNUSED_PAD src0_sel:DWORD src1_sel:BYTE_3
	v_sub_u32_e32 v12, 29, v12
	v_and_b32_e32 v0, 7, v0
	v_cmp_eq_u16_e32 vcc, 0, v10
	v_cndmask_b32_e32 v0, v4, v0, vcc
	v_cndmask_b32_e32 v4, v11, v12, vcc
	v_mov_b32_e32 v10, 0x3b800000
	v_lshlrev_b32_e32 v0, 20, v0
	v_lshl_add_u32 v4, v4, 23, v10
	v_or3_b32 v4, v9, v4, v0
.LBB24_1952:
	s_or_b64 exec, exec, s[6:7]
	s_nop 0
	v_mfma_f32_16x16x4f32 a[0:3], v8, v4, a[0:3]
	s_movk_i32 s4, 0x7f
	v_cmp_gt_i16_sdwa s[6:7], v5, s4 src0_sel:BYTE_0 src1_sel:DWORD
	s_mov_b64 s[4:5], 0
                                        ; implicit-def: $sgpr10
	s_and_saveexec_b64 s[8:9], s[6:7]
	s_xor_b64 s[6:7], exec, s[8:9]
	s_cbranch_execnz .LBB24_4001
; %bb.1953:
	s_or_saveexec_b64 s[6:7], s[6:7]
	v_mov_b32_e32 v0, s10
	s_xor_b64 exec, exec, s[6:7]
	s_cbranch_execnz .LBB24_4004
.LBB24_1954:
	s_or_b64 exec, exec, s[6:7]
	s_and_saveexec_b64 s[6:7], s[4:5]
	s_cbranch_execz .LBB24_1956
.LBB24_1955:
	v_and_b32_e32 v0, 7, v5
	v_ffbh_u32_e32 v8, v0
	v_min_u32_e32 v8, 32, v8
	v_lshrrev_b16_e32 v4, 3, v5
	v_subrev_u32_e32 v9, 28, v8
	v_and_b32_e32 v4, 15, v4
	v_lshlrev_b32_e32 v9, v9, v5
	v_sub_u32_e32 v8, 29, v8
	v_and_b32_e32 v9, 7, v9
	v_cmp_eq_u16_e32 vcc, 0, v4
	v_cndmask_b32_e32 v0, v0, v9, vcc
	v_cndmask_b32_e32 v4, v4, v8, vcc
	v_lshlrev_b32_e32 v8, 24, v5
	v_mov_b32_e32 v9, 0x3b800000
	v_lshlrev_b32_e32 v0, 20, v0
	v_and_b32_e32 v8, 0x80000000, v8
	v_lshl_add_u32 v4, v4, 23, v9
	v_or3_b32 v0, v8, v4, v0
.LBB24_1956:
	s_or_b64 exec, exec, s[6:7]
	s_movk_i32 s4, 0x7f
	v_cmp_gt_i16_sdwa s[6:7], v1, s4 src0_sel:BYTE_0 src1_sel:DWORD
	s_mov_b64 s[4:5], 0
                                        ; implicit-def: $sgpr10
	s_and_saveexec_b64 s[8:9], s[6:7]
	s_xor_b64 s[6:7], exec, s[8:9]
	s_cbranch_execnz .LBB24_4005
; %bb.1957:
	s_or_saveexec_b64 s[6:7], s[6:7]
	v_mov_b32_e32 v4, s10
	s_xor_b64 exec, exec, s[6:7]
	s_cbranch_execnz .LBB24_4008
.LBB24_1958:
	s_or_b64 exec, exec, s[6:7]
	s_and_saveexec_b64 s[6:7], s[4:5]
	s_cbranch_execz .LBB24_1960
.LBB24_1959:
	v_and_b32_e32 v4, 7, v1
	v_ffbh_u32_e32 v9, v4
	v_min_u32_e32 v9, 32, v9
	v_lshrrev_b16_e32 v8, 3, v1
	v_subrev_u32_e32 v10, 28, v9
	v_and_b32_e32 v8, 15, v8
	v_lshlrev_b32_e32 v10, v10, v1
	v_sub_u32_e32 v9, 29, v9
	v_and_b32_e32 v10, 7, v10
	v_cmp_eq_u16_e32 vcc, 0, v8
	v_cndmask_b32_e32 v4, v4, v10, vcc
	v_cndmask_b32_e32 v8, v8, v9, vcc
	v_lshlrev_b32_e32 v9, 24, v1
	v_mov_b32_e32 v10, 0x3b800000
	v_lshlrev_b32_e32 v4, 20, v4
	v_and_b32_e32 v9, 0x80000000, v9
	v_lshl_add_u32 v8, v8, 23, v10
	v_or3_b32 v4, v9, v8, v4
.LBB24_1960:
	s_or_b64 exec, exec, s[6:7]
	s_nop 0
	v_mfma_f32_16x16x4f32 a[0:3], v0, v4, a[0:3]
	v_lshrrev_b32_e32 v4, 8, v5
	s_movk_i32 s4, 0x7f
	v_cmp_gt_i16_sdwa s[6:7], v4, s4 src0_sel:BYTE_0 src1_sel:DWORD
	s_mov_b64 s[4:5], 0
                                        ; implicit-def: $sgpr10
	s_and_saveexec_b64 s[8:9], s[6:7]
	s_xor_b64 s[6:7], exec, s[8:9]
	s_cbranch_execnz .LBB24_4009
; %bb.1961:
	s_or_saveexec_b64 s[6:7], s[6:7]
	v_mov_b32_e32 v0, s10
	s_xor_b64 exec, exec, s[6:7]
	s_cbranch_execnz .LBB24_4012
.LBB24_1962:
	s_or_b64 exec, exec, s[6:7]
	s_and_saveexec_b64 s[6:7], s[4:5]
	s_cbranch_execz .LBB24_1964
.LBB24_1963:
	v_bfe_u32 v0, v5, 8, 3
	v_ffbh_u32_e32 v9, v0
	v_min_u32_e32 v9, 32, v9
	v_lshrrev_b16_e32 v8, 3, v4
	v_subrev_u32_e32 v10, 28, v9
	v_and_b32_e32 v8, 15, v8
	v_lshlrev_b32_e32 v4, v10, v4
	v_sub_u32_e32 v9, 29, v9
	v_and_b32_e32 v4, 7, v4
	v_cmp_eq_u16_e32 vcc, 0, v8
	v_cndmask_b32_e32 v0, v0, v4, vcc
	v_cndmask_b32_e32 v4, v8, v9, vcc
	v_lshlrev_b32_e32 v8, 16, v5
	v_mov_b32_e32 v9, 0x3b800000
	v_lshlrev_b32_e32 v0, 20, v0
	v_and_b32_e32 v8, 0x80000000, v8
	v_lshl_add_u32 v4, v4, 23, v9
	v_or3_b32 v0, v8, v4, v0
.LBB24_1964:
	s_or_b64 exec, exec, s[6:7]
	v_lshrrev_b32_e32 v4, 8, v1
	s_movk_i32 s4, 0x7f
	v_cmp_gt_i16_sdwa s[6:7], v4, s4 src0_sel:BYTE_0 src1_sel:DWORD
	s_mov_b64 s[4:5], 0
                                        ; implicit-def: $sgpr10
	s_and_saveexec_b64 s[8:9], s[6:7]
	s_xor_b64 s[6:7], exec, s[8:9]
	s_cbranch_execnz .LBB24_4013
; %bb.1965:
	s_or_saveexec_b64 s[6:7], s[6:7]
	v_mov_b32_e32 v8, s10
	s_xor_b64 exec, exec, s[6:7]
	s_cbranch_execnz .LBB24_4016
.LBB24_1966:
	s_or_b64 exec, exec, s[6:7]
	s_and_saveexec_b64 s[6:7], s[4:5]
	s_cbranch_execz .LBB24_1968
.LBB24_1967:
	v_bfe_u32 v8, v1, 8, 3
	v_ffbh_u32_e32 v10, v8
	v_min_u32_e32 v10, 32, v10
	v_lshrrev_b16_e32 v9, 3, v4
	v_subrev_u32_e32 v11, 28, v10
	v_and_b32_e32 v9, 15, v9
	v_lshlrev_b32_e32 v4, v11, v4
	v_sub_u32_e32 v10, 29, v10
	v_and_b32_e32 v4, 7, v4
	v_cmp_eq_u16_e32 vcc, 0, v9
	v_cndmask_b32_e32 v4, v8, v4, vcc
	v_cndmask_b32_e32 v8, v9, v10, vcc
	v_lshlrev_b32_e32 v9, 16, v1
	v_mov_b32_e32 v10, 0x3b800000
	v_lshlrev_b32_e32 v4, 20, v4
	v_and_b32_e32 v9, 0x80000000, v9
	v_lshl_add_u32 v8, v8, 23, v10
	v_or3_b32 v8, v9, v8, v4
.LBB24_1968:
	s_or_b64 exec, exec, s[6:7]
	s_nop 0
	v_mfma_f32_16x16x4f32 a[0:3], v0, v8, a[0:3]
	s_movk_i32 s4, 0xff
	v_and_b32_sdwa v4, v5, s4 dst_sel:DWORD dst_unused:UNUSED_PAD src0_sel:WORD_1 src1_sel:DWORD
	s_movk_i32 s4, 0x7f
	v_cmp_lt_i16_e32 vcc, s4, v4
	s_mov_b64 s[4:5], 0
                                        ; implicit-def: $sgpr10
	s_and_saveexec_b64 s[6:7], vcc
	s_xor_b64 s[6:7], exec, s[6:7]
	s_cbranch_execnz .LBB24_4017
; %bb.1969:
	s_or_saveexec_b64 s[6:7], s[6:7]
	v_mov_b32_e32 v0, s10
	s_xor_b64 exec, exec, s[6:7]
	s_cbranch_execnz .LBB24_4020
.LBB24_1970:
	s_or_b64 exec, exec, s[6:7]
	s_and_saveexec_b64 s[6:7], s[4:5]
	s_cbranch_execz .LBB24_1972
.LBB24_1971:
	v_bfe_u32 v0, v5, 16, 3
	v_ffbh_u32_e32 v9, v0
	v_min_u32_e32 v9, 32, v9
	v_lshrrev_b32_e32 v4, 19, v5
	v_subrev_u32_e32 v10, 28, v9
	v_and_b32_e32 v4, 15, v4
	v_lshlrev_b32_sdwa v10, v10, v5 dst_sel:DWORD dst_unused:UNUSED_PAD src0_sel:DWORD src1_sel:WORD_1
	v_bfe_u32 v8, v5, 19, 4
	v_sub_u32_e32 v9, 29, v9
	v_and_b32_e32 v10, 7, v10
	v_cmp_eq_u16_e32 vcc, 0, v4
	v_cndmask_b32_e32 v0, v0, v10, vcc
	v_cndmask_b32_e32 v4, v8, v9, vcc
	v_lshlrev_b32_e32 v8, 8, v5
	v_mov_b32_e32 v9, 0x3b800000
	v_lshlrev_b32_e32 v0, 20, v0
	v_and_b32_e32 v8, 0x80000000, v8
	v_lshl_add_u32 v4, v4, 23, v9
	v_or3_b32 v0, v8, v4, v0
.LBB24_1972:
	s_or_b64 exec, exec, s[6:7]
	s_movk_i32 s4, 0xff
	v_and_b32_sdwa v4, v1, s4 dst_sel:DWORD dst_unused:UNUSED_PAD src0_sel:WORD_1 src1_sel:DWORD
	s_movk_i32 s4, 0x7f
	v_cmp_lt_i16_e32 vcc, s4, v4
	s_mov_b64 s[4:5], 0
                                        ; implicit-def: $sgpr10
	s_and_saveexec_b64 s[6:7], vcc
	s_xor_b64 s[6:7], exec, s[6:7]
	s_cbranch_execnz .LBB24_4021
; %bb.1973:
	s_or_saveexec_b64 s[6:7], s[6:7]
	v_mov_b32_e32 v8, s10
	s_xor_b64 exec, exec, s[6:7]
	s_cbranch_execnz .LBB24_4024
.LBB24_1974:
	s_or_b64 exec, exec, s[6:7]
	s_and_saveexec_b64 s[6:7], s[4:5]
	s_cbranch_execz .LBB24_1976
.LBB24_1975:
	v_bfe_u32 v4, v1, 16, 3
	v_ffbh_u32_e32 v10, v4
	v_min_u32_e32 v10, 32, v10
	v_lshrrev_b32_e32 v8, 19, v1
	v_subrev_u32_e32 v11, 28, v10
	v_and_b32_e32 v8, 15, v8
	v_lshlrev_b32_sdwa v11, v11, v1 dst_sel:DWORD dst_unused:UNUSED_PAD src0_sel:DWORD src1_sel:WORD_1
	v_bfe_u32 v9, v1, 19, 4
	v_sub_u32_e32 v10, 29, v10
	v_and_b32_e32 v11, 7, v11
	v_cmp_eq_u16_e32 vcc, 0, v8
	v_cndmask_b32_e32 v4, v4, v11, vcc
	v_cndmask_b32_e32 v8, v9, v10, vcc
	v_lshlrev_b32_e32 v9, 8, v1
	v_mov_b32_e32 v10, 0x3b800000
	v_lshlrev_b32_e32 v4, 20, v4
	v_and_b32_e32 v9, 0x80000000, v9
	v_lshl_add_u32 v8, v8, 23, v10
	v_or3_b32 v8, v9, v8, v4
.LBB24_1976:
	s_or_b64 exec, exec, s[6:7]
	s_nop 0
	v_mfma_f32_16x16x4f32 a[0:3], v0, v8, a[0:3]
	s_movk_i32 s4, 0x7f
	v_cmp_gt_i16_sdwa s[6:7], v5, s4 src0_sel:BYTE_3 src1_sel:DWORD
	s_mov_b64 s[4:5], 0
                                        ; implicit-def: $sgpr10
	s_and_saveexec_b64 s[8:9], s[6:7]
	s_xor_b64 s[6:7], exec, s[8:9]
	s_cbranch_execnz .LBB24_4025
; %bb.1977:
	s_or_saveexec_b64 s[6:7], s[6:7]
	v_mov_b32_e32 v0, s10
	s_xor_b64 exec, exec, s[6:7]
	s_cbranch_execnz .LBB24_4028
.LBB24_1978:
	s_or_b64 exec, exec, s[6:7]
	s_and_saveexec_b64 s[6:7], s[4:5]
	s_cbranch_execz .LBB24_1980
.LBB24_1979:
	v_bfe_u32 v0, v5, 24, 3
	v_ffbh_u32_e32 v10, v0
	v_min_u32_e32 v10, 32, v10
	v_lshrrev_b32_e32 v8, 27, v5
	v_subrev_u32_e32 v11, 28, v10
	v_and_b32_e32 v4, 0x80000000, v5
	v_and_b32_e32 v8, 15, v8
	v_bfe_u32 v9, v5, 27, 4
	v_lshlrev_b32_sdwa v5, v11, v5 dst_sel:DWORD dst_unused:UNUSED_PAD src0_sel:DWORD src1_sel:BYTE_3
	v_sub_u32_e32 v10, 29, v10
	v_and_b32_e32 v5, 7, v5
	v_cmp_eq_u16_e32 vcc, 0, v8
	v_cndmask_b32_e32 v0, v0, v5, vcc
	v_cndmask_b32_e32 v5, v9, v10, vcc
	v_mov_b32_e32 v8, 0x3b800000
	v_lshlrev_b32_e32 v0, 20, v0
	v_lshl_add_u32 v5, v5, 23, v8
	v_or3_b32 v0, v4, v5, v0
.LBB24_1980:
	s_or_b64 exec, exec, s[6:7]
	s_movk_i32 s4, 0x7f
	v_cmp_gt_i16_sdwa s[6:7], v1, s4 src0_sel:BYTE_3 src1_sel:DWORD
	s_mov_b64 s[4:5], 0
                                        ; implicit-def: $sgpr10
	s_and_saveexec_b64 s[8:9], s[6:7]
	s_xor_b64 s[6:7], exec, s[8:9]
	s_cbranch_execnz .LBB24_4029
; %bb.1981:
	s_or_saveexec_b64 s[6:7], s[6:7]
	v_mov_b32_e32 v4, s10
	s_xor_b64 exec, exec, s[6:7]
	s_cbranch_execnz .LBB24_4032
.LBB24_1982:
	s_or_b64 exec, exec, s[6:7]
	s_and_saveexec_b64 s[6:7], s[4:5]
	s_cbranch_execz .LBB24_1984
.LBB24_1983:
	v_bfe_u32 v4, v1, 24, 3
	v_ffbh_u32_e32 v10, v4
	v_min_u32_e32 v10, 32, v10
	v_lshrrev_b32_e32 v8, 27, v1
	v_subrev_u32_e32 v11, 28, v10
	v_and_b32_e32 v5, 0x80000000, v1
	v_and_b32_e32 v8, 15, v8
	v_bfe_u32 v9, v1, 27, 4
	v_lshlrev_b32_sdwa v1, v11, v1 dst_sel:DWORD dst_unused:UNUSED_PAD src0_sel:DWORD src1_sel:BYTE_3
	v_sub_u32_e32 v10, 29, v10
	v_and_b32_e32 v1, 7, v1
	v_cmp_eq_u16_e32 vcc, 0, v8
	v_cndmask_b32_e32 v1, v4, v1, vcc
	v_cndmask_b32_e32 v4, v9, v10, vcc
	v_mov_b32_e32 v8, 0x3b800000
	v_lshlrev_b32_e32 v1, 20, v1
	v_lshl_add_u32 v4, v4, 23, v8
	v_or3_b32 v4, v5, v4, v1
.LBB24_1984:
	s_or_b64 exec, exec, s[6:7]
	s_nop 0
	v_mfma_f32_16x16x4f32 a[0:3], v0, v4, a[0:3]
	s_movk_i32 s4, 0x7f
	v_cmp_gt_i16_sdwa s[6:7], v6, s4 src0_sel:BYTE_0 src1_sel:DWORD
	s_mov_b64 s[4:5], 0
                                        ; implicit-def: $sgpr10
	s_and_saveexec_b64 s[8:9], s[6:7]
	s_xor_b64 s[6:7], exec, s[8:9]
	s_cbranch_execnz .LBB24_4033
; %bb.1985:
	s_or_saveexec_b64 s[6:7], s[6:7]
	v_mov_b32_e32 v0, s10
	s_xor_b64 exec, exec, s[6:7]
	s_cbranch_execnz .LBB24_4036
.LBB24_1986:
	s_or_b64 exec, exec, s[6:7]
	s_and_saveexec_b64 s[6:7], s[4:5]
	s_cbranch_execz .LBB24_1988
.LBB24_1987:
	v_and_b32_e32 v0, 7, v6
	v_ffbh_u32_e32 v4, v0
	v_min_u32_e32 v4, 32, v4
	v_lshrrev_b16_e32 v1, 3, v6
	v_subrev_u32_e32 v5, 28, v4
	v_and_b32_e32 v1, 15, v1
	v_lshlrev_b32_e32 v5, v5, v6
	v_sub_u32_e32 v4, 29, v4
	v_and_b32_e32 v5, 7, v5
	v_cmp_eq_u16_e32 vcc, 0, v1
	v_cndmask_b32_e32 v0, v0, v5, vcc
	v_cndmask_b32_e32 v1, v1, v4, vcc
	v_lshlrev_b32_e32 v4, 24, v6
	v_mov_b32_e32 v5, 0x3b800000
	v_lshlrev_b32_e32 v0, 20, v0
	v_and_b32_e32 v4, 0x80000000, v4
	v_lshl_add_u32 v1, v1, 23, v5
	v_or3_b32 v0, v4, v1, v0
.LBB24_1988:
	s_or_b64 exec, exec, s[6:7]
	s_movk_i32 s4, 0x7f
	v_cmp_gt_i16_sdwa s[6:7], v2, s4 src0_sel:BYTE_0 src1_sel:DWORD
	s_mov_b64 s[4:5], 0
                                        ; implicit-def: $sgpr10
	s_and_saveexec_b64 s[8:9], s[6:7]
	s_xor_b64 s[6:7], exec, s[8:9]
	s_cbranch_execnz .LBB24_4037
; %bb.1989:
	s_or_saveexec_b64 s[6:7], s[6:7]
	v_mov_b32_e32 v1, s10
	s_xor_b64 exec, exec, s[6:7]
	s_cbranch_execnz .LBB24_4040
.LBB24_1990:
	s_or_b64 exec, exec, s[6:7]
	s_and_saveexec_b64 s[6:7], s[4:5]
	s_cbranch_execz .LBB24_1992
.LBB24_1991:
	v_and_b32_e32 v1, 7, v2
	v_ffbh_u32_e32 v5, v1
	v_min_u32_e32 v5, 32, v5
	v_lshrrev_b16_e32 v4, 3, v2
	v_subrev_u32_e32 v8, 28, v5
	v_and_b32_e32 v4, 15, v4
	v_lshlrev_b32_e32 v8, v8, v2
	v_sub_u32_e32 v5, 29, v5
	v_and_b32_e32 v8, 7, v8
	v_cmp_eq_u16_e32 vcc, 0, v4
	v_cndmask_b32_e32 v1, v1, v8, vcc
	v_cndmask_b32_e32 v4, v4, v5, vcc
	v_lshlrev_b32_e32 v5, 24, v2
	v_mov_b32_e32 v8, 0x3b800000
	v_lshlrev_b32_e32 v1, 20, v1
	v_and_b32_e32 v5, 0x80000000, v5
	v_lshl_add_u32 v4, v4, 23, v8
	v_or3_b32 v1, v5, v4, v1
.LBB24_1992:
	s_or_b64 exec, exec, s[6:7]
	s_nop 0
	v_mfma_f32_16x16x4f32 a[0:3], v0, v1, a[0:3]
	v_lshrrev_b32_e32 v1, 8, v6
	s_movk_i32 s4, 0x7f
	v_cmp_gt_i16_sdwa s[6:7], v1, s4 src0_sel:BYTE_0 src1_sel:DWORD
	s_mov_b64 s[4:5], 0
                                        ; implicit-def: $sgpr10
	s_and_saveexec_b64 s[8:9], s[6:7]
	s_xor_b64 s[6:7], exec, s[8:9]
	s_cbranch_execnz .LBB24_4041
; %bb.1993:
	s_or_saveexec_b64 s[6:7], s[6:7]
	v_mov_b32_e32 v0, s10
	s_xor_b64 exec, exec, s[6:7]
	s_cbranch_execnz .LBB24_4044
.LBB24_1994:
	s_or_b64 exec, exec, s[6:7]
	s_and_saveexec_b64 s[6:7], s[4:5]
	s_cbranch_execz .LBB24_1996
.LBB24_1995:
	v_bfe_u32 v0, v6, 8, 3
	v_ffbh_u32_e32 v5, v0
	v_min_u32_e32 v5, 32, v5
	v_lshrrev_b16_e32 v4, 3, v1
	v_subrev_u32_e32 v8, 28, v5
	v_and_b32_e32 v4, 15, v4
	v_lshlrev_b32_e32 v1, v8, v1
	v_sub_u32_e32 v5, 29, v5
	v_and_b32_e32 v1, 7, v1
	v_cmp_eq_u16_e32 vcc, 0, v4
	v_cndmask_b32_e32 v0, v0, v1, vcc
	v_cndmask_b32_e32 v1, v4, v5, vcc
	v_lshlrev_b32_e32 v4, 16, v6
	v_mov_b32_e32 v5, 0x3b800000
	v_lshlrev_b32_e32 v0, 20, v0
	v_and_b32_e32 v4, 0x80000000, v4
	v_lshl_add_u32 v1, v1, 23, v5
	v_or3_b32 v0, v4, v1, v0
.LBB24_1996:
	s_or_b64 exec, exec, s[6:7]
	v_lshrrev_b32_e32 v1, 8, v2
	s_movk_i32 s4, 0x7f
	v_cmp_gt_i16_sdwa s[6:7], v1, s4 src0_sel:BYTE_0 src1_sel:DWORD
	s_mov_b64 s[4:5], 0
                                        ; implicit-def: $sgpr10
	s_and_saveexec_b64 s[8:9], s[6:7]
	s_xor_b64 s[6:7], exec, s[8:9]
	s_cbranch_execnz .LBB24_4045
; %bb.1997:
	s_or_saveexec_b64 s[6:7], s[6:7]
	v_mov_b32_e32 v4, s10
	s_xor_b64 exec, exec, s[6:7]
	s_cbranch_execnz .LBB24_4048
.LBB24_1998:
	s_or_b64 exec, exec, s[6:7]
	s_and_saveexec_b64 s[6:7], s[4:5]
	s_cbranch_execz .LBB24_2000
.LBB24_1999:
	v_bfe_u32 v4, v2, 8, 3
	v_ffbh_u32_e32 v8, v4
	v_min_u32_e32 v8, 32, v8
	v_lshrrev_b16_e32 v5, 3, v1
	v_subrev_u32_e32 v9, 28, v8
	v_and_b32_e32 v5, 15, v5
	v_lshlrev_b32_e32 v1, v9, v1
	v_sub_u32_e32 v8, 29, v8
	v_and_b32_e32 v1, 7, v1
	v_cmp_eq_u16_e32 vcc, 0, v5
	v_cndmask_b32_e32 v1, v4, v1, vcc
	v_cndmask_b32_e32 v4, v5, v8, vcc
	v_lshlrev_b32_e32 v5, 16, v2
	v_mov_b32_e32 v8, 0x3b800000
	v_lshlrev_b32_e32 v1, 20, v1
	v_and_b32_e32 v5, 0x80000000, v5
	v_lshl_add_u32 v4, v4, 23, v8
	v_or3_b32 v4, v5, v4, v1
.LBB24_2000:
	s_or_b64 exec, exec, s[6:7]
	s_nop 0
	v_mfma_f32_16x16x4f32 a[0:3], v0, v4, a[0:3]
	s_movk_i32 s4, 0xff
	v_and_b32_sdwa v1, v6, s4 dst_sel:DWORD dst_unused:UNUSED_PAD src0_sel:WORD_1 src1_sel:DWORD
	s_movk_i32 s4, 0x7f
	v_cmp_lt_i16_e32 vcc, s4, v1
	s_mov_b64 s[4:5], 0
                                        ; implicit-def: $sgpr10
	s_and_saveexec_b64 s[6:7], vcc
	s_xor_b64 s[6:7], exec, s[6:7]
	s_cbranch_execnz .LBB24_4049
; %bb.2001:
	s_or_saveexec_b64 s[6:7], s[6:7]
	v_mov_b32_e32 v0, s10
	s_xor_b64 exec, exec, s[6:7]
	s_cbranch_execnz .LBB24_4052
.LBB24_2002:
	s_or_b64 exec, exec, s[6:7]
	s_and_saveexec_b64 s[6:7], s[4:5]
	s_cbranch_execz .LBB24_2004
.LBB24_2003:
	v_bfe_u32 v0, v6, 16, 3
	v_ffbh_u32_e32 v5, v0
	v_min_u32_e32 v5, 32, v5
	v_lshrrev_b32_e32 v1, 19, v6
	v_subrev_u32_e32 v8, 28, v5
	v_and_b32_e32 v1, 15, v1
	v_lshlrev_b32_sdwa v8, v8, v6 dst_sel:DWORD dst_unused:UNUSED_PAD src0_sel:DWORD src1_sel:WORD_1
	v_bfe_u32 v4, v6, 19, 4
	v_sub_u32_e32 v5, 29, v5
	v_and_b32_e32 v8, 7, v8
	v_cmp_eq_u16_e32 vcc, 0, v1
	v_cndmask_b32_e32 v0, v0, v8, vcc
	v_cndmask_b32_e32 v1, v4, v5, vcc
	v_lshlrev_b32_e32 v4, 8, v6
	v_mov_b32_e32 v5, 0x3b800000
	v_lshlrev_b32_e32 v0, 20, v0
	v_and_b32_e32 v4, 0x80000000, v4
	v_lshl_add_u32 v1, v1, 23, v5
	v_or3_b32 v0, v4, v1, v0
.LBB24_2004:
	s_or_b64 exec, exec, s[6:7]
	s_movk_i32 s4, 0xff
	v_and_b32_sdwa v1, v2, s4 dst_sel:DWORD dst_unused:UNUSED_PAD src0_sel:WORD_1 src1_sel:DWORD
	s_movk_i32 s4, 0x7f
	v_cmp_lt_i16_e32 vcc, s4, v1
	s_mov_b64 s[4:5], 0
                                        ; implicit-def: $sgpr10
	s_and_saveexec_b64 s[6:7], vcc
	s_xor_b64 s[6:7], exec, s[6:7]
	s_cbranch_execnz .LBB24_4053
; %bb.2005:
	s_or_saveexec_b64 s[6:7], s[6:7]
	v_mov_b32_e32 v4, s10
	s_xor_b64 exec, exec, s[6:7]
	s_cbranch_execnz .LBB24_4056
.LBB24_2006:
	s_or_b64 exec, exec, s[6:7]
	s_and_saveexec_b64 s[6:7], s[4:5]
	s_cbranch_execz .LBB24_2008
.LBB24_2007:
	v_bfe_u32 v1, v2, 16, 3
	v_ffbh_u32_e32 v8, v1
	v_min_u32_e32 v8, 32, v8
	v_lshrrev_b32_e32 v4, 19, v2
	v_subrev_u32_e32 v9, 28, v8
	v_and_b32_e32 v4, 15, v4
	v_lshlrev_b32_sdwa v9, v9, v2 dst_sel:DWORD dst_unused:UNUSED_PAD src0_sel:DWORD src1_sel:WORD_1
	v_bfe_u32 v5, v2, 19, 4
	v_sub_u32_e32 v8, 29, v8
	v_and_b32_e32 v9, 7, v9
	v_cmp_eq_u16_e32 vcc, 0, v4
	v_cndmask_b32_e32 v1, v1, v9, vcc
	v_cndmask_b32_e32 v4, v5, v8, vcc
	v_lshlrev_b32_e32 v5, 8, v2
	v_mov_b32_e32 v8, 0x3b800000
	v_lshlrev_b32_e32 v1, 20, v1
	v_and_b32_e32 v5, 0x80000000, v5
	v_lshl_add_u32 v4, v4, 23, v8
	v_or3_b32 v4, v5, v4, v1
.LBB24_2008:
	s_or_b64 exec, exec, s[6:7]
	s_nop 0
	v_mfma_f32_16x16x4f32 a[0:3], v0, v4, a[0:3]
	s_movk_i32 s4, 0x7f
	v_cmp_gt_i16_sdwa s[6:7], v6, s4 src0_sel:BYTE_3 src1_sel:DWORD
	s_mov_b64 s[4:5], 0
                                        ; implicit-def: $sgpr10
	s_and_saveexec_b64 s[8:9], s[6:7]
	s_xor_b64 s[6:7], exec, s[8:9]
	s_cbranch_execnz .LBB24_4057
; %bb.2009:
	s_or_saveexec_b64 s[6:7], s[6:7]
	v_mov_b32_e32 v0, s10
	s_xor_b64 exec, exec, s[6:7]
	s_cbranch_execnz .LBB24_4060
.LBB24_2010:
	s_or_b64 exec, exec, s[6:7]
	s_and_saveexec_b64 s[6:7], s[4:5]
	s_cbranch_execz .LBB24_2012
.LBB24_2011:
	v_bfe_u32 v0, v6, 24, 3
	v_ffbh_u32_e32 v8, v0
	v_min_u32_e32 v8, 32, v8
	v_lshrrev_b32_e32 v4, 27, v6
	v_subrev_u32_e32 v9, 28, v8
	v_and_b32_e32 v1, 0x80000000, v6
	v_and_b32_e32 v4, 15, v4
	v_bfe_u32 v5, v6, 27, 4
	v_lshlrev_b32_sdwa v6, v9, v6 dst_sel:DWORD dst_unused:UNUSED_PAD src0_sel:DWORD src1_sel:BYTE_3
	v_sub_u32_e32 v8, 29, v8
	v_and_b32_e32 v6, 7, v6
	v_cmp_eq_u16_e32 vcc, 0, v4
	v_cndmask_b32_e32 v0, v0, v6, vcc
	v_cndmask_b32_e32 v4, v5, v8, vcc
	v_mov_b32_e32 v5, 0x3b800000
	v_lshlrev_b32_e32 v0, 20, v0
	v_lshl_add_u32 v4, v4, 23, v5
	v_or3_b32 v0, v1, v4, v0
.LBB24_2012:
	s_or_b64 exec, exec, s[6:7]
	s_movk_i32 s4, 0x7f
	v_cmp_gt_i16_sdwa s[6:7], v2, s4 src0_sel:BYTE_3 src1_sel:DWORD
	s_mov_b64 s[4:5], 0
                                        ; implicit-def: $sgpr10
	s_and_saveexec_b64 s[8:9], s[6:7]
	s_xor_b64 s[6:7], exec, s[8:9]
	s_cbranch_execnz .LBB24_4061
; %bb.2013:
	s_or_saveexec_b64 s[6:7], s[6:7]
	v_mov_b32_e32 v1, s10
	s_xor_b64 exec, exec, s[6:7]
	s_cbranch_execnz .LBB24_4064
.LBB24_2014:
	s_or_b64 exec, exec, s[6:7]
	s_and_saveexec_b64 s[6:7], s[4:5]
	s_cbranch_execz .LBB24_2016
.LBB24_2015:
	v_bfe_u32 v1, v2, 24, 3
	v_ffbh_u32_e32 v8, v1
	v_min_u32_e32 v8, 32, v8
	v_lshrrev_b32_e32 v5, 27, v2
	v_subrev_u32_e32 v9, 28, v8
	v_and_b32_e32 v4, 0x80000000, v2
	v_and_b32_e32 v5, 15, v5
	v_bfe_u32 v6, v2, 27, 4
	v_lshlrev_b32_sdwa v2, v9, v2 dst_sel:DWORD dst_unused:UNUSED_PAD src0_sel:DWORD src1_sel:BYTE_3
	v_sub_u32_e32 v8, 29, v8
	v_and_b32_e32 v2, 7, v2
	v_cmp_eq_u16_e32 vcc, 0, v5
	v_cndmask_b32_e32 v1, v1, v2, vcc
	v_cndmask_b32_e32 v2, v6, v8, vcc
	v_mov_b32_e32 v5, 0x3b800000
	v_lshlrev_b32_e32 v1, 20, v1
	v_lshl_add_u32 v2, v2, 23, v5
	v_or3_b32 v1, v4, v2, v1
.LBB24_2016:
	s_or_b64 exec, exec, s[6:7]
	s_nop 0
	v_mfma_f32_16x16x4f32 a[0:3], v0, v1, a[0:3]
	s_movk_i32 s4, 0x7f
	v_cmp_gt_i16_sdwa s[6:7], v7, s4 src0_sel:BYTE_0 src1_sel:DWORD
	s_mov_b64 s[4:5], 0
                                        ; implicit-def: $sgpr10
	s_and_saveexec_b64 s[8:9], s[6:7]
	s_xor_b64 s[6:7], exec, s[8:9]
	s_cbranch_execnz .LBB24_4065
; %bb.2017:
	s_or_saveexec_b64 s[6:7], s[6:7]
	v_mov_b32_e32 v0, s10
	s_xor_b64 exec, exec, s[6:7]
	s_cbranch_execnz .LBB24_4068
.LBB24_2018:
	s_or_b64 exec, exec, s[6:7]
	s_and_saveexec_b64 s[6:7], s[4:5]
	s_cbranch_execz .LBB24_2020
.LBB24_2019:
	v_mov_b32_e32 v0, 8
	v_and_b32_e32 v1, 7, v7
	v_lshrrev_b32_sdwa v0, v0, v7 dst_sel:BYTE_1 dst_unused:UNUSED_PAD src0_sel:DWORD src1_sel:DWORD
	v_ffbh_u32_e32 v2, v1
	v_or_b32_sdwa v0, v7, v0 dst_sel:DWORD dst_unused:UNUSED_PAD src0_sel:BYTE_0 src1_sel:DWORD
	v_min_u32_e32 v2, 32, v2
	v_lshrrev_b16_e32 v0, 3, v0
	v_subrev_u32_e32 v4, 28, v2
	v_and_b32_e32 v0, 15, v0
	v_lshlrev_b32_e32 v4, v4, v7
	v_sub_u32_e32 v2, 29, v2
	v_and_b32_e32 v4, 7, v4
	v_cmp_eq_u16_e32 vcc, 0, v0
	v_cndmask_b32_e32 v1, v1, v4, vcc
	v_cndmask_b32_e32 v0, v0, v2, vcc
	v_lshlrev_b32_e32 v2, 24, v7
	v_mov_b32_e32 v4, 0x3b800000
	v_lshlrev_b32_e32 v1, 20, v1
	v_and_b32_e32 v2, 0x80000000, v2
	v_lshl_add_u32 v0, v0, 23, v4
	v_or3_b32 v0, v2, v0, v1
.LBB24_2020:
	s_or_b64 exec, exec, s[6:7]
	s_movk_i32 s4, 0x7f
	v_cmp_gt_i16_sdwa s[6:7], v3, s4 src0_sel:BYTE_0 src1_sel:DWORD
	s_mov_b64 s[4:5], 0
                                        ; implicit-def: $sgpr10
	s_and_saveexec_b64 s[8:9], s[6:7]
	s_xor_b64 s[6:7], exec, s[8:9]
	s_cbranch_execnz .LBB24_4069
; %bb.2021:
	s_or_saveexec_b64 s[6:7], s[6:7]
	v_mov_b32_e32 v1, s10
	s_xor_b64 exec, exec, s[6:7]
	s_cbranch_execnz .LBB24_4072
.LBB24_2022:
	s_or_b64 exec, exec, s[6:7]
	s_and_saveexec_b64 s[6:7], s[4:5]
	s_cbranch_execz .LBB24_2024
.LBB24_2023:
	v_mov_b32_e32 v1, 8
	v_and_b32_e32 v2, 7, v3
	v_lshrrev_b32_sdwa v1, v1, v3 dst_sel:BYTE_1 dst_unused:UNUSED_PAD src0_sel:DWORD src1_sel:DWORD
	v_ffbh_u32_e32 v4, v2
	v_or_b32_sdwa v1, v3, v1 dst_sel:DWORD dst_unused:UNUSED_PAD src0_sel:BYTE_0 src1_sel:DWORD
	v_min_u32_e32 v4, 32, v4
	v_lshrrev_b16_e32 v1, 3, v1
	v_subrev_u32_e32 v5, 28, v4
	v_and_b32_e32 v1, 15, v1
	v_lshlrev_b32_e32 v5, v5, v3
	v_sub_u32_e32 v4, 29, v4
	v_and_b32_e32 v5, 7, v5
	v_cmp_eq_u16_e32 vcc, 0, v1
	v_cndmask_b32_e32 v2, v2, v5, vcc
	v_cndmask_b32_e32 v1, v1, v4, vcc
	v_lshlrev_b32_e32 v4, 24, v3
	v_mov_b32_e32 v5, 0x3b800000
	v_lshlrev_b32_e32 v2, 20, v2
	v_and_b32_e32 v4, 0x80000000, v4
	v_lshl_add_u32 v1, v1, 23, v5
	v_or3_b32 v1, v4, v1, v2
.LBB24_2024:
	s_or_b64 exec, exec, s[6:7]
	s_nop 0
	v_mfma_f32_16x16x4f32 a[0:3], v0, v1, a[0:3]
	v_lshrrev_b32_e32 v1, 8, v7
	s_movk_i32 s4, 0x7f
	v_cmp_gt_i16_sdwa s[6:7], v1, s4 src0_sel:BYTE_0 src1_sel:DWORD
	s_mov_b64 s[4:5], 0
                                        ; implicit-def: $sgpr10
	s_and_saveexec_b64 s[8:9], s[6:7]
	s_xor_b64 s[6:7], exec, s[8:9]
	s_cbranch_execnz .LBB24_4073
; %bb.2025:
	s_or_saveexec_b64 s[6:7], s[6:7]
	v_mov_b32_e32 v0, s10
	s_xor_b64 exec, exec, s[6:7]
	s_cbranch_execnz .LBB24_4076
.LBB24_2026:
	s_or_b64 exec, exec, s[6:7]
	s_and_saveexec_b64 s[6:7], s[4:5]
	s_cbranch_execz .LBB24_2028
.LBB24_2027:
	v_bfe_u32 v0, v7, 8, 3
	v_ffbh_u32_e32 v4, v0
	v_min_u32_e32 v4, 32, v4
	v_lshrrev_b16_e32 v2, 3, v1
	v_subrev_u32_e32 v5, 28, v4
	v_and_b32_e32 v2, 15, v2
	v_lshlrev_b32_e32 v1, v5, v1
	v_sub_u32_e32 v4, 29, v4
	v_and_b32_e32 v1, 7, v1
	v_cmp_eq_u16_e32 vcc, 0, v2
	v_cndmask_b32_e32 v0, v0, v1, vcc
	v_cndmask_b32_e32 v1, v2, v4, vcc
	v_lshlrev_b32_e32 v2, 16, v7
	v_mov_b32_e32 v4, 0x3b800000
	v_lshlrev_b32_e32 v0, 20, v0
	v_and_b32_e32 v2, 0x80000000, v2
	v_lshl_add_u32 v1, v1, 23, v4
	v_or3_b32 v0, v2, v1, v0
.LBB24_2028:
	s_or_b64 exec, exec, s[6:7]
	v_lshrrev_b32_e32 v1, 8, v3
	s_movk_i32 s4, 0x7f
	v_cmp_gt_i16_sdwa s[6:7], v1, s4 src0_sel:BYTE_0 src1_sel:DWORD
	s_mov_b64 s[4:5], 0
                                        ; implicit-def: $sgpr10
	s_and_saveexec_b64 s[8:9], s[6:7]
	s_xor_b64 s[6:7], exec, s[8:9]
	s_cbranch_execnz .LBB24_4077
; %bb.2029:
	s_or_saveexec_b64 s[6:7], s[6:7]
	v_mov_b32_e32 v2, s10
	s_xor_b64 exec, exec, s[6:7]
	s_cbranch_execnz .LBB24_4080
.LBB24_2030:
	s_or_b64 exec, exec, s[6:7]
	s_and_saveexec_b64 s[6:7], s[4:5]
	s_cbranch_execz .LBB24_2032
.LBB24_2031:
	v_bfe_u32 v2, v3, 8, 3
	v_ffbh_u32_e32 v5, v2
	v_min_u32_e32 v5, 32, v5
	v_lshrrev_b16_e32 v4, 3, v1
	v_subrev_u32_e32 v6, 28, v5
	v_and_b32_e32 v4, 15, v4
	v_lshlrev_b32_e32 v1, v6, v1
	v_sub_u32_e32 v5, 29, v5
	v_and_b32_e32 v1, 7, v1
	v_cmp_eq_u16_e32 vcc, 0, v4
	v_cndmask_b32_e32 v1, v2, v1, vcc
	v_cndmask_b32_e32 v2, v4, v5, vcc
	v_lshlrev_b32_e32 v4, 16, v3
	v_mov_b32_e32 v5, 0x3b800000
	v_lshlrev_b32_e32 v1, 20, v1
	v_and_b32_e32 v4, 0x80000000, v4
	v_lshl_add_u32 v2, v2, 23, v5
	v_or3_b32 v2, v4, v2, v1
.LBB24_2032:
	s_or_b64 exec, exec, s[6:7]
	s_nop 0
	v_mfma_f32_16x16x4f32 a[0:3], v0, v2, a[0:3]
	s_movk_i32 s4, 0xff
	v_and_b32_sdwa v1, v7, s4 dst_sel:DWORD dst_unused:UNUSED_PAD src0_sel:WORD_1 src1_sel:DWORD
	s_movk_i32 s4, 0x7f
	v_cmp_lt_i16_e32 vcc, s4, v1
	s_mov_b64 s[4:5], 0
                                        ; implicit-def: $sgpr10
	s_and_saveexec_b64 s[6:7], vcc
	s_xor_b64 s[6:7], exec, s[6:7]
	s_cbranch_execnz .LBB24_4081
; %bb.2033:
	s_or_saveexec_b64 s[6:7], s[6:7]
	v_mov_b32_e32 v0, s10
	s_xor_b64 exec, exec, s[6:7]
	s_cbranch_execnz .LBB24_4084
.LBB24_2034:
	s_or_b64 exec, exec, s[6:7]
	s_and_saveexec_b64 s[6:7], s[4:5]
	s_cbranch_execz .LBB24_2036
.LBB24_2035:
	v_bfe_u32 v0, v7, 16, 3
	v_ffbh_u32_e32 v4, v0
	v_min_u32_e32 v4, 32, v4
	v_lshrrev_b32_e32 v1, 19, v7
	v_subrev_u32_e32 v5, 28, v4
	v_and_b32_e32 v1, 15, v1
	v_lshlrev_b32_sdwa v5, v5, v7 dst_sel:DWORD dst_unused:UNUSED_PAD src0_sel:DWORD src1_sel:WORD_1
	v_bfe_u32 v2, v7, 19, 4
	v_sub_u32_e32 v4, 29, v4
	v_and_b32_e32 v5, 7, v5
	v_cmp_eq_u16_e32 vcc, 0, v1
	v_cndmask_b32_e32 v0, v0, v5, vcc
	v_cndmask_b32_e32 v1, v2, v4, vcc
	v_lshlrev_b32_e32 v2, 8, v7
	v_mov_b32_e32 v4, 0x3b800000
	v_lshlrev_b32_e32 v0, 20, v0
	v_and_b32_e32 v2, 0x80000000, v2
	v_lshl_add_u32 v1, v1, 23, v4
	v_or3_b32 v0, v2, v1, v0
.LBB24_2036:
	s_or_b64 exec, exec, s[6:7]
	s_movk_i32 s4, 0xff
	v_and_b32_sdwa v1, v3, s4 dst_sel:DWORD dst_unused:UNUSED_PAD src0_sel:WORD_1 src1_sel:DWORD
	s_movk_i32 s4, 0x7f
	v_cmp_lt_i16_e32 vcc, s4, v1
	s_mov_b64 s[4:5], 0
                                        ; implicit-def: $sgpr10
	s_and_saveexec_b64 s[6:7], vcc
	s_xor_b64 s[6:7], exec, s[6:7]
	s_cbranch_execnz .LBB24_4085
; %bb.2037:
	s_or_saveexec_b64 s[6:7], s[6:7]
	v_mov_b32_e32 v2, s10
	s_xor_b64 exec, exec, s[6:7]
	s_cbranch_execnz .LBB24_4088
.LBB24_2038:
	s_or_b64 exec, exec, s[6:7]
	s_and_saveexec_b64 s[6:7], s[4:5]
	s_cbranch_execz .LBB24_2040
.LBB24_2039:
	v_bfe_u32 v1, v3, 16, 3
	v_ffbh_u32_e32 v5, v1
	v_min_u32_e32 v5, 32, v5
	v_lshrrev_b32_e32 v2, 19, v3
	v_subrev_u32_e32 v6, 28, v5
	v_and_b32_e32 v2, 15, v2
	v_lshlrev_b32_sdwa v6, v6, v3 dst_sel:DWORD dst_unused:UNUSED_PAD src0_sel:DWORD src1_sel:WORD_1
	v_bfe_u32 v4, v3, 19, 4
	v_sub_u32_e32 v5, 29, v5
	v_and_b32_e32 v6, 7, v6
	v_cmp_eq_u16_e32 vcc, 0, v2
	v_cndmask_b32_e32 v1, v1, v6, vcc
	v_cndmask_b32_e32 v2, v4, v5, vcc
	v_lshlrev_b32_e32 v4, 8, v3
	v_mov_b32_e32 v5, 0x3b800000
	v_lshlrev_b32_e32 v1, 20, v1
	v_and_b32_e32 v4, 0x80000000, v4
	v_lshl_add_u32 v2, v2, 23, v5
	v_or3_b32 v2, v4, v2, v1
.LBB24_2040:
	s_or_b64 exec, exec, s[6:7]
	s_nop 0
	v_mfma_f32_16x16x4f32 a[0:3], v0, v2, a[0:3]
	s_movk_i32 s4, 0x7f
	v_cmp_gt_i16_sdwa s[6:7], v7, s4 src0_sel:BYTE_3 src1_sel:DWORD
	s_mov_b64 s[4:5], 0
                                        ; implicit-def: $sgpr10
	s_and_saveexec_b64 s[8:9], s[6:7]
	s_xor_b64 s[6:7], exec, s[8:9]
	s_cbranch_execnz .LBB24_4089
; %bb.2041:
	s_or_saveexec_b64 s[6:7], s[6:7]
	v_mov_b32_e32 v0, s10
	s_xor_b64 exec, exec, s[6:7]
	s_cbranch_execnz .LBB24_4092
.LBB24_2042:
	s_or_b64 exec, exec, s[6:7]
	s_and_saveexec_b64 s[6:7], s[4:5]
	s_cbranch_execz .LBB24_2044
.LBB24_2043:
	v_bfe_u32 v0, v7, 24, 3
	v_ffbh_u32_e32 v5, v0
	v_min_u32_e32 v5, 32, v5
	v_lshrrev_b32_e32 v2, 27, v7
	v_subrev_u32_e32 v6, 28, v5
	v_and_b32_e32 v2, 15, v2
	v_lshlrev_b32_sdwa v6, v6, v7 dst_sel:DWORD dst_unused:UNUSED_PAD src0_sel:DWORD src1_sel:BYTE_3
	v_bfe_u32 v4, v7, 27, 4
	v_sub_u32_e32 v5, 29, v5
	v_and_b32_e32 v6, 7, v6
	v_cmp_eq_u16_e32 vcc, 0, v2
	v_cndmask_b32_e32 v0, v0, v6, vcc
	v_cndmask_b32_e32 v2, v4, v5, vcc
	v_mov_b32_e32 v4, 0x3b800000
	v_and_b32_e32 v1, 0x80000000, v7
	v_lshlrev_b32_e32 v0, 20, v0
	v_lshl_add_u32 v2, v2, 23, v4
	v_or3_b32 v0, v1, v2, v0
.LBB24_2044:
	s_or_b64 exec, exec, s[6:7]
	s_movk_i32 s4, 0x7f
	v_cmp_gt_i16_sdwa s[6:7], v3, s4 src0_sel:BYTE_3 src1_sel:DWORD
	s_mov_b64 s[4:5], 0
                                        ; implicit-def: $sgpr10
	s_and_saveexec_b64 s[8:9], s[6:7]
	s_xor_b64 s[6:7], exec, s[8:9]
	s_cbranch_execnz .LBB24_4093
; %bb.2045:
	s_or_saveexec_b64 s[6:7], s[6:7]
	v_mov_b32_e32 v1, s10
	s_xor_b64 exec, exec, s[6:7]
	s_cbranch_execnz .LBB24_4096
.LBB24_2046:
	s_or_b64 exec, exec, s[6:7]
	s_and_saveexec_b64 s[6:7], s[4:5]
	s_cbranch_execz .LBB24_2048
.LBB24_2047:
	v_bfe_u32 v1, v3, 24, 3
	v_ffbh_u32_e32 v6, v1
	v_min_u32_e32 v6, 32, v6
	v_lshrrev_b32_e32 v4, 27, v3
	v_subrev_u32_e32 v7, 28, v6
	v_and_b32_e32 v2, 0x80000000, v3
	v_and_b32_e32 v4, 15, v4
	v_bfe_u32 v5, v3, 27, 4
	v_lshlrev_b32_sdwa v3, v7, v3 dst_sel:DWORD dst_unused:UNUSED_PAD src0_sel:DWORD src1_sel:BYTE_3
	v_sub_u32_e32 v6, 29, v6
	v_and_b32_e32 v3, 7, v3
	v_cmp_eq_u16_e32 vcc, 0, v4
	v_cndmask_b32_e32 v1, v1, v3, vcc
	v_cndmask_b32_e32 v3, v5, v6, vcc
	v_mov_b32_e32 v4, 0x3b800000
	v_lshlrev_b32_e32 v1, 20, v1
	v_lshl_add_u32 v3, v3, 23, v4
	v_or3_b32 v1, v2, v3, v1
.LBB24_2048:
	s_or_b64 exec, exec, s[6:7]
	s_nop 0
	v_mfma_f32_16x16x4f32 a[0:3], v0, v1, a[0:3]
	s_nop 7
	s_nop 2
	flat_store_dwordx4 v[16:17], a[0:3] offset:880
	s_waitcnt vmcnt(0) lgkmcnt(0)
	s_setpc_b64 s[30:31]
.LBB24_2049:
	s_movk_i32 s4, 0x80
	v_cmp_eq_u16_sdwa s[12:13], v14, s4 src0_sel:BYTE_0 src1_sel:DWORD
	s_mov_b64 s[4:5], -1
                                        ; implicit-def: $sgpr10
	s_and_saveexec_b64 s[8:9], s[12:13]
; %bb.2050:
	s_mov_b32 s10, 0x7f800001
	s_xor_b64 s[4:5], exec, -1
; %bb.2051:
	s_or_b64 exec, exec, s[8:9]
	s_and_b64 s[4:5], s[4:5], exec
	s_or_saveexec_b64 s[6:7], s[6:7]
	v_mov_b32_e32 v20, s10
	s_xor_b64 exec, exec, s[6:7]
	s_cbranch_execz .LBB24_2
.LBB24_2052:
	v_mov_b32_e32 v20, 0
	v_cmp_ne_u16_sdwa s[8:9], v14, v20 src0_sel:BYTE_0 src1_sel:DWORD
	s_andn2_b64 s[4:5], s[4:5], exec
	s_and_b64 s[8:9], s[8:9], exec
	s_or_b64 s[4:5], s[4:5], s[8:9]
	s_or_b64 exec, exec, s[6:7]
	s_and_saveexec_b64 s[6:7], s[4:5]
	s_cbranch_execnz .LBB24_3
	s_branch .LBB24_4
.LBB24_2053:
	s_movk_i32 s4, 0x80
	v_cmp_eq_u16_sdwa s[12:13], v10, s4 src0_sel:BYTE_0 src1_sel:DWORD
	s_mov_b64 s[4:5], -1
                                        ; implicit-def: $sgpr10
	s_and_saveexec_b64 s[8:9], s[12:13]
; %bb.2054:
	s_mov_b32 s10, 0x7f800001
	s_xor_b64 s[4:5], exec, -1
; %bb.2055:
	s_or_b64 exec, exec, s[8:9]
	s_and_b64 s[4:5], s[4:5], exec
	s_or_saveexec_b64 s[6:7], s[6:7]
	v_mov_b32_e32 v21, s10
	s_xor_b64 exec, exec, s[6:7]
	s_cbranch_execz .LBB24_6
.LBB24_2056:
	v_mov_b32_e32 v21, 0
	v_cmp_ne_u16_sdwa s[8:9], v10, v21 src0_sel:BYTE_0 src1_sel:DWORD
	s_andn2_b64 s[4:5], s[4:5], exec
	s_and_b64 s[8:9], s[8:9], exec
	s_or_b64 s[4:5], s[4:5], s[8:9]
	s_or_b64 exec, exec, s[6:7]
	s_and_saveexec_b64 s[6:7], s[4:5]
	s_cbranch_execnz .LBB24_7
	s_branch .LBB24_8
.LBB24_2057:
	s_movk_i32 s4, 0x80
	v_cmp_eq_u16_sdwa s[12:13], v21, s4 src0_sel:BYTE_0 src1_sel:DWORD
	s_mov_b64 s[4:5], -1
                                        ; implicit-def: $sgpr10
	s_and_saveexec_b64 s[8:9], s[12:13]
; %bb.2058:
	s_mov_b32 s10, 0x7f800001
	s_xor_b64 s[4:5], exec, -1
; %bb.2059:
	s_or_b64 exec, exec, s[8:9]
	s_and_b64 s[4:5], s[4:5], exec
	s_or_saveexec_b64 s[6:7], s[6:7]
	v_mov_b32_e32 v20, s10
	s_xor_b64 exec, exec, s[6:7]
	s_cbranch_execz .LBB24_10
.LBB24_2060:
	v_mov_b32_e32 v20, 0
	v_cmp_ne_u16_sdwa s[8:9], v21, v20 src0_sel:BYTE_0 src1_sel:DWORD
	s_andn2_b64 s[4:5], s[4:5], exec
	s_and_b64 s[8:9], s[8:9], exec
	s_or_b64 s[4:5], s[4:5], s[8:9]
	s_or_b64 exec, exec, s[6:7]
	s_and_saveexec_b64 s[6:7], s[4:5]
	s_cbranch_execnz .LBB24_11
	s_branch .LBB24_12
.LBB24_2061:
	s_movk_i32 s4, 0x80
	v_cmp_eq_u16_sdwa s[12:13], v21, s4 src0_sel:BYTE_0 src1_sel:DWORD
	s_mov_b64 s[4:5], -1
                                        ; implicit-def: $sgpr10
	s_and_saveexec_b64 s[8:9], s[12:13]
; %bb.2062:
	s_mov_b32 s10, 0x7f800001
	s_xor_b64 s[4:5], exec, -1
; %bb.2063:
	s_or_b64 exec, exec, s[8:9]
	s_and_b64 s[4:5], s[4:5], exec
	s_or_saveexec_b64 s[6:7], s[6:7]
	v_mov_b32_e32 v22, s10
	s_xor_b64 exec, exec, s[6:7]
	s_cbranch_execz .LBB24_14
.LBB24_2064:
	v_mov_b32_e32 v22, 0
	v_cmp_ne_u16_sdwa s[8:9], v21, v22 src0_sel:BYTE_0 src1_sel:DWORD
	s_andn2_b64 s[4:5], s[4:5], exec
	s_and_b64 s[8:9], s[8:9], exec
	s_or_b64 s[4:5], s[4:5], s[8:9]
	s_or_b64 exec, exec, s[6:7]
	s_and_saveexec_b64 s[6:7], s[4:5]
	s_cbranch_execnz .LBB24_15
	s_branch .LBB24_16
.LBB24_2065:
	s_movk_i32 s4, 0x80
	v_cmp_eq_u16_e32 vcc, s4, v21
	s_mov_b64 s[4:5], -1
                                        ; implicit-def: $sgpr10
	s_and_saveexec_b64 s[8:9], vcc
; %bb.2066:
	s_mov_b32 s10, 0x7f800001
	s_xor_b64 s[4:5], exec, -1
; %bb.2067:
	s_or_b64 exec, exec, s[8:9]
	s_and_b64 s[4:5], s[4:5], exec
                                        ; implicit-def: $vgpr21
	s_or_saveexec_b64 s[6:7], s[6:7]
	v_mov_b32_e32 v20, s10
	s_xor_b64 exec, exec, s[6:7]
	s_cbranch_execz .LBB24_18
.LBB24_2068:
	v_cmp_ne_u16_e32 vcc, 0, v21
	s_andn2_b64 s[4:5], s[4:5], exec
	s_and_b64 s[8:9], vcc, exec
	v_mov_b32_e32 v20, 0
	s_or_b64 s[4:5], s[4:5], s[8:9]
	s_or_b64 exec, exec, s[6:7]
	s_and_saveexec_b64 s[6:7], s[4:5]
	s_cbranch_execnz .LBB24_19
	s_branch .LBB24_20
.LBB24_2069:
	s_movk_i32 s4, 0x80
	v_cmp_eq_u16_e32 vcc, s4, v21
	s_mov_b64 s[4:5], -1
                                        ; implicit-def: $sgpr10
	s_and_saveexec_b64 s[8:9], vcc
; %bb.2070:
	s_mov_b32 s10, 0x7f800001
	s_xor_b64 s[4:5], exec, -1
; %bb.2071:
	s_or_b64 exec, exec, s[8:9]
	s_and_b64 s[4:5], s[4:5], exec
                                        ; implicit-def: $vgpr21
	s_or_saveexec_b64 s[6:7], s[6:7]
	v_mov_b32_e32 v22, s10
	s_xor_b64 exec, exec, s[6:7]
	s_cbranch_execz .LBB24_22
.LBB24_2072:
	v_cmp_ne_u16_e32 vcc, 0, v21
	s_andn2_b64 s[4:5], s[4:5], exec
	s_and_b64 s[8:9], vcc, exec
	v_mov_b32_e32 v22, 0
	s_or_b64 s[4:5], s[4:5], s[8:9]
	s_or_b64 exec, exec, s[6:7]
	s_and_saveexec_b64 s[6:7], s[4:5]
	s_cbranch_execnz .LBB24_23
	s_branch .LBB24_24
.LBB24_2073:
	s_movk_i32 s4, 0x80
	v_cmp_eq_u16_sdwa s[12:13], v14, s4 src0_sel:BYTE_3 src1_sel:DWORD
	s_mov_b64 s[4:5], -1
                                        ; implicit-def: $sgpr10
	s_and_saveexec_b64 s[8:9], s[12:13]
; %bb.2074:
	s_mov_b32 s10, 0x7f800001
	s_xor_b64 s[4:5], exec, -1
; %bb.2075:
	s_or_b64 exec, exec, s[8:9]
	s_and_b64 s[4:5], s[4:5], exec
	s_or_saveexec_b64 s[6:7], s[6:7]
	v_mov_b32_e32 v20, s10
	s_xor_b64 exec, exec, s[6:7]
	s_cbranch_execz .LBB24_26
.LBB24_2076:
	v_mov_b32_e32 v20, 0
	v_cmp_ne_u16_sdwa s[8:9], v14, v20 src0_sel:BYTE_3 src1_sel:DWORD
	s_andn2_b64 s[4:5], s[4:5], exec
	s_and_b64 s[8:9], s[8:9], exec
	s_or_b64 s[4:5], s[4:5], s[8:9]
	s_or_b64 exec, exec, s[6:7]
	s_and_saveexec_b64 s[6:7], s[4:5]
	s_cbranch_execnz .LBB24_27
	s_branch .LBB24_28
.LBB24_2077:
	s_movk_i32 s4, 0x80
	v_cmp_eq_u16_sdwa s[12:13], v10, s4 src0_sel:BYTE_3 src1_sel:DWORD
	s_mov_b64 s[4:5], -1
                                        ; implicit-def: $sgpr10
	s_and_saveexec_b64 s[8:9], s[12:13]
; %bb.2078:
	s_mov_b32 s10, 0x7f800001
	s_xor_b64 s[4:5], exec, -1
; %bb.2079:
	s_or_b64 exec, exec, s[8:9]
	s_and_b64 s[4:5], s[4:5], exec
	s_or_saveexec_b64 s[6:7], s[6:7]
	v_mov_b32_e32 v14, s10
	s_xor_b64 exec, exec, s[6:7]
	s_cbranch_execz .LBB24_30
.LBB24_2080:
	v_mov_b32_e32 v14, 0
	v_cmp_ne_u16_sdwa s[8:9], v10, v14 src0_sel:BYTE_3 src1_sel:DWORD
	s_andn2_b64 s[4:5], s[4:5], exec
	s_and_b64 s[8:9], s[8:9], exec
	s_or_b64 s[4:5], s[4:5], s[8:9]
	s_or_b64 exec, exec, s[6:7]
	s_and_saveexec_b64 s[6:7], s[4:5]
	s_cbranch_execnz .LBB24_31
	s_branch .LBB24_32
.LBB24_2081:
	s_movk_i32 s4, 0x80
	v_cmp_eq_u16_sdwa s[12:13], v15, s4 src0_sel:BYTE_0 src1_sel:DWORD
	s_mov_b64 s[4:5], -1
                                        ; implicit-def: $sgpr10
	s_and_saveexec_b64 s[8:9], s[12:13]
; %bb.2082:
	s_mov_b32 s10, 0x7f800001
	s_xor_b64 s[4:5], exec, -1
; %bb.2083:
	s_or_b64 exec, exec, s[8:9]
	s_and_b64 s[4:5], s[4:5], exec
	s_or_saveexec_b64 s[6:7], s[6:7]
	v_mov_b32_e32 v10, s10
	s_xor_b64 exec, exec, s[6:7]
	s_cbranch_execz .LBB24_34
.LBB24_2084:
	v_mov_b32_e32 v10, 0
	v_cmp_ne_u16_sdwa s[8:9], v15, v10 src0_sel:BYTE_0 src1_sel:DWORD
	s_andn2_b64 s[4:5], s[4:5], exec
	s_and_b64 s[8:9], s[8:9], exec
	s_or_b64 s[4:5], s[4:5], s[8:9]
	s_or_b64 exec, exec, s[6:7]
	s_and_saveexec_b64 s[6:7], s[4:5]
	s_cbranch_execnz .LBB24_35
	s_branch .LBB24_36
.LBB24_2085:
	s_movk_i32 s4, 0x80
	v_cmp_eq_u16_sdwa s[12:13], v11, s4 src0_sel:BYTE_0 src1_sel:DWORD
	s_mov_b64 s[4:5], -1
                                        ; implicit-def: $sgpr10
	s_and_saveexec_b64 s[8:9], s[12:13]
; %bb.2086:
	s_mov_b32 s10, 0x7f800001
	s_xor_b64 s[4:5], exec, -1
; %bb.2087:
	s_or_b64 exec, exec, s[8:9]
	s_and_b64 s[4:5], s[4:5], exec
	s_or_saveexec_b64 s[6:7], s[6:7]
	v_mov_b32_e32 v14, s10
	s_xor_b64 exec, exec, s[6:7]
	s_cbranch_execz .LBB24_38
.LBB24_2088:
	v_mov_b32_e32 v14, 0
	v_cmp_ne_u16_sdwa s[8:9], v11, v14 src0_sel:BYTE_0 src1_sel:DWORD
	s_andn2_b64 s[4:5], s[4:5], exec
	s_and_b64 s[8:9], s[8:9], exec
	s_or_b64 s[4:5], s[4:5], s[8:9]
	s_or_b64 exec, exec, s[6:7]
	s_and_saveexec_b64 s[6:7], s[4:5]
	s_cbranch_execnz .LBB24_39
	s_branch .LBB24_40
.LBB24_2089:
	s_movk_i32 s4, 0x80
	v_cmp_eq_u16_sdwa s[12:13], v14, s4 src0_sel:BYTE_0 src1_sel:DWORD
	s_mov_b64 s[4:5], -1
                                        ; implicit-def: $sgpr10
	s_and_saveexec_b64 s[8:9], s[12:13]
; %bb.2090:
	s_mov_b32 s10, 0x7f800001
	s_xor_b64 s[4:5], exec, -1
; %bb.2091:
	s_or_b64 exec, exec, s[8:9]
	s_and_b64 s[4:5], s[4:5], exec
	s_or_saveexec_b64 s[6:7], s[6:7]
	v_mov_b32_e32 v10, s10
	s_xor_b64 exec, exec, s[6:7]
	s_cbranch_execz .LBB24_42
.LBB24_2092:
	v_mov_b32_e32 v10, 0
	v_cmp_ne_u16_sdwa s[8:9], v14, v10 src0_sel:BYTE_0 src1_sel:DWORD
	s_andn2_b64 s[4:5], s[4:5], exec
	s_and_b64 s[8:9], s[8:9], exec
	s_or_b64 s[4:5], s[4:5], s[8:9]
	s_or_b64 exec, exec, s[6:7]
	s_and_saveexec_b64 s[6:7], s[4:5]
	s_cbranch_execnz .LBB24_43
	s_branch .LBB24_44
.LBB24_2093:
	s_movk_i32 s4, 0x80
	v_cmp_eq_u16_sdwa s[12:13], v14, s4 src0_sel:BYTE_0 src1_sel:DWORD
	s_mov_b64 s[4:5], -1
                                        ; implicit-def: $sgpr10
	s_and_saveexec_b64 s[8:9], s[12:13]
; %bb.2094:
	s_mov_b32 s10, 0x7f800001
	s_xor_b64 s[4:5], exec, -1
; %bb.2095:
	s_or_b64 exec, exec, s[8:9]
	s_and_b64 s[4:5], s[4:5], exec
	s_or_saveexec_b64 s[6:7], s[6:7]
	v_mov_b32_e32 v20, s10
	s_xor_b64 exec, exec, s[6:7]
	s_cbranch_execz .LBB24_46
.LBB24_2096:
	v_mov_b32_e32 v20, 0
	v_cmp_ne_u16_sdwa s[8:9], v14, v20 src0_sel:BYTE_0 src1_sel:DWORD
	s_andn2_b64 s[4:5], s[4:5], exec
	s_and_b64 s[8:9], s[8:9], exec
	s_or_b64 s[4:5], s[4:5], s[8:9]
	s_or_b64 exec, exec, s[6:7]
	s_and_saveexec_b64 s[6:7], s[4:5]
	s_cbranch_execnz .LBB24_47
	s_branch .LBB24_48
.LBB24_2097:
	s_movk_i32 s4, 0x80
	v_cmp_eq_u16_e32 vcc, s4, v14
	s_mov_b64 s[4:5], -1
                                        ; implicit-def: $sgpr10
	s_and_saveexec_b64 s[8:9], vcc
; %bb.2098:
	s_mov_b32 s10, 0x7f800001
	s_xor_b64 s[4:5], exec, -1
; %bb.2099:
	s_or_b64 exec, exec, s[8:9]
	s_and_b64 s[4:5], s[4:5], exec
                                        ; implicit-def: $vgpr14
	s_or_saveexec_b64 s[6:7], s[6:7]
	v_mov_b32_e32 v10, s10
	s_xor_b64 exec, exec, s[6:7]
	s_cbranch_execz .LBB24_50
.LBB24_2100:
	v_cmp_ne_u16_e32 vcc, 0, v14
	s_andn2_b64 s[4:5], s[4:5], exec
	s_and_b64 s[8:9], vcc, exec
	v_mov_b32_e32 v10, 0
	s_or_b64 s[4:5], s[4:5], s[8:9]
	s_or_b64 exec, exec, s[6:7]
	s_and_saveexec_b64 s[6:7], s[4:5]
	s_cbranch_execnz .LBB24_51
	s_branch .LBB24_52
.LBB24_2101:
	s_movk_i32 s4, 0x80
	v_cmp_eq_u16_e32 vcc, s4, v14
	s_mov_b64 s[4:5], -1
                                        ; implicit-def: $sgpr10
	s_and_saveexec_b64 s[8:9], vcc
; %bb.2102:
	s_mov_b32 s10, 0x7f800001
	s_xor_b64 s[4:5], exec, -1
; %bb.2103:
	s_or_b64 exec, exec, s[8:9]
	s_and_b64 s[4:5], s[4:5], exec
                                        ; implicit-def: $vgpr14
	s_or_saveexec_b64 s[6:7], s[6:7]
	v_mov_b32_e32 v20, s10
	s_xor_b64 exec, exec, s[6:7]
	s_cbranch_execz .LBB24_54
.LBB24_2104:
	v_cmp_ne_u16_e32 vcc, 0, v14
	s_andn2_b64 s[4:5], s[4:5], exec
	s_and_b64 s[8:9], vcc, exec
	v_mov_b32_e32 v20, 0
	s_or_b64 s[4:5], s[4:5], s[8:9]
	s_or_b64 exec, exec, s[6:7]
	s_and_saveexec_b64 s[6:7], s[4:5]
	s_cbranch_execnz .LBB24_55
	s_branch .LBB24_56
.LBB24_2105:
	s_movk_i32 s4, 0x80
	v_cmp_eq_u16_sdwa s[12:13], v15, s4 src0_sel:BYTE_3 src1_sel:DWORD
	s_mov_b64 s[4:5], -1
                                        ; implicit-def: $sgpr10
	s_and_saveexec_b64 s[8:9], s[12:13]
; %bb.2106:
	s_mov_b32 s10, 0x7f800001
	s_xor_b64 s[4:5], exec, -1
; %bb.2107:
	s_or_b64 exec, exec, s[8:9]
	s_and_b64 s[4:5], s[4:5], exec
	s_or_saveexec_b64 s[6:7], s[6:7]
	v_mov_b32_e32 v10, s10
	s_xor_b64 exec, exec, s[6:7]
	s_cbranch_execz .LBB24_58
.LBB24_2108:
	v_mov_b32_e32 v10, 0
	v_cmp_ne_u16_sdwa s[8:9], v15, v10 src0_sel:BYTE_3 src1_sel:DWORD
	s_andn2_b64 s[4:5], s[4:5], exec
	s_and_b64 s[8:9], s[8:9], exec
	s_or_b64 s[4:5], s[4:5], s[8:9]
	s_or_b64 exec, exec, s[6:7]
	s_and_saveexec_b64 s[6:7], s[4:5]
	s_cbranch_execnz .LBB24_59
	s_branch .LBB24_60
.LBB24_2109:
	s_movk_i32 s4, 0x80
	v_cmp_eq_u16_sdwa s[12:13], v11, s4 src0_sel:BYTE_3 src1_sel:DWORD
	s_mov_b64 s[4:5], -1
                                        ; implicit-def: $sgpr10
	s_and_saveexec_b64 s[8:9], s[12:13]
; %bb.2110:
	s_mov_b32 s10, 0x7f800001
	s_xor_b64 s[4:5], exec, -1
; %bb.2111:
	s_or_b64 exec, exec, s[8:9]
	s_and_b64 s[4:5], s[4:5], exec
	s_or_saveexec_b64 s[6:7], s[6:7]
	v_mov_b32_e32 v14, s10
	s_xor_b64 exec, exec, s[6:7]
	s_cbranch_execz .LBB24_62
.LBB24_2112:
	v_mov_b32_e32 v14, 0
	v_cmp_ne_u16_sdwa s[8:9], v11, v14 src0_sel:BYTE_3 src1_sel:DWORD
	s_andn2_b64 s[4:5], s[4:5], exec
	s_and_b64 s[8:9], s[8:9], exec
	s_or_b64 s[4:5], s[4:5], s[8:9]
	s_or_b64 exec, exec, s[6:7]
	s_and_saveexec_b64 s[6:7], s[4:5]
	s_cbranch_execnz .LBB24_63
	s_branch .LBB24_64
.LBB24_2113:
	s_movk_i32 s4, 0x80
	v_cmp_eq_u16_sdwa s[12:13], v16, s4 src0_sel:BYTE_0 src1_sel:DWORD
	s_mov_b64 s[4:5], -1
                                        ; implicit-def: $sgpr10
	s_and_saveexec_b64 s[8:9], s[12:13]
; %bb.2114:
	s_mov_b32 s10, 0x7f800001
	s_xor_b64 s[4:5], exec, -1
; %bb.2115:
	s_or_b64 exec, exec, s[8:9]
	s_and_b64 s[4:5], s[4:5], exec
	s_or_saveexec_b64 s[6:7], s[6:7]
	v_mov_b32_e32 v10, s10
	s_xor_b64 exec, exec, s[6:7]
	s_cbranch_execz .LBB24_66
.LBB24_2116:
	v_mov_b32_e32 v10, 0
	v_cmp_ne_u16_sdwa s[8:9], v16, v10 src0_sel:BYTE_0 src1_sel:DWORD
	s_andn2_b64 s[4:5], s[4:5], exec
	s_and_b64 s[8:9], s[8:9], exec
	s_or_b64 s[4:5], s[4:5], s[8:9]
	s_or_b64 exec, exec, s[6:7]
	s_and_saveexec_b64 s[6:7], s[4:5]
	s_cbranch_execnz .LBB24_67
	s_branch .LBB24_68
.LBB24_2117:
	s_movk_i32 s4, 0x80
	v_cmp_eq_u16_sdwa s[12:13], v12, s4 src0_sel:BYTE_0 src1_sel:DWORD
	s_mov_b64 s[4:5], -1
                                        ; implicit-def: $sgpr10
	s_and_saveexec_b64 s[8:9], s[12:13]
; %bb.2118:
	s_mov_b32 s10, 0x7f800001
	s_xor_b64 s[4:5], exec, -1
; %bb.2119:
	s_or_b64 exec, exec, s[8:9]
	s_and_b64 s[4:5], s[4:5], exec
	s_or_saveexec_b64 s[6:7], s[6:7]
	v_mov_b32_e32 v11, s10
	s_xor_b64 exec, exec, s[6:7]
	s_cbranch_execz .LBB24_70
.LBB24_2120:
	v_mov_b32_e32 v11, 0
	v_cmp_ne_u16_sdwa s[8:9], v12, v11 src0_sel:BYTE_0 src1_sel:DWORD
	s_andn2_b64 s[4:5], s[4:5], exec
	s_and_b64 s[8:9], s[8:9], exec
	s_or_b64 s[4:5], s[4:5], s[8:9]
	s_or_b64 exec, exec, s[6:7]
	s_and_saveexec_b64 s[6:7], s[4:5]
	s_cbranch_execnz .LBB24_71
	s_branch .LBB24_72
.LBB24_2121:
	s_movk_i32 s4, 0x80
	v_cmp_eq_u16_sdwa s[12:13], v11, s4 src0_sel:BYTE_0 src1_sel:DWORD
	s_mov_b64 s[4:5], -1
                                        ; implicit-def: $sgpr10
	s_and_saveexec_b64 s[8:9], s[12:13]
; %bb.2122:
	s_mov_b32 s10, 0x7f800001
	s_xor_b64 s[4:5], exec, -1
; %bb.2123:
	s_or_b64 exec, exec, s[8:9]
	s_and_b64 s[4:5], s[4:5], exec
	s_or_saveexec_b64 s[6:7], s[6:7]
	v_mov_b32_e32 v10, s10
	s_xor_b64 exec, exec, s[6:7]
	s_cbranch_execz .LBB24_74
.LBB24_2124:
	v_mov_b32_e32 v10, 0
	v_cmp_ne_u16_sdwa s[8:9], v11, v10 src0_sel:BYTE_0 src1_sel:DWORD
	s_andn2_b64 s[4:5], s[4:5], exec
	s_and_b64 s[8:9], s[8:9], exec
	s_or_b64 s[4:5], s[4:5], s[8:9]
	s_or_b64 exec, exec, s[6:7]
	s_and_saveexec_b64 s[6:7], s[4:5]
	s_cbranch_execnz .LBB24_75
	s_branch .LBB24_76
.LBB24_2125:
	s_movk_i32 s4, 0x80
	v_cmp_eq_u16_sdwa s[12:13], v11, s4 src0_sel:BYTE_0 src1_sel:DWORD
	s_mov_b64 s[4:5], -1
                                        ; implicit-def: $sgpr10
	s_and_saveexec_b64 s[8:9], s[12:13]
; %bb.2126:
	s_mov_b32 s10, 0x7f800001
	s_xor_b64 s[4:5], exec, -1
; %bb.2127:
	s_or_b64 exec, exec, s[8:9]
	s_and_b64 s[4:5], s[4:5], exec
	s_or_saveexec_b64 s[6:7], s[6:7]
	v_mov_b32_e32 v14, s10
	s_xor_b64 exec, exec, s[6:7]
	s_cbranch_execz .LBB24_78
.LBB24_2128:
	v_mov_b32_e32 v14, 0
	v_cmp_ne_u16_sdwa s[8:9], v11, v14 src0_sel:BYTE_0 src1_sel:DWORD
	s_andn2_b64 s[4:5], s[4:5], exec
	s_and_b64 s[8:9], s[8:9], exec
	s_or_b64 s[4:5], s[4:5], s[8:9]
	s_or_b64 exec, exec, s[6:7]
	s_and_saveexec_b64 s[6:7], s[4:5]
	s_cbranch_execnz .LBB24_79
	s_branch .LBB24_80
.LBB24_2129:
	s_movk_i32 s4, 0x80
	v_cmp_eq_u16_e32 vcc, s4, v11
	s_mov_b64 s[4:5], -1
                                        ; implicit-def: $sgpr10
	s_and_saveexec_b64 s[8:9], vcc
; %bb.2130:
	s_mov_b32 s10, 0x7f800001
	s_xor_b64 s[4:5], exec, -1
; %bb.2131:
	s_or_b64 exec, exec, s[8:9]
	s_and_b64 s[4:5], s[4:5], exec
                                        ; implicit-def: $vgpr11
	s_or_saveexec_b64 s[6:7], s[6:7]
	v_mov_b32_e32 v10, s10
	s_xor_b64 exec, exec, s[6:7]
	s_cbranch_execz .LBB24_82
.LBB24_2132:
	v_cmp_ne_u16_e32 vcc, 0, v11
	s_andn2_b64 s[4:5], s[4:5], exec
	s_and_b64 s[8:9], vcc, exec
	v_mov_b32_e32 v10, 0
	s_or_b64 s[4:5], s[4:5], s[8:9]
	s_or_b64 exec, exec, s[6:7]
	s_and_saveexec_b64 s[6:7], s[4:5]
	s_cbranch_execnz .LBB24_83
	s_branch .LBB24_84
.LBB24_2133:
	s_movk_i32 s4, 0x80
	v_cmp_eq_u16_e32 vcc, s4, v11
	s_mov_b64 s[4:5], -1
                                        ; implicit-def: $sgpr10
	s_and_saveexec_b64 s[8:9], vcc
; %bb.2134:
	s_mov_b32 s10, 0x7f800001
	s_xor_b64 s[4:5], exec, -1
; %bb.2135:
	s_or_b64 exec, exec, s[8:9]
	s_and_b64 s[4:5], s[4:5], exec
                                        ; implicit-def: $vgpr11
	s_or_saveexec_b64 s[6:7], s[6:7]
	v_mov_b32_e32 v14, s10
	s_xor_b64 exec, exec, s[6:7]
	s_cbranch_execz .LBB24_86
.LBB24_2136:
	v_cmp_ne_u16_e32 vcc, 0, v11
	s_andn2_b64 s[4:5], s[4:5], exec
	s_and_b64 s[8:9], vcc, exec
	v_mov_b32_e32 v14, 0
	s_or_b64 s[4:5], s[4:5], s[8:9]
	s_or_b64 exec, exec, s[6:7]
	s_and_saveexec_b64 s[6:7], s[4:5]
	s_cbranch_execnz .LBB24_87
	s_branch .LBB24_88
.LBB24_2137:
	s_movk_i32 s4, 0x80
	v_cmp_eq_u16_sdwa s[12:13], v16, s4 src0_sel:BYTE_3 src1_sel:DWORD
	s_mov_b64 s[4:5], -1
                                        ; implicit-def: $sgpr10
	s_and_saveexec_b64 s[8:9], s[12:13]
; %bb.2138:
	s_mov_b32 s10, 0x7f800001
	s_xor_b64 s[4:5], exec, -1
; %bb.2139:
	s_or_b64 exec, exec, s[8:9]
	s_and_b64 s[4:5], s[4:5], exec
	s_or_saveexec_b64 s[6:7], s[6:7]
	v_mov_b32_e32 v10, s10
	s_xor_b64 exec, exec, s[6:7]
	s_cbranch_execz .LBB24_90
.LBB24_2140:
	v_mov_b32_e32 v10, 0
	v_cmp_ne_u16_sdwa s[8:9], v16, v10 src0_sel:BYTE_3 src1_sel:DWORD
	s_andn2_b64 s[4:5], s[4:5], exec
	s_and_b64 s[8:9], s[8:9], exec
	s_or_b64 s[4:5], s[4:5], s[8:9]
	s_or_b64 exec, exec, s[6:7]
	s_and_saveexec_b64 s[6:7], s[4:5]
	s_cbranch_execnz .LBB24_91
	s_branch .LBB24_92
.LBB24_2141:
	s_movk_i32 s4, 0x80
	v_cmp_eq_u16_sdwa s[12:13], v12, s4 src0_sel:BYTE_3 src1_sel:DWORD
	s_mov_b64 s[4:5], -1
                                        ; implicit-def: $sgpr10
	s_and_saveexec_b64 s[8:9], s[12:13]
; %bb.2142:
	s_mov_b32 s10, 0x7f800001
	s_xor_b64 s[4:5], exec, -1
; %bb.2143:
	s_or_b64 exec, exec, s[8:9]
	s_and_b64 s[4:5], s[4:5], exec
	s_or_saveexec_b64 s[6:7], s[6:7]
	v_mov_b32_e32 v11, s10
	s_xor_b64 exec, exec, s[6:7]
	s_cbranch_execz .LBB24_94
.LBB24_2144:
	v_mov_b32_e32 v11, 0
	v_cmp_ne_u16_sdwa s[8:9], v12, v11 src0_sel:BYTE_3 src1_sel:DWORD
	s_andn2_b64 s[4:5], s[4:5], exec
	s_and_b64 s[8:9], s[8:9], exec
	s_or_b64 s[4:5], s[4:5], s[8:9]
	s_or_b64 exec, exec, s[6:7]
	s_and_saveexec_b64 s[6:7], s[4:5]
	s_cbranch_execnz .LBB24_95
	s_branch .LBB24_96
.LBB24_2145:
	s_movk_i32 s4, 0x80
	v_cmp_eq_u16_sdwa s[12:13], v17, s4 src0_sel:BYTE_0 src1_sel:DWORD
	s_mov_b64 s[4:5], -1
                                        ; implicit-def: $sgpr10
	s_and_saveexec_b64 s[8:9], s[12:13]
; %bb.2146:
	s_mov_b32 s10, 0x7f800001
	s_xor_b64 s[4:5], exec, -1
; %bb.2147:
	s_or_b64 exec, exec, s[8:9]
	s_and_b64 s[4:5], s[4:5], exec
	s_or_saveexec_b64 s[6:7], s[6:7]
	v_mov_b32_e32 v10, s10
	s_xor_b64 exec, exec, s[6:7]
	s_cbranch_execz .LBB24_98
.LBB24_2148:
	v_mov_b32_e32 v10, 0
	v_cmp_ne_u16_sdwa s[8:9], v17, v10 src0_sel:BYTE_0 src1_sel:DWORD
	s_andn2_b64 s[4:5], s[4:5], exec
	s_and_b64 s[8:9], s[8:9], exec
	s_or_b64 s[4:5], s[4:5], s[8:9]
	s_or_b64 exec, exec, s[6:7]
	s_and_saveexec_b64 s[6:7], s[4:5]
	s_cbranch_execnz .LBB24_99
	s_branch .LBB24_100
.LBB24_2149:
	s_movk_i32 s4, 0x80
	v_cmp_eq_u16_sdwa s[12:13], v13, s4 src0_sel:BYTE_0 src1_sel:DWORD
	s_mov_b64 s[4:5], -1
                                        ; implicit-def: $sgpr10
	s_and_saveexec_b64 s[8:9], s[12:13]
; %bb.2150:
	s_mov_b32 s10, 0x7f800001
	s_xor_b64 s[4:5], exec, -1
; %bb.2151:
	s_or_b64 exec, exec, s[8:9]
	s_and_b64 s[4:5], s[4:5], exec
	s_or_saveexec_b64 s[6:7], s[6:7]
	v_mov_b32_e32 v11, s10
	s_xor_b64 exec, exec, s[6:7]
	s_cbranch_execz .LBB24_102
.LBB24_2152:
	v_mov_b32_e32 v11, 0
	v_cmp_ne_u16_sdwa s[8:9], v13, v11 src0_sel:BYTE_0 src1_sel:DWORD
	s_andn2_b64 s[4:5], s[4:5], exec
	s_and_b64 s[8:9], s[8:9], exec
	s_or_b64 s[4:5], s[4:5], s[8:9]
	s_or_b64 exec, exec, s[6:7]
	s_and_saveexec_b64 s[6:7], s[4:5]
	s_cbranch_execnz .LBB24_103
	s_branch .LBB24_104
.LBB24_2153:
	s_movk_i32 s4, 0x80
	v_cmp_eq_u16_sdwa s[12:13], v11, s4 src0_sel:BYTE_0 src1_sel:DWORD
	s_mov_b64 s[4:5], -1
                                        ; implicit-def: $sgpr10
	s_and_saveexec_b64 s[8:9], s[12:13]
; %bb.2154:
	s_mov_b32 s10, 0x7f800001
	s_xor_b64 s[4:5], exec, -1
; %bb.2155:
	s_or_b64 exec, exec, s[8:9]
	s_and_b64 s[4:5], s[4:5], exec
	s_or_saveexec_b64 s[6:7], s[6:7]
	v_mov_b32_e32 v10, s10
	s_xor_b64 exec, exec, s[6:7]
	s_cbranch_execz .LBB24_106
.LBB24_2156:
	v_mov_b32_e32 v10, 0
	v_cmp_ne_u16_sdwa s[8:9], v11, v10 src0_sel:BYTE_0 src1_sel:DWORD
	s_andn2_b64 s[4:5], s[4:5], exec
	s_and_b64 s[8:9], s[8:9], exec
	s_or_b64 s[4:5], s[4:5], s[8:9]
	s_or_b64 exec, exec, s[6:7]
	s_and_saveexec_b64 s[6:7], s[4:5]
	s_cbranch_execnz .LBB24_107
	s_branch .LBB24_108
.LBB24_2157:
	s_movk_i32 s4, 0x80
	v_cmp_eq_u16_sdwa s[12:13], v11, s4 src0_sel:BYTE_0 src1_sel:DWORD
	s_mov_b64 s[4:5], -1
                                        ; implicit-def: $sgpr10
	s_and_saveexec_b64 s[8:9], s[12:13]
; %bb.2158:
	s_mov_b32 s10, 0x7f800001
	s_xor_b64 s[4:5], exec, -1
; %bb.2159:
	s_or_b64 exec, exec, s[8:9]
	s_and_b64 s[4:5], s[4:5], exec
	s_or_saveexec_b64 s[6:7], s[6:7]
	v_mov_b32_e32 v12, s10
	s_xor_b64 exec, exec, s[6:7]
	s_cbranch_execz .LBB24_110
.LBB24_2160:
	v_mov_b32_e32 v12, 0
	v_cmp_ne_u16_sdwa s[8:9], v11, v12 src0_sel:BYTE_0 src1_sel:DWORD
	s_andn2_b64 s[4:5], s[4:5], exec
	s_and_b64 s[8:9], s[8:9], exec
	s_or_b64 s[4:5], s[4:5], s[8:9]
	s_or_b64 exec, exec, s[6:7]
	s_and_saveexec_b64 s[6:7], s[4:5]
	s_cbranch_execnz .LBB24_111
	s_branch .LBB24_112
.LBB24_2161:
	s_movk_i32 s4, 0x80
	v_cmp_eq_u16_e32 vcc, s4, v11
	s_mov_b64 s[4:5], -1
                                        ; implicit-def: $sgpr10
	s_and_saveexec_b64 s[8:9], vcc
; %bb.2162:
	s_mov_b32 s10, 0x7f800001
	s_xor_b64 s[4:5], exec, -1
; %bb.2163:
	s_or_b64 exec, exec, s[8:9]
	s_and_b64 s[4:5], s[4:5], exec
                                        ; implicit-def: $vgpr11
	s_or_saveexec_b64 s[6:7], s[6:7]
	v_mov_b32_e32 v10, s10
	s_xor_b64 exec, exec, s[6:7]
	s_cbranch_execz .LBB24_114
.LBB24_2164:
	v_cmp_ne_u16_e32 vcc, 0, v11
	s_andn2_b64 s[4:5], s[4:5], exec
	s_and_b64 s[8:9], vcc, exec
	v_mov_b32_e32 v10, 0
	s_or_b64 s[4:5], s[4:5], s[8:9]
	s_or_b64 exec, exec, s[6:7]
	s_and_saveexec_b64 s[6:7], s[4:5]
	s_cbranch_execnz .LBB24_115
	s_branch .LBB24_116
.LBB24_2165:
	s_movk_i32 s4, 0x80
	v_cmp_eq_u16_e32 vcc, s4, v11
	s_mov_b64 s[4:5], -1
                                        ; implicit-def: $sgpr10
	s_and_saveexec_b64 s[8:9], vcc
; %bb.2166:
	s_mov_b32 s10, 0x7f800001
	s_xor_b64 s[4:5], exec, -1
; %bb.2167:
	s_or_b64 exec, exec, s[8:9]
	s_and_b64 s[4:5], s[4:5], exec
                                        ; implicit-def: $vgpr11
	s_or_saveexec_b64 s[6:7], s[6:7]
	v_mov_b32_e32 v12, s10
	s_xor_b64 exec, exec, s[6:7]
	s_cbranch_execz .LBB24_118
.LBB24_2168:
	v_cmp_ne_u16_e32 vcc, 0, v11
	s_andn2_b64 s[4:5], s[4:5], exec
	s_and_b64 s[8:9], vcc, exec
	v_mov_b32_e32 v12, 0
	s_or_b64 s[4:5], s[4:5], s[8:9]
	s_or_b64 exec, exec, s[6:7]
	s_and_saveexec_b64 s[6:7], s[4:5]
	s_cbranch_execnz .LBB24_119
	s_branch .LBB24_120
.LBB24_2169:
	s_movk_i32 s4, 0x80
	v_cmp_eq_u16_sdwa s[12:13], v17, s4 src0_sel:BYTE_3 src1_sel:DWORD
	s_mov_b64 s[4:5], -1
                                        ; implicit-def: $sgpr10
	s_and_saveexec_b64 s[8:9], s[12:13]
; %bb.2170:
	s_mov_b32 s10, 0x7f800001
	s_xor_b64 s[4:5], exec, -1
; %bb.2171:
	s_or_b64 exec, exec, s[8:9]
	s_and_b64 s[4:5], s[4:5], exec
	s_or_saveexec_b64 s[6:7], s[6:7]
	v_mov_b32_e32 v10, s10
	s_xor_b64 exec, exec, s[6:7]
	s_cbranch_execz .LBB24_122
.LBB24_2172:
	v_mov_b32_e32 v10, 0
	v_cmp_ne_u16_sdwa s[8:9], v17, v10 src0_sel:BYTE_3 src1_sel:DWORD
	s_andn2_b64 s[4:5], s[4:5], exec
	s_and_b64 s[8:9], s[8:9], exec
	s_or_b64 s[4:5], s[4:5], s[8:9]
	s_or_b64 exec, exec, s[6:7]
	s_and_saveexec_b64 s[6:7], s[4:5]
	s_cbranch_execnz .LBB24_123
	s_branch .LBB24_124
.LBB24_2173:
	s_movk_i32 s4, 0x80
	v_cmp_eq_u16_sdwa s[12:13], v13, s4 src0_sel:BYTE_3 src1_sel:DWORD
	s_mov_b64 s[4:5], -1
                                        ; implicit-def: $sgpr10
	s_and_saveexec_b64 s[8:9], s[12:13]
; %bb.2174:
	s_mov_b32 s10, 0x7f800001
	s_xor_b64 s[4:5], exec, -1
; %bb.2175:
	s_or_b64 exec, exec, s[8:9]
	s_and_b64 s[4:5], s[4:5], exec
	s_or_saveexec_b64 s[6:7], s[6:7]
	v_mov_b32_e32 v11, s10
	s_xor_b64 exec, exec, s[6:7]
	s_cbranch_execz .LBB24_126
.LBB24_2176:
	v_mov_b32_e32 v11, 0
	v_cmp_ne_u16_sdwa s[8:9], v13, v11 src0_sel:BYTE_3 src1_sel:DWORD
	s_andn2_b64 s[4:5], s[4:5], exec
	s_and_b64 s[8:9], s[8:9], exec
	s_or_b64 s[4:5], s[4:5], s[8:9]
	s_or_b64 exec, exec, s[6:7]
	s_and_saveexec_b64 s[6:7], s[4:5]
	s_cbranch_execnz .LBB24_127
	s_branch .LBB24_128
.LBB24_2177:
	s_movk_i32 s4, 0x80
	v_cmp_eq_u16_sdwa s[12:13], v6, s4 src0_sel:BYTE_0 src1_sel:DWORD
	s_mov_b64 s[4:5], -1
                                        ; implicit-def: $sgpr10
	s_and_saveexec_b64 s[8:9], s[12:13]
; %bb.2178:
	s_mov_b32 s10, 0x7f800001
	s_xor_b64 s[4:5], exec, -1
; %bb.2179:
	s_or_b64 exec, exec, s[8:9]
	s_and_b64 s[4:5], s[4:5], exec
	s_or_saveexec_b64 s[6:7], s[6:7]
	v_mov_b32_e32 v10, s10
	s_xor_b64 exec, exec, s[6:7]
	s_cbranch_execz .LBB24_130
.LBB24_2180:
	v_mov_b32_e32 v10, 0
	v_cmp_ne_u16_sdwa s[8:9], v6, v10 src0_sel:BYTE_0 src1_sel:DWORD
	s_andn2_b64 s[4:5], s[4:5], exec
	s_and_b64 s[8:9], s[8:9], exec
	s_or_b64 s[4:5], s[4:5], s[8:9]
	s_or_b64 exec, exec, s[6:7]
	s_and_saveexec_b64 s[6:7], s[4:5]
	s_cbranch_execnz .LBB24_131
	s_branch .LBB24_132
.LBB24_2181:
	s_movk_i32 s4, 0x80
	v_cmp_eq_u16_sdwa s[12:13], v2, s4 src0_sel:BYTE_0 src1_sel:DWORD
	s_mov_b64 s[4:5], -1
                                        ; implicit-def: $sgpr10
	s_and_saveexec_b64 s[8:9], s[12:13]
; %bb.2182:
	s_mov_b32 s10, 0x7f800001
	s_xor_b64 s[4:5], exec, -1
; %bb.2183:
	s_or_b64 exec, exec, s[8:9]
	s_and_b64 s[4:5], s[4:5], exec
	s_or_saveexec_b64 s[6:7], s[6:7]
	v_mov_b32_e32 v11, s10
	s_xor_b64 exec, exec, s[6:7]
	s_cbranch_execz .LBB24_134
.LBB24_2184:
	v_mov_b32_e32 v11, 0
	v_cmp_ne_u16_sdwa s[8:9], v2, v11 src0_sel:BYTE_0 src1_sel:DWORD
	s_andn2_b64 s[4:5], s[4:5], exec
	s_and_b64 s[8:9], s[8:9], exec
	s_or_b64 s[4:5], s[4:5], s[8:9]
	s_or_b64 exec, exec, s[6:7]
	s_and_saveexec_b64 s[6:7], s[4:5]
	s_cbranch_execnz .LBB24_135
	s_branch .LBB24_136
.LBB24_2185:
	s_movk_i32 s4, 0x80
	v_cmp_eq_u16_sdwa s[12:13], v11, s4 src0_sel:BYTE_0 src1_sel:DWORD
	s_mov_b64 s[4:5], -1
                                        ; implicit-def: $sgpr10
	s_and_saveexec_b64 s[8:9], s[12:13]
; %bb.2186:
	s_mov_b32 s10, 0x7f800001
	s_xor_b64 s[4:5], exec, -1
; %bb.2187:
	s_or_b64 exec, exec, s[8:9]
	s_and_b64 s[4:5], s[4:5], exec
	s_or_saveexec_b64 s[6:7], s[6:7]
	v_mov_b32_e32 v10, s10
	s_xor_b64 exec, exec, s[6:7]
	s_cbranch_execz .LBB24_138
.LBB24_2188:
	v_mov_b32_e32 v10, 0
	v_cmp_ne_u16_sdwa s[8:9], v11, v10 src0_sel:BYTE_0 src1_sel:DWORD
	s_andn2_b64 s[4:5], s[4:5], exec
	s_and_b64 s[8:9], s[8:9], exec
	s_or_b64 s[4:5], s[4:5], s[8:9]
	s_or_b64 exec, exec, s[6:7]
	s_and_saveexec_b64 s[6:7], s[4:5]
	s_cbranch_execnz .LBB24_139
	s_branch .LBB24_140
.LBB24_2189:
	s_movk_i32 s4, 0x80
	v_cmp_eq_u16_sdwa s[12:13], v11, s4 src0_sel:BYTE_0 src1_sel:DWORD
	s_mov_b64 s[4:5], -1
                                        ; implicit-def: $sgpr10
	s_and_saveexec_b64 s[8:9], s[12:13]
; %bb.2190:
	s_mov_b32 s10, 0x7f800001
	s_xor_b64 s[4:5], exec, -1
; %bb.2191:
	s_or_b64 exec, exec, s[8:9]
	s_and_b64 s[4:5], s[4:5], exec
	s_or_saveexec_b64 s[6:7], s[6:7]
	v_mov_b32_e32 v12, s10
	s_xor_b64 exec, exec, s[6:7]
	s_cbranch_execz .LBB24_142
.LBB24_2192:
	v_mov_b32_e32 v12, 0
	v_cmp_ne_u16_sdwa s[8:9], v11, v12 src0_sel:BYTE_0 src1_sel:DWORD
	s_andn2_b64 s[4:5], s[4:5], exec
	s_and_b64 s[8:9], s[8:9], exec
	s_or_b64 s[4:5], s[4:5], s[8:9]
	s_or_b64 exec, exec, s[6:7]
	s_and_saveexec_b64 s[6:7], s[4:5]
	s_cbranch_execnz .LBB24_143
	s_branch .LBB24_144
.LBB24_2193:
	s_movk_i32 s4, 0x80
	v_cmp_eq_u16_e32 vcc, s4, v11
	s_mov_b64 s[4:5], -1
                                        ; implicit-def: $sgpr10
	s_and_saveexec_b64 s[8:9], vcc
; %bb.2194:
	s_mov_b32 s10, 0x7f800001
	s_xor_b64 s[4:5], exec, -1
; %bb.2195:
	s_or_b64 exec, exec, s[8:9]
	s_and_b64 s[4:5], s[4:5], exec
                                        ; implicit-def: $vgpr11
	s_or_saveexec_b64 s[6:7], s[6:7]
	v_mov_b32_e32 v10, s10
	s_xor_b64 exec, exec, s[6:7]
	s_cbranch_execz .LBB24_146
.LBB24_2196:
	v_cmp_ne_u16_e32 vcc, 0, v11
	s_andn2_b64 s[4:5], s[4:5], exec
	s_and_b64 s[8:9], vcc, exec
	v_mov_b32_e32 v10, 0
	s_or_b64 s[4:5], s[4:5], s[8:9]
	s_or_b64 exec, exec, s[6:7]
	s_and_saveexec_b64 s[6:7], s[4:5]
	s_cbranch_execnz .LBB24_147
	s_branch .LBB24_148
.LBB24_2197:
	s_movk_i32 s4, 0x80
	v_cmp_eq_u16_e32 vcc, s4, v11
	s_mov_b64 s[4:5], -1
                                        ; implicit-def: $sgpr10
	s_and_saveexec_b64 s[8:9], vcc
; %bb.2198:
	s_mov_b32 s10, 0x7f800001
	s_xor_b64 s[4:5], exec, -1
; %bb.2199:
	s_or_b64 exec, exec, s[8:9]
	s_and_b64 s[4:5], s[4:5], exec
                                        ; implicit-def: $vgpr11
	s_or_saveexec_b64 s[6:7], s[6:7]
	v_mov_b32_e32 v12, s10
	s_xor_b64 exec, exec, s[6:7]
	s_cbranch_execz .LBB24_150
.LBB24_2200:
	v_cmp_ne_u16_e32 vcc, 0, v11
	s_andn2_b64 s[4:5], s[4:5], exec
	s_and_b64 s[8:9], vcc, exec
	v_mov_b32_e32 v12, 0
	s_or_b64 s[4:5], s[4:5], s[8:9]
	s_or_b64 exec, exec, s[6:7]
	s_and_saveexec_b64 s[6:7], s[4:5]
	s_cbranch_execnz .LBB24_151
	s_branch .LBB24_152
.LBB24_2201:
	s_movk_i32 s4, 0x80
	v_cmp_eq_u16_sdwa s[12:13], v6, s4 src0_sel:BYTE_3 src1_sel:DWORD
	s_mov_b64 s[4:5], -1
                                        ; implicit-def: $sgpr10
	s_and_saveexec_b64 s[8:9], s[12:13]
; %bb.2202:
	s_mov_b32 s10, 0x7f800001
	s_xor_b64 s[4:5], exec, -1
; %bb.2203:
	s_or_b64 exec, exec, s[8:9]
	s_and_b64 s[4:5], s[4:5], exec
	s_or_saveexec_b64 s[6:7], s[6:7]
	v_mov_b32_e32 v10, s10
	s_xor_b64 exec, exec, s[6:7]
	s_cbranch_execz .LBB24_154
.LBB24_2204:
	v_mov_b32_e32 v10, 0
	v_cmp_ne_u16_sdwa s[8:9], v6, v10 src0_sel:BYTE_3 src1_sel:DWORD
	s_andn2_b64 s[4:5], s[4:5], exec
	s_and_b64 s[8:9], s[8:9], exec
	s_or_b64 s[4:5], s[4:5], s[8:9]
	s_or_b64 exec, exec, s[6:7]
	s_and_saveexec_b64 s[6:7], s[4:5]
	s_cbranch_execnz .LBB24_155
	s_branch .LBB24_156
.LBB24_2205:
	s_movk_i32 s4, 0x80
	v_cmp_eq_u16_sdwa s[12:13], v2, s4 src0_sel:BYTE_3 src1_sel:DWORD
	s_mov_b64 s[4:5], -1
                                        ; implicit-def: $sgpr10
	s_and_saveexec_b64 s[8:9], s[12:13]
; %bb.2206:
	s_mov_b32 s10, 0x7f800001
	s_xor_b64 s[4:5], exec, -1
; %bb.2207:
	s_or_b64 exec, exec, s[8:9]
	s_and_b64 s[4:5], s[4:5], exec
	s_or_saveexec_b64 s[6:7], s[6:7]
	v_mov_b32_e32 v6, s10
	s_xor_b64 exec, exec, s[6:7]
	s_cbranch_execz .LBB24_158
.LBB24_2208:
	v_mov_b32_e32 v6, 0
	v_cmp_ne_u16_sdwa s[8:9], v2, v6 src0_sel:BYTE_3 src1_sel:DWORD
	s_andn2_b64 s[4:5], s[4:5], exec
	s_and_b64 s[8:9], s[8:9], exec
	s_or_b64 s[4:5], s[4:5], s[8:9]
	s_or_b64 exec, exec, s[6:7]
	s_and_saveexec_b64 s[6:7], s[4:5]
	s_cbranch_execnz .LBB24_159
	s_branch .LBB24_160
.LBB24_2209:
	s_movk_i32 s4, 0x80
	v_cmp_eq_u16_sdwa s[12:13], v7, s4 src0_sel:BYTE_0 src1_sel:DWORD
	s_mov_b64 s[4:5], -1
                                        ; implicit-def: $sgpr10
	s_and_saveexec_b64 s[8:9], s[12:13]
; %bb.2210:
	s_mov_b32 s10, 0x7f800001
	s_xor_b64 s[4:5], exec, -1
; %bb.2211:
	s_or_b64 exec, exec, s[8:9]
	s_and_b64 s[4:5], s[4:5], exec
	s_or_saveexec_b64 s[6:7], s[6:7]
	v_mov_b32_e32 v2, s10
	s_xor_b64 exec, exec, s[6:7]
	s_cbranch_execz .LBB24_162
.LBB24_2212:
	v_mov_b32_e32 v2, 0
	v_cmp_ne_u16_sdwa s[8:9], v7, v2 src0_sel:BYTE_0 src1_sel:DWORD
	s_andn2_b64 s[4:5], s[4:5], exec
	s_and_b64 s[8:9], s[8:9], exec
	s_or_b64 s[4:5], s[4:5], s[8:9]
	s_or_b64 exec, exec, s[6:7]
	s_and_saveexec_b64 s[6:7], s[4:5]
	s_cbranch_execnz .LBB24_163
	s_branch .LBB24_164
.LBB24_2213:
	s_movk_i32 s4, 0x80
	v_cmp_eq_u16_sdwa s[12:13], v3, s4 src0_sel:BYTE_0 src1_sel:DWORD
	s_mov_b64 s[4:5], -1
                                        ; implicit-def: $sgpr10
	s_and_saveexec_b64 s[8:9], s[12:13]
; %bb.2214:
	s_mov_b32 s10, 0x7f800001
	s_xor_b64 s[4:5], exec, -1
; %bb.2215:
	s_or_b64 exec, exec, s[8:9]
	s_and_b64 s[4:5], s[4:5], exec
	s_or_saveexec_b64 s[6:7], s[6:7]
	v_mov_b32_e32 v6, s10
	s_xor_b64 exec, exec, s[6:7]
	s_cbranch_execz .LBB24_166
.LBB24_2216:
	v_mov_b32_e32 v6, 0
	v_cmp_ne_u16_sdwa s[8:9], v3, v6 src0_sel:BYTE_0 src1_sel:DWORD
	s_andn2_b64 s[4:5], s[4:5], exec
	s_and_b64 s[8:9], s[8:9], exec
	s_or_b64 s[4:5], s[4:5], s[8:9]
	s_or_b64 exec, exec, s[6:7]
	s_and_saveexec_b64 s[6:7], s[4:5]
	s_cbranch_execnz .LBB24_167
	s_branch .LBB24_168
.LBB24_2217:
	s_movk_i32 s4, 0x80
	v_cmp_eq_u16_sdwa s[12:13], v6, s4 src0_sel:BYTE_0 src1_sel:DWORD
	s_mov_b64 s[4:5], -1
                                        ; implicit-def: $sgpr10
	s_and_saveexec_b64 s[8:9], s[12:13]
; %bb.2218:
	s_mov_b32 s10, 0x7f800001
	s_xor_b64 s[4:5], exec, -1
; %bb.2219:
	s_or_b64 exec, exec, s[8:9]
	s_and_b64 s[4:5], s[4:5], exec
	s_or_saveexec_b64 s[6:7], s[6:7]
	v_mov_b32_e32 v2, s10
	s_xor_b64 exec, exec, s[6:7]
	s_cbranch_execz .LBB24_170
.LBB24_2220:
	v_mov_b32_e32 v2, 0
	v_cmp_ne_u16_sdwa s[8:9], v6, v2 src0_sel:BYTE_0 src1_sel:DWORD
	s_andn2_b64 s[4:5], s[4:5], exec
	s_and_b64 s[8:9], s[8:9], exec
	s_or_b64 s[4:5], s[4:5], s[8:9]
	s_or_b64 exec, exec, s[6:7]
	s_and_saveexec_b64 s[6:7], s[4:5]
	s_cbranch_execnz .LBB24_171
	s_branch .LBB24_172
.LBB24_2221:
	s_movk_i32 s4, 0x80
	v_cmp_eq_u16_sdwa s[12:13], v6, s4 src0_sel:BYTE_0 src1_sel:DWORD
	s_mov_b64 s[4:5], -1
                                        ; implicit-def: $sgpr10
	s_and_saveexec_b64 s[8:9], s[12:13]
; %bb.2222:
	s_mov_b32 s10, 0x7f800001
	s_xor_b64 s[4:5], exec, -1
; %bb.2223:
	s_or_b64 exec, exec, s[8:9]
	s_and_b64 s[4:5], s[4:5], exec
	s_or_saveexec_b64 s[6:7], s[6:7]
	v_mov_b32_e32 v10, s10
	s_xor_b64 exec, exec, s[6:7]
	s_cbranch_execz .LBB24_174
.LBB24_2224:
	v_mov_b32_e32 v10, 0
	v_cmp_ne_u16_sdwa s[8:9], v6, v10 src0_sel:BYTE_0 src1_sel:DWORD
	s_andn2_b64 s[4:5], s[4:5], exec
	s_and_b64 s[8:9], s[8:9], exec
	s_or_b64 s[4:5], s[4:5], s[8:9]
	s_or_b64 exec, exec, s[6:7]
	s_and_saveexec_b64 s[6:7], s[4:5]
	s_cbranch_execnz .LBB24_175
	s_branch .LBB24_176
.LBB24_2225:
	s_movk_i32 s4, 0x80
	v_cmp_eq_u16_e32 vcc, s4, v6
	s_mov_b64 s[4:5], -1
                                        ; implicit-def: $sgpr10
	s_and_saveexec_b64 s[8:9], vcc
; %bb.2226:
	s_mov_b32 s10, 0x7f800001
	s_xor_b64 s[4:5], exec, -1
; %bb.2227:
	s_or_b64 exec, exec, s[8:9]
	s_and_b64 s[4:5], s[4:5], exec
                                        ; implicit-def: $vgpr6
	s_or_saveexec_b64 s[6:7], s[6:7]
	v_mov_b32_e32 v2, s10
	s_xor_b64 exec, exec, s[6:7]
	s_cbranch_execz .LBB24_178
.LBB24_2228:
	v_cmp_ne_u16_e32 vcc, 0, v6
	s_andn2_b64 s[4:5], s[4:5], exec
	s_and_b64 s[8:9], vcc, exec
	v_mov_b32_e32 v2, 0
	s_or_b64 s[4:5], s[4:5], s[8:9]
	s_or_b64 exec, exec, s[6:7]
	s_and_saveexec_b64 s[6:7], s[4:5]
	s_cbranch_execnz .LBB24_179
	s_branch .LBB24_180
.LBB24_2229:
	s_movk_i32 s4, 0x80
	v_cmp_eq_u16_e32 vcc, s4, v6
	s_mov_b64 s[4:5], -1
                                        ; implicit-def: $sgpr10
	s_and_saveexec_b64 s[8:9], vcc
; %bb.2230:
	s_mov_b32 s10, 0x7f800001
	s_xor_b64 s[4:5], exec, -1
; %bb.2231:
	s_or_b64 exec, exec, s[8:9]
	s_and_b64 s[4:5], s[4:5], exec
                                        ; implicit-def: $vgpr6
	s_or_saveexec_b64 s[6:7], s[6:7]
	v_mov_b32_e32 v10, s10
	s_xor_b64 exec, exec, s[6:7]
	s_cbranch_execz .LBB24_182
.LBB24_2232:
	v_cmp_ne_u16_e32 vcc, 0, v6
	s_andn2_b64 s[4:5], s[4:5], exec
	s_and_b64 s[8:9], vcc, exec
	v_mov_b32_e32 v10, 0
	s_or_b64 s[4:5], s[4:5], s[8:9]
	s_or_b64 exec, exec, s[6:7]
	s_and_saveexec_b64 s[6:7], s[4:5]
	s_cbranch_execnz .LBB24_183
	s_branch .LBB24_184
.LBB24_2233:
	s_movk_i32 s4, 0x80
	v_cmp_eq_u16_sdwa s[12:13], v7, s4 src0_sel:BYTE_3 src1_sel:DWORD
	s_mov_b64 s[4:5], -1
                                        ; implicit-def: $sgpr10
	s_and_saveexec_b64 s[8:9], s[12:13]
; %bb.2234:
	s_mov_b32 s10, 0x7f800001
	s_xor_b64 s[4:5], exec, -1
; %bb.2235:
	s_or_b64 exec, exec, s[8:9]
	s_and_b64 s[4:5], s[4:5], exec
	s_or_saveexec_b64 s[6:7], s[6:7]
	v_mov_b32_e32 v2, s10
	s_xor_b64 exec, exec, s[6:7]
	s_cbranch_execz .LBB24_186
.LBB24_2236:
	v_mov_b32_e32 v2, 0
	v_cmp_ne_u16_sdwa s[8:9], v7, v2 src0_sel:BYTE_3 src1_sel:DWORD
	s_andn2_b64 s[4:5], s[4:5], exec
	s_and_b64 s[8:9], s[8:9], exec
	s_or_b64 s[4:5], s[4:5], s[8:9]
	s_or_b64 exec, exec, s[6:7]
	s_and_saveexec_b64 s[6:7], s[4:5]
	s_cbranch_execnz .LBB24_187
	s_branch .LBB24_188
.LBB24_2237:
	s_movk_i32 s4, 0x80
	v_cmp_eq_u16_sdwa s[12:13], v3, s4 src0_sel:BYTE_3 src1_sel:DWORD
	s_mov_b64 s[4:5], -1
                                        ; implicit-def: $sgpr10
	s_and_saveexec_b64 s[8:9], s[12:13]
; %bb.2238:
	s_mov_b32 s10, 0x7f800001
	s_xor_b64 s[4:5], exec, -1
; %bb.2239:
	s_or_b64 exec, exec, s[8:9]
	s_and_b64 s[4:5], s[4:5], exec
	s_or_saveexec_b64 s[6:7], s[6:7]
	v_mov_b32_e32 v6, s10
	s_xor_b64 exec, exec, s[6:7]
	s_cbranch_execz .LBB24_190
.LBB24_2240:
	v_mov_b32_e32 v6, 0
	v_cmp_ne_u16_sdwa s[8:9], v3, v6 src0_sel:BYTE_3 src1_sel:DWORD
	s_andn2_b64 s[4:5], s[4:5], exec
	s_and_b64 s[8:9], s[8:9], exec
	s_or_b64 s[4:5], s[4:5], s[8:9]
	s_or_b64 exec, exec, s[6:7]
	s_and_saveexec_b64 s[6:7], s[4:5]
	s_cbranch_execnz .LBB24_191
	s_branch .LBB24_192
.LBB24_2241:
	s_movk_i32 s4, 0x80
	v_cmp_eq_u16_sdwa s[12:13], v8, s4 src0_sel:BYTE_0 src1_sel:DWORD
	s_mov_b64 s[4:5], -1
                                        ; implicit-def: $sgpr10
	s_and_saveexec_b64 s[8:9], s[12:13]
; %bb.2242:
	s_mov_b32 s10, 0x7f800001
	s_xor_b64 s[4:5], exec, -1
; %bb.2243:
	s_or_b64 exec, exec, s[8:9]
	s_and_b64 s[4:5], s[4:5], exec
	s_or_saveexec_b64 s[6:7], s[6:7]
	v_mov_b32_e32 v2, s10
	s_xor_b64 exec, exec, s[6:7]
	s_cbranch_execz .LBB24_194
.LBB24_2244:
	v_mov_b32_e32 v2, 0
	v_cmp_ne_u16_sdwa s[8:9], v8, v2 src0_sel:BYTE_0 src1_sel:DWORD
	s_andn2_b64 s[4:5], s[4:5], exec
	s_and_b64 s[8:9], s[8:9], exec
	s_or_b64 s[4:5], s[4:5], s[8:9]
	s_or_b64 exec, exec, s[6:7]
	s_and_saveexec_b64 s[6:7], s[4:5]
	s_cbranch_execnz .LBB24_195
	s_branch .LBB24_196
.LBB24_2245:
	s_movk_i32 s4, 0x80
	v_cmp_eq_u16_sdwa s[12:13], v4, s4 src0_sel:BYTE_0 src1_sel:DWORD
	s_mov_b64 s[4:5], -1
                                        ; implicit-def: $sgpr10
	s_and_saveexec_b64 s[8:9], s[12:13]
; %bb.2246:
	s_mov_b32 s10, 0x7f800001
	s_xor_b64 s[4:5], exec, -1
; %bb.2247:
	s_or_b64 exec, exec, s[8:9]
	s_and_b64 s[4:5], s[4:5], exec
	s_or_saveexec_b64 s[6:7], s[6:7]
	v_mov_b32_e32 v3, s10
	s_xor_b64 exec, exec, s[6:7]
	s_cbranch_execz .LBB24_198
.LBB24_2248:
	v_mov_b32_e32 v3, 0
	v_cmp_ne_u16_sdwa s[8:9], v4, v3 src0_sel:BYTE_0 src1_sel:DWORD
	s_andn2_b64 s[4:5], s[4:5], exec
	s_and_b64 s[8:9], s[8:9], exec
	s_or_b64 s[4:5], s[4:5], s[8:9]
	s_or_b64 exec, exec, s[6:7]
	s_and_saveexec_b64 s[6:7], s[4:5]
	s_cbranch_execnz .LBB24_199
	s_branch .LBB24_200
.LBB24_2249:
	s_movk_i32 s4, 0x80
	v_cmp_eq_u16_sdwa s[12:13], v3, s4 src0_sel:BYTE_0 src1_sel:DWORD
	s_mov_b64 s[4:5], -1
                                        ; implicit-def: $sgpr10
	s_and_saveexec_b64 s[8:9], s[12:13]
; %bb.2250:
	s_mov_b32 s10, 0x7f800001
	s_xor_b64 s[4:5], exec, -1
; %bb.2251:
	s_or_b64 exec, exec, s[8:9]
	s_and_b64 s[4:5], s[4:5], exec
	s_or_saveexec_b64 s[6:7], s[6:7]
	v_mov_b32_e32 v2, s10
	s_xor_b64 exec, exec, s[6:7]
	s_cbranch_execz .LBB24_202
.LBB24_2252:
	v_mov_b32_e32 v2, 0
	v_cmp_ne_u16_sdwa s[8:9], v3, v2 src0_sel:BYTE_0 src1_sel:DWORD
	s_andn2_b64 s[4:5], s[4:5], exec
	s_and_b64 s[8:9], s[8:9], exec
	s_or_b64 s[4:5], s[4:5], s[8:9]
	s_or_b64 exec, exec, s[6:7]
	s_and_saveexec_b64 s[6:7], s[4:5]
	s_cbranch_execnz .LBB24_203
	s_branch .LBB24_204
.LBB24_2253:
	s_movk_i32 s4, 0x80
	v_cmp_eq_u16_sdwa s[12:13], v3, s4 src0_sel:BYTE_0 src1_sel:DWORD
	s_mov_b64 s[4:5], -1
                                        ; implicit-def: $sgpr10
	s_and_saveexec_b64 s[8:9], s[12:13]
; %bb.2254:
	s_mov_b32 s10, 0x7f800001
	s_xor_b64 s[4:5], exec, -1
; %bb.2255:
	s_or_b64 exec, exec, s[8:9]
	s_and_b64 s[4:5], s[4:5], exec
	s_or_saveexec_b64 s[6:7], s[6:7]
	v_mov_b32_e32 v6, s10
	s_xor_b64 exec, exec, s[6:7]
	s_cbranch_execz .LBB24_206
.LBB24_2256:
	v_mov_b32_e32 v6, 0
	v_cmp_ne_u16_sdwa s[8:9], v3, v6 src0_sel:BYTE_0 src1_sel:DWORD
	s_andn2_b64 s[4:5], s[4:5], exec
	s_and_b64 s[8:9], s[8:9], exec
	s_or_b64 s[4:5], s[4:5], s[8:9]
	s_or_b64 exec, exec, s[6:7]
	s_and_saveexec_b64 s[6:7], s[4:5]
	s_cbranch_execnz .LBB24_207
	s_branch .LBB24_208
.LBB24_2257:
	s_movk_i32 s4, 0x80
	v_cmp_eq_u16_e32 vcc, s4, v3
	s_mov_b64 s[4:5], -1
                                        ; implicit-def: $sgpr10
	s_and_saveexec_b64 s[8:9], vcc
; %bb.2258:
	s_mov_b32 s10, 0x7f800001
	s_xor_b64 s[4:5], exec, -1
; %bb.2259:
	s_or_b64 exec, exec, s[8:9]
	s_and_b64 s[4:5], s[4:5], exec
                                        ; implicit-def: $vgpr3
	s_or_saveexec_b64 s[6:7], s[6:7]
	v_mov_b32_e32 v2, s10
	s_xor_b64 exec, exec, s[6:7]
	s_cbranch_execz .LBB24_210
.LBB24_2260:
	v_cmp_ne_u16_e32 vcc, 0, v3
	s_andn2_b64 s[4:5], s[4:5], exec
	s_and_b64 s[8:9], vcc, exec
	v_mov_b32_e32 v2, 0
	s_or_b64 s[4:5], s[4:5], s[8:9]
	s_or_b64 exec, exec, s[6:7]
	s_and_saveexec_b64 s[6:7], s[4:5]
	s_cbranch_execnz .LBB24_211
	s_branch .LBB24_212
.LBB24_2261:
	s_movk_i32 s4, 0x80
	v_cmp_eq_u16_e32 vcc, s4, v3
	s_mov_b64 s[4:5], -1
                                        ; implicit-def: $sgpr10
	s_and_saveexec_b64 s[8:9], vcc
; %bb.2262:
	s_mov_b32 s10, 0x7f800001
	s_xor_b64 s[4:5], exec, -1
; %bb.2263:
	s_or_b64 exec, exec, s[8:9]
	s_and_b64 s[4:5], s[4:5], exec
                                        ; implicit-def: $vgpr3
	s_or_saveexec_b64 s[6:7], s[6:7]
	v_mov_b32_e32 v6, s10
	s_xor_b64 exec, exec, s[6:7]
	s_cbranch_execz .LBB24_214
.LBB24_2264:
	v_cmp_ne_u16_e32 vcc, 0, v3
	s_andn2_b64 s[4:5], s[4:5], exec
	s_and_b64 s[8:9], vcc, exec
	v_mov_b32_e32 v6, 0
	s_or_b64 s[4:5], s[4:5], s[8:9]
	s_or_b64 exec, exec, s[6:7]
	s_and_saveexec_b64 s[6:7], s[4:5]
	s_cbranch_execnz .LBB24_215
	s_branch .LBB24_216
.LBB24_2265:
	s_movk_i32 s4, 0x80
	v_cmp_eq_u16_sdwa s[12:13], v8, s4 src0_sel:BYTE_3 src1_sel:DWORD
	s_mov_b64 s[4:5], -1
                                        ; implicit-def: $sgpr10
	s_and_saveexec_b64 s[8:9], s[12:13]
; %bb.2266:
	s_mov_b32 s10, 0x7f800001
	s_xor_b64 s[4:5], exec, -1
; %bb.2267:
	s_or_b64 exec, exec, s[8:9]
	s_and_b64 s[4:5], s[4:5], exec
	s_or_saveexec_b64 s[6:7], s[6:7]
	v_mov_b32_e32 v2, s10
	s_xor_b64 exec, exec, s[6:7]
	s_cbranch_execz .LBB24_218
.LBB24_2268:
	v_mov_b32_e32 v2, 0
	v_cmp_ne_u16_sdwa s[8:9], v8, v2 src0_sel:BYTE_3 src1_sel:DWORD
	s_andn2_b64 s[4:5], s[4:5], exec
	s_and_b64 s[8:9], s[8:9], exec
	s_or_b64 s[4:5], s[4:5], s[8:9]
	s_or_b64 exec, exec, s[6:7]
	s_and_saveexec_b64 s[6:7], s[4:5]
	s_cbranch_execnz .LBB24_219
	s_branch .LBB24_220
.LBB24_2269:
	s_movk_i32 s4, 0x80
	v_cmp_eq_u16_sdwa s[12:13], v4, s4 src0_sel:BYTE_3 src1_sel:DWORD
	s_mov_b64 s[4:5], -1
                                        ; implicit-def: $sgpr10
	s_and_saveexec_b64 s[8:9], s[12:13]
; %bb.2270:
	s_mov_b32 s10, 0x7f800001
	s_xor_b64 s[4:5], exec, -1
; %bb.2271:
	s_or_b64 exec, exec, s[8:9]
	s_and_b64 s[4:5], s[4:5], exec
	s_or_saveexec_b64 s[6:7], s[6:7]
	v_mov_b32_e32 v3, s10
	s_xor_b64 exec, exec, s[6:7]
	s_cbranch_execz .LBB24_222
.LBB24_2272:
	v_mov_b32_e32 v3, 0
	v_cmp_ne_u16_sdwa s[8:9], v4, v3 src0_sel:BYTE_3 src1_sel:DWORD
	s_andn2_b64 s[4:5], s[4:5], exec
	s_and_b64 s[8:9], s[8:9], exec
	s_or_b64 s[4:5], s[4:5], s[8:9]
	s_or_b64 exec, exec, s[6:7]
	s_and_saveexec_b64 s[6:7], s[4:5]
	s_cbranch_execnz .LBB24_223
	s_branch .LBB24_224
.LBB24_2273:
	s_movk_i32 s4, 0x80
	v_cmp_eq_u16_sdwa s[12:13], v9, s4 src0_sel:BYTE_0 src1_sel:DWORD
	s_mov_b64 s[4:5], -1
                                        ; implicit-def: $sgpr10
	s_and_saveexec_b64 s[8:9], s[12:13]
; %bb.2274:
	s_mov_b32 s10, 0x7f800001
	s_xor_b64 s[4:5], exec, -1
; %bb.2275:
	s_or_b64 exec, exec, s[8:9]
	s_and_b64 s[4:5], s[4:5], exec
	s_or_saveexec_b64 s[6:7], s[6:7]
	v_mov_b32_e32 v2, s10
	s_xor_b64 exec, exec, s[6:7]
	s_cbranch_execz .LBB24_226
.LBB24_2276:
	v_mov_b32_e32 v2, 0
	v_cmp_ne_u16_sdwa s[8:9], v9, v2 src0_sel:BYTE_0 src1_sel:DWORD
	s_andn2_b64 s[4:5], s[4:5], exec
	s_and_b64 s[8:9], s[8:9], exec
	s_or_b64 s[4:5], s[4:5], s[8:9]
	s_or_b64 exec, exec, s[6:7]
	s_and_saveexec_b64 s[6:7], s[4:5]
	s_cbranch_execnz .LBB24_227
	s_branch .LBB24_228
.LBB24_2277:
	s_movk_i32 s4, 0x80
	v_cmp_eq_u16_sdwa s[12:13], v5, s4 src0_sel:BYTE_0 src1_sel:DWORD
	s_mov_b64 s[4:5], -1
                                        ; implicit-def: $sgpr10
	s_and_saveexec_b64 s[8:9], s[12:13]
; %bb.2278:
	s_mov_b32 s10, 0x7f800001
	s_xor_b64 s[4:5], exec, -1
; %bb.2279:
	s_or_b64 exec, exec, s[8:9]
	s_and_b64 s[4:5], s[4:5], exec
	s_or_saveexec_b64 s[6:7], s[6:7]
	v_mov_b32_e32 v3, s10
	s_xor_b64 exec, exec, s[6:7]
	s_cbranch_execz .LBB24_230
.LBB24_2280:
	v_mov_b32_e32 v3, 0
	v_cmp_ne_u16_sdwa s[8:9], v5, v3 src0_sel:BYTE_0 src1_sel:DWORD
	s_andn2_b64 s[4:5], s[4:5], exec
	s_and_b64 s[8:9], s[8:9], exec
	s_or_b64 s[4:5], s[4:5], s[8:9]
	s_or_b64 exec, exec, s[6:7]
	s_and_saveexec_b64 s[6:7], s[4:5]
	s_cbranch_execnz .LBB24_231
	s_branch .LBB24_232
.LBB24_2281:
	s_movk_i32 s4, 0x80
	v_cmp_eq_u16_sdwa s[12:13], v3, s4 src0_sel:BYTE_0 src1_sel:DWORD
	s_mov_b64 s[4:5], -1
                                        ; implicit-def: $sgpr10
	s_and_saveexec_b64 s[8:9], s[12:13]
; %bb.2282:
	s_mov_b32 s10, 0x7f800001
	s_xor_b64 s[4:5], exec, -1
; %bb.2283:
	s_or_b64 exec, exec, s[8:9]
	s_and_b64 s[4:5], s[4:5], exec
	s_or_saveexec_b64 s[6:7], s[6:7]
	v_mov_b32_e32 v2, s10
	s_xor_b64 exec, exec, s[6:7]
	s_cbranch_execz .LBB24_234
.LBB24_2284:
	v_mov_b32_e32 v2, 0
	v_cmp_ne_u16_sdwa s[8:9], v3, v2 src0_sel:BYTE_0 src1_sel:DWORD
	s_andn2_b64 s[4:5], s[4:5], exec
	s_and_b64 s[8:9], s[8:9], exec
	s_or_b64 s[4:5], s[4:5], s[8:9]
	s_or_b64 exec, exec, s[6:7]
	s_and_saveexec_b64 s[6:7], s[4:5]
	s_cbranch_execnz .LBB24_235
	s_branch .LBB24_236
.LBB24_2285:
	s_movk_i32 s4, 0x80
	v_cmp_eq_u16_sdwa s[12:13], v3, s4 src0_sel:BYTE_0 src1_sel:DWORD
	s_mov_b64 s[4:5], -1
                                        ; implicit-def: $sgpr10
	s_and_saveexec_b64 s[8:9], s[12:13]
; %bb.2286:
	s_mov_b32 s10, 0x7f800001
	s_xor_b64 s[4:5], exec, -1
; %bb.2287:
	s_or_b64 exec, exec, s[8:9]
	s_and_b64 s[4:5], s[4:5], exec
	s_or_saveexec_b64 s[6:7], s[6:7]
	v_mov_b32_e32 v4, s10
	s_xor_b64 exec, exec, s[6:7]
	s_cbranch_execz .LBB24_238
.LBB24_2288:
	v_mov_b32_e32 v4, 0
	v_cmp_ne_u16_sdwa s[8:9], v3, v4 src0_sel:BYTE_0 src1_sel:DWORD
	s_andn2_b64 s[4:5], s[4:5], exec
	s_and_b64 s[8:9], s[8:9], exec
	s_or_b64 s[4:5], s[4:5], s[8:9]
	s_or_b64 exec, exec, s[6:7]
	s_and_saveexec_b64 s[6:7], s[4:5]
	s_cbranch_execnz .LBB24_239
	s_branch .LBB24_240
.LBB24_2289:
	s_movk_i32 s4, 0x80
	v_cmp_eq_u16_e32 vcc, s4, v3
	s_mov_b64 s[4:5], -1
                                        ; implicit-def: $sgpr10
	s_and_saveexec_b64 s[8:9], vcc
; %bb.2290:
	s_mov_b32 s10, 0x7f800001
	s_xor_b64 s[4:5], exec, -1
; %bb.2291:
	s_or_b64 exec, exec, s[8:9]
	s_and_b64 s[4:5], s[4:5], exec
                                        ; implicit-def: $vgpr3
	s_or_saveexec_b64 s[6:7], s[6:7]
	v_mov_b32_e32 v2, s10
	s_xor_b64 exec, exec, s[6:7]
	s_cbranch_execz .LBB24_242
.LBB24_2292:
	v_cmp_ne_u16_e32 vcc, 0, v3
	s_andn2_b64 s[4:5], s[4:5], exec
	s_and_b64 s[8:9], vcc, exec
	v_mov_b32_e32 v2, 0
	s_or_b64 s[4:5], s[4:5], s[8:9]
	s_or_b64 exec, exec, s[6:7]
	s_and_saveexec_b64 s[6:7], s[4:5]
	s_cbranch_execnz .LBB24_243
	s_branch .LBB24_244
.LBB24_2293:
	s_movk_i32 s4, 0x80
	v_cmp_eq_u16_e32 vcc, s4, v3
	s_mov_b64 s[4:5], -1
                                        ; implicit-def: $sgpr10
	s_and_saveexec_b64 s[8:9], vcc
; %bb.2294:
	s_mov_b32 s10, 0x7f800001
	s_xor_b64 s[4:5], exec, -1
; %bb.2295:
	s_or_b64 exec, exec, s[8:9]
	s_and_b64 s[4:5], s[4:5], exec
                                        ; implicit-def: $vgpr3
	s_or_saveexec_b64 s[6:7], s[6:7]
	v_mov_b32_e32 v4, s10
	s_xor_b64 exec, exec, s[6:7]
	s_cbranch_execz .LBB24_246
.LBB24_2296:
	v_cmp_ne_u16_e32 vcc, 0, v3
	s_andn2_b64 s[4:5], s[4:5], exec
	s_and_b64 s[8:9], vcc, exec
	v_mov_b32_e32 v4, 0
	s_or_b64 s[4:5], s[4:5], s[8:9]
	s_or_b64 exec, exec, s[6:7]
	s_and_saveexec_b64 s[6:7], s[4:5]
	s_cbranch_execnz .LBB24_247
	s_branch .LBB24_248
.LBB24_2297:
	s_movk_i32 s4, 0x80
	v_cmp_eq_u16_sdwa s[12:13], v9, s4 src0_sel:BYTE_3 src1_sel:DWORD
	s_mov_b64 s[4:5], -1
                                        ; implicit-def: $sgpr10
	s_and_saveexec_b64 s[8:9], s[12:13]
; %bb.2298:
	s_mov_b32 s10, 0x7f800001
	s_xor_b64 s[4:5], exec, -1
; %bb.2299:
	s_or_b64 exec, exec, s[8:9]
	s_and_b64 s[4:5], s[4:5], exec
	s_or_saveexec_b64 s[6:7], s[6:7]
	v_mov_b32_e32 v2, s10
	s_xor_b64 exec, exec, s[6:7]
	s_cbranch_execz .LBB24_250
.LBB24_2300:
	v_mov_b32_e32 v2, 0
	v_cmp_ne_u16_sdwa s[8:9], v9, v2 src0_sel:BYTE_3 src1_sel:DWORD
	s_andn2_b64 s[4:5], s[4:5], exec
	s_and_b64 s[8:9], s[8:9], exec
	s_or_b64 s[4:5], s[4:5], s[8:9]
	s_or_b64 exec, exec, s[6:7]
	s_and_saveexec_b64 s[6:7], s[4:5]
	s_cbranch_execnz .LBB24_251
	s_branch .LBB24_252
.LBB24_2301:
	s_movk_i32 s4, 0x80
	v_cmp_eq_u16_sdwa s[12:13], v5, s4 src0_sel:BYTE_3 src1_sel:DWORD
	s_mov_b64 s[4:5], -1
                                        ; implicit-def: $sgpr10
	s_and_saveexec_b64 s[8:9], s[12:13]
; %bb.2302:
	s_mov_b32 s10, 0x7f800001
	s_xor_b64 s[4:5], exec, -1
; %bb.2303:
	s_or_b64 exec, exec, s[8:9]
	s_and_b64 s[4:5], s[4:5], exec
	s_or_saveexec_b64 s[6:7], s[6:7]
	v_mov_b32_e32 v3, s10
	s_xor_b64 exec, exec, s[6:7]
	s_cbranch_execz .LBB24_254
.LBB24_2304:
	v_mov_b32_e32 v3, 0
	v_cmp_ne_u16_sdwa s[8:9], v5, v3 src0_sel:BYTE_3 src1_sel:DWORD
	s_andn2_b64 s[4:5], s[4:5], exec
	s_and_b64 s[8:9], s[8:9], exec
	s_or_b64 s[4:5], s[4:5], s[8:9]
	s_or_b64 exec, exec, s[6:7]
	s_and_saveexec_b64 s[6:7], s[4:5]
	s_cbranch_execnz .LBB24_255
	s_branch .LBB24_256
.LBB24_2305:
	s_movk_i32 s4, 0x80
	v_cmp_eq_u16_sdwa s[12:13], v14, s4 src0_sel:BYTE_0 src1_sel:DWORD
	s_mov_b64 s[4:5], -1
                                        ; implicit-def: $sgpr10
	s_and_saveexec_b64 s[8:9], s[12:13]
; %bb.2306:
	s_mov_b32 s10, 0x7f800001
	s_xor_b64 s[4:5], exec, -1
; %bb.2307:
	s_or_b64 exec, exec, s[8:9]
	s_and_b64 s[4:5], s[4:5], exec
	s_or_saveexec_b64 s[6:7], s[6:7]
	v_mov_b32_e32 v20, s10
	s_xor_b64 exec, exec, s[6:7]
	s_cbranch_execz .LBB24_258
.LBB24_2308:
	v_mov_b32_e32 v20, 0
	v_cmp_ne_u16_sdwa s[8:9], v14, v20 src0_sel:BYTE_0 src1_sel:DWORD
	s_andn2_b64 s[4:5], s[4:5], exec
	s_and_b64 s[8:9], s[8:9], exec
	s_or_b64 s[4:5], s[4:5], s[8:9]
	s_or_b64 exec, exec, s[6:7]
	s_and_saveexec_b64 s[6:7], s[4:5]
	s_cbranch_execnz .LBB24_259
	s_branch .LBB24_260
.LBB24_2309:
	s_movk_i32 s4, 0x80
	v_cmp_eq_u16_sdwa s[12:13], v10, s4 src0_sel:BYTE_0 src1_sel:DWORD
	s_mov_b64 s[4:5], -1
                                        ; implicit-def: $sgpr10
	s_and_saveexec_b64 s[8:9], s[12:13]
; %bb.2310:
	s_mov_b32 s10, 0x7f800001
	s_xor_b64 s[4:5], exec, -1
; %bb.2311:
	s_or_b64 exec, exec, s[8:9]
	s_and_b64 s[4:5], s[4:5], exec
	s_or_saveexec_b64 s[6:7], s[6:7]
	v_mov_b32_e32 v21, s10
	s_xor_b64 exec, exec, s[6:7]
	s_cbranch_execz .LBB24_262
.LBB24_2312:
	v_mov_b32_e32 v21, 0
	v_cmp_ne_u16_sdwa s[8:9], v10, v21 src0_sel:BYTE_0 src1_sel:DWORD
	s_andn2_b64 s[4:5], s[4:5], exec
	s_and_b64 s[8:9], s[8:9], exec
	s_or_b64 s[4:5], s[4:5], s[8:9]
	s_or_b64 exec, exec, s[6:7]
	s_and_saveexec_b64 s[6:7], s[4:5]
	s_cbranch_execnz .LBB24_263
	s_branch .LBB24_264
.LBB24_2313:
	s_movk_i32 s4, 0x80
	v_cmp_eq_u16_sdwa s[12:13], v21, s4 src0_sel:BYTE_0 src1_sel:DWORD
	s_mov_b64 s[4:5], -1
                                        ; implicit-def: $sgpr10
	s_and_saveexec_b64 s[8:9], s[12:13]
; %bb.2314:
	s_mov_b32 s10, 0x7f800001
	s_xor_b64 s[4:5], exec, -1
; %bb.2315:
	s_or_b64 exec, exec, s[8:9]
	s_and_b64 s[4:5], s[4:5], exec
	s_or_saveexec_b64 s[6:7], s[6:7]
	v_mov_b32_e32 v20, s10
	s_xor_b64 exec, exec, s[6:7]
	s_cbranch_execz .LBB24_266
.LBB24_2316:
	v_mov_b32_e32 v20, 0
	v_cmp_ne_u16_sdwa s[8:9], v21, v20 src0_sel:BYTE_0 src1_sel:DWORD
	s_andn2_b64 s[4:5], s[4:5], exec
	s_and_b64 s[8:9], s[8:9], exec
	s_or_b64 s[4:5], s[4:5], s[8:9]
	s_or_b64 exec, exec, s[6:7]
	s_and_saveexec_b64 s[6:7], s[4:5]
	s_cbranch_execnz .LBB24_267
	s_branch .LBB24_268
.LBB24_2317:
	s_movk_i32 s4, 0x80
	v_cmp_eq_u16_sdwa s[12:13], v21, s4 src0_sel:BYTE_0 src1_sel:DWORD
	s_mov_b64 s[4:5], -1
                                        ; implicit-def: $sgpr10
	s_and_saveexec_b64 s[8:9], s[12:13]
; %bb.2318:
	s_mov_b32 s10, 0x7f800001
	s_xor_b64 s[4:5], exec, -1
; %bb.2319:
	s_or_b64 exec, exec, s[8:9]
	s_and_b64 s[4:5], s[4:5], exec
	s_or_saveexec_b64 s[6:7], s[6:7]
	v_mov_b32_e32 v22, s10
	s_xor_b64 exec, exec, s[6:7]
	s_cbranch_execz .LBB24_270
.LBB24_2320:
	v_mov_b32_e32 v22, 0
	v_cmp_ne_u16_sdwa s[8:9], v21, v22 src0_sel:BYTE_0 src1_sel:DWORD
	s_andn2_b64 s[4:5], s[4:5], exec
	s_and_b64 s[8:9], s[8:9], exec
	s_or_b64 s[4:5], s[4:5], s[8:9]
	s_or_b64 exec, exec, s[6:7]
	s_and_saveexec_b64 s[6:7], s[4:5]
	s_cbranch_execnz .LBB24_271
	s_branch .LBB24_272
.LBB24_2321:
	s_movk_i32 s4, 0x80
	v_cmp_eq_u16_e32 vcc, s4, v21
	s_mov_b64 s[4:5], -1
                                        ; implicit-def: $sgpr10
	s_and_saveexec_b64 s[8:9], vcc
; %bb.2322:
	s_mov_b32 s10, 0x7f800001
	s_xor_b64 s[4:5], exec, -1
; %bb.2323:
	s_or_b64 exec, exec, s[8:9]
	s_and_b64 s[4:5], s[4:5], exec
                                        ; implicit-def: $vgpr21
	s_or_saveexec_b64 s[6:7], s[6:7]
	v_mov_b32_e32 v20, s10
	s_xor_b64 exec, exec, s[6:7]
	s_cbranch_execz .LBB24_274
.LBB24_2324:
	v_cmp_ne_u16_e32 vcc, 0, v21
	s_andn2_b64 s[4:5], s[4:5], exec
	s_and_b64 s[8:9], vcc, exec
	v_mov_b32_e32 v20, 0
	s_or_b64 s[4:5], s[4:5], s[8:9]
	s_or_b64 exec, exec, s[6:7]
	s_and_saveexec_b64 s[6:7], s[4:5]
	s_cbranch_execnz .LBB24_275
	s_branch .LBB24_276
.LBB24_2325:
	s_movk_i32 s4, 0x80
	v_cmp_eq_u16_e32 vcc, s4, v21
	s_mov_b64 s[4:5], -1
                                        ; implicit-def: $sgpr10
	s_and_saveexec_b64 s[8:9], vcc
; %bb.2326:
	s_mov_b32 s10, 0x7f800001
	s_xor_b64 s[4:5], exec, -1
; %bb.2327:
	s_or_b64 exec, exec, s[8:9]
	s_and_b64 s[4:5], s[4:5], exec
                                        ; implicit-def: $vgpr21
	s_or_saveexec_b64 s[6:7], s[6:7]
	v_mov_b32_e32 v22, s10
	s_xor_b64 exec, exec, s[6:7]
	s_cbranch_execz .LBB24_278
.LBB24_2328:
	v_cmp_ne_u16_e32 vcc, 0, v21
	s_andn2_b64 s[4:5], s[4:5], exec
	s_and_b64 s[8:9], vcc, exec
	v_mov_b32_e32 v22, 0
	s_or_b64 s[4:5], s[4:5], s[8:9]
	s_or_b64 exec, exec, s[6:7]
	s_and_saveexec_b64 s[6:7], s[4:5]
	s_cbranch_execnz .LBB24_279
	s_branch .LBB24_280
.LBB24_2329:
	s_movk_i32 s4, 0x80
	v_cmp_eq_u16_sdwa s[12:13], v14, s4 src0_sel:BYTE_3 src1_sel:DWORD
	s_mov_b64 s[4:5], -1
                                        ; implicit-def: $sgpr10
	s_and_saveexec_b64 s[8:9], s[12:13]
; %bb.2330:
	s_mov_b32 s10, 0x7f800001
	s_xor_b64 s[4:5], exec, -1
; %bb.2331:
	s_or_b64 exec, exec, s[8:9]
	s_and_b64 s[4:5], s[4:5], exec
	s_or_saveexec_b64 s[6:7], s[6:7]
	v_mov_b32_e32 v20, s10
	s_xor_b64 exec, exec, s[6:7]
	s_cbranch_execz .LBB24_282
.LBB24_2332:
	v_mov_b32_e32 v20, 0
	v_cmp_ne_u16_sdwa s[8:9], v14, v20 src0_sel:BYTE_3 src1_sel:DWORD
	s_andn2_b64 s[4:5], s[4:5], exec
	s_and_b64 s[8:9], s[8:9], exec
	s_or_b64 s[4:5], s[4:5], s[8:9]
	s_or_b64 exec, exec, s[6:7]
	s_and_saveexec_b64 s[6:7], s[4:5]
	s_cbranch_execnz .LBB24_283
	s_branch .LBB24_284
.LBB24_2333:
	s_movk_i32 s4, 0x80
	v_cmp_eq_u16_sdwa s[12:13], v10, s4 src0_sel:BYTE_3 src1_sel:DWORD
	s_mov_b64 s[4:5], -1
                                        ; implicit-def: $sgpr10
	s_and_saveexec_b64 s[8:9], s[12:13]
; %bb.2334:
	s_mov_b32 s10, 0x7f800001
	s_xor_b64 s[4:5], exec, -1
; %bb.2335:
	s_or_b64 exec, exec, s[8:9]
	s_and_b64 s[4:5], s[4:5], exec
	s_or_saveexec_b64 s[6:7], s[6:7]
	v_mov_b32_e32 v14, s10
	s_xor_b64 exec, exec, s[6:7]
	s_cbranch_execz .LBB24_286
.LBB24_2336:
	v_mov_b32_e32 v14, 0
	v_cmp_ne_u16_sdwa s[8:9], v10, v14 src0_sel:BYTE_3 src1_sel:DWORD
	s_andn2_b64 s[4:5], s[4:5], exec
	s_and_b64 s[8:9], s[8:9], exec
	s_or_b64 s[4:5], s[4:5], s[8:9]
	s_or_b64 exec, exec, s[6:7]
	s_and_saveexec_b64 s[6:7], s[4:5]
	s_cbranch_execnz .LBB24_287
	s_branch .LBB24_288
.LBB24_2337:
	s_movk_i32 s4, 0x80
	v_cmp_eq_u16_sdwa s[12:13], v15, s4 src0_sel:BYTE_0 src1_sel:DWORD
	s_mov_b64 s[4:5], -1
                                        ; implicit-def: $sgpr10
	s_and_saveexec_b64 s[8:9], s[12:13]
; %bb.2338:
	s_mov_b32 s10, 0x7f800001
	s_xor_b64 s[4:5], exec, -1
; %bb.2339:
	s_or_b64 exec, exec, s[8:9]
	s_and_b64 s[4:5], s[4:5], exec
	s_or_saveexec_b64 s[6:7], s[6:7]
	v_mov_b32_e32 v10, s10
	s_xor_b64 exec, exec, s[6:7]
	s_cbranch_execz .LBB24_290
.LBB24_2340:
	v_mov_b32_e32 v10, 0
	v_cmp_ne_u16_sdwa s[8:9], v15, v10 src0_sel:BYTE_0 src1_sel:DWORD
	s_andn2_b64 s[4:5], s[4:5], exec
	s_and_b64 s[8:9], s[8:9], exec
	s_or_b64 s[4:5], s[4:5], s[8:9]
	s_or_b64 exec, exec, s[6:7]
	s_and_saveexec_b64 s[6:7], s[4:5]
	s_cbranch_execnz .LBB24_291
	s_branch .LBB24_292
.LBB24_2341:
	s_movk_i32 s4, 0x80
	v_cmp_eq_u16_sdwa s[12:13], v11, s4 src0_sel:BYTE_0 src1_sel:DWORD
	s_mov_b64 s[4:5], -1
                                        ; implicit-def: $sgpr10
	s_and_saveexec_b64 s[8:9], s[12:13]
; %bb.2342:
	s_mov_b32 s10, 0x7f800001
	s_xor_b64 s[4:5], exec, -1
; %bb.2343:
	s_or_b64 exec, exec, s[8:9]
	s_and_b64 s[4:5], s[4:5], exec
	s_or_saveexec_b64 s[6:7], s[6:7]
	v_mov_b32_e32 v14, s10
	s_xor_b64 exec, exec, s[6:7]
	s_cbranch_execz .LBB24_294
.LBB24_2344:
	v_mov_b32_e32 v14, 0
	v_cmp_ne_u16_sdwa s[8:9], v11, v14 src0_sel:BYTE_0 src1_sel:DWORD
	s_andn2_b64 s[4:5], s[4:5], exec
	s_and_b64 s[8:9], s[8:9], exec
	s_or_b64 s[4:5], s[4:5], s[8:9]
	s_or_b64 exec, exec, s[6:7]
	s_and_saveexec_b64 s[6:7], s[4:5]
	s_cbranch_execnz .LBB24_295
	s_branch .LBB24_296
.LBB24_2345:
	s_movk_i32 s4, 0x80
	v_cmp_eq_u16_sdwa s[12:13], v14, s4 src0_sel:BYTE_0 src1_sel:DWORD
	s_mov_b64 s[4:5], -1
                                        ; implicit-def: $sgpr10
	s_and_saveexec_b64 s[8:9], s[12:13]
; %bb.2346:
	s_mov_b32 s10, 0x7f800001
	s_xor_b64 s[4:5], exec, -1
; %bb.2347:
	s_or_b64 exec, exec, s[8:9]
	s_and_b64 s[4:5], s[4:5], exec
	s_or_saveexec_b64 s[6:7], s[6:7]
	v_mov_b32_e32 v10, s10
	s_xor_b64 exec, exec, s[6:7]
	s_cbranch_execz .LBB24_298
.LBB24_2348:
	v_mov_b32_e32 v10, 0
	v_cmp_ne_u16_sdwa s[8:9], v14, v10 src0_sel:BYTE_0 src1_sel:DWORD
	s_andn2_b64 s[4:5], s[4:5], exec
	s_and_b64 s[8:9], s[8:9], exec
	s_or_b64 s[4:5], s[4:5], s[8:9]
	s_or_b64 exec, exec, s[6:7]
	s_and_saveexec_b64 s[6:7], s[4:5]
	s_cbranch_execnz .LBB24_299
	s_branch .LBB24_300
.LBB24_2349:
	s_movk_i32 s4, 0x80
	v_cmp_eq_u16_sdwa s[12:13], v14, s4 src0_sel:BYTE_0 src1_sel:DWORD
	s_mov_b64 s[4:5], -1
                                        ; implicit-def: $sgpr10
	s_and_saveexec_b64 s[8:9], s[12:13]
; %bb.2350:
	s_mov_b32 s10, 0x7f800001
	s_xor_b64 s[4:5], exec, -1
; %bb.2351:
	s_or_b64 exec, exec, s[8:9]
	s_and_b64 s[4:5], s[4:5], exec
	s_or_saveexec_b64 s[6:7], s[6:7]
	v_mov_b32_e32 v20, s10
	s_xor_b64 exec, exec, s[6:7]
	s_cbranch_execz .LBB24_302
.LBB24_2352:
	v_mov_b32_e32 v20, 0
	v_cmp_ne_u16_sdwa s[8:9], v14, v20 src0_sel:BYTE_0 src1_sel:DWORD
	s_andn2_b64 s[4:5], s[4:5], exec
	s_and_b64 s[8:9], s[8:9], exec
	s_or_b64 s[4:5], s[4:5], s[8:9]
	s_or_b64 exec, exec, s[6:7]
	s_and_saveexec_b64 s[6:7], s[4:5]
	s_cbranch_execnz .LBB24_303
	s_branch .LBB24_304
.LBB24_2353:
	s_movk_i32 s4, 0x80
	v_cmp_eq_u16_e32 vcc, s4, v14
	s_mov_b64 s[4:5], -1
                                        ; implicit-def: $sgpr10
	s_and_saveexec_b64 s[8:9], vcc
; %bb.2354:
	s_mov_b32 s10, 0x7f800001
	s_xor_b64 s[4:5], exec, -1
; %bb.2355:
	s_or_b64 exec, exec, s[8:9]
	s_and_b64 s[4:5], s[4:5], exec
                                        ; implicit-def: $vgpr14
	s_or_saveexec_b64 s[6:7], s[6:7]
	v_mov_b32_e32 v10, s10
	s_xor_b64 exec, exec, s[6:7]
	s_cbranch_execz .LBB24_306
.LBB24_2356:
	v_cmp_ne_u16_e32 vcc, 0, v14
	s_andn2_b64 s[4:5], s[4:5], exec
	s_and_b64 s[8:9], vcc, exec
	v_mov_b32_e32 v10, 0
	s_or_b64 s[4:5], s[4:5], s[8:9]
	s_or_b64 exec, exec, s[6:7]
	s_and_saveexec_b64 s[6:7], s[4:5]
	s_cbranch_execnz .LBB24_307
	s_branch .LBB24_308
.LBB24_2357:
	s_movk_i32 s4, 0x80
	v_cmp_eq_u16_e32 vcc, s4, v14
	s_mov_b64 s[4:5], -1
                                        ; implicit-def: $sgpr10
	s_and_saveexec_b64 s[8:9], vcc
; %bb.2358:
	s_mov_b32 s10, 0x7f800001
	s_xor_b64 s[4:5], exec, -1
; %bb.2359:
	s_or_b64 exec, exec, s[8:9]
	s_and_b64 s[4:5], s[4:5], exec
                                        ; implicit-def: $vgpr14
	s_or_saveexec_b64 s[6:7], s[6:7]
	v_mov_b32_e32 v20, s10
	s_xor_b64 exec, exec, s[6:7]
	s_cbranch_execz .LBB24_310
.LBB24_2360:
	v_cmp_ne_u16_e32 vcc, 0, v14
	s_andn2_b64 s[4:5], s[4:5], exec
	s_and_b64 s[8:9], vcc, exec
	v_mov_b32_e32 v20, 0
	s_or_b64 s[4:5], s[4:5], s[8:9]
	s_or_b64 exec, exec, s[6:7]
	s_and_saveexec_b64 s[6:7], s[4:5]
	s_cbranch_execnz .LBB24_311
	s_branch .LBB24_312
.LBB24_2361:
	s_movk_i32 s4, 0x80
	v_cmp_eq_u16_sdwa s[12:13], v15, s4 src0_sel:BYTE_3 src1_sel:DWORD
	s_mov_b64 s[4:5], -1
                                        ; implicit-def: $sgpr10
	s_and_saveexec_b64 s[8:9], s[12:13]
; %bb.2362:
	s_mov_b32 s10, 0x7f800001
	s_xor_b64 s[4:5], exec, -1
; %bb.2363:
	s_or_b64 exec, exec, s[8:9]
	s_and_b64 s[4:5], s[4:5], exec
	s_or_saveexec_b64 s[6:7], s[6:7]
	v_mov_b32_e32 v10, s10
	s_xor_b64 exec, exec, s[6:7]
	s_cbranch_execz .LBB24_314
.LBB24_2364:
	v_mov_b32_e32 v10, 0
	v_cmp_ne_u16_sdwa s[8:9], v15, v10 src0_sel:BYTE_3 src1_sel:DWORD
	s_andn2_b64 s[4:5], s[4:5], exec
	s_and_b64 s[8:9], s[8:9], exec
	s_or_b64 s[4:5], s[4:5], s[8:9]
	s_or_b64 exec, exec, s[6:7]
	s_and_saveexec_b64 s[6:7], s[4:5]
	s_cbranch_execnz .LBB24_315
	s_branch .LBB24_316
.LBB24_2365:
	s_movk_i32 s4, 0x80
	v_cmp_eq_u16_sdwa s[12:13], v11, s4 src0_sel:BYTE_3 src1_sel:DWORD
	s_mov_b64 s[4:5], -1
                                        ; implicit-def: $sgpr10
	s_and_saveexec_b64 s[8:9], s[12:13]
; %bb.2366:
	s_mov_b32 s10, 0x7f800001
	s_xor_b64 s[4:5], exec, -1
; %bb.2367:
	s_or_b64 exec, exec, s[8:9]
	s_and_b64 s[4:5], s[4:5], exec
	s_or_saveexec_b64 s[6:7], s[6:7]
	v_mov_b32_e32 v14, s10
	s_xor_b64 exec, exec, s[6:7]
	s_cbranch_execz .LBB24_318
.LBB24_2368:
	v_mov_b32_e32 v14, 0
	v_cmp_ne_u16_sdwa s[8:9], v11, v14 src0_sel:BYTE_3 src1_sel:DWORD
	s_andn2_b64 s[4:5], s[4:5], exec
	s_and_b64 s[8:9], s[8:9], exec
	s_or_b64 s[4:5], s[4:5], s[8:9]
	s_or_b64 exec, exec, s[6:7]
	s_and_saveexec_b64 s[6:7], s[4:5]
	s_cbranch_execnz .LBB24_319
	s_branch .LBB24_320
.LBB24_2369:
	s_movk_i32 s4, 0x80
	v_cmp_eq_u16_sdwa s[12:13], v16, s4 src0_sel:BYTE_0 src1_sel:DWORD
	s_mov_b64 s[4:5], -1
                                        ; implicit-def: $sgpr10
	s_and_saveexec_b64 s[8:9], s[12:13]
; %bb.2370:
	s_mov_b32 s10, 0x7f800001
	s_xor_b64 s[4:5], exec, -1
; %bb.2371:
	s_or_b64 exec, exec, s[8:9]
	s_and_b64 s[4:5], s[4:5], exec
	s_or_saveexec_b64 s[6:7], s[6:7]
	v_mov_b32_e32 v10, s10
	s_xor_b64 exec, exec, s[6:7]
	s_cbranch_execz .LBB24_322
.LBB24_2372:
	v_mov_b32_e32 v10, 0
	v_cmp_ne_u16_sdwa s[8:9], v16, v10 src0_sel:BYTE_0 src1_sel:DWORD
	s_andn2_b64 s[4:5], s[4:5], exec
	s_and_b64 s[8:9], s[8:9], exec
	s_or_b64 s[4:5], s[4:5], s[8:9]
	s_or_b64 exec, exec, s[6:7]
	s_and_saveexec_b64 s[6:7], s[4:5]
	s_cbranch_execnz .LBB24_323
	s_branch .LBB24_324
.LBB24_2373:
	s_movk_i32 s4, 0x80
	v_cmp_eq_u16_sdwa s[12:13], v12, s4 src0_sel:BYTE_0 src1_sel:DWORD
	s_mov_b64 s[4:5], -1
                                        ; implicit-def: $sgpr10
	s_and_saveexec_b64 s[8:9], s[12:13]
; %bb.2374:
	s_mov_b32 s10, 0x7f800001
	s_xor_b64 s[4:5], exec, -1
; %bb.2375:
	s_or_b64 exec, exec, s[8:9]
	s_and_b64 s[4:5], s[4:5], exec
	s_or_saveexec_b64 s[6:7], s[6:7]
	v_mov_b32_e32 v11, s10
	s_xor_b64 exec, exec, s[6:7]
	s_cbranch_execz .LBB24_326
.LBB24_2376:
	v_mov_b32_e32 v11, 0
	v_cmp_ne_u16_sdwa s[8:9], v12, v11 src0_sel:BYTE_0 src1_sel:DWORD
	s_andn2_b64 s[4:5], s[4:5], exec
	s_and_b64 s[8:9], s[8:9], exec
	s_or_b64 s[4:5], s[4:5], s[8:9]
	s_or_b64 exec, exec, s[6:7]
	s_and_saveexec_b64 s[6:7], s[4:5]
	s_cbranch_execnz .LBB24_327
	s_branch .LBB24_328
.LBB24_2377:
	s_movk_i32 s4, 0x80
	v_cmp_eq_u16_sdwa s[12:13], v11, s4 src0_sel:BYTE_0 src1_sel:DWORD
	s_mov_b64 s[4:5], -1
                                        ; implicit-def: $sgpr10
	s_and_saveexec_b64 s[8:9], s[12:13]
; %bb.2378:
	s_mov_b32 s10, 0x7f800001
	s_xor_b64 s[4:5], exec, -1
; %bb.2379:
	s_or_b64 exec, exec, s[8:9]
	s_and_b64 s[4:5], s[4:5], exec
	s_or_saveexec_b64 s[6:7], s[6:7]
	v_mov_b32_e32 v10, s10
	s_xor_b64 exec, exec, s[6:7]
	s_cbranch_execz .LBB24_330
.LBB24_2380:
	v_mov_b32_e32 v10, 0
	v_cmp_ne_u16_sdwa s[8:9], v11, v10 src0_sel:BYTE_0 src1_sel:DWORD
	s_andn2_b64 s[4:5], s[4:5], exec
	s_and_b64 s[8:9], s[8:9], exec
	s_or_b64 s[4:5], s[4:5], s[8:9]
	s_or_b64 exec, exec, s[6:7]
	s_and_saveexec_b64 s[6:7], s[4:5]
	s_cbranch_execnz .LBB24_331
	s_branch .LBB24_332
.LBB24_2381:
	s_movk_i32 s4, 0x80
	v_cmp_eq_u16_sdwa s[12:13], v11, s4 src0_sel:BYTE_0 src1_sel:DWORD
	s_mov_b64 s[4:5], -1
                                        ; implicit-def: $sgpr10
	s_and_saveexec_b64 s[8:9], s[12:13]
; %bb.2382:
	s_mov_b32 s10, 0x7f800001
	s_xor_b64 s[4:5], exec, -1
; %bb.2383:
	s_or_b64 exec, exec, s[8:9]
	s_and_b64 s[4:5], s[4:5], exec
	s_or_saveexec_b64 s[6:7], s[6:7]
	v_mov_b32_e32 v14, s10
	s_xor_b64 exec, exec, s[6:7]
	s_cbranch_execz .LBB24_334
.LBB24_2384:
	v_mov_b32_e32 v14, 0
	v_cmp_ne_u16_sdwa s[8:9], v11, v14 src0_sel:BYTE_0 src1_sel:DWORD
	s_andn2_b64 s[4:5], s[4:5], exec
	s_and_b64 s[8:9], s[8:9], exec
	s_or_b64 s[4:5], s[4:5], s[8:9]
	s_or_b64 exec, exec, s[6:7]
	s_and_saveexec_b64 s[6:7], s[4:5]
	s_cbranch_execnz .LBB24_335
	s_branch .LBB24_336
.LBB24_2385:
	s_movk_i32 s4, 0x80
	v_cmp_eq_u16_e32 vcc, s4, v11
	s_mov_b64 s[4:5], -1
                                        ; implicit-def: $sgpr10
	s_and_saveexec_b64 s[8:9], vcc
; %bb.2386:
	s_mov_b32 s10, 0x7f800001
	s_xor_b64 s[4:5], exec, -1
; %bb.2387:
	s_or_b64 exec, exec, s[8:9]
	s_and_b64 s[4:5], s[4:5], exec
                                        ; implicit-def: $vgpr11
	s_or_saveexec_b64 s[6:7], s[6:7]
	v_mov_b32_e32 v10, s10
	s_xor_b64 exec, exec, s[6:7]
	s_cbranch_execz .LBB24_338
.LBB24_2388:
	v_cmp_ne_u16_e32 vcc, 0, v11
	s_andn2_b64 s[4:5], s[4:5], exec
	s_and_b64 s[8:9], vcc, exec
	v_mov_b32_e32 v10, 0
	s_or_b64 s[4:5], s[4:5], s[8:9]
	s_or_b64 exec, exec, s[6:7]
	s_and_saveexec_b64 s[6:7], s[4:5]
	s_cbranch_execnz .LBB24_339
	s_branch .LBB24_340
.LBB24_2389:
	s_movk_i32 s4, 0x80
	v_cmp_eq_u16_e32 vcc, s4, v11
	s_mov_b64 s[4:5], -1
                                        ; implicit-def: $sgpr10
	s_and_saveexec_b64 s[8:9], vcc
; %bb.2390:
	s_mov_b32 s10, 0x7f800001
	s_xor_b64 s[4:5], exec, -1
; %bb.2391:
	s_or_b64 exec, exec, s[8:9]
	s_and_b64 s[4:5], s[4:5], exec
                                        ; implicit-def: $vgpr11
	s_or_saveexec_b64 s[6:7], s[6:7]
	v_mov_b32_e32 v14, s10
	s_xor_b64 exec, exec, s[6:7]
	s_cbranch_execz .LBB24_342
.LBB24_2392:
	v_cmp_ne_u16_e32 vcc, 0, v11
	s_andn2_b64 s[4:5], s[4:5], exec
	s_and_b64 s[8:9], vcc, exec
	v_mov_b32_e32 v14, 0
	s_or_b64 s[4:5], s[4:5], s[8:9]
	s_or_b64 exec, exec, s[6:7]
	s_and_saveexec_b64 s[6:7], s[4:5]
	s_cbranch_execnz .LBB24_343
	s_branch .LBB24_344
.LBB24_2393:
	s_movk_i32 s4, 0x80
	v_cmp_eq_u16_sdwa s[12:13], v16, s4 src0_sel:BYTE_3 src1_sel:DWORD
	s_mov_b64 s[4:5], -1
                                        ; implicit-def: $sgpr10
	s_and_saveexec_b64 s[8:9], s[12:13]
; %bb.2394:
	s_mov_b32 s10, 0x7f800001
	s_xor_b64 s[4:5], exec, -1
; %bb.2395:
	s_or_b64 exec, exec, s[8:9]
	s_and_b64 s[4:5], s[4:5], exec
	s_or_saveexec_b64 s[6:7], s[6:7]
	v_mov_b32_e32 v10, s10
	s_xor_b64 exec, exec, s[6:7]
	s_cbranch_execz .LBB24_346
.LBB24_2396:
	v_mov_b32_e32 v10, 0
	v_cmp_ne_u16_sdwa s[8:9], v16, v10 src0_sel:BYTE_3 src1_sel:DWORD
	s_andn2_b64 s[4:5], s[4:5], exec
	s_and_b64 s[8:9], s[8:9], exec
	s_or_b64 s[4:5], s[4:5], s[8:9]
	s_or_b64 exec, exec, s[6:7]
	s_and_saveexec_b64 s[6:7], s[4:5]
	s_cbranch_execnz .LBB24_347
	s_branch .LBB24_348
.LBB24_2397:
	s_movk_i32 s4, 0x80
	v_cmp_eq_u16_sdwa s[12:13], v12, s4 src0_sel:BYTE_3 src1_sel:DWORD
	s_mov_b64 s[4:5], -1
                                        ; implicit-def: $sgpr10
	s_and_saveexec_b64 s[8:9], s[12:13]
; %bb.2398:
	s_mov_b32 s10, 0x7f800001
	s_xor_b64 s[4:5], exec, -1
; %bb.2399:
	s_or_b64 exec, exec, s[8:9]
	s_and_b64 s[4:5], s[4:5], exec
	s_or_saveexec_b64 s[6:7], s[6:7]
	v_mov_b32_e32 v11, s10
	s_xor_b64 exec, exec, s[6:7]
	s_cbranch_execz .LBB24_350
.LBB24_2400:
	v_mov_b32_e32 v11, 0
	v_cmp_ne_u16_sdwa s[8:9], v12, v11 src0_sel:BYTE_3 src1_sel:DWORD
	s_andn2_b64 s[4:5], s[4:5], exec
	s_and_b64 s[8:9], s[8:9], exec
	s_or_b64 s[4:5], s[4:5], s[8:9]
	s_or_b64 exec, exec, s[6:7]
	s_and_saveexec_b64 s[6:7], s[4:5]
	s_cbranch_execnz .LBB24_351
	s_branch .LBB24_352
.LBB24_2401:
	s_movk_i32 s4, 0x80
	v_cmp_eq_u16_sdwa s[12:13], v17, s4 src0_sel:BYTE_0 src1_sel:DWORD
	s_mov_b64 s[4:5], -1
                                        ; implicit-def: $sgpr10
	s_and_saveexec_b64 s[8:9], s[12:13]
; %bb.2402:
	s_mov_b32 s10, 0x7f800001
	s_xor_b64 s[4:5], exec, -1
; %bb.2403:
	s_or_b64 exec, exec, s[8:9]
	s_and_b64 s[4:5], s[4:5], exec
	s_or_saveexec_b64 s[6:7], s[6:7]
	v_mov_b32_e32 v10, s10
	s_xor_b64 exec, exec, s[6:7]
	s_cbranch_execz .LBB24_354
.LBB24_2404:
	v_mov_b32_e32 v10, 0
	v_cmp_ne_u16_sdwa s[8:9], v17, v10 src0_sel:BYTE_0 src1_sel:DWORD
	s_andn2_b64 s[4:5], s[4:5], exec
	s_and_b64 s[8:9], s[8:9], exec
	s_or_b64 s[4:5], s[4:5], s[8:9]
	s_or_b64 exec, exec, s[6:7]
	s_and_saveexec_b64 s[6:7], s[4:5]
	s_cbranch_execnz .LBB24_355
	s_branch .LBB24_356
.LBB24_2405:
	s_movk_i32 s4, 0x80
	v_cmp_eq_u16_sdwa s[12:13], v13, s4 src0_sel:BYTE_0 src1_sel:DWORD
	s_mov_b64 s[4:5], -1
                                        ; implicit-def: $sgpr10
	s_and_saveexec_b64 s[8:9], s[12:13]
; %bb.2406:
	s_mov_b32 s10, 0x7f800001
	s_xor_b64 s[4:5], exec, -1
; %bb.2407:
	s_or_b64 exec, exec, s[8:9]
	s_and_b64 s[4:5], s[4:5], exec
	s_or_saveexec_b64 s[6:7], s[6:7]
	v_mov_b32_e32 v11, s10
	s_xor_b64 exec, exec, s[6:7]
	s_cbranch_execz .LBB24_358
.LBB24_2408:
	v_mov_b32_e32 v11, 0
	v_cmp_ne_u16_sdwa s[8:9], v13, v11 src0_sel:BYTE_0 src1_sel:DWORD
	s_andn2_b64 s[4:5], s[4:5], exec
	s_and_b64 s[8:9], s[8:9], exec
	s_or_b64 s[4:5], s[4:5], s[8:9]
	s_or_b64 exec, exec, s[6:7]
	s_and_saveexec_b64 s[6:7], s[4:5]
	s_cbranch_execnz .LBB24_359
	s_branch .LBB24_360
.LBB24_2409:
	s_movk_i32 s4, 0x80
	v_cmp_eq_u16_sdwa s[12:13], v11, s4 src0_sel:BYTE_0 src1_sel:DWORD
	s_mov_b64 s[4:5], -1
                                        ; implicit-def: $sgpr10
	s_and_saveexec_b64 s[8:9], s[12:13]
; %bb.2410:
	s_mov_b32 s10, 0x7f800001
	s_xor_b64 s[4:5], exec, -1
; %bb.2411:
	s_or_b64 exec, exec, s[8:9]
	s_and_b64 s[4:5], s[4:5], exec
	s_or_saveexec_b64 s[6:7], s[6:7]
	v_mov_b32_e32 v10, s10
	s_xor_b64 exec, exec, s[6:7]
	s_cbranch_execz .LBB24_362
.LBB24_2412:
	v_mov_b32_e32 v10, 0
	v_cmp_ne_u16_sdwa s[8:9], v11, v10 src0_sel:BYTE_0 src1_sel:DWORD
	s_andn2_b64 s[4:5], s[4:5], exec
	s_and_b64 s[8:9], s[8:9], exec
	s_or_b64 s[4:5], s[4:5], s[8:9]
	s_or_b64 exec, exec, s[6:7]
	s_and_saveexec_b64 s[6:7], s[4:5]
	s_cbranch_execnz .LBB24_363
	s_branch .LBB24_364
.LBB24_2413:
	s_movk_i32 s4, 0x80
	v_cmp_eq_u16_sdwa s[12:13], v11, s4 src0_sel:BYTE_0 src1_sel:DWORD
	s_mov_b64 s[4:5], -1
                                        ; implicit-def: $sgpr10
	s_and_saveexec_b64 s[8:9], s[12:13]
; %bb.2414:
	s_mov_b32 s10, 0x7f800001
	s_xor_b64 s[4:5], exec, -1
; %bb.2415:
	s_or_b64 exec, exec, s[8:9]
	s_and_b64 s[4:5], s[4:5], exec
	s_or_saveexec_b64 s[6:7], s[6:7]
	v_mov_b32_e32 v12, s10
	s_xor_b64 exec, exec, s[6:7]
	s_cbranch_execz .LBB24_366
.LBB24_2416:
	v_mov_b32_e32 v12, 0
	v_cmp_ne_u16_sdwa s[8:9], v11, v12 src0_sel:BYTE_0 src1_sel:DWORD
	s_andn2_b64 s[4:5], s[4:5], exec
	s_and_b64 s[8:9], s[8:9], exec
	s_or_b64 s[4:5], s[4:5], s[8:9]
	s_or_b64 exec, exec, s[6:7]
	s_and_saveexec_b64 s[6:7], s[4:5]
	s_cbranch_execnz .LBB24_367
	s_branch .LBB24_368
.LBB24_2417:
	s_movk_i32 s4, 0x80
	v_cmp_eq_u16_e32 vcc, s4, v11
	s_mov_b64 s[4:5], -1
                                        ; implicit-def: $sgpr10
	s_and_saveexec_b64 s[8:9], vcc
; %bb.2418:
	s_mov_b32 s10, 0x7f800001
	s_xor_b64 s[4:5], exec, -1
; %bb.2419:
	s_or_b64 exec, exec, s[8:9]
	s_and_b64 s[4:5], s[4:5], exec
                                        ; implicit-def: $vgpr11
	s_or_saveexec_b64 s[6:7], s[6:7]
	v_mov_b32_e32 v10, s10
	s_xor_b64 exec, exec, s[6:7]
	s_cbranch_execz .LBB24_370
.LBB24_2420:
	v_cmp_ne_u16_e32 vcc, 0, v11
	s_andn2_b64 s[4:5], s[4:5], exec
	s_and_b64 s[8:9], vcc, exec
	v_mov_b32_e32 v10, 0
	s_or_b64 s[4:5], s[4:5], s[8:9]
	s_or_b64 exec, exec, s[6:7]
	s_and_saveexec_b64 s[6:7], s[4:5]
	s_cbranch_execnz .LBB24_371
	s_branch .LBB24_372
.LBB24_2421:
	s_movk_i32 s4, 0x80
	v_cmp_eq_u16_e32 vcc, s4, v11
	s_mov_b64 s[4:5], -1
                                        ; implicit-def: $sgpr10
	s_and_saveexec_b64 s[8:9], vcc
; %bb.2422:
	s_mov_b32 s10, 0x7f800001
	s_xor_b64 s[4:5], exec, -1
; %bb.2423:
	s_or_b64 exec, exec, s[8:9]
	s_and_b64 s[4:5], s[4:5], exec
                                        ; implicit-def: $vgpr11
	s_or_saveexec_b64 s[6:7], s[6:7]
	v_mov_b32_e32 v12, s10
	s_xor_b64 exec, exec, s[6:7]
	s_cbranch_execz .LBB24_374
.LBB24_2424:
	v_cmp_ne_u16_e32 vcc, 0, v11
	s_andn2_b64 s[4:5], s[4:5], exec
	s_and_b64 s[8:9], vcc, exec
	v_mov_b32_e32 v12, 0
	s_or_b64 s[4:5], s[4:5], s[8:9]
	s_or_b64 exec, exec, s[6:7]
	s_and_saveexec_b64 s[6:7], s[4:5]
	s_cbranch_execnz .LBB24_375
	s_branch .LBB24_376
.LBB24_2425:
	s_movk_i32 s4, 0x80
	v_cmp_eq_u16_sdwa s[12:13], v17, s4 src0_sel:BYTE_3 src1_sel:DWORD
	s_mov_b64 s[4:5], -1
                                        ; implicit-def: $sgpr10
	s_and_saveexec_b64 s[8:9], s[12:13]
; %bb.2426:
	s_mov_b32 s10, 0x7f800001
	s_xor_b64 s[4:5], exec, -1
; %bb.2427:
	s_or_b64 exec, exec, s[8:9]
	s_and_b64 s[4:5], s[4:5], exec
	s_or_saveexec_b64 s[6:7], s[6:7]
	v_mov_b32_e32 v10, s10
	s_xor_b64 exec, exec, s[6:7]
	s_cbranch_execz .LBB24_378
.LBB24_2428:
	v_mov_b32_e32 v10, 0
	v_cmp_ne_u16_sdwa s[8:9], v17, v10 src0_sel:BYTE_3 src1_sel:DWORD
	s_andn2_b64 s[4:5], s[4:5], exec
	s_and_b64 s[8:9], s[8:9], exec
	s_or_b64 s[4:5], s[4:5], s[8:9]
	s_or_b64 exec, exec, s[6:7]
	s_and_saveexec_b64 s[6:7], s[4:5]
	s_cbranch_execnz .LBB24_379
	s_branch .LBB24_380
.LBB24_2429:
	s_movk_i32 s4, 0x80
	v_cmp_eq_u16_sdwa s[12:13], v13, s4 src0_sel:BYTE_3 src1_sel:DWORD
	s_mov_b64 s[4:5], -1
                                        ; implicit-def: $sgpr10
	s_and_saveexec_b64 s[8:9], s[12:13]
; %bb.2430:
	s_mov_b32 s10, 0x7f800001
	s_xor_b64 s[4:5], exec, -1
; %bb.2431:
	s_or_b64 exec, exec, s[8:9]
	s_and_b64 s[4:5], s[4:5], exec
	s_or_saveexec_b64 s[6:7], s[6:7]
	v_mov_b32_e32 v11, s10
	s_xor_b64 exec, exec, s[6:7]
	s_cbranch_execz .LBB24_382
.LBB24_2432:
	v_mov_b32_e32 v11, 0
	v_cmp_ne_u16_sdwa s[8:9], v13, v11 src0_sel:BYTE_3 src1_sel:DWORD
	s_andn2_b64 s[4:5], s[4:5], exec
	s_and_b64 s[8:9], s[8:9], exec
	s_or_b64 s[4:5], s[4:5], s[8:9]
	s_or_b64 exec, exec, s[6:7]
	s_and_saveexec_b64 s[6:7], s[4:5]
	s_cbranch_execnz .LBB24_383
	s_branch .LBB24_384
.LBB24_2433:
	s_movk_i32 s4, 0x80
	v_cmp_eq_u16_sdwa s[12:13], v6, s4 src0_sel:BYTE_0 src1_sel:DWORD
	s_mov_b64 s[4:5], -1
                                        ; implicit-def: $sgpr10
	s_and_saveexec_b64 s[8:9], s[12:13]
; %bb.2434:
	s_mov_b32 s10, 0x7f800001
	s_xor_b64 s[4:5], exec, -1
; %bb.2435:
	s_or_b64 exec, exec, s[8:9]
	s_and_b64 s[4:5], s[4:5], exec
	s_or_saveexec_b64 s[6:7], s[6:7]
	v_mov_b32_e32 v10, s10
	s_xor_b64 exec, exec, s[6:7]
	s_cbranch_execz .LBB24_386
.LBB24_2436:
	v_mov_b32_e32 v10, 0
	v_cmp_ne_u16_sdwa s[8:9], v6, v10 src0_sel:BYTE_0 src1_sel:DWORD
	s_andn2_b64 s[4:5], s[4:5], exec
	s_and_b64 s[8:9], s[8:9], exec
	s_or_b64 s[4:5], s[4:5], s[8:9]
	s_or_b64 exec, exec, s[6:7]
	s_and_saveexec_b64 s[6:7], s[4:5]
	s_cbranch_execnz .LBB24_387
	s_branch .LBB24_388
.LBB24_2437:
	s_movk_i32 s4, 0x80
	v_cmp_eq_u16_sdwa s[12:13], v2, s4 src0_sel:BYTE_0 src1_sel:DWORD
	s_mov_b64 s[4:5], -1
                                        ; implicit-def: $sgpr10
	s_and_saveexec_b64 s[8:9], s[12:13]
; %bb.2438:
	s_mov_b32 s10, 0x7f800001
	s_xor_b64 s[4:5], exec, -1
; %bb.2439:
	s_or_b64 exec, exec, s[8:9]
	s_and_b64 s[4:5], s[4:5], exec
	s_or_saveexec_b64 s[6:7], s[6:7]
	v_mov_b32_e32 v11, s10
	s_xor_b64 exec, exec, s[6:7]
	s_cbranch_execz .LBB24_390
.LBB24_2440:
	v_mov_b32_e32 v11, 0
	v_cmp_ne_u16_sdwa s[8:9], v2, v11 src0_sel:BYTE_0 src1_sel:DWORD
	s_andn2_b64 s[4:5], s[4:5], exec
	s_and_b64 s[8:9], s[8:9], exec
	s_or_b64 s[4:5], s[4:5], s[8:9]
	s_or_b64 exec, exec, s[6:7]
	s_and_saveexec_b64 s[6:7], s[4:5]
	s_cbranch_execnz .LBB24_391
	s_branch .LBB24_392
.LBB24_2441:
	s_movk_i32 s4, 0x80
	v_cmp_eq_u16_sdwa s[12:13], v11, s4 src0_sel:BYTE_0 src1_sel:DWORD
	s_mov_b64 s[4:5], -1
                                        ; implicit-def: $sgpr10
	s_and_saveexec_b64 s[8:9], s[12:13]
; %bb.2442:
	s_mov_b32 s10, 0x7f800001
	s_xor_b64 s[4:5], exec, -1
; %bb.2443:
	s_or_b64 exec, exec, s[8:9]
	s_and_b64 s[4:5], s[4:5], exec
	s_or_saveexec_b64 s[6:7], s[6:7]
	v_mov_b32_e32 v10, s10
	s_xor_b64 exec, exec, s[6:7]
	s_cbranch_execz .LBB24_394
.LBB24_2444:
	v_mov_b32_e32 v10, 0
	v_cmp_ne_u16_sdwa s[8:9], v11, v10 src0_sel:BYTE_0 src1_sel:DWORD
	s_andn2_b64 s[4:5], s[4:5], exec
	s_and_b64 s[8:9], s[8:9], exec
	s_or_b64 s[4:5], s[4:5], s[8:9]
	s_or_b64 exec, exec, s[6:7]
	s_and_saveexec_b64 s[6:7], s[4:5]
	s_cbranch_execnz .LBB24_395
	s_branch .LBB24_396
.LBB24_2445:
	s_movk_i32 s4, 0x80
	v_cmp_eq_u16_sdwa s[12:13], v11, s4 src0_sel:BYTE_0 src1_sel:DWORD
	s_mov_b64 s[4:5], -1
                                        ; implicit-def: $sgpr10
	s_and_saveexec_b64 s[8:9], s[12:13]
; %bb.2446:
	s_mov_b32 s10, 0x7f800001
	s_xor_b64 s[4:5], exec, -1
; %bb.2447:
	s_or_b64 exec, exec, s[8:9]
	s_and_b64 s[4:5], s[4:5], exec
	s_or_saveexec_b64 s[6:7], s[6:7]
	v_mov_b32_e32 v12, s10
	s_xor_b64 exec, exec, s[6:7]
	s_cbranch_execz .LBB24_398
.LBB24_2448:
	v_mov_b32_e32 v12, 0
	v_cmp_ne_u16_sdwa s[8:9], v11, v12 src0_sel:BYTE_0 src1_sel:DWORD
	s_andn2_b64 s[4:5], s[4:5], exec
	s_and_b64 s[8:9], s[8:9], exec
	s_or_b64 s[4:5], s[4:5], s[8:9]
	s_or_b64 exec, exec, s[6:7]
	s_and_saveexec_b64 s[6:7], s[4:5]
	s_cbranch_execnz .LBB24_399
	s_branch .LBB24_400
.LBB24_2449:
	s_movk_i32 s4, 0x80
	v_cmp_eq_u16_e32 vcc, s4, v11
	s_mov_b64 s[4:5], -1
                                        ; implicit-def: $sgpr10
	s_and_saveexec_b64 s[8:9], vcc
; %bb.2450:
	s_mov_b32 s10, 0x7f800001
	s_xor_b64 s[4:5], exec, -1
; %bb.2451:
	s_or_b64 exec, exec, s[8:9]
	s_and_b64 s[4:5], s[4:5], exec
                                        ; implicit-def: $vgpr11
	s_or_saveexec_b64 s[6:7], s[6:7]
	v_mov_b32_e32 v10, s10
	s_xor_b64 exec, exec, s[6:7]
	s_cbranch_execz .LBB24_402
.LBB24_2452:
	v_cmp_ne_u16_e32 vcc, 0, v11
	s_andn2_b64 s[4:5], s[4:5], exec
	s_and_b64 s[8:9], vcc, exec
	v_mov_b32_e32 v10, 0
	s_or_b64 s[4:5], s[4:5], s[8:9]
	s_or_b64 exec, exec, s[6:7]
	s_and_saveexec_b64 s[6:7], s[4:5]
	s_cbranch_execnz .LBB24_403
	s_branch .LBB24_404
.LBB24_2453:
	s_movk_i32 s4, 0x80
	v_cmp_eq_u16_e32 vcc, s4, v11
	s_mov_b64 s[4:5], -1
                                        ; implicit-def: $sgpr10
	s_and_saveexec_b64 s[8:9], vcc
; %bb.2454:
	s_mov_b32 s10, 0x7f800001
	s_xor_b64 s[4:5], exec, -1
; %bb.2455:
	s_or_b64 exec, exec, s[8:9]
	s_and_b64 s[4:5], s[4:5], exec
                                        ; implicit-def: $vgpr11
	s_or_saveexec_b64 s[6:7], s[6:7]
	v_mov_b32_e32 v12, s10
	s_xor_b64 exec, exec, s[6:7]
	s_cbranch_execz .LBB24_406
.LBB24_2456:
	v_cmp_ne_u16_e32 vcc, 0, v11
	s_andn2_b64 s[4:5], s[4:5], exec
	s_and_b64 s[8:9], vcc, exec
	v_mov_b32_e32 v12, 0
	s_or_b64 s[4:5], s[4:5], s[8:9]
	s_or_b64 exec, exec, s[6:7]
	s_and_saveexec_b64 s[6:7], s[4:5]
	s_cbranch_execnz .LBB24_407
	s_branch .LBB24_408
.LBB24_2457:
	s_movk_i32 s4, 0x80
	v_cmp_eq_u16_sdwa s[12:13], v6, s4 src0_sel:BYTE_3 src1_sel:DWORD
	s_mov_b64 s[4:5], -1
                                        ; implicit-def: $sgpr10
	s_and_saveexec_b64 s[8:9], s[12:13]
; %bb.2458:
	s_mov_b32 s10, 0x7f800001
	s_xor_b64 s[4:5], exec, -1
; %bb.2459:
	s_or_b64 exec, exec, s[8:9]
	s_and_b64 s[4:5], s[4:5], exec
	s_or_saveexec_b64 s[6:7], s[6:7]
	v_mov_b32_e32 v10, s10
	s_xor_b64 exec, exec, s[6:7]
	s_cbranch_execz .LBB24_410
.LBB24_2460:
	v_mov_b32_e32 v10, 0
	v_cmp_ne_u16_sdwa s[8:9], v6, v10 src0_sel:BYTE_3 src1_sel:DWORD
	s_andn2_b64 s[4:5], s[4:5], exec
	s_and_b64 s[8:9], s[8:9], exec
	s_or_b64 s[4:5], s[4:5], s[8:9]
	s_or_b64 exec, exec, s[6:7]
	s_and_saveexec_b64 s[6:7], s[4:5]
	s_cbranch_execnz .LBB24_411
	s_branch .LBB24_412
.LBB24_2461:
	s_movk_i32 s4, 0x80
	v_cmp_eq_u16_sdwa s[12:13], v2, s4 src0_sel:BYTE_3 src1_sel:DWORD
	s_mov_b64 s[4:5], -1
                                        ; implicit-def: $sgpr10
	s_and_saveexec_b64 s[8:9], s[12:13]
; %bb.2462:
	s_mov_b32 s10, 0x7f800001
	s_xor_b64 s[4:5], exec, -1
; %bb.2463:
	s_or_b64 exec, exec, s[8:9]
	s_and_b64 s[4:5], s[4:5], exec
	s_or_saveexec_b64 s[6:7], s[6:7]
	v_mov_b32_e32 v6, s10
	s_xor_b64 exec, exec, s[6:7]
	s_cbranch_execz .LBB24_414
.LBB24_2464:
	v_mov_b32_e32 v6, 0
	v_cmp_ne_u16_sdwa s[8:9], v2, v6 src0_sel:BYTE_3 src1_sel:DWORD
	s_andn2_b64 s[4:5], s[4:5], exec
	s_and_b64 s[8:9], s[8:9], exec
	s_or_b64 s[4:5], s[4:5], s[8:9]
	s_or_b64 exec, exec, s[6:7]
	s_and_saveexec_b64 s[6:7], s[4:5]
	s_cbranch_execnz .LBB24_415
	s_branch .LBB24_416
.LBB24_2465:
	s_movk_i32 s4, 0x80
	v_cmp_eq_u16_sdwa s[12:13], v7, s4 src0_sel:BYTE_0 src1_sel:DWORD
	s_mov_b64 s[4:5], -1
                                        ; implicit-def: $sgpr10
	s_and_saveexec_b64 s[8:9], s[12:13]
; %bb.2466:
	s_mov_b32 s10, 0x7f800001
	s_xor_b64 s[4:5], exec, -1
; %bb.2467:
	s_or_b64 exec, exec, s[8:9]
	s_and_b64 s[4:5], s[4:5], exec
	s_or_saveexec_b64 s[6:7], s[6:7]
	v_mov_b32_e32 v2, s10
	s_xor_b64 exec, exec, s[6:7]
	s_cbranch_execz .LBB24_418
.LBB24_2468:
	v_mov_b32_e32 v2, 0
	v_cmp_ne_u16_sdwa s[8:9], v7, v2 src0_sel:BYTE_0 src1_sel:DWORD
	s_andn2_b64 s[4:5], s[4:5], exec
	s_and_b64 s[8:9], s[8:9], exec
	s_or_b64 s[4:5], s[4:5], s[8:9]
	s_or_b64 exec, exec, s[6:7]
	s_and_saveexec_b64 s[6:7], s[4:5]
	s_cbranch_execnz .LBB24_419
	s_branch .LBB24_420
.LBB24_2469:
	s_movk_i32 s4, 0x80
	v_cmp_eq_u16_sdwa s[12:13], v3, s4 src0_sel:BYTE_0 src1_sel:DWORD
	s_mov_b64 s[4:5], -1
                                        ; implicit-def: $sgpr10
	s_and_saveexec_b64 s[8:9], s[12:13]
; %bb.2470:
	s_mov_b32 s10, 0x7f800001
	s_xor_b64 s[4:5], exec, -1
; %bb.2471:
	s_or_b64 exec, exec, s[8:9]
	s_and_b64 s[4:5], s[4:5], exec
	s_or_saveexec_b64 s[6:7], s[6:7]
	v_mov_b32_e32 v6, s10
	s_xor_b64 exec, exec, s[6:7]
	s_cbranch_execz .LBB24_422
.LBB24_2472:
	v_mov_b32_e32 v6, 0
	v_cmp_ne_u16_sdwa s[8:9], v3, v6 src0_sel:BYTE_0 src1_sel:DWORD
	s_andn2_b64 s[4:5], s[4:5], exec
	s_and_b64 s[8:9], s[8:9], exec
	s_or_b64 s[4:5], s[4:5], s[8:9]
	s_or_b64 exec, exec, s[6:7]
	s_and_saveexec_b64 s[6:7], s[4:5]
	s_cbranch_execnz .LBB24_423
	s_branch .LBB24_424
.LBB24_2473:
	s_movk_i32 s4, 0x80
	v_cmp_eq_u16_sdwa s[12:13], v6, s4 src0_sel:BYTE_0 src1_sel:DWORD
	s_mov_b64 s[4:5], -1
                                        ; implicit-def: $sgpr10
	s_and_saveexec_b64 s[8:9], s[12:13]
; %bb.2474:
	s_mov_b32 s10, 0x7f800001
	s_xor_b64 s[4:5], exec, -1
; %bb.2475:
	s_or_b64 exec, exec, s[8:9]
	s_and_b64 s[4:5], s[4:5], exec
	s_or_saveexec_b64 s[6:7], s[6:7]
	v_mov_b32_e32 v2, s10
	s_xor_b64 exec, exec, s[6:7]
	s_cbranch_execz .LBB24_426
.LBB24_2476:
	v_mov_b32_e32 v2, 0
	v_cmp_ne_u16_sdwa s[8:9], v6, v2 src0_sel:BYTE_0 src1_sel:DWORD
	s_andn2_b64 s[4:5], s[4:5], exec
	s_and_b64 s[8:9], s[8:9], exec
	s_or_b64 s[4:5], s[4:5], s[8:9]
	s_or_b64 exec, exec, s[6:7]
	s_and_saveexec_b64 s[6:7], s[4:5]
	s_cbranch_execnz .LBB24_427
	s_branch .LBB24_428
.LBB24_2477:
	s_movk_i32 s4, 0x80
	v_cmp_eq_u16_sdwa s[12:13], v6, s4 src0_sel:BYTE_0 src1_sel:DWORD
	s_mov_b64 s[4:5], -1
                                        ; implicit-def: $sgpr10
	s_and_saveexec_b64 s[8:9], s[12:13]
; %bb.2478:
	s_mov_b32 s10, 0x7f800001
	s_xor_b64 s[4:5], exec, -1
; %bb.2479:
	s_or_b64 exec, exec, s[8:9]
	s_and_b64 s[4:5], s[4:5], exec
	s_or_saveexec_b64 s[6:7], s[6:7]
	v_mov_b32_e32 v10, s10
	s_xor_b64 exec, exec, s[6:7]
	s_cbranch_execz .LBB24_430
.LBB24_2480:
	v_mov_b32_e32 v10, 0
	v_cmp_ne_u16_sdwa s[8:9], v6, v10 src0_sel:BYTE_0 src1_sel:DWORD
	s_andn2_b64 s[4:5], s[4:5], exec
	s_and_b64 s[8:9], s[8:9], exec
	s_or_b64 s[4:5], s[4:5], s[8:9]
	s_or_b64 exec, exec, s[6:7]
	s_and_saveexec_b64 s[6:7], s[4:5]
	s_cbranch_execnz .LBB24_431
	s_branch .LBB24_432
.LBB24_2481:
	s_movk_i32 s4, 0x80
	v_cmp_eq_u16_e32 vcc, s4, v6
	s_mov_b64 s[4:5], -1
                                        ; implicit-def: $sgpr10
	s_and_saveexec_b64 s[8:9], vcc
; %bb.2482:
	s_mov_b32 s10, 0x7f800001
	s_xor_b64 s[4:5], exec, -1
; %bb.2483:
	s_or_b64 exec, exec, s[8:9]
	s_and_b64 s[4:5], s[4:5], exec
                                        ; implicit-def: $vgpr6
	s_or_saveexec_b64 s[6:7], s[6:7]
	v_mov_b32_e32 v2, s10
	s_xor_b64 exec, exec, s[6:7]
	s_cbranch_execz .LBB24_434
.LBB24_2484:
	v_cmp_ne_u16_e32 vcc, 0, v6
	s_andn2_b64 s[4:5], s[4:5], exec
	s_and_b64 s[8:9], vcc, exec
	v_mov_b32_e32 v2, 0
	s_or_b64 s[4:5], s[4:5], s[8:9]
	s_or_b64 exec, exec, s[6:7]
	s_and_saveexec_b64 s[6:7], s[4:5]
	s_cbranch_execnz .LBB24_435
	s_branch .LBB24_436
.LBB24_2485:
	s_movk_i32 s4, 0x80
	v_cmp_eq_u16_e32 vcc, s4, v6
	s_mov_b64 s[4:5], -1
                                        ; implicit-def: $sgpr10
	s_and_saveexec_b64 s[8:9], vcc
; %bb.2486:
	s_mov_b32 s10, 0x7f800001
	s_xor_b64 s[4:5], exec, -1
; %bb.2487:
	s_or_b64 exec, exec, s[8:9]
	s_and_b64 s[4:5], s[4:5], exec
                                        ; implicit-def: $vgpr6
	s_or_saveexec_b64 s[6:7], s[6:7]
	v_mov_b32_e32 v10, s10
	s_xor_b64 exec, exec, s[6:7]
	s_cbranch_execz .LBB24_438
.LBB24_2488:
	v_cmp_ne_u16_e32 vcc, 0, v6
	s_andn2_b64 s[4:5], s[4:5], exec
	s_and_b64 s[8:9], vcc, exec
	v_mov_b32_e32 v10, 0
	s_or_b64 s[4:5], s[4:5], s[8:9]
	s_or_b64 exec, exec, s[6:7]
	s_and_saveexec_b64 s[6:7], s[4:5]
	s_cbranch_execnz .LBB24_439
	s_branch .LBB24_440
.LBB24_2489:
	s_movk_i32 s4, 0x80
	v_cmp_eq_u16_sdwa s[12:13], v7, s4 src0_sel:BYTE_3 src1_sel:DWORD
	s_mov_b64 s[4:5], -1
                                        ; implicit-def: $sgpr10
	s_and_saveexec_b64 s[8:9], s[12:13]
; %bb.2490:
	s_mov_b32 s10, 0x7f800001
	s_xor_b64 s[4:5], exec, -1
; %bb.2491:
	s_or_b64 exec, exec, s[8:9]
	s_and_b64 s[4:5], s[4:5], exec
	s_or_saveexec_b64 s[6:7], s[6:7]
	v_mov_b32_e32 v2, s10
	s_xor_b64 exec, exec, s[6:7]
	s_cbranch_execz .LBB24_442
.LBB24_2492:
	v_mov_b32_e32 v2, 0
	v_cmp_ne_u16_sdwa s[8:9], v7, v2 src0_sel:BYTE_3 src1_sel:DWORD
	s_andn2_b64 s[4:5], s[4:5], exec
	s_and_b64 s[8:9], s[8:9], exec
	s_or_b64 s[4:5], s[4:5], s[8:9]
	s_or_b64 exec, exec, s[6:7]
	s_and_saveexec_b64 s[6:7], s[4:5]
	s_cbranch_execnz .LBB24_443
	s_branch .LBB24_444
.LBB24_2493:
	s_movk_i32 s4, 0x80
	v_cmp_eq_u16_sdwa s[12:13], v3, s4 src0_sel:BYTE_3 src1_sel:DWORD
	s_mov_b64 s[4:5], -1
                                        ; implicit-def: $sgpr10
	s_and_saveexec_b64 s[8:9], s[12:13]
; %bb.2494:
	s_mov_b32 s10, 0x7f800001
	s_xor_b64 s[4:5], exec, -1
; %bb.2495:
	s_or_b64 exec, exec, s[8:9]
	s_and_b64 s[4:5], s[4:5], exec
	s_or_saveexec_b64 s[6:7], s[6:7]
	v_mov_b32_e32 v6, s10
	s_xor_b64 exec, exec, s[6:7]
	s_cbranch_execz .LBB24_446
.LBB24_2496:
	v_mov_b32_e32 v6, 0
	v_cmp_ne_u16_sdwa s[8:9], v3, v6 src0_sel:BYTE_3 src1_sel:DWORD
	s_andn2_b64 s[4:5], s[4:5], exec
	s_and_b64 s[8:9], s[8:9], exec
	s_or_b64 s[4:5], s[4:5], s[8:9]
	s_or_b64 exec, exec, s[6:7]
	s_and_saveexec_b64 s[6:7], s[4:5]
	s_cbranch_execnz .LBB24_447
	s_branch .LBB24_448
.LBB24_2497:
	s_movk_i32 s4, 0x80
	v_cmp_eq_u16_sdwa s[12:13], v8, s4 src0_sel:BYTE_0 src1_sel:DWORD
	s_mov_b64 s[4:5], -1
                                        ; implicit-def: $sgpr10
	s_and_saveexec_b64 s[8:9], s[12:13]
; %bb.2498:
	s_mov_b32 s10, 0x7f800001
	s_xor_b64 s[4:5], exec, -1
; %bb.2499:
	s_or_b64 exec, exec, s[8:9]
	s_and_b64 s[4:5], s[4:5], exec
	s_or_saveexec_b64 s[6:7], s[6:7]
	v_mov_b32_e32 v2, s10
	s_xor_b64 exec, exec, s[6:7]
	s_cbranch_execz .LBB24_450
.LBB24_2500:
	v_mov_b32_e32 v2, 0
	v_cmp_ne_u16_sdwa s[8:9], v8, v2 src0_sel:BYTE_0 src1_sel:DWORD
	s_andn2_b64 s[4:5], s[4:5], exec
	s_and_b64 s[8:9], s[8:9], exec
	s_or_b64 s[4:5], s[4:5], s[8:9]
	s_or_b64 exec, exec, s[6:7]
	s_and_saveexec_b64 s[6:7], s[4:5]
	s_cbranch_execnz .LBB24_451
	s_branch .LBB24_452
.LBB24_2501:
	s_movk_i32 s4, 0x80
	v_cmp_eq_u16_sdwa s[12:13], v4, s4 src0_sel:BYTE_0 src1_sel:DWORD
	s_mov_b64 s[4:5], -1
                                        ; implicit-def: $sgpr10
	s_and_saveexec_b64 s[8:9], s[12:13]
; %bb.2502:
	s_mov_b32 s10, 0x7f800001
	s_xor_b64 s[4:5], exec, -1
; %bb.2503:
	s_or_b64 exec, exec, s[8:9]
	s_and_b64 s[4:5], s[4:5], exec
	s_or_saveexec_b64 s[6:7], s[6:7]
	v_mov_b32_e32 v3, s10
	s_xor_b64 exec, exec, s[6:7]
	s_cbranch_execz .LBB24_454
.LBB24_2504:
	v_mov_b32_e32 v3, 0
	v_cmp_ne_u16_sdwa s[8:9], v4, v3 src0_sel:BYTE_0 src1_sel:DWORD
	s_andn2_b64 s[4:5], s[4:5], exec
	s_and_b64 s[8:9], s[8:9], exec
	s_or_b64 s[4:5], s[4:5], s[8:9]
	s_or_b64 exec, exec, s[6:7]
	s_and_saveexec_b64 s[6:7], s[4:5]
	s_cbranch_execnz .LBB24_455
	s_branch .LBB24_456
.LBB24_2505:
	s_movk_i32 s4, 0x80
	v_cmp_eq_u16_sdwa s[12:13], v3, s4 src0_sel:BYTE_0 src1_sel:DWORD
	s_mov_b64 s[4:5], -1
                                        ; implicit-def: $sgpr10
	s_and_saveexec_b64 s[8:9], s[12:13]
; %bb.2506:
	s_mov_b32 s10, 0x7f800001
	s_xor_b64 s[4:5], exec, -1
; %bb.2507:
	s_or_b64 exec, exec, s[8:9]
	s_and_b64 s[4:5], s[4:5], exec
	s_or_saveexec_b64 s[6:7], s[6:7]
	v_mov_b32_e32 v2, s10
	s_xor_b64 exec, exec, s[6:7]
	s_cbranch_execz .LBB24_458
.LBB24_2508:
	v_mov_b32_e32 v2, 0
	v_cmp_ne_u16_sdwa s[8:9], v3, v2 src0_sel:BYTE_0 src1_sel:DWORD
	s_andn2_b64 s[4:5], s[4:5], exec
	s_and_b64 s[8:9], s[8:9], exec
	s_or_b64 s[4:5], s[4:5], s[8:9]
	s_or_b64 exec, exec, s[6:7]
	s_and_saveexec_b64 s[6:7], s[4:5]
	s_cbranch_execnz .LBB24_459
	s_branch .LBB24_460
.LBB24_2509:
	s_movk_i32 s4, 0x80
	v_cmp_eq_u16_sdwa s[12:13], v3, s4 src0_sel:BYTE_0 src1_sel:DWORD
	s_mov_b64 s[4:5], -1
                                        ; implicit-def: $sgpr10
	s_and_saveexec_b64 s[8:9], s[12:13]
; %bb.2510:
	s_mov_b32 s10, 0x7f800001
	s_xor_b64 s[4:5], exec, -1
; %bb.2511:
	s_or_b64 exec, exec, s[8:9]
	s_and_b64 s[4:5], s[4:5], exec
	s_or_saveexec_b64 s[6:7], s[6:7]
	v_mov_b32_e32 v6, s10
	s_xor_b64 exec, exec, s[6:7]
	s_cbranch_execz .LBB24_462
.LBB24_2512:
	v_mov_b32_e32 v6, 0
	v_cmp_ne_u16_sdwa s[8:9], v3, v6 src0_sel:BYTE_0 src1_sel:DWORD
	s_andn2_b64 s[4:5], s[4:5], exec
	s_and_b64 s[8:9], s[8:9], exec
	s_or_b64 s[4:5], s[4:5], s[8:9]
	s_or_b64 exec, exec, s[6:7]
	s_and_saveexec_b64 s[6:7], s[4:5]
	s_cbranch_execnz .LBB24_463
	s_branch .LBB24_464
.LBB24_2513:
	s_movk_i32 s4, 0x80
	v_cmp_eq_u16_e32 vcc, s4, v3
	s_mov_b64 s[4:5], -1
                                        ; implicit-def: $sgpr10
	s_and_saveexec_b64 s[8:9], vcc
; %bb.2514:
	s_mov_b32 s10, 0x7f800001
	s_xor_b64 s[4:5], exec, -1
; %bb.2515:
	s_or_b64 exec, exec, s[8:9]
	s_and_b64 s[4:5], s[4:5], exec
                                        ; implicit-def: $vgpr3
	s_or_saveexec_b64 s[6:7], s[6:7]
	v_mov_b32_e32 v2, s10
	s_xor_b64 exec, exec, s[6:7]
	s_cbranch_execz .LBB24_466
.LBB24_2516:
	v_cmp_ne_u16_e32 vcc, 0, v3
	s_andn2_b64 s[4:5], s[4:5], exec
	s_and_b64 s[8:9], vcc, exec
	v_mov_b32_e32 v2, 0
	s_or_b64 s[4:5], s[4:5], s[8:9]
	s_or_b64 exec, exec, s[6:7]
	s_and_saveexec_b64 s[6:7], s[4:5]
	s_cbranch_execnz .LBB24_467
	s_branch .LBB24_468
.LBB24_2517:
	s_movk_i32 s4, 0x80
	v_cmp_eq_u16_e32 vcc, s4, v3
	s_mov_b64 s[4:5], -1
                                        ; implicit-def: $sgpr10
	s_and_saveexec_b64 s[8:9], vcc
; %bb.2518:
	s_mov_b32 s10, 0x7f800001
	s_xor_b64 s[4:5], exec, -1
; %bb.2519:
	s_or_b64 exec, exec, s[8:9]
	s_and_b64 s[4:5], s[4:5], exec
                                        ; implicit-def: $vgpr3
	s_or_saveexec_b64 s[6:7], s[6:7]
	v_mov_b32_e32 v6, s10
	s_xor_b64 exec, exec, s[6:7]
	s_cbranch_execz .LBB24_470
.LBB24_2520:
	v_cmp_ne_u16_e32 vcc, 0, v3
	s_andn2_b64 s[4:5], s[4:5], exec
	s_and_b64 s[8:9], vcc, exec
	v_mov_b32_e32 v6, 0
	s_or_b64 s[4:5], s[4:5], s[8:9]
	s_or_b64 exec, exec, s[6:7]
	s_and_saveexec_b64 s[6:7], s[4:5]
	s_cbranch_execnz .LBB24_471
	s_branch .LBB24_472
.LBB24_2521:
	s_movk_i32 s4, 0x80
	v_cmp_eq_u16_sdwa s[12:13], v8, s4 src0_sel:BYTE_3 src1_sel:DWORD
	s_mov_b64 s[4:5], -1
                                        ; implicit-def: $sgpr10
	s_and_saveexec_b64 s[8:9], s[12:13]
; %bb.2522:
	s_mov_b32 s10, 0x7f800001
	s_xor_b64 s[4:5], exec, -1
; %bb.2523:
	s_or_b64 exec, exec, s[8:9]
	s_and_b64 s[4:5], s[4:5], exec
	s_or_saveexec_b64 s[6:7], s[6:7]
	v_mov_b32_e32 v2, s10
	s_xor_b64 exec, exec, s[6:7]
	s_cbranch_execz .LBB24_474
.LBB24_2524:
	v_mov_b32_e32 v2, 0
	v_cmp_ne_u16_sdwa s[8:9], v8, v2 src0_sel:BYTE_3 src1_sel:DWORD
	s_andn2_b64 s[4:5], s[4:5], exec
	s_and_b64 s[8:9], s[8:9], exec
	s_or_b64 s[4:5], s[4:5], s[8:9]
	s_or_b64 exec, exec, s[6:7]
	s_and_saveexec_b64 s[6:7], s[4:5]
	s_cbranch_execnz .LBB24_475
	s_branch .LBB24_476
.LBB24_2525:
	s_movk_i32 s4, 0x80
	v_cmp_eq_u16_sdwa s[12:13], v4, s4 src0_sel:BYTE_3 src1_sel:DWORD
	s_mov_b64 s[4:5], -1
                                        ; implicit-def: $sgpr10
	s_and_saveexec_b64 s[8:9], s[12:13]
; %bb.2526:
	s_mov_b32 s10, 0x7f800001
	s_xor_b64 s[4:5], exec, -1
; %bb.2527:
	s_or_b64 exec, exec, s[8:9]
	s_and_b64 s[4:5], s[4:5], exec
	s_or_saveexec_b64 s[6:7], s[6:7]
	v_mov_b32_e32 v3, s10
	s_xor_b64 exec, exec, s[6:7]
	s_cbranch_execz .LBB24_478
.LBB24_2528:
	v_mov_b32_e32 v3, 0
	v_cmp_ne_u16_sdwa s[8:9], v4, v3 src0_sel:BYTE_3 src1_sel:DWORD
	s_andn2_b64 s[4:5], s[4:5], exec
	s_and_b64 s[8:9], s[8:9], exec
	s_or_b64 s[4:5], s[4:5], s[8:9]
	s_or_b64 exec, exec, s[6:7]
	s_and_saveexec_b64 s[6:7], s[4:5]
	s_cbranch_execnz .LBB24_479
	s_branch .LBB24_480
.LBB24_2529:
	s_movk_i32 s4, 0x80
	v_cmp_eq_u16_sdwa s[12:13], v9, s4 src0_sel:BYTE_0 src1_sel:DWORD
	s_mov_b64 s[4:5], -1
                                        ; implicit-def: $sgpr10
	s_and_saveexec_b64 s[8:9], s[12:13]
; %bb.2530:
	s_mov_b32 s10, 0x7f800001
	s_xor_b64 s[4:5], exec, -1
; %bb.2531:
	s_or_b64 exec, exec, s[8:9]
	s_and_b64 s[4:5], s[4:5], exec
	s_or_saveexec_b64 s[6:7], s[6:7]
	v_mov_b32_e32 v2, s10
	s_xor_b64 exec, exec, s[6:7]
	s_cbranch_execz .LBB24_482
.LBB24_2532:
	v_mov_b32_e32 v2, 0
	v_cmp_ne_u16_sdwa s[8:9], v9, v2 src0_sel:BYTE_0 src1_sel:DWORD
	s_andn2_b64 s[4:5], s[4:5], exec
	s_and_b64 s[8:9], s[8:9], exec
	s_or_b64 s[4:5], s[4:5], s[8:9]
	s_or_b64 exec, exec, s[6:7]
	s_and_saveexec_b64 s[6:7], s[4:5]
	s_cbranch_execnz .LBB24_483
	s_branch .LBB24_484
.LBB24_2533:
	s_movk_i32 s4, 0x80
	v_cmp_eq_u16_sdwa s[12:13], v5, s4 src0_sel:BYTE_0 src1_sel:DWORD
	s_mov_b64 s[4:5], -1
                                        ; implicit-def: $sgpr10
	s_and_saveexec_b64 s[8:9], s[12:13]
; %bb.2534:
	s_mov_b32 s10, 0x7f800001
	s_xor_b64 s[4:5], exec, -1
; %bb.2535:
	s_or_b64 exec, exec, s[8:9]
	s_and_b64 s[4:5], s[4:5], exec
	s_or_saveexec_b64 s[6:7], s[6:7]
	v_mov_b32_e32 v3, s10
	s_xor_b64 exec, exec, s[6:7]
	s_cbranch_execz .LBB24_486
.LBB24_2536:
	v_mov_b32_e32 v3, 0
	v_cmp_ne_u16_sdwa s[8:9], v5, v3 src0_sel:BYTE_0 src1_sel:DWORD
	s_andn2_b64 s[4:5], s[4:5], exec
	s_and_b64 s[8:9], s[8:9], exec
	s_or_b64 s[4:5], s[4:5], s[8:9]
	s_or_b64 exec, exec, s[6:7]
	s_and_saveexec_b64 s[6:7], s[4:5]
	s_cbranch_execnz .LBB24_487
	s_branch .LBB24_488
.LBB24_2537:
	s_movk_i32 s4, 0x80
	v_cmp_eq_u16_sdwa s[12:13], v3, s4 src0_sel:BYTE_0 src1_sel:DWORD
	s_mov_b64 s[4:5], -1
                                        ; implicit-def: $sgpr10
	s_and_saveexec_b64 s[8:9], s[12:13]
; %bb.2538:
	s_mov_b32 s10, 0x7f800001
	s_xor_b64 s[4:5], exec, -1
; %bb.2539:
	s_or_b64 exec, exec, s[8:9]
	s_and_b64 s[4:5], s[4:5], exec
	s_or_saveexec_b64 s[6:7], s[6:7]
	v_mov_b32_e32 v2, s10
	s_xor_b64 exec, exec, s[6:7]
	s_cbranch_execz .LBB24_490
.LBB24_2540:
	v_mov_b32_e32 v2, 0
	v_cmp_ne_u16_sdwa s[8:9], v3, v2 src0_sel:BYTE_0 src1_sel:DWORD
	s_andn2_b64 s[4:5], s[4:5], exec
	s_and_b64 s[8:9], s[8:9], exec
	s_or_b64 s[4:5], s[4:5], s[8:9]
	s_or_b64 exec, exec, s[6:7]
	s_and_saveexec_b64 s[6:7], s[4:5]
	s_cbranch_execnz .LBB24_491
	s_branch .LBB24_492
.LBB24_2541:
	s_movk_i32 s4, 0x80
	v_cmp_eq_u16_sdwa s[12:13], v3, s4 src0_sel:BYTE_0 src1_sel:DWORD
	s_mov_b64 s[4:5], -1
                                        ; implicit-def: $sgpr10
	s_and_saveexec_b64 s[8:9], s[12:13]
; %bb.2542:
	s_mov_b32 s10, 0x7f800001
	s_xor_b64 s[4:5], exec, -1
; %bb.2543:
	s_or_b64 exec, exec, s[8:9]
	s_and_b64 s[4:5], s[4:5], exec
	s_or_saveexec_b64 s[6:7], s[6:7]
	v_mov_b32_e32 v4, s10
	s_xor_b64 exec, exec, s[6:7]
	s_cbranch_execz .LBB24_494
.LBB24_2544:
	v_mov_b32_e32 v4, 0
	v_cmp_ne_u16_sdwa s[8:9], v3, v4 src0_sel:BYTE_0 src1_sel:DWORD
	s_andn2_b64 s[4:5], s[4:5], exec
	s_and_b64 s[8:9], s[8:9], exec
	s_or_b64 s[4:5], s[4:5], s[8:9]
	s_or_b64 exec, exec, s[6:7]
	s_and_saveexec_b64 s[6:7], s[4:5]
	s_cbranch_execnz .LBB24_495
	s_branch .LBB24_496
.LBB24_2545:
	s_movk_i32 s4, 0x80
	v_cmp_eq_u16_e32 vcc, s4, v3
	s_mov_b64 s[4:5], -1
                                        ; implicit-def: $sgpr10
	s_and_saveexec_b64 s[8:9], vcc
; %bb.2546:
	s_mov_b32 s10, 0x7f800001
	s_xor_b64 s[4:5], exec, -1
; %bb.2547:
	s_or_b64 exec, exec, s[8:9]
	s_and_b64 s[4:5], s[4:5], exec
                                        ; implicit-def: $vgpr3
	s_or_saveexec_b64 s[6:7], s[6:7]
	v_mov_b32_e32 v2, s10
	s_xor_b64 exec, exec, s[6:7]
	s_cbranch_execz .LBB24_498
.LBB24_2548:
	v_cmp_ne_u16_e32 vcc, 0, v3
	s_andn2_b64 s[4:5], s[4:5], exec
	s_and_b64 s[8:9], vcc, exec
	v_mov_b32_e32 v2, 0
	s_or_b64 s[4:5], s[4:5], s[8:9]
	s_or_b64 exec, exec, s[6:7]
	s_and_saveexec_b64 s[6:7], s[4:5]
	s_cbranch_execnz .LBB24_499
	s_branch .LBB24_500
.LBB24_2549:
	s_movk_i32 s4, 0x80
	v_cmp_eq_u16_e32 vcc, s4, v3
	s_mov_b64 s[4:5], -1
                                        ; implicit-def: $sgpr10
	s_and_saveexec_b64 s[8:9], vcc
; %bb.2550:
	s_mov_b32 s10, 0x7f800001
	s_xor_b64 s[4:5], exec, -1
; %bb.2551:
	s_or_b64 exec, exec, s[8:9]
	s_and_b64 s[4:5], s[4:5], exec
                                        ; implicit-def: $vgpr3
	s_or_saveexec_b64 s[6:7], s[6:7]
	v_mov_b32_e32 v4, s10
	s_xor_b64 exec, exec, s[6:7]
	s_cbranch_execz .LBB24_502
.LBB24_2552:
	v_cmp_ne_u16_e32 vcc, 0, v3
	s_andn2_b64 s[4:5], s[4:5], exec
	s_and_b64 s[8:9], vcc, exec
	v_mov_b32_e32 v4, 0
	s_or_b64 s[4:5], s[4:5], s[8:9]
	s_or_b64 exec, exec, s[6:7]
	s_and_saveexec_b64 s[6:7], s[4:5]
	s_cbranch_execnz .LBB24_503
	s_branch .LBB24_504
.LBB24_2553:
	s_movk_i32 s4, 0x80
	v_cmp_eq_u16_sdwa s[12:13], v9, s4 src0_sel:BYTE_3 src1_sel:DWORD
	s_mov_b64 s[4:5], -1
                                        ; implicit-def: $sgpr10
	s_and_saveexec_b64 s[8:9], s[12:13]
; %bb.2554:
	s_mov_b32 s10, 0x7f800001
	s_xor_b64 s[4:5], exec, -1
; %bb.2555:
	s_or_b64 exec, exec, s[8:9]
	s_and_b64 s[4:5], s[4:5], exec
	s_or_saveexec_b64 s[6:7], s[6:7]
	v_mov_b32_e32 v2, s10
	s_xor_b64 exec, exec, s[6:7]
	s_cbranch_execz .LBB24_506
.LBB24_2556:
	v_mov_b32_e32 v2, 0
	v_cmp_ne_u16_sdwa s[8:9], v9, v2 src0_sel:BYTE_3 src1_sel:DWORD
	s_andn2_b64 s[4:5], s[4:5], exec
	s_and_b64 s[8:9], s[8:9], exec
	s_or_b64 s[4:5], s[4:5], s[8:9]
	s_or_b64 exec, exec, s[6:7]
	s_and_saveexec_b64 s[6:7], s[4:5]
	s_cbranch_execnz .LBB24_507
	s_branch .LBB24_508
.LBB24_2557:
	s_movk_i32 s4, 0x80
	v_cmp_eq_u16_sdwa s[12:13], v5, s4 src0_sel:BYTE_3 src1_sel:DWORD
	s_mov_b64 s[4:5], -1
                                        ; implicit-def: $sgpr10
	s_and_saveexec_b64 s[8:9], s[12:13]
; %bb.2558:
	s_mov_b32 s10, 0x7f800001
	s_xor_b64 s[4:5], exec, -1
; %bb.2559:
	s_or_b64 exec, exec, s[8:9]
	s_and_b64 s[4:5], s[4:5], exec
	s_or_saveexec_b64 s[6:7], s[6:7]
	v_mov_b32_e32 v3, s10
	s_xor_b64 exec, exec, s[6:7]
	s_cbranch_execz .LBB24_510
.LBB24_2560:
	v_mov_b32_e32 v3, 0
	v_cmp_ne_u16_sdwa s[8:9], v5, v3 src0_sel:BYTE_3 src1_sel:DWORD
	s_andn2_b64 s[4:5], s[4:5], exec
	s_and_b64 s[8:9], s[8:9], exec
	s_or_b64 s[4:5], s[4:5], s[8:9]
	s_or_b64 exec, exec, s[6:7]
	s_and_saveexec_b64 s[6:7], s[4:5]
	s_cbranch_execnz .LBB24_511
	s_branch .LBB24_512
.LBB24_2561:
	s_movk_i32 s4, 0x80
	v_cmp_eq_u16_sdwa s[12:13], v14, s4 src0_sel:BYTE_0 src1_sel:DWORD
	s_mov_b64 s[4:5], -1
                                        ; implicit-def: $sgpr10
	s_and_saveexec_b64 s[8:9], s[12:13]
; %bb.2562:
	s_mov_b32 s10, 0x7f800001
	s_xor_b64 s[4:5], exec, -1
; %bb.2563:
	s_or_b64 exec, exec, s[8:9]
	s_and_b64 s[4:5], s[4:5], exec
	s_or_saveexec_b64 s[6:7], s[6:7]
	v_mov_b32_e32 v20, s10
	s_xor_b64 exec, exec, s[6:7]
	s_cbranch_execz .LBB24_514
.LBB24_2564:
	v_mov_b32_e32 v20, 0
	v_cmp_ne_u16_sdwa s[8:9], v14, v20 src0_sel:BYTE_0 src1_sel:DWORD
	s_andn2_b64 s[4:5], s[4:5], exec
	s_and_b64 s[8:9], s[8:9], exec
	s_or_b64 s[4:5], s[4:5], s[8:9]
	s_or_b64 exec, exec, s[6:7]
	s_and_saveexec_b64 s[6:7], s[4:5]
	s_cbranch_execnz .LBB24_515
	s_branch .LBB24_516
.LBB24_2565:
	s_movk_i32 s4, 0x80
	v_cmp_eq_u16_sdwa s[12:13], v10, s4 src0_sel:BYTE_0 src1_sel:DWORD
	s_mov_b64 s[4:5], -1
                                        ; implicit-def: $sgpr10
	s_and_saveexec_b64 s[8:9], s[12:13]
; %bb.2566:
	s_mov_b32 s10, 0x7f800001
	s_xor_b64 s[4:5], exec, -1
; %bb.2567:
	s_or_b64 exec, exec, s[8:9]
	s_and_b64 s[4:5], s[4:5], exec
	s_or_saveexec_b64 s[6:7], s[6:7]
	v_mov_b32_e32 v21, s10
	s_xor_b64 exec, exec, s[6:7]
	s_cbranch_execz .LBB24_518
.LBB24_2568:
	v_mov_b32_e32 v21, 0
	v_cmp_ne_u16_sdwa s[8:9], v10, v21 src0_sel:BYTE_0 src1_sel:DWORD
	s_andn2_b64 s[4:5], s[4:5], exec
	s_and_b64 s[8:9], s[8:9], exec
	s_or_b64 s[4:5], s[4:5], s[8:9]
	s_or_b64 exec, exec, s[6:7]
	s_and_saveexec_b64 s[6:7], s[4:5]
	s_cbranch_execnz .LBB24_519
	s_branch .LBB24_520
.LBB24_2569:
	s_movk_i32 s4, 0x80
	v_cmp_eq_u16_sdwa s[12:13], v21, s4 src0_sel:BYTE_0 src1_sel:DWORD
	s_mov_b64 s[4:5], -1
                                        ; implicit-def: $sgpr10
	s_and_saveexec_b64 s[8:9], s[12:13]
; %bb.2570:
	s_mov_b32 s10, 0x7f800001
	s_xor_b64 s[4:5], exec, -1
; %bb.2571:
	s_or_b64 exec, exec, s[8:9]
	s_and_b64 s[4:5], s[4:5], exec
	s_or_saveexec_b64 s[6:7], s[6:7]
	v_mov_b32_e32 v20, s10
	s_xor_b64 exec, exec, s[6:7]
	s_cbranch_execz .LBB24_522
.LBB24_2572:
	v_mov_b32_e32 v20, 0
	v_cmp_ne_u16_sdwa s[8:9], v21, v20 src0_sel:BYTE_0 src1_sel:DWORD
	s_andn2_b64 s[4:5], s[4:5], exec
	s_and_b64 s[8:9], s[8:9], exec
	s_or_b64 s[4:5], s[4:5], s[8:9]
	s_or_b64 exec, exec, s[6:7]
	s_and_saveexec_b64 s[6:7], s[4:5]
	s_cbranch_execnz .LBB24_523
	s_branch .LBB24_524
.LBB24_2573:
	s_movk_i32 s4, 0x80
	v_cmp_eq_u16_sdwa s[12:13], v21, s4 src0_sel:BYTE_0 src1_sel:DWORD
	s_mov_b64 s[4:5], -1
                                        ; implicit-def: $sgpr10
	s_and_saveexec_b64 s[8:9], s[12:13]
; %bb.2574:
	s_mov_b32 s10, 0x7f800001
	s_xor_b64 s[4:5], exec, -1
; %bb.2575:
	s_or_b64 exec, exec, s[8:9]
	s_and_b64 s[4:5], s[4:5], exec
	s_or_saveexec_b64 s[6:7], s[6:7]
	v_mov_b32_e32 v22, s10
	s_xor_b64 exec, exec, s[6:7]
	s_cbranch_execz .LBB24_526
.LBB24_2576:
	v_mov_b32_e32 v22, 0
	v_cmp_ne_u16_sdwa s[8:9], v21, v22 src0_sel:BYTE_0 src1_sel:DWORD
	s_andn2_b64 s[4:5], s[4:5], exec
	s_and_b64 s[8:9], s[8:9], exec
	s_or_b64 s[4:5], s[4:5], s[8:9]
	s_or_b64 exec, exec, s[6:7]
	s_and_saveexec_b64 s[6:7], s[4:5]
	s_cbranch_execnz .LBB24_527
	s_branch .LBB24_528
.LBB24_2577:
	s_movk_i32 s4, 0x80
	v_cmp_eq_u16_e32 vcc, s4, v21
	s_mov_b64 s[4:5], -1
                                        ; implicit-def: $sgpr10
	s_and_saveexec_b64 s[8:9], vcc
; %bb.2578:
	s_mov_b32 s10, 0x7f800001
	s_xor_b64 s[4:5], exec, -1
; %bb.2579:
	s_or_b64 exec, exec, s[8:9]
	s_and_b64 s[4:5], s[4:5], exec
                                        ; implicit-def: $vgpr21
	s_or_saveexec_b64 s[6:7], s[6:7]
	v_mov_b32_e32 v20, s10
	s_xor_b64 exec, exec, s[6:7]
	s_cbranch_execz .LBB24_530
.LBB24_2580:
	v_cmp_ne_u16_e32 vcc, 0, v21
	s_andn2_b64 s[4:5], s[4:5], exec
	s_and_b64 s[8:9], vcc, exec
	v_mov_b32_e32 v20, 0
	s_or_b64 s[4:5], s[4:5], s[8:9]
	s_or_b64 exec, exec, s[6:7]
	s_and_saveexec_b64 s[6:7], s[4:5]
	s_cbranch_execnz .LBB24_531
	s_branch .LBB24_532
.LBB24_2581:
	s_movk_i32 s4, 0x80
	v_cmp_eq_u16_e32 vcc, s4, v21
	s_mov_b64 s[4:5], -1
                                        ; implicit-def: $sgpr10
	s_and_saveexec_b64 s[8:9], vcc
; %bb.2582:
	s_mov_b32 s10, 0x7f800001
	s_xor_b64 s[4:5], exec, -1
; %bb.2583:
	s_or_b64 exec, exec, s[8:9]
	s_and_b64 s[4:5], s[4:5], exec
                                        ; implicit-def: $vgpr21
	s_or_saveexec_b64 s[6:7], s[6:7]
	v_mov_b32_e32 v22, s10
	s_xor_b64 exec, exec, s[6:7]
	s_cbranch_execz .LBB24_534
.LBB24_2584:
	v_cmp_ne_u16_e32 vcc, 0, v21
	s_andn2_b64 s[4:5], s[4:5], exec
	s_and_b64 s[8:9], vcc, exec
	v_mov_b32_e32 v22, 0
	s_or_b64 s[4:5], s[4:5], s[8:9]
	s_or_b64 exec, exec, s[6:7]
	s_and_saveexec_b64 s[6:7], s[4:5]
	s_cbranch_execnz .LBB24_535
	s_branch .LBB24_536
.LBB24_2585:
	s_movk_i32 s4, 0x80
	v_cmp_eq_u16_sdwa s[12:13], v14, s4 src0_sel:BYTE_3 src1_sel:DWORD
	s_mov_b64 s[4:5], -1
                                        ; implicit-def: $sgpr10
	s_and_saveexec_b64 s[8:9], s[12:13]
; %bb.2586:
	s_mov_b32 s10, 0x7f800001
	s_xor_b64 s[4:5], exec, -1
; %bb.2587:
	s_or_b64 exec, exec, s[8:9]
	s_and_b64 s[4:5], s[4:5], exec
	s_or_saveexec_b64 s[6:7], s[6:7]
	v_mov_b32_e32 v20, s10
	s_xor_b64 exec, exec, s[6:7]
	s_cbranch_execz .LBB24_538
.LBB24_2588:
	v_mov_b32_e32 v20, 0
	v_cmp_ne_u16_sdwa s[8:9], v14, v20 src0_sel:BYTE_3 src1_sel:DWORD
	s_andn2_b64 s[4:5], s[4:5], exec
	s_and_b64 s[8:9], s[8:9], exec
	s_or_b64 s[4:5], s[4:5], s[8:9]
	s_or_b64 exec, exec, s[6:7]
	s_and_saveexec_b64 s[6:7], s[4:5]
	s_cbranch_execnz .LBB24_539
	s_branch .LBB24_540
.LBB24_2589:
	s_movk_i32 s4, 0x80
	v_cmp_eq_u16_sdwa s[12:13], v10, s4 src0_sel:BYTE_3 src1_sel:DWORD
	s_mov_b64 s[4:5], -1
                                        ; implicit-def: $sgpr10
	s_and_saveexec_b64 s[8:9], s[12:13]
; %bb.2590:
	s_mov_b32 s10, 0x7f800001
	s_xor_b64 s[4:5], exec, -1
; %bb.2591:
	s_or_b64 exec, exec, s[8:9]
	s_and_b64 s[4:5], s[4:5], exec
	s_or_saveexec_b64 s[6:7], s[6:7]
	v_mov_b32_e32 v14, s10
	s_xor_b64 exec, exec, s[6:7]
	s_cbranch_execz .LBB24_542
.LBB24_2592:
	v_mov_b32_e32 v14, 0
	v_cmp_ne_u16_sdwa s[8:9], v10, v14 src0_sel:BYTE_3 src1_sel:DWORD
	s_andn2_b64 s[4:5], s[4:5], exec
	s_and_b64 s[8:9], s[8:9], exec
	s_or_b64 s[4:5], s[4:5], s[8:9]
	s_or_b64 exec, exec, s[6:7]
	s_and_saveexec_b64 s[6:7], s[4:5]
	s_cbranch_execnz .LBB24_543
	s_branch .LBB24_544
.LBB24_2593:
	s_movk_i32 s4, 0x80
	v_cmp_eq_u16_sdwa s[12:13], v15, s4 src0_sel:BYTE_0 src1_sel:DWORD
	s_mov_b64 s[4:5], -1
                                        ; implicit-def: $sgpr10
	s_and_saveexec_b64 s[8:9], s[12:13]
; %bb.2594:
	s_mov_b32 s10, 0x7f800001
	s_xor_b64 s[4:5], exec, -1
; %bb.2595:
	s_or_b64 exec, exec, s[8:9]
	s_and_b64 s[4:5], s[4:5], exec
	s_or_saveexec_b64 s[6:7], s[6:7]
	v_mov_b32_e32 v10, s10
	s_xor_b64 exec, exec, s[6:7]
	s_cbranch_execz .LBB24_546
.LBB24_2596:
	v_mov_b32_e32 v10, 0
	v_cmp_ne_u16_sdwa s[8:9], v15, v10 src0_sel:BYTE_0 src1_sel:DWORD
	s_andn2_b64 s[4:5], s[4:5], exec
	s_and_b64 s[8:9], s[8:9], exec
	s_or_b64 s[4:5], s[4:5], s[8:9]
	s_or_b64 exec, exec, s[6:7]
	s_and_saveexec_b64 s[6:7], s[4:5]
	s_cbranch_execnz .LBB24_547
	s_branch .LBB24_548
.LBB24_2597:
	s_movk_i32 s4, 0x80
	v_cmp_eq_u16_sdwa s[12:13], v11, s4 src0_sel:BYTE_0 src1_sel:DWORD
	s_mov_b64 s[4:5], -1
                                        ; implicit-def: $sgpr10
	s_and_saveexec_b64 s[8:9], s[12:13]
; %bb.2598:
	s_mov_b32 s10, 0x7f800001
	s_xor_b64 s[4:5], exec, -1
; %bb.2599:
	s_or_b64 exec, exec, s[8:9]
	s_and_b64 s[4:5], s[4:5], exec
	s_or_saveexec_b64 s[6:7], s[6:7]
	v_mov_b32_e32 v14, s10
	s_xor_b64 exec, exec, s[6:7]
	s_cbranch_execz .LBB24_550
.LBB24_2600:
	v_mov_b32_e32 v14, 0
	v_cmp_ne_u16_sdwa s[8:9], v11, v14 src0_sel:BYTE_0 src1_sel:DWORD
	s_andn2_b64 s[4:5], s[4:5], exec
	s_and_b64 s[8:9], s[8:9], exec
	s_or_b64 s[4:5], s[4:5], s[8:9]
	s_or_b64 exec, exec, s[6:7]
	s_and_saveexec_b64 s[6:7], s[4:5]
	s_cbranch_execnz .LBB24_551
	s_branch .LBB24_552
.LBB24_2601:
	s_movk_i32 s4, 0x80
	v_cmp_eq_u16_sdwa s[12:13], v14, s4 src0_sel:BYTE_0 src1_sel:DWORD
	s_mov_b64 s[4:5], -1
                                        ; implicit-def: $sgpr10
	s_and_saveexec_b64 s[8:9], s[12:13]
; %bb.2602:
	s_mov_b32 s10, 0x7f800001
	s_xor_b64 s[4:5], exec, -1
; %bb.2603:
	s_or_b64 exec, exec, s[8:9]
	s_and_b64 s[4:5], s[4:5], exec
	s_or_saveexec_b64 s[6:7], s[6:7]
	v_mov_b32_e32 v10, s10
	s_xor_b64 exec, exec, s[6:7]
	s_cbranch_execz .LBB24_554
.LBB24_2604:
	v_mov_b32_e32 v10, 0
	v_cmp_ne_u16_sdwa s[8:9], v14, v10 src0_sel:BYTE_0 src1_sel:DWORD
	s_andn2_b64 s[4:5], s[4:5], exec
	s_and_b64 s[8:9], s[8:9], exec
	s_or_b64 s[4:5], s[4:5], s[8:9]
	s_or_b64 exec, exec, s[6:7]
	s_and_saveexec_b64 s[6:7], s[4:5]
	s_cbranch_execnz .LBB24_555
	s_branch .LBB24_556
.LBB24_2605:
	s_movk_i32 s4, 0x80
	v_cmp_eq_u16_sdwa s[12:13], v14, s4 src0_sel:BYTE_0 src1_sel:DWORD
	s_mov_b64 s[4:5], -1
                                        ; implicit-def: $sgpr10
	s_and_saveexec_b64 s[8:9], s[12:13]
; %bb.2606:
	s_mov_b32 s10, 0x7f800001
	s_xor_b64 s[4:5], exec, -1
; %bb.2607:
	s_or_b64 exec, exec, s[8:9]
	s_and_b64 s[4:5], s[4:5], exec
	s_or_saveexec_b64 s[6:7], s[6:7]
	v_mov_b32_e32 v20, s10
	s_xor_b64 exec, exec, s[6:7]
	s_cbranch_execz .LBB24_558
.LBB24_2608:
	v_mov_b32_e32 v20, 0
	v_cmp_ne_u16_sdwa s[8:9], v14, v20 src0_sel:BYTE_0 src1_sel:DWORD
	s_andn2_b64 s[4:5], s[4:5], exec
	s_and_b64 s[8:9], s[8:9], exec
	s_or_b64 s[4:5], s[4:5], s[8:9]
	s_or_b64 exec, exec, s[6:7]
	s_and_saveexec_b64 s[6:7], s[4:5]
	s_cbranch_execnz .LBB24_559
	s_branch .LBB24_560
.LBB24_2609:
	s_movk_i32 s4, 0x80
	v_cmp_eq_u16_e32 vcc, s4, v14
	s_mov_b64 s[4:5], -1
                                        ; implicit-def: $sgpr10
	s_and_saveexec_b64 s[8:9], vcc
; %bb.2610:
	s_mov_b32 s10, 0x7f800001
	s_xor_b64 s[4:5], exec, -1
; %bb.2611:
	s_or_b64 exec, exec, s[8:9]
	s_and_b64 s[4:5], s[4:5], exec
                                        ; implicit-def: $vgpr14
	s_or_saveexec_b64 s[6:7], s[6:7]
	v_mov_b32_e32 v10, s10
	s_xor_b64 exec, exec, s[6:7]
	s_cbranch_execz .LBB24_562
.LBB24_2612:
	v_cmp_ne_u16_e32 vcc, 0, v14
	s_andn2_b64 s[4:5], s[4:5], exec
	s_and_b64 s[8:9], vcc, exec
	v_mov_b32_e32 v10, 0
	s_or_b64 s[4:5], s[4:5], s[8:9]
	s_or_b64 exec, exec, s[6:7]
	s_and_saveexec_b64 s[6:7], s[4:5]
	s_cbranch_execnz .LBB24_563
	s_branch .LBB24_564
.LBB24_2613:
	s_movk_i32 s4, 0x80
	v_cmp_eq_u16_e32 vcc, s4, v14
	s_mov_b64 s[4:5], -1
                                        ; implicit-def: $sgpr10
	s_and_saveexec_b64 s[8:9], vcc
; %bb.2614:
	s_mov_b32 s10, 0x7f800001
	s_xor_b64 s[4:5], exec, -1
; %bb.2615:
	s_or_b64 exec, exec, s[8:9]
	s_and_b64 s[4:5], s[4:5], exec
                                        ; implicit-def: $vgpr14
	s_or_saveexec_b64 s[6:7], s[6:7]
	v_mov_b32_e32 v20, s10
	s_xor_b64 exec, exec, s[6:7]
	s_cbranch_execz .LBB24_566
.LBB24_2616:
	v_cmp_ne_u16_e32 vcc, 0, v14
	s_andn2_b64 s[4:5], s[4:5], exec
	s_and_b64 s[8:9], vcc, exec
	v_mov_b32_e32 v20, 0
	s_or_b64 s[4:5], s[4:5], s[8:9]
	s_or_b64 exec, exec, s[6:7]
	s_and_saveexec_b64 s[6:7], s[4:5]
	s_cbranch_execnz .LBB24_567
	s_branch .LBB24_568
.LBB24_2617:
	s_movk_i32 s4, 0x80
	v_cmp_eq_u16_sdwa s[12:13], v15, s4 src0_sel:BYTE_3 src1_sel:DWORD
	s_mov_b64 s[4:5], -1
                                        ; implicit-def: $sgpr10
	s_and_saveexec_b64 s[8:9], s[12:13]
; %bb.2618:
	s_mov_b32 s10, 0x7f800001
	s_xor_b64 s[4:5], exec, -1
; %bb.2619:
	s_or_b64 exec, exec, s[8:9]
	s_and_b64 s[4:5], s[4:5], exec
	s_or_saveexec_b64 s[6:7], s[6:7]
	v_mov_b32_e32 v10, s10
	s_xor_b64 exec, exec, s[6:7]
	s_cbranch_execz .LBB24_570
.LBB24_2620:
	v_mov_b32_e32 v10, 0
	v_cmp_ne_u16_sdwa s[8:9], v15, v10 src0_sel:BYTE_3 src1_sel:DWORD
	s_andn2_b64 s[4:5], s[4:5], exec
	s_and_b64 s[8:9], s[8:9], exec
	s_or_b64 s[4:5], s[4:5], s[8:9]
	s_or_b64 exec, exec, s[6:7]
	s_and_saveexec_b64 s[6:7], s[4:5]
	s_cbranch_execnz .LBB24_571
	s_branch .LBB24_572
.LBB24_2621:
	s_movk_i32 s4, 0x80
	v_cmp_eq_u16_sdwa s[12:13], v11, s4 src0_sel:BYTE_3 src1_sel:DWORD
	s_mov_b64 s[4:5], -1
                                        ; implicit-def: $sgpr10
	s_and_saveexec_b64 s[8:9], s[12:13]
; %bb.2622:
	s_mov_b32 s10, 0x7f800001
	s_xor_b64 s[4:5], exec, -1
; %bb.2623:
	s_or_b64 exec, exec, s[8:9]
	s_and_b64 s[4:5], s[4:5], exec
	s_or_saveexec_b64 s[6:7], s[6:7]
	v_mov_b32_e32 v14, s10
	s_xor_b64 exec, exec, s[6:7]
	s_cbranch_execz .LBB24_574
.LBB24_2624:
	v_mov_b32_e32 v14, 0
	v_cmp_ne_u16_sdwa s[8:9], v11, v14 src0_sel:BYTE_3 src1_sel:DWORD
	s_andn2_b64 s[4:5], s[4:5], exec
	s_and_b64 s[8:9], s[8:9], exec
	s_or_b64 s[4:5], s[4:5], s[8:9]
	s_or_b64 exec, exec, s[6:7]
	s_and_saveexec_b64 s[6:7], s[4:5]
	s_cbranch_execnz .LBB24_575
	s_branch .LBB24_576
.LBB24_2625:
	s_movk_i32 s4, 0x80
	v_cmp_eq_u16_sdwa s[12:13], v16, s4 src0_sel:BYTE_0 src1_sel:DWORD
	s_mov_b64 s[4:5], -1
                                        ; implicit-def: $sgpr10
	s_and_saveexec_b64 s[8:9], s[12:13]
; %bb.2626:
	s_mov_b32 s10, 0x7f800001
	s_xor_b64 s[4:5], exec, -1
; %bb.2627:
	s_or_b64 exec, exec, s[8:9]
	s_and_b64 s[4:5], s[4:5], exec
	s_or_saveexec_b64 s[6:7], s[6:7]
	v_mov_b32_e32 v10, s10
	s_xor_b64 exec, exec, s[6:7]
	s_cbranch_execz .LBB24_578
.LBB24_2628:
	v_mov_b32_e32 v10, 0
	v_cmp_ne_u16_sdwa s[8:9], v16, v10 src0_sel:BYTE_0 src1_sel:DWORD
	s_andn2_b64 s[4:5], s[4:5], exec
	s_and_b64 s[8:9], s[8:9], exec
	s_or_b64 s[4:5], s[4:5], s[8:9]
	s_or_b64 exec, exec, s[6:7]
	s_and_saveexec_b64 s[6:7], s[4:5]
	s_cbranch_execnz .LBB24_579
	s_branch .LBB24_580
.LBB24_2629:
	s_movk_i32 s4, 0x80
	v_cmp_eq_u16_sdwa s[12:13], v12, s4 src0_sel:BYTE_0 src1_sel:DWORD
	s_mov_b64 s[4:5], -1
                                        ; implicit-def: $sgpr10
	s_and_saveexec_b64 s[8:9], s[12:13]
; %bb.2630:
	s_mov_b32 s10, 0x7f800001
	s_xor_b64 s[4:5], exec, -1
; %bb.2631:
	s_or_b64 exec, exec, s[8:9]
	s_and_b64 s[4:5], s[4:5], exec
	s_or_saveexec_b64 s[6:7], s[6:7]
	v_mov_b32_e32 v11, s10
	s_xor_b64 exec, exec, s[6:7]
	s_cbranch_execz .LBB24_582
.LBB24_2632:
	v_mov_b32_e32 v11, 0
	v_cmp_ne_u16_sdwa s[8:9], v12, v11 src0_sel:BYTE_0 src1_sel:DWORD
	s_andn2_b64 s[4:5], s[4:5], exec
	s_and_b64 s[8:9], s[8:9], exec
	s_or_b64 s[4:5], s[4:5], s[8:9]
	s_or_b64 exec, exec, s[6:7]
	s_and_saveexec_b64 s[6:7], s[4:5]
	s_cbranch_execnz .LBB24_583
	s_branch .LBB24_584
.LBB24_2633:
	s_movk_i32 s4, 0x80
	v_cmp_eq_u16_sdwa s[12:13], v11, s4 src0_sel:BYTE_0 src1_sel:DWORD
	s_mov_b64 s[4:5], -1
                                        ; implicit-def: $sgpr10
	s_and_saveexec_b64 s[8:9], s[12:13]
; %bb.2634:
	s_mov_b32 s10, 0x7f800001
	s_xor_b64 s[4:5], exec, -1
; %bb.2635:
	s_or_b64 exec, exec, s[8:9]
	s_and_b64 s[4:5], s[4:5], exec
	s_or_saveexec_b64 s[6:7], s[6:7]
	v_mov_b32_e32 v10, s10
	s_xor_b64 exec, exec, s[6:7]
	s_cbranch_execz .LBB24_586
.LBB24_2636:
	v_mov_b32_e32 v10, 0
	v_cmp_ne_u16_sdwa s[8:9], v11, v10 src0_sel:BYTE_0 src1_sel:DWORD
	s_andn2_b64 s[4:5], s[4:5], exec
	s_and_b64 s[8:9], s[8:9], exec
	s_or_b64 s[4:5], s[4:5], s[8:9]
	s_or_b64 exec, exec, s[6:7]
	s_and_saveexec_b64 s[6:7], s[4:5]
	s_cbranch_execnz .LBB24_587
	s_branch .LBB24_588
.LBB24_2637:
	s_movk_i32 s4, 0x80
	v_cmp_eq_u16_sdwa s[12:13], v11, s4 src0_sel:BYTE_0 src1_sel:DWORD
	s_mov_b64 s[4:5], -1
                                        ; implicit-def: $sgpr10
	s_and_saveexec_b64 s[8:9], s[12:13]
; %bb.2638:
	s_mov_b32 s10, 0x7f800001
	s_xor_b64 s[4:5], exec, -1
; %bb.2639:
	s_or_b64 exec, exec, s[8:9]
	s_and_b64 s[4:5], s[4:5], exec
	s_or_saveexec_b64 s[6:7], s[6:7]
	v_mov_b32_e32 v14, s10
	s_xor_b64 exec, exec, s[6:7]
	s_cbranch_execz .LBB24_590
.LBB24_2640:
	v_mov_b32_e32 v14, 0
	v_cmp_ne_u16_sdwa s[8:9], v11, v14 src0_sel:BYTE_0 src1_sel:DWORD
	s_andn2_b64 s[4:5], s[4:5], exec
	s_and_b64 s[8:9], s[8:9], exec
	s_or_b64 s[4:5], s[4:5], s[8:9]
	s_or_b64 exec, exec, s[6:7]
	s_and_saveexec_b64 s[6:7], s[4:5]
	s_cbranch_execnz .LBB24_591
	s_branch .LBB24_592
.LBB24_2641:
	s_movk_i32 s4, 0x80
	v_cmp_eq_u16_e32 vcc, s4, v11
	s_mov_b64 s[4:5], -1
                                        ; implicit-def: $sgpr10
	s_and_saveexec_b64 s[8:9], vcc
; %bb.2642:
	s_mov_b32 s10, 0x7f800001
	s_xor_b64 s[4:5], exec, -1
; %bb.2643:
	s_or_b64 exec, exec, s[8:9]
	s_and_b64 s[4:5], s[4:5], exec
                                        ; implicit-def: $vgpr11
	s_or_saveexec_b64 s[6:7], s[6:7]
	v_mov_b32_e32 v10, s10
	s_xor_b64 exec, exec, s[6:7]
	s_cbranch_execz .LBB24_594
.LBB24_2644:
	v_cmp_ne_u16_e32 vcc, 0, v11
	s_andn2_b64 s[4:5], s[4:5], exec
	s_and_b64 s[8:9], vcc, exec
	v_mov_b32_e32 v10, 0
	s_or_b64 s[4:5], s[4:5], s[8:9]
	s_or_b64 exec, exec, s[6:7]
	s_and_saveexec_b64 s[6:7], s[4:5]
	s_cbranch_execnz .LBB24_595
	s_branch .LBB24_596
.LBB24_2645:
	s_movk_i32 s4, 0x80
	v_cmp_eq_u16_e32 vcc, s4, v11
	s_mov_b64 s[4:5], -1
                                        ; implicit-def: $sgpr10
	s_and_saveexec_b64 s[8:9], vcc
; %bb.2646:
	s_mov_b32 s10, 0x7f800001
	s_xor_b64 s[4:5], exec, -1
; %bb.2647:
	s_or_b64 exec, exec, s[8:9]
	s_and_b64 s[4:5], s[4:5], exec
                                        ; implicit-def: $vgpr11
	s_or_saveexec_b64 s[6:7], s[6:7]
	v_mov_b32_e32 v14, s10
	s_xor_b64 exec, exec, s[6:7]
	s_cbranch_execz .LBB24_598
.LBB24_2648:
	v_cmp_ne_u16_e32 vcc, 0, v11
	s_andn2_b64 s[4:5], s[4:5], exec
	s_and_b64 s[8:9], vcc, exec
	v_mov_b32_e32 v14, 0
	s_or_b64 s[4:5], s[4:5], s[8:9]
	s_or_b64 exec, exec, s[6:7]
	s_and_saveexec_b64 s[6:7], s[4:5]
	s_cbranch_execnz .LBB24_599
	s_branch .LBB24_600
.LBB24_2649:
	s_movk_i32 s4, 0x80
	v_cmp_eq_u16_sdwa s[12:13], v16, s4 src0_sel:BYTE_3 src1_sel:DWORD
	s_mov_b64 s[4:5], -1
                                        ; implicit-def: $sgpr10
	s_and_saveexec_b64 s[8:9], s[12:13]
; %bb.2650:
	s_mov_b32 s10, 0x7f800001
	s_xor_b64 s[4:5], exec, -1
; %bb.2651:
	s_or_b64 exec, exec, s[8:9]
	s_and_b64 s[4:5], s[4:5], exec
	s_or_saveexec_b64 s[6:7], s[6:7]
	v_mov_b32_e32 v10, s10
	s_xor_b64 exec, exec, s[6:7]
	s_cbranch_execz .LBB24_602
.LBB24_2652:
	v_mov_b32_e32 v10, 0
	v_cmp_ne_u16_sdwa s[8:9], v16, v10 src0_sel:BYTE_3 src1_sel:DWORD
	s_andn2_b64 s[4:5], s[4:5], exec
	s_and_b64 s[8:9], s[8:9], exec
	s_or_b64 s[4:5], s[4:5], s[8:9]
	s_or_b64 exec, exec, s[6:7]
	s_and_saveexec_b64 s[6:7], s[4:5]
	s_cbranch_execnz .LBB24_603
	s_branch .LBB24_604
.LBB24_2653:
	s_movk_i32 s4, 0x80
	v_cmp_eq_u16_sdwa s[12:13], v12, s4 src0_sel:BYTE_3 src1_sel:DWORD
	s_mov_b64 s[4:5], -1
                                        ; implicit-def: $sgpr10
	s_and_saveexec_b64 s[8:9], s[12:13]
; %bb.2654:
	s_mov_b32 s10, 0x7f800001
	s_xor_b64 s[4:5], exec, -1
; %bb.2655:
	s_or_b64 exec, exec, s[8:9]
	s_and_b64 s[4:5], s[4:5], exec
	s_or_saveexec_b64 s[6:7], s[6:7]
	v_mov_b32_e32 v11, s10
	s_xor_b64 exec, exec, s[6:7]
	s_cbranch_execz .LBB24_606
.LBB24_2656:
	v_mov_b32_e32 v11, 0
	v_cmp_ne_u16_sdwa s[8:9], v12, v11 src0_sel:BYTE_3 src1_sel:DWORD
	s_andn2_b64 s[4:5], s[4:5], exec
	s_and_b64 s[8:9], s[8:9], exec
	s_or_b64 s[4:5], s[4:5], s[8:9]
	s_or_b64 exec, exec, s[6:7]
	s_and_saveexec_b64 s[6:7], s[4:5]
	s_cbranch_execnz .LBB24_607
	s_branch .LBB24_608
.LBB24_2657:
	s_movk_i32 s4, 0x80
	v_cmp_eq_u16_sdwa s[12:13], v17, s4 src0_sel:BYTE_0 src1_sel:DWORD
	s_mov_b64 s[4:5], -1
                                        ; implicit-def: $sgpr10
	s_and_saveexec_b64 s[8:9], s[12:13]
; %bb.2658:
	s_mov_b32 s10, 0x7f800001
	s_xor_b64 s[4:5], exec, -1
; %bb.2659:
	s_or_b64 exec, exec, s[8:9]
	s_and_b64 s[4:5], s[4:5], exec
	s_or_saveexec_b64 s[6:7], s[6:7]
	v_mov_b32_e32 v10, s10
	s_xor_b64 exec, exec, s[6:7]
	s_cbranch_execz .LBB24_610
.LBB24_2660:
	v_mov_b32_e32 v10, 0
	v_cmp_ne_u16_sdwa s[8:9], v17, v10 src0_sel:BYTE_0 src1_sel:DWORD
	s_andn2_b64 s[4:5], s[4:5], exec
	s_and_b64 s[8:9], s[8:9], exec
	s_or_b64 s[4:5], s[4:5], s[8:9]
	s_or_b64 exec, exec, s[6:7]
	s_and_saveexec_b64 s[6:7], s[4:5]
	s_cbranch_execnz .LBB24_611
	s_branch .LBB24_612
.LBB24_2661:
	s_movk_i32 s4, 0x80
	v_cmp_eq_u16_sdwa s[12:13], v13, s4 src0_sel:BYTE_0 src1_sel:DWORD
	s_mov_b64 s[4:5], -1
                                        ; implicit-def: $sgpr10
	s_and_saveexec_b64 s[8:9], s[12:13]
; %bb.2662:
	s_mov_b32 s10, 0x7f800001
	s_xor_b64 s[4:5], exec, -1
; %bb.2663:
	s_or_b64 exec, exec, s[8:9]
	s_and_b64 s[4:5], s[4:5], exec
	s_or_saveexec_b64 s[6:7], s[6:7]
	v_mov_b32_e32 v11, s10
	s_xor_b64 exec, exec, s[6:7]
	s_cbranch_execz .LBB24_614
.LBB24_2664:
	v_mov_b32_e32 v11, 0
	v_cmp_ne_u16_sdwa s[8:9], v13, v11 src0_sel:BYTE_0 src1_sel:DWORD
	s_andn2_b64 s[4:5], s[4:5], exec
	s_and_b64 s[8:9], s[8:9], exec
	s_or_b64 s[4:5], s[4:5], s[8:9]
	s_or_b64 exec, exec, s[6:7]
	s_and_saveexec_b64 s[6:7], s[4:5]
	s_cbranch_execnz .LBB24_615
	s_branch .LBB24_616
.LBB24_2665:
	s_movk_i32 s4, 0x80
	v_cmp_eq_u16_sdwa s[12:13], v11, s4 src0_sel:BYTE_0 src1_sel:DWORD
	s_mov_b64 s[4:5], -1
                                        ; implicit-def: $sgpr10
	s_and_saveexec_b64 s[8:9], s[12:13]
; %bb.2666:
	s_mov_b32 s10, 0x7f800001
	s_xor_b64 s[4:5], exec, -1
; %bb.2667:
	s_or_b64 exec, exec, s[8:9]
	s_and_b64 s[4:5], s[4:5], exec
	s_or_saveexec_b64 s[6:7], s[6:7]
	v_mov_b32_e32 v10, s10
	s_xor_b64 exec, exec, s[6:7]
	s_cbranch_execz .LBB24_618
.LBB24_2668:
	v_mov_b32_e32 v10, 0
	v_cmp_ne_u16_sdwa s[8:9], v11, v10 src0_sel:BYTE_0 src1_sel:DWORD
	s_andn2_b64 s[4:5], s[4:5], exec
	s_and_b64 s[8:9], s[8:9], exec
	s_or_b64 s[4:5], s[4:5], s[8:9]
	s_or_b64 exec, exec, s[6:7]
	s_and_saveexec_b64 s[6:7], s[4:5]
	s_cbranch_execnz .LBB24_619
	s_branch .LBB24_620
.LBB24_2669:
	s_movk_i32 s4, 0x80
	v_cmp_eq_u16_sdwa s[12:13], v11, s4 src0_sel:BYTE_0 src1_sel:DWORD
	s_mov_b64 s[4:5], -1
                                        ; implicit-def: $sgpr10
	s_and_saveexec_b64 s[8:9], s[12:13]
; %bb.2670:
	s_mov_b32 s10, 0x7f800001
	s_xor_b64 s[4:5], exec, -1
; %bb.2671:
	s_or_b64 exec, exec, s[8:9]
	s_and_b64 s[4:5], s[4:5], exec
	s_or_saveexec_b64 s[6:7], s[6:7]
	v_mov_b32_e32 v12, s10
	s_xor_b64 exec, exec, s[6:7]
	s_cbranch_execz .LBB24_622
.LBB24_2672:
	v_mov_b32_e32 v12, 0
	v_cmp_ne_u16_sdwa s[8:9], v11, v12 src0_sel:BYTE_0 src1_sel:DWORD
	s_andn2_b64 s[4:5], s[4:5], exec
	s_and_b64 s[8:9], s[8:9], exec
	s_or_b64 s[4:5], s[4:5], s[8:9]
	s_or_b64 exec, exec, s[6:7]
	s_and_saveexec_b64 s[6:7], s[4:5]
	s_cbranch_execnz .LBB24_623
	s_branch .LBB24_624
.LBB24_2673:
	s_movk_i32 s4, 0x80
	v_cmp_eq_u16_e32 vcc, s4, v11
	s_mov_b64 s[4:5], -1
                                        ; implicit-def: $sgpr10
	s_and_saveexec_b64 s[8:9], vcc
; %bb.2674:
	s_mov_b32 s10, 0x7f800001
	s_xor_b64 s[4:5], exec, -1
; %bb.2675:
	s_or_b64 exec, exec, s[8:9]
	s_and_b64 s[4:5], s[4:5], exec
                                        ; implicit-def: $vgpr11
	s_or_saveexec_b64 s[6:7], s[6:7]
	v_mov_b32_e32 v10, s10
	s_xor_b64 exec, exec, s[6:7]
	s_cbranch_execz .LBB24_626
.LBB24_2676:
	v_cmp_ne_u16_e32 vcc, 0, v11
	s_andn2_b64 s[4:5], s[4:5], exec
	s_and_b64 s[8:9], vcc, exec
	v_mov_b32_e32 v10, 0
	s_or_b64 s[4:5], s[4:5], s[8:9]
	s_or_b64 exec, exec, s[6:7]
	s_and_saveexec_b64 s[6:7], s[4:5]
	s_cbranch_execnz .LBB24_627
	s_branch .LBB24_628
.LBB24_2677:
	s_movk_i32 s4, 0x80
	v_cmp_eq_u16_e32 vcc, s4, v11
	s_mov_b64 s[4:5], -1
                                        ; implicit-def: $sgpr10
	s_and_saveexec_b64 s[8:9], vcc
; %bb.2678:
	s_mov_b32 s10, 0x7f800001
	s_xor_b64 s[4:5], exec, -1
; %bb.2679:
	s_or_b64 exec, exec, s[8:9]
	s_and_b64 s[4:5], s[4:5], exec
                                        ; implicit-def: $vgpr11
	s_or_saveexec_b64 s[6:7], s[6:7]
	v_mov_b32_e32 v12, s10
	s_xor_b64 exec, exec, s[6:7]
	s_cbranch_execz .LBB24_630
.LBB24_2680:
	v_cmp_ne_u16_e32 vcc, 0, v11
	s_andn2_b64 s[4:5], s[4:5], exec
	s_and_b64 s[8:9], vcc, exec
	v_mov_b32_e32 v12, 0
	s_or_b64 s[4:5], s[4:5], s[8:9]
	s_or_b64 exec, exec, s[6:7]
	s_and_saveexec_b64 s[6:7], s[4:5]
	s_cbranch_execnz .LBB24_631
	s_branch .LBB24_632
.LBB24_2681:
	s_movk_i32 s4, 0x80
	v_cmp_eq_u16_sdwa s[12:13], v17, s4 src0_sel:BYTE_3 src1_sel:DWORD
	s_mov_b64 s[4:5], -1
                                        ; implicit-def: $sgpr10
	s_and_saveexec_b64 s[8:9], s[12:13]
; %bb.2682:
	s_mov_b32 s10, 0x7f800001
	s_xor_b64 s[4:5], exec, -1
; %bb.2683:
	s_or_b64 exec, exec, s[8:9]
	s_and_b64 s[4:5], s[4:5], exec
	s_or_saveexec_b64 s[6:7], s[6:7]
	v_mov_b32_e32 v10, s10
	s_xor_b64 exec, exec, s[6:7]
	s_cbranch_execz .LBB24_634
.LBB24_2684:
	v_mov_b32_e32 v10, 0
	v_cmp_ne_u16_sdwa s[8:9], v17, v10 src0_sel:BYTE_3 src1_sel:DWORD
	s_andn2_b64 s[4:5], s[4:5], exec
	s_and_b64 s[8:9], s[8:9], exec
	s_or_b64 s[4:5], s[4:5], s[8:9]
	s_or_b64 exec, exec, s[6:7]
	s_and_saveexec_b64 s[6:7], s[4:5]
	s_cbranch_execnz .LBB24_635
	s_branch .LBB24_636
.LBB24_2685:
	s_movk_i32 s4, 0x80
	v_cmp_eq_u16_sdwa s[12:13], v13, s4 src0_sel:BYTE_3 src1_sel:DWORD
	s_mov_b64 s[4:5], -1
                                        ; implicit-def: $sgpr10
	s_and_saveexec_b64 s[8:9], s[12:13]
; %bb.2686:
	s_mov_b32 s10, 0x7f800001
	s_xor_b64 s[4:5], exec, -1
; %bb.2687:
	s_or_b64 exec, exec, s[8:9]
	s_and_b64 s[4:5], s[4:5], exec
	s_or_saveexec_b64 s[6:7], s[6:7]
	v_mov_b32_e32 v11, s10
	s_xor_b64 exec, exec, s[6:7]
	s_cbranch_execz .LBB24_638
.LBB24_2688:
	v_mov_b32_e32 v11, 0
	v_cmp_ne_u16_sdwa s[8:9], v13, v11 src0_sel:BYTE_3 src1_sel:DWORD
	s_andn2_b64 s[4:5], s[4:5], exec
	s_and_b64 s[8:9], s[8:9], exec
	s_or_b64 s[4:5], s[4:5], s[8:9]
	s_or_b64 exec, exec, s[6:7]
	s_and_saveexec_b64 s[6:7], s[4:5]
	s_cbranch_execnz .LBB24_639
	s_branch .LBB24_640
.LBB24_2689:
	s_movk_i32 s4, 0x80
	v_cmp_eq_u16_sdwa s[12:13], v6, s4 src0_sel:BYTE_0 src1_sel:DWORD
	s_mov_b64 s[4:5], -1
                                        ; implicit-def: $sgpr10
	s_and_saveexec_b64 s[8:9], s[12:13]
; %bb.2690:
	s_mov_b32 s10, 0x7f800001
	s_xor_b64 s[4:5], exec, -1
; %bb.2691:
	s_or_b64 exec, exec, s[8:9]
	s_and_b64 s[4:5], s[4:5], exec
	s_or_saveexec_b64 s[6:7], s[6:7]
	v_mov_b32_e32 v10, s10
	s_xor_b64 exec, exec, s[6:7]
	s_cbranch_execz .LBB24_642
.LBB24_2692:
	v_mov_b32_e32 v10, 0
	v_cmp_ne_u16_sdwa s[8:9], v6, v10 src0_sel:BYTE_0 src1_sel:DWORD
	s_andn2_b64 s[4:5], s[4:5], exec
	s_and_b64 s[8:9], s[8:9], exec
	s_or_b64 s[4:5], s[4:5], s[8:9]
	s_or_b64 exec, exec, s[6:7]
	s_and_saveexec_b64 s[6:7], s[4:5]
	s_cbranch_execnz .LBB24_643
	s_branch .LBB24_644
.LBB24_2693:
	s_movk_i32 s4, 0x80
	v_cmp_eq_u16_sdwa s[12:13], v2, s4 src0_sel:BYTE_0 src1_sel:DWORD
	s_mov_b64 s[4:5], -1
                                        ; implicit-def: $sgpr10
	s_and_saveexec_b64 s[8:9], s[12:13]
; %bb.2694:
	s_mov_b32 s10, 0x7f800001
	s_xor_b64 s[4:5], exec, -1
; %bb.2695:
	s_or_b64 exec, exec, s[8:9]
	s_and_b64 s[4:5], s[4:5], exec
	s_or_saveexec_b64 s[6:7], s[6:7]
	v_mov_b32_e32 v11, s10
	s_xor_b64 exec, exec, s[6:7]
	s_cbranch_execz .LBB24_646
.LBB24_2696:
	v_mov_b32_e32 v11, 0
	v_cmp_ne_u16_sdwa s[8:9], v2, v11 src0_sel:BYTE_0 src1_sel:DWORD
	s_andn2_b64 s[4:5], s[4:5], exec
	s_and_b64 s[8:9], s[8:9], exec
	s_or_b64 s[4:5], s[4:5], s[8:9]
	s_or_b64 exec, exec, s[6:7]
	s_and_saveexec_b64 s[6:7], s[4:5]
	s_cbranch_execnz .LBB24_647
	s_branch .LBB24_648
.LBB24_2697:
	s_movk_i32 s4, 0x80
	v_cmp_eq_u16_sdwa s[12:13], v11, s4 src0_sel:BYTE_0 src1_sel:DWORD
	s_mov_b64 s[4:5], -1
                                        ; implicit-def: $sgpr10
	s_and_saveexec_b64 s[8:9], s[12:13]
; %bb.2698:
	s_mov_b32 s10, 0x7f800001
	s_xor_b64 s[4:5], exec, -1
; %bb.2699:
	s_or_b64 exec, exec, s[8:9]
	s_and_b64 s[4:5], s[4:5], exec
	s_or_saveexec_b64 s[6:7], s[6:7]
	v_mov_b32_e32 v10, s10
	s_xor_b64 exec, exec, s[6:7]
	s_cbranch_execz .LBB24_650
.LBB24_2700:
	v_mov_b32_e32 v10, 0
	v_cmp_ne_u16_sdwa s[8:9], v11, v10 src0_sel:BYTE_0 src1_sel:DWORD
	s_andn2_b64 s[4:5], s[4:5], exec
	s_and_b64 s[8:9], s[8:9], exec
	s_or_b64 s[4:5], s[4:5], s[8:9]
	s_or_b64 exec, exec, s[6:7]
	s_and_saveexec_b64 s[6:7], s[4:5]
	s_cbranch_execnz .LBB24_651
	s_branch .LBB24_652
.LBB24_2701:
	s_movk_i32 s4, 0x80
	v_cmp_eq_u16_sdwa s[12:13], v11, s4 src0_sel:BYTE_0 src1_sel:DWORD
	s_mov_b64 s[4:5], -1
                                        ; implicit-def: $sgpr10
	s_and_saveexec_b64 s[8:9], s[12:13]
; %bb.2702:
	s_mov_b32 s10, 0x7f800001
	s_xor_b64 s[4:5], exec, -1
; %bb.2703:
	s_or_b64 exec, exec, s[8:9]
	s_and_b64 s[4:5], s[4:5], exec
	s_or_saveexec_b64 s[6:7], s[6:7]
	v_mov_b32_e32 v12, s10
	s_xor_b64 exec, exec, s[6:7]
	s_cbranch_execz .LBB24_654
.LBB24_2704:
	v_mov_b32_e32 v12, 0
	v_cmp_ne_u16_sdwa s[8:9], v11, v12 src0_sel:BYTE_0 src1_sel:DWORD
	s_andn2_b64 s[4:5], s[4:5], exec
	s_and_b64 s[8:9], s[8:9], exec
	s_or_b64 s[4:5], s[4:5], s[8:9]
	s_or_b64 exec, exec, s[6:7]
	s_and_saveexec_b64 s[6:7], s[4:5]
	s_cbranch_execnz .LBB24_655
	s_branch .LBB24_656
.LBB24_2705:
	s_movk_i32 s4, 0x80
	v_cmp_eq_u16_e32 vcc, s4, v11
	s_mov_b64 s[4:5], -1
                                        ; implicit-def: $sgpr10
	s_and_saveexec_b64 s[8:9], vcc
; %bb.2706:
	s_mov_b32 s10, 0x7f800001
	s_xor_b64 s[4:5], exec, -1
; %bb.2707:
	s_or_b64 exec, exec, s[8:9]
	s_and_b64 s[4:5], s[4:5], exec
                                        ; implicit-def: $vgpr11
	s_or_saveexec_b64 s[6:7], s[6:7]
	v_mov_b32_e32 v10, s10
	s_xor_b64 exec, exec, s[6:7]
	s_cbranch_execz .LBB24_658
.LBB24_2708:
	v_cmp_ne_u16_e32 vcc, 0, v11
	s_andn2_b64 s[4:5], s[4:5], exec
	s_and_b64 s[8:9], vcc, exec
	v_mov_b32_e32 v10, 0
	s_or_b64 s[4:5], s[4:5], s[8:9]
	s_or_b64 exec, exec, s[6:7]
	s_and_saveexec_b64 s[6:7], s[4:5]
	s_cbranch_execnz .LBB24_659
	s_branch .LBB24_660
.LBB24_2709:
	s_movk_i32 s4, 0x80
	v_cmp_eq_u16_e32 vcc, s4, v11
	s_mov_b64 s[4:5], -1
                                        ; implicit-def: $sgpr10
	s_and_saveexec_b64 s[8:9], vcc
; %bb.2710:
	s_mov_b32 s10, 0x7f800001
	s_xor_b64 s[4:5], exec, -1
; %bb.2711:
	s_or_b64 exec, exec, s[8:9]
	s_and_b64 s[4:5], s[4:5], exec
                                        ; implicit-def: $vgpr11
	s_or_saveexec_b64 s[6:7], s[6:7]
	v_mov_b32_e32 v12, s10
	s_xor_b64 exec, exec, s[6:7]
	s_cbranch_execz .LBB24_662
.LBB24_2712:
	v_cmp_ne_u16_e32 vcc, 0, v11
	s_andn2_b64 s[4:5], s[4:5], exec
	s_and_b64 s[8:9], vcc, exec
	v_mov_b32_e32 v12, 0
	s_or_b64 s[4:5], s[4:5], s[8:9]
	s_or_b64 exec, exec, s[6:7]
	s_and_saveexec_b64 s[6:7], s[4:5]
	s_cbranch_execnz .LBB24_663
	s_branch .LBB24_664
.LBB24_2713:
	s_movk_i32 s4, 0x80
	v_cmp_eq_u16_sdwa s[12:13], v6, s4 src0_sel:BYTE_3 src1_sel:DWORD
	s_mov_b64 s[4:5], -1
                                        ; implicit-def: $sgpr10
	s_and_saveexec_b64 s[8:9], s[12:13]
; %bb.2714:
	s_mov_b32 s10, 0x7f800001
	s_xor_b64 s[4:5], exec, -1
; %bb.2715:
	s_or_b64 exec, exec, s[8:9]
	s_and_b64 s[4:5], s[4:5], exec
	s_or_saveexec_b64 s[6:7], s[6:7]
	v_mov_b32_e32 v10, s10
	s_xor_b64 exec, exec, s[6:7]
	s_cbranch_execz .LBB24_666
.LBB24_2716:
	v_mov_b32_e32 v10, 0
	v_cmp_ne_u16_sdwa s[8:9], v6, v10 src0_sel:BYTE_3 src1_sel:DWORD
	s_andn2_b64 s[4:5], s[4:5], exec
	s_and_b64 s[8:9], s[8:9], exec
	s_or_b64 s[4:5], s[4:5], s[8:9]
	s_or_b64 exec, exec, s[6:7]
	s_and_saveexec_b64 s[6:7], s[4:5]
	s_cbranch_execnz .LBB24_667
	s_branch .LBB24_668
.LBB24_2717:
	s_movk_i32 s4, 0x80
	v_cmp_eq_u16_sdwa s[12:13], v2, s4 src0_sel:BYTE_3 src1_sel:DWORD
	s_mov_b64 s[4:5], -1
                                        ; implicit-def: $sgpr10
	s_and_saveexec_b64 s[8:9], s[12:13]
; %bb.2718:
	s_mov_b32 s10, 0x7f800001
	s_xor_b64 s[4:5], exec, -1
; %bb.2719:
	s_or_b64 exec, exec, s[8:9]
	s_and_b64 s[4:5], s[4:5], exec
	s_or_saveexec_b64 s[6:7], s[6:7]
	v_mov_b32_e32 v6, s10
	s_xor_b64 exec, exec, s[6:7]
	s_cbranch_execz .LBB24_670
.LBB24_2720:
	v_mov_b32_e32 v6, 0
	v_cmp_ne_u16_sdwa s[8:9], v2, v6 src0_sel:BYTE_3 src1_sel:DWORD
	s_andn2_b64 s[4:5], s[4:5], exec
	s_and_b64 s[8:9], s[8:9], exec
	s_or_b64 s[4:5], s[4:5], s[8:9]
	s_or_b64 exec, exec, s[6:7]
	s_and_saveexec_b64 s[6:7], s[4:5]
	s_cbranch_execnz .LBB24_671
	s_branch .LBB24_672
.LBB24_2721:
	s_movk_i32 s4, 0x80
	v_cmp_eq_u16_sdwa s[12:13], v7, s4 src0_sel:BYTE_0 src1_sel:DWORD
	s_mov_b64 s[4:5], -1
                                        ; implicit-def: $sgpr10
	s_and_saveexec_b64 s[8:9], s[12:13]
; %bb.2722:
	s_mov_b32 s10, 0x7f800001
	s_xor_b64 s[4:5], exec, -1
; %bb.2723:
	s_or_b64 exec, exec, s[8:9]
	s_and_b64 s[4:5], s[4:5], exec
	s_or_saveexec_b64 s[6:7], s[6:7]
	v_mov_b32_e32 v2, s10
	s_xor_b64 exec, exec, s[6:7]
	s_cbranch_execz .LBB24_674
.LBB24_2724:
	v_mov_b32_e32 v2, 0
	v_cmp_ne_u16_sdwa s[8:9], v7, v2 src0_sel:BYTE_0 src1_sel:DWORD
	s_andn2_b64 s[4:5], s[4:5], exec
	s_and_b64 s[8:9], s[8:9], exec
	s_or_b64 s[4:5], s[4:5], s[8:9]
	s_or_b64 exec, exec, s[6:7]
	s_and_saveexec_b64 s[6:7], s[4:5]
	s_cbranch_execnz .LBB24_675
	s_branch .LBB24_676
.LBB24_2725:
	s_movk_i32 s4, 0x80
	v_cmp_eq_u16_sdwa s[12:13], v3, s4 src0_sel:BYTE_0 src1_sel:DWORD
	s_mov_b64 s[4:5], -1
                                        ; implicit-def: $sgpr10
	s_and_saveexec_b64 s[8:9], s[12:13]
; %bb.2726:
	s_mov_b32 s10, 0x7f800001
	s_xor_b64 s[4:5], exec, -1
; %bb.2727:
	s_or_b64 exec, exec, s[8:9]
	s_and_b64 s[4:5], s[4:5], exec
	s_or_saveexec_b64 s[6:7], s[6:7]
	v_mov_b32_e32 v6, s10
	s_xor_b64 exec, exec, s[6:7]
	s_cbranch_execz .LBB24_678
.LBB24_2728:
	v_mov_b32_e32 v6, 0
	v_cmp_ne_u16_sdwa s[8:9], v3, v6 src0_sel:BYTE_0 src1_sel:DWORD
	s_andn2_b64 s[4:5], s[4:5], exec
	s_and_b64 s[8:9], s[8:9], exec
	s_or_b64 s[4:5], s[4:5], s[8:9]
	s_or_b64 exec, exec, s[6:7]
	s_and_saveexec_b64 s[6:7], s[4:5]
	s_cbranch_execnz .LBB24_679
	s_branch .LBB24_680
.LBB24_2729:
	s_movk_i32 s4, 0x80
	v_cmp_eq_u16_sdwa s[12:13], v6, s4 src0_sel:BYTE_0 src1_sel:DWORD
	s_mov_b64 s[4:5], -1
                                        ; implicit-def: $sgpr10
	s_and_saveexec_b64 s[8:9], s[12:13]
; %bb.2730:
	s_mov_b32 s10, 0x7f800001
	s_xor_b64 s[4:5], exec, -1
; %bb.2731:
	s_or_b64 exec, exec, s[8:9]
	s_and_b64 s[4:5], s[4:5], exec
	s_or_saveexec_b64 s[6:7], s[6:7]
	v_mov_b32_e32 v2, s10
	s_xor_b64 exec, exec, s[6:7]
	s_cbranch_execz .LBB24_682
.LBB24_2732:
	v_mov_b32_e32 v2, 0
	v_cmp_ne_u16_sdwa s[8:9], v6, v2 src0_sel:BYTE_0 src1_sel:DWORD
	s_andn2_b64 s[4:5], s[4:5], exec
	s_and_b64 s[8:9], s[8:9], exec
	s_or_b64 s[4:5], s[4:5], s[8:9]
	s_or_b64 exec, exec, s[6:7]
	s_and_saveexec_b64 s[6:7], s[4:5]
	s_cbranch_execnz .LBB24_683
	s_branch .LBB24_684
.LBB24_2733:
	s_movk_i32 s4, 0x80
	v_cmp_eq_u16_sdwa s[12:13], v6, s4 src0_sel:BYTE_0 src1_sel:DWORD
	s_mov_b64 s[4:5], -1
                                        ; implicit-def: $sgpr10
	s_and_saveexec_b64 s[8:9], s[12:13]
; %bb.2734:
	s_mov_b32 s10, 0x7f800001
	s_xor_b64 s[4:5], exec, -1
; %bb.2735:
	s_or_b64 exec, exec, s[8:9]
	s_and_b64 s[4:5], s[4:5], exec
	s_or_saveexec_b64 s[6:7], s[6:7]
	v_mov_b32_e32 v10, s10
	s_xor_b64 exec, exec, s[6:7]
	s_cbranch_execz .LBB24_686
.LBB24_2736:
	v_mov_b32_e32 v10, 0
	v_cmp_ne_u16_sdwa s[8:9], v6, v10 src0_sel:BYTE_0 src1_sel:DWORD
	s_andn2_b64 s[4:5], s[4:5], exec
	s_and_b64 s[8:9], s[8:9], exec
	s_or_b64 s[4:5], s[4:5], s[8:9]
	s_or_b64 exec, exec, s[6:7]
	s_and_saveexec_b64 s[6:7], s[4:5]
	s_cbranch_execnz .LBB24_687
	s_branch .LBB24_688
.LBB24_2737:
	s_movk_i32 s4, 0x80
	v_cmp_eq_u16_e32 vcc, s4, v6
	s_mov_b64 s[4:5], -1
                                        ; implicit-def: $sgpr10
	s_and_saveexec_b64 s[8:9], vcc
; %bb.2738:
	s_mov_b32 s10, 0x7f800001
	s_xor_b64 s[4:5], exec, -1
; %bb.2739:
	s_or_b64 exec, exec, s[8:9]
	s_and_b64 s[4:5], s[4:5], exec
                                        ; implicit-def: $vgpr6
	s_or_saveexec_b64 s[6:7], s[6:7]
	v_mov_b32_e32 v2, s10
	s_xor_b64 exec, exec, s[6:7]
	s_cbranch_execz .LBB24_690
.LBB24_2740:
	v_cmp_ne_u16_e32 vcc, 0, v6
	s_andn2_b64 s[4:5], s[4:5], exec
	s_and_b64 s[8:9], vcc, exec
	v_mov_b32_e32 v2, 0
	s_or_b64 s[4:5], s[4:5], s[8:9]
	s_or_b64 exec, exec, s[6:7]
	s_and_saveexec_b64 s[6:7], s[4:5]
	s_cbranch_execnz .LBB24_691
	s_branch .LBB24_692
.LBB24_2741:
	s_movk_i32 s4, 0x80
	v_cmp_eq_u16_e32 vcc, s4, v6
	s_mov_b64 s[4:5], -1
                                        ; implicit-def: $sgpr10
	s_and_saveexec_b64 s[8:9], vcc
; %bb.2742:
	s_mov_b32 s10, 0x7f800001
	s_xor_b64 s[4:5], exec, -1
; %bb.2743:
	s_or_b64 exec, exec, s[8:9]
	s_and_b64 s[4:5], s[4:5], exec
                                        ; implicit-def: $vgpr6
	s_or_saveexec_b64 s[6:7], s[6:7]
	v_mov_b32_e32 v10, s10
	s_xor_b64 exec, exec, s[6:7]
	s_cbranch_execz .LBB24_694
.LBB24_2744:
	v_cmp_ne_u16_e32 vcc, 0, v6
	s_andn2_b64 s[4:5], s[4:5], exec
	s_and_b64 s[8:9], vcc, exec
	v_mov_b32_e32 v10, 0
	s_or_b64 s[4:5], s[4:5], s[8:9]
	s_or_b64 exec, exec, s[6:7]
	s_and_saveexec_b64 s[6:7], s[4:5]
	s_cbranch_execnz .LBB24_695
	s_branch .LBB24_696
.LBB24_2745:
	s_movk_i32 s4, 0x80
	v_cmp_eq_u16_sdwa s[12:13], v7, s4 src0_sel:BYTE_3 src1_sel:DWORD
	s_mov_b64 s[4:5], -1
                                        ; implicit-def: $sgpr10
	s_and_saveexec_b64 s[8:9], s[12:13]
; %bb.2746:
	s_mov_b32 s10, 0x7f800001
	s_xor_b64 s[4:5], exec, -1
; %bb.2747:
	s_or_b64 exec, exec, s[8:9]
	s_and_b64 s[4:5], s[4:5], exec
	s_or_saveexec_b64 s[6:7], s[6:7]
	v_mov_b32_e32 v2, s10
	s_xor_b64 exec, exec, s[6:7]
	s_cbranch_execz .LBB24_698
.LBB24_2748:
	v_mov_b32_e32 v2, 0
	v_cmp_ne_u16_sdwa s[8:9], v7, v2 src0_sel:BYTE_3 src1_sel:DWORD
	s_andn2_b64 s[4:5], s[4:5], exec
	s_and_b64 s[8:9], s[8:9], exec
	s_or_b64 s[4:5], s[4:5], s[8:9]
	s_or_b64 exec, exec, s[6:7]
	s_and_saveexec_b64 s[6:7], s[4:5]
	s_cbranch_execnz .LBB24_699
	s_branch .LBB24_700
.LBB24_2749:
	s_movk_i32 s4, 0x80
	v_cmp_eq_u16_sdwa s[12:13], v3, s4 src0_sel:BYTE_3 src1_sel:DWORD
	s_mov_b64 s[4:5], -1
                                        ; implicit-def: $sgpr10
	s_and_saveexec_b64 s[8:9], s[12:13]
; %bb.2750:
	s_mov_b32 s10, 0x7f800001
	s_xor_b64 s[4:5], exec, -1
; %bb.2751:
	s_or_b64 exec, exec, s[8:9]
	s_and_b64 s[4:5], s[4:5], exec
	s_or_saveexec_b64 s[6:7], s[6:7]
	v_mov_b32_e32 v6, s10
	s_xor_b64 exec, exec, s[6:7]
	s_cbranch_execz .LBB24_702
.LBB24_2752:
	v_mov_b32_e32 v6, 0
	v_cmp_ne_u16_sdwa s[8:9], v3, v6 src0_sel:BYTE_3 src1_sel:DWORD
	s_andn2_b64 s[4:5], s[4:5], exec
	s_and_b64 s[8:9], s[8:9], exec
	s_or_b64 s[4:5], s[4:5], s[8:9]
	s_or_b64 exec, exec, s[6:7]
	s_and_saveexec_b64 s[6:7], s[4:5]
	s_cbranch_execnz .LBB24_703
	s_branch .LBB24_704
.LBB24_2753:
	s_movk_i32 s4, 0x80
	v_cmp_eq_u16_sdwa s[12:13], v8, s4 src0_sel:BYTE_0 src1_sel:DWORD
	s_mov_b64 s[4:5], -1
                                        ; implicit-def: $sgpr10
	s_and_saveexec_b64 s[8:9], s[12:13]
; %bb.2754:
	s_mov_b32 s10, 0x7f800001
	s_xor_b64 s[4:5], exec, -1
; %bb.2755:
	s_or_b64 exec, exec, s[8:9]
	s_and_b64 s[4:5], s[4:5], exec
	s_or_saveexec_b64 s[6:7], s[6:7]
	v_mov_b32_e32 v2, s10
	s_xor_b64 exec, exec, s[6:7]
	s_cbranch_execz .LBB24_706
.LBB24_2756:
	v_mov_b32_e32 v2, 0
	v_cmp_ne_u16_sdwa s[8:9], v8, v2 src0_sel:BYTE_0 src1_sel:DWORD
	s_andn2_b64 s[4:5], s[4:5], exec
	s_and_b64 s[8:9], s[8:9], exec
	s_or_b64 s[4:5], s[4:5], s[8:9]
	s_or_b64 exec, exec, s[6:7]
	s_and_saveexec_b64 s[6:7], s[4:5]
	s_cbranch_execnz .LBB24_707
	s_branch .LBB24_708
.LBB24_2757:
	s_movk_i32 s4, 0x80
	v_cmp_eq_u16_sdwa s[12:13], v4, s4 src0_sel:BYTE_0 src1_sel:DWORD
	s_mov_b64 s[4:5], -1
                                        ; implicit-def: $sgpr10
	s_and_saveexec_b64 s[8:9], s[12:13]
; %bb.2758:
	s_mov_b32 s10, 0x7f800001
	s_xor_b64 s[4:5], exec, -1
; %bb.2759:
	s_or_b64 exec, exec, s[8:9]
	s_and_b64 s[4:5], s[4:5], exec
	s_or_saveexec_b64 s[6:7], s[6:7]
	v_mov_b32_e32 v3, s10
	s_xor_b64 exec, exec, s[6:7]
	s_cbranch_execz .LBB24_710
.LBB24_2760:
	v_mov_b32_e32 v3, 0
	v_cmp_ne_u16_sdwa s[8:9], v4, v3 src0_sel:BYTE_0 src1_sel:DWORD
	s_andn2_b64 s[4:5], s[4:5], exec
	s_and_b64 s[8:9], s[8:9], exec
	s_or_b64 s[4:5], s[4:5], s[8:9]
	s_or_b64 exec, exec, s[6:7]
	s_and_saveexec_b64 s[6:7], s[4:5]
	s_cbranch_execnz .LBB24_711
	s_branch .LBB24_712
.LBB24_2761:
	s_movk_i32 s4, 0x80
	v_cmp_eq_u16_sdwa s[12:13], v3, s4 src0_sel:BYTE_0 src1_sel:DWORD
	s_mov_b64 s[4:5], -1
                                        ; implicit-def: $sgpr10
	s_and_saveexec_b64 s[8:9], s[12:13]
; %bb.2762:
	s_mov_b32 s10, 0x7f800001
	s_xor_b64 s[4:5], exec, -1
; %bb.2763:
	s_or_b64 exec, exec, s[8:9]
	s_and_b64 s[4:5], s[4:5], exec
	s_or_saveexec_b64 s[6:7], s[6:7]
	v_mov_b32_e32 v2, s10
	s_xor_b64 exec, exec, s[6:7]
	s_cbranch_execz .LBB24_714
.LBB24_2764:
	v_mov_b32_e32 v2, 0
	v_cmp_ne_u16_sdwa s[8:9], v3, v2 src0_sel:BYTE_0 src1_sel:DWORD
	s_andn2_b64 s[4:5], s[4:5], exec
	s_and_b64 s[8:9], s[8:9], exec
	s_or_b64 s[4:5], s[4:5], s[8:9]
	s_or_b64 exec, exec, s[6:7]
	s_and_saveexec_b64 s[6:7], s[4:5]
	s_cbranch_execnz .LBB24_715
	s_branch .LBB24_716
.LBB24_2765:
	s_movk_i32 s4, 0x80
	v_cmp_eq_u16_sdwa s[12:13], v3, s4 src0_sel:BYTE_0 src1_sel:DWORD
	s_mov_b64 s[4:5], -1
                                        ; implicit-def: $sgpr10
	s_and_saveexec_b64 s[8:9], s[12:13]
; %bb.2766:
	s_mov_b32 s10, 0x7f800001
	s_xor_b64 s[4:5], exec, -1
; %bb.2767:
	s_or_b64 exec, exec, s[8:9]
	s_and_b64 s[4:5], s[4:5], exec
	s_or_saveexec_b64 s[6:7], s[6:7]
	v_mov_b32_e32 v6, s10
	s_xor_b64 exec, exec, s[6:7]
	s_cbranch_execz .LBB24_718
.LBB24_2768:
	v_mov_b32_e32 v6, 0
	v_cmp_ne_u16_sdwa s[8:9], v3, v6 src0_sel:BYTE_0 src1_sel:DWORD
	s_andn2_b64 s[4:5], s[4:5], exec
	s_and_b64 s[8:9], s[8:9], exec
	s_or_b64 s[4:5], s[4:5], s[8:9]
	s_or_b64 exec, exec, s[6:7]
	s_and_saveexec_b64 s[6:7], s[4:5]
	s_cbranch_execnz .LBB24_719
	s_branch .LBB24_720
.LBB24_2769:
	s_movk_i32 s4, 0x80
	v_cmp_eq_u16_e32 vcc, s4, v3
	s_mov_b64 s[4:5], -1
                                        ; implicit-def: $sgpr10
	s_and_saveexec_b64 s[8:9], vcc
; %bb.2770:
	s_mov_b32 s10, 0x7f800001
	s_xor_b64 s[4:5], exec, -1
; %bb.2771:
	s_or_b64 exec, exec, s[8:9]
	s_and_b64 s[4:5], s[4:5], exec
                                        ; implicit-def: $vgpr3
	s_or_saveexec_b64 s[6:7], s[6:7]
	v_mov_b32_e32 v2, s10
	s_xor_b64 exec, exec, s[6:7]
	s_cbranch_execz .LBB24_722
.LBB24_2772:
	v_cmp_ne_u16_e32 vcc, 0, v3
	s_andn2_b64 s[4:5], s[4:5], exec
	s_and_b64 s[8:9], vcc, exec
	v_mov_b32_e32 v2, 0
	s_or_b64 s[4:5], s[4:5], s[8:9]
	s_or_b64 exec, exec, s[6:7]
	s_and_saveexec_b64 s[6:7], s[4:5]
	s_cbranch_execnz .LBB24_723
	s_branch .LBB24_724
.LBB24_2773:
	s_movk_i32 s4, 0x80
	v_cmp_eq_u16_e32 vcc, s4, v3
	s_mov_b64 s[4:5], -1
                                        ; implicit-def: $sgpr10
	s_and_saveexec_b64 s[8:9], vcc
; %bb.2774:
	s_mov_b32 s10, 0x7f800001
	s_xor_b64 s[4:5], exec, -1
; %bb.2775:
	s_or_b64 exec, exec, s[8:9]
	s_and_b64 s[4:5], s[4:5], exec
                                        ; implicit-def: $vgpr3
	s_or_saveexec_b64 s[6:7], s[6:7]
	v_mov_b32_e32 v6, s10
	s_xor_b64 exec, exec, s[6:7]
	s_cbranch_execz .LBB24_726
.LBB24_2776:
	v_cmp_ne_u16_e32 vcc, 0, v3
	s_andn2_b64 s[4:5], s[4:5], exec
	s_and_b64 s[8:9], vcc, exec
	v_mov_b32_e32 v6, 0
	s_or_b64 s[4:5], s[4:5], s[8:9]
	s_or_b64 exec, exec, s[6:7]
	s_and_saveexec_b64 s[6:7], s[4:5]
	s_cbranch_execnz .LBB24_727
	s_branch .LBB24_728
.LBB24_2777:
	s_movk_i32 s4, 0x80
	v_cmp_eq_u16_sdwa s[12:13], v8, s4 src0_sel:BYTE_3 src1_sel:DWORD
	s_mov_b64 s[4:5], -1
                                        ; implicit-def: $sgpr10
	s_and_saveexec_b64 s[8:9], s[12:13]
; %bb.2778:
	s_mov_b32 s10, 0x7f800001
	s_xor_b64 s[4:5], exec, -1
; %bb.2779:
	s_or_b64 exec, exec, s[8:9]
	s_and_b64 s[4:5], s[4:5], exec
	s_or_saveexec_b64 s[6:7], s[6:7]
	v_mov_b32_e32 v2, s10
	s_xor_b64 exec, exec, s[6:7]
	s_cbranch_execz .LBB24_730
.LBB24_2780:
	v_mov_b32_e32 v2, 0
	v_cmp_ne_u16_sdwa s[8:9], v8, v2 src0_sel:BYTE_3 src1_sel:DWORD
	s_andn2_b64 s[4:5], s[4:5], exec
	s_and_b64 s[8:9], s[8:9], exec
	s_or_b64 s[4:5], s[4:5], s[8:9]
	s_or_b64 exec, exec, s[6:7]
	s_and_saveexec_b64 s[6:7], s[4:5]
	s_cbranch_execnz .LBB24_731
	s_branch .LBB24_732
.LBB24_2781:
	s_movk_i32 s4, 0x80
	v_cmp_eq_u16_sdwa s[12:13], v4, s4 src0_sel:BYTE_3 src1_sel:DWORD
	s_mov_b64 s[4:5], -1
                                        ; implicit-def: $sgpr10
	s_and_saveexec_b64 s[8:9], s[12:13]
; %bb.2782:
	s_mov_b32 s10, 0x7f800001
	s_xor_b64 s[4:5], exec, -1
; %bb.2783:
	s_or_b64 exec, exec, s[8:9]
	s_and_b64 s[4:5], s[4:5], exec
	s_or_saveexec_b64 s[6:7], s[6:7]
	v_mov_b32_e32 v3, s10
	s_xor_b64 exec, exec, s[6:7]
	s_cbranch_execz .LBB24_734
.LBB24_2784:
	v_mov_b32_e32 v3, 0
	v_cmp_ne_u16_sdwa s[8:9], v4, v3 src0_sel:BYTE_3 src1_sel:DWORD
	s_andn2_b64 s[4:5], s[4:5], exec
	s_and_b64 s[8:9], s[8:9], exec
	s_or_b64 s[4:5], s[4:5], s[8:9]
	s_or_b64 exec, exec, s[6:7]
	s_and_saveexec_b64 s[6:7], s[4:5]
	s_cbranch_execnz .LBB24_735
	s_branch .LBB24_736
.LBB24_2785:
	s_movk_i32 s4, 0x80
	v_cmp_eq_u16_sdwa s[12:13], v9, s4 src0_sel:BYTE_0 src1_sel:DWORD
	s_mov_b64 s[4:5], -1
                                        ; implicit-def: $sgpr10
	s_and_saveexec_b64 s[8:9], s[12:13]
; %bb.2786:
	s_mov_b32 s10, 0x7f800001
	s_xor_b64 s[4:5], exec, -1
; %bb.2787:
	s_or_b64 exec, exec, s[8:9]
	s_and_b64 s[4:5], s[4:5], exec
	s_or_saveexec_b64 s[6:7], s[6:7]
	v_mov_b32_e32 v2, s10
	s_xor_b64 exec, exec, s[6:7]
	s_cbranch_execz .LBB24_738
.LBB24_2788:
	v_mov_b32_e32 v2, 0
	v_cmp_ne_u16_sdwa s[8:9], v9, v2 src0_sel:BYTE_0 src1_sel:DWORD
	s_andn2_b64 s[4:5], s[4:5], exec
	s_and_b64 s[8:9], s[8:9], exec
	s_or_b64 s[4:5], s[4:5], s[8:9]
	s_or_b64 exec, exec, s[6:7]
	s_and_saveexec_b64 s[6:7], s[4:5]
	s_cbranch_execnz .LBB24_739
	s_branch .LBB24_740
.LBB24_2789:
	s_movk_i32 s4, 0x80
	v_cmp_eq_u16_sdwa s[12:13], v5, s4 src0_sel:BYTE_0 src1_sel:DWORD
	s_mov_b64 s[4:5], -1
                                        ; implicit-def: $sgpr10
	s_and_saveexec_b64 s[8:9], s[12:13]
; %bb.2790:
	s_mov_b32 s10, 0x7f800001
	s_xor_b64 s[4:5], exec, -1
; %bb.2791:
	s_or_b64 exec, exec, s[8:9]
	s_and_b64 s[4:5], s[4:5], exec
	s_or_saveexec_b64 s[6:7], s[6:7]
	v_mov_b32_e32 v3, s10
	s_xor_b64 exec, exec, s[6:7]
	s_cbranch_execz .LBB24_742
.LBB24_2792:
	v_mov_b32_e32 v3, 0
	v_cmp_ne_u16_sdwa s[8:9], v5, v3 src0_sel:BYTE_0 src1_sel:DWORD
	s_andn2_b64 s[4:5], s[4:5], exec
	s_and_b64 s[8:9], s[8:9], exec
	s_or_b64 s[4:5], s[4:5], s[8:9]
	s_or_b64 exec, exec, s[6:7]
	s_and_saveexec_b64 s[6:7], s[4:5]
	s_cbranch_execnz .LBB24_743
	s_branch .LBB24_744
.LBB24_2793:
	s_movk_i32 s4, 0x80
	v_cmp_eq_u16_sdwa s[12:13], v3, s4 src0_sel:BYTE_0 src1_sel:DWORD
	s_mov_b64 s[4:5], -1
                                        ; implicit-def: $sgpr10
	s_and_saveexec_b64 s[8:9], s[12:13]
; %bb.2794:
	s_mov_b32 s10, 0x7f800001
	s_xor_b64 s[4:5], exec, -1
; %bb.2795:
	s_or_b64 exec, exec, s[8:9]
	s_and_b64 s[4:5], s[4:5], exec
	s_or_saveexec_b64 s[6:7], s[6:7]
	v_mov_b32_e32 v2, s10
	s_xor_b64 exec, exec, s[6:7]
	s_cbranch_execz .LBB24_746
.LBB24_2796:
	v_mov_b32_e32 v2, 0
	v_cmp_ne_u16_sdwa s[8:9], v3, v2 src0_sel:BYTE_0 src1_sel:DWORD
	s_andn2_b64 s[4:5], s[4:5], exec
	s_and_b64 s[8:9], s[8:9], exec
	s_or_b64 s[4:5], s[4:5], s[8:9]
	s_or_b64 exec, exec, s[6:7]
	s_and_saveexec_b64 s[6:7], s[4:5]
	s_cbranch_execnz .LBB24_747
	s_branch .LBB24_748
.LBB24_2797:
	s_movk_i32 s4, 0x80
	v_cmp_eq_u16_sdwa s[12:13], v3, s4 src0_sel:BYTE_0 src1_sel:DWORD
	s_mov_b64 s[4:5], -1
                                        ; implicit-def: $sgpr10
	s_and_saveexec_b64 s[8:9], s[12:13]
; %bb.2798:
	s_mov_b32 s10, 0x7f800001
	s_xor_b64 s[4:5], exec, -1
; %bb.2799:
	s_or_b64 exec, exec, s[8:9]
	s_and_b64 s[4:5], s[4:5], exec
	s_or_saveexec_b64 s[6:7], s[6:7]
	v_mov_b32_e32 v4, s10
	s_xor_b64 exec, exec, s[6:7]
	s_cbranch_execz .LBB24_750
.LBB24_2800:
	v_mov_b32_e32 v4, 0
	v_cmp_ne_u16_sdwa s[8:9], v3, v4 src0_sel:BYTE_0 src1_sel:DWORD
	s_andn2_b64 s[4:5], s[4:5], exec
	s_and_b64 s[8:9], s[8:9], exec
	s_or_b64 s[4:5], s[4:5], s[8:9]
	s_or_b64 exec, exec, s[6:7]
	s_and_saveexec_b64 s[6:7], s[4:5]
	s_cbranch_execnz .LBB24_751
	s_branch .LBB24_752
.LBB24_2801:
	s_movk_i32 s4, 0x80
	v_cmp_eq_u16_e32 vcc, s4, v3
	s_mov_b64 s[4:5], -1
                                        ; implicit-def: $sgpr10
	s_and_saveexec_b64 s[8:9], vcc
; %bb.2802:
	s_mov_b32 s10, 0x7f800001
	s_xor_b64 s[4:5], exec, -1
; %bb.2803:
	s_or_b64 exec, exec, s[8:9]
	s_and_b64 s[4:5], s[4:5], exec
                                        ; implicit-def: $vgpr3
	s_or_saveexec_b64 s[6:7], s[6:7]
	v_mov_b32_e32 v2, s10
	s_xor_b64 exec, exec, s[6:7]
	s_cbranch_execz .LBB24_754
.LBB24_2804:
	v_cmp_ne_u16_e32 vcc, 0, v3
	s_andn2_b64 s[4:5], s[4:5], exec
	s_and_b64 s[8:9], vcc, exec
	v_mov_b32_e32 v2, 0
	s_or_b64 s[4:5], s[4:5], s[8:9]
	s_or_b64 exec, exec, s[6:7]
	s_and_saveexec_b64 s[6:7], s[4:5]
	s_cbranch_execnz .LBB24_755
	s_branch .LBB24_756
.LBB24_2805:
	s_movk_i32 s4, 0x80
	v_cmp_eq_u16_e32 vcc, s4, v3
	s_mov_b64 s[4:5], -1
                                        ; implicit-def: $sgpr10
	s_and_saveexec_b64 s[8:9], vcc
; %bb.2806:
	s_mov_b32 s10, 0x7f800001
	s_xor_b64 s[4:5], exec, -1
; %bb.2807:
	s_or_b64 exec, exec, s[8:9]
	s_and_b64 s[4:5], s[4:5], exec
                                        ; implicit-def: $vgpr3
	s_or_saveexec_b64 s[6:7], s[6:7]
	v_mov_b32_e32 v4, s10
	s_xor_b64 exec, exec, s[6:7]
	s_cbranch_execz .LBB24_758
.LBB24_2808:
	v_cmp_ne_u16_e32 vcc, 0, v3
	s_andn2_b64 s[4:5], s[4:5], exec
	s_and_b64 s[8:9], vcc, exec
	v_mov_b32_e32 v4, 0
	s_or_b64 s[4:5], s[4:5], s[8:9]
	s_or_b64 exec, exec, s[6:7]
	s_and_saveexec_b64 s[6:7], s[4:5]
	s_cbranch_execnz .LBB24_759
	s_branch .LBB24_760
.LBB24_2809:
	s_movk_i32 s4, 0x80
	v_cmp_eq_u16_sdwa s[12:13], v9, s4 src0_sel:BYTE_3 src1_sel:DWORD
	s_mov_b64 s[4:5], -1
                                        ; implicit-def: $sgpr10
	s_and_saveexec_b64 s[8:9], s[12:13]
; %bb.2810:
	s_mov_b32 s10, 0x7f800001
	s_xor_b64 s[4:5], exec, -1
; %bb.2811:
	s_or_b64 exec, exec, s[8:9]
	s_and_b64 s[4:5], s[4:5], exec
	s_or_saveexec_b64 s[6:7], s[6:7]
	v_mov_b32_e32 v2, s10
	s_xor_b64 exec, exec, s[6:7]
	s_cbranch_execz .LBB24_762
.LBB24_2812:
	v_mov_b32_e32 v2, 0
	v_cmp_ne_u16_sdwa s[8:9], v9, v2 src0_sel:BYTE_3 src1_sel:DWORD
	s_andn2_b64 s[4:5], s[4:5], exec
	s_and_b64 s[8:9], s[8:9], exec
	s_or_b64 s[4:5], s[4:5], s[8:9]
	s_or_b64 exec, exec, s[6:7]
	s_and_saveexec_b64 s[6:7], s[4:5]
	s_cbranch_execnz .LBB24_763
	s_branch .LBB24_764
.LBB24_2813:
	s_movk_i32 s4, 0x80
	v_cmp_eq_u16_sdwa s[12:13], v5, s4 src0_sel:BYTE_3 src1_sel:DWORD
	s_mov_b64 s[4:5], -1
                                        ; implicit-def: $sgpr10
	s_and_saveexec_b64 s[8:9], s[12:13]
; %bb.2814:
	s_mov_b32 s10, 0x7f800001
	s_xor_b64 s[4:5], exec, -1
; %bb.2815:
	s_or_b64 exec, exec, s[8:9]
	s_and_b64 s[4:5], s[4:5], exec
	s_or_saveexec_b64 s[6:7], s[6:7]
	v_mov_b32_e32 v3, s10
	s_xor_b64 exec, exec, s[6:7]
	s_cbranch_execz .LBB24_766
.LBB24_2816:
	v_mov_b32_e32 v3, 0
	v_cmp_ne_u16_sdwa s[8:9], v5, v3 src0_sel:BYTE_3 src1_sel:DWORD
	s_andn2_b64 s[4:5], s[4:5], exec
	s_and_b64 s[8:9], s[8:9], exec
	s_or_b64 s[4:5], s[4:5], s[8:9]
	s_or_b64 exec, exec, s[6:7]
	s_and_saveexec_b64 s[6:7], s[4:5]
	s_cbranch_execnz .LBB24_767
	s_branch .LBB24_768
.LBB24_2817:
	s_movk_i32 s4, 0x80
	v_cmp_eq_u16_sdwa s[12:13], v14, s4 src0_sel:BYTE_0 src1_sel:DWORD
	s_mov_b64 s[4:5], -1
                                        ; implicit-def: $sgpr10
	s_and_saveexec_b64 s[8:9], s[12:13]
; %bb.2818:
	s_mov_b32 s10, 0x7f800001
	s_xor_b64 s[4:5], exec, -1
; %bb.2819:
	s_or_b64 exec, exec, s[8:9]
	s_and_b64 s[4:5], s[4:5], exec
	s_or_saveexec_b64 s[6:7], s[6:7]
	v_mov_b32_e32 v20, s10
	s_xor_b64 exec, exec, s[6:7]
	s_cbranch_execz .LBB24_770
.LBB24_2820:
	v_mov_b32_e32 v20, 0
	v_cmp_ne_u16_sdwa s[8:9], v14, v20 src0_sel:BYTE_0 src1_sel:DWORD
	s_andn2_b64 s[4:5], s[4:5], exec
	s_and_b64 s[8:9], s[8:9], exec
	s_or_b64 s[4:5], s[4:5], s[8:9]
	s_or_b64 exec, exec, s[6:7]
	s_and_saveexec_b64 s[6:7], s[4:5]
	s_cbranch_execnz .LBB24_771
	s_branch .LBB24_772
.LBB24_2821:
	s_movk_i32 s4, 0x80
	v_cmp_eq_u16_sdwa s[12:13], v10, s4 src0_sel:BYTE_0 src1_sel:DWORD
	s_mov_b64 s[4:5], -1
                                        ; implicit-def: $sgpr10
	s_and_saveexec_b64 s[8:9], s[12:13]
; %bb.2822:
	s_mov_b32 s10, 0x7f800001
	s_xor_b64 s[4:5], exec, -1
; %bb.2823:
	s_or_b64 exec, exec, s[8:9]
	s_and_b64 s[4:5], s[4:5], exec
	s_or_saveexec_b64 s[6:7], s[6:7]
	v_mov_b32_e32 v21, s10
	s_xor_b64 exec, exec, s[6:7]
	s_cbranch_execz .LBB24_774
.LBB24_2824:
	v_mov_b32_e32 v21, 0
	v_cmp_ne_u16_sdwa s[8:9], v10, v21 src0_sel:BYTE_0 src1_sel:DWORD
	s_andn2_b64 s[4:5], s[4:5], exec
	s_and_b64 s[8:9], s[8:9], exec
	s_or_b64 s[4:5], s[4:5], s[8:9]
	s_or_b64 exec, exec, s[6:7]
	s_and_saveexec_b64 s[6:7], s[4:5]
	s_cbranch_execnz .LBB24_775
	s_branch .LBB24_776
.LBB24_2825:
	s_movk_i32 s4, 0x80
	v_cmp_eq_u16_sdwa s[12:13], v21, s4 src0_sel:BYTE_0 src1_sel:DWORD
	s_mov_b64 s[4:5], -1
                                        ; implicit-def: $sgpr10
	s_and_saveexec_b64 s[8:9], s[12:13]
; %bb.2826:
	s_mov_b32 s10, 0x7f800001
	s_xor_b64 s[4:5], exec, -1
; %bb.2827:
	s_or_b64 exec, exec, s[8:9]
	s_and_b64 s[4:5], s[4:5], exec
	s_or_saveexec_b64 s[6:7], s[6:7]
	v_mov_b32_e32 v20, s10
	s_xor_b64 exec, exec, s[6:7]
	s_cbranch_execz .LBB24_778
.LBB24_2828:
	v_mov_b32_e32 v20, 0
	v_cmp_ne_u16_sdwa s[8:9], v21, v20 src0_sel:BYTE_0 src1_sel:DWORD
	s_andn2_b64 s[4:5], s[4:5], exec
	s_and_b64 s[8:9], s[8:9], exec
	s_or_b64 s[4:5], s[4:5], s[8:9]
	s_or_b64 exec, exec, s[6:7]
	s_and_saveexec_b64 s[6:7], s[4:5]
	s_cbranch_execnz .LBB24_779
	s_branch .LBB24_780
.LBB24_2829:
	s_movk_i32 s4, 0x80
	v_cmp_eq_u16_sdwa s[12:13], v21, s4 src0_sel:BYTE_0 src1_sel:DWORD
	s_mov_b64 s[4:5], -1
                                        ; implicit-def: $sgpr10
	s_and_saveexec_b64 s[8:9], s[12:13]
; %bb.2830:
	s_mov_b32 s10, 0x7f800001
	s_xor_b64 s[4:5], exec, -1
; %bb.2831:
	s_or_b64 exec, exec, s[8:9]
	s_and_b64 s[4:5], s[4:5], exec
	s_or_saveexec_b64 s[6:7], s[6:7]
	v_mov_b32_e32 v22, s10
	s_xor_b64 exec, exec, s[6:7]
	s_cbranch_execz .LBB24_782
.LBB24_2832:
	v_mov_b32_e32 v22, 0
	v_cmp_ne_u16_sdwa s[8:9], v21, v22 src0_sel:BYTE_0 src1_sel:DWORD
	s_andn2_b64 s[4:5], s[4:5], exec
	s_and_b64 s[8:9], s[8:9], exec
	s_or_b64 s[4:5], s[4:5], s[8:9]
	s_or_b64 exec, exec, s[6:7]
	s_and_saveexec_b64 s[6:7], s[4:5]
	s_cbranch_execnz .LBB24_783
	s_branch .LBB24_784
.LBB24_2833:
	s_movk_i32 s4, 0x80
	v_cmp_eq_u16_e32 vcc, s4, v21
	s_mov_b64 s[4:5], -1
                                        ; implicit-def: $sgpr10
	s_and_saveexec_b64 s[8:9], vcc
; %bb.2834:
	s_mov_b32 s10, 0x7f800001
	s_xor_b64 s[4:5], exec, -1
; %bb.2835:
	s_or_b64 exec, exec, s[8:9]
	s_and_b64 s[4:5], s[4:5], exec
                                        ; implicit-def: $vgpr21
	s_or_saveexec_b64 s[6:7], s[6:7]
	v_mov_b32_e32 v20, s10
	s_xor_b64 exec, exec, s[6:7]
	s_cbranch_execz .LBB24_786
.LBB24_2836:
	v_cmp_ne_u16_e32 vcc, 0, v21
	s_andn2_b64 s[4:5], s[4:5], exec
	s_and_b64 s[8:9], vcc, exec
	v_mov_b32_e32 v20, 0
	s_or_b64 s[4:5], s[4:5], s[8:9]
	s_or_b64 exec, exec, s[6:7]
	s_and_saveexec_b64 s[6:7], s[4:5]
	s_cbranch_execnz .LBB24_787
	s_branch .LBB24_788
.LBB24_2837:
	s_movk_i32 s4, 0x80
	v_cmp_eq_u16_e32 vcc, s4, v21
	s_mov_b64 s[4:5], -1
                                        ; implicit-def: $sgpr10
	s_and_saveexec_b64 s[8:9], vcc
; %bb.2838:
	s_mov_b32 s10, 0x7f800001
	s_xor_b64 s[4:5], exec, -1
; %bb.2839:
	s_or_b64 exec, exec, s[8:9]
	s_and_b64 s[4:5], s[4:5], exec
                                        ; implicit-def: $vgpr21
	s_or_saveexec_b64 s[6:7], s[6:7]
	v_mov_b32_e32 v22, s10
	s_xor_b64 exec, exec, s[6:7]
	s_cbranch_execz .LBB24_790
.LBB24_2840:
	v_cmp_ne_u16_e32 vcc, 0, v21
	s_andn2_b64 s[4:5], s[4:5], exec
	s_and_b64 s[8:9], vcc, exec
	v_mov_b32_e32 v22, 0
	s_or_b64 s[4:5], s[4:5], s[8:9]
	s_or_b64 exec, exec, s[6:7]
	s_and_saveexec_b64 s[6:7], s[4:5]
	s_cbranch_execnz .LBB24_791
	s_branch .LBB24_792
.LBB24_2841:
	s_movk_i32 s4, 0x80
	v_cmp_eq_u16_sdwa s[12:13], v14, s4 src0_sel:BYTE_3 src1_sel:DWORD
	s_mov_b64 s[4:5], -1
                                        ; implicit-def: $sgpr10
	s_and_saveexec_b64 s[8:9], s[12:13]
; %bb.2842:
	s_mov_b32 s10, 0x7f800001
	s_xor_b64 s[4:5], exec, -1
; %bb.2843:
	s_or_b64 exec, exec, s[8:9]
	s_and_b64 s[4:5], s[4:5], exec
	s_or_saveexec_b64 s[6:7], s[6:7]
	v_mov_b32_e32 v20, s10
	s_xor_b64 exec, exec, s[6:7]
	s_cbranch_execz .LBB24_794
.LBB24_2844:
	v_mov_b32_e32 v20, 0
	v_cmp_ne_u16_sdwa s[8:9], v14, v20 src0_sel:BYTE_3 src1_sel:DWORD
	s_andn2_b64 s[4:5], s[4:5], exec
	s_and_b64 s[8:9], s[8:9], exec
	s_or_b64 s[4:5], s[4:5], s[8:9]
	s_or_b64 exec, exec, s[6:7]
	s_and_saveexec_b64 s[6:7], s[4:5]
	s_cbranch_execnz .LBB24_795
	s_branch .LBB24_796
.LBB24_2845:
	s_movk_i32 s4, 0x80
	v_cmp_eq_u16_sdwa s[12:13], v10, s4 src0_sel:BYTE_3 src1_sel:DWORD
	s_mov_b64 s[4:5], -1
                                        ; implicit-def: $sgpr10
	s_and_saveexec_b64 s[8:9], s[12:13]
; %bb.2846:
	s_mov_b32 s10, 0x7f800001
	s_xor_b64 s[4:5], exec, -1
; %bb.2847:
	s_or_b64 exec, exec, s[8:9]
	s_and_b64 s[4:5], s[4:5], exec
	s_or_saveexec_b64 s[6:7], s[6:7]
	v_mov_b32_e32 v14, s10
	s_xor_b64 exec, exec, s[6:7]
	s_cbranch_execz .LBB24_798
.LBB24_2848:
	v_mov_b32_e32 v14, 0
	v_cmp_ne_u16_sdwa s[8:9], v10, v14 src0_sel:BYTE_3 src1_sel:DWORD
	s_andn2_b64 s[4:5], s[4:5], exec
	s_and_b64 s[8:9], s[8:9], exec
	s_or_b64 s[4:5], s[4:5], s[8:9]
	s_or_b64 exec, exec, s[6:7]
	s_and_saveexec_b64 s[6:7], s[4:5]
	s_cbranch_execnz .LBB24_799
	s_branch .LBB24_800
.LBB24_2849:
	s_movk_i32 s4, 0x80
	v_cmp_eq_u16_sdwa s[12:13], v15, s4 src0_sel:BYTE_0 src1_sel:DWORD
	s_mov_b64 s[4:5], -1
                                        ; implicit-def: $sgpr10
	s_and_saveexec_b64 s[8:9], s[12:13]
; %bb.2850:
	s_mov_b32 s10, 0x7f800001
	s_xor_b64 s[4:5], exec, -1
; %bb.2851:
	s_or_b64 exec, exec, s[8:9]
	s_and_b64 s[4:5], s[4:5], exec
	s_or_saveexec_b64 s[6:7], s[6:7]
	v_mov_b32_e32 v10, s10
	s_xor_b64 exec, exec, s[6:7]
	s_cbranch_execz .LBB24_802
.LBB24_2852:
	v_mov_b32_e32 v10, 0
	v_cmp_ne_u16_sdwa s[8:9], v15, v10 src0_sel:BYTE_0 src1_sel:DWORD
	s_andn2_b64 s[4:5], s[4:5], exec
	s_and_b64 s[8:9], s[8:9], exec
	s_or_b64 s[4:5], s[4:5], s[8:9]
	s_or_b64 exec, exec, s[6:7]
	s_and_saveexec_b64 s[6:7], s[4:5]
	s_cbranch_execnz .LBB24_803
	s_branch .LBB24_804
.LBB24_2853:
	s_movk_i32 s4, 0x80
	v_cmp_eq_u16_sdwa s[12:13], v11, s4 src0_sel:BYTE_0 src1_sel:DWORD
	s_mov_b64 s[4:5], -1
                                        ; implicit-def: $sgpr10
	s_and_saveexec_b64 s[8:9], s[12:13]
; %bb.2854:
	s_mov_b32 s10, 0x7f800001
	s_xor_b64 s[4:5], exec, -1
; %bb.2855:
	s_or_b64 exec, exec, s[8:9]
	s_and_b64 s[4:5], s[4:5], exec
	s_or_saveexec_b64 s[6:7], s[6:7]
	v_mov_b32_e32 v14, s10
	s_xor_b64 exec, exec, s[6:7]
	s_cbranch_execz .LBB24_806
.LBB24_2856:
	v_mov_b32_e32 v14, 0
	v_cmp_ne_u16_sdwa s[8:9], v11, v14 src0_sel:BYTE_0 src1_sel:DWORD
	s_andn2_b64 s[4:5], s[4:5], exec
	s_and_b64 s[8:9], s[8:9], exec
	s_or_b64 s[4:5], s[4:5], s[8:9]
	s_or_b64 exec, exec, s[6:7]
	s_and_saveexec_b64 s[6:7], s[4:5]
	s_cbranch_execnz .LBB24_807
	s_branch .LBB24_808
.LBB24_2857:
	s_movk_i32 s4, 0x80
	v_cmp_eq_u16_sdwa s[12:13], v14, s4 src0_sel:BYTE_0 src1_sel:DWORD
	s_mov_b64 s[4:5], -1
                                        ; implicit-def: $sgpr10
	s_and_saveexec_b64 s[8:9], s[12:13]
; %bb.2858:
	s_mov_b32 s10, 0x7f800001
	s_xor_b64 s[4:5], exec, -1
; %bb.2859:
	s_or_b64 exec, exec, s[8:9]
	s_and_b64 s[4:5], s[4:5], exec
	s_or_saveexec_b64 s[6:7], s[6:7]
	v_mov_b32_e32 v10, s10
	s_xor_b64 exec, exec, s[6:7]
	s_cbranch_execz .LBB24_810
.LBB24_2860:
	v_mov_b32_e32 v10, 0
	v_cmp_ne_u16_sdwa s[8:9], v14, v10 src0_sel:BYTE_0 src1_sel:DWORD
	s_andn2_b64 s[4:5], s[4:5], exec
	s_and_b64 s[8:9], s[8:9], exec
	s_or_b64 s[4:5], s[4:5], s[8:9]
	s_or_b64 exec, exec, s[6:7]
	s_and_saveexec_b64 s[6:7], s[4:5]
	s_cbranch_execnz .LBB24_811
	s_branch .LBB24_812
.LBB24_2861:
	s_movk_i32 s4, 0x80
	v_cmp_eq_u16_sdwa s[12:13], v14, s4 src0_sel:BYTE_0 src1_sel:DWORD
	s_mov_b64 s[4:5], -1
                                        ; implicit-def: $sgpr10
	s_and_saveexec_b64 s[8:9], s[12:13]
; %bb.2862:
	s_mov_b32 s10, 0x7f800001
	s_xor_b64 s[4:5], exec, -1
; %bb.2863:
	s_or_b64 exec, exec, s[8:9]
	s_and_b64 s[4:5], s[4:5], exec
	s_or_saveexec_b64 s[6:7], s[6:7]
	v_mov_b32_e32 v20, s10
	s_xor_b64 exec, exec, s[6:7]
	s_cbranch_execz .LBB24_814
.LBB24_2864:
	v_mov_b32_e32 v20, 0
	v_cmp_ne_u16_sdwa s[8:9], v14, v20 src0_sel:BYTE_0 src1_sel:DWORD
	s_andn2_b64 s[4:5], s[4:5], exec
	s_and_b64 s[8:9], s[8:9], exec
	s_or_b64 s[4:5], s[4:5], s[8:9]
	s_or_b64 exec, exec, s[6:7]
	s_and_saveexec_b64 s[6:7], s[4:5]
	s_cbranch_execnz .LBB24_815
	s_branch .LBB24_816
.LBB24_2865:
	s_movk_i32 s4, 0x80
	v_cmp_eq_u16_e32 vcc, s4, v14
	s_mov_b64 s[4:5], -1
                                        ; implicit-def: $sgpr10
	s_and_saveexec_b64 s[8:9], vcc
; %bb.2866:
	s_mov_b32 s10, 0x7f800001
	s_xor_b64 s[4:5], exec, -1
; %bb.2867:
	s_or_b64 exec, exec, s[8:9]
	s_and_b64 s[4:5], s[4:5], exec
                                        ; implicit-def: $vgpr14
	s_or_saveexec_b64 s[6:7], s[6:7]
	v_mov_b32_e32 v10, s10
	s_xor_b64 exec, exec, s[6:7]
	s_cbranch_execz .LBB24_818
.LBB24_2868:
	v_cmp_ne_u16_e32 vcc, 0, v14
	s_andn2_b64 s[4:5], s[4:5], exec
	s_and_b64 s[8:9], vcc, exec
	v_mov_b32_e32 v10, 0
	s_or_b64 s[4:5], s[4:5], s[8:9]
	s_or_b64 exec, exec, s[6:7]
	s_and_saveexec_b64 s[6:7], s[4:5]
	s_cbranch_execnz .LBB24_819
	s_branch .LBB24_820
.LBB24_2869:
	s_movk_i32 s4, 0x80
	v_cmp_eq_u16_e32 vcc, s4, v14
	s_mov_b64 s[4:5], -1
                                        ; implicit-def: $sgpr10
	s_and_saveexec_b64 s[8:9], vcc
; %bb.2870:
	s_mov_b32 s10, 0x7f800001
	s_xor_b64 s[4:5], exec, -1
; %bb.2871:
	s_or_b64 exec, exec, s[8:9]
	s_and_b64 s[4:5], s[4:5], exec
                                        ; implicit-def: $vgpr14
	s_or_saveexec_b64 s[6:7], s[6:7]
	v_mov_b32_e32 v20, s10
	s_xor_b64 exec, exec, s[6:7]
	s_cbranch_execz .LBB24_822
.LBB24_2872:
	v_cmp_ne_u16_e32 vcc, 0, v14
	s_andn2_b64 s[4:5], s[4:5], exec
	s_and_b64 s[8:9], vcc, exec
	v_mov_b32_e32 v20, 0
	s_or_b64 s[4:5], s[4:5], s[8:9]
	s_or_b64 exec, exec, s[6:7]
	s_and_saveexec_b64 s[6:7], s[4:5]
	s_cbranch_execnz .LBB24_823
	s_branch .LBB24_824
.LBB24_2873:
	s_movk_i32 s4, 0x80
	v_cmp_eq_u16_sdwa s[12:13], v15, s4 src0_sel:BYTE_3 src1_sel:DWORD
	s_mov_b64 s[4:5], -1
                                        ; implicit-def: $sgpr10
	s_and_saveexec_b64 s[8:9], s[12:13]
; %bb.2874:
	s_mov_b32 s10, 0x7f800001
	s_xor_b64 s[4:5], exec, -1
; %bb.2875:
	s_or_b64 exec, exec, s[8:9]
	s_and_b64 s[4:5], s[4:5], exec
	s_or_saveexec_b64 s[6:7], s[6:7]
	v_mov_b32_e32 v10, s10
	s_xor_b64 exec, exec, s[6:7]
	s_cbranch_execz .LBB24_826
.LBB24_2876:
	v_mov_b32_e32 v10, 0
	v_cmp_ne_u16_sdwa s[8:9], v15, v10 src0_sel:BYTE_3 src1_sel:DWORD
	s_andn2_b64 s[4:5], s[4:5], exec
	s_and_b64 s[8:9], s[8:9], exec
	s_or_b64 s[4:5], s[4:5], s[8:9]
	s_or_b64 exec, exec, s[6:7]
	s_and_saveexec_b64 s[6:7], s[4:5]
	s_cbranch_execnz .LBB24_827
	s_branch .LBB24_828
.LBB24_2877:
	s_movk_i32 s4, 0x80
	v_cmp_eq_u16_sdwa s[12:13], v11, s4 src0_sel:BYTE_3 src1_sel:DWORD
	s_mov_b64 s[4:5], -1
                                        ; implicit-def: $sgpr10
	s_and_saveexec_b64 s[8:9], s[12:13]
; %bb.2878:
	s_mov_b32 s10, 0x7f800001
	s_xor_b64 s[4:5], exec, -1
; %bb.2879:
	s_or_b64 exec, exec, s[8:9]
	s_and_b64 s[4:5], s[4:5], exec
	s_or_saveexec_b64 s[6:7], s[6:7]
	v_mov_b32_e32 v14, s10
	s_xor_b64 exec, exec, s[6:7]
	s_cbranch_execz .LBB24_830
.LBB24_2880:
	v_mov_b32_e32 v14, 0
	v_cmp_ne_u16_sdwa s[8:9], v11, v14 src0_sel:BYTE_3 src1_sel:DWORD
	s_andn2_b64 s[4:5], s[4:5], exec
	s_and_b64 s[8:9], s[8:9], exec
	s_or_b64 s[4:5], s[4:5], s[8:9]
	s_or_b64 exec, exec, s[6:7]
	s_and_saveexec_b64 s[6:7], s[4:5]
	s_cbranch_execnz .LBB24_831
	s_branch .LBB24_832
.LBB24_2881:
	s_movk_i32 s4, 0x80
	v_cmp_eq_u16_sdwa s[12:13], v16, s4 src0_sel:BYTE_0 src1_sel:DWORD
	s_mov_b64 s[4:5], -1
                                        ; implicit-def: $sgpr10
	s_and_saveexec_b64 s[8:9], s[12:13]
; %bb.2882:
	s_mov_b32 s10, 0x7f800001
	s_xor_b64 s[4:5], exec, -1
; %bb.2883:
	s_or_b64 exec, exec, s[8:9]
	s_and_b64 s[4:5], s[4:5], exec
	s_or_saveexec_b64 s[6:7], s[6:7]
	v_mov_b32_e32 v10, s10
	s_xor_b64 exec, exec, s[6:7]
	s_cbranch_execz .LBB24_834
.LBB24_2884:
	v_mov_b32_e32 v10, 0
	v_cmp_ne_u16_sdwa s[8:9], v16, v10 src0_sel:BYTE_0 src1_sel:DWORD
	s_andn2_b64 s[4:5], s[4:5], exec
	s_and_b64 s[8:9], s[8:9], exec
	s_or_b64 s[4:5], s[4:5], s[8:9]
	s_or_b64 exec, exec, s[6:7]
	s_and_saveexec_b64 s[6:7], s[4:5]
	s_cbranch_execnz .LBB24_835
	s_branch .LBB24_836
.LBB24_2885:
	s_movk_i32 s4, 0x80
	v_cmp_eq_u16_sdwa s[12:13], v12, s4 src0_sel:BYTE_0 src1_sel:DWORD
	s_mov_b64 s[4:5], -1
                                        ; implicit-def: $sgpr10
	s_and_saveexec_b64 s[8:9], s[12:13]
; %bb.2886:
	s_mov_b32 s10, 0x7f800001
	s_xor_b64 s[4:5], exec, -1
; %bb.2887:
	s_or_b64 exec, exec, s[8:9]
	s_and_b64 s[4:5], s[4:5], exec
	s_or_saveexec_b64 s[6:7], s[6:7]
	v_mov_b32_e32 v11, s10
	s_xor_b64 exec, exec, s[6:7]
	s_cbranch_execz .LBB24_838
.LBB24_2888:
	v_mov_b32_e32 v11, 0
	v_cmp_ne_u16_sdwa s[8:9], v12, v11 src0_sel:BYTE_0 src1_sel:DWORD
	s_andn2_b64 s[4:5], s[4:5], exec
	s_and_b64 s[8:9], s[8:9], exec
	s_or_b64 s[4:5], s[4:5], s[8:9]
	s_or_b64 exec, exec, s[6:7]
	s_and_saveexec_b64 s[6:7], s[4:5]
	s_cbranch_execnz .LBB24_839
	s_branch .LBB24_840
.LBB24_2889:
	s_movk_i32 s4, 0x80
	v_cmp_eq_u16_sdwa s[12:13], v11, s4 src0_sel:BYTE_0 src1_sel:DWORD
	s_mov_b64 s[4:5], -1
                                        ; implicit-def: $sgpr10
	s_and_saveexec_b64 s[8:9], s[12:13]
; %bb.2890:
	s_mov_b32 s10, 0x7f800001
	s_xor_b64 s[4:5], exec, -1
; %bb.2891:
	s_or_b64 exec, exec, s[8:9]
	s_and_b64 s[4:5], s[4:5], exec
	s_or_saveexec_b64 s[6:7], s[6:7]
	v_mov_b32_e32 v10, s10
	s_xor_b64 exec, exec, s[6:7]
	s_cbranch_execz .LBB24_842
.LBB24_2892:
	v_mov_b32_e32 v10, 0
	v_cmp_ne_u16_sdwa s[8:9], v11, v10 src0_sel:BYTE_0 src1_sel:DWORD
	s_andn2_b64 s[4:5], s[4:5], exec
	s_and_b64 s[8:9], s[8:9], exec
	s_or_b64 s[4:5], s[4:5], s[8:9]
	s_or_b64 exec, exec, s[6:7]
	s_and_saveexec_b64 s[6:7], s[4:5]
	s_cbranch_execnz .LBB24_843
	s_branch .LBB24_844
.LBB24_2893:
	s_movk_i32 s4, 0x80
	v_cmp_eq_u16_sdwa s[12:13], v11, s4 src0_sel:BYTE_0 src1_sel:DWORD
	s_mov_b64 s[4:5], -1
                                        ; implicit-def: $sgpr10
	s_and_saveexec_b64 s[8:9], s[12:13]
; %bb.2894:
	s_mov_b32 s10, 0x7f800001
	s_xor_b64 s[4:5], exec, -1
; %bb.2895:
	s_or_b64 exec, exec, s[8:9]
	s_and_b64 s[4:5], s[4:5], exec
	s_or_saveexec_b64 s[6:7], s[6:7]
	v_mov_b32_e32 v14, s10
	s_xor_b64 exec, exec, s[6:7]
	s_cbranch_execz .LBB24_846
.LBB24_2896:
	v_mov_b32_e32 v14, 0
	v_cmp_ne_u16_sdwa s[8:9], v11, v14 src0_sel:BYTE_0 src1_sel:DWORD
	s_andn2_b64 s[4:5], s[4:5], exec
	s_and_b64 s[8:9], s[8:9], exec
	s_or_b64 s[4:5], s[4:5], s[8:9]
	s_or_b64 exec, exec, s[6:7]
	s_and_saveexec_b64 s[6:7], s[4:5]
	s_cbranch_execnz .LBB24_847
	s_branch .LBB24_848
.LBB24_2897:
	s_movk_i32 s4, 0x80
	v_cmp_eq_u16_e32 vcc, s4, v11
	s_mov_b64 s[4:5], -1
                                        ; implicit-def: $sgpr10
	s_and_saveexec_b64 s[8:9], vcc
; %bb.2898:
	s_mov_b32 s10, 0x7f800001
	s_xor_b64 s[4:5], exec, -1
; %bb.2899:
	s_or_b64 exec, exec, s[8:9]
	s_and_b64 s[4:5], s[4:5], exec
                                        ; implicit-def: $vgpr11
	s_or_saveexec_b64 s[6:7], s[6:7]
	v_mov_b32_e32 v10, s10
	s_xor_b64 exec, exec, s[6:7]
	s_cbranch_execz .LBB24_850
.LBB24_2900:
	v_cmp_ne_u16_e32 vcc, 0, v11
	s_andn2_b64 s[4:5], s[4:5], exec
	s_and_b64 s[8:9], vcc, exec
	v_mov_b32_e32 v10, 0
	s_or_b64 s[4:5], s[4:5], s[8:9]
	s_or_b64 exec, exec, s[6:7]
	s_and_saveexec_b64 s[6:7], s[4:5]
	s_cbranch_execnz .LBB24_851
	s_branch .LBB24_852
.LBB24_2901:
	s_movk_i32 s4, 0x80
	v_cmp_eq_u16_e32 vcc, s4, v11
	s_mov_b64 s[4:5], -1
                                        ; implicit-def: $sgpr10
	s_and_saveexec_b64 s[8:9], vcc
; %bb.2902:
	s_mov_b32 s10, 0x7f800001
	s_xor_b64 s[4:5], exec, -1
; %bb.2903:
	s_or_b64 exec, exec, s[8:9]
	s_and_b64 s[4:5], s[4:5], exec
                                        ; implicit-def: $vgpr11
	s_or_saveexec_b64 s[6:7], s[6:7]
	v_mov_b32_e32 v14, s10
	s_xor_b64 exec, exec, s[6:7]
	s_cbranch_execz .LBB24_854
.LBB24_2904:
	v_cmp_ne_u16_e32 vcc, 0, v11
	s_andn2_b64 s[4:5], s[4:5], exec
	s_and_b64 s[8:9], vcc, exec
	v_mov_b32_e32 v14, 0
	s_or_b64 s[4:5], s[4:5], s[8:9]
	s_or_b64 exec, exec, s[6:7]
	s_and_saveexec_b64 s[6:7], s[4:5]
	s_cbranch_execnz .LBB24_855
	s_branch .LBB24_856
.LBB24_2905:
	s_movk_i32 s4, 0x80
	v_cmp_eq_u16_sdwa s[12:13], v16, s4 src0_sel:BYTE_3 src1_sel:DWORD
	s_mov_b64 s[4:5], -1
                                        ; implicit-def: $sgpr10
	s_and_saveexec_b64 s[8:9], s[12:13]
; %bb.2906:
	s_mov_b32 s10, 0x7f800001
	s_xor_b64 s[4:5], exec, -1
; %bb.2907:
	s_or_b64 exec, exec, s[8:9]
	s_and_b64 s[4:5], s[4:5], exec
	s_or_saveexec_b64 s[6:7], s[6:7]
	v_mov_b32_e32 v10, s10
	s_xor_b64 exec, exec, s[6:7]
	s_cbranch_execz .LBB24_858
.LBB24_2908:
	v_mov_b32_e32 v10, 0
	v_cmp_ne_u16_sdwa s[8:9], v16, v10 src0_sel:BYTE_3 src1_sel:DWORD
	s_andn2_b64 s[4:5], s[4:5], exec
	s_and_b64 s[8:9], s[8:9], exec
	s_or_b64 s[4:5], s[4:5], s[8:9]
	s_or_b64 exec, exec, s[6:7]
	s_and_saveexec_b64 s[6:7], s[4:5]
	s_cbranch_execnz .LBB24_859
	s_branch .LBB24_860
.LBB24_2909:
	s_movk_i32 s4, 0x80
	v_cmp_eq_u16_sdwa s[12:13], v12, s4 src0_sel:BYTE_3 src1_sel:DWORD
	s_mov_b64 s[4:5], -1
                                        ; implicit-def: $sgpr10
	s_and_saveexec_b64 s[8:9], s[12:13]
; %bb.2910:
	s_mov_b32 s10, 0x7f800001
	s_xor_b64 s[4:5], exec, -1
; %bb.2911:
	s_or_b64 exec, exec, s[8:9]
	s_and_b64 s[4:5], s[4:5], exec
	s_or_saveexec_b64 s[6:7], s[6:7]
	v_mov_b32_e32 v11, s10
	s_xor_b64 exec, exec, s[6:7]
	s_cbranch_execz .LBB24_862
.LBB24_2912:
	v_mov_b32_e32 v11, 0
	v_cmp_ne_u16_sdwa s[8:9], v12, v11 src0_sel:BYTE_3 src1_sel:DWORD
	s_andn2_b64 s[4:5], s[4:5], exec
	s_and_b64 s[8:9], s[8:9], exec
	s_or_b64 s[4:5], s[4:5], s[8:9]
	s_or_b64 exec, exec, s[6:7]
	s_and_saveexec_b64 s[6:7], s[4:5]
	s_cbranch_execnz .LBB24_863
	s_branch .LBB24_864
.LBB24_2913:
	s_movk_i32 s4, 0x80
	v_cmp_eq_u16_sdwa s[12:13], v17, s4 src0_sel:BYTE_0 src1_sel:DWORD
	s_mov_b64 s[4:5], -1
                                        ; implicit-def: $sgpr10
	s_and_saveexec_b64 s[8:9], s[12:13]
; %bb.2914:
	s_mov_b32 s10, 0x7f800001
	s_xor_b64 s[4:5], exec, -1
; %bb.2915:
	s_or_b64 exec, exec, s[8:9]
	s_and_b64 s[4:5], s[4:5], exec
	s_or_saveexec_b64 s[6:7], s[6:7]
	v_mov_b32_e32 v10, s10
	s_xor_b64 exec, exec, s[6:7]
	s_cbranch_execz .LBB24_866
.LBB24_2916:
	v_mov_b32_e32 v10, 0
	v_cmp_ne_u16_sdwa s[8:9], v17, v10 src0_sel:BYTE_0 src1_sel:DWORD
	s_andn2_b64 s[4:5], s[4:5], exec
	s_and_b64 s[8:9], s[8:9], exec
	s_or_b64 s[4:5], s[4:5], s[8:9]
	s_or_b64 exec, exec, s[6:7]
	s_and_saveexec_b64 s[6:7], s[4:5]
	s_cbranch_execnz .LBB24_867
	s_branch .LBB24_868
.LBB24_2917:
	s_movk_i32 s4, 0x80
	v_cmp_eq_u16_sdwa s[12:13], v13, s4 src0_sel:BYTE_0 src1_sel:DWORD
	s_mov_b64 s[4:5], -1
                                        ; implicit-def: $sgpr10
	s_and_saveexec_b64 s[8:9], s[12:13]
; %bb.2918:
	s_mov_b32 s10, 0x7f800001
	s_xor_b64 s[4:5], exec, -1
; %bb.2919:
	s_or_b64 exec, exec, s[8:9]
	s_and_b64 s[4:5], s[4:5], exec
	s_or_saveexec_b64 s[6:7], s[6:7]
	v_mov_b32_e32 v11, s10
	s_xor_b64 exec, exec, s[6:7]
	s_cbranch_execz .LBB24_870
.LBB24_2920:
	v_mov_b32_e32 v11, 0
	v_cmp_ne_u16_sdwa s[8:9], v13, v11 src0_sel:BYTE_0 src1_sel:DWORD
	s_andn2_b64 s[4:5], s[4:5], exec
	s_and_b64 s[8:9], s[8:9], exec
	s_or_b64 s[4:5], s[4:5], s[8:9]
	s_or_b64 exec, exec, s[6:7]
	s_and_saveexec_b64 s[6:7], s[4:5]
	s_cbranch_execnz .LBB24_871
	s_branch .LBB24_872
.LBB24_2921:
	s_movk_i32 s4, 0x80
	v_cmp_eq_u16_sdwa s[12:13], v11, s4 src0_sel:BYTE_0 src1_sel:DWORD
	s_mov_b64 s[4:5], -1
                                        ; implicit-def: $sgpr10
	s_and_saveexec_b64 s[8:9], s[12:13]
; %bb.2922:
	s_mov_b32 s10, 0x7f800001
	s_xor_b64 s[4:5], exec, -1
; %bb.2923:
	s_or_b64 exec, exec, s[8:9]
	s_and_b64 s[4:5], s[4:5], exec
	s_or_saveexec_b64 s[6:7], s[6:7]
	v_mov_b32_e32 v10, s10
	s_xor_b64 exec, exec, s[6:7]
	s_cbranch_execz .LBB24_874
.LBB24_2924:
	v_mov_b32_e32 v10, 0
	v_cmp_ne_u16_sdwa s[8:9], v11, v10 src0_sel:BYTE_0 src1_sel:DWORD
	s_andn2_b64 s[4:5], s[4:5], exec
	s_and_b64 s[8:9], s[8:9], exec
	s_or_b64 s[4:5], s[4:5], s[8:9]
	s_or_b64 exec, exec, s[6:7]
	s_and_saveexec_b64 s[6:7], s[4:5]
	s_cbranch_execnz .LBB24_875
	s_branch .LBB24_876
.LBB24_2925:
	s_movk_i32 s4, 0x80
	v_cmp_eq_u16_sdwa s[12:13], v11, s4 src0_sel:BYTE_0 src1_sel:DWORD
	s_mov_b64 s[4:5], -1
                                        ; implicit-def: $sgpr10
	s_and_saveexec_b64 s[8:9], s[12:13]
; %bb.2926:
	s_mov_b32 s10, 0x7f800001
	s_xor_b64 s[4:5], exec, -1
; %bb.2927:
	s_or_b64 exec, exec, s[8:9]
	s_and_b64 s[4:5], s[4:5], exec
	s_or_saveexec_b64 s[6:7], s[6:7]
	v_mov_b32_e32 v12, s10
	s_xor_b64 exec, exec, s[6:7]
	s_cbranch_execz .LBB24_878
.LBB24_2928:
	v_mov_b32_e32 v12, 0
	v_cmp_ne_u16_sdwa s[8:9], v11, v12 src0_sel:BYTE_0 src1_sel:DWORD
	s_andn2_b64 s[4:5], s[4:5], exec
	s_and_b64 s[8:9], s[8:9], exec
	s_or_b64 s[4:5], s[4:5], s[8:9]
	s_or_b64 exec, exec, s[6:7]
	s_and_saveexec_b64 s[6:7], s[4:5]
	s_cbranch_execnz .LBB24_879
	s_branch .LBB24_880
.LBB24_2929:
	s_movk_i32 s4, 0x80
	v_cmp_eq_u16_e32 vcc, s4, v11
	s_mov_b64 s[4:5], -1
                                        ; implicit-def: $sgpr10
	s_and_saveexec_b64 s[8:9], vcc
; %bb.2930:
	s_mov_b32 s10, 0x7f800001
	s_xor_b64 s[4:5], exec, -1
; %bb.2931:
	s_or_b64 exec, exec, s[8:9]
	s_and_b64 s[4:5], s[4:5], exec
                                        ; implicit-def: $vgpr11
	s_or_saveexec_b64 s[6:7], s[6:7]
	v_mov_b32_e32 v10, s10
	s_xor_b64 exec, exec, s[6:7]
	s_cbranch_execz .LBB24_882
.LBB24_2932:
	v_cmp_ne_u16_e32 vcc, 0, v11
	s_andn2_b64 s[4:5], s[4:5], exec
	s_and_b64 s[8:9], vcc, exec
	v_mov_b32_e32 v10, 0
	s_or_b64 s[4:5], s[4:5], s[8:9]
	s_or_b64 exec, exec, s[6:7]
	s_and_saveexec_b64 s[6:7], s[4:5]
	s_cbranch_execnz .LBB24_883
	s_branch .LBB24_884
.LBB24_2933:
	s_movk_i32 s4, 0x80
	v_cmp_eq_u16_e32 vcc, s4, v11
	s_mov_b64 s[4:5], -1
                                        ; implicit-def: $sgpr10
	s_and_saveexec_b64 s[8:9], vcc
; %bb.2934:
	s_mov_b32 s10, 0x7f800001
	s_xor_b64 s[4:5], exec, -1
; %bb.2935:
	s_or_b64 exec, exec, s[8:9]
	s_and_b64 s[4:5], s[4:5], exec
                                        ; implicit-def: $vgpr11
	s_or_saveexec_b64 s[6:7], s[6:7]
	v_mov_b32_e32 v12, s10
	s_xor_b64 exec, exec, s[6:7]
	s_cbranch_execz .LBB24_886
.LBB24_2936:
	v_cmp_ne_u16_e32 vcc, 0, v11
	s_andn2_b64 s[4:5], s[4:5], exec
	s_and_b64 s[8:9], vcc, exec
	v_mov_b32_e32 v12, 0
	s_or_b64 s[4:5], s[4:5], s[8:9]
	s_or_b64 exec, exec, s[6:7]
	s_and_saveexec_b64 s[6:7], s[4:5]
	s_cbranch_execnz .LBB24_887
	s_branch .LBB24_888
.LBB24_2937:
	s_movk_i32 s4, 0x80
	v_cmp_eq_u16_sdwa s[12:13], v17, s4 src0_sel:BYTE_3 src1_sel:DWORD
	s_mov_b64 s[4:5], -1
                                        ; implicit-def: $sgpr10
	s_and_saveexec_b64 s[8:9], s[12:13]
; %bb.2938:
	s_mov_b32 s10, 0x7f800001
	s_xor_b64 s[4:5], exec, -1
; %bb.2939:
	s_or_b64 exec, exec, s[8:9]
	s_and_b64 s[4:5], s[4:5], exec
	s_or_saveexec_b64 s[6:7], s[6:7]
	v_mov_b32_e32 v10, s10
	s_xor_b64 exec, exec, s[6:7]
	s_cbranch_execz .LBB24_890
.LBB24_2940:
	v_mov_b32_e32 v10, 0
	v_cmp_ne_u16_sdwa s[8:9], v17, v10 src0_sel:BYTE_3 src1_sel:DWORD
	s_andn2_b64 s[4:5], s[4:5], exec
	s_and_b64 s[8:9], s[8:9], exec
	s_or_b64 s[4:5], s[4:5], s[8:9]
	s_or_b64 exec, exec, s[6:7]
	s_and_saveexec_b64 s[6:7], s[4:5]
	s_cbranch_execnz .LBB24_891
	s_branch .LBB24_892
.LBB24_2941:
	s_movk_i32 s4, 0x80
	v_cmp_eq_u16_sdwa s[12:13], v13, s4 src0_sel:BYTE_3 src1_sel:DWORD
	s_mov_b64 s[4:5], -1
                                        ; implicit-def: $sgpr10
	s_and_saveexec_b64 s[8:9], s[12:13]
; %bb.2942:
	s_mov_b32 s10, 0x7f800001
	s_xor_b64 s[4:5], exec, -1
; %bb.2943:
	s_or_b64 exec, exec, s[8:9]
	s_and_b64 s[4:5], s[4:5], exec
	s_or_saveexec_b64 s[6:7], s[6:7]
	v_mov_b32_e32 v11, s10
	s_xor_b64 exec, exec, s[6:7]
	s_cbranch_execz .LBB24_894
.LBB24_2944:
	v_mov_b32_e32 v11, 0
	v_cmp_ne_u16_sdwa s[8:9], v13, v11 src0_sel:BYTE_3 src1_sel:DWORD
	s_andn2_b64 s[4:5], s[4:5], exec
	s_and_b64 s[8:9], s[8:9], exec
	s_or_b64 s[4:5], s[4:5], s[8:9]
	s_or_b64 exec, exec, s[6:7]
	s_and_saveexec_b64 s[6:7], s[4:5]
	s_cbranch_execnz .LBB24_895
	s_branch .LBB24_896
.LBB24_2945:
	s_movk_i32 s4, 0x80
	v_cmp_eq_u16_sdwa s[12:13], v6, s4 src0_sel:BYTE_0 src1_sel:DWORD
	s_mov_b64 s[4:5], -1
                                        ; implicit-def: $sgpr10
	s_and_saveexec_b64 s[8:9], s[12:13]
; %bb.2946:
	s_mov_b32 s10, 0x7f800001
	s_xor_b64 s[4:5], exec, -1
; %bb.2947:
	s_or_b64 exec, exec, s[8:9]
	s_and_b64 s[4:5], s[4:5], exec
	s_or_saveexec_b64 s[6:7], s[6:7]
	v_mov_b32_e32 v10, s10
	s_xor_b64 exec, exec, s[6:7]
	s_cbranch_execz .LBB24_898
.LBB24_2948:
	v_mov_b32_e32 v10, 0
	v_cmp_ne_u16_sdwa s[8:9], v6, v10 src0_sel:BYTE_0 src1_sel:DWORD
	s_andn2_b64 s[4:5], s[4:5], exec
	s_and_b64 s[8:9], s[8:9], exec
	s_or_b64 s[4:5], s[4:5], s[8:9]
	s_or_b64 exec, exec, s[6:7]
	s_and_saveexec_b64 s[6:7], s[4:5]
	s_cbranch_execnz .LBB24_899
	s_branch .LBB24_900
.LBB24_2949:
	s_movk_i32 s4, 0x80
	v_cmp_eq_u16_sdwa s[12:13], v2, s4 src0_sel:BYTE_0 src1_sel:DWORD
	s_mov_b64 s[4:5], -1
                                        ; implicit-def: $sgpr10
	s_and_saveexec_b64 s[8:9], s[12:13]
; %bb.2950:
	s_mov_b32 s10, 0x7f800001
	s_xor_b64 s[4:5], exec, -1
; %bb.2951:
	s_or_b64 exec, exec, s[8:9]
	s_and_b64 s[4:5], s[4:5], exec
	s_or_saveexec_b64 s[6:7], s[6:7]
	v_mov_b32_e32 v11, s10
	s_xor_b64 exec, exec, s[6:7]
	s_cbranch_execz .LBB24_902
.LBB24_2952:
	v_mov_b32_e32 v11, 0
	v_cmp_ne_u16_sdwa s[8:9], v2, v11 src0_sel:BYTE_0 src1_sel:DWORD
	s_andn2_b64 s[4:5], s[4:5], exec
	s_and_b64 s[8:9], s[8:9], exec
	s_or_b64 s[4:5], s[4:5], s[8:9]
	s_or_b64 exec, exec, s[6:7]
	s_and_saveexec_b64 s[6:7], s[4:5]
	s_cbranch_execnz .LBB24_903
	s_branch .LBB24_904
.LBB24_2953:
	s_movk_i32 s4, 0x80
	v_cmp_eq_u16_sdwa s[12:13], v11, s4 src0_sel:BYTE_0 src1_sel:DWORD
	s_mov_b64 s[4:5], -1
                                        ; implicit-def: $sgpr10
	s_and_saveexec_b64 s[8:9], s[12:13]
; %bb.2954:
	s_mov_b32 s10, 0x7f800001
	s_xor_b64 s[4:5], exec, -1
; %bb.2955:
	s_or_b64 exec, exec, s[8:9]
	s_and_b64 s[4:5], s[4:5], exec
	s_or_saveexec_b64 s[6:7], s[6:7]
	v_mov_b32_e32 v10, s10
	s_xor_b64 exec, exec, s[6:7]
	s_cbranch_execz .LBB24_906
.LBB24_2956:
	v_mov_b32_e32 v10, 0
	v_cmp_ne_u16_sdwa s[8:9], v11, v10 src0_sel:BYTE_0 src1_sel:DWORD
	s_andn2_b64 s[4:5], s[4:5], exec
	s_and_b64 s[8:9], s[8:9], exec
	s_or_b64 s[4:5], s[4:5], s[8:9]
	s_or_b64 exec, exec, s[6:7]
	s_and_saveexec_b64 s[6:7], s[4:5]
	s_cbranch_execnz .LBB24_907
	s_branch .LBB24_908
.LBB24_2957:
	s_movk_i32 s4, 0x80
	v_cmp_eq_u16_sdwa s[12:13], v11, s4 src0_sel:BYTE_0 src1_sel:DWORD
	s_mov_b64 s[4:5], -1
                                        ; implicit-def: $sgpr10
	s_and_saveexec_b64 s[8:9], s[12:13]
; %bb.2958:
	s_mov_b32 s10, 0x7f800001
	s_xor_b64 s[4:5], exec, -1
; %bb.2959:
	s_or_b64 exec, exec, s[8:9]
	s_and_b64 s[4:5], s[4:5], exec
	s_or_saveexec_b64 s[6:7], s[6:7]
	v_mov_b32_e32 v12, s10
	s_xor_b64 exec, exec, s[6:7]
	s_cbranch_execz .LBB24_910
.LBB24_2960:
	v_mov_b32_e32 v12, 0
	v_cmp_ne_u16_sdwa s[8:9], v11, v12 src0_sel:BYTE_0 src1_sel:DWORD
	s_andn2_b64 s[4:5], s[4:5], exec
	s_and_b64 s[8:9], s[8:9], exec
	s_or_b64 s[4:5], s[4:5], s[8:9]
	s_or_b64 exec, exec, s[6:7]
	s_and_saveexec_b64 s[6:7], s[4:5]
	s_cbranch_execnz .LBB24_911
	s_branch .LBB24_912
.LBB24_2961:
	s_movk_i32 s4, 0x80
	v_cmp_eq_u16_e32 vcc, s4, v11
	s_mov_b64 s[4:5], -1
                                        ; implicit-def: $sgpr10
	s_and_saveexec_b64 s[8:9], vcc
; %bb.2962:
	s_mov_b32 s10, 0x7f800001
	s_xor_b64 s[4:5], exec, -1
; %bb.2963:
	s_or_b64 exec, exec, s[8:9]
	s_and_b64 s[4:5], s[4:5], exec
                                        ; implicit-def: $vgpr11
	s_or_saveexec_b64 s[6:7], s[6:7]
	v_mov_b32_e32 v10, s10
	s_xor_b64 exec, exec, s[6:7]
	s_cbranch_execz .LBB24_914
.LBB24_2964:
	v_cmp_ne_u16_e32 vcc, 0, v11
	s_andn2_b64 s[4:5], s[4:5], exec
	s_and_b64 s[8:9], vcc, exec
	v_mov_b32_e32 v10, 0
	s_or_b64 s[4:5], s[4:5], s[8:9]
	s_or_b64 exec, exec, s[6:7]
	s_and_saveexec_b64 s[6:7], s[4:5]
	s_cbranch_execnz .LBB24_915
	s_branch .LBB24_916
.LBB24_2965:
	s_movk_i32 s4, 0x80
	v_cmp_eq_u16_e32 vcc, s4, v11
	s_mov_b64 s[4:5], -1
                                        ; implicit-def: $sgpr10
	s_and_saveexec_b64 s[8:9], vcc
; %bb.2966:
	s_mov_b32 s10, 0x7f800001
	s_xor_b64 s[4:5], exec, -1
; %bb.2967:
	s_or_b64 exec, exec, s[8:9]
	s_and_b64 s[4:5], s[4:5], exec
                                        ; implicit-def: $vgpr11
	s_or_saveexec_b64 s[6:7], s[6:7]
	v_mov_b32_e32 v12, s10
	s_xor_b64 exec, exec, s[6:7]
	s_cbranch_execz .LBB24_918
.LBB24_2968:
	v_cmp_ne_u16_e32 vcc, 0, v11
	s_andn2_b64 s[4:5], s[4:5], exec
	s_and_b64 s[8:9], vcc, exec
	v_mov_b32_e32 v12, 0
	s_or_b64 s[4:5], s[4:5], s[8:9]
	s_or_b64 exec, exec, s[6:7]
	s_and_saveexec_b64 s[6:7], s[4:5]
	s_cbranch_execnz .LBB24_919
	s_branch .LBB24_920
.LBB24_2969:
	s_movk_i32 s4, 0x80
	v_cmp_eq_u16_sdwa s[12:13], v6, s4 src0_sel:BYTE_3 src1_sel:DWORD
	s_mov_b64 s[4:5], -1
                                        ; implicit-def: $sgpr10
	s_and_saveexec_b64 s[8:9], s[12:13]
; %bb.2970:
	s_mov_b32 s10, 0x7f800001
	s_xor_b64 s[4:5], exec, -1
; %bb.2971:
	s_or_b64 exec, exec, s[8:9]
	s_and_b64 s[4:5], s[4:5], exec
	s_or_saveexec_b64 s[6:7], s[6:7]
	v_mov_b32_e32 v10, s10
	s_xor_b64 exec, exec, s[6:7]
	s_cbranch_execz .LBB24_922
.LBB24_2972:
	v_mov_b32_e32 v10, 0
	v_cmp_ne_u16_sdwa s[8:9], v6, v10 src0_sel:BYTE_3 src1_sel:DWORD
	s_andn2_b64 s[4:5], s[4:5], exec
	s_and_b64 s[8:9], s[8:9], exec
	s_or_b64 s[4:5], s[4:5], s[8:9]
	s_or_b64 exec, exec, s[6:7]
	s_and_saveexec_b64 s[6:7], s[4:5]
	s_cbranch_execnz .LBB24_923
	s_branch .LBB24_924
.LBB24_2973:
	s_movk_i32 s4, 0x80
	v_cmp_eq_u16_sdwa s[12:13], v2, s4 src0_sel:BYTE_3 src1_sel:DWORD
	s_mov_b64 s[4:5], -1
                                        ; implicit-def: $sgpr10
	s_and_saveexec_b64 s[8:9], s[12:13]
; %bb.2974:
	s_mov_b32 s10, 0x7f800001
	s_xor_b64 s[4:5], exec, -1
; %bb.2975:
	s_or_b64 exec, exec, s[8:9]
	s_and_b64 s[4:5], s[4:5], exec
	s_or_saveexec_b64 s[6:7], s[6:7]
	v_mov_b32_e32 v6, s10
	s_xor_b64 exec, exec, s[6:7]
	s_cbranch_execz .LBB24_926
.LBB24_2976:
	v_mov_b32_e32 v6, 0
	v_cmp_ne_u16_sdwa s[8:9], v2, v6 src0_sel:BYTE_3 src1_sel:DWORD
	s_andn2_b64 s[4:5], s[4:5], exec
	s_and_b64 s[8:9], s[8:9], exec
	s_or_b64 s[4:5], s[4:5], s[8:9]
	s_or_b64 exec, exec, s[6:7]
	s_and_saveexec_b64 s[6:7], s[4:5]
	s_cbranch_execnz .LBB24_927
	s_branch .LBB24_928
.LBB24_2977:
	s_movk_i32 s4, 0x80
	v_cmp_eq_u16_sdwa s[12:13], v7, s4 src0_sel:BYTE_0 src1_sel:DWORD
	s_mov_b64 s[4:5], -1
                                        ; implicit-def: $sgpr10
	s_and_saveexec_b64 s[8:9], s[12:13]
; %bb.2978:
	s_mov_b32 s10, 0x7f800001
	s_xor_b64 s[4:5], exec, -1
; %bb.2979:
	s_or_b64 exec, exec, s[8:9]
	s_and_b64 s[4:5], s[4:5], exec
	s_or_saveexec_b64 s[6:7], s[6:7]
	v_mov_b32_e32 v2, s10
	s_xor_b64 exec, exec, s[6:7]
	s_cbranch_execz .LBB24_930
.LBB24_2980:
	v_mov_b32_e32 v2, 0
	v_cmp_ne_u16_sdwa s[8:9], v7, v2 src0_sel:BYTE_0 src1_sel:DWORD
	s_andn2_b64 s[4:5], s[4:5], exec
	s_and_b64 s[8:9], s[8:9], exec
	s_or_b64 s[4:5], s[4:5], s[8:9]
	s_or_b64 exec, exec, s[6:7]
	s_and_saveexec_b64 s[6:7], s[4:5]
	s_cbranch_execnz .LBB24_931
	s_branch .LBB24_932
.LBB24_2981:
	s_movk_i32 s4, 0x80
	v_cmp_eq_u16_sdwa s[12:13], v3, s4 src0_sel:BYTE_0 src1_sel:DWORD
	s_mov_b64 s[4:5], -1
                                        ; implicit-def: $sgpr10
	s_and_saveexec_b64 s[8:9], s[12:13]
; %bb.2982:
	s_mov_b32 s10, 0x7f800001
	s_xor_b64 s[4:5], exec, -1
; %bb.2983:
	s_or_b64 exec, exec, s[8:9]
	s_and_b64 s[4:5], s[4:5], exec
	s_or_saveexec_b64 s[6:7], s[6:7]
	v_mov_b32_e32 v6, s10
	s_xor_b64 exec, exec, s[6:7]
	s_cbranch_execz .LBB24_934
.LBB24_2984:
	v_mov_b32_e32 v6, 0
	v_cmp_ne_u16_sdwa s[8:9], v3, v6 src0_sel:BYTE_0 src1_sel:DWORD
	s_andn2_b64 s[4:5], s[4:5], exec
	s_and_b64 s[8:9], s[8:9], exec
	s_or_b64 s[4:5], s[4:5], s[8:9]
	s_or_b64 exec, exec, s[6:7]
	s_and_saveexec_b64 s[6:7], s[4:5]
	s_cbranch_execnz .LBB24_935
	s_branch .LBB24_936
.LBB24_2985:
	s_movk_i32 s4, 0x80
	v_cmp_eq_u16_sdwa s[12:13], v6, s4 src0_sel:BYTE_0 src1_sel:DWORD
	s_mov_b64 s[4:5], -1
                                        ; implicit-def: $sgpr10
	s_and_saveexec_b64 s[8:9], s[12:13]
; %bb.2986:
	s_mov_b32 s10, 0x7f800001
	s_xor_b64 s[4:5], exec, -1
; %bb.2987:
	s_or_b64 exec, exec, s[8:9]
	s_and_b64 s[4:5], s[4:5], exec
	s_or_saveexec_b64 s[6:7], s[6:7]
	v_mov_b32_e32 v2, s10
	s_xor_b64 exec, exec, s[6:7]
	s_cbranch_execz .LBB24_938
.LBB24_2988:
	v_mov_b32_e32 v2, 0
	v_cmp_ne_u16_sdwa s[8:9], v6, v2 src0_sel:BYTE_0 src1_sel:DWORD
	s_andn2_b64 s[4:5], s[4:5], exec
	s_and_b64 s[8:9], s[8:9], exec
	s_or_b64 s[4:5], s[4:5], s[8:9]
	s_or_b64 exec, exec, s[6:7]
	s_and_saveexec_b64 s[6:7], s[4:5]
	s_cbranch_execnz .LBB24_939
	s_branch .LBB24_940
.LBB24_2989:
	s_movk_i32 s4, 0x80
	v_cmp_eq_u16_sdwa s[12:13], v6, s4 src0_sel:BYTE_0 src1_sel:DWORD
	s_mov_b64 s[4:5], -1
                                        ; implicit-def: $sgpr10
	s_and_saveexec_b64 s[8:9], s[12:13]
; %bb.2990:
	s_mov_b32 s10, 0x7f800001
	s_xor_b64 s[4:5], exec, -1
; %bb.2991:
	s_or_b64 exec, exec, s[8:9]
	s_and_b64 s[4:5], s[4:5], exec
	s_or_saveexec_b64 s[6:7], s[6:7]
	v_mov_b32_e32 v10, s10
	s_xor_b64 exec, exec, s[6:7]
	s_cbranch_execz .LBB24_942
.LBB24_2992:
	v_mov_b32_e32 v10, 0
	v_cmp_ne_u16_sdwa s[8:9], v6, v10 src0_sel:BYTE_0 src1_sel:DWORD
	s_andn2_b64 s[4:5], s[4:5], exec
	s_and_b64 s[8:9], s[8:9], exec
	s_or_b64 s[4:5], s[4:5], s[8:9]
	s_or_b64 exec, exec, s[6:7]
	s_and_saveexec_b64 s[6:7], s[4:5]
	s_cbranch_execnz .LBB24_943
	s_branch .LBB24_944
.LBB24_2993:
	s_movk_i32 s4, 0x80
	v_cmp_eq_u16_e32 vcc, s4, v6
	s_mov_b64 s[4:5], -1
                                        ; implicit-def: $sgpr10
	s_and_saveexec_b64 s[8:9], vcc
; %bb.2994:
	s_mov_b32 s10, 0x7f800001
	s_xor_b64 s[4:5], exec, -1
; %bb.2995:
	s_or_b64 exec, exec, s[8:9]
	s_and_b64 s[4:5], s[4:5], exec
                                        ; implicit-def: $vgpr6
	s_or_saveexec_b64 s[6:7], s[6:7]
	v_mov_b32_e32 v2, s10
	s_xor_b64 exec, exec, s[6:7]
	s_cbranch_execz .LBB24_946
.LBB24_2996:
	v_cmp_ne_u16_e32 vcc, 0, v6
	s_andn2_b64 s[4:5], s[4:5], exec
	s_and_b64 s[8:9], vcc, exec
	v_mov_b32_e32 v2, 0
	s_or_b64 s[4:5], s[4:5], s[8:9]
	s_or_b64 exec, exec, s[6:7]
	s_and_saveexec_b64 s[6:7], s[4:5]
	s_cbranch_execnz .LBB24_947
	s_branch .LBB24_948
.LBB24_2997:
	s_movk_i32 s4, 0x80
	v_cmp_eq_u16_e32 vcc, s4, v6
	s_mov_b64 s[4:5], -1
                                        ; implicit-def: $sgpr10
	s_and_saveexec_b64 s[8:9], vcc
; %bb.2998:
	s_mov_b32 s10, 0x7f800001
	s_xor_b64 s[4:5], exec, -1
; %bb.2999:
	s_or_b64 exec, exec, s[8:9]
	s_and_b64 s[4:5], s[4:5], exec
                                        ; implicit-def: $vgpr6
	s_or_saveexec_b64 s[6:7], s[6:7]
	v_mov_b32_e32 v10, s10
	s_xor_b64 exec, exec, s[6:7]
	s_cbranch_execz .LBB24_950
.LBB24_3000:
	v_cmp_ne_u16_e32 vcc, 0, v6
	s_andn2_b64 s[4:5], s[4:5], exec
	s_and_b64 s[8:9], vcc, exec
	v_mov_b32_e32 v10, 0
	s_or_b64 s[4:5], s[4:5], s[8:9]
	s_or_b64 exec, exec, s[6:7]
	s_and_saveexec_b64 s[6:7], s[4:5]
	s_cbranch_execnz .LBB24_951
	s_branch .LBB24_952
.LBB24_3001:
	s_movk_i32 s4, 0x80
	v_cmp_eq_u16_sdwa s[12:13], v7, s4 src0_sel:BYTE_3 src1_sel:DWORD
	s_mov_b64 s[4:5], -1
                                        ; implicit-def: $sgpr10
	s_and_saveexec_b64 s[8:9], s[12:13]
; %bb.3002:
	s_mov_b32 s10, 0x7f800001
	s_xor_b64 s[4:5], exec, -1
; %bb.3003:
	s_or_b64 exec, exec, s[8:9]
	s_and_b64 s[4:5], s[4:5], exec
	s_or_saveexec_b64 s[6:7], s[6:7]
	v_mov_b32_e32 v2, s10
	s_xor_b64 exec, exec, s[6:7]
	s_cbranch_execz .LBB24_954
.LBB24_3004:
	v_mov_b32_e32 v2, 0
	v_cmp_ne_u16_sdwa s[8:9], v7, v2 src0_sel:BYTE_3 src1_sel:DWORD
	s_andn2_b64 s[4:5], s[4:5], exec
	s_and_b64 s[8:9], s[8:9], exec
	s_or_b64 s[4:5], s[4:5], s[8:9]
	s_or_b64 exec, exec, s[6:7]
	s_and_saveexec_b64 s[6:7], s[4:5]
	s_cbranch_execnz .LBB24_955
	s_branch .LBB24_956
.LBB24_3005:
	s_movk_i32 s4, 0x80
	v_cmp_eq_u16_sdwa s[12:13], v3, s4 src0_sel:BYTE_3 src1_sel:DWORD
	s_mov_b64 s[4:5], -1
                                        ; implicit-def: $sgpr10
	s_and_saveexec_b64 s[8:9], s[12:13]
; %bb.3006:
	s_mov_b32 s10, 0x7f800001
	s_xor_b64 s[4:5], exec, -1
; %bb.3007:
	s_or_b64 exec, exec, s[8:9]
	s_and_b64 s[4:5], s[4:5], exec
	s_or_saveexec_b64 s[6:7], s[6:7]
	v_mov_b32_e32 v6, s10
	s_xor_b64 exec, exec, s[6:7]
	s_cbranch_execz .LBB24_958
.LBB24_3008:
	v_mov_b32_e32 v6, 0
	v_cmp_ne_u16_sdwa s[8:9], v3, v6 src0_sel:BYTE_3 src1_sel:DWORD
	s_andn2_b64 s[4:5], s[4:5], exec
	s_and_b64 s[8:9], s[8:9], exec
	s_or_b64 s[4:5], s[4:5], s[8:9]
	s_or_b64 exec, exec, s[6:7]
	s_and_saveexec_b64 s[6:7], s[4:5]
	s_cbranch_execnz .LBB24_959
	s_branch .LBB24_960
.LBB24_3009:
	s_movk_i32 s4, 0x80
	v_cmp_eq_u16_sdwa s[12:13], v8, s4 src0_sel:BYTE_0 src1_sel:DWORD
	s_mov_b64 s[4:5], -1
                                        ; implicit-def: $sgpr10
	s_and_saveexec_b64 s[8:9], s[12:13]
; %bb.3010:
	s_mov_b32 s10, 0x7f800001
	s_xor_b64 s[4:5], exec, -1
; %bb.3011:
	s_or_b64 exec, exec, s[8:9]
	s_and_b64 s[4:5], s[4:5], exec
	s_or_saveexec_b64 s[6:7], s[6:7]
	v_mov_b32_e32 v2, s10
	s_xor_b64 exec, exec, s[6:7]
	s_cbranch_execz .LBB24_962
.LBB24_3012:
	v_mov_b32_e32 v2, 0
	v_cmp_ne_u16_sdwa s[8:9], v8, v2 src0_sel:BYTE_0 src1_sel:DWORD
	s_andn2_b64 s[4:5], s[4:5], exec
	s_and_b64 s[8:9], s[8:9], exec
	s_or_b64 s[4:5], s[4:5], s[8:9]
	s_or_b64 exec, exec, s[6:7]
	s_and_saveexec_b64 s[6:7], s[4:5]
	s_cbranch_execnz .LBB24_963
	s_branch .LBB24_964
.LBB24_3013:
	s_movk_i32 s4, 0x80
	v_cmp_eq_u16_sdwa s[12:13], v4, s4 src0_sel:BYTE_0 src1_sel:DWORD
	s_mov_b64 s[4:5], -1
                                        ; implicit-def: $sgpr10
	s_and_saveexec_b64 s[8:9], s[12:13]
; %bb.3014:
	s_mov_b32 s10, 0x7f800001
	s_xor_b64 s[4:5], exec, -1
; %bb.3015:
	s_or_b64 exec, exec, s[8:9]
	s_and_b64 s[4:5], s[4:5], exec
	s_or_saveexec_b64 s[6:7], s[6:7]
	v_mov_b32_e32 v3, s10
	s_xor_b64 exec, exec, s[6:7]
	s_cbranch_execz .LBB24_966
.LBB24_3016:
	v_mov_b32_e32 v3, 0
	v_cmp_ne_u16_sdwa s[8:9], v4, v3 src0_sel:BYTE_0 src1_sel:DWORD
	s_andn2_b64 s[4:5], s[4:5], exec
	s_and_b64 s[8:9], s[8:9], exec
	s_or_b64 s[4:5], s[4:5], s[8:9]
	s_or_b64 exec, exec, s[6:7]
	s_and_saveexec_b64 s[6:7], s[4:5]
	s_cbranch_execnz .LBB24_967
	s_branch .LBB24_968
.LBB24_3017:
	s_movk_i32 s4, 0x80
	v_cmp_eq_u16_sdwa s[12:13], v3, s4 src0_sel:BYTE_0 src1_sel:DWORD
	s_mov_b64 s[4:5], -1
                                        ; implicit-def: $sgpr10
	s_and_saveexec_b64 s[8:9], s[12:13]
; %bb.3018:
	s_mov_b32 s10, 0x7f800001
	s_xor_b64 s[4:5], exec, -1
; %bb.3019:
	s_or_b64 exec, exec, s[8:9]
	s_and_b64 s[4:5], s[4:5], exec
	s_or_saveexec_b64 s[6:7], s[6:7]
	v_mov_b32_e32 v2, s10
	s_xor_b64 exec, exec, s[6:7]
	s_cbranch_execz .LBB24_970
.LBB24_3020:
	v_mov_b32_e32 v2, 0
	v_cmp_ne_u16_sdwa s[8:9], v3, v2 src0_sel:BYTE_0 src1_sel:DWORD
	s_andn2_b64 s[4:5], s[4:5], exec
	s_and_b64 s[8:9], s[8:9], exec
	s_or_b64 s[4:5], s[4:5], s[8:9]
	s_or_b64 exec, exec, s[6:7]
	s_and_saveexec_b64 s[6:7], s[4:5]
	s_cbranch_execnz .LBB24_971
	s_branch .LBB24_972
.LBB24_3021:
	s_movk_i32 s4, 0x80
	v_cmp_eq_u16_sdwa s[12:13], v3, s4 src0_sel:BYTE_0 src1_sel:DWORD
	s_mov_b64 s[4:5], -1
                                        ; implicit-def: $sgpr10
	s_and_saveexec_b64 s[8:9], s[12:13]
; %bb.3022:
	s_mov_b32 s10, 0x7f800001
	s_xor_b64 s[4:5], exec, -1
; %bb.3023:
	s_or_b64 exec, exec, s[8:9]
	s_and_b64 s[4:5], s[4:5], exec
	s_or_saveexec_b64 s[6:7], s[6:7]
	v_mov_b32_e32 v6, s10
	s_xor_b64 exec, exec, s[6:7]
	s_cbranch_execz .LBB24_974
.LBB24_3024:
	v_mov_b32_e32 v6, 0
	v_cmp_ne_u16_sdwa s[8:9], v3, v6 src0_sel:BYTE_0 src1_sel:DWORD
	s_andn2_b64 s[4:5], s[4:5], exec
	s_and_b64 s[8:9], s[8:9], exec
	s_or_b64 s[4:5], s[4:5], s[8:9]
	s_or_b64 exec, exec, s[6:7]
	s_and_saveexec_b64 s[6:7], s[4:5]
	s_cbranch_execnz .LBB24_975
	s_branch .LBB24_976
.LBB24_3025:
	s_movk_i32 s4, 0x80
	v_cmp_eq_u16_e32 vcc, s4, v3
	s_mov_b64 s[4:5], -1
                                        ; implicit-def: $sgpr10
	s_and_saveexec_b64 s[8:9], vcc
; %bb.3026:
	s_mov_b32 s10, 0x7f800001
	s_xor_b64 s[4:5], exec, -1
; %bb.3027:
	s_or_b64 exec, exec, s[8:9]
	s_and_b64 s[4:5], s[4:5], exec
                                        ; implicit-def: $vgpr3
	s_or_saveexec_b64 s[6:7], s[6:7]
	v_mov_b32_e32 v2, s10
	s_xor_b64 exec, exec, s[6:7]
	s_cbranch_execz .LBB24_978
.LBB24_3028:
	v_cmp_ne_u16_e32 vcc, 0, v3
	s_andn2_b64 s[4:5], s[4:5], exec
	s_and_b64 s[8:9], vcc, exec
	v_mov_b32_e32 v2, 0
	s_or_b64 s[4:5], s[4:5], s[8:9]
	s_or_b64 exec, exec, s[6:7]
	s_and_saveexec_b64 s[6:7], s[4:5]
	s_cbranch_execnz .LBB24_979
	s_branch .LBB24_980
.LBB24_3029:
	s_movk_i32 s4, 0x80
	v_cmp_eq_u16_e32 vcc, s4, v3
	s_mov_b64 s[4:5], -1
                                        ; implicit-def: $sgpr10
	s_and_saveexec_b64 s[8:9], vcc
; %bb.3030:
	s_mov_b32 s10, 0x7f800001
	s_xor_b64 s[4:5], exec, -1
; %bb.3031:
	s_or_b64 exec, exec, s[8:9]
	s_and_b64 s[4:5], s[4:5], exec
                                        ; implicit-def: $vgpr3
	s_or_saveexec_b64 s[6:7], s[6:7]
	v_mov_b32_e32 v6, s10
	s_xor_b64 exec, exec, s[6:7]
	s_cbranch_execz .LBB24_982
.LBB24_3032:
	v_cmp_ne_u16_e32 vcc, 0, v3
	s_andn2_b64 s[4:5], s[4:5], exec
	s_and_b64 s[8:9], vcc, exec
	v_mov_b32_e32 v6, 0
	s_or_b64 s[4:5], s[4:5], s[8:9]
	s_or_b64 exec, exec, s[6:7]
	s_and_saveexec_b64 s[6:7], s[4:5]
	s_cbranch_execnz .LBB24_983
	s_branch .LBB24_984
.LBB24_3033:
	s_movk_i32 s4, 0x80
	v_cmp_eq_u16_sdwa s[12:13], v8, s4 src0_sel:BYTE_3 src1_sel:DWORD
	s_mov_b64 s[4:5], -1
                                        ; implicit-def: $sgpr10
	s_and_saveexec_b64 s[8:9], s[12:13]
; %bb.3034:
	s_mov_b32 s10, 0x7f800001
	s_xor_b64 s[4:5], exec, -1
; %bb.3035:
	s_or_b64 exec, exec, s[8:9]
	s_and_b64 s[4:5], s[4:5], exec
	s_or_saveexec_b64 s[6:7], s[6:7]
	v_mov_b32_e32 v2, s10
	s_xor_b64 exec, exec, s[6:7]
	s_cbranch_execz .LBB24_986
.LBB24_3036:
	v_mov_b32_e32 v2, 0
	v_cmp_ne_u16_sdwa s[8:9], v8, v2 src0_sel:BYTE_3 src1_sel:DWORD
	s_andn2_b64 s[4:5], s[4:5], exec
	s_and_b64 s[8:9], s[8:9], exec
	s_or_b64 s[4:5], s[4:5], s[8:9]
	s_or_b64 exec, exec, s[6:7]
	s_and_saveexec_b64 s[6:7], s[4:5]
	s_cbranch_execnz .LBB24_987
	s_branch .LBB24_988
.LBB24_3037:
	s_movk_i32 s4, 0x80
	v_cmp_eq_u16_sdwa s[12:13], v4, s4 src0_sel:BYTE_3 src1_sel:DWORD
	s_mov_b64 s[4:5], -1
                                        ; implicit-def: $sgpr10
	s_and_saveexec_b64 s[8:9], s[12:13]
; %bb.3038:
	s_mov_b32 s10, 0x7f800001
	s_xor_b64 s[4:5], exec, -1
; %bb.3039:
	s_or_b64 exec, exec, s[8:9]
	s_and_b64 s[4:5], s[4:5], exec
	s_or_saveexec_b64 s[6:7], s[6:7]
	v_mov_b32_e32 v3, s10
	s_xor_b64 exec, exec, s[6:7]
	s_cbranch_execz .LBB24_990
.LBB24_3040:
	v_mov_b32_e32 v3, 0
	v_cmp_ne_u16_sdwa s[8:9], v4, v3 src0_sel:BYTE_3 src1_sel:DWORD
	s_andn2_b64 s[4:5], s[4:5], exec
	s_and_b64 s[8:9], s[8:9], exec
	s_or_b64 s[4:5], s[4:5], s[8:9]
	s_or_b64 exec, exec, s[6:7]
	s_and_saveexec_b64 s[6:7], s[4:5]
	s_cbranch_execnz .LBB24_991
	s_branch .LBB24_992
.LBB24_3041:
	s_movk_i32 s4, 0x80
	v_cmp_eq_u16_sdwa s[12:13], v9, s4 src0_sel:BYTE_0 src1_sel:DWORD
	s_mov_b64 s[4:5], -1
                                        ; implicit-def: $sgpr10
	s_and_saveexec_b64 s[8:9], s[12:13]
; %bb.3042:
	s_mov_b32 s10, 0x7f800001
	s_xor_b64 s[4:5], exec, -1
; %bb.3043:
	s_or_b64 exec, exec, s[8:9]
	s_and_b64 s[4:5], s[4:5], exec
	s_or_saveexec_b64 s[6:7], s[6:7]
	v_mov_b32_e32 v2, s10
	s_xor_b64 exec, exec, s[6:7]
	s_cbranch_execz .LBB24_994
.LBB24_3044:
	v_mov_b32_e32 v2, 0
	v_cmp_ne_u16_sdwa s[8:9], v9, v2 src0_sel:BYTE_0 src1_sel:DWORD
	s_andn2_b64 s[4:5], s[4:5], exec
	s_and_b64 s[8:9], s[8:9], exec
	s_or_b64 s[4:5], s[4:5], s[8:9]
	s_or_b64 exec, exec, s[6:7]
	s_and_saveexec_b64 s[6:7], s[4:5]
	s_cbranch_execnz .LBB24_995
	s_branch .LBB24_996
.LBB24_3045:
	s_movk_i32 s4, 0x80
	v_cmp_eq_u16_sdwa s[12:13], v5, s4 src0_sel:BYTE_0 src1_sel:DWORD
	s_mov_b64 s[4:5], -1
                                        ; implicit-def: $sgpr10
	s_and_saveexec_b64 s[8:9], s[12:13]
; %bb.3046:
	s_mov_b32 s10, 0x7f800001
	s_xor_b64 s[4:5], exec, -1
; %bb.3047:
	s_or_b64 exec, exec, s[8:9]
	s_and_b64 s[4:5], s[4:5], exec
	s_or_saveexec_b64 s[6:7], s[6:7]
	v_mov_b32_e32 v3, s10
	s_xor_b64 exec, exec, s[6:7]
	s_cbranch_execz .LBB24_998
.LBB24_3048:
	v_mov_b32_e32 v3, 0
	v_cmp_ne_u16_sdwa s[8:9], v5, v3 src0_sel:BYTE_0 src1_sel:DWORD
	s_andn2_b64 s[4:5], s[4:5], exec
	s_and_b64 s[8:9], s[8:9], exec
	s_or_b64 s[4:5], s[4:5], s[8:9]
	s_or_b64 exec, exec, s[6:7]
	s_and_saveexec_b64 s[6:7], s[4:5]
	s_cbranch_execnz .LBB24_999
	s_branch .LBB24_1000
.LBB24_3049:
	s_movk_i32 s4, 0x80
	v_cmp_eq_u16_sdwa s[12:13], v3, s4 src0_sel:BYTE_0 src1_sel:DWORD
	s_mov_b64 s[4:5], -1
                                        ; implicit-def: $sgpr10
	s_and_saveexec_b64 s[8:9], s[12:13]
; %bb.3050:
	s_mov_b32 s10, 0x7f800001
	s_xor_b64 s[4:5], exec, -1
; %bb.3051:
	s_or_b64 exec, exec, s[8:9]
	s_and_b64 s[4:5], s[4:5], exec
	s_or_saveexec_b64 s[6:7], s[6:7]
	v_mov_b32_e32 v2, s10
	s_xor_b64 exec, exec, s[6:7]
	s_cbranch_execz .LBB24_1002
.LBB24_3052:
	v_mov_b32_e32 v2, 0
	v_cmp_ne_u16_sdwa s[8:9], v3, v2 src0_sel:BYTE_0 src1_sel:DWORD
	s_andn2_b64 s[4:5], s[4:5], exec
	s_and_b64 s[8:9], s[8:9], exec
	s_or_b64 s[4:5], s[4:5], s[8:9]
	s_or_b64 exec, exec, s[6:7]
	s_and_saveexec_b64 s[6:7], s[4:5]
	s_cbranch_execnz .LBB24_1003
	s_branch .LBB24_1004
.LBB24_3053:
	s_movk_i32 s4, 0x80
	v_cmp_eq_u16_sdwa s[12:13], v3, s4 src0_sel:BYTE_0 src1_sel:DWORD
	s_mov_b64 s[4:5], -1
                                        ; implicit-def: $sgpr10
	s_and_saveexec_b64 s[8:9], s[12:13]
; %bb.3054:
	s_mov_b32 s10, 0x7f800001
	s_xor_b64 s[4:5], exec, -1
; %bb.3055:
	s_or_b64 exec, exec, s[8:9]
	s_and_b64 s[4:5], s[4:5], exec
	s_or_saveexec_b64 s[6:7], s[6:7]
	v_mov_b32_e32 v4, s10
	s_xor_b64 exec, exec, s[6:7]
	s_cbranch_execz .LBB24_1006
.LBB24_3056:
	v_mov_b32_e32 v4, 0
	v_cmp_ne_u16_sdwa s[8:9], v3, v4 src0_sel:BYTE_0 src1_sel:DWORD
	s_andn2_b64 s[4:5], s[4:5], exec
	s_and_b64 s[8:9], s[8:9], exec
	s_or_b64 s[4:5], s[4:5], s[8:9]
	s_or_b64 exec, exec, s[6:7]
	s_and_saveexec_b64 s[6:7], s[4:5]
	s_cbranch_execnz .LBB24_1007
	s_branch .LBB24_1008
.LBB24_3057:
	s_movk_i32 s4, 0x80
	v_cmp_eq_u16_e32 vcc, s4, v3
	s_mov_b64 s[4:5], -1
                                        ; implicit-def: $sgpr10
	s_and_saveexec_b64 s[8:9], vcc
; %bb.3058:
	s_mov_b32 s10, 0x7f800001
	s_xor_b64 s[4:5], exec, -1
; %bb.3059:
	s_or_b64 exec, exec, s[8:9]
	s_and_b64 s[4:5], s[4:5], exec
                                        ; implicit-def: $vgpr3
	s_or_saveexec_b64 s[6:7], s[6:7]
	v_mov_b32_e32 v2, s10
	s_xor_b64 exec, exec, s[6:7]
	s_cbranch_execz .LBB24_1010
.LBB24_3060:
	v_cmp_ne_u16_e32 vcc, 0, v3
	s_andn2_b64 s[4:5], s[4:5], exec
	s_and_b64 s[8:9], vcc, exec
	v_mov_b32_e32 v2, 0
	s_or_b64 s[4:5], s[4:5], s[8:9]
	s_or_b64 exec, exec, s[6:7]
	s_and_saveexec_b64 s[6:7], s[4:5]
	s_cbranch_execnz .LBB24_1011
	s_branch .LBB24_1012
.LBB24_3061:
	s_movk_i32 s4, 0x80
	v_cmp_eq_u16_e32 vcc, s4, v3
	s_mov_b64 s[4:5], -1
                                        ; implicit-def: $sgpr10
	s_and_saveexec_b64 s[8:9], vcc
; %bb.3062:
	s_mov_b32 s10, 0x7f800001
	s_xor_b64 s[4:5], exec, -1
; %bb.3063:
	s_or_b64 exec, exec, s[8:9]
	s_and_b64 s[4:5], s[4:5], exec
                                        ; implicit-def: $vgpr3
	s_or_saveexec_b64 s[6:7], s[6:7]
	v_mov_b32_e32 v4, s10
	s_xor_b64 exec, exec, s[6:7]
	s_cbranch_execz .LBB24_1014
.LBB24_3064:
	v_cmp_ne_u16_e32 vcc, 0, v3
	s_andn2_b64 s[4:5], s[4:5], exec
	s_and_b64 s[8:9], vcc, exec
	v_mov_b32_e32 v4, 0
	s_or_b64 s[4:5], s[4:5], s[8:9]
	s_or_b64 exec, exec, s[6:7]
	s_and_saveexec_b64 s[6:7], s[4:5]
	s_cbranch_execnz .LBB24_1015
	s_branch .LBB24_1016
.LBB24_3065:
	s_movk_i32 s4, 0x80
	v_cmp_eq_u16_sdwa s[12:13], v9, s4 src0_sel:BYTE_3 src1_sel:DWORD
	s_mov_b64 s[4:5], -1
                                        ; implicit-def: $sgpr10
	s_and_saveexec_b64 s[8:9], s[12:13]
; %bb.3066:
	s_mov_b32 s10, 0x7f800001
	s_xor_b64 s[4:5], exec, -1
; %bb.3067:
	s_or_b64 exec, exec, s[8:9]
	s_and_b64 s[4:5], s[4:5], exec
	s_or_saveexec_b64 s[6:7], s[6:7]
	v_mov_b32_e32 v2, s10
	s_xor_b64 exec, exec, s[6:7]
	s_cbranch_execz .LBB24_1018
.LBB24_3068:
	v_mov_b32_e32 v2, 0
	v_cmp_ne_u16_sdwa s[8:9], v9, v2 src0_sel:BYTE_3 src1_sel:DWORD
	s_andn2_b64 s[4:5], s[4:5], exec
	s_and_b64 s[8:9], s[8:9], exec
	s_or_b64 s[4:5], s[4:5], s[8:9]
	s_or_b64 exec, exec, s[6:7]
	s_and_saveexec_b64 s[6:7], s[4:5]
	s_cbranch_execnz .LBB24_1019
	s_branch .LBB24_1020
.LBB24_3069:
	s_movk_i32 s4, 0x80
	v_cmp_eq_u16_sdwa s[12:13], v5, s4 src0_sel:BYTE_3 src1_sel:DWORD
	s_mov_b64 s[4:5], -1
                                        ; implicit-def: $sgpr10
	s_and_saveexec_b64 s[8:9], s[12:13]
; %bb.3070:
	s_mov_b32 s10, 0x7f800001
	s_xor_b64 s[4:5], exec, -1
; %bb.3071:
	s_or_b64 exec, exec, s[8:9]
	s_and_b64 s[4:5], s[4:5], exec
	s_or_saveexec_b64 s[6:7], s[6:7]
	v_mov_b32_e32 v3, s10
	s_xor_b64 exec, exec, s[6:7]
	s_cbranch_execz .LBB24_1022
.LBB24_3072:
	v_mov_b32_e32 v3, 0
	v_cmp_ne_u16_sdwa s[8:9], v5, v3 src0_sel:BYTE_3 src1_sel:DWORD
	s_andn2_b64 s[4:5], s[4:5], exec
	s_and_b64 s[8:9], s[8:9], exec
	s_or_b64 s[4:5], s[4:5], s[8:9]
	s_or_b64 exec, exec, s[6:7]
	s_and_saveexec_b64 s[6:7], s[4:5]
	s_cbranch_execnz .LBB24_1023
	s_branch .LBB24_1024
.LBB24_3073:
	s_movk_i32 s4, 0x80
	v_cmp_eq_u16_sdwa s[12:13], v14, s4 src0_sel:BYTE_0 src1_sel:DWORD
	s_mov_b64 s[4:5], -1
                                        ; implicit-def: $sgpr10
	s_and_saveexec_b64 s[8:9], s[12:13]
; %bb.3074:
	s_mov_b32 s10, 0x7f800001
	s_xor_b64 s[4:5], exec, -1
; %bb.3075:
	s_or_b64 exec, exec, s[8:9]
	s_and_b64 s[4:5], s[4:5], exec
	s_or_saveexec_b64 s[6:7], s[6:7]
	v_mov_b32_e32 v20, s10
	s_xor_b64 exec, exec, s[6:7]
	s_cbranch_execz .LBB24_1026
.LBB24_3076:
	v_mov_b32_e32 v20, 0
	v_cmp_ne_u16_sdwa s[8:9], v14, v20 src0_sel:BYTE_0 src1_sel:DWORD
	s_andn2_b64 s[4:5], s[4:5], exec
	s_and_b64 s[8:9], s[8:9], exec
	s_or_b64 s[4:5], s[4:5], s[8:9]
	s_or_b64 exec, exec, s[6:7]
	s_and_saveexec_b64 s[6:7], s[4:5]
	s_cbranch_execnz .LBB24_1027
	s_branch .LBB24_1028
.LBB24_3077:
	s_movk_i32 s4, 0x80
	v_cmp_eq_u16_sdwa s[12:13], v10, s4 src0_sel:BYTE_0 src1_sel:DWORD
	s_mov_b64 s[4:5], -1
                                        ; implicit-def: $sgpr10
	s_and_saveexec_b64 s[8:9], s[12:13]
; %bb.3078:
	s_mov_b32 s10, 0x7f800001
	s_xor_b64 s[4:5], exec, -1
; %bb.3079:
	s_or_b64 exec, exec, s[8:9]
	s_and_b64 s[4:5], s[4:5], exec
	s_or_saveexec_b64 s[6:7], s[6:7]
	v_mov_b32_e32 v21, s10
	s_xor_b64 exec, exec, s[6:7]
	s_cbranch_execz .LBB24_1030
.LBB24_3080:
	v_mov_b32_e32 v21, 0
	v_cmp_ne_u16_sdwa s[8:9], v10, v21 src0_sel:BYTE_0 src1_sel:DWORD
	s_andn2_b64 s[4:5], s[4:5], exec
	s_and_b64 s[8:9], s[8:9], exec
	s_or_b64 s[4:5], s[4:5], s[8:9]
	s_or_b64 exec, exec, s[6:7]
	s_and_saveexec_b64 s[6:7], s[4:5]
	s_cbranch_execnz .LBB24_1031
	s_branch .LBB24_1032
.LBB24_3081:
	s_movk_i32 s4, 0x80
	v_cmp_eq_u16_sdwa s[12:13], v21, s4 src0_sel:BYTE_0 src1_sel:DWORD
	s_mov_b64 s[4:5], -1
                                        ; implicit-def: $sgpr10
	s_and_saveexec_b64 s[8:9], s[12:13]
; %bb.3082:
	s_mov_b32 s10, 0x7f800001
	s_xor_b64 s[4:5], exec, -1
; %bb.3083:
	s_or_b64 exec, exec, s[8:9]
	s_and_b64 s[4:5], s[4:5], exec
	s_or_saveexec_b64 s[6:7], s[6:7]
	v_mov_b32_e32 v20, s10
	s_xor_b64 exec, exec, s[6:7]
	s_cbranch_execz .LBB24_1034
.LBB24_3084:
	v_mov_b32_e32 v20, 0
	v_cmp_ne_u16_sdwa s[8:9], v21, v20 src0_sel:BYTE_0 src1_sel:DWORD
	s_andn2_b64 s[4:5], s[4:5], exec
	s_and_b64 s[8:9], s[8:9], exec
	s_or_b64 s[4:5], s[4:5], s[8:9]
	s_or_b64 exec, exec, s[6:7]
	s_and_saveexec_b64 s[6:7], s[4:5]
	s_cbranch_execnz .LBB24_1035
	s_branch .LBB24_1036
.LBB24_3085:
	s_movk_i32 s4, 0x80
	v_cmp_eq_u16_sdwa s[12:13], v21, s4 src0_sel:BYTE_0 src1_sel:DWORD
	s_mov_b64 s[4:5], -1
                                        ; implicit-def: $sgpr10
	s_and_saveexec_b64 s[8:9], s[12:13]
; %bb.3086:
	s_mov_b32 s10, 0x7f800001
	s_xor_b64 s[4:5], exec, -1
; %bb.3087:
	s_or_b64 exec, exec, s[8:9]
	s_and_b64 s[4:5], s[4:5], exec
	s_or_saveexec_b64 s[6:7], s[6:7]
	v_mov_b32_e32 v22, s10
	s_xor_b64 exec, exec, s[6:7]
	s_cbranch_execz .LBB24_1038
.LBB24_3088:
	v_mov_b32_e32 v22, 0
	v_cmp_ne_u16_sdwa s[8:9], v21, v22 src0_sel:BYTE_0 src1_sel:DWORD
	s_andn2_b64 s[4:5], s[4:5], exec
	s_and_b64 s[8:9], s[8:9], exec
	s_or_b64 s[4:5], s[4:5], s[8:9]
	s_or_b64 exec, exec, s[6:7]
	s_and_saveexec_b64 s[6:7], s[4:5]
	s_cbranch_execnz .LBB24_1039
	s_branch .LBB24_1040
.LBB24_3089:
	s_movk_i32 s4, 0x80
	v_cmp_eq_u16_e32 vcc, s4, v21
	s_mov_b64 s[4:5], -1
                                        ; implicit-def: $sgpr10
	s_and_saveexec_b64 s[8:9], vcc
; %bb.3090:
	s_mov_b32 s10, 0x7f800001
	s_xor_b64 s[4:5], exec, -1
; %bb.3091:
	s_or_b64 exec, exec, s[8:9]
	s_and_b64 s[4:5], s[4:5], exec
                                        ; implicit-def: $vgpr21
	s_or_saveexec_b64 s[6:7], s[6:7]
	v_mov_b32_e32 v20, s10
	s_xor_b64 exec, exec, s[6:7]
	s_cbranch_execz .LBB24_1042
.LBB24_3092:
	v_cmp_ne_u16_e32 vcc, 0, v21
	s_andn2_b64 s[4:5], s[4:5], exec
	s_and_b64 s[8:9], vcc, exec
	v_mov_b32_e32 v20, 0
	s_or_b64 s[4:5], s[4:5], s[8:9]
	s_or_b64 exec, exec, s[6:7]
	s_and_saveexec_b64 s[6:7], s[4:5]
	s_cbranch_execnz .LBB24_1043
	s_branch .LBB24_1044
.LBB24_3093:
	s_movk_i32 s4, 0x80
	v_cmp_eq_u16_e32 vcc, s4, v21
	s_mov_b64 s[4:5], -1
                                        ; implicit-def: $sgpr10
	s_and_saveexec_b64 s[8:9], vcc
; %bb.3094:
	s_mov_b32 s10, 0x7f800001
	s_xor_b64 s[4:5], exec, -1
; %bb.3095:
	s_or_b64 exec, exec, s[8:9]
	s_and_b64 s[4:5], s[4:5], exec
                                        ; implicit-def: $vgpr21
	s_or_saveexec_b64 s[6:7], s[6:7]
	v_mov_b32_e32 v22, s10
	s_xor_b64 exec, exec, s[6:7]
	s_cbranch_execz .LBB24_1046
.LBB24_3096:
	v_cmp_ne_u16_e32 vcc, 0, v21
	s_andn2_b64 s[4:5], s[4:5], exec
	s_and_b64 s[8:9], vcc, exec
	v_mov_b32_e32 v22, 0
	s_or_b64 s[4:5], s[4:5], s[8:9]
	s_or_b64 exec, exec, s[6:7]
	s_and_saveexec_b64 s[6:7], s[4:5]
	s_cbranch_execnz .LBB24_1047
	s_branch .LBB24_1048
.LBB24_3097:
	s_movk_i32 s4, 0x80
	v_cmp_eq_u16_sdwa s[12:13], v14, s4 src0_sel:BYTE_3 src1_sel:DWORD
	s_mov_b64 s[4:5], -1
                                        ; implicit-def: $sgpr10
	s_and_saveexec_b64 s[8:9], s[12:13]
; %bb.3098:
	s_mov_b32 s10, 0x7f800001
	s_xor_b64 s[4:5], exec, -1
; %bb.3099:
	s_or_b64 exec, exec, s[8:9]
	s_and_b64 s[4:5], s[4:5], exec
	s_or_saveexec_b64 s[6:7], s[6:7]
	v_mov_b32_e32 v20, s10
	s_xor_b64 exec, exec, s[6:7]
	s_cbranch_execz .LBB24_1050
.LBB24_3100:
	v_mov_b32_e32 v20, 0
	v_cmp_ne_u16_sdwa s[8:9], v14, v20 src0_sel:BYTE_3 src1_sel:DWORD
	s_andn2_b64 s[4:5], s[4:5], exec
	s_and_b64 s[8:9], s[8:9], exec
	s_or_b64 s[4:5], s[4:5], s[8:9]
	s_or_b64 exec, exec, s[6:7]
	s_and_saveexec_b64 s[6:7], s[4:5]
	s_cbranch_execnz .LBB24_1051
	s_branch .LBB24_1052
.LBB24_3101:
	s_movk_i32 s4, 0x80
	v_cmp_eq_u16_sdwa s[12:13], v10, s4 src0_sel:BYTE_3 src1_sel:DWORD
	s_mov_b64 s[4:5], -1
                                        ; implicit-def: $sgpr10
	s_and_saveexec_b64 s[8:9], s[12:13]
; %bb.3102:
	s_mov_b32 s10, 0x7f800001
	s_xor_b64 s[4:5], exec, -1
; %bb.3103:
	s_or_b64 exec, exec, s[8:9]
	s_and_b64 s[4:5], s[4:5], exec
	s_or_saveexec_b64 s[6:7], s[6:7]
	v_mov_b32_e32 v14, s10
	s_xor_b64 exec, exec, s[6:7]
	s_cbranch_execz .LBB24_1054
.LBB24_3104:
	v_mov_b32_e32 v14, 0
	v_cmp_ne_u16_sdwa s[8:9], v10, v14 src0_sel:BYTE_3 src1_sel:DWORD
	s_andn2_b64 s[4:5], s[4:5], exec
	s_and_b64 s[8:9], s[8:9], exec
	s_or_b64 s[4:5], s[4:5], s[8:9]
	s_or_b64 exec, exec, s[6:7]
	s_and_saveexec_b64 s[6:7], s[4:5]
	s_cbranch_execnz .LBB24_1055
	s_branch .LBB24_1056
.LBB24_3105:
	s_movk_i32 s4, 0x80
	v_cmp_eq_u16_sdwa s[12:13], v15, s4 src0_sel:BYTE_0 src1_sel:DWORD
	s_mov_b64 s[4:5], -1
                                        ; implicit-def: $sgpr10
	s_and_saveexec_b64 s[8:9], s[12:13]
; %bb.3106:
	s_mov_b32 s10, 0x7f800001
	s_xor_b64 s[4:5], exec, -1
; %bb.3107:
	s_or_b64 exec, exec, s[8:9]
	s_and_b64 s[4:5], s[4:5], exec
	s_or_saveexec_b64 s[6:7], s[6:7]
	v_mov_b32_e32 v10, s10
	s_xor_b64 exec, exec, s[6:7]
	s_cbranch_execz .LBB24_1058
.LBB24_3108:
	v_mov_b32_e32 v10, 0
	v_cmp_ne_u16_sdwa s[8:9], v15, v10 src0_sel:BYTE_0 src1_sel:DWORD
	s_andn2_b64 s[4:5], s[4:5], exec
	s_and_b64 s[8:9], s[8:9], exec
	s_or_b64 s[4:5], s[4:5], s[8:9]
	s_or_b64 exec, exec, s[6:7]
	s_and_saveexec_b64 s[6:7], s[4:5]
	s_cbranch_execnz .LBB24_1059
	s_branch .LBB24_1060
.LBB24_3109:
	s_movk_i32 s4, 0x80
	v_cmp_eq_u16_sdwa s[12:13], v11, s4 src0_sel:BYTE_0 src1_sel:DWORD
	s_mov_b64 s[4:5], -1
                                        ; implicit-def: $sgpr10
	s_and_saveexec_b64 s[8:9], s[12:13]
; %bb.3110:
	s_mov_b32 s10, 0x7f800001
	s_xor_b64 s[4:5], exec, -1
; %bb.3111:
	s_or_b64 exec, exec, s[8:9]
	s_and_b64 s[4:5], s[4:5], exec
	s_or_saveexec_b64 s[6:7], s[6:7]
	v_mov_b32_e32 v14, s10
	s_xor_b64 exec, exec, s[6:7]
	s_cbranch_execz .LBB24_1062
.LBB24_3112:
	v_mov_b32_e32 v14, 0
	v_cmp_ne_u16_sdwa s[8:9], v11, v14 src0_sel:BYTE_0 src1_sel:DWORD
	s_andn2_b64 s[4:5], s[4:5], exec
	s_and_b64 s[8:9], s[8:9], exec
	s_or_b64 s[4:5], s[4:5], s[8:9]
	s_or_b64 exec, exec, s[6:7]
	s_and_saveexec_b64 s[6:7], s[4:5]
	s_cbranch_execnz .LBB24_1063
	s_branch .LBB24_1064
.LBB24_3113:
	s_movk_i32 s4, 0x80
	v_cmp_eq_u16_sdwa s[12:13], v14, s4 src0_sel:BYTE_0 src1_sel:DWORD
	s_mov_b64 s[4:5], -1
                                        ; implicit-def: $sgpr10
	s_and_saveexec_b64 s[8:9], s[12:13]
; %bb.3114:
	s_mov_b32 s10, 0x7f800001
	s_xor_b64 s[4:5], exec, -1
; %bb.3115:
	s_or_b64 exec, exec, s[8:9]
	s_and_b64 s[4:5], s[4:5], exec
	s_or_saveexec_b64 s[6:7], s[6:7]
	v_mov_b32_e32 v10, s10
	s_xor_b64 exec, exec, s[6:7]
	s_cbranch_execz .LBB24_1066
.LBB24_3116:
	v_mov_b32_e32 v10, 0
	v_cmp_ne_u16_sdwa s[8:9], v14, v10 src0_sel:BYTE_0 src1_sel:DWORD
	s_andn2_b64 s[4:5], s[4:5], exec
	s_and_b64 s[8:9], s[8:9], exec
	s_or_b64 s[4:5], s[4:5], s[8:9]
	s_or_b64 exec, exec, s[6:7]
	s_and_saveexec_b64 s[6:7], s[4:5]
	s_cbranch_execnz .LBB24_1067
	s_branch .LBB24_1068
.LBB24_3117:
	s_movk_i32 s4, 0x80
	v_cmp_eq_u16_sdwa s[12:13], v14, s4 src0_sel:BYTE_0 src1_sel:DWORD
	s_mov_b64 s[4:5], -1
                                        ; implicit-def: $sgpr10
	s_and_saveexec_b64 s[8:9], s[12:13]
; %bb.3118:
	s_mov_b32 s10, 0x7f800001
	s_xor_b64 s[4:5], exec, -1
; %bb.3119:
	s_or_b64 exec, exec, s[8:9]
	s_and_b64 s[4:5], s[4:5], exec
	s_or_saveexec_b64 s[6:7], s[6:7]
	v_mov_b32_e32 v20, s10
	s_xor_b64 exec, exec, s[6:7]
	s_cbranch_execz .LBB24_1070
.LBB24_3120:
	v_mov_b32_e32 v20, 0
	v_cmp_ne_u16_sdwa s[8:9], v14, v20 src0_sel:BYTE_0 src1_sel:DWORD
	s_andn2_b64 s[4:5], s[4:5], exec
	s_and_b64 s[8:9], s[8:9], exec
	s_or_b64 s[4:5], s[4:5], s[8:9]
	s_or_b64 exec, exec, s[6:7]
	s_and_saveexec_b64 s[6:7], s[4:5]
	s_cbranch_execnz .LBB24_1071
	s_branch .LBB24_1072
.LBB24_3121:
	s_movk_i32 s4, 0x80
	v_cmp_eq_u16_e32 vcc, s4, v14
	s_mov_b64 s[4:5], -1
                                        ; implicit-def: $sgpr10
	s_and_saveexec_b64 s[8:9], vcc
; %bb.3122:
	s_mov_b32 s10, 0x7f800001
	s_xor_b64 s[4:5], exec, -1
; %bb.3123:
	s_or_b64 exec, exec, s[8:9]
	s_and_b64 s[4:5], s[4:5], exec
                                        ; implicit-def: $vgpr14
	s_or_saveexec_b64 s[6:7], s[6:7]
	v_mov_b32_e32 v10, s10
	s_xor_b64 exec, exec, s[6:7]
	s_cbranch_execz .LBB24_1074
.LBB24_3124:
	v_cmp_ne_u16_e32 vcc, 0, v14
	s_andn2_b64 s[4:5], s[4:5], exec
	s_and_b64 s[8:9], vcc, exec
	v_mov_b32_e32 v10, 0
	s_or_b64 s[4:5], s[4:5], s[8:9]
	s_or_b64 exec, exec, s[6:7]
	s_and_saveexec_b64 s[6:7], s[4:5]
	s_cbranch_execnz .LBB24_1075
	s_branch .LBB24_1076
.LBB24_3125:
	s_movk_i32 s4, 0x80
	v_cmp_eq_u16_e32 vcc, s4, v14
	s_mov_b64 s[4:5], -1
                                        ; implicit-def: $sgpr10
	s_and_saveexec_b64 s[8:9], vcc
; %bb.3126:
	s_mov_b32 s10, 0x7f800001
	s_xor_b64 s[4:5], exec, -1
; %bb.3127:
	s_or_b64 exec, exec, s[8:9]
	s_and_b64 s[4:5], s[4:5], exec
                                        ; implicit-def: $vgpr14
	s_or_saveexec_b64 s[6:7], s[6:7]
	v_mov_b32_e32 v20, s10
	s_xor_b64 exec, exec, s[6:7]
	s_cbranch_execz .LBB24_1078
.LBB24_3128:
	v_cmp_ne_u16_e32 vcc, 0, v14
	s_andn2_b64 s[4:5], s[4:5], exec
	s_and_b64 s[8:9], vcc, exec
	v_mov_b32_e32 v20, 0
	s_or_b64 s[4:5], s[4:5], s[8:9]
	s_or_b64 exec, exec, s[6:7]
	s_and_saveexec_b64 s[6:7], s[4:5]
	s_cbranch_execnz .LBB24_1079
	s_branch .LBB24_1080
.LBB24_3129:
	s_movk_i32 s4, 0x80
	v_cmp_eq_u16_sdwa s[12:13], v15, s4 src0_sel:BYTE_3 src1_sel:DWORD
	s_mov_b64 s[4:5], -1
                                        ; implicit-def: $sgpr10
	s_and_saveexec_b64 s[8:9], s[12:13]
; %bb.3130:
	s_mov_b32 s10, 0x7f800001
	s_xor_b64 s[4:5], exec, -1
; %bb.3131:
	s_or_b64 exec, exec, s[8:9]
	s_and_b64 s[4:5], s[4:5], exec
	s_or_saveexec_b64 s[6:7], s[6:7]
	v_mov_b32_e32 v10, s10
	s_xor_b64 exec, exec, s[6:7]
	s_cbranch_execz .LBB24_1082
.LBB24_3132:
	v_mov_b32_e32 v10, 0
	v_cmp_ne_u16_sdwa s[8:9], v15, v10 src0_sel:BYTE_3 src1_sel:DWORD
	s_andn2_b64 s[4:5], s[4:5], exec
	s_and_b64 s[8:9], s[8:9], exec
	s_or_b64 s[4:5], s[4:5], s[8:9]
	s_or_b64 exec, exec, s[6:7]
	s_and_saveexec_b64 s[6:7], s[4:5]
	s_cbranch_execnz .LBB24_1083
	s_branch .LBB24_1084
.LBB24_3133:
	s_movk_i32 s4, 0x80
	v_cmp_eq_u16_sdwa s[12:13], v11, s4 src0_sel:BYTE_3 src1_sel:DWORD
	s_mov_b64 s[4:5], -1
                                        ; implicit-def: $sgpr10
	s_and_saveexec_b64 s[8:9], s[12:13]
; %bb.3134:
	s_mov_b32 s10, 0x7f800001
	s_xor_b64 s[4:5], exec, -1
; %bb.3135:
	s_or_b64 exec, exec, s[8:9]
	s_and_b64 s[4:5], s[4:5], exec
	s_or_saveexec_b64 s[6:7], s[6:7]
	v_mov_b32_e32 v14, s10
	s_xor_b64 exec, exec, s[6:7]
	s_cbranch_execz .LBB24_1086
.LBB24_3136:
	v_mov_b32_e32 v14, 0
	v_cmp_ne_u16_sdwa s[8:9], v11, v14 src0_sel:BYTE_3 src1_sel:DWORD
	s_andn2_b64 s[4:5], s[4:5], exec
	s_and_b64 s[8:9], s[8:9], exec
	s_or_b64 s[4:5], s[4:5], s[8:9]
	s_or_b64 exec, exec, s[6:7]
	s_and_saveexec_b64 s[6:7], s[4:5]
	s_cbranch_execnz .LBB24_1087
	s_branch .LBB24_1088
.LBB24_3137:
	s_movk_i32 s4, 0x80
	v_cmp_eq_u16_sdwa s[12:13], v16, s4 src0_sel:BYTE_0 src1_sel:DWORD
	s_mov_b64 s[4:5], -1
                                        ; implicit-def: $sgpr10
	s_and_saveexec_b64 s[8:9], s[12:13]
; %bb.3138:
	s_mov_b32 s10, 0x7f800001
	s_xor_b64 s[4:5], exec, -1
; %bb.3139:
	s_or_b64 exec, exec, s[8:9]
	s_and_b64 s[4:5], s[4:5], exec
	s_or_saveexec_b64 s[6:7], s[6:7]
	v_mov_b32_e32 v10, s10
	s_xor_b64 exec, exec, s[6:7]
	s_cbranch_execz .LBB24_1090
.LBB24_3140:
	v_mov_b32_e32 v10, 0
	v_cmp_ne_u16_sdwa s[8:9], v16, v10 src0_sel:BYTE_0 src1_sel:DWORD
	s_andn2_b64 s[4:5], s[4:5], exec
	s_and_b64 s[8:9], s[8:9], exec
	s_or_b64 s[4:5], s[4:5], s[8:9]
	s_or_b64 exec, exec, s[6:7]
	s_and_saveexec_b64 s[6:7], s[4:5]
	s_cbranch_execnz .LBB24_1091
	s_branch .LBB24_1092
.LBB24_3141:
	s_movk_i32 s4, 0x80
	v_cmp_eq_u16_sdwa s[12:13], v12, s4 src0_sel:BYTE_0 src1_sel:DWORD
	s_mov_b64 s[4:5], -1
                                        ; implicit-def: $sgpr10
	s_and_saveexec_b64 s[8:9], s[12:13]
; %bb.3142:
	s_mov_b32 s10, 0x7f800001
	s_xor_b64 s[4:5], exec, -1
; %bb.3143:
	s_or_b64 exec, exec, s[8:9]
	s_and_b64 s[4:5], s[4:5], exec
	s_or_saveexec_b64 s[6:7], s[6:7]
	v_mov_b32_e32 v11, s10
	s_xor_b64 exec, exec, s[6:7]
	s_cbranch_execz .LBB24_1094
.LBB24_3144:
	v_mov_b32_e32 v11, 0
	v_cmp_ne_u16_sdwa s[8:9], v12, v11 src0_sel:BYTE_0 src1_sel:DWORD
	s_andn2_b64 s[4:5], s[4:5], exec
	s_and_b64 s[8:9], s[8:9], exec
	s_or_b64 s[4:5], s[4:5], s[8:9]
	s_or_b64 exec, exec, s[6:7]
	s_and_saveexec_b64 s[6:7], s[4:5]
	s_cbranch_execnz .LBB24_1095
	s_branch .LBB24_1096
.LBB24_3145:
	s_movk_i32 s4, 0x80
	v_cmp_eq_u16_sdwa s[12:13], v11, s4 src0_sel:BYTE_0 src1_sel:DWORD
	s_mov_b64 s[4:5], -1
                                        ; implicit-def: $sgpr10
	s_and_saveexec_b64 s[8:9], s[12:13]
; %bb.3146:
	s_mov_b32 s10, 0x7f800001
	s_xor_b64 s[4:5], exec, -1
; %bb.3147:
	s_or_b64 exec, exec, s[8:9]
	s_and_b64 s[4:5], s[4:5], exec
	s_or_saveexec_b64 s[6:7], s[6:7]
	v_mov_b32_e32 v10, s10
	s_xor_b64 exec, exec, s[6:7]
	s_cbranch_execz .LBB24_1098
.LBB24_3148:
	v_mov_b32_e32 v10, 0
	v_cmp_ne_u16_sdwa s[8:9], v11, v10 src0_sel:BYTE_0 src1_sel:DWORD
	s_andn2_b64 s[4:5], s[4:5], exec
	s_and_b64 s[8:9], s[8:9], exec
	s_or_b64 s[4:5], s[4:5], s[8:9]
	s_or_b64 exec, exec, s[6:7]
	s_and_saveexec_b64 s[6:7], s[4:5]
	s_cbranch_execnz .LBB24_1099
	s_branch .LBB24_1100
.LBB24_3149:
	s_movk_i32 s4, 0x80
	v_cmp_eq_u16_sdwa s[12:13], v11, s4 src0_sel:BYTE_0 src1_sel:DWORD
	s_mov_b64 s[4:5], -1
                                        ; implicit-def: $sgpr10
	s_and_saveexec_b64 s[8:9], s[12:13]
; %bb.3150:
	s_mov_b32 s10, 0x7f800001
	s_xor_b64 s[4:5], exec, -1
; %bb.3151:
	s_or_b64 exec, exec, s[8:9]
	s_and_b64 s[4:5], s[4:5], exec
	s_or_saveexec_b64 s[6:7], s[6:7]
	v_mov_b32_e32 v14, s10
	s_xor_b64 exec, exec, s[6:7]
	s_cbranch_execz .LBB24_1102
.LBB24_3152:
	v_mov_b32_e32 v14, 0
	v_cmp_ne_u16_sdwa s[8:9], v11, v14 src0_sel:BYTE_0 src1_sel:DWORD
	s_andn2_b64 s[4:5], s[4:5], exec
	s_and_b64 s[8:9], s[8:9], exec
	s_or_b64 s[4:5], s[4:5], s[8:9]
	s_or_b64 exec, exec, s[6:7]
	s_and_saveexec_b64 s[6:7], s[4:5]
	s_cbranch_execnz .LBB24_1103
	s_branch .LBB24_1104
.LBB24_3153:
	s_movk_i32 s4, 0x80
	v_cmp_eq_u16_e32 vcc, s4, v11
	s_mov_b64 s[4:5], -1
                                        ; implicit-def: $sgpr10
	s_and_saveexec_b64 s[8:9], vcc
; %bb.3154:
	s_mov_b32 s10, 0x7f800001
	s_xor_b64 s[4:5], exec, -1
; %bb.3155:
	s_or_b64 exec, exec, s[8:9]
	s_and_b64 s[4:5], s[4:5], exec
                                        ; implicit-def: $vgpr11
	s_or_saveexec_b64 s[6:7], s[6:7]
	v_mov_b32_e32 v10, s10
	s_xor_b64 exec, exec, s[6:7]
	s_cbranch_execz .LBB24_1106
.LBB24_3156:
	v_cmp_ne_u16_e32 vcc, 0, v11
	s_andn2_b64 s[4:5], s[4:5], exec
	s_and_b64 s[8:9], vcc, exec
	v_mov_b32_e32 v10, 0
	s_or_b64 s[4:5], s[4:5], s[8:9]
	s_or_b64 exec, exec, s[6:7]
	s_and_saveexec_b64 s[6:7], s[4:5]
	s_cbranch_execnz .LBB24_1107
	s_branch .LBB24_1108
.LBB24_3157:
	s_movk_i32 s4, 0x80
	v_cmp_eq_u16_e32 vcc, s4, v11
	s_mov_b64 s[4:5], -1
                                        ; implicit-def: $sgpr10
	s_and_saveexec_b64 s[8:9], vcc
; %bb.3158:
	s_mov_b32 s10, 0x7f800001
	s_xor_b64 s[4:5], exec, -1
; %bb.3159:
	s_or_b64 exec, exec, s[8:9]
	s_and_b64 s[4:5], s[4:5], exec
                                        ; implicit-def: $vgpr11
	s_or_saveexec_b64 s[6:7], s[6:7]
	v_mov_b32_e32 v14, s10
	s_xor_b64 exec, exec, s[6:7]
	s_cbranch_execz .LBB24_1110
.LBB24_3160:
	v_cmp_ne_u16_e32 vcc, 0, v11
	s_andn2_b64 s[4:5], s[4:5], exec
	s_and_b64 s[8:9], vcc, exec
	v_mov_b32_e32 v14, 0
	s_or_b64 s[4:5], s[4:5], s[8:9]
	s_or_b64 exec, exec, s[6:7]
	s_and_saveexec_b64 s[6:7], s[4:5]
	s_cbranch_execnz .LBB24_1111
	s_branch .LBB24_1112
.LBB24_3161:
	s_movk_i32 s4, 0x80
	v_cmp_eq_u16_sdwa s[12:13], v16, s4 src0_sel:BYTE_3 src1_sel:DWORD
	s_mov_b64 s[4:5], -1
                                        ; implicit-def: $sgpr10
	s_and_saveexec_b64 s[8:9], s[12:13]
; %bb.3162:
	s_mov_b32 s10, 0x7f800001
	s_xor_b64 s[4:5], exec, -1
; %bb.3163:
	s_or_b64 exec, exec, s[8:9]
	s_and_b64 s[4:5], s[4:5], exec
	s_or_saveexec_b64 s[6:7], s[6:7]
	v_mov_b32_e32 v10, s10
	s_xor_b64 exec, exec, s[6:7]
	s_cbranch_execz .LBB24_1114
.LBB24_3164:
	v_mov_b32_e32 v10, 0
	v_cmp_ne_u16_sdwa s[8:9], v16, v10 src0_sel:BYTE_3 src1_sel:DWORD
	s_andn2_b64 s[4:5], s[4:5], exec
	s_and_b64 s[8:9], s[8:9], exec
	s_or_b64 s[4:5], s[4:5], s[8:9]
	s_or_b64 exec, exec, s[6:7]
	s_and_saveexec_b64 s[6:7], s[4:5]
	s_cbranch_execnz .LBB24_1115
	s_branch .LBB24_1116
.LBB24_3165:
	s_movk_i32 s4, 0x80
	v_cmp_eq_u16_sdwa s[12:13], v12, s4 src0_sel:BYTE_3 src1_sel:DWORD
	s_mov_b64 s[4:5], -1
                                        ; implicit-def: $sgpr10
	s_and_saveexec_b64 s[8:9], s[12:13]
; %bb.3166:
	s_mov_b32 s10, 0x7f800001
	s_xor_b64 s[4:5], exec, -1
; %bb.3167:
	s_or_b64 exec, exec, s[8:9]
	s_and_b64 s[4:5], s[4:5], exec
	s_or_saveexec_b64 s[6:7], s[6:7]
	v_mov_b32_e32 v11, s10
	s_xor_b64 exec, exec, s[6:7]
	s_cbranch_execz .LBB24_1118
.LBB24_3168:
	v_mov_b32_e32 v11, 0
	v_cmp_ne_u16_sdwa s[8:9], v12, v11 src0_sel:BYTE_3 src1_sel:DWORD
	s_andn2_b64 s[4:5], s[4:5], exec
	s_and_b64 s[8:9], s[8:9], exec
	s_or_b64 s[4:5], s[4:5], s[8:9]
	s_or_b64 exec, exec, s[6:7]
	s_and_saveexec_b64 s[6:7], s[4:5]
	s_cbranch_execnz .LBB24_1119
	s_branch .LBB24_1120
.LBB24_3169:
	s_movk_i32 s4, 0x80
	v_cmp_eq_u16_sdwa s[12:13], v17, s4 src0_sel:BYTE_0 src1_sel:DWORD
	s_mov_b64 s[4:5], -1
                                        ; implicit-def: $sgpr10
	s_and_saveexec_b64 s[8:9], s[12:13]
; %bb.3170:
	s_mov_b32 s10, 0x7f800001
	s_xor_b64 s[4:5], exec, -1
; %bb.3171:
	s_or_b64 exec, exec, s[8:9]
	s_and_b64 s[4:5], s[4:5], exec
	s_or_saveexec_b64 s[6:7], s[6:7]
	v_mov_b32_e32 v10, s10
	s_xor_b64 exec, exec, s[6:7]
	s_cbranch_execz .LBB24_1122
.LBB24_3172:
	v_mov_b32_e32 v10, 0
	v_cmp_ne_u16_sdwa s[8:9], v17, v10 src0_sel:BYTE_0 src1_sel:DWORD
	s_andn2_b64 s[4:5], s[4:5], exec
	s_and_b64 s[8:9], s[8:9], exec
	s_or_b64 s[4:5], s[4:5], s[8:9]
	s_or_b64 exec, exec, s[6:7]
	s_and_saveexec_b64 s[6:7], s[4:5]
	s_cbranch_execnz .LBB24_1123
	s_branch .LBB24_1124
.LBB24_3173:
	s_movk_i32 s4, 0x80
	v_cmp_eq_u16_sdwa s[12:13], v13, s4 src0_sel:BYTE_0 src1_sel:DWORD
	s_mov_b64 s[4:5], -1
                                        ; implicit-def: $sgpr10
	s_and_saveexec_b64 s[8:9], s[12:13]
; %bb.3174:
	s_mov_b32 s10, 0x7f800001
	s_xor_b64 s[4:5], exec, -1
; %bb.3175:
	s_or_b64 exec, exec, s[8:9]
	s_and_b64 s[4:5], s[4:5], exec
	s_or_saveexec_b64 s[6:7], s[6:7]
	v_mov_b32_e32 v11, s10
	s_xor_b64 exec, exec, s[6:7]
	s_cbranch_execz .LBB24_1126
.LBB24_3176:
	v_mov_b32_e32 v11, 0
	v_cmp_ne_u16_sdwa s[8:9], v13, v11 src0_sel:BYTE_0 src1_sel:DWORD
	s_andn2_b64 s[4:5], s[4:5], exec
	s_and_b64 s[8:9], s[8:9], exec
	s_or_b64 s[4:5], s[4:5], s[8:9]
	s_or_b64 exec, exec, s[6:7]
	s_and_saveexec_b64 s[6:7], s[4:5]
	s_cbranch_execnz .LBB24_1127
	s_branch .LBB24_1128
.LBB24_3177:
	s_movk_i32 s4, 0x80
	v_cmp_eq_u16_sdwa s[12:13], v11, s4 src0_sel:BYTE_0 src1_sel:DWORD
	s_mov_b64 s[4:5], -1
                                        ; implicit-def: $sgpr10
	s_and_saveexec_b64 s[8:9], s[12:13]
; %bb.3178:
	s_mov_b32 s10, 0x7f800001
	s_xor_b64 s[4:5], exec, -1
; %bb.3179:
	s_or_b64 exec, exec, s[8:9]
	s_and_b64 s[4:5], s[4:5], exec
	s_or_saveexec_b64 s[6:7], s[6:7]
	v_mov_b32_e32 v10, s10
	s_xor_b64 exec, exec, s[6:7]
	s_cbranch_execz .LBB24_1130
.LBB24_3180:
	v_mov_b32_e32 v10, 0
	v_cmp_ne_u16_sdwa s[8:9], v11, v10 src0_sel:BYTE_0 src1_sel:DWORD
	s_andn2_b64 s[4:5], s[4:5], exec
	s_and_b64 s[8:9], s[8:9], exec
	s_or_b64 s[4:5], s[4:5], s[8:9]
	s_or_b64 exec, exec, s[6:7]
	s_and_saveexec_b64 s[6:7], s[4:5]
	s_cbranch_execnz .LBB24_1131
	s_branch .LBB24_1132
.LBB24_3181:
	s_movk_i32 s4, 0x80
	v_cmp_eq_u16_sdwa s[12:13], v11, s4 src0_sel:BYTE_0 src1_sel:DWORD
	s_mov_b64 s[4:5], -1
                                        ; implicit-def: $sgpr10
	s_and_saveexec_b64 s[8:9], s[12:13]
; %bb.3182:
	s_mov_b32 s10, 0x7f800001
	s_xor_b64 s[4:5], exec, -1
; %bb.3183:
	s_or_b64 exec, exec, s[8:9]
	s_and_b64 s[4:5], s[4:5], exec
	s_or_saveexec_b64 s[6:7], s[6:7]
	v_mov_b32_e32 v12, s10
	s_xor_b64 exec, exec, s[6:7]
	s_cbranch_execz .LBB24_1134
.LBB24_3184:
	v_mov_b32_e32 v12, 0
	v_cmp_ne_u16_sdwa s[8:9], v11, v12 src0_sel:BYTE_0 src1_sel:DWORD
	s_andn2_b64 s[4:5], s[4:5], exec
	s_and_b64 s[8:9], s[8:9], exec
	s_or_b64 s[4:5], s[4:5], s[8:9]
	s_or_b64 exec, exec, s[6:7]
	s_and_saveexec_b64 s[6:7], s[4:5]
	s_cbranch_execnz .LBB24_1135
	s_branch .LBB24_1136
.LBB24_3185:
	s_movk_i32 s4, 0x80
	v_cmp_eq_u16_e32 vcc, s4, v11
	s_mov_b64 s[4:5], -1
                                        ; implicit-def: $sgpr10
	s_and_saveexec_b64 s[8:9], vcc
; %bb.3186:
	s_mov_b32 s10, 0x7f800001
	s_xor_b64 s[4:5], exec, -1
; %bb.3187:
	s_or_b64 exec, exec, s[8:9]
	s_and_b64 s[4:5], s[4:5], exec
                                        ; implicit-def: $vgpr11
	s_or_saveexec_b64 s[6:7], s[6:7]
	v_mov_b32_e32 v10, s10
	s_xor_b64 exec, exec, s[6:7]
	s_cbranch_execz .LBB24_1138
.LBB24_3188:
	v_cmp_ne_u16_e32 vcc, 0, v11
	s_andn2_b64 s[4:5], s[4:5], exec
	s_and_b64 s[8:9], vcc, exec
	v_mov_b32_e32 v10, 0
	s_or_b64 s[4:5], s[4:5], s[8:9]
	s_or_b64 exec, exec, s[6:7]
	s_and_saveexec_b64 s[6:7], s[4:5]
	s_cbranch_execnz .LBB24_1139
	s_branch .LBB24_1140
.LBB24_3189:
	s_movk_i32 s4, 0x80
	v_cmp_eq_u16_e32 vcc, s4, v11
	s_mov_b64 s[4:5], -1
                                        ; implicit-def: $sgpr10
	s_and_saveexec_b64 s[8:9], vcc
; %bb.3190:
	s_mov_b32 s10, 0x7f800001
	s_xor_b64 s[4:5], exec, -1
; %bb.3191:
	s_or_b64 exec, exec, s[8:9]
	s_and_b64 s[4:5], s[4:5], exec
                                        ; implicit-def: $vgpr11
	s_or_saveexec_b64 s[6:7], s[6:7]
	v_mov_b32_e32 v12, s10
	s_xor_b64 exec, exec, s[6:7]
	s_cbranch_execz .LBB24_1142
.LBB24_3192:
	v_cmp_ne_u16_e32 vcc, 0, v11
	s_andn2_b64 s[4:5], s[4:5], exec
	s_and_b64 s[8:9], vcc, exec
	v_mov_b32_e32 v12, 0
	s_or_b64 s[4:5], s[4:5], s[8:9]
	s_or_b64 exec, exec, s[6:7]
	s_and_saveexec_b64 s[6:7], s[4:5]
	s_cbranch_execnz .LBB24_1143
	s_branch .LBB24_1144
.LBB24_3193:
	s_movk_i32 s4, 0x80
	v_cmp_eq_u16_sdwa s[12:13], v17, s4 src0_sel:BYTE_3 src1_sel:DWORD
	s_mov_b64 s[4:5], -1
                                        ; implicit-def: $sgpr10
	s_and_saveexec_b64 s[8:9], s[12:13]
; %bb.3194:
	s_mov_b32 s10, 0x7f800001
	s_xor_b64 s[4:5], exec, -1
; %bb.3195:
	s_or_b64 exec, exec, s[8:9]
	s_and_b64 s[4:5], s[4:5], exec
	s_or_saveexec_b64 s[6:7], s[6:7]
	v_mov_b32_e32 v10, s10
	s_xor_b64 exec, exec, s[6:7]
	s_cbranch_execz .LBB24_1146
.LBB24_3196:
	v_mov_b32_e32 v10, 0
	v_cmp_ne_u16_sdwa s[8:9], v17, v10 src0_sel:BYTE_3 src1_sel:DWORD
	s_andn2_b64 s[4:5], s[4:5], exec
	s_and_b64 s[8:9], s[8:9], exec
	s_or_b64 s[4:5], s[4:5], s[8:9]
	s_or_b64 exec, exec, s[6:7]
	s_and_saveexec_b64 s[6:7], s[4:5]
	s_cbranch_execnz .LBB24_1147
	s_branch .LBB24_1148
.LBB24_3197:
	s_movk_i32 s4, 0x80
	v_cmp_eq_u16_sdwa s[12:13], v13, s4 src0_sel:BYTE_3 src1_sel:DWORD
	s_mov_b64 s[4:5], -1
                                        ; implicit-def: $sgpr10
	s_and_saveexec_b64 s[8:9], s[12:13]
; %bb.3198:
	s_mov_b32 s10, 0x7f800001
	s_xor_b64 s[4:5], exec, -1
; %bb.3199:
	s_or_b64 exec, exec, s[8:9]
	s_and_b64 s[4:5], s[4:5], exec
	s_or_saveexec_b64 s[6:7], s[6:7]
	v_mov_b32_e32 v11, s10
	s_xor_b64 exec, exec, s[6:7]
	s_cbranch_execz .LBB24_1150
.LBB24_3200:
	v_mov_b32_e32 v11, 0
	v_cmp_ne_u16_sdwa s[8:9], v13, v11 src0_sel:BYTE_3 src1_sel:DWORD
	s_andn2_b64 s[4:5], s[4:5], exec
	s_and_b64 s[8:9], s[8:9], exec
	s_or_b64 s[4:5], s[4:5], s[8:9]
	s_or_b64 exec, exec, s[6:7]
	s_and_saveexec_b64 s[6:7], s[4:5]
	s_cbranch_execnz .LBB24_1151
	s_branch .LBB24_1152
.LBB24_3201:
	s_movk_i32 s4, 0x80
	v_cmp_eq_u16_sdwa s[12:13], v6, s4 src0_sel:BYTE_0 src1_sel:DWORD
	s_mov_b64 s[4:5], -1
                                        ; implicit-def: $sgpr10
	s_and_saveexec_b64 s[8:9], s[12:13]
; %bb.3202:
	s_mov_b32 s10, 0x7f800001
	s_xor_b64 s[4:5], exec, -1
; %bb.3203:
	s_or_b64 exec, exec, s[8:9]
	s_and_b64 s[4:5], s[4:5], exec
	s_or_saveexec_b64 s[6:7], s[6:7]
	v_mov_b32_e32 v10, s10
	s_xor_b64 exec, exec, s[6:7]
	s_cbranch_execz .LBB24_1154
.LBB24_3204:
	v_mov_b32_e32 v10, 0
	v_cmp_ne_u16_sdwa s[8:9], v6, v10 src0_sel:BYTE_0 src1_sel:DWORD
	s_andn2_b64 s[4:5], s[4:5], exec
	s_and_b64 s[8:9], s[8:9], exec
	s_or_b64 s[4:5], s[4:5], s[8:9]
	s_or_b64 exec, exec, s[6:7]
	s_and_saveexec_b64 s[6:7], s[4:5]
	s_cbranch_execnz .LBB24_1155
	s_branch .LBB24_1156
.LBB24_3205:
	s_movk_i32 s4, 0x80
	v_cmp_eq_u16_sdwa s[12:13], v2, s4 src0_sel:BYTE_0 src1_sel:DWORD
	s_mov_b64 s[4:5], -1
                                        ; implicit-def: $sgpr10
	s_and_saveexec_b64 s[8:9], s[12:13]
; %bb.3206:
	s_mov_b32 s10, 0x7f800001
	s_xor_b64 s[4:5], exec, -1
; %bb.3207:
	s_or_b64 exec, exec, s[8:9]
	s_and_b64 s[4:5], s[4:5], exec
	s_or_saveexec_b64 s[6:7], s[6:7]
	v_mov_b32_e32 v11, s10
	s_xor_b64 exec, exec, s[6:7]
	s_cbranch_execz .LBB24_1158
.LBB24_3208:
	v_mov_b32_e32 v11, 0
	v_cmp_ne_u16_sdwa s[8:9], v2, v11 src0_sel:BYTE_0 src1_sel:DWORD
	s_andn2_b64 s[4:5], s[4:5], exec
	s_and_b64 s[8:9], s[8:9], exec
	s_or_b64 s[4:5], s[4:5], s[8:9]
	s_or_b64 exec, exec, s[6:7]
	s_and_saveexec_b64 s[6:7], s[4:5]
	s_cbranch_execnz .LBB24_1159
	s_branch .LBB24_1160
.LBB24_3209:
	s_movk_i32 s4, 0x80
	v_cmp_eq_u16_sdwa s[12:13], v11, s4 src0_sel:BYTE_0 src1_sel:DWORD
	s_mov_b64 s[4:5], -1
                                        ; implicit-def: $sgpr10
	s_and_saveexec_b64 s[8:9], s[12:13]
; %bb.3210:
	s_mov_b32 s10, 0x7f800001
	s_xor_b64 s[4:5], exec, -1
; %bb.3211:
	s_or_b64 exec, exec, s[8:9]
	s_and_b64 s[4:5], s[4:5], exec
	s_or_saveexec_b64 s[6:7], s[6:7]
	v_mov_b32_e32 v10, s10
	s_xor_b64 exec, exec, s[6:7]
	s_cbranch_execz .LBB24_1162
.LBB24_3212:
	v_mov_b32_e32 v10, 0
	v_cmp_ne_u16_sdwa s[8:9], v11, v10 src0_sel:BYTE_0 src1_sel:DWORD
	s_andn2_b64 s[4:5], s[4:5], exec
	s_and_b64 s[8:9], s[8:9], exec
	s_or_b64 s[4:5], s[4:5], s[8:9]
	s_or_b64 exec, exec, s[6:7]
	s_and_saveexec_b64 s[6:7], s[4:5]
	s_cbranch_execnz .LBB24_1163
	s_branch .LBB24_1164
.LBB24_3213:
	s_movk_i32 s4, 0x80
	v_cmp_eq_u16_sdwa s[12:13], v11, s4 src0_sel:BYTE_0 src1_sel:DWORD
	s_mov_b64 s[4:5], -1
                                        ; implicit-def: $sgpr10
	s_and_saveexec_b64 s[8:9], s[12:13]
; %bb.3214:
	s_mov_b32 s10, 0x7f800001
	s_xor_b64 s[4:5], exec, -1
; %bb.3215:
	s_or_b64 exec, exec, s[8:9]
	s_and_b64 s[4:5], s[4:5], exec
	s_or_saveexec_b64 s[6:7], s[6:7]
	v_mov_b32_e32 v12, s10
	s_xor_b64 exec, exec, s[6:7]
	s_cbranch_execz .LBB24_1166
.LBB24_3216:
	v_mov_b32_e32 v12, 0
	v_cmp_ne_u16_sdwa s[8:9], v11, v12 src0_sel:BYTE_0 src1_sel:DWORD
	s_andn2_b64 s[4:5], s[4:5], exec
	s_and_b64 s[8:9], s[8:9], exec
	s_or_b64 s[4:5], s[4:5], s[8:9]
	s_or_b64 exec, exec, s[6:7]
	s_and_saveexec_b64 s[6:7], s[4:5]
	s_cbranch_execnz .LBB24_1167
	s_branch .LBB24_1168
.LBB24_3217:
	s_movk_i32 s4, 0x80
	v_cmp_eq_u16_e32 vcc, s4, v11
	s_mov_b64 s[4:5], -1
                                        ; implicit-def: $sgpr10
	s_and_saveexec_b64 s[8:9], vcc
; %bb.3218:
	s_mov_b32 s10, 0x7f800001
	s_xor_b64 s[4:5], exec, -1
; %bb.3219:
	s_or_b64 exec, exec, s[8:9]
	s_and_b64 s[4:5], s[4:5], exec
                                        ; implicit-def: $vgpr11
	s_or_saveexec_b64 s[6:7], s[6:7]
	v_mov_b32_e32 v10, s10
	s_xor_b64 exec, exec, s[6:7]
	s_cbranch_execz .LBB24_1170
.LBB24_3220:
	v_cmp_ne_u16_e32 vcc, 0, v11
	s_andn2_b64 s[4:5], s[4:5], exec
	s_and_b64 s[8:9], vcc, exec
	v_mov_b32_e32 v10, 0
	s_or_b64 s[4:5], s[4:5], s[8:9]
	s_or_b64 exec, exec, s[6:7]
	s_and_saveexec_b64 s[6:7], s[4:5]
	s_cbranch_execnz .LBB24_1171
	s_branch .LBB24_1172
.LBB24_3221:
	s_movk_i32 s4, 0x80
	v_cmp_eq_u16_e32 vcc, s4, v11
	s_mov_b64 s[4:5], -1
                                        ; implicit-def: $sgpr10
	s_and_saveexec_b64 s[8:9], vcc
; %bb.3222:
	s_mov_b32 s10, 0x7f800001
	s_xor_b64 s[4:5], exec, -1
; %bb.3223:
	s_or_b64 exec, exec, s[8:9]
	s_and_b64 s[4:5], s[4:5], exec
                                        ; implicit-def: $vgpr11
	s_or_saveexec_b64 s[6:7], s[6:7]
	v_mov_b32_e32 v12, s10
	s_xor_b64 exec, exec, s[6:7]
	s_cbranch_execz .LBB24_1174
.LBB24_3224:
	v_cmp_ne_u16_e32 vcc, 0, v11
	s_andn2_b64 s[4:5], s[4:5], exec
	s_and_b64 s[8:9], vcc, exec
	v_mov_b32_e32 v12, 0
	s_or_b64 s[4:5], s[4:5], s[8:9]
	s_or_b64 exec, exec, s[6:7]
	s_and_saveexec_b64 s[6:7], s[4:5]
	s_cbranch_execnz .LBB24_1175
	s_branch .LBB24_1176
.LBB24_3225:
	s_movk_i32 s4, 0x80
	v_cmp_eq_u16_sdwa s[12:13], v6, s4 src0_sel:BYTE_3 src1_sel:DWORD
	s_mov_b64 s[4:5], -1
                                        ; implicit-def: $sgpr10
	s_and_saveexec_b64 s[8:9], s[12:13]
; %bb.3226:
	s_mov_b32 s10, 0x7f800001
	s_xor_b64 s[4:5], exec, -1
; %bb.3227:
	s_or_b64 exec, exec, s[8:9]
	s_and_b64 s[4:5], s[4:5], exec
	s_or_saveexec_b64 s[6:7], s[6:7]
	v_mov_b32_e32 v10, s10
	s_xor_b64 exec, exec, s[6:7]
	s_cbranch_execz .LBB24_1178
.LBB24_3228:
	v_mov_b32_e32 v10, 0
	v_cmp_ne_u16_sdwa s[8:9], v6, v10 src0_sel:BYTE_3 src1_sel:DWORD
	s_andn2_b64 s[4:5], s[4:5], exec
	s_and_b64 s[8:9], s[8:9], exec
	s_or_b64 s[4:5], s[4:5], s[8:9]
	s_or_b64 exec, exec, s[6:7]
	s_and_saveexec_b64 s[6:7], s[4:5]
	s_cbranch_execnz .LBB24_1179
	s_branch .LBB24_1180
.LBB24_3229:
	s_movk_i32 s4, 0x80
	v_cmp_eq_u16_sdwa s[12:13], v2, s4 src0_sel:BYTE_3 src1_sel:DWORD
	s_mov_b64 s[4:5], -1
                                        ; implicit-def: $sgpr10
	s_and_saveexec_b64 s[8:9], s[12:13]
; %bb.3230:
	s_mov_b32 s10, 0x7f800001
	s_xor_b64 s[4:5], exec, -1
; %bb.3231:
	s_or_b64 exec, exec, s[8:9]
	s_and_b64 s[4:5], s[4:5], exec
	s_or_saveexec_b64 s[6:7], s[6:7]
	v_mov_b32_e32 v6, s10
	s_xor_b64 exec, exec, s[6:7]
	s_cbranch_execz .LBB24_1182
.LBB24_3232:
	v_mov_b32_e32 v6, 0
	v_cmp_ne_u16_sdwa s[8:9], v2, v6 src0_sel:BYTE_3 src1_sel:DWORD
	s_andn2_b64 s[4:5], s[4:5], exec
	s_and_b64 s[8:9], s[8:9], exec
	s_or_b64 s[4:5], s[4:5], s[8:9]
	s_or_b64 exec, exec, s[6:7]
	s_and_saveexec_b64 s[6:7], s[4:5]
	s_cbranch_execnz .LBB24_1183
	s_branch .LBB24_1184
.LBB24_3233:
	s_movk_i32 s4, 0x80
	v_cmp_eq_u16_sdwa s[12:13], v7, s4 src0_sel:BYTE_0 src1_sel:DWORD
	s_mov_b64 s[4:5], -1
                                        ; implicit-def: $sgpr10
	s_and_saveexec_b64 s[8:9], s[12:13]
; %bb.3234:
	s_mov_b32 s10, 0x7f800001
	s_xor_b64 s[4:5], exec, -1
; %bb.3235:
	s_or_b64 exec, exec, s[8:9]
	s_and_b64 s[4:5], s[4:5], exec
	s_or_saveexec_b64 s[6:7], s[6:7]
	v_mov_b32_e32 v2, s10
	s_xor_b64 exec, exec, s[6:7]
	s_cbranch_execz .LBB24_1186
.LBB24_3236:
	v_mov_b32_e32 v2, 0
	v_cmp_ne_u16_sdwa s[8:9], v7, v2 src0_sel:BYTE_0 src1_sel:DWORD
	s_andn2_b64 s[4:5], s[4:5], exec
	s_and_b64 s[8:9], s[8:9], exec
	s_or_b64 s[4:5], s[4:5], s[8:9]
	s_or_b64 exec, exec, s[6:7]
	s_and_saveexec_b64 s[6:7], s[4:5]
	s_cbranch_execnz .LBB24_1187
	s_branch .LBB24_1188
.LBB24_3237:
	s_movk_i32 s4, 0x80
	v_cmp_eq_u16_sdwa s[12:13], v3, s4 src0_sel:BYTE_0 src1_sel:DWORD
	s_mov_b64 s[4:5], -1
                                        ; implicit-def: $sgpr10
	s_and_saveexec_b64 s[8:9], s[12:13]
; %bb.3238:
	s_mov_b32 s10, 0x7f800001
	s_xor_b64 s[4:5], exec, -1
; %bb.3239:
	s_or_b64 exec, exec, s[8:9]
	s_and_b64 s[4:5], s[4:5], exec
	s_or_saveexec_b64 s[6:7], s[6:7]
	v_mov_b32_e32 v6, s10
	s_xor_b64 exec, exec, s[6:7]
	s_cbranch_execz .LBB24_1190
.LBB24_3240:
	v_mov_b32_e32 v6, 0
	v_cmp_ne_u16_sdwa s[8:9], v3, v6 src0_sel:BYTE_0 src1_sel:DWORD
	s_andn2_b64 s[4:5], s[4:5], exec
	s_and_b64 s[8:9], s[8:9], exec
	s_or_b64 s[4:5], s[4:5], s[8:9]
	s_or_b64 exec, exec, s[6:7]
	s_and_saveexec_b64 s[6:7], s[4:5]
	s_cbranch_execnz .LBB24_1191
	s_branch .LBB24_1192
.LBB24_3241:
	s_movk_i32 s4, 0x80
	v_cmp_eq_u16_sdwa s[12:13], v6, s4 src0_sel:BYTE_0 src1_sel:DWORD
	s_mov_b64 s[4:5], -1
                                        ; implicit-def: $sgpr10
	s_and_saveexec_b64 s[8:9], s[12:13]
; %bb.3242:
	s_mov_b32 s10, 0x7f800001
	s_xor_b64 s[4:5], exec, -1
; %bb.3243:
	s_or_b64 exec, exec, s[8:9]
	s_and_b64 s[4:5], s[4:5], exec
	s_or_saveexec_b64 s[6:7], s[6:7]
	v_mov_b32_e32 v2, s10
	s_xor_b64 exec, exec, s[6:7]
	s_cbranch_execz .LBB24_1194
.LBB24_3244:
	v_mov_b32_e32 v2, 0
	v_cmp_ne_u16_sdwa s[8:9], v6, v2 src0_sel:BYTE_0 src1_sel:DWORD
	s_andn2_b64 s[4:5], s[4:5], exec
	s_and_b64 s[8:9], s[8:9], exec
	s_or_b64 s[4:5], s[4:5], s[8:9]
	s_or_b64 exec, exec, s[6:7]
	s_and_saveexec_b64 s[6:7], s[4:5]
	s_cbranch_execnz .LBB24_1195
	s_branch .LBB24_1196
.LBB24_3245:
	s_movk_i32 s4, 0x80
	v_cmp_eq_u16_sdwa s[12:13], v6, s4 src0_sel:BYTE_0 src1_sel:DWORD
	s_mov_b64 s[4:5], -1
                                        ; implicit-def: $sgpr10
	s_and_saveexec_b64 s[8:9], s[12:13]
; %bb.3246:
	s_mov_b32 s10, 0x7f800001
	s_xor_b64 s[4:5], exec, -1
; %bb.3247:
	s_or_b64 exec, exec, s[8:9]
	s_and_b64 s[4:5], s[4:5], exec
	s_or_saveexec_b64 s[6:7], s[6:7]
	v_mov_b32_e32 v10, s10
	s_xor_b64 exec, exec, s[6:7]
	s_cbranch_execz .LBB24_1198
.LBB24_3248:
	v_mov_b32_e32 v10, 0
	v_cmp_ne_u16_sdwa s[8:9], v6, v10 src0_sel:BYTE_0 src1_sel:DWORD
	s_andn2_b64 s[4:5], s[4:5], exec
	s_and_b64 s[8:9], s[8:9], exec
	s_or_b64 s[4:5], s[4:5], s[8:9]
	s_or_b64 exec, exec, s[6:7]
	s_and_saveexec_b64 s[6:7], s[4:5]
	s_cbranch_execnz .LBB24_1199
	s_branch .LBB24_1200
.LBB24_3249:
	s_movk_i32 s4, 0x80
	v_cmp_eq_u16_e32 vcc, s4, v6
	s_mov_b64 s[4:5], -1
                                        ; implicit-def: $sgpr10
	s_and_saveexec_b64 s[8:9], vcc
; %bb.3250:
	s_mov_b32 s10, 0x7f800001
	s_xor_b64 s[4:5], exec, -1
; %bb.3251:
	s_or_b64 exec, exec, s[8:9]
	s_and_b64 s[4:5], s[4:5], exec
                                        ; implicit-def: $vgpr6
	s_or_saveexec_b64 s[6:7], s[6:7]
	v_mov_b32_e32 v2, s10
	s_xor_b64 exec, exec, s[6:7]
	s_cbranch_execz .LBB24_1202
.LBB24_3252:
	v_cmp_ne_u16_e32 vcc, 0, v6
	s_andn2_b64 s[4:5], s[4:5], exec
	s_and_b64 s[8:9], vcc, exec
	v_mov_b32_e32 v2, 0
	s_or_b64 s[4:5], s[4:5], s[8:9]
	s_or_b64 exec, exec, s[6:7]
	s_and_saveexec_b64 s[6:7], s[4:5]
	s_cbranch_execnz .LBB24_1203
	s_branch .LBB24_1204
.LBB24_3253:
	s_movk_i32 s4, 0x80
	v_cmp_eq_u16_e32 vcc, s4, v6
	s_mov_b64 s[4:5], -1
                                        ; implicit-def: $sgpr10
	s_and_saveexec_b64 s[8:9], vcc
; %bb.3254:
	s_mov_b32 s10, 0x7f800001
	s_xor_b64 s[4:5], exec, -1
; %bb.3255:
	s_or_b64 exec, exec, s[8:9]
	s_and_b64 s[4:5], s[4:5], exec
                                        ; implicit-def: $vgpr6
	s_or_saveexec_b64 s[6:7], s[6:7]
	v_mov_b32_e32 v10, s10
	s_xor_b64 exec, exec, s[6:7]
	s_cbranch_execz .LBB24_1206
.LBB24_3256:
	v_cmp_ne_u16_e32 vcc, 0, v6
	s_andn2_b64 s[4:5], s[4:5], exec
	s_and_b64 s[8:9], vcc, exec
	v_mov_b32_e32 v10, 0
	s_or_b64 s[4:5], s[4:5], s[8:9]
	s_or_b64 exec, exec, s[6:7]
	s_and_saveexec_b64 s[6:7], s[4:5]
	s_cbranch_execnz .LBB24_1207
	s_branch .LBB24_1208
.LBB24_3257:
	s_movk_i32 s4, 0x80
	v_cmp_eq_u16_sdwa s[12:13], v7, s4 src0_sel:BYTE_3 src1_sel:DWORD
	s_mov_b64 s[4:5], -1
                                        ; implicit-def: $sgpr10
	s_and_saveexec_b64 s[8:9], s[12:13]
; %bb.3258:
	s_mov_b32 s10, 0x7f800001
	s_xor_b64 s[4:5], exec, -1
; %bb.3259:
	s_or_b64 exec, exec, s[8:9]
	s_and_b64 s[4:5], s[4:5], exec
	s_or_saveexec_b64 s[6:7], s[6:7]
	v_mov_b32_e32 v2, s10
	s_xor_b64 exec, exec, s[6:7]
	s_cbranch_execz .LBB24_1210
.LBB24_3260:
	v_mov_b32_e32 v2, 0
	v_cmp_ne_u16_sdwa s[8:9], v7, v2 src0_sel:BYTE_3 src1_sel:DWORD
	s_andn2_b64 s[4:5], s[4:5], exec
	s_and_b64 s[8:9], s[8:9], exec
	s_or_b64 s[4:5], s[4:5], s[8:9]
	s_or_b64 exec, exec, s[6:7]
	s_and_saveexec_b64 s[6:7], s[4:5]
	s_cbranch_execnz .LBB24_1211
	s_branch .LBB24_1212
.LBB24_3261:
	s_movk_i32 s4, 0x80
	v_cmp_eq_u16_sdwa s[12:13], v3, s4 src0_sel:BYTE_3 src1_sel:DWORD
	s_mov_b64 s[4:5], -1
                                        ; implicit-def: $sgpr10
	s_and_saveexec_b64 s[8:9], s[12:13]
; %bb.3262:
	s_mov_b32 s10, 0x7f800001
	s_xor_b64 s[4:5], exec, -1
; %bb.3263:
	s_or_b64 exec, exec, s[8:9]
	s_and_b64 s[4:5], s[4:5], exec
	s_or_saveexec_b64 s[6:7], s[6:7]
	v_mov_b32_e32 v6, s10
	s_xor_b64 exec, exec, s[6:7]
	s_cbranch_execz .LBB24_1214
.LBB24_3264:
	v_mov_b32_e32 v6, 0
	v_cmp_ne_u16_sdwa s[8:9], v3, v6 src0_sel:BYTE_3 src1_sel:DWORD
	s_andn2_b64 s[4:5], s[4:5], exec
	s_and_b64 s[8:9], s[8:9], exec
	s_or_b64 s[4:5], s[4:5], s[8:9]
	s_or_b64 exec, exec, s[6:7]
	s_and_saveexec_b64 s[6:7], s[4:5]
	s_cbranch_execnz .LBB24_1215
	s_branch .LBB24_1216
.LBB24_3265:
	s_movk_i32 s4, 0x80
	v_cmp_eq_u16_sdwa s[12:13], v8, s4 src0_sel:BYTE_0 src1_sel:DWORD
	s_mov_b64 s[4:5], -1
                                        ; implicit-def: $sgpr10
	s_and_saveexec_b64 s[8:9], s[12:13]
; %bb.3266:
	s_mov_b32 s10, 0x7f800001
	s_xor_b64 s[4:5], exec, -1
; %bb.3267:
	s_or_b64 exec, exec, s[8:9]
	s_and_b64 s[4:5], s[4:5], exec
	s_or_saveexec_b64 s[6:7], s[6:7]
	v_mov_b32_e32 v2, s10
	s_xor_b64 exec, exec, s[6:7]
	s_cbranch_execz .LBB24_1218
.LBB24_3268:
	v_mov_b32_e32 v2, 0
	v_cmp_ne_u16_sdwa s[8:9], v8, v2 src0_sel:BYTE_0 src1_sel:DWORD
	s_andn2_b64 s[4:5], s[4:5], exec
	s_and_b64 s[8:9], s[8:9], exec
	s_or_b64 s[4:5], s[4:5], s[8:9]
	s_or_b64 exec, exec, s[6:7]
	s_and_saveexec_b64 s[6:7], s[4:5]
	s_cbranch_execnz .LBB24_1219
	s_branch .LBB24_1220
.LBB24_3269:
	s_movk_i32 s4, 0x80
	v_cmp_eq_u16_sdwa s[12:13], v4, s4 src0_sel:BYTE_0 src1_sel:DWORD
	s_mov_b64 s[4:5], -1
                                        ; implicit-def: $sgpr10
	s_and_saveexec_b64 s[8:9], s[12:13]
; %bb.3270:
	s_mov_b32 s10, 0x7f800001
	s_xor_b64 s[4:5], exec, -1
; %bb.3271:
	s_or_b64 exec, exec, s[8:9]
	s_and_b64 s[4:5], s[4:5], exec
	s_or_saveexec_b64 s[6:7], s[6:7]
	v_mov_b32_e32 v3, s10
	s_xor_b64 exec, exec, s[6:7]
	s_cbranch_execz .LBB24_1222
.LBB24_3272:
	v_mov_b32_e32 v3, 0
	v_cmp_ne_u16_sdwa s[8:9], v4, v3 src0_sel:BYTE_0 src1_sel:DWORD
	s_andn2_b64 s[4:5], s[4:5], exec
	s_and_b64 s[8:9], s[8:9], exec
	s_or_b64 s[4:5], s[4:5], s[8:9]
	s_or_b64 exec, exec, s[6:7]
	s_and_saveexec_b64 s[6:7], s[4:5]
	s_cbranch_execnz .LBB24_1223
	s_branch .LBB24_1224
.LBB24_3273:
	s_movk_i32 s4, 0x80
	v_cmp_eq_u16_sdwa s[12:13], v3, s4 src0_sel:BYTE_0 src1_sel:DWORD
	s_mov_b64 s[4:5], -1
                                        ; implicit-def: $sgpr10
	s_and_saveexec_b64 s[8:9], s[12:13]
; %bb.3274:
	s_mov_b32 s10, 0x7f800001
	s_xor_b64 s[4:5], exec, -1
; %bb.3275:
	s_or_b64 exec, exec, s[8:9]
	s_and_b64 s[4:5], s[4:5], exec
	s_or_saveexec_b64 s[6:7], s[6:7]
	v_mov_b32_e32 v2, s10
	s_xor_b64 exec, exec, s[6:7]
	s_cbranch_execz .LBB24_1226
.LBB24_3276:
	v_mov_b32_e32 v2, 0
	v_cmp_ne_u16_sdwa s[8:9], v3, v2 src0_sel:BYTE_0 src1_sel:DWORD
	s_andn2_b64 s[4:5], s[4:5], exec
	s_and_b64 s[8:9], s[8:9], exec
	s_or_b64 s[4:5], s[4:5], s[8:9]
	s_or_b64 exec, exec, s[6:7]
	s_and_saveexec_b64 s[6:7], s[4:5]
	s_cbranch_execnz .LBB24_1227
	s_branch .LBB24_1228
.LBB24_3277:
	s_movk_i32 s4, 0x80
	v_cmp_eq_u16_sdwa s[12:13], v3, s4 src0_sel:BYTE_0 src1_sel:DWORD
	s_mov_b64 s[4:5], -1
                                        ; implicit-def: $sgpr10
	s_and_saveexec_b64 s[8:9], s[12:13]
; %bb.3278:
	s_mov_b32 s10, 0x7f800001
	s_xor_b64 s[4:5], exec, -1
; %bb.3279:
	s_or_b64 exec, exec, s[8:9]
	s_and_b64 s[4:5], s[4:5], exec
	s_or_saveexec_b64 s[6:7], s[6:7]
	v_mov_b32_e32 v6, s10
	s_xor_b64 exec, exec, s[6:7]
	s_cbranch_execz .LBB24_1230
.LBB24_3280:
	v_mov_b32_e32 v6, 0
	v_cmp_ne_u16_sdwa s[8:9], v3, v6 src0_sel:BYTE_0 src1_sel:DWORD
	s_andn2_b64 s[4:5], s[4:5], exec
	s_and_b64 s[8:9], s[8:9], exec
	s_or_b64 s[4:5], s[4:5], s[8:9]
	s_or_b64 exec, exec, s[6:7]
	s_and_saveexec_b64 s[6:7], s[4:5]
	s_cbranch_execnz .LBB24_1231
	s_branch .LBB24_1232
.LBB24_3281:
	s_movk_i32 s4, 0x80
	v_cmp_eq_u16_e32 vcc, s4, v3
	s_mov_b64 s[4:5], -1
                                        ; implicit-def: $sgpr10
	s_and_saveexec_b64 s[8:9], vcc
; %bb.3282:
	s_mov_b32 s10, 0x7f800001
	s_xor_b64 s[4:5], exec, -1
; %bb.3283:
	s_or_b64 exec, exec, s[8:9]
	s_and_b64 s[4:5], s[4:5], exec
                                        ; implicit-def: $vgpr3
	s_or_saveexec_b64 s[6:7], s[6:7]
	v_mov_b32_e32 v2, s10
	s_xor_b64 exec, exec, s[6:7]
	s_cbranch_execz .LBB24_1234
.LBB24_3284:
	v_cmp_ne_u16_e32 vcc, 0, v3
	s_andn2_b64 s[4:5], s[4:5], exec
	s_and_b64 s[8:9], vcc, exec
	v_mov_b32_e32 v2, 0
	s_or_b64 s[4:5], s[4:5], s[8:9]
	s_or_b64 exec, exec, s[6:7]
	s_and_saveexec_b64 s[6:7], s[4:5]
	s_cbranch_execnz .LBB24_1235
	s_branch .LBB24_1236
.LBB24_3285:
	s_movk_i32 s4, 0x80
	v_cmp_eq_u16_e32 vcc, s4, v3
	s_mov_b64 s[4:5], -1
                                        ; implicit-def: $sgpr10
	s_and_saveexec_b64 s[8:9], vcc
; %bb.3286:
	s_mov_b32 s10, 0x7f800001
	s_xor_b64 s[4:5], exec, -1
; %bb.3287:
	s_or_b64 exec, exec, s[8:9]
	s_and_b64 s[4:5], s[4:5], exec
                                        ; implicit-def: $vgpr3
	s_or_saveexec_b64 s[6:7], s[6:7]
	v_mov_b32_e32 v6, s10
	s_xor_b64 exec, exec, s[6:7]
	s_cbranch_execz .LBB24_1238
.LBB24_3288:
	v_cmp_ne_u16_e32 vcc, 0, v3
	s_andn2_b64 s[4:5], s[4:5], exec
	s_and_b64 s[8:9], vcc, exec
	v_mov_b32_e32 v6, 0
	s_or_b64 s[4:5], s[4:5], s[8:9]
	s_or_b64 exec, exec, s[6:7]
	s_and_saveexec_b64 s[6:7], s[4:5]
	s_cbranch_execnz .LBB24_1239
	s_branch .LBB24_1240
.LBB24_3289:
	s_movk_i32 s4, 0x80
	v_cmp_eq_u16_sdwa s[12:13], v8, s4 src0_sel:BYTE_3 src1_sel:DWORD
	s_mov_b64 s[4:5], -1
                                        ; implicit-def: $sgpr10
	s_and_saveexec_b64 s[8:9], s[12:13]
; %bb.3290:
	s_mov_b32 s10, 0x7f800001
	s_xor_b64 s[4:5], exec, -1
; %bb.3291:
	s_or_b64 exec, exec, s[8:9]
	s_and_b64 s[4:5], s[4:5], exec
	s_or_saveexec_b64 s[6:7], s[6:7]
	v_mov_b32_e32 v2, s10
	s_xor_b64 exec, exec, s[6:7]
	s_cbranch_execz .LBB24_1242
.LBB24_3292:
	v_mov_b32_e32 v2, 0
	v_cmp_ne_u16_sdwa s[8:9], v8, v2 src0_sel:BYTE_3 src1_sel:DWORD
	s_andn2_b64 s[4:5], s[4:5], exec
	s_and_b64 s[8:9], s[8:9], exec
	s_or_b64 s[4:5], s[4:5], s[8:9]
	s_or_b64 exec, exec, s[6:7]
	s_and_saveexec_b64 s[6:7], s[4:5]
	s_cbranch_execnz .LBB24_1243
	s_branch .LBB24_1244
.LBB24_3293:
	s_movk_i32 s4, 0x80
	v_cmp_eq_u16_sdwa s[12:13], v4, s4 src0_sel:BYTE_3 src1_sel:DWORD
	s_mov_b64 s[4:5], -1
                                        ; implicit-def: $sgpr10
	s_and_saveexec_b64 s[8:9], s[12:13]
; %bb.3294:
	s_mov_b32 s10, 0x7f800001
	s_xor_b64 s[4:5], exec, -1
; %bb.3295:
	s_or_b64 exec, exec, s[8:9]
	s_and_b64 s[4:5], s[4:5], exec
	s_or_saveexec_b64 s[6:7], s[6:7]
	v_mov_b32_e32 v3, s10
	s_xor_b64 exec, exec, s[6:7]
	s_cbranch_execz .LBB24_1246
.LBB24_3296:
	v_mov_b32_e32 v3, 0
	v_cmp_ne_u16_sdwa s[8:9], v4, v3 src0_sel:BYTE_3 src1_sel:DWORD
	s_andn2_b64 s[4:5], s[4:5], exec
	s_and_b64 s[8:9], s[8:9], exec
	s_or_b64 s[4:5], s[4:5], s[8:9]
	s_or_b64 exec, exec, s[6:7]
	s_and_saveexec_b64 s[6:7], s[4:5]
	s_cbranch_execnz .LBB24_1247
	s_branch .LBB24_1248
.LBB24_3297:
	s_movk_i32 s4, 0x80
	v_cmp_eq_u16_sdwa s[12:13], v9, s4 src0_sel:BYTE_0 src1_sel:DWORD
	s_mov_b64 s[4:5], -1
                                        ; implicit-def: $sgpr10
	s_and_saveexec_b64 s[8:9], s[12:13]
; %bb.3298:
	s_mov_b32 s10, 0x7f800001
	s_xor_b64 s[4:5], exec, -1
; %bb.3299:
	s_or_b64 exec, exec, s[8:9]
	s_and_b64 s[4:5], s[4:5], exec
	s_or_saveexec_b64 s[6:7], s[6:7]
	v_mov_b32_e32 v2, s10
	s_xor_b64 exec, exec, s[6:7]
	s_cbranch_execz .LBB24_1250
.LBB24_3300:
	v_mov_b32_e32 v2, 0
	v_cmp_ne_u16_sdwa s[8:9], v9, v2 src0_sel:BYTE_0 src1_sel:DWORD
	s_andn2_b64 s[4:5], s[4:5], exec
	s_and_b64 s[8:9], s[8:9], exec
	s_or_b64 s[4:5], s[4:5], s[8:9]
	s_or_b64 exec, exec, s[6:7]
	s_and_saveexec_b64 s[6:7], s[4:5]
	s_cbranch_execnz .LBB24_1251
	s_branch .LBB24_1252
.LBB24_3301:
	s_movk_i32 s4, 0x80
	v_cmp_eq_u16_sdwa s[12:13], v5, s4 src0_sel:BYTE_0 src1_sel:DWORD
	s_mov_b64 s[4:5], -1
                                        ; implicit-def: $sgpr10
	s_and_saveexec_b64 s[8:9], s[12:13]
; %bb.3302:
	s_mov_b32 s10, 0x7f800001
	s_xor_b64 s[4:5], exec, -1
; %bb.3303:
	s_or_b64 exec, exec, s[8:9]
	s_and_b64 s[4:5], s[4:5], exec
	s_or_saveexec_b64 s[6:7], s[6:7]
	v_mov_b32_e32 v3, s10
	s_xor_b64 exec, exec, s[6:7]
	s_cbranch_execz .LBB24_1254
.LBB24_3304:
	v_mov_b32_e32 v3, 0
	v_cmp_ne_u16_sdwa s[8:9], v5, v3 src0_sel:BYTE_0 src1_sel:DWORD
	s_andn2_b64 s[4:5], s[4:5], exec
	s_and_b64 s[8:9], s[8:9], exec
	s_or_b64 s[4:5], s[4:5], s[8:9]
	s_or_b64 exec, exec, s[6:7]
	s_and_saveexec_b64 s[6:7], s[4:5]
	s_cbranch_execnz .LBB24_1255
	s_branch .LBB24_1256
.LBB24_3305:
	s_movk_i32 s4, 0x80
	v_cmp_eq_u16_sdwa s[12:13], v3, s4 src0_sel:BYTE_0 src1_sel:DWORD
	s_mov_b64 s[4:5], -1
                                        ; implicit-def: $sgpr10
	s_and_saveexec_b64 s[8:9], s[12:13]
; %bb.3306:
	s_mov_b32 s10, 0x7f800001
	s_xor_b64 s[4:5], exec, -1
; %bb.3307:
	s_or_b64 exec, exec, s[8:9]
	s_and_b64 s[4:5], s[4:5], exec
	s_or_saveexec_b64 s[6:7], s[6:7]
	v_mov_b32_e32 v2, s10
	s_xor_b64 exec, exec, s[6:7]
	s_cbranch_execz .LBB24_1258
.LBB24_3308:
	v_mov_b32_e32 v2, 0
	v_cmp_ne_u16_sdwa s[8:9], v3, v2 src0_sel:BYTE_0 src1_sel:DWORD
	s_andn2_b64 s[4:5], s[4:5], exec
	s_and_b64 s[8:9], s[8:9], exec
	s_or_b64 s[4:5], s[4:5], s[8:9]
	s_or_b64 exec, exec, s[6:7]
	s_and_saveexec_b64 s[6:7], s[4:5]
	s_cbranch_execnz .LBB24_1259
	s_branch .LBB24_1260
.LBB24_3309:
	s_movk_i32 s4, 0x80
	v_cmp_eq_u16_sdwa s[12:13], v3, s4 src0_sel:BYTE_0 src1_sel:DWORD
	s_mov_b64 s[4:5], -1
                                        ; implicit-def: $sgpr10
	s_and_saveexec_b64 s[8:9], s[12:13]
; %bb.3310:
	s_mov_b32 s10, 0x7f800001
	s_xor_b64 s[4:5], exec, -1
; %bb.3311:
	s_or_b64 exec, exec, s[8:9]
	s_and_b64 s[4:5], s[4:5], exec
	s_or_saveexec_b64 s[6:7], s[6:7]
	v_mov_b32_e32 v4, s10
	s_xor_b64 exec, exec, s[6:7]
	s_cbranch_execz .LBB24_1262
.LBB24_3312:
	v_mov_b32_e32 v4, 0
	v_cmp_ne_u16_sdwa s[8:9], v3, v4 src0_sel:BYTE_0 src1_sel:DWORD
	s_andn2_b64 s[4:5], s[4:5], exec
	s_and_b64 s[8:9], s[8:9], exec
	s_or_b64 s[4:5], s[4:5], s[8:9]
	s_or_b64 exec, exec, s[6:7]
	s_and_saveexec_b64 s[6:7], s[4:5]
	s_cbranch_execnz .LBB24_1263
	s_branch .LBB24_1264
.LBB24_3313:
	s_movk_i32 s4, 0x80
	v_cmp_eq_u16_e32 vcc, s4, v3
	s_mov_b64 s[4:5], -1
                                        ; implicit-def: $sgpr10
	s_and_saveexec_b64 s[8:9], vcc
; %bb.3314:
	s_mov_b32 s10, 0x7f800001
	s_xor_b64 s[4:5], exec, -1
; %bb.3315:
	s_or_b64 exec, exec, s[8:9]
	s_and_b64 s[4:5], s[4:5], exec
                                        ; implicit-def: $vgpr3
	s_or_saveexec_b64 s[6:7], s[6:7]
	v_mov_b32_e32 v2, s10
	s_xor_b64 exec, exec, s[6:7]
	s_cbranch_execz .LBB24_1266
.LBB24_3316:
	v_cmp_ne_u16_e32 vcc, 0, v3
	s_andn2_b64 s[4:5], s[4:5], exec
	s_and_b64 s[8:9], vcc, exec
	v_mov_b32_e32 v2, 0
	s_or_b64 s[4:5], s[4:5], s[8:9]
	s_or_b64 exec, exec, s[6:7]
	s_and_saveexec_b64 s[6:7], s[4:5]
	s_cbranch_execnz .LBB24_1267
	s_branch .LBB24_1268
.LBB24_3317:
	s_movk_i32 s4, 0x80
	v_cmp_eq_u16_e32 vcc, s4, v3
	s_mov_b64 s[4:5], -1
                                        ; implicit-def: $sgpr10
	s_and_saveexec_b64 s[8:9], vcc
; %bb.3318:
	s_mov_b32 s10, 0x7f800001
	s_xor_b64 s[4:5], exec, -1
; %bb.3319:
	s_or_b64 exec, exec, s[8:9]
	s_and_b64 s[4:5], s[4:5], exec
                                        ; implicit-def: $vgpr3
	s_or_saveexec_b64 s[6:7], s[6:7]
	v_mov_b32_e32 v4, s10
	s_xor_b64 exec, exec, s[6:7]
	s_cbranch_execz .LBB24_1270
.LBB24_3320:
	v_cmp_ne_u16_e32 vcc, 0, v3
	s_andn2_b64 s[4:5], s[4:5], exec
	s_and_b64 s[8:9], vcc, exec
	v_mov_b32_e32 v4, 0
	s_or_b64 s[4:5], s[4:5], s[8:9]
	s_or_b64 exec, exec, s[6:7]
	s_and_saveexec_b64 s[6:7], s[4:5]
	s_cbranch_execnz .LBB24_1271
	s_branch .LBB24_1272
.LBB24_3321:
	s_movk_i32 s4, 0x80
	v_cmp_eq_u16_sdwa s[12:13], v9, s4 src0_sel:BYTE_3 src1_sel:DWORD
	s_mov_b64 s[4:5], -1
                                        ; implicit-def: $sgpr10
	s_and_saveexec_b64 s[8:9], s[12:13]
; %bb.3322:
	s_mov_b32 s10, 0x7f800001
	s_xor_b64 s[4:5], exec, -1
; %bb.3323:
	s_or_b64 exec, exec, s[8:9]
	s_and_b64 s[4:5], s[4:5], exec
	s_or_saveexec_b64 s[6:7], s[6:7]
	v_mov_b32_e32 v2, s10
	s_xor_b64 exec, exec, s[6:7]
	s_cbranch_execz .LBB24_1274
.LBB24_3324:
	v_mov_b32_e32 v2, 0
	v_cmp_ne_u16_sdwa s[8:9], v9, v2 src0_sel:BYTE_3 src1_sel:DWORD
	s_andn2_b64 s[4:5], s[4:5], exec
	s_and_b64 s[8:9], s[8:9], exec
	s_or_b64 s[4:5], s[4:5], s[8:9]
	s_or_b64 exec, exec, s[6:7]
	s_and_saveexec_b64 s[6:7], s[4:5]
	s_cbranch_execnz .LBB24_1275
	s_branch .LBB24_1276
.LBB24_3325:
	s_movk_i32 s4, 0x80
	v_cmp_eq_u16_sdwa s[12:13], v5, s4 src0_sel:BYTE_3 src1_sel:DWORD
	s_mov_b64 s[4:5], -1
                                        ; implicit-def: $sgpr10
	s_and_saveexec_b64 s[8:9], s[12:13]
; %bb.3326:
	s_mov_b32 s10, 0x7f800001
	s_xor_b64 s[4:5], exec, -1
; %bb.3327:
	s_or_b64 exec, exec, s[8:9]
	s_and_b64 s[4:5], s[4:5], exec
	s_or_saveexec_b64 s[6:7], s[6:7]
	v_mov_b32_e32 v3, s10
	s_xor_b64 exec, exec, s[6:7]
	s_cbranch_execz .LBB24_1278
.LBB24_3328:
	v_mov_b32_e32 v3, 0
	v_cmp_ne_u16_sdwa s[8:9], v5, v3 src0_sel:BYTE_3 src1_sel:DWORD
	s_andn2_b64 s[4:5], s[4:5], exec
	s_and_b64 s[8:9], s[8:9], exec
	s_or_b64 s[4:5], s[4:5], s[8:9]
	s_or_b64 exec, exec, s[6:7]
	s_and_saveexec_b64 s[6:7], s[4:5]
	s_cbranch_execnz .LBB24_1279
	s_branch .LBB24_1280
.LBB24_3329:
	s_movk_i32 s4, 0x80
	v_cmp_eq_u16_sdwa s[12:13], v14, s4 src0_sel:BYTE_0 src1_sel:DWORD
	s_mov_b64 s[4:5], -1
                                        ; implicit-def: $sgpr10
	s_and_saveexec_b64 s[8:9], s[12:13]
; %bb.3330:
	s_mov_b32 s10, 0x7f800001
	s_xor_b64 s[4:5], exec, -1
; %bb.3331:
	s_or_b64 exec, exec, s[8:9]
	s_and_b64 s[4:5], s[4:5], exec
	s_or_saveexec_b64 s[6:7], s[6:7]
	v_mov_b32_e32 v20, s10
	s_xor_b64 exec, exec, s[6:7]
	s_cbranch_execz .LBB24_1282
.LBB24_3332:
	v_mov_b32_e32 v20, 0
	v_cmp_ne_u16_sdwa s[8:9], v14, v20 src0_sel:BYTE_0 src1_sel:DWORD
	s_andn2_b64 s[4:5], s[4:5], exec
	s_and_b64 s[8:9], s[8:9], exec
	s_or_b64 s[4:5], s[4:5], s[8:9]
	s_or_b64 exec, exec, s[6:7]
	s_and_saveexec_b64 s[6:7], s[4:5]
	s_cbranch_execnz .LBB24_1283
	s_branch .LBB24_1284
.LBB24_3333:
	s_movk_i32 s4, 0x80
	v_cmp_eq_u16_sdwa s[12:13], v10, s4 src0_sel:BYTE_0 src1_sel:DWORD
	s_mov_b64 s[4:5], -1
                                        ; implicit-def: $sgpr10
	s_and_saveexec_b64 s[8:9], s[12:13]
; %bb.3334:
	s_mov_b32 s10, 0x7f800001
	s_xor_b64 s[4:5], exec, -1
; %bb.3335:
	s_or_b64 exec, exec, s[8:9]
	s_and_b64 s[4:5], s[4:5], exec
	s_or_saveexec_b64 s[6:7], s[6:7]
	v_mov_b32_e32 v21, s10
	s_xor_b64 exec, exec, s[6:7]
	s_cbranch_execz .LBB24_1286
.LBB24_3336:
	v_mov_b32_e32 v21, 0
	v_cmp_ne_u16_sdwa s[8:9], v10, v21 src0_sel:BYTE_0 src1_sel:DWORD
	s_andn2_b64 s[4:5], s[4:5], exec
	s_and_b64 s[8:9], s[8:9], exec
	s_or_b64 s[4:5], s[4:5], s[8:9]
	s_or_b64 exec, exec, s[6:7]
	s_and_saveexec_b64 s[6:7], s[4:5]
	s_cbranch_execnz .LBB24_1287
	s_branch .LBB24_1288
.LBB24_3337:
	s_movk_i32 s4, 0x80
	v_cmp_eq_u16_sdwa s[12:13], v21, s4 src0_sel:BYTE_0 src1_sel:DWORD
	s_mov_b64 s[4:5], -1
                                        ; implicit-def: $sgpr10
	s_and_saveexec_b64 s[8:9], s[12:13]
; %bb.3338:
	s_mov_b32 s10, 0x7f800001
	s_xor_b64 s[4:5], exec, -1
; %bb.3339:
	s_or_b64 exec, exec, s[8:9]
	s_and_b64 s[4:5], s[4:5], exec
	s_or_saveexec_b64 s[6:7], s[6:7]
	v_mov_b32_e32 v20, s10
	s_xor_b64 exec, exec, s[6:7]
	s_cbranch_execz .LBB24_1290
.LBB24_3340:
	v_mov_b32_e32 v20, 0
	v_cmp_ne_u16_sdwa s[8:9], v21, v20 src0_sel:BYTE_0 src1_sel:DWORD
	s_andn2_b64 s[4:5], s[4:5], exec
	s_and_b64 s[8:9], s[8:9], exec
	s_or_b64 s[4:5], s[4:5], s[8:9]
	s_or_b64 exec, exec, s[6:7]
	s_and_saveexec_b64 s[6:7], s[4:5]
	s_cbranch_execnz .LBB24_1291
	s_branch .LBB24_1292
.LBB24_3341:
	s_movk_i32 s4, 0x80
	v_cmp_eq_u16_sdwa s[12:13], v21, s4 src0_sel:BYTE_0 src1_sel:DWORD
	s_mov_b64 s[4:5], -1
                                        ; implicit-def: $sgpr10
	s_and_saveexec_b64 s[8:9], s[12:13]
; %bb.3342:
	s_mov_b32 s10, 0x7f800001
	s_xor_b64 s[4:5], exec, -1
; %bb.3343:
	s_or_b64 exec, exec, s[8:9]
	s_and_b64 s[4:5], s[4:5], exec
	s_or_saveexec_b64 s[6:7], s[6:7]
	v_mov_b32_e32 v22, s10
	s_xor_b64 exec, exec, s[6:7]
	s_cbranch_execz .LBB24_1294
.LBB24_3344:
	v_mov_b32_e32 v22, 0
	v_cmp_ne_u16_sdwa s[8:9], v21, v22 src0_sel:BYTE_0 src1_sel:DWORD
	s_andn2_b64 s[4:5], s[4:5], exec
	s_and_b64 s[8:9], s[8:9], exec
	s_or_b64 s[4:5], s[4:5], s[8:9]
	s_or_b64 exec, exec, s[6:7]
	s_and_saveexec_b64 s[6:7], s[4:5]
	s_cbranch_execnz .LBB24_1295
	s_branch .LBB24_1296
.LBB24_3345:
	s_movk_i32 s4, 0x80
	v_cmp_eq_u16_e32 vcc, s4, v21
	s_mov_b64 s[4:5], -1
                                        ; implicit-def: $sgpr10
	s_and_saveexec_b64 s[8:9], vcc
; %bb.3346:
	s_mov_b32 s10, 0x7f800001
	s_xor_b64 s[4:5], exec, -1
; %bb.3347:
	s_or_b64 exec, exec, s[8:9]
	s_and_b64 s[4:5], s[4:5], exec
                                        ; implicit-def: $vgpr21
	s_or_saveexec_b64 s[6:7], s[6:7]
	v_mov_b32_e32 v20, s10
	s_xor_b64 exec, exec, s[6:7]
	s_cbranch_execz .LBB24_1298
.LBB24_3348:
	v_cmp_ne_u16_e32 vcc, 0, v21
	s_andn2_b64 s[4:5], s[4:5], exec
	s_and_b64 s[8:9], vcc, exec
	v_mov_b32_e32 v20, 0
	s_or_b64 s[4:5], s[4:5], s[8:9]
	s_or_b64 exec, exec, s[6:7]
	s_and_saveexec_b64 s[6:7], s[4:5]
	s_cbranch_execnz .LBB24_1299
	s_branch .LBB24_1300
.LBB24_3349:
	s_movk_i32 s4, 0x80
	v_cmp_eq_u16_e32 vcc, s4, v21
	s_mov_b64 s[4:5], -1
                                        ; implicit-def: $sgpr10
	s_and_saveexec_b64 s[8:9], vcc
; %bb.3350:
	s_mov_b32 s10, 0x7f800001
	s_xor_b64 s[4:5], exec, -1
; %bb.3351:
	s_or_b64 exec, exec, s[8:9]
	s_and_b64 s[4:5], s[4:5], exec
                                        ; implicit-def: $vgpr21
	s_or_saveexec_b64 s[6:7], s[6:7]
	v_mov_b32_e32 v22, s10
	s_xor_b64 exec, exec, s[6:7]
	s_cbranch_execz .LBB24_1302
.LBB24_3352:
	v_cmp_ne_u16_e32 vcc, 0, v21
	s_andn2_b64 s[4:5], s[4:5], exec
	s_and_b64 s[8:9], vcc, exec
	v_mov_b32_e32 v22, 0
	s_or_b64 s[4:5], s[4:5], s[8:9]
	s_or_b64 exec, exec, s[6:7]
	s_and_saveexec_b64 s[6:7], s[4:5]
	s_cbranch_execnz .LBB24_1303
	s_branch .LBB24_1304
.LBB24_3353:
	s_movk_i32 s4, 0x80
	v_cmp_eq_u16_sdwa s[12:13], v14, s4 src0_sel:BYTE_3 src1_sel:DWORD
	s_mov_b64 s[4:5], -1
                                        ; implicit-def: $sgpr10
	s_and_saveexec_b64 s[8:9], s[12:13]
; %bb.3354:
	s_mov_b32 s10, 0x7f800001
	s_xor_b64 s[4:5], exec, -1
; %bb.3355:
	s_or_b64 exec, exec, s[8:9]
	s_and_b64 s[4:5], s[4:5], exec
	s_or_saveexec_b64 s[6:7], s[6:7]
	v_mov_b32_e32 v20, s10
	s_xor_b64 exec, exec, s[6:7]
	s_cbranch_execz .LBB24_1306
.LBB24_3356:
	v_mov_b32_e32 v20, 0
	v_cmp_ne_u16_sdwa s[8:9], v14, v20 src0_sel:BYTE_3 src1_sel:DWORD
	s_andn2_b64 s[4:5], s[4:5], exec
	s_and_b64 s[8:9], s[8:9], exec
	s_or_b64 s[4:5], s[4:5], s[8:9]
	s_or_b64 exec, exec, s[6:7]
	s_and_saveexec_b64 s[6:7], s[4:5]
	s_cbranch_execnz .LBB24_1307
	s_branch .LBB24_1308
.LBB24_3357:
	s_movk_i32 s4, 0x80
	v_cmp_eq_u16_sdwa s[12:13], v10, s4 src0_sel:BYTE_3 src1_sel:DWORD
	s_mov_b64 s[4:5], -1
                                        ; implicit-def: $sgpr10
	s_and_saveexec_b64 s[8:9], s[12:13]
; %bb.3358:
	s_mov_b32 s10, 0x7f800001
	s_xor_b64 s[4:5], exec, -1
; %bb.3359:
	s_or_b64 exec, exec, s[8:9]
	s_and_b64 s[4:5], s[4:5], exec
	s_or_saveexec_b64 s[6:7], s[6:7]
	v_mov_b32_e32 v14, s10
	s_xor_b64 exec, exec, s[6:7]
	s_cbranch_execz .LBB24_1310
.LBB24_3360:
	v_mov_b32_e32 v14, 0
	v_cmp_ne_u16_sdwa s[8:9], v10, v14 src0_sel:BYTE_3 src1_sel:DWORD
	s_andn2_b64 s[4:5], s[4:5], exec
	s_and_b64 s[8:9], s[8:9], exec
	s_or_b64 s[4:5], s[4:5], s[8:9]
	s_or_b64 exec, exec, s[6:7]
	s_and_saveexec_b64 s[6:7], s[4:5]
	s_cbranch_execnz .LBB24_1311
	s_branch .LBB24_1312
.LBB24_3361:
	s_movk_i32 s4, 0x80
	v_cmp_eq_u16_sdwa s[12:13], v15, s4 src0_sel:BYTE_0 src1_sel:DWORD
	s_mov_b64 s[4:5], -1
                                        ; implicit-def: $sgpr10
	s_and_saveexec_b64 s[8:9], s[12:13]
; %bb.3362:
	s_mov_b32 s10, 0x7f800001
	s_xor_b64 s[4:5], exec, -1
; %bb.3363:
	s_or_b64 exec, exec, s[8:9]
	s_and_b64 s[4:5], s[4:5], exec
	s_or_saveexec_b64 s[6:7], s[6:7]
	v_mov_b32_e32 v10, s10
	s_xor_b64 exec, exec, s[6:7]
	s_cbranch_execz .LBB24_1314
.LBB24_3364:
	v_mov_b32_e32 v10, 0
	v_cmp_ne_u16_sdwa s[8:9], v15, v10 src0_sel:BYTE_0 src1_sel:DWORD
	s_andn2_b64 s[4:5], s[4:5], exec
	s_and_b64 s[8:9], s[8:9], exec
	s_or_b64 s[4:5], s[4:5], s[8:9]
	s_or_b64 exec, exec, s[6:7]
	s_and_saveexec_b64 s[6:7], s[4:5]
	s_cbranch_execnz .LBB24_1315
	s_branch .LBB24_1316
.LBB24_3365:
	s_movk_i32 s4, 0x80
	v_cmp_eq_u16_sdwa s[12:13], v11, s4 src0_sel:BYTE_0 src1_sel:DWORD
	s_mov_b64 s[4:5], -1
                                        ; implicit-def: $sgpr10
	s_and_saveexec_b64 s[8:9], s[12:13]
; %bb.3366:
	s_mov_b32 s10, 0x7f800001
	s_xor_b64 s[4:5], exec, -1
; %bb.3367:
	s_or_b64 exec, exec, s[8:9]
	s_and_b64 s[4:5], s[4:5], exec
	s_or_saveexec_b64 s[6:7], s[6:7]
	v_mov_b32_e32 v14, s10
	s_xor_b64 exec, exec, s[6:7]
	s_cbranch_execz .LBB24_1318
.LBB24_3368:
	v_mov_b32_e32 v14, 0
	v_cmp_ne_u16_sdwa s[8:9], v11, v14 src0_sel:BYTE_0 src1_sel:DWORD
	s_andn2_b64 s[4:5], s[4:5], exec
	s_and_b64 s[8:9], s[8:9], exec
	s_or_b64 s[4:5], s[4:5], s[8:9]
	s_or_b64 exec, exec, s[6:7]
	s_and_saveexec_b64 s[6:7], s[4:5]
	s_cbranch_execnz .LBB24_1319
	s_branch .LBB24_1320
.LBB24_3369:
	s_movk_i32 s4, 0x80
	v_cmp_eq_u16_sdwa s[12:13], v14, s4 src0_sel:BYTE_0 src1_sel:DWORD
	s_mov_b64 s[4:5], -1
                                        ; implicit-def: $sgpr10
	s_and_saveexec_b64 s[8:9], s[12:13]
; %bb.3370:
	s_mov_b32 s10, 0x7f800001
	s_xor_b64 s[4:5], exec, -1
; %bb.3371:
	s_or_b64 exec, exec, s[8:9]
	s_and_b64 s[4:5], s[4:5], exec
	s_or_saveexec_b64 s[6:7], s[6:7]
	v_mov_b32_e32 v10, s10
	s_xor_b64 exec, exec, s[6:7]
	s_cbranch_execz .LBB24_1322
.LBB24_3372:
	v_mov_b32_e32 v10, 0
	v_cmp_ne_u16_sdwa s[8:9], v14, v10 src0_sel:BYTE_0 src1_sel:DWORD
	s_andn2_b64 s[4:5], s[4:5], exec
	s_and_b64 s[8:9], s[8:9], exec
	s_or_b64 s[4:5], s[4:5], s[8:9]
	s_or_b64 exec, exec, s[6:7]
	s_and_saveexec_b64 s[6:7], s[4:5]
	s_cbranch_execnz .LBB24_1323
	s_branch .LBB24_1324
.LBB24_3373:
	s_movk_i32 s4, 0x80
	v_cmp_eq_u16_sdwa s[12:13], v14, s4 src0_sel:BYTE_0 src1_sel:DWORD
	s_mov_b64 s[4:5], -1
                                        ; implicit-def: $sgpr10
	s_and_saveexec_b64 s[8:9], s[12:13]
; %bb.3374:
	s_mov_b32 s10, 0x7f800001
	s_xor_b64 s[4:5], exec, -1
; %bb.3375:
	s_or_b64 exec, exec, s[8:9]
	s_and_b64 s[4:5], s[4:5], exec
	s_or_saveexec_b64 s[6:7], s[6:7]
	v_mov_b32_e32 v20, s10
	s_xor_b64 exec, exec, s[6:7]
	s_cbranch_execz .LBB24_1326
.LBB24_3376:
	v_mov_b32_e32 v20, 0
	v_cmp_ne_u16_sdwa s[8:9], v14, v20 src0_sel:BYTE_0 src1_sel:DWORD
	s_andn2_b64 s[4:5], s[4:5], exec
	s_and_b64 s[8:9], s[8:9], exec
	s_or_b64 s[4:5], s[4:5], s[8:9]
	s_or_b64 exec, exec, s[6:7]
	s_and_saveexec_b64 s[6:7], s[4:5]
	s_cbranch_execnz .LBB24_1327
	s_branch .LBB24_1328
.LBB24_3377:
	s_movk_i32 s4, 0x80
	v_cmp_eq_u16_e32 vcc, s4, v14
	s_mov_b64 s[4:5], -1
                                        ; implicit-def: $sgpr10
	s_and_saveexec_b64 s[8:9], vcc
; %bb.3378:
	s_mov_b32 s10, 0x7f800001
	s_xor_b64 s[4:5], exec, -1
; %bb.3379:
	s_or_b64 exec, exec, s[8:9]
	s_and_b64 s[4:5], s[4:5], exec
                                        ; implicit-def: $vgpr14
	s_or_saveexec_b64 s[6:7], s[6:7]
	v_mov_b32_e32 v10, s10
	s_xor_b64 exec, exec, s[6:7]
	s_cbranch_execz .LBB24_1330
.LBB24_3380:
	v_cmp_ne_u16_e32 vcc, 0, v14
	s_andn2_b64 s[4:5], s[4:5], exec
	s_and_b64 s[8:9], vcc, exec
	v_mov_b32_e32 v10, 0
	s_or_b64 s[4:5], s[4:5], s[8:9]
	s_or_b64 exec, exec, s[6:7]
	s_and_saveexec_b64 s[6:7], s[4:5]
	s_cbranch_execnz .LBB24_1331
	s_branch .LBB24_1332
.LBB24_3381:
	s_movk_i32 s4, 0x80
	v_cmp_eq_u16_e32 vcc, s4, v14
	s_mov_b64 s[4:5], -1
                                        ; implicit-def: $sgpr10
	s_and_saveexec_b64 s[8:9], vcc
; %bb.3382:
	s_mov_b32 s10, 0x7f800001
	s_xor_b64 s[4:5], exec, -1
; %bb.3383:
	s_or_b64 exec, exec, s[8:9]
	s_and_b64 s[4:5], s[4:5], exec
                                        ; implicit-def: $vgpr14
	s_or_saveexec_b64 s[6:7], s[6:7]
	v_mov_b32_e32 v20, s10
	s_xor_b64 exec, exec, s[6:7]
	s_cbranch_execz .LBB24_1334
.LBB24_3384:
	v_cmp_ne_u16_e32 vcc, 0, v14
	s_andn2_b64 s[4:5], s[4:5], exec
	s_and_b64 s[8:9], vcc, exec
	v_mov_b32_e32 v20, 0
	s_or_b64 s[4:5], s[4:5], s[8:9]
	s_or_b64 exec, exec, s[6:7]
	s_and_saveexec_b64 s[6:7], s[4:5]
	s_cbranch_execnz .LBB24_1335
	s_branch .LBB24_1336
.LBB24_3385:
	s_movk_i32 s4, 0x80
	v_cmp_eq_u16_sdwa s[12:13], v15, s4 src0_sel:BYTE_3 src1_sel:DWORD
	s_mov_b64 s[4:5], -1
                                        ; implicit-def: $sgpr10
	s_and_saveexec_b64 s[8:9], s[12:13]
; %bb.3386:
	s_mov_b32 s10, 0x7f800001
	s_xor_b64 s[4:5], exec, -1
; %bb.3387:
	s_or_b64 exec, exec, s[8:9]
	s_and_b64 s[4:5], s[4:5], exec
	s_or_saveexec_b64 s[6:7], s[6:7]
	v_mov_b32_e32 v10, s10
	s_xor_b64 exec, exec, s[6:7]
	s_cbranch_execz .LBB24_1338
.LBB24_3388:
	v_mov_b32_e32 v10, 0
	v_cmp_ne_u16_sdwa s[8:9], v15, v10 src0_sel:BYTE_3 src1_sel:DWORD
	s_andn2_b64 s[4:5], s[4:5], exec
	s_and_b64 s[8:9], s[8:9], exec
	s_or_b64 s[4:5], s[4:5], s[8:9]
	s_or_b64 exec, exec, s[6:7]
	s_and_saveexec_b64 s[6:7], s[4:5]
	s_cbranch_execnz .LBB24_1339
	s_branch .LBB24_1340
.LBB24_3389:
	s_movk_i32 s4, 0x80
	v_cmp_eq_u16_sdwa s[12:13], v11, s4 src0_sel:BYTE_3 src1_sel:DWORD
	s_mov_b64 s[4:5], -1
                                        ; implicit-def: $sgpr10
	s_and_saveexec_b64 s[8:9], s[12:13]
; %bb.3390:
	s_mov_b32 s10, 0x7f800001
	s_xor_b64 s[4:5], exec, -1
; %bb.3391:
	s_or_b64 exec, exec, s[8:9]
	s_and_b64 s[4:5], s[4:5], exec
	s_or_saveexec_b64 s[6:7], s[6:7]
	v_mov_b32_e32 v14, s10
	s_xor_b64 exec, exec, s[6:7]
	s_cbranch_execz .LBB24_1342
.LBB24_3392:
	v_mov_b32_e32 v14, 0
	v_cmp_ne_u16_sdwa s[8:9], v11, v14 src0_sel:BYTE_3 src1_sel:DWORD
	s_andn2_b64 s[4:5], s[4:5], exec
	s_and_b64 s[8:9], s[8:9], exec
	s_or_b64 s[4:5], s[4:5], s[8:9]
	s_or_b64 exec, exec, s[6:7]
	s_and_saveexec_b64 s[6:7], s[4:5]
	s_cbranch_execnz .LBB24_1343
	s_branch .LBB24_1344
.LBB24_3393:
	s_movk_i32 s4, 0x80
	v_cmp_eq_u16_sdwa s[12:13], v16, s4 src0_sel:BYTE_0 src1_sel:DWORD
	s_mov_b64 s[4:5], -1
                                        ; implicit-def: $sgpr10
	s_and_saveexec_b64 s[8:9], s[12:13]
; %bb.3394:
	s_mov_b32 s10, 0x7f800001
	s_xor_b64 s[4:5], exec, -1
; %bb.3395:
	s_or_b64 exec, exec, s[8:9]
	s_and_b64 s[4:5], s[4:5], exec
	s_or_saveexec_b64 s[6:7], s[6:7]
	v_mov_b32_e32 v10, s10
	s_xor_b64 exec, exec, s[6:7]
	s_cbranch_execz .LBB24_1346
.LBB24_3396:
	v_mov_b32_e32 v10, 0
	v_cmp_ne_u16_sdwa s[8:9], v16, v10 src0_sel:BYTE_0 src1_sel:DWORD
	s_andn2_b64 s[4:5], s[4:5], exec
	s_and_b64 s[8:9], s[8:9], exec
	s_or_b64 s[4:5], s[4:5], s[8:9]
	s_or_b64 exec, exec, s[6:7]
	s_and_saveexec_b64 s[6:7], s[4:5]
	s_cbranch_execnz .LBB24_1347
	s_branch .LBB24_1348
.LBB24_3397:
	s_movk_i32 s4, 0x80
	v_cmp_eq_u16_sdwa s[12:13], v12, s4 src0_sel:BYTE_0 src1_sel:DWORD
	s_mov_b64 s[4:5], -1
                                        ; implicit-def: $sgpr10
	s_and_saveexec_b64 s[8:9], s[12:13]
; %bb.3398:
	s_mov_b32 s10, 0x7f800001
	s_xor_b64 s[4:5], exec, -1
; %bb.3399:
	s_or_b64 exec, exec, s[8:9]
	s_and_b64 s[4:5], s[4:5], exec
	s_or_saveexec_b64 s[6:7], s[6:7]
	v_mov_b32_e32 v11, s10
	s_xor_b64 exec, exec, s[6:7]
	s_cbranch_execz .LBB24_1350
.LBB24_3400:
	v_mov_b32_e32 v11, 0
	v_cmp_ne_u16_sdwa s[8:9], v12, v11 src0_sel:BYTE_0 src1_sel:DWORD
	s_andn2_b64 s[4:5], s[4:5], exec
	s_and_b64 s[8:9], s[8:9], exec
	s_or_b64 s[4:5], s[4:5], s[8:9]
	s_or_b64 exec, exec, s[6:7]
	s_and_saveexec_b64 s[6:7], s[4:5]
	s_cbranch_execnz .LBB24_1351
	s_branch .LBB24_1352
.LBB24_3401:
	s_movk_i32 s4, 0x80
	v_cmp_eq_u16_sdwa s[12:13], v11, s4 src0_sel:BYTE_0 src1_sel:DWORD
	s_mov_b64 s[4:5], -1
                                        ; implicit-def: $sgpr10
	s_and_saveexec_b64 s[8:9], s[12:13]
; %bb.3402:
	s_mov_b32 s10, 0x7f800001
	s_xor_b64 s[4:5], exec, -1
; %bb.3403:
	s_or_b64 exec, exec, s[8:9]
	s_and_b64 s[4:5], s[4:5], exec
	s_or_saveexec_b64 s[6:7], s[6:7]
	v_mov_b32_e32 v10, s10
	s_xor_b64 exec, exec, s[6:7]
	s_cbranch_execz .LBB24_1354
.LBB24_3404:
	v_mov_b32_e32 v10, 0
	v_cmp_ne_u16_sdwa s[8:9], v11, v10 src0_sel:BYTE_0 src1_sel:DWORD
	s_andn2_b64 s[4:5], s[4:5], exec
	s_and_b64 s[8:9], s[8:9], exec
	s_or_b64 s[4:5], s[4:5], s[8:9]
	s_or_b64 exec, exec, s[6:7]
	s_and_saveexec_b64 s[6:7], s[4:5]
	s_cbranch_execnz .LBB24_1355
	s_branch .LBB24_1356
.LBB24_3405:
	s_movk_i32 s4, 0x80
	v_cmp_eq_u16_sdwa s[12:13], v11, s4 src0_sel:BYTE_0 src1_sel:DWORD
	s_mov_b64 s[4:5], -1
                                        ; implicit-def: $sgpr10
	s_and_saveexec_b64 s[8:9], s[12:13]
; %bb.3406:
	s_mov_b32 s10, 0x7f800001
	s_xor_b64 s[4:5], exec, -1
; %bb.3407:
	s_or_b64 exec, exec, s[8:9]
	s_and_b64 s[4:5], s[4:5], exec
	s_or_saveexec_b64 s[6:7], s[6:7]
	v_mov_b32_e32 v14, s10
	s_xor_b64 exec, exec, s[6:7]
	s_cbranch_execz .LBB24_1358
.LBB24_3408:
	v_mov_b32_e32 v14, 0
	v_cmp_ne_u16_sdwa s[8:9], v11, v14 src0_sel:BYTE_0 src1_sel:DWORD
	s_andn2_b64 s[4:5], s[4:5], exec
	s_and_b64 s[8:9], s[8:9], exec
	s_or_b64 s[4:5], s[4:5], s[8:9]
	s_or_b64 exec, exec, s[6:7]
	s_and_saveexec_b64 s[6:7], s[4:5]
	s_cbranch_execnz .LBB24_1359
	s_branch .LBB24_1360
.LBB24_3409:
	s_movk_i32 s4, 0x80
	v_cmp_eq_u16_e32 vcc, s4, v11
	s_mov_b64 s[4:5], -1
                                        ; implicit-def: $sgpr10
	s_and_saveexec_b64 s[8:9], vcc
; %bb.3410:
	s_mov_b32 s10, 0x7f800001
	s_xor_b64 s[4:5], exec, -1
; %bb.3411:
	s_or_b64 exec, exec, s[8:9]
	s_and_b64 s[4:5], s[4:5], exec
                                        ; implicit-def: $vgpr11
	s_or_saveexec_b64 s[6:7], s[6:7]
	v_mov_b32_e32 v10, s10
	s_xor_b64 exec, exec, s[6:7]
	s_cbranch_execz .LBB24_1362
.LBB24_3412:
	v_cmp_ne_u16_e32 vcc, 0, v11
	s_andn2_b64 s[4:5], s[4:5], exec
	s_and_b64 s[8:9], vcc, exec
	v_mov_b32_e32 v10, 0
	s_or_b64 s[4:5], s[4:5], s[8:9]
	s_or_b64 exec, exec, s[6:7]
	s_and_saveexec_b64 s[6:7], s[4:5]
	s_cbranch_execnz .LBB24_1363
	s_branch .LBB24_1364
.LBB24_3413:
	s_movk_i32 s4, 0x80
	v_cmp_eq_u16_e32 vcc, s4, v11
	s_mov_b64 s[4:5], -1
                                        ; implicit-def: $sgpr10
	s_and_saveexec_b64 s[8:9], vcc
; %bb.3414:
	s_mov_b32 s10, 0x7f800001
	s_xor_b64 s[4:5], exec, -1
; %bb.3415:
	s_or_b64 exec, exec, s[8:9]
	s_and_b64 s[4:5], s[4:5], exec
                                        ; implicit-def: $vgpr11
	s_or_saveexec_b64 s[6:7], s[6:7]
	v_mov_b32_e32 v14, s10
	s_xor_b64 exec, exec, s[6:7]
	s_cbranch_execz .LBB24_1366
.LBB24_3416:
	v_cmp_ne_u16_e32 vcc, 0, v11
	s_andn2_b64 s[4:5], s[4:5], exec
	s_and_b64 s[8:9], vcc, exec
	v_mov_b32_e32 v14, 0
	s_or_b64 s[4:5], s[4:5], s[8:9]
	s_or_b64 exec, exec, s[6:7]
	s_and_saveexec_b64 s[6:7], s[4:5]
	s_cbranch_execnz .LBB24_1367
	s_branch .LBB24_1368
.LBB24_3417:
	s_movk_i32 s4, 0x80
	v_cmp_eq_u16_sdwa s[12:13], v16, s4 src0_sel:BYTE_3 src1_sel:DWORD
	s_mov_b64 s[4:5], -1
                                        ; implicit-def: $sgpr10
	s_and_saveexec_b64 s[8:9], s[12:13]
; %bb.3418:
	s_mov_b32 s10, 0x7f800001
	s_xor_b64 s[4:5], exec, -1
; %bb.3419:
	s_or_b64 exec, exec, s[8:9]
	s_and_b64 s[4:5], s[4:5], exec
	s_or_saveexec_b64 s[6:7], s[6:7]
	v_mov_b32_e32 v10, s10
	s_xor_b64 exec, exec, s[6:7]
	s_cbranch_execz .LBB24_1370
.LBB24_3420:
	v_mov_b32_e32 v10, 0
	v_cmp_ne_u16_sdwa s[8:9], v16, v10 src0_sel:BYTE_3 src1_sel:DWORD
	s_andn2_b64 s[4:5], s[4:5], exec
	s_and_b64 s[8:9], s[8:9], exec
	s_or_b64 s[4:5], s[4:5], s[8:9]
	s_or_b64 exec, exec, s[6:7]
	s_and_saveexec_b64 s[6:7], s[4:5]
	s_cbranch_execnz .LBB24_1371
	s_branch .LBB24_1372
.LBB24_3421:
	s_movk_i32 s4, 0x80
	v_cmp_eq_u16_sdwa s[12:13], v12, s4 src0_sel:BYTE_3 src1_sel:DWORD
	s_mov_b64 s[4:5], -1
                                        ; implicit-def: $sgpr10
	s_and_saveexec_b64 s[8:9], s[12:13]
; %bb.3422:
	s_mov_b32 s10, 0x7f800001
	s_xor_b64 s[4:5], exec, -1
; %bb.3423:
	s_or_b64 exec, exec, s[8:9]
	s_and_b64 s[4:5], s[4:5], exec
	s_or_saveexec_b64 s[6:7], s[6:7]
	v_mov_b32_e32 v11, s10
	s_xor_b64 exec, exec, s[6:7]
	s_cbranch_execz .LBB24_1374
.LBB24_3424:
	v_mov_b32_e32 v11, 0
	v_cmp_ne_u16_sdwa s[8:9], v12, v11 src0_sel:BYTE_3 src1_sel:DWORD
	s_andn2_b64 s[4:5], s[4:5], exec
	s_and_b64 s[8:9], s[8:9], exec
	s_or_b64 s[4:5], s[4:5], s[8:9]
	s_or_b64 exec, exec, s[6:7]
	s_and_saveexec_b64 s[6:7], s[4:5]
	s_cbranch_execnz .LBB24_1375
	s_branch .LBB24_1376
.LBB24_3425:
	s_movk_i32 s4, 0x80
	v_cmp_eq_u16_sdwa s[12:13], v17, s4 src0_sel:BYTE_0 src1_sel:DWORD
	s_mov_b64 s[4:5], -1
                                        ; implicit-def: $sgpr10
	s_and_saveexec_b64 s[8:9], s[12:13]
; %bb.3426:
	s_mov_b32 s10, 0x7f800001
	s_xor_b64 s[4:5], exec, -1
; %bb.3427:
	s_or_b64 exec, exec, s[8:9]
	s_and_b64 s[4:5], s[4:5], exec
	s_or_saveexec_b64 s[6:7], s[6:7]
	v_mov_b32_e32 v10, s10
	s_xor_b64 exec, exec, s[6:7]
	s_cbranch_execz .LBB24_1378
.LBB24_3428:
	v_mov_b32_e32 v10, 0
	v_cmp_ne_u16_sdwa s[8:9], v17, v10 src0_sel:BYTE_0 src1_sel:DWORD
	s_andn2_b64 s[4:5], s[4:5], exec
	s_and_b64 s[8:9], s[8:9], exec
	s_or_b64 s[4:5], s[4:5], s[8:9]
	s_or_b64 exec, exec, s[6:7]
	s_and_saveexec_b64 s[6:7], s[4:5]
	s_cbranch_execnz .LBB24_1379
	s_branch .LBB24_1380
.LBB24_3429:
	s_movk_i32 s4, 0x80
	v_cmp_eq_u16_sdwa s[12:13], v13, s4 src0_sel:BYTE_0 src1_sel:DWORD
	s_mov_b64 s[4:5], -1
                                        ; implicit-def: $sgpr10
	s_and_saveexec_b64 s[8:9], s[12:13]
; %bb.3430:
	s_mov_b32 s10, 0x7f800001
	s_xor_b64 s[4:5], exec, -1
; %bb.3431:
	s_or_b64 exec, exec, s[8:9]
	s_and_b64 s[4:5], s[4:5], exec
	s_or_saveexec_b64 s[6:7], s[6:7]
	v_mov_b32_e32 v11, s10
	s_xor_b64 exec, exec, s[6:7]
	s_cbranch_execz .LBB24_1382
.LBB24_3432:
	v_mov_b32_e32 v11, 0
	v_cmp_ne_u16_sdwa s[8:9], v13, v11 src0_sel:BYTE_0 src1_sel:DWORD
	s_andn2_b64 s[4:5], s[4:5], exec
	s_and_b64 s[8:9], s[8:9], exec
	s_or_b64 s[4:5], s[4:5], s[8:9]
	s_or_b64 exec, exec, s[6:7]
	s_and_saveexec_b64 s[6:7], s[4:5]
	s_cbranch_execnz .LBB24_1383
	s_branch .LBB24_1384
.LBB24_3433:
	s_movk_i32 s4, 0x80
	v_cmp_eq_u16_sdwa s[12:13], v11, s4 src0_sel:BYTE_0 src1_sel:DWORD
	s_mov_b64 s[4:5], -1
                                        ; implicit-def: $sgpr10
	s_and_saveexec_b64 s[8:9], s[12:13]
; %bb.3434:
	s_mov_b32 s10, 0x7f800001
	s_xor_b64 s[4:5], exec, -1
; %bb.3435:
	s_or_b64 exec, exec, s[8:9]
	s_and_b64 s[4:5], s[4:5], exec
	s_or_saveexec_b64 s[6:7], s[6:7]
	v_mov_b32_e32 v10, s10
	s_xor_b64 exec, exec, s[6:7]
	s_cbranch_execz .LBB24_1386
.LBB24_3436:
	v_mov_b32_e32 v10, 0
	v_cmp_ne_u16_sdwa s[8:9], v11, v10 src0_sel:BYTE_0 src1_sel:DWORD
	s_andn2_b64 s[4:5], s[4:5], exec
	s_and_b64 s[8:9], s[8:9], exec
	s_or_b64 s[4:5], s[4:5], s[8:9]
	s_or_b64 exec, exec, s[6:7]
	s_and_saveexec_b64 s[6:7], s[4:5]
	s_cbranch_execnz .LBB24_1387
	s_branch .LBB24_1388
.LBB24_3437:
	s_movk_i32 s4, 0x80
	v_cmp_eq_u16_sdwa s[12:13], v11, s4 src0_sel:BYTE_0 src1_sel:DWORD
	s_mov_b64 s[4:5], -1
                                        ; implicit-def: $sgpr10
	s_and_saveexec_b64 s[8:9], s[12:13]
; %bb.3438:
	s_mov_b32 s10, 0x7f800001
	s_xor_b64 s[4:5], exec, -1
; %bb.3439:
	s_or_b64 exec, exec, s[8:9]
	s_and_b64 s[4:5], s[4:5], exec
	s_or_saveexec_b64 s[6:7], s[6:7]
	v_mov_b32_e32 v12, s10
	s_xor_b64 exec, exec, s[6:7]
	s_cbranch_execz .LBB24_1390
.LBB24_3440:
	v_mov_b32_e32 v12, 0
	v_cmp_ne_u16_sdwa s[8:9], v11, v12 src0_sel:BYTE_0 src1_sel:DWORD
	s_andn2_b64 s[4:5], s[4:5], exec
	s_and_b64 s[8:9], s[8:9], exec
	s_or_b64 s[4:5], s[4:5], s[8:9]
	s_or_b64 exec, exec, s[6:7]
	s_and_saveexec_b64 s[6:7], s[4:5]
	s_cbranch_execnz .LBB24_1391
	s_branch .LBB24_1392
.LBB24_3441:
	s_movk_i32 s4, 0x80
	v_cmp_eq_u16_e32 vcc, s4, v11
	s_mov_b64 s[4:5], -1
                                        ; implicit-def: $sgpr10
	s_and_saveexec_b64 s[8:9], vcc
; %bb.3442:
	s_mov_b32 s10, 0x7f800001
	s_xor_b64 s[4:5], exec, -1
; %bb.3443:
	s_or_b64 exec, exec, s[8:9]
	s_and_b64 s[4:5], s[4:5], exec
                                        ; implicit-def: $vgpr11
	s_or_saveexec_b64 s[6:7], s[6:7]
	v_mov_b32_e32 v10, s10
	s_xor_b64 exec, exec, s[6:7]
	s_cbranch_execz .LBB24_1394
.LBB24_3444:
	v_cmp_ne_u16_e32 vcc, 0, v11
	s_andn2_b64 s[4:5], s[4:5], exec
	s_and_b64 s[8:9], vcc, exec
	v_mov_b32_e32 v10, 0
	s_or_b64 s[4:5], s[4:5], s[8:9]
	s_or_b64 exec, exec, s[6:7]
	s_and_saveexec_b64 s[6:7], s[4:5]
	s_cbranch_execnz .LBB24_1395
	s_branch .LBB24_1396
.LBB24_3445:
	s_movk_i32 s4, 0x80
	v_cmp_eq_u16_e32 vcc, s4, v11
	s_mov_b64 s[4:5], -1
                                        ; implicit-def: $sgpr10
	s_and_saveexec_b64 s[8:9], vcc
; %bb.3446:
	s_mov_b32 s10, 0x7f800001
	s_xor_b64 s[4:5], exec, -1
; %bb.3447:
	s_or_b64 exec, exec, s[8:9]
	s_and_b64 s[4:5], s[4:5], exec
                                        ; implicit-def: $vgpr11
	s_or_saveexec_b64 s[6:7], s[6:7]
	v_mov_b32_e32 v12, s10
	s_xor_b64 exec, exec, s[6:7]
	s_cbranch_execz .LBB24_1398
.LBB24_3448:
	v_cmp_ne_u16_e32 vcc, 0, v11
	s_andn2_b64 s[4:5], s[4:5], exec
	s_and_b64 s[8:9], vcc, exec
	v_mov_b32_e32 v12, 0
	s_or_b64 s[4:5], s[4:5], s[8:9]
	s_or_b64 exec, exec, s[6:7]
	s_and_saveexec_b64 s[6:7], s[4:5]
	s_cbranch_execnz .LBB24_1399
	s_branch .LBB24_1400
.LBB24_3449:
	s_movk_i32 s4, 0x80
	v_cmp_eq_u16_sdwa s[12:13], v17, s4 src0_sel:BYTE_3 src1_sel:DWORD
	s_mov_b64 s[4:5], -1
                                        ; implicit-def: $sgpr10
	s_and_saveexec_b64 s[8:9], s[12:13]
; %bb.3450:
	s_mov_b32 s10, 0x7f800001
	s_xor_b64 s[4:5], exec, -1
; %bb.3451:
	s_or_b64 exec, exec, s[8:9]
	s_and_b64 s[4:5], s[4:5], exec
	s_or_saveexec_b64 s[6:7], s[6:7]
	v_mov_b32_e32 v10, s10
	s_xor_b64 exec, exec, s[6:7]
	s_cbranch_execz .LBB24_1402
.LBB24_3452:
	v_mov_b32_e32 v10, 0
	v_cmp_ne_u16_sdwa s[8:9], v17, v10 src0_sel:BYTE_3 src1_sel:DWORD
	s_andn2_b64 s[4:5], s[4:5], exec
	s_and_b64 s[8:9], s[8:9], exec
	s_or_b64 s[4:5], s[4:5], s[8:9]
	s_or_b64 exec, exec, s[6:7]
	s_and_saveexec_b64 s[6:7], s[4:5]
	s_cbranch_execnz .LBB24_1403
	s_branch .LBB24_1404
.LBB24_3453:
	s_movk_i32 s4, 0x80
	v_cmp_eq_u16_sdwa s[12:13], v13, s4 src0_sel:BYTE_3 src1_sel:DWORD
	s_mov_b64 s[4:5], -1
                                        ; implicit-def: $sgpr10
	s_and_saveexec_b64 s[8:9], s[12:13]
; %bb.3454:
	s_mov_b32 s10, 0x7f800001
	s_xor_b64 s[4:5], exec, -1
; %bb.3455:
	s_or_b64 exec, exec, s[8:9]
	s_and_b64 s[4:5], s[4:5], exec
	s_or_saveexec_b64 s[6:7], s[6:7]
	v_mov_b32_e32 v11, s10
	s_xor_b64 exec, exec, s[6:7]
	s_cbranch_execz .LBB24_1406
.LBB24_3456:
	v_mov_b32_e32 v11, 0
	v_cmp_ne_u16_sdwa s[8:9], v13, v11 src0_sel:BYTE_3 src1_sel:DWORD
	s_andn2_b64 s[4:5], s[4:5], exec
	s_and_b64 s[8:9], s[8:9], exec
	s_or_b64 s[4:5], s[4:5], s[8:9]
	s_or_b64 exec, exec, s[6:7]
	s_and_saveexec_b64 s[6:7], s[4:5]
	s_cbranch_execnz .LBB24_1407
	s_branch .LBB24_1408
.LBB24_3457:
	s_movk_i32 s4, 0x80
	v_cmp_eq_u16_sdwa s[12:13], v6, s4 src0_sel:BYTE_0 src1_sel:DWORD
	s_mov_b64 s[4:5], -1
                                        ; implicit-def: $sgpr10
	s_and_saveexec_b64 s[8:9], s[12:13]
; %bb.3458:
	s_mov_b32 s10, 0x7f800001
	s_xor_b64 s[4:5], exec, -1
; %bb.3459:
	s_or_b64 exec, exec, s[8:9]
	s_and_b64 s[4:5], s[4:5], exec
	s_or_saveexec_b64 s[6:7], s[6:7]
	v_mov_b32_e32 v10, s10
	s_xor_b64 exec, exec, s[6:7]
	s_cbranch_execz .LBB24_1410
.LBB24_3460:
	v_mov_b32_e32 v10, 0
	v_cmp_ne_u16_sdwa s[8:9], v6, v10 src0_sel:BYTE_0 src1_sel:DWORD
	s_andn2_b64 s[4:5], s[4:5], exec
	s_and_b64 s[8:9], s[8:9], exec
	s_or_b64 s[4:5], s[4:5], s[8:9]
	s_or_b64 exec, exec, s[6:7]
	s_and_saveexec_b64 s[6:7], s[4:5]
	s_cbranch_execnz .LBB24_1411
	s_branch .LBB24_1412
.LBB24_3461:
	s_movk_i32 s4, 0x80
	v_cmp_eq_u16_sdwa s[12:13], v2, s4 src0_sel:BYTE_0 src1_sel:DWORD
	s_mov_b64 s[4:5], -1
                                        ; implicit-def: $sgpr10
	s_and_saveexec_b64 s[8:9], s[12:13]
; %bb.3462:
	s_mov_b32 s10, 0x7f800001
	s_xor_b64 s[4:5], exec, -1
; %bb.3463:
	s_or_b64 exec, exec, s[8:9]
	s_and_b64 s[4:5], s[4:5], exec
	s_or_saveexec_b64 s[6:7], s[6:7]
	v_mov_b32_e32 v11, s10
	s_xor_b64 exec, exec, s[6:7]
	s_cbranch_execz .LBB24_1414
.LBB24_3464:
	v_mov_b32_e32 v11, 0
	v_cmp_ne_u16_sdwa s[8:9], v2, v11 src0_sel:BYTE_0 src1_sel:DWORD
	s_andn2_b64 s[4:5], s[4:5], exec
	s_and_b64 s[8:9], s[8:9], exec
	s_or_b64 s[4:5], s[4:5], s[8:9]
	s_or_b64 exec, exec, s[6:7]
	s_and_saveexec_b64 s[6:7], s[4:5]
	s_cbranch_execnz .LBB24_1415
	s_branch .LBB24_1416
.LBB24_3465:
	s_movk_i32 s4, 0x80
	v_cmp_eq_u16_sdwa s[12:13], v11, s4 src0_sel:BYTE_0 src1_sel:DWORD
	s_mov_b64 s[4:5], -1
                                        ; implicit-def: $sgpr10
	s_and_saveexec_b64 s[8:9], s[12:13]
; %bb.3466:
	s_mov_b32 s10, 0x7f800001
	s_xor_b64 s[4:5], exec, -1
; %bb.3467:
	s_or_b64 exec, exec, s[8:9]
	s_and_b64 s[4:5], s[4:5], exec
	s_or_saveexec_b64 s[6:7], s[6:7]
	v_mov_b32_e32 v10, s10
	s_xor_b64 exec, exec, s[6:7]
	s_cbranch_execz .LBB24_1418
.LBB24_3468:
	v_mov_b32_e32 v10, 0
	v_cmp_ne_u16_sdwa s[8:9], v11, v10 src0_sel:BYTE_0 src1_sel:DWORD
	s_andn2_b64 s[4:5], s[4:5], exec
	s_and_b64 s[8:9], s[8:9], exec
	s_or_b64 s[4:5], s[4:5], s[8:9]
	s_or_b64 exec, exec, s[6:7]
	s_and_saveexec_b64 s[6:7], s[4:5]
	s_cbranch_execnz .LBB24_1419
	s_branch .LBB24_1420
.LBB24_3469:
	s_movk_i32 s4, 0x80
	v_cmp_eq_u16_sdwa s[12:13], v11, s4 src0_sel:BYTE_0 src1_sel:DWORD
	s_mov_b64 s[4:5], -1
                                        ; implicit-def: $sgpr10
	s_and_saveexec_b64 s[8:9], s[12:13]
; %bb.3470:
	s_mov_b32 s10, 0x7f800001
	s_xor_b64 s[4:5], exec, -1
; %bb.3471:
	s_or_b64 exec, exec, s[8:9]
	s_and_b64 s[4:5], s[4:5], exec
	s_or_saveexec_b64 s[6:7], s[6:7]
	v_mov_b32_e32 v12, s10
	s_xor_b64 exec, exec, s[6:7]
	s_cbranch_execz .LBB24_1422
.LBB24_3472:
	v_mov_b32_e32 v12, 0
	v_cmp_ne_u16_sdwa s[8:9], v11, v12 src0_sel:BYTE_0 src1_sel:DWORD
	s_andn2_b64 s[4:5], s[4:5], exec
	s_and_b64 s[8:9], s[8:9], exec
	s_or_b64 s[4:5], s[4:5], s[8:9]
	s_or_b64 exec, exec, s[6:7]
	s_and_saveexec_b64 s[6:7], s[4:5]
	s_cbranch_execnz .LBB24_1423
	s_branch .LBB24_1424
.LBB24_3473:
	s_movk_i32 s4, 0x80
	v_cmp_eq_u16_e32 vcc, s4, v11
	s_mov_b64 s[4:5], -1
                                        ; implicit-def: $sgpr10
	s_and_saveexec_b64 s[8:9], vcc
; %bb.3474:
	s_mov_b32 s10, 0x7f800001
	s_xor_b64 s[4:5], exec, -1
; %bb.3475:
	s_or_b64 exec, exec, s[8:9]
	s_and_b64 s[4:5], s[4:5], exec
                                        ; implicit-def: $vgpr11
	s_or_saveexec_b64 s[6:7], s[6:7]
	v_mov_b32_e32 v10, s10
	s_xor_b64 exec, exec, s[6:7]
	s_cbranch_execz .LBB24_1426
.LBB24_3476:
	v_cmp_ne_u16_e32 vcc, 0, v11
	s_andn2_b64 s[4:5], s[4:5], exec
	s_and_b64 s[8:9], vcc, exec
	v_mov_b32_e32 v10, 0
	s_or_b64 s[4:5], s[4:5], s[8:9]
	s_or_b64 exec, exec, s[6:7]
	s_and_saveexec_b64 s[6:7], s[4:5]
	s_cbranch_execnz .LBB24_1427
	s_branch .LBB24_1428
.LBB24_3477:
	s_movk_i32 s4, 0x80
	v_cmp_eq_u16_e32 vcc, s4, v11
	s_mov_b64 s[4:5], -1
                                        ; implicit-def: $sgpr10
	s_and_saveexec_b64 s[8:9], vcc
; %bb.3478:
	s_mov_b32 s10, 0x7f800001
	s_xor_b64 s[4:5], exec, -1
; %bb.3479:
	s_or_b64 exec, exec, s[8:9]
	s_and_b64 s[4:5], s[4:5], exec
                                        ; implicit-def: $vgpr11
	s_or_saveexec_b64 s[6:7], s[6:7]
	v_mov_b32_e32 v12, s10
	s_xor_b64 exec, exec, s[6:7]
	s_cbranch_execz .LBB24_1430
.LBB24_3480:
	v_cmp_ne_u16_e32 vcc, 0, v11
	s_andn2_b64 s[4:5], s[4:5], exec
	s_and_b64 s[8:9], vcc, exec
	v_mov_b32_e32 v12, 0
	s_or_b64 s[4:5], s[4:5], s[8:9]
	s_or_b64 exec, exec, s[6:7]
	s_and_saveexec_b64 s[6:7], s[4:5]
	s_cbranch_execnz .LBB24_1431
	s_branch .LBB24_1432
.LBB24_3481:
	s_movk_i32 s4, 0x80
	v_cmp_eq_u16_sdwa s[12:13], v6, s4 src0_sel:BYTE_3 src1_sel:DWORD
	s_mov_b64 s[4:5], -1
                                        ; implicit-def: $sgpr10
	s_and_saveexec_b64 s[8:9], s[12:13]
; %bb.3482:
	s_mov_b32 s10, 0x7f800001
	s_xor_b64 s[4:5], exec, -1
; %bb.3483:
	s_or_b64 exec, exec, s[8:9]
	s_and_b64 s[4:5], s[4:5], exec
	s_or_saveexec_b64 s[6:7], s[6:7]
	v_mov_b32_e32 v10, s10
	s_xor_b64 exec, exec, s[6:7]
	s_cbranch_execz .LBB24_1434
.LBB24_3484:
	v_mov_b32_e32 v10, 0
	v_cmp_ne_u16_sdwa s[8:9], v6, v10 src0_sel:BYTE_3 src1_sel:DWORD
	s_andn2_b64 s[4:5], s[4:5], exec
	s_and_b64 s[8:9], s[8:9], exec
	s_or_b64 s[4:5], s[4:5], s[8:9]
	s_or_b64 exec, exec, s[6:7]
	s_and_saveexec_b64 s[6:7], s[4:5]
	s_cbranch_execnz .LBB24_1435
	s_branch .LBB24_1436
.LBB24_3485:
	s_movk_i32 s4, 0x80
	v_cmp_eq_u16_sdwa s[12:13], v2, s4 src0_sel:BYTE_3 src1_sel:DWORD
	s_mov_b64 s[4:5], -1
                                        ; implicit-def: $sgpr10
	s_and_saveexec_b64 s[8:9], s[12:13]
; %bb.3486:
	s_mov_b32 s10, 0x7f800001
	s_xor_b64 s[4:5], exec, -1
; %bb.3487:
	s_or_b64 exec, exec, s[8:9]
	s_and_b64 s[4:5], s[4:5], exec
	s_or_saveexec_b64 s[6:7], s[6:7]
	v_mov_b32_e32 v6, s10
	s_xor_b64 exec, exec, s[6:7]
	s_cbranch_execz .LBB24_1438
.LBB24_3488:
	v_mov_b32_e32 v6, 0
	v_cmp_ne_u16_sdwa s[8:9], v2, v6 src0_sel:BYTE_3 src1_sel:DWORD
	s_andn2_b64 s[4:5], s[4:5], exec
	s_and_b64 s[8:9], s[8:9], exec
	s_or_b64 s[4:5], s[4:5], s[8:9]
	s_or_b64 exec, exec, s[6:7]
	s_and_saveexec_b64 s[6:7], s[4:5]
	s_cbranch_execnz .LBB24_1439
	s_branch .LBB24_1440
.LBB24_3489:
	s_movk_i32 s4, 0x80
	v_cmp_eq_u16_sdwa s[12:13], v7, s4 src0_sel:BYTE_0 src1_sel:DWORD
	s_mov_b64 s[4:5], -1
                                        ; implicit-def: $sgpr10
	s_and_saveexec_b64 s[8:9], s[12:13]
; %bb.3490:
	s_mov_b32 s10, 0x7f800001
	s_xor_b64 s[4:5], exec, -1
; %bb.3491:
	s_or_b64 exec, exec, s[8:9]
	s_and_b64 s[4:5], s[4:5], exec
	s_or_saveexec_b64 s[6:7], s[6:7]
	v_mov_b32_e32 v2, s10
	s_xor_b64 exec, exec, s[6:7]
	s_cbranch_execz .LBB24_1442
.LBB24_3492:
	v_mov_b32_e32 v2, 0
	v_cmp_ne_u16_sdwa s[8:9], v7, v2 src0_sel:BYTE_0 src1_sel:DWORD
	s_andn2_b64 s[4:5], s[4:5], exec
	s_and_b64 s[8:9], s[8:9], exec
	s_or_b64 s[4:5], s[4:5], s[8:9]
	s_or_b64 exec, exec, s[6:7]
	s_and_saveexec_b64 s[6:7], s[4:5]
	s_cbranch_execnz .LBB24_1443
	s_branch .LBB24_1444
.LBB24_3493:
	s_movk_i32 s4, 0x80
	v_cmp_eq_u16_sdwa s[12:13], v3, s4 src0_sel:BYTE_0 src1_sel:DWORD
	s_mov_b64 s[4:5], -1
                                        ; implicit-def: $sgpr10
	s_and_saveexec_b64 s[8:9], s[12:13]
; %bb.3494:
	s_mov_b32 s10, 0x7f800001
	s_xor_b64 s[4:5], exec, -1
; %bb.3495:
	s_or_b64 exec, exec, s[8:9]
	s_and_b64 s[4:5], s[4:5], exec
	s_or_saveexec_b64 s[6:7], s[6:7]
	v_mov_b32_e32 v6, s10
	s_xor_b64 exec, exec, s[6:7]
	s_cbranch_execz .LBB24_1446
.LBB24_3496:
	v_mov_b32_e32 v6, 0
	v_cmp_ne_u16_sdwa s[8:9], v3, v6 src0_sel:BYTE_0 src1_sel:DWORD
	s_andn2_b64 s[4:5], s[4:5], exec
	s_and_b64 s[8:9], s[8:9], exec
	s_or_b64 s[4:5], s[4:5], s[8:9]
	s_or_b64 exec, exec, s[6:7]
	s_and_saveexec_b64 s[6:7], s[4:5]
	s_cbranch_execnz .LBB24_1447
	s_branch .LBB24_1448
.LBB24_3497:
	s_movk_i32 s4, 0x80
	v_cmp_eq_u16_sdwa s[12:13], v6, s4 src0_sel:BYTE_0 src1_sel:DWORD
	s_mov_b64 s[4:5], -1
                                        ; implicit-def: $sgpr10
	s_and_saveexec_b64 s[8:9], s[12:13]
; %bb.3498:
	s_mov_b32 s10, 0x7f800001
	s_xor_b64 s[4:5], exec, -1
; %bb.3499:
	s_or_b64 exec, exec, s[8:9]
	s_and_b64 s[4:5], s[4:5], exec
	s_or_saveexec_b64 s[6:7], s[6:7]
	v_mov_b32_e32 v2, s10
	s_xor_b64 exec, exec, s[6:7]
	s_cbranch_execz .LBB24_1450
.LBB24_3500:
	v_mov_b32_e32 v2, 0
	v_cmp_ne_u16_sdwa s[8:9], v6, v2 src0_sel:BYTE_0 src1_sel:DWORD
	s_andn2_b64 s[4:5], s[4:5], exec
	s_and_b64 s[8:9], s[8:9], exec
	s_or_b64 s[4:5], s[4:5], s[8:9]
	s_or_b64 exec, exec, s[6:7]
	s_and_saveexec_b64 s[6:7], s[4:5]
	s_cbranch_execnz .LBB24_1451
	s_branch .LBB24_1452
.LBB24_3501:
	s_movk_i32 s4, 0x80
	v_cmp_eq_u16_sdwa s[12:13], v6, s4 src0_sel:BYTE_0 src1_sel:DWORD
	s_mov_b64 s[4:5], -1
                                        ; implicit-def: $sgpr10
	s_and_saveexec_b64 s[8:9], s[12:13]
; %bb.3502:
	s_mov_b32 s10, 0x7f800001
	s_xor_b64 s[4:5], exec, -1
; %bb.3503:
	s_or_b64 exec, exec, s[8:9]
	s_and_b64 s[4:5], s[4:5], exec
	s_or_saveexec_b64 s[6:7], s[6:7]
	v_mov_b32_e32 v10, s10
	s_xor_b64 exec, exec, s[6:7]
	s_cbranch_execz .LBB24_1454
.LBB24_3504:
	v_mov_b32_e32 v10, 0
	v_cmp_ne_u16_sdwa s[8:9], v6, v10 src0_sel:BYTE_0 src1_sel:DWORD
	s_andn2_b64 s[4:5], s[4:5], exec
	s_and_b64 s[8:9], s[8:9], exec
	s_or_b64 s[4:5], s[4:5], s[8:9]
	s_or_b64 exec, exec, s[6:7]
	s_and_saveexec_b64 s[6:7], s[4:5]
	s_cbranch_execnz .LBB24_1455
	s_branch .LBB24_1456
.LBB24_3505:
	s_movk_i32 s4, 0x80
	v_cmp_eq_u16_e32 vcc, s4, v6
	s_mov_b64 s[4:5], -1
                                        ; implicit-def: $sgpr10
	s_and_saveexec_b64 s[8:9], vcc
; %bb.3506:
	s_mov_b32 s10, 0x7f800001
	s_xor_b64 s[4:5], exec, -1
; %bb.3507:
	s_or_b64 exec, exec, s[8:9]
	s_and_b64 s[4:5], s[4:5], exec
                                        ; implicit-def: $vgpr6
	s_or_saveexec_b64 s[6:7], s[6:7]
	v_mov_b32_e32 v2, s10
	s_xor_b64 exec, exec, s[6:7]
	s_cbranch_execz .LBB24_1458
.LBB24_3508:
	v_cmp_ne_u16_e32 vcc, 0, v6
	s_andn2_b64 s[4:5], s[4:5], exec
	s_and_b64 s[8:9], vcc, exec
	v_mov_b32_e32 v2, 0
	s_or_b64 s[4:5], s[4:5], s[8:9]
	s_or_b64 exec, exec, s[6:7]
	s_and_saveexec_b64 s[6:7], s[4:5]
	s_cbranch_execnz .LBB24_1459
	s_branch .LBB24_1460
.LBB24_3509:
	s_movk_i32 s4, 0x80
	v_cmp_eq_u16_e32 vcc, s4, v6
	s_mov_b64 s[4:5], -1
                                        ; implicit-def: $sgpr10
	s_and_saveexec_b64 s[8:9], vcc
; %bb.3510:
	s_mov_b32 s10, 0x7f800001
	s_xor_b64 s[4:5], exec, -1
; %bb.3511:
	s_or_b64 exec, exec, s[8:9]
	s_and_b64 s[4:5], s[4:5], exec
                                        ; implicit-def: $vgpr6
	s_or_saveexec_b64 s[6:7], s[6:7]
	v_mov_b32_e32 v10, s10
	s_xor_b64 exec, exec, s[6:7]
	s_cbranch_execz .LBB24_1462
.LBB24_3512:
	v_cmp_ne_u16_e32 vcc, 0, v6
	s_andn2_b64 s[4:5], s[4:5], exec
	s_and_b64 s[8:9], vcc, exec
	v_mov_b32_e32 v10, 0
	s_or_b64 s[4:5], s[4:5], s[8:9]
	s_or_b64 exec, exec, s[6:7]
	s_and_saveexec_b64 s[6:7], s[4:5]
	s_cbranch_execnz .LBB24_1463
	s_branch .LBB24_1464
.LBB24_3513:
	s_movk_i32 s4, 0x80
	v_cmp_eq_u16_sdwa s[12:13], v7, s4 src0_sel:BYTE_3 src1_sel:DWORD
	s_mov_b64 s[4:5], -1
                                        ; implicit-def: $sgpr10
	s_and_saveexec_b64 s[8:9], s[12:13]
; %bb.3514:
	s_mov_b32 s10, 0x7f800001
	s_xor_b64 s[4:5], exec, -1
; %bb.3515:
	s_or_b64 exec, exec, s[8:9]
	s_and_b64 s[4:5], s[4:5], exec
	s_or_saveexec_b64 s[6:7], s[6:7]
	v_mov_b32_e32 v2, s10
	s_xor_b64 exec, exec, s[6:7]
	s_cbranch_execz .LBB24_1466
.LBB24_3516:
	v_mov_b32_e32 v2, 0
	v_cmp_ne_u16_sdwa s[8:9], v7, v2 src0_sel:BYTE_3 src1_sel:DWORD
	s_andn2_b64 s[4:5], s[4:5], exec
	s_and_b64 s[8:9], s[8:9], exec
	s_or_b64 s[4:5], s[4:5], s[8:9]
	s_or_b64 exec, exec, s[6:7]
	s_and_saveexec_b64 s[6:7], s[4:5]
	s_cbranch_execnz .LBB24_1467
	s_branch .LBB24_1468
.LBB24_3517:
	s_movk_i32 s4, 0x80
	v_cmp_eq_u16_sdwa s[12:13], v3, s4 src0_sel:BYTE_3 src1_sel:DWORD
	s_mov_b64 s[4:5], -1
                                        ; implicit-def: $sgpr10
	s_and_saveexec_b64 s[8:9], s[12:13]
; %bb.3518:
	s_mov_b32 s10, 0x7f800001
	s_xor_b64 s[4:5], exec, -1
; %bb.3519:
	s_or_b64 exec, exec, s[8:9]
	s_and_b64 s[4:5], s[4:5], exec
	s_or_saveexec_b64 s[6:7], s[6:7]
	v_mov_b32_e32 v6, s10
	s_xor_b64 exec, exec, s[6:7]
	s_cbranch_execz .LBB24_1470
.LBB24_3520:
	v_mov_b32_e32 v6, 0
	v_cmp_ne_u16_sdwa s[8:9], v3, v6 src0_sel:BYTE_3 src1_sel:DWORD
	s_andn2_b64 s[4:5], s[4:5], exec
	s_and_b64 s[8:9], s[8:9], exec
	s_or_b64 s[4:5], s[4:5], s[8:9]
	s_or_b64 exec, exec, s[6:7]
	s_and_saveexec_b64 s[6:7], s[4:5]
	s_cbranch_execnz .LBB24_1471
	s_branch .LBB24_1472
.LBB24_3521:
	s_movk_i32 s4, 0x80
	v_cmp_eq_u16_sdwa s[12:13], v8, s4 src0_sel:BYTE_0 src1_sel:DWORD
	s_mov_b64 s[4:5], -1
                                        ; implicit-def: $sgpr10
	s_and_saveexec_b64 s[8:9], s[12:13]
; %bb.3522:
	s_mov_b32 s10, 0x7f800001
	s_xor_b64 s[4:5], exec, -1
; %bb.3523:
	s_or_b64 exec, exec, s[8:9]
	s_and_b64 s[4:5], s[4:5], exec
	s_or_saveexec_b64 s[6:7], s[6:7]
	v_mov_b32_e32 v2, s10
	s_xor_b64 exec, exec, s[6:7]
	s_cbranch_execz .LBB24_1474
.LBB24_3524:
	v_mov_b32_e32 v2, 0
	v_cmp_ne_u16_sdwa s[8:9], v8, v2 src0_sel:BYTE_0 src1_sel:DWORD
	s_andn2_b64 s[4:5], s[4:5], exec
	s_and_b64 s[8:9], s[8:9], exec
	s_or_b64 s[4:5], s[4:5], s[8:9]
	s_or_b64 exec, exec, s[6:7]
	s_and_saveexec_b64 s[6:7], s[4:5]
	s_cbranch_execnz .LBB24_1475
	s_branch .LBB24_1476
.LBB24_3525:
	s_movk_i32 s4, 0x80
	v_cmp_eq_u16_sdwa s[12:13], v4, s4 src0_sel:BYTE_0 src1_sel:DWORD
	s_mov_b64 s[4:5], -1
                                        ; implicit-def: $sgpr10
	s_and_saveexec_b64 s[8:9], s[12:13]
; %bb.3526:
	s_mov_b32 s10, 0x7f800001
	s_xor_b64 s[4:5], exec, -1
; %bb.3527:
	s_or_b64 exec, exec, s[8:9]
	s_and_b64 s[4:5], s[4:5], exec
	s_or_saveexec_b64 s[6:7], s[6:7]
	v_mov_b32_e32 v3, s10
	s_xor_b64 exec, exec, s[6:7]
	s_cbranch_execz .LBB24_1478
.LBB24_3528:
	v_mov_b32_e32 v3, 0
	v_cmp_ne_u16_sdwa s[8:9], v4, v3 src0_sel:BYTE_0 src1_sel:DWORD
	s_andn2_b64 s[4:5], s[4:5], exec
	s_and_b64 s[8:9], s[8:9], exec
	s_or_b64 s[4:5], s[4:5], s[8:9]
	s_or_b64 exec, exec, s[6:7]
	s_and_saveexec_b64 s[6:7], s[4:5]
	s_cbranch_execnz .LBB24_1479
	s_branch .LBB24_1480
.LBB24_3529:
	s_movk_i32 s4, 0x80
	v_cmp_eq_u16_sdwa s[12:13], v3, s4 src0_sel:BYTE_0 src1_sel:DWORD
	s_mov_b64 s[4:5], -1
                                        ; implicit-def: $sgpr10
	s_and_saveexec_b64 s[8:9], s[12:13]
; %bb.3530:
	s_mov_b32 s10, 0x7f800001
	s_xor_b64 s[4:5], exec, -1
; %bb.3531:
	s_or_b64 exec, exec, s[8:9]
	s_and_b64 s[4:5], s[4:5], exec
	s_or_saveexec_b64 s[6:7], s[6:7]
	v_mov_b32_e32 v2, s10
	s_xor_b64 exec, exec, s[6:7]
	s_cbranch_execz .LBB24_1482
.LBB24_3532:
	v_mov_b32_e32 v2, 0
	v_cmp_ne_u16_sdwa s[8:9], v3, v2 src0_sel:BYTE_0 src1_sel:DWORD
	s_andn2_b64 s[4:5], s[4:5], exec
	s_and_b64 s[8:9], s[8:9], exec
	s_or_b64 s[4:5], s[4:5], s[8:9]
	s_or_b64 exec, exec, s[6:7]
	s_and_saveexec_b64 s[6:7], s[4:5]
	s_cbranch_execnz .LBB24_1483
	s_branch .LBB24_1484
.LBB24_3533:
	s_movk_i32 s4, 0x80
	v_cmp_eq_u16_sdwa s[12:13], v3, s4 src0_sel:BYTE_0 src1_sel:DWORD
	s_mov_b64 s[4:5], -1
                                        ; implicit-def: $sgpr10
	s_and_saveexec_b64 s[8:9], s[12:13]
; %bb.3534:
	s_mov_b32 s10, 0x7f800001
	s_xor_b64 s[4:5], exec, -1
; %bb.3535:
	s_or_b64 exec, exec, s[8:9]
	s_and_b64 s[4:5], s[4:5], exec
	s_or_saveexec_b64 s[6:7], s[6:7]
	v_mov_b32_e32 v6, s10
	s_xor_b64 exec, exec, s[6:7]
	s_cbranch_execz .LBB24_1486
.LBB24_3536:
	v_mov_b32_e32 v6, 0
	v_cmp_ne_u16_sdwa s[8:9], v3, v6 src0_sel:BYTE_0 src1_sel:DWORD
	s_andn2_b64 s[4:5], s[4:5], exec
	s_and_b64 s[8:9], s[8:9], exec
	s_or_b64 s[4:5], s[4:5], s[8:9]
	s_or_b64 exec, exec, s[6:7]
	s_and_saveexec_b64 s[6:7], s[4:5]
	s_cbranch_execnz .LBB24_1487
	s_branch .LBB24_1488
.LBB24_3537:
	s_movk_i32 s4, 0x80
	v_cmp_eq_u16_e32 vcc, s4, v3
	s_mov_b64 s[4:5], -1
                                        ; implicit-def: $sgpr10
	s_and_saveexec_b64 s[8:9], vcc
; %bb.3538:
	s_mov_b32 s10, 0x7f800001
	s_xor_b64 s[4:5], exec, -1
; %bb.3539:
	s_or_b64 exec, exec, s[8:9]
	s_and_b64 s[4:5], s[4:5], exec
                                        ; implicit-def: $vgpr3
	s_or_saveexec_b64 s[6:7], s[6:7]
	v_mov_b32_e32 v2, s10
	s_xor_b64 exec, exec, s[6:7]
	s_cbranch_execz .LBB24_1490
.LBB24_3540:
	v_cmp_ne_u16_e32 vcc, 0, v3
	s_andn2_b64 s[4:5], s[4:5], exec
	s_and_b64 s[8:9], vcc, exec
	v_mov_b32_e32 v2, 0
	s_or_b64 s[4:5], s[4:5], s[8:9]
	s_or_b64 exec, exec, s[6:7]
	s_and_saveexec_b64 s[6:7], s[4:5]
	s_cbranch_execnz .LBB24_1491
	s_branch .LBB24_1492
.LBB24_3541:
	s_movk_i32 s4, 0x80
	v_cmp_eq_u16_e32 vcc, s4, v3
	s_mov_b64 s[4:5], -1
                                        ; implicit-def: $sgpr10
	s_and_saveexec_b64 s[8:9], vcc
; %bb.3542:
	s_mov_b32 s10, 0x7f800001
	s_xor_b64 s[4:5], exec, -1
; %bb.3543:
	s_or_b64 exec, exec, s[8:9]
	s_and_b64 s[4:5], s[4:5], exec
                                        ; implicit-def: $vgpr3
	s_or_saveexec_b64 s[6:7], s[6:7]
	v_mov_b32_e32 v6, s10
	s_xor_b64 exec, exec, s[6:7]
	s_cbranch_execz .LBB24_1494
.LBB24_3544:
	v_cmp_ne_u16_e32 vcc, 0, v3
	s_andn2_b64 s[4:5], s[4:5], exec
	s_and_b64 s[8:9], vcc, exec
	v_mov_b32_e32 v6, 0
	s_or_b64 s[4:5], s[4:5], s[8:9]
	s_or_b64 exec, exec, s[6:7]
	s_and_saveexec_b64 s[6:7], s[4:5]
	s_cbranch_execnz .LBB24_1495
	s_branch .LBB24_1496
.LBB24_3545:
	s_movk_i32 s4, 0x80
	v_cmp_eq_u16_sdwa s[12:13], v8, s4 src0_sel:BYTE_3 src1_sel:DWORD
	s_mov_b64 s[4:5], -1
                                        ; implicit-def: $sgpr10
	s_and_saveexec_b64 s[8:9], s[12:13]
; %bb.3546:
	s_mov_b32 s10, 0x7f800001
	s_xor_b64 s[4:5], exec, -1
; %bb.3547:
	s_or_b64 exec, exec, s[8:9]
	s_and_b64 s[4:5], s[4:5], exec
	s_or_saveexec_b64 s[6:7], s[6:7]
	v_mov_b32_e32 v2, s10
	s_xor_b64 exec, exec, s[6:7]
	s_cbranch_execz .LBB24_1498
.LBB24_3548:
	v_mov_b32_e32 v2, 0
	v_cmp_ne_u16_sdwa s[8:9], v8, v2 src0_sel:BYTE_3 src1_sel:DWORD
	s_andn2_b64 s[4:5], s[4:5], exec
	s_and_b64 s[8:9], s[8:9], exec
	s_or_b64 s[4:5], s[4:5], s[8:9]
	s_or_b64 exec, exec, s[6:7]
	s_and_saveexec_b64 s[6:7], s[4:5]
	s_cbranch_execnz .LBB24_1499
	s_branch .LBB24_1500
.LBB24_3549:
	s_movk_i32 s4, 0x80
	v_cmp_eq_u16_sdwa s[12:13], v4, s4 src0_sel:BYTE_3 src1_sel:DWORD
	s_mov_b64 s[4:5], -1
                                        ; implicit-def: $sgpr10
	s_and_saveexec_b64 s[8:9], s[12:13]
; %bb.3550:
	s_mov_b32 s10, 0x7f800001
	s_xor_b64 s[4:5], exec, -1
; %bb.3551:
	s_or_b64 exec, exec, s[8:9]
	s_and_b64 s[4:5], s[4:5], exec
	s_or_saveexec_b64 s[6:7], s[6:7]
	v_mov_b32_e32 v3, s10
	s_xor_b64 exec, exec, s[6:7]
	s_cbranch_execz .LBB24_1502
.LBB24_3552:
	v_mov_b32_e32 v3, 0
	v_cmp_ne_u16_sdwa s[8:9], v4, v3 src0_sel:BYTE_3 src1_sel:DWORD
	s_andn2_b64 s[4:5], s[4:5], exec
	s_and_b64 s[8:9], s[8:9], exec
	s_or_b64 s[4:5], s[4:5], s[8:9]
	s_or_b64 exec, exec, s[6:7]
	s_and_saveexec_b64 s[6:7], s[4:5]
	s_cbranch_execnz .LBB24_1503
	s_branch .LBB24_1504
.LBB24_3553:
	s_movk_i32 s4, 0x80
	v_cmp_eq_u16_sdwa s[12:13], v9, s4 src0_sel:BYTE_0 src1_sel:DWORD
	s_mov_b64 s[4:5], -1
                                        ; implicit-def: $sgpr10
	s_and_saveexec_b64 s[8:9], s[12:13]
; %bb.3554:
	s_mov_b32 s10, 0x7f800001
	s_xor_b64 s[4:5], exec, -1
; %bb.3555:
	s_or_b64 exec, exec, s[8:9]
	s_and_b64 s[4:5], s[4:5], exec
	s_or_saveexec_b64 s[6:7], s[6:7]
	v_mov_b32_e32 v2, s10
	s_xor_b64 exec, exec, s[6:7]
	s_cbranch_execz .LBB24_1506
.LBB24_3556:
	v_mov_b32_e32 v2, 0
	v_cmp_ne_u16_sdwa s[8:9], v9, v2 src0_sel:BYTE_0 src1_sel:DWORD
	s_andn2_b64 s[4:5], s[4:5], exec
	s_and_b64 s[8:9], s[8:9], exec
	s_or_b64 s[4:5], s[4:5], s[8:9]
	s_or_b64 exec, exec, s[6:7]
	s_and_saveexec_b64 s[6:7], s[4:5]
	s_cbranch_execnz .LBB24_1507
	s_branch .LBB24_1508
.LBB24_3557:
	s_movk_i32 s4, 0x80
	v_cmp_eq_u16_sdwa s[12:13], v5, s4 src0_sel:BYTE_0 src1_sel:DWORD
	s_mov_b64 s[4:5], -1
                                        ; implicit-def: $sgpr10
	s_and_saveexec_b64 s[8:9], s[12:13]
; %bb.3558:
	s_mov_b32 s10, 0x7f800001
	s_xor_b64 s[4:5], exec, -1
; %bb.3559:
	s_or_b64 exec, exec, s[8:9]
	s_and_b64 s[4:5], s[4:5], exec
	s_or_saveexec_b64 s[6:7], s[6:7]
	v_mov_b32_e32 v3, s10
	s_xor_b64 exec, exec, s[6:7]
	s_cbranch_execz .LBB24_1510
.LBB24_3560:
	v_mov_b32_e32 v3, 0
	v_cmp_ne_u16_sdwa s[8:9], v5, v3 src0_sel:BYTE_0 src1_sel:DWORD
	s_andn2_b64 s[4:5], s[4:5], exec
	s_and_b64 s[8:9], s[8:9], exec
	s_or_b64 s[4:5], s[4:5], s[8:9]
	s_or_b64 exec, exec, s[6:7]
	s_and_saveexec_b64 s[6:7], s[4:5]
	s_cbranch_execnz .LBB24_1511
	s_branch .LBB24_1512
.LBB24_3561:
	s_movk_i32 s4, 0x80
	v_cmp_eq_u16_sdwa s[12:13], v3, s4 src0_sel:BYTE_0 src1_sel:DWORD
	s_mov_b64 s[4:5], -1
                                        ; implicit-def: $sgpr10
	s_and_saveexec_b64 s[8:9], s[12:13]
; %bb.3562:
	s_mov_b32 s10, 0x7f800001
	s_xor_b64 s[4:5], exec, -1
; %bb.3563:
	s_or_b64 exec, exec, s[8:9]
	s_and_b64 s[4:5], s[4:5], exec
	s_or_saveexec_b64 s[6:7], s[6:7]
	v_mov_b32_e32 v2, s10
	s_xor_b64 exec, exec, s[6:7]
	s_cbranch_execz .LBB24_1514
.LBB24_3564:
	v_mov_b32_e32 v2, 0
	v_cmp_ne_u16_sdwa s[8:9], v3, v2 src0_sel:BYTE_0 src1_sel:DWORD
	s_andn2_b64 s[4:5], s[4:5], exec
	s_and_b64 s[8:9], s[8:9], exec
	s_or_b64 s[4:5], s[4:5], s[8:9]
	s_or_b64 exec, exec, s[6:7]
	s_and_saveexec_b64 s[6:7], s[4:5]
	s_cbranch_execnz .LBB24_1515
	s_branch .LBB24_1516
.LBB24_3565:
	s_movk_i32 s4, 0x80
	v_cmp_eq_u16_sdwa s[12:13], v3, s4 src0_sel:BYTE_0 src1_sel:DWORD
	s_mov_b64 s[4:5], -1
                                        ; implicit-def: $sgpr10
	s_and_saveexec_b64 s[8:9], s[12:13]
; %bb.3566:
	s_mov_b32 s10, 0x7f800001
	s_xor_b64 s[4:5], exec, -1
; %bb.3567:
	s_or_b64 exec, exec, s[8:9]
	s_and_b64 s[4:5], s[4:5], exec
	s_or_saveexec_b64 s[6:7], s[6:7]
	v_mov_b32_e32 v4, s10
	s_xor_b64 exec, exec, s[6:7]
	s_cbranch_execz .LBB24_1518
.LBB24_3568:
	v_mov_b32_e32 v4, 0
	v_cmp_ne_u16_sdwa s[8:9], v3, v4 src0_sel:BYTE_0 src1_sel:DWORD
	s_andn2_b64 s[4:5], s[4:5], exec
	s_and_b64 s[8:9], s[8:9], exec
	s_or_b64 s[4:5], s[4:5], s[8:9]
	s_or_b64 exec, exec, s[6:7]
	s_and_saveexec_b64 s[6:7], s[4:5]
	s_cbranch_execnz .LBB24_1519
	s_branch .LBB24_1520
.LBB24_3569:
	s_movk_i32 s4, 0x80
	v_cmp_eq_u16_e32 vcc, s4, v3
	s_mov_b64 s[4:5], -1
                                        ; implicit-def: $sgpr10
	s_and_saveexec_b64 s[8:9], vcc
; %bb.3570:
	s_mov_b32 s10, 0x7f800001
	s_xor_b64 s[4:5], exec, -1
; %bb.3571:
	s_or_b64 exec, exec, s[8:9]
	s_and_b64 s[4:5], s[4:5], exec
                                        ; implicit-def: $vgpr3
	s_or_saveexec_b64 s[6:7], s[6:7]
	v_mov_b32_e32 v2, s10
	s_xor_b64 exec, exec, s[6:7]
	s_cbranch_execz .LBB24_1522
.LBB24_3572:
	v_cmp_ne_u16_e32 vcc, 0, v3
	s_andn2_b64 s[4:5], s[4:5], exec
	s_and_b64 s[8:9], vcc, exec
	v_mov_b32_e32 v2, 0
	s_or_b64 s[4:5], s[4:5], s[8:9]
	s_or_b64 exec, exec, s[6:7]
	s_and_saveexec_b64 s[6:7], s[4:5]
	s_cbranch_execnz .LBB24_1523
	s_branch .LBB24_1524
.LBB24_3573:
	s_movk_i32 s4, 0x80
	v_cmp_eq_u16_e32 vcc, s4, v3
	s_mov_b64 s[4:5], -1
                                        ; implicit-def: $sgpr10
	s_and_saveexec_b64 s[8:9], vcc
; %bb.3574:
	s_mov_b32 s10, 0x7f800001
	s_xor_b64 s[4:5], exec, -1
; %bb.3575:
	s_or_b64 exec, exec, s[8:9]
	s_and_b64 s[4:5], s[4:5], exec
                                        ; implicit-def: $vgpr3
	s_or_saveexec_b64 s[6:7], s[6:7]
	v_mov_b32_e32 v4, s10
	s_xor_b64 exec, exec, s[6:7]
	s_cbranch_execz .LBB24_1526
.LBB24_3576:
	v_cmp_ne_u16_e32 vcc, 0, v3
	s_andn2_b64 s[4:5], s[4:5], exec
	s_and_b64 s[8:9], vcc, exec
	v_mov_b32_e32 v4, 0
	s_or_b64 s[4:5], s[4:5], s[8:9]
	s_or_b64 exec, exec, s[6:7]
	s_and_saveexec_b64 s[6:7], s[4:5]
	s_cbranch_execnz .LBB24_1527
	s_branch .LBB24_1528
.LBB24_3577:
	s_movk_i32 s4, 0x80
	v_cmp_eq_u16_sdwa s[12:13], v9, s4 src0_sel:BYTE_3 src1_sel:DWORD
	s_mov_b64 s[4:5], -1
                                        ; implicit-def: $sgpr10
	s_and_saveexec_b64 s[8:9], s[12:13]
; %bb.3578:
	s_mov_b32 s10, 0x7f800001
	s_xor_b64 s[4:5], exec, -1
; %bb.3579:
	s_or_b64 exec, exec, s[8:9]
	s_and_b64 s[4:5], s[4:5], exec
	s_or_saveexec_b64 s[6:7], s[6:7]
	v_mov_b32_e32 v2, s10
	s_xor_b64 exec, exec, s[6:7]
	s_cbranch_execz .LBB24_1530
.LBB24_3580:
	v_mov_b32_e32 v2, 0
	v_cmp_ne_u16_sdwa s[8:9], v9, v2 src0_sel:BYTE_3 src1_sel:DWORD
	s_andn2_b64 s[4:5], s[4:5], exec
	s_and_b64 s[8:9], s[8:9], exec
	s_or_b64 s[4:5], s[4:5], s[8:9]
	s_or_b64 exec, exec, s[6:7]
	s_and_saveexec_b64 s[6:7], s[4:5]
	s_cbranch_execnz .LBB24_1531
	s_branch .LBB24_1532
.LBB24_3581:
	s_movk_i32 s4, 0x80
	v_cmp_eq_u16_sdwa s[12:13], v5, s4 src0_sel:BYTE_3 src1_sel:DWORD
	s_mov_b64 s[4:5], -1
                                        ; implicit-def: $sgpr10
	s_and_saveexec_b64 s[8:9], s[12:13]
; %bb.3582:
	s_mov_b32 s10, 0x7f800001
	s_xor_b64 s[4:5], exec, -1
; %bb.3583:
	s_or_b64 exec, exec, s[8:9]
	s_and_b64 s[4:5], s[4:5], exec
	s_or_saveexec_b64 s[6:7], s[6:7]
	v_mov_b32_e32 v3, s10
	s_xor_b64 exec, exec, s[6:7]
	s_cbranch_execz .LBB24_1534
.LBB24_3584:
	v_mov_b32_e32 v3, 0
	v_cmp_ne_u16_sdwa s[8:9], v5, v3 src0_sel:BYTE_3 src1_sel:DWORD
	s_andn2_b64 s[4:5], s[4:5], exec
	s_and_b64 s[8:9], s[8:9], exec
	s_or_b64 s[4:5], s[4:5], s[8:9]
	s_or_b64 exec, exec, s[6:7]
	s_and_saveexec_b64 s[6:7], s[4:5]
	s_cbranch_execnz .LBB24_1535
	s_branch .LBB24_1536
.LBB24_3585:
	s_movk_i32 s4, 0x80
	v_cmp_eq_u16_sdwa s[12:13], v14, s4 src0_sel:BYTE_0 src1_sel:DWORD
	s_mov_b64 s[4:5], -1
                                        ; implicit-def: $sgpr10
	s_and_saveexec_b64 s[8:9], s[12:13]
; %bb.3586:
	s_mov_b32 s10, 0x7f800001
	s_xor_b64 s[4:5], exec, -1
; %bb.3587:
	s_or_b64 exec, exec, s[8:9]
	s_and_b64 s[4:5], s[4:5], exec
	s_or_saveexec_b64 s[6:7], s[6:7]
	v_mov_b32_e32 v20, s10
	s_xor_b64 exec, exec, s[6:7]
	s_cbranch_execz .LBB24_1538
.LBB24_3588:
	v_mov_b32_e32 v20, 0
	v_cmp_ne_u16_sdwa s[8:9], v14, v20 src0_sel:BYTE_0 src1_sel:DWORD
	s_andn2_b64 s[4:5], s[4:5], exec
	s_and_b64 s[8:9], s[8:9], exec
	s_or_b64 s[4:5], s[4:5], s[8:9]
	s_or_b64 exec, exec, s[6:7]
	s_and_saveexec_b64 s[6:7], s[4:5]
	s_cbranch_execnz .LBB24_1539
	s_branch .LBB24_1540
.LBB24_3589:
	s_movk_i32 s4, 0x80
	v_cmp_eq_u16_sdwa s[12:13], v10, s4 src0_sel:BYTE_0 src1_sel:DWORD
	s_mov_b64 s[4:5], -1
                                        ; implicit-def: $sgpr10
	s_and_saveexec_b64 s[8:9], s[12:13]
; %bb.3590:
	s_mov_b32 s10, 0x7f800001
	s_xor_b64 s[4:5], exec, -1
; %bb.3591:
	s_or_b64 exec, exec, s[8:9]
	s_and_b64 s[4:5], s[4:5], exec
	s_or_saveexec_b64 s[6:7], s[6:7]
	v_mov_b32_e32 v21, s10
	s_xor_b64 exec, exec, s[6:7]
	s_cbranch_execz .LBB24_1542
.LBB24_3592:
	v_mov_b32_e32 v21, 0
	v_cmp_ne_u16_sdwa s[8:9], v10, v21 src0_sel:BYTE_0 src1_sel:DWORD
	s_andn2_b64 s[4:5], s[4:5], exec
	s_and_b64 s[8:9], s[8:9], exec
	s_or_b64 s[4:5], s[4:5], s[8:9]
	s_or_b64 exec, exec, s[6:7]
	s_and_saveexec_b64 s[6:7], s[4:5]
	s_cbranch_execnz .LBB24_1543
	s_branch .LBB24_1544
.LBB24_3593:
	s_movk_i32 s4, 0x80
	v_cmp_eq_u16_sdwa s[12:13], v21, s4 src0_sel:BYTE_0 src1_sel:DWORD
	s_mov_b64 s[4:5], -1
                                        ; implicit-def: $sgpr10
	s_and_saveexec_b64 s[8:9], s[12:13]
; %bb.3594:
	s_mov_b32 s10, 0x7f800001
	s_xor_b64 s[4:5], exec, -1
; %bb.3595:
	s_or_b64 exec, exec, s[8:9]
	s_and_b64 s[4:5], s[4:5], exec
	s_or_saveexec_b64 s[6:7], s[6:7]
	v_mov_b32_e32 v20, s10
	s_xor_b64 exec, exec, s[6:7]
	s_cbranch_execz .LBB24_1546
.LBB24_3596:
	v_mov_b32_e32 v20, 0
	v_cmp_ne_u16_sdwa s[8:9], v21, v20 src0_sel:BYTE_0 src1_sel:DWORD
	s_andn2_b64 s[4:5], s[4:5], exec
	s_and_b64 s[8:9], s[8:9], exec
	s_or_b64 s[4:5], s[4:5], s[8:9]
	s_or_b64 exec, exec, s[6:7]
	s_and_saveexec_b64 s[6:7], s[4:5]
	s_cbranch_execnz .LBB24_1547
	s_branch .LBB24_1548
.LBB24_3597:
	s_movk_i32 s4, 0x80
	v_cmp_eq_u16_sdwa s[12:13], v21, s4 src0_sel:BYTE_0 src1_sel:DWORD
	s_mov_b64 s[4:5], -1
                                        ; implicit-def: $sgpr10
	s_and_saveexec_b64 s[8:9], s[12:13]
; %bb.3598:
	s_mov_b32 s10, 0x7f800001
	s_xor_b64 s[4:5], exec, -1
; %bb.3599:
	s_or_b64 exec, exec, s[8:9]
	s_and_b64 s[4:5], s[4:5], exec
	s_or_saveexec_b64 s[6:7], s[6:7]
	v_mov_b32_e32 v22, s10
	s_xor_b64 exec, exec, s[6:7]
	s_cbranch_execz .LBB24_1550
.LBB24_3600:
	v_mov_b32_e32 v22, 0
	v_cmp_ne_u16_sdwa s[8:9], v21, v22 src0_sel:BYTE_0 src1_sel:DWORD
	s_andn2_b64 s[4:5], s[4:5], exec
	s_and_b64 s[8:9], s[8:9], exec
	s_or_b64 s[4:5], s[4:5], s[8:9]
	s_or_b64 exec, exec, s[6:7]
	s_and_saveexec_b64 s[6:7], s[4:5]
	s_cbranch_execnz .LBB24_1551
	s_branch .LBB24_1552
.LBB24_3601:
	s_movk_i32 s4, 0x80
	v_cmp_eq_u16_e32 vcc, s4, v21
	s_mov_b64 s[4:5], -1
                                        ; implicit-def: $sgpr10
	s_and_saveexec_b64 s[8:9], vcc
; %bb.3602:
	s_mov_b32 s10, 0x7f800001
	s_xor_b64 s[4:5], exec, -1
; %bb.3603:
	s_or_b64 exec, exec, s[8:9]
	s_and_b64 s[4:5], s[4:5], exec
                                        ; implicit-def: $vgpr21
	s_or_saveexec_b64 s[6:7], s[6:7]
	v_mov_b32_e32 v20, s10
	s_xor_b64 exec, exec, s[6:7]
	s_cbranch_execz .LBB24_1554
.LBB24_3604:
	v_cmp_ne_u16_e32 vcc, 0, v21
	s_andn2_b64 s[4:5], s[4:5], exec
	s_and_b64 s[8:9], vcc, exec
	v_mov_b32_e32 v20, 0
	s_or_b64 s[4:5], s[4:5], s[8:9]
	s_or_b64 exec, exec, s[6:7]
	s_and_saveexec_b64 s[6:7], s[4:5]
	s_cbranch_execnz .LBB24_1555
	s_branch .LBB24_1556
.LBB24_3605:
	s_movk_i32 s4, 0x80
	v_cmp_eq_u16_e32 vcc, s4, v21
	s_mov_b64 s[4:5], -1
                                        ; implicit-def: $sgpr10
	s_and_saveexec_b64 s[8:9], vcc
; %bb.3606:
	s_mov_b32 s10, 0x7f800001
	s_xor_b64 s[4:5], exec, -1
; %bb.3607:
	s_or_b64 exec, exec, s[8:9]
	s_and_b64 s[4:5], s[4:5], exec
                                        ; implicit-def: $vgpr21
	s_or_saveexec_b64 s[6:7], s[6:7]
	v_mov_b32_e32 v22, s10
	s_xor_b64 exec, exec, s[6:7]
	s_cbranch_execz .LBB24_1558
.LBB24_3608:
	v_cmp_ne_u16_e32 vcc, 0, v21
	s_andn2_b64 s[4:5], s[4:5], exec
	s_and_b64 s[8:9], vcc, exec
	v_mov_b32_e32 v22, 0
	s_or_b64 s[4:5], s[4:5], s[8:9]
	s_or_b64 exec, exec, s[6:7]
	s_and_saveexec_b64 s[6:7], s[4:5]
	s_cbranch_execnz .LBB24_1559
	s_branch .LBB24_1560
.LBB24_3609:
	s_movk_i32 s4, 0x80
	v_cmp_eq_u16_sdwa s[12:13], v14, s4 src0_sel:BYTE_3 src1_sel:DWORD
	s_mov_b64 s[4:5], -1
                                        ; implicit-def: $sgpr10
	s_and_saveexec_b64 s[8:9], s[12:13]
; %bb.3610:
	s_mov_b32 s10, 0x7f800001
	s_xor_b64 s[4:5], exec, -1
; %bb.3611:
	s_or_b64 exec, exec, s[8:9]
	s_and_b64 s[4:5], s[4:5], exec
	s_or_saveexec_b64 s[6:7], s[6:7]
	v_mov_b32_e32 v20, s10
	s_xor_b64 exec, exec, s[6:7]
	s_cbranch_execz .LBB24_1562
.LBB24_3612:
	v_mov_b32_e32 v20, 0
	v_cmp_ne_u16_sdwa s[8:9], v14, v20 src0_sel:BYTE_3 src1_sel:DWORD
	s_andn2_b64 s[4:5], s[4:5], exec
	s_and_b64 s[8:9], s[8:9], exec
	s_or_b64 s[4:5], s[4:5], s[8:9]
	s_or_b64 exec, exec, s[6:7]
	s_and_saveexec_b64 s[6:7], s[4:5]
	s_cbranch_execnz .LBB24_1563
	s_branch .LBB24_1564
.LBB24_3613:
	s_movk_i32 s4, 0x80
	v_cmp_eq_u16_sdwa s[12:13], v10, s4 src0_sel:BYTE_3 src1_sel:DWORD
	s_mov_b64 s[4:5], -1
                                        ; implicit-def: $sgpr10
	s_and_saveexec_b64 s[8:9], s[12:13]
; %bb.3614:
	s_mov_b32 s10, 0x7f800001
	s_xor_b64 s[4:5], exec, -1
; %bb.3615:
	s_or_b64 exec, exec, s[8:9]
	s_and_b64 s[4:5], s[4:5], exec
	s_or_saveexec_b64 s[6:7], s[6:7]
	v_mov_b32_e32 v14, s10
	s_xor_b64 exec, exec, s[6:7]
	s_cbranch_execz .LBB24_1566
.LBB24_3616:
	v_mov_b32_e32 v14, 0
	v_cmp_ne_u16_sdwa s[8:9], v10, v14 src0_sel:BYTE_3 src1_sel:DWORD
	s_andn2_b64 s[4:5], s[4:5], exec
	s_and_b64 s[8:9], s[8:9], exec
	s_or_b64 s[4:5], s[4:5], s[8:9]
	s_or_b64 exec, exec, s[6:7]
	s_and_saveexec_b64 s[6:7], s[4:5]
	s_cbranch_execnz .LBB24_1567
	s_branch .LBB24_1568
.LBB24_3617:
	s_movk_i32 s4, 0x80
	v_cmp_eq_u16_sdwa s[12:13], v15, s4 src0_sel:BYTE_0 src1_sel:DWORD
	s_mov_b64 s[4:5], -1
                                        ; implicit-def: $sgpr10
	s_and_saveexec_b64 s[8:9], s[12:13]
; %bb.3618:
	s_mov_b32 s10, 0x7f800001
	s_xor_b64 s[4:5], exec, -1
; %bb.3619:
	s_or_b64 exec, exec, s[8:9]
	s_and_b64 s[4:5], s[4:5], exec
	s_or_saveexec_b64 s[6:7], s[6:7]
	v_mov_b32_e32 v10, s10
	s_xor_b64 exec, exec, s[6:7]
	s_cbranch_execz .LBB24_1570
.LBB24_3620:
	v_mov_b32_e32 v10, 0
	v_cmp_ne_u16_sdwa s[8:9], v15, v10 src0_sel:BYTE_0 src1_sel:DWORD
	s_andn2_b64 s[4:5], s[4:5], exec
	s_and_b64 s[8:9], s[8:9], exec
	s_or_b64 s[4:5], s[4:5], s[8:9]
	s_or_b64 exec, exec, s[6:7]
	s_and_saveexec_b64 s[6:7], s[4:5]
	s_cbranch_execnz .LBB24_1571
	s_branch .LBB24_1572
.LBB24_3621:
	s_movk_i32 s4, 0x80
	v_cmp_eq_u16_sdwa s[12:13], v11, s4 src0_sel:BYTE_0 src1_sel:DWORD
	s_mov_b64 s[4:5], -1
                                        ; implicit-def: $sgpr10
	s_and_saveexec_b64 s[8:9], s[12:13]
; %bb.3622:
	s_mov_b32 s10, 0x7f800001
	s_xor_b64 s[4:5], exec, -1
; %bb.3623:
	s_or_b64 exec, exec, s[8:9]
	s_and_b64 s[4:5], s[4:5], exec
	s_or_saveexec_b64 s[6:7], s[6:7]
	v_mov_b32_e32 v14, s10
	s_xor_b64 exec, exec, s[6:7]
	s_cbranch_execz .LBB24_1574
.LBB24_3624:
	v_mov_b32_e32 v14, 0
	v_cmp_ne_u16_sdwa s[8:9], v11, v14 src0_sel:BYTE_0 src1_sel:DWORD
	s_andn2_b64 s[4:5], s[4:5], exec
	s_and_b64 s[8:9], s[8:9], exec
	s_or_b64 s[4:5], s[4:5], s[8:9]
	s_or_b64 exec, exec, s[6:7]
	s_and_saveexec_b64 s[6:7], s[4:5]
	s_cbranch_execnz .LBB24_1575
	s_branch .LBB24_1576
.LBB24_3625:
	s_movk_i32 s4, 0x80
	v_cmp_eq_u16_sdwa s[12:13], v14, s4 src0_sel:BYTE_0 src1_sel:DWORD
	s_mov_b64 s[4:5], -1
                                        ; implicit-def: $sgpr10
	s_and_saveexec_b64 s[8:9], s[12:13]
; %bb.3626:
	s_mov_b32 s10, 0x7f800001
	s_xor_b64 s[4:5], exec, -1
; %bb.3627:
	s_or_b64 exec, exec, s[8:9]
	s_and_b64 s[4:5], s[4:5], exec
	s_or_saveexec_b64 s[6:7], s[6:7]
	v_mov_b32_e32 v10, s10
	s_xor_b64 exec, exec, s[6:7]
	s_cbranch_execz .LBB24_1578
.LBB24_3628:
	v_mov_b32_e32 v10, 0
	v_cmp_ne_u16_sdwa s[8:9], v14, v10 src0_sel:BYTE_0 src1_sel:DWORD
	s_andn2_b64 s[4:5], s[4:5], exec
	s_and_b64 s[8:9], s[8:9], exec
	s_or_b64 s[4:5], s[4:5], s[8:9]
	s_or_b64 exec, exec, s[6:7]
	s_and_saveexec_b64 s[6:7], s[4:5]
	s_cbranch_execnz .LBB24_1579
	s_branch .LBB24_1580
.LBB24_3629:
	s_movk_i32 s4, 0x80
	v_cmp_eq_u16_sdwa s[12:13], v14, s4 src0_sel:BYTE_0 src1_sel:DWORD
	s_mov_b64 s[4:5], -1
                                        ; implicit-def: $sgpr10
	s_and_saveexec_b64 s[8:9], s[12:13]
; %bb.3630:
	s_mov_b32 s10, 0x7f800001
	s_xor_b64 s[4:5], exec, -1
; %bb.3631:
	s_or_b64 exec, exec, s[8:9]
	s_and_b64 s[4:5], s[4:5], exec
	s_or_saveexec_b64 s[6:7], s[6:7]
	v_mov_b32_e32 v20, s10
	s_xor_b64 exec, exec, s[6:7]
	s_cbranch_execz .LBB24_1582
.LBB24_3632:
	v_mov_b32_e32 v20, 0
	v_cmp_ne_u16_sdwa s[8:9], v14, v20 src0_sel:BYTE_0 src1_sel:DWORD
	s_andn2_b64 s[4:5], s[4:5], exec
	s_and_b64 s[8:9], s[8:9], exec
	s_or_b64 s[4:5], s[4:5], s[8:9]
	s_or_b64 exec, exec, s[6:7]
	s_and_saveexec_b64 s[6:7], s[4:5]
	s_cbranch_execnz .LBB24_1583
	s_branch .LBB24_1584
.LBB24_3633:
	s_movk_i32 s4, 0x80
	v_cmp_eq_u16_e32 vcc, s4, v14
	s_mov_b64 s[4:5], -1
                                        ; implicit-def: $sgpr10
	s_and_saveexec_b64 s[8:9], vcc
; %bb.3634:
	s_mov_b32 s10, 0x7f800001
	s_xor_b64 s[4:5], exec, -1
; %bb.3635:
	s_or_b64 exec, exec, s[8:9]
	s_and_b64 s[4:5], s[4:5], exec
                                        ; implicit-def: $vgpr14
	s_or_saveexec_b64 s[6:7], s[6:7]
	v_mov_b32_e32 v10, s10
	s_xor_b64 exec, exec, s[6:7]
	s_cbranch_execz .LBB24_1586
.LBB24_3636:
	v_cmp_ne_u16_e32 vcc, 0, v14
	s_andn2_b64 s[4:5], s[4:5], exec
	s_and_b64 s[8:9], vcc, exec
	v_mov_b32_e32 v10, 0
	s_or_b64 s[4:5], s[4:5], s[8:9]
	s_or_b64 exec, exec, s[6:7]
	s_and_saveexec_b64 s[6:7], s[4:5]
	s_cbranch_execnz .LBB24_1587
	s_branch .LBB24_1588
.LBB24_3637:
	s_movk_i32 s4, 0x80
	v_cmp_eq_u16_e32 vcc, s4, v14
	s_mov_b64 s[4:5], -1
                                        ; implicit-def: $sgpr10
	s_and_saveexec_b64 s[8:9], vcc
; %bb.3638:
	s_mov_b32 s10, 0x7f800001
	s_xor_b64 s[4:5], exec, -1
; %bb.3639:
	s_or_b64 exec, exec, s[8:9]
	s_and_b64 s[4:5], s[4:5], exec
                                        ; implicit-def: $vgpr14
	s_or_saveexec_b64 s[6:7], s[6:7]
	v_mov_b32_e32 v20, s10
	s_xor_b64 exec, exec, s[6:7]
	s_cbranch_execz .LBB24_1590
.LBB24_3640:
	v_cmp_ne_u16_e32 vcc, 0, v14
	s_andn2_b64 s[4:5], s[4:5], exec
	s_and_b64 s[8:9], vcc, exec
	v_mov_b32_e32 v20, 0
	s_or_b64 s[4:5], s[4:5], s[8:9]
	s_or_b64 exec, exec, s[6:7]
	s_and_saveexec_b64 s[6:7], s[4:5]
	s_cbranch_execnz .LBB24_1591
	s_branch .LBB24_1592
.LBB24_3641:
	s_movk_i32 s4, 0x80
	v_cmp_eq_u16_sdwa s[12:13], v15, s4 src0_sel:BYTE_3 src1_sel:DWORD
	s_mov_b64 s[4:5], -1
                                        ; implicit-def: $sgpr10
	s_and_saveexec_b64 s[8:9], s[12:13]
; %bb.3642:
	s_mov_b32 s10, 0x7f800001
	s_xor_b64 s[4:5], exec, -1
; %bb.3643:
	s_or_b64 exec, exec, s[8:9]
	s_and_b64 s[4:5], s[4:5], exec
	s_or_saveexec_b64 s[6:7], s[6:7]
	v_mov_b32_e32 v10, s10
	s_xor_b64 exec, exec, s[6:7]
	s_cbranch_execz .LBB24_1594
.LBB24_3644:
	v_mov_b32_e32 v10, 0
	v_cmp_ne_u16_sdwa s[8:9], v15, v10 src0_sel:BYTE_3 src1_sel:DWORD
	s_andn2_b64 s[4:5], s[4:5], exec
	s_and_b64 s[8:9], s[8:9], exec
	s_or_b64 s[4:5], s[4:5], s[8:9]
	s_or_b64 exec, exec, s[6:7]
	s_and_saveexec_b64 s[6:7], s[4:5]
	s_cbranch_execnz .LBB24_1595
	s_branch .LBB24_1596
.LBB24_3645:
	s_movk_i32 s4, 0x80
	v_cmp_eq_u16_sdwa s[12:13], v11, s4 src0_sel:BYTE_3 src1_sel:DWORD
	s_mov_b64 s[4:5], -1
                                        ; implicit-def: $sgpr10
	s_and_saveexec_b64 s[8:9], s[12:13]
; %bb.3646:
	s_mov_b32 s10, 0x7f800001
	s_xor_b64 s[4:5], exec, -1
; %bb.3647:
	s_or_b64 exec, exec, s[8:9]
	s_and_b64 s[4:5], s[4:5], exec
	s_or_saveexec_b64 s[6:7], s[6:7]
	v_mov_b32_e32 v14, s10
	s_xor_b64 exec, exec, s[6:7]
	s_cbranch_execz .LBB24_1598
.LBB24_3648:
	v_mov_b32_e32 v14, 0
	v_cmp_ne_u16_sdwa s[8:9], v11, v14 src0_sel:BYTE_3 src1_sel:DWORD
	s_andn2_b64 s[4:5], s[4:5], exec
	s_and_b64 s[8:9], s[8:9], exec
	s_or_b64 s[4:5], s[4:5], s[8:9]
	s_or_b64 exec, exec, s[6:7]
	s_and_saveexec_b64 s[6:7], s[4:5]
	s_cbranch_execnz .LBB24_1599
	s_branch .LBB24_1600
.LBB24_3649:
	s_movk_i32 s4, 0x80
	v_cmp_eq_u16_sdwa s[12:13], v16, s4 src0_sel:BYTE_0 src1_sel:DWORD
	s_mov_b64 s[4:5], -1
                                        ; implicit-def: $sgpr10
	s_and_saveexec_b64 s[8:9], s[12:13]
; %bb.3650:
	s_mov_b32 s10, 0x7f800001
	s_xor_b64 s[4:5], exec, -1
; %bb.3651:
	s_or_b64 exec, exec, s[8:9]
	s_and_b64 s[4:5], s[4:5], exec
	s_or_saveexec_b64 s[6:7], s[6:7]
	v_mov_b32_e32 v10, s10
	s_xor_b64 exec, exec, s[6:7]
	s_cbranch_execz .LBB24_1602
.LBB24_3652:
	v_mov_b32_e32 v10, 0
	v_cmp_ne_u16_sdwa s[8:9], v16, v10 src0_sel:BYTE_0 src1_sel:DWORD
	s_andn2_b64 s[4:5], s[4:5], exec
	s_and_b64 s[8:9], s[8:9], exec
	s_or_b64 s[4:5], s[4:5], s[8:9]
	s_or_b64 exec, exec, s[6:7]
	s_and_saveexec_b64 s[6:7], s[4:5]
	s_cbranch_execnz .LBB24_1603
	s_branch .LBB24_1604
.LBB24_3653:
	s_movk_i32 s4, 0x80
	v_cmp_eq_u16_sdwa s[12:13], v12, s4 src0_sel:BYTE_0 src1_sel:DWORD
	s_mov_b64 s[4:5], -1
                                        ; implicit-def: $sgpr10
	s_and_saveexec_b64 s[8:9], s[12:13]
; %bb.3654:
	s_mov_b32 s10, 0x7f800001
	s_xor_b64 s[4:5], exec, -1
; %bb.3655:
	s_or_b64 exec, exec, s[8:9]
	s_and_b64 s[4:5], s[4:5], exec
	s_or_saveexec_b64 s[6:7], s[6:7]
	v_mov_b32_e32 v11, s10
	s_xor_b64 exec, exec, s[6:7]
	s_cbranch_execz .LBB24_1606
.LBB24_3656:
	v_mov_b32_e32 v11, 0
	v_cmp_ne_u16_sdwa s[8:9], v12, v11 src0_sel:BYTE_0 src1_sel:DWORD
	s_andn2_b64 s[4:5], s[4:5], exec
	s_and_b64 s[8:9], s[8:9], exec
	s_or_b64 s[4:5], s[4:5], s[8:9]
	s_or_b64 exec, exec, s[6:7]
	s_and_saveexec_b64 s[6:7], s[4:5]
	s_cbranch_execnz .LBB24_1607
	s_branch .LBB24_1608
.LBB24_3657:
	s_movk_i32 s4, 0x80
	v_cmp_eq_u16_sdwa s[12:13], v11, s4 src0_sel:BYTE_0 src1_sel:DWORD
	s_mov_b64 s[4:5], -1
                                        ; implicit-def: $sgpr10
	s_and_saveexec_b64 s[8:9], s[12:13]
; %bb.3658:
	s_mov_b32 s10, 0x7f800001
	s_xor_b64 s[4:5], exec, -1
; %bb.3659:
	s_or_b64 exec, exec, s[8:9]
	s_and_b64 s[4:5], s[4:5], exec
	s_or_saveexec_b64 s[6:7], s[6:7]
	v_mov_b32_e32 v10, s10
	s_xor_b64 exec, exec, s[6:7]
	s_cbranch_execz .LBB24_1610
.LBB24_3660:
	v_mov_b32_e32 v10, 0
	v_cmp_ne_u16_sdwa s[8:9], v11, v10 src0_sel:BYTE_0 src1_sel:DWORD
	s_andn2_b64 s[4:5], s[4:5], exec
	s_and_b64 s[8:9], s[8:9], exec
	s_or_b64 s[4:5], s[4:5], s[8:9]
	s_or_b64 exec, exec, s[6:7]
	s_and_saveexec_b64 s[6:7], s[4:5]
	s_cbranch_execnz .LBB24_1611
	s_branch .LBB24_1612
.LBB24_3661:
	s_movk_i32 s4, 0x80
	v_cmp_eq_u16_sdwa s[12:13], v11, s4 src0_sel:BYTE_0 src1_sel:DWORD
	s_mov_b64 s[4:5], -1
                                        ; implicit-def: $sgpr10
	s_and_saveexec_b64 s[8:9], s[12:13]
; %bb.3662:
	s_mov_b32 s10, 0x7f800001
	s_xor_b64 s[4:5], exec, -1
; %bb.3663:
	s_or_b64 exec, exec, s[8:9]
	s_and_b64 s[4:5], s[4:5], exec
	s_or_saveexec_b64 s[6:7], s[6:7]
	v_mov_b32_e32 v14, s10
	s_xor_b64 exec, exec, s[6:7]
	s_cbranch_execz .LBB24_1614
.LBB24_3664:
	v_mov_b32_e32 v14, 0
	v_cmp_ne_u16_sdwa s[8:9], v11, v14 src0_sel:BYTE_0 src1_sel:DWORD
	s_andn2_b64 s[4:5], s[4:5], exec
	s_and_b64 s[8:9], s[8:9], exec
	s_or_b64 s[4:5], s[4:5], s[8:9]
	s_or_b64 exec, exec, s[6:7]
	s_and_saveexec_b64 s[6:7], s[4:5]
	s_cbranch_execnz .LBB24_1615
	s_branch .LBB24_1616
.LBB24_3665:
	s_movk_i32 s4, 0x80
	v_cmp_eq_u16_e32 vcc, s4, v11
	s_mov_b64 s[4:5], -1
                                        ; implicit-def: $sgpr10
	s_and_saveexec_b64 s[8:9], vcc
; %bb.3666:
	s_mov_b32 s10, 0x7f800001
	s_xor_b64 s[4:5], exec, -1
; %bb.3667:
	s_or_b64 exec, exec, s[8:9]
	s_and_b64 s[4:5], s[4:5], exec
                                        ; implicit-def: $vgpr11
	s_or_saveexec_b64 s[6:7], s[6:7]
	v_mov_b32_e32 v10, s10
	s_xor_b64 exec, exec, s[6:7]
	s_cbranch_execz .LBB24_1618
.LBB24_3668:
	v_cmp_ne_u16_e32 vcc, 0, v11
	s_andn2_b64 s[4:5], s[4:5], exec
	s_and_b64 s[8:9], vcc, exec
	v_mov_b32_e32 v10, 0
	s_or_b64 s[4:5], s[4:5], s[8:9]
	s_or_b64 exec, exec, s[6:7]
	s_and_saveexec_b64 s[6:7], s[4:5]
	s_cbranch_execnz .LBB24_1619
	s_branch .LBB24_1620
.LBB24_3669:
	s_movk_i32 s4, 0x80
	v_cmp_eq_u16_e32 vcc, s4, v11
	s_mov_b64 s[4:5], -1
                                        ; implicit-def: $sgpr10
	s_and_saveexec_b64 s[8:9], vcc
; %bb.3670:
	s_mov_b32 s10, 0x7f800001
	s_xor_b64 s[4:5], exec, -1
; %bb.3671:
	s_or_b64 exec, exec, s[8:9]
	s_and_b64 s[4:5], s[4:5], exec
                                        ; implicit-def: $vgpr11
	s_or_saveexec_b64 s[6:7], s[6:7]
	v_mov_b32_e32 v14, s10
	s_xor_b64 exec, exec, s[6:7]
	s_cbranch_execz .LBB24_1622
.LBB24_3672:
	v_cmp_ne_u16_e32 vcc, 0, v11
	s_andn2_b64 s[4:5], s[4:5], exec
	s_and_b64 s[8:9], vcc, exec
	v_mov_b32_e32 v14, 0
	s_or_b64 s[4:5], s[4:5], s[8:9]
	s_or_b64 exec, exec, s[6:7]
	s_and_saveexec_b64 s[6:7], s[4:5]
	s_cbranch_execnz .LBB24_1623
	s_branch .LBB24_1624
.LBB24_3673:
	s_movk_i32 s4, 0x80
	v_cmp_eq_u16_sdwa s[12:13], v16, s4 src0_sel:BYTE_3 src1_sel:DWORD
	s_mov_b64 s[4:5], -1
                                        ; implicit-def: $sgpr10
	s_and_saveexec_b64 s[8:9], s[12:13]
; %bb.3674:
	s_mov_b32 s10, 0x7f800001
	s_xor_b64 s[4:5], exec, -1
; %bb.3675:
	s_or_b64 exec, exec, s[8:9]
	s_and_b64 s[4:5], s[4:5], exec
	s_or_saveexec_b64 s[6:7], s[6:7]
	v_mov_b32_e32 v10, s10
	s_xor_b64 exec, exec, s[6:7]
	s_cbranch_execz .LBB24_1626
.LBB24_3676:
	v_mov_b32_e32 v10, 0
	v_cmp_ne_u16_sdwa s[8:9], v16, v10 src0_sel:BYTE_3 src1_sel:DWORD
	s_andn2_b64 s[4:5], s[4:5], exec
	s_and_b64 s[8:9], s[8:9], exec
	s_or_b64 s[4:5], s[4:5], s[8:9]
	s_or_b64 exec, exec, s[6:7]
	s_and_saveexec_b64 s[6:7], s[4:5]
	s_cbranch_execnz .LBB24_1627
	s_branch .LBB24_1628
.LBB24_3677:
	s_movk_i32 s4, 0x80
	v_cmp_eq_u16_sdwa s[12:13], v12, s4 src0_sel:BYTE_3 src1_sel:DWORD
	s_mov_b64 s[4:5], -1
                                        ; implicit-def: $sgpr10
	s_and_saveexec_b64 s[8:9], s[12:13]
; %bb.3678:
	s_mov_b32 s10, 0x7f800001
	s_xor_b64 s[4:5], exec, -1
; %bb.3679:
	s_or_b64 exec, exec, s[8:9]
	s_and_b64 s[4:5], s[4:5], exec
	s_or_saveexec_b64 s[6:7], s[6:7]
	v_mov_b32_e32 v11, s10
	s_xor_b64 exec, exec, s[6:7]
	s_cbranch_execz .LBB24_1630
.LBB24_3680:
	v_mov_b32_e32 v11, 0
	v_cmp_ne_u16_sdwa s[8:9], v12, v11 src0_sel:BYTE_3 src1_sel:DWORD
	s_andn2_b64 s[4:5], s[4:5], exec
	s_and_b64 s[8:9], s[8:9], exec
	s_or_b64 s[4:5], s[4:5], s[8:9]
	s_or_b64 exec, exec, s[6:7]
	s_and_saveexec_b64 s[6:7], s[4:5]
	s_cbranch_execnz .LBB24_1631
	s_branch .LBB24_1632
.LBB24_3681:
	s_movk_i32 s4, 0x80
	v_cmp_eq_u16_sdwa s[12:13], v17, s4 src0_sel:BYTE_0 src1_sel:DWORD
	s_mov_b64 s[4:5], -1
                                        ; implicit-def: $sgpr10
	s_and_saveexec_b64 s[8:9], s[12:13]
; %bb.3682:
	s_mov_b32 s10, 0x7f800001
	s_xor_b64 s[4:5], exec, -1
; %bb.3683:
	s_or_b64 exec, exec, s[8:9]
	s_and_b64 s[4:5], s[4:5], exec
	s_or_saveexec_b64 s[6:7], s[6:7]
	v_mov_b32_e32 v10, s10
	s_xor_b64 exec, exec, s[6:7]
	s_cbranch_execz .LBB24_1634
.LBB24_3684:
	v_mov_b32_e32 v10, 0
	v_cmp_ne_u16_sdwa s[8:9], v17, v10 src0_sel:BYTE_0 src1_sel:DWORD
	s_andn2_b64 s[4:5], s[4:5], exec
	s_and_b64 s[8:9], s[8:9], exec
	s_or_b64 s[4:5], s[4:5], s[8:9]
	s_or_b64 exec, exec, s[6:7]
	s_and_saveexec_b64 s[6:7], s[4:5]
	s_cbranch_execnz .LBB24_1635
	s_branch .LBB24_1636
.LBB24_3685:
	s_movk_i32 s4, 0x80
	v_cmp_eq_u16_sdwa s[12:13], v13, s4 src0_sel:BYTE_0 src1_sel:DWORD
	s_mov_b64 s[4:5], -1
                                        ; implicit-def: $sgpr10
	s_and_saveexec_b64 s[8:9], s[12:13]
; %bb.3686:
	s_mov_b32 s10, 0x7f800001
	s_xor_b64 s[4:5], exec, -1
; %bb.3687:
	s_or_b64 exec, exec, s[8:9]
	s_and_b64 s[4:5], s[4:5], exec
	s_or_saveexec_b64 s[6:7], s[6:7]
	v_mov_b32_e32 v11, s10
	s_xor_b64 exec, exec, s[6:7]
	s_cbranch_execz .LBB24_1638
.LBB24_3688:
	v_mov_b32_e32 v11, 0
	v_cmp_ne_u16_sdwa s[8:9], v13, v11 src0_sel:BYTE_0 src1_sel:DWORD
	s_andn2_b64 s[4:5], s[4:5], exec
	s_and_b64 s[8:9], s[8:9], exec
	s_or_b64 s[4:5], s[4:5], s[8:9]
	s_or_b64 exec, exec, s[6:7]
	s_and_saveexec_b64 s[6:7], s[4:5]
	s_cbranch_execnz .LBB24_1639
	s_branch .LBB24_1640
.LBB24_3689:
	s_movk_i32 s4, 0x80
	v_cmp_eq_u16_sdwa s[12:13], v11, s4 src0_sel:BYTE_0 src1_sel:DWORD
	s_mov_b64 s[4:5], -1
                                        ; implicit-def: $sgpr10
	s_and_saveexec_b64 s[8:9], s[12:13]
; %bb.3690:
	s_mov_b32 s10, 0x7f800001
	s_xor_b64 s[4:5], exec, -1
; %bb.3691:
	s_or_b64 exec, exec, s[8:9]
	s_and_b64 s[4:5], s[4:5], exec
	s_or_saveexec_b64 s[6:7], s[6:7]
	v_mov_b32_e32 v10, s10
	s_xor_b64 exec, exec, s[6:7]
	s_cbranch_execz .LBB24_1642
.LBB24_3692:
	v_mov_b32_e32 v10, 0
	v_cmp_ne_u16_sdwa s[8:9], v11, v10 src0_sel:BYTE_0 src1_sel:DWORD
	s_andn2_b64 s[4:5], s[4:5], exec
	s_and_b64 s[8:9], s[8:9], exec
	s_or_b64 s[4:5], s[4:5], s[8:9]
	s_or_b64 exec, exec, s[6:7]
	s_and_saveexec_b64 s[6:7], s[4:5]
	s_cbranch_execnz .LBB24_1643
	s_branch .LBB24_1644
.LBB24_3693:
	s_movk_i32 s4, 0x80
	v_cmp_eq_u16_sdwa s[12:13], v11, s4 src0_sel:BYTE_0 src1_sel:DWORD
	s_mov_b64 s[4:5], -1
                                        ; implicit-def: $sgpr10
	s_and_saveexec_b64 s[8:9], s[12:13]
; %bb.3694:
	s_mov_b32 s10, 0x7f800001
	s_xor_b64 s[4:5], exec, -1
; %bb.3695:
	s_or_b64 exec, exec, s[8:9]
	s_and_b64 s[4:5], s[4:5], exec
	s_or_saveexec_b64 s[6:7], s[6:7]
	v_mov_b32_e32 v12, s10
	s_xor_b64 exec, exec, s[6:7]
	s_cbranch_execz .LBB24_1646
.LBB24_3696:
	v_mov_b32_e32 v12, 0
	v_cmp_ne_u16_sdwa s[8:9], v11, v12 src0_sel:BYTE_0 src1_sel:DWORD
	s_andn2_b64 s[4:5], s[4:5], exec
	s_and_b64 s[8:9], s[8:9], exec
	s_or_b64 s[4:5], s[4:5], s[8:9]
	s_or_b64 exec, exec, s[6:7]
	s_and_saveexec_b64 s[6:7], s[4:5]
	s_cbranch_execnz .LBB24_1647
	s_branch .LBB24_1648
.LBB24_3697:
	s_movk_i32 s4, 0x80
	v_cmp_eq_u16_e32 vcc, s4, v11
	s_mov_b64 s[4:5], -1
                                        ; implicit-def: $sgpr10
	s_and_saveexec_b64 s[8:9], vcc
; %bb.3698:
	s_mov_b32 s10, 0x7f800001
	s_xor_b64 s[4:5], exec, -1
; %bb.3699:
	s_or_b64 exec, exec, s[8:9]
	s_and_b64 s[4:5], s[4:5], exec
                                        ; implicit-def: $vgpr11
	s_or_saveexec_b64 s[6:7], s[6:7]
	v_mov_b32_e32 v10, s10
	s_xor_b64 exec, exec, s[6:7]
	s_cbranch_execz .LBB24_1650
.LBB24_3700:
	v_cmp_ne_u16_e32 vcc, 0, v11
	s_andn2_b64 s[4:5], s[4:5], exec
	s_and_b64 s[8:9], vcc, exec
	v_mov_b32_e32 v10, 0
	s_or_b64 s[4:5], s[4:5], s[8:9]
	s_or_b64 exec, exec, s[6:7]
	s_and_saveexec_b64 s[6:7], s[4:5]
	s_cbranch_execnz .LBB24_1651
	s_branch .LBB24_1652
.LBB24_3701:
	s_movk_i32 s4, 0x80
	v_cmp_eq_u16_e32 vcc, s4, v11
	s_mov_b64 s[4:5], -1
                                        ; implicit-def: $sgpr10
	s_and_saveexec_b64 s[8:9], vcc
; %bb.3702:
	s_mov_b32 s10, 0x7f800001
	s_xor_b64 s[4:5], exec, -1
; %bb.3703:
	s_or_b64 exec, exec, s[8:9]
	s_and_b64 s[4:5], s[4:5], exec
                                        ; implicit-def: $vgpr11
	s_or_saveexec_b64 s[6:7], s[6:7]
	v_mov_b32_e32 v12, s10
	s_xor_b64 exec, exec, s[6:7]
	s_cbranch_execz .LBB24_1654
.LBB24_3704:
	v_cmp_ne_u16_e32 vcc, 0, v11
	s_andn2_b64 s[4:5], s[4:5], exec
	s_and_b64 s[8:9], vcc, exec
	v_mov_b32_e32 v12, 0
	s_or_b64 s[4:5], s[4:5], s[8:9]
	s_or_b64 exec, exec, s[6:7]
	s_and_saveexec_b64 s[6:7], s[4:5]
	s_cbranch_execnz .LBB24_1655
	s_branch .LBB24_1656
.LBB24_3705:
	s_movk_i32 s4, 0x80
	v_cmp_eq_u16_sdwa s[12:13], v17, s4 src0_sel:BYTE_3 src1_sel:DWORD
	s_mov_b64 s[4:5], -1
                                        ; implicit-def: $sgpr10
	s_and_saveexec_b64 s[8:9], s[12:13]
; %bb.3706:
	s_mov_b32 s10, 0x7f800001
	s_xor_b64 s[4:5], exec, -1
; %bb.3707:
	s_or_b64 exec, exec, s[8:9]
	s_and_b64 s[4:5], s[4:5], exec
	s_or_saveexec_b64 s[6:7], s[6:7]
	v_mov_b32_e32 v10, s10
	s_xor_b64 exec, exec, s[6:7]
	s_cbranch_execz .LBB24_1658
.LBB24_3708:
	v_mov_b32_e32 v10, 0
	v_cmp_ne_u16_sdwa s[8:9], v17, v10 src0_sel:BYTE_3 src1_sel:DWORD
	s_andn2_b64 s[4:5], s[4:5], exec
	s_and_b64 s[8:9], s[8:9], exec
	s_or_b64 s[4:5], s[4:5], s[8:9]
	s_or_b64 exec, exec, s[6:7]
	s_and_saveexec_b64 s[6:7], s[4:5]
	s_cbranch_execnz .LBB24_1659
	s_branch .LBB24_1660
.LBB24_3709:
	s_movk_i32 s4, 0x80
	v_cmp_eq_u16_sdwa s[12:13], v13, s4 src0_sel:BYTE_3 src1_sel:DWORD
	s_mov_b64 s[4:5], -1
                                        ; implicit-def: $sgpr10
	s_and_saveexec_b64 s[8:9], s[12:13]
; %bb.3710:
	s_mov_b32 s10, 0x7f800001
	s_xor_b64 s[4:5], exec, -1
; %bb.3711:
	s_or_b64 exec, exec, s[8:9]
	s_and_b64 s[4:5], s[4:5], exec
	s_or_saveexec_b64 s[6:7], s[6:7]
	v_mov_b32_e32 v11, s10
	s_xor_b64 exec, exec, s[6:7]
	s_cbranch_execz .LBB24_1662
.LBB24_3712:
	v_mov_b32_e32 v11, 0
	v_cmp_ne_u16_sdwa s[8:9], v13, v11 src0_sel:BYTE_3 src1_sel:DWORD
	s_andn2_b64 s[4:5], s[4:5], exec
	s_and_b64 s[8:9], s[8:9], exec
	s_or_b64 s[4:5], s[4:5], s[8:9]
	s_or_b64 exec, exec, s[6:7]
	s_and_saveexec_b64 s[6:7], s[4:5]
	s_cbranch_execnz .LBB24_1663
	s_branch .LBB24_1664
.LBB24_3713:
	s_movk_i32 s4, 0x80
	v_cmp_eq_u16_sdwa s[12:13], v6, s4 src0_sel:BYTE_0 src1_sel:DWORD
	s_mov_b64 s[4:5], -1
                                        ; implicit-def: $sgpr10
	s_and_saveexec_b64 s[8:9], s[12:13]
; %bb.3714:
	s_mov_b32 s10, 0x7f800001
	s_xor_b64 s[4:5], exec, -1
; %bb.3715:
	s_or_b64 exec, exec, s[8:9]
	s_and_b64 s[4:5], s[4:5], exec
	s_or_saveexec_b64 s[6:7], s[6:7]
	v_mov_b32_e32 v10, s10
	s_xor_b64 exec, exec, s[6:7]
	s_cbranch_execz .LBB24_1666
.LBB24_3716:
	v_mov_b32_e32 v10, 0
	v_cmp_ne_u16_sdwa s[8:9], v6, v10 src0_sel:BYTE_0 src1_sel:DWORD
	s_andn2_b64 s[4:5], s[4:5], exec
	s_and_b64 s[8:9], s[8:9], exec
	s_or_b64 s[4:5], s[4:5], s[8:9]
	s_or_b64 exec, exec, s[6:7]
	s_and_saveexec_b64 s[6:7], s[4:5]
	s_cbranch_execnz .LBB24_1667
	s_branch .LBB24_1668
.LBB24_3717:
	s_movk_i32 s4, 0x80
	v_cmp_eq_u16_sdwa s[12:13], v2, s4 src0_sel:BYTE_0 src1_sel:DWORD
	s_mov_b64 s[4:5], -1
                                        ; implicit-def: $sgpr10
	s_and_saveexec_b64 s[8:9], s[12:13]
; %bb.3718:
	s_mov_b32 s10, 0x7f800001
	s_xor_b64 s[4:5], exec, -1
; %bb.3719:
	s_or_b64 exec, exec, s[8:9]
	s_and_b64 s[4:5], s[4:5], exec
	s_or_saveexec_b64 s[6:7], s[6:7]
	v_mov_b32_e32 v11, s10
	s_xor_b64 exec, exec, s[6:7]
	s_cbranch_execz .LBB24_1670
.LBB24_3720:
	v_mov_b32_e32 v11, 0
	v_cmp_ne_u16_sdwa s[8:9], v2, v11 src0_sel:BYTE_0 src1_sel:DWORD
	s_andn2_b64 s[4:5], s[4:5], exec
	s_and_b64 s[8:9], s[8:9], exec
	s_or_b64 s[4:5], s[4:5], s[8:9]
	s_or_b64 exec, exec, s[6:7]
	s_and_saveexec_b64 s[6:7], s[4:5]
	s_cbranch_execnz .LBB24_1671
	s_branch .LBB24_1672
.LBB24_3721:
	s_movk_i32 s4, 0x80
	v_cmp_eq_u16_sdwa s[12:13], v11, s4 src0_sel:BYTE_0 src1_sel:DWORD
	s_mov_b64 s[4:5], -1
                                        ; implicit-def: $sgpr10
	s_and_saveexec_b64 s[8:9], s[12:13]
; %bb.3722:
	s_mov_b32 s10, 0x7f800001
	s_xor_b64 s[4:5], exec, -1
; %bb.3723:
	s_or_b64 exec, exec, s[8:9]
	s_and_b64 s[4:5], s[4:5], exec
	s_or_saveexec_b64 s[6:7], s[6:7]
	v_mov_b32_e32 v10, s10
	s_xor_b64 exec, exec, s[6:7]
	s_cbranch_execz .LBB24_1674
.LBB24_3724:
	v_mov_b32_e32 v10, 0
	v_cmp_ne_u16_sdwa s[8:9], v11, v10 src0_sel:BYTE_0 src1_sel:DWORD
	s_andn2_b64 s[4:5], s[4:5], exec
	s_and_b64 s[8:9], s[8:9], exec
	s_or_b64 s[4:5], s[4:5], s[8:9]
	s_or_b64 exec, exec, s[6:7]
	s_and_saveexec_b64 s[6:7], s[4:5]
	s_cbranch_execnz .LBB24_1675
	s_branch .LBB24_1676
.LBB24_3725:
	s_movk_i32 s4, 0x80
	v_cmp_eq_u16_sdwa s[12:13], v11, s4 src0_sel:BYTE_0 src1_sel:DWORD
	s_mov_b64 s[4:5], -1
                                        ; implicit-def: $sgpr10
	s_and_saveexec_b64 s[8:9], s[12:13]
; %bb.3726:
	s_mov_b32 s10, 0x7f800001
	s_xor_b64 s[4:5], exec, -1
; %bb.3727:
	s_or_b64 exec, exec, s[8:9]
	s_and_b64 s[4:5], s[4:5], exec
	s_or_saveexec_b64 s[6:7], s[6:7]
	v_mov_b32_e32 v12, s10
	s_xor_b64 exec, exec, s[6:7]
	s_cbranch_execz .LBB24_1678
.LBB24_3728:
	v_mov_b32_e32 v12, 0
	v_cmp_ne_u16_sdwa s[8:9], v11, v12 src0_sel:BYTE_0 src1_sel:DWORD
	s_andn2_b64 s[4:5], s[4:5], exec
	s_and_b64 s[8:9], s[8:9], exec
	s_or_b64 s[4:5], s[4:5], s[8:9]
	s_or_b64 exec, exec, s[6:7]
	s_and_saveexec_b64 s[6:7], s[4:5]
	s_cbranch_execnz .LBB24_1679
	s_branch .LBB24_1680
.LBB24_3729:
	s_movk_i32 s4, 0x80
	v_cmp_eq_u16_e32 vcc, s4, v11
	s_mov_b64 s[4:5], -1
                                        ; implicit-def: $sgpr10
	s_and_saveexec_b64 s[8:9], vcc
; %bb.3730:
	s_mov_b32 s10, 0x7f800001
	s_xor_b64 s[4:5], exec, -1
; %bb.3731:
	s_or_b64 exec, exec, s[8:9]
	s_and_b64 s[4:5], s[4:5], exec
                                        ; implicit-def: $vgpr11
	s_or_saveexec_b64 s[6:7], s[6:7]
	v_mov_b32_e32 v10, s10
	s_xor_b64 exec, exec, s[6:7]
	s_cbranch_execz .LBB24_1682
.LBB24_3732:
	v_cmp_ne_u16_e32 vcc, 0, v11
	s_andn2_b64 s[4:5], s[4:5], exec
	s_and_b64 s[8:9], vcc, exec
	v_mov_b32_e32 v10, 0
	s_or_b64 s[4:5], s[4:5], s[8:9]
	s_or_b64 exec, exec, s[6:7]
	s_and_saveexec_b64 s[6:7], s[4:5]
	s_cbranch_execnz .LBB24_1683
	s_branch .LBB24_1684
.LBB24_3733:
	s_movk_i32 s4, 0x80
	v_cmp_eq_u16_e32 vcc, s4, v11
	s_mov_b64 s[4:5], -1
                                        ; implicit-def: $sgpr10
	s_and_saveexec_b64 s[8:9], vcc
; %bb.3734:
	s_mov_b32 s10, 0x7f800001
	s_xor_b64 s[4:5], exec, -1
; %bb.3735:
	s_or_b64 exec, exec, s[8:9]
	s_and_b64 s[4:5], s[4:5], exec
                                        ; implicit-def: $vgpr11
	s_or_saveexec_b64 s[6:7], s[6:7]
	v_mov_b32_e32 v12, s10
	s_xor_b64 exec, exec, s[6:7]
	s_cbranch_execz .LBB24_1686
.LBB24_3736:
	v_cmp_ne_u16_e32 vcc, 0, v11
	s_andn2_b64 s[4:5], s[4:5], exec
	s_and_b64 s[8:9], vcc, exec
	v_mov_b32_e32 v12, 0
	s_or_b64 s[4:5], s[4:5], s[8:9]
	s_or_b64 exec, exec, s[6:7]
	s_and_saveexec_b64 s[6:7], s[4:5]
	s_cbranch_execnz .LBB24_1687
	s_branch .LBB24_1688
.LBB24_3737:
	s_movk_i32 s4, 0x80
	v_cmp_eq_u16_sdwa s[12:13], v6, s4 src0_sel:BYTE_3 src1_sel:DWORD
	s_mov_b64 s[4:5], -1
                                        ; implicit-def: $sgpr10
	s_and_saveexec_b64 s[8:9], s[12:13]
; %bb.3738:
	s_mov_b32 s10, 0x7f800001
	s_xor_b64 s[4:5], exec, -1
; %bb.3739:
	s_or_b64 exec, exec, s[8:9]
	s_and_b64 s[4:5], s[4:5], exec
	s_or_saveexec_b64 s[6:7], s[6:7]
	v_mov_b32_e32 v10, s10
	s_xor_b64 exec, exec, s[6:7]
	s_cbranch_execz .LBB24_1690
.LBB24_3740:
	v_mov_b32_e32 v10, 0
	v_cmp_ne_u16_sdwa s[8:9], v6, v10 src0_sel:BYTE_3 src1_sel:DWORD
	s_andn2_b64 s[4:5], s[4:5], exec
	s_and_b64 s[8:9], s[8:9], exec
	s_or_b64 s[4:5], s[4:5], s[8:9]
	s_or_b64 exec, exec, s[6:7]
	s_and_saveexec_b64 s[6:7], s[4:5]
	s_cbranch_execnz .LBB24_1691
	s_branch .LBB24_1692
.LBB24_3741:
	s_movk_i32 s4, 0x80
	v_cmp_eq_u16_sdwa s[12:13], v2, s4 src0_sel:BYTE_3 src1_sel:DWORD
	s_mov_b64 s[4:5], -1
                                        ; implicit-def: $sgpr10
	s_and_saveexec_b64 s[8:9], s[12:13]
; %bb.3742:
	s_mov_b32 s10, 0x7f800001
	s_xor_b64 s[4:5], exec, -1
; %bb.3743:
	s_or_b64 exec, exec, s[8:9]
	s_and_b64 s[4:5], s[4:5], exec
	s_or_saveexec_b64 s[6:7], s[6:7]
	v_mov_b32_e32 v6, s10
	s_xor_b64 exec, exec, s[6:7]
	s_cbranch_execz .LBB24_1694
.LBB24_3744:
	v_mov_b32_e32 v6, 0
	v_cmp_ne_u16_sdwa s[8:9], v2, v6 src0_sel:BYTE_3 src1_sel:DWORD
	s_andn2_b64 s[4:5], s[4:5], exec
	s_and_b64 s[8:9], s[8:9], exec
	s_or_b64 s[4:5], s[4:5], s[8:9]
	s_or_b64 exec, exec, s[6:7]
	s_and_saveexec_b64 s[6:7], s[4:5]
	s_cbranch_execnz .LBB24_1695
	s_branch .LBB24_1696
.LBB24_3745:
	s_movk_i32 s4, 0x80
	v_cmp_eq_u16_sdwa s[12:13], v7, s4 src0_sel:BYTE_0 src1_sel:DWORD
	s_mov_b64 s[4:5], -1
                                        ; implicit-def: $sgpr10
	s_and_saveexec_b64 s[8:9], s[12:13]
; %bb.3746:
	s_mov_b32 s10, 0x7f800001
	s_xor_b64 s[4:5], exec, -1
; %bb.3747:
	s_or_b64 exec, exec, s[8:9]
	s_and_b64 s[4:5], s[4:5], exec
	s_or_saveexec_b64 s[6:7], s[6:7]
	v_mov_b32_e32 v2, s10
	s_xor_b64 exec, exec, s[6:7]
	s_cbranch_execz .LBB24_1698
.LBB24_3748:
	v_mov_b32_e32 v2, 0
	v_cmp_ne_u16_sdwa s[8:9], v7, v2 src0_sel:BYTE_0 src1_sel:DWORD
	s_andn2_b64 s[4:5], s[4:5], exec
	s_and_b64 s[8:9], s[8:9], exec
	s_or_b64 s[4:5], s[4:5], s[8:9]
	s_or_b64 exec, exec, s[6:7]
	s_and_saveexec_b64 s[6:7], s[4:5]
	s_cbranch_execnz .LBB24_1699
	s_branch .LBB24_1700
.LBB24_3749:
	s_movk_i32 s4, 0x80
	v_cmp_eq_u16_sdwa s[12:13], v3, s4 src0_sel:BYTE_0 src1_sel:DWORD
	s_mov_b64 s[4:5], -1
                                        ; implicit-def: $sgpr10
	s_and_saveexec_b64 s[8:9], s[12:13]
; %bb.3750:
	s_mov_b32 s10, 0x7f800001
	s_xor_b64 s[4:5], exec, -1
; %bb.3751:
	s_or_b64 exec, exec, s[8:9]
	s_and_b64 s[4:5], s[4:5], exec
	s_or_saveexec_b64 s[6:7], s[6:7]
	v_mov_b32_e32 v6, s10
	s_xor_b64 exec, exec, s[6:7]
	s_cbranch_execz .LBB24_1702
.LBB24_3752:
	v_mov_b32_e32 v6, 0
	v_cmp_ne_u16_sdwa s[8:9], v3, v6 src0_sel:BYTE_0 src1_sel:DWORD
	s_andn2_b64 s[4:5], s[4:5], exec
	s_and_b64 s[8:9], s[8:9], exec
	s_or_b64 s[4:5], s[4:5], s[8:9]
	s_or_b64 exec, exec, s[6:7]
	s_and_saveexec_b64 s[6:7], s[4:5]
	s_cbranch_execnz .LBB24_1703
	s_branch .LBB24_1704
.LBB24_3753:
	s_movk_i32 s4, 0x80
	v_cmp_eq_u16_sdwa s[12:13], v6, s4 src0_sel:BYTE_0 src1_sel:DWORD
	s_mov_b64 s[4:5], -1
                                        ; implicit-def: $sgpr10
	s_and_saveexec_b64 s[8:9], s[12:13]
; %bb.3754:
	s_mov_b32 s10, 0x7f800001
	s_xor_b64 s[4:5], exec, -1
; %bb.3755:
	s_or_b64 exec, exec, s[8:9]
	s_and_b64 s[4:5], s[4:5], exec
	s_or_saveexec_b64 s[6:7], s[6:7]
	v_mov_b32_e32 v2, s10
	s_xor_b64 exec, exec, s[6:7]
	s_cbranch_execz .LBB24_1706
.LBB24_3756:
	v_mov_b32_e32 v2, 0
	v_cmp_ne_u16_sdwa s[8:9], v6, v2 src0_sel:BYTE_0 src1_sel:DWORD
	s_andn2_b64 s[4:5], s[4:5], exec
	s_and_b64 s[8:9], s[8:9], exec
	s_or_b64 s[4:5], s[4:5], s[8:9]
	s_or_b64 exec, exec, s[6:7]
	s_and_saveexec_b64 s[6:7], s[4:5]
	s_cbranch_execnz .LBB24_1707
	s_branch .LBB24_1708
.LBB24_3757:
	s_movk_i32 s4, 0x80
	v_cmp_eq_u16_sdwa s[12:13], v6, s4 src0_sel:BYTE_0 src1_sel:DWORD
	s_mov_b64 s[4:5], -1
                                        ; implicit-def: $sgpr10
	s_and_saveexec_b64 s[8:9], s[12:13]
; %bb.3758:
	s_mov_b32 s10, 0x7f800001
	s_xor_b64 s[4:5], exec, -1
; %bb.3759:
	s_or_b64 exec, exec, s[8:9]
	s_and_b64 s[4:5], s[4:5], exec
	s_or_saveexec_b64 s[6:7], s[6:7]
	v_mov_b32_e32 v10, s10
	s_xor_b64 exec, exec, s[6:7]
	s_cbranch_execz .LBB24_1710
.LBB24_3760:
	v_mov_b32_e32 v10, 0
	v_cmp_ne_u16_sdwa s[8:9], v6, v10 src0_sel:BYTE_0 src1_sel:DWORD
	s_andn2_b64 s[4:5], s[4:5], exec
	s_and_b64 s[8:9], s[8:9], exec
	s_or_b64 s[4:5], s[4:5], s[8:9]
	s_or_b64 exec, exec, s[6:7]
	s_and_saveexec_b64 s[6:7], s[4:5]
	s_cbranch_execnz .LBB24_1711
	s_branch .LBB24_1712
.LBB24_3761:
	s_movk_i32 s4, 0x80
	v_cmp_eq_u16_e32 vcc, s4, v6
	s_mov_b64 s[4:5], -1
                                        ; implicit-def: $sgpr10
	s_and_saveexec_b64 s[8:9], vcc
; %bb.3762:
	s_mov_b32 s10, 0x7f800001
	s_xor_b64 s[4:5], exec, -1
; %bb.3763:
	s_or_b64 exec, exec, s[8:9]
	s_and_b64 s[4:5], s[4:5], exec
                                        ; implicit-def: $vgpr6
	s_or_saveexec_b64 s[6:7], s[6:7]
	v_mov_b32_e32 v2, s10
	s_xor_b64 exec, exec, s[6:7]
	s_cbranch_execz .LBB24_1714
.LBB24_3764:
	v_cmp_ne_u16_e32 vcc, 0, v6
	s_andn2_b64 s[4:5], s[4:5], exec
	s_and_b64 s[8:9], vcc, exec
	v_mov_b32_e32 v2, 0
	s_or_b64 s[4:5], s[4:5], s[8:9]
	s_or_b64 exec, exec, s[6:7]
	s_and_saveexec_b64 s[6:7], s[4:5]
	s_cbranch_execnz .LBB24_1715
	s_branch .LBB24_1716
.LBB24_3765:
	s_movk_i32 s4, 0x80
	v_cmp_eq_u16_e32 vcc, s4, v6
	s_mov_b64 s[4:5], -1
                                        ; implicit-def: $sgpr10
	s_and_saveexec_b64 s[8:9], vcc
; %bb.3766:
	s_mov_b32 s10, 0x7f800001
	s_xor_b64 s[4:5], exec, -1
; %bb.3767:
	s_or_b64 exec, exec, s[8:9]
	s_and_b64 s[4:5], s[4:5], exec
                                        ; implicit-def: $vgpr6
	s_or_saveexec_b64 s[6:7], s[6:7]
	v_mov_b32_e32 v10, s10
	s_xor_b64 exec, exec, s[6:7]
	s_cbranch_execz .LBB24_1718
.LBB24_3768:
	v_cmp_ne_u16_e32 vcc, 0, v6
	s_andn2_b64 s[4:5], s[4:5], exec
	s_and_b64 s[8:9], vcc, exec
	v_mov_b32_e32 v10, 0
	s_or_b64 s[4:5], s[4:5], s[8:9]
	s_or_b64 exec, exec, s[6:7]
	s_and_saveexec_b64 s[6:7], s[4:5]
	s_cbranch_execnz .LBB24_1719
	s_branch .LBB24_1720
.LBB24_3769:
	s_movk_i32 s4, 0x80
	v_cmp_eq_u16_sdwa s[12:13], v7, s4 src0_sel:BYTE_3 src1_sel:DWORD
	s_mov_b64 s[4:5], -1
                                        ; implicit-def: $sgpr10
	s_and_saveexec_b64 s[8:9], s[12:13]
; %bb.3770:
	s_mov_b32 s10, 0x7f800001
	s_xor_b64 s[4:5], exec, -1
; %bb.3771:
	s_or_b64 exec, exec, s[8:9]
	s_and_b64 s[4:5], s[4:5], exec
	s_or_saveexec_b64 s[6:7], s[6:7]
	v_mov_b32_e32 v2, s10
	s_xor_b64 exec, exec, s[6:7]
	s_cbranch_execz .LBB24_1722
.LBB24_3772:
	v_mov_b32_e32 v2, 0
	v_cmp_ne_u16_sdwa s[8:9], v7, v2 src0_sel:BYTE_3 src1_sel:DWORD
	s_andn2_b64 s[4:5], s[4:5], exec
	s_and_b64 s[8:9], s[8:9], exec
	s_or_b64 s[4:5], s[4:5], s[8:9]
	s_or_b64 exec, exec, s[6:7]
	s_and_saveexec_b64 s[6:7], s[4:5]
	s_cbranch_execnz .LBB24_1723
	s_branch .LBB24_1724
.LBB24_3773:
	s_movk_i32 s4, 0x80
	v_cmp_eq_u16_sdwa s[12:13], v3, s4 src0_sel:BYTE_3 src1_sel:DWORD
	s_mov_b64 s[4:5], -1
                                        ; implicit-def: $sgpr10
	s_and_saveexec_b64 s[8:9], s[12:13]
; %bb.3774:
	s_mov_b32 s10, 0x7f800001
	s_xor_b64 s[4:5], exec, -1
; %bb.3775:
	s_or_b64 exec, exec, s[8:9]
	s_and_b64 s[4:5], s[4:5], exec
	s_or_saveexec_b64 s[6:7], s[6:7]
	v_mov_b32_e32 v6, s10
	s_xor_b64 exec, exec, s[6:7]
	s_cbranch_execz .LBB24_1726
.LBB24_3776:
	v_mov_b32_e32 v6, 0
	v_cmp_ne_u16_sdwa s[8:9], v3, v6 src0_sel:BYTE_3 src1_sel:DWORD
	s_andn2_b64 s[4:5], s[4:5], exec
	s_and_b64 s[8:9], s[8:9], exec
	s_or_b64 s[4:5], s[4:5], s[8:9]
	s_or_b64 exec, exec, s[6:7]
	s_and_saveexec_b64 s[6:7], s[4:5]
	s_cbranch_execnz .LBB24_1727
	s_branch .LBB24_1728
.LBB24_3777:
	s_movk_i32 s4, 0x80
	v_cmp_eq_u16_sdwa s[12:13], v8, s4 src0_sel:BYTE_0 src1_sel:DWORD
	s_mov_b64 s[4:5], -1
                                        ; implicit-def: $sgpr10
	s_and_saveexec_b64 s[8:9], s[12:13]
; %bb.3778:
	s_mov_b32 s10, 0x7f800001
	s_xor_b64 s[4:5], exec, -1
; %bb.3779:
	s_or_b64 exec, exec, s[8:9]
	s_and_b64 s[4:5], s[4:5], exec
	s_or_saveexec_b64 s[6:7], s[6:7]
	v_mov_b32_e32 v2, s10
	s_xor_b64 exec, exec, s[6:7]
	s_cbranch_execz .LBB24_1730
.LBB24_3780:
	v_mov_b32_e32 v2, 0
	v_cmp_ne_u16_sdwa s[8:9], v8, v2 src0_sel:BYTE_0 src1_sel:DWORD
	s_andn2_b64 s[4:5], s[4:5], exec
	s_and_b64 s[8:9], s[8:9], exec
	s_or_b64 s[4:5], s[4:5], s[8:9]
	s_or_b64 exec, exec, s[6:7]
	s_and_saveexec_b64 s[6:7], s[4:5]
	s_cbranch_execnz .LBB24_1731
	s_branch .LBB24_1732
.LBB24_3781:
	s_movk_i32 s4, 0x80
	v_cmp_eq_u16_sdwa s[12:13], v4, s4 src0_sel:BYTE_0 src1_sel:DWORD
	s_mov_b64 s[4:5], -1
                                        ; implicit-def: $sgpr10
	s_and_saveexec_b64 s[8:9], s[12:13]
; %bb.3782:
	s_mov_b32 s10, 0x7f800001
	s_xor_b64 s[4:5], exec, -1
; %bb.3783:
	s_or_b64 exec, exec, s[8:9]
	s_and_b64 s[4:5], s[4:5], exec
	s_or_saveexec_b64 s[6:7], s[6:7]
	v_mov_b32_e32 v3, s10
	s_xor_b64 exec, exec, s[6:7]
	s_cbranch_execz .LBB24_1734
.LBB24_3784:
	v_mov_b32_e32 v3, 0
	v_cmp_ne_u16_sdwa s[8:9], v4, v3 src0_sel:BYTE_0 src1_sel:DWORD
	s_andn2_b64 s[4:5], s[4:5], exec
	s_and_b64 s[8:9], s[8:9], exec
	s_or_b64 s[4:5], s[4:5], s[8:9]
	s_or_b64 exec, exec, s[6:7]
	s_and_saveexec_b64 s[6:7], s[4:5]
	s_cbranch_execnz .LBB24_1735
	s_branch .LBB24_1736
.LBB24_3785:
	s_movk_i32 s4, 0x80
	v_cmp_eq_u16_sdwa s[12:13], v3, s4 src0_sel:BYTE_0 src1_sel:DWORD
	s_mov_b64 s[4:5], -1
                                        ; implicit-def: $sgpr10
	s_and_saveexec_b64 s[8:9], s[12:13]
; %bb.3786:
	s_mov_b32 s10, 0x7f800001
	s_xor_b64 s[4:5], exec, -1
; %bb.3787:
	s_or_b64 exec, exec, s[8:9]
	s_and_b64 s[4:5], s[4:5], exec
	s_or_saveexec_b64 s[6:7], s[6:7]
	v_mov_b32_e32 v2, s10
	s_xor_b64 exec, exec, s[6:7]
	s_cbranch_execz .LBB24_1738
.LBB24_3788:
	v_mov_b32_e32 v2, 0
	v_cmp_ne_u16_sdwa s[8:9], v3, v2 src0_sel:BYTE_0 src1_sel:DWORD
	s_andn2_b64 s[4:5], s[4:5], exec
	s_and_b64 s[8:9], s[8:9], exec
	s_or_b64 s[4:5], s[4:5], s[8:9]
	s_or_b64 exec, exec, s[6:7]
	s_and_saveexec_b64 s[6:7], s[4:5]
	s_cbranch_execnz .LBB24_1739
	s_branch .LBB24_1740
.LBB24_3789:
	s_movk_i32 s4, 0x80
	v_cmp_eq_u16_sdwa s[12:13], v3, s4 src0_sel:BYTE_0 src1_sel:DWORD
	s_mov_b64 s[4:5], -1
                                        ; implicit-def: $sgpr10
	s_and_saveexec_b64 s[8:9], s[12:13]
; %bb.3790:
	s_mov_b32 s10, 0x7f800001
	s_xor_b64 s[4:5], exec, -1
; %bb.3791:
	s_or_b64 exec, exec, s[8:9]
	s_and_b64 s[4:5], s[4:5], exec
	s_or_saveexec_b64 s[6:7], s[6:7]
	v_mov_b32_e32 v6, s10
	s_xor_b64 exec, exec, s[6:7]
	s_cbranch_execz .LBB24_1742
.LBB24_3792:
	v_mov_b32_e32 v6, 0
	v_cmp_ne_u16_sdwa s[8:9], v3, v6 src0_sel:BYTE_0 src1_sel:DWORD
	s_andn2_b64 s[4:5], s[4:5], exec
	s_and_b64 s[8:9], s[8:9], exec
	s_or_b64 s[4:5], s[4:5], s[8:9]
	s_or_b64 exec, exec, s[6:7]
	s_and_saveexec_b64 s[6:7], s[4:5]
	s_cbranch_execnz .LBB24_1743
	s_branch .LBB24_1744
.LBB24_3793:
	s_movk_i32 s4, 0x80
	v_cmp_eq_u16_e32 vcc, s4, v3
	s_mov_b64 s[4:5], -1
                                        ; implicit-def: $sgpr10
	s_and_saveexec_b64 s[8:9], vcc
; %bb.3794:
	s_mov_b32 s10, 0x7f800001
	s_xor_b64 s[4:5], exec, -1
; %bb.3795:
	s_or_b64 exec, exec, s[8:9]
	s_and_b64 s[4:5], s[4:5], exec
                                        ; implicit-def: $vgpr3
	s_or_saveexec_b64 s[6:7], s[6:7]
	v_mov_b32_e32 v2, s10
	s_xor_b64 exec, exec, s[6:7]
	s_cbranch_execz .LBB24_1746
.LBB24_3796:
	v_cmp_ne_u16_e32 vcc, 0, v3
	s_andn2_b64 s[4:5], s[4:5], exec
	s_and_b64 s[8:9], vcc, exec
	v_mov_b32_e32 v2, 0
	s_or_b64 s[4:5], s[4:5], s[8:9]
	s_or_b64 exec, exec, s[6:7]
	s_and_saveexec_b64 s[6:7], s[4:5]
	s_cbranch_execnz .LBB24_1747
	s_branch .LBB24_1748
.LBB24_3797:
	s_movk_i32 s4, 0x80
	v_cmp_eq_u16_e32 vcc, s4, v3
	s_mov_b64 s[4:5], -1
                                        ; implicit-def: $sgpr10
	s_and_saveexec_b64 s[8:9], vcc
; %bb.3798:
	s_mov_b32 s10, 0x7f800001
	s_xor_b64 s[4:5], exec, -1
; %bb.3799:
	s_or_b64 exec, exec, s[8:9]
	s_and_b64 s[4:5], s[4:5], exec
                                        ; implicit-def: $vgpr3
	s_or_saveexec_b64 s[6:7], s[6:7]
	v_mov_b32_e32 v6, s10
	s_xor_b64 exec, exec, s[6:7]
	s_cbranch_execz .LBB24_1750
.LBB24_3800:
	v_cmp_ne_u16_e32 vcc, 0, v3
	s_andn2_b64 s[4:5], s[4:5], exec
	s_and_b64 s[8:9], vcc, exec
	v_mov_b32_e32 v6, 0
	s_or_b64 s[4:5], s[4:5], s[8:9]
	s_or_b64 exec, exec, s[6:7]
	s_and_saveexec_b64 s[6:7], s[4:5]
	s_cbranch_execnz .LBB24_1751
	s_branch .LBB24_1752
.LBB24_3801:
	s_movk_i32 s4, 0x80
	v_cmp_eq_u16_sdwa s[12:13], v8, s4 src0_sel:BYTE_3 src1_sel:DWORD
	s_mov_b64 s[4:5], -1
                                        ; implicit-def: $sgpr10
	s_and_saveexec_b64 s[8:9], s[12:13]
; %bb.3802:
	s_mov_b32 s10, 0x7f800001
	s_xor_b64 s[4:5], exec, -1
; %bb.3803:
	s_or_b64 exec, exec, s[8:9]
	s_and_b64 s[4:5], s[4:5], exec
	s_or_saveexec_b64 s[6:7], s[6:7]
	v_mov_b32_e32 v2, s10
	s_xor_b64 exec, exec, s[6:7]
	s_cbranch_execz .LBB24_1754
.LBB24_3804:
	v_mov_b32_e32 v2, 0
	v_cmp_ne_u16_sdwa s[8:9], v8, v2 src0_sel:BYTE_3 src1_sel:DWORD
	s_andn2_b64 s[4:5], s[4:5], exec
	s_and_b64 s[8:9], s[8:9], exec
	s_or_b64 s[4:5], s[4:5], s[8:9]
	s_or_b64 exec, exec, s[6:7]
	s_and_saveexec_b64 s[6:7], s[4:5]
	s_cbranch_execnz .LBB24_1755
	s_branch .LBB24_1756
.LBB24_3805:
	s_movk_i32 s4, 0x80
	v_cmp_eq_u16_sdwa s[12:13], v4, s4 src0_sel:BYTE_3 src1_sel:DWORD
	s_mov_b64 s[4:5], -1
                                        ; implicit-def: $sgpr10
	s_and_saveexec_b64 s[8:9], s[12:13]
; %bb.3806:
	s_mov_b32 s10, 0x7f800001
	s_xor_b64 s[4:5], exec, -1
; %bb.3807:
	s_or_b64 exec, exec, s[8:9]
	s_and_b64 s[4:5], s[4:5], exec
	s_or_saveexec_b64 s[6:7], s[6:7]
	v_mov_b32_e32 v3, s10
	s_xor_b64 exec, exec, s[6:7]
	s_cbranch_execz .LBB24_1758
.LBB24_3808:
	v_mov_b32_e32 v3, 0
	v_cmp_ne_u16_sdwa s[8:9], v4, v3 src0_sel:BYTE_3 src1_sel:DWORD
	s_andn2_b64 s[4:5], s[4:5], exec
	s_and_b64 s[8:9], s[8:9], exec
	s_or_b64 s[4:5], s[4:5], s[8:9]
	s_or_b64 exec, exec, s[6:7]
	s_and_saveexec_b64 s[6:7], s[4:5]
	s_cbranch_execnz .LBB24_1759
	s_branch .LBB24_1760
.LBB24_3809:
	s_movk_i32 s4, 0x80
	v_cmp_eq_u16_sdwa s[12:13], v9, s4 src0_sel:BYTE_0 src1_sel:DWORD
	s_mov_b64 s[4:5], -1
                                        ; implicit-def: $sgpr10
	s_and_saveexec_b64 s[8:9], s[12:13]
; %bb.3810:
	s_mov_b32 s10, 0x7f800001
	s_xor_b64 s[4:5], exec, -1
; %bb.3811:
	s_or_b64 exec, exec, s[8:9]
	s_and_b64 s[4:5], s[4:5], exec
	s_or_saveexec_b64 s[6:7], s[6:7]
	v_mov_b32_e32 v2, s10
	s_xor_b64 exec, exec, s[6:7]
	s_cbranch_execz .LBB24_1762
.LBB24_3812:
	v_mov_b32_e32 v2, 0
	v_cmp_ne_u16_sdwa s[8:9], v9, v2 src0_sel:BYTE_0 src1_sel:DWORD
	s_andn2_b64 s[4:5], s[4:5], exec
	s_and_b64 s[8:9], s[8:9], exec
	s_or_b64 s[4:5], s[4:5], s[8:9]
	s_or_b64 exec, exec, s[6:7]
	s_and_saveexec_b64 s[6:7], s[4:5]
	s_cbranch_execnz .LBB24_1763
	s_branch .LBB24_1764
.LBB24_3813:
	s_movk_i32 s4, 0x80
	v_cmp_eq_u16_sdwa s[12:13], v5, s4 src0_sel:BYTE_0 src1_sel:DWORD
	s_mov_b64 s[4:5], -1
                                        ; implicit-def: $sgpr10
	s_and_saveexec_b64 s[8:9], s[12:13]
; %bb.3814:
	s_mov_b32 s10, 0x7f800001
	s_xor_b64 s[4:5], exec, -1
; %bb.3815:
	s_or_b64 exec, exec, s[8:9]
	s_and_b64 s[4:5], s[4:5], exec
	s_or_saveexec_b64 s[6:7], s[6:7]
	v_mov_b32_e32 v3, s10
	s_xor_b64 exec, exec, s[6:7]
	s_cbranch_execz .LBB24_1766
.LBB24_3816:
	v_mov_b32_e32 v3, 0
	v_cmp_ne_u16_sdwa s[8:9], v5, v3 src0_sel:BYTE_0 src1_sel:DWORD
	s_andn2_b64 s[4:5], s[4:5], exec
	s_and_b64 s[8:9], s[8:9], exec
	s_or_b64 s[4:5], s[4:5], s[8:9]
	s_or_b64 exec, exec, s[6:7]
	s_and_saveexec_b64 s[6:7], s[4:5]
	s_cbranch_execnz .LBB24_1767
	s_branch .LBB24_1768
.LBB24_3817:
	s_movk_i32 s4, 0x80
	v_cmp_eq_u16_sdwa s[12:13], v3, s4 src0_sel:BYTE_0 src1_sel:DWORD
	s_mov_b64 s[4:5], -1
                                        ; implicit-def: $sgpr10
	s_and_saveexec_b64 s[8:9], s[12:13]
; %bb.3818:
	s_mov_b32 s10, 0x7f800001
	s_xor_b64 s[4:5], exec, -1
; %bb.3819:
	s_or_b64 exec, exec, s[8:9]
	s_and_b64 s[4:5], s[4:5], exec
	s_or_saveexec_b64 s[6:7], s[6:7]
	v_mov_b32_e32 v2, s10
	s_xor_b64 exec, exec, s[6:7]
	s_cbranch_execz .LBB24_1770
.LBB24_3820:
	v_mov_b32_e32 v2, 0
	v_cmp_ne_u16_sdwa s[8:9], v3, v2 src0_sel:BYTE_0 src1_sel:DWORD
	s_andn2_b64 s[4:5], s[4:5], exec
	s_and_b64 s[8:9], s[8:9], exec
	s_or_b64 s[4:5], s[4:5], s[8:9]
	s_or_b64 exec, exec, s[6:7]
	s_and_saveexec_b64 s[6:7], s[4:5]
	s_cbranch_execnz .LBB24_1771
	s_branch .LBB24_1772
.LBB24_3821:
	s_movk_i32 s4, 0x80
	v_cmp_eq_u16_sdwa s[12:13], v3, s4 src0_sel:BYTE_0 src1_sel:DWORD
	s_mov_b64 s[4:5], -1
                                        ; implicit-def: $sgpr10
	s_and_saveexec_b64 s[8:9], s[12:13]
; %bb.3822:
	s_mov_b32 s10, 0x7f800001
	s_xor_b64 s[4:5], exec, -1
; %bb.3823:
	s_or_b64 exec, exec, s[8:9]
	s_and_b64 s[4:5], s[4:5], exec
	s_or_saveexec_b64 s[6:7], s[6:7]
	v_mov_b32_e32 v4, s10
	s_xor_b64 exec, exec, s[6:7]
	s_cbranch_execz .LBB24_1774
.LBB24_3824:
	v_mov_b32_e32 v4, 0
	v_cmp_ne_u16_sdwa s[8:9], v3, v4 src0_sel:BYTE_0 src1_sel:DWORD
	s_andn2_b64 s[4:5], s[4:5], exec
	s_and_b64 s[8:9], s[8:9], exec
	s_or_b64 s[4:5], s[4:5], s[8:9]
	s_or_b64 exec, exec, s[6:7]
	s_and_saveexec_b64 s[6:7], s[4:5]
	s_cbranch_execnz .LBB24_1775
	s_branch .LBB24_1776
.LBB24_3825:
	s_movk_i32 s4, 0x80
	v_cmp_eq_u16_e32 vcc, s4, v3
	s_mov_b64 s[4:5], -1
                                        ; implicit-def: $sgpr10
	s_and_saveexec_b64 s[8:9], vcc
; %bb.3826:
	s_mov_b32 s10, 0x7f800001
	s_xor_b64 s[4:5], exec, -1
; %bb.3827:
	s_or_b64 exec, exec, s[8:9]
	s_and_b64 s[4:5], s[4:5], exec
                                        ; implicit-def: $vgpr3
	s_or_saveexec_b64 s[6:7], s[6:7]
	v_mov_b32_e32 v2, s10
	s_xor_b64 exec, exec, s[6:7]
	s_cbranch_execz .LBB24_1778
.LBB24_3828:
	v_cmp_ne_u16_e32 vcc, 0, v3
	s_andn2_b64 s[4:5], s[4:5], exec
	s_and_b64 s[8:9], vcc, exec
	v_mov_b32_e32 v2, 0
	s_or_b64 s[4:5], s[4:5], s[8:9]
	s_or_b64 exec, exec, s[6:7]
	s_and_saveexec_b64 s[6:7], s[4:5]
	s_cbranch_execnz .LBB24_1779
	s_branch .LBB24_1780
.LBB24_3829:
	s_movk_i32 s4, 0x80
	v_cmp_eq_u16_e32 vcc, s4, v3
	s_mov_b64 s[4:5], -1
                                        ; implicit-def: $sgpr10
	s_and_saveexec_b64 s[8:9], vcc
; %bb.3830:
	s_mov_b32 s10, 0x7f800001
	s_xor_b64 s[4:5], exec, -1
; %bb.3831:
	s_or_b64 exec, exec, s[8:9]
	s_and_b64 s[4:5], s[4:5], exec
                                        ; implicit-def: $vgpr3
	s_or_saveexec_b64 s[6:7], s[6:7]
	v_mov_b32_e32 v4, s10
	s_xor_b64 exec, exec, s[6:7]
	s_cbranch_execz .LBB24_1782
.LBB24_3832:
	v_cmp_ne_u16_e32 vcc, 0, v3
	s_andn2_b64 s[4:5], s[4:5], exec
	s_and_b64 s[8:9], vcc, exec
	v_mov_b32_e32 v4, 0
	s_or_b64 s[4:5], s[4:5], s[8:9]
	s_or_b64 exec, exec, s[6:7]
	s_and_saveexec_b64 s[6:7], s[4:5]
	s_cbranch_execnz .LBB24_1783
	s_branch .LBB24_1784
.LBB24_3833:
	s_movk_i32 s4, 0x80
	v_cmp_eq_u16_sdwa s[12:13], v9, s4 src0_sel:BYTE_3 src1_sel:DWORD
	s_mov_b64 s[4:5], -1
                                        ; implicit-def: $sgpr10
	s_and_saveexec_b64 s[8:9], s[12:13]
; %bb.3834:
	s_mov_b32 s10, 0x7f800001
	s_xor_b64 s[4:5], exec, -1
; %bb.3835:
	s_or_b64 exec, exec, s[8:9]
	s_and_b64 s[4:5], s[4:5], exec
	s_or_saveexec_b64 s[6:7], s[6:7]
	v_mov_b32_e32 v2, s10
	s_xor_b64 exec, exec, s[6:7]
	s_cbranch_execz .LBB24_1786
.LBB24_3836:
	v_mov_b32_e32 v2, 0
	v_cmp_ne_u16_sdwa s[8:9], v9, v2 src0_sel:BYTE_3 src1_sel:DWORD
	s_andn2_b64 s[4:5], s[4:5], exec
	s_and_b64 s[8:9], s[8:9], exec
	s_or_b64 s[4:5], s[4:5], s[8:9]
	s_or_b64 exec, exec, s[6:7]
	s_and_saveexec_b64 s[6:7], s[4:5]
	s_cbranch_execnz .LBB24_1787
	s_branch .LBB24_1788
.LBB24_3837:
	s_movk_i32 s4, 0x80
	v_cmp_eq_u16_sdwa s[12:13], v5, s4 src0_sel:BYTE_3 src1_sel:DWORD
	s_mov_b64 s[4:5], -1
                                        ; implicit-def: $sgpr10
	s_and_saveexec_b64 s[8:9], s[12:13]
; %bb.3838:
	s_mov_b32 s10, 0x7f800001
	s_xor_b64 s[4:5], exec, -1
; %bb.3839:
	s_or_b64 exec, exec, s[8:9]
	s_and_b64 s[4:5], s[4:5], exec
	s_or_saveexec_b64 s[6:7], s[6:7]
	v_mov_b32_e32 v3, s10
	s_xor_b64 exec, exec, s[6:7]
	s_cbranch_execz .LBB24_1790
.LBB24_3840:
	v_mov_b32_e32 v3, 0
	v_cmp_ne_u16_sdwa s[8:9], v5, v3 src0_sel:BYTE_3 src1_sel:DWORD
	s_andn2_b64 s[4:5], s[4:5], exec
	s_and_b64 s[8:9], s[8:9], exec
	s_or_b64 s[4:5], s[4:5], s[8:9]
	s_or_b64 exec, exec, s[6:7]
	s_and_saveexec_b64 s[6:7], s[4:5]
	s_cbranch_execnz .LBB24_1791
	s_branch .LBB24_1792
.LBB24_3841:
	s_movk_i32 s4, 0x80
	v_cmp_eq_u16_sdwa s[12:13], v12, s4 src0_sel:BYTE_0 src1_sel:DWORD
	s_mov_b64 s[4:5], -1
                                        ; implicit-def: $sgpr10
	s_and_saveexec_b64 s[8:9], s[12:13]
; %bb.3842:
	s_mov_b32 s10, 0x7f800001
	s_xor_b64 s[4:5], exec, -1
; %bb.3843:
	s_or_b64 exec, exec, s[8:9]
	s_and_b64 s[4:5], s[4:5], exec
	s_or_saveexec_b64 s[6:7], s[6:7]
	v_mov_b32_e32 v18, s10
	s_xor_b64 exec, exec, s[6:7]
	s_cbranch_execz .LBB24_1794
.LBB24_3844:
	v_mov_b32_e32 v18, 0
	v_cmp_ne_u16_sdwa s[8:9], v12, v18 src0_sel:BYTE_0 src1_sel:DWORD
	s_andn2_b64 s[4:5], s[4:5], exec
	s_and_b64 s[8:9], s[8:9], exec
	s_or_b64 s[4:5], s[4:5], s[8:9]
	s_or_b64 exec, exec, s[6:7]
	s_and_saveexec_b64 s[6:7], s[4:5]
	s_cbranch_execnz .LBB24_1795
	s_branch .LBB24_1796
.LBB24_3845:
	s_movk_i32 s4, 0x80
	v_cmp_eq_u16_sdwa s[12:13], v8, s4 src0_sel:BYTE_0 src1_sel:DWORD
	s_mov_b64 s[4:5], -1
                                        ; implicit-def: $sgpr10
	s_and_saveexec_b64 s[8:9], s[12:13]
; %bb.3846:
	s_mov_b32 s10, 0x7f800001
	s_xor_b64 s[4:5], exec, -1
; %bb.3847:
	s_or_b64 exec, exec, s[8:9]
	s_and_b64 s[4:5], s[4:5], exec
	s_or_saveexec_b64 s[6:7], s[6:7]
	v_mov_b32_e32 v19, s10
	s_xor_b64 exec, exec, s[6:7]
	s_cbranch_execz .LBB24_1798
.LBB24_3848:
	v_mov_b32_e32 v19, 0
	v_cmp_ne_u16_sdwa s[8:9], v8, v19 src0_sel:BYTE_0 src1_sel:DWORD
	s_andn2_b64 s[4:5], s[4:5], exec
	s_and_b64 s[8:9], s[8:9], exec
	s_or_b64 s[4:5], s[4:5], s[8:9]
	s_or_b64 exec, exec, s[6:7]
	s_and_saveexec_b64 s[6:7], s[4:5]
	s_cbranch_execnz .LBB24_1799
	s_branch .LBB24_1800
.LBB24_3849:
	s_movk_i32 s4, 0x80
	v_cmp_eq_u16_sdwa s[12:13], v19, s4 src0_sel:BYTE_0 src1_sel:DWORD
	s_mov_b64 s[4:5], -1
                                        ; implicit-def: $sgpr10
	s_and_saveexec_b64 s[8:9], s[12:13]
; %bb.3850:
	s_mov_b32 s10, 0x7f800001
	s_xor_b64 s[4:5], exec, -1
; %bb.3851:
	s_or_b64 exec, exec, s[8:9]
	s_and_b64 s[4:5], s[4:5], exec
	s_or_saveexec_b64 s[6:7], s[6:7]
	v_mov_b32_e32 v18, s10
	s_xor_b64 exec, exec, s[6:7]
	s_cbranch_execz .LBB24_1802
.LBB24_3852:
	v_mov_b32_e32 v18, 0
	v_cmp_ne_u16_sdwa s[8:9], v19, v18 src0_sel:BYTE_0 src1_sel:DWORD
	s_andn2_b64 s[4:5], s[4:5], exec
	s_and_b64 s[8:9], s[8:9], exec
	s_or_b64 s[4:5], s[4:5], s[8:9]
	s_or_b64 exec, exec, s[6:7]
	s_and_saveexec_b64 s[6:7], s[4:5]
	s_cbranch_execnz .LBB24_1803
	s_branch .LBB24_1804
.LBB24_3853:
	s_movk_i32 s4, 0x80
	v_cmp_eq_u16_sdwa s[12:13], v19, s4 src0_sel:BYTE_0 src1_sel:DWORD
	s_mov_b64 s[4:5], -1
                                        ; implicit-def: $sgpr10
	s_and_saveexec_b64 s[8:9], s[12:13]
; %bb.3854:
	s_mov_b32 s10, 0x7f800001
	s_xor_b64 s[4:5], exec, -1
; %bb.3855:
	s_or_b64 exec, exec, s[8:9]
	s_and_b64 s[4:5], s[4:5], exec
	s_or_saveexec_b64 s[6:7], s[6:7]
	v_mov_b32_e32 v20, s10
	s_xor_b64 exec, exec, s[6:7]
	s_cbranch_execz .LBB24_1806
.LBB24_3856:
	v_mov_b32_e32 v20, 0
	v_cmp_ne_u16_sdwa s[8:9], v19, v20 src0_sel:BYTE_0 src1_sel:DWORD
	s_andn2_b64 s[4:5], s[4:5], exec
	s_and_b64 s[8:9], s[8:9], exec
	s_or_b64 s[4:5], s[4:5], s[8:9]
	s_or_b64 exec, exec, s[6:7]
	s_and_saveexec_b64 s[6:7], s[4:5]
	s_cbranch_execnz .LBB24_1807
	s_branch .LBB24_1808
.LBB24_3857:
	s_movk_i32 s4, 0x80
	v_cmp_eq_u16_e32 vcc, s4, v19
	s_mov_b64 s[4:5], -1
                                        ; implicit-def: $sgpr10
	s_and_saveexec_b64 s[8:9], vcc
; %bb.3858:
	s_mov_b32 s10, 0x7f800001
	s_xor_b64 s[4:5], exec, -1
; %bb.3859:
	s_or_b64 exec, exec, s[8:9]
	s_and_b64 s[4:5], s[4:5], exec
                                        ; implicit-def: $vgpr19
	s_or_saveexec_b64 s[6:7], s[6:7]
	v_mov_b32_e32 v18, s10
	s_xor_b64 exec, exec, s[6:7]
	s_cbranch_execz .LBB24_1810
.LBB24_3860:
	v_cmp_ne_u16_e32 vcc, 0, v19
	s_andn2_b64 s[4:5], s[4:5], exec
	s_and_b64 s[8:9], vcc, exec
	v_mov_b32_e32 v18, 0
	s_or_b64 s[4:5], s[4:5], s[8:9]
	s_or_b64 exec, exec, s[6:7]
	s_and_saveexec_b64 s[6:7], s[4:5]
	s_cbranch_execnz .LBB24_1811
	s_branch .LBB24_1812
.LBB24_3861:
	s_movk_i32 s4, 0x80
	v_cmp_eq_u16_e32 vcc, s4, v19
	s_mov_b64 s[4:5], -1
                                        ; implicit-def: $sgpr10
	s_and_saveexec_b64 s[8:9], vcc
; %bb.3862:
	s_mov_b32 s10, 0x7f800001
	s_xor_b64 s[4:5], exec, -1
; %bb.3863:
	s_or_b64 exec, exec, s[8:9]
	s_and_b64 s[4:5], s[4:5], exec
                                        ; implicit-def: $vgpr19
	s_or_saveexec_b64 s[6:7], s[6:7]
	v_mov_b32_e32 v20, s10
	s_xor_b64 exec, exec, s[6:7]
	s_cbranch_execz .LBB24_1814
.LBB24_3864:
	v_cmp_ne_u16_e32 vcc, 0, v19
	s_andn2_b64 s[4:5], s[4:5], exec
	s_and_b64 s[8:9], vcc, exec
	v_mov_b32_e32 v20, 0
	s_or_b64 s[4:5], s[4:5], s[8:9]
	s_or_b64 exec, exec, s[6:7]
	s_and_saveexec_b64 s[6:7], s[4:5]
	s_cbranch_execnz .LBB24_1815
	s_branch .LBB24_1816
.LBB24_3865:
	s_movk_i32 s4, 0x80
	v_cmp_eq_u16_sdwa s[12:13], v12, s4 src0_sel:BYTE_3 src1_sel:DWORD
	s_mov_b64 s[4:5], -1
                                        ; implicit-def: $sgpr10
	s_and_saveexec_b64 s[8:9], s[12:13]
; %bb.3866:
	s_mov_b32 s10, 0x7f800001
	s_xor_b64 s[4:5], exec, -1
; %bb.3867:
	s_or_b64 exec, exec, s[8:9]
	s_and_b64 s[4:5], s[4:5], exec
	s_or_saveexec_b64 s[6:7], s[6:7]
	v_mov_b32_e32 v18, s10
	s_xor_b64 exec, exec, s[6:7]
	s_cbranch_execz .LBB24_1818
.LBB24_3868:
	v_mov_b32_e32 v18, 0
	v_cmp_ne_u16_sdwa s[8:9], v12, v18 src0_sel:BYTE_3 src1_sel:DWORD
	s_andn2_b64 s[4:5], s[4:5], exec
	s_and_b64 s[8:9], s[8:9], exec
	s_or_b64 s[4:5], s[4:5], s[8:9]
	s_or_b64 exec, exec, s[6:7]
	s_and_saveexec_b64 s[6:7], s[4:5]
	s_cbranch_execnz .LBB24_1819
	s_branch .LBB24_1820
.LBB24_3869:
	s_movk_i32 s4, 0x80
	v_cmp_eq_u16_sdwa s[12:13], v8, s4 src0_sel:BYTE_3 src1_sel:DWORD
	s_mov_b64 s[4:5], -1
                                        ; implicit-def: $sgpr10
	s_and_saveexec_b64 s[8:9], s[12:13]
; %bb.3870:
	s_mov_b32 s10, 0x7f800001
	s_xor_b64 s[4:5], exec, -1
; %bb.3871:
	s_or_b64 exec, exec, s[8:9]
	s_and_b64 s[4:5], s[4:5], exec
	s_or_saveexec_b64 s[6:7], s[6:7]
	v_mov_b32_e32 v12, s10
	s_xor_b64 exec, exec, s[6:7]
	s_cbranch_execz .LBB24_1822
.LBB24_3872:
	v_mov_b32_e32 v12, 0
	v_cmp_ne_u16_sdwa s[8:9], v8, v12 src0_sel:BYTE_3 src1_sel:DWORD
	s_andn2_b64 s[4:5], s[4:5], exec
	s_and_b64 s[8:9], s[8:9], exec
	s_or_b64 s[4:5], s[4:5], s[8:9]
	s_or_b64 exec, exec, s[6:7]
	s_and_saveexec_b64 s[6:7], s[4:5]
	s_cbranch_execnz .LBB24_1823
	s_branch .LBB24_1824
.LBB24_3873:
	s_movk_i32 s4, 0x80
	v_cmp_eq_u16_sdwa s[12:13], v13, s4 src0_sel:BYTE_0 src1_sel:DWORD
	s_mov_b64 s[4:5], -1
                                        ; implicit-def: $sgpr10
	s_and_saveexec_b64 s[8:9], s[12:13]
; %bb.3874:
	s_mov_b32 s10, 0x7f800001
	s_xor_b64 s[4:5], exec, -1
; %bb.3875:
	s_or_b64 exec, exec, s[8:9]
	s_and_b64 s[4:5], s[4:5], exec
	s_or_saveexec_b64 s[6:7], s[6:7]
	v_mov_b32_e32 v8, s10
	s_xor_b64 exec, exec, s[6:7]
	s_cbranch_execz .LBB24_1826
.LBB24_3876:
	v_mov_b32_e32 v8, 0
	v_cmp_ne_u16_sdwa s[8:9], v13, v8 src0_sel:BYTE_0 src1_sel:DWORD
	s_andn2_b64 s[4:5], s[4:5], exec
	s_and_b64 s[8:9], s[8:9], exec
	s_or_b64 s[4:5], s[4:5], s[8:9]
	s_or_b64 exec, exec, s[6:7]
	s_and_saveexec_b64 s[6:7], s[4:5]
	s_cbranch_execnz .LBB24_1827
	s_branch .LBB24_1828
.LBB24_3877:
	s_movk_i32 s4, 0x80
	v_cmp_eq_u16_sdwa s[12:13], v9, s4 src0_sel:BYTE_0 src1_sel:DWORD
	s_mov_b64 s[4:5], -1
                                        ; implicit-def: $sgpr10
	s_and_saveexec_b64 s[8:9], s[12:13]
; %bb.3878:
	s_mov_b32 s10, 0x7f800001
	s_xor_b64 s[4:5], exec, -1
; %bb.3879:
	s_or_b64 exec, exec, s[8:9]
	s_and_b64 s[4:5], s[4:5], exec
	s_or_saveexec_b64 s[6:7], s[6:7]
	v_mov_b32_e32 v12, s10
	s_xor_b64 exec, exec, s[6:7]
	s_cbranch_execz .LBB24_1830
.LBB24_3880:
	v_mov_b32_e32 v12, 0
	v_cmp_ne_u16_sdwa s[8:9], v9, v12 src0_sel:BYTE_0 src1_sel:DWORD
	s_andn2_b64 s[4:5], s[4:5], exec
	s_and_b64 s[8:9], s[8:9], exec
	s_or_b64 s[4:5], s[4:5], s[8:9]
	s_or_b64 exec, exec, s[6:7]
	s_and_saveexec_b64 s[6:7], s[4:5]
	s_cbranch_execnz .LBB24_1831
	s_branch .LBB24_1832
.LBB24_3881:
	s_movk_i32 s4, 0x80
	v_cmp_eq_u16_sdwa s[12:13], v12, s4 src0_sel:BYTE_0 src1_sel:DWORD
	s_mov_b64 s[4:5], -1
                                        ; implicit-def: $sgpr10
	s_and_saveexec_b64 s[8:9], s[12:13]
; %bb.3882:
	s_mov_b32 s10, 0x7f800001
	s_xor_b64 s[4:5], exec, -1
; %bb.3883:
	s_or_b64 exec, exec, s[8:9]
	s_and_b64 s[4:5], s[4:5], exec
	s_or_saveexec_b64 s[6:7], s[6:7]
	v_mov_b32_e32 v8, s10
	s_xor_b64 exec, exec, s[6:7]
	s_cbranch_execz .LBB24_1834
.LBB24_3884:
	v_mov_b32_e32 v8, 0
	v_cmp_ne_u16_sdwa s[8:9], v12, v8 src0_sel:BYTE_0 src1_sel:DWORD
	s_andn2_b64 s[4:5], s[4:5], exec
	s_and_b64 s[8:9], s[8:9], exec
	s_or_b64 s[4:5], s[4:5], s[8:9]
	s_or_b64 exec, exec, s[6:7]
	s_and_saveexec_b64 s[6:7], s[4:5]
	s_cbranch_execnz .LBB24_1835
	s_branch .LBB24_1836
.LBB24_3885:
	s_movk_i32 s4, 0x80
	v_cmp_eq_u16_sdwa s[12:13], v12, s4 src0_sel:BYTE_0 src1_sel:DWORD
	s_mov_b64 s[4:5], -1
                                        ; implicit-def: $sgpr10
	s_and_saveexec_b64 s[8:9], s[12:13]
; %bb.3886:
	s_mov_b32 s10, 0x7f800001
	s_xor_b64 s[4:5], exec, -1
; %bb.3887:
	s_or_b64 exec, exec, s[8:9]
	s_and_b64 s[4:5], s[4:5], exec
	s_or_saveexec_b64 s[6:7], s[6:7]
	v_mov_b32_e32 v18, s10
	s_xor_b64 exec, exec, s[6:7]
	s_cbranch_execz .LBB24_1838
.LBB24_3888:
	v_mov_b32_e32 v18, 0
	v_cmp_ne_u16_sdwa s[8:9], v12, v18 src0_sel:BYTE_0 src1_sel:DWORD
	s_andn2_b64 s[4:5], s[4:5], exec
	s_and_b64 s[8:9], s[8:9], exec
	s_or_b64 s[4:5], s[4:5], s[8:9]
	s_or_b64 exec, exec, s[6:7]
	s_and_saveexec_b64 s[6:7], s[4:5]
	s_cbranch_execnz .LBB24_1839
	s_branch .LBB24_1840
.LBB24_3889:
	s_movk_i32 s4, 0x80
	v_cmp_eq_u16_e32 vcc, s4, v12
	s_mov_b64 s[4:5], -1
                                        ; implicit-def: $sgpr10
	s_and_saveexec_b64 s[8:9], vcc
; %bb.3890:
	s_mov_b32 s10, 0x7f800001
	s_xor_b64 s[4:5], exec, -1
; %bb.3891:
	s_or_b64 exec, exec, s[8:9]
	s_and_b64 s[4:5], s[4:5], exec
                                        ; implicit-def: $vgpr12
	s_or_saveexec_b64 s[6:7], s[6:7]
	v_mov_b32_e32 v8, s10
	s_xor_b64 exec, exec, s[6:7]
	s_cbranch_execz .LBB24_1842
.LBB24_3892:
	v_cmp_ne_u16_e32 vcc, 0, v12
	s_andn2_b64 s[4:5], s[4:5], exec
	s_and_b64 s[8:9], vcc, exec
	v_mov_b32_e32 v8, 0
	s_or_b64 s[4:5], s[4:5], s[8:9]
	s_or_b64 exec, exec, s[6:7]
	s_and_saveexec_b64 s[6:7], s[4:5]
	s_cbranch_execnz .LBB24_1843
	s_branch .LBB24_1844
.LBB24_3893:
	s_movk_i32 s4, 0x80
	v_cmp_eq_u16_e32 vcc, s4, v12
	s_mov_b64 s[4:5], -1
                                        ; implicit-def: $sgpr10
	s_and_saveexec_b64 s[8:9], vcc
; %bb.3894:
	s_mov_b32 s10, 0x7f800001
	s_xor_b64 s[4:5], exec, -1
; %bb.3895:
	s_or_b64 exec, exec, s[8:9]
	s_and_b64 s[4:5], s[4:5], exec
                                        ; implicit-def: $vgpr12
	s_or_saveexec_b64 s[6:7], s[6:7]
	v_mov_b32_e32 v18, s10
	s_xor_b64 exec, exec, s[6:7]
	s_cbranch_execz .LBB24_1846
.LBB24_3896:
	v_cmp_ne_u16_e32 vcc, 0, v12
	s_andn2_b64 s[4:5], s[4:5], exec
	s_and_b64 s[8:9], vcc, exec
	v_mov_b32_e32 v18, 0
	s_or_b64 s[4:5], s[4:5], s[8:9]
	s_or_b64 exec, exec, s[6:7]
	s_and_saveexec_b64 s[6:7], s[4:5]
	s_cbranch_execnz .LBB24_1847
	s_branch .LBB24_1848
.LBB24_3897:
	s_movk_i32 s4, 0x80
	v_cmp_eq_u16_sdwa s[12:13], v13, s4 src0_sel:BYTE_3 src1_sel:DWORD
	s_mov_b64 s[4:5], -1
                                        ; implicit-def: $sgpr10
	s_and_saveexec_b64 s[8:9], s[12:13]
; %bb.3898:
	s_mov_b32 s10, 0x7f800001
	s_xor_b64 s[4:5], exec, -1
; %bb.3899:
	s_or_b64 exec, exec, s[8:9]
	s_and_b64 s[4:5], s[4:5], exec
	s_or_saveexec_b64 s[6:7], s[6:7]
	v_mov_b32_e32 v8, s10
	s_xor_b64 exec, exec, s[6:7]
	s_cbranch_execz .LBB24_1850
.LBB24_3900:
	v_mov_b32_e32 v8, 0
	v_cmp_ne_u16_sdwa s[8:9], v13, v8 src0_sel:BYTE_3 src1_sel:DWORD
	s_andn2_b64 s[4:5], s[4:5], exec
	s_and_b64 s[8:9], s[8:9], exec
	s_or_b64 s[4:5], s[4:5], s[8:9]
	s_or_b64 exec, exec, s[6:7]
	s_and_saveexec_b64 s[6:7], s[4:5]
	s_cbranch_execnz .LBB24_1851
	s_branch .LBB24_1852
.LBB24_3901:
	s_movk_i32 s4, 0x80
	v_cmp_eq_u16_sdwa s[12:13], v9, s4 src0_sel:BYTE_3 src1_sel:DWORD
	s_mov_b64 s[4:5], -1
                                        ; implicit-def: $sgpr10
	s_and_saveexec_b64 s[8:9], s[12:13]
; %bb.3902:
	s_mov_b32 s10, 0x7f800001
	s_xor_b64 s[4:5], exec, -1
; %bb.3903:
	s_or_b64 exec, exec, s[8:9]
	s_and_b64 s[4:5], s[4:5], exec
	s_or_saveexec_b64 s[6:7], s[6:7]
	v_mov_b32_e32 v12, s10
	s_xor_b64 exec, exec, s[6:7]
	s_cbranch_execz .LBB24_1854
.LBB24_3904:
	v_mov_b32_e32 v12, 0
	v_cmp_ne_u16_sdwa s[8:9], v9, v12 src0_sel:BYTE_3 src1_sel:DWORD
	s_andn2_b64 s[4:5], s[4:5], exec
	s_and_b64 s[8:9], s[8:9], exec
	s_or_b64 s[4:5], s[4:5], s[8:9]
	s_or_b64 exec, exec, s[6:7]
	s_and_saveexec_b64 s[6:7], s[4:5]
	s_cbranch_execnz .LBB24_1855
	s_branch .LBB24_1856
.LBB24_3905:
	s_movk_i32 s4, 0x80
	v_cmp_eq_u16_sdwa s[12:13], v14, s4 src0_sel:BYTE_0 src1_sel:DWORD
	s_mov_b64 s[4:5], -1
                                        ; implicit-def: $sgpr10
	s_and_saveexec_b64 s[8:9], s[12:13]
; %bb.3906:
	s_mov_b32 s10, 0x7f800001
	s_xor_b64 s[4:5], exec, -1
; %bb.3907:
	s_or_b64 exec, exec, s[8:9]
	s_and_b64 s[4:5], s[4:5], exec
	s_or_saveexec_b64 s[6:7], s[6:7]
	v_mov_b32_e32 v8, s10
	s_xor_b64 exec, exec, s[6:7]
	s_cbranch_execz .LBB24_1858
.LBB24_3908:
	v_mov_b32_e32 v8, 0
	v_cmp_ne_u16_sdwa s[8:9], v14, v8 src0_sel:BYTE_0 src1_sel:DWORD
	s_andn2_b64 s[4:5], s[4:5], exec
	s_and_b64 s[8:9], s[8:9], exec
	s_or_b64 s[4:5], s[4:5], s[8:9]
	s_or_b64 exec, exec, s[6:7]
	s_and_saveexec_b64 s[6:7], s[4:5]
	s_cbranch_execnz .LBB24_1859
	s_branch .LBB24_1860
.LBB24_3909:
	s_movk_i32 s4, 0x80
	v_cmp_eq_u16_sdwa s[12:13], v10, s4 src0_sel:BYTE_0 src1_sel:DWORD
	s_mov_b64 s[4:5], -1
                                        ; implicit-def: $sgpr10
	s_and_saveexec_b64 s[8:9], s[12:13]
; %bb.3910:
	s_mov_b32 s10, 0x7f800001
	s_xor_b64 s[4:5], exec, -1
; %bb.3911:
	s_or_b64 exec, exec, s[8:9]
	s_and_b64 s[4:5], s[4:5], exec
	s_or_saveexec_b64 s[6:7], s[6:7]
	v_mov_b32_e32 v9, s10
	s_xor_b64 exec, exec, s[6:7]
	s_cbranch_execz .LBB24_1862
.LBB24_3912:
	v_mov_b32_e32 v9, 0
	v_cmp_ne_u16_sdwa s[8:9], v10, v9 src0_sel:BYTE_0 src1_sel:DWORD
	s_andn2_b64 s[4:5], s[4:5], exec
	s_and_b64 s[8:9], s[8:9], exec
	s_or_b64 s[4:5], s[4:5], s[8:9]
	s_or_b64 exec, exec, s[6:7]
	s_and_saveexec_b64 s[6:7], s[4:5]
	s_cbranch_execnz .LBB24_1863
	s_branch .LBB24_1864
.LBB24_3913:
	s_movk_i32 s4, 0x80
	v_cmp_eq_u16_sdwa s[12:13], v9, s4 src0_sel:BYTE_0 src1_sel:DWORD
	s_mov_b64 s[4:5], -1
                                        ; implicit-def: $sgpr10
	s_and_saveexec_b64 s[8:9], s[12:13]
; %bb.3914:
	s_mov_b32 s10, 0x7f800001
	s_xor_b64 s[4:5], exec, -1
; %bb.3915:
	s_or_b64 exec, exec, s[8:9]
	s_and_b64 s[4:5], s[4:5], exec
	s_or_saveexec_b64 s[6:7], s[6:7]
	v_mov_b32_e32 v8, s10
	s_xor_b64 exec, exec, s[6:7]
	s_cbranch_execz .LBB24_1866
.LBB24_3916:
	v_mov_b32_e32 v8, 0
	v_cmp_ne_u16_sdwa s[8:9], v9, v8 src0_sel:BYTE_0 src1_sel:DWORD
	s_andn2_b64 s[4:5], s[4:5], exec
	s_and_b64 s[8:9], s[8:9], exec
	s_or_b64 s[4:5], s[4:5], s[8:9]
	s_or_b64 exec, exec, s[6:7]
	s_and_saveexec_b64 s[6:7], s[4:5]
	s_cbranch_execnz .LBB24_1867
	s_branch .LBB24_1868
.LBB24_3917:
	s_movk_i32 s4, 0x80
	v_cmp_eq_u16_sdwa s[12:13], v9, s4 src0_sel:BYTE_0 src1_sel:DWORD
	s_mov_b64 s[4:5], -1
                                        ; implicit-def: $sgpr10
	s_and_saveexec_b64 s[8:9], s[12:13]
; %bb.3918:
	s_mov_b32 s10, 0x7f800001
	s_xor_b64 s[4:5], exec, -1
; %bb.3919:
	s_or_b64 exec, exec, s[8:9]
	s_and_b64 s[4:5], s[4:5], exec
	s_or_saveexec_b64 s[6:7], s[6:7]
	v_mov_b32_e32 v12, s10
	s_xor_b64 exec, exec, s[6:7]
	s_cbranch_execz .LBB24_1870
.LBB24_3920:
	v_mov_b32_e32 v12, 0
	v_cmp_ne_u16_sdwa s[8:9], v9, v12 src0_sel:BYTE_0 src1_sel:DWORD
	s_andn2_b64 s[4:5], s[4:5], exec
	s_and_b64 s[8:9], s[8:9], exec
	s_or_b64 s[4:5], s[4:5], s[8:9]
	s_or_b64 exec, exec, s[6:7]
	s_and_saveexec_b64 s[6:7], s[4:5]
	s_cbranch_execnz .LBB24_1871
	s_branch .LBB24_1872
.LBB24_3921:
	s_movk_i32 s4, 0x80
	v_cmp_eq_u16_e32 vcc, s4, v9
	s_mov_b64 s[4:5], -1
                                        ; implicit-def: $sgpr10
	s_and_saveexec_b64 s[8:9], vcc
; %bb.3922:
	s_mov_b32 s10, 0x7f800001
	s_xor_b64 s[4:5], exec, -1
; %bb.3923:
	s_or_b64 exec, exec, s[8:9]
	s_and_b64 s[4:5], s[4:5], exec
                                        ; implicit-def: $vgpr9
	s_or_saveexec_b64 s[6:7], s[6:7]
	v_mov_b32_e32 v8, s10
	s_xor_b64 exec, exec, s[6:7]
	s_cbranch_execz .LBB24_1874
.LBB24_3924:
	v_cmp_ne_u16_e32 vcc, 0, v9
	s_andn2_b64 s[4:5], s[4:5], exec
	s_and_b64 s[8:9], vcc, exec
	v_mov_b32_e32 v8, 0
	s_or_b64 s[4:5], s[4:5], s[8:9]
	s_or_b64 exec, exec, s[6:7]
	s_and_saveexec_b64 s[6:7], s[4:5]
	s_cbranch_execnz .LBB24_1875
	s_branch .LBB24_1876
.LBB24_3925:
	s_movk_i32 s4, 0x80
	v_cmp_eq_u16_e32 vcc, s4, v9
	s_mov_b64 s[4:5], -1
                                        ; implicit-def: $sgpr10
	s_and_saveexec_b64 s[8:9], vcc
; %bb.3926:
	s_mov_b32 s10, 0x7f800001
	s_xor_b64 s[4:5], exec, -1
; %bb.3927:
	s_or_b64 exec, exec, s[8:9]
	s_and_b64 s[4:5], s[4:5], exec
                                        ; implicit-def: $vgpr9
	s_or_saveexec_b64 s[6:7], s[6:7]
	v_mov_b32_e32 v12, s10
	s_xor_b64 exec, exec, s[6:7]
	s_cbranch_execz .LBB24_1878
.LBB24_3928:
	v_cmp_ne_u16_e32 vcc, 0, v9
	s_andn2_b64 s[4:5], s[4:5], exec
	s_and_b64 s[8:9], vcc, exec
	v_mov_b32_e32 v12, 0
	s_or_b64 s[4:5], s[4:5], s[8:9]
	s_or_b64 exec, exec, s[6:7]
	s_and_saveexec_b64 s[6:7], s[4:5]
	s_cbranch_execnz .LBB24_1879
	s_branch .LBB24_1880
.LBB24_3929:
	s_movk_i32 s4, 0x80
	v_cmp_eq_u16_sdwa s[12:13], v14, s4 src0_sel:BYTE_3 src1_sel:DWORD
	s_mov_b64 s[4:5], -1
                                        ; implicit-def: $sgpr10
	s_and_saveexec_b64 s[8:9], s[12:13]
; %bb.3930:
	s_mov_b32 s10, 0x7f800001
	s_xor_b64 s[4:5], exec, -1
; %bb.3931:
	s_or_b64 exec, exec, s[8:9]
	s_and_b64 s[4:5], s[4:5], exec
	s_or_saveexec_b64 s[6:7], s[6:7]
	v_mov_b32_e32 v8, s10
	s_xor_b64 exec, exec, s[6:7]
	s_cbranch_execz .LBB24_1882
.LBB24_3932:
	v_mov_b32_e32 v8, 0
	v_cmp_ne_u16_sdwa s[8:9], v14, v8 src0_sel:BYTE_3 src1_sel:DWORD
	s_andn2_b64 s[4:5], s[4:5], exec
	s_and_b64 s[8:9], s[8:9], exec
	s_or_b64 s[4:5], s[4:5], s[8:9]
	s_or_b64 exec, exec, s[6:7]
	s_and_saveexec_b64 s[6:7], s[4:5]
	s_cbranch_execnz .LBB24_1883
	s_branch .LBB24_1884
.LBB24_3933:
	s_movk_i32 s4, 0x80
	v_cmp_eq_u16_sdwa s[12:13], v10, s4 src0_sel:BYTE_3 src1_sel:DWORD
	s_mov_b64 s[4:5], -1
                                        ; implicit-def: $sgpr10
	s_and_saveexec_b64 s[8:9], s[12:13]
; %bb.3934:
	s_mov_b32 s10, 0x7f800001
	s_xor_b64 s[4:5], exec, -1
; %bb.3935:
	s_or_b64 exec, exec, s[8:9]
	s_and_b64 s[4:5], s[4:5], exec
	s_or_saveexec_b64 s[6:7], s[6:7]
	v_mov_b32_e32 v9, s10
	s_xor_b64 exec, exec, s[6:7]
	s_cbranch_execz .LBB24_1886
.LBB24_3936:
	v_mov_b32_e32 v9, 0
	v_cmp_ne_u16_sdwa s[8:9], v10, v9 src0_sel:BYTE_3 src1_sel:DWORD
	s_andn2_b64 s[4:5], s[4:5], exec
	s_and_b64 s[8:9], s[8:9], exec
	s_or_b64 s[4:5], s[4:5], s[8:9]
	s_or_b64 exec, exec, s[6:7]
	s_and_saveexec_b64 s[6:7], s[4:5]
	s_cbranch_execnz .LBB24_1887
	s_branch .LBB24_1888
.LBB24_3937:
	s_movk_i32 s4, 0x80
	v_cmp_eq_u16_sdwa s[12:13], v15, s4 src0_sel:BYTE_0 src1_sel:DWORD
	s_mov_b64 s[4:5], -1
                                        ; implicit-def: $sgpr10
	s_and_saveexec_b64 s[8:9], s[12:13]
; %bb.3938:
	s_mov_b32 s10, 0x7f800001
	s_xor_b64 s[4:5], exec, -1
; %bb.3939:
	s_or_b64 exec, exec, s[8:9]
	s_and_b64 s[4:5], s[4:5], exec
	s_or_saveexec_b64 s[6:7], s[6:7]
	v_mov_b32_e32 v8, s10
	s_xor_b64 exec, exec, s[6:7]
	s_cbranch_execz .LBB24_1890
.LBB24_3940:
	v_mov_b32_e32 v8, 0
	v_cmp_ne_u16_sdwa s[8:9], v15, v8 src0_sel:BYTE_0 src1_sel:DWORD
	s_andn2_b64 s[4:5], s[4:5], exec
	s_and_b64 s[8:9], s[8:9], exec
	s_or_b64 s[4:5], s[4:5], s[8:9]
	s_or_b64 exec, exec, s[6:7]
	s_and_saveexec_b64 s[6:7], s[4:5]
	s_cbranch_execnz .LBB24_1891
	s_branch .LBB24_1892
.LBB24_3941:
	s_movk_i32 s4, 0x80
	v_cmp_eq_u16_sdwa s[12:13], v11, s4 src0_sel:BYTE_0 src1_sel:DWORD
	s_mov_b64 s[4:5], -1
                                        ; implicit-def: $sgpr10
	s_and_saveexec_b64 s[8:9], s[12:13]
; %bb.3942:
	s_mov_b32 s10, 0x7f800001
	s_xor_b64 s[4:5], exec, -1
; %bb.3943:
	s_or_b64 exec, exec, s[8:9]
	s_and_b64 s[4:5], s[4:5], exec
	s_or_saveexec_b64 s[6:7], s[6:7]
	v_mov_b32_e32 v9, s10
	s_xor_b64 exec, exec, s[6:7]
	s_cbranch_execz .LBB24_1894
.LBB24_3944:
	v_mov_b32_e32 v9, 0
	v_cmp_ne_u16_sdwa s[8:9], v11, v9 src0_sel:BYTE_0 src1_sel:DWORD
	s_andn2_b64 s[4:5], s[4:5], exec
	s_and_b64 s[8:9], s[8:9], exec
	s_or_b64 s[4:5], s[4:5], s[8:9]
	s_or_b64 exec, exec, s[6:7]
	s_and_saveexec_b64 s[6:7], s[4:5]
	s_cbranch_execnz .LBB24_1895
	s_branch .LBB24_1896
.LBB24_3945:
	s_movk_i32 s4, 0x80
	v_cmp_eq_u16_sdwa s[12:13], v9, s4 src0_sel:BYTE_0 src1_sel:DWORD
	s_mov_b64 s[4:5], -1
                                        ; implicit-def: $sgpr10
	s_and_saveexec_b64 s[8:9], s[12:13]
; %bb.3946:
	s_mov_b32 s10, 0x7f800001
	s_xor_b64 s[4:5], exec, -1
; %bb.3947:
	s_or_b64 exec, exec, s[8:9]
	s_and_b64 s[4:5], s[4:5], exec
	s_or_saveexec_b64 s[6:7], s[6:7]
	v_mov_b32_e32 v8, s10
	s_xor_b64 exec, exec, s[6:7]
	s_cbranch_execz .LBB24_1898
.LBB24_3948:
	v_mov_b32_e32 v8, 0
	v_cmp_ne_u16_sdwa s[8:9], v9, v8 src0_sel:BYTE_0 src1_sel:DWORD
	s_andn2_b64 s[4:5], s[4:5], exec
	s_and_b64 s[8:9], s[8:9], exec
	s_or_b64 s[4:5], s[4:5], s[8:9]
	s_or_b64 exec, exec, s[6:7]
	s_and_saveexec_b64 s[6:7], s[4:5]
	s_cbranch_execnz .LBB24_1899
	s_branch .LBB24_1900
.LBB24_3949:
	s_movk_i32 s4, 0x80
	v_cmp_eq_u16_sdwa s[12:13], v9, s4 src0_sel:BYTE_0 src1_sel:DWORD
	s_mov_b64 s[4:5], -1
                                        ; implicit-def: $sgpr10
	s_and_saveexec_b64 s[8:9], s[12:13]
; %bb.3950:
	s_mov_b32 s10, 0x7f800001
	s_xor_b64 s[4:5], exec, -1
; %bb.3951:
	s_or_b64 exec, exec, s[8:9]
	s_and_b64 s[4:5], s[4:5], exec
	s_or_saveexec_b64 s[6:7], s[6:7]
	v_mov_b32_e32 v10, s10
	s_xor_b64 exec, exec, s[6:7]
	s_cbranch_execz .LBB24_1902
.LBB24_3952:
	v_mov_b32_e32 v10, 0
	v_cmp_ne_u16_sdwa s[8:9], v9, v10 src0_sel:BYTE_0 src1_sel:DWORD
	s_andn2_b64 s[4:5], s[4:5], exec
	s_and_b64 s[8:9], s[8:9], exec
	s_or_b64 s[4:5], s[4:5], s[8:9]
	s_or_b64 exec, exec, s[6:7]
	s_and_saveexec_b64 s[6:7], s[4:5]
	s_cbranch_execnz .LBB24_1903
	s_branch .LBB24_1904
.LBB24_3953:
	s_movk_i32 s4, 0x80
	v_cmp_eq_u16_e32 vcc, s4, v9
	s_mov_b64 s[4:5], -1
                                        ; implicit-def: $sgpr10
	s_and_saveexec_b64 s[8:9], vcc
; %bb.3954:
	s_mov_b32 s10, 0x7f800001
	s_xor_b64 s[4:5], exec, -1
; %bb.3955:
	s_or_b64 exec, exec, s[8:9]
	s_and_b64 s[4:5], s[4:5], exec
                                        ; implicit-def: $vgpr9
	s_or_saveexec_b64 s[6:7], s[6:7]
	v_mov_b32_e32 v8, s10
	s_xor_b64 exec, exec, s[6:7]
	s_cbranch_execz .LBB24_1906
.LBB24_3956:
	v_cmp_ne_u16_e32 vcc, 0, v9
	s_andn2_b64 s[4:5], s[4:5], exec
	s_and_b64 s[8:9], vcc, exec
	v_mov_b32_e32 v8, 0
	s_or_b64 s[4:5], s[4:5], s[8:9]
	s_or_b64 exec, exec, s[6:7]
	s_and_saveexec_b64 s[6:7], s[4:5]
	s_cbranch_execnz .LBB24_1907
	s_branch .LBB24_1908
.LBB24_3957:
	s_movk_i32 s4, 0x80
	v_cmp_eq_u16_e32 vcc, s4, v9
	s_mov_b64 s[4:5], -1
                                        ; implicit-def: $sgpr10
	s_and_saveexec_b64 s[8:9], vcc
; %bb.3958:
	s_mov_b32 s10, 0x7f800001
	s_xor_b64 s[4:5], exec, -1
; %bb.3959:
	s_or_b64 exec, exec, s[8:9]
	s_and_b64 s[4:5], s[4:5], exec
                                        ; implicit-def: $vgpr9
	s_or_saveexec_b64 s[6:7], s[6:7]
	v_mov_b32_e32 v10, s10
	s_xor_b64 exec, exec, s[6:7]
	s_cbranch_execz .LBB24_1910
.LBB24_3960:
	v_cmp_ne_u16_e32 vcc, 0, v9
	s_andn2_b64 s[4:5], s[4:5], exec
	s_and_b64 s[8:9], vcc, exec
	v_mov_b32_e32 v10, 0
	s_or_b64 s[4:5], s[4:5], s[8:9]
	s_or_b64 exec, exec, s[6:7]
	s_and_saveexec_b64 s[6:7], s[4:5]
	s_cbranch_execnz .LBB24_1911
	s_branch .LBB24_1912
.LBB24_3961:
	s_movk_i32 s4, 0x80
	v_cmp_eq_u16_sdwa s[12:13], v15, s4 src0_sel:BYTE_3 src1_sel:DWORD
	s_mov_b64 s[4:5], -1
                                        ; implicit-def: $sgpr10
	s_and_saveexec_b64 s[8:9], s[12:13]
; %bb.3962:
	s_mov_b32 s10, 0x7f800001
	s_xor_b64 s[4:5], exec, -1
; %bb.3963:
	s_or_b64 exec, exec, s[8:9]
	s_and_b64 s[4:5], s[4:5], exec
	s_or_saveexec_b64 s[6:7], s[6:7]
	v_mov_b32_e32 v8, s10
	s_xor_b64 exec, exec, s[6:7]
	s_cbranch_execz .LBB24_1914
.LBB24_3964:
	v_mov_b32_e32 v8, 0
	v_cmp_ne_u16_sdwa s[8:9], v15, v8 src0_sel:BYTE_3 src1_sel:DWORD
	s_andn2_b64 s[4:5], s[4:5], exec
	s_and_b64 s[8:9], s[8:9], exec
	s_or_b64 s[4:5], s[4:5], s[8:9]
	s_or_b64 exec, exec, s[6:7]
	s_and_saveexec_b64 s[6:7], s[4:5]
	s_cbranch_execnz .LBB24_1915
	s_branch .LBB24_1916
.LBB24_3965:
	s_movk_i32 s4, 0x80
	v_cmp_eq_u16_sdwa s[12:13], v11, s4 src0_sel:BYTE_3 src1_sel:DWORD
	s_mov_b64 s[4:5], -1
                                        ; implicit-def: $sgpr10
	s_and_saveexec_b64 s[8:9], s[12:13]
; %bb.3966:
	s_mov_b32 s10, 0x7f800001
	s_xor_b64 s[4:5], exec, -1
; %bb.3967:
	s_or_b64 exec, exec, s[8:9]
	s_and_b64 s[4:5], s[4:5], exec
	s_or_saveexec_b64 s[6:7], s[6:7]
	v_mov_b32_e32 v9, s10
	s_xor_b64 exec, exec, s[6:7]
	s_cbranch_execz .LBB24_1918
.LBB24_3968:
	v_mov_b32_e32 v9, 0
	v_cmp_ne_u16_sdwa s[8:9], v11, v9 src0_sel:BYTE_3 src1_sel:DWORD
	s_andn2_b64 s[4:5], s[4:5], exec
	s_and_b64 s[8:9], s[8:9], exec
	s_or_b64 s[4:5], s[4:5], s[8:9]
	s_or_b64 exec, exec, s[6:7]
	s_and_saveexec_b64 s[6:7], s[4:5]
	s_cbranch_execnz .LBB24_1919
	s_branch .LBB24_1920
.LBB24_3969:
	s_movk_i32 s4, 0x80
	v_cmp_eq_u16_sdwa s[12:13], v4, s4 src0_sel:BYTE_0 src1_sel:DWORD
	s_mov_b64 s[4:5], -1
                                        ; implicit-def: $sgpr10
	s_and_saveexec_b64 s[8:9], s[12:13]
; %bb.3970:
	s_mov_b32 s10, 0x7f800001
	s_xor_b64 s[4:5], exec, -1
; %bb.3971:
	s_or_b64 exec, exec, s[8:9]
	s_and_b64 s[4:5], s[4:5], exec
	s_or_saveexec_b64 s[6:7], s[6:7]
	v_mov_b32_e32 v8, s10
	s_xor_b64 exec, exec, s[6:7]
	s_cbranch_execz .LBB24_1922
.LBB24_3972:
	v_mov_b32_e32 v8, 0
	v_cmp_ne_u16_sdwa s[8:9], v4, v8 src0_sel:BYTE_0 src1_sel:DWORD
	s_andn2_b64 s[4:5], s[4:5], exec
	s_and_b64 s[8:9], s[8:9], exec
	s_or_b64 s[4:5], s[4:5], s[8:9]
	s_or_b64 exec, exec, s[6:7]
	s_and_saveexec_b64 s[6:7], s[4:5]
	s_cbranch_execnz .LBB24_1923
	s_branch .LBB24_1924
.LBB24_3973:
	s_movk_i32 s4, 0x80
	v_cmp_eq_u16_sdwa s[12:13], v0, s4 src0_sel:BYTE_0 src1_sel:DWORD
	s_mov_b64 s[4:5], -1
                                        ; implicit-def: $sgpr10
	s_and_saveexec_b64 s[8:9], s[12:13]
; %bb.3974:
	s_mov_b32 s10, 0x7f800001
	s_xor_b64 s[4:5], exec, -1
; %bb.3975:
	s_or_b64 exec, exec, s[8:9]
	s_and_b64 s[4:5], s[4:5], exec
	s_or_saveexec_b64 s[6:7], s[6:7]
	v_mov_b32_e32 v9, s10
	s_xor_b64 exec, exec, s[6:7]
	s_cbranch_execz .LBB24_1926
.LBB24_3976:
	v_mov_b32_e32 v9, 0
	v_cmp_ne_u16_sdwa s[8:9], v0, v9 src0_sel:BYTE_0 src1_sel:DWORD
	s_andn2_b64 s[4:5], s[4:5], exec
	s_and_b64 s[8:9], s[8:9], exec
	s_or_b64 s[4:5], s[4:5], s[8:9]
	s_or_b64 exec, exec, s[6:7]
	s_and_saveexec_b64 s[6:7], s[4:5]
	s_cbranch_execnz .LBB24_1927
	s_branch .LBB24_1928
.LBB24_3977:
	s_movk_i32 s4, 0x80
	v_cmp_eq_u16_sdwa s[12:13], v9, s4 src0_sel:BYTE_0 src1_sel:DWORD
	s_mov_b64 s[4:5], -1
                                        ; implicit-def: $sgpr10
	s_and_saveexec_b64 s[8:9], s[12:13]
; %bb.3978:
	s_mov_b32 s10, 0x7f800001
	s_xor_b64 s[4:5], exec, -1
; %bb.3979:
	s_or_b64 exec, exec, s[8:9]
	s_and_b64 s[4:5], s[4:5], exec
	s_or_saveexec_b64 s[6:7], s[6:7]
	v_mov_b32_e32 v8, s10
	s_xor_b64 exec, exec, s[6:7]
	s_cbranch_execz .LBB24_1930
.LBB24_3980:
	v_mov_b32_e32 v8, 0
	v_cmp_ne_u16_sdwa s[8:9], v9, v8 src0_sel:BYTE_0 src1_sel:DWORD
	s_andn2_b64 s[4:5], s[4:5], exec
	s_and_b64 s[8:9], s[8:9], exec
	s_or_b64 s[4:5], s[4:5], s[8:9]
	s_or_b64 exec, exec, s[6:7]
	s_and_saveexec_b64 s[6:7], s[4:5]
	s_cbranch_execnz .LBB24_1931
	s_branch .LBB24_1932
.LBB24_3981:
	s_movk_i32 s4, 0x80
	v_cmp_eq_u16_sdwa s[12:13], v9, s4 src0_sel:BYTE_0 src1_sel:DWORD
	s_mov_b64 s[4:5], -1
                                        ; implicit-def: $sgpr10
	s_and_saveexec_b64 s[8:9], s[12:13]
; %bb.3982:
	s_mov_b32 s10, 0x7f800001
	s_xor_b64 s[4:5], exec, -1
; %bb.3983:
	s_or_b64 exec, exec, s[8:9]
	s_and_b64 s[4:5], s[4:5], exec
	s_or_saveexec_b64 s[6:7], s[6:7]
	v_mov_b32_e32 v10, s10
	s_xor_b64 exec, exec, s[6:7]
	s_cbranch_execz .LBB24_1934
.LBB24_3984:
	v_mov_b32_e32 v10, 0
	v_cmp_ne_u16_sdwa s[8:9], v9, v10 src0_sel:BYTE_0 src1_sel:DWORD
	s_andn2_b64 s[4:5], s[4:5], exec
	s_and_b64 s[8:9], s[8:9], exec
	s_or_b64 s[4:5], s[4:5], s[8:9]
	s_or_b64 exec, exec, s[6:7]
	s_and_saveexec_b64 s[6:7], s[4:5]
	s_cbranch_execnz .LBB24_1935
	s_branch .LBB24_1936
.LBB24_3985:
	s_movk_i32 s4, 0x80
	v_cmp_eq_u16_e32 vcc, s4, v9
	s_mov_b64 s[4:5], -1
                                        ; implicit-def: $sgpr10
	s_and_saveexec_b64 s[8:9], vcc
; %bb.3986:
	s_mov_b32 s10, 0x7f800001
	s_xor_b64 s[4:5], exec, -1
; %bb.3987:
	s_or_b64 exec, exec, s[8:9]
	s_and_b64 s[4:5], s[4:5], exec
                                        ; implicit-def: $vgpr9
	s_or_saveexec_b64 s[6:7], s[6:7]
	v_mov_b32_e32 v8, s10
	s_xor_b64 exec, exec, s[6:7]
	s_cbranch_execz .LBB24_1938
.LBB24_3988:
	v_cmp_ne_u16_e32 vcc, 0, v9
	s_andn2_b64 s[4:5], s[4:5], exec
	s_and_b64 s[8:9], vcc, exec
	v_mov_b32_e32 v8, 0
	s_or_b64 s[4:5], s[4:5], s[8:9]
	s_or_b64 exec, exec, s[6:7]
	s_and_saveexec_b64 s[6:7], s[4:5]
	s_cbranch_execnz .LBB24_1939
	s_branch .LBB24_1940
.LBB24_3989:
	s_movk_i32 s4, 0x80
	v_cmp_eq_u16_e32 vcc, s4, v9
	s_mov_b64 s[4:5], -1
                                        ; implicit-def: $sgpr10
	s_and_saveexec_b64 s[8:9], vcc
; %bb.3990:
	s_mov_b32 s10, 0x7f800001
	s_xor_b64 s[4:5], exec, -1
; %bb.3991:
	s_or_b64 exec, exec, s[8:9]
	s_and_b64 s[4:5], s[4:5], exec
                                        ; implicit-def: $vgpr9
	s_or_saveexec_b64 s[6:7], s[6:7]
	v_mov_b32_e32 v10, s10
	s_xor_b64 exec, exec, s[6:7]
	s_cbranch_execz .LBB24_1942
.LBB24_3992:
	v_cmp_ne_u16_e32 vcc, 0, v9
	s_andn2_b64 s[4:5], s[4:5], exec
	s_and_b64 s[8:9], vcc, exec
	v_mov_b32_e32 v10, 0
	s_or_b64 s[4:5], s[4:5], s[8:9]
	s_or_b64 exec, exec, s[6:7]
	s_and_saveexec_b64 s[6:7], s[4:5]
	s_cbranch_execnz .LBB24_1943
	s_branch .LBB24_1944
.LBB24_3993:
	s_movk_i32 s4, 0x80
	v_cmp_eq_u16_sdwa s[12:13], v4, s4 src0_sel:BYTE_3 src1_sel:DWORD
	s_mov_b64 s[4:5], -1
                                        ; implicit-def: $sgpr10
	s_and_saveexec_b64 s[8:9], s[12:13]
; %bb.3994:
	s_mov_b32 s10, 0x7f800001
	s_xor_b64 s[4:5], exec, -1
; %bb.3995:
	s_or_b64 exec, exec, s[8:9]
	s_and_b64 s[4:5], s[4:5], exec
	s_or_saveexec_b64 s[6:7], s[6:7]
	v_mov_b32_e32 v8, s10
	s_xor_b64 exec, exec, s[6:7]
	s_cbranch_execz .LBB24_1946
.LBB24_3996:
	v_mov_b32_e32 v8, 0
	v_cmp_ne_u16_sdwa s[8:9], v4, v8 src0_sel:BYTE_3 src1_sel:DWORD
	s_andn2_b64 s[4:5], s[4:5], exec
	s_and_b64 s[8:9], s[8:9], exec
	s_or_b64 s[4:5], s[4:5], s[8:9]
	s_or_b64 exec, exec, s[6:7]
	s_and_saveexec_b64 s[6:7], s[4:5]
	s_cbranch_execnz .LBB24_1947
	s_branch .LBB24_1948
.LBB24_3997:
	s_movk_i32 s4, 0x80
	v_cmp_eq_u16_sdwa s[12:13], v0, s4 src0_sel:BYTE_3 src1_sel:DWORD
	s_mov_b64 s[4:5], -1
                                        ; implicit-def: $sgpr10
	s_and_saveexec_b64 s[8:9], s[12:13]
; %bb.3998:
	s_mov_b32 s10, 0x7f800001
	s_xor_b64 s[4:5], exec, -1
; %bb.3999:
	s_or_b64 exec, exec, s[8:9]
	s_and_b64 s[4:5], s[4:5], exec
	s_or_saveexec_b64 s[6:7], s[6:7]
	v_mov_b32_e32 v4, s10
	s_xor_b64 exec, exec, s[6:7]
	s_cbranch_execz .LBB24_1950
.LBB24_4000:
	v_mov_b32_e32 v4, 0
	v_cmp_ne_u16_sdwa s[8:9], v0, v4 src0_sel:BYTE_3 src1_sel:DWORD
	s_andn2_b64 s[4:5], s[4:5], exec
	s_and_b64 s[8:9], s[8:9], exec
	s_or_b64 s[4:5], s[4:5], s[8:9]
	s_or_b64 exec, exec, s[6:7]
	s_and_saveexec_b64 s[6:7], s[4:5]
	s_cbranch_execnz .LBB24_1951
	s_branch .LBB24_1952
.LBB24_4001:
	s_movk_i32 s4, 0x80
	v_cmp_eq_u16_sdwa s[12:13], v5, s4 src0_sel:BYTE_0 src1_sel:DWORD
	s_mov_b64 s[4:5], -1
                                        ; implicit-def: $sgpr10
	s_and_saveexec_b64 s[8:9], s[12:13]
; %bb.4002:
	s_mov_b32 s10, 0x7f800001
	s_xor_b64 s[4:5], exec, -1
; %bb.4003:
	s_or_b64 exec, exec, s[8:9]
	s_and_b64 s[4:5], s[4:5], exec
	s_or_saveexec_b64 s[6:7], s[6:7]
	v_mov_b32_e32 v0, s10
	s_xor_b64 exec, exec, s[6:7]
	s_cbranch_execz .LBB24_1954
.LBB24_4004:
	v_mov_b32_e32 v0, 0
	v_cmp_ne_u16_sdwa s[8:9], v5, v0 src0_sel:BYTE_0 src1_sel:DWORD
	s_andn2_b64 s[4:5], s[4:5], exec
	s_and_b64 s[8:9], s[8:9], exec
	s_or_b64 s[4:5], s[4:5], s[8:9]
	s_or_b64 exec, exec, s[6:7]
	s_and_saveexec_b64 s[6:7], s[4:5]
	s_cbranch_execnz .LBB24_1955
	s_branch .LBB24_1956
.LBB24_4005:
	s_movk_i32 s4, 0x80
	v_cmp_eq_u16_sdwa s[12:13], v1, s4 src0_sel:BYTE_0 src1_sel:DWORD
	s_mov_b64 s[4:5], -1
                                        ; implicit-def: $sgpr10
	s_and_saveexec_b64 s[8:9], s[12:13]
; %bb.4006:
	s_mov_b32 s10, 0x7f800001
	s_xor_b64 s[4:5], exec, -1
; %bb.4007:
	s_or_b64 exec, exec, s[8:9]
	s_and_b64 s[4:5], s[4:5], exec
	s_or_saveexec_b64 s[6:7], s[6:7]
	v_mov_b32_e32 v4, s10
	s_xor_b64 exec, exec, s[6:7]
	s_cbranch_execz .LBB24_1958
.LBB24_4008:
	v_mov_b32_e32 v4, 0
	v_cmp_ne_u16_sdwa s[8:9], v1, v4 src0_sel:BYTE_0 src1_sel:DWORD
	s_andn2_b64 s[4:5], s[4:5], exec
	s_and_b64 s[8:9], s[8:9], exec
	s_or_b64 s[4:5], s[4:5], s[8:9]
	s_or_b64 exec, exec, s[6:7]
	s_and_saveexec_b64 s[6:7], s[4:5]
	s_cbranch_execnz .LBB24_1959
	s_branch .LBB24_1960
.LBB24_4009:
	s_movk_i32 s4, 0x80
	v_cmp_eq_u16_sdwa s[12:13], v4, s4 src0_sel:BYTE_0 src1_sel:DWORD
	s_mov_b64 s[4:5], -1
                                        ; implicit-def: $sgpr10
	s_and_saveexec_b64 s[8:9], s[12:13]
; %bb.4010:
	s_mov_b32 s10, 0x7f800001
	s_xor_b64 s[4:5], exec, -1
; %bb.4011:
	s_or_b64 exec, exec, s[8:9]
	s_and_b64 s[4:5], s[4:5], exec
	s_or_saveexec_b64 s[6:7], s[6:7]
	v_mov_b32_e32 v0, s10
	s_xor_b64 exec, exec, s[6:7]
	s_cbranch_execz .LBB24_1962
.LBB24_4012:
	v_mov_b32_e32 v0, 0
	v_cmp_ne_u16_sdwa s[8:9], v4, v0 src0_sel:BYTE_0 src1_sel:DWORD
	s_andn2_b64 s[4:5], s[4:5], exec
	s_and_b64 s[8:9], s[8:9], exec
	s_or_b64 s[4:5], s[4:5], s[8:9]
	s_or_b64 exec, exec, s[6:7]
	s_and_saveexec_b64 s[6:7], s[4:5]
	s_cbranch_execnz .LBB24_1963
	s_branch .LBB24_1964
.LBB24_4013:
	s_movk_i32 s4, 0x80
	v_cmp_eq_u16_sdwa s[12:13], v4, s4 src0_sel:BYTE_0 src1_sel:DWORD
	s_mov_b64 s[4:5], -1
                                        ; implicit-def: $sgpr10
	s_and_saveexec_b64 s[8:9], s[12:13]
; %bb.4014:
	s_mov_b32 s10, 0x7f800001
	s_xor_b64 s[4:5], exec, -1
; %bb.4015:
	s_or_b64 exec, exec, s[8:9]
	s_and_b64 s[4:5], s[4:5], exec
	s_or_saveexec_b64 s[6:7], s[6:7]
	v_mov_b32_e32 v8, s10
	s_xor_b64 exec, exec, s[6:7]
	s_cbranch_execz .LBB24_1966
.LBB24_4016:
	v_mov_b32_e32 v8, 0
	v_cmp_ne_u16_sdwa s[8:9], v4, v8 src0_sel:BYTE_0 src1_sel:DWORD
	s_andn2_b64 s[4:5], s[4:5], exec
	s_and_b64 s[8:9], s[8:9], exec
	s_or_b64 s[4:5], s[4:5], s[8:9]
	s_or_b64 exec, exec, s[6:7]
	s_and_saveexec_b64 s[6:7], s[4:5]
	s_cbranch_execnz .LBB24_1967
	s_branch .LBB24_1968
.LBB24_4017:
	s_movk_i32 s4, 0x80
	v_cmp_eq_u16_e32 vcc, s4, v4
	s_mov_b64 s[4:5], -1
                                        ; implicit-def: $sgpr10
	s_and_saveexec_b64 s[8:9], vcc
; %bb.4018:
	s_mov_b32 s10, 0x7f800001
	s_xor_b64 s[4:5], exec, -1
; %bb.4019:
	s_or_b64 exec, exec, s[8:9]
	s_and_b64 s[4:5], s[4:5], exec
                                        ; implicit-def: $vgpr4
	s_or_saveexec_b64 s[6:7], s[6:7]
	v_mov_b32_e32 v0, s10
	s_xor_b64 exec, exec, s[6:7]
	s_cbranch_execz .LBB24_1970
.LBB24_4020:
	v_cmp_ne_u16_e32 vcc, 0, v4
	s_andn2_b64 s[4:5], s[4:5], exec
	s_and_b64 s[8:9], vcc, exec
	v_mov_b32_e32 v0, 0
	s_or_b64 s[4:5], s[4:5], s[8:9]
	s_or_b64 exec, exec, s[6:7]
	s_and_saveexec_b64 s[6:7], s[4:5]
	s_cbranch_execnz .LBB24_1971
	s_branch .LBB24_1972
.LBB24_4021:
	s_movk_i32 s4, 0x80
	v_cmp_eq_u16_e32 vcc, s4, v4
	s_mov_b64 s[4:5], -1
                                        ; implicit-def: $sgpr10
	s_and_saveexec_b64 s[8:9], vcc
; %bb.4022:
	s_mov_b32 s10, 0x7f800001
	s_xor_b64 s[4:5], exec, -1
; %bb.4023:
	s_or_b64 exec, exec, s[8:9]
	s_and_b64 s[4:5], s[4:5], exec
                                        ; implicit-def: $vgpr4
	s_or_saveexec_b64 s[6:7], s[6:7]
	v_mov_b32_e32 v8, s10
	s_xor_b64 exec, exec, s[6:7]
	s_cbranch_execz .LBB24_1974
.LBB24_4024:
	v_cmp_ne_u16_e32 vcc, 0, v4
	s_andn2_b64 s[4:5], s[4:5], exec
	s_and_b64 s[8:9], vcc, exec
	v_mov_b32_e32 v8, 0
	s_or_b64 s[4:5], s[4:5], s[8:9]
	s_or_b64 exec, exec, s[6:7]
	s_and_saveexec_b64 s[6:7], s[4:5]
	s_cbranch_execnz .LBB24_1975
	s_branch .LBB24_1976
.LBB24_4025:
	s_movk_i32 s4, 0x80
	v_cmp_eq_u16_sdwa s[12:13], v5, s4 src0_sel:BYTE_3 src1_sel:DWORD
	s_mov_b64 s[4:5], -1
                                        ; implicit-def: $sgpr10
	s_and_saveexec_b64 s[8:9], s[12:13]
; %bb.4026:
	s_mov_b32 s10, 0x7f800001
	s_xor_b64 s[4:5], exec, -1
; %bb.4027:
	s_or_b64 exec, exec, s[8:9]
	s_and_b64 s[4:5], s[4:5], exec
	s_or_saveexec_b64 s[6:7], s[6:7]
	v_mov_b32_e32 v0, s10
	s_xor_b64 exec, exec, s[6:7]
	s_cbranch_execz .LBB24_1978
.LBB24_4028:
	v_mov_b32_e32 v0, 0
	v_cmp_ne_u16_sdwa s[8:9], v5, v0 src0_sel:BYTE_3 src1_sel:DWORD
	s_andn2_b64 s[4:5], s[4:5], exec
	s_and_b64 s[8:9], s[8:9], exec
	s_or_b64 s[4:5], s[4:5], s[8:9]
	s_or_b64 exec, exec, s[6:7]
	s_and_saveexec_b64 s[6:7], s[4:5]
	s_cbranch_execnz .LBB24_1979
	s_branch .LBB24_1980
.LBB24_4029:
	s_movk_i32 s4, 0x80
	v_cmp_eq_u16_sdwa s[12:13], v1, s4 src0_sel:BYTE_3 src1_sel:DWORD
	s_mov_b64 s[4:5], -1
                                        ; implicit-def: $sgpr10
	s_and_saveexec_b64 s[8:9], s[12:13]
; %bb.4030:
	s_mov_b32 s10, 0x7f800001
	s_xor_b64 s[4:5], exec, -1
; %bb.4031:
	s_or_b64 exec, exec, s[8:9]
	s_and_b64 s[4:5], s[4:5], exec
	s_or_saveexec_b64 s[6:7], s[6:7]
	v_mov_b32_e32 v4, s10
	s_xor_b64 exec, exec, s[6:7]
	s_cbranch_execz .LBB24_1982
.LBB24_4032:
	v_mov_b32_e32 v4, 0
	v_cmp_ne_u16_sdwa s[8:9], v1, v4 src0_sel:BYTE_3 src1_sel:DWORD
	s_andn2_b64 s[4:5], s[4:5], exec
	s_and_b64 s[8:9], s[8:9], exec
	s_or_b64 s[4:5], s[4:5], s[8:9]
	s_or_b64 exec, exec, s[6:7]
	s_and_saveexec_b64 s[6:7], s[4:5]
	s_cbranch_execnz .LBB24_1983
	s_branch .LBB24_1984
.LBB24_4033:
	s_movk_i32 s4, 0x80
	v_cmp_eq_u16_sdwa s[12:13], v6, s4 src0_sel:BYTE_0 src1_sel:DWORD
	s_mov_b64 s[4:5], -1
                                        ; implicit-def: $sgpr10
	s_and_saveexec_b64 s[8:9], s[12:13]
; %bb.4034:
	s_mov_b32 s10, 0x7f800001
	s_xor_b64 s[4:5], exec, -1
; %bb.4035:
	s_or_b64 exec, exec, s[8:9]
	s_and_b64 s[4:5], s[4:5], exec
	s_or_saveexec_b64 s[6:7], s[6:7]
	v_mov_b32_e32 v0, s10
	s_xor_b64 exec, exec, s[6:7]
	s_cbranch_execz .LBB24_1986
.LBB24_4036:
	v_mov_b32_e32 v0, 0
	v_cmp_ne_u16_sdwa s[8:9], v6, v0 src0_sel:BYTE_0 src1_sel:DWORD
	s_andn2_b64 s[4:5], s[4:5], exec
	s_and_b64 s[8:9], s[8:9], exec
	s_or_b64 s[4:5], s[4:5], s[8:9]
	s_or_b64 exec, exec, s[6:7]
	s_and_saveexec_b64 s[6:7], s[4:5]
	s_cbranch_execnz .LBB24_1987
	s_branch .LBB24_1988
.LBB24_4037:
	s_movk_i32 s4, 0x80
	v_cmp_eq_u16_sdwa s[12:13], v2, s4 src0_sel:BYTE_0 src1_sel:DWORD
	s_mov_b64 s[4:5], -1
                                        ; implicit-def: $sgpr10
	s_and_saveexec_b64 s[8:9], s[12:13]
; %bb.4038:
	s_mov_b32 s10, 0x7f800001
	s_xor_b64 s[4:5], exec, -1
; %bb.4039:
	s_or_b64 exec, exec, s[8:9]
	s_and_b64 s[4:5], s[4:5], exec
	s_or_saveexec_b64 s[6:7], s[6:7]
	v_mov_b32_e32 v1, s10
	s_xor_b64 exec, exec, s[6:7]
	s_cbranch_execz .LBB24_1990
.LBB24_4040:
	v_mov_b32_e32 v1, 0
	v_cmp_ne_u16_sdwa s[8:9], v2, v1 src0_sel:BYTE_0 src1_sel:DWORD
	s_andn2_b64 s[4:5], s[4:5], exec
	s_and_b64 s[8:9], s[8:9], exec
	s_or_b64 s[4:5], s[4:5], s[8:9]
	s_or_b64 exec, exec, s[6:7]
	s_and_saveexec_b64 s[6:7], s[4:5]
	s_cbranch_execnz .LBB24_1991
	s_branch .LBB24_1992
.LBB24_4041:
	s_movk_i32 s4, 0x80
	v_cmp_eq_u16_sdwa s[12:13], v1, s4 src0_sel:BYTE_0 src1_sel:DWORD
	s_mov_b64 s[4:5], -1
                                        ; implicit-def: $sgpr10
	s_and_saveexec_b64 s[8:9], s[12:13]
; %bb.4042:
	s_mov_b32 s10, 0x7f800001
	s_xor_b64 s[4:5], exec, -1
; %bb.4043:
	s_or_b64 exec, exec, s[8:9]
	s_and_b64 s[4:5], s[4:5], exec
	s_or_saveexec_b64 s[6:7], s[6:7]
	v_mov_b32_e32 v0, s10
	s_xor_b64 exec, exec, s[6:7]
	s_cbranch_execz .LBB24_1994
.LBB24_4044:
	v_mov_b32_e32 v0, 0
	v_cmp_ne_u16_sdwa s[8:9], v1, v0 src0_sel:BYTE_0 src1_sel:DWORD
	s_andn2_b64 s[4:5], s[4:5], exec
	s_and_b64 s[8:9], s[8:9], exec
	s_or_b64 s[4:5], s[4:5], s[8:9]
	s_or_b64 exec, exec, s[6:7]
	s_and_saveexec_b64 s[6:7], s[4:5]
	s_cbranch_execnz .LBB24_1995
	s_branch .LBB24_1996
.LBB24_4045:
	s_movk_i32 s4, 0x80
	v_cmp_eq_u16_sdwa s[12:13], v1, s4 src0_sel:BYTE_0 src1_sel:DWORD
	s_mov_b64 s[4:5], -1
                                        ; implicit-def: $sgpr10
	s_and_saveexec_b64 s[8:9], s[12:13]
; %bb.4046:
	s_mov_b32 s10, 0x7f800001
	s_xor_b64 s[4:5], exec, -1
; %bb.4047:
	s_or_b64 exec, exec, s[8:9]
	s_and_b64 s[4:5], s[4:5], exec
	s_or_saveexec_b64 s[6:7], s[6:7]
	v_mov_b32_e32 v4, s10
	s_xor_b64 exec, exec, s[6:7]
	s_cbranch_execz .LBB24_1998
.LBB24_4048:
	v_mov_b32_e32 v4, 0
	v_cmp_ne_u16_sdwa s[8:9], v1, v4 src0_sel:BYTE_0 src1_sel:DWORD
	s_andn2_b64 s[4:5], s[4:5], exec
	s_and_b64 s[8:9], s[8:9], exec
	s_or_b64 s[4:5], s[4:5], s[8:9]
	s_or_b64 exec, exec, s[6:7]
	s_and_saveexec_b64 s[6:7], s[4:5]
	s_cbranch_execnz .LBB24_1999
	s_branch .LBB24_2000
.LBB24_4049:
	s_movk_i32 s4, 0x80
	v_cmp_eq_u16_e32 vcc, s4, v1
	s_mov_b64 s[4:5], -1
                                        ; implicit-def: $sgpr10
	s_and_saveexec_b64 s[8:9], vcc
; %bb.4050:
	s_mov_b32 s10, 0x7f800001
	s_xor_b64 s[4:5], exec, -1
; %bb.4051:
	s_or_b64 exec, exec, s[8:9]
	s_and_b64 s[4:5], s[4:5], exec
                                        ; implicit-def: $vgpr1
	s_or_saveexec_b64 s[6:7], s[6:7]
	v_mov_b32_e32 v0, s10
	s_xor_b64 exec, exec, s[6:7]
	s_cbranch_execz .LBB24_2002
.LBB24_4052:
	v_cmp_ne_u16_e32 vcc, 0, v1
	s_andn2_b64 s[4:5], s[4:5], exec
	s_and_b64 s[8:9], vcc, exec
	v_mov_b32_e32 v0, 0
	s_or_b64 s[4:5], s[4:5], s[8:9]
	s_or_b64 exec, exec, s[6:7]
	s_and_saveexec_b64 s[6:7], s[4:5]
	s_cbranch_execnz .LBB24_2003
	s_branch .LBB24_2004
.LBB24_4053:
	s_movk_i32 s4, 0x80
	v_cmp_eq_u16_e32 vcc, s4, v1
	s_mov_b64 s[4:5], -1
                                        ; implicit-def: $sgpr10
	s_and_saveexec_b64 s[8:9], vcc
; %bb.4054:
	s_mov_b32 s10, 0x7f800001
	s_xor_b64 s[4:5], exec, -1
; %bb.4055:
	s_or_b64 exec, exec, s[8:9]
	s_and_b64 s[4:5], s[4:5], exec
                                        ; implicit-def: $vgpr1
	s_or_saveexec_b64 s[6:7], s[6:7]
	v_mov_b32_e32 v4, s10
	s_xor_b64 exec, exec, s[6:7]
	s_cbranch_execz .LBB24_2006
.LBB24_4056:
	v_cmp_ne_u16_e32 vcc, 0, v1
	s_andn2_b64 s[4:5], s[4:5], exec
	s_and_b64 s[8:9], vcc, exec
	v_mov_b32_e32 v4, 0
	s_or_b64 s[4:5], s[4:5], s[8:9]
	s_or_b64 exec, exec, s[6:7]
	s_and_saveexec_b64 s[6:7], s[4:5]
	s_cbranch_execnz .LBB24_2007
	s_branch .LBB24_2008
.LBB24_4057:
	s_movk_i32 s4, 0x80
	v_cmp_eq_u16_sdwa s[12:13], v6, s4 src0_sel:BYTE_3 src1_sel:DWORD
	s_mov_b64 s[4:5], -1
                                        ; implicit-def: $sgpr10
	s_and_saveexec_b64 s[8:9], s[12:13]
; %bb.4058:
	s_mov_b32 s10, 0x7f800001
	s_xor_b64 s[4:5], exec, -1
; %bb.4059:
	s_or_b64 exec, exec, s[8:9]
	s_and_b64 s[4:5], s[4:5], exec
	s_or_saveexec_b64 s[6:7], s[6:7]
	v_mov_b32_e32 v0, s10
	s_xor_b64 exec, exec, s[6:7]
	s_cbranch_execz .LBB24_2010
.LBB24_4060:
	v_mov_b32_e32 v0, 0
	v_cmp_ne_u16_sdwa s[8:9], v6, v0 src0_sel:BYTE_3 src1_sel:DWORD
	s_andn2_b64 s[4:5], s[4:5], exec
	s_and_b64 s[8:9], s[8:9], exec
	s_or_b64 s[4:5], s[4:5], s[8:9]
	s_or_b64 exec, exec, s[6:7]
	s_and_saveexec_b64 s[6:7], s[4:5]
	s_cbranch_execnz .LBB24_2011
	s_branch .LBB24_2012
.LBB24_4061:
	s_movk_i32 s4, 0x80
	v_cmp_eq_u16_sdwa s[12:13], v2, s4 src0_sel:BYTE_3 src1_sel:DWORD
	s_mov_b64 s[4:5], -1
                                        ; implicit-def: $sgpr10
	s_and_saveexec_b64 s[8:9], s[12:13]
; %bb.4062:
	s_mov_b32 s10, 0x7f800001
	s_xor_b64 s[4:5], exec, -1
; %bb.4063:
	s_or_b64 exec, exec, s[8:9]
	s_and_b64 s[4:5], s[4:5], exec
	s_or_saveexec_b64 s[6:7], s[6:7]
	v_mov_b32_e32 v1, s10
	s_xor_b64 exec, exec, s[6:7]
	s_cbranch_execz .LBB24_2014
.LBB24_4064:
	v_mov_b32_e32 v1, 0
	v_cmp_ne_u16_sdwa s[8:9], v2, v1 src0_sel:BYTE_3 src1_sel:DWORD
	s_andn2_b64 s[4:5], s[4:5], exec
	s_and_b64 s[8:9], s[8:9], exec
	s_or_b64 s[4:5], s[4:5], s[8:9]
	s_or_b64 exec, exec, s[6:7]
	s_and_saveexec_b64 s[6:7], s[4:5]
	s_cbranch_execnz .LBB24_2015
	s_branch .LBB24_2016
.LBB24_4065:
	s_movk_i32 s4, 0x80
	v_cmp_eq_u16_sdwa s[12:13], v7, s4 src0_sel:BYTE_0 src1_sel:DWORD
	s_mov_b64 s[4:5], -1
                                        ; implicit-def: $sgpr10
	s_and_saveexec_b64 s[8:9], s[12:13]
; %bb.4066:
	s_mov_b32 s10, 0x7f800001
	s_xor_b64 s[4:5], exec, -1
; %bb.4067:
	s_or_b64 exec, exec, s[8:9]
	s_and_b64 s[4:5], s[4:5], exec
	s_or_saveexec_b64 s[6:7], s[6:7]
	v_mov_b32_e32 v0, s10
	s_xor_b64 exec, exec, s[6:7]
	s_cbranch_execz .LBB24_2018
.LBB24_4068:
	v_mov_b32_e32 v0, 0
	v_cmp_ne_u16_sdwa s[8:9], v7, v0 src0_sel:BYTE_0 src1_sel:DWORD
	s_andn2_b64 s[4:5], s[4:5], exec
	s_and_b64 s[8:9], s[8:9], exec
	s_or_b64 s[4:5], s[4:5], s[8:9]
	s_or_b64 exec, exec, s[6:7]
	s_and_saveexec_b64 s[6:7], s[4:5]
	s_cbranch_execnz .LBB24_2019
	s_branch .LBB24_2020
.LBB24_4069:
	s_movk_i32 s4, 0x80
	v_cmp_eq_u16_sdwa s[12:13], v3, s4 src0_sel:BYTE_0 src1_sel:DWORD
	s_mov_b64 s[4:5], -1
                                        ; implicit-def: $sgpr10
	s_and_saveexec_b64 s[8:9], s[12:13]
; %bb.4070:
	s_mov_b32 s10, 0x7f800001
	s_xor_b64 s[4:5], exec, -1
; %bb.4071:
	s_or_b64 exec, exec, s[8:9]
	s_and_b64 s[4:5], s[4:5], exec
	s_or_saveexec_b64 s[6:7], s[6:7]
	v_mov_b32_e32 v1, s10
	s_xor_b64 exec, exec, s[6:7]
	s_cbranch_execz .LBB24_2022
.LBB24_4072:
	v_mov_b32_e32 v1, 0
	v_cmp_ne_u16_sdwa s[8:9], v3, v1 src0_sel:BYTE_0 src1_sel:DWORD
	s_andn2_b64 s[4:5], s[4:5], exec
	s_and_b64 s[8:9], s[8:9], exec
	s_or_b64 s[4:5], s[4:5], s[8:9]
	s_or_b64 exec, exec, s[6:7]
	s_and_saveexec_b64 s[6:7], s[4:5]
	s_cbranch_execnz .LBB24_2023
	s_branch .LBB24_2024
.LBB24_4073:
	s_movk_i32 s4, 0x80
	v_cmp_eq_u16_sdwa s[12:13], v1, s4 src0_sel:BYTE_0 src1_sel:DWORD
	s_mov_b64 s[4:5], -1
                                        ; implicit-def: $sgpr10
	s_and_saveexec_b64 s[8:9], s[12:13]
; %bb.4074:
	s_mov_b32 s10, 0x7f800001
	s_xor_b64 s[4:5], exec, -1
; %bb.4075:
	s_or_b64 exec, exec, s[8:9]
	s_and_b64 s[4:5], s[4:5], exec
	s_or_saveexec_b64 s[6:7], s[6:7]
	v_mov_b32_e32 v0, s10
	s_xor_b64 exec, exec, s[6:7]
	s_cbranch_execz .LBB24_2026
.LBB24_4076:
	v_mov_b32_e32 v0, 0
	v_cmp_ne_u16_sdwa s[8:9], v1, v0 src0_sel:BYTE_0 src1_sel:DWORD
	s_andn2_b64 s[4:5], s[4:5], exec
	s_and_b64 s[8:9], s[8:9], exec
	s_or_b64 s[4:5], s[4:5], s[8:9]
	s_or_b64 exec, exec, s[6:7]
	s_and_saveexec_b64 s[6:7], s[4:5]
	s_cbranch_execnz .LBB24_2027
	s_branch .LBB24_2028
.LBB24_4077:
	s_movk_i32 s4, 0x80
	v_cmp_eq_u16_sdwa s[12:13], v1, s4 src0_sel:BYTE_0 src1_sel:DWORD
	s_mov_b64 s[4:5], -1
                                        ; implicit-def: $sgpr10
	s_and_saveexec_b64 s[8:9], s[12:13]
; %bb.4078:
	s_mov_b32 s10, 0x7f800001
	s_xor_b64 s[4:5], exec, -1
; %bb.4079:
	s_or_b64 exec, exec, s[8:9]
	s_and_b64 s[4:5], s[4:5], exec
	s_or_saveexec_b64 s[6:7], s[6:7]
	v_mov_b32_e32 v2, s10
	s_xor_b64 exec, exec, s[6:7]
	s_cbranch_execz .LBB24_2030
.LBB24_4080:
	v_mov_b32_e32 v2, 0
	v_cmp_ne_u16_sdwa s[8:9], v1, v2 src0_sel:BYTE_0 src1_sel:DWORD
	s_andn2_b64 s[4:5], s[4:5], exec
	s_and_b64 s[8:9], s[8:9], exec
	s_or_b64 s[4:5], s[4:5], s[8:9]
	s_or_b64 exec, exec, s[6:7]
	s_and_saveexec_b64 s[6:7], s[4:5]
	s_cbranch_execnz .LBB24_2031
	s_branch .LBB24_2032
.LBB24_4081:
	s_movk_i32 s4, 0x80
	v_cmp_eq_u16_e32 vcc, s4, v1
	s_mov_b64 s[4:5], -1
                                        ; implicit-def: $sgpr10
	s_and_saveexec_b64 s[8:9], vcc
; %bb.4082:
	s_mov_b32 s10, 0x7f800001
	s_xor_b64 s[4:5], exec, -1
; %bb.4083:
	s_or_b64 exec, exec, s[8:9]
	s_and_b64 s[4:5], s[4:5], exec
                                        ; implicit-def: $vgpr1
	s_or_saveexec_b64 s[6:7], s[6:7]
	v_mov_b32_e32 v0, s10
	s_xor_b64 exec, exec, s[6:7]
	s_cbranch_execz .LBB24_2034
.LBB24_4084:
	v_cmp_ne_u16_e32 vcc, 0, v1
	s_andn2_b64 s[4:5], s[4:5], exec
	s_and_b64 s[8:9], vcc, exec
	v_mov_b32_e32 v0, 0
	s_or_b64 s[4:5], s[4:5], s[8:9]
	s_or_b64 exec, exec, s[6:7]
	s_and_saveexec_b64 s[6:7], s[4:5]
	s_cbranch_execnz .LBB24_2035
	s_branch .LBB24_2036
.LBB24_4085:
	s_movk_i32 s4, 0x80
	v_cmp_eq_u16_e32 vcc, s4, v1
	s_mov_b64 s[4:5], -1
                                        ; implicit-def: $sgpr10
	s_and_saveexec_b64 s[8:9], vcc
; %bb.4086:
	s_mov_b32 s10, 0x7f800001
	s_xor_b64 s[4:5], exec, -1
; %bb.4087:
	s_or_b64 exec, exec, s[8:9]
	s_and_b64 s[4:5], s[4:5], exec
                                        ; implicit-def: $vgpr1
	s_or_saveexec_b64 s[6:7], s[6:7]
	v_mov_b32_e32 v2, s10
	s_xor_b64 exec, exec, s[6:7]
	s_cbranch_execz .LBB24_2038
.LBB24_4088:
	v_cmp_ne_u16_e32 vcc, 0, v1
	s_andn2_b64 s[4:5], s[4:5], exec
	s_and_b64 s[8:9], vcc, exec
	v_mov_b32_e32 v2, 0
	s_or_b64 s[4:5], s[4:5], s[8:9]
	s_or_b64 exec, exec, s[6:7]
	s_and_saveexec_b64 s[6:7], s[4:5]
	s_cbranch_execnz .LBB24_2039
	s_branch .LBB24_2040
.LBB24_4089:
	s_movk_i32 s4, 0x80
	v_cmp_eq_u16_sdwa s[12:13], v7, s4 src0_sel:BYTE_3 src1_sel:DWORD
	s_mov_b64 s[4:5], -1
                                        ; implicit-def: $sgpr10
	s_and_saveexec_b64 s[8:9], s[12:13]
; %bb.4090:
	s_mov_b32 s10, 0x7f800001
	s_xor_b64 s[4:5], exec, -1
; %bb.4091:
	s_or_b64 exec, exec, s[8:9]
	s_and_b64 s[4:5], s[4:5], exec
	s_or_saveexec_b64 s[6:7], s[6:7]
	v_mov_b32_e32 v0, s10
	s_xor_b64 exec, exec, s[6:7]
	s_cbranch_execz .LBB24_2042
.LBB24_4092:
	v_mov_b32_e32 v0, 0
	v_cmp_ne_u16_sdwa s[8:9], v7, v0 src0_sel:BYTE_3 src1_sel:DWORD
	s_andn2_b64 s[4:5], s[4:5], exec
	s_and_b64 s[8:9], s[8:9], exec
	s_or_b64 s[4:5], s[4:5], s[8:9]
	s_or_b64 exec, exec, s[6:7]
	s_and_saveexec_b64 s[6:7], s[4:5]
	s_cbranch_execnz .LBB24_2043
	s_branch .LBB24_2044
.LBB24_4093:
	s_movk_i32 s4, 0x80
	v_cmp_eq_u16_sdwa s[12:13], v3, s4 src0_sel:BYTE_3 src1_sel:DWORD
	s_mov_b64 s[4:5], -1
                                        ; implicit-def: $sgpr10
	s_and_saveexec_b64 s[8:9], s[12:13]
; %bb.4094:
	s_mov_b32 s10, 0x7f800001
	s_xor_b64 s[4:5], exec, -1
; %bb.4095:
	s_or_b64 exec, exec, s[8:9]
	s_and_b64 s[4:5], s[4:5], exec
	s_or_saveexec_b64 s[6:7], s[6:7]
	v_mov_b32_e32 v1, s10
	s_xor_b64 exec, exec, s[6:7]
	s_cbranch_execz .LBB24_2046
.LBB24_4096:
	v_mov_b32_e32 v1, 0
	v_cmp_ne_u16_sdwa s[8:9], v3, v1 src0_sel:BYTE_3 src1_sel:DWORD
	s_andn2_b64 s[4:5], s[4:5], exec
	s_and_b64 s[8:9], s[8:9], exec
	s_or_b64 s[4:5], s[4:5], s[8:9]
	s_or_b64 exec, exec, s[6:7]
	s_and_saveexec_b64 s[6:7], s[4:5]
	s_cbranch_execnz .LBB24_2047
	s_branch .LBB24_2048
.Lfunc_end24:
	.size	_ZNK2ck6detail7applierIiJLi0ELi1ELi2ELi3ELi4ELi5ELi6ELi7EEEclIZNKS_11static_fordINS_8SequenceIJLi1ELi8EEEENS5_IJLi0ELi1EEEEEclIZZNKS_52BlockwiseGemmXdlops_pipeline_bpreshuffle_bdequant_v3ILNS_26BlockGemmPipelineSchedulerE0ELi256ENS_9f8_fnuz_tENS_7pk_i4_tESC_fNS_16TensorDescriptorINS_5TupleIJNS_5EmbedINSF_IJNS_17integral_constantIiLi8EEENSH_IiLi256EEENSH_IiLi16EEEEEENSF_IJSK_NSH_IiLi128EEENSH_IiLi1EEEEEELb0EEENS_3XorINSF_IJSJ_SI_EEELb1EEENS_11PassThroughISK_EENS_7UnMergeINSF_IJSI_SN_EEELb0EEENST_ISJ_EESU_NST_ISI_EENS_21Merge_v3_division_modINSF_IJSJ_SN_EEEEESU_EEENSF_IJNS5_IJLi0EEEENS5_IJLi2ELi1EEEENS5_IJLi3EEEENS5_IJLi5EEEENS5_IJLi4EEEENS5_IJLi6EEEENS5_IJLi7EEEENS5_IJLi9ELi8EEEENS5_IJLi10EEEEEEENSF_IJNS5_IJLi1ELi2ELi3EEEENS5_IJLi4ELi5EEEES19_NS5_IJLi7ELi8EEEENS5_IJLi9EEEES1C_NS5_IJLi11EEEENS5_IJLi12EEEENS5_IJLi13EEEEEEENS5_IJLi11ELi12ELi13EEEENSH_IlLl32768EEEEENSE_INSF_IJNSV_INSF_IJSI_SN_SN_NSH_IiLi32EEEEEELb0EEEEEENSF_IJS14_EEENSF_IJNS5_IJLi1ELi2ELi3ELi4EEEEEEES1U_NSH_IlLl256EEEEENSE_INSF_IJSP_SS_SU_SX_SY_SU_SZ_S12_SU_NS10_INSF_IJSI_SK_EEEEENSV_INSF_IJSI_NSH_IiLi2EEESK_EEELb0EEEEEENSF_IJS14_S15_S16_S17_S18_S19_S1A_S1B_S1C_NS5_IJLi11ELi13EEEES1J_EEENSF_IJS1E_S1F_S19_S1G_S1H_S1C_S1I_S1J_S1K_NS5_IJLi14EEEENS5_IJLi15ELi16ELi17EEEEEEENS5_IJLi15ELi16ELi17ELi14EEEES1N_EENSE_INSF_IJS1R_NS10_ISW_EES22_EEENSF_IJS14_NS5_IJLi1ELi3EEEENS5_IJLi2EEEEEEENSF_IJS1U_S17_NS5_IJLi6ELi7ELi8EEEEEEENS5_IJLi6ELi7ELi8ELi5EEEES1W_EELi16ELi32ELi256ELi256ELi128ELi16ELi16ELi8ELi8ELi32ELb0EE3RunILb1ELNS_10TailNumberE0ENSE_INSF_IJNSG_INSF_IJiiEEENSF_IJiSN_EEELb0EEENSV_IS2N_Lb0EEENST_IiEEEEENSF_IJS14_S2E_NS5_IJLi1EEEEEEENSF_IJNS5_IJLi1ELi2EEEENS5_IJLi3ELi4EEEES17_EEENS5_IJLi3ELi5ELi4EEEElEES1O_NS_35ThreadGroupTensorSliceTransfer_v4r1INS_15ThisThreadBlockILi256EEENS_16tensor_operation12element_wise11PassThroughES35_LNS_25InMemoryDataOperationEnumE0ENS5_IJLi8ELi256ELi16EEEENS5_IJLi8ELi32ELi1EEEENS5_IJLi1ELi0ELi2EEEESC_SC_RKS2Z_KS1O_S39_NS5_IJLi0ELi1ELi2EEEELi2ELi2ELi16ELi16ELi1ELi1ELb0ELb1ELi2EiEENS_13DynamicBufferILNS_16AddressSpaceEnumE1EKSC_lLb1ELNS_22AmdBufferCoherenceEnumE0EiEENSF_IJNS3F_ILS3G_2ESC_S1N_Lb1ELS3I_0EiEES3K_EEENSF_IJiiiEEENSE_INSF_IJNSG_INSF_IJiiiiEEENSF_IJiiiSN_EEELb0EEEEEES1T_S1V_S1U_lEENS_32ThreadwiseTensorSliceTransfer_v2ISD_SD_RKS3R_KS1X_NS5_IJLi8ELi1ELi1ELi32EEEENS5_IJLi1ELi2ELi0ELi3EEEELi3ELi32ELi0ELb1ELb0ELb0EEENS3F_ILS3G_1EKSD_lLb1ELS3I_0EiEENSF_IJNS_12StaticBufferILS3G_4ESD_Li256ELb1EEES42_EEES3N_NS_25StaticBufferTupleOfVectorILS3G_4EfLi64ELi4ELb1ELb0EEEEEvRKT1_RKT2_RT3_RKT4_RT5_RKT6_RKT7_RT8_RKT9_RT10_RKT11_RT12_iENKUlT_E0_clINSH_IiLi6EEEEEDaS51_EUlS51_E_EEvS51_EUlS51_E_EEvS51_, .Lfunc_end24-_ZNK2ck6detail7applierIiJLi0ELi1ELi2ELi3ELi4ELi5ELi6ELi7EEEclIZNKS_11static_fordINS_8SequenceIJLi1ELi8EEEENS5_IJLi0ELi1EEEEEclIZZNKS_52BlockwiseGemmXdlops_pipeline_bpreshuffle_bdequant_v3ILNS_26BlockGemmPipelineSchedulerE0ELi256ENS_9f8_fnuz_tENS_7pk_i4_tESC_fNS_16TensorDescriptorINS_5TupleIJNS_5EmbedINSF_IJNS_17integral_constantIiLi8EEENSH_IiLi256EEENSH_IiLi16EEEEEENSF_IJSK_NSH_IiLi128EEENSH_IiLi1EEEEEELb0EEENS_3XorINSF_IJSJ_SI_EEELb1EEENS_11PassThroughISK_EENS_7UnMergeINSF_IJSI_SN_EEELb0EEENST_ISJ_EESU_NST_ISI_EENS_21Merge_v3_division_modINSF_IJSJ_SN_EEEEESU_EEENSF_IJNS5_IJLi0EEEENS5_IJLi2ELi1EEEENS5_IJLi3EEEENS5_IJLi5EEEENS5_IJLi4EEEENS5_IJLi6EEEENS5_IJLi7EEEENS5_IJLi9ELi8EEEENS5_IJLi10EEEEEEENSF_IJNS5_IJLi1ELi2ELi3EEEENS5_IJLi4ELi5EEEES19_NS5_IJLi7ELi8EEEENS5_IJLi9EEEES1C_NS5_IJLi11EEEENS5_IJLi12EEEENS5_IJLi13EEEEEEENS5_IJLi11ELi12ELi13EEEENSH_IlLl32768EEEEENSE_INSF_IJNSV_INSF_IJSI_SN_SN_NSH_IiLi32EEEEEELb0EEEEEENSF_IJS14_EEENSF_IJNS5_IJLi1ELi2ELi3ELi4EEEEEEES1U_NSH_IlLl256EEEEENSE_INSF_IJSP_SS_SU_SX_SY_SU_SZ_S12_SU_NS10_INSF_IJSI_SK_EEEEENSV_INSF_IJSI_NSH_IiLi2EEESK_EEELb0EEEEEENSF_IJS14_S15_S16_S17_S18_S19_S1A_S1B_S1C_NS5_IJLi11ELi13EEEES1J_EEENSF_IJS1E_S1F_S19_S1G_S1H_S1C_S1I_S1J_S1K_NS5_IJLi14EEEENS5_IJLi15ELi16ELi17EEEEEEENS5_IJLi15ELi16ELi17ELi14EEEES1N_EENSE_INSF_IJS1R_NS10_ISW_EES22_EEENSF_IJS14_NS5_IJLi1ELi3EEEENS5_IJLi2EEEEEEENSF_IJS1U_S17_NS5_IJLi6ELi7ELi8EEEEEEENS5_IJLi6ELi7ELi8ELi5EEEES1W_EELi16ELi32ELi256ELi256ELi128ELi16ELi16ELi8ELi8ELi32ELb0EE3RunILb1ELNS_10TailNumberE0ENSE_INSF_IJNSG_INSF_IJiiEEENSF_IJiSN_EEELb0EEENSV_IS2N_Lb0EEENST_IiEEEEENSF_IJS14_S2E_NS5_IJLi1EEEEEEENSF_IJNS5_IJLi1ELi2EEEENS5_IJLi3ELi4EEEES17_EEENS5_IJLi3ELi5ELi4EEEElEES1O_NS_35ThreadGroupTensorSliceTransfer_v4r1INS_15ThisThreadBlockILi256EEENS_16tensor_operation12element_wise11PassThroughES35_LNS_25InMemoryDataOperationEnumE0ENS5_IJLi8ELi256ELi16EEEENS5_IJLi8ELi32ELi1EEEENS5_IJLi1ELi0ELi2EEEESC_SC_RKS2Z_KS1O_S39_NS5_IJLi0ELi1ELi2EEEELi2ELi2ELi16ELi16ELi1ELi1ELb0ELb1ELi2EiEENS_13DynamicBufferILNS_16AddressSpaceEnumE1EKSC_lLb1ELNS_22AmdBufferCoherenceEnumE0EiEENSF_IJNS3F_ILS3G_2ESC_S1N_Lb1ELS3I_0EiEES3K_EEENSF_IJiiiEEENSE_INSF_IJNSG_INSF_IJiiiiEEENSF_IJiiiSN_EEELb0EEEEEES1T_S1V_S1U_lEENS_32ThreadwiseTensorSliceTransfer_v2ISD_SD_RKS3R_KS1X_NS5_IJLi8ELi1ELi1ELi32EEEENS5_IJLi1ELi2ELi0ELi3EEEELi3ELi32ELi0ELb1ELb0ELb0EEENS3F_ILS3G_1EKSD_lLb1ELS3I_0EiEENSF_IJNS_12StaticBufferILS3G_4ESD_Li256ELb1EEES42_EEES3N_NS_25StaticBufferTupleOfVectorILS3G_4EfLi64ELi4ELb1ELb0EEEEEvRKT1_RKT2_RT3_RKT4_RT5_RKT6_RKT7_RT8_RKT9_RT10_RKT11_RT12_iENKUlT_E0_clINSH_IiLi6EEEEEDaS51_EUlS51_E_EEvS51_EUlS51_E_EEvS51_
                                        ; -- End function
	.section	.AMDGPU.csdata,"",@progbits
; Function info:
; codeLenInByte = 133608
; NumSgprs: 36
; NumVgprs: 26
; NumAgprs: 4
; TotalNumVgprs: 32
; ScratchSize: 0
; MemoryBound: 1
	.text
	.p2align	2                               ; -- Begin function _ZNK2ck6detail7applierIiJLi0ELi1ELi2ELi3ELi4ELi5ELi6ELi7EEEclIZNKS_11static_fordINS_8SequenceIJLi1ELi8EEEENS5_IJLi0ELi1EEEEEclIZZNKS_52BlockwiseGemmXdlops_pipeline_bpreshuffle_bdequant_v3ILNS_26BlockGemmPipelineSchedulerE0ELi256ENS_9f8_fnuz_tENS_7pk_i4_tESC_fNS_16TensorDescriptorINS_5TupleIJNS_5EmbedINSF_IJNS_17integral_constantIiLi8EEENSH_IiLi256EEENSH_IiLi16EEEEEENSF_IJSK_NSH_IiLi128EEENSH_IiLi1EEEEEELb0EEENS_3XorINSF_IJSJ_SI_EEELb1EEENS_11PassThroughISK_EENS_7UnMergeINSF_IJSI_SN_EEELb0EEENST_ISJ_EESU_NST_ISI_EENS_21Merge_v3_division_modINSF_IJSJ_SN_EEEEESU_EEENSF_IJNS5_IJLi0EEEENS5_IJLi2ELi1EEEENS5_IJLi3EEEENS5_IJLi5EEEENS5_IJLi4EEEENS5_IJLi6EEEENS5_IJLi7EEEENS5_IJLi9ELi8EEEENS5_IJLi10EEEEEEENSF_IJNS5_IJLi1ELi2ELi3EEEENS5_IJLi4ELi5EEEES19_NS5_IJLi7ELi8EEEENS5_IJLi9EEEES1C_NS5_IJLi11EEEENS5_IJLi12EEEENS5_IJLi13EEEEEEENS5_IJLi11ELi12ELi13EEEENSH_IlLl32768EEEEENSE_INSF_IJNSV_INSF_IJSI_SN_SN_NSH_IiLi32EEEEEELb0EEEEEENSF_IJS14_EEENSF_IJNS5_IJLi1ELi2ELi3ELi4EEEEEEES1U_NSH_IlLl256EEEEENSE_INSF_IJSP_SS_SU_SX_SY_SU_SZ_S12_SU_NS10_INSF_IJSI_SK_EEEEENSV_INSF_IJSI_NSH_IiLi2EEESK_EEELb0EEEEEENSF_IJS14_S15_S16_S17_S18_S19_S1A_S1B_S1C_NS5_IJLi11ELi13EEEES1J_EEENSF_IJS1E_S1F_S19_S1G_S1H_S1C_S1I_S1J_S1K_NS5_IJLi14EEEENS5_IJLi15ELi16ELi17EEEEEEENS5_IJLi15ELi16ELi17ELi14EEEES1N_EENSE_INSF_IJS1R_NS10_ISW_EES22_EEENSF_IJS14_NS5_IJLi1ELi3EEEENS5_IJLi2EEEEEEENSF_IJS1U_S17_NS5_IJLi6ELi7ELi8EEEEEEENS5_IJLi6ELi7ELi8ELi5EEEES1W_EELi16ELi32ELi256ELi256ELi128ELi16ELi16ELi8ELi8ELi32ELb0EE3RunILb1ELNS_10TailNumberE0ENSE_INSF_IJNSG_INSF_IJiiEEENSF_IJiSN_EEELb0EEENSV_IS2N_Lb0EEENST_IiEEEEENSF_IJS14_S2E_NS5_IJLi1EEEEEEENSF_IJNS5_IJLi1ELi2EEEENS5_IJLi3ELi4EEEES17_EEENS5_IJLi3ELi5ELi4EEEElEES1O_NS_35ThreadGroupTensorSliceTransfer_v4r1INS_15ThisThreadBlockILi256EEENS_16tensor_operation12element_wise11PassThroughES35_LNS_25InMemoryDataOperationEnumE0ENS5_IJLi8ELi256ELi16EEEENS5_IJLi8ELi32ELi1EEEENS5_IJLi1ELi0ELi2EEEESC_SC_RKS2Z_KS1O_S39_NS5_IJLi0ELi1ELi2EEEELi2ELi2ELi16ELi16ELi1ELi1ELb0ELb1ELi2EiEENS_13DynamicBufferILNS_16AddressSpaceEnumE1EKSC_lLb1ELNS_22AmdBufferCoherenceEnumE0EiEENSF_IJNS3F_ILS3G_2ESC_S1N_Lb1ELS3I_0EiEES3K_EEENSF_IJiiiEEENSE_INSF_IJNSG_INSF_IJiiiiEEENSF_IJiiiSN_EEELb0EEEEEES1T_S1V_S1U_lEENS_32ThreadwiseTensorSliceTransfer_v2ISD_SD_RKS3R_KS1X_NS5_IJLi8ELi1ELi1ELi32EEEENS5_IJLi1ELi2ELi0ELi3EEEELi3ELi32ELi0ELb1ELb0ELb0EEENS3F_ILS3G_1EKSD_lLb1ELS3I_0EiEENSF_IJNS_12StaticBufferILS3G_4ESD_Li256ELb1EEES42_EEES3N_NS_25StaticBufferTupleOfVectorILS3G_4EfLi64ELi4ELb1ELb0EEEEEvRKT1_RKT2_RT3_RKT4_RT5_RKT6_RKT7_RT8_RKT9_RT10_RKT11_RT12_iENKUlT_E0_clINSH_IiLi7EEEEEDaS51_EUlS51_E_EEvS51_EUlS51_E_EEvS51_
	.type	_ZNK2ck6detail7applierIiJLi0ELi1ELi2ELi3ELi4ELi5ELi6ELi7EEEclIZNKS_11static_fordINS_8SequenceIJLi1ELi8EEEENS5_IJLi0ELi1EEEEEclIZZNKS_52BlockwiseGemmXdlops_pipeline_bpreshuffle_bdequant_v3ILNS_26BlockGemmPipelineSchedulerE0ELi256ENS_9f8_fnuz_tENS_7pk_i4_tESC_fNS_16TensorDescriptorINS_5TupleIJNS_5EmbedINSF_IJNS_17integral_constantIiLi8EEENSH_IiLi256EEENSH_IiLi16EEEEEENSF_IJSK_NSH_IiLi128EEENSH_IiLi1EEEEEELb0EEENS_3XorINSF_IJSJ_SI_EEELb1EEENS_11PassThroughISK_EENS_7UnMergeINSF_IJSI_SN_EEELb0EEENST_ISJ_EESU_NST_ISI_EENS_21Merge_v3_division_modINSF_IJSJ_SN_EEEEESU_EEENSF_IJNS5_IJLi0EEEENS5_IJLi2ELi1EEEENS5_IJLi3EEEENS5_IJLi5EEEENS5_IJLi4EEEENS5_IJLi6EEEENS5_IJLi7EEEENS5_IJLi9ELi8EEEENS5_IJLi10EEEEEEENSF_IJNS5_IJLi1ELi2ELi3EEEENS5_IJLi4ELi5EEEES19_NS5_IJLi7ELi8EEEENS5_IJLi9EEEES1C_NS5_IJLi11EEEENS5_IJLi12EEEENS5_IJLi13EEEEEEENS5_IJLi11ELi12ELi13EEEENSH_IlLl32768EEEEENSE_INSF_IJNSV_INSF_IJSI_SN_SN_NSH_IiLi32EEEEEELb0EEEEEENSF_IJS14_EEENSF_IJNS5_IJLi1ELi2ELi3ELi4EEEEEEES1U_NSH_IlLl256EEEEENSE_INSF_IJSP_SS_SU_SX_SY_SU_SZ_S12_SU_NS10_INSF_IJSI_SK_EEEEENSV_INSF_IJSI_NSH_IiLi2EEESK_EEELb0EEEEEENSF_IJS14_S15_S16_S17_S18_S19_S1A_S1B_S1C_NS5_IJLi11ELi13EEEES1J_EEENSF_IJS1E_S1F_S19_S1G_S1H_S1C_S1I_S1J_S1K_NS5_IJLi14EEEENS5_IJLi15ELi16ELi17EEEEEEENS5_IJLi15ELi16ELi17ELi14EEEES1N_EENSE_INSF_IJS1R_NS10_ISW_EES22_EEENSF_IJS14_NS5_IJLi1ELi3EEEENS5_IJLi2EEEEEEENSF_IJS1U_S17_NS5_IJLi6ELi7ELi8EEEEEEENS5_IJLi6ELi7ELi8ELi5EEEES1W_EELi16ELi32ELi256ELi256ELi128ELi16ELi16ELi8ELi8ELi32ELb0EE3RunILb1ELNS_10TailNumberE0ENSE_INSF_IJNSG_INSF_IJiiEEENSF_IJiSN_EEELb0EEENSV_IS2N_Lb0EEENST_IiEEEEENSF_IJS14_S2E_NS5_IJLi1EEEEEEENSF_IJNS5_IJLi1ELi2EEEENS5_IJLi3ELi4EEEES17_EEENS5_IJLi3ELi5ELi4EEEElEES1O_NS_35ThreadGroupTensorSliceTransfer_v4r1INS_15ThisThreadBlockILi256EEENS_16tensor_operation12element_wise11PassThroughES35_LNS_25InMemoryDataOperationEnumE0ENS5_IJLi8ELi256ELi16EEEENS5_IJLi8ELi32ELi1EEEENS5_IJLi1ELi0ELi2EEEESC_SC_RKS2Z_KS1O_S39_NS5_IJLi0ELi1ELi2EEEELi2ELi2ELi16ELi16ELi1ELi1ELb0ELb1ELi2EiEENS_13DynamicBufferILNS_16AddressSpaceEnumE1EKSC_lLb1ELNS_22AmdBufferCoherenceEnumE0EiEENSF_IJNS3F_ILS3G_2ESC_S1N_Lb1ELS3I_0EiEES3K_EEENSF_IJiiiEEENSE_INSF_IJNSG_INSF_IJiiiiEEENSF_IJiiiSN_EEELb0EEEEEES1T_S1V_S1U_lEENS_32ThreadwiseTensorSliceTransfer_v2ISD_SD_RKS3R_KS1X_NS5_IJLi8ELi1ELi1ELi32EEEENS5_IJLi1ELi2ELi0ELi3EEEELi3ELi32ELi0ELb1ELb0ELb0EEENS3F_ILS3G_1EKSD_lLb1ELS3I_0EiEENSF_IJNS_12StaticBufferILS3G_4ESD_Li256ELb1EEES42_EEES3N_NS_25StaticBufferTupleOfVectorILS3G_4EfLi64ELi4ELb1ELb0EEEEEvRKT1_RKT2_RT3_RKT4_RT5_RKT6_RKT7_RT8_RKT9_RT10_RKT11_RT12_iENKUlT_E0_clINSH_IiLi7EEEEEDaS51_EUlS51_E_EEvS51_EUlS51_E_EEvS51_,@function
_ZNK2ck6detail7applierIiJLi0ELi1ELi2ELi3ELi4ELi5ELi6ELi7EEEclIZNKS_11static_fordINS_8SequenceIJLi1ELi8EEEENS5_IJLi0ELi1EEEEEclIZZNKS_52BlockwiseGemmXdlops_pipeline_bpreshuffle_bdequant_v3ILNS_26BlockGemmPipelineSchedulerE0ELi256ENS_9f8_fnuz_tENS_7pk_i4_tESC_fNS_16TensorDescriptorINS_5TupleIJNS_5EmbedINSF_IJNS_17integral_constantIiLi8EEENSH_IiLi256EEENSH_IiLi16EEEEEENSF_IJSK_NSH_IiLi128EEENSH_IiLi1EEEEEELb0EEENS_3XorINSF_IJSJ_SI_EEELb1EEENS_11PassThroughISK_EENS_7UnMergeINSF_IJSI_SN_EEELb0EEENST_ISJ_EESU_NST_ISI_EENS_21Merge_v3_division_modINSF_IJSJ_SN_EEEEESU_EEENSF_IJNS5_IJLi0EEEENS5_IJLi2ELi1EEEENS5_IJLi3EEEENS5_IJLi5EEEENS5_IJLi4EEEENS5_IJLi6EEEENS5_IJLi7EEEENS5_IJLi9ELi8EEEENS5_IJLi10EEEEEEENSF_IJNS5_IJLi1ELi2ELi3EEEENS5_IJLi4ELi5EEEES19_NS5_IJLi7ELi8EEEENS5_IJLi9EEEES1C_NS5_IJLi11EEEENS5_IJLi12EEEENS5_IJLi13EEEEEEENS5_IJLi11ELi12ELi13EEEENSH_IlLl32768EEEEENSE_INSF_IJNSV_INSF_IJSI_SN_SN_NSH_IiLi32EEEEEELb0EEEEEENSF_IJS14_EEENSF_IJNS5_IJLi1ELi2ELi3ELi4EEEEEEES1U_NSH_IlLl256EEEEENSE_INSF_IJSP_SS_SU_SX_SY_SU_SZ_S12_SU_NS10_INSF_IJSI_SK_EEEEENSV_INSF_IJSI_NSH_IiLi2EEESK_EEELb0EEEEEENSF_IJS14_S15_S16_S17_S18_S19_S1A_S1B_S1C_NS5_IJLi11ELi13EEEES1J_EEENSF_IJS1E_S1F_S19_S1G_S1H_S1C_S1I_S1J_S1K_NS5_IJLi14EEEENS5_IJLi15ELi16ELi17EEEEEEENS5_IJLi15ELi16ELi17ELi14EEEES1N_EENSE_INSF_IJS1R_NS10_ISW_EES22_EEENSF_IJS14_NS5_IJLi1ELi3EEEENS5_IJLi2EEEEEEENSF_IJS1U_S17_NS5_IJLi6ELi7ELi8EEEEEEENS5_IJLi6ELi7ELi8ELi5EEEES1W_EELi16ELi32ELi256ELi256ELi128ELi16ELi16ELi8ELi8ELi32ELb0EE3RunILb1ELNS_10TailNumberE0ENSE_INSF_IJNSG_INSF_IJiiEEENSF_IJiSN_EEELb0EEENSV_IS2N_Lb0EEENST_IiEEEEENSF_IJS14_S2E_NS5_IJLi1EEEEEEENSF_IJNS5_IJLi1ELi2EEEENS5_IJLi3ELi4EEEES17_EEENS5_IJLi3ELi5ELi4EEEElEES1O_NS_35ThreadGroupTensorSliceTransfer_v4r1INS_15ThisThreadBlockILi256EEENS_16tensor_operation12element_wise11PassThroughES35_LNS_25InMemoryDataOperationEnumE0ENS5_IJLi8ELi256ELi16EEEENS5_IJLi8ELi32ELi1EEEENS5_IJLi1ELi0ELi2EEEESC_SC_RKS2Z_KS1O_S39_NS5_IJLi0ELi1ELi2EEEELi2ELi2ELi16ELi16ELi1ELi1ELb0ELb1ELi2EiEENS_13DynamicBufferILNS_16AddressSpaceEnumE1EKSC_lLb1ELNS_22AmdBufferCoherenceEnumE0EiEENSF_IJNS3F_ILS3G_2ESC_S1N_Lb1ELS3I_0EiEES3K_EEENSF_IJiiiEEENSE_INSF_IJNSG_INSF_IJiiiiEEENSF_IJiiiSN_EEELb0EEEEEES1T_S1V_S1U_lEENS_32ThreadwiseTensorSliceTransfer_v2ISD_SD_RKS3R_KS1X_NS5_IJLi8ELi1ELi1ELi32EEEENS5_IJLi1ELi2ELi0ELi3EEEELi3ELi32ELi0ELb1ELb0ELb0EEENS3F_ILS3G_1EKSD_lLb1ELS3I_0EiEENSF_IJNS_12StaticBufferILS3G_4ESD_Li256ELb1EEES42_EEES3N_NS_25StaticBufferTupleOfVectorILS3G_4EfLi64ELi4ELb1ELb0EEEEEvRKT1_RKT2_RT3_RKT4_RT5_RKT6_RKT7_RT8_RKT9_RT10_RKT11_RT12_iENKUlT_E0_clINSH_IiLi7EEEEEDaS51_EUlS51_E_EEvS51_EUlS51_E_EEvS51_: ; @_ZNK2ck6detail7applierIiJLi0ELi1ELi2ELi3ELi4ELi5ELi6ELi7EEEclIZNKS_11static_fordINS_8SequenceIJLi1ELi8EEEENS5_IJLi0ELi1EEEEEclIZZNKS_52BlockwiseGemmXdlops_pipeline_bpreshuffle_bdequant_v3ILNS_26BlockGemmPipelineSchedulerE0ELi256ENS_9f8_fnuz_tENS_7pk_i4_tESC_fNS_16TensorDescriptorINS_5TupleIJNS_5EmbedINSF_IJNS_17integral_constantIiLi8EEENSH_IiLi256EEENSH_IiLi16EEEEEENSF_IJSK_NSH_IiLi128EEENSH_IiLi1EEEEEELb0EEENS_3XorINSF_IJSJ_SI_EEELb1EEENS_11PassThroughISK_EENS_7UnMergeINSF_IJSI_SN_EEELb0EEENST_ISJ_EESU_NST_ISI_EENS_21Merge_v3_division_modINSF_IJSJ_SN_EEEEESU_EEENSF_IJNS5_IJLi0EEEENS5_IJLi2ELi1EEEENS5_IJLi3EEEENS5_IJLi5EEEENS5_IJLi4EEEENS5_IJLi6EEEENS5_IJLi7EEEENS5_IJLi9ELi8EEEENS5_IJLi10EEEEEEENSF_IJNS5_IJLi1ELi2ELi3EEEENS5_IJLi4ELi5EEEES19_NS5_IJLi7ELi8EEEENS5_IJLi9EEEES1C_NS5_IJLi11EEEENS5_IJLi12EEEENS5_IJLi13EEEEEEENS5_IJLi11ELi12ELi13EEEENSH_IlLl32768EEEEENSE_INSF_IJNSV_INSF_IJSI_SN_SN_NSH_IiLi32EEEEEELb0EEEEEENSF_IJS14_EEENSF_IJNS5_IJLi1ELi2ELi3ELi4EEEEEEES1U_NSH_IlLl256EEEEENSE_INSF_IJSP_SS_SU_SX_SY_SU_SZ_S12_SU_NS10_INSF_IJSI_SK_EEEEENSV_INSF_IJSI_NSH_IiLi2EEESK_EEELb0EEEEEENSF_IJS14_S15_S16_S17_S18_S19_S1A_S1B_S1C_NS5_IJLi11ELi13EEEES1J_EEENSF_IJS1E_S1F_S19_S1G_S1H_S1C_S1I_S1J_S1K_NS5_IJLi14EEEENS5_IJLi15ELi16ELi17EEEEEEENS5_IJLi15ELi16ELi17ELi14EEEES1N_EENSE_INSF_IJS1R_NS10_ISW_EES22_EEENSF_IJS14_NS5_IJLi1ELi3EEEENS5_IJLi2EEEEEEENSF_IJS1U_S17_NS5_IJLi6ELi7ELi8EEEEEEENS5_IJLi6ELi7ELi8ELi5EEEES1W_EELi16ELi32ELi256ELi256ELi128ELi16ELi16ELi8ELi8ELi32ELb0EE3RunILb1ELNS_10TailNumberE0ENSE_INSF_IJNSG_INSF_IJiiEEENSF_IJiSN_EEELb0EEENSV_IS2N_Lb0EEENST_IiEEEEENSF_IJS14_S2E_NS5_IJLi1EEEEEEENSF_IJNS5_IJLi1ELi2EEEENS5_IJLi3ELi4EEEES17_EEENS5_IJLi3ELi5ELi4EEEElEES1O_NS_35ThreadGroupTensorSliceTransfer_v4r1INS_15ThisThreadBlockILi256EEENS_16tensor_operation12element_wise11PassThroughES35_LNS_25InMemoryDataOperationEnumE0ENS5_IJLi8ELi256ELi16EEEENS5_IJLi8ELi32ELi1EEEENS5_IJLi1ELi0ELi2EEEESC_SC_RKS2Z_KS1O_S39_NS5_IJLi0ELi1ELi2EEEELi2ELi2ELi16ELi16ELi1ELi1ELb0ELb1ELi2EiEENS_13DynamicBufferILNS_16AddressSpaceEnumE1EKSC_lLb1ELNS_22AmdBufferCoherenceEnumE0EiEENSF_IJNS3F_ILS3G_2ESC_S1N_Lb1ELS3I_0EiEES3K_EEENSF_IJiiiEEENSE_INSF_IJNSG_INSF_IJiiiiEEENSF_IJiiiSN_EEELb0EEEEEES1T_S1V_S1U_lEENS_32ThreadwiseTensorSliceTransfer_v2ISD_SD_RKS3R_KS1X_NS5_IJLi8ELi1ELi1ELi32EEEENS5_IJLi1ELi2ELi0ELi3EEEELi3ELi32ELi0ELb1ELb0ELb0EEENS3F_ILS3G_1EKSD_lLb1ELS3I_0EiEENSF_IJNS_12StaticBufferILS3G_4ESD_Li256ELb1EEES42_EEES3N_NS_25StaticBufferTupleOfVectorILS3G_4EfLi64ELi4ELb1ELb0EEEEEvRKT1_RKT2_RT3_RKT4_RT5_RKT6_RKT7_RT8_RKT9_RT10_RKT11_RT12_iENKUlT_E0_clINSH_IiLi7EEEEEDaS51_EUlS51_E_EEvS51_EUlS51_E_EEvS51_
; %bb.0:
	s_waitcnt vmcnt(0) expcnt(0) lgkmcnt(0)
	flat_load_dwordx4 v[20:23], v[0:1] offset:8
	flat_load_dwordx2 v[18:19], v[0:1] offset:24
	s_movk_i32 s4, 0x7f
                                        ; implicit-def: $sgpr10
	s_waitcnt vmcnt(0) lgkmcnt(0)
	flat_load_dwordx4 v[14:17], v[20:21] offset:32
	flat_load_dwordx4 v[6:9], v[20:21] offset:48
	flat_load_dwordx4 v[10:13], v[22:23]
	flat_load_dwordx4 v[2:5], v[22:23] offset:16
	s_waitcnt vmcnt(0) lgkmcnt(0)
	v_cmp_gt_i16_sdwa s[6:7], v14, s4 src0_sel:BYTE_0 src1_sel:DWORD
	s_mov_b64 s[4:5], 0
	s_and_saveexec_b64 s[8:9], s[6:7]
	s_xor_b64 s[6:7], exec, s[8:9]
	s_cbranch_execnz .LBB25_2049
; %bb.1:
	s_or_saveexec_b64 s[6:7], s[6:7]
	v_mov_b32_e32 v20, s10
	s_xor_b64 exec, exec, s[6:7]
	s_cbranch_execnz .LBB25_2052
.LBB25_2:
	s_or_b64 exec, exec, s[6:7]
	s_and_saveexec_b64 s[6:7], s[4:5]
	s_cbranch_execz .LBB25_4
.LBB25_3:
	v_and_b32_e32 v20, 7, v14
	v_ffbh_u32_e32 v22, v20
	v_min_u32_e32 v22, 32, v22
	v_lshrrev_b16_e32 v21, 3, v14
	v_subrev_u32_e32 v23, 28, v22
	v_and_b32_e32 v21, 15, v21
	v_lshlrev_b32_e32 v23, v23, v14
	v_sub_u32_e32 v22, 29, v22
	v_and_b32_e32 v23, 7, v23
	v_cmp_eq_u16_e32 vcc, 0, v21
	v_cndmask_b32_e32 v20, v20, v23, vcc
	v_cndmask_b32_e32 v21, v21, v22, vcc
	v_lshlrev_b32_e32 v22, 24, v14
	v_mov_b32_e32 v23, 0x3b800000
	v_lshlrev_b32_e32 v20, 20, v20
	v_and_b32_e32 v22, 0x80000000, v22
	v_lshl_add_u32 v21, v21, 23, v23
	v_or3_b32 v20, v22, v21, v20
.LBB25_4:
	s_or_b64 exec, exec, s[6:7]
	s_movk_i32 s4, 0x7f
	v_cmp_gt_i16_sdwa s[6:7], v10, s4 src0_sel:BYTE_0 src1_sel:DWORD
	s_mov_b64 s[4:5], 0
                                        ; implicit-def: $sgpr10
	s_and_saveexec_b64 s[8:9], s[6:7]
	s_xor_b64 s[6:7], exec, s[8:9]
	s_cbranch_execnz .LBB25_2053
; %bb.5:
	s_or_saveexec_b64 s[6:7], s[6:7]
	v_mov_b32_e32 v21, s10
	s_xor_b64 exec, exec, s[6:7]
	s_cbranch_execnz .LBB25_2056
.LBB25_6:
	s_or_b64 exec, exec, s[6:7]
	s_and_saveexec_b64 s[6:7], s[4:5]
	s_cbranch_execz .LBB25_8
.LBB25_7:
	v_and_b32_e32 v21, 7, v10
	v_ffbh_u32_e32 v23, v21
	v_min_u32_e32 v23, 32, v23
	v_lshrrev_b16_e32 v22, 3, v10
	v_subrev_u32_e32 v24, 28, v23
	v_and_b32_e32 v22, 15, v22
	v_lshlrev_b32_e32 v24, v24, v10
	v_sub_u32_e32 v23, 29, v23
	v_and_b32_e32 v24, 7, v24
	v_cmp_eq_u16_e32 vcc, 0, v22
	v_cndmask_b32_e32 v21, v21, v24, vcc
	v_cndmask_b32_e32 v22, v22, v23, vcc
	v_lshlrev_b32_e32 v23, 24, v10
	v_mov_b32_e32 v24, 0x3b800000
	v_lshlrev_b32_e32 v21, 20, v21
	v_and_b32_e32 v23, 0x80000000, v23
	v_lshl_add_u32 v22, v22, 23, v24
	v_or3_b32 v21, v23, v22, v21
.LBB25_8:
	s_or_b64 exec, exec, s[6:7]
	flat_load_dwordx4 a[0:3], v[18:19] offset:896
	s_movk_i32 s4, 0x7f
                                        ; implicit-def: $sgpr10
	s_waitcnt vmcnt(0) lgkmcnt(0)
	v_mfma_f32_16x16x4f32 a[0:3], v20, v21, a[0:3]
	v_lshrrev_b32_e32 v21, 8, v14
	v_cmp_gt_i16_sdwa s[6:7], v21, s4 src0_sel:BYTE_0 src1_sel:DWORD
	s_mov_b64 s[4:5], 0
	s_and_saveexec_b64 s[8:9], s[6:7]
	s_xor_b64 s[6:7], exec, s[8:9]
	s_cbranch_execnz .LBB25_2057
; %bb.9:
	s_or_saveexec_b64 s[6:7], s[6:7]
	v_mov_b32_e32 v20, s10
	s_xor_b64 exec, exec, s[6:7]
	s_cbranch_execnz .LBB25_2060
.LBB25_10:
	s_or_b64 exec, exec, s[6:7]
	s_and_saveexec_b64 s[6:7], s[4:5]
	s_cbranch_execz .LBB25_12
.LBB25_11:
	v_bfe_u32 v20, v14, 8, 3
	v_ffbh_u32_e32 v23, v20
	v_min_u32_e32 v23, 32, v23
	v_lshrrev_b16_e32 v22, 3, v21
	v_subrev_u32_e32 v24, 28, v23
	v_and_b32_e32 v22, 15, v22
	v_lshlrev_b32_e32 v21, v24, v21
	v_sub_u32_e32 v23, 29, v23
	v_and_b32_e32 v21, 7, v21
	v_cmp_eq_u16_e32 vcc, 0, v22
	v_cndmask_b32_e32 v20, v20, v21, vcc
	v_cndmask_b32_e32 v21, v22, v23, vcc
	v_lshlrev_b32_e32 v22, 16, v14
	v_mov_b32_e32 v23, 0x3b800000
	v_lshlrev_b32_e32 v20, 20, v20
	v_and_b32_e32 v22, 0x80000000, v22
	v_lshl_add_u32 v21, v21, 23, v23
	v_or3_b32 v20, v22, v21, v20
.LBB25_12:
	s_or_b64 exec, exec, s[6:7]
	v_lshrrev_b32_e32 v21, 8, v10
	s_movk_i32 s4, 0x7f
	v_cmp_gt_i16_sdwa s[6:7], v21, s4 src0_sel:BYTE_0 src1_sel:DWORD
	s_mov_b64 s[4:5], 0
                                        ; implicit-def: $sgpr10
	s_and_saveexec_b64 s[8:9], s[6:7]
	s_xor_b64 s[6:7], exec, s[8:9]
	s_cbranch_execnz .LBB25_2061
; %bb.13:
	s_or_saveexec_b64 s[6:7], s[6:7]
	v_mov_b32_e32 v22, s10
	s_xor_b64 exec, exec, s[6:7]
	s_cbranch_execnz .LBB25_2064
.LBB25_14:
	s_or_b64 exec, exec, s[6:7]
	s_and_saveexec_b64 s[6:7], s[4:5]
	s_cbranch_execz .LBB25_16
.LBB25_15:
	v_bfe_u32 v22, v10, 8, 3
	v_ffbh_u32_e32 v24, v22
	v_min_u32_e32 v24, 32, v24
	v_lshrrev_b16_e32 v23, 3, v21
	v_subrev_u32_e32 v25, 28, v24
	v_and_b32_e32 v23, 15, v23
	v_lshlrev_b32_e32 v21, v25, v21
	v_sub_u32_e32 v24, 29, v24
	v_and_b32_e32 v21, 7, v21
	v_cmp_eq_u16_e32 vcc, 0, v23
	v_cndmask_b32_e32 v21, v22, v21, vcc
	v_cndmask_b32_e32 v22, v23, v24, vcc
	v_lshlrev_b32_e32 v23, 16, v10
	v_mov_b32_e32 v24, 0x3b800000
	v_lshlrev_b32_e32 v21, 20, v21
	v_and_b32_e32 v23, 0x80000000, v23
	v_lshl_add_u32 v22, v22, 23, v24
	v_or3_b32 v22, v23, v22, v21
.LBB25_16:
	s_or_b64 exec, exec, s[6:7]
	s_nop 0
	v_mfma_f32_16x16x4f32 a[0:3], v20, v22, a[0:3]
	s_movk_i32 s4, 0xff
	v_and_b32_sdwa v21, v14, s4 dst_sel:DWORD dst_unused:UNUSED_PAD src0_sel:WORD_1 src1_sel:DWORD
	s_movk_i32 s4, 0x7f
	v_cmp_lt_i16_e32 vcc, s4, v21
	s_mov_b64 s[4:5], 0
                                        ; implicit-def: $sgpr10
	s_and_saveexec_b64 s[6:7], vcc
	s_xor_b64 s[6:7], exec, s[6:7]
	s_cbranch_execnz .LBB25_2065
; %bb.17:
	s_or_saveexec_b64 s[6:7], s[6:7]
	v_mov_b32_e32 v20, s10
	s_xor_b64 exec, exec, s[6:7]
	s_cbranch_execnz .LBB25_2068
.LBB25_18:
	s_or_b64 exec, exec, s[6:7]
	s_and_saveexec_b64 s[6:7], s[4:5]
	s_cbranch_execz .LBB25_20
.LBB25_19:
	v_bfe_u32 v20, v14, 16, 3
	v_ffbh_u32_e32 v23, v20
	v_min_u32_e32 v23, 32, v23
	v_lshrrev_b32_e32 v21, 19, v14
	v_subrev_u32_e32 v24, 28, v23
	v_and_b32_e32 v21, 15, v21
	v_lshlrev_b32_sdwa v24, v24, v14 dst_sel:DWORD dst_unused:UNUSED_PAD src0_sel:DWORD src1_sel:WORD_1
	v_bfe_u32 v22, v14, 19, 4
	v_sub_u32_e32 v23, 29, v23
	v_and_b32_e32 v24, 7, v24
	v_cmp_eq_u16_e32 vcc, 0, v21
	v_cndmask_b32_e32 v20, v20, v24, vcc
	v_cndmask_b32_e32 v21, v22, v23, vcc
	v_lshlrev_b32_e32 v22, 8, v14
	v_mov_b32_e32 v23, 0x3b800000
	v_lshlrev_b32_e32 v20, 20, v20
	v_and_b32_e32 v22, 0x80000000, v22
	v_lshl_add_u32 v21, v21, 23, v23
	v_or3_b32 v20, v22, v21, v20
.LBB25_20:
	s_or_b64 exec, exec, s[6:7]
	s_movk_i32 s4, 0xff
	v_and_b32_sdwa v21, v10, s4 dst_sel:DWORD dst_unused:UNUSED_PAD src0_sel:WORD_1 src1_sel:DWORD
	s_movk_i32 s4, 0x7f
	v_cmp_lt_i16_e32 vcc, s4, v21
	s_mov_b64 s[4:5], 0
                                        ; implicit-def: $sgpr10
	s_and_saveexec_b64 s[6:7], vcc
	s_xor_b64 s[6:7], exec, s[6:7]
	s_cbranch_execnz .LBB25_2069
; %bb.21:
	s_or_saveexec_b64 s[6:7], s[6:7]
	v_mov_b32_e32 v22, s10
	s_xor_b64 exec, exec, s[6:7]
	s_cbranch_execnz .LBB25_2072
.LBB25_22:
	s_or_b64 exec, exec, s[6:7]
	s_and_saveexec_b64 s[6:7], s[4:5]
	s_cbranch_execz .LBB25_24
.LBB25_23:
	v_bfe_u32 v21, v10, 16, 3
	v_ffbh_u32_e32 v24, v21
	v_min_u32_e32 v24, 32, v24
	v_lshrrev_b32_e32 v22, 19, v10
	v_subrev_u32_e32 v25, 28, v24
	v_and_b32_e32 v22, 15, v22
	v_lshlrev_b32_sdwa v25, v25, v10 dst_sel:DWORD dst_unused:UNUSED_PAD src0_sel:DWORD src1_sel:WORD_1
	v_bfe_u32 v23, v10, 19, 4
	v_sub_u32_e32 v24, 29, v24
	v_and_b32_e32 v25, 7, v25
	v_cmp_eq_u16_e32 vcc, 0, v22
	v_cndmask_b32_e32 v21, v21, v25, vcc
	v_cndmask_b32_e32 v22, v23, v24, vcc
	v_lshlrev_b32_e32 v23, 8, v10
	v_mov_b32_e32 v24, 0x3b800000
	v_lshlrev_b32_e32 v21, 20, v21
	v_and_b32_e32 v23, 0x80000000, v23
	v_lshl_add_u32 v22, v22, 23, v24
	v_or3_b32 v22, v23, v22, v21
.LBB25_24:
	s_or_b64 exec, exec, s[6:7]
	s_nop 0
	v_mfma_f32_16x16x4f32 a[0:3], v20, v22, a[0:3]
	s_movk_i32 s4, 0x7f
	v_cmp_gt_i16_sdwa s[6:7], v14, s4 src0_sel:BYTE_3 src1_sel:DWORD
	s_mov_b64 s[4:5], 0
                                        ; implicit-def: $sgpr10
	s_and_saveexec_b64 s[8:9], s[6:7]
	s_xor_b64 s[6:7], exec, s[8:9]
	s_cbranch_execnz .LBB25_2073
; %bb.25:
	s_or_saveexec_b64 s[6:7], s[6:7]
	v_mov_b32_e32 v20, s10
	s_xor_b64 exec, exec, s[6:7]
	s_cbranch_execnz .LBB25_2076
.LBB25_26:
	s_or_b64 exec, exec, s[6:7]
	s_and_saveexec_b64 s[6:7], s[4:5]
	s_cbranch_execz .LBB25_28
.LBB25_27:
	v_bfe_u32 v20, v14, 24, 3
	v_ffbh_u32_e32 v24, v20
	v_min_u32_e32 v24, 32, v24
	v_lshrrev_b32_e32 v22, 27, v14
	v_subrev_u32_e32 v25, 28, v24
	v_and_b32_e32 v21, 0x80000000, v14
	v_and_b32_e32 v22, 15, v22
	v_bfe_u32 v23, v14, 27, 4
	v_lshlrev_b32_sdwa v14, v25, v14 dst_sel:DWORD dst_unused:UNUSED_PAD src0_sel:DWORD src1_sel:BYTE_3
	v_sub_u32_e32 v24, 29, v24
	v_and_b32_e32 v14, 7, v14
	v_cmp_eq_u16_e32 vcc, 0, v22
	v_cndmask_b32_e32 v14, v20, v14, vcc
	v_cndmask_b32_e32 v20, v23, v24, vcc
	v_mov_b32_e32 v22, 0x3b800000
	v_lshlrev_b32_e32 v14, 20, v14
	v_lshl_add_u32 v20, v20, 23, v22
	v_or3_b32 v20, v21, v20, v14
.LBB25_28:
	s_or_b64 exec, exec, s[6:7]
	s_movk_i32 s4, 0x7f
	v_cmp_gt_i16_sdwa s[6:7], v10, s4 src0_sel:BYTE_3 src1_sel:DWORD
	s_mov_b64 s[4:5], 0
                                        ; implicit-def: $sgpr10
	s_and_saveexec_b64 s[8:9], s[6:7]
	s_xor_b64 s[6:7], exec, s[8:9]
	s_cbranch_execnz .LBB25_2077
; %bb.29:
	s_or_saveexec_b64 s[6:7], s[6:7]
	v_mov_b32_e32 v14, s10
	s_xor_b64 exec, exec, s[6:7]
	s_cbranch_execnz .LBB25_2080
.LBB25_30:
	s_or_b64 exec, exec, s[6:7]
	s_and_saveexec_b64 s[6:7], s[4:5]
	s_cbranch_execz .LBB25_32
.LBB25_31:
	v_bfe_u32 v14, v10, 24, 3
	v_ffbh_u32_e32 v24, v14
	v_min_u32_e32 v24, 32, v24
	v_lshrrev_b32_e32 v22, 27, v10
	v_subrev_u32_e32 v25, 28, v24
	v_and_b32_e32 v21, 0x80000000, v10
	v_and_b32_e32 v22, 15, v22
	v_bfe_u32 v23, v10, 27, 4
	v_lshlrev_b32_sdwa v10, v25, v10 dst_sel:DWORD dst_unused:UNUSED_PAD src0_sel:DWORD src1_sel:BYTE_3
	v_sub_u32_e32 v24, 29, v24
	v_and_b32_e32 v10, 7, v10
	v_cmp_eq_u16_e32 vcc, 0, v22
	v_cndmask_b32_e32 v10, v14, v10, vcc
	v_cndmask_b32_e32 v14, v23, v24, vcc
	v_mov_b32_e32 v22, 0x3b800000
	v_lshlrev_b32_e32 v10, 20, v10
	v_lshl_add_u32 v14, v14, 23, v22
	v_or3_b32 v14, v21, v14, v10
.LBB25_32:
	s_or_b64 exec, exec, s[6:7]
	s_nop 0
	v_mfma_f32_16x16x4f32 a[0:3], v20, v14, a[0:3]
	s_movk_i32 s4, 0x7f
	v_cmp_gt_i16_sdwa s[6:7], v15, s4 src0_sel:BYTE_0 src1_sel:DWORD
	s_mov_b64 s[4:5], 0
                                        ; implicit-def: $sgpr10
	s_and_saveexec_b64 s[8:9], s[6:7]
	s_xor_b64 s[6:7], exec, s[8:9]
	s_cbranch_execnz .LBB25_2081
; %bb.33:
	s_or_saveexec_b64 s[6:7], s[6:7]
	v_mov_b32_e32 v10, s10
	s_xor_b64 exec, exec, s[6:7]
	s_cbranch_execnz .LBB25_2084
.LBB25_34:
	s_or_b64 exec, exec, s[6:7]
	s_and_saveexec_b64 s[6:7], s[4:5]
	s_cbranch_execz .LBB25_36
.LBB25_35:
	v_and_b32_e32 v10, 7, v15
	v_ffbh_u32_e32 v20, v10
	v_min_u32_e32 v20, 32, v20
	v_lshrrev_b16_e32 v14, 3, v15
	v_subrev_u32_e32 v21, 28, v20
	v_and_b32_e32 v14, 15, v14
	v_lshlrev_b32_e32 v21, v21, v15
	v_sub_u32_e32 v20, 29, v20
	v_and_b32_e32 v21, 7, v21
	v_cmp_eq_u16_e32 vcc, 0, v14
	v_cndmask_b32_e32 v10, v10, v21, vcc
	v_cndmask_b32_e32 v14, v14, v20, vcc
	v_lshlrev_b32_e32 v20, 24, v15
	v_mov_b32_e32 v21, 0x3b800000
	v_lshlrev_b32_e32 v10, 20, v10
	v_and_b32_e32 v20, 0x80000000, v20
	v_lshl_add_u32 v14, v14, 23, v21
	v_or3_b32 v10, v20, v14, v10
.LBB25_36:
	s_or_b64 exec, exec, s[6:7]
	s_movk_i32 s4, 0x7f
	v_cmp_gt_i16_sdwa s[6:7], v11, s4 src0_sel:BYTE_0 src1_sel:DWORD
	s_mov_b64 s[4:5], 0
                                        ; implicit-def: $sgpr10
	s_and_saveexec_b64 s[8:9], s[6:7]
	s_xor_b64 s[6:7], exec, s[8:9]
	s_cbranch_execnz .LBB25_2085
; %bb.37:
	s_or_saveexec_b64 s[6:7], s[6:7]
	v_mov_b32_e32 v14, s10
	s_xor_b64 exec, exec, s[6:7]
	s_cbranch_execnz .LBB25_2088
.LBB25_38:
	s_or_b64 exec, exec, s[6:7]
	s_and_saveexec_b64 s[6:7], s[4:5]
	s_cbranch_execz .LBB25_40
.LBB25_39:
	v_and_b32_e32 v14, 7, v11
	v_ffbh_u32_e32 v21, v14
	v_min_u32_e32 v21, 32, v21
	v_lshrrev_b16_e32 v20, 3, v11
	v_subrev_u32_e32 v22, 28, v21
	v_and_b32_e32 v20, 15, v20
	v_lshlrev_b32_e32 v22, v22, v11
	v_sub_u32_e32 v21, 29, v21
	v_and_b32_e32 v22, 7, v22
	v_cmp_eq_u16_e32 vcc, 0, v20
	v_cndmask_b32_e32 v14, v14, v22, vcc
	v_cndmask_b32_e32 v20, v20, v21, vcc
	v_lshlrev_b32_e32 v21, 24, v11
	v_mov_b32_e32 v22, 0x3b800000
	v_lshlrev_b32_e32 v14, 20, v14
	v_and_b32_e32 v21, 0x80000000, v21
	v_lshl_add_u32 v20, v20, 23, v22
	v_or3_b32 v14, v21, v20, v14
.LBB25_40:
	s_or_b64 exec, exec, s[6:7]
	s_nop 0
	v_mfma_f32_16x16x4f32 a[0:3], v10, v14, a[0:3]
	v_lshrrev_b32_e32 v14, 8, v15
	s_movk_i32 s4, 0x7f
	v_cmp_gt_i16_sdwa s[6:7], v14, s4 src0_sel:BYTE_0 src1_sel:DWORD
	s_mov_b64 s[4:5], 0
                                        ; implicit-def: $sgpr10
	s_and_saveexec_b64 s[8:9], s[6:7]
	s_xor_b64 s[6:7], exec, s[8:9]
	s_cbranch_execnz .LBB25_2089
; %bb.41:
	s_or_saveexec_b64 s[6:7], s[6:7]
	v_mov_b32_e32 v10, s10
	s_xor_b64 exec, exec, s[6:7]
	s_cbranch_execnz .LBB25_2092
.LBB25_42:
	s_or_b64 exec, exec, s[6:7]
	s_and_saveexec_b64 s[6:7], s[4:5]
	s_cbranch_execz .LBB25_44
.LBB25_43:
	v_bfe_u32 v10, v15, 8, 3
	v_ffbh_u32_e32 v21, v10
	v_min_u32_e32 v21, 32, v21
	v_lshrrev_b16_e32 v20, 3, v14
	v_subrev_u32_e32 v22, 28, v21
	v_and_b32_e32 v20, 15, v20
	v_lshlrev_b32_e32 v14, v22, v14
	v_sub_u32_e32 v21, 29, v21
	v_and_b32_e32 v14, 7, v14
	v_cmp_eq_u16_e32 vcc, 0, v20
	v_cndmask_b32_e32 v10, v10, v14, vcc
	v_cndmask_b32_e32 v14, v20, v21, vcc
	v_lshlrev_b32_e32 v20, 16, v15
	v_mov_b32_e32 v21, 0x3b800000
	v_lshlrev_b32_e32 v10, 20, v10
	v_and_b32_e32 v20, 0x80000000, v20
	v_lshl_add_u32 v14, v14, 23, v21
	v_or3_b32 v10, v20, v14, v10
.LBB25_44:
	s_or_b64 exec, exec, s[6:7]
	v_lshrrev_b32_e32 v14, 8, v11
	s_movk_i32 s4, 0x7f
	v_cmp_gt_i16_sdwa s[6:7], v14, s4 src0_sel:BYTE_0 src1_sel:DWORD
	s_mov_b64 s[4:5], 0
                                        ; implicit-def: $sgpr10
	s_and_saveexec_b64 s[8:9], s[6:7]
	s_xor_b64 s[6:7], exec, s[8:9]
	s_cbranch_execnz .LBB25_2093
; %bb.45:
	s_or_saveexec_b64 s[6:7], s[6:7]
	v_mov_b32_e32 v20, s10
	s_xor_b64 exec, exec, s[6:7]
	s_cbranch_execnz .LBB25_2096
.LBB25_46:
	s_or_b64 exec, exec, s[6:7]
	s_and_saveexec_b64 s[6:7], s[4:5]
	s_cbranch_execz .LBB25_48
.LBB25_47:
	v_bfe_u32 v20, v11, 8, 3
	v_ffbh_u32_e32 v22, v20
	v_min_u32_e32 v22, 32, v22
	v_lshrrev_b16_e32 v21, 3, v14
	v_subrev_u32_e32 v23, 28, v22
	v_and_b32_e32 v21, 15, v21
	v_lshlrev_b32_e32 v14, v23, v14
	v_sub_u32_e32 v22, 29, v22
	v_and_b32_e32 v14, 7, v14
	v_cmp_eq_u16_e32 vcc, 0, v21
	v_cndmask_b32_e32 v14, v20, v14, vcc
	v_cndmask_b32_e32 v20, v21, v22, vcc
	v_lshlrev_b32_e32 v21, 16, v11
	v_mov_b32_e32 v22, 0x3b800000
	v_lshlrev_b32_e32 v14, 20, v14
	v_and_b32_e32 v21, 0x80000000, v21
	v_lshl_add_u32 v20, v20, 23, v22
	v_or3_b32 v20, v21, v20, v14
.LBB25_48:
	s_or_b64 exec, exec, s[6:7]
	s_nop 0
	v_mfma_f32_16x16x4f32 a[0:3], v10, v20, a[0:3]
	s_movk_i32 s4, 0xff
	v_and_b32_sdwa v14, v15, s4 dst_sel:DWORD dst_unused:UNUSED_PAD src0_sel:WORD_1 src1_sel:DWORD
	s_movk_i32 s4, 0x7f
	v_cmp_lt_i16_e32 vcc, s4, v14
	s_mov_b64 s[4:5], 0
                                        ; implicit-def: $sgpr10
	s_and_saveexec_b64 s[6:7], vcc
	s_xor_b64 s[6:7], exec, s[6:7]
	s_cbranch_execnz .LBB25_2097
; %bb.49:
	s_or_saveexec_b64 s[6:7], s[6:7]
	v_mov_b32_e32 v10, s10
	s_xor_b64 exec, exec, s[6:7]
	s_cbranch_execnz .LBB25_2100
.LBB25_50:
	s_or_b64 exec, exec, s[6:7]
	s_and_saveexec_b64 s[6:7], s[4:5]
	s_cbranch_execz .LBB25_52
.LBB25_51:
	v_bfe_u32 v10, v15, 16, 3
	v_ffbh_u32_e32 v21, v10
	v_min_u32_e32 v21, 32, v21
	v_lshrrev_b32_e32 v14, 19, v15
	v_subrev_u32_e32 v22, 28, v21
	v_and_b32_e32 v14, 15, v14
	v_lshlrev_b32_sdwa v22, v22, v15 dst_sel:DWORD dst_unused:UNUSED_PAD src0_sel:DWORD src1_sel:WORD_1
	v_bfe_u32 v20, v15, 19, 4
	v_sub_u32_e32 v21, 29, v21
	v_and_b32_e32 v22, 7, v22
	v_cmp_eq_u16_e32 vcc, 0, v14
	v_cndmask_b32_e32 v10, v10, v22, vcc
	v_cndmask_b32_e32 v14, v20, v21, vcc
	v_lshlrev_b32_e32 v20, 8, v15
	v_mov_b32_e32 v21, 0x3b800000
	v_lshlrev_b32_e32 v10, 20, v10
	v_and_b32_e32 v20, 0x80000000, v20
	v_lshl_add_u32 v14, v14, 23, v21
	v_or3_b32 v10, v20, v14, v10
.LBB25_52:
	s_or_b64 exec, exec, s[6:7]
	s_movk_i32 s4, 0xff
	v_and_b32_sdwa v14, v11, s4 dst_sel:DWORD dst_unused:UNUSED_PAD src0_sel:WORD_1 src1_sel:DWORD
	s_movk_i32 s4, 0x7f
	v_cmp_lt_i16_e32 vcc, s4, v14
	s_mov_b64 s[4:5], 0
                                        ; implicit-def: $sgpr10
	s_and_saveexec_b64 s[6:7], vcc
	s_xor_b64 s[6:7], exec, s[6:7]
	s_cbranch_execnz .LBB25_2101
; %bb.53:
	s_or_saveexec_b64 s[6:7], s[6:7]
	v_mov_b32_e32 v20, s10
	s_xor_b64 exec, exec, s[6:7]
	s_cbranch_execnz .LBB25_2104
.LBB25_54:
	s_or_b64 exec, exec, s[6:7]
	s_and_saveexec_b64 s[6:7], s[4:5]
	s_cbranch_execz .LBB25_56
.LBB25_55:
	v_bfe_u32 v14, v11, 16, 3
	v_ffbh_u32_e32 v22, v14
	v_min_u32_e32 v22, 32, v22
	v_lshrrev_b32_e32 v20, 19, v11
	v_subrev_u32_e32 v23, 28, v22
	v_and_b32_e32 v20, 15, v20
	v_lshlrev_b32_sdwa v23, v23, v11 dst_sel:DWORD dst_unused:UNUSED_PAD src0_sel:DWORD src1_sel:WORD_1
	v_bfe_u32 v21, v11, 19, 4
	v_sub_u32_e32 v22, 29, v22
	v_and_b32_e32 v23, 7, v23
	v_cmp_eq_u16_e32 vcc, 0, v20
	v_cndmask_b32_e32 v14, v14, v23, vcc
	v_cndmask_b32_e32 v20, v21, v22, vcc
	v_lshlrev_b32_e32 v21, 8, v11
	v_mov_b32_e32 v22, 0x3b800000
	v_lshlrev_b32_e32 v14, 20, v14
	v_and_b32_e32 v21, 0x80000000, v21
	v_lshl_add_u32 v20, v20, 23, v22
	v_or3_b32 v20, v21, v20, v14
.LBB25_56:
	s_or_b64 exec, exec, s[6:7]
	s_nop 0
	v_mfma_f32_16x16x4f32 a[0:3], v10, v20, a[0:3]
	s_movk_i32 s4, 0x7f
	v_cmp_gt_i16_sdwa s[6:7], v15, s4 src0_sel:BYTE_3 src1_sel:DWORD
	s_mov_b64 s[4:5], 0
                                        ; implicit-def: $sgpr10
	s_and_saveexec_b64 s[8:9], s[6:7]
	s_xor_b64 s[6:7], exec, s[8:9]
	s_cbranch_execnz .LBB25_2105
; %bb.57:
	s_or_saveexec_b64 s[6:7], s[6:7]
	v_mov_b32_e32 v10, s10
	s_xor_b64 exec, exec, s[6:7]
	s_cbranch_execnz .LBB25_2108
.LBB25_58:
	s_or_b64 exec, exec, s[6:7]
	s_and_saveexec_b64 s[6:7], s[4:5]
	s_cbranch_execz .LBB25_60
.LBB25_59:
	v_bfe_u32 v10, v15, 24, 3
	v_ffbh_u32_e32 v22, v10
	v_min_u32_e32 v22, 32, v22
	v_lshrrev_b32_e32 v20, 27, v15
	v_subrev_u32_e32 v23, 28, v22
	v_and_b32_e32 v14, 0x80000000, v15
	v_and_b32_e32 v20, 15, v20
	v_bfe_u32 v21, v15, 27, 4
	v_lshlrev_b32_sdwa v15, v23, v15 dst_sel:DWORD dst_unused:UNUSED_PAD src0_sel:DWORD src1_sel:BYTE_3
	v_sub_u32_e32 v22, 29, v22
	v_and_b32_e32 v15, 7, v15
	v_cmp_eq_u16_e32 vcc, 0, v20
	v_cndmask_b32_e32 v10, v10, v15, vcc
	v_cndmask_b32_e32 v15, v21, v22, vcc
	v_mov_b32_e32 v20, 0x3b800000
	v_lshlrev_b32_e32 v10, 20, v10
	v_lshl_add_u32 v15, v15, 23, v20
	v_or3_b32 v10, v14, v15, v10
.LBB25_60:
	s_or_b64 exec, exec, s[6:7]
	s_movk_i32 s4, 0x7f
	v_cmp_gt_i16_sdwa s[6:7], v11, s4 src0_sel:BYTE_3 src1_sel:DWORD
	s_mov_b64 s[4:5], 0
                                        ; implicit-def: $sgpr10
	s_and_saveexec_b64 s[8:9], s[6:7]
	s_xor_b64 s[6:7], exec, s[8:9]
	s_cbranch_execnz .LBB25_2109
; %bb.61:
	s_or_saveexec_b64 s[6:7], s[6:7]
	v_mov_b32_e32 v14, s10
	s_xor_b64 exec, exec, s[6:7]
	s_cbranch_execnz .LBB25_2112
.LBB25_62:
	s_or_b64 exec, exec, s[6:7]
	s_and_saveexec_b64 s[6:7], s[4:5]
	s_cbranch_execz .LBB25_64
.LBB25_63:
	v_bfe_u32 v14, v11, 24, 3
	v_ffbh_u32_e32 v22, v14
	v_min_u32_e32 v22, 32, v22
	v_lshrrev_b32_e32 v20, 27, v11
	v_subrev_u32_e32 v23, 28, v22
	v_and_b32_e32 v15, 0x80000000, v11
	v_and_b32_e32 v20, 15, v20
	v_bfe_u32 v21, v11, 27, 4
	v_lshlrev_b32_sdwa v11, v23, v11 dst_sel:DWORD dst_unused:UNUSED_PAD src0_sel:DWORD src1_sel:BYTE_3
	v_sub_u32_e32 v22, 29, v22
	v_and_b32_e32 v11, 7, v11
	v_cmp_eq_u16_e32 vcc, 0, v20
	v_cndmask_b32_e32 v11, v14, v11, vcc
	v_cndmask_b32_e32 v14, v21, v22, vcc
	v_mov_b32_e32 v20, 0x3b800000
	v_lshlrev_b32_e32 v11, 20, v11
	v_lshl_add_u32 v14, v14, 23, v20
	v_or3_b32 v14, v15, v14, v11
.LBB25_64:
	s_or_b64 exec, exec, s[6:7]
	s_nop 0
	v_mfma_f32_16x16x4f32 a[0:3], v10, v14, a[0:3]
	s_movk_i32 s4, 0x7f
	v_cmp_gt_i16_sdwa s[6:7], v16, s4 src0_sel:BYTE_0 src1_sel:DWORD
	s_mov_b64 s[4:5], 0
                                        ; implicit-def: $sgpr10
	s_and_saveexec_b64 s[8:9], s[6:7]
	s_xor_b64 s[6:7], exec, s[8:9]
	s_cbranch_execnz .LBB25_2113
; %bb.65:
	s_or_saveexec_b64 s[6:7], s[6:7]
	v_mov_b32_e32 v10, s10
	s_xor_b64 exec, exec, s[6:7]
	s_cbranch_execnz .LBB25_2116
.LBB25_66:
	s_or_b64 exec, exec, s[6:7]
	s_and_saveexec_b64 s[6:7], s[4:5]
	s_cbranch_execz .LBB25_68
.LBB25_67:
	v_and_b32_e32 v10, 7, v16
	v_ffbh_u32_e32 v14, v10
	v_min_u32_e32 v14, 32, v14
	v_lshrrev_b16_e32 v11, 3, v16
	v_subrev_u32_e32 v15, 28, v14
	v_and_b32_e32 v11, 15, v11
	v_lshlrev_b32_e32 v15, v15, v16
	v_sub_u32_e32 v14, 29, v14
	v_and_b32_e32 v15, 7, v15
	v_cmp_eq_u16_e32 vcc, 0, v11
	v_cndmask_b32_e32 v10, v10, v15, vcc
	v_cndmask_b32_e32 v11, v11, v14, vcc
	v_lshlrev_b32_e32 v14, 24, v16
	v_mov_b32_e32 v15, 0x3b800000
	v_lshlrev_b32_e32 v10, 20, v10
	v_and_b32_e32 v14, 0x80000000, v14
	v_lshl_add_u32 v11, v11, 23, v15
	v_or3_b32 v10, v14, v11, v10
.LBB25_68:
	s_or_b64 exec, exec, s[6:7]
	s_movk_i32 s4, 0x7f
	v_cmp_gt_i16_sdwa s[6:7], v12, s4 src0_sel:BYTE_0 src1_sel:DWORD
	s_mov_b64 s[4:5], 0
                                        ; implicit-def: $sgpr10
	s_and_saveexec_b64 s[8:9], s[6:7]
	s_xor_b64 s[6:7], exec, s[8:9]
	s_cbranch_execnz .LBB25_2117
; %bb.69:
	s_or_saveexec_b64 s[6:7], s[6:7]
	v_mov_b32_e32 v11, s10
	s_xor_b64 exec, exec, s[6:7]
	s_cbranch_execnz .LBB25_2120
.LBB25_70:
	s_or_b64 exec, exec, s[6:7]
	s_and_saveexec_b64 s[6:7], s[4:5]
	s_cbranch_execz .LBB25_72
.LBB25_71:
	v_and_b32_e32 v11, 7, v12
	v_ffbh_u32_e32 v15, v11
	v_min_u32_e32 v15, 32, v15
	v_lshrrev_b16_e32 v14, 3, v12
	v_subrev_u32_e32 v20, 28, v15
	v_and_b32_e32 v14, 15, v14
	v_lshlrev_b32_e32 v20, v20, v12
	v_sub_u32_e32 v15, 29, v15
	v_and_b32_e32 v20, 7, v20
	v_cmp_eq_u16_e32 vcc, 0, v14
	v_cndmask_b32_e32 v11, v11, v20, vcc
	v_cndmask_b32_e32 v14, v14, v15, vcc
	v_lshlrev_b32_e32 v15, 24, v12
	v_mov_b32_e32 v20, 0x3b800000
	v_lshlrev_b32_e32 v11, 20, v11
	v_and_b32_e32 v15, 0x80000000, v15
	v_lshl_add_u32 v14, v14, 23, v20
	v_or3_b32 v11, v15, v14, v11
.LBB25_72:
	s_or_b64 exec, exec, s[6:7]
	s_nop 0
	v_mfma_f32_16x16x4f32 a[0:3], v10, v11, a[0:3]
	v_lshrrev_b32_e32 v11, 8, v16
	s_movk_i32 s4, 0x7f
	v_cmp_gt_i16_sdwa s[6:7], v11, s4 src0_sel:BYTE_0 src1_sel:DWORD
	s_mov_b64 s[4:5], 0
                                        ; implicit-def: $sgpr10
	s_and_saveexec_b64 s[8:9], s[6:7]
	s_xor_b64 s[6:7], exec, s[8:9]
	s_cbranch_execnz .LBB25_2121
; %bb.73:
	s_or_saveexec_b64 s[6:7], s[6:7]
	v_mov_b32_e32 v10, s10
	s_xor_b64 exec, exec, s[6:7]
	s_cbranch_execnz .LBB25_2124
.LBB25_74:
	s_or_b64 exec, exec, s[6:7]
	s_and_saveexec_b64 s[6:7], s[4:5]
	s_cbranch_execz .LBB25_76
.LBB25_75:
	v_bfe_u32 v10, v16, 8, 3
	v_ffbh_u32_e32 v15, v10
	v_min_u32_e32 v15, 32, v15
	v_lshrrev_b16_e32 v14, 3, v11
	v_subrev_u32_e32 v20, 28, v15
	v_and_b32_e32 v14, 15, v14
	v_lshlrev_b32_e32 v11, v20, v11
	v_sub_u32_e32 v15, 29, v15
	v_and_b32_e32 v11, 7, v11
	v_cmp_eq_u16_e32 vcc, 0, v14
	v_cndmask_b32_e32 v10, v10, v11, vcc
	v_cndmask_b32_e32 v11, v14, v15, vcc
	v_lshlrev_b32_e32 v14, 16, v16
	v_mov_b32_e32 v15, 0x3b800000
	v_lshlrev_b32_e32 v10, 20, v10
	v_and_b32_e32 v14, 0x80000000, v14
	v_lshl_add_u32 v11, v11, 23, v15
	v_or3_b32 v10, v14, v11, v10
.LBB25_76:
	s_or_b64 exec, exec, s[6:7]
	v_lshrrev_b32_e32 v11, 8, v12
	s_movk_i32 s4, 0x7f
	v_cmp_gt_i16_sdwa s[6:7], v11, s4 src0_sel:BYTE_0 src1_sel:DWORD
	s_mov_b64 s[4:5], 0
                                        ; implicit-def: $sgpr10
	s_and_saveexec_b64 s[8:9], s[6:7]
	s_xor_b64 s[6:7], exec, s[8:9]
	s_cbranch_execnz .LBB25_2125
; %bb.77:
	s_or_saveexec_b64 s[6:7], s[6:7]
	v_mov_b32_e32 v14, s10
	s_xor_b64 exec, exec, s[6:7]
	s_cbranch_execnz .LBB25_2128
.LBB25_78:
	s_or_b64 exec, exec, s[6:7]
	s_and_saveexec_b64 s[6:7], s[4:5]
	s_cbranch_execz .LBB25_80
.LBB25_79:
	v_bfe_u32 v14, v12, 8, 3
	v_ffbh_u32_e32 v20, v14
	v_min_u32_e32 v20, 32, v20
	v_lshrrev_b16_e32 v15, 3, v11
	v_subrev_u32_e32 v21, 28, v20
	v_and_b32_e32 v15, 15, v15
	v_lshlrev_b32_e32 v11, v21, v11
	v_sub_u32_e32 v20, 29, v20
	v_and_b32_e32 v11, 7, v11
	v_cmp_eq_u16_e32 vcc, 0, v15
	v_cndmask_b32_e32 v11, v14, v11, vcc
	v_cndmask_b32_e32 v14, v15, v20, vcc
	v_lshlrev_b32_e32 v15, 16, v12
	v_mov_b32_e32 v20, 0x3b800000
	v_lshlrev_b32_e32 v11, 20, v11
	v_and_b32_e32 v15, 0x80000000, v15
	v_lshl_add_u32 v14, v14, 23, v20
	v_or3_b32 v14, v15, v14, v11
.LBB25_80:
	s_or_b64 exec, exec, s[6:7]
	s_nop 0
	v_mfma_f32_16x16x4f32 a[0:3], v10, v14, a[0:3]
	s_movk_i32 s4, 0xff
	v_and_b32_sdwa v11, v16, s4 dst_sel:DWORD dst_unused:UNUSED_PAD src0_sel:WORD_1 src1_sel:DWORD
	s_movk_i32 s4, 0x7f
	v_cmp_lt_i16_e32 vcc, s4, v11
	s_mov_b64 s[4:5], 0
                                        ; implicit-def: $sgpr10
	s_and_saveexec_b64 s[6:7], vcc
	s_xor_b64 s[6:7], exec, s[6:7]
	s_cbranch_execnz .LBB25_2129
; %bb.81:
	s_or_saveexec_b64 s[6:7], s[6:7]
	v_mov_b32_e32 v10, s10
	s_xor_b64 exec, exec, s[6:7]
	s_cbranch_execnz .LBB25_2132
.LBB25_82:
	s_or_b64 exec, exec, s[6:7]
	s_and_saveexec_b64 s[6:7], s[4:5]
	s_cbranch_execz .LBB25_84
.LBB25_83:
	v_bfe_u32 v10, v16, 16, 3
	v_ffbh_u32_e32 v15, v10
	v_min_u32_e32 v15, 32, v15
	v_lshrrev_b32_e32 v11, 19, v16
	v_subrev_u32_e32 v20, 28, v15
	v_and_b32_e32 v11, 15, v11
	v_lshlrev_b32_sdwa v20, v20, v16 dst_sel:DWORD dst_unused:UNUSED_PAD src0_sel:DWORD src1_sel:WORD_1
	v_bfe_u32 v14, v16, 19, 4
	v_sub_u32_e32 v15, 29, v15
	v_and_b32_e32 v20, 7, v20
	v_cmp_eq_u16_e32 vcc, 0, v11
	v_cndmask_b32_e32 v10, v10, v20, vcc
	v_cndmask_b32_e32 v11, v14, v15, vcc
	v_lshlrev_b32_e32 v14, 8, v16
	v_mov_b32_e32 v15, 0x3b800000
	v_lshlrev_b32_e32 v10, 20, v10
	v_and_b32_e32 v14, 0x80000000, v14
	v_lshl_add_u32 v11, v11, 23, v15
	v_or3_b32 v10, v14, v11, v10
.LBB25_84:
	s_or_b64 exec, exec, s[6:7]
	s_movk_i32 s4, 0xff
	v_and_b32_sdwa v11, v12, s4 dst_sel:DWORD dst_unused:UNUSED_PAD src0_sel:WORD_1 src1_sel:DWORD
	s_movk_i32 s4, 0x7f
	v_cmp_lt_i16_e32 vcc, s4, v11
	s_mov_b64 s[4:5], 0
                                        ; implicit-def: $sgpr10
	s_and_saveexec_b64 s[6:7], vcc
	s_xor_b64 s[6:7], exec, s[6:7]
	s_cbranch_execnz .LBB25_2133
; %bb.85:
	s_or_saveexec_b64 s[6:7], s[6:7]
	v_mov_b32_e32 v14, s10
	s_xor_b64 exec, exec, s[6:7]
	s_cbranch_execnz .LBB25_2136
.LBB25_86:
	s_or_b64 exec, exec, s[6:7]
	s_and_saveexec_b64 s[6:7], s[4:5]
	s_cbranch_execz .LBB25_88
.LBB25_87:
	v_bfe_u32 v11, v12, 16, 3
	v_ffbh_u32_e32 v20, v11
	v_min_u32_e32 v20, 32, v20
	v_lshrrev_b32_e32 v14, 19, v12
	v_subrev_u32_e32 v21, 28, v20
	v_and_b32_e32 v14, 15, v14
	v_lshlrev_b32_sdwa v21, v21, v12 dst_sel:DWORD dst_unused:UNUSED_PAD src0_sel:DWORD src1_sel:WORD_1
	v_bfe_u32 v15, v12, 19, 4
	v_sub_u32_e32 v20, 29, v20
	v_and_b32_e32 v21, 7, v21
	v_cmp_eq_u16_e32 vcc, 0, v14
	v_cndmask_b32_e32 v11, v11, v21, vcc
	v_cndmask_b32_e32 v14, v15, v20, vcc
	v_lshlrev_b32_e32 v15, 8, v12
	v_mov_b32_e32 v20, 0x3b800000
	v_lshlrev_b32_e32 v11, 20, v11
	v_and_b32_e32 v15, 0x80000000, v15
	v_lshl_add_u32 v14, v14, 23, v20
	v_or3_b32 v14, v15, v14, v11
.LBB25_88:
	s_or_b64 exec, exec, s[6:7]
	s_nop 0
	v_mfma_f32_16x16x4f32 a[0:3], v10, v14, a[0:3]
	s_movk_i32 s4, 0x7f
	v_cmp_gt_i16_sdwa s[6:7], v16, s4 src0_sel:BYTE_3 src1_sel:DWORD
	s_mov_b64 s[4:5], 0
                                        ; implicit-def: $sgpr10
	s_and_saveexec_b64 s[8:9], s[6:7]
	s_xor_b64 s[6:7], exec, s[8:9]
	s_cbranch_execnz .LBB25_2137
; %bb.89:
	s_or_saveexec_b64 s[6:7], s[6:7]
	v_mov_b32_e32 v10, s10
	s_xor_b64 exec, exec, s[6:7]
	s_cbranch_execnz .LBB25_2140
.LBB25_90:
	s_or_b64 exec, exec, s[6:7]
	s_and_saveexec_b64 s[6:7], s[4:5]
	s_cbranch_execz .LBB25_92
.LBB25_91:
	v_bfe_u32 v10, v16, 24, 3
	v_ffbh_u32_e32 v20, v10
	v_min_u32_e32 v20, 32, v20
	v_lshrrev_b32_e32 v14, 27, v16
	v_subrev_u32_e32 v21, 28, v20
	v_and_b32_e32 v11, 0x80000000, v16
	v_and_b32_e32 v14, 15, v14
	v_bfe_u32 v15, v16, 27, 4
	v_lshlrev_b32_sdwa v16, v21, v16 dst_sel:DWORD dst_unused:UNUSED_PAD src0_sel:DWORD src1_sel:BYTE_3
	v_sub_u32_e32 v20, 29, v20
	v_and_b32_e32 v16, 7, v16
	v_cmp_eq_u16_e32 vcc, 0, v14
	v_cndmask_b32_e32 v10, v10, v16, vcc
	v_cndmask_b32_e32 v14, v15, v20, vcc
	v_mov_b32_e32 v15, 0x3b800000
	v_lshlrev_b32_e32 v10, 20, v10
	v_lshl_add_u32 v14, v14, 23, v15
	v_or3_b32 v10, v11, v14, v10
.LBB25_92:
	s_or_b64 exec, exec, s[6:7]
	s_movk_i32 s4, 0x7f
	v_cmp_gt_i16_sdwa s[6:7], v12, s4 src0_sel:BYTE_3 src1_sel:DWORD
	s_mov_b64 s[4:5], 0
                                        ; implicit-def: $sgpr10
	s_and_saveexec_b64 s[8:9], s[6:7]
	s_xor_b64 s[6:7], exec, s[8:9]
	s_cbranch_execnz .LBB25_2141
; %bb.93:
	s_or_saveexec_b64 s[6:7], s[6:7]
	v_mov_b32_e32 v11, s10
	s_xor_b64 exec, exec, s[6:7]
	s_cbranch_execnz .LBB25_2144
.LBB25_94:
	s_or_b64 exec, exec, s[6:7]
	s_and_saveexec_b64 s[6:7], s[4:5]
	s_cbranch_execz .LBB25_96
.LBB25_95:
	v_bfe_u32 v11, v12, 24, 3
	v_ffbh_u32_e32 v20, v11
	v_min_u32_e32 v20, 32, v20
	v_lshrrev_b32_e32 v15, 27, v12
	v_subrev_u32_e32 v21, 28, v20
	v_and_b32_e32 v14, 0x80000000, v12
	v_and_b32_e32 v15, 15, v15
	v_bfe_u32 v16, v12, 27, 4
	v_lshlrev_b32_sdwa v12, v21, v12 dst_sel:DWORD dst_unused:UNUSED_PAD src0_sel:DWORD src1_sel:BYTE_3
	v_sub_u32_e32 v20, 29, v20
	v_and_b32_e32 v12, 7, v12
	v_cmp_eq_u16_e32 vcc, 0, v15
	v_cndmask_b32_e32 v11, v11, v12, vcc
	v_cndmask_b32_e32 v12, v16, v20, vcc
	v_mov_b32_e32 v15, 0x3b800000
	v_lshlrev_b32_e32 v11, 20, v11
	v_lshl_add_u32 v12, v12, 23, v15
	v_or3_b32 v11, v14, v12, v11
.LBB25_96:
	s_or_b64 exec, exec, s[6:7]
	s_nop 0
	v_mfma_f32_16x16x4f32 a[0:3], v10, v11, a[0:3]
	s_movk_i32 s4, 0x7f
	v_cmp_gt_i16_sdwa s[6:7], v17, s4 src0_sel:BYTE_0 src1_sel:DWORD
	s_mov_b64 s[4:5], 0
                                        ; implicit-def: $sgpr10
	s_and_saveexec_b64 s[8:9], s[6:7]
	s_xor_b64 s[6:7], exec, s[8:9]
	s_cbranch_execnz .LBB25_2145
; %bb.97:
	s_or_saveexec_b64 s[6:7], s[6:7]
	v_mov_b32_e32 v10, s10
	s_xor_b64 exec, exec, s[6:7]
	s_cbranch_execnz .LBB25_2148
.LBB25_98:
	s_or_b64 exec, exec, s[6:7]
	s_and_saveexec_b64 s[6:7], s[4:5]
	s_cbranch_execz .LBB25_100
.LBB25_99:
	v_and_b32_e32 v10, 7, v17
	v_ffbh_u32_e32 v12, v10
	v_min_u32_e32 v12, 32, v12
	v_lshrrev_b16_e32 v11, 3, v17
	v_subrev_u32_e32 v14, 28, v12
	v_and_b32_e32 v11, 15, v11
	v_lshlrev_b32_e32 v14, v14, v17
	v_sub_u32_e32 v12, 29, v12
	v_and_b32_e32 v14, 7, v14
	v_cmp_eq_u16_e32 vcc, 0, v11
	v_cndmask_b32_e32 v10, v10, v14, vcc
	v_cndmask_b32_e32 v11, v11, v12, vcc
	v_lshlrev_b32_e32 v12, 24, v17
	v_mov_b32_e32 v14, 0x3b800000
	v_lshlrev_b32_e32 v10, 20, v10
	v_and_b32_e32 v12, 0x80000000, v12
	v_lshl_add_u32 v11, v11, 23, v14
	v_or3_b32 v10, v12, v11, v10
.LBB25_100:
	s_or_b64 exec, exec, s[6:7]
	s_movk_i32 s4, 0x7f
	v_cmp_gt_i16_sdwa s[6:7], v13, s4 src0_sel:BYTE_0 src1_sel:DWORD
	s_mov_b64 s[4:5], 0
                                        ; implicit-def: $sgpr10
	s_and_saveexec_b64 s[8:9], s[6:7]
	s_xor_b64 s[6:7], exec, s[8:9]
	s_cbranch_execnz .LBB25_2149
; %bb.101:
	s_or_saveexec_b64 s[6:7], s[6:7]
	v_mov_b32_e32 v11, s10
	s_xor_b64 exec, exec, s[6:7]
	s_cbranch_execnz .LBB25_2152
.LBB25_102:
	s_or_b64 exec, exec, s[6:7]
	s_and_saveexec_b64 s[6:7], s[4:5]
	s_cbranch_execz .LBB25_104
.LBB25_103:
	v_and_b32_e32 v11, 7, v13
	v_ffbh_u32_e32 v14, v11
	v_min_u32_e32 v14, 32, v14
	v_lshrrev_b16_e32 v12, 3, v13
	v_subrev_u32_e32 v15, 28, v14
	v_and_b32_e32 v12, 15, v12
	v_lshlrev_b32_e32 v15, v15, v13
	v_sub_u32_e32 v14, 29, v14
	v_and_b32_e32 v15, 7, v15
	v_cmp_eq_u16_e32 vcc, 0, v12
	v_cndmask_b32_e32 v11, v11, v15, vcc
	v_cndmask_b32_e32 v12, v12, v14, vcc
	v_lshlrev_b32_e32 v14, 24, v13
	v_mov_b32_e32 v15, 0x3b800000
	v_lshlrev_b32_e32 v11, 20, v11
	v_and_b32_e32 v14, 0x80000000, v14
	v_lshl_add_u32 v12, v12, 23, v15
	v_or3_b32 v11, v14, v12, v11
.LBB25_104:
	s_or_b64 exec, exec, s[6:7]
	s_nop 0
	v_mfma_f32_16x16x4f32 a[0:3], v10, v11, a[0:3]
	v_lshrrev_b32_e32 v11, 8, v17
	s_movk_i32 s4, 0x7f
	v_cmp_gt_i16_sdwa s[6:7], v11, s4 src0_sel:BYTE_0 src1_sel:DWORD
	s_mov_b64 s[4:5], 0
                                        ; implicit-def: $sgpr10
	s_and_saveexec_b64 s[8:9], s[6:7]
	s_xor_b64 s[6:7], exec, s[8:9]
	s_cbranch_execnz .LBB25_2153
; %bb.105:
	s_or_saveexec_b64 s[6:7], s[6:7]
	v_mov_b32_e32 v10, s10
	s_xor_b64 exec, exec, s[6:7]
	s_cbranch_execnz .LBB25_2156
.LBB25_106:
	s_or_b64 exec, exec, s[6:7]
	s_and_saveexec_b64 s[6:7], s[4:5]
	s_cbranch_execz .LBB25_108
.LBB25_107:
	v_bfe_u32 v10, v17, 8, 3
	v_ffbh_u32_e32 v14, v10
	v_min_u32_e32 v14, 32, v14
	v_lshrrev_b16_e32 v12, 3, v11
	v_subrev_u32_e32 v15, 28, v14
	v_and_b32_e32 v12, 15, v12
	v_lshlrev_b32_e32 v11, v15, v11
	v_sub_u32_e32 v14, 29, v14
	v_and_b32_e32 v11, 7, v11
	v_cmp_eq_u16_e32 vcc, 0, v12
	v_cndmask_b32_e32 v10, v10, v11, vcc
	v_cndmask_b32_e32 v11, v12, v14, vcc
	v_lshlrev_b32_e32 v12, 16, v17
	v_mov_b32_e32 v14, 0x3b800000
	v_lshlrev_b32_e32 v10, 20, v10
	v_and_b32_e32 v12, 0x80000000, v12
	v_lshl_add_u32 v11, v11, 23, v14
	v_or3_b32 v10, v12, v11, v10
.LBB25_108:
	s_or_b64 exec, exec, s[6:7]
	v_lshrrev_b32_e32 v11, 8, v13
	s_movk_i32 s4, 0x7f
	v_cmp_gt_i16_sdwa s[6:7], v11, s4 src0_sel:BYTE_0 src1_sel:DWORD
	s_mov_b64 s[4:5], 0
                                        ; implicit-def: $sgpr10
	s_and_saveexec_b64 s[8:9], s[6:7]
	s_xor_b64 s[6:7], exec, s[8:9]
	s_cbranch_execnz .LBB25_2157
; %bb.109:
	s_or_saveexec_b64 s[6:7], s[6:7]
	v_mov_b32_e32 v12, s10
	s_xor_b64 exec, exec, s[6:7]
	s_cbranch_execnz .LBB25_2160
.LBB25_110:
	s_or_b64 exec, exec, s[6:7]
	s_and_saveexec_b64 s[6:7], s[4:5]
	s_cbranch_execz .LBB25_112
.LBB25_111:
	v_bfe_u32 v12, v13, 8, 3
	v_ffbh_u32_e32 v15, v12
	v_min_u32_e32 v15, 32, v15
	v_lshrrev_b16_e32 v14, 3, v11
	v_subrev_u32_e32 v16, 28, v15
	v_and_b32_e32 v14, 15, v14
	v_lshlrev_b32_e32 v11, v16, v11
	v_sub_u32_e32 v15, 29, v15
	v_and_b32_e32 v11, 7, v11
	v_cmp_eq_u16_e32 vcc, 0, v14
	v_cndmask_b32_e32 v11, v12, v11, vcc
	v_cndmask_b32_e32 v12, v14, v15, vcc
	v_lshlrev_b32_e32 v14, 16, v13
	v_mov_b32_e32 v15, 0x3b800000
	v_lshlrev_b32_e32 v11, 20, v11
	v_and_b32_e32 v14, 0x80000000, v14
	v_lshl_add_u32 v12, v12, 23, v15
	v_or3_b32 v12, v14, v12, v11
.LBB25_112:
	s_or_b64 exec, exec, s[6:7]
	s_nop 0
	v_mfma_f32_16x16x4f32 a[0:3], v10, v12, a[0:3]
	s_movk_i32 s4, 0xff
	v_and_b32_sdwa v11, v17, s4 dst_sel:DWORD dst_unused:UNUSED_PAD src0_sel:WORD_1 src1_sel:DWORD
	s_movk_i32 s4, 0x7f
	v_cmp_lt_i16_e32 vcc, s4, v11
	s_mov_b64 s[4:5], 0
                                        ; implicit-def: $sgpr10
	s_and_saveexec_b64 s[6:7], vcc
	s_xor_b64 s[6:7], exec, s[6:7]
	s_cbranch_execnz .LBB25_2161
; %bb.113:
	s_or_saveexec_b64 s[6:7], s[6:7]
	v_mov_b32_e32 v10, s10
	s_xor_b64 exec, exec, s[6:7]
	s_cbranch_execnz .LBB25_2164
.LBB25_114:
	s_or_b64 exec, exec, s[6:7]
	s_and_saveexec_b64 s[6:7], s[4:5]
	s_cbranch_execz .LBB25_116
.LBB25_115:
	v_bfe_u32 v10, v17, 16, 3
	v_ffbh_u32_e32 v14, v10
	v_min_u32_e32 v14, 32, v14
	v_lshrrev_b32_e32 v11, 19, v17
	v_subrev_u32_e32 v15, 28, v14
	v_and_b32_e32 v11, 15, v11
	v_lshlrev_b32_sdwa v15, v15, v17 dst_sel:DWORD dst_unused:UNUSED_PAD src0_sel:DWORD src1_sel:WORD_1
	v_bfe_u32 v12, v17, 19, 4
	v_sub_u32_e32 v14, 29, v14
	v_and_b32_e32 v15, 7, v15
	v_cmp_eq_u16_e32 vcc, 0, v11
	v_cndmask_b32_e32 v10, v10, v15, vcc
	v_cndmask_b32_e32 v11, v12, v14, vcc
	v_lshlrev_b32_e32 v12, 8, v17
	v_mov_b32_e32 v14, 0x3b800000
	v_lshlrev_b32_e32 v10, 20, v10
	v_and_b32_e32 v12, 0x80000000, v12
	v_lshl_add_u32 v11, v11, 23, v14
	v_or3_b32 v10, v12, v11, v10
.LBB25_116:
	s_or_b64 exec, exec, s[6:7]
	s_movk_i32 s4, 0xff
	v_and_b32_sdwa v11, v13, s4 dst_sel:DWORD dst_unused:UNUSED_PAD src0_sel:WORD_1 src1_sel:DWORD
	s_movk_i32 s4, 0x7f
	v_cmp_lt_i16_e32 vcc, s4, v11
	s_mov_b64 s[4:5], 0
                                        ; implicit-def: $sgpr10
	s_and_saveexec_b64 s[6:7], vcc
	s_xor_b64 s[6:7], exec, s[6:7]
	s_cbranch_execnz .LBB25_2165
; %bb.117:
	s_or_saveexec_b64 s[6:7], s[6:7]
	v_mov_b32_e32 v12, s10
	s_xor_b64 exec, exec, s[6:7]
	s_cbranch_execnz .LBB25_2168
.LBB25_118:
	s_or_b64 exec, exec, s[6:7]
	s_and_saveexec_b64 s[6:7], s[4:5]
	s_cbranch_execz .LBB25_120
.LBB25_119:
	v_bfe_u32 v11, v13, 16, 3
	v_ffbh_u32_e32 v15, v11
	v_min_u32_e32 v15, 32, v15
	v_lshrrev_b32_e32 v12, 19, v13
	v_subrev_u32_e32 v16, 28, v15
	v_and_b32_e32 v12, 15, v12
	v_lshlrev_b32_sdwa v16, v16, v13 dst_sel:DWORD dst_unused:UNUSED_PAD src0_sel:DWORD src1_sel:WORD_1
	v_bfe_u32 v14, v13, 19, 4
	v_sub_u32_e32 v15, 29, v15
	v_and_b32_e32 v16, 7, v16
	v_cmp_eq_u16_e32 vcc, 0, v12
	v_cndmask_b32_e32 v11, v11, v16, vcc
	v_cndmask_b32_e32 v12, v14, v15, vcc
	v_lshlrev_b32_e32 v14, 8, v13
	v_mov_b32_e32 v15, 0x3b800000
	v_lshlrev_b32_e32 v11, 20, v11
	v_and_b32_e32 v14, 0x80000000, v14
	v_lshl_add_u32 v12, v12, 23, v15
	v_or3_b32 v12, v14, v12, v11
.LBB25_120:
	s_or_b64 exec, exec, s[6:7]
	s_nop 0
	v_mfma_f32_16x16x4f32 a[0:3], v10, v12, a[0:3]
	s_movk_i32 s4, 0x7f
	v_cmp_gt_i16_sdwa s[6:7], v17, s4 src0_sel:BYTE_3 src1_sel:DWORD
	s_mov_b64 s[4:5], 0
                                        ; implicit-def: $sgpr10
	s_and_saveexec_b64 s[8:9], s[6:7]
	s_xor_b64 s[6:7], exec, s[8:9]
	s_cbranch_execnz .LBB25_2169
; %bb.121:
	s_or_saveexec_b64 s[6:7], s[6:7]
	v_mov_b32_e32 v10, s10
	s_xor_b64 exec, exec, s[6:7]
	s_cbranch_execnz .LBB25_2172
.LBB25_122:
	s_or_b64 exec, exec, s[6:7]
	s_and_saveexec_b64 s[6:7], s[4:5]
	s_cbranch_execz .LBB25_124
.LBB25_123:
	v_bfe_u32 v10, v17, 24, 3
	v_ffbh_u32_e32 v15, v10
	v_min_u32_e32 v15, 32, v15
	v_lshrrev_b32_e32 v12, 27, v17
	v_subrev_u32_e32 v16, 28, v15
	v_and_b32_e32 v12, 15, v12
	v_lshlrev_b32_sdwa v16, v16, v17 dst_sel:DWORD dst_unused:UNUSED_PAD src0_sel:DWORD src1_sel:BYTE_3
	v_bfe_u32 v14, v17, 27, 4
	v_sub_u32_e32 v15, 29, v15
	v_and_b32_e32 v16, 7, v16
	v_cmp_eq_u16_e32 vcc, 0, v12
	v_cndmask_b32_e32 v10, v10, v16, vcc
	v_cndmask_b32_e32 v12, v14, v15, vcc
	v_mov_b32_e32 v14, 0x3b800000
	v_and_b32_e32 v11, 0x80000000, v17
	v_lshlrev_b32_e32 v10, 20, v10
	v_lshl_add_u32 v12, v12, 23, v14
	v_or3_b32 v10, v11, v12, v10
.LBB25_124:
	s_or_b64 exec, exec, s[6:7]
	s_movk_i32 s4, 0x7f
	v_cmp_gt_i16_sdwa s[6:7], v13, s4 src0_sel:BYTE_3 src1_sel:DWORD
	s_mov_b64 s[4:5], 0
                                        ; implicit-def: $sgpr10
	s_and_saveexec_b64 s[8:9], s[6:7]
	s_xor_b64 s[6:7], exec, s[8:9]
	s_cbranch_execnz .LBB25_2173
; %bb.125:
	s_or_saveexec_b64 s[6:7], s[6:7]
	v_mov_b32_e32 v11, s10
	s_xor_b64 exec, exec, s[6:7]
	s_cbranch_execnz .LBB25_2176
.LBB25_126:
	s_or_b64 exec, exec, s[6:7]
	s_and_saveexec_b64 s[6:7], s[4:5]
	s_cbranch_execz .LBB25_128
.LBB25_127:
	v_bfe_u32 v11, v13, 24, 3
	v_ffbh_u32_e32 v16, v11
	v_min_u32_e32 v16, 32, v16
	v_lshrrev_b32_e32 v14, 27, v13
	v_subrev_u32_e32 v17, 28, v16
	v_and_b32_e32 v12, 0x80000000, v13
	v_and_b32_e32 v14, 15, v14
	v_bfe_u32 v15, v13, 27, 4
	v_lshlrev_b32_sdwa v13, v17, v13 dst_sel:DWORD dst_unused:UNUSED_PAD src0_sel:DWORD src1_sel:BYTE_3
	v_sub_u32_e32 v16, 29, v16
	v_and_b32_e32 v13, 7, v13
	v_cmp_eq_u16_e32 vcc, 0, v14
	v_cndmask_b32_e32 v11, v11, v13, vcc
	v_cndmask_b32_e32 v13, v15, v16, vcc
	v_mov_b32_e32 v14, 0x3b800000
	v_lshlrev_b32_e32 v11, 20, v11
	v_lshl_add_u32 v13, v13, 23, v14
	v_or3_b32 v11, v12, v13, v11
.LBB25_128:
	s_or_b64 exec, exec, s[6:7]
	s_nop 0
	v_mfma_f32_16x16x4f32 a[0:3], v10, v11, a[0:3]
	s_movk_i32 s4, 0x7f
	v_cmp_gt_i16_sdwa s[6:7], v6, s4 src0_sel:BYTE_0 src1_sel:DWORD
	s_mov_b64 s[4:5], 0
                                        ; implicit-def: $sgpr10
	s_and_saveexec_b64 s[8:9], s[6:7]
	s_xor_b64 s[6:7], exec, s[8:9]
	s_cbranch_execnz .LBB25_2177
; %bb.129:
	s_or_saveexec_b64 s[6:7], s[6:7]
	v_mov_b32_e32 v10, s10
	s_xor_b64 exec, exec, s[6:7]
	s_cbranch_execnz .LBB25_2180
.LBB25_130:
	s_or_b64 exec, exec, s[6:7]
	s_and_saveexec_b64 s[6:7], s[4:5]
	s_cbranch_execz .LBB25_132
.LBB25_131:
	v_and_b32_e32 v10, 7, v6
	v_ffbh_u32_e32 v12, v10
	v_min_u32_e32 v12, 32, v12
	v_lshrrev_b16_e32 v11, 3, v6
	v_subrev_u32_e32 v13, 28, v12
	v_and_b32_e32 v11, 15, v11
	v_lshlrev_b32_e32 v13, v13, v6
	v_sub_u32_e32 v12, 29, v12
	v_and_b32_e32 v13, 7, v13
	v_cmp_eq_u16_e32 vcc, 0, v11
	v_cndmask_b32_e32 v10, v10, v13, vcc
	v_cndmask_b32_e32 v11, v11, v12, vcc
	v_lshlrev_b32_e32 v12, 24, v6
	v_mov_b32_e32 v13, 0x3b800000
	v_lshlrev_b32_e32 v10, 20, v10
	v_and_b32_e32 v12, 0x80000000, v12
	v_lshl_add_u32 v11, v11, 23, v13
	v_or3_b32 v10, v12, v11, v10
.LBB25_132:
	s_or_b64 exec, exec, s[6:7]
	s_movk_i32 s4, 0x7f
	v_cmp_gt_i16_sdwa s[6:7], v2, s4 src0_sel:BYTE_0 src1_sel:DWORD
	s_mov_b64 s[4:5], 0
                                        ; implicit-def: $sgpr10
	s_and_saveexec_b64 s[8:9], s[6:7]
	s_xor_b64 s[6:7], exec, s[8:9]
	s_cbranch_execnz .LBB25_2181
; %bb.133:
	s_or_saveexec_b64 s[6:7], s[6:7]
	v_mov_b32_e32 v11, s10
	s_xor_b64 exec, exec, s[6:7]
	s_cbranch_execnz .LBB25_2184
.LBB25_134:
	s_or_b64 exec, exec, s[6:7]
	s_and_saveexec_b64 s[6:7], s[4:5]
	s_cbranch_execz .LBB25_136
.LBB25_135:
	v_and_b32_e32 v11, 7, v2
	v_ffbh_u32_e32 v13, v11
	v_min_u32_e32 v13, 32, v13
	v_lshrrev_b16_e32 v12, 3, v2
	v_subrev_u32_e32 v14, 28, v13
	v_and_b32_e32 v12, 15, v12
	v_lshlrev_b32_e32 v14, v14, v2
	v_sub_u32_e32 v13, 29, v13
	v_and_b32_e32 v14, 7, v14
	v_cmp_eq_u16_e32 vcc, 0, v12
	v_cndmask_b32_e32 v11, v11, v14, vcc
	v_cndmask_b32_e32 v12, v12, v13, vcc
	v_lshlrev_b32_e32 v13, 24, v2
	v_mov_b32_e32 v14, 0x3b800000
	v_lshlrev_b32_e32 v11, 20, v11
	v_and_b32_e32 v13, 0x80000000, v13
	v_lshl_add_u32 v12, v12, 23, v14
	v_or3_b32 v11, v13, v12, v11
.LBB25_136:
	s_or_b64 exec, exec, s[6:7]
	s_nop 0
	v_mfma_f32_16x16x4f32 a[0:3], v10, v11, a[0:3]
	v_lshrrev_b32_e32 v11, 8, v6
	s_movk_i32 s4, 0x7f
	v_cmp_gt_i16_sdwa s[6:7], v11, s4 src0_sel:BYTE_0 src1_sel:DWORD
	s_mov_b64 s[4:5], 0
                                        ; implicit-def: $sgpr10
	s_and_saveexec_b64 s[8:9], s[6:7]
	s_xor_b64 s[6:7], exec, s[8:9]
	s_cbranch_execnz .LBB25_2185
; %bb.137:
	s_or_saveexec_b64 s[6:7], s[6:7]
	v_mov_b32_e32 v10, s10
	s_xor_b64 exec, exec, s[6:7]
	s_cbranch_execnz .LBB25_2188
.LBB25_138:
	s_or_b64 exec, exec, s[6:7]
	s_and_saveexec_b64 s[6:7], s[4:5]
	s_cbranch_execz .LBB25_140
.LBB25_139:
	v_bfe_u32 v10, v6, 8, 3
	v_ffbh_u32_e32 v13, v10
	v_min_u32_e32 v13, 32, v13
	v_lshrrev_b16_e32 v12, 3, v11
	v_subrev_u32_e32 v14, 28, v13
	v_and_b32_e32 v12, 15, v12
	v_lshlrev_b32_e32 v11, v14, v11
	v_sub_u32_e32 v13, 29, v13
	v_and_b32_e32 v11, 7, v11
	v_cmp_eq_u16_e32 vcc, 0, v12
	v_cndmask_b32_e32 v10, v10, v11, vcc
	v_cndmask_b32_e32 v11, v12, v13, vcc
	v_lshlrev_b32_e32 v12, 16, v6
	v_mov_b32_e32 v13, 0x3b800000
	v_lshlrev_b32_e32 v10, 20, v10
	v_and_b32_e32 v12, 0x80000000, v12
	v_lshl_add_u32 v11, v11, 23, v13
	v_or3_b32 v10, v12, v11, v10
.LBB25_140:
	s_or_b64 exec, exec, s[6:7]
	v_lshrrev_b32_e32 v11, 8, v2
	s_movk_i32 s4, 0x7f
	v_cmp_gt_i16_sdwa s[6:7], v11, s4 src0_sel:BYTE_0 src1_sel:DWORD
	s_mov_b64 s[4:5], 0
                                        ; implicit-def: $sgpr10
	s_and_saveexec_b64 s[8:9], s[6:7]
	s_xor_b64 s[6:7], exec, s[8:9]
	s_cbranch_execnz .LBB25_2189
; %bb.141:
	s_or_saveexec_b64 s[6:7], s[6:7]
	v_mov_b32_e32 v12, s10
	s_xor_b64 exec, exec, s[6:7]
	s_cbranch_execnz .LBB25_2192
.LBB25_142:
	s_or_b64 exec, exec, s[6:7]
	s_and_saveexec_b64 s[6:7], s[4:5]
	s_cbranch_execz .LBB25_144
.LBB25_143:
	v_bfe_u32 v12, v2, 8, 3
	v_ffbh_u32_e32 v14, v12
	v_min_u32_e32 v14, 32, v14
	v_lshrrev_b16_e32 v13, 3, v11
	v_subrev_u32_e32 v15, 28, v14
	v_and_b32_e32 v13, 15, v13
	v_lshlrev_b32_e32 v11, v15, v11
	v_sub_u32_e32 v14, 29, v14
	v_and_b32_e32 v11, 7, v11
	v_cmp_eq_u16_e32 vcc, 0, v13
	v_cndmask_b32_e32 v11, v12, v11, vcc
	v_cndmask_b32_e32 v12, v13, v14, vcc
	v_lshlrev_b32_e32 v13, 16, v2
	v_mov_b32_e32 v14, 0x3b800000
	v_lshlrev_b32_e32 v11, 20, v11
	v_and_b32_e32 v13, 0x80000000, v13
	v_lshl_add_u32 v12, v12, 23, v14
	v_or3_b32 v12, v13, v12, v11
.LBB25_144:
	s_or_b64 exec, exec, s[6:7]
	s_nop 0
	v_mfma_f32_16x16x4f32 a[0:3], v10, v12, a[0:3]
	s_movk_i32 s4, 0xff
	v_and_b32_sdwa v11, v6, s4 dst_sel:DWORD dst_unused:UNUSED_PAD src0_sel:WORD_1 src1_sel:DWORD
	s_movk_i32 s4, 0x7f
	v_cmp_lt_i16_e32 vcc, s4, v11
	s_mov_b64 s[4:5], 0
                                        ; implicit-def: $sgpr10
	s_and_saveexec_b64 s[6:7], vcc
	s_xor_b64 s[6:7], exec, s[6:7]
	s_cbranch_execnz .LBB25_2193
; %bb.145:
	s_or_saveexec_b64 s[6:7], s[6:7]
	v_mov_b32_e32 v10, s10
	s_xor_b64 exec, exec, s[6:7]
	s_cbranch_execnz .LBB25_2196
.LBB25_146:
	s_or_b64 exec, exec, s[6:7]
	s_and_saveexec_b64 s[6:7], s[4:5]
	s_cbranch_execz .LBB25_148
.LBB25_147:
	v_bfe_u32 v10, v6, 16, 3
	v_ffbh_u32_e32 v13, v10
	v_min_u32_e32 v13, 32, v13
	v_lshrrev_b32_e32 v11, 19, v6
	v_subrev_u32_e32 v14, 28, v13
	v_and_b32_e32 v11, 15, v11
	v_lshlrev_b32_sdwa v14, v14, v6 dst_sel:DWORD dst_unused:UNUSED_PAD src0_sel:DWORD src1_sel:WORD_1
	v_bfe_u32 v12, v6, 19, 4
	v_sub_u32_e32 v13, 29, v13
	v_and_b32_e32 v14, 7, v14
	v_cmp_eq_u16_e32 vcc, 0, v11
	v_cndmask_b32_e32 v10, v10, v14, vcc
	v_cndmask_b32_e32 v11, v12, v13, vcc
	v_lshlrev_b32_e32 v12, 8, v6
	v_mov_b32_e32 v13, 0x3b800000
	v_lshlrev_b32_e32 v10, 20, v10
	v_and_b32_e32 v12, 0x80000000, v12
	v_lshl_add_u32 v11, v11, 23, v13
	v_or3_b32 v10, v12, v11, v10
.LBB25_148:
	s_or_b64 exec, exec, s[6:7]
	s_movk_i32 s4, 0xff
	v_and_b32_sdwa v11, v2, s4 dst_sel:DWORD dst_unused:UNUSED_PAD src0_sel:WORD_1 src1_sel:DWORD
	s_movk_i32 s4, 0x7f
	v_cmp_lt_i16_e32 vcc, s4, v11
	s_mov_b64 s[4:5], 0
                                        ; implicit-def: $sgpr10
	s_and_saveexec_b64 s[6:7], vcc
	s_xor_b64 s[6:7], exec, s[6:7]
	s_cbranch_execnz .LBB25_2197
; %bb.149:
	s_or_saveexec_b64 s[6:7], s[6:7]
	v_mov_b32_e32 v12, s10
	s_xor_b64 exec, exec, s[6:7]
	s_cbranch_execnz .LBB25_2200
.LBB25_150:
	s_or_b64 exec, exec, s[6:7]
	s_and_saveexec_b64 s[6:7], s[4:5]
	s_cbranch_execz .LBB25_152
.LBB25_151:
	v_bfe_u32 v11, v2, 16, 3
	v_ffbh_u32_e32 v14, v11
	v_min_u32_e32 v14, 32, v14
	v_lshrrev_b32_e32 v12, 19, v2
	v_subrev_u32_e32 v15, 28, v14
	v_and_b32_e32 v12, 15, v12
	v_lshlrev_b32_sdwa v15, v15, v2 dst_sel:DWORD dst_unused:UNUSED_PAD src0_sel:DWORD src1_sel:WORD_1
	v_bfe_u32 v13, v2, 19, 4
	v_sub_u32_e32 v14, 29, v14
	v_and_b32_e32 v15, 7, v15
	v_cmp_eq_u16_e32 vcc, 0, v12
	v_cndmask_b32_e32 v11, v11, v15, vcc
	v_cndmask_b32_e32 v12, v13, v14, vcc
	v_lshlrev_b32_e32 v13, 8, v2
	v_mov_b32_e32 v14, 0x3b800000
	v_lshlrev_b32_e32 v11, 20, v11
	v_and_b32_e32 v13, 0x80000000, v13
	v_lshl_add_u32 v12, v12, 23, v14
	v_or3_b32 v12, v13, v12, v11
.LBB25_152:
	s_or_b64 exec, exec, s[6:7]
	s_nop 0
	v_mfma_f32_16x16x4f32 a[0:3], v10, v12, a[0:3]
	s_movk_i32 s4, 0x7f
	v_cmp_gt_i16_sdwa s[6:7], v6, s4 src0_sel:BYTE_3 src1_sel:DWORD
	s_mov_b64 s[4:5], 0
                                        ; implicit-def: $sgpr10
	s_and_saveexec_b64 s[8:9], s[6:7]
	s_xor_b64 s[6:7], exec, s[8:9]
	s_cbranch_execnz .LBB25_2201
; %bb.153:
	s_or_saveexec_b64 s[6:7], s[6:7]
	v_mov_b32_e32 v10, s10
	s_xor_b64 exec, exec, s[6:7]
	s_cbranch_execnz .LBB25_2204
.LBB25_154:
	s_or_b64 exec, exec, s[6:7]
	s_and_saveexec_b64 s[6:7], s[4:5]
	s_cbranch_execz .LBB25_156
.LBB25_155:
	v_bfe_u32 v10, v6, 24, 3
	v_ffbh_u32_e32 v14, v10
	v_min_u32_e32 v14, 32, v14
	v_lshrrev_b32_e32 v12, 27, v6
	v_subrev_u32_e32 v15, 28, v14
	v_and_b32_e32 v11, 0x80000000, v6
	v_and_b32_e32 v12, 15, v12
	v_bfe_u32 v13, v6, 27, 4
	v_lshlrev_b32_sdwa v6, v15, v6 dst_sel:DWORD dst_unused:UNUSED_PAD src0_sel:DWORD src1_sel:BYTE_3
	v_sub_u32_e32 v14, 29, v14
	v_and_b32_e32 v6, 7, v6
	v_cmp_eq_u16_e32 vcc, 0, v12
	v_cndmask_b32_e32 v6, v10, v6, vcc
	v_cndmask_b32_e32 v10, v13, v14, vcc
	v_mov_b32_e32 v12, 0x3b800000
	v_lshlrev_b32_e32 v6, 20, v6
	v_lshl_add_u32 v10, v10, 23, v12
	v_or3_b32 v10, v11, v10, v6
.LBB25_156:
	s_or_b64 exec, exec, s[6:7]
	s_movk_i32 s4, 0x7f
	v_cmp_gt_i16_sdwa s[6:7], v2, s4 src0_sel:BYTE_3 src1_sel:DWORD
	s_mov_b64 s[4:5], 0
                                        ; implicit-def: $sgpr10
	s_and_saveexec_b64 s[8:9], s[6:7]
	s_xor_b64 s[6:7], exec, s[8:9]
	s_cbranch_execnz .LBB25_2205
; %bb.157:
	s_or_saveexec_b64 s[6:7], s[6:7]
	v_mov_b32_e32 v6, s10
	s_xor_b64 exec, exec, s[6:7]
	s_cbranch_execnz .LBB25_2208
.LBB25_158:
	s_or_b64 exec, exec, s[6:7]
	s_and_saveexec_b64 s[6:7], s[4:5]
	s_cbranch_execz .LBB25_160
.LBB25_159:
	v_bfe_u32 v6, v2, 24, 3
	v_ffbh_u32_e32 v14, v6
	v_min_u32_e32 v14, 32, v14
	v_lshrrev_b32_e32 v12, 27, v2
	v_subrev_u32_e32 v15, 28, v14
	v_and_b32_e32 v11, 0x80000000, v2
	v_and_b32_e32 v12, 15, v12
	v_bfe_u32 v13, v2, 27, 4
	v_lshlrev_b32_sdwa v2, v15, v2 dst_sel:DWORD dst_unused:UNUSED_PAD src0_sel:DWORD src1_sel:BYTE_3
	v_sub_u32_e32 v14, 29, v14
	v_and_b32_e32 v2, 7, v2
	v_cmp_eq_u16_e32 vcc, 0, v12
	v_cndmask_b32_e32 v2, v6, v2, vcc
	v_cndmask_b32_e32 v6, v13, v14, vcc
	v_mov_b32_e32 v12, 0x3b800000
	v_lshlrev_b32_e32 v2, 20, v2
	v_lshl_add_u32 v6, v6, 23, v12
	v_or3_b32 v6, v11, v6, v2
.LBB25_160:
	s_or_b64 exec, exec, s[6:7]
	s_nop 0
	v_mfma_f32_16x16x4f32 a[0:3], v10, v6, a[0:3]
	s_movk_i32 s4, 0x7f
	v_cmp_gt_i16_sdwa s[6:7], v7, s4 src0_sel:BYTE_0 src1_sel:DWORD
	s_mov_b64 s[4:5], 0
                                        ; implicit-def: $sgpr10
	s_and_saveexec_b64 s[8:9], s[6:7]
	s_xor_b64 s[6:7], exec, s[8:9]
	s_cbranch_execnz .LBB25_2209
; %bb.161:
	s_or_saveexec_b64 s[6:7], s[6:7]
	v_mov_b32_e32 v2, s10
	s_xor_b64 exec, exec, s[6:7]
	s_cbranch_execnz .LBB25_2212
.LBB25_162:
	s_or_b64 exec, exec, s[6:7]
	s_and_saveexec_b64 s[6:7], s[4:5]
	s_cbranch_execz .LBB25_164
.LBB25_163:
	v_and_b32_e32 v2, 7, v7
	v_ffbh_u32_e32 v10, v2
	v_min_u32_e32 v10, 32, v10
	v_lshrrev_b16_e32 v6, 3, v7
	v_subrev_u32_e32 v11, 28, v10
	v_and_b32_e32 v6, 15, v6
	v_lshlrev_b32_e32 v11, v11, v7
	v_sub_u32_e32 v10, 29, v10
	v_and_b32_e32 v11, 7, v11
	v_cmp_eq_u16_e32 vcc, 0, v6
	v_cndmask_b32_e32 v2, v2, v11, vcc
	v_cndmask_b32_e32 v6, v6, v10, vcc
	v_lshlrev_b32_e32 v10, 24, v7
	v_mov_b32_e32 v11, 0x3b800000
	v_lshlrev_b32_e32 v2, 20, v2
	v_and_b32_e32 v10, 0x80000000, v10
	v_lshl_add_u32 v6, v6, 23, v11
	v_or3_b32 v2, v10, v6, v2
.LBB25_164:
	s_or_b64 exec, exec, s[6:7]
	s_movk_i32 s4, 0x7f
	v_cmp_gt_i16_sdwa s[6:7], v3, s4 src0_sel:BYTE_0 src1_sel:DWORD
	s_mov_b64 s[4:5], 0
                                        ; implicit-def: $sgpr10
	s_and_saveexec_b64 s[8:9], s[6:7]
	s_xor_b64 s[6:7], exec, s[8:9]
	s_cbranch_execnz .LBB25_2213
; %bb.165:
	s_or_saveexec_b64 s[6:7], s[6:7]
	v_mov_b32_e32 v6, s10
	s_xor_b64 exec, exec, s[6:7]
	s_cbranch_execnz .LBB25_2216
.LBB25_166:
	s_or_b64 exec, exec, s[6:7]
	s_and_saveexec_b64 s[6:7], s[4:5]
	s_cbranch_execz .LBB25_168
.LBB25_167:
	v_and_b32_e32 v6, 7, v3
	v_ffbh_u32_e32 v11, v6
	v_min_u32_e32 v11, 32, v11
	v_lshrrev_b16_e32 v10, 3, v3
	v_subrev_u32_e32 v12, 28, v11
	v_and_b32_e32 v10, 15, v10
	v_lshlrev_b32_e32 v12, v12, v3
	v_sub_u32_e32 v11, 29, v11
	v_and_b32_e32 v12, 7, v12
	v_cmp_eq_u16_e32 vcc, 0, v10
	v_cndmask_b32_e32 v6, v6, v12, vcc
	v_cndmask_b32_e32 v10, v10, v11, vcc
	v_lshlrev_b32_e32 v11, 24, v3
	v_mov_b32_e32 v12, 0x3b800000
	v_lshlrev_b32_e32 v6, 20, v6
	v_and_b32_e32 v11, 0x80000000, v11
	v_lshl_add_u32 v10, v10, 23, v12
	v_or3_b32 v6, v11, v10, v6
.LBB25_168:
	s_or_b64 exec, exec, s[6:7]
	s_nop 0
	v_mfma_f32_16x16x4f32 a[0:3], v2, v6, a[0:3]
	v_lshrrev_b32_e32 v6, 8, v7
	s_movk_i32 s4, 0x7f
	v_cmp_gt_i16_sdwa s[6:7], v6, s4 src0_sel:BYTE_0 src1_sel:DWORD
	s_mov_b64 s[4:5], 0
                                        ; implicit-def: $sgpr10
	s_and_saveexec_b64 s[8:9], s[6:7]
	s_xor_b64 s[6:7], exec, s[8:9]
	s_cbranch_execnz .LBB25_2217
; %bb.169:
	s_or_saveexec_b64 s[6:7], s[6:7]
	v_mov_b32_e32 v2, s10
	s_xor_b64 exec, exec, s[6:7]
	s_cbranch_execnz .LBB25_2220
.LBB25_170:
	s_or_b64 exec, exec, s[6:7]
	s_and_saveexec_b64 s[6:7], s[4:5]
	s_cbranch_execz .LBB25_172
.LBB25_171:
	v_bfe_u32 v2, v7, 8, 3
	v_ffbh_u32_e32 v11, v2
	v_min_u32_e32 v11, 32, v11
	v_lshrrev_b16_e32 v10, 3, v6
	v_subrev_u32_e32 v12, 28, v11
	v_and_b32_e32 v10, 15, v10
	v_lshlrev_b32_e32 v6, v12, v6
	v_sub_u32_e32 v11, 29, v11
	v_and_b32_e32 v6, 7, v6
	v_cmp_eq_u16_e32 vcc, 0, v10
	v_cndmask_b32_e32 v2, v2, v6, vcc
	v_cndmask_b32_e32 v6, v10, v11, vcc
	v_lshlrev_b32_e32 v10, 16, v7
	v_mov_b32_e32 v11, 0x3b800000
	v_lshlrev_b32_e32 v2, 20, v2
	v_and_b32_e32 v10, 0x80000000, v10
	v_lshl_add_u32 v6, v6, 23, v11
	v_or3_b32 v2, v10, v6, v2
.LBB25_172:
	s_or_b64 exec, exec, s[6:7]
	v_lshrrev_b32_e32 v6, 8, v3
	s_movk_i32 s4, 0x7f
	v_cmp_gt_i16_sdwa s[6:7], v6, s4 src0_sel:BYTE_0 src1_sel:DWORD
	s_mov_b64 s[4:5], 0
                                        ; implicit-def: $sgpr10
	s_and_saveexec_b64 s[8:9], s[6:7]
	s_xor_b64 s[6:7], exec, s[8:9]
	s_cbranch_execnz .LBB25_2221
; %bb.173:
	s_or_saveexec_b64 s[6:7], s[6:7]
	v_mov_b32_e32 v10, s10
	s_xor_b64 exec, exec, s[6:7]
	s_cbranch_execnz .LBB25_2224
.LBB25_174:
	s_or_b64 exec, exec, s[6:7]
	s_and_saveexec_b64 s[6:7], s[4:5]
	s_cbranch_execz .LBB25_176
.LBB25_175:
	v_bfe_u32 v10, v3, 8, 3
	v_ffbh_u32_e32 v12, v10
	v_min_u32_e32 v12, 32, v12
	v_lshrrev_b16_e32 v11, 3, v6
	v_subrev_u32_e32 v13, 28, v12
	v_and_b32_e32 v11, 15, v11
	v_lshlrev_b32_e32 v6, v13, v6
	v_sub_u32_e32 v12, 29, v12
	v_and_b32_e32 v6, 7, v6
	v_cmp_eq_u16_e32 vcc, 0, v11
	v_cndmask_b32_e32 v6, v10, v6, vcc
	v_cndmask_b32_e32 v10, v11, v12, vcc
	v_lshlrev_b32_e32 v11, 16, v3
	v_mov_b32_e32 v12, 0x3b800000
	v_lshlrev_b32_e32 v6, 20, v6
	v_and_b32_e32 v11, 0x80000000, v11
	v_lshl_add_u32 v10, v10, 23, v12
	v_or3_b32 v10, v11, v10, v6
.LBB25_176:
	s_or_b64 exec, exec, s[6:7]
	s_nop 0
	v_mfma_f32_16x16x4f32 a[0:3], v2, v10, a[0:3]
	s_movk_i32 s4, 0xff
	v_and_b32_sdwa v6, v7, s4 dst_sel:DWORD dst_unused:UNUSED_PAD src0_sel:WORD_1 src1_sel:DWORD
	s_movk_i32 s4, 0x7f
	v_cmp_lt_i16_e32 vcc, s4, v6
	s_mov_b64 s[4:5], 0
                                        ; implicit-def: $sgpr10
	s_and_saveexec_b64 s[6:7], vcc
	s_xor_b64 s[6:7], exec, s[6:7]
	s_cbranch_execnz .LBB25_2225
; %bb.177:
	s_or_saveexec_b64 s[6:7], s[6:7]
	v_mov_b32_e32 v2, s10
	s_xor_b64 exec, exec, s[6:7]
	s_cbranch_execnz .LBB25_2228
.LBB25_178:
	s_or_b64 exec, exec, s[6:7]
	s_and_saveexec_b64 s[6:7], s[4:5]
	s_cbranch_execz .LBB25_180
.LBB25_179:
	v_bfe_u32 v2, v7, 16, 3
	v_ffbh_u32_e32 v11, v2
	v_min_u32_e32 v11, 32, v11
	v_lshrrev_b32_e32 v6, 19, v7
	v_subrev_u32_e32 v12, 28, v11
	v_and_b32_e32 v6, 15, v6
	v_lshlrev_b32_sdwa v12, v12, v7 dst_sel:DWORD dst_unused:UNUSED_PAD src0_sel:DWORD src1_sel:WORD_1
	v_bfe_u32 v10, v7, 19, 4
	v_sub_u32_e32 v11, 29, v11
	v_and_b32_e32 v12, 7, v12
	v_cmp_eq_u16_e32 vcc, 0, v6
	v_cndmask_b32_e32 v2, v2, v12, vcc
	v_cndmask_b32_e32 v6, v10, v11, vcc
	v_lshlrev_b32_e32 v10, 8, v7
	v_mov_b32_e32 v11, 0x3b800000
	v_lshlrev_b32_e32 v2, 20, v2
	v_and_b32_e32 v10, 0x80000000, v10
	v_lshl_add_u32 v6, v6, 23, v11
	v_or3_b32 v2, v10, v6, v2
.LBB25_180:
	s_or_b64 exec, exec, s[6:7]
	s_movk_i32 s4, 0xff
	v_and_b32_sdwa v6, v3, s4 dst_sel:DWORD dst_unused:UNUSED_PAD src0_sel:WORD_1 src1_sel:DWORD
	s_movk_i32 s4, 0x7f
	v_cmp_lt_i16_e32 vcc, s4, v6
	s_mov_b64 s[4:5], 0
                                        ; implicit-def: $sgpr10
	s_and_saveexec_b64 s[6:7], vcc
	s_xor_b64 s[6:7], exec, s[6:7]
	s_cbranch_execnz .LBB25_2229
; %bb.181:
	s_or_saveexec_b64 s[6:7], s[6:7]
	v_mov_b32_e32 v10, s10
	s_xor_b64 exec, exec, s[6:7]
	s_cbranch_execnz .LBB25_2232
.LBB25_182:
	s_or_b64 exec, exec, s[6:7]
	s_and_saveexec_b64 s[6:7], s[4:5]
	s_cbranch_execz .LBB25_184
.LBB25_183:
	v_bfe_u32 v6, v3, 16, 3
	v_ffbh_u32_e32 v12, v6
	v_min_u32_e32 v12, 32, v12
	v_lshrrev_b32_e32 v10, 19, v3
	v_subrev_u32_e32 v13, 28, v12
	v_and_b32_e32 v10, 15, v10
	v_lshlrev_b32_sdwa v13, v13, v3 dst_sel:DWORD dst_unused:UNUSED_PAD src0_sel:DWORD src1_sel:WORD_1
	v_bfe_u32 v11, v3, 19, 4
	v_sub_u32_e32 v12, 29, v12
	v_and_b32_e32 v13, 7, v13
	v_cmp_eq_u16_e32 vcc, 0, v10
	v_cndmask_b32_e32 v6, v6, v13, vcc
	v_cndmask_b32_e32 v10, v11, v12, vcc
	v_lshlrev_b32_e32 v11, 8, v3
	v_mov_b32_e32 v12, 0x3b800000
	v_lshlrev_b32_e32 v6, 20, v6
	v_and_b32_e32 v11, 0x80000000, v11
	v_lshl_add_u32 v10, v10, 23, v12
	v_or3_b32 v10, v11, v10, v6
.LBB25_184:
	s_or_b64 exec, exec, s[6:7]
	s_nop 0
	v_mfma_f32_16x16x4f32 a[0:3], v2, v10, a[0:3]
	s_movk_i32 s4, 0x7f
	v_cmp_gt_i16_sdwa s[6:7], v7, s4 src0_sel:BYTE_3 src1_sel:DWORD
	s_mov_b64 s[4:5], 0
                                        ; implicit-def: $sgpr10
	s_and_saveexec_b64 s[8:9], s[6:7]
	s_xor_b64 s[6:7], exec, s[8:9]
	s_cbranch_execnz .LBB25_2233
; %bb.185:
	s_or_saveexec_b64 s[6:7], s[6:7]
	v_mov_b32_e32 v2, s10
	s_xor_b64 exec, exec, s[6:7]
	s_cbranch_execnz .LBB25_2236
.LBB25_186:
	s_or_b64 exec, exec, s[6:7]
	s_and_saveexec_b64 s[6:7], s[4:5]
	s_cbranch_execz .LBB25_188
.LBB25_187:
	v_bfe_u32 v2, v7, 24, 3
	v_ffbh_u32_e32 v12, v2
	v_min_u32_e32 v12, 32, v12
	v_lshrrev_b32_e32 v10, 27, v7
	v_subrev_u32_e32 v13, 28, v12
	v_and_b32_e32 v6, 0x80000000, v7
	v_and_b32_e32 v10, 15, v10
	v_bfe_u32 v11, v7, 27, 4
	v_lshlrev_b32_sdwa v7, v13, v7 dst_sel:DWORD dst_unused:UNUSED_PAD src0_sel:DWORD src1_sel:BYTE_3
	v_sub_u32_e32 v12, 29, v12
	v_and_b32_e32 v7, 7, v7
	v_cmp_eq_u16_e32 vcc, 0, v10
	v_cndmask_b32_e32 v2, v2, v7, vcc
	v_cndmask_b32_e32 v7, v11, v12, vcc
	v_mov_b32_e32 v10, 0x3b800000
	v_lshlrev_b32_e32 v2, 20, v2
	v_lshl_add_u32 v7, v7, 23, v10
	v_or3_b32 v2, v6, v7, v2
.LBB25_188:
	s_or_b64 exec, exec, s[6:7]
	s_movk_i32 s4, 0x7f
	v_cmp_gt_i16_sdwa s[6:7], v3, s4 src0_sel:BYTE_3 src1_sel:DWORD
	s_mov_b64 s[4:5], 0
                                        ; implicit-def: $sgpr10
	s_and_saveexec_b64 s[8:9], s[6:7]
	s_xor_b64 s[6:7], exec, s[8:9]
	s_cbranch_execnz .LBB25_2237
; %bb.189:
	s_or_saveexec_b64 s[6:7], s[6:7]
	v_mov_b32_e32 v6, s10
	s_xor_b64 exec, exec, s[6:7]
	s_cbranch_execnz .LBB25_2240
.LBB25_190:
	s_or_b64 exec, exec, s[6:7]
	s_and_saveexec_b64 s[6:7], s[4:5]
	s_cbranch_execz .LBB25_192
.LBB25_191:
	v_bfe_u32 v6, v3, 24, 3
	v_ffbh_u32_e32 v12, v6
	v_min_u32_e32 v12, 32, v12
	v_lshrrev_b32_e32 v10, 27, v3
	v_subrev_u32_e32 v13, 28, v12
	v_and_b32_e32 v7, 0x80000000, v3
	v_and_b32_e32 v10, 15, v10
	v_bfe_u32 v11, v3, 27, 4
	v_lshlrev_b32_sdwa v3, v13, v3 dst_sel:DWORD dst_unused:UNUSED_PAD src0_sel:DWORD src1_sel:BYTE_3
	v_sub_u32_e32 v12, 29, v12
	v_and_b32_e32 v3, 7, v3
	v_cmp_eq_u16_e32 vcc, 0, v10
	v_cndmask_b32_e32 v3, v6, v3, vcc
	v_cndmask_b32_e32 v6, v11, v12, vcc
	v_mov_b32_e32 v10, 0x3b800000
	v_lshlrev_b32_e32 v3, 20, v3
	v_lshl_add_u32 v6, v6, 23, v10
	v_or3_b32 v6, v7, v6, v3
.LBB25_192:
	s_or_b64 exec, exec, s[6:7]
	s_nop 0
	v_mfma_f32_16x16x4f32 a[0:3], v2, v6, a[0:3]
	s_movk_i32 s4, 0x7f
	v_cmp_gt_i16_sdwa s[6:7], v8, s4 src0_sel:BYTE_0 src1_sel:DWORD
	s_mov_b64 s[4:5], 0
                                        ; implicit-def: $sgpr10
	s_and_saveexec_b64 s[8:9], s[6:7]
	s_xor_b64 s[6:7], exec, s[8:9]
	s_cbranch_execnz .LBB25_2241
; %bb.193:
	s_or_saveexec_b64 s[6:7], s[6:7]
	v_mov_b32_e32 v2, s10
	s_xor_b64 exec, exec, s[6:7]
	s_cbranch_execnz .LBB25_2244
.LBB25_194:
	s_or_b64 exec, exec, s[6:7]
	s_and_saveexec_b64 s[6:7], s[4:5]
	s_cbranch_execz .LBB25_196
.LBB25_195:
	v_and_b32_e32 v2, 7, v8
	v_ffbh_u32_e32 v6, v2
	v_min_u32_e32 v6, 32, v6
	v_lshrrev_b16_e32 v3, 3, v8
	v_subrev_u32_e32 v7, 28, v6
	v_and_b32_e32 v3, 15, v3
	v_lshlrev_b32_e32 v7, v7, v8
	v_sub_u32_e32 v6, 29, v6
	v_and_b32_e32 v7, 7, v7
	v_cmp_eq_u16_e32 vcc, 0, v3
	v_cndmask_b32_e32 v2, v2, v7, vcc
	v_cndmask_b32_e32 v3, v3, v6, vcc
	v_lshlrev_b32_e32 v6, 24, v8
	v_mov_b32_e32 v7, 0x3b800000
	v_lshlrev_b32_e32 v2, 20, v2
	v_and_b32_e32 v6, 0x80000000, v6
	v_lshl_add_u32 v3, v3, 23, v7
	v_or3_b32 v2, v6, v3, v2
.LBB25_196:
	s_or_b64 exec, exec, s[6:7]
	s_movk_i32 s4, 0x7f
	v_cmp_gt_i16_sdwa s[6:7], v4, s4 src0_sel:BYTE_0 src1_sel:DWORD
	s_mov_b64 s[4:5], 0
                                        ; implicit-def: $sgpr10
	s_and_saveexec_b64 s[8:9], s[6:7]
	s_xor_b64 s[6:7], exec, s[8:9]
	s_cbranch_execnz .LBB25_2245
; %bb.197:
	s_or_saveexec_b64 s[6:7], s[6:7]
	v_mov_b32_e32 v3, s10
	s_xor_b64 exec, exec, s[6:7]
	s_cbranch_execnz .LBB25_2248
.LBB25_198:
	s_or_b64 exec, exec, s[6:7]
	s_and_saveexec_b64 s[6:7], s[4:5]
	s_cbranch_execz .LBB25_200
.LBB25_199:
	v_and_b32_e32 v3, 7, v4
	v_ffbh_u32_e32 v7, v3
	v_min_u32_e32 v7, 32, v7
	v_lshrrev_b16_e32 v6, 3, v4
	v_subrev_u32_e32 v10, 28, v7
	v_and_b32_e32 v6, 15, v6
	v_lshlrev_b32_e32 v10, v10, v4
	v_sub_u32_e32 v7, 29, v7
	v_and_b32_e32 v10, 7, v10
	v_cmp_eq_u16_e32 vcc, 0, v6
	v_cndmask_b32_e32 v3, v3, v10, vcc
	v_cndmask_b32_e32 v6, v6, v7, vcc
	v_lshlrev_b32_e32 v7, 24, v4
	v_mov_b32_e32 v10, 0x3b800000
	v_lshlrev_b32_e32 v3, 20, v3
	v_and_b32_e32 v7, 0x80000000, v7
	v_lshl_add_u32 v6, v6, 23, v10
	v_or3_b32 v3, v7, v6, v3
.LBB25_200:
	s_or_b64 exec, exec, s[6:7]
	s_nop 0
	v_mfma_f32_16x16x4f32 a[0:3], v2, v3, a[0:3]
	v_lshrrev_b32_e32 v3, 8, v8
	s_movk_i32 s4, 0x7f
	v_cmp_gt_i16_sdwa s[6:7], v3, s4 src0_sel:BYTE_0 src1_sel:DWORD
	s_mov_b64 s[4:5], 0
                                        ; implicit-def: $sgpr10
	s_and_saveexec_b64 s[8:9], s[6:7]
	s_xor_b64 s[6:7], exec, s[8:9]
	s_cbranch_execnz .LBB25_2249
; %bb.201:
	s_or_saveexec_b64 s[6:7], s[6:7]
	v_mov_b32_e32 v2, s10
	s_xor_b64 exec, exec, s[6:7]
	s_cbranch_execnz .LBB25_2252
.LBB25_202:
	s_or_b64 exec, exec, s[6:7]
	s_and_saveexec_b64 s[6:7], s[4:5]
	s_cbranch_execz .LBB25_204
.LBB25_203:
	v_bfe_u32 v2, v8, 8, 3
	v_ffbh_u32_e32 v7, v2
	v_min_u32_e32 v7, 32, v7
	v_lshrrev_b16_e32 v6, 3, v3
	v_subrev_u32_e32 v10, 28, v7
	v_and_b32_e32 v6, 15, v6
	v_lshlrev_b32_e32 v3, v10, v3
	v_sub_u32_e32 v7, 29, v7
	v_and_b32_e32 v3, 7, v3
	v_cmp_eq_u16_e32 vcc, 0, v6
	v_cndmask_b32_e32 v2, v2, v3, vcc
	v_cndmask_b32_e32 v3, v6, v7, vcc
	v_lshlrev_b32_e32 v6, 16, v8
	v_mov_b32_e32 v7, 0x3b800000
	v_lshlrev_b32_e32 v2, 20, v2
	v_and_b32_e32 v6, 0x80000000, v6
	v_lshl_add_u32 v3, v3, 23, v7
	v_or3_b32 v2, v6, v3, v2
.LBB25_204:
	s_or_b64 exec, exec, s[6:7]
	v_lshrrev_b32_e32 v3, 8, v4
	s_movk_i32 s4, 0x7f
	v_cmp_gt_i16_sdwa s[6:7], v3, s4 src0_sel:BYTE_0 src1_sel:DWORD
	s_mov_b64 s[4:5], 0
                                        ; implicit-def: $sgpr10
	s_and_saveexec_b64 s[8:9], s[6:7]
	s_xor_b64 s[6:7], exec, s[8:9]
	s_cbranch_execnz .LBB25_2253
; %bb.205:
	s_or_saveexec_b64 s[6:7], s[6:7]
	v_mov_b32_e32 v6, s10
	s_xor_b64 exec, exec, s[6:7]
	s_cbranch_execnz .LBB25_2256
.LBB25_206:
	s_or_b64 exec, exec, s[6:7]
	s_and_saveexec_b64 s[6:7], s[4:5]
	s_cbranch_execz .LBB25_208
.LBB25_207:
	v_bfe_u32 v6, v4, 8, 3
	v_ffbh_u32_e32 v10, v6
	v_min_u32_e32 v10, 32, v10
	v_lshrrev_b16_e32 v7, 3, v3
	v_subrev_u32_e32 v11, 28, v10
	v_and_b32_e32 v7, 15, v7
	v_lshlrev_b32_e32 v3, v11, v3
	v_sub_u32_e32 v10, 29, v10
	v_and_b32_e32 v3, 7, v3
	v_cmp_eq_u16_e32 vcc, 0, v7
	v_cndmask_b32_e32 v3, v6, v3, vcc
	v_cndmask_b32_e32 v6, v7, v10, vcc
	v_lshlrev_b32_e32 v7, 16, v4
	v_mov_b32_e32 v10, 0x3b800000
	v_lshlrev_b32_e32 v3, 20, v3
	v_and_b32_e32 v7, 0x80000000, v7
	v_lshl_add_u32 v6, v6, 23, v10
	v_or3_b32 v6, v7, v6, v3
.LBB25_208:
	s_or_b64 exec, exec, s[6:7]
	s_nop 0
	v_mfma_f32_16x16x4f32 a[0:3], v2, v6, a[0:3]
	s_movk_i32 s4, 0xff
	v_and_b32_sdwa v3, v8, s4 dst_sel:DWORD dst_unused:UNUSED_PAD src0_sel:WORD_1 src1_sel:DWORD
	s_movk_i32 s4, 0x7f
	v_cmp_lt_i16_e32 vcc, s4, v3
	s_mov_b64 s[4:5], 0
                                        ; implicit-def: $sgpr10
	s_and_saveexec_b64 s[6:7], vcc
	s_xor_b64 s[6:7], exec, s[6:7]
	s_cbranch_execnz .LBB25_2257
; %bb.209:
	s_or_saveexec_b64 s[6:7], s[6:7]
	v_mov_b32_e32 v2, s10
	s_xor_b64 exec, exec, s[6:7]
	s_cbranch_execnz .LBB25_2260
.LBB25_210:
	s_or_b64 exec, exec, s[6:7]
	s_and_saveexec_b64 s[6:7], s[4:5]
	s_cbranch_execz .LBB25_212
.LBB25_211:
	v_bfe_u32 v2, v8, 16, 3
	v_ffbh_u32_e32 v7, v2
	v_min_u32_e32 v7, 32, v7
	v_lshrrev_b32_e32 v3, 19, v8
	v_subrev_u32_e32 v10, 28, v7
	v_and_b32_e32 v3, 15, v3
	v_lshlrev_b32_sdwa v10, v10, v8 dst_sel:DWORD dst_unused:UNUSED_PAD src0_sel:DWORD src1_sel:WORD_1
	v_bfe_u32 v6, v8, 19, 4
	v_sub_u32_e32 v7, 29, v7
	v_and_b32_e32 v10, 7, v10
	v_cmp_eq_u16_e32 vcc, 0, v3
	v_cndmask_b32_e32 v2, v2, v10, vcc
	v_cndmask_b32_e32 v3, v6, v7, vcc
	v_lshlrev_b32_e32 v6, 8, v8
	v_mov_b32_e32 v7, 0x3b800000
	v_lshlrev_b32_e32 v2, 20, v2
	v_and_b32_e32 v6, 0x80000000, v6
	v_lshl_add_u32 v3, v3, 23, v7
	v_or3_b32 v2, v6, v3, v2
.LBB25_212:
	s_or_b64 exec, exec, s[6:7]
	s_movk_i32 s4, 0xff
	v_and_b32_sdwa v3, v4, s4 dst_sel:DWORD dst_unused:UNUSED_PAD src0_sel:WORD_1 src1_sel:DWORD
	s_movk_i32 s4, 0x7f
	v_cmp_lt_i16_e32 vcc, s4, v3
	s_mov_b64 s[4:5], 0
                                        ; implicit-def: $sgpr10
	s_and_saveexec_b64 s[6:7], vcc
	s_xor_b64 s[6:7], exec, s[6:7]
	s_cbranch_execnz .LBB25_2261
; %bb.213:
	s_or_saveexec_b64 s[6:7], s[6:7]
	v_mov_b32_e32 v6, s10
	s_xor_b64 exec, exec, s[6:7]
	s_cbranch_execnz .LBB25_2264
.LBB25_214:
	s_or_b64 exec, exec, s[6:7]
	s_and_saveexec_b64 s[6:7], s[4:5]
	s_cbranch_execz .LBB25_216
.LBB25_215:
	v_bfe_u32 v3, v4, 16, 3
	v_ffbh_u32_e32 v10, v3
	v_min_u32_e32 v10, 32, v10
	v_lshrrev_b32_e32 v6, 19, v4
	v_subrev_u32_e32 v11, 28, v10
	v_and_b32_e32 v6, 15, v6
	v_lshlrev_b32_sdwa v11, v11, v4 dst_sel:DWORD dst_unused:UNUSED_PAD src0_sel:DWORD src1_sel:WORD_1
	v_bfe_u32 v7, v4, 19, 4
	v_sub_u32_e32 v10, 29, v10
	v_and_b32_e32 v11, 7, v11
	v_cmp_eq_u16_e32 vcc, 0, v6
	v_cndmask_b32_e32 v3, v3, v11, vcc
	v_cndmask_b32_e32 v6, v7, v10, vcc
	v_lshlrev_b32_e32 v7, 8, v4
	v_mov_b32_e32 v10, 0x3b800000
	v_lshlrev_b32_e32 v3, 20, v3
	v_and_b32_e32 v7, 0x80000000, v7
	v_lshl_add_u32 v6, v6, 23, v10
	v_or3_b32 v6, v7, v6, v3
.LBB25_216:
	s_or_b64 exec, exec, s[6:7]
	s_nop 0
	v_mfma_f32_16x16x4f32 a[0:3], v2, v6, a[0:3]
	s_movk_i32 s4, 0x7f
	v_cmp_gt_i16_sdwa s[6:7], v8, s4 src0_sel:BYTE_3 src1_sel:DWORD
	s_mov_b64 s[4:5], 0
                                        ; implicit-def: $sgpr10
	s_and_saveexec_b64 s[8:9], s[6:7]
	s_xor_b64 s[6:7], exec, s[8:9]
	s_cbranch_execnz .LBB25_2265
; %bb.217:
	s_or_saveexec_b64 s[6:7], s[6:7]
	v_mov_b32_e32 v2, s10
	s_xor_b64 exec, exec, s[6:7]
	s_cbranch_execnz .LBB25_2268
.LBB25_218:
	s_or_b64 exec, exec, s[6:7]
	s_and_saveexec_b64 s[6:7], s[4:5]
	s_cbranch_execz .LBB25_220
.LBB25_219:
	v_bfe_u32 v2, v8, 24, 3
	v_ffbh_u32_e32 v10, v2
	v_min_u32_e32 v10, 32, v10
	v_lshrrev_b32_e32 v6, 27, v8
	v_subrev_u32_e32 v11, 28, v10
	v_and_b32_e32 v3, 0x80000000, v8
	v_and_b32_e32 v6, 15, v6
	v_bfe_u32 v7, v8, 27, 4
	v_lshlrev_b32_sdwa v8, v11, v8 dst_sel:DWORD dst_unused:UNUSED_PAD src0_sel:DWORD src1_sel:BYTE_3
	v_sub_u32_e32 v10, 29, v10
	v_and_b32_e32 v8, 7, v8
	v_cmp_eq_u16_e32 vcc, 0, v6
	v_cndmask_b32_e32 v2, v2, v8, vcc
	v_cndmask_b32_e32 v6, v7, v10, vcc
	v_mov_b32_e32 v7, 0x3b800000
	v_lshlrev_b32_e32 v2, 20, v2
	v_lshl_add_u32 v6, v6, 23, v7
	v_or3_b32 v2, v3, v6, v2
.LBB25_220:
	s_or_b64 exec, exec, s[6:7]
	s_movk_i32 s4, 0x7f
	v_cmp_gt_i16_sdwa s[6:7], v4, s4 src0_sel:BYTE_3 src1_sel:DWORD
	s_mov_b64 s[4:5], 0
                                        ; implicit-def: $sgpr10
	s_and_saveexec_b64 s[8:9], s[6:7]
	s_xor_b64 s[6:7], exec, s[8:9]
	s_cbranch_execnz .LBB25_2269
; %bb.221:
	s_or_saveexec_b64 s[6:7], s[6:7]
	v_mov_b32_e32 v3, s10
	s_xor_b64 exec, exec, s[6:7]
	s_cbranch_execnz .LBB25_2272
.LBB25_222:
	s_or_b64 exec, exec, s[6:7]
	s_and_saveexec_b64 s[6:7], s[4:5]
	s_cbranch_execz .LBB25_224
.LBB25_223:
	v_bfe_u32 v3, v4, 24, 3
	v_ffbh_u32_e32 v10, v3
	v_min_u32_e32 v10, 32, v10
	v_lshrrev_b32_e32 v7, 27, v4
	v_subrev_u32_e32 v11, 28, v10
	v_and_b32_e32 v6, 0x80000000, v4
	v_and_b32_e32 v7, 15, v7
	v_bfe_u32 v8, v4, 27, 4
	v_lshlrev_b32_sdwa v4, v11, v4 dst_sel:DWORD dst_unused:UNUSED_PAD src0_sel:DWORD src1_sel:BYTE_3
	v_sub_u32_e32 v10, 29, v10
	v_and_b32_e32 v4, 7, v4
	v_cmp_eq_u16_e32 vcc, 0, v7
	v_cndmask_b32_e32 v3, v3, v4, vcc
	v_cndmask_b32_e32 v4, v8, v10, vcc
	v_mov_b32_e32 v7, 0x3b800000
	v_lshlrev_b32_e32 v3, 20, v3
	v_lshl_add_u32 v4, v4, 23, v7
	v_or3_b32 v3, v6, v4, v3
.LBB25_224:
	s_or_b64 exec, exec, s[6:7]
	s_nop 0
	v_mfma_f32_16x16x4f32 a[0:3], v2, v3, a[0:3]
	s_movk_i32 s4, 0x7f
	v_cmp_gt_i16_sdwa s[6:7], v9, s4 src0_sel:BYTE_0 src1_sel:DWORD
	s_mov_b64 s[4:5], 0
                                        ; implicit-def: $sgpr10
	s_and_saveexec_b64 s[8:9], s[6:7]
	s_xor_b64 s[6:7], exec, s[8:9]
	s_cbranch_execnz .LBB25_2273
; %bb.225:
	s_or_saveexec_b64 s[6:7], s[6:7]
	v_mov_b32_e32 v2, s10
	s_xor_b64 exec, exec, s[6:7]
	s_cbranch_execnz .LBB25_2276
.LBB25_226:
	s_or_b64 exec, exec, s[6:7]
	s_and_saveexec_b64 s[6:7], s[4:5]
	s_cbranch_execz .LBB25_228
.LBB25_227:
	v_mov_b32_e32 v2, 8
	v_and_b32_e32 v3, 7, v9
	v_lshrrev_b32_sdwa v2, v2, v9 dst_sel:BYTE_1 dst_unused:UNUSED_PAD src0_sel:DWORD src1_sel:DWORD
	v_ffbh_u32_e32 v4, v3
	v_or_b32_sdwa v2, v9, v2 dst_sel:DWORD dst_unused:UNUSED_PAD src0_sel:BYTE_0 src1_sel:DWORD
	v_min_u32_e32 v4, 32, v4
	v_lshrrev_b16_e32 v2, 3, v2
	v_subrev_u32_e32 v6, 28, v4
	v_and_b32_e32 v2, 15, v2
	v_lshlrev_b32_e32 v6, v6, v9
	v_sub_u32_e32 v4, 29, v4
	v_and_b32_e32 v6, 7, v6
	v_cmp_eq_u16_e32 vcc, 0, v2
	v_cndmask_b32_e32 v3, v3, v6, vcc
	v_cndmask_b32_e32 v2, v2, v4, vcc
	v_lshlrev_b32_e32 v4, 24, v9
	v_mov_b32_e32 v6, 0x3b800000
	v_lshlrev_b32_e32 v3, 20, v3
	v_and_b32_e32 v4, 0x80000000, v4
	v_lshl_add_u32 v2, v2, 23, v6
	v_or3_b32 v2, v4, v2, v3
.LBB25_228:
	s_or_b64 exec, exec, s[6:7]
	s_movk_i32 s4, 0x7f
	v_cmp_gt_i16_sdwa s[6:7], v5, s4 src0_sel:BYTE_0 src1_sel:DWORD
	s_mov_b64 s[4:5], 0
                                        ; implicit-def: $sgpr10
	s_and_saveexec_b64 s[8:9], s[6:7]
	s_xor_b64 s[6:7], exec, s[8:9]
	s_cbranch_execnz .LBB25_2277
; %bb.229:
	s_or_saveexec_b64 s[6:7], s[6:7]
	v_mov_b32_e32 v3, s10
	s_xor_b64 exec, exec, s[6:7]
	s_cbranch_execnz .LBB25_2280
.LBB25_230:
	s_or_b64 exec, exec, s[6:7]
	s_and_saveexec_b64 s[6:7], s[4:5]
	s_cbranch_execz .LBB25_232
.LBB25_231:
	v_mov_b32_e32 v3, 8
	v_and_b32_e32 v4, 7, v5
	v_lshrrev_b32_sdwa v3, v3, v5 dst_sel:BYTE_1 dst_unused:UNUSED_PAD src0_sel:DWORD src1_sel:DWORD
	v_ffbh_u32_e32 v6, v4
	v_or_b32_sdwa v3, v5, v3 dst_sel:DWORD dst_unused:UNUSED_PAD src0_sel:BYTE_0 src1_sel:DWORD
	v_min_u32_e32 v6, 32, v6
	v_lshrrev_b16_e32 v3, 3, v3
	v_subrev_u32_e32 v7, 28, v6
	v_and_b32_e32 v3, 15, v3
	v_lshlrev_b32_e32 v7, v7, v5
	v_sub_u32_e32 v6, 29, v6
	v_and_b32_e32 v7, 7, v7
	v_cmp_eq_u16_e32 vcc, 0, v3
	v_cndmask_b32_e32 v4, v4, v7, vcc
	v_cndmask_b32_e32 v3, v3, v6, vcc
	v_lshlrev_b32_e32 v6, 24, v5
	v_mov_b32_e32 v7, 0x3b800000
	v_lshlrev_b32_e32 v4, 20, v4
	v_and_b32_e32 v6, 0x80000000, v6
	v_lshl_add_u32 v3, v3, 23, v7
	v_or3_b32 v3, v6, v3, v4
.LBB25_232:
	s_or_b64 exec, exec, s[6:7]
	s_nop 0
	v_mfma_f32_16x16x4f32 a[0:3], v2, v3, a[0:3]
	v_lshrrev_b32_e32 v3, 8, v9
	s_movk_i32 s4, 0x7f
	v_cmp_gt_i16_sdwa s[6:7], v3, s4 src0_sel:BYTE_0 src1_sel:DWORD
	s_mov_b64 s[4:5], 0
                                        ; implicit-def: $sgpr10
	s_and_saveexec_b64 s[8:9], s[6:7]
	s_xor_b64 s[6:7], exec, s[8:9]
	s_cbranch_execnz .LBB25_2281
; %bb.233:
	s_or_saveexec_b64 s[6:7], s[6:7]
	v_mov_b32_e32 v2, s10
	s_xor_b64 exec, exec, s[6:7]
	s_cbranch_execnz .LBB25_2284
.LBB25_234:
	s_or_b64 exec, exec, s[6:7]
	s_and_saveexec_b64 s[6:7], s[4:5]
	s_cbranch_execz .LBB25_236
.LBB25_235:
	v_bfe_u32 v2, v9, 8, 3
	v_ffbh_u32_e32 v6, v2
	v_min_u32_e32 v6, 32, v6
	v_lshrrev_b16_e32 v4, 3, v3
	v_subrev_u32_e32 v7, 28, v6
	v_and_b32_e32 v4, 15, v4
	v_lshlrev_b32_e32 v3, v7, v3
	v_sub_u32_e32 v6, 29, v6
	v_and_b32_e32 v3, 7, v3
	v_cmp_eq_u16_e32 vcc, 0, v4
	v_cndmask_b32_e32 v2, v2, v3, vcc
	v_cndmask_b32_e32 v3, v4, v6, vcc
	v_lshlrev_b32_e32 v4, 16, v9
	v_mov_b32_e32 v6, 0x3b800000
	v_lshlrev_b32_e32 v2, 20, v2
	v_and_b32_e32 v4, 0x80000000, v4
	v_lshl_add_u32 v3, v3, 23, v6
	v_or3_b32 v2, v4, v3, v2
.LBB25_236:
	s_or_b64 exec, exec, s[6:7]
	v_lshrrev_b32_e32 v3, 8, v5
	s_movk_i32 s4, 0x7f
	v_cmp_gt_i16_sdwa s[6:7], v3, s4 src0_sel:BYTE_0 src1_sel:DWORD
	s_mov_b64 s[4:5], 0
                                        ; implicit-def: $sgpr10
	s_and_saveexec_b64 s[8:9], s[6:7]
	s_xor_b64 s[6:7], exec, s[8:9]
	s_cbranch_execnz .LBB25_2285
; %bb.237:
	s_or_saveexec_b64 s[6:7], s[6:7]
	v_mov_b32_e32 v4, s10
	s_xor_b64 exec, exec, s[6:7]
	s_cbranch_execnz .LBB25_2288
.LBB25_238:
	s_or_b64 exec, exec, s[6:7]
	s_and_saveexec_b64 s[6:7], s[4:5]
	s_cbranch_execz .LBB25_240
.LBB25_239:
	v_bfe_u32 v4, v5, 8, 3
	v_ffbh_u32_e32 v7, v4
	v_min_u32_e32 v7, 32, v7
	v_lshrrev_b16_e32 v6, 3, v3
	v_subrev_u32_e32 v8, 28, v7
	v_and_b32_e32 v6, 15, v6
	v_lshlrev_b32_e32 v3, v8, v3
	v_sub_u32_e32 v7, 29, v7
	v_and_b32_e32 v3, 7, v3
	v_cmp_eq_u16_e32 vcc, 0, v6
	v_cndmask_b32_e32 v3, v4, v3, vcc
	v_cndmask_b32_e32 v4, v6, v7, vcc
	v_lshlrev_b32_e32 v6, 16, v5
	v_mov_b32_e32 v7, 0x3b800000
	v_lshlrev_b32_e32 v3, 20, v3
	v_and_b32_e32 v6, 0x80000000, v6
	v_lshl_add_u32 v4, v4, 23, v7
	v_or3_b32 v4, v6, v4, v3
.LBB25_240:
	s_or_b64 exec, exec, s[6:7]
	s_nop 0
	v_mfma_f32_16x16x4f32 a[0:3], v2, v4, a[0:3]
	s_movk_i32 s4, 0xff
	v_and_b32_sdwa v3, v9, s4 dst_sel:DWORD dst_unused:UNUSED_PAD src0_sel:WORD_1 src1_sel:DWORD
	s_movk_i32 s4, 0x7f
	v_cmp_lt_i16_e32 vcc, s4, v3
	s_mov_b64 s[4:5], 0
                                        ; implicit-def: $sgpr10
	s_and_saveexec_b64 s[6:7], vcc
	s_xor_b64 s[6:7], exec, s[6:7]
	s_cbranch_execnz .LBB25_2289
; %bb.241:
	s_or_saveexec_b64 s[6:7], s[6:7]
	v_mov_b32_e32 v2, s10
	s_xor_b64 exec, exec, s[6:7]
	s_cbranch_execnz .LBB25_2292
.LBB25_242:
	s_or_b64 exec, exec, s[6:7]
	s_and_saveexec_b64 s[6:7], s[4:5]
	s_cbranch_execz .LBB25_244
.LBB25_243:
	v_bfe_u32 v2, v9, 16, 3
	v_ffbh_u32_e32 v6, v2
	v_min_u32_e32 v6, 32, v6
	v_lshrrev_b32_e32 v3, 19, v9
	v_subrev_u32_e32 v7, 28, v6
	v_and_b32_e32 v3, 15, v3
	v_lshlrev_b32_sdwa v7, v7, v9 dst_sel:DWORD dst_unused:UNUSED_PAD src0_sel:DWORD src1_sel:WORD_1
	v_bfe_u32 v4, v9, 19, 4
	v_sub_u32_e32 v6, 29, v6
	v_and_b32_e32 v7, 7, v7
	v_cmp_eq_u16_e32 vcc, 0, v3
	v_cndmask_b32_e32 v2, v2, v7, vcc
	v_cndmask_b32_e32 v3, v4, v6, vcc
	v_lshlrev_b32_e32 v4, 8, v9
	v_mov_b32_e32 v6, 0x3b800000
	v_lshlrev_b32_e32 v2, 20, v2
	v_and_b32_e32 v4, 0x80000000, v4
	v_lshl_add_u32 v3, v3, 23, v6
	v_or3_b32 v2, v4, v3, v2
.LBB25_244:
	s_or_b64 exec, exec, s[6:7]
	s_movk_i32 s4, 0xff
	v_and_b32_sdwa v3, v5, s4 dst_sel:DWORD dst_unused:UNUSED_PAD src0_sel:WORD_1 src1_sel:DWORD
	s_movk_i32 s4, 0x7f
	v_cmp_lt_i16_e32 vcc, s4, v3
	s_mov_b64 s[4:5], 0
                                        ; implicit-def: $sgpr10
	s_and_saveexec_b64 s[6:7], vcc
	s_xor_b64 s[6:7], exec, s[6:7]
	s_cbranch_execnz .LBB25_2293
; %bb.245:
	s_or_saveexec_b64 s[6:7], s[6:7]
	v_mov_b32_e32 v4, s10
	s_xor_b64 exec, exec, s[6:7]
	s_cbranch_execnz .LBB25_2296
.LBB25_246:
	s_or_b64 exec, exec, s[6:7]
	s_and_saveexec_b64 s[6:7], s[4:5]
	s_cbranch_execz .LBB25_248
.LBB25_247:
	v_bfe_u32 v3, v5, 16, 3
	v_ffbh_u32_e32 v7, v3
	v_min_u32_e32 v7, 32, v7
	v_lshrrev_b32_e32 v4, 19, v5
	v_subrev_u32_e32 v8, 28, v7
	v_and_b32_e32 v4, 15, v4
	v_lshlrev_b32_sdwa v8, v8, v5 dst_sel:DWORD dst_unused:UNUSED_PAD src0_sel:DWORD src1_sel:WORD_1
	v_bfe_u32 v6, v5, 19, 4
	v_sub_u32_e32 v7, 29, v7
	v_and_b32_e32 v8, 7, v8
	v_cmp_eq_u16_e32 vcc, 0, v4
	v_cndmask_b32_e32 v3, v3, v8, vcc
	v_cndmask_b32_e32 v4, v6, v7, vcc
	v_lshlrev_b32_e32 v6, 8, v5
	v_mov_b32_e32 v7, 0x3b800000
	v_lshlrev_b32_e32 v3, 20, v3
	v_and_b32_e32 v6, 0x80000000, v6
	v_lshl_add_u32 v4, v4, 23, v7
	v_or3_b32 v4, v6, v4, v3
.LBB25_248:
	s_or_b64 exec, exec, s[6:7]
	s_nop 0
	v_mfma_f32_16x16x4f32 a[0:3], v2, v4, a[0:3]
	s_movk_i32 s4, 0x7f
	v_cmp_gt_i16_sdwa s[6:7], v9, s4 src0_sel:BYTE_3 src1_sel:DWORD
	s_mov_b64 s[4:5], 0
                                        ; implicit-def: $sgpr10
	s_and_saveexec_b64 s[8:9], s[6:7]
	s_xor_b64 s[6:7], exec, s[8:9]
	s_cbranch_execnz .LBB25_2297
; %bb.249:
	s_or_saveexec_b64 s[6:7], s[6:7]
	v_mov_b32_e32 v2, s10
	s_xor_b64 exec, exec, s[6:7]
	s_cbranch_execnz .LBB25_2300
.LBB25_250:
	s_or_b64 exec, exec, s[6:7]
	s_and_saveexec_b64 s[6:7], s[4:5]
	s_cbranch_execz .LBB25_252
.LBB25_251:
	v_bfe_u32 v2, v9, 24, 3
	v_ffbh_u32_e32 v7, v2
	v_min_u32_e32 v7, 32, v7
	v_lshrrev_b32_e32 v4, 27, v9
	v_subrev_u32_e32 v8, 28, v7
	v_and_b32_e32 v4, 15, v4
	v_lshlrev_b32_sdwa v8, v8, v9 dst_sel:DWORD dst_unused:UNUSED_PAD src0_sel:DWORD src1_sel:BYTE_3
	v_bfe_u32 v6, v9, 27, 4
	v_sub_u32_e32 v7, 29, v7
	v_and_b32_e32 v8, 7, v8
	v_cmp_eq_u16_e32 vcc, 0, v4
	v_cndmask_b32_e32 v2, v2, v8, vcc
	v_cndmask_b32_e32 v4, v6, v7, vcc
	v_mov_b32_e32 v6, 0x3b800000
	v_and_b32_e32 v3, 0x80000000, v9
	v_lshlrev_b32_e32 v2, 20, v2
	v_lshl_add_u32 v4, v4, 23, v6
	v_or3_b32 v2, v3, v4, v2
.LBB25_252:
	s_or_b64 exec, exec, s[6:7]
	s_movk_i32 s4, 0x7f
	v_cmp_gt_i16_sdwa s[6:7], v5, s4 src0_sel:BYTE_3 src1_sel:DWORD
	s_mov_b64 s[4:5], 0
                                        ; implicit-def: $sgpr10
	s_and_saveexec_b64 s[8:9], s[6:7]
	s_xor_b64 s[6:7], exec, s[8:9]
	s_cbranch_execnz .LBB25_2301
; %bb.253:
	s_or_saveexec_b64 s[6:7], s[6:7]
	v_mov_b32_e32 v3, s10
	s_xor_b64 exec, exec, s[6:7]
	s_cbranch_execnz .LBB25_2304
.LBB25_254:
	s_or_b64 exec, exec, s[6:7]
	s_and_saveexec_b64 s[6:7], s[4:5]
	s_cbranch_execz .LBB25_256
.LBB25_255:
	v_bfe_u32 v3, v5, 24, 3
	v_ffbh_u32_e32 v8, v3
	v_min_u32_e32 v8, 32, v8
	v_lshrrev_b32_e32 v6, 27, v5
	v_subrev_u32_e32 v9, 28, v8
	v_and_b32_e32 v4, 0x80000000, v5
	v_and_b32_e32 v6, 15, v6
	v_bfe_u32 v7, v5, 27, 4
	v_lshlrev_b32_sdwa v5, v9, v5 dst_sel:DWORD dst_unused:UNUSED_PAD src0_sel:DWORD src1_sel:BYTE_3
	v_sub_u32_e32 v8, 29, v8
	v_and_b32_e32 v5, 7, v5
	v_cmp_eq_u16_e32 vcc, 0, v6
	v_cndmask_b32_e32 v3, v3, v5, vcc
	v_cndmask_b32_e32 v5, v7, v8, vcc
	v_mov_b32_e32 v6, 0x3b800000
	v_lshlrev_b32_e32 v3, 20, v3
	v_lshl_add_u32 v5, v5, 23, v6
	v_or3_b32 v3, v4, v5, v3
.LBB25_256:
	s_or_b64 exec, exec, s[6:7]
	s_nop 0
	v_mfma_f32_16x16x4f32 a[0:3], v2, v3, a[0:3]
	s_movk_i32 s4, 0x7f
                                        ; implicit-def: $sgpr10
	s_nop 7
	s_nop 1
	flat_store_dwordx4 v[18:19], a[0:3] offset:896
	flat_load_dwordx4 v[20:23], v[0:1] offset:8
	s_nop 0
	flat_load_dwordx2 v[18:19], v[0:1] offset:24
	s_waitcnt vmcnt(0) lgkmcnt(0)
	flat_load_dwordx4 v[14:17], v[20:21] offset:32
	flat_load_dwordx4 v[10:13], v[22:23] offset:32
	;; [unrolled: 1-line block ×4, first 2 shown]
	s_waitcnt vmcnt(0) lgkmcnt(0)
	v_cmp_gt_i16_sdwa s[6:7], v14, s4 src0_sel:BYTE_0 src1_sel:DWORD
	s_mov_b64 s[4:5], 0
	s_and_saveexec_b64 s[8:9], s[6:7]
	s_xor_b64 s[6:7], exec, s[8:9]
	s_cbranch_execnz .LBB25_2305
; %bb.257:
	s_or_saveexec_b64 s[6:7], s[6:7]
	v_mov_b32_e32 v20, s10
	s_xor_b64 exec, exec, s[6:7]
	s_cbranch_execnz .LBB25_2308
.LBB25_258:
	s_or_b64 exec, exec, s[6:7]
	s_and_saveexec_b64 s[6:7], s[4:5]
	s_cbranch_execz .LBB25_260
.LBB25_259:
	v_and_b32_e32 v20, 7, v14
	v_ffbh_u32_e32 v22, v20
	v_min_u32_e32 v22, 32, v22
	v_lshrrev_b16_e32 v21, 3, v14
	v_subrev_u32_e32 v23, 28, v22
	v_and_b32_e32 v21, 15, v21
	v_lshlrev_b32_e32 v23, v23, v14
	v_sub_u32_e32 v22, 29, v22
	v_and_b32_e32 v23, 7, v23
	v_cmp_eq_u16_e32 vcc, 0, v21
	v_cndmask_b32_e32 v20, v20, v23, vcc
	v_cndmask_b32_e32 v21, v21, v22, vcc
	v_lshlrev_b32_e32 v22, 24, v14
	v_mov_b32_e32 v23, 0x3b800000
	v_lshlrev_b32_e32 v20, 20, v20
	v_and_b32_e32 v22, 0x80000000, v22
	v_lshl_add_u32 v21, v21, 23, v23
	v_or3_b32 v20, v22, v21, v20
.LBB25_260:
	s_or_b64 exec, exec, s[6:7]
	s_movk_i32 s4, 0x7f
	v_cmp_gt_i16_sdwa s[6:7], v10, s4 src0_sel:BYTE_0 src1_sel:DWORD
	s_mov_b64 s[4:5], 0
                                        ; implicit-def: $sgpr10
	s_and_saveexec_b64 s[8:9], s[6:7]
	s_xor_b64 s[6:7], exec, s[8:9]
	s_cbranch_execnz .LBB25_2309
; %bb.261:
	s_or_saveexec_b64 s[6:7], s[6:7]
	v_mov_b32_e32 v21, s10
	s_xor_b64 exec, exec, s[6:7]
	s_cbranch_execnz .LBB25_2312
.LBB25_262:
	s_or_b64 exec, exec, s[6:7]
	s_and_saveexec_b64 s[6:7], s[4:5]
	s_cbranch_execz .LBB25_264
.LBB25_263:
	v_and_b32_e32 v21, 7, v10
	v_ffbh_u32_e32 v23, v21
	v_min_u32_e32 v23, 32, v23
	v_lshrrev_b16_e32 v22, 3, v10
	v_subrev_u32_e32 v24, 28, v23
	v_and_b32_e32 v22, 15, v22
	v_lshlrev_b32_e32 v24, v24, v10
	v_sub_u32_e32 v23, 29, v23
	v_and_b32_e32 v24, 7, v24
	v_cmp_eq_u16_e32 vcc, 0, v22
	v_cndmask_b32_e32 v21, v21, v24, vcc
	v_cndmask_b32_e32 v22, v22, v23, vcc
	v_lshlrev_b32_e32 v23, 24, v10
	v_mov_b32_e32 v24, 0x3b800000
	v_lshlrev_b32_e32 v21, 20, v21
	v_and_b32_e32 v23, 0x80000000, v23
	v_lshl_add_u32 v22, v22, 23, v24
	v_or3_b32 v21, v23, v22, v21
.LBB25_264:
	s_or_b64 exec, exec, s[6:7]
	flat_load_dwordx4 a[0:3], v[18:19] offset:912
	s_movk_i32 s4, 0x7f
                                        ; implicit-def: $sgpr10
	s_waitcnt vmcnt(0) lgkmcnt(0)
	v_mfma_f32_16x16x4f32 a[0:3], v20, v21, a[0:3]
	v_lshrrev_b32_e32 v21, 8, v14
	v_cmp_gt_i16_sdwa s[6:7], v21, s4 src0_sel:BYTE_0 src1_sel:DWORD
	s_mov_b64 s[4:5], 0
	s_and_saveexec_b64 s[8:9], s[6:7]
	s_xor_b64 s[6:7], exec, s[8:9]
	s_cbranch_execnz .LBB25_2313
; %bb.265:
	s_or_saveexec_b64 s[6:7], s[6:7]
	v_mov_b32_e32 v20, s10
	s_xor_b64 exec, exec, s[6:7]
	s_cbranch_execnz .LBB25_2316
.LBB25_266:
	s_or_b64 exec, exec, s[6:7]
	s_and_saveexec_b64 s[6:7], s[4:5]
	s_cbranch_execz .LBB25_268
.LBB25_267:
	v_bfe_u32 v20, v14, 8, 3
	v_ffbh_u32_e32 v23, v20
	v_min_u32_e32 v23, 32, v23
	v_lshrrev_b16_e32 v22, 3, v21
	v_subrev_u32_e32 v24, 28, v23
	v_and_b32_e32 v22, 15, v22
	v_lshlrev_b32_e32 v21, v24, v21
	v_sub_u32_e32 v23, 29, v23
	v_and_b32_e32 v21, 7, v21
	v_cmp_eq_u16_e32 vcc, 0, v22
	v_cndmask_b32_e32 v20, v20, v21, vcc
	v_cndmask_b32_e32 v21, v22, v23, vcc
	v_lshlrev_b32_e32 v22, 16, v14
	v_mov_b32_e32 v23, 0x3b800000
	v_lshlrev_b32_e32 v20, 20, v20
	v_and_b32_e32 v22, 0x80000000, v22
	v_lshl_add_u32 v21, v21, 23, v23
	v_or3_b32 v20, v22, v21, v20
.LBB25_268:
	s_or_b64 exec, exec, s[6:7]
	v_lshrrev_b32_e32 v21, 8, v10
	s_movk_i32 s4, 0x7f
	v_cmp_gt_i16_sdwa s[6:7], v21, s4 src0_sel:BYTE_0 src1_sel:DWORD
	s_mov_b64 s[4:5], 0
                                        ; implicit-def: $sgpr10
	s_and_saveexec_b64 s[8:9], s[6:7]
	s_xor_b64 s[6:7], exec, s[8:9]
	s_cbranch_execnz .LBB25_2317
; %bb.269:
	s_or_saveexec_b64 s[6:7], s[6:7]
	v_mov_b32_e32 v22, s10
	s_xor_b64 exec, exec, s[6:7]
	s_cbranch_execnz .LBB25_2320
.LBB25_270:
	s_or_b64 exec, exec, s[6:7]
	s_and_saveexec_b64 s[6:7], s[4:5]
	s_cbranch_execz .LBB25_272
.LBB25_271:
	v_bfe_u32 v22, v10, 8, 3
	v_ffbh_u32_e32 v24, v22
	v_min_u32_e32 v24, 32, v24
	v_lshrrev_b16_e32 v23, 3, v21
	v_subrev_u32_e32 v25, 28, v24
	v_and_b32_e32 v23, 15, v23
	v_lshlrev_b32_e32 v21, v25, v21
	v_sub_u32_e32 v24, 29, v24
	v_and_b32_e32 v21, 7, v21
	v_cmp_eq_u16_e32 vcc, 0, v23
	v_cndmask_b32_e32 v21, v22, v21, vcc
	v_cndmask_b32_e32 v22, v23, v24, vcc
	v_lshlrev_b32_e32 v23, 16, v10
	v_mov_b32_e32 v24, 0x3b800000
	v_lshlrev_b32_e32 v21, 20, v21
	v_and_b32_e32 v23, 0x80000000, v23
	v_lshl_add_u32 v22, v22, 23, v24
	v_or3_b32 v22, v23, v22, v21
.LBB25_272:
	s_or_b64 exec, exec, s[6:7]
	s_nop 0
	v_mfma_f32_16x16x4f32 a[0:3], v20, v22, a[0:3]
	s_movk_i32 s4, 0xff
	v_and_b32_sdwa v21, v14, s4 dst_sel:DWORD dst_unused:UNUSED_PAD src0_sel:WORD_1 src1_sel:DWORD
	s_movk_i32 s4, 0x7f
	v_cmp_lt_i16_e32 vcc, s4, v21
	s_mov_b64 s[4:5], 0
                                        ; implicit-def: $sgpr10
	s_and_saveexec_b64 s[6:7], vcc
	s_xor_b64 s[6:7], exec, s[6:7]
	s_cbranch_execnz .LBB25_2321
; %bb.273:
	s_or_saveexec_b64 s[6:7], s[6:7]
	v_mov_b32_e32 v20, s10
	s_xor_b64 exec, exec, s[6:7]
	s_cbranch_execnz .LBB25_2324
.LBB25_274:
	s_or_b64 exec, exec, s[6:7]
	s_and_saveexec_b64 s[6:7], s[4:5]
	s_cbranch_execz .LBB25_276
.LBB25_275:
	v_bfe_u32 v20, v14, 16, 3
	v_ffbh_u32_e32 v23, v20
	v_min_u32_e32 v23, 32, v23
	v_lshrrev_b32_e32 v21, 19, v14
	v_subrev_u32_e32 v24, 28, v23
	v_and_b32_e32 v21, 15, v21
	v_lshlrev_b32_sdwa v24, v24, v14 dst_sel:DWORD dst_unused:UNUSED_PAD src0_sel:DWORD src1_sel:WORD_1
	v_bfe_u32 v22, v14, 19, 4
	v_sub_u32_e32 v23, 29, v23
	v_and_b32_e32 v24, 7, v24
	v_cmp_eq_u16_e32 vcc, 0, v21
	v_cndmask_b32_e32 v20, v20, v24, vcc
	v_cndmask_b32_e32 v21, v22, v23, vcc
	v_lshlrev_b32_e32 v22, 8, v14
	v_mov_b32_e32 v23, 0x3b800000
	v_lshlrev_b32_e32 v20, 20, v20
	v_and_b32_e32 v22, 0x80000000, v22
	v_lshl_add_u32 v21, v21, 23, v23
	v_or3_b32 v20, v22, v21, v20
.LBB25_276:
	s_or_b64 exec, exec, s[6:7]
	s_movk_i32 s4, 0xff
	v_and_b32_sdwa v21, v10, s4 dst_sel:DWORD dst_unused:UNUSED_PAD src0_sel:WORD_1 src1_sel:DWORD
	s_movk_i32 s4, 0x7f
	v_cmp_lt_i16_e32 vcc, s4, v21
	s_mov_b64 s[4:5], 0
                                        ; implicit-def: $sgpr10
	s_and_saveexec_b64 s[6:7], vcc
	s_xor_b64 s[6:7], exec, s[6:7]
	s_cbranch_execnz .LBB25_2325
; %bb.277:
	s_or_saveexec_b64 s[6:7], s[6:7]
	v_mov_b32_e32 v22, s10
	s_xor_b64 exec, exec, s[6:7]
	s_cbranch_execnz .LBB25_2328
.LBB25_278:
	s_or_b64 exec, exec, s[6:7]
	s_and_saveexec_b64 s[6:7], s[4:5]
	s_cbranch_execz .LBB25_280
.LBB25_279:
	v_bfe_u32 v21, v10, 16, 3
	v_ffbh_u32_e32 v24, v21
	v_min_u32_e32 v24, 32, v24
	v_lshrrev_b32_e32 v22, 19, v10
	v_subrev_u32_e32 v25, 28, v24
	v_and_b32_e32 v22, 15, v22
	v_lshlrev_b32_sdwa v25, v25, v10 dst_sel:DWORD dst_unused:UNUSED_PAD src0_sel:DWORD src1_sel:WORD_1
	v_bfe_u32 v23, v10, 19, 4
	v_sub_u32_e32 v24, 29, v24
	v_and_b32_e32 v25, 7, v25
	v_cmp_eq_u16_e32 vcc, 0, v22
	v_cndmask_b32_e32 v21, v21, v25, vcc
	v_cndmask_b32_e32 v22, v23, v24, vcc
	v_lshlrev_b32_e32 v23, 8, v10
	v_mov_b32_e32 v24, 0x3b800000
	v_lshlrev_b32_e32 v21, 20, v21
	v_and_b32_e32 v23, 0x80000000, v23
	v_lshl_add_u32 v22, v22, 23, v24
	v_or3_b32 v22, v23, v22, v21
.LBB25_280:
	s_or_b64 exec, exec, s[6:7]
	s_nop 0
	v_mfma_f32_16x16x4f32 a[0:3], v20, v22, a[0:3]
	s_movk_i32 s4, 0x7f
	v_cmp_gt_i16_sdwa s[6:7], v14, s4 src0_sel:BYTE_3 src1_sel:DWORD
	s_mov_b64 s[4:5], 0
                                        ; implicit-def: $sgpr10
	s_and_saveexec_b64 s[8:9], s[6:7]
	s_xor_b64 s[6:7], exec, s[8:9]
	s_cbranch_execnz .LBB25_2329
; %bb.281:
	s_or_saveexec_b64 s[6:7], s[6:7]
	v_mov_b32_e32 v20, s10
	s_xor_b64 exec, exec, s[6:7]
	s_cbranch_execnz .LBB25_2332
.LBB25_282:
	s_or_b64 exec, exec, s[6:7]
	s_and_saveexec_b64 s[6:7], s[4:5]
	s_cbranch_execz .LBB25_284
.LBB25_283:
	v_bfe_u32 v20, v14, 24, 3
	v_ffbh_u32_e32 v24, v20
	v_min_u32_e32 v24, 32, v24
	v_lshrrev_b32_e32 v22, 27, v14
	v_subrev_u32_e32 v25, 28, v24
	v_and_b32_e32 v21, 0x80000000, v14
	v_and_b32_e32 v22, 15, v22
	v_bfe_u32 v23, v14, 27, 4
	v_lshlrev_b32_sdwa v14, v25, v14 dst_sel:DWORD dst_unused:UNUSED_PAD src0_sel:DWORD src1_sel:BYTE_3
	v_sub_u32_e32 v24, 29, v24
	v_and_b32_e32 v14, 7, v14
	v_cmp_eq_u16_e32 vcc, 0, v22
	v_cndmask_b32_e32 v14, v20, v14, vcc
	v_cndmask_b32_e32 v20, v23, v24, vcc
	v_mov_b32_e32 v22, 0x3b800000
	v_lshlrev_b32_e32 v14, 20, v14
	v_lshl_add_u32 v20, v20, 23, v22
	v_or3_b32 v20, v21, v20, v14
.LBB25_284:
	s_or_b64 exec, exec, s[6:7]
	s_movk_i32 s4, 0x7f
	v_cmp_gt_i16_sdwa s[6:7], v10, s4 src0_sel:BYTE_3 src1_sel:DWORD
	s_mov_b64 s[4:5], 0
                                        ; implicit-def: $sgpr10
	s_and_saveexec_b64 s[8:9], s[6:7]
	s_xor_b64 s[6:7], exec, s[8:9]
	s_cbranch_execnz .LBB25_2333
; %bb.285:
	s_or_saveexec_b64 s[6:7], s[6:7]
	v_mov_b32_e32 v14, s10
	s_xor_b64 exec, exec, s[6:7]
	s_cbranch_execnz .LBB25_2336
.LBB25_286:
	s_or_b64 exec, exec, s[6:7]
	s_and_saveexec_b64 s[6:7], s[4:5]
	s_cbranch_execz .LBB25_288
.LBB25_287:
	v_bfe_u32 v14, v10, 24, 3
	v_ffbh_u32_e32 v24, v14
	v_min_u32_e32 v24, 32, v24
	v_lshrrev_b32_e32 v22, 27, v10
	v_subrev_u32_e32 v25, 28, v24
	v_and_b32_e32 v21, 0x80000000, v10
	v_and_b32_e32 v22, 15, v22
	v_bfe_u32 v23, v10, 27, 4
	v_lshlrev_b32_sdwa v10, v25, v10 dst_sel:DWORD dst_unused:UNUSED_PAD src0_sel:DWORD src1_sel:BYTE_3
	v_sub_u32_e32 v24, 29, v24
	v_and_b32_e32 v10, 7, v10
	v_cmp_eq_u16_e32 vcc, 0, v22
	v_cndmask_b32_e32 v10, v14, v10, vcc
	v_cndmask_b32_e32 v14, v23, v24, vcc
	v_mov_b32_e32 v22, 0x3b800000
	v_lshlrev_b32_e32 v10, 20, v10
	v_lshl_add_u32 v14, v14, 23, v22
	v_or3_b32 v14, v21, v14, v10
.LBB25_288:
	s_or_b64 exec, exec, s[6:7]
	s_nop 0
	v_mfma_f32_16x16x4f32 a[0:3], v20, v14, a[0:3]
	s_movk_i32 s4, 0x7f
	v_cmp_gt_i16_sdwa s[6:7], v15, s4 src0_sel:BYTE_0 src1_sel:DWORD
	s_mov_b64 s[4:5], 0
                                        ; implicit-def: $sgpr10
	s_and_saveexec_b64 s[8:9], s[6:7]
	s_xor_b64 s[6:7], exec, s[8:9]
	s_cbranch_execnz .LBB25_2337
; %bb.289:
	s_or_saveexec_b64 s[6:7], s[6:7]
	v_mov_b32_e32 v10, s10
	s_xor_b64 exec, exec, s[6:7]
	s_cbranch_execnz .LBB25_2340
.LBB25_290:
	s_or_b64 exec, exec, s[6:7]
	s_and_saveexec_b64 s[6:7], s[4:5]
	s_cbranch_execz .LBB25_292
.LBB25_291:
	v_and_b32_e32 v10, 7, v15
	v_ffbh_u32_e32 v20, v10
	v_min_u32_e32 v20, 32, v20
	v_lshrrev_b16_e32 v14, 3, v15
	v_subrev_u32_e32 v21, 28, v20
	v_and_b32_e32 v14, 15, v14
	v_lshlrev_b32_e32 v21, v21, v15
	v_sub_u32_e32 v20, 29, v20
	v_and_b32_e32 v21, 7, v21
	v_cmp_eq_u16_e32 vcc, 0, v14
	v_cndmask_b32_e32 v10, v10, v21, vcc
	v_cndmask_b32_e32 v14, v14, v20, vcc
	v_lshlrev_b32_e32 v20, 24, v15
	v_mov_b32_e32 v21, 0x3b800000
	v_lshlrev_b32_e32 v10, 20, v10
	v_and_b32_e32 v20, 0x80000000, v20
	v_lshl_add_u32 v14, v14, 23, v21
	v_or3_b32 v10, v20, v14, v10
.LBB25_292:
	s_or_b64 exec, exec, s[6:7]
	s_movk_i32 s4, 0x7f
	v_cmp_gt_i16_sdwa s[6:7], v11, s4 src0_sel:BYTE_0 src1_sel:DWORD
	s_mov_b64 s[4:5], 0
                                        ; implicit-def: $sgpr10
	s_and_saveexec_b64 s[8:9], s[6:7]
	s_xor_b64 s[6:7], exec, s[8:9]
	s_cbranch_execnz .LBB25_2341
; %bb.293:
	s_or_saveexec_b64 s[6:7], s[6:7]
	v_mov_b32_e32 v14, s10
	s_xor_b64 exec, exec, s[6:7]
	s_cbranch_execnz .LBB25_2344
.LBB25_294:
	s_or_b64 exec, exec, s[6:7]
	s_and_saveexec_b64 s[6:7], s[4:5]
	s_cbranch_execz .LBB25_296
.LBB25_295:
	v_and_b32_e32 v14, 7, v11
	v_ffbh_u32_e32 v21, v14
	v_min_u32_e32 v21, 32, v21
	v_lshrrev_b16_e32 v20, 3, v11
	v_subrev_u32_e32 v22, 28, v21
	v_and_b32_e32 v20, 15, v20
	v_lshlrev_b32_e32 v22, v22, v11
	v_sub_u32_e32 v21, 29, v21
	v_and_b32_e32 v22, 7, v22
	v_cmp_eq_u16_e32 vcc, 0, v20
	v_cndmask_b32_e32 v14, v14, v22, vcc
	v_cndmask_b32_e32 v20, v20, v21, vcc
	v_lshlrev_b32_e32 v21, 24, v11
	v_mov_b32_e32 v22, 0x3b800000
	v_lshlrev_b32_e32 v14, 20, v14
	v_and_b32_e32 v21, 0x80000000, v21
	v_lshl_add_u32 v20, v20, 23, v22
	v_or3_b32 v14, v21, v20, v14
.LBB25_296:
	s_or_b64 exec, exec, s[6:7]
	s_nop 0
	v_mfma_f32_16x16x4f32 a[0:3], v10, v14, a[0:3]
	v_lshrrev_b32_e32 v14, 8, v15
	s_movk_i32 s4, 0x7f
	v_cmp_gt_i16_sdwa s[6:7], v14, s4 src0_sel:BYTE_0 src1_sel:DWORD
	s_mov_b64 s[4:5], 0
                                        ; implicit-def: $sgpr10
	s_and_saveexec_b64 s[8:9], s[6:7]
	s_xor_b64 s[6:7], exec, s[8:9]
	s_cbranch_execnz .LBB25_2345
; %bb.297:
	s_or_saveexec_b64 s[6:7], s[6:7]
	v_mov_b32_e32 v10, s10
	s_xor_b64 exec, exec, s[6:7]
	s_cbranch_execnz .LBB25_2348
.LBB25_298:
	s_or_b64 exec, exec, s[6:7]
	s_and_saveexec_b64 s[6:7], s[4:5]
	s_cbranch_execz .LBB25_300
.LBB25_299:
	v_bfe_u32 v10, v15, 8, 3
	v_ffbh_u32_e32 v21, v10
	v_min_u32_e32 v21, 32, v21
	v_lshrrev_b16_e32 v20, 3, v14
	v_subrev_u32_e32 v22, 28, v21
	v_and_b32_e32 v20, 15, v20
	v_lshlrev_b32_e32 v14, v22, v14
	v_sub_u32_e32 v21, 29, v21
	v_and_b32_e32 v14, 7, v14
	v_cmp_eq_u16_e32 vcc, 0, v20
	v_cndmask_b32_e32 v10, v10, v14, vcc
	v_cndmask_b32_e32 v14, v20, v21, vcc
	v_lshlrev_b32_e32 v20, 16, v15
	v_mov_b32_e32 v21, 0x3b800000
	v_lshlrev_b32_e32 v10, 20, v10
	v_and_b32_e32 v20, 0x80000000, v20
	v_lshl_add_u32 v14, v14, 23, v21
	v_or3_b32 v10, v20, v14, v10
.LBB25_300:
	s_or_b64 exec, exec, s[6:7]
	v_lshrrev_b32_e32 v14, 8, v11
	s_movk_i32 s4, 0x7f
	v_cmp_gt_i16_sdwa s[6:7], v14, s4 src0_sel:BYTE_0 src1_sel:DWORD
	s_mov_b64 s[4:5], 0
                                        ; implicit-def: $sgpr10
	s_and_saveexec_b64 s[8:9], s[6:7]
	s_xor_b64 s[6:7], exec, s[8:9]
	s_cbranch_execnz .LBB25_2349
; %bb.301:
	s_or_saveexec_b64 s[6:7], s[6:7]
	v_mov_b32_e32 v20, s10
	s_xor_b64 exec, exec, s[6:7]
	s_cbranch_execnz .LBB25_2352
.LBB25_302:
	s_or_b64 exec, exec, s[6:7]
	s_and_saveexec_b64 s[6:7], s[4:5]
	s_cbranch_execz .LBB25_304
.LBB25_303:
	v_bfe_u32 v20, v11, 8, 3
	v_ffbh_u32_e32 v22, v20
	v_min_u32_e32 v22, 32, v22
	v_lshrrev_b16_e32 v21, 3, v14
	v_subrev_u32_e32 v23, 28, v22
	v_and_b32_e32 v21, 15, v21
	v_lshlrev_b32_e32 v14, v23, v14
	v_sub_u32_e32 v22, 29, v22
	v_and_b32_e32 v14, 7, v14
	v_cmp_eq_u16_e32 vcc, 0, v21
	v_cndmask_b32_e32 v14, v20, v14, vcc
	v_cndmask_b32_e32 v20, v21, v22, vcc
	v_lshlrev_b32_e32 v21, 16, v11
	v_mov_b32_e32 v22, 0x3b800000
	v_lshlrev_b32_e32 v14, 20, v14
	v_and_b32_e32 v21, 0x80000000, v21
	v_lshl_add_u32 v20, v20, 23, v22
	v_or3_b32 v20, v21, v20, v14
.LBB25_304:
	s_or_b64 exec, exec, s[6:7]
	s_nop 0
	v_mfma_f32_16x16x4f32 a[0:3], v10, v20, a[0:3]
	s_movk_i32 s4, 0xff
	v_and_b32_sdwa v14, v15, s4 dst_sel:DWORD dst_unused:UNUSED_PAD src0_sel:WORD_1 src1_sel:DWORD
	s_movk_i32 s4, 0x7f
	v_cmp_lt_i16_e32 vcc, s4, v14
	s_mov_b64 s[4:5], 0
                                        ; implicit-def: $sgpr10
	s_and_saveexec_b64 s[6:7], vcc
	s_xor_b64 s[6:7], exec, s[6:7]
	s_cbranch_execnz .LBB25_2353
; %bb.305:
	s_or_saveexec_b64 s[6:7], s[6:7]
	v_mov_b32_e32 v10, s10
	s_xor_b64 exec, exec, s[6:7]
	s_cbranch_execnz .LBB25_2356
.LBB25_306:
	s_or_b64 exec, exec, s[6:7]
	s_and_saveexec_b64 s[6:7], s[4:5]
	s_cbranch_execz .LBB25_308
.LBB25_307:
	v_bfe_u32 v10, v15, 16, 3
	v_ffbh_u32_e32 v21, v10
	v_min_u32_e32 v21, 32, v21
	v_lshrrev_b32_e32 v14, 19, v15
	v_subrev_u32_e32 v22, 28, v21
	v_and_b32_e32 v14, 15, v14
	v_lshlrev_b32_sdwa v22, v22, v15 dst_sel:DWORD dst_unused:UNUSED_PAD src0_sel:DWORD src1_sel:WORD_1
	v_bfe_u32 v20, v15, 19, 4
	v_sub_u32_e32 v21, 29, v21
	v_and_b32_e32 v22, 7, v22
	v_cmp_eq_u16_e32 vcc, 0, v14
	v_cndmask_b32_e32 v10, v10, v22, vcc
	v_cndmask_b32_e32 v14, v20, v21, vcc
	v_lshlrev_b32_e32 v20, 8, v15
	v_mov_b32_e32 v21, 0x3b800000
	v_lshlrev_b32_e32 v10, 20, v10
	v_and_b32_e32 v20, 0x80000000, v20
	v_lshl_add_u32 v14, v14, 23, v21
	v_or3_b32 v10, v20, v14, v10
.LBB25_308:
	s_or_b64 exec, exec, s[6:7]
	s_movk_i32 s4, 0xff
	v_and_b32_sdwa v14, v11, s4 dst_sel:DWORD dst_unused:UNUSED_PAD src0_sel:WORD_1 src1_sel:DWORD
	s_movk_i32 s4, 0x7f
	v_cmp_lt_i16_e32 vcc, s4, v14
	s_mov_b64 s[4:5], 0
                                        ; implicit-def: $sgpr10
	s_and_saveexec_b64 s[6:7], vcc
	s_xor_b64 s[6:7], exec, s[6:7]
	s_cbranch_execnz .LBB25_2357
; %bb.309:
	s_or_saveexec_b64 s[6:7], s[6:7]
	v_mov_b32_e32 v20, s10
	s_xor_b64 exec, exec, s[6:7]
	s_cbranch_execnz .LBB25_2360
.LBB25_310:
	s_or_b64 exec, exec, s[6:7]
	s_and_saveexec_b64 s[6:7], s[4:5]
	s_cbranch_execz .LBB25_312
.LBB25_311:
	v_bfe_u32 v14, v11, 16, 3
	v_ffbh_u32_e32 v22, v14
	v_min_u32_e32 v22, 32, v22
	v_lshrrev_b32_e32 v20, 19, v11
	v_subrev_u32_e32 v23, 28, v22
	v_and_b32_e32 v20, 15, v20
	v_lshlrev_b32_sdwa v23, v23, v11 dst_sel:DWORD dst_unused:UNUSED_PAD src0_sel:DWORD src1_sel:WORD_1
	v_bfe_u32 v21, v11, 19, 4
	v_sub_u32_e32 v22, 29, v22
	v_and_b32_e32 v23, 7, v23
	v_cmp_eq_u16_e32 vcc, 0, v20
	v_cndmask_b32_e32 v14, v14, v23, vcc
	v_cndmask_b32_e32 v20, v21, v22, vcc
	v_lshlrev_b32_e32 v21, 8, v11
	v_mov_b32_e32 v22, 0x3b800000
	v_lshlrev_b32_e32 v14, 20, v14
	v_and_b32_e32 v21, 0x80000000, v21
	v_lshl_add_u32 v20, v20, 23, v22
	v_or3_b32 v20, v21, v20, v14
.LBB25_312:
	s_or_b64 exec, exec, s[6:7]
	s_nop 0
	v_mfma_f32_16x16x4f32 a[0:3], v10, v20, a[0:3]
	s_movk_i32 s4, 0x7f
	v_cmp_gt_i16_sdwa s[6:7], v15, s4 src0_sel:BYTE_3 src1_sel:DWORD
	s_mov_b64 s[4:5], 0
                                        ; implicit-def: $sgpr10
	s_and_saveexec_b64 s[8:9], s[6:7]
	s_xor_b64 s[6:7], exec, s[8:9]
	s_cbranch_execnz .LBB25_2361
; %bb.313:
	s_or_saveexec_b64 s[6:7], s[6:7]
	v_mov_b32_e32 v10, s10
	s_xor_b64 exec, exec, s[6:7]
	s_cbranch_execnz .LBB25_2364
.LBB25_314:
	s_or_b64 exec, exec, s[6:7]
	s_and_saveexec_b64 s[6:7], s[4:5]
	s_cbranch_execz .LBB25_316
.LBB25_315:
	v_bfe_u32 v10, v15, 24, 3
	v_ffbh_u32_e32 v22, v10
	v_min_u32_e32 v22, 32, v22
	v_lshrrev_b32_e32 v20, 27, v15
	v_subrev_u32_e32 v23, 28, v22
	v_and_b32_e32 v14, 0x80000000, v15
	v_and_b32_e32 v20, 15, v20
	v_bfe_u32 v21, v15, 27, 4
	v_lshlrev_b32_sdwa v15, v23, v15 dst_sel:DWORD dst_unused:UNUSED_PAD src0_sel:DWORD src1_sel:BYTE_3
	v_sub_u32_e32 v22, 29, v22
	v_and_b32_e32 v15, 7, v15
	v_cmp_eq_u16_e32 vcc, 0, v20
	v_cndmask_b32_e32 v10, v10, v15, vcc
	v_cndmask_b32_e32 v15, v21, v22, vcc
	v_mov_b32_e32 v20, 0x3b800000
	v_lshlrev_b32_e32 v10, 20, v10
	v_lshl_add_u32 v15, v15, 23, v20
	v_or3_b32 v10, v14, v15, v10
.LBB25_316:
	s_or_b64 exec, exec, s[6:7]
	s_movk_i32 s4, 0x7f
	v_cmp_gt_i16_sdwa s[6:7], v11, s4 src0_sel:BYTE_3 src1_sel:DWORD
	s_mov_b64 s[4:5], 0
                                        ; implicit-def: $sgpr10
	s_and_saveexec_b64 s[8:9], s[6:7]
	s_xor_b64 s[6:7], exec, s[8:9]
	s_cbranch_execnz .LBB25_2365
; %bb.317:
	s_or_saveexec_b64 s[6:7], s[6:7]
	v_mov_b32_e32 v14, s10
	s_xor_b64 exec, exec, s[6:7]
	s_cbranch_execnz .LBB25_2368
.LBB25_318:
	s_or_b64 exec, exec, s[6:7]
	s_and_saveexec_b64 s[6:7], s[4:5]
	s_cbranch_execz .LBB25_320
.LBB25_319:
	v_bfe_u32 v14, v11, 24, 3
	v_ffbh_u32_e32 v22, v14
	v_min_u32_e32 v22, 32, v22
	v_lshrrev_b32_e32 v20, 27, v11
	v_subrev_u32_e32 v23, 28, v22
	v_and_b32_e32 v15, 0x80000000, v11
	v_and_b32_e32 v20, 15, v20
	v_bfe_u32 v21, v11, 27, 4
	v_lshlrev_b32_sdwa v11, v23, v11 dst_sel:DWORD dst_unused:UNUSED_PAD src0_sel:DWORD src1_sel:BYTE_3
	v_sub_u32_e32 v22, 29, v22
	v_and_b32_e32 v11, 7, v11
	v_cmp_eq_u16_e32 vcc, 0, v20
	v_cndmask_b32_e32 v11, v14, v11, vcc
	v_cndmask_b32_e32 v14, v21, v22, vcc
	v_mov_b32_e32 v20, 0x3b800000
	v_lshlrev_b32_e32 v11, 20, v11
	v_lshl_add_u32 v14, v14, 23, v20
	v_or3_b32 v14, v15, v14, v11
.LBB25_320:
	s_or_b64 exec, exec, s[6:7]
	s_nop 0
	v_mfma_f32_16x16x4f32 a[0:3], v10, v14, a[0:3]
	s_movk_i32 s4, 0x7f
	v_cmp_gt_i16_sdwa s[6:7], v16, s4 src0_sel:BYTE_0 src1_sel:DWORD
	s_mov_b64 s[4:5], 0
                                        ; implicit-def: $sgpr10
	s_and_saveexec_b64 s[8:9], s[6:7]
	s_xor_b64 s[6:7], exec, s[8:9]
	s_cbranch_execnz .LBB25_2369
; %bb.321:
	s_or_saveexec_b64 s[6:7], s[6:7]
	v_mov_b32_e32 v10, s10
	s_xor_b64 exec, exec, s[6:7]
	s_cbranch_execnz .LBB25_2372
.LBB25_322:
	s_or_b64 exec, exec, s[6:7]
	s_and_saveexec_b64 s[6:7], s[4:5]
	s_cbranch_execz .LBB25_324
.LBB25_323:
	v_and_b32_e32 v10, 7, v16
	v_ffbh_u32_e32 v14, v10
	v_min_u32_e32 v14, 32, v14
	v_lshrrev_b16_e32 v11, 3, v16
	v_subrev_u32_e32 v15, 28, v14
	v_and_b32_e32 v11, 15, v11
	v_lshlrev_b32_e32 v15, v15, v16
	v_sub_u32_e32 v14, 29, v14
	v_and_b32_e32 v15, 7, v15
	v_cmp_eq_u16_e32 vcc, 0, v11
	v_cndmask_b32_e32 v10, v10, v15, vcc
	v_cndmask_b32_e32 v11, v11, v14, vcc
	v_lshlrev_b32_e32 v14, 24, v16
	v_mov_b32_e32 v15, 0x3b800000
	v_lshlrev_b32_e32 v10, 20, v10
	v_and_b32_e32 v14, 0x80000000, v14
	v_lshl_add_u32 v11, v11, 23, v15
	v_or3_b32 v10, v14, v11, v10
.LBB25_324:
	s_or_b64 exec, exec, s[6:7]
	s_movk_i32 s4, 0x7f
	v_cmp_gt_i16_sdwa s[6:7], v12, s4 src0_sel:BYTE_0 src1_sel:DWORD
	s_mov_b64 s[4:5], 0
                                        ; implicit-def: $sgpr10
	s_and_saveexec_b64 s[8:9], s[6:7]
	s_xor_b64 s[6:7], exec, s[8:9]
	s_cbranch_execnz .LBB25_2373
; %bb.325:
	s_or_saveexec_b64 s[6:7], s[6:7]
	v_mov_b32_e32 v11, s10
	s_xor_b64 exec, exec, s[6:7]
	s_cbranch_execnz .LBB25_2376
.LBB25_326:
	s_or_b64 exec, exec, s[6:7]
	s_and_saveexec_b64 s[6:7], s[4:5]
	s_cbranch_execz .LBB25_328
.LBB25_327:
	v_and_b32_e32 v11, 7, v12
	v_ffbh_u32_e32 v15, v11
	v_min_u32_e32 v15, 32, v15
	v_lshrrev_b16_e32 v14, 3, v12
	v_subrev_u32_e32 v20, 28, v15
	v_and_b32_e32 v14, 15, v14
	v_lshlrev_b32_e32 v20, v20, v12
	v_sub_u32_e32 v15, 29, v15
	v_and_b32_e32 v20, 7, v20
	v_cmp_eq_u16_e32 vcc, 0, v14
	v_cndmask_b32_e32 v11, v11, v20, vcc
	v_cndmask_b32_e32 v14, v14, v15, vcc
	v_lshlrev_b32_e32 v15, 24, v12
	v_mov_b32_e32 v20, 0x3b800000
	v_lshlrev_b32_e32 v11, 20, v11
	v_and_b32_e32 v15, 0x80000000, v15
	v_lshl_add_u32 v14, v14, 23, v20
	v_or3_b32 v11, v15, v14, v11
.LBB25_328:
	s_or_b64 exec, exec, s[6:7]
	s_nop 0
	v_mfma_f32_16x16x4f32 a[0:3], v10, v11, a[0:3]
	v_lshrrev_b32_e32 v11, 8, v16
	s_movk_i32 s4, 0x7f
	v_cmp_gt_i16_sdwa s[6:7], v11, s4 src0_sel:BYTE_0 src1_sel:DWORD
	s_mov_b64 s[4:5], 0
                                        ; implicit-def: $sgpr10
	s_and_saveexec_b64 s[8:9], s[6:7]
	s_xor_b64 s[6:7], exec, s[8:9]
	s_cbranch_execnz .LBB25_2377
; %bb.329:
	s_or_saveexec_b64 s[6:7], s[6:7]
	v_mov_b32_e32 v10, s10
	s_xor_b64 exec, exec, s[6:7]
	s_cbranch_execnz .LBB25_2380
.LBB25_330:
	s_or_b64 exec, exec, s[6:7]
	s_and_saveexec_b64 s[6:7], s[4:5]
	s_cbranch_execz .LBB25_332
.LBB25_331:
	v_bfe_u32 v10, v16, 8, 3
	v_ffbh_u32_e32 v15, v10
	v_min_u32_e32 v15, 32, v15
	v_lshrrev_b16_e32 v14, 3, v11
	v_subrev_u32_e32 v20, 28, v15
	v_and_b32_e32 v14, 15, v14
	v_lshlrev_b32_e32 v11, v20, v11
	v_sub_u32_e32 v15, 29, v15
	v_and_b32_e32 v11, 7, v11
	v_cmp_eq_u16_e32 vcc, 0, v14
	v_cndmask_b32_e32 v10, v10, v11, vcc
	v_cndmask_b32_e32 v11, v14, v15, vcc
	v_lshlrev_b32_e32 v14, 16, v16
	v_mov_b32_e32 v15, 0x3b800000
	v_lshlrev_b32_e32 v10, 20, v10
	v_and_b32_e32 v14, 0x80000000, v14
	v_lshl_add_u32 v11, v11, 23, v15
	v_or3_b32 v10, v14, v11, v10
.LBB25_332:
	s_or_b64 exec, exec, s[6:7]
	v_lshrrev_b32_e32 v11, 8, v12
	s_movk_i32 s4, 0x7f
	v_cmp_gt_i16_sdwa s[6:7], v11, s4 src0_sel:BYTE_0 src1_sel:DWORD
	s_mov_b64 s[4:5], 0
                                        ; implicit-def: $sgpr10
	s_and_saveexec_b64 s[8:9], s[6:7]
	s_xor_b64 s[6:7], exec, s[8:9]
	s_cbranch_execnz .LBB25_2381
; %bb.333:
	s_or_saveexec_b64 s[6:7], s[6:7]
	v_mov_b32_e32 v14, s10
	s_xor_b64 exec, exec, s[6:7]
	s_cbranch_execnz .LBB25_2384
.LBB25_334:
	s_or_b64 exec, exec, s[6:7]
	s_and_saveexec_b64 s[6:7], s[4:5]
	s_cbranch_execz .LBB25_336
.LBB25_335:
	v_bfe_u32 v14, v12, 8, 3
	v_ffbh_u32_e32 v20, v14
	v_min_u32_e32 v20, 32, v20
	v_lshrrev_b16_e32 v15, 3, v11
	v_subrev_u32_e32 v21, 28, v20
	v_and_b32_e32 v15, 15, v15
	v_lshlrev_b32_e32 v11, v21, v11
	v_sub_u32_e32 v20, 29, v20
	v_and_b32_e32 v11, 7, v11
	v_cmp_eq_u16_e32 vcc, 0, v15
	v_cndmask_b32_e32 v11, v14, v11, vcc
	v_cndmask_b32_e32 v14, v15, v20, vcc
	v_lshlrev_b32_e32 v15, 16, v12
	v_mov_b32_e32 v20, 0x3b800000
	v_lshlrev_b32_e32 v11, 20, v11
	v_and_b32_e32 v15, 0x80000000, v15
	v_lshl_add_u32 v14, v14, 23, v20
	v_or3_b32 v14, v15, v14, v11
.LBB25_336:
	s_or_b64 exec, exec, s[6:7]
	s_nop 0
	v_mfma_f32_16x16x4f32 a[0:3], v10, v14, a[0:3]
	s_movk_i32 s4, 0xff
	v_and_b32_sdwa v11, v16, s4 dst_sel:DWORD dst_unused:UNUSED_PAD src0_sel:WORD_1 src1_sel:DWORD
	s_movk_i32 s4, 0x7f
	v_cmp_lt_i16_e32 vcc, s4, v11
	s_mov_b64 s[4:5], 0
                                        ; implicit-def: $sgpr10
	s_and_saveexec_b64 s[6:7], vcc
	s_xor_b64 s[6:7], exec, s[6:7]
	s_cbranch_execnz .LBB25_2385
; %bb.337:
	s_or_saveexec_b64 s[6:7], s[6:7]
	v_mov_b32_e32 v10, s10
	s_xor_b64 exec, exec, s[6:7]
	s_cbranch_execnz .LBB25_2388
.LBB25_338:
	s_or_b64 exec, exec, s[6:7]
	s_and_saveexec_b64 s[6:7], s[4:5]
	s_cbranch_execz .LBB25_340
.LBB25_339:
	v_bfe_u32 v10, v16, 16, 3
	v_ffbh_u32_e32 v15, v10
	v_min_u32_e32 v15, 32, v15
	v_lshrrev_b32_e32 v11, 19, v16
	v_subrev_u32_e32 v20, 28, v15
	v_and_b32_e32 v11, 15, v11
	v_lshlrev_b32_sdwa v20, v20, v16 dst_sel:DWORD dst_unused:UNUSED_PAD src0_sel:DWORD src1_sel:WORD_1
	v_bfe_u32 v14, v16, 19, 4
	v_sub_u32_e32 v15, 29, v15
	v_and_b32_e32 v20, 7, v20
	v_cmp_eq_u16_e32 vcc, 0, v11
	v_cndmask_b32_e32 v10, v10, v20, vcc
	v_cndmask_b32_e32 v11, v14, v15, vcc
	v_lshlrev_b32_e32 v14, 8, v16
	v_mov_b32_e32 v15, 0x3b800000
	v_lshlrev_b32_e32 v10, 20, v10
	v_and_b32_e32 v14, 0x80000000, v14
	v_lshl_add_u32 v11, v11, 23, v15
	v_or3_b32 v10, v14, v11, v10
.LBB25_340:
	s_or_b64 exec, exec, s[6:7]
	s_movk_i32 s4, 0xff
	v_and_b32_sdwa v11, v12, s4 dst_sel:DWORD dst_unused:UNUSED_PAD src0_sel:WORD_1 src1_sel:DWORD
	s_movk_i32 s4, 0x7f
	v_cmp_lt_i16_e32 vcc, s4, v11
	s_mov_b64 s[4:5], 0
                                        ; implicit-def: $sgpr10
	s_and_saveexec_b64 s[6:7], vcc
	s_xor_b64 s[6:7], exec, s[6:7]
	s_cbranch_execnz .LBB25_2389
; %bb.341:
	s_or_saveexec_b64 s[6:7], s[6:7]
	v_mov_b32_e32 v14, s10
	s_xor_b64 exec, exec, s[6:7]
	s_cbranch_execnz .LBB25_2392
.LBB25_342:
	s_or_b64 exec, exec, s[6:7]
	s_and_saveexec_b64 s[6:7], s[4:5]
	s_cbranch_execz .LBB25_344
.LBB25_343:
	v_bfe_u32 v11, v12, 16, 3
	v_ffbh_u32_e32 v20, v11
	v_min_u32_e32 v20, 32, v20
	v_lshrrev_b32_e32 v14, 19, v12
	v_subrev_u32_e32 v21, 28, v20
	v_and_b32_e32 v14, 15, v14
	v_lshlrev_b32_sdwa v21, v21, v12 dst_sel:DWORD dst_unused:UNUSED_PAD src0_sel:DWORD src1_sel:WORD_1
	v_bfe_u32 v15, v12, 19, 4
	v_sub_u32_e32 v20, 29, v20
	v_and_b32_e32 v21, 7, v21
	v_cmp_eq_u16_e32 vcc, 0, v14
	v_cndmask_b32_e32 v11, v11, v21, vcc
	v_cndmask_b32_e32 v14, v15, v20, vcc
	v_lshlrev_b32_e32 v15, 8, v12
	v_mov_b32_e32 v20, 0x3b800000
	v_lshlrev_b32_e32 v11, 20, v11
	v_and_b32_e32 v15, 0x80000000, v15
	v_lshl_add_u32 v14, v14, 23, v20
	v_or3_b32 v14, v15, v14, v11
.LBB25_344:
	s_or_b64 exec, exec, s[6:7]
	s_nop 0
	v_mfma_f32_16x16x4f32 a[0:3], v10, v14, a[0:3]
	s_movk_i32 s4, 0x7f
	v_cmp_gt_i16_sdwa s[6:7], v16, s4 src0_sel:BYTE_3 src1_sel:DWORD
	s_mov_b64 s[4:5], 0
                                        ; implicit-def: $sgpr10
	s_and_saveexec_b64 s[8:9], s[6:7]
	s_xor_b64 s[6:7], exec, s[8:9]
	s_cbranch_execnz .LBB25_2393
; %bb.345:
	s_or_saveexec_b64 s[6:7], s[6:7]
	v_mov_b32_e32 v10, s10
	s_xor_b64 exec, exec, s[6:7]
	s_cbranch_execnz .LBB25_2396
.LBB25_346:
	s_or_b64 exec, exec, s[6:7]
	s_and_saveexec_b64 s[6:7], s[4:5]
	s_cbranch_execz .LBB25_348
.LBB25_347:
	v_bfe_u32 v10, v16, 24, 3
	v_ffbh_u32_e32 v20, v10
	v_min_u32_e32 v20, 32, v20
	v_lshrrev_b32_e32 v14, 27, v16
	v_subrev_u32_e32 v21, 28, v20
	v_and_b32_e32 v11, 0x80000000, v16
	v_and_b32_e32 v14, 15, v14
	v_bfe_u32 v15, v16, 27, 4
	v_lshlrev_b32_sdwa v16, v21, v16 dst_sel:DWORD dst_unused:UNUSED_PAD src0_sel:DWORD src1_sel:BYTE_3
	v_sub_u32_e32 v20, 29, v20
	v_and_b32_e32 v16, 7, v16
	v_cmp_eq_u16_e32 vcc, 0, v14
	v_cndmask_b32_e32 v10, v10, v16, vcc
	v_cndmask_b32_e32 v14, v15, v20, vcc
	v_mov_b32_e32 v15, 0x3b800000
	v_lshlrev_b32_e32 v10, 20, v10
	v_lshl_add_u32 v14, v14, 23, v15
	v_or3_b32 v10, v11, v14, v10
.LBB25_348:
	s_or_b64 exec, exec, s[6:7]
	s_movk_i32 s4, 0x7f
	v_cmp_gt_i16_sdwa s[6:7], v12, s4 src0_sel:BYTE_3 src1_sel:DWORD
	s_mov_b64 s[4:5], 0
                                        ; implicit-def: $sgpr10
	s_and_saveexec_b64 s[8:9], s[6:7]
	s_xor_b64 s[6:7], exec, s[8:9]
	s_cbranch_execnz .LBB25_2397
; %bb.349:
	s_or_saveexec_b64 s[6:7], s[6:7]
	v_mov_b32_e32 v11, s10
	s_xor_b64 exec, exec, s[6:7]
	s_cbranch_execnz .LBB25_2400
.LBB25_350:
	s_or_b64 exec, exec, s[6:7]
	s_and_saveexec_b64 s[6:7], s[4:5]
	s_cbranch_execz .LBB25_352
.LBB25_351:
	v_bfe_u32 v11, v12, 24, 3
	v_ffbh_u32_e32 v20, v11
	v_min_u32_e32 v20, 32, v20
	v_lshrrev_b32_e32 v15, 27, v12
	v_subrev_u32_e32 v21, 28, v20
	v_and_b32_e32 v14, 0x80000000, v12
	v_and_b32_e32 v15, 15, v15
	v_bfe_u32 v16, v12, 27, 4
	v_lshlrev_b32_sdwa v12, v21, v12 dst_sel:DWORD dst_unused:UNUSED_PAD src0_sel:DWORD src1_sel:BYTE_3
	v_sub_u32_e32 v20, 29, v20
	v_and_b32_e32 v12, 7, v12
	v_cmp_eq_u16_e32 vcc, 0, v15
	v_cndmask_b32_e32 v11, v11, v12, vcc
	v_cndmask_b32_e32 v12, v16, v20, vcc
	v_mov_b32_e32 v15, 0x3b800000
	v_lshlrev_b32_e32 v11, 20, v11
	v_lshl_add_u32 v12, v12, 23, v15
	v_or3_b32 v11, v14, v12, v11
.LBB25_352:
	s_or_b64 exec, exec, s[6:7]
	s_nop 0
	v_mfma_f32_16x16x4f32 a[0:3], v10, v11, a[0:3]
	s_movk_i32 s4, 0x7f
	v_cmp_gt_i16_sdwa s[6:7], v17, s4 src0_sel:BYTE_0 src1_sel:DWORD
	s_mov_b64 s[4:5], 0
                                        ; implicit-def: $sgpr10
	s_and_saveexec_b64 s[8:9], s[6:7]
	s_xor_b64 s[6:7], exec, s[8:9]
	s_cbranch_execnz .LBB25_2401
; %bb.353:
	s_or_saveexec_b64 s[6:7], s[6:7]
	v_mov_b32_e32 v10, s10
	s_xor_b64 exec, exec, s[6:7]
	s_cbranch_execnz .LBB25_2404
.LBB25_354:
	s_or_b64 exec, exec, s[6:7]
	s_and_saveexec_b64 s[6:7], s[4:5]
	s_cbranch_execz .LBB25_356
.LBB25_355:
	v_and_b32_e32 v10, 7, v17
	v_ffbh_u32_e32 v12, v10
	v_min_u32_e32 v12, 32, v12
	v_lshrrev_b16_e32 v11, 3, v17
	v_subrev_u32_e32 v14, 28, v12
	v_and_b32_e32 v11, 15, v11
	v_lshlrev_b32_e32 v14, v14, v17
	v_sub_u32_e32 v12, 29, v12
	v_and_b32_e32 v14, 7, v14
	v_cmp_eq_u16_e32 vcc, 0, v11
	v_cndmask_b32_e32 v10, v10, v14, vcc
	v_cndmask_b32_e32 v11, v11, v12, vcc
	v_lshlrev_b32_e32 v12, 24, v17
	v_mov_b32_e32 v14, 0x3b800000
	v_lshlrev_b32_e32 v10, 20, v10
	v_and_b32_e32 v12, 0x80000000, v12
	v_lshl_add_u32 v11, v11, 23, v14
	v_or3_b32 v10, v12, v11, v10
.LBB25_356:
	s_or_b64 exec, exec, s[6:7]
	s_movk_i32 s4, 0x7f
	v_cmp_gt_i16_sdwa s[6:7], v13, s4 src0_sel:BYTE_0 src1_sel:DWORD
	s_mov_b64 s[4:5], 0
                                        ; implicit-def: $sgpr10
	s_and_saveexec_b64 s[8:9], s[6:7]
	s_xor_b64 s[6:7], exec, s[8:9]
	s_cbranch_execnz .LBB25_2405
; %bb.357:
	s_or_saveexec_b64 s[6:7], s[6:7]
	v_mov_b32_e32 v11, s10
	s_xor_b64 exec, exec, s[6:7]
	s_cbranch_execnz .LBB25_2408
.LBB25_358:
	s_or_b64 exec, exec, s[6:7]
	s_and_saveexec_b64 s[6:7], s[4:5]
	s_cbranch_execz .LBB25_360
.LBB25_359:
	v_and_b32_e32 v11, 7, v13
	v_ffbh_u32_e32 v14, v11
	v_min_u32_e32 v14, 32, v14
	v_lshrrev_b16_e32 v12, 3, v13
	v_subrev_u32_e32 v15, 28, v14
	v_and_b32_e32 v12, 15, v12
	v_lshlrev_b32_e32 v15, v15, v13
	v_sub_u32_e32 v14, 29, v14
	v_and_b32_e32 v15, 7, v15
	v_cmp_eq_u16_e32 vcc, 0, v12
	v_cndmask_b32_e32 v11, v11, v15, vcc
	v_cndmask_b32_e32 v12, v12, v14, vcc
	v_lshlrev_b32_e32 v14, 24, v13
	v_mov_b32_e32 v15, 0x3b800000
	v_lshlrev_b32_e32 v11, 20, v11
	v_and_b32_e32 v14, 0x80000000, v14
	v_lshl_add_u32 v12, v12, 23, v15
	v_or3_b32 v11, v14, v12, v11
.LBB25_360:
	s_or_b64 exec, exec, s[6:7]
	s_nop 0
	v_mfma_f32_16x16x4f32 a[0:3], v10, v11, a[0:3]
	v_lshrrev_b32_e32 v11, 8, v17
	s_movk_i32 s4, 0x7f
	v_cmp_gt_i16_sdwa s[6:7], v11, s4 src0_sel:BYTE_0 src1_sel:DWORD
	s_mov_b64 s[4:5], 0
                                        ; implicit-def: $sgpr10
	s_and_saveexec_b64 s[8:9], s[6:7]
	s_xor_b64 s[6:7], exec, s[8:9]
	s_cbranch_execnz .LBB25_2409
; %bb.361:
	s_or_saveexec_b64 s[6:7], s[6:7]
	v_mov_b32_e32 v10, s10
	s_xor_b64 exec, exec, s[6:7]
	s_cbranch_execnz .LBB25_2412
.LBB25_362:
	s_or_b64 exec, exec, s[6:7]
	s_and_saveexec_b64 s[6:7], s[4:5]
	s_cbranch_execz .LBB25_364
.LBB25_363:
	v_bfe_u32 v10, v17, 8, 3
	v_ffbh_u32_e32 v14, v10
	v_min_u32_e32 v14, 32, v14
	v_lshrrev_b16_e32 v12, 3, v11
	v_subrev_u32_e32 v15, 28, v14
	v_and_b32_e32 v12, 15, v12
	v_lshlrev_b32_e32 v11, v15, v11
	v_sub_u32_e32 v14, 29, v14
	v_and_b32_e32 v11, 7, v11
	v_cmp_eq_u16_e32 vcc, 0, v12
	v_cndmask_b32_e32 v10, v10, v11, vcc
	v_cndmask_b32_e32 v11, v12, v14, vcc
	v_lshlrev_b32_e32 v12, 16, v17
	v_mov_b32_e32 v14, 0x3b800000
	v_lshlrev_b32_e32 v10, 20, v10
	v_and_b32_e32 v12, 0x80000000, v12
	v_lshl_add_u32 v11, v11, 23, v14
	v_or3_b32 v10, v12, v11, v10
.LBB25_364:
	s_or_b64 exec, exec, s[6:7]
	v_lshrrev_b32_e32 v11, 8, v13
	s_movk_i32 s4, 0x7f
	v_cmp_gt_i16_sdwa s[6:7], v11, s4 src0_sel:BYTE_0 src1_sel:DWORD
	s_mov_b64 s[4:5], 0
                                        ; implicit-def: $sgpr10
	s_and_saveexec_b64 s[8:9], s[6:7]
	s_xor_b64 s[6:7], exec, s[8:9]
	s_cbranch_execnz .LBB25_2413
; %bb.365:
	s_or_saveexec_b64 s[6:7], s[6:7]
	v_mov_b32_e32 v12, s10
	s_xor_b64 exec, exec, s[6:7]
	s_cbranch_execnz .LBB25_2416
.LBB25_366:
	s_or_b64 exec, exec, s[6:7]
	s_and_saveexec_b64 s[6:7], s[4:5]
	s_cbranch_execz .LBB25_368
.LBB25_367:
	v_bfe_u32 v12, v13, 8, 3
	v_ffbh_u32_e32 v15, v12
	v_min_u32_e32 v15, 32, v15
	v_lshrrev_b16_e32 v14, 3, v11
	v_subrev_u32_e32 v16, 28, v15
	v_and_b32_e32 v14, 15, v14
	v_lshlrev_b32_e32 v11, v16, v11
	v_sub_u32_e32 v15, 29, v15
	v_and_b32_e32 v11, 7, v11
	v_cmp_eq_u16_e32 vcc, 0, v14
	v_cndmask_b32_e32 v11, v12, v11, vcc
	v_cndmask_b32_e32 v12, v14, v15, vcc
	v_lshlrev_b32_e32 v14, 16, v13
	v_mov_b32_e32 v15, 0x3b800000
	v_lshlrev_b32_e32 v11, 20, v11
	v_and_b32_e32 v14, 0x80000000, v14
	v_lshl_add_u32 v12, v12, 23, v15
	v_or3_b32 v12, v14, v12, v11
.LBB25_368:
	s_or_b64 exec, exec, s[6:7]
	s_nop 0
	v_mfma_f32_16x16x4f32 a[0:3], v10, v12, a[0:3]
	s_movk_i32 s4, 0xff
	v_and_b32_sdwa v11, v17, s4 dst_sel:DWORD dst_unused:UNUSED_PAD src0_sel:WORD_1 src1_sel:DWORD
	s_movk_i32 s4, 0x7f
	v_cmp_lt_i16_e32 vcc, s4, v11
	s_mov_b64 s[4:5], 0
                                        ; implicit-def: $sgpr10
	s_and_saveexec_b64 s[6:7], vcc
	s_xor_b64 s[6:7], exec, s[6:7]
	s_cbranch_execnz .LBB25_2417
; %bb.369:
	s_or_saveexec_b64 s[6:7], s[6:7]
	v_mov_b32_e32 v10, s10
	s_xor_b64 exec, exec, s[6:7]
	s_cbranch_execnz .LBB25_2420
.LBB25_370:
	s_or_b64 exec, exec, s[6:7]
	s_and_saveexec_b64 s[6:7], s[4:5]
	s_cbranch_execz .LBB25_372
.LBB25_371:
	v_bfe_u32 v10, v17, 16, 3
	v_ffbh_u32_e32 v14, v10
	v_min_u32_e32 v14, 32, v14
	v_lshrrev_b32_e32 v11, 19, v17
	v_subrev_u32_e32 v15, 28, v14
	v_and_b32_e32 v11, 15, v11
	v_lshlrev_b32_sdwa v15, v15, v17 dst_sel:DWORD dst_unused:UNUSED_PAD src0_sel:DWORD src1_sel:WORD_1
	v_bfe_u32 v12, v17, 19, 4
	v_sub_u32_e32 v14, 29, v14
	v_and_b32_e32 v15, 7, v15
	v_cmp_eq_u16_e32 vcc, 0, v11
	v_cndmask_b32_e32 v10, v10, v15, vcc
	v_cndmask_b32_e32 v11, v12, v14, vcc
	v_lshlrev_b32_e32 v12, 8, v17
	v_mov_b32_e32 v14, 0x3b800000
	v_lshlrev_b32_e32 v10, 20, v10
	v_and_b32_e32 v12, 0x80000000, v12
	v_lshl_add_u32 v11, v11, 23, v14
	v_or3_b32 v10, v12, v11, v10
.LBB25_372:
	s_or_b64 exec, exec, s[6:7]
	s_movk_i32 s4, 0xff
	v_and_b32_sdwa v11, v13, s4 dst_sel:DWORD dst_unused:UNUSED_PAD src0_sel:WORD_1 src1_sel:DWORD
	s_movk_i32 s4, 0x7f
	v_cmp_lt_i16_e32 vcc, s4, v11
	s_mov_b64 s[4:5], 0
                                        ; implicit-def: $sgpr10
	s_and_saveexec_b64 s[6:7], vcc
	s_xor_b64 s[6:7], exec, s[6:7]
	s_cbranch_execnz .LBB25_2421
; %bb.373:
	s_or_saveexec_b64 s[6:7], s[6:7]
	v_mov_b32_e32 v12, s10
	s_xor_b64 exec, exec, s[6:7]
	s_cbranch_execnz .LBB25_2424
.LBB25_374:
	s_or_b64 exec, exec, s[6:7]
	s_and_saveexec_b64 s[6:7], s[4:5]
	s_cbranch_execz .LBB25_376
.LBB25_375:
	v_bfe_u32 v11, v13, 16, 3
	v_ffbh_u32_e32 v15, v11
	v_min_u32_e32 v15, 32, v15
	v_lshrrev_b32_e32 v12, 19, v13
	v_subrev_u32_e32 v16, 28, v15
	v_and_b32_e32 v12, 15, v12
	v_lshlrev_b32_sdwa v16, v16, v13 dst_sel:DWORD dst_unused:UNUSED_PAD src0_sel:DWORD src1_sel:WORD_1
	v_bfe_u32 v14, v13, 19, 4
	v_sub_u32_e32 v15, 29, v15
	v_and_b32_e32 v16, 7, v16
	v_cmp_eq_u16_e32 vcc, 0, v12
	v_cndmask_b32_e32 v11, v11, v16, vcc
	v_cndmask_b32_e32 v12, v14, v15, vcc
	v_lshlrev_b32_e32 v14, 8, v13
	v_mov_b32_e32 v15, 0x3b800000
	v_lshlrev_b32_e32 v11, 20, v11
	v_and_b32_e32 v14, 0x80000000, v14
	v_lshl_add_u32 v12, v12, 23, v15
	v_or3_b32 v12, v14, v12, v11
.LBB25_376:
	s_or_b64 exec, exec, s[6:7]
	s_nop 0
	v_mfma_f32_16x16x4f32 a[0:3], v10, v12, a[0:3]
	s_movk_i32 s4, 0x7f
	v_cmp_gt_i16_sdwa s[6:7], v17, s4 src0_sel:BYTE_3 src1_sel:DWORD
	s_mov_b64 s[4:5], 0
                                        ; implicit-def: $sgpr10
	s_and_saveexec_b64 s[8:9], s[6:7]
	s_xor_b64 s[6:7], exec, s[8:9]
	s_cbranch_execnz .LBB25_2425
; %bb.377:
	s_or_saveexec_b64 s[6:7], s[6:7]
	v_mov_b32_e32 v10, s10
	s_xor_b64 exec, exec, s[6:7]
	s_cbranch_execnz .LBB25_2428
.LBB25_378:
	s_or_b64 exec, exec, s[6:7]
	s_and_saveexec_b64 s[6:7], s[4:5]
	s_cbranch_execz .LBB25_380
.LBB25_379:
	v_bfe_u32 v10, v17, 24, 3
	v_ffbh_u32_e32 v15, v10
	v_min_u32_e32 v15, 32, v15
	v_lshrrev_b32_e32 v12, 27, v17
	v_subrev_u32_e32 v16, 28, v15
	v_and_b32_e32 v12, 15, v12
	v_lshlrev_b32_sdwa v16, v16, v17 dst_sel:DWORD dst_unused:UNUSED_PAD src0_sel:DWORD src1_sel:BYTE_3
	v_bfe_u32 v14, v17, 27, 4
	v_sub_u32_e32 v15, 29, v15
	v_and_b32_e32 v16, 7, v16
	v_cmp_eq_u16_e32 vcc, 0, v12
	v_cndmask_b32_e32 v10, v10, v16, vcc
	v_cndmask_b32_e32 v12, v14, v15, vcc
	v_mov_b32_e32 v14, 0x3b800000
	v_and_b32_e32 v11, 0x80000000, v17
	v_lshlrev_b32_e32 v10, 20, v10
	v_lshl_add_u32 v12, v12, 23, v14
	v_or3_b32 v10, v11, v12, v10
.LBB25_380:
	s_or_b64 exec, exec, s[6:7]
	s_movk_i32 s4, 0x7f
	v_cmp_gt_i16_sdwa s[6:7], v13, s4 src0_sel:BYTE_3 src1_sel:DWORD
	s_mov_b64 s[4:5], 0
                                        ; implicit-def: $sgpr10
	s_and_saveexec_b64 s[8:9], s[6:7]
	s_xor_b64 s[6:7], exec, s[8:9]
	s_cbranch_execnz .LBB25_2429
; %bb.381:
	s_or_saveexec_b64 s[6:7], s[6:7]
	v_mov_b32_e32 v11, s10
	s_xor_b64 exec, exec, s[6:7]
	s_cbranch_execnz .LBB25_2432
.LBB25_382:
	s_or_b64 exec, exec, s[6:7]
	s_and_saveexec_b64 s[6:7], s[4:5]
	s_cbranch_execz .LBB25_384
.LBB25_383:
	v_bfe_u32 v11, v13, 24, 3
	v_ffbh_u32_e32 v16, v11
	v_min_u32_e32 v16, 32, v16
	v_lshrrev_b32_e32 v14, 27, v13
	v_subrev_u32_e32 v17, 28, v16
	v_and_b32_e32 v12, 0x80000000, v13
	v_and_b32_e32 v14, 15, v14
	v_bfe_u32 v15, v13, 27, 4
	v_lshlrev_b32_sdwa v13, v17, v13 dst_sel:DWORD dst_unused:UNUSED_PAD src0_sel:DWORD src1_sel:BYTE_3
	v_sub_u32_e32 v16, 29, v16
	v_and_b32_e32 v13, 7, v13
	v_cmp_eq_u16_e32 vcc, 0, v14
	v_cndmask_b32_e32 v11, v11, v13, vcc
	v_cndmask_b32_e32 v13, v15, v16, vcc
	v_mov_b32_e32 v14, 0x3b800000
	v_lshlrev_b32_e32 v11, 20, v11
	v_lshl_add_u32 v13, v13, 23, v14
	v_or3_b32 v11, v12, v13, v11
.LBB25_384:
	s_or_b64 exec, exec, s[6:7]
	s_nop 0
	v_mfma_f32_16x16x4f32 a[0:3], v10, v11, a[0:3]
	s_movk_i32 s4, 0x7f
	v_cmp_gt_i16_sdwa s[6:7], v6, s4 src0_sel:BYTE_0 src1_sel:DWORD
	s_mov_b64 s[4:5], 0
                                        ; implicit-def: $sgpr10
	s_and_saveexec_b64 s[8:9], s[6:7]
	s_xor_b64 s[6:7], exec, s[8:9]
	s_cbranch_execnz .LBB25_2433
; %bb.385:
	s_or_saveexec_b64 s[6:7], s[6:7]
	v_mov_b32_e32 v10, s10
	s_xor_b64 exec, exec, s[6:7]
	s_cbranch_execnz .LBB25_2436
.LBB25_386:
	s_or_b64 exec, exec, s[6:7]
	s_and_saveexec_b64 s[6:7], s[4:5]
	s_cbranch_execz .LBB25_388
.LBB25_387:
	v_and_b32_e32 v10, 7, v6
	v_ffbh_u32_e32 v12, v10
	v_min_u32_e32 v12, 32, v12
	v_lshrrev_b16_e32 v11, 3, v6
	v_subrev_u32_e32 v13, 28, v12
	v_and_b32_e32 v11, 15, v11
	v_lshlrev_b32_e32 v13, v13, v6
	v_sub_u32_e32 v12, 29, v12
	v_and_b32_e32 v13, 7, v13
	v_cmp_eq_u16_e32 vcc, 0, v11
	v_cndmask_b32_e32 v10, v10, v13, vcc
	v_cndmask_b32_e32 v11, v11, v12, vcc
	v_lshlrev_b32_e32 v12, 24, v6
	v_mov_b32_e32 v13, 0x3b800000
	v_lshlrev_b32_e32 v10, 20, v10
	v_and_b32_e32 v12, 0x80000000, v12
	v_lshl_add_u32 v11, v11, 23, v13
	v_or3_b32 v10, v12, v11, v10
.LBB25_388:
	s_or_b64 exec, exec, s[6:7]
	s_movk_i32 s4, 0x7f
	v_cmp_gt_i16_sdwa s[6:7], v2, s4 src0_sel:BYTE_0 src1_sel:DWORD
	s_mov_b64 s[4:5], 0
                                        ; implicit-def: $sgpr10
	s_and_saveexec_b64 s[8:9], s[6:7]
	s_xor_b64 s[6:7], exec, s[8:9]
	s_cbranch_execnz .LBB25_2437
; %bb.389:
	s_or_saveexec_b64 s[6:7], s[6:7]
	v_mov_b32_e32 v11, s10
	s_xor_b64 exec, exec, s[6:7]
	s_cbranch_execnz .LBB25_2440
.LBB25_390:
	s_or_b64 exec, exec, s[6:7]
	s_and_saveexec_b64 s[6:7], s[4:5]
	s_cbranch_execz .LBB25_392
.LBB25_391:
	v_and_b32_e32 v11, 7, v2
	v_ffbh_u32_e32 v13, v11
	v_min_u32_e32 v13, 32, v13
	v_lshrrev_b16_e32 v12, 3, v2
	v_subrev_u32_e32 v14, 28, v13
	v_and_b32_e32 v12, 15, v12
	v_lshlrev_b32_e32 v14, v14, v2
	v_sub_u32_e32 v13, 29, v13
	v_and_b32_e32 v14, 7, v14
	v_cmp_eq_u16_e32 vcc, 0, v12
	v_cndmask_b32_e32 v11, v11, v14, vcc
	v_cndmask_b32_e32 v12, v12, v13, vcc
	v_lshlrev_b32_e32 v13, 24, v2
	v_mov_b32_e32 v14, 0x3b800000
	v_lshlrev_b32_e32 v11, 20, v11
	v_and_b32_e32 v13, 0x80000000, v13
	v_lshl_add_u32 v12, v12, 23, v14
	v_or3_b32 v11, v13, v12, v11
.LBB25_392:
	s_or_b64 exec, exec, s[6:7]
	s_nop 0
	v_mfma_f32_16x16x4f32 a[0:3], v10, v11, a[0:3]
	v_lshrrev_b32_e32 v11, 8, v6
	s_movk_i32 s4, 0x7f
	v_cmp_gt_i16_sdwa s[6:7], v11, s4 src0_sel:BYTE_0 src1_sel:DWORD
	s_mov_b64 s[4:5], 0
                                        ; implicit-def: $sgpr10
	s_and_saveexec_b64 s[8:9], s[6:7]
	s_xor_b64 s[6:7], exec, s[8:9]
	s_cbranch_execnz .LBB25_2441
; %bb.393:
	s_or_saveexec_b64 s[6:7], s[6:7]
	v_mov_b32_e32 v10, s10
	s_xor_b64 exec, exec, s[6:7]
	s_cbranch_execnz .LBB25_2444
.LBB25_394:
	s_or_b64 exec, exec, s[6:7]
	s_and_saveexec_b64 s[6:7], s[4:5]
	s_cbranch_execz .LBB25_396
.LBB25_395:
	v_bfe_u32 v10, v6, 8, 3
	v_ffbh_u32_e32 v13, v10
	v_min_u32_e32 v13, 32, v13
	v_lshrrev_b16_e32 v12, 3, v11
	v_subrev_u32_e32 v14, 28, v13
	v_and_b32_e32 v12, 15, v12
	v_lshlrev_b32_e32 v11, v14, v11
	v_sub_u32_e32 v13, 29, v13
	v_and_b32_e32 v11, 7, v11
	v_cmp_eq_u16_e32 vcc, 0, v12
	v_cndmask_b32_e32 v10, v10, v11, vcc
	v_cndmask_b32_e32 v11, v12, v13, vcc
	v_lshlrev_b32_e32 v12, 16, v6
	v_mov_b32_e32 v13, 0x3b800000
	v_lshlrev_b32_e32 v10, 20, v10
	v_and_b32_e32 v12, 0x80000000, v12
	v_lshl_add_u32 v11, v11, 23, v13
	v_or3_b32 v10, v12, v11, v10
.LBB25_396:
	s_or_b64 exec, exec, s[6:7]
	v_lshrrev_b32_e32 v11, 8, v2
	s_movk_i32 s4, 0x7f
	v_cmp_gt_i16_sdwa s[6:7], v11, s4 src0_sel:BYTE_0 src1_sel:DWORD
	s_mov_b64 s[4:5], 0
                                        ; implicit-def: $sgpr10
	s_and_saveexec_b64 s[8:9], s[6:7]
	s_xor_b64 s[6:7], exec, s[8:9]
	s_cbranch_execnz .LBB25_2445
; %bb.397:
	s_or_saveexec_b64 s[6:7], s[6:7]
	v_mov_b32_e32 v12, s10
	s_xor_b64 exec, exec, s[6:7]
	s_cbranch_execnz .LBB25_2448
.LBB25_398:
	s_or_b64 exec, exec, s[6:7]
	s_and_saveexec_b64 s[6:7], s[4:5]
	s_cbranch_execz .LBB25_400
.LBB25_399:
	v_bfe_u32 v12, v2, 8, 3
	v_ffbh_u32_e32 v14, v12
	v_min_u32_e32 v14, 32, v14
	v_lshrrev_b16_e32 v13, 3, v11
	v_subrev_u32_e32 v15, 28, v14
	v_and_b32_e32 v13, 15, v13
	v_lshlrev_b32_e32 v11, v15, v11
	v_sub_u32_e32 v14, 29, v14
	v_and_b32_e32 v11, 7, v11
	v_cmp_eq_u16_e32 vcc, 0, v13
	v_cndmask_b32_e32 v11, v12, v11, vcc
	v_cndmask_b32_e32 v12, v13, v14, vcc
	v_lshlrev_b32_e32 v13, 16, v2
	v_mov_b32_e32 v14, 0x3b800000
	v_lshlrev_b32_e32 v11, 20, v11
	v_and_b32_e32 v13, 0x80000000, v13
	v_lshl_add_u32 v12, v12, 23, v14
	v_or3_b32 v12, v13, v12, v11
.LBB25_400:
	s_or_b64 exec, exec, s[6:7]
	s_nop 0
	v_mfma_f32_16x16x4f32 a[0:3], v10, v12, a[0:3]
	s_movk_i32 s4, 0xff
	v_and_b32_sdwa v11, v6, s4 dst_sel:DWORD dst_unused:UNUSED_PAD src0_sel:WORD_1 src1_sel:DWORD
	s_movk_i32 s4, 0x7f
	v_cmp_lt_i16_e32 vcc, s4, v11
	s_mov_b64 s[4:5], 0
                                        ; implicit-def: $sgpr10
	s_and_saveexec_b64 s[6:7], vcc
	s_xor_b64 s[6:7], exec, s[6:7]
	s_cbranch_execnz .LBB25_2449
; %bb.401:
	s_or_saveexec_b64 s[6:7], s[6:7]
	v_mov_b32_e32 v10, s10
	s_xor_b64 exec, exec, s[6:7]
	s_cbranch_execnz .LBB25_2452
.LBB25_402:
	s_or_b64 exec, exec, s[6:7]
	s_and_saveexec_b64 s[6:7], s[4:5]
	s_cbranch_execz .LBB25_404
.LBB25_403:
	v_bfe_u32 v10, v6, 16, 3
	v_ffbh_u32_e32 v13, v10
	v_min_u32_e32 v13, 32, v13
	v_lshrrev_b32_e32 v11, 19, v6
	v_subrev_u32_e32 v14, 28, v13
	v_and_b32_e32 v11, 15, v11
	v_lshlrev_b32_sdwa v14, v14, v6 dst_sel:DWORD dst_unused:UNUSED_PAD src0_sel:DWORD src1_sel:WORD_1
	v_bfe_u32 v12, v6, 19, 4
	v_sub_u32_e32 v13, 29, v13
	v_and_b32_e32 v14, 7, v14
	v_cmp_eq_u16_e32 vcc, 0, v11
	v_cndmask_b32_e32 v10, v10, v14, vcc
	v_cndmask_b32_e32 v11, v12, v13, vcc
	v_lshlrev_b32_e32 v12, 8, v6
	v_mov_b32_e32 v13, 0x3b800000
	v_lshlrev_b32_e32 v10, 20, v10
	v_and_b32_e32 v12, 0x80000000, v12
	v_lshl_add_u32 v11, v11, 23, v13
	v_or3_b32 v10, v12, v11, v10
.LBB25_404:
	s_or_b64 exec, exec, s[6:7]
	s_movk_i32 s4, 0xff
	v_and_b32_sdwa v11, v2, s4 dst_sel:DWORD dst_unused:UNUSED_PAD src0_sel:WORD_1 src1_sel:DWORD
	s_movk_i32 s4, 0x7f
	v_cmp_lt_i16_e32 vcc, s4, v11
	s_mov_b64 s[4:5], 0
                                        ; implicit-def: $sgpr10
	s_and_saveexec_b64 s[6:7], vcc
	s_xor_b64 s[6:7], exec, s[6:7]
	s_cbranch_execnz .LBB25_2453
; %bb.405:
	s_or_saveexec_b64 s[6:7], s[6:7]
	v_mov_b32_e32 v12, s10
	s_xor_b64 exec, exec, s[6:7]
	s_cbranch_execnz .LBB25_2456
.LBB25_406:
	s_or_b64 exec, exec, s[6:7]
	s_and_saveexec_b64 s[6:7], s[4:5]
	s_cbranch_execz .LBB25_408
.LBB25_407:
	v_bfe_u32 v11, v2, 16, 3
	v_ffbh_u32_e32 v14, v11
	v_min_u32_e32 v14, 32, v14
	v_lshrrev_b32_e32 v12, 19, v2
	v_subrev_u32_e32 v15, 28, v14
	v_and_b32_e32 v12, 15, v12
	v_lshlrev_b32_sdwa v15, v15, v2 dst_sel:DWORD dst_unused:UNUSED_PAD src0_sel:DWORD src1_sel:WORD_1
	v_bfe_u32 v13, v2, 19, 4
	v_sub_u32_e32 v14, 29, v14
	v_and_b32_e32 v15, 7, v15
	v_cmp_eq_u16_e32 vcc, 0, v12
	v_cndmask_b32_e32 v11, v11, v15, vcc
	v_cndmask_b32_e32 v12, v13, v14, vcc
	v_lshlrev_b32_e32 v13, 8, v2
	v_mov_b32_e32 v14, 0x3b800000
	v_lshlrev_b32_e32 v11, 20, v11
	v_and_b32_e32 v13, 0x80000000, v13
	v_lshl_add_u32 v12, v12, 23, v14
	v_or3_b32 v12, v13, v12, v11
.LBB25_408:
	s_or_b64 exec, exec, s[6:7]
	s_nop 0
	v_mfma_f32_16x16x4f32 a[0:3], v10, v12, a[0:3]
	s_movk_i32 s4, 0x7f
	v_cmp_gt_i16_sdwa s[6:7], v6, s4 src0_sel:BYTE_3 src1_sel:DWORD
	s_mov_b64 s[4:5], 0
                                        ; implicit-def: $sgpr10
	s_and_saveexec_b64 s[8:9], s[6:7]
	s_xor_b64 s[6:7], exec, s[8:9]
	s_cbranch_execnz .LBB25_2457
; %bb.409:
	s_or_saveexec_b64 s[6:7], s[6:7]
	v_mov_b32_e32 v10, s10
	s_xor_b64 exec, exec, s[6:7]
	s_cbranch_execnz .LBB25_2460
.LBB25_410:
	s_or_b64 exec, exec, s[6:7]
	s_and_saveexec_b64 s[6:7], s[4:5]
	s_cbranch_execz .LBB25_412
.LBB25_411:
	v_bfe_u32 v10, v6, 24, 3
	v_ffbh_u32_e32 v14, v10
	v_min_u32_e32 v14, 32, v14
	v_lshrrev_b32_e32 v12, 27, v6
	v_subrev_u32_e32 v15, 28, v14
	v_and_b32_e32 v11, 0x80000000, v6
	v_and_b32_e32 v12, 15, v12
	v_bfe_u32 v13, v6, 27, 4
	v_lshlrev_b32_sdwa v6, v15, v6 dst_sel:DWORD dst_unused:UNUSED_PAD src0_sel:DWORD src1_sel:BYTE_3
	v_sub_u32_e32 v14, 29, v14
	v_and_b32_e32 v6, 7, v6
	v_cmp_eq_u16_e32 vcc, 0, v12
	v_cndmask_b32_e32 v6, v10, v6, vcc
	v_cndmask_b32_e32 v10, v13, v14, vcc
	v_mov_b32_e32 v12, 0x3b800000
	v_lshlrev_b32_e32 v6, 20, v6
	v_lshl_add_u32 v10, v10, 23, v12
	v_or3_b32 v10, v11, v10, v6
.LBB25_412:
	s_or_b64 exec, exec, s[6:7]
	s_movk_i32 s4, 0x7f
	v_cmp_gt_i16_sdwa s[6:7], v2, s4 src0_sel:BYTE_3 src1_sel:DWORD
	s_mov_b64 s[4:5], 0
                                        ; implicit-def: $sgpr10
	s_and_saveexec_b64 s[8:9], s[6:7]
	s_xor_b64 s[6:7], exec, s[8:9]
	s_cbranch_execnz .LBB25_2461
; %bb.413:
	s_or_saveexec_b64 s[6:7], s[6:7]
	v_mov_b32_e32 v6, s10
	s_xor_b64 exec, exec, s[6:7]
	s_cbranch_execnz .LBB25_2464
.LBB25_414:
	s_or_b64 exec, exec, s[6:7]
	s_and_saveexec_b64 s[6:7], s[4:5]
	s_cbranch_execz .LBB25_416
.LBB25_415:
	v_bfe_u32 v6, v2, 24, 3
	v_ffbh_u32_e32 v14, v6
	v_min_u32_e32 v14, 32, v14
	v_lshrrev_b32_e32 v12, 27, v2
	v_subrev_u32_e32 v15, 28, v14
	v_and_b32_e32 v11, 0x80000000, v2
	v_and_b32_e32 v12, 15, v12
	v_bfe_u32 v13, v2, 27, 4
	v_lshlrev_b32_sdwa v2, v15, v2 dst_sel:DWORD dst_unused:UNUSED_PAD src0_sel:DWORD src1_sel:BYTE_3
	v_sub_u32_e32 v14, 29, v14
	v_and_b32_e32 v2, 7, v2
	v_cmp_eq_u16_e32 vcc, 0, v12
	v_cndmask_b32_e32 v2, v6, v2, vcc
	v_cndmask_b32_e32 v6, v13, v14, vcc
	v_mov_b32_e32 v12, 0x3b800000
	v_lshlrev_b32_e32 v2, 20, v2
	v_lshl_add_u32 v6, v6, 23, v12
	v_or3_b32 v6, v11, v6, v2
.LBB25_416:
	s_or_b64 exec, exec, s[6:7]
	s_nop 0
	v_mfma_f32_16x16x4f32 a[0:3], v10, v6, a[0:3]
	s_movk_i32 s4, 0x7f
	v_cmp_gt_i16_sdwa s[6:7], v7, s4 src0_sel:BYTE_0 src1_sel:DWORD
	s_mov_b64 s[4:5], 0
                                        ; implicit-def: $sgpr10
	s_and_saveexec_b64 s[8:9], s[6:7]
	s_xor_b64 s[6:7], exec, s[8:9]
	s_cbranch_execnz .LBB25_2465
; %bb.417:
	s_or_saveexec_b64 s[6:7], s[6:7]
	v_mov_b32_e32 v2, s10
	s_xor_b64 exec, exec, s[6:7]
	s_cbranch_execnz .LBB25_2468
.LBB25_418:
	s_or_b64 exec, exec, s[6:7]
	s_and_saveexec_b64 s[6:7], s[4:5]
	s_cbranch_execz .LBB25_420
.LBB25_419:
	v_and_b32_e32 v2, 7, v7
	v_ffbh_u32_e32 v10, v2
	v_min_u32_e32 v10, 32, v10
	v_lshrrev_b16_e32 v6, 3, v7
	v_subrev_u32_e32 v11, 28, v10
	v_and_b32_e32 v6, 15, v6
	v_lshlrev_b32_e32 v11, v11, v7
	v_sub_u32_e32 v10, 29, v10
	v_and_b32_e32 v11, 7, v11
	v_cmp_eq_u16_e32 vcc, 0, v6
	v_cndmask_b32_e32 v2, v2, v11, vcc
	v_cndmask_b32_e32 v6, v6, v10, vcc
	v_lshlrev_b32_e32 v10, 24, v7
	v_mov_b32_e32 v11, 0x3b800000
	v_lshlrev_b32_e32 v2, 20, v2
	v_and_b32_e32 v10, 0x80000000, v10
	v_lshl_add_u32 v6, v6, 23, v11
	v_or3_b32 v2, v10, v6, v2
.LBB25_420:
	s_or_b64 exec, exec, s[6:7]
	s_movk_i32 s4, 0x7f
	v_cmp_gt_i16_sdwa s[6:7], v3, s4 src0_sel:BYTE_0 src1_sel:DWORD
	s_mov_b64 s[4:5], 0
                                        ; implicit-def: $sgpr10
	s_and_saveexec_b64 s[8:9], s[6:7]
	s_xor_b64 s[6:7], exec, s[8:9]
	s_cbranch_execnz .LBB25_2469
; %bb.421:
	s_or_saveexec_b64 s[6:7], s[6:7]
	v_mov_b32_e32 v6, s10
	s_xor_b64 exec, exec, s[6:7]
	s_cbranch_execnz .LBB25_2472
.LBB25_422:
	s_or_b64 exec, exec, s[6:7]
	s_and_saveexec_b64 s[6:7], s[4:5]
	s_cbranch_execz .LBB25_424
.LBB25_423:
	v_and_b32_e32 v6, 7, v3
	v_ffbh_u32_e32 v11, v6
	v_min_u32_e32 v11, 32, v11
	v_lshrrev_b16_e32 v10, 3, v3
	v_subrev_u32_e32 v12, 28, v11
	v_and_b32_e32 v10, 15, v10
	v_lshlrev_b32_e32 v12, v12, v3
	v_sub_u32_e32 v11, 29, v11
	v_and_b32_e32 v12, 7, v12
	v_cmp_eq_u16_e32 vcc, 0, v10
	v_cndmask_b32_e32 v6, v6, v12, vcc
	v_cndmask_b32_e32 v10, v10, v11, vcc
	v_lshlrev_b32_e32 v11, 24, v3
	v_mov_b32_e32 v12, 0x3b800000
	v_lshlrev_b32_e32 v6, 20, v6
	v_and_b32_e32 v11, 0x80000000, v11
	v_lshl_add_u32 v10, v10, 23, v12
	v_or3_b32 v6, v11, v10, v6
.LBB25_424:
	s_or_b64 exec, exec, s[6:7]
	s_nop 0
	v_mfma_f32_16x16x4f32 a[0:3], v2, v6, a[0:3]
	v_lshrrev_b32_e32 v6, 8, v7
	s_movk_i32 s4, 0x7f
	v_cmp_gt_i16_sdwa s[6:7], v6, s4 src0_sel:BYTE_0 src1_sel:DWORD
	s_mov_b64 s[4:5], 0
                                        ; implicit-def: $sgpr10
	s_and_saveexec_b64 s[8:9], s[6:7]
	s_xor_b64 s[6:7], exec, s[8:9]
	s_cbranch_execnz .LBB25_2473
; %bb.425:
	s_or_saveexec_b64 s[6:7], s[6:7]
	v_mov_b32_e32 v2, s10
	s_xor_b64 exec, exec, s[6:7]
	s_cbranch_execnz .LBB25_2476
.LBB25_426:
	s_or_b64 exec, exec, s[6:7]
	s_and_saveexec_b64 s[6:7], s[4:5]
	s_cbranch_execz .LBB25_428
.LBB25_427:
	v_bfe_u32 v2, v7, 8, 3
	v_ffbh_u32_e32 v11, v2
	v_min_u32_e32 v11, 32, v11
	v_lshrrev_b16_e32 v10, 3, v6
	v_subrev_u32_e32 v12, 28, v11
	v_and_b32_e32 v10, 15, v10
	v_lshlrev_b32_e32 v6, v12, v6
	v_sub_u32_e32 v11, 29, v11
	v_and_b32_e32 v6, 7, v6
	v_cmp_eq_u16_e32 vcc, 0, v10
	v_cndmask_b32_e32 v2, v2, v6, vcc
	v_cndmask_b32_e32 v6, v10, v11, vcc
	v_lshlrev_b32_e32 v10, 16, v7
	v_mov_b32_e32 v11, 0x3b800000
	v_lshlrev_b32_e32 v2, 20, v2
	v_and_b32_e32 v10, 0x80000000, v10
	v_lshl_add_u32 v6, v6, 23, v11
	v_or3_b32 v2, v10, v6, v2
.LBB25_428:
	s_or_b64 exec, exec, s[6:7]
	v_lshrrev_b32_e32 v6, 8, v3
	s_movk_i32 s4, 0x7f
	v_cmp_gt_i16_sdwa s[6:7], v6, s4 src0_sel:BYTE_0 src1_sel:DWORD
	s_mov_b64 s[4:5], 0
                                        ; implicit-def: $sgpr10
	s_and_saveexec_b64 s[8:9], s[6:7]
	s_xor_b64 s[6:7], exec, s[8:9]
	s_cbranch_execnz .LBB25_2477
; %bb.429:
	s_or_saveexec_b64 s[6:7], s[6:7]
	v_mov_b32_e32 v10, s10
	s_xor_b64 exec, exec, s[6:7]
	s_cbranch_execnz .LBB25_2480
.LBB25_430:
	s_or_b64 exec, exec, s[6:7]
	s_and_saveexec_b64 s[6:7], s[4:5]
	s_cbranch_execz .LBB25_432
.LBB25_431:
	v_bfe_u32 v10, v3, 8, 3
	v_ffbh_u32_e32 v12, v10
	v_min_u32_e32 v12, 32, v12
	v_lshrrev_b16_e32 v11, 3, v6
	v_subrev_u32_e32 v13, 28, v12
	v_and_b32_e32 v11, 15, v11
	v_lshlrev_b32_e32 v6, v13, v6
	v_sub_u32_e32 v12, 29, v12
	v_and_b32_e32 v6, 7, v6
	v_cmp_eq_u16_e32 vcc, 0, v11
	v_cndmask_b32_e32 v6, v10, v6, vcc
	v_cndmask_b32_e32 v10, v11, v12, vcc
	v_lshlrev_b32_e32 v11, 16, v3
	v_mov_b32_e32 v12, 0x3b800000
	v_lshlrev_b32_e32 v6, 20, v6
	v_and_b32_e32 v11, 0x80000000, v11
	v_lshl_add_u32 v10, v10, 23, v12
	v_or3_b32 v10, v11, v10, v6
.LBB25_432:
	s_or_b64 exec, exec, s[6:7]
	s_nop 0
	v_mfma_f32_16x16x4f32 a[0:3], v2, v10, a[0:3]
	s_movk_i32 s4, 0xff
	v_and_b32_sdwa v6, v7, s4 dst_sel:DWORD dst_unused:UNUSED_PAD src0_sel:WORD_1 src1_sel:DWORD
	s_movk_i32 s4, 0x7f
	v_cmp_lt_i16_e32 vcc, s4, v6
	s_mov_b64 s[4:5], 0
                                        ; implicit-def: $sgpr10
	s_and_saveexec_b64 s[6:7], vcc
	s_xor_b64 s[6:7], exec, s[6:7]
	s_cbranch_execnz .LBB25_2481
; %bb.433:
	s_or_saveexec_b64 s[6:7], s[6:7]
	v_mov_b32_e32 v2, s10
	s_xor_b64 exec, exec, s[6:7]
	s_cbranch_execnz .LBB25_2484
.LBB25_434:
	s_or_b64 exec, exec, s[6:7]
	s_and_saveexec_b64 s[6:7], s[4:5]
	s_cbranch_execz .LBB25_436
.LBB25_435:
	v_bfe_u32 v2, v7, 16, 3
	v_ffbh_u32_e32 v11, v2
	v_min_u32_e32 v11, 32, v11
	v_lshrrev_b32_e32 v6, 19, v7
	v_subrev_u32_e32 v12, 28, v11
	v_and_b32_e32 v6, 15, v6
	v_lshlrev_b32_sdwa v12, v12, v7 dst_sel:DWORD dst_unused:UNUSED_PAD src0_sel:DWORD src1_sel:WORD_1
	v_bfe_u32 v10, v7, 19, 4
	v_sub_u32_e32 v11, 29, v11
	v_and_b32_e32 v12, 7, v12
	v_cmp_eq_u16_e32 vcc, 0, v6
	v_cndmask_b32_e32 v2, v2, v12, vcc
	v_cndmask_b32_e32 v6, v10, v11, vcc
	v_lshlrev_b32_e32 v10, 8, v7
	v_mov_b32_e32 v11, 0x3b800000
	v_lshlrev_b32_e32 v2, 20, v2
	v_and_b32_e32 v10, 0x80000000, v10
	v_lshl_add_u32 v6, v6, 23, v11
	v_or3_b32 v2, v10, v6, v2
.LBB25_436:
	s_or_b64 exec, exec, s[6:7]
	s_movk_i32 s4, 0xff
	v_and_b32_sdwa v6, v3, s4 dst_sel:DWORD dst_unused:UNUSED_PAD src0_sel:WORD_1 src1_sel:DWORD
	s_movk_i32 s4, 0x7f
	v_cmp_lt_i16_e32 vcc, s4, v6
	s_mov_b64 s[4:5], 0
                                        ; implicit-def: $sgpr10
	s_and_saveexec_b64 s[6:7], vcc
	s_xor_b64 s[6:7], exec, s[6:7]
	s_cbranch_execnz .LBB25_2485
; %bb.437:
	s_or_saveexec_b64 s[6:7], s[6:7]
	v_mov_b32_e32 v10, s10
	s_xor_b64 exec, exec, s[6:7]
	s_cbranch_execnz .LBB25_2488
.LBB25_438:
	s_or_b64 exec, exec, s[6:7]
	s_and_saveexec_b64 s[6:7], s[4:5]
	s_cbranch_execz .LBB25_440
.LBB25_439:
	v_bfe_u32 v6, v3, 16, 3
	v_ffbh_u32_e32 v12, v6
	v_min_u32_e32 v12, 32, v12
	v_lshrrev_b32_e32 v10, 19, v3
	v_subrev_u32_e32 v13, 28, v12
	v_and_b32_e32 v10, 15, v10
	v_lshlrev_b32_sdwa v13, v13, v3 dst_sel:DWORD dst_unused:UNUSED_PAD src0_sel:DWORD src1_sel:WORD_1
	v_bfe_u32 v11, v3, 19, 4
	v_sub_u32_e32 v12, 29, v12
	v_and_b32_e32 v13, 7, v13
	v_cmp_eq_u16_e32 vcc, 0, v10
	v_cndmask_b32_e32 v6, v6, v13, vcc
	v_cndmask_b32_e32 v10, v11, v12, vcc
	v_lshlrev_b32_e32 v11, 8, v3
	v_mov_b32_e32 v12, 0x3b800000
	v_lshlrev_b32_e32 v6, 20, v6
	v_and_b32_e32 v11, 0x80000000, v11
	v_lshl_add_u32 v10, v10, 23, v12
	v_or3_b32 v10, v11, v10, v6
.LBB25_440:
	s_or_b64 exec, exec, s[6:7]
	s_nop 0
	v_mfma_f32_16x16x4f32 a[0:3], v2, v10, a[0:3]
	s_movk_i32 s4, 0x7f
	v_cmp_gt_i16_sdwa s[6:7], v7, s4 src0_sel:BYTE_3 src1_sel:DWORD
	s_mov_b64 s[4:5], 0
                                        ; implicit-def: $sgpr10
	s_and_saveexec_b64 s[8:9], s[6:7]
	s_xor_b64 s[6:7], exec, s[8:9]
	s_cbranch_execnz .LBB25_2489
; %bb.441:
	s_or_saveexec_b64 s[6:7], s[6:7]
	v_mov_b32_e32 v2, s10
	s_xor_b64 exec, exec, s[6:7]
	s_cbranch_execnz .LBB25_2492
.LBB25_442:
	s_or_b64 exec, exec, s[6:7]
	s_and_saveexec_b64 s[6:7], s[4:5]
	s_cbranch_execz .LBB25_444
.LBB25_443:
	v_bfe_u32 v2, v7, 24, 3
	v_ffbh_u32_e32 v12, v2
	v_min_u32_e32 v12, 32, v12
	v_lshrrev_b32_e32 v10, 27, v7
	v_subrev_u32_e32 v13, 28, v12
	v_and_b32_e32 v6, 0x80000000, v7
	v_and_b32_e32 v10, 15, v10
	v_bfe_u32 v11, v7, 27, 4
	v_lshlrev_b32_sdwa v7, v13, v7 dst_sel:DWORD dst_unused:UNUSED_PAD src0_sel:DWORD src1_sel:BYTE_3
	v_sub_u32_e32 v12, 29, v12
	v_and_b32_e32 v7, 7, v7
	v_cmp_eq_u16_e32 vcc, 0, v10
	v_cndmask_b32_e32 v2, v2, v7, vcc
	v_cndmask_b32_e32 v7, v11, v12, vcc
	v_mov_b32_e32 v10, 0x3b800000
	v_lshlrev_b32_e32 v2, 20, v2
	v_lshl_add_u32 v7, v7, 23, v10
	v_or3_b32 v2, v6, v7, v2
.LBB25_444:
	s_or_b64 exec, exec, s[6:7]
	s_movk_i32 s4, 0x7f
	v_cmp_gt_i16_sdwa s[6:7], v3, s4 src0_sel:BYTE_3 src1_sel:DWORD
	s_mov_b64 s[4:5], 0
                                        ; implicit-def: $sgpr10
	s_and_saveexec_b64 s[8:9], s[6:7]
	s_xor_b64 s[6:7], exec, s[8:9]
	s_cbranch_execnz .LBB25_2493
; %bb.445:
	s_or_saveexec_b64 s[6:7], s[6:7]
	v_mov_b32_e32 v6, s10
	s_xor_b64 exec, exec, s[6:7]
	s_cbranch_execnz .LBB25_2496
.LBB25_446:
	s_or_b64 exec, exec, s[6:7]
	s_and_saveexec_b64 s[6:7], s[4:5]
	s_cbranch_execz .LBB25_448
.LBB25_447:
	v_bfe_u32 v6, v3, 24, 3
	v_ffbh_u32_e32 v12, v6
	v_min_u32_e32 v12, 32, v12
	v_lshrrev_b32_e32 v10, 27, v3
	v_subrev_u32_e32 v13, 28, v12
	v_and_b32_e32 v7, 0x80000000, v3
	v_and_b32_e32 v10, 15, v10
	v_bfe_u32 v11, v3, 27, 4
	v_lshlrev_b32_sdwa v3, v13, v3 dst_sel:DWORD dst_unused:UNUSED_PAD src0_sel:DWORD src1_sel:BYTE_3
	v_sub_u32_e32 v12, 29, v12
	v_and_b32_e32 v3, 7, v3
	v_cmp_eq_u16_e32 vcc, 0, v10
	v_cndmask_b32_e32 v3, v6, v3, vcc
	v_cndmask_b32_e32 v6, v11, v12, vcc
	v_mov_b32_e32 v10, 0x3b800000
	v_lshlrev_b32_e32 v3, 20, v3
	v_lshl_add_u32 v6, v6, 23, v10
	v_or3_b32 v6, v7, v6, v3
.LBB25_448:
	s_or_b64 exec, exec, s[6:7]
	s_nop 0
	v_mfma_f32_16x16x4f32 a[0:3], v2, v6, a[0:3]
	s_movk_i32 s4, 0x7f
	v_cmp_gt_i16_sdwa s[6:7], v8, s4 src0_sel:BYTE_0 src1_sel:DWORD
	s_mov_b64 s[4:5], 0
                                        ; implicit-def: $sgpr10
	s_and_saveexec_b64 s[8:9], s[6:7]
	s_xor_b64 s[6:7], exec, s[8:9]
	s_cbranch_execnz .LBB25_2497
; %bb.449:
	s_or_saveexec_b64 s[6:7], s[6:7]
	v_mov_b32_e32 v2, s10
	s_xor_b64 exec, exec, s[6:7]
	s_cbranch_execnz .LBB25_2500
.LBB25_450:
	s_or_b64 exec, exec, s[6:7]
	s_and_saveexec_b64 s[6:7], s[4:5]
	s_cbranch_execz .LBB25_452
.LBB25_451:
	v_and_b32_e32 v2, 7, v8
	v_ffbh_u32_e32 v6, v2
	v_min_u32_e32 v6, 32, v6
	v_lshrrev_b16_e32 v3, 3, v8
	v_subrev_u32_e32 v7, 28, v6
	v_and_b32_e32 v3, 15, v3
	v_lshlrev_b32_e32 v7, v7, v8
	v_sub_u32_e32 v6, 29, v6
	v_and_b32_e32 v7, 7, v7
	v_cmp_eq_u16_e32 vcc, 0, v3
	v_cndmask_b32_e32 v2, v2, v7, vcc
	v_cndmask_b32_e32 v3, v3, v6, vcc
	v_lshlrev_b32_e32 v6, 24, v8
	v_mov_b32_e32 v7, 0x3b800000
	v_lshlrev_b32_e32 v2, 20, v2
	v_and_b32_e32 v6, 0x80000000, v6
	v_lshl_add_u32 v3, v3, 23, v7
	v_or3_b32 v2, v6, v3, v2
.LBB25_452:
	s_or_b64 exec, exec, s[6:7]
	s_movk_i32 s4, 0x7f
	v_cmp_gt_i16_sdwa s[6:7], v4, s4 src0_sel:BYTE_0 src1_sel:DWORD
	s_mov_b64 s[4:5], 0
                                        ; implicit-def: $sgpr10
	s_and_saveexec_b64 s[8:9], s[6:7]
	s_xor_b64 s[6:7], exec, s[8:9]
	s_cbranch_execnz .LBB25_2501
; %bb.453:
	s_or_saveexec_b64 s[6:7], s[6:7]
	v_mov_b32_e32 v3, s10
	s_xor_b64 exec, exec, s[6:7]
	s_cbranch_execnz .LBB25_2504
.LBB25_454:
	s_or_b64 exec, exec, s[6:7]
	s_and_saveexec_b64 s[6:7], s[4:5]
	s_cbranch_execz .LBB25_456
.LBB25_455:
	v_and_b32_e32 v3, 7, v4
	v_ffbh_u32_e32 v7, v3
	v_min_u32_e32 v7, 32, v7
	v_lshrrev_b16_e32 v6, 3, v4
	v_subrev_u32_e32 v10, 28, v7
	v_and_b32_e32 v6, 15, v6
	v_lshlrev_b32_e32 v10, v10, v4
	v_sub_u32_e32 v7, 29, v7
	v_and_b32_e32 v10, 7, v10
	v_cmp_eq_u16_e32 vcc, 0, v6
	v_cndmask_b32_e32 v3, v3, v10, vcc
	v_cndmask_b32_e32 v6, v6, v7, vcc
	v_lshlrev_b32_e32 v7, 24, v4
	v_mov_b32_e32 v10, 0x3b800000
	v_lshlrev_b32_e32 v3, 20, v3
	v_and_b32_e32 v7, 0x80000000, v7
	v_lshl_add_u32 v6, v6, 23, v10
	v_or3_b32 v3, v7, v6, v3
.LBB25_456:
	s_or_b64 exec, exec, s[6:7]
	s_nop 0
	v_mfma_f32_16x16x4f32 a[0:3], v2, v3, a[0:3]
	v_lshrrev_b32_e32 v3, 8, v8
	s_movk_i32 s4, 0x7f
	v_cmp_gt_i16_sdwa s[6:7], v3, s4 src0_sel:BYTE_0 src1_sel:DWORD
	s_mov_b64 s[4:5], 0
                                        ; implicit-def: $sgpr10
	s_and_saveexec_b64 s[8:9], s[6:7]
	s_xor_b64 s[6:7], exec, s[8:9]
	s_cbranch_execnz .LBB25_2505
; %bb.457:
	s_or_saveexec_b64 s[6:7], s[6:7]
	v_mov_b32_e32 v2, s10
	s_xor_b64 exec, exec, s[6:7]
	s_cbranch_execnz .LBB25_2508
.LBB25_458:
	s_or_b64 exec, exec, s[6:7]
	s_and_saveexec_b64 s[6:7], s[4:5]
	s_cbranch_execz .LBB25_460
.LBB25_459:
	v_bfe_u32 v2, v8, 8, 3
	v_ffbh_u32_e32 v7, v2
	v_min_u32_e32 v7, 32, v7
	v_lshrrev_b16_e32 v6, 3, v3
	v_subrev_u32_e32 v10, 28, v7
	v_and_b32_e32 v6, 15, v6
	v_lshlrev_b32_e32 v3, v10, v3
	v_sub_u32_e32 v7, 29, v7
	v_and_b32_e32 v3, 7, v3
	v_cmp_eq_u16_e32 vcc, 0, v6
	v_cndmask_b32_e32 v2, v2, v3, vcc
	v_cndmask_b32_e32 v3, v6, v7, vcc
	v_lshlrev_b32_e32 v6, 16, v8
	v_mov_b32_e32 v7, 0x3b800000
	v_lshlrev_b32_e32 v2, 20, v2
	v_and_b32_e32 v6, 0x80000000, v6
	v_lshl_add_u32 v3, v3, 23, v7
	v_or3_b32 v2, v6, v3, v2
.LBB25_460:
	s_or_b64 exec, exec, s[6:7]
	v_lshrrev_b32_e32 v3, 8, v4
	s_movk_i32 s4, 0x7f
	v_cmp_gt_i16_sdwa s[6:7], v3, s4 src0_sel:BYTE_0 src1_sel:DWORD
	s_mov_b64 s[4:5], 0
                                        ; implicit-def: $sgpr10
	s_and_saveexec_b64 s[8:9], s[6:7]
	s_xor_b64 s[6:7], exec, s[8:9]
	s_cbranch_execnz .LBB25_2509
; %bb.461:
	s_or_saveexec_b64 s[6:7], s[6:7]
	v_mov_b32_e32 v6, s10
	s_xor_b64 exec, exec, s[6:7]
	s_cbranch_execnz .LBB25_2512
.LBB25_462:
	s_or_b64 exec, exec, s[6:7]
	s_and_saveexec_b64 s[6:7], s[4:5]
	s_cbranch_execz .LBB25_464
.LBB25_463:
	v_bfe_u32 v6, v4, 8, 3
	v_ffbh_u32_e32 v10, v6
	v_min_u32_e32 v10, 32, v10
	v_lshrrev_b16_e32 v7, 3, v3
	v_subrev_u32_e32 v11, 28, v10
	v_and_b32_e32 v7, 15, v7
	v_lshlrev_b32_e32 v3, v11, v3
	v_sub_u32_e32 v10, 29, v10
	v_and_b32_e32 v3, 7, v3
	v_cmp_eq_u16_e32 vcc, 0, v7
	v_cndmask_b32_e32 v3, v6, v3, vcc
	v_cndmask_b32_e32 v6, v7, v10, vcc
	v_lshlrev_b32_e32 v7, 16, v4
	v_mov_b32_e32 v10, 0x3b800000
	v_lshlrev_b32_e32 v3, 20, v3
	v_and_b32_e32 v7, 0x80000000, v7
	v_lshl_add_u32 v6, v6, 23, v10
	v_or3_b32 v6, v7, v6, v3
.LBB25_464:
	s_or_b64 exec, exec, s[6:7]
	s_nop 0
	v_mfma_f32_16x16x4f32 a[0:3], v2, v6, a[0:3]
	s_movk_i32 s4, 0xff
	v_and_b32_sdwa v3, v8, s4 dst_sel:DWORD dst_unused:UNUSED_PAD src0_sel:WORD_1 src1_sel:DWORD
	s_movk_i32 s4, 0x7f
	v_cmp_lt_i16_e32 vcc, s4, v3
	s_mov_b64 s[4:5], 0
                                        ; implicit-def: $sgpr10
	s_and_saveexec_b64 s[6:7], vcc
	s_xor_b64 s[6:7], exec, s[6:7]
	s_cbranch_execnz .LBB25_2513
; %bb.465:
	s_or_saveexec_b64 s[6:7], s[6:7]
	v_mov_b32_e32 v2, s10
	s_xor_b64 exec, exec, s[6:7]
	s_cbranch_execnz .LBB25_2516
.LBB25_466:
	s_or_b64 exec, exec, s[6:7]
	s_and_saveexec_b64 s[6:7], s[4:5]
	s_cbranch_execz .LBB25_468
.LBB25_467:
	v_bfe_u32 v2, v8, 16, 3
	v_ffbh_u32_e32 v7, v2
	v_min_u32_e32 v7, 32, v7
	v_lshrrev_b32_e32 v3, 19, v8
	v_subrev_u32_e32 v10, 28, v7
	v_and_b32_e32 v3, 15, v3
	v_lshlrev_b32_sdwa v10, v10, v8 dst_sel:DWORD dst_unused:UNUSED_PAD src0_sel:DWORD src1_sel:WORD_1
	v_bfe_u32 v6, v8, 19, 4
	v_sub_u32_e32 v7, 29, v7
	v_and_b32_e32 v10, 7, v10
	v_cmp_eq_u16_e32 vcc, 0, v3
	v_cndmask_b32_e32 v2, v2, v10, vcc
	v_cndmask_b32_e32 v3, v6, v7, vcc
	v_lshlrev_b32_e32 v6, 8, v8
	v_mov_b32_e32 v7, 0x3b800000
	v_lshlrev_b32_e32 v2, 20, v2
	v_and_b32_e32 v6, 0x80000000, v6
	v_lshl_add_u32 v3, v3, 23, v7
	v_or3_b32 v2, v6, v3, v2
.LBB25_468:
	s_or_b64 exec, exec, s[6:7]
	s_movk_i32 s4, 0xff
	v_and_b32_sdwa v3, v4, s4 dst_sel:DWORD dst_unused:UNUSED_PAD src0_sel:WORD_1 src1_sel:DWORD
	s_movk_i32 s4, 0x7f
	v_cmp_lt_i16_e32 vcc, s4, v3
	s_mov_b64 s[4:5], 0
                                        ; implicit-def: $sgpr10
	s_and_saveexec_b64 s[6:7], vcc
	s_xor_b64 s[6:7], exec, s[6:7]
	s_cbranch_execnz .LBB25_2517
; %bb.469:
	s_or_saveexec_b64 s[6:7], s[6:7]
	v_mov_b32_e32 v6, s10
	s_xor_b64 exec, exec, s[6:7]
	s_cbranch_execnz .LBB25_2520
.LBB25_470:
	s_or_b64 exec, exec, s[6:7]
	s_and_saveexec_b64 s[6:7], s[4:5]
	s_cbranch_execz .LBB25_472
.LBB25_471:
	v_bfe_u32 v3, v4, 16, 3
	v_ffbh_u32_e32 v10, v3
	v_min_u32_e32 v10, 32, v10
	v_lshrrev_b32_e32 v6, 19, v4
	v_subrev_u32_e32 v11, 28, v10
	v_and_b32_e32 v6, 15, v6
	v_lshlrev_b32_sdwa v11, v11, v4 dst_sel:DWORD dst_unused:UNUSED_PAD src0_sel:DWORD src1_sel:WORD_1
	v_bfe_u32 v7, v4, 19, 4
	v_sub_u32_e32 v10, 29, v10
	v_and_b32_e32 v11, 7, v11
	v_cmp_eq_u16_e32 vcc, 0, v6
	v_cndmask_b32_e32 v3, v3, v11, vcc
	v_cndmask_b32_e32 v6, v7, v10, vcc
	v_lshlrev_b32_e32 v7, 8, v4
	v_mov_b32_e32 v10, 0x3b800000
	v_lshlrev_b32_e32 v3, 20, v3
	v_and_b32_e32 v7, 0x80000000, v7
	v_lshl_add_u32 v6, v6, 23, v10
	v_or3_b32 v6, v7, v6, v3
.LBB25_472:
	s_or_b64 exec, exec, s[6:7]
	s_nop 0
	v_mfma_f32_16x16x4f32 a[0:3], v2, v6, a[0:3]
	s_movk_i32 s4, 0x7f
	v_cmp_gt_i16_sdwa s[6:7], v8, s4 src0_sel:BYTE_3 src1_sel:DWORD
	s_mov_b64 s[4:5], 0
                                        ; implicit-def: $sgpr10
	s_and_saveexec_b64 s[8:9], s[6:7]
	s_xor_b64 s[6:7], exec, s[8:9]
	s_cbranch_execnz .LBB25_2521
; %bb.473:
	s_or_saveexec_b64 s[6:7], s[6:7]
	v_mov_b32_e32 v2, s10
	s_xor_b64 exec, exec, s[6:7]
	s_cbranch_execnz .LBB25_2524
.LBB25_474:
	s_or_b64 exec, exec, s[6:7]
	s_and_saveexec_b64 s[6:7], s[4:5]
	s_cbranch_execz .LBB25_476
.LBB25_475:
	v_bfe_u32 v2, v8, 24, 3
	v_ffbh_u32_e32 v10, v2
	v_min_u32_e32 v10, 32, v10
	v_lshrrev_b32_e32 v6, 27, v8
	v_subrev_u32_e32 v11, 28, v10
	v_and_b32_e32 v3, 0x80000000, v8
	v_and_b32_e32 v6, 15, v6
	v_bfe_u32 v7, v8, 27, 4
	v_lshlrev_b32_sdwa v8, v11, v8 dst_sel:DWORD dst_unused:UNUSED_PAD src0_sel:DWORD src1_sel:BYTE_3
	v_sub_u32_e32 v10, 29, v10
	v_and_b32_e32 v8, 7, v8
	v_cmp_eq_u16_e32 vcc, 0, v6
	v_cndmask_b32_e32 v2, v2, v8, vcc
	v_cndmask_b32_e32 v6, v7, v10, vcc
	v_mov_b32_e32 v7, 0x3b800000
	v_lshlrev_b32_e32 v2, 20, v2
	v_lshl_add_u32 v6, v6, 23, v7
	v_or3_b32 v2, v3, v6, v2
.LBB25_476:
	s_or_b64 exec, exec, s[6:7]
	s_movk_i32 s4, 0x7f
	v_cmp_gt_i16_sdwa s[6:7], v4, s4 src0_sel:BYTE_3 src1_sel:DWORD
	s_mov_b64 s[4:5], 0
                                        ; implicit-def: $sgpr10
	s_and_saveexec_b64 s[8:9], s[6:7]
	s_xor_b64 s[6:7], exec, s[8:9]
	s_cbranch_execnz .LBB25_2525
; %bb.477:
	s_or_saveexec_b64 s[6:7], s[6:7]
	v_mov_b32_e32 v3, s10
	s_xor_b64 exec, exec, s[6:7]
	s_cbranch_execnz .LBB25_2528
.LBB25_478:
	s_or_b64 exec, exec, s[6:7]
	s_and_saveexec_b64 s[6:7], s[4:5]
	s_cbranch_execz .LBB25_480
.LBB25_479:
	v_bfe_u32 v3, v4, 24, 3
	v_ffbh_u32_e32 v10, v3
	v_min_u32_e32 v10, 32, v10
	v_lshrrev_b32_e32 v7, 27, v4
	v_subrev_u32_e32 v11, 28, v10
	v_and_b32_e32 v6, 0x80000000, v4
	v_and_b32_e32 v7, 15, v7
	v_bfe_u32 v8, v4, 27, 4
	v_lshlrev_b32_sdwa v4, v11, v4 dst_sel:DWORD dst_unused:UNUSED_PAD src0_sel:DWORD src1_sel:BYTE_3
	v_sub_u32_e32 v10, 29, v10
	v_and_b32_e32 v4, 7, v4
	v_cmp_eq_u16_e32 vcc, 0, v7
	v_cndmask_b32_e32 v3, v3, v4, vcc
	v_cndmask_b32_e32 v4, v8, v10, vcc
	v_mov_b32_e32 v7, 0x3b800000
	v_lshlrev_b32_e32 v3, 20, v3
	v_lshl_add_u32 v4, v4, 23, v7
	v_or3_b32 v3, v6, v4, v3
.LBB25_480:
	s_or_b64 exec, exec, s[6:7]
	s_nop 0
	v_mfma_f32_16x16x4f32 a[0:3], v2, v3, a[0:3]
	s_movk_i32 s4, 0x7f
	v_cmp_gt_i16_sdwa s[6:7], v9, s4 src0_sel:BYTE_0 src1_sel:DWORD
	s_mov_b64 s[4:5], 0
                                        ; implicit-def: $sgpr10
	s_and_saveexec_b64 s[8:9], s[6:7]
	s_xor_b64 s[6:7], exec, s[8:9]
	s_cbranch_execnz .LBB25_2529
; %bb.481:
	s_or_saveexec_b64 s[6:7], s[6:7]
	v_mov_b32_e32 v2, s10
	s_xor_b64 exec, exec, s[6:7]
	s_cbranch_execnz .LBB25_2532
.LBB25_482:
	s_or_b64 exec, exec, s[6:7]
	s_and_saveexec_b64 s[6:7], s[4:5]
	s_cbranch_execz .LBB25_484
.LBB25_483:
	v_mov_b32_e32 v2, 8
	v_and_b32_e32 v3, 7, v9
	v_lshrrev_b32_sdwa v2, v2, v9 dst_sel:BYTE_1 dst_unused:UNUSED_PAD src0_sel:DWORD src1_sel:DWORD
	v_ffbh_u32_e32 v4, v3
	v_or_b32_sdwa v2, v9, v2 dst_sel:DWORD dst_unused:UNUSED_PAD src0_sel:BYTE_0 src1_sel:DWORD
	v_min_u32_e32 v4, 32, v4
	v_lshrrev_b16_e32 v2, 3, v2
	v_subrev_u32_e32 v6, 28, v4
	v_and_b32_e32 v2, 15, v2
	v_lshlrev_b32_e32 v6, v6, v9
	v_sub_u32_e32 v4, 29, v4
	v_and_b32_e32 v6, 7, v6
	v_cmp_eq_u16_e32 vcc, 0, v2
	v_cndmask_b32_e32 v3, v3, v6, vcc
	v_cndmask_b32_e32 v2, v2, v4, vcc
	v_lshlrev_b32_e32 v4, 24, v9
	v_mov_b32_e32 v6, 0x3b800000
	v_lshlrev_b32_e32 v3, 20, v3
	v_and_b32_e32 v4, 0x80000000, v4
	v_lshl_add_u32 v2, v2, 23, v6
	v_or3_b32 v2, v4, v2, v3
.LBB25_484:
	s_or_b64 exec, exec, s[6:7]
	s_movk_i32 s4, 0x7f
	v_cmp_gt_i16_sdwa s[6:7], v5, s4 src0_sel:BYTE_0 src1_sel:DWORD
	s_mov_b64 s[4:5], 0
                                        ; implicit-def: $sgpr10
	s_and_saveexec_b64 s[8:9], s[6:7]
	s_xor_b64 s[6:7], exec, s[8:9]
	s_cbranch_execnz .LBB25_2533
; %bb.485:
	s_or_saveexec_b64 s[6:7], s[6:7]
	v_mov_b32_e32 v3, s10
	s_xor_b64 exec, exec, s[6:7]
	s_cbranch_execnz .LBB25_2536
.LBB25_486:
	s_or_b64 exec, exec, s[6:7]
	s_and_saveexec_b64 s[6:7], s[4:5]
	s_cbranch_execz .LBB25_488
.LBB25_487:
	v_mov_b32_e32 v3, 8
	v_and_b32_e32 v4, 7, v5
	v_lshrrev_b32_sdwa v3, v3, v5 dst_sel:BYTE_1 dst_unused:UNUSED_PAD src0_sel:DWORD src1_sel:DWORD
	v_ffbh_u32_e32 v6, v4
	v_or_b32_sdwa v3, v5, v3 dst_sel:DWORD dst_unused:UNUSED_PAD src0_sel:BYTE_0 src1_sel:DWORD
	v_min_u32_e32 v6, 32, v6
	v_lshrrev_b16_e32 v3, 3, v3
	v_subrev_u32_e32 v7, 28, v6
	v_and_b32_e32 v3, 15, v3
	v_lshlrev_b32_e32 v7, v7, v5
	v_sub_u32_e32 v6, 29, v6
	v_and_b32_e32 v7, 7, v7
	v_cmp_eq_u16_e32 vcc, 0, v3
	v_cndmask_b32_e32 v4, v4, v7, vcc
	v_cndmask_b32_e32 v3, v3, v6, vcc
	v_lshlrev_b32_e32 v6, 24, v5
	v_mov_b32_e32 v7, 0x3b800000
	v_lshlrev_b32_e32 v4, 20, v4
	v_and_b32_e32 v6, 0x80000000, v6
	v_lshl_add_u32 v3, v3, 23, v7
	v_or3_b32 v3, v6, v3, v4
.LBB25_488:
	s_or_b64 exec, exec, s[6:7]
	s_nop 0
	v_mfma_f32_16x16x4f32 a[0:3], v2, v3, a[0:3]
	v_lshrrev_b32_e32 v3, 8, v9
	s_movk_i32 s4, 0x7f
	v_cmp_gt_i16_sdwa s[6:7], v3, s4 src0_sel:BYTE_0 src1_sel:DWORD
	s_mov_b64 s[4:5], 0
                                        ; implicit-def: $sgpr10
	s_and_saveexec_b64 s[8:9], s[6:7]
	s_xor_b64 s[6:7], exec, s[8:9]
	s_cbranch_execnz .LBB25_2537
; %bb.489:
	s_or_saveexec_b64 s[6:7], s[6:7]
	v_mov_b32_e32 v2, s10
	s_xor_b64 exec, exec, s[6:7]
	s_cbranch_execnz .LBB25_2540
.LBB25_490:
	s_or_b64 exec, exec, s[6:7]
	s_and_saveexec_b64 s[6:7], s[4:5]
	s_cbranch_execz .LBB25_492
.LBB25_491:
	v_bfe_u32 v2, v9, 8, 3
	v_ffbh_u32_e32 v6, v2
	v_min_u32_e32 v6, 32, v6
	v_lshrrev_b16_e32 v4, 3, v3
	v_subrev_u32_e32 v7, 28, v6
	v_and_b32_e32 v4, 15, v4
	v_lshlrev_b32_e32 v3, v7, v3
	v_sub_u32_e32 v6, 29, v6
	v_and_b32_e32 v3, 7, v3
	v_cmp_eq_u16_e32 vcc, 0, v4
	v_cndmask_b32_e32 v2, v2, v3, vcc
	v_cndmask_b32_e32 v3, v4, v6, vcc
	v_lshlrev_b32_e32 v4, 16, v9
	v_mov_b32_e32 v6, 0x3b800000
	v_lshlrev_b32_e32 v2, 20, v2
	v_and_b32_e32 v4, 0x80000000, v4
	v_lshl_add_u32 v3, v3, 23, v6
	v_or3_b32 v2, v4, v3, v2
.LBB25_492:
	s_or_b64 exec, exec, s[6:7]
	v_lshrrev_b32_e32 v3, 8, v5
	s_movk_i32 s4, 0x7f
	v_cmp_gt_i16_sdwa s[6:7], v3, s4 src0_sel:BYTE_0 src1_sel:DWORD
	s_mov_b64 s[4:5], 0
                                        ; implicit-def: $sgpr10
	s_and_saveexec_b64 s[8:9], s[6:7]
	s_xor_b64 s[6:7], exec, s[8:9]
	s_cbranch_execnz .LBB25_2541
; %bb.493:
	s_or_saveexec_b64 s[6:7], s[6:7]
	v_mov_b32_e32 v4, s10
	s_xor_b64 exec, exec, s[6:7]
	s_cbranch_execnz .LBB25_2544
.LBB25_494:
	s_or_b64 exec, exec, s[6:7]
	s_and_saveexec_b64 s[6:7], s[4:5]
	s_cbranch_execz .LBB25_496
.LBB25_495:
	v_bfe_u32 v4, v5, 8, 3
	v_ffbh_u32_e32 v7, v4
	v_min_u32_e32 v7, 32, v7
	v_lshrrev_b16_e32 v6, 3, v3
	v_subrev_u32_e32 v8, 28, v7
	v_and_b32_e32 v6, 15, v6
	v_lshlrev_b32_e32 v3, v8, v3
	v_sub_u32_e32 v7, 29, v7
	v_and_b32_e32 v3, 7, v3
	v_cmp_eq_u16_e32 vcc, 0, v6
	v_cndmask_b32_e32 v3, v4, v3, vcc
	v_cndmask_b32_e32 v4, v6, v7, vcc
	v_lshlrev_b32_e32 v6, 16, v5
	v_mov_b32_e32 v7, 0x3b800000
	v_lshlrev_b32_e32 v3, 20, v3
	v_and_b32_e32 v6, 0x80000000, v6
	v_lshl_add_u32 v4, v4, 23, v7
	v_or3_b32 v4, v6, v4, v3
.LBB25_496:
	s_or_b64 exec, exec, s[6:7]
	s_nop 0
	v_mfma_f32_16x16x4f32 a[0:3], v2, v4, a[0:3]
	s_movk_i32 s4, 0xff
	v_and_b32_sdwa v3, v9, s4 dst_sel:DWORD dst_unused:UNUSED_PAD src0_sel:WORD_1 src1_sel:DWORD
	s_movk_i32 s4, 0x7f
	v_cmp_lt_i16_e32 vcc, s4, v3
	s_mov_b64 s[4:5], 0
                                        ; implicit-def: $sgpr10
	s_and_saveexec_b64 s[6:7], vcc
	s_xor_b64 s[6:7], exec, s[6:7]
	s_cbranch_execnz .LBB25_2545
; %bb.497:
	s_or_saveexec_b64 s[6:7], s[6:7]
	v_mov_b32_e32 v2, s10
	s_xor_b64 exec, exec, s[6:7]
	s_cbranch_execnz .LBB25_2548
.LBB25_498:
	s_or_b64 exec, exec, s[6:7]
	s_and_saveexec_b64 s[6:7], s[4:5]
	s_cbranch_execz .LBB25_500
.LBB25_499:
	v_bfe_u32 v2, v9, 16, 3
	v_ffbh_u32_e32 v6, v2
	v_min_u32_e32 v6, 32, v6
	v_lshrrev_b32_e32 v3, 19, v9
	v_subrev_u32_e32 v7, 28, v6
	v_and_b32_e32 v3, 15, v3
	v_lshlrev_b32_sdwa v7, v7, v9 dst_sel:DWORD dst_unused:UNUSED_PAD src0_sel:DWORD src1_sel:WORD_1
	v_bfe_u32 v4, v9, 19, 4
	v_sub_u32_e32 v6, 29, v6
	v_and_b32_e32 v7, 7, v7
	v_cmp_eq_u16_e32 vcc, 0, v3
	v_cndmask_b32_e32 v2, v2, v7, vcc
	v_cndmask_b32_e32 v3, v4, v6, vcc
	v_lshlrev_b32_e32 v4, 8, v9
	v_mov_b32_e32 v6, 0x3b800000
	v_lshlrev_b32_e32 v2, 20, v2
	v_and_b32_e32 v4, 0x80000000, v4
	v_lshl_add_u32 v3, v3, 23, v6
	v_or3_b32 v2, v4, v3, v2
.LBB25_500:
	s_or_b64 exec, exec, s[6:7]
	s_movk_i32 s4, 0xff
	v_and_b32_sdwa v3, v5, s4 dst_sel:DWORD dst_unused:UNUSED_PAD src0_sel:WORD_1 src1_sel:DWORD
	s_movk_i32 s4, 0x7f
	v_cmp_lt_i16_e32 vcc, s4, v3
	s_mov_b64 s[4:5], 0
                                        ; implicit-def: $sgpr10
	s_and_saveexec_b64 s[6:7], vcc
	s_xor_b64 s[6:7], exec, s[6:7]
	s_cbranch_execnz .LBB25_2549
; %bb.501:
	s_or_saveexec_b64 s[6:7], s[6:7]
	v_mov_b32_e32 v4, s10
	s_xor_b64 exec, exec, s[6:7]
	s_cbranch_execnz .LBB25_2552
.LBB25_502:
	s_or_b64 exec, exec, s[6:7]
	s_and_saveexec_b64 s[6:7], s[4:5]
	s_cbranch_execz .LBB25_504
.LBB25_503:
	v_bfe_u32 v3, v5, 16, 3
	v_ffbh_u32_e32 v7, v3
	v_min_u32_e32 v7, 32, v7
	v_lshrrev_b32_e32 v4, 19, v5
	v_subrev_u32_e32 v8, 28, v7
	v_and_b32_e32 v4, 15, v4
	v_lshlrev_b32_sdwa v8, v8, v5 dst_sel:DWORD dst_unused:UNUSED_PAD src0_sel:DWORD src1_sel:WORD_1
	v_bfe_u32 v6, v5, 19, 4
	v_sub_u32_e32 v7, 29, v7
	v_and_b32_e32 v8, 7, v8
	v_cmp_eq_u16_e32 vcc, 0, v4
	v_cndmask_b32_e32 v3, v3, v8, vcc
	v_cndmask_b32_e32 v4, v6, v7, vcc
	v_lshlrev_b32_e32 v6, 8, v5
	v_mov_b32_e32 v7, 0x3b800000
	v_lshlrev_b32_e32 v3, 20, v3
	v_and_b32_e32 v6, 0x80000000, v6
	v_lshl_add_u32 v4, v4, 23, v7
	v_or3_b32 v4, v6, v4, v3
.LBB25_504:
	s_or_b64 exec, exec, s[6:7]
	s_nop 0
	v_mfma_f32_16x16x4f32 a[0:3], v2, v4, a[0:3]
	s_movk_i32 s4, 0x7f
	v_cmp_gt_i16_sdwa s[6:7], v9, s4 src0_sel:BYTE_3 src1_sel:DWORD
	s_mov_b64 s[4:5], 0
                                        ; implicit-def: $sgpr10
	s_and_saveexec_b64 s[8:9], s[6:7]
	s_xor_b64 s[6:7], exec, s[8:9]
	s_cbranch_execnz .LBB25_2553
; %bb.505:
	s_or_saveexec_b64 s[6:7], s[6:7]
	v_mov_b32_e32 v2, s10
	s_xor_b64 exec, exec, s[6:7]
	s_cbranch_execnz .LBB25_2556
.LBB25_506:
	s_or_b64 exec, exec, s[6:7]
	s_and_saveexec_b64 s[6:7], s[4:5]
	s_cbranch_execz .LBB25_508
.LBB25_507:
	v_bfe_u32 v2, v9, 24, 3
	v_ffbh_u32_e32 v7, v2
	v_min_u32_e32 v7, 32, v7
	v_lshrrev_b32_e32 v4, 27, v9
	v_subrev_u32_e32 v8, 28, v7
	v_and_b32_e32 v4, 15, v4
	v_lshlrev_b32_sdwa v8, v8, v9 dst_sel:DWORD dst_unused:UNUSED_PAD src0_sel:DWORD src1_sel:BYTE_3
	v_bfe_u32 v6, v9, 27, 4
	v_sub_u32_e32 v7, 29, v7
	v_and_b32_e32 v8, 7, v8
	v_cmp_eq_u16_e32 vcc, 0, v4
	v_cndmask_b32_e32 v2, v2, v8, vcc
	v_cndmask_b32_e32 v4, v6, v7, vcc
	v_mov_b32_e32 v6, 0x3b800000
	v_and_b32_e32 v3, 0x80000000, v9
	v_lshlrev_b32_e32 v2, 20, v2
	v_lshl_add_u32 v4, v4, 23, v6
	v_or3_b32 v2, v3, v4, v2
.LBB25_508:
	s_or_b64 exec, exec, s[6:7]
	s_movk_i32 s4, 0x7f
	v_cmp_gt_i16_sdwa s[6:7], v5, s4 src0_sel:BYTE_3 src1_sel:DWORD
	s_mov_b64 s[4:5], 0
                                        ; implicit-def: $sgpr10
	s_and_saveexec_b64 s[8:9], s[6:7]
	s_xor_b64 s[6:7], exec, s[8:9]
	s_cbranch_execnz .LBB25_2557
; %bb.509:
	s_or_saveexec_b64 s[6:7], s[6:7]
	v_mov_b32_e32 v3, s10
	s_xor_b64 exec, exec, s[6:7]
	s_cbranch_execnz .LBB25_2560
.LBB25_510:
	s_or_b64 exec, exec, s[6:7]
	s_and_saveexec_b64 s[6:7], s[4:5]
	s_cbranch_execz .LBB25_512
.LBB25_511:
	v_bfe_u32 v3, v5, 24, 3
	v_ffbh_u32_e32 v8, v3
	v_min_u32_e32 v8, 32, v8
	v_lshrrev_b32_e32 v6, 27, v5
	v_subrev_u32_e32 v9, 28, v8
	v_and_b32_e32 v4, 0x80000000, v5
	v_and_b32_e32 v6, 15, v6
	v_bfe_u32 v7, v5, 27, 4
	v_lshlrev_b32_sdwa v5, v9, v5 dst_sel:DWORD dst_unused:UNUSED_PAD src0_sel:DWORD src1_sel:BYTE_3
	v_sub_u32_e32 v8, 29, v8
	v_and_b32_e32 v5, 7, v5
	v_cmp_eq_u16_e32 vcc, 0, v6
	v_cndmask_b32_e32 v3, v3, v5, vcc
	v_cndmask_b32_e32 v5, v7, v8, vcc
	v_mov_b32_e32 v6, 0x3b800000
	v_lshlrev_b32_e32 v3, 20, v3
	v_lshl_add_u32 v5, v5, 23, v6
	v_or3_b32 v3, v4, v5, v3
.LBB25_512:
	s_or_b64 exec, exec, s[6:7]
	s_nop 0
	v_mfma_f32_16x16x4f32 a[0:3], v2, v3, a[0:3]
	s_movk_i32 s4, 0x7f
                                        ; implicit-def: $sgpr10
	s_nop 7
	s_nop 1
	flat_store_dwordx4 v[18:19], a[0:3] offset:912
	flat_load_dwordx4 v[20:23], v[0:1] offset:8
	s_nop 0
	flat_load_dwordx2 v[18:19], v[0:1] offset:24
	s_waitcnt vmcnt(0) lgkmcnt(0)
	flat_load_dwordx4 v[14:17], v[20:21] offset:32
	flat_load_dwordx4 v[6:9], v[20:21] offset:48
	;; [unrolled: 1-line block ×4, first 2 shown]
	s_waitcnt vmcnt(0) lgkmcnt(0)
	v_cmp_gt_i16_sdwa s[6:7], v14, s4 src0_sel:BYTE_0 src1_sel:DWORD
	s_mov_b64 s[4:5], 0
	s_and_saveexec_b64 s[8:9], s[6:7]
	s_xor_b64 s[6:7], exec, s[8:9]
	s_cbranch_execnz .LBB25_2561
; %bb.513:
	s_or_saveexec_b64 s[6:7], s[6:7]
	v_mov_b32_e32 v20, s10
	s_xor_b64 exec, exec, s[6:7]
	s_cbranch_execnz .LBB25_2564
.LBB25_514:
	s_or_b64 exec, exec, s[6:7]
	s_and_saveexec_b64 s[6:7], s[4:5]
	s_cbranch_execz .LBB25_516
.LBB25_515:
	v_and_b32_e32 v20, 7, v14
	v_ffbh_u32_e32 v22, v20
	v_min_u32_e32 v22, 32, v22
	v_lshrrev_b16_e32 v21, 3, v14
	v_subrev_u32_e32 v23, 28, v22
	v_and_b32_e32 v21, 15, v21
	v_lshlrev_b32_e32 v23, v23, v14
	v_sub_u32_e32 v22, 29, v22
	v_and_b32_e32 v23, 7, v23
	v_cmp_eq_u16_e32 vcc, 0, v21
	v_cndmask_b32_e32 v20, v20, v23, vcc
	v_cndmask_b32_e32 v21, v21, v22, vcc
	v_lshlrev_b32_e32 v22, 24, v14
	v_mov_b32_e32 v23, 0x3b800000
	v_lshlrev_b32_e32 v20, 20, v20
	v_and_b32_e32 v22, 0x80000000, v22
	v_lshl_add_u32 v21, v21, 23, v23
	v_or3_b32 v20, v22, v21, v20
.LBB25_516:
	s_or_b64 exec, exec, s[6:7]
	s_movk_i32 s4, 0x7f
	v_cmp_gt_i16_sdwa s[6:7], v10, s4 src0_sel:BYTE_0 src1_sel:DWORD
	s_mov_b64 s[4:5], 0
                                        ; implicit-def: $sgpr10
	s_and_saveexec_b64 s[8:9], s[6:7]
	s_xor_b64 s[6:7], exec, s[8:9]
	s_cbranch_execnz .LBB25_2565
; %bb.517:
	s_or_saveexec_b64 s[6:7], s[6:7]
	v_mov_b32_e32 v21, s10
	s_xor_b64 exec, exec, s[6:7]
	s_cbranch_execnz .LBB25_2568
.LBB25_518:
	s_or_b64 exec, exec, s[6:7]
	s_and_saveexec_b64 s[6:7], s[4:5]
	s_cbranch_execz .LBB25_520
.LBB25_519:
	v_and_b32_e32 v21, 7, v10
	v_ffbh_u32_e32 v23, v21
	v_min_u32_e32 v23, 32, v23
	v_lshrrev_b16_e32 v22, 3, v10
	v_subrev_u32_e32 v24, 28, v23
	v_and_b32_e32 v22, 15, v22
	v_lshlrev_b32_e32 v24, v24, v10
	v_sub_u32_e32 v23, 29, v23
	v_and_b32_e32 v24, 7, v24
	v_cmp_eq_u16_e32 vcc, 0, v22
	v_cndmask_b32_e32 v21, v21, v24, vcc
	v_cndmask_b32_e32 v22, v22, v23, vcc
	v_lshlrev_b32_e32 v23, 24, v10
	v_mov_b32_e32 v24, 0x3b800000
	v_lshlrev_b32_e32 v21, 20, v21
	v_and_b32_e32 v23, 0x80000000, v23
	v_lshl_add_u32 v22, v22, 23, v24
	v_or3_b32 v21, v23, v22, v21
.LBB25_520:
	s_or_b64 exec, exec, s[6:7]
	flat_load_dwordx4 a[0:3], v[18:19] offset:928
	s_movk_i32 s4, 0x7f
                                        ; implicit-def: $sgpr10
	s_waitcnt vmcnt(0) lgkmcnt(0)
	v_mfma_f32_16x16x4f32 a[0:3], v20, v21, a[0:3]
	v_lshrrev_b32_e32 v21, 8, v14
	v_cmp_gt_i16_sdwa s[6:7], v21, s4 src0_sel:BYTE_0 src1_sel:DWORD
	s_mov_b64 s[4:5], 0
	s_and_saveexec_b64 s[8:9], s[6:7]
	s_xor_b64 s[6:7], exec, s[8:9]
	s_cbranch_execnz .LBB25_2569
; %bb.521:
	s_or_saveexec_b64 s[6:7], s[6:7]
	v_mov_b32_e32 v20, s10
	s_xor_b64 exec, exec, s[6:7]
	s_cbranch_execnz .LBB25_2572
.LBB25_522:
	s_or_b64 exec, exec, s[6:7]
	s_and_saveexec_b64 s[6:7], s[4:5]
	s_cbranch_execz .LBB25_524
.LBB25_523:
	v_bfe_u32 v20, v14, 8, 3
	v_ffbh_u32_e32 v23, v20
	v_min_u32_e32 v23, 32, v23
	v_lshrrev_b16_e32 v22, 3, v21
	v_subrev_u32_e32 v24, 28, v23
	v_and_b32_e32 v22, 15, v22
	v_lshlrev_b32_e32 v21, v24, v21
	v_sub_u32_e32 v23, 29, v23
	v_and_b32_e32 v21, 7, v21
	v_cmp_eq_u16_e32 vcc, 0, v22
	v_cndmask_b32_e32 v20, v20, v21, vcc
	v_cndmask_b32_e32 v21, v22, v23, vcc
	v_lshlrev_b32_e32 v22, 16, v14
	v_mov_b32_e32 v23, 0x3b800000
	v_lshlrev_b32_e32 v20, 20, v20
	v_and_b32_e32 v22, 0x80000000, v22
	v_lshl_add_u32 v21, v21, 23, v23
	v_or3_b32 v20, v22, v21, v20
.LBB25_524:
	s_or_b64 exec, exec, s[6:7]
	v_lshrrev_b32_e32 v21, 8, v10
	s_movk_i32 s4, 0x7f
	v_cmp_gt_i16_sdwa s[6:7], v21, s4 src0_sel:BYTE_0 src1_sel:DWORD
	s_mov_b64 s[4:5], 0
                                        ; implicit-def: $sgpr10
	s_and_saveexec_b64 s[8:9], s[6:7]
	s_xor_b64 s[6:7], exec, s[8:9]
	s_cbranch_execnz .LBB25_2573
; %bb.525:
	s_or_saveexec_b64 s[6:7], s[6:7]
	v_mov_b32_e32 v22, s10
	s_xor_b64 exec, exec, s[6:7]
	s_cbranch_execnz .LBB25_2576
.LBB25_526:
	s_or_b64 exec, exec, s[6:7]
	s_and_saveexec_b64 s[6:7], s[4:5]
	s_cbranch_execz .LBB25_528
.LBB25_527:
	v_bfe_u32 v22, v10, 8, 3
	v_ffbh_u32_e32 v24, v22
	v_min_u32_e32 v24, 32, v24
	v_lshrrev_b16_e32 v23, 3, v21
	v_subrev_u32_e32 v25, 28, v24
	v_and_b32_e32 v23, 15, v23
	v_lshlrev_b32_e32 v21, v25, v21
	v_sub_u32_e32 v24, 29, v24
	v_and_b32_e32 v21, 7, v21
	v_cmp_eq_u16_e32 vcc, 0, v23
	v_cndmask_b32_e32 v21, v22, v21, vcc
	v_cndmask_b32_e32 v22, v23, v24, vcc
	v_lshlrev_b32_e32 v23, 16, v10
	v_mov_b32_e32 v24, 0x3b800000
	v_lshlrev_b32_e32 v21, 20, v21
	v_and_b32_e32 v23, 0x80000000, v23
	v_lshl_add_u32 v22, v22, 23, v24
	v_or3_b32 v22, v23, v22, v21
.LBB25_528:
	s_or_b64 exec, exec, s[6:7]
	s_nop 0
	v_mfma_f32_16x16x4f32 a[0:3], v20, v22, a[0:3]
	s_movk_i32 s4, 0xff
	v_and_b32_sdwa v21, v14, s4 dst_sel:DWORD dst_unused:UNUSED_PAD src0_sel:WORD_1 src1_sel:DWORD
	s_movk_i32 s4, 0x7f
	v_cmp_lt_i16_e32 vcc, s4, v21
	s_mov_b64 s[4:5], 0
                                        ; implicit-def: $sgpr10
	s_and_saveexec_b64 s[6:7], vcc
	s_xor_b64 s[6:7], exec, s[6:7]
	s_cbranch_execnz .LBB25_2577
; %bb.529:
	s_or_saveexec_b64 s[6:7], s[6:7]
	v_mov_b32_e32 v20, s10
	s_xor_b64 exec, exec, s[6:7]
	s_cbranch_execnz .LBB25_2580
.LBB25_530:
	s_or_b64 exec, exec, s[6:7]
	s_and_saveexec_b64 s[6:7], s[4:5]
	s_cbranch_execz .LBB25_532
.LBB25_531:
	v_bfe_u32 v20, v14, 16, 3
	v_ffbh_u32_e32 v23, v20
	v_min_u32_e32 v23, 32, v23
	v_lshrrev_b32_e32 v21, 19, v14
	v_subrev_u32_e32 v24, 28, v23
	v_and_b32_e32 v21, 15, v21
	v_lshlrev_b32_sdwa v24, v24, v14 dst_sel:DWORD dst_unused:UNUSED_PAD src0_sel:DWORD src1_sel:WORD_1
	v_bfe_u32 v22, v14, 19, 4
	v_sub_u32_e32 v23, 29, v23
	v_and_b32_e32 v24, 7, v24
	v_cmp_eq_u16_e32 vcc, 0, v21
	v_cndmask_b32_e32 v20, v20, v24, vcc
	v_cndmask_b32_e32 v21, v22, v23, vcc
	v_lshlrev_b32_e32 v22, 8, v14
	v_mov_b32_e32 v23, 0x3b800000
	v_lshlrev_b32_e32 v20, 20, v20
	v_and_b32_e32 v22, 0x80000000, v22
	v_lshl_add_u32 v21, v21, 23, v23
	v_or3_b32 v20, v22, v21, v20
.LBB25_532:
	s_or_b64 exec, exec, s[6:7]
	s_movk_i32 s4, 0xff
	v_and_b32_sdwa v21, v10, s4 dst_sel:DWORD dst_unused:UNUSED_PAD src0_sel:WORD_1 src1_sel:DWORD
	s_movk_i32 s4, 0x7f
	v_cmp_lt_i16_e32 vcc, s4, v21
	s_mov_b64 s[4:5], 0
                                        ; implicit-def: $sgpr10
	s_and_saveexec_b64 s[6:7], vcc
	s_xor_b64 s[6:7], exec, s[6:7]
	s_cbranch_execnz .LBB25_2581
; %bb.533:
	s_or_saveexec_b64 s[6:7], s[6:7]
	v_mov_b32_e32 v22, s10
	s_xor_b64 exec, exec, s[6:7]
	s_cbranch_execnz .LBB25_2584
.LBB25_534:
	s_or_b64 exec, exec, s[6:7]
	s_and_saveexec_b64 s[6:7], s[4:5]
	s_cbranch_execz .LBB25_536
.LBB25_535:
	v_bfe_u32 v21, v10, 16, 3
	v_ffbh_u32_e32 v24, v21
	v_min_u32_e32 v24, 32, v24
	v_lshrrev_b32_e32 v22, 19, v10
	v_subrev_u32_e32 v25, 28, v24
	v_and_b32_e32 v22, 15, v22
	v_lshlrev_b32_sdwa v25, v25, v10 dst_sel:DWORD dst_unused:UNUSED_PAD src0_sel:DWORD src1_sel:WORD_1
	v_bfe_u32 v23, v10, 19, 4
	v_sub_u32_e32 v24, 29, v24
	v_and_b32_e32 v25, 7, v25
	v_cmp_eq_u16_e32 vcc, 0, v22
	v_cndmask_b32_e32 v21, v21, v25, vcc
	v_cndmask_b32_e32 v22, v23, v24, vcc
	v_lshlrev_b32_e32 v23, 8, v10
	v_mov_b32_e32 v24, 0x3b800000
	v_lshlrev_b32_e32 v21, 20, v21
	v_and_b32_e32 v23, 0x80000000, v23
	v_lshl_add_u32 v22, v22, 23, v24
	v_or3_b32 v22, v23, v22, v21
.LBB25_536:
	s_or_b64 exec, exec, s[6:7]
	s_nop 0
	v_mfma_f32_16x16x4f32 a[0:3], v20, v22, a[0:3]
	s_movk_i32 s4, 0x7f
	v_cmp_gt_i16_sdwa s[6:7], v14, s4 src0_sel:BYTE_3 src1_sel:DWORD
	s_mov_b64 s[4:5], 0
                                        ; implicit-def: $sgpr10
	s_and_saveexec_b64 s[8:9], s[6:7]
	s_xor_b64 s[6:7], exec, s[8:9]
	s_cbranch_execnz .LBB25_2585
; %bb.537:
	s_or_saveexec_b64 s[6:7], s[6:7]
	v_mov_b32_e32 v20, s10
	s_xor_b64 exec, exec, s[6:7]
	s_cbranch_execnz .LBB25_2588
.LBB25_538:
	s_or_b64 exec, exec, s[6:7]
	s_and_saveexec_b64 s[6:7], s[4:5]
	s_cbranch_execz .LBB25_540
.LBB25_539:
	v_bfe_u32 v20, v14, 24, 3
	v_ffbh_u32_e32 v24, v20
	v_min_u32_e32 v24, 32, v24
	v_lshrrev_b32_e32 v22, 27, v14
	v_subrev_u32_e32 v25, 28, v24
	v_and_b32_e32 v21, 0x80000000, v14
	v_and_b32_e32 v22, 15, v22
	v_bfe_u32 v23, v14, 27, 4
	v_lshlrev_b32_sdwa v14, v25, v14 dst_sel:DWORD dst_unused:UNUSED_PAD src0_sel:DWORD src1_sel:BYTE_3
	v_sub_u32_e32 v24, 29, v24
	v_and_b32_e32 v14, 7, v14
	v_cmp_eq_u16_e32 vcc, 0, v22
	v_cndmask_b32_e32 v14, v20, v14, vcc
	v_cndmask_b32_e32 v20, v23, v24, vcc
	v_mov_b32_e32 v22, 0x3b800000
	v_lshlrev_b32_e32 v14, 20, v14
	v_lshl_add_u32 v20, v20, 23, v22
	v_or3_b32 v20, v21, v20, v14
.LBB25_540:
	s_or_b64 exec, exec, s[6:7]
	s_movk_i32 s4, 0x7f
	v_cmp_gt_i16_sdwa s[6:7], v10, s4 src0_sel:BYTE_3 src1_sel:DWORD
	s_mov_b64 s[4:5], 0
                                        ; implicit-def: $sgpr10
	s_and_saveexec_b64 s[8:9], s[6:7]
	s_xor_b64 s[6:7], exec, s[8:9]
	s_cbranch_execnz .LBB25_2589
; %bb.541:
	s_or_saveexec_b64 s[6:7], s[6:7]
	v_mov_b32_e32 v14, s10
	s_xor_b64 exec, exec, s[6:7]
	s_cbranch_execnz .LBB25_2592
.LBB25_542:
	s_or_b64 exec, exec, s[6:7]
	s_and_saveexec_b64 s[6:7], s[4:5]
	s_cbranch_execz .LBB25_544
.LBB25_543:
	v_bfe_u32 v14, v10, 24, 3
	v_ffbh_u32_e32 v24, v14
	v_min_u32_e32 v24, 32, v24
	v_lshrrev_b32_e32 v22, 27, v10
	v_subrev_u32_e32 v25, 28, v24
	v_and_b32_e32 v21, 0x80000000, v10
	v_and_b32_e32 v22, 15, v22
	v_bfe_u32 v23, v10, 27, 4
	v_lshlrev_b32_sdwa v10, v25, v10 dst_sel:DWORD dst_unused:UNUSED_PAD src0_sel:DWORD src1_sel:BYTE_3
	v_sub_u32_e32 v24, 29, v24
	v_and_b32_e32 v10, 7, v10
	v_cmp_eq_u16_e32 vcc, 0, v22
	v_cndmask_b32_e32 v10, v14, v10, vcc
	v_cndmask_b32_e32 v14, v23, v24, vcc
	v_mov_b32_e32 v22, 0x3b800000
	v_lshlrev_b32_e32 v10, 20, v10
	v_lshl_add_u32 v14, v14, 23, v22
	v_or3_b32 v14, v21, v14, v10
.LBB25_544:
	s_or_b64 exec, exec, s[6:7]
	s_nop 0
	v_mfma_f32_16x16x4f32 a[0:3], v20, v14, a[0:3]
	s_movk_i32 s4, 0x7f
	v_cmp_gt_i16_sdwa s[6:7], v15, s4 src0_sel:BYTE_0 src1_sel:DWORD
	s_mov_b64 s[4:5], 0
                                        ; implicit-def: $sgpr10
	s_and_saveexec_b64 s[8:9], s[6:7]
	s_xor_b64 s[6:7], exec, s[8:9]
	s_cbranch_execnz .LBB25_2593
; %bb.545:
	s_or_saveexec_b64 s[6:7], s[6:7]
	v_mov_b32_e32 v10, s10
	s_xor_b64 exec, exec, s[6:7]
	s_cbranch_execnz .LBB25_2596
.LBB25_546:
	s_or_b64 exec, exec, s[6:7]
	s_and_saveexec_b64 s[6:7], s[4:5]
	s_cbranch_execz .LBB25_548
.LBB25_547:
	v_and_b32_e32 v10, 7, v15
	v_ffbh_u32_e32 v20, v10
	v_min_u32_e32 v20, 32, v20
	v_lshrrev_b16_e32 v14, 3, v15
	v_subrev_u32_e32 v21, 28, v20
	v_and_b32_e32 v14, 15, v14
	v_lshlrev_b32_e32 v21, v21, v15
	v_sub_u32_e32 v20, 29, v20
	v_and_b32_e32 v21, 7, v21
	v_cmp_eq_u16_e32 vcc, 0, v14
	v_cndmask_b32_e32 v10, v10, v21, vcc
	v_cndmask_b32_e32 v14, v14, v20, vcc
	v_lshlrev_b32_e32 v20, 24, v15
	v_mov_b32_e32 v21, 0x3b800000
	v_lshlrev_b32_e32 v10, 20, v10
	v_and_b32_e32 v20, 0x80000000, v20
	v_lshl_add_u32 v14, v14, 23, v21
	v_or3_b32 v10, v20, v14, v10
.LBB25_548:
	s_or_b64 exec, exec, s[6:7]
	s_movk_i32 s4, 0x7f
	v_cmp_gt_i16_sdwa s[6:7], v11, s4 src0_sel:BYTE_0 src1_sel:DWORD
	s_mov_b64 s[4:5], 0
                                        ; implicit-def: $sgpr10
	s_and_saveexec_b64 s[8:9], s[6:7]
	s_xor_b64 s[6:7], exec, s[8:9]
	s_cbranch_execnz .LBB25_2597
; %bb.549:
	s_or_saveexec_b64 s[6:7], s[6:7]
	v_mov_b32_e32 v14, s10
	s_xor_b64 exec, exec, s[6:7]
	s_cbranch_execnz .LBB25_2600
.LBB25_550:
	s_or_b64 exec, exec, s[6:7]
	s_and_saveexec_b64 s[6:7], s[4:5]
	s_cbranch_execz .LBB25_552
.LBB25_551:
	v_and_b32_e32 v14, 7, v11
	v_ffbh_u32_e32 v21, v14
	v_min_u32_e32 v21, 32, v21
	v_lshrrev_b16_e32 v20, 3, v11
	v_subrev_u32_e32 v22, 28, v21
	v_and_b32_e32 v20, 15, v20
	v_lshlrev_b32_e32 v22, v22, v11
	v_sub_u32_e32 v21, 29, v21
	v_and_b32_e32 v22, 7, v22
	v_cmp_eq_u16_e32 vcc, 0, v20
	v_cndmask_b32_e32 v14, v14, v22, vcc
	v_cndmask_b32_e32 v20, v20, v21, vcc
	v_lshlrev_b32_e32 v21, 24, v11
	v_mov_b32_e32 v22, 0x3b800000
	v_lshlrev_b32_e32 v14, 20, v14
	v_and_b32_e32 v21, 0x80000000, v21
	v_lshl_add_u32 v20, v20, 23, v22
	v_or3_b32 v14, v21, v20, v14
.LBB25_552:
	s_or_b64 exec, exec, s[6:7]
	s_nop 0
	v_mfma_f32_16x16x4f32 a[0:3], v10, v14, a[0:3]
	v_lshrrev_b32_e32 v14, 8, v15
	s_movk_i32 s4, 0x7f
	v_cmp_gt_i16_sdwa s[6:7], v14, s4 src0_sel:BYTE_0 src1_sel:DWORD
	s_mov_b64 s[4:5], 0
                                        ; implicit-def: $sgpr10
	s_and_saveexec_b64 s[8:9], s[6:7]
	s_xor_b64 s[6:7], exec, s[8:9]
	s_cbranch_execnz .LBB25_2601
; %bb.553:
	s_or_saveexec_b64 s[6:7], s[6:7]
	v_mov_b32_e32 v10, s10
	s_xor_b64 exec, exec, s[6:7]
	s_cbranch_execnz .LBB25_2604
.LBB25_554:
	s_or_b64 exec, exec, s[6:7]
	s_and_saveexec_b64 s[6:7], s[4:5]
	s_cbranch_execz .LBB25_556
.LBB25_555:
	v_bfe_u32 v10, v15, 8, 3
	v_ffbh_u32_e32 v21, v10
	v_min_u32_e32 v21, 32, v21
	v_lshrrev_b16_e32 v20, 3, v14
	v_subrev_u32_e32 v22, 28, v21
	v_and_b32_e32 v20, 15, v20
	v_lshlrev_b32_e32 v14, v22, v14
	v_sub_u32_e32 v21, 29, v21
	v_and_b32_e32 v14, 7, v14
	v_cmp_eq_u16_e32 vcc, 0, v20
	v_cndmask_b32_e32 v10, v10, v14, vcc
	v_cndmask_b32_e32 v14, v20, v21, vcc
	v_lshlrev_b32_e32 v20, 16, v15
	v_mov_b32_e32 v21, 0x3b800000
	v_lshlrev_b32_e32 v10, 20, v10
	v_and_b32_e32 v20, 0x80000000, v20
	v_lshl_add_u32 v14, v14, 23, v21
	v_or3_b32 v10, v20, v14, v10
.LBB25_556:
	s_or_b64 exec, exec, s[6:7]
	v_lshrrev_b32_e32 v14, 8, v11
	s_movk_i32 s4, 0x7f
	v_cmp_gt_i16_sdwa s[6:7], v14, s4 src0_sel:BYTE_0 src1_sel:DWORD
	s_mov_b64 s[4:5], 0
                                        ; implicit-def: $sgpr10
	s_and_saveexec_b64 s[8:9], s[6:7]
	s_xor_b64 s[6:7], exec, s[8:9]
	s_cbranch_execnz .LBB25_2605
; %bb.557:
	s_or_saveexec_b64 s[6:7], s[6:7]
	v_mov_b32_e32 v20, s10
	s_xor_b64 exec, exec, s[6:7]
	s_cbranch_execnz .LBB25_2608
.LBB25_558:
	s_or_b64 exec, exec, s[6:7]
	s_and_saveexec_b64 s[6:7], s[4:5]
	s_cbranch_execz .LBB25_560
.LBB25_559:
	v_bfe_u32 v20, v11, 8, 3
	v_ffbh_u32_e32 v22, v20
	v_min_u32_e32 v22, 32, v22
	v_lshrrev_b16_e32 v21, 3, v14
	v_subrev_u32_e32 v23, 28, v22
	v_and_b32_e32 v21, 15, v21
	v_lshlrev_b32_e32 v14, v23, v14
	v_sub_u32_e32 v22, 29, v22
	v_and_b32_e32 v14, 7, v14
	v_cmp_eq_u16_e32 vcc, 0, v21
	v_cndmask_b32_e32 v14, v20, v14, vcc
	v_cndmask_b32_e32 v20, v21, v22, vcc
	v_lshlrev_b32_e32 v21, 16, v11
	v_mov_b32_e32 v22, 0x3b800000
	v_lshlrev_b32_e32 v14, 20, v14
	v_and_b32_e32 v21, 0x80000000, v21
	v_lshl_add_u32 v20, v20, 23, v22
	v_or3_b32 v20, v21, v20, v14
.LBB25_560:
	s_or_b64 exec, exec, s[6:7]
	s_nop 0
	v_mfma_f32_16x16x4f32 a[0:3], v10, v20, a[0:3]
	s_movk_i32 s4, 0xff
	v_and_b32_sdwa v14, v15, s4 dst_sel:DWORD dst_unused:UNUSED_PAD src0_sel:WORD_1 src1_sel:DWORD
	s_movk_i32 s4, 0x7f
	v_cmp_lt_i16_e32 vcc, s4, v14
	s_mov_b64 s[4:5], 0
                                        ; implicit-def: $sgpr10
	s_and_saveexec_b64 s[6:7], vcc
	s_xor_b64 s[6:7], exec, s[6:7]
	s_cbranch_execnz .LBB25_2609
; %bb.561:
	s_or_saveexec_b64 s[6:7], s[6:7]
	v_mov_b32_e32 v10, s10
	s_xor_b64 exec, exec, s[6:7]
	s_cbranch_execnz .LBB25_2612
.LBB25_562:
	s_or_b64 exec, exec, s[6:7]
	s_and_saveexec_b64 s[6:7], s[4:5]
	s_cbranch_execz .LBB25_564
.LBB25_563:
	v_bfe_u32 v10, v15, 16, 3
	v_ffbh_u32_e32 v21, v10
	v_min_u32_e32 v21, 32, v21
	v_lshrrev_b32_e32 v14, 19, v15
	v_subrev_u32_e32 v22, 28, v21
	v_and_b32_e32 v14, 15, v14
	v_lshlrev_b32_sdwa v22, v22, v15 dst_sel:DWORD dst_unused:UNUSED_PAD src0_sel:DWORD src1_sel:WORD_1
	v_bfe_u32 v20, v15, 19, 4
	v_sub_u32_e32 v21, 29, v21
	v_and_b32_e32 v22, 7, v22
	v_cmp_eq_u16_e32 vcc, 0, v14
	v_cndmask_b32_e32 v10, v10, v22, vcc
	v_cndmask_b32_e32 v14, v20, v21, vcc
	v_lshlrev_b32_e32 v20, 8, v15
	v_mov_b32_e32 v21, 0x3b800000
	v_lshlrev_b32_e32 v10, 20, v10
	v_and_b32_e32 v20, 0x80000000, v20
	v_lshl_add_u32 v14, v14, 23, v21
	v_or3_b32 v10, v20, v14, v10
.LBB25_564:
	s_or_b64 exec, exec, s[6:7]
	s_movk_i32 s4, 0xff
	v_and_b32_sdwa v14, v11, s4 dst_sel:DWORD dst_unused:UNUSED_PAD src0_sel:WORD_1 src1_sel:DWORD
	s_movk_i32 s4, 0x7f
	v_cmp_lt_i16_e32 vcc, s4, v14
	s_mov_b64 s[4:5], 0
                                        ; implicit-def: $sgpr10
	s_and_saveexec_b64 s[6:7], vcc
	s_xor_b64 s[6:7], exec, s[6:7]
	s_cbranch_execnz .LBB25_2613
; %bb.565:
	s_or_saveexec_b64 s[6:7], s[6:7]
	v_mov_b32_e32 v20, s10
	s_xor_b64 exec, exec, s[6:7]
	s_cbranch_execnz .LBB25_2616
.LBB25_566:
	s_or_b64 exec, exec, s[6:7]
	s_and_saveexec_b64 s[6:7], s[4:5]
	s_cbranch_execz .LBB25_568
.LBB25_567:
	v_bfe_u32 v14, v11, 16, 3
	v_ffbh_u32_e32 v22, v14
	v_min_u32_e32 v22, 32, v22
	v_lshrrev_b32_e32 v20, 19, v11
	v_subrev_u32_e32 v23, 28, v22
	v_and_b32_e32 v20, 15, v20
	v_lshlrev_b32_sdwa v23, v23, v11 dst_sel:DWORD dst_unused:UNUSED_PAD src0_sel:DWORD src1_sel:WORD_1
	v_bfe_u32 v21, v11, 19, 4
	v_sub_u32_e32 v22, 29, v22
	v_and_b32_e32 v23, 7, v23
	v_cmp_eq_u16_e32 vcc, 0, v20
	v_cndmask_b32_e32 v14, v14, v23, vcc
	v_cndmask_b32_e32 v20, v21, v22, vcc
	v_lshlrev_b32_e32 v21, 8, v11
	v_mov_b32_e32 v22, 0x3b800000
	v_lshlrev_b32_e32 v14, 20, v14
	v_and_b32_e32 v21, 0x80000000, v21
	v_lshl_add_u32 v20, v20, 23, v22
	v_or3_b32 v20, v21, v20, v14
.LBB25_568:
	s_or_b64 exec, exec, s[6:7]
	s_nop 0
	v_mfma_f32_16x16x4f32 a[0:3], v10, v20, a[0:3]
	s_movk_i32 s4, 0x7f
	v_cmp_gt_i16_sdwa s[6:7], v15, s4 src0_sel:BYTE_3 src1_sel:DWORD
	s_mov_b64 s[4:5], 0
                                        ; implicit-def: $sgpr10
	s_and_saveexec_b64 s[8:9], s[6:7]
	s_xor_b64 s[6:7], exec, s[8:9]
	s_cbranch_execnz .LBB25_2617
; %bb.569:
	s_or_saveexec_b64 s[6:7], s[6:7]
	v_mov_b32_e32 v10, s10
	s_xor_b64 exec, exec, s[6:7]
	s_cbranch_execnz .LBB25_2620
.LBB25_570:
	s_or_b64 exec, exec, s[6:7]
	s_and_saveexec_b64 s[6:7], s[4:5]
	s_cbranch_execz .LBB25_572
.LBB25_571:
	v_bfe_u32 v10, v15, 24, 3
	v_ffbh_u32_e32 v22, v10
	v_min_u32_e32 v22, 32, v22
	v_lshrrev_b32_e32 v20, 27, v15
	v_subrev_u32_e32 v23, 28, v22
	v_and_b32_e32 v14, 0x80000000, v15
	v_and_b32_e32 v20, 15, v20
	v_bfe_u32 v21, v15, 27, 4
	v_lshlrev_b32_sdwa v15, v23, v15 dst_sel:DWORD dst_unused:UNUSED_PAD src0_sel:DWORD src1_sel:BYTE_3
	v_sub_u32_e32 v22, 29, v22
	v_and_b32_e32 v15, 7, v15
	v_cmp_eq_u16_e32 vcc, 0, v20
	v_cndmask_b32_e32 v10, v10, v15, vcc
	v_cndmask_b32_e32 v15, v21, v22, vcc
	v_mov_b32_e32 v20, 0x3b800000
	v_lshlrev_b32_e32 v10, 20, v10
	v_lshl_add_u32 v15, v15, 23, v20
	v_or3_b32 v10, v14, v15, v10
.LBB25_572:
	s_or_b64 exec, exec, s[6:7]
	s_movk_i32 s4, 0x7f
	v_cmp_gt_i16_sdwa s[6:7], v11, s4 src0_sel:BYTE_3 src1_sel:DWORD
	s_mov_b64 s[4:5], 0
                                        ; implicit-def: $sgpr10
	s_and_saveexec_b64 s[8:9], s[6:7]
	s_xor_b64 s[6:7], exec, s[8:9]
	s_cbranch_execnz .LBB25_2621
; %bb.573:
	s_or_saveexec_b64 s[6:7], s[6:7]
	v_mov_b32_e32 v14, s10
	s_xor_b64 exec, exec, s[6:7]
	s_cbranch_execnz .LBB25_2624
.LBB25_574:
	s_or_b64 exec, exec, s[6:7]
	s_and_saveexec_b64 s[6:7], s[4:5]
	s_cbranch_execz .LBB25_576
.LBB25_575:
	v_bfe_u32 v14, v11, 24, 3
	v_ffbh_u32_e32 v22, v14
	v_min_u32_e32 v22, 32, v22
	v_lshrrev_b32_e32 v20, 27, v11
	v_subrev_u32_e32 v23, 28, v22
	v_and_b32_e32 v15, 0x80000000, v11
	v_and_b32_e32 v20, 15, v20
	v_bfe_u32 v21, v11, 27, 4
	v_lshlrev_b32_sdwa v11, v23, v11 dst_sel:DWORD dst_unused:UNUSED_PAD src0_sel:DWORD src1_sel:BYTE_3
	v_sub_u32_e32 v22, 29, v22
	v_and_b32_e32 v11, 7, v11
	v_cmp_eq_u16_e32 vcc, 0, v20
	v_cndmask_b32_e32 v11, v14, v11, vcc
	v_cndmask_b32_e32 v14, v21, v22, vcc
	v_mov_b32_e32 v20, 0x3b800000
	v_lshlrev_b32_e32 v11, 20, v11
	v_lshl_add_u32 v14, v14, 23, v20
	v_or3_b32 v14, v15, v14, v11
.LBB25_576:
	s_or_b64 exec, exec, s[6:7]
	s_nop 0
	v_mfma_f32_16x16x4f32 a[0:3], v10, v14, a[0:3]
	s_movk_i32 s4, 0x7f
	v_cmp_gt_i16_sdwa s[6:7], v16, s4 src0_sel:BYTE_0 src1_sel:DWORD
	s_mov_b64 s[4:5], 0
                                        ; implicit-def: $sgpr10
	s_and_saveexec_b64 s[8:9], s[6:7]
	s_xor_b64 s[6:7], exec, s[8:9]
	s_cbranch_execnz .LBB25_2625
; %bb.577:
	s_or_saveexec_b64 s[6:7], s[6:7]
	v_mov_b32_e32 v10, s10
	s_xor_b64 exec, exec, s[6:7]
	s_cbranch_execnz .LBB25_2628
.LBB25_578:
	s_or_b64 exec, exec, s[6:7]
	s_and_saveexec_b64 s[6:7], s[4:5]
	s_cbranch_execz .LBB25_580
.LBB25_579:
	v_and_b32_e32 v10, 7, v16
	v_ffbh_u32_e32 v14, v10
	v_min_u32_e32 v14, 32, v14
	v_lshrrev_b16_e32 v11, 3, v16
	v_subrev_u32_e32 v15, 28, v14
	v_and_b32_e32 v11, 15, v11
	v_lshlrev_b32_e32 v15, v15, v16
	v_sub_u32_e32 v14, 29, v14
	v_and_b32_e32 v15, 7, v15
	v_cmp_eq_u16_e32 vcc, 0, v11
	v_cndmask_b32_e32 v10, v10, v15, vcc
	v_cndmask_b32_e32 v11, v11, v14, vcc
	v_lshlrev_b32_e32 v14, 24, v16
	v_mov_b32_e32 v15, 0x3b800000
	v_lshlrev_b32_e32 v10, 20, v10
	v_and_b32_e32 v14, 0x80000000, v14
	v_lshl_add_u32 v11, v11, 23, v15
	v_or3_b32 v10, v14, v11, v10
.LBB25_580:
	s_or_b64 exec, exec, s[6:7]
	s_movk_i32 s4, 0x7f
	v_cmp_gt_i16_sdwa s[6:7], v12, s4 src0_sel:BYTE_0 src1_sel:DWORD
	s_mov_b64 s[4:5], 0
                                        ; implicit-def: $sgpr10
	s_and_saveexec_b64 s[8:9], s[6:7]
	s_xor_b64 s[6:7], exec, s[8:9]
	s_cbranch_execnz .LBB25_2629
; %bb.581:
	s_or_saveexec_b64 s[6:7], s[6:7]
	v_mov_b32_e32 v11, s10
	s_xor_b64 exec, exec, s[6:7]
	s_cbranch_execnz .LBB25_2632
.LBB25_582:
	s_or_b64 exec, exec, s[6:7]
	s_and_saveexec_b64 s[6:7], s[4:5]
	s_cbranch_execz .LBB25_584
.LBB25_583:
	v_and_b32_e32 v11, 7, v12
	v_ffbh_u32_e32 v15, v11
	v_min_u32_e32 v15, 32, v15
	v_lshrrev_b16_e32 v14, 3, v12
	v_subrev_u32_e32 v20, 28, v15
	v_and_b32_e32 v14, 15, v14
	v_lshlrev_b32_e32 v20, v20, v12
	v_sub_u32_e32 v15, 29, v15
	v_and_b32_e32 v20, 7, v20
	v_cmp_eq_u16_e32 vcc, 0, v14
	v_cndmask_b32_e32 v11, v11, v20, vcc
	v_cndmask_b32_e32 v14, v14, v15, vcc
	v_lshlrev_b32_e32 v15, 24, v12
	v_mov_b32_e32 v20, 0x3b800000
	v_lshlrev_b32_e32 v11, 20, v11
	v_and_b32_e32 v15, 0x80000000, v15
	v_lshl_add_u32 v14, v14, 23, v20
	v_or3_b32 v11, v15, v14, v11
.LBB25_584:
	s_or_b64 exec, exec, s[6:7]
	s_nop 0
	v_mfma_f32_16x16x4f32 a[0:3], v10, v11, a[0:3]
	v_lshrrev_b32_e32 v11, 8, v16
	s_movk_i32 s4, 0x7f
	v_cmp_gt_i16_sdwa s[6:7], v11, s4 src0_sel:BYTE_0 src1_sel:DWORD
	s_mov_b64 s[4:5], 0
                                        ; implicit-def: $sgpr10
	s_and_saveexec_b64 s[8:9], s[6:7]
	s_xor_b64 s[6:7], exec, s[8:9]
	s_cbranch_execnz .LBB25_2633
; %bb.585:
	s_or_saveexec_b64 s[6:7], s[6:7]
	v_mov_b32_e32 v10, s10
	s_xor_b64 exec, exec, s[6:7]
	s_cbranch_execnz .LBB25_2636
.LBB25_586:
	s_or_b64 exec, exec, s[6:7]
	s_and_saveexec_b64 s[6:7], s[4:5]
	s_cbranch_execz .LBB25_588
.LBB25_587:
	v_bfe_u32 v10, v16, 8, 3
	v_ffbh_u32_e32 v15, v10
	v_min_u32_e32 v15, 32, v15
	v_lshrrev_b16_e32 v14, 3, v11
	v_subrev_u32_e32 v20, 28, v15
	v_and_b32_e32 v14, 15, v14
	v_lshlrev_b32_e32 v11, v20, v11
	v_sub_u32_e32 v15, 29, v15
	v_and_b32_e32 v11, 7, v11
	v_cmp_eq_u16_e32 vcc, 0, v14
	v_cndmask_b32_e32 v10, v10, v11, vcc
	v_cndmask_b32_e32 v11, v14, v15, vcc
	v_lshlrev_b32_e32 v14, 16, v16
	v_mov_b32_e32 v15, 0x3b800000
	v_lshlrev_b32_e32 v10, 20, v10
	v_and_b32_e32 v14, 0x80000000, v14
	v_lshl_add_u32 v11, v11, 23, v15
	v_or3_b32 v10, v14, v11, v10
.LBB25_588:
	s_or_b64 exec, exec, s[6:7]
	v_lshrrev_b32_e32 v11, 8, v12
	s_movk_i32 s4, 0x7f
	v_cmp_gt_i16_sdwa s[6:7], v11, s4 src0_sel:BYTE_0 src1_sel:DWORD
	s_mov_b64 s[4:5], 0
                                        ; implicit-def: $sgpr10
	s_and_saveexec_b64 s[8:9], s[6:7]
	s_xor_b64 s[6:7], exec, s[8:9]
	s_cbranch_execnz .LBB25_2637
; %bb.589:
	s_or_saveexec_b64 s[6:7], s[6:7]
	v_mov_b32_e32 v14, s10
	s_xor_b64 exec, exec, s[6:7]
	s_cbranch_execnz .LBB25_2640
.LBB25_590:
	s_or_b64 exec, exec, s[6:7]
	s_and_saveexec_b64 s[6:7], s[4:5]
	s_cbranch_execz .LBB25_592
.LBB25_591:
	v_bfe_u32 v14, v12, 8, 3
	v_ffbh_u32_e32 v20, v14
	v_min_u32_e32 v20, 32, v20
	v_lshrrev_b16_e32 v15, 3, v11
	v_subrev_u32_e32 v21, 28, v20
	v_and_b32_e32 v15, 15, v15
	v_lshlrev_b32_e32 v11, v21, v11
	v_sub_u32_e32 v20, 29, v20
	v_and_b32_e32 v11, 7, v11
	v_cmp_eq_u16_e32 vcc, 0, v15
	v_cndmask_b32_e32 v11, v14, v11, vcc
	v_cndmask_b32_e32 v14, v15, v20, vcc
	v_lshlrev_b32_e32 v15, 16, v12
	v_mov_b32_e32 v20, 0x3b800000
	v_lshlrev_b32_e32 v11, 20, v11
	v_and_b32_e32 v15, 0x80000000, v15
	v_lshl_add_u32 v14, v14, 23, v20
	v_or3_b32 v14, v15, v14, v11
.LBB25_592:
	s_or_b64 exec, exec, s[6:7]
	s_nop 0
	v_mfma_f32_16x16x4f32 a[0:3], v10, v14, a[0:3]
	s_movk_i32 s4, 0xff
	v_and_b32_sdwa v11, v16, s4 dst_sel:DWORD dst_unused:UNUSED_PAD src0_sel:WORD_1 src1_sel:DWORD
	s_movk_i32 s4, 0x7f
	v_cmp_lt_i16_e32 vcc, s4, v11
	s_mov_b64 s[4:5], 0
                                        ; implicit-def: $sgpr10
	s_and_saveexec_b64 s[6:7], vcc
	s_xor_b64 s[6:7], exec, s[6:7]
	s_cbranch_execnz .LBB25_2641
; %bb.593:
	s_or_saveexec_b64 s[6:7], s[6:7]
	v_mov_b32_e32 v10, s10
	s_xor_b64 exec, exec, s[6:7]
	s_cbranch_execnz .LBB25_2644
.LBB25_594:
	s_or_b64 exec, exec, s[6:7]
	s_and_saveexec_b64 s[6:7], s[4:5]
	s_cbranch_execz .LBB25_596
.LBB25_595:
	v_bfe_u32 v10, v16, 16, 3
	v_ffbh_u32_e32 v15, v10
	v_min_u32_e32 v15, 32, v15
	v_lshrrev_b32_e32 v11, 19, v16
	v_subrev_u32_e32 v20, 28, v15
	v_and_b32_e32 v11, 15, v11
	v_lshlrev_b32_sdwa v20, v20, v16 dst_sel:DWORD dst_unused:UNUSED_PAD src0_sel:DWORD src1_sel:WORD_1
	v_bfe_u32 v14, v16, 19, 4
	v_sub_u32_e32 v15, 29, v15
	v_and_b32_e32 v20, 7, v20
	v_cmp_eq_u16_e32 vcc, 0, v11
	v_cndmask_b32_e32 v10, v10, v20, vcc
	v_cndmask_b32_e32 v11, v14, v15, vcc
	v_lshlrev_b32_e32 v14, 8, v16
	v_mov_b32_e32 v15, 0x3b800000
	v_lshlrev_b32_e32 v10, 20, v10
	v_and_b32_e32 v14, 0x80000000, v14
	v_lshl_add_u32 v11, v11, 23, v15
	v_or3_b32 v10, v14, v11, v10
.LBB25_596:
	s_or_b64 exec, exec, s[6:7]
	s_movk_i32 s4, 0xff
	v_and_b32_sdwa v11, v12, s4 dst_sel:DWORD dst_unused:UNUSED_PAD src0_sel:WORD_1 src1_sel:DWORD
	s_movk_i32 s4, 0x7f
	v_cmp_lt_i16_e32 vcc, s4, v11
	s_mov_b64 s[4:5], 0
                                        ; implicit-def: $sgpr10
	s_and_saveexec_b64 s[6:7], vcc
	s_xor_b64 s[6:7], exec, s[6:7]
	s_cbranch_execnz .LBB25_2645
; %bb.597:
	s_or_saveexec_b64 s[6:7], s[6:7]
	v_mov_b32_e32 v14, s10
	s_xor_b64 exec, exec, s[6:7]
	s_cbranch_execnz .LBB25_2648
.LBB25_598:
	s_or_b64 exec, exec, s[6:7]
	s_and_saveexec_b64 s[6:7], s[4:5]
	s_cbranch_execz .LBB25_600
.LBB25_599:
	v_bfe_u32 v11, v12, 16, 3
	v_ffbh_u32_e32 v20, v11
	v_min_u32_e32 v20, 32, v20
	v_lshrrev_b32_e32 v14, 19, v12
	v_subrev_u32_e32 v21, 28, v20
	v_and_b32_e32 v14, 15, v14
	v_lshlrev_b32_sdwa v21, v21, v12 dst_sel:DWORD dst_unused:UNUSED_PAD src0_sel:DWORD src1_sel:WORD_1
	v_bfe_u32 v15, v12, 19, 4
	v_sub_u32_e32 v20, 29, v20
	v_and_b32_e32 v21, 7, v21
	v_cmp_eq_u16_e32 vcc, 0, v14
	v_cndmask_b32_e32 v11, v11, v21, vcc
	v_cndmask_b32_e32 v14, v15, v20, vcc
	v_lshlrev_b32_e32 v15, 8, v12
	v_mov_b32_e32 v20, 0x3b800000
	v_lshlrev_b32_e32 v11, 20, v11
	v_and_b32_e32 v15, 0x80000000, v15
	v_lshl_add_u32 v14, v14, 23, v20
	v_or3_b32 v14, v15, v14, v11
.LBB25_600:
	s_or_b64 exec, exec, s[6:7]
	s_nop 0
	v_mfma_f32_16x16x4f32 a[0:3], v10, v14, a[0:3]
	s_movk_i32 s4, 0x7f
	v_cmp_gt_i16_sdwa s[6:7], v16, s4 src0_sel:BYTE_3 src1_sel:DWORD
	s_mov_b64 s[4:5], 0
                                        ; implicit-def: $sgpr10
	s_and_saveexec_b64 s[8:9], s[6:7]
	s_xor_b64 s[6:7], exec, s[8:9]
	s_cbranch_execnz .LBB25_2649
; %bb.601:
	s_or_saveexec_b64 s[6:7], s[6:7]
	v_mov_b32_e32 v10, s10
	s_xor_b64 exec, exec, s[6:7]
	s_cbranch_execnz .LBB25_2652
.LBB25_602:
	s_or_b64 exec, exec, s[6:7]
	s_and_saveexec_b64 s[6:7], s[4:5]
	s_cbranch_execz .LBB25_604
.LBB25_603:
	v_bfe_u32 v10, v16, 24, 3
	v_ffbh_u32_e32 v20, v10
	v_min_u32_e32 v20, 32, v20
	v_lshrrev_b32_e32 v14, 27, v16
	v_subrev_u32_e32 v21, 28, v20
	v_and_b32_e32 v11, 0x80000000, v16
	v_and_b32_e32 v14, 15, v14
	v_bfe_u32 v15, v16, 27, 4
	v_lshlrev_b32_sdwa v16, v21, v16 dst_sel:DWORD dst_unused:UNUSED_PAD src0_sel:DWORD src1_sel:BYTE_3
	v_sub_u32_e32 v20, 29, v20
	v_and_b32_e32 v16, 7, v16
	v_cmp_eq_u16_e32 vcc, 0, v14
	v_cndmask_b32_e32 v10, v10, v16, vcc
	v_cndmask_b32_e32 v14, v15, v20, vcc
	v_mov_b32_e32 v15, 0x3b800000
	v_lshlrev_b32_e32 v10, 20, v10
	v_lshl_add_u32 v14, v14, 23, v15
	v_or3_b32 v10, v11, v14, v10
.LBB25_604:
	s_or_b64 exec, exec, s[6:7]
	s_movk_i32 s4, 0x7f
	v_cmp_gt_i16_sdwa s[6:7], v12, s4 src0_sel:BYTE_3 src1_sel:DWORD
	s_mov_b64 s[4:5], 0
                                        ; implicit-def: $sgpr10
	s_and_saveexec_b64 s[8:9], s[6:7]
	s_xor_b64 s[6:7], exec, s[8:9]
	s_cbranch_execnz .LBB25_2653
; %bb.605:
	s_or_saveexec_b64 s[6:7], s[6:7]
	v_mov_b32_e32 v11, s10
	s_xor_b64 exec, exec, s[6:7]
	s_cbranch_execnz .LBB25_2656
.LBB25_606:
	s_or_b64 exec, exec, s[6:7]
	s_and_saveexec_b64 s[6:7], s[4:5]
	s_cbranch_execz .LBB25_608
.LBB25_607:
	v_bfe_u32 v11, v12, 24, 3
	v_ffbh_u32_e32 v20, v11
	v_min_u32_e32 v20, 32, v20
	v_lshrrev_b32_e32 v15, 27, v12
	v_subrev_u32_e32 v21, 28, v20
	v_and_b32_e32 v14, 0x80000000, v12
	v_and_b32_e32 v15, 15, v15
	v_bfe_u32 v16, v12, 27, 4
	v_lshlrev_b32_sdwa v12, v21, v12 dst_sel:DWORD dst_unused:UNUSED_PAD src0_sel:DWORD src1_sel:BYTE_3
	v_sub_u32_e32 v20, 29, v20
	v_and_b32_e32 v12, 7, v12
	v_cmp_eq_u16_e32 vcc, 0, v15
	v_cndmask_b32_e32 v11, v11, v12, vcc
	v_cndmask_b32_e32 v12, v16, v20, vcc
	v_mov_b32_e32 v15, 0x3b800000
	v_lshlrev_b32_e32 v11, 20, v11
	v_lshl_add_u32 v12, v12, 23, v15
	v_or3_b32 v11, v14, v12, v11
.LBB25_608:
	s_or_b64 exec, exec, s[6:7]
	s_nop 0
	v_mfma_f32_16x16x4f32 a[0:3], v10, v11, a[0:3]
	s_movk_i32 s4, 0x7f
	v_cmp_gt_i16_sdwa s[6:7], v17, s4 src0_sel:BYTE_0 src1_sel:DWORD
	s_mov_b64 s[4:5], 0
                                        ; implicit-def: $sgpr10
	s_and_saveexec_b64 s[8:9], s[6:7]
	s_xor_b64 s[6:7], exec, s[8:9]
	s_cbranch_execnz .LBB25_2657
; %bb.609:
	s_or_saveexec_b64 s[6:7], s[6:7]
	v_mov_b32_e32 v10, s10
	s_xor_b64 exec, exec, s[6:7]
	s_cbranch_execnz .LBB25_2660
.LBB25_610:
	s_or_b64 exec, exec, s[6:7]
	s_and_saveexec_b64 s[6:7], s[4:5]
	s_cbranch_execz .LBB25_612
.LBB25_611:
	v_and_b32_e32 v10, 7, v17
	v_ffbh_u32_e32 v12, v10
	v_min_u32_e32 v12, 32, v12
	v_lshrrev_b16_e32 v11, 3, v17
	v_subrev_u32_e32 v14, 28, v12
	v_and_b32_e32 v11, 15, v11
	v_lshlrev_b32_e32 v14, v14, v17
	v_sub_u32_e32 v12, 29, v12
	v_and_b32_e32 v14, 7, v14
	v_cmp_eq_u16_e32 vcc, 0, v11
	v_cndmask_b32_e32 v10, v10, v14, vcc
	v_cndmask_b32_e32 v11, v11, v12, vcc
	v_lshlrev_b32_e32 v12, 24, v17
	v_mov_b32_e32 v14, 0x3b800000
	v_lshlrev_b32_e32 v10, 20, v10
	v_and_b32_e32 v12, 0x80000000, v12
	v_lshl_add_u32 v11, v11, 23, v14
	v_or3_b32 v10, v12, v11, v10
.LBB25_612:
	s_or_b64 exec, exec, s[6:7]
	s_movk_i32 s4, 0x7f
	v_cmp_gt_i16_sdwa s[6:7], v13, s4 src0_sel:BYTE_0 src1_sel:DWORD
	s_mov_b64 s[4:5], 0
                                        ; implicit-def: $sgpr10
	s_and_saveexec_b64 s[8:9], s[6:7]
	s_xor_b64 s[6:7], exec, s[8:9]
	s_cbranch_execnz .LBB25_2661
; %bb.613:
	s_or_saveexec_b64 s[6:7], s[6:7]
	v_mov_b32_e32 v11, s10
	s_xor_b64 exec, exec, s[6:7]
	s_cbranch_execnz .LBB25_2664
.LBB25_614:
	s_or_b64 exec, exec, s[6:7]
	s_and_saveexec_b64 s[6:7], s[4:5]
	s_cbranch_execz .LBB25_616
.LBB25_615:
	v_and_b32_e32 v11, 7, v13
	v_ffbh_u32_e32 v14, v11
	v_min_u32_e32 v14, 32, v14
	v_lshrrev_b16_e32 v12, 3, v13
	v_subrev_u32_e32 v15, 28, v14
	v_and_b32_e32 v12, 15, v12
	v_lshlrev_b32_e32 v15, v15, v13
	v_sub_u32_e32 v14, 29, v14
	v_and_b32_e32 v15, 7, v15
	v_cmp_eq_u16_e32 vcc, 0, v12
	v_cndmask_b32_e32 v11, v11, v15, vcc
	v_cndmask_b32_e32 v12, v12, v14, vcc
	v_lshlrev_b32_e32 v14, 24, v13
	v_mov_b32_e32 v15, 0x3b800000
	v_lshlrev_b32_e32 v11, 20, v11
	v_and_b32_e32 v14, 0x80000000, v14
	v_lshl_add_u32 v12, v12, 23, v15
	v_or3_b32 v11, v14, v12, v11
.LBB25_616:
	s_or_b64 exec, exec, s[6:7]
	s_nop 0
	v_mfma_f32_16x16x4f32 a[0:3], v10, v11, a[0:3]
	v_lshrrev_b32_e32 v11, 8, v17
	s_movk_i32 s4, 0x7f
	v_cmp_gt_i16_sdwa s[6:7], v11, s4 src0_sel:BYTE_0 src1_sel:DWORD
	s_mov_b64 s[4:5], 0
                                        ; implicit-def: $sgpr10
	s_and_saveexec_b64 s[8:9], s[6:7]
	s_xor_b64 s[6:7], exec, s[8:9]
	s_cbranch_execnz .LBB25_2665
; %bb.617:
	s_or_saveexec_b64 s[6:7], s[6:7]
	v_mov_b32_e32 v10, s10
	s_xor_b64 exec, exec, s[6:7]
	s_cbranch_execnz .LBB25_2668
.LBB25_618:
	s_or_b64 exec, exec, s[6:7]
	s_and_saveexec_b64 s[6:7], s[4:5]
	s_cbranch_execz .LBB25_620
.LBB25_619:
	v_bfe_u32 v10, v17, 8, 3
	v_ffbh_u32_e32 v14, v10
	v_min_u32_e32 v14, 32, v14
	v_lshrrev_b16_e32 v12, 3, v11
	v_subrev_u32_e32 v15, 28, v14
	v_and_b32_e32 v12, 15, v12
	v_lshlrev_b32_e32 v11, v15, v11
	v_sub_u32_e32 v14, 29, v14
	v_and_b32_e32 v11, 7, v11
	v_cmp_eq_u16_e32 vcc, 0, v12
	v_cndmask_b32_e32 v10, v10, v11, vcc
	v_cndmask_b32_e32 v11, v12, v14, vcc
	v_lshlrev_b32_e32 v12, 16, v17
	v_mov_b32_e32 v14, 0x3b800000
	v_lshlrev_b32_e32 v10, 20, v10
	v_and_b32_e32 v12, 0x80000000, v12
	v_lshl_add_u32 v11, v11, 23, v14
	v_or3_b32 v10, v12, v11, v10
.LBB25_620:
	s_or_b64 exec, exec, s[6:7]
	v_lshrrev_b32_e32 v11, 8, v13
	s_movk_i32 s4, 0x7f
	v_cmp_gt_i16_sdwa s[6:7], v11, s4 src0_sel:BYTE_0 src1_sel:DWORD
	s_mov_b64 s[4:5], 0
                                        ; implicit-def: $sgpr10
	s_and_saveexec_b64 s[8:9], s[6:7]
	s_xor_b64 s[6:7], exec, s[8:9]
	s_cbranch_execnz .LBB25_2669
; %bb.621:
	s_or_saveexec_b64 s[6:7], s[6:7]
	v_mov_b32_e32 v12, s10
	s_xor_b64 exec, exec, s[6:7]
	s_cbranch_execnz .LBB25_2672
.LBB25_622:
	s_or_b64 exec, exec, s[6:7]
	s_and_saveexec_b64 s[6:7], s[4:5]
	s_cbranch_execz .LBB25_624
.LBB25_623:
	v_bfe_u32 v12, v13, 8, 3
	v_ffbh_u32_e32 v15, v12
	v_min_u32_e32 v15, 32, v15
	v_lshrrev_b16_e32 v14, 3, v11
	v_subrev_u32_e32 v16, 28, v15
	v_and_b32_e32 v14, 15, v14
	v_lshlrev_b32_e32 v11, v16, v11
	v_sub_u32_e32 v15, 29, v15
	v_and_b32_e32 v11, 7, v11
	v_cmp_eq_u16_e32 vcc, 0, v14
	v_cndmask_b32_e32 v11, v12, v11, vcc
	v_cndmask_b32_e32 v12, v14, v15, vcc
	v_lshlrev_b32_e32 v14, 16, v13
	v_mov_b32_e32 v15, 0x3b800000
	v_lshlrev_b32_e32 v11, 20, v11
	v_and_b32_e32 v14, 0x80000000, v14
	v_lshl_add_u32 v12, v12, 23, v15
	v_or3_b32 v12, v14, v12, v11
.LBB25_624:
	s_or_b64 exec, exec, s[6:7]
	s_nop 0
	v_mfma_f32_16x16x4f32 a[0:3], v10, v12, a[0:3]
	s_movk_i32 s4, 0xff
	v_and_b32_sdwa v11, v17, s4 dst_sel:DWORD dst_unused:UNUSED_PAD src0_sel:WORD_1 src1_sel:DWORD
	s_movk_i32 s4, 0x7f
	v_cmp_lt_i16_e32 vcc, s4, v11
	s_mov_b64 s[4:5], 0
                                        ; implicit-def: $sgpr10
	s_and_saveexec_b64 s[6:7], vcc
	s_xor_b64 s[6:7], exec, s[6:7]
	s_cbranch_execnz .LBB25_2673
; %bb.625:
	s_or_saveexec_b64 s[6:7], s[6:7]
	v_mov_b32_e32 v10, s10
	s_xor_b64 exec, exec, s[6:7]
	s_cbranch_execnz .LBB25_2676
.LBB25_626:
	s_or_b64 exec, exec, s[6:7]
	s_and_saveexec_b64 s[6:7], s[4:5]
	s_cbranch_execz .LBB25_628
.LBB25_627:
	v_bfe_u32 v10, v17, 16, 3
	v_ffbh_u32_e32 v14, v10
	v_min_u32_e32 v14, 32, v14
	v_lshrrev_b32_e32 v11, 19, v17
	v_subrev_u32_e32 v15, 28, v14
	v_and_b32_e32 v11, 15, v11
	v_lshlrev_b32_sdwa v15, v15, v17 dst_sel:DWORD dst_unused:UNUSED_PAD src0_sel:DWORD src1_sel:WORD_1
	v_bfe_u32 v12, v17, 19, 4
	v_sub_u32_e32 v14, 29, v14
	v_and_b32_e32 v15, 7, v15
	v_cmp_eq_u16_e32 vcc, 0, v11
	v_cndmask_b32_e32 v10, v10, v15, vcc
	v_cndmask_b32_e32 v11, v12, v14, vcc
	v_lshlrev_b32_e32 v12, 8, v17
	v_mov_b32_e32 v14, 0x3b800000
	v_lshlrev_b32_e32 v10, 20, v10
	v_and_b32_e32 v12, 0x80000000, v12
	v_lshl_add_u32 v11, v11, 23, v14
	v_or3_b32 v10, v12, v11, v10
.LBB25_628:
	s_or_b64 exec, exec, s[6:7]
	s_movk_i32 s4, 0xff
	v_and_b32_sdwa v11, v13, s4 dst_sel:DWORD dst_unused:UNUSED_PAD src0_sel:WORD_1 src1_sel:DWORD
	s_movk_i32 s4, 0x7f
	v_cmp_lt_i16_e32 vcc, s4, v11
	s_mov_b64 s[4:5], 0
                                        ; implicit-def: $sgpr10
	s_and_saveexec_b64 s[6:7], vcc
	s_xor_b64 s[6:7], exec, s[6:7]
	s_cbranch_execnz .LBB25_2677
; %bb.629:
	s_or_saveexec_b64 s[6:7], s[6:7]
	v_mov_b32_e32 v12, s10
	s_xor_b64 exec, exec, s[6:7]
	s_cbranch_execnz .LBB25_2680
.LBB25_630:
	s_or_b64 exec, exec, s[6:7]
	s_and_saveexec_b64 s[6:7], s[4:5]
	s_cbranch_execz .LBB25_632
.LBB25_631:
	v_bfe_u32 v11, v13, 16, 3
	v_ffbh_u32_e32 v15, v11
	v_min_u32_e32 v15, 32, v15
	v_lshrrev_b32_e32 v12, 19, v13
	v_subrev_u32_e32 v16, 28, v15
	v_and_b32_e32 v12, 15, v12
	v_lshlrev_b32_sdwa v16, v16, v13 dst_sel:DWORD dst_unused:UNUSED_PAD src0_sel:DWORD src1_sel:WORD_1
	v_bfe_u32 v14, v13, 19, 4
	v_sub_u32_e32 v15, 29, v15
	v_and_b32_e32 v16, 7, v16
	v_cmp_eq_u16_e32 vcc, 0, v12
	v_cndmask_b32_e32 v11, v11, v16, vcc
	v_cndmask_b32_e32 v12, v14, v15, vcc
	v_lshlrev_b32_e32 v14, 8, v13
	v_mov_b32_e32 v15, 0x3b800000
	v_lshlrev_b32_e32 v11, 20, v11
	v_and_b32_e32 v14, 0x80000000, v14
	v_lshl_add_u32 v12, v12, 23, v15
	v_or3_b32 v12, v14, v12, v11
.LBB25_632:
	s_or_b64 exec, exec, s[6:7]
	s_nop 0
	v_mfma_f32_16x16x4f32 a[0:3], v10, v12, a[0:3]
	s_movk_i32 s4, 0x7f
	v_cmp_gt_i16_sdwa s[6:7], v17, s4 src0_sel:BYTE_3 src1_sel:DWORD
	s_mov_b64 s[4:5], 0
                                        ; implicit-def: $sgpr10
	s_and_saveexec_b64 s[8:9], s[6:7]
	s_xor_b64 s[6:7], exec, s[8:9]
	s_cbranch_execnz .LBB25_2681
; %bb.633:
	s_or_saveexec_b64 s[6:7], s[6:7]
	v_mov_b32_e32 v10, s10
	s_xor_b64 exec, exec, s[6:7]
	s_cbranch_execnz .LBB25_2684
.LBB25_634:
	s_or_b64 exec, exec, s[6:7]
	s_and_saveexec_b64 s[6:7], s[4:5]
	s_cbranch_execz .LBB25_636
.LBB25_635:
	v_bfe_u32 v10, v17, 24, 3
	v_ffbh_u32_e32 v15, v10
	v_min_u32_e32 v15, 32, v15
	v_lshrrev_b32_e32 v12, 27, v17
	v_subrev_u32_e32 v16, 28, v15
	v_and_b32_e32 v12, 15, v12
	v_lshlrev_b32_sdwa v16, v16, v17 dst_sel:DWORD dst_unused:UNUSED_PAD src0_sel:DWORD src1_sel:BYTE_3
	v_bfe_u32 v14, v17, 27, 4
	v_sub_u32_e32 v15, 29, v15
	v_and_b32_e32 v16, 7, v16
	v_cmp_eq_u16_e32 vcc, 0, v12
	v_cndmask_b32_e32 v10, v10, v16, vcc
	v_cndmask_b32_e32 v12, v14, v15, vcc
	v_mov_b32_e32 v14, 0x3b800000
	v_and_b32_e32 v11, 0x80000000, v17
	v_lshlrev_b32_e32 v10, 20, v10
	v_lshl_add_u32 v12, v12, 23, v14
	v_or3_b32 v10, v11, v12, v10
.LBB25_636:
	s_or_b64 exec, exec, s[6:7]
	s_movk_i32 s4, 0x7f
	v_cmp_gt_i16_sdwa s[6:7], v13, s4 src0_sel:BYTE_3 src1_sel:DWORD
	s_mov_b64 s[4:5], 0
                                        ; implicit-def: $sgpr10
	s_and_saveexec_b64 s[8:9], s[6:7]
	s_xor_b64 s[6:7], exec, s[8:9]
	s_cbranch_execnz .LBB25_2685
; %bb.637:
	s_or_saveexec_b64 s[6:7], s[6:7]
	v_mov_b32_e32 v11, s10
	s_xor_b64 exec, exec, s[6:7]
	s_cbranch_execnz .LBB25_2688
.LBB25_638:
	s_or_b64 exec, exec, s[6:7]
	s_and_saveexec_b64 s[6:7], s[4:5]
	s_cbranch_execz .LBB25_640
.LBB25_639:
	v_bfe_u32 v11, v13, 24, 3
	v_ffbh_u32_e32 v16, v11
	v_min_u32_e32 v16, 32, v16
	v_lshrrev_b32_e32 v14, 27, v13
	v_subrev_u32_e32 v17, 28, v16
	v_and_b32_e32 v12, 0x80000000, v13
	v_and_b32_e32 v14, 15, v14
	v_bfe_u32 v15, v13, 27, 4
	v_lshlrev_b32_sdwa v13, v17, v13 dst_sel:DWORD dst_unused:UNUSED_PAD src0_sel:DWORD src1_sel:BYTE_3
	v_sub_u32_e32 v16, 29, v16
	v_and_b32_e32 v13, 7, v13
	v_cmp_eq_u16_e32 vcc, 0, v14
	v_cndmask_b32_e32 v11, v11, v13, vcc
	v_cndmask_b32_e32 v13, v15, v16, vcc
	v_mov_b32_e32 v14, 0x3b800000
	v_lshlrev_b32_e32 v11, 20, v11
	v_lshl_add_u32 v13, v13, 23, v14
	v_or3_b32 v11, v12, v13, v11
.LBB25_640:
	s_or_b64 exec, exec, s[6:7]
	s_nop 0
	v_mfma_f32_16x16x4f32 a[0:3], v10, v11, a[0:3]
	s_movk_i32 s4, 0x7f
	v_cmp_gt_i16_sdwa s[6:7], v6, s4 src0_sel:BYTE_0 src1_sel:DWORD
	s_mov_b64 s[4:5], 0
                                        ; implicit-def: $sgpr10
	s_and_saveexec_b64 s[8:9], s[6:7]
	s_xor_b64 s[6:7], exec, s[8:9]
	s_cbranch_execnz .LBB25_2689
; %bb.641:
	s_or_saveexec_b64 s[6:7], s[6:7]
	v_mov_b32_e32 v10, s10
	s_xor_b64 exec, exec, s[6:7]
	s_cbranch_execnz .LBB25_2692
.LBB25_642:
	s_or_b64 exec, exec, s[6:7]
	s_and_saveexec_b64 s[6:7], s[4:5]
	s_cbranch_execz .LBB25_644
.LBB25_643:
	v_and_b32_e32 v10, 7, v6
	v_ffbh_u32_e32 v12, v10
	v_min_u32_e32 v12, 32, v12
	v_lshrrev_b16_e32 v11, 3, v6
	v_subrev_u32_e32 v13, 28, v12
	v_and_b32_e32 v11, 15, v11
	v_lshlrev_b32_e32 v13, v13, v6
	v_sub_u32_e32 v12, 29, v12
	v_and_b32_e32 v13, 7, v13
	v_cmp_eq_u16_e32 vcc, 0, v11
	v_cndmask_b32_e32 v10, v10, v13, vcc
	v_cndmask_b32_e32 v11, v11, v12, vcc
	v_lshlrev_b32_e32 v12, 24, v6
	v_mov_b32_e32 v13, 0x3b800000
	v_lshlrev_b32_e32 v10, 20, v10
	v_and_b32_e32 v12, 0x80000000, v12
	v_lshl_add_u32 v11, v11, 23, v13
	v_or3_b32 v10, v12, v11, v10
.LBB25_644:
	s_or_b64 exec, exec, s[6:7]
	s_movk_i32 s4, 0x7f
	v_cmp_gt_i16_sdwa s[6:7], v2, s4 src0_sel:BYTE_0 src1_sel:DWORD
	s_mov_b64 s[4:5], 0
                                        ; implicit-def: $sgpr10
	s_and_saveexec_b64 s[8:9], s[6:7]
	s_xor_b64 s[6:7], exec, s[8:9]
	s_cbranch_execnz .LBB25_2693
; %bb.645:
	s_or_saveexec_b64 s[6:7], s[6:7]
	v_mov_b32_e32 v11, s10
	s_xor_b64 exec, exec, s[6:7]
	s_cbranch_execnz .LBB25_2696
.LBB25_646:
	s_or_b64 exec, exec, s[6:7]
	s_and_saveexec_b64 s[6:7], s[4:5]
	s_cbranch_execz .LBB25_648
.LBB25_647:
	v_and_b32_e32 v11, 7, v2
	v_ffbh_u32_e32 v13, v11
	v_min_u32_e32 v13, 32, v13
	v_lshrrev_b16_e32 v12, 3, v2
	v_subrev_u32_e32 v14, 28, v13
	v_and_b32_e32 v12, 15, v12
	v_lshlrev_b32_e32 v14, v14, v2
	v_sub_u32_e32 v13, 29, v13
	v_and_b32_e32 v14, 7, v14
	v_cmp_eq_u16_e32 vcc, 0, v12
	v_cndmask_b32_e32 v11, v11, v14, vcc
	v_cndmask_b32_e32 v12, v12, v13, vcc
	v_lshlrev_b32_e32 v13, 24, v2
	v_mov_b32_e32 v14, 0x3b800000
	v_lshlrev_b32_e32 v11, 20, v11
	v_and_b32_e32 v13, 0x80000000, v13
	v_lshl_add_u32 v12, v12, 23, v14
	v_or3_b32 v11, v13, v12, v11
.LBB25_648:
	s_or_b64 exec, exec, s[6:7]
	s_nop 0
	v_mfma_f32_16x16x4f32 a[0:3], v10, v11, a[0:3]
	v_lshrrev_b32_e32 v11, 8, v6
	s_movk_i32 s4, 0x7f
	v_cmp_gt_i16_sdwa s[6:7], v11, s4 src0_sel:BYTE_0 src1_sel:DWORD
	s_mov_b64 s[4:5], 0
                                        ; implicit-def: $sgpr10
	s_and_saveexec_b64 s[8:9], s[6:7]
	s_xor_b64 s[6:7], exec, s[8:9]
	s_cbranch_execnz .LBB25_2697
; %bb.649:
	s_or_saveexec_b64 s[6:7], s[6:7]
	v_mov_b32_e32 v10, s10
	s_xor_b64 exec, exec, s[6:7]
	s_cbranch_execnz .LBB25_2700
.LBB25_650:
	s_or_b64 exec, exec, s[6:7]
	s_and_saveexec_b64 s[6:7], s[4:5]
	s_cbranch_execz .LBB25_652
.LBB25_651:
	v_bfe_u32 v10, v6, 8, 3
	v_ffbh_u32_e32 v13, v10
	v_min_u32_e32 v13, 32, v13
	v_lshrrev_b16_e32 v12, 3, v11
	v_subrev_u32_e32 v14, 28, v13
	v_and_b32_e32 v12, 15, v12
	v_lshlrev_b32_e32 v11, v14, v11
	v_sub_u32_e32 v13, 29, v13
	v_and_b32_e32 v11, 7, v11
	v_cmp_eq_u16_e32 vcc, 0, v12
	v_cndmask_b32_e32 v10, v10, v11, vcc
	v_cndmask_b32_e32 v11, v12, v13, vcc
	v_lshlrev_b32_e32 v12, 16, v6
	v_mov_b32_e32 v13, 0x3b800000
	v_lshlrev_b32_e32 v10, 20, v10
	v_and_b32_e32 v12, 0x80000000, v12
	v_lshl_add_u32 v11, v11, 23, v13
	v_or3_b32 v10, v12, v11, v10
.LBB25_652:
	s_or_b64 exec, exec, s[6:7]
	v_lshrrev_b32_e32 v11, 8, v2
	s_movk_i32 s4, 0x7f
	v_cmp_gt_i16_sdwa s[6:7], v11, s4 src0_sel:BYTE_0 src1_sel:DWORD
	s_mov_b64 s[4:5], 0
                                        ; implicit-def: $sgpr10
	s_and_saveexec_b64 s[8:9], s[6:7]
	s_xor_b64 s[6:7], exec, s[8:9]
	s_cbranch_execnz .LBB25_2701
; %bb.653:
	s_or_saveexec_b64 s[6:7], s[6:7]
	v_mov_b32_e32 v12, s10
	s_xor_b64 exec, exec, s[6:7]
	s_cbranch_execnz .LBB25_2704
.LBB25_654:
	s_or_b64 exec, exec, s[6:7]
	s_and_saveexec_b64 s[6:7], s[4:5]
	s_cbranch_execz .LBB25_656
.LBB25_655:
	v_bfe_u32 v12, v2, 8, 3
	v_ffbh_u32_e32 v14, v12
	v_min_u32_e32 v14, 32, v14
	v_lshrrev_b16_e32 v13, 3, v11
	v_subrev_u32_e32 v15, 28, v14
	v_and_b32_e32 v13, 15, v13
	v_lshlrev_b32_e32 v11, v15, v11
	v_sub_u32_e32 v14, 29, v14
	v_and_b32_e32 v11, 7, v11
	v_cmp_eq_u16_e32 vcc, 0, v13
	v_cndmask_b32_e32 v11, v12, v11, vcc
	v_cndmask_b32_e32 v12, v13, v14, vcc
	v_lshlrev_b32_e32 v13, 16, v2
	v_mov_b32_e32 v14, 0x3b800000
	v_lshlrev_b32_e32 v11, 20, v11
	v_and_b32_e32 v13, 0x80000000, v13
	v_lshl_add_u32 v12, v12, 23, v14
	v_or3_b32 v12, v13, v12, v11
.LBB25_656:
	s_or_b64 exec, exec, s[6:7]
	s_nop 0
	v_mfma_f32_16x16x4f32 a[0:3], v10, v12, a[0:3]
	s_movk_i32 s4, 0xff
	v_and_b32_sdwa v11, v6, s4 dst_sel:DWORD dst_unused:UNUSED_PAD src0_sel:WORD_1 src1_sel:DWORD
	s_movk_i32 s4, 0x7f
	v_cmp_lt_i16_e32 vcc, s4, v11
	s_mov_b64 s[4:5], 0
                                        ; implicit-def: $sgpr10
	s_and_saveexec_b64 s[6:7], vcc
	s_xor_b64 s[6:7], exec, s[6:7]
	s_cbranch_execnz .LBB25_2705
; %bb.657:
	s_or_saveexec_b64 s[6:7], s[6:7]
	v_mov_b32_e32 v10, s10
	s_xor_b64 exec, exec, s[6:7]
	s_cbranch_execnz .LBB25_2708
.LBB25_658:
	s_or_b64 exec, exec, s[6:7]
	s_and_saveexec_b64 s[6:7], s[4:5]
	s_cbranch_execz .LBB25_660
.LBB25_659:
	v_bfe_u32 v10, v6, 16, 3
	v_ffbh_u32_e32 v13, v10
	v_min_u32_e32 v13, 32, v13
	v_lshrrev_b32_e32 v11, 19, v6
	v_subrev_u32_e32 v14, 28, v13
	v_and_b32_e32 v11, 15, v11
	v_lshlrev_b32_sdwa v14, v14, v6 dst_sel:DWORD dst_unused:UNUSED_PAD src0_sel:DWORD src1_sel:WORD_1
	v_bfe_u32 v12, v6, 19, 4
	v_sub_u32_e32 v13, 29, v13
	v_and_b32_e32 v14, 7, v14
	v_cmp_eq_u16_e32 vcc, 0, v11
	v_cndmask_b32_e32 v10, v10, v14, vcc
	v_cndmask_b32_e32 v11, v12, v13, vcc
	v_lshlrev_b32_e32 v12, 8, v6
	v_mov_b32_e32 v13, 0x3b800000
	v_lshlrev_b32_e32 v10, 20, v10
	v_and_b32_e32 v12, 0x80000000, v12
	v_lshl_add_u32 v11, v11, 23, v13
	v_or3_b32 v10, v12, v11, v10
.LBB25_660:
	s_or_b64 exec, exec, s[6:7]
	s_movk_i32 s4, 0xff
	v_and_b32_sdwa v11, v2, s4 dst_sel:DWORD dst_unused:UNUSED_PAD src0_sel:WORD_1 src1_sel:DWORD
	s_movk_i32 s4, 0x7f
	v_cmp_lt_i16_e32 vcc, s4, v11
	s_mov_b64 s[4:5], 0
                                        ; implicit-def: $sgpr10
	s_and_saveexec_b64 s[6:7], vcc
	s_xor_b64 s[6:7], exec, s[6:7]
	s_cbranch_execnz .LBB25_2709
; %bb.661:
	s_or_saveexec_b64 s[6:7], s[6:7]
	v_mov_b32_e32 v12, s10
	s_xor_b64 exec, exec, s[6:7]
	s_cbranch_execnz .LBB25_2712
.LBB25_662:
	s_or_b64 exec, exec, s[6:7]
	s_and_saveexec_b64 s[6:7], s[4:5]
	s_cbranch_execz .LBB25_664
.LBB25_663:
	v_bfe_u32 v11, v2, 16, 3
	v_ffbh_u32_e32 v14, v11
	v_min_u32_e32 v14, 32, v14
	v_lshrrev_b32_e32 v12, 19, v2
	v_subrev_u32_e32 v15, 28, v14
	v_and_b32_e32 v12, 15, v12
	v_lshlrev_b32_sdwa v15, v15, v2 dst_sel:DWORD dst_unused:UNUSED_PAD src0_sel:DWORD src1_sel:WORD_1
	v_bfe_u32 v13, v2, 19, 4
	v_sub_u32_e32 v14, 29, v14
	v_and_b32_e32 v15, 7, v15
	v_cmp_eq_u16_e32 vcc, 0, v12
	v_cndmask_b32_e32 v11, v11, v15, vcc
	v_cndmask_b32_e32 v12, v13, v14, vcc
	v_lshlrev_b32_e32 v13, 8, v2
	v_mov_b32_e32 v14, 0x3b800000
	v_lshlrev_b32_e32 v11, 20, v11
	v_and_b32_e32 v13, 0x80000000, v13
	v_lshl_add_u32 v12, v12, 23, v14
	v_or3_b32 v12, v13, v12, v11
.LBB25_664:
	s_or_b64 exec, exec, s[6:7]
	s_nop 0
	v_mfma_f32_16x16x4f32 a[0:3], v10, v12, a[0:3]
	s_movk_i32 s4, 0x7f
	v_cmp_gt_i16_sdwa s[6:7], v6, s4 src0_sel:BYTE_3 src1_sel:DWORD
	s_mov_b64 s[4:5], 0
                                        ; implicit-def: $sgpr10
	s_and_saveexec_b64 s[8:9], s[6:7]
	s_xor_b64 s[6:7], exec, s[8:9]
	s_cbranch_execnz .LBB25_2713
; %bb.665:
	s_or_saveexec_b64 s[6:7], s[6:7]
	v_mov_b32_e32 v10, s10
	s_xor_b64 exec, exec, s[6:7]
	s_cbranch_execnz .LBB25_2716
.LBB25_666:
	s_or_b64 exec, exec, s[6:7]
	s_and_saveexec_b64 s[6:7], s[4:5]
	s_cbranch_execz .LBB25_668
.LBB25_667:
	v_bfe_u32 v10, v6, 24, 3
	v_ffbh_u32_e32 v14, v10
	v_min_u32_e32 v14, 32, v14
	v_lshrrev_b32_e32 v12, 27, v6
	v_subrev_u32_e32 v15, 28, v14
	v_and_b32_e32 v11, 0x80000000, v6
	v_and_b32_e32 v12, 15, v12
	v_bfe_u32 v13, v6, 27, 4
	v_lshlrev_b32_sdwa v6, v15, v6 dst_sel:DWORD dst_unused:UNUSED_PAD src0_sel:DWORD src1_sel:BYTE_3
	v_sub_u32_e32 v14, 29, v14
	v_and_b32_e32 v6, 7, v6
	v_cmp_eq_u16_e32 vcc, 0, v12
	v_cndmask_b32_e32 v6, v10, v6, vcc
	v_cndmask_b32_e32 v10, v13, v14, vcc
	v_mov_b32_e32 v12, 0x3b800000
	v_lshlrev_b32_e32 v6, 20, v6
	v_lshl_add_u32 v10, v10, 23, v12
	v_or3_b32 v10, v11, v10, v6
.LBB25_668:
	s_or_b64 exec, exec, s[6:7]
	s_movk_i32 s4, 0x7f
	v_cmp_gt_i16_sdwa s[6:7], v2, s4 src0_sel:BYTE_3 src1_sel:DWORD
	s_mov_b64 s[4:5], 0
                                        ; implicit-def: $sgpr10
	s_and_saveexec_b64 s[8:9], s[6:7]
	s_xor_b64 s[6:7], exec, s[8:9]
	s_cbranch_execnz .LBB25_2717
; %bb.669:
	s_or_saveexec_b64 s[6:7], s[6:7]
	v_mov_b32_e32 v6, s10
	s_xor_b64 exec, exec, s[6:7]
	s_cbranch_execnz .LBB25_2720
.LBB25_670:
	s_or_b64 exec, exec, s[6:7]
	s_and_saveexec_b64 s[6:7], s[4:5]
	s_cbranch_execz .LBB25_672
.LBB25_671:
	v_bfe_u32 v6, v2, 24, 3
	v_ffbh_u32_e32 v14, v6
	v_min_u32_e32 v14, 32, v14
	v_lshrrev_b32_e32 v12, 27, v2
	v_subrev_u32_e32 v15, 28, v14
	v_and_b32_e32 v11, 0x80000000, v2
	v_and_b32_e32 v12, 15, v12
	v_bfe_u32 v13, v2, 27, 4
	v_lshlrev_b32_sdwa v2, v15, v2 dst_sel:DWORD dst_unused:UNUSED_PAD src0_sel:DWORD src1_sel:BYTE_3
	v_sub_u32_e32 v14, 29, v14
	v_and_b32_e32 v2, 7, v2
	v_cmp_eq_u16_e32 vcc, 0, v12
	v_cndmask_b32_e32 v2, v6, v2, vcc
	v_cndmask_b32_e32 v6, v13, v14, vcc
	v_mov_b32_e32 v12, 0x3b800000
	v_lshlrev_b32_e32 v2, 20, v2
	v_lshl_add_u32 v6, v6, 23, v12
	v_or3_b32 v6, v11, v6, v2
.LBB25_672:
	s_or_b64 exec, exec, s[6:7]
	s_nop 0
	v_mfma_f32_16x16x4f32 a[0:3], v10, v6, a[0:3]
	s_movk_i32 s4, 0x7f
	v_cmp_gt_i16_sdwa s[6:7], v7, s4 src0_sel:BYTE_0 src1_sel:DWORD
	s_mov_b64 s[4:5], 0
                                        ; implicit-def: $sgpr10
	s_and_saveexec_b64 s[8:9], s[6:7]
	s_xor_b64 s[6:7], exec, s[8:9]
	s_cbranch_execnz .LBB25_2721
; %bb.673:
	s_or_saveexec_b64 s[6:7], s[6:7]
	v_mov_b32_e32 v2, s10
	s_xor_b64 exec, exec, s[6:7]
	s_cbranch_execnz .LBB25_2724
.LBB25_674:
	s_or_b64 exec, exec, s[6:7]
	s_and_saveexec_b64 s[6:7], s[4:5]
	s_cbranch_execz .LBB25_676
.LBB25_675:
	v_and_b32_e32 v2, 7, v7
	v_ffbh_u32_e32 v10, v2
	v_min_u32_e32 v10, 32, v10
	v_lshrrev_b16_e32 v6, 3, v7
	v_subrev_u32_e32 v11, 28, v10
	v_and_b32_e32 v6, 15, v6
	v_lshlrev_b32_e32 v11, v11, v7
	v_sub_u32_e32 v10, 29, v10
	v_and_b32_e32 v11, 7, v11
	v_cmp_eq_u16_e32 vcc, 0, v6
	v_cndmask_b32_e32 v2, v2, v11, vcc
	v_cndmask_b32_e32 v6, v6, v10, vcc
	v_lshlrev_b32_e32 v10, 24, v7
	v_mov_b32_e32 v11, 0x3b800000
	v_lshlrev_b32_e32 v2, 20, v2
	v_and_b32_e32 v10, 0x80000000, v10
	v_lshl_add_u32 v6, v6, 23, v11
	v_or3_b32 v2, v10, v6, v2
.LBB25_676:
	s_or_b64 exec, exec, s[6:7]
	s_movk_i32 s4, 0x7f
	v_cmp_gt_i16_sdwa s[6:7], v3, s4 src0_sel:BYTE_0 src1_sel:DWORD
	s_mov_b64 s[4:5], 0
                                        ; implicit-def: $sgpr10
	s_and_saveexec_b64 s[8:9], s[6:7]
	s_xor_b64 s[6:7], exec, s[8:9]
	s_cbranch_execnz .LBB25_2725
; %bb.677:
	s_or_saveexec_b64 s[6:7], s[6:7]
	v_mov_b32_e32 v6, s10
	s_xor_b64 exec, exec, s[6:7]
	s_cbranch_execnz .LBB25_2728
.LBB25_678:
	s_or_b64 exec, exec, s[6:7]
	s_and_saveexec_b64 s[6:7], s[4:5]
	s_cbranch_execz .LBB25_680
.LBB25_679:
	v_and_b32_e32 v6, 7, v3
	v_ffbh_u32_e32 v11, v6
	v_min_u32_e32 v11, 32, v11
	v_lshrrev_b16_e32 v10, 3, v3
	v_subrev_u32_e32 v12, 28, v11
	v_and_b32_e32 v10, 15, v10
	v_lshlrev_b32_e32 v12, v12, v3
	v_sub_u32_e32 v11, 29, v11
	v_and_b32_e32 v12, 7, v12
	v_cmp_eq_u16_e32 vcc, 0, v10
	v_cndmask_b32_e32 v6, v6, v12, vcc
	v_cndmask_b32_e32 v10, v10, v11, vcc
	v_lshlrev_b32_e32 v11, 24, v3
	v_mov_b32_e32 v12, 0x3b800000
	v_lshlrev_b32_e32 v6, 20, v6
	v_and_b32_e32 v11, 0x80000000, v11
	v_lshl_add_u32 v10, v10, 23, v12
	v_or3_b32 v6, v11, v10, v6
.LBB25_680:
	s_or_b64 exec, exec, s[6:7]
	s_nop 0
	v_mfma_f32_16x16x4f32 a[0:3], v2, v6, a[0:3]
	v_lshrrev_b32_e32 v6, 8, v7
	s_movk_i32 s4, 0x7f
	v_cmp_gt_i16_sdwa s[6:7], v6, s4 src0_sel:BYTE_0 src1_sel:DWORD
	s_mov_b64 s[4:5], 0
                                        ; implicit-def: $sgpr10
	s_and_saveexec_b64 s[8:9], s[6:7]
	s_xor_b64 s[6:7], exec, s[8:9]
	s_cbranch_execnz .LBB25_2729
; %bb.681:
	s_or_saveexec_b64 s[6:7], s[6:7]
	v_mov_b32_e32 v2, s10
	s_xor_b64 exec, exec, s[6:7]
	s_cbranch_execnz .LBB25_2732
.LBB25_682:
	s_or_b64 exec, exec, s[6:7]
	s_and_saveexec_b64 s[6:7], s[4:5]
	s_cbranch_execz .LBB25_684
.LBB25_683:
	v_bfe_u32 v2, v7, 8, 3
	v_ffbh_u32_e32 v11, v2
	v_min_u32_e32 v11, 32, v11
	v_lshrrev_b16_e32 v10, 3, v6
	v_subrev_u32_e32 v12, 28, v11
	v_and_b32_e32 v10, 15, v10
	v_lshlrev_b32_e32 v6, v12, v6
	v_sub_u32_e32 v11, 29, v11
	v_and_b32_e32 v6, 7, v6
	v_cmp_eq_u16_e32 vcc, 0, v10
	v_cndmask_b32_e32 v2, v2, v6, vcc
	v_cndmask_b32_e32 v6, v10, v11, vcc
	v_lshlrev_b32_e32 v10, 16, v7
	v_mov_b32_e32 v11, 0x3b800000
	v_lshlrev_b32_e32 v2, 20, v2
	v_and_b32_e32 v10, 0x80000000, v10
	v_lshl_add_u32 v6, v6, 23, v11
	v_or3_b32 v2, v10, v6, v2
.LBB25_684:
	s_or_b64 exec, exec, s[6:7]
	v_lshrrev_b32_e32 v6, 8, v3
	s_movk_i32 s4, 0x7f
	v_cmp_gt_i16_sdwa s[6:7], v6, s4 src0_sel:BYTE_0 src1_sel:DWORD
	s_mov_b64 s[4:5], 0
                                        ; implicit-def: $sgpr10
	s_and_saveexec_b64 s[8:9], s[6:7]
	s_xor_b64 s[6:7], exec, s[8:9]
	s_cbranch_execnz .LBB25_2733
; %bb.685:
	s_or_saveexec_b64 s[6:7], s[6:7]
	v_mov_b32_e32 v10, s10
	s_xor_b64 exec, exec, s[6:7]
	s_cbranch_execnz .LBB25_2736
.LBB25_686:
	s_or_b64 exec, exec, s[6:7]
	s_and_saveexec_b64 s[6:7], s[4:5]
	s_cbranch_execz .LBB25_688
.LBB25_687:
	v_bfe_u32 v10, v3, 8, 3
	v_ffbh_u32_e32 v12, v10
	v_min_u32_e32 v12, 32, v12
	v_lshrrev_b16_e32 v11, 3, v6
	v_subrev_u32_e32 v13, 28, v12
	v_and_b32_e32 v11, 15, v11
	v_lshlrev_b32_e32 v6, v13, v6
	v_sub_u32_e32 v12, 29, v12
	v_and_b32_e32 v6, 7, v6
	v_cmp_eq_u16_e32 vcc, 0, v11
	v_cndmask_b32_e32 v6, v10, v6, vcc
	v_cndmask_b32_e32 v10, v11, v12, vcc
	v_lshlrev_b32_e32 v11, 16, v3
	v_mov_b32_e32 v12, 0x3b800000
	v_lshlrev_b32_e32 v6, 20, v6
	v_and_b32_e32 v11, 0x80000000, v11
	v_lshl_add_u32 v10, v10, 23, v12
	v_or3_b32 v10, v11, v10, v6
.LBB25_688:
	s_or_b64 exec, exec, s[6:7]
	s_nop 0
	v_mfma_f32_16x16x4f32 a[0:3], v2, v10, a[0:3]
	s_movk_i32 s4, 0xff
	v_and_b32_sdwa v6, v7, s4 dst_sel:DWORD dst_unused:UNUSED_PAD src0_sel:WORD_1 src1_sel:DWORD
	s_movk_i32 s4, 0x7f
	v_cmp_lt_i16_e32 vcc, s4, v6
	s_mov_b64 s[4:5], 0
                                        ; implicit-def: $sgpr10
	s_and_saveexec_b64 s[6:7], vcc
	s_xor_b64 s[6:7], exec, s[6:7]
	s_cbranch_execnz .LBB25_2737
; %bb.689:
	s_or_saveexec_b64 s[6:7], s[6:7]
	v_mov_b32_e32 v2, s10
	s_xor_b64 exec, exec, s[6:7]
	s_cbranch_execnz .LBB25_2740
.LBB25_690:
	s_or_b64 exec, exec, s[6:7]
	s_and_saveexec_b64 s[6:7], s[4:5]
	s_cbranch_execz .LBB25_692
.LBB25_691:
	v_bfe_u32 v2, v7, 16, 3
	v_ffbh_u32_e32 v11, v2
	v_min_u32_e32 v11, 32, v11
	v_lshrrev_b32_e32 v6, 19, v7
	v_subrev_u32_e32 v12, 28, v11
	v_and_b32_e32 v6, 15, v6
	v_lshlrev_b32_sdwa v12, v12, v7 dst_sel:DWORD dst_unused:UNUSED_PAD src0_sel:DWORD src1_sel:WORD_1
	v_bfe_u32 v10, v7, 19, 4
	v_sub_u32_e32 v11, 29, v11
	v_and_b32_e32 v12, 7, v12
	v_cmp_eq_u16_e32 vcc, 0, v6
	v_cndmask_b32_e32 v2, v2, v12, vcc
	v_cndmask_b32_e32 v6, v10, v11, vcc
	v_lshlrev_b32_e32 v10, 8, v7
	v_mov_b32_e32 v11, 0x3b800000
	v_lshlrev_b32_e32 v2, 20, v2
	v_and_b32_e32 v10, 0x80000000, v10
	v_lshl_add_u32 v6, v6, 23, v11
	v_or3_b32 v2, v10, v6, v2
.LBB25_692:
	s_or_b64 exec, exec, s[6:7]
	s_movk_i32 s4, 0xff
	v_and_b32_sdwa v6, v3, s4 dst_sel:DWORD dst_unused:UNUSED_PAD src0_sel:WORD_1 src1_sel:DWORD
	s_movk_i32 s4, 0x7f
	v_cmp_lt_i16_e32 vcc, s4, v6
	s_mov_b64 s[4:5], 0
                                        ; implicit-def: $sgpr10
	s_and_saveexec_b64 s[6:7], vcc
	s_xor_b64 s[6:7], exec, s[6:7]
	s_cbranch_execnz .LBB25_2741
; %bb.693:
	s_or_saveexec_b64 s[6:7], s[6:7]
	v_mov_b32_e32 v10, s10
	s_xor_b64 exec, exec, s[6:7]
	s_cbranch_execnz .LBB25_2744
.LBB25_694:
	s_or_b64 exec, exec, s[6:7]
	s_and_saveexec_b64 s[6:7], s[4:5]
	s_cbranch_execz .LBB25_696
.LBB25_695:
	v_bfe_u32 v6, v3, 16, 3
	v_ffbh_u32_e32 v12, v6
	v_min_u32_e32 v12, 32, v12
	v_lshrrev_b32_e32 v10, 19, v3
	v_subrev_u32_e32 v13, 28, v12
	v_and_b32_e32 v10, 15, v10
	v_lshlrev_b32_sdwa v13, v13, v3 dst_sel:DWORD dst_unused:UNUSED_PAD src0_sel:DWORD src1_sel:WORD_1
	v_bfe_u32 v11, v3, 19, 4
	v_sub_u32_e32 v12, 29, v12
	v_and_b32_e32 v13, 7, v13
	v_cmp_eq_u16_e32 vcc, 0, v10
	v_cndmask_b32_e32 v6, v6, v13, vcc
	v_cndmask_b32_e32 v10, v11, v12, vcc
	v_lshlrev_b32_e32 v11, 8, v3
	v_mov_b32_e32 v12, 0x3b800000
	v_lshlrev_b32_e32 v6, 20, v6
	v_and_b32_e32 v11, 0x80000000, v11
	v_lshl_add_u32 v10, v10, 23, v12
	v_or3_b32 v10, v11, v10, v6
.LBB25_696:
	s_or_b64 exec, exec, s[6:7]
	s_nop 0
	v_mfma_f32_16x16x4f32 a[0:3], v2, v10, a[0:3]
	s_movk_i32 s4, 0x7f
	v_cmp_gt_i16_sdwa s[6:7], v7, s4 src0_sel:BYTE_3 src1_sel:DWORD
	s_mov_b64 s[4:5], 0
                                        ; implicit-def: $sgpr10
	s_and_saveexec_b64 s[8:9], s[6:7]
	s_xor_b64 s[6:7], exec, s[8:9]
	s_cbranch_execnz .LBB25_2745
; %bb.697:
	s_or_saveexec_b64 s[6:7], s[6:7]
	v_mov_b32_e32 v2, s10
	s_xor_b64 exec, exec, s[6:7]
	s_cbranch_execnz .LBB25_2748
.LBB25_698:
	s_or_b64 exec, exec, s[6:7]
	s_and_saveexec_b64 s[6:7], s[4:5]
	s_cbranch_execz .LBB25_700
.LBB25_699:
	v_bfe_u32 v2, v7, 24, 3
	v_ffbh_u32_e32 v12, v2
	v_min_u32_e32 v12, 32, v12
	v_lshrrev_b32_e32 v10, 27, v7
	v_subrev_u32_e32 v13, 28, v12
	v_and_b32_e32 v6, 0x80000000, v7
	v_and_b32_e32 v10, 15, v10
	v_bfe_u32 v11, v7, 27, 4
	v_lshlrev_b32_sdwa v7, v13, v7 dst_sel:DWORD dst_unused:UNUSED_PAD src0_sel:DWORD src1_sel:BYTE_3
	v_sub_u32_e32 v12, 29, v12
	v_and_b32_e32 v7, 7, v7
	v_cmp_eq_u16_e32 vcc, 0, v10
	v_cndmask_b32_e32 v2, v2, v7, vcc
	v_cndmask_b32_e32 v7, v11, v12, vcc
	v_mov_b32_e32 v10, 0x3b800000
	v_lshlrev_b32_e32 v2, 20, v2
	v_lshl_add_u32 v7, v7, 23, v10
	v_or3_b32 v2, v6, v7, v2
.LBB25_700:
	s_or_b64 exec, exec, s[6:7]
	s_movk_i32 s4, 0x7f
	v_cmp_gt_i16_sdwa s[6:7], v3, s4 src0_sel:BYTE_3 src1_sel:DWORD
	s_mov_b64 s[4:5], 0
                                        ; implicit-def: $sgpr10
	s_and_saveexec_b64 s[8:9], s[6:7]
	s_xor_b64 s[6:7], exec, s[8:9]
	s_cbranch_execnz .LBB25_2749
; %bb.701:
	s_or_saveexec_b64 s[6:7], s[6:7]
	v_mov_b32_e32 v6, s10
	s_xor_b64 exec, exec, s[6:7]
	s_cbranch_execnz .LBB25_2752
.LBB25_702:
	s_or_b64 exec, exec, s[6:7]
	s_and_saveexec_b64 s[6:7], s[4:5]
	s_cbranch_execz .LBB25_704
.LBB25_703:
	v_bfe_u32 v6, v3, 24, 3
	v_ffbh_u32_e32 v12, v6
	v_min_u32_e32 v12, 32, v12
	v_lshrrev_b32_e32 v10, 27, v3
	v_subrev_u32_e32 v13, 28, v12
	v_and_b32_e32 v7, 0x80000000, v3
	v_and_b32_e32 v10, 15, v10
	v_bfe_u32 v11, v3, 27, 4
	v_lshlrev_b32_sdwa v3, v13, v3 dst_sel:DWORD dst_unused:UNUSED_PAD src0_sel:DWORD src1_sel:BYTE_3
	v_sub_u32_e32 v12, 29, v12
	v_and_b32_e32 v3, 7, v3
	v_cmp_eq_u16_e32 vcc, 0, v10
	v_cndmask_b32_e32 v3, v6, v3, vcc
	v_cndmask_b32_e32 v6, v11, v12, vcc
	v_mov_b32_e32 v10, 0x3b800000
	v_lshlrev_b32_e32 v3, 20, v3
	v_lshl_add_u32 v6, v6, 23, v10
	v_or3_b32 v6, v7, v6, v3
.LBB25_704:
	s_or_b64 exec, exec, s[6:7]
	s_nop 0
	v_mfma_f32_16x16x4f32 a[0:3], v2, v6, a[0:3]
	s_movk_i32 s4, 0x7f
	v_cmp_gt_i16_sdwa s[6:7], v8, s4 src0_sel:BYTE_0 src1_sel:DWORD
	s_mov_b64 s[4:5], 0
                                        ; implicit-def: $sgpr10
	s_and_saveexec_b64 s[8:9], s[6:7]
	s_xor_b64 s[6:7], exec, s[8:9]
	s_cbranch_execnz .LBB25_2753
; %bb.705:
	s_or_saveexec_b64 s[6:7], s[6:7]
	v_mov_b32_e32 v2, s10
	s_xor_b64 exec, exec, s[6:7]
	s_cbranch_execnz .LBB25_2756
.LBB25_706:
	s_or_b64 exec, exec, s[6:7]
	s_and_saveexec_b64 s[6:7], s[4:5]
	s_cbranch_execz .LBB25_708
.LBB25_707:
	v_and_b32_e32 v2, 7, v8
	v_ffbh_u32_e32 v6, v2
	v_min_u32_e32 v6, 32, v6
	v_lshrrev_b16_e32 v3, 3, v8
	v_subrev_u32_e32 v7, 28, v6
	v_and_b32_e32 v3, 15, v3
	v_lshlrev_b32_e32 v7, v7, v8
	v_sub_u32_e32 v6, 29, v6
	v_and_b32_e32 v7, 7, v7
	v_cmp_eq_u16_e32 vcc, 0, v3
	v_cndmask_b32_e32 v2, v2, v7, vcc
	v_cndmask_b32_e32 v3, v3, v6, vcc
	v_lshlrev_b32_e32 v6, 24, v8
	v_mov_b32_e32 v7, 0x3b800000
	v_lshlrev_b32_e32 v2, 20, v2
	v_and_b32_e32 v6, 0x80000000, v6
	v_lshl_add_u32 v3, v3, 23, v7
	v_or3_b32 v2, v6, v3, v2
.LBB25_708:
	s_or_b64 exec, exec, s[6:7]
	s_movk_i32 s4, 0x7f
	v_cmp_gt_i16_sdwa s[6:7], v4, s4 src0_sel:BYTE_0 src1_sel:DWORD
	s_mov_b64 s[4:5], 0
                                        ; implicit-def: $sgpr10
	s_and_saveexec_b64 s[8:9], s[6:7]
	s_xor_b64 s[6:7], exec, s[8:9]
	s_cbranch_execnz .LBB25_2757
; %bb.709:
	s_or_saveexec_b64 s[6:7], s[6:7]
	v_mov_b32_e32 v3, s10
	s_xor_b64 exec, exec, s[6:7]
	s_cbranch_execnz .LBB25_2760
.LBB25_710:
	s_or_b64 exec, exec, s[6:7]
	s_and_saveexec_b64 s[6:7], s[4:5]
	s_cbranch_execz .LBB25_712
.LBB25_711:
	v_and_b32_e32 v3, 7, v4
	v_ffbh_u32_e32 v7, v3
	v_min_u32_e32 v7, 32, v7
	v_lshrrev_b16_e32 v6, 3, v4
	v_subrev_u32_e32 v10, 28, v7
	v_and_b32_e32 v6, 15, v6
	v_lshlrev_b32_e32 v10, v10, v4
	v_sub_u32_e32 v7, 29, v7
	v_and_b32_e32 v10, 7, v10
	v_cmp_eq_u16_e32 vcc, 0, v6
	v_cndmask_b32_e32 v3, v3, v10, vcc
	v_cndmask_b32_e32 v6, v6, v7, vcc
	v_lshlrev_b32_e32 v7, 24, v4
	v_mov_b32_e32 v10, 0x3b800000
	v_lshlrev_b32_e32 v3, 20, v3
	v_and_b32_e32 v7, 0x80000000, v7
	v_lshl_add_u32 v6, v6, 23, v10
	v_or3_b32 v3, v7, v6, v3
.LBB25_712:
	s_or_b64 exec, exec, s[6:7]
	s_nop 0
	v_mfma_f32_16x16x4f32 a[0:3], v2, v3, a[0:3]
	v_lshrrev_b32_e32 v3, 8, v8
	s_movk_i32 s4, 0x7f
	v_cmp_gt_i16_sdwa s[6:7], v3, s4 src0_sel:BYTE_0 src1_sel:DWORD
	s_mov_b64 s[4:5], 0
                                        ; implicit-def: $sgpr10
	s_and_saveexec_b64 s[8:9], s[6:7]
	s_xor_b64 s[6:7], exec, s[8:9]
	s_cbranch_execnz .LBB25_2761
; %bb.713:
	s_or_saveexec_b64 s[6:7], s[6:7]
	v_mov_b32_e32 v2, s10
	s_xor_b64 exec, exec, s[6:7]
	s_cbranch_execnz .LBB25_2764
.LBB25_714:
	s_or_b64 exec, exec, s[6:7]
	s_and_saveexec_b64 s[6:7], s[4:5]
	s_cbranch_execz .LBB25_716
.LBB25_715:
	v_bfe_u32 v2, v8, 8, 3
	v_ffbh_u32_e32 v7, v2
	v_min_u32_e32 v7, 32, v7
	v_lshrrev_b16_e32 v6, 3, v3
	v_subrev_u32_e32 v10, 28, v7
	v_and_b32_e32 v6, 15, v6
	v_lshlrev_b32_e32 v3, v10, v3
	v_sub_u32_e32 v7, 29, v7
	v_and_b32_e32 v3, 7, v3
	v_cmp_eq_u16_e32 vcc, 0, v6
	v_cndmask_b32_e32 v2, v2, v3, vcc
	v_cndmask_b32_e32 v3, v6, v7, vcc
	v_lshlrev_b32_e32 v6, 16, v8
	v_mov_b32_e32 v7, 0x3b800000
	v_lshlrev_b32_e32 v2, 20, v2
	v_and_b32_e32 v6, 0x80000000, v6
	v_lshl_add_u32 v3, v3, 23, v7
	v_or3_b32 v2, v6, v3, v2
.LBB25_716:
	s_or_b64 exec, exec, s[6:7]
	v_lshrrev_b32_e32 v3, 8, v4
	s_movk_i32 s4, 0x7f
	v_cmp_gt_i16_sdwa s[6:7], v3, s4 src0_sel:BYTE_0 src1_sel:DWORD
	s_mov_b64 s[4:5], 0
                                        ; implicit-def: $sgpr10
	s_and_saveexec_b64 s[8:9], s[6:7]
	s_xor_b64 s[6:7], exec, s[8:9]
	s_cbranch_execnz .LBB25_2765
; %bb.717:
	s_or_saveexec_b64 s[6:7], s[6:7]
	v_mov_b32_e32 v6, s10
	s_xor_b64 exec, exec, s[6:7]
	s_cbranch_execnz .LBB25_2768
.LBB25_718:
	s_or_b64 exec, exec, s[6:7]
	s_and_saveexec_b64 s[6:7], s[4:5]
	s_cbranch_execz .LBB25_720
.LBB25_719:
	v_bfe_u32 v6, v4, 8, 3
	v_ffbh_u32_e32 v10, v6
	v_min_u32_e32 v10, 32, v10
	v_lshrrev_b16_e32 v7, 3, v3
	v_subrev_u32_e32 v11, 28, v10
	v_and_b32_e32 v7, 15, v7
	v_lshlrev_b32_e32 v3, v11, v3
	v_sub_u32_e32 v10, 29, v10
	v_and_b32_e32 v3, 7, v3
	v_cmp_eq_u16_e32 vcc, 0, v7
	v_cndmask_b32_e32 v3, v6, v3, vcc
	v_cndmask_b32_e32 v6, v7, v10, vcc
	v_lshlrev_b32_e32 v7, 16, v4
	v_mov_b32_e32 v10, 0x3b800000
	v_lshlrev_b32_e32 v3, 20, v3
	v_and_b32_e32 v7, 0x80000000, v7
	v_lshl_add_u32 v6, v6, 23, v10
	v_or3_b32 v6, v7, v6, v3
.LBB25_720:
	s_or_b64 exec, exec, s[6:7]
	s_nop 0
	v_mfma_f32_16x16x4f32 a[0:3], v2, v6, a[0:3]
	s_movk_i32 s4, 0xff
	v_and_b32_sdwa v3, v8, s4 dst_sel:DWORD dst_unused:UNUSED_PAD src0_sel:WORD_1 src1_sel:DWORD
	s_movk_i32 s4, 0x7f
	v_cmp_lt_i16_e32 vcc, s4, v3
	s_mov_b64 s[4:5], 0
                                        ; implicit-def: $sgpr10
	s_and_saveexec_b64 s[6:7], vcc
	s_xor_b64 s[6:7], exec, s[6:7]
	s_cbranch_execnz .LBB25_2769
; %bb.721:
	s_or_saveexec_b64 s[6:7], s[6:7]
	v_mov_b32_e32 v2, s10
	s_xor_b64 exec, exec, s[6:7]
	s_cbranch_execnz .LBB25_2772
.LBB25_722:
	s_or_b64 exec, exec, s[6:7]
	s_and_saveexec_b64 s[6:7], s[4:5]
	s_cbranch_execz .LBB25_724
.LBB25_723:
	v_bfe_u32 v2, v8, 16, 3
	v_ffbh_u32_e32 v7, v2
	v_min_u32_e32 v7, 32, v7
	v_lshrrev_b32_e32 v3, 19, v8
	v_subrev_u32_e32 v10, 28, v7
	v_and_b32_e32 v3, 15, v3
	v_lshlrev_b32_sdwa v10, v10, v8 dst_sel:DWORD dst_unused:UNUSED_PAD src0_sel:DWORD src1_sel:WORD_1
	v_bfe_u32 v6, v8, 19, 4
	v_sub_u32_e32 v7, 29, v7
	v_and_b32_e32 v10, 7, v10
	v_cmp_eq_u16_e32 vcc, 0, v3
	v_cndmask_b32_e32 v2, v2, v10, vcc
	v_cndmask_b32_e32 v3, v6, v7, vcc
	v_lshlrev_b32_e32 v6, 8, v8
	v_mov_b32_e32 v7, 0x3b800000
	v_lshlrev_b32_e32 v2, 20, v2
	v_and_b32_e32 v6, 0x80000000, v6
	v_lshl_add_u32 v3, v3, 23, v7
	v_or3_b32 v2, v6, v3, v2
.LBB25_724:
	s_or_b64 exec, exec, s[6:7]
	s_movk_i32 s4, 0xff
	v_and_b32_sdwa v3, v4, s4 dst_sel:DWORD dst_unused:UNUSED_PAD src0_sel:WORD_1 src1_sel:DWORD
	s_movk_i32 s4, 0x7f
	v_cmp_lt_i16_e32 vcc, s4, v3
	s_mov_b64 s[4:5], 0
                                        ; implicit-def: $sgpr10
	s_and_saveexec_b64 s[6:7], vcc
	s_xor_b64 s[6:7], exec, s[6:7]
	s_cbranch_execnz .LBB25_2773
; %bb.725:
	s_or_saveexec_b64 s[6:7], s[6:7]
	v_mov_b32_e32 v6, s10
	s_xor_b64 exec, exec, s[6:7]
	s_cbranch_execnz .LBB25_2776
.LBB25_726:
	s_or_b64 exec, exec, s[6:7]
	s_and_saveexec_b64 s[6:7], s[4:5]
	s_cbranch_execz .LBB25_728
.LBB25_727:
	v_bfe_u32 v3, v4, 16, 3
	v_ffbh_u32_e32 v10, v3
	v_min_u32_e32 v10, 32, v10
	v_lshrrev_b32_e32 v6, 19, v4
	v_subrev_u32_e32 v11, 28, v10
	v_and_b32_e32 v6, 15, v6
	v_lshlrev_b32_sdwa v11, v11, v4 dst_sel:DWORD dst_unused:UNUSED_PAD src0_sel:DWORD src1_sel:WORD_1
	v_bfe_u32 v7, v4, 19, 4
	v_sub_u32_e32 v10, 29, v10
	v_and_b32_e32 v11, 7, v11
	v_cmp_eq_u16_e32 vcc, 0, v6
	v_cndmask_b32_e32 v3, v3, v11, vcc
	v_cndmask_b32_e32 v6, v7, v10, vcc
	v_lshlrev_b32_e32 v7, 8, v4
	v_mov_b32_e32 v10, 0x3b800000
	v_lshlrev_b32_e32 v3, 20, v3
	v_and_b32_e32 v7, 0x80000000, v7
	v_lshl_add_u32 v6, v6, 23, v10
	v_or3_b32 v6, v7, v6, v3
.LBB25_728:
	s_or_b64 exec, exec, s[6:7]
	s_nop 0
	v_mfma_f32_16x16x4f32 a[0:3], v2, v6, a[0:3]
	s_movk_i32 s4, 0x7f
	v_cmp_gt_i16_sdwa s[6:7], v8, s4 src0_sel:BYTE_3 src1_sel:DWORD
	s_mov_b64 s[4:5], 0
                                        ; implicit-def: $sgpr10
	s_and_saveexec_b64 s[8:9], s[6:7]
	s_xor_b64 s[6:7], exec, s[8:9]
	s_cbranch_execnz .LBB25_2777
; %bb.729:
	s_or_saveexec_b64 s[6:7], s[6:7]
	v_mov_b32_e32 v2, s10
	s_xor_b64 exec, exec, s[6:7]
	s_cbranch_execnz .LBB25_2780
.LBB25_730:
	s_or_b64 exec, exec, s[6:7]
	s_and_saveexec_b64 s[6:7], s[4:5]
	s_cbranch_execz .LBB25_732
.LBB25_731:
	v_bfe_u32 v2, v8, 24, 3
	v_ffbh_u32_e32 v10, v2
	v_min_u32_e32 v10, 32, v10
	v_lshrrev_b32_e32 v6, 27, v8
	v_subrev_u32_e32 v11, 28, v10
	v_and_b32_e32 v3, 0x80000000, v8
	v_and_b32_e32 v6, 15, v6
	v_bfe_u32 v7, v8, 27, 4
	v_lshlrev_b32_sdwa v8, v11, v8 dst_sel:DWORD dst_unused:UNUSED_PAD src0_sel:DWORD src1_sel:BYTE_3
	v_sub_u32_e32 v10, 29, v10
	v_and_b32_e32 v8, 7, v8
	v_cmp_eq_u16_e32 vcc, 0, v6
	v_cndmask_b32_e32 v2, v2, v8, vcc
	v_cndmask_b32_e32 v6, v7, v10, vcc
	v_mov_b32_e32 v7, 0x3b800000
	v_lshlrev_b32_e32 v2, 20, v2
	v_lshl_add_u32 v6, v6, 23, v7
	v_or3_b32 v2, v3, v6, v2
.LBB25_732:
	s_or_b64 exec, exec, s[6:7]
	s_movk_i32 s4, 0x7f
	v_cmp_gt_i16_sdwa s[6:7], v4, s4 src0_sel:BYTE_3 src1_sel:DWORD
	s_mov_b64 s[4:5], 0
                                        ; implicit-def: $sgpr10
	s_and_saveexec_b64 s[8:9], s[6:7]
	s_xor_b64 s[6:7], exec, s[8:9]
	s_cbranch_execnz .LBB25_2781
; %bb.733:
	s_or_saveexec_b64 s[6:7], s[6:7]
	v_mov_b32_e32 v3, s10
	s_xor_b64 exec, exec, s[6:7]
	s_cbranch_execnz .LBB25_2784
.LBB25_734:
	s_or_b64 exec, exec, s[6:7]
	s_and_saveexec_b64 s[6:7], s[4:5]
	s_cbranch_execz .LBB25_736
.LBB25_735:
	v_bfe_u32 v3, v4, 24, 3
	v_ffbh_u32_e32 v10, v3
	v_min_u32_e32 v10, 32, v10
	v_lshrrev_b32_e32 v7, 27, v4
	v_subrev_u32_e32 v11, 28, v10
	v_and_b32_e32 v6, 0x80000000, v4
	v_and_b32_e32 v7, 15, v7
	v_bfe_u32 v8, v4, 27, 4
	v_lshlrev_b32_sdwa v4, v11, v4 dst_sel:DWORD dst_unused:UNUSED_PAD src0_sel:DWORD src1_sel:BYTE_3
	v_sub_u32_e32 v10, 29, v10
	v_and_b32_e32 v4, 7, v4
	v_cmp_eq_u16_e32 vcc, 0, v7
	v_cndmask_b32_e32 v3, v3, v4, vcc
	v_cndmask_b32_e32 v4, v8, v10, vcc
	v_mov_b32_e32 v7, 0x3b800000
	v_lshlrev_b32_e32 v3, 20, v3
	v_lshl_add_u32 v4, v4, 23, v7
	v_or3_b32 v3, v6, v4, v3
.LBB25_736:
	s_or_b64 exec, exec, s[6:7]
	s_nop 0
	v_mfma_f32_16x16x4f32 a[0:3], v2, v3, a[0:3]
	s_movk_i32 s4, 0x7f
	v_cmp_gt_i16_sdwa s[6:7], v9, s4 src0_sel:BYTE_0 src1_sel:DWORD
	s_mov_b64 s[4:5], 0
                                        ; implicit-def: $sgpr10
	s_and_saveexec_b64 s[8:9], s[6:7]
	s_xor_b64 s[6:7], exec, s[8:9]
	s_cbranch_execnz .LBB25_2785
; %bb.737:
	s_or_saveexec_b64 s[6:7], s[6:7]
	v_mov_b32_e32 v2, s10
	s_xor_b64 exec, exec, s[6:7]
	s_cbranch_execnz .LBB25_2788
.LBB25_738:
	s_or_b64 exec, exec, s[6:7]
	s_and_saveexec_b64 s[6:7], s[4:5]
	s_cbranch_execz .LBB25_740
.LBB25_739:
	v_mov_b32_e32 v2, 8
	v_and_b32_e32 v3, 7, v9
	v_lshrrev_b32_sdwa v2, v2, v9 dst_sel:BYTE_1 dst_unused:UNUSED_PAD src0_sel:DWORD src1_sel:DWORD
	v_ffbh_u32_e32 v4, v3
	v_or_b32_sdwa v2, v9, v2 dst_sel:DWORD dst_unused:UNUSED_PAD src0_sel:BYTE_0 src1_sel:DWORD
	v_min_u32_e32 v4, 32, v4
	v_lshrrev_b16_e32 v2, 3, v2
	v_subrev_u32_e32 v6, 28, v4
	v_and_b32_e32 v2, 15, v2
	v_lshlrev_b32_e32 v6, v6, v9
	v_sub_u32_e32 v4, 29, v4
	v_and_b32_e32 v6, 7, v6
	v_cmp_eq_u16_e32 vcc, 0, v2
	v_cndmask_b32_e32 v3, v3, v6, vcc
	v_cndmask_b32_e32 v2, v2, v4, vcc
	v_lshlrev_b32_e32 v4, 24, v9
	v_mov_b32_e32 v6, 0x3b800000
	v_lshlrev_b32_e32 v3, 20, v3
	v_and_b32_e32 v4, 0x80000000, v4
	v_lshl_add_u32 v2, v2, 23, v6
	v_or3_b32 v2, v4, v2, v3
.LBB25_740:
	s_or_b64 exec, exec, s[6:7]
	s_movk_i32 s4, 0x7f
	v_cmp_gt_i16_sdwa s[6:7], v5, s4 src0_sel:BYTE_0 src1_sel:DWORD
	s_mov_b64 s[4:5], 0
                                        ; implicit-def: $sgpr10
	s_and_saveexec_b64 s[8:9], s[6:7]
	s_xor_b64 s[6:7], exec, s[8:9]
	s_cbranch_execnz .LBB25_2789
; %bb.741:
	s_or_saveexec_b64 s[6:7], s[6:7]
	v_mov_b32_e32 v3, s10
	s_xor_b64 exec, exec, s[6:7]
	s_cbranch_execnz .LBB25_2792
.LBB25_742:
	s_or_b64 exec, exec, s[6:7]
	s_and_saveexec_b64 s[6:7], s[4:5]
	s_cbranch_execz .LBB25_744
.LBB25_743:
	v_mov_b32_e32 v3, 8
	v_and_b32_e32 v4, 7, v5
	v_lshrrev_b32_sdwa v3, v3, v5 dst_sel:BYTE_1 dst_unused:UNUSED_PAD src0_sel:DWORD src1_sel:DWORD
	v_ffbh_u32_e32 v6, v4
	v_or_b32_sdwa v3, v5, v3 dst_sel:DWORD dst_unused:UNUSED_PAD src0_sel:BYTE_0 src1_sel:DWORD
	v_min_u32_e32 v6, 32, v6
	v_lshrrev_b16_e32 v3, 3, v3
	v_subrev_u32_e32 v7, 28, v6
	v_and_b32_e32 v3, 15, v3
	v_lshlrev_b32_e32 v7, v7, v5
	v_sub_u32_e32 v6, 29, v6
	v_and_b32_e32 v7, 7, v7
	v_cmp_eq_u16_e32 vcc, 0, v3
	v_cndmask_b32_e32 v4, v4, v7, vcc
	v_cndmask_b32_e32 v3, v3, v6, vcc
	v_lshlrev_b32_e32 v6, 24, v5
	v_mov_b32_e32 v7, 0x3b800000
	v_lshlrev_b32_e32 v4, 20, v4
	v_and_b32_e32 v6, 0x80000000, v6
	v_lshl_add_u32 v3, v3, 23, v7
	v_or3_b32 v3, v6, v3, v4
.LBB25_744:
	s_or_b64 exec, exec, s[6:7]
	s_nop 0
	v_mfma_f32_16x16x4f32 a[0:3], v2, v3, a[0:3]
	v_lshrrev_b32_e32 v3, 8, v9
	s_movk_i32 s4, 0x7f
	v_cmp_gt_i16_sdwa s[6:7], v3, s4 src0_sel:BYTE_0 src1_sel:DWORD
	s_mov_b64 s[4:5], 0
                                        ; implicit-def: $sgpr10
	s_and_saveexec_b64 s[8:9], s[6:7]
	s_xor_b64 s[6:7], exec, s[8:9]
	s_cbranch_execnz .LBB25_2793
; %bb.745:
	s_or_saveexec_b64 s[6:7], s[6:7]
	v_mov_b32_e32 v2, s10
	s_xor_b64 exec, exec, s[6:7]
	s_cbranch_execnz .LBB25_2796
.LBB25_746:
	s_or_b64 exec, exec, s[6:7]
	s_and_saveexec_b64 s[6:7], s[4:5]
	s_cbranch_execz .LBB25_748
.LBB25_747:
	v_bfe_u32 v2, v9, 8, 3
	v_ffbh_u32_e32 v6, v2
	v_min_u32_e32 v6, 32, v6
	v_lshrrev_b16_e32 v4, 3, v3
	v_subrev_u32_e32 v7, 28, v6
	v_and_b32_e32 v4, 15, v4
	v_lshlrev_b32_e32 v3, v7, v3
	v_sub_u32_e32 v6, 29, v6
	v_and_b32_e32 v3, 7, v3
	v_cmp_eq_u16_e32 vcc, 0, v4
	v_cndmask_b32_e32 v2, v2, v3, vcc
	v_cndmask_b32_e32 v3, v4, v6, vcc
	v_lshlrev_b32_e32 v4, 16, v9
	v_mov_b32_e32 v6, 0x3b800000
	v_lshlrev_b32_e32 v2, 20, v2
	v_and_b32_e32 v4, 0x80000000, v4
	v_lshl_add_u32 v3, v3, 23, v6
	v_or3_b32 v2, v4, v3, v2
.LBB25_748:
	s_or_b64 exec, exec, s[6:7]
	v_lshrrev_b32_e32 v3, 8, v5
	s_movk_i32 s4, 0x7f
	v_cmp_gt_i16_sdwa s[6:7], v3, s4 src0_sel:BYTE_0 src1_sel:DWORD
	s_mov_b64 s[4:5], 0
                                        ; implicit-def: $sgpr10
	s_and_saveexec_b64 s[8:9], s[6:7]
	s_xor_b64 s[6:7], exec, s[8:9]
	s_cbranch_execnz .LBB25_2797
; %bb.749:
	s_or_saveexec_b64 s[6:7], s[6:7]
	v_mov_b32_e32 v4, s10
	s_xor_b64 exec, exec, s[6:7]
	s_cbranch_execnz .LBB25_2800
.LBB25_750:
	s_or_b64 exec, exec, s[6:7]
	s_and_saveexec_b64 s[6:7], s[4:5]
	s_cbranch_execz .LBB25_752
.LBB25_751:
	v_bfe_u32 v4, v5, 8, 3
	v_ffbh_u32_e32 v7, v4
	v_min_u32_e32 v7, 32, v7
	v_lshrrev_b16_e32 v6, 3, v3
	v_subrev_u32_e32 v8, 28, v7
	v_and_b32_e32 v6, 15, v6
	v_lshlrev_b32_e32 v3, v8, v3
	v_sub_u32_e32 v7, 29, v7
	v_and_b32_e32 v3, 7, v3
	v_cmp_eq_u16_e32 vcc, 0, v6
	v_cndmask_b32_e32 v3, v4, v3, vcc
	v_cndmask_b32_e32 v4, v6, v7, vcc
	v_lshlrev_b32_e32 v6, 16, v5
	v_mov_b32_e32 v7, 0x3b800000
	v_lshlrev_b32_e32 v3, 20, v3
	v_and_b32_e32 v6, 0x80000000, v6
	v_lshl_add_u32 v4, v4, 23, v7
	v_or3_b32 v4, v6, v4, v3
.LBB25_752:
	s_or_b64 exec, exec, s[6:7]
	s_nop 0
	v_mfma_f32_16x16x4f32 a[0:3], v2, v4, a[0:3]
	s_movk_i32 s4, 0xff
	v_and_b32_sdwa v3, v9, s4 dst_sel:DWORD dst_unused:UNUSED_PAD src0_sel:WORD_1 src1_sel:DWORD
	s_movk_i32 s4, 0x7f
	v_cmp_lt_i16_e32 vcc, s4, v3
	s_mov_b64 s[4:5], 0
                                        ; implicit-def: $sgpr10
	s_and_saveexec_b64 s[6:7], vcc
	s_xor_b64 s[6:7], exec, s[6:7]
	s_cbranch_execnz .LBB25_2801
; %bb.753:
	s_or_saveexec_b64 s[6:7], s[6:7]
	v_mov_b32_e32 v2, s10
	s_xor_b64 exec, exec, s[6:7]
	s_cbranch_execnz .LBB25_2804
.LBB25_754:
	s_or_b64 exec, exec, s[6:7]
	s_and_saveexec_b64 s[6:7], s[4:5]
	s_cbranch_execz .LBB25_756
.LBB25_755:
	v_bfe_u32 v2, v9, 16, 3
	v_ffbh_u32_e32 v6, v2
	v_min_u32_e32 v6, 32, v6
	v_lshrrev_b32_e32 v3, 19, v9
	v_subrev_u32_e32 v7, 28, v6
	v_and_b32_e32 v3, 15, v3
	v_lshlrev_b32_sdwa v7, v7, v9 dst_sel:DWORD dst_unused:UNUSED_PAD src0_sel:DWORD src1_sel:WORD_1
	v_bfe_u32 v4, v9, 19, 4
	v_sub_u32_e32 v6, 29, v6
	v_and_b32_e32 v7, 7, v7
	v_cmp_eq_u16_e32 vcc, 0, v3
	v_cndmask_b32_e32 v2, v2, v7, vcc
	v_cndmask_b32_e32 v3, v4, v6, vcc
	v_lshlrev_b32_e32 v4, 8, v9
	v_mov_b32_e32 v6, 0x3b800000
	v_lshlrev_b32_e32 v2, 20, v2
	v_and_b32_e32 v4, 0x80000000, v4
	v_lshl_add_u32 v3, v3, 23, v6
	v_or3_b32 v2, v4, v3, v2
.LBB25_756:
	s_or_b64 exec, exec, s[6:7]
	s_movk_i32 s4, 0xff
	v_and_b32_sdwa v3, v5, s4 dst_sel:DWORD dst_unused:UNUSED_PAD src0_sel:WORD_1 src1_sel:DWORD
	s_movk_i32 s4, 0x7f
	v_cmp_lt_i16_e32 vcc, s4, v3
	s_mov_b64 s[4:5], 0
                                        ; implicit-def: $sgpr10
	s_and_saveexec_b64 s[6:7], vcc
	s_xor_b64 s[6:7], exec, s[6:7]
	s_cbranch_execnz .LBB25_2805
; %bb.757:
	s_or_saveexec_b64 s[6:7], s[6:7]
	v_mov_b32_e32 v4, s10
	s_xor_b64 exec, exec, s[6:7]
	s_cbranch_execnz .LBB25_2808
.LBB25_758:
	s_or_b64 exec, exec, s[6:7]
	s_and_saveexec_b64 s[6:7], s[4:5]
	s_cbranch_execz .LBB25_760
.LBB25_759:
	v_bfe_u32 v3, v5, 16, 3
	v_ffbh_u32_e32 v7, v3
	v_min_u32_e32 v7, 32, v7
	v_lshrrev_b32_e32 v4, 19, v5
	v_subrev_u32_e32 v8, 28, v7
	v_and_b32_e32 v4, 15, v4
	v_lshlrev_b32_sdwa v8, v8, v5 dst_sel:DWORD dst_unused:UNUSED_PAD src0_sel:DWORD src1_sel:WORD_1
	v_bfe_u32 v6, v5, 19, 4
	v_sub_u32_e32 v7, 29, v7
	v_and_b32_e32 v8, 7, v8
	v_cmp_eq_u16_e32 vcc, 0, v4
	v_cndmask_b32_e32 v3, v3, v8, vcc
	v_cndmask_b32_e32 v4, v6, v7, vcc
	v_lshlrev_b32_e32 v6, 8, v5
	v_mov_b32_e32 v7, 0x3b800000
	v_lshlrev_b32_e32 v3, 20, v3
	v_and_b32_e32 v6, 0x80000000, v6
	v_lshl_add_u32 v4, v4, 23, v7
	v_or3_b32 v4, v6, v4, v3
.LBB25_760:
	s_or_b64 exec, exec, s[6:7]
	s_nop 0
	v_mfma_f32_16x16x4f32 a[0:3], v2, v4, a[0:3]
	s_movk_i32 s4, 0x7f
	v_cmp_gt_i16_sdwa s[6:7], v9, s4 src0_sel:BYTE_3 src1_sel:DWORD
	s_mov_b64 s[4:5], 0
                                        ; implicit-def: $sgpr10
	s_and_saveexec_b64 s[8:9], s[6:7]
	s_xor_b64 s[6:7], exec, s[8:9]
	s_cbranch_execnz .LBB25_2809
; %bb.761:
	s_or_saveexec_b64 s[6:7], s[6:7]
	v_mov_b32_e32 v2, s10
	s_xor_b64 exec, exec, s[6:7]
	s_cbranch_execnz .LBB25_2812
.LBB25_762:
	s_or_b64 exec, exec, s[6:7]
	s_and_saveexec_b64 s[6:7], s[4:5]
	s_cbranch_execz .LBB25_764
.LBB25_763:
	v_bfe_u32 v2, v9, 24, 3
	v_ffbh_u32_e32 v7, v2
	v_min_u32_e32 v7, 32, v7
	v_lshrrev_b32_e32 v4, 27, v9
	v_subrev_u32_e32 v8, 28, v7
	v_and_b32_e32 v4, 15, v4
	v_lshlrev_b32_sdwa v8, v8, v9 dst_sel:DWORD dst_unused:UNUSED_PAD src0_sel:DWORD src1_sel:BYTE_3
	v_bfe_u32 v6, v9, 27, 4
	v_sub_u32_e32 v7, 29, v7
	v_and_b32_e32 v8, 7, v8
	v_cmp_eq_u16_e32 vcc, 0, v4
	v_cndmask_b32_e32 v2, v2, v8, vcc
	v_cndmask_b32_e32 v4, v6, v7, vcc
	v_mov_b32_e32 v6, 0x3b800000
	v_and_b32_e32 v3, 0x80000000, v9
	v_lshlrev_b32_e32 v2, 20, v2
	v_lshl_add_u32 v4, v4, 23, v6
	v_or3_b32 v2, v3, v4, v2
.LBB25_764:
	s_or_b64 exec, exec, s[6:7]
	s_movk_i32 s4, 0x7f
	v_cmp_gt_i16_sdwa s[6:7], v5, s4 src0_sel:BYTE_3 src1_sel:DWORD
	s_mov_b64 s[4:5], 0
                                        ; implicit-def: $sgpr10
	s_and_saveexec_b64 s[8:9], s[6:7]
	s_xor_b64 s[6:7], exec, s[8:9]
	s_cbranch_execnz .LBB25_2813
; %bb.765:
	s_or_saveexec_b64 s[6:7], s[6:7]
	v_mov_b32_e32 v3, s10
	s_xor_b64 exec, exec, s[6:7]
	s_cbranch_execnz .LBB25_2816
.LBB25_766:
	s_or_b64 exec, exec, s[6:7]
	s_and_saveexec_b64 s[6:7], s[4:5]
	s_cbranch_execz .LBB25_768
.LBB25_767:
	v_bfe_u32 v3, v5, 24, 3
	v_ffbh_u32_e32 v8, v3
	v_min_u32_e32 v8, 32, v8
	v_lshrrev_b32_e32 v6, 27, v5
	v_subrev_u32_e32 v9, 28, v8
	v_and_b32_e32 v4, 0x80000000, v5
	v_and_b32_e32 v6, 15, v6
	v_bfe_u32 v7, v5, 27, 4
	v_lshlrev_b32_sdwa v5, v9, v5 dst_sel:DWORD dst_unused:UNUSED_PAD src0_sel:DWORD src1_sel:BYTE_3
	v_sub_u32_e32 v8, 29, v8
	v_and_b32_e32 v5, 7, v5
	v_cmp_eq_u16_e32 vcc, 0, v6
	v_cndmask_b32_e32 v3, v3, v5, vcc
	v_cndmask_b32_e32 v5, v7, v8, vcc
	v_mov_b32_e32 v6, 0x3b800000
	v_lshlrev_b32_e32 v3, 20, v3
	v_lshl_add_u32 v5, v5, 23, v6
	v_or3_b32 v3, v4, v5, v3
.LBB25_768:
	s_or_b64 exec, exec, s[6:7]
	s_nop 0
	v_mfma_f32_16x16x4f32 a[0:3], v2, v3, a[0:3]
	s_movk_i32 s4, 0x7f
                                        ; implicit-def: $sgpr10
	s_nop 7
	s_nop 1
	flat_store_dwordx4 v[18:19], a[0:3] offset:928
	flat_load_dwordx4 v[20:23], v[0:1] offset:8
	s_nop 0
	flat_load_dwordx2 v[18:19], v[0:1] offset:24
	s_waitcnt vmcnt(0) lgkmcnt(0)
	flat_load_dwordx4 v[14:17], v[20:21] offset:32
	flat_load_dwordx4 v[6:9], v[20:21] offset:48
	;; [unrolled: 1-line block ×4, first 2 shown]
	s_waitcnt vmcnt(0) lgkmcnt(0)
	v_cmp_gt_i16_sdwa s[6:7], v14, s4 src0_sel:BYTE_0 src1_sel:DWORD
	s_mov_b64 s[4:5], 0
	s_and_saveexec_b64 s[8:9], s[6:7]
	s_xor_b64 s[6:7], exec, s[8:9]
	s_cbranch_execnz .LBB25_2817
; %bb.769:
	s_or_saveexec_b64 s[6:7], s[6:7]
	v_mov_b32_e32 v20, s10
	s_xor_b64 exec, exec, s[6:7]
	s_cbranch_execnz .LBB25_2820
.LBB25_770:
	s_or_b64 exec, exec, s[6:7]
	s_and_saveexec_b64 s[6:7], s[4:5]
	s_cbranch_execz .LBB25_772
.LBB25_771:
	v_and_b32_e32 v20, 7, v14
	v_ffbh_u32_e32 v22, v20
	v_min_u32_e32 v22, 32, v22
	v_lshrrev_b16_e32 v21, 3, v14
	v_subrev_u32_e32 v23, 28, v22
	v_and_b32_e32 v21, 15, v21
	v_lshlrev_b32_e32 v23, v23, v14
	v_sub_u32_e32 v22, 29, v22
	v_and_b32_e32 v23, 7, v23
	v_cmp_eq_u16_e32 vcc, 0, v21
	v_cndmask_b32_e32 v20, v20, v23, vcc
	v_cndmask_b32_e32 v21, v21, v22, vcc
	v_lshlrev_b32_e32 v22, 24, v14
	v_mov_b32_e32 v23, 0x3b800000
	v_lshlrev_b32_e32 v20, 20, v20
	v_and_b32_e32 v22, 0x80000000, v22
	v_lshl_add_u32 v21, v21, 23, v23
	v_or3_b32 v20, v22, v21, v20
.LBB25_772:
	s_or_b64 exec, exec, s[6:7]
	s_movk_i32 s4, 0x7f
	v_cmp_gt_i16_sdwa s[6:7], v10, s4 src0_sel:BYTE_0 src1_sel:DWORD
	s_mov_b64 s[4:5], 0
                                        ; implicit-def: $sgpr10
	s_and_saveexec_b64 s[8:9], s[6:7]
	s_xor_b64 s[6:7], exec, s[8:9]
	s_cbranch_execnz .LBB25_2821
; %bb.773:
	s_or_saveexec_b64 s[6:7], s[6:7]
	v_mov_b32_e32 v21, s10
	s_xor_b64 exec, exec, s[6:7]
	s_cbranch_execnz .LBB25_2824
.LBB25_774:
	s_or_b64 exec, exec, s[6:7]
	s_and_saveexec_b64 s[6:7], s[4:5]
	s_cbranch_execz .LBB25_776
.LBB25_775:
	v_and_b32_e32 v21, 7, v10
	v_ffbh_u32_e32 v23, v21
	v_min_u32_e32 v23, 32, v23
	v_lshrrev_b16_e32 v22, 3, v10
	v_subrev_u32_e32 v24, 28, v23
	v_and_b32_e32 v22, 15, v22
	v_lshlrev_b32_e32 v24, v24, v10
	v_sub_u32_e32 v23, 29, v23
	v_and_b32_e32 v24, 7, v24
	v_cmp_eq_u16_e32 vcc, 0, v22
	v_cndmask_b32_e32 v21, v21, v24, vcc
	v_cndmask_b32_e32 v22, v22, v23, vcc
	v_lshlrev_b32_e32 v23, 24, v10
	v_mov_b32_e32 v24, 0x3b800000
	v_lshlrev_b32_e32 v21, 20, v21
	v_and_b32_e32 v23, 0x80000000, v23
	v_lshl_add_u32 v22, v22, 23, v24
	v_or3_b32 v21, v23, v22, v21
.LBB25_776:
	s_or_b64 exec, exec, s[6:7]
	flat_load_dwordx4 a[0:3], v[18:19] offset:944
	s_movk_i32 s4, 0x7f
                                        ; implicit-def: $sgpr10
	s_waitcnt vmcnt(0) lgkmcnt(0)
	v_mfma_f32_16x16x4f32 a[0:3], v20, v21, a[0:3]
	v_lshrrev_b32_e32 v21, 8, v14
	v_cmp_gt_i16_sdwa s[6:7], v21, s4 src0_sel:BYTE_0 src1_sel:DWORD
	s_mov_b64 s[4:5], 0
	s_and_saveexec_b64 s[8:9], s[6:7]
	s_xor_b64 s[6:7], exec, s[8:9]
	s_cbranch_execnz .LBB25_2825
; %bb.777:
	s_or_saveexec_b64 s[6:7], s[6:7]
	v_mov_b32_e32 v20, s10
	s_xor_b64 exec, exec, s[6:7]
	s_cbranch_execnz .LBB25_2828
.LBB25_778:
	s_or_b64 exec, exec, s[6:7]
	s_and_saveexec_b64 s[6:7], s[4:5]
	s_cbranch_execz .LBB25_780
.LBB25_779:
	v_bfe_u32 v20, v14, 8, 3
	v_ffbh_u32_e32 v23, v20
	v_min_u32_e32 v23, 32, v23
	v_lshrrev_b16_e32 v22, 3, v21
	v_subrev_u32_e32 v24, 28, v23
	v_and_b32_e32 v22, 15, v22
	v_lshlrev_b32_e32 v21, v24, v21
	v_sub_u32_e32 v23, 29, v23
	v_and_b32_e32 v21, 7, v21
	v_cmp_eq_u16_e32 vcc, 0, v22
	v_cndmask_b32_e32 v20, v20, v21, vcc
	v_cndmask_b32_e32 v21, v22, v23, vcc
	v_lshlrev_b32_e32 v22, 16, v14
	v_mov_b32_e32 v23, 0x3b800000
	v_lshlrev_b32_e32 v20, 20, v20
	v_and_b32_e32 v22, 0x80000000, v22
	v_lshl_add_u32 v21, v21, 23, v23
	v_or3_b32 v20, v22, v21, v20
.LBB25_780:
	s_or_b64 exec, exec, s[6:7]
	v_lshrrev_b32_e32 v21, 8, v10
	s_movk_i32 s4, 0x7f
	v_cmp_gt_i16_sdwa s[6:7], v21, s4 src0_sel:BYTE_0 src1_sel:DWORD
	s_mov_b64 s[4:5], 0
                                        ; implicit-def: $sgpr10
	s_and_saveexec_b64 s[8:9], s[6:7]
	s_xor_b64 s[6:7], exec, s[8:9]
	s_cbranch_execnz .LBB25_2829
; %bb.781:
	s_or_saveexec_b64 s[6:7], s[6:7]
	v_mov_b32_e32 v22, s10
	s_xor_b64 exec, exec, s[6:7]
	s_cbranch_execnz .LBB25_2832
.LBB25_782:
	s_or_b64 exec, exec, s[6:7]
	s_and_saveexec_b64 s[6:7], s[4:5]
	s_cbranch_execz .LBB25_784
.LBB25_783:
	v_bfe_u32 v22, v10, 8, 3
	v_ffbh_u32_e32 v24, v22
	v_min_u32_e32 v24, 32, v24
	v_lshrrev_b16_e32 v23, 3, v21
	v_subrev_u32_e32 v25, 28, v24
	v_and_b32_e32 v23, 15, v23
	v_lshlrev_b32_e32 v21, v25, v21
	v_sub_u32_e32 v24, 29, v24
	v_and_b32_e32 v21, 7, v21
	v_cmp_eq_u16_e32 vcc, 0, v23
	v_cndmask_b32_e32 v21, v22, v21, vcc
	v_cndmask_b32_e32 v22, v23, v24, vcc
	v_lshlrev_b32_e32 v23, 16, v10
	v_mov_b32_e32 v24, 0x3b800000
	v_lshlrev_b32_e32 v21, 20, v21
	v_and_b32_e32 v23, 0x80000000, v23
	v_lshl_add_u32 v22, v22, 23, v24
	v_or3_b32 v22, v23, v22, v21
.LBB25_784:
	s_or_b64 exec, exec, s[6:7]
	s_nop 0
	v_mfma_f32_16x16x4f32 a[0:3], v20, v22, a[0:3]
	s_movk_i32 s4, 0xff
	v_and_b32_sdwa v21, v14, s4 dst_sel:DWORD dst_unused:UNUSED_PAD src0_sel:WORD_1 src1_sel:DWORD
	s_movk_i32 s4, 0x7f
	v_cmp_lt_i16_e32 vcc, s4, v21
	s_mov_b64 s[4:5], 0
                                        ; implicit-def: $sgpr10
	s_and_saveexec_b64 s[6:7], vcc
	s_xor_b64 s[6:7], exec, s[6:7]
	s_cbranch_execnz .LBB25_2833
; %bb.785:
	s_or_saveexec_b64 s[6:7], s[6:7]
	v_mov_b32_e32 v20, s10
	s_xor_b64 exec, exec, s[6:7]
	s_cbranch_execnz .LBB25_2836
.LBB25_786:
	s_or_b64 exec, exec, s[6:7]
	s_and_saveexec_b64 s[6:7], s[4:5]
	s_cbranch_execz .LBB25_788
.LBB25_787:
	v_bfe_u32 v20, v14, 16, 3
	v_ffbh_u32_e32 v23, v20
	v_min_u32_e32 v23, 32, v23
	v_lshrrev_b32_e32 v21, 19, v14
	v_subrev_u32_e32 v24, 28, v23
	v_and_b32_e32 v21, 15, v21
	v_lshlrev_b32_sdwa v24, v24, v14 dst_sel:DWORD dst_unused:UNUSED_PAD src0_sel:DWORD src1_sel:WORD_1
	v_bfe_u32 v22, v14, 19, 4
	v_sub_u32_e32 v23, 29, v23
	v_and_b32_e32 v24, 7, v24
	v_cmp_eq_u16_e32 vcc, 0, v21
	v_cndmask_b32_e32 v20, v20, v24, vcc
	v_cndmask_b32_e32 v21, v22, v23, vcc
	v_lshlrev_b32_e32 v22, 8, v14
	v_mov_b32_e32 v23, 0x3b800000
	v_lshlrev_b32_e32 v20, 20, v20
	v_and_b32_e32 v22, 0x80000000, v22
	v_lshl_add_u32 v21, v21, 23, v23
	v_or3_b32 v20, v22, v21, v20
.LBB25_788:
	s_or_b64 exec, exec, s[6:7]
	s_movk_i32 s4, 0xff
	v_and_b32_sdwa v21, v10, s4 dst_sel:DWORD dst_unused:UNUSED_PAD src0_sel:WORD_1 src1_sel:DWORD
	s_movk_i32 s4, 0x7f
	v_cmp_lt_i16_e32 vcc, s4, v21
	s_mov_b64 s[4:5], 0
                                        ; implicit-def: $sgpr10
	s_and_saveexec_b64 s[6:7], vcc
	s_xor_b64 s[6:7], exec, s[6:7]
	s_cbranch_execnz .LBB25_2837
; %bb.789:
	s_or_saveexec_b64 s[6:7], s[6:7]
	v_mov_b32_e32 v22, s10
	s_xor_b64 exec, exec, s[6:7]
	s_cbranch_execnz .LBB25_2840
.LBB25_790:
	s_or_b64 exec, exec, s[6:7]
	s_and_saveexec_b64 s[6:7], s[4:5]
	s_cbranch_execz .LBB25_792
.LBB25_791:
	v_bfe_u32 v21, v10, 16, 3
	v_ffbh_u32_e32 v24, v21
	v_min_u32_e32 v24, 32, v24
	v_lshrrev_b32_e32 v22, 19, v10
	v_subrev_u32_e32 v25, 28, v24
	v_and_b32_e32 v22, 15, v22
	v_lshlrev_b32_sdwa v25, v25, v10 dst_sel:DWORD dst_unused:UNUSED_PAD src0_sel:DWORD src1_sel:WORD_1
	v_bfe_u32 v23, v10, 19, 4
	v_sub_u32_e32 v24, 29, v24
	v_and_b32_e32 v25, 7, v25
	v_cmp_eq_u16_e32 vcc, 0, v22
	v_cndmask_b32_e32 v21, v21, v25, vcc
	v_cndmask_b32_e32 v22, v23, v24, vcc
	v_lshlrev_b32_e32 v23, 8, v10
	v_mov_b32_e32 v24, 0x3b800000
	v_lshlrev_b32_e32 v21, 20, v21
	v_and_b32_e32 v23, 0x80000000, v23
	v_lshl_add_u32 v22, v22, 23, v24
	v_or3_b32 v22, v23, v22, v21
.LBB25_792:
	s_or_b64 exec, exec, s[6:7]
	s_nop 0
	v_mfma_f32_16x16x4f32 a[0:3], v20, v22, a[0:3]
	s_movk_i32 s4, 0x7f
	v_cmp_gt_i16_sdwa s[6:7], v14, s4 src0_sel:BYTE_3 src1_sel:DWORD
	s_mov_b64 s[4:5], 0
                                        ; implicit-def: $sgpr10
	s_and_saveexec_b64 s[8:9], s[6:7]
	s_xor_b64 s[6:7], exec, s[8:9]
	s_cbranch_execnz .LBB25_2841
; %bb.793:
	s_or_saveexec_b64 s[6:7], s[6:7]
	v_mov_b32_e32 v20, s10
	s_xor_b64 exec, exec, s[6:7]
	s_cbranch_execnz .LBB25_2844
.LBB25_794:
	s_or_b64 exec, exec, s[6:7]
	s_and_saveexec_b64 s[6:7], s[4:5]
	s_cbranch_execz .LBB25_796
.LBB25_795:
	v_bfe_u32 v20, v14, 24, 3
	v_ffbh_u32_e32 v24, v20
	v_min_u32_e32 v24, 32, v24
	v_lshrrev_b32_e32 v22, 27, v14
	v_subrev_u32_e32 v25, 28, v24
	v_and_b32_e32 v21, 0x80000000, v14
	v_and_b32_e32 v22, 15, v22
	v_bfe_u32 v23, v14, 27, 4
	v_lshlrev_b32_sdwa v14, v25, v14 dst_sel:DWORD dst_unused:UNUSED_PAD src0_sel:DWORD src1_sel:BYTE_3
	v_sub_u32_e32 v24, 29, v24
	v_and_b32_e32 v14, 7, v14
	v_cmp_eq_u16_e32 vcc, 0, v22
	v_cndmask_b32_e32 v14, v20, v14, vcc
	v_cndmask_b32_e32 v20, v23, v24, vcc
	v_mov_b32_e32 v22, 0x3b800000
	v_lshlrev_b32_e32 v14, 20, v14
	v_lshl_add_u32 v20, v20, 23, v22
	v_or3_b32 v20, v21, v20, v14
.LBB25_796:
	s_or_b64 exec, exec, s[6:7]
	s_movk_i32 s4, 0x7f
	v_cmp_gt_i16_sdwa s[6:7], v10, s4 src0_sel:BYTE_3 src1_sel:DWORD
	s_mov_b64 s[4:5], 0
                                        ; implicit-def: $sgpr10
	s_and_saveexec_b64 s[8:9], s[6:7]
	s_xor_b64 s[6:7], exec, s[8:9]
	s_cbranch_execnz .LBB25_2845
; %bb.797:
	s_or_saveexec_b64 s[6:7], s[6:7]
	v_mov_b32_e32 v14, s10
	s_xor_b64 exec, exec, s[6:7]
	s_cbranch_execnz .LBB25_2848
.LBB25_798:
	s_or_b64 exec, exec, s[6:7]
	s_and_saveexec_b64 s[6:7], s[4:5]
	s_cbranch_execz .LBB25_800
.LBB25_799:
	v_bfe_u32 v14, v10, 24, 3
	v_ffbh_u32_e32 v24, v14
	v_min_u32_e32 v24, 32, v24
	v_lshrrev_b32_e32 v22, 27, v10
	v_subrev_u32_e32 v25, 28, v24
	v_and_b32_e32 v21, 0x80000000, v10
	v_and_b32_e32 v22, 15, v22
	v_bfe_u32 v23, v10, 27, 4
	v_lshlrev_b32_sdwa v10, v25, v10 dst_sel:DWORD dst_unused:UNUSED_PAD src0_sel:DWORD src1_sel:BYTE_3
	v_sub_u32_e32 v24, 29, v24
	v_and_b32_e32 v10, 7, v10
	v_cmp_eq_u16_e32 vcc, 0, v22
	v_cndmask_b32_e32 v10, v14, v10, vcc
	v_cndmask_b32_e32 v14, v23, v24, vcc
	v_mov_b32_e32 v22, 0x3b800000
	v_lshlrev_b32_e32 v10, 20, v10
	v_lshl_add_u32 v14, v14, 23, v22
	v_or3_b32 v14, v21, v14, v10
.LBB25_800:
	s_or_b64 exec, exec, s[6:7]
	s_nop 0
	v_mfma_f32_16x16x4f32 a[0:3], v20, v14, a[0:3]
	s_movk_i32 s4, 0x7f
	v_cmp_gt_i16_sdwa s[6:7], v15, s4 src0_sel:BYTE_0 src1_sel:DWORD
	s_mov_b64 s[4:5], 0
                                        ; implicit-def: $sgpr10
	s_and_saveexec_b64 s[8:9], s[6:7]
	s_xor_b64 s[6:7], exec, s[8:9]
	s_cbranch_execnz .LBB25_2849
; %bb.801:
	s_or_saveexec_b64 s[6:7], s[6:7]
	v_mov_b32_e32 v10, s10
	s_xor_b64 exec, exec, s[6:7]
	s_cbranch_execnz .LBB25_2852
.LBB25_802:
	s_or_b64 exec, exec, s[6:7]
	s_and_saveexec_b64 s[6:7], s[4:5]
	s_cbranch_execz .LBB25_804
.LBB25_803:
	v_and_b32_e32 v10, 7, v15
	v_ffbh_u32_e32 v20, v10
	v_min_u32_e32 v20, 32, v20
	v_lshrrev_b16_e32 v14, 3, v15
	v_subrev_u32_e32 v21, 28, v20
	v_and_b32_e32 v14, 15, v14
	v_lshlrev_b32_e32 v21, v21, v15
	v_sub_u32_e32 v20, 29, v20
	v_and_b32_e32 v21, 7, v21
	v_cmp_eq_u16_e32 vcc, 0, v14
	v_cndmask_b32_e32 v10, v10, v21, vcc
	v_cndmask_b32_e32 v14, v14, v20, vcc
	v_lshlrev_b32_e32 v20, 24, v15
	v_mov_b32_e32 v21, 0x3b800000
	v_lshlrev_b32_e32 v10, 20, v10
	v_and_b32_e32 v20, 0x80000000, v20
	v_lshl_add_u32 v14, v14, 23, v21
	v_or3_b32 v10, v20, v14, v10
.LBB25_804:
	s_or_b64 exec, exec, s[6:7]
	s_movk_i32 s4, 0x7f
	v_cmp_gt_i16_sdwa s[6:7], v11, s4 src0_sel:BYTE_0 src1_sel:DWORD
	s_mov_b64 s[4:5], 0
                                        ; implicit-def: $sgpr10
	s_and_saveexec_b64 s[8:9], s[6:7]
	s_xor_b64 s[6:7], exec, s[8:9]
	s_cbranch_execnz .LBB25_2853
; %bb.805:
	s_or_saveexec_b64 s[6:7], s[6:7]
	v_mov_b32_e32 v14, s10
	s_xor_b64 exec, exec, s[6:7]
	s_cbranch_execnz .LBB25_2856
.LBB25_806:
	s_or_b64 exec, exec, s[6:7]
	s_and_saveexec_b64 s[6:7], s[4:5]
	s_cbranch_execz .LBB25_808
.LBB25_807:
	v_and_b32_e32 v14, 7, v11
	v_ffbh_u32_e32 v21, v14
	v_min_u32_e32 v21, 32, v21
	v_lshrrev_b16_e32 v20, 3, v11
	v_subrev_u32_e32 v22, 28, v21
	v_and_b32_e32 v20, 15, v20
	v_lshlrev_b32_e32 v22, v22, v11
	v_sub_u32_e32 v21, 29, v21
	v_and_b32_e32 v22, 7, v22
	v_cmp_eq_u16_e32 vcc, 0, v20
	v_cndmask_b32_e32 v14, v14, v22, vcc
	v_cndmask_b32_e32 v20, v20, v21, vcc
	v_lshlrev_b32_e32 v21, 24, v11
	v_mov_b32_e32 v22, 0x3b800000
	v_lshlrev_b32_e32 v14, 20, v14
	v_and_b32_e32 v21, 0x80000000, v21
	v_lshl_add_u32 v20, v20, 23, v22
	v_or3_b32 v14, v21, v20, v14
.LBB25_808:
	s_or_b64 exec, exec, s[6:7]
	s_nop 0
	v_mfma_f32_16x16x4f32 a[0:3], v10, v14, a[0:3]
	v_lshrrev_b32_e32 v14, 8, v15
	s_movk_i32 s4, 0x7f
	v_cmp_gt_i16_sdwa s[6:7], v14, s4 src0_sel:BYTE_0 src1_sel:DWORD
	s_mov_b64 s[4:5], 0
                                        ; implicit-def: $sgpr10
	s_and_saveexec_b64 s[8:9], s[6:7]
	s_xor_b64 s[6:7], exec, s[8:9]
	s_cbranch_execnz .LBB25_2857
; %bb.809:
	s_or_saveexec_b64 s[6:7], s[6:7]
	v_mov_b32_e32 v10, s10
	s_xor_b64 exec, exec, s[6:7]
	s_cbranch_execnz .LBB25_2860
.LBB25_810:
	s_or_b64 exec, exec, s[6:7]
	s_and_saveexec_b64 s[6:7], s[4:5]
	s_cbranch_execz .LBB25_812
.LBB25_811:
	v_bfe_u32 v10, v15, 8, 3
	v_ffbh_u32_e32 v21, v10
	v_min_u32_e32 v21, 32, v21
	v_lshrrev_b16_e32 v20, 3, v14
	v_subrev_u32_e32 v22, 28, v21
	v_and_b32_e32 v20, 15, v20
	v_lshlrev_b32_e32 v14, v22, v14
	v_sub_u32_e32 v21, 29, v21
	v_and_b32_e32 v14, 7, v14
	v_cmp_eq_u16_e32 vcc, 0, v20
	v_cndmask_b32_e32 v10, v10, v14, vcc
	v_cndmask_b32_e32 v14, v20, v21, vcc
	v_lshlrev_b32_e32 v20, 16, v15
	v_mov_b32_e32 v21, 0x3b800000
	v_lshlrev_b32_e32 v10, 20, v10
	v_and_b32_e32 v20, 0x80000000, v20
	v_lshl_add_u32 v14, v14, 23, v21
	v_or3_b32 v10, v20, v14, v10
.LBB25_812:
	s_or_b64 exec, exec, s[6:7]
	v_lshrrev_b32_e32 v14, 8, v11
	s_movk_i32 s4, 0x7f
	v_cmp_gt_i16_sdwa s[6:7], v14, s4 src0_sel:BYTE_0 src1_sel:DWORD
	s_mov_b64 s[4:5], 0
                                        ; implicit-def: $sgpr10
	s_and_saveexec_b64 s[8:9], s[6:7]
	s_xor_b64 s[6:7], exec, s[8:9]
	s_cbranch_execnz .LBB25_2861
; %bb.813:
	s_or_saveexec_b64 s[6:7], s[6:7]
	v_mov_b32_e32 v20, s10
	s_xor_b64 exec, exec, s[6:7]
	s_cbranch_execnz .LBB25_2864
.LBB25_814:
	s_or_b64 exec, exec, s[6:7]
	s_and_saveexec_b64 s[6:7], s[4:5]
	s_cbranch_execz .LBB25_816
.LBB25_815:
	v_bfe_u32 v20, v11, 8, 3
	v_ffbh_u32_e32 v22, v20
	v_min_u32_e32 v22, 32, v22
	v_lshrrev_b16_e32 v21, 3, v14
	v_subrev_u32_e32 v23, 28, v22
	v_and_b32_e32 v21, 15, v21
	v_lshlrev_b32_e32 v14, v23, v14
	v_sub_u32_e32 v22, 29, v22
	v_and_b32_e32 v14, 7, v14
	v_cmp_eq_u16_e32 vcc, 0, v21
	v_cndmask_b32_e32 v14, v20, v14, vcc
	v_cndmask_b32_e32 v20, v21, v22, vcc
	v_lshlrev_b32_e32 v21, 16, v11
	v_mov_b32_e32 v22, 0x3b800000
	v_lshlrev_b32_e32 v14, 20, v14
	v_and_b32_e32 v21, 0x80000000, v21
	v_lshl_add_u32 v20, v20, 23, v22
	v_or3_b32 v20, v21, v20, v14
.LBB25_816:
	s_or_b64 exec, exec, s[6:7]
	s_nop 0
	v_mfma_f32_16x16x4f32 a[0:3], v10, v20, a[0:3]
	s_movk_i32 s4, 0xff
	v_and_b32_sdwa v14, v15, s4 dst_sel:DWORD dst_unused:UNUSED_PAD src0_sel:WORD_1 src1_sel:DWORD
	s_movk_i32 s4, 0x7f
	v_cmp_lt_i16_e32 vcc, s4, v14
	s_mov_b64 s[4:5], 0
                                        ; implicit-def: $sgpr10
	s_and_saveexec_b64 s[6:7], vcc
	s_xor_b64 s[6:7], exec, s[6:7]
	s_cbranch_execnz .LBB25_2865
; %bb.817:
	s_or_saveexec_b64 s[6:7], s[6:7]
	v_mov_b32_e32 v10, s10
	s_xor_b64 exec, exec, s[6:7]
	s_cbranch_execnz .LBB25_2868
.LBB25_818:
	s_or_b64 exec, exec, s[6:7]
	s_and_saveexec_b64 s[6:7], s[4:5]
	s_cbranch_execz .LBB25_820
.LBB25_819:
	v_bfe_u32 v10, v15, 16, 3
	v_ffbh_u32_e32 v21, v10
	v_min_u32_e32 v21, 32, v21
	v_lshrrev_b32_e32 v14, 19, v15
	v_subrev_u32_e32 v22, 28, v21
	v_and_b32_e32 v14, 15, v14
	v_lshlrev_b32_sdwa v22, v22, v15 dst_sel:DWORD dst_unused:UNUSED_PAD src0_sel:DWORD src1_sel:WORD_1
	v_bfe_u32 v20, v15, 19, 4
	v_sub_u32_e32 v21, 29, v21
	v_and_b32_e32 v22, 7, v22
	v_cmp_eq_u16_e32 vcc, 0, v14
	v_cndmask_b32_e32 v10, v10, v22, vcc
	v_cndmask_b32_e32 v14, v20, v21, vcc
	v_lshlrev_b32_e32 v20, 8, v15
	v_mov_b32_e32 v21, 0x3b800000
	v_lshlrev_b32_e32 v10, 20, v10
	v_and_b32_e32 v20, 0x80000000, v20
	v_lshl_add_u32 v14, v14, 23, v21
	v_or3_b32 v10, v20, v14, v10
.LBB25_820:
	s_or_b64 exec, exec, s[6:7]
	s_movk_i32 s4, 0xff
	v_and_b32_sdwa v14, v11, s4 dst_sel:DWORD dst_unused:UNUSED_PAD src0_sel:WORD_1 src1_sel:DWORD
	s_movk_i32 s4, 0x7f
	v_cmp_lt_i16_e32 vcc, s4, v14
	s_mov_b64 s[4:5], 0
                                        ; implicit-def: $sgpr10
	s_and_saveexec_b64 s[6:7], vcc
	s_xor_b64 s[6:7], exec, s[6:7]
	s_cbranch_execnz .LBB25_2869
; %bb.821:
	s_or_saveexec_b64 s[6:7], s[6:7]
	v_mov_b32_e32 v20, s10
	s_xor_b64 exec, exec, s[6:7]
	s_cbranch_execnz .LBB25_2872
.LBB25_822:
	s_or_b64 exec, exec, s[6:7]
	s_and_saveexec_b64 s[6:7], s[4:5]
	s_cbranch_execz .LBB25_824
.LBB25_823:
	v_bfe_u32 v14, v11, 16, 3
	v_ffbh_u32_e32 v22, v14
	v_min_u32_e32 v22, 32, v22
	v_lshrrev_b32_e32 v20, 19, v11
	v_subrev_u32_e32 v23, 28, v22
	v_and_b32_e32 v20, 15, v20
	v_lshlrev_b32_sdwa v23, v23, v11 dst_sel:DWORD dst_unused:UNUSED_PAD src0_sel:DWORD src1_sel:WORD_1
	v_bfe_u32 v21, v11, 19, 4
	v_sub_u32_e32 v22, 29, v22
	v_and_b32_e32 v23, 7, v23
	v_cmp_eq_u16_e32 vcc, 0, v20
	v_cndmask_b32_e32 v14, v14, v23, vcc
	v_cndmask_b32_e32 v20, v21, v22, vcc
	v_lshlrev_b32_e32 v21, 8, v11
	v_mov_b32_e32 v22, 0x3b800000
	v_lshlrev_b32_e32 v14, 20, v14
	v_and_b32_e32 v21, 0x80000000, v21
	v_lshl_add_u32 v20, v20, 23, v22
	v_or3_b32 v20, v21, v20, v14
.LBB25_824:
	s_or_b64 exec, exec, s[6:7]
	s_nop 0
	v_mfma_f32_16x16x4f32 a[0:3], v10, v20, a[0:3]
	s_movk_i32 s4, 0x7f
	v_cmp_gt_i16_sdwa s[6:7], v15, s4 src0_sel:BYTE_3 src1_sel:DWORD
	s_mov_b64 s[4:5], 0
                                        ; implicit-def: $sgpr10
	s_and_saveexec_b64 s[8:9], s[6:7]
	s_xor_b64 s[6:7], exec, s[8:9]
	s_cbranch_execnz .LBB25_2873
; %bb.825:
	s_or_saveexec_b64 s[6:7], s[6:7]
	v_mov_b32_e32 v10, s10
	s_xor_b64 exec, exec, s[6:7]
	s_cbranch_execnz .LBB25_2876
.LBB25_826:
	s_or_b64 exec, exec, s[6:7]
	s_and_saveexec_b64 s[6:7], s[4:5]
	s_cbranch_execz .LBB25_828
.LBB25_827:
	v_bfe_u32 v10, v15, 24, 3
	v_ffbh_u32_e32 v22, v10
	v_min_u32_e32 v22, 32, v22
	v_lshrrev_b32_e32 v20, 27, v15
	v_subrev_u32_e32 v23, 28, v22
	v_and_b32_e32 v14, 0x80000000, v15
	v_and_b32_e32 v20, 15, v20
	v_bfe_u32 v21, v15, 27, 4
	v_lshlrev_b32_sdwa v15, v23, v15 dst_sel:DWORD dst_unused:UNUSED_PAD src0_sel:DWORD src1_sel:BYTE_3
	v_sub_u32_e32 v22, 29, v22
	v_and_b32_e32 v15, 7, v15
	v_cmp_eq_u16_e32 vcc, 0, v20
	v_cndmask_b32_e32 v10, v10, v15, vcc
	v_cndmask_b32_e32 v15, v21, v22, vcc
	v_mov_b32_e32 v20, 0x3b800000
	v_lshlrev_b32_e32 v10, 20, v10
	v_lshl_add_u32 v15, v15, 23, v20
	v_or3_b32 v10, v14, v15, v10
.LBB25_828:
	s_or_b64 exec, exec, s[6:7]
	s_movk_i32 s4, 0x7f
	v_cmp_gt_i16_sdwa s[6:7], v11, s4 src0_sel:BYTE_3 src1_sel:DWORD
	s_mov_b64 s[4:5], 0
                                        ; implicit-def: $sgpr10
	s_and_saveexec_b64 s[8:9], s[6:7]
	s_xor_b64 s[6:7], exec, s[8:9]
	s_cbranch_execnz .LBB25_2877
; %bb.829:
	s_or_saveexec_b64 s[6:7], s[6:7]
	v_mov_b32_e32 v14, s10
	s_xor_b64 exec, exec, s[6:7]
	s_cbranch_execnz .LBB25_2880
.LBB25_830:
	s_or_b64 exec, exec, s[6:7]
	s_and_saveexec_b64 s[6:7], s[4:5]
	s_cbranch_execz .LBB25_832
.LBB25_831:
	v_bfe_u32 v14, v11, 24, 3
	v_ffbh_u32_e32 v22, v14
	v_min_u32_e32 v22, 32, v22
	v_lshrrev_b32_e32 v20, 27, v11
	v_subrev_u32_e32 v23, 28, v22
	v_and_b32_e32 v15, 0x80000000, v11
	v_and_b32_e32 v20, 15, v20
	v_bfe_u32 v21, v11, 27, 4
	v_lshlrev_b32_sdwa v11, v23, v11 dst_sel:DWORD dst_unused:UNUSED_PAD src0_sel:DWORD src1_sel:BYTE_3
	v_sub_u32_e32 v22, 29, v22
	v_and_b32_e32 v11, 7, v11
	v_cmp_eq_u16_e32 vcc, 0, v20
	v_cndmask_b32_e32 v11, v14, v11, vcc
	v_cndmask_b32_e32 v14, v21, v22, vcc
	v_mov_b32_e32 v20, 0x3b800000
	v_lshlrev_b32_e32 v11, 20, v11
	v_lshl_add_u32 v14, v14, 23, v20
	v_or3_b32 v14, v15, v14, v11
.LBB25_832:
	s_or_b64 exec, exec, s[6:7]
	s_nop 0
	v_mfma_f32_16x16x4f32 a[0:3], v10, v14, a[0:3]
	s_movk_i32 s4, 0x7f
	v_cmp_gt_i16_sdwa s[6:7], v16, s4 src0_sel:BYTE_0 src1_sel:DWORD
	s_mov_b64 s[4:5], 0
                                        ; implicit-def: $sgpr10
	s_and_saveexec_b64 s[8:9], s[6:7]
	s_xor_b64 s[6:7], exec, s[8:9]
	s_cbranch_execnz .LBB25_2881
; %bb.833:
	s_or_saveexec_b64 s[6:7], s[6:7]
	v_mov_b32_e32 v10, s10
	s_xor_b64 exec, exec, s[6:7]
	s_cbranch_execnz .LBB25_2884
.LBB25_834:
	s_or_b64 exec, exec, s[6:7]
	s_and_saveexec_b64 s[6:7], s[4:5]
	s_cbranch_execz .LBB25_836
.LBB25_835:
	v_and_b32_e32 v10, 7, v16
	v_ffbh_u32_e32 v14, v10
	v_min_u32_e32 v14, 32, v14
	v_lshrrev_b16_e32 v11, 3, v16
	v_subrev_u32_e32 v15, 28, v14
	v_and_b32_e32 v11, 15, v11
	v_lshlrev_b32_e32 v15, v15, v16
	v_sub_u32_e32 v14, 29, v14
	v_and_b32_e32 v15, 7, v15
	v_cmp_eq_u16_e32 vcc, 0, v11
	v_cndmask_b32_e32 v10, v10, v15, vcc
	v_cndmask_b32_e32 v11, v11, v14, vcc
	v_lshlrev_b32_e32 v14, 24, v16
	v_mov_b32_e32 v15, 0x3b800000
	v_lshlrev_b32_e32 v10, 20, v10
	v_and_b32_e32 v14, 0x80000000, v14
	v_lshl_add_u32 v11, v11, 23, v15
	v_or3_b32 v10, v14, v11, v10
.LBB25_836:
	s_or_b64 exec, exec, s[6:7]
	s_movk_i32 s4, 0x7f
	v_cmp_gt_i16_sdwa s[6:7], v12, s4 src0_sel:BYTE_0 src1_sel:DWORD
	s_mov_b64 s[4:5], 0
                                        ; implicit-def: $sgpr10
	s_and_saveexec_b64 s[8:9], s[6:7]
	s_xor_b64 s[6:7], exec, s[8:9]
	s_cbranch_execnz .LBB25_2885
; %bb.837:
	s_or_saveexec_b64 s[6:7], s[6:7]
	v_mov_b32_e32 v11, s10
	s_xor_b64 exec, exec, s[6:7]
	s_cbranch_execnz .LBB25_2888
.LBB25_838:
	s_or_b64 exec, exec, s[6:7]
	s_and_saveexec_b64 s[6:7], s[4:5]
	s_cbranch_execz .LBB25_840
.LBB25_839:
	v_and_b32_e32 v11, 7, v12
	v_ffbh_u32_e32 v15, v11
	v_min_u32_e32 v15, 32, v15
	v_lshrrev_b16_e32 v14, 3, v12
	v_subrev_u32_e32 v20, 28, v15
	v_and_b32_e32 v14, 15, v14
	v_lshlrev_b32_e32 v20, v20, v12
	v_sub_u32_e32 v15, 29, v15
	v_and_b32_e32 v20, 7, v20
	v_cmp_eq_u16_e32 vcc, 0, v14
	v_cndmask_b32_e32 v11, v11, v20, vcc
	v_cndmask_b32_e32 v14, v14, v15, vcc
	v_lshlrev_b32_e32 v15, 24, v12
	v_mov_b32_e32 v20, 0x3b800000
	v_lshlrev_b32_e32 v11, 20, v11
	v_and_b32_e32 v15, 0x80000000, v15
	v_lshl_add_u32 v14, v14, 23, v20
	v_or3_b32 v11, v15, v14, v11
.LBB25_840:
	s_or_b64 exec, exec, s[6:7]
	s_nop 0
	v_mfma_f32_16x16x4f32 a[0:3], v10, v11, a[0:3]
	v_lshrrev_b32_e32 v11, 8, v16
	s_movk_i32 s4, 0x7f
	v_cmp_gt_i16_sdwa s[6:7], v11, s4 src0_sel:BYTE_0 src1_sel:DWORD
	s_mov_b64 s[4:5], 0
                                        ; implicit-def: $sgpr10
	s_and_saveexec_b64 s[8:9], s[6:7]
	s_xor_b64 s[6:7], exec, s[8:9]
	s_cbranch_execnz .LBB25_2889
; %bb.841:
	s_or_saveexec_b64 s[6:7], s[6:7]
	v_mov_b32_e32 v10, s10
	s_xor_b64 exec, exec, s[6:7]
	s_cbranch_execnz .LBB25_2892
.LBB25_842:
	s_or_b64 exec, exec, s[6:7]
	s_and_saveexec_b64 s[6:7], s[4:5]
	s_cbranch_execz .LBB25_844
.LBB25_843:
	v_bfe_u32 v10, v16, 8, 3
	v_ffbh_u32_e32 v15, v10
	v_min_u32_e32 v15, 32, v15
	v_lshrrev_b16_e32 v14, 3, v11
	v_subrev_u32_e32 v20, 28, v15
	v_and_b32_e32 v14, 15, v14
	v_lshlrev_b32_e32 v11, v20, v11
	v_sub_u32_e32 v15, 29, v15
	v_and_b32_e32 v11, 7, v11
	v_cmp_eq_u16_e32 vcc, 0, v14
	v_cndmask_b32_e32 v10, v10, v11, vcc
	v_cndmask_b32_e32 v11, v14, v15, vcc
	v_lshlrev_b32_e32 v14, 16, v16
	v_mov_b32_e32 v15, 0x3b800000
	v_lshlrev_b32_e32 v10, 20, v10
	v_and_b32_e32 v14, 0x80000000, v14
	v_lshl_add_u32 v11, v11, 23, v15
	v_or3_b32 v10, v14, v11, v10
.LBB25_844:
	s_or_b64 exec, exec, s[6:7]
	v_lshrrev_b32_e32 v11, 8, v12
	s_movk_i32 s4, 0x7f
	v_cmp_gt_i16_sdwa s[6:7], v11, s4 src0_sel:BYTE_0 src1_sel:DWORD
	s_mov_b64 s[4:5], 0
                                        ; implicit-def: $sgpr10
	s_and_saveexec_b64 s[8:9], s[6:7]
	s_xor_b64 s[6:7], exec, s[8:9]
	s_cbranch_execnz .LBB25_2893
; %bb.845:
	s_or_saveexec_b64 s[6:7], s[6:7]
	v_mov_b32_e32 v14, s10
	s_xor_b64 exec, exec, s[6:7]
	s_cbranch_execnz .LBB25_2896
.LBB25_846:
	s_or_b64 exec, exec, s[6:7]
	s_and_saveexec_b64 s[6:7], s[4:5]
	s_cbranch_execz .LBB25_848
.LBB25_847:
	v_bfe_u32 v14, v12, 8, 3
	v_ffbh_u32_e32 v20, v14
	v_min_u32_e32 v20, 32, v20
	v_lshrrev_b16_e32 v15, 3, v11
	v_subrev_u32_e32 v21, 28, v20
	v_and_b32_e32 v15, 15, v15
	v_lshlrev_b32_e32 v11, v21, v11
	v_sub_u32_e32 v20, 29, v20
	v_and_b32_e32 v11, 7, v11
	v_cmp_eq_u16_e32 vcc, 0, v15
	v_cndmask_b32_e32 v11, v14, v11, vcc
	v_cndmask_b32_e32 v14, v15, v20, vcc
	v_lshlrev_b32_e32 v15, 16, v12
	v_mov_b32_e32 v20, 0x3b800000
	v_lshlrev_b32_e32 v11, 20, v11
	v_and_b32_e32 v15, 0x80000000, v15
	v_lshl_add_u32 v14, v14, 23, v20
	v_or3_b32 v14, v15, v14, v11
.LBB25_848:
	s_or_b64 exec, exec, s[6:7]
	s_nop 0
	v_mfma_f32_16x16x4f32 a[0:3], v10, v14, a[0:3]
	s_movk_i32 s4, 0xff
	v_and_b32_sdwa v11, v16, s4 dst_sel:DWORD dst_unused:UNUSED_PAD src0_sel:WORD_1 src1_sel:DWORD
	s_movk_i32 s4, 0x7f
	v_cmp_lt_i16_e32 vcc, s4, v11
	s_mov_b64 s[4:5], 0
                                        ; implicit-def: $sgpr10
	s_and_saveexec_b64 s[6:7], vcc
	s_xor_b64 s[6:7], exec, s[6:7]
	s_cbranch_execnz .LBB25_2897
; %bb.849:
	s_or_saveexec_b64 s[6:7], s[6:7]
	v_mov_b32_e32 v10, s10
	s_xor_b64 exec, exec, s[6:7]
	s_cbranch_execnz .LBB25_2900
.LBB25_850:
	s_or_b64 exec, exec, s[6:7]
	s_and_saveexec_b64 s[6:7], s[4:5]
	s_cbranch_execz .LBB25_852
.LBB25_851:
	v_bfe_u32 v10, v16, 16, 3
	v_ffbh_u32_e32 v15, v10
	v_min_u32_e32 v15, 32, v15
	v_lshrrev_b32_e32 v11, 19, v16
	v_subrev_u32_e32 v20, 28, v15
	v_and_b32_e32 v11, 15, v11
	v_lshlrev_b32_sdwa v20, v20, v16 dst_sel:DWORD dst_unused:UNUSED_PAD src0_sel:DWORD src1_sel:WORD_1
	v_bfe_u32 v14, v16, 19, 4
	v_sub_u32_e32 v15, 29, v15
	v_and_b32_e32 v20, 7, v20
	v_cmp_eq_u16_e32 vcc, 0, v11
	v_cndmask_b32_e32 v10, v10, v20, vcc
	v_cndmask_b32_e32 v11, v14, v15, vcc
	v_lshlrev_b32_e32 v14, 8, v16
	v_mov_b32_e32 v15, 0x3b800000
	v_lshlrev_b32_e32 v10, 20, v10
	v_and_b32_e32 v14, 0x80000000, v14
	v_lshl_add_u32 v11, v11, 23, v15
	v_or3_b32 v10, v14, v11, v10
.LBB25_852:
	s_or_b64 exec, exec, s[6:7]
	s_movk_i32 s4, 0xff
	v_and_b32_sdwa v11, v12, s4 dst_sel:DWORD dst_unused:UNUSED_PAD src0_sel:WORD_1 src1_sel:DWORD
	s_movk_i32 s4, 0x7f
	v_cmp_lt_i16_e32 vcc, s4, v11
	s_mov_b64 s[4:5], 0
                                        ; implicit-def: $sgpr10
	s_and_saveexec_b64 s[6:7], vcc
	s_xor_b64 s[6:7], exec, s[6:7]
	s_cbranch_execnz .LBB25_2901
; %bb.853:
	s_or_saveexec_b64 s[6:7], s[6:7]
	v_mov_b32_e32 v14, s10
	s_xor_b64 exec, exec, s[6:7]
	s_cbranch_execnz .LBB25_2904
.LBB25_854:
	s_or_b64 exec, exec, s[6:7]
	s_and_saveexec_b64 s[6:7], s[4:5]
	s_cbranch_execz .LBB25_856
.LBB25_855:
	v_bfe_u32 v11, v12, 16, 3
	v_ffbh_u32_e32 v20, v11
	v_min_u32_e32 v20, 32, v20
	v_lshrrev_b32_e32 v14, 19, v12
	v_subrev_u32_e32 v21, 28, v20
	v_and_b32_e32 v14, 15, v14
	v_lshlrev_b32_sdwa v21, v21, v12 dst_sel:DWORD dst_unused:UNUSED_PAD src0_sel:DWORD src1_sel:WORD_1
	v_bfe_u32 v15, v12, 19, 4
	v_sub_u32_e32 v20, 29, v20
	v_and_b32_e32 v21, 7, v21
	v_cmp_eq_u16_e32 vcc, 0, v14
	v_cndmask_b32_e32 v11, v11, v21, vcc
	v_cndmask_b32_e32 v14, v15, v20, vcc
	v_lshlrev_b32_e32 v15, 8, v12
	v_mov_b32_e32 v20, 0x3b800000
	v_lshlrev_b32_e32 v11, 20, v11
	v_and_b32_e32 v15, 0x80000000, v15
	v_lshl_add_u32 v14, v14, 23, v20
	v_or3_b32 v14, v15, v14, v11
.LBB25_856:
	s_or_b64 exec, exec, s[6:7]
	s_nop 0
	v_mfma_f32_16x16x4f32 a[0:3], v10, v14, a[0:3]
	s_movk_i32 s4, 0x7f
	v_cmp_gt_i16_sdwa s[6:7], v16, s4 src0_sel:BYTE_3 src1_sel:DWORD
	s_mov_b64 s[4:5], 0
                                        ; implicit-def: $sgpr10
	s_and_saveexec_b64 s[8:9], s[6:7]
	s_xor_b64 s[6:7], exec, s[8:9]
	s_cbranch_execnz .LBB25_2905
; %bb.857:
	s_or_saveexec_b64 s[6:7], s[6:7]
	v_mov_b32_e32 v10, s10
	s_xor_b64 exec, exec, s[6:7]
	s_cbranch_execnz .LBB25_2908
.LBB25_858:
	s_or_b64 exec, exec, s[6:7]
	s_and_saveexec_b64 s[6:7], s[4:5]
	s_cbranch_execz .LBB25_860
.LBB25_859:
	v_bfe_u32 v10, v16, 24, 3
	v_ffbh_u32_e32 v20, v10
	v_min_u32_e32 v20, 32, v20
	v_lshrrev_b32_e32 v14, 27, v16
	v_subrev_u32_e32 v21, 28, v20
	v_and_b32_e32 v11, 0x80000000, v16
	v_and_b32_e32 v14, 15, v14
	v_bfe_u32 v15, v16, 27, 4
	v_lshlrev_b32_sdwa v16, v21, v16 dst_sel:DWORD dst_unused:UNUSED_PAD src0_sel:DWORD src1_sel:BYTE_3
	v_sub_u32_e32 v20, 29, v20
	v_and_b32_e32 v16, 7, v16
	v_cmp_eq_u16_e32 vcc, 0, v14
	v_cndmask_b32_e32 v10, v10, v16, vcc
	v_cndmask_b32_e32 v14, v15, v20, vcc
	v_mov_b32_e32 v15, 0x3b800000
	v_lshlrev_b32_e32 v10, 20, v10
	v_lshl_add_u32 v14, v14, 23, v15
	v_or3_b32 v10, v11, v14, v10
.LBB25_860:
	s_or_b64 exec, exec, s[6:7]
	s_movk_i32 s4, 0x7f
	v_cmp_gt_i16_sdwa s[6:7], v12, s4 src0_sel:BYTE_3 src1_sel:DWORD
	s_mov_b64 s[4:5], 0
                                        ; implicit-def: $sgpr10
	s_and_saveexec_b64 s[8:9], s[6:7]
	s_xor_b64 s[6:7], exec, s[8:9]
	s_cbranch_execnz .LBB25_2909
; %bb.861:
	s_or_saveexec_b64 s[6:7], s[6:7]
	v_mov_b32_e32 v11, s10
	s_xor_b64 exec, exec, s[6:7]
	s_cbranch_execnz .LBB25_2912
.LBB25_862:
	s_or_b64 exec, exec, s[6:7]
	s_and_saveexec_b64 s[6:7], s[4:5]
	s_cbranch_execz .LBB25_864
.LBB25_863:
	v_bfe_u32 v11, v12, 24, 3
	v_ffbh_u32_e32 v20, v11
	v_min_u32_e32 v20, 32, v20
	v_lshrrev_b32_e32 v15, 27, v12
	v_subrev_u32_e32 v21, 28, v20
	v_and_b32_e32 v14, 0x80000000, v12
	v_and_b32_e32 v15, 15, v15
	v_bfe_u32 v16, v12, 27, 4
	v_lshlrev_b32_sdwa v12, v21, v12 dst_sel:DWORD dst_unused:UNUSED_PAD src0_sel:DWORD src1_sel:BYTE_3
	v_sub_u32_e32 v20, 29, v20
	v_and_b32_e32 v12, 7, v12
	v_cmp_eq_u16_e32 vcc, 0, v15
	v_cndmask_b32_e32 v11, v11, v12, vcc
	v_cndmask_b32_e32 v12, v16, v20, vcc
	v_mov_b32_e32 v15, 0x3b800000
	v_lshlrev_b32_e32 v11, 20, v11
	v_lshl_add_u32 v12, v12, 23, v15
	v_or3_b32 v11, v14, v12, v11
.LBB25_864:
	s_or_b64 exec, exec, s[6:7]
	s_nop 0
	v_mfma_f32_16x16x4f32 a[0:3], v10, v11, a[0:3]
	s_movk_i32 s4, 0x7f
	v_cmp_gt_i16_sdwa s[6:7], v17, s4 src0_sel:BYTE_0 src1_sel:DWORD
	s_mov_b64 s[4:5], 0
                                        ; implicit-def: $sgpr10
	s_and_saveexec_b64 s[8:9], s[6:7]
	s_xor_b64 s[6:7], exec, s[8:9]
	s_cbranch_execnz .LBB25_2913
; %bb.865:
	s_or_saveexec_b64 s[6:7], s[6:7]
	v_mov_b32_e32 v10, s10
	s_xor_b64 exec, exec, s[6:7]
	s_cbranch_execnz .LBB25_2916
.LBB25_866:
	s_or_b64 exec, exec, s[6:7]
	s_and_saveexec_b64 s[6:7], s[4:5]
	s_cbranch_execz .LBB25_868
.LBB25_867:
	v_and_b32_e32 v10, 7, v17
	v_ffbh_u32_e32 v12, v10
	v_min_u32_e32 v12, 32, v12
	v_lshrrev_b16_e32 v11, 3, v17
	v_subrev_u32_e32 v14, 28, v12
	v_and_b32_e32 v11, 15, v11
	v_lshlrev_b32_e32 v14, v14, v17
	v_sub_u32_e32 v12, 29, v12
	v_and_b32_e32 v14, 7, v14
	v_cmp_eq_u16_e32 vcc, 0, v11
	v_cndmask_b32_e32 v10, v10, v14, vcc
	v_cndmask_b32_e32 v11, v11, v12, vcc
	v_lshlrev_b32_e32 v12, 24, v17
	v_mov_b32_e32 v14, 0x3b800000
	v_lshlrev_b32_e32 v10, 20, v10
	v_and_b32_e32 v12, 0x80000000, v12
	v_lshl_add_u32 v11, v11, 23, v14
	v_or3_b32 v10, v12, v11, v10
.LBB25_868:
	s_or_b64 exec, exec, s[6:7]
	s_movk_i32 s4, 0x7f
	v_cmp_gt_i16_sdwa s[6:7], v13, s4 src0_sel:BYTE_0 src1_sel:DWORD
	s_mov_b64 s[4:5], 0
                                        ; implicit-def: $sgpr10
	s_and_saveexec_b64 s[8:9], s[6:7]
	s_xor_b64 s[6:7], exec, s[8:9]
	s_cbranch_execnz .LBB25_2917
; %bb.869:
	s_or_saveexec_b64 s[6:7], s[6:7]
	v_mov_b32_e32 v11, s10
	s_xor_b64 exec, exec, s[6:7]
	s_cbranch_execnz .LBB25_2920
.LBB25_870:
	s_or_b64 exec, exec, s[6:7]
	s_and_saveexec_b64 s[6:7], s[4:5]
	s_cbranch_execz .LBB25_872
.LBB25_871:
	v_and_b32_e32 v11, 7, v13
	v_ffbh_u32_e32 v14, v11
	v_min_u32_e32 v14, 32, v14
	v_lshrrev_b16_e32 v12, 3, v13
	v_subrev_u32_e32 v15, 28, v14
	v_and_b32_e32 v12, 15, v12
	v_lshlrev_b32_e32 v15, v15, v13
	v_sub_u32_e32 v14, 29, v14
	v_and_b32_e32 v15, 7, v15
	v_cmp_eq_u16_e32 vcc, 0, v12
	v_cndmask_b32_e32 v11, v11, v15, vcc
	v_cndmask_b32_e32 v12, v12, v14, vcc
	v_lshlrev_b32_e32 v14, 24, v13
	v_mov_b32_e32 v15, 0x3b800000
	v_lshlrev_b32_e32 v11, 20, v11
	v_and_b32_e32 v14, 0x80000000, v14
	v_lshl_add_u32 v12, v12, 23, v15
	v_or3_b32 v11, v14, v12, v11
.LBB25_872:
	s_or_b64 exec, exec, s[6:7]
	s_nop 0
	v_mfma_f32_16x16x4f32 a[0:3], v10, v11, a[0:3]
	v_lshrrev_b32_e32 v11, 8, v17
	s_movk_i32 s4, 0x7f
	v_cmp_gt_i16_sdwa s[6:7], v11, s4 src0_sel:BYTE_0 src1_sel:DWORD
	s_mov_b64 s[4:5], 0
                                        ; implicit-def: $sgpr10
	s_and_saveexec_b64 s[8:9], s[6:7]
	s_xor_b64 s[6:7], exec, s[8:9]
	s_cbranch_execnz .LBB25_2921
; %bb.873:
	s_or_saveexec_b64 s[6:7], s[6:7]
	v_mov_b32_e32 v10, s10
	s_xor_b64 exec, exec, s[6:7]
	s_cbranch_execnz .LBB25_2924
.LBB25_874:
	s_or_b64 exec, exec, s[6:7]
	s_and_saveexec_b64 s[6:7], s[4:5]
	s_cbranch_execz .LBB25_876
.LBB25_875:
	v_bfe_u32 v10, v17, 8, 3
	v_ffbh_u32_e32 v14, v10
	v_min_u32_e32 v14, 32, v14
	v_lshrrev_b16_e32 v12, 3, v11
	v_subrev_u32_e32 v15, 28, v14
	v_and_b32_e32 v12, 15, v12
	v_lshlrev_b32_e32 v11, v15, v11
	v_sub_u32_e32 v14, 29, v14
	v_and_b32_e32 v11, 7, v11
	v_cmp_eq_u16_e32 vcc, 0, v12
	v_cndmask_b32_e32 v10, v10, v11, vcc
	v_cndmask_b32_e32 v11, v12, v14, vcc
	v_lshlrev_b32_e32 v12, 16, v17
	v_mov_b32_e32 v14, 0x3b800000
	v_lshlrev_b32_e32 v10, 20, v10
	v_and_b32_e32 v12, 0x80000000, v12
	v_lshl_add_u32 v11, v11, 23, v14
	v_or3_b32 v10, v12, v11, v10
.LBB25_876:
	s_or_b64 exec, exec, s[6:7]
	v_lshrrev_b32_e32 v11, 8, v13
	s_movk_i32 s4, 0x7f
	v_cmp_gt_i16_sdwa s[6:7], v11, s4 src0_sel:BYTE_0 src1_sel:DWORD
	s_mov_b64 s[4:5], 0
                                        ; implicit-def: $sgpr10
	s_and_saveexec_b64 s[8:9], s[6:7]
	s_xor_b64 s[6:7], exec, s[8:9]
	s_cbranch_execnz .LBB25_2925
; %bb.877:
	s_or_saveexec_b64 s[6:7], s[6:7]
	v_mov_b32_e32 v12, s10
	s_xor_b64 exec, exec, s[6:7]
	s_cbranch_execnz .LBB25_2928
.LBB25_878:
	s_or_b64 exec, exec, s[6:7]
	s_and_saveexec_b64 s[6:7], s[4:5]
	s_cbranch_execz .LBB25_880
.LBB25_879:
	v_bfe_u32 v12, v13, 8, 3
	v_ffbh_u32_e32 v15, v12
	v_min_u32_e32 v15, 32, v15
	v_lshrrev_b16_e32 v14, 3, v11
	v_subrev_u32_e32 v16, 28, v15
	v_and_b32_e32 v14, 15, v14
	v_lshlrev_b32_e32 v11, v16, v11
	v_sub_u32_e32 v15, 29, v15
	v_and_b32_e32 v11, 7, v11
	v_cmp_eq_u16_e32 vcc, 0, v14
	v_cndmask_b32_e32 v11, v12, v11, vcc
	v_cndmask_b32_e32 v12, v14, v15, vcc
	v_lshlrev_b32_e32 v14, 16, v13
	v_mov_b32_e32 v15, 0x3b800000
	v_lshlrev_b32_e32 v11, 20, v11
	v_and_b32_e32 v14, 0x80000000, v14
	v_lshl_add_u32 v12, v12, 23, v15
	v_or3_b32 v12, v14, v12, v11
.LBB25_880:
	s_or_b64 exec, exec, s[6:7]
	s_nop 0
	v_mfma_f32_16x16x4f32 a[0:3], v10, v12, a[0:3]
	s_movk_i32 s4, 0xff
	v_and_b32_sdwa v11, v17, s4 dst_sel:DWORD dst_unused:UNUSED_PAD src0_sel:WORD_1 src1_sel:DWORD
	s_movk_i32 s4, 0x7f
	v_cmp_lt_i16_e32 vcc, s4, v11
	s_mov_b64 s[4:5], 0
                                        ; implicit-def: $sgpr10
	s_and_saveexec_b64 s[6:7], vcc
	s_xor_b64 s[6:7], exec, s[6:7]
	s_cbranch_execnz .LBB25_2929
; %bb.881:
	s_or_saveexec_b64 s[6:7], s[6:7]
	v_mov_b32_e32 v10, s10
	s_xor_b64 exec, exec, s[6:7]
	s_cbranch_execnz .LBB25_2932
.LBB25_882:
	s_or_b64 exec, exec, s[6:7]
	s_and_saveexec_b64 s[6:7], s[4:5]
	s_cbranch_execz .LBB25_884
.LBB25_883:
	v_bfe_u32 v10, v17, 16, 3
	v_ffbh_u32_e32 v14, v10
	v_min_u32_e32 v14, 32, v14
	v_lshrrev_b32_e32 v11, 19, v17
	v_subrev_u32_e32 v15, 28, v14
	v_and_b32_e32 v11, 15, v11
	v_lshlrev_b32_sdwa v15, v15, v17 dst_sel:DWORD dst_unused:UNUSED_PAD src0_sel:DWORD src1_sel:WORD_1
	v_bfe_u32 v12, v17, 19, 4
	v_sub_u32_e32 v14, 29, v14
	v_and_b32_e32 v15, 7, v15
	v_cmp_eq_u16_e32 vcc, 0, v11
	v_cndmask_b32_e32 v10, v10, v15, vcc
	v_cndmask_b32_e32 v11, v12, v14, vcc
	v_lshlrev_b32_e32 v12, 8, v17
	v_mov_b32_e32 v14, 0x3b800000
	v_lshlrev_b32_e32 v10, 20, v10
	v_and_b32_e32 v12, 0x80000000, v12
	v_lshl_add_u32 v11, v11, 23, v14
	v_or3_b32 v10, v12, v11, v10
.LBB25_884:
	s_or_b64 exec, exec, s[6:7]
	s_movk_i32 s4, 0xff
	v_and_b32_sdwa v11, v13, s4 dst_sel:DWORD dst_unused:UNUSED_PAD src0_sel:WORD_1 src1_sel:DWORD
	s_movk_i32 s4, 0x7f
	v_cmp_lt_i16_e32 vcc, s4, v11
	s_mov_b64 s[4:5], 0
                                        ; implicit-def: $sgpr10
	s_and_saveexec_b64 s[6:7], vcc
	s_xor_b64 s[6:7], exec, s[6:7]
	s_cbranch_execnz .LBB25_2933
; %bb.885:
	s_or_saveexec_b64 s[6:7], s[6:7]
	v_mov_b32_e32 v12, s10
	s_xor_b64 exec, exec, s[6:7]
	s_cbranch_execnz .LBB25_2936
.LBB25_886:
	s_or_b64 exec, exec, s[6:7]
	s_and_saveexec_b64 s[6:7], s[4:5]
	s_cbranch_execz .LBB25_888
.LBB25_887:
	v_bfe_u32 v11, v13, 16, 3
	v_ffbh_u32_e32 v15, v11
	v_min_u32_e32 v15, 32, v15
	v_lshrrev_b32_e32 v12, 19, v13
	v_subrev_u32_e32 v16, 28, v15
	v_and_b32_e32 v12, 15, v12
	v_lshlrev_b32_sdwa v16, v16, v13 dst_sel:DWORD dst_unused:UNUSED_PAD src0_sel:DWORD src1_sel:WORD_1
	v_bfe_u32 v14, v13, 19, 4
	v_sub_u32_e32 v15, 29, v15
	v_and_b32_e32 v16, 7, v16
	v_cmp_eq_u16_e32 vcc, 0, v12
	v_cndmask_b32_e32 v11, v11, v16, vcc
	v_cndmask_b32_e32 v12, v14, v15, vcc
	v_lshlrev_b32_e32 v14, 8, v13
	v_mov_b32_e32 v15, 0x3b800000
	v_lshlrev_b32_e32 v11, 20, v11
	v_and_b32_e32 v14, 0x80000000, v14
	v_lshl_add_u32 v12, v12, 23, v15
	v_or3_b32 v12, v14, v12, v11
.LBB25_888:
	s_or_b64 exec, exec, s[6:7]
	s_nop 0
	v_mfma_f32_16x16x4f32 a[0:3], v10, v12, a[0:3]
	s_movk_i32 s4, 0x7f
	v_cmp_gt_i16_sdwa s[6:7], v17, s4 src0_sel:BYTE_3 src1_sel:DWORD
	s_mov_b64 s[4:5], 0
                                        ; implicit-def: $sgpr10
	s_and_saveexec_b64 s[8:9], s[6:7]
	s_xor_b64 s[6:7], exec, s[8:9]
	s_cbranch_execnz .LBB25_2937
; %bb.889:
	s_or_saveexec_b64 s[6:7], s[6:7]
	v_mov_b32_e32 v10, s10
	s_xor_b64 exec, exec, s[6:7]
	s_cbranch_execnz .LBB25_2940
.LBB25_890:
	s_or_b64 exec, exec, s[6:7]
	s_and_saveexec_b64 s[6:7], s[4:5]
	s_cbranch_execz .LBB25_892
.LBB25_891:
	v_bfe_u32 v10, v17, 24, 3
	v_ffbh_u32_e32 v15, v10
	v_min_u32_e32 v15, 32, v15
	v_lshrrev_b32_e32 v12, 27, v17
	v_subrev_u32_e32 v16, 28, v15
	v_and_b32_e32 v12, 15, v12
	v_lshlrev_b32_sdwa v16, v16, v17 dst_sel:DWORD dst_unused:UNUSED_PAD src0_sel:DWORD src1_sel:BYTE_3
	v_bfe_u32 v14, v17, 27, 4
	v_sub_u32_e32 v15, 29, v15
	v_and_b32_e32 v16, 7, v16
	v_cmp_eq_u16_e32 vcc, 0, v12
	v_cndmask_b32_e32 v10, v10, v16, vcc
	v_cndmask_b32_e32 v12, v14, v15, vcc
	v_mov_b32_e32 v14, 0x3b800000
	v_and_b32_e32 v11, 0x80000000, v17
	v_lshlrev_b32_e32 v10, 20, v10
	v_lshl_add_u32 v12, v12, 23, v14
	v_or3_b32 v10, v11, v12, v10
.LBB25_892:
	s_or_b64 exec, exec, s[6:7]
	s_movk_i32 s4, 0x7f
	v_cmp_gt_i16_sdwa s[6:7], v13, s4 src0_sel:BYTE_3 src1_sel:DWORD
	s_mov_b64 s[4:5], 0
                                        ; implicit-def: $sgpr10
	s_and_saveexec_b64 s[8:9], s[6:7]
	s_xor_b64 s[6:7], exec, s[8:9]
	s_cbranch_execnz .LBB25_2941
; %bb.893:
	s_or_saveexec_b64 s[6:7], s[6:7]
	v_mov_b32_e32 v11, s10
	s_xor_b64 exec, exec, s[6:7]
	s_cbranch_execnz .LBB25_2944
.LBB25_894:
	s_or_b64 exec, exec, s[6:7]
	s_and_saveexec_b64 s[6:7], s[4:5]
	s_cbranch_execz .LBB25_896
.LBB25_895:
	v_bfe_u32 v11, v13, 24, 3
	v_ffbh_u32_e32 v16, v11
	v_min_u32_e32 v16, 32, v16
	v_lshrrev_b32_e32 v14, 27, v13
	v_subrev_u32_e32 v17, 28, v16
	v_and_b32_e32 v12, 0x80000000, v13
	v_and_b32_e32 v14, 15, v14
	v_bfe_u32 v15, v13, 27, 4
	v_lshlrev_b32_sdwa v13, v17, v13 dst_sel:DWORD dst_unused:UNUSED_PAD src0_sel:DWORD src1_sel:BYTE_3
	v_sub_u32_e32 v16, 29, v16
	v_and_b32_e32 v13, 7, v13
	v_cmp_eq_u16_e32 vcc, 0, v14
	v_cndmask_b32_e32 v11, v11, v13, vcc
	v_cndmask_b32_e32 v13, v15, v16, vcc
	v_mov_b32_e32 v14, 0x3b800000
	v_lshlrev_b32_e32 v11, 20, v11
	v_lshl_add_u32 v13, v13, 23, v14
	v_or3_b32 v11, v12, v13, v11
.LBB25_896:
	s_or_b64 exec, exec, s[6:7]
	s_nop 0
	v_mfma_f32_16x16x4f32 a[0:3], v10, v11, a[0:3]
	s_movk_i32 s4, 0x7f
	v_cmp_gt_i16_sdwa s[6:7], v6, s4 src0_sel:BYTE_0 src1_sel:DWORD
	s_mov_b64 s[4:5], 0
                                        ; implicit-def: $sgpr10
	s_and_saveexec_b64 s[8:9], s[6:7]
	s_xor_b64 s[6:7], exec, s[8:9]
	s_cbranch_execnz .LBB25_2945
; %bb.897:
	s_or_saveexec_b64 s[6:7], s[6:7]
	v_mov_b32_e32 v10, s10
	s_xor_b64 exec, exec, s[6:7]
	s_cbranch_execnz .LBB25_2948
.LBB25_898:
	s_or_b64 exec, exec, s[6:7]
	s_and_saveexec_b64 s[6:7], s[4:5]
	s_cbranch_execz .LBB25_900
.LBB25_899:
	v_and_b32_e32 v10, 7, v6
	v_ffbh_u32_e32 v12, v10
	v_min_u32_e32 v12, 32, v12
	v_lshrrev_b16_e32 v11, 3, v6
	v_subrev_u32_e32 v13, 28, v12
	v_and_b32_e32 v11, 15, v11
	v_lshlrev_b32_e32 v13, v13, v6
	v_sub_u32_e32 v12, 29, v12
	v_and_b32_e32 v13, 7, v13
	v_cmp_eq_u16_e32 vcc, 0, v11
	v_cndmask_b32_e32 v10, v10, v13, vcc
	v_cndmask_b32_e32 v11, v11, v12, vcc
	v_lshlrev_b32_e32 v12, 24, v6
	v_mov_b32_e32 v13, 0x3b800000
	v_lshlrev_b32_e32 v10, 20, v10
	v_and_b32_e32 v12, 0x80000000, v12
	v_lshl_add_u32 v11, v11, 23, v13
	v_or3_b32 v10, v12, v11, v10
.LBB25_900:
	s_or_b64 exec, exec, s[6:7]
	s_movk_i32 s4, 0x7f
	v_cmp_gt_i16_sdwa s[6:7], v2, s4 src0_sel:BYTE_0 src1_sel:DWORD
	s_mov_b64 s[4:5], 0
                                        ; implicit-def: $sgpr10
	s_and_saveexec_b64 s[8:9], s[6:7]
	s_xor_b64 s[6:7], exec, s[8:9]
	s_cbranch_execnz .LBB25_2949
; %bb.901:
	s_or_saveexec_b64 s[6:7], s[6:7]
	v_mov_b32_e32 v11, s10
	s_xor_b64 exec, exec, s[6:7]
	s_cbranch_execnz .LBB25_2952
.LBB25_902:
	s_or_b64 exec, exec, s[6:7]
	s_and_saveexec_b64 s[6:7], s[4:5]
	s_cbranch_execz .LBB25_904
.LBB25_903:
	v_and_b32_e32 v11, 7, v2
	v_ffbh_u32_e32 v13, v11
	v_min_u32_e32 v13, 32, v13
	v_lshrrev_b16_e32 v12, 3, v2
	v_subrev_u32_e32 v14, 28, v13
	v_and_b32_e32 v12, 15, v12
	v_lshlrev_b32_e32 v14, v14, v2
	v_sub_u32_e32 v13, 29, v13
	v_and_b32_e32 v14, 7, v14
	v_cmp_eq_u16_e32 vcc, 0, v12
	v_cndmask_b32_e32 v11, v11, v14, vcc
	v_cndmask_b32_e32 v12, v12, v13, vcc
	v_lshlrev_b32_e32 v13, 24, v2
	v_mov_b32_e32 v14, 0x3b800000
	v_lshlrev_b32_e32 v11, 20, v11
	v_and_b32_e32 v13, 0x80000000, v13
	v_lshl_add_u32 v12, v12, 23, v14
	v_or3_b32 v11, v13, v12, v11
.LBB25_904:
	s_or_b64 exec, exec, s[6:7]
	s_nop 0
	v_mfma_f32_16x16x4f32 a[0:3], v10, v11, a[0:3]
	v_lshrrev_b32_e32 v11, 8, v6
	s_movk_i32 s4, 0x7f
	v_cmp_gt_i16_sdwa s[6:7], v11, s4 src0_sel:BYTE_0 src1_sel:DWORD
	s_mov_b64 s[4:5], 0
                                        ; implicit-def: $sgpr10
	s_and_saveexec_b64 s[8:9], s[6:7]
	s_xor_b64 s[6:7], exec, s[8:9]
	s_cbranch_execnz .LBB25_2953
; %bb.905:
	s_or_saveexec_b64 s[6:7], s[6:7]
	v_mov_b32_e32 v10, s10
	s_xor_b64 exec, exec, s[6:7]
	s_cbranch_execnz .LBB25_2956
.LBB25_906:
	s_or_b64 exec, exec, s[6:7]
	s_and_saveexec_b64 s[6:7], s[4:5]
	s_cbranch_execz .LBB25_908
.LBB25_907:
	v_bfe_u32 v10, v6, 8, 3
	v_ffbh_u32_e32 v13, v10
	v_min_u32_e32 v13, 32, v13
	v_lshrrev_b16_e32 v12, 3, v11
	v_subrev_u32_e32 v14, 28, v13
	v_and_b32_e32 v12, 15, v12
	v_lshlrev_b32_e32 v11, v14, v11
	v_sub_u32_e32 v13, 29, v13
	v_and_b32_e32 v11, 7, v11
	v_cmp_eq_u16_e32 vcc, 0, v12
	v_cndmask_b32_e32 v10, v10, v11, vcc
	v_cndmask_b32_e32 v11, v12, v13, vcc
	v_lshlrev_b32_e32 v12, 16, v6
	v_mov_b32_e32 v13, 0x3b800000
	v_lshlrev_b32_e32 v10, 20, v10
	v_and_b32_e32 v12, 0x80000000, v12
	v_lshl_add_u32 v11, v11, 23, v13
	v_or3_b32 v10, v12, v11, v10
.LBB25_908:
	s_or_b64 exec, exec, s[6:7]
	v_lshrrev_b32_e32 v11, 8, v2
	s_movk_i32 s4, 0x7f
	v_cmp_gt_i16_sdwa s[6:7], v11, s4 src0_sel:BYTE_0 src1_sel:DWORD
	s_mov_b64 s[4:5], 0
                                        ; implicit-def: $sgpr10
	s_and_saveexec_b64 s[8:9], s[6:7]
	s_xor_b64 s[6:7], exec, s[8:9]
	s_cbranch_execnz .LBB25_2957
; %bb.909:
	s_or_saveexec_b64 s[6:7], s[6:7]
	v_mov_b32_e32 v12, s10
	s_xor_b64 exec, exec, s[6:7]
	s_cbranch_execnz .LBB25_2960
.LBB25_910:
	s_or_b64 exec, exec, s[6:7]
	s_and_saveexec_b64 s[6:7], s[4:5]
	s_cbranch_execz .LBB25_912
.LBB25_911:
	v_bfe_u32 v12, v2, 8, 3
	v_ffbh_u32_e32 v14, v12
	v_min_u32_e32 v14, 32, v14
	v_lshrrev_b16_e32 v13, 3, v11
	v_subrev_u32_e32 v15, 28, v14
	v_and_b32_e32 v13, 15, v13
	v_lshlrev_b32_e32 v11, v15, v11
	v_sub_u32_e32 v14, 29, v14
	v_and_b32_e32 v11, 7, v11
	v_cmp_eq_u16_e32 vcc, 0, v13
	v_cndmask_b32_e32 v11, v12, v11, vcc
	v_cndmask_b32_e32 v12, v13, v14, vcc
	v_lshlrev_b32_e32 v13, 16, v2
	v_mov_b32_e32 v14, 0x3b800000
	v_lshlrev_b32_e32 v11, 20, v11
	v_and_b32_e32 v13, 0x80000000, v13
	v_lshl_add_u32 v12, v12, 23, v14
	v_or3_b32 v12, v13, v12, v11
.LBB25_912:
	s_or_b64 exec, exec, s[6:7]
	s_nop 0
	v_mfma_f32_16x16x4f32 a[0:3], v10, v12, a[0:3]
	s_movk_i32 s4, 0xff
	v_and_b32_sdwa v11, v6, s4 dst_sel:DWORD dst_unused:UNUSED_PAD src0_sel:WORD_1 src1_sel:DWORD
	s_movk_i32 s4, 0x7f
	v_cmp_lt_i16_e32 vcc, s4, v11
	s_mov_b64 s[4:5], 0
                                        ; implicit-def: $sgpr10
	s_and_saveexec_b64 s[6:7], vcc
	s_xor_b64 s[6:7], exec, s[6:7]
	s_cbranch_execnz .LBB25_2961
; %bb.913:
	s_or_saveexec_b64 s[6:7], s[6:7]
	v_mov_b32_e32 v10, s10
	s_xor_b64 exec, exec, s[6:7]
	s_cbranch_execnz .LBB25_2964
.LBB25_914:
	s_or_b64 exec, exec, s[6:7]
	s_and_saveexec_b64 s[6:7], s[4:5]
	s_cbranch_execz .LBB25_916
.LBB25_915:
	v_bfe_u32 v10, v6, 16, 3
	v_ffbh_u32_e32 v13, v10
	v_min_u32_e32 v13, 32, v13
	v_lshrrev_b32_e32 v11, 19, v6
	v_subrev_u32_e32 v14, 28, v13
	v_and_b32_e32 v11, 15, v11
	v_lshlrev_b32_sdwa v14, v14, v6 dst_sel:DWORD dst_unused:UNUSED_PAD src0_sel:DWORD src1_sel:WORD_1
	v_bfe_u32 v12, v6, 19, 4
	v_sub_u32_e32 v13, 29, v13
	v_and_b32_e32 v14, 7, v14
	v_cmp_eq_u16_e32 vcc, 0, v11
	v_cndmask_b32_e32 v10, v10, v14, vcc
	v_cndmask_b32_e32 v11, v12, v13, vcc
	v_lshlrev_b32_e32 v12, 8, v6
	v_mov_b32_e32 v13, 0x3b800000
	v_lshlrev_b32_e32 v10, 20, v10
	v_and_b32_e32 v12, 0x80000000, v12
	v_lshl_add_u32 v11, v11, 23, v13
	v_or3_b32 v10, v12, v11, v10
.LBB25_916:
	s_or_b64 exec, exec, s[6:7]
	s_movk_i32 s4, 0xff
	v_and_b32_sdwa v11, v2, s4 dst_sel:DWORD dst_unused:UNUSED_PAD src0_sel:WORD_1 src1_sel:DWORD
	s_movk_i32 s4, 0x7f
	v_cmp_lt_i16_e32 vcc, s4, v11
	s_mov_b64 s[4:5], 0
                                        ; implicit-def: $sgpr10
	s_and_saveexec_b64 s[6:7], vcc
	s_xor_b64 s[6:7], exec, s[6:7]
	s_cbranch_execnz .LBB25_2965
; %bb.917:
	s_or_saveexec_b64 s[6:7], s[6:7]
	v_mov_b32_e32 v12, s10
	s_xor_b64 exec, exec, s[6:7]
	s_cbranch_execnz .LBB25_2968
.LBB25_918:
	s_or_b64 exec, exec, s[6:7]
	s_and_saveexec_b64 s[6:7], s[4:5]
	s_cbranch_execz .LBB25_920
.LBB25_919:
	v_bfe_u32 v11, v2, 16, 3
	v_ffbh_u32_e32 v14, v11
	v_min_u32_e32 v14, 32, v14
	v_lshrrev_b32_e32 v12, 19, v2
	v_subrev_u32_e32 v15, 28, v14
	v_and_b32_e32 v12, 15, v12
	v_lshlrev_b32_sdwa v15, v15, v2 dst_sel:DWORD dst_unused:UNUSED_PAD src0_sel:DWORD src1_sel:WORD_1
	v_bfe_u32 v13, v2, 19, 4
	v_sub_u32_e32 v14, 29, v14
	v_and_b32_e32 v15, 7, v15
	v_cmp_eq_u16_e32 vcc, 0, v12
	v_cndmask_b32_e32 v11, v11, v15, vcc
	v_cndmask_b32_e32 v12, v13, v14, vcc
	v_lshlrev_b32_e32 v13, 8, v2
	v_mov_b32_e32 v14, 0x3b800000
	v_lshlrev_b32_e32 v11, 20, v11
	v_and_b32_e32 v13, 0x80000000, v13
	v_lshl_add_u32 v12, v12, 23, v14
	v_or3_b32 v12, v13, v12, v11
.LBB25_920:
	s_or_b64 exec, exec, s[6:7]
	s_nop 0
	v_mfma_f32_16x16x4f32 a[0:3], v10, v12, a[0:3]
	s_movk_i32 s4, 0x7f
	v_cmp_gt_i16_sdwa s[6:7], v6, s4 src0_sel:BYTE_3 src1_sel:DWORD
	s_mov_b64 s[4:5], 0
                                        ; implicit-def: $sgpr10
	s_and_saveexec_b64 s[8:9], s[6:7]
	s_xor_b64 s[6:7], exec, s[8:9]
	s_cbranch_execnz .LBB25_2969
; %bb.921:
	s_or_saveexec_b64 s[6:7], s[6:7]
	v_mov_b32_e32 v10, s10
	s_xor_b64 exec, exec, s[6:7]
	s_cbranch_execnz .LBB25_2972
.LBB25_922:
	s_or_b64 exec, exec, s[6:7]
	s_and_saveexec_b64 s[6:7], s[4:5]
	s_cbranch_execz .LBB25_924
.LBB25_923:
	v_bfe_u32 v10, v6, 24, 3
	v_ffbh_u32_e32 v14, v10
	v_min_u32_e32 v14, 32, v14
	v_lshrrev_b32_e32 v12, 27, v6
	v_subrev_u32_e32 v15, 28, v14
	v_and_b32_e32 v11, 0x80000000, v6
	v_and_b32_e32 v12, 15, v12
	v_bfe_u32 v13, v6, 27, 4
	v_lshlrev_b32_sdwa v6, v15, v6 dst_sel:DWORD dst_unused:UNUSED_PAD src0_sel:DWORD src1_sel:BYTE_3
	v_sub_u32_e32 v14, 29, v14
	v_and_b32_e32 v6, 7, v6
	v_cmp_eq_u16_e32 vcc, 0, v12
	v_cndmask_b32_e32 v6, v10, v6, vcc
	v_cndmask_b32_e32 v10, v13, v14, vcc
	v_mov_b32_e32 v12, 0x3b800000
	v_lshlrev_b32_e32 v6, 20, v6
	v_lshl_add_u32 v10, v10, 23, v12
	v_or3_b32 v10, v11, v10, v6
.LBB25_924:
	s_or_b64 exec, exec, s[6:7]
	s_movk_i32 s4, 0x7f
	v_cmp_gt_i16_sdwa s[6:7], v2, s4 src0_sel:BYTE_3 src1_sel:DWORD
	s_mov_b64 s[4:5], 0
                                        ; implicit-def: $sgpr10
	s_and_saveexec_b64 s[8:9], s[6:7]
	s_xor_b64 s[6:7], exec, s[8:9]
	s_cbranch_execnz .LBB25_2973
; %bb.925:
	s_or_saveexec_b64 s[6:7], s[6:7]
	v_mov_b32_e32 v6, s10
	s_xor_b64 exec, exec, s[6:7]
	s_cbranch_execnz .LBB25_2976
.LBB25_926:
	s_or_b64 exec, exec, s[6:7]
	s_and_saveexec_b64 s[6:7], s[4:5]
	s_cbranch_execz .LBB25_928
.LBB25_927:
	v_bfe_u32 v6, v2, 24, 3
	v_ffbh_u32_e32 v14, v6
	v_min_u32_e32 v14, 32, v14
	v_lshrrev_b32_e32 v12, 27, v2
	v_subrev_u32_e32 v15, 28, v14
	v_and_b32_e32 v11, 0x80000000, v2
	v_and_b32_e32 v12, 15, v12
	v_bfe_u32 v13, v2, 27, 4
	v_lshlrev_b32_sdwa v2, v15, v2 dst_sel:DWORD dst_unused:UNUSED_PAD src0_sel:DWORD src1_sel:BYTE_3
	v_sub_u32_e32 v14, 29, v14
	v_and_b32_e32 v2, 7, v2
	v_cmp_eq_u16_e32 vcc, 0, v12
	v_cndmask_b32_e32 v2, v6, v2, vcc
	v_cndmask_b32_e32 v6, v13, v14, vcc
	v_mov_b32_e32 v12, 0x3b800000
	v_lshlrev_b32_e32 v2, 20, v2
	v_lshl_add_u32 v6, v6, 23, v12
	v_or3_b32 v6, v11, v6, v2
.LBB25_928:
	s_or_b64 exec, exec, s[6:7]
	s_nop 0
	v_mfma_f32_16x16x4f32 a[0:3], v10, v6, a[0:3]
	s_movk_i32 s4, 0x7f
	v_cmp_gt_i16_sdwa s[6:7], v7, s4 src0_sel:BYTE_0 src1_sel:DWORD
	s_mov_b64 s[4:5], 0
                                        ; implicit-def: $sgpr10
	s_and_saveexec_b64 s[8:9], s[6:7]
	s_xor_b64 s[6:7], exec, s[8:9]
	s_cbranch_execnz .LBB25_2977
; %bb.929:
	s_or_saveexec_b64 s[6:7], s[6:7]
	v_mov_b32_e32 v2, s10
	s_xor_b64 exec, exec, s[6:7]
	s_cbranch_execnz .LBB25_2980
.LBB25_930:
	s_or_b64 exec, exec, s[6:7]
	s_and_saveexec_b64 s[6:7], s[4:5]
	s_cbranch_execz .LBB25_932
.LBB25_931:
	v_and_b32_e32 v2, 7, v7
	v_ffbh_u32_e32 v10, v2
	v_min_u32_e32 v10, 32, v10
	v_lshrrev_b16_e32 v6, 3, v7
	v_subrev_u32_e32 v11, 28, v10
	v_and_b32_e32 v6, 15, v6
	v_lshlrev_b32_e32 v11, v11, v7
	v_sub_u32_e32 v10, 29, v10
	v_and_b32_e32 v11, 7, v11
	v_cmp_eq_u16_e32 vcc, 0, v6
	v_cndmask_b32_e32 v2, v2, v11, vcc
	v_cndmask_b32_e32 v6, v6, v10, vcc
	v_lshlrev_b32_e32 v10, 24, v7
	v_mov_b32_e32 v11, 0x3b800000
	v_lshlrev_b32_e32 v2, 20, v2
	v_and_b32_e32 v10, 0x80000000, v10
	v_lshl_add_u32 v6, v6, 23, v11
	v_or3_b32 v2, v10, v6, v2
.LBB25_932:
	s_or_b64 exec, exec, s[6:7]
	s_movk_i32 s4, 0x7f
	v_cmp_gt_i16_sdwa s[6:7], v3, s4 src0_sel:BYTE_0 src1_sel:DWORD
	s_mov_b64 s[4:5], 0
                                        ; implicit-def: $sgpr10
	s_and_saveexec_b64 s[8:9], s[6:7]
	s_xor_b64 s[6:7], exec, s[8:9]
	s_cbranch_execnz .LBB25_2981
; %bb.933:
	s_or_saveexec_b64 s[6:7], s[6:7]
	v_mov_b32_e32 v6, s10
	s_xor_b64 exec, exec, s[6:7]
	s_cbranch_execnz .LBB25_2984
.LBB25_934:
	s_or_b64 exec, exec, s[6:7]
	s_and_saveexec_b64 s[6:7], s[4:5]
	s_cbranch_execz .LBB25_936
.LBB25_935:
	v_and_b32_e32 v6, 7, v3
	v_ffbh_u32_e32 v11, v6
	v_min_u32_e32 v11, 32, v11
	v_lshrrev_b16_e32 v10, 3, v3
	v_subrev_u32_e32 v12, 28, v11
	v_and_b32_e32 v10, 15, v10
	v_lshlrev_b32_e32 v12, v12, v3
	v_sub_u32_e32 v11, 29, v11
	v_and_b32_e32 v12, 7, v12
	v_cmp_eq_u16_e32 vcc, 0, v10
	v_cndmask_b32_e32 v6, v6, v12, vcc
	v_cndmask_b32_e32 v10, v10, v11, vcc
	v_lshlrev_b32_e32 v11, 24, v3
	v_mov_b32_e32 v12, 0x3b800000
	v_lshlrev_b32_e32 v6, 20, v6
	v_and_b32_e32 v11, 0x80000000, v11
	v_lshl_add_u32 v10, v10, 23, v12
	v_or3_b32 v6, v11, v10, v6
.LBB25_936:
	s_or_b64 exec, exec, s[6:7]
	s_nop 0
	v_mfma_f32_16x16x4f32 a[0:3], v2, v6, a[0:3]
	v_lshrrev_b32_e32 v6, 8, v7
	s_movk_i32 s4, 0x7f
	v_cmp_gt_i16_sdwa s[6:7], v6, s4 src0_sel:BYTE_0 src1_sel:DWORD
	s_mov_b64 s[4:5], 0
                                        ; implicit-def: $sgpr10
	s_and_saveexec_b64 s[8:9], s[6:7]
	s_xor_b64 s[6:7], exec, s[8:9]
	s_cbranch_execnz .LBB25_2985
; %bb.937:
	s_or_saveexec_b64 s[6:7], s[6:7]
	v_mov_b32_e32 v2, s10
	s_xor_b64 exec, exec, s[6:7]
	s_cbranch_execnz .LBB25_2988
.LBB25_938:
	s_or_b64 exec, exec, s[6:7]
	s_and_saveexec_b64 s[6:7], s[4:5]
	s_cbranch_execz .LBB25_940
.LBB25_939:
	v_bfe_u32 v2, v7, 8, 3
	v_ffbh_u32_e32 v11, v2
	v_min_u32_e32 v11, 32, v11
	v_lshrrev_b16_e32 v10, 3, v6
	v_subrev_u32_e32 v12, 28, v11
	v_and_b32_e32 v10, 15, v10
	v_lshlrev_b32_e32 v6, v12, v6
	v_sub_u32_e32 v11, 29, v11
	v_and_b32_e32 v6, 7, v6
	v_cmp_eq_u16_e32 vcc, 0, v10
	v_cndmask_b32_e32 v2, v2, v6, vcc
	v_cndmask_b32_e32 v6, v10, v11, vcc
	v_lshlrev_b32_e32 v10, 16, v7
	v_mov_b32_e32 v11, 0x3b800000
	v_lshlrev_b32_e32 v2, 20, v2
	v_and_b32_e32 v10, 0x80000000, v10
	v_lshl_add_u32 v6, v6, 23, v11
	v_or3_b32 v2, v10, v6, v2
.LBB25_940:
	s_or_b64 exec, exec, s[6:7]
	v_lshrrev_b32_e32 v6, 8, v3
	s_movk_i32 s4, 0x7f
	v_cmp_gt_i16_sdwa s[6:7], v6, s4 src0_sel:BYTE_0 src1_sel:DWORD
	s_mov_b64 s[4:5], 0
                                        ; implicit-def: $sgpr10
	s_and_saveexec_b64 s[8:9], s[6:7]
	s_xor_b64 s[6:7], exec, s[8:9]
	s_cbranch_execnz .LBB25_2989
; %bb.941:
	s_or_saveexec_b64 s[6:7], s[6:7]
	v_mov_b32_e32 v10, s10
	s_xor_b64 exec, exec, s[6:7]
	s_cbranch_execnz .LBB25_2992
.LBB25_942:
	s_or_b64 exec, exec, s[6:7]
	s_and_saveexec_b64 s[6:7], s[4:5]
	s_cbranch_execz .LBB25_944
.LBB25_943:
	v_bfe_u32 v10, v3, 8, 3
	v_ffbh_u32_e32 v12, v10
	v_min_u32_e32 v12, 32, v12
	v_lshrrev_b16_e32 v11, 3, v6
	v_subrev_u32_e32 v13, 28, v12
	v_and_b32_e32 v11, 15, v11
	v_lshlrev_b32_e32 v6, v13, v6
	v_sub_u32_e32 v12, 29, v12
	v_and_b32_e32 v6, 7, v6
	v_cmp_eq_u16_e32 vcc, 0, v11
	v_cndmask_b32_e32 v6, v10, v6, vcc
	v_cndmask_b32_e32 v10, v11, v12, vcc
	v_lshlrev_b32_e32 v11, 16, v3
	v_mov_b32_e32 v12, 0x3b800000
	v_lshlrev_b32_e32 v6, 20, v6
	v_and_b32_e32 v11, 0x80000000, v11
	v_lshl_add_u32 v10, v10, 23, v12
	v_or3_b32 v10, v11, v10, v6
.LBB25_944:
	s_or_b64 exec, exec, s[6:7]
	s_nop 0
	v_mfma_f32_16x16x4f32 a[0:3], v2, v10, a[0:3]
	s_movk_i32 s4, 0xff
	v_and_b32_sdwa v6, v7, s4 dst_sel:DWORD dst_unused:UNUSED_PAD src0_sel:WORD_1 src1_sel:DWORD
	s_movk_i32 s4, 0x7f
	v_cmp_lt_i16_e32 vcc, s4, v6
	s_mov_b64 s[4:5], 0
                                        ; implicit-def: $sgpr10
	s_and_saveexec_b64 s[6:7], vcc
	s_xor_b64 s[6:7], exec, s[6:7]
	s_cbranch_execnz .LBB25_2993
; %bb.945:
	s_or_saveexec_b64 s[6:7], s[6:7]
	v_mov_b32_e32 v2, s10
	s_xor_b64 exec, exec, s[6:7]
	s_cbranch_execnz .LBB25_2996
.LBB25_946:
	s_or_b64 exec, exec, s[6:7]
	s_and_saveexec_b64 s[6:7], s[4:5]
	s_cbranch_execz .LBB25_948
.LBB25_947:
	v_bfe_u32 v2, v7, 16, 3
	v_ffbh_u32_e32 v11, v2
	v_min_u32_e32 v11, 32, v11
	v_lshrrev_b32_e32 v6, 19, v7
	v_subrev_u32_e32 v12, 28, v11
	v_and_b32_e32 v6, 15, v6
	v_lshlrev_b32_sdwa v12, v12, v7 dst_sel:DWORD dst_unused:UNUSED_PAD src0_sel:DWORD src1_sel:WORD_1
	v_bfe_u32 v10, v7, 19, 4
	v_sub_u32_e32 v11, 29, v11
	v_and_b32_e32 v12, 7, v12
	v_cmp_eq_u16_e32 vcc, 0, v6
	v_cndmask_b32_e32 v2, v2, v12, vcc
	v_cndmask_b32_e32 v6, v10, v11, vcc
	v_lshlrev_b32_e32 v10, 8, v7
	v_mov_b32_e32 v11, 0x3b800000
	v_lshlrev_b32_e32 v2, 20, v2
	v_and_b32_e32 v10, 0x80000000, v10
	v_lshl_add_u32 v6, v6, 23, v11
	v_or3_b32 v2, v10, v6, v2
.LBB25_948:
	s_or_b64 exec, exec, s[6:7]
	s_movk_i32 s4, 0xff
	v_and_b32_sdwa v6, v3, s4 dst_sel:DWORD dst_unused:UNUSED_PAD src0_sel:WORD_1 src1_sel:DWORD
	s_movk_i32 s4, 0x7f
	v_cmp_lt_i16_e32 vcc, s4, v6
	s_mov_b64 s[4:5], 0
                                        ; implicit-def: $sgpr10
	s_and_saveexec_b64 s[6:7], vcc
	s_xor_b64 s[6:7], exec, s[6:7]
	s_cbranch_execnz .LBB25_2997
; %bb.949:
	s_or_saveexec_b64 s[6:7], s[6:7]
	v_mov_b32_e32 v10, s10
	s_xor_b64 exec, exec, s[6:7]
	s_cbranch_execnz .LBB25_3000
.LBB25_950:
	s_or_b64 exec, exec, s[6:7]
	s_and_saveexec_b64 s[6:7], s[4:5]
	s_cbranch_execz .LBB25_952
.LBB25_951:
	v_bfe_u32 v6, v3, 16, 3
	v_ffbh_u32_e32 v12, v6
	v_min_u32_e32 v12, 32, v12
	v_lshrrev_b32_e32 v10, 19, v3
	v_subrev_u32_e32 v13, 28, v12
	v_and_b32_e32 v10, 15, v10
	v_lshlrev_b32_sdwa v13, v13, v3 dst_sel:DWORD dst_unused:UNUSED_PAD src0_sel:DWORD src1_sel:WORD_1
	v_bfe_u32 v11, v3, 19, 4
	v_sub_u32_e32 v12, 29, v12
	v_and_b32_e32 v13, 7, v13
	v_cmp_eq_u16_e32 vcc, 0, v10
	v_cndmask_b32_e32 v6, v6, v13, vcc
	v_cndmask_b32_e32 v10, v11, v12, vcc
	v_lshlrev_b32_e32 v11, 8, v3
	v_mov_b32_e32 v12, 0x3b800000
	v_lshlrev_b32_e32 v6, 20, v6
	v_and_b32_e32 v11, 0x80000000, v11
	v_lshl_add_u32 v10, v10, 23, v12
	v_or3_b32 v10, v11, v10, v6
.LBB25_952:
	s_or_b64 exec, exec, s[6:7]
	s_nop 0
	v_mfma_f32_16x16x4f32 a[0:3], v2, v10, a[0:3]
	s_movk_i32 s4, 0x7f
	v_cmp_gt_i16_sdwa s[6:7], v7, s4 src0_sel:BYTE_3 src1_sel:DWORD
	s_mov_b64 s[4:5], 0
                                        ; implicit-def: $sgpr10
	s_and_saveexec_b64 s[8:9], s[6:7]
	s_xor_b64 s[6:7], exec, s[8:9]
	s_cbranch_execnz .LBB25_3001
; %bb.953:
	s_or_saveexec_b64 s[6:7], s[6:7]
	v_mov_b32_e32 v2, s10
	s_xor_b64 exec, exec, s[6:7]
	s_cbranch_execnz .LBB25_3004
.LBB25_954:
	s_or_b64 exec, exec, s[6:7]
	s_and_saveexec_b64 s[6:7], s[4:5]
	s_cbranch_execz .LBB25_956
.LBB25_955:
	v_bfe_u32 v2, v7, 24, 3
	v_ffbh_u32_e32 v12, v2
	v_min_u32_e32 v12, 32, v12
	v_lshrrev_b32_e32 v10, 27, v7
	v_subrev_u32_e32 v13, 28, v12
	v_and_b32_e32 v6, 0x80000000, v7
	v_and_b32_e32 v10, 15, v10
	v_bfe_u32 v11, v7, 27, 4
	v_lshlrev_b32_sdwa v7, v13, v7 dst_sel:DWORD dst_unused:UNUSED_PAD src0_sel:DWORD src1_sel:BYTE_3
	v_sub_u32_e32 v12, 29, v12
	v_and_b32_e32 v7, 7, v7
	v_cmp_eq_u16_e32 vcc, 0, v10
	v_cndmask_b32_e32 v2, v2, v7, vcc
	v_cndmask_b32_e32 v7, v11, v12, vcc
	v_mov_b32_e32 v10, 0x3b800000
	v_lshlrev_b32_e32 v2, 20, v2
	v_lshl_add_u32 v7, v7, 23, v10
	v_or3_b32 v2, v6, v7, v2
.LBB25_956:
	s_or_b64 exec, exec, s[6:7]
	s_movk_i32 s4, 0x7f
	v_cmp_gt_i16_sdwa s[6:7], v3, s4 src0_sel:BYTE_3 src1_sel:DWORD
	s_mov_b64 s[4:5], 0
                                        ; implicit-def: $sgpr10
	s_and_saveexec_b64 s[8:9], s[6:7]
	s_xor_b64 s[6:7], exec, s[8:9]
	s_cbranch_execnz .LBB25_3005
; %bb.957:
	s_or_saveexec_b64 s[6:7], s[6:7]
	v_mov_b32_e32 v6, s10
	s_xor_b64 exec, exec, s[6:7]
	s_cbranch_execnz .LBB25_3008
.LBB25_958:
	s_or_b64 exec, exec, s[6:7]
	s_and_saveexec_b64 s[6:7], s[4:5]
	s_cbranch_execz .LBB25_960
.LBB25_959:
	v_bfe_u32 v6, v3, 24, 3
	v_ffbh_u32_e32 v12, v6
	v_min_u32_e32 v12, 32, v12
	v_lshrrev_b32_e32 v10, 27, v3
	v_subrev_u32_e32 v13, 28, v12
	v_and_b32_e32 v7, 0x80000000, v3
	v_and_b32_e32 v10, 15, v10
	v_bfe_u32 v11, v3, 27, 4
	v_lshlrev_b32_sdwa v3, v13, v3 dst_sel:DWORD dst_unused:UNUSED_PAD src0_sel:DWORD src1_sel:BYTE_3
	v_sub_u32_e32 v12, 29, v12
	v_and_b32_e32 v3, 7, v3
	v_cmp_eq_u16_e32 vcc, 0, v10
	v_cndmask_b32_e32 v3, v6, v3, vcc
	v_cndmask_b32_e32 v6, v11, v12, vcc
	v_mov_b32_e32 v10, 0x3b800000
	v_lshlrev_b32_e32 v3, 20, v3
	v_lshl_add_u32 v6, v6, 23, v10
	v_or3_b32 v6, v7, v6, v3
.LBB25_960:
	s_or_b64 exec, exec, s[6:7]
	s_nop 0
	v_mfma_f32_16x16x4f32 a[0:3], v2, v6, a[0:3]
	s_movk_i32 s4, 0x7f
	v_cmp_gt_i16_sdwa s[6:7], v8, s4 src0_sel:BYTE_0 src1_sel:DWORD
	s_mov_b64 s[4:5], 0
                                        ; implicit-def: $sgpr10
	s_and_saveexec_b64 s[8:9], s[6:7]
	s_xor_b64 s[6:7], exec, s[8:9]
	s_cbranch_execnz .LBB25_3009
; %bb.961:
	s_or_saveexec_b64 s[6:7], s[6:7]
	v_mov_b32_e32 v2, s10
	s_xor_b64 exec, exec, s[6:7]
	s_cbranch_execnz .LBB25_3012
.LBB25_962:
	s_or_b64 exec, exec, s[6:7]
	s_and_saveexec_b64 s[6:7], s[4:5]
	s_cbranch_execz .LBB25_964
.LBB25_963:
	v_and_b32_e32 v2, 7, v8
	v_ffbh_u32_e32 v6, v2
	v_min_u32_e32 v6, 32, v6
	v_lshrrev_b16_e32 v3, 3, v8
	v_subrev_u32_e32 v7, 28, v6
	v_and_b32_e32 v3, 15, v3
	v_lshlrev_b32_e32 v7, v7, v8
	v_sub_u32_e32 v6, 29, v6
	v_and_b32_e32 v7, 7, v7
	v_cmp_eq_u16_e32 vcc, 0, v3
	v_cndmask_b32_e32 v2, v2, v7, vcc
	v_cndmask_b32_e32 v3, v3, v6, vcc
	v_lshlrev_b32_e32 v6, 24, v8
	v_mov_b32_e32 v7, 0x3b800000
	v_lshlrev_b32_e32 v2, 20, v2
	v_and_b32_e32 v6, 0x80000000, v6
	v_lshl_add_u32 v3, v3, 23, v7
	v_or3_b32 v2, v6, v3, v2
.LBB25_964:
	s_or_b64 exec, exec, s[6:7]
	s_movk_i32 s4, 0x7f
	v_cmp_gt_i16_sdwa s[6:7], v4, s4 src0_sel:BYTE_0 src1_sel:DWORD
	s_mov_b64 s[4:5], 0
                                        ; implicit-def: $sgpr10
	s_and_saveexec_b64 s[8:9], s[6:7]
	s_xor_b64 s[6:7], exec, s[8:9]
	s_cbranch_execnz .LBB25_3013
; %bb.965:
	s_or_saveexec_b64 s[6:7], s[6:7]
	v_mov_b32_e32 v3, s10
	s_xor_b64 exec, exec, s[6:7]
	s_cbranch_execnz .LBB25_3016
.LBB25_966:
	s_or_b64 exec, exec, s[6:7]
	s_and_saveexec_b64 s[6:7], s[4:5]
	s_cbranch_execz .LBB25_968
.LBB25_967:
	v_and_b32_e32 v3, 7, v4
	v_ffbh_u32_e32 v7, v3
	v_min_u32_e32 v7, 32, v7
	v_lshrrev_b16_e32 v6, 3, v4
	v_subrev_u32_e32 v10, 28, v7
	v_and_b32_e32 v6, 15, v6
	v_lshlrev_b32_e32 v10, v10, v4
	v_sub_u32_e32 v7, 29, v7
	v_and_b32_e32 v10, 7, v10
	v_cmp_eq_u16_e32 vcc, 0, v6
	v_cndmask_b32_e32 v3, v3, v10, vcc
	v_cndmask_b32_e32 v6, v6, v7, vcc
	v_lshlrev_b32_e32 v7, 24, v4
	v_mov_b32_e32 v10, 0x3b800000
	v_lshlrev_b32_e32 v3, 20, v3
	v_and_b32_e32 v7, 0x80000000, v7
	v_lshl_add_u32 v6, v6, 23, v10
	v_or3_b32 v3, v7, v6, v3
.LBB25_968:
	s_or_b64 exec, exec, s[6:7]
	s_nop 0
	v_mfma_f32_16x16x4f32 a[0:3], v2, v3, a[0:3]
	v_lshrrev_b32_e32 v3, 8, v8
	s_movk_i32 s4, 0x7f
	v_cmp_gt_i16_sdwa s[6:7], v3, s4 src0_sel:BYTE_0 src1_sel:DWORD
	s_mov_b64 s[4:5], 0
                                        ; implicit-def: $sgpr10
	s_and_saveexec_b64 s[8:9], s[6:7]
	s_xor_b64 s[6:7], exec, s[8:9]
	s_cbranch_execnz .LBB25_3017
; %bb.969:
	s_or_saveexec_b64 s[6:7], s[6:7]
	v_mov_b32_e32 v2, s10
	s_xor_b64 exec, exec, s[6:7]
	s_cbranch_execnz .LBB25_3020
.LBB25_970:
	s_or_b64 exec, exec, s[6:7]
	s_and_saveexec_b64 s[6:7], s[4:5]
	s_cbranch_execz .LBB25_972
.LBB25_971:
	v_bfe_u32 v2, v8, 8, 3
	v_ffbh_u32_e32 v7, v2
	v_min_u32_e32 v7, 32, v7
	v_lshrrev_b16_e32 v6, 3, v3
	v_subrev_u32_e32 v10, 28, v7
	v_and_b32_e32 v6, 15, v6
	v_lshlrev_b32_e32 v3, v10, v3
	v_sub_u32_e32 v7, 29, v7
	v_and_b32_e32 v3, 7, v3
	v_cmp_eq_u16_e32 vcc, 0, v6
	v_cndmask_b32_e32 v2, v2, v3, vcc
	v_cndmask_b32_e32 v3, v6, v7, vcc
	v_lshlrev_b32_e32 v6, 16, v8
	v_mov_b32_e32 v7, 0x3b800000
	v_lshlrev_b32_e32 v2, 20, v2
	v_and_b32_e32 v6, 0x80000000, v6
	v_lshl_add_u32 v3, v3, 23, v7
	v_or3_b32 v2, v6, v3, v2
.LBB25_972:
	s_or_b64 exec, exec, s[6:7]
	v_lshrrev_b32_e32 v3, 8, v4
	s_movk_i32 s4, 0x7f
	v_cmp_gt_i16_sdwa s[6:7], v3, s4 src0_sel:BYTE_0 src1_sel:DWORD
	s_mov_b64 s[4:5], 0
                                        ; implicit-def: $sgpr10
	s_and_saveexec_b64 s[8:9], s[6:7]
	s_xor_b64 s[6:7], exec, s[8:9]
	s_cbranch_execnz .LBB25_3021
; %bb.973:
	s_or_saveexec_b64 s[6:7], s[6:7]
	v_mov_b32_e32 v6, s10
	s_xor_b64 exec, exec, s[6:7]
	s_cbranch_execnz .LBB25_3024
.LBB25_974:
	s_or_b64 exec, exec, s[6:7]
	s_and_saveexec_b64 s[6:7], s[4:5]
	s_cbranch_execz .LBB25_976
.LBB25_975:
	v_bfe_u32 v6, v4, 8, 3
	v_ffbh_u32_e32 v10, v6
	v_min_u32_e32 v10, 32, v10
	v_lshrrev_b16_e32 v7, 3, v3
	v_subrev_u32_e32 v11, 28, v10
	v_and_b32_e32 v7, 15, v7
	v_lshlrev_b32_e32 v3, v11, v3
	v_sub_u32_e32 v10, 29, v10
	v_and_b32_e32 v3, 7, v3
	v_cmp_eq_u16_e32 vcc, 0, v7
	v_cndmask_b32_e32 v3, v6, v3, vcc
	v_cndmask_b32_e32 v6, v7, v10, vcc
	v_lshlrev_b32_e32 v7, 16, v4
	v_mov_b32_e32 v10, 0x3b800000
	v_lshlrev_b32_e32 v3, 20, v3
	v_and_b32_e32 v7, 0x80000000, v7
	v_lshl_add_u32 v6, v6, 23, v10
	v_or3_b32 v6, v7, v6, v3
.LBB25_976:
	s_or_b64 exec, exec, s[6:7]
	s_nop 0
	v_mfma_f32_16x16x4f32 a[0:3], v2, v6, a[0:3]
	s_movk_i32 s4, 0xff
	v_and_b32_sdwa v3, v8, s4 dst_sel:DWORD dst_unused:UNUSED_PAD src0_sel:WORD_1 src1_sel:DWORD
	s_movk_i32 s4, 0x7f
	v_cmp_lt_i16_e32 vcc, s4, v3
	s_mov_b64 s[4:5], 0
                                        ; implicit-def: $sgpr10
	s_and_saveexec_b64 s[6:7], vcc
	s_xor_b64 s[6:7], exec, s[6:7]
	s_cbranch_execnz .LBB25_3025
; %bb.977:
	s_or_saveexec_b64 s[6:7], s[6:7]
	v_mov_b32_e32 v2, s10
	s_xor_b64 exec, exec, s[6:7]
	s_cbranch_execnz .LBB25_3028
.LBB25_978:
	s_or_b64 exec, exec, s[6:7]
	s_and_saveexec_b64 s[6:7], s[4:5]
	s_cbranch_execz .LBB25_980
.LBB25_979:
	v_bfe_u32 v2, v8, 16, 3
	v_ffbh_u32_e32 v7, v2
	v_min_u32_e32 v7, 32, v7
	v_lshrrev_b32_e32 v3, 19, v8
	v_subrev_u32_e32 v10, 28, v7
	v_and_b32_e32 v3, 15, v3
	v_lshlrev_b32_sdwa v10, v10, v8 dst_sel:DWORD dst_unused:UNUSED_PAD src0_sel:DWORD src1_sel:WORD_1
	v_bfe_u32 v6, v8, 19, 4
	v_sub_u32_e32 v7, 29, v7
	v_and_b32_e32 v10, 7, v10
	v_cmp_eq_u16_e32 vcc, 0, v3
	v_cndmask_b32_e32 v2, v2, v10, vcc
	v_cndmask_b32_e32 v3, v6, v7, vcc
	v_lshlrev_b32_e32 v6, 8, v8
	v_mov_b32_e32 v7, 0x3b800000
	v_lshlrev_b32_e32 v2, 20, v2
	v_and_b32_e32 v6, 0x80000000, v6
	v_lshl_add_u32 v3, v3, 23, v7
	v_or3_b32 v2, v6, v3, v2
.LBB25_980:
	s_or_b64 exec, exec, s[6:7]
	s_movk_i32 s4, 0xff
	v_and_b32_sdwa v3, v4, s4 dst_sel:DWORD dst_unused:UNUSED_PAD src0_sel:WORD_1 src1_sel:DWORD
	s_movk_i32 s4, 0x7f
	v_cmp_lt_i16_e32 vcc, s4, v3
	s_mov_b64 s[4:5], 0
                                        ; implicit-def: $sgpr10
	s_and_saveexec_b64 s[6:7], vcc
	s_xor_b64 s[6:7], exec, s[6:7]
	s_cbranch_execnz .LBB25_3029
; %bb.981:
	s_or_saveexec_b64 s[6:7], s[6:7]
	v_mov_b32_e32 v6, s10
	s_xor_b64 exec, exec, s[6:7]
	s_cbranch_execnz .LBB25_3032
.LBB25_982:
	s_or_b64 exec, exec, s[6:7]
	s_and_saveexec_b64 s[6:7], s[4:5]
	s_cbranch_execz .LBB25_984
.LBB25_983:
	v_bfe_u32 v3, v4, 16, 3
	v_ffbh_u32_e32 v10, v3
	v_min_u32_e32 v10, 32, v10
	v_lshrrev_b32_e32 v6, 19, v4
	v_subrev_u32_e32 v11, 28, v10
	v_and_b32_e32 v6, 15, v6
	v_lshlrev_b32_sdwa v11, v11, v4 dst_sel:DWORD dst_unused:UNUSED_PAD src0_sel:DWORD src1_sel:WORD_1
	v_bfe_u32 v7, v4, 19, 4
	v_sub_u32_e32 v10, 29, v10
	v_and_b32_e32 v11, 7, v11
	v_cmp_eq_u16_e32 vcc, 0, v6
	v_cndmask_b32_e32 v3, v3, v11, vcc
	v_cndmask_b32_e32 v6, v7, v10, vcc
	v_lshlrev_b32_e32 v7, 8, v4
	v_mov_b32_e32 v10, 0x3b800000
	v_lshlrev_b32_e32 v3, 20, v3
	v_and_b32_e32 v7, 0x80000000, v7
	v_lshl_add_u32 v6, v6, 23, v10
	v_or3_b32 v6, v7, v6, v3
.LBB25_984:
	s_or_b64 exec, exec, s[6:7]
	s_nop 0
	v_mfma_f32_16x16x4f32 a[0:3], v2, v6, a[0:3]
	s_movk_i32 s4, 0x7f
	v_cmp_gt_i16_sdwa s[6:7], v8, s4 src0_sel:BYTE_3 src1_sel:DWORD
	s_mov_b64 s[4:5], 0
                                        ; implicit-def: $sgpr10
	s_and_saveexec_b64 s[8:9], s[6:7]
	s_xor_b64 s[6:7], exec, s[8:9]
	s_cbranch_execnz .LBB25_3033
; %bb.985:
	s_or_saveexec_b64 s[6:7], s[6:7]
	v_mov_b32_e32 v2, s10
	s_xor_b64 exec, exec, s[6:7]
	s_cbranch_execnz .LBB25_3036
.LBB25_986:
	s_or_b64 exec, exec, s[6:7]
	s_and_saveexec_b64 s[6:7], s[4:5]
	s_cbranch_execz .LBB25_988
.LBB25_987:
	v_bfe_u32 v2, v8, 24, 3
	v_ffbh_u32_e32 v10, v2
	v_min_u32_e32 v10, 32, v10
	v_lshrrev_b32_e32 v6, 27, v8
	v_subrev_u32_e32 v11, 28, v10
	v_and_b32_e32 v3, 0x80000000, v8
	v_and_b32_e32 v6, 15, v6
	v_bfe_u32 v7, v8, 27, 4
	v_lshlrev_b32_sdwa v8, v11, v8 dst_sel:DWORD dst_unused:UNUSED_PAD src0_sel:DWORD src1_sel:BYTE_3
	v_sub_u32_e32 v10, 29, v10
	v_and_b32_e32 v8, 7, v8
	v_cmp_eq_u16_e32 vcc, 0, v6
	v_cndmask_b32_e32 v2, v2, v8, vcc
	v_cndmask_b32_e32 v6, v7, v10, vcc
	v_mov_b32_e32 v7, 0x3b800000
	v_lshlrev_b32_e32 v2, 20, v2
	v_lshl_add_u32 v6, v6, 23, v7
	v_or3_b32 v2, v3, v6, v2
.LBB25_988:
	s_or_b64 exec, exec, s[6:7]
	s_movk_i32 s4, 0x7f
	v_cmp_gt_i16_sdwa s[6:7], v4, s4 src0_sel:BYTE_3 src1_sel:DWORD
	s_mov_b64 s[4:5], 0
                                        ; implicit-def: $sgpr10
	s_and_saveexec_b64 s[8:9], s[6:7]
	s_xor_b64 s[6:7], exec, s[8:9]
	s_cbranch_execnz .LBB25_3037
; %bb.989:
	s_or_saveexec_b64 s[6:7], s[6:7]
	v_mov_b32_e32 v3, s10
	s_xor_b64 exec, exec, s[6:7]
	s_cbranch_execnz .LBB25_3040
.LBB25_990:
	s_or_b64 exec, exec, s[6:7]
	s_and_saveexec_b64 s[6:7], s[4:5]
	s_cbranch_execz .LBB25_992
.LBB25_991:
	v_bfe_u32 v3, v4, 24, 3
	v_ffbh_u32_e32 v10, v3
	v_min_u32_e32 v10, 32, v10
	v_lshrrev_b32_e32 v7, 27, v4
	v_subrev_u32_e32 v11, 28, v10
	v_and_b32_e32 v6, 0x80000000, v4
	v_and_b32_e32 v7, 15, v7
	v_bfe_u32 v8, v4, 27, 4
	v_lshlrev_b32_sdwa v4, v11, v4 dst_sel:DWORD dst_unused:UNUSED_PAD src0_sel:DWORD src1_sel:BYTE_3
	v_sub_u32_e32 v10, 29, v10
	v_and_b32_e32 v4, 7, v4
	v_cmp_eq_u16_e32 vcc, 0, v7
	v_cndmask_b32_e32 v3, v3, v4, vcc
	v_cndmask_b32_e32 v4, v8, v10, vcc
	v_mov_b32_e32 v7, 0x3b800000
	v_lshlrev_b32_e32 v3, 20, v3
	v_lshl_add_u32 v4, v4, 23, v7
	v_or3_b32 v3, v6, v4, v3
.LBB25_992:
	s_or_b64 exec, exec, s[6:7]
	s_nop 0
	v_mfma_f32_16x16x4f32 a[0:3], v2, v3, a[0:3]
	s_movk_i32 s4, 0x7f
	v_cmp_gt_i16_sdwa s[6:7], v9, s4 src0_sel:BYTE_0 src1_sel:DWORD
	s_mov_b64 s[4:5], 0
                                        ; implicit-def: $sgpr10
	s_and_saveexec_b64 s[8:9], s[6:7]
	s_xor_b64 s[6:7], exec, s[8:9]
	s_cbranch_execnz .LBB25_3041
; %bb.993:
	s_or_saveexec_b64 s[6:7], s[6:7]
	v_mov_b32_e32 v2, s10
	s_xor_b64 exec, exec, s[6:7]
	s_cbranch_execnz .LBB25_3044
.LBB25_994:
	s_or_b64 exec, exec, s[6:7]
	s_and_saveexec_b64 s[6:7], s[4:5]
	s_cbranch_execz .LBB25_996
.LBB25_995:
	v_mov_b32_e32 v2, 8
	v_and_b32_e32 v3, 7, v9
	v_lshrrev_b32_sdwa v2, v2, v9 dst_sel:BYTE_1 dst_unused:UNUSED_PAD src0_sel:DWORD src1_sel:DWORD
	v_ffbh_u32_e32 v4, v3
	v_or_b32_sdwa v2, v9, v2 dst_sel:DWORD dst_unused:UNUSED_PAD src0_sel:BYTE_0 src1_sel:DWORD
	v_min_u32_e32 v4, 32, v4
	v_lshrrev_b16_e32 v2, 3, v2
	v_subrev_u32_e32 v6, 28, v4
	v_and_b32_e32 v2, 15, v2
	v_lshlrev_b32_e32 v6, v6, v9
	v_sub_u32_e32 v4, 29, v4
	v_and_b32_e32 v6, 7, v6
	v_cmp_eq_u16_e32 vcc, 0, v2
	v_cndmask_b32_e32 v3, v3, v6, vcc
	v_cndmask_b32_e32 v2, v2, v4, vcc
	v_lshlrev_b32_e32 v4, 24, v9
	v_mov_b32_e32 v6, 0x3b800000
	v_lshlrev_b32_e32 v3, 20, v3
	v_and_b32_e32 v4, 0x80000000, v4
	v_lshl_add_u32 v2, v2, 23, v6
	v_or3_b32 v2, v4, v2, v3
.LBB25_996:
	s_or_b64 exec, exec, s[6:7]
	s_movk_i32 s4, 0x7f
	v_cmp_gt_i16_sdwa s[6:7], v5, s4 src0_sel:BYTE_0 src1_sel:DWORD
	s_mov_b64 s[4:5], 0
                                        ; implicit-def: $sgpr10
	s_and_saveexec_b64 s[8:9], s[6:7]
	s_xor_b64 s[6:7], exec, s[8:9]
	s_cbranch_execnz .LBB25_3045
; %bb.997:
	s_or_saveexec_b64 s[6:7], s[6:7]
	v_mov_b32_e32 v3, s10
	s_xor_b64 exec, exec, s[6:7]
	s_cbranch_execnz .LBB25_3048
.LBB25_998:
	s_or_b64 exec, exec, s[6:7]
	s_and_saveexec_b64 s[6:7], s[4:5]
	s_cbranch_execz .LBB25_1000
.LBB25_999:
	v_mov_b32_e32 v3, 8
	v_and_b32_e32 v4, 7, v5
	v_lshrrev_b32_sdwa v3, v3, v5 dst_sel:BYTE_1 dst_unused:UNUSED_PAD src0_sel:DWORD src1_sel:DWORD
	v_ffbh_u32_e32 v6, v4
	v_or_b32_sdwa v3, v5, v3 dst_sel:DWORD dst_unused:UNUSED_PAD src0_sel:BYTE_0 src1_sel:DWORD
	v_min_u32_e32 v6, 32, v6
	v_lshrrev_b16_e32 v3, 3, v3
	v_subrev_u32_e32 v7, 28, v6
	v_and_b32_e32 v3, 15, v3
	v_lshlrev_b32_e32 v7, v7, v5
	v_sub_u32_e32 v6, 29, v6
	v_and_b32_e32 v7, 7, v7
	v_cmp_eq_u16_e32 vcc, 0, v3
	v_cndmask_b32_e32 v4, v4, v7, vcc
	v_cndmask_b32_e32 v3, v3, v6, vcc
	v_lshlrev_b32_e32 v6, 24, v5
	v_mov_b32_e32 v7, 0x3b800000
	v_lshlrev_b32_e32 v4, 20, v4
	v_and_b32_e32 v6, 0x80000000, v6
	v_lshl_add_u32 v3, v3, 23, v7
	v_or3_b32 v3, v6, v3, v4
.LBB25_1000:
	s_or_b64 exec, exec, s[6:7]
	s_nop 0
	v_mfma_f32_16x16x4f32 a[0:3], v2, v3, a[0:3]
	v_lshrrev_b32_e32 v3, 8, v9
	s_movk_i32 s4, 0x7f
	v_cmp_gt_i16_sdwa s[6:7], v3, s4 src0_sel:BYTE_0 src1_sel:DWORD
	s_mov_b64 s[4:5], 0
                                        ; implicit-def: $sgpr10
	s_and_saveexec_b64 s[8:9], s[6:7]
	s_xor_b64 s[6:7], exec, s[8:9]
	s_cbranch_execnz .LBB25_3049
; %bb.1001:
	s_or_saveexec_b64 s[6:7], s[6:7]
	v_mov_b32_e32 v2, s10
	s_xor_b64 exec, exec, s[6:7]
	s_cbranch_execnz .LBB25_3052
.LBB25_1002:
	s_or_b64 exec, exec, s[6:7]
	s_and_saveexec_b64 s[6:7], s[4:5]
	s_cbranch_execz .LBB25_1004
.LBB25_1003:
	v_bfe_u32 v2, v9, 8, 3
	v_ffbh_u32_e32 v6, v2
	v_min_u32_e32 v6, 32, v6
	v_lshrrev_b16_e32 v4, 3, v3
	v_subrev_u32_e32 v7, 28, v6
	v_and_b32_e32 v4, 15, v4
	v_lshlrev_b32_e32 v3, v7, v3
	v_sub_u32_e32 v6, 29, v6
	v_and_b32_e32 v3, 7, v3
	v_cmp_eq_u16_e32 vcc, 0, v4
	v_cndmask_b32_e32 v2, v2, v3, vcc
	v_cndmask_b32_e32 v3, v4, v6, vcc
	v_lshlrev_b32_e32 v4, 16, v9
	v_mov_b32_e32 v6, 0x3b800000
	v_lshlrev_b32_e32 v2, 20, v2
	v_and_b32_e32 v4, 0x80000000, v4
	v_lshl_add_u32 v3, v3, 23, v6
	v_or3_b32 v2, v4, v3, v2
.LBB25_1004:
	s_or_b64 exec, exec, s[6:7]
	v_lshrrev_b32_e32 v3, 8, v5
	s_movk_i32 s4, 0x7f
	v_cmp_gt_i16_sdwa s[6:7], v3, s4 src0_sel:BYTE_0 src1_sel:DWORD
	s_mov_b64 s[4:5], 0
                                        ; implicit-def: $sgpr10
	s_and_saveexec_b64 s[8:9], s[6:7]
	s_xor_b64 s[6:7], exec, s[8:9]
	s_cbranch_execnz .LBB25_3053
; %bb.1005:
	s_or_saveexec_b64 s[6:7], s[6:7]
	v_mov_b32_e32 v4, s10
	s_xor_b64 exec, exec, s[6:7]
	s_cbranch_execnz .LBB25_3056
.LBB25_1006:
	s_or_b64 exec, exec, s[6:7]
	s_and_saveexec_b64 s[6:7], s[4:5]
	s_cbranch_execz .LBB25_1008
.LBB25_1007:
	v_bfe_u32 v4, v5, 8, 3
	v_ffbh_u32_e32 v7, v4
	v_min_u32_e32 v7, 32, v7
	v_lshrrev_b16_e32 v6, 3, v3
	v_subrev_u32_e32 v8, 28, v7
	v_and_b32_e32 v6, 15, v6
	v_lshlrev_b32_e32 v3, v8, v3
	v_sub_u32_e32 v7, 29, v7
	v_and_b32_e32 v3, 7, v3
	v_cmp_eq_u16_e32 vcc, 0, v6
	v_cndmask_b32_e32 v3, v4, v3, vcc
	v_cndmask_b32_e32 v4, v6, v7, vcc
	v_lshlrev_b32_e32 v6, 16, v5
	v_mov_b32_e32 v7, 0x3b800000
	v_lshlrev_b32_e32 v3, 20, v3
	v_and_b32_e32 v6, 0x80000000, v6
	v_lshl_add_u32 v4, v4, 23, v7
	v_or3_b32 v4, v6, v4, v3
.LBB25_1008:
	s_or_b64 exec, exec, s[6:7]
	s_nop 0
	v_mfma_f32_16x16x4f32 a[0:3], v2, v4, a[0:3]
	s_movk_i32 s4, 0xff
	v_and_b32_sdwa v3, v9, s4 dst_sel:DWORD dst_unused:UNUSED_PAD src0_sel:WORD_1 src1_sel:DWORD
	s_movk_i32 s4, 0x7f
	v_cmp_lt_i16_e32 vcc, s4, v3
	s_mov_b64 s[4:5], 0
                                        ; implicit-def: $sgpr10
	s_and_saveexec_b64 s[6:7], vcc
	s_xor_b64 s[6:7], exec, s[6:7]
	s_cbranch_execnz .LBB25_3057
; %bb.1009:
	s_or_saveexec_b64 s[6:7], s[6:7]
	v_mov_b32_e32 v2, s10
	s_xor_b64 exec, exec, s[6:7]
	s_cbranch_execnz .LBB25_3060
.LBB25_1010:
	s_or_b64 exec, exec, s[6:7]
	s_and_saveexec_b64 s[6:7], s[4:5]
	s_cbranch_execz .LBB25_1012
.LBB25_1011:
	v_bfe_u32 v2, v9, 16, 3
	v_ffbh_u32_e32 v6, v2
	v_min_u32_e32 v6, 32, v6
	v_lshrrev_b32_e32 v3, 19, v9
	v_subrev_u32_e32 v7, 28, v6
	v_and_b32_e32 v3, 15, v3
	v_lshlrev_b32_sdwa v7, v7, v9 dst_sel:DWORD dst_unused:UNUSED_PAD src0_sel:DWORD src1_sel:WORD_1
	v_bfe_u32 v4, v9, 19, 4
	v_sub_u32_e32 v6, 29, v6
	v_and_b32_e32 v7, 7, v7
	v_cmp_eq_u16_e32 vcc, 0, v3
	v_cndmask_b32_e32 v2, v2, v7, vcc
	v_cndmask_b32_e32 v3, v4, v6, vcc
	v_lshlrev_b32_e32 v4, 8, v9
	v_mov_b32_e32 v6, 0x3b800000
	v_lshlrev_b32_e32 v2, 20, v2
	v_and_b32_e32 v4, 0x80000000, v4
	v_lshl_add_u32 v3, v3, 23, v6
	v_or3_b32 v2, v4, v3, v2
.LBB25_1012:
	s_or_b64 exec, exec, s[6:7]
	s_movk_i32 s4, 0xff
	v_and_b32_sdwa v3, v5, s4 dst_sel:DWORD dst_unused:UNUSED_PAD src0_sel:WORD_1 src1_sel:DWORD
	s_movk_i32 s4, 0x7f
	v_cmp_lt_i16_e32 vcc, s4, v3
	s_mov_b64 s[4:5], 0
                                        ; implicit-def: $sgpr10
	s_and_saveexec_b64 s[6:7], vcc
	s_xor_b64 s[6:7], exec, s[6:7]
	s_cbranch_execnz .LBB25_3061
; %bb.1013:
	s_or_saveexec_b64 s[6:7], s[6:7]
	v_mov_b32_e32 v4, s10
	s_xor_b64 exec, exec, s[6:7]
	s_cbranch_execnz .LBB25_3064
.LBB25_1014:
	s_or_b64 exec, exec, s[6:7]
	s_and_saveexec_b64 s[6:7], s[4:5]
	s_cbranch_execz .LBB25_1016
.LBB25_1015:
	v_bfe_u32 v3, v5, 16, 3
	v_ffbh_u32_e32 v7, v3
	v_min_u32_e32 v7, 32, v7
	v_lshrrev_b32_e32 v4, 19, v5
	v_subrev_u32_e32 v8, 28, v7
	v_and_b32_e32 v4, 15, v4
	v_lshlrev_b32_sdwa v8, v8, v5 dst_sel:DWORD dst_unused:UNUSED_PAD src0_sel:DWORD src1_sel:WORD_1
	v_bfe_u32 v6, v5, 19, 4
	v_sub_u32_e32 v7, 29, v7
	v_and_b32_e32 v8, 7, v8
	v_cmp_eq_u16_e32 vcc, 0, v4
	v_cndmask_b32_e32 v3, v3, v8, vcc
	v_cndmask_b32_e32 v4, v6, v7, vcc
	v_lshlrev_b32_e32 v6, 8, v5
	v_mov_b32_e32 v7, 0x3b800000
	v_lshlrev_b32_e32 v3, 20, v3
	v_and_b32_e32 v6, 0x80000000, v6
	v_lshl_add_u32 v4, v4, 23, v7
	v_or3_b32 v4, v6, v4, v3
.LBB25_1016:
	s_or_b64 exec, exec, s[6:7]
	s_nop 0
	v_mfma_f32_16x16x4f32 a[0:3], v2, v4, a[0:3]
	s_movk_i32 s4, 0x7f
	v_cmp_gt_i16_sdwa s[6:7], v9, s4 src0_sel:BYTE_3 src1_sel:DWORD
	s_mov_b64 s[4:5], 0
                                        ; implicit-def: $sgpr10
	s_and_saveexec_b64 s[8:9], s[6:7]
	s_xor_b64 s[6:7], exec, s[8:9]
	s_cbranch_execnz .LBB25_3065
; %bb.1017:
	s_or_saveexec_b64 s[6:7], s[6:7]
	v_mov_b32_e32 v2, s10
	s_xor_b64 exec, exec, s[6:7]
	s_cbranch_execnz .LBB25_3068
.LBB25_1018:
	s_or_b64 exec, exec, s[6:7]
	s_and_saveexec_b64 s[6:7], s[4:5]
	s_cbranch_execz .LBB25_1020
.LBB25_1019:
	v_bfe_u32 v2, v9, 24, 3
	v_ffbh_u32_e32 v7, v2
	v_min_u32_e32 v7, 32, v7
	v_lshrrev_b32_e32 v4, 27, v9
	v_subrev_u32_e32 v8, 28, v7
	v_and_b32_e32 v4, 15, v4
	v_lshlrev_b32_sdwa v8, v8, v9 dst_sel:DWORD dst_unused:UNUSED_PAD src0_sel:DWORD src1_sel:BYTE_3
	v_bfe_u32 v6, v9, 27, 4
	v_sub_u32_e32 v7, 29, v7
	v_and_b32_e32 v8, 7, v8
	v_cmp_eq_u16_e32 vcc, 0, v4
	v_cndmask_b32_e32 v2, v2, v8, vcc
	v_cndmask_b32_e32 v4, v6, v7, vcc
	v_mov_b32_e32 v6, 0x3b800000
	v_and_b32_e32 v3, 0x80000000, v9
	v_lshlrev_b32_e32 v2, 20, v2
	v_lshl_add_u32 v4, v4, 23, v6
	v_or3_b32 v2, v3, v4, v2
.LBB25_1020:
	s_or_b64 exec, exec, s[6:7]
	s_movk_i32 s4, 0x7f
	v_cmp_gt_i16_sdwa s[6:7], v5, s4 src0_sel:BYTE_3 src1_sel:DWORD
	s_mov_b64 s[4:5], 0
                                        ; implicit-def: $sgpr10
	s_and_saveexec_b64 s[8:9], s[6:7]
	s_xor_b64 s[6:7], exec, s[8:9]
	s_cbranch_execnz .LBB25_3069
; %bb.1021:
	s_or_saveexec_b64 s[6:7], s[6:7]
	v_mov_b32_e32 v3, s10
	s_xor_b64 exec, exec, s[6:7]
	s_cbranch_execnz .LBB25_3072
.LBB25_1022:
	s_or_b64 exec, exec, s[6:7]
	s_and_saveexec_b64 s[6:7], s[4:5]
	s_cbranch_execz .LBB25_1024
.LBB25_1023:
	v_bfe_u32 v3, v5, 24, 3
	v_ffbh_u32_e32 v8, v3
	v_min_u32_e32 v8, 32, v8
	v_lshrrev_b32_e32 v6, 27, v5
	v_subrev_u32_e32 v9, 28, v8
	v_and_b32_e32 v4, 0x80000000, v5
	v_and_b32_e32 v6, 15, v6
	v_bfe_u32 v7, v5, 27, 4
	v_lshlrev_b32_sdwa v5, v9, v5 dst_sel:DWORD dst_unused:UNUSED_PAD src0_sel:DWORD src1_sel:BYTE_3
	v_sub_u32_e32 v8, 29, v8
	v_and_b32_e32 v5, 7, v5
	v_cmp_eq_u16_e32 vcc, 0, v6
	v_cndmask_b32_e32 v3, v3, v5, vcc
	v_cndmask_b32_e32 v5, v7, v8, vcc
	v_mov_b32_e32 v6, 0x3b800000
	v_lshlrev_b32_e32 v3, 20, v3
	v_lshl_add_u32 v5, v5, 23, v6
	v_or3_b32 v3, v4, v5, v3
.LBB25_1024:
	s_or_b64 exec, exec, s[6:7]
	s_nop 0
	v_mfma_f32_16x16x4f32 a[0:3], v2, v3, a[0:3]
	s_movk_i32 s4, 0x7f
                                        ; implicit-def: $sgpr10
	s_nop 7
	s_nop 1
	flat_store_dwordx4 v[18:19], a[0:3] offset:944
	flat_load_dwordx4 v[20:23], v[0:1] offset:8
	s_nop 0
	flat_load_dwordx2 v[18:19], v[0:1] offset:24
	s_waitcnt vmcnt(0) lgkmcnt(0)
	flat_load_dwordx4 v[14:17], v[20:21] offset:32
	flat_load_dwordx4 v[6:9], v[20:21] offset:48
	;; [unrolled: 1-line block ×4, first 2 shown]
	s_waitcnt vmcnt(0) lgkmcnt(0)
	v_cmp_gt_i16_sdwa s[6:7], v14, s4 src0_sel:BYTE_0 src1_sel:DWORD
	s_mov_b64 s[4:5], 0
	s_and_saveexec_b64 s[8:9], s[6:7]
	s_xor_b64 s[6:7], exec, s[8:9]
	s_cbranch_execnz .LBB25_3073
; %bb.1025:
	s_or_saveexec_b64 s[6:7], s[6:7]
	v_mov_b32_e32 v20, s10
	s_xor_b64 exec, exec, s[6:7]
	s_cbranch_execnz .LBB25_3076
.LBB25_1026:
	s_or_b64 exec, exec, s[6:7]
	s_and_saveexec_b64 s[6:7], s[4:5]
	s_cbranch_execz .LBB25_1028
.LBB25_1027:
	v_and_b32_e32 v20, 7, v14
	v_ffbh_u32_e32 v22, v20
	v_min_u32_e32 v22, 32, v22
	v_lshrrev_b16_e32 v21, 3, v14
	v_subrev_u32_e32 v23, 28, v22
	v_and_b32_e32 v21, 15, v21
	v_lshlrev_b32_e32 v23, v23, v14
	v_sub_u32_e32 v22, 29, v22
	v_and_b32_e32 v23, 7, v23
	v_cmp_eq_u16_e32 vcc, 0, v21
	v_cndmask_b32_e32 v20, v20, v23, vcc
	v_cndmask_b32_e32 v21, v21, v22, vcc
	v_lshlrev_b32_e32 v22, 24, v14
	v_mov_b32_e32 v23, 0x3b800000
	v_lshlrev_b32_e32 v20, 20, v20
	v_and_b32_e32 v22, 0x80000000, v22
	v_lshl_add_u32 v21, v21, 23, v23
	v_or3_b32 v20, v22, v21, v20
.LBB25_1028:
	s_or_b64 exec, exec, s[6:7]
	s_movk_i32 s4, 0x7f
	v_cmp_gt_i16_sdwa s[6:7], v10, s4 src0_sel:BYTE_0 src1_sel:DWORD
	s_mov_b64 s[4:5], 0
                                        ; implicit-def: $sgpr10
	s_and_saveexec_b64 s[8:9], s[6:7]
	s_xor_b64 s[6:7], exec, s[8:9]
	s_cbranch_execnz .LBB25_3077
; %bb.1029:
	s_or_saveexec_b64 s[6:7], s[6:7]
	v_mov_b32_e32 v21, s10
	s_xor_b64 exec, exec, s[6:7]
	s_cbranch_execnz .LBB25_3080
.LBB25_1030:
	s_or_b64 exec, exec, s[6:7]
	s_and_saveexec_b64 s[6:7], s[4:5]
	s_cbranch_execz .LBB25_1032
.LBB25_1031:
	v_and_b32_e32 v21, 7, v10
	v_ffbh_u32_e32 v23, v21
	v_min_u32_e32 v23, 32, v23
	v_lshrrev_b16_e32 v22, 3, v10
	v_subrev_u32_e32 v24, 28, v23
	v_and_b32_e32 v22, 15, v22
	v_lshlrev_b32_e32 v24, v24, v10
	v_sub_u32_e32 v23, 29, v23
	v_and_b32_e32 v24, 7, v24
	v_cmp_eq_u16_e32 vcc, 0, v22
	v_cndmask_b32_e32 v21, v21, v24, vcc
	v_cndmask_b32_e32 v22, v22, v23, vcc
	v_lshlrev_b32_e32 v23, 24, v10
	v_mov_b32_e32 v24, 0x3b800000
	v_lshlrev_b32_e32 v21, 20, v21
	v_and_b32_e32 v23, 0x80000000, v23
	v_lshl_add_u32 v22, v22, 23, v24
	v_or3_b32 v21, v23, v22, v21
.LBB25_1032:
	s_or_b64 exec, exec, s[6:7]
	flat_load_dwordx4 a[0:3], v[18:19] offset:960
	s_movk_i32 s4, 0x7f
                                        ; implicit-def: $sgpr10
	s_waitcnt vmcnt(0) lgkmcnt(0)
	v_mfma_f32_16x16x4f32 a[0:3], v20, v21, a[0:3]
	v_lshrrev_b32_e32 v21, 8, v14
	v_cmp_gt_i16_sdwa s[6:7], v21, s4 src0_sel:BYTE_0 src1_sel:DWORD
	s_mov_b64 s[4:5], 0
	s_and_saveexec_b64 s[8:9], s[6:7]
	s_xor_b64 s[6:7], exec, s[8:9]
	s_cbranch_execnz .LBB25_3081
; %bb.1033:
	s_or_saveexec_b64 s[6:7], s[6:7]
	v_mov_b32_e32 v20, s10
	s_xor_b64 exec, exec, s[6:7]
	s_cbranch_execnz .LBB25_3084
.LBB25_1034:
	s_or_b64 exec, exec, s[6:7]
	s_and_saveexec_b64 s[6:7], s[4:5]
	s_cbranch_execz .LBB25_1036
.LBB25_1035:
	v_bfe_u32 v20, v14, 8, 3
	v_ffbh_u32_e32 v23, v20
	v_min_u32_e32 v23, 32, v23
	v_lshrrev_b16_e32 v22, 3, v21
	v_subrev_u32_e32 v24, 28, v23
	v_and_b32_e32 v22, 15, v22
	v_lshlrev_b32_e32 v21, v24, v21
	v_sub_u32_e32 v23, 29, v23
	v_and_b32_e32 v21, 7, v21
	v_cmp_eq_u16_e32 vcc, 0, v22
	v_cndmask_b32_e32 v20, v20, v21, vcc
	v_cndmask_b32_e32 v21, v22, v23, vcc
	v_lshlrev_b32_e32 v22, 16, v14
	v_mov_b32_e32 v23, 0x3b800000
	v_lshlrev_b32_e32 v20, 20, v20
	v_and_b32_e32 v22, 0x80000000, v22
	v_lshl_add_u32 v21, v21, 23, v23
	v_or3_b32 v20, v22, v21, v20
.LBB25_1036:
	s_or_b64 exec, exec, s[6:7]
	v_lshrrev_b32_e32 v21, 8, v10
	s_movk_i32 s4, 0x7f
	v_cmp_gt_i16_sdwa s[6:7], v21, s4 src0_sel:BYTE_0 src1_sel:DWORD
	s_mov_b64 s[4:5], 0
                                        ; implicit-def: $sgpr10
	s_and_saveexec_b64 s[8:9], s[6:7]
	s_xor_b64 s[6:7], exec, s[8:9]
	s_cbranch_execnz .LBB25_3085
; %bb.1037:
	s_or_saveexec_b64 s[6:7], s[6:7]
	v_mov_b32_e32 v22, s10
	s_xor_b64 exec, exec, s[6:7]
	s_cbranch_execnz .LBB25_3088
.LBB25_1038:
	s_or_b64 exec, exec, s[6:7]
	s_and_saveexec_b64 s[6:7], s[4:5]
	s_cbranch_execz .LBB25_1040
.LBB25_1039:
	v_bfe_u32 v22, v10, 8, 3
	v_ffbh_u32_e32 v24, v22
	v_min_u32_e32 v24, 32, v24
	v_lshrrev_b16_e32 v23, 3, v21
	v_subrev_u32_e32 v25, 28, v24
	v_and_b32_e32 v23, 15, v23
	v_lshlrev_b32_e32 v21, v25, v21
	v_sub_u32_e32 v24, 29, v24
	v_and_b32_e32 v21, 7, v21
	v_cmp_eq_u16_e32 vcc, 0, v23
	v_cndmask_b32_e32 v21, v22, v21, vcc
	v_cndmask_b32_e32 v22, v23, v24, vcc
	v_lshlrev_b32_e32 v23, 16, v10
	v_mov_b32_e32 v24, 0x3b800000
	v_lshlrev_b32_e32 v21, 20, v21
	v_and_b32_e32 v23, 0x80000000, v23
	v_lshl_add_u32 v22, v22, 23, v24
	v_or3_b32 v22, v23, v22, v21
.LBB25_1040:
	s_or_b64 exec, exec, s[6:7]
	s_nop 0
	v_mfma_f32_16x16x4f32 a[0:3], v20, v22, a[0:3]
	s_movk_i32 s4, 0xff
	v_and_b32_sdwa v21, v14, s4 dst_sel:DWORD dst_unused:UNUSED_PAD src0_sel:WORD_1 src1_sel:DWORD
	s_movk_i32 s4, 0x7f
	v_cmp_lt_i16_e32 vcc, s4, v21
	s_mov_b64 s[4:5], 0
                                        ; implicit-def: $sgpr10
	s_and_saveexec_b64 s[6:7], vcc
	s_xor_b64 s[6:7], exec, s[6:7]
	s_cbranch_execnz .LBB25_3089
; %bb.1041:
	s_or_saveexec_b64 s[6:7], s[6:7]
	v_mov_b32_e32 v20, s10
	s_xor_b64 exec, exec, s[6:7]
	s_cbranch_execnz .LBB25_3092
.LBB25_1042:
	s_or_b64 exec, exec, s[6:7]
	s_and_saveexec_b64 s[6:7], s[4:5]
	s_cbranch_execz .LBB25_1044
.LBB25_1043:
	v_bfe_u32 v20, v14, 16, 3
	v_ffbh_u32_e32 v23, v20
	v_min_u32_e32 v23, 32, v23
	v_lshrrev_b32_e32 v21, 19, v14
	v_subrev_u32_e32 v24, 28, v23
	v_and_b32_e32 v21, 15, v21
	v_lshlrev_b32_sdwa v24, v24, v14 dst_sel:DWORD dst_unused:UNUSED_PAD src0_sel:DWORD src1_sel:WORD_1
	v_bfe_u32 v22, v14, 19, 4
	v_sub_u32_e32 v23, 29, v23
	v_and_b32_e32 v24, 7, v24
	v_cmp_eq_u16_e32 vcc, 0, v21
	v_cndmask_b32_e32 v20, v20, v24, vcc
	v_cndmask_b32_e32 v21, v22, v23, vcc
	v_lshlrev_b32_e32 v22, 8, v14
	v_mov_b32_e32 v23, 0x3b800000
	v_lshlrev_b32_e32 v20, 20, v20
	v_and_b32_e32 v22, 0x80000000, v22
	v_lshl_add_u32 v21, v21, 23, v23
	v_or3_b32 v20, v22, v21, v20
.LBB25_1044:
	s_or_b64 exec, exec, s[6:7]
	s_movk_i32 s4, 0xff
	v_and_b32_sdwa v21, v10, s4 dst_sel:DWORD dst_unused:UNUSED_PAD src0_sel:WORD_1 src1_sel:DWORD
	s_movk_i32 s4, 0x7f
	v_cmp_lt_i16_e32 vcc, s4, v21
	s_mov_b64 s[4:5], 0
                                        ; implicit-def: $sgpr10
	s_and_saveexec_b64 s[6:7], vcc
	s_xor_b64 s[6:7], exec, s[6:7]
	s_cbranch_execnz .LBB25_3093
; %bb.1045:
	s_or_saveexec_b64 s[6:7], s[6:7]
	v_mov_b32_e32 v22, s10
	s_xor_b64 exec, exec, s[6:7]
	s_cbranch_execnz .LBB25_3096
.LBB25_1046:
	s_or_b64 exec, exec, s[6:7]
	s_and_saveexec_b64 s[6:7], s[4:5]
	s_cbranch_execz .LBB25_1048
.LBB25_1047:
	v_bfe_u32 v21, v10, 16, 3
	v_ffbh_u32_e32 v24, v21
	v_min_u32_e32 v24, 32, v24
	v_lshrrev_b32_e32 v22, 19, v10
	v_subrev_u32_e32 v25, 28, v24
	v_and_b32_e32 v22, 15, v22
	v_lshlrev_b32_sdwa v25, v25, v10 dst_sel:DWORD dst_unused:UNUSED_PAD src0_sel:DWORD src1_sel:WORD_1
	v_bfe_u32 v23, v10, 19, 4
	v_sub_u32_e32 v24, 29, v24
	v_and_b32_e32 v25, 7, v25
	v_cmp_eq_u16_e32 vcc, 0, v22
	v_cndmask_b32_e32 v21, v21, v25, vcc
	v_cndmask_b32_e32 v22, v23, v24, vcc
	v_lshlrev_b32_e32 v23, 8, v10
	v_mov_b32_e32 v24, 0x3b800000
	v_lshlrev_b32_e32 v21, 20, v21
	v_and_b32_e32 v23, 0x80000000, v23
	v_lshl_add_u32 v22, v22, 23, v24
	v_or3_b32 v22, v23, v22, v21
.LBB25_1048:
	s_or_b64 exec, exec, s[6:7]
	s_nop 0
	v_mfma_f32_16x16x4f32 a[0:3], v20, v22, a[0:3]
	s_movk_i32 s4, 0x7f
	v_cmp_gt_i16_sdwa s[6:7], v14, s4 src0_sel:BYTE_3 src1_sel:DWORD
	s_mov_b64 s[4:5], 0
                                        ; implicit-def: $sgpr10
	s_and_saveexec_b64 s[8:9], s[6:7]
	s_xor_b64 s[6:7], exec, s[8:9]
	s_cbranch_execnz .LBB25_3097
; %bb.1049:
	s_or_saveexec_b64 s[6:7], s[6:7]
	v_mov_b32_e32 v20, s10
	s_xor_b64 exec, exec, s[6:7]
	s_cbranch_execnz .LBB25_3100
.LBB25_1050:
	s_or_b64 exec, exec, s[6:7]
	s_and_saveexec_b64 s[6:7], s[4:5]
	s_cbranch_execz .LBB25_1052
.LBB25_1051:
	v_bfe_u32 v20, v14, 24, 3
	v_ffbh_u32_e32 v24, v20
	v_min_u32_e32 v24, 32, v24
	v_lshrrev_b32_e32 v22, 27, v14
	v_subrev_u32_e32 v25, 28, v24
	v_and_b32_e32 v21, 0x80000000, v14
	v_and_b32_e32 v22, 15, v22
	v_bfe_u32 v23, v14, 27, 4
	v_lshlrev_b32_sdwa v14, v25, v14 dst_sel:DWORD dst_unused:UNUSED_PAD src0_sel:DWORD src1_sel:BYTE_3
	v_sub_u32_e32 v24, 29, v24
	v_and_b32_e32 v14, 7, v14
	v_cmp_eq_u16_e32 vcc, 0, v22
	v_cndmask_b32_e32 v14, v20, v14, vcc
	v_cndmask_b32_e32 v20, v23, v24, vcc
	v_mov_b32_e32 v22, 0x3b800000
	v_lshlrev_b32_e32 v14, 20, v14
	v_lshl_add_u32 v20, v20, 23, v22
	v_or3_b32 v20, v21, v20, v14
.LBB25_1052:
	s_or_b64 exec, exec, s[6:7]
	s_movk_i32 s4, 0x7f
	v_cmp_gt_i16_sdwa s[6:7], v10, s4 src0_sel:BYTE_3 src1_sel:DWORD
	s_mov_b64 s[4:5], 0
                                        ; implicit-def: $sgpr10
	s_and_saveexec_b64 s[8:9], s[6:7]
	s_xor_b64 s[6:7], exec, s[8:9]
	s_cbranch_execnz .LBB25_3101
; %bb.1053:
	s_or_saveexec_b64 s[6:7], s[6:7]
	v_mov_b32_e32 v14, s10
	s_xor_b64 exec, exec, s[6:7]
	s_cbranch_execnz .LBB25_3104
.LBB25_1054:
	s_or_b64 exec, exec, s[6:7]
	s_and_saveexec_b64 s[6:7], s[4:5]
	s_cbranch_execz .LBB25_1056
.LBB25_1055:
	v_bfe_u32 v14, v10, 24, 3
	v_ffbh_u32_e32 v24, v14
	v_min_u32_e32 v24, 32, v24
	v_lshrrev_b32_e32 v22, 27, v10
	v_subrev_u32_e32 v25, 28, v24
	v_and_b32_e32 v21, 0x80000000, v10
	v_and_b32_e32 v22, 15, v22
	v_bfe_u32 v23, v10, 27, 4
	v_lshlrev_b32_sdwa v10, v25, v10 dst_sel:DWORD dst_unused:UNUSED_PAD src0_sel:DWORD src1_sel:BYTE_3
	v_sub_u32_e32 v24, 29, v24
	v_and_b32_e32 v10, 7, v10
	v_cmp_eq_u16_e32 vcc, 0, v22
	v_cndmask_b32_e32 v10, v14, v10, vcc
	v_cndmask_b32_e32 v14, v23, v24, vcc
	v_mov_b32_e32 v22, 0x3b800000
	v_lshlrev_b32_e32 v10, 20, v10
	v_lshl_add_u32 v14, v14, 23, v22
	v_or3_b32 v14, v21, v14, v10
.LBB25_1056:
	s_or_b64 exec, exec, s[6:7]
	s_nop 0
	v_mfma_f32_16x16x4f32 a[0:3], v20, v14, a[0:3]
	s_movk_i32 s4, 0x7f
	v_cmp_gt_i16_sdwa s[6:7], v15, s4 src0_sel:BYTE_0 src1_sel:DWORD
	s_mov_b64 s[4:5], 0
                                        ; implicit-def: $sgpr10
	s_and_saveexec_b64 s[8:9], s[6:7]
	s_xor_b64 s[6:7], exec, s[8:9]
	s_cbranch_execnz .LBB25_3105
; %bb.1057:
	s_or_saveexec_b64 s[6:7], s[6:7]
	v_mov_b32_e32 v10, s10
	s_xor_b64 exec, exec, s[6:7]
	s_cbranch_execnz .LBB25_3108
.LBB25_1058:
	s_or_b64 exec, exec, s[6:7]
	s_and_saveexec_b64 s[6:7], s[4:5]
	s_cbranch_execz .LBB25_1060
.LBB25_1059:
	v_and_b32_e32 v10, 7, v15
	v_ffbh_u32_e32 v20, v10
	v_min_u32_e32 v20, 32, v20
	v_lshrrev_b16_e32 v14, 3, v15
	v_subrev_u32_e32 v21, 28, v20
	v_and_b32_e32 v14, 15, v14
	v_lshlrev_b32_e32 v21, v21, v15
	v_sub_u32_e32 v20, 29, v20
	v_and_b32_e32 v21, 7, v21
	v_cmp_eq_u16_e32 vcc, 0, v14
	v_cndmask_b32_e32 v10, v10, v21, vcc
	v_cndmask_b32_e32 v14, v14, v20, vcc
	v_lshlrev_b32_e32 v20, 24, v15
	v_mov_b32_e32 v21, 0x3b800000
	v_lshlrev_b32_e32 v10, 20, v10
	v_and_b32_e32 v20, 0x80000000, v20
	v_lshl_add_u32 v14, v14, 23, v21
	v_or3_b32 v10, v20, v14, v10
.LBB25_1060:
	s_or_b64 exec, exec, s[6:7]
	s_movk_i32 s4, 0x7f
	v_cmp_gt_i16_sdwa s[6:7], v11, s4 src0_sel:BYTE_0 src1_sel:DWORD
	s_mov_b64 s[4:5], 0
                                        ; implicit-def: $sgpr10
	s_and_saveexec_b64 s[8:9], s[6:7]
	s_xor_b64 s[6:7], exec, s[8:9]
	s_cbranch_execnz .LBB25_3109
; %bb.1061:
	s_or_saveexec_b64 s[6:7], s[6:7]
	v_mov_b32_e32 v14, s10
	s_xor_b64 exec, exec, s[6:7]
	s_cbranch_execnz .LBB25_3112
.LBB25_1062:
	s_or_b64 exec, exec, s[6:7]
	s_and_saveexec_b64 s[6:7], s[4:5]
	s_cbranch_execz .LBB25_1064
.LBB25_1063:
	v_and_b32_e32 v14, 7, v11
	v_ffbh_u32_e32 v21, v14
	v_min_u32_e32 v21, 32, v21
	v_lshrrev_b16_e32 v20, 3, v11
	v_subrev_u32_e32 v22, 28, v21
	v_and_b32_e32 v20, 15, v20
	v_lshlrev_b32_e32 v22, v22, v11
	v_sub_u32_e32 v21, 29, v21
	v_and_b32_e32 v22, 7, v22
	v_cmp_eq_u16_e32 vcc, 0, v20
	v_cndmask_b32_e32 v14, v14, v22, vcc
	v_cndmask_b32_e32 v20, v20, v21, vcc
	v_lshlrev_b32_e32 v21, 24, v11
	v_mov_b32_e32 v22, 0x3b800000
	v_lshlrev_b32_e32 v14, 20, v14
	v_and_b32_e32 v21, 0x80000000, v21
	v_lshl_add_u32 v20, v20, 23, v22
	v_or3_b32 v14, v21, v20, v14
.LBB25_1064:
	s_or_b64 exec, exec, s[6:7]
	s_nop 0
	v_mfma_f32_16x16x4f32 a[0:3], v10, v14, a[0:3]
	v_lshrrev_b32_e32 v14, 8, v15
	s_movk_i32 s4, 0x7f
	v_cmp_gt_i16_sdwa s[6:7], v14, s4 src0_sel:BYTE_0 src1_sel:DWORD
	s_mov_b64 s[4:5], 0
                                        ; implicit-def: $sgpr10
	s_and_saveexec_b64 s[8:9], s[6:7]
	s_xor_b64 s[6:7], exec, s[8:9]
	s_cbranch_execnz .LBB25_3113
; %bb.1065:
	s_or_saveexec_b64 s[6:7], s[6:7]
	v_mov_b32_e32 v10, s10
	s_xor_b64 exec, exec, s[6:7]
	s_cbranch_execnz .LBB25_3116
.LBB25_1066:
	s_or_b64 exec, exec, s[6:7]
	s_and_saveexec_b64 s[6:7], s[4:5]
	s_cbranch_execz .LBB25_1068
.LBB25_1067:
	v_bfe_u32 v10, v15, 8, 3
	v_ffbh_u32_e32 v21, v10
	v_min_u32_e32 v21, 32, v21
	v_lshrrev_b16_e32 v20, 3, v14
	v_subrev_u32_e32 v22, 28, v21
	v_and_b32_e32 v20, 15, v20
	v_lshlrev_b32_e32 v14, v22, v14
	v_sub_u32_e32 v21, 29, v21
	v_and_b32_e32 v14, 7, v14
	v_cmp_eq_u16_e32 vcc, 0, v20
	v_cndmask_b32_e32 v10, v10, v14, vcc
	v_cndmask_b32_e32 v14, v20, v21, vcc
	v_lshlrev_b32_e32 v20, 16, v15
	v_mov_b32_e32 v21, 0x3b800000
	v_lshlrev_b32_e32 v10, 20, v10
	v_and_b32_e32 v20, 0x80000000, v20
	v_lshl_add_u32 v14, v14, 23, v21
	v_or3_b32 v10, v20, v14, v10
.LBB25_1068:
	s_or_b64 exec, exec, s[6:7]
	v_lshrrev_b32_e32 v14, 8, v11
	s_movk_i32 s4, 0x7f
	v_cmp_gt_i16_sdwa s[6:7], v14, s4 src0_sel:BYTE_0 src1_sel:DWORD
	s_mov_b64 s[4:5], 0
                                        ; implicit-def: $sgpr10
	s_and_saveexec_b64 s[8:9], s[6:7]
	s_xor_b64 s[6:7], exec, s[8:9]
	s_cbranch_execnz .LBB25_3117
; %bb.1069:
	s_or_saveexec_b64 s[6:7], s[6:7]
	v_mov_b32_e32 v20, s10
	s_xor_b64 exec, exec, s[6:7]
	s_cbranch_execnz .LBB25_3120
.LBB25_1070:
	s_or_b64 exec, exec, s[6:7]
	s_and_saveexec_b64 s[6:7], s[4:5]
	s_cbranch_execz .LBB25_1072
.LBB25_1071:
	v_bfe_u32 v20, v11, 8, 3
	v_ffbh_u32_e32 v22, v20
	v_min_u32_e32 v22, 32, v22
	v_lshrrev_b16_e32 v21, 3, v14
	v_subrev_u32_e32 v23, 28, v22
	v_and_b32_e32 v21, 15, v21
	v_lshlrev_b32_e32 v14, v23, v14
	v_sub_u32_e32 v22, 29, v22
	v_and_b32_e32 v14, 7, v14
	v_cmp_eq_u16_e32 vcc, 0, v21
	v_cndmask_b32_e32 v14, v20, v14, vcc
	v_cndmask_b32_e32 v20, v21, v22, vcc
	v_lshlrev_b32_e32 v21, 16, v11
	v_mov_b32_e32 v22, 0x3b800000
	v_lshlrev_b32_e32 v14, 20, v14
	v_and_b32_e32 v21, 0x80000000, v21
	v_lshl_add_u32 v20, v20, 23, v22
	v_or3_b32 v20, v21, v20, v14
.LBB25_1072:
	s_or_b64 exec, exec, s[6:7]
	s_nop 0
	v_mfma_f32_16x16x4f32 a[0:3], v10, v20, a[0:3]
	s_movk_i32 s4, 0xff
	v_and_b32_sdwa v14, v15, s4 dst_sel:DWORD dst_unused:UNUSED_PAD src0_sel:WORD_1 src1_sel:DWORD
	s_movk_i32 s4, 0x7f
	v_cmp_lt_i16_e32 vcc, s4, v14
	s_mov_b64 s[4:5], 0
                                        ; implicit-def: $sgpr10
	s_and_saveexec_b64 s[6:7], vcc
	s_xor_b64 s[6:7], exec, s[6:7]
	s_cbranch_execnz .LBB25_3121
; %bb.1073:
	s_or_saveexec_b64 s[6:7], s[6:7]
	v_mov_b32_e32 v10, s10
	s_xor_b64 exec, exec, s[6:7]
	s_cbranch_execnz .LBB25_3124
.LBB25_1074:
	s_or_b64 exec, exec, s[6:7]
	s_and_saveexec_b64 s[6:7], s[4:5]
	s_cbranch_execz .LBB25_1076
.LBB25_1075:
	v_bfe_u32 v10, v15, 16, 3
	v_ffbh_u32_e32 v21, v10
	v_min_u32_e32 v21, 32, v21
	v_lshrrev_b32_e32 v14, 19, v15
	v_subrev_u32_e32 v22, 28, v21
	v_and_b32_e32 v14, 15, v14
	v_lshlrev_b32_sdwa v22, v22, v15 dst_sel:DWORD dst_unused:UNUSED_PAD src0_sel:DWORD src1_sel:WORD_1
	v_bfe_u32 v20, v15, 19, 4
	v_sub_u32_e32 v21, 29, v21
	v_and_b32_e32 v22, 7, v22
	v_cmp_eq_u16_e32 vcc, 0, v14
	v_cndmask_b32_e32 v10, v10, v22, vcc
	v_cndmask_b32_e32 v14, v20, v21, vcc
	v_lshlrev_b32_e32 v20, 8, v15
	v_mov_b32_e32 v21, 0x3b800000
	v_lshlrev_b32_e32 v10, 20, v10
	v_and_b32_e32 v20, 0x80000000, v20
	v_lshl_add_u32 v14, v14, 23, v21
	v_or3_b32 v10, v20, v14, v10
.LBB25_1076:
	s_or_b64 exec, exec, s[6:7]
	s_movk_i32 s4, 0xff
	v_and_b32_sdwa v14, v11, s4 dst_sel:DWORD dst_unused:UNUSED_PAD src0_sel:WORD_1 src1_sel:DWORD
	s_movk_i32 s4, 0x7f
	v_cmp_lt_i16_e32 vcc, s4, v14
	s_mov_b64 s[4:5], 0
                                        ; implicit-def: $sgpr10
	s_and_saveexec_b64 s[6:7], vcc
	s_xor_b64 s[6:7], exec, s[6:7]
	s_cbranch_execnz .LBB25_3125
; %bb.1077:
	s_or_saveexec_b64 s[6:7], s[6:7]
	v_mov_b32_e32 v20, s10
	s_xor_b64 exec, exec, s[6:7]
	s_cbranch_execnz .LBB25_3128
.LBB25_1078:
	s_or_b64 exec, exec, s[6:7]
	s_and_saveexec_b64 s[6:7], s[4:5]
	s_cbranch_execz .LBB25_1080
.LBB25_1079:
	v_bfe_u32 v14, v11, 16, 3
	v_ffbh_u32_e32 v22, v14
	v_min_u32_e32 v22, 32, v22
	v_lshrrev_b32_e32 v20, 19, v11
	v_subrev_u32_e32 v23, 28, v22
	v_and_b32_e32 v20, 15, v20
	v_lshlrev_b32_sdwa v23, v23, v11 dst_sel:DWORD dst_unused:UNUSED_PAD src0_sel:DWORD src1_sel:WORD_1
	v_bfe_u32 v21, v11, 19, 4
	v_sub_u32_e32 v22, 29, v22
	v_and_b32_e32 v23, 7, v23
	v_cmp_eq_u16_e32 vcc, 0, v20
	v_cndmask_b32_e32 v14, v14, v23, vcc
	v_cndmask_b32_e32 v20, v21, v22, vcc
	v_lshlrev_b32_e32 v21, 8, v11
	v_mov_b32_e32 v22, 0x3b800000
	v_lshlrev_b32_e32 v14, 20, v14
	v_and_b32_e32 v21, 0x80000000, v21
	v_lshl_add_u32 v20, v20, 23, v22
	v_or3_b32 v20, v21, v20, v14
.LBB25_1080:
	s_or_b64 exec, exec, s[6:7]
	s_nop 0
	v_mfma_f32_16x16x4f32 a[0:3], v10, v20, a[0:3]
	s_movk_i32 s4, 0x7f
	v_cmp_gt_i16_sdwa s[6:7], v15, s4 src0_sel:BYTE_3 src1_sel:DWORD
	s_mov_b64 s[4:5], 0
                                        ; implicit-def: $sgpr10
	s_and_saveexec_b64 s[8:9], s[6:7]
	s_xor_b64 s[6:7], exec, s[8:9]
	s_cbranch_execnz .LBB25_3129
; %bb.1081:
	s_or_saveexec_b64 s[6:7], s[6:7]
	v_mov_b32_e32 v10, s10
	s_xor_b64 exec, exec, s[6:7]
	s_cbranch_execnz .LBB25_3132
.LBB25_1082:
	s_or_b64 exec, exec, s[6:7]
	s_and_saveexec_b64 s[6:7], s[4:5]
	s_cbranch_execz .LBB25_1084
.LBB25_1083:
	v_bfe_u32 v10, v15, 24, 3
	v_ffbh_u32_e32 v22, v10
	v_min_u32_e32 v22, 32, v22
	v_lshrrev_b32_e32 v20, 27, v15
	v_subrev_u32_e32 v23, 28, v22
	v_and_b32_e32 v14, 0x80000000, v15
	v_and_b32_e32 v20, 15, v20
	v_bfe_u32 v21, v15, 27, 4
	v_lshlrev_b32_sdwa v15, v23, v15 dst_sel:DWORD dst_unused:UNUSED_PAD src0_sel:DWORD src1_sel:BYTE_3
	v_sub_u32_e32 v22, 29, v22
	v_and_b32_e32 v15, 7, v15
	v_cmp_eq_u16_e32 vcc, 0, v20
	v_cndmask_b32_e32 v10, v10, v15, vcc
	v_cndmask_b32_e32 v15, v21, v22, vcc
	v_mov_b32_e32 v20, 0x3b800000
	v_lshlrev_b32_e32 v10, 20, v10
	v_lshl_add_u32 v15, v15, 23, v20
	v_or3_b32 v10, v14, v15, v10
.LBB25_1084:
	s_or_b64 exec, exec, s[6:7]
	s_movk_i32 s4, 0x7f
	v_cmp_gt_i16_sdwa s[6:7], v11, s4 src0_sel:BYTE_3 src1_sel:DWORD
	s_mov_b64 s[4:5], 0
                                        ; implicit-def: $sgpr10
	s_and_saveexec_b64 s[8:9], s[6:7]
	s_xor_b64 s[6:7], exec, s[8:9]
	s_cbranch_execnz .LBB25_3133
; %bb.1085:
	s_or_saveexec_b64 s[6:7], s[6:7]
	v_mov_b32_e32 v14, s10
	s_xor_b64 exec, exec, s[6:7]
	s_cbranch_execnz .LBB25_3136
.LBB25_1086:
	s_or_b64 exec, exec, s[6:7]
	s_and_saveexec_b64 s[6:7], s[4:5]
	s_cbranch_execz .LBB25_1088
.LBB25_1087:
	v_bfe_u32 v14, v11, 24, 3
	v_ffbh_u32_e32 v22, v14
	v_min_u32_e32 v22, 32, v22
	v_lshrrev_b32_e32 v20, 27, v11
	v_subrev_u32_e32 v23, 28, v22
	v_and_b32_e32 v15, 0x80000000, v11
	v_and_b32_e32 v20, 15, v20
	v_bfe_u32 v21, v11, 27, 4
	v_lshlrev_b32_sdwa v11, v23, v11 dst_sel:DWORD dst_unused:UNUSED_PAD src0_sel:DWORD src1_sel:BYTE_3
	v_sub_u32_e32 v22, 29, v22
	v_and_b32_e32 v11, 7, v11
	v_cmp_eq_u16_e32 vcc, 0, v20
	v_cndmask_b32_e32 v11, v14, v11, vcc
	v_cndmask_b32_e32 v14, v21, v22, vcc
	v_mov_b32_e32 v20, 0x3b800000
	v_lshlrev_b32_e32 v11, 20, v11
	v_lshl_add_u32 v14, v14, 23, v20
	v_or3_b32 v14, v15, v14, v11
.LBB25_1088:
	s_or_b64 exec, exec, s[6:7]
	s_nop 0
	v_mfma_f32_16x16x4f32 a[0:3], v10, v14, a[0:3]
	s_movk_i32 s4, 0x7f
	v_cmp_gt_i16_sdwa s[6:7], v16, s4 src0_sel:BYTE_0 src1_sel:DWORD
	s_mov_b64 s[4:5], 0
                                        ; implicit-def: $sgpr10
	s_and_saveexec_b64 s[8:9], s[6:7]
	s_xor_b64 s[6:7], exec, s[8:9]
	s_cbranch_execnz .LBB25_3137
; %bb.1089:
	s_or_saveexec_b64 s[6:7], s[6:7]
	v_mov_b32_e32 v10, s10
	s_xor_b64 exec, exec, s[6:7]
	s_cbranch_execnz .LBB25_3140
.LBB25_1090:
	s_or_b64 exec, exec, s[6:7]
	s_and_saveexec_b64 s[6:7], s[4:5]
	s_cbranch_execz .LBB25_1092
.LBB25_1091:
	v_and_b32_e32 v10, 7, v16
	v_ffbh_u32_e32 v14, v10
	v_min_u32_e32 v14, 32, v14
	v_lshrrev_b16_e32 v11, 3, v16
	v_subrev_u32_e32 v15, 28, v14
	v_and_b32_e32 v11, 15, v11
	v_lshlrev_b32_e32 v15, v15, v16
	v_sub_u32_e32 v14, 29, v14
	v_and_b32_e32 v15, 7, v15
	v_cmp_eq_u16_e32 vcc, 0, v11
	v_cndmask_b32_e32 v10, v10, v15, vcc
	v_cndmask_b32_e32 v11, v11, v14, vcc
	v_lshlrev_b32_e32 v14, 24, v16
	v_mov_b32_e32 v15, 0x3b800000
	v_lshlrev_b32_e32 v10, 20, v10
	v_and_b32_e32 v14, 0x80000000, v14
	v_lshl_add_u32 v11, v11, 23, v15
	v_or3_b32 v10, v14, v11, v10
.LBB25_1092:
	s_or_b64 exec, exec, s[6:7]
	s_movk_i32 s4, 0x7f
	v_cmp_gt_i16_sdwa s[6:7], v12, s4 src0_sel:BYTE_0 src1_sel:DWORD
	s_mov_b64 s[4:5], 0
                                        ; implicit-def: $sgpr10
	s_and_saveexec_b64 s[8:9], s[6:7]
	s_xor_b64 s[6:7], exec, s[8:9]
	s_cbranch_execnz .LBB25_3141
; %bb.1093:
	s_or_saveexec_b64 s[6:7], s[6:7]
	v_mov_b32_e32 v11, s10
	s_xor_b64 exec, exec, s[6:7]
	s_cbranch_execnz .LBB25_3144
.LBB25_1094:
	s_or_b64 exec, exec, s[6:7]
	s_and_saveexec_b64 s[6:7], s[4:5]
	s_cbranch_execz .LBB25_1096
.LBB25_1095:
	v_and_b32_e32 v11, 7, v12
	v_ffbh_u32_e32 v15, v11
	v_min_u32_e32 v15, 32, v15
	v_lshrrev_b16_e32 v14, 3, v12
	v_subrev_u32_e32 v20, 28, v15
	v_and_b32_e32 v14, 15, v14
	v_lshlrev_b32_e32 v20, v20, v12
	v_sub_u32_e32 v15, 29, v15
	v_and_b32_e32 v20, 7, v20
	v_cmp_eq_u16_e32 vcc, 0, v14
	v_cndmask_b32_e32 v11, v11, v20, vcc
	v_cndmask_b32_e32 v14, v14, v15, vcc
	v_lshlrev_b32_e32 v15, 24, v12
	v_mov_b32_e32 v20, 0x3b800000
	v_lshlrev_b32_e32 v11, 20, v11
	v_and_b32_e32 v15, 0x80000000, v15
	v_lshl_add_u32 v14, v14, 23, v20
	v_or3_b32 v11, v15, v14, v11
.LBB25_1096:
	s_or_b64 exec, exec, s[6:7]
	s_nop 0
	v_mfma_f32_16x16x4f32 a[0:3], v10, v11, a[0:3]
	v_lshrrev_b32_e32 v11, 8, v16
	s_movk_i32 s4, 0x7f
	v_cmp_gt_i16_sdwa s[6:7], v11, s4 src0_sel:BYTE_0 src1_sel:DWORD
	s_mov_b64 s[4:5], 0
                                        ; implicit-def: $sgpr10
	s_and_saveexec_b64 s[8:9], s[6:7]
	s_xor_b64 s[6:7], exec, s[8:9]
	s_cbranch_execnz .LBB25_3145
; %bb.1097:
	s_or_saveexec_b64 s[6:7], s[6:7]
	v_mov_b32_e32 v10, s10
	s_xor_b64 exec, exec, s[6:7]
	s_cbranch_execnz .LBB25_3148
.LBB25_1098:
	s_or_b64 exec, exec, s[6:7]
	s_and_saveexec_b64 s[6:7], s[4:5]
	s_cbranch_execz .LBB25_1100
.LBB25_1099:
	v_bfe_u32 v10, v16, 8, 3
	v_ffbh_u32_e32 v15, v10
	v_min_u32_e32 v15, 32, v15
	v_lshrrev_b16_e32 v14, 3, v11
	v_subrev_u32_e32 v20, 28, v15
	v_and_b32_e32 v14, 15, v14
	v_lshlrev_b32_e32 v11, v20, v11
	v_sub_u32_e32 v15, 29, v15
	v_and_b32_e32 v11, 7, v11
	v_cmp_eq_u16_e32 vcc, 0, v14
	v_cndmask_b32_e32 v10, v10, v11, vcc
	v_cndmask_b32_e32 v11, v14, v15, vcc
	v_lshlrev_b32_e32 v14, 16, v16
	v_mov_b32_e32 v15, 0x3b800000
	v_lshlrev_b32_e32 v10, 20, v10
	v_and_b32_e32 v14, 0x80000000, v14
	v_lshl_add_u32 v11, v11, 23, v15
	v_or3_b32 v10, v14, v11, v10
.LBB25_1100:
	s_or_b64 exec, exec, s[6:7]
	v_lshrrev_b32_e32 v11, 8, v12
	s_movk_i32 s4, 0x7f
	v_cmp_gt_i16_sdwa s[6:7], v11, s4 src0_sel:BYTE_0 src1_sel:DWORD
	s_mov_b64 s[4:5], 0
                                        ; implicit-def: $sgpr10
	s_and_saveexec_b64 s[8:9], s[6:7]
	s_xor_b64 s[6:7], exec, s[8:9]
	s_cbranch_execnz .LBB25_3149
; %bb.1101:
	s_or_saveexec_b64 s[6:7], s[6:7]
	v_mov_b32_e32 v14, s10
	s_xor_b64 exec, exec, s[6:7]
	s_cbranch_execnz .LBB25_3152
.LBB25_1102:
	s_or_b64 exec, exec, s[6:7]
	s_and_saveexec_b64 s[6:7], s[4:5]
	s_cbranch_execz .LBB25_1104
.LBB25_1103:
	v_bfe_u32 v14, v12, 8, 3
	v_ffbh_u32_e32 v20, v14
	v_min_u32_e32 v20, 32, v20
	v_lshrrev_b16_e32 v15, 3, v11
	v_subrev_u32_e32 v21, 28, v20
	v_and_b32_e32 v15, 15, v15
	v_lshlrev_b32_e32 v11, v21, v11
	v_sub_u32_e32 v20, 29, v20
	v_and_b32_e32 v11, 7, v11
	v_cmp_eq_u16_e32 vcc, 0, v15
	v_cndmask_b32_e32 v11, v14, v11, vcc
	v_cndmask_b32_e32 v14, v15, v20, vcc
	v_lshlrev_b32_e32 v15, 16, v12
	v_mov_b32_e32 v20, 0x3b800000
	v_lshlrev_b32_e32 v11, 20, v11
	v_and_b32_e32 v15, 0x80000000, v15
	v_lshl_add_u32 v14, v14, 23, v20
	v_or3_b32 v14, v15, v14, v11
.LBB25_1104:
	s_or_b64 exec, exec, s[6:7]
	s_nop 0
	v_mfma_f32_16x16x4f32 a[0:3], v10, v14, a[0:3]
	s_movk_i32 s4, 0xff
	v_and_b32_sdwa v11, v16, s4 dst_sel:DWORD dst_unused:UNUSED_PAD src0_sel:WORD_1 src1_sel:DWORD
	s_movk_i32 s4, 0x7f
	v_cmp_lt_i16_e32 vcc, s4, v11
	s_mov_b64 s[4:5], 0
                                        ; implicit-def: $sgpr10
	s_and_saveexec_b64 s[6:7], vcc
	s_xor_b64 s[6:7], exec, s[6:7]
	s_cbranch_execnz .LBB25_3153
; %bb.1105:
	s_or_saveexec_b64 s[6:7], s[6:7]
	v_mov_b32_e32 v10, s10
	s_xor_b64 exec, exec, s[6:7]
	s_cbranch_execnz .LBB25_3156
.LBB25_1106:
	s_or_b64 exec, exec, s[6:7]
	s_and_saveexec_b64 s[6:7], s[4:5]
	s_cbranch_execz .LBB25_1108
.LBB25_1107:
	v_bfe_u32 v10, v16, 16, 3
	v_ffbh_u32_e32 v15, v10
	v_min_u32_e32 v15, 32, v15
	v_lshrrev_b32_e32 v11, 19, v16
	v_subrev_u32_e32 v20, 28, v15
	v_and_b32_e32 v11, 15, v11
	v_lshlrev_b32_sdwa v20, v20, v16 dst_sel:DWORD dst_unused:UNUSED_PAD src0_sel:DWORD src1_sel:WORD_1
	v_bfe_u32 v14, v16, 19, 4
	v_sub_u32_e32 v15, 29, v15
	v_and_b32_e32 v20, 7, v20
	v_cmp_eq_u16_e32 vcc, 0, v11
	v_cndmask_b32_e32 v10, v10, v20, vcc
	v_cndmask_b32_e32 v11, v14, v15, vcc
	v_lshlrev_b32_e32 v14, 8, v16
	v_mov_b32_e32 v15, 0x3b800000
	v_lshlrev_b32_e32 v10, 20, v10
	v_and_b32_e32 v14, 0x80000000, v14
	v_lshl_add_u32 v11, v11, 23, v15
	v_or3_b32 v10, v14, v11, v10
.LBB25_1108:
	s_or_b64 exec, exec, s[6:7]
	s_movk_i32 s4, 0xff
	v_and_b32_sdwa v11, v12, s4 dst_sel:DWORD dst_unused:UNUSED_PAD src0_sel:WORD_1 src1_sel:DWORD
	s_movk_i32 s4, 0x7f
	v_cmp_lt_i16_e32 vcc, s4, v11
	s_mov_b64 s[4:5], 0
                                        ; implicit-def: $sgpr10
	s_and_saveexec_b64 s[6:7], vcc
	s_xor_b64 s[6:7], exec, s[6:7]
	s_cbranch_execnz .LBB25_3157
; %bb.1109:
	s_or_saveexec_b64 s[6:7], s[6:7]
	v_mov_b32_e32 v14, s10
	s_xor_b64 exec, exec, s[6:7]
	s_cbranch_execnz .LBB25_3160
.LBB25_1110:
	s_or_b64 exec, exec, s[6:7]
	s_and_saveexec_b64 s[6:7], s[4:5]
	s_cbranch_execz .LBB25_1112
.LBB25_1111:
	v_bfe_u32 v11, v12, 16, 3
	v_ffbh_u32_e32 v20, v11
	v_min_u32_e32 v20, 32, v20
	v_lshrrev_b32_e32 v14, 19, v12
	v_subrev_u32_e32 v21, 28, v20
	v_and_b32_e32 v14, 15, v14
	v_lshlrev_b32_sdwa v21, v21, v12 dst_sel:DWORD dst_unused:UNUSED_PAD src0_sel:DWORD src1_sel:WORD_1
	v_bfe_u32 v15, v12, 19, 4
	v_sub_u32_e32 v20, 29, v20
	v_and_b32_e32 v21, 7, v21
	v_cmp_eq_u16_e32 vcc, 0, v14
	v_cndmask_b32_e32 v11, v11, v21, vcc
	v_cndmask_b32_e32 v14, v15, v20, vcc
	v_lshlrev_b32_e32 v15, 8, v12
	v_mov_b32_e32 v20, 0x3b800000
	v_lshlrev_b32_e32 v11, 20, v11
	v_and_b32_e32 v15, 0x80000000, v15
	v_lshl_add_u32 v14, v14, 23, v20
	v_or3_b32 v14, v15, v14, v11
.LBB25_1112:
	s_or_b64 exec, exec, s[6:7]
	s_nop 0
	v_mfma_f32_16x16x4f32 a[0:3], v10, v14, a[0:3]
	s_movk_i32 s4, 0x7f
	v_cmp_gt_i16_sdwa s[6:7], v16, s4 src0_sel:BYTE_3 src1_sel:DWORD
	s_mov_b64 s[4:5], 0
                                        ; implicit-def: $sgpr10
	s_and_saveexec_b64 s[8:9], s[6:7]
	s_xor_b64 s[6:7], exec, s[8:9]
	s_cbranch_execnz .LBB25_3161
; %bb.1113:
	s_or_saveexec_b64 s[6:7], s[6:7]
	v_mov_b32_e32 v10, s10
	s_xor_b64 exec, exec, s[6:7]
	s_cbranch_execnz .LBB25_3164
.LBB25_1114:
	s_or_b64 exec, exec, s[6:7]
	s_and_saveexec_b64 s[6:7], s[4:5]
	s_cbranch_execz .LBB25_1116
.LBB25_1115:
	v_bfe_u32 v10, v16, 24, 3
	v_ffbh_u32_e32 v20, v10
	v_min_u32_e32 v20, 32, v20
	v_lshrrev_b32_e32 v14, 27, v16
	v_subrev_u32_e32 v21, 28, v20
	v_and_b32_e32 v11, 0x80000000, v16
	v_and_b32_e32 v14, 15, v14
	v_bfe_u32 v15, v16, 27, 4
	v_lshlrev_b32_sdwa v16, v21, v16 dst_sel:DWORD dst_unused:UNUSED_PAD src0_sel:DWORD src1_sel:BYTE_3
	v_sub_u32_e32 v20, 29, v20
	v_and_b32_e32 v16, 7, v16
	v_cmp_eq_u16_e32 vcc, 0, v14
	v_cndmask_b32_e32 v10, v10, v16, vcc
	v_cndmask_b32_e32 v14, v15, v20, vcc
	v_mov_b32_e32 v15, 0x3b800000
	v_lshlrev_b32_e32 v10, 20, v10
	v_lshl_add_u32 v14, v14, 23, v15
	v_or3_b32 v10, v11, v14, v10
.LBB25_1116:
	s_or_b64 exec, exec, s[6:7]
	s_movk_i32 s4, 0x7f
	v_cmp_gt_i16_sdwa s[6:7], v12, s4 src0_sel:BYTE_3 src1_sel:DWORD
	s_mov_b64 s[4:5], 0
                                        ; implicit-def: $sgpr10
	s_and_saveexec_b64 s[8:9], s[6:7]
	s_xor_b64 s[6:7], exec, s[8:9]
	s_cbranch_execnz .LBB25_3165
; %bb.1117:
	s_or_saveexec_b64 s[6:7], s[6:7]
	v_mov_b32_e32 v11, s10
	s_xor_b64 exec, exec, s[6:7]
	s_cbranch_execnz .LBB25_3168
.LBB25_1118:
	s_or_b64 exec, exec, s[6:7]
	s_and_saveexec_b64 s[6:7], s[4:5]
	s_cbranch_execz .LBB25_1120
.LBB25_1119:
	v_bfe_u32 v11, v12, 24, 3
	v_ffbh_u32_e32 v20, v11
	v_min_u32_e32 v20, 32, v20
	v_lshrrev_b32_e32 v15, 27, v12
	v_subrev_u32_e32 v21, 28, v20
	v_and_b32_e32 v14, 0x80000000, v12
	v_and_b32_e32 v15, 15, v15
	v_bfe_u32 v16, v12, 27, 4
	v_lshlrev_b32_sdwa v12, v21, v12 dst_sel:DWORD dst_unused:UNUSED_PAD src0_sel:DWORD src1_sel:BYTE_3
	v_sub_u32_e32 v20, 29, v20
	v_and_b32_e32 v12, 7, v12
	v_cmp_eq_u16_e32 vcc, 0, v15
	v_cndmask_b32_e32 v11, v11, v12, vcc
	v_cndmask_b32_e32 v12, v16, v20, vcc
	v_mov_b32_e32 v15, 0x3b800000
	v_lshlrev_b32_e32 v11, 20, v11
	v_lshl_add_u32 v12, v12, 23, v15
	v_or3_b32 v11, v14, v12, v11
.LBB25_1120:
	s_or_b64 exec, exec, s[6:7]
	s_nop 0
	v_mfma_f32_16x16x4f32 a[0:3], v10, v11, a[0:3]
	s_movk_i32 s4, 0x7f
	v_cmp_gt_i16_sdwa s[6:7], v17, s4 src0_sel:BYTE_0 src1_sel:DWORD
	s_mov_b64 s[4:5], 0
                                        ; implicit-def: $sgpr10
	s_and_saveexec_b64 s[8:9], s[6:7]
	s_xor_b64 s[6:7], exec, s[8:9]
	s_cbranch_execnz .LBB25_3169
; %bb.1121:
	s_or_saveexec_b64 s[6:7], s[6:7]
	v_mov_b32_e32 v10, s10
	s_xor_b64 exec, exec, s[6:7]
	s_cbranch_execnz .LBB25_3172
.LBB25_1122:
	s_or_b64 exec, exec, s[6:7]
	s_and_saveexec_b64 s[6:7], s[4:5]
	s_cbranch_execz .LBB25_1124
.LBB25_1123:
	v_and_b32_e32 v10, 7, v17
	v_ffbh_u32_e32 v12, v10
	v_min_u32_e32 v12, 32, v12
	v_lshrrev_b16_e32 v11, 3, v17
	v_subrev_u32_e32 v14, 28, v12
	v_and_b32_e32 v11, 15, v11
	v_lshlrev_b32_e32 v14, v14, v17
	v_sub_u32_e32 v12, 29, v12
	v_and_b32_e32 v14, 7, v14
	v_cmp_eq_u16_e32 vcc, 0, v11
	v_cndmask_b32_e32 v10, v10, v14, vcc
	v_cndmask_b32_e32 v11, v11, v12, vcc
	v_lshlrev_b32_e32 v12, 24, v17
	v_mov_b32_e32 v14, 0x3b800000
	v_lshlrev_b32_e32 v10, 20, v10
	v_and_b32_e32 v12, 0x80000000, v12
	v_lshl_add_u32 v11, v11, 23, v14
	v_or3_b32 v10, v12, v11, v10
.LBB25_1124:
	s_or_b64 exec, exec, s[6:7]
	s_movk_i32 s4, 0x7f
	v_cmp_gt_i16_sdwa s[6:7], v13, s4 src0_sel:BYTE_0 src1_sel:DWORD
	s_mov_b64 s[4:5], 0
                                        ; implicit-def: $sgpr10
	s_and_saveexec_b64 s[8:9], s[6:7]
	s_xor_b64 s[6:7], exec, s[8:9]
	s_cbranch_execnz .LBB25_3173
; %bb.1125:
	s_or_saveexec_b64 s[6:7], s[6:7]
	v_mov_b32_e32 v11, s10
	s_xor_b64 exec, exec, s[6:7]
	s_cbranch_execnz .LBB25_3176
.LBB25_1126:
	s_or_b64 exec, exec, s[6:7]
	s_and_saveexec_b64 s[6:7], s[4:5]
	s_cbranch_execz .LBB25_1128
.LBB25_1127:
	v_and_b32_e32 v11, 7, v13
	v_ffbh_u32_e32 v14, v11
	v_min_u32_e32 v14, 32, v14
	v_lshrrev_b16_e32 v12, 3, v13
	v_subrev_u32_e32 v15, 28, v14
	v_and_b32_e32 v12, 15, v12
	v_lshlrev_b32_e32 v15, v15, v13
	v_sub_u32_e32 v14, 29, v14
	v_and_b32_e32 v15, 7, v15
	v_cmp_eq_u16_e32 vcc, 0, v12
	v_cndmask_b32_e32 v11, v11, v15, vcc
	v_cndmask_b32_e32 v12, v12, v14, vcc
	v_lshlrev_b32_e32 v14, 24, v13
	v_mov_b32_e32 v15, 0x3b800000
	v_lshlrev_b32_e32 v11, 20, v11
	v_and_b32_e32 v14, 0x80000000, v14
	v_lshl_add_u32 v12, v12, 23, v15
	v_or3_b32 v11, v14, v12, v11
.LBB25_1128:
	s_or_b64 exec, exec, s[6:7]
	s_nop 0
	v_mfma_f32_16x16x4f32 a[0:3], v10, v11, a[0:3]
	v_lshrrev_b32_e32 v11, 8, v17
	s_movk_i32 s4, 0x7f
	v_cmp_gt_i16_sdwa s[6:7], v11, s4 src0_sel:BYTE_0 src1_sel:DWORD
	s_mov_b64 s[4:5], 0
                                        ; implicit-def: $sgpr10
	s_and_saveexec_b64 s[8:9], s[6:7]
	s_xor_b64 s[6:7], exec, s[8:9]
	s_cbranch_execnz .LBB25_3177
; %bb.1129:
	s_or_saveexec_b64 s[6:7], s[6:7]
	v_mov_b32_e32 v10, s10
	s_xor_b64 exec, exec, s[6:7]
	s_cbranch_execnz .LBB25_3180
.LBB25_1130:
	s_or_b64 exec, exec, s[6:7]
	s_and_saveexec_b64 s[6:7], s[4:5]
	s_cbranch_execz .LBB25_1132
.LBB25_1131:
	v_bfe_u32 v10, v17, 8, 3
	v_ffbh_u32_e32 v14, v10
	v_min_u32_e32 v14, 32, v14
	v_lshrrev_b16_e32 v12, 3, v11
	v_subrev_u32_e32 v15, 28, v14
	v_and_b32_e32 v12, 15, v12
	v_lshlrev_b32_e32 v11, v15, v11
	v_sub_u32_e32 v14, 29, v14
	v_and_b32_e32 v11, 7, v11
	v_cmp_eq_u16_e32 vcc, 0, v12
	v_cndmask_b32_e32 v10, v10, v11, vcc
	v_cndmask_b32_e32 v11, v12, v14, vcc
	v_lshlrev_b32_e32 v12, 16, v17
	v_mov_b32_e32 v14, 0x3b800000
	v_lshlrev_b32_e32 v10, 20, v10
	v_and_b32_e32 v12, 0x80000000, v12
	v_lshl_add_u32 v11, v11, 23, v14
	v_or3_b32 v10, v12, v11, v10
.LBB25_1132:
	s_or_b64 exec, exec, s[6:7]
	v_lshrrev_b32_e32 v11, 8, v13
	s_movk_i32 s4, 0x7f
	v_cmp_gt_i16_sdwa s[6:7], v11, s4 src0_sel:BYTE_0 src1_sel:DWORD
	s_mov_b64 s[4:5], 0
                                        ; implicit-def: $sgpr10
	s_and_saveexec_b64 s[8:9], s[6:7]
	s_xor_b64 s[6:7], exec, s[8:9]
	s_cbranch_execnz .LBB25_3181
; %bb.1133:
	s_or_saveexec_b64 s[6:7], s[6:7]
	v_mov_b32_e32 v12, s10
	s_xor_b64 exec, exec, s[6:7]
	s_cbranch_execnz .LBB25_3184
.LBB25_1134:
	s_or_b64 exec, exec, s[6:7]
	s_and_saveexec_b64 s[6:7], s[4:5]
	s_cbranch_execz .LBB25_1136
.LBB25_1135:
	v_bfe_u32 v12, v13, 8, 3
	v_ffbh_u32_e32 v15, v12
	v_min_u32_e32 v15, 32, v15
	v_lshrrev_b16_e32 v14, 3, v11
	v_subrev_u32_e32 v16, 28, v15
	v_and_b32_e32 v14, 15, v14
	v_lshlrev_b32_e32 v11, v16, v11
	v_sub_u32_e32 v15, 29, v15
	v_and_b32_e32 v11, 7, v11
	v_cmp_eq_u16_e32 vcc, 0, v14
	v_cndmask_b32_e32 v11, v12, v11, vcc
	v_cndmask_b32_e32 v12, v14, v15, vcc
	v_lshlrev_b32_e32 v14, 16, v13
	v_mov_b32_e32 v15, 0x3b800000
	v_lshlrev_b32_e32 v11, 20, v11
	v_and_b32_e32 v14, 0x80000000, v14
	v_lshl_add_u32 v12, v12, 23, v15
	v_or3_b32 v12, v14, v12, v11
.LBB25_1136:
	s_or_b64 exec, exec, s[6:7]
	s_nop 0
	v_mfma_f32_16x16x4f32 a[0:3], v10, v12, a[0:3]
	s_movk_i32 s4, 0xff
	v_and_b32_sdwa v11, v17, s4 dst_sel:DWORD dst_unused:UNUSED_PAD src0_sel:WORD_1 src1_sel:DWORD
	s_movk_i32 s4, 0x7f
	v_cmp_lt_i16_e32 vcc, s4, v11
	s_mov_b64 s[4:5], 0
                                        ; implicit-def: $sgpr10
	s_and_saveexec_b64 s[6:7], vcc
	s_xor_b64 s[6:7], exec, s[6:7]
	s_cbranch_execnz .LBB25_3185
; %bb.1137:
	s_or_saveexec_b64 s[6:7], s[6:7]
	v_mov_b32_e32 v10, s10
	s_xor_b64 exec, exec, s[6:7]
	s_cbranch_execnz .LBB25_3188
.LBB25_1138:
	s_or_b64 exec, exec, s[6:7]
	s_and_saveexec_b64 s[6:7], s[4:5]
	s_cbranch_execz .LBB25_1140
.LBB25_1139:
	v_bfe_u32 v10, v17, 16, 3
	v_ffbh_u32_e32 v14, v10
	v_min_u32_e32 v14, 32, v14
	v_lshrrev_b32_e32 v11, 19, v17
	v_subrev_u32_e32 v15, 28, v14
	v_and_b32_e32 v11, 15, v11
	v_lshlrev_b32_sdwa v15, v15, v17 dst_sel:DWORD dst_unused:UNUSED_PAD src0_sel:DWORD src1_sel:WORD_1
	v_bfe_u32 v12, v17, 19, 4
	v_sub_u32_e32 v14, 29, v14
	v_and_b32_e32 v15, 7, v15
	v_cmp_eq_u16_e32 vcc, 0, v11
	v_cndmask_b32_e32 v10, v10, v15, vcc
	v_cndmask_b32_e32 v11, v12, v14, vcc
	v_lshlrev_b32_e32 v12, 8, v17
	v_mov_b32_e32 v14, 0x3b800000
	v_lshlrev_b32_e32 v10, 20, v10
	v_and_b32_e32 v12, 0x80000000, v12
	v_lshl_add_u32 v11, v11, 23, v14
	v_or3_b32 v10, v12, v11, v10
.LBB25_1140:
	s_or_b64 exec, exec, s[6:7]
	s_movk_i32 s4, 0xff
	v_and_b32_sdwa v11, v13, s4 dst_sel:DWORD dst_unused:UNUSED_PAD src0_sel:WORD_1 src1_sel:DWORD
	s_movk_i32 s4, 0x7f
	v_cmp_lt_i16_e32 vcc, s4, v11
	s_mov_b64 s[4:5], 0
                                        ; implicit-def: $sgpr10
	s_and_saveexec_b64 s[6:7], vcc
	s_xor_b64 s[6:7], exec, s[6:7]
	s_cbranch_execnz .LBB25_3189
; %bb.1141:
	s_or_saveexec_b64 s[6:7], s[6:7]
	v_mov_b32_e32 v12, s10
	s_xor_b64 exec, exec, s[6:7]
	s_cbranch_execnz .LBB25_3192
.LBB25_1142:
	s_or_b64 exec, exec, s[6:7]
	s_and_saveexec_b64 s[6:7], s[4:5]
	s_cbranch_execz .LBB25_1144
.LBB25_1143:
	v_bfe_u32 v11, v13, 16, 3
	v_ffbh_u32_e32 v15, v11
	v_min_u32_e32 v15, 32, v15
	v_lshrrev_b32_e32 v12, 19, v13
	v_subrev_u32_e32 v16, 28, v15
	v_and_b32_e32 v12, 15, v12
	v_lshlrev_b32_sdwa v16, v16, v13 dst_sel:DWORD dst_unused:UNUSED_PAD src0_sel:DWORD src1_sel:WORD_1
	v_bfe_u32 v14, v13, 19, 4
	v_sub_u32_e32 v15, 29, v15
	v_and_b32_e32 v16, 7, v16
	v_cmp_eq_u16_e32 vcc, 0, v12
	v_cndmask_b32_e32 v11, v11, v16, vcc
	v_cndmask_b32_e32 v12, v14, v15, vcc
	v_lshlrev_b32_e32 v14, 8, v13
	v_mov_b32_e32 v15, 0x3b800000
	v_lshlrev_b32_e32 v11, 20, v11
	v_and_b32_e32 v14, 0x80000000, v14
	v_lshl_add_u32 v12, v12, 23, v15
	v_or3_b32 v12, v14, v12, v11
.LBB25_1144:
	s_or_b64 exec, exec, s[6:7]
	s_nop 0
	v_mfma_f32_16x16x4f32 a[0:3], v10, v12, a[0:3]
	s_movk_i32 s4, 0x7f
	v_cmp_gt_i16_sdwa s[6:7], v17, s4 src0_sel:BYTE_3 src1_sel:DWORD
	s_mov_b64 s[4:5], 0
                                        ; implicit-def: $sgpr10
	s_and_saveexec_b64 s[8:9], s[6:7]
	s_xor_b64 s[6:7], exec, s[8:9]
	s_cbranch_execnz .LBB25_3193
; %bb.1145:
	s_or_saveexec_b64 s[6:7], s[6:7]
	v_mov_b32_e32 v10, s10
	s_xor_b64 exec, exec, s[6:7]
	s_cbranch_execnz .LBB25_3196
.LBB25_1146:
	s_or_b64 exec, exec, s[6:7]
	s_and_saveexec_b64 s[6:7], s[4:5]
	s_cbranch_execz .LBB25_1148
.LBB25_1147:
	v_bfe_u32 v10, v17, 24, 3
	v_ffbh_u32_e32 v15, v10
	v_min_u32_e32 v15, 32, v15
	v_lshrrev_b32_e32 v12, 27, v17
	v_subrev_u32_e32 v16, 28, v15
	v_and_b32_e32 v12, 15, v12
	v_lshlrev_b32_sdwa v16, v16, v17 dst_sel:DWORD dst_unused:UNUSED_PAD src0_sel:DWORD src1_sel:BYTE_3
	v_bfe_u32 v14, v17, 27, 4
	v_sub_u32_e32 v15, 29, v15
	v_and_b32_e32 v16, 7, v16
	v_cmp_eq_u16_e32 vcc, 0, v12
	v_cndmask_b32_e32 v10, v10, v16, vcc
	v_cndmask_b32_e32 v12, v14, v15, vcc
	v_mov_b32_e32 v14, 0x3b800000
	v_and_b32_e32 v11, 0x80000000, v17
	v_lshlrev_b32_e32 v10, 20, v10
	v_lshl_add_u32 v12, v12, 23, v14
	v_or3_b32 v10, v11, v12, v10
.LBB25_1148:
	s_or_b64 exec, exec, s[6:7]
	s_movk_i32 s4, 0x7f
	v_cmp_gt_i16_sdwa s[6:7], v13, s4 src0_sel:BYTE_3 src1_sel:DWORD
	s_mov_b64 s[4:5], 0
                                        ; implicit-def: $sgpr10
	s_and_saveexec_b64 s[8:9], s[6:7]
	s_xor_b64 s[6:7], exec, s[8:9]
	s_cbranch_execnz .LBB25_3197
; %bb.1149:
	s_or_saveexec_b64 s[6:7], s[6:7]
	v_mov_b32_e32 v11, s10
	s_xor_b64 exec, exec, s[6:7]
	s_cbranch_execnz .LBB25_3200
.LBB25_1150:
	s_or_b64 exec, exec, s[6:7]
	s_and_saveexec_b64 s[6:7], s[4:5]
	s_cbranch_execz .LBB25_1152
.LBB25_1151:
	v_bfe_u32 v11, v13, 24, 3
	v_ffbh_u32_e32 v16, v11
	v_min_u32_e32 v16, 32, v16
	v_lshrrev_b32_e32 v14, 27, v13
	v_subrev_u32_e32 v17, 28, v16
	v_and_b32_e32 v12, 0x80000000, v13
	v_and_b32_e32 v14, 15, v14
	v_bfe_u32 v15, v13, 27, 4
	v_lshlrev_b32_sdwa v13, v17, v13 dst_sel:DWORD dst_unused:UNUSED_PAD src0_sel:DWORD src1_sel:BYTE_3
	v_sub_u32_e32 v16, 29, v16
	v_and_b32_e32 v13, 7, v13
	v_cmp_eq_u16_e32 vcc, 0, v14
	v_cndmask_b32_e32 v11, v11, v13, vcc
	v_cndmask_b32_e32 v13, v15, v16, vcc
	v_mov_b32_e32 v14, 0x3b800000
	v_lshlrev_b32_e32 v11, 20, v11
	v_lshl_add_u32 v13, v13, 23, v14
	v_or3_b32 v11, v12, v13, v11
.LBB25_1152:
	s_or_b64 exec, exec, s[6:7]
	s_nop 0
	v_mfma_f32_16x16x4f32 a[0:3], v10, v11, a[0:3]
	s_movk_i32 s4, 0x7f
	v_cmp_gt_i16_sdwa s[6:7], v6, s4 src0_sel:BYTE_0 src1_sel:DWORD
	s_mov_b64 s[4:5], 0
                                        ; implicit-def: $sgpr10
	s_and_saveexec_b64 s[8:9], s[6:7]
	s_xor_b64 s[6:7], exec, s[8:9]
	s_cbranch_execnz .LBB25_3201
; %bb.1153:
	s_or_saveexec_b64 s[6:7], s[6:7]
	v_mov_b32_e32 v10, s10
	s_xor_b64 exec, exec, s[6:7]
	s_cbranch_execnz .LBB25_3204
.LBB25_1154:
	s_or_b64 exec, exec, s[6:7]
	s_and_saveexec_b64 s[6:7], s[4:5]
	s_cbranch_execz .LBB25_1156
.LBB25_1155:
	v_and_b32_e32 v10, 7, v6
	v_ffbh_u32_e32 v12, v10
	v_min_u32_e32 v12, 32, v12
	v_lshrrev_b16_e32 v11, 3, v6
	v_subrev_u32_e32 v13, 28, v12
	v_and_b32_e32 v11, 15, v11
	v_lshlrev_b32_e32 v13, v13, v6
	v_sub_u32_e32 v12, 29, v12
	v_and_b32_e32 v13, 7, v13
	v_cmp_eq_u16_e32 vcc, 0, v11
	v_cndmask_b32_e32 v10, v10, v13, vcc
	v_cndmask_b32_e32 v11, v11, v12, vcc
	v_lshlrev_b32_e32 v12, 24, v6
	v_mov_b32_e32 v13, 0x3b800000
	v_lshlrev_b32_e32 v10, 20, v10
	v_and_b32_e32 v12, 0x80000000, v12
	v_lshl_add_u32 v11, v11, 23, v13
	v_or3_b32 v10, v12, v11, v10
.LBB25_1156:
	s_or_b64 exec, exec, s[6:7]
	s_movk_i32 s4, 0x7f
	v_cmp_gt_i16_sdwa s[6:7], v2, s4 src0_sel:BYTE_0 src1_sel:DWORD
	s_mov_b64 s[4:5], 0
                                        ; implicit-def: $sgpr10
	s_and_saveexec_b64 s[8:9], s[6:7]
	s_xor_b64 s[6:7], exec, s[8:9]
	s_cbranch_execnz .LBB25_3205
; %bb.1157:
	s_or_saveexec_b64 s[6:7], s[6:7]
	v_mov_b32_e32 v11, s10
	s_xor_b64 exec, exec, s[6:7]
	s_cbranch_execnz .LBB25_3208
.LBB25_1158:
	s_or_b64 exec, exec, s[6:7]
	s_and_saveexec_b64 s[6:7], s[4:5]
	s_cbranch_execz .LBB25_1160
.LBB25_1159:
	v_and_b32_e32 v11, 7, v2
	v_ffbh_u32_e32 v13, v11
	v_min_u32_e32 v13, 32, v13
	v_lshrrev_b16_e32 v12, 3, v2
	v_subrev_u32_e32 v14, 28, v13
	v_and_b32_e32 v12, 15, v12
	v_lshlrev_b32_e32 v14, v14, v2
	v_sub_u32_e32 v13, 29, v13
	v_and_b32_e32 v14, 7, v14
	v_cmp_eq_u16_e32 vcc, 0, v12
	v_cndmask_b32_e32 v11, v11, v14, vcc
	v_cndmask_b32_e32 v12, v12, v13, vcc
	v_lshlrev_b32_e32 v13, 24, v2
	v_mov_b32_e32 v14, 0x3b800000
	v_lshlrev_b32_e32 v11, 20, v11
	v_and_b32_e32 v13, 0x80000000, v13
	v_lshl_add_u32 v12, v12, 23, v14
	v_or3_b32 v11, v13, v12, v11
.LBB25_1160:
	s_or_b64 exec, exec, s[6:7]
	s_nop 0
	v_mfma_f32_16x16x4f32 a[0:3], v10, v11, a[0:3]
	v_lshrrev_b32_e32 v11, 8, v6
	s_movk_i32 s4, 0x7f
	v_cmp_gt_i16_sdwa s[6:7], v11, s4 src0_sel:BYTE_0 src1_sel:DWORD
	s_mov_b64 s[4:5], 0
                                        ; implicit-def: $sgpr10
	s_and_saveexec_b64 s[8:9], s[6:7]
	s_xor_b64 s[6:7], exec, s[8:9]
	s_cbranch_execnz .LBB25_3209
; %bb.1161:
	s_or_saveexec_b64 s[6:7], s[6:7]
	v_mov_b32_e32 v10, s10
	s_xor_b64 exec, exec, s[6:7]
	s_cbranch_execnz .LBB25_3212
.LBB25_1162:
	s_or_b64 exec, exec, s[6:7]
	s_and_saveexec_b64 s[6:7], s[4:5]
	s_cbranch_execz .LBB25_1164
.LBB25_1163:
	v_bfe_u32 v10, v6, 8, 3
	v_ffbh_u32_e32 v13, v10
	v_min_u32_e32 v13, 32, v13
	v_lshrrev_b16_e32 v12, 3, v11
	v_subrev_u32_e32 v14, 28, v13
	v_and_b32_e32 v12, 15, v12
	v_lshlrev_b32_e32 v11, v14, v11
	v_sub_u32_e32 v13, 29, v13
	v_and_b32_e32 v11, 7, v11
	v_cmp_eq_u16_e32 vcc, 0, v12
	v_cndmask_b32_e32 v10, v10, v11, vcc
	v_cndmask_b32_e32 v11, v12, v13, vcc
	v_lshlrev_b32_e32 v12, 16, v6
	v_mov_b32_e32 v13, 0x3b800000
	v_lshlrev_b32_e32 v10, 20, v10
	v_and_b32_e32 v12, 0x80000000, v12
	v_lshl_add_u32 v11, v11, 23, v13
	v_or3_b32 v10, v12, v11, v10
.LBB25_1164:
	s_or_b64 exec, exec, s[6:7]
	v_lshrrev_b32_e32 v11, 8, v2
	s_movk_i32 s4, 0x7f
	v_cmp_gt_i16_sdwa s[6:7], v11, s4 src0_sel:BYTE_0 src1_sel:DWORD
	s_mov_b64 s[4:5], 0
                                        ; implicit-def: $sgpr10
	s_and_saveexec_b64 s[8:9], s[6:7]
	s_xor_b64 s[6:7], exec, s[8:9]
	s_cbranch_execnz .LBB25_3213
; %bb.1165:
	s_or_saveexec_b64 s[6:7], s[6:7]
	v_mov_b32_e32 v12, s10
	s_xor_b64 exec, exec, s[6:7]
	s_cbranch_execnz .LBB25_3216
.LBB25_1166:
	s_or_b64 exec, exec, s[6:7]
	s_and_saveexec_b64 s[6:7], s[4:5]
	s_cbranch_execz .LBB25_1168
.LBB25_1167:
	v_bfe_u32 v12, v2, 8, 3
	v_ffbh_u32_e32 v14, v12
	v_min_u32_e32 v14, 32, v14
	v_lshrrev_b16_e32 v13, 3, v11
	v_subrev_u32_e32 v15, 28, v14
	v_and_b32_e32 v13, 15, v13
	v_lshlrev_b32_e32 v11, v15, v11
	v_sub_u32_e32 v14, 29, v14
	v_and_b32_e32 v11, 7, v11
	v_cmp_eq_u16_e32 vcc, 0, v13
	v_cndmask_b32_e32 v11, v12, v11, vcc
	v_cndmask_b32_e32 v12, v13, v14, vcc
	v_lshlrev_b32_e32 v13, 16, v2
	v_mov_b32_e32 v14, 0x3b800000
	v_lshlrev_b32_e32 v11, 20, v11
	v_and_b32_e32 v13, 0x80000000, v13
	v_lshl_add_u32 v12, v12, 23, v14
	v_or3_b32 v12, v13, v12, v11
.LBB25_1168:
	s_or_b64 exec, exec, s[6:7]
	s_nop 0
	v_mfma_f32_16x16x4f32 a[0:3], v10, v12, a[0:3]
	s_movk_i32 s4, 0xff
	v_and_b32_sdwa v11, v6, s4 dst_sel:DWORD dst_unused:UNUSED_PAD src0_sel:WORD_1 src1_sel:DWORD
	s_movk_i32 s4, 0x7f
	v_cmp_lt_i16_e32 vcc, s4, v11
	s_mov_b64 s[4:5], 0
                                        ; implicit-def: $sgpr10
	s_and_saveexec_b64 s[6:7], vcc
	s_xor_b64 s[6:7], exec, s[6:7]
	s_cbranch_execnz .LBB25_3217
; %bb.1169:
	s_or_saveexec_b64 s[6:7], s[6:7]
	v_mov_b32_e32 v10, s10
	s_xor_b64 exec, exec, s[6:7]
	s_cbranch_execnz .LBB25_3220
.LBB25_1170:
	s_or_b64 exec, exec, s[6:7]
	s_and_saveexec_b64 s[6:7], s[4:5]
	s_cbranch_execz .LBB25_1172
.LBB25_1171:
	v_bfe_u32 v10, v6, 16, 3
	v_ffbh_u32_e32 v13, v10
	v_min_u32_e32 v13, 32, v13
	v_lshrrev_b32_e32 v11, 19, v6
	v_subrev_u32_e32 v14, 28, v13
	v_and_b32_e32 v11, 15, v11
	v_lshlrev_b32_sdwa v14, v14, v6 dst_sel:DWORD dst_unused:UNUSED_PAD src0_sel:DWORD src1_sel:WORD_1
	v_bfe_u32 v12, v6, 19, 4
	v_sub_u32_e32 v13, 29, v13
	v_and_b32_e32 v14, 7, v14
	v_cmp_eq_u16_e32 vcc, 0, v11
	v_cndmask_b32_e32 v10, v10, v14, vcc
	v_cndmask_b32_e32 v11, v12, v13, vcc
	v_lshlrev_b32_e32 v12, 8, v6
	v_mov_b32_e32 v13, 0x3b800000
	v_lshlrev_b32_e32 v10, 20, v10
	v_and_b32_e32 v12, 0x80000000, v12
	v_lshl_add_u32 v11, v11, 23, v13
	v_or3_b32 v10, v12, v11, v10
.LBB25_1172:
	s_or_b64 exec, exec, s[6:7]
	s_movk_i32 s4, 0xff
	v_and_b32_sdwa v11, v2, s4 dst_sel:DWORD dst_unused:UNUSED_PAD src0_sel:WORD_1 src1_sel:DWORD
	s_movk_i32 s4, 0x7f
	v_cmp_lt_i16_e32 vcc, s4, v11
	s_mov_b64 s[4:5], 0
                                        ; implicit-def: $sgpr10
	s_and_saveexec_b64 s[6:7], vcc
	s_xor_b64 s[6:7], exec, s[6:7]
	s_cbranch_execnz .LBB25_3221
; %bb.1173:
	s_or_saveexec_b64 s[6:7], s[6:7]
	v_mov_b32_e32 v12, s10
	s_xor_b64 exec, exec, s[6:7]
	s_cbranch_execnz .LBB25_3224
.LBB25_1174:
	s_or_b64 exec, exec, s[6:7]
	s_and_saveexec_b64 s[6:7], s[4:5]
	s_cbranch_execz .LBB25_1176
.LBB25_1175:
	v_bfe_u32 v11, v2, 16, 3
	v_ffbh_u32_e32 v14, v11
	v_min_u32_e32 v14, 32, v14
	v_lshrrev_b32_e32 v12, 19, v2
	v_subrev_u32_e32 v15, 28, v14
	v_and_b32_e32 v12, 15, v12
	v_lshlrev_b32_sdwa v15, v15, v2 dst_sel:DWORD dst_unused:UNUSED_PAD src0_sel:DWORD src1_sel:WORD_1
	v_bfe_u32 v13, v2, 19, 4
	v_sub_u32_e32 v14, 29, v14
	v_and_b32_e32 v15, 7, v15
	v_cmp_eq_u16_e32 vcc, 0, v12
	v_cndmask_b32_e32 v11, v11, v15, vcc
	v_cndmask_b32_e32 v12, v13, v14, vcc
	v_lshlrev_b32_e32 v13, 8, v2
	v_mov_b32_e32 v14, 0x3b800000
	v_lshlrev_b32_e32 v11, 20, v11
	v_and_b32_e32 v13, 0x80000000, v13
	v_lshl_add_u32 v12, v12, 23, v14
	v_or3_b32 v12, v13, v12, v11
.LBB25_1176:
	s_or_b64 exec, exec, s[6:7]
	s_nop 0
	v_mfma_f32_16x16x4f32 a[0:3], v10, v12, a[0:3]
	s_movk_i32 s4, 0x7f
	v_cmp_gt_i16_sdwa s[6:7], v6, s4 src0_sel:BYTE_3 src1_sel:DWORD
	s_mov_b64 s[4:5], 0
                                        ; implicit-def: $sgpr10
	s_and_saveexec_b64 s[8:9], s[6:7]
	s_xor_b64 s[6:7], exec, s[8:9]
	s_cbranch_execnz .LBB25_3225
; %bb.1177:
	s_or_saveexec_b64 s[6:7], s[6:7]
	v_mov_b32_e32 v10, s10
	s_xor_b64 exec, exec, s[6:7]
	s_cbranch_execnz .LBB25_3228
.LBB25_1178:
	s_or_b64 exec, exec, s[6:7]
	s_and_saveexec_b64 s[6:7], s[4:5]
	s_cbranch_execz .LBB25_1180
.LBB25_1179:
	v_bfe_u32 v10, v6, 24, 3
	v_ffbh_u32_e32 v14, v10
	v_min_u32_e32 v14, 32, v14
	v_lshrrev_b32_e32 v12, 27, v6
	v_subrev_u32_e32 v15, 28, v14
	v_and_b32_e32 v11, 0x80000000, v6
	v_and_b32_e32 v12, 15, v12
	v_bfe_u32 v13, v6, 27, 4
	v_lshlrev_b32_sdwa v6, v15, v6 dst_sel:DWORD dst_unused:UNUSED_PAD src0_sel:DWORD src1_sel:BYTE_3
	v_sub_u32_e32 v14, 29, v14
	v_and_b32_e32 v6, 7, v6
	v_cmp_eq_u16_e32 vcc, 0, v12
	v_cndmask_b32_e32 v6, v10, v6, vcc
	v_cndmask_b32_e32 v10, v13, v14, vcc
	v_mov_b32_e32 v12, 0x3b800000
	v_lshlrev_b32_e32 v6, 20, v6
	v_lshl_add_u32 v10, v10, 23, v12
	v_or3_b32 v10, v11, v10, v6
.LBB25_1180:
	s_or_b64 exec, exec, s[6:7]
	s_movk_i32 s4, 0x7f
	v_cmp_gt_i16_sdwa s[6:7], v2, s4 src0_sel:BYTE_3 src1_sel:DWORD
	s_mov_b64 s[4:5], 0
                                        ; implicit-def: $sgpr10
	s_and_saveexec_b64 s[8:9], s[6:7]
	s_xor_b64 s[6:7], exec, s[8:9]
	s_cbranch_execnz .LBB25_3229
; %bb.1181:
	s_or_saveexec_b64 s[6:7], s[6:7]
	v_mov_b32_e32 v6, s10
	s_xor_b64 exec, exec, s[6:7]
	s_cbranch_execnz .LBB25_3232
.LBB25_1182:
	s_or_b64 exec, exec, s[6:7]
	s_and_saveexec_b64 s[6:7], s[4:5]
	s_cbranch_execz .LBB25_1184
.LBB25_1183:
	v_bfe_u32 v6, v2, 24, 3
	v_ffbh_u32_e32 v14, v6
	v_min_u32_e32 v14, 32, v14
	v_lshrrev_b32_e32 v12, 27, v2
	v_subrev_u32_e32 v15, 28, v14
	v_and_b32_e32 v11, 0x80000000, v2
	v_and_b32_e32 v12, 15, v12
	v_bfe_u32 v13, v2, 27, 4
	v_lshlrev_b32_sdwa v2, v15, v2 dst_sel:DWORD dst_unused:UNUSED_PAD src0_sel:DWORD src1_sel:BYTE_3
	v_sub_u32_e32 v14, 29, v14
	v_and_b32_e32 v2, 7, v2
	v_cmp_eq_u16_e32 vcc, 0, v12
	v_cndmask_b32_e32 v2, v6, v2, vcc
	v_cndmask_b32_e32 v6, v13, v14, vcc
	v_mov_b32_e32 v12, 0x3b800000
	v_lshlrev_b32_e32 v2, 20, v2
	v_lshl_add_u32 v6, v6, 23, v12
	v_or3_b32 v6, v11, v6, v2
.LBB25_1184:
	s_or_b64 exec, exec, s[6:7]
	s_nop 0
	v_mfma_f32_16x16x4f32 a[0:3], v10, v6, a[0:3]
	s_movk_i32 s4, 0x7f
	v_cmp_gt_i16_sdwa s[6:7], v7, s4 src0_sel:BYTE_0 src1_sel:DWORD
	s_mov_b64 s[4:5], 0
                                        ; implicit-def: $sgpr10
	s_and_saveexec_b64 s[8:9], s[6:7]
	s_xor_b64 s[6:7], exec, s[8:9]
	s_cbranch_execnz .LBB25_3233
; %bb.1185:
	s_or_saveexec_b64 s[6:7], s[6:7]
	v_mov_b32_e32 v2, s10
	s_xor_b64 exec, exec, s[6:7]
	s_cbranch_execnz .LBB25_3236
.LBB25_1186:
	s_or_b64 exec, exec, s[6:7]
	s_and_saveexec_b64 s[6:7], s[4:5]
	s_cbranch_execz .LBB25_1188
.LBB25_1187:
	v_and_b32_e32 v2, 7, v7
	v_ffbh_u32_e32 v10, v2
	v_min_u32_e32 v10, 32, v10
	v_lshrrev_b16_e32 v6, 3, v7
	v_subrev_u32_e32 v11, 28, v10
	v_and_b32_e32 v6, 15, v6
	v_lshlrev_b32_e32 v11, v11, v7
	v_sub_u32_e32 v10, 29, v10
	v_and_b32_e32 v11, 7, v11
	v_cmp_eq_u16_e32 vcc, 0, v6
	v_cndmask_b32_e32 v2, v2, v11, vcc
	v_cndmask_b32_e32 v6, v6, v10, vcc
	v_lshlrev_b32_e32 v10, 24, v7
	v_mov_b32_e32 v11, 0x3b800000
	v_lshlrev_b32_e32 v2, 20, v2
	v_and_b32_e32 v10, 0x80000000, v10
	v_lshl_add_u32 v6, v6, 23, v11
	v_or3_b32 v2, v10, v6, v2
.LBB25_1188:
	s_or_b64 exec, exec, s[6:7]
	s_movk_i32 s4, 0x7f
	v_cmp_gt_i16_sdwa s[6:7], v3, s4 src0_sel:BYTE_0 src1_sel:DWORD
	s_mov_b64 s[4:5], 0
                                        ; implicit-def: $sgpr10
	s_and_saveexec_b64 s[8:9], s[6:7]
	s_xor_b64 s[6:7], exec, s[8:9]
	s_cbranch_execnz .LBB25_3237
; %bb.1189:
	s_or_saveexec_b64 s[6:7], s[6:7]
	v_mov_b32_e32 v6, s10
	s_xor_b64 exec, exec, s[6:7]
	s_cbranch_execnz .LBB25_3240
.LBB25_1190:
	s_or_b64 exec, exec, s[6:7]
	s_and_saveexec_b64 s[6:7], s[4:5]
	s_cbranch_execz .LBB25_1192
.LBB25_1191:
	v_and_b32_e32 v6, 7, v3
	v_ffbh_u32_e32 v11, v6
	v_min_u32_e32 v11, 32, v11
	v_lshrrev_b16_e32 v10, 3, v3
	v_subrev_u32_e32 v12, 28, v11
	v_and_b32_e32 v10, 15, v10
	v_lshlrev_b32_e32 v12, v12, v3
	v_sub_u32_e32 v11, 29, v11
	v_and_b32_e32 v12, 7, v12
	v_cmp_eq_u16_e32 vcc, 0, v10
	v_cndmask_b32_e32 v6, v6, v12, vcc
	v_cndmask_b32_e32 v10, v10, v11, vcc
	v_lshlrev_b32_e32 v11, 24, v3
	v_mov_b32_e32 v12, 0x3b800000
	v_lshlrev_b32_e32 v6, 20, v6
	v_and_b32_e32 v11, 0x80000000, v11
	v_lshl_add_u32 v10, v10, 23, v12
	v_or3_b32 v6, v11, v10, v6
.LBB25_1192:
	s_or_b64 exec, exec, s[6:7]
	s_nop 0
	v_mfma_f32_16x16x4f32 a[0:3], v2, v6, a[0:3]
	v_lshrrev_b32_e32 v6, 8, v7
	s_movk_i32 s4, 0x7f
	v_cmp_gt_i16_sdwa s[6:7], v6, s4 src0_sel:BYTE_0 src1_sel:DWORD
	s_mov_b64 s[4:5], 0
                                        ; implicit-def: $sgpr10
	s_and_saveexec_b64 s[8:9], s[6:7]
	s_xor_b64 s[6:7], exec, s[8:9]
	s_cbranch_execnz .LBB25_3241
; %bb.1193:
	s_or_saveexec_b64 s[6:7], s[6:7]
	v_mov_b32_e32 v2, s10
	s_xor_b64 exec, exec, s[6:7]
	s_cbranch_execnz .LBB25_3244
.LBB25_1194:
	s_or_b64 exec, exec, s[6:7]
	s_and_saveexec_b64 s[6:7], s[4:5]
	s_cbranch_execz .LBB25_1196
.LBB25_1195:
	v_bfe_u32 v2, v7, 8, 3
	v_ffbh_u32_e32 v11, v2
	v_min_u32_e32 v11, 32, v11
	v_lshrrev_b16_e32 v10, 3, v6
	v_subrev_u32_e32 v12, 28, v11
	v_and_b32_e32 v10, 15, v10
	v_lshlrev_b32_e32 v6, v12, v6
	v_sub_u32_e32 v11, 29, v11
	v_and_b32_e32 v6, 7, v6
	v_cmp_eq_u16_e32 vcc, 0, v10
	v_cndmask_b32_e32 v2, v2, v6, vcc
	v_cndmask_b32_e32 v6, v10, v11, vcc
	v_lshlrev_b32_e32 v10, 16, v7
	v_mov_b32_e32 v11, 0x3b800000
	v_lshlrev_b32_e32 v2, 20, v2
	v_and_b32_e32 v10, 0x80000000, v10
	v_lshl_add_u32 v6, v6, 23, v11
	v_or3_b32 v2, v10, v6, v2
.LBB25_1196:
	s_or_b64 exec, exec, s[6:7]
	v_lshrrev_b32_e32 v6, 8, v3
	s_movk_i32 s4, 0x7f
	v_cmp_gt_i16_sdwa s[6:7], v6, s4 src0_sel:BYTE_0 src1_sel:DWORD
	s_mov_b64 s[4:5], 0
                                        ; implicit-def: $sgpr10
	s_and_saveexec_b64 s[8:9], s[6:7]
	s_xor_b64 s[6:7], exec, s[8:9]
	s_cbranch_execnz .LBB25_3245
; %bb.1197:
	s_or_saveexec_b64 s[6:7], s[6:7]
	v_mov_b32_e32 v10, s10
	s_xor_b64 exec, exec, s[6:7]
	s_cbranch_execnz .LBB25_3248
.LBB25_1198:
	s_or_b64 exec, exec, s[6:7]
	s_and_saveexec_b64 s[6:7], s[4:5]
	s_cbranch_execz .LBB25_1200
.LBB25_1199:
	v_bfe_u32 v10, v3, 8, 3
	v_ffbh_u32_e32 v12, v10
	v_min_u32_e32 v12, 32, v12
	v_lshrrev_b16_e32 v11, 3, v6
	v_subrev_u32_e32 v13, 28, v12
	v_and_b32_e32 v11, 15, v11
	v_lshlrev_b32_e32 v6, v13, v6
	v_sub_u32_e32 v12, 29, v12
	v_and_b32_e32 v6, 7, v6
	v_cmp_eq_u16_e32 vcc, 0, v11
	v_cndmask_b32_e32 v6, v10, v6, vcc
	v_cndmask_b32_e32 v10, v11, v12, vcc
	v_lshlrev_b32_e32 v11, 16, v3
	v_mov_b32_e32 v12, 0x3b800000
	v_lshlrev_b32_e32 v6, 20, v6
	v_and_b32_e32 v11, 0x80000000, v11
	v_lshl_add_u32 v10, v10, 23, v12
	v_or3_b32 v10, v11, v10, v6
.LBB25_1200:
	s_or_b64 exec, exec, s[6:7]
	s_nop 0
	v_mfma_f32_16x16x4f32 a[0:3], v2, v10, a[0:3]
	s_movk_i32 s4, 0xff
	v_and_b32_sdwa v6, v7, s4 dst_sel:DWORD dst_unused:UNUSED_PAD src0_sel:WORD_1 src1_sel:DWORD
	s_movk_i32 s4, 0x7f
	v_cmp_lt_i16_e32 vcc, s4, v6
	s_mov_b64 s[4:5], 0
                                        ; implicit-def: $sgpr10
	s_and_saveexec_b64 s[6:7], vcc
	s_xor_b64 s[6:7], exec, s[6:7]
	s_cbranch_execnz .LBB25_3249
; %bb.1201:
	s_or_saveexec_b64 s[6:7], s[6:7]
	v_mov_b32_e32 v2, s10
	s_xor_b64 exec, exec, s[6:7]
	s_cbranch_execnz .LBB25_3252
.LBB25_1202:
	s_or_b64 exec, exec, s[6:7]
	s_and_saveexec_b64 s[6:7], s[4:5]
	s_cbranch_execz .LBB25_1204
.LBB25_1203:
	v_bfe_u32 v2, v7, 16, 3
	v_ffbh_u32_e32 v11, v2
	v_min_u32_e32 v11, 32, v11
	v_lshrrev_b32_e32 v6, 19, v7
	v_subrev_u32_e32 v12, 28, v11
	v_and_b32_e32 v6, 15, v6
	v_lshlrev_b32_sdwa v12, v12, v7 dst_sel:DWORD dst_unused:UNUSED_PAD src0_sel:DWORD src1_sel:WORD_1
	v_bfe_u32 v10, v7, 19, 4
	v_sub_u32_e32 v11, 29, v11
	v_and_b32_e32 v12, 7, v12
	v_cmp_eq_u16_e32 vcc, 0, v6
	v_cndmask_b32_e32 v2, v2, v12, vcc
	v_cndmask_b32_e32 v6, v10, v11, vcc
	v_lshlrev_b32_e32 v10, 8, v7
	v_mov_b32_e32 v11, 0x3b800000
	v_lshlrev_b32_e32 v2, 20, v2
	v_and_b32_e32 v10, 0x80000000, v10
	v_lshl_add_u32 v6, v6, 23, v11
	v_or3_b32 v2, v10, v6, v2
.LBB25_1204:
	s_or_b64 exec, exec, s[6:7]
	s_movk_i32 s4, 0xff
	v_and_b32_sdwa v6, v3, s4 dst_sel:DWORD dst_unused:UNUSED_PAD src0_sel:WORD_1 src1_sel:DWORD
	s_movk_i32 s4, 0x7f
	v_cmp_lt_i16_e32 vcc, s4, v6
	s_mov_b64 s[4:5], 0
                                        ; implicit-def: $sgpr10
	s_and_saveexec_b64 s[6:7], vcc
	s_xor_b64 s[6:7], exec, s[6:7]
	s_cbranch_execnz .LBB25_3253
; %bb.1205:
	s_or_saveexec_b64 s[6:7], s[6:7]
	v_mov_b32_e32 v10, s10
	s_xor_b64 exec, exec, s[6:7]
	s_cbranch_execnz .LBB25_3256
.LBB25_1206:
	s_or_b64 exec, exec, s[6:7]
	s_and_saveexec_b64 s[6:7], s[4:5]
	s_cbranch_execz .LBB25_1208
.LBB25_1207:
	v_bfe_u32 v6, v3, 16, 3
	v_ffbh_u32_e32 v12, v6
	v_min_u32_e32 v12, 32, v12
	v_lshrrev_b32_e32 v10, 19, v3
	v_subrev_u32_e32 v13, 28, v12
	v_and_b32_e32 v10, 15, v10
	v_lshlrev_b32_sdwa v13, v13, v3 dst_sel:DWORD dst_unused:UNUSED_PAD src0_sel:DWORD src1_sel:WORD_1
	v_bfe_u32 v11, v3, 19, 4
	v_sub_u32_e32 v12, 29, v12
	v_and_b32_e32 v13, 7, v13
	v_cmp_eq_u16_e32 vcc, 0, v10
	v_cndmask_b32_e32 v6, v6, v13, vcc
	v_cndmask_b32_e32 v10, v11, v12, vcc
	v_lshlrev_b32_e32 v11, 8, v3
	v_mov_b32_e32 v12, 0x3b800000
	v_lshlrev_b32_e32 v6, 20, v6
	v_and_b32_e32 v11, 0x80000000, v11
	v_lshl_add_u32 v10, v10, 23, v12
	v_or3_b32 v10, v11, v10, v6
.LBB25_1208:
	s_or_b64 exec, exec, s[6:7]
	s_nop 0
	v_mfma_f32_16x16x4f32 a[0:3], v2, v10, a[0:3]
	s_movk_i32 s4, 0x7f
	v_cmp_gt_i16_sdwa s[6:7], v7, s4 src0_sel:BYTE_3 src1_sel:DWORD
	s_mov_b64 s[4:5], 0
                                        ; implicit-def: $sgpr10
	s_and_saveexec_b64 s[8:9], s[6:7]
	s_xor_b64 s[6:7], exec, s[8:9]
	s_cbranch_execnz .LBB25_3257
; %bb.1209:
	s_or_saveexec_b64 s[6:7], s[6:7]
	v_mov_b32_e32 v2, s10
	s_xor_b64 exec, exec, s[6:7]
	s_cbranch_execnz .LBB25_3260
.LBB25_1210:
	s_or_b64 exec, exec, s[6:7]
	s_and_saveexec_b64 s[6:7], s[4:5]
	s_cbranch_execz .LBB25_1212
.LBB25_1211:
	v_bfe_u32 v2, v7, 24, 3
	v_ffbh_u32_e32 v12, v2
	v_min_u32_e32 v12, 32, v12
	v_lshrrev_b32_e32 v10, 27, v7
	v_subrev_u32_e32 v13, 28, v12
	v_and_b32_e32 v6, 0x80000000, v7
	v_and_b32_e32 v10, 15, v10
	v_bfe_u32 v11, v7, 27, 4
	v_lshlrev_b32_sdwa v7, v13, v7 dst_sel:DWORD dst_unused:UNUSED_PAD src0_sel:DWORD src1_sel:BYTE_3
	v_sub_u32_e32 v12, 29, v12
	v_and_b32_e32 v7, 7, v7
	v_cmp_eq_u16_e32 vcc, 0, v10
	v_cndmask_b32_e32 v2, v2, v7, vcc
	v_cndmask_b32_e32 v7, v11, v12, vcc
	v_mov_b32_e32 v10, 0x3b800000
	v_lshlrev_b32_e32 v2, 20, v2
	v_lshl_add_u32 v7, v7, 23, v10
	v_or3_b32 v2, v6, v7, v2
.LBB25_1212:
	s_or_b64 exec, exec, s[6:7]
	s_movk_i32 s4, 0x7f
	v_cmp_gt_i16_sdwa s[6:7], v3, s4 src0_sel:BYTE_3 src1_sel:DWORD
	s_mov_b64 s[4:5], 0
                                        ; implicit-def: $sgpr10
	s_and_saveexec_b64 s[8:9], s[6:7]
	s_xor_b64 s[6:7], exec, s[8:9]
	s_cbranch_execnz .LBB25_3261
; %bb.1213:
	s_or_saveexec_b64 s[6:7], s[6:7]
	v_mov_b32_e32 v6, s10
	s_xor_b64 exec, exec, s[6:7]
	s_cbranch_execnz .LBB25_3264
.LBB25_1214:
	s_or_b64 exec, exec, s[6:7]
	s_and_saveexec_b64 s[6:7], s[4:5]
	s_cbranch_execz .LBB25_1216
.LBB25_1215:
	v_bfe_u32 v6, v3, 24, 3
	v_ffbh_u32_e32 v12, v6
	v_min_u32_e32 v12, 32, v12
	v_lshrrev_b32_e32 v10, 27, v3
	v_subrev_u32_e32 v13, 28, v12
	v_and_b32_e32 v7, 0x80000000, v3
	v_and_b32_e32 v10, 15, v10
	v_bfe_u32 v11, v3, 27, 4
	v_lshlrev_b32_sdwa v3, v13, v3 dst_sel:DWORD dst_unused:UNUSED_PAD src0_sel:DWORD src1_sel:BYTE_3
	v_sub_u32_e32 v12, 29, v12
	v_and_b32_e32 v3, 7, v3
	v_cmp_eq_u16_e32 vcc, 0, v10
	v_cndmask_b32_e32 v3, v6, v3, vcc
	v_cndmask_b32_e32 v6, v11, v12, vcc
	v_mov_b32_e32 v10, 0x3b800000
	v_lshlrev_b32_e32 v3, 20, v3
	v_lshl_add_u32 v6, v6, 23, v10
	v_or3_b32 v6, v7, v6, v3
.LBB25_1216:
	s_or_b64 exec, exec, s[6:7]
	s_nop 0
	v_mfma_f32_16x16x4f32 a[0:3], v2, v6, a[0:3]
	s_movk_i32 s4, 0x7f
	v_cmp_gt_i16_sdwa s[6:7], v8, s4 src0_sel:BYTE_0 src1_sel:DWORD
	s_mov_b64 s[4:5], 0
                                        ; implicit-def: $sgpr10
	s_and_saveexec_b64 s[8:9], s[6:7]
	s_xor_b64 s[6:7], exec, s[8:9]
	s_cbranch_execnz .LBB25_3265
; %bb.1217:
	s_or_saveexec_b64 s[6:7], s[6:7]
	v_mov_b32_e32 v2, s10
	s_xor_b64 exec, exec, s[6:7]
	s_cbranch_execnz .LBB25_3268
.LBB25_1218:
	s_or_b64 exec, exec, s[6:7]
	s_and_saveexec_b64 s[6:7], s[4:5]
	s_cbranch_execz .LBB25_1220
.LBB25_1219:
	v_and_b32_e32 v2, 7, v8
	v_ffbh_u32_e32 v6, v2
	v_min_u32_e32 v6, 32, v6
	v_lshrrev_b16_e32 v3, 3, v8
	v_subrev_u32_e32 v7, 28, v6
	v_and_b32_e32 v3, 15, v3
	v_lshlrev_b32_e32 v7, v7, v8
	v_sub_u32_e32 v6, 29, v6
	v_and_b32_e32 v7, 7, v7
	v_cmp_eq_u16_e32 vcc, 0, v3
	v_cndmask_b32_e32 v2, v2, v7, vcc
	v_cndmask_b32_e32 v3, v3, v6, vcc
	v_lshlrev_b32_e32 v6, 24, v8
	v_mov_b32_e32 v7, 0x3b800000
	v_lshlrev_b32_e32 v2, 20, v2
	v_and_b32_e32 v6, 0x80000000, v6
	v_lshl_add_u32 v3, v3, 23, v7
	v_or3_b32 v2, v6, v3, v2
.LBB25_1220:
	s_or_b64 exec, exec, s[6:7]
	s_movk_i32 s4, 0x7f
	v_cmp_gt_i16_sdwa s[6:7], v4, s4 src0_sel:BYTE_0 src1_sel:DWORD
	s_mov_b64 s[4:5], 0
                                        ; implicit-def: $sgpr10
	s_and_saveexec_b64 s[8:9], s[6:7]
	s_xor_b64 s[6:7], exec, s[8:9]
	s_cbranch_execnz .LBB25_3269
; %bb.1221:
	s_or_saveexec_b64 s[6:7], s[6:7]
	v_mov_b32_e32 v3, s10
	s_xor_b64 exec, exec, s[6:7]
	s_cbranch_execnz .LBB25_3272
.LBB25_1222:
	s_or_b64 exec, exec, s[6:7]
	s_and_saveexec_b64 s[6:7], s[4:5]
	s_cbranch_execz .LBB25_1224
.LBB25_1223:
	v_and_b32_e32 v3, 7, v4
	v_ffbh_u32_e32 v7, v3
	v_min_u32_e32 v7, 32, v7
	v_lshrrev_b16_e32 v6, 3, v4
	v_subrev_u32_e32 v10, 28, v7
	v_and_b32_e32 v6, 15, v6
	v_lshlrev_b32_e32 v10, v10, v4
	v_sub_u32_e32 v7, 29, v7
	v_and_b32_e32 v10, 7, v10
	v_cmp_eq_u16_e32 vcc, 0, v6
	v_cndmask_b32_e32 v3, v3, v10, vcc
	v_cndmask_b32_e32 v6, v6, v7, vcc
	v_lshlrev_b32_e32 v7, 24, v4
	v_mov_b32_e32 v10, 0x3b800000
	v_lshlrev_b32_e32 v3, 20, v3
	v_and_b32_e32 v7, 0x80000000, v7
	v_lshl_add_u32 v6, v6, 23, v10
	v_or3_b32 v3, v7, v6, v3
.LBB25_1224:
	s_or_b64 exec, exec, s[6:7]
	s_nop 0
	v_mfma_f32_16x16x4f32 a[0:3], v2, v3, a[0:3]
	v_lshrrev_b32_e32 v3, 8, v8
	s_movk_i32 s4, 0x7f
	v_cmp_gt_i16_sdwa s[6:7], v3, s4 src0_sel:BYTE_0 src1_sel:DWORD
	s_mov_b64 s[4:5], 0
                                        ; implicit-def: $sgpr10
	s_and_saveexec_b64 s[8:9], s[6:7]
	s_xor_b64 s[6:7], exec, s[8:9]
	s_cbranch_execnz .LBB25_3273
; %bb.1225:
	s_or_saveexec_b64 s[6:7], s[6:7]
	v_mov_b32_e32 v2, s10
	s_xor_b64 exec, exec, s[6:7]
	s_cbranch_execnz .LBB25_3276
.LBB25_1226:
	s_or_b64 exec, exec, s[6:7]
	s_and_saveexec_b64 s[6:7], s[4:5]
	s_cbranch_execz .LBB25_1228
.LBB25_1227:
	v_bfe_u32 v2, v8, 8, 3
	v_ffbh_u32_e32 v7, v2
	v_min_u32_e32 v7, 32, v7
	v_lshrrev_b16_e32 v6, 3, v3
	v_subrev_u32_e32 v10, 28, v7
	v_and_b32_e32 v6, 15, v6
	v_lshlrev_b32_e32 v3, v10, v3
	v_sub_u32_e32 v7, 29, v7
	v_and_b32_e32 v3, 7, v3
	v_cmp_eq_u16_e32 vcc, 0, v6
	v_cndmask_b32_e32 v2, v2, v3, vcc
	v_cndmask_b32_e32 v3, v6, v7, vcc
	v_lshlrev_b32_e32 v6, 16, v8
	v_mov_b32_e32 v7, 0x3b800000
	v_lshlrev_b32_e32 v2, 20, v2
	v_and_b32_e32 v6, 0x80000000, v6
	v_lshl_add_u32 v3, v3, 23, v7
	v_or3_b32 v2, v6, v3, v2
.LBB25_1228:
	s_or_b64 exec, exec, s[6:7]
	v_lshrrev_b32_e32 v3, 8, v4
	s_movk_i32 s4, 0x7f
	v_cmp_gt_i16_sdwa s[6:7], v3, s4 src0_sel:BYTE_0 src1_sel:DWORD
	s_mov_b64 s[4:5], 0
                                        ; implicit-def: $sgpr10
	s_and_saveexec_b64 s[8:9], s[6:7]
	s_xor_b64 s[6:7], exec, s[8:9]
	s_cbranch_execnz .LBB25_3277
; %bb.1229:
	s_or_saveexec_b64 s[6:7], s[6:7]
	v_mov_b32_e32 v6, s10
	s_xor_b64 exec, exec, s[6:7]
	s_cbranch_execnz .LBB25_3280
.LBB25_1230:
	s_or_b64 exec, exec, s[6:7]
	s_and_saveexec_b64 s[6:7], s[4:5]
	s_cbranch_execz .LBB25_1232
.LBB25_1231:
	v_bfe_u32 v6, v4, 8, 3
	v_ffbh_u32_e32 v10, v6
	v_min_u32_e32 v10, 32, v10
	v_lshrrev_b16_e32 v7, 3, v3
	v_subrev_u32_e32 v11, 28, v10
	v_and_b32_e32 v7, 15, v7
	v_lshlrev_b32_e32 v3, v11, v3
	v_sub_u32_e32 v10, 29, v10
	v_and_b32_e32 v3, 7, v3
	v_cmp_eq_u16_e32 vcc, 0, v7
	v_cndmask_b32_e32 v3, v6, v3, vcc
	v_cndmask_b32_e32 v6, v7, v10, vcc
	v_lshlrev_b32_e32 v7, 16, v4
	v_mov_b32_e32 v10, 0x3b800000
	v_lshlrev_b32_e32 v3, 20, v3
	v_and_b32_e32 v7, 0x80000000, v7
	v_lshl_add_u32 v6, v6, 23, v10
	v_or3_b32 v6, v7, v6, v3
.LBB25_1232:
	s_or_b64 exec, exec, s[6:7]
	s_nop 0
	v_mfma_f32_16x16x4f32 a[0:3], v2, v6, a[0:3]
	s_movk_i32 s4, 0xff
	v_and_b32_sdwa v3, v8, s4 dst_sel:DWORD dst_unused:UNUSED_PAD src0_sel:WORD_1 src1_sel:DWORD
	s_movk_i32 s4, 0x7f
	v_cmp_lt_i16_e32 vcc, s4, v3
	s_mov_b64 s[4:5], 0
                                        ; implicit-def: $sgpr10
	s_and_saveexec_b64 s[6:7], vcc
	s_xor_b64 s[6:7], exec, s[6:7]
	s_cbranch_execnz .LBB25_3281
; %bb.1233:
	s_or_saveexec_b64 s[6:7], s[6:7]
	v_mov_b32_e32 v2, s10
	s_xor_b64 exec, exec, s[6:7]
	s_cbranch_execnz .LBB25_3284
.LBB25_1234:
	s_or_b64 exec, exec, s[6:7]
	s_and_saveexec_b64 s[6:7], s[4:5]
	s_cbranch_execz .LBB25_1236
.LBB25_1235:
	v_bfe_u32 v2, v8, 16, 3
	v_ffbh_u32_e32 v7, v2
	v_min_u32_e32 v7, 32, v7
	v_lshrrev_b32_e32 v3, 19, v8
	v_subrev_u32_e32 v10, 28, v7
	v_and_b32_e32 v3, 15, v3
	v_lshlrev_b32_sdwa v10, v10, v8 dst_sel:DWORD dst_unused:UNUSED_PAD src0_sel:DWORD src1_sel:WORD_1
	v_bfe_u32 v6, v8, 19, 4
	v_sub_u32_e32 v7, 29, v7
	v_and_b32_e32 v10, 7, v10
	v_cmp_eq_u16_e32 vcc, 0, v3
	v_cndmask_b32_e32 v2, v2, v10, vcc
	v_cndmask_b32_e32 v3, v6, v7, vcc
	v_lshlrev_b32_e32 v6, 8, v8
	v_mov_b32_e32 v7, 0x3b800000
	v_lshlrev_b32_e32 v2, 20, v2
	v_and_b32_e32 v6, 0x80000000, v6
	v_lshl_add_u32 v3, v3, 23, v7
	v_or3_b32 v2, v6, v3, v2
.LBB25_1236:
	s_or_b64 exec, exec, s[6:7]
	s_movk_i32 s4, 0xff
	v_and_b32_sdwa v3, v4, s4 dst_sel:DWORD dst_unused:UNUSED_PAD src0_sel:WORD_1 src1_sel:DWORD
	s_movk_i32 s4, 0x7f
	v_cmp_lt_i16_e32 vcc, s4, v3
	s_mov_b64 s[4:5], 0
                                        ; implicit-def: $sgpr10
	s_and_saveexec_b64 s[6:7], vcc
	s_xor_b64 s[6:7], exec, s[6:7]
	s_cbranch_execnz .LBB25_3285
; %bb.1237:
	s_or_saveexec_b64 s[6:7], s[6:7]
	v_mov_b32_e32 v6, s10
	s_xor_b64 exec, exec, s[6:7]
	s_cbranch_execnz .LBB25_3288
.LBB25_1238:
	s_or_b64 exec, exec, s[6:7]
	s_and_saveexec_b64 s[6:7], s[4:5]
	s_cbranch_execz .LBB25_1240
.LBB25_1239:
	v_bfe_u32 v3, v4, 16, 3
	v_ffbh_u32_e32 v10, v3
	v_min_u32_e32 v10, 32, v10
	v_lshrrev_b32_e32 v6, 19, v4
	v_subrev_u32_e32 v11, 28, v10
	v_and_b32_e32 v6, 15, v6
	v_lshlrev_b32_sdwa v11, v11, v4 dst_sel:DWORD dst_unused:UNUSED_PAD src0_sel:DWORD src1_sel:WORD_1
	v_bfe_u32 v7, v4, 19, 4
	v_sub_u32_e32 v10, 29, v10
	v_and_b32_e32 v11, 7, v11
	v_cmp_eq_u16_e32 vcc, 0, v6
	v_cndmask_b32_e32 v3, v3, v11, vcc
	v_cndmask_b32_e32 v6, v7, v10, vcc
	v_lshlrev_b32_e32 v7, 8, v4
	v_mov_b32_e32 v10, 0x3b800000
	v_lshlrev_b32_e32 v3, 20, v3
	v_and_b32_e32 v7, 0x80000000, v7
	v_lshl_add_u32 v6, v6, 23, v10
	v_or3_b32 v6, v7, v6, v3
.LBB25_1240:
	s_or_b64 exec, exec, s[6:7]
	s_nop 0
	v_mfma_f32_16x16x4f32 a[0:3], v2, v6, a[0:3]
	s_movk_i32 s4, 0x7f
	v_cmp_gt_i16_sdwa s[6:7], v8, s4 src0_sel:BYTE_3 src1_sel:DWORD
	s_mov_b64 s[4:5], 0
                                        ; implicit-def: $sgpr10
	s_and_saveexec_b64 s[8:9], s[6:7]
	s_xor_b64 s[6:7], exec, s[8:9]
	s_cbranch_execnz .LBB25_3289
; %bb.1241:
	s_or_saveexec_b64 s[6:7], s[6:7]
	v_mov_b32_e32 v2, s10
	s_xor_b64 exec, exec, s[6:7]
	s_cbranch_execnz .LBB25_3292
.LBB25_1242:
	s_or_b64 exec, exec, s[6:7]
	s_and_saveexec_b64 s[6:7], s[4:5]
	s_cbranch_execz .LBB25_1244
.LBB25_1243:
	v_bfe_u32 v2, v8, 24, 3
	v_ffbh_u32_e32 v10, v2
	v_min_u32_e32 v10, 32, v10
	v_lshrrev_b32_e32 v6, 27, v8
	v_subrev_u32_e32 v11, 28, v10
	v_and_b32_e32 v3, 0x80000000, v8
	v_and_b32_e32 v6, 15, v6
	v_bfe_u32 v7, v8, 27, 4
	v_lshlrev_b32_sdwa v8, v11, v8 dst_sel:DWORD dst_unused:UNUSED_PAD src0_sel:DWORD src1_sel:BYTE_3
	v_sub_u32_e32 v10, 29, v10
	v_and_b32_e32 v8, 7, v8
	v_cmp_eq_u16_e32 vcc, 0, v6
	v_cndmask_b32_e32 v2, v2, v8, vcc
	v_cndmask_b32_e32 v6, v7, v10, vcc
	v_mov_b32_e32 v7, 0x3b800000
	v_lshlrev_b32_e32 v2, 20, v2
	v_lshl_add_u32 v6, v6, 23, v7
	v_or3_b32 v2, v3, v6, v2
.LBB25_1244:
	s_or_b64 exec, exec, s[6:7]
	s_movk_i32 s4, 0x7f
	v_cmp_gt_i16_sdwa s[6:7], v4, s4 src0_sel:BYTE_3 src1_sel:DWORD
	s_mov_b64 s[4:5], 0
                                        ; implicit-def: $sgpr10
	s_and_saveexec_b64 s[8:9], s[6:7]
	s_xor_b64 s[6:7], exec, s[8:9]
	s_cbranch_execnz .LBB25_3293
; %bb.1245:
	s_or_saveexec_b64 s[6:7], s[6:7]
	v_mov_b32_e32 v3, s10
	s_xor_b64 exec, exec, s[6:7]
	s_cbranch_execnz .LBB25_3296
.LBB25_1246:
	s_or_b64 exec, exec, s[6:7]
	s_and_saveexec_b64 s[6:7], s[4:5]
	s_cbranch_execz .LBB25_1248
.LBB25_1247:
	v_bfe_u32 v3, v4, 24, 3
	v_ffbh_u32_e32 v10, v3
	v_min_u32_e32 v10, 32, v10
	v_lshrrev_b32_e32 v7, 27, v4
	v_subrev_u32_e32 v11, 28, v10
	v_and_b32_e32 v6, 0x80000000, v4
	v_and_b32_e32 v7, 15, v7
	v_bfe_u32 v8, v4, 27, 4
	v_lshlrev_b32_sdwa v4, v11, v4 dst_sel:DWORD dst_unused:UNUSED_PAD src0_sel:DWORD src1_sel:BYTE_3
	v_sub_u32_e32 v10, 29, v10
	v_and_b32_e32 v4, 7, v4
	v_cmp_eq_u16_e32 vcc, 0, v7
	v_cndmask_b32_e32 v3, v3, v4, vcc
	v_cndmask_b32_e32 v4, v8, v10, vcc
	v_mov_b32_e32 v7, 0x3b800000
	v_lshlrev_b32_e32 v3, 20, v3
	v_lshl_add_u32 v4, v4, 23, v7
	v_or3_b32 v3, v6, v4, v3
.LBB25_1248:
	s_or_b64 exec, exec, s[6:7]
	s_nop 0
	v_mfma_f32_16x16x4f32 a[0:3], v2, v3, a[0:3]
	s_movk_i32 s4, 0x7f
	v_cmp_gt_i16_sdwa s[6:7], v9, s4 src0_sel:BYTE_0 src1_sel:DWORD
	s_mov_b64 s[4:5], 0
                                        ; implicit-def: $sgpr10
	s_and_saveexec_b64 s[8:9], s[6:7]
	s_xor_b64 s[6:7], exec, s[8:9]
	s_cbranch_execnz .LBB25_3297
; %bb.1249:
	s_or_saveexec_b64 s[6:7], s[6:7]
	v_mov_b32_e32 v2, s10
	s_xor_b64 exec, exec, s[6:7]
	s_cbranch_execnz .LBB25_3300
.LBB25_1250:
	s_or_b64 exec, exec, s[6:7]
	s_and_saveexec_b64 s[6:7], s[4:5]
	s_cbranch_execz .LBB25_1252
.LBB25_1251:
	v_mov_b32_e32 v2, 8
	v_and_b32_e32 v3, 7, v9
	v_lshrrev_b32_sdwa v2, v2, v9 dst_sel:BYTE_1 dst_unused:UNUSED_PAD src0_sel:DWORD src1_sel:DWORD
	v_ffbh_u32_e32 v4, v3
	v_or_b32_sdwa v2, v9, v2 dst_sel:DWORD dst_unused:UNUSED_PAD src0_sel:BYTE_0 src1_sel:DWORD
	v_min_u32_e32 v4, 32, v4
	v_lshrrev_b16_e32 v2, 3, v2
	v_subrev_u32_e32 v6, 28, v4
	v_and_b32_e32 v2, 15, v2
	v_lshlrev_b32_e32 v6, v6, v9
	v_sub_u32_e32 v4, 29, v4
	v_and_b32_e32 v6, 7, v6
	v_cmp_eq_u16_e32 vcc, 0, v2
	v_cndmask_b32_e32 v3, v3, v6, vcc
	v_cndmask_b32_e32 v2, v2, v4, vcc
	v_lshlrev_b32_e32 v4, 24, v9
	v_mov_b32_e32 v6, 0x3b800000
	v_lshlrev_b32_e32 v3, 20, v3
	v_and_b32_e32 v4, 0x80000000, v4
	v_lshl_add_u32 v2, v2, 23, v6
	v_or3_b32 v2, v4, v2, v3
.LBB25_1252:
	s_or_b64 exec, exec, s[6:7]
	s_movk_i32 s4, 0x7f
	v_cmp_gt_i16_sdwa s[6:7], v5, s4 src0_sel:BYTE_0 src1_sel:DWORD
	s_mov_b64 s[4:5], 0
                                        ; implicit-def: $sgpr10
	s_and_saveexec_b64 s[8:9], s[6:7]
	s_xor_b64 s[6:7], exec, s[8:9]
	s_cbranch_execnz .LBB25_3301
; %bb.1253:
	s_or_saveexec_b64 s[6:7], s[6:7]
	v_mov_b32_e32 v3, s10
	s_xor_b64 exec, exec, s[6:7]
	s_cbranch_execnz .LBB25_3304
.LBB25_1254:
	s_or_b64 exec, exec, s[6:7]
	s_and_saveexec_b64 s[6:7], s[4:5]
	s_cbranch_execz .LBB25_1256
.LBB25_1255:
	v_mov_b32_e32 v3, 8
	v_and_b32_e32 v4, 7, v5
	v_lshrrev_b32_sdwa v3, v3, v5 dst_sel:BYTE_1 dst_unused:UNUSED_PAD src0_sel:DWORD src1_sel:DWORD
	v_ffbh_u32_e32 v6, v4
	v_or_b32_sdwa v3, v5, v3 dst_sel:DWORD dst_unused:UNUSED_PAD src0_sel:BYTE_0 src1_sel:DWORD
	v_min_u32_e32 v6, 32, v6
	v_lshrrev_b16_e32 v3, 3, v3
	v_subrev_u32_e32 v7, 28, v6
	v_and_b32_e32 v3, 15, v3
	v_lshlrev_b32_e32 v7, v7, v5
	v_sub_u32_e32 v6, 29, v6
	v_and_b32_e32 v7, 7, v7
	v_cmp_eq_u16_e32 vcc, 0, v3
	v_cndmask_b32_e32 v4, v4, v7, vcc
	v_cndmask_b32_e32 v3, v3, v6, vcc
	v_lshlrev_b32_e32 v6, 24, v5
	v_mov_b32_e32 v7, 0x3b800000
	v_lshlrev_b32_e32 v4, 20, v4
	v_and_b32_e32 v6, 0x80000000, v6
	v_lshl_add_u32 v3, v3, 23, v7
	v_or3_b32 v3, v6, v3, v4
.LBB25_1256:
	s_or_b64 exec, exec, s[6:7]
	s_nop 0
	v_mfma_f32_16x16x4f32 a[0:3], v2, v3, a[0:3]
	v_lshrrev_b32_e32 v3, 8, v9
	s_movk_i32 s4, 0x7f
	v_cmp_gt_i16_sdwa s[6:7], v3, s4 src0_sel:BYTE_0 src1_sel:DWORD
	s_mov_b64 s[4:5], 0
                                        ; implicit-def: $sgpr10
	s_and_saveexec_b64 s[8:9], s[6:7]
	s_xor_b64 s[6:7], exec, s[8:9]
	s_cbranch_execnz .LBB25_3305
; %bb.1257:
	s_or_saveexec_b64 s[6:7], s[6:7]
	v_mov_b32_e32 v2, s10
	s_xor_b64 exec, exec, s[6:7]
	s_cbranch_execnz .LBB25_3308
.LBB25_1258:
	s_or_b64 exec, exec, s[6:7]
	s_and_saveexec_b64 s[6:7], s[4:5]
	s_cbranch_execz .LBB25_1260
.LBB25_1259:
	v_bfe_u32 v2, v9, 8, 3
	v_ffbh_u32_e32 v6, v2
	v_min_u32_e32 v6, 32, v6
	v_lshrrev_b16_e32 v4, 3, v3
	v_subrev_u32_e32 v7, 28, v6
	v_and_b32_e32 v4, 15, v4
	v_lshlrev_b32_e32 v3, v7, v3
	v_sub_u32_e32 v6, 29, v6
	v_and_b32_e32 v3, 7, v3
	v_cmp_eq_u16_e32 vcc, 0, v4
	v_cndmask_b32_e32 v2, v2, v3, vcc
	v_cndmask_b32_e32 v3, v4, v6, vcc
	v_lshlrev_b32_e32 v4, 16, v9
	v_mov_b32_e32 v6, 0x3b800000
	v_lshlrev_b32_e32 v2, 20, v2
	v_and_b32_e32 v4, 0x80000000, v4
	v_lshl_add_u32 v3, v3, 23, v6
	v_or3_b32 v2, v4, v3, v2
.LBB25_1260:
	s_or_b64 exec, exec, s[6:7]
	v_lshrrev_b32_e32 v3, 8, v5
	s_movk_i32 s4, 0x7f
	v_cmp_gt_i16_sdwa s[6:7], v3, s4 src0_sel:BYTE_0 src1_sel:DWORD
	s_mov_b64 s[4:5], 0
                                        ; implicit-def: $sgpr10
	s_and_saveexec_b64 s[8:9], s[6:7]
	s_xor_b64 s[6:7], exec, s[8:9]
	s_cbranch_execnz .LBB25_3309
; %bb.1261:
	s_or_saveexec_b64 s[6:7], s[6:7]
	v_mov_b32_e32 v4, s10
	s_xor_b64 exec, exec, s[6:7]
	s_cbranch_execnz .LBB25_3312
.LBB25_1262:
	s_or_b64 exec, exec, s[6:7]
	s_and_saveexec_b64 s[6:7], s[4:5]
	s_cbranch_execz .LBB25_1264
.LBB25_1263:
	v_bfe_u32 v4, v5, 8, 3
	v_ffbh_u32_e32 v7, v4
	v_min_u32_e32 v7, 32, v7
	v_lshrrev_b16_e32 v6, 3, v3
	v_subrev_u32_e32 v8, 28, v7
	v_and_b32_e32 v6, 15, v6
	v_lshlrev_b32_e32 v3, v8, v3
	v_sub_u32_e32 v7, 29, v7
	v_and_b32_e32 v3, 7, v3
	v_cmp_eq_u16_e32 vcc, 0, v6
	v_cndmask_b32_e32 v3, v4, v3, vcc
	v_cndmask_b32_e32 v4, v6, v7, vcc
	v_lshlrev_b32_e32 v6, 16, v5
	v_mov_b32_e32 v7, 0x3b800000
	v_lshlrev_b32_e32 v3, 20, v3
	v_and_b32_e32 v6, 0x80000000, v6
	v_lshl_add_u32 v4, v4, 23, v7
	v_or3_b32 v4, v6, v4, v3
.LBB25_1264:
	s_or_b64 exec, exec, s[6:7]
	s_nop 0
	v_mfma_f32_16x16x4f32 a[0:3], v2, v4, a[0:3]
	s_movk_i32 s4, 0xff
	v_and_b32_sdwa v3, v9, s4 dst_sel:DWORD dst_unused:UNUSED_PAD src0_sel:WORD_1 src1_sel:DWORD
	s_movk_i32 s4, 0x7f
	v_cmp_lt_i16_e32 vcc, s4, v3
	s_mov_b64 s[4:5], 0
                                        ; implicit-def: $sgpr10
	s_and_saveexec_b64 s[6:7], vcc
	s_xor_b64 s[6:7], exec, s[6:7]
	s_cbranch_execnz .LBB25_3313
; %bb.1265:
	s_or_saveexec_b64 s[6:7], s[6:7]
	v_mov_b32_e32 v2, s10
	s_xor_b64 exec, exec, s[6:7]
	s_cbranch_execnz .LBB25_3316
.LBB25_1266:
	s_or_b64 exec, exec, s[6:7]
	s_and_saveexec_b64 s[6:7], s[4:5]
	s_cbranch_execz .LBB25_1268
.LBB25_1267:
	v_bfe_u32 v2, v9, 16, 3
	v_ffbh_u32_e32 v6, v2
	v_min_u32_e32 v6, 32, v6
	v_lshrrev_b32_e32 v3, 19, v9
	v_subrev_u32_e32 v7, 28, v6
	v_and_b32_e32 v3, 15, v3
	v_lshlrev_b32_sdwa v7, v7, v9 dst_sel:DWORD dst_unused:UNUSED_PAD src0_sel:DWORD src1_sel:WORD_1
	v_bfe_u32 v4, v9, 19, 4
	v_sub_u32_e32 v6, 29, v6
	v_and_b32_e32 v7, 7, v7
	v_cmp_eq_u16_e32 vcc, 0, v3
	v_cndmask_b32_e32 v2, v2, v7, vcc
	v_cndmask_b32_e32 v3, v4, v6, vcc
	v_lshlrev_b32_e32 v4, 8, v9
	v_mov_b32_e32 v6, 0x3b800000
	v_lshlrev_b32_e32 v2, 20, v2
	v_and_b32_e32 v4, 0x80000000, v4
	v_lshl_add_u32 v3, v3, 23, v6
	v_or3_b32 v2, v4, v3, v2
.LBB25_1268:
	s_or_b64 exec, exec, s[6:7]
	s_movk_i32 s4, 0xff
	v_and_b32_sdwa v3, v5, s4 dst_sel:DWORD dst_unused:UNUSED_PAD src0_sel:WORD_1 src1_sel:DWORD
	s_movk_i32 s4, 0x7f
	v_cmp_lt_i16_e32 vcc, s4, v3
	s_mov_b64 s[4:5], 0
                                        ; implicit-def: $sgpr10
	s_and_saveexec_b64 s[6:7], vcc
	s_xor_b64 s[6:7], exec, s[6:7]
	s_cbranch_execnz .LBB25_3317
; %bb.1269:
	s_or_saveexec_b64 s[6:7], s[6:7]
	v_mov_b32_e32 v4, s10
	s_xor_b64 exec, exec, s[6:7]
	s_cbranch_execnz .LBB25_3320
.LBB25_1270:
	s_or_b64 exec, exec, s[6:7]
	s_and_saveexec_b64 s[6:7], s[4:5]
	s_cbranch_execz .LBB25_1272
.LBB25_1271:
	v_bfe_u32 v3, v5, 16, 3
	v_ffbh_u32_e32 v7, v3
	v_min_u32_e32 v7, 32, v7
	v_lshrrev_b32_e32 v4, 19, v5
	v_subrev_u32_e32 v8, 28, v7
	v_and_b32_e32 v4, 15, v4
	v_lshlrev_b32_sdwa v8, v8, v5 dst_sel:DWORD dst_unused:UNUSED_PAD src0_sel:DWORD src1_sel:WORD_1
	v_bfe_u32 v6, v5, 19, 4
	v_sub_u32_e32 v7, 29, v7
	v_and_b32_e32 v8, 7, v8
	v_cmp_eq_u16_e32 vcc, 0, v4
	v_cndmask_b32_e32 v3, v3, v8, vcc
	v_cndmask_b32_e32 v4, v6, v7, vcc
	v_lshlrev_b32_e32 v6, 8, v5
	v_mov_b32_e32 v7, 0x3b800000
	v_lshlrev_b32_e32 v3, 20, v3
	v_and_b32_e32 v6, 0x80000000, v6
	v_lshl_add_u32 v4, v4, 23, v7
	v_or3_b32 v4, v6, v4, v3
.LBB25_1272:
	s_or_b64 exec, exec, s[6:7]
	s_nop 0
	v_mfma_f32_16x16x4f32 a[0:3], v2, v4, a[0:3]
	s_movk_i32 s4, 0x7f
	v_cmp_gt_i16_sdwa s[6:7], v9, s4 src0_sel:BYTE_3 src1_sel:DWORD
	s_mov_b64 s[4:5], 0
                                        ; implicit-def: $sgpr10
	s_and_saveexec_b64 s[8:9], s[6:7]
	s_xor_b64 s[6:7], exec, s[8:9]
	s_cbranch_execnz .LBB25_3321
; %bb.1273:
	s_or_saveexec_b64 s[6:7], s[6:7]
	v_mov_b32_e32 v2, s10
	s_xor_b64 exec, exec, s[6:7]
	s_cbranch_execnz .LBB25_3324
.LBB25_1274:
	s_or_b64 exec, exec, s[6:7]
	s_and_saveexec_b64 s[6:7], s[4:5]
	s_cbranch_execz .LBB25_1276
.LBB25_1275:
	v_bfe_u32 v2, v9, 24, 3
	v_ffbh_u32_e32 v7, v2
	v_min_u32_e32 v7, 32, v7
	v_lshrrev_b32_e32 v4, 27, v9
	v_subrev_u32_e32 v8, 28, v7
	v_and_b32_e32 v4, 15, v4
	v_lshlrev_b32_sdwa v8, v8, v9 dst_sel:DWORD dst_unused:UNUSED_PAD src0_sel:DWORD src1_sel:BYTE_3
	v_bfe_u32 v6, v9, 27, 4
	v_sub_u32_e32 v7, 29, v7
	v_and_b32_e32 v8, 7, v8
	v_cmp_eq_u16_e32 vcc, 0, v4
	v_cndmask_b32_e32 v2, v2, v8, vcc
	v_cndmask_b32_e32 v4, v6, v7, vcc
	v_mov_b32_e32 v6, 0x3b800000
	v_and_b32_e32 v3, 0x80000000, v9
	v_lshlrev_b32_e32 v2, 20, v2
	v_lshl_add_u32 v4, v4, 23, v6
	v_or3_b32 v2, v3, v4, v2
.LBB25_1276:
	s_or_b64 exec, exec, s[6:7]
	s_movk_i32 s4, 0x7f
	v_cmp_gt_i16_sdwa s[6:7], v5, s4 src0_sel:BYTE_3 src1_sel:DWORD
	s_mov_b64 s[4:5], 0
                                        ; implicit-def: $sgpr10
	s_and_saveexec_b64 s[8:9], s[6:7]
	s_xor_b64 s[6:7], exec, s[8:9]
	s_cbranch_execnz .LBB25_3325
; %bb.1277:
	s_or_saveexec_b64 s[6:7], s[6:7]
	v_mov_b32_e32 v3, s10
	s_xor_b64 exec, exec, s[6:7]
	s_cbranch_execnz .LBB25_3328
.LBB25_1278:
	s_or_b64 exec, exec, s[6:7]
	s_and_saveexec_b64 s[6:7], s[4:5]
	s_cbranch_execz .LBB25_1280
.LBB25_1279:
	v_bfe_u32 v3, v5, 24, 3
	v_ffbh_u32_e32 v8, v3
	v_min_u32_e32 v8, 32, v8
	v_lshrrev_b32_e32 v6, 27, v5
	v_subrev_u32_e32 v9, 28, v8
	v_and_b32_e32 v4, 0x80000000, v5
	v_and_b32_e32 v6, 15, v6
	v_bfe_u32 v7, v5, 27, 4
	v_lshlrev_b32_sdwa v5, v9, v5 dst_sel:DWORD dst_unused:UNUSED_PAD src0_sel:DWORD src1_sel:BYTE_3
	v_sub_u32_e32 v8, 29, v8
	v_and_b32_e32 v5, 7, v5
	v_cmp_eq_u16_e32 vcc, 0, v6
	v_cndmask_b32_e32 v3, v3, v5, vcc
	v_cndmask_b32_e32 v5, v7, v8, vcc
	v_mov_b32_e32 v6, 0x3b800000
	v_lshlrev_b32_e32 v3, 20, v3
	v_lshl_add_u32 v5, v5, 23, v6
	v_or3_b32 v3, v4, v5, v3
.LBB25_1280:
	s_or_b64 exec, exec, s[6:7]
	s_nop 0
	v_mfma_f32_16x16x4f32 a[0:3], v2, v3, a[0:3]
	s_movk_i32 s4, 0x7f
                                        ; implicit-def: $sgpr10
	s_nop 7
	s_nop 1
	flat_store_dwordx4 v[18:19], a[0:3] offset:960
	flat_load_dwordx4 v[20:23], v[0:1] offset:8
	s_nop 0
	flat_load_dwordx2 v[18:19], v[0:1] offset:24
	s_waitcnt vmcnt(0) lgkmcnt(0)
	flat_load_dwordx4 v[14:17], v[20:21] offset:32
	flat_load_dwordx4 v[6:9], v[20:21] offset:48
	;; [unrolled: 1-line block ×4, first 2 shown]
	s_waitcnt vmcnt(0) lgkmcnt(0)
	v_cmp_gt_i16_sdwa s[6:7], v14, s4 src0_sel:BYTE_0 src1_sel:DWORD
	s_mov_b64 s[4:5], 0
	s_and_saveexec_b64 s[8:9], s[6:7]
	s_xor_b64 s[6:7], exec, s[8:9]
	s_cbranch_execnz .LBB25_3329
; %bb.1281:
	s_or_saveexec_b64 s[6:7], s[6:7]
	v_mov_b32_e32 v20, s10
	s_xor_b64 exec, exec, s[6:7]
	s_cbranch_execnz .LBB25_3332
.LBB25_1282:
	s_or_b64 exec, exec, s[6:7]
	s_and_saveexec_b64 s[6:7], s[4:5]
	s_cbranch_execz .LBB25_1284
.LBB25_1283:
	v_and_b32_e32 v20, 7, v14
	v_ffbh_u32_e32 v22, v20
	v_min_u32_e32 v22, 32, v22
	v_lshrrev_b16_e32 v21, 3, v14
	v_subrev_u32_e32 v23, 28, v22
	v_and_b32_e32 v21, 15, v21
	v_lshlrev_b32_e32 v23, v23, v14
	v_sub_u32_e32 v22, 29, v22
	v_and_b32_e32 v23, 7, v23
	v_cmp_eq_u16_e32 vcc, 0, v21
	v_cndmask_b32_e32 v20, v20, v23, vcc
	v_cndmask_b32_e32 v21, v21, v22, vcc
	v_lshlrev_b32_e32 v22, 24, v14
	v_mov_b32_e32 v23, 0x3b800000
	v_lshlrev_b32_e32 v20, 20, v20
	v_and_b32_e32 v22, 0x80000000, v22
	v_lshl_add_u32 v21, v21, 23, v23
	v_or3_b32 v20, v22, v21, v20
.LBB25_1284:
	s_or_b64 exec, exec, s[6:7]
	s_movk_i32 s4, 0x7f
	v_cmp_gt_i16_sdwa s[6:7], v10, s4 src0_sel:BYTE_0 src1_sel:DWORD
	s_mov_b64 s[4:5], 0
                                        ; implicit-def: $sgpr10
	s_and_saveexec_b64 s[8:9], s[6:7]
	s_xor_b64 s[6:7], exec, s[8:9]
	s_cbranch_execnz .LBB25_3333
; %bb.1285:
	s_or_saveexec_b64 s[6:7], s[6:7]
	v_mov_b32_e32 v21, s10
	s_xor_b64 exec, exec, s[6:7]
	s_cbranch_execnz .LBB25_3336
.LBB25_1286:
	s_or_b64 exec, exec, s[6:7]
	s_and_saveexec_b64 s[6:7], s[4:5]
	s_cbranch_execz .LBB25_1288
.LBB25_1287:
	v_and_b32_e32 v21, 7, v10
	v_ffbh_u32_e32 v23, v21
	v_min_u32_e32 v23, 32, v23
	v_lshrrev_b16_e32 v22, 3, v10
	v_subrev_u32_e32 v24, 28, v23
	v_and_b32_e32 v22, 15, v22
	v_lshlrev_b32_e32 v24, v24, v10
	v_sub_u32_e32 v23, 29, v23
	v_and_b32_e32 v24, 7, v24
	v_cmp_eq_u16_e32 vcc, 0, v22
	v_cndmask_b32_e32 v21, v21, v24, vcc
	v_cndmask_b32_e32 v22, v22, v23, vcc
	v_lshlrev_b32_e32 v23, 24, v10
	v_mov_b32_e32 v24, 0x3b800000
	v_lshlrev_b32_e32 v21, 20, v21
	v_and_b32_e32 v23, 0x80000000, v23
	v_lshl_add_u32 v22, v22, 23, v24
	v_or3_b32 v21, v23, v22, v21
.LBB25_1288:
	s_or_b64 exec, exec, s[6:7]
	flat_load_dwordx4 a[0:3], v[18:19] offset:976
	s_movk_i32 s4, 0x7f
                                        ; implicit-def: $sgpr10
	s_waitcnt vmcnt(0) lgkmcnt(0)
	v_mfma_f32_16x16x4f32 a[0:3], v20, v21, a[0:3]
	v_lshrrev_b32_e32 v21, 8, v14
	v_cmp_gt_i16_sdwa s[6:7], v21, s4 src0_sel:BYTE_0 src1_sel:DWORD
	s_mov_b64 s[4:5], 0
	s_and_saveexec_b64 s[8:9], s[6:7]
	s_xor_b64 s[6:7], exec, s[8:9]
	s_cbranch_execnz .LBB25_3337
; %bb.1289:
	s_or_saveexec_b64 s[6:7], s[6:7]
	v_mov_b32_e32 v20, s10
	s_xor_b64 exec, exec, s[6:7]
	s_cbranch_execnz .LBB25_3340
.LBB25_1290:
	s_or_b64 exec, exec, s[6:7]
	s_and_saveexec_b64 s[6:7], s[4:5]
	s_cbranch_execz .LBB25_1292
.LBB25_1291:
	v_bfe_u32 v20, v14, 8, 3
	v_ffbh_u32_e32 v23, v20
	v_min_u32_e32 v23, 32, v23
	v_lshrrev_b16_e32 v22, 3, v21
	v_subrev_u32_e32 v24, 28, v23
	v_and_b32_e32 v22, 15, v22
	v_lshlrev_b32_e32 v21, v24, v21
	v_sub_u32_e32 v23, 29, v23
	v_and_b32_e32 v21, 7, v21
	v_cmp_eq_u16_e32 vcc, 0, v22
	v_cndmask_b32_e32 v20, v20, v21, vcc
	v_cndmask_b32_e32 v21, v22, v23, vcc
	v_lshlrev_b32_e32 v22, 16, v14
	v_mov_b32_e32 v23, 0x3b800000
	v_lshlrev_b32_e32 v20, 20, v20
	v_and_b32_e32 v22, 0x80000000, v22
	v_lshl_add_u32 v21, v21, 23, v23
	v_or3_b32 v20, v22, v21, v20
.LBB25_1292:
	s_or_b64 exec, exec, s[6:7]
	v_lshrrev_b32_e32 v21, 8, v10
	s_movk_i32 s4, 0x7f
	v_cmp_gt_i16_sdwa s[6:7], v21, s4 src0_sel:BYTE_0 src1_sel:DWORD
	s_mov_b64 s[4:5], 0
                                        ; implicit-def: $sgpr10
	s_and_saveexec_b64 s[8:9], s[6:7]
	s_xor_b64 s[6:7], exec, s[8:9]
	s_cbranch_execnz .LBB25_3341
; %bb.1293:
	s_or_saveexec_b64 s[6:7], s[6:7]
	v_mov_b32_e32 v22, s10
	s_xor_b64 exec, exec, s[6:7]
	s_cbranch_execnz .LBB25_3344
.LBB25_1294:
	s_or_b64 exec, exec, s[6:7]
	s_and_saveexec_b64 s[6:7], s[4:5]
	s_cbranch_execz .LBB25_1296
.LBB25_1295:
	v_bfe_u32 v22, v10, 8, 3
	v_ffbh_u32_e32 v24, v22
	v_min_u32_e32 v24, 32, v24
	v_lshrrev_b16_e32 v23, 3, v21
	v_subrev_u32_e32 v25, 28, v24
	v_and_b32_e32 v23, 15, v23
	v_lshlrev_b32_e32 v21, v25, v21
	v_sub_u32_e32 v24, 29, v24
	v_and_b32_e32 v21, 7, v21
	v_cmp_eq_u16_e32 vcc, 0, v23
	v_cndmask_b32_e32 v21, v22, v21, vcc
	v_cndmask_b32_e32 v22, v23, v24, vcc
	v_lshlrev_b32_e32 v23, 16, v10
	v_mov_b32_e32 v24, 0x3b800000
	v_lshlrev_b32_e32 v21, 20, v21
	v_and_b32_e32 v23, 0x80000000, v23
	v_lshl_add_u32 v22, v22, 23, v24
	v_or3_b32 v22, v23, v22, v21
.LBB25_1296:
	s_or_b64 exec, exec, s[6:7]
	s_nop 0
	v_mfma_f32_16x16x4f32 a[0:3], v20, v22, a[0:3]
	s_movk_i32 s4, 0xff
	v_and_b32_sdwa v21, v14, s4 dst_sel:DWORD dst_unused:UNUSED_PAD src0_sel:WORD_1 src1_sel:DWORD
	s_movk_i32 s4, 0x7f
	v_cmp_lt_i16_e32 vcc, s4, v21
	s_mov_b64 s[4:5], 0
                                        ; implicit-def: $sgpr10
	s_and_saveexec_b64 s[6:7], vcc
	s_xor_b64 s[6:7], exec, s[6:7]
	s_cbranch_execnz .LBB25_3345
; %bb.1297:
	s_or_saveexec_b64 s[6:7], s[6:7]
	v_mov_b32_e32 v20, s10
	s_xor_b64 exec, exec, s[6:7]
	s_cbranch_execnz .LBB25_3348
.LBB25_1298:
	s_or_b64 exec, exec, s[6:7]
	s_and_saveexec_b64 s[6:7], s[4:5]
	s_cbranch_execz .LBB25_1300
.LBB25_1299:
	v_bfe_u32 v20, v14, 16, 3
	v_ffbh_u32_e32 v23, v20
	v_min_u32_e32 v23, 32, v23
	v_lshrrev_b32_e32 v21, 19, v14
	v_subrev_u32_e32 v24, 28, v23
	v_and_b32_e32 v21, 15, v21
	v_lshlrev_b32_sdwa v24, v24, v14 dst_sel:DWORD dst_unused:UNUSED_PAD src0_sel:DWORD src1_sel:WORD_1
	v_bfe_u32 v22, v14, 19, 4
	v_sub_u32_e32 v23, 29, v23
	v_and_b32_e32 v24, 7, v24
	v_cmp_eq_u16_e32 vcc, 0, v21
	v_cndmask_b32_e32 v20, v20, v24, vcc
	v_cndmask_b32_e32 v21, v22, v23, vcc
	v_lshlrev_b32_e32 v22, 8, v14
	v_mov_b32_e32 v23, 0x3b800000
	v_lshlrev_b32_e32 v20, 20, v20
	v_and_b32_e32 v22, 0x80000000, v22
	v_lshl_add_u32 v21, v21, 23, v23
	v_or3_b32 v20, v22, v21, v20
.LBB25_1300:
	s_or_b64 exec, exec, s[6:7]
	s_movk_i32 s4, 0xff
	v_and_b32_sdwa v21, v10, s4 dst_sel:DWORD dst_unused:UNUSED_PAD src0_sel:WORD_1 src1_sel:DWORD
	s_movk_i32 s4, 0x7f
	v_cmp_lt_i16_e32 vcc, s4, v21
	s_mov_b64 s[4:5], 0
                                        ; implicit-def: $sgpr10
	s_and_saveexec_b64 s[6:7], vcc
	s_xor_b64 s[6:7], exec, s[6:7]
	s_cbranch_execnz .LBB25_3349
; %bb.1301:
	s_or_saveexec_b64 s[6:7], s[6:7]
	v_mov_b32_e32 v22, s10
	s_xor_b64 exec, exec, s[6:7]
	s_cbranch_execnz .LBB25_3352
.LBB25_1302:
	s_or_b64 exec, exec, s[6:7]
	s_and_saveexec_b64 s[6:7], s[4:5]
	s_cbranch_execz .LBB25_1304
.LBB25_1303:
	v_bfe_u32 v21, v10, 16, 3
	v_ffbh_u32_e32 v24, v21
	v_min_u32_e32 v24, 32, v24
	v_lshrrev_b32_e32 v22, 19, v10
	v_subrev_u32_e32 v25, 28, v24
	v_and_b32_e32 v22, 15, v22
	v_lshlrev_b32_sdwa v25, v25, v10 dst_sel:DWORD dst_unused:UNUSED_PAD src0_sel:DWORD src1_sel:WORD_1
	v_bfe_u32 v23, v10, 19, 4
	v_sub_u32_e32 v24, 29, v24
	v_and_b32_e32 v25, 7, v25
	v_cmp_eq_u16_e32 vcc, 0, v22
	v_cndmask_b32_e32 v21, v21, v25, vcc
	v_cndmask_b32_e32 v22, v23, v24, vcc
	v_lshlrev_b32_e32 v23, 8, v10
	v_mov_b32_e32 v24, 0x3b800000
	v_lshlrev_b32_e32 v21, 20, v21
	v_and_b32_e32 v23, 0x80000000, v23
	v_lshl_add_u32 v22, v22, 23, v24
	v_or3_b32 v22, v23, v22, v21
.LBB25_1304:
	s_or_b64 exec, exec, s[6:7]
	s_nop 0
	v_mfma_f32_16x16x4f32 a[0:3], v20, v22, a[0:3]
	s_movk_i32 s4, 0x7f
	v_cmp_gt_i16_sdwa s[6:7], v14, s4 src0_sel:BYTE_3 src1_sel:DWORD
	s_mov_b64 s[4:5], 0
                                        ; implicit-def: $sgpr10
	s_and_saveexec_b64 s[8:9], s[6:7]
	s_xor_b64 s[6:7], exec, s[8:9]
	s_cbranch_execnz .LBB25_3353
; %bb.1305:
	s_or_saveexec_b64 s[6:7], s[6:7]
	v_mov_b32_e32 v20, s10
	s_xor_b64 exec, exec, s[6:7]
	s_cbranch_execnz .LBB25_3356
.LBB25_1306:
	s_or_b64 exec, exec, s[6:7]
	s_and_saveexec_b64 s[6:7], s[4:5]
	s_cbranch_execz .LBB25_1308
.LBB25_1307:
	v_bfe_u32 v20, v14, 24, 3
	v_ffbh_u32_e32 v24, v20
	v_min_u32_e32 v24, 32, v24
	v_lshrrev_b32_e32 v22, 27, v14
	v_subrev_u32_e32 v25, 28, v24
	v_and_b32_e32 v21, 0x80000000, v14
	v_and_b32_e32 v22, 15, v22
	v_bfe_u32 v23, v14, 27, 4
	v_lshlrev_b32_sdwa v14, v25, v14 dst_sel:DWORD dst_unused:UNUSED_PAD src0_sel:DWORD src1_sel:BYTE_3
	v_sub_u32_e32 v24, 29, v24
	v_and_b32_e32 v14, 7, v14
	v_cmp_eq_u16_e32 vcc, 0, v22
	v_cndmask_b32_e32 v14, v20, v14, vcc
	v_cndmask_b32_e32 v20, v23, v24, vcc
	v_mov_b32_e32 v22, 0x3b800000
	v_lshlrev_b32_e32 v14, 20, v14
	v_lshl_add_u32 v20, v20, 23, v22
	v_or3_b32 v20, v21, v20, v14
.LBB25_1308:
	s_or_b64 exec, exec, s[6:7]
	s_movk_i32 s4, 0x7f
	v_cmp_gt_i16_sdwa s[6:7], v10, s4 src0_sel:BYTE_3 src1_sel:DWORD
	s_mov_b64 s[4:5], 0
                                        ; implicit-def: $sgpr10
	s_and_saveexec_b64 s[8:9], s[6:7]
	s_xor_b64 s[6:7], exec, s[8:9]
	s_cbranch_execnz .LBB25_3357
; %bb.1309:
	s_or_saveexec_b64 s[6:7], s[6:7]
	v_mov_b32_e32 v14, s10
	s_xor_b64 exec, exec, s[6:7]
	s_cbranch_execnz .LBB25_3360
.LBB25_1310:
	s_or_b64 exec, exec, s[6:7]
	s_and_saveexec_b64 s[6:7], s[4:5]
	s_cbranch_execz .LBB25_1312
.LBB25_1311:
	v_bfe_u32 v14, v10, 24, 3
	v_ffbh_u32_e32 v24, v14
	v_min_u32_e32 v24, 32, v24
	v_lshrrev_b32_e32 v22, 27, v10
	v_subrev_u32_e32 v25, 28, v24
	v_and_b32_e32 v21, 0x80000000, v10
	v_and_b32_e32 v22, 15, v22
	v_bfe_u32 v23, v10, 27, 4
	v_lshlrev_b32_sdwa v10, v25, v10 dst_sel:DWORD dst_unused:UNUSED_PAD src0_sel:DWORD src1_sel:BYTE_3
	v_sub_u32_e32 v24, 29, v24
	v_and_b32_e32 v10, 7, v10
	v_cmp_eq_u16_e32 vcc, 0, v22
	v_cndmask_b32_e32 v10, v14, v10, vcc
	v_cndmask_b32_e32 v14, v23, v24, vcc
	v_mov_b32_e32 v22, 0x3b800000
	v_lshlrev_b32_e32 v10, 20, v10
	v_lshl_add_u32 v14, v14, 23, v22
	v_or3_b32 v14, v21, v14, v10
.LBB25_1312:
	s_or_b64 exec, exec, s[6:7]
	s_nop 0
	v_mfma_f32_16x16x4f32 a[0:3], v20, v14, a[0:3]
	s_movk_i32 s4, 0x7f
	v_cmp_gt_i16_sdwa s[6:7], v15, s4 src0_sel:BYTE_0 src1_sel:DWORD
	s_mov_b64 s[4:5], 0
                                        ; implicit-def: $sgpr10
	s_and_saveexec_b64 s[8:9], s[6:7]
	s_xor_b64 s[6:7], exec, s[8:9]
	s_cbranch_execnz .LBB25_3361
; %bb.1313:
	s_or_saveexec_b64 s[6:7], s[6:7]
	v_mov_b32_e32 v10, s10
	s_xor_b64 exec, exec, s[6:7]
	s_cbranch_execnz .LBB25_3364
.LBB25_1314:
	s_or_b64 exec, exec, s[6:7]
	s_and_saveexec_b64 s[6:7], s[4:5]
	s_cbranch_execz .LBB25_1316
.LBB25_1315:
	v_and_b32_e32 v10, 7, v15
	v_ffbh_u32_e32 v20, v10
	v_min_u32_e32 v20, 32, v20
	v_lshrrev_b16_e32 v14, 3, v15
	v_subrev_u32_e32 v21, 28, v20
	v_and_b32_e32 v14, 15, v14
	v_lshlrev_b32_e32 v21, v21, v15
	v_sub_u32_e32 v20, 29, v20
	v_and_b32_e32 v21, 7, v21
	v_cmp_eq_u16_e32 vcc, 0, v14
	v_cndmask_b32_e32 v10, v10, v21, vcc
	v_cndmask_b32_e32 v14, v14, v20, vcc
	v_lshlrev_b32_e32 v20, 24, v15
	v_mov_b32_e32 v21, 0x3b800000
	v_lshlrev_b32_e32 v10, 20, v10
	v_and_b32_e32 v20, 0x80000000, v20
	v_lshl_add_u32 v14, v14, 23, v21
	v_or3_b32 v10, v20, v14, v10
.LBB25_1316:
	s_or_b64 exec, exec, s[6:7]
	s_movk_i32 s4, 0x7f
	v_cmp_gt_i16_sdwa s[6:7], v11, s4 src0_sel:BYTE_0 src1_sel:DWORD
	s_mov_b64 s[4:5], 0
                                        ; implicit-def: $sgpr10
	s_and_saveexec_b64 s[8:9], s[6:7]
	s_xor_b64 s[6:7], exec, s[8:9]
	s_cbranch_execnz .LBB25_3365
; %bb.1317:
	s_or_saveexec_b64 s[6:7], s[6:7]
	v_mov_b32_e32 v14, s10
	s_xor_b64 exec, exec, s[6:7]
	s_cbranch_execnz .LBB25_3368
.LBB25_1318:
	s_or_b64 exec, exec, s[6:7]
	s_and_saveexec_b64 s[6:7], s[4:5]
	s_cbranch_execz .LBB25_1320
.LBB25_1319:
	v_and_b32_e32 v14, 7, v11
	v_ffbh_u32_e32 v21, v14
	v_min_u32_e32 v21, 32, v21
	v_lshrrev_b16_e32 v20, 3, v11
	v_subrev_u32_e32 v22, 28, v21
	v_and_b32_e32 v20, 15, v20
	v_lshlrev_b32_e32 v22, v22, v11
	v_sub_u32_e32 v21, 29, v21
	v_and_b32_e32 v22, 7, v22
	v_cmp_eq_u16_e32 vcc, 0, v20
	v_cndmask_b32_e32 v14, v14, v22, vcc
	v_cndmask_b32_e32 v20, v20, v21, vcc
	v_lshlrev_b32_e32 v21, 24, v11
	v_mov_b32_e32 v22, 0x3b800000
	v_lshlrev_b32_e32 v14, 20, v14
	v_and_b32_e32 v21, 0x80000000, v21
	v_lshl_add_u32 v20, v20, 23, v22
	v_or3_b32 v14, v21, v20, v14
.LBB25_1320:
	s_or_b64 exec, exec, s[6:7]
	s_nop 0
	v_mfma_f32_16x16x4f32 a[0:3], v10, v14, a[0:3]
	v_lshrrev_b32_e32 v14, 8, v15
	s_movk_i32 s4, 0x7f
	v_cmp_gt_i16_sdwa s[6:7], v14, s4 src0_sel:BYTE_0 src1_sel:DWORD
	s_mov_b64 s[4:5], 0
                                        ; implicit-def: $sgpr10
	s_and_saveexec_b64 s[8:9], s[6:7]
	s_xor_b64 s[6:7], exec, s[8:9]
	s_cbranch_execnz .LBB25_3369
; %bb.1321:
	s_or_saveexec_b64 s[6:7], s[6:7]
	v_mov_b32_e32 v10, s10
	s_xor_b64 exec, exec, s[6:7]
	s_cbranch_execnz .LBB25_3372
.LBB25_1322:
	s_or_b64 exec, exec, s[6:7]
	s_and_saveexec_b64 s[6:7], s[4:5]
	s_cbranch_execz .LBB25_1324
.LBB25_1323:
	v_bfe_u32 v10, v15, 8, 3
	v_ffbh_u32_e32 v21, v10
	v_min_u32_e32 v21, 32, v21
	v_lshrrev_b16_e32 v20, 3, v14
	v_subrev_u32_e32 v22, 28, v21
	v_and_b32_e32 v20, 15, v20
	v_lshlrev_b32_e32 v14, v22, v14
	v_sub_u32_e32 v21, 29, v21
	v_and_b32_e32 v14, 7, v14
	v_cmp_eq_u16_e32 vcc, 0, v20
	v_cndmask_b32_e32 v10, v10, v14, vcc
	v_cndmask_b32_e32 v14, v20, v21, vcc
	v_lshlrev_b32_e32 v20, 16, v15
	v_mov_b32_e32 v21, 0x3b800000
	v_lshlrev_b32_e32 v10, 20, v10
	v_and_b32_e32 v20, 0x80000000, v20
	v_lshl_add_u32 v14, v14, 23, v21
	v_or3_b32 v10, v20, v14, v10
.LBB25_1324:
	s_or_b64 exec, exec, s[6:7]
	v_lshrrev_b32_e32 v14, 8, v11
	s_movk_i32 s4, 0x7f
	v_cmp_gt_i16_sdwa s[6:7], v14, s4 src0_sel:BYTE_0 src1_sel:DWORD
	s_mov_b64 s[4:5], 0
                                        ; implicit-def: $sgpr10
	s_and_saveexec_b64 s[8:9], s[6:7]
	s_xor_b64 s[6:7], exec, s[8:9]
	s_cbranch_execnz .LBB25_3373
; %bb.1325:
	s_or_saveexec_b64 s[6:7], s[6:7]
	v_mov_b32_e32 v20, s10
	s_xor_b64 exec, exec, s[6:7]
	s_cbranch_execnz .LBB25_3376
.LBB25_1326:
	s_or_b64 exec, exec, s[6:7]
	s_and_saveexec_b64 s[6:7], s[4:5]
	s_cbranch_execz .LBB25_1328
.LBB25_1327:
	v_bfe_u32 v20, v11, 8, 3
	v_ffbh_u32_e32 v22, v20
	v_min_u32_e32 v22, 32, v22
	v_lshrrev_b16_e32 v21, 3, v14
	v_subrev_u32_e32 v23, 28, v22
	v_and_b32_e32 v21, 15, v21
	v_lshlrev_b32_e32 v14, v23, v14
	v_sub_u32_e32 v22, 29, v22
	v_and_b32_e32 v14, 7, v14
	v_cmp_eq_u16_e32 vcc, 0, v21
	v_cndmask_b32_e32 v14, v20, v14, vcc
	v_cndmask_b32_e32 v20, v21, v22, vcc
	v_lshlrev_b32_e32 v21, 16, v11
	v_mov_b32_e32 v22, 0x3b800000
	v_lshlrev_b32_e32 v14, 20, v14
	v_and_b32_e32 v21, 0x80000000, v21
	v_lshl_add_u32 v20, v20, 23, v22
	v_or3_b32 v20, v21, v20, v14
.LBB25_1328:
	s_or_b64 exec, exec, s[6:7]
	s_nop 0
	v_mfma_f32_16x16x4f32 a[0:3], v10, v20, a[0:3]
	s_movk_i32 s4, 0xff
	v_and_b32_sdwa v14, v15, s4 dst_sel:DWORD dst_unused:UNUSED_PAD src0_sel:WORD_1 src1_sel:DWORD
	s_movk_i32 s4, 0x7f
	v_cmp_lt_i16_e32 vcc, s4, v14
	s_mov_b64 s[4:5], 0
                                        ; implicit-def: $sgpr10
	s_and_saveexec_b64 s[6:7], vcc
	s_xor_b64 s[6:7], exec, s[6:7]
	s_cbranch_execnz .LBB25_3377
; %bb.1329:
	s_or_saveexec_b64 s[6:7], s[6:7]
	v_mov_b32_e32 v10, s10
	s_xor_b64 exec, exec, s[6:7]
	s_cbranch_execnz .LBB25_3380
.LBB25_1330:
	s_or_b64 exec, exec, s[6:7]
	s_and_saveexec_b64 s[6:7], s[4:5]
	s_cbranch_execz .LBB25_1332
.LBB25_1331:
	v_bfe_u32 v10, v15, 16, 3
	v_ffbh_u32_e32 v21, v10
	v_min_u32_e32 v21, 32, v21
	v_lshrrev_b32_e32 v14, 19, v15
	v_subrev_u32_e32 v22, 28, v21
	v_and_b32_e32 v14, 15, v14
	v_lshlrev_b32_sdwa v22, v22, v15 dst_sel:DWORD dst_unused:UNUSED_PAD src0_sel:DWORD src1_sel:WORD_1
	v_bfe_u32 v20, v15, 19, 4
	v_sub_u32_e32 v21, 29, v21
	v_and_b32_e32 v22, 7, v22
	v_cmp_eq_u16_e32 vcc, 0, v14
	v_cndmask_b32_e32 v10, v10, v22, vcc
	v_cndmask_b32_e32 v14, v20, v21, vcc
	v_lshlrev_b32_e32 v20, 8, v15
	v_mov_b32_e32 v21, 0x3b800000
	v_lshlrev_b32_e32 v10, 20, v10
	v_and_b32_e32 v20, 0x80000000, v20
	v_lshl_add_u32 v14, v14, 23, v21
	v_or3_b32 v10, v20, v14, v10
.LBB25_1332:
	s_or_b64 exec, exec, s[6:7]
	s_movk_i32 s4, 0xff
	v_and_b32_sdwa v14, v11, s4 dst_sel:DWORD dst_unused:UNUSED_PAD src0_sel:WORD_1 src1_sel:DWORD
	s_movk_i32 s4, 0x7f
	v_cmp_lt_i16_e32 vcc, s4, v14
	s_mov_b64 s[4:5], 0
                                        ; implicit-def: $sgpr10
	s_and_saveexec_b64 s[6:7], vcc
	s_xor_b64 s[6:7], exec, s[6:7]
	s_cbranch_execnz .LBB25_3381
; %bb.1333:
	s_or_saveexec_b64 s[6:7], s[6:7]
	v_mov_b32_e32 v20, s10
	s_xor_b64 exec, exec, s[6:7]
	s_cbranch_execnz .LBB25_3384
.LBB25_1334:
	s_or_b64 exec, exec, s[6:7]
	s_and_saveexec_b64 s[6:7], s[4:5]
	s_cbranch_execz .LBB25_1336
.LBB25_1335:
	v_bfe_u32 v14, v11, 16, 3
	v_ffbh_u32_e32 v22, v14
	v_min_u32_e32 v22, 32, v22
	v_lshrrev_b32_e32 v20, 19, v11
	v_subrev_u32_e32 v23, 28, v22
	v_and_b32_e32 v20, 15, v20
	v_lshlrev_b32_sdwa v23, v23, v11 dst_sel:DWORD dst_unused:UNUSED_PAD src0_sel:DWORD src1_sel:WORD_1
	v_bfe_u32 v21, v11, 19, 4
	v_sub_u32_e32 v22, 29, v22
	v_and_b32_e32 v23, 7, v23
	v_cmp_eq_u16_e32 vcc, 0, v20
	v_cndmask_b32_e32 v14, v14, v23, vcc
	v_cndmask_b32_e32 v20, v21, v22, vcc
	v_lshlrev_b32_e32 v21, 8, v11
	v_mov_b32_e32 v22, 0x3b800000
	v_lshlrev_b32_e32 v14, 20, v14
	v_and_b32_e32 v21, 0x80000000, v21
	v_lshl_add_u32 v20, v20, 23, v22
	v_or3_b32 v20, v21, v20, v14
.LBB25_1336:
	s_or_b64 exec, exec, s[6:7]
	s_nop 0
	v_mfma_f32_16x16x4f32 a[0:3], v10, v20, a[0:3]
	s_movk_i32 s4, 0x7f
	v_cmp_gt_i16_sdwa s[6:7], v15, s4 src0_sel:BYTE_3 src1_sel:DWORD
	s_mov_b64 s[4:5], 0
                                        ; implicit-def: $sgpr10
	s_and_saveexec_b64 s[8:9], s[6:7]
	s_xor_b64 s[6:7], exec, s[8:9]
	s_cbranch_execnz .LBB25_3385
; %bb.1337:
	s_or_saveexec_b64 s[6:7], s[6:7]
	v_mov_b32_e32 v10, s10
	s_xor_b64 exec, exec, s[6:7]
	s_cbranch_execnz .LBB25_3388
.LBB25_1338:
	s_or_b64 exec, exec, s[6:7]
	s_and_saveexec_b64 s[6:7], s[4:5]
	s_cbranch_execz .LBB25_1340
.LBB25_1339:
	v_bfe_u32 v10, v15, 24, 3
	v_ffbh_u32_e32 v22, v10
	v_min_u32_e32 v22, 32, v22
	v_lshrrev_b32_e32 v20, 27, v15
	v_subrev_u32_e32 v23, 28, v22
	v_and_b32_e32 v14, 0x80000000, v15
	v_and_b32_e32 v20, 15, v20
	v_bfe_u32 v21, v15, 27, 4
	v_lshlrev_b32_sdwa v15, v23, v15 dst_sel:DWORD dst_unused:UNUSED_PAD src0_sel:DWORD src1_sel:BYTE_3
	v_sub_u32_e32 v22, 29, v22
	v_and_b32_e32 v15, 7, v15
	v_cmp_eq_u16_e32 vcc, 0, v20
	v_cndmask_b32_e32 v10, v10, v15, vcc
	v_cndmask_b32_e32 v15, v21, v22, vcc
	v_mov_b32_e32 v20, 0x3b800000
	v_lshlrev_b32_e32 v10, 20, v10
	v_lshl_add_u32 v15, v15, 23, v20
	v_or3_b32 v10, v14, v15, v10
.LBB25_1340:
	s_or_b64 exec, exec, s[6:7]
	s_movk_i32 s4, 0x7f
	v_cmp_gt_i16_sdwa s[6:7], v11, s4 src0_sel:BYTE_3 src1_sel:DWORD
	s_mov_b64 s[4:5], 0
                                        ; implicit-def: $sgpr10
	s_and_saveexec_b64 s[8:9], s[6:7]
	s_xor_b64 s[6:7], exec, s[8:9]
	s_cbranch_execnz .LBB25_3389
; %bb.1341:
	s_or_saveexec_b64 s[6:7], s[6:7]
	v_mov_b32_e32 v14, s10
	s_xor_b64 exec, exec, s[6:7]
	s_cbranch_execnz .LBB25_3392
.LBB25_1342:
	s_or_b64 exec, exec, s[6:7]
	s_and_saveexec_b64 s[6:7], s[4:5]
	s_cbranch_execz .LBB25_1344
.LBB25_1343:
	v_bfe_u32 v14, v11, 24, 3
	v_ffbh_u32_e32 v22, v14
	v_min_u32_e32 v22, 32, v22
	v_lshrrev_b32_e32 v20, 27, v11
	v_subrev_u32_e32 v23, 28, v22
	v_and_b32_e32 v15, 0x80000000, v11
	v_and_b32_e32 v20, 15, v20
	v_bfe_u32 v21, v11, 27, 4
	v_lshlrev_b32_sdwa v11, v23, v11 dst_sel:DWORD dst_unused:UNUSED_PAD src0_sel:DWORD src1_sel:BYTE_3
	v_sub_u32_e32 v22, 29, v22
	v_and_b32_e32 v11, 7, v11
	v_cmp_eq_u16_e32 vcc, 0, v20
	v_cndmask_b32_e32 v11, v14, v11, vcc
	v_cndmask_b32_e32 v14, v21, v22, vcc
	v_mov_b32_e32 v20, 0x3b800000
	v_lshlrev_b32_e32 v11, 20, v11
	v_lshl_add_u32 v14, v14, 23, v20
	v_or3_b32 v14, v15, v14, v11
.LBB25_1344:
	s_or_b64 exec, exec, s[6:7]
	s_nop 0
	v_mfma_f32_16x16x4f32 a[0:3], v10, v14, a[0:3]
	s_movk_i32 s4, 0x7f
	v_cmp_gt_i16_sdwa s[6:7], v16, s4 src0_sel:BYTE_0 src1_sel:DWORD
	s_mov_b64 s[4:5], 0
                                        ; implicit-def: $sgpr10
	s_and_saveexec_b64 s[8:9], s[6:7]
	s_xor_b64 s[6:7], exec, s[8:9]
	s_cbranch_execnz .LBB25_3393
; %bb.1345:
	s_or_saveexec_b64 s[6:7], s[6:7]
	v_mov_b32_e32 v10, s10
	s_xor_b64 exec, exec, s[6:7]
	s_cbranch_execnz .LBB25_3396
.LBB25_1346:
	s_or_b64 exec, exec, s[6:7]
	s_and_saveexec_b64 s[6:7], s[4:5]
	s_cbranch_execz .LBB25_1348
.LBB25_1347:
	v_and_b32_e32 v10, 7, v16
	v_ffbh_u32_e32 v14, v10
	v_min_u32_e32 v14, 32, v14
	v_lshrrev_b16_e32 v11, 3, v16
	v_subrev_u32_e32 v15, 28, v14
	v_and_b32_e32 v11, 15, v11
	v_lshlrev_b32_e32 v15, v15, v16
	v_sub_u32_e32 v14, 29, v14
	v_and_b32_e32 v15, 7, v15
	v_cmp_eq_u16_e32 vcc, 0, v11
	v_cndmask_b32_e32 v10, v10, v15, vcc
	v_cndmask_b32_e32 v11, v11, v14, vcc
	v_lshlrev_b32_e32 v14, 24, v16
	v_mov_b32_e32 v15, 0x3b800000
	v_lshlrev_b32_e32 v10, 20, v10
	v_and_b32_e32 v14, 0x80000000, v14
	v_lshl_add_u32 v11, v11, 23, v15
	v_or3_b32 v10, v14, v11, v10
.LBB25_1348:
	s_or_b64 exec, exec, s[6:7]
	s_movk_i32 s4, 0x7f
	v_cmp_gt_i16_sdwa s[6:7], v12, s4 src0_sel:BYTE_0 src1_sel:DWORD
	s_mov_b64 s[4:5], 0
                                        ; implicit-def: $sgpr10
	s_and_saveexec_b64 s[8:9], s[6:7]
	s_xor_b64 s[6:7], exec, s[8:9]
	s_cbranch_execnz .LBB25_3397
; %bb.1349:
	s_or_saveexec_b64 s[6:7], s[6:7]
	v_mov_b32_e32 v11, s10
	s_xor_b64 exec, exec, s[6:7]
	s_cbranch_execnz .LBB25_3400
.LBB25_1350:
	s_or_b64 exec, exec, s[6:7]
	s_and_saveexec_b64 s[6:7], s[4:5]
	s_cbranch_execz .LBB25_1352
.LBB25_1351:
	v_and_b32_e32 v11, 7, v12
	v_ffbh_u32_e32 v15, v11
	v_min_u32_e32 v15, 32, v15
	v_lshrrev_b16_e32 v14, 3, v12
	v_subrev_u32_e32 v20, 28, v15
	v_and_b32_e32 v14, 15, v14
	v_lshlrev_b32_e32 v20, v20, v12
	v_sub_u32_e32 v15, 29, v15
	v_and_b32_e32 v20, 7, v20
	v_cmp_eq_u16_e32 vcc, 0, v14
	v_cndmask_b32_e32 v11, v11, v20, vcc
	v_cndmask_b32_e32 v14, v14, v15, vcc
	v_lshlrev_b32_e32 v15, 24, v12
	v_mov_b32_e32 v20, 0x3b800000
	v_lshlrev_b32_e32 v11, 20, v11
	v_and_b32_e32 v15, 0x80000000, v15
	v_lshl_add_u32 v14, v14, 23, v20
	v_or3_b32 v11, v15, v14, v11
.LBB25_1352:
	s_or_b64 exec, exec, s[6:7]
	s_nop 0
	v_mfma_f32_16x16x4f32 a[0:3], v10, v11, a[0:3]
	v_lshrrev_b32_e32 v11, 8, v16
	s_movk_i32 s4, 0x7f
	v_cmp_gt_i16_sdwa s[6:7], v11, s4 src0_sel:BYTE_0 src1_sel:DWORD
	s_mov_b64 s[4:5], 0
                                        ; implicit-def: $sgpr10
	s_and_saveexec_b64 s[8:9], s[6:7]
	s_xor_b64 s[6:7], exec, s[8:9]
	s_cbranch_execnz .LBB25_3401
; %bb.1353:
	s_or_saveexec_b64 s[6:7], s[6:7]
	v_mov_b32_e32 v10, s10
	s_xor_b64 exec, exec, s[6:7]
	s_cbranch_execnz .LBB25_3404
.LBB25_1354:
	s_or_b64 exec, exec, s[6:7]
	s_and_saveexec_b64 s[6:7], s[4:5]
	s_cbranch_execz .LBB25_1356
.LBB25_1355:
	v_bfe_u32 v10, v16, 8, 3
	v_ffbh_u32_e32 v15, v10
	v_min_u32_e32 v15, 32, v15
	v_lshrrev_b16_e32 v14, 3, v11
	v_subrev_u32_e32 v20, 28, v15
	v_and_b32_e32 v14, 15, v14
	v_lshlrev_b32_e32 v11, v20, v11
	v_sub_u32_e32 v15, 29, v15
	v_and_b32_e32 v11, 7, v11
	v_cmp_eq_u16_e32 vcc, 0, v14
	v_cndmask_b32_e32 v10, v10, v11, vcc
	v_cndmask_b32_e32 v11, v14, v15, vcc
	v_lshlrev_b32_e32 v14, 16, v16
	v_mov_b32_e32 v15, 0x3b800000
	v_lshlrev_b32_e32 v10, 20, v10
	v_and_b32_e32 v14, 0x80000000, v14
	v_lshl_add_u32 v11, v11, 23, v15
	v_or3_b32 v10, v14, v11, v10
.LBB25_1356:
	s_or_b64 exec, exec, s[6:7]
	v_lshrrev_b32_e32 v11, 8, v12
	s_movk_i32 s4, 0x7f
	v_cmp_gt_i16_sdwa s[6:7], v11, s4 src0_sel:BYTE_0 src1_sel:DWORD
	s_mov_b64 s[4:5], 0
                                        ; implicit-def: $sgpr10
	s_and_saveexec_b64 s[8:9], s[6:7]
	s_xor_b64 s[6:7], exec, s[8:9]
	s_cbranch_execnz .LBB25_3405
; %bb.1357:
	s_or_saveexec_b64 s[6:7], s[6:7]
	v_mov_b32_e32 v14, s10
	s_xor_b64 exec, exec, s[6:7]
	s_cbranch_execnz .LBB25_3408
.LBB25_1358:
	s_or_b64 exec, exec, s[6:7]
	s_and_saveexec_b64 s[6:7], s[4:5]
	s_cbranch_execz .LBB25_1360
.LBB25_1359:
	v_bfe_u32 v14, v12, 8, 3
	v_ffbh_u32_e32 v20, v14
	v_min_u32_e32 v20, 32, v20
	v_lshrrev_b16_e32 v15, 3, v11
	v_subrev_u32_e32 v21, 28, v20
	v_and_b32_e32 v15, 15, v15
	v_lshlrev_b32_e32 v11, v21, v11
	v_sub_u32_e32 v20, 29, v20
	v_and_b32_e32 v11, 7, v11
	v_cmp_eq_u16_e32 vcc, 0, v15
	v_cndmask_b32_e32 v11, v14, v11, vcc
	v_cndmask_b32_e32 v14, v15, v20, vcc
	v_lshlrev_b32_e32 v15, 16, v12
	v_mov_b32_e32 v20, 0x3b800000
	v_lshlrev_b32_e32 v11, 20, v11
	v_and_b32_e32 v15, 0x80000000, v15
	v_lshl_add_u32 v14, v14, 23, v20
	v_or3_b32 v14, v15, v14, v11
.LBB25_1360:
	s_or_b64 exec, exec, s[6:7]
	s_nop 0
	v_mfma_f32_16x16x4f32 a[0:3], v10, v14, a[0:3]
	s_movk_i32 s4, 0xff
	v_and_b32_sdwa v11, v16, s4 dst_sel:DWORD dst_unused:UNUSED_PAD src0_sel:WORD_1 src1_sel:DWORD
	s_movk_i32 s4, 0x7f
	v_cmp_lt_i16_e32 vcc, s4, v11
	s_mov_b64 s[4:5], 0
                                        ; implicit-def: $sgpr10
	s_and_saveexec_b64 s[6:7], vcc
	s_xor_b64 s[6:7], exec, s[6:7]
	s_cbranch_execnz .LBB25_3409
; %bb.1361:
	s_or_saveexec_b64 s[6:7], s[6:7]
	v_mov_b32_e32 v10, s10
	s_xor_b64 exec, exec, s[6:7]
	s_cbranch_execnz .LBB25_3412
.LBB25_1362:
	s_or_b64 exec, exec, s[6:7]
	s_and_saveexec_b64 s[6:7], s[4:5]
	s_cbranch_execz .LBB25_1364
.LBB25_1363:
	v_bfe_u32 v10, v16, 16, 3
	v_ffbh_u32_e32 v15, v10
	v_min_u32_e32 v15, 32, v15
	v_lshrrev_b32_e32 v11, 19, v16
	v_subrev_u32_e32 v20, 28, v15
	v_and_b32_e32 v11, 15, v11
	v_lshlrev_b32_sdwa v20, v20, v16 dst_sel:DWORD dst_unused:UNUSED_PAD src0_sel:DWORD src1_sel:WORD_1
	v_bfe_u32 v14, v16, 19, 4
	v_sub_u32_e32 v15, 29, v15
	v_and_b32_e32 v20, 7, v20
	v_cmp_eq_u16_e32 vcc, 0, v11
	v_cndmask_b32_e32 v10, v10, v20, vcc
	v_cndmask_b32_e32 v11, v14, v15, vcc
	v_lshlrev_b32_e32 v14, 8, v16
	v_mov_b32_e32 v15, 0x3b800000
	v_lshlrev_b32_e32 v10, 20, v10
	v_and_b32_e32 v14, 0x80000000, v14
	v_lshl_add_u32 v11, v11, 23, v15
	v_or3_b32 v10, v14, v11, v10
.LBB25_1364:
	s_or_b64 exec, exec, s[6:7]
	s_movk_i32 s4, 0xff
	v_and_b32_sdwa v11, v12, s4 dst_sel:DWORD dst_unused:UNUSED_PAD src0_sel:WORD_1 src1_sel:DWORD
	s_movk_i32 s4, 0x7f
	v_cmp_lt_i16_e32 vcc, s4, v11
	s_mov_b64 s[4:5], 0
                                        ; implicit-def: $sgpr10
	s_and_saveexec_b64 s[6:7], vcc
	s_xor_b64 s[6:7], exec, s[6:7]
	s_cbranch_execnz .LBB25_3413
; %bb.1365:
	s_or_saveexec_b64 s[6:7], s[6:7]
	v_mov_b32_e32 v14, s10
	s_xor_b64 exec, exec, s[6:7]
	s_cbranch_execnz .LBB25_3416
.LBB25_1366:
	s_or_b64 exec, exec, s[6:7]
	s_and_saveexec_b64 s[6:7], s[4:5]
	s_cbranch_execz .LBB25_1368
.LBB25_1367:
	v_bfe_u32 v11, v12, 16, 3
	v_ffbh_u32_e32 v20, v11
	v_min_u32_e32 v20, 32, v20
	v_lshrrev_b32_e32 v14, 19, v12
	v_subrev_u32_e32 v21, 28, v20
	v_and_b32_e32 v14, 15, v14
	v_lshlrev_b32_sdwa v21, v21, v12 dst_sel:DWORD dst_unused:UNUSED_PAD src0_sel:DWORD src1_sel:WORD_1
	v_bfe_u32 v15, v12, 19, 4
	v_sub_u32_e32 v20, 29, v20
	v_and_b32_e32 v21, 7, v21
	v_cmp_eq_u16_e32 vcc, 0, v14
	v_cndmask_b32_e32 v11, v11, v21, vcc
	v_cndmask_b32_e32 v14, v15, v20, vcc
	v_lshlrev_b32_e32 v15, 8, v12
	v_mov_b32_e32 v20, 0x3b800000
	v_lshlrev_b32_e32 v11, 20, v11
	v_and_b32_e32 v15, 0x80000000, v15
	v_lshl_add_u32 v14, v14, 23, v20
	v_or3_b32 v14, v15, v14, v11
.LBB25_1368:
	s_or_b64 exec, exec, s[6:7]
	s_nop 0
	v_mfma_f32_16x16x4f32 a[0:3], v10, v14, a[0:3]
	s_movk_i32 s4, 0x7f
	v_cmp_gt_i16_sdwa s[6:7], v16, s4 src0_sel:BYTE_3 src1_sel:DWORD
	s_mov_b64 s[4:5], 0
                                        ; implicit-def: $sgpr10
	s_and_saveexec_b64 s[8:9], s[6:7]
	s_xor_b64 s[6:7], exec, s[8:9]
	s_cbranch_execnz .LBB25_3417
; %bb.1369:
	s_or_saveexec_b64 s[6:7], s[6:7]
	v_mov_b32_e32 v10, s10
	s_xor_b64 exec, exec, s[6:7]
	s_cbranch_execnz .LBB25_3420
.LBB25_1370:
	s_or_b64 exec, exec, s[6:7]
	s_and_saveexec_b64 s[6:7], s[4:5]
	s_cbranch_execz .LBB25_1372
.LBB25_1371:
	v_bfe_u32 v10, v16, 24, 3
	v_ffbh_u32_e32 v20, v10
	v_min_u32_e32 v20, 32, v20
	v_lshrrev_b32_e32 v14, 27, v16
	v_subrev_u32_e32 v21, 28, v20
	v_and_b32_e32 v11, 0x80000000, v16
	v_and_b32_e32 v14, 15, v14
	v_bfe_u32 v15, v16, 27, 4
	v_lshlrev_b32_sdwa v16, v21, v16 dst_sel:DWORD dst_unused:UNUSED_PAD src0_sel:DWORD src1_sel:BYTE_3
	v_sub_u32_e32 v20, 29, v20
	v_and_b32_e32 v16, 7, v16
	v_cmp_eq_u16_e32 vcc, 0, v14
	v_cndmask_b32_e32 v10, v10, v16, vcc
	v_cndmask_b32_e32 v14, v15, v20, vcc
	v_mov_b32_e32 v15, 0x3b800000
	v_lshlrev_b32_e32 v10, 20, v10
	v_lshl_add_u32 v14, v14, 23, v15
	v_or3_b32 v10, v11, v14, v10
.LBB25_1372:
	s_or_b64 exec, exec, s[6:7]
	s_movk_i32 s4, 0x7f
	v_cmp_gt_i16_sdwa s[6:7], v12, s4 src0_sel:BYTE_3 src1_sel:DWORD
	s_mov_b64 s[4:5], 0
                                        ; implicit-def: $sgpr10
	s_and_saveexec_b64 s[8:9], s[6:7]
	s_xor_b64 s[6:7], exec, s[8:9]
	s_cbranch_execnz .LBB25_3421
; %bb.1373:
	s_or_saveexec_b64 s[6:7], s[6:7]
	v_mov_b32_e32 v11, s10
	s_xor_b64 exec, exec, s[6:7]
	s_cbranch_execnz .LBB25_3424
.LBB25_1374:
	s_or_b64 exec, exec, s[6:7]
	s_and_saveexec_b64 s[6:7], s[4:5]
	s_cbranch_execz .LBB25_1376
.LBB25_1375:
	v_bfe_u32 v11, v12, 24, 3
	v_ffbh_u32_e32 v20, v11
	v_min_u32_e32 v20, 32, v20
	v_lshrrev_b32_e32 v15, 27, v12
	v_subrev_u32_e32 v21, 28, v20
	v_and_b32_e32 v14, 0x80000000, v12
	v_and_b32_e32 v15, 15, v15
	v_bfe_u32 v16, v12, 27, 4
	v_lshlrev_b32_sdwa v12, v21, v12 dst_sel:DWORD dst_unused:UNUSED_PAD src0_sel:DWORD src1_sel:BYTE_3
	v_sub_u32_e32 v20, 29, v20
	v_and_b32_e32 v12, 7, v12
	v_cmp_eq_u16_e32 vcc, 0, v15
	v_cndmask_b32_e32 v11, v11, v12, vcc
	v_cndmask_b32_e32 v12, v16, v20, vcc
	v_mov_b32_e32 v15, 0x3b800000
	v_lshlrev_b32_e32 v11, 20, v11
	v_lshl_add_u32 v12, v12, 23, v15
	v_or3_b32 v11, v14, v12, v11
.LBB25_1376:
	s_or_b64 exec, exec, s[6:7]
	s_nop 0
	v_mfma_f32_16x16x4f32 a[0:3], v10, v11, a[0:3]
	s_movk_i32 s4, 0x7f
	v_cmp_gt_i16_sdwa s[6:7], v17, s4 src0_sel:BYTE_0 src1_sel:DWORD
	s_mov_b64 s[4:5], 0
                                        ; implicit-def: $sgpr10
	s_and_saveexec_b64 s[8:9], s[6:7]
	s_xor_b64 s[6:7], exec, s[8:9]
	s_cbranch_execnz .LBB25_3425
; %bb.1377:
	s_or_saveexec_b64 s[6:7], s[6:7]
	v_mov_b32_e32 v10, s10
	s_xor_b64 exec, exec, s[6:7]
	s_cbranch_execnz .LBB25_3428
.LBB25_1378:
	s_or_b64 exec, exec, s[6:7]
	s_and_saveexec_b64 s[6:7], s[4:5]
	s_cbranch_execz .LBB25_1380
.LBB25_1379:
	v_and_b32_e32 v10, 7, v17
	v_ffbh_u32_e32 v12, v10
	v_min_u32_e32 v12, 32, v12
	v_lshrrev_b16_e32 v11, 3, v17
	v_subrev_u32_e32 v14, 28, v12
	v_and_b32_e32 v11, 15, v11
	v_lshlrev_b32_e32 v14, v14, v17
	v_sub_u32_e32 v12, 29, v12
	v_and_b32_e32 v14, 7, v14
	v_cmp_eq_u16_e32 vcc, 0, v11
	v_cndmask_b32_e32 v10, v10, v14, vcc
	v_cndmask_b32_e32 v11, v11, v12, vcc
	v_lshlrev_b32_e32 v12, 24, v17
	v_mov_b32_e32 v14, 0x3b800000
	v_lshlrev_b32_e32 v10, 20, v10
	v_and_b32_e32 v12, 0x80000000, v12
	v_lshl_add_u32 v11, v11, 23, v14
	v_or3_b32 v10, v12, v11, v10
.LBB25_1380:
	s_or_b64 exec, exec, s[6:7]
	s_movk_i32 s4, 0x7f
	v_cmp_gt_i16_sdwa s[6:7], v13, s4 src0_sel:BYTE_0 src1_sel:DWORD
	s_mov_b64 s[4:5], 0
                                        ; implicit-def: $sgpr10
	s_and_saveexec_b64 s[8:9], s[6:7]
	s_xor_b64 s[6:7], exec, s[8:9]
	s_cbranch_execnz .LBB25_3429
; %bb.1381:
	s_or_saveexec_b64 s[6:7], s[6:7]
	v_mov_b32_e32 v11, s10
	s_xor_b64 exec, exec, s[6:7]
	s_cbranch_execnz .LBB25_3432
.LBB25_1382:
	s_or_b64 exec, exec, s[6:7]
	s_and_saveexec_b64 s[6:7], s[4:5]
	s_cbranch_execz .LBB25_1384
.LBB25_1383:
	v_and_b32_e32 v11, 7, v13
	v_ffbh_u32_e32 v14, v11
	v_min_u32_e32 v14, 32, v14
	v_lshrrev_b16_e32 v12, 3, v13
	v_subrev_u32_e32 v15, 28, v14
	v_and_b32_e32 v12, 15, v12
	v_lshlrev_b32_e32 v15, v15, v13
	v_sub_u32_e32 v14, 29, v14
	v_and_b32_e32 v15, 7, v15
	v_cmp_eq_u16_e32 vcc, 0, v12
	v_cndmask_b32_e32 v11, v11, v15, vcc
	v_cndmask_b32_e32 v12, v12, v14, vcc
	v_lshlrev_b32_e32 v14, 24, v13
	v_mov_b32_e32 v15, 0x3b800000
	v_lshlrev_b32_e32 v11, 20, v11
	v_and_b32_e32 v14, 0x80000000, v14
	v_lshl_add_u32 v12, v12, 23, v15
	v_or3_b32 v11, v14, v12, v11
.LBB25_1384:
	s_or_b64 exec, exec, s[6:7]
	s_nop 0
	v_mfma_f32_16x16x4f32 a[0:3], v10, v11, a[0:3]
	v_lshrrev_b32_e32 v11, 8, v17
	s_movk_i32 s4, 0x7f
	v_cmp_gt_i16_sdwa s[6:7], v11, s4 src0_sel:BYTE_0 src1_sel:DWORD
	s_mov_b64 s[4:5], 0
                                        ; implicit-def: $sgpr10
	s_and_saveexec_b64 s[8:9], s[6:7]
	s_xor_b64 s[6:7], exec, s[8:9]
	s_cbranch_execnz .LBB25_3433
; %bb.1385:
	s_or_saveexec_b64 s[6:7], s[6:7]
	v_mov_b32_e32 v10, s10
	s_xor_b64 exec, exec, s[6:7]
	s_cbranch_execnz .LBB25_3436
.LBB25_1386:
	s_or_b64 exec, exec, s[6:7]
	s_and_saveexec_b64 s[6:7], s[4:5]
	s_cbranch_execz .LBB25_1388
.LBB25_1387:
	v_bfe_u32 v10, v17, 8, 3
	v_ffbh_u32_e32 v14, v10
	v_min_u32_e32 v14, 32, v14
	v_lshrrev_b16_e32 v12, 3, v11
	v_subrev_u32_e32 v15, 28, v14
	v_and_b32_e32 v12, 15, v12
	v_lshlrev_b32_e32 v11, v15, v11
	v_sub_u32_e32 v14, 29, v14
	v_and_b32_e32 v11, 7, v11
	v_cmp_eq_u16_e32 vcc, 0, v12
	v_cndmask_b32_e32 v10, v10, v11, vcc
	v_cndmask_b32_e32 v11, v12, v14, vcc
	v_lshlrev_b32_e32 v12, 16, v17
	v_mov_b32_e32 v14, 0x3b800000
	v_lshlrev_b32_e32 v10, 20, v10
	v_and_b32_e32 v12, 0x80000000, v12
	v_lshl_add_u32 v11, v11, 23, v14
	v_or3_b32 v10, v12, v11, v10
.LBB25_1388:
	s_or_b64 exec, exec, s[6:7]
	v_lshrrev_b32_e32 v11, 8, v13
	s_movk_i32 s4, 0x7f
	v_cmp_gt_i16_sdwa s[6:7], v11, s4 src0_sel:BYTE_0 src1_sel:DWORD
	s_mov_b64 s[4:5], 0
                                        ; implicit-def: $sgpr10
	s_and_saveexec_b64 s[8:9], s[6:7]
	s_xor_b64 s[6:7], exec, s[8:9]
	s_cbranch_execnz .LBB25_3437
; %bb.1389:
	s_or_saveexec_b64 s[6:7], s[6:7]
	v_mov_b32_e32 v12, s10
	s_xor_b64 exec, exec, s[6:7]
	s_cbranch_execnz .LBB25_3440
.LBB25_1390:
	s_or_b64 exec, exec, s[6:7]
	s_and_saveexec_b64 s[6:7], s[4:5]
	s_cbranch_execz .LBB25_1392
.LBB25_1391:
	v_bfe_u32 v12, v13, 8, 3
	v_ffbh_u32_e32 v15, v12
	v_min_u32_e32 v15, 32, v15
	v_lshrrev_b16_e32 v14, 3, v11
	v_subrev_u32_e32 v16, 28, v15
	v_and_b32_e32 v14, 15, v14
	v_lshlrev_b32_e32 v11, v16, v11
	v_sub_u32_e32 v15, 29, v15
	v_and_b32_e32 v11, 7, v11
	v_cmp_eq_u16_e32 vcc, 0, v14
	v_cndmask_b32_e32 v11, v12, v11, vcc
	v_cndmask_b32_e32 v12, v14, v15, vcc
	v_lshlrev_b32_e32 v14, 16, v13
	v_mov_b32_e32 v15, 0x3b800000
	v_lshlrev_b32_e32 v11, 20, v11
	v_and_b32_e32 v14, 0x80000000, v14
	v_lshl_add_u32 v12, v12, 23, v15
	v_or3_b32 v12, v14, v12, v11
.LBB25_1392:
	s_or_b64 exec, exec, s[6:7]
	s_nop 0
	v_mfma_f32_16x16x4f32 a[0:3], v10, v12, a[0:3]
	s_movk_i32 s4, 0xff
	v_and_b32_sdwa v11, v17, s4 dst_sel:DWORD dst_unused:UNUSED_PAD src0_sel:WORD_1 src1_sel:DWORD
	s_movk_i32 s4, 0x7f
	v_cmp_lt_i16_e32 vcc, s4, v11
	s_mov_b64 s[4:5], 0
                                        ; implicit-def: $sgpr10
	s_and_saveexec_b64 s[6:7], vcc
	s_xor_b64 s[6:7], exec, s[6:7]
	s_cbranch_execnz .LBB25_3441
; %bb.1393:
	s_or_saveexec_b64 s[6:7], s[6:7]
	v_mov_b32_e32 v10, s10
	s_xor_b64 exec, exec, s[6:7]
	s_cbranch_execnz .LBB25_3444
.LBB25_1394:
	s_or_b64 exec, exec, s[6:7]
	s_and_saveexec_b64 s[6:7], s[4:5]
	s_cbranch_execz .LBB25_1396
.LBB25_1395:
	v_bfe_u32 v10, v17, 16, 3
	v_ffbh_u32_e32 v14, v10
	v_min_u32_e32 v14, 32, v14
	v_lshrrev_b32_e32 v11, 19, v17
	v_subrev_u32_e32 v15, 28, v14
	v_and_b32_e32 v11, 15, v11
	v_lshlrev_b32_sdwa v15, v15, v17 dst_sel:DWORD dst_unused:UNUSED_PAD src0_sel:DWORD src1_sel:WORD_1
	v_bfe_u32 v12, v17, 19, 4
	v_sub_u32_e32 v14, 29, v14
	v_and_b32_e32 v15, 7, v15
	v_cmp_eq_u16_e32 vcc, 0, v11
	v_cndmask_b32_e32 v10, v10, v15, vcc
	v_cndmask_b32_e32 v11, v12, v14, vcc
	v_lshlrev_b32_e32 v12, 8, v17
	v_mov_b32_e32 v14, 0x3b800000
	v_lshlrev_b32_e32 v10, 20, v10
	v_and_b32_e32 v12, 0x80000000, v12
	v_lshl_add_u32 v11, v11, 23, v14
	v_or3_b32 v10, v12, v11, v10
.LBB25_1396:
	s_or_b64 exec, exec, s[6:7]
	s_movk_i32 s4, 0xff
	v_and_b32_sdwa v11, v13, s4 dst_sel:DWORD dst_unused:UNUSED_PAD src0_sel:WORD_1 src1_sel:DWORD
	s_movk_i32 s4, 0x7f
	v_cmp_lt_i16_e32 vcc, s4, v11
	s_mov_b64 s[4:5], 0
                                        ; implicit-def: $sgpr10
	s_and_saveexec_b64 s[6:7], vcc
	s_xor_b64 s[6:7], exec, s[6:7]
	s_cbranch_execnz .LBB25_3445
; %bb.1397:
	s_or_saveexec_b64 s[6:7], s[6:7]
	v_mov_b32_e32 v12, s10
	s_xor_b64 exec, exec, s[6:7]
	s_cbranch_execnz .LBB25_3448
.LBB25_1398:
	s_or_b64 exec, exec, s[6:7]
	s_and_saveexec_b64 s[6:7], s[4:5]
	s_cbranch_execz .LBB25_1400
.LBB25_1399:
	v_bfe_u32 v11, v13, 16, 3
	v_ffbh_u32_e32 v15, v11
	v_min_u32_e32 v15, 32, v15
	v_lshrrev_b32_e32 v12, 19, v13
	v_subrev_u32_e32 v16, 28, v15
	v_and_b32_e32 v12, 15, v12
	v_lshlrev_b32_sdwa v16, v16, v13 dst_sel:DWORD dst_unused:UNUSED_PAD src0_sel:DWORD src1_sel:WORD_1
	v_bfe_u32 v14, v13, 19, 4
	v_sub_u32_e32 v15, 29, v15
	v_and_b32_e32 v16, 7, v16
	v_cmp_eq_u16_e32 vcc, 0, v12
	v_cndmask_b32_e32 v11, v11, v16, vcc
	v_cndmask_b32_e32 v12, v14, v15, vcc
	v_lshlrev_b32_e32 v14, 8, v13
	v_mov_b32_e32 v15, 0x3b800000
	v_lshlrev_b32_e32 v11, 20, v11
	v_and_b32_e32 v14, 0x80000000, v14
	v_lshl_add_u32 v12, v12, 23, v15
	v_or3_b32 v12, v14, v12, v11
.LBB25_1400:
	s_or_b64 exec, exec, s[6:7]
	s_nop 0
	v_mfma_f32_16x16x4f32 a[0:3], v10, v12, a[0:3]
	s_movk_i32 s4, 0x7f
	v_cmp_gt_i16_sdwa s[6:7], v17, s4 src0_sel:BYTE_3 src1_sel:DWORD
	s_mov_b64 s[4:5], 0
                                        ; implicit-def: $sgpr10
	s_and_saveexec_b64 s[8:9], s[6:7]
	s_xor_b64 s[6:7], exec, s[8:9]
	s_cbranch_execnz .LBB25_3449
; %bb.1401:
	s_or_saveexec_b64 s[6:7], s[6:7]
	v_mov_b32_e32 v10, s10
	s_xor_b64 exec, exec, s[6:7]
	s_cbranch_execnz .LBB25_3452
.LBB25_1402:
	s_or_b64 exec, exec, s[6:7]
	s_and_saveexec_b64 s[6:7], s[4:5]
	s_cbranch_execz .LBB25_1404
.LBB25_1403:
	v_bfe_u32 v10, v17, 24, 3
	v_ffbh_u32_e32 v15, v10
	v_min_u32_e32 v15, 32, v15
	v_lshrrev_b32_e32 v12, 27, v17
	v_subrev_u32_e32 v16, 28, v15
	v_and_b32_e32 v12, 15, v12
	v_lshlrev_b32_sdwa v16, v16, v17 dst_sel:DWORD dst_unused:UNUSED_PAD src0_sel:DWORD src1_sel:BYTE_3
	v_bfe_u32 v14, v17, 27, 4
	v_sub_u32_e32 v15, 29, v15
	v_and_b32_e32 v16, 7, v16
	v_cmp_eq_u16_e32 vcc, 0, v12
	v_cndmask_b32_e32 v10, v10, v16, vcc
	v_cndmask_b32_e32 v12, v14, v15, vcc
	v_mov_b32_e32 v14, 0x3b800000
	v_and_b32_e32 v11, 0x80000000, v17
	v_lshlrev_b32_e32 v10, 20, v10
	v_lshl_add_u32 v12, v12, 23, v14
	v_or3_b32 v10, v11, v12, v10
.LBB25_1404:
	s_or_b64 exec, exec, s[6:7]
	s_movk_i32 s4, 0x7f
	v_cmp_gt_i16_sdwa s[6:7], v13, s4 src0_sel:BYTE_3 src1_sel:DWORD
	s_mov_b64 s[4:5], 0
                                        ; implicit-def: $sgpr10
	s_and_saveexec_b64 s[8:9], s[6:7]
	s_xor_b64 s[6:7], exec, s[8:9]
	s_cbranch_execnz .LBB25_3453
; %bb.1405:
	s_or_saveexec_b64 s[6:7], s[6:7]
	v_mov_b32_e32 v11, s10
	s_xor_b64 exec, exec, s[6:7]
	s_cbranch_execnz .LBB25_3456
.LBB25_1406:
	s_or_b64 exec, exec, s[6:7]
	s_and_saveexec_b64 s[6:7], s[4:5]
	s_cbranch_execz .LBB25_1408
.LBB25_1407:
	v_bfe_u32 v11, v13, 24, 3
	v_ffbh_u32_e32 v16, v11
	v_min_u32_e32 v16, 32, v16
	v_lshrrev_b32_e32 v14, 27, v13
	v_subrev_u32_e32 v17, 28, v16
	v_and_b32_e32 v12, 0x80000000, v13
	v_and_b32_e32 v14, 15, v14
	v_bfe_u32 v15, v13, 27, 4
	v_lshlrev_b32_sdwa v13, v17, v13 dst_sel:DWORD dst_unused:UNUSED_PAD src0_sel:DWORD src1_sel:BYTE_3
	v_sub_u32_e32 v16, 29, v16
	v_and_b32_e32 v13, 7, v13
	v_cmp_eq_u16_e32 vcc, 0, v14
	v_cndmask_b32_e32 v11, v11, v13, vcc
	v_cndmask_b32_e32 v13, v15, v16, vcc
	v_mov_b32_e32 v14, 0x3b800000
	v_lshlrev_b32_e32 v11, 20, v11
	v_lshl_add_u32 v13, v13, 23, v14
	v_or3_b32 v11, v12, v13, v11
.LBB25_1408:
	s_or_b64 exec, exec, s[6:7]
	s_nop 0
	v_mfma_f32_16x16x4f32 a[0:3], v10, v11, a[0:3]
	s_movk_i32 s4, 0x7f
	v_cmp_gt_i16_sdwa s[6:7], v6, s4 src0_sel:BYTE_0 src1_sel:DWORD
	s_mov_b64 s[4:5], 0
                                        ; implicit-def: $sgpr10
	s_and_saveexec_b64 s[8:9], s[6:7]
	s_xor_b64 s[6:7], exec, s[8:9]
	s_cbranch_execnz .LBB25_3457
; %bb.1409:
	s_or_saveexec_b64 s[6:7], s[6:7]
	v_mov_b32_e32 v10, s10
	s_xor_b64 exec, exec, s[6:7]
	s_cbranch_execnz .LBB25_3460
.LBB25_1410:
	s_or_b64 exec, exec, s[6:7]
	s_and_saveexec_b64 s[6:7], s[4:5]
	s_cbranch_execz .LBB25_1412
.LBB25_1411:
	v_and_b32_e32 v10, 7, v6
	v_ffbh_u32_e32 v12, v10
	v_min_u32_e32 v12, 32, v12
	v_lshrrev_b16_e32 v11, 3, v6
	v_subrev_u32_e32 v13, 28, v12
	v_and_b32_e32 v11, 15, v11
	v_lshlrev_b32_e32 v13, v13, v6
	v_sub_u32_e32 v12, 29, v12
	v_and_b32_e32 v13, 7, v13
	v_cmp_eq_u16_e32 vcc, 0, v11
	v_cndmask_b32_e32 v10, v10, v13, vcc
	v_cndmask_b32_e32 v11, v11, v12, vcc
	v_lshlrev_b32_e32 v12, 24, v6
	v_mov_b32_e32 v13, 0x3b800000
	v_lshlrev_b32_e32 v10, 20, v10
	v_and_b32_e32 v12, 0x80000000, v12
	v_lshl_add_u32 v11, v11, 23, v13
	v_or3_b32 v10, v12, v11, v10
.LBB25_1412:
	s_or_b64 exec, exec, s[6:7]
	s_movk_i32 s4, 0x7f
	v_cmp_gt_i16_sdwa s[6:7], v2, s4 src0_sel:BYTE_0 src1_sel:DWORD
	s_mov_b64 s[4:5], 0
                                        ; implicit-def: $sgpr10
	s_and_saveexec_b64 s[8:9], s[6:7]
	s_xor_b64 s[6:7], exec, s[8:9]
	s_cbranch_execnz .LBB25_3461
; %bb.1413:
	s_or_saveexec_b64 s[6:7], s[6:7]
	v_mov_b32_e32 v11, s10
	s_xor_b64 exec, exec, s[6:7]
	s_cbranch_execnz .LBB25_3464
.LBB25_1414:
	s_or_b64 exec, exec, s[6:7]
	s_and_saveexec_b64 s[6:7], s[4:5]
	s_cbranch_execz .LBB25_1416
.LBB25_1415:
	v_and_b32_e32 v11, 7, v2
	v_ffbh_u32_e32 v13, v11
	v_min_u32_e32 v13, 32, v13
	v_lshrrev_b16_e32 v12, 3, v2
	v_subrev_u32_e32 v14, 28, v13
	v_and_b32_e32 v12, 15, v12
	v_lshlrev_b32_e32 v14, v14, v2
	v_sub_u32_e32 v13, 29, v13
	v_and_b32_e32 v14, 7, v14
	v_cmp_eq_u16_e32 vcc, 0, v12
	v_cndmask_b32_e32 v11, v11, v14, vcc
	v_cndmask_b32_e32 v12, v12, v13, vcc
	v_lshlrev_b32_e32 v13, 24, v2
	v_mov_b32_e32 v14, 0x3b800000
	v_lshlrev_b32_e32 v11, 20, v11
	v_and_b32_e32 v13, 0x80000000, v13
	v_lshl_add_u32 v12, v12, 23, v14
	v_or3_b32 v11, v13, v12, v11
.LBB25_1416:
	s_or_b64 exec, exec, s[6:7]
	s_nop 0
	v_mfma_f32_16x16x4f32 a[0:3], v10, v11, a[0:3]
	v_lshrrev_b32_e32 v11, 8, v6
	s_movk_i32 s4, 0x7f
	v_cmp_gt_i16_sdwa s[6:7], v11, s4 src0_sel:BYTE_0 src1_sel:DWORD
	s_mov_b64 s[4:5], 0
                                        ; implicit-def: $sgpr10
	s_and_saveexec_b64 s[8:9], s[6:7]
	s_xor_b64 s[6:7], exec, s[8:9]
	s_cbranch_execnz .LBB25_3465
; %bb.1417:
	s_or_saveexec_b64 s[6:7], s[6:7]
	v_mov_b32_e32 v10, s10
	s_xor_b64 exec, exec, s[6:7]
	s_cbranch_execnz .LBB25_3468
.LBB25_1418:
	s_or_b64 exec, exec, s[6:7]
	s_and_saveexec_b64 s[6:7], s[4:5]
	s_cbranch_execz .LBB25_1420
.LBB25_1419:
	v_bfe_u32 v10, v6, 8, 3
	v_ffbh_u32_e32 v13, v10
	v_min_u32_e32 v13, 32, v13
	v_lshrrev_b16_e32 v12, 3, v11
	v_subrev_u32_e32 v14, 28, v13
	v_and_b32_e32 v12, 15, v12
	v_lshlrev_b32_e32 v11, v14, v11
	v_sub_u32_e32 v13, 29, v13
	v_and_b32_e32 v11, 7, v11
	v_cmp_eq_u16_e32 vcc, 0, v12
	v_cndmask_b32_e32 v10, v10, v11, vcc
	v_cndmask_b32_e32 v11, v12, v13, vcc
	v_lshlrev_b32_e32 v12, 16, v6
	v_mov_b32_e32 v13, 0x3b800000
	v_lshlrev_b32_e32 v10, 20, v10
	v_and_b32_e32 v12, 0x80000000, v12
	v_lshl_add_u32 v11, v11, 23, v13
	v_or3_b32 v10, v12, v11, v10
.LBB25_1420:
	s_or_b64 exec, exec, s[6:7]
	v_lshrrev_b32_e32 v11, 8, v2
	s_movk_i32 s4, 0x7f
	v_cmp_gt_i16_sdwa s[6:7], v11, s4 src0_sel:BYTE_0 src1_sel:DWORD
	s_mov_b64 s[4:5], 0
                                        ; implicit-def: $sgpr10
	s_and_saveexec_b64 s[8:9], s[6:7]
	s_xor_b64 s[6:7], exec, s[8:9]
	s_cbranch_execnz .LBB25_3469
; %bb.1421:
	s_or_saveexec_b64 s[6:7], s[6:7]
	v_mov_b32_e32 v12, s10
	s_xor_b64 exec, exec, s[6:7]
	s_cbranch_execnz .LBB25_3472
.LBB25_1422:
	s_or_b64 exec, exec, s[6:7]
	s_and_saveexec_b64 s[6:7], s[4:5]
	s_cbranch_execz .LBB25_1424
.LBB25_1423:
	v_bfe_u32 v12, v2, 8, 3
	v_ffbh_u32_e32 v14, v12
	v_min_u32_e32 v14, 32, v14
	v_lshrrev_b16_e32 v13, 3, v11
	v_subrev_u32_e32 v15, 28, v14
	v_and_b32_e32 v13, 15, v13
	v_lshlrev_b32_e32 v11, v15, v11
	v_sub_u32_e32 v14, 29, v14
	v_and_b32_e32 v11, 7, v11
	v_cmp_eq_u16_e32 vcc, 0, v13
	v_cndmask_b32_e32 v11, v12, v11, vcc
	v_cndmask_b32_e32 v12, v13, v14, vcc
	v_lshlrev_b32_e32 v13, 16, v2
	v_mov_b32_e32 v14, 0x3b800000
	v_lshlrev_b32_e32 v11, 20, v11
	v_and_b32_e32 v13, 0x80000000, v13
	v_lshl_add_u32 v12, v12, 23, v14
	v_or3_b32 v12, v13, v12, v11
.LBB25_1424:
	s_or_b64 exec, exec, s[6:7]
	s_nop 0
	v_mfma_f32_16x16x4f32 a[0:3], v10, v12, a[0:3]
	s_movk_i32 s4, 0xff
	v_and_b32_sdwa v11, v6, s4 dst_sel:DWORD dst_unused:UNUSED_PAD src0_sel:WORD_1 src1_sel:DWORD
	s_movk_i32 s4, 0x7f
	v_cmp_lt_i16_e32 vcc, s4, v11
	s_mov_b64 s[4:5], 0
                                        ; implicit-def: $sgpr10
	s_and_saveexec_b64 s[6:7], vcc
	s_xor_b64 s[6:7], exec, s[6:7]
	s_cbranch_execnz .LBB25_3473
; %bb.1425:
	s_or_saveexec_b64 s[6:7], s[6:7]
	v_mov_b32_e32 v10, s10
	s_xor_b64 exec, exec, s[6:7]
	s_cbranch_execnz .LBB25_3476
.LBB25_1426:
	s_or_b64 exec, exec, s[6:7]
	s_and_saveexec_b64 s[6:7], s[4:5]
	s_cbranch_execz .LBB25_1428
.LBB25_1427:
	v_bfe_u32 v10, v6, 16, 3
	v_ffbh_u32_e32 v13, v10
	v_min_u32_e32 v13, 32, v13
	v_lshrrev_b32_e32 v11, 19, v6
	v_subrev_u32_e32 v14, 28, v13
	v_and_b32_e32 v11, 15, v11
	v_lshlrev_b32_sdwa v14, v14, v6 dst_sel:DWORD dst_unused:UNUSED_PAD src0_sel:DWORD src1_sel:WORD_1
	v_bfe_u32 v12, v6, 19, 4
	v_sub_u32_e32 v13, 29, v13
	v_and_b32_e32 v14, 7, v14
	v_cmp_eq_u16_e32 vcc, 0, v11
	v_cndmask_b32_e32 v10, v10, v14, vcc
	v_cndmask_b32_e32 v11, v12, v13, vcc
	v_lshlrev_b32_e32 v12, 8, v6
	v_mov_b32_e32 v13, 0x3b800000
	v_lshlrev_b32_e32 v10, 20, v10
	v_and_b32_e32 v12, 0x80000000, v12
	v_lshl_add_u32 v11, v11, 23, v13
	v_or3_b32 v10, v12, v11, v10
.LBB25_1428:
	s_or_b64 exec, exec, s[6:7]
	s_movk_i32 s4, 0xff
	v_and_b32_sdwa v11, v2, s4 dst_sel:DWORD dst_unused:UNUSED_PAD src0_sel:WORD_1 src1_sel:DWORD
	s_movk_i32 s4, 0x7f
	v_cmp_lt_i16_e32 vcc, s4, v11
	s_mov_b64 s[4:5], 0
                                        ; implicit-def: $sgpr10
	s_and_saveexec_b64 s[6:7], vcc
	s_xor_b64 s[6:7], exec, s[6:7]
	s_cbranch_execnz .LBB25_3477
; %bb.1429:
	s_or_saveexec_b64 s[6:7], s[6:7]
	v_mov_b32_e32 v12, s10
	s_xor_b64 exec, exec, s[6:7]
	s_cbranch_execnz .LBB25_3480
.LBB25_1430:
	s_or_b64 exec, exec, s[6:7]
	s_and_saveexec_b64 s[6:7], s[4:5]
	s_cbranch_execz .LBB25_1432
.LBB25_1431:
	v_bfe_u32 v11, v2, 16, 3
	v_ffbh_u32_e32 v14, v11
	v_min_u32_e32 v14, 32, v14
	v_lshrrev_b32_e32 v12, 19, v2
	v_subrev_u32_e32 v15, 28, v14
	v_and_b32_e32 v12, 15, v12
	v_lshlrev_b32_sdwa v15, v15, v2 dst_sel:DWORD dst_unused:UNUSED_PAD src0_sel:DWORD src1_sel:WORD_1
	v_bfe_u32 v13, v2, 19, 4
	v_sub_u32_e32 v14, 29, v14
	v_and_b32_e32 v15, 7, v15
	v_cmp_eq_u16_e32 vcc, 0, v12
	v_cndmask_b32_e32 v11, v11, v15, vcc
	v_cndmask_b32_e32 v12, v13, v14, vcc
	v_lshlrev_b32_e32 v13, 8, v2
	v_mov_b32_e32 v14, 0x3b800000
	v_lshlrev_b32_e32 v11, 20, v11
	v_and_b32_e32 v13, 0x80000000, v13
	v_lshl_add_u32 v12, v12, 23, v14
	v_or3_b32 v12, v13, v12, v11
.LBB25_1432:
	s_or_b64 exec, exec, s[6:7]
	s_nop 0
	v_mfma_f32_16x16x4f32 a[0:3], v10, v12, a[0:3]
	s_movk_i32 s4, 0x7f
	v_cmp_gt_i16_sdwa s[6:7], v6, s4 src0_sel:BYTE_3 src1_sel:DWORD
	s_mov_b64 s[4:5], 0
                                        ; implicit-def: $sgpr10
	s_and_saveexec_b64 s[8:9], s[6:7]
	s_xor_b64 s[6:7], exec, s[8:9]
	s_cbranch_execnz .LBB25_3481
; %bb.1433:
	s_or_saveexec_b64 s[6:7], s[6:7]
	v_mov_b32_e32 v10, s10
	s_xor_b64 exec, exec, s[6:7]
	s_cbranch_execnz .LBB25_3484
.LBB25_1434:
	s_or_b64 exec, exec, s[6:7]
	s_and_saveexec_b64 s[6:7], s[4:5]
	s_cbranch_execz .LBB25_1436
.LBB25_1435:
	v_bfe_u32 v10, v6, 24, 3
	v_ffbh_u32_e32 v14, v10
	v_min_u32_e32 v14, 32, v14
	v_lshrrev_b32_e32 v12, 27, v6
	v_subrev_u32_e32 v15, 28, v14
	v_and_b32_e32 v11, 0x80000000, v6
	v_and_b32_e32 v12, 15, v12
	v_bfe_u32 v13, v6, 27, 4
	v_lshlrev_b32_sdwa v6, v15, v6 dst_sel:DWORD dst_unused:UNUSED_PAD src0_sel:DWORD src1_sel:BYTE_3
	v_sub_u32_e32 v14, 29, v14
	v_and_b32_e32 v6, 7, v6
	v_cmp_eq_u16_e32 vcc, 0, v12
	v_cndmask_b32_e32 v6, v10, v6, vcc
	v_cndmask_b32_e32 v10, v13, v14, vcc
	v_mov_b32_e32 v12, 0x3b800000
	v_lshlrev_b32_e32 v6, 20, v6
	v_lshl_add_u32 v10, v10, 23, v12
	v_or3_b32 v10, v11, v10, v6
.LBB25_1436:
	s_or_b64 exec, exec, s[6:7]
	s_movk_i32 s4, 0x7f
	v_cmp_gt_i16_sdwa s[6:7], v2, s4 src0_sel:BYTE_3 src1_sel:DWORD
	s_mov_b64 s[4:5], 0
                                        ; implicit-def: $sgpr10
	s_and_saveexec_b64 s[8:9], s[6:7]
	s_xor_b64 s[6:7], exec, s[8:9]
	s_cbranch_execnz .LBB25_3485
; %bb.1437:
	s_or_saveexec_b64 s[6:7], s[6:7]
	v_mov_b32_e32 v6, s10
	s_xor_b64 exec, exec, s[6:7]
	s_cbranch_execnz .LBB25_3488
.LBB25_1438:
	s_or_b64 exec, exec, s[6:7]
	s_and_saveexec_b64 s[6:7], s[4:5]
	s_cbranch_execz .LBB25_1440
.LBB25_1439:
	v_bfe_u32 v6, v2, 24, 3
	v_ffbh_u32_e32 v14, v6
	v_min_u32_e32 v14, 32, v14
	v_lshrrev_b32_e32 v12, 27, v2
	v_subrev_u32_e32 v15, 28, v14
	v_and_b32_e32 v11, 0x80000000, v2
	v_and_b32_e32 v12, 15, v12
	v_bfe_u32 v13, v2, 27, 4
	v_lshlrev_b32_sdwa v2, v15, v2 dst_sel:DWORD dst_unused:UNUSED_PAD src0_sel:DWORD src1_sel:BYTE_3
	v_sub_u32_e32 v14, 29, v14
	v_and_b32_e32 v2, 7, v2
	v_cmp_eq_u16_e32 vcc, 0, v12
	v_cndmask_b32_e32 v2, v6, v2, vcc
	v_cndmask_b32_e32 v6, v13, v14, vcc
	v_mov_b32_e32 v12, 0x3b800000
	v_lshlrev_b32_e32 v2, 20, v2
	v_lshl_add_u32 v6, v6, 23, v12
	v_or3_b32 v6, v11, v6, v2
.LBB25_1440:
	s_or_b64 exec, exec, s[6:7]
	s_nop 0
	v_mfma_f32_16x16x4f32 a[0:3], v10, v6, a[0:3]
	s_movk_i32 s4, 0x7f
	v_cmp_gt_i16_sdwa s[6:7], v7, s4 src0_sel:BYTE_0 src1_sel:DWORD
	s_mov_b64 s[4:5], 0
                                        ; implicit-def: $sgpr10
	s_and_saveexec_b64 s[8:9], s[6:7]
	s_xor_b64 s[6:7], exec, s[8:9]
	s_cbranch_execnz .LBB25_3489
; %bb.1441:
	s_or_saveexec_b64 s[6:7], s[6:7]
	v_mov_b32_e32 v2, s10
	s_xor_b64 exec, exec, s[6:7]
	s_cbranch_execnz .LBB25_3492
.LBB25_1442:
	s_or_b64 exec, exec, s[6:7]
	s_and_saveexec_b64 s[6:7], s[4:5]
	s_cbranch_execz .LBB25_1444
.LBB25_1443:
	v_and_b32_e32 v2, 7, v7
	v_ffbh_u32_e32 v10, v2
	v_min_u32_e32 v10, 32, v10
	v_lshrrev_b16_e32 v6, 3, v7
	v_subrev_u32_e32 v11, 28, v10
	v_and_b32_e32 v6, 15, v6
	v_lshlrev_b32_e32 v11, v11, v7
	v_sub_u32_e32 v10, 29, v10
	v_and_b32_e32 v11, 7, v11
	v_cmp_eq_u16_e32 vcc, 0, v6
	v_cndmask_b32_e32 v2, v2, v11, vcc
	v_cndmask_b32_e32 v6, v6, v10, vcc
	v_lshlrev_b32_e32 v10, 24, v7
	v_mov_b32_e32 v11, 0x3b800000
	v_lshlrev_b32_e32 v2, 20, v2
	v_and_b32_e32 v10, 0x80000000, v10
	v_lshl_add_u32 v6, v6, 23, v11
	v_or3_b32 v2, v10, v6, v2
.LBB25_1444:
	s_or_b64 exec, exec, s[6:7]
	s_movk_i32 s4, 0x7f
	v_cmp_gt_i16_sdwa s[6:7], v3, s4 src0_sel:BYTE_0 src1_sel:DWORD
	s_mov_b64 s[4:5], 0
                                        ; implicit-def: $sgpr10
	s_and_saveexec_b64 s[8:9], s[6:7]
	s_xor_b64 s[6:7], exec, s[8:9]
	s_cbranch_execnz .LBB25_3493
; %bb.1445:
	s_or_saveexec_b64 s[6:7], s[6:7]
	v_mov_b32_e32 v6, s10
	s_xor_b64 exec, exec, s[6:7]
	s_cbranch_execnz .LBB25_3496
.LBB25_1446:
	s_or_b64 exec, exec, s[6:7]
	s_and_saveexec_b64 s[6:7], s[4:5]
	s_cbranch_execz .LBB25_1448
.LBB25_1447:
	v_and_b32_e32 v6, 7, v3
	v_ffbh_u32_e32 v11, v6
	v_min_u32_e32 v11, 32, v11
	v_lshrrev_b16_e32 v10, 3, v3
	v_subrev_u32_e32 v12, 28, v11
	v_and_b32_e32 v10, 15, v10
	v_lshlrev_b32_e32 v12, v12, v3
	v_sub_u32_e32 v11, 29, v11
	v_and_b32_e32 v12, 7, v12
	v_cmp_eq_u16_e32 vcc, 0, v10
	v_cndmask_b32_e32 v6, v6, v12, vcc
	v_cndmask_b32_e32 v10, v10, v11, vcc
	v_lshlrev_b32_e32 v11, 24, v3
	v_mov_b32_e32 v12, 0x3b800000
	v_lshlrev_b32_e32 v6, 20, v6
	v_and_b32_e32 v11, 0x80000000, v11
	v_lshl_add_u32 v10, v10, 23, v12
	v_or3_b32 v6, v11, v10, v6
.LBB25_1448:
	s_or_b64 exec, exec, s[6:7]
	s_nop 0
	v_mfma_f32_16x16x4f32 a[0:3], v2, v6, a[0:3]
	v_lshrrev_b32_e32 v6, 8, v7
	s_movk_i32 s4, 0x7f
	v_cmp_gt_i16_sdwa s[6:7], v6, s4 src0_sel:BYTE_0 src1_sel:DWORD
	s_mov_b64 s[4:5], 0
                                        ; implicit-def: $sgpr10
	s_and_saveexec_b64 s[8:9], s[6:7]
	s_xor_b64 s[6:7], exec, s[8:9]
	s_cbranch_execnz .LBB25_3497
; %bb.1449:
	s_or_saveexec_b64 s[6:7], s[6:7]
	v_mov_b32_e32 v2, s10
	s_xor_b64 exec, exec, s[6:7]
	s_cbranch_execnz .LBB25_3500
.LBB25_1450:
	s_or_b64 exec, exec, s[6:7]
	s_and_saveexec_b64 s[6:7], s[4:5]
	s_cbranch_execz .LBB25_1452
.LBB25_1451:
	v_bfe_u32 v2, v7, 8, 3
	v_ffbh_u32_e32 v11, v2
	v_min_u32_e32 v11, 32, v11
	v_lshrrev_b16_e32 v10, 3, v6
	v_subrev_u32_e32 v12, 28, v11
	v_and_b32_e32 v10, 15, v10
	v_lshlrev_b32_e32 v6, v12, v6
	v_sub_u32_e32 v11, 29, v11
	v_and_b32_e32 v6, 7, v6
	v_cmp_eq_u16_e32 vcc, 0, v10
	v_cndmask_b32_e32 v2, v2, v6, vcc
	v_cndmask_b32_e32 v6, v10, v11, vcc
	v_lshlrev_b32_e32 v10, 16, v7
	v_mov_b32_e32 v11, 0x3b800000
	v_lshlrev_b32_e32 v2, 20, v2
	v_and_b32_e32 v10, 0x80000000, v10
	v_lshl_add_u32 v6, v6, 23, v11
	v_or3_b32 v2, v10, v6, v2
.LBB25_1452:
	s_or_b64 exec, exec, s[6:7]
	v_lshrrev_b32_e32 v6, 8, v3
	s_movk_i32 s4, 0x7f
	v_cmp_gt_i16_sdwa s[6:7], v6, s4 src0_sel:BYTE_0 src1_sel:DWORD
	s_mov_b64 s[4:5], 0
                                        ; implicit-def: $sgpr10
	s_and_saveexec_b64 s[8:9], s[6:7]
	s_xor_b64 s[6:7], exec, s[8:9]
	s_cbranch_execnz .LBB25_3501
; %bb.1453:
	s_or_saveexec_b64 s[6:7], s[6:7]
	v_mov_b32_e32 v10, s10
	s_xor_b64 exec, exec, s[6:7]
	s_cbranch_execnz .LBB25_3504
.LBB25_1454:
	s_or_b64 exec, exec, s[6:7]
	s_and_saveexec_b64 s[6:7], s[4:5]
	s_cbranch_execz .LBB25_1456
.LBB25_1455:
	v_bfe_u32 v10, v3, 8, 3
	v_ffbh_u32_e32 v12, v10
	v_min_u32_e32 v12, 32, v12
	v_lshrrev_b16_e32 v11, 3, v6
	v_subrev_u32_e32 v13, 28, v12
	v_and_b32_e32 v11, 15, v11
	v_lshlrev_b32_e32 v6, v13, v6
	v_sub_u32_e32 v12, 29, v12
	v_and_b32_e32 v6, 7, v6
	v_cmp_eq_u16_e32 vcc, 0, v11
	v_cndmask_b32_e32 v6, v10, v6, vcc
	v_cndmask_b32_e32 v10, v11, v12, vcc
	v_lshlrev_b32_e32 v11, 16, v3
	v_mov_b32_e32 v12, 0x3b800000
	v_lshlrev_b32_e32 v6, 20, v6
	v_and_b32_e32 v11, 0x80000000, v11
	v_lshl_add_u32 v10, v10, 23, v12
	v_or3_b32 v10, v11, v10, v6
.LBB25_1456:
	s_or_b64 exec, exec, s[6:7]
	s_nop 0
	v_mfma_f32_16x16x4f32 a[0:3], v2, v10, a[0:3]
	s_movk_i32 s4, 0xff
	v_and_b32_sdwa v6, v7, s4 dst_sel:DWORD dst_unused:UNUSED_PAD src0_sel:WORD_1 src1_sel:DWORD
	s_movk_i32 s4, 0x7f
	v_cmp_lt_i16_e32 vcc, s4, v6
	s_mov_b64 s[4:5], 0
                                        ; implicit-def: $sgpr10
	s_and_saveexec_b64 s[6:7], vcc
	s_xor_b64 s[6:7], exec, s[6:7]
	s_cbranch_execnz .LBB25_3505
; %bb.1457:
	s_or_saveexec_b64 s[6:7], s[6:7]
	v_mov_b32_e32 v2, s10
	s_xor_b64 exec, exec, s[6:7]
	s_cbranch_execnz .LBB25_3508
.LBB25_1458:
	s_or_b64 exec, exec, s[6:7]
	s_and_saveexec_b64 s[6:7], s[4:5]
	s_cbranch_execz .LBB25_1460
.LBB25_1459:
	v_bfe_u32 v2, v7, 16, 3
	v_ffbh_u32_e32 v11, v2
	v_min_u32_e32 v11, 32, v11
	v_lshrrev_b32_e32 v6, 19, v7
	v_subrev_u32_e32 v12, 28, v11
	v_and_b32_e32 v6, 15, v6
	v_lshlrev_b32_sdwa v12, v12, v7 dst_sel:DWORD dst_unused:UNUSED_PAD src0_sel:DWORD src1_sel:WORD_1
	v_bfe_u32 v10, v7, 19, 4
	v_sub_u32_e32 v11, 29, v11
	v_and_b32_e32 v12, 7, v12
	v_cmp_eq_u16_e32 vcc, 0, v6
	v_cndmask_b32_e32 v2, v2, v12, vcc
	v_cndmask_b32_e32 v6, v10, v11, vcc
	v_lshlrev_b32_e32 v10, 8, v7
	v_mov_b32_e32 v11, 0x3b800000
	v_lshlrev_b32_e32 v2, 20, v2
	v_and_b32_e32 v10, 0x80000000, v10
	v_lshl_add_u32 v6, v6, 23, v11
	v_or3_b32 v2, v10, v6, v2
.LBB25_1460:
	s_or_b64 exec, exec, s[6:7]
	s_movk_i32 s4, 0xff
	v_and_b32_sdwa v6, v3, s4 dst_sel:DWORD dst_unused:UNUSED_PAD src0_sel:WORD_1 src1_sel:DWORD
	s_movk_i32 s4, 0x7f
	v_cmp_lt_i16_e32 vcc, s4, v6
	s_mov_b64 s[4:5], 0
                                        ; implicit-def: $sgpr10
	s_and_saveexec_b64 s[6:7], vcc
	s_xor_b64 s[6:7], exec, s[6:7]
	s_cbranch_execnz .LBB25_3509
; %bb.1461:
	s_or_saveexec_b64 s[6:7], s[6:7]
	v_mov_b32_e32 v10, s10
	s_xor_b64 exec, exec, s[6:7]
	s_cbranch_execnz .LBB25_3512
.LBB25_1462:
	s_or_b64 exec, exec, s[6:7]
	s_and_saveexec_b64 s[6:7], s[4:5]
	s_cbranch_execz .LBB25_1464
.LBB25_1463:
	v_bfe_u32 v6, v3, 16, 3
	v_ffbh_u32_e32 v12, v6
	v_min_u32_e32 v12, 32, v12
	v_lshrrev_b32_e32 v10, 19, v3
	v_subrev_u32_e32 v13, 28, v12
	v_and_b32_e32 v10, 15, v10
	v_lshlrev_b32_sdwa v13, v13, v3 dst_sel:DWORD dst_unused:UNUSED_PAD src0_sel:DWORD src1_sel:WORD_1
	v_bfe_u32 v11, v3, 19, 4
	v_sub_u32_e32 v12, 29, v12
	v_and_b32_e32 v13, 7, v13
	v_cmp_eq_u16_e32 vcc, 0, v10
	v_cndmask_b32_e32 v6, v6, v13, vcc
	v_cndmask_b32_e32 v10, v11, v12, vcc
	v_lshlrev_b32_e32 v11, 8, v3
	v_mov_b32_e32 v12, 0x3b800000
	v_lshlrev_b32_e32 v6, 20, v6
	v_and_b32_e32 v11, 0x80000000, v11
	v_lshl_add_u32 v10, v10, 23, v12
	v_or3_b32 v10, v11, v10, v6
.LBB25_1464:
	s_or_b64 exec, exec, s[6:7]
	s_nop 0
	v_mfma_f32_16x16x4f32 a[0:3], v2, v10, a[0:3]
	s_movk_i32 s4, 0x7f
	v_cmp_gt_i16_sdwa s[6:7], v7, s4 src0_sel:BYTE_3 src1_sel:DWORD
	s_mov_b64 s[4:5], 0
                                        ; implicit-def: $sgpr10
	s_and_saveexec_b64 s[8:9], s[6:7]
	s_xor_b64 s[6:7], exec, s[8:9]
	s_cbranch_execnz .LBB25_3513
; %bb.1465:
	s_or_saveexec_b64 s[6:7], s[6:7]
	v_mov_b32_e32 v2, s10
	s_xor_b64 exec, exec, s[6:7]
	s_cbranch_execnz .LBB25_3516
.LBB25_1466:
	s_or_b64 exec, exec, s[6:7]
	s_and_saveexec_b64 s[6:7], s[4:5]
	s_cbranch_execz .LBB25_1468
.LBB25_1467:
	v_bfe_u32 v2, v7, 24, 3
	v_ffbh_u32_e32 v12, v2
	v_min_u32_e32 v12, 32, v12
	v_lshrrev_b32_e32 v10, 27, v7
	v_subrev_u32_e32 v13, 28, v12
	v_and_b32_e32 v6, 0x80000000, v7
	v_and_b32_e32 v10, 15, v10
	v_bfe_u32 v11, v7, 27, 4
	v_lshlrev_b32_sdwa v7, v13, v7 dst_sel:DWORD dst_unused:UNUSED_PAD src0_sel:DWORD src1_sel:BYTE_3
	v_sub_u32_e32 v12, 29, v12
	v_and_b32_e32 v7, 7, v7
	v_cmp_eq_u16_e32 vcc, 0, v10
	v_cndmask_b32_e32 v2, v2, v7, vcc
	v_cndmask_b32_e32 v7, v11, v12, vcc
	v_mov_b32_e32 v10, 0x3b800000
	v_lshlrev_b32_e32 v2, 20, v2
	v_lshl_add_u32 v7, v7, 23, v10
	v_or3_b32 v2, v6, v7, v2
.LBB25_1468:
	s_or_b64 exec, exec, s[6:7]
	s_movk_i32 s4, 0x7f
	v_cmp_gt_i16_sdwa s[6:7], v3, s4 src0_sel:BYTE_3 src1_sel:DWORD
	s_mov_b64 s[4:5], 0
                                        ; implicit-def: $sgpr10
	s_and_saveexec_b64 s[8:9], s[6:7]
	s_xor_b64 s[6:7], exec, s[8:9]
	s_cbranch_execnz .LBB25_3517
; %bb.1469:
	s_or_saveexec_b64 s[6:7], s[6:7]
	v_mov_b32_e32 v6, s10
	s_xor_b64 exec, exec, s[6:7]
	s_cbranch_execnz .LBB25_3520
.LBB25_1470:
	s_or_b64 exec, exec, s[6:7]
	s_and_saveexec_b64 s[6:7], s[4:5]
	s_cbranch_execz .LBB25_1472
.LBB25_1471:
	v_bfe_u32 v6, v3, 24, 3
	v_ffbh_u32_e32 v12, v6
	v_min_u32_e32 v12, 32, v12
	v_lshrrev_b32_e32 v10, 27, v3
	v_subrev_u32_e32 v13, 28, v12
	v_and_b32_e32 v7, 0x80000000, v3
	v_and_b32_e32 v10, 15, v10
	v_bfe_u32 v11, v3, 27, 4
	v_lshlrev_b32_sdwa v3, v13, v3 dst_sel:DWORD dst_unused:UNUSED_PAD src0_sel:DWORD src1_sel:BYTE_3
	v_sub_u32_e32 v12, 29, v12
	v_and_b32_e32 v3, 7, v3
	v_cmp_eq_u16_e32 vcc, 0, v10
	v_cndmask_b32_e32 v3, v6, v3, vcc
	v_cndmask_b32_e32 v6, v11, v12, vcc
	v_mov_b32_e32 v10, 0x3b800000
	v_lshlrev_b32_e32 v3, 20, v3
	v_lshl_add_u32 v6, v6, 23, v10
	v_or3_b32 v6, v7, v6, v3
.LBB25_1472:
	s_or_b64 exec, exec, s[6:7]
	s_nop 0
	v_mfma_f32_16x16x4f32 a[0:3], v2, v6, a[0:3]
	s_movk_i32 s4, 0x7f
	v_cmp_gt_i16_sdwa s[6:7], v8, s4 src0_sel:BYTE_0 src1_sel:DWORD
	s_mov_b64 s[4:5], 0
                                        ; implicit-def: $sgpr10
	s_and_saveexec_b64 s[8:9], s[6:7]
	s_xor_b64 s[6:7], exec, s[8:9]
	s_cbranch_execnz .LBB25_3521
; %bb.1473:
	s_or_saveexec_b64 s[6:7], s[6:7]
	v_mov_b32_e32 v2, s10
	s_xor_b64 exec, exec, s[6:7]
	s_cbranch_execnz .LBB25_3524
.LBB25_1474:
	s_or_b64 exec, exec, s[6:7]
	s_and_saveexec_b64 s[6:7], s[4:5]
	s_cbranch_execz .LBB25_1476
.LBB25_1475:
	v_and_b32_e32 v2, 7, v8
	v_ffbh_u32_e32 v6, v2
	v_min_u32_e32 v6, 32, v6
	v_lshrrev_b16_e32 v3, 3, v8
	v_subrev_u32_e32 v7, 28, v6
	v_and_b32_e32 v3, 15, v3
	v_lshlrev_b32_e32 v7, v7, v8
	v_sub_u32_e32 v6, 29, v6
	v_and_b32_e32 v7, 7, v7
	v_cmp_eq_u16_e32 vcc, 0, v3
	v_cndmask_b32_e32 v2, v2, v7, vcc
	v_cndmask_b32_e32 v3, v3, v6, vcc
	v_lshlrev_b32_e32 v6, 24, v8
	v_mov_b32_e32 v7, 0x3b800000
	v_lshlrev_b32_e32 v2, 20, v2
	v_and_b32_e32 v6, 0x80000000, v6
	v_lshl_add_u32 v3, v3, 23, v7
	v_or3_b32 v2, v6, v3, v2
.LBB25_1476:
	s_or_b64 exec, exec, s[6:7]
	s_movk_i32 s4, 0x7f
	v_cmp_gt_i16_sdwa s[6:7], v4, s4 src0_sel:BYTE_0 src1_sel:DWORD
	s_mov_b64 s[4:5], 0
                                        ; implicit-def: $sgpr10
	s_and_saveexec_b64 s[8:9], s[6:7]
	s_xor_b64 s[6:7], exec, s[8:9]
	s_cbranch_execnz .LBB25_3525
; %bb.1477:
	s_or_saveexec_b64 s[6:7], s[6:7]
	v_mov_b32_e32 v3, s10
	s_xor_b64 exec, exec, s[6:7]
	s_cbranch_execnz .LBB25_3528
.LBB25_1478:
	s_or_b64 exec, exec, s[6:7]
	s_and_saveexec_b64 s[6:7], s[4:5]
	s_cbranch_execz .LBB25_1480
.LBB25_1479:
	v_and_b32_e32 v3, 7, v4
	v_ffbh_u32_e32 v7, v3
	v_min_u32_e32 v7, 32, v7
	v_lshrrev_b16_e32 v6, 3, v4
	v_subrev_u32_e32 v10, 28, v7
	v_and_b32_e32 v6, 15, v6
	v_lshlrev_b32_e32 v10, v10, v4
	v_sub_u32_e32 v7, 29, v7
	v_and_b32_e32 v10, 7, v10
	v_cmp_eq_u16_e32 vcc, 0, v6
	v_cndmask_b32_e32 v3, v3, v10, vcc
	v_cndmask_b32_e32 v6, v6, v7, vcc
	v_lshlrev_b32_e32 v7, 24, v4
	v_mov_b32_e32 v10, 0x3b800000
	v_lshlrev_b32_e32 v3, 20, v3
	v_and_b32_e32 v7, 0x80000000, v7
	v_lshl_add_u32 v6, v6, 23, v10
	v_or3_b32 v3, v7, v6, v3
.LBB25_1480:
	s_or_b64 exec, exec, s[6:7]
	s_nop 0
	v_mfma_f32_16x16x4f32 a[0:3], v2, v3, a[0:3]
	v_lshrrev_b32_e32 v3, 8, v8
	s_movk_i32 s4, 0x7f
	v_cmp_gt_i16_sdwa s[6:7], v3, s4 src0_sel:BYTE_0 src1_sel:DWORD
	s_mov_b64 s[4:5], 0
                                        ; implicit-def: $sgpr10
	s_and_saveexec_b64 s[8:9], s[6:7]
	s_xor_b64 s[6:7], exec, s[8:9]
	s_cbranch_execnz .LBB25_3529
; %bb.1481:
	s_or_saveexec_b64 s[6:7], s[6:7]
	v_mov_b32_e32 v2, s10
	s_xor_b64 exec, exec, s[6:7]
	s_cbranch_execnz .LBB25_3532
.LBB25_1482:
	s_or_b64 exec, exec, s[6:7]
	s_and_saveexec_b64 s[6:7], s[4:5]
	s_cbranch_execz .LBB25_1484
.LBB25_1483:
	v_bfe_u32 v2, v8, 8, 3
	v_ffbh_u32_e32 v7, v2
	v_min_u32_e32 v7, 32, v7
	v_lshrrev_b16_e32 v6, 3, v3
	v_subrev_u32_e32 v10, 28, v7
	v_and_b32_e32 v6, 15, v6
	v_lshlrev_b32_e32 v3, v10, v3
	v_sub_u32_e32 v7, 29, v7
	v_and_b32_e32 v3, 7, v3
	v_cmp_eq_u16_e32 vcc, 0, v6
	v_cndmask_b32_e32 v2, v2, v3, vcc
	v_cndmask_b32_e32 v3, v6, v7, vcc
	v_lshlrev_b32_e32 v6, 16, v8
	v_mov_b32_e32 v7, 0x3b800000
	v_lshlrev_b32_e32 v2, 20, v2
	v_and_b32_e32 v6, 0x80000000, v6
	v_lshl_add_u32 v3, v3, 23, v7
	v_or3_b32 v2, v6, v3, v2
.LBB25_1484:
	s_or_b64 exec, exec, s[6:7]
	v_lshrrev_b32_e32 v3, 8, v4
	s_movk_i32 s4, 0x7f
	v_cmp_gt_i16_sdwa s[6:7], v3, s4 src0_sel:BYTE_0 src1_sel:DWORD
	s_mov_b64 s[4:5], 0
                                        ; implicit-def: $sgpr10
	s_and_saveexec_b64 s[8:9], s[6:7]
	s_xor_b64 s[6:7], exec, s[8:9]
	s_cbranch_execnz .LBB25_3533
; %bb.1485:
	s_or_saveexec_b64 s[6:7], s[6:7]
	v_mov_b32_e32 v6, s10
	s_xor_b64 exec, exec, s[6:7]
	s_cbranch_execnz .LBB25_3536
.LBB25_1486:
	s_or_b64 exec, exec, s[6:7]
	s_and_saveexec_b64 s[6:7], s[4:5]
	s_cbranch_execz .LBB25_1488
.LBB25_1487:
	v_bfe_u32 v6, v4, 8, 3
	v_ffbh_u32_e32 v10, v6
	v_min_u32_e32 v10, 32, v10
	v_lshrrev_b16_e32 v7, 3, v3
	v_subrev_u32_e32 v11, 28, v10
	v_and_b32_e32 v7, 15, v7
	v_lshlrev_b32_e32 v3, v11, v3
	v_sub_u32_e32 v10, 29, v10
	v_and_b32_e32 v3, 7, v3
	v_cmp_eq_u16_e32 vcc, 0, v7
	v_cndmask_b32_e32 v3, v6, v3, vcc
	v_cndmask_b32_e32 v6, v7, v10, vcc
	v_lshlrev_b32_e32 v7, 16, v4
	v_mov_b32_e32 v10, 0x3b800000
	v_lshlrev_b32_e32 v3, 20, v3
	v_and_b32_e32 v7, 0x80000000, v7
	v_lshl_add_u32 v6, v6, 23, v10
	v_or3_b32 v6, v7, v6, v3
.LBB25_1488:
	s_or_b64 exec, exec, s[6:7]
	s_nop 0
	v_mfma_f32_16x16x4f32 a[0:3], v2, v6, a[0:3]
	s_movk_i32 s4, 0xff
	v_and_b32_sdwa v3, v8, s4 dst_sel:DWORD dst_unused:UNUSED_PAD src0_sel:WORD_1 src1_sel:DWORD
	s_movk_i32 s4, 0x7f
	v_cmp_lt_i16_e32 vcc, s4, v3
	s_mov_b64 s[4:5], 0
                                        ; implicit-def: $sgpr10
	s_and_saveexec_b64 s[6:7], vcc
	s_xor_b64 s[6:7], exec, s[6:7]
	s_cbranch_execnz .LBB25_3537
; %bb.1489:
	s_or_saveexec_b64 s[6:7], s[6:7]
	v_mov_b32_e32 v2, s10
	s_xor_b64 exec, exec, s[6:7]
	s_cbranch_execnz .LBB25_3540
.LBB25_1490:
	s_or_b64 exec, exec, s[6:7]
	s_and_saveexec_b64 s[6:7], s[4:5]
	s_cbranch_execz .LBB25_1492
.LBB25_1491:
	v_bfe_u32 v2, v8, 16, 3
	v_ffbh_u32_e32 v7, v2
	v_min_u32_e32 v7, 32, v7
	v_lshrrev_b32_e32 v3, 19, v8
	v_subrev_u32_e32 v10, 28, v7
	v_and_b32_e32 v3, 15, v3
	v_lshlrev_b32_sdwa v10, v10, v8 dst_sel:DWORD dst_unused:UNUSED_PAD src0_sel:DWORD src1_sel:WORD_1
	v_bfe_u32 v6, v8, 19, 4
	v_sub_u32_e32 v7, 29, v7
	v_and_b32_e32 v10, 7, v10
	v_cmp_eq_u16_e32 vcc, 0, v3
	v_cndmask_b32_e32 v2, v2, v10, vcc
	v_cndmask_b32_e32 v3, v6, v7, vcc
	v_lshlrev_b32_e32 v6, 8, v8
	v_mov_b32_e32 v7, 0x3b800000
	v_lshlrev_b32_e32 v2, 20, v2
	v_and_b32_e32 v6, 0x80000000, v6
	v_lshl_add_u32 v3, v3, 23, v7
	v_or3_b32 v2, v6, v3, v2
.LBB25_1492:
	s_or_b64 exec, exec, s[6:7]
	s_movk_i32 s4, 0xff
	v_and_b32_sdwa v3, v4, s4 dst_sel:DWORD dst_unused:UNUSED_PAD src0_sel:WORD_1 src1_sel:DWORD
	s_movk_i32 s4, 0x7f
	v_cmp_lt_i16_e32 vcc, s4, v3
	s_mov_b64 s[4:5], 0
                                        ; implicit-def: $sgpr10
	s_and_saveexec_b64 s[6:7], vcc
	s_xor_b64 s[6:7], exec, s[6:7]
	s_cbranch_execnz .LBB25_3541
; %bb.1493:
	s_or_saveexec_b64 s[6:7], s[6:7]
	v_mov_b32_e32 v6, s10
	s_xor_b64 exec, exec, s[6:7]
	s_cbranch_execnz .LBB25_3544
.LBB25_1494:
	s_or_b64 exec, exec, s[6:7]
	s_and_saveexec_b64 s[6:7], s[4:5]
	s_cbranch_execz .LBB25_1496
.LBB25_1495:
	v_bfe_u32 v3, v4, 16, 3
	v_ffbh_u32_e32 v10, v3
	v_min_u32_e32 v10, 32, v10
	v_lshrrev_b32_e32 v6, 19, v4
	v_subrev_u32_e32 v11, 28, v10
	v_and_b32_e32 v6, 15, v6
	v_lshlrev_b32_sdwa v11, v11, v4 dst_sel:DWORD dst_unused:UNUSED_PAD src0_sel:DWORD src1_sel:WORD_1
	v_bfe_u32 v7, v4, 19, 4
	v_sub_u32_e32 v10, 29, v10
	v_and_b32_e32 v11, 7, v11
	v_cmp_eq_u16_e32 vcc, 0, v6
	v_cndmask_b32_e32 v3, v3, v11, vcc
	v_cndmask_b32_e32 v6, v7, v10, vcc
	v_lshlrev_b32_e32 v7, 8, v4
	v_mov_b32_e32 v10, 0x3b800000
	v_lshlrev_b32_e32 v3, 20, v3
	v_and_b32_e32 v7, 0x80000000, v7
	v_lshl_add_u32 v6, v6, 23, v10
	v_or3_b32 v6, v7, v6, v3
.LBB25_1496:
	s_or_b64 exec, exec, s[6:7]
	s_nop 0
	v_mfma_f32_16x16x4f32 a[0:3], v2, v6, a[0:3]
	s_movk_i32 s4, 0x7f
	v_cmp_gt_i16_sdwa s[6:7], v8, s4 src0_sel:BYTE_3 src1_sel:DWORD
	s_mov_b64 s[4:5], 0
                                        ; implicit-def: $sgpr10
	s_and_saveexec_b64 s[8:9], s[6:7]
	s_xor_b64 s[6:7], exec, s[8:9]
	s_cbranch_execnz .LBB25_3545
; %bb.1497:
	s_or_saveexec_b64 s[6:7], s[6:7]
	v_mov_b32_e32 v2, s10
	s_xor_b64 exec, exec, s[6:7]
	s_cbranch_execnz .LBB25_3548
.LBB25_1498:
	s_or_b64 exec, exec, s[6:7]
	s_and_saveexec_b64 s[6:7], s[4:5]
	s_cbranch_execz .LBB25_1500
.LBB25_1499:
	v_bfe_u32 v2, v8, 24, 3
	v_ffbh_u32_e32 v10, v2
	v_min_u32_e32 v10, 32, v10
	v_lshrrev_b32_e32 v6, 27, v8
	v_subrev_u32_e32 v11, 28, v10
	v_and_b32_e32 v3, 0x80000000, v8
	v_and_b32_e32 v6, 15, v6
	v_bfe_u32 v7, v8, 27, 4
	v_lshlrev_b32_sdwa v8, v11, v8 dst_sel:DWORD dst_unused:UNUSED_PAD src0_sel:DWORD src1_sel:BYTE_3
	v_sub_u32_e32 v10, 29, v10
	v_and_b32_e32 v8, 7, v8
	v_cmp_eq_u16_e32 vcc, 0, v6
	v_cndmask_b32_e32 v2, v2, v8, vcc
	v_cndmask_b32_e32 v6, v7, v10, vcc
	v_mov_b32_e32 v7, 0x3b800000
	v_lshlrev_b32_e32 v2, 20, v2
	v_lshl_add_u32 v6, v6, 23, v7
	v_or3_b32 v2, v3, v6, v2
.LBB25_1500:
	s_or_b64 exec, exec, s[6:7]
	s_movk_i32 s4, 0x7f
	v_cmp_gt_i16_sdwa s[6:7], v4, s4 src0_sel:BYTE_3 src1_sel:DWORD
	s_mov_b64 s[4:5], 0
                                        ; implicit-def: $sgpr10
	s_and_saveexec_b64 s[8:9], s[6:7]
	s_xor_b64 s[6:7], exec, s[8:9]
	s_cbranch_execnz .LBB25_3549
; %bb.1501:
	s_or_saveexec_b64 s[6:7], s[6:7]
	v_mov_b32_e32 v3, s10
	s_xor_b64 exec, exec, s[6:7]
	s_cbranch_execnz .LBB25_3552
.LBB25_1502:
	s_or_b64 exec, exec, s[6:7]
	s_and_saveexec_b64 s[6:7], s[4:5]
	s_cbranch_execz .LBB25_1504
.LBB25_1503:
	v_bfe_u32 v3, v4, 24, 3
	v_ffbh_u32_e32 v10, v3
	v_min_u32_e32 v10, 32, v10
	v_lshrrev_b32_e32 v7, 27, v4
	v_subrev_u32_e32 v11, 28, v10
	v_and_b32_e32 v6, 0x80000000, v4
	v_and_b32_e32 v7, 15, v7
	v_bfe_u32 v8, v4, 27, 4
	v_lshlrev_b32_sdwa v4, v11, v4 dst_sel:DWORD dst_unused:UNUSED_PAD src0_sel:DWORD src1_sel:BYTE_3
	v_sub_u32_e32 v10, 29, v10
	v_and_b32_e32 v4, 7, v4
	v_cmp_eq_u16_e32 vcc, 0, v7
	v_cndmask_b32_e32 v3, v3, v4, vcc
	v_cndmask_b32_e32 v4, v8, v10, vcc
	v_mov_b32_e32 v7, 0x3b800000
	v_lshlrev_b32_e32 v3, 20, v3
	v_lshl_add_u32 v4, v4, 23, v7
	v_or3_b32 v3, v6, v4, v3
.LBB25_1504:
	s_or_b64 exec, exec, s[6:7]
	s_nop 0
	v_mfma_f32_16x16x4f32 a[0:3], v2, v3, a[0:3]
	s_movk_i32 s4, 0x7f
	v_cmp_gt_i16_sdwa s[6:7], v9, s4 src0_sel:BYTE_0 src1_sel:DWORD
	s_mov_b64 s[4:5], 0
                                        ; implicit-def: $sgpr10
	s_and_saveexec_b64 s[8:9], s[6:7]
	s_xor_b64 s[6:7], exec, s[8:9]
	s_cbranch_execnz .LBB25_3553
; %bb.1505:
	s_or_saveexec_b64 s[6:7], s[6:7]
	v_mov_b32_e32 v2, s10
	s_xor_b64 exec, exec, s[6:7]
	s_cbranch_execnz .LBB25_3556
.LBB25_1506:
	s_or_b64 exec, exec, s[6:7]
	s_and_saveexec_b64 s[6:7], s[4:5]
	s_cbranch_execz .LBB25_1508
.LBB25_1507:
	v_mov_b32_e32 v2, 8
	v_and_b32_e32 v3, 7, v9
	v_lshrrev_b32_sdwa v2, v2, v9 dst_sel:BYTE_1 dst_unused:UNUSED_PAD src0_sel:DWORD src1_sel:DWORD
	v_ffbh_u32_e32 v4, v3
	v_or_b32_sdwa v2, v9, v2 dst_sel:DWORD dst_unused:UNUSED_PAD src0_sel:BYTE_0 src1_sel:DWORD
	v_min_u32_e32 v4, 32, v4
	v_lshrrev_b16_e32 v2, 3, v2
	v_subrev_u32_e32 v6, 28, v4
	v_and_b32_e32 v2, 15, v2
	v_lshlrev_b32_e32 v6, v6, v9
	v_sub_u32_e32 v4, 29, v4
	v_and_b32_e32 v6, 7, v6
	v_cmp_eq_u16_e32 vcc, 0, v2
	v_cndmask_b32_e32 v3, v3, v6, vcc
	v_cndmask_b32_e32 v2, v2, v4, vcc
	v_lshlrev_b32_e32 v4, 24, v9
	v_mov_b32_e32 v6, 0x3b800000
	v_lshlrev_b32_e32 v3, 20, v3
	v_and_b32_e32 v4, 0x80000000, v4
	v_lshl_add_u32 v2, v2, 23, v6
	v_or3_b32 v2, v4, v2, v3
.LBB25_1508:
	s_or_b64 exec, exec, s[6:7]
	s_movk_i32 s4, 0x7f
	v_cmp_gt_i16_sdwa s[6:7], v5, s4 src0_sel:BYTE_0 src1_sel:DWORD
	s_mov_b64 s[4:5], 0
                                        ; implicit-def: $sgpr10
	s_and_saveexec_b64 s[8:9], s[6:7]
	s_xor_b64 s[6:7], exec, s[8:9]
	s_cbranch_execnz .LBB25_3557
; %bb.1509:
	s_or_saveexec_b64 s[6:7], s[6:7]
	v_mov_b32_e32 v3, s10
	s_xor_b64 exec, exec, s[6:7]
	s_cbranch_execnz .LBB25_3560
.LBB25_1510:
	s_or_b64 exec, exec, s[6:7]
	s_and_saveexec_b64 s[6:7], s[4:5]
	s_cbranch_execz .LBB25_1512
.LBB25_1511:
	v_mov_b32_e32 v3, 8
	v_and_b32_e32 v4, 7, v5
	v_lshrrev_b32_sdwa v3, v3, v5 dst_sel:BYTE_1 dst_unused:UNUSED_PAD src0_sel:DWORD src1_sel:DWORD
	v_ffbh_u32_e32 v6, v4
	v_or_b32_sdwa v3, v5, v3 dst_sel:DWORD dst_unused:UNUSED_PAD src0_sel:BYTE_0 src1_sel:DWORD
	v_min_u32_e32 v6, 32, v6
	v_lshrrev_b16_e32 v3, 3, v3
	v_subrev_u32_e32 v7, 28, v6
	v_and_b32_e32 v3, 15, v3
	v_lshlrev_b32_e32 v7, v7, v5
	v_sub_u32_e32 v6, 29, v6
	v_and_b32_e32 v7, 7, v7
	v_cmp_eq_u16_e32 vcc, 0, v3
	v_cndmask_b32_e32 v4, v4, v7, vcc
	v_cndmask_b32_e32 v3, v3, v6, vcc
	v_lshlrev_b32_e32 v6, 24, v5
	v_mov_b32_e32 v7, 0x3b800000
	v_lshlrev_b32_e32 v4, 20, v4
	v_and_b32_e32 v6, 0x80000000, v6
	v_lshl_add_u32 v3, v3, 23, v7
	v_or3_b32 v3, v6, v3, v4
.LBB25_1512:
	s_or_b64 exec, exec, s[6:7]
	s_nop 0
	v_mfma_f32_16x16x4f32 a[0:3], v2, v3, a[0:3]
	v_lshrrev_b32_e32 v3, 8, v9
	s_movk_i32 s4, 0x7f
	v_cmp_gt_i16_sdwa s[6:7], v3, s4 src0_sel:BYTE_0 src1_sel:DWORD
	s_mov_b64 s[4:5], 0
                                        ; implicit-def: $sgpr10
	s_and_saveexec_b64 s[8:9], s[6:7]
	s_xor_b64 s[6:7], exec, s[8:9]
	s_cbranch_execnz .LBB25_3561
; %bb.1513:
	s_or_saveexec_b64 s[6:7], s[6:7]
	v_mov_b32_e32 v2, s10
	s_xor_b64 exec, exec, s[6:7]
	s_cbranch_execnz .LBB25_3564
.LBB25_1514:
	s_or_b64 exec, exec, s[6:7]
	s_and_saveexec_b64 s[6:7], s[4:5]
	s_cbranch_execz .LBB25_1516
.LBB25_1515:
	v_bfe_u32 v2, v9, 8, 3
	v_ffbh_u32_e32 v6, v2
	v_min_u32_e32 v6, 32, v6
	v_lshrrev_b16_e32 v4, 3, v3
	v_subrev_u32_e32 v7, 28, v6
	v_and_b32_e32 v4, 15, v4
	v_lshlrev_b32_e32 v3, v7, v3
	v_sub_u32_e32 v6, 29, v6
	v_and_b32_e32 v3, 7, v3
	v_cmp_eq_u16_e32 vcc, 0, v4
	v_cndmask_b32_e32 v2, v2, v3, vcc
	v_cndmask_b32_e32 v3, v4, v6, vcc
	v_lshlrev_b32_e32 v4, 16, v9
	v_mov_b32_e32 v6, 0x3b800000
	v_lshlrev_b32_e32 v2, 20, v2
	v_and_b32_e32 v4, 0x80000000, v4
	v_lshl_add_u32 v3, v3, 23, v6
	v_or3_b32 v2, v4, v3, v2
.LBB25_1516:
	s_or_b64 exec, exec, s[6:7]
	v_lshrrev_b32_e32 v3, 8, v5
	s_movk_i32 s4, 0x7f
	v_cmp_gt_i16_sdwa s[6:7], v3, s4 src0_sel:BYTE_0 src1_sel:DWORD
	s_mov_b64 s[4:5], 0
                                        ; implicit-def: $sgpr10
	s_and_saveexec_b64 s[8:9], s[6:7]
	s_xor_b64 s[6:7], exec, s[8:9]
	s_cbranch_execnz .LBB25_3565
; %bb.1517:
	s_or_saveexec_b64 s[6:7], s[6:7]
	v_mov_b32_e32 v4, s10
	s_xor_b64 exec, exec, s[6:7]
	s_cbranch_execnz .LBB25_3568
.LBB25_1518:
	s_or_b64 exec, exec, s[6:7]
	s_and_saveexec_b64 s[6:7], s[4:5]
	s_cbranch_execz .LBB25_1520
.LBB25_1519:
	v_bfe_u32 v4, v5, 8, 3
	v_ffbh_u32_e32 v7, v4
	v_min_u32_e32 v7, 32, v7
	v_lshrrev_b16_e32 v6, 3, v3
	v_subrev_u32_e32 v8, 28, v7
	v_and_b32_e32 v6, 15, v6
	v_lshlrev_b32_e32 v3, v8, v3
	v_sub_u32_e32 v7, 29, v7
	v_and_b32_e32 v3, 7, v3
	v_cmp_eq_u16_e32 vcc, 0, v6
	v_cndmask_b32_e32 v3, v4, v3, vcc
	v_cndmask_b32_e32 v4, v6, v7, vcc
	v_lshlrev_b32_e32 v6, 16, v5
	v_mov_b32_e32 v7, 0x3b800000
	v_lshlrev_b32_e32 v3, 20, v3
	v_and_b32_e32 v6, 0x80000000, v6
	v_lshl_add_u32 v4, v4, 23, v7
	v_or3_b32 v4, v6, v4, v3
.LBB25_1520:
	s_or_b64 exec, exec, s[6:7]
	s_nop 0
	v_mfma_f32_16x16x4f32 a[0:3], v2, v4, a[0:3]
	s_movk_i32 s4, 0xff
	v_and_b32_sdwa v3, v9, s4 dst_sel:DWORD dst_unused:UNUSED_PAD src0_sel:WORD_1 src1_sel:DWORD
	s_movk_i32 s4, 0x7f
	v_cmp_lt_i16_e32 vcc, s4, v3
	s_mov_b64 s[4:5], 0
                                        ; implicit-def: $sgpr10
	s_and_saveexec_b64 s[6:7], vcc
	s_xor_b64 s[6:7], exec, s[6:7]
	s_cbranch_execnz .LBB25_3569
; %bb.1521:
	s_or_saveexec_b64 s[6:7], s[6:7]
	v_mov_b32_e32 v2, s10
	s_xor_b64 exec, exec, s[6:7]
	s_cbranch_execnz .LBB25_3572
.LBB25_1522:
	s_or_b64 exec, exec, s[6:7]
	s_and_saveexec_b64 s[6:7], s[4:5]
	s_cbranch_execz .LBB25_1524
.LBB25_1523:
	v_bfe_u32 v2, v9, 16, 3
	v_ffbh_u32_e32 v6, v2
	v_min_u32_e32 v6, 32, v6
	v_lshrrev_b32_e32 v3, 19, v9
	v_subrev_u32_e32 v7, 28, v6
	v_and_b32_e32 v3, 15, v3
	v_lshlrev_b32_sdwa v7, v7, v9 dst_sel:DWORD dst_unused:UNUSED_PAD src0_sel:DWORD src1_sel:WORD_1
	v_bfe_u32 v4, v9, 19, 4
	v_sub_u32_e32 v6, 29, v6
	v_and_b32_e32 v7, 7, v7
	v_cmp_eq_u16_e32 vcc, 0, v3
	v_cndmask_b32_e32 v2, v2, v7, vcc
	v_cndmask_b32_e32 v3, v4, v6, vcc
	v_lshlrev_b32_e32 v4, 8, v9
	v_mov_b32_e32 v6, 0x3b800000
	v_lshlrev_b32_e32 v2, 20, v2
	v_and_b32_e32 v4, 0x80000000, v4
	v_lshl_add_u32 v3, v3, 23, v6
	v_or3_b32 v2, v4, v3, v2
.LBB25_1524:
	s_or_b64 exec, exec, s[6:7]
	s_movk_i32 s4, 0xff
	v_and_b32_sdwa v3, v5, s4 dst_sel:DWORD dst_unused:UNUSED_PAD src0_sel:WORD_1 src1_sel:DWORD
	s_movk_i32 s4, 0x7f
	v_cmp_lt_i16_e32 vcc, s4, v3
	s_mov_b64 s[4:5], 0
                                        ; implicit-def: $sgpr10
	s_and_saveexec_b64 s[6:7], vcc
	s_xor_b64 s[6:7], exec, s[6:7]
	s_cbranch_execnz .LBB25_3573
; %bb.1525:
	s_or_saveexec_b64 s[6:7], s[6:7]
	v_mov_b32_e32 v4, s10
	s_xor_b64 exec, exec, s[6:7]
	s_cbranch_execnz .LBB25_3576
.LBB25_1526:
	s_or_b64 exec, exec, s[6:7]
	s_and_saveexec_b64 s[6:7], s[4:5]
	s_cbranch_execz .LBB25_1528
.LBB25_1527:
	v_bfe_u32 v3, v5, 16, 3
	v_ffbh_u32_e32 v7, v3
	v_min_u32_e32 v7, 32, v7
	v_lshrrev_b32_e32 v4, 19, v5
	v_subrev_u32_e32 v8, 28, v7
	v_and_b32_e32 v4, 15, v4
	v_lshlrev_b32_sdwa v8, v8, v5 dst_sel:DWORD dst_unused:UNUSED_PAD src0_sel:DWORD src1_sel:WORD_1
	v_bfe_u32 v6, v5, 19, 4
	v_sub_u32_e32 v7, 29, v7
	v_and_b32_e32 v8, 7, v8
	v_cmp_eq_u16_e32 vcc, 0, v4
	v_cndmask_b32_e32 v3, v3, v8, vcc
	v_cndmask_b32_e32 v4, v6, v7, vcc
	v_lshlrev_b32_e32 v6, 8, v5
	v_mov_b32_e32 v7, 0x3b800000
	v_lshlrev_b32_e32 v3, 20, v3
	v_and_b32_e32 v6, 0x80000000, v6
	v_lshl_add_u32 v4, v4, 23, v7
	v_or3_b32 v4, v6, v4, v3
.LBB25_1528:
	s_or_b64 exec, exec, s[6:7]
	s_nop 0
	v_mfma_f32_16x16x4f32 a[0:3], v2, v4, a[0:3]
	s_movk_i32 s4, 0x7f
	v_cmp_gt_i16_sdwa s[6:7], v9, s4 src0_sel:BYTE_3 src1_sel:DWORD
	s_mov_b64 s[4:5], 0
                                        ; implicit-def: $sgpr10
	s_and_saveexec_b64 s[8:9], s[6:7]
	s_xor_b64 s[6:7], exec, s[8:9]
	s_cbranch_execnz .LBB25_3577
; %bb.1529:
	s_or_saveexec_b64 s[6:7], s[6:7]
	v_mov_b32_e32 v2, s10
	s_xor_b64 exec, exec, s[6:7]
	s_cbranch_execnz .LBB25_3580
.LBB25_1530:
	s_or_b64 exec, exec, s[6:7]
	s_and_saveexec_b64 s[6:7], s[4:5]
	s_cbranch_execz .LBB25_1532
.LBB25_1531:
	v_bfe_u32 v2, v9, 24, 3
	v_ffbh_u32_e32 v7, v2
	v_min_u32_e32 v7, 32, v7
	v_lshrrev_b32_e32 v4, 27, v9
	v_subrev_u32_e32 v8, 28, v7
	v_and_b32_e32 v4, 15, v4
	v_lshlrev_b32_sdwa v8, v8, v9 dst_sel:DWORD dst_unused:UNUSED_PAD src0_sel:DWORD src1_sel:BYTE_3
	v_bfe_u32 v6, v9, 27, 4
	v_sub_u32_e32 v7, 29, v7
	v_and_b32_e32 v8, 7, v8
	v_cmp_eq_u16_e32 vcc, 0, v4
	v_cndmask_b32_e32 v2, v2, v8, vcc
	v_cndmask_b32_e32 v4, v6, v7, vcc
	v_mov_b32_e32 v6, 0x3b800000
	v_and_b32_e32 v3, 0x80000000, v9
	v_lshlrev_b32_e32 v2, 20, v2
	v_lshl_add_u32 v4, v4, 23, v6
	v_or3_b32 v2, v3, v4, v2
.LBB25_1532:
	s_or_b64 exec, exec, s[6:7]
	s_movk_i32 s4, 0x7f
	v_cmp_gt_i16_sdwa s[6:7], v5, s4 src0_sel:BYTE_3 src1_sel:DWORD
	s_mov_b64 s[4:5], 0
                                        ; implicit-def: $sgpr10
	s_and_saveexec_b64 s[8:9], s[6:7]
	s_xor_b64 s[6:7], exec, s[8:9]
	s_cbranch_execnz .LBB25_3581
; %bb.1533:
	s_or_saveexec_b64 s[6:7], s[6:7]
	v_mov_b32_e32 v3, s10
	s_xor_b64 exec, exec, s[6:7]
	s_cbranch_execnz .LBB25_3584
.LBB25_1534:
	s_or_b64 exec, exec, s[6:7]
	s_and_saveexec_b64 s[6:7], s[4:5]
	s_cbranch_execz .LBB25_1536
.LBB25_1535:
	v_bfe_u32 v3, v5, 24, 3
	v_ffbh_u32_e32 v8, v3
	v_min_u32_e32 v8, 32, v8
	v_lshrrev_b32_e32 v6, 27, v5
	v_subrev_u32_e32 v9, 28, v8
	v_and_b32_e32 v4, 0x80000000, v5
	v_and_b32_e32 v6, 15, v6
	v_bfe_u32 v7, v5, 27, 4
	v_lshlrev_b32_sdwa v5, v9, v5 dst_sel:DWORD dst_unused:UNUSED_PAD src0_sel:DWORD src1_sel:BYTE_3
	v_sub_u32_e32 v8, 29, v8
	v_and_b32_e32 v5, 7, v5
	v_cmp_eq_u16_e32 vcc, 0, v6
	v_cndmask_b32_e32 v3, v3, v5, vcc
	v_cndmask_b32_e32 v5, v7, v8, vcc
	v_mov_b32_e32 v6, 0x3b800000
	v_lshlrev_b32_e32 v3, 20, v3
	v_lshl_add_u32 v5, v5, 23, v6
	v_or3_b32 v3, v4, v5, v3
.LBB25_1536:
	s_or_b64 exec, exec, s[6:7]
	s_nop 0
	v_mfma_f32_16x16x4f32 a[0:3], v2, v3, a[0:3]
	s_movk_i32 s4, 0x7f
                                        ; implicit-def: $sgpr10
	s_nop 7
	s_nop 1
	flat_store_dwordx4 v[18:19], a[0:3] offset:976
	flat_load_dwordx4 v[20:23], v[0:1] offset:8
	s_nop 0
	flat_load_dwordx2 v[18:19], v[0:1] offset:24
	s_waitcnt vmcnt(0) lgkmcnt(0)
	flat_load_dwordx4 v[14:17], v[20:21] offset:32
	flat_load_dwordx4 v[6:9], v[20:21] offset:48
	flat_load_dwordx4 v[10:13], v[22:23] offset:192
	flat_load_dwordx4 v[2:5], v[22:23] offset:208
	s_waitcnt vmcnt(0) lgkmcnt(0)
	v_cmp_gt_i16_sdwa s[6:7], v14, s4 src0_sel:BYTE_0 src1_sel:DWORD
	s_mov_b64 s[4:5], 0
	s_and_saveexec_b64 s[8:9], s[6:7]
	s_xor_b64 s[6:7], exec, s[8:9]
	s_cbranch_execnz .LBB25_3585
; %bb.1537:
	s_or_saveexec_b64 s[6:7], s[6:7]
	v_mov_b32_e32 v20, s10
	s_xor_b64 exec, exec, s[6:7]
	s_cbranch_execnz .LBB25_3588
.LBB25_1538:
	s_or_b64 exec, exec, s[6:7]
	s_and_saveexec_b64 s[6:7], s[4:5]
	s_cbranch_execz .LBB25_1540
.LBB25_1539:
	v_and_b32_e32 v20, 7, v14
	v_ffbh_u32_e32 v22, v20
	v_min_u32_e32 v22, 32, v22
	v_lshrrev_b16_e32 v21, 3, v14
	v_subrev_u32_e32 v23, 28, v22
	v_and_b32_e32 v21, 15, v21
	v_lshlrev_b32_e32 v23, v23, v14
	v_sub_u32_e32 v22, 29, v22
	v_and_b32_e32 v23, 7, v23
	v_cmp_eq_u16_e32 vcc, 0, v21
	v_cndmask_b32_e32 v20, v20, v23, vcc
	v_cndmask_b32_e32 v21, v21, v22, vcc
	v_lshlrev_b32_e32 v22, 24, v14
	v_mov_b32_e32 v23, 0x3b800000
	v_lshlrev_b32_e32 v20, 20, v20
	v_and_b32_e32 v22, 0x80000000, v22
	v_lshl_add_u32 v21, v21, 23, v23
	v_or3_b32 v20, v22, v21, v20
.LBB25_1540:
	s_or_b64 exec, exec, s[6:7]
	s_movk_i32 s4, 0x7f
	v_cmp_gt_i16_sdwa s[6:7], v10, s4 src0_sel:BYTE_0 src1_sel:DWORD
	s_mov_b64 s[4:5], 0
                                        ; implicit-def: $sgpr10
	s_and_saveexec_b64 s[8:9], s[6:7]
	s_xor_b64 s[6:7], exec, s[8:9]
	s_cbranch_execnz .LBB25_3589
; %bb.1541:
	s_or_saveexec_b64 s[6:7], s[6:7]
	v_mov_b32_e32 v21, s10
	s_xor_b64 exec, exec, s[6:7]
	s_cbranch_execnz .LBB25_3592
.LBB25_1542:
	s_or_b64 exec, exec, s[6:7]
	s_and_saveexec_b64 s[6:7], s[4:5]
	s_cbranch_execz .LBB25_1544
.LBB25_1543:
	v_and_b32_e32 v21, 7, v10
	v_ffbh_u32_e32 v23, v21
	v_min_u32_e32 v23, 32, v23
	v_lshrrev_b16_e32 v22, 3, v10
	v_subrev_u32_e32 v24, 28, v23
	v_and_b32_e32 v22, 15, v22
	v_lshlrev_b32_e32 v24, v24, v10
	v_sub_u32_e32 v23, 29, v23
	v_and_b32_e32 v24, 7, v24
	v_cmp_eq_u16_e32 vcc, 0, v22
	v_cndmask_b32_e32 v21, v21, v24, vcc
	v_cndmask_b32_e32 v22, v22, v23, vcc
	v_lshlrev_b32_e32 v23, 24, v10
	v_mov_b32_e32 v24, 0x3b800000
	v_lshlrev_b32_e32 v21, 20, v21
	v_and_b32_e32 v23, 0x80000000, v23
	v_lshl_add_u32 v22, v22, 23, v24
	v_or3_b32 v21, v23, v22, v21
.LBB25_1544:
	s_or_b64 exec, exec, s[6:7]
	flat_load_dwordx4 a[0:3], v[18:19] offset:992
	s_movk_i32 s4, 0x7f
                                        ; implicit-def: $sgpr10
	s_waitcnt vmcnt(0) lgkmcnt(0)
	v_mfma_f32_16x16x4f32 a[0:3], v20, v21, a[0:3]
	v_lshrrev_b32_e32 v21, 8, v14
	v_cmp_gt_i16_sdwa s[6:7], v21, s4 src0_sel:BYTE_0 src1_sel:DWORD
	s_mov_b64 s[4:5], 0
	s_and_saveexec_b64 s[8:9], s[6:7]
	s_xor_b64 s[6:7], exec, s[8:9]
	s_cbranch_execnz .LBB25_3593
; %bb.1545:
	s_or_saveexec_b64 s[6:7], s[6:7]
	v_mov_b32_e32 v20, s10
	s_xor_b64 exec, exec, s[6:7]
	s_cbranch_execnz .LBB25_3596
.LBB25_1546:
	s_or_b64 exec, exec, s[6:7]
	s_and_saveexec_b64 s[6:7], s[4:5]
	s_cbranch_execz .LBB25_1548
.LBB25_1547:
	v_bfe_u32 v20, v14, 8, 3
	v_ffbh_u32_e32 v23, v20
	v_min_u32_e32 v23, 32, v23
	v_lshrrev_b16_e32 v22, 3, v21
	v_subrev_u32_e32 v24, 28, v23
	v_and_b32_e32 v22, 15, v22
	v_lshlrev_b32_e32 v21, v24, v21
	v_sub_u32_e32 v23, 29, v23
	v_and_b32_e32 v21, 7, v21
	v_cmp_eq_u16_e32 vcc, 0, v22
	v_cndmask_b32_e32 v20, v20, v21, vcc
	v_cndmask_b32_e32 v21, v22, v23, vcc
	v_lshlrev_b32_e32 v22, 16, v14
	v_mov_b32_e32 v23, 0x3b800000
	v_lshlrev_b32_e32 v20, 20, v20
	v_and_b32_e32 v22, 0x80000000, v22
	v_lshl_add_u32 v21, v21, 23, v23
	v_or3_b32 v20, v22, v21, v20
.LBB25_1548:
	s_or_b64 exec, exec, s[6:7]
	v_lshrrev_b32_e32 v21, 8, v10
	s_movk_i32 s4, 0x7f
	v_cmp_gt_i16_sdwa s[6:7], v21, s4 src0_sel:BYTE_0 src1_sel:DWORD
	s_mov_b64 s[4:5], 0
                                        ; implicit-def: $sgpr10
	s_and_saveexec_b64 s[8:9], s[6:7]
	s_xor_b64 s[6:7], exec, s[8:9]
	s_cbranch_execnz .LBB25_3597
; %bb.1549:
	s_or_saveexec_b64 s[6:7], s[6:7]
	v_mov_b32_e32 v22, s10
	s_xor_b64 exec, exec, s[6:7]
	s_cbranch_execnz .LBB25_3600
.LBB25_1550:
	s_or_b64 exec, exec, s[6:7]
	s_and_saveexec_b64 s[6:7], s[4:5]
	s_cbranch_execz .LBB25_1552
.LBB25_1551:
	v_bfe_u32 v22, v10, 8, 3
	v_ffbh_u32_e32 v24, v22
	v_min_u32_e32 v24, 32, v24
	v_lshrrev_b16_e32 v23, 3, v21
	v_subrev_u32_e32 v25, 28, v24
	v_and_b32_e32 v23, 15, v23
	v_lshlrev_b32_e32 v21, v25, v21
	v_sub_u32_e32 v24, 29, v24
	v_and_b32_e32 v21, 7, v21
	v_cmp_eq_u16_e32 vcc, 0, v23
	v_cndmask_b32_e32 v21, v22, v21, vcc
	v_cndmask_b32_e32 v22, v23, v24, vcc
	v_lshlrev_b32_e32 v23, 16, v10
	v_mov_b32_e32 v24, 0x3b800000
	v_lshlrev_b32_e32 v21, 20, v21
	v_and_b32_e32 v23, 0x80000000, v23
	v_lshl_add_u32 v22, v22, 23, v24
	v_or3_b32 v22, v23, v22, v21
.LBB25_1552:
	s_or_b64 exec, exec, s[6:7]
	s_nop 0
	v_mfma_f32_16x16x4f32 a[0:3], v20, v22, a[0:3]
	s_movk_i32 s4, 0xff
	v_and_b32_sdwa v21, v14, s4 dst_sel:DWORD dst_unused:UNUSED_PAD src0_sel:WORD_1 src1_sel:DWORD
	s_movk_i32 s4, 0x7f
	v_cmp_lt_i16_e32 vcc, s4, v21
	s_mov_b64 s[4:5], 0
                                        ; implicit-def: $sgpr10
	s_and_saveexec_b64 s[6:7], vcc
	s_xor_b64 s[6:7], exec, s[6:7]
	s_cbranch_execnz .LBB25_3601
; %bb.1553:
	s_or_saveexec_b64 s[6:7], s[6:7]
	v_mov_b32_e32 v20, s10
	s_xor_b64 exec, exec, s[6:7]
	s_cbranch_execnz .LBB25_3604
.LBB25_1554:
	s_or_b64 exec, exec, s[6:7]
	s_and_saveexec_b64 s[6:7], s[4:5]
	s_cbranch_execz .LBB25_1556
.LBB25_1555:
	v_bfe_u32 v20, v14, 16, 3
	v_ffbh_u32_e32 v23, v20
	v_min_u32_e32 v23, 32, v23
	v_lshrrev_b32_e32 v21, 19, v14
	v_subrev_u32_e32 v24, 28, v23
	v_and_b32_e32 v21, 15, v21
	v_lshlrev_b32_sdwa v24, v24, v14 dst_sel:DWORD dst_unused:UNUSED_PAD src0_sel:DWORD src1_sel:WORD_1
	v_bfe_u32 v22, v14, 19, 4
	v_sub_u32_e32 v23, 29, v23
	v_and_b32_e32 v24, 7, v24
	v_cmp_eq_u16_e32 vcc, 0, v21
	v_cndmask_b32_e32 v20, v20, v24, vcc
	v_cndmask_b32_e32 v21, v22, v23, vcc
	v_lshlrev_b32_e32 v22, 8, v14
	v_mov_b32_e32 v23, 0x3b800000
	v_lshlrev_b32_e32 v20, 20, v20
	v_and_b32_e32 v22, 0x80000000, v22
	v_lshl_add_u32 v21, v21, 23, v23
	v_or3_b32 v20, v22, v21, v20
.LBB25_1556:
	s_or_b64 exec, exec, s[6:7]
	s_movk_i32 s4, 0xff
	v_and_b32_sdwa v21, v10, s4 dst_sel:DWORD dst_unused:UNUSED_PAD src0_sel:WORD_1 src1_sel:DWORD
	s_movk_i32 s4, 0x7f
	v_cmp_lt_i16_e32 vcc, s4, v21
	s_mov_b64 s[4:5], 0
                                        ; implicit-def: $sgpr10
	s_and_saveexec_b64 s[6:7], vcc
	s_xor_b64 s[6:7], exec, s[6:7]
	s_cbranch_execnz .LBB25_3605
; %bb.1557:
	s_or_saveexec_b64 s[6:7], s[6:7]
	v_mov_b32_e32 v22, s10
	s_xor_b64 exec, exec, s[6:7]
	s_cbranch_execnz .LBB25_3608
.LBB25_1558:
	s_or_b64 exec, exec, s[6:7]
	s_and_saveexec_b64 s[6:7], s[4:5]
	s_cbranch_execz .LBB25_1560
.LBB25_1559:
	v_bfe_u32 v21, v10, 16, 3
	v_ffbh_u32_e32 v24, v21
	v_min_u32_e32 v24, 32, v24
	v_lshrrev_b32_e32 v22, 19, v10
	v_subrev_u32_e32 v25, 28, v24
	v_and_b32_e32 v22, 15, v22
	v_lshlrev_b32_sdwa v25, v25, v10 dst_sel:DWORD dst_unused:UNUSED_PAD src0_sel:DWORD src1_sel:WORD_1
	v_bfe_u32 v23, v10, 19, 4
	v_sub_u32_e32 v24, 29, v24
	v_and_b32_e32 v25, 7, v25
	v_cmp_eq_u16_e32 vcc, 0, v22
	v_cndmask_b32_e32 v21, v21, v25, vcc
	v_cndmask_b32_e32 v22, v23, v24, vcc
	v_lshlrev_b32_e32 v23, 8, v10
	v_mov_b32_e32 v24, 0x3b800000
	v_lshlrev_b32_e32 v21, 20, v21
	v_and_b32_e32 v23, 0x80000000, v23
	v_lshl_add_u32 v22, v22, 23, v24
	v_or3_b32 v22, v23, v22, v21
.LBB25_1560:
	s_or_b64 exec, exec, s[6:7]
	s_nop 0
	v_mfma_f32_16x16x4f32 a[0:3], v20, v22, a[0:3]
	s_movk_i32 s4, 0x7f
	v_cmp_gt_i16_sdwa s[6:7], v14, s4 src0_sel:BYTE_3 src1_sel:DWORD
	s_mov_b64 s[4:5], 0
                                        ; implicit-def: $sgpr10
	s_and_saveexec_b64 s[8:9], s[6:7]
	s_xor_b64 s[6:7], exec, s[8:9]
	s_cbranch_execnz .LBB25_3609
; %bb.1561:
	s_or_saveexec_b64 s[6:7], s[6:7]
	v_mov_b32_e32 v20, s10
	s_xor_b64 exec, exec, s[6:7]
	s_cbranch_execnz .LBB25_3612
.LBB25_1562:
	s_or_b64 exec, exec, s[6:7]
	s_and_saveexec_b64 s[6:7], s[4:5]
	s_cbranch_execz .LBB25_1564
.LBB25_1563:
	v_bfe_u32 v20, v14, 24, 3
	v_ffbh_u32_e32 v24, v20
	v_min_u32_e32 v24, 32, v24
	v_lshrrev_b32_e32 v22, 27, v14
	v_subrev_u32_e32 v25, 28, v24
	v_and_b32_e32 v21, 0x80000000, v14
	v_and_b32_e32 v22, 15, v22
	v_bfe_u32 v23, v14, 27, 4
	v_lshlrev_b32_sdwa v14, v25, v14 dst_sel:DWORD dst_unused:UNUSED_PAD src0_sel:DWORD src1_sel:BYTE_3
	v_sub_u32_e32 v24, 29, v24
	v_and_b32_e32 v14, 7, v14
	v_cmp_eq_u16_e32 vcc, 0, v22
	v_cndmask_b32_e32 v14, v20, v14, vcc
	v_cndmask_b32_e32 v20, v23, v24, vcc
	v_mov_b32_e32 v22, 0x3b800000
	v_lshlrev_b32_e32 v14, 20, v14
	v_lshl_add_u32 v20, v20, 23, v22
	v_or3_b32 v20, v21, v20, v14
.LBB25_1564:
	s_or_b64 exec, exec, s[6:7]
	s_movk_i32 s4, 0x7f
	v_cmp_gt_i16_sdwa s[6:7], v10, s4 src0_sel:BYTE_3 src1_sel:DWORD
	s_mov_b64 s[4:5], 0
                                        ; implicit-def: $sgpr10
	s_and_saveexec_b64 s[8:9], s[6:7]
	s_xor_b64 s[6:7], exec, s[8:9]
	s_cbranch_execnz .LBB25_3613
; %bb.1565:
	s_or_saveexec_b64 s[6:7], s[6:7]
	v_mov_b32_e32 v14, s10
	s_xor_b64 exec, exec, s[6:7]
	s_cbranch_execnz .LBB25_3616
.LBB25_1566:
	s_or_b64 exec, exec, s[6:7]
	s_and_saveexec_b64 s[6:7], s[4:5]
	s_cbranch_execz .LBB25_1568
.LBB25_1567:
	v_bfe_u32 v14, v10, 24, 3
	v_ffbh_u32_e32 v24, v14
	v_min_u32_e32 v24, 32, v24
	v_lshrrev_b32_e32 v22, 27, v10
	v_subrev_u32_e32 v25, 28, v24
	v_and_b32_e32 v21, 0x80000000, v10
	v_and_b32_e32 v22, 15, v22
	v_bfe_u32 v23, v10, 27, 4
	v_lshlrev_b32_sdwa v10, v25, v10 dst_sel:DWORD dst_unused:UNUSED_PAD src0_sel:DWORD src1_sel:BYTE_3
	v_sub_u32_e32 v24, 29, v24
	v_and_b32_e32 v10, 7, v10
	v_cmp_eq_u16_e32 vcc, 0, v22
	v_cndmask_b32_e32 v10, v14, v10, vcc
	v_cndmask_b32_e32 v14, v23, v24, vcc
	v_mov_b32_e32 v22, 0x3b800000
	v_lshlrev_b32_e32 v10, 20, v10
	v_lshl_add_u32 v14, v14, 23, v22
	v_or3_b32 v14, v21, v14, v10
.LBB25_1568:
	s_or_b64 exec, exec, s[6:7]
	s_nop 0
	v_mfma_f32_16x16x4f32 a[0:3], v20, v14, a[0:3]
	s_movk_i32 s4, 0x7f
	v_cmp_gt_i16_sdwa s[6:7], v15, s4 src0_sel:BYTE_0 src1_sel:DWORD
	s_mov_b64 s[4:5], 0
                                        ; implicit-def: $sgpr10
	s_and_saveexec_b64 s[8:9], s[6:7]
	s_xor_b64 s[6:7], exec, s[8:9]
	s_cbranch_execnz .LBB25_3617
; %bb.1569:
	s_or_saveexec_b64 s[6:7], s[6:7]
	v_mov_b32_e32 v10, s10
	s_xor_b64 exec, exec, s[6:7]
	s_cbranch_execnz .LBB25_3620
.LBB25_1570:
	s_or_b64 exec, exec, s[6:7]
	s_and_saveexec_b64 s[6:7], s[4:5]
	s_cbranch_execz .LBB25_1572
.LBB25_1571:
	v_and_b32_e32 v10, 7, v15
	v_ffbh_u32_e32 v20, v10
	v_min_u32_e32 v20, 32, v20
	v_lshrrev_b16_e32 v14, 3, v15
	v_subrev_u32_e32 v21, 28, v20
	v_and_b32_e32 v14, 15, v14
	v_lshlrev_b32_e32 v21, v21, v15
	v_sub_u32_e32 v20, 29, v20
	v_and_b32_e32 v21, 7, v21
	v_cmp_eq_u16_e32 vcc, 0, v14
	v_cndmask_b32_e32 v10, v10, v21, vcc
	v_cndmask_b32_e32 v14, v14, v20, vcc
	v_lshlrev_b32_e32 v20, 24, v15
	v_mov_b32_e32 v21, 0x3b800000
	v_lshlrev_b32_e32 v10, 20, v10
	v_and_b32_e32 v20, 0x80000000, v20
	v_lshl_add_u32 v14, v14, 23, v21
	v_or3_b32 v10, v20, v14, v10
.LBB25_1572:
	s_or_b64 exec, exec, s[6:7]
	s_movk_i32 s4, 0x7f
	v_cmp_gt_i16_sdwa s[6:7], v11, s4 src0_sel:BYTE_0 src1_sel:DWORD
	s_mov_b64 s[4:5], 0
                                        ; implicit-def: $sgpr10
	s_and_saveexec_b64 s[8:9], s[6:7]
	s_xor_b64 s[6:7], exec, s[8:9]
	s_cbranch_execnz .LBB25_3621
; %bb.1573:
	s_or_saveexec_b64 s[6:7], s[6:7]
	v_mov_b32_e32 v14, s10
	s_xor_b64 exec, exec, s[6:7]
	s_cbranch_execnz .LBB25_3624
.LBB25_1574:
	s_or_b64 exec, exec, s[6:7]
	s_and_saveexec_b64 s[6:7], s[4:5]
	s_cbranch_execz .LBB25_1576
.LBB25_1575:
	v_and_b32_e32 v14, 7, v11
	v_ffbh_u32_e32 v21, v14
	v_min_u32_e32 v21, 32, v21
	v_lshrrev_b16_e32 v20, 3, v11
	v_subrev_u32_e32 v22, 28, v21
	v_and_b32_e32 v20, 15, v20
	v_lshlrev_b32_e32 v22, v22, v11
	v_sub_u32_e32 v21, 29, v21
	v_and_b32_e32 v22, 7, v22
	v_cmp_eq_u16_e32 vcc, 0, v20
	v_cndmask_b32_e32 v14, v14, v22, vcc
	v_cndmask_b32_e32 v20, v20, v21, vcc
	v_lshlrev_b32_e32 v21, 24, v11
	v_mov_b32_e32 v22, 0x3b800000
	v_lshlrev_b32_e32 v14, 20, v14
	v_and_b32_e32 v21, 0x80000000, v21
	v_lshl_add_u32 v20, v20, 23, v22
	v_or3_b32 v14, v21, v20, v14
.LBB25_1576:
	s_or_b64 exec, exec, s[6:7]
	s_nop 0
	v_mfma_f32_16x16x4f32 a[0:3], v10, v14, a[0:3]
	v_lshrrev_b32_e32 v14, 8, v15
	s_movk_i32 s4, 0x7f
	v_cmp_gt_i16_sdwa s[6:7], v14, s4 src0_sel:BYTE_0 src1_sel:DWORD
	s_mov_b64 s[4:5], 0
                                        ; implicit-def: $sgpr10
	s_and_saveexec_b64 s[8:9], s[6:7]
	s_xor_b64 s[6:7], exec, s[8:9]
	s_cbranch_execnz .LBB25_3625
; %bb.1577:
	s_or_saveexec_b64 s[6:7], s[6:7]
	v_mov_b32_e32 v10, s10
	s_xor_b64 exec, exec, s[6:7]
	s_cbranch_execnz .LBB25_3628
.LBB25_1578:
	s_or_b64 exec, exec, s[6:7]
	s_and_saveexec_b64 s[6:7], s[4:5]
	s_cbranch_execz .LBB25_1580
.LBB25_1579:
	v_bfe_u32 v10, v15, 8, 3
	v_ffbh_u32_e32 v21, v10
	v_min_u32_e32 v21, 32, v21
	v_lshrrev_b16_e32 v20, 3, v14
	v_subrev_u32_e32 v22, 28, v21
	v_and_b32_e32 v20, 15, v20
	v_lshlrev_b32_e32 v14, v22, v14
	v_sub_u32_e32 v21, 29, v21
	v_and_b32_e32 v14, 7, v14
	v_cmp_eq_u16_e32 vcc, 0, v20
	v_cndmask_b32_e32 v10, v10, v14, vcc
	v_cndmask_b32_e32 v14, v20, v21, vcc
	v_lshlrev_b32_e32 v20, 16, v15
	v_mov_b32_e32 v21, 0x3b800000
	v_lshlrev_b32_e32 v10, 20, v10
	v_and_b32_e32 v20, 0x80000000, v20
	v_lshl_add_u32 v14, v14, 23, v21
	v_or3_b32 v10, v20, v14, v10
.LBB25_1580:
	s_or_b64 exec, exec, s[6:7]
	v_lshrrev_b32_e32 v14, 8, v11
	s_movk_i32 s4, 0x7f
	v_cmp_gt_i16_sdwa s[6:7], v14, s4 src0_sel:BYTE_0 src1_sel:DWORD
	s_mov_b64 s[4:5], 0
                                        ; implicit-def: $sgpr10
	s_and_saveexec_b64 s[8:9], s[6:7]
	s_xor_b64 s[6:7], exec, s[8:9]
	s_cbranch_execnz .LBB25_3629
; %bb.1581:
	s_or_saveexec_b64 s[6:7], s[6:7]
	v_mov_b32_e32 v20, s10
	s_xor_b64 exec, exec, s[6:7]
	s_cbranch_execnz .LBB25_3632
.LBB25_1582:
	s_or_b64 exec, exec, s[6:7]
	s_and_saveexec_b64 s[6:7], s[4:5]
	s_cbranch_execz .LBB25_1584
.LBB25_1583:
	v_bfe_u32 v20, v11, 8, 3
	v_ffbh_u32_e32 v22, v20
	v_min_u32_e32 v22, 32, v22
	v_lshrrev_b16_e32 v21, 3, v14
	v_subrev_u32_e32 v23, 28, v22
	v_and_b32_e32 v21, 15, v21
	v_lshlrev_b32_e32 v14, v23, v14
	v_sub_u32_e32 v22, 29, v22
	v_and_b32_e32 v14, 7, v14
	v_cmp_eq_u16_e32 vcc, 0, v21
	v_cndmask_b32_e32 v14, v20, v14, vcc
	v_cndmask_b32_e32 v20, v21, v22, vcc
	v_lshlrev_b32_e32 v21, 16, v11
	v_mov_b32_e32 v22, 0x3b800000
	v_lshlrev_b32_e32 v14, 20, v14
	v_and_b32_e32 v21, 0x80000000, v21
	v_lshl_add_u32 v20, v20, 23, v22
	v_or3_b32 v20, v21, v20, v14
.LBB25_1584:
	s_or_b64 exec, exec, s[6:7]
	s_nop 0
	v_mfma_f32_16x16x4f32 a[0:3], v10, v20, a[0:3]
	s_movk_i32 s4, 0xff
	v_and_b32_sdwa v14, v15, s4 dst_sel:DWORD dst_unused:UNUSED_PAD src0_sel:WORD_1 src1_sel:DWORD
	s_movk_i32 s4, 0x7f
	v_cmp_lt_i16_e32 vcc, s4, v14
	s_mov_b64 s[4:5], 0
                                        ; implicit-def: $sgpr10
	s_and_saveexec_b64 s[6:7], vcc
	s_xor_b64 s[6:7], exec, s[6:7]
	s_cbranch_execnz .LBB25_3633
; %bb.1585:
	s_or_saveexec_b64 s[6:7], s[6:7]
	v_mov_b32_e32 v10, s10
	s_xor_b64 exec, exec, s[6:7]
	s_cbranch_execnz .LBB25_3636
.LBB25_1586:
	s_or_b64 exec, exec, s[6:7]
	s_and_saveexec_b64 s[6:7], s[4:5]
	s_cbranch_execz .LBB25_1588
.LBB25_1587:
	v_bfe_u32 v10, v15, 16, 3
	v_ffbh_u32_e32 v21, v10
	v_min_u32_e32 v21, 32, v21
	v_lshrrev_b32_e32 v14, 19, v15
	v_subrev_u32_e32 v22, 28, v21
	v_and_b32_e32 v14, 15, v14
	v_lshlrev_b32_sdwa v22, v22, v15 dst_sel:DWORD dst_unused:UNUSED_PAD src0_sel:DWORD src1_sel:WORD_1
	v_bfe_u32 v20, v15, 19, 4
	v_sub_u32_e32 v21, 29, v21
	v_and_b32_e32 v22, 7, v22
	v_cmp_eq_u16_e32 vcc, 0, v14
	v_cndmask_b32_e32 v10, v10, v22, vcc
	v_cndmask_b32_e32 v14, v20, v21, vcc
	v_lshlrev_b32_e32 v20, 8, v15
	v_mov_b32_e32 v21, 0x3b800000
	v_lshlrev_b32_e32 v10, 20, v10
	v_and_b32_e32 v20, 0x80000000, v20
	v_lshl_add_u32 v14, v14, 23, v21
	v_or3_b32 v10, v20, v14, v10
.LBB25_1588:
	s_or_b64 exec, exec, s[6:7]
	s_movk_i32 s4, 0xff
	v_and_b32_sdwa v14, v11, s4 dst_sel:DWORD dst_unused:UNUSED_PAD src0_sel:WORD_1 src1_sel:DWORD
	s_movk_i32 s4, 0x7f
	v_cmp_lt_i16_e32 vcc, s4, v14
	s_mov_b64 s[4:5], 0
                                        ; implicit-def: $sgpr10
	s_and_saveexec_b64 s[6:7], vcc
	s_xor_b64 s[6:7], exec, s[6:7]
	s_cbranch_execnz .LBB25_3637
; %bb.1589:
	s_or_saveexec_b64 s[6:7], s[6:7]
	v_mov_b32_e32 v20, s10
	s_xor_b64 exec, exec, s[6:7]
	s_cbranch_execnz .LBB25_3640
.LBB25_1590:
	s_or_b64 exec, exec, s[6:7]
	s_and_saveexec_b64 s[6:7], s[4:5]
	s_cbranch_execz .LBB25_1592
.LBB25_1591:
	v_bfe_u32 v14, v11, 16, 3
	v_ffbh_u32_e32 v22, v14
	v_min_u32_e32 v22, 32, v22
	v_lshrrev_b32_e32 v20, 19, v11
	v_subrev_u32_e32 v23, 28, v22
	v_and_b32_e32 v20, 15, v20
	v_lshlrev_b32_sdwa v23, v23, v11 dst_sel:DWORD dst_unused:UNUSED_PAD src0_sel:DWORD src1_sel:WORD_1
	v_bfe_u32 v21, v11, 19, 4
	v_sub_u32_e32 v22, 29, v22
	v_and_b32_e32 v23, 7, v23
	v_cmp_eq_u16_e32 vcc, 0, v20
	v_cndmask_b32_e32 v14, v14, v23, vcc
	v_cndmask_b32_e32 v20, v21, v22, vcc
	v_lshlrev_b32_e32 v21, 8, v11
	v_mov_b32_e32 v22, 0x3b800000
	v_lshlrev_b32_e32 v14, 20, v14
	v_and_b32_e32 v21, 0x80000000, v21
	v_lshl_add_u32 v20, v20, 23, v22
	v_or3_b32 v20, v21, v20, v14
.LBB25_1592:
	s_or_b64 exec, exec, s[6:7]
	s_nop 0
	v_mfma_f32_16x16x4f32 a[0:3], v10, v20, a[0:3]
	s_movk_i32 s4, 0x7f
	v_cmp_gt_i16_sdwa s[6:7], v15, s4 src0_sel:BYTE_3 src1_sel:DWORD
	s_mov_b64 s[4:5], 0
                                        ; implicit-def: $sgpr10
	s_and_saveexec_b64 s[8:9], s[6:7]
	s_xor_b64 s[6:7], exec, s[8:9]
	s_cbranch_execnz .LBB25_3641
; %bb.1593:
	s_or_saveexec_b64 s[6:7], s[6:7]
	v_mov_b32_e32 v10, s10
	s_xor_b64 exec, exec, s[6:7]
	s_cbranch_execnz .LBB25_3644
.LBB25_1594:
	s_or_b64 exec, exec, s[6:7]
	s_and_saveexec_b64 s[6:7], s[4:5]
	s_cbranch_execz .LBB25_1596
.LBB25_1595:
	v_bfe_u32 v10, v15, 24, 3
	v_ffbh_u32_e32 v22, v10
	v_min_u32_e32 v22, 32, v22
	v_lshrrev_b32_e32 v20, 27, v15
	v_subrev_u32_e32 v23, 28, v22
	v_and_b32_e32 v14, 0x80000000, v15
	v_and_b32_e32 v20, 15, v20
	v_bfe_u32 v21, v15, 27, 4
	v_lshlrev_b32_sdwa v15, v23, v15 dst_sel:DWORD dst_unused:UNUSED_PAD src0_sel:DWORD src1_sel:BYTE_3
	v_sub_u32_e32 v22, 29, v22
	v_and_b32_e32 v15, 7, v15
	v_cmp_eq_u16_e32 vcc, 0, v20
	v_cndmask_b32_e32 v10, v10, v15, vcc
	v_cndmask_b32_e32 v15, v21, v22, vcc
	v_mov_b32_e32 v20, 0x3b800000
	v_lshlrev_b32_e32 v10, 20, v10
	v_lshl_add_u32 v15, v15, 23, v20
	v_or3_b32 v10, v14, v15, v10
.LBB25_1596:
	s_or_b64 exec, exec, s[6:7]
	s_movk_i32 s4, 0x7f
	v_cmp_gt_i16_sdwa s[6:7], v11, s4 src0_sel:BYTE_3 src1_sel:DWORD
	s_mov_b64 s[4:5], 0
                                        ; implicit-def: $sgpr10
	s_and_saveexec_b64 s[8:9], s[6:7]
	s_xor_b64 s[6:7], exec, s[8:9]
	s_cbranch_execnz .LBB25_3645
; %bb.1597:
	s_or_saveexec_b64 s[6:7], s[6:7]
	v_mov_b32_e32 v14, s10
	s_xor_b64 exec, exec, s[6:7]
	s_cbranch_execnz .LBB25_3648
.LBB25_1598:
	s_or_b64 exec, exec, s[6:7]
	s_and_saveexec_b64 s[6:7], s[4:5]
	s_cbranch_execz .LBB25_1600
.LBB25_1599:
	v_bfe_u32 v14, v11, 24, 3
	v_ffbh_u32_e32 v22, v14
	v_min_u32_e32 v22, 32, v22
	v_lshrrev_b32_e32 v20, 27, v11
	v_subrev_u32_e32 v23, 28, v22
	v_and_b32_e32 v15, 0x80000000, v11
	v_and_b32_e32 v20, 15, v20
	v_bfe_u32 v21, v11, 27, 4
	v_lshlrev_b32_sdwa v11, v23, v11 dst_sel:DWORD dst_unused:UNUSED_PAD src0_sel:DWORD src1_sel:BYTE_3
	v_sub_u32_e32 v22, 29, v22
	v_and_b32_e32 v11, 7, v11
	v_cmp_eq_u16_e32 vcc, 0, v20
	v_cndmask_b32_e32 v11, v14, v11, vcc
	v_cndmask_b32_e32 v14, v21, v22, vcc
	v_mov_b32_e32 v20, 0x3b800000
	v_lshlrev_b32_e32 v11, 20, v11
	v_lshl_add_u32 v14, v14, 23, v20
	v_or3_b32 v14, v15, v14, v11
.LBB25_1600:
	s_or_b64 exec, exec, s[6:7]
	s_nop 0
	v_mfma_f32_16x16x4f32 a[0:3], v10, v14, a[0:3]
	s_movk_i32 s4, 0x7f
	v_cmp_gt_i16_sdwa s[6:7], v16, s4 src0_sel:BYTE_0 src1_sel:DWORD
	s_mov_b64 s[4:5], 0
                                        ; implicit-def: $sgpr10
	s_and_saveexec_b64 s[8:9], s[6:7]
	s_xor_b64 s[6:7], exec, s[8:9]
	s_cbranch_execnz .LBB25_3649
; %bb.1601:
	s_or_saveexec_b64 s[6:7], s[6:7]
	v_mov_b32_e32 v10, s10
	s_xor_b64 exec, exec, s[6:7]
	s_cbranch_execnz .LBB25_3652
.LBB25_1602:
	s_or_b64 exec, exec, s[6:7]
	s_and_saveexec_b64 s[6:7], s[4:5]
	s_cbranch_execz .LBB25_1604
.LBB25_1603:
	v_and_b32_e32 v10, 7, v16
	v_ffbh_u32_e32 v14, v10
	v_min_u32_e32 v14, 32, v14
	v_lshrrev_b16_e32 v11, 3, v16
	v_subrev_u32_e32 v15, 28, v14
	v_and_b32_e32 v11, 15, v11
	v_lshlrev_b32_e32 v15, v15, v16
	v_sub_u32_e32 v14, 29, v14
	v_and_b32_e32 v15, 7, v15
	v_cmp_eq_u16_e32 vcc, 0, v11
	v_cndmask_b32_e32 v10, v10, v15, vcc
	v_cndmask_b32_e32 v11, v11, v14, vcc
	v_lshlrev_b32_e32 v14, 24, v16
	v_mov_b32_e32 v15, 0x3b800000
	v_lshlrev_b32_e32 v10, 20, v10
	v_and_b32_e32 v14, 0x80000000, v14
	v_lshl_add_u32 v11, v11, 23, v15
	v_or3_b32 v10, v14, v11, v10
.LBB25_1604:
	s_or_b64 exec, exec, s[6:7]
	s_movk_i32 s4, 0x7f
	v_cmp_gt_i16_sdwa s[6:7], v12, s4 src0_sel:BYTE_0 src1_sel:DWORD
	s_mov_b64 s[4:5], 0
                                        ; implicit-def: $sgpr10
	s_and_saveexec_b64 s[8:9], s[6:7]
	s_xor_b64 s[6:7], exec, s[8:9]
	s_cbranch_execnz .LBB25_3653
; %bb.1605:
	s_or_saveexec_b64 s[6:7], s[6:7]
	v_mov_b32_e32 v11, s10
	s_xor_b64 exec, exec, s[6:7]
	s_cbranch_execnz .LBB25_3656
.LBB25_1606:
	s_or_b64 exec, exec, s[6:7]
	s_and_saveexec_b64 s[6:7], s[4:5]
	s_cbranch_execz .LBB25_1608
.LBB25_1607:
	v_and_b32_e32 v11, 7, v12
	v_ffbh_u32_e32 v15, v11
	v_min_u32_e32 v15, 32, v15
	v_lshrrev_b16_e32 v14, 3, v12
	v_subrev_u32_e32 v20, 28, v15
	v_and_b32_e32 v14, 15, v14
	v_lshlrev_b32_e32 v20, v20, v12
	v_sub_u32_e32 v15, 29, v15
	v_and_b32_e32 v20, 7, v20
	v_cmp_eq_u16_e32 vcc, 0, v14
	v_cndmask_b32_e32 v11, v11, v20, vcc
	v_cndmask_b32_e32 v14, v14, v15, vcc
	v_lshlrev_b32_e32 v15, 24, v12
	v_mov_b32_e32 v20, 0x3b800000
	v_lshlrev_b32_e32 v11, 20, v11
	v_and_b32_e32 v15, 0x80000000, v15
	v_lshl_add_u32 v14, v14, 23, v20
	v_or3_b32 v11, v15, v14, v11
.LBB25_1608:
	s_or_b64 exec, exec, s[6:7]
	s_nop 0
	v_mfma_f32_16x16x4f32 a[0:3], v10, v11, a[0:3]
	v_lshrrev_b32_e32 v11, 8, v16
	s_movk_i32 s4, 0x7f
	v_cmp_gt_i16_sdwa s[6:7], v11, s4 src0_sel:BYTE_0 src1_sel:DWORD
	s_mov_b64 s[4:5], 0
                                        ; implicit-def: $sgpr10
	s_and_saveexec_b64 s[8:9], s[6:7]
	s_xor_b64 s[6:7], exec, s[8:9]
	s_cbranch_execnz .LBB25_3657
; %bb.1609:
	s_or_saveexec_b64 s[6:7], s[6:7]
	v_mov_b32_e32 v10, s10
	s_xor_b64 exec, exec, s[6:7]
	s_cbranch_execnz .LBB25_3660
.LBB25_1610:
	s_or_b64 exec, exec, s[6:7]
	s_and_saveexec_b64 s[6:7], s[4:5]
	s_cbranch_execz .LBB25_1612
.LBB25_1611:
	v_bfe_u32 v10, v16, 8, 3
	v_ffbh_u32_e32 v15, v10
	v_min_u32_e32 v15, 32, v15
	v_lshrrev_b16_e32 v14, 3, v11
	v_subrev_u32_e32 v20, 28, v15
	v_and_b32_e32 v14, 15, v14
	v_lshlrev_b32_e32 v11, v20, v11
	v_sub_u32_e32 v15, 29, v15
	v_and_b32_e32 v11, 7, v11
	v_cmp_eq_u16_e32 vcc, 0, v14
	v_cndmask_b32_e32 v10, v10, v11, vcc
	v_cndmask_b32_e32 v11, v14, v15, vcc
	v_lshlrev_b32_e32 v14, 16, v16
	v_mov_b32_e32 v15, 0x3b800000
	v_lshlrev_b32_e32 v10, 20, v10
	v_and_b32_e32 v14, 0x80000000, v14
	v_lshl_add_u32 v11, v11, 23, v15
	v_or3_b32 v10, v14, v11, v10
.LBB25_1612:
	s_or_b64 exec, exec, s[6:7]
	v_lshrrev_b32_e32 v11, 8, v12
	s_movk_i32 s4, 0x7f
	v_cmp_gt_i16_sdwa s[6:7], v11, s4 src0_sel:BYTE_0 src1_sel:DWORD
	s_mov_b64 s[4:5], 0
                                        ; implicit-def: $sgpr10
	s_and_saveexec_b64 s[8:9], s[6:7]
	s_xor_b64 s[6:7], exec, s[8:9]
	s_cbranch_execnz .LBB25_3661
; %bb.1613:
	s_or_saveexec_b64 s[6:7], s[6:7]
	v_mov_b32_e32 v14, s10
	s_xor_b64 exec, exec, s[6:7]
	s_cbranch_execnz .LBB25_3664
.LBB25_1614:
	s_or_b64 exec, exec, s[6:7]
	s_and_saveexec_b64 s[6:7], s[4:5]
	s_cbranch_execz .LBB25_1616
.LBB25_1615:
	v_bfe_u32 v14, v12, 8, 3
	v_ffbh_u32_e32 v20, v14
	v_min_u32_e32 v20, 32, v20
	v_lshrrev_b16_e32 v15, 3, v11
	v_subrev_u32_e32 v21, 28, v20
	v_and_b32_e32 v15, 15, v15
	v_lshlrev_b32_e32 v11, v21, v11
	v_sub_u32_e32 v20, 29, v20
	v_and_b32_e32 v11, 7, v11
	v_cmp_eq_u16_e32 vcc, 0, v15
	v_cndmask_b32_e32 v11, v14, v11, vcc
	v_cndmask_b32_e32 v14, v15, v20, vcc
	v_lshlrev_b32_e32 v15, 16, v12
	v_mov_b32_e32 v20, 0x3b800000
	v_lshlrev_b32_e32 v11, 20, v11
	v_and_b32_e32 v15, 0x80000000, v15
	v_lshl_add_u32 v14, v14, 23, v20
	v_or3_b32 v14, v15, v14, v11
.LBB25_1616:
	s_or_b64 exec, exec, s[6:7]
	s_nop 0
	v_mfma_f32_16x16x4f32 a[0:3], v10, v14, a[0:3]
	s_movk_i32 s4, 0xff
	v_and_b32_sdwa v11, v16, s4 dst_sel:DWORD dst_unused:UNUSED_PAD src0_sel:WORD_1 src1_sel:DWORD
	s_movk_i32 s4, 0x7f
	v_cmp_lt_i16_e32 vcc, s4, v11
	s_mov_b64 s[4:5], 0
                                        ; implicit-def: $sgpr10
	s_and_saveexec_b64 s[6:7], vcc
	s_xor_b64 s[6:7], exec, s[6:7]
	s_cbranch_execnz .LBB25_3665
; %bb.1617:
	s_or_saveexec_b64 s[6:7], s[6:7]
	v_mov_b32_e32 v10, s10
	s_xor_b64 exec, exec, s[6:7]
	s_cbranch_execnz .LBB25_3668
.LBB25_1618:
	s_or_b64 exec, exec, s[6:7]
	s_and_saveexec_b64 s[6:7], s[4:5]
	s_cbranch_execz .LBB25_1620
.LBB25_1619:
	v_bfe_u32 v10, v16, 16, 3
	v_ffbh_u32_e32 v15, v10
	v_min_u32_e32 v15, 32, v15
	v_lshrrev_b32_e32 v11, 19, v16
	v_subrev_u32_e32 v20, 28, v15
	v_and_b32_e32 v11, 15, v11
	v_lshlrev_b32_sdwa v20, v20, v16 dst_sel:DWORD dst_unused:UNUSED_PAD src0_sel:DWORD src1_sel:WORD_1
	v_bfe_u32 v14, v16, 19, 4
	v_sub_u32_e32 v15, 29, v15
	v_and_b32_e32 v20, 7, v20
	v_cmp_eq_u16_e32 vcc, 0, v11
	v_cndmask_b32_e32 v10, v10, v20, vcc
	v_cndmask_b32_e32 v11, v14, v15, vcc
	v_lshlrev_b32_e32 v14, 8, v16
	v_mov_b32_e32 v15, 0x3b800000
	v_lshlrev_b32_e32 v10, 20, v10
	v_and_b32_e32 v14, 0x80000000, v14
	v_lshl_add_u32 v11, v11, 23, v15
	v_or3_b32 v10, v14, v11, v10
.LBB25_1620:
	s_or_b64 exec, exec, s[6:7]
	s_movk_i32 s4, 0xff
	v_and_b32_sdwa v11, v12, s4 dst_sel:DWORD dst_unused:UNUSED_PAD src0_sel:WORD_1 src1_sel:DWORD
	s_movk_i32 s4, 0x7f
	v_cmp_lt_i16_e32 vcc, s4, v11
	s_mov_b64 s[4:5], 0
                                        ; implicit-def: $sgpr10
	s_and_saveexec_b64 s[6:7], vcc
	s_xor_b64 s[6:7], exec, s[6:7]
	s_cbranch_execnz .LBB25_3669
; %bb.1621:
	s_or_saveexec_b64 s[6:7], s[6:7]
	v_mov_b32_e32 v14, s10
	s_xor_b64 exec, exec, s[6:7]
	s_cbranch_execnz .LBB25_3672
.LBB25_1622:
	s_or_b64 exec, exec, s[6:7]
	s_and_saveexec_b64 s[6:7], s[4:5]
	s_cbranch_execz .LBB25_1624
.LBB25_1623:
	v_bfe_u32 v11, v12, 16, 3
	v_ffbh_u32_e32 v20, v11
	v_min_u32_e32 v20, 32, v20
	v_lshrrev_b32_e32 v14, 19, v12
	v_subrev_u32_e32 v21, 28, v20
	v_and_b32_e32 v14, 15, v14
	v_lshlrev_b32_sdwa v21, v21, v12 dst_sel:DWORD dst_unused:UNUSED_PAD src0_sel:DWORD src1_sel:WORD_1
	v_bfe_u32 v15, v12, 19, 4
	v_sub_u32_e32 v20, 29, v20
	v_and_b32_e32 v21, 7, v21
	v_cmp_eq_u16_e32 vcc, 0, v14
	v_cndmask_b32_e32 v11, v11, v21, vcc
	v_cndmask_b32_e32 v14, v15, v20, vcc
	v_lshlrev_b32_e32 v15, 8, v12
	v_mov_b32_e32 v20, 0x3b800000
	v_lshlrev_b32_e32 v11, 20, v11
	v_and_b32_e32 v15, 0x80000000, v15
	v_lshl_add_u32 v14, v14, 23, v20
	v_or3_b32 v14, v15, v14, v11
.LBB25_1624:
	s_or_b64 exec, exec, s[6:7]
	s_nop 0
	v_mfma_f32_16x16x4f32 a[0:3], v10, v14, a[0:3]
	s_movk_i32 s4, 0x7f
	v_cmp_gt_i16_sdwa s[6:7], v16, s4 src0_sel:BYTE_3 src1_sel:DWORD
	s_mov_b64 s[4:5], 0
                                        ; implicit-def: $sgpr10
	s_and_saveexec_b64 s[8:9], s[6:7]
	s_xor_b64 s[6:7], exec, s[8:9]
	s_cbranch_execnz .LBB25_3673
; %bb.1625:
	s_or_saveexec_b64 s[6:7], s[6:7]
	v_mov_b32_e32 v10, s10
	s_xor_b64 exec, exec, s[6:7]
	s_cbranch_execnz .LBB25_3676
.LBB25_1626:
	s_or_b64 exec, exec, s[6:7]
	s_and_saveexec_b64 s[6:7], s[4:5]
	s_cbranch_execz .LBB25_1628
.LBB25_1627:
	v_bfe_u32 v10, v16, 24, 3
	v_ffbh_u32_e32 v20, v10
	v_min_u32_e32 v20, 32, v20
	v_lshrrev_b32_e32 v14, 27, v16
	v_subrev_u32_e32 v21, 28, v20
	v_and_b32_e32 v11, 0x80000000, v16
	v_and_b32_e32 v14, 15, v14
	v_bfe_u32 v15, v16, 27, 4
	v_lshlrev_b32_sdwa v16, v21, v16 dst_sel:DWORD dst_unused:UNUSED_PAD src0_sel:DWORD src1_sel:BYTE_3
	v_sub_u32_e32 v20, 29, v20
	v_and_b32_e32 v16, 7, v16
	v_cmp_eq_u16_e32 vcc, 0, v14
	v_cndmask_b32_e32 v10, v10, v16, vcc
	v_cndmask_b32_e32 v14, v15, v20, vcc
	v_mov_b32_e32 v15, 0x3b800000
	v_lshlrev_b32_e32 v10, 20, v10
	v_lshl_add_u32 v14, v14, 23, v15
	v_or3_b32 v10, v11, v14, v10
.LBB25_1628:
	s_or_b64 exec, exec, s[6:7]
	s_movk_i32 s4, 0x7f
	v_cmp_gt_i16_sdwa s[6:7], v12, s4 src0_sel:BYTE_3 src1_sel:DWORD
	s_mov_b64 s[4:5], 0
                                        ; implicit-def: $sgpr10
	s_and_saveexec_b64 s[8:9], s[6:7]
	s_xor_b64 s[6:7], exec, s[8:9]
	s_cbranch_execnz .LBB25_3677
; %bb.1629:
	s_or_saveexec_b64 s[6:7], s[6:7]
	v_mov_b32_e32 v11, s10
	s_xor_b64 exec, exec, s[6:7]
	s_cbranch_execnz .LBB25_3680
.LBB25_1630:
	s_or_b64 exec, exec, s[6:7]
	s_and_saveexec_b64 s[6:7], s[4:5]
	s_cbranch_execz .LBB25_1632
.LBB25_1631:
	v_bfe_u32 v11, v12, 24, 3
	v_ffbh_u32_e32 v20, v11
	v_min_u32_e32 v20, 32, v20
	v_lshrrev_b32_e32 v15, 27, v12
	v_subrev_u32_e32 v21, 28, v20
	v_and_b32_e32 v14, 0x80000000, v12
	v_and_b32_e32 v15, 15, v15
	v_bfe_u32 v16, v12, 27, 4
	v_lshlrev_b32_sdwa v12, v21, v12 dst_sel:DWORD dst_unused:UNUSED_PAD src0_sel:DWORD src1_sel:BYTE_3
	v_sub_u32_e32 v20, 29, v20
	v_and_b32_e32 v12, 7, v12
	v_cmp_eq_u16_e32 vcc, 0, v15
	v_cndmask_b32_e32 v11, v11, v12, vcc
	v_cndmask_b32_e32 v12, v16, v20, vcc
	v_mov_b32_e32 v15, 0x3b800000
	v_lshlrev_b32_e32 v11, 20, v11
	v_lshl_add_u32 v12, v12, 23, v15
	v_or3_b32 v11, v14, v12, v11
.LBB25_1632:
	s_or_b64 exec, exec, s[6:7]
	s_nop 0
	v_mfma_f32_16x16x4f32 a[0:3], v10, v11, a[0:3]
	s_movk_i32 s4, 0x7f
	v_cmp_gt_i16_sdwa s[6:7], v17, s4 src0_sel:BYTE_0 src1_sel:DWORD
	s_mov_b64 s[4:5], 0
                                        ; implicit-def: $sgpr10
	s_and_saveexec_b64 s[8:9], s[6:7]
	s_xor_b64 s[6:7], exec, s[8:9]
	s_cbranch_execnz .LBB25_3681
; %bb.1633:
	s_or_saveexec_b64 s[6:7], s[6:7]
	v_mov_b32_e32 v10, s10
	s_xor_b64 exec, exec, s[6:7]
	s_cbranch_execnz .LBB25_3684
.LBB25_1634:
	s_or_b64 exec, exec, s[6:7]
	s_and_saveexec_b64 s[6:7], s[4:5]
	s_cbranch_execz .LBB25_1636
.LBB25_1635:
	v_and_b32_e32 v10, 7, v17
	v_ffbh_u32_e32 v12, v10
	v_min_u32_e32 v12, 32, v12
	v_lshrrev_b16_e32 v11, 3, v17
	v_subrev_u32_e32 v14, 28, v12
	v_and_b32_e32 v11, 15, v11
	v_lshlrev_b32_e32 v14, v14, v17
	v_sub_u32_e32 v12, 29, v12
	v_and_b32_e32 v14, 7, v14
	v_cmp_eq_u16_e32 vcc, 0, v11
	v_cndmask_b32_e32 v10, v10, v14, vcc
	v_cndmask_b32_e32 v11, v11, v12, vcc
	v_lshlrev_b32_e32 v12, 24, v17
	v_mov_b32_e32 v14, 0x3b800000
	v_lshlrev_b32_e32 v10, 20, v10
	v_and_b32_e32 v12, 0x80000000, v12
	v_lshl_add_u32 v11, v11, 23, v14
	v_or3_b32 v10, v12, v11, v10
.LBB25_1636:
	s_or_b64 exec, exec, s[6:7]
	s_movk_i32 s4, 0x7f
	v_cmp_gt_i16_sdwa s[6:7], v13, s4 src0_sel:BYTE_0 src1_sel:DWORD
	s_mov_b64 s[4:5], 0
                                        ; implicit-def: $sgpr10
	s_and_saveexec_b64 s[8:9], s[6:7]
	s_xor_b64 s[6:7], exec, s[8:9]
	s_cbranch_execnz .LBB25_3685
; %bb.1637:
	s_or_saveexec_b64 s[6:7], s[6:7]
	v_mov_b32_e32 v11, s10
	s_xor_b64 exec, exec, s[6:7]
	s_cbranch_execnz .LBB25_3688
.LBB25_1638:
	s_or_b64 exec, exec, s[6:7]
	s_and_saveexec_b64 s[6:7], s[4:5]
	s_cbranch_execz .LBB25_1640
.LBB25_1639:
	v_and_b32_e32 v11, 7, v13
	v_ffbh_u32_e32 v14, v11
	v_min_u32_e32 v14, 32, v14
	v_lshrrev_b16_e32 v12, 3, v13
	v_subrev_u32_e32 v15, 28, v14
	v_and_b32_e32 v12, 15, v12
	v_lshlrev_b32_e32 v15, v15, v13
	v_sub_u32_e32 v14, 29, v14
	v_and_b32_e32 v15, 7, v15
	v_cmp_eq_u16_e32 vcc, 0, v12
	v_cndmask_b32_e32 v11, v11, v15, vcc
	v_cndmask_b32_e32 v12, v12, v14, vcc
	v_lshlrev_b32_e32 v14, 24, v13
	v_mov_b32_e32 v15, 0x3b800000
	v_lshlrev_b32_e32 v11, 20, v11
	v_and_b32_e32 v14, 0x80000000, v14
	v_lshl_add_u32 v12, v12, 23, v15
	v_or3_b32 v11, v14, v12, v11
.LBB25_1640:
	s_or_b64 exec, exec, s[6:7]
	s_nop 0
	v_mfma_f32_16x16x4f32 a[0:3], v10, v11, a[0:3]
	v_lshrrev_b32_e32 v11, 8, v17
	s_movk_i32 s4, 0x7f
	v_cmp_gt_i16_sdwa s[6:7], v11, s4 src0_sel:BYTE_0 src1_sel:DWORD
	s_mov_b64 s[4:5], 0
                                        ; implicit-def: $sgpr10
	s_and_saveexec_b64 s[8:9], s[6:7]
	s_xor_b64 s[6:7], exec, s[8:9]
	s_cbranch_execnz .LBB25_3689
; %bb.1641:
	s_or_saveexec_b64 s[6:7], s[6:7]
	v_mov_b32_e32 v10, s10
	s_xor_b64 exec, exec, s[6:7]
	s_cbranch_execnz .LBB25_3692
.LBB25_1642:
	s_or_b64 exec, exec, s[6:7]
	s_and_saveexec_b64 s[6:7], s[4:5]
	s_cbranch_execz .LBB25_1644
.LBB25_1643:
	v_bfe_u32 v10, v17, 8, 3
	v_ffbh_u32_e32 v14, v10
	v_min_u32_e32 v14, 32, v14
	v_lshrrev_b16_e32 v12, 3, v11
	v_subrev_u32_e32 v15, 28, v14
	v_and_b32_e32 v12, 15, v12
	v_lshlrev_b32_e32 v11, v15, v11
	v_sub_u32_e32 v14, 29, v14
	v_and_b32_e32 v11, 7, v11
	v_cmp_eq_u16_e32 vcc, 0, v12
	v_cndmask_b32_e32 v10, v10, v11, vcc
	v_cndmask_b32_e32 v11, v12, v14, vcc
	v_lshlrev_b32_e32 v12, 16, v17
	v_mov_b32_e32 v14, 0x3b800000
	v_lshlrev_b32_e32 v10, 20, v10
	v_and_b32_e32 v12, 0x80000000, v12
	v_lshl_add_u32 v11, v11, 23, v14
	v_or3_b32 v10, v12, v11, v10
.LBB25_1644:
	s_or_b64 exec, exec, s[6:7]
	v_lshrrev_b32_e32 v11, 8, v13
	s_movk_i32 s4, 0x7f
	v_cmp_gt_i16_sdwa s[6:7], v11, s4 src0_sel:BYTE_0 src1_sel:DWORD
	s_mov_b64 s[4:5], 0
                                        ; implicit-def: $sgpr10
	s_and_saveexec_b64 s[8:9], s[6:7]
	s_xor_b64 s[6:7], exec, s[8:9]
	s_cbranch_execnz .LBB25_3693
; %bb.1645:
	s_or_saveexec_b64 s[6:7], s[6:7]
	v_mov_b32_e32 v12, s10
	s_xor_b64 exec, exec, s[6:7]
	s_cbranch_execnz .LBB25_3696
.LBB25_1646:
	s_or_b64 exec, exec, s[6:7]
	s_and_saveexec_b64 s[6:7], s[4:5]
	s_cbranch_execz .LBB25_1648
.LBB25_1647:
	v_bfe_u32 v12, v13, 8, 3
	v_ffbh_u32_e32 v15, v12
	v_min_u32_e32 v15, 32, v15
	v_lshrrev_b16_e32 v14, 3, v11
	v_subrev_u32_e32 v16, 28, v15
	v_and_b32_e32 v14, 15, v14
	v_lshlrev_b32_e32 v11, v16, v11
	v_sub_u32_e32 v15, 29, v15
	v_and_b32_e32 v11, 7, v11
	v_cmp_eq_u16_e32 vcc, 0, v14
	v_cndmask_b32_e32 v11, v12, v11, vcc
	v_cndmask_b32_e32 v12, v14, v15, vcc
	v_lshlrev_b32_e32 v14, 16, v13
	v_mov_b32_e32 v15, 0x3b800000
	v_lshlrev_b32_e32 v11, 20, v11
	v_and_b32_e32 v14, 0x80000000, v14
	v_lshl_add_u32 v12, v12, 23, v15
	v_or3_b32 v12, v14, v12, v11
.LBB25_1648:
	s_or_b64 exec, exec, s[6:7]
	s_nop 0
	v_mfma_f32_16x16x4f32 a[0:3], v10, v12, a[0:3]
	s_movk_i32 s4, 0xff
	v_and_b32_sdwa v11, v17, s4 dst_sel:DWORD dst_unused:UNUSED_PAD src0_sel:WORD_1 src1_sel:DWORD
	s_movk_i32 s4, 0x7f
	v_cmp_lt_i16_e32 vcc, s4, v11
	s_mov_b64 s[4:5], 0
                                        ; implicit-def: $sgpr10
	s_and_saveexec_b64 s[6:7], vcc
	s_xor_b64 s[6:7], exec, s[6:7]
	s_cbranch_execnz .LBB25_3697
; %bb.1649:
	s_or_saveexec_b64 s[6:7], s[6:7]
	v_mov_b32_e32 v10, s10
	s_xor_b64 exec, exec, s[6:7]
	s_cbranch_execnz .LBB25_3700
.LBB25_1650:
	s_or_b64 exec, exec, s[6:7]
	s_and_saveexec_b64 s[6:7], s[4:5]
	s_cbranch_execz .LBB25_1652
.LBB25_1651:
	v_bfe_u32 v10, v17, 16, 3
	v_ffbh_u32_e32 v14, v10
	v_min_u32_e32 v14, 32, v14
	v_lshrrev_b32_e32 v11, 19, v17
	v_subrev_u32_e32 v15, 28, v14
	v_and_b32_e32 v11, 15, v11
	v_lshlrev_b32_sdwa v15, v15, v17 dst_sel:DWORD dst_unused:UNUSED_PAD src0_sel:DWORD src1_sel:WORD_1
	v_bfe_u32 v12, v17, 19, 4
	v_sub_u32_e32 v14, 29, v14
	v_and_b32_e32 v15, 7, v15
	v_cmp_eq_u16_e32 vcc, 0, v11
	v_cndmask_b32_e32 v10, v10, v15, vcc
	v_cndmask_b32_e32 v11, v12, v14, vcc
	v_lshlrev_b32_e32 v12, 8, v17
	v_mov_b32_e32 v14, 0x3b800000
	v_lshlrev_b32_e32 v10, 20, v10
	v_and_b32_e32 v12, 0x80000000, v12
	v_lshl_add_u32 v11, v11, 23, v14
	v_or3_b32 v10, v12, v11, v10
.LBB25_1652:
	s_or_b64 exec, exec, s[6:7]
	s_movk_i32 s4, 0xff
	v_and_b32_sdwa v11, v13, s4 dst_sel:DWORD dst_unused:UNUSED_PAD src0_sel:WORD_1 src1_sel:DWORD
	s_movk_i32 s4, 0x7f
	v_cmp_lt_i16_e32 vcc, s4, v11
	s_mov_b64 s[4:5], 0
                                        ; implicit-def: $sgpr10
	s_and_saveexec_b64 s[6:7], vcc
	s_xor_b64 s[6:7], exec, s[6:7]
	s_cbranch_execnz .LBB25_3701
; %bb.1653:
	s_or_saveexec_b64 s[6:7], s[6:7]
	v_mov_b32_e32 v12, s10
	s_xor_b64 exec, exec, s[6:7]
	s_cbranch_execnz .LBB25_3704
.LBB25_1654:
	s_or_b64 exec, exec, s[6:7]
	s_and_saveexec_b64 s[6:7], s[4:5]
	s_cbranch_execz .LBB25_1656
.LBB25_1655:
	v_bfe_u32 v11, v13, 16, 3
	v_ffbh_u32_e32 v15, v11
	v_min_u32_e32 v15, 32, v15
	v_lshrrev_b32_e32 v12, 19, v13
	v_subrev_u32_e32 v16, 28, v15
	v_and_b32_e32 v12, 15, v12
	v_lshlrev_b32_sdwa v16, v16, v13 dst_sel:DWORD dst_unused:UNUSED_PAD src0_sel:DWORD src1_sel:WORD_1
	v_bfe_u32 v14, v13, 19, 4
	v_sub_u32_e32 v15, 29, v15
	v_and_b32_e32 v16, 7, v16
	v_cmp_eq_u16_e32 vcc, 0, v12
	v_cndmask_b32_e32 v11, v11, v16, vcc
	v_cndmask_b32_e32 v12, v14, v15, vcc
	v_lshlrev_b32_e32 v14, 8, v13
	v_mov_b32_e32 v15, 0x3b800000
	v_lshlrev_b32_e32 v11, 20, v11
	v_and_b32_e32 v14, 0x80000000, v14
	v_lshl_add_u32 v12, v12, 23, v15
	v_or3_b32 v12, v14, v12, v11
.LBB25_1656:
	s_or_b64 exec, exec, s[6:7]
	s_nop 0
	v_mfma_f32_16x16x4f32 a[0:3], v10, v12, a[0:3]
	s_movk_i32 s4, 0x7f
	v_cmp_gt_i16_sdwa s[6:7], v17, s4 src0_sel:BYTE_3 src1_sel:DWORD
	s_mov_b64 s[4:5], 0
                                        ; implicit-def: $sgpr10
	s_and_saveexec_b64 s[8:9], s[6:7]
	s_xor_b64 s[6:7], exec, s[8:9]
	s_cbranch_execnz .LBB25_3705
; %bb.1657:
	s_or_saveexec_b64 s[6:7], s[6:7]
	v_mov_b32_e32 v10, s10
	s_xor_b64 exec, exec, s[6:7]
	s_cbranch_execnz .LBB25_3708
.LBB25_1658:
	s_or_b64 exec, exec, s[6:7]
	s_and_saveexec_b64 s[6:7], s[4:5]
	s_cbranch_execz .LBB25_1660
.LBB25_1659:
	v_bfe_u32 v10, v17, 24, 3
	v_ffbh_u32_e32 v15, v10
	v_min_u32_e32 v15, 32, v15
	v_lshrrev_b32_e32 v12, 27, v17
	v_subrev_u32_e32 v16, 28, v15
	v_and_b32_e32 v12, 15, v12
	v_lshlrev_b32_sdwa v16, v16, v17 dst_sel:DWORD dst_unused:UNUSED_PAD src0_sel:DWORD src1_sel:BYTE_3
	v_bfe_u32 v14, v17, 27, 4
	v_sub_u32_e32 v15, 29, v15
	v_and_b32_e32 v16, 7, v16
	v_cmp_eq_u16_e32 vcc, 0, v12
	v_cndmask_b32_e32 v10, v10, v16, vcc
	v_cndmask_b32_e32 v12, v14, v15, vcc
	v_mov_b32_e32 v14, 0x3b800000
	v_and_b32_e32 v11, 0x80000000, v17
	v_lshlrev_b32_e32 v10, 20, v10
	v_lshl_add_u32 v12, v12, 23, v14
	v_or3_b32 v10, v11, v12, v10
.LBB25_1660:
	s_or_b64 exec, exec, s[6:7]
	s_movk_i32 s4, 0x7f
	v_cmp_gt_i16_sdwa s[6:7], v13, s4 src0_sel:BYTE_3 src1_sel:DWORD
	s_mov_b64 s[4:5], 0
                                        ; implicit-def: $sgpr10
	s_and_saveexec_b64 s[8:9], s[6:7]
	s_xor_b64 s[6:7], exec, s[8:9]
	s_cbranch_execnz .LBB25_3709
; %bb.1661:
	s_or_saveexec_b64 s[6:7], s[6:7]
	v_mov_b32_e32 v11, s10
	s_xor_b64 exec, exec, s[6:7]
	s_cbranch_execnz .LBB25_3712
.LBB25_1662:
	s_or_b64 exec, exec, s[6:7]
	s_and_saveexec_b64 s[6:7], s[4:5]
	s_cbranch_execz .LBB25_1664
.LBB25_1663:
	v_bfe_u32 v11, v13, 24, 3
	v_ffbh_u32_e32 v16, v11
	v_min_u32_e32 v16, 32, v16
	v_lshrrev_b32_e32 v14, 27, v13
	v_subrev_u32_e32 v17, 28, v16
	v_and_b32_e32 v12, 0x80000000, v13
	v_and_b32_e32 v14, 15, v14
	v_bfe_u32 v15, v13, 27, 4
	v_lshlrev_b32_sdwa v13, v17, v13 dst_sel:DWORD dst_unused:UNUSED_PAD src0_sel:DWORD src1_sel:BYTE_3
	v_sub_u32_e32 v16, 29, v16
	v_and_b32_e32 v13, 7, v13
	v_cmp_eq_u16_e32 vcc, 0, v14
	v_cndmask_b32_e32 v11, v11, v13, vcc
	v_cndmask_b32_e32 v13, v15, v16, vcc
	v_mov_b32_e32 v14, 0x3b800000
	v_lshlrev_b32_e32 v11, 20, v11
	v_lshl_add_u32 v13, v13, 23, v14
	v_or3_b32 v11, v12, v13, v11
.LBB25_1664:
	s_or_b64 exec, exec, s[6:7]
	s_nop 0
	v_mfma_f32_16x16x4f32 a[0:3], v10, v11, a[0:3]
	s_movk_i32 s4, 0x7f
	v_cmp_gt_i16_sdwa s[6:7], v6, s4 src0_sel:BYTE_0 src1_sel:DWORD
	s_mov_b64 s[4:5], 0
                                        ; implicit-def: $sgpr10
	s_and_saveexec_b64 s[8:9], s[6:7]
	s_xor_b64 s[6:7], exec, s[8:9]
	s_cbranch_execnz .LBB25_3713
; %bb.1665:
	s_or_saveexec_b64 s[6:7], s[6:7]
	v_mov_b32_e32 v10, s10
	s_xor_b64 exec, exec, s[6:7]
	s_cbranch_execnz .LBB25_3716
.LBB25_1666:
	s_or_b64 exec, exec, s[6:7]
	s_and_saveexec_b64 s[6:7], s[4:5]
	s_cbranch_execz .LBB25_1668
.LBB25_1667:
	v_and_b32_e32 v10, 7, v6
	v_ffbh_u32_e32 v12, v10
	v_min_u32_e32 v12, 32, v12
	v_lshrrev_b16_e32 v11, 3, v6
	v_subrev_u32_e32 v13, 28, v12
	v_and_b32_e32 v11, 15, v11
	v_lshlrev_b32_e32 v13, v13, v6
	v_sub_u32_e32 v12, 29, v12
	v_and_b32_e32 v13, 7, v13
	v_cmp_eq_u16_e32 vcc, 0, v11
	v_cndmask_b32_e32 v10, v10, v13, vcc
	v_cndmask_b32_e32 v11, v11, v12, vcc
	v_lshlrev_b32_e32 v12, 24, v6
	v_mov_b32_e32 v13, 0x3b800000
	v_lshlrev_b32_e32 v10, 20, v10
	v_and_b32_e32 v12, 0x80000000, v12
	v_lshl_add_u32 v11, v11, 23, v13
	v_or3_b32 v10, v12, v11, v10
.LBB25_1668:
	s_or_b64 exec, exec, s[6:7]
	s_movk_i32 s4, 0x7f
	v_cmp_gt_i16_sdwa s[6:7], v2, s4 src0_sel:BYTE_0 src1_sel:DWORD
	s_mov_b64 s[4:5], 0
                                        ; implicit-def: $sgpr10
	s_and_saveexec_b64 s[8:9], s[6:7]
	s_xor_b64 s[6:7], exec, s[8:9]
	s_cbranch_execnz .LBB25_3717
; %bb.1669:
	s_or_saveexec_b64 s[6:7], s[6:7]
	v_mov_b32_e32 v11, s10
	s_xor_b64 exec, exec, s[6:7]
	s_cbranch_execnz .LBB25_3720
.LBB25_1670:
	s_or_b64 exec, exec, s[6:7]
	s_and_saveexec_b64 s[6:7], s[4:5]
	s_cbranch_execz .LBB25_1672
.LBB25_1671:
	v_and_b32_e32 v11, 7, v2
	v_ffbh_u32_e32 v13, v11
	v_min_u32_e32 v13, 32, v13
	v_lshrrev_b16_e32 v12, 3, v2
	v_subrev_u32_e32 v14, 28, v13
	v_and_b32_e32 v12, 15, v12
	v_lshlrev_b32_e32 v14, v14, v2
	v_sub_u32_e32 v13, 29, v13
	v_and_b32_e32 v14, 7, v14
	v_cmp_eq_u16_e32 vcc, 0, v12
	v_cndmask_b32_e32 v11, v11, v14, vcc
	v_cndmask_b32_e32 v12, v12, v13, vcc
	v_lshlrev_b32_e32 v13, 24, v2
	v_mov_b32_e32 v14, 0x3b800000
	v_lshlrev_b32_e32 v11, 20, v11
	v_and_b32_e32 v13, 0x80000000, v13
	v_lshl_add_u32 v12, v12, 23, v14
	v_or3_b32 v11, v13, v12, v11
.LBB25_1672:
	s_or_b64 exec, exec, s[6:7]
	s_nop 0
	v_mfma_f32_16x16x4f32 a[0:3], v10, v11, a[0:3]
	v_lshrrev_b32_e32 v11, 8, v6
	s_movk_i32 s4, 0x7f
	v_cmp_gt_i16_sdwa s[6:7], v11, s4 src0_sel:BYTE_0 src1_sel:DWORD
	s_mov_b64 s[4:5], 0
                                        ; implicit-def: $sgpr10
	s_and_saveexec_b64 s[8:9], s[6:7]
	s_xor_b64 s[6:7], exec, s[8:9]
	s_cbranch_execnz .LBB25_3721
; %bb.1673:
	s_or_saveexec_b64 s[6:7], s[6:7]
	v_mov_b32_e32 v10, s10
	s_xor_b64 exec, exec, s[6:7]
	s_cbranch_execnz .LBB25_3724
.LBB25_1674:
	s_or_b64 exec, exec, s[6:7]
	s_and_saveexec_b64 s[6:7], s[4:5]
	s_cbranch_execz .LBB25_1676
.LBB25_1675:
	v_bfe_u32 v10, v6, 8, 3
	v_ffbh_u32_e32 v13, v10
	v_min_u32_e32 v13, 32, v13
	v_lshrrev_b16_e32 v12, 3, v11
	v_subrev_u32_e32 v14, 28, v13
	v_and_b32_e32 v12, 15, v12
	v_lshlrev_b32_e32 v11, v14, v11
	v_sub_u32_e32 v13, 29, v13
	v_and_b32_e32 v11, 7, v11
	v_cmp_eq_u16_e32 vcc, 0, v12
	v_cndmask_b32_e32 v10, v10, v11, vcc
	v_cndmask_b32_e32 v11, v12, v13, vcc
	v_lshlrev_b32_e32 v12, 16, v6
	v_mov_b32_e32 v13, 0x3b800000
	v_lshlrev_b32_e32 v10, 20, v10
	v_and_b32_e32 v12, 0x80000000, v12
	v_lshl_add_u32 v11, v11, 23, v13
	v_or3_b32 v10, v12, v11, v10
.LBB25_1676:
	s_or_b64 exec, exec, s[6:7]
	v_lshrrev_b32_e32 v11, 8, v2
	s_movk_i32 s4, 0x7f
	v_cmp_gt_i16_sdwa s[6:7], v11, s4 src0_sel:BYTE_0 src1_sel:DWORD
	s_mov_b64 s[4:5], 0
                                        ; implicit-def: $sgpr10
	s_and_saveexec_b64 s[8:9], s[6:7]
	s_xor_b64 s[6:7], exec, s[8:9]
	s_cbranch_execnz .LBB25_3725
; %bb.1677:
	s_or_saveexec_b64 s[6:7], s[6:7]
	v_mov_b32_e32 v12, s10
	s_xor_b64 exec, exec, s[6:7]
	s_cbranch_execnz .LBB25_3728
.LBB25_1678:
	s_or_b64 exec, exec, s[6:7]
	s_and_saveexec_b64 s[6:7], s[4:5]
	s_cbranch_execz .LBB25_1680
.LBB25_1679:
	v_bfe_u32 v12, v2, 8, 3
	v_ffbh_u32_e32 v14, v12
	v_min_u32_e32 v14, 32, v14
	v_lshrrev_b16_e32 v13, 3, v11
	v_subrev_u32_e32 v15, 28, v14
	v_and_b32_e32 v13, 15, v13
	v_lshlrev_b32_e32 v11, v15, v11
	v_sub_u32_e32 v14, 29, v14
	v_and_b32_e32 v11, 7, v11
	v_cmp_eq_u16_e32 vcc, 0, v13
	v_cndmask_b32_e32 v11, v12, v11, vcc
	v_cndmask_b32_e32 v12, v13, v14, vcc
	v_lshlrev_b32_e32 v13, 16, v2
	v_mov_b32_e32 v14, 0x3b800000
	v_lshlrev_b32_e32 v11, 20, v11
	v_and_b32_e32 v13, 0x80000000, v13
	v_lshl_add_u32 v12, v12, 23, v14
	v_or3_b32 v12, v13, v12, v11
.LBB25_1680:
	s_or_b64 exec, exec, s[6:7]
	s_nop 0
	v_mfma_f32_16x16x4f32 a[0:3], v10, v12, a[0:3]
	s_movk_i32 s4, 0xff
	v_and_b32_sdwa v11, v6, s4 dst_sel:DWORD dst_unused:UNUSED_PAD src0_sel:WORD_1 src1_sel:DWORD
	s_movk_i32 s4, 0x7f
	v_cmp_lt_i16_e32 vcc, s4, v11
	s_mov_b64 s[4:5], 0
                                        ; implicit-def: $sgpr10
	s_and_saveexec_b64 s[6:7], vcc
	s_xor_b64 s[6:7], exec, s[6:7]
	s_cbranch_execnz .LBB25_3729
; %bb.1681:
	s_or_saveexec_b64 s[6:7], s[6:7]
	v_mov_b32_e32 v10, s10
	s_xor_b64 exec, exec, s[6:7]
	s_cbranch_execnz .LBB25_3732
.LBB25_1682:
	s_or_b64 exec, exec, s[6:7]
	s_and_saveexec_b64 s[6:7], s[4:5]
	s_cbranch_execz .LBB25_1684
.LBB25_1683:
	v_bfe_u32 v10, v6, 16, 3
	v_ffbh_u32_e32 v13, v10
	v_min_u32_e32 v13, 32, v13
	v_lshrrev_b32_e32 v11, 19, v6
	v_subrev_u32_e32 v14, 28, v13
	v_and_b32_e32 v11, 15, v11
	v_lshlrev_b32_sdwa v14, v14, v6 dst_sel:DWORD dst_unused:UNUSED_PAD src0_sel:DWORD src1_sel:WORD_1
	v_bfe_u32 v12, v6, 19, 4
	v_sub_u32_e32 v13, 29, v13
	v_and_b32_e32 v14, 7, v14
	v_cmp_eq_u16_e32 vcc, 0, v11
	v_cndmask_b32_e32 v10, v10, v14, vcc
	v_cndmask_b32_e32 v11, v12, v13, vcc
	v_lshlrev_b32_e32 v12, 8, v6
	v_mov_b32_e32 v13, 0x3b800000
	v_lshlrev_b32_e32 v10, 20, v10
	v_and_b32_e32 v12, 0x80000000, v12
	v_lshl_add_u32 v11, v11, 23, v13
	v_or3_b32 v10, v12, v11, v10
.LBB25_1684:
	s_or_b64 exec, exec, s[6:7]
	s_movk_i32 s4, 0xff
	v_and_b32_sdwa v11, v2, s4 dst_sel:DWORD dst_unused:UNUSED_PAD src0_sel:WORD_1 src1_sel:DWORD
	s_movk_i32 s4, 0x7f
	v_cmp_lt_i16_e32 vcc, s4, v11
	s_mov_b64 s[4:5], 0
                                        ; implicit-def: $sgpr10
	s_and_saveexec_b64 s[6:7], vcc
	s_xor_b64 s[6:7], exec, s[6:7]
	s_cbranch_execnz .LBB25_3733
; %bb.1685:
	s_or_saveexec_b64 s[6:7], s[6:7]
	v_mov_b32_e32 v12, s10
	s_xor_b64 exec, exec, s[6:7]
	s_cbranch_execnz .LBB25_3736
.LBB25_1686:
	s_or_b64 exec, exec, s[6:7]
	s_and_saveexec_b64 s[6:7], s[4:5]
	s_cbranch_execz .LBB25_1688
.LBB25_1687:
	v_bfe_u32 v11, v2, 16, 3
	v_ffbh_u32_e32 v14, v11
	v_min_u32_e32 v14, 32, v14
	v_lshrrev_b32_e32 v12, 19, v2
	v_subrev_u32_e32 v15, 28, v14
	v_and_b32_e32 v12, 15, v12
	v_lshlrev_b32_sdwa v15, v15, v2 dst_sel:DWORD dst_unused:UNUSED_PAD src0_sel:DWORD src1_sel:WORD_1
	v_bfe_u32 v13, v2, 19, 4
	v_sub_u32_e32 v14, 29, v14
	v_and_b32_e32 v15, 7, v15
	v_cmp_eq_u16_e32 vcc, 0, v12
	v_cndmask_b32_e32 v11, v11, v15, vcc
	v_cndmask_b32_e32 v12, v13, v14, vcc
	v_lshlrev_b32_e32 v13, 8, v2
	v_mov_b32_e32 v14, 0x3b800000
	v_lshlrev_b32_e32 v11, 20, v11
	v_and_b32_e32 v13, 0x80000000, v13
	v_lshl_add_u32 v12, v12, 23, v14
	v_or3_b32 v12, v13, v12, v11
.LBB25_1688:
	s_or_b64 exec, exec, s[6:7]
	s_nop 0
	v_mfma_f32_16x16x4f32 a[0:3], v10, v12, a[0:3]
	s_movk_i32 s4, 0x7f
	v_cmp_gt_i16_sdwa s[6:7], v6, s4 src0_sel:BYTE_3 src1_sel:DWORD
	s_mov_b64 s[4:5], 0
                                        ; implicit-def: $sgpr10
	s_and_saveexec_b64 s[8:9], s[6:7]
	s_xor_b64 s[6:7], exec, s[8:9]
	s_cbranch_execnz .LBB25_3737
; %bb.1689:
	s_or_saveexec_b64 s[6:7], s[6:7]
	v_mov_b32_e32 v10, s10
	s_xor_b64 exec, exec, s[6:7]
	s_cbranch_execnz .LBB25_3740
.LBB25_1690:
	s_or_b64 exec, exec, s[6:7]
	s_and_saveexec_b64 s[6:7], s[4:5]
	s_cbranch_execz .LBB25_1692
.LBB25_1691:
	v_bfe_u32 v10, v6, 24, 3
	v_ffbh_u32_e32 v14, v10
	v_min_u32_e32 v14, 32, v14
	v_lshrrev_b32_e32 v12, 27, v6
	v_subrev_u32_e32 v15, 28, v14
	v_and_b32_e32 v11, 0x80000000, v6
	v_and_b32_e32 v12, 15, v12
	v_bfe_u32 v13, v6, 27, 4
	v_lshlrev_b32_sdwa v6, v15, v6 dst_sel:DWORD dst_unused:UNUSED_PAD src0_sel:DWORD src1_sel:BYTE_3
	v_sub_u32_e32 v14, 29, v14
	v_and_b32_e32 v6, 7, v6
	v_cmp_eq_u16_e32 vcc, 0, v12
	v_cndmask_b32_e32 v6, v10, v6, vcc
	v_cndmask_b32_e32 v10, v13, v14, vcc
	v_mov_b32_e32 v12, 0x3b800000
	v_lshlrev_b32_e32 v6, 20, v6
	v_lshl_add_u32 v10, v10, 23, v12
	v_or3_b32 v10, v11, v10, v6
.LBB25_1692:
	s_or_b64 exec, exec, s[6:7]
	s_movk_i32 s4, 0x7f
	v_cmp_gt_i16_sdwa s[6:7], v2, s4 src0_sel:BYTE_3 src1_sel:DWORD
	s_mov_b64 s[4:5], 0
                                        ; implicit-def: $sgpr10
	s_and_saveexec_b64 s[8:9], s[6:7]
	s_xor_b64 s[6:7], exec, s[8:9]
	s_cbranch_execnz .LBB25_3741
; %bb.1693:
	s_or_saveexec_b64 s[6:7], s[6:7]
	v_mov_b32_e32 v6, s10
	s_xor_b64 exec, exec, s[6:7]
	s_cbranch_execnz .LBB25_3744
.LBB25_1694:
	s_or_b64 exec, exec, s[6:7]
	s_and_saveexec_b64 s[6:7], s[4:5]
	s_cbranch_execz .LBB25_1696
.LBB25_1695:
	v_bfe_u32 v6, v2, 24, 3
	v_ffbh_u32_e32 v14, v6
	v_min_u32_e32 v14, 32, v14
	v_lshrrev_b32_e32 v12, 27, v2
	v_subrev_u32_e32 v15, 28, v14
	v_and_b32_e32 v11, 0x80000000, v2
	v_and_b32_e32 v12, 15, v12
	v_bfe_u32 v13, v2, 27, 4
	v_lshlrev_b32_sdwa v2, v15, v2 dst_sel:DWORD dst_unused:UNUSED_PAD src0_sel:DWORD src1_sel:BYTE_3
	v_sub_u32_e32 v14, 29, v14
	v_and_b32_e32 v2, 7, v2
	v_cmp_eq_u16_e32 vcc, 0, v12
	v_cndmask_b32_e32 v2, v6, v2, vcc
	v_cndmask_b32_e32 v6, v13, v14, vcc
	v_mov_b32_e32 v12, 0x3b800000
	v_lshlrev_b32_e32 v2, 20, v2
	v_lshl_add_u32 v6, v6, 23, v12
	v_or3_b32 v6, v11, v6, v2
.LBB25_1696:
	s_or_b64 exec, exec, s[6:7]
	s_nop 0
	v_mfma_f32_16x16x4f32 a[0:3], v10, v6, a[0:3]
	s_movk_i32 s4, 0x7f
	v_cmp_gt_i16_sdwa s[6:7], v7, s4 src0_sel:BYTE_0 src1_sel:DWORD
	s_mov_b64 s[4:5], 0
                                        ; implicit-def: $sgpr10
	s_and_saveexec_b64 s[8:9], s[6:7]
	s_xor_b64 s[6:7], exec, s[8:9]
	s_cbranch_execnz .LBB25_3745
; %bb.1697:
	s_or_saveexec_b64 s[6:7], s[6:7]
	v_mov_b32_e32 v2, s10
	s_xor_b64 exec, exec, s[6:7]
	s_cbranch_execnz .LBB25_3748
.LBB25_1698:
	s_or_b64 exec, exec, s[6:7]
	s_and_saveexec_b64 s[6:7], s[4:5]
	s_cbranch_execz .LBB25_1700
.LBB25_1699:
	v_and_b32_e32 v2, 7, v7
	v_ffbh_u32_e32 v10, v2
	v_min_u32_e32 v10, 32, v10
	v_lshrrev_b16_e32 v6, 3, v7
	v_subrev_u32_e32 v11, 28, v10
	v_and_b32_e32 v6, 15, v6
	v_lshlrev_b32_e32 v11, v11, v7
	v_sub_u32_e32 v10, 29, v10
	v_and_b32_e32 v11, 7, v11
	v_cmp_eq_u16_e32 vcc, 0, v6
	v_cndmask_b32_e32 v2, v2, v11, vcc
	v_cndmask_b32_e32 v6, v6, v10, vcc
	v_lshlrev_b32_e32 v10, 24, v7
	v_mov_b32_e32 v11, 0x3b800000
	v_lshlrev_b32_e32 v2, 20, v2
	v_and_b32_e32 v10, 0x80000000, v10
	v_lshl_add_u32 v6, v6, 23, v11
	v_or3_b32 v2, v10, v6, v2
.LBB25_1700:
	s_or_b64 exec, exec, s[6:7]
	s_movk_i32 s4, 0x7f
	v_cmp_gt_i16_sdwa s[6:7], v3, s4 src0_sel:BYTE_0 src1_sel:DWORD
	s_mov_b64 s[4:5], 0
                                        ; implicit-def: $sgpr10
	s_and_saveexec_b64 s[8:9], s[6:7]
	s_xor_b64 s[6:7], exec, s[8:9]
	s_cbranch_execnz .LBB25_3749
; %bb.1701:
	s_or_saveexec_b64 s[6:7], s[6:7]
	v_mov_b32_e32 v6, s10
	s_xor_b64 exec, exec, s[6:7]
	s_cbranch_execnz .LBB25_3752
.LBB25_1702:
	s_or_b64 exec, exec, s[6:7]
	s_and_saveexec_b64 s[6:7], s[4:5]
	s_cbranch_execz .LBB25_1704
.LBB25_1703:
	v_and_b32_e32 v6, 7, v3
	v_ffbh_u32_e32 v11, v6
	v_min_u32_e32 v11, 32, v11
	v_lshrrev_b16_e32 v10, 3, v3
	v_subrev_u32_e32 v12, 28, v11
	v_and_b32_e32 v10, 15, v10
	v_lshlrev_b32_e32 v12, v12, v3
	v_sub_u32_e32 v11, 29, v11
	v_and_b32_e32 v12, 7, v12
	v_cmp_eq_u16_e32 vcc, 0, v10
	v_cndmask_b32_e32 v6, v6, v12, vcc
	v_cndmask_b32_e32 v10, v10, v11, vcc
	v_lshlrev_b32_e32 v11, 24, v3
	v_mov_b32_e32 v12, 0x3b800000
	v_lshlrev_b32_e32 v6, 20, v6
	v_and_b32_e32 v11, 0x80000000, v11
	v_lshl_add_u32 v10, v10, 23, v12
	v_or3_b32 v6, v11, v10, v6
.LBB25_1704:
	s_or_b64 exec, exec, s[6:7]
	s_nop 0
	v_mfma_f32_16x16x4f32 a[0:3], v2, v6, a[0:3]
	v_lshrrev_b32_e32 v6, 8, v7
	s_movk_i32 s4, 0x7f
	v_cmp_gt_i16_sdwa s[6:7], v6, s4 src0_sel:BYTE_0 src1_sel:DWORD
	s_mov_b64 s[4:5], 0
                                        ; implicit-def: $sgpr10
	s_and_saveexec_b64 s[8:9], s[6:7]
	s_xor_b64 s[6:7], exec, s[8:9]
	s_cbranch_execnz .LBB25_3753
; %bb.1705:
	s_or_saveexec_b64 s[6:7], s[6:7]
	v_mov_b32_e32 v2, s10
	s_xor_b64 exec, exec, s[6:7]
	s_cbranch_execnz .LBB25_3756
.LBB25_1706:
	s_or_b64 exec, exec, s[6:7]
	s_and_saveexec_b64 s[6:7], s[4:5]
	s_cbranch_execz .LBB25_1708
.LBB25_1707:
	v_bfe_u32 v2, v7, 8, 3
	v_ffbh_u32_e32 v11, v2
	v_min_u32_e32 v11, 32, v11
	v_lshrrev_b16_e32 v10, 3, v6
	v_subrev_u32_e32 v12, 28, v11
	v_and_b32_e32 v10, 15, v10
	v_lshlrev_b32_e32 v6, v12, v6
	v_sub_u32_e32 v11, 29, v11
	v_and_b32_e32 v6, 7, v6
	v_cmp_eq_u16_e32 vcc, 0, v10
	v_cndmask_b32_e32 v2, v2, v6, vcc
	v_cndmask_b32_e32 v6, v10, v11, vcc
	v_lshlrev_b32_e32 v10, 16, v7
	v_mov_b32_e32 v11, 0x3b800000
	v_lshlrev_b32_e32 v2, 20, v2
	v_and_b32_e32 v10, 0x80000000, v10
	v_lshl_add_u32 v6, v6, 23, v11
	v_or3_b32 v2, v10, v6, v2
.LBB25_1708:
	s_or_b64 exec, exec, s[6:7]
	v_lshrrev_b32_e32 v6, 8, v3
	s_movk_i32 s4, 0x7f
	v_cmp_gt_i16_sdwa s[6:7], v6, s4 src0_sel:BYTE_0 src1_sel:DWORD
	s_mov_b64 s[4:5], 0
                                        ; implicit-def: $sgpr10
	s_and_saveexec_b64 s[8:9], s[6:7]
	s_xor_b64 s[6:7], exec, s[8:9]
	s_cbranch_execnz .LBB25_3757
; %bb.1709:
	s_or_saveexec_b64 s[6:7], s[6:7]
	v_mov_b32_e32 v10, s10
	s_xor_b64 exec, exec, s[6:7]
	s_cbranch_execnz .LBB25_3760
.LBB25_1710:
	s_or_b64 exec, exec, s[6:7]
	s_and_saveexec_b64 s[6:7], s[4:5]
	s_cbranch_execz .LBB25_1712
.LBB25_1711:
	v_bfe_u32 v10, v3, 8, 3
	v_ffbh_u32_e32 v12, v10
	v_min_u32_e32 v12, 32, v12
	v_lshrrev_b16_e32 v11, 3, v6
	v_subrev_u32_e32 v13, 28, v12
	v_and_b32_e32 v11, 15, v11
	v_lshlrev_b32_e32 v6, v13, v6
	v_sub_u32_e32 v12, 29, v12
	v_and_b32_e32 v6, 7, v6
	v_cmp_eq_u16_e32 vcc, 0, v11
	v_cndmask_b32_e32 v6, v10, v6, vcc
	v_cndmask_b32_e32 v10, v11, v12, vcc
	v_lshlrev_b32_e32 v11, 16, v3
	v_mov_b32_e32 v12, 0x3b800000
	v_lshlrev_b32_e32 v6, 20, v6
	v_and_b32_e32 v11, 0x80000000, v11
	v_lshl_add_u32 v10, v10, 23, v12
	v_or3_b32 v10, v11, v10, v6
.LBB25_1712:
	s_or_b64 exec, exec, s[6:7]
	s_nop 0
	v_mfma_f32_16x16x4f32 a[0:3], v2, v10, a[0:3]
	s_movk_i32 s4, 0xff
	v_and_b32_sdwa v6, v7, s4 dst_sel:DWORD dst_unused:UNUSED_PAD src0_sel:WORD_1 src1_sel:DWORD
	s_movk_i32 s4, 0x7f
	v_cmp_lt_i16_e32 vcc, s4, v6
	s_mov_b64 s[4:5], 0
                                        ; implicit-def: $sgpr10
	s_and_saveexec_b64 s[6:7], vcc
	s_xor_b64 s[6:7], exec, s[6:7]
	s_cbranch_execnz .LBB25_3761
; %bb.1713:
	s_or_saveexec_b64 s[6:7], s[6:7]
	v_mov_b32_e32 v2, s10
	s_xor_b64 exec, exec, s[6:7]
	s_cbranch_execnz .LBB25_3764
.LBB25_1714:
	s_or_b64 exec, exec, s[6:7]
	s_and_saveexec_b64 s[6:7], s[4:5]
	s_cbranch_execz .LBB25_1716
.LBB25_1715:
	v_bfe_u32 v2, v7, 16, 3
	v_ffbh_u32_e32 v11, v2
	v_min_u32_e32 v11, 32, v11
	v_lshrrev_b32_e32 v6, 19, v7
	v_subrev_u32_e32 v12, 28, v11
	v_and_b32_e32 v6, 15, v6
	v_lshlrev_b32_sdwa v12, v12, v7 dst_sel:DWORD dst_unused:UNUSED_PAD src0_sel:DWORD src1_sel:WORD_1
	v_bfe_u32 v10, v7, 19, 4
	v_sub_u32_e32 v11, 29, v11
	v_and_b32_e32 v12, 7, v12
	v_cmp_eq_u16_e32 vcc, 0, v6
	v_cndmask_b32_e32 v2, v2, v12, vcc
	v_cndmask_b32_e32 v6, v10, v11, vcc
	v_lshlrev_b32_e32 v10, 8, v7
	v_mov_b32_e32 v11, 0x3b800000
	v_lshlrev_b32_e32 v2, 20, v2
	v_and_b32_e32 v10, 0x80000000, v10
	v_lshl_add_u32 v6, v6, 23, v11
	v_or3_b32 v2, v10, v6, v2
.LBB25_1716:
	s_or_b64 exec, exec, s[6:7]
	s_movk_i32 s4, 0xff
	v_and_b32_sdwa v6, v3, s4 dst_sel:DWORD dst_unused:UNUSED_PAD src0_sel:WORD_1 src1_sel:DWORD
	s_movk_i32 s4, 0x7f
	v_cmp_lt_i16_e32 vcc, s4, v6
	s_mov_b64 s[4:5], 0
                                        ; implicit-def: $sgpr10
	s_and_saveexec_b64 s[6:7], vcc
	s_xor_b64 s[6:7], exec, s[6:7]
	s_cbranch_execnz .LBB25_3765
; %bb.1717:
	s_or_saveexec_b64 s[6:7], s[6:7]
	v_mov_b32_e32 v10, s10
	s_xor_b64 exec, exec, s[6:7]
	s_cbranch_execnz .LBB25_3768
.LBB25_1718:
	s_or_b64 exec, exec, s[6:7]
	s_and_saveexec_b64 s[6:7], s[4:5]
	s_cbranch_execz .LBB25_1720
.LBB25_1719:
	v_bfe_u32 v6, v3, 16, 3
	v_ffbh_u32_e32 v12, v6
	v_min_u32_e32 v12, 32, v12
	v_lshrrev_b32_e32 v10, 19, v3
	v_subrev_u32_e32 v13, 28, v12
	v_and_b32_e32 v10, 15, v10
	v_lshlrev_b32_sdwa v13, v13, v3 dst_sel:DWORD dst_unused:UNUSED_PAD src0_sel:DWORD src1_sel:WORD_1
	v_bfe_u32 v11, v3, 19, 4
	v_sub_u32_e32 v12, 29, v12
	v_and_b32_e32 v13, 7, v13
	v_cmp_eq_u16_e32 vcc, 0, v10
	v_cndmask_b32_e32 v6, v6, v13, vcc
	v_cndmask_b32_e32 v10, v11, v12, vcc
	v_lshlrev_b32_e32 v11, 8, v3
	v_mov_b32_e32 v12, 0x3b800000
	v_lshlrev_b32_e32 v6, 20, v6
	v_and_b32_e32 v11, 0x80000000, v11
	v_lshl_add_u32 v10, v10, 23, v12
	v_or3_b32 v10, v11, v10, v6
.LBB25_1720:
	s_or_b64 exec, exec, s[6:7]
	s_nop 0
	v_mfma_f32_16x16x4f32 a[0:3], v2, v10, a[0:3]
	s_movk_i32 s4, 0x7f
	v_cmp_gt_i16_sdwa s[6:7], v7, s4 src0_sel:BYTE_3 src1_sel:DWORD
	s_mov_b64 s[4:5], 0
                                        ; implicit-def: $sgpr10
	s_and_saveexec_b64 s[8:9], s[6:7]
	s_xor_b64 s[6:7], exec, s[8:9]
	s_cbranch_execnz .LBB25_3769
; %bb.1721:
	s_or_saveexec_b64 s[6:7], s[6:7]
	v_mov_b32_e32 v2, s10
	s_xor_b64 exec, exec, s[6:7]
	s_cbranch_execnz .LBB25_3772
.LBB25_1722:
	s_or_b64 exec, exec, s[6:7]
	s_and_saveexec_b64 s[6:7], s[4:5]
	s_cbranch_execz .LBB25_1724
.LBB25_1723:
	v_bfe_u32 v2, v7, 24, 3
	v_ffbh_u32_e32 v12, v2
	v_min_u32_e32 v12, 32, v12
	v_lshrrev_b32_e32 v10, 27, v7
	v_subrev_u32_e32 v13, 28, v12
	v_and_b32_e32 v6, 0x80000000, v7
	v_and_b32_e32 v10, 15, v10
	v_bfe_u32 v11, v7, 27, 4
	v_lshlrev_b32_sdwa v7, v13, v7 dst_sel:DWORD dst_unused:UNUSED_PAD src0_sel:DWORD src1_sel:BYTE_3
	v_sub_u32_e32 v12, 29, v12
	v_and_b32_e32 v7, 7, v7
	v_cmp_eq_u16_e32 vcc, 0, v10
	v_cndmask_b32_e32 v2, v2, v7, vcc
	v_cndmask_b32_e32 v7, v11, v12, vcc
	v_mov_b32_e32 v10, 0x3b800000
	v_lshlrev_b32_e32 v2, 20, v2
	v_lshl_add_u32 v7, v7, 23, v10
	v_or3_b32 v2, v6, v7, v2
.LBB25_1724:
	s_or_b64 exec, exec, s[6:7]
	s_movk_i32 s4, 0x7f
	v_cmp_gt_i16_sdwa s[6:7], v3, s4 src0_sel:BYTE_3 src1_sel:DWORD
	s_mov_b64 s[4:5], 0
                                        ; implicit-def: $sgpr10
	s_and_saveexec_b64 s[8:9], s[6:7]
	s_xor_b64 s[6:7], exec, s[8:9]
	s_cbranch_execnz .LBB25_3773
; %bb.1725:
	s_or_saveexec_b64 s[6:7], s[6:7]
	v_mov_b32_e32 v6, s10
	s_xor_b64 exec, exec, s[6:7]
	s_cbranch_execnz .LBB25_3776
.LBB25_1726:
	s_or_b64 exec, exec, s[6:7]
	s_and_saveexec_b64 s[6:7], s[4:5]
	s_cbranch_execz .LBB25_1728
.LBB25_1727:
	v_bfe_u32 v6, v3, 24, 3
	v_ffbh_u32_e32 v12, v6
	v_min_u32_e32 v12, 32, v12
	v_lshrrev_b32_e32 v10, 27, v3
	v_subrev_u32_e32 v13, 28, v12
	v_and_b32_e32 v7, 0x80000000, v3
	v_and_b32_e32 v10, 15, v10
	v_bfe_u32 v11, v3, 27, 4
	v_lshlrev_b32_sdwa v3, v13, v3 dst_sel:DWORD dst_unused:UNUSED_PAD src0_sel:DWORD src1_sel:BYTE_3
	v_sub_u32_e32 v12, 29, v12
	v_and_b32_e32 v3, 7, v3
	v_cmp_eq_u16_e32 vcc, 0, v10
	v_cndmask_b32_e32 v3, v6, v3, vcc
	v_cndmask_b32_e32 v6, v11, v12, vcc
	v_mov_b32_e32 v10, 0x3b800000
	v_lshlrev_b32_e32 v3, 20, v3
	v_lshl_add_u32 v6, v6, 23, v10
	v_or3_b32 v6, v7, v6, v3
.LBB25_1728:
	s_or_b64 exec, exec, s[6:7]
	s_nop 0
	v_mfma_f32_16x16x4f32 a[0:3], v2, v6, a[0:3]
	s_movk_i32 s4, 0x7f
	v_cmp_gt_i16_sdwa s[6:7], v8, s4 src0_sel:BYTE_0 src1_sel:DWORD
	s_mov_b64 s[4:5], 0
                                        ; implicit-def: $sgpr10
	s_and_saveexec_b64 s[8:9], s[6:7]
	s_xor_b64 s[6:7], exec, s[8:9]
	s_cbranch_execnz .LBB25_3777
; %bb.1729:
	s_or_saveexec_b64 s[6:7], s[6:7]
	v_mov_b32_e32 v2, s10
	s_xor_b64 exec, exec, s[6:7]
	s_cbranch_execnz .LBB25_3780
.LBB25_1730:
	s_or_b64 exec, exec, s[6:7]
	s_and_saveexec_b64 s[6:7], s[4:5]
	s_cbranch_execz .LBB25_1732
.LBB25_1731:
	v_and_b32_e32 v2, 7, v8
	v_ffbh_u32_e32 v6, v2
	v_min_u32_e32 v6, 32, v6
	v_lshrrev_b16_e32 v3, 3, v8
	v_subrev_u32_e32 v7, 28, v6
	v_and_b32_e32 v3, 15, v3
	v_lshlrev_b32_e32 v7, v7, v8
	v_sub_u32_e32 v6, 29, v6
	v_and_b32_e32 v7, 7, v7
	v_cmp_eq_u16_e32 vcc, 0, v3
	v_cndmask_b32_e32 v2, v2, v7, vcc
	v_cndmask_b32_e32 v3, v3, v6, vcc
	v_lshlrev_b32_e32 v6, 24, v8
	v_mov_b32_e32 v7, 0x3b800000
	v_lshlrev_b32_e32 v2, 20, v2
	v_and_b32_e32 v6, 0x80000000, v6
	v_lshl_add_u32 v3, v3, 23, v7
	v_or3_b32 v2, v6, v3, v2
.LBB25_1732:
	s_or_b64 exec, exec, s[6:7]
	s_movk_i32 s4, 0x7f
	v_cmp_gt_i16_sdwa s[6:7], v4, s4 src0_sel:BYTE_0 src1_sel:DWORD
	s_mov_b64 s[4:5], 0
                                        ; implicit-def: $sgpr10
	s_and_saveexec_b64 s[8:9], s[6:7]
	s_xor_b64 s[6:7], exec, s[8:9]
	s_cbranch_execnz .LBB25_3781
; %bb.1733:
	s_or_saveexec_b64 s[6:7], s[6:7]
	v_mov_b32_e32 v3, s10
	s_xor_b64 exec, exec, s[6:7]
	s_cbranch_execnz .LBB25_3784
.LBB25_1734:
	s_or_b64 exec, exec, s[6:7]
	s_and_saveexec_b64 s[6:7], s[4:5]
	s_cbranch_execz .LBB25_1736
.LBB25_1735:
	v_and_b32_e32 v3, 7, v4
	v_ffbh_u32_e32 v7, v3
	v_min_u32_e32 v7, 32, v7
	v_lshrrev_b16_e32 v6, 3, v4
	v_subrev_u32_e32 v10, 28, v7
	v_and_b32_e32 v6, 15, v6
	v_lshlrev_b32_e32 v10, v10, v4
	v_sub_u32_e32 v7, 29, v7
	v_and_b32_e32 v10, 7, v10
	v_cmp_eq_u16_e32 vcc, 0, v6
	v_cndmask_b32_e32 v3, v3, v10, vcc
	v_cndmask_b32_e32 v6, v6, v7, vcc
	v_lshlrev_b32_e32 v7, 24, v4
	v_mov_b32_e32 v10, 0x3b800000
	v_lshlrev_b32_e32 v3, 20, v3
	v_and_b32_e32 v7, 0x80000000, v7
	v_lshl_add_u32 v6, v6, 23, v10
	v_or3_b32 v3, v7, v6, v3
.LBB25_1736:
	s_or_b64 exec, exec, s[6:7]
	s_nop 0
	v_mfma_f32_16x16x4f32 a[0:3], v2, v3, a[0:3]
	v_lshrrev_b32_e32 v3, 8, v8
	s_movk_i32 s4, 0x7f
	v_cmp_gt_i16_sdwa s[6:7], v3, s4 src0_sel:BYTE_0 src1_sel:DWORD
	s_mov_b64 s[4:5], 0
                                        ; implicit-def: $sgpr10
	s_and_saveexec_b64 s[8:9], s[6:7]
	s_xor_b64 s[6:7], exec, s[8:9]
	s_cbranch_execnz .LBB25_3785
; %bb.1737:
	s_or_saveexec_b64 s[6:7], s[6:7]
	v_mov_b32_e32 v2, s10
	s_xor_b64 exec, exec, s[6:7]
	s_cbranch_execnz .LBB25_3788
.LBB25_1738:
	s_or_b64 exec, exec, s[6:7]
	s_and_saveexec_b64 s[6:7], s[4:5]
	s_cbranch_execz .LBB25_1740
.LBB25_1739:
	v_bfe_u32 v2, v8, 8, 3
	v_ffbh_u32_e32 v7, v2
	v_min_u32_e32 v7, 32, v7
	v_lshrrev_b16_e32 v6, 3, v3
	v_subrev_u32_e32 v10, 28, v7
	v_and_b32_e32 v6, 15, v6
	v_lshlrev_b32_e32 v3, v10, v3
	v_sub_u32_e32 v7, 29, v7
	v_and_b32_e32 v3, 7, v3
	v_cmp_eq_u16_e32 vcc, 0, v6
	v_cndmask_b32_e32 v2, v2, v3, vcc
	v_cndmask_b32_e32 v3, v6, v7, vcc
	v_lshlrev_b32_e32 v6, 16, v8
	v_mov_b32_e32 v7, 0x3b800000
	v_lshlrev_b32_e32 v2, 20, v2
	v_and_b32_e32 v6, 0x80000000, v6
	v_lshl_add_u32 v3, v3, 23, v7
	v_or3_b32 v2, v6, v3, v2
.LBB25_1740:
	s_or_b64 exec, exec, s[6:7]
	v_lshrrev_b32_e32 v3, 8, v4
	s_movk_i32 s4, 0x7f
	v_cmp_gt_i16_sdwa s[6:7], v3, s4 src0_sel:BYTE_0 src1_sel:DWORD
	s_mov_b64 s[4:5], 0
                                        ; implicit-def: $sgpr10
	s_and_saveexec_b64 s[8:9], s[6:7]
	s_xor_b64 s[6:7], exec, s[8:9]
	s_cbranch_execnz .LBB25_3789
; %bb.1741:
	s_or_saveexec_b64 s[6:7], s[6:7]
	v_mov_b32_e32 v6, s10
	s_xor_b64 exec, exec, s[6:7]
	s_cbranch_execnz .LBB25_3792
.LBB25_1742:
	s_or_b64 exec, exec, s[6:7]
	s_and_saveexec_b64 s[6:7], s[4:5]
	s_cbranch_execz .LBB25_1744
.LBB25_1743:
	v_bfe_u32 v6, v4, 8, 3
	v_ffbh_u32_e32 v10, v6
	v_min_u32_e32 v10, 32, v10
	v_lshrrev_b16_e32 v7, 3, v3
	v_subrev_u32_e32 v11, 28, v10
	v_and_b32_e32 v7, 15, v7
	v_lshlrev_b32_e32 v3, v11, v3
	v_sub_u32_e32 v10, 29, v10
	v_and_b32_e32 v3, 7, v3
	v_cmp_eq_u16_e32 vcc, 0, v7
	v_cndmask_b32_e32 v3, v6, v3, vcc
	v_cndmask_b32_e32 v6, v7, v10, vcc
	v_lshlrev_b32_e32 v7, 16, v4
	v_mov_b32_e32 v10, 0x3b800000
	v_lshlrev_b32_e32 v3, 20, v3
	v_and_b32_e32 v7, 0x80000000, v7
	v_lshl_add_u32 v6, v6, 23, v10
	v_or3_b32 v6, v7, v6, v3
.LBB25_1744:
	s_or_b64 exec, exec, s[6:7]
	s_nop 0
	v_mfma_f32_16x16x4f32 a[0:3], v2, v6, a[0:3]
	s_movk_i32 s4, 0xff
	v_and_b32_sdwa v3, v8, s4 dst_sel:DWORD dst_unused:UNUSED_PAD src0_sel:WORD_1 src1_sel:DWORD
	s_movk_i32 s4, 0x7f
	v_cmp_lt_i16_e32 vcc, s4, v3
	s_mov_b64 s[4:5], 0
                                        ; implicit-def: $sgpr10
	s_and_saveexec_b64 s[6:7], vcc
	s_xor_b64 s[6:7], exec, s[6:7]
	s_cbranch_execnz .LBB25_3793
; %bb.1745:
	s_or_saveexec_b64 s[6:7], s[6:7]
	v_mov_b32_e32 v2, s10
	s_xor_b64 exec, exec, s[6:7]
	s_cbranch_execnz .LBB25_3796
.LBB25_1746:
	s_or_b64 exec, exec, s[6:7]
	s_and_saveexec_b64 s[6:7], s[4:5]
	s_cbranch_execz .LBB25_1748
.LBB25_1747:
	v_bfe_u32 v2, v8, 16, 3
	v_ffbh_u32_e32 v7, v2
	v_min_u32_e32 v7, 32, v7
	v_lshrrev_b32_e32 v3, 19, v8
	v_subrev_u32_e32 v10, 28, v7
	v_and_b32_e32 v3, 15, v3
	v_lshlrev_b32_sdwa v10, v10, v8 dst_sel:DWORD dst_unused:UNUSED_PAD src0_sel:DWORD src1_sel:WORD_1
	v_bfe_u32 v6, v8, 19, 4
	v_sub_u32_e32 v7, 29, v7
	v_and_b32_e32 v10, 7, v10
	v_cmp_eq_u16_e32 vcc, 0, v3
	v_cndmask_b32_e32 v2, v2, v10, vcc
	v_cndmask_b32_e32 v3, v6, v7, vcc
	v_lshlrev_b32_e32 v6, 8, v8
	v_mov_b32_e32 v7, 0x3b800000
	v_lshlrev_b32_e32 v2, 20, v2
	v_and_b32_e32 v6, 0x80000000, v6
	v_lshl_add_u32 v3, v3, 23, v7
	v_or3_b32 v2, v6, v3, v2
.LBB25_1748:
	s_or_b64 exec, exec, s[6:7]
	s_movk_i32 s4, 0xff
	v_and_b32_sdwa v3, v4, s4 dst_sel:DWORD dst_unused:UNUSED_PAD src0_sel:WORD_1 src1_sel:DWORD
	s_movk_i32 s4, 0x7f
	v_cmp_lt_i16_e32 vcc, s4, v3
	s_mov_b64 s[4:5], 0
                                        ; implicit-def: $sgpr10
	s_and_saveexec_b64 s[6:7], vcc
	s_xor_b64 s[6:7], exec, s[6:7]
	s_cbranch_execnz .LBB25_3797
; %bb.1749:
	s_or_saveexec_b64 s[6:7], s[6:7]
	v_mov_b32_e32 v6, s10
	s_xor_b64 exec, exec, s[6:7]
	s_cbranch_execnz .LBB25_3800
.LBB25_1750:
	s_or_b64 exec, exec, s[6:7]
	s_and_saveexec_b64 s[6:7], s[4:5]
	s_cbranch_execz .LBB25_1752
.LBB25_1751:
	v_bfe_u32 v3, v4, 16, 3
	v_ffbh_u32_e32 v10, v3
	v_min_u32_e32 v10, 32, v10
	v_lshrrev_b32_e32 v6, 19, v4
	v_subrev_u32_e32 v11, 28, v10
	v_and_b32_e32 v6, 15, v6
	v_lshlrev_b32_sdwa v11, v11, v4 dst_sel:DWORD dst_unused:UNUSED_PAD src0_sel:DWORD src1_sel:WORD_1
	v_bfe_u32 v7, v4, 19, 4
	v_sub_u32_e32 v10, 29, v10
	v_and_b32_e32 v11, 7, v11
	v_cmp_eq_u16_e32 vcc, 0, v6
	v_cndmask_b32_e32 v3, v3, v11, vcc
	v_cndmask_b32_e32 v6, v7, v10, vcc
	v_lshlrev_b32_e32 v7, 8, v4
	v_mov_b32_e32 v10, 0x3b800000
	v_lshlrev_b32_e32 v3, 20, v3
	v_and_b32_e32 v7, 0x80000000, v7
	v_lshl_add_u32 v6, v6, 23, v10
	v_or3_b32 v6, v7, v6, v3
.LBB25_1752:
	s_or_b64 exec, exec, s[6:7]
	s_nop 0
	v_mfma_f32_16x16x4f32 a[0:3], v2, v6, a[0:3]
	s_movk_i32 s4, 0x7f
	v_cmp_gt_i16_sdwa s[6:7], v8, s4 src0_sel:BYTE_3 src1_sel:DWORD
	s_mov_b64 s[4:5], 0
                                        ; implicit-def: $sgpr10
	s_and_saveexec_b64 s[8:9], s[6:7]
	s_xor_b64 s[6:7], exec, s[8:9]
	s_cbranch_execnz .LBB25_3801
; %bb.1753:
	s_or_saveexec_b64 s[6:7], s[6:7]
	v_mov_b32_e32 v2, s10
	s_xor_b64 exec, exec, s[6:7]
	s_cbranch_execnz .LBB25_3804
.LBB25_1754:
	s_or_b64 exec, exec, s[6:7]
	s_and_saveexec_b64 s[6:7], s[4:5]
	s_cbranch_execz .LBB25_1756
.LBB25_1755:
	v_bfe_u32 v2, v8, 24, 3
	v_ffbh_u32_e32 v10, v2
	v_min_u32_e32 v10, 32, v10
	v_lshrrev_b32_e32 v6, 27, v8
	v_subrev_u32_e32 v11, 28, v10
	v_and_b32_e32 v3, 0x80000000, v8
	v_and_b32_e32 v6, 15, v6
	v_bfe_u32 v7, v8, 27, 4
	v_lshlrev_b32_sdwa v8, v11, v8 dst_sel:DWORD dst_unused:UNUSED_PAD src0_sel:DWORD src1_sel:BYTE_3
	v_sub_u32_e32 v10, 29, v10
	v_and_b32_e32 v8, 7, v8
	v_cmp_eq_u16_e32 vcc, 0, v6
	v_cndmask_b32_e32 v2, v2, v8, vcc
	v_cndmask_b32_e32 v6, v7, v10, vcc
	v_mov_b32_e32 v7, 0x3b800000
	v_lshlrev_b32_e32 v2, 20, v2
	v_lshl_add_u32 v6, v6, 23, v7
	v_or3_b32 v2, v3, v6, v2
.LBB25_1756:
	s_or_b64 exec, exec, s[6:7]
	s_movk_i32 s4, 0x7f
	v_cmp_gt_i16_sdwa s[6:7], v4, s4 src0_sel:BYTE_3 src1_sel:DWORD
	s_mov_b64 s[4:5], 0
                                        ; implicit-def: $sgpr10
	s_and_saveexec_b64 s[8:9], s[6:7]
	s_xor_b64 s[6:7], exec, s[8:9]
	s_cbranch_execnz .LBB25_3805
; %bb.1757:
	s_or_saveexec_b64 s[6:7], s[6:7]
	v_mov_b32_e32 v3, s10
	s_xor_b64 exec, exec, s[6:7]
	s_cbranch_execnz .LBB25_3808
.LBB25_1758:
	s_or_b64 exec, exec, s[6:7]
	s_and_saveexec_b64 s[6:7], s[4:5]
	s_cbranch_execz .LBB25_1760
.LBB25_1759:
	v_bfe_u32 v3, v4, 24, 3
	v_ffbh_u32_e32 v10, v3
	v_min_u32_e32 v10, 32, v10
	v_lshrrev_b32_e32 v7, 27, v4
	v_subrev_u32_e32 v11, 28, v10
	v_and_b32_e32 v6, 0x80000000, v4
	v_and_b32_e32 v7, 15, v7
	v_bfe_u32 v8, v4, 27, 4
	v_lshlrev_b32_sdwa v4, v11, v4 dst_sel:DWORD dst_unused:UNUSED_PAD src0_sel:DWORD src1_sel:BYTE_3
	v_sub_u32_e32 v10, 29, v10
	v_and_b32_e32 v4, 7, v4
	v_cmp_eq_u16_e32 vcc, 0, v7
	v_cndmask_b32_e32 v3, v3, v4, vcc
	v_cndmask_b32_e32 v4, v8, v10, vcc
	v_mov_b32_e32 v7, 0x3b800000
	v_lshlrev_b32_e32 v3, 20, v3
	v_lshl_add_u32 v4, v4, 23, v7
	v_or3_b32 v3, v6, v4, v3
.LBB25_1760:
	s_or_b64 exec, exec, s[6:7]
	s_nop 0
	v_mfma_f32_16x16x4f32 a[0:3], v2, v3, a[0:3]
	s_movk_i32 s4, 0x7f
	v_cmp_gt_i16_sdwa s[6:7], v9, s4 src0_sel:BYTE_0 src1_sel:DWORD
	s_mov_b64 s[4:5], 0
                                        ; implicit-def: $sgpr10
	s_and_saveexec_b64 s[8:9], s[6:7]
	s_xor_b64 s[6:7], exec, s[8:9]
	s_cbranch_execnz .LBB25_3809
; %bb.1761:
	s_or_saveexec_b64 s[6:7], s[6:7]
	v_mov_b32_e32 v2, s10
	s_xor_b64 exec, exec, s[6:7]
	s_cbranch_execnz .LBB25_3812
.LBB25_1762:
	s_or_b64 exec, exec, s[6:7]
	s_and_saveexec_b64 s[6:7], s[4:5]
	s_cbranch_execz .LBB25_1764
.LBB25_1763:
	v_mov_b32_e32 v2, 8
	v_and_b32_e32 v3, 7, v9
	v_lshrrev_b32_sdwa v2, v2, v9 dst_sel:BYTE_1 dst_unused:UNUSED_PAD src0_sel:DWORD src1_sel:DWORD
	v_ffbh_u32_e32 v4, v3
	v_or_b32_sdwa v2, v9, v2 dst_sel:DWORD dst_unused:UNUSED_PAD src0_sel:BYTE_0 src1_sel:DWORD
	v_min_u32_e32 v4, 32, v4
	v_lshrrev_b16_e32 v2, 3, v2
	v_subrev_u32_e32 v6, 28, v4
	v_and_b32_e32 v2, 15, v2
	v_lshlrev_b32_e32 v6, v6, v9
	v_sub_u32_e32 v4, 29, v4
	v_and_b32_e32 v6, 7, v6
	v_cmp_eq_u16_e32 vcc, 0, v2
	v_cndmask_b32_e32 v3, v3, v6, vcc
	v_cndmask_b32_e32 v2, v2, v4, vcc
	v_lshlrev_b32_e32 v4, 24, v9
	v_mov_b32_e32 v6, 0x3b800000
	v_lshlrev_b32_e32 v3, 20, v3
	v_and_b32_e32 v4, 0x80000000, v4
	v_lshl_add_u32 v2, v2, 23, v6
	v_or3_b32 v2, v4, v2, v3
.LBB25_1764:
	s_or_b64 exec, exec, s[6:7]
	s_movk_i32 s4, 0x7f
	v_cmp_gt_i16_sdwa s[6:7], v5, s4 src0_sel:BYTE_0 src1_sel:DWORD
	s_mov_b64 s[4:5], 0
                                        ; implicit-def: $sgpr10
	s_and_saveexec_b64 s[8:9], s[6:7]
	s_xor_b64 s[6:7], exec, s[8:9]
	s_cbranch_execnz .LBB25_3813
; %bb.1765:
	s_or_saveexec_b64 s[6:7], s[6:7]
	v_mov_b32_e32 v3, s10
	s_xor_b64 exec, exec, s[6:7]
	s_cbranch_execnz .LBB25_3816
.LBB25_1766:
	s_or_b64 exec, exec, s[6:7]
	s_and_saveexec_b64 s[6:7], s[4:5]
	s_cbranch_execz .LBB25_1768
.LBB25_1767:
	v_mov_b32_e32 v3, 8
	v_and_b32_e32 v4, 7, v5
	v_lshrrev_b32_sdwa v3, v3, v5 dst_sel:BYTE_1 dst_unused:UNUSED_PAD src0_sel:DWORD src1_sel:DWORD
	v_ffbh_u32_e32 v6, v4
	v_or_b32_sdwa v3, v5, v3 dst_sel:DWORD dst_unused:UNUSED_PAD src0_sel:BYTE_0 src1_sel:DWORD
	v_min_u32_e32 v6, 32, v6
	v_lshrrev_b16_e32 v3, 3, v3
	v_subrev_u32_e32 v7, 28, v6
	v_and_b32_e32 v3, 15, v3
	v_lshlrev_b32_e32 v7, v7, v5
	v_sub_u32_e32 v6, 29, v6
	v_and_b32_e32 v7, 7, v7
	v_cmp_eq_u16_e32 vcc, 0, v3
	v_cndmask_b32_e32 v4, v4, v7, vcc
	v_cndmask_b32_e32 v3, v3, v6, vcc
	v_lshlrev_b32_e32 v6, 24, v5
	v_mov_b32_e32 v7, 0x3b800000
	v_lshlrev_b32_e32 v4, 20, v4
	v_and_b32_e32 v6, 0x80000000, v6
	v_lshl_add_u32 v3, v3, 23, v7
	v_or3_b32 v3, v6, v3, v4
.LBB25_1768:
	s_or_b64 exec, exec, s[6:7]
	s_nop 0
	v_mfma_f32_16x16x4f32 a[0:3], v2, v3, a[0:3]
	v_lshrrev_b32_e32 v3, 8, v9
	s_movk_i32 s4, 0x7f
	v_cmp_gt_i16_sdwa s[6:7], v3, s4 src0_sel:BYTE_0 src1_sel:DWORD
	s_mov_b64 s[4:5], 0
                                        ; implicit-def: $sgpr10
	s_and_saveexec_b64 s[8:9], s[6:7]
	s_xor_b64 s[6:7], exec, s[8:9]
	s_cbranch_execnz .LBB25_3817
; %bb.1769:
	s_or_saveexec_b64 s[6:7], s[6:7]
	v_mov_b32_e32 v2, s10
	s_xor_b64 exec, exec, s[6:7]
	s_cbranch_execnz .LBB25_3820
.LBB25_1770:
	s_or_b64 exec, exec, s[6:7]
	s_and_saveexec_b64 s[6:7], s[4:5]
	s_cbranch_execz .LBB25_1772
.LBB25_1771:
	v_bfe_u32 v2, v9, 8, 3
	v_ffbh_u32_e32 v6, v2
	v_min_u32_e32 v6, 32, v6
	v_lshrrev_b16_e32 v4, 3, v3
	v_subrev_u32_e32 v7, 28, v6
	v_and_b32_e32 v4, 15, v4
	v_lshlrev_b32_e32 v3, v7, v3
	v_sub_u32_e32 v6, 29, v6
	v_and_b32_e32 v3, 7, v3
	v_cmp_eq_u16_e32 vcc, 0, v4
	v_cndmask_b32_e32 v2, v2, v3, vcc
	v_cndmask_b32_e32 v3, v4, v6, vcc
	v_lshlrev_b32_e32 v4, 16, v9
	v_mov_b32_e32 v6, 0x3b800000
	v_lshlrev_b32_e32 v2, 20, v2
	v_and_b32_e32 v4, 0x80000000, v4
	v_lshl_add_u32 v3, v3, 23, v6
	v_or3_b32 v2, v4, v3, v2
.LBB25_1772:
	s_or_b64 exec, exec, s[6:7]
	v_lshrrev_b32_e32 v3, 8, v5
	s_movk_i32 s4, 0x7f
	v_cmp_gt_i16_sdwa s[6:7], v3, s4 src0_sel:BYTE_0 src1_sel:DWORD
	s_mov_b64 s[4:5], 0
                                        ; implicit-def: $sgpr10
	s_and_saveexec_b64 s[8:9], s[6:7]
	s_xor_b64 s[6:7], exec, s[8:9]
	s_cbranch_execnz .LBB25_3821
; %bb.1773:
	s_or_saveexec_b64 s[6:7], s[6:7]
	v_mov_b32_e32 v4, s10
	s_xor_b64 exec, exec, s[6:7]
	s_cbranch_execnz .LBB25_3824
.LBB25_1774:
	s_or_b64 exec, exec, s[6:7]
	s_and_saveexec_b64 s[6:7], s[4:5]
	s_cbranch_execz .LBB25_1776
.LBB25_1775:
	v_bfe_u32 v4, v5, 8, 3
	v_ffbh_u32_e32 v7, v4
	v_min_u32_e32 v7, 32, v7
	v_lshrrev_b16_e32 v6, 3, v3
	v_subrev_u32_e32 v8, 28, v7
	v_and_b32_e32 v6, 15, v6
	v_lshlrev_b32_e32 v3, v8, v3
	v_sub_u32_e32 v7, 29, v7
	v_and_b32_e32 v3, 7, v3
	v_cmp_eq_u16_e32 vcc, 0, v6
	v_cndmask_b32_e32 v3, v4, v3, vcc
	v_cndmask_b32_e32 v4, v6, v7, vcc
	v_lshlrev_b32_e32 v6, 16, v5
	v_mov_b32_e32 v7, 0x3b800000
	v_lshlrev_b32_e32 v3, 20, v3
	v_and_b32_e32 v6, 0x80000000, v6
	v_lshl_add_u32 v4, v4, 23, v7
	v_or3_b32 v4, v6, v4, v3
.LBB25_1776:
	s_or_b64 exec, exec, s[6:7]
	s_nop 0
	v_mfma_f32_16x16x4f32 a[0:3], v2, v4, a[0:3]
	s_movk_i32 s4, 0xff
	v_and_b32_sdwa v3, v9, s4 dst_sel:DWORD dst_unused:UNUSED_PAD src0_sel:WORD_1 src1_sel:DWORD
	s_movk_i32 s4, 0x7f
	v_cmp_lt_i16_e32 vcc, s4, v3
	s_mov_b64 s[4:5], 0
                                        ; implicit-def: $sgpr10
	s_and_saveexec_b64 s[6:7], vcc
	s_xor_b64 s[6:7], exec, s[6:7]
	s_cbranch_execnz .LBB25_3825
; %bb.1777:
	s_or_saveexec_b64 s[6:7], s[6:7]
	v_mov_b32_e32 v2, s10
	s_xor_b64 exec, exec, s[6:7]
	s_cbranch_execnz .LBB25_3828
.LBB25_1778:
	s_or_b64 exec, exec, s[6:7]
	s_and_saveexec_b64 s[6:7], s[4:5]
	s_cbranch_execz .LBB25_1780
.LBB25_1779:
	v_bfe_u32 v2, v9, 16, 3
	v_ffbh_u32_e32 v6, v2
	v_min_u32_e32 v6, 32, v6
	v_lshrrev_b32_e32 v3, 19, v9
	v_subrev_u32_e32 v7, 28, v6
	v_and_b32_e32 v3, 15, v3
	v_lshlrev_b32_sdwa v7, v7, v9 dst_sel:DWORD dst_unused:UNUSED_PAD src0_sel:DWORD src1_sel:WORD_1
	v_bfe_u32 v4, v9, 19, 4
	v_sub_u32_e32 v6, 29, v6
	v_and_b32_e32 v7, 7, v7
	v_cmp_eq_u16_e32 vcc, 0, v3
	v_cndmask_b32_e32 v2, v2, v7, vcc
	v_cndmask_b32_e32 v3, v4, v6, vcc
	v_lshlrev_b32_e32 v4, 8, v9
	v_mov_b32_e32 v6, 0x3b800000
	v_lshlrev_b32_e32 v2, 20, v2
	v_and_b32_e32 v4, 0x80000000, v4
	v_lshl_add_u32 v3, v3, 23, v6
	v_or3_b32 v2, v4, v3, v2
.LBB25_1780:
	s_or_b64 exec, exec, s[6:7]
	s_movk_i32 s4, 0xff
	v_and_b32_sdwa v3, v5, s4 dst_sel:DWORD dst_unused:UNUSED_PAD src0_sel:WORD_1 src1_sel:DWORD
	s_movk_i32 s4, 0x7f
	v_cmp_lt_i16_e32 vcc, s4, v3
	s_mov_b64 s[4:5], 0
                                        ; implicit-def: $sgpr10
	s_and_saveexec_b64 s[6:7], vcc
	s_xor_b64 s[6:7], exec, s[6:7]
	s_cbranch_execnz .LBB25_3829
; %bb.1781:
	s_or_saveexec_b64 s[6:7], s[6:7]
	v_mov_b32_e32 v4, s10
	s_xor_b64 exec, exec, s[6:7]
	s_cbranch_execnz .LBB25_3832
.LBB25_1782:
	s_or_b64 exec, exec, s[6:7]
	s_and_saveexec_b64 s[6:7], s[4:5]
	s_cbranch_execz .LBB25_1784
.LBB25_1783:
	v_bfe_u32 v3, v5, 16, 3
	v_ffbh_u32_e32 v7, v3
	v_min_u32_e32 v7, 32, v7
	v_lshrrev_b32_e32 v4, 19, v5
	v_subrev_u32_e32 v8, 28, v7
	v_and_b32_e32 v4, 15, v4
	v_lshlrev_b32_sdwa v8, v8, v5 dst_sel:DWORD dst_unused:UNUSED_PAD src0_sel:DWORD src1_sel:WORD_1
	v_bfe_u32 v6, v5, 19, 4
	v_sub_u32_e32 v7, 29, v7
	v_and_b32_e32 v8, 7, v8
	v_cmp_eq_u16_e32 vcc, 0, v4
	v_cndmask_b32_e32 v3, v3, v8, vcc
	v_cndmask_b32_e32 v4, v6, v7, vcc
	v_lshlrev_b32_e32 v6, 8, v5
	v_mov_b32_e32 v7, 0x3b800000
	v_lshlrev_b32_e32 v3, 20, v3
	v_and_b32_e32 v6, 0x80000000, v6
	v_lshl_add_u32 v4, v4, 23, v7
	v_or3_b32 v4, v6, v4, v3
.LBB25_1784:
	s_or_b64 exec, exec, s[6:7]
	s_nop 0
	v_mfma_f32_16x16x4f32 a[0:3], v2, v4, a[0:3]
	s_movk_i32 s4, 0x7f
	v_cmp_gt_i16_sdwa s[6:7], v9, s4 src0_sel:BYTE_3 src1_sel:DWORD
	s_mov_b64 s[4:5], 0
                                        ; implicit-def: $sgpr10
	s_and_saveexec_b64 s[8:9], s[6:7]
	s_xor_b64 s[6:7], exec, s[8:9]
	s_cbranch_execnz .LBB25_3833
; %bb.1785:
	s_or_saveexec_b64 s[6:7], s[6:7]
	v_mov_b32_e32 v2, s10
	s_xor_b64 exec, exec, s[6:7]
	s_cbranch_execnz .LBB25_3836
.LBB25_1786:
	s_or_b64 exec, exec, s[6:7]
	s_and_saveexec_b64 s[6:7], s[4:5]
	s_cbranch_execz .LBB25_1788
.LBB25_1787:
	v_bfe_u32 v2, v9, 24, 3
	v_ffbh_u32_e32 v7, v2
	v_min_u32_e32 v7, 32, v7
	v_lshrrev_b32_e32 v4, 27, v9
	v_subrev_u32_e32 v8, 28, v7
	v_and_b32_e32 v4, 15, v4
	v_lshlrev_b32_sdwa v8, v8, v9 dst_sel:DWORD dst_unused:UNUSED_PAD src0_sel:DWORD src1_sel:BYTE_3
	v_bfe_u32 v6, v9, 27, 4
	v_sub_u32_e32 v7, 29, v7
	v_and_b32_e32 v8, 7, v8
	v_cmp_eq_u16_e32 vcc, 0, v4
	v_cndmask_b32_e32 v2, v2, v8, vcc
	v_cndmask_b32_e32 v4, v6, v7, vcc
	v_mov_b32_e32 v6, 0x3b800000
	v_and_b32_e32 v3, 0x80000000, v9
	v_lshlrev_b32_e32 v2, 20, v2
	v_lshl_add_u32 v4, v4, 23, v6
	v_or3_b32 v2, v3, v4, v2
.LBB25_1788:
	s_or_b64 exec, exec, s[6:7]
	s_movk_i32 s4, 0x7f
	v_cmp_gt_i16_sdwa s[6:7], v5, s4 src0_sel:BYTE_3 src1_sel:DWORD
	s_mov_b64 s[4:5], 0
                                        ; implicit-def: $sgpr10
	s_and_saveexec_b64 s[8:9], s[6:7]
	s_xor_b64 s[6:7], exec, s[8:9]
	s_cbranch_execnz .LBB25_3837
; %bb.1789:
	s_or_saveexec_b64 s[6:7], s[6:7]
	v_mov_b32_e32 v3, s10
	s_xor_b64 exec, exec, s[6:7]
	s_cbranch_execnz .LBB25_3840
.LBB25_1790:
	s_or_b64 exec, exec, s[6:7]
	s_and_saveexec_b64 s[6:7], s[4:5]
	s_cbranch_execz .LBB25_1792
.LBB25_1791:
	v_bfe_u32 v3, v5, 24, 3
	v_ffbh_u32_e32 v8, v3
	v_min_u32_e32 v8, 32, v8
	v_lshrrev_b32_e32 v6, 27, v5
	v_subrev_u32_e32 v9, 28, v8
	v_and_b32_e32 v4, 0x80000000, v5
	v_and_b32_e32 v6, 15, v6
	v_bfe_u32 v7, v5, 27, 4
	v_lshlrev_b32_sdwa v5, v9, v5 dst_sel:DWORD dst_unused:UNUSED_PAD src0_sel:DWORD src1_sel:BYTE_3
	v_sub_u32_e32 v8, 29, v8
	v_and_b32_e32 v5, 7, v5
	v_cmp_eq_u16_e32 vcc, 0, v6
	v_cndmask_b32_e32 v3, v3, v5, vcc
	v_cndmask_b32_e32 v5, v7, v8, vcc
	v_mov_b32_e32 v6, 0x3b800000
	v_lshlrev_b32_e32 v3, 20, v3
	v_lshl_add_u32 v5, v5, 23, v6
	v_or3_b32 v3, v4, v5, v3
.LBB25_1792:
	s_or_b64 exec, exec, s[6:7]
	s_nop 0
	v_mfma_f32_16x16x4f32 a[0:3], v2, v3, a[0:3]
	s_movk_i32 s4, 0x7f
                                        ; implicit-def: $sgpr10
	s_nop 7
	s_nop 1
	flat_store_dwordx4 v[18:19], a[0:3] offset:992
	flat_load_dwordx4 v[18:21], v[0:1] offset:8
	s_nop 0
	flat_load_dwordx2 v[16:17], v[0:1] offset:24
	s_waitcnt vmcnt(0) lgkmcnt(0)
	flat_load_dwordx4 v[12:15], v[18:19] offset:32
	flat_load_dwordx4 v[4:7], v[18:19] offset:48
	;; [unrolled: 1-line block ×4, first 2 shown]
	s_waitcnt vmcnt(0) lgkmcnt(0)
	v_cmp_gt_i16_sdwa s[6:7], v12, s4 src0_sel:BYTE_0 src1_sel:DWORD
	s_mov_b64 s[4:5], 0
	s_and_saveexec_b64 s[8:9], s[6:7]
	s_xor_b64 s[6:7], exec, s[8:9]
	s_cbranch_execnz .LBB25_3841
; %bb.1793:
	s_or_saveexec_b64 s[6:7], s[6:7]
	v_mov_b32_e32 v18, s10
	s_xor_b64 exec, exec, s[6:7]
	s_cbranch_execnz .LBB25_3844
.LBB25_1794:
	s_or_b64 exec, exec, s[6:7]
	s_and_saveexec_b64 s[6:7], s[4:5]
	s_cbranch_execz .LBB25_1796
.LBB25_1795:
	v_and_b32_e32 v18, 7, v12
	v_ffbh_u32_e32 v20, v18
	v_min_u32_e32 v20, 32, v20
	v_lshrrev_b16_e32 v19, 3, v12
	v_subrev_u32_e32 v21, 28, v20
	v_and_b32_e32 v19, 15, v19
	v_lshlrev_b32_e32 v21, v21, v12
	v_sub_u32_e32 v20, 29, v20
	v_and_b32_e32 v21, 7, v21
	v_cmp_eq_u16_e32 vcc, 0, v19
	v_cndmask_b32_e32 v18, v18, v21, vcc
	v_cndmask_b32_e32 v19, v19, v20, vcc
	v_lshlrev_b32_e32 v20, 24, v12
	v_mov_b32_e32 v21, 0x3b800000
	v_lshlrev_b32_e32 v18, 20, v18
	v_and_b32_e32 v20, 0x80000000, v20
	v_lshl_add_u32 v19, v19, 23, v21
	v_or3_b32 v18, v20, v19, v18
.LBB25_1796:
	s_or_b64 exec, exec, s[6:7]
	s_movk_i32 s4, 0x7f
	v_cmp_gt_i16_sdwa s[6:7], v8, s4 src0_sel:BYTE_0 src1_sel:DWORD
	s_mov_b64 s[4:5], 0
                                        ; implicit-def: $sgpr10
	s_and_saveexec_b64 s[8:9], s[6:7]
	s_xor_b64 s[6:7], exec, s[8:9]
	s_cbranch_execnz .LBB25_3845
; %bb.1797:
	s_or_saveexec_b64 s[6:7], s[6:7]
	v_mov_b32_e32 v19, s10
	s_xor_b64 exec, exec, s[6:7]
	s_cbranch_execnz .LBB25_3848
.LBB25_1798:
	s_or_b64 exec, exec, s[6:7]
	s_and_saveexec_b64 s[6:7], s[4:5]
	s_cbranch_execz .LBB25_1800
.LBB25_1799:
	v_and_b32_e32 v19, 7, v8
	v_ffbh_u32_e32 v21, v19
	v_min_u32_e32 v21, 32, v21
	v_lshrrev_b16_e32 v20, 3, v8
	v_subrev_u32_e32 v22, 28, v21
	v_and_b32_e32 v20, 15, v20
	v_lshlrev_b32_e32 v22, v22, v8
	v_sub_u32_e32 v21, 29, v21
	v_and_b32_e32 v22, 7, v22
	v_cmp_eq_u16_e32 vcc, 0, v20
	v_cndmask_b32_e32 v19, v19, v22, vcc
	v_cndmask_b32_e32 v20, v20, v21, vcc
	v_lshlrev_b32_e32 v21, 24, v8
	v_mov_b32_e32 v22, 0x3b800000
	v_lshlrev_b32_e32 v19, 20, v19
	v_and_b32_e32 v21, 0x80000000, v21
	v_lshl_add_u32 v20, v20, 23, v22
	v_or3_b32 v19, v21, v20, v19
.LBB25_1800:
	s_or_b64 exec, exec, s[6:7]
	flat_load_dwordx4 a[0:3], v[16:17] offset:1008
	s_movk_i32 s4, 0x7f
                                        ; implicit-def: $sgpr10
	s_waitcnt vmcnt(0) lgkmcnt(0)
	v_mfma_f32_16x16x4f32 a[0:3], v18, v19, a[0:3]
	v_lshrrev_b32_e32 v19, 8, v12
	v_cmp_gt_i16_sdwa s[6:7], v19, s4 src0_sel:BYTE_0 src1_sel:DWORD
	s_mov_b64 s[4:5], 0
	s_and_saveexec_b64 s[8:9], s[6:7]
	s_xor_b64 s[6:7], exec, s[8:9]
	s_cbranch_execnz .LBB25_3849
; %bb.1801:
	s_or_saveexec_b64 s[6:7], s[6:7]
	v_mov_b32_e32 v18, s10
	s_xor_b64 exec, exec, s[6:7]
	s_cbranch_execnz .LBB25_3852
.LBB25_1802:
	s_or_b64 exec, exec, s[6:7]
	s_and_saveexec_b64 s[6:7], s[4:5]
	s_cbranch_execz .LBB25_1804
.LBB25_1803:
	v_bfe_u32 v18, v12, 8, 3
	v_ffbh_u32_e32 v21, v18
	v_min_u32_e32 v21, 32, v21
	v_lshrrev_b16_e32 v20, 3, v19
	v_subrev_u32_e32 v22, 28, v21
	v_and_b32_e32 v20, 15, v20
	v_lshlrev_b32_e32 v19, v22, v19
	v_sub_u32_e32 v21, 29, v21
	v_and_b32_e32 v19, 7, v19
	v_cmp_eq_u16_e32 vcc, 0, v20
	v_cndmask_b32_e32 v18, v18, v19, vcc
	v_cndmask_b32_e32 v19, v20, v21, vcc
	v_lshlrev_b32_e32 v20, 16, v12
	v_mov_b32_e32 v21, 0x3b800000
	v_lshlrev_b32_e32 v18, 20, v18
	v_and_b32_e32 v20, 0x80000000, v20
	v_lshl_add_u32 v19, v19, 23, v21
	v_or3_b32 v18, v20, v19, v18
.LBB25_1804:
	s_or_b64 exec, exec, s[6:7]
	v_lshrrev_b32_e32 v19, 8, v8
	s_movk_i32 s4, 0x7f
	v_cmp_gt_i16_sdwa s[6:7], v19, s4 src0_sel:BYTE_0 src1_sel:DWORD
	s_mov_b64 s[4:5], 0
                                        ; implicit-def: $sgpr10
	s_and_saveexec_b64 s[8:9], s[6:7]
	s_xor_b64 s[6:7], exec, s[8:9]
	s_cbranch_execnz .LBB25_3853
; %bb.1805:
	s_or_saveexec_b64 s[6:7], s[6:7]
	v_mov_b32_e32 v20, s10
	s_xor_b64 exec, exec, s[6:7]
	s_cbranch_execnz .LBB25_3856
.LBB25_1806:
	s_or_b64 exec, exec, s[6:7]
	s_and_saveexec_b64 s[6:7], s[4:5]
	s_cbranch_execz .LBB25_1808
.LBB25_1807:
	v_bfe_u32 v20, v8, 8, 3
	v_ffbh_u32_e32 v22, v20
	v_min_u32_e32 v22, 32, v22
	v_lshrrev_b16_e32 v21, 3, v19
	v_subrev_u32_e32 v23, 28, v22
	v_and_b32_e32 v21, 15, v21
	v_lshlrev_b32_e32 v19, v23, v19
	v_sub_u32_e32 v22, 29, v22
	v_and_b32_e32 v19, 7, v19
	v_cmp_eq_u16_e32 vcc, 0, v21
	v_cndmask_b32_e32 v19, v20, v19, vcc
	v_cndmask_b32_e32 v20, v21, v22, vcc
	v_lshlrev_b32_e32 v21, 16, v8
	v_mov_b32_e32 v22, 0x3b800000
	v_lshlrev_b32_e32 v19, 20, v19
	v_and_b32_e32 v21, 0x80000000, v21
	v_lshl_add_u32 v20, v20, 23, v22
	v_or3_b32 v20, v21, v20, v19
.LBB25_1808:
	s_or_b64 exec, exec, s[6:7]
	s_nop 0
	v_mfma_f32_16x16x4f32 a[0:3], v18, v20, a[0:3]
	s_movk_i32 s4, 0xff
	v_and_b32_sdwa v19, v12, s4 dst_sel:DWORD dst_unused:UNUSED_PAD src0_sel:WORD_1 src1_sel:DWORD
	s_movk_i32 s4, 0x7f
	v_cmp_lt_i16_e32 vcc, s4, v19
	s_mov_b64 s[4:5], 0
                                        ; implicit-def: $sgpr10
	s_and_saveexec_b64 s[6:7], vcc
	s_xor_b64 s[6:7], exec, s[6:7]
	s_cbranch_execnz .LBB25_3857
; %bb.1809:
	s_or_saveexec_b64 s[6:7], s[6:7]
	v_mov_b32_e32 v18, s10
	s_xor_b64 exec, exec, s[6:7]
	s_cbranch_execnz .LBB25_3860
.LBB25_1810:
	s_or_b64 exec, exec, s[6:7]
	s_and_saveexec_b64 s[6:7], s[4:5]
	s_cbranch_execz .LBB25_1812
.LBB25_1811:
	v_bfe_u32 v18, v12, 16, 3
	v_ffbh_u32_e32 v21, v18
	v_min_u32_e32 v21, 32, v21
	v_lshrrev_b32_e32 v19, 19, v12
	v_subrev_u32_e32 v22, 28, v21
	v_and_b32_e32 v19, 15, v19
	v_lshlrev_b32_sdwa v22, v22, v12 dst_sel:DWORD dst_unused:UNUSED_PAD src0_sel:DWORD src1_sel:WORD_1
	v_bfe_u32 v20, v12, 19, 4
	v_sub_u32_e32 v21, 29, v21
	v_and_b32_e32 v22, 7, v22
	v_cmp_eq_u16_e32 vcc, 0, v19
	v_cndmask_b32_e32 v18, v18, v22, vcc
	v_cndmask_b32_e32 v19, v20, v21, vcc
	v_lshlrev_b32_e32 v20, 8, v12
	v_mov_b32_e32 v21, 0x3b800000
	v_lshlrev_b32_e32 v18, 20, v18
	v_and_b32_e32 v20, 0x80000000, v20
	v_lshl_add_u32 v19, v19, 23, v21
	v_or3_b32 v18, v20, v19, v18
.LBB25_1812:
	s_or_b64 exec, exec, s[6:7]
	s_movk_i32 s4, 0xff
	v_and_b32_sdwa v19, v8, s4 dst_sel:DWORD dst_unused:UNUSED_PAD src0_sel:WORD_1 src1_sel:DWORD
	s_movk_i32 s4, 0x7f
	v_cmp_lt_i16_e32 vcc, s4, v19
	s_mov_b64 s[4:5], 0
                                        ; implicit-def: $sgpr10
	s_and_saveexec_b64 s[6:7], vcc
	s_xor_b64 s[6:7], exec, s[6:7]
	s_cbranch_execnz .LBB25_3861
; %bb.1813:
	s_or_saveexec_b64 s[6:7], s[6:7]
	v_mov_b32_e32 v20, s10
	s_xor_b64 exec, exec, s[6:7]
	s_cbranch_execnz .LBB25_3864
.LBB25_1814:
	s_or_b64 exec, exec, s[6:7]
	s_and_saveexec_b64 s[6:7], s[4:5]
	s_cbranch_execz .LBB25_1816
.LBB25_1815:
	v_bfe_u32 v19, v8, 16, 3
	v_ffbh_u32_e32 v22, v19
	v_min_u32_e32 v22, 32, v22
	v_lshrrev_b32_e32 v20, 19, v8
	v_subrev_u32_e32 v23, 28, v22
	v_and_b32_e32 v20, 15, v20
	v_lshlrev_b32_sdwa v23, v23, v8 dst_sel:DWORD dst_unused:UNUSED_PAD src0_sel:DWORD src1_sel:WORD_1
	v_bfe_u32 v21, v8, 19, 4
	v_sub_u32_e32 v22, 29, v22
	v_and_b32_e32 v23, 7, v23
	v_cmp_eq_u16_e32 vcc, 0, v20
	v_cndmask_b32_e32 v19, v19, v23, vcc
	v_cndmask_b32_e32 v20, v21, v22, vcc
	v_lshlrev_b32_e32 v21, 8, v8
	v_mov_b32_e32 v22, 0x3b800000
	v_lshlrev_b32_e32 v19, 20, v19
	v_and_b32_e32 v21, 0x80000000, v21
	v_lshl_add_u32 v20, v20, 23, v22
	v_or3_b32 v20, v21, v20, v19
.LBB25_1816:
	s_or_b64 exec, exec, s[6:7]
	s_nop 0
	v_mfma_f32_16x16x4f32 a[0:3], v18, v20, a[0:3]
	s_movk_i32 s4, 0x7f
	v_cmp_gt_i16_sdwa s[6:7], v12, s4 src0_sel:BYTE_3 src1_sel:DWORD
	s_mov_b64 s[4:5], 0
                                        ; implicit-def: $sgpr10
	s_and_saveexec_b64 s[8:9], s[6:7]
	s_xor_b64 s[6:7], exec, s[8:9]
	s_cbranch_execnz .LBB25_3865
; %bb.1817:
	s_or_saveexec_b64 s[6:7], s[6:7]
	v_mov_b32_e32 v18, s10
	s_xor_b64 exec, exec, s[6:7]
	s_cbranch_execnz .LBB25_3868
.LBB25_1818:
	s_or_b64 exec, exec, s[6:7]
	s_and_saveexec_b64 s[6:7], s[4:5]
	s_cbranch_execz .LBB25_1820
.LBB25_1819:
	v_bfe_u32 v18, v12, 24, 3
	v_ffbh_u32_e32 v22, v18
	v_min_u32_e32 v22, 32, v22
	v_lshrrev_b32_e32 v20, 27, v12
	v_subrev_u32_e32 v23, 28, v22
	v_and_b32_e32 v19, 0x80000000, v12
	v_and_b32_e32 v20, 15, v20
	v_bfe_u32 v21, v12, 27, 4
	v_lshlrev_b32_sdwa v12, v23, v12 dst_sel:DWORD dst_unused:UNUSED_PAD src0_sel:DWORD src1_sel:BYTE_3
	v_sub_u32_e32 v22, 29, v22
	v_and_b32_e32 v12, 7, v12
	v_cmp_eq_u16_e32 vcc, 0, v20
	v_cndmask_b32_e32 v12, v18, v12, vcc
	v_cndmask_b32_e32 v18, v21, v22, vcc
	v_mov_b32_e32 v20, 0x3b800000
	v_lshlrev_b32_e32 v12, 20, v12
	v_lshl_add_u32 v18, v18, 23, v20
	v_or3_b32 v18, v19, v18, v12
.LBB25_1820:
	s_or_b64 exec, exec, s[6:7]
	s_movk_i32 s4, 0x7f
	v_cmp_gt_i16_sdwa s[6:7], v8, s4 src0_sel:BYTE_3 src1_sel:DWORD
	s_mov_b64 s[4:5], 0
                                        ; implicit-def: $sgpr10
	s_and_saveexec_b64 s[8:9], s[6:7]
	s_xor_b64 s[6:7], exec, s[8:9]
	s_cbranch_execnz .LBB25_3869
; %bb.1821:
	s_or_saveexec_b64 s[6:7], s[6:7]
	v_mov_b32_e32 v12, s10
	s_xor_b64 exec, exec, s[6:7]
	s_cbranch_execnz .LBB25_3872
.LBB25_1822:
	s_or_b64 exec, exec, s[6:7]
	s_and_saveexec_b64 s[6:7], s[4:5]
	s_cbranch_execz .LBB25_1824
.LBB25_1823:
	v_bfe_u32 v12, v8, 24, 3
	v_ffbh_u32_e32 v22, v12
	v_min_u32_e32 v22, 32, v22
	v_lshrrev_b32_e32 v20, 27, v8
	v_subrev_u32_e32 v23, 28, v22
	v_and_b32_e32 v19, 0x80000000, v8
	v_and_b32_e32 v20, 15, v20
	v_bfe_u32 v21, v8, 27, 4
	v_lshlrev_b32_sdwa v8, v23, v8 dst_sel:DWORD dst_unused:UNUSED_PAD src0_sel:DWORD src1_sel:BYTE_3
	v_sub_u32_e32 v22, 29, v22
	v_and_b32_e32 v8, 7, v8
	v_cmp_eq_u16_e32 vcc, 0, v20
	v_cndmask_b32_e32 v8, v12, v8, vcc
	v_cndmask_b32_e32 v12, v21, v22, vcc
	v_mov_b32_e32 v20, 0x3b800000
	v_lshlrev_b32_e32 v8, 20, v8
	v_lshl_add_u32 v12, v12, 23, v20
	v_or3_b32 v12, v19, v12, v8
.LBB25_1824:
	s_or_b64 exec, exec, s[6:7]
	s_nop 0
	v_mfma_f32_16x16x4f32 a[0:3], v18, v12, a[0:3]
	s_movk_i32 s4, 0x7f
	v_cmp_gt_i16_sdwa s[6:7], v13, s4 src0_sel:BYTE_0 src1_sel:DWORD
	s_mov_b64 s[4:5], 0
                                        ; implicit-def: $sgpr10
	s_and_saveexec_b64 s[8:9], s[6:7]
	s_xor_b64 s[6:7], exec, s[8:9]
	s_cbranch_execnz .LBB25_3873
; %bb.1825:
	s_or_saveexec_b64 s[6:7], s[6:7]
	v_mov_b32_e32 v8, s10
	s_xor_b64 exec, exec, s[6:7]
	s_cbranch_execnz .LBB25_3876
.LBB25_1826:
	s_or_b64 exec, exec, s[6:7]
	s_and_saveexec_b64 s[6:7], s[4:5]
	s_cbranch_execz .LBB25_1828
.LBB25_1827:
	v_and_b32_e32 v8, 7, v13
	v_ffbh_u32_e32 v18, v8
	v_min_u32_e32 v18, 32, v18
	v_lshrrev_b16_e32 v12, 3, v13
	v_subrev_u32_e32 v19, 28, v18
	v_and_b32_e32 v12, 15, v12
	v_lshlrev_b32_e32 v19, v19, v13
	v_sub_u32_e32 v18, 29, v18
	v_and_b32_e32 v19, 7, v19
	v_cmp_eq_u16_e32 vcc, 0, v12
	v_cndmask_b32_e32 v8, v8, v19, vcc
	v_cndmask_b32_e32 v12, v12, v18, vcc
	v_lshlrev_b32_e32 v18, 24, v13
	v_mov_b32_e32 v19, 0x3b800000
	v_lshlrev_b32_e32 v8, 20, v8
	v_and_b32_e32 v18, 0x80000000, v18
	v_lshl_add_u32 v12, v12, 23, v19
	v_or3_b32 v8, v18, v12, v8
.LBB25_1828:
	s_or_b64 exec, exec, s[6:7]
	s_movk_i32 s4, 0x7f
	v_cmp_gt_i16_sdwa s[6:7], v9, s4 src0_sel:BYTE_0 src1_sel:DWORD
	s_mov_b64 s[4:5], 0
                                        ; implicit-def: $sgpr10
	s_and_saveexec_b64 s[8:9], s[6:7]
	s_xor_b64 s[6:7], exec, s[8:9]
	s_cbranch_execnz .LBB25_3877
; %bb.1829:
	s_or_saveexec_b64 s[6:7], s[6:7]
	v_mov_b32_e32 v12, s10
	s_xor_b64 exec, exec, s[6:7]
	s_cbranch_execnz .LBB25_3880
.LBB25_1830:
	s_or_b64 exec, exec, s[6:7]
	s_and_saveexec_b64 s[6:7], s[4:5]
	s_cbranch_execz .LBB25_1832
.LBB25_1831:
	v_and_b32_e32 v12, 7, v9
	v_ffbh_u32_e32 v19, v12
	v_min_u32_e32 v19, 32, v19
	v_lshrrev_b16_e32 v18, 3, v9
	v_subrev_u32_e32 v20, 28, v19
	v_and_b32_e32 v18, 15, v18
	v_lshlrev_b32_e32 v20, v20, v9
	v_sub_u32_e32 v19, 29, v19
	v_and_b32_e32 v20, 7, v20
	v_cmp_eq_u16_e32 vcc, 0, v18
	v_cndmask_b32_e32 v12, v12, v20, vcc
	v_cndmask_b32_e32 v18, v18, v19, vcc
	v_lshlrev_b32_e32 v19, 24, v9
	v_mov_b32_e32 v20, 0x3b800000
	v_lshlrev_b32_e32 v12, 20, v12
	v_and_b32_e32 v19, 0x80000000, v19
	v_lshl_add_u32 v18, v18, 23, v20
	v_or3_b32 v12, v19, v18, v12
.LBB25_1832:
	s_or_b64 exec, exec, s[6:7]
	s_nop 0
	v_mfma_f32_16x16x4f32 a[0:3], v8, v12, a[0:3]
	v_lshrrev_b32_e32 v12, 8, v13
	s_movk_i32 s4, 0x7f
	v_cmp_gt_i16_sdwa s[6:7], v12, s4 src0_sel:BYTE_0 src1_sel:DWORD
	s_mov_b64 s[4:5], 0
                                        ; implicit-def: $sgpr10
	s_and_saveexec_b64 s[8:9], s[6:7]
	s_xor_b64 s[6:7], exec, s[8:9]
	s_cbranch_execnz .LBB25_3881
; %bb.1833:
	s_or_saveexec_b64 s[6:7], s[6:7]
	v_mov_b32_e32 v8, s10
	s_xor_b64 exec, exec, s[6:7]
	s_cbranch_execnz .LBB25_3884
.LBB25_1834:
	s_or_b64 exec, exec, s[6:7]
	s_and_saveexec_b64 s[6:7], s[4:5]
	s_cbranch_execz .LBB25_1836
.LBB25_1835:
	v_bfe_u32 v8, v13, 8, 3
	v_ffbh_u32_e32 v19, v8
	v_min_u32_e32 v19, 32, v19
	v_lshrrev_b16_e32 v18, 3, v12
	v_subrev_u32_e32 v20, 28, v19
	v_and_b32_e32 v18, 15, v18
	v_lshlrev_b32_e32 v12, v20, v12
	v_sub_u32_e32 v19, 29, v19
	v_and_b32_e32 v12, 7, v12
	v_cmp_eq_u16_e32 vcc, 0, v18
	v_cndmask_b32_e32 v8, v8, v12, vcc
	v_cndmask_b32_e32 v12, v18, v19, vcc
	v_lshlrev_b32_e32 v18, 16, v13
	v_mov_b32_e32 v19, 0x3b800000
	v_lshlrev_b32_e32 v8, 20, v8
	v_and_b32_e32 v18, 0x80000000, v18
	v_lshl_add_u32 v12, v12, 23, v19
	v_or3_b32 v8, v18, v12, v8
.LBB25_1836:
	s_or_b64 exec, exec, s[6:7]
	v_lshrrev_b32_e32 v12, 8, v9
	s_movk_i32 s4, 0x7f
	v_cmp_gt_i16_sdwa s[6:7], v12, s4 src0_sel:BYTE_0 src1_sel:DWORD
	s_mov_b64 s[4:5], 0
                                        ; implicit-def: $sgpr10
	s_and_saveexec_b64 s[8:9], s[6:7]
	s_xor_b64 s[6:7], exec, s[8:9]
	s_cbranch_execnz .LBB25_3885
; %bb.1837:
	s_or_saveexec_b64 s[6:7], s[6:7]
	v_mov_b32_e32 v18, s10
	s_xor_b64 exec, exec, s[6:7]
	s_cbranch_execnz .LBB25_3888
.LBB25_1838:
	s_or_b64 exec, exec, s[6:7]
	s_and_saveexec_b64 s[6:7], s[4:5]
	s_cbranch_execz .LBB25_1840
.LBB25_1839:
	v_bfe_u32 v18, v9, 8, 3
	v_ffbh_u32_e32 v20, v18
	v_min_u32_e32 v20, 32, v20
	v_lshrrev_b16_e32 v19, 3, v12
	v_subrev_u32_e32 v21, 28, v20
	v_and_b32_e32 v19, 15, v19
	v_lshlrev_b32_e32 v12, v21, v12
	v_sub_u32_e32 v20, 29, v20
	v_and_b32_e32 v12, 7, v12
	v_cmp_eq_u16_e32 vcc, 0, v19
	v_cndmask_b32_e32 v12, v18, v12, vcc
	v_cndmask_b32_e32 v18, v19, v20, vcc
	v_lshlrev_b32_e32 v19, 16, v9
	v_mov_b32_e32 v20, 0x3b800000
	v_lshlrev_b32_e32 v12, 20, v12
	v_and_b32_e32 v19, 0x80000000, v19
	v_lshl_add_u32 v18, v18, 23, v20
	v_or3_b32 v18, v19, v18, v12
.LBB25_1840:
	s_or_b64 exec, exec, s[6:7]
	s_nop 0
	v_mfma_f32_16x16x4f32 a[0:3], v8, v18, a[0:3]
	s_movk_i32 s4, 0xff
	v_and_b32_sdwa v12, v13, s4 dst_sel:DWORD dst_unused:UNUSED_PAD src0_sel:WORD_1 src1_sel:DWORD
	s_movk_i32 s4, 0x7f
	v_cmp_lt_i16_e32 vcc, s4, v12
	s_mov_b64 s[4:5], 0
                                        ; implicit-def: $sgpr10
	s_and_saveexec_b64 s[6:7], vcc
	s_xor_b64 s[6:7], exec, s[6:7]
	s_cbranch_execnz .LBB25_3889
; %bb.1841:
	s_or_saveexec_b64 s[6:7], s[6:7]
	v_mov_b32_e32 v8, s10
	s_xor_b64 exec, exec, s[6:7]
	s_cbranch_execnz .LBB25_3892
.LBB25_1842:
	s_or_b64 exec, exec, s[6:7]
	s_and_saveexec_b64 s[6:7], s[4:5]
	s_cbranch_execz .LBB25_1844
.LBB25_1843:
	v_bfe_u32 v8, v13, 16, 3
	v_ffbh_u32_e32 v19, v8
	v_min_u32_e32 v19, 32, v19
	v_lshrrev_b32_e32 v12, 19, v13
	v_subrev_u32_e32 v20, 28, v19
	v_and_b32_e32 v12, 15, v12
	v_lshlrev_b32_sdwa v20, v20, v13 dst_sel:DWORD dst_unused:UNUSED_PAD src0_sel:DWORD src1_sel:WORD_1
	v_bfe_u32 v18, v13, 19, 4
	v_sub_u32_e32 v19, 29, v19
	v_and_b32_e32 v20, 7, v20
	v_cmp_eq_u16_e32 vcc, 0, v12
	v_cndmask_b32_e32 v8, v8, v20, vcc
	v_cndmask_b32_e32 v12, v18, v19, vcc
	v_lshlrev_b32_e32 v18, 8, v13
	v_mov_b32_e32 v19, 0x3b800000
	v_lshlrev_b32_e32 v8, 20, v8
	v_and_b32_e32 v18, 0x80000000, v18
	v_lshl_add_u32 v12, v12, 23, v19
	v_or3_b32 v8, v18, v12, v8
.LBB25_1844:
	s_or_b64 exec, exec, s[6:7]
	s_movk_i32 s4, 0xff
	v_and_b32_sdwa v12, v9, s4 dst_sel:DWORD dst_unused:UNUSED_PAD src0_sel:WORD_1 src1_sel:DWORD
	s_movk_i32 s4, 0x7f
	v_cmp_lt_i16_e32 vcc, s4, v12
	s_mov_b64 s[4:5], 0
                                        ; implicit-def: $sgpr10
	s_and_saveexec_b64 s[6:7], vcc
	s_xor_b64 s[6:7], exec, s[6:7]
	s_cbranch_execnz .LBB25_3893
; %bb.1845:
	s_or_saveexec_b64 s[6:7], s[6:7]
	v_mov_b32_e32 v18, s10
	s_xor_b64 exec, exec, s[6:7]
	s_cbranch_execnz .LBB25_3896
.LBB25_1846:
	s_or_b64 exec, exec, s[6:7]
	s_and_saveexec_b64 s[6:7], s[4:5]
	s_cbranch_execz .LBB25_1848
.LBB25_1847:
	v_bfe_u32 v12, v9, 16, 3
	v_ffbh_u32_e32 v20, v12
	v_min_u32_e32 v20, 32, v20
	v_lshrrev_b32_e32 v18, 19, v9
	v_subrev_u32_e32 v21, 28, v20
	v_and_b32_e32 v18, 15, v18
	v_lshlrev_b32_sdwa v21, v21, v9 dst_sel:DWORD dst_unused:UNUSED_PAD src0_sel:DWORD src1_sel:WORD_1
	v_bfe_u32 v19, v9, 19, 4
	v_sub_u32_e32 v20, 29, v20
	v_and_b32_e32 v21, 7, v21
	v_cmp_eq_u16_e32 vcc, 0, v18
	v_cndmask_b32_e32 v12, v12, v21, vcc
	v_cndmask_b32_e32 v18, v19, v20, vcc
	v_lshlrev_b32_e32 v19, 8, v9
	v_mov_b32_e32 v20, 0x3b800000
	v_lshlrev_b32_e32 v12, 20, v12
	v_and_b32_e32 v19, 0x80000000, v19
	v_lshl_add_u32 v18, v18, 23, v20
	v_or3_b32 v18, v19, v18, v12
.LBB25_1848:
	s_or_b64 exec, exec, s[6:7]
	s_nop 0
	v_mfma_f32_16x16x4f32 a[0:3], v8, v18, a[0:3]
	s_movk_i32 s4, 0x7f
	v_cmp_gt_i16_sdwa s[6:7], v13, s4 src0_sel:BYTE_3 src1_sel:DWORD
	s_mov_b64 s[4:5], 0
                                        ; implicit-def: $sgpr10
	s_and_saveexec_b64 s[8:9], s[6:7]
	s_xor_b64 s[6:7], exec, s[8:9]
	s_cbranch_execnz .LBB25_3897
; %bb.1849:
	s_or_saveexec_b64 s[6:7], s[6:7]
	v_mov_b32_e32 v8, s10
	s_xor_b64 exec, exec, s[6:7]
	s_cbranch_execnz .LBB25_3900
.LBB25_1850:
	s_or_b64 exec, exec, s[6:7]
	s_and_saveexec_b64 s[6:7], s[4:5]
	s_cbranch_execz .LBB25_1852
.LBB25_1851:
	v_bfe_u32 v8, v13, 24, 3
	v_ffbh_u32_e32 v20, v8
	v_min_u32_e32 v20, 32, v20
	v_lshrrev_b32_e32 v18, 27, v13
	v_subrev_u32_e32 v21, 28, v20
	v_and_b32_e32 v12, 0x80000000, v13
	v_and_b32_e32 v18, 15, v18
	v_bfe_u32 v19, v13, 27, 4
	v_lshlrev_b32_sdwa v13, v21, v13 dst_sel:DWORD dst_unused:UNUSED_PAD src0_sel:DWORD src1_sel:BYTE_3
	v_sub_u32_e32 v20, 29, v20
	v_and_b32_e32 v13, 7, v13
	v_cmp_eq_u16_e32 vcc, 0, v18
	v_cndmask_b32_e32 v8, v8, v13, vcc
	v_cndmask_b32_e32 v13, v19, v20, vcc
	v_mov_b32_e32 v18, 0x3b800000
	v_lshlrev_b32_e32 v8, 20, v8
	v_lshl_add_u32 v13, v13, 23, v18
	v_or3_b32 v8, v12, v13, v8
.LBB25_1852:
	s_or_b64 exec, exec, s[6:7]
	s_movk_i32 s4, 0x7f
	v_cmp_gt_i16_sdwa s[6:7], v9, s4 src0_sel:BYTE_3 src1_sel:DWORD
	s_mov_b64 s[4:5], 0
                                        ; implicit-def: $sgpr10
	s_and_saveexec_b64 s[8:9], s[6:7]
	s_xor_b64 s[6:7], exec, s[8:9]
	s_cbranch_execnz .LBB25_3901
; %bb.1853:
	s_or_saveexec_b64 s[6:7], s[6:7]
	v_mov_b32_e32 v12, s10
	s_xor_b64 exec, exec, s[6:7]
	s_cbranch_execnz .LBB25_3904
.LBB25_1854:
	s_or_b64 exec, exec, s[6:7]
	s_and_saveexec_b64 s[6:7], s[4:5]
	s_cbranch_execz .LBB25_1856
.LBB25_1855:
	v_bfe_u32 v12, v9, 24, 3
	v_ffbh_u32_e32 v20, v12
	v_min_u32_e32 v20, 32, v20
	v_lshrrev_b32_e32 v18, 27, v9
	v_subrev_u32_e32 v21, 28, v20
	v_and_b32_e32 v13, 0x80000000, v9
	v_and_b32_e32 v18, 15, v18
	v_bfe_u32 v19, v9, 27, 4
	v_lshlrev_b32_sdwa v9, v21, v9 dst_sel:DWORD dst_unused:UNUSED_PAD src0_sel:DWORD src1_sel:BYTE_3
	v_sub_u32_e32 v20, 29, v20
	v_and_b32_e32 v9, 7, v9
	v_cmp_eq_u16_e32 vcc, 0, v18
	v_cndmask_b32_e32 v9, v12, v9, vcc
	v_cndmask_b32_e32 v12, v19, v20, vcc
	v_mov_b32_e32 v18, 0x3b800000
	v_lshlrev_b32_e32 v9, 20, v9
	v_lshl_add_u32 v12, v12, 23, v18
	v_or3_b32 v12, v13, v12, v9
.LBB25_1856:
	s_or_b64 exec, exec, s[6:7]
	s_nop 0
	v_mfma_f32_16x16x4f32 a[0:3], v8, v12, a[0:3]
	s_movk_i32 s4, 0x7f
	v_cmp_gt_i16_sdwa s[6:7], v14, s4 src0_sel:BYTE_0 src1_sel:DWORD
	s_mov_b64 s[4:5], 0
                                        ; implicit-def: $sgpr10
	s_and_saveexec_b64 s[8:9], s[6:7]
	s_xor_b64 s[6:7], exec, s[8:9]
	s_cbranch_execnz .LBB25_3905
; %bb.1857:
	s_or_saveexec_b64 s[6:7], s[6:7]
	v_mov_b32_e32 v8, s10
	s_xor_b64 exec, exec, s[6:7]
	s_cbranch_execnz .LBB25_3908
.LBB25_1858:
	s_or_b64 exec, exec, s[6:7]
	s_and_saveexec_b64 s[6:7], s[4:5]
	s_cbranch_execz .LBB25_1860
.LBB25_1859:
	v_and_b32_e32 v8, 7, v14
	v_ffbh_u32_e32 v12, v8
	v_min_u32_e32 v12, 32, v12
	v_lshrrev_b16_e32 v9, 3, v14
	v_subrev_u32_e32 v13, 28, v12
	v_and_b32_e32 v9, 15, v9
	v_lshlrev_b32_e32 v13, v13, v14
	v_sub_u32_e32 v12, 29, v12
	v_and_b32_e32 v13, 7, v13
	v_cmp_eq_u16_e32 vcc, 0, v9
	v_cndmask_b32_e32 v8, v8, v13, vcc
	v_cndmask_b32_e32 v9, v9, v12, vcc
	v_lshlrev_b32_e32 v12, 24, v14
	v_mov_b32_e32 v13, 0x3b800000
	v_lshlrev_b32_e32 v8, 20, v8
	v_and_b32_e32 v12, 0x80000000, v12
	v_lshl_add_u32 v9, v9, 23, v13
	v_or3_b32 v8, v12, v9, v8
.LBB25_1860:
	s_or_b64 exec, exec, s[6:7]
	s_movk_i32 s4, 0x7f
	v_cmp_gt_i16_sdwa s[6:7], v10, s4 src0_sel:BYTE_0 src1_sel:DWORD
	s_mov_b64 s[4:5], 0
                                        ; implicit-def: $sgpr10
	s_and_saveexec_b64 s[8:9], s[6:7]
	s_xor_b64 s[6:7], exec, s[8:9]
	s_cbranch_execnz .LBB25_3909
; %bb.1861:
	s_or_saveexec_b64 s[6:7], s[6:7]
	v_mov_b32_e32 v9, s10
	s_xor_b64 exec, exec, s[6:7]
	s_cbranch_execnz .LBB25_3912
.LBB25_1862:
	s_or_b64 exec, exec, s[6:7]
	s_and_saveexec_b64 s[6:7], s[4:5]
	s_cbranch_execz .LBB25_1864
.LBB25_1863:
	v_and_b32_e32 v9, 7, v10
	v_ffbh_u32_e32 v13, v9
	v_min_u32_e32 v13, 32, v13
	v_lshrrev_b16_e32 v12, 3, v10
	v_subrev_u32_e32 v18, 28, v13
	v_and_b32_e32 v12, 15, v12
	v_lshlrev_b32_e32 v18, v18, v10
	v_sub_u32_e32 v13, 29, v13
	v_and_b32_e32 v18, 7, v18
	v_cmp_eq_u16_e32 vcc, 0, v12
	v_cndmask_b32_e32 v9, v9, v18, vcc
	v_cndmask_b32_e32 v12, v12, v13, vcc
	v_lshlrev_b32_e32 v13, 24, v10
	v_mov_b32_e32 v18, 0x3b800000
	v_lshlrev_b32_e32 v9, 20, v9
	v_and_b32_e32 v13, 0x80000000, v13
	v_lshl_add_u32 v12, v12, 23, v18
	v_or3_b32 v9, v13, v12, v9
.LBB25_1864:
	s_or_b64 exec, exec, s[6:7]
	s_nop 0
	v_mfma_f32_16x16x4f32 a[0:3], v8, v9, a[0:3]
	v_lshrrev_b32_e32 v9, 8, v14
	s_movk_i32 s4, 0x7f
	v_cmp_gt_i16_sdwa s[6:7], v9, s4 src0_sel:BYTE_0 src1_sel:DWORD
	s_mov_b64 s[4:5], 0
                                        ; implicit-def: $sgpr10
	s_and_saveexec_b64 s[8:9], s[6:7]
	s_xor_b64 s[6:7], exec, s[8:9]
	s_cbranch_execnz .LBB25_3913
; %bb.1865:
	s_or_saveexec_b64 s[6:7], s[6:7]
	v_mov_b32_e32 v8, s10
	s_xor_b64 exec, exec, s[6:7]
	s_cbranch_execnz .LBB25_3916
.LBB25_1866:
	s_or_b64 exec, exec, s[6:7]
	s_and_saveexec_b64 s[6:7], s[4:5]
	s_cbranch_execz .LBB25_1868
.LBB25_1867:
	v_bfe_u32 v8, v14, 8, 3
	v_ffbh_u32_e32 v13, v8
	v_min_u32_e32 v13, 32, v13
	v_lshrrev_b16_e32 v12, 3, v9
	v_subrev_u32_e32 v18, 28, v13
	v_and_b32_e32 v12, 15, v12
	v_lshlrev_b32_e32 v9, v18, v9
	v_sub_u32_e32 v13, 29, v13
	v_and_b32_e32 v9, 7, v9
	v_cmp_eq_u16_e32 vcc, 0, v12
	v_cndmask_b32_e32 v8, v8, v9, vcc
	v_cndmask_b32_e32 v9, v12, v13, vcc
	v_lshlrev_b32_e32 v12, 16, v14
	v_mov_b32_e32 v13, 0x3b800000
	v_lshlrev_b32_e32 v8, 20, v8
	v_and_b32_e32 v12, 0x80000000, v12
	v_lshl_add_u32 v9, v9, 23, v13
	v_or3_b32 v8, v12, v9, v8
.LBB25_1868:
	s_or_b64 exec, exec, s[6:7]
	v_lshrrev_b32_e32 v9, 8, v10
	s_movk_i32 s4, 0x7f
	v_cmp_gt_i16_sdwa s[6:7], v9, s4 src0_sel:BYTE_0 src1_sel:DWORD
	s_mov_b64 s[4:5], 0
                                        ; implicit-def: $sgpr10
	s_and_saveexec_b64 s[8:9], s[6:7]
	s_xor_b64 s[6:7], exec, s[8:9]
	s_cbranch_execnz .LBB25_3917
; %bb.1869:
	s_or_saveexec_b64 s[6:7], s[6:7]
	v_mov_b32_e32 v12, s10
	s_xor_b64 exec, exec, s[6:7]
	s_cbranch_execnz .LBB25_3920
.LBB25_1870:
	s_or_b64 exec, exec, s[6:7]
	s_and_saveexec_b64 s[6:7], s[4:5]
	s_cbranch_execz .LBB25_1872
.LBB25_1871:
	v_bfe_u32 v12, v10, 8, 3
	v_ffbh_u32_e32 v18, v12
	v_min_u32_e32 v18, 32, v18
	v_lshrrev_b16_e32 v13, 3, v9
	v_subrev_u32_e32 v19, 28, v18
	v_and_b32_e32 v13, 15, v13
	v_lshlrev_b32_e32 v9, v19, v9
	v_sub_u32_e32 v18, 29, v18
	v_and_b32_e32 v9, 7, v9
	v_cmp_eq_u16_e32 vcc, 0, v13
	v_cndmask_b32_e32 v9, v12, v9, vcc
	v_cndmask_b32_e32 v12, v13, v18, vcc
	v_lshlrev_b32_e32 v13, 16, v10
	v_mov_b32_e32 v18, 0x3b800000
	v_lshlrev_b32_e32 v9, 20, v9
	v_and_b32_e32 v13, 0x80000000, v13
	v_lshl_add_u32 v12, v12, 23, v18
	v_or3_b32 v12, v13, v12, v9
.LBB25_1872:
	s_or_b64 exec, exec, s[6:7]
	s_nop 0
	v_mfma_f32_16x16x4f32 a[0:3], v8, v12, a[0:3]
	s_movk_i32 s4, 0xff
	v_and_b32_sdwa v9, v14, s4 dst_sel:DWORD dst_unused:UNUSED_PAD src0_sel:WORD_1 src1_sel:DWORD
	s_movk_i32 s4, 0x7f
	v_cmp_lt_i16_e32 vcc, s4, v9
	s_mov_b64 s[4:5], 0
                                        ; implicit-def: $sgpr10
	s_and_saveexec_b64 s[6:7], vcc
	s_xor_b64 s[6:7], exec, s[6:7]
	s_cbranch_execnz .LBB25_3921
; %bb.1873:
	s_or_saveexec_b64 s[6:7], s[6:7]
	v_mov_b32_e32 v8, s10
	s_xor_b64 exec, exec, s[6:7]
	s_cbranch_execnz .LBB25_3924
.LBB25_1874:
	s_or_b64 exec, exec, s[6:7]
	s_and_saveexec_b64 s[6:7], s[4:5]
	s_cbranch_execz .LBB25_1876
.LBB25_1875:
	v_bfe_u32 v8, v14, 16, 3
	v_ffbh_u32_e32 v13, v8
	v_min_u32_e32 v13, 32, v13
	v_lshrrev_b32_e32 v9, 19, v14
	v_subrev_u32_e32 v18, 28, v13
	v_and_b32_e32 v9, 15, v9
	v_lshlrev_b32_sdwa v18, v18, v14 dst_sel:DWORD dst_unused:UNUSED_PAD src0_sel:DWORD src1_sel:WORD_1
	v_bfe_u32 v12, v14, 19, 4
	v_sub_u32_e32 v13, 29, v13
	v_and_b32_e32 v18, 7, v18
	v_cmp_eq_u16_e32 vcc, 0, v9
	v_cndmask_b32_e32 v8, v8, v18, vcc
	v_cndmask_b32_e32 v9, v12, v13, vcc
	v_lshlrev_b32_e32 v12, 8, v14
	v_mov_b32_e32 v13, 0x3b800000
	v_lshlrev_b32_e32 v8, 20, v8
	v_and_b32_e32 v12, 0x80000000, v12
	v_lshl_add_u32 v9, v9, 23, v13
	v_or3_b32 v8, v12, v9, v8
.LBB25_1876:
	s_or_b64 exec, exec, s[6:7]
	s_movk_i32 s4, 0xff
	v_and_b32_sdwa v9, v10, s4 dst_sel:DWORD dst_unused:UNUSED_PAD src0_sel:WORD_1 src1_sel:DWORD
	s_movk_i32 s4, 0x7f
	v_cmp_lt_i16_e32 vcc, s4, v9
	s_mov_b64 s[4:5], 0
                                        ; implicit-def: $sgpr10
	s_and_saveexec_b64 s[6:7], vcc
	s_xor_b64 s[6:7], exec, s[6:7]
	s_cbranch_execnz .LBB25_3925
; %bb.1877:
	s_or_saveexec_b64 s[6:7], s[6:7]
	v_mov_b32_e32 v12, s10
	s_xor_b64 exec, exec, s[6:7]
	s_cbranch_execnz .LBB25_3928
.LBB25_1878:
	s_or_b64 exec, exec, s[6:7]
	s_and_saveexec_b64 s[6:7], s[4:5]
	s_cbranch_execz .LBB25_1880
.LBB25_1879:
	v_bfe_u32 v9, v10, 16, 3
	v_ffbh_u32_e32 v18, v9
	v_min_u32_e32 v18, 32, v18
	v_lshrrev_b32_e32 v12, 19, v10
	v_subrev_u32_e32 v19, 28, v18
	v_and_b32_e32 v12, 15, v12
	v_lshlrev_b32_sdwa v19, v19, v10 dst_sel:DWORD dst_unused:UNUSED_PAD src0_sel:DWORD src1_sel:WORD_1
	v_bfe_u32 v13, v10, 19, 4
	v_sub_u32_e32 v18, 29, v18
	v_and_b32_e32 v19, 7, v19
	v_cmp_eq_u16_e32 vcc, 0, v12
	v_cndmask_b32_e32 v9, v9, v19, vcc
	v_cndmask_b32_e32 v12, v13, v18, vcc
	v_lshlrev_b32_e32 v13, 8, v10
	v_mov_b32_e32 v18, 0x3b800000
	v_lshlrev_b32_e32 v9, 20, v9
	v_and_b32_e32 v13, 0x80000000, v13
	v_lshl_add_u32 v12, v12, 23, v18
	v_or3_b32 v12, v13, v12, v9
.LBB25_1880:
	s_or_b64 exec, exec, s[6:7]
	s_nop 0
	v_mfma_f32_16x16x4f32 a[0:3], v8, v12, a[0:3]
	s_movk_i32 s4, 0x7f
	v_cmp_gt_i16_sdwa s[6:7], v14, s4 src0_sel:BYTE_3 src1_sel:DWORD
	s_mov_b64 s[4:5], 0
                                        ; implicit-def: $sgpr10
	s_and_saveexec_b64 s[8:9], s[6:7]
	s_xor_b64 s[6:7], exec, s[8:9]
	s_cbranch_execnz .LBB25_3929
; %bb.1881:
	s_or_saveexec_b64 s[6:7], s[6:7]
	v_mov_b32_e32 v8, s10
	s_xor_b64 exec, exec, s[6:7]
	s_cbranch_execnz .LBB25_3932
.LBB25_1882:
	s_or_b64 exec, exec, s[6:7]
	s_and_saveexec_b64 s[6:7], s[4:5]
	s_cbranch_execz .LBB25_1884
.LBB25_1883:
	v_bfe_u32 v8, v14, 24, 3
	v_ffbh_u32_e32 v18, v8
	v_min_u32_e32 v18, 32, v18
	v_lshrrev_b32_e32 v12, 27, v14
	v_subrev_u32_e32 v19, 28, v18
	v_and_b32_e32 v9, 0x80000000, v14
	v_and_b32_e32 v12, 15, v12
	v_bfe_u32 v13, v14, 27, 4
	v_lshlrev_b32_sdwa v14, v19, v14 dst_sel:DWORD dst_unused:UNUSED_PAD src0_sel:DWORD src1_sel:BYTE_3
	v_sub_u32_e32 v18, 29, v18
	v_and_b32_e32 v14, 7, v14
	v_cmp_eq_u16_e32 vcc, 0, v12
	v_cndmask_b32_e32 v8, v8, v14, vcc
	v_cndmask_b32_e32 v12, v13, v18, vcc
	v_mov_b32_e32 v13, 0x3b800000
	v_lshlrev_b32_e32 v8, 20, v8
	v_lshl_add_u32 v12, v12, 23, v13
	v_or3_b32 v8, v9, v12, v8
.LBB25_1884:
	s_or_b64 exec, exec, s[6:7]
	s_movk_i32 s4, 0x7f
	v_cmp_gt_i16_sdwa s[6:7], v10, s4 src0_sel:BYTE_3 src1_sel:DWORD
	s_mov_b64 s[4:5], 0
                                        ; implicit-def: $sgpr10
	s_and_saveexec_b64 s[8:9], s[6:7]
	s_xor_b64 s[6:7], exec, s[8:9]
	s_cbranch_execnz .LBB25_3933
; %bb.1885:
	s_or_saveexec_b64 s[6:7], s[6:7]
	v_mov_b32_e32 v9, s10
	s_xor_b64 exec, exec, s[6:7]
	s_cbranch_execnz .LBB25_3936
.LBB25_1886:
	s_or_b64 exec, exec, s[6:7]
	s_and_saveexec_b64 s[6:7], s[4:5]
	s_cbranch_execz .LBB25_1888
.LBB25_1887:
	v_bfe_u32 v9, v10, 24, 3
	v_ffbh_u32_e32 v18, v9
	v_min_u32_e32 v18, 32, v18
	v_lshrrev_b32_e32 v13, 27, v10
	v_subrev_u32_e32 v19, 28, v18
	v_and_b32_e32 v12, 0x80000000, v10
	v_and_b32_e32 v13, 15, v13
	v_bfe_u32 v14, v10, 27, 4
	v_lshlrev_b32_sdwa v10, v19, v10 dst_sel:DWORD dst_unused:UNUSED_PAD src0_sel:DWORD src1_sel:BYTE_3
	v_sub_u32_e32 v18, 29, v18
	v_and_b32_e32 v10, 7, v10
	v_cmp_eq_u16_e32 vcc, 0, v13
	v_cndmask_b32_e32 v9, v9, v10, vcc
	v_cndmask_b32_e32 v10, v14, v18, vcc
	v_mov_b32_e32 v13, 0x3b800000
	v_lshlrev_b32_e32 v9, 20, v9
	v_lshl_add_u32 v10, v10, 23, v13
	v_or3_b32 v9, v12, v10, v9
.LBB25_1888:
	s_or_b64 exec, exec, s[6:7]
	s_nop 0
	v_mfma_f32_16x16x4f32 a[0:3], v8, v9, a[0:3]
	s_movk_i32 s4, 0x7f
	v_cmp_gt_i16_sdwa s[6:7], v15, s4 src0_sel:BYTE_0 src1_sel:DWORD
	s_mov_b64 s[4:5], 0
                                        ; implicit-def: $sgpr10
	s_and_saveexec_b64 s[8:9], s[6:7]
	s_xor_b64 s[6:7], exec, s[8:9]
	s_cbranch_execnz .LBB25_3937
; %bb.1889:
	s_or_saveexec_b64 s[6:7], s[6:7]
	v_mov_b32_e32 v8, s10
	s_xor_b64 exec, exec, s[6:7]
	s_cbranch_execnz .LBB25_3940
.LBB25_1890:
	s_or_b64 exec, exec, s[6:7]
	s_and_saveexec_b64 s[6:7], s[4:5]
	s_cbranch_execz .LBB25_1892
.LBB25_1891:
	v_and_b32_e32 v8, 7, v15
	v_ffbh_u32_e32 v10, v8
	v_min_u32_e32 v10, 32, v10
	v_lshrrev_b16_e32 v9, 3, v15
	v_subrev_u32_e32 v12, 28, v10
	v_and_b32_e32 v9, 15, v9
	v_lshlrev_b32_e32 v12, v12, v15
	v_sub_u32_e32 v10, 29, v10
	v_and_b32_e32 v12, 7, v12
	v_cmp_eq_u16_e32 vcc, 0, v9
	v_cndmask_b32_e32 v8, v8, v12, vcc
	v_cndmask_b32_e32 v9, v9, v10, vcc
	v_lshlrev_b32_e32 v10, 24, v15
	v_mov_b32_e32 v12, 0x3b800000
	v_lshlrev_b32_e32 v8, 20, v8
	v_and_b32_e32 v10, 0x80000000, v10
	v_lshl_add_u32 v9, v9, 23, v12
	v_or3_b32 v8, v10, v9, v8
.LBB25_1892:
	s_or_b64 exec, exec, s[6:7]
	s_movk_i32 s4, 0x7f
	v_cmp_gt_i16_sdwa s[6:7], v11, s4 src0_sel:BYTE_0 src1_sel:DWORD
	s_mov_b64 s[4:5], 0
                                        ; implicit-def: $sgpr10
	s_and_saveexec_b64 s[8:9], s[6:7]
	s_xor_b64 s[6:7], exec, s[8:9]
	s_cbranch_execnz .LBB25_3941
; %bb.1893:
	s_or_saveexec_b64 s[6:7], s[6:7]
	v_mov_b32_e32 v9, s10
	s_xor_b64 exec, exec, s[6:7]
	s_cbranch_execnz .LBB25_3944
.LBB25_1894:
	s_or_b64 exec, exec, s[6:7]
	s_and_saveexec_b64 s[6:7], s[4:5]
	s_cbranch_execz .LBB25_1896
.LBB25_1895:
	v_and_b32_e32 v9, 7, v11
	v_ffbh_u32_e32 v12, v9
	v_min_u32_e32 v12, 32, v12
	v_lshrrev_b16_e32 v10, 3, v11
	v_subrev_u32_e32 v13, 28, v12
	v_and_b32_e32 v10, 15, v10
	v_lshlrev_b32_e32 v13, v13, v11
	v_sub_u32_e32 v12, 29, v12
	v_and_b32_e32 v13, 7, v13
	v_cmp_eq_u16_e32 vcc, 0, v10
	v_cndmask_b32_e32 v9, v9, v13, vcc
	v_cndmask_b32_e32 v10, v10, v12, vcc
	v_lshlrev_b32_e32 v12, 24, v11
	v_mov_b32_e32 v13, 0x3b800000
	v_lshlrev_b32_e32 v9, 20, v9
	v_and_b32_e32 v12, 0x80000000, v12
	v_lshl_add_u32 v10, v10, 23, v13
	v_or3_b32 v9, v12, v10, v9
.LBB25_1896:
	s_or_b64 exec, exec, s[6:7]
	s_nop 0
	v_mfma_f32_16x16x4f32 a[0:3], v8, v9, a[0:3]
	v_lshrrev_b32_e32 v9, 8, v15
	s_movk_i32 s4, 0x7f
	v_cmp_gt_i16_sdwa s[6:7], v9, s4 src0_sel:BYTE_0 src1_sel:DWORD
	s_mov_b64 s[4:5], 0
                                        ; implicit-def: $sgpr10
	s_and_saveexec_b64 s[8:9], s[6:7]
	s_xor_b64 s[6:7], exec, s[8:9]
	s_cbranch_execnz .LBB25_3945
; %bb.1897:
	s_or_saveexec_b64 s[6:7], s[6:7]
	v_mov_b32_e32 v8, s10
	s_xor_b64 exec, exec, s[6:7]
	s_cbranch_execnz .LBB25_3948
.LBB25_1898:
	s_or_b64 exec, exec, s[6:7]
	s_and_saveexec_b64 s[6:7], s[4:5]
	s_cbranch_execz .LBB25_1900
.LBB25_1899:
	v_bfe_u32 v8, v15, 8, 3
	v_ffbh_u32_e32 v12, v8
	v_min_u32_e32 v12, 32, v12
	v_lshrrev_b16_e32 v10, 3, v9
	v_subrev_u32_e32 v13, 28, v12
	v_and_b32_e32 v10, 15, v10
	v_lshlrev_b32_e32 v9, v13, v9
	v_sub_u32_e32 v12, 29, v12
	v_and_b32_e32 v9, 7, v9
	v_cmp_eq_u16_e32 vcc, 0, v10
	v_cndmask_b32_e32 v8, v8, v9, vcc
	v_cndmask_b32_e32 v9, v10, v12, vcc
	v_lshlrev_b32_e32 v10, 16, v15
	v_mov_b32_e32 v12, 0x3b800000
	v_lshlrev_b32_e32 v8, 20, v8
	v_and_b32_e32 v10, 0x80000000, v10
	v_lshl_add_u32 v9, v9, 23, v12
	v_or3_b32 v8, v10, v9, v8
.LBB25_1900:
	s_or_b64 exec, exec, s[6:7]
	v_lshrrev_b32_e32 v9, 8, v11
	s_movk_i32 s4, 0x7f
	v_cmp_gt_i16_sdwa s[6:7], v9, s4 src0_sel:BYTE_0 src1_sel:DWORD
	s_mov_b64 s[4:5], 0
                                        ; implicit-def: $sgpr10
	s_and_saveexec_b64 s[8:9], s[6:7]
	s_xor_b64 s[6:7], exec, s[8:9]
	s_cbranch_execnz .LBB25_3949
; %bb.1901:
	s_or_saveexec_b64 s[6:7], s[6:7]
	v_mov_b32_e32 v10, s10
	s_xor_b64 exec, exec, s[6:7]
	s_cbranch_execnz .LBB25_3952
.LBB25_1902:
	s_or_b64 exec, exec, s[6:7]
	s_and_saveexec_b64 s[6:7], s[4:5]
	s_cbranch_execz .LBB25_1904
.LBB25_1903:
	v_bfe_u32 v10, v11, 8, 3
	v_ffbh_u32_e32 v13, v10
	v_min_u32_e32 v13, 32, v13
	v_lshrrev_b16_e32 v12, 3, v9
	v_subrev_u32_e32 v14, 28, v13
	v_and_b32_e32 v12, 15, v12
	v_lshlrev_b32_e32 v9, v14, v9
	v_sub_u32_e32 v13, 29, v13
	v_and_b32_e32 v9, 7, v9
	v_cmp_eq_u16_e32 vcc, 0, v12
	v_cndmask_b32_e32 v9, v10, v9, vcc
	v_cndmask_b32_e32 v10, v12, v13, vcc
	v_lshlrev_b32_e32 v12, 16, v11
	v_mov_b32_e32 v13, 0x3b800000
	v_lshlrev_b32_e32 v9, 20, v9
	v_and_b32_e32 v12, 0x80000000, v12
	v_lshl_add_u32 v10, v10, 23, v13
	v_or3_b32 v10, v12, v10, v9
.LBB25_1904:
	s_or_b64 exec, exec, s[6:7]
	s_nop 0
	v_mfma_f32_16x16x4f32 a[0:3], v8, v10, a[0:3]
	s_movk_i32 s4, 0xff
	v_and_b32_sdwa v9, v15, s4 dst_sel:DWORD dst_unused:UNUSED_PAD src0_sel:WORD_1 src1_sel:DWORD
	s_movk_i32 s4, 0x7f
	v_cmp_lt_i16_e32 vcc, s4, v9
	s_mov_b64 s[4:5], 0
                                        ; implicit-def: $sgpr10
	s_and_saveexec_b64 s[6:7], vcc
	s_xor_b64 s[6:7], exec, s[6:7]
	s_cbranch_execnz .LBB25_3953
; %bb.1905:
	s_or_saveexec_b64 s[6:7], s[6:7]
	v_mov_b32_e32 v8, s10
	s_xor_b64 exec, exec, s[6:7]
	s_cbranch_execnz .LBB25_3956
.LBB25_1906:
	s_or_b64 exec, exec, s[6:7]
	s_and_saveexec_b64 s[6:7], s[4:5]
	s_cbranch_execz .LBB25_1908
.LBB25_1907:
	v_bfe_u32 v8, v15, 16, 3
	v_ffbh_u32_e32 v12, v8
	v_min_u32_e32 v12, 32, v12
	v_lshrrev_b32_e32 v9, 19, v15
	v_subrev_u32_e32 v13, 28, v12
	v_and_b32_e32 v9, 15, v9
	v_lshlrev_b32_sdwa v13, v13, v15 dst_sel:DWORD dst_unused:UNUSED_PAD src0_sel:DWORD src1_sel:WORD_1
	v_bfe_u32 v10, v15, 19, 4
	v_sub_u32_e32 v12, 29, v12
	v_and_b32_e32 v13, 7, v13
	v_cmp_eq_u16_e32 vcc, 0, v9
	v_cndmask_b32_e32 v8, v8, v13, vcc
	v_cndmask_b32_e32 v9, v10, v12, vcc
	v_lshlrev_b32_e32 v10, 8, v15
	v_mov_b32_e32 v12, 0x3b800000
	v_lshlrev_b32_e32 v8, 20, v8
	v_and_b32_e32 v10, 0x80000000, v10
	v_lshl_add_u32 v9, v9, 23, v12
	v_or3_b32 v8, v10, v9, v8
.LBB25_1908:
	s_or_b64 exec, exec, s[6:7]
	s_movk_i32 s4, 0xff
	v_and_b32_sdwa v9, v11, s4 dst_sel:DWORD dst_unused:UNUSED_PAD src0_sel:WORD_1 src1_sel:DWORD
	s_movk_i32 s4, 0x7f
	v_cmp_lt_i16_e32 vcc, s4, v9
	s_mov_b64 s[4:5], 0
                                        ; implicit-def: $sgpr10
	s_and_saveexec_b64 s[6:7], vcc
	s_xor_b64 s[6:7], exec, s[6:7]
	s_cbranch_execnz .LBB25_3957
; %bb.1909:
	s_or_saveexec_b64 s[6:7], s[6:7]
	v_mov_b32_e32 v10, s10
	s_xor_b64 exec, exec, s[6:7]
	s_cbranch_execnz .LBB25_3960
.LBB25_1910:
	s_or_b64 exec, exec, s[6:7]
	s_and_saveexec_b64 s[6:7], s[4:5]
	s_cbranch_execz .LBB25_1912
.LBB25_1911:
	v_bfe_u32 v9, v11, 16, 3
	v_ffbh_u32_e32 v13, v9
	v_min_u32_e32 v13, 32, v13
	v_lshrrev_b32_e32 v10, 19, v11
	v_subrev_u32_e32 v14, 28, v13
	v_and_b32_e32 v10, 15, v10
	v_lshlrev_b32_sdwa v14, v14, v11 dst_sel:DWORD dst_unused:UNUSED_PAD src0_sel:DWORD src1_sel:WORD_1
	v_bfe_u32 v12, v11, 19, 4
	v_sub_u32_e32 v13, 29, v13
	v_and_b32_e32 v14, 7, v14
	v_cmp_eq_u16_e32 vcc, 0, v10
	v_cndmask_b32_e32 v9, v9, v14, vcc
	v_cndmask_b32_e32 v10, v12, v13, vcc
	v_lshlrev_b32_e32 v12, 8, v11
	v_mov_b32_e32 v13, 0x3b800000
	v_lshlrev_b32_e32 v9, 20, v9
	v_and_b32_e32 v12, 0x80000000, v12
	v_lshl_add_u32 v10, v10, 23, v13
	v_or3_b32 v10, v12, v10, v9
.LBB25_1912:
	s_or_b64 exec, exec, s[6:7]
	s_nop 0
	v_mfma_f32_16x16x4f32 a[0:3], v8, v10, a[0:3]
	s_movk_i32 s4, 0x7f
	v_cmp_gt_i16_sdwa s[6:7], v15, s4 src0_sel:BYTE_3 src1_sel:DWORD
	s_mov_b64 s[4:5], 0
                                        ; implicit-def: $sgpr10
	s_and_saveexec_b64 s[8:9], s[6:7]
	s_xor_b64 s[6:7], exec, s[8:9]
	s_cbranch_execnz .LBB25_3961
; %bb.1913:
	s_or_saveexec_b64 s[6:7], s[6:7]
	v_mov_b32_e32 v8, s10
	s_xor_b64 exec, exec, s[6:7]
	s_cbranch_execnz .LBB25_3964
.LBB25_1914:
	s_or_b64 exec, exec, s[6:7]
	s_and_saveexec_b64 s[6:7], s[4:5]
	s_cbranch_execz .LBB25_1916
.LBB25_1915:
	v_bfe_u32 v8, v15, 24, 3
	v_ffbh_u32_e32 v13, v8
	v_min_u32_e32 v13, 32, v13
	v_lshrrev_b32_e32 v10, 27, v15
	v_subrev_u32_e32 v14, 28, v13
	v_and_b32_e32 v10, 15, v10
	v_lshlrev_b32_sdwa v14, v14, v15 dst_sel:DWORD dst_unused:UNUSED_PAD src0_sel:DWORD src1_sel:BYTE_3
	v_bfe_u32 v12, v15, 27, 4
	v_sub_u32_e32 v13, 29, v13
	v_and_b32_e32 v14, 7, v14
	v_cmp_eq_u16_e32 vcc, 0, v10
	v_cndmask_b32_e32 v8, v8, v14, vcc
	v_cndmask_b32_e32 v10, v12, v13, vcc
	v_mov_b32_e32 v12, 0x3b800000
	v_and_b32_e32 v9, 0x80000000, v15
	v_lshlrev_b32_e32 v8, 20, v8
	v_lshl_add_u32 v10, v10, 23, v12
	v_or3_b32 v8, v9, v10, v8
.LBB25_1916:
	s_or_b64 exec, exec, s[6:7]
	s_movk_i32 s4, 0x7f
	v_cmp_gt_i16_sdwa s[6:7], v11, s4 src0_sel:BYTE_3 src1_sel:DWORD
	s_mov_b64 s[4:5], 0
                                        ; implicit-def: $sgpr10
	s_and_saveexec_b64 s[8:9], s[6:7]
	s_xor_b64 s[6:7], exec, s[8:9]
	s_cbranch_execnz .LBB25_3965
; %bb.1917:
	s_or_saveexec_b64 s[6:7], s[6:7]
	v_mov_b32_e32 v9, s10
	s_xor_b64 exec, exec, s[6:7]
	s_cbranch_execnz .LBB25_3968
.LBB25_1918:
	s_or_b64 exec, exec, s[6:7]
	s_and_saveexec_b64 s[6:7], s[4:5]
	s_cbranch_execz .LBB25_1920
.LBB25_1919:
	v_bfe_u32 v9, v11, 24, 3
	v_ffbh_u32_e32 v14, v9
	v_min_u32_e32 v14, 32, v14
	v_lshrrev_b32_e32 v12, 27, v11
	v_subrev_u32_e32 v15, 28, v14
	v_and_b32_e32 v10, 0x80000000, v11
	v_and_b32_e32 v12, 15, v12
	v_bfe_u32 v13, v11, 27, 4
	v_lshlrev_b32_sdwa v11, v15, v11 dst_sel:DWORD dst_unused:UNUSED_PAD src0_sel:DWORD src1_sel:BYTE_3
	v_sub_u32_e32 v14, 29, v14
	v_and_b32_e32 v11, 7, v11
	v_cmp_eq_u16_e32 vcc, 0, v12
	v_cndmask_b32_e32 v9, v9, v11, vcc
	v_cndmask_b32_e32 v11, v13, v14, vcc
	v_mov_b32_e32 v12, 0x3b800000
	v_lshlrev_b32_e32 v9, 20, v9
	v_lshl_add_u32 v11, v11, 23, v12
	v_or3_b32 v9, v10, v11, v9
.LBB25_1920:
	s_or_b64 exec, exec, s[6:7]
	s_nop 0
	v_mfma_f32_16x16x4f32 a[0:3], v8, v9, a[0:3]
	s_movk_i32 s4, 0x7f
	v_cmp_gt_i16_sdwa s[6:7], v4, s4 src0_sel:BYTE_0 src1_sel:DWORD
	s_mov_b64 s[4:5], 0
                                        ; implicit-def: $sgpr10
	s_and_saveexec_b64 s[8:9], s[6:7]
	s_xor_b64 s[6:7], exec, s[8:9]
	s_cbranch_execnz .LBB25_3969
; %bb.1921:
	s_or_saveexec_b64 s[6:7], s[6:7]
	v_mov_b32_e32 v8, s10
	s_xor_b64 exec, exec, s[6:7]
	s_cbranch_execnz .LBB25_3972
.LBB25_1922:
	s_or_b64 exec, exec, s[6:7]
	s_and_saveexec_b64 s[6:7], s[4:5]
	s_cbranch_execz .LBB25_1924
.LBB25_1923:
	v_and_b32_e32 v8, 7, v4
	v_ffbh_u32_e32 v10, v8
	v_min_u32_e32 v10, 32, v10
	v_lshrrev_b16_e32 v9, 3, v4
	v_subrev_u32_e32 v11, 28, v10
	v_and_b32_e32 v9, 15, v9
	v_lshlrev_b32_e32 v11, v11, v4
	v_sub_u32_e32 v10, 29, v10
	v_and_b32_e32 v11, 7, v11
	v_cmp_eq_u16_e32 vcc, 0, v9
	v_cndmask_b32_e32 v8, v8, v11, vcc
	v_cndmask_b32_e32 v9, v9, v10, vcc
	v_lshlrev_b32_e32 v10, 24, v4
	v_mov_b32_e32 v11, 0x3b800000
	v_lshlrev_b32_e32 v8, 20, v8
	v_and_b32_e32 v10, 0x80000000, v10
	v_lshl_add_u32 v9, v9, 23, v11
	v_or3_b32 v8, v10, v9, v8
.LBB25_1924:
	s_or_b64 exec, exec, s[6:7]
	s_movk_i32 s4, 0x7f
	v_cmp_gt_i16_sdwa s[6:7], v0, s4 src0_sel:BYTE_0 src1_sel:DWORD
	s_mov_b64 s[4:5], 0
                                        ; implicit-def: $sgpr10
	s_and_saveexec_b64 s[8:9], s[6:7]
	s_xor_b64 s[6:7], exec, s[8:9]
	s_cbranch_execnz .LBB25_3973
; %bb.1925:
	s_or_saveexec_b64 s[6:7], s[6:7]
	v_mov_b32_e32 v9, s10
	s_xor_b64 exec, exec, s[6:7]
	s_cbranch_execnz .LBB25_3976
.LBB25_1926:
	s_or_b64 exec, exec, s[6:7]
	s_and_saveexec_b64 s[6:7], s[4:5]
	s_cbranch_execz .LBB25_1928
.LBB25_1927:
	v_and_b32_e32 v9, 7, v0
	v_ffbh_u32_e32 v11, v9
	v_min_u32_e32 v11, 32, v11
	v_lshrrev_b16_e32 v10, 3, v0
	v_subrev_u32_e32 v12, 28, v11
	v_and_b32_e32 v10, 15, v10
	v_lshlrev_b32_e32 v12, v12, v0
	v_sub_u32_e32 v11, 29, v11
	v_and_b32_e32 v12, 7, v12
	v_cmp_eq_u16_e32 vcc, 0, v10
	v_cndmask_b32_e32 v9, v9, v12, vcc
	v_cndmask_b32_e32 v10, v10, v11, vcc
	v_lshlrev_b32_e32 v11, 24, v0
	v_mov_b32_e32 v12, 0x3b800000
	v_lshlrev_b32_e32 v9, 20, v9
	v_and_b32_e32 v11, 0x80000000, v11
	v_lshl_add_u32 v10, v10, 23, v12
	v_or3_b32 v9, v11, v10, v9
.LBB25_1928:
	s_or_b64 exec, exec, s[6:7]
	s_nop 0
	v_mfma_f32_16x16x4f32 a[0:3], v8, v9, a[0:3]
	v_lshrrev_b32_e32 v9, 8, v4
	s_movk_i32 s4, 0x7f
	v_cmp_gt_i16_sdwa s[6:7], v9, s4 src0_sel:BYTE_0 src1_sel:DWORD
	s_mov_b64 s[4:5], 0
                                        ; implicit-def: $sgpr10
	s_and_saveexec_b64 s[8:9], s[6:7]
	s_xor_b64 s[6:7], exec, s[8:9]
	s_cbranch_execnz .LBB25_3977
; %bb.1929:
	s_or_saveexec_b64 s[6:7], s[6:7]
	v_mov_b32_e32 v8, s10
	s_xor_b64 exec, exec, s[6:7]
	s_cbranch_execnz .LBB25_3980
.LBB25_1930:
	s_or_b64 exec, exec, s[6:7]
	s_and_saveexec_b64 s[6:7], s[4:5]
	s_cbranch_execz .LBB25_1932
.LBB25_1931:
	v_bfe_u32 v8, v4, 8, 3
	v_ffbh_u32_e32 v11, v8
	v_min_u32_e32 v11, 32, v11
	v_lshrrev_b16_e32 v10, 3, v9
	v_subrev_u32_e32 v12, 28, v11
	v_and_b32_e32 v10, 15, v10
	v_lshlrev_b32_e32 v9, v12, v9
	v_sub_u32_e32 v11, 29, v11
	v_and_b32_e32 v9, 7, v9
	v_cmp_eq_u16_e32 vcc, 0, v10
	v_cndmask_b32_e32 v8, v8, v9, vcc
	v_cndmask_b32_e32 v9, v10, v11, vcc
	v_lshlrev_b32_e32 v10, 16, v4
	v_mov_b32_e32 v11, 0x3b800000
	v_lshlrev_b32_e32 v8, 20, v8
	v_and_b32_e32 v10, 0x80000000, v10
	v_lshl_add_u32 v9, v9, 23, v11
	v_or3_b32 v8, v10, v9, v8
.LBB25_1932:
	s_or_b64 exec, exec, s[6:7]
	v_lshrrev_b32_e32 v9, 8, v0
	s_movk_i32 s4, 0x7f
	v_cmp_gt_i16_sdwa s[6:7], v9, s4 src0_sel:BYTE_0 src1_sel:DWORD
	s_mov_b64 s[4:5], 0
                                        ; implicit-def: $sgpr10
	s_and_saveexec_b64 s[8:9], s[6:7]
	s_xor_b64 s[6:7], exec, s[8:9]
	s_cbranch_execnz .LBB25_3981
; %bb.1933:
	s_or_saveexec_b64 s[6:7], s[6:7]
	v_mov_b32_e32 v10, s10
	s_xor_b64 exec, exec, s[6:7]
	s_cbranch_execnz .LBB25_3984
.LBB25_1934:
	s_or_b64 exec, exec, s[6:7]
	s_and_saveexec_b64 s[6:7], s[4:5]
	s_cbranch_execz .LBB25_1936
.LBB25_1935:
	v_bfe_u32 v10, v0, 8, 3
	v_ffbh_u32_e32 v12, v10
	v_min_u32_e32 v12, 32, v12
	v_lshrrev_b16_e32 v11, 3, v9
	v_subrev_u32_e32 v13, 28, v12
	v_and_b32_e32 v11, 15, v11
	v_lshlrev_b32_e32 v9, v13, v9
	v_sub_u32_e32 v12, 29, v12
	v_and_b32_e32 v9, 7, v9
	v_cmp_eq_u16_e32 vcc, 0, v11
	v_cndmask_b32_e32 v9, v10, v9, vcc
	v_cndmask_b32_e32 v10, v11, v12, vcc
	v_lshlrev_b32_e32 v11, 16, v0
	v_mov_b32_e32 v12, 0x3b800000
	v_lshlrev_b32_e32 v9, 20, v9
	v_and_b32_e32 v11, 0x80000000, v11
	v_lshl_add_u32 v10, v10, 23, v12
	v_or3_b32 v10, v11, v10, v9
.LBB25_1936:
	s_or_b64 exec, exec, s[6:7]
	s_nop 0
	v_mfma_f32_16x16x4f32 a[0:3], v8, v10, a[0:3]
	s_movk_i32 s4, 0xff
	v_and_b32_sdwa v9, v4, s4 dst_sel:DWORD dst_unused:UNUSED_PAD src0_sel:WORD_1 src1_sel:DWORD
	s_movk_i32 s4, 0x7f
	v_cmp_lt_i16_e32 vcc, s4, v9
	s_mov_b64 s[4:5], 0
                                        ; implicit-def: $sgpr10
	s_and_saveexec_b64 s[6:7], vcc
	s_xor_b64 s[6:7], exec, s[6:7]
	s_cbranch_execnz .LBB25_3985
; %bb.1937:
	s_or_saveexec_b64 s[6:7], s[6:7]
	v_mov_b32_e32 v8, s10
	s_xor_b64 exec, exec, s[6:7]
	s_cbranch_execnz .LBB25_3988
.LBB25_1938:
	s_or_b64 exec, exec, s[6:7]
	s_and_saveexec_b64 s[6:7], s[4:5]
	s_cbranch_execz .LBB25_1940
.LBB25_1939:
	v_bfe_u32 v8, v4, 16, 3
	v_ffbh_u32_e32 v11, v8
	v_min_u32_e32 v11, 32, v11
	v_lshrrev_b32_e32 v9, 19, v4
	v_subrev_u32_e32 v12, 28, v11
	v_and_b32_e32 v9, 15, v9
	v_lshlrev_b32_sdwa v12, v12, v4 dst_sel:DWORD dst_unused:UNUSED_PAD src0_sel:DWORD src1_sel:WORD_1
	v_bfe_u32 v10, v4, 19, 4
	v_sub_u32_e32 v11, 29, v11
	v_and_b32_e32 v12, 7, v12
	v_cmp_eq_u16_e32 vcc, 0, v9
	v_cndmask_b32_e32 v8, v8, v12, vcc
	v_cndmask_b32_e32 v9, v10, v11, vcc
	v_lshlrev_b32_e32 v10, 8, v4
	v_mov_b32_e32 v11, 0x3b800000
	v_lshlrev_b32_e32 v8, 20, v8
	v_and_b32_e32 v10, 0x80000000, v10
	v_lshl_add_u32 v9, v9, 23, v11
	v_or3_b32 v8, v10, v9, v8
.LBB25_1940:
	s_or_b64 exec, exec, s[6:7]
	s_movk_i32 s4, 0xff
	v_and_b32_sdwa v9, v0, s4 dst_sel:DWORD dst_unused:UNUSED_PAD src0_sel:WORD_1 src1_sel:DWORD
	s_movk_i32 s4, 0x7f
	v_cmp_lt_i16_e32 vcc, s4, v9
	s_mov_b64 s[4:5], 0
                                        ; implicit-def: $sgpr10
	s_and_saveexec_b64 s[6:7], vcc
	s_xor_b64 s[6:7], exec, s[6:7]
	s_cbranch_execnz .LBB25_3989
; %bb.1941:
	s_or_saveexec_b64 s[6:7], s[6:7]
	v_mov_b32_e32 v10, s10
	s_xor_b64 exec, exec, s[6:7]
	s_cbranch_execnz .LBB25_3992
.LBB25_1942:
	s_or_b64 exec, exec, s[6:7]
	s_and_saveexec_b64 s[6:7], s[4:5]
	s_cbranch_execz .LBB25_1944
.LBB25_1943:
	v_bfe_u32 v9, v0, 16, 3
	v_ffbh_u32_e32 v12, v9
	v_min_u32_e32 v12, 32, v12
	v_lshrrev_b32_e32 v10, 19, v0
	v_subrev_u32_e32 v13, 28, v12
	v_and_b32_e32 v10, 15, v10
	v_lshlrev_b32_sdwa v13, v13, v0 dst_sel:DWORD dst_unused:UNUSED_PAD src0_sel:DWORD src1_sel:WORD_1
	v_bfe_u32 v11, v0, 19, 4
	v_sub_u32_e32 v12, 29, v12
	v_and_b32_e32 v13, 7, v13
	v_cmp_eq_u16_e32 vcc, 0, v10
	v_cndmask_b32_e32 v9, v9, v13, vcc
	v_cndmask_b32_e32 v10, v11, v12, vcc
	v_lshlrev_b32_e32 v11, 8, v0
	v_mov_b32_e32 v12, 0x3b800000
	v_lshlrev_b32_e32 v9, 20, v9
	v_and_b32_e32 v11, 0x80000000, v11
	v_lshl_add_u32 v10, v10, 23, v12
	v_or3_b32 v10, v11, v10, v9
.LBB25_1944:
	s_or_b64 exec, exec, s[6:7]
	s_nop 0
	v_mfma_f32_16x16x4f32 a[0:3], v8, v10, a[0:3]
	s_movk_i32 s4, 0x7f
	v_cmp_gt_i16_sdwa s[6:7], v4, s4 src0_sel:BYTE_3 src1_sel:DWORD
	s_mov_b64 s[4:5], 0
                                        ; implicit-def: $sgpr10
	s_and_saveexec_b64 s[8:9], s[6:7]
	s_xor_b64 s[6:7], exec, s[8:9]
	s_cbranch_execnz .LBB25_3993
; %bb.1945:
	s_or_saveexec_b64 s[6:7], s[6:7]
	v_mov_b32_e32 v8, s10
	s_xor_b64 exec, exec, s[6:7]
	s_cbranch_execnz .LBB25_3996
.LBB25_1946:
	s_or_b64 exec, exec, s[6:7]
	s_and_saveexec_b64 s[6:7], s[4:5]
	s_cbranch_execz .LBB25_1948
.LBB25_1947:
	v_bfe_u32 v8, v4, 24, 3
	v_ffbh_u32_e32 v12, v8
	v_min_u32_e32 v12, 32, v12
	v_lshrrev_b32_e32 v10, 27, v4
	v_subrev_u32_e32 v13, 28, v12
	v_and_b32_e32 v9, 0x80000000, v4
	v_and_b32_e32 v10, 15, v10
	v_bfe_u32 v11, v4, 27, 4
	v_lshlrev_b32_sdwa v4, v13, v4 dst_sel:DWORD dst_unused:UNUSED_PAD src0_sel:DWORD src1_sel:BYTE_3
	v_sub_u32_e32 v12, 29, v12
	v_and_b32_e32 v4, 7, v4
	v_cmp_eq_u16_e32 vcc, 0, v10
	v_cndmask_b32_e32 v4, v8, v4, vcc
	v_cndmask_b32_e32 v8, v11, v12, vcc
	v_mov_b32_e32 v10, 0x3b800000
	v_lshlrev_b32_e32 v4, 20, v4
	v_lshl_add_u32 v8, v8, 23, v10
	v_or3_b32 v8, v9, v8, v4
.LBB25_1948:
	s_or_b64 exec, exec, s[6:7]
	s_movk_i32 s4, 0x7f
	v_cmp_gt_i16_sdwa s[6:7], v0, s4 src0_sel:BYTE_3 src1_sel:DWORD
	s_mov_b64 s[4:5], 0
                                        ; implicit-def: $sgpr10
	s_and_saveexec_b64 s[8:9], s[6:7]
	s_xor_b64 s[6:7], exec, s[8:9]
	s_cbranch_execnz .LBB25_3997
; %bb.1949:
	s_or_saveexec_b64 s[6:7], s[6:7]
	v_mov_b32_e32 v4, s10
	s_xor_b64 exec, exec, s[6:7]
	s_cbranch_execnz .LBB25_4000
.LBB25_1950:
	s_or_b64 exec, exec, s[6:7]
	s_and_saveexec_b64 s[6:7], s[4:5]
	s_cbranch_execz .LBB25_1952
.LBB25_1951:
	v_bfe_u32 v4, v0, 24, 3
	v_ffbh_u32_e32 v12, v4
	v_min_u32_e32 v12, 32, v12
	v_lshrrev_b32_e32 v10, 27, v0
	v_subrev_u32_e32 v13, 28, v12
	v_and_b32_e32 v9, 0x80000000, v0
	v_and_b32_e32 v10, 15, v10
	v_bfe_u32 v11, v0, 27, 4
	v_lshlrev_b32_sdwa v0, v13, v0 dst_sel:DWORD dst_unused:UNUSED_PAD src0_sel:DWORD src1_sel:BYTE_3
	v_sub_u32_e32 v12, 29, v12
	v_and_b32_e32 v0, 7, v0
	v_cmp_eq_u16_e32 vcc, 0, v10
	v_cndmask_b32_e32 v0, v4, v0, vcc
	v_cndmask_b32_e32 v4, v11, v12, vcc
	v_mov_b32_e32 v10, 0x3b800000
	v_lshlrev_b32_e32 v0, 20, v0
	v_lshl_add_u32 v4, v4, 23, v10
	v_or3_b32 v4, v9, v4, v0
.LBB25_1952:
	s_or_b64 exec, exec, s[6:7]
	s_nop 0
	v_mfma_f32_16x16x4f32 a[0:3], v8, v4, a[0:3]
	s_movk_i32 s4, 0x7f
	v_cmp_gt_i16_sdwa s[6:7], v5, s4 src0_sel:BYTE_0 src1_sel:DWORD
	s_mov_b64 s[4:5], 0
                                        ; implicit-def: $sgpr10
	s_and_saveexec_b64 s[8:9], s[6:7]
	s_xor_b64 s[6:7], exec, s[8:9]
	s_cbranch_execnz .LBB25_4001
; %bb.1953:
	s_or_saveexec_b64 s[6:7], s[6:7]
	v_mov_b32_e32 v0, s10
	s_xor_b64 exec, exec, s[6:7]
	s_cbranch_execnz .LBB25_4004
.LBB25_1954:
	s_or_b64 exec, exec, s[6:7]
	s_and_saveexec_b64 s[6:7], s[4:5]
	s_cbranch_execz .LBB25_1956
.LBB25_1955:
	v_and_b32_e32 v0, 7, v5
	v_ffbh_u32_e32 v8, v0
	v_min_u32_e32 v8, 32, v8
	v_lshrrev_b16_e32 v4, 3, v5
	v_subrev_u32_e32 v9, 28, v8
	v_and_b32_e32 v4, 15, v4
	v_lshlrev_b32_e32 v9, v9, v5
	v_sub_u32_e32 v8, 29, v8
	v_and_b32_e32 v9, 7, v9
	v_cmp_eq_u16_e32 vcc, 0, v4
	v_cndmask_b32_e32 v0, v0, v9, vcc
	v_cndmask_b32_e32 v4, v4, v8, vcc
	v_lshlrev_b32_e32 v8, 24, v5
	v_mov_b32_e32 v9, 0x3b800000
	v_lshlrev_b32_e32 v0, 20, v0
	v_and_b32_e32 v8, 0x80000000, v8
	v_lshl_add_u32 v4, v4, 23, v9
	v_or3_b32 v0, v8, v4, v0
.LBB25_1956:
	s_or_b64 exec, exec, s[6:7]
	s_movk_i32 s4, 0x7f
	v_cmp_gt_i16_sdwa s[6:7], v1, s4 src0_sel:BYTE_0 src1_sel:DWORD
	s_mov_b64 s[4:5], 0
                                        ; implicit-def: $sgpr10
	s_and_saveexec_b64 s[8:9], s[6:7]
	s_xor_b64 s[6:7], exec, s[8:9]
	s_cbranch_execnz .LBB25_4005
; %bb.1957:
	s_or_saveexec_b64 s[6:7], s[6:7]
	v_mov_b32_e32 v4, s10
	s_xor_b64 exec, exec, s[6:7]
	s_cbranch_execnz .LBB25_4008
.LBB25_1958:
	s_or_b64 exec, exec, s[6:7]
	s_and_saveexec_b64 s[6:7], s[4:5]
	s_cbranch_execz .LBB25_1960
.LBB25_1959:
	v_and_b32_e32 v4, 7, v1
	v_ffbh_u32_e32 v9, v4
	v_min_u32_e32 v9, 32, v9
	v_lshrrev_b16_e32 v8, 3, v1
	v_subrev_u32_e32 v10, 28, v9
	v_and_b32_e32 v8, 15, v8
	v_lshlrev_b32_e32 v10, v10, v1
	v_sub_u32_e32 v9, 29, v9
	v_and_b32_e32 v10, 7, v10
	v_cmp_eq_u16_e32 vcc, 0, v8
	v_cndmask_b32_e32 v4, v4, v10, vcc
	v_cndmask_b32_e32 v8, v8, v9, vcc
	v_lshlrev_b32_e32 v9, 24, v1
	v_mov_b32_e32 v10, 0x3b800000
	v_lshlrev_b32_e32 v4, 20, v4
	v_and_b32_e32 v9, 0x80000000, v9
	v_lshl_add_u32 v8, v8, 23, v10
	v_or3_b32 v4, v9, v8, v4
.LBB25_1960:
	s_or_b64 exec, exec, s[6:7]
	s_nop 0
	v_mfma_f32_16x16x4f32 a[0:3], v0, v4, a[0:3]
	v_lshrrev_b32_e32 v4, 8, v5
	s_movk_i32 s4, 0x7f
	v_cmp_gt_i16_sdwa s[6:7], v4, s4 src0_sel:BYTE_0 src1_sel:DWORD
	s_mov_b64 s[4:5], 0
                                        ; implicit-def: $sgpr10
	s_and_saveexec_b64 s[8:9], s[6:7]
	s_xor_b64 s[6:7], exec, s[8:9]
	s_cbranch_execnz .LBB25_4009
; %bb.1961:
	s_or_saveexec_b64 s[6:7], s[6:7]
	v_mov_b32_e32 v0, s10
	s_xor_b64 exec, exec, s[6:7]
	s_cbranch_execnz .LBB25_4012
.LBB25_1962:
	s_or_b64 exec, exec, s[6:7]
	s_and_saveexec_b64 s[6:7], s[4:5]
	s_cbranch_execz .LBB25_1964
.LBB25_1963:
	v_bfe_u32 v0, v5, 8, 3
	v_ffbh_u32_e32 v9, v0
	v_min_u32_e32 v9, 32, v9
	v_lshrrev_b16_e32 v8, 3, v4
	v_subrev_u32_e32 v10, 28, v9
	v_and_b32_e32 v8, 15, v8
	v_lshlrev_b32_e32 v4, v10, v4
	v_sub_u32_e32 v9, 29, v9
	v_and_b32_e32 v4, 7, v4
	v_cmp_eq_u16_e32 vcc, 0, v8
	v_cndmask_b32_e32 v0, v0, v4, vcc
	v_cndmask_b32_e32 v4, v8, v9, vcc
	v_lshlrev_b32_e32 v8, 16, v5
	v_mov_b32_e32 v9, 0x3b800000
	v_lshlrev_b32_e32 v0, 20, v0
	v_and_b32_e32 v8, 0x80000000, v8
	v_lshl_add_u32 v4, v4, 23, v9
	v_or3_b32 v0, v8, v4, v0
.LBB25_1964:
	s_or_b64 exec, exec, s[6:7]
	v_lshrrev_b32_e32 v4, 8, v1
	s_movk_i32 s4, 0x7f
	v_cmp_gt_i16_sdwa s[6:7], v4, s4 src0_sel:BYTE_0 src1_sel:DWORD
	s_mov_b64 s[4:5], 0
                                        ; implicit-def: $sgpr10
	s_and_saveexec_b64 s[8:9], s[6:7]
	s_xor_b64 s[6:7], exec, s[8:9]
	s_cbranch_execnz .LBB25_4013
; %bb.1965:
	s_or_saveexec_b64 s[6:7], s[6:7]
	v_mov_b32_e32 v8, s10
	s_xor_b64 exec, exec, s[6:7]
	s_cbranch_execnz .LBB25_4016
.LBB25_1966:
	s_or_b64 exec, exec, s[6:7]
	s_and_saveexec_b64 s[6:7], s[4:5]
	s_cbranch_execz .LBB25_1968
.LBB25_1967:
	v_bfe_u32 v8, v1, 8, 3
	v_ffbh_u32_e32 v10, v8
	v_min_u32_e32 v10, 32, v10
	v_lshrrev_b16_e32 v9, 3, v4
	v_subrev_u32_e32 v11, 28, v10
	v_and_b32_e32 v9, 15, v9
	v_lshlrev_b32_e32 v4, v11, v4
	v_sub_u32_e32 v10, 29, v10
	v_and_b32_e32 v4, 7, v4
	v_cmp_eq_u16_e32 vcc, 0, v9
	v_cndmask_b32_e32 v4, v8, v4, vcc
	v_cndmask_b32_e32 v8, v9, v10, vcc
	v_lshlrev_b32_e32 v9, 16, v1
	v_mov_b32_e32 v10, 0x3b800000
	v_lshlrev_b32_e32 v4, 20, v4
	v_and_b32_e32 v9, 0x80000000, v9
	v_lshl_add_u32 v8, v8, 23, v10
	v_or3_b32 v8, v9, v8, v4
.LBB25_1968:
	s_or_b64 exec, exec, s[6:7]
	s_nop 0
	v_mfma_f32_16x16x4f32 a[0:3], v0, v8, a[0:3]
	s_movk_i32 s4, 0xff
	v_and_b32_sdwa v4, v5, s4 dst_sel:DWORD dst_unused:UNUSED_PAD src0_sel:WORD_1 src1_sel:DWORD
	s_movk_i32 s4, 0x7f
	v_cmp_lt_i16_e32 vcc, s4, v4
	s_mov_b64 s[4:5], 0
                                        ; implicit-def: $sgpr10
	s_and_saveexec_b64 s[6:7], vcc
	s_xor_b64 s[6:7], exec, s[6:7]
	s_cbranch_execnz .LBB25_4017
; %bb.1969:
	s_or_saveexec_b64 s[6:7], s[6:7]
	v_mov_b32_e32 v0, s10
	s_xor_b64 exec, exec, s[6:7]
	s_cbranch_execnz .LBB25_4020
.LBB25_1970:
	s_or_b64 exec, exec, s[6:7]
	s_and_saveexec_b64 s[6:7], s[4:5]
	s_cbranch_execz .LBB25_1972
.LBB25_1971:
	v_bfe_u32 v0, v5, 16, 3
	v_ffbh_u32_e32 v9, v0
	v_min_u32_e32 v9, 32, v9
	v_lshrrev_b32_e32 v4, 19, v5
	v_subrev_u32_e32 v10, 28, v9
	v_and_b32_e32 v4, 15, v4
	v_lshlrev_b32_sdwa v10, v10, v5 dst_sel:DWORD dst_unused:UNUSED_PAD src0_sel:DWORD src1_sel:WORD_1
	v_bfe_u32 v8, v5, 19, 4
	v_sub_u32_e32 v9, 29, v9
	v_and_b32_e32 v10, 7, v10
	v_cmp_eq_u16_e32 vcc, 0, v4
	v_cndmask_b32_e32 v0, v0, v10, vcc
	v_cndmask_b32_e32 v4, v8, v9, vcc
	v_lshlrev_b32_e32 v8, 8, v5
	v_mov_b32_e32 v9, 0x3b800000
	v_lshlrev_b32_e32 v0, 20, v0
	v_and_b32_e32 v8, 0x80000000, v8
	v_lshl_add_u32 v4, v4, 23, v9
	v_or3_b32 v0, v8, v4, v0
.LBB25_1972:
	s_or_b64 exec, exec, s[6:7]
	s_movk_i32 s4, 0xff
	v_and_b32_sdwa v4, v1, s4 dst_sel:DWORD dst_unused:UNUSED_PAD src0_sel:WORD_1 src1_sel:DWORD
	s_movk_i32 s4, 0x7f
	v_cmp_lt_i16_e32 vcc, s4, v4
	s_mov_b64 s[4:5], 0
                                        ; implicit-def: $sgpr10
	s_and_saveexec_b64 s[6:7], vcc
	s_xor_b64 s[6:7], exec, s[6:7]
	s_cbranch_execnz .LBB25_4021
; %bb.1973:
	s_or_saveexec_b64 s[6:7], s[6:7]
	v_mov_b32_e32 v8, s10
	s_xor_b64 exec, exec, s[6:7]
	s_cbranch_execnz .LBB25_4024
.LBB25_1974:
	s_or_b64 exec, exec, s[6:7]
	s_and_saveexec_b64 s[6:7], s[4:5]
	s_cbranch_execz .LBB25_1976
.LBB25_1975:
	v_bfe_u32 v4, v1, 16, 3
	v_ffbh_u32_e32 v10, v4
	v_min_u32_e32 v10, 32, v10
	v_lshrrev_b32_e32 v8, 19, v1
	v_subrev_u32_e32 v11, 28, v10
	v_and_b32_e32 v8, 15, v8
	v_lshlrev_b32_sdwa v11, v11, v1 dst_sel:DWORD dst_unused:UNUSED_PAD src0_sel:DWORD src1_sel:WORD_1
	v_bfe_u32 v9, v1, 19, 4
	v_sub_u32_e32 v10, 29, v10
	v_and_b32_e32 v11, 7, v11
	v_cmp_eq_u16_e32 vcc, 0, v8
	v_cndmask_b32_e32 v4, v4, v11, vcc
	v_cndmask_b32_e32 v8, v9, v10, vcc
	v_lshlrev_b32_e32 v9, 8, v1
	v_mov_b32_e32 v10, 0x3b800000
	v_lshlrev_b32_e32 v4, 20, v4
	v_and_b32_e32 v9, 0x80000000, v9
	v_lshl_add_u32 v8, v8, 23, v10
	v_or3_b32 v8, v9, v8, v4
.LBB25_1976:
	s_or_b64 exec, exec, s[6:7]
	s_nop 0
	v_mfma_f32_16x16x4f32 a[0:3], v0, v8, a[0:3]
	s_movk_i32 s4, 0x7f
	v_cmp_gt_i16_sdwa s[6:7], v5, s4 src0_sel:BYTE_3 src1_sel:DWORD
	s_mov_b64 s[4:5], 0
                                        ; implicit-def: $sgpr10
	s_and_saveexec_b64 s[8:9], s[6:7]
	s_xor_b64 s[6:7], exec, s[8:9]
	s_cbranch_execnz .LBB25_4025
; %bb.1977:
	s_or_saveexec_b64 s[6:7], s[6:7]
	v_mov_b32_e32 v0, s10
	s_xor_b64 exec, exec, s[6:7]
	s_cbranch_execnz .LBB25_4028
.LBB25_1978:
	s_or_b64 exec, exec, s[6:7]
	s_and_saveexec_b64 s[6:7], s[4:5]
	s_cbranch_execz .LBB25_1980
.LBB25_1979:
	v_bfe_u32 v0, v5, 24, 3
	v_ffbh_u32_e32 v10, v0
	v_min_u32_e32 v10, 32, v10
	v_lshrrev_b32_e32 v8, 27, v5
	v_subrev_u32_e32 v11, 28, v10
	v_and_b32_e32 v4, 0x80000000, v5
	v_and_b32_e32 v8, 15, v8
	v_bfe_u32 v9, v5, 27, 4
	v_lshlrev_b32_sdwa v5, v11, v5 dst_sel:DWORD dst_unused:UNUSED_PAD src0_sel:DWORD src1_sel:BYTE_3
	v_sub_u32_e32 v10, 29, v10
	v_and_b32_e32 v5, 7, v5
	v_cmp_eq_u16_e32 vcc, 0, v8
	v_cndmask_b32_e32 v0, v0, v5, vcc
	v_cndmask_b32_e32 v5, v9, v10, vcc
	v_mov_b32_e32 v8, 0x3b800000
	v_lshlrev_b32_e32 v0, 20, v0
	v_lshl_add_u32 v5, v5, 23, v8
	v_or3_b32 v0, v4, v5, v0
.LBB25_1980:
	s_or_b64 exec, exec, s[6:7]
	s_movk_i32 s4, 0x7f
	v_cmp_gt_i16_sdwa s[6:7], v1, s4 src0_sel:BYTE_3 src1_sel:DWORD
	s_mov_b64 s[4:5], 0
                                        ; implicit-def: $sgpr10
	s_and_saveexec_b64 s[8:9], s[6:7]
	s_xor_b64 s[6:7], exec, s[8:9]
	s_cbranch_execnz .LBB25_4029
; %bb.1981:
	s_or_saveexec_b64 s[6:7], s[6:7]
	v_mov_b32_e32 v4, s10
	s_xor_b64 exec, exec, s[6:7]
	s_cbranch_execnz .LBB25_4032
.LBB25_1982:
	s_or_b64 exec, exec, s[6:7]
	s_and_saveexec_b64 s[6:7], s[4:5]
	s_cbranch_execz .LBB25_1984
.LBB25_1983:
	v_bfe_u32 v4, v1, 24, 3
	v_ffbh_u32_e32 v10, v4
	v_min_u32_e32 v10, 32, v10
	v_lshrrev_b32_e32 v8, 27, v1
	v_subrev_u32_e32 v11, 28, v10
	v_and_b32_e32 v5, 0x80000000, v1
	v_and_b32_e32 v8, 15, v8
	v_bfe_u32 v9, v1, 27, 4
	v_lshlrev_b32_sdwa v1, v11, v1 dst_sel:DWORD dst_unused:UNUSED_PAD src0_sel:DWORD src1_sel:BYTE_3
	v_sub_u32_e32 v10, 29, v10
	v_and_b32_e32 v1, 7, v1
	v_cmp_eq_u16_e32 vcc, 0, v8
	v_cndmask_b32_e32 v1, v4, v1, vcc
	v_cndmask_b32_e32 v4, v9, v10, vcc
	v_mov_b32_e32 v8, 0x3b800000
	v_lshlrev_b32_e32 v1, 20, v1
	v_lshl_add_u32 v4, v4, 23, v8
	v_or3_b32 v4, v5, v4, v1
.LBB25_1984:
	s_or_b64 exec, exec, s[6:7]
	s_nop 0
	v_mfma_f32_16x16x4f32 a[0:3], v0, v4, a[0:3]
	s_movk_i32 s4, 0x7f
	v_cmp_gt_i16_sdwa s[6:7], v6, s4 src0_sel:BYTE_0 src1_sel:DWORD
	s_mov_b64 s[4:5], 0
                                        ; implicit-def: $sgpr10
	s_and_saveexec_b64 s[8:9], s[6:7]
	s_xor_b64 s[6:7], exec, s[8:9]
	s_cbranch_execnz .LBB25_4033
; %bb.1985:
	s_or_saveexec_b64 s[6:7], s[6:7]
	v_mov_b32_e32 v0, s10
	s_xor_b64 exec, exec, s[6:7]
	s_cbranch_execnz .LBB25_4036
.LBB25_1986:
	s_or_b64 exec, exec, s[6:7]
	s_and_saveexec_b64 s[6:7], s[4:5]
	s_cbranch_execz .LBB25_1988
.LBB25_1987:
	v_and_b32_e32 v0, 7, v6
	v_ffbh_u32_e32 v4, v0
	v_min_u32_e32 v4, 32, v4
	v_lshrrev_b16_e32 v1, 3, v6
	v_subrev_u32_e32 v5, 28, v4
	v_and_b32_e32 v1, 15, v1
	v_lshlrev_b32_e32 v5, v5, v6
	v_sub_u32_e32 v4, 29, v4
	v_and_b32_e32 v5, 7, v5
	v_cmp_eq_u16_e32 vcc, 0, v1
	v_cndmask_b32_e32 v0, v0, v5, vcc
	v_cndmask_b32_e32 v1, v1, v4, vcc
	v_lshlrev_b32_e32 v4, 24, v6
	v_mov_b32_e32 v5, 0x3b800000
	v_lshlrev_b32_e32 v0, 20, v0
	v_and_b32_e32 v4, 0x80000000, v4
	v_lshl_add_u32 v1, v1, 23, v5
	v_or3_b32 v0, v4, v1, v0
.LBB25_1988:
	s_or_b64 exec, exec, s[6:7]
	s_movk_i32 s4, 0x7f
	v_cmp_gt_i16_sdwa s[6:7], v2, s4 src0_sel:BYTE_0 src1_sel:DWORD
	s_mov_b64 s[4:5], 0
                                        ; implicit-def: $sgpr10
	s_and_saveexec_b64 s[8:9], s[6:7]
	s_xor_b64 s[6:7], exec, s[8:9]
	s_cbranch_execnz .LBB25_4037
; %bb.1989:
	s_or_saveexec_b64 s[6:7], s[6:7]
	v_mov_b32_e32 v1, s10
	s_xor_b64 exec, exec, s[6:7]
	s_cbranch_execnz .LBB25_4040
.LBB25_1990:
	s_or_b64 exec, exec, s[6:7]
	s_and_saveexec_b64 s[6:7], s[4:5]
	s_cbranch_execz .LBB25_1992
.LBB25_1991:
	v_and_b32_e32 v1, 7, v2
	v_ffbh_u32_e32 v5, v1
	v_min_u32_e32 v5, 32, v5
	v_lshrrev_b16_e32 v4, 3, v2
	v_subrev_u32_e32 v8, 28, v5
	v_and_b32_e32 v4, 15, v4
	v_lshlrev_b32_e32 v8, v8, v2
	v_sub_u32_e32 v5, 29, v5
	v_and_b32_e32 v8, 7, v8
	v_cmp_eq_u16_e32 vcc, 0, v4
	v_cndmask_b32_e32 v1, v1, v8, vcc
	v_cndmask_b32_e32 v4, v4, v5, vcc
	v_lshlrev_b32_e32 v5, 24, v2
	v_mov_b32_e32 v8, 0x3b800000
	v_lshlrev_b32_e32 v1, 20, v1
	v_and_b32_e32 v5, 0x80000000, v5
	v_lshl_add_u32 v4, v4, 23, v8
	v_or3_b32 v1, v5, v4, v1
.LBB25_1992:
	s_or_b64 exec, exec, s[6:7]
	s_nop 0
	v_mfma_f32_16x16x4f32 a[0:3], v0, v1, a[0:3]
	v_lshrrev_b32_e32 v1, 8, v6
	s_movk_i32 s4, 0x7f
	v_cmp_gt_i16_sdwa s[6:7], v1, s4 src0_sel:BYTE_0 src1_sel:DWORD
	s_mov_b64 s[4:5], 0
                                        ; implicit-def: $sgpr10
	s_and_saveexec_b64 s[8:9], s[6:7]
	s_xor_b64 s[6:7], exec, s[8:9]
	s_cbranch_execnz .LBB25_4041
; %bb.1993:
	s_or_saveexec_b64 s[6:7], s[6:7]
	v_mov_b32_e32 v0, s10
	s_xor_b64 exec, exec, s[6:7]
	s_cbranch_execnz .LBB25_4044
.LBB25_1994:
	s_or_b64 exec, exec, s[6:7]
	s_and_saveexec_b64 s[6:7], s[4:5]
	s_cbranch_execz .LBB25_1996
.LBB25_1995:
	v_bfe_u32 v0, v6, 8, 3
	v_ffbh_u32_e32 v5, v0
	v_min_u32_e32 v5, 32, v5
	v_lshrrev_b16_e32 v4, 3, v1
	v_subrev_u32_e32 v8, 28, v5
	v_and_b32_e32 v4, 15, v4
	v_lshlrev_b32_e32 v1, v8, v1
	v_sub_u32_e32 v5, 29, v5
	v_and_b32_e32 v1, 7, v1
	v_cmp_eq_u16_e32 vcc, 0, v4
	v_cndmask_b32_e32 v0, v0, v1, vcc
	v_cndmask_b32_e32 v1, v4, v5, vcc
	v_lshlrev_b32_e32 v4, 16, v6
	v_mov_b32_e32 v5, 0x3b800000
	v_lshlrev_b32_e32 v0, 20, v0
	v_and_b32_e32 v4, 0x80000000, v4
	v_lshl_add_u32 v1, v1, 23, v5
	v_or3_b32 v0, v4, v1, v0
.LBB25_1996:
	s_or_b64 exec, exec, s[6:7]
	v_lshrrev_b32_e32 v1, 8, v2
	s_movk_i32 s4, 0x7f
	v_cmp_gt_i16_sdwa s[6:7], v1, s4 src0_sel:BYTE_0 src1_sel:DWORD
	s_mov_b64 s[4:5], 0
                                        ; implicit-def: $sgpr10
	s_and_saveexec_b64 s[8:9], s[6:7]
	s_xor_b64 s[6:7], exec, s[8:9]
	s_cbranch_execnz .LBB25_4045
; %bb.1997:
	s_or_saveexec_b64 s[6:7], s[6:7]
	v_mov_b32_e32 v4, s10
	s_xor_b64 exec, exec, s[6:7]
	s_cbranch_execnz .LBB25_4048
.LBB25_1998:
	s_or_b64 exec, exec, s[6:7]
	s_and_saveexec_b64 s[6:7], s[4:5]
	s_cbranch_execz .LBB25_2000
.LBB25_1999:
	v_bfe_u32 v4, v2, 8, 3
	v_ffbh_u32_e32 v8, v4
	v_min_u32_e32 v8, 32, v8
	v_lshrrev_b16_e32 v5, 3, v1
	v_subrev_u32_e32 v9, 28, v8
	v_and_b32_e32 v5, 15, v5
	v_lshlrev_b32_e32 v1, v9, v1
	v_sub_u32_e32 v8, 29, v8
	v_and_b32_e32 v1, 7, v1
	v_cmp_eq_u16_e32 vcc, 0, v5
	v_cndmask_b32_e32 v1, v4, v1, vcc
	v_cndmask_b32_e32 v4, v5, v8, vcc
	v_lshlrev_b32_e32 v5, 16, v2
	v_mov_b32_e32 v8, 0x3b800000
	v_lshlrev_b32_e32 v1, 20, v1
	v_and_b32_e32 v5, 0x80000000, v5
	v_lshl_add_u32 v4, v4, 23, v8
	v_or3_b32 v4, v5, v4, v1
.LBB25_2000:
	s_or_b64 exec, exec, s[6:7]
	s_nop 0
	v_mfma_f32_16x16x4f32 a[0:3], v0, v4, a[0:3]
	s_movk_i32 s4, 0xff
	v_and_b32_sdwa v1, v6, s4 dst_sel:DWORD dst_unused:UNUSED_PAD src0_sel:WORD_1 src1_sel:DWORD
	s_movk_i32 s4, 0x7f
	v_cmp_lt_i16_e32 vcc, s4, v1
	s_mov_b64 s[4:5], 0
                                        ; implicit-def: $sgpr10
	s_and_saveexec_b64 s[6:7], vcc
	s_xor_b64 s[6:7], exec, s[6:7]
	s_cbranch_execnz .LBB25_4049
; %bb.2001:
	s_or_saveexec_b64 s[6:7], s[6:7]
	v_mov_b32_e32 v0, s10
	s_xor_b64 exec, exec, s[6:7]
	s_cbranch_execnz .LBB25_4052
.LBB25_2002:
	s_or_b64 exec, exec, s[6:7]
	s_and_saveexec_b64 s[6:7], s[4:5]
	s_cbranch_execz .LBB25_2004
.LBB25_2003:
	v_bfe_u32 v0, v6, 16, 3
	v_ffbh_u32_e32 v5, v0
	v_min_u32_e32 v5, 32, v5
	v_lshrrev_b32_e32 v1, 19, v6
	v_subrev_u32_e32 v8, 28, v5
	v_and_b32_e32 v1, 15, v1
	v_lshlrev_b32_sdwa v8, v8, v6 dst_sel:DWORD dst_unused:UNUSED_PAD src0_sel:DWORD src1_sel:WORD_1
	v_bfe_u32 v4, v6, 19, 4
	v_sub_u32_e32 v5, 29, v5
	v_and_b32_e32 v8, 7, v8
	v_cmp_eq_u16_e32 vcc, 0, v1
	v_cndmask_b32_e32 v0, v0, v8, vcc
	v_cndmask_b32_e32 v1, v4, v5, vcc
	v_lshlrev_b32_e32 v4, 8, v6
	v_mov_b32_e32 v5, 0x3b800000
	v_lshlrev_b32_e32 v0, 20, v0
	v_and_b32_e32 v4, 0x80000000, v4
	v_lshl_add_u32 v1, v1, 23, v5
	v_or3_b32 v0, v4, v1, v0
.LBB25_2004:
	s_or_b64 exec, exec, s[6:7]
	s_movk_i32 s4, 0xff
	v_and_b32_sdwa v1, v2, s4 dst_sel:DWORD dst_unused:UNUSED_PAD src0_sel:WORD_1 src1_sel:DWORD
	s_movk_i32 s4, 0x7f
	v_cmp_lt_i16_e32 vcc, s4, v1
	s_mov_b64 s[4:5], 0
                                        ; implicit-def: $sgpr10
	s_and_saveexec_b64 s[6:7], vcc
	s_xor_b64 s[6:7], exec, s[6:7]
	s_cbranch_execnz .LBB25_4053
; %bb.2005:
	s_or_saveexec_b64 s[6:7], s[6:7]
	v_mov_b32_e32 v4, s10
	s_xor_b64 exec, exec, s[6:7]
	s_cbranch_execnz .LBB25_4056
.LBB25_2006:
	s_or_b64 exec, exec, s[6:7]
	s_and_saveexec_b64 s[6:7], s[4:5]
	s_cbranch_execz .LBB25_2008
.LBB25_2007:
	v_bfe_u32 v1, v2, 16, 3
	v_ffbh_u32_e32 v8, v1
	v_min_u32_e32 v8, 32, v8
	v_lshrrev_b32_e32 v4, 19, v2
	v_subrev_u32_e32 v9, 28, v8
	v_and_b32_e32 v4, 15, v4
	v_lshlrev_b32_sdwa v9, v9, v2 dst_sel:DWORD dst_unused:UNUSED_PAD src0_sel:DWORD src1_sel:WORD_1
	v_bfe_u32 v5, v2, 19, 4
	v_sub_u32_e32 v8, 29, v8
	v_and_b32_e32 v9, 7, v9
	v_cmp_eq_u16_e32 vcc, 0, v4
	v_cndmask_b32_e32 v1, v1, v9, vcc
	v_cndmask_b32_e32 v4, v5, v8, vcc
	v_lshlrev_b32_e32 v5, 8, v2
	v_mov_b32_e32 v8, 0x3b800000
	v_lshlrev_b32_e32 v1, 20, v1
	v_and_b32_e32 v5, 0x80000000, v5
	v_lshl_add_u32 v4, v4, 23, v8
	v_or3_b32 v4, v5, v4, v1
.LBB25_2008:
	s_or_b64 exec, exec, s[6:7]
	s_nop 0
	v_mfma_f32_16x16x4f32 a[0:3], v0, v4, a[0:3]
	s_movk_i32 s4, 0x7f
	v_cmp_gt_i16_sdwa s[6:7], v6, s4 src0_sel:BYTE_3 src1_sel:DWORD
	s_mov_b64 s[4:5], 0
                                        ; implicit-def: $sgpr10
	s_and_saveexec_b64 s[8:9], s[6:7]
	s_xor_b64 s[6:7], exec, s[8:9]
	s_cbranch_execnz .LBB25_4057
; %bb.2009:
	s_or_saveexec_b64 s[6:7], s[6:7]
	v_mov_b32_e32 v0, s10
	s_xor_b64 exec, exec, s[6:7]
	s_cbranch_execnz .LBB25_4060
.LBB25_2010:
	s_or_b64 exec, exec, s[6:7]
	s_and_saveexec_b64 s[6:7], s[4:5]
	s_cbranch_execz .LBB25_2012
.LBB25_2011:
	v_bfe_u32 v0, v6, 24, 3
	v_ffbh_u32_e32 v8, v0
	v_min_u32_e32 v8, 32, v8
	v_lshrrev_b32_e32 v4, 27, v6
	v_subrev_u32_e32 v9, 28, v8
	v_and_b32_e32 v1, 0x80000000, v6
	v_and_b32_e32 v4, 15, v4
	v_bfe_u32 v5, v6, 27, 4
	v_lshlrev_b32_sdwa v6, v9, v6 dst_sel:DWORD dst_unused:UNUSED_PAD src0_sel:DWORD src1_sel:BYTE_3
	v_sub_u32_e32 v8, 29, v8
	v_and_b32_e32 v6, 7, v6
	v_cmp_eq_u16_e32 vcc, 0, v4
	v_cndmask_b32_e32 v0, v0, v6, vcc
	v_cndmask_b32_e32 v4, v5, v8, vcc
	v_mov_b32_e32 v5, 0x3b800000
	v_lshlrev_b32_e32 v0, 20, v0
	v_lshl_add_u32 v4, v4, 23, v5
	v_or3_b32 v0, v1, v4, v0
.LBB25_2012:
	s_or_b64 exec, exec, s[6:7]
	s_movk_i32 s4, 0x7f
	v_cmp_gt_i16_sdwa s[6:7], v2, s4 src0_sel:BYTE_3 src1_sel:DWORD
	s_mov_b64 s[4:5], 0
                                        ; implicit-def: $sgpr10
	s_and_saveexec_b64 s[8:9], s[6:7]
	s_xor_b64 s[6:7], exec, s[8:9]
	s_cbranch_execnz .LBB25_4061
; %bb.2013:
	s_or_saveexec_b64 s[6:7], s[6:7]
	v_mov_b32_e32 v1, s10
	s_xor_b64 exec, exec, s[6:7]
	s_cbranch_execnz .LBB25_4064
.LBB25_2014:
	s_or_b64 exec, exec, s[6:7]
	s_and_saveexec_b64 s[6:7], s[4:5]
	s_cbranch_execz .LBB25_2016
.LBB25_2015:
	v_bfe_u32 v1, v2, 24, 3
	v_ffbh_u32_e32 v8, v1
	v_min_u32_e32 v8, 32, v8
	v_lshrrev_b32_e32 v5, 27, v2
	v_subrev_u32_e32 v9, 28, v8
	v_and_b32_e32 v4, 0x80000000, v2
	v_and_b32_e32 v5, 15, v5
	v_bfe_u32 v6, v2, 27, 4
	v_lshlrev_b32_sdwa v2, v9, v2 dst_sel:DWORD dst_unused:UNUSED_PAD src0_sel:DWORD src1_sel:BYTE_3
	v_sub_u32_e32 v8, 29, v8
	v_and_b32_e32 v2, 7, v2
	v_cmp_eq_u16_e32 vcc, 0, v5
	v_cndmask_b32_e32 v1, v1, v2, vcc
	v_cndmask_b32_e32 v2, v6, v8, vcc
	v_mov_b32_e32 v5, 0x3b800000
	v_lshlrev_b32_e32 v1, 20, v1
	v_lshl_add_u32 v2, v2, 23, v5
	v_or3_b32 v1, v4, v2, v1
.LBB25_2016:
	s_or_b64 exec, exec, s[6:7]
	s_nop 0
	v_mfma_f32_16x16x4f32 a[0:3], v0, v1, a[0:3]
	s_movk_i32 s4, 0x7f
	v_cmp_gt_i16_sdwa s[6:7], v7, s4 src0_sel:BYTE_0 src1_sel:DWORD
	s_mov_b64 s[4:5], 0
                                        ; implicit-def: $sgpr10
	s_and_saveexec_b64 s[8:9], s[6:7]
	s_xor_b64 s[6:7], exec, s[8:9]
	s_cbranch_execnz .LBB25_4065
; %bb.2017:
	s_or_saveexec_b64 s[6:7], s[6:7]
	v_mov_b32_e32 v0, s10
	s_xor_b64 exec, exec, s[6:7]
	s_cbranch_execnz .LBB25_4068
.LBB25_2018:
	s_or_b64 exec, exec, s[6:7]
	s_and_saveexec_b64 s[6:7], s[4:5]
	s_cbranch_execz .LBB25_2020
.LBB25_2019:
	v_mov_b32_e32 v0, 8
	v_and_b32_e32 v1, 7, v7
	v_lshrrev_b32_sdwa v0, v0, v7 dst_sel:BYTE_1 dst_unused:UNUSED_PAD src0_sel:DWORD src1_sel:DWORD
	v_ffbh_u32_e32 v2, v1
	v_or_b32_sdwa v0, v7, v0 dst_sel:DWORD dst_unused:UNUSED_PAD src0_sel:BYTE_0 src1_sel:DWORD
	v_min_u32_e32 v2, 32, v2
	v_lshrrev_b16_e32 v0, 3, v0
	v_subrev_u32_e32 v4, 28, v2
	v_and_b32_e32 v0, 15, v0
	v_lshlrev_b32_e32 v4, v4, v7
	v_sub_u32_e32 v2, 29, v2
	v_and_b32_e32 v4, 7, v4
	v_cmp_eq_u16_e32 vcc, 0, v0
	v_cndmask_b32_e32 v1, v1, v4, vcc
	v_cndmask_b32_e32 v0, v0, v2, vcc
	v_lshlrev_b32_e32 v2, 24, v7
	v_mov_b32_e32 v4, 0x3b800000
	v_lshlrev_b32_e32 v1, 20, v1
	v_and_b32_e32 v2, 0x80000000, v2
	v_lshl_add_u32 v0, v0, 23, v4
	v_or3_b32 v0, v2, v0, v1
.LBB25_2020:
	s_or_b64 exec, exec, s[6:7]
	s_movk_i32 s4, 0x7f
	v_cmp_gt_i16_sdwa s[6:7], v3, s4 src0_sel:BYTE_0 src1_sel:DWORD
	s_mov_b64 s[4:5], 0
                                        ; implicit-def: $sgpr10
	s_and_saveexec_b64 s[8:9], s[6:7]
	s_xor_b64 s[6:7], exec, s[8:9]
	s_cbranch_execnz .LBB25_4069
; %bb.2021:
	s_or_saveexec_b64 s[6:7], s[6:7]
	v_mov_b32_e32 v1, s10
	s_xor_b64 exec, exec, s[6:7]
	s_cbranch_execnz .LBB25_4072
.LBB25_2022:
	s_or_b64 exec, exec, s[6:7]
	s_and_saveexec_b64 s[6:7], s[4:5]
	s_cbranch_execz .LBB25_2024
.LBB25_2023:
	v_mov_b32_e32 v1, 8
	v_and_b32_e32 v2, 7, v3
	v_lshrrev_b32_sdwa v1, v1, v3 dst_sel:BYTE_1 dst_unused:UNUSED_PAD src0_sel:DWORD src1_sel:DWORD
	v_ffbh_u32_e32 v4, v2
	v_or_b32_sdwa v1, v3, v1 dst_sel:DWORD dst_unused:UNUSED_PAD src0_sel:BYTE_0 src1_sel:DWORD
	v_min_u32_e32 v4, 32, v4
	v_lshrrev_b16_e32 v1, 3, v1
	v_subrev_u32_e32 v5, 28, v4
	v_and_b32_e32 v1, 15, v1
	v_lshlrev_b32_e32 v5, v5, v3
	v_sub_u32_e32 v4, 29, v4
	v_and_b32_e32 v5, 7, v5
	v_cmp_eq_u16_e32 vcc, 0, v1
	v_cndmask_b32_e32 v2, v2, v5, vcc
	v_cndmask_b32_e32 v1, v1, v4, vcc
	v_lshlrev_b32_e32 v4, 24, v3
	v_mov_b32_e32 v5, 0x3b800000
	v_lshlrev_b32_e32 v2, 20, v2
	v_and_b32_e32 v4, 0x80000000, v4
	v_lshl_add_u32 v1, v1, 23, v5
	v_or3_b32 v1, v4, v1, v2
.LBB25_2024:
	s_or_b64 exec, exec, s[6:7]
	s_nop 0
	v_mfma_f32_16x16x4f32 a[0:3], v0, v1, a[0:3]
	v_lshrrev_b32_e32 v1, 8, v7
	s_movk_i32 s4, 0x7f
	v_cmp_gt_i16_sdwa s[6:7], v1, s4 src0_sel:BYTE_0 src1_sel:DWORD
	s_mov_b64 s[4:5], 0
                                        ; implicit-def: $sgpr10
	s_and_saveexec_b64 s[8:9], s[6:7]
	s_xor_b64 s[6:7], exec, s[8:9]
	s_cbranch_execnz .LBB25_4073
; %bb.2025:
	s_or_saveexec_b64 s[6:7], s[6:7]
	v_mov_b32_e32 v0, s10
	s_xor_b64 exec, exec, s[6:7]
	s_cbranch_execnz .LBB25_4076
.LBB25_2026:
	s_or_b64 exec, exec, s[6:7]
	s_and_saveexec_b64 s[6:7], s[4:5]
	s_cbranch_execz .LBB25_2028
.LBB25_2027:
	v_bfe_u32 v0, v7, 8, 3
	v_ffbh_u32_e32 v4, v0
	v_min_u32_e32 v4, 32, v4
	v_lshrrev_b16_e32 v2, 3, v1
	v_subrev_u32_e32 v5, 28, v4
	v_and_b32_e32 v2, 15, v2
	v_lshlrev_b32_e32 v1, v5, v1
	v_sub_u32_e32 v4, 29, v4
	v_and_b32_e32 v1, 7, v1
	v_cmp_eq_u16_e32 vcc, 0, v2
	v_cndmask_b32_e32 v0, v0, v1, vcc
	v_cndmask_b32_e32 v1, v2, v4, vcc
	v_lshlrev_b32_e32 v2, 16, v7
	v_mov_b32_e32 v4, 0x3b800000
	v_lshlrev_b32_e32 v0, 20, v0
	v_and_b32_e32 v2, 0x80000000, v2
	v_lshl_add_u32 v1, v1, 23, v4
	v_or3_b32 v0, v2, v1, v0
.LBB25_2028:
	s_or_b64 exec, exec, s[6:7]
	v_lshrrev_b32_e32 v1, 8, v3
	s_movk_i32 s4, 0x7f
	v_cmp_gt_i16_sdwa s[6:7], v1, s4 src0_sel:BYTE_0 src1_sel:DWORD
	s_mov_b64 s[4:5], 0
                                        ; implicit-def: $sgpr10
	s_and_saveexec_b64 s[8:9], s[6:7]
	s_xor_b64 s[6:7], exec, s[8:9]
	s_cbranch_execnz .LBB25_4077
; %bb.2029:
	s_or_saveexec_b64 s[6:7], s[6:7]
	v_mov_b32_e32 v2, s10
	s_xor_b64 exec, exec, s[6:7]
	s_cbranch_execnz .LBB25_4080
.LBB25_2030:
	s_or_b64 exec, exec, s[6:7]
	s_and_saveexec_b64 s[6:7], s[4:5]
	s_cbranch_execz .LBB25_2032
.LBB25_2031:
	v_bfe_u32 v2, v3, 8, 3
	v_ffbh_u32_e32 v5, v2
	v_min_u32_e32 v5, 32, v5
	v_lshrrev_b16_e32 v4, 3, v1
	v_subrev_u32_e32 v6, 28, v5
	v_and_b32_e32 v4, 15, v4
	v_lshlrev_b32_e32 v1, v6, v1
	v_sub_u32_e32 v5, 29, v5
	v_and_b32_e32 v1, 7, v1
	v_cmp_eq_u16_e32 vcc, 0, v4
	v_cndmask_b32_e32 v1, v2, v1, vcc
	v_cndmask_b32_e32 v2, v4, v5, vcc
	v_lshlrev_b32_e32 v4, 16, v3
	v_mov_b32_e32 v5, 0x3b800000
	v_lshlrev_b32_e32 v1, 20, v1
	v_and_b32_e32 v4, 0x80000000, v4
	v_lshl_add_u32 v2, v2, 23, v5
	v_or3_b32 v2, v4, v2, v1
.LBB25_2032:
	s_or_b64 exec, exec, s[6:7]
	s_nop 0
	v_mfma_f32_16x16x4f32 a[0:3], v0, v2, a[0:3]
	s_movk_i32 s4, 0xff
	v_and_b32_sdwa v1, v7, s4 dst_sel:DWORD dst_unused:UNUSED_PAD src0_sel:WORD_1 src1_sel:DWORD
	s_movk_i32 s4, 0x7f
	v_cmp_lt_i16_e32 vcc, s4, v1
	s_mov_b64 s[4:5], 0
                                        ; implicit-def: $sgpr10
	s_and_saveexec_b64 s[6:7], vcc
	s_xor_b64 s[6:7], exec, s[6:7]
	s_cbranch_execnz .LBB25_4081
; %bb.2033:
	s_or_saveexec_b64 s[6:7], s[6:7]
	v_mov_b32_e32 v0, s10
	s_xor_b64 exec, exec, s[6:7]
	s_cbranch_execnz .LBB25_4084
.LBB25_2034:
	s_or_b64 exec, exec, s[6:7]
	s_and_saveexec_b64 s[6:7], s[4:5]
	s_cbranch_execz .LBB25_2036
.LBB25_2035:
	v_bfe_u32 v0, v7, 16, 3
	v_ffbh_u32_e32 v4, v0
	v_min_u32_e32 v4, 32, v4
	v_lshrrev_b32_e32 v1, 19, v7
	v_subrev_u32_e32 v5, 28, v4
	v_and_b32_e32 v1, 15, v1
	v_lshlrev_b32_sdwa v5, v5, v7 dst_sel:DWORD dst_unused:UNUSED_PAD src0_sel:DWORD src1_sel:WORD_1
	v_bfe_u32 v2, v7, 19, 4
	v_sub_u32_e32 v4, 29, v4
	v_and_b32_e32 v5, 7, v5
	v_cmp_eq_u16_e32 vcc, 0, v1
	v_cndmask_b32_e32 v0, v0, v5, vcc
	v_cndmask_b32_e32 v1, v2, v4, vcc
	v_lshlrev_b32_e32 v2, 8, v7
	v_mov_b32_e32 v4, 0x3b800000
	v_lshlrev_b32_e32 v0, 20, v0
	v_and_b32_e32 v2, 0x80000000, v2
	v_lshl_add_u32 v1, v1, 23, v4
	v_or3_b32 v0, v2, v1, v0
.LBB25_2036:
	s_or_b64 exec, exec, s[6:7]
	s_movk_i32 s4, 0xff
	v_and_b32_sdwa v1, v3, s4 dst_sel:DWORD dst_unused:UNUSED_PAD src0_sel:WORD_1 src1_sel:DWORD
	s_movk_i32 s4, 0x7f
	v_cmp_lt_i16_e32 vcc, s4, v1
	s_mov_b64 s[4:5], 0
                                        ; implicit-def: $sgpr10
	s_and_saveexec_b64 s[6:7], vcc
	s_xor_b64 s[6:7], exec, s[6:7]
	s_cbranch_execnz .LBB25_4085
; %bb.2037:
	s_or_saveexec_b64 s[6:7], s[6:7]
	v_mov_b32_e32 v2, s10
	s_xor_b64 exec, exec, s[6:7]
	s_cbranch_execnz .LBB25_4088
.LBB25_2038:
	s_or_b64 exec, exec, s[6:7]
	s_and_saveexec_b64 s[6:7], s[4:5]
	s_cbranch_execz .LBB25_2040
.LBB25_2039:
	v_bfe_u32 v1, v3, 16, 3
	v_ffbh_u32_e32 v5, v1
	v_min_u32_e32 v5, 32, v5
	v_lshrrev_b32_e32 v2, 19, v3
	v_subrev_u32_e32 v6, 28, v5
	v_and_b32_e32 v2, 15, v2
	v_lshlrev_b32_sdwa v6, v6, v3 dst_sel:DWORD dst_unused:UNUSED_PAD src0_sel:DWORD src1_sel:WORD_1
	v_bfe_u32 v4, v3, 19, 4
	v_sub_u32_e32 v5, 29, v5
	v_and_b32_e32 v6, 7, v6
	v_cmp_eq_u16_e32 vcc, 0, v2
	v_cndmask_b32_e32 v1, v1, v6, vcc
	v_cndmask_b32_e32 v2, v4, v5, vcc
	v_lshlrev_b32_e32 v4, 8, v3
	v_mov_b32_e32 v5, 0x3b800000
	v_lshlrev_b32_e32 v1, 20, v1
	v_and_b32_e32 v4, 0x80000000, v4
	v_lshl_add_u32 v2, v2, 23, v5
	v_or3_b32 v2, v4, v2, v1
.LBB25_2040:
	s_or_b64 exec, exec, s[6:7]
	s_nop 0
	v_mfma_f32_16x16x4f32 a[0:3], v0, v2, a[0:3]
	s_movk_i32 s4, 0x7f
	v_cmp_gt_i16_sdwa s[6:7], v7, s4 src0_sel:BYTE_3 src1_sel:DWORD
	s_mov_b64 s[4:5], 0
                                        ; implicit-def: $sgpr10
	s_and_saveexec_b64 s[8:9], s[6:7]
	s_xor_b64 s[6:7], exec, s[8:9]
	s_cbranch_execnz .LBB25_4089
; %bb.2041:
	s_or_saveexec_b64 s[6:7], s[6:7]
	v_mov_b32_e32 v0, s10
	s_xor_b64 exec, exec, s[6:7]
	s_cbranch_execnz .LBB25_4092
.LBB25_2042:
	s_or_b64 exec, exec, s[6:7]
	s_and_saveexec_b64 s[6:7], s[4:5]
	s_cbranch_execz .LBB25_2044
.LBB25_2043:
	v_bfe_u32 v0, v7, 24, 3
	v_ffbh_u32_e32 v5, v0
	v_min_u32_e32 v5, 32, v5
	v_lshrrev_b32_e32 v2, 27, v7
	v_subrev_u32_e32 v6, 28, v5
	v_and_b32_e32 v2, 15, v2
	v_lshlrev_b32_sdwa v6, v6, v7 dst_sel:DWORD dst_unused:UNUSED_PAD src0_sel:DWORD src1_sel:BYTE_3
	v_bfe_u32 v4, v7, 27, 4
	v_sub_u32_e32 v5, 29, v5
	v_and_b32_e32 v6, 7, v6
	v_cmp_eq_u16_e32 vcc, 0, v2
	v_cndmask_b32_e32 v0, v0, v6, vcc
	v_cndmask_b32_e32 v2, v4, v5, vcc
	v_mov_b32_e32 v4, 0x3b800000
	v_and_b32_e32 v1, 0x80000000, v7
	v_lshlrev_b32_e32 v0, 20, v0
	v_lshl_add_u32 v2, v2, 23, v4
	v_or3_b32 v0, v1, v2, v0
.LBB25_2044:
	s_or_b64 exec, exec, s[6:7]
	s_movk_i32 s4, 0x7f
	v_cmp_gt_i16_sdwa s[6:7], v3, s4 src0_sel:BYTE_3 src1_sel:DWORD
	s_mov_b64 s[4:5], 0
                                        ; implicit-def: $sgpr10
	s_and_saveexec_b64 s[8:9], s[6:7]
	s_xor_b64 s[6:7], exec, s[8:9]
	s_cbranch_execnz .LBB25_4093
; %bb.2045:
	s_or_saveexec_b64 s[6:7], s[6:7]
	v_mov_b32_e32 v1, s10
	s_xor_b64 exec, exec, s[6:7]
	s_cbranch_execnz .LBB25_4096
.LBB25_2046:
	s_or_b64 exec, exec, s[6:7]
	s_and_saveexec_b64 s[6:7], s[4:5]
	s_cbranch_execz .LBB25_2048
.LBB25_2047:
	v_bfe_u32 v1, v3, 24, 3
	v_ffbh_u32_e32 v6, v1
	v_min_u32_e32 v6, 32, v6
	v_lshrrev_b32_e32 v4, 27, v3
	v_subrev_u32_e32 v7, 28, v6
	v_and_b32_e32 v2, 0x80000000, v3
	v_and_b32_e32 v4, 15, v4
	v_bfe_u32 v5, v3, 27, 4
	v_lshlrev_b32_sdwa v3, v7, v3 dst_sel:DWORD dst_unused:UNUSED_PAD src0_sel:DWORD src1_sel:BYTE_3
	v_sub_u32_e32 v6, 29, v6
	v_and_b32_e32 v3, 7, v3
	v_cmp_eq_u16_e32 vcc, 0, v4
	v_cndmask_b32_e32 v1, v1, v3, vcc
	v_cndmask_b32_e32 v3, v5, v6, vcc
	v_mov_b32_e32 v4, 0x3b800000
	v_lshlrev_b32_e32 v1, 20, v1
	v_lshl_add_u32 v3, v3, 23, v4
	v_or3_b32 v1, v2, v3, v1
.LBB25_2048:
	s_or_b64 exec, exec, s[6:7]
	s_nop 0
	v_mfma_f32_16x16x4f32 a[0:3], v0, v1, a[0:3]
	s_nop 7
	s_nop 2
	flat_store_dwordx4 v[16:17], a[0:3] offset:1008
	s_waitcnt vmcnt(0) lgkmcnt(0)
	s_setpc_b64 s[30:31]
.LBB25_2049:
	s_movk_i32 s4, 0x80
	v_cmp_eq_u16_sdwa s[12:13], v14, s4 src0_sel:BYTE_0 src1_sel:DWORD
	s_mov_b64 s[4:5], -1
                                        ; implicit-def: $sgpr10
	s_and_saveexec_b64 s[8:9], s[12:13]
; %bb.2050:
	s_mov_b32 s10, 0x7f800001
	s_xor_b64 s[4:5], exec, -1
; %bb.2051:
	s_or_b64 exec, exec, s[8:9]
	s_and_b64 s[4:5], s[4:5], exec
	s_or_saveexec_b64 s[6:7], s[6:7]
	v_mov_b32_e32 v20, s10
	s_xor_b64 exec, exec, s[6:7]
	s_cbranch_execz .LBB25_2
.LBB25_2052:
	v_mov_b32_e32 v20, 0
	v_cmp_ne_u16_sdwa s[8:9], v14, v20 src0_sel:BYTE_0 src1_sel:DWORD
	s_andn2_b64 s[4:5], s[4:5], exec
	s_and_b64 s[8:9], s[8:9], exec
	s_or_b64 s[4:5], s[4:5], s[8:9]
	s_or_b64 exec, exec, s[6:7]
	s_and_saveexec_b64 s[6:7], s[4:5]
	s_cbranch_execnz .LBB25_3
	s_branch .LBB25_4
.LBB25_2053:
	s_movk_i32 s4, 0x80
	v_cmp_eq_u16_sdwa s[12:13], v10, s4 src0_sel:BYTE_0 src1_sel:DWORD
	s_mov_b64 s[4:5], -1
                                        ; implicit-def: $sgpr10
	s_and_saveexec_b64 s[8:9], s[12:13]
; %bb.2054:
	s_mov_b32 s10, 0x7f800001
	s_xor_b64 s[4:5], exec, -1
; %bb.2055:
	s_or_b64 exec, exec, s[8:9]
	s_and_b64 s[4:5], s[4:5], exec
	s_or_saveexec_b64 s[6:7], s[6:7]
	v_mov_b32_e32 v21, s10
	s_xor_b64 exec, exec, s[6:7]
	s_cbranch_execz .LBB25_6
.LBB25_2056:
	v_mov_b32_e32 v21, 0
	v_cmp_ne_u16_sdwa s[8:9], v10, v21 src0_sel:BYTE_0 src1_sel:DWORD
	s_andn2_b64 s[4:5], s[4:5], exec
	s_and_b64 s[8:9], s[8:9], exec
	s_or_b64 s[4:5], s[4:5], s[8:9]
	s_or_b64 exec, exec, s[6:7]
	s_and_saveexec_b64 s[6:7], s[4:5]
	s_cbranch_execnz .LBB25_7
	s_branch .LBB25_8
.LBB25_2057:
	s_movk_i32 s4, 0x80
	v_cmp_eq_u16_sdwa s[12:13], v21, s4 src0_sel:BYTE_0 src1_sel:DWORD
	s_mov_b64 s[4:5], -1
                                        ; implicit-def: $sgpr10
	s_and_saveexec_b64 s[8:9], s[12:13]
; %bb.2058:
	s_mov_b32 s10, 0x7f800001
	s_xor_b64 s[4:5], exec, -1
; %bb.2059:
	s_or_b64 exec, exec, s[8:9]
	s_and_b64 s[4:5], s[4:5], exec
	s_or_saveexec_b64 s[6:7], s[6:7]
	v_mov_b32_e32 v20, s10
	s_xor_b64 exec, exec, s[6:7]
	s_cbranch_execz .LBB25_10
.LBB25_2060:
	v_mov_b32_e32 v20, 0
	v_cmp_ne_u16_sdwa s[8:9], v21, v20 src0_sel:BYTE_0 src1_sel:DWORD
	s_andn2_b64 s[4:5], s[4:5], exec
	s_and_b64 s[8:9], s[8:9], exec
	s_or_b64 s[4:5], s[4:5], s[8:9]
	s_or_b64 exec, exec, s[6:7]
	s_and_saveexec_b64 s[6:7], s[4:5]
	s_cbranch_execnz .LBB25_11
	s_branch .LBB25_12
.LBB25_2061:
	s_movk_i32 s4, 0x80
	v_cmp_eq_u16_sdwa s[12:13], v21, s4 src0_sel:BYTE_0 src1_sel:DWORD
	s_mov_b64 s[4:5], -1
                                        ; implicit-def: $sgpr10
	s_and_saveexec_b64 s[8:9], s[12:13]
; %bb.2062:
	s_mov_b32 s10, 0x7f800001
	s_xor_b64 s[4:5], exec, -1
; %bb.2063:
	s_or_b64 exec, exec, s[8:9]
	s_and_b64 s[4:5], s[4:5], exec
	s_or_saveexec_b64 s[6:7], s[6:7]
	v_mov_b32_e32 v22, s10
	s_xor_b64 exec, exec, s[6:7]
	s_cbranch_execz .LBB25_14
.LBB25_2064:
	v_mov_b32_e32 v22, 0
	v_cmp_ne_u16_sdwa s[8:9], v21, v22 src0_sel:BYTE_0 src1_sel:DWORD
	s_andn2_b64 s[4:5], s[4:5], exec
	s_and_b64 s[8:9], s[8:9], exec
	s_or_b64 s[4:5], s[4:5], s[8:9]
	s_or_b64 exec, exec, s[6:7]
	s_and_saveexec_b64 s[6:7], s[4:5]
	s_cbranch_execnz .LBB25_15
	s_branch .LBB25_16
.LBB25_2065:
	s_movk_i32 s4, 0x80
	v_cmp_eq_u16_e32 vcc, s4, v21
	s_mov_b64 s[4:5], -1
                                        ; implicit-def: $sgpr10
	s_and_saveexec_b64 s[8:9], vcc
; %bb.2066:
	s_mov_b32 s10, 0x7f800001
	s_xor_b64 s[4:5], exec, -1
; %bb.2067:
	s_or_b64 exec, exec, s[8:9]
	s_and_b64 s[4:5], s[4:5], exec
                                        ; implicit-def: $vgpr21
	s_or_saveexec_b64 s[6:7], s[6:7]
	v_mov_b32_e32 v20, s10
	s_xor_b64 exec, exec, s[6:7]
	s_cbranch_execz .LBB25_18
.LBB25_2068:
	v_cmp_ne_u16_e32 vcc, 0, v21
	s_andn2_b64 s[4:5], s[4:5], exec
	s_and_b64 s[8:9], vcc, exec
	v_mov_b32_e32 v20, 0
	s_or_b64 s[4:5], s[4:5], s[8:9]
	s_or_b64 exec, exec, s[6:7]
	s_and_saveexec_b64 s[6:7], s[4:5]
	s_cbranch_execnz .LBB25_19
	s_branch .LBB25_20
.LBB25_2069:
	s_movk_i32 s4, 0x80
	v_cmp_eq_u16_e32 vcc, s4, v21
	s_mov_b64 s[4:5], -1
                                        ; implicit-def: $sgpr10
	s_and_saveexec_b64 s[8:9], vcc
; %bb.2070:
	s_mov_b32 s10, 0x7f800001
	s_xor_b64 s[4:5], exec, -1
; %bb.2071:
	s_or_b64 exec, exec, s[8:9]
	s_and_b64 s[4:5], s[4:5], exec
                                        ; implicit-def: $vgpr21
	s_or_saveexec_b64 s[6:7], s[6:7]
	v_mov_b32_e32 v22, s10
	s_xor_b64 exec, exec, s[6:7]
	s_cbranch_execz .LBB25_22
.LBB25_2072:
	v_cmp_ne_u16_e32 vcc, 0, v21
	s_andn2_b64 s[4:5], s[4:5], exec
	s_and_b64 s[8:9], vcc, exec
	v_mov_b32_e32 v22, 0
	s_or_b64 s[4:5], s[4:5], s[8:9]
	s_or_b64 exec, exec, s[6:7]
	s_and_saveexec_b64 s[6:7], s[4:5]
	s_cbranch_execnz .LBB25_23
	s_branch .LBB25_24
.LBB25_2073:
	s_movk_i32 s4, 0x80
	v_cmp_eq_u16_sdwa s[12:13], v14, s4 src0_sel:BYTE_3 src1_sel:DWORD
	s_mov_b64 s[4:5], -1
                                        ; implicit-def: $sgpr10
	s_and_saveexec_b64 s[8:9], s[12:13]
; %bb.2074:
	s_mov_b32 s10, 0x7f800001
	s_xor_b64 s[4:5], exec, -1
; %bb.2075:
	s_or_b64 exec, exec, s[8:9]
	s_and_b64 s[4:5], s[4:5], exec
	s_or_saveexec_b64 s[6:7], s[6:7]
	v_mov_b32_e32 v20, s10
	s_xor_b64 exec, exec, s[6:7]
	s_cbranch_execz .LBB25_26
.LBB25_2076:
	v_mov_b32_e32 v20, 0
	v_cmp_ne_u16_sdwa s[8:9], v14, v20 src0_sel:BYTE_3 src1_sel:DWORD
	s_andn2_b64 s[4:5], s[4:5], exec
	s_and_b64 s[8:9], s[8:9], exec
	s_or_b64 s[4:5], s[4:5], s[8:9]
	s_or_b64 exec, exec, s[6:7]
	s_and_saveexec_b64 s[6:7], s[4:5]
	s_cbranch_execnz .LBB25_27
	s_branch .LBB25_28
.LBB25_2077:
	s_movk_i32 s4, 0x80
	v_cmp_eq_u16_sdwa s[12:13], v10, s4 src0_sel:BYTE_3 src1_sel:DWORD
	s_mov_b64 s[4:5], -1
                                        ; implicit-def: $sgpr10
	s_and_saveexec_b64 s[8:9], s[12:13]
; %bb.2078:
	s_mov_b32 s10, 0x7f800001
	s_xor_b64 s[4:5], exec, -1
; %bb.2079:
	s_or_b64 exec, exec, s[8:9]
	s_and_b64 s[4:5], s[4:5], exec
	s_or_saveexec_b64 s[6:7], s[6:7]
	v_mov_b32_e32 v14, s10
	s_xor_b64 exec, exec, s[6:7]
	s_cbranch_execz .LBB25_30
.LBB25_2080:
	v_mov_b32_e32 v14, 0
	v_cmp_ne_u16_sdwa s[8:9], v10, v14 src0_sel:BYTE_3 src1_sel:DWORD
	s_andn2_b64 s[4:5], s[4:5], exec
	s_and_b64 s[8:9], s[8:9], exec
	s_or_b64 s[4:5], s[4:5], s[8:9]
	s_or_b64 exec, exec, s[6:7]
	s_and_saveexec_b64 s[6:7], s[4:5]
	s_cbranch_execnz .LBB25_31
	s_branch .LBB25_32
.LBB25_2081:
	s_movk_i32 s4, 0x80
	v_cmp_eq_u16_sdwa s[12:13], v15, s4 src0_sel:BYTE_0 src1_sel:DWORD
	s_mov_b64 s[4:5], -1
                                        ; implicit-def: $sgpr10
	s_and_saveexec_b64 s[8:9], s[12:13]
; %bb.2082:
	s_mov_b32 s10, 0x7f800001
	s_xor_b64 s[4:5], exec, -1
; %bb.2083:
	s_or_b64 exec, exec, s[8:9]
	s_and_b64 s[4:5], s[4:5], exec
	s_or_saveexec_b64 s[6:7], s[6:7]
	v_mov_b32_e32 v10, s10
	s_xor_b64 exec, exec, s[6:7]
	s_cbranch_execz .LBB25_34
.LBB25_2084:
	v_mov_b32_e32 v10, 0
	v_cmp_ne_u16_sdwa s[8:9], v15, v10 src0_sel:BYTE_0 src1_sel:DWORD
	s_andn2_b64 s[4:5], s[4:5], exec
	s_and_b64 s[8:9], s[8:9], exec
	s_or_b64 s[4:5], s[4:5], s[8:9]
	s_or_b64 exec, exec, s[6:7]
	s_and_saveexec_b64 s[6:7], s[4:5]
	s_cbranch_execnz .LBB25_35
	s_branch .LBB25_36
.LBB25_2085:
	s_movk_i32 s4, 0x80
	v_cmp_eq_u16_sdwa s[12:13], v11, s4 src0_sel:BYTE_0 src1_sel:DWORD
	s_mov_b64 s[4:5], -1
                                        ; implicit-def: $sgpr10
	s_and_saveexec_b64 s[8:9], s[12:13]
; %bb.2086:
	s_mov_b32 s10, 0x7f800001
	s_xor_b64 s[4:5], exec, -1
; %bb.2087:
	s_or_b64 exec, exec, s[8:9]
	s_and_b64 s[4:5], s[4:5], exec
	s_or_saveexec_b64 s[6:7], s[6:7]
	v_mov_b32_e32 v14, s10
	s_xor_b64 exec, exec, s[6:7]
	s_cbranch_execz .LBB25_38
.LBB25_2088:
	v_mov_b32_e32 v14, 0
	v_cmp_ne_u16_sdwa s[8:9], v11, v14 src0_sel:BYTE_0 src1_sel:DWORD
	s_andn2_b64 s[4:5], s[4:5], exec
	s_and_b64 s[8:9], s[8:9], exec
	s_or_b64 s[4:5], s[4:5], s[8:9]
	s_or_b64 exec, exec, s[6:7]
	s_and_saveexec_b64 s[6:7], s[4:5]
	s_cbranch_execnz .LBB25_39
	s_branch .LBB25_40
.LBB25_2089:
	s_movk_i32 s4, 0x80
	v_cmp_eq_u16_sdwa s[12:13], v14, s4 src0_sel:BYTE_0 src1_sel:DWORD
	s_mov_b64 s[4:5], -1
                                        ; implicit-def: $sgpr10
	s_and_saveexec_b64 s[8:9], s[12:13]
; %bb.2090:
	s_mov_b32 s10, 0x7f800001
	s_xor_b64 s[4:5], exec, -1
; %bb.2091:
	s_or_b64 exec, exec, s[8:9]
	s_and_b64 s[4:5], s[4:5], exec
	s_or_saveexec_b64 s[6:7], s[6:7]
	v_mov_b32_e32 v10, s10
	s_xor_b64 exec, exec, s[6:7]
	s_cbranch_execz .LBB25_42
.LBB25_2092:
	v_mov_b32_e32 v10, 0
	v_cmp_ne_u16_sdwa s[8:9], v14, v10 src0_sel:BYTE_0 src1_sel:DWORD
	s_andn2_b64 s[4:5], s[4:5], exec
	s_and_b64 s[8:9], s[8:9], exec
	s_or_b64 s[4:5], s[4:5], s[8:9]
	s_or_b64 exec, exec, s[6:7]
	s_and_saveexec_b64 s[6:7], s[4:5]
	s_cbranch_execnz .LBB25_43
	s_branch .LBB25_44
.LBB25_2093:
	s_movk_i32 s4, 0x80
	v_cmp_eq_u16_sdwa s[12:13], v14, s4 src0_sel:BYTE_0 src1_sel:DWORD
	s_mov_b64 s[4:5], -1
                                        ; implicit-def: $sgpr10
	s_and_saveexec_b64 s[8:9], s[12:13]
; %bb.2094:
	s_mov_b32 s10, 0x7f800001
	s_xor_b64 s[4:5], exec, -1
; %bb.2095:
	s_or_b64 exec, exec, s[8:9]
	s_and_b64 s[4:5], s[4:5], exec
	s_or_saveexec_b64 s[6:7], s[6:7]
	v_mov_b32_e32 v20, s10
	s_xor_b64 exec, exec, s[6:7]
	s_cbranch_execz .LBB25_46
.LBB25_2096:
	v_mov_b32_e32 v20, 0
	v_cmp_ne_u16_sdwa s[8:9], v14, v20 src0_sel:BYTE_0 src1_sel:DWORD
	s_andn2_b64 s[4:5], s[4:5], exec
	s_and_b64 s[8:9], s[8:9], exec
	s_or_b64 s[4:5], s[4:5], s[8:9]
	s_or_b64 exec, exec, s[6:7]
	s_and_saveexec_b64 s[6:7], s[4:5]
	s_cbranch_execnz .LBB25_47
	s_branch .LBB25_48
.LBB25_2097:
	s_movk_i32 s4, 0x80
	v_cmp_eq_u16_e32 vcc, s4, v14
	s_mov_b64 s[4:5], -1
                                        ; implicit-def: $sgpr10
	s_and_saveexec_b64 s[8:9], vcc
; %bb.2098:
	s_mov_b32 s10, 0x7f800001
	s_xor_b64 s[4:5], exec, -1
; %bb.2099:
	s_or_b64 exec, exec, s[8:9]
	s_and_b64 s[4:5], s[4:5], exec
                                        ; implicit-def: $vgpr14
	s_or_saveexec_b64 s[6:7], s[6:7]
	v_mov_b32_e32 v10, s10
	s_xor_b64 exec, exec, s[6:7]
	s_cbranch_execz .LBB25_50
.LBB25_2100:
	v_cmp_ne_u16_e32 vcc, 0, v14
	s_andn2_b64 s[4:5], s[4:5], exec
	s_and_b64 s[8:9], vcc, exec
	v_mov_b32_e32 v10, 0
	s_or_b64 s[4:5], s[4:5], s[8:9]
	s_or_b64 exec, exec, s[6:7]
	s_and_saveexec_b64 s[6:7], s[4:5]
	s_cbranch_execnz .LBB25_51
	s_branch .LBB25_52
.LBB25_2101:
	s_movk_i32 s4, 0x80
	v_cmp_eq_u16_e32 vcc, s4, v14
	s_mov_b64 s[4:5], -1
                                        ; implicit-def: $sgpr10
	s_and_saveexec_b64 s[8:9], vcc
; %bb.2102:
	s_mov_b32 s10, 0x7f800001
	s_xor_b64 s[4:5], exec, -1
; %bb.2103:
	s_or_b64 exec, exec, s[8:9]
	s_and_b64 s[4:5], s[4:5], exec
                                        ; implicit-def: $vgpr14
	s_or_saveexec_b64 s[6:7], s[6:7]
	v_mov_b32_e32 v20, s10
	s_xor_b64 exec, exec, s[6:7]
	s_cbranch_execz .LBB25_54
.LBB25_2104:
	v_cmp_ne_u16_e32 vcc, 0, v14
	s_andn2_b64 s[4:5], s[4:5], exec
	s_and_b64 s[8:9], vcc, exec
	v_mov_b32_e32 v20, 0
	s_or_b64 s[4:5], s[4:5], s[8:9]
	s_or_b64 exec, exec, s[6:7]
	s_and_saveexec_b64 s[6:7], s[4:5]
	s_cbranch_execnz .LBB25_55
	s_branch .LBB25_56
.LBB25_2105:
	s_movk_i32 s4, 0x80
	v_cmp_eq_u16_sdwa s[12:13], v15, s4 src0_sel:BYTE_3 src1_sel:DWORD
	s_mov_b64 s[4:5], -1
                                        ; implicit-def: $sgpr10
	s_and_saveexec_b64 s[8:9], s[12:13]
; %bb.2106:
	s_mov_b32 s10, 0x7f800001
	s_xor_b64 s[4:5], exec, -1
; %bb.2107:
	s_or_b64 exec, exec, s[8:9]
	s_and_b64 s[4:5], s[4:5], exec
	s_or_saveexec_b64 s[6:7], s[6:7]
	v_mov_b32_e32 v10, s10
	s_xor_b64 exec, exec, s[6:7]
	s_cbranch_execz .LBB25_58
.LBB25_2108:
	v_mov_b32_e32 v10, 0
	v_cmp_ne_u16_sdwa s[8:9], v15, v10 src0_sel:BYTE_3 src1_sel:DWORD
	s_andn2_b64 s[4:5], s[4:5], exec
	s_and_b64 s[8:9], s[8:9], exec
	s_or_b64 s[4:5], s[4:5], s[8:9]
	s_or_b64 exec, exec, s[6:7]
	s_and_saveexec_b64 s[6:7], s[4:5]
	s_cbranch_execnz .LBB25_59
	s_branch .LBB25_60
.LBB25_2109:
	s_movk_i32 s4, 0x80
	v_cmp_eq_u16_sdwa s[12:13], v11, s4 src0_sel:BYTE_3 src1_sel:DWORD
	s_mov_b64 s[4:5], -1
                                        ; implicit-def: $sgpr10
	s_and_saveexec_b64 s[8:9], s[12:13]
; %bb.2110:
	s_mov_b32 s10, 0x7f800001
	s_xor_b64 s[4:5], exec, -1
; %bb.2111:
	s_or_b64 exec, exec, s[8:9]
	s_and_b64 s[4:5], s[4:5], exec
	s_or_saveexec_b64 s[6:7], s[6:7]
	v_mov_b32_e32 v14, s10
	s_xor_b64 exec, exec, s[6:7]
	s_cbranch_execz .LBB25_62
.LBB25_2112:
	v_mov_b32_e32 v14, 0
	v_cmp_ne_u16_sdwa s[8:9], v11, v14 src0_sel:BYTE_3 src1_sel:DWORD
	s_andn2_b64 s[4:5], s[4:5], exec
	s_and_b64 s[8:9], s[8:9], exec
	s_or_b64 s[4:5], s[4:5], s[8:9]
	s_or_b64 exec, exec, s[6:7]
	s_and_saveexec_b64 s[6:7], s[4:5]
	s_cbranch_execnz .LBB25_63
	s_branch .LBB25_64
.LBB25_2113:
	s_movk_i32 s4, 0x80
	v_cmp_eq_u16_sdwa s[12:13], v16, s4 src0_sel:BYTE_0 src1_sel:DWORD
	s_mov_b64 s[4:5], -1
                                        ; implicit-def: $sgpr10
	s_and_saveexec_b64 s[8:9], s[12:13]
; %bb.2114:
	s_mov_b32 s10, 0x7f800001
	s_xor_b64 s[4:5], exec, -1
; %bb.2115:
	s_or_b64 exec, exec, s[8:9]
	s_and_b64 s[4:5], s[4:5], exec
	s_or_saveexec_b64 s[6:7], s[6:7]
	v_mov_b32_e32 v10, s10
	s_xor_b64 exec, exec, s[6:7]
	s_cbranch_execz .LBB25_66
.LBB25_2116:
	v_mov_b32_e32 v10, 0
	v_cmp_ne_u16_sdwa s[8:9], v16, v10 src0_sel:BYTE_0 src1_sel:DWORD
	s_andn2_b64 s[4:5], s[4:5], exec
	s_and_b64 s[8:9], s[8:9], exec
	s_or_b64 s[4:5], s[4:5], s[8:9]
	s_or_b64 exec, exec, s[6:7]
	s_and_saveexec_b64 s[6:7], s[4:5]
	s_cbranch_execnz .LBB25_67
	s_branch .LBB25_68
.LBB25_2117:
	s_movk_i32 s4, 0x80
	v_cmp_eq_u16_sdwa s[12:13], v12, s4 src0_sel:BYTE_0 src1_sel:DWORD
	s_mov_b64 s[4:5], -1
                                        ; implicit-def: $sgpr10
	s_and_saveexec_b64 s[8:9], s[12:13]
; %bb.2118:
	s_mov_b32 s10, 0x7f800001
	s_xor_b64 s[4:5], exec, -1
; %bb.2119:
	s_or_b64 exec, exec, s[8:9]
	s_and_b64 s[4:5], s[4:5], exec
	s_or_saveexec_b64 s[6:7], s[6:7]
	v_mov_b32_e32 v11, s10
	s_xor_b64 exec, exec, s[6:7]
	s_cbranch_execz .LBB25_70
.LBB25_2120:
	v_mov_b32_e32 v11, 0
	v_cmp_ne_u16_sdwa s[8:9], v12, v11 src0_sel:BYTE_0 src1_sel:DWORD
	s_andn2_b64 s[4:5], s[4:5], exec
	s_and_b64 s[8:9], s[8:9], exec
	s_or_b64 s[4:5], s[4:5], s[8:9]
	s_or_b64 exec, exec, s[6:7]
	s_and_saveexec_b64 s[6:7], s[4:5]
	s_cbranch_execnz .LBB25_71
	s_branch .LBB25_72
.LBB25_2121:
	s_movk_i32 s4, 0x80
	v_cmp_eq_u16_sdwa s[12:13], v11, s4 src0_sel:BYTE_0 src1_sel:DWORD
	s_mov_b64 s[4:5], -1
                                        ; implicit-def: $sgpr10
	s_and_saveexec_b64 s[8:9], s[12:13]
; %bb.2122:
	s_mov_b32 s10, 0x7f800001
	s_xor_b64 s[4:5], exec, -1
; %bb.2123:
	s_or_b64 exec, exec, s[8:9]
	s_and_b64 s[4:5], s[4:5], exec
	s_or_saveexec_b64 s[6:7], s[6:7]
	v_mov_b32_e32 v10, s10
	s_xor_b64 exec, exec, s[6:7]
	s_cbranch_execz .LBB25_74
.LBB25_2124:
	v_mov_b32_e32 v10, 0
	v_cmp_ne_u16_sdwa s[8:9], v11, v10 src0_sel:BYTE_0 src1_sel:DWORD
	s_andn2_b64 s[4:5], s[4:5], exec
	s_and_b64 s[8:9], s[8:9], exec
	s_or_b64 s[4:5], s[4:5], s[8:9]
	s_or_b64 exec, exec, s[6:7]
	s_and_saveexec_b64 s[6:7], s[4:5]
	s_cbranch_execnz .LBB25_75
	s_branch .LBB25_76
.LBB25_2125:
	s_movk_i32 s4, 0x80
	v_cmp_eq_u16_sdwa s[12:13], v11, s4 src0_sel:BYTE_0 src1_sel:DWORD
	s_mov_b64 s[4:5], -1
                                        ; implicit-def: $sgpr10
	s_and_saveexec_b64 s[8:9], s[12:13]
; %bb.2126:
	s_mov_b32 s10, 0x7f800001
	s_xor_b64 s[4:5], exec, -1
; %bb.2127:
	s_or_b64 exec, exec, s[8:9]
	s_and_b64 s[4:5], s[4:5], exec
	s_or_saveexec_b64 s[6:7], s[6:7]
	v_mov_b32_e32 v14, s10
	s_xor_b64 exec, exec, s[6:7]
	s_cbranch_execz .LBB25_78
.LBB25_2128:
	v_mov_b32_e32 v14, 0
	v_cmp_ne_u16_sdwa s[8:9], v11, v14 src0_sel:BYTE_0 src1_sel:DWORD
	s_andn2_b64 s[4:5], s[4:5], exec
	s_and_b64 s[8:9], s[8:9], exec
	s_or_b64 s[4:5], s[4:5], s[8:9]
	s_or_b64 exec, exec, s[6:7]
	s_and_saveexec_b64 s[6:7], s[4:5]
	s_cbranch_execnz .LBB25_79
	s_branch .LBB25_80
.LBB25_2129:
	s_movk_i32 s4, 0x80
	v_cmp_eq_u16_e32 vcc, s4, v11
	s_mov_b64 s[4:5], -1
                                        ; implicit-def: $sgpr10
	s_and_saveexec_b64 s[8:9], vcc
; %bb.2130:
	s_mov_b32 s10, 0x7f800001
	s_xor_b64 s[4:5], exec, -1
; %bb.2131:
	s_or_b64 exec, exec, s[8:9]
	s_and_b64 s[4:5], s[4:5], exec
                                        ; implicit-def: $vgpr11
	s_or_saveexec_b64 s[6:7], s[6:7]
	v_mov_b32_e32 v10, s10
	s_xor_b64 exec, exec, s[6:7]
	s_cbranch_execz .LBB25_82
.LBB25_2132:
	v_cmp_ne_u16_e32 vcc, 0, v11
	s_andn2_b64 s[4:5], s[4:5], exec
	s_and_b64 s[8:9], vcc, exec
	v_mov_b32_e32 v10, 0
	s_or_b64 s[4:5], s[4:5], s[8:9]
	s_or_b64 exec, exec, s[6:7]
	s_and_saveexec_b64 s[6:7], s[4:5]
	s_cbranch_execnz .LBB25_83
	s_branch .LBB25_84
.LBB25_2133:
	s_movk_i32 s4, 0x80
	v_cmp_eq_u16_e32 vcc, s4, v11
	s_mov_b64 s[4:5], -1
                                        ; implicit-def: $sgpr10
	s_and_saveexec_b64 s[8:9], vcc
; %bb.2134:
	s_mov_b32 s10, 0x7f800001
	s_xor_b64 s[4:5], exec, -1
; %bb.2135:
	s_or_b64 exec, exec, s[8:9]
	s_and_b64 s[4:5], s[4:5], exec
                                        ; implicit-def: $vgpr11
	s_or_saveexec_b64 s[6:7], s[6:7]
	v_mov_b32_e32 v14, s10
	s_xor_b64 exec, exec, s[6:7]
	s_cbranch_execz .LBB25_86
.LBB25_2136:
	v_cmp_ne_u16_e32 vcc, 0, v11
	s_andn2_b64 s[4:5], s[4:5], exec
	s_and_b64 s[8:9], vcc, exec
	v_mov_b32_e32 v14, 0
	s_or_b64 s[4:5], s[4:5], s[8:9]
	s_or_b64 exec, exec, s[6:7]
	s_and_saveexec_b64 s[6:7], s[4:5]
	s_cbranch_execnz .LBB25_87
	s_branch .LBB25_88
.LBB25_2137:
	s_movk_i32 s4, 0x80
	v_cmp_eq_u16_sdwa s[12:13], v16, s4 src0_sel:BYTE_3 src1_sel:DWORD
	s_mov_b64 s[4:5], -1
                                        ; implicit-def: $sgpr10
	s_and_saveexec_b64 s[8:9], s[12:13]
; %bb.2138:
	s_mov_b32 s10, 0x7f800001
	s_xor_b64 s[4:5], exec, -1
; %bb.2139:
	s_or_b64 exec, exec, s[8:9]
	s_and_b64 s[4:5], s[4:5], exec
	s_or_saveexec_b64 s[6:7], s[6:7]
	v_mov_b32_e32 v10, s10
	s_xor_b64 exec, exec, s[6:7]
	s_cbranch_execz .LBB25_90
.LBB25_2140:
	v_mov_b32_e32 v10, 0
	v_cmp_ne_u16_sdwa s[8:9], v16, v10 src0_sel:BYTE_3 src1_sel:DWORD
	s_andn2_b64 s[4:5], s[4:5], exec
	s_and_b64 s[8:9], s[8:9], exec
	s_or_b64 s[4:5], s[4:5], s[8:9]
	s_or_b64 exec, exec, s[6:7]
	s_and_saveexec_b64 s[6:7], s[4:5]
	s_cbranch_execnz .LBB25_91
	s_branch .LBB25_92
.LBB25_2141:
	s_movk_i32 s4, 0x80
	v_cmp_eq_u16_sdwa s[12:13], v12, s4 src0_sel:BYTE_3 src1_sel:DWORD
	s_mov_b64 s[4:5], -1
                                        ; implicit-def: $sgpr10
	s_and_saveexec_b64 s[8:9], s[12:13]
; %bb.2142:
	s_mov_b32 s10, 0x7f800001
	s_xor_b64 s[4:5], exec, -1
; %bb.2143:
	s_or_b64 exec, exec, s[8:9]
	s_and_b64 s[4:5], s[4:5], exec
	s_or_saveexec_b64 s[6:7], s[6:7]
	v_mov_b32_e32 v11, s10
	s_xor_b64 exec, exec, s[6:7]
	s_cbranch_execz .LBB25_94
.LBB25_2144:
	v_mov_b32_e32 v11, 0
	v_cmp_ne_u16_sdwa s[8:9], v12, v11 src0_sel:BYTE_3 src1_sel:DWORD
	s_andn2_b64 s[4:5], s[4:5], exec
	s_and_b64 s[8:9], s[8:9], exec
	s_or_b64 s[4:5], s[4:5], s[8:9]
	s_or_b64 exec, exec, s[6:7]
	s_and_saveexec_b64 s[6:7], s[4:5]
	s_cbranch_execnz .LBB25_95
	s_branch .LBB25_96
.LBB25_2145:
	s_movk_i32 s4, 0x80
	v_cmp_eq_u16_sdwa s[12:13], v17, s4 src0_sel:BYTE_0 src1_sel:DWORD
	s_mov_b64 s[4:5], -1
                                        ; implicit-def: $sgpr10
	s_and_saveexec_b64 s[8:9], s[12:13]
; %bb.2146:
	s_mov_b32 s10, 0x7f800001
	s_xor_b64 s[4:5], exec, -1
; %bb.2147:
	s_or_b64 exec, exec, s[8:9]
	s_and_b64 s[4:5], s[4:5], exec
	s_or_saveexec_b64 s[6:7], s[6:7]
	v_mov_b32_e32 v10, s10
	s_xor_b64 exec, exec, s[6:7]
	s_cbranch_execz .LBB25_98
.LBB25_2148:
	v_mov_b32_e32 v10, 0
	v_cmp_ne_u16_sdwa s[8:9], v17, v10 src0_sel:BYTE_0 src1_sel:DWORD
	s_andn2_b64 s[4:5], s[4:5], exec
	s_and_b64 s[8:9], s[8:9], exec
	s_or_b64 s[4:5], s[4:5], s[8:9]
	s_or_b64 exec, exec, s[6:7]
	s_and_saveexec_b64 s[6:7], s[4:5]
	s_cbranch_execnz .LBB25_99
	s_branch .LBB25_100
.LBB25_2149:
	s_movk_i32 s4, 0x80
	v_cmp_eq_u16_sdwa s[12:13], v13, s4 src0_sel:BYTE_0 src1_sel:DWORD
	s_mov_b64 s[4:5], -1
                                        ; implicit-def: $sgpr10
	s_and_saveexec_b64 s[8:9], s[12:13]
; %bb.2150:
	s_mov_b32 s10, 0x7f800001
	s_xor_b64 s[4:5], exec, -1
; %bb.2151:
	s_or_b64 exec, exec, s[8:9]
	s_and_b64 s[4:5], s[4:5], exec
	s_or_saveexec_b64 s[6:7], s[6:7]
	v_mov_b32_e32 v11, s10
	s_xor_b64 exec, exec, s[6:7]
	s_cbranch_execz .LBB25_102
.LBB25_2152:
	v_mov_b32_e32 v11, 0
	v_cmp_ne_u16_sdwa s[8:9], v13, v11 src0_sel:BYTE_0 src1_sel:DWORD
	s_andn2_b64 s[4:5], s[4:5], exec
	s_and_b64 s[8:9], s[8:9], exec
	s_or_b64 s[4:5], s[4:5], s[8:9]
	s_or_b64 exec, exec, s[6:7]
	s_and_saveexec_b64 s[6:7], s[4:5]
	s_cbranch_execnz .LBB25_103
	s_branch .LBB25_104
.LBB25_2153:
	s_movk_i32 s4, 0x80
	v_cmp_eq_u16_sdwa s[12:13], v11, s4 src0_sel:BYTE_0 src1_sel:DWORD
	s_mov_b64 s[4:5], -1
                                        ; implicit-def: $sgpr10
	s_and_saveexec_b64 s[8:9], s[12:13]
; %bb.2154:
	s_mov_b32 s10, 0x7f800001
	s_xor_b64 s[4:5], exec, -1
; %bb.2155:
	s_or_b64 exec, exec, s[8:9]
	s_and_b64 s[4:5], s[4:5], exec
	s_or_saveexec_b64 s[6:7], s[6:7]
	v_mov_b32_e32 v10, s10
	s_xor_b64 exec, exec, s[6:7]
	s_cbranch_execz .LBB25_106
.LBB25_2156:
	v_mov_b32_e32 v10, 0
	v_cmp_ne_u16_sdwa s[8:9], v11, v10 src0_sel:BYTE_0 src1_sel:DWORD
	s_andn2_b64 s[4:5], s[4:5], exec
	s_and_b64 s[8:9], s[8:9], exec
	s_or_b64 s[4:5], s[4:5], s[8:9]
	s_or_b64 exec, exec, s[6:7]
	s_and_saveexec_b64 s[6:7], s[4:5]
	s_cbranch_execnz .LBB25_107
	s_branch .LBB25_108
.LBB25_2157:
	s_movk_i32 s4, 0x80
	v_cmp_eq_u16_sdwa s[12:13], v11, s4 src0_sel:BYTE_0 src1_sel:DWORD
	s_mov_b64 s[4:5], -1
                                        ; implicit-def: $sgpr10
	s_and_saveexec_b64 s[8:9], s[12:13]
; %bb.2158:
	s_mov_b32 s10, 0x7f800001
	s_xor_b64 s[4:5], exec, -1
; %bb.2159:
	s_or_b64 exec, exec, s[8:9]
	s_and_b64 s[4:5], s[4:5], exec
	s_or_saveexec_b64 s[6:7], s[6:7]
	v_mov_b32_e32 v12, s10
	s_xor_b64 exec, exec, s[6:7]
	s_cbranch_execz .LBB25_110
.LBB25_2160:
	v_mov_b32_e32 v12, 0
	v_cmp_ne_u16_sdwa s[8:9], v11, v12 src0_sel:BYTE_0 src1_sel:DWORD
	s_andn2_b64 s[4:5], s[4:5], exec
	s_and_b64 s[8:9], s[8:9], exec
	s_or_b64 s[4:5], s[4:5], s[8:9]
	s_or_b64 exec, exec, s[6:7]
	s_and_saveexec_b64 s[6:7], s[4:5]
	s_cbranch_execnz .LBB25_111
	s_branch .LBB25_112
.LBB25_2161:
	s_movk_i32 s4, 0x80
	v_cmp_eq_u16_e32 vcc, s4, v11
	s_mov_b64 s[4:5], -1
                                        ; implicit-def: $sgpr10
	s_and_saveexec_b64 s[8:9], vcc
; %bb.2162:
	s_mov_b32 s10, 0x7f800001
	s_xor_b64 s[4:5], exec, -1
; %bb.2163:
	s_or_b64 exec, exec, s[8:9]
	s_and_b64 s[4:5], s[4:5], exec
                                        ; implicit-def: $vgpr11
	s_or_saveexec_b64 s[6:7], s[6:7]
	v_mov_b32_e32 v10, s10
	s_xor_b64 exec, exec, s[6:7]
	s_cbranch_execz .LBB25_114
.LBB25_2164:
	v_cmp_ne_u16_e32 vcc, 0, v11
	s_andn2_b64 s[4:5], s[4:5], exec
	s_and_b64 s[8:9], vcc, exec
	v_mov_b32_e32 v10, 0
	s_or_b64 s[4:5], s[4:5], s[8:9]
	s_or_b64 exec, exec, s[6:7]
	s_and_saveexec_b64 s[6:7], s[4:5]
	s_cbranch_execnz .LBB25_115
	s_branch .LBB25_116
.LBB25_2165:
	s_movk_i32 s4, 0x80
	v_cmp_eq_u16_e32 vcc, s4, v11
	s_mov_b64 s[4:5], -1
                                        ; implicit-def: $sgpr10
	s_and_saveexec_b64 s[8:9], vcc
; %bb.2166:
	s_mov_b32 s10, 0x7f800001
	s_xor_b64 s[4:5], exec, -1
; %bb.2167:
	s_or_b64 exec, exec, s[8:9]
	s_and_b64 s[4:5], s[4:5], exec
                                        ; implicit-def: $vgpr11
	s_or_saveexec_b64 s[6:7], s[6:7]
	v_mov_b32_e32 v12, s10
	s_xor_b64 exec, exec, s[6:7]
	s_cbranch_execz .LBB25_118
.LBB25_2168:
	v_cmp_ne_u16_e32 vcc, 0, v11
	s_andn2_b64 s[4:5], s[4:5], exec
	s_and_b64 s[8:9], vcc, exec
	v_mov_b32_e32 v12, 0
	s_or_b64 s[4:5], s[4:5], s[8:9]
	s_or_b64 exec, exec, s[6:7]
	s_and_saveexec_b64 s[6:7], s[4:5]
	s_cbranch_execnz .LBB25_119
	s_branch .LBB25_120
.LBB25_2169:
	s_movk_i32 s4, 0x80
	v_cmp_eq_u16_sdwa s[12:13], v17, s4 src0_sel:BYTE_3 src1_sel:DWORD
	s_mov_b64 s[4:5], -1
                                        ; implicit-def: $sgpr10
	s_and_saveexec_b64 s[8:9], s[12:13]
; %bb.2170:
	s_mov_b32 s10, 0x7f800001
	s_xor_b64 s[4:5], exec, -1
; %bb.2171:
	s_or_b64 exec, exec, s[8:9]
	s_and_b64 s[4:5], s[4:5], exec
	s_or_saveexec_b64 s[6:7], s[6:7]
	v_mov_b32_e32 v10, s10
	s_xor_b64 exec, exec, s[6:7]
	s_cbranch_execz .LBB25_122
.LBB25_2172:
	v_mov_b32_e32 v10, 0
	v_cmp_ne_u16_sdwa s[8:9], v17, v10 src0_sel:BYTE_3 src1_sel:DWORD
	s_andn2_b64 s[4:5], s[4:5], exec
	s_and_b64 s[8:9], s[8:9], exec
	s_or_b64 s[4:5], s[4:5], s[8:9]
	s_or_b64 exec, exec, s[6:7]
	s_and_saveexec_b64 s[6:7], s[4:5]
	s_cbranch_execnz .LBB25_123
	s_branch .LBB25_124
.LBB25_2173:
	s_movk_i32 s4, 0x80
	v_cmp_eq_u16_sdwa s[12:13], v13, s4 src0_sel:BYTE_3 src1_sel:DWORD
	s_mov_b64 s[4:5], -1
                                        ; implicit-def: $sgpr10
	s_and_saveexec_b64 s[8:9], s[12:13]
; %bb.2174:
	s_mov_b32 s10, 0x7f800001
	s_xor_b64 s[4:5], exec, -1
; %bb.2175:
	s_or_b64 exec, exec, s[8:9]
	s_and_b64 s[4:5], s[4:5], exec
	s_or_saveexec_b64 s[6:7], s[6:7]
	v_mov_b32_e32 v11, s10
	s_xor_b64 exec, exec, s[6:7]
	s_cbranch_execz .LBB25_126
.LBB25_2176:
	v_mov_b32_e32 v11, 0
	v_cmp_ne_u16_sdwa s[8:9], v13, v11 src0_sel:BYTE_3 src1_sel:DWORD
	s_andn2_b64 s[4:5], s[4:5], exec
	s_and_b64 s[8:9], s[8:9], exec
	s_or_b64 s[4:5], s[4:5], s[8:9]
	s_or_b64 exec, exec, s[6:7]
	s_and_saveexec_b64 s[6:7], s[4:5]
	s_cbranch_execnz .LBB25_127
	s_branch .LBB25_128
.LBB25_2177:
	s_movk_i32 s4, 0x80
	v_cmp_eq_u16_sdwa s[12:13], v6, s4 src0_sel:BYTE_0 src1_sel:DWORD
	s_mov_b64 s[4:5], -1
                                        ; implicit-def: $sgpr10
	s_and_saveexec_b64 s[8:9], s[12:13]
; %bb.2178:
	s_mov_b32 s10, 0x7f800001
	s_xor_b64 s[4:5], exec, -1
; %bb.2179:
	s_or_b64 exec, exec, s[8:9]
	s_and_b64 s[4:5], s[4:5], exec
	s_or_saveexec_b64 s[6:7], s[6:7]
	v_mov_b32_e32 v10, s10
	s_xor_b64 exec, exec, s[6:7]
	s_cbranch_execz .LBB25_130
.LBB25_2180:
	v_mov_b32_e32 v10, 0
	v_cmp_ne_u16_sdwa s[8:9], v6, v10 src0_sel:BYTE_0 src1_sel:DWORD
	s_andn2_b64 s[4:5], s[4:5], exec
	s_and_b64 s[8:9], s[8:9], exec
	s_or_b64 s[4:5], s[4:5], s[8:9]
	s_or_b64 exec, exec, s[6:7]
	s_and_saveexec_b64 s[6:7], s[4:5]
	s_cbranch_execnz .LBB25_131
	s_branch .LBB25_132
.LBB25_2181:
	s_movk_i32 s4, 0x80
	v_cmp_eq_u16_sdwa s[12:13], v2, s4 src0_sel:BYTE_0 src1_sel:DWORD
	s_mov_b64 s[4:5], -1
                                        ; implicit-def: $sgpr10
	s_and_saveexec_b64 s[8:9], s[12:13]
; %bb.2182:
	s_mov_b32 s10, 0x7f800001
	s_xor_b64 s[4:5], exec, -1
; %bb.2183:
	s_or_b64 exec, exec, s[8:9]
	s_and_b64 s[4:5], s[4:5], exec
	s_or_saveexec_b64 s[6:7], s[6:7]
	v_mov_b32_e32 v11, s10
	s_xor_b64 exec, exec, s[6:7]
	s_cbranch_execz .LBB25_134
.LBB25_2184:
	v_mov_b32_e32 v11, 0
	v_cmp_ne_u16_sdwa s[8:9], v2, v11 src0_sel:BYTE_0 src1_sel:DWORD
	s_andn2_b64 s[4:5], s[4:5], exec
	s_and_b64 s[8:9], s[8:9], exec
	s_or_b64 s[4:5], s[4:5], s[8:9]
	s_or_b64 exec, exec, s[6:7]
	s_and_saveexec_b64 s[6:7], s[4:5]
	s_cbranch_execnz .LBB25_135
	s_branch .LBB25_136
.LBB25_2185:
	s_movk_i32 s4, 0x80
	v_cmp_eq_u16_sdwa s[12:13], v11, s4 src0_sel:BYTE_0 src1_sel:DWORD
	s_mov_b64 s[4:5], -1
                                        ; implicit-def: $sgpr10
	s_and_saveexec_b64 s[8:9], s[12:13]
; %bb.2186:
	s_mov_b32 s10, 0x7f800001
	s_xor_b64 s[4:5], exec, -1
; %bb.2187:
	s_or_b64 exec, exec, s[8:9]
	s_and_b64 s[4:5], s[4:5], exec
	s_or_saveexec_b64 s[6:7], s[6:7]
	v_mov_b32_e32 v10, s10
	s_xor_b64 exec, exec, s[6:7]
	s_cbranch_execz .LBB25_138
.LBB25_2188:
	v_mov_b32_e32 v10, 0
	v_cmp_ne_u16_sdwa s[8:9], v11, v10 src0_sel:BYTE_0 src1_sel:DWORD
	s_andn2_b64 s[4:5], s[4:5], exec
	s_and_b64 s[8:9], s[8:9], exec
	s_or_b64 s[4:5], s[4:5], s[8:9]
	s_or_b64 exec, exec, s[6:7]
	s_and_saveexec_b64 s[6:7], s[4:5]
	s_cbranch_execnz .LBB25_139
	s_branch .LBB25_140
.LBB25_2189:
	s_movk_i32 s4, 0x80
	v_cmp_eq_u16_sdwa s[12:13], v11, s4 src0_sel:BYTE_0 src1_sel:DWORD
	s_mov_b64 s[4:5], -1
                                        ; implicit-def: $sgpr10
	s_and_saveexec_b64 s[8:9], s[12:13]
; %bb.2190:
	s_mov_b32 s10, 0x7f800001
	s_xor_b64 s[4:5], exec, -1
; %bb.2191:
	s_or_b64 exec, exec, s[8:9]
	s_and_b64 s[4:5], s[4:5], exec
	s_or_saveexec_b64 s[6:7], s[6:7]
	v_mov_b32_e32 v12, s10
	s_xor_b64 exec, exec, s[6:7]
	s_cbranch_execz .LBB25_142
.LBB25_2192:
	v_mov_b32_e32 v12, 0
	v_cmp_ne_u16_sdwa s[8:9], v11, v12 src0_sel:BYTE_0 src1_sel:DWORD
	s_andn2_b64 s[4:5], s[4:5], exec
	s_and_b64 s[8:9], s[8:9], exec
	s_or_b64 s[4:5], s[4:5], s[8:9]
	s_or_b64 exec, exec, s[6:7]
	s_and_saveexec_b64 s[6:7], s[4:5]
	s_cbranch_execnz .LBB25_143
	s_branch .LBB25_144
.LBB25_2193:
	s_movk_i32 s4, 0x80
	v_cmp_eq_u16_e32 vcc, s4, v11
	s_mov_b64 s[4:5], -1
                                        ; implicit-def: $sgpr10
	s_and_saveexec_b64 s[8:9], vcc
; %bb.2194:
	s_mov_b32 s10, 0x7f800001
	s_xor_b64 s[4:5], exec, -1
; %bb.2195:
	s_or_b64 exec, exec, s[8:9]
	s_and_b64 s[4:5], s[4:5], exec
                                        ; implicit-def: $vgpr11
	s_or_saveexec_b64 s[6:7], s[6:7]
	v_mov_b32_e32 v10, s10
	s_xor_b64 exec, exec, s[6:7]
	s_cbranch_execz .LBB25_146
.LBB25_2196:
	v_cmp_ne_u16_e32 vcc, 0, v11
	s_andn2_b64 s[4:5], s[4:5], exec
	s_and_b64 s[8:9], vcc, exec
	v_mov_b32_e32 v10, 0
	s_or_b64 s[4:5], s[4:5], s[8:9]
	s_or_b64 exec, exec, s[6:7]
	s_and_saveexec_b64 s[6:7], s[4:5]
	s_cbranch_execnz .LBB25_147
	s_branch .LBB25_148
.LBB25_2197:
	s_movk_i32 s4, 0x80
	v_cmp_eq_u16_e32 vcc, s4, v11
	s_mov_b64 s[4:5], -1
                                        ; implicit-def: $sgpr10
	s_and_saveexec_b64 s[8:9], vcc
; %bb.2198:
	s_mov_b32 s10, 0x7f800001
	s_xor_b64 s[4:5], exec, -1
; %bb.2199:
	s_or_b64 exec, exec, s[8:9]
	s_and_b64 s[4:5], s[4:5], exec
                                        ; implicit-def: $vgpr11
	s_or_saveexec_b64 s[6:7], s[6:7]
	v_mov_b32_e32 v12, s10
	s_xor_b64 exec, exec, s[6:7]
	s_cbranch_execz .LBB25_150
.LBB25_2200:
	v_cmp_ne_u16_e32 vcc, 0, v11
	s_andn2_b64 s[4:5], s[4:5], exec
	s_and_b64 s[8:9], vcc, exec
	v_mov_b32_e32 v12, 0
	s_or_b64 s[4:5], s[4:5], s[8:9]
	s_or_b64 exec, exec, s[6:7]
	s_and_saveexec_b64 s[6:7], s[4:5]
	s_cbranch_execnz .LBB25_151
	s_branch .LBB25_152
.LBB25_2201:
	s_movk_i32 s4, 0x80
	v_cmp_eq_u16_sdwa s[12:13], v6, s4 src0_sel:BYTE_3 src1_sel:DWORD
	s_mov_b64 s[4:5], -1
                                        ; implicit-def: $sgpr10
	s_and_saveexec_b64 s[8:9], s[12:13]
; %bb.2202:
	s_mov_b32 s10, 0x7f800001
	s_xor_b64 s[4:5], exec, -1
; %bb.2203:
	s_or_b64 exec, exec, s[8:9]
	s_and_b64 s[4:5], s[4:5], exec
	s_or_saveexec_b64 s[6:7], s[6:7]
	v_mov_b32_e32 v10, s10
	s_xor_b64 exec, exec, s[6:7]
	s_cbranch_execz .LBB25_154
.LBB25_2204:
	v_mov_b32_e32 v10, 0
	v_cmp_ne_u16_sdwa s[8:9], v6, v10 src0_sel:BYTE_3 src1_sel:DWORD
	s_andn2_b64 s[4:5], s[4:5], exec
	s_and_b64 s[8:9], s[8:9], exec
	s_or_b64 s[4:5], s[4:5], s[8:9]
	s_or_b64 exec, exec, s[6:7]
	s_and_saveexec_b64 s[6:7], s[4:5]
	s_cbranch_execnz .LBB25_155
	s_branch .LBB25_156
.LBB25_2205:
	s_movk_i32 s4, 0x80
	v_cmp_eq_u16_sdwa s[12:13], v2, s4 src0_sel:BYTE_3 src1_sel:DWORD
	s_mov_b64 s[4:5], -1
                                        ; implicit-def: $sgpr10
	s_and_saveexec_b64 s[8:9], s[12:13]
; %bb.2206:
	s_mov_b32 s10, 0x7f800001
	s_xor_b64 s[4:5], exec, -1
; %bb.2207:
	s_or_b64 exec, exec, s[8:9]
	s_and_b64 s[4:5], s[4:5], exec
	s_or_saveexec_b64 s[6:7], s[6:7]
	v_mov_b32_e32 v6, s10
	s_xor_b64 exec, exec, s[6:7]
	s_cbranch_execz .LBB25_158
.LBB25_2208:
	v_mov_b32_e32 v6, 0
	v_cmp_ne_u16_sdwa s[8:9], v2, v6 src0_sel:BYTE_3 src1_sel:DWORD
	s_andn2_b64 s[4:5], s[4:5], exec
	s_and_b64 s[8:9], s[8:9], exec
	s_or_b64 s[4:5], s[4:5], s[8:9]
	s_or_b64 exec, exec, s[6:7]
	s_and_saveexec_b64 s[6:7], s[4:5]
	s_cbranch_execnz .LBB25_159
	s_branch .LBB25_160
.LBB25_2209:
	s_movk_i32 s4, 0x80
	v_cmp_eq_u16_sdwa s[12:13], v7, s4 src0_sel:BYTE_0 src1_sel:DWORD
	s_mov_b64 s[4:5], -1
                                        ; implicit-def: $sgpr10
	s_and_saveexec_b64 s[8:9], s[12:13]
; %bb.2210:
	s_mov_b32 s10, 0x7f800001
	s_xor_b64 s[4:5], exec, -1
; %bb.2211:
	s_or_b64 exec, exec, s[8:9]
	s_and_b64 s[4:5], s[4:5], exec
	s_or_saveexec_b64 s[6:7], s[6:7]
	v_mov_b32_e32 v2, s10
	s_xor_b64 exec, exec, s[6:7]
	s_cbranch_execz .LBB25_162
.LBB25_2212:
	v_mov_b32_e32 v2, 0
	v_cmp_ne_u16_sdwa s[8:9], v7, v2 src0_sel:BYTE_0 src1_sel:DWORD
	s_andn2_b64 s[4:5], s[4:5], exec
	s_and_b64 s[8:9], s[8:9], exec
	s_or_b64 s[4:5], s[4:5], s[8:9]
	s_or_b64 exec, exec, s[6:7]
	s_and_saveexec_b64 s[6:7], s[4:5]
	s_cbranch_execnz .LBB25_163
	s_branch .LBB25_164
.LBB25_2213:
	s_movk_i32 s4, 0x80
	v_cmp_eq_u16_sdwa s[12:13], v3, s4 src0_sel:BYTE_0 src1_sel:DWORD
	s_mov_b64 s[4:5], -1
                                        ; implicit-def: $sgpr10
	s_and_saveexec_b64 s[8:9], s[12:13]
; %bb.2214:
	s_mov_b32 s10, 0x7f800001
	s_xor_b64 s[4:5], exec, -1
; %bb.2215:
	s_or_b64 exec, exec, s[8:9]
	s_and_b64 s[4:5], s[4:5], exec
	s_or_saveexec_b64 s[6:7], s[6:7]
	v_mov_b32_e32 v6, s10
	s_xor_b64 exec, exec, s[6:7]
	s_cbranch_execz .LBB25_166
.LBB25_2216:
	v_mov_b32_e32 v6, 0
	v_cmp_ne_u16_sdwa s[8:9], v3, v6 src0_sel:BYTE_0 src1_sel:DWORD
	s_andn2_b64 s[4:5], s[4:5], exec
	s_and_b64 s[8:9], s[8:9], exec
	s_or_b64 s[4:5], s[4:5], s[8:9]
	s_or_b64 exec, exec, s[6:7]
	s_and_saveexec_b64 s[6:7], s[4:5]
	s_cbranch_execnz .LBB25_167
	s_branch .LBB25_168
.LBB25_2217:
	s_movk_i32 s4, 0x80
	v_cmp_eq_u16_sdwa s[12:13], v6, s4 src0_sel:BYTE_0 src1_sel:DWORD
	s_mov_b64 s[4:5], -1
                                        ; implicit-def: $sgpr10
	s_and_saveexec_b64 s[8:9], s[12:13]
; %bb.2218:
	s_mov_b32 s10, 0x7f800001
	s_xor_b64 s[4:5], exec, -1
; %bb.2219:
	s_or_b64 exec, exec, s[8:9]
	s_and_b64 s[4:5], s[4:5], exec
	s_or_saveexec_b64 s[6:7], s[6:7]
	v_mov_b32_e32 v2, s10
	s_xor_b64 exec, exec, s[6:7]
	s_cbranch_execz .LBB25_170
.LBB25_2220:
	v_mov_b32_e32 v2, 0
	v_cmp_ne_u16_sdwa s[8:9], v6, v2 src0_sel:BYTE_0 src1_sel:DWORD
	s_andn2_b64 s[4:5], s[4:5], exec
	s_and_b64 s[8:9], s[8:9], exec
	s_or_b64 s[4:5], s[4:5], s[8:9]
	s_or_b64 exec, exec, s[6:7]
	s_and_saveexec_b64 s[6:7], s[4:5]
	s_cbranch_execnz .LBB25_171
	s_branch .LBB25_172
.LBB25_2221:
	s_movk_i32 s4, 0x80
	v_cmp_eq_u16_sdwa s[12:13], v6, s4 src0_sel:BYTE_0 src1_sel:DWORD
	s_mov_b64 s[4:5], -1
                                        ; implicit-def: $sgpr10
	s_and_saveexec_b64 s[8:9], s[12:13]
; %bb.2222:
	s_mov_b32 s10, 0x7f800001
	s_xor_b64 s[4:5], exec, -1
; %bb.2223:
	s_or_b64 exec, exec, s[8:9]
	s_and_b64 s[4:5], s[4:5], exec
	s_or_saveexec_b64 s[6:7], s[6:7]
	v_mov_b32_e32 v10, s10
	s_xor_b64 exec, exec, s[6:7]
	s_cbranch_execz .LBB25_174
.LBB25_2224:
	v_mov_b32_e32 v10, 0
	v_cmp_ne_u16_sdwa s[8:9], v6, v10 src0_sel:BYTE_0 src1_sel:DWORD
	s_andn2_b64 s[4:5], s[4:5], exec
	s_and_b64 s[8:9], s[8:9], exec
	s_or_b64 s[4:5], s[4:5], s[8:9]
	s_or_b64 exec, exec, s[6:7]
	s_and_saveexec_b64 s[6:7], s[4:5]
	s_cbranch_execnz .LBB25_175
	s_branch .LBB25_176
.LBB25_2225:
	s_movk_i32 s4, 0x80
	v_cmp_eq_u16_e32 vcc, s4, v6
	s_mov_b64 s[4:5], -1
                                        ; implicit-def: $sgpr10
	s_and_saveexec_b64 s[8:9], vcc
; %bb.2226:
	s_mov_b32 s10, 0x7f800001
	s_xor_b64 s[4:5], exec, -1
; %bb.2227:
	s_or_b64 exec, exec, s[8:9]
	s_and_b64 s[4:5], s[4:5], exec
                                        ; implicit-def: $vgpr6
	s_or_saveexec_b64 s[6:7], s[6:7]
	v_mov_b32_e32 v2, s10
	s_xor_b64 exec, exec, s[6:7]
	s_cbranch_execz .LBB25_178
.LBB25_2228:
	v_cmp_ne_u16_e32 vcc, 0, v6
	s_andn2_b64 s[4:5], s[4:5], exec
	s_and_b64 s[8:9], vcc, exec
	v_mov_b32_e32 v2, 0
	s_or_b64 s[4:5], s[4:5], s[8:9]
	s_or_b64 exec, exec, s[6:7]
	s_and_saveexec_b64 s[6:7], s[4:5]
	s_cbranch_execnz .LBB25_179
	s_branch .LBB25_180
.LBB25_2229:
	s_movk_i32 s4, 0x80
	v_cmp_eq_u16_e32 vcc, s4, v6
	s_mov_b64 s[4:5], -1
                                        ; implicit-def: $sgpr10
	s_and_saveexec_b64 s[8:9], vcc
; %bb.2230:
	s_mov_b32 s10, 0x7f800001
	s_xor_b64 s[4:5], exec, -1
; %bb.2231:
	s_or_b64 exec, exec, s[8:9]
	s_and_b64 s[4:5], s[4:5], exec
                                        ; implicit-def: $vgpr6
	s_or_saveexec_b64 s[6:7], s[6:7]
	v_mov_b32_e32 v10, s10
	s_xor_b64 exec, exec, s[6:7]
	s_cbranch_execz .LBB25_182
.LBB25_2232:
	v_cmp_ne_u16_e32 vcc, 0, v6
	s_andn2_b64 s[4:5], s[4:5], exec
	s_and_b64 s[8:9], vcc, exec
	v_mov_b32_e32 v10, 0
	s_or_b64 s[4:5], s[4:5], s[8:9]
	s_or_b64 exec, exec, s[6:7]
	s_and_saveexec_b64 s[6:7], s[4:5]
	s_cbranch_execnz .LBB25_183
	s_branch .LBB25_184
.LBB25_2233:
	s_movk_i32 s4, 0x80
	v_cmp_eq_u16_sdwa s[12:13], v7, s4 src0_sel:BYTE_3 src1_sel:DWORD
	s_mov_b64 s[4:5], -1
                                        ; implicit-def: $sgpr10
	s_and_saveexec_b64 s[8:9], s[12:13]
; %bb.2234:
	s_mov_b32 s10, 0x7f800001
	s_xor_b64 s[4:5], exec, -1
; %bb.2235:
	s_or_b64 exec, exec, s[8:9]
	s_and_b64 s[4:5], s[4:5], exec
	s_or_saveexec_b64 s[6:7], s[6:7]
	v_mov_b32_e32 v2, s10
	s_xor_b64 exec, exec, s[6:7]
	s_cbranch_execz .LBB25_186
.LBB25_2236:
	v_mov_b32_e32 v2, 0
	v_cmp_ne_u16_sdwa s[8:9], v7, v2 src0_sel:BYTE_3 src1_sel:DWORD
	s_andn2_b64 s[4:5], s[4:5], exec
	s_and_b64 s[8:9], s[8:9], exec
	s_or_b64 s[4:5], s[4:5], s[8:9]
	s_or_b64 exec, exec, s[6:7]
	s_and_saveexec_b64 s[6:7], s[4:5]
	s_cbranch_execnz .LBB25_187
	s_branch .LBB25_188
.LBB25_2237:
	s_movk_i32 s4, 0x80
	v_cmp_eq_u16_sdwa s[12:13], v3, s4 src0_sel:BYTE_3 src1_sel:DWORD
	s_mov_b64 s[4:5], -1
                                        ; implicit-def: $sgpr10
	s_and_saveexec_b64 s[8:9], s[12:13]
; %bb.2238:
	s_mov_b32 s10, 0x7f800001
	s_xor_b64 s[4:5], exec, -1
; %bb.2239:
	s_or_b64 exec, exec, s[8:9]
	s_and_b64 s[4:5], s[4:5], exec
	s_or_saveexec_b64 s[6:7], s[6:7]
	v_mov_b32_e32 v6, s10
	s_xor_b64 exec, exec, s[6:7]
	s_cbranch_execz .LBB25_190
.LBB25_2240:
	v_mov_b32_e32 v6, 0
	v_cmp_ne_u16_sdwa s[8:9], v3, v6 src0_sel:BYTE_3 src1_sel:DWORD
	s_andn2_b64 s[4:5], s[4:5], exec
	s_and_b64 s[8:9], s[8:9], exec
	s_or_b64 s[4:5], s[4:5], s[8:9]
	s_or_b64 exec, exec, s[6:7]
	s_and_saveexec_b64 s[6:7], s[4:5]
	s_cbranch_execnz .LBB25_191
	s_branch .LBB25_192
.LBB25_2241:
	s_movk_i32 s4, 0x80
	v_cmp_eq_u16_sdwa s[12:13], v8, s4 src0_sel:BYTE_0 src1_sel:DWORD
	s_mov_b64 s[4:5], -1
                                        ; implicit-def: $sgpr10
	s_and_saveexec_b64 s[8:9], s[12:13]
; %bb.2242:
	s_mov_b32 s10, 0x7f800001
	s_xor_b64 s[4:5], exec, -1
; %bb.2243:
	s_or_b64 exec, exec, s[8:9]
	s_and_b64 s[4:5], s[4:5], exec
	s_or_saveexec_b64 s[6:7], s[6:7]
	v_mov_b32_e32 v2, s10
	s_xor_b64 exec, exec, s[6:7]
	s_cbranch_execz .LBB25_194
.LBB25_2244:
	v_mov_b32_e32 v2, 0
	v_cmp_ne_u16_sdwa s[8:9], v8, v2 src0_sel:BYTE_0 src1_sel:DWORD
	s_andn2_b64 s[4:5], s[4:5], exec
	s_and_b64 s[8:9], s[8:9], exec
	s_or_b64 s[4:5], s[4:5], s[8:9]
	s_or_b64 exec, exec, s[6:7]
	s_and_saveexec_b64 s[6:7], s[4:5]
	s_cbranch_execnz .LBB25_195
	s_branch .LBB25_196
.LBB25_2245:
	s_movk_i32 s4, 0x80
	v_cmp_eq_u16_sdwa s[12:13], v4, s4 src0_sel:BYTE_0 src1_sel:DWORD
	s_mov_b64 s[4:5], -1
                                        ; implicit-def: $sgpr10
	s_and_saveexec_b64 s[8:9], s[12:13]
; %bb.2246:
	s_mov_b32 s10, 0x7f800001
	s_xor_b64 s[4:5], exec, -1
; %bb.2247:
	s_or_b64 exec, exec, s[8:9]
	s_and_b64 s[4:5], s[4:5], exec
	s_or_saveexec_b64 s[6:7], s[6:7]
	v_mov_b32_e32 v3, s10
	s_xor_b64 exec, exec, s[6:7]
	s_cbranch_execz .LBB25_198
.LBB25_2248:
	v_mov_b32_e32 v3, 0
	v_cmp_ne_u16_sdwa s[8:9], v4, v3 src0_sel:BYTE_0 src1_sel:DWORD
	s_andn2_b64 s[4:5], s[4:5], exec
	s_and_b64 s[8:9], s[8:9], exec
	s_or_b64 s[4:5], s[4:5], s[8:9]
	s_or_b64 exec, exec, s[6:7]
	s_and_saveexec_b64 s[6:7], s[4:5]
	s_cbranch_execnz .LBB25_199
	s_branch .LBB25_200
.LBB25_2249:
	s_movk_i32 s4, 0x80
	v_cmp_eq_u16_sdwa s[12:13], v3, s4 src0_sel:BYTE_0 src1_sel:DWORD
	s_mov_b64 s[4:5], -1
                                        ; implicit-def: $sgpr10
	s_and_saveexec_b64 s[8:9], s[12:13]
; %bb.2250:
	s_mov_b32 s10, 0x7f800001
	s_xor_b64 s[4:5], exec, -1
; %bb.2251:
	s_or_b64 exec, exec, s[8:9]
	s_and_b64 s[4:5], s[4:5], exec
	s_or_saveexec_b64 s[6:7], s[6:7]
	v_mov_b32_e32 v2, s10
	s_xor_b64 exec, exec, s[6:7]
	s_cbranch_execz .LBB25_202
.LBB25_2252:
	v_mov_b32_e32 v2, 0
	v_cmp_ne_u16_sdwa s[8:9], v3, v2 src0_sel:BYTE_0 src1_sel:DWORD
	s_andn2_b64 s[4:5], s[4:5], exec
	s_and_b64 s[8:9], s[8:9], exec
	s_or_b64 s[4:5], s[4:5], s[8:9]
	s_or_b64 exec, exec, s[6:7]
	s_and_saveexec_b64 s[6:7], s[4:5]
	s_cbranch_execnz .LBB25_203
	s_branch .LBB25_204
.LBB25_2253:
	s_movk_i32 s4, 0x80
	v_cmp_eq_u16_sdwa s[12:13], v3, s4 src0_sel:BYTE_0 src1_sel:DWORD
	s_mov_b64 s[4:5], -1
                                        ; implicit-def: $sgpr10
	s_and_saveexec_b64 s[8:9], s[12:13]
; %bb.2254:
	s_mov_b32 s10, 0x7f800001
	s_xor_b64 s[4:5], exec, -1
; %bb.2255:
	s_or_b64 exec, exec, s[8:9]
	s_and_b64 s[4:5], s[4:5], exec
	s_or_saveexec_b64 s[6:7], s[6:7]
	v_mov_b32_e32 v6, s10
	s_xor_b64 exec, exec, s[6:7]
	s_cbranch_execz .LBB25_206
.LBB25_2256:
	v_mov_b32_e32 v6, 0
	v_cmp_ne_u16_sdwa s[8:9], v3, v6 src0_sel:BYTE_0 src1_sel:DWORD
	s_andn2_b64 s[4:5], s[4:5], exec
	s_and_b64 s[8:9], s[8:9], exec
	s_or_b64 s[4:5], s[4:5], s[8:9]
	s_or_b64 exec, exec, s[6:7]
	s_and_saveexec_b64 s[6:7], s[4:5]
	s_cbranch_execnz .LBB25_207
	s_branch .LBB25_208
.LBB25_2257:
	s_movk_i32 s4, 0x80
	v_cmp_eq_u16_e32 vcc, s4, v3
	s_mov_b64 s[4:5], -1
                                        ; implicit-def: $sgpr10
	s_and_saveexec_b64 s[8:9], vcc
; %bb.2258:
	s_mov_b32 s10, 0x7f800001
	s_xor_b64 s[4:5], exec, -1
; %bb.2259:
	s_or_b64 exec, exec, s[8:9]
	s_and_b64 s[4:5], s[4:5], exec
                                        ; implicit-def: $vgpr3
	s_or_saveexec_b64 s[6:7], s[6:7]
	v_mov_b32_e32 v2, s10
	s_xor_b64 exec, exec, s[6:7]
	s_cbranch_execz .LBB25_210
.LBB25_2260:
	v_cmp_ne_u16_e32 vcc, 0, v3
	s_andn2_b64 s[4:5], s[4:5], exec
	s_and_b64 s[8:9], vcc, exec
	v_mov_b32_e32 v2, 0
	s_or_b64 s[4:5], s[4:5], s[8:9]
	s_or_b64 exec, exec, s[6:7]
	s_and_saveexec_b64 s[6:7], s[4:5]
	s_cbranch_execnz .LBB25_211
	s_branch .LBB25_212
.LBB25_2261:
	s_movk_i32 s4, 0x80
	v_cmp_eq_u16_e32 vcc, s4, v3
	s_mov_b64 s[4:5], -1
                                        ; implicit-def: $sgpr10
	s_and_saveexec_b64 s[8:9], vcc
; %bb.2262:
	s_mov_b32 s10, 0x7f800001
	s_xor_b64 s[4:5], exec, -1
; %bb.2263:
	s_or_b64 exec, exec, s[8:9]
	s_and_b64 s[4:5], s[4:5], exec
                                        ; implicit-def: $vgpr3
	s_or_saveexec_b64 s[6:7], s[6:7]
	v_mov_b32_e32 v6, s10
	s_xor_b64 exec, exec, s[6:7]
	s_cbranch_execz .LBB25_214
.LBB25_2264:
	v_cmp_ne_u16_e32 vcc, 0, v3
	s_andn2_b64 s[4:5], s[4:5], exec
	s_and_b64 s[8:9], vcc, exec
	v_mov_b32_e32 v6, 0
	s_or_b64 s[4:5], s[4:5], s[8:9]
	s_or_b64 exec, exec, s[6:7]
	s_and_saveexec_b64 s[6:7], s[4:5]
	s_cbranch_execnz .LBB25_215
	s_branch .LBB25_216
.LBB25_2265:
	s_movk_i32 s4, 0x80
	v_cmp_eq_u16_sdwa s[12:13], v8, s4 src0_sel:BYTE_3 src1_sel:DWORD
	s_mov_b64 s[4:5], -1
                                        ; implicit-def: $sgpr10
	s_and_saveexec_b64 s[8:9], s[12:13]
; %bb.2266:
	s_mov_b32 s10, 0x7f800001
	s_xor_b64 s[4:5], exec, -1
; %bb.2267:
	s_or_b64 exec, exec, s[8:9]
	s_and_b64 s[4:5], s[4:5], exec
	s_or_saveexec_b64 s[6:7], s[6:7]
	v_mov_b32_e32 v2, s10
	s_xor_b64 exec, exec, s[6:7]
	s_cbranch_execz .LBB25_218
.LBB25_2268:
	v_mov_b32_e32 v2, 0
	v_cmp_ne_u16_sdwa s[8:9], v8, v2 src0_sel:BYTE_3 src1_sel:DWORD
	s_andn2_b64 s[4:5], s[4:5], exec
	s_and_b64 s[8:9], s[8:9], exec
	s_or_b64 s[4:5], s[4:5], s[8:9]
	s_or_b64 exec, exec, s[6:7]
	s_and_saveexec_b64 s[6:7], s[4:5]
	s_cbranch_execnz .LBB25_219
	s_branch .LBB25_220
.LBB25_2269:
	s_movk_i32 s4, 0x80
	v_cmp_eq_u16_sdwa s[12:13], v4, s4 src0_sel:BYTE_3 src1_sel:DWORD
	s_mov_b64 s[4:5], -1
                                        ; implicit-def: $sgpr10
	s_and_saveexec_b64 s[8:9], s[12:13]
; %bb.2270:
	s_mov_b32 s10, 0x7f800001
	s_xor_b64 s[4:5], exec, -1
; %bb.2271:
	s_or_b64 exec, exec, s[8:9]
	s_and_b64 s[4:5], s[4:5], exec
	s_or_saveexec_b64 s[6:7], s[6:7]
	v_mov_b32_e32 v3, s10
	s_xor_b64 exec, exec, s[6:7]
	s_cbranch_execz .LBB25_222
.LBB25_2272:
	v_mov_b32_e32 v3, 0
	v_cmp_ne_u16_sdwa s[8:9], v4, v3 src0_sel:BYTE_3 src1_sel:DWORD
	s_andn2_b64 s[4:5], s[4:5], exec
	s_and_b64 s[8:9], s[8:9], exec
	s_or_b64 s[4:5], s[4:5], s[8:9]
	s_or_b64 exec, exec, s[6:7]
	s_and_saveexec_b64 s[6:7], s[4:5]
	s_cbranch_execnz .LBB25_223
	s_branch .LBB25_224
.LBB25_2273:
	s_movk_i32 s4, 0x80
	v_cmp_eq_u16_sdwa s[12:13], v9, s4 src0_sel:BYTE_0 src1_sel:DWORD
	s_mov_b64 s[4:5], -1
                                        ; implicit-def: $sgpr10
	s_and_saveexec_b64 s[8:9], s[12:13]
; %bb.2274:
	s_mov_b32 s10, 0x7f800001
	s_xor_b64 s[4:5], exec, -1
; %bb.2275:
	s_or_b64 exec, exec, s[8:9]
	s_and_b64 s[4:5], s[4:5], exec
	s_or_saveexec_b64 s[6:7], s[6:7]
	v_mov_b32_e32 v2, s10
	s_xor_b64 exec, exec, s[6:7]
	s_cbranch_execz .LBB25_226
.LBB25_2276:
	v_mov_b32_e32 v2, 0
	v_cmp_ne_u16_sdwa s[8:9], v9, v2 src0_sel:BYTE_0 src1_sel:DWORD
	s_andn2_b64 s[4:5], s[4:5], exec
	s_and_b64 s[8:9], s[8:9], exec
	s_or_b64 s[4:5], s[4:5], s[8:9]
	s_or_b64 exec, exec, s[6:7]
	s_and_saveexec_b64 s[6:7], s[4:5]
	s_cbranch_execnz .LBB25_227
	s_branch .LBB25_228
.LBB25_2277:
	s_movk_i32 s4, 0x80
	v_cmp_eq_u16_sdwa s[12:13], v5, s4 src0_sel:BYTE_0 src1_sel:DWORD
	s_mov_b64 s[4:5], -1
                                        ; implicit-def: $sgpr10
	s_and_saveexec_b64 s[8:9], s[12:13]
; %bb.2278:
	s_mov_b32 s10, 0x7f800001
	s_xor_b64 s[4:5], exec, -1
; %bb.2279:
	s_or_b64 exec, exec, s[8:9]
	s_and_b64 s[4:5], s[4:5], exec
	s_or_saveexec_b64 s[6:7], s[6:7]
	v_mov_b32_e32 v3, s10
	s_xor_b64 exec, exec, s[6:7]
	s_cbranch_execz .LBB25_230
.LBB25_2280:
	v_mov_b32_e32 v3, 0
	v_cmp_ne_u16_sdwa s[8:9], v5, v3 src0_sel:BYTE_0 src1_sel:DWORD
	s_andn2_b64 s[4:5], s[4:5], exec
	s_and_b64 s[8:9], s[8:9], exec
	s_or_b64 s[4:5], s[4:5], s[8:9]
	s_or_b64 exec, exec, s[6:7]
	s_and_saveexec_b64 s[6:7], s[4:5]
	s_cbranch_execnz .LBB25_231
	s_branch .LBB25_232
.LBB25_2281:
	s_movk_i32 s4, 0x80
	v_cmp_eq_u16_sdwa s[12:13], v3, s4 src0_sel:BYTE_0 src1_sel:DWORD
	s_mov_b64 s[4:5], -1
                                        ; implicit-def: $sgpr10
	s_and_saveexec_b64 s[8:9], s[12:13]
; %bb.2282:
	s_mov_b32 s10, 0x7f800001
	s_xor_b64 s[4:5], exec, -1
; %bb.2283:
	s_or_b64 exec, exec, s[8:9]
	s_and_b64 s[4:5], s[4:5], exec
	s_or_saveexec_b64 s[6:7], s[6:7]
	v_mov_b32_e32 v2, s10
	s_xor_b64 exec, exec, s[6:7]
	s_cbranch_execz .LBB25_234
.LBB25_2284:
	v_mov_b32_e32 v2, 0
	v_cmp_ne_u16_sdwa s[8:9], v3, v2 src0_sel:BYTE_0 src1_sel:DWORD
	s_andn2_b64 s[4:5], s[4:5], exec
	s_and_b64 s[8:9], s[8:9], exec
	s_or_b64 s[4:5], s[4:5], s[8:9]
	s_or_b64 exec, exec, s[6:7]
	s_and_saveexec_b64 s[6:7], s[4:5]
	s_cbranch_execnz .LBB25_235
	s_branch .LBB25_236
.LBB25_2285:
	s_movk_i32 s4, 0x80
	v_cmp_eq_u16_sdwa s[12:13], v3, s4 src0_sel:BYTE_0 src1_sel:DWORD
	s_mov_b64 s[4:5], -1
                                        ; implicit-def: $sgpr10
	s_and_saveexec_b64 s[8:9], s[12:13]
; %bb.2286:
	s_mov_b32 s10, 0x7f800001
	s_xor_b64 s[4:5], exec, -1
; %bb.2287:
	s_or_b64 exec, exec, s[8:9]
	s_and_b64 s[4:5], s[4:5], exec
	s_or_saveexec_b64 s[6:7], s[6:7]
	v_mov_b32_e32 v4, s10
	s_xor_b64 exec, exec, s[6:7]
	s_cbranch_execz .LBB25_238
.LBB25_2288:
	v_mov_b32_e32 v4, 0
	v_cmp_ne_u16_sdwa s[8:9], v3, v4 src0_sel:BYTE_0 src1_sel:DWORD
	s_andn2_b64 s[4:5], s[4:5], exec
	s_and_b64 s[8:9], s[8:9], exec
	s_or_b64 s[4:5], s[4:5], s[8:9]
	s_or_b64 exec, exec, s[6:7]
	s_and_saveexec_b64 s[6:7], s[4:5]
	s_cbranch_execnz .LBB25_239
	s_branch .LBB25_240
.LBB25_2289:
	s_movk_i32 s4, 0x80
	v_cmp_eq_u16_e32 vcc, s4, v3
	s_mov_b64 s[4:5], -1
                                        ; implicit-def: $sgpr10
	s_and_saveexec_b64 s[8:9], vcc
; %bb.2290:
	s_mov_b32 s10, 0x7f800001
	s_xor_b64 s[4:5], exec, -1
; %bb.2291:
	s_or_b64 exec, exec, s[8:9]
	s_and_b64 s[4:5], s[4:5], exec
                                        ; implicit-def: $vgpr3
	s_or_saveexec_b64 s[6:7], s[6:7]
	v_mov_b32_e32 v2, s10
	s_xor_b64 exec, exec, s[6:7]
	s_cbranch_execz .LBB25_242
.LBB25_2292:
	v_cmp_ne_u16_e32 vcc, 0, v3
	s_andn2_b64 s[4:5], s[4:5], exec
	s_and_b64 s[8:9], vcc, exec
	v_mov_b32_e32 v2, 0
	s_or_b64 s[4:5], s[4:5], s[8:9]
	s_or_b64 exec, exec, s[6:7]
	s_and_saveexec_b64 s[6:7], s[4:5]
	s_cbranch_execnz .LBB25_243
	s_branch .LBB25_244
.LBB25_2293:
	s_movk_i32 s4, 0x80
	v_cmp_eq_u16_e32 vcc, s4, v3
	s_mov_b64 s[4:5], -1
                                        ; implicit-def: $sgpr10
	s_and_saveexec_b64 s[8:9], vcc
; %bb.2294:
	s_mov_b32 s10, 0x7f800001
	s_xor_b64 s[4:5], exec, -1
; %bb.2295:
	s_or_b64 exec, exec, s[8:9]
	s_and_b64 s[4:5], s[4:5], exec
                                        ; implicit-def: $vgpr3
	s_or_saveexec_b64 s[6:7], s[6:7]
	v_mov_b32_e32 v4, s10
	s_xor_b64 exec, exec, s[6:7]
	s_cbranch_execz .LBB25_246
.LBB25_2296:
	v_cmp_ne_u16_e32 vcc, 0, v3
	s_andn2_b64 s[4:5], s[4:5], exec
	s_and_b64 s[8:9], vcc, exec
	v_mov_b32_e32 v4, 0
	s_or_b64 s[4:5], s[4:5], s[8:9]
	s_or_b64 exec, exec, s[6:7]
	s_and_saveexec_b64 s[6:7], s[4:5]
	s_cbranch_execnz .LBB25_247
	s_branch .LBB25_248
.LBB25_2297:
	s_movk_i32 s4, 0x80
	v_cmp_eq_u16_sdwa s[12:13], v9, s4 src0_sel:BYTE_3 src1_sel:DWORD
	s_mov_b64 s[4:5], -1
                                        ; implicit-def: $sgpr10
	s_and_saveexec_b64 s[8:9], s[12:13]
; %bb.2298:
	s_mov_b32 s10, 0x7f800001
	s_xor_b64 s[4:5], exec, -1
; %bb.2299:
	s_or_b64 exec, exec, s[8:9]
	s_and_b64 s[4:5], s[4:5], exec
	s_or_saveexec_b64 s[6:7], s[6:7]
	v_mov_b32_e32 v2, s10
	s_xor_b64 exec, exec, s[6:7]
	s_cbranch_execz .LBB25_250
.LBB25_2300:
	v_mov_b32_e32 v2, 0
	v_cmp_ne_u16_sdwa s[8:9], v9, v2 src0_sel:BYTE_3 src1_sel:DWORD
	s_andn2_b64 s[4:5], s[4:5], exec
	s_and_b64 s[8:9], s[8:9], exec
	s_or_b64 s[4:5], s[4:5], s[8:9]
	s_or_b64 exec, exec, s[6:7]
	s_and_saveexec_b64 s[6:7], s[4:5]
	s_cbranch_execnz .LBB25_251
	s_branch .LBB25_252
.LBB25_2301:
	s_movk_i32 s4, 0x80
	v_cmp_eq_u16_sdwa s[12:13], v5, s4 src0_sel:BYTE_3 src1_sel:DWORD
	s_mov_b64 s[4:5], -1
                                        ; implicit-def: $sgpr10
	s_and_saveexec_b64 s[8:9], s[12:13]
; %bb.2302:
	s_mov_b32 s10, 0x7f800001
	s_xor_b64 s[4:5], exec, -1
; %bb.2303:
	s_or_b64 exec, exec, s[8:9]
	s_and_b64 s[4:5], s[4:5], exec
	s_or_saveexec_b64 s[6:7], s[6:7]
	v_mov_b32_e32 v3, s10
	s_xor_b64 exec, exec, s[6:7]
	s_cbranch_execz .LBB25_254
.LBB25_2304:
	v_mov_b32_e32 v3, 0
	v_cmp_ne_u16_sdwa s[8:9], v5, v3 src0_sel:BYTE_3 src1_sel:DWORD
	s_andn2_b64 s[4:5], s[4:5], exec
	s_and_b64 s[8:9], s[8:9], exec
	s_or_b64 s[4:5], s[4:5], s[8:9]
	s_or_b64 exec, exec, s[6:7]
	s_and_saveexec_b64 s[6:7], s[4:5]
	s_cbranch_execnz .LBB25_255
	s_branch .LBB25_256
.LBB25_2305:
	s_movk_i32 s4, 0x80
	v_cmp_eq_u16_sdwa s[12:13], v14, s4 src0_sel:BYTE_0 src1_sel:DWORD
	s_mov_b64 s[4:5], -1
                                        ; implicit-def: $sgpr10
	s_and_saveexec_b64 s[8:9], s[12:13]
; %bb.2306:
	s_mov_b32 s10, 0x7f800001
	s_xor_b64 s[4:5], exec, -1
; %bb.2307:
	s_or_b64 exec, exec, s[8:9]
	s_and_b64 s[4:5], s[4:5], exec
	s_or_saveexec_b64 s[6:7], s[6:7]
	v_mov_b32_e32 v20, s10
	s_xor_b64 exec, exec, s[6:7]
	s_cbranch_execz .LBB25_258
.LBB25_2308:
	v_mov_b32_e32 v20, 0
	v_cmp_ne_u16_sdwa s[8:9], v14, v20 src0_sel:BYTE_0 src1_sel:DWORD
	s_andn2_b64 s[4:5], s[4:5], exec
	s_and_b64 s[8:9], s[8:9], exec
	s_or_b64 s[4:5], s[4:5], s[8:9]
	s_or_b64 exec, exec, s[6:7]
	s_and_saveexec_b64 s[6:7], s[4:5]
	s_cbranch_execnz .LBB25_259
	s_branch .LBB25_260
.LBB25_2309:
	s_movk_i32 s4, 0x80
	v_cmp_eq_u16_sdwa s[12:13], v10, s4 src0_sel:BYTE_0 src1_sel:DWORD
	s_mov_b64 s[4:5], -1
                                        ; implicit-def: $sgpr10
	s_and_saveexec_b64 s[8:9], s[12:13]
; %bb.2310:
	s_mov_b32 s10, 0x7f800001
	s_xor_b64 s[4:5], exec, -1
; %bb.2311:
	s_or_b64 exec, exec, s[8:9]
	s_and_b64 s[4:5], s[4:5], exec
	s_or_saveexec_b64 s[6:7], s[6:7]
	v_mov_b32_e32 v21, s10
	s_xor_b64 exec, exec, s[6:7]
	s_cbranch_execz .LBB25_262
.LBB25_2312:
	v_mov_b32_e32 v21, 0
	v_cmp_ne_u16_sdwa s[8:9], v10, v21 src0_sel:BYTE_0 src1_sel:DWORD
	s_andn2_b64 s[4:5], s[4:5], exec
	s_and_b64 s[8:9], s[8:9], exec
	s_or_b64 s[4:5], s[4:5], s[8:9]
	s_or_b64 exec, exec, s[6:7]
	s_and_saveexec_b64 s[6:7], s[4:5]
	s_cbranch_execnz .LBB25_263
	s_branch .LBB25_264
.LBB25_2313:
	s_movk_i32 s4, 0x80
	v_cmp_eq_u16_sdwa s[12:13], v21, s4 src0_sel:BYTE_0 src1_sel:DWORD
	s_mov_b64 s[4:5], -1
                                        ; implicit-def: $sgpr10
	s_and_saveexec_b64 s[8:9], s[12:13]
; %bb.2314:
	s_mov_b32 s10, 0x7f800001
	s_xor_b64 s[4:5], exec, -1
; %bb.2315:
	s_or_b64 exec, exec, s[8:9]
	s_and_b64 s[4:5], s[4:5], exec
	s_or_saveexec_b64 s[6:7], s[6:7]
	v_mov_b32_e32 v20, s10
	s_xor_b64 exec, exec, s[6:7]
	s_cbranch_execz .LBB25_266
.LBB25_2316:
	v_mov_b32_e32 v20, 0
	v_cmp_ne_u16_sdwa s[8:9], v21, v20 src0_sel:BYTE_0 src1_sel:DWORD
	s_andn2_b64 s[4:5], s[4:5], exec
	s_and_b64 s[8:9], s[8:9], exec
	s_or_b64 s[4:5], s[4:5], s[8:9]
	s_or_b64 exec, exec, s[6:7]
	s_and_saveexec_b64 s[6:7], s[4:5]
	s_cbranch_execnz .LBB25_267
	s_branch .LBB25_268
.LBB25_2317:
	s_movk_i32 s4, 0x80
	v_cmp_eq_u16_sdwa s[12:13], v21, s4 src0_sel:BYTE_0 src1_sel:DWORD
	s_mov_b64 s[4:5], -1
                                        ; implicit-def: $sgpr10
	s_and_saveexec_b64 s[8:9], s[12:13]
; %bb.2318:
	s_mov_b32 s10, 0x7f800001
	s_xor_b64 s[4:5], exec, -1
; %bb.2319:
	s_or_b64 exec, exec, s[8:9]
	s_and_b64 s[4:5], s[4:5], exec
	s_or_saveexec_b64 s[6:7], s[6:7]
	v_mov_b32_e32 v22, s10
	s_xor_b64 exec, exec, s[6:7]
	s_cbranch_execz .LBB25_270
.LBB25_2320:
	v_mov_b32_e32 v22, 0
	v_cmp_ne_u16_sdwa s[8:9], v21, v22 src0_sel:BYTE_0 src1_sel:DWORD
	s_andn2_b64 s[4:5], s[4:5], exec
	s_and_b64 s[8:9], s[8:9], exec
	s_or_b64 s[4:5], s[4:5], s[8:9]
	s_or_b64 exec, exec, s[6:7]
	s_and_saveexec_b64 s[6:7], s[4:5]
	s_cbranch_execnz .LBB25_271
	s_branch .LBB25_272
.LBB25_2321:
	s_movk_i32 s4, 0x80
	v_cmp_eq_u16_e32 vcc, s4, v21
	s_mov_b64 s[4:5], -1
                                        ; implicit-def: $sgpr10
	s_and_saveexec_b64 s[8:9], vcc
; %bb.2322:
	s_mov_b32 s10, 0x7f800001
	s_xor_b64 s[4:5], exec, -1
; %bb.2323:
	s_or_b64 exec, exec, s[8:9]
	s_and_b64 s[4:5], s[4:5], exec
                                        ; implicit-def: $vgpr21
	s_or_saveexec_b64 s[6:7], s[6:7]
	v_mov_b32_e32 v20, s10
	s_xor_b64 exec, exec, s[6:7]
	s_cbranch_execz .LBB25_274
.LBB25_2324:
	v_cmp_ne_u16_e32 vcc, 0, v21
	s_andn2_b64 s[4:5], s[4:5], exec
	s_and_b64 s[8:9], vcc, exec
	v_mov_b32_e32 v20, 0
	s_or_b64 s[4:5], s[4:5], s[8:9]
	s_or_b64 exec, exec, s[6:7]
	s_and_saveexec_b64 s[6:7], s[4:5]
	s_cbranch_execnz .LBB25_275
	s_branch .LBB25_276
.LBB25_2325:
	s_movk_i32 s4, 0x80
	v_cmp_eq_u16_e32 vcc, s4, v21
	s_mov_b64 s[4:5], -1
                                        ; implicit-def: $sgpr10
	s_and_saveexec_b64 s[8:9], vcc
; %bb.2326:
	s_mov_b32 s10, 0x7f800001
	s_xor_b64 s[4:5], exec, -1
; %bb.2327:
	s_or_b64 exec, exec, s[8:9]
	s_and_b64 s[4:5], s[4:5], exec
                                        ; implicit-def: $vgpr21
	s_or_saveexec_b64 s[6:7], s[6:7]
	v_mov_b32_e32 v22, s10
	s_xor_b64 exec, exec, s[6:7]
	s_cbranch_execz .LBB25_278
.LBB25_2328:
	v_cmp_ne_u16_e32 vcc, 0, v21
	s_andn2_b64 s[4:5], s[4:5], exec
	s_and_b64 s[8:9], vcc, exec
	v_mov_b32_e32 v22, 0
	s_or_b64 s[4:5], s[4:5], s[8:9]
	s_or_b64 exec, exec, s[6:7]
	s_and_saveexec_b64 s[6:7], s[4:5]
	s_cbranch_execnz .LBB25_279
	s_branch .LBB25_280
.LBB25_2329:
	s_movk_i32 s4, 0x80
	v_cmp_eq_u16_sdwa s[12:13], v14, s4 src0_sel:BYTE_3 src1_sel:DWORD
	s_mov_b64 s[4:5], -1
                                        ; implicit-def: $sgpr10
	s_and_saveexec_b64 s[8:9], s[12:13]
; %bb.2330:
	s_mov_b32 s10, 0x7f800001
	s_xor_b64 s[4:5], exec, -1
; %bb.2331:
	s_or_b64 exec, exec, s[8:9]
	s_and_b64 s[4:5], s[4:5], exec
	s_or_saveexec_b64 s[6:7], s[6:7]
	v_mov_b32_e32 v20, s10
	s_xor_b64 exec, exec, s[6:7]
	s_cbranch_execz .LBB25_282
.LBB25_2332:
	v_mov_b32_e32 v20, 0
	v_cmp_ne_u16_sdwa s[8:9], v14, v20 src0_sel:BYTE_3 src1_sel:DWORD
	s_andn2_b64 s[4:5], s[4:5], exec
	s_and_b64 s[8:9], s[8:9], exec
	s_or_b64 s[4:5], s[4:5], s[8:9]
	s_or_b64 exec, exec, s[6:7]
	s_and_saveexec_b64 s[6:7], s[4:5]
	s_cbranch_execnz .LBB25_283
	s_branch .LBB25_284
.LBB25_2333:
	s_movk_i32 s4, 0x80
	v_cmp_eq_u16_sdwa s[12:13], v10, s4 src0_sel:BYTE_3 src1_sel:DWORD
	s_mov_b64 s[4:5], -1
                                        ; implicit-def: $sgpr10
	s_and_saveexec_b64 s[8:9], s[12:13]
; %bb.2334:
	s_mov_b32 s10, 0x7f800001
	s_xor_b64 s[4:5], exec, -1
; %bb.2335:
	s_or_b64 exec, exec, s[8:9]
	s_and_b64 s[4:5], s[4:5], exec
	s_or_saveexec_b64 s[6:7], s[6:7]
	v_mov_b32_e32 v14, s10
	s_xor_b64 exec, exec, s[6:7]
	s_cbranch_execz .LBB25_286
.LBB25_2336:
	v_mov_b32_e32 v14, 0
	v_cmp_ne_u16_sdwa s[8:9], v10, v14 src0_sel:BYTE_3 src1_sel:DWORD
	s_andn2_b64 s[4:5], s[4:5], exec
	s_and_b64 s[8:9], s[8:9], exec
	s_or_b64 s[4:5], s[4:5], s[8:9]
	s_or_b64 exec, exec, s[6:7]
	s_and_saveexec_b64 s[6:7], s[4:5]
	s_cbranch_execnz .LBB25_287
	s_branch .LBB25_288
.LBB25_2337:
	s_movk_i32 s4, 0x80
	v_cmp_eq_u16_sdwa s[12:13], v15, s4 src0_sel:BYTE_0 src1_sel:DWORD
	s_mov_b64 s[4:5], -1
                                        ; implicit-def: $sgpr10
	s_and_saveexec_b64 s[8:9], s[12:13]
; %bb.2338:
	s_mov_b32 s10, 0x7f800001
	s_xor_b64 s[4:5], exec, -1
; %bb.2339:
	s_or_b64 exec, exec, s[8:9]
	s_and_b64 s[4:5], s[4:5], exec
	s_or_saveexec_b64 s[6:7], s[6:7]
	v_mov_b32_e32 v10, s10
	s_xor_b64 exec, exec, s[6:7]
	s_cbranch_execz .LBB25_290
.LBB25_2340:
	v_mov_b32_e32 v10, 0
	v_cmp_ne_u16_sdwa s[8:9], v15, v10 src0_sel:BYTE_0 src1_sel:DWORD
	s_andn2_b64 s[4:5], s[4:5], exec
	s_and_b64 s[8:9], s[8:9], exec
	s_or_b64 s[4:5], s[4:5], s[8:9]
	s_or_b64 exec, exec, s[6:7]
	s_and_saveexec_b64 s[6:7], s[4:5]
	s_cbranch_execnz .LBB25_291
	s_branch .LBB25_292
.LBB25_2341:
	s_movk_i32 s4, 0x80
	v_cmp_eq_u16_sdwa s[12:13], v11, s4 src0_sel:BYTE_0 src1_sel:DWORD
	s_mov_b64 s[4:5], -1
                                        ; implicit-def: $sgpr10
	s_and_saveexec_b64 s[8:9], s[12:13]
; %bb.2342:
	s_mov_b32 s10, 0x7f800001
	s_xor_b64 s[4:5], exec, -1
; %bb.2343:
	s_or_b64 exec, exec, s[8:9]
	s_and_b64 s[4:5], s[4:5], exec
	s_or_saveexec_b64 s[6:7], s[6:7]
	v_mov_b32_e32 v14, s10
	s_xor_b64 exec, exec, s[6:7]
	s_cbranch_execz .LBB25_294
.LBB25_2344:
	v_mov_b32_e32 v14, 0
	v_cmp_ne_u16_sdwa s[8:9], v11, v14 src0_sel:BYTE_0 src1_sel:DWORD
	s_andn2_b64 s[4:5], s[4:5], exec
	s_and_b64 s[8:9], s[8:9], exec
	s_or_b64 s[4:5], s[4:5], s[8:9]
	s_or_b64 exec, exec, s[6:7]
	s_and_saveexec_b64 s[6:7], s[4:5]
	s_cbranch_execnz .LBB25_295
	s_branch .LBB25_296
.LBB25_2345:
	s_movk_i32 s4, 0x80
	v_cmp_eq_u16_sdwa s[12:13], v14, s4 src0_sel:BYTE_0 src1_sel:DWORD
	s_mov_b64 s[4:5], -1
                                        ; implicit-def: $sgpr10
	s_and_saveexec_b64 s[8:9], s[12:13]
; %bb.2346:
	s_mov_b32 s10, 0x7f800001
	s_xor_b64 s[4:5], exec, -1
; %bb.2347:
	s_or_b64 exec, exec, s[8:9]
	s_and_b64 s[4:5], s[4:5], exec
	s_or_saveexec_b64 s[6:7], s[6:7]
	v_mov_b32_e32 v10, s10
	s_xor_b64 exec, exec, s[6:7]
	s_cbranch_execz .LBB25_298
.LBB25_2348:
	v_mov_b32_e32 v10, 0
	v_cmp_ne_u16_sdwa s[8:9], v14, v10 src0_sel:BYTE_0 src1_sel:DWORD
	s_andn2_b64 s[4:5], s[4:5], exec
	s_and_b64 s[8:9], s[8:9], exec
	s_or_b64 s[4:5], s[4:5], s[8:9]
	s_or_b64 exec, exec, s[6:7]
	s_and_saveexec_b64 s[6:7], s[4:5]
	s_cbranch_execnz .LBB25_299
	s_branch .LBB25_300
.LBB25_2349:
	s_movk_i32 s4, 0x80
	v_cmp_eq_u16_sdwa s[12:13], v14, s4 src0_sel:BYTE_0 src1_sel:DWORD
	s_mov_b64 s[4:5], -1
                                        ; implicit-def: $sgpr10
	s_and_saveexec_b64 s[8:9], s[12:13]
; %bb.2350:
	s_mov_b32 s10, 0x7f800001
	s_xor_b64 s[4:5], exec, -1
; %bb.2351:
	s_or_b64 exec, exec, s[8:9]
	s_and_b64 s[4:5], s[4:5], exec
	s_or_saveexec_b64 s[6:7], s[6:7]
	v_mov_b32_e32 v20, s10
	s_xor_b64 exec, exec, s[6:7]
	s_cbranch_execz .LBB25_302
.LBB25_2352:
	v_mov_b32_e32 v20, 0
	v_cmp_ne_u16_sdwa s[8:9], v14, v20 src0_sel:BYTE_0 src1_sel:DWORD
	s_andn2_b64 s[4:5], s[4:5], exec
	s_and_b64 s[8:9], s[8:9], exec
	s_or_b64 s[4:5], s[4:5], s[8:9]
	s_or_b64 exec, exec, s[6:7]
	s_and_saveexec_b64 s[6:7], s[4:5]
	s_cbranch_execnz .LBB25_303
	s_branch .LBB25_304
.LBB25_2353:
	s_movk_i32 s4, 0x80
	v_cmp_eq_u16_e32 vcc, s4, v14
	s_mov_b64 s[4:5], -1
                                        ; implicit-def: $sgpr10
	s_and_saveexec_b64 s[8:9], vcc
; %bb.2354:
	s_mov_b32 s10, 0x7f800001
	s_xor_b64 s[4:5], exec, -1
; %bb.2355:
	s_or_b64 exec, exec, s[8:9]
	s_and_b64 s[4:5], s[4:5], exec
                                        ; implicit-def: $vgpr14
	s_or_saveexec_b64 s[6:7], s[6:7]
	v_mov_b32_e32 v10, s10
	s_xor_b64 exec, exec, s[6:7]
	s_cbranch_execz .LBB25_306
.LBB25_2356:
	v_cmp_ne_u16_e32 vcc, 0, v14
	s_andn2_b64 s[4:5], s[4:5], exec
	s_and_b64 s[8:9], vcc, exec
	v_mov_b32_e32 v10, 0
	s_or_b64 s[4:5], s[4:5], s[8:9]
	s_or_b64 exec, exec, s[6:7]
	s_and_saveexec_b64 s[6:7], s[4:5]
	s_cbranch_execnz .LBB25_307
	s_branch .LBB25_308
.LBB25_2357:
	s_movk_i32 s4, 0x80
	v_cmp_eq_u16_e32 vcc, s4, v14
	s_mov_b64 s[4:5], -1
                                        ; implicit-def: $sgpr10
	s_and_saveexec_b64 s[8:9], vcc
; %bb.2358:
	s_mov_b32 s10, 0x7f800001
	s_xor_b64 s[4:5], exec, -1
; %bb.2359:
	s_or_b64 exec, exec, s[8:9]
	s_and_b64 s[4:5], s[4:5], exec
                                        ; implicit-def: $vgpr14
	s_or_saveexec_b64 s[6:7], s[6:7]
	v_mov_b32_e32 v20, s10
	s_xor_b64 exec, exec, s[6:7]
	s_cbranch_execz .LBB25_310
.LBB25_2360:
	v_cmp_ne_u16_e32 vcc, 0, v14
	s_andn2_b64 s[4:5], s[4:5], exec
	s_and_b64 s[8:9], vcc, exec
	v_mov_b32_e32 v20, 0
	s_or_b64 s[4:5], s[4:5], s[8:9]
	s_or_b64 exec, exec, s[6:7]
	s_and_saveexec_b64 s[6:7], s[4:5]
	s_cbranch_execnz .LBB25_311
	s_branch .LBB25_312
.LBB25_2361:
	s_movk_i32 s4, 0x80
	v_cmp_eq_u16_sdwa s[12:13], v15, s4 src0_sel:BYTE_3 src1_sel:DWORD
	s_mov_b64 s[4:5], -1
                                        ; implicit-def: $sgpr10
	s_and_saveexec_b64 s[8:9], s[12:13]
; %bb.2362:
	s_mov_b32 s10, 0x7f800001
	s_xor_b64 s[4:5], exec, -1
; %bb.2363:
	s_or_b64 exec, exec, s[8:9]
	s_and_b64 s[4:5], s[4:5], exec
	s_or_saveexec_b64 s[6:7], s[6:7]
	v_mov_b32_e32 v10, s10
	s_xor_b64 exec, exec, s[6:7]
	s_cbranch_execz .LBB25_314
.LBB25_2364:
	v_mov_b32_e32 v10, 0
	v_cmp_ne_u16_sdwa s[8:9], v15, v10 src0_sel:BYTE_3 src1_sel:DWORD
	s_andn2_b64 s[4:5], s[4:5], exec
	s_and_b64 s[8:9], s[8:9], exec
	s_or_b64 s[4:5], s[4:5], s[8:9]
	s_or_b64 exec, exec, s[6:7]
	s_and_saveexec_b64 s[6:7], s[4:5]
	s_cbranch_execnz .LBB25_315
	s_branch .LBB25_316
.LBB25_2365:
	s_movk_i32 s4, 0x80
	v_cmp_eq_u16_sdwa s[12:13], v11, s4 src0_sel:BYTE_3 src1_sel:DWORD
	s_mov_b64 s[4:5], -1
                                        ; implicit-def: $sgpr10
	s_and_saveexec_b64 s[8:9], s[12:13]
; %bb.2366:
	s_mov_b32 s10, 0x7f800001
	s_xor_b64 s[4:5], exec, -1
; %bb.2367:
	s_or_b64 exec, exec, s[8:9]
	s_and_b64 s[4:5], s[4:5], exec
	s_or_saveexec_b64 s[6:7], s[6:7]
	v_mov_b32_e32 v14, s10
	s_xor_b64 exec, exec, s[6:7]
	s_cbranch_execz .LBB25_318
.LBB25_2368:
	v_mov_b32_e32 v14, 0
	v_cmp_ne_u16_sdwa s[8:9], v11, v14 src0_sel:BYTE_3 src1_sel:DWORD
	s_andn2_b64 s[4:5], s[4:5], exec
	s_and_b64 s[8:9], s[8:9], exec
	s_or_b64 s[4:5], s[4:5], s[8:9]
	s_or_b64 exec, exec, s[6:7]
	s_and_saveexec_b64 s[6:7], s[4:5]
	s_cbranch_execnz .LBB25_319
	s_branch .LBB25_320
.LBB25_2369:
	s_movk_i32 s4, 0x80
	v_cmp_eq_u16_sdwa s[12:13], v16, s4 src0_sel:BYTE_0 src1_sel:DWORD
	s_mov_b64 s[4:5], -1
                                        ; implicit-def: $sgpr10
	s_and_saveexec_b64 s[8:9], s[12:13]
; %bb.2370:
	s_mov_b32 s10, 0x7f800001
	s_xor_b64 s[4:5], exec, -1
; %bb.2371:
	s_or_b64 exec, exec, s[8:9]
	s_and_b64 s[4:5], s[4:5], exec
	s_or_saveexec_b64 s[6:7], s[6:7]
	v_mov_b32_e32 v10, s10
	s_xor_b64 exec, exec, s[6:7]
	s_cbranch_execz .LBB25_322
.LBB25_2372:
	v_mov_b32_e32 v10, 0
	v_cmp_ne_u16_sdwa s[8:9], v16, v10 src0_sel:BYTE_0 src1_sel:DWORD
	s_andn2_b64 s[4:5], s[4:5], exec
	s_and_b64 s[8:9], s[8:9], exec
	s_or_b64 s[4:5], s[4:5], s[8:9]
	s_or_b64 exec, exec, s[6:7]
	s_and_saveexec_b64 s[6:7], s[4:5]
	s_cbranch_execnz .LBB25_323
	s_branch .LBB25_324
.LBB25_2373:
	s_movk_i32 s4, 0x80
	v_cmp_eq_u16_sdwa s[12:13], v12, s4 src0_sel:BYTE_0 src1_sel:DWORD
	s_mov_b64 s[4:5], -1
                                        ; implicit-def: $sgpr10
	s_and_saveexec_b64 s[8:9], s[12:13]
; %bb.2374:
	s_mov_b32 s10, 0x7f800001
	s_xor_b64 s[4:5], exec, -1
; %bb.2375:
	s_or_b64 exec, exec, s[8:9]
	s_and_b64 s[4:5], s[4:5], exec
	s_or_saveexec_b64 s[6:7], s[6:7]
	v_mov_b32_e32 v11, s10
	s_xor_b64 exec, exec, s[6:7]
	s_cbranch_execz .LBB25_326
.LBB25_2376:
	v_mov_b32_e32 v11, 0
	v_cmp_ne_u16_sdwa s[8:9], v12, v11 src0_sel:BYTE_0 src1_sel:DWORD
	s_andn2_b64 s[4:5], s[4:5], exec
	s_and_b64 s[8:9], s[8:9], exec
	s_or_b64 s[4:5], s[4:5], s[8:9]
	s_or_b64 exec, exec, s[6:7]
	s_and_saveexec_b64 s[6:7], s[4:5]
	s_cbranch_execnz .LBB25_327
	s_branch .LBB25_328
.LBB25_2377:
	s_movk_i32 s4, 0x80
	v_cmp_eq_u16_sdwa s[12:13], v11, s4 src0_sel:BYTE_0 src1_sel:DWORD
	s_mov_b64 s[4:5], -1
                                        ; implicit-def: $sgpr10
	s_and_saveexec_b64 s[8:9], s[12:13]
; %bb.2378:
	s_mov_b32 s10, 0x7f800001
	s_xor_b64 s[4:5], exec, -1
; %bb.2379:
	s_or_b64 exec, exec, s[8:9]
	s_and_b64 s[4:5], s[4:5], exec
	s_or_saveexec_b64 s[6:7], s[6:7]
	v_mov_b32_e32 v10, s10
	s_xor_b64 exec, exec, s[6:7]
	s_cbranch_execz .LBB25_330
.LBB25_2380:
	v_mov_b32_e32 v10, 0
	v_cmp_ne_u16_sdwa s[8:9], v11, v10 src0_sel:BYTE_0 src1_sel:DWORD
	s_andn2_b64 s[4:5], s[4:5], exec
	s_and_b64 s[8:9], s[8:9], exec
	s_or_b64 s[4:5], s[4:5], s[8:9]
	s_or_b64 exec, exec, s[6:7]
	s_and_saveexec_b64 s[6:7], s[4:5]
	s_cbranch_execnz .LBB25_331
	s_branch .LBB25_332
.LBB25_2381:
	s_movk_i32 s4, 0x80
	v_cmp_eq_u16_sdwa s[12:13], v11, s4 src0_sel:BYTE_0 src1_sel:DWORD
	s_mov_b64 s[4:5], -1
                                        ; implicit-def: $sgpr10
	s_and_saveexec_b64 s[8:9], s[12:13]
; %bb.2382:
	s_mov_b32 s10, 0x7f800001
	s_xor_b64 s[4:5], exec, -1
; %bb.2383:
	s_or_b64 exec, exec, s[8:9]
	s_and_b64 s[4:5], s[4:5], exec
	s_or_saveexec_b64 s[6:7], s[6:7]
	v_mov_b32_e32 v14, s10
	s_xor_b64 exec, exec, s[6:7]
	s_cbranch_execz .LBB25_334
.LBB25_2384:
	v_mov_b32_e32 v14, 0
	v_cmp_ne_u16_sdwa s[8:9], v11, v14 src0_sel:BYTE_0 src1_sel:DWORD
	s_andn2_b64 s[4:5], s[4:5], exec
	s_and_b64 s[8:9], s[8:9], exec
	s_or_b64 s[4:5], s[4:5], s[8:9]
	s_or_b64 exec, exec, s[6:7]
	s_and_saveexec_b64 s[6:7], s[4:5]
	s_cbranch_execnz .LBB25_335
	s_branch .LBB25_336
.LBB25_2385:
	s_movk_i32 s4, 0x80
	v_cmp_eq_u16_e32 vcc, s4, v11
	s_mov_b64 s[4:5], -1
                                        ; implicit-def: $sgpr10
	s_and_saveexec_b64 s[8:9], vcc
; %bb.2386:
	s_mov_b32 s10, 0x7f800001
	s_xor_b64 s[4:5], exec, -1
; %bb.2387:
	s_or_b64 exec, exec, s[8:9]
	s_and_b64 s[4:5], s[4:5], exec
                                        ; implicit-def: $vgpr11
	s_or_saveexec_b64 s[6:7], s[6:7]
	v_mov_b32_e32 v10, s10
	s_xor_b64 exec, exec, s[6:7]
	s_cbranch_execz .LBB25_338
.LBB25_2388:
	v_cmp_ne_u16_e32 vcc, 0, v11
	s_andn2_b64 s[4:5], s[4:5], exec
	s_and_b64 s[8:9], vcc, exec
	v_mov_b32_e32 v10, 0
	s_or_b64 s[4:5], s[4:5], s[8:9]
	s_or_b64 exec, exec, s[6:7]
	s_and_saveexec_b64 s[6:7], s[4:5]
	s_cbranch_execnz .LBB25_339
	s_branch .LBB25_340
.LBB25_2389:
	s_movk_i32 s4, 0x80
	v_cmp_eq_u16_e32 vcc, s4, v11
	s_mov_b64 s[4:5], -1
                                        ; implicit-def: $sgpr10
	s_and_saveexec_b64 s[8:9], vcc
; %bb.2390:
	s_mov_b32 s10, 0x7f800001
	s_xor_b64 s[4:5], exec, -1
; %bb.2391:
	s_or_b64 exec, exec, s[8:9]
	s_and_b64 s[4:5], s[4:5], exec
                                        ; implicit-def: $vgpr11
	s_or_saveexec_b64 s[6:7], s[6:7]
	v_mov_b32_e32 v14, s10
	s_xor_b64 exec, exec, s[6:7]
	s_cbranch_execz .LBB25_342
.LBB25_2392:
	v_cmp_ne_u16_e32 vcc, 0, v11
	s_andn2_b64 s[4:5], s[4:5], exec
	s_and_b64 s[8:9], vcc, exec
	v_mov_b32_e32 v14, 0
	s_or_b64 s[4:5], s[4:5], s[8:9]
	s_or_b64 exec, exec, s[6:7]
	s_and_saveexec_b64 s[6:7], s[4:5]
	s_cbranch_execnz .LBB25_343
	s_branch .LBB25_344
.LBB25_2393:
	s_movk_i32 s4, 0x80
	v_cmp_eq_u16_sdwa s[12:13], v16, s4 src0_sel:BYTE_3 src1_sel:DWORD
	s_mov_b64 s[4:5], -1
                                        ; implicit-def: $sgpr10
	s_and_saveexec_b64 s[8:9], s[12:13]
; %bb.2394:
	s_mov_b32 s10, 0x7f800001
	s_xor_b64 s[4:5], exec, -1
; %bb.2395:
	s_or_b64 exec, exec, s[8:9]
	s_and_b64 s[4:5], s[4:5], exec
	s_or_saveexec_b64 s[6:7], s[6:7]
	v_mov_b32_e32 v10, s10
	s_xor_b64 exec, exec, s[6:7]
	s_cbranch_execz .LBB25_346
.LBB25_2396:
	v_mov_b32_e32 v10, 0
	v_cmp_ne_u16_sdwa s[8:9], v16, v10 src0_sel:BYTE_3 src1_sel:DWORD
	s_andn2_b64 s[4:5], s[4:5], exec
	s_and_b64 s[8:9], s[8:9], exec
	s_or_b64 s[4:5], s[4:5], s[8:9]
	s_or_b64 exec, exec, s[6:7]
	s_and_saveexec_b64 s[6:7], s[4:5]
	s_cbranch_execnz .LBB25_347
	s_branch .LBB25_348
.LBB25_2397:
	s_movk_i32 s4, 0x80
	v_cmp_eq_u16_sdwa s[12:13], v12, s4 src0_sel:BYTE_3 src1_sel:DWORD
	s_mov_b64 s[4:5], -1
                                        ; implicit-def: $sgpr10
	s_and_saveexec_b64 s[8:9], s[12:13]
; %bb.2398:
	s_mov_b32 s10, 0x7f800001
	s_xor_b64 s[4:5], exec, -1
; %bb.2399:
	s_or_b64 exec, exec, s[8:9]
	s_and_b64 s[4:5], s[4:5], exec
	s_or_saveexec_b64 s[6:7], s[6:7]
	v_mov_b32_e32 v11, s10
	s_xor_b64 exec, exec, s[6:7]
	s_cbranch_execz .LBB25_350
.LBB25_2400:
	v_mov_b32_e32 v11, 0
	v_cmp_ne_u16_sdwa s[8:9], v12, v11 src0_sel:BYTE_3 src1_sel:DWORD
	s_andn2_b64 s[4:5], s[4:5], exec
	s_and_b64 s[8:9], s[8:9], exec
	s_or_b64 s[4:5], s[4:5], s[8:9]
	s_or_b64 exec, exec, s[6:7]
	s_and_saveexec_b64 s[6:7], s[4:5]
	s_cbranch_execnz .LBB25_351
	s_branch .LBB25_352
.LBB25_2401:
	s_movk_i32 s4, 0x80
	v_cmp_eq_u16_sdwa s[12:13], v17, s4 src0_sel:BYTE_0 src1_sel:DWORD
	s_mov_b64 s[4:5], -1
                                        ; implicit-def: $sgpr10
	s_and_saveexec_b64 s[8:9], s[12:13]
; %bb.2402:
	s_mov_b32 s10, 0x7f800001
	s_xor_b64 s[4:5], exec, -1
; %bb.2403:
	s_or_b64 exec, exec, s[8:9]
	s_and_b64 s[4:5], s[4:5], exec
	s_or_saveexec_b64 s[6:7], s[6:7]
	v_mov_b32_e32 v10, s10
	s_xor_b64 exec, exec, s[6:7]
	s_cbranch_execz .LBB25_354
.LBB25_2404:
	v_mov_b32_e32 v10, 0
	v_cmp_ne_u16_sdwa s[8:9], v17, v10 src0_sel:BYTE_0 src1_sel:DWORD
	s_andn2_b64 s[4:5], s[4:5], exec
	s_and_b64 s[8:9], s[8:9], exec
	s_or_b64 s[4:5], s[4:5], s[8:9]
	s_or_b64 exec, exec, s[6:7]
	s_and_saveexec_b64 s[6:7], s[4:5]
	s_cbranch_execnz .LBB25_355
	s_branch .LBB25_356
.LBB25_2405:
	s_movk_i32 s4, 0x80
	v_cmp_eq_u16_sdwa s[12:13], v13, s4 src0_sel:BYTE_0 src1_sel:DWORD
	s_mov_b64 s[4:5], -1
                                        ; implicit-def: $sgpr10
	s_and_saveexec_b64 s[8:9], s[12:13]
; %bb.2406:
	s_mov_b32 s10, 0x7f800001
	s_xor_b64 s[4:5], exec, -1
; %bb.2407:
	s_or_b64 exec, exec, s[8:9]
	s_and_b64 s[4:5], s[4:5], exec
	s_or_saveexec_b64 s[6:7], s[6:7]
	v_mov_b32_e32 v11, s10
	s_xor_b64 exec, exec, s[6:7]
	s_cbranch_execz .LBB25_358
.LBB25_2408:
	v_mov_b32_e32 v11, 0
	v_cmp_ne_u16_sdwa s[8:9], v13, v11 src0_sel:BYTE_0 src1_sel:DWORD
	s_andn2_b64 s[4:5], s[4:5], exec
	s_and_b64 s[8:9], s[8:9], exec
	s_or_b64 s[4:5], s[4:5], s[8:9]
	s_or_b64 exec, exec, s[6:7]
	s_and_saveexec_b64 s[6:7], s[4:5]
	s_cbranch_execnz .LBB25_359
	s_branch .LBB25_360
.LBB25_2409:
	s_movk_i32 s4, 0x80
	v_cmp_eq_u16_sdwa s[12:13], v11, s4 src0_sel:BYTE_0 src1_sel:DWORD
	s_mov_b64 s[4:5], -1
                                        ; implicit-def: $sgpr10
	s_and_saveexec_b64 s[8:9], s[12:13]
; %bb.2410:
	s_mov_b32 s10, 0x7f800001
	s_xor_b64 s[4:5], exec, -1
; %bb.2411:
	s_or_b64 exec, exec, s[8:9]
	s_and_b64 s[4:5], s[4:5], exec
	s_or_saveexec_b64 s[6:7], s[6:7]
	v_mov_b32_e32 v10, s10
	s_xor_b64 exec, exec, s[6:7]
	s_cbranch_execz .LBB25_362
.LBB25_2412:
	v_mov_b32_e32 v10, 0
	v_cmp_ne_u16_sdwa s[8:9], v11, v10 src0_sel:BYTE_0 src1_sel:DWORD
	s_andn2_b64 s[4:5], s[4:5], exec
	s_and_b64 s[8:9], s[8:9], exec
	s_or_b64 s[4:5], s[4:5], s[8:9]
	s_or_b64 exec, exec, s[6:7]
	s_and_saveexec_b64 s[6:7], s[4:5]
	s_cbranch_execnz .LBB25_363
	s_branch .LBB25_364
.LBB25_2413:
	s_movk_i32 s4, 0x80
	v_cmp_eq_u16_sdwa s[12:13], v11, s4 src0_sel:BYTE_0 src1_sel:DWORD
	s_mov_b64 s[4:5], -1
                                        ; implicit-def: $sgpr10
	s_and_saveexec_b64 s[8:9], s[12:13]
; %bb.2414:
	s_mov_b32 s10, 0x7f800001
	s_xor_b64 s[4:5], exec, -1
; %bb.2415:
	s_or_b64 exec, exec, s[8:9]
	s_and_b64 s[4:5], s[4:5], exec
	s_or_saveexec_b64 s[6:7], s[6:7]
	v_mov_b32_e32 v12, s10
	s_xor_b64 exec, exec, s[6:7]
	s_cbranch_execz .LBB25_366
.LBB25_2416:
	v_mov_b32_e32 v12, 0
	v_cmp_ne_u16_sdwa s[8:9], v11, v12 src0_sel:BYTE_0 src1_sel:DWORD
	s_andn2_b64 s[4:5], s[4:5], exec
	s_and_b64 s[8:9], s[8:9], exec
	s_or_b64 s[4:5], s[4:5], s[8:9]
	s_or_b64 exec, exec, s[6:7]
	s_and_saveexec_b64 s[6:7], s[4:5]
	s_cbranch_execnz .LBB25_367
	s_branch .LBB25_368
.LBB25_2417:
	s_movk_i32 s4, 0x80
	v_cmp_eq_u16_e32 vcc, s4, v11
	s_mov_b64 s[4:5], -1
                                        ; implicit-def: $sgpr10
	s_and_saveexec_b64 s[8:9], vcc
; %bb.2418:
	s_mov_b32 s10, 0x7f800001
	s_xor_b64 s[4:5], exec, -1
; %bb.2419:
	s_or_b64 exec, exec, s[8:9]
	s_and_b64 s[4:5], s[4:5], exec
                                        ; implicit-def: $vgpr11
	s_or_saveexec_b64 s[6:7], s[6:7]
	v_mov_b32_e32 v10, s10
	s_xor_b64 exec, exec, s[6:7]
	s_cbranch_execz .LBB25_370
.LBB25_2420:
	v_cmp_ne_u16_e32 vcc, 0, v11
	s_andn2_b64 s[4:5], s[4:5], exec
	s_and_b64 s[8:9], vcc, exec
	v_mov_b32_e32 v10, 0
	s_or_b64 s[4:5], s[4:5], s[8:9]
	s_or_b64 exec, exec, s[6:7]
	s_and_saveexec_b64 s[6:7], s[4:5]
	s_cbranch_execnz .LBB25_371
	s_branch .LBB25_372
.LBB25_2421:
	s_movk_i32 s4, 0x80
	v_cmp_eq_u16_e32 vcc, s4, v11
	s_mov_b64 s[4:5], -1
                                        ; implicit-def: $sgpr10
	s_and_saveexec_b64 s[8:9], vcc
; %bb.2422:
	s_mov_b32 s10, 0x7f800001
	s_xor_b64 s[4:5], exec, -1
; %bb.2423:
	s_or_b64 exec, exec, s[8:9]
	s_and_b64 s[4:5], s[4:5], exec
                                        ; implicit-def: $vgpr11
	s_or_saveexec_b64 s[6:7], s[6:7]
	v_mov_b32_e32 v12, s10
	s_xor_b64 exec, exec, s[6:7]
	s_cbranch_execz .LBB25_374
.LBB25_2424:
	v_cmp_ne_u16_e32 vcc, 0, v11
	s_andn2_b64 s[4:5], s[4:5], exec
	s_and_b64 s[8:9], vcc, exec
	v_mov_b32_e32 v12, 0
	s_or_b64 s[4:5], s[4:5], s[8:9]
	s_or_b64 exec, exec, s[6:7]
	s_and_saveexec_b64 s[6:7], s[4:5]
	s_cbranch_execnz .LBB25_375
	s_branch .LBB25_376
.LBB25_2425:
	s_movk_i32 s4, 0x80
	v_cmp_eq_u16_sdwa s[12:13], v17, s4 src0_sel:BYTE_3 src1_sel:DWORD
	s_mov_b64 s[4:5], -1
                                        ; implicit-def: $sgpr10
	s_and_saveexec_b64 s[8:9], s[12:13]
; %bb.2426:
	s_mov_b32 s10, 0x7f800001
	s_xor_b64 s[4:5], exec, -1
; %bb.2427:
	s_or_b64 exec, exec, s[8:9]
	s_and_b64 s[4:5], s[4:5], exec
	s_or_saveexec_b64 s[6:7], s[6:7]
	v_mov_b32_e32 v10, s10
	s_xor_b64 exec, exec, s[6:7]
	s_cbranch_execz .LBB25_378
.LBB25_2428:
	v_mov_b32_e32 v10, 0
	v_cmp_ne_u16_sdwa s[8:9], v17, v10 src0_sel:BYTE_3 src1_sel:DWORD
	s_andn2_b64 s[4:5], s[4:5], exec
	s_and_b64 s[8:9], s[8:9], exec
	s_or_b64 s[4:5], s[4:5], s[8:9]
	s_or_b64 exec, exec, s[6:7]
	s_and_saveexec_b64 s[6:7], s[4:5]
	s_cbranch_execnz .LBB25_379
	s_branch .LBB25_380
.LBB25_2429:
	s_movk_i32 s4, 0x80
	v_cmp_eq_u16_sdwa s[12:13], v13, s4 src0_sel:BYTE_3 src1_sel:DWORD
	s_mov_b64 s[4:5], -1
                                        ; implicit-def: $sgpr10
	s_and_saveexec_b64 s[8:9], s[12:13]
; %bb.2430:
	s_mov_b32 s10, 0x7f800001
	s_xor_b64 s[4:5], exec, -1
; %bb.2431:
	s_or_b64 exec, exec, s[8:9]
	s_and_b64 s[4:5], s[4:5], exec
	s_or_saveexec_b64 s[6:7], s[6:7]
	v_mov_b32_e32 v11, s10
	s_xor_b64 exec, exec, s[6:7]
	s_cbranch_execz .LBB25_382
.LBB25_2432:
	v_mov_b32_e32 v11, 0
	v_cmp_ne_u16_sdwa s[8:9], v13, v11 src0_sel:BYTE_3 src1_sel:DWORD
	s_andn2_b64 s[4:5], s[4:5], exec
	s_and_b64 s[8:9], s[8:9], exec
	s_or_b64 s[4:5], s[4:5], s[8:9]
	s_or_b64 exec, exec, s[6:7]
	s_and_saveexec_b64 s[6:7], s[4:5]
	s_cbranch_execnz .LBB25_383
	s_branch .LBB25_384
.LBB25_2433:
	s_movk_i32 s4, 0x80
	v_cmp_eq_u16_sdwa s[12:13], v6, s4 src0_sel:BYTE_0 src1_sel:DWORD
	s_mov_b64 s[4:5], -1
                                        ; implicit-def: $sgpr10
	s_and_saveexec_b64 s[8:9], s[12:13]
; %bb.2434:
	s_mov_b32 s10, 0x7f800001
	s_xor_b64 s[4:5], exec, -1
; %bb.2435:
	s_or_b64 exec, exec, s[8:9]
	s_and_b64 s[4:5], s[4:5], exec
	s_or_saveexec_b64 s[6:7], s[6:7]
	v_mov_b32_e32 v10, s10
	s_xor_b64 exec, exec, s[6:7]
	s_cbranch_execz .LBB25_386
.LBB25_2436:
	v_mov_b32_e32 v10, 0
	v_cmp_ne_u16_sdwa s[8:9], v6, v10 src0_sel:BYTE_0 src1_sel:DWORD
	s_andn2_b64 s[4:5], s[4:5], exec
	s_and_b64 s[8:9], s[8:9], exec
	s_or_b64 s[4:5], s[4:5], s[8:9]
	s_or_b64 exec, exec, s[6:7]
	s_and_saveexec_b64 s[6:7], s[4:5]
	s_cbranch_execnz .LBB25_387
	s_branch .LBB25_388
.LBB25_2437:
	s_movk_i32 s4, 0x80
	v_cmp_eq_u16_sdwa s[12:13], v2, s4 src0_sel:BYTE_0 src1_sel:DWORD
	s_mov_b64 s[4:5], -1
                                        ; implicit-def: $sgpr10
	s_and_saveexec_b64 s[8:9], s[12:13]
; %bb.2438:
	s_mov_b32 s10, 0x7f800001
	s_xor_b64 s[4:5], exec, -1
; %bb.2439:
	s_or_b64 exec, exec, s[8:9]
	s_and_b64 s[4:5], s[4:5], exec
	s_or_saveexec_b64 s[6:7], s[6:7]
	v_mov_b32_e32 v11, s10
	s_xor_b64 exec, exec, s[6:7]
	s_cbranch_execz .LBB25_390
.LBB25_2440:
	v_mov_b32_e32 v11, 0
	v_cmp_ne_u16_sdwa s[8:9], v2, v11 src0_sel:BYTE_0 src1_sel:DWORD
	s_andn2_b64 s[4:5], s[4:5], exec
	s_and_b64 s[8:9], s[8:9], exec
	s_or_b64 s[4:5], s[4:5], s[8:9]
	s_or_b64 exec, exec, s[6:7]
	s_and_saveexec_b64 s[6:7], s[4:5]
	s_cbranch_execnz .LBB25_391
	s_branch .LBB25_392
.LBB25_2441:
	s_movk_i32 s4, 0x80
	v_cmp_eq_u16_sdwa s[12:13], v11, s4 src0_sel:BYTE_0 src1_sel:DWORD
	s_mov_b64 s[4:5], -1
                                        ; implicit-def: $sgpr10
	s_and_saveexec_b64 s[8:9], s[12:13]
; %bb.2442:
	s_mov_b32 s10, 0x7f800001
	s_xor_b64 s[4:5], exec, -1
; %bb.2443:
	s_or_b64 exec, exec, s[8:9]
	s_and_b64 s[4:5], s[4:5], exec
	s_or_saveexec_b64 s[6:7], s[6:7]
	v_mov_b32_e32 v10, s10
	s_xor_b64 exec, exec, s[6:7]
	s_cbranch_execz .LBB25_394
.LBB25_2444:
	v_mov_b32_e32 v10, 0
	v_cmp_ne_u16_sdwa s[8:9], v11, v10 src0_sel:BYTE_0 src1_sel:DWORD
	s_andn2_b64 s[4:5], s[4:5], exec
	s_and_b64 s[8:9], s[8:9], exec
	s_or_b64 s[4:5], s[4:5], s[8:9]
	s_or_b64 exec, exec, s[6:7]
	s_and_saveexec_b64 s[6:7], s[4:5]
	s_cbranch_execnz .LBB25_395
	s_branch .LBB25_396
.LBB25_2445:
	s_movk_i32 s4, 0x80
	v_cmp_eq_u16_sdwa s[12:13], v11, s4 src0_sel:BYTE_0 src1_sel:DWORD
	s_mov_b64 s[4:5], -1
                                        ; implicit-def: $sgpr10
	s_and_saveexec_b64 s[8:9], s[12:13]
; %bb.2446:
	s_mov_b32 s10, 0x7f800001
	s_xor_b64 s[4:5], exec, -1
; %bb.2447:
	s_or_b64 exec, exec, s[8:9]
	s_and_b64 s[4:5], s[4:5], exec
	s_or_saveexec_b64 s[6:7], s[6:7]
	v_mov_b32_e32 v12, s10
	s_xor_b64 exec, exec, s[6:7]
	s_cbranch_execz .LBB25_398
.LBB25_2448:
	v_mov_b32_e32 v12, 0
	v_cmp_ne_u16_sdwa s[8:9], v11, v12 src0_sel:BYTE_0 src1_sel:DWORD
	s_andn2_b64 s[4:5], s[4:5], exec
	s_and_b64 s[8:9], s[8:9], exec
	s_or_b64 s[4:5], s[4:5], s[8:9]
	s_or_b64 exec, exec, s[6:7]
	s_and_saveexec_b64 s[6:7], s[4:5]
	s_cbranch_execnz .LBB25_399
	s_branch .LBB25_400
.LBB25_2449:
	s_movk_i32 s4, 0x80
	v_cmp_eq_u16_e32 vcc, s4, v11
	s_mov_b64 s[4:5], -1
                                        ; implicit-def: $sgpr10
	s_and_saveexec_b64 s[8:9], vcc
; %bb.2450:
	s_mov_b32 s10, 0x7f800001
	s_xor_b64 s[4:5], exec, -1
; %bb.2451:
	s_or_b64 exec, exec, s[8:9]
	s_and_b64 s[4:5], s[4:5], exec
                                        ; implicit-def: $vgpr11
	s_or_saveexec_b64 s[6:7], s[6:7]
	v_mov_b32_e32 v10, s10
	s_xor_b64 exec, exec, s[6:7]
	s_cbranch_execz .LBB25_402
.LBB25_2452:
	v_cmp_ne_u16_e32 vcc, 0, v11
	s_andn2_b64 s[4:5], s[4:5], exec
	s_and_b64 s[8:9], vcc, exec
	v_mov_b32_e32 v10, 0
	s_or_b64 s[4:5], s[4:5], s[8:9]
	s_or_b64 exec, exec, s[6:7]
	s_and_saveexec_b64 s[6:7], s[4:5]
	s_cbranch_execnz .LBB25_403
	s_branch .LBB25_404
.LBB25_2453:
	s_movk_i32 s4, 0x80
	v_cmp_eq_u16_e32 vcc, s4, v11
	s_mov_b64 s[4:5], -1
                                        ; implicit-def: $sgpr10
	s_and_saveexec_b64 s[8:9], vcc
; %bb.2454:
	s_mov_b32 s10, 0x7f800001
	s_xor_b64 s[4:5], exec, -1
; %bb.2455:
	s_or_b64 exec, exec, s[8:9]
	s_and_b64 s[4:5], s[4:5], exec
                                        ; implicit-def: $vgpr11
	s_or_saveexec_b64 s[6:7], s[6:7]
	v_mov_b32_e32 v12, s10
	s_xor_b64 exec, exec, s[6:7]
	s_cbranch_execz .LBB25_406
.LBB25_2456:
	v_cmp_ne_u16_e32 vcc, 0, v11
	s_andn2_b64 s[4:5], s[4:5], exec
	s_and_b64 s[8:9], vcc, exec
	v_mov_b32_e32 v12, 0
	s_or_b64 s[4:5], s[4:5], s[8:9]
	s_or_b64 exec, exec, s[6:7]
	s_and_saveexec_b64 s[6:7], s[4:5]
	s_cbranch_execnz .LBB25_407
	s_branch .LBB25_408
.LBB25_2457:
	s_movk_i32 s4, 0x80
	v_cmp_eq_u16_sdwa s[12:13], v6, s4 src0_sel:BYTE_3 src1_sel:DWORD
	s_mov_b64 s[4:5], -1
                                        ; implicit-def: $sgpr10
	s_and_saveexec_b64 s[8:9], s[12:13]
; %bb.2458:
	s_mov_b32 s10, 0x7f800001
	s_xor_b64 s[4:5], exec, -1
; %bb.2459:
	s_or_b64 exec, exec, s[8:9]
	s_and_b64 s[4:5], s[4:5], exec
	s_or_saveexec_b64 s[6:7], s[6:7]
	v_mov_b32_e32 v10, s10
	s_xor_b64 exec, exec, s[6:7]
	s_cbranch_execz .LBB25_410
.LBB25_2460:
	v_mov_b32_e32 v10, 0
	v_cmp_ne_u16_sdwa s[8:9], v6, v10 src0_sel:BYTE_3 src1_sel:DWORD
	s_andn2_b64 s[4:5], s[4:5], exec
	s_and_b64 s[8:9], s[8:9], exec
	s_or_b64 s[4:5], s[4:5], s[8:9]
	s_or_b64 exec, exec, s[6:7]
	s_and_saveexec_b64 s[6:7], s[4:5]
	s_cbranch_execnz .LBB25_411
	s_branch .LBB25_412
.LBB25_2461:
	s_movk_i32 s4, 0x80
	v_cmp_eq_u16_sdwa s[12:13], v2, s4 src0_sel:BYTE_3 src1_sel:DWORD
	s_mov_b64 s[4:5], -1
                                        ; implicit-def: $sgpr10
	s_and_saveexec_b64 s[8:9], s[12:13]
; %bb.2462:
	s_mov_b32 s10, 0x7f800001
	s_xor_b64 s[4:5], exec, -1
; %bb.2463:
	s_or_b64 exec, exec, s[8:9]
	s_and_b64 s[4:5], s[4:5], exec
	s_or_saveexec_b64 s[6:7], s[6:7]
	v_mov_b32_e32 v6, s10
	s_xor_b64 exec, exec, s[6:7]
	s_cbranch_execz .LBB25_414
.LBB25_2464:
	v_mov_b32_e32 v6, 0
	v_cmp_ne_u16_sdwa s[8:9], v2, v6 src0_sel:BYTE_3 src1_sel:DWORD
	s_andn2_b64 s[4:5], s[4:5], exec
	s_and_b64 s[8:9], s[8:9], exec
	s_or_b64 s[4:5], s[4:5], s[8:9]
	s_or_b64 exec, exec, s[6:7]
	s_and_saveexec_b64 s[6:7], s[4:5]
	s_cbranch_execnz .LBB25_415
	s_branch .LBB25_416
.LBB25_2465:
	s_movk_i32 s4, 0x80
	v_cmp_eq_u16_sdwa s[12:13], v7, s4 src0_sel:BYTE_0 src1_sel:DWORD
	s_mov_b64 s[4:5], -1
                                        ; implicit-def: $sgpr10
	s_and_saveexec_b64 s[8:9], s[12:13]
; %bb.2466:
	s_mov_b32 s10, 0x7f800001
	s_xor_b64 s[4:5], exec, -1
; %bb.2467:
	s_or_b64 exec, exec, s[8:9]
	s_and_b64 s[4:5], s[4:5], exec
	s_or_saveexec_b64 s[6:7], s[6:7]
	v_mov_b32_e32 v2, s10
	s_xor_b64 exec, exec, s[6:7]
	s_cbranch_execz .LBB25_418
.LBB25_2468:
	v_mov_b32_e32 v2, 0
	v_cmp_ne_u16_sdwa s[8:9], v7, v2 src0_sel:BYTE_0 src1_sel:DWORD
	s_andn2_b64 s[4:5], s[4:5], exec
	s_and_b64 s[8:9], s[8:9], exec
	s_or_b64 s[4:5], s[4:5], s[8:9]
	s_or_b64 exec, exec, s[6:7]
	s_and_saveexec_b64 s[6:7], s[4:5]
	s_cbranch_execnz .LBB25_419
	s_branch .LBB25_420
.LBB25_2469:
	s_movk_i32 s4, 0x80
	v_cmp_eq_u16_sdwa s[12:13], v3, s4 src0_sel:BYTE_0 src1_sel:DWORD
	s_mov_b64 s[4:5], -1
                                        ; implicit-def: $sgpr10
	s_and_saveexec_b64 s[8:9], s[12:13]
; %bb.2470:
	s_mov_b32 s10, 0x7f800001
	s_xor_b64 s[4:5], exec, -1
; %bb.2471:
	s_or_b64 exec, exec, s[8:9]
	s_and_b64 s[4:5], s[4:5], exec
	s_or_saveexec_b64 s[6:7], s[6:7]
	v_mov_b32_e32 v6, s10
	s_xor_b64 exec, exec, s[6:7]
	s_cbranch_execz .LBB25_422
.LBB25_2472:
	v_mov_b32_e32 v6, 0
	v_cmp_ne_u16_sdwa s[8:9], v3, v6 src0_sel:BYTE_0 src1_sel:DWORD
	s_andn2_b64 s[4:5], s[4:5], exec
	s_and_b64 s[8:9], s[8:9], exec
	s_or_b64 s[4:5], s[4:5], s[8:9]
	s_or_b64 exec, exec, s[6:7]
	s_and_saveexec_b64 s[6:7], s[4:5]
	s_cbranch_execnz .LBB25_423
	s_branch .LBB25_424
.LBB25_2473:
	s_movk_i32 s4, 0x80
	v_cmp_eq_u16_sdwa s[12:13], v6, s4 src0_sel:BYTE_0 src1_sel:DWORD
	s_mov_b64 s[4:5], -1
                                        ; implicit-def: $sgpr10
	s_and_saveexec_b64 s[8:9], s[12:13]
; %bb.2474:
	s_mov_b32 s10, 0x7f800001
	s_xor_b64 s[4:5], exec, -1
; %bb.2475:
	s_or_b64 exec, exec, s[8:9]
	s_and_b64 s[4:5], s[4:5], exec
	s_or_saveexec_b64 s[6:7], s[6:7]
	v_mov_b32_e32 v2, s10
	s_xor_b64 exec, exec, s[6:7]
	s_cbranch_execz .LBB25_426
.LBB25_2476:
	v_mov_b32_e32 v2, 0
	v_cmp_ne_u16_sdwa s[8:9], v6, v2 src0_sel:BYTE_0 src1_sel:DWORD
	s_andn2_b64 s[4:5], s[4:5], exec
	s_and_b64 s[8:9], s[8:9], exec
	s_or_b64 s[4:5], s[4:5], s[8:9]
	s_or_b64 exec, exec, s[6:7]
	s_and_saveexec_b64 s[6:7], s[4:5]
	s_cbranch_execnz .LBB25_427
	s_branch .LBB25_428
.LBB25_2477:
	s_movk_i32 s4, 0x80
	v_cmp_eq_u16_sdwa s[12:13], v6, s4 src0_sel:BYTE_0 src1_sel:DWORD
	s_mov_b64 s[4:5], -1
                                        ; implicit-def: $sgpr10
	s_and_saveexec_b64 s[8:9], s[12:13]
; %bb.2478:
	s_mov_b32 s10, 0x7f800001
	s_xor_b64 s[4:5], exec, -1
; %bb.2479:
	s_or_b64 exec, exec, s[8:9]
	s_and_b64 s[4:5], s[4:5], exec
	s_or_saveexec_b64 s[6:7], s[6:7]
	v_mov_b32_e32 v10, s10
	s_xor_b64 exec, exec, s[6:7]
	s_cbranch_execz .LBB25_430
.LBB25_2480:
	v_mov_b32_e32 v10, 0
	v_cmp_ne_u16_sdwa s[8:9], v6, v10 src0_sel:BYTE_0 src1_sel:DWORD
	s_andn2_b64 s[4:5], s[4:5], exec
	s_and_b64 s[8:9], s[8:9], exec
	s_or_b64 s[4:5], s[4:5], s[8:9]
	s_or_b64 exec, exec, s[6:7]
	s_and_saveexec_b64 s[6:7], s[4:5]
	s_cbranch_execnz .LBB25_431
	s_branch .LBB25_432
.LBB25_2481:
	s_movk_i32 s4, 0x80
	v_cmp_eq_u16_e32 vcc, s4, v6
	s_mov_b64 s[4:5], -1
                                        ; implicit-def: $sgpr10
	s_and_saveexec_b64 s[8:9], vcc
; %bb.2482:
	s_mov_b32 s10, 0x7f800001
	s_xor_b64 s[4:5], exec, -1
; %bb.2483:
	s_or_b64 exec, exec, s[8:9]
	s_and_b64 s[4:5], s[4:5], exec
                                        ; implicit-def: $vgpr6
	s_or_saveexec_b64 s[6:7], s[6:7]
	v_mov_b32_e32 v2, s10
	s_xor_b64 exec, exec, s[6:7]
	s_cbranch_execz .LBB25_434
.LBB25_2484:
	v_cmp_ne_u16_e32 vcc, 0, v6
	s_andn2_b64 s[4:5], s[4:5], exec
	s_and_b64 s[8:9], vcc, exec
	v_mov_b32_e32 v2, 0
	s_or_b64 s[4:5], s[4:5], s[8:9]
	s_or_b64 exec, exec, s[6:7]
	s_and_saveexec_b64 s[6:7], s[4:5]
	s_cbranch_execnz .LBB25_435
	s_branch .LBB25_436
.LBB25_2485:
	s_movk_i32 s4, 0x80
	v_cmp_eq_u16_e32 vcc, s4, v6
	s_mov_b64 s[4:5], -1
                                        ; implicit-def: $sgpr10
	s_and_saveexec_b64 s[8:9], vcc
; %bb.2486:
	s_mov_b32 s10, 0x7f800001
	s_xor_b64 s[4:5], exec, -1
; %bb.2487:
	s_or_b64 exec, exec, s[8:9]
	s_and_b64 s[4:5], s[4:5], exec
                                        ; implicit-def: $vgpr6
	s_or_saveexec_b64 s[6:7], s[6:7]
	v_mov_b32_e32 v10, s10
	s_xor_b64 exec, exec, s[6:7]
	s_cbranch_execz .LBB25_438
.LBB25_2488:
	v_cmp_ne_u16_e32 vcc, 0, v6
	s_andn2_b64 s[4:5], s[4:5], exec
	s_and_b64 s[8:9], vcc, exec
	v_mov_b32_e32 v10, 0
	s_or_b64 s[4:5], s[4:5], s[8:9]
	s_or_b64 exec, exec, s[6:7]
	s_and_saveexec_b64 s[6:7], s[4:5]
	s_cbranch_execnz .LBB25_439
	s_branch .LBB25_440
.LBB25_2489:
	s_movk_i32 s4, 0x80
	v_cmp_eq_u16_sdwa s[12:13], v7, s4 src0_sel:BYTE_3 src1_sel:DWORD
	s_mov_b64 s[4:5], -1
                                        ; implicit-def: $sgpr10
	s_and_saveexec_b64 s[8:9], s[12:13]
; %bb.2490:
	s_mov_b32 s10, 0x7f800001
	s_xor_b64 s[4:5], exec, -1
; %bb.2491:
	s_or_b64 exec, exec, s[8:9]
	s_and_b64 s[4:5], s[4:5], exec
	s_or_saveexec_b64 s[6:7], s[6:7]
	v_mov_b32_e32 v2, s10
	s_xor_b64 exec, exec, s[6:7]
	s_cbranch_execz .LBB25_442
.LBB25_2492:
	v_mov_b32_e32 v2, 0
	v_cmp_ne_u16_sdwa s[8:9], v7, v2 src0_sel:BYTE_3 src1_sel:DWORD
	s_andn2_b64 s[4:5], s[4:5], exec
	s_and_b64 s[8:9], s[8:9], exec
	s_or_b64 s[4:5], s[4:5], s[8:9]
	s_or_b64 exec, exec, s[6:7]
	s_and_saveexec_b64 s[6:7], s[4:5]
	s_cbranch_execnz .LBB25_443
	s_branch .LBB25_444
.LBB25_2493:
	s_movk_i32 s4, 0x80
	v_cmp_eq_u16_sdwa s[12:13], v3, s4 src0_sel:BYTE_3 src1_sel:DWORD
	s_mov_b64 s[4:5], -1
                                        ; implicit-def: $sgpr10
	s_and_saveexec_b64 s[8:9], s[12:13]
; %bb.2494:
	s_mov_b32 s10, 0x7f800001
	s_xor_b64 s[4:5], exec, -1
; %bb.2495:
	s_or_b64 exec, exec, s[8:9]
	s_and_b64 s[4:5], s[4:5], exec
	s_or_saveexec_b64 s[6:7], s[6:7]
	v_mov_b32_e32 v6, s10
	s_xor_b64 exec, exec, s[6:7]
	s_cbranch_execz .LBB25_446
.LBB25_2496:
	v_mov_b32_e32 v6, 0
	v_cmp_ne_u16_sdwa s[8:9], v3, v6 src0_sel:BYTE_3 src1_sel:DWORD
	s_andn2_b64 s[4:5], s[4:5], exec
	s_and_b64 s[8:9], s[8:9], exec
	s_or_b64 s[4:5], s[4:5], s[8:9]
	s_or_b64 exec, exec, s[6:7]
	s_and_saveexec_b64 s[6:7], s[4:5]
	s_cbranch_execnz .LBB25_447
	s_branch .LBB25_448
.LBB25_2497:
	s_movk_i32 s4, 0x80
	v_cmp_eq_u16_sdwa s[12:13], v8, s4 src0_sel:BYTE_0 src1_sel:DWORD
	s_mov_b64 s[4:5], -1
                                        ; implicit-def: $sgpr10
	s_and_saveexec_b64 s[8:9], s[12:13]
; %bb.2498:
	s_mov_b32 s10, 0x7f800001
	s_xor_b64 s[4:5], exec, -1
; %bb.2499:
	s_or_b64 exec, exec, s[8:9]
	s_and_b64 s[4:5], s[4:5], exec
	s_or_saveexec_b64 s[6:7], s[6:7]
	v_mov_b32_e32 v2, s10
	s_xor_b64 exec, exec, s[6:7]
	s_cbranch_execz .LBB25_450
.LBB25_2500:
	v_mov_b32_e32 v2, 0
	v_cmp_ne_u16_sdwa s[8:9], v8, v2 src0_sel:BYTE_0 src1_sel:DWORD
	s_andn2_b64 s[4:5], s[4:5], exec
	s_and_b64 s[8:9], s[8:9], exec
	s_or_b64 s[4:5], s[4:5], s[8:9]
	s_or_b64 exec, exec, s[6:7]
	s_and_saveexec_b64 s[6:7], s[4:5]
	s_cbranch_execnz .LBB25_451
	s_branch .LBB25_452
.LBB25_2501:
	s_movk_i32 s4, 0x80
	v_cmp_eq_u16_sdwa s[12:13], v4, s4 src0_sel:BYTE_0 src1_sel:DWORD
	s_mov_b64 s[4:5], -1
                                        ; implicit-def: $sgpr10
	s_and_saveexec_b64 s[8:9], s[12:13]
; %bb.2502:
	s_mov_b32 s10, 0x7f800001
	s_xor_b64 s[4:5], exec, -1
; %bb.2503:
	s_or_b64 exec, exec, s[8:9]
	s_and_b64 s[4:5], s[4:5], exec
	s_or_saveexec_b64 s[6:7], s[6:7]
	v_mov_b32_e32 v3, s10
	s_xor_b64 exec, exec, s[6:7]
	s_cbranch_execz .LBB25_454
.LBB25_2504:
	v_mov_b32_e32 v3, 0
	v_cmp_ne_u16_sdwa s[8:9], v4, v3 src0_sel:BYTE_0 src1_sel:DWORD
	s_andn2_b64 s[4:5], s[4:5], exec
	s_and_b64 s[8:9], s[8:9], exec
	s_or_b64 s[4:5], s[4:5], s[8:9]
	s_or_b64 exec, exec, s[6:7]
	s_and_saveexec_b64 s[6:7], s[4:5]
	s_cbranch_execnz .LBB25_455
	s_branch .LBB25_456
.LBB25_2505:
	s_movk_i32 s4, 0x80
	v_cmp_eq_u16_sdwa s[12:13], v3, s4 src0_sel:BYTE_0 src1_sel:DWORD
	s_mov_b64 s[4:5], -1
                                        ; implicit-def: $sgpr10
	s_and_saveexec_b64 s[8:9], s[12:13]
; %bb.2506:
	s_mov_b32 s10, 0x7f800001
	s_xor_b64 s[4:5], exec, -1
; %bb.2507:
	s_or_b64 exec, exec, s[8:9]
	s_and_b64 s[4:5], s[4:5], exec
	s_or_saveexec_b64 s[6:7], s[6:7]
	v_mov_b32_e32 v2, s10
	s_xor_b64 exec, exec, s[6:7]
	s_cbranch_execz .LBB25_458
.LBB25_2508:
	v_mov_b32_e32 v2, 0
	v_cmp_ne_u16_sdwa s[8:9], v3, v2 src0_sel:BYTE_0 src1_sel:DWORD
	s_andn2_b64 s[4:5], s[4:5], exec
	s_and_b64 s[8:9], s[8:9], exec
	s_or_b64 s[4:5], s[4:5], s[8:9]
	s_or_b64 exec, exec, s[6:7]
	s_and_saveexec_b64 s[6:7], s[4:5]
	s_cbranch_execnz .LBB25_459
	s_branch .LBB25_460
.LBB25_2509:
	s_movk_i32 s4, 0x80
	v_cmp_eq_u16_sdwa s[12:13], v3, s4 src0_sel:BYTE_0 src1_sel:DWORD
	s_mov_b64 s[4:5], -1
                                        ; implicit-def: $sgpr10
	s_and_saveexec_b64 s[8:9], s[12:13]
; %bb.2510:
	s_mov_b32 s10, 0x7f800001
	s_xor_b64 s[4:5], exec, -1
; %bb.2511:
	s_or_b64 exec, exec, s[8:9]
	s_and_b64 s[4:5], s[4:5], exec
	s_or_saveexec_b64 s[6:7], s[6:7]
	v_mov_b32_e32 v6, s10
	s_xor_b64 exec, exec, s[6:7]
	s_cbranch_execz .LBB25_462
.LBB25_2512:
	v_mov_b32_e32 v6, 0
	v_cmp_ne_u16_sdwa s[8:9], v3, v6 src0_sel:BYTE_0 src1_sel:DWORD
	s_andn2_b64 s[4:5], s[4:5], exec
	s_and_b64 s[8:9], s[8:9], exec
	s_or_b64 s[4:5], s[4:5], s[8:9]
	s_or_b64 exec, exec, s[6:7]
	s_and_saveexec_b64 s[6:7], s[4:5]
	s_cbranch_execnz .LBB25_463
	s_branch .LBB25_464
.LBB25_2513:
	s_movk_i32 s4, 0x80
	v_cmp_eq_u16_e32 vcc, s4, v3
	s_mov_b64 s[4:5], -1
                                        ; implicit-def: $sgpr10
	s_and_saveexec_b64 s[8:9], vcc
; %bb.2514:
	s_mov_b32 s10, 0x7f800001
	s_xor_b64 s[4:5], exec, -1
; %bb.2515:
	s_or_b64 exec, exec, s[8:9]
	s_and_b64 s[4:5], s[4:5], exec
                                        ; implicit-def: $vgpr3
	s_or_saveexec_b64 s[6:7], s[6:7]
	v_mov_b32_e32 v2, s10
	s_xor_b64 exec, exec, s[6:7]
	s_cbranch_execz .LBB25_466
.LBB25_2516:
	v_cmp_ne_u16_e32 vcc, 0, v3
	s_andn2_b64 s[4:5], s[4:5], exec
	s_and_b64 s[8:9], vcc, exec
	v_mov_b32_e32 v2, 0
	s_or_b64 s[4:5], s[4:5], s[8:9]
	s_or_b64 exec, exec, s[6:7]
	s_and_saveexec_b64 s[6:7], s[4:5]
	s_cbranch_execnz .LBB25_467
	s_branch .LBB25_468
.LBB25_2517:
	s_movk_i32 s4, 0x80
	v_cmp_eq_u16_e32 vcc, s4, v3
	s_mov_b64 s[4:5], -1
                                        ; implicit-def: $sgpr10
	s_and_saveexec_b64 s[8:9], vcc
; %bb.2518:
	s_mov_b32 s10, 0x7f800001
	s_xor_b64 s[4:5], exec, -1
; %bb.2519:
	s_or_b64 exec, exec, s[8:9]
	s_and_b64 s[4:5], s[4:5], exec
                                        ; implicit-def: $vgpr3
	s_or_saveexec_b64 s[6:7], s[6:7]
	v_mov_b32_e32 v6, s10
	s_xor_b64 exec, exec, s[6:7]
	s_cbranch_execz .LBB25_470
.LBB25_2520:
	v_cmp_ne_u16_e32 vcc, 0, v3
	s_andn2_b64 s[4:5], s[4:5], exec
	s_and_b64 s[8:9], vcc, exec
	v_mov_b32_e32 v6, 0
	s_or_b64 s[4:5], s[4:5], s[8:9]
	s_or_b64 exec, exec, s[6:7]
	s_and_saveexec_b64 s[6:7], s[4:5]
	s_cbranch_execnz .LBB25_471
	s_branch .LBB25_472
.LBB25_2521:
	s_movk_i32 s4, 0x80
	v_cmp_eq_u16_sdwa s[12:13], v8, s4 src0_sel:BYTE_3 src1_sel:DWORD
	s_mov_b64 s[4:5], -1
                                        ; implicit-def: $sgpr10
	s_and_saveexec_b64 s[8:9], s[12:13]
; %bb.2522:
	s_mov_b32 s10, 0x7f800001
	s_xor_b64 s[4:5], exec, -1
; %bb.2523:
	s_or_b64 exec, exec, s[8:9]
	s_and_b64 s[4:5], s[4:5], exec
	s_or_saveexec_b64 s[6:7], s[6:7]
	v_mov_b32_e32 v2, s10
	s_xor_b64 exec, exec, s[6:7]
	s_cbranch_execz .LBB25_474
.LBB25_2524:
	v_mov_b32_e32 v2, 0
	v_cmp_ne_u16_sdwa s[8:9], v8, v2 src0_sel:BYTE_3 src1_sel:DWORD
	s_andn2_b64 s[4:5], s[4:5], exec
	s_and_b64 s[8:9], s[8:9], exec
	s_or_b64 s[4:5], s[4:5], s[8:9]
	s_or_b64 exec, exec, s[6:7]
	s_and_saveexec_b64 s[6:7], s[4:5]
	s_cbranch_execnz .LBB25_475
	s_branch .LBB25_476
.LBB25_2525:
	s_movk_i32 s4, 0x80
	v_cmp_eq_u16_sdwa s[12:13], v4, s4 src0_sel:BYTE_3 src1_sel:DWORD
	s_mov_b64 s[4:5], -1
                                        ; implicit-def: $sgpr10
	s_and_saveexec_b64 s[8:9], s[12:13]
; %bb.2526:
	s_mov_b32 s10, 0x7f800001
	s_xor_b64 s[4:5], exec, -1
; %bb.2527:
	s_or_b64 exec, exec, s[8:9]
	s_and_b64 s[4:5], s[4:5], exec
	s_or_saveexec_b64 s[6:7], s[6:7]
	v_mov_b32_e32 v3, s10
	s_xor_b64 exec, exec, s[6:7]
	s_cbranch_execz .LBB25_478
.LBB25_2528:
	v_mov_b32_e32 v3, 0
	v_cmp_ne_u16_sdwa s[8:9], v4, v3 src0_sel:BYTE_3 src1_sel:DWORD
	s_andn2_b64 s[4:5], s[4:5], exec
	s_and_b64 s[8:9], s[8:9], exec
	s_or_b64 s[4:5], s[4:5], s[8:9]
	s_or_b64 exec, exec, s[6:7]
	s_and_saveexec_b64 s[6:7], s[4:5]
	s_cbranch_execnz .LBB25_479
	s_branch .LBB25_480
.LBB25_2529:
	s_movk_i32 s4, 0x80
	v_cmp_eq_u16_sdwa s[12:13], v9, s4 src0_sel:BYTE_0 src1_sel:DWORD
	s_mov_b64 s[4:5], -1
                                        ; implicit-def: $sgpr10
	s_and_saveexec_b64 s[8:9], s[12:13]
; %bb.2530:
	s_mov_b32 s10, 0x7f800001
	s_xor_b64 s[4:5], exec, -1
; %bb.2531:
	s_or_b64 exec, exec, s[8:9]
	s_and_b64 s[4:5], s[4:5], exec
	s_or_saveexec_b64 s[6:7], s[6:7]
	v_mov_b32_e32 v2, s10
	s_xor_b64 exec, exec, s[6:7]
	s_cbranch_execz .LBB25_482
.LBB25_2532:
	v_mov_b32_e32 v2, 0
	v_cmp_ne_u16_sdwa s[8:9], v9, v2 src0_sel:BYTE_0 src1_sel:DWORD
	s_andn2_b64 s[4:5], s[4:5], exec
	s_and_b64 s[8:9], s[8:9], exec
	s_or_b64 s[4:5], s[4:5], s[8:9]
	s_or_b64 exec, exec, s[6:7]
	s_and_saveexec_b64 s[6:7], s[4:5]
	s_cbranch_execnz .LBB25_483
	s_branch .LBB25_484
.LBB25_2533:
	s_movk_i32 s4, 0x80
	v_cmp_eq_u16_sdwa s[12:13], v5, s4 src0_sel:BYTE_0 src1_sel:DWORD
	s_mov_b64 s[4:5], -1
                                        ; implicit-def: $sgpr10
	s_and_saveexec_b64 s[8:9], s[12:13]
; %bb.2534:
	s_mov_b32 s10, 0x7f800001
	s_xor_b64 s[4:5], exec, -1
; %bb.2535:
	s_or_b64 exec, exec, s[8:9]
	s_and_b64 s[4:5], s[4:5], exec
	s_or_saveexec_b64 s[6:7], s[6:7]
	v_mov_b32_e32 v3, s10
	s_xor_b64 exec, exec, s[6:7]
	s_cbranch_execz .LBB25_486
.LBB25_2536:
	v_mov_b32_e32 v3, 0
	v_cmp_ne_u16_sdwa s[8:9], v5, v3 src0_sel:BYTE_0 src1_sel:DWORD
	s_andn2_b64 s[4:5], s[4:5], exec
	s_and_b64 s[8:9], s[8:9], exec
	s_or_b64 s[4:5], s[4:5], s[8:9]
	s_or_b64 exec, exec, s[6:7]
	s_and_saveexec_b64 s[6:7], s[4:5]
	s_cbranch_execnz .LBB25_487
	s_branch .LBB25_488
.LBB25_2537:
	s_movk_i32 s4, 0x80
	v_cmp_eq_u16_sdwa s[12:13], v3, s4 src0_sel:BYTE_0 src1_sel:DWORD
	s_mov_b64 s[4:5], -1
                                        ; implicit-def: $sgpr10
	s_and_saveexec_b64 s[8:9], s[12:13]
; %bb.2538:
	s_mov_b32 s10, 0x7f800001
	s_xor_b64 s[4:5], exec, -1
; %bb.2539:
	s_or_b64 exec, exec, s[8:9]
	s_and_b64 s[4:5], s[4:5], exec
	s_or_saveexec_b64 s[6:7], s[6:7]
	v_mov_b32_e32 v2, s10
	s_xor_b64 exec, exec, s[6:7]
	s_cbranch_execz .LBB25_490
.LBB25_2540:
	v_mov_b32_e32 v2, 0
	v_cmp_ne_u16_sdwa s[8:9], v3, v2 src0_sel:BYTE_0 src1_sel:DWORD
	s_andn2_b64 s[4:5], s[4:5], exec
	s_and_b64 s[8:9], s[8:9], exec
	s_or_b64 s[4:5], s[4:5], s[8:9]
	s_or_b64 exec, exec, s[6:7]
	s_and_saveexec_b64 s[6:7], s[4:5]
	s_cbranch_execnz .LBB25_491
	s_branch .LBB25_492
.LBB25_2541:
	s_movk_i32 s4, 0x80
	v_cmp_eq_u16_sdwa s[12:13], v3, s4 src0_sel:BYTE_0 src1_sel:DWORD
	s_mov_b64 s[4:5], -1
                                        ; implicit-def: $sgpr10
	s_and_saveexec_b64 s[8:9], s[12:13]
; %bb.2542:
	s_mov_b32 s10, 0x7f800001
	s_xor_b64 s[4:5], exec, -1
; %bb.2543:
	s_or_b64 exec, exec, s[8:9]
	s_and_b64 s[4:5], s[4:5], exec
	s_or_saveexec_b64 s[6:7], s[6:7]
	v_mov_b32_e32 v4, s10
	s_xor_b64 exec, exec, s[6:7]
	s_cbranch_execz .LBB25_494
.LBB25_2544:
	v_mov_b32_e32 v4, 0
	v_cmp_ne_u16_sdwa s[8:9], v3, v4 src0_sel:BYTE_0 src1_sel:DWORD
	s_andn2_b64 s[4:5], s[4:5], exec
	s_and_b64 s[8:9], s[8:9], exec
	s_or_b64 s[4:5], s[4:5], s[8:9]
	s_or_b64 exec, exec, s[6:7]
	s_and_saveexec_b64 s[6:7], s[4:5]
	s_cbranch_execnz .LBB25_495
	s_branch .LBB25_496
.LBB25_2545:
	s_movk_i32 s4, 0x80
	v_cmp_eq_u16_e32 vcc, s4, v3
	s_mov_b64 s[4:5], -1
                                        ; implicit-def: $sgpr10
	s_and_saveexec_b64 s[8:9], vcc
; %bb.2546:
	s_mov_b32 s10, 0x7f800001
	s_xor_b64 s[4:5], exec, -1
; %bb.2547:
	s_or_b64 exec, exec, s[8:9]
	s_and_b64 s[4:5], s[4:5], exec
                                        ; implicit-def: $vgpr3
	s_or_saveexec_b64 s[6:7], s[6:7]
	v_mov_b32_e32 v2, s10
	s_xor_b64 exec, exec, s[6:7]
	s_cbranch_execz .LBB25_498
.LBB25_2548:
	v_cmp_ne_u16_e32 vcc, 0, v3
	s_andn2_b64 s[4:5], s[4:5], exec
	s_and_b64 s[8:9], vcc, exec
	v_mov_b32_e32 v2, 0
	s_or_b64 s[4:5], s[4:5], s[8:9]
	s_or_b64 exec, exec, s[6:7]
	s_and_saveexec_b64 s[6:7], s[4:5]
	s_cbranch_execnz .LBB25_499
	s_branch .LBB25_500
.LBB25_2549:
	s_movk_i32 s4, 0x80
	v_cmp_eq_u16_e32 vcc, s4, v3
	s_mov_b64 s[4:5], -1
                                        ; implicit-def: $sgpr10
	s_and_saveexec_b64 s[8:9], vcc
; %bb.2550:
	s_mov_b32 s10, 0x7f800001
	s_xor_b64 s[4:5], exec, -1
; %bb.2551:
	s_or_b64 exec, exec, s[8:9]
	s_and_b64 s[4:5], s[4:5], exec
                                        ; implicit-def: $vgpr3
	s_or_saveexec_b64 s[6:7], s[6:7]
	v_mov_b32_e32 v4, s10
	s_xor_b64 exec, exec, s[6:7]
	s_cbranch_execz .LBB25_502
.LBB25_2552:
	v_cmp_ne_u16_e32 vcc, 0, v3
	s_andn2_b64 s[4:5], s[4:5], exec
	s_and_b64 s[8:9], vcc, exec
	v_mov_b32_e32 v4, 0
	s_or_b64 s[4:5], s[4:5], s[8:9]
	s_or_b64 exec, exec, s[6:7]
	s_and_saveexec_b64 s[6:7], s[4:5]
	s_cbranch_execnz .LBB25_503
	s_branch .LBB25_504
.LBB25_2553:
	s_movk_i32 s4, 0x80
	v_cmp_eq_u16_sdwa s[12:13], v9, s4 src0_sel:BYTE_3 src1_sel:DWORD
	s_mov_b64 s[4:5], -1
                                        ; implicit-def: $sgpr10
	s_and_saveexec_b64 s[8:9], s[12:13]
; %bb.2554:
	s_mov_b32 s10, 0x7f800001
	s_xor_b64 s[4:5], exec, -1
; %bb.2555:
	s_or_b64 exec, exec, s[8:9]
	s_and_b64 s[4:5], s[4:5], exec
	s_or_saveexec_b64 s[6:7], s[6:7]
	v_mov_b32_e32 v2, s10
	s_xor_b64 exec, exec, s[6:7]
	s_cbranch_execz .LBB25_506
.LBB25_2556:
	v_mov_b32_e32 v2, 0
	v_cmp_ne_u16_sdwa s[8:9], v9, v2 src0_sel:BYTE_3 src1_sel:DWORD
	s_andn2_b64 s[4:5], s[4:5], exec
	s_and_b64 s[8:9], s[8:9], exec
	s_or_b64 s[4:5], s[4:5], s[8:9]
	s_or_b64 exec, exec, s[6:7]
	s_and_saveexec_b64 s[6:7], s[4:5]
	s_cbranch_execnz .LBB25_507
	s_branch .LBB25_508
.LBB25_2557:
	s_movk_i32 s4, 0x80
	v_cmp_eq_u16_sdwa s[12:13], v5, s4 src0_sel:BYTE_3 src1_sel:DWORD
	s_mov_b64 s[4:5], -1
                                        ; implicit-def: $sgpr10
	s_and_saveexec_b64 s[8:9], s[12:13]
; %bb.2558:
	s_mov_b32 s10, 0x7f800001
	s_xor_b64 s[4:5], exec, -1
; %bb.2559:
	s_or_b64 exec, exec, s[8:9]
	s_and_b64 s[4:5], s[4:5], exec
	s_or_saveexec_b64 s[6:7], s[6:7]
	v_mov_b32_e32 v3, s10
	s_xor_b64 exec, exec, s[6:7]
	s_cbranch_execz .LBB25_510
.LBB25_2560:
	v_mov_b32_e32 v3, 0
	v_cmp_ne_u16_sdwa s[8:9], v5, v3 src0_sel:BYTE_3 src1_sel:DWORD
	s_andn2_b64 s[4:5], s[4:5], exec
	s_and_b64 s[8:9], s[8:9], exec
	s_or_b64 s[4:5], s[4:5], s[8:9]
	s_or_b64 exec, exec, s[6:7]
	s_and_saveexec_b64 s[6:7], s[4:5]
	s_cbranch_execnz .LBB25_511
	s_branch .LBB25_512
.LBB25_2561:
	s_movk_i32 s4, 0x80
	v_cmp_eq_u16_sdwa s[12:13], v14, s4 src0_sel:BYTE_0 src1_sel:DWORD
	s_mov_b64 s[4:5], -1
                                        ; implicit-def: $sgpr10
	s_and_saveexec_b64 s[8:9], s[12:13]
; %bb.2562:
	s_mov_b32 s10, 0x7f800001
	s_xor_b64 s[4:5], exec, -1
; %bb.2563:
	s_or_b64 exec, exec, s[8:9]
	s_and_b64 s[4:5], s[4:5], exec
	s_or_saveexec_b64 s[6:7], s[6:7]
	v_mov_b32_e32 v20, s10
	s_xor_b64 exec, exec, s[6:7]
	s_cbranch_execz .LBB25_514
.LBB25_2564:
	v_mov_b32_e32 v20, 0
	v_cmp_ne_u16_sdwa s[8:9], v14, v20 src0_sel:BYTE_0 src1_sel:DWORD
	s_andn2_b64 s[4:5], s[4:5], exec
	s_and_b64 s[8:9], s[8:9], exec
	s_or_b64 s[4:5], s[4:5], s[8:9]
	s_or_b64 exec, exec, s[6:7]
	s_and_saveexec_b64 s[6:7], s[4:5]
	s_cbranch_execnz .LBB25_515
	s_branch .LBB25_516
.LBB25_2565:
	s_movk_i32 s4, 0x80
	v_cmp_eq_u16_sdwa s[12:13], v10, s4 src0_sel:BYTE_0 src1_sel:DWORD
	s_mov_b64 s[4:5], -1
                                        ; implicit-def: $sgpr10
	s_and_saveexec_b64 s[8:9], s[12:13]
; %bb.2566:
	s_mov_b32 s10, 0x7f800001
	s_xor_b64 s[4:5], exec, -1
; %bb.2567:
	s_or_b64 exec, exec, s[8:9]
	s_and_b64 s[4:5], s[4:5], exec
	s_or_saveexec_b64 s[6:7], s[6:7]
	v_mov_b32_e32 v21, s10
	s_xor_b64 exec, exec, s[6:7]
	s_cbranch_execz .LBB25_518
.LBB25_2568:
	v_mov_b32_e32 v21, 0
	v_cmp_ne_u16_sdwa s[8:9], v10, v21 src0_sel:BYTE_0 src1_sel:DWORD
	s_andn2_b64 s[4:5], s[4:5], exec
	s_and_b64 s[8:9], s[8:9], exec
	s_or_b64 s[4:5], s[4:5], s[8:9]
	s_or_b64 exec, exec, s[6:7]
	s_and_saveexec_b64 s[6:7], s[4:5]
	s_cbranch_execnz .LBB25_519
	s_branch .LBB25_520
.LBB25_2569:
	s_movk_i32 s4, 0x80
	v_cmp_eq_u16_sdwa s[12:13], v21, s4 src0_sel:BYTE_0 src1_sel:DWORD
	s_mov_b64 s[4:5], -1
                                        ; implicit-def: $sgpr10
	s_and_saveexec_b64 s[8:9], s[12:13]
; %bb.2570:
	s_mov_b32 s10, 0x7f800001
	s_xor_b64 s[4:5], exec, -1
; %bb.2571:
	s_or_b64 exec, exec, s[8:9]
	s_and_b64 s[4:5], s[4:5], exec
	s_or_saveexec_b64 s[6:7], s[6:7]
	v_mov_b32_e32 v20, s10
	s_xor_b64 exec, exec, s[6:7]
	s_cbranch_execz .LBB25_522
.LBB25_2572:
	v_mov_b32_e32 v20, 0
	v_cmp_ne_u16_sdwa s[8:9], v21, v20 src0_sel:BYTE_0 src1_sel:DWORD
	s_andn2_b64 s[4:5], s[4:5], exec
	s_and_b64 s[8:9], s[8:9], exec
	s_or_b64 s[4:5], s[4:5], s[8:9]
	s_or_b64 exec, exec, s[6:7]
	s_and_saveexec_b64 s[6:7], s[4:5]
	s_cbranch_execnz .LBB25_523
	s_branch .LBB25_524
.LBB25_2573:
	s_movk_i32 s4, 0x80
	v_cmp_eq_u16_sdwa s[12:13], v21, s4 src0_sel:BYTE_0 src1_sel:DWORD
	s_mov_b64 s[4:5], -1
                                        ; implicit-def: $sgpr10
	s_and_saveexec_b64 s[8:9], s[12:13]
; %bb.2574:
	s_mov_b32 s10, 0x7f800001
	s_xor_b64 s[4:5], exec, -1
; %bb.2575:
	s_or_b64 exec, exec, s[8:9]
	s_and_b64 s[4:5], s[4:5], exec
	s_or_saveexec_b64 s[6:7], s[6:7]
	v_mov_b32_e32 v22, s10
	s_xor_b64 exec, exec, s[6:7]
	s_cbranch_execz .LBB25_526
.LBB25_2576:
	v_mov_b32_e32 v22, 0
	v_cmp_ne_u16_sdwa s[8:9], v21, v22 src0_sel:BYTE_0 src1_sel:DWORD
	s_andn2_b64 s[4:5], s[4:5], exec
	s_and_b64 s[8:9], s[8:9], exec
	s_or_b64 s[4:5], s[4:5], s[8:9]
	s_or_b64 exec, exec, s[6:7]
	s_and_saveexec_b64 s[6:7], s[4:5]
	s_cbranch_execnz .LBB25_527
	s_branch .LBB25_528
.LBB25_2577:
	s_movk_i32 s4, 0x80
	v_cmp_eq_u16_e32 vcc, s4, v21
	s_mov_b64 s[4:5], -1
                                        ; implicit-def: $sgpr10
	s_and_saveexec_b64 s[8:9], vcc
; %bb.2578:
	s_mov_b32 s10, 0x7f800001
	s_xor_b64 s[4:5], exec, -1
; %bb.2579:
	s_or_b64 exec, exec, s[8:9]
	s_and_b64 s[4:5], s[4:5], exec
                                        ; implicit-def: $vgpr21
	s_or_saveexec_b64 s[6:7], s[6:7]
	v_mov_b32_e32 v20, s10
	s_xor_b64 exec, exec, s[6:7]
	s_cbranch_execz .LBB25_530
.LBB25_2580:
	v_cmp_ne_u16_e32 vcc, 0, v21
	s_andn2_b64 s[4:5], s[4:5], exec
	s_and_b64 s[8:9], vcc, exec
	v_mov_b32_e32 v20, 0
	s_or_b64 s[4:5], s[4:5], s[8:9]
	s_or_b64 exec, exec, s[6:7]
	s_and_saveexec_b64 s[6:7], s[4:5]
	s_cbranch_execnz .LBB25_531
	s_branch .LBB25_532
.LBB25_2581:
	s_movk_i32 s4, 0x80
	v_cmp_eq_u16_e32 vcc, s4, v21
	s_mov_b64 s[4:5], -1
                                        ; implicit-def: $sgpr10
	s_and_saveexec_b64 s[8:9], vcc
; %bb.2582:
	s_mov_b32 s10, 0x7f800001
	s_xor_b64 s[4:5], exec, -1
; %bb.2583:
	s_or_b64 exec, exec, s[8:9]
	s_and_b64 s[4:5], s[4:5], exec
                                        ; implicit-def: $vgpr21
	s_or_saveexec_b64 s[6:7], s[6:7]
	v_mov_b32_e32 v22, s10
	s_xor_b64 exec, exec, s[6:7]
	s_cbranch_execz .LBB25_534
.LBB25_2584:
	v_cmp_ne_u16_e32 vcc, 0, v21
	s_andn2_b64 s[4:5], s[4:5], exec
	s_and_b64 s[8:9], vcc, exec
	v_mov_b32_e32 v22, 0
	s_or_b64 s[4:5], s[4:5], s[8:9]
	s_or_b64 exec, exec, s[6:7]
	s_and_saveexec_b64 s[6:7], s[4:5]
	s_cbranch_execnz .LBB25_535
	s_branch .LBB25_536
.LBB25_2585:
	s_movk_i32 s4, 0x80
	v_cmp_eq_u16_sdwa s[12:13], v14, s4 src0_sel:BYTE_3 src1_sel:DWORD
	s_mov_b64 s[4:5], -1
                                        ; implicit-def: $sgpr10
	s_and_saveexec_b64 s[8:9], s[12:13]
; %bb.2586:
	s_mov_b32 s10, 0x7f800001
	s_xor_b64 s[4:5], exec, -1
; %bb.2587:
	s_or_b64 exec, exec, s[8:9]
	s_and_b64 s[4:5], s[4:5], exec
	s_or_saveexec_b64 s[6:7], s[6:7]
	v_mov_b32_e32 v20, s10
	s_xor_b64 exec, exec, s[6:7]
	s_cbranch_execz .LBB25_538
.LBB25_2588:
	v_mov_b32_e32 v20, 0
	v_cmp_ne_u16_sdwa s[8:9], v14, v20 src0_sel:BYTE_3 src1_sel:DWORD
	s_andn2_b64 s[4:5], s[4:5], exec
	s_and_b64 s[8:9], s[8:9], exec
	s_or_b64 s[4:5], s[4:5], s[8:9]
	s_or_b64 exec, exec, s[6:7]
	s_and_saveexec_b64 s[6:7], s[4:5]
	s_cbranch_execnz .LBB25_539
	s_branch .LBB25_540
.LBB25_2589:
	s_movk_i32 s4, 0x80
	v_cmp_eq_u16_sdwa s[12:13], v10, s4 src0_sel:BYTE_3 src1_sel:DWORD
	s_mov_b64 s[4:5], -1
                                        ; implicit-def: $sgpr10
	s_and_saveexec_b64 s[8:9], s[12:13]
; %bb.2590:
	s_mov_b32 s10, 0x7f800001
	s_xor_b64 s[4:5], exec, -1
; %bb.2591:
	s_or_b64 exec, exec, s[8:9]
	s_and_b64 s[4:5], s[4:5], exec
	s_or_saveexec_b64 s[6:7], s[6:7]
	v_mov_b32_e32 v14, s10
	s_xor_b64 exec, exec, s[6:7]
	s_cbranch_execz .LBB25_542
.LBB25_2592:
	v_mov_b32_e32 v14, 0
	v_cmp_ne_u16_sdwa s[8:9], v10, v14 src0_sel:BYTE_3 src1_sel:DWORD
	s_andn2_b64 s[4:5], s[4:5], exec
	s_and_b64 s[8:9], s[8:9], exec
	s_or_b64 s[4:5], s[4:5], s[8:9]
	s_or_b64 exec, exec, s[6:7]
	s_and_saveexec_b64 s[6:7], s[4:5]
	s_cbranch_execnz .LBB25_543
	s_branch .LBB25_544
.LBB25_2593:
	s_movk_i32 s4, 0x80
	v_cmp_eq_u16_sdwa s[12:13], v15, s4 src0_sel:BYTE_0 src1_sel:DWORD
	s_mov_b64 s[4:5], -1
                                        ; implicit-def: $sgpr10
	s_and_saveexec_b64 s[8:9], s[12:13]
; %bb.2594:
	s_mov_b32 s10, 0x7f800001
	s_xor_b64 s[4:5], exec, -1
; %bb.2595:
	s_or_b64 exec, exec, s[8:9]
	s_and_b64 s[4:5], s[4:5], exec
	s_or_saveexec_b64 s[6:7], s[6:7]
	v_mov_b32_e32 v10, s10
	s_xor_b64 exec, exec, s[6:7]
	s_cbranch_execz .LBB25_546
.LBB25_2596:
	v_mov_b32_e32 v10, 0
	v_cmp_ne_u16_sdwa s[8:9], v15, v10 src0_sel:BYTE_0 src1_sel:DWORD
	s_andn2_b64 s[4:5], s[4:5], exec
	s_and_b64 s[8:9], s[8:9], exec
	s_or_b64 s[4:5], s[4:5], s[8:9]
	s_or_b64 exec, exec, s[6:7]
	s_and_saveexec_b64 s[6:7], s[4:5]
	s_cbranch_execnz .LBB25_547
	s_branch .LBB25_548
.LBB25_2597:
	s_movk_i32 s4, 0x80
	v_cmp_eq_u16_sdwa s[12:13], v11, s4 src0_sel:BYTE_0 src1_sel:DWORD
	s_mov_b64 s[4:5], -1
                                        ; implicit-def: $sgpr10
	s_and_saveexec_b64 s[8:9], s[12:13]
; %bb.2598:
	s_mov_b32 s10, 0x7f800001
	s_xor_b64 s[4:5], exec, -1
; %bb.2599:
	s_or_b64 exec, exec, s[8:9]
	s_and_b64 s[4:5], s[4:5], exec
	s_or_saveexec_b64 s[6:7], s[6:7]
	v_mov_b32_e32 v14, s10
	s_xor_b64 exec, exec, s[6:7]
	s_cbranch_execz .LBB25_550
.LBB25_2600:
	v_mov_b32_e32 v14, 0
	v_cmp_ne_u16_sdwa s[8:9], v11, v14 src0_sel:BYTE_0 src1_sel:DWORD
	s_andn2_b64 s[4:5], s[4:5], exec
	s_and_b64 s[8:9], s[8:9], exec
	s_or_b64 s[4:5], s[4:5], s[8:9]
	s_or_b64 exec, exec, s[6:7]
	s_and_saveexec_b64 s[6:7], s[4:5]
	s_cbranch_execnz .LBB25_551
	s_branch .LBB25_552
.LBB25_2601:
	s_movk_i32 s4, 0x80
	v_cmp_eq_u16_sdwa s[12:13], v14, s4 src0_sel:BYTE_0 src1_sel:DWORD
	s_mov_b64 s[4:5], -1
                                        ; implicit-def: $sgpr10
	s_and_saveexec_b64 s[8:9], s[12:13]
; %bb.2602:
	s_mov_b32 s10, 0x7f800001
	s_xor_b64 s[4:5], exec, -1
; %bb.2603:
	s_or_b64 exec, exec, s[8:9]
	s_and_b64 s[4:5], s[4:5], exec
	s_or_saveexec_b64 s[6:7], s[6:7]
	v_mov_b32_e32 v10, s10
	s_xor_b64 exec, exec, s[6:7]
	s_cbranch_execz .LBB25_554
.LBB25_2604:
	v_mov_b32_e32 v10, 0
	v_cmp_ne_u16_sdwa s[8:9], v14, v10 src0_sel:BYTE_0 src1_sel:DWORD
	s_andn2_b64 s[4:5], s[4:5], exec
	s_and_b64 s[8:9], s[8:9], exec
	s_or_b64 s[4:5], s[4:5], s[8:9]
	s_or_b64 exec, exec, s[6:7]
	s_and_saveexec_b64 s[6:7], s[4:5]
	s_cbranch_execnz .LBB25_555
	s_branch .LBB25_556
.LBB25_2605:
	s_movk_i32 s4, 0x80
	v_cmp_eq_u16_sdwa s[12:13], v14, s4 src0_sel:BYTE_0 src1_sel:DWORD
	s_mov_b64 s[4:5], -1
                                        ; implicit-def: $sgpr10
	s_and_saveexec_b64 s[8:9], s[12:13]
; %bb.2606:
	s_mov_b32 s10, 0x7f800001
	s_xor_b64 s[4:5], exec, -1
; %bb.2607:
	s_or_b64 exec, exec, s[8:9]
	s_and_b64 s[4:5], s[4:5], exec
	s_or_saveexec_b64 s[6:7], s[6:7]
	v_mov_b32_e32 v20, s10
	s_xor_b64 exec, exec, s[6:7]
	s_cbranch_execz .LBB25_558
.LBB25_2608:
	v_mov_b32_e32 v20, 0
	v_cmp_ne_u16_sdwa s[8:9], v14, v20 src0_sel:BYTE_0 src1_sel:DWORD
	s_andn2_b64 s[4:5], s[4:5], exec
	s_and_b64 s[8:9], s[8:9], exec
	s_or_b64 s[4:5], s[4:5], s[8:9]
	s_or_b64 exec, exec, s[6:7]
	s_and_saveexec_b64 s[6:7], s[4:5]
	s_cbranch_execnz .LBB25_559
	s_branch .LBB25_560
.LBB25_2609:
	s_movk_i32 s4, 0x80
	v_cmp_eq_u16_e32 vcc, s4, v14
	s_mov_b64 s[4:5], -1
                                        ; implicit-def: $sgpr10
	s_and_saveexec_b64 s[8:9], vcc
; %bb.2610:
	s_mov_b32 s10, 0x7f800001
	s_xor_b64 s[4:5], exec, -1
; %bb.2611:
	s_or_b64 exec, exec, s[8:9]
	s_and_b64 s[4:5], s[4:5], exec
                                        ; implicit-def: $vgpr14
	s_or_saveexec_b64 s[6:7], s[6:7]
	v_mov_b32_e32 v10, s10
	s_xor_b64 exec, exec, s[6:7]
	s_cbranch_execz .LBB25_562
.LBB25_2612:
	v_cmp_ne_u16_e32 vcc, 0, v14
	s_andn2_b64 s[4:5], s[4:5], exec
	s_and_b64 s[8:9], vcc, exec
	v_mov_b32_e32 v10, 0
	s_or_b64 s[4:5], s[4:5], s[8:9]
	s_or_b64 exec, exec, s[6:7]
	s_and_saveexec_b64 s[6:7], s[4:5]
	s_cbranch_execnz .LBB25_563
	s_branch .LBB25_564
.LBB25_2613:
	s_movk_i32 s4, 0x80
	v_cmp_eq_u16_e32 vcc, s4, v14
	s_mov_b64 s[4:5], -1
                                        ; implicit-def: $sgpr10
	s_and_saveexec_b64 s[8:9], vcc
; %bb.2614:
	s_mov_b32 s10, 0x7f800001
	s_xor_b64 s[4:5], exec, -1
; %bb.2615:
	s_or_b64 exec, exec, s[8:9]
	s_and_b64 s[4:5], s[4:5], exec
                                        ; implicit-def: $vgpr14
	s_or_saveexec_b64 s[6:7], s[6:7]
	v_mov_b32_e32 v20, s10
	s_xor_b64 exec, exec, s[6:7]
	s_cbranch_execz .LBB25_566
.LBB25_2616:
	v_cmp_ne_u16_e32 vcc, 0, v14
	s_andn2_b64 s[4:5], s[4:5], exec
	s_and_b64 s[8:9], vcc, exec
	v_mov_b32_e32 v20, 0
	s_or_b64 s[4:5], s[4:5], s[8:9]
	s_or_b64 exec, exec, s[6:7]
	s_and_saveexec_b64 s[6:7], s[4:5]
	s_cbranch_execnz .LBB25_567
	s_branch .LBB25_568
.LBB25_2617:
	s_movk_i32 s4, 0x80
	v_cmp_eq_u16_sdwa s[12:13], v15, s4 src0_sel:BYTE_3 src1_sel:DWORD
	s_mov_b64 s[4:5], -1
                                        ; implicit-def: $sgpr10
	s_and_saveexec_b64 s[8:9], s[12:13]
; %bb.2618:
	s_mov_b32 s10, 0x7f800001
	s_xor_b64 s[4:5], exec, -1
; %bb.2619:
	s_or_b64 exec, exec, s[8:9]
	s_and_b64 s[4:5], s[4:5], exec
	s_or_saveexec_b64 s[6:7], s[6:7]
	v_mov_b32_e32 v10, s10
	s_xor_b64 exec, exec, s[6:7]
	s_cbranch_execz .LBB25_570
.LBB25_2620:
	v_mov_b32_e32 v10, 0
	v_cmp_ne_u16_sdwa s[8:9], v15, v10 src0_sel:BYTE_3 src1_sel:DWORD
	s_andn2_b64 s[4:5], s[4:5], exec
	s_and_b64 s[8:9], s[8:9], exec
	s_or_b64 s[4:5], s[4:5], s[8:9]
	s_or_b64 exec, exec, s[6:7]
	s_and_saveexec_b64 s[6:7], s[4:5]
	s_cbranch_execnz .LBB25_571
	s_branch .LBB25_572
.LBB25_2621:
	s_movk_i32 s4, 0x80
	v_cmp_eq_u16_sdwa s[12:13], v11, s4 src0_sel:BYTE_3 src1_sel:DWORD
	s_mov_b64 s[4:5], -1
                                        ; implicit-def: $sgpr10
	s_and_saveexec_b64 s[8:9], s[12:13]
; %bb.2622:
	s_mov_b32 s10, 0x7f800001
	s_xor_b64 s[4:5], exec, -1
; %bb.2623:
	s_or_b64 exec, exec, s[8:9]
	s_and_b64 s[4:5], s[4:5], exec
	s_or_saveexec_b64 s[6:7], s[6:7]
	v_mov_b32_e32 v14, s10
	s_xor_b64 exec, exec, s[6:7]
	s_cbranch_execz .LBB25_574
.LBB25_2624:
	v_mov_b32_e32 v14, 0
	v_cmp_ne_u16_sdwa s[8:9], v11, v14 src0_sel:BYTE_3 src1_sel:DWORD
	s_andn2_b64 s[4:5], s[4:5], exec
	s_and_b64 s[8:9], s[8:9], exec
	s_or_b64 s[4:5], s[4:5], s[8:9]
	s_or_b64 exec, exec, s[6:7]
	s_and_saveexec_b64 s[6:7], s[4:5]
	s_cbranch_execnz .LBB25_575
	s_branch .LBB25_576
.LBB25_2625:
	s_movk_i32 s4, 0x80
	v_cmp_eq_u16_sdwa s[12:13], v16, s4 src0_sel:BYTE_0 src1_sel:DWORD
	s_mov_b64 s[4:5], -1
                                        ; implicit-def: $sgpr10
	s_and_saveexec_b64 s[8:9], s[12:13]
; %bb.2626:
	s_mov_b32 s10, 0x7f800001
	s_xor_b64 s[4:5], exec, -1
; %bb.2627:
	s_or_b64 exec, exec, s[8:9]
	s_and_b64 s[4:5], s[4:5], exec
	s_or_saveexec_b64 s[6:7], s[6:7]
	v_mov_b32_e32 v10, s10
	s_xor_b64 exec, exec, s[6:7]
	s_cbranch_execz .LBB25_578
.LBB25_2628:
	v_mov_b32_e32 v10, 0
	v_cmp_ne_u16_sdwa s[8:9], v16, v10 src0_sel:BYTE_0 src1_sel:DWORD
	s_andn2_b64 s[4:5], s[4:5], exec
	s_and_b64 s[8:9], s[8:9], exec
	s_or_b64 s[4:5], s[4:5], s[8:9]
	s_or_b64 exec, exec, s[6:7]
	s_and_saveexec_b64 s[6:7], s[4:5]
	s_cbranch_execnz .LBB25_579
	s_branch .LBB25_580
.LBB25_2629:
	s_movk_i32 s4, 0x80
	v_cmp_eq_u16_sdwa s[12:13], v12, s4 src0_sel:BYTE_0 src1_sel:DWORD
	s_mov_b64 s[4:5], -1
                                        ; implicit-def: $sgpr10
	s_and_saveexec_b64 s[8:9], s[12:13]
; %bb.2630:
	s_mov_b32 s10, 0x7f800001
	s_xor_b64 s[4:5], exec, -1
; %bb.2631:
	s_or_b64 exec, exec, s[8:9]
	s_and_b64 s[4:5], s[4:5], exec
	s_or_saveexec_b64 s[6:7], s[6:7]
	v_mov_b32_e32 v11, s10
	s_xor_b64 exec, exec, s[6:7]
	s_cbranch_execz .LBB25_582
.LBB25_2632:
	v_mov_b32_e32 v11, 0
	v_cmp_ne_u16_sdwa s[8:9], v12, v11 src0_sel:BYTE_0 src1_sel:DWORD
	s_andn2_b64 s[4:5], s[4:5], exec
	s_and_b64 s[8:9], s[8:9], exec
	s_or_b64 s[4:5], s[4:5], s[8:9]
	s_or_b64 exec, exec, s[6:7]
	s_and_saveexec_b64 s[6:7], s[4:5]
	s_cbranch_execnz .LBB25_583
	s_branch .LBB25_584
.LBB25_2633:
	s_movk_i32 s4, 0x80
	v_cmp_eq_u16_sdwa s[12:13], v11, s4 src0_sel:BYTE_0 src1_sel:DWORD
	s_mov_b64 s[4:5], -1
                                        ; implicit-def: $sgpr10
	s_and_saveexec_b64 s[8:9], s[12:13]
; %bb.2634:
	s_mov_b32 s10, 0x7f800001
	s_xor_b64 s[4:5], exec, -1
; %bb.2635:
	s_or_b64 exec, exec, s[8:9]
	s_and_b64 s[4:5], s[4:5], exec
	s_or_saveexec_b64 s[6:7], s[6:7]
	v_mov_b32_e32 v10, s10
	s_xor_b64 exec, exec, s[6:7]
	s_cbranch_execz .LBB25_586
.LBB25_2636:
	v_mov_b32_e32 v10, 0
	v_cmp_ne_u16_sdwa s[8:9], v11, v10 src0_sel:BYTE_0 src1_sel:DWORD
	s_andn2_b64 s[4:5], s[4:5], exec
	s_and_b64 s[8:9], s[8:9], exec
	s_or_b64 s[4:5], s[4:5], s[8:9]
	s_or_b64 exec, exec, s[6:7]
	s_and_saveexec_b64 s[6:7], s[4:5]
	s_cbranch_execnz .LBB25_587
	s_branch .LBB25_588
.LBB25_2637:
	s_movk_i32 s4, 0x80
	v_cmp_eq_u16_sdwa s[12:13], v11, s4 src0_sel:BYTE_0 src1_sel:DWORD
	s_mov_b64 s[4:5], -1
                                        ; implicit-def: $sgpr10
	s_and_saveexec_b64 s[8:9], s[12:13]
; %bb.2638:
	s_mov_b32 s10, 0x7f800001
	s_xor_b64 s[4:5], exec, -1
; %bb.2639:
	s_or_b64 exec, exec, s[8:9]
	s_and_b64 s[4:5], s[4:5], exec
	s_or_saveexec_b64 s[6:7], s[6:7]
	v_mov_b32_e32 v14, s10
	s_xor_b64 exec, exec, s[6:7]
	s_cbranch_execz .LBB25_590
.LBB25_2640:
	v_mov_b32_e32 v14, 0
	v_cmp_ne_u16_sdwa s[8:9], v11, v14 src0_sel:BYTE_0 src1_sel:DWORD
	s_andn2_b64 s[4:5], s[4:5], exec
	s_and_b64 s[8:9], s[8:9], exec
	s_or_b64 s[4:5], s[4:5], s[8:9]
	s_or_b64 exec, exec, s[6:7]
	s_and_saveexec_b64 s[6:7], s[4:5]
	s_cbranch_execnz .LBB25_591
	s_branch .LBB25_592
.LBB25_2641:
	s_movk_i32 s4, 0x80
	v_cmp_eq_u16_e32 vcc, s4, v11
	s_mov_b64 s[4:5], -1
                                        ; implicit-def: $sgpr10
	s_and_saveexec_b64 s[8:9], vcc
; %bb.2642:
	s_mov_b32 s10, 0x7f800001
	s_xor_b64 s[4:5], exec, -1
; %bb.2643:
	s_or_b64 exec, exec, s[8:9]
	s_and_b64 s[4:5], s[4:5], exec
                                        ; implicit-def: $vgpr11
	s_or_saveexec_b64 s[6:7], s[6:7]
	v_mov_b32_e32 v10, s10
	s_xor_b64 exec, exec, s[6:7]
	s_cbranch_execz .LBB25_594
.LBB25_2644:
	v_cmp_ne_u16_e32 vcc, 0, v11
	s_andn2_b64 s[4:5], s[4:5], exec
	s_and_b64 s[8:9], vcc, exec
	v_mov_b32_e32 v10, 0
	s_or_b64 s[4:5], s[4:5], s[8:9]
	s_or_b64 exec, exec, s[6:7]
	s_and_saveexec_b64 s[6:7], s[4:5]
	s_cbranch_execnz .LBB25_595
	s_branch .LBB25_596
.LBB25_2645:
	s_movk_i32 s4, 0x80
	v_cmp_eq_u16_e32 vcc, s4, v11
	s_mov_b64 s[4:5], -1
                                        ; implicit-def: $sgpr10
	s_and_saveexec_b64 s[8:9], vcc
; %bb.2646:
	s_mov_b32 s10, 0x7f800001
	s_xor_b64 s[4:5], exec, -1
; %bb.2647:
	s_or_b64 exec, exec, s[8:9]
	s_and_b64 s[4:5], s[4:5], exec
                                        ; implicit-def: $vgpr11
	s_or_saveexec_b64 s[6:7], s[6:7]
	v_mov_b32_e32 v14, s10
	s_xor_b64 exec, exec, s[6:7]
	s_cbranch_execz .LBB25_598
.LBB25_2648:
	v_cmp_ne_u16_e32 vcc, 0, v11
	s_andn2_b64 s[4:5], s[4:5], exec
	s_and_b64 s[8:9], vcc, exec
	v_mov_b32_e32 v14, 0
	s_or_b64 s[4:5], s[4:5], s[8:9]
	s_or_b64 exec, exec, s[6:7]
	s_and_saveexec_b64 s[6:7], s[4:5]
	s_cbranch_execnz .LBB25_599
	s_branch .LBB25_600
.LBB25_2649:
	s_movk_i32 s4, 0x80
	v_cmp_eq_u16_sdwa s[12:13], v16, s4 src0_sel:BYTE_3 src1_sel:DWORD
	s_mov_b64 s[4:5], -1
                                        ; implicit-def: $sgpr10
	s_and_saveexec_b64 s[8:9], s[12:13]
; %bb.2650:
	s_mov_b32 s10, 0x7f800001
	s_xor_b64 s[4:5], exec, -1
; %bb.2651:
	s_or_b64 exec, exec, s[8:9]
	s_and_b64 s[4:5], s[4:5], exec
	s_or_saveexec_b64 s[6:7], s[6:7]
	v_mov_b32_e32 v10, s10
	s_xor_b64 exec, exec, s[6:7]
	s_cbranch_execz .LBB25_602
.LBB25_2652:
	v_mov_b32_e32 v10, 0
	v_cmp_ne_u16_sdwa s[8:9], v16, v10 src0_sel:BYTE_3 src1_sel:DWORD
	s_andn2_b64 s[4:5], s[4:5], exec
	s_and_b64 s[8:9], s[8:9], exec
	s_or_b64 s[4:5], s[4:5], s[8:9]
	s_or_b64 exec, exec, s[6:7]
	s_and_saveexec_b64 s[6:7], s[4:5]
	s_cbranch_execnz .LBB25_603
	s_branch .LBB25_604
.LBB25_2653:
	s_movk_i32 s4, 0x80
	v_cmp_eq_u16_sdwa s[12:13], v12, s4 src0_sel:BYTE_3 src1_sel:DWORD
	s_mov_b64 s[4:5], -1
                                        ; implicit-def: $sgpr10
	s_and_saveexec_b64 s[8:9], s[12:13]
; %bb.2654:
	s_mov_b32 s10, 0x7f800001
	s_xor_b64 s[4:5], exec, -1
; %bb.2655:
	s_or_b64 exec, exec, s[8:9]
	s_and_b64 s[4:5], s[4:5], exec
	s_or_saveexec_b64 s[6:7], s[6:7]
	v_mov_b32_e32 v11, s10
	s_xor_b64 exec, exec, s[6:7]
	s_cbranch_execz .LBB25_606
.LBB25_2656:
	v_mov_b32_e32 v11, 0
	v_cmp_ne_u16_sdwa s[8:9], v12, v11 src0_sel:BYTE_3 src1_sel:DWORD
	s_andn2_b64 s[4:5], s[4:5], exec
	s_and_b64 s[8:9], s[8:9], exec
	s_or_b64 s[4:5], s[4:5], s[8:9]
	s_or_b64 exec, exec, s[6:7]
	s_and_saveexec_b64 s[6:7], s[4:5]
	s_cbranch_execnz .LBB25_607
	s_branch .LBB25_608
.LBB25_2657:
	s_movk_i32 s4, 0x80
	v_cmp_eq_u16_sdwa s[12:13], v17, s4 src0_sel:BYTE_0 src1_sel:DWORD
	s_mov_b64 s[4:5], -1
                                        ; implicit-def: $sgpr10
	s_and_saveexec_b64 s[8:9], s[12:13]
; %bb.2658:
	s_mov_b32 s10, 0x7f800001
	s_xor_b64 s[4:5], exec, -1
; %bb.2659:
	s_or_b64 exec, exec, s[8:9]
	s_and_b64 s[4:5], s[4:5], exec
	s_or_saveexec_b64 s[6:7], s[6:7]
	v_mov_b32_e32 v10, s10
	s_xor_b64 exec, exec, s[6:7]
	s_cbranch_execz .LBB25_610
.LBB25_2660:
	v_mov_b32_e32 v10, 0
	v_cmp_ne_u16_sdwa s[8:9], v17, v10 src0_sel:BYTE_0 src1_sel:DWORD
	s_andn2_b64 s[4:5], s[4:5], exec
	s_and_b64 s[8:9], s[8:9], exec
	s_or_b64 s[4:5], s[4:5], s[8:9]
	s_or_b64 exec, exec, s[6:7]
	s_and_saveexec_b64 s[6:7], s[4:5]
	s_cbranch_execnz .LBB25_611
	s_branch .LBB25_612
.LBB25_2661:
	s_movk_i32 s4, 0x80
	v_cmp_eq_u16_sdwa s[12:13], v13, s4 src0_sel:BYTE_0 src1_sel:DWORD
	s_mov_b64 s[4:5], -1
                                        ; implicit-def: $sgpr10
	s_and_saveexec_b64 s[8:9], s[12:13]
; %bb.2662:
	s_mov_b32 s10, 0x7f800001
	s_xor_b64 s[4:5], exec, -1
; %bb.2663:
	s_or_b64 exec, exec, s[8:9]
	s_and_b64 s[4:5], s[4:5], exec
	s_or_saveexec_b64 s[6:7], s[6:7]
	v_mov_b32_e32 v11, s10
	s_xor_b64 exec, exec, s[6:7]
	s_cbranch_execz .LBB25_614
.LBB25_2664:
	v_mov_b32_e32 v11, 0
	v_cmp_ne_u16_sdwa s[8:9], v13, v11 src0_sel:BYTE_0 src1_sel:DWORD
	s_andn2_b64 s[4:5], s[4:5], exec
	s_and_b64 s[8:9], s[8:9], exec
	s_or_b64 s[4:5], s[4:5], s[8:9]
	s_or_b64 exec, exec, s[6:7]
	s_and_saveexec_b64 s[6:7], s[4:5]
	s_cbranch_execnz .LBB25_615
	s_branch .LBB25_616
.LBB25_2665:
	s_movk_i32 s4, 0x80
	v_cmp_eq_u16_sdwa s[12:13], v11, s4 src0_sel:BYTE_0 src1_sel:DWORD
	s_mov_b64 s[4:5], -1
                                        ; implicit-def: $sgpr10
	s_and_saveexec_b64 s[8:9], s[12:13]
; %bb.2666:
	s_mov_b32 s10, 0x7f800001
	s_xor_b64 s[4:5], exec, -1
; %bb.2667:
	s_or_b64 exec, exec, s[8:9]
	s_and_b64 s[4:5], s[4:5], exec
	s_or_saveexec_b64 s[6:7], s[6:7]
	v_mov_b32_e32 v10, s10
	s_xor_b64 exec, exec, s[6:7]
	s_cbranch_execz .LBB25_618
.LBB25_2668:
	v_mov_b32_e32 v10, 0
	v_cmp_ne_u16_sdwa s[8:9], v11, v10 src0_sel:BYTE_0 src1_sel:DWORD
	s_andn2_b64 s[4:5], s[4:5], exec
	s_and_b64 s[8:9], s[8:9], exec
	s_or_b64 s[4:5], s[4:5], s[8:9]
	s_or_b64 exec, exec, s[6:7]
	s_and_saveexec_b64 s[6:7], s[4:5]
	s_cbranch_execnz .LBB25_619
	s_branch .LBB25_620
.LBB25_2669:
	s_movk_i32 s4, 0x80
	v_cmp_eq_u16_sdwa s[12:13], v11, s4 src0_sel:BYTE_0 src1_sel:DWORD
	s_mov_b64 s[4:5], -1
                                        ; implicit-def: $sgpr10
	s_and_saveexec_b64 s[8:9], s[12:13]
; %bb.2670:
	s_mov_b32 s10, 0x7f800001
	s_xor_b64 s[4:5], exec, -1
; %bb.2671:
	s_or_b64 exec, exec, s[8:9]
	s_and_b64 s[4:5], s[4:5], exec
	s_or_saveexec_b64 s[6:7], s[6:7]
	v_mov_b32_e32 v12, s10
	s_xor_b64 exec, exec, s[6:7]
	s_cbranch_execz .LBB25_622
.LBB25_2672:
	v_mov_b32_e32 v12, 0
	v_cmp_ne_u16_sdwa s[8:9], v11, v12 src0_sel:BYTE_0 src1_sel:DWORD
	s_andn2_b64 s[4:5], s[4:5], exec
	s_and_b64 s[8:9], s[8:9], exec
	s_or_b64 s[4:5], s[4:5], s[8:9]
	s_or_b64 exec, exec, s[6:7]
	s_and_saveexec_b64 s[6:7], s[4:5]
	s_cbranch_execnz .LBB25_623
	s_branch .LBB25_624
.LBB25_2673:
	s_movk_i32 s4, 0x80
	v_cmp_eq_u16_e32 vcc, s4, v11
	s_mov_b64 s[4:5], -1
                                        ; implicit-def: $sgpr10
	s_and_saveexec_b64 s[8:9], vcc
; %bb.2674:
	s_mov_b32 s10, 0x7f800001
	s_xor_b64 s[4:5], exec, -1
; %bb.2675:
	s_or_b64 exec, exec, s[8:9]
	s_and_b64 s[4:5], s[4:5], exec
                                        ; implicit-def: $vgpr11
	s_or_saveexec_b64 s[6:7], s[6:7]
	v_mov_b32_e32 v10, s10
	s_xor_b64 exec, exec, s[6:7]
	s_cbranch_execz .LBB25_626
.LBB25_2676:
	v_cmp_ne_u16_e32 vcc, 0, v11
	s_andn2_b64 s[4:5], s[4:5], exec
	s_and_b64 s[8:9], vcc, exec
	v_mov_b32_e32 v10, 0
	s_or_b64 s[4:5], s[4:5], s[8:9]
	s_or_b64 exec, exec, s[6:7]
	s_and_saveexec_b64 s[6:7], s[4:5]
	s_cbranch_execnz .LBB25_627
	s_branch .LBB25_628
.LBB25_2677:
	s_movk_i32 s4, 0x80
	v_cmp_eq_u16_e32 vcc, s4, v11
	s_mov_b64 s[4:5], -1
                                        ; implicit-def: $sgpr10
	s_and_saveexec_b64 s[8:9], vcc
; %bb.2678:
	s_mov_b32 s10, 0x7f800001
	s_xor_b64 s[4:5], exec, -1
; %bb.2679:
	s_or_b64 exec, exec, s[8:9]
	s_and_b64 s[4:5], s[4:5], exec
                                        ; implicit-def: $vgpr11
	s_or_saveexec_b64 s[6:7], s[6:7]
	v_mov_b32_e32 v12, s10
	s_xor_b64 exec, exec, s[6:7]
	s_cbranch_execz .LBB25_630
.LBB25_2680:
	v_cmp_ne_u16_e32 vcc, 0, v11
	s_andn2_b64 s[4:5], s[4:5], exec
	s_and_b64 s[8:9], vcc, exec
	v_mov_b32_e32 v12, 0
	s_or_b64 s[4:5], s[4:5], s[8:9]
	s_or_b64 exec, exec, s[6:7]
	s_and_saveexec_b64 s[6:7], s[4:5]
	s_cbranch_execnz .LBB25_631
	s_branch .LBB25_632
.LBB25_2681:
	s_movk_i32 s4, 0x80
	v_cmp_eq_u16_sdwa s[12:13], v17, s4 src0_sel:BYTE_3 src1_sel:DWORD
	s_mov_b64 s[4:5], -1
                                        ; implicit-def: $sgpr10
	s_and_saveexec_b64 s[8:9], s[12:13]
; %bb.2682:
	s_mov_b32 s10, 0x7f800001
	s_xor_b64 s[4:5], exec, -1
; %bb.2683:
	s_or_b64 exec, exec, s[8:9]
	s_and_b64 s[4:5], s[4:5], exec
	s_or_saveexec_b64 s[6:7], s[6:7]
	v_mov_b32_e32 v10, s10
	s_xor_b64 exec, exec, s[6:7]
	s_cbranch_execz .LBB25_634
.LBB25_2684:
	v_mov_b32_e32 v10, 0
	v_cmp_ne_u16_sdwa s[8:9], v17, v10 src0_sel:BYTE_3 src1_sel:DWORD
	s_andn2_b64 s[4:5], s[4:5], exec
	s_and_b64 s[8:9], s[8:9], exec
	s_or_b64 s[4:5], s[4:5], s[8:9]
	s_or_b64 exec, exec, s[6:7]
	s_and_saveexec_b64 s[6:7], s[4:5]
	s_cbranch_execnz .LBB25_635
	s_branch .LBB25_636
.LBB25_2685:
	s_movk_i32 s4, 0x80
	v_cmp_eq_u16_sdwa s[12:13], v13, s4 src0_sel:BYTE_3 src1_sel:DWORD
	s_mov_b64 s[4:5], -1
                                        ; implicit-def: $sgpr10
	s_and_saveexec_b64 s[8:9], s[12:13]
; %bb.2686:
	s_mov_b32 s10, 0x7f800001
	s_xor_b64 s[4:5], exec, -1
; %bb.2687:
	s_or_b64 exec, exec, s[8:9]
	s_and_b64 s[4:5], s[4:5], exec
	s_or_saveexec_b64 s[6:7], s[6:7]
	v_mov_b32_e32 v11, s10
	s_xor_b64 exec, exec, s[6:7]
	s_cbranch_execz .LBB25_638
.LBB25_2688:
	v_mov_b32_e32 v11, 0
	v_cmp_ne_u16_sdwa s[8:9], v13, v11 src0_sel:BYTE_3 src1_sel:DWORD
	s_andn2_b64 s[4:5], s[4:5], exec
	s_and_b64 s[8:9], s[8:9], exec
	s_or_b64 s[4:5], s[4:5], s[8:9]
	s_or_b64 exec, exec, s[6:7]
	s_and_saveexec_b64 s[6:7], s[4:5]
	s_cbranch_execnz .LBB25_639
	s_branch .LBB25_640
.LBB25_2689:
	s_movk_i32 s4, 0x80
	v_cmp_eq_u16_sdwa s[12:13], v6, s4 src0_sel:BYTE_0 src1_sel:DWORD
	s_mov_b64 s[4:5], -1
                                        ; implicit-def: $sgpr10
	s_and_saveexec_b64 s[8:9], s[12:13]
; %bb.2690:
	s_mov_b32 s10, 0x7f800001
	s_xor_b64 s[4:5], exec, -1
; %bb.2691:
	s_or_b64 exec, exec, s[8:9]
	s_and_b64 s[4:5], s[4:5], exec
	s_or_saveexec_b64 s[6:7], s[6:7]
	v_mov_b32_e32 v10, s10
	s_xor_b64 exec, exec, s[6:7]
	s_cbranch_execz .LBB25_642
.LBB25_2692:
	v_mov_b32_e32 v10, 0
	v_cmp_ne_u16_sdwa s[8:9], v6, v10 src0_sel:BYTE_0 src1_sel:DWORD
	s_andn2_b64 s[4:5], s[4:5], exec
	s_and_b64 s[8:9], s[8:9], exec
	s_or_b64 s[4:5], s[4:5], s[8:9]
	s_or_b64 exec, exec, s[6:7]
	s_and_saveexec_b64 s[6:7], s[4:5]
	s_cbranch_execnz .LBB25_643
	s_branch .LBB25_644
.LBB25_2693:
	s_movk_i32 s4, 0x80
	v_cmp_eq_u16_sdwa s[12:13], v2, s4 src0_sel:BYTE_0 src1_sel:DWORD
	s_mov_b64 s[4:5], -1
                                        ; implicit-def: $sgpr10
	s_and_saveexec_b64 s[8:9], s[12:13]
; %bb.2694:
	s_mov_b32 s10, 0x7f800001
	s_xor_b64 s[4:5], exec, -1
; %bb.2695:
	s_or_b64 exec, exec, s[8:9]
	s_and_b64 s[4:5], s[4:5], exec
	s_or_saveexec_b64 s[6:7], s[6:7]
	v_mov_b32_e32 v11, s10
	s_xor_b64 exec, exec, s[6:7]
	s_cbranch_execz .LBB25_646
.LBB25_2696:
	v_mov_b32_e32 v11, 0
	v_cmp_ne_u16_sdwa s[8:9], v2, v11 src0_sel:BYTE_0 src1_sel:DWORD
	s_andn2_b64 s[4:5], s[4:5], exec
	s_and_b64 s[8:9], s[8:9], exec
	s_or_b64 s[4:5], s[4:5], s[8:9]
	s_or_b64 exec, exec, s[6:7]
	s_and_saveexec_b64 s[6:7], s[4:5]
	s_cbranch_execnz .LBB25_647
	s_branch .LBB25_648
.LBB25_2697:
	s_movk_i32 s4, 0x80
	v_cmp_eq_u16_sdwa s[12:13], v11, s4 src0_sel:BYTE_0 src1_sel:DWORD
	s_mov_b64 s[4:5], -1
                                        ; implicit-def: $sgpr10
	s_and_saveexec_b64 s[8:9], s[12:13]
; %bb.2698:
	s_mov_b32 s10, 0x7f800001
	s_xor_b64 s[4:5], exec, -1
; %bb.2699:
	s_or_b64 exec, exec, s[8:9]
	s_and_b64 s[4:5], s[4:5], exec
	s_or_saveexec_b64 s[6:7], s[6:7]
	v_mov_b32_e32 v10, s10
	s_xor_b64 exec, exec, s[6:7]
	s_cbranch_execz .LBB25_650
.LBB25_2700:
	v_mov_b32_e32 v10, 0
	v_cmp_ne_u16_sdwa s[8:9], v11, v10 src0_sel:BYTE_0 src1_sel:DWORD
	s_andn2_b64 s[4:5], s[4:5], exec
	s_and_b64 s[8:9], s[8:9], exec
	s_or_b64 s[4:5], s[4:5], s[8:9]
	s_or_b64 exec, exec, s[6:7]
	s_and_saveexec_b64 s[6:7], s[4:5]
	s_cbranch_execnz .LBB25_651
	s_branch .LBB25_652
.LBB25_2701:
	s_movk_i32 s4, 0x80
	v_cmp_eq_u16_sdwa s[12:13], v11, s4 src0_sel:BYTE_0 src1_sel:DWORD
	s_mov_b64 s[4:5], -1
                                        ; implicit-def: $sgpr10
	s_and_saveexec_b64 s[8:9], s[12:13]
; %bb.2702:
	s_mov_b32 s10, 0x7f800001
	s_xor_b64 s[4:5], exec, -1
; %bb.2703:
	s_or_b64 exec, exec, s[8:9]
	s_and_b64 s[4:5], s[4:5], exec
	s_or_saveexec_b64 s[6:7], s[6:7]
	v_mov_b32_e32 v12, s10
	s_xor_b64 exec, exec, s[6:7]
	s_cbranch_execz .LBB25_654
.LBB25_2704:
	v_mov_b32_e32 v12, 0
	v_cmp_ne_u16_sdwa s[8:9], v11, v12 src0_sel:BYTE_0 src1_sel:DWORD
	s_andn2_b64 s[4:5], s[4:5], exec
	s_and_b64 s[8:9], s[8:9], exec
	s_or_b64 s[4:5], s[4:5], s[8:9]
	s_or_b64 exec, exec, s[6:7]
	s_and_saveexec_b64 s[6:7], s[4:5]
	s_cbranch_execnz .LBB25_655
	s_branch .LBB25_656
.LBB25_2705:
	s_movk_i32 s4, 0x80
	v_cmp_eq_u16_e32 vcc, s4, v11
	s_mov_b64 s[4:5], -1
                                        ; implicit-def: $sgpr10
	s_and_saveexec_b64 s[8:9], vcc
; %bb.2706:
	s_mov_b32 s10, 0x7f800001
	s_xor_b64 s[4:5], exec, -1
; %bb.2707:
	s_or_b64 exec, exec, s[8:9]
	s_and_b64 s[4:5], s[4:5], exec
                                        ; implicit-def: $vgpr11
	s_or_saveexec_b64 s[6:7], s[6:7]
	v_mov_b32_e32 v10, s10
	s_xor_b64 exec, exec, s[6:7]
	s_cbranch_execz .LBB25_658
.LBB25_2708:
	v_cmp_ne_u16_e32 vcc, 0, v11
	s_andn2_b64 s[4:5], s[4:5], exec
	s_and_b64 s[8:9], vcc, exec
	v_mov_b32_e32 v10, 0
	s_or_b64 s[4:5], s[4:5], s[8:9]
	s_or_b64 exec, exec, s[6:7]
	s_and_saveexec_b64 s[6:7], s[4:5]
	s_cbranch_execnz .LBB25_659
	s_branch .LBB25_660
.LBB25_2709:
	s_movk_i32 s4, 0x80
	v_cmp_eq_u16_e32 vcc, s4, v11
	s_mov_b64 s[4:5], -1
                                        ; implicit-def: $sgpr10
	s_and_saveexec_b64 s[8:9], vcc
; %bb.2710:
	s_mov_b32 s10, 0x7f800001
	s_xor_b64 s[4:5], exec, -1
; %bb.2711:
	s_or_b64 exec, exec, s[8:9]
	s_and_b64 s[4:5], s[4:5], exec
                                        ; implicit-def: $vgpr11
	s_or_saveexec_b64 s[6:7], s[6:7]
	v_mov_b32_e32 v12, s10
	s_xor_b64 exec, exec, s[6:7]
	s_cbranch_execz .LBB25_662
.LBB25_2712:
	v_cmp_ne_u16_e32 vcc, 0, v11
	s_andn2_b64 s[4:5], s[4:5], exec
	s_and_b64 s[8:9], vcc, exec
	v_mov_b32_e32 v12, 0
	s_or_b64 s[4:5], s[4:5], s[8:9]
	s_or_b64 exec, exec, s[6:7]
	s_and_saveexec_b64 s[6:7], s[4:5]
	s_cbranch_execnz .LBB25_663
	s_branch .LBB25_664
.LBB25_2713:
	s_movk_i32 s4, 0x80
	v_cmp_eq_u16_sdwa s[12:13], v6, s4 src0_sel:BYTE_3 src1_sel:DWORD
	s_mov_b64 s[4:5], -1
                                        ; implicit-def: $sgpr10
	s_and_saveexec_b64 s[8:9], s[12:13]
; %bb.2714:
	s_mov_b32 s10, 0x7f800001
	s_xor_b64 s[4:5], exec, -1
; %bb.2715:
	s_or_b64 exec, exec, s[8:9]
	s_and_b64 s[4:5], s[4:5], exec
	s_or_saveexec_b64 s[6:7], s[6:7]
	v_mov_b32_e32 v10, s10
	s_xor_b64 exec, exec, s[6:7]
	s_cbranch_execz .LBB25_666
.LBB25_2716:
	v_mov_b32_e32 v10, 0
	v_cmp_ne_u16_sdwa s[8:9], v6, v10 src0_sel:BYTE_3 src1_sel:DWORD
	s_andn2_b64 s[4:5], s[4:5], exec
	s_and_b64 s[8:9], s[8:9], exec
	s_or_b64 s[4:5], s[4:5], s[8:9]
	s_or_b64 exec, exec, s[6:7]
	s_and_saveexec_b64 s[6:7], s[4:5]
	s_cbranch_execnz .LBB25_667
	s_branch .LBB25_668
.LBB25_2717:
	s_movk_i32 s4, 0x80
	v_cmp_eq_u16_sdwa s[12:13], v2, s4 src0_sel:BYTE_3 src1_sel:DWORD
	s_mov_b64 s[4:5], -1
                                        ; implicit-def: $sgpr10
	s_and_saveexec_b64 s[8:9], s[12:13]
; %bb.2718:
	s_mov_b32 s10, 0x7f800001
	s_xor_b64 s[4:5], exec, -1
; %bb.2719:
	s_or_b64 exec, exec, s[8:9]
	s_and_b64 s[4:5], s[4:5], exec
	s_or_saveexec_b64 s[6:7], s[6:7]
	v_mov_b32_e32 v6, s10
	s_xor_b64 exec, exec, s[6:7]
	s_cbranch_execz .LBB25_670
.LBB25_2720:
	v_mov_b32_e32 v6, 0
	v_cmp_ne_u16_sdwa s[8:9], v2, v6 src0_sel:BYTE_3 src1_sel:DWORD
	s_andn2_b64 s[4:5], s[4:5], exec
	s_and_b64 s[8:9], s[8:9], exec
	s_or_b64 s[4:5], s[4:5], s[8:9]
	s_or_b64 exec, exec, s[6:7]
	s_and_saveexec_b64 s[6:7], s[4:5]
	s_cbranch_execnz .LBB25_671
	s_branch .LBB25_672
.LBB25_2721:
	s_movk_i32 s4, 0x80
	v_cmp_eq_u16_sdwa s[12:13], v7, s4 src0_sel:BYTE_0 src1_sel:DWORD
	s_mov_b64 s[4:5], -1
                                        ; implicit-def: $sgpr10
	s_and_saveexec_b64 s[8:9], s[12:13]
; %bb.2722:
	s_mov_b32 s10, 0x7f800001
	s_xor_b64 s[4:5], exec, -1
; %bb.2723:
	s_or_b64 exec, exec, s[8:9]
	s_and_b64 s[4:5], s[4:5], exec
	s_or_saveexec_b64 s[6:7], s[6:7]
	v_mov_b32_e32 v2, s10
	s_xor_b64 exec, exec, s[6:7]
	s_cbranch_execz .LBB25_674
.LBB25_2724:
	v_mov_b32_e32 v2, 0
	v_cmp_ne_u16_sdwa s[8:9], v7, v2 src0_sel:BYTE_0 src1_sel:DWORD
	s_andn2_b64 s[4:5], s[4:5], exec
	s_and_b64 s[8:9], s[8:9], exec
	s_or_b64 s[4:5], s[4:5], s[8:9]
	s_or_b64 exec, exec, s[6:7]
	s_and_saveexec_b64 s[6:7], s[4:5]
	s_cbranch_execnz .LBB25_675
	s_branch .LBB25_676
.LBB25_2725:
	s_movk_i32 s4, 0x80
	v_cmp_eq_u16_sdwa s[12:13], v3, s4 src0_sel:BYTE_0 src1_sel:DWORD
	s_mov_b64 s[4:5], -1
                                        ; implicit-def: $sgpr10
	s_and_saveexec_b64 s[8:9], s[12:13]
; %bb.2726:
	s_mov_b32 s10, 0x7f800001
	s_xor_b64 s[4:5], exec, -1
; %bb.2727:
	s_or_b64 exec, exec, s[8:9]
	s_and_b64 s[4:5], s[4:5], exec
	s_or_saveexec_b64 s[6:7], s[6:7]
	v_mov_b32_e32 v6, s10
	s_xor_b64 exec, exec, s[6:7]
	s_cbranch_execz .LBB25_678
.LBB25_2728:
	v_mov_b32_e32 v6, 0
	v_cmp_ne_u16_sdwa s[8:9], v3, v6 src0_sel:BYTE_0 src1_sel:DWORD
	s_andn2_b64 s[4:5], s[4:5], exec
	s_and_b64 s[8:9], s[8:9], exec
	s_or_b64 s[4:5], s[4:5], s[8:9]
	s_or_b64 exec, exec, s[6:7]
	s_and_saveexec_b64 s[6:7], s[4:5]
	s_cbranch_execnz .LBB25_679
	s_branch .LBB25_680
.LBB25_2729:
	s_movk_i32 s4, 0x80
	v_cmp_eq_u16_sdwa s[12:13], v6, s4 src0_sel:BYTE_0 src1_sel:DWORD
	s_mov_b64 s[4:5], -1
                                        ; implicit-def: $sgpr10
	s_and_saveexec_b64 s[8:9], s[12:13]
; %bb.2730:
	s_mov_b32 s10, 0x7f800001
	s_xor_b64 s[4:5], exec, -1
; %bb.2731:
	s_or_b64 exec, exec, s[8:9]
	s_and_b64 s[4:5], s[4:5], exec
	s_or_saveexec_b64 s[6:7], s[6:7]
	v_mov_b32_e32 v2, s10
	s_xor_b64 exec, exec, s[6:7]
	s_cbranch_execz .LBB25_682
.LBB25_2732:
	v_mov_b32_e32 v2, 0
	v_cmp_ne_u16_sdwa s[8:9], v6, v2 src0_sel:BYTE_0 src1_sel:DWORD
	s_andn2_b64 s[4:5], s[4:5], exec
	s_and_b64 s[8:9], s[8:9], exec
	s_or_b64 s[4:5], s[4:5], s[8:9]
	s_or_b64 exec, exec, s[6:7]
	s_and_saveexec_b64 s[6:7], s[4:5]
	s_cbranch_execnz .LBB25_683
	s_branch .LBB25_684
.LBB25_2733:
	s_movk_i32 s4, 0x80
	v_cmp_eq_u16_sdwa s[12:13], v6, s4 src0_sel:BYTE_0 src1_sel:DWORD
	s_mov_b64 s[4:5], -1
                                        ; implicit-def: $sgpr10
	s_and_saveexec_b64 s[8:9], s[12:13]
; %bb.2734:
	s_mov_b32 s10, 0x7f800001
	s_xor_b64 s[4:5], exec, -1
; %bb.2735:
	s_or_b64 exec, exec, s[8:9]
	s_and_b64 s[4:5], s[4:5], exec
	s_or_saveexec_b64 s[6:7], s[6:7]
	v_mov_b32_e32 v10, s10
	s_xor_b64 exec, exec, s[6:7]
	s_cbranch_execz .LBB25_686
.LBB25_2736:
	v_mov_b32_e32 v10, 0
	v_cmp_ne_u16_sdwa s[8:9], v6, v10 src0_sel:BYTE_0 src1_sel:DWORD
	s_andn2_b64 s[4:5], s[4:5], exec
	s_and_b64 s[8:9], s[8:9], exec
	s_or_b64 s[4:5], s[4:5], s[8:9]
	s_or_b64 exec, exec, s[6:7]
	s_and_saveexec_b64 s[6:7], s[4:5]
	s_cbranch_execnz .LBB25_687
	s_branch .LBB25_688
.LBB25_2737:
	s_movk_i32 s4, 0x80
	v_cmp_eq_u16_e32 vcc, s4, v6
	s_mov_b64 s[4:5], -1
                                        ; implicit-def: $sgpr10
	s_and_saveexec_b64 s[8:9], vcc
; %bb.2738:
	s_mov_b32 s10, 0x7f800001
	s_xor_b64 s[4:5], exec, -1
; %bb.2739:
	s_or_b64 exec, exec, s[8:9]
	s_and_b64 s[4:5], s[4:5], exec
                                        ; implicit-def: $vgpr6
	s_or_saveexec_b64 s[6:7], s[6:7]
	v_mov_b32_e32 v2, s10
	s_xor_b64 exec, exec, s[6:7]
	s_cbranch_execz .LBB25_690
.LBB25_2740:
	v_cmp_ne_u16_e32 vcc, 0, v6
	s_andn2_b64 s[4:5], s[4:5], exec
	s_and_b64 s[8:9], vcc, exec
	v_mov_b32_e32 v2, 0
	s_or_b64 s[4:5], s[4:5], s[8:9]
	s_or_b64 exec, exec, s[6:7]
	s_and_saveexec_b64 s[6:7], s[4:5]
	s_cbranch_execnz .LBB25_691
	s_branch .LBB25_692
.LBB25_2741:
	s_movk_i32 s4, 0x80
	v_cmp_eq_u16_e32 vcc, s4, v6
	s_mov_b64 s[4:5], -1
                                        ; implicit-def: $sgpr10
	s_and_saveexec_b64 s[8:9], vcc
; %bb.2742:
	s_mov_b32 s10, 0x7f800001
	s_xor_b64 s[4:5], exec, -1
; %bb.2743:
	s_or_b64 exec, exec, s[8:9]
	s_and_b64 s[4:5], s[4:5], exec
                                        ; implicit-def: $vgpr6
	s_or_saveexec_b64 s[6:7], s[6:7]
	v_mov_b32_e32 v10, s10
	s_xor_b64 exec, exec, s[6:7]
	s_cbranch_execz .LBB25_694
.LBB25_2744:
	v_cmp_ne_u16_e32 vcc, 0, v6
	s_andn2_b64 s[4:5], s[4:5], exec
	s_and_b64 s[8:9], vcc, exec
	v_mov_b32_e32 v10, 0
	s_or_b64 s[4:5], s[4:5], s[8:9]
	s_or_b64 exec, exec, s[6:7]
	s_and_saveexec_b64 s[6:7], s[4:5]
	s_cbranch_execnz .LBB25_695
	s_branch .LBB25_696
.LBB25_2745:
	s_movk_i32 s4, 0x80
	v_cmp_eq_u16_sdwa s[12:13], v7, s4 src0_sel:BYTE_3 src1_sel:DWORD
	s_mov_b64 s[4:5], -1
                                        ; implicit-def: $sgpr10
	s_and_saveexec_b64 s[8:9], s[12:13]
; %bb.2746:
	s_mov_b32 s10, 0x7f800001
	s_xor_b64 s[4:5], exec, -1
; %bb.2747:
	s_or_b64 exec, exec, s[8:9]
	s_and_b64 s[4:5], s[4:5], exec
	s_or_saveexec_b64 s[6:7], s[6:7]
	v_mov_b32_e32 v2, s10
	s_xor_b64 exec, exec, s[6:7]
	s_cbranch_execz .LBB25_698
.LBB25_2748:
	v_mov_b32_e32 v2, 0
	v_cmp_ne_u16_sdwa s[8:9], v7, v2 src0_sel:BYTE_3 src1_sel:DWORD
	s_andn2_b64 s[4:5], s[4:5], exec
	s_and_b64 s[8:9], s[8:9], exec
	s_or_b64 s[4:5], s[4:5], s[8:9]
	s_or_b64 exec, exec, s[6:7]
	s_and_saveexec_b64 s[6:7], s[4:5]
	s_cbranch_execnz .LBB25_699
	s_branch .LBB25_700
.LBB25_2749:
	s_movk_i32 s4, 0x80
	v_cmp_eq_u16_sdwa s[12:13], v3, s4 src0_sel:BYTE_3 src1_sel:DWORD
	s_mov_b64 s[4:5], -1
                                        ; implicit-def: $sgpr10
	s_and_saveexec_b64 s[8:9], s[12:13]
; %bb.2750:
	s_mov_b32 s10, 0x7f800001
	s_xor_b64 s[4:5], exec, -1
; %bb.2751:
	s_or_b64 exec, exec, s[8:9]
	s_and_b64 s[4:5], s[4:5], exec
	s_or_saveexec_b64 s[6:7], s[6:7]
	v_mov_b32_e32 v6, s10
	s_xor_b64 exec, exec, s[6:7]
	s_cbranch_execz .LBB25_702
.LBB25_2752:
	v_mov_b32_e32 v6, 0
	v_cmp_ne_u16_sdwa s[8:9], v3, v6 src0_sel:BYTE_3 src1_sel:DWORD
	s_andn2_b64 s[4:5], s[4:5], exec
	s_and_b64 s[8:9], s[8:9], exec
	s_or_b64 s[4:5], s[4:5], s[8:9]
	s_or_b64 exec, exec, s[6:7]
	s_and_saveexec_b64 s[6:7], s[4:5]
	s_cbranch_execnz .LBB25_703
	s_branch .LBB25_704
.LBB25_2753:
	s_movk_i32 s4, 0x80
	v_cmp_eq_u16_sdwa s[12:13], v8, s4 src0_sel:BYTE_0 src1_sel:DWORD
	s_mov_b64 s[4:5], -1
                                        ; implicit-def: $sgpr10
	s_and_saveexec_b64 s[8:9], s[12:13]
; %bb.2754:
	s_mov_b32 s10, 0x7f800001
	s_xor_b64 s[4:5], exec, -1
; %bb.2755:
	s_or_b64 exec, exec, s[8:9]
	s_and_b64 s[4:5], s[4:5], exec
	s_or_saveexec_b64 s[6:7], s[6:7]
	v_mov_b32_e32 v2, s10
	s_xor_b64 exec, exec, s[6:7]
	s_cbranch_execz .LBB25_706
.LBB25_2756:
	v_mov_b32_e32 v2, 0
	v_cmp_ne_u16_sdwa s[8:9], v8, v2 src0_sel:BYTE_0 src1_sel:DWORD
	s_andn2_b64 s[4:5], s[4:5], exec
	s_and_b64 s[8:9], s[8:9], exec
	s_or_b64 s[4:5], s[4:5], s[8:9]
	s_or_b64 exec, exec, s[6:7]
	s_and_saveexec_b64 s[6:7], s[4:5]
	s_cbranch_execnz .LBB25_707
	s_branch .LBB25_708
.LBB25_2757:
	s_movk_i32 s4, 0x80
	v_cmp_eq_u16_sdwa s[12:13], v4, s4 src0_sel:BYTE_0 src1_sel:DWORD
	s_mov_b64 s[4:5], -1
                                        ; implicit-def: $sgpr10
	s_and_saveexec_b64 s[8:9], s[12:13]
; %bb.2758:
	s_mov_b32 s10, 0x7f800001
	s_xor_b64 s[4:5], exec, -1
; %bb.2759:
	s_or_b64 exec, exec, s[8:9]
	s_and_b64 s[4:5], s[4:5], exec
	s_or_saveexec_b64 s[6:7], s[6:7]
	v_mov_b32_e32 v3, s10
	s_xor_b64 exec, exec, s[6:7]
	s_cbranch_execz .LBB25_710
.LBB25_2760:
	v_mov_b32_e32 v3, 0
	v_cmp_ne_u16_sdwa s[8:9], v4, v3 src0_sel:BYTE_0 src1_sel:DWORD
	s_andn2_b64 s[4:5], s[4:5], exec
	s_and_b64 s[8:9], s[8:9], exec
	s_or_b64 s[4:5], s[4:5], s[8:9]
	s_or_b64 exec, exec, s[6:7]
	s_and_saveexec_b64 s[6:7], s[4:5]
	s_cbranch_execnz .LBB25_711
	s_branch .LBB25_712
.LBB25_2761:
	s_movk_i32 s4, 0x80
	v_cmp_eq_u16_sdwa s[12:13], v3, s4 src0_sel:BYTE_0 src1_sel:DWORD
	s_mov_b64 s[4:5], -1
                                        ; implicit-def: $sgpr10
	s_and_saveexec_b64 s[8:9], s[12:13]
; %bb.2762:
	s_mov_b32 s10, 0x7f800001
	s_xor_b64 s[4:5], exec, -1
; %bb.2763:
	s_or_b64 exec, exec, s[8:9]
	s_and_b64 s[4:5], s[4:5], exec
	s_or_saveexec_b64 s[6:7], s[6:7]
	v_mov_b32_e32 v2, s10
	s_xor_b64 exec, exec, s[6:7]
	s_cbranch_execz .LBB25_714
.LBB25_2764:
	v_mov_b32_e32 v2, 0
	v_cmp_ne_u16_sdwa s[8:9], v3, v2 src0_sel:BYTE_0 src1_sel:DWORD
	s_andn2_b64 s[4:5], s[4:5], exec
	s_and_b64 s[8:9], s[8:9], exec
	s_or_b64 s[4:5], s[4:5], s[8:9]
	s_or_b64 exec, exec, s[6:7]
	s_and_saveexec_b64 s[6:7], s[4:5]
	s_cbranch_execnz .LBB25_715
	s_branch .LBB25_716
.LBB25_2765:
	s_movk_i32 s4, 0x80
	v_cmp_eq_u16_sdwa s[12:13], v3, s4 src0_sel:BYTE_0 src1_sel:DWORD
	s_mov_b64 s[4:5], -1
                                        ; implicit-def: $sgpr10
	s_and_saveexec_b64 s[8:9], s[12:13]
; %bb.2766:
	s_mov_b32 s10, 0x7f800001
	s_xor_b64 s[4:5], exec, -1
; %bb.2767:
	s_or_b64 exec, exec, s[8:9]
	s_and_b64 s[4:5], s[4:5], exec
	s_or_saveexec_b64 s[6:7], s[6:7]
	v_mov_b32_e32 v6, s10
	s_xor_b64 exec, exec, s[6:7]
	s_cbranch_execz .LBB25_718
.LBB25_2768:
	v_mov_b32_e32 v6, 0
	v_cmp_ne_u16_sdwa s[8:9], v3, v6 src0_sel:BYTE_0 src1_sel:DWORD
	s_andn2_b64 s[4:5], s[4:5], exec
	s_and_b64 s[8:9], s[8:9], exec
	s_or_b64 s[4:5], s[4:5], s[8:9]
	s_or_b64 exec, exec, s[6:7]
	s_and_saveexec_b64 s[6:7], s[4:5]
	s_cbranch_execnz .LBB25_719
	s_branch .LBB25_720
.LBB25_2769:
	s_movk_i32 s4, 0x80
	v_cmp_eq_u16_e32 vcc, s4, v3
	s_mov_b64 s[4:5], -1
                                        ; implicit-def: $sgpr10
	s_and_saveexec_b64 s[8:9], vcc
; %bb.2770:
	s_mov_b32 s10, 0x7f800001
	s_xor_b64 s[4:5], exec, -1
; %bb.2771:
	s_or_b64 exec, exec, s[8:9]
	s_and_b64 s[4:5], s[4:5], exec
                                        ; implicit-def: $vgpr3
	s_or_saveexec_b64 s[6:7], s[6:7]
	v_mov_b32_e32 v2, s10
	s_xor_b64 exec, exec, s[6:7]
	s_cbranch_execz .LBB25_722
.LBB25_2772:
	v_cmp_ne_u16_e32 vcc, 0, v3
	s_andn2_b64 s[4:5], s[4:5], exec
	s_and_b64 s[8:9], vcc, exec
	v_mov_b32_e32 v2, 0
	s_or_b64 s[4:5], s[4:5], s[8:9]
	s_or_b64 exec, exec, s[6:7]
	s_and_saveexec_b64 s[6:7], s[4:5]
	s_cbranch_execnz .LBB25_723
	s_branch .LBB25_724
.LBB25_2773:
	s_movk_i32 s4, 0x80
	v_cmp_eq_u16_e32 vcc, s4, v3
	s_mov_b64 s[4:5], -1
                                        ; implicit-def: $sgpr10
	s_and_saveexec_b64 s[8:9], vcc
; %bb.2774:
	s_mov_b32 s10, 0x7f800001
	s_xor_b64 s[4:5], exec, -1
; %bb.2775:
	s_or_b64 exec, exec, s[8:9]
	s_and_b64 s[4:5], s[4:5], exec
                                        ; implicit-def: $vgpr3
	s_or_saveexec_b64 s[6:7], s[6:7]
	v_mov_b32_e32 v6, s10
	s_xor_b64 exec, exec, s[6:7]
	s_cbranch_execz .LBB25_726
.LBB25_2776:
	v_cmp_ne_u16_e32 vcc, 0, v3
	s_andn2_b64 s[4:5], s[4:5], exec
	s_and_b64 s[8:9], vcc, exec
	v_mov_b32_e32 v6, 0
	s_or_b64 s[4:5], s[4:5], s[8:9]
	s_or_b64 exec, exec, s[6:7]
	s_and_saveexec_b64 s[6:7], s[4:5]
	s_cbranch_execnz .LBB25_727
	s_branch .LBB25_728
.LBB25_2777:
	s_movk_i32 s4, 0x80
	v_cmp_eq_u16_sdwa s[12:13], v8, s4 src0_sel:BYTE_3 src1_sel:DWORD
	s_mov_b64 s[4:5], -1
                                        ; implicit-def: $sgpr10
	s_and_saveexec_b64 s[8:9], s[12:13]
; %bb.2778:
	s_mov_b32 s10, 0x7f800001
	s_xor_b64 s[4:5], exec, -1
; %bb.2779:
	s_or_b64 exec, exec, s[8:9]
	s_and_b64 s[4:5], s[4:5], exec
	s_or_saveexec_b64 s[6:7], s[6:7]
	v_mov_b32_e32 v2, s10
	s_xor_b64 exec, exec, s[6:7]
	s_cbranch_execz .LBB25_730
.LBB25_2780:
	v_mov_b32_e32 v2, 0
	v_cmp_ne_u16_sdwa s[8:9], v8, v2 src0_sel:BYTE_3 src1_sel:DWORD
	s_andn2_b64 s[4:5], s[4:5], exec
	s_and_b64 s[8:9], s[8:9], exec
	s_or_b64 s[4:5], s[4:5], s[8:9]
	s_or_b64 exec, exec, s[6:7]
	s_and_saveexec_b64 s[6:7], s[4:5]
	s_cbranch_execnz .LBB25_731
	s_branch .LBB25_732
.LBB25_2781:
	s_movk_i32 s4, 0x80
	v_cmp_eq_u16_sdwa s[12:13], v4, s4 src0_sel:BYTE_3 src1_sel:DWORD
	s_mov_b64 s[4:5], -1
                                        ; implicit-def: $sgpr10
	s_and_saveexec_b64 s[8:9], s[12:13]
; %bb.2782:
	s_mov_b32 s10, 0x7f800001
	s_xor_b64 s[4:5], exec, -1
; %bb.2783:
	s_or_b64 exec, exec, s[8:9]
	s_and_b64 s[4:5], s[4:5], exec
	s_or_saveexec_b64 s[6:7], s[6:7]
	v_mov_b32_e32 v3, s10
	s_xor_b64 exec, exec, s[6:7]
	s_cbranch_execz .LBB25_734
.LBB25_2784:
	v_mov_b32_e32 v3, 0
	v_cmp_ne_u16_sdwa s[8:9], v4, v3 src0_sel:BYTE_3 src1_sel:DWORD
	s_andn2_b64 s[4:5], s[4:5], exec
	s_and_b64 s[8:9], s[8:9], exec
	s_or_b64 s[4:5], s[4:5], s[8:9]
	s_or_b64 exec, exec, s[6:7]
	s_and_saveexec_b64 s[6:7], s[4:5]
	s_cbranch_execnz .LBB25_735
	s_branch .LBB25_736
.LBB25_2785:
	s_movk_i32 s4, 0x80
	v_cmp_eq_u16_sdwa s[12:13], v9, s4 src0_sel:BYTE_0 src1_sel:DWORD
	s_mov_b64 s[4:5], -1
                                        ; implicit-def: $sgpr10
	s_and_saveexec_b64 s[8:9], s[12:13]
; %bb.2786:
	s_mov_b32 s10, 0x7f800001
	s_xor_b64 s[4:5], exec, -1
; %bb.2787:
	s_or_b64 exec, exec, s[8:9]
	s_and_b64 s[4:5], s[4:5], exec
	s_or_saveexec_b64 s[6:7], s[6:7]
	v_mov_b32_e32 v2, s10
	s_xor_b64 exec, exec, s[6:7]
	s_cbranch_execz .LBB25_738
.LBB25_2788:
	v_mov_b32_e32 v2, 0
	v_cmp_ne_u16_sdwa s[8:9], v9, v2 src0_sel:BYTE_0 src1_sel:DWORD
	s_andn2_b64 s[4:5], s[4:5], exec
	s_and_b64 s[8:9], s[8:9], exec
	s_or_b64 s[4:5], s[4:5], s[8:9]
	s_or_b64 exec, exec, s[6:7]
	s_and_saveexec_b64 s[6:7], s[4:5]
	s_cbranch_execnz .LBB25_739
	s_branch .LBB25_740
.LBB25_2789:
	s_movk_i32 s4, 0x80
	v_cmp_eq_u16_sdwa s[12:13], v5, s4 src0_sel:BYTE_0 src1_sel:DWORD
	s_mov_b64 s[4:5], -1
                                        ; implicit-def: $sgpr10
	s_and_saveexec_b64 s[8:9], s[12:13]
; %bb.2790:
	s_mov_b32 s10, 0x7f800001
	s_xor_b64 s[4:5], exec, -1
; %bb.2791:
	s_or_b64 exec, exec, s[8:9]
	s_and_b64 s[4:5], s[4:5], exec
	s_or_saveexec_b64 s[6:7], s[6:7]
	v_mov_b32_e32 v3, s10
	s_xor_b64 exec, exec, s[6:7]
	s_cbranch_execz .LBB25_742
.LBB25_2792:
	v_mov_b32_e32 v3, 0
	v_cmp_ne_u16_sdwa s[8:9], v5, v3 src0_sel:BYTE_0 src1_sel:DWORD
	s_andn2_b64 s[4:5], s[4:5], exec
	s_and_b64 s[8:9], s[8:9], exec
	s_or_b64 s[4:5], s[4:5], s[8:9]
	s_or_b64 exec, exec, s[6:7]
	s_and_saveexec_b64 s[6:7], s[4:5]
	s_cbranch_execnz .LBB25_743
	s_branch .LBB25_744
.LBB25_2793:
	s_movk_i32 s4, 0x80
	v_cmp_eq_u16_sdwa s[12:13], v3, s4 src0_sel:BYTE_0 src1_sel:DWORD
	s_mov_b64 s[4:5], -1
                                        ; implicit-def: $sgpr10
	s_and_saveexec_b64 s[8:9], s[12:13]
; %bb.2794:
	s_mov_b32 s10, 0x7f800001
	s_xor_b64 s[4:5], exec, -1
; %bb.2795:
	s_or_b64 exec, exec, s[8:9]
	s_and_b64 s[4:5], s[4:5], exec
	s_or_saveexec_b64 s[6:7], s[6:7]
	v_mov_b32_e32 v2, s10
	s_xor_b64 exec, exec, s[6:7]
	s_cbranch_execz .LBB25_746
.LBB25_2796:
	v_mov_b32_e32 v2, 0
	v_cmp_ne_u16_sdwa s[8:9], v3, v2 src0_sel:BYTE_0 src1_sel:DWORD
	s_andn2_b64 s[4:5], s[4:5], exec
	s_and_b64 s[8:9], s[8:9], exec
	s_or_b64 s[4:5], s[4:5], s[8:9]
	s_or_b64 exec, exec, s[6:7]
	s_and_saveexec_b64 s[6:7], s[4:5]
	s_cbranch_execnz .LBB25_747
	s_branch .LBB25_748
.LBB25_2797:
	s_movk_i32 s4, 0x80
	v_cmp_eq_u16_sdwa s[12:13], v3, s4 src0_sel:BYTE_0 src1_sel:DWORD
	s_mov_b64 s[4:5], -1
                                        ; implicit-def: $sgpr10
	s_and_saveexec_b64 s[8:9], s[12:13]
; %bb.2798:
	s_mov_b32 s10, 0x7f800001
	s_xor_b64 s[4:5], exec, -1
; %bb.2799:
	s_or_b64 exec, exec, s[8:9]
	s_and_b64 s[4:5], s[4:5], exec
	s_or_saveexec_b64 s[6:7], s[6:7]
	v_mov_b32_e32 v4, s10
	s_xor_b64 exec, exec, s[6:7]
	s_cbranch_execz .LBB25_750
.LBB25_2800:
	v_mov_b32_e32 v4, 0
	v_cmp_ne_u16_sdwa s[8:9], v3, v4 src0_sel:BYTE_0 src1_sel:DWORD
	s_andn2_b64 s[4:5], s[4:5], exec
	s_and_b64 s[8:9], s[8:9], exec
	s_or_b64 s[4:5], s[4:5], s[8:9]
	s_or_b64 exec, exec, s[6:7]
	s_and_saveexec_b64 s[6:7], s[4:5]
	s_cbranch_execnz .LBB25_751
	s_branch .LBB25_752
.LBB25_2801:
	s_movk_i32 s4, 0x80
	v_cmp_eq_u16_e32 vcc, s4, v3
	s_mov_b64 s[4:5], -1
                                        ; implicit-def: $sgpr10
	s_and_saveexec_b64 s[8:9], vcc
; %bb.2802:
	s_mov_b32 s10, 0x7f800001
	s_xor_b64 s[4:5], exec, -1
; %bb.2803:
	s_or_b64 exec, exec, s[8:9]
	s_and_b64 s[4:5], s[4:5], exec
                                        ; implicit-def: $vgpr3
	s_or_saveexec_b64 s[6:7], s[6:7]
	v_mov_b32_e32 v2, s10
	s_xor_b64 exec, exec, s[6:7]
	s_cbranch_execz .LBB25_754
.LBB25_2804:
	v_cmp_ne_u16_e32 vcc, 0, v3
	s_andn2_b64 s[4:5], s[4:5], exec
	s_and_b64 s[8:9], vcc, exec
	v_mov_b32_e32 v2, 0
	s_or_b64 s[4:5], s[4:5], s[8:9]
	s_or_b64 exec, exec, s[6:7]
	s_and_saveexec_b64 s[6:7], s[4:5]
	s_cbranch_execnz .LBB25_755
	s_branch .LBB25_756
.LBB25_2805:
	s_movk_i32 s4, 0x80
	v_cmp_eq_u16_e32 vcc, s4, v3
	s_mov_b64 s[4:5], -1
                                        ; implicit-def: $sgpr10
	s_and_saveexec_b64 s[8:9], vcc
; %bb.2806:
	s_mov_b32 s10, 0x7f800001
	s_xor_b64 s[4:5], exec, -1
; %bb.2807:
	s_or_b64 exec, exec, s[8:9]
	s_and_b64 s[4:5], s[4:5], exec
                                        ; implicit-def: $vgpr3
	s_or_saveexec_b64 s[6:7], s[6:7]
	v_mov_b32_e32 v4, s10
	s_xor_b64 exec, exec, s[6:7]
	s_cbranch_execz .LBB25_758
.LBB25_2808:
	v_cmp_ne_u16_e32 vcc, 0, v3
	s_andn2_b64 s[4:5], s[4:5], exec
	s_and_b64 s[8:9], vcc, exec
	v_mov_b32_e32 v4, 0
	s_or_b64 s[4:5], s[4:5], s[8:9]
	s_or_b64 exec, exec, s[6:7]
	s_and_saveexec_b64 s[6:7], s[4:5]
	s_cbranch_execnz .LBB25_759
	s_branch .LBB25_760
.LBB25_2809:
	s_movk_i32 s4, 0x80
	v_cmp_eq_u16_sdwa s[12:13], v9, s4 src0_sel:BYTE_3 src1_sel:DWORD
	s_mov_b64 s[4:5], -1
                                        ; implicit-def: $sgpr10
	s_and_saveexec_b64 s[8:9], s[12:13]
; %bb.2810:
	s_mov_b32 s10, 0x7f800001
	s_xor_b64 s[4:5], exec, -1
; %bb.2811:
	s_or_b64 exec, exec, s[8:9]
	s_and_b64 s[4:5], s[4:5], exec
	s_or_saveexec_b64 s[6:7], s[6:7]
	v_mov_b32_e32 v2, s10
	s_xor_b64 exec, exec, s[6:7]
	s_cbranch_execz .LBB25_762
.LBB25_2812:
	v_mov_b32_e32 v2, 0
	v_cmp_ne_u16_sdwa s[8:9], v9, v2 src0_sel:BYTE_3 src1_sel:DWORD
	s_andn2_b64 s[4:5], s[4:5], exec
	s_and_b64 s[8:9], s[8:9], exec
	s_or_b64 s[4:5], s[4:5], s[8:9]
	s_or_b64 exec, exec, s[6:7]
	s_and_saveexec_b64 s[6:7], s[4:5]
	s_cbranch_execnz .LBB25_763
	s_branch .LBB25_764
.LBB25_2813:
	s_movk_i32 s4, 0x80
	v_cmp_eq_u16_sdwa s[12:13], v5, s4 src0_sel:BYTE_3 src1_sel:DWORD
	s_mov_b64 s[4:5], -1
                                        ; implicit-def: $sgpr10
	s_and_saveexec_b64 s[8:9], s[12:13]
; %bb.2814:
	s_mov_b32 s10, 0x7f800001
	s_xor_b64 s[4:5], exec, -1
; %bb.2815:
	s_or_b64 exec, exec, s[8:9]
	s_and_b64 s[4:5], s[4:5], exec
	s_or_saveexec_b64 s[6:7], s[6:7]
	v_mov_b32_e32 v3, s10
	s_xor_b64 exec, exec, s[6:7]
	s_cbranch_execz .LBB25_766
.LBB25_2816:
	v_mov_b32_e32 v3, 0
	v_cmp_ne_u16_sdwa s[8:9], v5, v3 src0_sel:BYTE_3 src1_sel:DWORD
	s_andn2_b64 s[4:5], s[4:5], exec
	s_and_b64 s[8:9], s[8:9], exec
	s_or_b64 s[4:5], s[4:5], s[8:9]
	s_or_b64 exec, exec, s[6:7]
	s_and_saveexec_b64 s[6:7], s[4:5]
	s_cbranch_execnz .LBB25_767
	s_branch .LBB25_768
.LBB25_2817:
	s_movk_i32 s4, 0x80
	v_cmp_eq_u16_sdwa s[12:13], v14, s4 src0_sel:BYTE_0 src1_sel:DWORD
	s_mov_b64 s[4:5], -1
                                        ; implicit-def: $sgpr10
	s_and_saveexec_b64 s[8:9], s[12:13]
; %bb.2818:
	s_mov_b32 s10, 0x7f800001
	s_xor_b64 s[4:5], exec, -1
; %bb.2819:
	s_or_b64 exec, exec, s[8:9]
	s_and_b64 s[4:5], s[4:5], exec
	s_or_saveexec_b64 s[6:7], s[6:7]
	v_mov_b32_e32 v20, s10
	s_xor_b64 exec, exec, s[6:7]
	s_cbranch_execz .LBB25_770
.LBB25_2820:
	v_mov_b32_e32 v20, 0
	v_cmp_ne_u16_sdwa s[8:9], v14, v20 src0_sel:BYTE_0 src1_sel:DWORD
	s_andn2_b64 s[4:5], s[4:5], exec
	s_and_b64 s[8:9], s[8:9], exec
	s_or_b64 s[4:5], s[4:5], s[8:9]
	s_or_b64 exec, exec, s[6:7]
	s_and_saveexec_b64 s[6:7], s[4:5]
	s_cbranch_execnz .LBB25_771
	s_branch .LBB25_772
.LBB25_2821:
	s_movk_i32 s4, 0x80
	v_cmp_eq_u16_sdwa s[12:13], v10, s4 src0_sel:BYTE_0 src1_sel:DWORD
	s_mov_b64 s[4:5], -1
                                        ; implicit-def: $sgpr10
	s_and_saveexec_b64 s[8:9], s[12:13]
; %bb.2822:
	s_mov_b32 s10, 0x7f800001
	s_xor_b64 s[4:5], exec, -1
; %bb.2823:
	s_or_b64 exec, exec, s[8:9]
	s_and_b64 s[4:5], s[4:5], exec
	s_or_saveexec_b64 s[6:7], s[6:7]
	v_mov_b32_e32 v21, s10
	s_xor_b64 exec, exec, s[6:7]
	s_cbranch_execz .LBB25_774
.LBB25_2824:
	v_mov_b32_e32 v21, 0
	v_cmp_ne_u16_sdwa s[8:9], v10, v21 src0_sel:BYTE_0 src1_sel:DWORD
	s_andn2_b64 s[4:5], s[4:5], exec
	s_and_b64 s[8:9], s[8:9], exec
	s_or_b64 s[4:5], s[4:5], s[8:9]
	s_or_b64 exec, exec, s[6:7]
	s_and_saveexec_b64 s[6:7], s[4:5]
	s_cbranch_execnz .LBB25_775
	s_branch .LBB25_776
.LBB25_2825:
	s_movk_i32 s4, 0x80
	v_cmp_eq_u16_sdwa s[12:13], v21, s4 src0_sel:BYTE_0 src1_sel:DWORD
	s_mov_b64 s[4:5], -1
                                        ; implicit-def: $sgpr10
	s_and_saveexec_b64 s[8:9], s[12:13]
; %bb.2826:
	s_mov_b32 s10, 0x7f800001
	s_xor_b64 s[4:5], exec, -1
; %bb.2827:
	s_or_b64 exec, exec, s[8:9]
	s_and_b64 s[4:5], s[4:5], exec
	s_or_saveexec_b64 s[6:7], s[6:7]
	v_mov_b32_e32 v20, s10
	s_xor_b64 exec, exec, s[6:7]
	s_cbranch_execz .LBB25_778
.LBB25_2828:
	v_mov_b32_e32 v20, 0
	v_cmp_ne_u16_sdwa s[8:9], v21, v20 src0_sel:BYTE_0 src1_sel:DWORD
	s_andn2_b64 s[4:5], s[4:5], exec
	s_and_b64 s[8:9], s[8:9], exec
	s_or_b64 s[4:5], s[4:5], s[8:9]
	s_or_b64 exec, exec, s[6:7]
	s_and_saveexec_b64 s[6:7], s[4:5]
	s_cbranch_execnz .LBB25_779
	s_branch .LBB25_780
.LBB25_2829:
	s_movk_i32 s4, 0x80
	v_cmp_eq_u16_sdwa s[12:13], v21, s4 src0_sel:BYTE_0 src1_sel:DWORD
	s_mov_b64 s[4:5], -1
                                        ; implicit-def: $sgpr10
	s_and_saveexec_b64 s[8:9], s[12:13]
; %bb.2830:
	s_mov_b32 s10, 0x7f800001
	s_xor_b64 s[4:5], exec, -1
; %bb.2831:
	s_or_b64 exec, exec, s[8:9]
	s_and_b64 s[4:5], s[4:5], exec
	s_or_saveexec_b64 s[6:7], s[6:7]
	v_mov_b32_e32 v22, s10
	s_xor_b64 exec, exec, s[6:7]
	s_cbranch_execz .LBB25_782
.LBB25_2832:
	v_mov_b32_e32 v22, 0
	v_cmp_ne_u16_sdwa s[8:9], v21, v22 src0_sel:BYTE_0 src1_sel:DWORD
	s_andn2_b64 s[4:5], s[4:5], exec
	s_and_b64 s[8:9], s[8:9], exec
	s_or_b64 s[4:5], s[4:5], s[8:9]
	s_or_b64 exec, exec, s[6:7]
	s_and_saveexec_b64 s[6:7], s[4:5]
	s_cbranch_execnz .LBB25_783
	s_branch .LBB25_784
.LBB25_2833:
	s_movk_i32 s4, 0x80
	v_cmp_eq_u16_e32 vcc, s4, v21
	s_mov_b64 s[4:5], -1
                                        ; implicit-def: $sgpr10
	s_and_saveexec_b64 s[8:9], vcc
; %bb.2834:
	s_mov_b32 s10, 0x7f800001
	s_xor_b64 s[4:5], exec, -1
; %bb.2835:
	s_or_b64 exec, exec, s[8:9]
	s_and_b64 s[4:5], s[4:5], exec
                                        ; implicit-def: $vgpr21
	s_or_saveexec_b64 s[6:7], s[6:7]
	v_mov_b32_e32 v20, s10
	s_xor_b64 exec, exec, s[6:7]
	s_cbranch_execz .LBB25_786
.LBB25_2836:
	v_cmp_ne_u16_e32 vcc, 0, v21
	s_andn2_b64 s[4:5], s[4:5], exec
	s_and_b64 s[8:9], vcc, exec
	v_mov_b32_e32 v20, 0
	s_or_b64 s[4:5], s[4:5], s[8:9]
	s_or_b64 exec, exec, s[6:7]
	s_and_saveexec_b64 s[6:7], s[4:5]
	s_cbranch_execnz .LBB25_787
	s_branch .LBB25_788
.LBB25_2837:
	s_movk_i32 s4, 0x80
	v_cmp_eq_u16_e32 vcc, s4, v21
	s_mov_b64 s[4:5], -1
                                        ; implicit-def: $sgpr10
	s_and_saveexec_b64 s[8:9], vcc
; %bb.2838:
	s_mov_b32 s10, 0x7f800001
	s_xor_b64 s[4:5], exec, -1
; %bb.2839:
	s_or_b64 exec, exec, s[8:9]
	s_and_b64 s[4:5], s[4:5], exec
                                        ; implicit-def: $vgpr21
	s_or_saveexec_b64 s[6:7], s[6:7]
	v_mov_b32_e32 v22, s10
	s_xor_b64 exec, exec, s[6:7]
	s_cbranch_execz .LBB25_790
.LBB25_2840:
	v_cmp_ne_u16_e32 vcc, 0, v21
	s_andn2_b64 s[4:5], s[4:5], exec
	s_and_b64 s[8:9], vcc, exec
	v_mov_b32_e32 v22, 0
	s_or_b64 s[4:5], s[4:5], s[8:9]
	s_or_b64 exec, exec, s[6:7]
	s_and_saveexec_b64 s[6:7], s[4:5]
	s_cbranch_execnz .LBB25_791
	s_branch .LBB25_792
.LBB25_2841:
	s_movk_i32 s4, 0x80
	v_cmp_eq_u16_sdwa s[12:13], v14, s4 src0_sel:BYTE_3 src1_sel:DWORD
	s_mov_b64 s[4:5], -1
                                        ; implicit-def: $sgpr10
	s_and_saveexec_b64 s[8:9], s[12:13]
; %bb.2842:
	s_mov_b32 s10, 0x7f800001
	s_xor_b64 s[4:5], exec, -1
; %bb.2843:
	s_or_b64 exec, exec, s[8:9]
	s_and_b64 s[4:5], s[4:5], exec
	s_or_saveexec_b64 s[6:7], s[6:7]
	v_mov_b32_e32 v20, s10
	s_xor_b64 exec, exec, s[6:7]
	s_cbranch_execz .LBB25_794
.LBB25_2844:
	v_mov_b32_e32 v20, 0
	v_cmp_ne_u16_sdwa s[8:9], v14, v20 src0_sel:BYTE_3 src1_sel:DWORD
	s_andn2_b64 s[4:5], s[4:5], exec
	s_and_b64 s[8:9], s[8:9], exec
	s_or_b64 s[4:5], s[4:5], s[8:9]
	s_or_b64 exec, exec, s[6:7]
	s_and_saveexec_b64 s[6:7], s[4:5]
	s_cbranch_execnz .LBB25_795
	s_branch .LBB25_796
.LBB25_2845:
	s_movk_i32 s4, 0x80
	v_cmp_eq_u16_sdwa s[12:13], v10, s4 src0_sel:BYTE_3 src1_sel:DWORD
	s_mov_b64 s[4:5], -1
                                        ; implicit-def: $sgpr10
	s_and_saveexec_b64 s[8:9], s[12:13]
; %bb.2846:
	s_mov_b32 s10, 0x7f800001
	s_xor_b64 s[4:5], exec, -1
; %bb.2847:
	s_or_b64 exec, exec, s[8:9]
	s_and_b64 s[4:5], s[4:5], exec
	s_or_saveexec_b64 s[6:7], s[6:7]
	v_mov_b32_e32 v14, s10
	s_xor_b64 exec, exec, s[6:7]
	s_cbranch_execz .LBB25_798
.LBB25_2848:
	v_mov_b32_e32 v14, 0
	v_cmp_ne_u16_sdwa s[8:9], v10, v14 src0_sel:BYTE_3 src1_sel:DWORD
	s_andn2_b64 s[4:5], s[4:5], exec
	s_and_b64 s[8:9], s[8:9], exec
	s_or_b64 s[4:5], s[4:5], s[8:9]
	s_or_b64 exec, exec, s[6:7]
	s_and_saveexec_b64 s[6:7], s[4:5]
	s_cbranch_execnz .LBB25_799
	s_branch .LBB25_800
.LBB25_2849:
	s_movk_i32 s4, 0x80
	v_cmp_eq_u16_sdwa s[12:13], v15, s4 src0_sel:BYTE_0 src1_sel:DWORD
	s_mov_b64 s[4:5], -1
                                        ; implicit-def: $sgpr10
	s_and_saveexec_b64 s[8:9], s[12:13]
; %bb.2850:
	s_mov_b32 s10, 0x7f800001
	s_xor_b64 s[4:5], exec, -1
; %bb.2851:
	s_or_b64 exec, exec, s[8:9]
	s_and_b64 s[4:5], s[4:5], exec
	s_or_saveexec_b64 s[6:7], s[6:7]
	v_mov_b32_e32 v10, s10
	s_xor_b64 exec, exec, s[6:7]
	s_cbranch_execz .LBB25_802
.LBB25_2852:
	v_mov_b32_e32 v10, 0
	v_cmp_ne_u16_sdwa s[8:9], v15, v10 src0_sel:BYTE_0 src1_sel:DWORD
	s_andn2_b64 s[4:5], s[4:5], exec
	s_and_b64 s[8:9], s[8:9], exec
	s_or_b64 s[4:5], s[4:5], s[8:9]
	s_or_b64 exec, exec, s[6:7]
	s_and_saveexec_b64 s[6:7], s[4:5]
	s_cbranch_execnz .LBB25_803
	s_branch .LBB25_804
.LBB25_2853:
	s_movk_i32 s4, 0x80
	v_cmp_eq_u16_sdwa s[12:13], v11, s4 src0_sel:BYTE_0 src1_sel:DWORD
	s_mov_b64 s[4:5], -1
                                        ; implicit-def: $sgpr10
	s_and_saveexec_b64 s[8:9], s[12:13]
; %bb.2854:
	s_mov_b32 s10, 0x7f800001
	s_xor_b64 s[4:5], exec, -1
; %bb.2855:
	s_or_b64 exec, exec, s[8:9]
	s_and_b64 s[4:5], s[4:5], exec
	s_or_saveexec_b64 s[6:7], s[6:7]
	v_mov_b32_e32 v14, s10
	s_xor_b64 exec, exec, s[6:7]
	s_cbranch_execz .LBB25_806
.LBB25_2856:
	v_mov_b32_e32 v14, 0
	v_cmp_ne_u16_sdwa s[8:9], v11, v14 src0_sel:BYTE_0 src1_sel:DWORD
	s_andn2_b64 s[4:5], s[4:5], exec
	s_and_b64 s[8:9], s[8:9], exec
	s_or_b64 s[4:5], s[4:5], s[8:9]
	s_or_b64 exec, exec, s[6:7]
	s_and_saveexec_b64 s[6:7], s[4:5]
	s_cbranch_execnz .LBB25_807
	s_branch .LBB25_808
.LBB25_2857:
	s_movk_i32 s4, 0x80
	v_cmp_eq_u16_sdwa s[12:13], v14, s4 src0_sel:BYTE_0 src1_sel:DWORD
	s_mov_b64 s[4:5], -1
                                        ; implicit-def: $sgpr10
	s_and_saveexec_b64 s[8:9], s[12:13]
; %bb.2858:
	s_mov_b32 s10, 0x7f800001
	s_xor_b64 s[4:5], exec, -1
; %bb.2859:
	s_or_b64 exec, exec, s[8:9]
	s_and_b64 s[4:5], s[4:5], exec
	s_or_saveexec_b64 s[6:7], s[6:7]
	v_mov_b32_e32 v10, s10
	s_xor_b64 exec, exec, s[6:7]
	s_cbranch_execz .LBB25_810
.LBB25_2860:
	v_mov_b32_e32 v10, 0
	v_cmp_ne_u16_sdwa s[8:9], v14, v10 src0_sel:BYTE_0 src1_sel:DWORD
	s_andn2_b64 s[4:5], s[4:5], exec
	s_and_b64 s[8:9], s[8:9], exec
	s_or_b64 s[4:5], s[4:5], s[8:9]
	s_or_b64 exec, exec, s[6:7]
	s_and_saveexec_b64 s[6:7], s[4:5]
	s_cbranch_execnz .LBB25_811
	s_branch .LBB25_812
.LBB25_2861:
	s_movk_i32 s4, 0x80
	v_cmp_eq_u16_sdwa s[12:13], v14, s4 src0_sel:BYTE_0 src1_sel:DWORD
	s_mov_b64 s[4:5], -1
                                        ; implicit-def: $sgpr10
	s_and_saveexec_b64 s[8:9], s[12:13]
; %bb.2862:
	s_mov_b32 s10, 0x7f800001
	s_xor_b64 s[4:5], exec, -1
; %bb.2863:
	s_or_b64 exec, exec, s[8:9]
	s_and_b64 s[4:5], s[4:5], exec
	s_or_saveexec_b64 s[6:7], s[6:7]
	v_mov_b32_e32 v20, s10
	s_xor_b64 exec, exec, s[6:7]
	s_cbranch_execz .LBB25_814
.LBB25_2864:
	v_mov_b32_e32 v20, 0
	v_cmp_ne_u16_sdwa s[8:9], v14, v20 src0_sel:BYTE_0 src1_sel:DWORD
	s_andn2_b64 s[4:5], s[4:5], exec
	s_and_b64 s[8:9], s[8:9], exec
	s_or_b64 s[4:5], s[4:5], s[8:9]
	s_or_b64 exec, exec, s[6:7]
	s_and_saveexec_b64 s[6:7], s[4:5]
	s_cbranch_execnz .LBB25_815
	s_branch .LBB25_816
.LBB25_2865:
	s_movk_i32 s4, 0x80
	v_cmp_eq_u16_e32 vcc, s4, v14
	s_mov_b64 s[4:5], -1
                                        ; implicit-def: $sgpr10
	s_and_saveexec_b64 s[8:9], vcc
; %bb.2866:
	s_mov_b32 s10, 0x7f800001
	s_xor_b64 s[4:5], exec, -1
; %bb.2867:
	s_or_b64 exec, exec, s[8:9]
	s_and_b64 s[4:5], s[4:5], exec
                                        ; implicit-def: $vgpr14
	s_or_saveexec_b64 s[6:7], s[6:7]
	v_mov_b32_e32 v10, s10
	s_xor_b64 exec, exec, s[6:7]
	s_cbranch_execz .LBB25_818
.LBB25_2868:
	v_cmp_ne_u16_e32 vcc, 0, v14
	s_andn2_b64 s[4:5], s[4:5], exec
	s_and_b64 s[8:9], vcc, exec
	v_mov_b32_e32 v10, 0
	s_or_b64 s[4:5], s[4:5], s[8:9]
	s_or_b64 exec, exec, s[6:7]
	s_and_saveexec_b64 s[6:7], s[4:5]
	s_cbranch_execnz .LBB25_819
	s_branch .LBB25_820
.LBB25_2869:
	s_movk_i32 s4, 0x80
	v_cmp_eq_u16_e32 vcc, s4, v14
	s_mov_b64 s[4:5], -1
                                        ; implicit-def: $sgpr10
	s_and_saveexec_b64 s[8:9], vcc
; %bb.2870:
	s_mov_b32 s10, 0x7f800001
	s_xor_b64 s[4:5], exec, -1
; %bb.2871:
	s_or_b64 exec, exec, s[8:9]
	s_and_b64 s[4:5], s[4:5], exec
                                        ; implicit-def: $vgpr14
	s_or_saveexec_b64 s[6:7], s[6:7]
	v_mov_b32_e32 v20, s10
	s_xor_b64 exec, exec, s[6:7]
	s_cbranch_execz .LBB25_822
.LBB25_2872:
	v_cmp_ne_u16_e32 vcc, 0, v14
	s_andn2_b64 s[4:5], s[4:5], exec
	s_and_b64 s[8:9], vcc, exec
	v_mov_b32_e32 v20, 0
	s_or_b64 s[4:5], s[4:5], s[8:9]
	s_or_b64 exec, exec, s[6:7]
	s_and_saveexec_b64 s[6:7], s[4:5]
	s_cbranch_execnz .LBB25_823
	s_branch .LBB25_824
.LBB25_2873:
	s_movk_i32 s4, 0x80
	v_cmp_eq_u16_sdwa s[12:13], v15, s4 src0_sel:BYTE_3 src1_sel:DWORD
	s_mov_b64 s[4:5], -1
                                        ; implicit-def: $sgpr10
	s_and_saveexec_b64 s[8:9], s[12:13]
; %bb.2874:
	s_mov_b32 s10, 0x7f800001
	s_xor_b64 s[4:5], exec, -1
; %bb.2875:
	s_or_b64 exec, exec, s[8:9]
	s_and_b64 s[4:5], s[4:5], exec
	s_or_saveexec_b64 s[6:7], s[6:7]
	v_mov_b32_e32 v10, s10
	s_xor_b64 exec, exec, s[6:7]
	s_cbranch_execz .LBB25_826
.LBB25_2876:
	v_mov_b32_e32 v10, 0
	v_cmp_ne_u16_sdwa s[8:9], v15, v10 src0_sel:BYTE_3 src1_sel:DWORD
	s_andn2_b64 s[4:5], s[4:5], exec
	s_and_b64 s[8:9], s[8:9], exec
	s_or_b64 s[4:5], s[4:5], s[8:9]
	s_or_b64 exec, exec, s[6:7]
	s_and_saveexec_b64 s[6:7], s[4:5]
	s_cbranch_execnz .LBB25_827
	s_branch .LBB25_828
.LBB25_2877:
	s_movk_i32 s4, 0x80
	v_cmp_eq_u16_sdwa s[12:13], v11, s4 src0_sel:BYTE_3 src1_sel:DWORD
	s_mov_b64 s[4:5], -1
                                        ; implicit-def: $sgpr10
	s_and_saveexec_b64 s[8:9], s[12:13]
; %bb.2878:
	s_mov_b32 s10, 0x7f800001
	s_xor_b64 s[4:5], exec, -1
; %bb.2879:
	s_or_b64 exec, exec, s[8:9]
	s_and_b64 s[4:5], s[4:5], exec
	s_or_saveexec_b64 s[6:7], s[6:7]
	v_mov_b32_e32 v14, s10
	s_xor_b64 exec, exec, s[6:7]
	s_cbranch_execz .LBB25_830
.LBB25_2880:
	v_mov_b32_e32 v14, 0
	v_cmp_ne_u16_sdwa s[8:9], v11, v14 src0_sel:BYTE_3 src1_sel:DWORD
	s_andn2_b64 s[4:5], s[4:5], exec
	s_and_b64 s[8:9], s[8:9], exec
	s_or_b64 s[4:5], s[4:5], s[8:9]
	s_or_b64 exec, exec, s[6:7]
	s_and_saveexec_b64 s[6:7], s[4:5]
	s_cbranch_execnz .LBB25_831
	s_branch .LBB25_832
.LBB25_2881:
	s_movk_i32 s4, 0x80
	v_cmp_eq_u16_sdwa s[12:13], v16, s4 src0_sel:BYTE_0 src1_sel:DWORD
	s_mov_b64 s[4:5], -1
                                        ; implicit-def: $sgpr10
	s_and_saveexec_b64 s[8:9], s[12:13]
; %bb.2882:
	s_mov_b32 s10, 0x7f800001
	s_xor_b64 s[4:5], exec, -1
; %bb.2883:
	s_or_b64 exec, exec, s[8:9]
	s_and_b64 s[4:5], s[4:5], exec
	s_or_saveexec_b64 s[6:7], s[6:7]
	v_mov_b32_e32 v10, s10
	s_xor_b64 exec, exec, s[6:7]
	s_cbranch_execz .LBB25_834
.LBB25_2884:
	v_mov_b32_e32 v10, 0
	v_cmp_ne_u16_sdwa s[8:9], v16, v10 src0_sel:BYTE_0 src1_sel:DWORD
	s_andn2_b64 s[4:5], s[4:5], exec
	s_and_b64 s[8:9], s[8:9], exec
	s_or_b64 s[4:5], s[4:5], s[8:9]
	s_or_b64 exec, exec, s[6:7]
	s_and_saveexec_b64 s[6:7], s[4:5]
	s_cbranch_execnz .LBB25_835
	s_branch .LBB25_836
.LBB25_2885:
	s_movk_i32 s4, 0x80
	v_cmp_eq_u16_sdwa s[12:13], v12, s4 src0_sel:BYTE_0 src1_sel:DWORD
	s_mov_b64 s[4:5], -1
                                        ; implicit-def: $sgpr10
	s_and_saveexec_b64 s[8:9], s[12:13]
; %bb.2886:
	s_mov_b32 s10, 0x7f800001
	s_xor_b64 s[4:5], exec, -1
; %bb.2887:
	s_or_b64 exec, exec, s[8:9]
	s_and_b64 s[4:5], s[4:5], exec
	s_or_saveexec_b64 s[6:7], s[6:7]
	v_mov_b32_e32 v11, s10
	s_xor_b64 exec, exec, s[6:7]
	s_cbranch_execz .LBB25_838
.LBB25_2888:
	v_mov_b32_e32 v11, 0
	v_cmp_ne_u16_sdwa s[8:9], v12, v11 src0_sel:BYTE_0 src1_sel:DWORD
	s_andn2_b64 s[4:5], s[4:5], exec
	s_and_b64 s[8:9], s[8:9], exec
	s_or_b64 s[4:5], s[4:5], s[8:9]
	s_or_b64 exec, exec, s[6:7]
	s_and_saveexec_b64 s[6:7], s[4:5]
	s_cbranch_execnz .LBB25_839
	s_branch .LBB25_840
.LBB25_2889:
	s_movk_i32 s4, 0x80
	v_cmp_eq_u16_sdwa s[12:13], v11, s4 src0_sel:BYTE_0 src1_sel:DWORD
	s_mov_b64 s[4:5], -1
                                        ; implicit-def: $sgpr10
	s_and_saveexec_b64 s[8:9], s[12:13]
; %bb.2890:
	s_mov_b32 s10, 0x7f800001
	s_xor_b64 s[4:5], exec, -1
; %bb.2891:
	s_or_b64 exec, exec, s[8:9]
	s_and_b64 s[4:5], s[4:5], exec
	s_or_saveexec_b64 s[6:7], s[6:7]
	v_mov_b32_e32 v10, s10
	s_xor_b64 exec, exec, s[6:7]
	s_cbranch_execz .LBB25_842
.LBB25_2892:
	v_mov_b32_e32 v10, 0
	v_cmp_ne_u16_sdwa s[8:9], v11, v10 src0_sel:BYTE_0 src1_sel:DWORD
	s_andn2_b64 s[4:5], s[4:5], exec
	s_and_b64 s[8:9], s[8:9], exec
	s_or_b64 s[4:5], s[4:5], s[8:9]
	s_or_b64 exec, exec, s[6:7]
	s_and_saveexec_b64 s[6:7], s[4:5]
	s_cbranch_execnz .LBB25_843
	s_branch .LBB25_844
.LBB25_2893:
	s_movk_i32 s4, 0x80
	v_cmp_eq_u16_sdwa s[12:13], v11, s4 src0_sel:BYTE_0 src1_sel:DWORD
	s_mov_b64 s[4:5], -1
                                        ; implicit-def: $sgpr10
	s_and_saveexec_b64 s[8:9], s[12:13]
; %bb.2894:
	s_mov_b32 s10, 0x7f800001
	s_xor_b64 s[4:5], exec, -1
; %bb.2895:
	s_or_b64 exec, exec, s[8:9]
	s_and_b64 s[4:5], s[4:5], exec
	s_or_saveexec_b64 s[6:7], s[6:7]
	v_mov_b32_e32 v14, s10
	s_xor_b64 exec, exec, s[6:7]
	s_cbranch_execz .LBB25_846
.LBB25_2896:
	v_mov_b32_e32 v14, 0
	v_cmp_ne_u16_sdwa s[8:9], v11, v14 src0_sel:BYTE_0 src1_sel:DWORD
	s_andn2_b64 s[4:5], s[4:5], exec
	s_and_b64 s[8:9], s[8:9], exec
	s_or_b64 s[4:5], s[4:5], s[8:9]
	s_or_b64 exec, exec, s[6:7]
	s_and_saveexec_b64 s[6:7], s[4:5]
	s_cbranch_execnz .LBB25_847
	s_branch .LBB25_848
.LBB25_2897:
	s_movk_i32 s4, 0x80
	v_cmp_eq_u16_e32 vcc, s4, v11
	s_mov_b64 s[4:5], -1
                                        ; implicit-def: $sgpr10
	s_and_saveexec_b64 s[8:9], vcc
; %bb.2898:
	s_mov_b32 s10, 0x7f800001
	s_xor_b64 s[4:5], exec, -1
; %bb.2899:
	s_or_b64 exec, exec, s[8:9]
	s_and_b64 s[4:5], s[4:5], exec
                                        ; implicit-def: $vgpr11
	s_or_saveexec_b64 s[6:7], s[6:7]
	v_mov_b32_e32 v10, s10
	s_xor_b64 exec, exec, s[6:7]
	s_cbranch_execz .LBB25_850
.LBB25_2900:
	v_cmp_ne_u16_e32 vcc, 0, v11
	s_andn2_b64 s[4:5], s[4:5], exec
	s_and_b64 s[8:9], vcc, exec
	v_mov_b32_e32 v10, 0
	s_or_b64 s[4:5], s[4:5], s[8:9]
	s_or_b64 exec, exec, s[6:7]
	s_and_saveexec_b64 s[6:7], s[4:5]
	s_cbranch_execnz .LBB25_851
	s_branch .LBB25_852
.LBB25_2901:
	s_movk_i32 s4, 0x80
	v_cmp_eq_u16_e32 vcc, s4, v11
	s_mov_b64 s[4:5], -1
                                        ; implicit-def: $sgpr10
	s_and_saveexec_b64 s[8:9], vcc
; %bb.2902:
	s_mov_b32 s10, 0x7f800001
	s_xor_b64 s[4:5], exec, -1
; %bb.2903:
	s_or_b64 exec, exec, s[8:9]
	s_and_b64 s[4:5], s[4:5], exec
                                        ; implicit-def: $vgpr11
	s_or_saveexec_b64 s[6:7], s[6:7]
	v_mov_b32_e32 v14, s10
	s_xor_b64 exec, exec, s[6:7]
	s_cbranch_execz .LBB25_854
.LBB25_2904:
	v_cmp_ne_u16_e32 vcc, 0, v11
	s_andn2_b64 s[4:5], s[4:5], exec
	s_and_b64 s[8:9], vcc, exec
	v_mov_b32_e32 v14, 0
	s_or_b64 s[4:5], s[4:5], s[8:9]
	s_or_b64 exec, exec, s[6:7]
	s_and_saveexec_b64 s[6:7], s[4:5]
	s_cbranch_execnz .LBB25_855
	s_branch .LBB25_856
.LBB25_2905:
	s_movk_i32 s4, 0x80
	v_cmp_eq_u16_sdwa s[12:13], v16, s4 src0_sel:BYTE_3 src1_sel:DWORD
	s_mov_b64 s[4:5], -1
                                        ; implicit-def: $sgpr10
	s_and_saveexec_b64 s[8:9], s[12:13]
; %bb.2906:
	s_mov_b32 s10, 0x7f800001
	s_xor_b64 s[4:5], exec, -1
; %bb.2907:
	s_or_b64 exec, exec, s[8:9]
	s_and_b64 s[4:5], s[4:5], exec
	s_or_saveexec_b64 s[6:7], s[6:7]
	v_mov_b32_e32 v10, s10
	s_xor_b64 exec, exec, s[6:7]
	s_cbranch_execz .LBB25_858
.LBB25_2908:
	v_mov_b32_e32 v10, 0
	v_cmp_ne_u16_sdwa s[8:9], v16, v10 src0_sel:BYTE_3 src1_sel:DWORD
	s_andn2_b64 s[4:5], s[4:5], exec
	s_and_b64 s[8:9], s[8:9], exec
	s_or_b64 s[4:5], s[4:5], s[8:9]
	s_or_b64 exec, exec, s[6:7]
	s_and_saveexec_b64 s[6:7], s[4:5]
	s_cbranch_execnz .LBB25_859
	s_branch .LBB25_860
.LBB25_2909:
	s_movk_i32 s4, 0x80
	v_cmp_eq_u16_sdwa s[12:13], v12, s4 src0_sel:BYTE_3 src1_sel:DWORD
	s_mov_b64 s[4:5], -1
                                        ; implicit-def: $sgpr10
	s_and_saveexec_b64 s[8:9], s[12:13]
; %bb.2910:
	s_mov_b32 s10, 0x7f800001
	s_xor_b64 s[4:5], exec, -1
; %bb.2911:
	s_or_b64 exec, exec, s[8:9]
	s_and_b64 s[4:5], s[4:5], exec
	s_or_saveexec_b64 s[6:7], s[6:7]
	v_mov_b32_e32 v11, s10
	s_xor_b64 exec, exec, s[6:7]
	s_cbranch_execz .LBB25_862
.LBB25_2912:
	v_mov_b32_e32 v11, 0
	v_cmp_ne_u16_sdwa s[8:9], v12, v11 src0_sel:BYTE_3 src1_sel:DWORD
	s_andn2_b64 s[4:5], s[4:5], exec
	s_and_b64 s[8:9], s[8:9], exec
	s_or_b64 s[4:5], s[4:5], s[8:9]
	s_or_b64 exec, exec, s[6:7]
	s_and_saveexec_b64 s[6:7], s[4:5]
	s_cbranch_execnz .LBB25_863
	s_branch .LBB25_864
.LBB25_2913:
	s_movk_i32 s4, 0x80
	v_cmp_eq_u16_sdwa s[12:13], v17, s4 src0_sel:BYTE_0 src1_sel:DWORD
	s_mov_b64 s[4:5], -1
                                        ; implicit-def: $sgpr10
	s_and_saveexec_b64 s[8:9], s[12:13]
; %bb.2914:
	s_mov_b32 s10, 0x7f800001
	s_xor_b64 s[4:5], exec, -1
; %bb.2915:
	s_or_b64 exec, exec, s[8:9]
	s_and_b64 s[4:5], s[4:5], exec
	s_or_saveexec_b64 s[6:7], s[6:7]
	v_mov_b32_e32 v10, s10
	s_xor_b64 exec, exec, s[6:7]
	s_cbranch_execz .LBB25_866
.LBB25_2916:
	v_mov_b32_e32 v10, 0
	v_cmp_ne_u16_sdwa s[8:9], v17, v10 src0_sel:BYTE_0 src1_sel:DWORD
	s_andn2_b64 s[4:5], s[4:5], exec
	s_and_b64 s[8:9], s[8:9], exec
	s_or_b64 s[4:5], s[4:5], s[8:9]
	s_or_b64 exec, exec, s[6:7]
	s_and_saveexec_b64 s[6:7], s[4:5]
	s_cbranch_execnz .LBB25_867
	s_branch .LBB25_868
.LBB25_2917:
	s_movk_i32 s4, 0x80
	v_cmp_eq_u16_sdwa s[12:13], v13, s4 src0_sel:BYTE_0 src1_sel:DWORD
	s_mov_b64 s[4:5], -1
                                        ; implicit-def: $sgpr10
	s_and_saveexec_b64 s[8:9], s[12:13]
; %bb.2918:
	s_mov_b32 s10, 0x7f800001
	s_xor_b64 s[4:5], exec, -1
; %bb.2919:
	s_or_b64 exec, exec, s[8:9]
	s_and_b64 s[4:5], s[4:5], exec
	s_or_saveexec_b64 s[6:7], s[6:7]
	v_mov_b32_e32 v11, s10
	s_xor_b64 exec, exec, s[6:7]
	s_cbranch_execz .LBB25_870
.LBB25_2920:
	v_mov_b32_e32 v11, 0
	v_cmp_ne_u16_sdwa s[8:9], v13, v11 src0_sel:BYTE_0 src1_sel:DWORD
	s_andn2_b64 s[4:5], s[4:5], exec
	s_and_b64 s[8:9], s[8:9], exec
	s_or_b64 s[4:5], s[4:5], s[8:9]
	s_or_b64 exec, exec, s[6:7]
	s_and_saveexec_b64 s[6:7], s[4:5]
	s_cbranch_execnz .LBB25_871
	s_branch .LBB25_872
.LBB25_2921:
	s_movk_i32 s4, 0x80
	v_cmp_eq_u16_sdwa s[12:13], v11, s4 src0_sel:BYTE_0 src1_sel:DWORD
	s_mov_b64 s[4:5], -1
                                        ; implicit-def: $sgpr10
	s_and_saveexec_b64 s[8:9], s[12:13]
; %bb.2922:
	s_mov_b32 s10, 0x7f800001
	s_xor_b64 s[4:5], exec, -1
; %bb.2923:
	s_or_b64 exec, exec, s[8:9]
	s_and_b64 s[4:5], s[4:5], exec
	s_or_saveexec_b64 s[6:7], s[6:7]
	v_mov_b32_e32 v10, s10
	s_xor_b64 exec, exec, s[6:7]
	s_cbranch_execz .LBB25_874
.LBB25_2924:
	v_mov_b32_e32 v10, 0
	v_cmp_ne_u16_sdwa s[8:9], v11, v10 src0_sel:BYTE_0 src1_sel:DWORD
	s_andn2_b64 s[4:5], s[4:5], exec
	s_and_b64 s[8:9], s[8:9], exec
	s_or_b64 s[4:5], s[4:5], s[8:9]
	s_or_b64 exec, exec, s[6:7]
	s_and_saveexec_b64 s[6:7], s[4:5]
	s_cbranch_execnz .LBB25_875
	s_branch .LBB25_876
.LBB25_2925:
	s_movk_i32 s4, 0x80
	v_cmp_eq_u16_sdwa s[12:13], v11, s4 src0_sel:BYTE_0 src1_sel:DWORD
	s_mov_b64 s[4:5], -1
                                        ; implicit-def: $sgpr10
	s_and_saveexec_b64 s[8:9], s[12:13]
; %bb.2926:
	s_mov_b32 s10, 0x7f800001
	s_xor_b64 s[4:5], exec, -1
; %bb.2927:
	s_or_b64 exec, exec, s[8:9]
	s_and_b64 s[4:5], s[4:5], exec
	s_or_saveexec_b64 s[6:7], s[6:7]
	v_mov_b32_e32 v12, s10
	s_xor_b64 exec, exec, s[6:7]
	s_cbranch_execz .LBB25_878
.LBB25_2928:
	v_mov_b32_e32 v12, 0
	v_cmp_ne_u16_sdwa s[8:9], v11, v12 src0_sel:BYTE_0 src1_sel:DWORD
	s_andn2_b64 s[4:5], s[4:5], exec
	s_and_b64 s[8:9], s[8:9], exec
	s_or_b64 s[4:5], s[4:5], s[8:9]
	s_or_b64 exec, exec, s[6:7]
	s_and_saveexec_b64 s[6:7], s[4:5]
	s_cbranch_execnz .LBB25_879
	s_branch .LBB25_880
.LBB25_2929:
	s_movk_i32 s4, 0x80
	v_cmp_eq_u16_e32 vcc, s4, v11
	s_mov_b64 s[4:5], -1
                                        ; implicit-def: $sgpr10
	s_and_saveexec_b64 s[8:9], vcc
; %bb.2930:
	s_mov_b32 s10, 0x7f800001
	s_xor_b64 s[4:5], exec, -1
; %bb.2931:
	s_or_b64 exec, exec, s[8:9]
	s_and_b64 s[4:5], s[4:5], exec
                                        ; implicit-def: $vgpr11
	s_or_saveexec_b64 s[6:7], s[6:7]
	v_mov_b32_e32 v10, s10
	s_xor_b64 exec, exec, s[6:7]
	s_cbranch_execz .LBB25_882
.LBB25_2932:
	v_cmp_ne_u16_e32 vcc, 0, v11
	s_andn2_b64 s[4:5], s[4:5], exec
	s_and_b64 s[8:9], vcc, exec
	v_mov_b32_e32 v10, 0
	s_or_b64 s[4:5], s[4:5], s[8:9]
	s_or_b64 exec, exec, s[6:7]
	s_and_saveexec_b64 s[6:7], s[4:5]
	s_cbranch_execnz .LBB25_883
	s_branch .LBB25_884
.LBB25_2933:
	s_movk_i32 s4, 0x80
	v_cmp_eq_u16_e32 vcc, s4, v11
	s_mov_b64 s[4:5], -1
                                        ; implicit-def: $sgpr10
	s_and_saveexec_b64 s[8:9], vcc
; %bb.2934:
	s_mov_b32 s10, 0x7f800001
	s_xor_b64 s[4:5], exec, -1
; %bb.2935:
	s_or_b64 exec, exec, s[8:9]
	s_and_b64 s[4:5], s[4:5], exec
                                        ; implicit-def: $vgpr11
	s_or_saveexec_b64 s[6:7], s[6:7]
	v_mov_b32_e32 v12, s10
	s_xor_b64 exec, exec, s[6:7]
	s_cbranch_execz .LBB25_886
.LBB25_2936:
	v_cmp_ne_u16_e32 vcc, 0, v11
	s_andn2_b64 s[4:5], s[4:5], exec
	s_and_b64 s[8:9], vcc, exec
	v_mov_b32_e32 v12, 0
	s_or_b64 s[4:5], s[4:5], s[8:9]
	s_or_b64 exec, exec, s[6:7]
	s_and_saveexec_b64 s[6:7], s[4:5]
	s_cbranch_execnz .LBB25_887
	s_branch .LBB25_888
.LBB25_2937:
	s_movk_i32 s4, 0x80
	v_cmp_eq_u16_sdwa s[12:13], v17, s4 src0_sel:BYTE_3 src1_sel:DWORD
	s_mov_b64 s[4:5], -1
                                        ; implicit-def: $sgpr10
	s_and_saveexec_b64 s[8:9], s[12:13]
; %bb.2938:
	s_mov_b32 s10, 0x7f800001
	s_xor_b64 s[4:5], exec, -1
; %bb.2939:
	s_or_b64 exec, exec, s[8:9]
	s_and_b64 s[4:5], s[4:5], exec
	s_or_saveexec_b64 s[6:7], s[6:7]
	v_mov_b32_e32 v10, s10
	s_xor_b64 exec, exec, s[6:7]
	s_cbranch_execz .LBB25_890
.LBB25_2940:
	v_mov_b32_e32 v10, 0
	v_cmp_ne_u16_sdwa s[8:9], v17, v10 src0_sel:BYTE_3 src1_sel:DWORD
	s_andn2_b64 s[4:5], s[4:5], exec
	s_and_b64 s[8:9], s[8:9], exec
	s_or_b64 s[4:5], s[4:5], s[8:9]
	s_or_b64 exec, exec, s[6:7]
	s_and_saveexec_b64 s[6:7], s[4:5]
	s_cbranch_execnz .LBB25_891
	s_branch .LBB25_892
.LBB25_2941:
	s_movk_i32 s4, 0x80
	v_cmp_eq_u16_sdwa s[12:13], v13, s4 src0_sel:BYTE_3 src1_sel:DWORD
	s_mov_b64 s[4:5], -1
                                        ; implicit-def: $sgpr10
	s_and_saveexec_b64 s[8:9], s[12:13]
; %bb.2942:
	s_mov_b32 s10, 0x7f800001
	s_xor_b64 s[4:5], exec, -1
; %bb.2943:
	s_or_b64 exec, exec, s[8:9]
	s_and_b64 s[4:5], s[4:5], exec
	s_or_saveexec_b64 s[6:7], s[6:7]
	v_mov_b32_e32 v11, s10
	s_xor_b64 exec, exec, s[6:7]
	s_cbranch_execz .LBB25_894
.LBB25_2944:
	v_mov_b32_e32 v11, 0
	v_cmp_ne_u16_sdwa s[8:9], v13, v11 src0_sel:BYTE_3 src1_sel:DWORD
	s_andn2_b64 s[4:5], s[4:5], exec
	s_and_b64 s[8:9], s[8:9], exec
	s_or_b64 s[4:5], s[4:5], s[8:9]
	s_or_b64 exec, exec, s[6:7]
	s_and_saveexec_b64 s[6:7], s[4:5]
	s_cbranch_execnz .LBB25_895
	s_branch .LBB25_896
.LBB25_2945:
	s_movk_i32 s4, 0x80
	v_cmp_eq_u16_sdwa s[12:13], v6, s4 src0_sel:BYTE_0 src1_sel:DWORD
	s_mov_b64 s[4:5], -1
                                        ; implicit-def: $sgpr10
	s_and_saveexec_b64 s[8:9], s[12:13]
; %bb.2946:
	s_mov_b32 s10, 0x7f800001
	s_xor_b64 s[4:5], exec, -1
; %bb.2947:
	s_or_b64 exec, exec, s[8:9]
	s_and_b64 s[4:5], s[4:5], exec
	s_or_saveexec_b64 s[6:7], s[6:7]
	v_mov_b32_e32 v10, s10
	s_xor_b64 exec, exec, s[6:7]
	s_cbranch_execz .LBB25_898
.LBB25_2948:
	v_mov_b32_e32 v10, 0
	v_cmp_ne_u16_sdwa s[8:9], v6, v10 src0_sel:BYTE_0 src1_sel:DWORD
	s_andn2_b64 s[4:5], s[4:5], exec
	s_and_b64 s[8:9], s[8:9], exec
	s_or_b64 s[4:5], s[4:5], s[8:9]
	s_or_b64 exec, exec, s[6:7]
	s_and_saveexec_b64 s[6:7], s[4:5]
	s_cbranch_execnz .LBB25_899
	s_branch .LBB25_900
.LBB25_2949:
	s_movk_i32 s4, 0x80
	v_cmp_eq_u16_sdwa s[12:13], v2, s4 src0_sel:BYTE_0 src1_sel:DWORD
	s_mov_b64 s[4:5], -1
                                        ; implicit-def: $sgpr10
	s_and_saveexec_b64 s[8:9], s[12:13]
; %bb.2950:
	s_mov_b32 s10, 0x7f800001
	s_xor_b64 s[4:5], exec, -1
; %bb.2951:
	s_or_b64 exec, exec, s[8:9]
	s_and_b64 s[4:5], s[4:5], exec
	s_or_saveexec_b64 s[6:7], s[6:7]
	v_mov_b32_e32 v11, s10
	s_xor_b64 exec, exec, s[6:7]
	s_cbranch_execz .LBB25_902
.LBB25_2952:
	v_mov_b32_e32 v11, 0
	v_cmp_ne_u16_sdwa s[8:9], v2, v11 src0_sel:BYTE_0 src1_sel:DWORD
	s_andn2_b64 s[4:5], s[4:5], exec
	s_and_b64 s[8:9], s[8:9], exec
	s_or_b64 s[4:5], s[4:5], s[8:9]
	s_or_b64 exec, exec, s[6:7]
	s_and_saveexec_b64 s[6:7], s[4:5]
	s_cbranch_execnz .LBB25_903
	s_branch .LBB25_904
.LBB25_2953:
	s_movk_i32 s4, 0x80
	v_cmp_eq_u16_sdwa s[12:13], v11, s4 src0_sel:BYTE_0 src1_sel:DWORD
	s_mov_b64 s[4:5], -1
                                        ; implicit-def: $sgpr10
	s_and_saveexec_b64 s[8:9], s[12:13]
; %bb.2954:
	s_mov_b32 s10, 0x7f800001
	s_xor_b64 s[4:5], exec, -1
; %bb.2955:
	s_or_b64 exec, exec, s[8:9]
	s_and_b64 s[4:5], s[4:5], exec
	s_or_saveexec_b64 s[6:7], s[6:7]
	v_mov_b32_e32 v10, s10
	s_xor_b64 exec, exec, s[6:7]
	s_cbranch_execz .LBB25_906
.LBB25_2956:
	v_mov_b32_e32 v10, 0
	v_cmp_ne_u16_sdwa s[8:9], v11, v10 src0_sel:BYTE_0 src1_sel:DWORD
	s_andn2_b64 s[4:5], s[4:5], exec
	s_and_b64 s[8:9], s[8:9], exec
	s_or_b64 s[4:5], s[4:5], s[8:9]
	s_or_b64 exec, exec, s[6:7]
	s_and_saveexec_b64 s[6:7], s[4:5]
	s_cbranch_execnz .LBB25_907
	s_branch .LBB25_908
.LBB25_2957:
	s_movk_i32 s4, 0x80
	v_cmp_eq_u16_sdwa s[12:13], v11, s4 src0_sel:BYTE_0 src1_sel:DWORD
	s_mov_b64 s[4:5], -1
                                        ; implicit-def: $sgpr10
	s_and_saveexec_b64 s[8:9], s[12:13]
; %bb.2958:
	s_mov_b32 s10, 0x7f800001
	s_xor_b64 s[4:5], exec, -1
; %bb.2959:
	s_or_b64 exec, exec, s[8:9]
	s_and_b64 s[4:5], s[4:5], exec
	s_or_saveexec_b64 s[6:7], s[6:7]
	v_mov_b32_e32 v12, s10
	s_xor_b64 exec, exec, s[6:7]
	s_cbranch_execz .LBB25_910
.LBB25_2960:
	v_mov_b32_e32 v12, 0
	v_cmp_ne_u16_sdwa s[8:9], v11, v12 src0_sel:BYTE_0 src1_sel:DWORD
	s_andn2_b64 s[4:5], s[4:5], exec
	s_and_b64 s[8:9], s[8:9], exec
	s_or_b64 s[4:5], s[4:5], s[8:9]
	s_or_b64 exec, exec, s[6:7]
	s_and_saveexec_b64 s[6:7], s[4:5]
	s_cbranch_execnz .LBB25_911
	s_branch .LBB25_912
.LBB25_2961:
	s_movk_i32 s4, 0x80
	v_cmp_eq_u16_e32 vcc, s4, v11
	s_mov_b64 s[4:5], -1
                                        ; implicit-def: $sgpr10
	s_and_saveexec_b64 s[8:9], vcc
; %bb.2962:
	s_mov_b32 s10, 0x7f800001
	s_xor_b64 s[4:5], exec, -1
; %bb.2963:
	s_or_b64 exec, exec, s[8:9]
	s_and_b64 s[4:5], s[4:5], exec
                                        ; implicit-def: $vgpr11
	s_or_saveexec_b64 s[6:7], s[6:7]
	v_mov_b32_e32 v10, s10
	s_xor_b64 exec, exec, s[6:7]
	s_cbranch_execz .LBB25_914
.LBB25_2964:
	v_cmp_ne_u16_e32 vcc, 0, v11
	s_andn2_b64 s[4:5], s[4:5], exec
	s_and_b64 s[8:9], vcc, exec
	v_mov_b32_e32 v10, 0
	s_or_b64 s[4:5], s[4:5], s[8:9]
	s_or_b64 exec, exec, s[6:7]
	s_and_saveexec_b64 s[6:7], s[4:5]
	s_cbranch_execnz .LBB25_915
	s_branch .LBB25_916
.LBB25_2965:
	s_movk_i32 s4, 0x80
	v_cmp_eq_u16_e32 vcc, s4, v11
	s_mov_b64 s[4:5], -1
                                        ; implicit-def: $sgpr10
	s_and_saveexec_b64 s[8:9], vcc
; %bb.2966:
	s_mov_b32 s10, 0x7f800001
	s_xor_b64 s[4:5], exec, -1
; %bb.2967:
	s_or_b64 exec, exec, s[8:9]
	s_and_b64 s[4:5], s[4:5], exec
                                        ; implicit-def: $vgpr11
	s_or_saveexec_b64 s[6:7], s[6:7]
	v_mov_b32_e32 v12, s10
	s_xor_b64 exec, exec, s[6:7]
	s_cbranch_execz .LBB25_918
.LBB25_2968:
	v_cmp_ne_u16_e32 vcc, 0, v11
	s_andn2_b64 s[4:5], s[4:5], exec
	s_and_b64 s[8:9], vcc, exec
	v_mov_b32_e32 v12, 0
	s_or_b64 s[4:5], s[4:5], s[8:9]
	s_or_b64 exec, exec, s[6:7]
	s_and_saveexec_b64 s[6:7], s[4:5]
	s_cbranch_execnz .LBB25_919
	s_branch .LBB25_920
.LBB25_2969:
	s_movk_i32 s4, 0x80
	v_cmp_eq_u16_sdwa s[12:13], v6, s4 src0_sel:BYTE_3 src1_sel:DWORD
	s_mov_b64 s[4:5], -1
                                        ; implicit-def: $sgpr10
	s_and_saveexec_b64 s[8:9], s[12:13]
; %bb.2970:
	s_mov_b32 s10, 0x7f800001
	s_xor_b64 s[4:5], exec, -1
; %bb.2971:
	s_or_b64 exec, exec, s[8:9]
	s_and_b64 s[4:5], s[4:5], exec
	s_or_saveexec_b64 s[6:7], s[6:7]
	v_mov_b32_e32 v10, s10
	s_xor_b64 exec, exec, s[6:7]
	s_cbranch_execz .LBB25_922
.LBB25_2972:
	v_mov_b32_e32 v10, 0
	v_cmp_ne_u16_sdwa s[8:9], v6, v10 src0_sel:BYTE_3 src1_sel:DWORD
	s_andn2_b64 s[4:5], s[4:5], exec
	s_and_b64 s[8:9], s[8:9], exec
	s_or_b64 s[4:5], s[4:5], s[8:9]
	s_or_b64 exec, exec, s[6:7]
	s_and_saveexec_b64 s[6:7], s[4:5]
	s_cbranch_execnz .LBB25_923
	s_branch .LBB25_924
.LBB25_2973:
	s_movk_i32 s4, 0x80
	v_cmp_eq_u16_sdwa s[12:13], v2, s4 src0_sel:BYTE_3 src1_sel:DWORD
	s_mov_b64 s[4:5], -1
                                        ; implicit-def: $sgpr10
	s_and_saveexec_b64 s[8:9], s[12:13]
; %bb.2974:
	s_mov_b32 s10, 0x7f800001
	s_xor_b64 s[4:5], exec, -1
; %bb.2975:
	s_or_b64 exec, exec, s[8:9]
	s_and_b64 s[4:5], s[4:5], exec
	s_or_saveexec_b64 s[6:7], s[6:7]
	v_mov_b32_e32 v6, s10
	s_xor_b64 exec, exec, s[6:7]
	s_cbranch_execz .LBB25_926
.LBB25_2976:
	v_mov_b32_e32 v6, 0
	v_cmp_ne_u16_sdwa s[8:9], v2, v6 src0_sel:BYTE_3 src1_sel:DWORD
	s_andn2_b64 s[4:5], s[4:5], exec
	s_and_b64 s[8:9], s[8:9], exec
	s_or_b64 s[4:5], s[4:5], s[8:9]
	s_or_b64 exec, exec, s[6:7]
	s_and_saveexec_b64 s[6:7], s[4:5]
	s_cbranch_execnz .LBB25_927
	s_branch .LBB25_928
.LBB25_2977:
	s_movk_i32 s4, 0x80
	v_cmp_eq_u16_sdwa s[12:13], v7, s4 src0_sel:BYTE_0 src1_sel:DWORD
	s_mov_b64 s[4:5], -1
                                        ; implicit-def: $sgpr10
	s_and_saveexec_b64 s[8:9], s[12:13]
; %bb.2978:
	s_mov_b32 s10, 0x7f800001
	s_xor_b64 s[4:5], exec, -1
; %bb.2979:
	s_or_b64 exec, exec, s[8:9]
	s_and_b64 s[4:5], s[4:5], exec
	s_or_saveexec_b64 s[6:7], s[6:7]
	v_mov_b32_e32 v2, s10
	s_xor_b64 exec, exec, s[6:7]
	s_cbranch_execz .LBB25_930
.LBB25_2980:
	v_mov_b32_e32 v2, 0
	v_cmp_ne_u16_sdwa s[8:9], v7, v2 src0_sel:BYTE_0 src1_sel:DWORD
	s_andn2_b64 s[4:5], s[4:5], exec
	s_and_b64 s[8:9], s[8:9], exec
	s_or_b64 s[4:5], s[4:5], s[8:9]
	s_or_b64 exec, exec, s[6:7]
	s_and_saveexec_b64 s[6:7], s[4:5]
	s_cbranch_execnz .LBB25_931
	s_branch .LBB25_932
.LBB25_2981:
	s_movk_i32 s4, 0x80
	v_cmp_eq_u16_sdwa s[12:13], v3, s4 src0_sel:BYTE_0 src1_sel:DWORD
	s_mov_b64 s[4:5], -1
                                        ; implicit-def: $sgpr10
	s_and_saveexec_b64 s[8:9], s[12:13]
; %bb.2982:
	s_mov_b32 s10, 0x7f800001
	s_xor_b64 s[4:5], exec, -1
; %bb.2983:
	s_or_b64 exec, exec, s[8:9]
	s_and_b64 s[4:5], s[4:5], exec
	s_or_saveexec_b64 s[6:7], s[6:7]
	v_mov_b32_e32 v6, s10
	s_xor_b64 exec, exec, s[6:7]
	s_cbranch_execz .LBB25_934
.LBB25_2984:
	v_mov_b32_e32 v6, 0
	v_cmp_ne_u16_sdwa s[8:9], v3, v6 src0_sel:BYTE_0 src1_sel:DWORD
	s_andn2_b64 s[4:5], s[4:5], exec
	s_and_b64 s[8:9], s[8:9], exec
	s_or_b64 s[4:5], s[4:5], s[8:9]
	s_or_b64 exec, exec, s[6:7]
	s_and_saveexec_b64 s[6:7], s[4:5]
	s_cbranch_execnz .LBB25_935
	s_branch .LBB25_936
.LBB25_2985:
	s_movk_i32 s4, 0x80
	v_cmp_eq_u16_sdwa s[12:13], v6, s4 src0_sel:BYTE_0 src1_sel:DWORD
	s_mov_b64 s[4:5], -1
                                        ; implicit-def: $sgpr10
	s_and_saveexec_b64 s[8:9], s[12:13]
; %bb.2986:
	s_mov_b32 s10, 0x7f800001
	s_xor_b64 s[4:5], exec, -1
; %bb.2987:
	s_or_b64 exec, exec, s[8:9]
	s_and_b64 s[4:5], s[4:5], exec
	s_or_saveexec_b64 s[6:7], s[6:7]
	v_mov_b32_e32 v2, s10
	s_xor_b64 exec, exec, s[6:7]
	s_cbranch_execz .LBB25_938
.LBB25_2988:
	v_mov_b32_e32 v2, 0
	v_cmp_ne_u16_sdwa s[8:9], v6, v2 src0_sel:BYTE_0 src1_sel:DWORD
	s_andn2_b64 s[4:5], s[4:5], exec
	s_and_b64 s[8:9], s[8:9], exec
	s_or_b64 s[4:5], s[4:5], s[8:9]
	s_or_b64 exec, exec, s[6:7]
	s_and_saveexec_b64 s[6:7], s[4:5]
	s_cbranch_execnz .LBB25_939
	s_branch .LBB25_940
.LBB25_2989:
	s_movk_i32 s4, 0x80
	v_cmp_eq_u16_sdwa s[12:13], v6, s4 src0_sel:BYTE_0 src1_sel:DWORD
	s_mov_b64 s[4:5], -1
                                        ; implicit-def: $sgpr10
	s_and_saveexec_b64 s[8:9], s[12:13]
; %bb.2990:
	s_mov_b32 s10, 0x7f800001
	s_xor_b64 s[4:5], exec, -1
; %bb.2991:
	s_or_b64 exec, exec, s[8:9]
	s_and_b64 s[4:5], s[4:5], exec
	s_or_saveexec_b64 s[6:7], s[6:7]
	v_mov_b32_e32 v10, s10
	s_xor_b64 exec, exec, s[6:7]
	s_cbranch_execz .LBB25_942
.LBB25_2992:
	v_mov_b32_e32 v10, 0
	v_cmp_ne_u16_sdwa s[8:9], v6, v10 src0_sel:BYTE_0 src1_sel:DWORD
	s_andn2_b64 s[4:5], s[4:5], exec
	s_and_b64 s[8:9], s[8:9], exec
	s_or_b64 s[4:5], s[4:5], s[8:9]
	s_or_b64 exec, exec, s[6:7]
	s_and_saveexec_b64 s[6:7], s[4:5]
	s_cbranch_execnz .LBB25_943
	s_branch .LBB25_944
.LBB25_2993:
	s_movk_i32 s4, 0x80
	v_cmp_eq_u16_e32 vcc, s4, v6
	s_mov_b64 s[4:5], -1
                                        ; implicit-def: $sgpr10
	s_and_saveexec_b64 s[8:9], vcc
; %bb.2994:
	s_mov_b32 s10, 0x7f800001
	s_xor_b64 s[4:5], exec, -1
; %bb.2995:
	s_or_b64 exec, exec, s[8:9]
	s_and_b64 s[4:5], s[4:5], exec
                                        ; implicit-def: $vgpr6
	s_or_saveexec_b64 s[6:7], s[6:7]
	v_mov_b32_e32 v2, s10
	s_xor_b64 exec, exec, s[6:7]
	s_cbranch_execz .LBB25_946
.LBB25_2996:
	v_cmp_ne_u16_e32 vcc, 0, v6
	s_andn2_b64 s[4:5], s[4:5], exec
	s_and_b64 s[8:9], vcc, exec
	v_mov_b32_e32 v2, 0
	s_or_b64 s[4:5], s[4:5], s[8:9]
	s_or_b64 exec, exec, s[6:7]
	s_and_saveexec_b64 s[6:7], s[4:5]
	s_cbranch_execnz .LBB25_947
	s_branch .LBB25_948
.LBB25_2997:
	s_movk_i32 s4, 0x80
	v_cmp_eq_u16_e32 vcc, s4, v6
	s_mov_b64 s[4:5], -1
                                        ; implicit-def: $sgpr10
	s_and_saveexec_b64 s[8:9], vcc
; %bb.2998:
	s_mov_b32 s10, 0x7f800001
	s_xor_b64 s[4:5], exec, -1
; %bb.2999:
	s_or_b64 exec, exec, s[8:9]
	s_and_b64 s[4:5], s[4:5], exec
                                        ; implicit-def: $vgpr6
	s_or_saveexec_b64 s[6:7], s[6:7]
	v_mov_b32_e32 v10, s10
	s_xor_b64 exec, exec, s[6:7]
	s_cbranch_execz .LBB25_950
.LBB25_3000:
	v_cmp_ne_u16_e32 vcc, 0, v6
	s_andn2_b64 s[4:5], s[4:5], exec
	s_and_b64 s[8:9], vcc, exec
	v_mov_b32_e32 v10, 0
	s_or_b64 s[4:5], s[4:5], s[8:9]
	s_or_b64 exec, exec, s[6:7]
	s_and_saveexec_b64 s[6:7], s[4:5]
	s_cbranch_execnz .LBB25_951
	s_branch .LBB25_952
.LBB25_3001:
	s_movk_i32 s4, 0x80
	v_cmp_eq_u16_sdwa s[12:13], v7, s4 src0_sel:BYTE_3 src1_sel:DWORD
	s_mov_b64 s[4:5], -1
                                        ; implicit-def: $sgpr10
	s_and_saveexec_b64 s[8:9], s[12:13]
; %bb.3002:
	s_mov_b32 s10, 0x7f800001
	s_xor_b64 s[4:5], exec, -1
; %bb.3003:
	s_or_b64 exec, exec, s[8:9]
	s_and_b64 s[4:5], s[4:5], exec
	s_or_saveexec_b64 s[6:7], s[6:7]
	v_mov_b32_e32 v2, s10
	s_xor_b64 exec, exec, s[6:7]
	s_cbranch_execz .LBB25_954
.LBB25_3004:
	v_mov_b32_e32 v2, 0
	v_cmp_ne_u16_sdwa s[8:9], v7, v2 src0_sel:BYTE_3 src1_sel:DWORD
	s_andn2_b64 s[4:5], s[4:5], exec
	s_and_b64 s[8:9], s[8:9], exec
	s_or_b64 s[4:5], s[4:5], s[8:9]
	s_or_b64 exec, exec, s[6:7]
	s_and_saveexec_b64 s[6:7], s[4:5]
	s_cbranch_execnz .LBB25_955
	s_branch .LBB25_956
.LBB25_3005:
	s_movk_i32 s4, 0x80
	v_cmp_eq_u16_sdwa s[12:13], v3, s4 src0_sel:BYTE_3 src1_sel:DWORD
	s_mov_b64 s[4:5], -1
                                        ; implicit-def: $sgpr10
	s_and_saveexec_b64 s[8:9], s[12:13]
; %bb.3006:
	s_mov_b32 s10, 0x7f800001
	s_xor_b64 s[4:5], exec, -1
; %bb.3007:
	s_or_b64 exec, exec, s[8:9]
	s_and_b64 s[4:5], s[4:5], exec
	s_or_saveexec_b64 s[6:7], s[6:7]
	v_mov_b32_e32 v6, s10
	s_xor_b64 exec, exec, s[6:7]
	s_cbranch_execz .LBB25_958
.LBB25_3008:
	v_mov_b32_e32 v6, 0
	v_cmp_ne_u16_sdwa s[8:9], v3, v6 src0_sel:BYTE_3 src1_sel:DWORD
	s_andn2_b64 s[4:5], s[4:5], exec
	s_and_b64 s[8:9], s[8:9], exec
	s_or_b64 s[4:5], s[4:5], s[8:9]
	s_or_b64 exec, exec, s[6:7]
	s_and_saveexec_b64 s[6:7], s[4:5]
	s_cbranch_execnz .LBB25_959
	s_branch .LBB25_960
.LBB25_3009:
	s_movk_i32 s4, 0x80
	v_cmp_eq_u16_sdwa s[12:13], v8, s4 src0_sel:BYTE_0 src1_sel:DWORD
	s_mov_b64 s[4:5], -1
                                        ; implicit-def: $sgpr10
	s_and_saveexec_b64 s[8:9], s[12:13]
; %bb.3010:
	s_mov_b32 s10, 0x7f800001
	s_xor_b64 s[4:5], exec, -1
; %bb.3011:
	s_or_b64 exec, exec, s[8:9]
	s_and_b64 s[4:5], s[4:5], exec
	s_or_saveexec_b64 s[6:7], s[6:7]
	v_mov_b32_e32 v2, s10
	s_xor_b64 exec, exec, s[6:7]
	s_cbranch_execz .LBB25_962
.LBB25_3012:
	v_mov_b32_e32 v2, 0
	v_cmp_ne_u16_sdwa s[8:9], v8, v2 src0_sel:BYTE_0 src1_sel:DWORD
	s_andn2_b64 s[4:5], s[4:5], exec
	s_and_b64 s[8:9], s[8:9], exec
	s_or_b64 s[4:5], s[4:5], s[8:9]
	s_or_b64 exec, exec, s[6:7]
	s_and_saveexec_b64 s[6:7], s[4:5]
	s_cbranch_execnz .LBB25_963
	s_branch .LBB25_964
.LBB25_3013:
	s_movk_i32 s4, 0x80
	v_cmp_eq_u16_sdwa s[12:13], v4, s4 src0_sel:BYTE_0 src1_sel:DWORD
	s_mov_b64 s[4:5], -1
                                        ; implicit-def: $sgpr10
	s_and_saveexec_b64 s[8:9], s[12:13]
; %bb.3014:
	s_mov_b32 s10, 0x7f800001
	s_xor_b64 s[4:5], exec, -1
; %bb.3015:
	s_or_b64 exec, exec, s[8:9]
	s_and_b64 s[4:5], s[4:5], exec
	s_or_saveexec_b64 s[6:7], s[6:7]
	v_mov_b32_e32 v3, s10
	s_xor_b64 exec, exec, s[6:7]
	s_cbranch_execz .LBB25_966
.LBB25_3016:
	v_mov_b32_e32 v3, 0
	v_cmp_ne_u16_sdwa s[8:9], v4, v3 src0_sel:BYTE_0 src1_sel:DWORD
	s_andn2_b64 s[4:5], s[4:5], exec
	s_and_b64 s[8:9], s[8:9], exec
	s_or_b64 s[4:5], s[4:5], s[8:9]
	s_or_b64 exec, exec, s[6:7]
	s_and_saveexec_b64 s[6:7], s[4:5]
	s_cbranch_execnz .LBB25_967
	s_branch .LBB25_968
.LBB25_3017:
	s_movk_i32 s4, 0x80
	v_cmp_eq_u16_sdwa s[12:13], v3, s4 src0_sel:BYTE_0 src1_sel:DWORD
	s_mov_b64 s[4:5], -1
                                        ; implicit-def: $sgpr10
	s_and_saveexec_b64 s[8:9], s[12:13]
; %bb.3018:
	s_mov_b32 s10, 0x7f800001
	s_xor_b64 s[4:5], exec, -1
; %bb.3019:
	s_or_b64 exec, exec, s[8:9]
	s_and_b64 s[4:5], s[4:5], exec
	s_or_saveexec_b64 s[6:7], s[6:7]
	v_mov_b32_e32 v2, s10
	s_xor_b64 exec, exec, s[6:7]
	s_cbranch_execz .LBB25_970
.LBB25_3020:
	v_mov_b32_e32 v2, 0
	v_cmp_ne_u16_sdwa s[8:9], v3, v2 src0_sel:BYTE_0 src1_sel:DWORD
	s_andn2_b64 s[4:5], s[4:5], exec
	s_and_b64 s[8:9], s[8:9], exec
	s_or_b64 s[4:5], s[4:5], s[8:9]
	s_or_b64 exec, exec, s[6:7]
	s_and_saveexec_b64 s[6:7], s[4:5]
	s_cbranch_execnz .LBB25_971
	s_branch .LBB25_972
.LBB25_3021:
	s_movk_i32 s4, 0x80
	v_cmp_eq_u16_sdwa s[12:13], v3, s4 src0_sel:BYTE_0 src1_sel:DWORD
	s_mov_b64 s[4:5], -1
                                        ; implicit-def: $sgpr10
	s_and_saveexec_b64 s[8:9], s[12:13]
; %bb.3022:
	s_mov_b32 s10, 0x7f800001
	s_xor_b64 s[4:5], exec, -1
; %bb.3023:
	s_or_b64 exec, exec, s[8:9]
	s_and_b64 s[4:5], s[4:5], exec
	s_or_saveexec_b64 s[6:7], s[6:7]
	v_mov_b32_e32 v6, s10
	s_xor_b64 exec, exec, s[6:7]
	s_cbranch_execz .LBB25_974
.LBB25_3024:
	v_mov_b32_e32 v6, 0
	v_cmp_ne_u16_sdwa s[8:9], v3, v6 src0_sel:BYTE_0 src1_sel:DWORD
	s_andn2_b64 s[4:5], s[4:5], exec
	s_and_b64 s[8:9], s[8:9], exec
	s_or_b64 s[4:5], s[4:5], s[8:9]
	s_or_b64 exec, exec, s[6:7]
	s_and_saveexec_b64 s[6:7], s[4:5]
	s_cbranch_execnz .LBB25_975
	s_branch .LBB25_976
.LBB25_3025:
	s_movk_i32 s4, 0x80
	v_cmp_eq_u16_e32 vcc, s4, v3
	s_mov_b64 s[4:5], -1
                                        ; implicit-def: $sgpr10
	s_and_saveexec_b64 s[8:9], vcc
; %bb.3026:
	s_mov_b32 s10, 0x7f800001
	s_xor_b64 s[4:5], exec, -1
; %bb.3027:
	s_or_b64 exec, exec, s[8:9]
	s_and_b64 s[4:5], s[4:5], exec
                                        ; implicit-def: $vgpr3
	s_or_saveexec_b64 s[6:7], s[6:7]
	v_mov_b32_e32 v2, s10
	s_xor_b64 exec, exec, s[6:7]
	s_cbranch_execz .LBB25_978
.LBB25_3028:
	v_cmp_ne_u16_e32 vcc, 0, v3
	s_andn2_b64 s[4:5], s[4:5], exec
	s_and_b64 s[8:9], vcc, exec
	v_mov_b32_e32 v2, 0
	s_or_b64 s[4:5], s[4:5], s[8:9]
	s_or_b64 exec, exec, s[6:7]
	s_and_saveexec_b64 s[6:7], s[4:5]
	s_cbranch_execnz .LBB25_979
	s_branch .LBB25_980
.LBB25_3029:
	s_movk_i32 s4, 0x80
	v_cmp_eq_u16_e32 vcc, s4, v3
	s_mov_b64 s[4:5], -1
                                        ; implicit-def: $sgpr10
	s_and_saveexec_b64 s[8:9], vcc
; %bb.3030:
	s_mov_b32 s10, 0x7f800001
	s_xor_b64 s[4:5], exec, -1
; %bb.3031:
	s_or_b64 exec, exec, s[8:9]
	s_and_b64 s[4:5], s[4:5], exec
                                        ; implicit-def: $vgpr3
	s_or_saveexec_b64 s[6:7], s[6:7]
	v_mov_b32_e32 v6, s10
	s_xor_b64 exec, exec, s[6:7]
	s_cbranch_execz .LBB25_982
.LBB25_3032:
	v_cmp_ne_u16_e32 vcc, 0, v3
	s_andn2_b64 s[4:5], s[4:5], exec
	s_and_b64 s[8:9], vcc, exec
	v_mov_b32_e32 v6, 0
	s_or_b64 s[4:5], s[4:5], s[8:9]
	s_or_b64 exec, exec, s[6:7]
	s_and_saveexec_b64 s[6:7], s[4:5]
	s_cbranch_execnz .LBB25_983
	s_branch .LBB25_984
.LBB25_3033:
	s_movk_i32 s4, 0x80
	v_cmp_eq_u16_sdwa s[12:13], v8, s4 src0_sel:BYTE_3 src1_sel:DWORD
	s_mov_b64 s[4:5], -1
                                        ; implicit-def: $sgpr10
	s_and_saveexec_b64 s[8:9], s[12:13]
; %bb.3034:
	s_mov_b32 s10, 0x7f800001
	s_xor_b64 s[4:5], exec, -1
; %bb.3035:
	s_or_b64 exec, exec, s[8:9]
	s_and_b64 s[4:5], s[4:5], exec
	s_or_saveexec_b64 s[6:7], s[6:7]
	v_mov_b32_e32 v2, s10
	s_xor_b64 exec, exec, s[6:7]
	s_cbranch_execz .LBB25_986
.LBB25_3036:
	v_mov_b32_e32 v2, 0
	v_cmp_ne_u16_sdwa s[8:9], v8, v2 src0_sel:BYTE_3 src1_sel:DWORD
	s_andn2_b64 s[4:5], s[4:5], exec
	s_and_b64 s[8:9], s[8:9], exec
	s_or_b64 s[4:5], s[4:5], s[8:9]
	s_or_b64 exec, exec, s[6:7]
	s_and_saveexec_b64 s[6:7], s[4:5]
	s_cbranch_execnz .LBB25_987
	s_branch .LBB25_988
.LBB25_3037:
	s_movk_i32 s4, 0x80
	v_cmp_eq_u16_sdwa s[12:13], v4, s4 src0_sel:BYTE_3 src1_sel:DWORD
	s_mov_b64 s[4:5], -1
                                        ; implicit-def: $sgpr10
	s_and_saveexec_b64 s[8:9], s[12:13]
; %bb.3038:
	s_mov_b32 s10, 0x7f800001
	s_xor_b64 s[4:5], exec, -1
; %bb.3039:
	s_or_b64 exec, exec, s[8:9]
	s_and_b64 s[4:5], s[4:5], exec
	s_or_saveexec_b64 s[6:7], s[6:7]
	v_mov_b32_e32 v3, s10
	s_xor_b64 exec, exec, s[6:7]
	s_cbranch_execz .LBB25_990
.LBB25_3040:
	v_mov_b32_e32 v3, 0
	v_cmp_ne_u16_sdwa s[8:9], v4, v3 src0_sel:BYTE_3 src1_sel:DWORD
	s_andn2_b64 s[4:5], s[4:5], exec
	s_and_b64 s[8:9], s[8:9], exec
	s_or_b64 s[4:5], s[4:5], s[8:9]
	s_or_b64 exec, exec, s[6:7]
	s_and_saveexec_b64 s[6:7], s[4:5]
	s_cbranch_execnz .LBB25_991
	s_branch .LBB25_992
.LBB25_3041:
	s_movk_i32 s4, 0x80
	v_cmp_eq_u16_sdwa s[12:13], v9, s4 src0_sel:BYTE_0 src1_sel:DWORD
	s_mov_b64 s[4:5], -1
                                        ; implicit-def: $sgpr10
	s_and_saveexec_b64 s[8:9], s[12:13]
; %bb.3042:
	s_mov_b32 s10, 0x7f800001
	s_xor_b64 s[4:5], exec, -1
; %bb.3043:
	s_or_b64 exec, exec, s[8:9]
	s_and_b64 s[4:5], s[4:5], exec
	s_or_saveexec_b64 s[6:7], s[6:7]
	v_mov_b32_e32 v2, s10
	s_xor_b64 exec, exec, s[6:7]
	s_cbranch_execz .LBB25_994
.LBB25_3044:
	v_mov_b32_e32 v2, 0
	v_cmp_ne_u16_sdwa s[8:9], v9, v2 src0_sel:BYTE_0 src1_sel:DWORD
	s_andn2_b64 s[4:5], s[4:5], exec
	s_and_b64 s[8:9], s[8:9], exec
	s_or_b64 s[4:5], s[4:5], s[8:9]
	s_or_b64 exec, exec, s[6:7]
	s_and_saveexec_b64 s[6:7], s[4:5]
	s_cbranch_execnz .LBB25_995
	s_branch .LBB25_996
.LBB25_3045:
	s_movk_i32 s4, 0x80
	v_cmp_eq_u16_sdwa s[12:13], v5, s4 src0_sel:BYTE_0 src1_sel:DWORD
	s_mov_b64 s[4:5], -1
                                        ; implicit-def: $sgpr10
	s_and_saveexec_b64 s[8:9], s[12:13]
; %bb.3046:
	s_mov_b32 s10, 0x7f800001
	s_xor_b64 s[4:5], exec, -1
; %bb.3047:
	s_or_b64 exec, exec, s[8:9]
	s_and_b64 s[4:5], s[4:5], exec
	s_or_saveexec_b64 s[6:7], s[6:7]
	v_mov_b32_e32 v3, s10
	s_xor_b64 exec, exec, s[6:7]
	s_cbranch_execz .LBB25_998
.LBB25_3048:
	v_mov_b32_e32 v3, 0
	v_cmp_ne_u16_sdwa s[8:9], v5, v3 src0_sel:BYTE_0 src1_sel:DWORD
	s_andn2_b64 s[4:5], s[4:5], exec
	s_and_b64 s[8:9], s[8:9], exec
	s_or_b64 s[4:5], s[4:5], s[8:9]
	s_or_b64 exec, exec, s[6:7]
	s_and_saveexec_b64 s[6:7], s[4:5]
	s_cbranch_execnz .LBB25_999
	s_branch .LBB25_1000
.LBB25_3049:
	s_movk_i32 s4, 0x80
	v_cmp_eq_u16_sdwa s[12:13], v3, s4 src0_sel:BYTE_0 src1_sel:DWORD
	s_mov_b64 s[4:5], -1
                                        ; implicit-def: $sgpr10
	s_and_saveexec_b64 s[8:9], s[12:13]
; %bb.3050:
	s_mov_b32 s10, 0x7f800001
	s_xor_b64 s[4:5], exec, -1
; %bb.3051:
	s_or_b64 exec, exec, s[8:9]
	s_and_b64 s[4:5], s[4:5], exec
	s_or_saveexec_b64 s[6:7], s[6:7]
	v_mov_b32_e32 v2, s10
	s_xor_b64 exec, exec, s[6:7]
	s_cbranch_execz .LBB25_1002
.LBB25_3052:
	v_mov_b32_e32 v2, 0
	v_cmp_ne_u16_sdwa s[8:9], v3, v2 src0_sel:BYTE_0 src1_sel:DWORD
	s_andn2_b64 s[4:5], s[4:5], exec
	s_and_b64 s[8:9], s[8:9], exec
	s_or_b64 s[4:5], s[4:5], s[8:9]
	s_or_b64 exec, exec, s[6:7]
	s_and_saveexec_b64 s[6:7], s[4:5]
	s_cbranch_execnz .LBB25_1003
	s_branch .LBB25_1004
.LBB25_3053:
	s_movk_i32 s4, 0x80
	v_cmp_eq_u16_sdwa s[12:13], v3, s4 src0_sel:BYTE_0 src1_sel:DWORD
	s_mov_b64 s[4:5], -1
                                        ; implicit-def: $sgpr10
	s_and_saveexec_b64 s[8:9], s[12:13]
; %bb.3054:
	s_mov_b32 s10, 0x7f800001
	s_xor_b64 s[4:5], exec, -1
; %bb.3055:
	s_or_b64 exec, exec, s[8:9]
	s_and_b64 s[4:5], s[4:5], exec
	s_or_saveexec_b64 s[6:7], s[6:7]
	v_mov_b32_e32 v4, s10
	s_xor_b64 exec, exec, s[6:7]
	s_cbranch_execz .LBB25_1006
.LBB25_3056:
	v_mov_b32_e32 v4, 0
	v_cmp_ne_u16_sdwa s[8:9], v3, v4 src0_sel:BYTE_0 src1_sel:DWORD
	s_andn2_b64 s[4:5], s[4:5], exec
	s_and_b64 s[8:9], s[8:9], exec
	s_or_b64 s[4:5], s[4:5], s[8:9]
	s_or_b64 exec, exec, s[6:7]
	s_and_saveexec_b64 s[6:7], s[4:5]
	s_cbranch_execnz .LBB25_1007
	s_branch .LBB25_1008
.LBB25_3057:
	s_movk_i32 s4, 0x80
	v_cmp_eq_u16_e32 vcc, s4, v3
	s_mov_b64 s[4:5], -1
                                        ; implicit-def: $sgpr10
	s_and_saveexec_b64 s[8:9], vcc
; %bb.3058:
	s_mov_b32 s10, 0x7f800001
	s_xor_b64 s[4:5], exec, -1
; %bb.3059:
	s_or_b64 exec, exec, s[8:9]
	s_and_b64 s[4:5], s[4:5], exec
                                        ; implicit-def: $vgpr3
	s_or_saveexec_b64 s[6:7], s[6:7]
	v_mov_b32_e32 v2, s10
	s_xor_b64 exec, exec, s[6:7]
	s_cbranch_execz .LBB25_1010
.LBB25_3060:
	v_cmp_ne_u16_e32 vcc, 0, v3
	s_andn2_b64 s[4:5], s[4:5], exec
	s_and_b64 s[8:9], vcc, exec
	v_mov_b32_e32 v2, 0
	s_or_b64 s[4:5], s[4:5], s[8:9]
	s_or_b64 exec, exec, s[6:7]
	s_and_saveexec_b64 s[6:7], s[4:5]
	s_cbranch_execnz .LBB25_1011
	s_branch .LBB25_1012
.LBB25_3061:
	s_movk_i32 s4, 0x80
	v_cmp_eq_u16_e32 vcc, s4, v3
	s_mov_b64 s[4:5], -1
                                        ; implicit-def: $sgpr10
	s_and_saveexec_b64 s[8:9], vcc
; %bb.3062:
	s_mov_b32 s10, 0x7f800001
	s_xor_b64 s[4:5], exec, -1
; %bb.3063:
	s_or_b64 exec, exec, s[8:9]
	s_and_b64 s[4:5], s[4:5], exec
                                        ; implicit-def: $vgpr3
	s_or_saveexec_b64 s[6:7], s[6:7]
	v_mov_b32_e32 v4, s10
	s_xor_b64 exec, exec, s[6:7]
	s_cbranch_execz .LBB25_1014
.LBB25_3064:
	v_cmp_ne_u16_e32 vcc, 0, v3
	s_andn2_b64 s[4:5], s[4:5], exec
	s_and_b64 s[8:9], vcc, exec
	v_mov_b32_e32 v4, 0
	s_or_b64 s[4:5], s[4:5], s[8:9]
	s_or_b64 exec, exec, s[6:7]
	s_and_saveexec_b64 s[6:7], s[4:5]
	s_cbranch_execnz .LBB25_1015
	s_branch .LBB25_1016
.LBB25_3065:
	s_movk_i32 s4, 0x80
	v_cmp_eq_u16_sdwa s[12:13], v9, s4 src0_sel:BYTE_3 src1_sel:DWORD
	s_mov_b64 s[4:5], -1
                                        ; implicit-def: $sgpr10
	s_and_saveexec_b64 s[8:9], s[12:13]
; %bb.3066:
	s_mov_b32 s10, 0x7f800001
	s_xor_b64 s[4:5], exec, -1
; %bb.3067:
	s_or_b64 exec, exec, s[8:9]
	s_and_b64 s[4:5], s[4:5], exec
	s_or_saveexec_b64 s[6:7], s[6:7]
	v_mov_b32_e32 v2, s10
	s_xor_b64 exec, exec, s[6:7]
	s_cbranch_execz .LBB25_1018
.LBB25_3068:
	v_mov_b32_e32 v2, 0
	v_cmp_ne_u16_sdwa s[8:9], v9, v2 src0_sel:BYTE_3 src1_sel:DWORD
	s_andn2_b64 s[4:5], s[4:5], exec
	s_and_b64 s[8:9], s[8:9], exec
	s_or_b64 s[4:5], s[4:5], s[8:9]
	s_or_b64 exec, exec, s[6:7]
	s_and_saveexec_b64 s[6:7], s[4:5]
	s_cbranch_execnz .LBB25_1019
	s_branch .LBB25_1020
.LBB25_3069:
	s_movk_i32 s4, 0x80
	v_cmp_eq_u16_sdwa s[12:13], v5, s4 src0_sel:BYTE_3 src1_sel:DWORD
	s_mov_b64 s[4:5], -1
                                        ; implicit-def: $sgpr10
	s_and_saveexec_b64 s[8:9], s[12:13]
; %bb.3070:
	s_mov_b32 s10, 0x7f800001
	s_xor_b64 s[4:5], exec, -1
; %bb.3071:
	s_or_b64 exec, exec, s[8:9]
	s_and_b64 s[4:5], s[4:5], exec
	s_or_saveexec_b64 s[6:7], s[6:7]
	v_mov_b32_e32 v3, s10
	s_xor_b64 exec, exec, s[6:7]
	s_cbranch_execz .LBB25_1022
.LBB25_3072:
	v_mov_b32_e32 v3, 0
	v_cmp_ne_u16_sdwa s[8:9], v5, v3 src0_sel:BYTE_3 src1_sel:DWORD
	s_andn2_b64 s[4:5], s[4:5], exec
	s_and_b64 s[8:9], s[8:9], exec
	s_or_b64 s[4:5], s[4:5], s[8:9]
	s_or_b64 exec, exec, s[6:7]
	s_and_saveexec_b64 s[6:7], s[4:5]
	s_cbranch_execnz .LBB25_1023
	s_branch .LBB25_1024
.LBB25_3073:
	s_movk_i32 s4, 0x80
	v_cmp_eq_u16_sdwa s[12:13], v14, s4 src0_sel:BYTE_0 src1_sel:DWORD
	s_mov_b64 s[4:5], -1
                                        ; implicit-def: $sgpr10
	s_and_saveexec_b64 s[8:9], s[12:13]
; %bb.3074:
	s_mov_b32 s10, 0x7f800001
	s_xor_b64 s[4:5], exec, -1
; %bb.3075:
	s_or_b64 exec, exec, s[8:9]
	s_and_b64 s[4:5], s[4:5], exec
	s_or_saveexec_b64 s[6:7], s[6:7]
	v_mov_b32_e32 v20, s10
	s_xor_b64 exec, exec, s[6:7]
	s_cbranch_execz .LBB25_1026
.LBB25_3076:
	v_mov_b32_e32 v20, 0
	v_cmp_ne_u16_sdwa s[8:9], v14, v20 src0_sel:BYTE_0 src1_sel:DWORD
	s_andn2_b64 s[4:5], s[4:5], exec
	s_and_b64 s[8:9], s[8:9], exec
	s_or_b64 s[4:5], s[4:5], s[8:9]
	s_or_b64 exec, exec, s[6:7]
	s_and_saveexec_b64 s[6:7], s[4:5]
	s_cbranch_execnz .LBB25_1027
	s_branch .LBB25_1028
.LBB25_3077:
	s_movk_i32 s4, 0x80
	v_cmp_eq_u16_sdwa s[12:13], v10, s4 src0_sel:BYTE_0 src1_sel:DWORD
	s_mov_b64 s[4:5], -1
                                        ; implicit-def: $sgpr10
	s_and_saveexec_b64 s[8:9], s[12:13]
; %bb.3078:
	s_mov_b32 s10, 0x7f800001
	s_xor_b64 s[4:5], exec, -1
; %bb.3079:
	s_or_b64 exec, exec, s[8:9]
	s_and_b64 s[4:5], s[4:5], exec
	s_or_saveexec_b64 s[6:7], s[6:7]
	v_mov_b32_e32 v21, s10
	s_xor_b64 exec, exec, s[6:7]
	s_cbranch_execz .LBB25_1030
.LBB25_3080:
	v_mov_b32_e32 v21, 0
	v_cmp_ne_u16_sdwa s[8:9], v10, v21 src0_sel:BYTE_0 src1_sel:DWORD
	s_andn2_b64 s[4:5], s[4:5], exec
	s_and_b64 s[8:9], s[8:9], exec
	s_or_b64 s[4:5], s[4:5], s[8:9]
	s_or_b64 exec, exec, s[6:7]
	s_and_saveexec_b64 s[6:7], s[4:5]
	s_cbranch_execnz .LBB25_1031
	s_branch .LBB25_1032
.LBB25_3081:
	s_movk_i32 s4, 0x80
	v_cmp_eq_u16_sdwa s[12:13], v21, s4 src0_sel:BYTE_0 src1_sel:DWORD
	s_mov_b64 s[4:5], -1
                                        ; implicit-def: $sgpr10
	s_and_saveexec_b64 s[8:9], s[12:13]
; %bb.3082:
	s_mov_b32 s10, 0x7f800001
	s_xor_b64 s[4:5], exec, -1
; %bb.3083:
	s_or_b64 exec, exec, s[8:9]
	s_and_b64 s[4:5], s[4:5], exec
	s_or_saveexec_b64 s[6:7], s[6:7]
	v_mov_b32_e32 v20, s10
	s_xor_b64 exec, exec, s[6:7]
	s_cbranch_execz .LBB25_1034
.LBB25_3084:
	v_mov_b32_e32 v20, 0
	v_cmp_ne_u16_sdwa s[8:9], v21, v20 src0_sel:BYTE_0 src1_sel:DWORD
	s_andn2_b64 s[4:5], s[4:5], exec
	s_and_b64 s[8:9], s[8:9], exec
	s_or_b64 s[4:5], s[4:5], s[8:9]
	s_or_b64 exec, exec, s[6:7]
	s_and_saveexec_b64 s[6:7], s[4:5]
	s_cbranch_execnz .LBB25_1035
	s_branch .LBB25_1036
.LBB25_3085:
	s_movk_i32 s4, 0x80
	v_cmp_eq_u16_sdwa s[12:13], v21, s4 src0_sel:BYTE_0 src1_sel:DWORD
	s_mov_b64 s[4:5], -1
                                        ; implicit-def: $sgpr10
	s_and_saveexec_b64 s[8:9], s[12:13]
; %bb.3086:
	s_mov_b32 s10, 0x7f800001
	s_xor_b64 s[4:5], exec, -1
; %bb.3087:
	s_or_b64 exec, exec, s[8:9]
	s_and_b64 s[4:5], s[4:5], exec
	s_or_saveexec_b64 s[6:7], s[6:7]
	v_mov_b32_e32 v22, s10
	s_xor_b64 exec, exec, s[6:7]
	s_cbranch_execz .LBB25_1038
.LBB25_3088:
	v_mov_b32_e32 v22, 0
	v_cmp_ne_u16_sdwa s[8:9], v21, v22 src0_sel:BYTE_0 src1_sel:DWORD
	s_andn2_b64 s[4:5], s[4:5], exec
	s_and_b64 s[8:9], s[8:9], exec
	s_or_b64 s[4:5], s[4:5], s[8:9]
	s_or_b64 exec, exec, s[6:7]
	s_and_saveexec_b64 s[6:7], s[4:5]
	s_cbranch_execnz .LBB25_1039
	s_branch .LBB25_1040
.LBB25_3089:
	s_movk_i32 s4, 0x80
	v_cmp_eq_u16_e32 vcc, s4, v21
	s_mov_b64 s[4:5], -1
                                        ; implicit-def: $sgpr10
	s_and_saveexec_b64 s[8:9], vcc
; %bb.3090:
	s_mov_b32 s10, 0x7f800001
	s_xor_b64 s[4:5], exec, -1
; %bb.3091:
	s_or_b64 exec, exec, s[8:9]
	s_and_b64 s[4:5], s[4:5], exec
                                        ; implicit-def: $vgpr21
	s_or_saveexec_b64 s[6:7], s[6:7]
	v_mov_b32_e32 v20, s10
	s_xor_b64 exec, exec, s[6:7]
	s_cbranch_execz .LBB25_1042
.LBB25_3092:
	v_cmp_ne_u16_e32 vcc, 0, v21
	s_andn2_b64 s[4:5], s[4:5], exec
	s_and_b64 s[8:9], vcc, exec
	v_mov_b32_e32 v20, 0
	s_or_b64 s[4:5], s[4:5], s[8:9]
	s_or_b64 exec, exec, s[6:7]
	s_and_saveexec_b64 s[6:7], s[4:5]
	s_cbranch_execnz .LBB25_1043
	s_branch .LBB25_1044
.LBB25_3093:
	s_movk_i32 s4, 0x80
	v_cmp_eq_u16_e32 vcc, s4, v21
	s_mov_b64 s[4:5], -1
                                        ; implicit-def: $sgpr10
	s_and_saveexec_b64 s[8:9], vcc
; %bb.3094:
	s_mov_b32 s10, 0x7f800001
	s_xor_b64 s[4:5], exec, -1
; %bb.3095:
	s_or_b64 exec, exec, s[8:9]
	s_and_b64 s[4:5], s[4:5], exec
                                        ; implicit-def: $vgpr21
	s_or_saveexec_b64 s[6:7], s[6:7]
	v_mov_b32_e32 v22, s10
	s_xor_b64 exec, exec, s[6:7]
	s_cbranch_execz .LBB25_1046
.LBB25_3096:
	v_cmp_ne_u16_e32 vcc, 0, v21
	s_andn2_b64 s[4:5], s[4:5], exec
	s_and_b64 s[8:9], vcc, exec
	v_mov_b32_e32 v22, 0
	s_or_b64 s[4:5], s[4:5], s[8:9]
	s_or_b64 exec, exec, s[6:7]
	s_and_saveexec_b64 s[6:7], s[4:5]
	s_cbranch_execnz .LBB25_1047
	s_branch .LBB25_1048
.LBB25_3097:
	s_movk_i32 s4, 0x80
	v_cmp_eq_u16_sdwa s[12:13], v14, s4 src0_sel:BYTE_3 src1_sel:DWORD
	s_mov_b64 s[4:5], -1
                                        ; implicit-def: $sgpr10
	s_and_saveexec_b64 s[8:9], s[12:13]
; %bb.3098:
	s_mov_b32 s10, 0x7f800001
	s_xor_b64 s[4:5], exec, -1
; %bb.3099:
	s_or_b64 exec, exec, s[8:9]
	s_and_b64 s[4:5], s[4:5], exec
	s_or_saveexec_b64 s[6:7], s[6:7]
	v_mov_b32_e32 v20, s10
	s_xor_b64 exec, exec, s[6:7]
	s_cbranch_execz .LBB25_1050
.LBB25_3100:
	v_mov_b32_e32 v20, 0
	v_cmp_ne_u16_sdwa s[8:9], v14, v20 src0_sel:BYTE_3 src1_sel:DWORD
	s_andn2_b64 s[4:5], s[4:5], exec
	s_and_b64 s[8:9], s[8:9], exec
	s_or_b64 s[4:5], s[4:5], s[8:9]
	s_or_b64 exec, exec, s[6:7]
	s_and_saveexec_b64 s[6:7], s[4:5]
	s_cbranch_execnz .LBB25_1051
	s_branch .LBB25_1052
.LBB25_3101:
	s_movk_i32 s4, 0x80
	v_cmp_eq_u16_sdwa s[12:13], v10, s4 src0_sel:BYTE_3 src1_sel:DWORD
	s_mov_b64 s[4:5], -1
                                        ; implicit-def: $sgpr10
	s_and_saveexec_b64 s[8:9], s[12:13]
; %bb.3102:
	s_mov_b32 s10, 0x7f800001
	s_xor_b64 s[4:5], exec, -1
; %bb.3103:
	s_or_b64 exec, exec, s[8:9]
	s_and_b64 s[4:5], s[4:5], exec
	s_or_saveexec_b64 s[6:7], s[6:7]
	v_mov_b32_e32 v14, s10
	s_xor_b64 exec, exec, s[6:7]
	s_cbranch_execz .LBB25_1054
.LBB25_3104:
	v_mov_b32_e32 v14, 0
	v_cmp_ne_u16_sdwa s[8:9], v10, v14 src0_sel:BYTE_3 src1_sel:DWORD
	s_andn2_b64 s[4:5], s[4:5], exec
	s_and_b64 s[8:9], s[8:9], exec
	s_or_b64 s[4:5], s[4:5], s[8:9]
	s_or_b64 exec, exec, s[6:7]
	s_and_saveexec_b64 s[6:7], s[4:5]
	s_cbranch_execnz .LBB25_1055
	s_branch .LBB25_1056
.LBB25_3105:
	s_movk_i32 s4, 0x80
	v_cmp_eq_u16_sdwa s[12:13], v15, s4 src0_sel:BYTE_0 src1_sel:DWORD
	s_mov_b64 s[4:5], -1
                                        ; implicit-def: $sgpr10
	s_and_saveexec_b64 s[8:9], s[12:13]
; %bb.3106:
	s_mov_b32 s10, 0x7f800001
	s_xor_b64 s[4:5], exec, -1
; %bb.3107:
	s_or_b64 exec, exec, s[8:9]
	s_and_b64 s[4:5], s[4:5], exec
	s_or_saveexec_b64 s[6:7], s[6:7]
	v_mov_b32_e32 v10, s10
	s_xor_b64 exec, exec, s[6:7]
	s_cbranch_execz .LBB25_1058
.LBB25_3108:
	v_mov_b32_e32 v10, 0
	v_cmp_ne_u16_sdwa s[8:9], v15, v10 src0_sel:BYTE_0 src1_sel:DWORD
	s_andn2_b64 s[4:5], s[4:5], exec
	s_and_b64 s[8:9], s[8:9], exec
	s_or_b64 s[4:5], s[4:5], s[8:9]
	s_or_b64 exec, exec, s[6:7]
	s_and_saveexec_b64 s[6:7], s[4:5]
	s_cbranch_execnz .LBB25_1059
	s_branch .LBB25_1060
.LBB25_3109:
	s_movk_i32 s4, 0x80
	v_cmp_eq_u16_sdwa s[12:13], v11, s4 src0_sel:BYTE_0 src1_sel:DWORD
	s_mov_b64 s[4:5], -1
                                        ; implicit-def: $sgpr10
	s_and_saveexec_b64 s[8:9], s[12:13]
; %bb.3110:
	s_mov_b32 s10, 0x7f800001
	s_xor_b64 s[4:5], exec, -1
; %bb.3111:
	s_or_b64 exec, exec, s[8:9]
	s_and_b64 s[4:5], s[4:5], exec
	s_or_saveexec_b64 s[6:7], s[6:7]
	v_mov_b32_e32 v14, s10
	s_xor_b64 exec, exec, s[6:7]
	s_cbranch_execz .LBB25_1062
.LBB25_3112:
	v_mov_b32_e32 v14, 0
	v_cmp_ne_u16_sdwa s[8:9], v11, v14 src0_sel:BYTE_0 src1_sel:DWORD
	s_andn2_b64 s[4:5], s[4:5], exec
	s_and_b64 s[8:9], s[8:9], exec
	s_or_b64 s[4:5], s[4:5], s[8:9]
	s_or_b64 exec, exec, s[6:7]
	s_and_saveexec_b64 s[6:7], s[4:5]
	s_cbranch_execnz .LBB25_1063
	s_branch .LBB25_1064
.LBB25_3113:
	s_movk_i32 s4, 0x80
	v_cmp_eq_u16_sdwa s[12:13], v14, s4 src0_sel:BYTE_0 src1_sel:DWORD
	s_mov_b64 s[4:5], -1
                                        ; implicit-def: $sgpr10
	s_and_saveexec_b64 s[8:9], s[12:13]
; %bb.3114:
	s_mov_b32 s10, 0x7f800001
	s_xor_b64 s[4:5], exec, -1
; %bb.3115:
	s_or_b64 exec, exec, s[8:9]
	s_and_b64 s[4:5], s[4:5], exec
	s_or_saveexec_b64 s[6:7], s[6:7]
	v_mov_b32_e32 v10, s10
	s_xor_b64 exec, exec, s[6:7]
	s_cbranch_execz .LBB25_1066
.LBB25_3116:
	v_mov_b32_e32 v10, 0
	v_cmp_ne_u16_sdwa s[8:9], v14, v10 src0_sel:BYTE_0 src1_sel:DWORD
	s_andn2_b64 s[4:5], s[4:5], exec
	s_and_b64 s[8:9], s[8:9], exec
	s_or_b64 s[4:5], s[4:5], s[8:9]
	s_or_b64 exec, exec, s[6:7]
	s_and_saveexec_b64 s[6:7], s[4:5]
	s_cbranch_execnz .LBB25_1067
	s_branch .LBB25_1068
.LBB25_3117:
	s_movk_i32 s4, 0x80
	v_cmp_eq_u16_sdwa s[12:13], v14, s4 src0_sel:BYTE_0 src1_sel:DWORD
	s_mov_b64 s[4:5], -1
                                        ; implicit-def: $sgpr10
	s_and_saveexec_b64 s[8:9], s[12:13]
; %bb.3118:
	s_mov_b32 s10, 0x7f800001
	s_xor_b64 s[4:5], exec, -1
; %bb.3119:
	s_or_b64 exec, exec, s[8:9]
	s_and_b64 s[4:5], s[4:5], exec
	s_or_saveexec_b64 s[6:7], s[6:7]
	v_mov_b32_e32 v20, s10
	s_xor_b64 exec, exec, s[6:7]
	s_cbranch_execz .LBB25_1070
.LBB25_3120:
	v_mov_b32_e32 v20, 0
	v_cmp_ne_u16_sdwa s[8:9], v14, v20 src0_sel:BYTE_0 src1_sel:DWORD
	s_andn2_b64 s[4:5], s[4:5], exec
	s_and_b64 s[8:9], s[8:9], exec
	s_or_b64 s[4:5], s[4:5], s[8:9]
	s_or_b64 exec, exec, s[6:7]
	s_and_saveexec_b64 s[6:7], s[4:5]
	s_cbranch_execnz .LBB25_1071
	s_branch .LBB25_1072
.LBB25_3121:
	s_movk_i32 s4, 0x80
	v_cmp_eq_u16_e32 vcc, s4, v14
	s_mov_b64 s[4:5], -1
                                        ; implicit-def: $sgpr10
	s_and_saveexec_b64 s[8:9], vcc
; %bb.3122:
	s_mov_b32 s10, 0x7f800001
	s_xor_b64 s[4:5], exec, -1
; %bb.3123:
	s_or_b64 exec, exec, s[8:9]
	s_and_b64 s[4:5], s[4:5], exec
                                        ; implicit-def: $vgpr14
	s_or_saveexec_b64 s[6:7], s[6:7]
	v_mov_b32_e32 v10, s10
	s_xor_b64 exec, exec, s[6:7]
	s_cbranch_execz .LBB25_1074
.LBB25_3124:
	v_cmp_ne_u16_e32 vcc, 0, v14
	s_andn2_b64 s[4:5], s[4:5], exec
	s_and_b64 s[8:9], vcc, exec
	v_mov_b32_e32 v10, 0
	s_or_b64 s[4:5], s[4:5], s[8:9]
	s_or_b64 exec, exec, s[6:7]
	s_and_saveexec_b64 s[6:7], s[4:5]
	s_cbranch_execnz .LBB25_1075
	s_branch .LBB25_1076
.LBB25_3125:
	s_movk_i32 s4, 0x80
	v_cmp_eq_u16_e32 vcc, s4, v14
	s_mov_b64 s[4:5], -1
                                        ; implicit-def: $sgpr10
	s_and_saveexec_b64 s[8:9], vcc
; %bb.3126:
	s_mov_b32 s10, 0x7f800001
	s_xor_b64 s[4:5], exec, -1
; %bb.3127:
	s_or_b64 exec, exec, s[8:9]
	s_and_b64 s[4:5], s[4:5], exec
                                        ; implicit-def: $vgpr14
	s_or_saveexec_b64 s[6:7], s[6:7]
	v_mov_b32_e32 v20, s10
	s_xor_b64 exec, exec, s[6:7]
	s_cbranch_execz .LBB25_1078
.LBB25_3128:
	v_cmp_ne_u16_e32 vcc, 0, v14
	s_andn2_b64 s[4:5], s[4:5], exec
	s_and_b64 s[8:9], vcc, exec
	v_mov_b32_e32 v20, 0
	s_or_b64 s[4:5], s[4:5], s[8:9]
	s_or_b64 exec, exec, s[6:7]
	s_and_saveexec_b64 s[6:7], s[4:5]
	s_cbranch_execnz .LBB25_1079
	s_branch .LBB25_1080
.LBB25_3129:
	s_movk_i32 s4, 0x80
	v_cmp_eq_u16_sdwa s[12:13], v15, s4 src0_sel:BYTE_3 src1_sel:DWORD
	s_mov_b64 s[4:5], -1
                                        ; implicit-def: $sgpr10
	s_and_saveexec_b64 s[8:9], s[12:13]
; %bb.3130:
	s_mov_b32 s10, 0x7f800001
	s_xor_b64 s[4:5], exec, -1
; %bb.3131:
	s_or_b64 exec, exec, s[8:9]
	s_and_b64 s[4:5], s[4:5], exec
	s_or_saveexec_b64 s[6:7], s[6:7]
	v_mov_b32_e32 v10, s10
	s_xor_b64 exec, exec, s[6:7]
	s_cbranch_execz .LBB25_1082
.LBB25_3132:
	v_mov_b32_e32 v10, 0
	v_cmp_ne_u16_sdwa s[8:9], v15, v10 src0_sel:BYTE_3 src1_sel:DWORD
	s_andn2_b64 s[4:5], s[4:5], exec
	s_and_b64 s[8:9], s[8:9], exec
	s_or_b64 s[4:5], s[4:5], s[8:9]
	s_or_b64 exec, exec, s[6:7]
	s_and_saveexec_b64 s[6:7], s[4:5]
	s_cbranch_execnz .LBB25_1083
	s_branch .LBB25_1084
.LBB25_3133:
	s_movk_i32 s4, 0x80
	v_cmp_eq_u16_sdwa s[12:13], v11, s4 src0_sel:BYTE_3 src1_sel:DWORD
	s_mov_b64 s[4:5], -1
                                        ; implicit-def: $sgpr10
	s_and_saveexec_b64 s[8:9], s[12:13]
; %bb.3134:
	s_mov_b32 s10, 0x7f800001
	s_xor_b64 s[4:5], exec, -1
; %bb.3135:
	s_or_b64 exec, exec, s[8:9]
	s_and_b64 s[4:5], s[4:5], exec
	s_or_saveexec_b64 s[6:7], s[6:7]
	v_mov_b32_e32 v14, s10
	s_xor_b64 exec, exec, s[6:7]
	s_cbranch_execz .LBB25_1086
.LBB25_3136:
	v_mov_b32_e32 v14, 0
	v_cmp_ne_u16_sdwa s[8:9], v11, v14 src0_sel:BYTE_3 src1_sel:DWORD
	s_andn2_b64 s[4:5], s[4:5], exec
	s_and_b64 s[8:9], s[8:9], exec
	s_or_b64 s[4:5], s[4:5], s[8:9]
	s_or_b64 exec, exec, s[6:7]
	s_and_saveexec_b64 s[6:7], s[4:5]
	s_cbranch_execnz .LBB25_1087
	s_branch .LBB25_1088
.LBB25_3137:
	s_movk_i32 s4, 0x80
	v_cmp_eq_u16_sdwa s[12:13], v16, s4 src0_sel:BYTE_0 src1_sel:DWORD
	s_mov_b64 s[4:5], -1
                                        ; implicit-def: $sgpr10
	s_and_saveexec_b64 s[8:9], s[12:13]
; %bb.3138:
	s_mov_b32 s10, 0x7f800001
	s_xor_b64 s[4:5], exec, -1
; %bb.3139:
	s_or_b64 exec, exec, s[8:9]
	s_and_b64 s[4:5], s[4:5], exec
	s_or_saveexec_b64 s[6:7], s[6:7]
	v_mov_b32_e32 v10, s10
	s_xor_b64 exec, exec, s[6:7]
	s_cbranch_execz .LBB25_1090
.LBB25_3140:
	v_mov_b32_e32 v10, 0
	v_cmp_ne_u16_sdwa s[8:9], v16, v10 src0_sel:BYTE_0 src1_sel:DWORD
	s_andn2_b64 s[4:5], s[4:5], exec
	s_and_b64 s[8:9], s[8:9], exec
	s_or_b64 s[4:5], s[4:5], s[8:9]
	s_or_b64 exec, exec, s[6:7]
	s_and_saveexec_b64 s[6:7], s[4:5]
	s_cbranch_execnz .LBB25_1091
	s_branch .LBB25_1092
.LBB25_3141:
	s_movk_i32 s4, 0x80
	v_cmp_eq_u16_sdwa s[12:13], v12, s4 src0_sel:BYTE_0 src1_sel:DWORD
	s_mov_b64 s[4:5], -1
                                        ; implicit-def: $sgpr10
	s_and_saveexec_b64 s[8:9], s[12:13]
; %bb.3142:
	s_mov_b32 s10, 0x7f800001
	s_xor_b64 s[4:5], exec, -1
; %bb.3143:
	s_or_b64 exec, exec, s[8:9]
	s_and_b64 s[4:5], s[4:5], exec
	s_or_saveexec_b64 s[6:7], s[6:7]
	v_mov_b32_e32 v11, s10
	s_xor_b64 exec, exec, s[6:7]
	s_cbranch_execz .LBB25_1094
.LBB25_3144:
	v_mov_b32_e32 v11, 0
	v_cmp_ne_u16_sdwa s[8:9], v12, v11 src0_sel:BYTE_0 src1_sel:DWORD
	s_andn2_b64 s[4:5], s[4:5], exec
	s_and_b64 s[8:9], s[8:9], exec
	s_or_b64 s[4:5], s[4:5], s[8:9]
	s_or_b64 exec, exec, s[6:7]
	s_and_saveexec_b64 s[6:7], s[4:5]
	s_cbranch_execnz .LBB25_1095
	s_branch .LBB25_1096
.LBB25_3145:
	s_movk_i32 s4, 0x80
	v_cmp_eq_u16_sdwa s[12:13], v11, s4 src0_sel:BYTE_0 src1_sel:DWORD
	s_mov_b64 s[4:5], -1
                                        ; implicit-def: $sgpr10
	s_and_saveexec_b64 s[8:9], s[12:13]
; %bb.3146:
	s_mov_b32 s10, 0x7f800001
	s_xor_b64 s[4:5], exec, -1
; %bb.3147:
	s_or_b64 exec, exec, s[8:9]
	s_and_b64 s[4:5], s[4:5], exec
	s_or_saveexec_b64 s[6:7], s[6:7]
	v_mov_b32_e32 v10, s10
	s_xor_b64 exec, exec, s[6:7]
	s_cbranch_execz .LBB25_1098
.LBB25_3148:
	v_mov_b32_e32 v10, 0
	v_cmp_ne_u16_sdwa s[8:9], v11, v10 src0_sel:BYTE_0 src1_sel:DWORD
	s_andn2_b64 s[4:5], s[4:5], exec
	s_and_b64 s[8:9], s[8:9], exec
	s_or_b64 s[4:5], s[4:5], s[8:9]
	s_or_b64 exec, exec, s[6:7]
	s_and_saveexec_b64 s[6:7], s[4:5]
	s_cbranch_execnz .LBB25_1099
	s_branch .LBB25_1100
.LBB25_3149:
	s_movk_i32 s4, 0x80
	v_cmp_eq_u16_sdwa s[12:13], v11, s4 src0_sel:BYTE_0 src1_sel:DWORD
	s_mov_b64 s[4:5], -1
                                        ; implicit-def: $sgpr10
	s_and_saveexec_b64 s[8:9], s[12:13]
; %bb.3150:
	s_mov_b32 s10, 0x7f800001
	s_xor_b64 s[4:5], exec, -1
; %bb.3151:
	s_or_b64 exec, exec, s[8:9]
	s_and_b64 s[4:5], s[4:5], exec
	s_or_saveexec_b64 s[6:7], s[6:7]
	v_mov_b32_e32 v14, s10
	s_xor_b64 exec, exec, s[6:7]
	s_cbranch_execz .LBB25_1102
.LBB25_3152:
	v_mov_b32_e32 v14, 0
	v_cmp_ne_u16_sdwa s[8:9], v11, v14 src0_sel:BYTE_0 src1_sel:DWORD
	s_andn2_b64 s[4:5], s[4:5], exec
	s_and_b64 s[8:9], s[8:9], exec
	s_or_b64 s[4:5], s[4:5], s[8:9]
	s_or_b64 exec, exec, s[6:7]
	s_and_saveexec_b64 s[6:7], s[4:5]
	s_cbranch_execnz .LBB25_1103
	s_branch .LBB25_1104
.LBB25_3153:
	s_movk_i32 s4, 0x80
	v_cmp_eq_u16_e32 vcc, s4, v11
	s_mov_b64 s[4:5], -1
                                        ; implicit-def: $sgpr10
	s_and_saveexec_b64 s[8:9], vcc
; %bb.3154:
	s_mov_b32 s10, 0x7f800001
	s_xor_b64 s[4:5], exec, -1
; %bb.3155:
	s_or_b64 exec, exec, s[8:9]
	s_and_b64 s[4:5], s[4:5], exec
                                        ; implicit-def: $vgpr11
	s_or_saveexec_b64 s[6:7], s[6:7]
	v_mov_b32_e32 v10, s10
	s_xor_b64 exec, exec, s[6:7]
	s_cbranch_execz .LBB25_1106
.LBB25_3156:
	v_cmp_ne_u16_e32 vcc, 0, v11
	s_andn2_b64 s[4:5], s[4:5], exec
	s_and_b64 s[8:9], vcc, exec
	v_mov_b32_e32 v10, 0
	s_or_b64 s[4:5], s[4:5], s[8:9]
	s_or_b64 exec, exec, s[6:7]
	s_and_saveexec_b64 s[6:7], s[4:5]
	s_cbranch_execnz .LBB25_1107
	s_branch .LBB25_1108
.LBB25_3157:
	s_movk_i32 s4, 0x80
	v_cmp_eq_u16_e32 vcc, s4, v11
	s_mov_b64 s[4:5], -1
                                        ; implicit-def: $sgpr10
	s_and_saveexec_b64 s[8:9], vcc
; %bb.3158:
	s_mov_b32 s10, 0x7f800001
	s_xor_b64 s[4:5], exec, -1
; %bb.3159:
	s_or_b64 exec, exec, s[8:9]
	s_and_b64 s[4:5], s[4:5], exec
                                        ; implicit-def: $vgpr11
	s_or_saveexec_b64 s[6:7], s[6:7]
	v_mov_b32_e32 v14, s10
	s_xor_b64 exec, exec, s[6:7]
	s_cbranch_execz .LBB25_1110
.LBB25_3160:
	v_cmp_ne_u16_e32 vcc, 0, v11
	s_andn2_b64 s[4:5], s[4:5], exec
	s_and_b64 s[8:9], vcc, exec
	v_mov_b32_e32 v14, 0
	s_or_b64 s[4:5], s[4:5], s[8:9]
	s_or_b64 exec, exec, s[6:7]
	s_and_saveexec_b64 s[6:7], s[4:5]
	s_cbranch_execnz .LBB25_1111
	s_branch .LBB25_1112
.LBB25_3161:
	s_movk_i32 s4, 0x80
	v_cmp_eq_u16_sdwa s[12:13], v16, s4 src0_sel:BYTE_3 src1_sel:DWORD
	s_mov_b64 s[4:5], -1
                                        ; implicit-def: $sgpr10
	s_and_saveexec_b64 s[8:9], s[12:13]
; %bb.3162:
	s_mov_b32 s10, 0x7f800001
	s_xor_b64 s[4:5], exec, -1
; %bb.3163:
	s_or_b64 exec, exec, s[8:9]
	s_and_b64 s[4:5], s[4:5], exec
	s_or_saveexec_b64 s[6:7], s[6:7]
	v_mov_b32_e32 v10, s10
	s_xor_b64 exec, exec, s[6:7]
	s_cbranch_execz .LBB25_1114
.LBB25_3164:
	v_mov_b32_e32 v10, 0
	v_cmp_ne_u16_sdwa s[8:9], v16, v10 src0_sel:BYTE_3 src1_sel:DWORD
	s_andn2_b64 s[4:5], s[4:5], exec
	s_and_b64 s[8:9], s[8:9], exec
	s_or_b64 s[4:5], s[4:5], s[8:9]
	s_or_b64 exec, exec, s[6:7]
	s_and_saveexec_b64 s[6:7], s[4:5]
	s_cbranch_execnz .LBB25_1115
	s_branch .LBB25_1116
.LBB25_3165:
	s_movk_i32 s4, 0x80
	v_cmp_eq_u16_sdwa s[12:13], v12, s4 src0_sel:BYTE_3 src1_sel:DWORD
	s_mov_b64 s[4:5], -1
                                        ; implicit-def: $sgpr10
	s_and_saveexec_b64 s[8:9], s[12:13]
; %bb.3166:
	s_mov_b32 s10, 0x7f800001
	s_xor_b64 s[4:5], exec, -1
; %bb.3167:
	s_or_b64 exec, exec, s[8:9]
	s_and_b64 s[4:5], s[4:5], exec
	s_or_saveexec_b64 s[6:7], s[6:7]
	v_mov_b32_e32 v11, s10
	s_xor_b64 exec, exec, s[6:7]
	s_cbranch_execz .LBB25_1118
.LBB25_3168:
	v_mov_b32_e32 v11, 0
	v_cmp_ne_u16_sdwa s[8:9], v12, v11 src0_sel:BYTE_3 src1_sel:DWORD
	s_andn2_b64 s[4:5], s[4:5], exec
	s_and_b64 s[8:9], s[8:9], exec
	s_or_b64 s[4:5], s[4:5], s[8:9]
	s_or_b64 exec, exec, s[6:7]
	s_and_saveexec_b64 s[6:7], s[4:5]
	s_cbranch_execnz .LBB25_1119
	s_branch .LBB25_1120
.LBB25_3169:
	s_movk_i32 s4, 0x80
	v_cmp_eq_u16_sdwa s[12:13], v17, s4 src0_sel:BYTE_0 src1_sel:DWORD
	s_mov_b64 s[4:5], -1
                                        ; implicit-def: $sgpr10
	s_and_saveexec_b64 s[8:9], s[12:13]
; %bb.3170:
	s_mov_b32 s10, 0x7f800001
	s_xor_b64 s[4:5], exec, -1
; %bb.3171:
	s_or_b64 exec, exec, s[8:9]
	s_and_b64 s[4:5], s[4:5], exec
	s_or_saveexec_b64 s[6:7], s[6:7]
	v_mov_b32_e32 v10, s10
	s_xor_b64 exec, exec, s[6:7]
	s_cbranch_execz .LBB25_1122
.LBB25_3172:
	v_mov_b32_e32 v10, 0
	v_cmp_ne_u16_sdwa s[8:9], v17, v10 src0_sel:BYTE_0 src1_sel:DWORD
	s_andn2_b64 s[4:5], s[4:5], exec
	s_and_b64 s[8:9], s[8:9], exec
	s_or_b64 s[4:5], s[4:5], s[8:9]
	s_or_b64 exec, exec, s[6:7]
	s_and_saveexec_b64 s[6:7], s[4:5]
	s_cbranch_execnz .LBB25_1123
	s_branch .LBB25_1124
.LBB25_3173:
	s_movk_i32 s4, 0x80
	v_cmp_eq_u16_sdwa s[12:13], v13, s4 src0_sel:BYTE_0 src1_sel:DWORD
	s_mov_b64 s[4:5], -1
                                        ; implicit-def: $sgpr10
	s_and_saveexec_b64 s[8:9], s[12:13]
; %bb.3174:
	s_mov_b32 s10, 0x7f800001
	s_xor_b64 s[4:5], exec, -1
; %bb.3175:
	s_or_b64 exec, exec, s[8:9]
	s_and_b64 s[4:5], s[4:5], exec
	s_or_saveexec_b64 s[6:7], s[6:7]
	v_mov_b32_e32 v11, s10
	s_xor_b64 exec, exec, s[6:7]
	s_cbranch_execz .LBB25_1126
.LBB25_3176:
	v_mov_b32_e32 v11, 0
	v_cmp_ne_u16_sdwa s[8:9], v13, v11 src0_sel:BYTE_0 src1_sel:DWORD
	s_andn2_b64 s[4:5], s[4:5], exec
	s_and_b64 s[8:9], s[8:9], exec
	s_or_b64 s[4:5], s[4:5], s[8:9]
	s_or_b64 exec, exec, s[6:7]
	s_and_saveexec_b64 s[6:7], s[4:5]
	s_cbranch_execnz .LBB25_1127
	s_branch .LBB25_1128
.LBB25_3177:
	s_movk_i32 s4, 0x80
	v_cmp_eq_u16_sdwa s[12:13], v11, s4 src0_sel:BYTE_0 src1_sel:DWORD
	s_mov_b64 s[4:5], -1
                                        ; implicit-def: $sgpr10
	s_and_saveexec_b64 s[8:9], s[12:13]
; %bb.3178:
	s_mov_b32 s10, 0x7f800001
	s_xor_b64 s[4:5], exec, -1
; %bb.3179:
	s_or_b64 exec, exec, s[8:9]
	s_and_b64 s[4:5], s[4:5], exec
	s_or_saveexec_b64 s[6:7], s[6:7]
	v_mov_b32_e32 v10, s10
	s_xor_b64 exec, exec, s[6:7]
	s_cbranch_execz .LBB25_1130
.LBB25_3180:
	v_mov_b32_e32 v10, 0
	v_cmp_ne_u16_sdwa s[8:9], v11, v10 src0_sel:BYTE_0 src1_sel:DWORD
	s_andn2_b64 s[4:5], s[4:5], exec
	s_and_b64 s[8:9], s[8:9], exec
	s_or_b64 s[4:5], s[4:5], s[8:9]
	s_or_b64 exec, exec, s[6:7]
	s_and_saveexec_b64 s[6:7], s[4:5]
	s_cbranch_execnz .LBB25_1131
	s_branch .LBB25_1132
.LBB25_3181:
	s_movk_i32 s4, 0x80
	v_cmp_eq_u16_sdwa s[12:13], v11, s4 src0_sel:BYTE_0 src1_sel:DWORD
	s_mov_b64 s[4:5], -1
                                        ; implicit-def: $sgpr10
	s_and_saveexec_b64 s[8:9], s[12:13]
; %bb.3182:
	s_mov_b32 s10, 0x7f800001
	s_xor_b64 s[4:5], exec, -1
; %bb.3183:
	s_or_b64 exec, exec, s[8:9]
	s_and_b64 s[4:5], s[4:5], exec
	s_or_saveexec_b64 s[6:7], s[6:7]
	v_mov_b32_e32 v12, s10
	s_xor_b64 exec, exec, s[6:7]
	s_cbranch_execz .LBB25_1134
.LBB25_3184:
	v_mov_b32_e32 v12, 0
	v_cmp_ne_u16_sdwa s[8:9], v11, v12 src0_sel:BYTE_0 src1_sel:DWORD
	s_andn2_b64 s[4:5], s[4:5], exec
	s_and_b64 s[8:9], s[8:9], exec
	s_or_b64 s[4:5], s[4:5], s[8:9]
	s_or_b64 exec, exec, s[6:7]
	s_and_saveexec_b64 s[6:7], s[4:5]
	s_cbranch_execnz .LBB25_1135
	s_branch .LBB25_1136
.LBB25_3185:
	s_movk_i32 s4, 0x80
	v_cmp_eq_u16_e32 vcc, s4, v11
	s_mov_b64 s[4:5], -1
                                        ; implicit-def: $sgpr10
	s_and_saveexec_b64 s[8:9], vcc
; %bb.3186:
	s_mov_b32 s10, 0x7f800001
	s_xor_b64 s[4:5], exec, -1
; %bb.3187:
	s_or_b64 exec, exec, s[8:9]
	s_and_b64 s[4:5], s[4:5], exec
                                        ; implicit-def: $vgpr11
	s_or_saveexec_b64 s[6:7], s[6:7]
	v_mov_b32_e32 v10, s10
	s_xor_b64 exec, exec, s[6:7]
	s_cbranch_execz .LBB25_1138
.LBB25_3188:
	v_cmp_ne_u16_e32 vcc, 0, v11
	s_andn2_b64 s[4:5], s[4:5], exec
	s_and_b64 s[8:9], vcc, exec
	v_mov_b32_e32 v10, 0
	s_or_b64 s[4:5], s[4:5], s[8:9]
	s_or_b64 exec, exec, s[6:7]
	s_and_saveexec_b64 s[6:7], s[4:5]
	s_cbranch_execnz .LBB25_1139
	s_branch .LBB25_1140
.LBB25_3189:
	s_movk_i32 s4, 0x80
	v_cmp_eq_u16_e32 vcc, s4, v11
	s_mov_b64 s[4:5], -1
                                        ; implicit-def: $sgpr10
	s_and_saveexec_b64 s[8:9], vcc
; %bb.3190:
	s_mov_b32 s10, 0x7f800001
	s_xor_b64 s[4:5], exec, -1
; %bb.3191:
	s_or_b64 exec, exec, s[8:9]
	s_and_b64 s[4:5], s[4:5], exec
                                        ; implicit-def: $vgpr11
	s_or_saveexec_b64 s[6:7], s[6:7]
	v_mov_b32_e32 v12, s10
	s_xor_b64 exec, exec, s[6:7]
	s_cbranch_execz .LBB25_1142
.LBB25_3192:
	v_cmp_ne_u16_e32 vcc, 0, v11
	s_andn2_b64 s[4:5], s[4:5], exec
	s_and_b64 s[8:9], vcc, exec
	v_mov_b32_e32 v12, 0
	s_or_b64 s[4:5], s[4:5], s[8:9]
	s_or_b64 exec, exec, s[6:7]
	s_and_saveexec_b64 s[6:7], s[4:5]
	s_cbranch_execnz .LBB25_1143
	s_branch .LBB25_1144
.LBB25_3193:
	s_movk_i32 s4, 0x80
	v_cmp_eq_u16_sdwa s[12:13], v17, s4 src0_sel:BYTE_3 src1_sel:DWORD
	s_mov_b64 s[4:5], -1
                                        ; implicit-def: $sgpr10
	s_and_saveexec_b64 s[8:9], s[12:13]
; %bb.3194:
	s_mov_b32 s10, 0x7f800001
	s_xor_b64 s[4:5], exec, -1
; %bb.3195:
	s_or_b64 exec, exec, s[8:9]
	s_and_b64 s[4:5], s[4:5], exec
	s_or_saveexec_b64 s[6:7], s[6:7]
	v_mov_b32_e32 v10, s10
	s_xor_b64 exec, exec, s[6:7]
	s_cbranch_execz .LBB25_1146
.LBB25_3196:
	v_mov_b32_e32 v10, 0
	v_cmp_ne_u16_sdwa s[8:9], v17, v10 src0_sel:BYTE_3 src1_sel:DWORD
	s_andn2_b64 s[4:5], s[4:5], exec
	s_and_b64 s[8:9], s[8:9], exec
	s_or_b64 s[4:5], s[4:5], s[8:9]
	s_or_b64 exec, exec, s[6:7]
	s_and_saveexec_b64 s[6:7], s[4:5]
	s_cbranch_execnz .LBB25_1147
	s_branch .LBB25_1148
.LBB25_3197:
	s_movk_i32 s4, 0x80
	v_cmp_eq_u16_sdwa s[12:13], v13, s4 src0_sel:BYTE_3 src1_sel:DWORD
	s_mov_b64 s[4:5], -1
                                        ; implicit-def: $sgpr10
	s_and_saveexec_b64 s[8:9], s[12:13]
; %bb.3198:
	s_mov_b32 s10, 0x7f800001
	s_xor_b64 s[4:5], exec, -1
; %bb.3199:
	s_or_b64 exec, exec, s[8:9]
	s_and_b64 s[4:5], s[4:5], exec
	s_or_saveexec_b64 s[6:7], s[6:7]
	v_mov_b32_e32 v11, s10
	s_xor_b64 exec, exec, s[6:7]
	s_cbranch_execz .LBB25_1150
.LBB25_3200:
	v_mov_b32_e32 v11, 0
	v_cmp_ne_u16_sdwa s[8:9], v13, v11 src0_sel:BYTE_3 src1_sel:DWORD
	s_andn2_b64 s[4:5], s[4:5], exec
	s_and_b64 s[8:9], s[8:9], exec
	s_or_b64 s[4:5], s[4:5], s[8:9]
	s_or_b64 exec, exec, s[6:7]
	s_and_saveexec_b64 s[6:7], s[4:5]
	s_cbranch_execnz .LBB25_1151
	s_branch .LBB25_1152
.LBB25_3201:
	s_movk_i32 s4, 0x80
	v_cmp_eq_u16_sdwa s[12:13], v6, s4 src0_sel:BYTE_0 src1_sel:DWORD
	s_mov_b64 s[4:5], -1
                                        ; implicit-def: $sgpr10
	s_and_saveexec_b64 s[8:9], s[12:13]
; %bb.3202:
	s_mov_b32 s10, 0x7f800001
	s_xor_b64 s[4:5], exec, -1
; %bb.3203:
	s_or_b64 exec, exec, s[8:9]
	s_and_b64 s[4:5], s[4:5], exec
	s_or_saveexec_b64 s[6:7], s[6:7]
	v_mov_b32_e32 v10, s10
	s_xor_b64 exec, exec, s[6:7]
	s_cbranch_execz .LBB25_1154
.LBB25_3204:
	v_mov_b32_e32 v10, 0
	v_cmp_ne_u16_sdwa s[8:9], v6, v10 src0_sel:BYTE_0 src1_sel:DWORD
	s_andn2_b64 s[4:5], s[4:5], exec
	s_and_b64 s[8:9], s[8:9], exec
	s_or_b64 s[4:5], s[4:5], s[8:9]
	s_or_b64 exec, exec, s[6:7]
	s_and_saveexec_b64 s[6:7], s[4:5]
	s_cbranch_execnz .LBB25_1155
	s_branch .LBB25_1156
.LBB25_3205:
	s_movk_i32 s4, 0x80
	v_cmp_eq_u16_sdwa s[12:13], v2, s4 src0_sel:BYTE_0 src1_sel:DWORD
	s_mov_b64 s[4:5], -1
                                        ; implicit-def: $sgpr10
	s_and_saveexec_b64 s[8:9], s[12:13]
; %bb.3206:
	s_mov_b32 s10, 0x7f800001
	s_xor_b64 s[4:5], exec, -1
; %bb.3207:
	s_or_b64 exec, exec, s[8:9]
	s_and_b64 s[4:5], s[4:5], exec
	s_or_saveexec_b64 s[6:7], s[6:7]
	v_mov_b32_e32 v11, s10
	s_xor_b64 exec, exec, s[6:7]
	s_cbranch_execz .LBB25_1158
.LBB25_3208:
	v_mov_b32_e32 v11, 0
	v_cmp_ne_u16_sdwa s[8:9], v2, v11 src0_sel:BYTE_0 src1_sel:DWORD
	s_andn2_b64 s[4:5], s[4:5], exec
	s_and_b64 s[8:9], s[8:9], exec
	s_or_b64 s[4:5], s[4:5], s[8:9]
	s_or_b64 exec, exec, s[6:7]
	s_and_saveexec_b64 s[6:7], s[4:5]
	s_cbranch_execnz .LBB25_1159
	s_branch .LBB25_1160
.LBB25_3209:
	s_movk_i32 s4, 0x80
	v_cmp_eq_u16_sdwa s[12:13], v11, s4 src0_sel:BYTE_0 src1_sel:DWORD
	s_mov_b64 s[4:5], -1
                                        ; implicit-def: $sgpr10
	s_and_saveexec_b64 s[8:9], s[12:13]
; %bb.3210:
	s_mov_b32 s10, 0x7f800001
	s_xor_b64 s[4:5], exec, -1
; %bb.3211:
	s_or_b64 exec, exec, s[8:9]
	s_and_b64 s[4:5], s[4:5], exec
	s_or_saveexec_b64 s[6:7], s[6:7]
	v_mov_b32_e32 v10, s10
	s_xor_b64 exec, exec, s[6:7]
	s_cbranch_execz .LBB25_1162
.LBB25_3212:
	v_mov_b32_e32 v10, 0
	v_cmp_ne_u16_sdwa s[8:9], v11, v10 src0_sel:BYTE_0 src1_sel:DWORD
	s_andn2_b64 s[4:5], s[4:5], exec
	s_and_b64 s[8:9], s[8:9], exec
	s_or_b64 s[4:5], s[4:5], s[8:9]
	s_or_b64 exec, exec, s[6:7]
	s_and_saveexec_b64 s[6:7], s[4:5]
	s_cbranch_execnz .LBB25_1163
	s_branch .LBB25_1164
.LBB25_3213:
	s_movk_i32 s4, 0x80
	v_cmp_eq_u16_sdwa s[12:13], v11, s4 src0_sel:BYTE_0 src1_sel:DWORD
	s_mov_b64 s[4:5], -1
                                        ; implicit-def: $sgpr10
	s_and_saveexec_b64 s[8:9], s[12:13]
; %bb.3214:
	s_mov_b32 s10, 0x7f800001
	s_xor_b64 s[4:5], exec, -1
; %bb.3215:
	s_or_b64 exec, exec, s[8:9]
	s_and_b64 s[4:5], s[4:5], exec
	s_or_saveexec_b64 s[6:7], s[6:7]
	v_mov_b32_e32 v12, s10
	s_xor_b64 exec, exec, s[6:7]
	s_cbranch_execz .LBB25_1166
.LBB25_3216:
	v_mov_b32_e32 v12, 0
	v_cmp_ne_u16_sdwa s[8:9], v11, v12 src0_sel:BYTE_0 src1_sel:DWORD
	s_andn2_b64 s[4:5], s[4:5], exec
	s_and_b64 s[8:9], s[8:9], exec
	s_or_b64 s[4:5], s[4:5], s[8:9]
	s_or_b64 exec, exec, s[6:7]
	s_and_saveexec_b64 s[6:7], s[4:5]
	s_cbranch_execnz .LBB25_1167
	s_branch .LBB25_1168
.LBB25_3217:
	s_movk_i32 s4, 0x80
	v_cmp_eq_u16_e32 vcc, s4, v11
	s_mov_b64 s[4:5], -1
                                        ; implicit-def: $sgpr10
	s_and_saveexec_b64 s[8:9], vcc
; %bb.3218:
	s_mov_b32 s10, 0x7f800001
	s_xor_b64 s[4:5], exec, -1
; %bb.3219:
	s_or_b64 exec, exec, s[8:9]
	s_and_b64 s[4:5], s[4:5], exec
                                        ; implicit-def: $vgpr11
	s_or_saveexec_b64 s[6:7], s[6:7]
	v_mov_b32_e32 v10, s10
	s_xor_b64 exec, exec, s[6:7]
	s_cbranch_execz .LBB25_1170
.LBB25_3220:
	v_cmp_ne_u16_e32 vcc, 0, v11
	s_andn2_b64 s[4:5], s[4:5], exec
	s_and_b64 s[8:9], vcc, exec
	v_mov_b32_e32 v10, 0
	s_or_b64 s[4:5], s[4:5], s[8:9]
	s_or_b64 exec, exec, s[6:7]
	s_and_saveexec_b64 s[6:7], s[4:5]
	s_cbranch_execnz .LBB25_1171
	s_branch .LBB25_1172
.LBB25_3221:
	s_movk_i32 s4, 0x80
	v_cmp_eq_u16_e32 vcc, s4, v11
	s_mov_b64 s[4:5], -1
                                        ; implicit-def: $sgpr10
	s_and_saveexec_b64 s[8:9], vcc
; %bb.3222:
	s_mov_b32 s10, 0x7f800001
	s_xor_b64 s[4:5], exec, -1
; %bb.3223:
	s_or_b64 exec, exec, s[8:9]
	s_and_b64 s[4:5], s[4:5], exec
                                        ; implicit-def: $vgpr11
	s_or_saveexec_b64 s[6:7], s[6:7]
	v_mov_b32_e32 v12, s10
	s_xor_b64 exec, exec, s[6:7]
	s_cbranch_execz .LBB25_1174
.LBB25_3224:
	v_cmp_ne_u16_e32 vcc, 0, v11
	s_andn2_b64 s[4:5], s[4:5], exec
	s_and_b64 s[8:9], vcc, exec
	v_mov_b32_e32 v12, 0
	s_or_b64 s[4:5], s[4:5], s[8:9]
	s_or_b64 exec, exec, s[6:7]
	s_and_saveexec_b64 s[6:7], s[4:5]
	s_cbranch_execnz .LBB25_1175
	s_branch .LBB25_1176
.LBB25_3225:
	s_movk_i32 s4, 0x80
	v_cmp_eq_u16_sdwa s[12:13], v6, s4 src0_sel:BYTE_3 src1_sel:DWORD
	s_mov_b64 s[4:5], -1
                                        ; implicit-def: $sgpr10
	s_and_saveexec_b64 s[8:9], s[12:13]
; %bb.3226:
	s_mov_b32 s10, 0x7f800001
	s_xor_b64 s[4:5], exec, -1
; %bb.3227:
	s_or_b64 exec, exec, s[8:9]
	s_and_b64 s[4:5], s[4:5], exec
	s_or_saveexec_b64 s[6:7], s[6:7]
	v_mov_b32_e32 v10, s10
	s_xor_b64 exec, exec, s[6:7]
	s_cbranch_execz .LBB25_1178
.LBB25_3228:
	v_mov_b32_e32 v10, 0
	v_cmp_ne_u16_sdwa s[8:9], v6, v10 src0_sel:BYTE_3 src1_sel:DWORD
	s_andn2_b64 s[4:5], s[4:5], exec
	s_and_b64 s[8:9], s[8:9], exec
	s_or_b64 s[4:5], s[4:5], s[8:9]
	s_or_b64 exec, exec, s[6:7]
	s_and_saveexec_b64 s[6:7], s[4:5]
	s_cbranch_execnz .LBB25_1179
	s_branch .LBB25_1180
.LBB25_3229:
	s_movk_i32 s4, 0x80
	v_cmp_eq_u16_sdwa s[12:13], v2, s4 src0_sel:BYTE_3 src1_sel:DWORD
	s_mov_b64 s[4:5], -1
                                        ; implicit-def: $sgpr10
	s_and_saveexec_b64 s[8:9], s[12:13]
; %bb.3230:
	s_mov_b32 s10, 0x7f800001
	s_xor_b64 s[4:5], exec, -1
; %bb.3231:
	s_or_b64 exec, exec, s[8:9]
	s_and_b64 s[4:5], s[4:5], exec
	s_or_saveexec_b64 s[6:7], s[6:7]
	v_mov_b32_e32 v6, s10
	s_xor_b64 exec, exec, s[6:7]
	s_cbranch_execz .LBB25_1182
.LBB25_3232:
	v_mov_b32_e32 v6, 0
	v_cmp_ne_u16_sdwa s[8:9], v2, v6 src0_sel:BYTE_3 src1_sel:DWORD
	s_andn2_b64 s[4:5], s[4:5], exec
	s_and_b64 s[8:9], s[8:9], exec
	s_or_b64 s[4:5], s[4:5], s[8:9]
	s_or_b64 exec, exec, s[6:7]
	s_and_saveexec_b64 s[6:7], s[4:5]
	s_cbranch_execnz .LBB25_1183
	s_branch .LBB25_1184
.LBB25_3233:
	s_movk_i32 s4, 0x80
	v_cmp_eq_u16_sdwa s[12:13], v7, s4 src0_sel:BYTE_0 src1_sel:DWORD
	s_mov_b64 s[4:5], -1
                                        ; implicit-def: $sgpr10
	s_and_saveexec_b64 s[8:9], s[12:13]
; %bb.3234:
	s_mov_b32 s10, 0x7f800001
	s_xor_b64 s[4:5], exec, -1
; %bb.3235:
	s_or_b64 exec, exec, s[8:9]
	s_and_b64 s[4:5], s[4:5], exec
	s_or_saveexec_b64 s[6:7], s[6:7]
	v_mov_b32_e32 v2, s10
	s_xor_b64 exec, exec, s[6:7]
	s_cbranch_execz .LBB25_1186
.LBB25_3236:
	v_mov_b32_e32 v2, 0
	v_cmp_ne_u16_sdwa s[8:9], v7, v2 src0_sel:BYTE_0 src1_sel:DWORD
	s_andn2_b64 s[4:5], s[4:5], exec
	s_and_b64 s[8:9], s[8:9], exec
	s_or_b64 s[4:5], s[4:5], s[8:9]
	s_or_b64 exec, exec, s[6:7]
	s_and_saveexec_b64 s[6:7], s[4:5]
	s_cbranch_execnz .LBB25_1187
	s_branch .LBB25_1188
.LBB25_3237:
	s_movk_i32 s4, 0x80
	v_cmp_eq_u16_sdwa s[12:13], v3, s4 src0_sel:BYTE_0 src1_sel:DWORD
	s_mov_b64 s[4:5], -1
                                        ; implicit-def: $sgpr10
	s_and_saveexec_b64 s[8:9], s[12:13]
; %bb.3238:
	s_mov_b32 s10, 0x7f800001
	s_xor_b64 s[4:5], exec, -1
; %bb.3239:
	s_or_b64 exec, exec, s[8:9]
	s_and_b64 s[4:5], s[4:5], exec
	s_or_saveexec_b64 s[6:7], s[6:7]
	v_mov_b32_e32 v6, s10
	s_xor_b64 exec, exec, s[6:7]
	s_cbranch_execz .LBB25_1190
.LBB25_3240:
	v_mov_b32_e32 v6, 0
	v_cmp_ne_u16_sdwa s[8:9], v3, v6 src0_sel:BYTE_0 src1_sel:DWORD
	s_andn2_b64 s[4:5], s[4:5], exec
	s_and_b64 s[8:9], s[8:9], exec
	s_or_b64 s[4:5], s[4:5], s[8:9]
	s_or_b64 exec, exec, s[6:7]
	s_and_saveexec_b64 s[6:7], s[4:5]
	s_cbranch_execnz .LBB25_1191
	s_branch .LBB25_1192
.LBB25_3241:
	s_movk_i32 s4, 0x80
	v_cmp_eq_u16_sdwa s[12:13], v6, s4 src0_sel:BYTE_0 src1_sel:DWORD
	s_mov_b64 s[4:5], -1
                                        ; implicit-def: $sgpr10
	s_and_saveexec_b64 s[8:9], s[12:13]
; %bb.3242:
	s_mov_b32 s10, 0x7f800001
	s_xor_b64 s[4:5], exec, -1
; %bb.3243:
	s_or_b64 exec, exec, s[8:9]
	s_and_b64 s[4:5], s[4:5], exec
	s_or_saveexec_b64 s[6:7], s[6:7]
	v_mov_b32_e32 v2, s10
	s_xor_b64 exec, exec, s[6:7]
	s_cbranch_execz .LBB25_1194
.LBB25_3244:
	v_mov_b32_e32 v2, 0
	v_cmp_ne_u16_sdwa s[8:9], v6, v2 src0_sel:BYTE_0 src1_sel:DWORD
	s_andn2_b64 s[4:5], s[4:5], exec
	s_and_b64 s[8:9], s[8:9], exec
	s_or_b64 s[4:5], s[4:5], s[8:9]
	s_or_b64 exec, exec, s[6:7]
	s_and_saveexec_b64 s[6:7], s[4:5]
	s_cbranch_execnz .LBB25_1195
	s_branch .LBB25_1196
.LBB25_3245:
	s_movk_i32 s4, 0x80
	v_cmp_eq_u16_sdwa s[12:13], v6, s4 src0_sel:BYTE_0 src1_sel:DWORD
	s_mov_b64 s[4:5], -1
                                        ; implicit-def: $sgpr10
	s_and_saveexec_b64 s[8:9], s[12:13]
; %bb.3246:
	s_mov_b32 s10, 0x7f800001
	s_xor_b64 s[4:5], exec, -1
; %bb.3247:
	s_or_b64 exec, exec, s[8:9]
	s_and_b64 s[4:5], s[4:5], exec
	s_or_saveexec_b64 s[6:7], s[6:7]
	v_mov_b32_e32 v10, s10
	s_xor_b64 exec, exec, s[6:7]
	s_cbranch_execz .LBB25_1198
.LBB25_3248:
	v_mov_b32_e32 v10, 0
	v_cmp_ne_u16_sdwa s[8:9], v6, v10 src0_sel:BYTE_0 src1_sel:DWORD
	s_andn2_b64 s[4:5], s[4:5], exec
	s_and_b64 s[8:9], s[8:9], exec
	s_or_b64 s[4:5], s[4:5], s[8:9]
	s_or_b64 exec, exec, s[6:7]
	s_and_saveexec_b64 s[6:7], s[4:5]
	s_cbranch_execnz .LBB25_1199
	s_branch .LBB25_1200
.LBB25_3249:
	s_movk_i32 s4, 0x80
	v_cmp_eq_u16_e32 vcc, s4, v6
	s_mov_b64 s[4:5], -1
                                        ; implicit-def: $sgpr10
	s_and_saveexec_b64 s[8:9], vcc
; %bb.3250:
	s_mov_b32 s10, 0x7f800001
	s_xor_b64 s[4:5], exec, -1
; %bb.3251:
	s_or_b64 exec, exec, s[8:9]
	s_and_b64 s[4:5], s[4:5], exec
                                        ; implicit-def: $vgpr6
	s_or_saveexec_b64 s[6:7], s[6:7]
	v_mov_b32_e32 v2, s10
	s_xor_b64 exec, exec, s[6:7]
	s_cbranch_execz .LBB25_1202
.LBB25_3252:
	v_cmp_ne_u16_e32 vcc, 0, v6
	s_andn2_b64 s[4:5], s[4:5], exec
	s_and_b64 s[8:9], vcc, exec
	v_mov_b32_e32 v2, 0
	s_or_b64 s[4:5], s[4:5], s[8:9]
	s_or_b64 exec, exec, s[6:7]
	s_and_saveexec_b64 s[6:7], s[4:5]
	s_cbranch_execnz .LBB25_1203
	s_branch .LBB25_1204
.LBB25_3253:
	s_movk_i32 s4, 0x80
	v_cmp_eq_u16_e32 vcc, s4, v6
	s_mov_b64 s[4:5], -1
                                        ; implicit-def: $sgpr10
	s_and_saveexec_b64 s[8:9], vcc
; %bb.3254:
	s_mov_b32 s10, 0x7f800001
	s_xor_b64 s[4:5], exec, -1
; %bb.3255:
	s_or_b64 exec, exec, s[8:9]
	s_and_b64 s[4:5], s[4:5], exec
                                        ; implicit-def: $vgpr6
	s_or_saveexec_b64 s[6:7], s[6:7]
	v_mov_b32_e32 v10, s10
	s_xor_b64 exec, exec, s[6:7]
	s_cbranch_execz .LBB25_1206
.LBB25_3256:
	v_cmp_ne_u16_e32 vcc, 0, v6
	s_andn2_b64 s[4:5], s[4:5], exec
	s_and_b64 s[8:9], vcc, exec
	v_mov_b32_e32 v10, 0
	s_or_b64 s[4:5], s[4:5], s[8:9]
	s_or_b64 exec, exec, s[6:7]
	s_and_saveexec_b64 s[6:7], s[4:5]
	s_cbranch_execnz .LBB25_1207
	s_branch .LBB25_1208
.LBB25_3257:
	s_movk_i32 s4, 0x80
	v_cmp_eq_u16_sdwa s[12:13], v7, s4 src0_sel:BYTE_3 src1_sel:DWORD
	s_mov_b64 s[4:5], -1
                                        ; implicit-def: $sgpr10
	s_and_saveexec_b64 s[8:9], s[12:13]
; %bb.3258:
	s_mov_b32 s10, 0x7f800001
	s_xor_b64 s[4:5], exec, -1
; %bb.3259:
	s_or_b64 exec, exec, s[8:9]
	s_and_b64 s[4:5], s[4:5], exec
	s_or_saveexec_b64 s[6:7], s[6:7]
	v_mov_b32_e32 v2, s10
	s_xor_b64 exec, exec, s[6:7]
	s_cbranch_execz .LBB25_1210
.LBB25_3260:
	v_mov_b32_e32 v2, 0
	v_cmp_ne_u16_sdwa s[8:9], v7, v2 src0_sel:BYTE_3 src1_sel:DWORD
	s_andn2_b64 s[4:5], s[4:5], exec
	s_and_b64 s[8:9], s[8:9], exec
	s_or_b64 s[4:5], s[4:5], s[8:9]
	s_or_b64 exec, exec, s[6:7]
	s_and_saveexec_b64 s[6:7], s[4:5]
	s_cbranch_execnz .LBB25_1211
	s_branch .LBB25_1212
.LBB25_3261:
	s_movk_i32 s4, 0x80
	v_cmp_eq_u16_sdwa s[12:13], v3, s4 src0_sel:BYTE_3 src1_sel:DWORD
	s_mov_b64 s[4:5], -1
                                        ; implicit-def: $sgpr10
	s_and_saveexec_b64 s[8:9], s[12:13]
; %bb.3262:
	s_mov_b32 s10, 0x7f800001
	s_xor_b64 s[4:5], exec, -1
; %bb.3263:
	s_or_b64 exec, exec, s[8:9]
	s_and_b64 s[4:5], s[4:5], exec
	s_or_saveexec_b64 s[6:7], s[6:7]
	v_mov_b32_e32 v6, s10
	s_xor_b64 exec, exec, s[6:7]
	s_cbranch_execz .LBB25_1214
.LBB25_3264:
	v_mov_b32_e32 v6, 0
	v_cmp_ne_u16_sdwa s[8:9], v3, v6 src0_sel:BYTE_3 src1_sel:DWORD
	s_andn2_b64 s[4:5], s[4:5], exec
	s_and_b64 s[8:9], s[8:9], exec
	s_or_b64 s[4:5], s[4:5], s[8:9]
	s_or_b64 exec, exec, s[6:7]
	s_and_saveexec_b64 s[6:7], s[4:5]
	s_cbranch_execnz .LBB25_1215
	s_branch .LBB25_1216
.LBB25_3265:
	s_movk_i32 s4, 0x80
	v_cmp_eq_u16_sdwa s[12:13], v8, s4 src0_sel:BYTE_0 src1_sel:DWORD
	s_mov_b64 s[4:5], -1
                                        ; implicit-def: $sgpr10
	s_and_saveexec_b64 s[8:9], s[12:13]
; %bb.3266:
	s_mov_b32 s10, 0x7f800001
	s_xor_b64 s[4:5], exec, -1
; %bb.3267:
	s_or_b64 exec, exec, s[8:9]
	s_and_b64 s[4:5], s[4:5], exec
	s_or_saveexec_b64 s[6:7], s[6:7]
	v_mov_b32_e32 v2, s10
	s_xor_b64 exec, exec, s[6:7]
	s_cbranch_execz .LBB25_1218
.LBB25_3268:
	v_mov_b32_e32 v2, 0
	v_cmp_ne_u16_sdwa s[8:9], v8, v2 src0_sel:BYTE_0 src1_sel:DWORD
	s_andn2_b64 s[4:5], s[4:5], exec
	s_and_b64 s[8:9], s[8:9], exec
	s_or_b64 s[4:5], s[4:5], s[8:9]
	s_or_b64 exec, exec, s[6:7]
	s_and_saveexec_b64 s[6:7], s[4:5]
	s_cbranch_execnz .LBB25_1219
	s_branch .LBB25_1220
.LBB25_3269:
	s_movk_i32 s4, 0x80
	v_cmp_eq_u16_sdwa s[12:13], v4, s4 src0_sel:BYTE_0 src1_sel:DWORD
	s_mov_b64 s[4:5], -1
                                        ; implicit-def: $sgpr10
	s_and_saveexec_b64 s[8:9], s[12:13]
; %bb.3270:
	s_mov_b32 s10, 0x7f800001
	s_xor_b64 s[4:5], exec, -1
; %bb.3271:
	s_or_b64 exec, exec, s[8:9]
	s_and_b64 s[4:5], s[4:5], exec
	s_or_saveexec_b64 s[6:7], s[6:7]
	v_mov_b32_e32 v3, s10
	s_xor_b64 exec, exec, s[6:7]
	s_cbranch_execz .LBB25_1222
.LBB25_3272:
	v_mov_b32_e32 v3, 0
	v_cmp_ne_u16_sdwa s[8:9], v4, v3 src0_sel:BYTE_0 src1_sel:DWORD
	s_andn2_b64 s[4:5], s[4:5], exec
	s_and_b64 s[8:9], s[8:9], exec
	s_or_b64 s[4:5], s[4:5], s[8:9]
	s_or_b64 exec, exec, s[6:7]
	s_and_saveexec_b64 s[6:7], s[4:5]
	s_cbranch_execnz .LBB25_1223
	s_branch .LBB25_1224
.LBB25_3273:
	s_movk_i32 s4, 0x80
	v_cmp_eq_u16_sdwa s[12:13], v3, s4 src0_sel:BYTE_0 src1_sel:DWORD
	s_mov_b64 s[4:5], -1
                                        ; implicit-def: $sgpr10
	s_and_saveexec_b64 s[8:9], s[12:13]
; %bb.3274:
	s_mov_b32 s10, 0x7f800001
	s_xor_b64 s[4:5], exec, -1
; %bb.3275:
	s_or_b64 exec, exec, s[8:9]
	s_and_b64 s[4:5], s[4:5], exec
	s_or_saveexec_b64 s[6:7], s[6:7]
	v_mov_b32_e32 v2, s10
	s_xor_b64 exec, exec, s[6:7]
	s_cbranch_execz .LBB25_1226
.LBB25_3276:
	v_mov_b32_e32 v2, 0
	v_cmp_ne_u16_sdwa s[8:9], v3, v2 src0_sel:BYTE_0 src1_sel:DWORD
	s_andn2_b64 s[4:5], s[4:5], exec
	s_and_b64 s[8:9], s[8:9], exec
	s_or_b64 s[4:5], s[4:5], s[8:9]
	s_or_b64 exec, exec, s[6:7]
	s_and_saveexec_b64 s[6:7], s[4:5]
	s_cbranch_execnz .LBB25_1227
	s_branch .LBB25_1228
.LBB25_3277:
	s_movk_i32 s4, 0x80
	v_cmp_eq_u16_sdwa s[12:13], v3, s4 src0_sel:BYTE_0 src1_sel:DWORD
	s_mov_b64 s[4:5], -1
                                        ; implicit-def: $sgpr10
	s_and_saveexec_b64 s[8:9], s[12:13]
; %bb.3278:
	s_mov_b32 s10, 0x7f800001
	s_xor_b64 s[4:5], exec, -1
; %bb.3279:
	s_or_b64 exec, exec, s[8:9]
	s_and_b64 s[4:5], s[4:5], exec
	s_or_saveexec_b64 s[6:7], s[6:7]
	v_mov_b32_e32 v6, s10
	s_xor_b64 exec, exec, s[6:7]
	s_cbranch_execz .LBB25_1230
.LBB25_3280:
	v_mov_b32_e32 v6, 0
	v_cmp_ne_u16_sdwa s[8:9], v3, v6 src0_sel:BYTE_0 src1_sel:DWORD
	s_andn2_b64 s[4:5], s[4:5], exec
	s_and_b64 s[8:9], s[8:9], exec
	s_or_b64 s[4:5], s[4:5], s[8:9]
	s_or_b64 exec, exec, s[6:7]
	s_and_saveexec_b64 s[6:7], s[4:5]
	s_cbranch_execnz .LBB25_1231
	s_branch .LBB25_1232
.LBB25_3281:
	s_movk_i32 s4, 0x80
	v_cmp_eq_u16_e32 vcc, s4, v3
	s_mov_b64 s[4:5], -1
                                        ; implicit-def: $sgpr10
	s_and_saveexec_b64 s[8:9], vcc
; %bb.3282:
	s_mov_b32 s10, 0x7f800001
	s_xor_b64 s[4:5], exec, -1
; %bb.3283:
	s_or_b64 exec, exec, s[8:9]
	s_and_b64 s[4:5], s[4:5], exec
                                        ; implicit-def: $vgpr3
	s_or_saveexec_b64 s[6:7], s[6:7]
	v_mov_b32_e32 v2, s10
	s_xor_b64 exec, exec, s[6:7]
	s_cbranch_execz .LBB25_1234
.LBB25_3284:
	v_cmp_ne_u16_e32 vcc, 0, v3
	s_andn2_b64 s[4:5], s[4:5], exec
	s_and_b64 s[8:9], vcc, exec
	v_mov_b32_e32 v2, 0
	s_or_b64 s[4:5], s[4:5], s[8:9]
	s_or_b64 exec, exec, s[6:7]
	s_and_saveexec_b64 s[6:7], s[4:5]
	s_cbranch_execnz .LBB25_1235
	s_branch .LBB25_1236
.LBB25_3285:
	s_movk_i32 s4, 0x80
	v_cmp_eq_u16_e32 vcc, s4, v3
	s_mov_b64 s[4:5], -1
                                        ; implicit-def: $sgpr10
	s_and_saveexec_b64 s[8:9], vcc
; %bb.3286:
	s_mov_b32 s10, 0x7f800001
	s_xor_b64 s[4:5], exec, -1
; %bb.3287:
	s_or_b64 exec, exec, s[8:9]
	s_and_b64 s[4:5], s[4:5], exec
                                        ; implicit-def: $vgpr3
	s_or_saveexec_b64 s[6:7], s[6:7]
	v_mov_b32_e32 v6, s10
	s_xor_b64 exec, exec, s[6:7]
	s_cbranch_execz .LBB25_1238
.LBB25_3288:
	v_cmp_ne_u16_e32 vcc, 0, v3
	s_andn2_b64 s[4:5], s[4:5], exec
	s_and_b64 s[8:9], vcc, exec
	v_mov_b32_e32 v6, 0
	s_or_b64 s[4:5], s[4:5], s[8:9]
	s_or_b64 exec, exec, s[6:7]
	s_and_saveexec_b64 s[6:7], s[4:5]
	s_cbranch_execnz .LBB25_1239
	s_branch .LBB25_1240
.LBB25_3289:
	s_movk_i32 s4, 0x80
	v_cmp_eq_u16_sdwa s[12:13], v8, s4 src0_sel:BYTE_3 src1_sel:DWORD
	s_mov_b64 s[4:5], -1
                                        ; implicit-def: $sgpr10
	s_and_saveexec_b64 s[8:9], s[12:13]
; %bb.3290:
	s_mov_b32 s10, 0x7f800001
	s_xor_b64 s[4:5], exec, -1
; %bb.3291:
	s_or_b64 exec, exec, s[8:9]
	s_and_b64 s[4:5], s[4:5], exec
	s_or_saveexec_b64 s[6:7], s[6:7]
	v_mov_b32_e32 v2, s10
	s_xor_b64 exec, exec, s[6:7]
	s_cbranch_execz .LBB25_1242
.LBB25_3292:
	v_mov_b32_e32 v2, 0
	v_cmp_ne_u16_sdwa s[8:9], v8, v2 src0_sel:BYTE_3 src1_sel:DWORD
	s_andn2_b64 s[4:5], s[4:5], exec
	s_and_b64 s[8:9], s[8:9], exec
	s_or_b64 s[4:5], s[4:5], s[8:9]
	s_or_b64 exec, exec, s[6:7]
	s_and_saveexec_b64 s[6:7], s[4:5]
	s_cbranch_execnz .LBB25_1243
	s_branch .LBB25_1244
.LBB25_3293:
	s_movk_i32 s4, 0x80
	v_cmp_eq_u16_sdwa s[12:13], v4, s4 src0_sel:BYTE_3 src1_sel:DWORD
	s_mov_b64 s[4:5], -1
                                        ; implicit-def: $sgpr10
	s_and_saveexec_b64 s[8:9], s[12:13]
; %bb.3294:
	s_mov_b32 s10, 0x7f800001
	s_xor_b64 s[4:5], exec, -1
; %bb.3295:
	s_or_b64 exec, exec, s[8:9]
	s_and_b64 s[4:5], s[4:5], exec
	s_or_saveexec_b64 s[6:7], s[6:7]
	v_mov_b32_e32 v3, s10
	s_xor_b64 exec, exec, s[6:7]
	s_cbranch_execz .LBB25_1246
.LBB25_3296:
	v_mov_b32_e32 v3, 0
	v_cmp_ne_u16_sdwa s[8:9], v4, v3 src0_sel:BYTE_3 src1_sel:DWORD
	s_andn2_b64 s[4:5], s[4:5], exec
	s_and_b64 s[8:9], s[8:9], exec
	s_or_b64 s[4:5], s[4:5], s[8:9]
	s_or_b64 exec, exec, s[6:7]
	s_and_saveexec_b64 s[6:7], s[4:5]
	s_cbranch_execnz .LBB25_1247
	s_branch .LBB25_1248
.LBB25_3297:
	s_movk_i32 s4, 0x80
	v_cmp_eq_u16_sdwa s[12:13], v9, s4 src0_sel:BYTE_0 src1_sel:DWORD
	s_mov_b64 s[4:5], -1
                                        ; implicit-def: $sgpr10
	s_and_saveexec_b64 s[8:9], s[12:13]
; %bb.3298:
	s_mov_b32 s10, 0x7f800001
	s_xor_b64 s[4:5], exec, -1
; %bb.3299:
	s_or_b64 exec, exec, s[8:9]
	s_and_b64 s[4:5], s[4:5], exec
	s_or_saveexec_b64 s[6:7], s[6:7]
	v_mov_b32_e32 v2, s10
	s_xor_b64 exec, exec, s[6:7]
	s_cbranch_execz .LBB25_1250
.LBB25_3300:
	v_mov_b32_e32 v2, 0
	v_cmp_ne_u16_sdwa s[8:9], v9, v2 src0_sel:BYTE_0 src1_sel:DWORD
	s_andn2_b64 s[4:5], s[4:5], exec
	s_and_b64 s[8:9], s[8:9], exec
	s_or_b64 s[4:5], s[4:5], s[8:9]
	s_or_b64 exec, exec, s[6:7]
	s_and_saveexec_b64 s[6:7], s[4:5]
	s_cbranch_execnz .LBB25_1251
	s_branch .LBB25_1252
.LBB25_3301:
	s_movk_i32 s4, 0x80
	v_cmp_eq_u16_sdwa s[12:13], v5, s4 src0_sel:BYTE_0 src1_sel:DWORD
	s_mov_b64 s[4:5], -1
                                        ; implicit-def: $sgpr10
	s_and_saveexec_b64 s[8:9], s[12:13]
; %bb.3302:
	s_mov_b32 s10, 0x7f800001
	s_xor_b64 s[4:5], exec, -1
; %bb.3303:
	s_or_b64 exec, exec, s[8:9]
	s_and_b64 s[4:5], s[4:5], exec
	s_or_saveexec_b64 s[6:7], s[6:7]
	v_mov_b32_e32 v3, s10
	s_xor_b64 exec, exec, s[6:7]
	s_cbranch_execz .LBB25_1254
.LBB25_3304:
	v_mov_b32_e32 v3, 0
	v_cmp_ne_u16_sdwa s[8:9], v5, v3 src0_sel:BYTE_0 src1_sel:DWORD
	s_andn2_b64 s[4:5], s[4:5], exec
	s_and_b64 s[8:9], s[8:9], exec
	s_or_b64 s[4:5], s[4:5], s[8:9]
	s_or_b64 exec, exec, s[6:7]
	s_and_saveexec_b64 s[6:7], s[4:5]
	s_cbranch_execnz .LBB25_1255
	s_branch .LBB25_1256
.LBB25_3305:
	s_movk_i32 s4, 0x80
	v_cmp_eq_u16_sdwa s[12:13], v3, s4 src0_sel:BYTE_0 src1_sel:DWORD
	s_mov_b64 s[4:5], -1
                                        ; implicit-def: $sgpr10
	s_and_saveexec_b64 s[8:9], s[12:13]
; %bb.3306:
	s_mov_b32 s10, 0x7f800001
	s_xor_b64 s[4:5], exec, -1
; %bb.3307:
	s_or_b64 exec, exec, s[8:9]
	s_and_b64 s[4:5], s[4:5], exec
	s_or_saveexec_b64 s[6:7], s[6:7]
	v_mov_b32_e32 v2, s10
	s_xor_b64 exec, exec, s[6:7]
	s_cbranch_execz .LBB25_1258
.LBB25_3308:
	v_mov_b32_e32 v2, 0
	v_cmp_ne_u16_sdwa s[8:9], v3, v2 src0_sel:BYTE_0 src1_sel:DWORD
	s_andn2_b64 s[4:5], s[4:5], exec
	s_and_b64 s[8:9], s[8:9], exec
	s_or_b64 s[4:5], s[4:5], s[8:9]
	s_or_b64 exec, exec, s[6:7]
	s_and_saveexec_b64 s[6:7], s[4:5]
	s_cbranch_execnz .LBB25_1259
	s_branch .LBB25_1260
.LBB25_3309:
	s_movk_i32 s4, 0x80
	v_cmp_eq_u16_sdwa s[12:13], v3, s4 src0_sel:BYTE_0 src1_sel:DWORD
	s_mov_b64 s[4:5], -1
                                        ; implicit-def: $sgpr10
	s_and_saveexec_b64 s[8:9], s[12:13]
; %bb.3310:
	s_mov_b32 s10, 0x7f800001
	s_xor_b64 s[4:5], exec, -1
; %bb.3311:
	s_or_b64 exec, exec, s[8:9]
	s_and_b64 s[4:5], s[4:5], exec
	s_or_saveexec_b64 s[6:7], s[6:7]
	v_mov_b32_e32 v4, s10
	s_xor_b64 exec, exec, s[6:7]
	s_cbranch_execz .LBB25_1262
.LBB25_3312:
	v_mov_b32_e32 v4, 0
	v_cmp_ne_u16_sdwa s[8:9], v3, v4 src0_sel:BYTE_0 src1_sel:DWORD
	s_andn2_b64 s[4:5], s[4:5], exec
	s_and_b64 s[8:9], s[8:9], exec
	s_or_b64 s[4:5], s[4:5], s[8:9]
	s_or_b64 exec, exec, s[6:7]
	s_and_saveexec_b64 s[6:7], s[4:5]
	s_cbranch_execnz .LBB25_1263
	s_branch .LBB25_1264
.LBB25_3313:
	s_movk_i32 s4, 0x80
	v_cmp_eq_u16_e32 vcc, s4, v3
	s_mov_b64 s[4:5], -1
                                        ; implicit-def: $sgpr10
	s_and_saveexec_b64 s[8:9], vcc
; %bb.3314:
	s_mov_b32 s10, 0x7f800001
	s_xor_b64 s[4:5], exec, -1
; %bb.3315:
	s_or_b64 exec, exec, s[8:9]
	s_and_b64 s[4:5], s[4:5], exec
                                        ; implicit-def: $vgpr3
	s_or_saveexec_b64 s[6:7], s[6:7]
	v_mov_b32_e32 v2, s10
	s_xor_b64 exec, exec, s[6:7]
	s_cbranch_execz .LBB25_1266
.LBB25_3316:
	v_cmp_ne_u16_e32 vcc, 0, v3
	s_andn2_b64 s[4:5], s[4:5], exec
	s_and_b64 s[8:9], vcc, exec
	v_mov_b32_e32 v2, 0
	s_or_b64 s[4:5], s[4:5], s[8:9]
	s_or_b64 exec, exec, s[6:7]
	s_and_saveexec_b64 s[6:7], s[4:5]
	s_cbranch_execnz .LBB25_1267
	s_branch .LBB25_1268
.LBB25_3317:
	s_movk_i32 s4, 0x80
	v_cmp_eq_u16_e32 vcc, s4, v3
	s_mov_b64 s[4:5], -1
                                        ; implicit-def: $sgpr10
	s_and_saveexec_b64 s[8:9], vcc
; %bb.3318:
	s_mov_b32 s10, 0x7f800001
	s_xor_b64 s[4:5], exec, -1
; %bb.3319:
	s_or_b64 exec, exec, s[8:9]
	s_and_b64 s[4:5], s[4:5], exec
                                        ; implicit-def: $vgpr3
	s_or_saveexec_b64 s[6:7], s[6:7]
	v_mov_b32_e32 v4, s10
	s_xor_b64 exec, exec, s[6:7]
	s_cbranch_execz .LBB25_1270
.LBB25_3320:
	v_cmp_ne_u16_e32 vcc, 0, v3
	s_andn2_b64 s[4:5], s[4:5], exec
	s_and_b64 s[8:9], vcc, exec
	v_mov_b32_e32 v4, 0
	s_or_b64 s[4:5], s[4:5], s[8:9]
	s_or_b64 exec, exec, s[6:7]
	s_and_saveexec_b64 s[6:7], s[4:5]
	s_cbranch_execnz .LBB25_1271
	s_branch .LBB25_1272
.LBB25_3321:
	s_movk_i32 s4, 0x80
	v_cmp_eq_u16_sdwa s[12:13], v9, s4 src0_sel:BYTE_3 src1_sel:DWORD
	s_mov_b64 s[4:5], -1
                                        ; implicit-def: $sgpr10
	s_and_saveexec_b64 s[8:9], s[12:13]
; %bb.3322:
	s_mov_b32 s10, 0x7f800001
	s_xor_b64 s[4:5], exec, -1
; %bb.3323:
	s_or_b64 exec, exec, s[8:9]
	s_and_b64 s[4:5], s[4:5], exec
	s_or_saveexec_b64 s[6:7], s[6:7]
	v_mov_b32_e32 v2, s10
	s_xor_b64 exec, exec, s[6:7]
	s_cbranch_execz .LBB25_1274
.LBB25_3324:
	v_mov_b32_e32 v2, 0
	v_cmp_ne_u16_sdwa s[8:9], v9, v2 src0_sel:BYTE_3 src1_sel:DWORD
	s_andn2_b64 s[4:5], s[4:5], exec
	s_and_b64 s[8:9], s[8:9], exec
	s_or_b64 s[4:5], s[4:5], s[8:9]
	s_or_b64 exec, exec, s[6:7]
	s_and_saveexec_b64 s[6:7], s[4:5]
	s_cbranch_execnz .LBB25_1275
	s_branch .LBB25_1276
.LBB25_3325:
	s_movk_i32 s4, 0x80
	v_cmp_eq_u16_sdwa s[12:13], v5, s4 src0_sel:BYTE_3 src1_sel:DWORD
	s_mov_b64 s[4:5], -1
                                        ; implicit-def: $sgpr10
	s_and_saveexec_b64 s[8:9], s[12:13]
; %bb.3326:
	s_mov_b32 s10, 0x7f800001
	s_xor_b64 s[4:5], exec, -1
; %bb.3327:
	s_or_b64 exec, exec, s[8:9]
	s_and_b64 s[4:5], s[4:5], exec
	s_or_saveexec_b64 s[6:7], s[6:7]
	v_mov_b32_e32 v3, s10
	s_xor_b64 exec, exec, s[6:7]
	s_cbranch_execz .LBB25_1278
.LBB25_3328:
	v_mov_b32_e32 v3, 0
	v_cmp_ne_u16_sdwa s[8:9], v5, v3 src0_sel:BYTE_3 src1_sel:DWORD
	s_andn2_b64 s[4:5], s[4:5], exec
	s_and_b64 s[8:9], s[8:9], exec
	s_or_b64 s[4:5], s[4:5], s[8:9]
	s_or_b64 exec, exec, s[6:7]
	s_and_saveexec_b64 s[6:7], s[4:5]
	s_cbranch_execnz .LBB25_1279
	s_branch .LBB25_1280
.LBB25_3329:
	s_movk_i32 s4, 0x80
	v_cmp_eq_u16_sdwa s[12:13], v14, s4 src0_sel:BYTE_0 src1_sel:DWORD
	s_mov_b64 s[4:5], -1
                                        ; implicit-def: $sgpr10
	s_and_saveexec_b64 s[8:9], s[12:13]
; %bb.3330:
	s_mov_b32 s10, 0x7f800001
	s_xor_b64 s[4:5], exec, -1
; %bb.3331:
	s_or_b64 exec, exec, s[8:9]
	s_and_b64 s[4:5], s[4:5], exec
	s_or_saveexec_b64 s[6:7], s[6:7]
	v_mov_b32_e32 v20, s10
	s_xor_b64 exec, exec, s[6:7]
	s_cbranch_execz .LBB25_1282
.LBB25_3332:
	v_mov_b32_e32 v20, 0
	v_cmp_ne_u16_sdwa s[8:9], v14, v20 src0_sel:BYTE_0 src1_sel:DWORD
	s_andn2_b64 s[4:5], s[4:5], exec
	s_and_b64 s[8:9], s[8:9], exec
	s_or_b64 s[4:5], s[4:5], s[8:9]
	s_or_b64 exec, exec, s[6:7]
	s_and_saveexec_b64 s[6:7], s[4:5]
	s_cbranch_execnz .LBB25_1283
	s_branch .LBB25_1284
.LBB25_3333:
	s_movk_i32 s4, 0x80
	v_cmp_eq_u16_sdwa s[12:13], v10, s4 src0_sel:BYTE_0 src1_sel:DWORD
	s_mov_b64 s[4:5], -1
                                        ; implicit-def: $sgpr10
	s_and_saveexec_b64 s[8:9], s[12:13]
; %bb.3334:
	s_mov_b32 s10, 0x7f800001
	s_xor_b64 s[4:5], exec, -1
; %bb.3335:
	s_or_b64 exec, exec, s[8:9]
	s_and_b64 s[4:5], s[4:5], exec
	s_or_saveexec_b64 s[6:7], s[6:7]
	v_mov_b32_e32 v21, s10
	s_xor_b64 exec, exec, s[6:7]
	s_cbranch_execz .LBB25_1286
.LBB25_3336:
	v_mov_b32_e32 v21, 0
	v_cmp_ne_u16_sdwa s[8:9], v10, v21 src0_sel:BYTE_0 src1_sel:DWORD
	s_andn2_b64 s[4:5], s[4:5], exec
	s_and_b64 s[8:9], s[8:9], exec
	s_or_b64 s[4:5], s[4:5], s[8:9]
	s_or_b64 exec, exec, s[6:7]
	s_and_saveexec_b64 s[6:7], s[4:5]
	s_cbranch_execnz .LBB25_1287
	s_branch .LBB25_1288
.LBB25_3337:
	s_movk_i32 s4, 0x80
	v_cmp_eq_u16_sdwa s[12:13], v21, s4 src0_sel:BYTE_0 src1_sel:DWORD
	s_mov_b64 s[4:5], -1
                                        ; implicit-def: $sgpr10
	s_and_saveexec_b64 s[8:9], s[12:13]
; %bb.3338:
	s_mov_b32 s10, 0x7f800001
	s_xor_b64 s[4:5], exec, -1
; %bb.3339:
	s_or_b64 exec, exec, s[8:9]
	s_and_b64 s[4:5], s[4:5], exec
	s_or_saveexec_b64 s[6:7], s[6:7]
	v_mov_b32_e32 v20, s10
	s_xor_b64 exec, exec, s[6:7]
	s_cbranch_execz .LBB25_1290
.LBB25_3340:
	v_mov_b32_e32 v20, 0
	v_cmp_ne_u16_sdwa s[8:9], v21, v20 src0_sel:BYTE_0 src1_sel:DWORD
	s_andn2_b64 s[4:5], s[4:5], exec
	s_and_b64 s[8:9], s[8:9], exec
	s_or_b64 s[4:5], s[4:5], s[8:9]
	s_or_b64 exec, exec, s[6:7]
	s_and_saveexec_b64 s[6:7], s[4:5]
	s_cbranch_execnz .LBB25_1291
	s_branch .LBB25_1292
.LBB25_3341:
	s_movk_i32 s4, 0x80
	v_cmp_eq_u16_sdwa s[12:13], v21, s4 src0_sel:BYTE_0 src1_sel:DWORD
	s_mov_b64 s[4:5], -1
                                        ; implicit-def: $sgpr10
	s_and_saveexec_b64 s[8:9], s[12:13]
; %bb.3342:
	s_mov_b32 s10, 0x7f800001
	s_xor_b64 s[4:5], exec, -1
; %bb.3343:
	s_or_b64 exec, exec, s[8:9]
	s_and_b64 s[4:5], s[4:5], exec
	s_or_saveexec_b64 s[6:7], s[6:7]
	v_mov_b32_e32 v22, s10
	s_xor_b64 exec, exec, s[6:7]
	s_cbranch_execz .LBB25_1294
.LBB25_3344:
	v_mov_b32_e32 v22, 0
	v_cmp_ne_u16_sdwa s[8:9], v21, v22 src0_sel:BYTE_0 src1_sel:DWORD
	s_andn2_b64 s[4:5], s[4:5], exec
	s_and_b64 s[8:9], s[8:9], exec
	s_or_b64 s[4:5], s[4:5], s[8:9]
	s_or_b64 exec, exec, s[6:7]
	s_and_saveexec_b64 s[6:7], s[4:5]
	s_cbranch_execnz .LBB25_1295
	s_branch .LBB25_1296
.LBB25_3345:
	s_movk_i32 s4, 0x80
	v_cmp_eq_u16_e32 vcc, s4, v21
	s_mov_b64 s[4:5], -1
                                        ; implicit-def: $sgpr10
	s_and_saveexec_b64 s[8:9], vcc
; %bb.3346:
	s_mov_b32 s10, 0x7f800001
	s_xor_b64 s[4:5], exec, -1
; %bb.3347:
	s_or_b64 exec, exec, s[8:9]
	s_and_b64 s[4:5], s[4:5], exec
                                        ; implicit-def: $vgpr21
	s_or_saveexec_b64 s[6:7], s[6:7]
	v_mov_b32_e32 v20, s10
	s_xor_b64 exec, exec, s[6:7]
	s_cbranch_execz .LBB25_1298
.LBB25_3348:
	v_cmp_ne_u16_e32 vcc, 0, v21
	s_andn2_b64 s[4:5], s[4:5], exec
	s_and_b64 s[8:9], vcc, exec
	v_mov_b32_e32 v20, 0
	s_or_b64 s[4:5], s[4:5], s[8:9]
	s_or_b64 exec, exec, s[6:7]
	s_and_saveexec_b64 s[6:7], s[4:5]
	s_cbranch_execnz .LBB25_1299
	s_branch .LBB25_1300
.LBB25_3349:
	s_movk_i32 s4, 0x80
	v_cmp_eq_u16_e32 vcc, s4, v21
	s_mov_b64 s[4:5], -1
                                        ; implicit-def: $sgpr10
	s_and_saveexec_b64 s[8:9], vcc
; %bb.3350:
	s_mov_b32 s10, 0x7f800001
	s_xor_b64 s[4:5], exec, -1
; %bb.3351:
	s_or_b64 exec, exec, s[8:9]
	s_and_b64 s[4:5], s[4:5], exec
                                        ; implicit-def: $vgpr21
	s_or_saveexec_b64 s[6:7], s[6:7]
	v_mov_b32_e32 v22, s10
	s_xor_b64 exec, exec, s[6:7]
	s_cbranch_execz .LBB25_1302
.LBB25_3352:
	v_cmp_ne_u16_e32 vcc, 0, v21
	s_andn2_b64 s[4:5], s[4:5], exec
	s_and_b64 s[8:9], vcc, exec
	v_mov_b32_e32 v22, 0
	s_or_b64 s[4:5], s[4:5], s[8:9]
	s_or_b64 exec, exec, s[6:7]
	s_and_saveexec_b64 s[6:7], s[4:5]
	s_cbranch_execnz .LBB25_1303
	s_branch .LBB25_1304
.LBB25_3353:
	s_movk_i32 s4, 0x80
	v_cmp_eq_u16_sdwa s[12:13], v14, s4 src0_sel:BYTE_3 src1_sel:DWORD
	s_mov_b64 s[4:5], -1
                                        ; implicit-def: $sgpr10
	s_and_saveexec_b64 s[8:9], s[12:13]
; %bb.3354:
	s_mov_b32 s10, 0x7f800001
	s_xor_b64 s[4:5], exec, -1
; %bb.3355:
	s_or_b64 exec, exec, s[8:9]
	s_and_b64 s[4:5], s[4:5], exec
	s_or_saveexec_b64 s[6:7], s[6:7]
	v_mov_b32_e32 v20, s10
	s_xor_b64 exec, exec, s[6:7]
	s_cbranch_execz .LBB25_1306
.LBB25_3356:
	v_mov_b32_e32 v20, 0
	v_cmp_ne_u16_sdwa s[8:9], v14, v20 src0_sel:BYTE_3 src1_sel:DWORD
	s_andn2_b64 s[4:5], s[4:5], exec
	s_and_b64 s[8:9], s[8:9], exec
	s_or_b64 s[4:5], s[4:5], s[8:9]
	s_or_b64 exec, exec, s[6:7]
	s_and_saveexec_b64 s[6:7], s[4:5]
	s_cbranch_execnz .LBB25_1307
	s_branch .LBB25_1308
.LBB25_3357:
	s_movk_i32 s4, 0x80
	v_cmp_eq_u16_sdwa s[12:13], v10, s4 src0_sel:BYTE_3 src1_sel:DWORD
	s_mov_b64 s[4:5], -1
                                        ; implicit-def: $sgpr10
	s_and_saveexec_b64 s[8:9], s[12:13]
; %bb.3358:
	s_mov_b32 s10, 0x7f800001
	s_xor_b64 s[4:5], exec, -1
; %bb.3359:
	s_or_b64 exec, exec, s[8:9]
	s_and_b64 s[4:5], s[4:5], exec
	s_or_saveexec_b64 s[6:7], s[6:7]
	v_mov_b32_e32 v14, s10
	s_xor_b64 exec, exec, s[6:7]
	s_cbranch_execz .LBB25_1310
.LBB25_3360:
	v_mov_b32_e32 v14, 0
	v_cmp_ne_u16_sdwa s[8:9], v10, v14 src0_sel:BYTE_3 src1_sel:DWORD
	s_andn2_b64 s[4:5], s[4:5], exec
	s_and_b64 s[8:9], s[8:9], exec
	s_or_b64 s[4:5], s[4:5], s[8:9]
	s_or_b64 exec, exec, s[6:7]
	s_and_saveexec_b64 s[6:7], s[4:5]
	s_cbranch_execnz .LBB25_1311
	s_branch .LBB25_1312
.LBB25_3361:
	s_movk_i32 s4, 0x80
	v_cmp_eq_u16_sdwa s[12:13], v15, s4 src0_sel:BYTE_0 src1_sel:DWORD
	s_mov_b64 s[4:5], -1
                                        ; implicit-def: $sgpr10
	s_and_saveexec_b64 s[8:9], s[12:13]
; %bb.3362:
	s_mov_b32 s10, 0x7f800001
	s_xor_b64 s[4:5], exec, -1
; %bb.3363:
	s_or_b64 exec, exec, s[8:9]
	s_and_b64 s[4:5], s[4:5], exec
	s_or_saveexec_b64 s[6:7], s[6:7]
	v_mov_b32_e32 v10, s10
	s_xor_b64 exec, exec, s[6:7]
	s_cbranch_execz .LBB25_1314
.LBB25_3364:
	v_mov_b32_e32 v10, 0
	v_cmp_ne_u16_sdwa s[8:9], v15, v10 src0_sel:BYTE_0 src1_sel:DWORD
	s_andn2_b64 s[4:5], s[4:5], exec
	s_and_b64 s[8:9], s[8:9], exec
	s_or_b64 s[4:5], s[4:5], s[8:9]
	s_or_b64 exec, exec, s[6:7]
	s_and_saveexec_b64 s[6:7], s[4:5]
	s_cbranch_execnz .LBB25_1315
	s_branch .LBB25_1316
.LBB25_3365:
	s_movk_i32 s4, 0x80
	v_cmp_eq_u16_sdwa s[12:13], v11, s4 src0_sel:BYTE_0 src1_sel:DWORD
	s_mov_b64 s[4:5], -1
                                        ; implicit-def: $sgpr10
	s_and_saveexec_b64 s[8:9], s[12:13]
; %bb.3366:
	s_mov_b32 s10, 0x7f800001
	s_xor_b64 s[4:5], exec, -1
; %bb.3367:
	s_or_b64 exec, exec, s[8:9]
	s_and_b64 s[4:5], s[4:5], exec
	s_or_saveexec_b64 s[6:7], s[6:7]
	v_mov_b32_e32 v14, s10
	s_xor_b64 exec, exec, s[6:7]
	s_cbranch_execz .LBB25_1318
.LBB25_3368:
	v_mov_b32_e32 v14, 0
	v_cmp_ne_u16_sdwa s[8:9], v11, v14 src0_sel:BYTE_0 src1_sel:DWORD
	s_andn2_b64 s[4:5], s[4:5], exec
	s_and_b64 s[8:9], s[8:9], exec
	s_or_b64 s[4:5], s[4:5], s[8:9]
	s_or_b64 exec, exec, s[6:7]
	s_and_saveexec_b64 s[6:7], s[4:5]
	s_cbranch_execnz .LBB25_1319
	s_branch .LBB25_1320
.LBB25_3369:
	s_movk_i32 s4, 0x80
	v_cmp_eq_u16_sdwa s[12:13], v14, s4 src0_sel:BYTE_0 src1_sel:DWORD
	s_mov_b64 s[4:5], -1
                                        ; implicit-def: $sgpr10
	s_and_saveexec_b64 s[8:9], s[12:13]
; %bb.3370:
	s_mov_b32 s10, 0x7f800001
	s_xor_b64 s[4:5], exec, -1
; %bb.3371:
	s_or_b64 exec, exec, s[8:9]
	s_and_b64 s[4:5], s[4:5], exec
	s_or_saveexec_b64 s[6:7], s[6:7]
	v_mov_b32_e32 v10, s10
	s_xor_b64 exec, exec, s[6:7]
	s_cbranch_execz .LBB25_1322
.LBB25_3372:
	v_mov_b32_e32 v10, 0
	v_cmp_ne_u16_sdwa s[8:9], v14, v10 src0_sel:BYTE_0 src1_sel:DWORD
	s_andn2_b64 s[4:5], s[4:5], exec
	s_and_b64 s[8:9], s[8:9], exec
	s_or_b64 s[4:5], s[4:5], s[8:9]
	s_or_b64 exec, exec, s[6:7]
	s_and_saveexec_b64 s[6:7], s[4:5]
	s_cbranch_execnz .LBB25_1323
	s_branch .LBB25_1324
.LBB25_3373:
	s_movk_i32 s4, 0x80
	v_cmp_eq_u16_sdwa s[12:13], v14, s4 src0_sel:BYTE_0 src1_sel:DWORD
	s_mov_b64 s[4:5], -1
                                        ; implicit-def: $sgpr10
	s_and_saveexec_b64 s[8:9], s[12:13]
; %bb.3374:
	s_mov_b32 s10, 0x7f800001
	s_xor_b64 s[4:5], exec, -1
; %bb.3375:
	s_or_b64 exec, exec, s[8:9]
	s_and_b64 s[4:5], s[4:5], exec
	s_or_saveexec_b64 s[6:7], s[6:7]
	v_mov_b32_e32 v20, s10
	s_xor_b64 exec, exec, s[6:7]
	s_cbranch_execz .LBB25_1326
.LBB25_3376:
	v_mov_b32_e32 v20, 0
	v_cmp_ne_u16_sdwa s[8:9], v14, v20 src0_sel:BYTE_0 src1_sel:DWORD
	s_andn2_b64 s[4:5], s[4:5], exec
	s_and_b64 s[8:9], s[8:9], exec
	s_or_b64 s[4:5], s[4:5], s[8:9]
	s_or_b64 exec, exec, s[6:7]
	s_and_saveexec_b64 s[6:7], s[4:5]
	s_cbranch_execnz .LBB25_1327
	s_branch .LBB25_1328
.LBB25_3377:
	s_movk_i32 s4, 0x80
	v_cmp_eq_u16_e32 vcc, s4, v14
	s_mov_b64 s[4:5], -1
                                        ; implicit-def: $sgpr10
	s_and_saveexec_b64 s[8:9], vcc
; %bb.3378:
	s_mov_b32 s10, 0x7f800001
	s_xor_b64 s[4:5], exec, -1
; %bb.3379:
	s_or_b64 exec, exec, s[8:9]
	s_and_b64 s[4:5], s[4:5], exec
                                        ; implicit-def: $vgpr14
	s_or_saveexec_b64 s[6:7], s[6:7]
	v_mov_b32_e32 v10, s10
	s_xor_b64 exec, exec, s[6:7]
	s_cbranch_execz .LBB25_1330
.LBB25_3380:
	v_cmp_ne_u16_e32 vcc, 0, v14
	s_andn2_b64 s[4:5], s[4:5], exec
	s_and_b64 s[8:9], vcc, exec
	v_mov_b32_e32 v10, 0
	s_or_b64 s[4:5], s[4:5], s[8:9]
	s_or_b64 exec, exec, s[6:7]
	s_and_saveexec_b64 s[6:7], s[4:5]
	s_cbranch_execnz .LBB25_1331
	s_branch .LBB25_1332
.LBB25_3381:
	s_movk_i32 s4, 0x80
	v_cmp_eq_u16_e32 vcc, s4, v14
	s_mov_b64 s[4:5], -1
                                        ; implicit-def: $sgpr10
	s_and_saveexec_b64 s[8:9], vcc
; %bb.3382:
	s_mov_b32 s10, 0x7f800001
	s_xor_b64 s[4:5], exec, -1
; %bb.3383:
	s_or_b64 exec, exec, s[8:9]
	s_and_b64 s[4:5], s[4:5], exec
                                        ; implicit-def: $vgpr14
	s_or_saveexec_b64 s[6:7], s[6:7]
	v_mov_b32_e32 v20, s10
	s_xor_b64 exec, exec, s[6:7]
	s_cbranch_execz .LBB25_1334
.LBB25_3384:
	v_cmp_ne_u16_e32 vcc, 0, v14
	s_andn2_b64 s[4:5], s[4:5], exec
	s_and_b64 s[8:9], vcc, exec
	v_mov_b32_e32 v20, 0
	s_or_b64 s[4:5], s[4:5], s[8:9]
	s_or_b64 exec, exec, s[6:7]
	s_and_saveexec_b64 s[6:7], s[4:5]
	s_cbranch_execnz .LBB25_1335
	s_branch .LBB25_1336
.LBB25_3385:
	s_movk_i32 s4, 0x80
	v_cmp_eq_u16_sdwa s[12:13], v15, s4 src0_sel:BYTE_3 src1_sel:DWORD
	s_mov_b64 s[4:5], -1
                                        ; implicit-def: $sgpr10
	s_and_saveexec_b64 s[8:9], s[12:13]
; %bb.3386:
	s_mov_b32 s10, 0x7f800001
	s_xor_b64 s[4:5], exec, -1
; %bb.3387:
	s_or_b64 exec, exec, s[8:9]
	s_and_b64 s[4:5], s[4:5], exec
	s_or_saveexec_b64 s[6:7], s[6:7]
	v_mov_b32_e32 v10, s10
	s_xor_b64 exec, exec, s[6:7]
	s_cbranch_execz .LBB25_1338
.LBB25_3388:
	v_mov_b32_e32 v10, 0
	v_cmp_ne_u16_sdwa s[8:9], v15, v10 src0_sel:BYTE_3 src1_sel:DWORD
	s_andn2_b64 s[4:5], s[4:5], exec
	s_and_b64 s[8:9], s[8:9], exec
	s_or_b64 s[4:5], s[4:5], s[8:9]
	s_or_b64 exec, exec, s[6:7]
	s_and_saveexec_b64 s[6:7], s[4:5]
	s_cbranch_execnz .LBB25_1339
	s_branch .LBB25_1340
.LBB25_3389:
	s_movk_i32 s4, 0x80
	v_cmp_eq_u16_sdwa s[12:13], v11, s4 src0_sel:BYTE_3 src1_sel:DWORD
	s_mov_b64 s[4:5], -1
                                        ; implicit-def: $sgpr10
	s_and_saveexec_b64 s[8:9], s[12:13]
; %bb.3390:
	s_mov_b32 s10, 0x7f800001
	s_xor_b64 s[4:5], exec, -1
; %bb.3391:
	s_or_b64 exec, exec, s[8:9]
	s_and_b64 s[4:5], s[4:5], exec
	s_or_saveexec_b64 s[6:7], s[6:7]
	v_mov_b32_e32 v14, s10
	s_xor_b64 exec, exec, s[6:7]
	s_cbranch_execz .LBB25_1342
.LBB25_3392:
	v_mov_b32_e32 v14, 0
	v_cmp_ne_u16_sdwa s[8:9], v11, v14 src0_sel:BYTE_3 src1_sel:DWORD
	s_andn2_b64 s[4:5], s[4:5], exec
	s_and_b64 s[8:9], s[8:9], exec
	s_or_b64 s[4:5], s[4:5], s[8:9]
	s_or_b64 exec, exec, s[6:7]
	s_and_saveexec_b64 s[6:7], s[4:5]
	s_cbranch_execnz .LBB25_1343
	s_branch .LBB25_1344
.LBB25_3393:
	s_movk_i32 s4, 0x80
	v_cmp_eq_u16_sdwa s[12:13], v16, s4 src0_sel:BYTE_0 src1_sel:DWORD
	s_mov_b64 s[4:5], -1
                                        ; implicit-def: $sgpr10
	s_and_saveexec_b64 s[8:9], s[12:13]
; %bb.3394:
	s_mov_b32 s10, 0x7f800001
	s_xor_b64 s[4:5], exec, -1
; %bb.3395:
	s_or_b64 exec, exec, s[8:9]
	s_and_b64 s[4:5], s[4:5], exec
	s_or_saveexec_b64 s[6:7], s[6:7]
	v_mov_b32_e32 v10, s10
	s_xor_b64 exec, exec, s[6:7]
	s_cbranch_execz .LBB25_1346
.LBB25_3396:
	v_mov_b32_e32 v10, 0
	v_cmp_ne_u16_sdwa s[8:9], v16, v10 src0_sel:BYTE_0 src1_sel:DWORD
	s_andn2_b64 s[4:5], s[4:5], exec
	s_and_b64 s[8:9], s[8:9], exec
	s_or_b64 s[4:5], s[4:5], s[8:9]
	s_or_b64 exec, exec, s[6:7]
	s_and_saveexec_b64 s[6:7], s[4:5]
	s_cbranch_execnz .LBB25_1347
	s_branch .LBB25_1348
.LBB25_3397:
	s_movk_i32 s4, 0x80
	v_cmp_eq_u16_sdwa s[12:13], v12, s4 src0_sel:BYTE_0 src1_sel:DWORD
	s_mov_b64 s[4:5], -1
                                        ; implicit-def: $sgpr10
	s_and_saveexec_b64 s[8:9], s[12:13]
; %bb.3398:
	s_mov_b32 s10, 0x7f800001
	s_xor_b64 s[4:5], exec, -1
; %bb.3399:
	s_or_b64 exec, exec, s[8:9]
	s_and_b64 s[4:5], s[4:5], exec
	s_or_saveexec_b64 s[6:7], s[6:7]
	v_mov_b32_e32 v11, s10
	s_xor_b64 exec, exec, s[6:7]
	s_cbranch_execz .LBB25_1350
.LBB25_3400:
	v_mov_b32_e32 v11, 0
	v_cmp_ne_u16_sdwa s[8:9], v12, v11 src0_sel:BYTE_0 src1_sel:DWORD
	s_andn2_b64 s[4:5], s[4:5], exec
	s_and_b64 s[8:9], s[8:9], exec
	s_or_b64 s[4:5], s[4:5], s[8:9]
	s_or_b64 exec, exec, s[6:7]
	s_and_saveexec_b64 s[6:7], s[4:5]
	s_cbranch_execnz .LBB25_1351
	s_branch .LBB25_1352
.LBB25_3401:
	s_movk_i32 s4, 0x80
	v_cmp_eq_u16_sdwa s[12:13], v11, s4 src0_sel:BYTE_0 src1_sel:DWORD
	s_mov_b64 s[4:5], -1
                                        ; implicit-def: $sgpr10
	s_and_saveexec_b64 s[8:9], s[12:13]
; %bb.3402:
	s_mov_b32 s10, 0x7f800001
	s_xor_b64 s[4:5], exec, -1
; %bb.3403:
	s_or_b64 exec, exec, s[8:9]
	s_and_b64 s[4:5], s[4:5], exec
	s_or_saveexec_b64 s[6:7], s[6:7]
	v_mov_b32_e32 v10, s10
	s_xor_b64 exec, exec, s[6:7]
	s_cbranch_execz .LBB25_1354
.LBB25_3404:
	v_mov_b32_e32 v10, 0
	v_cmp_ne_u16_sdwa s[8:9], v11, v10 src0_sel:BYTE_0 src1_sel:DWORD
	s_andn2_b64 s[4:5], s[4:5], exec
	s_and_b64 s[8:9], s[8:9], exec
	s_or_b64 s[4:5], s[4:5], s[8:9]
	s_or_b64 exec, exec, s[6:7]
	s_and_saveexec_b64 s[6:7], s[4:5]
	s_cbranch_execnz .LBB25_1355
	s_branch .LBB25_1356
.LBB25_3405:
	s_movk_i32 s4, 0x80
	v_cmp_eq_u16_sdwa s[12:13], v11, s4 src0_sel:BYTE_0 src1_sel:DWORD
	s_mov_b64 s[4:5], -1
                                        ; implicit-def: $sgpr10
	s_and_saveexec_b64 s[8:9], s[12:13]
; %bb.3406:
	s_mov_b32 s10, 0x7f800001
	s_xor_b64 s[4:5], exec, -1
; %bb.3407:
	s_or_b64 exec, exec, s[8:9]
	s_and_b64 s[4:5], s[4:5], exec
	s_or_saveexec_b64 s[6:7], s[6:7]
	v_mov_b32_e32 v14, s10
	s_xor_b64 exec, exec, s[6:7]
	s_cbranch_execz .LBB25_1358
.LBB25_3408:
	v_mov_b32_e32 v14, 0
	v_cmp_ne_u16_sdwa s[8:9], v11, v14 src0_sel:BYTE_0 src1_sel:DWORD
	s_andn2_b64 s[4:5], s[4:5], exec
	s_and_b64 s[8:9], s[8:9], exec
	s_or_b64 s[4:5], s[4:5], s[8:9]
	s_or_b64 exec, exec, s[6:7]
	s_and_saveexec_b64 s[6:7], s[4:5]
	s_cbranch_execnz .LBB25_1359
	s_branch .LBB25_1360
.LBB25_3409:
	s_movk_i32 s4, 0x80
	v_cmp_eq_u16_e32 vcc, s4, v11
	s_mov_b64 s[4:5], -1
                                        ; implicit-def: $sgpr10
	s_and_saveexec_b64 s[8:9], vcc
; %bb.3410:
	s_mov_b32 s10, 0x7f800001
	s_xor_b64 s[4:5], exec, -1
; %bb.3411:
	s_or_b64 exec, exec, s[8:9]
	s_and_b64 s[4:5], s[4:5], exec
                                        ; implicit-def: $vgpr11
	s_or_saveexec_b64 s[6:7], s[6:7]
	v_mov_b32_e32 v10, s10
	s_xor_b64 exec, exec, s[6:7]
	s_cbranch_execz .LBB25_1362
.LBB25_3412:
	v_cmp_ne_u16_e32 vcc, 0, v11
	s_andn2_b64 s[4:5], s[4:5], exec
	s_and_b64 s[8:9], vcc, exec
	v_mov_b32_e32 v10, 0
	s_or_b64 s[4:5], s[4:5], s[8:9]
	s_or_b64 exec, exec, s[6:7]
	s_and_saveexec_b64 s[6:7], s[4:5]
	s_cbranch_execnz .LBB25_1363
	s_branch .LBB25_1364
.LBB25_3413:
	s_movk_i32 s4, 0x80
	v_cmp_eq_u16_e32 vcc, s4, v11
	s_mov_b64 s[4:5], -1
                                        ; implicit-def: $sgpr10
	s_and_saveexec_b64 s[8:9], vcc
; %bb.3414:
	s_mov_b32 s10, 0x7f800001
	s_xor_b64 s[4:5], exec, -1
; %bb.3415:
	s_or_b64 exec, exec, s[8:9]
	s_and_b64 s[4:5], s[4:5], exec
                                        ; implicit-def: $vgpr11
	s_or_saveexec_b64 s[6:7], s[6:7]
	v_mov_b32_e32 v14, s10
	s_xor_b64 exec, exec, s[6:7]
	s_cbranch_execz .LBB25_1366
.LBB25_3416:
	v_cmp_ne_u16_e32 vcc, 0, v11
	s_andn2_b64 s[4:5], s[4:5], exec
	s_and_b64 s[8:9], vcc, exec
	v_mov_b32_e32 v14, 0
	s_or_b64 s[4:5], s[4:5], s[8:9]
	s_or_b64 exec, exec, s[6:7]
	s_and_saveexec_b64 s[6:7], s[4:5]
	s_cbranch_execnz .LBB25_1367
	s_branch .LBB25_1368
.LBB25_3417:
	s_movk_i32 s4, 0x80
	v_cmp_eq_u16_sdwa s[12:13], v16, s4 src0_sel:BYTE_3 src1_sel:DWORD
	s_mov_b64 s[4:5], -1
                                        ; implicit-def: $sgpr10
	s_and_saveexec_b64 s[8:9], s[12:13]
; %bb.3418:
	s_mov_b32 s10, 0x7f800001
	s_xor_b64 s[4:5], exec, -1
; %bb.3419:
	s_or_b64 exec, exec, s[8:9]
	s_and_b64 s[4:5], s[4:5], exec
	s_or_saveexec_b64 s[6:7], s[6:7]
	v_mov_b32_e32 v10, s10
	s_xor_b64 exec, exec, s[6:7]
	s_cbranch_execz .LBB25_1370
.LBB25_3420:
	v_mov_b32_e32 v10, 0
	v_cmp_ne_u16_sdwa s[8:9], v16, v10 src0_sel:BYTE_3 src1_sel:DWORD
	s_andn2_b64 s[4:5], s[4:5], exec
	s_and_b64 s[8:9], s[8:9], exec
	s_or_b64 s[4:5], s[4:5], s[8:9]
	s_or_b64 exec, exec, s[6:7]
	s_and_saveexec_b64 s[6:7], s[4:5]
	s_cbranch_execnz .LBB25_1371
	s_branch .LBB25_1372
.LBB25_3421:
	s_movk_i32 s4, 0x80
	v_cmp_eq_u16_sdwa s[12:13], v12, s4 src0_sel:BYTE_3 src1_sel:DWORD
	s_mov_b64 s[4:5], -1
                                        ; implicit-def: $sgpr10
	s_and_saveexec_b64 s[8:9], s[12:13]
; %bb.3422:
	s_mov_b32 s10, 0x7f800001
	s_xor_b64 s[4:5], exec, -1
; %bb.3423:
	s_or_b64 exec, exec, s[8:9]
	s_and_b64 s[4:5], s[4:5], exec
	s_or_saveexec_b64 s[6:7], s[6:7]
	v_mov_b32_e32 v11, s10
	s_xor_b64 exec, exec, s[6:7]
	s_cbranch_execz .LBB25_1374
.LBB25_3424:
	v_mov_b32_e32 v11, 0
	v_cmp_ne_u16_sdwa s[8:9], v12, v11 src0_sel:BYTE_3 src1_sel:DWORD
	s_andn2_b64 s[4:5], s[4:5], exec
	s_and_b64 s[8:9], s[8:9], exec
	s_or_b64 s[4:5], s[4:5], s[8:9]
	s_or_b64 exec, exec, s[6:7]
	s_and_saveexec_b64 s[6:7], s[4:5]
	s_cbranch_execnz .LBB25_1375
	s_branch .LBB25_1376
.LBB25_3425:
	s_movk_i32 s4, 0x80
	v_cmp_eq_u16_sdwa s[12:13], v17, s4 src0_sel:BYTE_0 src1_sel:DWORD
	s_mov_b64 s[4:5], -1
                                        ; implicit-def: $sgpr10
	s_and_saveexec_b64 s[8:9], s[12:13]
; %bb.3426:
	s_mov_b32 s10, 0x7f800001
	s_xor_b64 s[4:5], exec, -1
; %bb.3427:
	s_or_b64 exec, exec, s[8:9]
	s_and_b64 s[4:5], s[4:5], exec
	s_or_saveexec_b64 s[6:7], s[6:7]
	v_mov_b32_e32 v10, s10
	s_xor_b64 exec, exec, s[6:7]
	s_cbranch_execz .LBB25_1378
.LBB25_3428:
	v_mov_b32_e32 v10, 0
	v_cmp_ne_u16_sdwa s[8:9], v17, v10 src0_sel:BYTE_0 src1_sel:DWORD
	s_andn2_b64 s[4:5], s[4:5], exec
	s_and_b64 s[8:9], s[8:9], exec
	s_or_b64 s[4:5], s[4:5], s[8:9]
	s_or_b64 exec, exec, s[6:7]
	s_and_saveexec_b64 s[6:7], s[4:5]
	s_cbranch_execnz .LBB25_1379
	s_branch .LBB25_1380
.LBB25_3429:
	s_movk_i32 s4, 0x80
	v_cmp_eq_u16_sdwa s[12:13], v13, s4 src0_sel:BYTE_0 src1_sel:DWORD
	s_mov_b64 s[4:5], -1
                                        ; implicit-def: $sgpr10
	s_and_saveexec_b64 s[8:9], s[12:13]
; %bb.3430:
	s_mov_b32 s10, 0x7f800001
	s_xor_b64 s[4:5], exec, -1
; %bb.3431:
	s_or_b64 exec, exec, s[8:9]
	s_and_b64 s[4:5], s[4:5], exec
	s_or_saveexec_b64 s[6:7], s[6:7]
	v_mov_b32_e32 v11, s10
	s_xor_b64 exec, exec, s[6:7]
	s_cbranch_execz .LBB25_1382
.LBB25_3432:
	v_mov_b32_e32 v11, 0
	v_cmp_ne_u16_sdwa s[8:9], v13, v11 src0_sel:BYTE_0 src1_sel:DWORD
	s_andn2_b64 s[4:5], s[4:5], exec
	s_and_b64 s[8:9], s[8:9], exec
	s_or_b64 s[4:5], s[4:5], s[8:9]
	s_or_b64 exec, exec, s[6:7]
	s_and_saveexec_b64 s[6:7], s[4:5]
	s_cbranch_execnz .LBB25_1383
	s_branch .LBB25_1384
.LBB25_3433:
	s_movk_i32 s4, 0x80
	v_cmp_eq_u16_sdwa s[12:13], v11, s4 src0_sel:BYTE_0 src1_sel:DWORD
	s_mov_b64 s[4:5], -1
                                        ; implicit-def: $sgpr10
	s_and_saveexec_b64 s[8:9], s[12:13]
; %bb.3434:
	s_mov_b32 s10, 0x7f800001
	s_xor_b64 s[4:5], exec, -1
; %bb.3435:
	s_or_b64 exec, exec, s[8:9]
	s_and_b64 s[4:5], s[4:5], exec
	s_or_saveexec_b64 s[6:7], s[6:7]
	v_mov_b32_e32 v10, s10
	s_xor_b64 exec, exec, s[6:7]
	s_cbranch_execz .LBB25_1386
.LBB25_3436:
	v_mov_b32_e32 v10, 0
	v_cmp_ne_u16_sdwa s[8:9], v11, v10 src0_sel:BYTE_0 src1_sel:DWORD
	s_andn2_b64 s[4:5], s[4:5], exec
	s_and_b64 s[8:9], s[8:9], exec
	s_or_b64 s[4:5], s[4:5], s[8:9]
	s_or_b64 exec, exec, s[6:7]
	s_and_saveexec_b64 s[6:7], s[4:5]
	s_cbranch_execnz .LBB25_1387
	s_branch .LBB25_1388
.LBB25_3437:
	s_movk_i32 s4, 0x80
	v_cmp_eq_u16_sdwa s[12:13], v11, s4 src0_sel:BYTE_0 src1_sel:DWORD
	s_mov_b64 s[4:5], -1
                                        ; implicit-def: $sgpr10
	s_and_saveexec_b64 s[8:9], s[12:13]
; %bb.3438:
	s_mov_b32 s10, 0x7f800001
	s_xor_b64 s[4:5], exec, -1
; %bb.3439:
	s_or_b64 exec, exec, s[8:9]
	s_and_b64 s[4:5], s[4:5], exec
	s_or_saveexec_b64 s[6:7], s[6:7]
	v_mov_b32_e32 v12, s10
	s_xor_b64 exec, exec, s[6:7]
	s_cbranch_execz .LBB25_1390
.LBB25_3440:
	v_mov_b32_e32 v12, 0
	v_cmp_ne_u16_sdwa s[8:9], v11, v12 src0_sel:BYTE_0 src1_sel:DWORD
	s_andn2_b64 s[4:5], s[4:5], exec
	s_and_b64 s[8:9], s[8:9], exec
	s_or_b64 s[4:5], s[4:5], s[8:9]
	s_or_b64 exec, exec, s[6:7]
	s_and_saveexec_b64 s[6:7], s[4:5]
	s_cbranch_execnz .LBB25_1391
	s_branch .LBB25_1392
.LBB25_3441:
	s_movk_i32 s4, 0x80
	v_cmp_eq_u16_e32 vcc, s4, v11
	s_mov_b64 s[4:5], -1
                                        ; implicit-def: $sgpr10
	s_and_saveexec_b64 s[8:9], vcc
; %bb.3442:
	s_mov_b32 s10, 0x7f800001
	s_xor_b64 s[4:5], exec, -1
; %bb.3443:
	s_or_b64 exec, exec, s[8:9]
	s_and_b64 s[4:5], s[4:5], exec
                                        ; implicit-def: $vgpr11
	s_or_saveexec_b64 s[6:7], s[6:7]
	v_mov_b32_e32 v10, s10
	s_xor_b64 exec, exec, s[6:7]
	s_cbranch_execz .LBB25_1394
.LBB25_3444:
	v_cmp_ne_u16_e32 vcc, 0, v11
	s_andn2_b64 s[4:5], s[4:5], exec
	s_and_b64 s[8:9], vcc, exec
	v_mov_b32_e32 v10, 0
	s_or_b64 s[4:5], s[4:5], s[8:9]
	s_or_b64 exec, exec, s[6:7]
	s_and_saveexec_b64 s[6:7], s[4:5]
	s_cbranch_execnz .LBB25_1395
	s_branch .LBB25_1396
.LBB25_3445:
	s_movk_i32 s4, 0x80
	v_cmp_eq_u16_e32 vcc, s4, v11
	s_mov_b64 s[4:5], -1
                                        ; implicit-def: $sgpr10
	s_and_saveexec_b64 s[8:9], vcc
; %bb.3446:
	s_mov_b32 s10, 0x7f800001
	s_xor_b64 s[4:5], exec, -1
; %bb.3447:
	s_or_b64 exec, exec, s[8:9]
	s_and_b64 s[4:5], s[4:5], exec
                                        ; implicit-def: $vgpr11
	s_or_saveexec_b64 s[6:7], s[6:7]
	v_mov_b32_e32 v12, s10
	s_xor_b64 exec, exec, s[6:7]
	s_cbranch_execz .LBB25_1398
.LBB25_3448:
	v_cmp_ne_u16_e32 vcc, 0, v11
	s_andn2_b64 s[4:5], s[4:5], exec
	s_and_b64 s[8:9], vcc, exec
	v_mov_b32_e32 v12, 0
	s_or_b64 s[4:5], s[4:5], s[8:9]
	s_or_b64 exec, exec, s[6:7]
	s_and_saveexec_b64 s[6:7], s[4:5]
	s_cbranch_execnz .LBB25_1399
	s_branch .LBB25_1400
.LBB25_3449:
	s_movk_i32 s4, 0x80
	v_cmp_eq_u16_sdwa s[12:13], v17, s4 src0_sel:BYTE_3 src1_sel:DWORD
	s_mov_b64 s[4:5], -1
                                        ; implicit-def: $sgpr10
	s_and_saveexec_b64 s[8:9], s[12:13]
; %bb.3450:
	s_mov_b32 s10, 0x7f800001
	s_xor_b64 s[4:5], exec, -1
; %bb.3451:
	s_or_b64 exec, exec, s[8:9]
	s_and_b64 s[4:5], s[4:5], exec
	s_or_saveexec_b64 s[6:7], s[6:7]
	v_mov_b32_e32 v10, s10
	s_xor_b64 exec, exec, s[6:7]
	s_cbranch_execz .LBB25_1402
.LBB25_3452:
	v_mov_b32_e32 v10, 0
	v_cmp_ne_u16_sdwa s[8:9], v17, v10 src0_sel:BYTE_3 src1_sel:DWORD
	s_andn2_b64 s[4:5], s[4:5], exec
	s_and_b64 s[8:9], s[8:9], exec
	s_or_b64 s[4:5], s[4:5], s[8:9]
	s_or_b64 exec, exec, s[6:7]
	s_and_saveexec_b64 s[6:7], s[4:5]
	s_cbranch_execnz .LBB25_1403
	s_branch .LBB25_1404
.LBB25_3453:
	s_movk_i32 s4, 0x80
	v_cmp_eq_u16_sdwa s[12:13], v13, s4 src0_sel:BYTE_3 src1_sel:DWORD
	s_mov_b64 s[4:5], -1
                                        ; implicit-def: $sgpr10
	s_and_saveexec_b64 s[8:9], s[12:13]
; %bb.3454:
	s_mov_b32 s10, 0x7f800001
	s_xor_b64 s[4:5], exec, -1
; %bb.3455:
	s_or_b64 exec, exec, s[8:9]
	s_and_b64 s[4:5], s[4:5], exec
	s_or_saveexec_b64 s[6:7], s[6:7]
	v_mov_b32_e32 v11, s10
	s_xor_b64 exec, exec, s[6:7]
	s_cbranch_execz .LBB25_1406
.LBB25_3456:
	v_mov_b32_e32 v11, 0
	v_cmp_ne_u16_sdwa s[8:9], v13, v11 src0_sel:BYTE_3 src1_sel:DWORD
	s_andn2_b64 s[4:5], s[4:5], exec
	s_and_b64 s[8:9], s[8:9], exec
	s_or_b64 s[4:5], s[4:5], s[8:9]
	s_or_b64 exec, exec, s[6:7]
	s_and_saveexec_b64 s[6:7], s[4:5]
	s_cbranch_execnz .LBB25_1407
	s_branch .LBB25_1408
.LBB25_3457:
	s_movk_i32 s4, 0x80
	v_cmp_eq_u16_sdwa s[12:13], v6, s4 src0_sel:BYTE_0 src1_sel:DWORD
	s_mov_b64 s[4:5], -1
                                        ; implicit-def: $sgpr10
	s_and_saveexec_b64 s[8:9], s[12:13]
; %bb.3458:
	s_mov_b32 s10, 0x7f800001
	s_xor_b64 s[4:5], exec, -1
; %bb.3459:
	s_or_b64 exec, exec, s[8:9]
	s_and_b64 s[4:5], s[4:5], exec
	s_or_saveexec_b64 s[6:7], s[6:7]
	v_mov_b32_e32 v10, s10
	s_xor_b64 exec, exec, s[6:7]
	s_cbranch_execz .LBB25_1410
.LBB25_3460:
	v_mov_b32_e32 v10, 0
	v_cmp_ne_u16_sdwa s[8:9], v6, v10 src0_sel:BYTE_0 src1_sel:DWORD
	s_andn2_b64 s[4:5], s[4:5], exec
	s_and_b64 s[8:9], s[8:9], exec
	s_or_b64 s[4:5], s[4:5], s[8:9]
	s_or_b64 exec, exec, s[6:7]
	s_and_saveexec_b64 s[6:7], s[4:5]
	s_cbranch_execnz .LBB25_1411
	s_branch .LBB25_1412
.LBB25_3461:
	s_movk_i32 s4, 0x80
	v_cmp_eq_u16_sdwa s[12:13], v2, s4 src0_sel:BYTE_0 src1_sel:DWORD
	s_mov_b64 s[4:5], -1
                                        ; implicit-def: $sgpr10
	s_and_saveexec_b64 s[8:9], s[12:13]
; %bb.3462:
	s_mov_b32 s10, 0x7f800001
	s_xor_b64 s[4:5], exec, -1
; %bb.3463:
	s_or_b64 exec, exec, s[8:9]
	s_and_b64 s[4:5], s[4:5], exec
	s_or_saveexec_b64 s[6:7], s[6:7]
	v_mov_b32_e32 v11, s10
	s_xor_b64 exec, exec, s[6:7]
	s_cbranch_execz .LBB25_1414
.LBB25_3464:
	v_mov_b32_e32 v11, 0
	v_cmp_ne_u16_sdwa s[8:9], v2, v11 src0_sel:BYTE_0 src1_sel:DWORD
	s_andn2_b64 s[4:5], s[4:5], exec
	s_and_b64 s[8:9], s[8:9], exec
	s_or_b64 s[4:5], s[4:5], s[8:9]
	s_or_b64 exec, exec, s[6:7]
	s_and_saveexec_b64 s[6:7], s[4:5]
	s_cbranch_execnz .LBB25_1415
	s_branch .LBB25_1416
.LBB25_3465:
	s_movk_i32 s4, 0x80
	v_cmp_eq_u16_sdwa s[12:13], v11, s4 src0_sel:BYTE_0 src1_sel:DWORD
	s_mov_b64 s[4:5], -1
                                        ; implicit-def: $sgpr10
	s_and_saveexec_b64 s[8:9], s[12:13]
; %bb.3466:
	s_mov_b32 s10, 0x7f800001
	s_xor_b64 s[4:5], exec, -1
; %bb.3467:
	s_or_b64 exec, exec, s[8:9]
	s_and_b64 s[4:5], s[4:5], exec
	s_or_saveexec_b64 s[6:7], s[6:7]
	v_mov_b32_e32 v10, s10
	s_xor_b64 exec, exec, s[6:7]
	s_cbranch_execz .LBB25_1418
.LBB25_3468:
	v_mov_b32_e32 v10, 0
	v_cmp_ne_u16_sdwa s[8:9], v11, v10 src0_sel:BYTE_0 src1_sel:DWORD
	s_andn2_b64 s[4:5], s[4:5], exec
	s_and_b64 s[8:9], s[8:9], exec
	s_or_b64 s[4:5], s[4:5], s[8:9]
	s_or_b64 exec, exec, s[6:7]
	s_and_saveexec_b64 s[6:7], s[4:5]
	s_cbranch_execnz .LBB25_1419
	s_branch .LBB25_1420
.LBB25_3469:
	s_movk_i32 s4, 0x80
	v_cmp_eq_u16_sdwa s[12:13], v11, s4 src0_sel:BYTE_0 src1_sel:DWORD
	s_mov_b64 s[4:5], -1
                                        ; implicit-def: $sgpr10
	s_and_saveexec_b64 s[8:9], s[12:13]
; %bb.3470:
	s_mov_b32 s10, 0x7f800001
	s_xor_b64 s[4:5], exec, -1
; %bb.3471:
	s_or_b64 exec, exec, s[8:9]
	s_and_b64 s[4:5], s[4:5], exec
	s_or_saveexec_b64 s[6:7], s[6:7]
	v_mov_b32_e32 v12, s10
	s_xor_b64 exec, exec, s[6:7]
	s_cbranch_execz .LBB25_1422
.LBB25_3472:
	v_mov_b32_e32 v12, 0
	v_cmp_ne_u16_sdwa s[8:9], v11, v12 src0_sel:BYTE_0 src1_sel:DWORD
	s_andn2_b64 s[4:5], s[4:5], exec
	s_and_b64 s[8:9], s[8:9], exec
	s_or_b64 s[4:5], s[4:5], s[8:9]
	s_or_b64 exec, exec, s[6:7]
	s_and_saveexec_b64 s[6:7], s[4:5]
	s_cbranch_execnz .LBB25_1423
	s_branch .LBB25_1424
.LBB25_3473:
	s_movk_i32 s4, 0x80
	v_cmp_eq_u16_e32 vcc, s4, v11
	s_mov_b64 s[4:5], -1
                                        ; implicit-def: $sgpr10
	s_and_saveexec_b64 s[8:9], vcc
; %bb.3474:
	s_mov_b32 s10, 0x7f800001
	s_xor_b64 s[4:5], exec, -1
; %bb.3475:
	s_or_b64 exec, exec, s[8:9]
	s_and_b64 s[4:5], s[4:5], exec
                                        ; implicit-def: $vgpr11
	s_or_saveexec_b64 s[6:7], s[6:7]
	v_mov_b32_e32 v10, s10
	s_xor_b64 exec, exec, s[6:7]
	s_cbranch_execz .LBB25_1426
.LBB25_3476:
	v_cmp_ne_u16_e32 vcc, 0, v11
	s_andn2_b64 s[4:5], s[4:5], exec
	s_and_b64 s[8:9], vcc, exec
	v_mov_b32_e32 v10, 0
	s_or_b64 s[4:5], s[4:5], s[8:9]
	s_or_b64 exec, exec, s[6:7]
	s_and_saveexec_b64 s[6:7], s[4:5]
	s_cbranch_execnz .LBB25_1427
	s_branch .LBB25_1428
.LBB25_3477:
	s_movk_i32 s4, 0x80
	v_cmp_eq_u16_e32 vcc, s4, v11
	s_mov_b64 s[4:5], -1
                                        ; implicit-def: $sgpr10
	s_and_saveexec_b64 s[8:9], vcc
; %bb.3478:
	s_mov_b32 s10, 0x7f800001
	s_xor_b64 s[4:5], exec, -1
; %bb.3479:
	s_or_b64 exec, exec, s[8:9]
	s_and_b64 s[4:5], s[4:5], exec
                                        ; implicit-def: $vgpr11
	s_or_saveexec_b64 s[6:7], s[6:7]
	v_mov_b32_e32 v12, s10
	s_xor_b64 exec, exec, s[6:7]
	s_cbranch_execz .LBB25_1430
.LBB25_3480:
	v_cmp_ne_u16_e32 vcc, 0, v11
	s_andn2_b64 s[4:5], s[4:5], exec
	s_and_b64 s[8:9], vcc, exec
	v_mov_b32_e32 v12, 0
	s_or_b64 s[4:5], s[4:5], s[8:9]
	s_or_b64 exec, exec, s[6:7]
	s_and_saveexec_b64 s[6:7], s[4:5]
	s_cbranch_execnz .LBB25_1431
	s_branch .LBB25_1432
.LBB25_3481:
	s_movk_i32 s4, 0x80
	v_cmp_eq_u16_sdwa s[12:13], v6, s4 src0_sel:BYTE_3 src1_sel:DWORD
	s_mov_b64 s[4:5], -1
                                        ; implicit-def: $sgpr10
	s_and_saveexec_b64 s[8:9], s[12:13]
; %bb.3482:
	s_mov_b32 s10, 0x7f800001
	s_xor_b64 s[4:5], exec, -1
; %bb.3483:
	s_or_b64 exec, exec, s[8:9]
	s_and_b64 s[4:5], s[4:5], exec
	s_or_saveexec_b64 s[6:7], s[6:7]
	v_mov_b32_e32 v10, s10
	s_xor_b64 exec, exec, s[6:7]
	s_cbranch_execz .LBB25_1434
.LBB25_3484:
	v_mov_b32_e32 v10, 0
	v_cmp_ne_u16_sdwa s[8:9], v6, v10 src0_sel:BYTE_3 src1_sel:DWORD
	s_andn2_b64 s[4:5], s[4:5], exec
	s_and_b64 s[8:9], s[8:9], exec
	s_or_b64 s[4:5], s[4:5], s[8:9]
	s_or_b64 exec, exec, s[6:7]
	s_and_saveexec_b64 s[6:7], s[4:5]
	s_cbranch_execnz .LBB25_1435
	s_branch .LBB25_1436
.LBB25_3485:
	s_movk_i32 s4, 0x80
	v_cmp_eq_u16_sdwa s[12:13], v2, s4 src0_sel:BYTE_3 src1_sel:DWORD
	s_mov_b64 s[4:5], -1
                                        ; implicit-def: $sgpr10
	s_and_saveexec_b64 s[8:9], s[12:13]
; %bb.3486:
	s_mov_b32 s10, 0x7f800001
	s_xor_b64 s[4:5], exec, -1
; %bb.3487:
	s_or_b64 exec, exec, s[8:9]
	s_and_b64 s[4:5], s[4:5], exec
	s_or_saveexec_b64 s[6:7], s[6:7]
	v_mov_b32_e32 v6, s10
	s_xor_b64 exec, exec, s[6:7]
	s_cbranch_execz .LBB25_1438
.LBB25_3488:
	v_mov_b32_e32 v6, 0
	v_cmp_ne_u16_sdwa s[8:9], v2, v6 src0_sel:BYTE_3 src1_sel:DWORD
	s_andn2_b64 s[4:5], s[4:5], exec
	s_and_b64 s[8:9], s[8:9], exec
	s_or_b64 s[4:5], s[4:5], s[8:9]
	s_or_b64 exec, exec, s[6:7]
	s_and_saveexec_b64 s[6:7], s[4:5]
	s_cbranch_execnz .LBB25_1439
	s_branch .LBB25_1440
.LBB25_3489:
	s_movk_i32 s4, 0x80
	v_cmp_eq_u16_sdwa s[12:13], v7, s4 src0_sel:BYTE_0 src1_sel:DWORD
	s_mov_b64 s[4:5], -1
                                        ; implicit-def: $sgpr10
	s_and_saveexec_b64 s[8:9], s[12:13]
; %bb.3490:
	s_mov_b32 s10, 0x7f800001
	s_xor_b64 s[4:5], exec, -1
; %bb.3491:
	s_or_b64 exec, exec, s[8:9]
	s_and_b64 s[4:5], s[4:5], exec
	s_or_saveexec_b64 s[6:7], s[6:7]
	v_mov_b32_e32 v2, s10
	s_xor_b64 exec, exec, s[6:7]
	s_cbranch_execz .LBB25_1442
.LBB25_3492:
	v_mov_b32_e32 v2, 0
	v_cmp_ne_u16_sdwa s[8:9], v7, v2 src0_sel:BYTE_0 src1_sel:DWORD
	s_andn2_b64 s[4:5], s[4:5], exec
	s_and_b64 s[8:9], s[8:9], exec
	s_or_b64 s[4:5], s[4:5], s[8:9]
	s_or_b64 exec, exec, s[6:7]
	s_and_saveexec_b64 s[6:7], s[4:5]
	s_cbranch_execnz .LBB25_1443
	s_branch .LBB25_1444
.LBB25_3493:
	s_movk_i32 s4, 0x80
	v_cmp_eq_u16_sdwa s[12:13], v3, s4 src0_sel:BYTE_0 src1_sel:DWORD
	s_mov_b64 s[4:5], -1
                                        ; implicit-def: $sgpr10
	s_and_saveexec_b64 s[8:9], s[12:13]
; %bb.3494:
	s_mov_b32 s10, 0x7f800001
	s_xor_b64 s[4:5], exec, -1
; %bb.3495:
	s_or_b64 exec, exec, s[8:9]
	s_and_b64 s[4:5], s[4:5], exec
	s_or_saveexec_b64 s[6:7], s[6:7]
	v_mov_b32_e32 v6, s10
	s_xor_b64 exec, exec, s[6:7]
	s_cbranch_execz .LBB25_1446
.LBB25_3496:
	v_mov_b32_e32 v6, 0
	v_cmp_ne_u16_sdwa s[8:9], v3, v6 src0_sel:BYTE_0 src1_sel:DWORD
	s_andn2_b64 s[4:5], s[4:5], exec
	s_and_b64 s[8:9], s[8:9], exec
	s_or_b64 s[4:5], s[4:5], s[8:9]
	s_or_b64 exec, exec, s[6:7]
	s_and_saveexec_b64 s[6:7], s[4:5]
	s_cbranch_execnz .LBB25_1447
	s_branch .LBB25_1448
.LBB25_3497:
	s_movk_i32 s4, 0x80
	v_cmp_eq_u16_sdwa s[12:13], v6, s4 src0_sel:BYTE_0 src1_sel:DWORD
	s_mov_b64 s[4:5], -1
                                        ; implicit-def: $sgpr10
	s_and_saveexec_b64 s[8:9], s[12:13]
; %bb.3498:
	s_mov_b32 s10, 0x7f800001
	s_xor_b64 s[4:5], exec, -1
; %bb.3499:
	s_or_b64 exec, exec, s[8:9]
	s_and_b64 s[4:5], s[4:5], exec
	s_or_saveexec_b64 s[6:7], s[6:7]
	v_mov_b32_e32 v2, s10
	s_xor_b64 exec, exec, s[6:7]
	s_cbranch_execz .LBB25_1450
.LBB25_3500:
	v_mov_b32_e32 v2, 0
	v_cmp_ne_u16_sdwa s[8:9], v6, v2 src0_sel:BYTE_0 src1_sel:DWORD
	s_andn2_b64 s[4:5], s[4:5], exec
	s_and_b64 s[8:9], s[8:9], exec
	s_or_b64 s[4:5], s[4:5], s[8:9]
	s_or_b64 exec, exec, s[6:7]
	s_and_saveexec_b64 s[6:7], s[4:5]
	s_cbranch_execnz .LBB25_1451
	s_branch .LBB25_1452
.LBB25_3501:
	s_movk_i32 s4, 0x80
	v_cmp_eq_u16_sdwa s[12:13], v6, s4 src0_sel:BYTE_0 src1_sel:DWORD
	s_mov_b64 s[4:5], -1
                                        ; implicit-def: $sgpr10
	s_and_saveexec_b64 s[8:9], s[12:13]
; %bb.3502:
	s_mov_b32 s10, 0x7f800001
	s_xor_b64 s[4:5], exec, -1
; %bb.3503:
	s_or_b64 exec, exec, s[8:9]
	s_and_b64 s[4:5], s[4:5], exec
	s_or_saveexec_b64 s[6:7], s[6:7]
	v_mov_b32_e32 v10, s10
	s_xor_b64 exec, exec, s[6:7]
	s_cbranch_execz .LBB25_1454
.LBB25_3504:
	v_mov_b32_e32 v10, 0
	v_cmp_ne_u16_sdwa s[8:9], v6, v10 src0_sel:BYTE_0 src1_sel:DWORD
	s_andn2_b64 s[4:5], s[4:5], exec
	s_and_b64 s[8:9], s[8:9], exec
	s_or_b64 s[4:5], s[4:5], s[8:9]
	s_or_b64 exec, exec, s[6:7]
	s_and_saveexec_b64 s[6:7], s[4:5]
	s_cbranch_execnz .LBB25_1455
	s_branch .LBB25_1456
.LBB25_3505:
	s_movk_i32 s4, 0x80
	v_cmp_eq_u16_e32 vcc, s4, v6
	s_mov_b64 s[4:5], -1
                                        ; implicit-def: $sgpr10
	s_and_saveexec_b64 s[8:9], vcc
; %bb.3506:
	s_mov_b32 s10, 0x7f800001
	s_xor_b64 s[4:5], exec, -1
; %bb.3507:
	s_or_b64 exec, exec, s[8:9]
	s_and_b64 s[4:5], s[4:5], exec
                                        ; implicit-def: $vgpr6
	s_or_saveexec_b64 s[6:7], s[6:7]
	v_mov_b32_e32 v2, s10
	s_xor_b64 exec, exec, s[6:7]
	s_cbranch_execz .LBB25_1458
.LBB25_3508:
	v_cmp_ne_u16_e32 vcc, 0, v6
	s_andn2_b64 s[4:5], s[4:5], exec
	s_and_b64 s[8:9], vcc, exec
	v_mov_b32_e32 v2, 0
	s_or_b64 s[4:5], s[4:5], s[8:9]
	s_or_b64 exec, exec, s[6:7]
	s_and_saveexec_b64 s[6:7], s[4:5]
	s_cbranch_execnz .LBB25_1459
	s_branch .LBB25_1460
.LBB25_3509:
	s_movk_i32 s4, 0x80
	v_cmp_eq_u16_e32 vcc, s4, v6
	s_mov_b64 s[4:5], -1
                                        ; implicit-def: $sgpr10
	s_and_saveexec_b64 s[8:9], vcc
; %bb.3510:
	s_mov_b32 s10, 0x7f800001
	s_xor_b64 s[4:5], exec, -1
; %bb.3511:
	s_or_b64 exec, exec, s[8:9]
	s_and_b64 s[4:5], s[4:5], exec
                                        ; implicit-def: $vgpr6
	s_or_saveexec_b64 s[6:7], s[6:7]
	v_mov_b32_e32 v10, s10
	s_xor_b64 exec, exec, s[6:7]
	s_cbranch_execz .LBB25_1462
.LBB25_3512:
	v_cmp_ne_u16_e32 vcc, 0, v6
	s_andn2_b64 s[4:5], s[4:5], exec
	s_and_b64 s[8:9], vcc, exec
	v_mov_b32_e32 v10, 0
	s_or_b64 s[4:5], s[4:5], s[8:9]
	s_or_b64 exec, exec, s[6:7]
	s_and_saveexec_b64 s[6:7], s[4:5]
	s_cbranch_execnz .LBB25_1463
	s_branch .LBB25_1464
.LBB25_3513:
	s_movk_i32 s4, 0x80
	v_cmp_eq_u16_sdwa s[12:13], v7, s4 src0_sel:BYTE_3 src1_sel:DWORD
	s_mov_b64 s[4:5], -1
                                        ; implicit-def: $sgpr10
	s_and_saveexec_b64 s[8:9], s[12:13]
; %bb.3514:
	s_mov_b32 s10, 0x7f800001
	s_xor_b64 s[4:5], exec, -1
; %bb.3515:
	s_or_b64 exec, exec, s[8:9]
	s_and_b64 s[4:5], s[4:5], exec
	s_or_saveexec_b64 s[6:7], s[6:7]
	v_mov_b32_e32 v2, s10
	s_xor_b64 exec, exec, s[6:7]
	s_cbranch_execz .LBB25_1466
.LBB25_3516:
	v_mov_b32_e32 v2, 0
	v_cmp_ne_u16_sdwa s[8:9], v7, v2 src0_sel:BYTE_3 src1_sel:DWORD
	s_andn2_b64 s[4:5], s[4:5], exec
	s_and_b64 s[8:9], s[8:9], exec
	s_or_b64 s[4:5], s[4:5], s[8:9]
	s_or_b64 exec, exec, s[6:7]
	s_and_saveexec_b64 s[6:7], s[4:5]
	s_cbranch_execnz .LBB25_1467
	s_branch .LBB25_1468
.LBB25_3517:
	s_movk_i32 s4, 0x80
	v_cmp_eq_u16_sdwa s[12:13], v3, s4 src0_sel:BYTE_3 src1_sel:DWORD
	s_mov_b64 s[4:5], -1
                                        ; implicit-def: $sgpr10
	s_and_saveexec_b64 s[8:9], s[12:13]
; %bb.3518:
	s_mov_b32 s10, 0x7f800001
	s_xor_b64 s[4:5], exec, -1
; %bb.3519:
	s_or_b64 exec, exec, s[8:9]
	s_and_b64 s[4:5], s[4:5], exec
	s_or_saveexec_b64 s[6:7], s[6:7]
	v_mov_b32_e32 v6, s10
	s_xor_b64 exec, exec, s[6:7]
	s_cbranch_execz .LBB25_1470
.LBB25_3520:
	v_mov_b32_e32 v6, 0
	v_cmp_ne_u16_sdwa s[8:9], v3, v6 src0_sel:BYTE_3 src1_sel:DWORD
	s_andn2_b64 s[4:5], s[4:5], exec
	s_and_b64 s[8:9], s[8:9], exec
	s_or_b64 s[4:5], s[4:5], s[8:9]
	s_or_b64 exec, exec, s[6:7]
	s_and_saveexec_b64 s[6:7], s[4:5]
	s_cbranch_execnz .LBB25_1471
	s_branch .LBB25_1472
.LBB25_3521:
	s_movk_i32 s4, 0x80
	v_cmp_eq_u16_sdwa s[12:13], v8, s4 src0_sel:BYTE_0 src1_sel:DWORD
	s_mov_b64 s[4:5], -1
                                        ; implicit-def: $sgpr10
	s_and_saveexec_b64 s[8:9], s[12:13]
; %bb.3522:
	s_mov_b32 s10, 0x7f800001
	s_xor_b64 s[4:5], exec, -1
; %bb.3523:
	s_or_b64 exec, exec, s[8:9]
	s_and_b64 s[4:5], s[4:5], exec
	s_or_saveexec_b64 s[6:7], s[6:7]
	v_mov_b32_e32 v2, s10
	s_xor_b64 exec, exec, s[6:7]
	s_cbranch_execz .LBB25_1474
.LBB25_3524:
	v_mov_b32_e32 v2, 0
	v_cmp_ne_u16_sdwa s[8:9], v8, v2 src0_sel:BYTE_0 src1_sel:DWORD
	s_andn2_b64 s[4:5], s[4:5], exec
	s_and_b64 s[8:9], s[8:9], exec
	s_or_b64 s[4:5], s[4:5], s[8:9]
	s_or_b64 exec, exec, s[6:7]
	s_and_saveexec_b64 s[6:7], s[4:5]
	s_cbranch_execnz .LBB25_1475
	s_branch .LBB25_1476
.LBB25_3525:
	s_movk_i32 s4, 0x80
	v_cmp_eq_u16_sdwa s[12:13], v4, s4 src0_sel:BYTE_0 src1_sel:DWORD
	s_mov_b64 s[4:5], -1
                                        ; implicit-def: $sgpr10
	s_and_saveexec_b64 s[8:9], s[12:13]
; %bb.3526:
	s_mov_b32 s10, 0x7f800001
	s_xor_b64 s[4:5], exec, -1
; %bb.3527:
	s_or_b64 exec, exec, s[8:9]
	s_and_b64 s[4:5], s[4:5], exec
	s_or_saveexec_b64 s[6:7], s[6:7]
	v_mov_b32_e32 v3, s10
	s_xor_b64 exec, exec, s[6:7]
	s_cbranch_execz .LBB25_1478
.LBB25_3528:
	v_mov_b32_e32 v3, 0
	v_cmp_ne_u16_sdwa s[8:9], v4, v3 src0_sel:BYTE_0 src1_sel:DWORD
	s_andn2_b64 s[4:5], s[4:5], exec
	s_and_b64 s[8:9], s[8:9], exec
	s_or_b64 s[4:5], s[4:5], s[8:9]
	s_or_b64 exec, exec, s[6:7]
	s_and_saveexec_b64 s[6:7], s[4:5]
	s_cbranch_execnz .LBB25_1479
	s_branch .LBB25_1480
.LBB25_3529:
	s_movk_i32 s4, 0x80
	v_cmp_eq_u16_sdwa s[12:13], v3, s4 src0_sel:BYTE_0 src1_sel:DWORD
	s_mov_b64 s[4:5], -1
                                        ; implicit-def: $sgpr10
	s_and_saveexec_b64 s[8:9], s[12:13]
; %bb.3530:
	s_mov_b32 s10, 0x7f800001
	s_xor_b64 s[4:5], exec, -1
; %bb.3531:
	s_or_b64 exec, exec, s[8:9]
	s_and_b64 s[4:5], s[4:5], exec
	s_or_saveexec_b64 s[6:7], s[6:7]
	v_mov_b32_e32 v2, s10
	s_xor_b64 exec, exec, s[6:7]
	s_cbranch_execz .LBB25_1482
.LBB25_3532:
	v_mov_b32_e32 v2, 0
	v_cmp_ne_u16_sdwa s[8:9], v3, v2 src0_sel:BYTE_0 src1_sel:DWORD
	s_andn2_b64 s[4:5], s[4:5], exec
	s_and_b64 s[8:9], s[8:9], exec
	s_or_b64 s[4:5], s[4:5], s[8:9]
	s_or_b64 exec, exec, s[6:7]
	s_and_saveexec_b64 s[6:7], s[4:5]
	s_cbranch_execnz .LBB25_1483
	s_branch .LBB25_1484
.LBB25_3533:
	s_movk_i32 s4, 0x80
	v_cmp_eq_u16_sdwa s[12:13], v3, s4 src0_sel:BYTE_0 src1_sel:DWORD
	s_mov_b64 s[4:5], -1
                                        ; implicit-def: $sgpr10
	s_and_saveexec_b64 s[8:9], s[12:13]
; %bb.3534:
	s_mov_b32 s10, 0x7f800001
	s_xor_b64 s[4:5], exec, -1
; %bb.3535:
	s_or_b64 exec, exec, s[8:9]
	s_and_b64 s[4:5], s[4:5], exec
	s_or_saveexec_b64 s[6:7], s[6:7]
	v_mov_b32_e32 v6, s10
	s_xor_b64 exec, exec, s[6:7]
	s_cbranch_execz .LBB25_1486
.LBB25_3536:
	v_mov_b32_e32 v6, 0
	v_cmp_ne_u16_sdwa s[8:9], v3, v6 src0_sel:BYTE_0 src1_sel:DWORD
	s_andn2_b64 s[4:5], s[4:5], exec
	s_and_b64 s[8:9], s[8:9], exec
	s_or_b64 s[4:5], s[4:5], s[8:9]
	s_or_b64 exec, exec, s[6:7]
	s_and_saveexec_b64 s[6:7], s[4:5]
	s_cbranch_execnz .LBB25_1487
	s_branch .LBB25_1488
.LBB25_3537:
	s_movk_i32 s4, 0x80
	v_cmp_eq_u16_e32 vcc, s4, v3
	s_mov_b64 s[4:5], -1
                                        ; implicit-def: $sgpr10
	s_and_saveexec_b64 s[8:9], vcc
; %bb.3538:
	s_mov_b32 s10, 0x7f800001
	s_xor_b64 s[4:5], exec, -1
; %bb.3539:
	s_or_b64 exec, exec, s[8:9]
	s_and_b64 s[4:5], s[4:5], exec
                                        ; implicit-def: $vgpr3
	s_or_saveexec_b64 s[6:7], s[6:7]
	v_mov_b32_e32 v2, s10
	s_xor_b64 exec, exec, s[6:7]
	s_cbranch_execz .LBB25_1490
.LBB25_3540:
	v_cmp_ne_u16_e32 vcc, 0, v3
	s_andn2_b64 s[4:5], s[4:5], exec
	s_and_b64 s[8:9], vcc, exec
	v_mov_b32_e32 v2, 0
	s_or_b64 s[4:5], s[4:5], s[8:9]
	s_or_b64 exec, exec, s[6:7]
	s_and_saveexec_b64 s[6:7], s[4:5]
	s_cbranch_execnz .LBB25_1491
	s_branch .LBB25_1492
.LBB25_3541:
	s_movk_i32 s4, 0x80
	v_cmp_eq_u16_e32 vcc, s4, v3
	s_mov_b64 s[4:5], -1
                                        ; implicit-def: $sgpr10
	s_and_saveexec_b64 s[8:9], vcc
; %bb.3542:
	s_mov_b32 s10, 0x7f800001
	s_xor_b64 s[4:5], exec, -1
; %bb.3543:
	s_or_b64 exec, exec, s[8:9]
	s_and_b64 s[4:5], s[4:5], exec
                                        ; implicit-def: $vgpr3
	s_or_saveexec_b64 s[6:7], s[6:7]
	v_mov_b32_e32 v6, s10
	s_xor_b64 exec, exec, s[6:7]
	s_cbranch_execz .LBB25_1494
.LBB25_3544:
	v_cmp_ne_u16_e32 vcc, 0, v3
	s_andn2_b64 s[4:5], s[4:5], exec
	s_and_b64 s[8:9], vcc, exec
	v_mov_b32_e32 v6, 0
	s_or_b64 s[4:5], s[4:5], s[8:9]
	s_or_b64 exec, exec, s[6:7]
	s_and_saveexec_b64 s[6:7], s[4:5]
	s_cbranch_execnz .LBB25_1495
	s_branch .LBB25_1496
.LBB25_3545:
	s_movk_i32 s4, 0x80
	v_cmp_eq_u16_sdwa s[12:13], v8, s4 src0_sel:BYTE_3 src1_sel:DWORD
	s_mov_b64 s[4:5], -1
                                        ; implicit-def: $sgpr10
	s_and_saveexec_b64 s[8:9], s[12:13]
; %bb.3546:
	s_mov_b32 s10, 0x7f800001
	s_xor_b64 s[4:5], exec, -1
; %bb.3547:
	s_or_b64 exec, exec, s[8:9]
	s_and_b64 s[4:5], s[4:5], exec
	s_or_saveexec_b64 s[6:7], s[6:7]
	v_mov_b32_e32 v2, s10
	s_xor_b64 exec, exec, s[6:7]
	s_cbranch_execz .LBB25_1498
.LBB25_3548:
	v_mov_b32_e32 v2, 0
	v_cmp_ne_u16_sdwa s[8:9], v8, v2 src0_sel:BYTE_3 src1_sel:DWORD
	s_andn2_b64 s[4:5], s[4:5], exec
	s_and_b64 s[8:9], s[8:9], exec
	s_or_b64 s[4:5], s[4:5], s[8:9]
	s_or_b64 exec, exec, s[6:7]
	s_and_saveexec_b64 s[6:7], s[4:5]
	s_cbranch_execnz .LBB25_1499
	s_branch .LBB25_1500
.LBB25_3549:
	s_movk_i32 s4, 0x80
	v_cmp_eq_u16_sdwa s[12:13], v4, s4 src0_sel:BYTE_3 src1_sel:DWORD
	s_mov_b64 s[4:5], -1
                                        ; implicit-def: $sgpr10
	s_and_saveexec_b64 s[8:9], s[12:13]
; %bb.3550:
	s_mov_b32 s10, 0x7f800001
	s_xor_b64 s[4:5], exec, -1
; %bb.3551:
	s_or_b64 exec, exec, s[8:9]
	s_and_b64 s[4:5], s[4:5], exec
	s_or_saveexec_b64 s[6:7], s[6:7]
	v_mov_b32_e32 v3, s10
	s_xor_b64 exec, exec, s[6:7]
	s_cbranch_execz .LBB25_1502
.LBB25_3552:
	v_mov_b32_e32 v3, 0
	v_cmp_ne_u16_sdwa s[8:9], v4, v3 src0_sel:BYTE_3 src1_sel:DWORD
	s_andn2_b64 s[4:5], s[4:5], exec
	s_and_b64 s[8:9], s[8:9], exec
	s_or_b64 s[4:5], s[4:5], s[8:9]
	s_or_b64 exec, exec, s[6:7]
	s_and_saveexec_b64 s[6:7], s[4:5]
	s_cbranch_execnz .LBB25_1503
	s_branch .LBB25_1504
.LBB25_3553:
	s_movk_i32 s4, 0x80
	v_cmp_eq_u16_sdwa s[12:13], v9, s4 src0_sel:BYTE_0 src1_sel:DWORD
	s_mov_b64 s[4:5], -1
                                        ; implicit-def: $sgpr10
	s_and_saveexec_b64 s[8:9], s[12:13]
; %bb.3554:
	s_mov_b32 s10, 0x7f800001
	s_xor_b64 s[4:5], exec, -1
; %bb.3555:
	s_or_b64 exec, exec, s[8:9]
	s_and_b64 s[4:5], s[4:5], exec
	s_or_saveexec_b64 s[6:7], s[6:7]
	v_mov_b32_e32 v2, s10
	s_xor_b64 exec, exec, s[6:7]
	s_cbranch_execz .LBB25_1506
.LBB25_3556:
	v_mov_b32_e32 v2, 0
	v_cmp_ne_u16_sdwa s[8:9], v9, v2 src0_sel:BYTE_0 src1_sel:DWORD
	s_andn2_b64 s[4:5], s[4:5], exec
	s_and_b64 s[8:9], s[8:9], exec
	s_or_b64 s[4:5], s[4:5], s[8:9]
	s_or_b64 exec, exec, s[6:7]
	s_and_saveexec_b64 s[6:7], s[4:5]
	s_cbranch_execnz .LBB25_1507
	s_branch .LBB25_1508
.LBB25_3557:
	s_movk_i32 s4, 0x80
	v_cmp_eq_u16_sdwa s[12:13], v5, s4 src0_sel:BYTE_0 src1_sel:DWORD
	s_mov_b64 s[4:5], -1
                                        ; implicit-def: $sgpr10
	s_and_saveexec_b64 s[8:9], s[12:13]
; %bb.3558:
	s_mov_b32 s10, 0x7f800001
	s_xor_b64 s[4:5], exec, -1
; %bb.3559:
	s_or_b64 exec, exec, s[8:9]
	s_and_b64 s[4:5], s[4:5], exec
	s_or_saveexec_b64 s[6:7], s[6:7]
	v_mov_b32_e32 v3, s10
	s_xor_b64 exec, exec, s[6:7]
	s_cbranch_execz .LBB25_1510
.LBB25_3560:
	v_mov_b32_e32 v3, 0
	v_cmp_ne_u16_sdwa s[8:9], v5, v3 src0_sel:BYTE_0 src1_sel:DWORD
	s_andn2_b64 s[4:5], s[4:5], exec
	s_and_b64 s[8:9], s[8:9], exec
	s_or_b64 s[4:5], s[4:5], s[8:9]
	s_or_b64 exec, exec, s[6:7]
	s_and_saveexec_b64 s[6:7], s[4:5]
	s_cbranch_execnz .LBB25_1511
	s_branch .LBB25_1512
.LBB25_3561:
	s_movk_i32 s4, 0x80
	v_cmp_eq_u16_sdwa s[12:13], v3, s4 src0_sel:BYTE_0 src1_sel:DWORD
	s_mov_b64 s[4:5], -1
                                        ; implicit-def: $sgpr10
	s_and_saveexec_b64 s[8:9], s[12:13]
; %bb.3562:
	s_mov_b32 s10, 0x7f800001
	s_xor_b64 s[4:5], exec, -1
; %bb.3563:
	s_or_b64 exec, exec, s[8:9]
	s_and_b64 s[4:5], s[4:5], exec
	s_or_saveexec_b64 s[6:7], s[6:7]
	v_mov_b32_e32 v2, s10
	s_xor_b64 exec, exec, s[6:7]
	s_cbranch_execz .LBB25_1514
.LBB25_3564:
	v_mov_b32_e32 v2, 0
	v_cmp_ne_u16_sdwa s[8:9], v3, v2 src0_sel:BYTE_0 src1_sel:DWORD
	s_andn2_b64 s[4:5], s[4:5], exec
	s_and_b64 s[8:9], s[8:9], exec
	s_or_b64 s[4:5], s[4:5], s[8:9]
	s_or_b64 exec, exec, s[6:7]
	s_and_saveexec_b64 s[6:7], s[4:5]
	s_cbranch_execnz .LBB25_1515
	s_branch .LBB25_1516
.LBB25_3565:
	s_movk_i32 s4, 0x80
	v_cmp_eq_u16_sdwa s[12:13], v3, s4 src0_sel:BYTE_0 src1_sel:DWORD
	s_mov_b64 s[4:5], -1
                                        ; implicit-def: $sgpr10
	s_and_saveexec_b64 s[8:9], s[12:13]
; %bb.3566:
	s_mov_b32 s10, 0x7f800001
	s_xor_b64 s[4:5], exec, -1
; %bb.3567:
	s_or_b64 exec, exec, s[8:9]
	s_and_b64 s[4:5], s[4:5], exec
	s_or_saveexec_b64 s[6:7], s[6:7]
	v_mov_b32_e32 v4, s10
	s_xor_b64 exec, exec, s[6:7]
	s_cbranch_execz .LBB25_1518
.LBB25_3568:
	v_mov_b32_e32 v4, 0
	v_cmp_ne_u16_sdwa s[8:9], v3, v4 src0_sel:BYTE_0 src1_sel:DWORD
	s_andn2_b64 s[4:5], s[4:5], exec
	s_and_b64 s[8:9], s[8:9], exec
	s_or_b64 s[4:5], s[4:5], s[8:9]
	s_or_b64 exec, exec, s[6:7]
	s_and_saveexec_b64 s[6:7], s[4:5]
	s_cbranch_execnz .LBB25_1519
	s_branch .LBB25_1520
.LBB25_3569:
	s_movk_i32 s4, 0x80
	v_cmp_eq_u16_e32 vcc, s4, v3
	s_mov_b64 s[4:5], -1
                                        ; implicit-def: $sgpr10
	s_and_saveexec_b64 s[8:9], vcc
; %bb.3570:
	s_mov_b32 s10, 0x7f800001
	s_xor_b64 s[4:5], exec, -1
; %bb.3571:
	s_or_b64 exec, exec, s[8:9]
	s_and_b64 s[4:5], s[4:5], exec
                                        ; implicit-def: $vgpr3
	s_or_saveexec_b64 s[6:7], s[6:7]
	v_mov_b32_e32 v2, s10
	s_xor_b64 exec, exec, s[6:7]
	s_cbranch_execz .LBB25_1522
.LBB25_3572:
	v_cmp_ne_u16_e32 vcc, 0, v3
	s_andn2_b64 s[4:5], s[4:5], exec
	s_and_b64 s[8:9], vcc, exec
	v_mov_b32_e32 v2, 0
	s_or_b64 s[4:5], s[4:5], s[8:9]
	s_or_b64 exec, exec, s[6:7]
	s_and_saveexec_b64 s[6:7], s[4:5]
	s_cbranch_execnz .LBB25_1523
	s_branch .LBB25_1524
.LBB25_3573:
	s_movk_i32 s4, 0x80
	v_cmp_eq_u16_e32 vcc, s4, v3
	s_mov_b64 s[4:5], -1
                                        ; implicit-def: $sgpr10
	s_and_saveexec_b64 s[8:9], vcc
; %bb.3574:
	s_mov_b32 s10, 0x7f800001
	s_xor_b64 s[4:5], exec, -1
; %bb.3575:
	s_or_b64 exec, exec, s[8:9]
	s_and_b64 s[4:5], s[4:5], exec
                                        ; implicit-def: $vgpr3
	s_or_saveexec_b64 s[6:7], s[6:7]
	v_mov_b32_e32 v4, s10
	s_xor_b64 exec, exec, s[6:7]
	s_cbranch_execz .LBB25_1526
.LBB25_3576:
	v_cmp_ne_u16_e32 vcc, 0, v3
	s_andn2_b64 s[4:5], s[4:5], exec
	s_and_b64 s[8:9], vcc, exec
	v_mov_b32_e32 v4, 0
	s_or_b64 s[4:5], s[4:5], s[8:9]
	s_or_b64 exec, exec, s[6:7]
	s_and_saveexec_b64 s[6:7], s[4:5]
	s_cbranch_execnz .LBB25_1527
	s_branch .LBB25_1528
.LBB25_3577:
	s_movk_i32 s4, 0x80
	v_cmp_eq_u16_sdwa s[12:13], v9, s4 src0_sel:BYTE_3 src1_sel:DWORD
	s_mov_b64 s[4:5], -1
                                        ; implicit-def: $sgpr10
	s_and_saveexec_b64 s[8:9], s[12:13]
; %bb.3578:
	s_mov_b32 s10, 0x7f800001
	s_xor_b64 s[4:5], exec, -1
; %bb.3579:
	s_or_b64 exec, exec, s[8:9]
	s_and_b64 s[4:5], s[4:5], exec
	s_or_saveexec_b64 s[6:7], s[6:7]
	v_mov_b32_e32 v2, s10
	s_xor_b64 exec, exec, s[6:7]
	s_cbranch_execz .LBB25_1530
.LBB25_3580:
	v_mov_b32_e32 v2, 0
	v_cmp_ne_u16_sdwa s[8:9], v9, v2 src0_sel:BYTE_3 src1_sel:DWORD
	s_andn2_b64 s[4:5], s[4:5], exec
	s_and_b64 s[8:9], s[8:9], exec
	s_or_b64 s[4:5], s[4:5], s[8:9]
	s_or_b64 exec, exec, s[6:7]
	s_and_saveexec_b64 s[6:7], s[4:5]
	s_cbranch_execnz .LBB25_1531
	s_branch .LBB25_1532
.LBB25_3581:
	s_movk_i32 s4, 0x80
	v_cmp_eq_u16_sdwa s[12:13], v5, s4 src0_sel:BYTE_3 src1_sel:DWORD
	s_mov_b64 s[4:5], -1
                                        ; implicit-def: $sgpr10
	s_and_saveexec_b64 s[8:9], s[12:13]
; %bb.3582:
	s_mov_b32 s10, 0x7f800001
	s_xor_b64 s[4:5], exec, -1
; %bb.3583:
	s_or_b64 exec, exec, s[8:9]
	s_and_b64 s[4:5], s[4:5], exec
	s_or_saveexec_b64 s[6:7], s[6:7]
	v_mov_b32_e32 v3, s10
	s_xor_b64 exec, exec, s[6:7]
	s_cbranch_execz .LBB25_1534
.LBB25_3584:
	v_mov_b32_e32 v3, 0
	v_cmp_ne_u16_sdwa s[8:9], v5, v3 src0_sel:BYTE_3 src1_sel:DWORD
	s_andn2_b64 s[4:5], s[4:5], exec
	s_and_b64 s[8:9], s[8:9], exec
	s_or_b64 s[4:5], s[4:5], s[8:9]
	s_or_b64 exec, exec, s[6:7]
	s_and_saveexec_b64 s[6:7], s[4:5]
	s_cbranch_execnz .LBB25_1535
	s_branch .LBB25_1536
.LBB25_3585:
	s_movk_i32 s4, 0x80
	v_cmp_eq_u16_sdwa s[12:13], v14, s4 src0_sel:BYTE_0 src1_sel:DWORD
	s_mov_b64 s[4:5], -1
                                        ; implicit-def: $sgpr10
	s_and_saveexec_b64 s[8:9], s[12:13]
; %bb.3586:
	s_mov_b32 s10, 0x7f800001
	s_xor_b64 s[4:5], exec, -1
; %bb.3587:
	s_or_b64 exec, exec, s[8:9]
	s_and_b64 s[4:5], s[4:5], exec
	s_or_saveexec_b64 s[6:7], s[6:7]
	v_mov_b32_e32 v20, s10
	s_xor_b64 exec, exec, s[6:7]
	s_cbranch_execz .LBB25_1538
.LBB25_3588:
	v_mov_b32_e32 v20, 0
	v_cmp_ne_u16_sdwa s[8:9], v14, v20 src0_sel:BYTE_0 src1_sel:DWORD
	s_andn2_b64 s[4:5], s[4:5], exec
	s_and_b64 s[8:9], s[8:9], exec
	s_or_b64 s[4:5], s[4:5], s[8:9]
	s_or_b64 exec, exec, s[6:7]
	s_and_saveexec_b64 s[6:7], s[4:5]
	s_cbranch_execnz .LBB25_1539
	s_branch .LBB25_1540
.LBB25_3589:
	s_movk_i32 s4, 0x80
	v_cmp_eq_u16_sdwa s[12:13], v10, s4 src0_sel:BYTE_0 src1_sel:DWORD
	s_mov_b64 s[4:5], -1
                                        ; implicit-def: $sgpr10
	s_and_saveexec_b64 s[8:9], s[12:13]
; %bb.3590:
	s_mov_b32 s10, 0x7f800001
	s_xor_b64 s[4:5], exec, -1
; %bb.3591:
	s_or_b64 exec, exec, s[8:9]
	s_and_b64 s[4:5], s[4:5], exec
	s_or_saveexec_b64 s[6:7], s[6:7]
	v_mov_b32_e32 v21, s10
	s_xor_b64 exec, exec, s[6:7]
	s_cbranch_execz .LBB25_1542
.LBB25_3592:
	v_mov_b32_e32 v21, 0
	v_cmp_ne_u16_sdwa s[8:9], v10, v21 src0_sel:BYTE_0 src1_sel:DWORD
	s_andn2_b64 s[4:5], s[4:5], exec
	s_and_b64 s[8:9], s[8:9], exec
	s_or_b64 s[4:5], s[4:5], s[8:9]
	s_or_b64 exec, exec, s[6:7]
	s_and_saveexec_b64 s[6:7], s[4:5]
	s_cbranch_execnz .LBB25_1543
	s_branch .LBB25_1544
.LBB25_3593:
	s_movk_i32 s4, 0x80
	v_cmp_eq_u16_sdwa s[12:13], v21, s4 src0_sel:BYTE_0 src1_sel:DWORD
	s_mov_b64 s[4:5], -1
                                        ; implicit-def: $sgpr10
	s_and_saveexec_b64 s[8:9], s[12:13]
; %bb.3594:
	s_mov_b32 s10, 0x7f800001
	s_xor_b64 s[4:5], exec, -1
; %bb.3595:
	s_or_b64 exec, exec, s[8:9]
	s_and_b64 s[4:5], s[4:5], exec
	s_or_saveexec_b64 s[6:7], s[6:7]
	v_mov_b32_e32 v20, s10
	s_xor_b64 exec, exec, s[6:7]
	s_cbranch_execz .LBB25_1546
.LBB25_3596:
	v_mov_b32_e32 v20, 0
	v_cmp_ne_u16_sdwa s[8:9], v21, v20 src0_sel:BYTE_0 src1_sel:DWORD
	s_andn2_b64 s[4:5], s[4:5], exec
	s_and_b64 s[8:9], s[8:9], exec
	s_or_b64 s[4:5], s[4:5], s[8:9]
	s_or_b64 exec, exec, s[6:7]
	s_and_saveexec_b64 s[6:7], s[4:5]
	s_cbranch_execnz .LBB25_1547
	s_branch .LBB25_1548
.LBB25_3597:
	s_movk_i32 s4, 0x80
	v_cmp_eq_u16_sdwa s[12:13], v21, s4 src0_sel:BYTE_0 src1_sel:DWORD
	s_mov_b64 s[4:5], -1
                                        ; implicit-def: $sgpr10
	s_and_saveexec_b64 s[8:9], s[12:13]
; %bb.3598:
	s_mov_b32 s10, 0x7f800001
	s_xor_b64 s[4:5], exec, -1
; %bb.3599:
	s_or_b64 exec, exec, s[8:9]
	s_and_b64 s[4:5], s[4:5], exec
	s_or_saveexec_b64 s[6:7], s[6:7]
	v_mov_b32_e32 v22, s10
	s_xor_b64 exec, exec, s[6:7]
	s_cbranch_execz .LBB25_1550
.LBB25_3600:
	v_mov_b32_e32 v22, 0
	v_cmp_ne_u16_sdwa s[8:9], v21, v22 src0_sel:BYTE_0 src1_sel:DWORD
	s_andn2_b64 s[4:5], s[4:5], exec
	s_and_b64 s[8:9], s[8:9], exec
	s_or_b64 s[4:5], s[4:5], s[8:9]
	s_or_b64 exec, exec, s[6:7]
	s_and_saveexec_b64 s[6:7], s[4:5]
	s_cbranch_execnz .LBB25_1551
	s_branch .LBB25_1552
.LBB25_3601:
	s_movk_i32 s4, 0x80
	v_cmp_eq_u16_e32 vcc, s4, v21
	s_mov_b64 s[4:5], -1
                                        ; implicit-def: $sgpr10
	s_and_saveexec_b64 s[8:9], vcc
; %bb.3602:
	s_mov_b32 s10, 0x7f800001
	s_xor_b64 s[4:5], exec, -1
; %bb.3603:
	s_or_b64 exec, exec, s[8:9]
	s_and_b64 s[4:5], s[4:5], exec
                                        ; implicit-def: $vgpr21
	s_or_saveexec_b64 s[6:7], s[6:7]
	v_mov_b32_e32 v20, s10
	s_xor_b64 exec, exec, s[6:7]
	s_cbranch_execz .LBB25_1554
.LBB25_3604:
	v_cmp_ne_u16_e32 vcc, 0, v21
	s_andn2_b64 s[4:5], s[4:5], exec
	s_and_b64 s[8:9], vcc, exec
	v_mov_b32_e32 v20, 0
	s_or_b64 s[4:5], s[4:5], s[8:9]
	s_or_b64 exec, exec, s[6:7]
	s_and_saveexec_b64 s[6:7], s[4:5]
	s_cbranch_execnz .LBB25_1555
	s_branch .LBB25_1556
.LBB25_3605:
	s_movk_i32 s4, 0x80
	v_cmp_eq_u16_e32 vcc, s4, v21
	s_mov_b64 s[4:5], -1
                                        ; implicit-def: $sgpr10
	s_and_saveexec_b64 s[8:9], vcc
; %bb.3606:
	s_mov_b32 s10, 0x7f800001
	s_xor_b64 s[4:5], exec, -1
; %bb.3607:
	s_or_b64 exec, exec, s[8:9]
	s_and_b64 s[4:5], s[4:5], exec
                                        ; implicit-def: $vgpr21
	s_or_saveexec_b64 s[6:7], s[6:7]
	v_mov_b32_e32 v22, s10
	s_xor_b64 exec, exec, s[6:7]
	s_cbranch_execz .LBB25_1558
.LBB25_3608:
	v_cmp_ne_u16_e32 vcc, 0, v21
	s_andn2_b64 s[4:5], s[4:5], exec
	s_and_b64 s[8:9], vcc, exec
	v_mov_b32_e32 v22, 0
	s_or_b64 s[4:5], s[4:5], s[8:9]
	s_or_b64 exec, exec, s[6:7]
	s_and_saveexec_b64 s[6:7], s[4:5]
	s_cbranch_execnz .LBB25_1559
	s_branch .LBB25_1560
.LBB25_3609:
	s_movk_i32 s4, 0x80
	v_cmp_eq_u16_sdwa s[12:13], v14, s4 src0_sel:BYTE_3 src1_sel:DWORD
	s_mov_b64 s[4:5], -1
                                        ; implicit-def: $sgpr10
	s_and_saveexec_b64 s[8:9], s[12:13]
; %bb.3610:
	s_mov_b32 s10, 0x7f800001
	s_xor_b64 s[4:5], exec, -1
; %bb.3611:
	s_or_b64 exec, exec, s[8:9]
	s_and_b64 s[4:5], s[4:5], exec
	s_or_saveexec_b64 s[6:7], s[6:7]
	v_mov_b32_e32 v20, s10
	s_xor_b64 exec, exec, s[6:7]
	s_cbranch_execz .LBB25_1562
.LBB25_3612:
	v_mov_b32_e32 v20, 0
	v_cmp_ne_u16_sdwa s[8:9], v14, v20 src0_sel:BYTE_3 src1_sel:DWORD
	s_andn2_b64 s[4:5], s[4:5], exec
	s_and_b64 s[8:9], s[8:9], exec
	s_or_b64 s[4:5], s[4:5], s[8:9]
	s_or_b64 exec, exec, s[6:7]
	s_and_saveexec_b64 s[6:7], s[4:5]
	s_cbranch_execnz .LBB25_1563
	s_branch .LBB25_1564
.LBB25_3613:
	s_movk_i32 s4, 0x80
	v_cmp_eq_u16_sdwa s[12:13], v10, s4 src0_sel:BYTE_3 src1_sel:DWORD
	s_mov_b64 s[4:5], -1
                                        ; implicit-def: $sgpr10
	s_and_saveexec_b64 s[8:9], s[12:13]
; %bb.3614:
	s_mov_b32 s10, 0x7f800001
	s_xor_b64 s[4:5], exec, -1
; %bb.3615:
	s_or_b64 exec, exec, s[8:9]
	s_and_b64 s[4:5], s[4:5], exec
	s_or_saveexec_b64 s[6:7], s[6:7]
	v_mov_b32_e32 v14, s10
	s_xor_b64 exec, exec, s[6:7]
	s_cbranch_execz .LBB25_1566
.LBB25_3616:
	v_mov_b32_e32 v14, 0
	v_cmp_ne_u16_sdwa s[8:9], v10, v14 src0_sel:BYTE_3 src1_sel:DWORD
	s_andn2_b64 s[4:5], s[4:5], exec
	s_and_b64 s[8:9], s[8:9], exec
	s_or_b64 s[4:5], s[4:5], s[8:9]
	s_or_b64 exec, exec, s[6:7]
	s_and_saveexec_b64 s[6:7], s[4:5]
	s_cbranch_execnz .LBB25_1567
	s_branch .LBB25_1568
.LBB25_3617:
	s_movk_i32 s4, 0x80
	v_cmp_eq_u16_sdwa s[12:13], v15, s4 src0_sel:BYTE_0 src1_sel:DWORD
	s_mov_b64 s[4:5], -1
                                        ; implicit-def: $sgpr10
	s_and_saveexec_b64 s[8:9], s[12:13]
; %bb.3618:
	s_mov_b32 s10, 0x7f800001
	s_xor_b64 s[4:5], exec, -1
; %bb.3619:
	s_or_b64 exec, exec, s[8:9]
	s_and_b64 s[4:5], s[4:5], exec
	s_or_saveexec_b64 s[6:7], s[6:7]
	v_mov_b32_e32 v10, s10
	s_xor_b64 exec, exec, s[6:7]
	s_cbranch_execz .LBB25_1570
.LBB25_3620:
	v_mov_b32_e32 v10, 0
	v_cmp_ne_u16_sdwa s[8:9], v15, v10 src0_sel:BYTE_0 src1_sel:DWORD
	s_andn2_b64 s[4:5], s[4:5], exec
	s_and_b64 s[8:9], s[8:9], exec
	s_or_b64 s[4:5], s[4:5], s[8:9]
	s_or_b64 exec, exec, s[6:7]
	s_and_saveexec_b64 s[6:7], s[4:5]
	s_cbranch_execnz .LBB25_1571
	s_branch .LBB25_1572
.LBB25_3621:
	s_movk_i32 s4, 0x80
	v_cmp_eq_u16_sdwa s[12:13], v11, s4 src0_sel:BYTE_0 src1_sel:DWORD
	s_mov_b64 s[4:5], -1
                                        ; implicit-def: $sgpr10
	s_and_saveexec_b64 s[8:9], s[12:13]
; %bb.3622:
	s_mov_b32 s10, 0x7f800001
	s_xor_b64 s[4:5], exec, -1
; %bb.3623:
	s_or_b64 exec, exec, s[8:9]
	s_and_b64 s[4:5], s[4:5], exec
	s_or_saveexec_b64 s[6:7], s[6:7]
	v_mov_b32_e32 v14, s10
	s_xor_b64 exec, exec, s[6:7]
	s_cbranch_execz .LBB25_1574
.LBB25_3624:
	v_mov_b32_e32 v14, 0
	v_cmp_ne_u16_sdwa s[8:9], v11, v14 src0_sel:BYTE_0 src1_sel:DWORD
	s_andn2_b64 s[4:5], s[4:5], exec
	s_and_b64 s[8:9], s[8:9], exec
	s_or_b64 s[4:5], s[4:5], s[8:9]
	s_or_b64 exec, exec, s[6:7]
	s_and_saveexec_b64 s[6:7], s[4:5]
	s_cbranch_execnz .LBB25_1575
	s_branch .LBB25_1576
.LBB25_3625:
	s_movk_i32 s4, 0x80
	v_cmp_eq_u16_sdwa s[12:13], v14, s4 src0_sel:BYTE_0 src1_sel:DWORD
	s_mov_b64 s[4:5], -1
                                        ; implicit-def: $sgpr10
	s_and_saveexec_b64 s[8:9], s[12:13]
; %bb.3626:
	s_mov_b32 s10, 0x7f800001
	s_xor_b64 s[4:5], exec, -1
; %bb.3627:
	s_or_b64 exec, exec, s[8:9]
	s_and_b64 s[4:5], s[4:5], exec
	s_or_saveexec_b64 s[6:7], s[6:7]
	v_mov_b32_e32 v10, s10
	s_xor_b64 exec, exec, s[6:7]
	s_cbranch_execz .LBB25_1578
.LBB25_3628:
	v_mov_b32_e32 v10, 0
	v_cmp_ne_u16_sdwa s[8:9], v14, v10 src0_sel:BYTE_0 src1_sel:DWORD
	s_andn2_b64 s[4:5], s[4:5], exec
	s_and_b64 s[8:9], s[8:9], exec
	s_or_b64 s[4:5], s[4:5], s[8:9]
	s_or_b64 exec, exec, s[6:7]
	s_and_saveexec_b64 s[6:7], s[4:5]
	s_cbranch_execnz .LBB25_1579
	s_branch .LBB25_1580
.LBB25_3629:
	s_movk_i32 s4, 0x80
	v_cmp_eq_u16_sdwa s[12:13], v14, s4 src0_sel:BYTE_0 src1_sel:DWORD
	s_mov_b64 s[4:5], -1
                                        ; implicit-def: $sgpr10
	s_and_saveexec_b64 s[8:9], s[12:13]
; %bb.3630:
	s_mov_b32 s10, 0x7f800001
	s_xor_b64 s[4:5], exec, -1
; %bb.3631:
	s_or_b64 exec, exec, s[8:9]
	s_and_b64 s[4:5], s[4:5], exec
	s_or_saveexec_b64 s[6:7], s[6:7]
	v_mov_b32_e32 v20, s10
	s_xor_b64 exec, exec, s[6:7]
	s_cbranch_execz .LBB25_1582
.LBB25_3632:
	v_mov_b32_e32 v20, 0
	v_cmp_ne_u16_sdwa s[8:9], v14, v20 src0_sel:BYTE_0 src1_sel:DWORD
	s_andn2_b64 s[4:5], s[4:5], exec
	s_and_b64 s[8:9], s[8:9], exec
	s_or_b64 s[4:5], s[4:5], s[8:9]
	s_or_b64 exec, exec, s[6:7]
	s_and_saveexec_b64 s[6:7], s[4:5]
	s_cbranch_execnz .LBB25_1583
	s_branch .LBB25_1584
.LBB25_3633:
	s_movk_i32 s4, 0x80
	v_cmp_eq_u16_e32 vcc, s4, v14
	s_mov_b64 s[4:5], -1
                                        ; implicit-def: $sgpr10
	s_and_saveexec_b64 s[8:9], vcc
; %bb.3634:
	s_mov_b32 s10, 0x7f800001
	s_xor_b64 s[4:5], exec, -1
; %bb.3635:
	s_or_b64 exec, exec, s[8:9]
	s_and_b64 s[4:5], s[4:5], exec
                                        ; implicit-def: $vgpr14
	s_or_saveexec_b64 s[6:7], s[6:7]
	v_mov_b32_e32 v10, s10
	s_xor_b64 exec, exec, s[6:7]
	s_cbranch_execz .LBB25_1586
.LBB25_3636:
	v_cmp_ne_u16_e32 vcc, 0, v14
	s_andn2_b64 s[4:5], s[4:5], exec
	s_and_b64 s[8:9], vcc, exec
	v_mov_b32_e32 v10, 0
	s_or_b64 s[4:5], s[4:5], s[8:9]
	s_or_b64 exec, exec, s[6:7]
	s_and_saveexec_b64 s[6:7], s[4:5]
	s_cbranch_execnz .LBB25_1587
	s_branch .LBB25_1588
.LBB25_3637:
	s_movk_i32 s4, 0x80
	v_cmp_eq_u16_e32 vcc, s4, v14
	s_mov_b64 s[4:5], -1
                                        ; implicit-def: $sgpr10
	s_and_saveexec_b64 s[8:9], vcc
; %bb.3638:
	s_mov_b32 s10, 0x7f800001
	s_xor_b64 s[4:5], exec, -1
; %bb.3639:
	s_or_b64 exec, exec, s[8:9]
	s_and_b64 s[4:5], s[4:5], exec
                                        ; implicit-def: $vgpr14
	s_or_saveexec_b64 s[6:7], s[6:7]
	v_mov_b32_e32 v20, s10
	s_xor_b64 exec, exec, s[6:7]
	s_cbranch_execz .LBB25_1590
.LBB25_3640:
	v_cmp_ne_u16_e32 vcc, 0, v14
	s_andn2_b64 s[4:5], s[4:5], exec
	s_and_b64 s[8:9], vcc, exec
	v_mov_b32_e32 v20, 0
	s_or_b64 s[4:5], s[4:5], s[8:9]
	s_or_b64 exec, exec, s[6:7]
	s_and_saveexec_b64 s[6:7], s[4:5]
	s_cbranch_execnz .LBB25_1591
	s_branch .LBB25_1592
.LBB25_3641:
	s_movk_i32 s4, 0x80
	v_cmp_eq_u16_sdwa s[12:13], v15, s4 src0_sel:BYTE_3 src1_sel:DWORD
	s_mov_b64 s[4:5], -1
                                        ; implicit-def: $sgpr10
	s_and_saveexec_b64 s[8:9], s[12:13]
; %bb.3642:
	s_mov_b32 s10, 0x7f800001
	s_xor_b64 s[4:5], exec, -1
; %bb.3643:
	s_or_b64 exec, exec, s[8:9]
	s_and_b64 s[4:5], s[4:5], exec
	s_or_saveexec_b64 s[6:7], s[6:7]
	v_mov_b32_e32 v10, s10
	s_xor_b64 exec, exec, s[6:7]
	s_cbranch_execz .LBB25_1594
.LBB25_3644:
	v_mov_b32_e32 v10, 0
	v_cmp_ne_u16_sdwa s[8:9], v15, v10 src0_sel:BYTE_3 src1_sel:DWORD
	s_andn2_b64 s[4:5], s[4:5], exec
	s_and_b64 s[8:9], s[8:9], exec
	s_or_b64 s[4:5], s[4:5], s[8:9]
	s_or_b64 exec, exec, s[6:7]
	s_and_saveexec_b64 s[6:7], s[4:5]
	s_cbranch_execnz .LBB25_1595
	s_branch .LBB25_1596
.LBB25_3645:
	s_movk_i32 s4, 0x80
	v_cmp_eq_u16_sdwa s[12:13], v11, s4 src0_sel:BYTE_3 src1_sel:DWORD
	s_mov_b64 s[4:5], -1
                                        ; implicit-def: $sgpr10
	s_and_saveexec_b64 s[8:9], s[12:13]
; %bb.3646:
	s_mov_b32 s10, 0x7f800001
	s_xor_b64 s[4:5], exec, -1
; %bb.3647:
	s_or_b64 exec, exec, s[8:9]
	s_and_b64 s[4:5], s[4:5], exec
	s_or_saveexec_b64 s[6:7], s[6:7]
	v_mov_b32_e32 v14, s10
	s_xor_b64 exec, exec, s[6:7]
	s_cbranch_execz .LBB25_1598
.LBB25_3648:
	v_mov_b32_e32 v14, 0
	v_cmp_ne_u16_sdwa s[8:9], v11, v14 src0_sel:BYTE_3 src1_sel:DWORD
	s_andn2_b64 s[4:5], s[4:5], exec
	s_and_b64 s[8:9], s[8:9], exec
	s_or_b64 s[4:5], s[4:5], s[8:9]
	s_or_b64 exec, exec, s[6:7]
	s_and_saveexec_b64 s[6:7], s[4:5]
	s_cbranch_execnz .LBB25_1599
	s_branch .LBB25_1600
.LBB25_3649:
	s_movk_i32 s4, 0x80
	v_cmp_eq_u16_sdwa s[12:13], v16, s4 src0_sel:BYTE_0 src1_sel:DWORD
	s_mov_b64 s[4:5], -1
                                        ; implicit-def: $sgpr10
	s_and_saveexec_b64 s[8:9], s[12:13]
; %bb.3650:
	s_mov_b32 s10, 0x7f800001
	s_xor_b64 s[4:5], exec, -1
; %bb.3651:
	s_or_b64 exec, exec, s[8:9]
	s_and_b64 s[4:5], s[4:5], exec
	s_or_saveexec_b64 s[6:7], s[6:7]
	v_mov_b32_e32 v10, s10
	s_xor_b64 exec, exec, s[6:7]
	s_cbranch_execz .LBB25_1602
.LBB25_3652:
	v_mov_b32_e32 v10, 0
	v_cmp_ne_u16_sdwa s[8:9], v16, v10 src0_sel:BYTE_0 src1_sel:DWORD
	s_andn2_b64 s[4:5], s[4:5], exec
	s_and_b64 s[8:9], s[8:9], exec
	s_or_b64 s[4:5], s[4:5], s[8:9]
	s_or_b64 exec, exec, s[6:7]
	s_and_saveexec_b64 s[6:7], s[4:5]
	s_cbranch_execnz .LBB25_1603
	s_branch .LBB25_1604
.LBB25_3653:
	s_movk_i32 s4, 0x80
	v_cmp_eq_u16_sdwa s[12:13], v12, s4 src0_sel:BYTE_0 src1_sel:DWORD
	s_mov_b64 s[4:5], -1
                                        ; implicit-def: $sgpr10
	s_and_saveexec_b64 s[8:9], s[12:13]
; %bb.3654:
	s_mov_b32 s10, 0x7f800001
	s_xor_b64 s[4:5], exec, -1
; %bb.3655:
	s_or_b64 exec, exec, s[8:9]
	s_and_b64 s[4:5], s[4:5], exec
	s_or_saveexec_b64 s[6:7], s[6:7]
	v_mov_b32_e32 v11, s10
	s_xor_b64 exec, exec, s[6:7]
	s_cbranch_execz .LBB25_1606
.LBB25_3656:
	v_mov_b32_e32 v11, 0
	v_cmp_ne_u16_sdwa s[8:9], v12, v11 src0_sel:BYTE_0 src1_sel:DWORD
	s_andn2_b64 s[4:5], s[4:5], exec
	s_and_b64 s[8:9], s[8:9], exec
	s_or_b64 s[4:5], s[4:5], s[8:9]
	s_or_b64 exec, exec, s[6:7]
	s_and_saveexec_b64 s[6:7], s[4:5]
	s_cbranch_execnz .LBB25_1607
	s_branch .LBB25_1608
.LBB25_3657:
	s_movk_i32 s4, 0x80
	v_cmp_eq_u16_sdwa s[12:13], v11, s4 src0_sel:BYTE_0 src1_sel:DWORD
	s_mov_b64 s[4:5], -1
                                        ; implicit-def: $sgpr10
	s_and_saveexec_b64 s[8:9], s[12:13]
; %bb.3658:
	s_mov_b32 s10, 0x7f800001
	s_xor_b64 s[4:5], exec, -1
; %bb.3659:
	s_or_b64 exec, exec, s[8:9]
	s_and_b64 s[4:5], s[4:5], exec
	s_or_saveexec_b64 s[6:7], s[6:7]
	v_mov_b32_e32 v10, s10
	s_xor_b64 exec, exec, s[6:7]
	s_cbranch_execz .LBB25_1610
.LBB25_3660:
	v_mov_b32_e32 v10, 0
	v_cmp_ne_u16_sdwa s[8:9], v11, v10 src0_sel:BYTE_0 src1_sel:DWORD
	s_andn2_b64 s[4:5], s[4:5], exec
	s_and_b64 s[8:9], s[8:9], exec
	s_or_b64 s[4:5], s[4:5], s[8:9]
	s_or_b64 exec, exec, s[6:7]
	s_and_saveexec_b64 s[6:7], s[4:5]
	s_cbranch_execnz .LBB25_1611
	s_branch .LBB25_1612
.LBB25_3661:
	s_movk_i32 s4, 0x80
	v_cmp_eq_u16_sdwa s[12:13], v11, s4 src0_sel:BYTE_0 src1_sel:DWORD
	s_mov_b64 s[4:5], -1
                                        ; implicit-def: $sgpr10
	s_and_saveexec_b64 s[8:9], s[12:13]
; %bb.3662:
	s_mov_b32 s10, 0x7f800001
	s_xor_b64 s[4:5], exec, -1
; %bb.3663:
	s_or_b64 exec, exec, s[8:9]
	s_and_b64 s[4:5], s[4:5], exec
	s_or_saveexec_b64 s[6:7], s[6:7]
	v_mov_b32_e32 v14, s10
	s_xor_b64 exec, exec, s[6:7]
	s_cbranch_execz .LBB25_1614
.LBB25_3664:
	v_mov_b32_e32 v14, 0
	v_cmp_ne_u16_sdwa s[8:9], v11, v14 src0_sel:BYTE_0 src1_sel:DWORD
	s_andn2_b64 s[4:5], s[4:5], exec
	s_and_b64 s[8:9], s[8:9], exec
	s_or_b64 s[4:5], s[4:5], s[8:9]
	s_or_b64 exec, exec, s[6:7]
	s_and_saveexec_b64 s[6:7], s[4:5]
	s_cbranch_execnz .LBB25_1615
	s_branch .LBB25_1616
.LBB25_3665:
	s_movk_i32 s4, 0x80
	v_cmp_eq_u16_e32 vcc, s4, v11
	s_mov_b64 s[4:5], -1
                                        ; implicit-def: $sgpr10
	s_and_saveexec_b64 s[8:9], vcc
; %bb.3666:
	s_mov_b32 s10, 0x7f800001
	s_xor_b64 s[4:5], exec, -1
; %bb.3667:
	s_or_b64 exec, exec, s[8:9]
	s_and_b64 s[4:5], s[4:5], exec
                                        ; implicit-def: $vgpr11
	s_or_saveexec_b64 s[6:7], s[6:7]
	v_mov_b32_e32 v10, s10
	s_xor_b64 exec, exec, s[6:7]
	s_cbranch_execz .LBB25_1618
.LBB25_3668:
	v_cmp_ne_u16_e32 vcc, 0, v11
	s_andn2_b64 s[4:5], s[4:5], exec
	s_and_b64 s[8:9], vcc, exec
	v_mov_b32_e32 v10, 0
	s_or_b64 s[4:5], s[4:5], s[8:9]
	s_or_b64 exec, exec, s[6:7]
	s_and_saveexec_b64 s[6:7], s[4:5]
	s_cbranch_execnz .LBB25_1619
	s_branch .LBB25_1620
.LBB25_3669:
	s_movk_i32 s4, 0x80
	v_cmp_eq_u16_e32 vcc, s4, v11
	s_mov_b64 s[4:5], -1
                                        ; implicit-def: $sgpr10
	s_and_saveexec_b64 s[8:9], vcc
; %bb.3670:
	s_mov_b32 s10, 0x7f800001
	s_xor_b64 s[4:5], exec, -1
; %bb.3671:
	s_or_b64 exec, exec, s[8:9]
	s_and_b64 s[4:5], s[4:5], exec
                                        ; implicit-def: $vgpr11
	s_or_saveexec_b64 s[6:7], s[6:7]
	v_mov_b32_e32 v14, s10
	s_xor_b64 exec, exec, s[6:7]
	s_cbranch_execz .LBB25_1622
.LBB25_3672:
	v_cmp_ne_u16_e32 vcc, 0, v11
	s_andn2_b64 s[4:5], s[4:5], exec
	s_and_b64 s[8:9], vcc, exec
	v_mov_b32_e32 v14, 0
	s_or_b64 s[4:5], s[4:5], s[8:9]
	s_or_b64 exec, exec, s[6:7]
	s_and_saveexec_b64 s[6:7], s[4:5]
	s_cbranch_execnz .LBB25_1623
	s_branch .LBB25_1624
.LBB25_3673:
	s_movk_i32 s4, 0x80
	v_cmp_eq_u16_sdwa s[12:13], v16, s4 src0_sel:BYTE_3 src1_sel:DWORD
	s_mov_b64 s[4:5], -1
                                        ; implicit-def: $sgpr10
	s_and_saveexec_b64 s[8:9], s[12:13]
; %bb.3674:
	s_mov_b32 s10, 0x7f800001
	s_xor_b64 s[4:5], exec, -1
; %bb.3675:
	s_or_b64 exec, exec, s[8:9]
	s_and_b64 s[4:5], s[4:5], exec
	s_or_saveexec_b64 s[6:7], s[6:7]
	v_mov_b32_e32 v10, s10
	s_xor_b64 exec, exec, s[6:7]
	s_cbranch_execz .LBB25_1626
.LBB25_3676:
	v_mov_b32_e32 v10, 0
	v_cmp_ne_u16_sdwa s[8:9], v16, v10 src0_sel:BYTE_3 src1_sel:DWORD
	s_andn2_b64 s[4:5], s[4:5], exec
	s_and_b64 s[8:9], s[8:9], exec
	s_or_b64 s[4:5], s[4:5], s[8:9]
	s_or_b64 exec, exec, s[6:7]
	s_and_saveexec_b64 s[6:7], s[4:5]
	s_cbranch_execnz .LBB25_1627
	s_branch .LBB25_1628
.LBB25_3677:
	s_movk_i32 s4, 0x80
	v_cmp_eq_u16_sdwa s[12:13], v12, s4 src0_sel:BYTE_3 src1_sel:DWORD
	s_mov_b64 s[4:5], -1
                                        ; implicit-def: $sgpr10
	s_and_saveexec_b64 s[8:9], s[12:13]
; %bb.3678:
	s_mov_b32 s10, 0x7f800001
	s_xor_b64 s[4:5], exec, -1
; %bb.3679:
	s_or_b64 exec, exec, s[8:9]
	s_and_b64 s[4:5], s[4:5], exec
	s_or_saveexec_b64 s[6:7], s[6:7]
	v_mov_b32_e32 v11, s10
	s_xor_b64 exec, exec, s[6:7]
	s_cbranch_execz .LBB25_1630
.LBB25_3680:
	v_mov_b32_e32 v11, 0
	v_cmp_ne_u16_sdwa s[8:9], v12, v11 src0_sel:BYTE_3 src1_sel:DWORD
	s_andn2_b64 s[4:5], s[4:5], exec
	s_and_b64 s[8:9], s[8:9], exec
	s_or_b64 s[4:5], s[4:5], s[8:9]
	s_or_b64 exec, exec, s[6:7]
	s_and_saveexec_b64 s[6:7], s[4:5]
	s_cbranch_execnz .LBB25_1631
	s_branch .LBB25_1632
.LBB25_3681:
	s_movk_i32 s4, 0x80
	v_cmp_eq_u16_sdwa s[12:13], v17, s4 src0_sel:BYTE_0 src1_sel:DWORD
	s_mov_b64 s[4:5], -1
                                        ; implicit-def: $sgpr10
	s_and_saveexec_b64 s[8:9], s[12:13]
; %bb.3682:
	s_mov_b32 s10, 0x7f800001
	s_xor_b64 s[4:5], exec, -1
; %bb.3683:
	s_or_b64 exec, exec, s[8:9]
	s_and_b64 s[4:5], s[4:5], exec
	s_or_saveexec_b64 s[6:7], s[6:7]
	v_mov_b32_e32 v10, s10
	s_xor_b64 exec, exec, s[6:7]
	s_cbranch_execz .LBB25_1634
.LBB25_3684:
	v_mov_b32_e32 v10, 0
	v_cmp_ne_u16_sdwa s[8:9], v17, v10 src0_sel:BYTE_0 src1_sel:DWORD
	s_andn2_b64 s[4:5], s[4:5], exec
	s_and_b64 s[8:9], s[8:9], exec
	s_or_b64 s[4:5], s[4:5], s[8:9]
	s_or_b64 exec, exec, s[6:7]
	s_and_saveexec_b64 s[6:7], s[4:5]
	s_cbranch_execnz .LBB25_1635
	s_branch .LBB25_1636
.LBB25_3685:
	s_movk_i32 s4, 0x80
	v_cmp_eq_u16_sdwa s[12:13], v13, s4 src0_sel:BYTE_0 src1_sel:DWORD
	s_mov_b64 s[4:5], -1
                                        ; implicit-def: $sgpr10
	s_and_saveexec_b64 s[8:9], s[12:13]
; %bb.3686:
	s_mov_b32 s10, 0x7f800001
	s_xor_b64 s[4:5], exec, -1
; %bb.3687:
	s_or_b64 exec, exec, s[8:9]
	s_and_b64 s[4:5], s[4:5], exec
	s_or_saveexec_b64 s[6:7], s[6:7]
	v_mov_b32_e32 v11, s10
	s_xor_b64 exec, exec, s[6:7]
	s_cbranch_execz .LBB25_1638
.LBB25_3688:
	v_mov_b32_e32 v11, 0
	v_cmp_ne_u16_sdwa s[8:9], v13, v11 src0_sel:BYTE_0 src1_sel:DWORD
	s_andn2_b64 s[4:5], s[4:5], exec
	s_and_b64 s[8:9], s[8:9], exec
	s_or_b64 s[4:5], s[4:5], s[8:9]
	s_or_b64 exec, exec, s[6:7]
	s_and_saveexec_b64 s[6:7], s[4:5]
	s_cbranch_execnz .LBB25_1639
	s_branch .LBB25_1640
.LBB25_3689:
	s_movk_i32 s4, 0x80
	v_cmp_eq_u16_sdwa s[12:13], v11, s4 src0_sel:BYTE_0 src1_sel:DWORD
	s_mov_b64 s[4:5], -1
                                        ; implicit-def: $sgpr10
	s_and_saveexec_b64 s[8:9], s[12:13]
; %bb.3690:
	s_mov_b32 s10, 0x7f800001
	s_xor_b64 s[4:5], exec, -1
; %bb.3691:
	s_or_b64 exec, exec, s[8:9]
	s_and_b64 s[4:5], s[4:5], exec
	s_or_saveexec_b64 s[6:7], s[6:7]
	v_mov_b32_e32 v10, s10
	s_xor_b64 exec, exec, s[6:7]
	s_cbranch_execz .LBB25_1642
.LBB25_3692:
	v_mov_b32_e32 v10, 0
	v_cmp_ne_u16_sdwa s[8:9], v11, v10 src0_sel:BYTE_0 src1_sel:DWORD
	s_andn2_b64 s[4:5], s[4:5], exec
	s_and_b64 s[8:9], s[8:9], exec
	s_or_b64 s[4:5], s[4:5], s[8:9]
	s_or_b64 exec, exec, s[6:7]
	s_and_saveexec_b64 s[6:7], s[4:5]
	s_cbranch_execnz .LBB25_1643
	s_branch .LBB25_1644
.LBB25_3693:
	s_movk_i32 s4, 0x80
	v_cmp_eq_u16_sdwa s[12:13], v11, s4 src0_sel:BYTE_0 src1_sel:DWORD
	s_mov_b64 s[4:5], -1
                                        ; implicit-def: $sgpr10
	s_and_saveexec_b64 s[8:9], s[12:13]
; %bb.3694:
	s_mov_b32 s10, 0x7f800001
	s_xor_b64 s[4:5], exec, -1
; %bb.3695:
	s_or_b64 exec, exec, s[8:9]
	s_and_b64 s[4:5], s[4:5], exec
	s_or_saveexec_b64 s[6:7], s[6:7]
	v_mov_b32_e32 v12, s10
	s_xor_b64 exec, exec, s[6:7]
	s_cbranch_execz .LBB25_1646
.LBB25_3696:
	v_mov_b32_e32 v12, 0
	v_cmp_ne_u16_sdwa s[8:9], v11, v12 src0_sel:BYTE_0 src1_sel:DWORD
	s_andn2_b64 s[4:5], s[4:5], exec
	s_and_b64 s[8:9], s[8:9], exec
	s_or_b64 s[4:5], s[4:5], s[8:9]
	s_or_b64 exec, exec, s[6:7]
	s_and_saveexec_b64 s[6:7], s[4:5]
	s_cbranch_execnz .LBB25_1647
	s_branch .LBB25_1648
.LBB25_3697:
	s_movk_i32 s4, 0x80
	v_cmp_eq_u16_e32 vcc, s4, v11
	s_mov_b64 s[4:5], -1
                                        ; implicit-def: $sgpr10
	s_and_saveexec_b64 s[8:9], vcc
; %bb.3698:
	s_mov_b32 s10, 0x7f800001
	s_xor_b64 s[4:5], exec, -1
; %bb.3699:
	s_or_b64 exec, exec, s[8:9]
	s_and_b64 s[4:5], s[4:5], exec
                                        ; implicit-def: $vgpr11
	s_or_saveexec_b64 s[6:7], s[6:7]
	v_mov_b32_e32 v10, s10
	s_xor_b64 exec, exec, s[6:7]
	s_cbranch_execz .LBB25_1650
.LBB25_3700:
	v_cmp_ne_u16_e32 vcc, 0, v11
	s_andn2_b64 s[4:5], s[4:5], exec
	s_and_b64 s[8:9], vcc, exec
	v_mov_b32_e32 v10, 0
	s_or_b64 s[4:5], s[4:5], s[8:9]
	s_or_b64 exec, exec, s[6:7]
	s_and_saveexec_b64 s[6:7], s[4:5]
	s_cbranch_execnz .LBB25_1651
	s_branch .LBB25_1652
.LBB25_3701:
	s_movk_i32 s4, 0x80
	v_cmp_eq_u16_e32 vcc, s4, v11
	s_mov_b64 s[4:5], -1
                                        ; implicit-def: $sgpr10
	s_and_saveexec_b64 s[8:9], vcc
; %bb.3702:
	s_mov_b32 s10, 0x7f800001
	s_xor_b64 s[4:5], exec, -1
; %bb.3703:
	s_or_b64 exec, exec, s[8:9]
	s_and_b64 s[4:5], s[4:5], exec
                                        ; implicit-def: $vgpr11
	s_or_saveexec_b64 s[6:7], s[6:7]
	v_mov_b32_e32 v12, s10
	s_xor_b64 exec, exec, s[6:7]
	s_cbranch_execz .LBB25_1654
.LBB25_3704:
	v_cmp_ne_u16_e32 vcc, 0, v11
	s_andn2_b64 s[4:5], s[4:5], exec
	s_and_b64 s[8:9], vcc, exec
	v_mov_b32_e32 v12, 0
	s_or_b64 s[4:5], s[4:5], s[8:9]
	s_or_b64 exec, exec, s[6:7]
	s_and_saveexec_b64 s[6:7], s[4:5]
	s_cbranch_execnz .LBB25_1655
	s_branch .LBB25_1656
.LBB25_3705:
	s_movk_i32 s4, 0x80
	v_cmp_eq_u16_sdwa s[12:13], v17, s4 src0_sel:BYTE_3 src1_sel:DWORD
	s_mov_b64 s[4:5], -1
                                        ; implicit-def: $sgpr10
	s_and_saveexec_b64 s[8:9], s[12:13]
; %bb.3706:
	s_mov_b32 s10, 0x7f800001
	s_xor_b64 s[4:5], exec, -1
; %bb.3707:
	s_or_b64 exec, exec, s[8:9]
	s_and_b64 s[4:5], s[4:5], exec
	s_or_saveexec_b64 s[6:7], s[6:7]
	v_mov_b32_e32 v10, s10
	s_xor_b64 exec, exec, s[6:7]
	s_cbranch_execz .LBB25_1658
.LBB25_3708:
	v_mov_b32_e32 v10, 0
	v_cmp_ne_u16_sdwa s[8:9], v17, v10 src0_sel:BYTE_3 src1_sel:DWORD
	s_andn2_b64 s[4:5], s[4:5], exec
	s_and_b64 s[8:9], s[8:9], exec
	s_or_b64 s[4:5], s[4:5], s[8:9]
	s_or_b64 exec, exec, s[6:7]
	s_and_saveexec_b64 s[6:7], s[4:5]
	s_cbranch_execnz .LBB25_1659
	s_branch .LBB25_1660
.LBB25_3709:
	s_movk_i32 s4, 0x80
	v_cmp_eq_u16_sdwa s[12:13], v13, s4 src0_sel:BYTE_3 src1_sel:DWORD
	s_mov_b64 s[4:5], -1
                                        ; implicit-def: $sgpr10
	s_and_saveexec_b64 s[8:9], s[12:13]
; %bb.3710:
	s_mov_b32 s10, 0x7f800001
	s_xor_b64 s[4:5], exec, -1
; %bb.3711:
	s_or_b64 exec, exec, s[8:9]
	s_and_b64 s[4:5], s[4:5], exec
	s_or_saveexec_b64 s[6:7], s[6:7]
	v_mov_b32_e32 v11, s10
	s_xor_b64 exec, exec, s[6:7]
	s_cbranch_execz .LBB25_1662
.LBB25_3712:
	v_mov_b32_e32 v11, 0
	v_cmp_ne_u16_sdwa s[8:9], v13, v11 src0_sel:BYTE_3 src1_sel:DWORD
	s_andn2_b64 s[4:5], s[4:5], exec
	s_and_b64 s[8:9], s[8:9], exec
	s_or_b64 s[4:5], s[4:5], s[8:9]
	s_or_b64 exec, exec, s[6:7]
	s_and_saveexec_b64 s[6:7], s[4:5]
	s_cbranch_execnz .LBB25_1663
	s_branch .LBB25_1664
.LBB25_3713:
	s_movk_i32 s4, 0x80
	v_cmp_eq_u16_sdwa s[12:13], v6, s4 src0_sel:BYTE_0 src1_sel:DWORD
	s_mov_b64 s[4:5], -1
                                        ; implicit-def: $sgpr10
	s_and_saveexec_b64 s[8:9], s[12:13]
; %bb.3714:
	s_mov_b32 s10, 0x7f800001
	s_xor_b64 s[4:5], exec, -1
; %bb.3715:
	s_or_b64 exec, exec, s[8:9]
	s_and_b64 s[4:5], s[4:5], exec
	s_or_saveexec_b64 s[6:7], s[6:7]
	v_mov_b32_e32 v10, s10
	s_xor_b64 exec, exec, s[6:7]
	s_cbranch_execz .LBB25_1666
.LBB25_3716:
	v_mov_b32_e32 v10, 0
	v_cmp_ne_u16_sdwa s[8:9], v6, v10 src0_sel:BYTE_0 src1_sel:DWORD
	s_andn2_b64 s[4:5], s[4:5], exec
	s_and_b64 s[8:9], s[8:9], exec
	s_or_b64 s[4:5], s[4:5], s[8:9]
	s_or_b64 exec, exec, s[6:7]
	s_and_saveexec_b64 s[6:7], s[4:5]
	s_cbranch_execnz .LBB25_1667
	s_branch .LBB25_1668
.LBB25_3717:
	s_movk_i32 s4, 0x80
	v_cmp_eq_u16_sdwa s[12:13], v2, s4 src0_sel:BYTE_0 src1_sel:DWORD
	s_mov_b64 s[4:5], -1
                                        ; implicit-def: $sgpr10
	s_and_saveexec_b64 s[8:9], s[12:13]
; %bb.3718:
	s_mov_b32 s10, 0x7f800001
	s_xor_b64 s[4:5], exec, -1
; %bb.3719:
	s_or_b64 exec, exec, s[8:9]
	s_and_b64 s[4:5], s[4:5], exec
	s_or_saveexec_b64 s[6:7], s[6:7]
	v_mov_b32_e32 v11, s10
	s_xor_b64 exec, exec, s[6:7]
	s_cbranch_execz .LBB25_1670
.LBB25_3720:
	v_mov_b32_e32 v11, 0
	v_cmp_ne_u16_sdwa s[8:9], v2, v11 src0_sel:BYTE_0 src1_sel:DWORD
	s_andn2_b64 s[4:5], s[4:5], exec
	s_and_b64 s[8:9], s[8:9], exec
	s_or_b64 s[4:5], s[4:5], s[8:9]
	s_or_b64 exec, exec, s[6:7]
	s_and_saveexec_b64 s[6:7], s[4:5]
	s_cbranch_execnz .LBB25_1671
	s_branch .LBB25_1672
.LBB25_3721:
	s_movk_i32 s4, 0x80
	v_cmp_eq_u16_sdwa s[12:13], v11, s4 src0_sel:BYTE_0 src1_sel:DWORD
	s_mov_b64 s[4:5], -1
                                        ; implicit-def: $sgpr10
	s_and_saveexec_b64 s[8:9], s[12:13]
; %bb.3722:
	s_mov_b32 s10, 0x7f800001
	s_xor_b64 s[4:5], exec, -1
; %bb.3723:
	s_or_b64 exec, exec, s[8:9]
	s_and_b64 s[4:5], s[4:5], exec
	s_or_saveexec_b64 s[6:7], s[6:7]
	v_mov_b32_e32 v10, s10
	s_xor_b64 exec, exec, s[6:7]
	s_cbranch_execz .LBB25_1674
.LBB25_3724:
	v_mov_b32_e32 v10, 0
	v_cmp_ne_u16_sdwa s[8:9], v11, v10 src0_sel:BYTE_0 src1_sel:DWORD
	s_andn2_b64 s[4:5], s[4:5], exec
	s_and_b64 s[8:9], s[8:9], exec
	s_or_b64 s[4:5], s[4:5], s[8:9]
	s_or_b64 exec, exec, s[6:7]
	s_and_saveexec_b64 s[6:7], s[4:5]
	s_cbranch_execnz .LBB25_1675
	s_branch .LBB25_1676
.LBB25_3725:
	s_movk_i32 s4, 0x80
	v_cmp_eq_u16_sdwa s[12:13], v11, s4 src0_sel:BYTE_0 src1_sel:DWORD
	s_mov_b64 s[4:5], -1
                                        ; implicit-def: $sgpr10
	s_and_saveexec_b64 s[8:9], s[12:13]
; %bb.3726:
	s_mov_b32 s10, 0x7f800001
	s_xor_b64 s[4:5], exec, -1
; %bb.3727:
	s_or_b64 exec, exec, s[8:9]
	s_and_b64 s[4:5], s[4:5], exec
	s_or_saveexec_b64 s[6:7], s[6:7]
	v_mov_b32_e32 v12, s10
	s_xor_b64 exec, exec, s[6:7]
	s_cbranch_execz .LBB25_1678
.LBB25_3728:
	v_mov_b32_e32 v12, 0
	v_cmp_ne_u16_sdwa s[8:9], v11, v12 src0_sel:BYTE_0 src1_sel:DWORD
	s_andn2_b64 s[4:5], s[4:5], exec
	s_and_b64 s[8:9], s[8:9], exec
	s_or_b64 s[4:5], s[4:5], s[8:9]
	s_or_b64 exec, exec, s[6:7]
	s_and_saveexec_b64 s[6:7], s[4:5]
	s_cbranch_execnz .LBB25_1679
	s_branch .LBB25_1680
.LBB25_3729:
	s_movk_i32 s4, 0x80
	v_cmp_eq_u16_e32 vcc, s4, v11
	s_mov_b64 s[4:5], -1
                                        ; implicit-def: $sgpr10
	s_and_saveexec_b64 s[8:9], vcc
; %bb.3730:
	s_mov_b32 s10, 0x7f800001
	s_xor_b64 s[4:5], exec, -1
; %bb.3731:
	s_or_b64 exec, exec, s[8:9]
	s_and_b64 s[4:5], s[4:5], exec
                                        ; implicit-def: $vgpr11
	s_or_saveexec_b64 s[6:7], s[6:7]
	v_mov_b32_e32 v10, s10
	s_xor_b64 exec, exec, s[6:7]
	s_cbranch_execz .LBB25_1682
.LBB25_3732:
	v_cmp_ne_u16_e32 vcc, 0, v11
	s_andn2_b64 s[4:5], s[4:5], exec
	s_and_b64 s[8:9], vcc, exec
	v_mov_b32_e32 v10, 0
	s_or_b64 s[4:5], s[4:5], s[8:9]
	s_or_b64 exec, exec, s[6:7]
	s_and_saveexec_b64 s[6:7], s[4:5]
	s_cbranch_execnz .LBB25_1683
	s_branch .LBB25_1684
.LBB25_3733:
	s_movk_i32 s4, 0x80
	v_cmp_eq_u16_e32 vcc, s4, v11
	s_mov_b64 s[4:5], -1
                                        ; implicit-def: $sgpr10
	s_and_saveexec_b64 s[8:9], vcc
; %bb.3734:
	s_mov_b32 s10, 0x7f800001
	s_xor_b64 s[4:5], exec, -1
; %bb.3735:
	s_or_b64 exec, exec, s[8:9]
	s_and_b64 s[4:5], s[4:5], exec
                                        ; implicit-def: $vgpr11
	s_or_saveexec_b64 s[6:7], s[6:7]
	v_mov_b32_e32 v12, s10
	s_xor_b64 exec, exec, s[6:7]
	s_cbranch_execz .LBB25_1686
.LBB25_3736:
	v_cmp_ne_u16_e32 vcc, 0, v11
	s_andn2_b64 s[4:5], s[4:5], exec
	s_and_b64 s[8:9], vcc, exec
	v_mov_b32_e32 v12, 0
	s_or_b64 s[4:5], s[4:5], s[8:9]
	s_or_b64 exec, exec, s[6:7]
	s_and_saveexec_b64 s[6:7], s[4:5]
	s_cbranch_execnz .LBB25_1687
	s_branch .LBB25_1688
.LBB25_3737:
	s_movk_i32 s4, 0x80
	v_cmp_eq_u16_sdwa s[12:13], v6, s4 src0_sel:BYTE_3 src1_sel:DWORD
	s_mov_b64 s[4:5], -1
                                        ; implicit-def: $sgpr10
	s_and_saveexec_b64 s[8:9], s[12:13]
; %bb.3738:
	s_mov_b32 s10, 0x7f800001
	s_xor_b64 s[4:5], exec, -1
; %bb.3739:
	s_or_b64 exec, exec, s[8:9]
	s_and_b64 s[4:5], s[4:5], exec
	s_or_saveexec_b64 s[6:7], s[6:7]
	v_mov_b32_e32 v10, s10
	s_xor_b64 exec, exec, s[6:7]
	s_cbranch_execz .LBB25_1690
.LBB25_3740:
	v_mov_b32_e32 v10, 0
	v_cmp_ne_u16_sdwa s[8:9], v6, v10 src0_sel:BYTE_3 src1_sel:DWORD
	s_andn2_b64 s[4:5], s[4:5], exec
	s_and_b64 s[8:9], s[8:9], exec
	s_or_b64 s[4:5], s[4:5], s[8:9]
	s_or_b64 exec, exec, s[6:7]
	s_and_saveexec_b64 s[6:7], s[4:5]
	s_cbranch_execnz .LBB25_1691
	s_branch .LBB25_1692
.LBB25_3741:
	s_movk_i32 s4, 0x80
	v_cmp_eq_u16_sdwa s[12:13], v2, s4 src0_sel:BYTE_3 src1_sel:DWORD
	s_mov_b64 s[4:5], -1
                                        ; implicit-def: $sgpr10
	s_and_saveexec_b64 s[8:9], s[12:13]
; %bb.3742:
	s_mov_b32 s10, 0x7f800001
	s_xor_b64 s[4:5], exec, -1
; %bb.3743:
	s_or_b64 exec, exec, s[8:9]
	s_and_b64 s[4:5], s[4:5], exec
	s_or_saveexec_b64 s[6:7], s[6:7]
	v_mov_b32_e32 v6, s10
	s_xor_b64 exec, exec, s[6:7]
	s_cbranch_execz .LBB25_1694
.LBB25_3744:
	v_mov_b32_e32 v6, 0
	v_cmp_ne_u16_sdwa s[8:9], v2, v6 src0_sel:BYTE_3 src1_sel:DWORD
	s_andn2_b64 s[4:5], s[4:5], exec
	s_and_b64 s[8:9], s[8:9], exec
	s_or_b64 s[4:5], s[4:5], s[8:9]
	s_or_b64 exec, exec, s[6:7]
	s_and_saveexec_b64 s[6:7], s[4:5]
	s_cbranch_execnz .LBB25_1695
	s_branch .LBB25_1696
.LBB25_3745:
	s_movk_i32 s4, 0x80
	v_cmp_eq_u16_sdwa s[12:13], v7, s4 src0_sel:BYTE_0 src1_sel:DWORD
	s_mov_b64 s[4:5], -1
                                        ; implicit-def: $sgpr10
	s_and_saveexec_b64 s[8:9], s[12:13]
; %bb.3746:
	s_mov_b32 s10, 0x7f800001
	s_xor_b64 s[4:5], exec, -1
; %bb.3747:
	s_or_b64 exec, exec, s[8:9]
	s_and_b64 s[4:5], s[4:5], exec
	s_or_saveexec_b64 s[6:7], s[6:7]
	v_mov_b32_e32 v2, s10
	s_xor_b64 exec, exec, s[6:7]
	s_cbranch_execz .LBB25_1698
.LBB25_3748:
	v_mov_b32_e32 v2, 0
	v_cmp_ne_u16_sdwa s[8:9], v7, v2 src0_sel:BYTE_0 src1_sel:DWORD
	s_andn2_b64 s[4:5], s[4:5], exec
	s_and_b64 s[8:9], s[8:9], exec
	s_or_b64 s[4:5], s[4:5], s[8:9]
	s_or_b64 exec, exec, s[6:7]
	s_and_saveexec_b64 s[6:7], s[4:5]
	s_cbranch_execnz .LBB25_1699
	s_branch .LBB25_1700
.LBB25_3749:
	s_movk_i32 s4, 0x80
	v_cmp_eq_u16_sdwa s[12:13], v3, s4 src0_sel:BYTE_0 src1_sel:DWORD
	s_mov_b64 s[4:5], -1
                                        ; implicit-def: $sgpr10
	s_and_saveexec_b64 s[8:9], s[12:13]
; %bb.3750:
	s_mov_b32 s10, 0x7f800001
	s_xor_b64 s[4:5], exec, -1
; %bb.3751:
	s_or_b64 exec, exec, s[8:9]
	s_and_b64 s[4:5], s[4:5], exec
	s_or_saveexec_b64 s[6:7], s[6:7]
	v_mov_b32_e32 v6, s10
	s_xor_b64 exec, exec, s[6:7]
	s_cbranch_execz .LBB25_1702
.LBB25_3752:
	v_mov_b32_e32 v6, 0
	v_cmp_ne_u16_sdwa s[8:9], v3, v6 src0_sel:BYTE_0 src1_sel:DWORD
	s_andn2_b64 s[4:5], s[4:5], exec
	s_and_b64 s[8:9], s[8:9], exec
	s_or_b64 s[4:5], s[4:5], s[8:9]
	s_or_b64 exec, exec, s[6:7]
	s_and_saveexec_b64 s[6:7], s[4:5]
	s_cbranch_execnz .LBB25_1703
	s_branch .LBB25_1704
.LBB25_3753:
	s_movk_i32 s4, 0x80
	v_cmp_eq_u16_sdwa s[12:13], v6, s4 src0_sel:BYTE_0 src1_sel:DWORD
	s_mov_b64 s[4:5], -1
                                        ; implicit-def: $sgpr10
	s_and_saveexec_b64 s[8:9], s[12:13]
; %bb.3754:
	s_mov_b32 s10, 0x7f800001
	s_xor_b64 s[4:5], exec, -1
; %bb.3755:
	s_or_b64 exec, exec, s[8:9]
	s_and_b64 s[4:5], s[4:5], exec
	s_or_saveexec_b64 s[6:7], s[6:7]
	v_mov_b32_e32 v2, s10
	s_xor_b64 exec, exec, s[6:7]
	s_cbranch_execz .LBB25_1706
.LBB25_3756:
	v_mov_b32_e32 v2, 0
	v_cmp_ne_u16_sdwa s[8:9], v6, v2 src0_sel:BYTE_0 src1_sel:DWORD
	s_andn2_b64 s[4:5], s[4:5], exec
	s_and_b64 s[8:9], s[8:9], exec
	s_or_b64 s[4:5], s[4:5], s[8:9]
	s_or_b64 exec, exec, s[6:7]
	s_and_saveexec_b64 s[6:7], s[4:5]
	s_cbranch_execnz .LBB25_1707
	s_branch .LBB25_1708
.LBB25_3757:
	s_movk_i32 s4, 0x80
	v_cmp_eq_u16_sdwa s[12:13], v6, s4 src0_sel:BYTE_0 src1_sel:DWORD
	s_mov_b64 s[4:5], -1
                                        ; implicit-def: $sgpr10
	s_and_saveexec_b64 s[8:9], s[12:13]
; %bb.3758:
	s_mov_b32 s10, 0x7f800001
	s_xor_b64 s[4:5], exec, -1
; %bb.3759:
	s_or_b64 exec, exec, s[8:9]
	s_and_b64 s[4:5], s[4:5], exec
	s_or_saveexec_b64 s[6:7], s[6:7]
	v_mov_b32_e32 v10, s10
	s_xor_b64 exec, exec, s[6:7]
	s_cbranch_execz .LBB25_1710
.LBB25_3760:
	v_mov_b32_e32 v10, 0
	v_cmp_ne_u16_sdwa s[8:9], v6, v10 src0_sel:BYTE_0 src1_sel:DWORD
	s_andn2_b64 s[4:5], s[4:5], exec
	s_and_b64 s[8:9], s[8:9], exec
	s_or_b64 s[4:5], s[4:5], s[8:9]
	s_or_b64 exec, exec, s[6:7]
	s_and_saveexec_b64 s[6:7], s[4:5]
	s_cbranch_execnz .LBB25_1711
	s_branch .LBB25_1712
.LBB25_3761:
	s_movk_i32 s4, 0x80
	v_cmp_eq_u16_e32 vcc, s4, v6
	s_mov_b64 s[4:5], -1
                                        ; implicit-def: $sgpr10
	s_and_saveexec_b64 s[8:9], vcc
; %bb.3762:
	s_mov_b32 s10, 0x7f800001
	s_xor_b64 s[4:5], exec, -1
; %bb.3763:
	s_or_b64 exec, exec, s[8:9]
	s_and_b64 s[4:5], s[4:5], exec
                                        ; implicit-def: $vgpr6
	s_or_saveexec_b64 s[6:7], s[6:7]
	v_mov_b32_e32 v2, s10
	s_xor_b64 exec, exec, s[6:7]
	s_cbranch_execz .LBB25_1714
.LBB25_3764:
	v_cmp_ne_u16_e32 vcc, 0, v6
	s_andn2_b64 s[4:5], s[4:5], exec
	s_and_b64 s[8:9], vcc, exec
	v_mov_b32_e32 v2, 0
	s_or_b64 s[4:5], s[4:5], s[8:9]
	s_or_b64 exec, exec, s[6:7]
	s_and_saveexec_b64 s[6:7], s[4:5]
	s_cbranch_execnz .LBB25_1715
	s_branch .LBB25_1716
.LBB25_3765:
	s_movk_i32 s4, 0x80
	v_cmp_eq_u16_e32 vcc, s4, v6
	s_mov_b64 s[4:5], -1
                                        ; implicit-def: $sgpr10
	s_and_saveexec_b64 s[8:9], vcc
; %bb.3766:
	s_mov_b32 s10, 0x7f800001
	s_xor_b64 s[4:5], exec, -1
; %bb.3767:
	s_or_b64 exec, exec, s[8:9]
	s_and_b64 s[4:5], s[4:5], exec
                                        ; implicit-def: $vgpr6
	s_or_saveexec_b64 s[6:7], s[6:7]
	v_mov_b32_e32 v10, s10
	s_xor_b64 exec, exec, s[6:7]
	s_cbranch_execz .LBB25_1718
.LBB25_3768:
	v_cmp_ne_u16_e32 vcc, 0, v6
	s_andn2_b64 s[4:5], s[4:5], exec
	s_and_b64 s[8:9], vcc, exec
	v_mov_b32_e32 v10, 0
	s_or_b64 s[4:5], s[4:5], s[8:9]
	s_or_b64 exec, exec, s[6:7]
	s_and_saveexec_b64 s[6:7], s[4:5]
	s_cbranch_execnz .LBB25_1719
	s_branch .LBB25_1720
.LBB25_3769:
	s_movk_i32 s4, 0x80
	v_cmp_eq_u16_sdwa s[12:13], v7, s4 src0_sel:BYTE_3 src1_sel:DWORD
	s_mov_b64 s[4:5], -1
                                        ; implicit-def: $sgpr10
	s_and_saveexec_b64 s[8:9], s[12:13]
; %bb.3770:
	s_mov_b32 s10, 0x7f800001
	s_xor_b64 s[4:5], exec, -1
; %bb.3771:
	s_or_b64 exec, exec, s[8:9]
	s_and_b64 s[4:5], s[4:5], exec
	s_or_saveexec_b64 s[6:7], s[6:7]
	v_mov_b32_e32 v2, s10
	s_xor_b64 exec, exec, s[6:7]
	s_cbranch_execz .LBB25_1722
.LBB25_3772:
	v_mov_b32_e32 v2, 0
	v_cmp_ne_u16_sdwa s[8:9], v7, v2 src0_sel:BYTE_3 src1_sel:DWORD
	s_andn2_b64 s[4:5], s[4:5], exec
	s_and_b64 s[8:9], s[8:9], exec
	s_or_b64 s[4:5], s[4:5], s[8:9]
	s_or_b64 exec, exec, s[6:7]
	s_and_saveexec_b64 s[6:7], s[4:5]
	s_cbranch_execnz .LBB25_1723
	s_branch .LBB25_1724
.LBB25_3773:
	s_movk_i32 s4, 0x80
	v_cmp_eq_u16_sdwa s[12:13], v3, s4 src0_sel:BYTE_3 src1_sel:DWORD
	s_mov_b64 s[4:5], -1
                                        ; implicit-def: $sgpr10
	s_and_saveexec_b64 s[8:9], s[12:13]
; %bb.3774:
	s_mov_b32 s10, 0x7f800001
	s_xor_b64 s[4:5], exec, -1
; %bb.3775:
	s_or_b64 exec, exec, s[8:9]
	s_and_b64 s[4:5], s[4:5], exec
	s_or_saveexec_b64 s[6:7], s[6:7]
	v_mov_b32_e32 v6, s10
	s_xor_b64 exec, exec, s[6:7]
	s_cbranch_execz .LBB25_1726
.LBB25_3776:
	v_mov_b32_e32 v6, 0
	v_cmp_ne_u16_sdwa s[8:9], v3, v6 src0_sel:BYTE_3 src1_sel:DWORD
	s_andn2_b64 s[4:5], s[4:5], exec
	s_and_b64 s[8:9], s[8:9], exec
	s_or_b64 s[4:5], s[4:5], s[8:9]
	s_or_b64 exec, exec, s[6:7]
	s_and_saveexec_b64 s[6:7], s[4:5]
	s_cbranch_execnz .LBB25_1727
	s_branch .LBB25_1728
.LBB25_3777:
	s_movk_i32 s4, 0x80
	v_cmp_eq_u16_sdwa s[12:13], v8, s4 src0_sel:BYTE_0 src1_sel:DWORD
	s_mov_b64 s[4:5], -1
                                        ; implicit-def: $sgpr10
	s_and_saveexec_b64 s[8:9], s[12:13]
; %bb.3778:
	s_mov_b32 s10, 0x7f800001
	s_xor_b64 s[4:5], exec, -1
; %bb.3779:
	s_or_b64 exec, exec, s[8:9]
	s_and_b64 s[4:5], s[4:5], exec
	s_or_saveexec_b64 s[6:7], s[6:7]
	v_mov_b32_e32 v2, s10
	s_xor_b64 exec, exec, s[6:7]
	s_cbranch_execz .LBB25_1730
.LBB25_3780:
	v_mov_b32_e32 v2, 0
	v_cmp_ne_u16_sdwa s[8:9], v8, v2 src0_sel:BYTE_0 src1_sel:DWORD
	s_andn2_b64 s[4:5], s[4:5], exec
	s_and_b64 s[8:9], s[8:9], exec
	s_or_b64 s[4:5], s[4:5], s[8:9]
	s_or_b64 exec, exec, s[6:7]
	s_and_saveexec_b64 s[6:7], s[4:5]
	s_cbranch_execnz .LBB25_1731
	s_branch .LBB25_1732
.LBB25_3781:
	s_movk_i32 s4, 0x80
	v_cmp_eq_u16_sdwa s[12:13], v4, s4 src0_sel:BYTE_0 src1_sel:DWORD
	s_mov_b64 s[4:5], -1
                                        ; implicit-def: $sgpr10
	s_and_saveexec_b64 s[8:9], s[12:13]
; %bb.3782:
	s_mov_b32 s10, 0x7f800001
	s_xor_b64 s[4:5], exec, -1
; %bb.3783:
	s_or_b64 exec, exec, s[8:9]
	s_and_b64 s[4:5], s[4:5], exec
	s_or_saveexec_b64 s[6:7], s[6:7]
	v_mov_b32_e32 v3, s10
	s_xor_b64 exec, exec, s[6:7]
	s_cbranch_execz .LBB25_1734
.LBB25_3784:
	v_mov_b32_e32 v3, 0
	v_cmp_ne_u16_sdwa s[8:9], v4, v3 src0_sel:BYTE_0 src1_sel:DWORD
	s_andn2_b64 s[4:5], s[4:5], exec
	s_and_b64 s[8:9], s[8:9], exec
	s_or_b64 s[4:5], s[4:5], s[8:9]
	s_or_b64 exec, exec, s[6:7]
	s_and_saveexec_b64 s[6:7], s[4:5]
	s_cbranch_execnz .LBB25_1735
	s_branch .LBB25_1736
.LBB25_3785:
	s_movk_i32 s4, 0x80
	v_cmp_eq_u16_sdwa s[12:13], v3, s4 src0_sel:BYTE_0 src1_sel:DWORD
	s_mov_b64 s[4:5], -1
                                        ; implicit-def: $sgpr10
	s_and_saveexec_b64 s[8:9], s[12:13]
; %bb.3786:
	s_mov_b32 s10, 0x7f800001
	s_xor_b64 s[4:5], exec, -1
; %bb.3787:
	s_or_b64 exec, exec, s[8:9]
	s_and_b64 s[4:5], s[4:5], exec
	s_or_saveexec_b64 s[6:7], s[6:7]
	v_mov_b32_e32 v2, s10
	s_xor_b64 exec, exec, s[6:7]
	s_cbranch_execz .LBB25_1738
.LBB25_3788:
	v_mov_b32_e32 v2, 0
	v_cmp_ne_u16_sdwa s[8:9], v3, v2 src0_sel:BYTE_0 src1_sel:DWORD
	s_andn2_b64 s[4:5], s[4:5], exec
	s_and_b64 s[8:9], s[8:9], exec
	s_or_b64 s[4:5], s[4:5], s[8:9]
	s_or_b64 exec, exec, s[6:7]
	s_and_saveexec_b64 s[6:7], s[4:5]
	s_cbranch_execnz .LBB25_1739
	s_branch .LBB25_1740
.LBB25_3789:
	s_movk_i32 s4, 0x80
	v_cmp_eq_u16_sdwa s[12:13], v3, s4 src0_sel:BYTE_0 src1_sel:DWORD
	s_mov_b64 s[4:5], -1
                                        ; implicit-def: $sgpr10
	s_and_saveexec_b64 s[8:9], s[12:13]
; %bb.3790:
	s_mov_b32 s10, 0x7f800001
	s_xor_b64 s[4:5], exec, -1
; %bb.3791:
	s_or_b64 exec, exec, s[8:9]
	s_and_b64 s[4:5], s[4:5], exec
	s_or_saveexec_b64 s[6:7], s[6:7]
	v_mov_b32_e32 v6, s10
	s_xor_b64 exec, exec, s[6:7]
	s_cbranch_execz .LBB25_1742
.LBB25_3792:
	v_mov_b32_e32 v6, 0
	v_cmp_ne_u16_sdwa s[8:9], v3, v6 src0_sel:BYTE_0 src1_sel:DWORD
	s_andn2_b64 s[4:5], s[4:5], exec
	s_and_b64 s[8:9], s[8:9], exec
	s_or_b64 s[4:5], s[4:5], s[8:9]
	s_or_b64 exec, exec, s[6:7]
	s_and_saveexec_b64 s[6:7], s[4:5]
	s_cbranch_execnz .LBB25_1743
	s_branch .LBB25_1744
.LBB25_3793:
	s_movk_i32 s4, 0x80
	v_cmp_eq_u16_e32 vcc, s4, v3
	s_mov_b64 s[4:5], -1
                                        ; implicit-def: $sgpr10
	s_and_saveexec_b64 s[8:9], vcc
; %bb.3794:
	s_mov_b32 s10, 0x7f800001
	s_xor_b64 s[4:5], exec, -1
; %bb.3795:
	s_or_b64 exec, exec, s[8:9]
	s_and_b64 s[4:5], s[4:5], exec
                                        ; implicit-def: $vgpr3
	s_or_saveexec_b64 s[6:7], s[6:7]
	v_mov_b32_e32 v2, s10
	s_xor_b64 exec, exec, s[6:7]
	s_cbranch_execz .LBB25_1746
.LBB25_3796:
	v_cmp_ne_u16_e32 vcc, 0, v3
	s_andn2_b64 s[4:5], s[4:5], exec
	s_and_b64 s[8:9], vcc, exec
	v_mov_b32_e32 v2, 0
	s_or_b64 s[4:5], s[4:5], s[8:9]
	s_or_b64 exec, exec, s[6:7]
	s_and_saveexec_b64 s[6:7], s[4:5]
	s_cbranch_execnz .LBB25_1747
	s_branch .LBB25_1748
.LBB25_3797:
	s_movk_i32 s4, 0x80
	v_cmp_eq_u16_e32 vcc, s4, v3
	s_mov_b64 s[4:5], -1
                                        ; implicit-def: $sgpr10
	s_and_saveexec_b64 s[8:9], vcc
; %bb.3798:
	s_mov_b32 s10, 0x7f800001
	s_xor_b64 s[4:5], exec, -1
; %bb.3799:
	s_or_b64 exec, exec, s[8:9]
	s_and_b64 s[4:5], s[4:5], exec
                                        ; implicit-def: $vgpr3
	s_or_saveexec_b64 s[6:7], s[6:7]
	v_mov_b32_e32 v6, s10
	s_xor_b64 exec, exec, s[6:7]
	s_cbranch_execz .LBB25_1750
.LBB25_3800:
	v_cmp_ne_u16_e32 vcc, 0, v3
	s_andn2_b64 s[4:5], s[4:5], exec
	s_and_b64 s[8:9], vcc, exec
	v_mov_b32_e32 v6, 0
	s_or_b64 s[4:5], s[4:5], s[8:9]
	s_or_b64 exec, exec, s[6:7]
	s_and_saveexec_b64 s[6:7], s[4:5]
	s_cbranch_execnz .LBB25_1751
	s_branch .LBB25_1752
.LBB25_3801:
	s_movk_i32 s4, 0x80
	v_cmp_eq_u16_sdwa s[12:13], v8, s4 src0_sel:BYTE_3 src1_sel:DWORD
	s_mov_b64 s[4:5], -1
                                        ; implicit-def: $sgpr10
	s_and_saveexec_b64 s[8:9], s[12:13]
; %bb.3802:
	s_mov_b32 s10, 0x7f800001
	s_xor_b64 s[4:5], exec, -1
; %bb.3803:
	s_or_b64 exec, exec, s[8:9]
	s_and_b64 s[4:5], s[4:5], exec
	s_or_saveexec_b64 s[6:7], s[6:7]
	v_mov_b32_e32 v2, s10
	s_xor_b64 exec, exec, s[6:7]
	s_cbranch_execz .LBB25_1754
.LBB25_3804:
	v_mov_b32_e32 v2, 0
	v_cmp_ne_u16_sdwa s[8:9], v8, v2 src0_sel:BYTE_3 src1_sel:DWORD
	s_andn2_b64 s[4:5], s[4:5], exec
	s_and_b64 s[8:9], s[8:9], exec
	s_or_b64 s[4:5], s[4:5], s[8:9]
	s_or_b64 exec, exec, s[6:7]
	s_and_saveexec_b64 s[6:7], s[4:5]
	s_cbranch_execnz .LBB25_1755
	s_branch .LBB25_1756
.LBB25_3805:
	s_movk_i32 s4, 0x80
	v_cmp_eq_u16_sdwa s[12:13], v4, s4 src0_sel:BYTE_3 src1_sel:DWORD
	s_mov_b64 s[4:5], -1
                                        ; implicit-def: $sgpr10
	s_and_saveexec_b64 s[8:9], s[12:13]
; %bb.3806:
	s_mov_b32 s10, 0x7f800001
	s_xor_b64 s[4:5], exec, -1
; %bb.3807:
	s_or_b64 exec, exec, s[8:9]
	s_and_b64 s[4:5], s[4:5], exec
	s_or_saveexec_b64 s[6:7], s[6:7]
	v_mov_b32_e32 v3, s10
	s_xor_b64 exec, exec, s[6:7]
	s_cbranch_execz .LBB25_1758
.LBB25_3808:
	v_mov_b32_e32 v3, 0
	v_cmp_ne_u16_sdwa s[8:9], v4, v3 src0_sel:BYTE_3 src1_sel:DWORD
	s_andn2_b64 s[4:5], s[4:5], exec
	s_and_b64 s[8:9], s[8:9], exec
	s_or_b64 s[4:5], s[4:5], s[8:9]
	s_or_b64 exec, exec, s[6:7]
	s_and_saveexec_b64 s[6:7], s[4:5]
	s_cbranch_execnz .LBB25_1759
	s_branch .LBB25_1760
.LBB25_3809:
	s_movk_i32 s4, 0x80
	v_cmp_eq_u16_sdwa s[12:13], v9, s4 src0_sel:BYTE_0 src1_sel:DWORD
	s_mov_b64 s[4:5], -1
                                        ; implicit-def: $sgpr10
	s_and_saveexec_b64 s[8:9], s[12:13]
; %bb.3810:
	s_mov_b32 s10, 0x7f800001
	s_xor_b64 s[4:5], exec, -1
; %bb.3811:
	s_or_b64 exec, exec, s[8:9]
	s_and_b64 s[4:5], s[4:5], exec
	s_or_saveexec_b64 s[6:7], s[6:7]
	v_mov_b32_e32 v2, s10
	s_xor_b64 exec, exec, s[6:7]
	s_cbranch_execz .LBB25_1762
.LBB25_3812:
	v_mov_b32_e32 v2, 0
	v_cmp_ne_u16_sdwa s[8:9], v9, v2 src0_sel:BYTE_0 src1_sel:DWORD
	s_andn2_b64 s[4:5], s[4:5], exec
	s_and_b64 s[8:9], s[8:9], exec
	s_or_b64 s[4:5], s[4:5], s[8:9]
	s_or_b64 exec, exec, s[6:7]
	s_and_saveexec_b64 s[6:7], s[4:5]
	s_cbranch_execnz .LBB25_1763
	s_branch .LBB25_1764
.LBB25_3813:
	s_movk_i32 s4, 0x80
	v_cmp_eq_u16_sdwa s[12:13], v5, s4 src0_sel:BYTE_0 src1_sel:DWORD
	s_mov_b64 s[4:5], -1
                                        ; implicit-def: $sgpr10
	s_and_saveexec_b64 s[8:9], s[12:13]
; %bb.3814:
	s_mov_b32 s10, 0x7f800001
	s_xor_b64 s[4:5], exec, -1
; %bb.3815:
	s_or_b64 exec, exec, s[8:9]
	s_and_b64 s[4:5], s[4:5], exec
	s_or_saveexec_b64 s[6:7], s[6:7]
	v_mov_b32_e32 v3, s10
	s_xor_b64 exec, exec, s[6:7]
	s_cbranch_execz .LBB25_1766
.LBB25_3816:
	v_mov_b32_e32 v3, 0
	v_cmp_ne_u16_sdwa s[8:9], v5, v3 src0_sel:BYTE_0 src1_sel:DWORD
	s_andn2_b64 s[4:5], s[4:5], exec
	s_and_b64 s[8:9], s[8:9], exec
	s_or_b64 s[4:5], s[4:5], s[8:9]
	s_or_b64 exec, exec, s[6:7]
	s_and_saveexec_b64 s[6:7], s[4:5]
	s_cbranch_execnz .LBB25_1767
	s_branch .LBB25_1768
.LBB25_3817:
	s_movk_i32 s4, 0x80
	v_cmp_eq_u16_sdwa s[12:13], v3, s4 src0_sel:BYTE_0 src1_sel:DWORD
	s_mov_b64 s[4:5], -1
                                        ; implicit-def: $sgpr10
	s_and_saveexec_b64 s[8:9], s[12:13]
; %bb.3818:
	s_mov_b32 s10, 0x7f800001
	s_xor_b64 s[4:5], exec, -1
; %bb.3819:
	s_or_b64 exec, exec, s[8:9]
	s_and_b64 s[4:5], s[4:5], exec
	s_or_saveexec_b64 s[6:7], s[6:7]
	v_mov_b32_e32 v2, s10
	s_xor_b64 exec, exec, s[6:7]
	s_cbranch_execz .LBB25_1770
.LBB25_3820:
	v_mov_b32_e32 v2, 0
	v_cmp_ne_u16_sdwa s[8:9], v3, v2 src0_sel:BYTE_0 src1_sel:DWORD
	s_andn2_b64 s[4:5], s[4:5], exec
	s_and_b64 s[8:9], s[8:9], exec
	s_or_b64 s[4:5], s[4:5], s[8:9]
	s_or_b64 exec, exec, s[6:7]
	s_and_saveexec_b64 s[6:7], s[4:5]
	s_cbranch_execnz .LBB25_1771
	s_branch .LBB25_1772
.LBB25_3821:
	s_movk_i32 s4, 0x80
	v_cmp_eq_u16_sdwa s[12:13], v3, s4 src0_sel:BYTE_0 src1_sel:DWORD
	s_mov_b64 s[4:5], -1
                                        ; implicit-def: $sgpr10
	s_and_saveexec_b64 s[8:9], s[12:13]
; %bb.3822:
	s_mov_b32 s10, 0x7f800001
	s_xor_b64 s[4:5], exec, -1
; %bb.3823:
	s_or_b64 exec, exec, s[8:9]
	s_and_b64 s[4:5], s[4:5], exec
	s_or_saveexec_b64 s[6:7], s[6:7]
	v_mov_b32_e32 v4, s10
	s_xor_b64 exec, exec, s[6:7]
	s_cbranch_execz .LBB25_1774
.LBB25_3824:
	v_mov_b32_e32 v4, 0
	v_cmp_ne_u16_sdwa s[8:9], v3, v4 src0_sel:BYTE_0 src1_sel:DWORD
	s_andn2_b64 s[4:5], s[4:5], exec
	s_and_b64 s[8:9], s[8:9], exec
	s_or_b64 s[4:5], s[4:5], s[8:9]
	s_or_b64 exec, exec, s[6:7]
	s_and_saveexec_b64 s[6:7], s[4:5]
	s_cbranch_execnz .LBB25_1775
	s_branch .LBB25_1776
.LBB25_3825:
	s_movk_i32 s4, 0x80
	v_cmp_eq_u16_e32 vcc, s4, v3
	s_mov_b64 s[4:5], -1
                                        ; implicit-def: $sgpr10
	s_and_saveexec_b64 s[8:9], vcc
; %bb.3826:
	s_mov_b32 s10, 0x7f800001
	s_xor_b64 s[4:5], exec, -1
; %bb.3827:
	s_or_b64 exec, exec, s[8:9]
	s_and_b64 s[4:5], s[4:5], exec
                                        ; implicit-def: $vgpr3
	s_or_saveexec_b64 s[6:7], s[6:7]
	v_mov_b32_e32 v2, s10
	s_xor_b64 exec, exec, s[6:7]
	s_cbranch_execz .LBB25_1778
.LBB25_3828:
	v_cmp_ne_u16_e32 vcc, 0, v3
	s_andn2_b64 s[4:5], s[4:5], exec
	s_and_b64 s[8:9], vcc, exec
	v_mov_b32_e32 v2, 0
	s_or_b64 s[4:5], s[4:5], s[8:9]
	s_or_b64 exec, exec, s[6:7]
	s_and_saveexec_b64 s[6:7], s[4:5]
	s_cbranch_execnz .LBB25_1779
	s_branch .LBB25_1780
.LBB25_3829:
	s_movk_i32 s4, 0x80
	v_cmp_eq_u16_e32 vcc, s4, v3
	s_mov_b64 s[4:5], -1
                                        ; implicit-def: $sgpr10
	s_and_saveexec_b64 s[8:9], vcc
; %bb.3830:
	s_mov_b32 s10, 0x7f800001
	s_xor_b64 s[4:5], exec, -1
; %bb.3831:
	s_or_b64 exec, exec, s[8:9]
	s_and_b64 s[4:5], s[4:5], exec
                                        ; implicit-def: $vgpr3
	s_or_saveexec_b64 s[6:7], s[6:7]
	v_mov_b32_e32 v4, s10
	s_xor_b64 exec, exec, s[6:7]
	s_cbranch_execz .LBB25_1782
.LBB25_3832:
	v_cmp_ne_u16_e32 vcc, 0, v3
	s_andn2_b64 s[4:5], s[4:5], exec
	s_and_b64 s[8:9], vcc, exec
	v_mov_b32_e32 v4, 0
	s_or_b64 s[4:5], s[4:5], s[8:9]
	s_or_b64 exec, exec, s[6:7]
	s_and_saveexec_b64 s[6:7], s[4:5]
	s_cbranch_execnz .LBB25_1783
	s_branch .LBB25_1784
.LBB25_3833:
	s_movk_i32 s4, 0x80
	v_cmp_eq_u16_sdwa s[12:13], v9, s4 src0_sel:BYTE_3 src1_sel:DWORD
	s_mov_b64 s[4:5], -1
                                        ; implicit-def: $sgpr10
	s_and_saveexec_b64 s[8:9], s[12:13]
; %bb.3834:
	s_mov_b32 s10, 0x7f800001
	s_xor_b64 s[4:5], exec, -1
; %bb.3835:
	s_or_b64 exec, exec, s[8:9]
	s_and_b64 s[4:5], s[4:5], exec
	s_or_saveexec_b64 s[6:7], s[6:7]
	v_mov_b32_e32 v2, s10
	s_xor_b64 exec, exec, s[6:7]
	s_cbranch_execz .LBB25_1786
.LBB25_3836:
	v_mov_b32_e32 v2, 0
	v_cmp_ne_u16_sdwa s[8:9], v9, v2 src0_sel:BYTE_3 src1_sel:DWORD
	s_andn2_b64 s[4:5], s[4:5], exec
	s_and_b64 s[8:9], s[8:9], exec
	s_or_b64 s[4:5], s[4:5], s[8:9]
	s_or_b64 exec, exec, s[6:7]
	s_and_saveexec_b64 s[6:7], s[4:5]
	s_cbranch_execnz .LBB25_1787
	s_branch .LBB25_1788
.LBB25_3837:
	s_movk_i32 s4, 0x80
	v_cmp_eq_u16_sdwa s[12:13], v5, s4 src0_sel:BYTE_3 src1_sel:DWORD
	s_mov_b64 s[4:5], -1
                                        ; implicit-def: $sgpr10
	s_and_saveexec_b64 s[8:9], s[12:13]
; %bb.3838:
	s_mov_b32 s10, 0x7f800001
	s_xor_b64 s[4:5], exec, -1
; %bb.3839:
	s_or_b64 exec, exec, s[8:9]
	s_and_b64 s[4:5], s[4:5], exec
	s_or_saveexec_b64 s[6:7], s[6:7]
	v_mov_b32_e32 v3, s10
	s_xor_b64 exec, exec, s[6:7]
	s_cbranch_execz .LBB25_1790
.LBB25_3840:
	v_mov_b32_e32 v3, 0
	v_cmp_ne_u16_sdwa s[8:9], v5, v3 src0_sel:BYTE_3 src1_sel:DWORD
	s_andn2_b64 s[4:5], s[4:5], exec
	s_and_b64 s[8:9], s[8:9], exec
	s_or_b64 s[4:5], s[4:5], s[8:9]
	s_or_b64 exec, exec, s[6:7]
	s_and_saveexec_b64 s[6:7], s[4:5]
	s_cbranch_execnz .LBB25_1791
	s_branch .LBB25_1792
.LBB25_3841:
	s_movk_i32 s4, 0x80
	v_cmp_eq_u16_sdwa s[12:13], v12, s4 src0_sel:BYTE_0 src1_sel:DWORD
	s_mov_b64 s[4:5], -1
                                        ; implicit-def: $sgpr10
	s_and_saveexec_b64 s[8:9], s[12:13]
; %bb.3842:
	s_mov_b32 s10, 0x7f800001
	s_xor_b64 s[4:5], exec, -1
; %bb.3843:
	s_or_b64 exec, exec, s[8:9]
	s_and_b64 s[4:5], s[4:5], exec
	s_or_saveexec_b64 s[6:7], s[6:7]
	v_mov_b32_e32 v18, s10
	s_xor_b64 exec, exec, s[6:7]
	s_cbranch_execz .LBB25_1794
.LBB25_3844:
	v_mov_b32_e32 v18, 0
	v_cmp_ne_u16_sdwa s[8:9], v12, v18 src0_sel:BYTE_0 src1_sel:DWORD
	s_andn2_b64 s[4:5], s[4:5], exec
	s_and_b64 s[8:9], s[8:9], exec
	s_or_b64 s[4:5], s[4:5], s[8:9]
	s_or_b64 exec, exec, s[6:7]
	s_and_saveexec_b64 s[6:7], s[4:5]
	s_cbranch_execnz .LBB25_1795
	s_branch .LBB25_1796
.LBB25_3845:
	s_movk_i32 s4, 0x80
	v_cmp_eq_u16_sdwa s[12:13], v8, s4 src0_sel:BYTE_0 src1_sel:DWORD
	s_mov_b64 s[4:5], -1
                                        ; implicit-def: $sgpr10
	s_and_saveexec_b64 s[8:9], s[12:13]
; %bb.3846:
	s_mov_b32 s10, 0x7f800001
	s_xor_b64 s[4:5], exec, -1
; %bb.3847:
	s_or_b64 exec, exec, s[8:9]
	s_and_b64 s[4:5], s[4:5], exec
	s_or_saveexec_b64 s[6:7], s[6:7]
	v_mov_b32_e32 v19, s10
	s_xor_b64 exec, exec, s[6:7]
	s_cbranch_execz .LBB25_1798
.LBB25_3848:
	v_mov_b32_e32 v19, 0
	v_cmp_ne_u16_sdwa s[8:9], v8, v19 src0_sel:BYTE_0 src1_sel:DWORD
	s_andn2_b64 s[4:5], s[4:5], exec
	s_and_b64 s[8:9], s[8:9], exec
	s_or_b64 s[4:5], s[4:5], s[8:9]
	s_or_b64 exec, exec, s[6:7]
	s_and_saveexec_b64 s[6:7], s[4:5]
	s_cbranch_execnz .LBB25_1799
	s_branch .LBB25_1800
.LBB25_3849:
	s_movk_i32 s4, 0x80
	v_cmp_eq_u16_sdwa s[12:13], v19, s4 src0_sel:BYTE_0 src1_sel:DWORD
	s_mov_b64 s[4:5], -1
                                        ; implicit-def: $sgpr10
	s_and_saveexec_b64 s[8:9], s[12:13]
; %bb.3850:
	s_mov_b32 s10, 0x7f800001
	s_xor_b64 s[4:5], exec, -1
; %bb.3851:
	s_or_b64 exec, exec, s[8:9]
	s_and_b64 s[4:5], s[4:5], exec
	s_or_saveexec_b64 s[6:7], s[6:7]
	v_mov_b32_e32 v18, s10
	s_xor_b64 exec, exec, s[6:7]
	s_cbranch_execz .LBB25_1802
.LBB25_3852:
	v_mov_b32_e32 v18, 0
	v_cmp_ne_u16_sdwa s[8:9], v19, v18 src0_sel:BYTE_0 src1_sel:DWORD
	s_andn2_b64 s[4:5], s[4:5], exec
	s_and_b64 s[8:9], s[8:9], exec
	s_or_b64 s[4:5], s[4:5], s[8:9]
	s_or_b64 exec, exec, s[6:7]
	s_and_saveexec_b64 s[6:7], s[4:5]
	s_cbranch_execnz .LBB25_1803
	s_branch .LBB25_1804
.LBB25_3853:
	s_movk_i32 s4, 0x80
	v_cmp_eq_u16_sdwa s[12:13], v19, s4 src0_sel:BYTE_0 src1_sel:DWORD
	s_mov_b64 s[4:5], -1
                                        ; implicit-def: $sgpr10
	s_and_saveexec_b64 s[8:9], s[12:13]
; %bb.3854:
	s_mov_b32 s10, 0x7f800001
	s_xor_b64 s[4:5], exec, -1
; %bb.3855:
	s_or_b64 exec, exec, s[8:9]
	s_and_b64 s[4:5], s[4:5], exec
	s_or_saveexec_b64 s[6:7], s[6:7]
	v_mov_b32_e32 v20, s10
	s_xor_b64 exec, exec, s[6:7]
	s_cbranch_execz .LBB25_1806
.LBB25_3856:
	v_mov_b32_e32 v20, 0
	v_cmp_ne_u16_sdwa s[8:9], v19, v20 src0_sel:BYTE_0 src1_sel:DWORD
	s_andn2_b64 s[4:5], s[4:5], exec
	s_and_b64 s[8:9], s[8:9], exec
	s_or_b64 s[4:5], s[4:5], s[8:9]
	s_or_b64 exec, exec, s[6:7]
	s_and_saveexec_b64 s[6:7], s[4:5]
	s_cbranch_execnz .LBB25_1807
	s_branch .LBB25_1808
.LBB25_3857:
	s_movk_i32 s4, 0x80
	v_cmp_eq_u16_e32 vcc, s4, v19
	s_mov_b64 s[4:5], -1
                                        ; implicit-def: $sgpr10
	s_and_saveexec_b64 s[8:9], vcc
; %bb.3858:
	s_mov_b32 s10, 0x7f800001
	s_xor_b64 s[4:5], exec, -1
; %bb.3859:
	s_or_b64 exec, exec, s[8:9]
	s_and_b64 s[4:5], s[4:5], exec
                                        ; implicit-def: $vgpr19
	s_or_saveexec_b64 s[6:7], s[6:7]
	v_mov_b32_e32 v18, s10
	s_xor_b64 exec, exec, s[6:7]
	s_cbranch_execz .LBB25_1810
.LBB25_3860:
	v_cmp_ne_u16_e32 vcc, 0, v19
	s_andn2_b64 s[4:5], s[4:5], exec
	s_and_b64 s[8:9], vcc, exec
	v_mov_b32_e32 v18, 0
	s_or_b64 s[4:5], s[4:5], s[8:9]
	s_or_b64 exec, exec, s[6:7]
	s_and_saveexec_b64 s[6:7], s[4:5]
	s_cbranch_execnz .LBB25_1811
	s_branch .LBB25_1812
.LBB25_3861:
	s_movk_i32 s4, 0x80
	v_cmp_eq_u16_e32 vcc, s4, v19
	s_mov_b64 s[4:5], -1
                                        ; implicit-def: $sgpr10
	s_and_saveexec_b64 s[8:9], vcc
; %bb.3862:
	s_mov_b32 s10, 0x7f800001
	s_xor_b64 s[4:5], exec, -1
; %bb.3863:
	s_or_b64 exec, exec, s[8:9]
	s_and_b64 s[4:5], s[4:5], exec
                                        ; implicit-def: $vgpr19
	s_or_saveexec_b64 s[6:7], s[6:7]
	v_mov_b32_e32 v20, s10
	s_xor_b64 exec, exec, s[6:7]
	s_cbranch_execz .LBB25_1814
.LBB25_3864:
	v_cmp_ne_u16_e32 vcc, 0, v19
	s_andn2_b64 s[4:5], s[4:5], exec
	s_and_b64 s[8:9], vcc, exec
	v_mov_b32_e32 v20, 0
	s_or_b64 s[4:5], s[4:5], s[8:9]
	s_or_b64 exec, exec, s[6:7]
	s_and_saveexec_b64 s[6:7], s[4:5]
	s_cbranch_execnz .LBB25_1815
	s_branch .LBB25_1816
.LBB25_3865:
	s_movk_i32 s4, 0x80
	v_cmp_eq_u16_sdwa s[12:13], v12, s4 src0_sel:BYTE_3 src1_sel:DWORD
	s_mov_b64 s[4:5], -1
                                        ; implicit-def: $sgpr10
	s_and_saveexec_b64 s[8:9], s[12:13]
; %bb.3866:
	s_mov_b32 s10, 0x7f800001
	s_xor_b64 s[4:5], exec, -1
; %bb.3867:
	s_or_b64 exec, exec, s[8:9]
	s_and_b64 s[4:5], s[4:5], exec
	s_or_saveexec_b64 s[6:7], s[6:7]
	v_mov_b32_e32 v18, s10
	s_xor_b64 exec, exec, s[6:7]
	s_cbranch_execz .LBB25_1818
.LBB25_3868:
	v_mov_b32_e32 v18, 0
	v_cmp_ne_u16_sdwa s[8:9], v12, v18 src0_sel:BYTE_3 src1_sel:DWORD
	s_andn2_b64 s[4:5], s[4:5], exec
	s_and_b64 s[8:9], s[8:9], exec
	s_or_b64 s[4:5], s[4:5], s[8:9]
	s_or_b64 exec, exec, s[6:7]
	s_and_saveexec_b64 s[6:7], s[4:5]
	s_cbranch_execnz .LBB25_1819
	s_branch .LBB25_1820
.LBB25_3869:
	s_movk_i32 s4, 0x80
	v_cmp_eq_u16_sdwa s[12:13], v8, s4 src0_sel:BYTE_3 src1_sel:DWORD
	s_mov_b64 s[4:5], -1
                                        ; implicit-def: $sgpr10
	s_and_saveexec_b64 s[8:9], s[12:13]
; %bb.3870:
	s_mov_b32 s10, 0x7f800001
	s_xor_b64 s[4:5], exec, -1
; %bb.3871:
	s_or_b64 exec, exec, s[8:9]
	s_and_b64 s[4:5], s[4:5], exec
	s_or_saveexec_b64 s[6:7], s[6:7]
	v_mov_b32_e32 v12, s10
	s_xor_b64 exec, exec, s[6:7]
	s_cbranch_execz .LBB25_1822
.LBB25_3872:
	v_mov_b32_e32 v12, 0
	v_cmp_ne_u16_sdwa s[8:9], v8, v12 src0_sel:BYTE_3 src1_sel:DWORD
	s_andn2_b64 s[4:5], s[4:5], exec
	s_and_b64 s[8:9], s[8:9], exec
	s_or_b64 s[4:5], s[4:5], s[8:9]
	s_or_b64 exec, exec, s[6:7]
	s_and_saveexec_b64 s[6:7], s[4:5]
	s_cbranch_execnz .LBB25_1823
	s_branch .LBB25_1824
.LBB25_3873:
	s_movk_i32 s4, 0x80
	v_cmp_eq_u16_sdwa s[12:13], v13, s4 src0_sel:BYTE_0 src1_sel:DWORD
	s_mov_b64 s[4:5], -1
                                        ; implicit-def: $sgpr10
	s_and_saveexec_b64 s[8:9], s[12:13]
; %bb.3874:
	s_mov_b32 s10, 0x7f800001
	s_xor_b64 s[4:5], exec, -1
; %bb.3875:
	s_or_b64 exec, exec, s[8:9]
	s_and_b64 s[4:5], s[4:5], exec
	s_or_saveexec_b64 s[6:7], s[6:7]
	v_mov_b32_e32 v8, s10
	s_xor_b64 exec, exec, s[6:7]
	s_cbranch_execz .LBB25_1826
.LBB25_3876:
	v_mov_b32_e32 v8, 0
	v_cmp_ne_u16_sdwa s[8:9], v13, v8 src0_sel:BYTE_0 src1_sel:DWORD
	s_andn2_b64 s[4:5], s[4:5], exec
	s_and_b64 s[8:9], s[8:9], exec
	s_or_b64 s[4:5], s[4:5], s[8:9]
	s_or_b64 exec, exec, s[6:7]
	s_and_saveexec_b64 s[6:7], s[4:5]
	s_cbranch_execnz .LBB25_1827
	s_branch .LBB25_1828
.LBB25_3877:
	s_movk_i32 s4, 0x80
	v_cmp_eq_u16_sdwa s[12:13], v9, s4 src0_sel:BYTE_0 src1_sel:DWORD
	s_mov_b64 s[4:5], -1
                                        ; implicit-def: $sgpr10
	s_and_saveexec_b64 s[8:9], s[12:13]
; %bb.3878:
	s_mov_b32 s10, 0x7f800001
	s_xor_b64 s[4:5], exec, -1
; %bb.3879:
	s_or_b64 exec, exec, s[8:9]
	s_and_b64 s[4:5], s[4:5], exec
	s_or_saveexec_b64 s[6:7], s[6:7]
	v_mov_b32_e32 v12, s10
	s_xor_b64 exec, exec, s[6:7]
	s_cbranch_execz .LBB25_1830
.LBB25_3880:
	v_mov_b32_e32 v12, 0
	v_cmp_ne_u16_sdwa s[8:9], v9, v12 src0_sel:BYTE_0 src1_sel:DWORD
	s_andn2_b64 s[4:5], s[4:5], exec
	s_and_b64 s[8:9], s[8:9], exec
	s_or_b64 s[4:5], s[4:5], s[8:9]
	s_or_b64 exec, exec, s[6:7]
	s_and_saveexec_b64 s[6:7], s[4:5]
	s_cbranch_execnz .LBB25_1831
	s_branch .LBB25_1832
.LBB25_3881:
	s_movk_i32 s4, 0x80
	v_cmp_eq_u16_sdwa s[12:13], v12, s4 src0_sel:BYTE_0 src1_sel:DWORD
	s_mov_b64 s[4:5], -1
                                        ; implicit-def: $sgpr10
	s_and_saveexec_b64 s[8:9], s[12:13]
; %bb.3882:
	s_mov_b32 s10, 0x7f800001
	s_xor_b64 s[4:5], exec, -1
; %bb.3883:
	s_or_b64 exec, exec, s[8:9]
	s_and_b64 s[4:5], s[4:5], exec
	s_or_saveexec_b64 s[6:7], s[6:7]
	v_mov_b32_e32 v8, s10
	s_xor_b64 exec, exec, s[6:7]
	s_cbranch_execz .LBB25_1834
.LBB25_3884:
	v_mov_b32_e32 v8, 0
	v_cmp_ne_u16_sdwa s[8:9], v12, v8 src0_sel:BYTE_0 src1_sel:DWORD
	s_andn2_b64 s[4:5], s[4:5], exec
	s_and_b64 s[8:9], s[8:9], exec
	s_or_b64 s[4:5], s[4:5], s[8:9]
	s_or_b64 exec, exec, s[6:7]
	s_and_saveexec_b64 s[6:7], s[4:5]
	s_cbranch_execnz .LBB25_1835
	s_branch .LBB25_1836
.LBB25_3885:
	s_movk_i32 s4, 0x80
	v_cmp_eq_u16_sdwa s[12:13], v12, s4 src0_sel:BYTE_0 src1_sel:DWORD
	s_mov_b64 s[4:5], -1
                                        ; implicit-def: $sgpr10
	s_and_saveexec_b64 s[8:9], s[12:13]
; %bb.3886:
	s_mov_b32 s10, 0x7f800001
	s_xor_b64 s[4:5], exec, -1
; %bb.3887:
	s_or_b64 exec, exec, s[8:9]
	s_and_b64 s[4:5], s[4:5], exec
	s_or_saveexec_b64 s[6:7], s[6:7]
	v_mov_b32_e32 v18, s10
	s_xor_b64 exec, exec, s[6:7]
	s_cbranch_execz .LBB25_1838
.LBB25_3888:
	v_mov_b32_e32 v18, 0
	v_cmp_ne_u16_sdwa s[8:9], v12, v18 src0_sel:BYTE_0 src1_sel:DWORD
	s_andn2_b64 s[4:5], s[4:5], exec
	s_and_b64 s[8:9], s[8:9], exec
	s_or_b64 s[4:5], s[4:5], s[8:9]
	s_or_b64 exec, exec, s[6:7]
	s_and_saveexec_b64 s[6:7], s[4:5]
	s_cbranch_execnz .LBB25_1839
	s_branch .LBB25_1840
.LBB25_3889:
	s_movk_i32 s4, 0x80
	v_cmp_eq_u16_e32 vcc, s4, v12
	s_mov_b64 s[4:5], -1
                                        ; implicit-def: $sgpr10
	s_and_saveexec_b64 s[8:9], vcc
; %bb.3890:
	s_mov_b32 s10, 0x7f800001
	s_xor_b64 s[4:5], exec, -1
; %bb.3891:
	s_or_b64 exec, exec, s[8:9]
	s_and_b64 s[4:5], s[4:5], exec
                                        ; implicit-def: $vgpr12
	s_or_saveexec_b64 s[6:7], s[6:7]
	v_mov_b32_e32 v8, s10
	s_xor_b64 exec, exec, s[6:7]
	s_cbranch_execz .LBB25_1842
.LBB25_3892:
	v_cmp_ne_u16_e32 vcc, 0, v12
	s_andn2_b64 s[4:5], s[4:5], exec
	s_and_b64 s[8:9], vcc, exec
	v_mov_b32_e32 v8, 0
	s_or_b64 s[4:5], s[4:5], s[8:9]
	s_or_b64 exec, exec, s[6:7]
	s_and_saveexec_b64 s[6:7], s[4:5]
	s_cbranch_execnz .LBB25_1843
	s_branch .LBB25_1844
.LBB25_3893:
	s_movk_i32 s4, 0x80
	v_cmp_eq_u16_e32 vcc, s4, v12
	s_mov_b64 s[4:5], -1
                                        ; implicit-def: $sgpr10
	s_and_saveexec_b64 s[8:9], vcc
; %bb.3894:
	s_mov_b32 s10, 0x7f800001
	s_xor_b64 s[4:5], exec, -1
; %bb.3895:
	s_or_b64 exec, exec, s[8:9]
	s_and_b64 s[4:5], s[4:5], exec
                                        ; implicit-def: $vgpr12
	s_or_saveexec_b64 s[6:7], s[6:7]
	v_mov_b32_e32 v18, s10
	s_xor_b64 exec, exec, s[6:7]
	s_cbranch_execz .LBB25_1846
.LBB25_3896:
	v_cmp_ne_u16_e32 vcc, 0, v12
	s_andn2_b64 s[4:5], s[4:5], exec
	s_and_b64 s[8:9], vcc, exec
	v_mov_b32_e32 v18, 0
	s_or_b64 s[4:5], s[4:5], s[8:9]
	s_or_b64 exec, exec, s[6:7]
	s_and_saveexec_b64 s[6:7], s[4:5]
	s_cbranch_execnz .LBB25_1847
	s_branch .LBB25_1848
.LBB25_3897:
	s_movk_i32 s4, 0x80
	v_cmp_eq_u16_sdwa s[12:13], v13, s4 src0_sel:BYTE_3 src1_sel:DWORD
	s_mov_b64 s[4:5], -1
                                        ; implicit-def: $sgpr10
	s_and_saveexec_b64 s[8:9], s[12:13]
; %bb.3898:
	s_mov_b32 s10, 0x7f800001
	s_xor_b64 s[4:5], exec, -1
; %bb.3899:
	s_or_b64 exec, exec, s[8:9]
	s_and_b64 s[4:5], s[4:5], exec
	s_or_saveexec_b64 s[6:7], s[6:7]
	v_mov_b32_e32 v8, s10
	s_xor_b64 exec, exec, s[6:7]
	s_cbranch_execz .LBB25_1850
.LBB25_3900:
	v_mov_b32_e32 v8, 0
	v_cmp_ne_u16_sdwa s[8:9], v13, v8 src0_sel:BYTE_3 src1_sel:DWORD
	s_andn2_b64 s[4:5], s[4:5], exec
	s_and_b64 s[8:9], s[8:9], exec
	s_or_b64 s[4:5], s[4:5], s[8:9]
	s_or_b64 exec, exec, s[6:7]
	s_and_saveexec_b64 s[6:7], s[4:5]
	s_cbranch_execnz .LBB25_1851
	s_branch .LBB25_1852
.LBB25_3901:
	s_movk_i32 s4, 0x80
	v_cmp_eq_u16_sdwa s[12:13], v9, s4 src0_sel:BYTE_3 src1_sel:DWORD
	s_mov_b64 s[4:5], -1
                                        ; implicit-def: $sgpr10
	s_and_saveexec_b64 s[8:9], s[12:13]
; %bb.3902:
	s_mov_b32 s10, 0x7f800001
	s_xor_b64 s[4:5], exec, -1
; %bb.3903:
	s_or_b64 exec, exec, s[8:9]
	s_and_b64 s[4:5], s[4:5], exec
	s_or_saveexec_b64 s[6:7], s[6:7]
	v_mov_b32_e32 v12, s10
	s_xor_b64 exec, exec, s[6:7]
	s_cbranch_execz .LBB25_1854
.LBB25_3904:
	v_mov_b32_e32 v12, 0
	v_cmp_ne_u16_sdwa s[8:9], v9, v12 src0_sel:BYTE_3 src1_sel:DWORD
	s_andn2_b64 s[4:5], s[4:5], exec
	s_and_b64 s[8:9], s[8:9], exec
	s_or_b64 s[4:5], s[4:5], s[8:9]
	s_or_b64 exec, exec, s[6:7]
	s_and_saveexec_b64 s[6:7], s[4:5]
	s_cbranch_execnz .LBB25_1855
	s_branch .LBB25_1856
.LBB25_3905:
	s_movk_i32 s4, 0x80
	v_cmp_eq_u16_sdwa s[12:13], v14, s4 src0_sel:BYTE_0 src1_sel:DWORD
	s_mov_b64 s[4:5], -1
                                        ; implicit-def: $sgpr10
	s_and_saveexec_b64 s[8:9], s[12:13]
; %bb.3906:
	s_mov_b32 s10, 0x7f800001
	s_xor_b64 s[4:5], exec, -1
; %bb.3907:
	s_or_b64 exec, exec, s[8:9]
	s_and_b64 s[4:5], s[4:5], exec
	s_or_saveexec_b64 s[6:7], s[6:7]
	v_mov_b32_e32 v8, s10
	s_xor_b64 exec, exec, s[6:7]
	s_cbranch_execz .LBB25_1858
.LBB25_3908:
	v_mov_b32_e32 v8, 0
	v_cmp_ne_u16_sdwa s[8:9], v14, v8 src0_sel:BYTE_0 src1_sel:DWORD
	s_andn2_b64 s[4:5], s[4:5], exec
	s_and_b64 s[8:9], s[8:9], exec
	s_or_b64 s[4:5], s[4:5], s[8:9]
	s_or_b64 exec, exec, s[6:7]
	s_and_saveexec_b64 s[6:7], s[4:5]
	s_cbranch_execnz .LBB25_1859
	s_branch .LBB25_1860
.LBB25_3909:
	s_movk_i32 s4, 0x80
	v_cmp_eq_u16_sdwa s[12:13], v10, s4 src0_sel:BYTE_0 src1_sel:DWORD
	s_mov_b64 s[4:5], -1
                                        ; implicit-def: $sgpr10
	s_and_saveexec_b64 s[8:9], s[12:13]
; %bb.3910:
	s_mov_b32 s10, 0x7f800001
	s_xor_b64 s[4:5], exec, -1
; %bb.3911:
	s_or_b64 exec, exec, s[8:9]
	s_and_b64 s[4:5], s[4:5], exec
	s_or_saveexec_b64 s[6:7], s[6:7]
	v_mov_b32_e32 v9, s10
	s_xor_b64 exec, exec, s[6:7]
	s_cbranch_execz .LBB25_1862
.LBB25_3912:
	v_mov_b32_e32 v9, 0
	v_cmp_ne_u16_sdwa s[8:9], v10, v9 src0_sel:BYTE_0 src1_sel:DWORD
	s_andn2_b64 s[4:5], s[4:5], exec
	s_and_b64 s[8:9], s[8:9], exec
	s_or_b64 s[4:5], s[4:5], s[8:9]
	s_or_b64 exec, exec, s[6:7]
	s_and_saveexec_b64 s[6:7], s[4:5]
	s_cbranch_execnz .LBB25_1863
	s_branch .LBB25_1864
.LBB25_3913:
	s_movk_i32 s4, 0x80
	v_cmp_eq_u16_sdwa s[12:13], v9, s4 src0_sel:BYTE_0 src1_sel:DWORD
	s_mov_b64 s[4:5], -1
                                        ; implicit-def: $sgpr10
	s_and_saveexec_b64 s[8:9], s[12:13]
; %bb.3914:
	s_mov_b32 s10, 0x7f800001
	s_xor_b64 s[4:5], exec, -1
; %bb.3915:
	s_or_b64 exec, exec, s[8:9]
	s_and_b64 s[4:5], s[4:5], exec
	s_or_saveexec_b64 s[6:7], s[6:7]
	v_mov_b32_e32 v8, s10
	s_xor_b64 exec, exec, s[6:7]
	s_cbranch_execz .LBB25_1866
.LBB25_3916:
	v_mov_b32_e32 v8, 0
	v_cmp_ne_u16_sdwa s[8:9], v9, v8 src0_sel:BYTE_0 src1_sel:DWORD
	s_andn2_b64 s[4:5], s[4:5], exec
	s_and_b64 s[8:9], s[8:9], exec
	s_or_b64 s[4:5], s[4:5], s[8:9]
	s_or_b64 exec, exec, s[6:7]
	s_and_saveexec_b64 s[6:7], s[4:5]
	s_cbranch_execnz .LBB25_1867
	s_branch .LBB25_1868
.LBB25_3917:
	s_movk_i32 s4, 0x80
	v_cmp_eq_u16_sdwa s[12:13], v9, s4 src0_sel:BYTE_0 src1_sel:DWORD
	s_mov_b64 s[4:5], -1
                                        ; implicit-def: $sgpr10
	s_and_saveexec_b64 s[8:9], s[12:13]
; %bb.3918:
	s_mov_b32 s10, 0x7f800001
	s_xor_b64 s[4:5], exec, -1
; %bb.3919:
	s_or_b64 exec, exec, s[8:9]
	s_and_b64 s[4:5], s[4:5], exec
	s_or_saveexec_b64 s[6:7], s[6:7]
	v_mov_b32_e32 v12, s10
	s_xor_b64 exec, exec, s[6:7]
	s_cbranch_execz .LBB25_1870
.LBB25_3920:
	v_mov_b32_e32 v12, 0
	v_cmp_ne_u16_sdwa s[8:9], v9, v12 src0_sel:BYTE_0 src1_sel:DWORD
	s_andn2_b64 s[4:5], s[4:5], exec
	s_and_b64 s[8:9], s[8:9], exec
	s_or_b64 s[4:5], s[4:5], s[8:9]
	s_or_b64 exec, exec, s[6:7]
	s_and_saveexec_b64 s[6:7], s[4:5]
	s_cbranch_execnz .LBB25_1871
	s_branch .LBB25_1872
.LBB25_3921:
	s_movk_i32 s4, 0x80
	v_cmp_eq_u16_e32 vcc, s4, v9
	s_mov_b64 s[4:5], -1
                                        ; implicit-def: $sgpr10
	s_and_saveexec_b64 s[8:9], vcc
; %bb.3922:
	s_mov_b32 s10, 0x7f800001
	s_xor_b64 s[4:5], exec, -1
; %bb.3923:
	s_or_b64 exec, exec, s[8:9]
	s_and_b64 s[4:5], s[4:5], exec
                                        ; implicit-def: $vgpr9
	s_or_saveexec_b64 s[6:7], s[6:7]
	v_mov_b32_e32 v8, s10
	s_xor_b64 exec, exec, s[6:7]
	s_cbranch_execz .LBB25_1874
.LBB25_3924:
	v_cmp_ne_u16_e32 vcc, 0, v9
	s_andn2_b64 s[4:5], s[4:5], exec
	s_and_b64 s[8:9], vcc, exec
	v_mov_b32_e32 v8, 0
	s_or_b64 s[4:5], s[4:5], s[8:9]
	s_or_b64 exec, exec, s[6:7]
	s_and_saveexec_b64 s[6:7], s[4:5]
	s_cbranch_execnz .LBB25_1875
	s_branch .LBB25_1876
.LBB25_3925:
	s_movk_i32 s4, 0x80
	v_cmp_eq_u16_e32 vcc, s4, v9
	s_mov_b64 s[4:5], -1
                                        ; implicit-def: $sgpr10
	s_and_saveexec_b64 s[8:9], vcc
; %bb.3926:
	s_mov_b32 s10, 0x7f800001
	s_xor_b64 s[4:5], exec, -1
; %bb.3927:
	s_or_b64 exec, exec, s[8:9]
	s_and_b64 s[4:5], s[4:5], exec
                                        ; implicit-def: $vgpr9
	s_or_saveexec_b64 s[6:7], s[6:7]
	v_mov_b32_e32 v12, s10
	s_xor_b64 exec, exec, s[6:7]
	s_cbranch_execz .LBB25_1878
.LBB25_3928:
	v_cmp_ne_u16_e32 vcc, 0, v9
	s_andn2_b64 s[4:5], s[4:5], exec
	s_and_b64 s[8:9], vcc, exec
	v_mov_b32_e32 v12, 0
	s_or_b64 s[4:5], s[4:5], s[8:9]
	s_or_b64 exec, exec, s[6:7]
	s_and_saveexec_b64 s[6:7], s[4:5]
	s_cbranch_execnz .LBB25_1879
	s_branch .LBB25_1880
.LBB25_3929:
	s_movk_i32 s4, 0x80
	v_cmp_eq_u16_sdwa s[12:13], v14, s4 src0_sel:BYTE_3 src1_sel:DWORD
	s_mov_b64 s[4:5], -1
                                        ; implicit-def: $sgpr10
	s_and_saveexec_b64 s[8:9], s[12:13]
; %bb.3930:
	s_mov_b32 s10, 0x7f800001
	s_xor_b64 s[4:5], exec, -1
; %bb.3931:
	s_or_b64 exec, exec, s[8:9]
	s_and_b64 s[4:5], s[4:5], exec
	s_or_saveexec_b64 s[6:7], s[6:7]
	v_mov_b32_e32 v8, s10
	s_xor_b64 exec, exec, s[6:7]
	s_cbranch_execz .LBB25_1882
.LBB25_3932:
	v_mov_b32_e32 v8, 0
	v_cmp_ne_u16_sdwa s[8:9], v14, v8 src0_sel:BYTE_3 src1_sel:DWORD
	s_andn2_b64 s[4:5], s[4:5], exec
	s_and_b64 s[8:9], s[8:9], exec
	s_or_b64 s[4:5], s[4:5], s[8:9]
	s_or_b64 exec, exec, s[6:7]
	s_and_saveexec_b64 s[6:7], s[4:5]
	s_cbranch_execnz .LBB25_1883
	s_branch .LBB25_1884
.LBB25_3933:
	s_movk_i32 s4, 0x80
	v_cmp_eq_u16_sdwa s[12:13], v10, s4 src0_sel:BYTE_3 src1_sel:DWORD
	s_mov_b64 s[4:5], -1
                                        ; implicit-def: $sgpr10
	s_and_saveexec_b64 s[8:9], s[12:13]
; %bb.3934:
	s_mov_b32 s10, 0x7f800001
	s_xor_b64 s[4:5], exec, -1
; %bb.3935:
	s_or_b64 exec, exec, s[8:9]
	s_and_b64 s[4:5], s[4:5], exec
	s_or_saveexec_b64 s[6:7], s[6:7]
	v_mov_b32_e32 v9, s10
	s_xor_b64 exec, exec, s[6:7]
	s_cbranch_execz .LBB25_1886
.LBB25_3936:
	v_mov_b32_e32 v9, 0
	v_cmp_ne_u16_sdwa s[8:9], v10, v9 src0_sel:BYTE_3 src1_sel:DWORD
	s_andn2_b64 s[4:5], s[4:5], exec
	s_and_b64 s[8:9], s[8:9], exec
	s_or_b64 s[4:5], s[4:5], s[8:9]
	s_or_b64 exec, exec, s[6:7]
	s_and_saveexec_b64 s[6:7], s[4:5]
	s_cbranch_execnz .LBB25_1887
	s_branch .LBB25_1888
.LBB25_3937:
	s_movk_i32 s4, 0x80
	v_cmp_eq_u16_sdwa s[12:13], v15, s4 src0_sel:BYTE_0 src1_sel:DWORD
	s_mov_b64 s[4:5], -1
                                        ; implicit-def: $sgpr10
	s_and_saveexec_b64 s[8:9], s[12:13]
; %bb.3938:
	s_mov_b32 s10, 0x7f800001
	s_xor_b64 s[4:5], exec, -1
; %bb.3939:
	s_or_b64 exec, exec, s[8:9]
	s_and_b64 s[4:5], s[4:5], exec
	s_or_saveexec_b64 s[6:7], s[6:7]
	v_mov_b32_e32 v8, s10
	s_xor_b64 exec, exec, s[6:7]
	s_cbranch_execz .LBB25_1890
.LBB25_3940:
	v_mov_b32_e32 v8, 0
	v_cmp_ne_u16_sdwa s[8:9], v15, v8 src0_sel:BYTE_0 src1_sel:DWORD
	s_andn2_b64 s[4:5], s[4:5], exec
	s_and_b64 s[8:9], s[8:9], exec
	s_or_b64 s[4:5], s[4:5], s[8:9]
	s_or_b64 exec, exec, s[6:7]
	s_and_saveexec_b64 s[6:7], s[4:5]
	s_cbranch_execnz .LBB25_1891
	s_branch .LBB25_1892
.LBB25_3941:
	s_movk_i32 s4, 0x80
	v_cmp_eq_u16_sdwa s[12:13], v11, s4 src0_sel:BYTE_0 src1_sel:DWORD
	s_mov_b64 s[4:5], -1
                                        ; implicit-def: $sgpr10
	s_and_saveexec_b64 s[8:9], s[12:13]
; %bb.3942:
	s_mov_b32 s10, 0x7f800001
	s_xor_b64 s[4:5], exec, -1
; %bb.3943:
	s_or_b64 exec, exec, s[8:9]
	s_and_b64 s[4:5], s[4:5], exec
	s_or_saveexec_b64 s[6:7], s[6:7]
	v_mov_b32_e32 v9, s10
	s_xor_b64 exec, exec, s[6:7]
	s_cbranch_execz .LBB25_1894
.LBB25_3944:
	v_mov_b32_e32 v9, 0
	v_cmp_ne_u16_sdwa s[8:9], v11, v9 src0_sel:BYTE_0 src1_sel:DWORD
	s_andn2_b64 s[4:5], s[4:5], exec
	s_and_b64 s[8:9], s[8:9], exec
	s_or_b64 s[4:5], s[4:5], s[8:9]
	s_or_b64 exec, exec, s[6:7]
	s_and_saveexec_b64 s[6:7], s[4:5]
	s_cbranch_execnz .LBB25_1895
	s_branch .LBB25_1896
.LBB25_3945:
	s_movk_i32 s4, 0x80
	v_cmp_eq_u16_sdwa s[12:13], v9, s4 src0_sel:BYTE_0 src1_sel:DWORD
	s_mov_b64 s[4:5], -1
                                        ; implicit-def: $sgpr10
	s_and_saveexec_b64 s[8:9], s[12:13]
; %bb.3946:
	s_mov_b32 s10, 0x7f800001
	s_xor_b64 s[4:5], exec, -1
; %bb.3947:
	s_or_b64 exec, exec, s[8:9]
	s_and_b64 s[4:5], s[4:5], exec
	s_or_saveexec_b64 s[6:7], s[6:7]
	v_mov_b32_e32 v8, s10
	s_xor_b64 exec, exec, s[6:7]
	s_cbranch_execz .LBB25_1898
.LBB25_3948:
	v_mov_b32_e32 v8, 0
	v_cmp_ne_u16_sdwa s[8:9], v9, v8 src0_sel:BYTE_0 src1_sel:DWORD
	s_andn2_b64 s[4:5], s[4:5], exec
	s_and_b64 s[8:9], s[8:9], exec
	s_or_b64 s[4:5], s[4:5], s[8:9]
	s_or_b64 exec, exec, s[6:7]
	s_and_saveexec_b64 s[6:7], s[4:5]
	s_cbranch_execnz .LBB25_1899
	s_branch .LBB25_1900
.LBB25_3949:
	s_movk_i32 s4, 0x80
	v_cmp_eq_u16_sdwa s[12:13], v9, s4 src0_sel:BYTE_0 src1_sel:DWORD
	s_mov_b64 s[4:5], -1
                                        ; implicit-def: $sgpr10
	s_and_saveexec_b64 s[8:9], s[12:13]
; %bb.3950:
	s_mov_b32 s10, 0x7f800001
	s_xor_b64 s[4:5], exec, -1
; %bb.3951:
	s_or_b64 exec, exec, s[8:9]
	s_and_b64 s[4:5], s[4:5], exec
	s_or_saveexec_b64 s[6:7], s[6:7]
	v_mov_b32_e32 v10, s10
	s_xor_b64 exec, exec, s[6:7]
	s_cbranch_execz .LBB25_1902
.LBB25_3952:
	v_mov_b32_e32 v10, 0
	v_cmp_ne_u16_sdwa s[8:9], v9, v10 src0_sel:BYTE_0 src1_sel:DWORD
	s_andn2_b64 s[4:5], s[4:5], exec
	s_and_b64 s[8:9], s[8:9], exec
	s_or_b64 s[4:5], s[4:5], s[8:9]
	s_or_b64 exec, exec, s[6:7]
	s_and_saveexec_b64 s[6:7], s[4:5]
	s_cbranch_execnz .LBB25_1903
	s_branch .LBB25_1904
.LBB25_3953:
	s_movk_i32 s4, 0x80
	v_cmp_eq_u16_e32 vcc, s4, v9
	s_mov_b64 s[4:5], -1
                                        ; implicit-def: $sgpr10
	s_and_saveexec_b64 s[8:9], vcc
; %bb.3954:
	s_mov_b32 s10, 0x7f800001
	s_xor_b64 s[4:5], exec, -1
; %bb.3955:
	s_or_b64 exec, exec, s[8:9]
	s_and_b64 s[4:5], s[4:5], exec
                                        ; implicit-def: $vgpr9
	s_or_saveexec_b64 s[6:7], s[6:7]
	v_mov_b32_e32 v8, s10
	s_xor_b64 exec, exec, s[6:7]
	s_cbranch_execz .LBB25_1906
.LBB25_3956:
	v_cmp_ne_u16_e32 vcc, 0, v9
	s_andn2_b64 s[4:5], s[4:5], exec
	s_and_b64 s[8:9], vcc, exec
	v_mov_b32_e32 v8, 0
	s_or_b64 s[4:5], s[4:5], s[8:9]
	s_or_b64 exec, exec, s[6:7]
	s_and_saveexec_b64 s[6:7], s[4:5]
	s_cbranch_execnz .LBB25_1907
	s_branch .LBB25_1908
.LBB25_3957:
	s_movk_i32 s4, 0x80
	v_cmp_eq_u16_e32 vcc, s4, v9
	s_mov_b64 s[4:5], -1
                                        ; implicit-def: $sgpr10
	s_and_saveexec_b64 s[8:9], vcc
; %bb.3958:
	s_mov_b32 s10, 0x7f800001
	s_xor_b64 s[4:5], exec, -1
; %bb.3959:
	s_or_b64 exec, exec, s[8:9]
	s_and_b64 s[4:5], s[4:5], exec
                                        ; implicit-def: $vgpr9
	s_or_saveexec_b64 s[6:7], s[6:7]
	v_mov_b32_e32 v10, s10
	s_xor_b64 exec, exec, s[6:7]
	s_cbranch_execz .LBB25_1910
.LBB25_3960:
	v_cmp_ne_u16_e32 vcc, 0, v9
	s_andn2_b64 s[4:5], s[4:5], exec
	s_and_b64 s[8:9], vcc, exec
	v_mov_b32_e32 v10, 0
	s_or_b64 s[4:5], s[4:5], s[8:9]
	s_or_b64 exec, exec, s[6:7]
	s_and_saveexec_b64 s[6:7], s[4:5]
	s_cbranch_execnz .LBB25_1911
	s_branch .LBB25_1912
.LBB25_3961:
	s_movk_i32 s4, 0x80
	v_cmp_eq_u16_sdwa s[12:13], v15, s4 src0_sel:BYTE_3 src1_sel:DWORD
	s_mov_b64 s[4:5], -1
                                        ; implicit-def: $sgpr10
	s_and_saveexec_b64 s[8:9], s[12:13]
; %bb.3962:
	s_mov_b32 s10, 0x7f800001
	s_xor_b64 s[4:5], exec, -1
; %bb.3963:
	s_or_b64 exec, exec, s[8:9]
	s_and_b64 s[4:5], s[4:5], exec
	s_or_saveexec_b64 s[6:7], s[6:7]
	v_mov_b32_e32 v8, s10
	s_xor_b64 exec, exec, s[6:7]
	s_cbranch_execz .LBB25_1914
.LBB25_3964:
	v_mov_b32_e32 v8, 0
	v_cmp_ne_u16_sdwa s[8:9], v15, v8 src0_sel:BYTE_3 src1_sel:DWORD
	s_andn2_b64 s[4:5], s[4:5], exec
	s_and_b64 s[8:9], s[8:9], exec
	s_or_b64 s[4:5], s[4:5], s[8:9]
	s_or_b64 exec, exec, s[6:7]
	s_and_saveexec_b64 s[6:7], s[4:5]
	s_cbranch_execnz .LBB25_1915
	s_branch .LBB25_1916
.LBB25_3965:
	s_movk_i32 s4, 0x80
	v_cmp_eq_u16_sdwa s[12:13], v11, s4 src0_sel:BYTE_3 src1_sel:DWORD
	s_mov_b64 s[4:5], -1
                                        ; implicit-def: $sgpr10
	s_and_saveexec_b64 s[8:9], s[12:13]
; %bb.3966:
	s_mov_b32 s10, 0x7f800001
	s_xor_b64 s[4:5], exec, -1
; %bb.3967:
	s_or_b64 exec, exec, s[8:9]
	s_and_b64 s[4:5], s[4:5], exec
	s_or_saveexec_b64 s[6:7], s[6:7]
	v_mov_b32_e32 v9, s10
	s_xor_b64 exec, exec, s[6:7]
	s_cbranch_execz .LBB25_1918
.LBB25_3968:
	v_mov_b32_e32 v9, 0
	v_cmp_ne_u16_sdwa s[8:9], v11, v9 src0_sel:BYTE_3 src1_sel:DWORD
	s_andn2_b64 s[4:5], s[4:5], exec
	s_and_b64 s[8:9], s[8:9], exec
	s_or_b64 s[4:5], s[4:5], s[8:9]
	s_or_b64 exec, exec, s[6:7]
	s_and_saveexec_b64 s[6:7], s[4:5]
	s_cbranch_execnz .LBB25_1919
	s_branch .LBB25_1920
.LBB25_3969:
	s_movk_i32 s4, 0x80
	v_cmp_eq_u16_sdwa s[12:13], v4, s4 src0_sel:BYTE_0 src1_sel:DWORD
	s_mov_b64 s[4:5], -1
                                        ; implicit-def: $sgpr10
	s_and_saveexec_b64 s[8:9], s[12:13]
; %bb.3970:
	s_mov_b32 s10, 0x7f800001
	s_xor_b64 s[4:5], exec, -1
; %bb.3971:
	s_or_b64 exec, exec, s[8:9]
	s_and_b64 s[4:5], s[4:5], exec
	s_or_saveexec_b64 s[6:7], s[6:7]
	v_mov_b32_e32 v8, s10
	s_xor_b64 exec, exec, s[6:7]
	s_cbranch_execz .LBB25_1922
.LBB25_3972:
	v_mov_b32_e32 v8, 0
	v_cmp_ne_u16_sdwa s[8:9], v4, v8 src0_sel:BYTE_0 src1_sel:DWORD
	s_andn2_b64 s[4:5], s[4:5], exec
	s_and_b64 s[8:9], s[8:9], exec
	s_or_b64 s[4:5], s[4:5], s[8:9]
	s_or_b64 exec, exec, s[6:7]
	s_and_saveexec_b64 s[6:7], s[4:5]
	s_cbranch_execnz .LBB25_1923
	s_branch .LBB25_1924
.LBB25_3973:
	s_movk_i32 s4, 0x80
	v_cmp_eq_u16_sdwa s[12:13], v0, s4 src0_sel:BYTE_0 src1_sel:DWORD
	s_mov_b64 s[4:5], -1
                                        ; implicit-def: $sgpr10
	s_and_saveexec_b64 s[8:9], s[12:13]
; %bb.3974:
	s_mov_b32 s10, 0x7f800001
	s_xor_b64 s[4:5], exec, -1
; %bb.3975:
	s_or_b64 exec, exec, s[8:9]
	s_and_b64 s[4:5], s[4:5], exec
	s_or_saveexec_b64 s[6:7], s[6:7]
	v_mov_b32_e32 v9, s10
	s_xor_b64 exec, exec, s[6:7]
	s_cbranch_execz .LBB25_1926
.LBB25_3976:
	v_mov_b32_e32 v9, 0
	v_cmp_ne_u16_sdwa s[8:9], v0, v9 src0_sel:BYTE_0 src1_sel:DWORD
	s_andn2_b64 s[4:5], s[4:5], exec
	s_and_b64 s[8:9], s[8:9], exec
	s_or_b64 s[4:5], s[4:5], s[8:9]
	s_or_b64 exec, exec, s[6:7]
	s_and_saveexec_b64 s[6:7], s[4:5]
	s_cbranch_execnz .LBB25_1927
	s_branch .LBB25_1928
.LBB25_3977:
	s_movk_i32 s4, 0x80
	v_cmp_eq_u16_sdwa s[12:13], v9, s4 src0_sel:BYTE_0 src1_sel:DWORD
	s_mov_b64 s[4:5], -1
                                        ; implicit-def: $sgpr10
	s_and_saveexec_b64 s[8:9], s[12:13]
; %bb.3978:
	s_mov_b32 s10, 0x7f800001
	s_xor_b64 s[4:5], exec, -1
; %bb.3979:
	s_or_b64 exec, exec, s[8:9]
	s_and_b64 s[4:5], s[4:5], exec
	s_or_saveexec_b64 s[6:7], s[6:7]
	v_mov_b32_e32 v8, s10
	s_xor_b64 exec, exec, s[6:7]
	s_cbranch_execz .LBB25_1930
.LBB25_3980:
	v_mov_b32_e32 v8, 0
	v_cmp_ne_u16_sdwa s[8:9], v9, v8 src0_sel:BYTE_0 src1_sel:DWORD
	s_andn2_b64 s[4:5], s[4:5], exec
	s_and_b64 s[8:9], s[8:9], exec
	s_or_b64 s[4:5], s[4:5], s[8:9]
	s_or_b64 exec, exec, s[6:7]
	s_and_saveexec_b64 s[6:7], s[4:5]
	s_cbranch_execnz .LBB25_1931
	s_branch .LBB25_1932
.LBB25_3981:
	s_movk_i32 s4, 0x80
	v_cmp_eq_u16_sdwa s[12:13], v9, s4 src0_sel:BYTE_0 src1_sel:DWORD
	s_mov_b64 s[4:5], -1
                                        ; implicit-def: $sgpr10
	s_and_saveexec_b64 s[8:9], s[12:13]
; %bb.3982:
	s_mov_b32 s10, 0x7f800001
	s_xor_b64 s[4:5], exec, -1
; %bb.3983:
	s_or_b64 exec, exec, s[8:9]
	s_and_b64 s[4:5], s[4:5], exec
	s_or_saveexec_b64 s[6:7], s[6:7]
	v_mov_b32_e32 v10, s10
	s_xor_b64 exec, exec, s[6:7]
	s_cbranch_execz .LBB25_1934
.LBB25_3984:
	v_mov_b32_e32 v10, 0
	v_cmp_ne_u16_sdwa s[8:9], v9, v10 src0_sel:BYTE_0 src1_sel:DWORD
	s_andn2_b64 s[4:5], s[4:5], exec
	s_and_b64 s[8:9], s[8:9], exec
	s_or_b64 s[4:5], s[4:5], s[8:9]
	s_or_b64 exec, exec, s[6:7]
	s_and_saveexec_b64 s[6:7], s[4:5]
	s_cbranch_execnz .LBB25_1935
	s_branch .LBB25_1936
.LBB25_3985:
	s_movk_i32 s4, 0x80
	v_cmp_eq_u16_e32 vcc, s4, v9
	s_mov_b64 s[4:5], -1
                                        ; implicit-def: $sgpr10
	s_and_saveexec_b64 s[8:9], vcc
; %bb.3986:
	s_mov_b32 s10, 0x7f800001
	s_xor_b64 s[4:5], exec, -1
; %bb.3987:
	s_or_b64 exec, exec, s[8:9]
	s_and_b64 s[4:5], s[4:5], exec
                                        ; implicit-def: $vgpr9
	s_or_saveexec_b64 s[6:7], s[6:7]
	v_mov_b32_e32 v8, s10
	s_xor_b64 exec, exec, s[6:7]
	s_cbranch_execz .LBB25_1938
.LBB25_3988:
	v_cmp_ne_u16_e32 vcc, 0, v9
	s_andn2_b64 s[4:5], s[4:5], exec
	s_and_b64 s[8:9], vcc, exec
	v_mov_b32_e32 v8, 0
	s_or_b64 s[4:5], s[4:5], s[8:9]
	s_or_b64 exec, exec, s[6:7]
	s_and_saveexec_b64 s[6:7], s[4:5]
	s_cbranch_execnz .LBB25_1939
	s_branch .LBB25_1940
.LBB25_3989:
	s_movk_i32 s4, 0x80
	v_cmp_eq_u16_e32 vcc, s4, v9
	s_mov_b64 s[4:5], -1
                                        ; implicit-def: $sgpr10
	s_and_saveexec_b64 s[8:9], vcc
; %bb.3990:
	s_mov_b32 s10, 0x7f800001
	s_xor_b64 s[4:5], exec, -1
; %bb.3991:
	s_or_b64 exec, exec, s[8:9]
	s_and_b64 s[4:5], s[4:5], exec
                                        ; implicit-def: $vgpr9
	s_or_saveexec_b64 s[6:7], s[6:7]
	v_mov_b32_e32 v10, s10
	s_xor_b64 exec, exec, s[6:7]
	s_cbranch_execz .LBB25_1942
.LBB25_3992:
	v_cmp_ne_u16_e32 vcc, 0, v9
	s_andn2_b64 s[4:5], s[4:5], exec
	s_and_b64 s[8:9], vcc, exec
	v_mov_b32_e32 v10, 0
	s_or_b64 s[4:5], s[4:5], s[8:9]
	s_or_b64 exec, exec, s[6:7]
	s_and_saveexec_b64 s[6:7], s[4:5]
	s_cbranch_execnz .LBB25_1943
	s_branch .LBB25_1944
.LBB25_3993:
	s_movk_i32 s4, 0x80
	v_cmp_eq_u16_sdwa s[12:13], v4, s4 src0_sel:BYTE_3 src1_sel:DWORD
	s_mov_b64 s[4:5], -1
                                        ; implicit-def: $sgpr10
	s_and_saveexec_b64 s[8:9], s[12:13]
; %bb.3994:
	s_mov_b32 s10, 0x7f800001
	s_xor_b64 s[4:5], exec, -1
; %bb.3995:
	s_or_b64 exec, exec, s[8:9]
	s_and_b64 s[4:5], s[4:5], exec
	s_or_saveexec_b64 s[6:7], s[6:7]
	v_mov_b32_e32 v8, s10
	s_xor_b64 exec, exec, s[6:7]
	s_cbranch_execz .LBB25_1946
.LBB25_3996:
	v_mov_b32_e32 v8, 0
	v_cmp_ne_u16_sdwa s[8:9], v4, v8 src0_sel:BYTE_3 src1_sel:DWORD
	s_andn2_b64 s[4:5], s[4:5], exec
	s_and_b64 s[8:9], s[8:9], exec
	s_or_b64 s[4:5], s[4:5], s[8:9]
	s_or_b64 exec, exec, s[6:7]
	s_and_saveexec_b64 s[6:7], s[4:5]
	s_cbranch_execnz .LBB25_1947
	s_branch .LBB25_1948
.LBB25_3997:
	s_movk_i32 s4, 0x80
	v_cmp_eq_u16_sdwa s[12:13], v0, s4 src0_sel:BYTE_3 src1_sel:DWORD
	s_mov_b64 s[4:5], -1
                                        ; implicit-def: $sgpr10
	s_and_saveexec_b64 s[8:9], s[12:13]
; %bb.3998:
	s_mov_b32 s10, 0x7f800001
	s_xor_b64 s[4:5], exec, -1
; %bb.3999:
	s_or_b64 exec, exec, s[8:9]
	s_and_b64 s[4:5], s[4:5], exec
	s_or_saveexec_b64 s[6:7], s[6:7]
	v_mov_b32_e32 v4, s10
	s_xor_b64 exec, exec, s[6:7]
	s_cbranch_execz .LBB25_1950
.LBB25_4000:
	v_mov_b32_e32 v4, 0
	v_cmp_ne_u16_sdwa s[8:9], v0, v4 src0_sel:BYTE_3 src1_sel:DWORD
	s_andn2_b64 s[4:5], s[4:5], exec
	s_and_b64 s[8:9], s[8:9], exec
	s_or_b64 s[4:5], s[4:5], s[8:9]
	s_or_b64 exec, exec, s[6:7]
	s_and_saveexec_b64 s[6:7], s[4:5]
	s_cbranch_execnz .LBB25_1951
	s_branch .LBB25_1952
.LBB25_4001:
	s_movk_i32 s4, 0x80
	v_cmp_eq_u16_sdwa s[12:13], v5, s4 src0_sel:BYTE_0 src1_sel:DWORD
	s_mov_b64 s[4:5], -1
                                        ; implicit-def: $sgpr10
	s_and_saveexec_b64 s[8:9], s[12:13]
; %bb.4002:
	s_mov_b32 s10, 0x7f800001
	s_xor_b64 s[4:5], exec, -1
; %bb.4003:
	s_or_b64 exec, exec, s[8:9]
	s_and_b64 s[4:5], s[4:5], exec
	s_or_saveexec_b64 s[6:7], s[6:7]
	v_mov_b32_e32 v0, s10
	s_xor_b64 exec, exec, s[6:7]
	s_cbranch_execz .LBB25_1954
.LBB25_4004:
	v_mov_b32_e32 v0, 0
	v_cmp_ne_u16_sdwa s[8:9], v5, v0 src0_sel:BYTE_0 src1_sel:DWORD
	s_andn2_b64 s[4:5], s[4:5], exec
	s_and_b64 s[8:9], s[8:9], exec
	s_or_b64 s[4:5], s[4:5], s[8:9]
	s_or_b64 exec, exec, s[6:7]
	s_and_saveexec_b64 s[6:7], s[4:5]
	s_cbranch_execnz .LBB25_1955
	s_branch .LBB25_1956
.LBB25_4005:
	s_movk_i32 s4, 0x80
	v_cmp_eq_u16_sdwa s[12:13], v1, s4 src0_sel:BYTE_0 src1_sel:DWORD
	s_mov_b64 s[4:5], -1
                                        ; implicit-def: $sgpr10
	s_and_saveexec_b64 s[8:9], s[12:13]
; %bb.4006:
	s_mov_b32 s10, 0x7f800001
	s_xor_b64 s[4:5], exec, -1
; %bb.4007:
	s_or_b64 exec, exec, s[8:9]
	s_and_b64 s[4:5], s[4:5], exec
	s_or_saveexec_b64 s[6:7], s[6:7]
	v_mov_b32_e32 v4, s10
	s_xor_b64 exec, exec, s[6:7]
	s_cbranch_execz .LBB25_1958
.LBB25_4008:
	v_mov_b32_e32 v4, 0
	v_cmp_ne_u16_sdwa s[8:9], v1, v4 src0_sel:BYTE_0 src1_sel:DWORD
	s_andn2_b64 s[4:5], s[4:5], exec
	s_and_b64 s[8:9], s[8:9], exec
	s_or_b64 s[4:5], s[4:5], s[8:9]
	s_or_b64 exec, exec, s[6:7]
	s_and_saveexec_b64 s[6:7], s[4:5]
	s_cbranch_execnz .LBB25_1959
	s_branch .LBB25_1960
.LBB25_4009:
	s_movk_i32 s4, 0x80
	v_cmp_eq_u16_sdwa s[12:13], v4, s4 src0_sel:BYTE_0 src1_sel:DWORD
	s_mov_b64 s[4:5], -1
                                        ; implicit-def: $sgpr10
	s_and_saveexec_b64 s[8:9], s[12:13]
; %bb.4010:
	s_mov_b32 s10, 0x7f800001
	s_xor_b64 s[4:5], exec, -1
; %bb.4011:
	s_or_b64 exec, exec, s[8:9]
	s_and_b64 s[4:5], s[4:5], exec
	s_or_saveexec_b64 s[6:7], s[6:7]
	v_mov_b32_e32 v0, s10
	s_xor_b64 exec, exec, s[6:7]
	s_cbranch_execz .LBB25_1962
.LBB25_4012:
	v_mov_b32_e32 v0, 0
	v_cmp_ne_u16_sdwa s[8:9], v4, v0 src0_sel:BYTE_0 src1_sel:DWORD
	s_andn2_b64 s[4:5], s[4:5], exec
	s_and_b64 s[8:9], s[8:9], exec
	s_or_b64 s[4:5], s[4:5], s[8:9]
	s_or_b64 exec, exec, s[6:7]
	s_and_saveexec_b64 s[6:7], s[4:5]
	s_cbranch_execnz .LBB25_1963
	s_branch .LBB25_1964
.LBB25_4013:
	s_movk_i32 s4, 0x80
	v_cmp_eq_u16_sdwa s[12:13], v4, s4 src0_sel:BYTE_0 src1_sel:DWORD
	s_mov_b64 s[4:5], -1
                                        ; implicit-def: $sgpr10
	s_and_saveexec_b64 s[8:9], s[12:13]
; %bb.4014:
	s_mov_b32 s10, 0x7f800001
	s_xor_b64 s[4:5], exec, -1
; %bb.4015:
	s_or_b64 exec, exec, s[8:9]
	s_and_b64 s[4:5], s[4:5], exec
	s_or_saveexec_b64 s[6:7], s[6:7]
	v_mov_b32_e32 v8, s10
	s_xor_b64 exec, exec, s[6:7]
	s_cbranch_execz .LBB25_1966
.LBB25_4016:
	v_mov_b32_e32 v8, 0
	v_cmp_ne_u16_sdwa s[8:9], v4, v8 src0_sel:BYTE_0 src1_sel:DWORD
	s_andn2_b64 s[4:5], s[4:5], exec
	s_and_b64 s[8:9], s[8:9], exec
	s_or_b64 s[4:5], s[4:5], s[8:9]
	s_or_b64 exec, exec, s[6:7]
	s_and_saveexec_b64 s[6:7], s[4:5]
	s_cbranch_execnz .LBB25_1967
	s_branch .LBB25_1968
.LBB25_4017:
	s_movk_i32 s4, 0x80
	v_cmp_eq_u16_e32 vcc, s4, v4
	s_mov_b64 s[4:5], -1
                                        ; implicit-def: $sgpr10
	s_and_saveexec_b64 s[8:9], vcc
; %bb.4018:
	s_mov_b32 s10, 0x7f800001
	s_xor_b64 s[4:5], exec, -1
; %bb.4019:
	s_or_b64 exec, exec, s[8:9]
	s_and_b64 s[4:5], s[4:5], exec
                                        ; implicit-def: $vgpr4
	s_or_saveexec_b64 s[6:7], s[6:7]
	v_mov_b32_e32 v0, s10
	s_xor_b64 exec, exec, s[6:7]
	s_cbranch_execz .LBB25_1970
.LBB25_4020:
	v_cmp_ne_u16_e32 vcc, 0, v4
	s_andn2_b64 s[4:5], s[4:5], exec
	s_and_b64 s[8:9], vcc, exec
	v_mov_b32_e32 v0, 0
	s_or_b64 s[4:5], s[4:5], s[8:9]
	s_or_b64 exec, exec, s[6:7]
	s_and_saveexec_b64 s[6:7], s[4:5]
	s_cbranch_execnz .LBB25_1971
	s_branch .LBB25_1972
.LBB25_4021:
	s_movk_i32 s4, 0x80
	v_cmp_eq_u16_e32 vcc, s4, v4
	s_mov_b64 s[4:5], -1
                                        ; implicit-def: $sgpr10
	s_and_saveexec_b64 s[8:9], vcc
; %bb.4022:
	s_mov_b32 s10, 0x7f800001
	s_xor_b64 s[4:5], exec, -1
; %bb.4023:
	s_or_b64 exec, exec, s[8:9]
	s_and_b64 s[4:5], s[4:5], exec
                                        ; implicit-def: $vgpr4
	s_or_saveexec_b64 s[6:7], s[6:7]
	v_mov_b32_e32 v8, s10
	s_xor_b64 exec, exec, s[6:7]
	s_cbranch_execz .LBB25_1974
.LBB25_4024:
	v_cmp_ne_u16_e32 vcc, 0, v4
	s_andn2_b64 s[4:5], s[4:5], exec
	s_and_b64 s[8:9], vcc, exec
	v_mov_b32_e32 v8, 0
	s_or_b64 s[4:5], s[4:5], s[8:9]
	s_or_b64 exec, exec, s[6:7]
	s_and_saveexec_b64 s[6:7], s[4:5]
	s_cbranch_execnz .LBB25_1975
	s_branch .LBB25_1976
.LBB25_4025:
	s_movk_i32 s4, 0x80
	v_cmp_eq_u16_sdwa s[12:13], v5, s4 src0_sel:BYTE_3 src1_sel:DWORD
	s_mov_b64 s[4:5], -1
                                        ; implicit-def: $sgpr10
	s_and_saveexec_b64 s[8:9], s[12:13]
; %bb.4026:
	s_mov_b32 s10, 0x7f800001
	s_xor_b64 s[4:5], exec, -1
; %bb.4027:
	s_or_b64 exec, exec, s[8:9]
	s_and_b64 s[4:5], s[4:5], exec
	s_or_saveexec_b64 s[6:7], s[6:7]
	v_mov_b32_e32 v0, s10
	s_xor_b64 exec, exec, s[6:7]
	s_cbranch_execz .LBB25_1978
.LBB25_4028:
	v_mov_b32_e32 v0, 0
	v_cmp_ne_u16_sdwa s[8:9], v5, v0 src0_sel:BYTE_3 src1_sel:DWORD
	s_andn2_b64 s[4:5], s[4:5], exec
	s_and_b64 s[8:9], s[8:9], exec
	s_or_b64 s[4:5], s[4:5], s[8:9]
	s_or_b64 exec, exec, s[6:7]
	s_and_saveexec_b64 s[6:7], s[4:5]
	s_cbranch_execnz .LBB25_1979
	s_branch .LBB25_1980
.LBB25_4029:
	s_movk_i32 s4, 0x80
	v_cmp_eq_u16_sdwa s[12:13], v1, s4 src0_sel:BYTE_3 src1_sel:DWORD
	s_mov_b64 s[4:5], -1
                                        ; implicit-def: $sgpr10
	s_and_saveexec_b64 s[8:9], s[12:13]
; %bb.4030:
	s_mov_b32 s10, 0x7f800001
	s_xor_b64 s[4:5], exec, -1
; %bb.4031:
	s_or_b64 exec, exec, s[8:9]
	s_and_b64 s[4:5], s[4:5], exec
	s_or_saveexec_b64 s[6:7], s[6:7]
	v_mov_b32_e32 v4, s10
	s_xor_b64 exec, exec, s[6:7]
	s_cbranch_execz .LBB25_1982
.LBB25_4032:
	v_mov_b32_e32 v4, 0
	v_cmp_ne_u16_sdwa s[8:9], v1, v4 src0_sel:BYTE_3 src1_sel:DWORD
	s_andn2_b64 s[4:5], s[4:5], exec
	s_and_b64 s[8:9], s[8:9], exec
	s_or_b64 s[4:5], s[4:5], s[8:9]
	s_or_b64 exec, exec, s[6:7]
	s_and_saveexec_b64 s[6:7], s[4:5]
	s_cbranch_execnz .LBB25_1983
	s_branch .LBB25_1984
.LBB25_4033:
	s_movk_i32 s4, 0x80
	v_cmp_eq_u16_sdwa s[12:13], v6, s4 src0_sel:BYTE_0 src1_sel:DWORD
	s_mov_b64 s[4:5], -1
                                        ; implicit-def: $sgpr10
	s_and_saveexec_b64 s[8:9], s[12:13]
; %bb.4034:
	s_mov_b32 s10, 0x7f800001
	s_xor_b64 s[4:5], exec, -1
; %bb.4035:
	s_or_b64 exec, exec, s[8:9]
	s_and_b64 s[4:5], s[4:5], exec
	s_or_saveexec_b64 s[6:7], s[6:7]
	v_mov_b32_e32 v0, s10
	s_xor_b64 exec, exec, s[6:7]
	s_cbranch_execz .LBB25_1986
.LBB25_4036:
	v_mov_b32_e32 v0, 0
	v_cmp_ne_u16_sdwa s[8:9], v6, v0 src0_sel:BYTE_0 src1_sel:DWORD
	s_andn2_b64 s[4:5], s[4:5], exec
	s_and_b64 s[8:9], s[8:9], exec
	s_or_b64 s[4:5], s[4:5], s[8:9]
	s_or_b64 exec, exec, s[6:7]
	s_and_saveexec_b64 s[6:7], s[4:5]
	s_cbranch_execnz .LBB25_1987
	s_branch .LBB25_1988
.LBB25_4037:
	s_movk_i32 s4, 0x80
	v_cmp_eq_u16_sdwa s[12:13], v2, s4 src0_sel:BYTE_0 src1_sel:DWORD
	s_mov_b64 s[4:5], -1
                                        ; implicit-def: $sgpr10
	s_and_saveexec_b64 s[8:9], s[12:13]
; %bb.4038:
	s_mov_b32 s10, 0x7f800001
	s_xor_b64 s[4:5], exec, -1
; %bb.4039:
	s_or_b64 exec, exec, s[8:9]
	s_and_b64 s[4:5], s[4:5], exec
	s_or_saveexec_b64 s[6:7], s[6:7]
	v_mov_b32_e32 v1, s10
	s_xor_b64 exec, exec, s[6:7]
	s_cbranch_execz .LBB25_1990
.LBB25_4040:
	v_mov_b32_e32 v1, 0
	v_cmp_ne_u16_sdwa s[8:9], v2, v1 src0_sel:BYTE_0 src1_sel:DWORD
	s_andn2_b64 s[4:5], s[4:5], exec
	s_and_b64 s[8:9], s[8:9], exec
	s_or_b64 s[4:5], s[4:5], s[8:9]
	s_or_b64 exec, exec, s[6:7]
	s_and_saveexec_b64 s[6:7], s[4:5]
	s_cbranch_execnz .LBB25_1991
	s_branch .LBB25_1992
.LBB25_4041:
	s_movk_i32 s4, 0x80
	v_cmp_eq_u16_sdwa s[12:13], v1, s4 src0_sel:BYTE_0 src1_sel:DWORD
	s_mov_b64 s[4:5], -1
                                        ; implicit-def: $sgpr10
	s_and_saveexec_b64 s[8:9], s[12:13]
; %bb.4042:
	s_mov_b32 s10, 0x7f800001
	s_xor_b64 s[4:5], exec, -1
; %bb.4043:
	s_or_b64 exec, exec, s[8:9]
	s_and_b64 s[4:5], s[4:5], exec
	s_or_saveexec_b64 s[6:7], s[6:7]
	v_mov_b32_e32 v0, s10
	s_xor_b64 exec, exec, s[6:7]
	s_cbranch_execz .LBB25_1994
.LBB25_4044:
	v_mov_b32_e32 v0, 0
	v_cmp_ne_u16_sdwa s[8:9], v1, v0 src0_sel:BYTE_0 src1_sel:DWORD
	s_andn2_b64 s[4:5], s[4:5], exec
	s_and_b64 s[8:9], s[8:9], exec
	s_or_b64 s[4:5], s[4:5], s[8:9]
	s_or_b64 exec, exec, s[6:7]
	s_and_saveexec_b64 s[6:7], s[4:5]
	s_cbranch_execnz .LBB25_1995
	s_branch .LBB25_1996
.LBB25_4045:
	s_movk_i32 s4, 0x80
	v_cmp_eq_u16_sdwa s[12:13], v1, s4 src0_sel:BYTE_0 src1_sel:DWORD
	s_mov_b64 s[4:5], -1
                                        ; implicit-def: $sgpr10
	s_and_saveexec_b64 s[8:9], s[12:13]
; %bb.4046:
	s_mov_b32 s10, 0x7f800001
	s_xor_b64 s[4:5], exec, -1
; %bb.4047:
	s_or_b64 exec, exec, s[8:9]
	s_and_b64 s[4:5], s[4:5], exec
	s_or_saveexec_b64 s[6:7], s[6:7]
	v_mov_b32_e32 v4, s10
	s_xor_b64 exec, exec, s[6:7]
	s_cbranch_execz .LBB25_1998
.LBB25_4048:
	v_mov_b32_e32 v4, 0
	v_cmp_ne_u16_sdwa s[8:9], v1, v4 src0_sel:BYTE_0 src1_sel:DWORD
	s_andn2_b64 s[4:5], s[4:5], exec
	s_and_b64 s[8:9], s[8:9], exec
	s_or_b64 s[4:5], s[4:5], s[8:9]
	s_or_b64 exec, exec, s[6:7]
	s_and_saveexec_b64 s[6:7], s[4:5]
	s_cbranch_execnz .LBB25_1999
	s_branch .LBB25_2000
.LBB25_4049:
	s_movk_i32 s4, 0x80
	v_cmp_eq_u16_e32 vcc, s4, v1
	s_mov_b64 s[4:5], -1
                                        ; implicit-def: $sgpr10
	s_and_saveexec_b64 s[8:9], vcc
; %bb.4050:
	s_mov_b32 s10, 0x7f800001
	s_xor_b64 s[4:5], exec, -1
; %bb.4051:
	s_or_b64 exec, exec, s[8:9]
	s_and_b64 s[4:5], s[4:5], exec
                                        ; implicit-def: $vgpr1
	s_or_saveexec_b64 s[6:7], s[6:7]
	v_mov_b32_e32 v0, s10
	s_xor_b64 exec, exec, s[6:7]
	s_cbranch_execz .LBB25_2002
.LBB25_4052:
	v_cmp_ne_u16_e32 vcc, 0, v1
	s_andn2_b64 s[4:5], s[4:5], exec
	s_and_b64 s[8:9], vcc, exec
	v_mov_b32_e32 v0, 0
	s_or_b64 s[4:5], s[4:5], s[8:9]
	s_or_b64 exec, exec, s[6:7]
	s_and_saveexec_b64 s[6:7], s[4:5]
	s_cbranch_execnz .LBB25_2003
	s_branch .LBB25_2004
.LBB25_4053:
	s_movk_i32 s4, 0x80
	v_cmp_eq_u16_e32 vcc, s4, v1
	s_mov_b64 s[4:5], -1
                                        ; implicit-def: $sgpr10
	s_and_saveexec_b64 s[8:9], vcc
; %bb.4054:
	s_mov_b32 s10, 0x7f800001
	s_xor_b64 s[4:5], exec, -1
; %bb.4055:
	s_or_b64 exec, exec, s[8:9]
	s_and_b64 s[4:5], s[4:5], exec
                                        ; implicit-def: $vgpr1
	s_or_saveexec_b64 s[6:7], s[6:7]
	v_mov_b32_e32 v4, s10
	s_xor_b64 exec, exec, s[6:7]
	s_cbranch_execz .LBB25_2006
.LBB25_4056:
	v_cmp_ne_u16_e32 vcc, 0, v1
	s_andn2_b64 s[4:5], s[4:5], exec
	s_and_b64 s[8:9], vcc, exec
	v_mov_b32_e32 v4, 0
	s_or_b64 s[4:5], s[4:5], s[8:9]
	s_or_b64 exec, exec, s[6:7]
	s_and_saveexec_b64 s[6:7], s[4:5]
	s_cbranch_execnz .LBB25_2007
	s_branch .LBB25_2008
.LBB25_4057:
	s_movk_i32 s4, 0x80
	v_cmp_eq_u16_sdwa s[12:13], v6, s4 src0_sel:BYTE_3 src1_sel:DWORD
	s_mov_b64 s[4:5], -1
                                        ; implicit-def: $sgpr10
	s_and_saveexec_b64 s[8:9], s[12:13]
; %bb.4058:
	s_mov_b32 s10, 0x7f800001
	s_xor_b64 s[4:5], exec, -1
; %bb.4059:
	s_or_b64 exec, exec, s[8:9]
	s_and_b64 s[4:5], s[4:5], exec
	s_or_saveexec_b64 s[6:7], s[6:7]
	v_mov_b32_e32 v0, s10
	s_xor_b64 exec, exec, s[6:7]
	s_cbranch_execz .LBB25_2010
.LBB25_4060:
	v_mov_b32_e32 v0, 0
	v_cmp_ne_u16_sdwa s[8:9], v6, v0 src0_sel:BYTE_3 src1_sel:DWORD
	s_andn2_b64 s[4:5], s[4:5], exec
	s_and_b64 s[8:9], s[8:9], exec
	s_or_b64 s[4:5], s[4:5], s[8:9]
	s_or_b64 exec, exec, s[6:7]
	s_and_saveexec_b64 s[6:7], s[4:5]
	s_cbranch_execnz .LBB25_2011
	s_branch .LBB25_2012
.LBB25_4061:
	s_movk_i32 s4, 0x80
	v_cmp_eq_u16_sdwa s[12:13], v2, s4 src0_sel:BYTE_3 src1_sel:DWORD
	s_mov_b64 s[4:5], -1
                                        ; implicit-def: $sgpr10
	s_and_saveexec_b64 s[8:9], s[12:13]
; %bb.4062:
	s_mov_b32 s10, 0x7f800001
	s_xor_b64 s[4:5], exec, -1
; %bb.4063:
	s_or_b64 exec, exec, s[8:9]
	s_and_b64 s[4:5], s[4:5], exec
	s_or_saveexec_b64 s[6:7], s[6:7]
	v_mov_b32_e32 v1, s10
	s_xor_b64 exec, exec, s[6:7]
	s_cbranch_execz .LBB25_2014
.LBB25_4064:
	v_mov_b32_e32 v1, 0
	v_cmp_ne_u16_sdwa s[8:9], v2, v1 src0_sel:BYTE_3 src1_sel:DWORD
	s_andn2_b64 s[4:5], s[4:5], exec
	s_and_b64 s[8:9], s[8:9], exec
	s_or_b64 s[4:5], s[4:5], s[8:9]
	s_or_b64 exec, exec, s[6:7]
	s_and_saveexec_b64 s[6:7], s[4:5]
	s_cbranch_execnz .LBB25_2015
	s_branch .LBB25_2016
.LBB25_4065:
	s_movk_i32 s4, 0x80
	v_cmp_eq_u16_sdwa s[12:13], v7, s4 src0_sel:BYTE_0 src1_sel:DWORD
	s_mov_b64 s[4:5], -1
                                        ; implicit-def: $sgpr10
	s_and_saveexec_b64 s[8:9], s[12:13]
; %bb.4066:
	s_mov_b32 s10, 0x7f800001
	s_xor_b64 s[4:5], exec, -1
; %bb.4067:
	s_or_b64 exec, exec, s[8:9]
	s_and_b64 s[4:5], s[4:5], exec
	s_or_saveexec_b64 s[6:7], s[6:7]
	v_mov_b32_e32 v0, s10
	s_xor_b64 exec, exec, s[6:7]
	s_cbranch_execz .LBB25_2018
.LBB25_4068:
	v_mov_b32_e32 v0, 0
	v_cmp_ne_u16_sdwa s[8:9], v7, v0 src0_sel:BYTE_0 src1_sel:DWORD
	s_andn2_b64 s[4:5], s[4:5], exec
	s_and_b64 s[8:9], s[8:9], exec
	s_or_b64 s[4:5], s[4:5], s[8:9]
	s_or_b64 exec, exec, s[6:7]
	s_and_saveexec_b64 s[6:7], s[4:5]
	s_cbranch_execnz .LBB25_2019
	s_branch .LBB25_2020
.LBB25_4069:
	s_movk_i32 s4, 0x80
	v_cmp_eq_u16_sdwa s[12:13], v3, s4 src0_sel:BYTE_0 src1_sel:DWORD
	s_mov_b64 s[4:5], -1
                                        ; implicit-def: $sgpr10
	s_and_saveexec_b64 s[8:9], s[12:13]
; %bb.4070:
	s_mov_b32 s10, 0x7f800001
	s_xor_b64 s[4:5], exec, -1
; %bb.4071:
	s_or_b64 exec, exec, s[8:9]
	s_and_b64 s[4:5], s[4:5], exec
	s_or_saveexec_b64 s[6:7], s[6:7]
	v_mov_b32_e32 v1, s10
	s_xor_b64 exec, exec, s[6:7]
	s_cbranch_execz .LBB25_2022
.LBB25_4072:
	v_mov_b32_e32 v1, 0
	v_cmp_ne_u16_sdwa s[8:9], v3, v1 src0_sel:BYTE_0 src1_sel:DWORD
	s_andn2_b64 s[4:5], s[4:5], exec
	s_and_b64 s[8:9], s[8:9], exec
	s_or_b64 s[4:5], s[4:5], s[8:9]
	s_or_b64 exec, exec, s[6:7]
	s_and_saveexec_b64 s[6:7], s[4:5]
	s_cbranch_execnz .LBB25_2023
	s_branch .LBB25_2024
.LBB25_4073:
	s_movk_i32 s4, 0x80
	v_cmp_eq_u16_sdwa s[12:13], v1, s4 src0_sel:BYTE_0 src1_sel:DWORD
	s_mov_b64 s[4:5], -1
                                        ; implicit-def: $sgpr10
	s_and_saveexec_b64 s[8:9], s[12:13]
; %bb.4074:
	s_mov_b32 s10, 0x7f800001
	s_xor_b64 s[4:5], exec, -1
; %bb.4075:
	s_or_b64 exec, exec, s[8:9]
	s_and_b64 s[4:5], s[4:5], exec
	s_or_saveexec_b64 s[6:7], s[6:7]
	v_mov_b32_e32 v0, s10
	s_xor_b64 exec, exec, s[6:7]
	s_cbranch_execz .LBB25_2026
.LBB25_4076:
	v_mov_b32_e32 v0, 0
	v_cmp_ne_u16_sdwa s[8:9], v1, v0 src0_sel:BYTE_0 src1_sel:DWORD
	s_andn2_b64 s[4:5], s[4:5], exec
	s_and_b64 s[8:9], s[8:9], exec
	s_or_b64 s[4:5], s[4:5], s[8:9]
	s_or_b64 exec, exec, s[6:7]
	s_and_saveexec_b64 s[6:7], s[4:5]
	s_cbranch_execnz .LBB25_2027
	s_branch .LBB25_2028
.LBB25_4077:
	s_movk_i32 s4, 0x80
	v_cmp_eq_u16_sdwa s[12:13], v1, s4 src0_sel:BYTE_0 src1_sel:DWORD
	s_mov_b64 s[4:5], -1
                                        ; implicit-def: $sgpr10
	s_and_saveexec_b64 s[8:9], s[12:13]
; %bb.4078:
	s_mov_b32 s10, 0x7f800001
	s_xor_b64 s[4:5], exec, -1
; %bb.4079:
	s_or_b64 exec, exec, s[8:9]
	s_and_b64 s[4:5], s[4:5], exec
	s_or_saveexec_b64 s[6:7], s[6:7]
	v_mov_b32_e32 v2, s10
	s_xor_b64 exec, exec, s[6:7]
	s_cbranch_execz .LBB25_2030
.LBB25_4080:
	v_mov_b32_e32 v2, 0
	v_cmp_ne_u16_sdwa s[8:9], v1, v2 src0_sel:BYTE_0 src1_sel:DWORD
	s_andn2_b64 s[4:5], s[4:5], exec
	s_and_b64 s[8:9], s[8:9], exec
	s_or_b64 s[4:5], s[4:5], s[8:9]
	s_or_b64 exec, exec, s[6:7]
	s_and_saveexec_b64 s[6:7], s[4:5]
	s_cbranch_execnz .LBB25_2031
	s_branch .LBB25_2032
.LBB25_4081:
	s_movk_i32 s4, 0x80
	v_cmp_eq_u16_e32 vcc, s4, v1
	s_mov_b64 s[4:5], -1
                                        ; implicit-def: $sgpr10
	s_and_saveexec_b64 s[8:9], vcc
; %bb.4082:
	s_mov_b32 s10, 0x7f800001
	s_xor_b64 s[4:5], exec, -1
; %bb.4083:
	s_or_b64 exec, exec, s[8:9]
	s_and_b64 s[4:5], s[4:5], exec
                                        ; implicit-def: $vgpr1
	s_or_saveexec_b64 s[6:7], s[6:7]
	v_mov_b32_e32 v0, s10
	s_xor_b64 exec, exec, s[6:7]
	s_cbranch_execz .LBB25_2034
.LBB25_4084:
	v_cmp_ne_u16_e32 vcc, 0, v1
	s_andn2_b64 s[4:5], s[4:5], exec
	s_and_b64 s[8:9], vcc, exec
	v_mov_b32_e32 v0, 0
	s_or_b64 s[4:5], s[4:5], s[8:9]
	s_or_b64 exec, exec, s[6:7]
	s_and_saveexec_b64 s[6:7], s[4:5]
	s_cbranch_execnz .LBB25_2035
	s_branch .LBB25_2036
.LBB25_4085:
	s_movk_i32 s4, 0x80
	v_cmp_eq_u16_e32 vcc, s4, v1
	s_mov_b64 s[4:5], -1
                                        ; implicit-def: $sgpr10
	s_and_saveexec_b64 s[8:9], vcc
; %bb.4086:
	s_mov_b32 s10, 0x7f800001
	s_xor_b64 s[4:5], exec, -1
; %bb.4087:
	s_or_b64 exec, exec, s[8:9]
	s_and_b64 s[4:5], s[4:5], exec
                                        ; implicit-def: $vgpr1
	s_or_saveexec_b64 s[6:7], s[6:7]
	v_mov_b32_e32 v2, s10
	s_xor_b64 exec, exec, s[6:7]
	s_cbranch_execz .LBB25_2038
.LBB25_4088:
	v_cmp_ne_u16_e32 vcc, 0, v1
	s_andn2_b64 s[4:5], s[4:5], exec
	s_and_b64 s[8:9], vcc, exec
	v_mov_b32_e32 v2, 0
	s_or_b64 s[4:5], s[4:5], s[8:9]
	s_or_b64 exec, exec, s[6:7]
	s_and_saveexec_b64 s[6:7], s[4:5]
	s_cbranch_execnz .LBB25_2039
	s_branch .LBB25_2040
.LBB25_4089:
	s_movk_i32 s4, 0x80
	v_cmp_eq_u16_sdwa s[12:13], v7, s4 src0_sel:BYTE_3 src1_sel:DWORD
	s_mov_b64 s[4:5], -1
                                        ; implicit-def: $sgpr10
	s_and_saveexec_b64 s[8:9], s[12:13]
; %bb.4090:
	s_mov_b32 s10, 0x7f800001
	s_xor_b64 s[4:5], exec, -1
; %bb.4091:
	s_or_b64 exec, exec, s[8:9]
	s_and_b64 s[4:5], s[4:5], exec
	s_or_saveexec_b64 s[6:7], s[6:7]
	v_mov_b32_e32 v0, s10
	s_xor_b64 exec, exec, s[6:7]
	s_cbranch_execz .LBB25_2042
.LBB25_4092:
	v_mov_b32_e32 v0, 0
	v_cmp_ne_u16_sdwa s[8:9], v7, v0 src0_sel:BYTE_3 src1_sel:DWORD
	s_andn2_b64 s[4:5], s[4:5], exec
	s_and_b64 s[8:9], s[8:9], exec
	s_or_b64 s[4:5], s[4:5], s[8:9]
	s_or_b64 exec, exec, s[6:7]
	s_and_saveexec_b64 s[6:7], s[4:5]
	s_cbranch_execnz .LBB25_2043
	s_branch .LBB25_2044
.LBB25_4093:
	s_movk_i32 s4, 0x80
	v_cmp_eq_u16_sdwa s[12:13], v3, s4 src0_sel:BYTE_3 src1_sel:DWORD
	s_mov_b64 s[4:5], -1
                                        ; implicit-def: $sgpr10
	s_and_saveexec_b64 s[8:9], s[12:13]
; %bb.4094:
	s_mov_b32 s10, 0x7f800001
	s_xor_b64 s[4:5], exec, -1
; %bb.4095:
	s_or_b64 exec, exec, s[8:9]
	s_and_b64 s[4:5], s[4:5], exec
	s_or_saveexec_b64 s[6:7], s[6:7]
	v_mov_b32_e32 v1, s10
	s_xor_b64 exec, exec, s[6:7]
	s_cbranch_execz .LBB25_2046
.LBB25_4096:
	v_mov_b32_e32 v1, 0
	v_cmp_ne_u16_sdwa s[8:9], v3, v1 src0_sel:BYTE_3 src1_sel:DWORD
	s_andn2_b64 s[4:5], s[4:5], exec
	s_and_b64 s[8:9], s[8:9], exec
	s_or_b64 s[4:5], s[4:5], s[8:9]
	s_or_b64 exec, exec, s[6:7]
	s_and_saveexec_b64 s[6:7], s[4:5]
	s_cbranch_execnz .LBB25_2047
	s_branch .LBB25_2048
.Lfunc_end25:
	.size	_ZNK2ck6detail7applierIiJLi0ELi1ELi2ELi3ELi4ELi5ELi6ELi7EEEclIZNKS_11static_fordINS_8SequenceIJLi1ELi8EEEENS5_IJLi0ELi1EEEEEclIZZNKS_52BlockwiseGemmXdlops_pipeline_bpreshuffle_bdequant_v3ILNS_26BlockGemmPipelineSchedulerE0ELi256ENS_9f8_fnuz_tENS_7pk_i4_tESC_fNS_16TensorDescriptorINS_5TupleIJNS_5EmbedINSF_IJNS_17integral_constantIiLi8EEENSH_IiLi256EEENSH_IiLi16EEEEEENSF_IJSK_NSH_IiLi128EEENSH_IiLi1EEEEEELb0EEENS_3XorINSF_IJSJ_SI_EEELb1EEENS_11PassThroughISK_EENS_7UnMergeINSF_IJSI_SN_EEELb0EEENST_ISJ_EESU_NST_ISI_EENS_21Merge_v3_division_modINSF_IJSJ_SN_EEEEESU_EEENSF_IJNS5_IJLi0EEEENS5_IJLi2ELi1EEEENS5_IJLi3EEEENS5_IJLi5EEEENS5_IJLi4EEEENS5_IJLi6EEEENS5_IJLi7EEEENS5_IJLi9ELi8EEEENS5_IJLi10EEEEEEENSF_IJNS5_IJLi1ELi2ELi3EEEENS5_IJLi4ELi5EEEES19_NS5_IJLi7ELi8EEEENS5_IJLi9EEEES1C_NS5_IJLi11EEEENS5_IJLi12EEEENS5_IJLi13EEEEEEENS5_IJLi11ELi12ELi13EEEENSH_IlLl32768EEEEENSE_INSF_IJNSV_INSF_IJSI_SN_SN_NSH_IiLi32EEEEEELb0EEEEEENSF_IJS14_EEENSF_IJNS5_IJLi1ELi2ELi3ELi4EEEEEEES1U_NSH_IlLl256EEEEENSE_INSF_IJSP_SS_SU_SX_SY_SU_SZ_S12_SU_NS10_INSF_IJSI_SK_EEEEENSV_INSF_IJSI_NSH_IiLi2EEESK_EEELb0EEEEEENSF_IJS14_S15_S16_S17_S18_S19_S1A_S1B_S1C_NS5_IJLi11ELi13EEEES1J_EEENSF_IJS1E_S1F_S19_S1G_S1H_S1C_S1I_S1J_S1K_NS5_IJLi14EEEENS5_IJLi15ELi16ELi17EEEEEEENS5_IJLi15ELi16ELi17ELi14EEEES1N_EENSE_INSF_IJS1R_NS10_ISW_EES22_EEENSF_IJS14_NS5_IJLi1ELi3EEEENS5_IJLi2EEEEEEENSF_IJS1U_S17_NS5_IJLi6ELi7ELi8EEEEEEENS5_IJLi6ELi7ELi8ELi5EEEES1W_EELi16ELi32ELi256ELi256ELi128ELi16ELi16ELi8ELi8ELi32ELb0EE3RunILb1ELNS_10TailNumberE0ENSE_INSF_IJNSG_INSF_IJiiEEENSF_IJiSN_EEELb0EEENSV_IS2N_Lb0EEENST_IiEEEEENSF_IJS14_S2E_NS5_IJLi1EEEEEEENSF_IJNS5_IJLi1ELi2EEEENS5_IJLi3ELi4EEEES17_EEENS5_IJLi3ELi5ELi4EEEElEES1O_NS_35ThreadGroupTensorSliceTransfer_v4r1INS_15ThisThreadBlockILi256EEENS_16tensor_operation12element_wise11PassThroughES35_LNS_25InMemoryDataOperationEnumE0ENS5_IJLi8ELi256ELi16EEEENS5_IJLi8ELi32ELi1EEEENS5_IJLi1ELi0ELi2EEEESC_SC_RKS2Z_KS1O_S39_NS5_IJLi0ELi1ELi2EEEELi2ELi2ELi16ELi16ELi1ELi1ELb0ELb1ELi2EiEENS_13DynamicBufferILNS_16AddressSpaceEnumE1EKSC_lLb1ELNS_22AmdBufferCoherenceEnumE0EiEENSF_IJNS3F_ILS3G_2ESC_S1N_Lb1ELS3I_0EiEES3K_EEENSF_IJiiiEEENSE_INSF_IJNSG_INSF_IJiiiiEEENSF_IJiiiSN_EEELb0EEEEEES1T_S1V_S1U_lEENS_32ThreadwiseTensorSliceTransfer_v2ISD_SD_RKS3R_KS1X_NS5_IJLi8ELi1ELi1ELi32EEEENS5_IJLi1ELi2ELi0ELi3EEEELi3ELi32ELi0ELb1ELb0ELb0EEENS3F_ILS3G_1EKSD_lLb1ELS3I_0EiEENSF_IJNS_12StaticBufferILS3G_4ESD_Li256ELb1EEES42_EEES3N_NS_25StaticBufferTupleOfVectorILS3G_4EfLi64ELi4ELb1ELb0EEEEEvRKT1_RKT2_RT3_RKT4_RT5_RKT6_RKT7_RT8_RKT9_RT10_RKT11_RT12_iENKUlT_E0_clINSH_IiLi7EEEEEDaS51_EUlS51_E_EEvS51_EUlS51_E_EEvS51_, .Lfunc_end25-_ZNK2ck6detail7applierIiJLi0ELi1ELi2ELi3ELi4ELi5ELi6ELi7EEEclIZNKS_11static_fordINS_8SequenceIJLi1ELi8EEEENS5_IJLi0ELi1EEEEEclIZZNKS_52BlockwiseGemmXdlops_pipeline_bpreshuffle_bdequant_v3ILNS_26BlockGemmPipelineSchedulerE0ELi256ENS_9f8_fnuz_tENS_7pk_i4_tESC_fNS_16TensorDescriptorINS_5TupleIJNS_5EmbedINSF_IJNS_17integral_constantIiLi8EEENSH_IiLi256EEENSH_IiLi16EEEEEENSF_IJSK_NSH_IiLi128EEENSH_IiLi1EEEEEELb0EEENS_3XorINSF_IJSJ_SI_EEELb1EEENS_11PassThroughISK_EENS_7UnMergeINSF_IJSI_SN_EEELb0EEENST_ISJ_EESU_NST_ISI_EENS_21Merge_v3_division_modINSF_IJSJ_SN_EEEEESU_EEENSF_IJNS5_IJLi0EEEENS5_IJLi2ELi1EEEENS5_IJLi3EEEENS5_IJLi5EEEENS5_IJLi4EEEENS5_IJLi6EEEENS5_IJLi7EEEENS5_IJLi9ELi8EEEENS5_IJLi10EEEEEEENSF_IJNS5_IJLi1ELi2ELi3EEEENS5_IJLi4ELi5EEEES19_NS5_IJLi7ELi8EEEENS5_IJLi9EEEES1C_NS5_IJLi11EEEENS5_IJLi12EEEENS5_IJLi13EEEEEEENS5_IJLi11ELi12ELi13EEEENSH_IlLl32768EEEEENSE_INSF_IJNSV_INSF_IJSI_SN_SN_NSH_IiLi32EEEEEELb0EEEEEENSF_IJS14_EEENSF_IJNS5_IJLi1ELi2ELi3ELi4EEEEEEES1U_NSH_IlLl256EEEEENSE_INSF_IJSP_SS_SU_SX_SY_SU_SZ_S12_SU_NS10_INSF_IJSI_SK_EEEEENSV_INSF_IJSI_NSH_IiLi2EEESK_EEELb0EEEEEENSF_IJS14_S15_S16_S17_S18_S19_S1A_S1B_S1C_NS5_IJLi11ELi13EEEES1J_EEENSF_IJS1E_S1F_S19_S1G_S1H_S1C_S1I_S1J_S1K_NS5_IJLi14EEEENS5_IJLi15ELi16ELi17EEEEEEENS5_IJLi15ELi16ELi17ELi14EEEES1N_EENSE_INSF_IJS1R_NS10_ISW_EES22_EEENSF_IJS14_NS5_IJLi1ELi3EEEENS5_IJLi2EEEEEEENSF_IJS1U_S17_NS5_IJLi6ELi7ELi8EEEEEEENS5_IJLi6ELi7ELi8ELi5EEEES1W_EELi16ELi32ELi256ELi256ELi128ELi16ELi16ELi8ELi8ELi32ELb0EE3RunILb1ELNS_10TailNumberE0ENSE_INSF_IJNSG_INSF_IJiiEEENSF_IJiSN_EEELb0EEENSV_IS2N_Lb0EEENST_IiEEEEENSF_IJS14_S2E_NS5_IJLi1EEEEEEENSF_IJNS5_IJLi1ELi2EEEENS5_IJLi3ELi4EEEES17_EEENS5_IJLi3ELi5ELi4EEEElEES1O_NS_35ThreadGroupTensorSliceTransfer_v4r1INS_15ThisThreadBlockILi256EEENS_16tensor_operation12element_wise11PassThroughES35_LNS_25InMemoryDataOperationEnumE0ENS5_IJLi8ELi256ELi16EEEENS5_IJLi8ELi32ELi1EEEENS5_IJLi1ELi0ELi2EEEESC_SC_RKS2Z_KS1O_S39_NS5_IJLi0ELi1ELi2EEEELi2ELi2ELi16ELi16ELi1ELi1ELb0ELb1ELi2EiEENS_13DynamicBufferILNS_16AddressSpaceEnumE1EKSC_lLb1ELNS_22AmdBufferCoherenceEnumE0EiEENSF_IJNS3F_ILS3G_2ESC_S1N_Lb1ELS3I_0EiEES3K_EEENSF_IJiiiEEENSE_INSF_IJNSG_INSF_IJiiiiEEENSF_IJiiiSN_EEELb0EEEEEES1T_S1V_S1U_lEENS_32ThreadwiseTensorSliceTransfer_v2ISD_SD_RKS3R_KS1X_NS5_IJLi8ELi1ELi1ELi32EEEENS5_IJLi1ELi2ELi0ELi3EEEELi3ELi32ELi0ELb1ELb0ELb0EEENS3F_ILS3G_1EKSD_lLb1ELS3I_0EiEENSF_IJNS_12StaticBufferILS3G_4ESD_Li256ELb1EEES42_EEES3N_NS_25StaticBufferTupleOfVectorILS3G_4EfLi64ELi4ELb1ELb0EEEEEvRKT1_RKT2_RT3_RKT4_RT5_RKT6_RKT7_RT8_RKT9_RT10_RKT11_RT12_iENKUlT_E0_clINSH_IiLi7EEEEEDaS51_EUlS51_E_EEvS51_EUlS51_E_EEvS51_
                                        ; -- End function
	.section	.AMDGPU.csdata,"",@progbits
; Function info:
; codeLenInByte = 133608
; NumSgprs: 36
; NumVgprs: 26
; NumAgprs: 4
; TotalNumVgprs: 32
; ScratchSize: 0
; MemoryBound: 1
	.text
	.p2align	2                               ; -- Begin function _ZNK2ck52BlockwiseGemmXdlops_pipeline_bpreshuffle_bdequant_v3ILNS_26BlockGemmPipelineSchedulerE0ELi256ENS_9f8_fnuz_tENS_7pk_i4_tES2_fNS_16TensorDescriptorINS_5TupleIJNS_5EmbedINS5_IJNS_17integral_constantIiLi8EEENS7_IiLi256EEENS7_IiLi16EEEEEENS5_IJSA_NS7_IiLi128EEENS7_IiLi1EEEEEELb0EEENS_3XorINS5_IJS9_S8_EEELb1EEENS_11PassThroughISA_EENS_7UnMergeINS5_IJS8_SD_EEELb0EEENSJ_IS9_EESK_NSJ_IS8_EENS_21Merge_v3_division_modINS5_IJS9_SD_EEEEESK_EEENS5_IJNS_8SequenceIJLi0EEEENSU_IJLi2ELi1EEEENSU_IJLi3EEEENSU_IJLi5EEEENSU_IJLi4EEEENSU_IJLi6EEEENSU_IJLi7EEEENSU_IJLi9ELi8EEEENSU_IJLi10EEEEEEENS5_IJNSU_IJLi1ELi2ELi3EEEENSU_IJLi4ELi5EEEES10_NSU_IJLi7ELi8EEEENSU_IJLi9EEEES13_NSU_IJLi11EEEENSU_IJLi12EEEENSU_IJLi13EEEEEEENSU_IJLi11ELi12ELi13EEEENS7_IlLl32768EEEEENS4_INS5_IJNSL_INS5_IJS8_SD_SD_NS7_IiLi32EEEEEELb0EEEEEENS5_IJSV_EEENS5_IJNSU_IJLi1ELi2ELi3ELi4EEEEEEES1L_NS7_IlLl256EEEEENS4_INS5_IJSF_SI_SK_SN_SO_SK_SP_SS_SK_NSQ_INS5_IJS8_SA_EEEEENSL_INS5_IJS8_NS7_IiLi2EEESA_EEELb0EEEEEENS5_IJSV_SW_SX_SY_SZ_S10_S11_S12_S13_NSU_IJLi11ELi13EEEES1A_EEENS5_IJS15_S16_S10_S17_S18_S13_S19_S1A_S1B_NSU_IJLi14EEEENSU_IJLi15ELi16ELi17EEEEEEENSU_IJLi15ELi16ELi17ELi14EEEES1E_EENS4_INS5_IJS1I_NSQ_ISM_EES1T_EEENS5_IJSV_NSU_IJLi1ELi3EEEENSU_IJLi2EEEEEEENS5_IJS1L_SY_NSU_IJLi6ELi7ELi8EEEEEEENSU_IJLi6ELi7ELi8ELi5EEEES1N_EELi16ELi32ELi256ELi256ELi128ELi16ELi16ELi8ELi8ELi32ELb0EE3RunILb1ELNS_10TailNumberE0ENS4_INS5_IJNS6_INS5_IJiiEEENS5_IJiSD_EEELb0EEENSL_IS2E_Lb0EEENSJ_IiEEEEENS5_IJSV_S25_NSU_IJLi1EEEEEEENS5_IJNSU_IJLi1ELi2EEEENSU_IJLi3ELi4EEEESY_EEENSU_IJLi3ELi5ELi4EEEElEES1F_NS_35ThreadGroupTensorSliceTransfer_v4r1INS_15ThisThreadBlockILi256EEENS_16tensor_operation12element_wise11PassThroughES2W_LNS_25InMemoryDataOperationEnumE0ENSU_IJLi8ELi256ELi16EEEENSU_IJLi8ELi32ELi1EEEENSU_IJLi1ELi0ELi2EEEES2_S2_RKS2Q_KS1F_S30_NSU_IJLi0ELi1ELi2EEEELi2ELi2ELi16ELi16ELi1ELi1ELb0ELb1ELi2EiEENS_13DynamicBufferILNS_16AddressSpaceEnumE1EKS2_lLb1ELNS_22AmdBufferCoherenceEnumE0EiEENS5_IJNS36_ILS37_2ES2_S1E_Lb1ELS39_0EiEES3B_EEENS5_IJiiiEEENS4_INS5_IJNS6_INS5_IJiiiiEEENS5_IJiiiSD_EEELb0EEEEEES1K_S1M_S1L_lEENS_32ThreadwiseTensorSliceTransfer_v2IS3_S3_RKS3I_KS1O_NSU_IJLi8ELi1ELi1ELi32EEEENSU_IJLi1ELi2ELi0ELi3EEEELi3ELi32ELi0ELb1ELb0ELb0EEENS36_ILS37_1EKS3_lLb1ELS39_0EiEENS5_IJNS_12StaticBufferILS37_4ES3_Li256ELb1EEES3T_EEES3E_NS_25StaticBufferTupleOfVectorILS37_4EfLi64ELi4ELb1ELb0EEEEEvRKT1_RKT2_RT3_RKT4_RT5_RKT6_RKT7_RT8_RKT9_RT10_RKT11_RT12_i
	.type	_ZNK2ck52BlockwiseGemmXdlops_pipeline_bpreshuffle_bdequant_v3ILNS_26BlockGemmPipelineSchedulerE0ELi256ENS_9f8_fnuz_tENS_7pk_i4_tES2_fNS_16TensorDescriptorINS_5TupleIJNS_5EmbedINS5_IJNS_17integral_constantIiLi8EEENS7_IiLi256EEENS7_IiLi16EEEEEENS5_IJSA_NS7_IiLi128EEENS7_IiLi1EEEEEELb0EEENS_3XorINS5_IJS9_S8_EEELb1EEENS_11PassThroughISA_EENS_7UnMergeINS5_IJS8_SD_EEELb0EEENSJ_IS9_EESK_NSJ_IS8_EENS_21Merge_v3_division_modINS5_IJS9_SD_EEEEESK_EEENS5_IJNS_8SequenceIJLi0EEEENSU_IJLi2ELi1EEEENSU_IJLi3EEEENSU_IJLi5EEEENSU_IJLi4EEEENSU_IJLi6EEEENSU_IJLi7EEEENSU_IJLi9ELi8EEEENSU_IJLi10EEEEEEENS5_IJNSU_IJLi1ELi2ELi3EEEENSU_IJLi4ELi5EEEES10_NSU_IJLi7ELi8EEEENSU_IJLi9EEEES13_NSU_IJLi11EEEENSU_IJLi12EEEENSU_IJLi13EEEEEEENSU_IJLi11ELi12ELi13EEEENS7_IlLl32768EEEEENS4_INS5_IJNSL_INS5_IJS8_SD_SD_NS7_IiLi32EEEEEELb0EEEEEENS5_IJSV_EEENS5_IJNSU_IJLi1ELi2ELi3ELi4EEEEEEES1L_NS7_IlLl256EEEEENS4_INS5_IJSF_SI_SK_SN_SO_SK_SP_SS_SK_NSQ_INS5_IJS8_SA_EEEEENSL_INS5_IJS8_NS7_IiLi2EEESA_EEELb0EEEEEENS5_IJSV_SW_SX_SY_SZ_S10_S11_S12_S13_NSU_IJLi11ELi13EEEES1A_EEENS5_IJS15_S16_S10_S17_S18_S13_S19_S1A_S1B_NSU_IJLi14EEEENSU_IJLi15ELi16ELi17EEEEEEENSU_IJLi15ELi16ELi17ELi14EEEES1E_EENS4_INS5_IJS1I_NSQ_ISM_EES1T_EEENS5_IJSV_NSU_IJLi1ELi3EEEENSU_IJLi2EEEEEEENS5_IJS1L_SY_NSU_IJLi6ELi7ELi8EEEEEEENSU_IJLi6ELi7ELi8ELi5EEEES1N_EELi16ELi32ELi256ELi256ELi128ELi16ELi16ELi8ELi8ELi32ELb0EE3RunILb1ELNS_10TailNumberE0ENS4_INS5_IJNS6_INS5_IJiiEEENS5_IJiSD_EEELb0EEENSL_IS2E_Lb0EEENSJ_IiEEEEENS5_IJSV_S25_NSU_IJLi1EEEEEEENS5_IJNSU_IJLi1ELi2EEEENSU_IJLi3ELi4EEEESY_EEENSU_IJLi3ELi5ELi4EEEElEES1F_NS_35ThreadGroupTensorSliceTransfer_v4r1INS_15ThisThreadBlockILi256EEENS_16tensor_operation12element_wise11PassThroughES2W_LNS_25InMemoryDataOperationEnumE0ENSU_IJLi8ELi256ELi16EEEENSU_IJLi8ELi32ELi1EEEENSU_IJLi1ELi0ELi2EEEES2_S2_RKS2Q_KS1F_S30_NSU_IJLi0ELi1ELi2EEEELi2ELi2ELi16ELi16ELi1ELi1ELb0ELb1ELi2EiEENS_13DynamicBufferILNS_16AddressSpaceEnumE1EKS2_lLb1ELNS_22AmdBufferCoherenceEnumE0EiEENS5_IJNS36_ILS37_2ES2_S1E_Lb1ELS39_0EiEES3B_EEENS5_IJiiiEEENS4_INS5_IJNS6_INS5_IJiiiiEEENS5_IJiiiSD_EEELb0EEEEEES1K_S1M_S1L_lEENS_32ThreadwiseTensorSliceTransfer_v2IS3_S3_RKS3I_KS1O_NSU_IJLi8ELi1ELi1ELi32EEEENSU_IJLi1ELi2ELi0ELi3EEEELi3ELi32ELi0ELb1ELb0ELb0EEENS36_ILS37_1EKS3_lLb1ELS39_0EiEENS5_IJNS_12StaticBufferILS37_4ES3_Li256ELb1EEES3T_EEES3E_NS_25StaticBufferTupleOfVectorILS37_4EfLi64ELi4ELb1ELb0EEEEEvRKT1_RKT2_RT3_RKT4_RT5_RKT6_RKT7_RT8_RKT9_RT10_RKT11_RT12_i,@function
_ZNK2ck52BlockwiseGemmXdlops_pipeline_bpreshuffle_bdequant_v3ILNS_26BlockGemmPipelineSchedulerE0ELi256ENS_9f8_fnuz_tENS_7pk_i4_tES2_fNS_16TensorDescriptorINS_5TupleIJNS_5EmbedINS5_IJNS_17integral_constantIiLi8EEENS7_IiLi256EEENS7_IiLi16EEEEEENS5_IJSA_NS7_IiLi128EEENS7_IiLi1EEEEEELb0EEENS_3XorINS5_IJS9_S8_EEELb1EEENS_11PassThroughISA_EENS_7UnMergeINS5_IJS8_SD_EEELb0EEENSJ_IS9_EESK_NSJ_IS8_EENS_21Merge_v3_division_modINS5_IJS9_SD_EEEEESK_EEENS5_IJNS_8SequenceIJLi0EEEENSU_IJLi2ELi1EEEENSU_IJLi3EEEENSU_IJLi5EEEENSU_IJLi4EEEENSU_IJLi6EEEENSU_IJLi7EEEENSU_IJLi9ELi8EEEENSU_IJLi10EEEEEEENS5_IJNSU_IJLi1ELi2ELi3EEEENSU_IJLi4ELi5EEEES10_NSU_IJLi7ELi8EEEENSU_IJLi9EEEES13_NSU_IJLi11EEEENSU_IJLi12EEEENSU_IJLi13EEEEEEENSU_IJLi11ELi12ELi13EEEENS7_IlLl32768EEEEENS4_INS5_IJNSL_INS5_IJS8_SD_SD_NS7_IiLi32EEEEEELb0EEEEEENS5_IJSV_EEENS5_IJNSU_IJLi1ELi2ELi3ELi4EEEEEEES1L_NS7_IlLl256EEEEENS4_INS5_IJSF_SI_SK_SN_SO_SK_SP_SS_SK_NSQ_INS5_IJS8_SA_EEEEENSL_INS5_IJS8_NS7_IiLi2EEESA_EEELb0EEEEEENS5_IJSV_SW_SX_SY_SZ_S10_S11_S12_S13_NSU_IJLi11ELi13EEEES1A_EEENS5_IJS15_S16_S10_S17_S18_S13_S19_S1A_S1B_NSU_IJLi14EEEENSU_IJLi15ELi16ELi17EEEEEEENSU_IJLi15ELi16ELi17ELi14EEEES1E_EENS4_INS5_IJS1I_NSQ_ISM_EES1T_EEENS5_IJSV_NSU_IJLi1ELi3EEEENSU_IJLi2EEEEEEENS5_IJS1L_SY_NSU_IJLi6ELi7ELi8EEEEEEENSU_IJLi6ELi7ELi8ELi5EEEES1N_EELi16ELi32ELi256ELi256ELi128ELi16ELi16ELi8ELi8ELi32ELb0EE3RunILb1ELNS_10TailNumberE0ENS4_INS5_IJNS6_INS5_IJiiEEENS5_IJiSD_EEELb0EEENSL_IS2E_Lb0EEENSJ_IiEEEEENS5_IJSV_S25_NSU_IJLi1EEEEEEENS5_IJNSU_IJLi1ELi2EEEENSU_IJLi3ELi4EEEESY_EEENSU_IJLi3ELi5ELi4EEEElEES1F_NS_35ThreadGroupTensorSliceTransfer_v4r1INS_15ThisThreadBlockILi256EEENS_16tensor_operation12element_wise11PassThroughES2W_LNS_25InMemoryDataOperationEnumE0ENSU_IJLi8ELi256ELi16EEEENSU_IJLi8ELi32ELi1EEEENSU_IJLi1ELi0ELi2EEEES2_S2_RKS2Q_KS1F_S30_NSU_IJLi0ELi1ELi2EEEELi2ELi2ELi16ELi16ELi1ELi1ELb0ELb1ELi2EiEENS_13DynamicBufferILNS_16AddressSpaceEnumE1EKS2_lLb1ELNS_22AmdBufferCoherenceEnumE0EiEENS5_IJNS36_ILS37_2ES2_S1E_Lb1ELS39_0EiEES3B_EEENS5_IJiiiEEENS4_INS5_IJNS6_INS5_IJiiiiEEENS5_IJiiiSD_EEELb0EEEEEES1K_S1M_S1L_lEENS_32ThreadwiseTensorSliceTransfer_v2IS3_S3_RKS3I_KS1O_NSU_IJLi8ELi1ELi1ELi32EEEENSU_IJLi1ELi2ELi0ELi3EEEELi3ELi32ELi0ELb1ELb0ELb0EEENS36_ILS37_1EKS3_lLb1ELS39_0EiEENS5_IJNS_12StaticBufferILS37_4ES3_Li256ELb1EEES3T_EEES3E_NS_25StaticBufferTupleOfVectorILS37_4EfLi64ELi4ELb1ELb0EEEEEvRKT1_RKT2_RT3_RKT4_RT5_RKT6_RKT7_RT8_RKT9_RT10_RKT11_RT12_i: ; @_ZNK2ck52BlockwiseGemmXdlops_pipeline_bpreshuffle_bdequant_v3ILNS_26BlockGemmPipelineSchedulerE0ELi256ENS_9f8_fnuz_tENS_7pk_i4_tES2_fNS_16TensorDescriptorINS_5TupleIJNS_5EmbedINS5_IJNS_17integral_constantIiLi8EEENS7_IiLi256EEENS7_IiLi16EEEEEENS5_IJSA_NS7_IiLi128EEENS7_IiLi1EEEEEELb0EEENS_3XorINS5_IJS9_S8_EEELb1EEENS_11PassThroughISA_EENS_7UnMergeINS5_IJS8_SD_EEELb0EEENSJ_IS9_EESK_NSJ_IS8_EENS_21Merge_v3_division_modINS5_IJS9_SD_EEEEESK_EEENS5_IJNS_8SequenceIJLi0EEEENSU_IJLi2ELi1EEEENSU_IJLi3EEEENSU_IJLi5EEEENSU_IJLi4EEEENSU_IJLi6EEEENSU_IJLi7EEEENSU_IJLi9ELi8EEEENSU_IJLi10EEEEEEENS5_IJNSU_IJLi1ELi2ELi3EEEENSU_IJLi4ELi5EEEES10_NSU_IJLi7ELi8EEEENSU_IJLi9EEEES13_NSU_IJLi11EEEENSU_IJLi12EEEENSU_IJLi13EEEEEEENSU_IJLi11ELi12ELi13EEEENS7_IlLl32768EEEEENS4_INS5_IJNSL_INS5_IJS8_SD_SD_NS7_IiLi32EEEEEELb0EEEEEENS5_IJSV_EEENS5_IJNSU_IJLi1ELi2ELi3ELi4EEEEEEES1L_NS7_IlLl256EEEEENS4_INS5_IJSF_SI_SK_SN_SO_SK_SP_SS_SK_NSQ_INS5_IJS8_SA_EEEEENSL_INS5_IJS8_NS7_IiLi2EEESA_EEELb0EEEEEENS5_IJSV_SW_SX_SY_SZ_S10_S11_S12_S13_NSU_IJLi11ELi13EEEES1A_EEENS5_IJS15_S16_S10_S17_S18_S13_S19_S1A_S1B_NSU_IJLi14EEEENSU_IJLi15ELi16ELi17EEEEEEENSU_IJLi15ELi16ELi17ELi14EEEES1E_EENS4_INS5_IJS1I_NSQ_ISM_EES1T_EEENS5_IJSV_NSU_IJLi1ELi3EEEENSU_IJLi2EEEEEEENS5_IJS1L_SY_NSU_IJLi6ELi7ELi8EEEEEEENSU_IJLi6ELi7ELi8ELi5EEEES1N_EELi16ELi32ELi256ELi256ELi128ELi16ELi16ELi8ELi8ELi32ELb0EE3RunILb1ELNS_10TailNumberE0ENS4_INS5_IJNS6_INS5_IJiiEEENS5_IJiSD_EEELb0EEENSL_IS2E_Lb0EEENSJ_IiEEEEENS5_IJSV_S25_NSU_IJLi1EEEEEEENS5_IJNSU_IJLi1ELi2EEEENSU_IJLi3ELi4EEEESY_EEENSU_IJLi3ELi5ELi4EEEElEES1F_NS_35ThreadGroupTensorSliceTransfer_v4r1INS_15ThisThreadBlockILi256EEENS_16tensor_operation12element_wise11PassThroughES2W_LNS_25InMemoryDataOperationEnumE0ENSU_IJLi8ELi256ELi16EEEENSU_IJLi8ELi32ELi1EEEENSU_IJLi1ELi0ELi2EEEES2_S2_RKS2Q_KS1F_S30_NSU_IJLi0ELi1ELi2EEEELi2ELi2ELi16ELi16ELi1ELi1ELb0ELb1ELi2EiEENS_13DynamicBufferILNS_16AddressSpaceEnumE1EKS2_lLb1ELNS_22AmdBufferCoherenceEnumE0EiEENS5_IJNS36_ILS37_2ES2_S1E_Lb1ELS39_0EiEES3B_EEENS5_IJiiiEEENS4_INS5_IJNS6_INS5_IJiiiiEEENS5_IJiiiSD_EEELb0EEEEEES1K_S1M_S1L_lEENS_32ThreadwiseTensorSliceTransfer_v2IS3_S3_RKS3I_KS1O_NSU_IJLi8ELi1ELi1ELi32EEEENSU_IJLi1ELi2ELi0ELi3EEEELi3ELi32ELi0ELb1ELb0ELb0EEENS36_ILS37_1EKS3_lLb1ELS39_0EiEENS5_IJNS_12StaticBufferILS37_4ES3_Li256ELb1EEES3T_EEES3E_NS_25StaticBufferTupleOfVectorILS37_4EfLi64ELi4ELb1ELb0EEEEEvRKT1_RKT2_RT3_RKT4_RT5_RKT6_RKT7_RT8_RKT9_RT10_RKT11_RT12_i
; %bb.0:
	s_waitcnt vmcnt(0) expcnt(0) lgkmcnt(0)
	s_mov_b32 s4, s33
	s_mov_b32 s33, s32
	s_or_saveexec_b64 s[6:7], -1
	buffer_store_dword v40, off, s[0:3], s33 offset:1140 ; 4-byte Folded Spill
	s_mov_b64 exec, s[6:7]
	v_writelane_b32 v40, s4, 2
	v_writelane_b32 v40, s30, 0
	s_add_i32 s32, s32, 0x12000
	v_writelane_b32 v40, s31, 1
	v_mov_b32_e32 v27, v21
	v_mov_b32_e32 v26, v20
	v_mov_b32_e32 v33, v19
	v_mov_b32_e32 v32, v18
	v_mov_b32_e32 v35, v17
	v_mov_b32_e32 v34, v16
	v_mov_b32_e32 v37, v15
	v_mov_b32_e32 v36, v14
	v_mov_b32_e32 v39, v13
	v_mov_b32_e32 v38, v12
	v_mov_b32_e32 v49, v11
	v_mov_b32_e32 v48, v10
	v_mov_b32_e32 v29, v9
	v_mov_b32_e32 v28, v8
	v_mov_b32_e32 v51, v7
	v_mov_b32_e32 v50, v6
	v_mov_b32_e32 v53, v5
	v_mov_b32_e32 v52, v4
	v_mov_b32_e32 v55, v3
	v_mov_b32_e32 v54, v2
	v_mov_b32_e32 v31, v1
	v_mov_b32_e32 v30, v0
	; sched_barrier mask(0x00000000)
	v_mov_b32_e32 v6, 0
	buffer_store_dword v6, off, s[0:3], s33 offset:52
	buffer_store_dword v6, off, s[0:3], s33 offset:56
	;; [unrolled: 1-line block ×191, first 2 shown]
	flat_load_dwordx3 v[12:14], v[36:37]
	s_mov_b32 s12, 0x20000
	buffer_store_dword v6, off, s[0:3], s33 offset:932
	flat_load_dwordx2 v[4:5], v[34:35]
	flat_load_dwordx4 v[0:3], v[34:35]
	s_nop 0
	buffer_store_dword v6, off, s[0:3], s33 offset:928
	buffer_store_dword v6, off, s[0:3], s33 offset:924
	;; [unrolled: 1-line block ×76, first 2 shown]
	v_mov_b32_e32 v7, 0x20000
	s_mov_b64 s[6:7], exec
	s_waitcnt vmcnt(0) lgkmcnt(0)
	v_lshrrev_b32_e32 v6, 31, v12
	v_add_u32_e32 v6, v12, v6
	v_ashrrev_i32_e32 v15, 1, v6
	v_lshrrev_b32_e32 v6, 31, v3
	v_add_co_u32_e32 v2, vcc, v2, v6
	v_addc_co_u32_e32 v3, vcc, 0, v3, vcc
	v_alignbit_b32 v6, v3, v2, 1
.LBB26_1:                               ; =>This Inner Loop Header: Depth=1
	v_readfirstlane_b32 s8, v4
	v_readfirstlane_b32 s9, v5
	;; [unrolled: 1-line block ×4, first 2 shown]
	v_cmp_eq_u64_e32 vcc, s[8:9], v[4:5]
	v_cmp_eq_u64_e64 s[4:5], s[10:11], v[6:7]
	s_and_b64 s[4:5], vcc, s[4:5]
	s_and_saveexec_b64 s[4:5], s[4:5]
	s_nop 0
	buffer_load_dwordx4 v[8:11], v15, s[8:11], 0 offen
                                        ; implicit-def: $vgpr15
	s_xor_b64 exec, exec, s[4:5]
	s_cbranch_execnz .LBB26_1
; %bb.2:
	s_mov_b64 exec, s[6:7]
	v_add_u32_e32 v2, 1, v13
	flat_store_dword v[36:37], v2 offset:4
	flat_load_dword v2, v[38:39] offset:16
	s_mov_b64 s[6:7], exec
	s_waitcnt vmcnt(0)
	buffer_store_dword v11, off, s[0:3], s33 offset:128
	buffer_store_dword v10, off, s[0:3], s33 offset:124
	buffer_store_dword v9, off, s[0:3], s33 offset:120
	buffer_store_dword v8, off, s[0:3], s33 offset:116
	s_waitcnt lgkmcnt(0)
	v_add_u32_e32 v2, v2, v12
	v_lshrrev_b32_e32 v3, 31, v2
	v_add_u32_e32 v3, v2, v3
	v_ashrrev_i32_e32 v3, 1, v3
	flat_store_dword v[36:37], v2
.LBB26_3:                               ; =>This Inner Loop Header: Depth=1
	v_readfirstlane_b32 s8, v4
	v_readfirstlane_b32 s9, v5
	v_readfirstlane_b32 s10, v6
	v_readfirstlane_b32 s11, v7
	v_cmp_eq_u64_e32 vcc, s[8:9], v[4:5]
	v_cmp_eq_u64_e64 s[4:5], s[10:11], v[6:7]
	s_and_b64 s[4:5], vcc, s[4:5]
	s_and_saveexec_b64 s[4:5], s[4:5]
	s_nop 0
	buffer_load_dwordx4 v[8:11], v3, s[8:11], 0 offen
                                        ; implicit-def: $vgpr3
	s_xor_b64 exec, exec, s[4:5]
	s_cbranch_execnz .LBB26_3
; %bb.4:
	s_mov_b64 exec, s[6:7]
	v_add_u32_e32 v3, 2, v13
	flat_store_dword v[36:37], v3 offset:4
	flat_load_dword v3, v[38:39] offset:16
	s_mov_b64 s[6:7], exec
	s_waitcnt vmcnt(0)
	buffer_store_dword v11, off, s[0:3], s33 offset:160
	buffer_store_dword v10, off, s[0:3], s33 offset:156
	buffer_store_dword v9, off, s[0:3], s33 offset:152
	buffer_store_dword v8, off, s[0:3], s33 offset:148
	s_waitcnt lgkmcnt(0)
	v_add_u32_e32 v2, v3, v2
	v_lshrrev_b32_e32 v3, 31, v2
	v_add_u32_e32 v3, v2, v3
	v_ashrrev_i32_e32 v3, 1, v3
	flat_store_dword v[36:37], v2
.LBB26_5:                               ; =>This Inner Loop Header: Depth=1
	v_readfirstlane_b32 s8, v4
	v_readfirstlane_b32 s9, v5
	v_readfirstlane_b32 s10, v6
	v_readfirstlane_b32 s11, v7
	v_cmp_eq_u64_e32 vcc, s[8:9], v[4:5]
	v_cmp_eq_u64_e64 s[4:5], s[10:11], v[6:7]
	s_and_b64 s[4:5], vcc, s[4:5]
	s_and_saveexec_b64 s[4:5], s[4:5]
	s_nop 0
	buffer_load_dwordx4 v[8:11], v3, s[8:11], 0 offen
                                        ; implicit-def: $vgpr3
	s_xor_b64 exec, exec, s[4:5]
	s_cbranch_execnz .LBB26_5
	;; [unrolled: 31-line block ×4, first 2 shown]
; %bb.10:
	s_mov_b64 exec, s[6:7]
	v_add_u32_e32 v3, 5, v13
	flat_store_dword v[36:37], v3 offset:4
	flat_load_dword v3, v[38:39] offset:16
	s_mov_b64 s[6:7], exec
	s_waitcnt vmcnt(0)
	buffer_store_dword v11, off, s[0:3], s33 offset:256
	buffer_store_dword v10, off, s[0:3], s33 offset:252
	;; [unrolled: 1-line block ×4, first 2 shown]
	s_waitcnt lgkmcnt(0)
	v_add_u32_e32 v2, v3, v2
	v_lshrrev_b32_e32 v3, 31, v2
	v_add_u32_e32 v3, v2, v3
	v_ashrrev_i32_e32 v3, 1, v3
	flat_store_dword v[36:37], v2
.LBB26_11:                              ; =>This Inner Loop Header: Depth=1
	v_readfirstlane_b32 s8, v4
	v_readfirstlane_b32 s9, v5
	;; [unrolled: 1-line block ×4, first 2 shown]
	v_cmp_eq_u64_e32 vcc, s[8:9], v[4:5]
	v_cmp_eq_u64_e64 s[4:5], s[10:11], v[6:7]
	s_and_b64 s[4:5], vcc, s[4:5]
	s_and_saveexec_b64 s[4:5], s[4:5]
	s_nop 0
	buffer_load_dwordx4 v[8:11], v3, s[8:11], 0 offen
                                        ; implicit-def: $vgpr4_vgpr5_vgpr6_vgpr7
                                        ; implicit-def: $vgpr3
	s_xor_b64 exec, exec, s[4:5]
	s_cbranch_execnz .LBB26_11
; %bb.12:
	s_mov_b64 exec, s[6:7]
	v_add_u32_e32 v3, 6, v13
	flat_store_dword v[36:37], v3 offset:4
	flat_load_dword v3, v[38:39] offset:16
	s_mov_b64 s[6:7], exec
	s_waitcnt vmcnt(0) lgkmcnt(0)
	v_add_u32_e32 v12, v3, v2
	flat_store_dword v[36:37], v12
	flat_load_dwordx2 v[4:5], v[34:35] offset:8
	v_lshrrev_b32_e32 v2, 31, v12
	v_add_u32_e32 v2, v12, v2
	buffer_store_dword v11, off, s[0:3], s33 offset:288
	buffer_store_dword v10, off, s[0:3], s33 offset:284
	;; [unrolled: 1-line block ×4, first 2 shown]
	v_ashrrev_i32_e32 v8, 1, v2
	v_mov_b32_e32 v3, s12
	s_waitcnt vmcnt(0) lgkmcnt(0)
	v_lshrrev_b32_e32 v2, 31, v5
	v_add_co_u32_e32 v2, vcc, v4, v2
	v_addc_co_u32_e32 v4, vcc, 0, v5, vcc
	v_alignbit_b32 v2, v4, v2, 1
.LBB26_13:                              ; =>This Inner Loop Header: Depth=1
	v_readfirstlane_b32 s8, v0
	v_readfirstlane_b32 s9, v1
	;; [unrolled: 1-line block ×4, first 2 shown]
	v_cmp_eq_u64_e32 vcc, s[8:9], v[0:1]
	v_cmp_eq_u64_e64 s[4:5], s[10:11], v[2:3]
	s_and_b64 s[4:5], vcc, s[4:5]
	s_and_saveexec_b64 s[4:5], s[4:5]
	s_nop 0
	buffer_load_dwordx4 v[4:7], v8, s[8:11], 0 offen
                                        ; implicit-def: $vgpr8
	s_xor_b64 exec, exec, s[4:5]
	s_cbranch_execnz .LBB26_13
; %bb.14:
	s_mov_b64 exec, s[6:7]
	v_add_u32_e32 v8, 7, v13
	flat_store_dword v[36:37], v8 offset:4
	flat_load_dword v8, v[38:39] offset:16
	s_waitcnt vmcnt(0)
	buffer_store_dword v7, off, s[0:3], s33 offset:320
	buffer_store_dword v6, off, s[0:3], s33 offset:316
	;; [unrolled: 1-line block ×4, first 2 shown]
	s_mov_b64 s[6:7], exec
	s_waitcnt lgkmcnt(0)
	v_add_u32_e32 v8, v8, v12
	v_lshrrev_b32_e32 v4, 31, v8
	v_add_u32_e32 v4, v8, v4
	v_ashrrev_i32_e32 v9, 1, v4
	flat_store_dword v[36:37], v8
.LBB26_15:                              ; =>This Inner Loop Header: Depth=1
	v_readfirstlane_b32 s8, v0
	v_readfirstlane_b32 s9, v1
	;; [unrolled: 1-line block ×4, first 2 shown]
	v_cmp_eq_u64_e32 vcc, s[8:9], v[0:1]
	v_cmp_eq_u64_e64 s[4:5], s[10:11], v[2:3]
	s_and_b64 s[4:5], vcc, s[4:5]
	s_and_saveexec_b64 s[4:5], s[4:5]
	s_nop 0
	buffer_load_dwordx4 v[4:7], v9, s[8:11], 0 offen
                                        ; implicit-def: $vgpr0_vgpr1_vgpr2_vgpr3
                                        ; implicit-def: $vgpr9
	s_xor_b64 exec, exec, s[4:5]
	s_cbranch_execnz .LBB26_15
; %bb.16:
	s_mov_b64 exec, s[6:7]
	flat_store_dword v[36:37], v13 offset:4
	flat_load_dword v0, v[38:39] offset:16
	s_waitcnt vmcnt(0) lgkmcnt(0)
	v_mad_u64_u32 v[8:9], s[4:5], v0, -7, v[8:9]
	flat_store_dword v[36:37], v8
	flat_load_dwordx4 v[0:3], v[32:33]
	flat_load_dwordx2 v[10:11], v[36:37] offset:12
	s_nop 0
	buffer_store_dword v7, off, s[0:3], s33 offset:352
	buffer_store_dword v6, off, s[0:3], s33 offset:348
	;; [unrolled: 1-line block ×4, first 2 shown]
	s_waitcnt vmcnt(0) lgkmcnt(0)
	v_or_b32_e32 v9, v1, v2
	v_or3_b32 v9, v9, v0, v3
	v_add_u32_e32 v5, v14, v1
	v_add_u32_e32 v4, v13, v0
	;; [unrolled: 1-line block ×4, first 2 shown]
	v_cmp_ne_u32_e32 vcc, 0, v9
	flat_store_dwordx4 v[36:37], v[4:7] offset:4
	s_and_saveexec_b64 s[4:5], vcc
	s_cbranch_execz .LBB26_18
; %bb.17:
	flat_load_dwordx3 v[4:6], v[38:39] offset:16
	s_waitcnt vmcnt(0) lgkmcnt(0)
	v_mul_lo_u32 v0, v4, v0
	v_mul_lo_u32 v2, v6, v2
	;; [unrolled: 1-line block ×3, first 2 shown]
	v_add3_u32 v0, v8, v3, v0
	v_add3_u32 v0, v0, v1, v2
	flat_store_dword v[36:37], v0
.LBB26_18:
	s_or_b64 exec, exec, s[4:5]
	v_mov_b32_e32 v0, 1
	flat_store_byte v[52:53], v0 offset:288
	flat_load_dwordx2 v[12:13], v[52:53] offset:704
	s_nop 0
	flat_load_dwordx4 v[0:3], v[50:51]
	s_mov_b32 s12, 0x20000
	s_waitcnt vmcnt(0) lgkmcnt(0)
	v_mov_b32_e32 v3, s12
	s_mov_b64 s[6:7], exec
.LBB26_19:                              ; =>This Inner Loop Header: Depth=1
	v_readfirstlane_b32 s8, v0
	v_readfirstlane_b32 s9, v1
	;; [unrolled: 1-line block ×4, first 2 shown]
	v_cmp_eq_u64_e32 vcc, s[8:9], v[0:1]
	v_cmp_eq_u64_e64 s[4:5], s[10:11], v[2:3]
	s_and_b64 s[4:5], vcc, s[4:5]
	s_and_saveexec_b64 s[4:5], s[4:5]
	s_nop 0
	buffer_load_dwordx4 v[4:7], v12, s[8:11], 0 offen
                                        ; implicit-def: $vgpr0_vgpr1_vgpr2_vgpr3
	s_xor_b64 exec, exec, s[4:5]
	s_cbranch_execnz .LBB26_19
; %bb.20:
	s_mov_b64 exec, s[6:7]
	flat_load_dwordx3 v[8:10], v[52:53] offset:716
	v_add_u32_e32 v0, 1, v13
	flat_store_dword v[52:53], v0 offset:708
	s_waitcnt vmcnt(0)
	flat_store_dwordx4 v[52:53], v[4:7]
	v_mov_b32_e32 v1, 1
	s_mov_b64 s[6:7], exec
	s_waitcnt lgkmcnt(0)
	v_add_u32_e32 v0, 1, v10
	flat_store_dword v[52:53], v0 offset:724
	flat_load_dword v0, v[54:55] offset:8
	s_waitcnt vmcnt(0) lgkmcnt(0)
	v_add_u32_e32 v11, v0, v12
	flat_store_dword v[52:53], v11 offset:704
	flat_store_byte v[52:53], v1 offset:304
	flat_load_dwordx4 v[0:3], v[50:51]
	s_waitcnt vmcnt(0) lgkmcnt(0)
	v_mov_b32_e32 v3, s12
.LBB26_21:                              ; =>This Inner Loop Header: Depth=1
	v_readfirstlane_b32 s8, v0
	v_readfirstlane_b32 s9, v1
	v_readfirstlane_b32 s10, v2
	v_readfirstlane_b32 s11, v3
	v_cmp_eq_u64_e32 vcc, s[8:9], v[0:1]
	v_cmp_eq_u64_e64 s[4:5], s[10:11], v[2:3]
	s_and_b64 s[4:5], vcc, s[4:5]
	s_and_saveexec_b64 s[4:5], s[4:5]
	s_nop 0
	buffer_load_dwordx4 v[4:7], v11, s[8:11], 0 offen
                                        ; implicit-def: $vgpr0_vgpr1_vgpr2_vgpr3
	s_xor_b64 exec, exec, s[4:5]
	s_cbranch_execnz .LBB26_21
; %bb.22:
	s_mov_b64 exec, s[6:7]
	v_add_u32_e32 v0, 2, v10
	flat_store_dword v[52:53], v0 offset:724
	v_add_u32_e32 v0, 2, v13
	s_waitcnt vmcnt(0)
	flat_store_dwordx4 v[52:53], v[4:7] offset:16
	flat_store_dword v[52:53], v0 offset:708
	flat_load_dword v0, v[54:55] offset:8
	v_mov_b32_e32 v1, 1
	s_mov_b64 s[6:7], exec
	s_waitcnt vmcnt(0) lgkmcnt(0)
	v_add_u32_e32 v11, v0, v11
	flat_store_dword v[52:53], v11 offset:704
	flat_store_byte v[52:53], v1 offset:320
	flat_load_dwordx4 v[0:3], v[50:51]
	s_waitcnt vmcnt(0) lgkmcnt(0)
	v_mov_b32_e32 v3, s12
.LBB26_23:                              ; =>This Inner Loop Header: Depth=1
	v_readfirstlane_b32 s8, v0
	v_readfirstlane_b32 s9, v1
	v_readfirstlane_b32 s10, v2
	v_readfirstlane_b32 s11, v3
	v_cmp_eq_u64_e32 vcc, s[8:9], v[0:1]
	v_cmp_eq_u64_e64 s[4:5], s[10:11], v[2:3]
	s_and_b64 s[4:5], vcc, s[4:5]
	s_and_saveexec_b64 s[4:5], s[4:5]
	s_nop 0
	buffer_load_dwordx4 v[4:7], v11, s[8:11], 0 offen
                                        ; implicit-def: $vgpr0_vgpr1_vgpr2_vgpr3
	s_xor_b64 exec, exec, s[4:5]
	s_cbranch_execnz .LBB26_23
; %bb.24:
	s_mov_b64 exec, s[6:7]
	v_add_u32_e32 v0, 3, v10
	flat_store_dword v[52:53], v0 offset:724
	v_add_u32_e32 v0, 3, v13
	s_waitcnt vmcnt(0)
	flat_store_dwordx4 v[52:53], v[4:7] offset:32
	flat_store_dword v[52:53], v0 offset:708
	flat_load_dword v0, v[54:55] offset:8
	v_mov_b32_e32 v1, 1
	s_mov_b64 s[6:7], exec
	;; [unrolled: 32-line block ×5, first 2 shown]
	s_waitcnt vmcnt(0) lgkmcnt(0)
	v_add_u32_e32 v11, v0, v11
	flat_store_dword v[52:53], v11 offset:704
	flat_store_byte v[52:53], v1 offset:384
	flat_load_dwordx4 v[0:3], v[50:51]
	s_waitcnt vmcnt(0) lgkmcnt(0)
	v_mov_b32_e32 v3, s12
.LBB26_31:                              ; =>This Inner Loop Header: Depth=1
	v_readfirstlane_b32 s8, v0
	v_readfirstlane_b32 s9, v1
	;; [unrolled: 1-line block ×4, first 2 shown]
	v_cmp_eq_u64_e32 vcc, s[8:9], v[0:1]
	v_cmp_eq_u64_e64 s[4:5], s[10:11], v[2:3]
	s_and_b64 s[4:5], vcc, s[4:5]
	s_and_saveexec_b64 s[4:5], s[4:5]
	s_nop 0
	buffer_load_dwordx4 v[4:7], v11, s[8:11], 0 offen
                                        ; implicit-def: $vgpr0_vgpr1_vgpr2_vgpr3
	s_xor_b64 exec, exec, s[4:5]
	s_cbranch_execnz .LBB26_31
; %bb.32:
	s_mov_b64 exec, s[6:7]
	v_add_u32_e32 v0, 7, v10
	flat_store_dword v[52:53], v0 offset:724
	v_add_u32_e32 v0, 7, v13
	s_waitcnt vmcnt(0)
	flat_store_dwordx4 v[52:53], v[4:7] offset:96
	flat_store_dword v[52:53], v0 offset:708
	flat_load_dword v0, v[54:55] offset:8
	s_mov_b64 s[6:7], exec
	s_waitcnt vmcnt(0) lgkmcnt(0)
	v_add_u32_e32 v11, v0, v11
	flat_store_dword v[52:53], v11 offset:704
	flat_load_dwordx4 v[0:3], v[50:51]
	s_waitcnt vmcnt(0) lgkmcnt(0)
	v_mov_b32_e32 v3, 1
	flat_store_byte v[52:53], v3 offset:400
	v_mov_b32_e32 v3, s12
.LBB26_33:                              ; =>This Inner Loop Header: Depth=1
	v_readfirstlane_b32 s8, v0
	v_readfirstlane_b32 s9, v1
	;; [unrolled: 1-line block ×4, first 2 shown]
	v_cmp_eq_u64_e32 vcc, s[8:9], v[0:1]
	v_cmp_eq_u64_e64 s[4:5], s[10:11], v[2:3]
	s_and_b64 s[4:5], vcc, s[4:5]
	s_and_saveexec_b64 s[4:5], s[4:5]
	s_nop 0
	buffer_load_dwordx4 v[4:7], v11, s[8:11], 0 offen
                                        ; implicit-def: $vgpr0_vgpr1_vgpr2_vgpr3
	s_xor_b64 exec, exec, s[4:5]
	s_cbranch_execnz .LBB26_33
; %bb.34:
	s_mov_b64 exec, s[6:7]
	s_waitcnt vmcnt(0)
	flat_store_dwordx4 v[52:53], v[4:7] offset:112
	flat_load_dwordx3 v[0:2], v[48:49]
	s_waitcnt vmcnt(0) lgkmcnt(0)
	v_add_u32_e32 v3, -7, v1
	v_add_u32_e32 v6, v1, v10
	v_add_u32_e32 v5, v9, v2
	;; [unrolled: 1-line block ×3, first 2 shown]
	v_cmp_ne_u32_e32 vcc, 0, v3
	flat_store_dwordx3 v[52:53], v[4:6] offset:716
	s_and_saveexec_b64 s[4:5], vcc
	s_cbranch_execz .LBB26_36
; %bb.35:
	v_add_u32_e32 v1, v13, v1
	flat_store_dword v[52:53], v1 offset:708
.LBB26_36:
	s_or_b64 exec, exec, s[4:5]
	v_or_b32_e32 v1, v2, v0
	v_cmp_ne_u32_e32 vcc, 0, v1
	v_mov_b32_e32 v4, 0
	s_and_saveexec_b64 s[4:5], vcc
	s_cbranch_execz .LBB26_38
; %bb.37:
	flat_load_dword v4, v[54:55] offset:24
	flat_load_dword v6, v[52:53] offset:712
	s_waitcnt vmcnt(0) lgkmcnt(0)
	v_mad_u64_u32 v[4:5], s[6:7], v4, v0, v[2:3]
	v_add_u32_e32 v0, v4, v6
	flat_store_dword v[52:53], v0 offset:712
.LBB26_38:
	s_or_b64 exec, exec, s[4:5]
	v_or_b32_e32 v0, v1, v3
	v_cmp_ne_u32_e32 vcc, 0, v0
	s_and_saveexec_b64 s[4:5], vcc
	s_cbranch_execz .LBB26_40
; %bb.39:
	flat_load_dword v0, v[54:55] offset:8
	s_waitcnt vmcnt(0) lgkmcnt(0)
	v_mul_lo_u32 v0, v0, v3
	v_add3_u32 v0, v11, v4, v0
	flat_store_dword v[52:53], v0 offset:704
.LBB26_40:
	s_or_b64 exec, exec, s[4:5]
	; sched_barrier mask(0x00000000)
	flat_load_dwordx4 v[0:3], v[52:53]
	flat_load_ubyte v4, v[52:53] offset:288
	s_mov_b32 s4, 0x3060504
	s_mov_b32 s5, 0x2010004
	;; [unrolled: 1-line block ×3, first 2 shown]
	s_mov_b64 s[6:7], exec
	s_waitcnt vmcnt(0) lgkmcnt(0)
	v_and_b32_e32 v4, 1, v4
	v_cmp_eq_u32_e32 vcc, 1, v4
	v_cndmask_b32_e32 v3, 0, v3, vcc
	v_cndmask_b32_e32 v2, 0, v2, vcc
	;; [unrolled: 1-line block ×4, first 2 shown]
	flat_store_dwordx4 v[52:53], v[0:3]
	flat_load_dwordx4 v[6:9], v[52:53] offset:16
	flat_load_ubyte v5, v[52:53] offset:304
	v_mov_b32_e32 v4, 0
	s_waitcnt vmcnt(0) lgkmcnt(0)
	v_and_b32_e32 v5, 1, v5
	v_cmp_eq_u32_e32 vcc, 1, v5
	v_cndmask_b32_e32 v9, 0, v9, vcc
	v_cndmask_b32_e32 v8, 0, v8, vcc
	;; [unrolled: 1-line block ×4, first 2 shown]
	flat_store_dwordx4 v[52:53], v[6:9] offset:16
	flat_load_dwordx4 v[10:13], v[52:53] offset:32
	flat_load_ubyte v5, v[52:53] offset:320
	v_perm_b32 v9, v9, v9, s4
	s_mov_b32 s4, 0x3020104
	v_perm_b32 v8, v8, v8, s4
	v_perm_b32 v6, v6, v6, s4
	s_mov_b32 s4, 0x2010007
	s_waitcnt vmcnt(0) lgkmcnt(0)
	v_and_b32_e32 v5, 1, v5
	v_cmp_eq_u32_e32 vcc, 1, v5
	v_cndmask_b32_e32 v13, 0, v13, vcc
	v_cndmask_b32_e32 v12, 0, v12, vcc
	v_cndmask_b32_e32 v11, 0, v11, vcc
	v_cndmask_b32_e32 v10, 0, v10, vcc
	flat_store_dwordx4 v[52:53], v[10:13] offset:32
	flat_load_dwordx4 v[12:15], v[52:53] offset:48
	s_nop 0
	flat_load_ubyte v5, v[52:53] offset:336
	s_waitcnt vmcnt(0) lgkmcnt(0)
	v_and_b32_e32 v5, 1, v5
	v_cmp_eq_u32_e32 vcc, 1, v5
	v_cndmask_b32_e32 v15, 0, v15, vcc
	v_cndmask_b32_e32 v14, 0, v14, vcc
	v_cndmask_b32_e32 v13, 0, v13, vcc
	v_cndmask_b32_e32 v12, 0, v12, vcc
	flat_store_dwordx4 v[52:53], v[12:15] offset:48
	flat_load_dwordx4 v[12:15], v[52:53] offset:64
	s_nop 0
	flat_load_ubyte v5, v[52:53] offset:352
	;; [unrolled: 11-line block ×5, first 2 shown]
	s_waitcnt vmcnt(0) lgkmcnt(0)
	v_and_b32_e32 v5, 1, v5
	v_cmp_eq_u32_e32 vcc, 1, v5
	v_cndmask_b32_e32 v15, 0, v15, vcc
	v_cndmask_b32_e32 v14, 0, v14, vcc
	;; [unrolled: 1-line block ×4, first 2 shown]
	flat_store_dwordx4 v[52:53], v[12:15] offset:112
	flat_store_dwordx4 v[52:53], v[0:3] offset:560
	;; [unrolled: 1-line block ×3, first 2 shown]
	flat_load_dwordx4 v[6:9], v[52:53] offset:33
	s_waitcnt vmcnt(0) lgkmcnt(0)
	v_perm_b32 v13, v8, v9, s4
	v_perm_b32 v12, v7, v8, s4
	;; [unrolled: 1-line block ×4, first 2 shown]
	flat_store_dwordx4 v[52:53], v[10:13] offset:592
	flat_load_dwordx4 v[10:13], v[52:53] offset:49
	s_waitcnt vmcnt(0) lgkmcnt(0)
	v_perm_b32 v14, v9, v10, s4
	flat_load_dwordx4 v[6:9], v[52:53] offset:65
	v_perm_b32 v17, v12, v13, s4
	v_perm_b32 v16, v11, v12, s4
	v_perm_b32 v15, v10, v11, s4
	flat_store_dwordx4 v[52:53], v[14:17] offset:608
	s_waitcnt vmcnt(0) lgkmcnt(0)
	v_perm_b32 v14, v13, v6, s4
	flat_load_dwordx4 v[10:13], v[52:53] offset:81
	v_perm_b32 v17, v8, v9, s4
	v_perm_b32 v16, v7, v8, s4
	v_perm_b32 v15, v6, v7, s4
	flat_store_dwordx4 v[52:53], v[14:17] offset:624
	;; [unrolled: 7-line block ×3, first 2 shown]
	v_mov_b32_e32 v11, 8
	s_waitcnt vmcnt(0) lgkmcnt(0)
	v_perm_b32 v17, v8, v9, s4
	v_perm_b32 v16, v7, v8, s4
	;; [unrolled: 1-line block ×4, first 2 shown]
	flat_store_dwordx4 v[52:53], v[14:17] offset:656
	flat_load_ushort v5, v[52:53] offset:125
	flat_load_dwordx2 v[6:7], v[52:53] offset:113
	flat_load_sbyte v8, v[52:53] offset:127
	flat_load_dword v10, v[52:53] offset:121
	s_waitcnt vmcnt(0) lgkmcnt(0)
	v_lshrrev_b32_sdwa v11, v11, v5 dst_sel:DWORD dst_unused:UNUSED_PAD src0_sel:DWORD src1_sel:WORD_0
	v_lshlrev_b16_e32 v5, 8, v5
	v_lshlrev_b16_e32 v8, 8, v8
	v_or_b32_sdwa v5, v10, v5 dst_sel:DWORD dst_unused:UNUSED_PAD src0_sel:BYTE_3 src1_sel:DWORD
	v_or_b32_sdwa v8, v11, v8 dst_sel:WORD_1 dst_unused:UNUSED_PAD src0_sel:DWORD src1_sel:DWORD
	v_or_b32_sdwa v13, v5, v8 dst_sel:DWORD dst_unused:UNUSED_PAD src0_sel:WORD_0 src1_sel:DWORD
	v_perm_b32 v12, v7, v10, s4
	v_perm_b32 v11, v6, v7, s4
	;; [unrolled: 1-line block ×3, first 2 shown]
	flat_store_dwordx4 v[52:53], v[10:13] offset:672
	flat_load_dword v5, v[52:53] offset:728
	flat_load_dwordx2 v[6:7], v[28:29]
	s_waitcnt vmcnt(0) lgkmcnt(0)
	v_ashrrev_i32_e32 v8, 31, v5
	v_add_co_u32_e32 v6, vcc, v6, v5
	v_addc_co_u32_e32 v7, vcc, v7, v8, vcc
	flat_store_dwordx4 v[6:7], v[0:3]
	flat_load_dword v0, v[52:53] offset:776
	s_waitcnt vmcnt(0) lgkmcnt(0)
	v_add_u32_e32 v5, 1, v0
	flat_load_dwordx2 v[0:1], v[52:53] offset:760
	flat_load_dwordx2 v[2:3], v[52:53] offset:744
	flat_load_dwordx3 v[6:8], v[52:53] offset:728
	s_waitcnt vmcnt(0) lgkmcnt(0)
	v_sub_u32_e32 v1, v5, v1
	v_add_u32_e32 v2, v2, v1
	v_sub_u32_e32 v3, v3, v0
	v_ashrrev_i32_e32 v0, 31, v2
	v_lshrrev_b32_e32 v0, 29, v0
	v_add_u32_e32 v0, v2, v0
	v_and_b32_e32 v0, -8, v0
	v_sub_u32_e32 v0, v2, v0
	v_xor_b32_e32 v1, v3, v0
	flat_store_dwordx2 v[52:53], v[2:3] offset:744
	v_sub_u32_e32 v0, v1, v7
	v_sub_u32_e32 v3, v2, v8
	v_lshlrev_b32_e32 v0, 4, v0
	v_lshlrev_b32_e32 v3, 7, v3
	v_add3_u32 v0, v3, v0, v6
	flat_store_dword v[52:53], v5 offset:776
	flat_store_dwordx2 v[52:53], v[4:5] offset:760
	flat_store_dwordx3 v[52:53], v[0:2] offset:728
	flat_load_dwordx2 v[2:3], v[28:29]
	v_ashrrev_i32_e32 v1, 31, v0
	s_waitcnt vmcnt(0) lgkmcnt(0)
	v_add_co_u32_e32 v6, vcc, v2, v0
	v_addc_co_u32_e32 v7, vcc, v3, v1, vcc
	flat_load_dwordx4 v[0:3], v[52:53] offset:576
	s_waitcnt vmcnt(0) lgkmcnt(0)
	flat_store_dwordx4 v[6:7], v[0:3]
	flat_load_dword v0, v[52:53] offset:776
	s_nop 0
	flat_load_dwordx2 v[2:3], v[52:53] offset:744
	flat_load_dwordx3 v[6:8], v[52:53] offset:728
	s_waitcnt vmcnt(0) lgkmcnt(0)
	v_add_u32_e32 v5, 1, v0
	flat_load_dwordx2 v[0:1], v[52:53] offset:760
	s_waitcnt vmcnt(0) lgkmcnt(0)
	v_sub_u32_e32 v1, v5, v1
	v_add_u32_e32 v2, v2, v1
	v_sub_u32_e32 v3, v3, v0
	v_ashrrev_i32_e32 v0, 31, v2
	v_lshrrev_b32_e32 v0, 29, v0
	v_add_u32_e32 v0, v2, v0
	v_and_b32_e32 v0, -8, v0
	v_sub_u32_e32 v0, v2, v0
	v_xor_b32_e32 v1, v3, v0
	flat_store_dwordx2 v[52:53], v[2:3] offset:744
	v_sub_u32_e32 v0, v1, v7
	v_sub_u32_e32 v3, v2, v8
	v_lshlrev_b32_e32 v0, 4, v0
	v_lshlrev_b32_e32 v3, 7, v3
	v_add3_u32 v0, v3, v0, v6
	flat_store_dword v[52:53], v5 offset:776
	flat_store_dwordx2 v[52:53], v[4:5] offset:760
	flat_store_dwordx3 v[52:53], v[0:2] offset:728
	flat_load_dwordx2 v[2:3], v[28:29]
	v_ashrrev_i32_e32 v1, 31, v0
	s_waitcnt vmcnt(0) lgkmcnt(0)
	v_add_co_u32_e32 v6, vcc, v2, v0
	v_addc_co_u32_e32 v7, vcc, v3, v1, vcc
	flat_load_dwordx4 v[0:3], v[52:53] offset:592
	s_waitcnt vmcnt(0) lgkmcnt(0)
	flat_store_dwordx4 v[6:7], v[0:3]
	flat_load_dword v0, v[52:53] offset:776
	s_nop 0
	flat_load_dwordx2 v[2:3], v[52:53] offset:744
	flat_load_dwordx3 v[6:8], v[52:53] offset:728
	s_waitcnt vmcnt(0) lgkmcnt(0)
	v_add_u32_e32 v5, 1, v0
	flat_load_dwordx2 v[0:1], v[52:53] offset:760
	;; [unrolled: 34-line block ×6, first 2 shown]
	s_waitcnt vmcnt(0) lgkmcnt(0)
	v_sub_u32_e32 v1, v5, v1
	v_add_u32_e32 v2, v2, v1
	v_sub_u32_e32 v3, v3, v0
	v_ashrrev_i32_e32 v0, 31, v2
	v_lshrrev_b32_e32 v0, 29, v0
	v_add_u32_e32 v0, v2, v0
	v_and_b32_e32 v0, -8, v0
	v_sub_u32_e32 v0, v2, v0
	v_xor_b32_e32 v1, v3, v0
	flat_store_dwordx2 v[52:53], v[2:3] offset:744
	v_sub_u32_e32 v0, v1, v7
	v_sub_u32_e32 v3, v2, v8
	v_lshlrev_b32_e32 v0, 4, v0
	v_lshlrev_b32_e32 v3, 7, v3
	v_add3_u32 v0, v3, v0, v6
	flat_store_dword v[52:53], v5 offset:776
	flat_store_dwordx2 v[52:53], v[4:5] offset:760
	flat_store_dwordx3 v[52:53], v[0:2] offset:728
	flat_load_dwordx2 v[2:3], v[28:29]
	v_ashrrev_i32_e32 v1, 31, v0
	s_waitcnt vmcnt(0) lgkmcnt(0)
	v_add_co_u32_e32 v6, vcc, v2, v0
	v_addc_co_u32_e32 v7, vcc, v3, v1, vcc
	flat_load_dwordx4 v[0:3], v[52:53] offset:672
	s_waitcnt vmcnt(0) lgkmcnt(0)
	flat_store_dwordx4 v[6:7], v[0:3]
	flat_load_dword v0, v[52:53] offset:776
	s_nop 0
	flat_load_dwordx2 v[2:3], v[52:53] offset:744
	s_waitcnt vmcnt(0) lgkmcnt(0)
	v_add_u32_e32 v5, -7, v0
	flat_load_dwordx2 v[0:1], v[52:53] offset:760
	s_waitcnt vmcnt(0) lgkmcnt(0)
	v_sub_u32_e32 v1, v5, v1
	v_add_u32_e32 v6, v2, v1
	v_sub_u32_e32 v7, v3, v0
	flat_load_dwordx2 v[0:1], v[52:53] offset:732
	v_ashrrev_i32_e32 v2, 31, v6
	v_lshrrev_b32_e32 v2, 29, v2
	v_add_u32_e32 v2, v6, v2
	v_and_b32_e32 v2, -8, v2
	v_sub_u32_e32 v2, v6, v2
	flat_store_dword v[52:53], v5 offset:776
	flat_store_dwordx2 v[52:53], v[4:5] offset:760
	v_xor_b32_e32 v5, v7, v2
	flat_store_dwordx2 v[52:53], v[6:7] offset:744
	s_waitcnt vmcnt(0) lgkmcnt(0)
	v_sub_u32_e32 v1, v6, v1
	v_sub_u32_e32 v0, v5, v0
	v_lshlrev_b32_e32 v4, 4, v0
	v_lshlrev_b32_e32 v7, 7, v1
	flat_load_dwordx4 v[0:3], v[52:53] offset:716
	s_waitcnt vmcnt(0) lgkmcnt(0)
	v_add3_u32 v4, v7, v4, v3
	v_mov_b32_e32 v3, 1
	flat_store_dwordx3 v[52:53], v[4:6] offset:728
	flat_store_byte v[52:53], v3 offset:288
	flat_load_dwordx2 v[12:13], v[52:53] offset:704
	s_nop 0
	flat_load_dwordx4 v[4:7], v[50:51]
	s_waitcnt vmcnt(0) lgkmcnt(0)
	v_mov_b32_e32 v7, s12
.LBB26_41:                              ; =>This Inner Loop Header: Depth=1
	v_readfirstlane_b32 s8, v4
	v_readfirstlane_b32 s9, v5
	;; [unrolled: 1-line block ×4, first 2 shown]
	v_cmp_eq_u64_e32 vcc, s[8:9], v[4:5]
	v_cmp_eq_u64_e64 s[4:5], s[10:11], v[6:7]
	s_and_b64 s[4:5], vcc, s[4:5]
	s_and_saveexec_b64 s[4:5], s[4:5]
	s_nop 0
	buffer_load_dwordx4 v[8:11], v12, s[8:11], 0 offen
                                        ; implicit-def: $vgpr4_vgpr5_vgpr6_vgpr7
	s_xor_b64 exec, exec, s[4:5]
	s_cbranch_execnz .LBB26_41
; %bb.42:
	s_mov_b64 exec, s[6:7]
	v_add_u32_e32 v3, 1, v2
	flat_store_dword v[52:53], v3 offset:724
	v_add_u32_e32 v3, 1, v13
	s_waitcnt vmcnt(0)
	flat_store_dwordx4 v[52:53], v[8:11]
	flat_store_dword v[52:53], v3 offset:708
	flat_load_dword v3, v[54:55] offset:8
	v_mov_b32_e32 v4, 1
	s_mov_b64 s[6:7], exec
	s_waitcnt vmcnt(0) lgkmcnt(0)
	v_add_u32_e32 v3, v3, v12
	flat_store_dword v[52:53], v3 offset:704
	flat_store_byte v[52:53], v4 offset:304
	flat_load_dwordx4 v[4:7], v[50:51]
	s_waitcnt vmcnt(0) lgkmcnt(0)
	v_mov_b32_e32 v7, s12
.LBB26_43:                              ; =>This Inner Loop Header: Depth=1
	v_readfirstlane_b32 s8, v4
	v_readfirstlane_b32 s9, v5
	v_readfirstlane_b32 s10, v6
	v_readfirstlane_b32 s11, v7
	v_cmp_eq_u64_e32 vcc, s[8:9], v[4:5]
	v_cmp_eq_u64_e64 s[4:5], s[10:11], v[6:7]
	s_and_b64 s[4:5], vcc, s[4:5]
	s_and_saveexec_b64 s[4:5], s[4:5]
	s_nop 0
	buffer_load_dwordx4 v[8:11], v3, s[8:11], 0 offen
                                        ; implicit-def: $vgpr4_vgpr5_vgpr6_vgpr7
	s_xor_b64 exec, exec, s[4:5]
	s_cbranch_execnz .LBB26_43
; %bb.44:
	s_mov_b64 exec, s[6:7]
	v_add_u32_e32 v4, 2, v2
	flat_store_dword v[52:53], v4 offset:724
	v_add_u32_e32 v4, 2, v13
	s_waitcnt vmcnt(0)
	flat_store_dwordx4 v[52:53], v[8:11] offset:16
	flat_store_dword v[52:53], v4 offset:708
	flat_load_dword v4, v[54:55] offset:8
	v_mov_b32_e32 v5, 1
	s_mov_b64 s[6:7], exec
	s_waitcnt vmcnt(0) lgkmcnt(0)
	v_add_u32_e32 v3, v4, v3
	flat_store_dword v[52:53], v3 offset:704
	flat_store_byte v[52:53], v5 offset:320
	flat_load_dwordx4 v[4:7], v[50:51]
	s_waitcnt vmcnt(0) lgkmcnt(0)
	v_mov_b32_e32 v7, s12
.LBB26_45:                              ; =>This Inner Loop Header: Depth=1
	v_readfirstlane_b32 s8, v4
	v_readfirstlane_b32 s9, v5
	v_readfirstlane_b32 s10, v6
	v_readfirstlane_b32 s11, v7
	v_cmp_eq_u64_e32 vcc, s[8:9], v[4:5]
	v_cmp_eq_u64_e64 s[4:5], s[10:11], v[6:7]
	s_and_b64 s[4:5], vcc, s[4:5]
	s_and_saveexec_b64 s[4:5], s[4:5]
	s_nop 0
	buffer_load_dwordx4 v[8:11], v3, s[8:11], 0 offen
                                        ; implicit-def: $vgpr4_vgpr5_vgpr6_vgpr7
	s_xor_b64 exec, exec, s[4:5]
	s_cbranch_execnz .LBB26_45
; %bb.46:
	s_mov_b64 exec, s[6:7]
	v_add_u32_e32 v4, 3, v2
	flat_store_dword v[52:53], v4 offset:724
	v_add_u32_e32 v4, 3, v13
	s_waitcnt vmcnt(0)
	flat_store_dwordx4 v[52:53], v[8:11] offset:32
	;; [unrolled: 32-line block ×6, first 2 shown]
	flat_store_dword v[52:53], v4 offset:708
	flat_load_dword v4, v[54:55] offset:8
	s_mov_b64 s[6:7], exec
	s_waitcnt vmcnt(0) lgkmcnt(0)
	v_add_u32_e32 v3, v4, v3
	flat_store_dword v[52:53], v3 offset:704
	flat_load_dwordx4 v[4:7], v[50:51]
	s_waitcnt vmcnt(0) lgkmcnt(0)
	v_mov_b32_e32 v7, 1
	flat_store_byte v[52:53], v7 offset:400
	v_mov_b32_e32 v7, s12
.LBB26_55:                              ; =>This Inner Loop Header: Depth=1
	v_readfirstlane_b32 s8, v4
	v_readfirstlane_b32 s9, v5
	;; [unrolled: 1-line block ×4, first 2 shown]
	v_cmp_eq_u64_e32 vcc, s[8:9], v[4:5]
	v_cmp_eq_u64_e64 s[4:5], s[10:11], v[6:7]
	s_and_b64 s[4:5], vcc, s[4:5]
	s_and_saveexec_b64 s[4:5], s[4:5]
	s_nop 0
	buffer_load_dwordx4 v[8:11], v3, s[8:11], 0 offen
                                        ; implicit-def: $vgpr4_vgpr5_vgpr6_vgpr7
	s_xor_b64 exec, exec, s[4:5]
	s_cbranch_execnz .LBB26_55
; %bb.56:
	s_mov_b64 exec, s[6:7]
	s_waitcnt vmcnt(0)
	flat_store_dwordx4 v[52:53], v[8:11] offset:112
	flat_load_dwordx3 v[4:6], v[48:49]
	s_waitcnt vmcnt(0) lgkmcnt(0)
	v_add_u32_e32 v7, -7, v5
	v_add_u32_e32 v2, v5, v2
	v_add_u32_e32 v1, v1, v6
	;; [unrolled: 1-line block ×3, first 2 shown]
	v_cmp_ne_u32_e32 vcc, 0, v7
	flat_store_dwordx3 v[52:53], v[0:2] offset:716
	s_and_saveexec_b64 s[4:5], vcc
	s_cbranch_execz .LBB26_58
; %bb.57:
	v_add_u32_e32 v0, v13, v5
	flat_store_dword v[52:53], v0 offset:708
.LBB26_58:
	s_or_b64 exec, exec, s[4:5]
	v_or_b32_e32 v2, v6, v4
	v_cmp_ne_u32_e32 vcc, 0, v2
	v_mov_b32_e32 v0, 0
	s_and_saveexec_b64 s[4:5], vcc
	s_cbranch_execz .LBB26_60
; %bb.59:
	flat_load_dword v1, v[54:55] offset:24
	flat_load_dword v5, v[52:53] offset:712
	v_mov_b32_e32 v0, v6
	s_waitcnt vmcnt(0) lgkmcnt(0)
	v_mad_u64_u32 v[0:1], s[6:7], v1, v4, v[0:1]
	v_add_u32_e32 v1, v0, v5
	flat_store_dword v[52:53], v1 offset:712
.LBB26_60:
	s_or_b64 exec, exec, s[4:5]
	v_or_b32_e32 v1, v2, v7
	v_cmp_ne_u32_e32 vcc, 0, v1
	s_and_saveexec_b64 s[4:5], vcc
	s_cbranch_execz .LBB26_62
; %bb.61:
	flat_load_dword v1, v[54:55] offset:8
	s_waitcnt vmcnt(0) lgkmcnt(0)
	v_mul_lo_u32 v1, v1, v7
	v_add3_u32 v0, v3, v0, v1
	flat_store_dword v[52:53], v0 offset:704
.LBB26_62:
	s_or_b64 exec, exec, s[4:5]
	s_waitcnt lgkmcnt(0)
	s_barrier
	flat_load_dwordx3 v[4:6], v[30:31] offset:1132
	flat_load_dwordx2 v[8:9], v[28:29]
	flat_load_dwordx2 v[10:11], v[30:31] offset:1184
	flat_load_dwordx2 v[12:13], v[30:31] offset:1148
	flat_load_dword v7, v[30:31] offset:1176
	s_lshr_b32 s22, s33, 6
	s_add_i32 s22, s22, 52
	s_lshr_b32 s23, s33, 6
	s_mov_b32 s16, 0
	s_mov_b64 s[14:15], src_private_base
	s_addk_i32 s23, 0x74
	s_mov_b32 s17, s16
	s_lshr_b32 s14, s33, 6
	s_mov_b32 s18, s16
	s_mov_b32 s19, s16
	v_lshrrev_b32_e64 v16, 6, s33
	s_addk_i32 s14, 0x274
	s_mov_b32 s25, s15
	s_mov_b32 s24, s15
	v_add_u32_e32 v16, 0x74, v16
	s_waitcnt vmcnt(0) lgkmcnt(0)
	v_ashrrev_i32_e32 v1, 31, v4
	v_add_co_u32_e32 v0, vcc, v8, v4
	v_addc_co_u32_e32 v1, vcc, v9, v1, vcc
	flat_load_dwordx4 v[0:3], v[0:1]
	v_add_u32_e32 v11, 16, v11
	v_sub_u32_e32 v7, v13, v7
	v_ashrrev_i32_e32 v13, 31, v12
	v_sub_u32_e32 v6, v12, v6
	v_ashrrev_i32_e32 v14, 31, v11
	v_lshrrev_b32_e32 v13, 29, v13
	v_lshl_add_u32 v4, v6, 7, v4
	v_lshrrev_b32_e32 v6, 28, v14
	v_add_u32_e32 v13, v12, v13
	v_add_u32_e32 v6, v11, v6
	v_sub_u32_e32 v4, v4, v10
	v_and_b32_e32 v10, 0xffffff8, v13
	v_lshrrev_b32_e32 v13, 4, v6
	v_sub_u32_e32 v10, v12, v10
	v_add_u32_e32 v7, v7, v13
	v_xor_b32_e32 v7, v7, v10
	v_and_b32_e32 v6, -16, v6
	v_sub_u32_e32 v5, v7, v5
	v_sub_u32_e32 v6, v11, v6
	v_lshlrev_b32_e32 v5, 4, v5
	v_add3_u32 v4, v4, v6, v5
	v_ashrrev_i32_e32 v5, 31, v4
	v_add_co_u32_e32 v4, vcc, v8, v4
	v_addc_co_u32_e32 v5, vcc, v9, v5, vcc
	s_waitcnt vmcnt(0) lgkmcnt(0)
	buffer_store_dword v0, off, s[0:3], s33 offset:52
	buffer_store_dword v1, off, s[0:3], s33 offset:56
	;; [unrolled: 1-line block ×4, first 2 shown]
	flat_load_dwordx4 v[0:3], v[4:5]
	s_nop 0
	buffer_load_dword v4, off, s[0:3], s33 offset:116
	buffer_load_dword v5, off, s[0:3], s33 offset:120
	;; [unrolled: 1-line block ×4, first 2 shown]
	s_waitcnt vmcnt(0) lgkmcnt(0)
	buffer_store_dword v0, off, s[0:3], s33 offset:68
	buffer_store_dword v1, off, s[0:3], s33 offset:72
	;; [unrolled: 1-line block ×4, first 2 shown]
	;;#ASMSTART
	v_cvt_off_f32_i4 v0, v4
v_cvt_off_f32_i4 v1, v4, src0_sel:BYTE_2
v_cvt_pk_fp8_f32 v3, v0, v1
v_cvt_off_f32_i4 v0, v4, src0_sel:BYTE_1
v_cvt_off_f32_i4 v1, v4, src0_sel:BYTE_3
v_cvt_pk_fp8_f32 v8, v0, v1
v_lshrrev_b32 v2, 4, v4
v_cvt_off_f32_i4 v0, v2
v_cvt_off_f32_i4 v1, v2, src0_sel:BYTE_2
v_cvt_pk_fp8_f32 v3, v0, v1, op_sel:[0, 0, 1]
v_cvt_off_f32_i4 v0, v2, src0_sel:BYTE_1
v_cvt_off_f32_i4 v1, v2, src0_sel:BYTE_3
v_cvt_pk_fp8_f32 v8, v0, v1, op_sel:[0, 0, 1]

	;;#ASMEND
	;;#ASMSTART
	v_cvt_off_f32_i4 v0, v5
v_cvt_off_f32_i4 v1, v5, src0_sel:BYTE_2
v_cvt_pk_fp8_f32 v4, v0, v1
v_cvt_off_f32_i4 v0, v5, src0_sel:BYTE_1
v_cvt_off_f32_i4 v1, v5, src0_sel:BYTE_3
v_cvt_pk_fp8_f32 v9, v0, v1
v_lshrrev_b32 v2, 4, v5
v_cvt_off_f32_i4 v0, v2
v_cvt_off_f32_i4 v1, v2, src0_sel:BYTE_2
v_cvt_pk_fp8_f32 v4, v0, v1, op_sel:[0, 0, 1]
v_cvt_off_f32_i4 v0, v2, src0_sel:BYTE_1
v_cvt_off_f32_i4 v1, v2, src0_sel:BYTE_3
v_cvt_pk_fp8_f32 v9, v0, v1, op_sel:[0, 0, 1]

	;;#ASMEND
	;; [unrolled: 16-line block ×4, first 2 shown]
	buffer_load_dword v0, off, s[0:3], s33 offset:148
	buffer_load_dword v1, off, s[0:3], s33 offset:152
	;; [unrolled: 1-line block ×4, first 2 shown]
	s_nop 0
	buffer_store_dword v3, off, s[0:3], s33 offset:628
	buffer_store_dword v8, off, s[0:3], s33 offset:632
	;; [unrolled: 1-line block ×8, first 2 shown]
	s_waitcnt vmcnt(11)
	;;#ASMSTART
	v_cvt_off_f32_i4 v3, v0
v_cvt_off_f32_i4 v4, v0, src0_sel:BYTE_2
v_cvt_pk_fp8_f32 v6, v3, v4
v_cvt_off_f32_i4 v3, v0, src0_sel:BYTE_1
v_cvt_off_f32_i4 v4, v0, src0_sel:BYTE_3
v_cvt_pk_fp8_f32 v8, v3, v4
v_lshrrev_b32 v5, 4, v0
v_cvt_off_f32_i4 v3, v5
v_cvt_off_f32_i4 v4, v5, src0_sel:BYTE_2
v_cvt_pk_fp8_f32 v6, v3, v4, op_sel:[0, 0, 1]
v_cvt_off_f32_i4 v3, v5, src0_sel:BYTE_1
v_cvt_off_f32_i4 v4, v5, src0_sel:BYTE_3
v_cvt_pk_fp8_f32 v8, v3, v4, op_sel:[0, 0, 1]

	;;#ASMEND
	s_waitcnt vmcnt(10)
	;;#ASMSTART
	v_cvt_off_f32_i4 v0, v1
v_cvt_off_f32_i4 v3, v1, src0_sel:BYTE_2
v_cvt_pk_fp8_f32 v5, v0, v3
v_cvt_off_f32_i4 v0, v1, src0_sel:BYTE_1
v_cvt_off_f32_i4 v3, v1, src0_sel:BYTE_3
v_cvt_pk_fp8_f32 v9, v0, v3
v_lshrrev_b32 v4, 4, v1
v_cvt_off_f32_i4 v0, v4
v_cvt_off_f32_i4 v3, v4, src0_sel:BYTE_2
v_cvt_pk_fp8_f32 v5, v0, v3, op_sel:[0, 0, 1]
v_cvt_off_f32_i4 v0, v4, src0_sel:BYTE_1
v_cvt_off_f32_i4 v3, v4, src0_sel:BYTE_3
v_cvt_pk_fp8_f32 v9, v0, v3, op_sel:[0, 0, 1]

	;;#ASMEND
	;; [unrolled: 17-line block ×4, first 2 shown]
	buffer_load_dword v0, off, s[0:3], s33 offset:180
	buffer_load_dword v1, off, s[0:3], s33 offset:184
	;; [unrolled: 1-line block ×4, first 2 shown]
	s_nop 0
	buffer_store_dword v6, off, s[0:3], s33 offset:660
	buffer_store_dword v8, off, s[0:3], s33 offset:664
	buffer_store_dword v5, off, s[0:3], s33 offset:668
	buffer_store_dword v9, off, s[0:3], s33 offset:672
	buffer_store_dword v4, off, s[0:3], s33 offset:676
	buffer_store_dword v10, off, s[0:3], s33 offset:680
	buffer_store_dword v3, off, s[0:3], s33 offset:684
	buffer_store_dword v11, off, s[0:3], s33 offset:688
	s_waitcnt vmcnt(11)
	;;#ASMSTART
	v_cvt_off_f32_i4 v3, v0
v_cvt_off_f32_i4 v4, v0, src0_sel:BYTE_2
v_cvt_pk_fp8_f32 v6, v3, v4
v_cvt_off_f32_i4 v3, v0, src0_sel:BYTE_1
v_cvt_off_f32_i4 v4, v0, src0_sel:BYTE_3
v_cvt_pk_fp8_f32 v8, v3, v4
v_lshrrev_b32 v5, 4, v0
v_cvt_off_f32_i4 v3, v5
v_cvt_off_f32_i4 v4, v5, src0_sel:BYTE_2
v_cvt_pk_fp8_f32 v6, v3, v4, op_sel:[0, 0, 1]
v_cvt_off_f32_i4 v3, v5, src0_sel:BYTE_1
v_cvt_off_f32_i4 v4, v5, src0_sel:BYTE_3
v_cvt_pk_fp8_f32 v8, v3, v4, op_sel:[0, 0, 1]

	;;#ASMEND
	s_waitcnt vmcnt(10)
	;;#ASMSTART
	v_cvt_off_f32_i4 v0, v1
v_cvt_off_f32_i4 v3, v1, src0_sel:BYTE_2
v_cvt_pk_fp8_f32 v5, v0, v3
v_cvt_off_f32_i4 v0, v1, src0_sel:BYTE_1
v_cvt_off_f32_i4 v3, v1, src0_sel:BYTE_3
v_cvt_pk_fp8_f32 v9, v0, v3
v_lshrrev_b32 v4, 4, v1
v_cvt_off_f32_i4 v0, v4
v_cvt_off_f32_i4 v3, v4, src0_sel:BYTE_2
v_cvt_pk_fp8_f32 v5, v0, v3, op_sel:[0, 0, 1]
v_cvt_off_f32_i4 v0, v4, src0_sel:BYTE_1
v_cvt_off_f32_i4 v3, v4, src0_sel:BYTE_3
v_cvt_pk_fp8_f32 v9, v0, v3, op_sel:[0, 0, 1]

	;;#ASMEND
	;; [unrolled: 17-line block ×4, first 2 shown]
	buffer_load_dword v0, off, s[0:3], s33 offset:212
	buffer_load_dword v1, off, s[0:3], s33 offset:216
	;; [unrolled: 1-line block ×4, first 2 shown]
	s_nop 0
	buffer_store_dword v6, off, s[0:3], s33 offset:692
	buffer_store_dword v8, off, s[0:3], s33 offset:696
	;; [unrolled: 1-line block ×8, first 2 shown]
	s_waitcnt vmcnt(11)
	;;#ASMSTART
	v_cvt_off_f32_i4 v3, v0
v_cvt_off_f32_i4 v4, v0, src0_sel:BYTE_2
v_cvt_pk_fp8_f32 v6, v3, v4
v_cvt_off_f32_i4 v3, v0, src0_sel:BYTE_1
v_cvt_off_f32_i4 v4, v0, src0_sel:BYTE_3
v_cvt_pk_fp8_f32 v8, v3, v4
v_lshrrev_b32 v5, 4, v0
v_cvt_off_f32_i4 v3, v5
v_cvt_off_f32_i4 v4, v5, src0_sel:BYTE_2
v_cvt_pk_fp8_f32 v6, v3, v4, op_sel:[0, 0, 1]
v_cvt_off_f32_i4 v3, v5, src0_sel:BYTE_1
v_cvt_off_f32_i4 v4, v5, src0_sel:BYTE_3
v_cvt_pk_fp8_f32 v8, v3, v4, op_sel:[0, 0, 1]

	;;#ASMEND
	s_waitcnt vmcnt(10)
	;;#ASMSTART
	v_cvt_off_f32_i4 v0, v1
v_cvt_off_f32_i4 v3, v1, src0_sel:BYTE_2
v_cvt_pk_fp8_f32 v5, v0, v3
v_cvt_off_f32_i4 v0, v1, src0_sel:BYTE_1
v_cvt_off_f32_i4 v3, v1, src0_sel:BYTE_3
v_cvt_pk_fp8_f32 v9, v0, v3
v_lshrrev_b32 v4, 4, v1
v_cvt_off_f32_i4 v0, v4
v_cvt_off_f32_i4 v3, v4, src0_sel:BYTE_2
v_cvt_pk_fp8_f32 v5, v0, v3, op_sel:[0, 0, 1]
v_cvt_off_f32_i4 v0, v4, src0_sel:BYTE_1
v_cvt_off_f32_i4 v3, v4, src0_sel:BYTE_3
v_cvt_pk_fp8_f32 v9, v0, v3, op_sel:[0, 0, 1]

	;;#ASMEND
	;; [unrolled: 17-line block ×4, first 2 shown]
	buffer_load_dword v0, off, s[0:3], s33 offset:244
	buffer_load_dword v1, off, s[0:3], s33 offset:248
	;; [unrolled: 1-line block ×4, first 2 shown]
	s_nop 0
	buffer_store_dword v6, off, s[0:3], s33 offset:724
	buffer_store_dword v8, off, s[0:3], s33 offset:728
	;; [unrolled: 1-line block ×8, first 2 shown]
	s_waitcnt vmcnt(11)
	;;#ASMSTART
	v_cvt_off_f32_i4 v3, v0
v_cvt_off_f32_i4 v4, v0, src0_sel:BYTE_2
v_cvt_pk_fp8_f32 v6, v3, v4
v_cvt_off_f32_i4 v3, v0, src0_sel:BYTE_1
v_cvt_off_f32_i4 v4, v0, src0_sel:BYTE_3
v_cvt_pk_fp8_f32 v8, v3, v4
v_lshrrev_b32 v5, 4, v0
v_cvt_off_f32_i4 v3, v5
v_cvt_off_f32_i4 v4, v5, src0_sel:BYTE_2
v_cvt_pk_fp8_f32 v6, v3, v4, op_sel:[0, 0, 1]
v_cvt_off_f32_i4 v3, v5, src0_sel:BYTE_1
v_cvt_off_f32_i4 v4, v5, src0_sel:BYTE_3
v_cvt_pk_fp8_f32 v8, v3, v4, op_sel:[0, 0, 1]

	;;#ASMEND
	s_waitcnt vmcnt(10)
	;;#ASMSTART
	v_cvt_off_f32_i4 v0, v1
v_cvt_off_f32_i4 v3, v1, src0_sel:BYTE_2
v_cvt_pk_fp8_f32 v5, v0, v3
v_cvt_off_f32_i4 v0, v1, src0_sel:BYTE_1
v_cvt_off_f32_i4 v3, v1, src0_sel:BYTE_3
v_cvt_pk_fp8_f32 v9, v0, v3
v_lshrrev_b32 v4, 4, v1
v_cvt_off_f32_i4 v0, v4
v_cvt_off_f32_i4 v3, v4, src0_sel:BYTE_2
v_cvt_pk_fp8_f32 v5, v0, v3, op_sel:[0, 0, 1]
v_cvt_off_f32_i4 v0, v4, src0_sel:BYTE_1
v_cvt_off_f32_i4 v3, v4, src0_sel:BYTE_3
v_cvt_pk_fp8_f32 v9, v0, v3, op_sel:[0, 0, 1]

	;;#ASMEND
	;; [unrolled: 17-line block ×4, first 2 shown]
	buffer_load_dword v0, off, s[0:3], s33 offset:276
	buffer_load_dword v1, off, s[0:3], s33 offset:280
	;; [unrolled: 1-line block ×4, first 2 shown]
	s_nop 0
	buffer_store_dword v6, off, s[0:3], s33 offset:756
	buffer_store_dword v8, off, s[0:3], s33 offset:760
	;; [unrolled: 1-line block ×8, first 2 shown]
	s_waitcnt vmcnt(11)
	;;#ASMSTART
	v_cvt_off_f32_i4 v3, v0
v_cvt_off_f32_i4 v4, v0, src0_sel:BYTE_2
v_cvt_pk_fp8_f32 v6, v3, v4
v_cvt_off_f32_i4 v3, v0, src0_sel:BYTE_1
v_cvt_off_f32_i4 v4, v0, src0_sel:BYTE_3
v_cvt_pk_fp8_f32 v8, v3, v4
v_lshrrev_b32 v5, 4, v0
v_cvt_off_f32_i4 v3, v5
v_cvt_off_f32_i4 v4, v5, src0_sel:BYTE_2
v_cvt_pk_fp8_f32 v6, v3, v4, op_sel:[0, 0, 1]
v_cvt_off_f32_i4 v3, v5, src0_sel:BYTE_1
v_cvt_off_f32_i4 v4, v5, src0_sel:BYTE_3
v_cvt_pk_fp8_f32 v8, v3, v4, op_sel:[0, 0, 1]

	;;#ASMEND
	s_waitcnt vmcnt(10)
	;;#ASMSTART
	v_cvt_off_f32_i4 v0, v1
v_cvt_off_f32_i4 v3, v1, src0_sel:BYTE_2
v_cvt_pk_fp8_f32 v5, v0, v3
v_cvt_off_f32_i4 v0, v1, src0_sel:BYTE_1
v_cvt_off_f32_i4 v3, v1, src0_sel:BYTE_3
v_cvt_pk_fp8_f32 v9, v0, v3
v_lshrrev_b32 v4, 4, v1
v_cvt_off_f32_i4 v0, v4
v_cvt_off_f32_i4 v3, v4, src0_sel:BYTE_2
v_cvt_pk_fp8_f32 v5, v0, v3, op_sel:[0, 0, 1]
v_cvt_off_f32_i4 v0, v4, src0_sel:BYTE_1
v_cvt_off_f32_i4 v3, v4, src0_sel:BYTE_3
v_cvt_pk_fp8_f32 v9, v0, v3, op_sel:[0, 0, 1]

	;;#ASMEND
	;; [unrolled: 17-line block ×4, first 2 shown]
	buffer_load_dword v0, off, s[0:3], s33 offset:308
	buffer_load_dword v1, off, s[0:3], s33 offset:312
	;; [unrolled: 1-line block ×4, first 2 shown]
	s_nop 0
	buffer_store_dword v6, off, s[0:3], s33 offset:788
	buffer_store_dword v8, off, s[0:3], s33 offset:792
	;; [unrolled: 1-line block ×8, first 2 shown]
	s_waitcnt vmcnt(11)
	;;#ASMSTART
	v_cvt_off_f32_i4 v3, v0
v_cvt_off_f32_i4 v4, v0, src0_sel:BYTE_2
v_cvt_pk_fp8_f32 v6, v3, v4
v_cvt_off_f32_i4 v3, v0, src0_sel:BYTE_1
v_cvt_off_f32_i4 v4, v0, src0_sel:BYTE_3
v_cvt_pk_fp8_f32 v8, v3, v4
v_lshrrev_b32 v5, 4, v0
v_cvt_off_f32_i4 v3, v5
v_cvt_off_f32_i4 v4, v5, src0_sel:BYTE_2
v_cvt_pk_fp8_f32 v6, v3, v4, op_sel:[0, 0, 1]
v_cvt_off_f32_i4 v3, v5, src0_sel:BYTE_1
v_cvt_off_f32_i4 v4, v5, src0_sel:BYTE_3
v_cvt_pk_fp8_f32 v8, v3, v4, op_sel:[0, 0, 1]

	;;#ASMEND
	s_waitcnt vmcnt(10)
	;;#ASMSTART
	v_cvt_off_f32_i4 v0, v1
v_cvt_off_f32_i4 v3, v1, src0_sel:BYTE_2
v_cvt_pk_fp8_f32 v5, v0, v3
v_cvt_off_f32_i4 v0, v1, src0_sel:BYTE_1
v_cvt_off_f32_i4 v3, v1, src0_sel:BYTE_3
v_cvt_pk_fp8_f32 v9, v0, v3
v_lshrrev_b32 v4, 4, v1
v_cvt_off_f32_i4 v0, v4
v_cvt_off_f32_i4 v3, v4, src0_sel:BYTE_2
v_cvt_pk_fp8_f32 v5, v0, v3, op_sel:[0, 0, 1]
v_cvt_off_f32_i4 v0, v4, src0_sel:BYTE_1
v_cvt_off_f32_i4 v3, v4, src0_sel:BYTE_3
v_cvt_pk_fp8_f32 v9, v0, v3, op_sel:[0, 0, 1]

	;;#ASMEND
	;; [unrolled: 17-line block ×4, first 2 shown]
	buffer_load_dword v7, off, s[0:3], s33 offset:340
	buffer_load_dword v13, off, s[0:3], s33 offset:344
	;; [unrolled: 1-line block ×4, first 2 shown]
	v_pk_mov_b32 v[0:1], s[16:17], s[16:17] op_sel:[0,1]
	buffer_store_dword v6, off, s[0:3], s33 offset:820
	buffer_store_dword v8, off, s[0:3], s33 offset:824
	;; [unrolled: 1-line block ×8, first 2 shown]
	v_pk_mov_b32 v[2:3], s[18:19], s[18:19] op_sel:[0,1]
	s_waitcnt vmcnt(11)
	;;#ASMSTART
	v_cvt_off_f32_i4 v4, v7
v_cvt_off_f32_i4 v5, v7, src0_sel:BYTE_2
v_cvt_pk_fp8_f32 v8, v4, v5
v_cvt_off_f32_i4 v4, v7, src0_sel:BYTE_1
v_cvt_off_f32_i4 v5, v7, src0_sel:BYTE_3
v_cvt_pk_fp8_f32 v9, v4, v5
v_lshrrev_b32 v6, 4, v7
v_cvt_off_f32_i4 v4, v6
v_cvt_off_f32_i4 v5, v6, src0_sel:BYTE_2
v_cvt_pk_fp8_f32 v8, v4, v5, op_sel:[0, 0, 1]
v_cvt_off_f32_i4 v4, v6, src0_sel:BYTE_1
v_cvt_off_f32_i4 v5, v6, src0_sel:BYTE_3
v_cvt_pk_fp8_f32 v9, v4, v5, op_sel:[0, 0, 1]

	;;#ASMEND
	s_waitcnt vmcnt(10)
	;;#ASMSTART
	v_cvt_off_f32_i4 v4, v13
v_cvt_off_f32_i4 v5, v13, src0_sel:BYTE_2
v_cvt_pk_fp8_f32 v7, v4, v5
v_cvt_off_f32_i4 v4, v13, src0_sel:BYTE_1
v_cvt_off_f32_i4 v5, v13, src0_sel:BYTE_3
v_cvt_pk_fp8_f32 v10, v4, v5
v_lshrrev_b32 v6, 4, v13
v_cvt_off_f32_i4 v4, v6
v_cvt_off_f32_i4 v5, v6, src0_sel:BYTE_2
v_cvt_pk_fp8_f32 v7, v4, v5, op_sel:[0, 0, 1]
v_cvt_off_f32_i4 v4, v6, src0_sel:BYTE_1
v_cvt_off_f32_i4 v5, v6, src0_sel:BYTE_3
v_cvt_pk_fp8_f32 v10, v4, v5, op_sel:[0, 0, 1]

	;;#ASMEND
	;; [unrolled: 17-line block ×4, first 2 shown]
	flat_store_dwordx4 v[26:27], v[0:3]
	flat_store_dwordx4 v[26:27], v[0:3] offset:16
	flat_store_dwordx4 v[26:27], v[0:3] offset:32
	;; [unrolled: 1-line block ×62, first 2 shown]
	buffer_store_dword v8, off, s[0:3], s33 offset:852
	buffer_store_dword v9, off, s[0:3], s33 offset:856
	;; [unrolled: 1-line block ×8, first 2 shown]
	flat_store_dwordx4 v[26:27], v[0:3] offset:1008
	; sched_barrier mask(0x00000000)
	s_lshr_b32 s17, s33, 6
	s_add_i32 s17, s17, 48
	s_lshr_b32 s27, s33, 6
	s_lshr_b32 s29, s33, 6
	s_add_i32 s29, s29, 8
	s_lshr_b32 s5, s33, 6
	s_movk_i32 s4, 0x100
	s_addk_i32 s5, 0x274
	s_add_u32 s35, s5, s4
	s_mov_b32 s26, s15
	v_add_u32_e32 v64, 0x100, v16
	s_mov_b32 s28, s15
	s_mov_b32 s34, s15
	s_addc_u32 s36, s15, 0
	v_add_u32_e32 v68, -2, v22
	s_mov_b64 s[18:19], 0
	s_mov_b32 s37, 0x20000
	s_mov_b32 s38, 0x3060504
	;; [unrolled: 1-line block ×5, first 2 shown]
	s_movk_i32 s42, 0x60
	s_movk_i32 s43, 0x80
	;; [unrolled: 1-line block ×5, first 2 shown]
	v_mov_b32_e32 v66, 0
	v_mov_b32_e32 v69, 1
	s_branch .LBB26_64
.LBB26_63:                              ;   in Loop: Header=BB26_64 Depth=1
	s_or_b64 exec, exec, s[4:5]
	v_mov_b32_e32 v67, s28
	v_mov_b32_e32 v70, s27
	;; [unrolled: 1-line block ×10, first 2 shown]
	buffer_store_dword v67, off, s[0:3], s33 offset:12
	buffer_store_dword v70, off, s[0:3], s33 offset:8
	;; [unrolled: 1-line block ×10, first 2 shown]
	s_getpc_b64 s[4:5]
	s_add_u32 s4, s4, _ZNK2ck6detail7applierIiJLi0ELi1ELi2ELi3ELi4ELi5ELi6ELi7EEEclIZNKS_11static_fordINS_8SequenceIJLi1ELi8EEEENS5_IJLi0ELi1EEEEEclIZZZNKS_52BlockwiseGemmXdlops_pipeline_bpreshuffle_bdequant_v3ILNS_26BlockGemmPipelineSchedulerE0ELi256ENS_9f8_fnuz_tENS_7pk_i4_tESC_fNS_16TensorDescriptorINS_5TupleIJNS_5EmbedINSF_IJNS_17integral_constantIiLi8EEENSH_IiLi256EEENSH_IiLi16EEEEEENSF_IJSK_NSH_IiLi128EEENSH_IiLi1EEEEEELb0EEENS_3XorINSF_IJSJ_SI_EEELb1EEENS_11PassThroughISK_EENS_7UnMergeINSF_IJSI_SN_EEELb0EEENST_ISJ_EESU_NST_ISI_EENS_21Merge_v3_division_modINSF_IJSJ_SN_EEEEESU_EEENSF_IJNS5_IJLi0EEEENS5_IJLi2ELi1EEEENS5_IJLi3EEEENS5_IJLi5EEEENS5_IJLi4EEEENS5_IJLi6EEEENS5_IJLi7EEEENS5_IJLi9ELi8EEEENS5_IJLi10EEEEEEENSF_IJNS5_IJLi1ELi2ELi3EEEENS5_IJLi4ELi5EEEES19_NS5_IJLi7ELi8EEEENS5_IJLi9EEEES1C_NS5_IJLi11EEEENS5_IJLi12EEEENS5_IJLi13EEEEEEENS5_IJLi11ELi12ELi13EEEENSH_IlLl32768EEEEENSE_INSF_IJNSV_INSF_IJSI_SN_SN_NSH_IiLi32EEEEEELb0EEEEEENSF_IJS14_EEENSF_IJNS5_IJLi1ELi2ELi3ELi4EEEEEEES1U_NSH_IlLl256EEEEENSE_INSF_IJSP_SS_SU_SX_SY_SU_SZ_S12_SU_NS10_INSF_IJSI_SK_EEEEENSV_INSF_IJSI_NSH_IiLi2EEESK_EEELb0EEEEEENSF_IJS14_S15_S16_S17_S18_S19_S1A_S1B_S1C_NS5_IJLi11ELi13EEEES1J_EEENSF_IJS1E_S1F_S19_S1G_S1H_S1C_S1I_S1J_S1K_NS5_IJLi14EEEENS5_IJLi15ELi16ELi17EEEEEEENS5_IJLi15ELi16ELi17ELi14EEEES1N_EENSE_INSF_IJS1R_NS10_ISW_EES22_EEENSF_IJS14_NS5_IJLi1ELi3EEEENS5_IJLi2EEEEEEENSF_IJS1U_S17_NS5_IJLi6ELi7ELi8EEEEEEENS5_IJLi6ELi7ELi8ELi5EEEES1W_EELi16ELi32ELi256ELi256ELi128ELi16ELi16ELi8ELi8ELi32ELb0EE3RunILb1ELNS_10TailNumberE0ENSE_INSF_IJNSG_INSF_IJiiEEENSF_IJiSN_EEELb0EEENSV_IS2N_Lb0EEENST_IiEEEEENSF_IJS14_S2E_NS5_IJLi1EEEEEEENSF_IJNS5_IJLi1ELi2EEEENS5_IJLi3ELi4EEEES17_EEENS5_IJLi3ELi5ELi4EEEElEES1O_NS_35ThreadGroupTensorSliceTransfer_v4r1INS_15ThisThreadBlockILi256EEENS_16tensor_operation12element_wise11PassThroughES35_LNS_25InMemoryDataOperationEnumE0ENS5_IJLi8ELi256ELi16EEEENS5_IJLi8ELi32ELi1EEEENS5_IJLi1ELi0ELi2EEEESC_SC_RKS2Z_KS1O_S39_NS5_IJLi0ELi1ELi2EEEELi2ELi2ELi16ELi16ELi1ELi1ELb0ELb1ELi2EiEENS_13DynamicBufferILNS_16AddressSpaceEnumE1EKSC_lLb1ELNS_22AmdBufferCoherenceEnumE0EiEENSF_IJNS3F_ILS3G_2ESC_S1N_Lb1ELS3I_0EiEES3K_EEENSF_IJiiiEEENSE_INSF_IJNSG_INSF_IJiiiiEEENSF_IJiiiSN_EEELb0EEEEEES1T_S1V_S1U_lEENS_32ThreadwiseTensorSliceTransfer_v2ISD_SD_RKS3R_KS1X_NS5_IJLi8ELi1ELi1ELi32EEEENS5_IJLi1ELi2ELi0ELi3EEEELi3ELi32ELi0ELb1ELb0ELb0EEENS3F_ILS3G_1EKSD_lLb1ELS3I_0EiEENSF_IJNS_12StaticBufferILS3G_4ESD_Li256ELb1EEES42_EEES3N_NS_25StaticBufferTupleOfVectorILS3G_4EfLi64ELi4ELb1ELb0EEEEEvRKT1_RKT2_RT3_RKT4_RT5_RKT6_RKT7_RT8_RKT9_RT10_RKT11_RT12_iENKUlT_T0_E_clISN_NSH_IiLi0EEEEEDaS51_S52_ENKUlS51_E_clIS20_EEDaS51_EUlS51_E_EEvS51_EUlS51_E_EEvS51_@rel32@lo+4
	s_addc_u32 s5, s5, _ZNK2ck6detail7applierIiJLi0ELi1ELi2ELi3ELi4ELi5ELi6ELi7EEEclIZNKS_11static_fordINS_8SequenceIJLi1ELi8EEEENS5_IJLi0ELi1EEEEEclIZZZNKS_52BlockwiseGemmXdlops_pipeline_bpreshuffle_bdequant_v3ILNS_26BlockGemmPipelineSchedulerE0ELi256ENS_9f8_fnuz_tENS_7pk_i4_tESC_fNS_16TensorDescriptorINS_5TupleIJNS_5EmbedINSF_IJNS_17integral_constantIiLi8EEENSH_IiLi256EEENSH_IiLi16EEEEEENSF_IJSK_NSH_IiLi128EEENSH_IiLi1EEEEEELb0EEENS_3XorINSF_IJSJ_SI_EEELb1EEENS_11PassThroughISK_EENS_7UnMergeINSF_IJSI_SN_EEELb0EEENST_ISJ_EESU_NST_ISI_EENS_21Merge_v3_division_modINSF_IJSJ_SN_EEEEESU_EEENSF_IJNS5_IJLi0EEEENS5_IJLi2ELi1EEEENS5_IJLi3EEEENS5_IJLi5EEEENS5_IJLi4EEEENS5_IJLi6EEEENS5_IJLi7EEEENS5_IJLi9ELi8EEEENS5_IJLi10EEEEEEENSF_IJNS5_IJLi1ELi2ELi3EEEENS5_IJLi4ELi5EEEES19_NS5_IJLi7ELi8EEEENS5_IJLi9EEEES1C_NS5_IJLi11EEEENS5_IJLi12EEEENS5_IJLi13EEEEEEENS5_IJLi11ELi12ELi13EEEENSH_IlLl32768EEEEENSE_INSF_IJNSV_INSF_IJSI_SN_SN_NSH_IiLi32EEEEEELb0EEEEEENSF_IJS14_EEENSF_IJNS5_IJLi1ELi2ELi3ELi4EEEEEEES1U_NSH_IlLl256EEEEENSE_INSF_IJSP_SS_SU_SX_SY_SU_SZ_S12_SU_NS10_INSF_IJSI_SK_EEEEENSV_INSF_IJSI_NSH_IiLi2EEESK_EEELb0EEEEEENSF_IJS14_S15_S16_S17_S18_S19_S1A_S1B_S1C_NS5_IJLi11ELi13EEEES1J_EEENSF_IJS1E_S1F_S19_S1G_S1H_S1C_S1I_S1J_S1K_NS5_IJLi14EEEENS5_IJLi15ELi16ELi17EEEEEEENS5_IJLi15ELi16ELi17ELi14EEEES1N_EENSE_INSF_IJS1R_NS10_ISW_EES22_EEENSF_IJS14_NS5_IJLi1ELi3EEEENS5_IJLi2EEEEEEENSF_IJS1U_S17_NS5_IJLi6ELi7ELi8EEEEEEENS5_IJLi6ELi7ELi8ELi5EEEES1W_EELi16ELi32ELi256ELi256ELi128ELi16ELi16ELi8ELi8ELi32ELb0EE3RunILb1ELNS_10TailNumberE0ENSE_INSF_IJNSG_INSF_IJiiEEENSF_IJiSN_EEELb0EEENSV_IS2N_Lb0EEENST_IiEEEEENSF_IJS14_S2E_NS5_IJLi1EEEEEEENSF_IJNS5_IJLi1ELi2EEEENS5_IJLi3ELi4EEEES17_EEENS5_IJLi3ELi5ELi4EEEElEES1O_NS_35ThreadGroupTensorSliceTransfer_v4r1INS_15ThisThreadBlockILi256EEENS_16tensor_operation12element_wise11PassThroughES35_LNS_25InMemoryDataOperationEnumE0ENS5_IJLi8ELi256ELi16EEEENS5_IJLi8ELi32ELi1EEEENS5_IJLi1ELi0ELi2EEEESC_SC_RKS2Z_KS1O_S39_NS5_IJLi0ELi1ELi2EEEELi2ELi2ELi16ELi16ELi1ELi1ELb0ELb1ELi2EiEENS_13DynamicBufferILNS_16AddressSpaceEnumE1EKSC_lLb1ELNS_22AmdBufferCoherenceEnumE0EiEENSF_IJNS3F_ILS3G_2ESC_S1N_Lb1ELS3I_0EiEES3K_EEENSF_IJiiiEEENSE_INSF_IJNSG_INSF_IJiiiiEEENSF_IJiiiSN_EEELb0EEEEEES1T_S1V_S1U_lEENS_32ThreadwiseTensorSliceTransfer_v2ISD_SD_RKS3R_KS1X_NS5_IJLi8ELi1ELi1ELi32EEEENS5_IJLi1ELi2ELi0ELi3EEEELi3ELi32ELi0ELb1ELb0ELb0EEENS3F_ILS3G_1EKSD_lLb1ELS3I_0EiEENSF_IJNS_12StaticBufferILS3G_4ESD_Li256ELb1EEES42_EEES3N_NS_25StaticBufferTupleOfVectorILS3G_4EfLi64ELi4ELb1ELb0EEEEEvRKT1_RKT2_RT3_RKT4_RT5_RKT6_RKT7_RT8_RKT9_RT10_RKT11_RT12_iENKUlT_T0_E_clISN_NSH_IiLi0EEEEEDaS51_S52_ENKUlS51_E_clIS20_EEDaS51_EUlS51_E_EEvS51_EUlS51_E_EEvS51_@rel32@hi+12
	s_swappc_b64 s[30:31], s[4:5]
	flat_load_dwordx2 v[12:13], v[30:31] offset:1148
	flat_load_dwordx2 v[14:15], v[30:31] offset:1164
	flat_load_dwordx4 v[0:3], v[30:31] offset:1176
	flat_load_dwordx3 v[8:10], v[30:31] offset:1132
	flat_load_dwordx2 v[16:17], v[28:29] offset:16
	s_getpc_b64 s[20:21]
	s_add_u32 s20, s20, _ZNK2ck44ThreadwiseTensorSliceTransfer_StaticToStaticINS_7pk_i4_tENS_9f8_fnuz_tEKNS_16TensorDescriptorINS_5TupleIJNS_7UnMergeINS4_IJNS_17integral_constantIiLi8EEENS6_IiLi1EEES8_NS6_IiLi32EEEEEELb0EEEEEENS4_IJNS_8SequenceIJLi0EEEEEEENS4_IJNSD_IJLi1ELi2ELi3ELi4EEEEEEESG_NS6_IlLl256EEEEESK_NS_16tensor_operation12element_wise11PassThroughENSD_IJLi8ELi1ELi1ELi32EEEENSD_IJLi1ELi2ELi0ELi3EEEELi3ELi32ELb0EE3RunINS4_IJNS6_IiLi0EEESS_SS_SS_EEEST_NS_12StaticBufferILNS_16AddressSpaceEnumE4ES1_Li256ELb1EEENSU_ILSV_4ES2_Li256ELb1EEEEEvRSK_RKT_RKT1_SY_RKT0_RT2_@rel32@lo+4
	s_addc_u32 s21, s21, _ZNK2ck44ThreadwiseTensorSliceTransfer_StaticToStaticINS_7pk_i4_tENS_9f8_fnuz_tEKNS_16TensorDescriptorINS_5TupleIJNS_7UnMergeINS4_IJNS_17integral_constantIiLi8EEENS6_IiLi1EEES8_NS6_IiLi32EEEEEELb0EEEEEENS4_IJNS_8SequenceIJLi0EEEEEEENS4_IJNSD_IJLi1ELi2ELi3ELi4EEEEEEESG_NS6_IlLl256EEEEESK_NS_16tensor_operation12element_wise11PassThroughENSD_IJLi8ELi1ELi1ELi32EEEENSD_IJLi1ELi2ELi0ELi3EEEELi3ELi32ELb0EE3RunINS4_IJNS6_IiLi0EEESS_SS_SS_EEEST_NS_12StaticBufferILNS_16AddressSpaceEnumE4ES1_Li256ELb1EEENSU_ILSV_4ES2_Li256ELb1EEEEEvRSK_RKT_RKT1_SY_RKT0_RT2_@rel32@hi+12
	s_waitcnt vmcnt(0) lgkmcnt(0)
	v_sub_u32_e32 v4, v12, v15
	v_add3_u32 v1, v4, v1, s42
	v_ashrrev_i32_e32 v4, 31, v1
	v_lshrrev_b32_e32 v4, 29, v4
	v_add_u32_e32 v4, v1, v4
	v_and_b32_e32 v4, -8, v4
	v_sub_u32_e32 v5, v13, v14
	v_sub_u32_e32 v6, v1, v10
	;; [unrolled: 1-line block ×3, first 2 shown]
	v_xor_b32_e32 v4, v1, v5
	v_sub_u32_e32 v4, v4, v9
	v_lshlrev_b32_e32 v10, 7, v6
	v_lshlrev_b32_e32 v4, 4, v4
	v_add3_u32 v4, v10, v8, v4
	v_ashrrev_i32_e32 v5, 31, v4
	v_add_co_u32_e32 v4, vcc, v16, v4
	v_addc_co_u32_e32 v5, vcc, v17, v5, vcc
	flat_load_dwordx4 v[4:7], v[4:5]
	v_add_u32_e32 v3, 16, v3
	v_sub_u32_e32 v2, v8, v2
	v_ashrrev_i32_e32 v8, 31, v3
	v_lshrrev_b32_e32 v8, 28, v8
	v_add_u32_e32 v0, v14, v0
	v_add_u32_e32 v8, v3, v8
	v_sub_u32_e32 v0, v13, v0
	v_lshrrev_b32_e32 v11, 4, v8
	v_add_u32_e32 v0, v0, v11
	v_xor_b32_e32 v0, v0, v1
	v_and_b32_e32 v8, -16, v8
	v_sub_u32_e32 v0, v0, v9
	v_add_u32_e32 v2, v2, v10
	v_sub_u32_e32 v3, v3, v8
	v_lshlrev_b32_e32 v0, 4, v0
	v_add3_u32 v0, v2, v3, v0
	v_ashrrev_i32_e32 v1, 31, v0
	v_add_co_u32_e32 v0, vcc, v16, v0
	v_addc_co_u32_e32 v1, vcc, v17, v1, vcc
	s_waitcnt vmcnt(0) lgkmcnt(0)
	buffer_store_dword v4, off, s[0:3], s33 offset:84
	buffer_store_dword v5, off, s[0:3], s33 offset:88
	;; [unrolled: 1-line block ×4, first 2 shown]
	flat_load_dwordx4 v[0:3], v[0:1]
	s_waitcnt vmcnt(0) lgkmcnt(0)
	buffer_store_dword v0, off, s[0:3], s33 offset:100
	buffer_store_dword v1, off, s[0:3], s33 offset:104
	;; [unrolled: 1-line block ×4, first 2 shown]
	v_mov_b32_e32 v0, v64
	v_mov_b32_e32 v2, s35
	;; [unrolled: 1-line block ×4, first 2 shown]
	s_swappc_b64 s[30:31], s[20:21]
	; sched_group_barrier mask(0x00000008) size(3) SyncID(0)
	; sched_group_barrier mask(0x00000020) size(1) SyncID(0)
	;; [unrolled: 1-line block ×20, first 2 shown]
	; sched_barrier mask(0x00000000)
	v_mov_b32_e32 v0, s29
	v_mov_b32_e32 v1, s34
	buffer_store_dword v67, off, s[0:3], s33 offset:12
	buffer_store_dword v70, off, s[0:3], s33 offset:8
	;; [unrolled: 1-line block ×10, first 2 shown]
	s_getpc_b64 s[4:5]
	s_add_u32 s4, s4, _ZNK2ck6detail7applierIiJLi0ELi1ELi2ELi3ELi4ELi5ELi6ELi7EEEclIZNKS_11static_fordINS_8SequenceIJLi1ELi8EEEENS5_IJLi0ELi1EEEEEclIZZZNKS_52BlockwiseGemmXdlops_pipeline_bpreshuffle_bdequant_v3ILNS_26BlockGemmPipelineSchedulerE0ELi256ENS_9f8_fnuz_tENS_7pk_i4_tESC_fNS_16TensorDescriptorINS_5TupleIJNS_5EmbedINSF_IJNS_17integral_constantIiLi8EEENSH_IiLi256EEENSH_IiLi16EEEEEENSF_IJSK_NSH_IiLi128EEENSH_IiLi1EEEEEELb0EEENS_3XorINSF_IJSJ_SI_EEELb1EEENS_11PassThroughISK_EENS_7UnMergeINSF_IJSI_SN_EEELb0EEENST_ISJ_EESU_NST_ISI_EENS_21Merge_v3_division_modINSF_IJSJ_SN_EEEEESU_EEENSF_IJNS5_IJLi0EEEENS5_IJLi2ELi1EEEENS5_IJLi3EEEENS5_IJLi5EEEENS5_IJLi4EEEENS5_IJLi6EEEENS5_IJLi7EEEENS5_IJLi9ELi8EEEENS5_IJLi10EEEEEEENSF_IJNS5_IJLi1ELi2ELi3EEEENS5_IJLi4ELi5EEEES19_NS5_IJLi7ELi8EEEENS5_IJLi9EEEES1C_NS5_IJLi11EEEENS5_IJLi12EEEENS5_IJLi13EEEEEEENS5_IJLi11ELi12ELi13EEEENSH_IlLl32768EEEEENSE_INSF_IJNSV_INSF_IJSI_SN_SN_NSH_IiLi32EEEEEELb0EEEEEENSF_IJS14_EEENSF_IJNS5_IJLi1ELi2ELi3ELi4EEEEEEES1U_NSH_IlLl256EEEEENSE_INSF_IJSP_SS_SU_SX_SY_SU_SZ_S12_SU_NS10_INSF_IJSI_SK_EEEEENSV_INSF_IJSI_NSH_IiLi2EEESK_EEELb0EEEEEENSF_IJS14_S15_S16_S17_S18_S19_S1A_S1B_S1C_NS5_IJLi11ELi13EEEES1J_EEENSF_IJS1E_S1F_S19_S1G_S1H_S1C_S1I_S1J_S1K_NS5_IJLi14EEEENS5_IJLi15ELi16ELi17EEEEEEENS5_IJLi15ELi16ELi17ELi14EEEES1N_EENSE_INSF_IJS1R_NS10_ISW_EES22_EEENSF_IJS14_NS5_IJLi1ELi3EEEENS5_IJLi2EEEEEEENSF_IJS1U_S17_NS5_IJLi6ELi7ELi8EEEEEEENS5_IJLi6ELi7ELi8ELi5EEEES1W_EELi16ELi32ELi256ELi256ELi128ELi16ELi16ELi8ELi8ELi32ELb0EE3RunILb1ELNS_10TailNumberE0ENSE_INSF_IJNSG_INSF_IJiiEEENSF_IJiSN_EEELb0EEENSV_IS2N_Lb0EEENST_IiEEEEENSF_IJS14_S2E_NS5_IJLi1EEEEEEENSF_IJNS5_IJLi1ELi2EEEENS5_IJLi3ELi4EEEES17_EEENS5_IJLi3ELi5ELi4EEEElEES1O_NS_35ThreadGroupTensorSliceTransfer_v4r1INS_15ThisThreadBlockILi256EEENS_16tensor_operation12element_wise11PassThroughES35_LNS_25InMemoryDataOperationEnumE0ENS5_IJLi8ELi256ELi16EEEENS5_IJLi8ELi32ELi1EEEENS5_IJLi1ELi0ELi2EEEESC_SC_RKS2Z_KS1O_S39_NS5_IJLi0ELi1ELi2EEEELi2ELi2ELi16ELi16ELi1ELi1ELb0ELb1ELi2EiEENS_13DynamicBufferILNS_16AddressSpaceEnumE1EKSC_lLb1ELNS_22AmdBufferCoherenceEnumE0EiEENSF_IJNS3F_ILS3G_2ESC_S1N_Lb1ELS3I_0EiEES3K_EEENSF_IJiiiEEENSE_INSF_IJNSG_INSF_IJiiiiEEENSF_IJiiiSN_EEELb0EEEEEES1T_S1V_S1U_lEENS_32ThreadwiseTensorSliceTransfer_v2ISD_SD_RKS3R_KS1X_NS5_IJLi8ELi1ELi1ELi32EEEENS5_IJLi1ELi2ELi0ELi3EEEELi3ELi32ELi0ELb1ELb0ELb0EEENS3F_ILS3G_1EKSD_lLb1ELS3I_0EiEENSF_IJNS_12StaticBufferILS3G_4ESD_Li256ELb1EEES42_EEES3N_NS_25StaticBufferTupleOfVectorILS3G_4EfLi64ELi4ELb1ELb0EEEEEvRKT1_RKT2_RT3_RKT4_RT5_RKT6_RKT7_RT8_RKT9_RT10_RKT11_RT12_iENKUlT_T0_E_clISN_NSH_IiLi0EEEEEDaS51_S52_ENKUlS51_E_clINSH_IiLi3EEEEEDaS51_EUlS51_E_EEvS51_EUlS51_E_EEvS51_@rel32@lo+4
	s_addc_u32 s5, s5, _ZNK2ck6detail7applierIiJLi0ELi1ELi2ELi3ELi4ELi5ELi6ELi7EEEclIZNKS_11static_fordINS_8SequenceIJLi1ELi8EEEENS5_IJLi0ELi1EEEEEclIZZZNKS_52BlockwiseGemmXdlops_pipeline_bpreshuffle_bdequant_v3ILNS_26BlockGemmPipelineSchedulerE0ELi256ENS_9f8_fnuz_tENS_7pk_i4_tESC_fNS_16TensorDescriptorINS_5TupleIJNS_5EmbedINSF_IJNS_17integral_constantIiLi8EEENSH_IiLi256EEENSH_IiLi16EEEEEENSF_IJSK_NSH_IiLi128EEENSH_IiLi1EEEEEELb0EEENS_3XorINSF_IJSJ_SI_EEELb1EEENS_11PassThroughISK_EENS_7UnMergeINSF_IJSI_SN_EEELb0EEENST_ISJ_EESU_NST_ISI_EENS_21Merge_v3_division_modINSF_IJSJ_SN_EEEEESU_EEENSF_IJNS5_IJLi0EEEENS5_IJLi2ELi1EEEENS5_IJLi3EEEENS5_IJLi5EEEENS5_IJLi4EEEENS5_IJLi6EEEENS5_IJLi7EEEENS5_IJLi9ELi8EEEENS5_IJLi10EEEEEEENSF_IJNS5_IJLi1ELi2ELi3EEEENS5_IJLi4ELi5EEEES19_NS5_IJLi7ELi8EEEENS5_IJLi9EEEES1C_NS5_IJLi11EEEENS5_IJLi12EEEENS5_IJLi13EEEEEEENS5_IJLi11ELi12ELi13EEEENSH_IlLl32768EEEEENSE_INSF_IJNSV_INSF_IJSI_SN_SN_NSH_IiLi32EEEEEELb0EEEEEENSF_IJS14_EEENSF_IJNS5_IJLi1ELi2ELi3ELi4EEEEEEES1U_NSH_IlLl256EEEEENSE_INSF_IJSP_SS_SU_SX_SY_SU_SZ_S12_SU_NS10_INSF_IJSI_SK_EEEEENSV_INSF_IJSI_NSH_IiLi2EEESK_EEELb0EEEEEENSF_IJS14_S15_S16_S17_S18_S19_S1A_S1B_S1C_NS5_IJLi11ELi13EEEES1J_EEENSF_IJS1E_S1F_S19_S1G_S1H_S1C_S1I_S1J_S1K_NS5_IJLi14EEEENS5_IJLi15ELi16ELi17EEEEEEENS5_IJLi15ELi16ELi17ELi14EEEES1N_EENSE_INSF_IJS1R_NS10_ISW_EES22_EEENSF_IJS14_NS5_IJLi1ELi3EEEENS5_IJLi2EEEEEEENSF_IJS1U_S17_NS5_IJLi6ELi7ELi8EEEEEEENS5_IJLi6ELi7ELi8ELi5EEEES1W_EELi16ELi32ELi256ELi256ELi128ELi16ELi16ELi8ELi8ELi32ELb0EE3RunILb1ELNS_10TailNumberE0ENSE_INSF_IJNSG_INSF_IJiiEEENSF_IJiSN_EEELb0EEENSV_IS2N_Lb0EEENST_IiEEEEENSF_IJS14_S2E_NS5_IJLi1EEEEEEENSF_IJNS5_IJLi1ELi2EEEENS5_IJLi3ELi4EEEES17_EEENS5_IJLi3ELi5ELi4EEEElEES1O_NS_35ThreadGroupTensorSliceTransfer_v4r1INS_15ThisThreadBlockILi256EEENS_16tensor_operation12element_wise11PassThroughES35_LNS_25InMemoryDataOperationEnumE0ENS5_IJLi8ELi256ELi16EEEENS5_IJLi8ELi32ELi1EEEENS5_IJLi1ELi0ELi2EEEESC_SC_RKS2Z_KS1O_S39_NS5_IJLi0ELi1ELi2EEEELi2ELi2ELi16ELi16ELi1ELi1ELb0ELb1ELi2EiEENS_13DynamicBufferILNS_16AddressSpaceEnumE1EKSC_lLb1ELNS_22AmdBufferCoherenceEnumE0EiEENSF_IJNS3F_ILS3G_2ESC_S1N_Lb1ELS3I_0EiEES3K_EEENSF_IJiiiEEENSE_INSF_IJNSG_INSF_IJiiiiEEENSF_IJiiiSN_EEELb0EEEEEES1T_S1V_S1U_lEENS_32ThreadwiseTensorSliceTransfer_v2ISD_SD_RKS3R_KS1X_NS5_IJLi8ELi1ELi1ELi32EEEENS5_IJLi1ELi2ELi0ELi3EEEELi3ELi32ELi0ELb1ELb0ELb0EEENS3F_ILS3G_1EKSD_lLb1ELS3I_0EiEENSF_IJNS_12StaticBufferILS3G_4ESD_Li256ELb1EEES42_EEES3N_NS_25StaticBufferTupleOfVectorILS3G_4EfLi64ELi4ELb1ELb0EEEEEvRKT1_RKT2_RT3_RKT4_RT5_RKT6_RKT7_RT8_RKT9_RT10_RKT11_RT12_iENKUlT_T0_E_clISN_NSH_IiLi0EEEEEDaS51_S52_ENKUlS51_E_clINSH_IiLi3EEEEEDaS51_EUlS51_E_EEvS51_EUlS51_E_EEvS51_@rel32@hi+12
	s_swappc_b64 s[30:31], s[4:5]
	flat_load_dwordx2 v[12:13], v[30:31] offset:1148
	flat_load_dwordx2 v[14:15], v[30:31] offset:1164
	flat_load_dwordx4 v[0:3], v[30:31] offset:1176
	flat_load_dwordx3 v[8:10], v[30:31] offset:1132
	flat_load_dwordx2 v[16:17], v[28:29] offset:16
	s_waitcnt vmcnt(0) lgkmcnt(0)
	v_sub_u32_e32 v4, v12, v15
	v_add3_u32 v1, v4, v1, s43
	v_ashrrev_i32_e32 v4, 31, v1
	v_lshrrev_b32_e32 v4, 29, v4
	v_add_u32_e32 v4, v1, v4
	v_and_b32_e32 v4, -8, v4
	v_sub_u32_e32 v5, v13, v14
	v_sub_u32_e32 v6, v1, v10
	;; [unrolled: 1-line block ×3, first 2 shown]
	v_xor_b32_e32 v4, v1, v5
	v_sub_u32_e32 v4, v4, v9
	v_lshlrev_b32_e32 v10, 7, v6
	v_lshlrev_b32_e32 v4, 4, v4
	v_add3_u32 v4, v10, v8, v4
	v_ashrrev_i32_e32 v5, 31, v4
	v_add_co_u32_e32 v4, vcc, v16, v4
	v_addc_co_u32_e32 v5, vcc, v17, v5, vcc
	flat_load_dwordx4 v[4:7], v[4:5]
	v_add_u32_e32 v3, 16, v3
	v_sub_u32_e32 v2, v8, v2
	v_ashrrev_i32_e32 v8, 31, v3
	v_lshrrev_b32_e32 v8, 28, v8
	v_add_u32_e32 v0, v14, v0
	v_add_u32_e32 v8, v3, v8
	v_sub_u32_e32 v0, v13, v0
	v_lshrrev_b32_e32 v11, 4, v8
	v_add_u32_e32 v0, v0, v11
	v_xor_b32_e32 v0, v0, v1
	v_and_b32_e32 v8, -16, v8
	v_sub_u32_e32 v0, v0, v9
	v_add_u32_e32 v2, v2, v10
	v_sub_u32_e32 v3, v3, v8
	v_lshlrev_b32_e32 v0, 4, v0
	v_add3_u32 v0, v2, v3, v0
	v_ashrrev_i32_e32 v1, 31, v0
	v_add_co_u32_e32 v0, vcc, v16, v0
	v_addc_co_u32_e32 v1, vcc, v17, v1, vcc
	s_waitcnt vmcnt(0) lgkmcnt(0)
	buffer_store_dword v4, off, s[0:3], s33 offset:52
	buffer_store_dword v5, off, s[0:3], s33 offset:56
	;; [unrolled: 1-line block ×4, first 2 shown]
	flat_load_dwordx4 v[0:3], v[0:1]
	s_waitcnt vmcnt(0) lgkmcnt(0)
	buffer_store_dword v0, off, s[0:3], s33 offset:68
	buffer_store_dword v1, off, s[0:3], s33 offset:72
	buffer_store_dword v2, off, s[0:3], s33 offset:76
	buffer_store_dword v3, off, s[0:3], s33 offset:80
	v_mov_b32_e32 v0, v64
	v_mov_b32_e32 v1, s15
	;; [unrolled: 1-line block ×4, first 2 shown]
	s_swappc_b64 s[30:31], s[20:21]
	; sched_group_barrier mask(0x00000008) size(16) SyncID(0)
	; sched_group_barrier mask(0x00000100) size(1) SyncID(0)
	;; [unrolled: 1-line block ×4, first 2 shown]
	; sched_barrier mask(0x00000000)
	v_mov_b32_e32 v0, s29
	v_mov_b32_e32 v1, s34
	buffer_store_dword v67, off, s[0:3], s33 offset:12
	buffer_store_dword v70, off, s[0:3], s33 offset:8
	;; [unrolled: 1-line block ×10, first 2 shown]
	s_getpc_b64 s[4:5]
	s_add_u32 s4, s4, _ZNK2ck6detail7applierIiJLi0ELi1ELi2ELi3ELi4ELi5ELi6ELi7EEEclIZNKS_11static_fordINS_8SequenceIJLi1ELi8EEEENS5_IJLi0ELi1EEEEEclIZZZNKS_52BlockwiseGemmXdlops_pipeline_bpreshuffle_bdequant_v3ILNS_26BlockGemmPipelineSchedulerE0ELi256ENS_9f8_fnuz_tENS_7pk_i4_tESC_fNS_16TensorDescriptorINS_5TupleIJNS_5EmbedINSF_IJNS_17integral_constantIiLi8EEENSH_IiLi256EEENSH_IiLi16EEEEEENSF_IJSK_NSH_IiLi128EEENSH_IiLi1EEEEEELb0EEENS_3XorINSF_IJSJ_SI_EEELb1EEENS_11PassThroughISK_EENS_7UnMergeINSF_IJSI_SN_EEELb0EEENST_ISJ_EESU_NST_ISI_EENS_21Merge_v3_division_modINSF_IJSJ_SN_EEEEESU_EEENSF_IJNS5_IJLi0EEEENS5_IJLi2ELi1EEEENS5_IJLi3EEEENS5_IJLi5EEEENS5_IJLi4EEEENS5_IJLi6EEEENS5_IJLi7EEEENS5_IJLi9ELi8EEEENS5_IJLi10EEEEEEENSF_IJNS5_IJLi1ELi2ELi3EEEENS5_IJLi4ELi5EEEES19_NS5_IJLi7ELi8EEEENS5_IJLi9EEEES1C_NS5_IJLi11EEEENS5_IJLi12EEEENS5_IJLi13EEEEEEENS5_IJLi11ELi12ELi13EEEENSH_IlLl32768EEEEENSE_INSF_IJNSV_INSF_IJSI_SN_SN_NSH_IiLi32EEEEEELb0EEEEEENSF_IJS14_EEENSF_IJNS5_IJLi1ELi2ELi3ELi4EEEEEEES1U_NSH_IlLl256EEEEENSE_INSF_IJSP_SS_SU_SX_SY_SU_SZ_S12_SU_NS10_INSF_IJSI_SK_EEEEENSV_INSF_IJSI_NSH_IiLi2EEESK_EEELb0EEEEEENSF_IJS14_S15_S16_S17_S18_S19_S1A_S1B_S1C_NS5_IJLi11ELi13EEEES1J_EEENSF_IJS1E_S1F_S19_S1G_S1H_S1C_S1I_S1J_S1K_NS5_IJLi14EEEENS5_IJLi15ELi16ELi17EEEEEEENS5_IJLi15ELi16ELi17ELi14EEEES1N_EENSE_INSF_IJS1R_NS10_ISW_EES22_EEENSF_IJS14_NS5_IJLi1ELi3EEEENS5_IJLi2EEEEEEENSF_IJS1U_S17_NS5_IJLi6ELi7ELi8EEEEEEENS5_IJLi6ELi7ELi8ELi5EEEES1W_EELi16ELi32ELi256ELi256ELi128ELi16ELi16ELi8ELi8ELi32ELb0EE3RunILb1ELNS_10TailNumberE0ENSE_INSF_IJNSG_INSF_IJiiEEENSF_IJiSN_EEELb0EEENSV_IS2N_Lb0EEENST_IiEEEEENSF_IJS14_S2E_NS5_IJLi1EEEEEEENSF_IJNS5_IJLi1ELi2EEEENS5_IJLi3ELi4EEEES17_EEENS5_IJLi3ELi5ELi4EEEElEES1O_NS_35ThreadGroupTensorSliceTransfer_v4r1INS_15ThisThreadBlockILi256EEENS_16tensor_operation12element_wise11PassThroughES35_LNS_25InMemoryDataOperationEnumE0ENS5_IJLi8ELi256ELi16EEEENS5_IJLi8ELi32ELi1EEEENS5_IJLi1ELi0ELi2EEEESC_SC_RKS2Z_KS1O_S39_NS5_IJLi0ELi1ELi2EEEELi2ELi2ELi16ELi16ELi1ELi1ELb0ELb1ELi2EiEENS_13DynamicBufferILNS_16AddressSpaceEnumE1EKSC_lLb1ELNS_22AmdBufferCoherenceEnumE0EiEENSF_IJNS3F_ILS3G_2ESC_S1N_Lb1ELS3I_0EiEES3K_EEENSF_IJiiiEEENSE_INSF_IJNSG_INSF_IJiiiiEEENSF_IJiiiSN_EEELb0EEEEEES1T_S1V_S1U_lEENS_32ThreadwiseTensorSliceTransfer_v2ISD_SD_RKS3R_KS1X_NS5_IJLi8ELi1ELi1ELi32EEEENS5_IJLi1ELi2ELi0ELi3EEEELi3ELi32ELi0ELb1ELb0ELb0EEENS3F_ILS3G_1EKSD_lLb1ELS3I_0EiEENSF_IJNS_12StaticBufferILS3G_4ESD_Li256ELb1EEES42_EEES3N_NS_25StaticBufferTupleOfVectorILS3G_4EfLi64ELi4ELb1ELb0EEEEEvRKT1_RKT2_RT3_RKT4_RT5_RKT6_RKT7_RT8_RKT9_RT10_RKT11_RT12_iENKUlT_T0_E_clISN_NSH_IiLi0EEEEEDaS51_S52_ENKUlS51_E_clINSH_IiLi4EEEEEDaS51_EUlS51_E_EEvS51_EUlS51_E_EEvS51_@rel32@lo+4
	s_addc_u32 s5, s5, _ZNK2ck6detail7applierIiJLi0ELi1ELi2ELi3ELi4ELi5ELi6ELi7EEEclIZNKS_11static_fordINS_8SequenceIJLi1ELi8EEEENS5_IJLi0ELi1EEEEEclIZZZNKS_52BlockwiseGemmXdlops_pipeline_bpreshuffle_bdequant_v3ILNS_26BlockGemmPipelineSchedulerE0ELi256ENS_9f8_fnuz_tENS_7pk_i4_tESC_fNS_16TensorDescriptorINS_5TupleIJNS_5EmbedINSF_IJNS_17integral_constantIiLi8EEENSH_IiLi256EEENSH_IiLi16EEEEEENSF_IJSK_NSH_IiLi128EEENSH_IiLi1EEEEEELb0EEENS_3XorINSF_IJSJ_SI_EEELb1EEENS_11PassThroughISK_EENS_7UnMergeINSF_IJSI_SN_EEELb0EEENST_ISJ_EESU_NST_ISI_EENS_21Merge_v3_division_modINSF_IJSJ_SN_EEEEESU_EEENSF_IJNS5_IJLi0EEEENS5_IJLi2ELi1EEEENS5_IJLi3EEEENS5_IJLi5EEEENS5_IJLi4EEEENS5_IJLi6EEEENS5_IJLi7EEEENS5_IJLi9ELi8EEEENS5_IJLi10EEEEEEENSF_IJNS5_IJLi1ELi2ELi3EEEENS5_IJLi4ELi5EEEES19_NS5_IJLi7ELi8EEEENS5_IJLi9EEEES1C_NS5_IJLi11EEEENS5_IJLi12EEEENS5_IJLi13EEEEEEENS5_IJLi11ELi12ELi13EEEENSH_IlLl32768EEEEENSE_INSF_IJNSV_INSF_IJSI_SN_SN_NSH_IiLi32EEEEEELb0EEEEEENSF_IJS14_EEENSF_IJNS5_IJLi1ELi2ELi3ELi4EEEEEEES1U_NSH_IlLl256EEEEENSE_INSF_IJSP_SS_SU_SX_SY_SU_SZ_S12_SU_NS10_INSF_IJSI_SK_EEEEENSV_INSF_IJSI_NSH_IiLi2EEESK_EEELb0EEEEEENSF_IJS14_S15_S16_S17_S18_S19_S1A_S1B_S1C_NS5_IJLi11ELi13EEEES1J_EEENSF_IJS1E_S1F_S19_S1G_S1H_S1C_S1I_S1J_S1K_NS5_IJLi14EEEENS5_IJLi15ELi16ELi17EEEEEEENS5_IJLi15ELi16ELi17ELi14EEEES1N_EENSE_INSF_IJS1R_NS10_ISW_EES22_EEENSF_IJS14_NS5_IJLi1ELi3EEEENS5_IJLi2EEEEEEENSF_IJS1U_S17_NS5_IJLi6ELi7ELi8EEEEEEENS5_IJLi6ELi7ELi8ELi5EEEES1W_EELi16ELi32ELi256ELi256ELi128ELi16ELi16ELi8ELi8ELi32ELb0EE3RunILb1ELNS_10TailNumberE0ENSE_INSF_IJNSG_INSF_IJiiEEENSF_IJiSN_EEELb0EEENSV_IS2N_Lb0EEENST_IiEEEEENSF_IJS14_S2E_NS5_IJLi1EEEEEEENSF_IJNS5_IJLi1ELi2EEEENS5_IJLi3ELi4EEEES17_EEENS5_IJLi3ELi5ELi4EEEElEES1O_NS_35ThreadGroupTensorSliceTransfer_v4r1INS_15ThisThreadBlockILi256EEENS_16tensor_operation12element_wise11PassThroughES35_LNS_25InMemoryDataOperationEnumE0ENS5_IJLi8ELi256ELi16EEEENS5_IJLi8ELi32ELi1EEEENS5_IJLi1ELi0ELi2EEEESC_SC_RKS2Z_KS1O_S39_NS5_IJLi0ELi1ELi2EEEELi2ELi2ELi16ELi16ELi1ELi1ELb0ELb1ELi2EiEENS_13DynamicBufferILNS_16AddressSpaceEnumE1EKSC_lLb1ELNS_22AmdBufferCoherenceEnumE0EiEENSF_IJNS3F_ILS3G_2ESC_S1N_Lb1ELS3I_0EiEES3K_EEENSF_IJiiiEEENSE_INSF_IJNSG_INSF_IJiiiiEEENSF_IJiiiSN_EEELb0EEEEEES1T_S1V_S1U_lEENS_32ThreadwiseTensorSliceTransfer_v2ISD_SD_RKS3R_KS1X_NS5_IJLi8ELi1ELi1ELi32EEEENS5_IJLi1ELi2ELi0ELi3EEEELi3ELi32ELi0ELb1ELb0ELb0EEENS3F_ILS3G_1EKSD_lLb1ELS3I_0EiEENSF_IJNS_12StaticBufferILS3G_4ESD_Li256ELb1EEES42_EEES3N_NS_25StaticBufferTupleOfVectorILS3G_4EfLi64ELi4ELb1ELb0EEEEEvRKT1_RKT2_RT3_RKT4_RT5_RKT6_RKT7_RT8_RKT9_RT10_RKT11_RT12_iENKUlT_T0_E_clISN_NSH_IiLi0EEEEEDaS51_S52_ENKUlS51_E_clINSH_IiLi4EEEEEDaS51_EUlS51_E_EEvS51_EUlS51_E_EEvS51_@rel32@hi+12
	s_swappc_b64 s[30:31], s[4:5]
	flat_load_dwordx2 v[12:13], v[30:31] offset:1148
	flat_load_dwordx2 v[14:15], v[30:31] offset:1164
	flat_load_dwordx4 v[0:3], v[30:31] offset:1176
	flat_load_dwordx3 v[8:10], v[30:31] offset:1132
	flat_load_dwordx2 v[16:17], v[28:29] offset:16
	s_waitcnt vmcnt(0) lgkmcnt(0)
	v_sub_u32_e32 v4, v12, v15
	v_add3_u32 v1, v4, v1, s44
	v_ashrrev_i32_e32 v4, 31, v1
	v_lshrrev_b32_e32 v4, 29, v4
	v_add_u32_e32 v4, v1, v4
	v_and_b32_e32 v4, -8, v4
	v_sub_u32_e32 v5, v13, v14
	v_sub_u32_e32 v6, v1, v10
	v_sub_u32_e32 v1, v1, v4
	v_xor_b32_e32 v4, v1, v5
	v_sub_u32_e32 v4, v4, v9
	v_lshlrev_b32_e32 v10, 7, v6
	v_lshlrev_b32_e32 v4, 4, v4
	v_add3_u32 v4, v10, v8, v4
	v_ashrrev_i32_e32 v5, 31, v4
	v_add_co_u32_e32 v4, vcc, v16, v4
	v_addc_co_u32_e32 v5, vcc, v17, v5, vcc
	flat_load_dwordx4 v[4:7], v[4:5]
	v_add_u32_e32 v3, 16, v3
	v_sub_u32_e32 v2, v8, v2
	v_ashrrev_i32_e32 v8, 31, v3
	v_lshrrev_b32_e32 v8, 28, v8
	v_add_u32_e32 v0, v14, v0
	v_add_u32_e32 v8, v3, v8
	v_sub_u32_e32 v0, v13, v0
	v_lshrrev_b32_e32 v11, 4, v8
	v_add_u32_e32 v0, v0, v11
	v_xor_b32_e32 v0, v0, v1
	v_and_b32_e32 v8, -16, v8
	v_sub_u32_e32 v0, v0, v9
	v_add_u32_e32 v2, v2, v10
	v_sub_u32_e32 v3, v3, v8
	v_lshlrev_b32_e32 v0, 4, v0
	v_add3_u32 v0, v2, v3, v0
	v_ashrrev_i32_e32 v1, 31, v0
	v_add_co_u32_e32 v0, vcc, v16, v0
	v_addc_co_u32_e32 v1, vcc, v17, v1, vcc
	s_waitcnt vmcnt(0) lgkmcnt(0)
	buffer_store_dword v4, off, s[0:3], s33 offset:84
	buffer_store_dword v5, off, s[0:3], s33 offset:88
	;; [unrolled: 1-line block ×4, first 2 shown]
	flat_load_dwordx4 v[0:3], v[0:1]
	s_waitcnt vmcnt(0) lgkmcnt(0)
	buffer_store_dword v0, off, s[0:3], s33 offset:100
	buffer_store_dword v1, off, s[0:3], s33 offset:104
	;; [unrolled: 1-line block ×4, first 2 shown]
	v_mov_b32_e32 v0, v64
	v_mov_b32_e32 v1, s15
	;; [unrolled: 1-line block ×4, first 2 shown]
	s_swappc_b64 s[30:31], s[20:21]
	; sched_group_barrier mask(0x00000008) size(16) SyncID(0)
	; sched_group_barrier mask(0x00000100) size(1) SyncID(0)
	;; [unrolled: 1-line block ×4, first 2 shown]
	; sched_barrier mask(0x00000000)
	v_mov_b32_e32 v0, s29
	v_mov_b32_e32 v1, s34
	buffer_store_dword v67, off, s[0:3], s33 offset:12
	buffer_store_dword v70, off, s[0:3], s33 offset:8
	;; [unrolled: 1-line block ×10, first 2 shown]
	s_getpc_b64 s[4:5]
	s_add_u32 s4, s4, _ZNK2ck6detail7applierIiJLi0ELi1ELi2ELi3ELi4ELi5ELi6ELi7EEEclIZNKS_11static_fordINS_8SequenceIJLi1ELi8EEEENS5_IJLi0ELi1EEEEEclIZZZNKS_52BlockwiseGemmXdlops_pipeline_bpreshuffle_bdequant_v3ILNS_26BlockGemmPipelineSchedulerE0ELi256ENS_9f8_fnuz_tENS_7pk_i4_tESC_fNS_16TensorDescriptorINS_5TupleIJNS_5EmbedINSF_IJNS_17integral_constantIiLi8EEENSH_IiLi256EEENSH_IiLi16EEEEEENSF_IJSK_NSH_IiLi128EEENSH_IiLi1EEEEEELb0EEENS_3XorINSF_IJSJ_SI_EEELb1EEENS_11PassThroughISK_EENS_7UnMergeINSF_IJSI_SN_EEELb0EEENST_ISJ_EESU_NST_ISI_EENS_21Merge_v3_division_modINSF_IJSJ_SN_EEEEESU_EEENSF_IJNS5_IJLi0EEEENS5_IJLi2ELi1EEEENS5_IJLi3EEEENS5_IJLi5EEEENS5_IJLi4EEEENS5_IJLi6EEEENS5_IJLi7EEEENS5_IJLi9ELi8EEEENS5_IJLi10EEEEEEENSF_IJNS5_IJLi1ELi2ELi3EEEENS5_IJLi4ELi5EEEES19_NS5_IJLi7ELi8EEEENS5_IJLi9EEEES1C_NS5_IJLi11EEEENS5_IJLi12EEEENS5_IJLi13EEEEEEENS5_IJLi11ELi12ELi13EEEENSH_IlLl32768EEEEENSE_INSF_IJNSV_INSF_IJSI_SN_SN_NSH_IiLi32EEEEEELb0EEEEEENSF_IJS14_EEENSF_IJNS5_IJLi1ELi2ELi3ELi4EEEEEEES1U_NSH_IlLl256EEEEENSE_INSF_IJSP_SS_SU_SX_SY_SU_SZ_S12_SU_NS10_INSF_IJSI_SK_EEEEENSV_INSF_IJSI_NSH_IiLi2EEESK_EEELb0EEEEEENSF_IJS14_S15_S16_S17_S18_S19_S1A_S1B_S1C_NS5_IJLi11ELi13EEEES1J_EEENSF_IJS1E_S1F_S19_S1G_S1H_S1C_S1I_S1J_S1K_NS5_IJLi14EEEENS5_IJLi15ELi16ELi17EEEEEEENS5_IJLi15ELi16ELi17ELi14EEEES1N_EENSE_INSF_IJS1R_NS10_ISW_EES22_EEENSF_IJS14_NS5_IJLi1ELi3EEEENS5_IJLi2EEEEEEENSF_IJS1U_S17_NS5_IJLi6ELi7ELi8EEEEEEENS5_IJLi6ELi7ELi8ELi5EEEES1W_EELi16ELi32ELi256ELi256ELi128ELi16ELi16ELi8ELi8ELi32ELb0EE3RunILb1ELNS_10TailNumberE0ENSE_INSF_IJNSG_INSF_IJiiEEENSF_IJiSN_EEELb0EEENSV_IS2N_Lb0EEENST_IiEEEEENSF_IJS14_S2E_NS5_IJLi1EEEEEEENSF_IJNS5_IJLi1ELi2EEEENS5_IJLi3ELi4EEEES17_EEENS5_IJLi3ELi5ELi4EEEElEES1O_NS_35ThreadGroupTensorSliceTransfer_v4r1INS_15ThisThreadBlockILi256EEENS_16tensor_operation12element_wise11PassThroughES35_LNS_25InMemoryDataOperationEnumE0ENS5_IJLi8ELi256ELi16EEEENS5_IJLi8ELi32ELi1EEEENS5_IJLi1ELi0ELi2EEEESC_SC_RKS2Z_KS1O_S39_NS5_IJLi0ELi1ELi2EEEELi2ELi2ELi16ELi16ELi1ELi1ELb0ELb1ELi2EiEENS_13DynamicBufferILNS_16AddressSpaceEnumE1EKSC_lLb1ELNS_22AmdBufferCoherenceEnumE0EiEENSF_IJNS3F_ILS3G_2ESC_S1N_Lb1ELS3I_0EiEES3K_EEENSF_IJiiiEEENSE_INSF_IJNSG_INSF_IJiiiiEEENSF_IJiiiSN_EEELb0EEEEEES1T_S1V_S1U_lEENS_32ThreadwiseTensorSliceTransfer_v2ISD_SD_RKS3R_KS1X_NS5_IJLi8ELi1ELi1ELi32EEEENS5_IJLi1ELi2ELi0ELi3EEEELi3ELi32ELi0ELb1ELb0ELb0EEENS3F_ILS3G_1EKSD_lLb1ELS3I_0EiEENSF_IJNS_12StaticBufferILS3G_4ESD_Li256ELb1EEES42_EEES3N_NS_25StaticBufferTupleOfVectorILS3G_4EfLi64ELi4ELb1ELb0EEEEEvRKT1_RKT2_RT3_RKT4_RT5_RKT6_RKT7_RT8_RKT9_RT10_RKT11_RT12_iENKUlT_T0_E_clISN_NSH_IiLi0EEEEEDaS51_S52_ENKUlS51_E_clINSH_IiLi5EEEEEDaS51_EUlS51_E_EEvS51_EUlS51_E_EEvS51_@rel32@lo+4
	s_addc_u32 s5, s5, _ZNK2ck6detail7applierIiJLi0ELi1ELi2ELi3ELi4ELi5ELi6ELi7EEEclIZNKS_11static_fordINS_8SequenceIJLi1ELi8EEEENS5_IJLi0ELi1EEEEEclIZZZNKS_52BlockwiseGemmXdlops_pipeline_bpreshuffle_bdequant_v3ILNS_26BlockGemmPipelineSchedulerE0ELi256ENS_9f8_fnuz_tENS_7pk_i4_tESC_fNS_16TensorDescriptorINS_5TupleIJNS_5EmbedINSF_IJNS_17integral_constantIiLi8EEENSH_IiLi256EEENSH_IiLi16EEEEEENSF_IJSK_NSH_IiLi128EEENSH_IiLi1EEEEEELb0EEENS_3XorINSF_IJSJ_SI_EEELb1EEENS_11PassThroughISK_EENS_7UnMergeINSF_IJSI_SN_EEELb0EEENST_ISJ_EESU_NST_ISI_EENS_21Merge_v3_division_modINSF_IJSJ_SN_EEEEESU_EEENSF_IJNS5_IJLi0EEEENS5_IJLi2ELi1EEEENS5_IJLi3EEEENS5_IJLi5EEEENS5_IJLi4EEEENS5_IJLi6EEEENS5_IJLi7EEEENS5_IJLi9ELi8EEEENS5_IJLi10EEEEEEENSF_IJNS5_IJLi1ELi2ELi3EEEENS5_IJLi4ELi5EEEES19_NS5_IJLi7ELi8EEEENS5_IJLi9EEEES1C_NS5_IJLi11EEEENS5_IJLi12EEEENS5_IJLi13EEEEEEENS5_IJLi11ELi12ELi13EEEENSH_IlLl32768EEEEENSE_INSF_IJNSV_INSF_IJSI_SN_SN_NSH_IiLi32EEEEEELb0EEEEEENSF_IJS14_EEENSF_IJNS5_IJLi1ELi2ELi3ELi4EEEEEEES1U_NSH_IlLl256EEEEENSE_INSF_IJSP_SS_SU_SX_SY_SU_SZ_S12_SU_NS10_INSF_IJSI_SK_EEEEENSV_INSF_IJSI_NSH_IiLi2EEESK_EEELb0EEEEEENSF_IJS14_S15_S16_S17_S18_S19_S1A_S1B_S1C_NS5_IJLi11ELi13EEEES1J_EEENSF_IJS1E_S1F_S19_S1G_S1H_S1C_S1I_S1J_S1K_NS5_IJLi14EEEENS5_IJLi15ELi16ELi17EEEEEEENS5_IJLi15ELi16ELi17ELi14EEEES1N_EENSE_INSF_IJS1R_NS10_ISW_EES22_EEENSF_IJS14_NS5_IJLi1ELi3EEEENS5_IJLi2EEEEEEENSF_IJS1U_S17_NS5_IJLi6ELi7ELi8EEEEEEENS5_IJLi6ELi7ELi8ELi5EEEES1W_EELi16ELi32ELi256ELi256ELi128ELi16ELi16ELi8ELi8ELi32ELb0EE3RunILb1ELNS_10TailNumberE0ENSE_INSF_IJNSG_INSF_IJiiEEENSF_IJiSN_EEELb0EEENSV_IS2N_Lb0EEENST_IiEEEEENSF_IJS14_S2E_NS5_IJLi1EEEEEEENSF_IJNS5_IJLi1ELi2EEEENS5_IJLi3ELi4EEEES17_EEENS5_IJLi3ELi5ELi4EEEElEES1O_NS_35ThreadGroupTensorSliceTransfer_v4r1INS_15ThisThreadBlockILi256EEENS_16tensor_operation12element_wise11PassThroughES35_LNS_25InMemoryDataOperationEnumE0ENS5_IJLi8ELi256ELi16EEEENS5_IJLi8ELi32ELi1EEEENS5_IJLi1ELi0ELi2EEEESC_SC_RKS2Z_KS1O_S39_NS5_IJLi0ELi1ELi2EEEELi2ELi2ELi16ELi16ELi1ELi1ELb0ELb1ELi2EiEENS_13DynamicBufferILNS_16AddressSpaceEnumE1EKSC_lLb1ELNS_22AmdBufferCoherenceEnumE0EiEENSF_IJNS3F_ILS3G_2ESC_S1N_Lb1ELS3I_0EiEES3K_EEENSF_IJiiiEEENSE_INSF_IJNSG_INSF_IJiiiiEEENSF_IJiiiSN_EEELb0EEEEEES1T_S1V_S1U_lEENS_32ThreadwiseTensorSliceTransfer_v2ISD_SD_RKS3R_KS1X_NS5_IJLi8ELi1ELi1ELi32EEEENS5_IJLi1ELi2ELi0ELi3EEEELi3ELi32ELi0ELb1ELb0ELb0EEENS3F_ILS3G_1EKSD_lLb1ELS3I_0EiEENSF_IJNS_12StaticBufferILS3G_4ESD_Li256ELb1EEES42_EEES3N_NS_25StaticBufferTupleOfVectorILS3G_4EfLi64ELi4ELb1ELb0EEEEEvRKT1_RKT2_RT3_RKT4_RT5_RKT6_RKT7_RT8_RKT9_RT10_RKT11_RT12_iENKUlT_T0_E_clISN_NSH_IiLi0EEEEEDaS51_S52_ENKUlS51_E_clINSH_IiLi5EEEEEDaS51_EUlS51_E_EEvS51_EUlS51_E_EEvS51_@rel32@hi+12
	s_swappc_b64 s[30:31], s[4:5]
	flat_load_dwordx2 v[12:13], v[30:31] offset:1148
	flat_load_dwordx2 v[14:15], v[30:31] offset:1164
	flat_load_dwordx4 v[0:3], v[30:31] offset:1176
	flat_load_dwordx3 v[8:10], v[30:31] offset:1132
	flat_load_dwordx2 v[16:17], v[28:29] offset:16
	s_waitcnt vmcnt(0) lgkmcnt(0)
	v_sub_u32_e32 v4, v12, v15
	v_add3_u32 v1, v4, v1, s45
	v_ashrrev_i32_e32 v4, 31, v1
	v_lshrrev_b32_e32 v4, 29, v4
	v_add_u32_e32 v4, v1, v4
	v_and_b32_e32 v4, -8, v4
	v_sub_u32_e32 v5, v13, v14
	v_sub_u32_e32 v6, v1, v10
	;; [unrolled: 1-line block ×3, first 2 shown]
	v_xor_b32_e32 v4, v1, v5
	v_sub_u32_e32 v4, v4, v9
	v_lshlrev_b32_e32 v10, 7, v6
	v_lshlrev_b32_e32 v4, 4, v4
	v_add3_u32 v4, v10, v8, v4
	v_ashrrev_i32_e32 v5, 31, v4
	v_add_co_u32_e32 v4, vcc, v16, v4
	v_addc_co_u32_e32 v5, vcc, v17, v5, vcc
	flat_load_dwordx4 v[4:7], v[4:5]
	v_add_u32_e32 v3, 16, v3
	v_sub_u32_e32 v2, v8, v2
	v_ashrrev_i32_e32 v8, 31, v3
	v_lshrrev_b32_e32 v8, 28, v8
	v_add_u32_e32 v0, v14, v0
	v_add_u32_e32 v8, v3, v8
	v_sub_u32_e32 v0, v13, v0
	v_lshrrev_b32_e32 v11, 4, v8
	v_add_u32_e32 v0, v0, v11
	v_xor_b32_e32 v0, v0, v1
	v_and_b32_e32 v8, -16, v8
	v_sub_u32_e32 v0, v0, v9
	v_add_u32_e32 v2, v2, v10
	v_sub_u32_e32 v3, v3, v8
	v_lshlrev_b32_e32 v0, 4, v0
	v_add3_u32 v0, v2, v3, v0
	v_ashrrev_i32_e32 v1, 31, v0
	v_add_co_u32_e32 v0, vcc, v16, v0
	v_addc_co_u32_e32 v1, vcc, v17, v1, vcc
	s_waitcnt vmcnt(0) lgkmcnt(0)
	buffer_store_dword v4, off, s[0:3], s33 offset:52
	buffer_store_dword v5, off, s[0:3], s33 offset:56
	;; [unrolled: 1-line block ×4, first 2 shown]
	flat_load_dwordx4 v[0:3], v[0:1]
	s_waitcnt vmcnt(0) lgkmcnt(0)
	buffer_store_dword v0, off, s[0:3], s33 offset:68
	buffer_store_dword v1, off, s[0:3], s33 offset:72
	;; [unrolled: 1-line block ×4, first 2 shown]
	v_mov_b32_e32 v0, v64
	v_mov_b32_e32 v1, s15
	;; [unrolled: 1-line block ×4, first 2 shown]
	s_swappc_b64 s[30:31], s[20:21]
	; sched_group_barrier mask(0x00000008) size(16) SyncID(0)
	; sched_group_barrier mask(0x00000100) size(1) SyncID(0)
	;; [unrolled: 1-line block ×4, first 2 shown]
	; sched_barrier mask(0x00000000)
	v_mov_b32_e32 v0, s29
	v_mov_b32_e32 v1, s34
	buffer_store_dword v67, off, s[0:3], s33 offset:12
	buffer_store_dword v70, off, s[0:3], s33 offset:8
	;; [unrolled: 1-line block ×10, first 2 shown]
	s_getpc_b64 s[4:5]
	s_add_u32 s4, s4, _ZNK2ck6detail7applierIiJLi0ELi1ELi2ELi3ELi4ELi5ELi6ELi7EEEclIZNKS_11static_fordINS_8SequenceIJLi1ELi8EEEENS5_IJLi0ELi1EEEEEclIZZZNKS_52BlockwiseGemmXdlops_pipeline_bpreshuffle_bdequant_v3ILNS_26BlockGemmPipelineSchedulerE0ELi256ENS_9f8_fnuz_tENS_7pk_i4_tESC_fNS_16TensorDescriptorINS_5TupleIJNS_5EmbedINSF_IJNS_17integral_constantIiLi8EEENSH_IiLi256EEENSH_IiLi16EEEEEENSF_IJSK_NSH_IiLi128EEENSH_IiLi1EEEEEELb0EEENS_3XorINSF_IJSJ_SI_EEELb1EEENS_11PassThroughISK_EENS_7UnMergeINSF_IJSI_SN_EEELb0EEENST_ISJ_EESU_NST_ISI_EENS_21Merge_v3_division_modINSF_IJSJ_SN_EEEEESU_EEENSF_IJNS5_IJLi0EEEENS5_IJLi2ELi1EEEENS5_IJLi3EEEENS5_IJLi5EEEENS5_IJLi4EEEENS5_IJLi6EEEENS5_IJLi7EEEENS5_IJLi9ELi8EEEENS5_IJLi10EEEEEEENSF_IJNS5_IJLi1ELi2ELi3EEEENS5_IJLi4ELi5EEEES19_NS5_IJLi7ELi8EEEENS5_IJLi9EEEES1C_NS5_IJLi11EEEENS5_IJLi12EEEENS5_IJLi13EEEEEEENS5_IJLi11ELi12ELi13EEEENSH_IlLl32768EEEEENSE_INSF_IJNSV_INSF_IJSI_SN_SN_NSH_IiLi32EEEEEELb0EEEEEENSF_IJS14_EEENSF_IJNS5_IJLi1ELi2ELi3ELi4EEEEEEES1U_NSH_IlLl256EEEEENSE_INSF_IJSP_SS_SU_SX_SY_SU_SZ_S12_SU_NS10_INSF_IJSI_SK_EEEEENSV_INSF_IJSI_NSH_IiLi2EEESK_EEELb0EEEEEENSF_IJS14_S15_S16_S17_S18_S19_S1A_S1B_S1C_NS5_IJLi11ELi13EEEES1J_EEENSF_IJS1E_S1F_S19_S1G_S1H_S1C_S1I_S1J_S1K_NS5_IJLi14EEEENS5_IJLi15ELi16ELi17EEEEEEENS5_IJLi15ELi16ELi17ELi14EEEES1N_EENSE_INSF_IJS1R_NS10_ISW_EES22_EEENSF_IJS14_NS5_IJLi1ELi3EEEENS5_IJLi2EEEEEEENSF_IJS1U_S17_NS5_IJLi6ELi7ELi8EEEEEEENS5_IJLi6ELi7ELi8ELi5EEEES1W_EELi16ELi32ELi256ELi256ELi128ELi16ELi16ELi8ELi8ELi32ELb0EE3RunILb1ELNS_10TailNumberE0ENSE_INSF_IJNSG_INSF_IJiiEEENSF_IJiSN_EEELb0EEENSV_IS2N_Lb0EEENST_IiEEEEENSF_IJS14_S2E_NS5_IJLi1EEEEEEENSF_IJNS5_IJLi1ELi2EEEENS5_IJLi3ELi4EEEES17_EEENS5_IJLi3ELi5ELi4EEEElEES1O_NS_35ThreadGroupTensorSliceTransfer_v4r1INS_15ThisThreadBlockILi256EEENS_16tensor_operation12element_wise11PassThroughES35_LNS_25InMemoryDataOperationEnumE0ENS5_IJLi8ELi256ELi16EEEENS5_IJLi8ELi32ELi1EEEENS5_IJLi1ELi0ELi2EEEESC_SC_RKS2Z_KS1O_S39_NS5_IJLi0ELi1ELi2EEEELi2ELi2ELi16ELi16ELi1ELi1ELb0ELb1ELi2EiEENS_13DynamicBufferILNS_16AddressSpaceEnumE1EKSC_lLb1ELNS_22AmdBufferCoherenceEnumE0EiEENSF_IJNS3F_ILS3G_2ESC_S1N_Lb1ELS3I_0EiEES3K_EEENSF_IJiiiEEENSE_INSF_IJNSG_INSF_IJiiiiEEENSF_IJiiiSN_EEELb0EEEEEES1T_S1V_S1U_lEENS_32ThreadwiseTensorSliceTransfer_v2ISD_SD_RKS3R_KS1X_NS5_IJLi8ELi1ELi1ELi32EEEENS5_IJLi1ELi2ELi0ELi3EEEELi3ELi32ELi0ELb1ELb0ELb0EEENS3F_ILS3G_1EKSD_lLb1ELS3I_0EiEENSF_IJNS_12StaticBufferILS3G_4ESD_Li256ELb1EEES42_EEES3N_NS_25StaticBufferTupleOfVectorILS3G_4EfLi64ELi4ELb1ELb0EEEEEvRKT1_RKT2_RT3_RKT4_RT5_RKT6_RKT7_RT8_RKT9_RT10_RKT11_RT12_iENKUlT_T0_E_clISN_NSH_IiLi0EEEEEDaS51_S52_ENKUlS51_E_clINSH_IiLi6EEEEEDaS51_EUlS51_E_EEvS51_EUlS51_E_EEvS51_@rel32@lo+4
	s_addc_u32 s5, s5, _ZNK2ck6detail7applierIiJLi0ELi1ELi2ELi3ELi4ELi5ELi6ELi7EEEclIZNKS_11static_fordINS_8SequenceIJLi1ELi8EEEENS5_IJLi0ELi1EEEEEclIZZZNKS_52BlockwiseGemmXdlops_pipeline_bpreshuffle_bdequant_v3ILNS_26BlockGemmPipelineSchedulerE0ELi256ENS_9f8_fnuz_tENS_7pk_i4_tESC_fNS_16TensorDescriptorINS_5TupleIJNS_5EmbedINSF_IJNS_17integral_constantIiLi8EEENSH_IiLi256EEENSH_IiLi16EEEEEENSF_IJSK_NSH_IiLi128EEENSH_IiLi1EEEEEELb0EEENS_3XorINSF_IJSJ_SI_EEELb1EEENS_11PassThroughISK_EENS_7UnMergeINSF_IJSI_SN_EEELb0EEENST_ISJ_EESU_NST_ISI_EENS_21Merge_v3_division_modINSF_IJSJ_SN_EEEEESU_EEENSF_IJNS5_IJLi0EEEENS5_IJLi2ELi1EEEENS5_IJLi3EEEENS5_IJLi5EEEENS5_IJLi4EEEENS5_IJLi6EEEENS5_IJLi7EEEENS5_IJLi9ELi8EEEENS5_IJLi10EEEEEEENSF_IJNS5_IJLi1ELi2ELi3EEEENS5_IJLi4ELi5EEEES19_NS5_IJLi7ELi8EEEENS5_IJLi9EEEES1C_NS5_IJLi11EEEENS5_IJLi12EEEENS5_IJLi13EEEEEEENS5_IJLi11ELi12ELi13EEEENSH_IlLl32768EEEEENSE_INSF_IJNSV_INSF_IJSI_SN_SN_NSH_IiLi32EEEEEELb0EEEEEENSF_IJS14_EEENSF_IJNS5_IJLi1ELi2ELi3ELi4EEEEEEES1U_NSH_IlLl256EEEEENSE_INSF_IJSP_SS_SU_SX_SY_SU_SZ_S12_SU_NS10_INSF_IJSI_SK_EEEEENSV_INSF_IJSI_NSH_IiLi2EEESK_EEELb0EEEEEENSF_IJS14_S15_S16_S17_S18_S19_S1A_S1B_S1C_NS5_IJLi11ELi13EEEES1J_EEENSF_IJS1E_S1F_S19_S1G_S1H_S1C_S1I_S1J_S1K_NS5_IJLi14EEEENS5_IJLi15ELi16ELi17EEEEEEENS5_IJLi15ELi16ELi17ELi14EEEES1N_EENSE_INSF_IJS1R_NS10_ISW_EES22_EEENSF_IJS14_NS5_IJLi1ELi3EEEENS5_IJLi2EEEEEEENSF_IJS1U_S17_NS5_IJLi6ELi7ELi8EEEEEEENS5_IJLi6ELi7ELi8ELi5EEEES1W_EELi16ELi32ELi256ELi256ELi128ELi16ELi16ELi8ELi8ELi32ELb0EE3RunILb1ELNS_10TailNumberE0ENSE_INSF_IJNSG_INSF_IJiiEEENSF_IJiSN_EEELb0EEENSV_IS2N_Lb0EEENST_IiEEEEENSF_IJS14_S2E_NS5_IJLi1EEEEEEENSF_IJNS5_IJLi1ELi2EEEENS5_IJLi3ELi4EEEES17_EEENS5_IJLi3ELi5ELi4EEEElEES1O_NS_35ThreadGroupTensorSliceTransfer_v4r1INS_15ThisThreadBlockILi256EEENS_16tensor_operation12element_wise11PassThroughES35_LNS_25InMemoryDataOperationEnumE0ENS5_IJLi8ELi256ELi16EEEENS5_IJLi8ELi32ELi1EEEENS5_IJLi1ELi0ELi2EEEESC_SC_RKS2Z_KS1O_S39_NS5_IJLi0ELi1ELi2EEEELi2ELi2ELi16ELi16ELi1ELi1ELb0ELb1ELi2EiEENS_13DynamicBufferILNS_16AddressSpaceEnumE1EKSC_lLb1ELNS_22AmdBufferCoherenceEnumE0EiEENSF_IJNS3F_ILS3G_2ESC_S1N_Lb1ELS3I_0EiEES3K_EEENSF_IJiiiEEENSE_INSF_IJNSG_INSF_IJiiiiEEENSF_IJiiiSN_EEELb0EEEEEES1T_S1V_S1U_lEENS_32ThreadwiseTensorSliceTransfer_v2ISD_SD_RKS3R_KS1X_NS5_IJLi8ELi1ELi1ELi32EEEENS5_IJLi1ELi2ELi0ELi3EEEELi3ELi32ELi0ELb1ELb0ELb0EEENS3F_ILS3G_1EKSD_lLb1ELS3I_0EiEENSF_IJNS_12StaticBufferILS3G_4ESD_Li256ELb1EEES42_EEES3N_NS_25StaticBufferTupleOfVectorILS3G_4EfLi64ELi4ELb1ELb0EEEEEvRKT1_RKT2_RT3_RKT4_RT5_RKT6_RKT7_RT8_RKT9_RT10_RKT11_RT12_iENKUlT_T0_E_clISN_NSH_IiLi0EEEEEDaS51_S52_ENKUlS51_E_clINSH_IiLi6EEEEEDaS51_EUlS51_E_EEvS51_EUlS51_E_EEvS51_@rel32@hi+12
	s_swappc_b64 s[30:31], s[4:5]
	flat_load_dwordx2 v[12:13], v[30:31] offset:1148
	flat_load_dwordx2 v[14:15], v[30:31] offset:1164
	flat_load_dwordx4 v[0:3], v[30:31] offset:1176
	flat_load_dwordx3 v[8:10], v[30:31] offset:1132
	flat_load_dwordx2 v[16:17], v[28:29] offset:16
	s_waitcnt vmcnt(0) lgkmcnt(0)
	v_sub_u32_e32 v4, v12, v15
	v_add3_u32 v1, v4, v1, s46
	v_ashrrev_i32_e32 v4, 31, v1
	v_lshrrev_b32_e32 v4, 29, v4
	v_add_u32_e32 v4, v1, v4
	v_and_b32_e32 v4, -8, v4
	v_sub_u32_e32 v5, v13, v14
	v_sub_u32_e32 v6, v1, v10
	;; [unrolled: 1-line block ×3, first 2 shown]
	v_xor_b32_e32 v4, v1, v5
	v_sub_u32_e32 v4, v4, v9
	v_lshlrev_b32_e32 v10, 7, v6
	v_lshlrev_b32_e32 v4, 4, v4
	v_add3_u32 v4, v10, v8, v4
	v_ashrrev_i32_e32 v5, 31, v4
	v_add_co_u32_e32 v4, vcc, v16, v4
	v_addc_co_u32_e32 v5, vcc, v17, v5, vcc
	flat_load_dwordx4 v[4:7], v[4:5]
	v_add_u32_e32 v3, 16, v3
	v_sub_u32_e32 v2, v8, v2
	v_ashrrev_i32_e32 v8, 31, v3
	v_lshrrev_b32_e32 v8, 28, v8
	v_add_u32_e32 v0, v14, v0
	v_add_u32_e32 v8, v3, v8
	v_sub_u32_e32 v0, v13, v0
	v_lshrrev_b32_e32 v11, 4, v8
	v_add_u32_e32 v0, v0, v11
	v_xor_b32_e32 v0, v0, v1
	v_and_b32_e32 v8, -16, v8
	v_sub_u32_e32 v0, v0, v9
	v_add_u32_e32 v2, v2, v10
	v_sub_u32_e32 v3, v3, v8
	v_lshlrev_b32_e32 v0, 4, v0
	v_add3_u32 v0, v2, v3, v0
	v_ashrrev_i32_e32 v1, 31, v0
	v_add_co_u32_e32 v0, vcc, v16, v0
	v_addc_co_u32_e32 v1, vcc, v17, v1, vcc
	s_waitcnt vmcnt(0) lgkmcnt(0)
	buffer_store_dword v4, off, s[0:3], s33 offset:84
	buffer_store_dword v5, off, s[0:3], s33 offset:88
	;; [unrolled: 1-line block ×4, first 2 shown]
	flat_load_dwordx4 v[0:3], v[0:1]
	s_waitcnt vmcnt(0) lgkmcnt(0)
	buffer_store_dword v0, off, s[0:3], s33 offset:100
	buffer_store_dword v1, off, s[0:3], s33 offset:104
	;; [unrolled: 1-line block ×4, first 2 shown]
	v_mov_b32_e32 v0, v64
	v_mov_b32_e32 v1, s15
	;; [unrolled: 1-line block ×4, first 2 shown]
	s_swappc_b64 s[30:31], s[20:21]
	; sched_group_barrier mask(0x00000008) size(16) SyncID(0)
	; sched_group_barrier mask(0x00000100) size(1) SyncID(0)
	; sched_group_barrier mask(0x00000008) size(16) SyncID(0)
	; sched_group_barrier mask(0x00000100) size(1) SyncID(0)
	; sched_barrier mask(0x00000000)
	v_mov_b32_e32 v0, s29
	v_mov_b32_e32 v1, s34
	buffer_store_dword v67, off, s[0:3], s33 offset:12
	buffer_store_dword v70, off, s[0:3], s33 offset:8
	;; [unrolled: 1-line block ×10, first 2 shown]
	s_getpc_b64 s[4:5]
	s_add_u32 s4, s4, _ZNK2ck6detail7applierIiJLi0ELi1ELi2ELi3ELi4ELi5ELi6ELi7EEEclIZNKS_11static_fordINS_8SequenceIJLi1ELi8EEEENS5_IJLi0ELi1EEEEEclIZZZNKS_52BlockwiseGemmXdlops_pipeline_bpreshuffle_bdequant_v3ILNS_26BlockGemmPipelineSchedulerE0ELi256ENS_9f8_fnuz_tENS_7pk_i4_tESC_fNS_16TensorDescriptorINS_5TupleIJNS_5EmbedINSF_IJNS_17integral_constantIiLi8EEENSH_IiLi256EEENSH_IiLi16EEEEEENSF_IJSK_NSH_IiLi128EEENSH_IiLi1EEEEEELb0EEENS_3XorINSF_IJSJ_SI_EEELb1EEENS_11PassThroughISK_EENS_7UnMergeINSF_IJSI_SN_EEELb0EEENST_ISJ_EESU_NST_ISI_EENS_21Merge_v3_division_modINSF_IJSJ_SN_EEEEESU_EEENSF_IJNS5_IJLi0EEEENS5_IJLi2ELi1EEEENS5_IJLi3EEEENS5_IJLi5EEEENS5_IJLi4EEEENS5_IJLi6EEEENS5_IJLi7EEEENS5_IJLi9ELi8EEEENS5_IJLi10EEEEEEENSF_IJNS5_IJLi1ELi2ELi3EEEENS5_IJLi4ELi5EEEES19_NS5_IJLi7ELi8EEEENS5_IJLi9EEEES1C_NS5_IJLi11EEEENS5_IJLi12EEEENS5_IJLi13EEEEEEENS5_IJLi11ELi12ELi13EEEENSH_IlLl32768EEEEENSE_INSF_IJNSV_INSF_IJSI_SN_SN_NSH_IiLi32EEEEEELb0EEEEEENSF_IJS14_EEENSF_IJNS5_IJLi1ELi2ELi3ELi4EEEEEEES1U_NSH_IlLl256EEEEENSE_INSF_IJSP_SS_SU_SX_SY_SU_SZ_S12_SU_NS10_INSF_IJSI_SK_EEEEENSV_INSF_IJSI_NSH_IiLi2EEESK_EEELb0EEEEEENSF_IJS14_S15_S16_S17_S18_S19_S1A_S1B_S1C_NS5_IJLi11ELi13EEEES1J_EEENSF_IJS1E_S1F_S19_S1G_S1H_S1C_S1I_S1J_S1K_NS5_IJLi14EEEENS5_IJLi15ELi16ELi17EEEEEEENS5_IJLi15ELi16ELi17ELi14EEEES1N_EENSE_INSF_IJS1R_NS10_ISW_EES22_EEENSF_IJS14_NS5_IJLi1ELi3EEEENS5_IJLi2EEEEEEENSF_IJS1U_S17_NS5_IJLi6ELi7ELi8EEEEEEENS5_IJLi6ELi7ELi8ELi5EEEES1W_EELi16ELi32ELi256ELi256ELi128ELi16ELi16ELi8ELi8ELi32ELb0EE3RunILb1ELNS_10TailNumberE0ENSE_INSF_IJNSG_INSF_IJiiEEENSF_IJiSN_EEELb0EEENSV_IS2N_Lb0EEENST_IiEEEEENSF_IJS14_S2E_NS5_IJLi1EEEEEEENSF_IJNS5_IJLi1ELi2EEEENS5_IJLi3ELi4EEEES17_EEENS5_IJLi3ELi5ELi4EEEElEES1O_NS_35ThreadGroupTensorSliceTransfer_v4r1INS_15ThisThreadBlockILi256EEENS_16tensor_operation12element_wise11PassThroughES35_LNS_25InMemoryDataOperationEnumE0ENS5_IJLi8ELi256ELi16EEEENS5_IJLi8ELi32ELi1EEEENS5_IJLi1ELi0ELi2EEEESC_SC_RKS2Z_KS1O_S39_NS5_IJLi0ELi1ELi2EEEELi2ELi2ELi16ELi16ELi1ELi1ELb0ELb1ELi2EiEENS_13DynamicBufferILNS_16AddressSpaceEnumE1EKSC_lLb1ELNS_22AmdBufferCoherenceEnumE0EiEENSF_IJNS3F_ILS3G_2ESC_S1N_Lb1ELS3I_0EiEES3K_EEENSF_IJiiiEEENSE_INSF_IJNSG_INSF_IJiiiiEEENSF_IJiiiSN_EEELb0EEEEEES1T_S1V_S1U_lEENS_32ThreadwiseTensorSliceTransfer_v2ISD_SD_RKS3R_KS1X_NS5_IJLi8ELi1ELi1ELi32EEEENS5_IJLi1ELi2ELi0ELi3EEEELi3ELi32ELi0ELb1ELb0ELb0EEENS3F_ILS3G_1EKSD_lLb1ELS3I_0EiEENSF_IJNS_12StaticBufferILS3G_4ESD_Li256ELb1EEES42_EEES3N_NS_25StaticBufferTupleOfVectorILS3G_4EfLi64ELi4ELb1ELb0EEEEEvRKT1_RKT2_RT3_RKT4_RT5_RKT6_RKT7_RT8_RKT9_RT10_RKT11_RT12_iENKUlT_T0_E_clISN_NSH_IiLi0EEEEEDaS51_S52_ENKUlS51_E_clINSH_IiLi7EEEEEDaS51_EUlS51_E_EEvS51_EUlS51_E_EEvS51_@rel32@lo+4
	s_addc_u32 s5, s5, _ZNK2ck6detail7applierIiJLi0ELi1ELi2ELi3ELi4ELi5ELi6ELi7EEEclIZNKS_11static_fordINS_8SequenceIJLi1ELi8EEEENS5_IJLi0ELi1EEEEEclIZZZNKS_52BlockwiseGemmXdlops_pipeline_bpreshuffle_bdequant_v3ILNS_26BlockGemmPipelineSchedulerE0ELi256ENS_9f8_fnuz_tENS_7pk_i4_tESC_fNS_16TensorDescriptorINS_5TupleIJNS_5EmbedINSF_IJNS_17integral_constantIiLi8EEENSH_IiLi256EEENSH_IiLi16EEEEEENSF_IJSK_NSH_IiLi128EEENSH_IiLi1EEEEEELb0EEENS_3XorINSF_IJSJ_SI_EEELb1EEENS_11PassThroughISK_EENS_7UnMergeINSF_IJSI_SN_EEELb0EEENST_ISJ_EESU_NST_ISI_EENS_21Merge_v3_division_modINSF_IJSJ_SN_EEEEESU_EEENSF_IJNS5_IJLi0EEEENS5_IJLi2ELi1EEEENS5_IJLi3EEEENS5_IJLi5EEEENS5_IJLi4EEEENS5_IJLi6EEEENS5_IJLi7EEEENS5_IJLi9ELi8EEEENS5_IJLi10EEEEEEENSF_IJNS5_IJLi1ELi2ELi3EEEENS5_IJLi4ELi5EEEES19_NS5_IJLi7ELi8EEEENS5_IJLi9EEEES1C_NS5_IJLi11EEEENS5_IJLi12EEEENS5_IJLi13EEEEEEENS5_IJLi11ELi12ELi13EEEENSH_IlLl32768EEEEENSE_INSF_IJNSV_INSF_IJSI_SN_SN_NSH_IiLi32EEEEEELb0EEEEEENSF_IJS14_EEENSF_IJNS5_IJLi1ELi2ELi3ELi4EEEEEEES1U_NSH_IlLl256EEEEENSE_INSF_IJSP_SS_SU_SX_SY_SU_SZ_S12_SU_NS10_INSF_IJSI_SK_EEEEENSV_INSF_IJSI_NSH_IiLi2EEESK_EEELb0EEEEEENSF_IJS14_S15_S16_S17_S18_S19_S1A_S1B_S1C_NS5_IJLi11ELi13EEEES1J_EEENSF_IJS1E_S1F_S19_S1G_S1H_S1C_S1I_S1J_S1K_NS5_IJLi14EEEENS5_IJLi15ELi16ELi17EEEEEEENS5_IJLi15ELi16ELi17ELi14EEEES1N_EENSE_INSF_IJS1R_NS10_ISW_EES22_EEENSF_IJS14_NS5_IJLi1ELi3EEEENS5_IJLi2EEEEEEENSF_IJS1U_S17_NS5_IJLi6ELi7ELi8EEEEEEENS5_IJLi6ELi7ELi8ELi5EEEES1W_EELi16ELi32ELi256ELi256ELi128ELi16ELi16ELi8ELi8ELi32ELb0EE3RunILb1ELNS_10TailNumberE0ENSE_INSF_IJNSG_INSF_IJiiEEENSF_IJiSN_EEELb0EEENSV_IS2N_Lb0EEENST_IiEEEEENSF_IJS14_S2E_NS5_IJLi1EEEEEEENSF_IJNS5_IJLi1ELi2EEEENS5_IJLi3ELi4EEEES17_EEENS5_IJLi3ELi5ELi4EEEElEES1O_NS_35ThreadGroupTensorSliceTransfer_v4r1INS_15ThisThreadBlockILi256EEENS_16tensor_operation12element_wise11PassThroughES35_LNS_25InMemoryDataOperationEnumE0ENS5_IJLi8ELi256ELi16EEEENS5_IJLi8ELi32ELi1EEEENS5_IJLi1ELi0ELi2EEEESC_SC_RKS2Z_KS1O_S39_NS5_IJLi0ELi1ELi2EEEELi2ELi2ELi16ELi16ELi1ELi1ELb0ELb1ELi2EiEENS_13DynamicBufferILNS_16AddressSpaceEnumE1EKSC_lLb1ELNS_22AmdBufferCoherenceEnumE0EiEENSF_IJNS3F_ILS3G_2ESC_S1N_Lb1ELS3I_0EiEES3K_EEENSF_IJiiiEEENSE_INSF_IJNSG_INSF_IJiiiiEEENSF_IJiiiSN_EEELb0EEEEEES1T_S1V_S1U_lEENS_32ThreadwiseTensorSliceTransfer_v2ISD_SD_RKS3R_KS1X_NS5_IJLi8ELi1ELi1ELi32EEEENS5_IJLi1ELi2ELi0ELi3EEEELi3ELi32ELi0ELb1ELb0ELb0EEENS3F_ILS3G_1EKSD_lLb1ELS3I_0EiEENSF_IJNS_12StaticBufferILS3G_4ESD_Li256ELb1EEES42_EEES3N_NS_25StaticBufferTupleOfVectorILS3G_4EfLi64ELi4ELb1ELb0EEEEEvRKT1_RKT2_RT3_RKT4_RT5_RKT6_RKT7_RT8_RKT9_RT10_RKT11_RT12_iENKUlT_T0_E_clISN_NSH_IiLi0EEEEEDaS51_S52_ENKUlS51_E_clINSH_IiLi7EEEEEDaS51_EUlS51_E_EEvS51_EUlS51_E_EEvS51_@rel32@hi+12
	s_swappc_b64 s[30:31], s[4:5]
	s_waitcnt lgkmcnt(0)
	s_barrier
	flat_load_dwordx3 v[4:6], v[30:31] offset:1132
	flat_load_dwordx2 v[8:9], v[28:29]
	flat_load_dwordx2 v[10:11], v[30:31] offset:1184
	flat_load_dwordx2 v[12:13], v[30:31] offset:1148
	flat_load_dword v7, v[30:31] offset:1176
	s_waitcnt vmcnt(0) lgkmcnt(0)
	v_ashrrev_i32_e32 v1, 31, v4
	v_add_co_u32_e32 v0, vcc, v8, v4
	v_addc_co_u32_e32 v1, vcc, v9, v1, vcc
	flat_load_dwordx4 v[0:3], v[0:1]
	v_add_u32_e32 v11, 16, v11
	v_sub_u32_e32 v7, v13, v7
	v_ashrrev_i32_e32 v13, 31, v12
	v_sub_u32_e32 v6, v12, v6
	v_ashrrev_i32_e32 v14, 31, v11
	v_lshrrev_b32_e32 v13, 29, v13
	v_lshl_add_u32 v4, v6, 7, v4
	v_lshrrev_b32_e32 v6, 28, v14
	v_add_u32_e32 v13, v12, v13
	v_add_u32_e32 v6, v11, v6
	v_sub_u32_e32 v4, v4, v10
	v_and_b32_e32 v10, 0xffffff8, v13
	v_lshrrev_b32_e32 v13, 4, v6
	v_sub_u32_e32 v10, v12, v10
	v_add_u32_e32 v7, v7, v13
	v_xor_b32_e32 v7, v7, v10
	v_and_b32_e32 v6, -16, v6
	v_sub_u32_e32 v5, v7, v5
	v_sub_u32_e32 v6, v11, v6
	v_lshlrev_b32_e32 v5, 4, v5
	v_add3_u32 v4, v4, v6, v5
	v_ashrrev_i32_e32 v5, 31, v4
	v_add_co_u32_e32 v4, vcc, v8, v4
	v_addc_co_u32_e32 v5, vcc, v9, v5, vcc
	s_waitcnt vmcnt(0) lgkmcnt(0)
	buffer_store_dword v0, off, s[0:3], s33 offset:52
	buffer_store_dword v1, off, s[0:3], s33 offset:56
	;; [unrolled: 1-line block ×4, first 2 shown]
	flat_load_dwordx4 v[0:3], v[4:5]
	s_waitcnt vmcnt(0) lgkmcnt(0)
	buffer_store_dword v0, off, s[0:3], s33 offset:68
	buffer_store_dword v1, off, s[0:3], s33 offset:72
	;; [unrolled: 1-line block ×4, first 2 shown]
	v_mov_b32_e32 v0, s23
	v_mov_b32_e32 v1, s25
	;; [unrolled: 1-line block ×4, first 2 shown]
	s_swappc_b64 s[30:31], s[20:21]
	; sched_group_barrier mask(0x00000008) size(16) SyncID(0)
	; sched_group_barrier mask(0x00000100) size(1) SyncID(0)
	;; [unrolled: 1-line block ×4, first 2 shown]
	; sched_barrier mask(0x00000000)
	s_add_i32 s16, s16, 2
	v_cmp_ge_i32_e32 vcc, s16, v68
	s_or_b64 s[18:19], vcc, s[18:19]
	s_andn2_b64 exec, exec, s[18:19]
	s_cbranch_execz .LBB26_144
.LBB26_64:                              ; =>This Loop Header: Depth=1
                                        ;     Child Loop BB26_65 Depth 2
                                        ;     Child Loop BB26_67 Depth 2
	;; [unrolled: 1-line block ×32, first 2 shown]
	flat_load_dwordx3 v[8:10], v[36:37]
	flat_load_dwordx4 v[0:3], v[34:35]
	s_mov_b64 s[6:7], exec
	s_waitcnt vmcnt(0) lgkmcnt(0)
	v_lshrrev_b32_e32 v4, 31, v8
	v_lshrrev_b32_e32 v5, 31, v3
	v_add_co_u32_e32 v2, vcc, v2, v5
	v_add_u32_e32 v4, v8, v4
	v_addc_co_u32_e32 v5, vcc, 0, v3, vcc
	v_mov_b32_e32 v3, s37
	v_ashrrev_i32_e32 v11, 1, v4
	v_alignbit_b32 v2, v5, v2, 1
.LBB26_65:                              ;   Parent Loop BB26_64 Depth=1
                                        ; =>  This Inner Loop Header: Depth=2
	v_readfirstlane_b32 s8, v0
	v_readfirstlane_b32 s9, v1
	v_readfirstlane_b32 s10, v2
	v_readfirstlane_b32 s11, v3
	v_cmp_eq_u64_e32 vcc, s[8:9], v[0:1]
	v_cmp_eq_u64_e64 s[4:5], s[10:11], v[2:3]
	s_and_b64 s[4:5], vcc, s[4:5]
	s_and_saveexec_b64 s[4:5], s[4:5]
	s_nop 0
	buffer_load_dwordx4 v[4:7], v11, s[8:11], 0 offen
                                        ; implicit-def: $vgpr11
	s_xor_b64 exec, exec, s[4:5]
	s_cbranch_execnz .LBB26_65
; %bb.66:                               ;   in Loop: Header=BB26_64 Depth=1
	s_mov_b64 exec, s[6:7]
	v_add_u32_e32 v11, 1, v9
	flat_store_dword v[36:37], v11 offset:4
	flat_load_dword v11, v[38:39] offset:16
	s_waitcnt vmcnt(0)
	buffer_store_dword v7, off, s[0:3], s33 offset:384
	buffer_store_dword v6, off, s[0:3], s33 offset:380
	buffer_store_dword v5, off, s[0:3], s33 offset:376
	buffer_store_dword v4, off, s[0:3], s33 offset:372
	s_mov_b64 s[6:7], exec
	s_waitcnt lgkmcnt(0)
	v_add_u32_e32 v8, v11, v8
	v_lshrrev_b32_e32 v4, 31, v8
	v_add_u32_e32 v4, v8, v4
	v_ashrrev_i32_e32 v11, 1, v4
	flat_store_dword v[36:37], v8
.LBB26_67:                              ;   Parent Loop BB26_64 Depth=1
                                        ; =>  This Inner Loop Header: Depth=2
	v_readfirstlane_b32 s8, v0
	v_readfirstlane_b32 s9, v1
	v_readfirstlane_b32 s10, v2
	v_readfirstlane_b32 s11, v3
	v_cmp_eq_u64_e32 vcc, s[8:9], v[0:1]
	v_cmp_eq_u64_e64 s[4:5], s[10:11], v[2:3]
	s_and_b64 s[4:5], vcc, s[4:5]
	s_and_saveexec_b64 s[4:5], s[4:5]
	s_nop 0
	buffer_load_dwordx4 v[4:7], v11, s[8:11], 0 offen
                                        ; implicit-def: $vgpr11
	s_xor_b64 exec, exec, s[4:5]
	s_cbranch_execnz .LBB26_67
; %bb.68:                               ;   in Loop: Header=BB26_64 Depth=1
	s_mov_b64 exec, s[6:7]
	v_add_u32_e32 v11, 2, v9
	flat_store_dword v[36:37], v11 offset:4
	flat_load_dword v11, v[38:39] offset:16
	s_waitcnt vmcnt(0)
	buffer_store_dword v7, off, s[0:3], s33 offset:416
	buffer_store_dword v6, off, s[0:3], s33 offset:412
	buffer_store_dword v5, off, s[0:3], s33 offset:408
	buffer_store_dword v4, off, s[0:3], s33 offset:404
	s_mov_b64 s[6:7], exec
	s_waitcnt lgkmcnt(0)
	v_add_u32_e32 v8, v11, v8
	v_lshrrev_b32_e32 v4, 31, v8
	v_add_u32_e32 v4, v8, v4
	v_ashrrev_i32_e32 v11, 1, v4
	flat_store_dword v[36:37], v8
	;; [unrolled: 32-line block ×7, first 2 shown]
.LBB26_79:                              ;   Parent Loop BB26_64 Depth=1
                                        ; =>  This Inner Loop Header: Depth=2
	v_readfirstlane_b32 s8, v0
	v_readfirstlane_b32 s9, v1
	;; [unrolled: 1-line block ×4, first 2 shown]
	v_cmp_eq_u64_e32 vcc, s[8:9], v[0:1]
	v_cmp_eq_u64_e64 s[4:5], s[10:11], v[2:3]
	s_and_b64 s[4:5], vcc, s[4:5]
	s_and_saveexec_b64 s[4:5], s[4:5]
	s_nop 0
	buffer_load_dwordx4 v[4:7], v11, s[8:11], 0 offen
                                        ; implicit-def: $vgpr0_vgpr1_vgpr2_vgpr3
                                        ; implicit-def: $vgpr11
	s_xor_b64 exec, exec, s[4:5]
	s_cbranch_execnz .LBB26_79
; %bb.80:                               ;   in Loop: Header=BB26_64 Depth=1
	s_mov_b64 exec, s[6:7]
	flat_store_dword v[36:37], v9 offset:4
	flat_load_dword v0, v[38:39] offset:16
	s_waitcnt vmcnt(0) lgkmcnt(0)
	v_mad_u64_u32 v[12:13], s[4:5], v0, -7, v[8:9]
	flat_store_dword v[36:37], v12
	flat_load_dwordx4 v[0:3], v[32:33]
	flat_load_dwordx2 v[14:15], v[36:37] offset:12
	s_nop 0
	buffer_store_dword v7, off, s[0:3], s33 offset:608
	buffer_store_dword v6, off, s[0:3], s33 offset:604
	;; [unrolled: 1-line block ×4, first 2 shown]
	s_waitcnt vmcnt(0) lgkmcnt(0)
	v_or_b32_e32 v8, v1, v2
	v_or3_b32 v8, v8, v0, v3
	v_add_u32_e32 v5, v10, v1
	v_add_u32_e32 v4, v9, v0
	;; [unrolled: 1-line block ×4, first 2 shown]
	v_cmp_ne_u32_e32 vcc, 0, v8
	flat_store_dwordx4 v[36:37], v[4:7] offset:4
	s_and_saveexec_b64 s[4:5], vcc
	s_cbranch_execz .LBB26_82
; %bb.81:                               ;   in Loop: Header=BB26_64 Depth=1
	flat_load_dwordx3 v[4:6], v[38:39] offset:16
	s_waitcnt vmcnt(0) lgkmcnt(0)
	v_mul_lo_u32 v0, v4, v0
	v_mul_lo_u32 v2, v6, v2
	;; [unrolled: 1-line block ×3, first 2 shown]
	v_add3_u32 v0, v3, v12, v0
	v_add3_u32 v0, v0, v1, v2
	flat_store_dword v[36:37], v0
.LBB26_82:                              ;   in Loop: Header=BB26_64 Depth=1
	s_or_b64 exec, exec, s[4:5]
	v_mov_b32_e32 v65, s28
	v_mov_b32_e32 v70, s27
	;; [unrolled: 1-line block ×10, first 2 shown]
	buffer_store_dword v65, off, s[0:3], s33 offset:12
	buffer_store_dword v70, off, s[0:3], s33 offset:8
	;; [unrolled: 1-line block ×10, first 2 shown]
	s_getpc_b64 s[4:5]
	s_add_u32 s4, s4, _ZNK2ck6detail7applierIiJLi0ELi1ELi2ELi3ELi4ELi5ELi6ELi7EEEclIZNKS_11static_fordINS_8SequenceIJLi1ELi8EEEENS5_IJLi0ELi1EEEEEclIZZZNKS_52BlockwiseGemmXdlops_pipeline_bpreshuffle_bdequant_v3ILNS_26BlockGemmPipelineSchedulerE0ELi256ENS_9f8_fnuz_tENS_7pk_i4_tESC_fNS_16TensorDescriptorINS_5TupleIJNS_5EmbedINSF_IJNS_17integral_constantIiLi8EEENSH_IiLi256EEENSH_IiLi16EEEEEENSF_IJSK_NSH_IiLi128EEENSH_IiLi1EEEEEELb0EEENS_3XorINSF_IJSJ_SI_EEELb1EEENS_11PassThroughISK_EENS_7UnMergeINSF_IJSI_SN_EEELb0EEENST_ISJ_EESU_NST_ISI_EENS_21Merge_v3_division_modINSF_IJSJ_SN_EEEEESU_EEENSF_IJNS5_IJLi0EEEENS5_IJLi2ELi1EEEENS5_IJLi3EEEENS5_IJLi5EEEENS5_IJLi4EEEENS5_IJLi6EEEENS5_IJLi7EEEENS5_IJLi9ELi8EEEENS5_IJLi10EEEEEEENSF_IJNS5_IJLi1ELi2ELi3EEEENS5_IJLi4ELi5EEEES19_NS5_IJLi7ELi8EEEENS5_IJLi9EEEES1C_NS5_IJLi11EEEENS5_IJLi12EEEENS5_IJLi13EEEEEEENS5_IJLi11ELi12ELi13EEEENSH_IlLl32768EEEEENSE_INSF_IJNSV_INSF_IJSI_SN_SN_NSH_IiLi32EEEEEELb0EEEEEENSF_IJS14_EEENSF_IJNS5_IJLi1ELi2ELi3ELi4EEEEEEES1U_NSH_IlLl256EEEEENSE_INSF_IJSP_SS_SU_SX_SY_SU_SZ_S12_SU_NS10_INSF_IJSI_SK_EEEEENSV_INSF_IJSI_NSH_IiLi2EEESK_EEELb0EEEEEENSF_IJS14_S15_S16_S17_S18_S19_S1A_S1B_S1C_NS5_IJLi11ELi13EEEES1J_EEENSF_IJS1E_S1F_S19_S1G_S1H_S1C_S1I_S1J_S1K_NS5_IJLi14EEEENS5_IJLi15ELi16ELi17EEEEEEENS5_IJLi15ELi16ELi17ELi14EEEES1N_EENSE_INSF_IJS1R_NS10_ISW_EES22_EEENSF_IJS14_NS5_IJLi1ELi3EEEENS5_IJLi2EEEEEEENSF_IJS1U_S17_NS5_IJLi6ELi7ELi8EEEEEEENS5_IJLi6ELi7ELi8ELi5EEEES1W_EELi16ELi32ELi256ELi256ELi128ELi16ELi16ELi8ELi8ELi32ELb0EE3RunILb1ELNS_10TailNumberE0ENSE_INSF_IJNSG_INSF_IJiiEEENSF_IJiSN_EEELb0EEENSV_IS2N_Lb0EEENST_IiEEEEENSF_IJS14_S2E_NS5_IJLi1EEEEEEENSF_IJNS5_IJLi1ELi2EEEENS5_IJLi3ELi4EEEES17_EEENS5_IJLi3ELi5ELi4EEEElEES1O_NS_35ThreadGroupTensorSliceTransfer_v4r1INS_15ThisThreadBlockILi256EEENS_16tensor_operation12element_wise11PassThroughES35_LNS_25InMemoryDataOperationEnumE0ENS5_IJLi8ELi256ELi16EEEENS5_IJLi8ELi32ELi1EEEENS5_IJLi1ELi0ELi2EEEESC_SC_RKS2Z_KS1O_S39_NS5_IJLi0ELi1ELi2EEEELi2ELi2ELi16ELi16ELi1ELi1ELb0ELb1ELi2EiEENS_13DynamicBufferILNS_16AddressSpaceEnumE1EKSC_lLb1ELNS_22AmdBufferCoherenceEnumE0EiEENSF_IJNS3F_ILS3G_2ESC_S1N_Lb1ELS3I_0EiEES3K_EEENSF_IJiiiEEENSE_INSF_IJNSG_INSF_IJiiiiEEENSF_IJiiiSN_EEELb0EEEEEES1T_S1V_S1U_lEENS_32ThreadwiseTensorSliceTransfer_v2ISD_SD_RKS3R_KS1X_NS5_IJLi8ELi1ELi1ELi32EEEENS5_IJLi1ELi2ELi0ELi3EEEELi3ELi32ELi0ELb1ELb0ELb0EEENS3F_ILS3G_1EKSD_lLb1ELS3I_0EiEENSF_IJNS_12StaticBufferILS3G_4ESD_Li256ELb1EEES42_EEES3N_NS_25StaticBufferTupleOfVectorILS3G_4EfLi64ELi4ELb1ELb0EEEEEvRKT1_RKT2_RT3_RKT4_RT5_RKT6_RKT7_RT8_RKT9_RT10_RKT11_RT12_iENKUlT_T0_E_clINSH_IiLi0EEESN_EEDaS51_S52_ENKUlS51_E_clIS55_EEDaS51_EUlS51_E_EEvS51_EUlS51_E_EEvS51_@rel32@lo+4
	s_addc_u32 s5, s5, _ZNK2ck6detail7applierIiJLi0ELi1ELi2ELi3ELi4ELi5ELi6ELi7EEEclIZNKS_11static_fordINS_8SequenceIJLi1ELi8EEEENS5_IJLi0ELi1EEEEEclIZZZNKS_52BlockwiseGemmXdlops_pipeline_bpreshuffle_bdequant_v3ILNS_26BlockGemmPipelineSchedulerE0ELi256ENS_9f8_fnuz_tENS_7pk_i4_tESC_fNS_16TensorDescriptorINS_5TupleIJNS_5EmbedINSF_IJNS_17integral_constantIiLi8EEENSH_IiLi256EEENSH_IiLi16EEEEEENSF_IJSK_NSH_IiLi128EEENSH_IiLi1EEEEEELb0EEENS_3XorINSF_IJSJ_SI_EEELb1EEENS_11PassThroughISK_EENS_7UnMergeINSF_IJSI_SN_EEELb0EEENST_ISJ_EESU_NST_ISI_EENS_21Merge_v3_division_modINSF_IJSJ_SN_EEEEESU_EEENSF_IJNS5_IJLi0EEEENS5_IJLi2ELi1EEEENS5_IJLi3EEEENS5_IJLi5EEEENS5_IJLi4EEEENS5_IJLi6EEEENS5_IJLi7EEEENS5_IJLi9ELi8EEEENS5_IJLi10EEEEEEENSF_IJNS5_IJLi1ELi2ELi3EEEENS5_IJLi4ELi5EEEES19_NS5_IJLi7ELi8EEEENS5_IJLi9EEEES1C_NS5_IJLi11EEEENS5_IJLi12EEEENS5_IJLi13EEEEEEENS5_IJLi11ELi12ELi13EEEENSH_IlLl32768EEEEENSE_INSF_IJNSV_INSF_IJSI_SN_SN_NSH_IiLi32EEEEEELb0EEEEEENSF_IJS14_EEENSF_IJNS5_IJLi1ELi2ELi3ELi4EEEEEEES1U_NSH_IlLl256EEEEENSE_INSF_IJSP_SS_SU_SX_SY_SU_SZ_S12_SU_NS10_INSF_IJSI_SK_EEEEENSV_INSF_IJSI_NSH_IiLi2EEESK_EEELb0EEEEEENSF_IJS14_S15_S16_S17_S18_S19_S1A_S1B_S1C_NS5_IJLi11ELi13EEEES1J_EEENSF_IJS1E_S1F_S19_S1G_S1H_S1C_S1I_S1J_S1K_NS5_IJLi14EEEENS5_IJLi15ELi16ELi17EEEEEEENS5_IJLi15ELi16ELi17ELi14EEEES1N_EENSE_INSF_IJS1R_NS10_ISW_EES22_EEENSF_IJS14_NS5_IJLi1ELi3EEEENS5_IJLi2EEEEEEENSF_IJS1U_S17_NS5_IJLi6ELi7ELi8EEEEEEENS5_IJLi6ELi7ELi8ELi5EEEES1W_EELi16ELi32ELi256ELi256ELi128ELi16ELi16ELi8ELi8ELi32ELb0EE3RunILb1ELNS_10TailNumberE0ENSE_INSF_IJNSG_INSF_IJiiEEENSF_IJiSN_EEELb0EEENSV_IS2N_Lb0EEENST_IiEEEEENSF_IJS14_S2E_NS5_IJLi1EEEEEEENSF_IJNS5_IJLi1ELi2EEEENS5_IJLi3ELi4EEEES17_EEENS5_IJLi3ELi5ELi4EEEElEES1O_NS_35ThreadGroupTensorSliceTransfer_v4r1INS_15ThisThreadBlockILi256EEENS_16tensor_operation12element_wise11PassThroughES35_LNS_25InMemoryDataOperationEnumE0ENS5_IJLi8ELi256ELi16EEEENS5_IJLi8ELi32ELi1EEEENS5_IJLi1ELi0ELi2EEEESC_SC_RKS2Z_KS1O_S39_NS5_IJLi0ELi1ELi2EEEELi2ELi2ELi16ELi16ELi1ELi1ELb0ELb1ELi2EiEENS_13DynamicBufferILNS_16AddressSpaceEnumE1EKSC_lLb1ELNS_22AmdBufferCoherenceEnumE0EiEENSF_IJNS3F_ILS3G_2ESC_S1N_Lb1ELS3I_0EiEES3K_EEENSF_IJiiiEEENSE_INSF_IJNSG_INSF_IJiiiiEEENSF_IJiiiSN_EEELb0EEEEEES1T_S1V_S1U_lEENS_32ThreadwiseTensorSliceTransfer_v2ISD_SD_RKS3R_KS1X_NS5_IJLi8ELi1ELi1ELi32EEEENS5_IJLi1ELi2ELi0ELi3EEEELi3ELi32ELi0ELb1ELb0ELb0EEENS3F_ILS3G_1EKSD_lLb1ELS3I_0EiEENSF_IJNS_12StaticBufferILS3G_4ESD_Li256ELb1EEES42_EEES3N_NS_25StaticBufferTupleOfVectorILS3G_4EfLi64ELi4ELb1ELb0EEEEEvRKT1_RKT2_RT3_RKT4_RT5_RKT6_RKT7_RT8_RKT9_RT10_RKT11_RT12_iENKUlT_T0_E_clINSH_IiLi0EEESN_EEDaS51_S52_ENKUlS51_E_clIS55_EEDaS51_EUlS51_E_EEvS51_EUlS51_E_EEvS51_@rel32@hi+12
	s_swappc_b64 s[30:31], s[4:5]
	flat_load_dwordx2 v[12:13], v[30:31] offset:1148
	flat_load_dwordx2 v[14:15], v[30:31] offset:1164
	flat_load_dwordx4 v[0:3], v[30:31] offset:1176
	flat_load_dwordx3 v[8:10], v[30:31] offset:1132
	flat_load_dwordx2 v[16:17], v[28:29]
	s_getpc_b64 s[20:21]
	s_add_u32 s20, s20, _ZNK2ck44ThreadwiseTensorSliceTransfer_StaticToStaticINS_7pk_i4_tENS_9f8_fnuz_tEKNS_16TensorDescriptorINS_5TupleIJNS_7UnMergeINS4_IJNS_17integral_constantIiLi8EEENS6_IiLi1EEES8_NS6_IiLi32EEEEEELb0EEEEEENS4_IJNS_8SequenceIJLi0EEEEEEENS4_IJNSD_IJLi1ELi2ELi3ELi4EEEEEEESG_NS6_IlLl256EEEEESK_NS_16tensor_operation12element_wise11PassThroughENSD_IJLi8ELi1ELi1ELi32EEEENSD_IJLi1ELi2ELi0ELi3EEEELi3ELi32ELb0EE3RunINS4_IJNS6_IiLi0EEESS_SS_SS_EEEST_NS_12StaticBufferILNS_16AddressSpaceEnumE4ES1_Li256ELb1EEENSU_ILSV_4ES2_Li256ELb1EEEEEvRSK_RKT_RKT1_SY_RKT0_RT2_@rel32@lo+4
	s_addc_u32 s21, s21, _ZNK2ck44ThreadwiseTensorSliceTransfer_StaticToStaticINS_7pk_i4_tENS_9f8_fnuz_tEKNS_16TensorDescriptorINS_5TupleIJNS_7UnMergeINS4_IJNS_17integral_constantIiLi8EEENS6_IiLi1EEES8_NS6_IiLi32EEEEEELb0EEEEEENS4_IJNS_8SequenceIJLi0EEEEEEENS4_IJNSD_IJLi1ELi2ELi3ELi4EEEEEEESG_NS6_IlLl256EEEEESK_NS_16tensor_operation12element_wise11PassThroughENSD_IJLi8ELi1ELi1ELi32EEEENSD_IJLi1ELi2ELi0ELi3EEEELi3ELi32ELb0EE3RunINS4_IJNS6_IiLi0EEESS_SS_SS_EEEST_NS_12StaticBufferILNS_16AddressSpaceEnumE4ES1_Li256ELb1EEENSU_ILSV_4ES2_Li256ELb1EEEEEvRSK_RKT_RKT1_SY_RKT0_RT2_@rel32@hi+12
	s_waitcnt vmcnt(0) lgkmcnt(0)
	v_sub_u32_e32 v4, v12, v15
	v_add3_u32 v1, v4, v1, 32
	v_ashrrev_i32_e32 v4, 31, v1
	v_lshrrev_b32_e32 v4, 29, v4
	v_add_u32_e32 v4, v1, v4
	v_and_b32_e32 v4, -8, v4
	v_sub_u32_e32 v5, v13, v14
	v_sub_u32_e32 v6, v1, v10
	v_sub_u32_e32 v1, v1, v4
	v_xor_b32_e32 v4, v1, v5
	v_lshl_add_u32 v8, v6, 7, v8
	v_sub_u32_e32 v4, v4, v9
	v_lshl_add_u32 v4, v4, 4, v8
	v_ashrrev_i32_e32 v5, 31, v4
	v_add_co_u32_e32 v4, vcc, v16, v4
	v_addc_co_u32_e32 v5, vcc, v17, v5, vcc
	flat_load_dwordx4 v[4:7], v[4:5]
	v_add_u32_e32 v3, 16, v3
	v_ashrrev_i32_e32 v10, 31, v3
	v_lshrrev_b32_e32 v10, 28, v10
	v_add_u32_e32 v0, v14, v0
	v_add_u32_e32 v10, v3, v10
	v_sub_u32_e32 v0, v13, v0
	v_lshrrev_b32_e32 v11, 4, v10
	v_add_u32_e32 v0, v0, v11
	v_xor_b32_e32 v0, v0, v1
	v_and_b32_e32 v10, -16, v10
	v_sub_u32_e32 v0, v0, v9
	v_sub_u32_e32 v2, v8, v2
	;; [unrolled: 1-line block ×3, first 2 shown]
	v_lshlrev_b32_e32 v0, 4, v0
	v_add3_u32 v0, v2, v3, v0
	v_ashrrev_i32_e32 v1, 31, v0
	v_add_co_u32_e32 v0, vcc, v16, v0
	v_addc_co_u32_e32 v1, vcc, v17, v1, vcc
	s_waitcnt vmcnt(0) lgkmcnt(0)
	buffer_store_dword v4, off, s[0:3], s33 offset:84
	buffer_store_dword v5, off, s[0:3], s33 offset:88
	;; [unrolled: 1-line block ×4, first 2 shown]
	flat_load_dwordx4 v[0:3], v[0:1]
	s_waitcnt vmcnt(0) lgkmcnt(0)
	buffer_store_dword v0, off, s[0:3], s33 offset:100
	buffer_store_dword v1, off, s[0:3], s33 offset:104
	;; [unrolled: 1-line block ×4, first 2 shown]
	v_mov_b32_e32 v0, s23
	v_mov_b32_e32 v1, s25
	;; [unrolled: 1-line block ×4, first 2 shown]
	s_swappc_b64 s[30:31], s[20:21]
	; sched_group_barrier mask(0x00000008) size(4) SyncID(0)
	; sched_group_barrier mask(0x00000020) size(1) SyncID(0)
	;; [unrolled: 1-line block ×20, first 2 shown]
	; sched_barrier mask(0x00000000)
	flat_load_ubyte v4, v[52:53] offset:288
	flat_load_ubyte v8, v[52:53] offset:304
	flat_load_dwordx4 v[0:3], v[52:53]
	flat_load_ubyte v12, v[52:53] offset:320
	s_getpc_b64 s[4:5]
	s_add_u32 s4, s4, _ZNK2ck6detail7applierIiJLi0ELi1ELi2ELi3ELi4ELi5ELi6ELi7EEEclIZNKS_11static_fordINS_8SequenceIJLi1ELi8EEEENS5_IJLi0ELi1EEEEEclIZZZNKS_52BlockwiseGemmXdlops_pipeline_bpreshuffle_bdequant_v3ILNS_26BlockGemmPipelineSchedulerE0ELi256ENS_9f8_fnuz_tENS_7pk_i4_tESC_fNS_16TensorDescriptorINS_5TupleIJNS_5EmbedINSF_IJNS_17integral_constantIiLi8EEENSH_IiLi256EEENSH_IiLi16EEEEEENSF_IJSK_NSH_IiLi128EEENSH_IiLi1EEEEEELb0EEENS_3XorINSF_IJSJ_SI_EEELb1EEENS_11PassThroughISK_EENS_7UnMergeINSF_IJSI_SN_EEELb0EEENST_ISJ_EESU_NST_ISI_EENS_21Merge_v3_division_modINSF_IJSJ_SN_EEEEESU_EEENSF_IJNS5_IJLi0EEEENS5_IJLi2ELi1EEEENS5_IJLi3EEEENS5_IJLi5EEEENS5_IJLi4EEEENS5_IJLi6EEEENS5_IJLi7EEEENS5_IJLi9ELi8EEEENS5_IJLi10EEEEEEENSF_IJNS5_IJLi1ELi2ELi3EEEENS5_IJLi4ELi5EEEES19_NS5_IJLi7ELi8EEEENS5_IJLi9EEEES1C_NS5_IJLi11EEEENS5_IJLi12EEEENS5_IJLi13EEEEEEENS5_IJLi11ELi12ELi13EEEENSH_IlLl32768EEEEENSE_INSF_IJNSV_INSF_IJSI_SN_SN_NSH_IiLi32EEEEEELb0EEEEEENSF_IJS14_EEENSF_IJNS5_IJLi1ELi2ELi3ELi4EEEEEEES1U_NSH_IlLl256EEEEENSE_INSF_IJSP_SS_SU_SX_SY_SU_SZ_S12_SU_NS10_INSF_IJSI_SK_EEEEENSV_INSF_IJSI_NSH_IiLi2EEESK_EEELb0EEEEEENSF_IJS14_S15_S16_S17_S18_S19_S1A_S1B_S1C_NS5_IJLi11ELi13EEEES1J_EEENSF_IJS1E_S1F_S19_S1G_S1H_S1C_S1I_S1J_S1K_NS5_IJLi14EEEENS5_IJLi15ELi16ELi17EEEEEEENS5_IJLi15ELi16ELi17ELi14EEEES1N_EENSE_INSF_IJS1R_NS10_ISW_EES22_EEENSF_IJS14_NS5_IJLi1ELi3EEEENS5_IJLi2EEEEEEENSF_IJS1U_S17_NS5_IJLi6ELi7ELi8EEEEEEENS5_IJLi6ELi7ELi8ELi5EEEES1W_EELi16ELi32ELi256ELi256ELi128ELi16ELi16ELi8ELi8ELi32ELb0EE3RunILb1ELNS_10TailNumberE0ENSE_INSF_IJNSG_INSF_IJiiEEENSF_IJiSN_EEELb0EEENSV_IS2N_Lb0EEENST_IiEEEEENSF_IJS14_S2E_NS5_IJLi1EEEEEEENSF_IJNS5_IJLi1ELi2EEEENS5_IJLi3ELi4EEEES17_EEENS5_IJLi3ELi5ELi4EEEElEES1O_NS_35ThreadGroupTensorSliceTransfer_v4r1INS_15ThisThreadBlockILi256EEENS_16tensor_operation12element_wise11PassThroughES35_LNS_25InMemoryDataOperationEnumE0ENS5_IJLi8ELi256ELi16EEEENS5_IJLi8ELi32ELi1EEEENS5_IJLi1ELi0ELi2EEEESC_SC_RKS2Z_KS1O_S39_NS5_IJLi0ELi1ELi2EEEELi2ELi2ELi16ELi16ELi1ELi1ELb0ELb1ELi2EiEENS_13DynamicBufferILNS_16AddressSpaceEnumE1EKSC_lLb1ELNS_22AmdBufferCoherenceEnumE0EiEENSF_IJNS3F_ILS3G_2ESC_S1N_Lb1ELS3I_0EiEES3K_EEENSF_IJiiiEEENSE_INSF_IJNSG_INSF_IJiiiiEEENSF_IJiiiSN_EEELb0EEEEEES1T_S1V_S1U_lEENS_32ThreadwiseTensorSliceTransfer_v2ISD_SD_RKS3R_KS1X_NS5_IJLi8ELi1ELi1ELi32EEEENS5_IJLi1ELi2ELi0ELi3EEEELi3ELi32ELi0ELb1ELb0ELb0EEENS3F_ILS3G_1EKSD_lLb1ELS3I_0EiEENSF_IJNS_12StaticBufferILS3G_4ESD_Li256ELb1EEES42_EEES3N_NS_25StaticBufferTupleOfVectorILS3G_4EfLi64ELi4ELb1ELb0EEEEEvRKT1_RKT2_RT3_RKT4_RT5_RKT6_RKT7_RT8_RKT9_RT10_RKT11_RT12_iENKUlT_T0_E_clINSH_IiLi0EEESN_EEDaS51_S52_ENKUlS51_E_clISN_EEDaS51_EUlS51_E_EEvS51_EUlS51_E_EEvS51_@rel32@lo+4
	s_addc_u32 s5, s5, _ZNK2ck6detail7applierIiJLi0ELi1ELi2ELi3ELi4ELi5ELi6ELi7EEEclIZNKS_11static_fordINS_8SequenceIJLi1ELi8EEEENS5_IJLi0ELi1EEEEEclIZZZNKS_52BlockwiseGemmXdlops_pipeline_bpreshuffle_bdequant_v3ILNS_26BlockGemmPipelineSchedulerE0ELi256ENS_9f8_fnuz_tENS_7pk_i4_tESC_fNS_16TensorDescriptorINS_5TupleIJNS_5EmbedINSF_IJNS_17integral_constantIiLi8EEENSH_IiLi256EEENSH_IiLi16EEEEEENSF_IJSK_NSH_IiLi128EEENSH_IiLi1EEEEEELb0EEENS_3XorINSF_IJSJ_SI_EEELb1EEENS_11PassThroughISK_EENS_7UnMergeINSF_IJSI_SN_EEELb0EEENST_ISJ_EESU_NST_ISI_EENS_21Merge_v3_division_modINSF_IJSJ_SN_EEEEESU_EEENSF_IJNS5_IJLi0EEEENS5_IJLi2ELi1EEEENS5_IJLi3EEEENS5_IJLi5EEEENS5_IJLi4EEEENS5_IJLi6EEEENS5_IJLi7EEEENS5_IJLi9ELi8EEEENS5_IJLi10EEEEEEENSF_IJNS5_IJLi1ELi2ELi3EEEENS5_IJLi4ELi5EEEES19_NS5_IJLi7ELi8EEEENS5_IJLi9EEEES1C_NS5_IJLi11EEEENS5_IJLi12EEEENS5_IJLi13EEEEEEENS5_IJLi11ELi12ELi13EEEENSH_IlLl32768EEEEENSE_INSF_IJNSV_INSF_IJSI_SN_SN_NSH_IiLi32EEEEEELb0EEEEEENSF_IJS14_EEENSF_IJNS5_IJLi1ELi2ELi3ELi4EEEEEEES1U_NSH_IlLl256EEEEENSE_INSF_IJSP_SS_SU_SX_SY_SU_SZ_S12_SU_NS10_INSF_IJSI_SK_EEEEENSV_INSF_IJSI_NSH_IiLi2EEESK_EEELb0EEEEEENSF_IJS14_S15_S16_S17_S18_S19_S1A_S1B_S1C_NS5_IJLi11ELi13EEEES1J_EEENSF_IJS1E_S1F_S19_S1G_S1H_S1C_S1I_S1J_S1K_NS5_IJLi14EEEENS5_IJLi15ELi16ELi17EEEEEEENS5_IJLi15ELi16ELi17ELi14EEEES1N_EENSE_INSF_IJS1R_NS10_ISW_EES22_EEENSF_IJS14_NS5_IJLi1ELi3EEEENS5_IJLi2EEEEEEENSF_IJS1U_S17_NS5_IJLi6ELi7ELi8EEEEEEENS5_IJLi6ELi7ELi8ELi5EEEES1W_EELi16ELi32ELi256ELi256ELi128ELi16ELi16ELi8ELi8ELi32ELb0EE3RunILb1ELNS_10TailNumberE0ENSE_INSF_IJNSG_INSF_IJiiEEENSF_IJiSN_EEELb0EEENSV_IS2N_Lb0EEENST_IiEEEEENSF_IJS14_S2E_NS5_IJLi1EEEEEEENSF_IJNS5_IJLi1ELi2EEEENS5_IJLi3ELi4EEEES17_EEENS5_IJLi3ELi5ELi4EEEElEES1O_NS_35ThreadGroupTensorSliceTransfer_v4r1INS_15ThisThreadBlockILi256EEENS_16tensor_operation12element_wise11PassThroughES35_LNS_25InMemoryDataOperationEnumE0ENS5_IJLi8ELi256ELi16EEEENS5_IJLi8ELi32ELi1EEEENS5_IJLi1ELi0ELi2EEEESC_SC_RKS2Z_KS1O_S39_NS5_IJLi0ELi1ELi2EEEELi2ELi2ELi16ELi16ELi1ELi1ELb0ELb1ELi2EiEENS_13DynamicBufferILNS_16AddressSpaceEnumE1EKSC_lLb1ELNS_22AmdBufferCoherenceEnumE0EiEENSF_IJNS3F_ILS3G_2ESC_S1N_Lb1ELS3I_0EiEES3K_EEENSF_IJiiiEEENSE_INSF_IJNSG_INSF_IJiiiiEEENSF_IJiiiSN_EEELb0EEEEEES1T_S1V_S1U_lEENS_32ThreadwiseTensorSliceTransfer_v2ISD_SD_RKS3R_KS1X_NS5_IJLi8ELi1ELi1ELi32EEEENS5_IJLi1ELi2ELi0ELi3EEEELi3ELi32ELi0ELb1ELb0ELb0EEENS3F_ILS3G_1EKSD_lLb1ELS3I_0EiEENSF_IJNS_12StaticBufferILS3G_4ESD_Li256ELb1EEES42_EEES3N_NS_25StaticBufferTupleOfVectorILS3G_4EfLi64ELi4ELb1ELb0EEEEEvRKT1_RKT2_RT3_RKT4_RT5_RKT6_RKT7_RT8_RKT9_RT10_RKT11_RT12_iENKUlT_T0_E_clINSH_IiLi0EEESN_EEDaS51_S52_ENKUlS51_E_clISN_EEDaS51_EUlS51_E_EEvS51_EUlS51_E_EEvS51_@rel32@hi+12
	s_waitcnt vmcnt(0) lgkmcnt(0)
	v_and_b32_e32 v4, 1, v4
	v_cmp_eq_u32_e32 vcc, 1, v4
	flat_load_dwordx4 v[4:7], v[52:53] offset:16
	v_and_b32_e32 v8, 1, v8
	v_cndmask_b32_e32 v3, 0, v3, vcc
	v_cndmask_b32_e32 v2, 0, v2, vcc
	;; [unrolled: 1-line block ×4, first 2 shown]
	v_cmp_eq_u32_e32 vcc, 1, v8
	flat_load_dwordx4 v[8:11], v[52:53] offset:32
	v_and_b32_e32 v12, 1, v12
	flat_store_dwordx4 v[52:53], v[0:3]
	flat_store_dwordx4 v[52:53], v[0:3] offset:560
	s_waitcnt vmcnt(0) lgkmcnt(0)
	v_cndmask_b32_e32 v7, 0, v7, vcc
	v_cndmask_b32_e32 v6, 0, v6, vcc
	;; [unrolled: 1-line block ×4, first 2 shown]
	v_cmp_eq_u32_e32 vcc, 1, v12
	flat_load_dwordx4 v[12:15], v[52:53] offset:48
	v_cndmask_b32_e32 v11, 0, v11, vcc
	v_cndmask_b32_e32 v10, 0, v10, vcc
	;; [unrolled: 1-line block ×4, first 2 shown]
	flat_store_dwordx4 v[52:53], v[8:11] offset:32
	flat_load_ubyte v11, v[52:53] offset:336
	s_waitcnt vmcnt(0) lgkmcnt(0)
	v_and_b32_e32 v11, 1, v11
	v_cmp_eq_u32_e32 vcc, 1, v11
	flat_load_ubyte v11, v[52:53] offset:352
	v_cndmask_b32_e32 v15, 0, v15, vcc
	v_cndmask_b32_e32 v14, 0, v14, vcc
	;; [unrolled: 1-line block ×4, first 2 shown]
	flat_store_dwordx4 v[52:53], v[12:15] offset:48
	flat_load_dwordx4 v[12:15], v[52:53] offset:64
	s_waitcnt vmcnt(0) lgkmcnt(0)
	v_and_b32_e32 v11, 1, v11
	v_cmp_eq_u32_e32 vcc, 1, v11
	flat_load_ubyte v11, v[52:53] offset:368
	v_cndmask_b32_e32 v15, 0, v15, vcc
	v_cndmask_b32_e32 v14, 0, v14, vcc
	;; [unrolled: 1-line block ×4, first 2 shown]
	flat_store_dwordx4 v[52:53], v[12:15] offset:64
	flat_load_dwordx4 v[12:15], v[52:53] offset:80
	s_waitcnt vmcnt(0) lgkmcnt(0)
	v_and_b32_e32 v11, 1, v11
	v_cmp_eq_u32_e32 vcc, 1, v11
	flat_load_ubyte v11, v[52:53] offset:384
	v_cndmask_b32_e32 v15, 0, v15, vcc
	v_cndmask_b32_e32 v14, 0, v14, vcc
	;; [unrolled: 1-line block ×4, first 2 shown]
	flat_store_dwordx4 v[52:53], v[4:7] offset:16
	flat_store_dwordx4 v[52:53], v[12:15] offset:80
	flat_load_dwordx4 v[12:15], v[52:53] offset:96
	v_perm_b32 v7, v7, v7, s38
	v_perm_b32 v6, v6, v6, s39
	;; [unrolled: 1-line block ×3, first 2 shown]
	flat_store_dwordx4 v[52:53], v[4:7] offset:576
	flat_load_dwordx4 v[4:7], v[52:53] offset:43
	s_waitcnt vmcnt(0) lgkmcnt(0)
	v_and_b32_e32 v11, 1, v11
	v_cmp_eq_u32_e32 vcc, 1, v11
	flat_load_ubyte v11, v[52:53] offset:400
	v_cndmask_b32_e32 v15, 0, v15, vcc
	v_cndmask_b32_e32 v14, 0, v14, vcc
	;; [unrolled: 1-line block ×4, first 2 shown]
	flat_store_dwordx4 v[52:53], v[12:15] offset:96
	flat_load_dwordx4 v[12:15], v[52:53] offset:112
	v_perm_b32 v10, v10, v4, s41
	s_waitcnt vmcnt(0) lgkmcnt(0)
	v_and_b32_e32 v11, 1, v11
	v_cmp_eq_u32_e32 vcc, 1, v11
	v_perm_b32 v11, v4, v5, s40
	flat_store_dwordx4 v[52:53], v[8:11] offset:592
	flat_load_dwordx4 v[8:11], v[52:53] offset:59
	v_cndmask_b32_e32 v15, 0, v15, vcc
	v_cndmask_b32_e32 v14, 0, v14, vcc
	;; [unrolled: 1-line block ×4, first 2 shown]
	flat_store_dwordx4 v[52:53], v[12:15] offset:112
	s_nop 0
	v_perm_b32 v13, v6, v7, s40
	v_perm_b32 v12, v5, v6, s40
	s_waitcnt vmcnt(0) lgkmcnt(0)
	v_perm_b32 v14, v7, v8, s40
	flat_load_dwordx4 v[4:7], v[52:53] offset:75
	v_perm_b32 v15, v8, v9, s40
	flat_store_dwordx4 v[52:53], v[12:15] offset:608
	s_nop 0
	v_perm_b32 v13, v10, v11, s40
	v_perm_b32 v12, v9, v10, s40
	s_waitcnt vmcnt(0) lgkmcnt(0)
	v_perm_b32 v14, v11, v4, s40
	flat_load_dwordx4 v[8:11], v[52:53] offset:91
	v_perm_b32 v15, v4, v5, s40
	;; [unrolled: 8-line block ×3, first 2 shown]
	flat_store_dwordx4 v[52:53], v[12:15] offset:640
	flat_load_sbyte v8, v[52:53] offset:127
	v_perm_b32 v13, v10, v11, s40
	v_perm_b32 v12, v9, v10, s40
	s_waitcnt vmcnt(0) lgkmcnt(0)
	v_perm_b32 v15, v4, v5, s40
	v_perm_b32 v14, v11, v4, s40
	flat_load_dword v4, v[52:53] offset:123
	s_waitcnt vmcnt(0) lgkmcnt(0)
	v_perm_b32 v9, v4, v8, s40
	v_perm_b32 v8, v7, v4, s40
	;; [unrolled: 1-line block ×4, first 2 shown]
	flat_store_dwordx4 v[52:53], v[12:15] offset:656
	flat_store_dwordx4 v[52:53], v[6:9] offset:672
	flat_load_dword v6, v[52:53] offset:728
	s_waitcnt vmcnt(0) lgkmcnt(0)
	v_ashrrev_i32_e32 v7, 31, v6
	flat_load_dwordx2 v[4:5], v[28:29] offset:16
	s_waitcnt vmcnt(0) lgkmcnt(0)
	v_add_co_u32_e32 v4, vcc, v4, v6
	v_addc_co_u32_e32 v5, vcc, v5, v7, vcc
	flat_store_dwordx4 v[4:5], v[0:3]
	flat_load_dword v0, v[52:53] offset:776
	s_waitcnt vmcnt(0) lgkmcnt(0)
	v_add_u32_e32 v67, 1, v0
	flat_load_dwordx2 v[0:1], v[52:53] offset:760
	flat_load_dwordx2 v[2:3], v[52:53] offset:744
	s_waitcnt vmcnt(0) lgkmcnt(0)
	v_sub_u32_e32 v1, v67, v1
	v_add_u32_e32 v6, v2, v1
	v_sub_u32_e32 v7, v3, v0
	flat_load_dwordx3 v[2:4], v[52:53] offset:728
	v_ashrrev_i32_e32 v0, 31, v6
	v_lshrrev_b32_e32 v0, 29, v0
	v_add_u32_e32 v0, v6, v0
	v_and_b32_e32 v0, -8, v0
	v_sub_u32_e32 v0, v6, v0
	v_xor_b32_e32 v1, v7, v0
	flat_store_dword v[52:53], v67 offset:776
	flat_store_dwordx2 v[52:53], v[66:67] offset:760
	flat_store_dwordx2 v[52:53], v[6:7] offset:744
	s_waitcnt vmcnt(0) lgkmcnt(0)
	v_sub_u32_e32 v0, v1, v3
	v_sub_u32_e32 v3, v6, v4
	v_lshlrev_b32_e32 v0, 4, v0
	v_lshlrev_b32_e32 v3, 7, v3
	v_add3_u32 v0, v3, v0, v2
	v_mov_b32_e32 v2, v6
	flat_store_dwordx3 v[52:53], v[0:2] offset:728
	flat_load_dwordx2 v[2:3], v[28:29] offset:16
	v_ashrrev_i32_e32 v1, 31, v0
	s_waitcnt vmcnt(0) lgkmcnt(0)
	v_add_co_u32_e32 v4, vcc, v2, v0
	v_addc_co_u32_e32 v5, vcc, v3, v1, vcc
	flat_load_dwordx4 v[0:3], v[52:53] offset:576
	s_waitcnt vmcnt(0) lgkmcnt(0)
	flat_store_dwordx4 v[4:5], v[0:3]
	flat_load_dword v0, v[52:53] offset:776
	s_nop 0
	flat_load_dwordx2 v[2:3], v[52:53] offset:744
	s_waitcnt vmcnt(0) lgkmcnt(0)
	v_add_u32_e32 v67, 1, v0
	flat_load_dwordx2 v[0:1], v[52:53] offset:760
	s_waitcnt vmcnt(0) lgkmcnt(0)
	v_sub_u32_e32 v1, v67, v1
	v_add_u32_e32 v6, v2, v1
	v_sub_u32_e32 v7, v3, v0
	flat_load_dwordx3 v[2:4], v[52:53] offset:728
	v_ashrrev_i32_e32 v0, 31, v6
	v_lshrrev_b32_e32 v0, 29, v0
	v_add_u32_e32 v0, v6, v0
	v_and_b32_e32 v0, -8, v0
	v_sub_u32_e32 v0, v6, v0
	v_xor_b32_e32 v1, v7, v0
	flat_store_dword v[52:53], v67 offset:776
	flat_store_dwordx2 v[52:53], v[66:67] offset:760
	flat_store_dwordx2 v[52:53], v[6:7] offset:744
	s_waitcnt vmcnt(0) lgkmcnt(0)
	v_sub_u32_e32 v0, v1, v3
	v_sub_u32_e32 v3, v6, v4
	v_lshlrev_b32_e32 v0, 4, v0
	v_lshlrev_b32_e32 v3, 7, v3
	v_add3_u32 v0, v3, v0, v2
	v_mov_b32_e32 v2, v6
	flat_store_dwordx3 v[52:53], v[0:2] offset:728
	flat_load_dwordx2 v[2:3], v[28:29] offset:16
	v_ashrrev_i32_e32 v1, 31, v0
	s_waitcnt vmcnt(0) lgkmcnt(0)
	v_add_co_u32_e32 v4, vcc, v2, v0
	v_addc_co_u32_e32 v5, vcc, v3, v1, vcc
	flat_load_dwordx4 v[0:3], v[52:53] offset:592
	s_waitcnt vmcnt(0) lgkmcnt(0)
	flat_store_dwordx4 v[4:5], v[0:3]
	flat_load_dword v0, v[52:53] offset:776
	s_nop 0
	flat_load_dwordx2 v[2:3], v[52:53] offset:744
	s_waitcnt vmcnt(0) lgkmcnt(0)
	v_add_u32_e32 v67, 1, v0
	flat_load_dwordx2 v[0:1], v[52:53] offset:760
	s_waitcnt vmcnt(0) lgkmcnt(0)
	v_sub_u32_e32 v1, v67, v1
	v_add_u32_e32 v6, v2, v1
	v_sub_u32_e32 v7, v3, v0
	flat_load_dwordx3 v[2:4], v[52:53] offset:728
	v_ashrrev_i32_e32 v0, 31, v6
	v_lshrrev_b32_e32 v0, 29, v0
	v_add_u32_e32 v0, v6, v0
	v_and_b32_e32 v0, -8, v0
	v_sub_u32_e32 v0, v6, v0
	v_xor_b32_e32 v1, v7, v0
	flat_store_dword v[52:53], v67 offset:776
	flat_store_dwordx2 v[52:53], v[66:67] offset:760
	flat_store_dwordx2 v[52:53], v[6:7] offset:744
	s_waitcnt vmcnt(0) lgkmcnt(0)
	v_sub_u32_e32 v0, v1, v3
	v_sub_u32_e32 v3, v6, v4
	v_lshlrev_b32_e32 v0, 4, v0
	v_lshlrev_b32_e32 v3, 7, v3
	v_add3_u32 v0, v3, v0, v2
	v_mov_b32_e32 v2, v6
	flat_store_dwordx3 v[52:53], v[0:2] offset:728
	flat_load_dwordx2 v[2:3], v[28:29] offset:16
	v_ashrrev_i32_e32 v1, 31, v0
	s_waitcnt vmcnt(0) lgkmcnt(0)
	v_add_co_u32_e32 v4, vcc, v2, v0
	v_addc_co_u32_e32 v5, vcc, v3, v1, vcc
	flat_load_dwordx4 v[0:3], v[52:53] offset:608
	s_waitcnt vmcnt(0) lgkmcnt(0)
	flat_store_dwordx4 v[4:5], v[0:3]
	flat_load_dword v0, v[52:53] offset:776
	s_nop 0
	flat_load_dwordx2 v[2:3], v[52:53] offset:744
	s_waitcnt vmcnt(0) lgkmcnt(0)
	v_add_u32_e32 v67, 1, v0
	flat_load_dwordx2 v[0:1], v[52:53] offset:760
	s_waitcnt vmcnt(0) lgkmcnt(0)
	v_sub_u32_e32 v1, v67, v1
	v_add_u32_e32 v6, v2, v1
	v_sub_u32_e32 v7, v3, v0
	flat_load_dwordx3 v[2:4], v[52:53] offset:728
	v_ashrrev_i32_e32 v0, 31, v6
	v_lshrrev_b32_e32 v0, 29, v0
	v_add_u32_e32 v0, v6, v0
	v_and_b32_e32 v0, -8, v0
	v_sub_u32_e32 v0, v6, v0
	v_xor_b32_e32 v1, v7, v0
	flat_store_dword v[52:53], v67 offset:776
	flat_store_dwordx2 v[52:53], v[66:67] offset:760
	flat_store_dwordx2 v[52:53], v[6:7] offset:744
	s_waitcnt vmcnt(0) lgkmcnt(0)
	v_sub_u32_e32 v0, v1, v3
	v_sub_u32_e32 v3, v6, v4
	v_lshlrev_b32_e32 v0, 4, v0
	v_lshlrev_b32_e32 v3, 7, v3
	v_add3_u32 v0, v3, v0, v2
	v_mov_b32_e32 v2, v6
	flat_store_dwordx3 v[52:53], v[0:2] offset:728
	flat_load_dwordx2 v[2:3], v[28:29] offset:16
	v_ashrrev_i32_e32 v1, 31, v0
	s_waitcnt vmcnt(0) lgkmcnt(0)
	v_add_co_u32_e32 v4, vcc, v2, v0
	v_addc_co_u32_e32 v5, vcc, v3, v1, vcc
	flat_load_dwordx4 v[0:3], v[52:53] offset:624
	s_waitcnt vmcnt(0) lgkmcnt(0)
	flat_store_dwordx4 v[4:5], v[0:3]
	flat_load_dword v0, v[52:53] offset:776
	s_nop 0
	flat_load_dwordx2 v[2:3], v[52:53] offset:744
	s_waitcnt vmcnt(0) lgkmcnt(0)
	v_add_u32_e32 v67, 1, v0
	flat_load_dwordx2 v[0:1], v[52:53] offset:760
	s_waitcnt vmcnt(0) lgkmcnt(0)
	v_sub_u32_e32 v1, v67, v1
	v_add_u32_e32 v6, v2, v1
	v_sub_u32_e32 v7, v3, v0
	flat_load_dwordx3 v[2:4], v[52:53] offset:728
	v_ashrrev_i32_e32 v0, 31, v6
	v_lshrrev_b32_e32 v0, 29, v0
	v_add_u32_e32 v0, v6, v0
	v_and_b32_e32 v0, -8, v0
	v_sub_u32_e32 v0, v6, v0
	v_xor_b32_e32 v1, v7, v0
	flat_store_dword v[52:53], v67 offset:776
	flat_store_dwordx2 v[52:53], v[66:67] offset:760
	flat_store_dwordx2 v[52:53], v[6:7] offset:744
	s_waitcnt vmcnt(0) lgkmcnt(0)
	v_sub_u32_e32 v0, v1, v3
	v_sub_u32_e32 v3, v6, v4
	v_lshlrev_b32_e32 v0, 4, v0
	v_lshlrev_b32_e32 v3, 7, v3
	v_add3_u32 v0, v3, v0, v2
	v_mov_b32_e32 v2, v6
	flat_store_dwordx3 v[52:53], v[0:2] offset:728
	flat_load_dwordx2 v[2:3], v[28:29] offset:16
	v_ashrrev_i32_e32 v1, 31, v0
	s_waitcnt vmcnt(0) lgkmcnt(0)
	v_add_co_u32_e32 v4, vcc, v2, v0
	v_addc_co_u32_e32 v5, vcc, v3, v1, vcc
	flat_load_dwordx4 v[0:3], v[52:53] offset:640
	s_waitcnt vmcnt(0) lgkmcnt(0)
	flat_store_dwordx4 v[4:5], v[0:3]
	flat_load_dword v0, v[52:53] offset:776
	s_nop 0
	flat_load_dwordx2 v[2:3], v[52:53] offset:744
	s_waitcnt vmcnt(0) lgkmcnt(0)
	v_add_u32_e32 v67, 1, v0
	flat_load_dwordx2 v[0:1], v[52:53] offset:760
	s_waitcnt vmcnt(0) lgkmcnt(0)
	v_sub_u32_e32 v1, v67, v1
	v_add_u32_e32 v6, v2, v1
	v_sub_u32_e32 v7, v3, v0
	flat_load_dwordx3 v[2:4], v[52:53] offset:728
	v_ashrrev_i32_e32 v0, 31, v6
	v_lshrrev_b32_e32 v0, 29, v0
	v_add_u32_e32 v0, v6, v0
	v_and_b32_e32 v0, -8, v0
	v_sub_u32_e32 v0, v6, v0
	v_xor_b32_e32 v1, v7, v0
	flat_store_dword v[52:53], v67 offset:776
	flat_store_dwordx2 v[52:53], v[66:67] offset:760
	flat_store_dwordx2 v[52:53], v[6:7] offset:744
	s_waitcnt vmcnt(0) lgkmcnt(0)
	v_sub_u32_e32 v0, v1, v3
	v_sub_u32_e32 v3, v6, v4
	v_lshlrev_b32_e32 v0, 4, v0
	v_lshlrev_b32_e32 v3, 7, v3
	v_add3_u32 v0, v3, v0, v2
	v_mov_b32_e32 v2, v6
	flat_store_dwordx3 v[52:53], v[0:2] offset:728
	flat_load_dwordx2 v[2:3], v[28:29] offset:16
	v_ashrrev_i32_e32 v1, 31, v0
	s_waitcnt vmcnt(0) lgkmcnt(0)
	v_add_co_u32_e32 v4, vcc, v2, v0
	v_addc_co_u32_e32 v5, vcc, v3, v1, vcc
	flat_load_dwordx4 v[0:3], v[52:53] offset:656
	s_waitcnt vmcnt(0) lgkmcnt(0)
	flat_store_dwordx4 v[4:5], v[0:3]
	flat_load_dword v0, v[52:53] offset:776
	s_nop 0
	flat_load_dwordx2 v[2:3], v[52:53] offset:744
	s_waitcnt vmcnt(0) lgkmcnt(0)
	v_add_u32_e32 v67, 1, v0
	flat_load_dwordx2 v[0:1], v[52:53] offset:760
	s_waitcnt vmcnt(0) lgkmcnt(0)
	v_sub_u32_e32 v1, v67, v1
	v_add_u32_e32 v6, v2, v1
	v_sub_u32_e32 v7, v3, v0
	flat_load_dwordx3 v[2:4], v[52:53] offset:728
	v_ashrrev_i32_e32 v0, 31, v6
	v_lshrrev_b32_e32 v0, 29, v0
	v_add_u32_e32 v0, v6, v0
	v_and_b32_e32 v0, -8, v0
	v_sub_u32_e32 v0, v6, v0
	v_xor_b32_e32 v1, v7, v0
	flat_store_dword v[52:53], v67 offset:776
	flat_store_dwordx2 v[52:53], v[66:67] offset:760
	flat_store_dwordx2 v[52:53], v[6:7] offset:744
	s_waitcnt vmcnt(0) lgkmcnt(0)
	v_sub_u32_e32 v0, v1, v3
	v_sub_u32_e32 v3, v6, v4
	v_lshlrev_b32_e32 v0, 4, v0
	v_lshlrev_b32_e32 v3, 7, v3
	v_add3_u32 v0, v3, v0, v2
	v_mov_b32_e32 v2, v6
	flat_store_dwordx3 v[52:53], v[0:2] offset:728
	flat_load_dwordx2 v[2:3], v[28:29] offset:16
	v_ashrrev_i32_e32 v1, 31, v0
	s_waitcnt vmcnt(0) lgkmcnt(0)
	v_add_co_u32_e32 v4, vcc, v2, v0
	v_addc_co_u32_e32 v5, vcc, v3, v1, vcc
	flat_load_dwordx4 v[0:3], v[52:53] offset:672
	s_waitcnt vmcnt(0) lgkmcnt(0)
	flat_store_dwordx4 v[4:5], v[0:3]
	flat_load_dword v0, v[52:53] offset:776
	s_nop 0
	flat_load_dwordx2 v[2:3], v[52:53] offset:744
	s_waitcnt vmcnt(0) lgkmcnt(0)
	v_add_u32_e32 v67, -7, v0
	flat_load_dwordx2 v[0:1], v[52:53] offset:760
	s_waitcnt vmcnt(0) lgkmcnt(0)
	v_sub_u32_e32 v1, v67, v1
	v_add_u32_e32 v4, v2, v1
	v_sub_u32_e32 v5, v3, v0
	flat_load_dwordx3 v[0:2], v[52:53] offset:728
	v_ashrrev_i32_e32 v3, 31, v4
	v_lshrrev_b32_e32 v3, 29, v3
	v_add_u32_e32 v3, v4, v3
	v_and_b32_e32 v3, -8, v3
	v_sub_u32_e32 v3, v4, v3
	v_xor_b32_e32 v3, v5, v3
	flat_store_dword v[52:53], v67 offset:776
	flat_store_dwordx2 v[52:53], v[66:67] offset:760
	flat_store_dwordx2 v[52:53], v[4:5] offset:744
	buffer_store_dword v65, off, s[0:3], s33 offset:12
	buffer_store_dword v70, off, s[0:3], s33 offset:8
	;; [unrolled: 1-line block ×10, first 2 shown]
	s_waitcnt vmcnt(0) lgkmcnt(0)
	v_sub_u32_e32 v2, v4, v2
	v_sub_u32_e32 v1, v3, v1
	v_lshlrev_b32_e32 v1, 4, v1
	v_lshlrev_b32_e32 v2, 7, v2
	v_add3_u32 v2, v2, v1, v0
	v_mov_b32_e32 v0, s29
	v_mov_b32_e32 v1, s34
	flat_store_dwordx3 v[52:53], v[2:4] offset:728
	s_swappc_b64 s[30:31], s[4:5]
	flat_load_dwordx2 v[12:13], v[30:31] offset:1148
	flat_load_dwordx2 v[14:15], v[30:31] offset:1164
	flat_load_dwordx4 v[0:3], v[30:31] offset:1176
	flat_load_dwordx3 v[8:10], v[30:31] offset:1132
	flat_load_dwordx2 v[16:17], v[28:29]
	s_waitcnt vmcnt(0) lgkmcnt(0)
	v_sub_u32_e32 v4, v12, v15
	v_add3_u32 v1, v4, v1, 64
	v_ashrrev_i32_e32 v4, 31, v1
	v_lshrrev_b32_e32 v4, 29, v4
	v_add_u32_e32 v4, v1, v4
	v_and_b32_e32 v4, -8, v4
	v_sub_u32_e32 v5, v13, v14
	v_sub_u32_e32 v6, v1, v10
	;; [unrolled: 1-line block ×3, first 2 shown]
	v_xor_b32_e32 v4, v1, v5
	v_sub_u32_e32 v4, v4, v9
	v_lshlrev_b32_e32 v10, 7, v6
	v_lshlrev_b32_e32 v4, 4, v4
	v_add3_u32 v4, v10, v8, v4
	v_ashrrev_i32_e32 v5, 31, v4
	v_add_co_u32_e32 v4, vcc, v16, v4
	v_addc_co_u32_e32 v5, vcc, v17, v5, vcc
	flat_load_dwordx4 v[4:7], v[4:5]
	v_add_u32_e32 v3, 16, v3
	v_sub_u32_e32 v2, v8, v2
	v_ashrrev_i32_e32 v8, 31, v3
	v_lshrrev_b32_e32 v8, 28, v8
	v_add_u32_e32 v0, v14, v0
	v_add_u32_e32 v8, v3, v8
	v_sub_u32_e32 v0, v13, v0
	v_lshrrev_b32_e32 v11, 4, v8
	v_add_u32_e32 v0, v0, v11
	v_xor_b32_e32 v0, v0, v1
	v_and_b32_e32 v8, -16, v8
	v_sub_u32_e32 v0, v0, v9
	v_add_u32_e32 v2, v2, v10
	v_sub_u32_e32 v3, v3, v8
	v_lshlrev_b32_e32 v0, 4, v0
	v_add3_u32 v0, v2, v3, v0
	v_ashrrev_i32_e32 v1, 31, v0
	v_add_co_u32_e32 v0, vcc, v16, v0
	v_addc_co_u32_e32 v1, vcc, v17, v1, vcc
	s_waitcnt vmcnt(0) lgkmcnt(0)
	buffer_store_dword v4, off, s[0:3], s33 offset:52
	buffer_store_dword v5, off, s[0:3], s33 offset:56
	;; [unrolled: 1-line block ×4, first 2 shown]
	flat_load_dwordx4 v[0:3], v[0:1]
	s_waitcnt vmcnt(0) lgkmcnt(0)
	buffer_store_dword v0, off, s[0:3], s33 offset:68
	buffer_store_dword v1, off, s[0:3], s33 offset:72
	;; [unrolled: 1-line block ×4, first 2 shown]
	v_mov_b32_e32 v0, s23
	v_mov_b32_e32 v1, s25
	;; [unrolled: 1-line block ×4, first 2 shown]
	s_swappc_b64 s[30:31], s[20:21]
	; sched_group_barrier mask(0x00000008) size(3) SyncID(0)
	; sched_group_barrier mask(0x00000200) size(1) SyncID(0)
	; sched_group_barrier mask(0x00000008) size(1) SyncID(0)
	; sched_group_barrier mask(0x00000100) size(1) SyncID(0)
	; sched_group_barrier mask(0x00000008) size(3) SyncID(0)
	; sched_group_barrier mask(0x00000200) size(1) SyncID(0)
	; sched_group_barrier mask(0x00000008) size(1) SyncID(0)
	; sched_group_barrier mask(0x00000100) size(1) SyncID(0)
	; sched_group_barrier mask(0x00000008) size(4) SyncID(0)
	; sched_group_barrier mask(0x00000200) size(1) SyncID(0)
	; sched_group_barrier mask(0x00000008) size(4) SyncID(0)
	; sched_group_barrier mask(0x00000200) size(1) SyncID(0)
	; sched_group_barrier mask(0x00000008) size(4) SyncID(0)
	; sched_group_barrier mask(0x00000200) size(1) SyncID(0)
	; sched_group_barrier mask(0x00000008) size(4) SyncID(0)
	; sched_group_barrier mask(0x00000200) size(1) SyncID(0)
	; sched_group_barrier mask(0x00000008) size(4) SyncID(0)
	; sched_group_barrier mask(0x00000200) size(1) SyncID(0)
	; sched_group_barrier mask(0x00000008) size(4) SyncID(0)
	; sched_group_barrier mask(0x00000200) size(1) SyncID(0)
	; sched_barrier mask(0x00000000)
	flat_store_byte v[52:53], v69 offset:288
	flat_load_dwordx2 v[12:13], v[52:53] offset:704
	flat_load_dwordx4 v[0:3], v[50:51]
	s_waitcnt vmcnt(0) lgkmcnt(0)
	v_mov_b32_e32 v3, s37
	s_mov_b64 s[6:7], exec
.LBB26_83:                              ;   Parent Loop BB26_64 Depth=1
                                        ; =>  This Inner Loop Header: Depth=2
	v_readfirstlane_b32 s8, v0
	v_readfirstlane_b32 s9, v1
	;; [unrolled: 1-line block ×4, first 2 shown]
	v_cmp_eq_u64_e32 vcc, s[8:9], v[0:1]
	v_cmp_eq_u64_e64 s[4:5], s[10:11], v[2:3]
	s_and_b64 s[4:5], vcc, s[4:5]
	s_and_saveexec_b64 s[4:5], s[4:5]
	s_nop 0
	buffer_load_dwordx4 v[4:7], v12, s[8:11], 0 offen
                                        ; implicit-def: $vgpr0_vgpr1_vgpr2_vgpr3
	s_xor_b64 exec, exec, s[4:5]
	s_cbranch_execnz .LBB26_83
; %bb.84:                               ;   in Loop: Header=BB26_64 Depth=1
	s_mov_b64 exec, s[6:7]
	flat_load_dwordx3 v[8:10], v[52:53] offset:716
	v_add_u32_e32 v0, 1, v13
	flat_store_dword v[52:53], v0 offset:708
	s_waitcnt vmcnt(0)
	flat_store_dwordx4 v[52:53], v[4:7]
	s_mov_b64 s[6:7], exec
	s_waitcnt lgkmcnt(0)
	v_add_u32_e32 v0, 1, v10
	flat_store_dword v[52:53], v0 offset:724
	flat_load_dword v0, v[54:55] offset:8
	s_waitcnt vmcnt(0) lgkmcnt(0)
	v_add_u32_e32 v11, v0, v12
	flat_store_dword v[52:53], v11 offset:704
	flat_store_byte v[52:53], v69 offset:304
	flat_load_dwordx4 v[0:3], v[50:51]
	s_waitcnt vmcnt(0) lgkmcnt(0)
	v_mov_b32_e32 v3, s37
.LBB26_85:                              ;   Parent Loop BB26_64 Depth=1
                                        ; =>  This Inner Loop Header: Depth=2
	v_readfirstlane_b32 s8, v0
	v_readfirstlane_b32 s9, v1
	v_readfirstlane_b32 s10, v2
	v_readfirstlane_b32 s11, v3
	v_cmp_eq_u64_e32 vcc, s[8:9], v[0:1]
	v_cmp_eq_u64_e64 s[4:5], s[10:11], v[2:3]
	s_and_b64 s[4:5], vcc, s[4:5]
	s_and_saveexec_b64 s[4:5], s[4:5]
	s_nop 0
	buffer_load_dwordx4 v[4:7], v11, s[8:11], 0 offen
                                        ; implicit-def: $vgpr0_vgpr1_vgpr2_vgpr3
	s_xor_b64 exec, exec, s[4:5]
	s_cbranch_execnz .LBB26_85
; %bb.86:                               ;   in Loop: Header=BB26_64 Depth=1
	s_mov_b64 exec, s[6:7]
	v_add_u32_e32 v0, 2, v10
	flat_store_dword v[52:53], v0 offset:724
	v_add_u32_e32 v0, 2, v13
	s_waitcnt vmcnt(0)
	flat_store_dwordx4 v[52:53], v[4:7] offset:16
	flat_store_dword v[52:53], v0 offset:708
	flat_load_dword v0, v[54:55] offset:8
	s_mov_b64 s[6:7], exec
	s_waitcnt vmcnt(0) lgkmcnt(0)
	v_add_u32_e32 v11, v0, v11
	flat_store_dword v[52:53], v11 offset:704
	flat_store_byte v[52:53], v69 offset:320
	flat_load_dwordx4 v[0:3], v[50:51]
	s_waitcnt vmcnt(0) lgkmcnt(0)
	v_mov_b32_e32 v3, s37
.LBB26_87:                              ;   Parent Loop BB26_64 Depth=1
                                        ; =>  This Inner Loop Header: Depth=2
	v_readfirstlane_b32 s8, v0
	v_readfirstlane_b32 s9, v1
	v_readfirstlane_b32 s10, v2
	v_readfirstlane_b32 s11, v3
	v_cmp_eq_u64_e32 vcc, s[8:9], v[0:1]
	v_cmp_eq_u64_e64 s[4:5], s[10:11], v[2:3]
	s_and_b64 s[4:5], vcc, s[4:5]
	s_and_saveexec_b64 s[4:5], s[4:5]
	s_nop 0
	buffer_load_dwordx4 v[4:7], v11, s[8:11], 0 offen
                                        ; implicit-def: $vgpr0_vgpr1_vgpr2_vgpr3
	s_xor_b64 exec, exec, s[4:5]
	s_cbranch_execnz .LBB26_87
; %bb.88:                               ;   in Loop: Header=BB26_64 Depth=1
	s_mov_b64 exec, s[6:7]
	v_add_u32_e32 v0, 3, v10
	flat_store_dword v[52:53], v0 offset:724
	v_add_u32_e32 v0, 3, v13
	s_waitcnt vmcnt(0)
	flat_store_dwordx4 v[52:53], v[4:7] offset:32
	flat_store_dword v[52:53], v0 offset:708
	flat_load_dword v0, v[54:55] offset:8
	s_mov_b64 s[6:7], exec
	;; [unrolled: 32-line block ×6, first 2 shown]
	s_waitcnt vmcnt(0) lgkmcnt(0)
	v_add_u32_e32 v11, v0, v11
	flat_store_dword v[52:53], v11 offset:704
	flat_load_dwordx4 v[0:3], v[50:51]
	s_waitcnt vmcnt(0) lgkmcnt(0)
	v_mov_b32_e32 v3, s37
	flat_store_byte v[52:53], v69 offset:400
.LBB26_97:                              ;   Parent Loop BB26_64 Depth=1
                                        ; =>  This Inner Loop Header: Depth=2
	v_readfirstlane_b32 s8, v0
	v_readfirstlane_b32 s9, v1
	;; [unrolled: 1-line block ×4, first 2 shown]
	v_cmp_eq_u64_e32 vcc, s[8:9], v[0:1]
	v_cmp_eq_u64_e64 s[4:5], s[10:11], v[2:3]
	s_and_b64 s[4:5], vcc, s[4:5]
	s_and_saveexec_b64 s[4:5], s[4:5]
	s_nop 0
	buffer_load_dwordx4 v[4:7], v11, s[8:11], 0 offen
                                        ; implicit-def: $vgpr0_vgpr1_vgpr2_vgpr3
	s_xor_b64 exec, exec, s[4:5]
	s_cbranch_execnz .LBB26_97
; %bb.98:                               ;   in Loop: Header=BB26_64 Depth=1
	s_mov_b64 exec, s[6:7]
	s_waitcnt vmcnt(0)
	flat_store_dwordx4 v[52:53], v[4:7] offset:112
	flat_load_dwordx3 v[0:2], v[48:49]
	s_waitcnt vmcnt(0) lgkmcnt(0)
	v_add_u32_e32 v3, -7, v1
	v_add_u32_e32 v6, v1, v10
	v_add_u32_e32 v5, v9, v2
	;; [unrolled: 1-line block ×3, first 2 shown]
	v_cmp_ne_u32_e32 vcc, 0, v3
	flat_store_dwordx3 v[52:53], v[4:6] offset:716
	s_and_saveexec_b64 s[4:5], vcc
	s_cbranch_execz .LBB26_100
; %bb.99:                               ;   in Loop: Header=BB26_64 Depth=1
	v_add_u32_e32 v1, v1, v13
	flat_store_dword v[52:53], v1 offset:708
.LBB26_100:                             ;   in Loop: Header=BB26_64 Depth=1
	s_or_b64 exec, exec, s[4:5]
	v_or_b32_e32 v1, v2, v0
	v_cmp_ne_u32_e32 vcc, 0, v1
	v_mov_b32_e32 v4, 0
	s_and_saveexec_b64 s[4:5], vcc
	s_cbranch_execz .LBB26_102
; %bb.101:                              ;   in Loop: Header=BB26_64 Depth=1
	flat_load_dword v4, v[54:55] offset:24
	flat_load_dword v6, v[52:53] offset:712
	s_waitcnt vmcnt(0) lgkmcnt(0)
	v_mad_u64_u32 v[4:5], s[6:7], v4, v0, v[2:3]
	v_add_u32_e32 v0, v4, v6
	flat_store_dword v[52:53], v0 offset:712
.LBB26_102:                             ;   in Loop: Header=BB26_64 Depth=1
	s_or_b64 exec, exec, s[4:5]
	v_or_b32_e32 v0, v1, v3
	v_cmp_ne_u32_e32 vcc, 0, v0
	s_and_saveexec_b64 s[4:5], vcc
	s_cbranch_execz .LBB26_104
; %bb.103:                              ;   in Loop: Header=BB26_64 Depth=1
	flat_load_dword v0, v[54:55] offset:8
	s_waitcnt vmcnt(0) lgkmcnt(0)
	v_mul_lo_u32 v0, v0, v3
	v_add3_u32 v0, v4, v11, v0
	flat_store_dword v[52:53], v0 offset:704
.LBB26_104:                             ;   in Loop: Header=BB26_64 Depth=1
	s_or_b64 exec, exec, s[4:5]
	v_mov_b32_e32 v65, s28
	v_mov_b32_e32 v67, s27
	;; [unrolled: 1-line block ×10, first 2 shown]
	buffer_store_dword v65, off, s[0:3], s33 offset:12
	buffer_store_dword v67, off, s[0:3], s33 offset:8
	;; [unrolled: 1-line block ×10, first 2 shown]
	s_getpc_b64 s[4:5]
	s_add_u32 s4, s4, _ZNK2ck6detail7applierIiJLi0ELi1ELi2ELi3ELi4ELi5ELi6ELi7EEEclIZNKS_11static_fordINS_8SequenceIJLi1ELi8EEEENS5_IJLi0ELi1EEEEEclIZZZNKS_52BlockwiseGemmXdlops_pipeline_bpreshuffle_bdequant_v3ILNS_26BlockGemmPipelineSchedulerE0ELi256ENS_9f8_fnuz_tENS_7pk_i4_tESC_fNS_16TensorDescriptorINS_5TupleIJNS_5EmbedINSF_IJNS_17integral_constantIiLi8EEENSH_IiLi256EEENSH_IiLi16EEEEEENSF_IJSK_NSH_IiLi128EEENSH_IiLi1EEEEEELb0EEENS_3XorINSF_IJSJ_SI_EEELb1EEENS_11PassThroughISK_EENS_7UnMergeINSF_IJSI_SN_EEELb0EEENST_ISJ_EESU_NST_ISI_EENS_21Merge_v3_division_modINSF_IJSJ_SN_EEEEESU_EEENSF_IJNS5_IJLi0EEEENS5_IJLi2ELi1EEEENS5_IJLi3EEEENS5_IJLi5EEEENS5_IJLi4EEEENS5_IJLi6EEEENS5_IJLi7EEEENS5_IJLi9ELi8EEEENS5_IJLi10EEEEEEENSF_IJNS5_IJLi1ELi2ELi3EEEENS5_IJLi4ELi5EEEES19_NS5_IJLi7ELi8EEEENS5_IJLi9EEEES1C_NS5_IJLi11EEEENS5_IJLi12EEEENS5_IJLi13EEEEEEENS5_IJLi11ELi12ELi13EEEENSH_IlLl32768EEEEENSE_INSF_IJNSV_INSF_IJSI_SN_SN_NSH_IiLi32EEEEEELb0EEEEEENSF_IJS14_EEENSF_IJNS5_IJLi1ELi2ELi3ELi4EEEEEEES1U_NSH_IlLl256EEEEENSE_INSF_IJSP_SS_SU_SX_SY_SU_SZ_S12_SU_NS10_INSF_IJSI_SK_EEEEENSV_INSF_IJSI_NSH_IiLi2EEESK_EEELb0EEEEEENSF_IJS14_S15_S16_S17_S18_S19_S1A_S1B_S1C_NS5_IJLi11ELi13EEEES1J_EEENSF_IJS1E_S1F_S19_S1G_S1H_S1C_S1I_S1J_S1K_NS5_IJLi14EEEENS5_IJLi15ELi16ELi17EEEEEEENS5_IJLi15ELi16ELi17ELi14EEEES1N_EENSE_INSF_IJS1R_NS10_ISW_EES22_EEENSF_IJS14_NS5_IJLi1ELi3EEEENS5_IJLi2EEEEEEENSF_IJS1U_S17_NS5_IJLi6ELi7ELi8EEEEEEENS5_IJLi6ELi7ELi8ELi5EEEES1W_EELi16ELi32ELi256ELi256ELi128ELi16ELi16ELi8ELi8ELi32ELb0EE3RunILb1ELNS_10TailNumberE0ENSE_INSF_IJNSG_INSF_IJiiEEENSF_IJiSN_EEELb0EEENSV_IS2N_Lb0EEENST_IiEEEEENSF_IJS14_S2E_NS5_IJLi1EEEEEEENSF_IJNS5_IJLi1ELi2EEEENS5_IJLi3ELi4EEEES17_EEENS5_IJLi3ELi5ELi4EEEElEES1O_NS_35ThreadGroupTensorSliceTransfer_v4r1INS_15ThisThreadBlockILi256EEENS_16tensor_operation12element_wise11PassThroughES35_LNS_25InMemoryDataOperationEnumE0ENS5_IJLi8ELi256ELi16EEEENS5_IJLi8ELi32ELi1EEEENS5_IJLi1ELi0ELi2EEEESC_SC_RKS2Z_KS1O_S39_NS5_IJLi0ELi1ELi2EEEELi2ELi2ELi16ELi16ELi1ELi1ELb0ELb1ELi2EiEENS_13DynamicBufferILNS_16AddressSpaceEnumE1EKSC_lLb1ELNS_22AmdBufferCoherenceEnumE0EiEENSF_IJNS3F_ILS3G_2ESC_S1N_Lb1ELS3I_0EiEES3K_EEENSF_IJiiiEEENSE_INSF_IJNSG_INSF_IJiiiiEEENSF_IJiiiSN_EEELb0EEEEEES1T_S1V_S1U_lEENS_32ThreadwiseTensorSliceTransfer_v2ISD_SD_RKS3R_KS1X_NS5_IJLi8ELi1ELi1ELi32EEEENS5_IJLi1ELi2ELi0ELi3EEEELi3ELi32ELi0ELb1ELb0ELb0EEENS3F_ILS3G_1EKSD_lLb1ELS3I_0EiEENSF_IJNS_12StaticBufferILS3G_4ESD_Li256ELb1EEES42_EEES3N_NS_25StaticBufferTupleOfVectorILS3G_4EfLi64ELi4ELb1ELb0EEEEEvRKT1_RKT2_RT3_RKT4_RT5_RKT6_RKT7_RT8_RKT9_RT10_RKT11_RT12_iENKUlT_T0_E_clINSH_IiLi0EEESN_EEDaS51_S52_ENKUlS51_E_clIS20_EEDaS51_EUlS51_E_EEvS51_EUlS51_E_EEvS51_@rel32@lo+4
	s_addc_u32 s5, s5, _ZNK2ck6detail7applierIiJLi0ELi1ELi2ELi3ELi4ELi5ELi6ELi7EEEclIZNKS_11static_fordINS_8SequenceIJLi1ELi8EEEENS5_IJLi0ELi1EEEEEclIZZZNKS_52BlockwiseGemmXdlops_pipeline_bpreshuffle_bdequant_v3ILNS_26BlockGemmPipelineSchedulerE0ELi256ENS_9f8_fnuz_tENS_7pk_i4_tESC_fNS_16TensorDescriptorINS_5TupleIJNS_5EmbedINSF_IJNS_17integral_constantIiLi8EEENSH_IiLi256EEENSH_IiLi16EEEEEENSF_IJSK_NSH_IiLi128EEENSH_IiLi1EEEEEELb0EEENS_3XorINSF_IJSJ_SI_EEELb1EEENS_11PassThroughISK_EENS_7UnMergeINSF_IJSI_SN_EEELb0EEENST_ISJ_EESU_NST_ISI_EENS_21Merge_v3_division_modINSF_IJSJ_SN_EEEEESU_EEENSF_IJNS5_IJLi0EEEENS5_IJLi2ELi1EEEENS5_IJLi3EEEENS5_IJLi5EEEENS5_IJLi4EEEENS5_IJLi6EEEENS5_IJLi7EEEENS5_IJLi9ELi8EEEENS5_IJLi10EEEEEEENSF_IJNS5_IJLi1ELi2ELi3EEEENS5_IJLi4ELi5EEEES19_NS5_IJLi7ELi8EEEENS5_IJLi9EEEES1C_NS5_IJLi11EEEENS5_IJLi12EEEENS5_IJLi13EEEEEEENS5_IJLi11ELi12ELi13EEEENSH_IlLl32768EEEEENSE_INSF_IJNSV_INSF_IJSI_SN_SN_NSH_IiLi32EEEEEELb0EEEEEENSF_IJS14_EEENSF_IJNS5_IJLi1ELi2ELi3ELi4EEEEEEES1U_NSH_IlLl256EEEEENSE_INSF_IJSP_SS_SU_SX_SY_SU_SZ_S12_SU_NS10_INSF_IJSI_SK_EEEEENSV_INSF_IJSI_NSH_IiLi2EEESK_EEELb0EEEEEENSF_IJS14_S15_S16_S17_S18_S19_S1A_S1B_S1C_NS5_IJLi11ELi13EEEES1J_EEENSF_IJS1E_S1F_S19_S1G_S1H_S1C_S1I_S1J_S1K_NS5_IJLi14EEEENS5_IJLi15ELi16ELi17EEEEEEENS5_IJLi15ELi16ELi17ELi14EEEES1N_EENSE_INSF_IJS1R_NS10_ISW_EES22_EEENSF_IJS14_NS5_IJLi1ELi3EEEENS5_IJLi2EEEEEEENSF_IJS1U_S17_NS5_IJLi6ELi7ELi8EEEEEEENS5_IJLi6ELi7ELi8ELi5EEEES1W_EELi16ELi32ELi256ELi256ELi128ELi16ELi16ELi8ELi8ELi32ELb0EE3RunILb1ELNS_10TailNumberE0ENSE_INSF_IJNSG_INSF_IJiiEEENSF_IJiSN_EEELb0EEENSV_IS2N_Lb0EEENST_IiEEEEENSF_IJS14_S2E_NS5_IJLi1EEEEEEENSF_IJNS5_IJLi1ELi2EEEENS5_IJLi3ELi4EEEES17_EEENS5_IJLi3ELi5ELi4EEEElEES1O_NS_35ThreadGroupTensorSliceTransfer_v4r1INS_15ThisThreadBlockILi256EEENS_16tensor_operation12element_wise11PassThroughES35_LNS_25InMemoryDataOperationEnumE0ENS5_IJLi8ELi256ELi16EEEENS5_IJLi8ELi32ELi1EEEENS5_IJLi1ELi0ELi2EEEESC_SC_RKS2Z_KS1O_S39_NS5_IJLi0ELi1ELi2EEEELi2ELi2ELi16ELi16ELi1ELi1ELb0ELb1ELi2EiEENS_13DynamicBufferILNS_16AddressSpaceEnumE1EKSC_lLb1ELNS_22AmdBufferCoherenceEnumE0EiEENSF_IJNS3F_ILS3G_2ESC_S1N_Lb1ELS3I_0EiEES3K_EEENSF_IJiiiEEENSE_INSF_IJNSG_INSF_IJiiiiEEENSF_IJiiiSN_EEELb0EEEEEES1T_S1V_S1U_lEENS_32ThreadwiseTensorSliceTransfer_v2ISD_SD_RKS3R_KS1X_NS5_IJLi8ELi1ELi1ELi32EEEENS5_IJLi1ELi2ELi0ELi3EEEELi3ELi32ELi0ELb1ELb0ELb0EEENS3F_ILS3G_1EKSD_lLb1ELS3I_0EiEENSF_IJNS_12StaticBufferILS3G_4ESD_Li256ELb1EEES42_EEES3N_NS_25StaticBufferTupleOfVectorILS3G_4EfLi64ELi4ELb1ELb0EEEEEvRKT1_RKT2_RT3_RKT4_RT5_RKT6_RKT7_RT8_RKT9_RT10_RKT11_RT12_iENKUlT_T0_E_clINSH_IiLi0EEESN_EEDaS51_S52_ENKUlS51_E_clIS20_EEDaS51_EUlS51_E_EEvS51_EUlS51_E_EEvS51_@rel32@hi+12
	s_swappc_b64 s[30:31], s[4:5]
	flat_load_dwordx2 v[12:13], v[30:31] offset:1148
	flat_load_dwordx2 v[14:15], v[30:31] offset:1164
	flat_load_dwordx4 v[0:3], v[30:31] offset:1176
	flat_load_dwordx3 v[8:10], v[30:31] offset:1132
	flat_load_dwordx2 v[16:17], v[28:29]
	s_getpc_b64 s[20:21]
	s_add_u32 s20, s20, _ZNK2ck44ThreadwiseTensorSliceTransfer_StaticToStaticINS_7pk_i4_tENS_9f8_fnuz_tEKNS_16TensorDescriptorINS_5TupleIJNS_7UnMergeINS4_IJNS_17integral_constantIiLi8EEENS6_IiLi1EEES8_NS6_IiLi32EEEEEELb0EEEEEENS4_IJNS_8SequenceIJLi0EEEEEEENS4_IJNSD_IJLi1ELi2ELi3ELi4EEEEEEESG_NS6_IlLl256EEEEESK_NS_16tensor_operation12element_wise11PassThroughENSD_IJLi8ELi1ELi1ELi32EEEENSD_IJLi1ELi2ELi0ELi3EEEELi3ELi32ELb0EE3RunINS4_IJNS6_IiLi0EEESS_SS_SS_EEEST_NS_12StaticBufferILNS_16AddressSpaceEnumE4ES1_Li256ELb1EEENSU_ILSV_4ES2_Li256ELb1EEEEEvRSK_RKT_RKT1_SY_RKT0_RT2_@rel32@lo+4
	s_addc_u32 s21, s21, _ZNK2ck44ThreadwiseTensorSliceTransfer_StaticToStaticINS_7pk_i4_tENS_9f8_fnuz_tEKNS_16TensorDescriptorINS_5TupleIJNS_7UnMergeINS4_IJNS_17integral_constantIiLi8EEENS6_IiLi1EEES8_NS6_IiLi32EEEEEELb0EEEEEENS4_IJNS_8SequenceIJLi0EEEEEEENS4_IJNSD_IJLi1ELi2ELi3ELi4EEEEEEESG_NS6_IlLl256EEEEESK_NS_16tensor_operation12element_wise11PassThroughENSD_IJLi8ELi1ELi1ELi32EEEENSD_IJLi1ELi2ELi0ELi3EEEELi3ELi32ELb0EE3RunINS4_IJNS6_IiLi0EEESS_SS_SS_EEEST_NS_12StaticBufferILNS_16AddressSpaceEnumE4ES1_Li256ELb1EEENSU_ILSV_4ES2_Li256ELb1EEEEEvRSK_RKT_RKT1_SY_RKT0_RT2_@rel32@hi+12
	s_waitcnt vmcnt(0) lgkmcnt(0)
	v_sub_u32_e32 v4, v12, v15
	v_add3_u32 v1, v4, v1, s42
	v_ashrrev_i32_e32 v4, 31, v1
	v_lshrrev_b32_e32 v4, 29, v4
	v_add_u32_e32 v4, v1, v4
	v_and_b32_e32 v4, -8, v4
	v_sub_u32_e32 v5, v13, v14
	v_sub_u32_e32 v6, v1, v10
	;; [unrolled: 1-line block ×3, first 2 shown]
	v_xor_b32_e32 v4, v1, v5
	v_sub_u32_e32 v4, v4, v9
	v_lshlrev_b32_e32 v10, 7, v6
	v_lshlrev_b32_e32 v4, 4, v4
	v_add3_u32 v4, v10, v8, v4
	v_ashrrev_i32_e32 v5, 31, v4
	v_add_co_u32_e32 v4, vcc, v16, v4
	v_addc_co_u32_e32 v5, vcc, v17, v5, vcc
	flat_load_dwordx4 v[4:7], v[4:5]
	v_add_u32_e32 v3, 16, v3
	v_sub_u32_e32 v2, v8, v2
	v_ashrrev_i32_e32 v8, 31, v3
	v_lshrrev_b32_e32 v8, 28, v8
	v_add_u32_e32 v0, v14, v0
	v_add_u32_e32 v8, v3, v8
	v_sub_u32_e32 v0, v13, v0
	v_lshrrev_b32_e32 v11, 4, v8
	v_add_u32_e32 v0, v0, v11
	v_xor_b32_e32 v0, v0, v1
	v_and_b32_e32 v8, -16, v8
	v_sub_u32_e32 v0, v0, v9
	v_add_u32_e32 v2, v2, v10
	v_sub_u32_e32 v3, v3, v8
	v_lshlrev_b32_e32 v0, 4, v0
	v_add3_u32 v0, v2, v3, v0
	v_ashrrev_i32_e32 v1, 31, v0
	v_add_co_u32_e32 v0, vcc, v16, v0
	v_addc_co_u32_e32 v1, vcc, v17, v1, vcc
	s_waitcnt vmcnt(0) lgkmcnt(0)
	buffer_store_dword v4, off, s[0:3], s33 offset:84
	buffer_store_dword v5, off, s[0:3], s33 offset:88
	;; [unrolled: 1-line block ×4, first 2 shown]
	flat_load_dwordx4 v[0:3], v[0:1]
	s_waitcnt vmcnt(0) lgkmcnt(0)
	buffer_store_dword v0, off, s[0:3], s33 offset:100
	buffer_store_dword v1, off, s[0:3], s33 offset:104
	buffer_store_dword v2, off, s[0:3], s33 offset:108
	buffer_store_dword v3, off, s[0:3], s33 offset:112
	v_mov_b32_e32 v0, s23
	v_mov_b32_e32 v1, s25
	;; [unrolled: 1-line block ×4, first 2 shown]
	s_swappc_b64 s[30:31], s[20:21]
	; sched_group_barrier mask(0x00000008) size(3) SyncID(0)
	; sched_group_barrier mask(0x00000020) size(1) SyncID(0)
	;; [unrolled: 1-line block ×20, first 2 shown]
	; sched_barrier mask(0x00000000)
	v_mov_b32_e32 v0, s29
	v_mov_b32_e32 v1, s34
	buffer_store_dword v65, off, s[0:3], s33 offset:12
	buffer_store_dword v67, off, s[0:3], s33 offset:8
	;; [unrolled: 1-line block ×10, first 2 shown]
	s_getpc_b64 s[4:5]
	s_add_u32 s4, s4, _ZNK2ck6detail7applierIiJLi0ELi1ELi2ELi3ELi4ELi5ELi6ELi7EEEclIZNKS_11static_fordINS_8SequenceIJLi1ELi8EEEENS5_IJLi0ELi1EEEEEclIZZZNKS_52BlockwiseGemmXdlops_pipeline_bpreshuffle_bdequant_v3ILNS_26BlockGemmPipelineSchedulerE0ELi256ENS_9f8_fnuz_tENS_7pk_i4_tESC_fNS_16TensorDescriptorINS_5TupleIJNS_5EmbedINSF_IJNS_17integral_constantIiLi8EEENSH_IiLi256EEENSH_IiLi16EEEEEENSF_IJSK_NSH_IiLi128EEENSH_IiLi1EEEEEELb0EEENS_3XorINSF_IJSJ_SI_EEELb1EEENS_11PassThroughISK_EENS_7UnMergeINSF_IJSI_SN_EEELb0EEENST_ISJ_EESU_NST_ISI_EENS_21Merge_v3_division_modINSF_IJSJ_SN_EEEEESU_EEENSF_IJNS5_IJLi0EEEENS5_IJLi2ELi1EEEENS5_IJLi3EEEENS5_IJLi5EEEENS5_IJLi4EEEENS5_IJLi6EEEENS5_IJLi7EEEENS5_IJLi9ELi8EEEENS5_IJLi10EEEEEEENSF_IJNS5_IJLi1ELi2ELi3EEEENS5_IJLi4ELi5EEEES19_NS5_IJLi7ELi8EEEENS5_IJLi9EEEES1C_NS5_IJLi11EEEENS5_IJLi12EEEENS5_IJLi13EEEEEEENS5_IJLi11ELi12ELi13EEEENSH_IlLl32768EEEEENSE_INSF_IJNSV_INSF_IJSI_SN_SN_NSH_IiLi32EEEEEELb0EEEEEENSF_IJS14_EEENSF_IJNS5_IJLi1ELi2ELi3ELi4EEEEEEES1U_NSH_IlLl256EEEEENSE_INSF_IJSP_SS_SU_SX_SY_SU_SZ_S12_SU_NS10_INSF_IJSI_SK_EEEEENSV_INSF_IJSI_NSH_IiLi2EEESK_EEELb0EEEEEENSF_IJS14_S15_S16_S17_S18_S19_S1A_S1B_S1C_NS5_IJLi11ELi13EEEES1J_EEENSF_IJS1E_S1F_S19_S1G_S1H_S1C_S1I_S1J_S1K_NS5_IJLi14EEEENS5_IJLi15ELi16ELi17EEEEEEENS5_IJLi15ELi16ELi17ELi14EEEES1N_EENSE_INSF_IJS1R_NS10_ISW_EES22_EEENSF_IJS14_NS5_IJLi1ELi3EEEENS5_IJLi2EEEEEEENSF_IJS1U_S17_NS5_IJLi6ELi7ELi8EEEEEEENS5_IJLi6ELi7ELi8ELi5EEEES1W_EELi16ELi32ELi256ELi256ELi128ELi16ELi16ELi8ELi8ELi32ELb0EE3RunILb1ELNS_10TailNumberE0ENSE_INSF_IJNSG_INSF_IJiiEEENSF_IJiSN_EEELb0EEENSV_IS2N_Lb0EEENST_IiEEEEENSF_IJS14_S2E_NS5_IJLi1EEEEEEENSF_IJNS5_IJLi1ELi2EEEENS5_IJLi3ELi4EEEES17_EEENS5_IJLi3ELi5ELi4EEEElEES1O_NS_35ThreadGroupTensorSliceTransfer_v4r1INS_15ThisThreadBlockILi256EEENS_16tensor_operation12element_wise11PassThroughES35_LNS_25InMemoryDataOperationEnumE0ENS5_IJLi8ELi256ELi16EEEENS5_IJLi8ELi32ELi1EEEENS5_IJLi1ELi0ELi2EEEESC_SC_RKS2Z_KS1O_S39_NS5_IJLi0ELi1ELi2EEEELi2ELi2ELi16ELi16ELi1ELi1ELb0ELb1ELi2EiEENS_13DynamicBufferILNS_16AddressSpaceEnumE1EKSC_lLb1ELNS_22AmdBufferCoherenceEnumE0EiEENSF_IJNS3F_ILS3G_2ESC_S1N_Lb1ELS3I_0EiEES3K_EEENSF_IJiiiEEENSE_INSF_IJNSG_INSF_IJiiiiEEENSF_IJiiiSN_EEELb0EEEEEES1T_S1V_S1U_lEENS_32ThreadwiseTensorSliceTransfer_v2ISD_SD_RKS3R_KS1X_NS5_IJLi8ELi1ELi1ELi32EEEENS5_IJLi1ELi2ELi0ELi3EEEELi3ELi32ELi0ELb1ELb0ELb0EEENS3F_ILS3G_1EKSD_lLb1ELS3I_0EiEENSF_IJNS_12StaticBufferILS3G_4ESD_Li256ELb1EEES42_EEES3N_NS_25StaticBufferTupleOfVectorILS3G_4EfLi64ELi4ELb1ELb0EEEEEvRKT1_RKT2_RT3_RKT4_RT5_RKT6_RKT7_RT8_RKT9_RT10_RKT11_RT12_iENKUlT_T0_E_clINSH_IiLi0EEESN_EEDaS51_S52_ENKUlS51_E_clINSH_IiLi3EEEEEDaS51_EUlS51_E_EEvS51_EUlS51_E_EEvS51_@rel32@lo+4
	s_addc_u32 s5, s5, _ZNK2ck6detail7applierIiJLi0ELi1ELi2ELi3ELi4ELi5ELi6ELi7EEEclIZNKS_11static_fordINS_8SequenceIJLi1ELi8EEEENS5_IJLi0ELi1EEEEEclIZZZNKS_52BlockwiseGemmXdlops_pipeline_bpreshuffle_bdequant_v3ILNS_26BlockGemmPipelineSchedulerE0ELi256ENS_9f8_fnuz_tENS_7pk_i4_tESC_fNS_16TensorDescriptorINS_5TupleIJNS_5EmbedINSF_IJNS_17integral_constantIiLi8EEENSH_IiLi256EEENSH_IiLi16EEEEEENSF_IJSK_NSH_IiLi128EEENSH_IiLi1EEEEEELb0EEENS_3XorINSF_IJSJ_SI_EEELb1EEENS_11PassThroughISK_EENS_7UnMergeINSF_IJSI_SN_EEELb0EEENST_ISJ_EESU_NST_ISI_EENS_21Merge_v3_division_modINSF_IJSJ_SN_EEEEESU_EEENSF_IJNS5_IJLi0EEEENS5_IJLi2ELi1EEEENS5_IJLi3EEEENS5_IJLi5EEEENS5_IJLi4EEEENS5_IJLi6EEEENS5_IJLi7EEEENS5_IJLi9ELi8EEEENS5_IJLi10EEEEEEENSF_IJNS5_IJLi1ELi2ELi3EEEENS5_IJLi4ELi5EEEES19_NS5_IJLi7ELi8EEEENS5_IJLi9EEEES1C_NS5_IJLi11EEEENS5_IJLi12EEEENS5_IJLi13EEEEEEENS5_IJLi11ELi12ELi13EEEENSH_IlLl32768EEEEENSE_INSF_IJNSV_INSF_IJSI_SN_SN_NSH_IiLi32EEEEEELb0EEEEEENSF_IJS14_EEENSF_IJNS5_IJLi1ELi2ELi3ELi4EEEEEEES1U_NSH_IlLl256EEEEENSE_INSF_IJSP_SS_SU_SX_SY_SU_SZ_S12_SU_NS10_INSF_IJSI_SK_EEEEENSV_INSF_IJSI_NSH_IiLi2EEESK_EEELb0EEEEEENSF_IJS14_S15_S16_S17_S18_S19_S1A_S1B_S1C_NS5_IJLi11ELi13EEEES1J_EEENSF_IJS1E_S1F_S19_S1G_S1H_S1C_S1I_S1J_S1K_NS5_IJLi14EEEENS5_IJLi15ELi16ELi17EEEEEEENS5_IJLi15ELi16ELi17ELi14EEEES1N_EENSE_INSF_IJS1R_NS10_ISW_EES22_EEENSF_IJS14_NS5_IJLi1ELi3EEEENS5_IJLi2EEEEEEENSF_IJS1U_S17_NS5_IJLi6ELi7ELi8EEEEEEENS5_IJLi6ELi7ELi8ELi5EEEES1W_EELi16ELi32ELi256ELi256ELi128ELi16ELi16ELi8ELi8ELi32ELb0EE3RunILb1ELNS_10TailNumberE0ENSE_INSF_IJNSG_INSF_IJiiEEENSF_IJiSN_EEELb0EEENSV_IS2N_Lb0EEENST_IiEEEEENSF_IJS14_S2E_NS5_IJLi1EEEEEEENSF_IJNS5_IJLi1ELi2EEEENS5_IJLi3ELi4EEEES17_EEENS5_IJLi3ELi5ELi4EEEElEES1O_NS_35ThreadGroupTensorSliceTransfer_v4r1INS_15ThisThreadBlockILi256EEENS_16tensor_operation12element_wise11PassThroughES35_LNS_25InMemoryDataOperationEnumE0ENS5_IJLi8ELi256ELi16EEEENS5_IJLi8ELi32ELi1EEEENS5_IJLi1ELi0ELi2EEEESC_SC_RKS2Z_KS1O_S39_NS5_IJLi0ELi1ELi2EEEELi2ELi2ELi16ELi16ELi1ELi1ELb0ELb1ELi2EiEENS_13DynamicBufferILNS_16AddressSpaceEnumE1EKSC_lLb1ELNS_22AmdBufferCoherenceEnumE0EiEENSF_IJNS3F_ILS3G_2ESC_S1N_Lb1ELS3I_0EiEES3K_EEENSF_IJiiiEEENSE_INSF_IJNSG_INSF_IJiiiiEEENSF_IJiiiSN_EEELb0EEEEEES1T_S1V_S1U_lEENS_32ThreadwiseTensorSliceTransfer_v2ISD_SD_RKS3R_KS1X_NS5_IJLi8ELi1ELi1ELi32EEEENS5_IJLi1ELi2ELi0ELi3EEEELi3ELi32ELi0ELb1ELb0ELb0EEENS3F_ILS3G_1EKSD_lLb1ELS3I_0EiEENSF_IJNS_12StaticBufferILS3G_4ESD_Li256ELb1EEES42_EEES3N_NS_25StaticBufferTupleOfVectorILS3G_4EfLi64ELi4ELb1ELb0EEEEEvRKT1_RKT2_RT3_RKT4_RT5_RKT6_RKT7_RT8_RKT9_RT10_RKT11_RT12_iENKUlT_T0_E_clINSH_IiLi0EEESN_EEDaS51_S52_ENKUlS51_E_clINSH_IiLi3EEEEEDaS51_EUlS51_E_EEvS51_EUlS51_E_EEvS51_@rel32@hi+12
	s_swappc_b64 s[30:31], s[4:5]
	flat_load_dwordx2 v[12:13], v[30:31] offset:1148
	flat_load_dwordx2 v[14:15], v[30:31] offset:1164
	flat_load_dwordx4 v[0:3], v[30:31] offset:1176
	flat_load_dwordx3 v[8:10], v[30:31] offset:1132
	flat_load_dwordx2 v[16:17], v[28:29]
	s_waitcnt vmcnt(0) lgkmcnt(0)
	v_sub_u32_e32 v4, v12, v15
	v_add3_u32 v1, v4, v1, s43
	v_ashrrev_i32_e32 v4, 31, v1
	v_lshrrev_b32_e32 v4, 29, v4
	v_add_u32_e32 v4, v1, v4
	v_and_b32_e32 v4, -8, v4
	v_sub_u32_e32 v5, v13, v14
	v_sub_u32_e32 v6, v1, v10
	;; [unrolled: 1-line block ×3, first 2 shown]
	v_xor_b32_e32 v4, v1, v5
	v_sub_u32_e32 v4, v4, v9
	v_lshlrev_b32_e32 v10, 7, v6
	v_lshlrev_b32_e32 v4, 4, v4
	v_add3_u32 v4, v10, v8, v4
	v_ashrrev_i32_e32 v5, 31, v4
	v_add_co_u32_e32 v4, vcc, v16, v4
	v_addc_co_u32_e32 v5, vcc, v17, v5, vcc
	flat_load_dwordx4 v[4:7], v[4:5]
	v_add_u32_e32 v3, 16, v3
	v_sub_u32_e32 v2, v8, v2
	v_ashrrev_i32_e32 v8, 31, v3
	v_lshrrev_b32_e32 v8, 28, v8
	v_add_u32_e32 v0, v14, v0
	v_add_u32_e32 v8, v3, v8
	v_sub_u32_e32 v0, v13, v0
	v_lshrrev_b32_e32 v11, 4, v8
	v_add_u32_e32 v0, v0, v11
	v_xor_b32_e32 v0, v0, v1
	v_and_b32_e32 v8, -16, v8
	v_sub_u32_e32 v0, v0, v9
	v_add_u32_e32 v2, v2, v10
	v_sub_u32_e32 v3, v3, v8
	v_lshlrev_b32_e32 v0, 4, v0
	v_add3_u32 v0, v2, v3, v0
	v_ashrrev_i32_e32 v1, 31, v0
	v_add_co_u32_e32 v0, vcc, v16, v0
	v_addc_co_u32_e32 v1, vcc, v17, v1, vcc
	s_waitcnt vmcnt(0) lgkmcnt(0)
	buffer_store_dword v4, off, s[0:3], s33 offset:52
	buffer_store_dword v5, off, s[0:3], s33 offset:56
	;; [unrolled: 1-line block ×4, first 2 shown]
	flat_load_dwordx4 v[0:3], v[0:1]
	s_waitcnt vmcnt(0) lgkmcnt(0)
	buffer_store_dword v0, off, s[0:3], s33 offset:68
	buffer_store_dword v1, off, s[0:3], s33 offset:72
	;; [unrolled: 1-line block ×4, first 2 shown]
	v_mov_b32_e32 v0, s23
	v_mov_b32_e32 v1, s25
	;; [unrolled: 1-line block ×4, first 2 shown]
	s_swappc_b64 s[30:31], s[20:21]
	; sched_group_barrier mask(0x00000008) size(16) SyncID(0)
	; sched_group_barrier mask(0x00000100) size(1) SyncID(0)
	;; [unrolled: 1-line block ×4, first 2 shown]
	; sched_barrier mask(0x00000000)
	v_mov_b32_e32 v0, s29
	v_mov_b32_e32 v1, s34
	buffer_store_dword v65, off, s[0:3], s33 offset:12
	buffer_store_dword v67, off, s[0:3], s33 offset:8
	;; [unrolled: 1-line block ×10, first 2 shown]
	s_getpc_b64 s[4:5]
	s_add_u32 s4, s4, _ZNK2ck6detail7applierIiJLi0ELi1ELi2ELi3ELi4ELi5ELi6ELi7EEEclIZNKS_11static_fordINS_8SequenceIJLi1ELi8EEEENS5_IJLi0ELi1EEEEEclIZZZNKS_52BlockwiseGemmXdlops_pipeline_bpreshuffle_bdequant_v3ILNS_26BlockGemmPipelineSchedulerE0ELi256ENS_9f8_fnuz_tENS_7pk_i4_tESC_fNS_16TensorDescriptorINS_5TupleIJNS_5EmbedINSF_IJNS_17integral_constantIiLi8EEENSH_IiLi256EEENSH_IiLi16EEEEEENSF_IJSK_NSH_IiLi128EEENSH_IiLi1EEEEEELb0EEENS_3XorINSF_IJSJ_SI_EEELb1EEENS_11PassThroughISK_EENS_7UnMergeINSF_IJSI_SN_EEELb0EEENST_ISJ_EESU_NST_ISI_EENS_21Merge_v3_division_modINSF_IJSJ_SN_EEEEESU_EEENSF_IJNS5_IJLi0EEEENS5_IJLi2ELi1EEEENS5_IJLi3EEEENS5_IJLi5EEEENS5_IJLi4EEEENS5_IJLi6EEEENS5_IJLi7EEEENS5_IJLi9ELi8EEEENS5_IJLi10EEEEEEENSF_IJNS5_IJLi1ELi2ELi3EEEENS5_IJLi4ELi5EEEES19_NS5_IJLi7ELi8EEEENS5_IJLi9EEEES1C_NS5_IJLi11EEEENS5_IJLi12EEEENS5_IJLi13EEEEEEENS5_IJLi11ELi12ELi13EEEENSH_IlLl32768EEEEENSE_INSF_IJNSV_INSF_IJSI_SN_SN_NSH_IiLi32EEEEEELb0EEEEEENSF_IJS14_EEENSF_IJNS5_IJLi1ELi2ELi3ELi4EEEEEEES1U_NSH_IlLl256EEEEENSE_INSF_IJSP_SS_SU_SX_SY_SU_SZ_S12_SU_NS10_INSF_IJSI_SK_EEEEENSV_INSF_IJSI_NSH_IiLi2EEESK_EEELb0EEEEEENSF_IJS14_S15_S16_S17_S18_S19_S1A_S1B_S1C_NS5_IJLi11ELi13EEEES1J_EEENSF_IJS1E_S1F_S19_S1G_S1H_S1C_S1I_S1J_S1K_NS5_IJLi14EEEENS5_IJLi15ELi16ELi17EEEEEEENS5_IJLi15ELi16ELi17ELi14EEEES1N_EENSE_INSF_IJS1R_NS10_ISW_EES22_EEENSF_IJS14_NS5_IJLi1ELi3EEEENS5_IJLi2EEEEEEENSF_IJS1U_S17_NS5_IJLi6ELi7ELi8EEEEEEENS5_IJLi6ELi7ELi8ELi5EEEES1W_EELi16ELi32ELi256ELi256ELi128ELi16ELi16ELi8ELi8ELi32ELb0EE3RunILb1ELNS_10TailNumberE0ENSE_INSF_IJNSG_INSF_IJiiEEENSF_IJiSN_EEELb0EEENSV_IS2N_Lb0EEENST_IiEEEEENSF_IJS14_S2E_NS5_IJLi1EEEEEEENSF_IJNS5_IJLi1ELi2EEEENS5_IJLi3ELi4EEEES17_EEENS5_IJLi3ELi5ELi4EEEElEES1O_NS_35ThreadGroupTensorSliceTransfer_v4r1INS_15ThisThreadBlockILi256EEENS_16tensor_operation12element_wise11PassThroughES35_LNS_25InMemoryDataOperationEnumE0ENS5_IJLi8ELi256ELi16EEEENS5_IJLi8ELi32ELi1EEEENS5_IJLi1ELi0ELi2EEEESC_SC_RKS2Z_KS1O_S39_NS5_IJLi0ELi1ELi2EEEELi2ELi2ELi16ELi16ELi1ELi1ELb0ELb1ELi2EiEENS_13DynamicBufferILNS_16AddressSpaceEnumE1EKSC_lLb1ELNS_22AmdBufferCoherenceEnumE0EiEENSF_IJNS3F_ILS3G_2ESC_S1N_Lb1ELS3I_0EiEES3K_EEENSF_IJiiiEEENSE_INSF_IJNSG_INSF_IJiiiiEEENSF_IJiiiSN_EEELb0EEEEEES1T_S1V_S1U_lEENS_32ThreadwiseTensorSliceTransfer_v2ISD_SD_RKS3R_KS1X_NS5_IJLi8ELi1ELi1ELi32EEEENS5_IJLi1ELi2ELi0ELi3EEEELi3ELi32ELi0ELb1ELb0ELb0EEENS3F_ILS3G_1EKSD_lLb1ELS3I_0EiEENSF_IJNS_12StaticBufferILS3G_4ESD_Li256ELb1EEES42_EEES3N_NS_25StaticBufferTupleOfVectorILS3G_4EfLi64ELi4ELb1ELb0EEEEEvRKT1_RKT2_RT3_RKT4_RT5_RKT6_RKT7_RT8_RKT9_RT10_RKT11_RT12_iENKUlT_T0_E_clINSH_IiLi0EEESN_EEDaS51_S52_ENKUlS51_E_clINSH_IiLi4EEEEEDaS51_EUlS51_E_EEvS51_EUlS51_E_EEvS51_@rel32@lo+4
	s_addc_u32 s5, s5, _ZNK2ck6detail7applierIiJLi0ELi1ELi2ELi3ELi4ELi5ELi6ELi7EEEclIZNKS_11static_fordINS_8SequenceIJLi1ELi8EEEENS5_IJLi0ELi1EEEEEclIZZZNKS_52BlockwiseGemmXdlops_pipeline_bpreshuffle_bdequant_v3ILNS_26BlockGemmPipelineSchedulerE0ELi256ENS_9f8_fnuz_tENS_7pk_i4_tESC_fNS_16TensorDescriptorINS_5TupleIJNS_5EmbedINSF_IJNS_17integral_constantIiLi8EEENSH_IiLi256EEENSH_IiLi16EEEEEENSF_IJSK_NSH_IiLi128EEENSH_IiLi1EEEEEELb0EEENS_3XorINSF_IJSJ_SI_EEELb1EEENS_11PassThroughISK_EENS_7UnMergeINSF_IJSI_SN_EEELb0EEENST_ISJ_EESU_NST_ISI_EENS_21Merge_v3_division_modINSF_IJSJ_SN_EEEEESU_EEENSF_IJNS5_IJLi0EEEENS5_IJLi2ELi1EEEENS5_IJLi3EEEENS5_IJLi5EEEENS5_IJLi4EEEENS5_IJLi6EEEENS5_IJLi7EEEENS5_IJLi9ELi8EEEENS5_IJLi10EEEEEEENSF_IJNS5_IJLi1ELi2ELi3EEEENS5_IJLi4ELi5EEEES19_NS5_IJLi7ELi8EEEENS5_IJLi9EEEES1C_NS5_IJLi11EEEENS5_IJLi12EEEENS5_IJLi13EEEEEEENS5_IJLi11ELi12ELi13EEEENSH_IlLl32768EEEEENSE_INSF_IJNSV_INSF_IJSI_SN_SN_NSH_IiLi32EEEEEELb0EEEEEENSF_IJS14_EEENSF_IJNS5_IJLi1ELi2ELi3ELi4EEEEEEES1U_NSH_IlLl256EEEEENSE_INSF_IJSP_SS_SU_SX_SY_SU_SZ_S12_SU_NS10_INSF_IJSI_SK_EEEEENSV_INSF_IJSI_NSH_IiLi2EEESK_EEELb0EEEEEENSF_IJS14_S15_S16_S17_S18_S19_S1A_S1B_S1C_NS5_IJLi11ELi13EEEES1J_EEENSF_IJS1E_S1F_S19_S1G_S1H_S1C_S1I_S1J_S1K_NS5_IJLi14EEEENS5_IJLi15ELi16ELi17EEEEEEENS5_IJLi15ELi16ELi17ELi14EEEES1N_EENSE_INSF_IJS1R_NS10_ISW_EES22_EEENSF_IJS14_NS5_IJLi1ELi3EEEENS5_IJLi2EEEEEEENSF_IJS1U_S17_NS5_IJLi6ELi7ELi8EEEEEEENS5_IJLi6ELi7ELi8ELi5EEEES1W_EELi16ELi32ELi256ELi256ELi128ELi16ELi16ELi8ELi8ELi32ELb0EE3RunILb1ELNS_10TailNumberE0ENSE_INSF_IJNSG_INSF_IJiiEEENSF_IJiSN_EEELb0EEENSV_IS2N_Lb0EEENST_IiEEEEENSF_IJS14_S2E_NS5_IJLi1EEEEEEENSF_IJNS5_IJLi1ELi2EEEENS5_IJLi3ELi4EEEES17_EEENS5_IJLi3ELi5ELi4EEEElEES1O_NS_35ThreadGroupTensorSliceTransfer_v4r1INS_15ThisThreadBlockILi256EEENS_16tensor_operation12element_wise11PassThroughES35_LNS_25InMemoryDataOperationEnumE0ENS5_IJLi8ELi256ELi16EEEENS5_IJLi8ELi32ELi1EEEENS5_IJLi1ELi0ELi2EEEESC_SC_RKS2Z_KS1O_S39_NS5_IJLi0ELi1ELi2EEEELi2ELi2ELi16ELi16ELi1ELi1ELb0ELb1ELi2EiEENS_13DynamicBufferILNS_16AddressSpaceEnumE1EKSC_lLb1ELNS_22AmdBufferCoherenceEnumE0EiEENSF_IJNS3F_ILS3G_2ESC_S1N_Lb1ELS3I_0EiEES3K_EEENSF_IJiiiEEENSE_INSF_IJNSG_INSF_IJiiiiEEENSF_IJiiiSN_EEELb0EEEEEES1T_S1V_S1U_lEENS_32ThreadwiseTensorSliceTransfer_v2ISD_SD_RKS3R_KS1X_NS5_IJLi8ELi1ELi1ELi32EEEENS5_IJLi1ELi2ELi0ELi3EEEELi3ELi32ELi0ELb1ELb0ELb0EEENS3F_ILS3G_1EKSD_lLb1ELS3I_0EiEENSF_IJNS_12StaticBufferILS3G_4ESD_Li256ELb1EEES42_EEES3N_NS_25StaticBufferTupleOfVectorILS3G_4EfLi64ELi4ELb1ELb0EEEEEvRKT1_RKT2_RT3_RKT4_RT5_RKT6_RKT7_RT8_RKT9_RT10_RKT11_RT12_iENKUlT_T0_E_clINSH_IiLi0EEESN_EEDaS51_S52_ENKUlS51_E_clINSH_IiLi4EEEEEDaS51_EUlS51_E_EEvS51_EUlS51_E_EEvS51_@rel32@hi+12
	s_swappc_b64 s[30:31], s[4:5]
	flat_load_dwordx2 v[12:13], v[30:31] offset:1148
	flat_load_dwordx2 v[14:15], v[30:31] offset:1164
	flat_load_dwordx4 v[0:3], v[30:31] offset:1176
	flat_load_dwordx3 v[8:10], v[30:31] offset:1132
	flat_load_dwordx2 v[16:17], v[28:29]
	s_waitcnt vmcnt(0) lgkmcnt(0)
	v_sub_u32_e32 v4, v12, v15
	v_add3_u32 v1, v4, v1, s44
	v_ashrrev_i32_e32 v4, 31, v1
	v_lshrrev_b32_e32 v4, 29, v4
	v_add_u32_e32 v4, v1, v4
	v_and_b32_e32 v4, -8, v4
	v_sub_u32_e32 v5, v13, v14
	v_sub_u32_e32 v6, v1, v10
	;; [unrolled: 1-line block ×3, first 2 shown]
	v_xor_b32_e32 v4, v1, v5
	v_sub_u32_e32 v4, v4, v9
	v_lshlrev_b32_e32 v10, 7, v6
	v_lshlrev_b32_e32 v4, 4, v4
	v_add3_u32 v4, v10, v8, v4
	v_ashrrev_i32_e32 v5, 31, v4
	v_add_co_u32_e32 v4, vcc, v16, v4
	v_addc_co_u32_e32 v5, vcc, v17, v5, vcc
	flat_load_dwordx4 v[4:7], v[4:5]
	v_add_u32_e32 v3, 16, v3
	v_sub_u32_e32 v2, v8, v2
	v_ashrrev_i32_e32 v8, 31, v3
	v_lshrrev_b32_e32 v8, 28, v8
	v_add_u32_e32 v0, v14, v0
	v_add_u32_e32 v8, v3, v8
	v_sub_u32_e32 v0, v13, v0
	v_lshrrev_b32_e32 v11, 4, v8
	v_add_u32_e32 v0, v0, v11
	v_xor_b32_e32 v0, v0, v1
	v_and_b32_e32 v8, -16, v8
	v_sub_u32_e32 v0, v0, v9
	v_add_u32_e32 v2, v2, v10
	v_sub_u32_e32 v3, v3, v8
	v_lshlrev_b32_e32 v0, 4, v0
	v_add3_u32 v0, v2, v3, v0
	v_ashrrev_i32_e32 v1, 31, v0
	v_add_co_u32_e32 v0, vcc, v16, v0
	v_addc_co_u32_e32 v1, vcc, v17, v1, vcc
	s_waitcnt vmcnt(0) lgkmcnt(0)
	buffer_store_dword v4, off, s[0:3], s33 offset:84
	buffer_store_dword v5, off, s[0:3], s33 offset:88
	;; [unrolled: 1-line block ×4, first 2 shown]
	flat_load_dwordx4 v[0:3], v[0:1]
	s_waitcnt vmcnt(0) lgkmcnt(0)
	buffer_store_dword v0, off, s[0:3], s33 offset:100
	buffer_store_dword v1, off, s[0:3], s33 offset:104
	;; [unrolled: 1-line block ×4, first 2 shown]
	v_mov_b32_e32 v0, s23
	v_mov_b32_e32 v1, s25
	;; [unrolled: 1-line block ×4, first 2 shown]
	s_swappc_b64 s[30:31], s[20:21]
	; sched_group_barrier mask(0x00000008) size(16) SyncID(0)
	; sched_group_barrier mask(0x00000100) size(1) SyncID(0)
	;; [unrolled: 1-line block ×4, first 2 shown]
	; sched_barrier mask(0x00000000)
	v_mov_b32_e32 v0, s29
	v_mov_b32_e32 v1, s34
	buffer_store_dword v65, off, s[0:3], s33 offset:12
	buffer_store_dword v67, off, s[0:3], s33 offset:8
	;; [unrolled: 1-line block ×10, first 2 shown]
	s_getpc_b64 s[4:5]
	s_add_u32 s4, s4, _ZNK2ck6detail7applierIiJLi0ELi1ELi2ELi3ELi4ELi5ELi6ELi7EEEclIZNKS_11static_fordINS_8SequenceIJLi1ELi8EEEENS5_IJLi0ELi1EEEEEclIZZZNKS_52BlockwiseGemmXdlops_pipeline_bpreshuffle_bdequant_v3ILNS_26BlockGemmPipelineSchedulerE0ELi256ENS_9f8_fnuz_tENS_7pk_i4_tESC_fNS_16TensorDescriptorINS_5TupleIJNS_5EmbedINSF_IJNS_17integral_constantIiLi8EEENSH_IiLi256EEENSH_IiLi16EEEEEENSF_IJSK_NSH_IiLi128EEENSH_IiLi1EEEEEELb0EEENS_3XorINSF_IJSJ_SI_EEELb1EEENS_11PassThroughISK_EENS_7UnMergeINSF_IJSI_SN_EEELb0EEENST_ISJ_EESU_NST_ISI_EENS_21Merge_v3_division_modINSF_IJSJ_SN_EEEEESU_EEENSF_IJNS5_IJLi0EEEENS5_IJLi2ELi1EEEENS5_IJLi3EEEENS5_IJLi5EEEENS5_IJLi4EEEENS5_IJLi6EEEENS5_IJLi7EEEENS5_IJLi9ELi8EEEENS5_IJLi10EEEEEEENSF_IJNS5_IJLi1ELi2ELi3EEEENS5_IJLi4ELi5EEEES19_NS5_IJLi7ELi8EEEENS5_IJLi9EEEES1C_NS5_IJLi11EEEENS5_IJLi12EEEENS5_IJLi13EEEEEEENS5_IJLi11ELi12ELi13EEEENSH_IlLl32768EEEEENSE_INSF_IJNSV_INSF_IJSI_SN_SN_NSH_IiLi32EEEEEELb0EEEEEENSF_IJS14_EEENSF_IJNS5_IJLi1ELi2ELi3ELi4EEEEEEES1U_NSH_IlLl256EEEEENSE_INSF_IJSP_SS_SU_SX_SY_SU_SZ_S12_SU_NS10_INSF_IJSI_SK_EEEEENSV_INSF_IJSI_NSH_IiLi2EEESK_EEELb0EEEEEENSF_IJS14_S15_S16_S17_S18_S19_S1A_S1B_S1C_NS5_IJLi11ELi13EEEES1J_EEENSF_IJS1E_S1F_S19_S1G_S1H_S1C_S1I_S1J_S1K_NS5_IJLi14EEEENS5_IJLi15ELi16ELi17EEEEEEENS5_IJLi15ELi16ELi17ELi14EEEES1N_EENSE_INSF_IJS1R_NS10_ISW_EES22_EEENSF_IJS14_NS5_IJLi1ELi3EEEENS5_IJLi2EEEEEEENSF_IJS1U_S17_NS5_IJLi6ELi7ELi8EEEEEEENS5_IJLi6ELi7ELi8ELi5EEEES1W_EELi16ELi32ELi256ELi256ELi128ELi16ELi16ELi8ELi8ELi32ELb0EE3RunILb1ELNS_10TailNumberE0ENSE_INSF_IJNSG_INSF_IJiiEEENSF_IJiSN_EEELb0EEENSV_IS2N_Lb0EEENST_IiEEEEENSF_IJS14_S2E_NS5_IJLi1EEEEEEENSF_IJNS5_IJLi1ELi2EEEENS5_IJLi3ELi4EEEES17_EEENS5_IJLi3ELi5ELi4EEEElEES1O_NS_35ThreadGroupTensorSliceTransfer_v4r1INS_15ThisThreadBlockILi256EEENS_16tensor_operation12element_wise11PassThroughES35_LNS_25InMemoryDataOperationEnumE0ENS5_IJLi8ELi256ELi16EEEENS5_IJLi8ELi32ELi1EEEENS5_IJLi1ELi0ELi2EEEESC_SC_RKS2Z_KS1O_S39_NS5_IJLi0ELi1ELi2EEEELi2ELi2ELi16ELi16ELi1ELi1ELb0ELb1ELi2EiEENS_13DynamicBufferILNS_16AddressSpaceEnumE1EKSC_lLb1ELNS_22AmdBufferCoherenceEnumE0EiEENSF_IJNS3F_ILS3G_2ESC_S1N_Lb1ELS3I_0EiEES3K_EEENSF_IJiiiEEENSE_INSF_IJNSG_INSF_IJiiiiEEENSF_IJiiiSN_EEELb0EEEEEES1T_S1V_S1U_lEENS_32ThreadwiseTensorSliceTransfer_v2ISD_SD_RKS3R_KS1X_NS5_IJLi8ELi1ELi1ELi32EEEENS5_IJLi1ELi2ELi0ELi3EEEELi3ELi32ELi0ELb1ELb0ELb0EEENS3F_ILS3G_1EKSD_lLb1ELS3I_0EiEENSF_IJNS_12StaticBufferILS3G_4ESD_Li256ELb1EEES42_EEES3N_NS_25StaticBufferTupleOfVectorILS3G_4EfLi64ELi4ELb1ELb0EEEEEvRKT1_RKT2_RT3_RKT4_RT5_RKT6_RKT7_RT8_RKT9_RT10_RKT11_RT12_iENKUlT_T0_E_clINSH_IiLi0EEESN_EEDaS51_S52_ENKUlS51_E_clINSH_IiLi5EEEEEDaS51_EUlS51_E_EEvS51_EUlS51_E_EEvS51_@rel32@lo+4
	s_addc_u32 s5, s5, _ZNK2ck6detail7applierIiJLi0ELi1ELi2ELi3ELi4ELi5ELi6ELi7EEEclIZNKS_11static_fordINS_8SequenceIJLi1ELi8EEEENS5_IJLi0ELi1EEEEEclIZZZNKS_52BlockwiseGemmXdlops_pipeline_bpreshuffle_bdequant_v3ILNS_26BlockGemmPipelineSchedulerE0ELi256ENS_9f8_fnuz_tENS_7pk_i4_tESC_fNS_16TensorDescriptorINS_5TupleIJNS_5EmbedINSF_IJNS_17integral_constantIiLi8EEENSH_IiLi256EEENSH_IiLi16EEEEEENSF_IJSK_NSH_IiLi128EEENSH_IiLi1EEEEEELb0EEENS_3XorINSF_IJSJ_SI_EEELb1EEENS_11PassThroughISK_EENS_7UnMergeINSF_IJSI_SN_EEELb0EEENST_ISJ_EESU_NST_ISI_EENS_21Merge_v3_division_modINSF_IJSJ_SN_EEEEESU_EEENSF_IJNS5_IJLi0EEEENS5_IJLi2ELi1EEEENS5_IJLi3EEEENS5_IJLi5EEEENS5_IJLi4EEEENS5_IJLi6EEEENS5_IJLi7EEEENS5_IJLi9ELi8EEEENS5_IJLi10EEEEEEENSF_IJNS5_IJLi1ELi2ELi3EEEENS5_IJLi4ELi5EEEES19_NS5_IJLi7ELi8EEEENS5_IJLi9EEEES1C_NS5_IJLi11EEEENS5_IJLi12EEEENS5_IJLi13EEEEEEENS5_IJLi11ELi12ELi13EEEENSH_IlLl32768EEEEENSE_INSF_IJNSV_INSF_IJSI_SN_SN_NSH_IiLi32EEEEEELb0EEEEEENSF_IJS14_EEENSF_IJNS5_IJLi1ELi2ELi3ELi4EEEEEEES1U_NSH_IlLl256EEEEENSE_INSF_IJSP_SS_SU_SX_SY_SU_SZ_S12_SU_NS10_INSF_IJSI_SK_EEEEENSV_INSF_IJSI_NSH_IiLi2EEESK_EEELb0EEEEEENSF_IJS14_S15_S16_S17_S18_S19_S1A_S1B_S1C_NS5_IJLi11ELi13EEEES1J_EEENSF_IJS1E_S1F_S19_S1G_S1H_S1C_S1I_S1J_S1K_NS5_IJLi14EEEENS5_IJLi15ELi16ELi17EEEEEEENS5_IJLi15ELi16ELi17ELi14EEEES1N_EENSE_INSF_IJS1R_NS10_ISW_EES22_EEENSF_IJS14_NS5_IJLi1ELi3EEEENS5_IJLi2EEEEEEENSF_IJS1U_S17_NS5_IJLi6ELi7ELi8EEEEEEENS5_IJLi6ELi7ELi8ELi5EEEES1W_EELi16ELi32ELi256ELi256ELi128ELi16ELi16ELi8ELi8ELi32ELb0EE3RunILb1ELNS_10TailNumberE0ENSE_INSF_IJNSG_INSF_IJiiEEENSF_IJiSN_EEELb0EEENSV_IS2N_Lb0EEENST_IiEEEEENSF_IJS14_S2E_NS5_IJLi1EEEEEEENSF_IJNS5_IJLi1ELi2EEEENS5_IJLi3ELi4EEEES17_EEENS5_IJLi3ELi5ELi4EEEElEES1O_NS_35ThreadGroupTensorSliceTransfer_v4r1INS_15ThisThreadBlockILi256EEENS_16tensor_operation12element_wise11PassThroughES35_LNS_25InMemoryDataOperationEnumE0ENS5_IJLi8ELi256ELi16EEEENS5_IJLi8ELi32ELi1EEEENS5_IJLi1ELi0ELi2EEEESC_SC_RKS2Z_KS1O_S39_NS5_IJLi0ELi1ELi2EEEELi2ELi2ELi16ELi16ELi1ELi1ELb0ELb1ELi2EiEENS_13DynamicBufferILNS_16AddressSpaceEnumE1EKSC_lLb1ELNS_22AmdBufferCoherenceEnumE0EiEENSF_IJNS3F_ILS3G_2ESC_S1N_Lb1ELS3I_0EiEES3K_EEENSF_IJiiiEEENSE_INSF_IJNSG_INSF_IJiiiiEEENSF_IJiiiSN_EEELb0EEEEEES1T_S1V_S1U_lEENS_32ThreadwiseTensorSliceTransfer_v2ISD_SD_RKS3R_KS1X_NS5_IJLi8ELi1ELi1ELi32EEEENS5_IJLi1ELi2ELi0ELi3EEEELi3ELi32ELi0ELb1ELb0ELb0EEENS3F_ILS3G_1EKSD_lLb1ELS3I_0EiEENSF_IJNS_12StaticBufferILS3G_4ESD_Li256ELb1EEES42_EEES3N_NS_25StaticBufferTupleOfVectorILS3G_4EfLi64ELi4ELb1ELb0EEEEEvRKT1_RKT2_RT3_RKT4_RT5_RKT6_RKT7_RT8_RKT9_RT10_RKT11_RT12_iENKUlT_T0_E_clINSH_IiLi0EEESN_EEDaS51_S52_ENKUlS51_E_clINSH_IiLi5EEEEEDaS51_EUlS51_E_EEvS51_EUlS51_E_EEvS51_@rel32@hi+12
	s_swappc_b64 s[30:31], s[4:5]
	flat_load_dwordx2 v[12:13], v[30:31] offset:1148
	flat_load_dwordx2 v[14:15], v[30:31] offset:1164
	flat_load_dwordx4 v[0:3], v[30:31] offset:1176
	flat_load_dwordx3 v[8:10], v[30:31] offset:1132
	flat_load_dwordx2 v[16:17], v[28:29]
	s_waitcnt vmcnt(0) lgkmcnt(0)
	v_sub_u32_e32 v4, v12, v15
	v_add3_u32 v1, v4, v1, s45
	v_ashrrev_i32_e32 v4, 31, v1
	v_lshrrev_b32_e32 v4, 29, v4
	v_add_u32_e32 v4, v1, v4
	v_and_b32_e32 v4, -8, v4
	v_sub_u32_e32 v5, v13, v14
	v_sub_u32_e32 v6, v1, v10
	;; [unrolled: 1-line block ×3, first 2 shown]
	v_xor_b32_e32 v4, v1, v5
	v_sub_u32_e32 v4, v4, v9
	v_lshlrev_b32_e32 v10, 7, v6
	v_lshlrev_b32_e32 v4, 4, v4
	v_add3_u32 v4, v10, v8, v4
	v_ashrrev_i32_e32 v5, 31, v4
	v_add_co_u32_e32 v4, vcc, v16, v4
	v_addc_co_u32_e32 v5, vcc, v17, v5, vcc
	flat_load_dwordx4 v[4:7], v[4:5]
	v_add_u32_e32 v3, 16, v3
	v_sub_u32_e32 v2, v8, v2
	v_ashrrev_i32_e32 v8, 31, v3
	v_lshrrev_b32_e32 v8, 28, v8
	v_add_u32_e32 v0, v14, v0
	v_add_u32_e32 v8, v3, v8
	v_sub_u32_e32 v0, v13, v0
	v_lshrrev_b32_e32 v11, 4, v8
	v_add_u32_e32 v0, v0, v11
	v_xor_b32_e32 v0, v0, v1
	v_and_b32_e32 v8, -16, v8
	v_sub_u32_e32 v0, v0, v9
	v_add_u32_e32 v2, v2, v10
	v_sub_u32_e32 v3, v3, v8
	v_lshlrev_b32_e32 v0, 4, v0
	v_add3_u32 v0, v2, v3, v0
	v_ashrrev_i32_e32 v1, 31, v0
	v_add_co_u32_e32 v0, vcc, v16, v0
	v_addc_co_u32_e32 v1, vcc, v17, v1, vcc
	s_waitcnt vmcnt(0) lgkmcnt(0)
	buffer_store_dword v4, off, s[0:3], s33 offset:52
	buffer_store_dword v5, off, s[0:3], s33 offset:56
	;; [unrolled: 1-line block ×4, first 2 shown]
	flat_load_dwordx4 v[0:3], v[0:1]
	s_waitcnt vmcnt(0) lgkmcnt(0)
	buffer_store_dword v0, off, s[0:3], s33 offset:68
	buffer_store_dword v1, off, s[0:3], s33 offset:72
	;; [unrolled: 1-line block ×4, first 2 shown]
	v_mov_b32_e32 v0, s23
	v_mov_b32_e32 v1, s25
	;; [unrolled: 1-line block ×4, first 2 shown]
	s_swappc_b64 s[30:31], s[20:21]
	; sched_group_barrier mask(0x00000008) size(16) SyncID(0)
	; sched_group_barrier mask(0x00000100) size(1) SyncID(0)
	;; [unrolled: 1-line block ×4, first 2 shown]
	; sched_barrier mask(0x00000000)
	v_mov_b32_e32 v0, s29
	v_mov_b32_e32 v1, s34
	buffer_store_dword v65, off, s[0:3], s33 offset:12
	buffer_store_dword v67, off, s[0:3], s33 offset:8
	;; [unrolled: 1-line block ×10, first 2 shown]
	s_getpc_b64 s[4:5]
	s_add_u32 s4, s4, _ZNK2ck6detail7applierIiJLi0ELi1ELi2ELi3ELi4ELi5ELi6ELi7EEEclIZNKS_11static_fordINS_8SequenceIJLi1ELi8EEEENS5_IJLi0ELi1EEEEEclIZZZNKS_52BlockwiseGemmXdlops_pipeline_bpreshuffle_bdequant_v3ILNS_26BlockGemmPipelineSchedulerE0ELi256ENS_9f8_fnuz_tENS_7pk_i4_tESC_fNS_16TensorDescriptorINS_5TupleIJNS_5EmbedINSF_IJNS_17integral_constantIiLi8EEENSH_IiLi256EEENSH_IiLi16EEEEEENSF_IJSK_NSH_IiLi128EEENSH_IiLi1EEEEEELb0EEENS_3XorINSF_IJSJ_SI_EEELb1EEENS_11PassThroughISK_EENS_7UnMergeINSF_IJSI_SN_EEELb0EEENST_ISJ_EESU_NST_ISI_EENS_21Merge_v3_division_modINSF_IJSJ_SN_EEEEESU_EEENSF_IJNS5_IJLi0EEEENS5_IJLi2ELi1EEEENS5_IJLi3EEEENS5_IJLi5EEEENS5_IJLi4EEEENS5_IJLi6EEEENS5_IJLi7EEEENS5_IJLi9ELi8EEEENS5_IJLi10EEEEEEENSF_IJNS5_IJLi1ELi2ELi3EEEENS5_IJLi4ELi5EEEES19_NS5_IJLi7ELi8EEEENS5_IJLi9EEEES1C_NS5_IJLi11EEEENS5_IJLi12EEEENS5_IJLi13EEEEEEENS5_IJLi11ELi12ELi13EEEENSH_IlLl32768EEEEENSE_INSF_IJNSV_INSF_IJSI_SN_SN_NSH_IiLi32EEEEEELb0EEEEEENSF_IJS14_EEENSF_IJNS5_IJLi1ELi2ELi3ELi4EEEEEEES1U_NSH_IlLl256EEEEENSE_INSF_IJSP_SS_SU_SX_SY_SU_SZ_S12_SU_NS10_INSF_IJSI_SK_EEEEENSV_INSF_IJSI_NSH_IiLi2EEESK_EEELb0EEEEEENSF_IJS14_S15_S16_S17_S18_S19_S1A_S1B_S1C_NS5_IJLi11ELi13EEEES1J_EEENSF_IJS1E_S1F_S19_S1G_S1H_S1C_S1I_S1J_S1K_NS5_IJLi14EEEENS5_IJLi15ELi16ELi17EEEEEEENS5_IJLi15ELi16ELi17ELi14EEEES1N_EENSE_INSF_IJS1R_NS10_ISW_EES22_EEENSF_IJS14_NS5_IJLi1ELi3EEEENS5_IJLi2EEEEEEENSF_IJS1U_S17_NS5_IJLi6ELi7ELi8EEEEEEENS5_IJLi6ELi7ELi8ELi5EEEES1W_EELi16ELi32ELi256ELi256ELi128ELi16ELi16ELi8ELi8ELi32ELb0EE3RunILb1ELNS_10TailNumberE0ENSE_INSF_IJNSG_INSF_IJiiEEENSF_IJiSN_EEELb0EEENSV_IS2N_Lb0EEENST_IiEEEEENSF_IJS14_S2E_NS5_IJLi1EEEEEEENSF_IJNS5_IJLi1ELi2EEEENS5_IJLi3ELi4EEEES17_EEENS5_IJLi3ELi5ELi4EEEElEES1O_NS_35ThreadGroupTensorSliceTransfer_v4r1INS_15ThisThreadBlockILi256EEENS_16tensor_operation12element_wise11PassThroughES35_LNS_25InMemoryDataOperationEnumE0ENS5_IJLi8ELi256ELi16EEEENS5_IJLi8ELi32ELi1EEEENS5_IJLi1ELi0ELi2EEEESC_SC_RKS2Z_KS1O_S39_NS5_IJLi0ELi1ELi2EEEELi2ELi2ELi16ELi16ELi1ELi1ELb0ELb1ELi2EiEENS_13DynamicBufferILNS_16AddressSpaceEnumE1EKSC_lLb1ELNS_22AmdBufferCoherenceEnumE0EiEENSF_IJNS3F_ILS3G_2ESC_S1N_Lb1ELS3I_0EiEES3K_EEENSF_IJiiiEEENSE_INSF_IJNSG_INSF_IJiiiiEEENSF_IJiiiSN_EEELb0EEEEEES1T_S1V_S1U_lEENS_32ThreadwiseTensorSliceTransfer_v2ISD_SD_RKS3R_KS1X_NS5_IJLi8ELi1ELi1ELi32EEEENS5_IJLi1ELi2ELi0ELi3EEEELi3ELi32ELi0ELb1ELb0ELb0EEENS3F_ILS3G_1EKSD_lLb1ELS3I_0EiEENSF_IJNS_12StaticBufferILS3G_4ESD_Li256ELb1EEES42_EEES3N_NS_25StaticBufferTupleOfVectorILS3G_4EfLi64ELi4ELb1ELb0EEEEEvRKT1_RKT2_RT3_RKT4_RT5_RKT6_RKT7_RT8_RKT9_RT10_RKT11_RT12_iENKUlT_T0_E_clINSH_IiLi0EEESN_EEDaS51_S52_ENKUlS51_E_clINSH_IiLi6EEEEEDaS51_EUlS51_E_EEvS51_EUlS51_E_EEvS51_@rel32@lo+4
	s_addc_u32 s5, s5, _ZNK2ck6detail7applierIiJLi0ELi1ELi2ELi3ELi4ELi5ELi6ELi7EEEclIZNKS_11static_fordINS_8SequenceIJLi1ELi8EEEENS5_IJLi0ELi1EEEEEclIZZZNKS_52BlockwiseGemmXdlops_pipeline_bpreshuffle_bdequant_v3ILNS_26BlockGemmPipelineSchedulerE0ELi256ENS_9f8_fnuz_tENS_7pk_i4_tESC_fNS_16TensorDescriptorINS_5TupleIJNS_5EmbedINSF_IJNS_17integral_constantIiLi8EEENSH_IiLi256EEENSH_IiLi16EEEEEENSF_IJSK_NSH_IiLi128EEENSH_IiLi1EEEEEELb0EEENS_3XorINSF_IJSJ_SI_EEELb1EEENS_11PassThroughISK_EENS_7UnMergeINSF_IJSI_SN_EEELb0EEENST_ISJ_EESU_NST_ISI_EENS_21Merge_v3_division_modINSF_IJSJ_SN_EEEEESU_EEENSF_IJNS5_IJLi0EEEENS5_IJLi2ELi1EEEENS5_IJLi3EEEENS5_IJLi5EEEENS5_IJLi4EEEENS5_IJLi6EEEENS5_IJLi7EEEENS5_IJLi9ELi8EEEENS5_IJLi10EEEEEEENSF_IJNS5_IJLi1ELi2ELi3EEEENS5_IJLi4ELi5EEEES19_NS5_IJLi7ELi8EEEENS5_IJLi9EEEES1C_NS5_IJLi11EEEENS5_IJLi12EEEENS5_IJLi13EEEEEEENS5_IJLi11ELi12ELi13EEEENSH_IlLl32768EEEEENSE_INSF_IJNSV_INSF_IJSI_SN_SN_NSH_IiLi32EEEEEELb0EEEEEENSF_IJS14_EEENSF_IJNS5_IJLi1ELi2ELi3ELi4EEEEEEES1U_NSH_IlLl256EEEEENSE_INSF_IJSP_SS_SU_SX_SY_SU_SZ_S12_SU_NS10_INSF_IJSI_SK_EEEEENSV_INSF_IJSI_NSH_IiLi2EEESK_EEELb0EEEEEENSF_IJS14_S15_S16_S17_S18_S19_S1A_S1B_S1C_NS5_IJLi11ELi13EEEES1J_EEENSF_IJS1E_S1F_S19_S1G_S1H_S1C_S1I_S1J_S1K_NS5_IJLi14EEEENS5_IJLi15ELi16ELi17EEEEEEENS5_IJLi15ELi16ELi17ELi14EEEES1N_EENSE_INSF_IJS1R_NS10_ISW_EES22_EEENSF_IJS14_NS5_IJLi1ELi3EEEENS5_IJLi2EEEEEEENSF_IJS1U_S17_NS5_IJLi6ELi7ELi8EEEEEEENS5_IJLi6ELi7ELi8ELi5EEEES1W_EELi16ELi32ELi256ELi256ELi128ELi16ELi16ELi8ELi8ELi32ELb0EE3RunILb1ELNS_10TailNumberE0ENSE_INSF_IJNSG_INSF_IJiiEEENSF_IJiSN_EEELb0EEENSV_IS2N_Lb0EEENST_IiEEEEENSF_IJS14_S2E_NS5_IJLi1EEEEEEENSF_IJNS5_IJLi1ELi2EEEENS5_IJLi3ELi4EEEES17_EEENS5_IJLi3ELi5ELi4EEEElEES1O_NS_35ThreadGroupTensorSliceTransfer_v4r1INS_15ThisThreadBlockILi256EEENS_16tensor_operation12element_wise11PassThroughES35_LNS_25InMemoryDataOperationEnumE0ENS5_IJLi8ELi256ELi16EEEENS5_IJLi8ELi32ELi1EEEENS5_IJLi1ELi0ELi2EEEESC_SC_RKS2Z_KS1O_S39_NS5_IJLi0ELi1ELi2EEEELi2ELi2ELi16ELi16ELi1ELi1ELb0ELb1ELi2EiEENS_13DynamicBufferILNS_16AddressSpaceEnumE1EKSC_lLb1ELNS_22AmdBufferCoherenceEnumE0EiEENSF_IJNS3F_ILS3G_2ESC_S1N_Lb1ELS3I_0EiEES3K_EEENSF_IJiiiEEENSE_INSF_IJNSG_INSF_IJiiiiEEENSF_IJiiiSN_EEELb0EEEEEES1T_S1V_S1U_lEENS_32ThreadwiseTensorSliceTransfer_v2ISD_SD_RKS3R_KS1X_NS5_IJLi8ELi1ELi1ELi32EEEENS5_IJLi1ELi2ELi0ELi3EEEELi3ELi32ELi0ELb1ELb0ELb0EEENS3F_ILS3G_1EKSD_lLb1ELS3I_0EiEENSF_IJNS_12StaticBufferILS3G_4ESD_Li256ELb1EEES42_EEES3N_NS_25StaticBufferTupleOfVectorILS3G_4EfLi64ELi4ELb1ELb0EEEEEvRKT1_RKT2_RT3_RKT4_RT5_RKT6_RKT7_RT8_RKT9_RT10_RKT11_RT12_iENKUlT_T0_E_clINSH_IiLi0EEESN_EEDaS51_S52_ENKUlS51_E_clINSH_IiLi6EEEEEDaS51_EUlS51_E_EEvS51_EUlS51_E_EEvS51_@rel32@hi+12
	s_swappc_b64 s[30:31], s[4:5]
	flat_load_dwordx2 v[12:13], v[30:31] offset:1148
	flat_load_dwordx2 v[14:15], v[30:31] offset:1164
	flat_load_dwordx4 v[0:3], v[30:31] offset:1176
	flat_load_dwordx3 v[8:10], v[30:31] offset:1132
	flat_load_dwordx2 v[16:17], v[28:29]
	s_waitcnt vmcnt(0) lgkmcnt(0)
	v_sub_u32_e32 v4, v12, v15
	v_add3_u32 v1, v4, v1, s46
	v_ashrrev_i32_e32 v4, 31, v1
	v_lshrrev_b32_e32 v4, 29, v4
	v_add_u32_e32 v4, v1, v4
	v_and_b32_e32 v4, -8, v4
	v_sub_u32_e32 v5, v13, v14
	v_sub_u32_e32 v6, v1, v10
	;; [unrolled: 1-line block ×3, first 2 shown]
	v_xor_b32_e32 v4, v1, v5
	v_sub_u32_e32 v4, v4, v9
	v_lshlrev_b32_e32 v10, 7, v6
	v_lshlrev_b32_e32 v4, 4, v4
	v_add3_u32 v4, v10, v8, v4
	v_ashrrev_i32_e32 v5, 31, v4
	v_add_co_u32_e32 v4, vcc, v16, v4
	v_addc_co_u32_e32 v5, vcc, v17, v5, vcc
	flat_load_dwordx4 v[4:7], v[4:5]
	v_add_u32_e32 v3, 16, v3
	v_sub_u32_e32 v2, v8, v2
	v_ashrrev_i32_e32 v8, 31, v3
	v_lshrrev_b32_e32 v8, 28, v8
	v_add_u32_e32 v0, v14, v0
	v_add_u32_e32 v8, v3, v8
	v_sub_u32_e32 v0, v13, v0
	v_lshrrev_b32_e32 v11, 4, v8
	v_add_u32_e32 v0, v0, v11
	v_xor_b32_e32 v0, v0, v1
	v_and_b32_e32 v8, -16, v8
	v_sub_u32_e32 v0, v0, v9
	v_add_u32_e32 v2, v2, v10
	v_sub_u32_e32 v3, v3, v8
	v_lshlrev_b32_e32 v0, 4, v0
	v_add3_u32 v0, v2, v3, v0
	v_ashrrev_i32_e32 v1, 31, v0
	v_add_co_u32_e32 v0, vcc, v16, v0
	v_addc_co_u32_e32 v1, vcc, v17, v1, vcc
	s_waitcnt vmcnt(0) lgkmcnt(0)
	buffer_store_dword v4, off, s[0:3], s33 offset:84
	buffer_store_dword v5, off, s[0:3], s33 offset:88
	;; [unrolled: 1-line block ×4, first 2 shown]
	flat_load_dwordx4 v[0:3], v[0:1]
	s_waitcnt vmcnt(0) lgkmcnt(0)
	buffer_store_dword v0, off, s[0:3], s33 offset:100
	buffer_store_dword v1, off, s[0:3], s33 offset:104
	;; [unrolled: 1-line block ×4, first 2 shown]
	v_mov_b32_e32 v0, s23
	v_mov_b32_e32 v1, s25
	;; [unrolled: 1-line block ×4, first 2 shown]
	s_swappc_b64 s[30:31], s[20:21]
	; sched_group_barrier mask(0x00000008) size(16) SyncID(0)
	; sched_group_barrier mask(0x00000100) size(1) SyncID(0)
	;; [unrolled: 1-line block ×4, first 2 shown]
	; sched_barrier mask(0x00000000)
	v_mov_b32_e32 v0, s29
	v_mov_b32_e32 v1, s34
	buffer_store_dword v65, off, s[0:3], s33 offset:12
	buffer_store_dword v67, off, s[0:3], s33 offset:8
	;; [unrolled: 1-line block ×10, first 2 shown]
	s_getpc_b64 s[4:5]
	s_add_u32 s4, s4, _ZNK2ck6detail7applierIiJLi0ELi1ELi2ELi3ELi4ELi5ELi6ELi7EEEclIZNKS_11static_fordINS_8SequenceIJLi1ELi8EEEENS5_IJLi0ELi1EEEEEclIZZZNKS_52BlockwiseGemmXdlops_pipeline_bpreshuffle_bdequant_v3ILNS_26BlockGemmPipelineSchedulerE0ELi256ENS_9f8_fnuz_tENS_7pk_i4_tESC_fNS_16TensorDescriptorINS_5TupleIJNS_5EmbedINSF_IJNS_17integral_constantIiLi8EEENSH_IiLi256EEENSH_IiLi16EEEEEENSF_IJSK_NSH_IiLi128EEENSH_IiLi1EEEEEELb0EEENS_3XorINSF_IJSJ_SI_EEELb1EEENS_11PassThroughISK_EENS_7UnMergeINSF_IJSI_SN_EEELb0EEENST_ISJ_EESU_NST_ISI_EENS_21Merge_v3_division_modINSF_IJSJ_SN_EEEEESU_EEENSF_IJNS5_IJLi0EEEENS5_IJLi2ELi1EEEENS5_IJLi3EEEENS5_IJLi5EEEENS5_IJLi4EEEENS5_IJLi6EEEENS5_IJLi7EEEENS5_IJLi9ELi8EEEENS5_IJLi10EEEEEEENSF_IJNS5_IJLi1ELi2ELi3EEEENS5_IJLi4ELi5EEEES19_NS5_IJLi7ELi8EEEENS5_IJLi9EEEES1C_NS5_IJLi11EEEENS5_IJLi12EEEENS5_IJLi13EEEEEEENS5_IJLi11ELi12ELi13EEEENSH_IlLl32768EEEEENSE_INSF_IJNSV_INSF_IJSI_SN_SN_NSH_IiLi32EEEEEELb0EEEEEENSF_IJS14_EEENSF_IJNS5_IJLi1ELi2ELi3ELi4EEEEEEES1U_NSH_IlLl256EEEEENSE_INSF_IJSP_SS_SU_SX_SY_SU_SZ_S12_SU_NS10_INSF_IJSI_SK_EEEEENSV_INSF_IJSI_NSH_IiLi2EEESK_EEELb0EEEEEENSF_IJS14_S15_S16_S17_S18_S19_S1A_S1B_S1C_NS5_IJLi11ELi13EEEES1J_EEENSF_IJS1E_S1F_S19_S1G_S1H_S1C_S1I_S1J_S1K_NS5_IJLi14EEEENS5_IJLi15ELi16ELi17EEEEEEENS5_IJLi15ELi16ELi17ELi14EEEES1N_EENSE_INSF_IJS1R_NS10_ISW_EES22_EEENSF_IJS14_NS5_IJLi1ELi3EEEENS5_IJLi2EEEEEEENSF_IJS1U_S17_NS5_IJLi6ELi7ELi8EEEEEEENS5_IJLi6ELi7ELi8ELi5EEEES1W_EELi16ELi32ELi256ELi256ELi128ELi16ELi16ELi8ELi8ELi32ELb0EE3RunILb1ELNS_10TailNumberE0ENSE_INSF_IJNSG_INSF_IJiiEEENSF_IJiSN_EEELb0EEENSV_IS2N_Lb0EEENST_IiEEEEENSF_IJS14_S2E_NS5_IJLi1EEEEEEENSF_IJNS5_IJLi1ELi2EEEENS5_IJLi3ELi4EEEES17_EEENS5_IJLi3ELi5ELi4EEEElEES1O_NS_35ThreadGroupTensorSliceTransfer_v4r1INS_15ThisThreadBlockILi256EEENS_16tensor_operation12element_wise11PassThroughES35_LNS_25InMemoryDataOperationEnumE0ENS5_IJLi8ELi256ELi16EEEENS5_IJLi8ELi32ELi1EEEENS5_IJLi1ELi0ELi2EEEESC_SC_RKS2Z_KS1O_S39_NS5_IJLi0ELi1ELi2EEEELi2ELi2ELi16ELi16ELi1ELi1ELb0ELb1ELi2EiEENS_13DynamicBufferILNS_16AddressSpaceEnumE1EKSC_lLb1ELNS_22AmdBufferCoherenceEnumE0EiEENSF_IJNS3F_ILS3G_2ESC_S1N_Lb1ELS3I_0EiEES3K_EEENSF_IJiiiEEENSE_INSF_IJNSG_INSF_IJiiiiEEENSF_IJiiiSN_EEELb0EEEEEES1T_S1V_S1U_lEENS_32ThreadwiseTensorSliceTransfer_v2ISD_SD_RKS3R_KS1X_NS5_IJLi8ELi1ELi1ELi32EEEENS5_IJLi1ELi2ELi0ELi3EEEELi3ELi32ELi0ELb1ELb0ELb0EEENS3F_ILS3G_1EKSD_lLb1ELS3I_0EiEENSF_IJNS_12StaticBufferILS3G_4ESD_Li256ELb1EEES42_EEES3N_NS_25StaticBufferTupleOfVectorILS3G_4EfLi64ELi4ELb1ELb0EEEEEvRKT1_RKT2_RT3_RKT4_RT5_RKT6_RKT7_RT8_RKT9_RT10_RKT11_RT12_iENKUlT_T0_E_clINSH_IiLi0EEESN_EEDaS51_S52_ENKUlS51_E_clINSH_IiLi7EEEEEDaS51_EUlS51_E_EEvS51_EUlS51_E_EEvS51_@rel32@lo+4
	s_addc_u32 s5, s5, _ZNK2ck6detail7applierIiJLi0ELi1ELi2ELi3ELi4ELi5ELi6ELi7EEEclIZNKS_11static_fordINS_8SequenceIJLi1ELi8EEEENS5_IJLi0ELi1EEEEEclIZZZNKS_52BlockwiseGemmXdlops_pipeline_bpreshuffle_bdequant_v3ILNS_26BlockGemmPipelineSchedulerE0ELi256ENS_9f8_fnuz_tENS_7pk_i4_tESC_fNS_16TensorDescriptorINS_5TupleIJNS_5EmbedINSF_IJNS_17integral_constantIiLi8EEENSH_IiLi256EEENSH_IiLi16EEEEEENSF_IJSK_NSH_IiLi128EEENSH_IiLi1EEEEEELb0EEENS_3XorINSF_IJSJ_SI_EEELb1EEENS_11PassThroughISK_EENS_7UnMergeINSF_IJSI_SN_EEELb0EEENST_ISJ_EESU_NST_ISI_EENS_21Merge_v3_division_modINSF_IJSJ_SN_EEEEESU_EEENSF_IJNS5_IJLi0EEEENS5_IJLi2ELi1EEEENS5_IJLi3EEEENS5_IJLi5EEEENS5_IJLi4EEEENS5_IJLi6EEEENS5_IJLi7EEEENS5_IJLi9ELi8EEEENS5_IJLi10EEEEEEENSF_IJNS5_IJLi1ELi2ELi3EEEENS5_IJLi4ELi5EEEES19_NS5_IJLi7ELi8EEEENS5_IJLi9EEEES1C_NS5_IJLi11EEEENS5_IJLi12EEEENS5_IJLi13EEEEEEENS5_IJLi11ELi12ELi13EEEENSH_IlLl32768EEEEENSE_INSF_IJNSV_INSF_IJSI_SN_SN_NSH_IiLi32EEEEEELb0EEEEEENSF_IJS14_EEENSF_IJNS5_IJLi1ELi2ELi3ELi4EEEEEEES1U_NSH_IlLl256EEEEENSE_INSF_IJSP_SS_SU_SX_SY_SU_SZ_S12_SU_NS10_INSF_IJSI_SK_EEEEENSV_INSF_IJSI_NSH_IiLi2EEESK_EEELb0EEEEEENSF_IJS14_S15_S16_S17_S18_S19_S1A_S1B_S1C_NS5_IJLi11ELi13EEEES1J_EEENSF_IJS1E_S1F_S19_S1G_S1H_S1C_S1I_S1J_S1K_NS5_IJLi14EEEENS5_IJLi15ELi16ELi17EEEEEEENS5_IJLi15ELi16ELi17ELi14EEEES1N_EENSE_INSF_IJS1R_NS10_ISW_EES22_EEENSF_IJS14_NS5_IJLi1ELi3EEEENS5_IJLi2EEEEEEENSF_IJS1U_S17_NS5_IJLi6ELi7ELi8EEEEEEENS5_IJLi6ELi7ELi8ELi5EEEES1W_EELi16ELi32ELi256ELi256ELi128ELi16ELi16ELi8ELi8ELi32ELb0EE3RunILb1ELNS_10TailNumberE0ENSE_INSF_IJNSG_INSF_IJiiEEENSF_IJiSN_EEELb0EEENSV_IS2N_Lb0EEENST_IiEEEEENSF_IJS14_S2E_NS5_IJLi1EEEEEEENSF_IJNS5_IJLi1ELi2EEEENS5_IJLi3ELi4EEEES17_EEENS5_IJLi3ELi5ELi4EEEElEES1O_NS_35ThreadGroupTensorSliceTransfer_v4r1INS_15ThisThreadBlockILi256EEENS_16tensor_operation12element_wise11PassThroughES35_LNS_25InMemoryDataOperationEnumE0ENS5_IJLi8ELi256ELi16EEEENS5_IJLi8ELi32ELi1EEEENS5_IJLi1ELi0ELi2EEEESC_SC_RKS2Z_KS1O_S39_NS5_IJLi0ELi1ELi2EEEELi2ELi2ELi16ELi16ELi1ELi1ELb0ELb1ELi2EiEENS_13DynamicBufferILNS_16AddressSpaceEnumE1EKSC_lLb1ELNS_22AmdBufferCoherenceEnumE0EiEENSF_IJNS3F_ILS3G_2ESC_S1N_Lb1ELS3I_0EiEES3K_EEENSF_IJiiiEEENSE_INSF_IJNSG_INSF_IJiiiiEEENSF_IJiiiSN_EEELb0EEEEEES1T_S1V_S1U_lEENS_32ThreadwiseTensorSliceTransfer_v2ISD_SD_RKS3R_KS1X_NS5_IJLi8ELi1ELi1ELi32EEEENS5_IJLi1ELi2ELi0ELi3EEEELi3ELi32ELi0ELb1ELb0ELb0EEENS3F_ILS3G_1EKSD_lLb1ELS3I_0EiEENSF_IJNS_12StaticBufferILS3G_4ESD_Li256ELb1EEES42_EEES3N_NS_25StaticBufferTupleOfVectorILS3G_4EfLi64ELi4ELb1ELb0EEEEEvRKT1_RKT2_RT3_RKT4_RT5_RKT6_RKT7_RT8_RKT9_RT10_RKT11_RT12_iENKUlT_T0_E_clINSH_IiLi0EEESN_EEDaS51_S52_ENKUlS51_E_clINSH_IiLi7EEEEEDaS51_EUlS51_E_EEvS51_EUlS51_E_EEvS51_@rel32@hi+12
	s_swappc_b64 s[30:31], s[4:5]
	s_waitcnt lgkmcnt(0)
	s_barrier
	flat_load_dwordx3 v[4:6], v[30:31] offset:1132
	flat_load_dwordx2 v[8:9], v[28:29] offset:16
	flat_load_dwordx2 v[10:11], v[30:31] offset:1184
	;; [unrolled: 1-line block ×3, first 2 shown]
	flat_load_dword v7, v[30:31] offset:1176
	s_waitcnt vmcnt(0) lgkmcnt(0)
	v_ashrrev_i32_e32 v1, 31, v4
	v_add_co_u32_e32 v0, vcc, v8, v4
	v_addc_co_u32_e32 v1, vcc, v9, v1, vcc
	flat_load_dwordx4 v[0:3], v[0:1]
	v_add_u32_e32 v11, 16, v11
	v_sub_u32_e32 v7, v13, v7
	v_ashrrev_i32_e32 v13, 31, v12
	v_sub_u32_e32 v6, v12, v6
	v_ashrrev_i32_e32 v14, 31, v11
	v_lshrrev_b32_e32 v13, 29, v13
	v_lshl_add_u32 v4, v6, 7, v4
	v_lshrrev_b32_e32 v6, 28, v14
	v_add_u32_e32 v13, v12, v13
	v_add_u32_e32 v6, v11, v6
	v_sub_u32_e32 v4, v4, v10
	v_and_b32_e32 v10, 0xffffff8, v13
	v_lshrrev_b32_e32 v13, 4, v6
	v_sub_u32_e32 v10, v12, v10
	v_add_u32_e32 v7, v7, v13
	v_xor_b32_e32 v7, v7, v10
	v_and_b32_e32 v6, -16, v6
	v_sub_u32_e32 v5, v7, v5
	v_sub_u32_e32 v6, v11, v6
	v_lshlrev_b32_e32 v5, 4, v5
	v_add3_u32 v4, v4, v6, v5
	v_ashrrev_i32_e32 v5, 31, v4
	v_add_co_u32_e32 v4, vcc, v8, v4
	v_addc_co_u32_e32 v5, vcc, v9, v5, vcc
	s_waitcnt vmcnt(0) lgkmcnt(0)
	buffer_store_dword v0, off, s[0:3], s33 offset:52
	buffer_store_dword v1, off, s[0:3], s33 offset:56
	;; [unrolled: 1-line block ×4, first 2 shown]
	flat_load_dwordx4 v[2:5], v[4:5]
	v_mov_b32_e32 v1, s15
	v_mov_b32_e32 v0, v64
	s_waitcnt vmcnt(0) lgkmcnt(0)
	buffer_store_dword v2, off, s[0:3], s33 offset:68
	buffer_store_dword v3, off, s[0:3], s33 offset:72
	v_mov_b32_e32 v2, s35
	v_mov_b32_e32 v3, s36
	buffer_store_dword v4, off, s[0:3], s33 offset:76
	buffer_store_dword v5, off, s[0:3], s33 offset:80
	s_swappc_b64 s[30:31], s[20:21]
	; sched_group_barrier mask(0x00000008) size(16) SyncID(0)
	; sched_group_barrier mask(0x00000100) size(1) SyncID(0)
	;; [unrolled: 1-line block ×4, first 2 shown]
	; sched_barrier mask(0x00000000)
	flat_load_dwordx4 v[0:3], v[34:35]
	flat_load_dwordx3 v[8:10], v[36:37]
	s_mov_b64 s[6:7], exec
	s_waitcnt vmcnt(0) lgkmcnt(0)
	v_lshrrev_b32_e32 v5, 31, v3
	v_lshrrev_b32_e32 v4, 31, v8
	v_add_co_u32_e32 v2, vcc, v2, v5
	v_add_u32_e32 v4, v8, v4
	v_addc_co_u32_e32 v5, vcc, 0, v3, vcc
	v_mov_b32_e32 v3, s37
	v_ashrrev_i32_e32 v11, 1, v4
	v_alignbit_b32 v2, v5, v2, 1
.LBB26_105:                             ;   Parent Loop BB26_64 Depth=1
                                        ; =>  This Inner Loop Header: Depth=2
	v_readfirstlane_b32 s8, v0
	v_readfirstlane_b32 s9, v1
	v_readfirstlane_b32 s10, v2
	v_readfirstlane_b32 s11, v3
	v_cmp_eq_u64_e32 vcc, s[8:9], v[0:1]
	v_cmp_eq_u64_e64 s[4:5], s[10:11], v[2:3]
	s_and_b64 s[4:5], vcc, s[4:5]
	s_and_saveexec_b64 s[4:5], s[4:5]
	s_nop 0
	buffer_load_dwordx4 v[4:7], v11, s[8:11], 0 offen
                                        ; implicit-def: $vgpr11
	s_xor_b64 exec, exec, s[4:5]
	s_cbranch_execnz .LBB26_105
; %bb.106:                              ;   in Loop: Header=BB26_64 Depth=1
	s_mov_b64 exec, s[6:7]
	v_add_u32_e32 v11, 1, v9
	flat_store_dword v[36:37], v11 offset:4
	flat_load_dword v11, v[38:39] offset:16
	s_waitcnt vmcnt(0)
	buffer_store_dword v7, off, s[0:3], s33 offset:128
	buffer_store_dword v6, off, s[0:3], s33 offset:124
	buffer_store_dword v5, off, s[0:3], s33 offset:120
	buffer_store_dword v4, off, s[0:3], s33 offset:116
	s_mov_b64 s[6:7], exec
	s_waitcnt lgkmcnt(0)
	v_add_u32_e32 v8, v11, v8
	v_lshrrev_b32_e32 v4, 31, v8
	v_add_u32_e32 v4, v8, v4
	v_ashrrev_i32_e32 v11, 1, v4
	flat_store_dword v[36:37], v8
.LBB26_107:                             ;   Parent Loop BB26_64 Depth=1
                                        ; =>  This Inner Loop Header: Depth=2
	v_readfirstlane_b32 s8, v0
	v_readfirstlane_b32 s9, v1
	v_readfirstlane_b32 s10, v2
	v_readfirstlane_b32 s11, v3
	v_cmp_eq_u64_e32 vcc, s[8:9], v[0:1]
	v_cmp_eq_u64_e64 s[4:5], s[10:11], v[2:3]
	s_and_b64 s[4:5], vcc, s[4:5]
	s_and_saveexec_b64 s[4:5], s[4:5]
	s_nop 0
	buffer_load_dwordx4 v[4:7], v11, s[8:11], 0 offen
                                        ; implicit-def: $vgpr11
	s_xor_b64 exec, exec, s[4:5]
	s_cbranch_execnz .LBB26_107
; %bb.108:                              ;   in Loop: Header=BB26_64 Depth=1
	s_mov_b64 exec, s[6:7]
	v_add_u32_e32 v11, 2, v9
	flat_store_dword v[36:37], v11 offset:4
	flat_load_dword v11, v[38:39] offset:16
	s_waitcnt vmcnt(0)
	buffer_store_dword v7, off, s[0:3], s33 offset:160
	buffer_store_dword v6, off, s[0:3], s33 offset:156
	buffer_store_dword v5, off, s[0:3], s33 offset:152
	buffer_store_dword v4, off, s[0:3], s33 offset:148
	s_mov_b64 s[6:7], exec
	s_waitcnt lgkmcnt(0)
	v_add_u32_e32 v8, v11, v8
	v_lshrrev_b32_e32 v4, 31, v8
	v_add_u32_e32 v4, v8, v4
	v_ashrrev_i32_e32 v11, 1, v4
	flat_store_dword v[36:37], v8
	;; [unrolled: 32-line block ×7, first 2 shown]
.LBB26_119:                             ;   Parent Loop BB26_64 Depth=1
                                        ; =>  This Inner Loop Header: Depth=2
	v_readfirstlane_b32 s8, v0
	v_readfirstlane_b32 s9, v1
	;; [unrolled: 1-line block ×4, first 2 shown]
	v_cmp_eq_u64_e32 vcc, s[8:9], v[0:1]
	v_cmp_eq_u64_e64 s[4:5], s[10:11], v[2:3]
	s_and_b64 s[4:5], vcc, s[4:5]
	s_and_saveexec_b64 s[4:5], s[4:5]
	s_nop 0
	buffer_load_dwordx4 v[4:7], v11, s[8:11], 0 offen
                                        ; implicit-def: $vgpr0_vgpr1_vgpr2_vgpr3
                                        ; implicit-def: $vgpr11
	s_xor_b64 exec, exec, s[4:5]
	s_cbranch_execnz .LBB26_119
; %bb.120:                              ;   in Loop: Header=BB26_64 Depth=1
	s_mov_b64 exec, s[6:7]
	flat_store_dword v[36:37], v9 offset:4
	flat_load_dword v0, v[38:39] offset:16
	s_waitcnt vmcnt(0) lgkmcnt(0)
	v_mad_u64_u32 v[12:13], s[4:5], v0, -7, v[8:9]
	flat_store_dword v[36:37], v12
	flat_load_dwordx4 v[0:3], v[32:33]
	flat_load_dwordx2 v[14:15], v[36:37] offset:12
	s_nop 0
	buffer_store_dword v7, off, s[0:3], s33 offset:352
	buffer_store_dword v6, off, s[0:3], s33 offset:348
	;; [unrolled: 1-line block ×4, first 2 shown]
	s_waitcnt vmcnt(0) lgkmcnt(0)
	v_or_b32_e32 v8, v1, v2
	v_or3_b32 v8, v8, v0, v3
	v_add_u32_e32 v5, v10, v1
	v_add_u32_e32 v4, v9, v0
	;; [unrolled: 1-line block ×4, first 2 shown]
	v_cmp_ne_u32_e32 vcc, 0, v8
	flat_store_dwordx4 v[36:37], v[4:7] offset:4
	s_and_saveexec_b64 s[4:5], vcc
	s_cbranch_execz .LBB26_122
; %bb.121:                              ;   in Loop: Header=BB26_64 Depth=1
	flat_load_dwordx3 v[4:6], v[38:39] offset:16
	s_waitcnt vmcnt(0) lgkmcnt(0)
	v_mul_lo_u32 v0, v4, v0
	v_mul_lo_u32 v2, v6, v2
	;; [unrolled: 1-line block ×3, first 2 shown]
	v_add3_u32 v0, v3, v12, v0
	v_add3_u32 v0, v0, v1, v2
	flat_store_dword v[36:37], v0
.LBB26_122:                             ;   in Loop: Header=BB26_64 Depth=1
	s_or_b64 exec, exec, s[4:5]
	v_mov_b32_e32 v70, s28
	v_mov_b32_e32 v71, s27
	;; [unrolled: 1-line block ×10, first 2 shown]
	buffer_store_dword v70, off, s[0:3], s33 offset:12
	buffer_store_dword v71, off, s[0:3], s33 offset:8
	buffer_store_dword v80, off, s[0:3], s33 offset:20
	buffer_store_dword v81, off, s[0:3], s33 offset:16
	buffer_store_dword v82, off, s[0:3], s33 offset:28
	buffer_store_dword v83, off, s[0:3], s33 offset:24
	buffer_store_dword v84, off, s[0:3], s33 offset:36
	buffer_store_dword v85, off, s[0:3], s33 offset:32
	buffer_store_dword v27, off, s[0:3], s33 offset:44
	buffer_store_dword v26, off, s[0:3], s33 offset:40
	s_getpc_b64 s[4:5]
	s_add_u32 s4, s4, _ZNK2ck6detail7applierIiJLi0ELi1ELi2ELi3ELi4ELi5ELi6ELi7EEEclIZNKS_11static_fordINS_8SequenceIJLi1ELi8EEEENS5_IJLi0ELi1EEEEEclIZZZNKS_52BlockwiseGemmXdlops_pipeline_bpreshuffle_bdequant_v3ILNS_26BlockGemmPipelineSchedulerE0ELi256ENS_9f8_fnuz_tENS_7pk_i4_tESC_fNS_16TensorDescriptorINS_5TupleIJNS_5EmbedINSF_IJNS_17integral_constantIiLi8EEENSH_IiLi256EEENSH_IiLi16EEEEEENSF_IJSK_NSH_IiLi128EEENSH_IiLi1EEEEEELb0EEENS_3XorINSF_IJSJ_SI_EEELb1EEENS_11PassThroughISK_EENS_7UnMergeINSF_IJSI_SN_EEELb0EEENST_ISJ_EESU_NST_ISI_EENS_21Merge_v3_division_modINSF_IJSJ_SN_EEEEESU_EEENSF_IJNS5_IJLi0EEEENS5_IJLi2ELi1EEEENS5_IJLi3EEEENS5_IJLi5EEEENS5_IJLi4EEEENS5_IJLi6EEEENS5_IJLi7EEEENS5_IJLi9ELi8EEEENS5_IJLi10EEEEEEENSF_IJNS5_IJLi1ELi2ELi3EEEENS5_IJLi4ELi5EEEES19_NS5_IJLi7ELi8EEEENS5_IJLi9EEEES1C_NS5_IJLi11EEEENS5_IJLi12EEEENS5_IJLi13EEEEEEENS5_IJLi11ELi12ELi13EEEENSH_IlLl32768EEEEENSE_INSF_IJNSV_INSF_IJSI_SN_SN_NSH_IiLi32EEEEEELb0EEEEEENSF_IJS14_EEENSF_IJNS5_IJLi1ELi2ELi3ELi4EEEEEEES1U_NSH_IlLl256EEEEENSE_INSF_IJSP_SS_SU_SX_SY_SU_SZ_S12_SU_NS10_INSF_IJSI_SK_EEEEENSV_INSF_IJSI_NSH_IiLi2EEESK_EEELb0EEEEEENSF_IJS14_S15_S16_S17_S18_S19_S1A_S1B_S1C_NS5_IJLi11ELi13EEEES1J_EEENSF_IJS1E_S1F_S19_S1G_S1H_S1C_S1I_S1J_S1K_NS5_IJLi14EEEENS5_IJLi15ELi16ELi17EEEEEEENS5_IJLi15ELi16ELi17ELi14EEEES1N_EENSE_INSF_IJS1R_NS10_ISW_EES22_EEENSF_IJS14_NS5_IJLi1ELi3EEEENS5_IJLi2EEEEEEENSF_IJS1U_S17_NS5_IJLi6ELi7ELi8EEEEEEENS5_IJLi6ELi7ELi8ELi5EEEES1W_EELi16ELi32ELi256ELi256ELi128ELi16ELi16ELi8ELi8ELi32ELb0EE3RunILb1ELNS_10TailNumberE0ENSE_INSF_IJNSG_INSF_IJiiEEENSF_IJiSN_EEELb0EEENSV_IS2N_Lb0EEENST_IiEEEEENSF_IJS14_S2E_NS5_IJLi1EEEEEEENSF_IJNS5_IJLi1ELi2EEEENS5_IJLi3ELi4EEEES17_EEENS5_IJLi3ELi5ELi4EEEElEES1O_NS_35ThreadGroupTensorSliceTransfer_v4r1INS_15ThisThreadBlockILi256EEENS_16tensor_operation12element_wise11PassThroughES35_LNS_25InMemoryDataOperationEnumE0ENS5_IJLi8ELi256ELi16EEEENS5_IJLi8ELi32ELi1EEEENS5_IJLi1ELi0ELi2EEEESC_SC_RKS2Z_KS1O_S39_NS5_IJLi0ELi1ELi2EEEELi2ELi2ELi16ELi16ELi1ELi1ELb0ELb1ELi2EiEENS_13DynamicBufferILNS_16AddressSpaceEnumE1EKSC_lLb1ELNS_22AmdBufferCoherenceEnumE0EiEENSF_IJNS3F_ILS3G_2ESC_S1N_Lb1ELS3I_0EiEES3K_EEENSF_IJiiiEEENSE_INSF_IJNSG_INSF_IJiiiiEEENSF_IJiiiSN_EEELb0EEEEEES1T_S1V_S1U_lEENS_32ThreadwiseTensorSliceTransfer_v2ISD_SD_RKS3R_KS1X_NS5_IJLi8ELi1ELi1ELi32EEEENS5_IJLi1ELi2ELi0ELi3EEEELi3ELi32ELi0ELb1ELb0ELb0EEENS3F_ILS3G_1EKSD_lLb1ELS3I_0EiEENSF_IJNS_12StaticBufferILS3G_4ESD_Li256ELb1EEES42_EEES3N_NS_25StaticBufferTupleOfVectorILS3G_4EfLi64ELi4ELb1ELb0EEEEEvRKT1_RKT2_RT3_RKT4_RT5_RKT6_RKT7_RT8_RKT9_RT10_RKT11_RT12_iENKUlT_T0_E_clISN_NSH_IiLi0EEEEEDaS51_S52_ENKUlS51_E_clIS55_EEDaS51_EUlS51_E_EEvS51_EUlS51_E_EEvS51_@rel32@lo+4
	s_addc_u32 s5, s5, _ZNK2ck6detail7applierIiJLi0ELi1ELi2ELi3ELi4ELi5ELi6ELi7EEEclIZNKS_11static_fordINS_8SequenceIJLi1ELi8EEEENS5_IJLi0ELi1EEEEEclIZZZNKS_52BlockwiseGemmXdlops_pipeline_bpreshuffle_bdequant_v3ILNS_26BlockGemmPipelineSchedulerE0ELi256ENS_9f8_fnuz_tENS_7pk_i4_tESC_fNS_16TensorDescriptorINS_5TupleIJNS_5EmbedINSF_IJNS_17integral_constantIiLi8EEENSH_IiLi256EEENSH_IiLi16EEEEEENSF_IJSK_NSH_IiLi128EEENSH_IiLi1EEEEEELb0EEENS_3XorINSF_IJSJ_SI_EEELb1EEENS_11PassThroughISK_EENS_7UnMergeINSF_IJSI_SN_EEELb0EEENST_ISJ_EESU_NST_ISI_EENS_21Merge_v3_division_modINSF_IJSJ_SN_EEEEESU_EEENSF_IJNS5_IJLi0EEEENS5_IJLi2ELi1EEEENS5_IJLi3EEEENS5_IJLi5EEEENS5_IJLi4EEEENS5_IJLi6EEEENS5_IJLi7EEEENS5_IJLi9ELi8EEEENS5_IJLi10EEEEEEENSF_IJNS5_IJLi1ELi2ELi3EEEENS5_IJLi4ELi5EEEES19_NS5_IJLi7ELi8EEEENS5_IJLi9EEEES1C_NS5_IJLi11EEEENS5_IJLi12EEEENS5_IJLi13EEEEEEENS5_IJLi11ELi12ELi13EEEENSH_IlLl32768EEEEENSE_INSF_IJNSV_INSF_IJSI_SN_SN_NSH_IiLi32EEEEEELb0EEEEEENSF_IJS14_EEENSF_IJNS5_IJLi1ELi2ELi3ELi4EEEEEEES1U_NSH_IlLl256EEEEENSE_INSF_IJSP_SS_SU_SX_SY_SU_SZ_S12_SU_NS10_INSF_IJSI_SK_EEEEENSV_INSF_IJSI_NSH_IiLi2EEESK_EEELb0EEEEEENSF_IJS14_S15_S16_S17_S18_S19_S1A_S1B_S1C_NS5_IJLi11ELi13EEEES1J_EEENSF_IJS1E_S1F_S19_S1G_S1H_S1C_S1I_S1J_S1K_NS5_IJLi14EEEENS5_IJLi15ELi16ELi17EEEEEEENS5_IJLi15ELi16ELi17ELi14EEEES1N_EENSE_INSF_IJS1R_NS10_ISW_EES22_EEENSF_IJS14_NS5_IJLi1ELi3EEEENS5_IJLi2EEEEEEENSF_IJS1U_S17_NS5_IJLi6ELi7ELi8EEEEEEENS5_IJLi6ELi7ELi8ELi5EEEES1W_EELi16ELi32ELi256ELi256ELi128ELi16ELi16ELi8ELi8ELi32ELb0EE3RunILb1ELNS_10TailNumberE0ENSE_INSF_IJNSG_INSF_IJiiEEENSF_IJiSN_EEELb0EEENSV_IS2N_Lb0EEENST_IiEEEEENSF_IJS14_S2E_NS5_IJLi1EEEEEEENSF_IJNS5_IJLi1ELi2EEEENS5_IJLi3ELi4EEEES17_EEENS5_IJLi3ELi5ELi4EEEElEES1O_NS_35ThreadGroupTensorSliceTransfer_v4r1INS_15ThisThreadBlockILi256EEENS_16tensor_operation12element_wise11PassThroughES35_LNS_25InMemoryDataOperationEnumE0ENS5_IJLi8ELi256ELi16EEEENS5_IJLi8ELi32ELi1EEEENS5_IJLi1ELi0ELi2EEEESC_SC_RKS2Z_KS1O_S39_NS5_IJLi0ELi1ELi2EEEELi2ELi2ELi16ELi16ELi1ELi1ELb0ELb1ELi2EiEENS_13DynamicBufferILNS_16AddressSpaceEnumE1EKSC_lLb1ELNS_22AmdBufferCoherenceEnumE0EiEENSF_IJNS3F_ILS3G_2ESC_S1N_Lb1ELS3I_0EiEES3K_EEENSF_IJiiiEEENSE_INSF_IJNSG_INSF_IJiiiiEEENSF_IJiiiSN_EEELb0EEEEEES1T_S1V_S1U_lEENS_32ThreadwiseTensorSliceTransfer_v2ISD_SD_RKS3R_KS1X_NS5_IJLi8ELi1ELi1ELi32EEEENS5_IJLi1ELi2ELi0ELi3EEEELi3ELi32ELi0ELb1ELb0ELb0EEENS3F_ILS3G_1EKSD_lLb1ELS3I_0EiEENSF_IJNS_12StaticBufferILS3G_4ESD_Li256ELb1EEES42_EEES3N_NS_25StaticBufferTupleOfVectorILS3G_4EfLi64ELi4ELb1ELb0EEEEEvRKT1_RKT2_RT3_RKT4_RT5_RKT6_RKT7_RT8_RKT9_RT10_RKT11_RT12_iENKUlT_T0_E_clISN_NSH_IiLi0EEEEEDaS51_S52_ENKUlS51_E_clIS55_EEDaS51_EUlS51_E_EEvS51_EUlS51_E_EEvS51_@rel32@hi+12
	s_swappc_b64 s[30:31], s[4:5]
	flat_load_dwordx2 v[12:13], v[30:31] offset:1148
	flat_load_dwordx2 v[14:15], v[30:31] offset:1164
	flat_load_dwordx4 v[0:3], v[30:31] offset:1176
	flat_load_dwordx3 v[8:10], v[30:31] offset:1132
	flat_load_dwordx2 v[16:17], v[28:29] offset:16
	s_getpc_b64 s[20:21]
	s_add_u32 s20, s20, _ZNK2ck44ThreadwiseTensorSliceTransfer_StaticToStaticINS_7pk_i4_tENS_9f8_fnuz_tEKNS_16TensorDescriptorINS_5TupleIJNS_7UnMergeINS4_IJNS_17integral_constantIiLi8EEENS6_IiLi1EEES8_NS6_IiLi32EEEEEELb0EEEEEENS4_IJNS_8SequenceIJLi0EEEEEEENS4_IJNSD_IJLi1ELi2ELi3ELi4EEEEEEESG_NS6_IlLl256EEEEESK_NS_16tensor_operation12element_wise11PassThroughENSD_IJLi8ELi1ELi1ELi32EEEENSD_IJLi1ELi2ELi0ELi3EEEELi3ELi32ELb0EE3RunINS4_IJNS6_IiLi0EEESS_SS_SS_EEEST_NS_12StaticBufferILNS_16AddressSpaceEnumE4ES1_Li256ELb1EEENSU_ILSV_4ES2_Li256ELb1EEEEEvRSK_RKT_RKT1_SY_RKT0_RT2_@rel32@lo+4
	s_addc_u32 s21, s21, _ZNK2ck44ThreadwiseTensorSliceTransfer_StaticToStaticINS_7pk_i4_tENS_9f8_fnuz_tEKNS_16TensorDescriptorINS_5TupleIJNS_7UnMergeINS4_IJNS_17integral_constantIiLi8EEENS6_IiLi1EEES8_NS6_IiLi32EEEEEELb0EEEEEENS4_IJNS_8SequenceIJLi0EEEEEEENS4_IJNSD_IJLi1ELi2ELi3ELi4EEEEEEESG_NS6_IlLl256EEEEESK_NS_16tensor_operation12element_wise11PassThroughENSD_IJLi8ELi1ELi1ELi32EEEENSD_IJLi1ELi2ELi0ELi3EEEELi3ELi32ELb0EE3RunINS4_IJNS6_IiLi0EEESS_SS_SS_EEEST_NS_12StaticBufferILNS_16AddressSpaceEnumE4ES1_Li256ELb1EEENSU_ILSV_4ES2_Li256ELb1EEEEEvRSK_RKT_RKT1_SY_RKT0_RT2_@rel32@hi+12
	s_waitcnt vmcnt(0) lgkmcnt(0)
	v_sub_u32_e32 v4, v12, v15
	v_add3_u32 v1, v4, v1, 32
	v_ashrrev_i32_e32 v4, 31, v1
	v_lshrrev_b32_e32 v4, 29, v4
	v_add_u32_e32 v4, v1, v4
	v_and_b32_e32 v4, -8, v4
	v_sub_u32_e32 v5, v13, v14
	v_sub_u32_e32 v6, v1, v10
	;; [unrolled: 1-line block ×3, first 2 shown]
	v_xor_b32_e32 v4, v1, v5
	v_sub_u32_e32 v4, v4, v9
	v_lshlrev_b32_e32 v10, 7, v6
	v_lshlrev_b32_e32 v4, 4, v4
	v_add3_u32 v4, v10, v8, v4
	v_ashrrev_i32_e32 v5, 31, v4
	v_add_co_u32_e32 v4, vcc, v16, v4
	v_addc_co_u32_e32 v5, vcc, v17, v5, vcc
	flat_load_dwordx4 v[4:7], v[4:5]
	v_add_u32_e32 v3, 16, v3
	v_sub_u32_e32 v2, v8, v2
	v_ashrrev_i32_e32 v8, 31, v3
	v_lshrrev_b32_e32 v8, 28, v8
	v_add_u32_e32 v0, v14, v0
	v_add_u32_e32 v8, v3, v8
	v_sub_u32_e32 v0, v13, v0
	v_lshrrev_b32_e32 v11, 4, v8
	v_add_u32_e32 v0, v0, v11
	v_xor_b32_e32 v0, v0, v1
	v_and_b32_e32 v8, -16, v8
	v_sub_u32_e32 v0, v0, v9
	v_add_u32_e32 v2, v2, v10
	v_sub_u32_e32 v3, v3, v8
	v_lshlrev_b32_e32 v0, 4, v0
	v_add3_u32 v0, v2, v3, v0
	v_ashrrev_i32_e32 v1, 31, v0
	v_add_co_u32_e32 v0, vcc, v16, v0
	v_addc_co_u32_e32 v1, vcc, v17, v1, vcc
	s_waitcnt vmcnt(0) lgkmcnt(0)
	buffer_store_dword v4, off, s[0:3], s33 offset:84
	buffer_store_dword v5, off, s[0:3], s33 offset:88
	;; [unrolled: 1-line block ×4, first 2 shown]
	flat_load_dwordx4 v[0:3], v[0:1]
	s_waitcnt vmcnt(0) lgkmcnt(0)
	buffer_store_dword v0, off, s[0:3], s33 offset:100
	buffer_store_dword v1, off, s[0:3], s33 offset:104
	;; [unrolled: 1-line block ×4, first 2 shown]
	v_mov_b32_e32 v0, v64
	v_mov_b32_e32 v2, s35
	;; [unrolled: 1-line block ×4, first 2 shown]
	s_swappc_b64 s[30:31], s[20:21]
	; sched_group_barrier mask(0x00000008) size(4) SyncID(0)
	; sched_group_barrier mask(0x00000020) size(1) SyncID(0)
	; sched_group_barrier mask(0x00000008) size(4) SyncID(0)
	; sched_group_barrier mask(0x00000020) size(1) SyncID(0)
	; sched_group_barrier mask(0x00000008) size(4) SyncID(0)
	; sched_group_barrier mask(0x00000020) size(1) SyncID(0)
	; sched_group_barrier mask(0x00000008) size(1) SyncID(0)
	; sched_group_barrier mask(0x00000100) size(1) SyncID(0)
	; sched_group_barrier mask(0x00000008) size(3) SyncID(0)
	; sched_group_barrier mask(0x00000020) size(1) SyncID(0)
	; sched_group_barrier mask(0x00000008) size(4) SyncID(0)
	; sched_group_barrier mask(0x00000020) size(1) SyncID(0)
	; sched_group_barrier mask(0x00000008) size(4) SyncID(0)
	; sched_group_barrier mask(0x00000020) size(1) SyncID(0)
	; sched_group_barrier mask(0x00000008) size(4) SyncID(0)
	; sched_group_barrier mask(0x00000020) size(1) SyncID(0)
	; sched_group_barrier mask(0x00000008) size(1) SyncID(0)
	; sched_group_barrier mask(0x00000100) size(1) SyncID(0)
	; sched_group_barrier mask(0x00000008) size(3) SyncID(0)
	; sched_group_barrier mask(0x00000020) size(1) SyncID(0)
	; sched_barrier mask(0x00000000)
	flat_load_ubyte v4, v[52:53] offset:288
	flat_load_ubyte v8, v[52:53] offset:304
	flat_load_dwordx4 v[0:3], v[52:53]
	flat_load_ubyte v12, v[52:53] offset:320
	s_getpc_b64 s[4:5]
	s_add_u32 s4, s4, _ZNK2ck6detail7applierIiJLi0ELi1ELi2ELi3ELi4ELi5ELi6ELi7EEEclIZNKS_11static_fordINS_8SequenceIJLi1ELi8EEEENS5_IJLi0ELi1EEEEEclIZZZNKS_52BlockwiseGemmXdlops_pipeline_bpreshuffle_bdequant_v3ILNS_26BlockGemmPipelineSchedulerE0ELi256ENS_9f8_fnuz_tENS_7pk_i4_tESC_fNS_16TensorDescriptorINS_5TupleIJNS_5EmbedINSF_IJNS_17integral_constantIiLi8EEENSH_IiLi256EEENSH_IiLi16EEEEEENSF_IJSK_NSH_IiLi128EEENSH_IiLi1EEEEEELb0EEENS_3XorINSF_IJSJ_SI_EEELb1EEENS_11PassThroughISK_EENS_7UnMergeINSF_IJSI_SN_EEELb0EEENST_ISJ_EESU_NST_ISI_EENS_21Merge_v3_division_modINSF_IJSJ_SN_EEEEESU_EEENSF_IJNS5_IJLi0EEEENS5_IJLi2ELi1EEEENS5_IJLi3EEEENS5_IJLi5EEEENS5_IJLi4EEEENS5_IJLi6EEEENS5_IJLi7EEEENS5_IJLi9ELi8EEEENS5_IJLi10EEEEEEENSF_IJNS5_IJLi1ELi2ELi3EEEENS5_IJLi4ELi5EEEES19_NS5_IJLi7ELi8EEEENS5_IJLi9EEEES1C_NS5_IJLi11EEEENS5_IJLi12EEEENS5_IJLi13EEEEEEENS5_IJLi11ELi12ELi13EEEENSH_IlLl32768EEEEENSE_INSF_IJNSV_INSF_IJSI_SN_SN_NSH_IiLi32EEEEEELb0EEEEEENSF_IJS14_EEENSF_IJNS5_IJLi1ELi2ELi3ELi4EEEEEEES1U_NSH_IlLl256EEEEENSE_INSF_IJSP_SS_SU_SX_SY_SU_SZ_S12_SU_NS10_INSF_IJSI_SK_EEEEENSV_INSF_IJSI_NSH_IiLi2EEESK_EEELb0EEEEEENSF_IJS14_S15_S16_S17_S18_S19_S1A_S1B_S1C_NS5_IJLi11ELi13EEEES1J_EEENSF_IJS1E_S1F_S19_S1G_S1H_S1C_S1I_S1J_S1K_NS5_IJLi14EEEENS5_IJLi15ELi16ELi17EEEEEEENS5_IJLi15ELi16ELi17ELi14EEEES1N_EENSE_INSF_IJS1R_NS10_ISW_EES22_EEENSF_IJS14_NS5_IJLi1ELi3EEEENS5_IJLi2EEEEEEENSF_IJS1U_S17_NS5_IJLi6ELi7ELi8EEEEEEENS5_IJLi6ELi7ELi8ELi5EEEES1W_EELi16ELi32ELi256ELi256ELi128ELi16ELi16ELi8ELi8ELi32ELb0EE3RunILb1ELNS_10TailNumberE0ENSE_INSF_IJNSG_INSF_IJiiEEENSF_IJiSN_EEELb0EEENSV_IS2N_Lb0EEENST_IiEEEEENSF_IJS14_S2E_NS5_IJLi1EEEEEEENSF_IJNS5_IJLi1ELi2EEEENS5_IJLi3ELi4EEEES17_EEENS5_IJLi3ELi5ELi4EEEElEES1O_NS_35ThreadGroupTensorSliceTransfer_v4r1INS_15ThisThreadBlockILi256EEENS_16tensor_operation12element_wise11PassThroughES35_LNS_25InMemoryDataOperationEnumE0ENS5_IJLi8ELi256ELi16EEEENS5_IJLi8ELi32ELi1EEEENS5_IJLi1ELi0ELi2EEEESC_SC_RKS2Z_KS1O_S39_NS5_IJLi0ELi1ELi2EEEELi2ELi2ELi16ELi16ELi1ELi1ELb0ELb1ELi2EiEENS_13DynamicBufferILNS_16AddressSpaceEnumE1EKSC_lLb1ELNS_22AmdBufferCoherenceEnumE0EiEENSF_IJNS3F_ILS3G_2ESC_S1N_Lb1ELS3I_0EiEES3K_EEENSF_IJiiiEEENSE_INSF_IJNSG_INSF_IJiiiiEEENSF_IJiiiSN_EEELb0EEEEEES1T_S1V_S1U_lEENS_32ThreadwiseTensorSliceTransfer_v2ISD_SD_RKS3R_KS1X_NS5_IJLi8ELi1ELi1ELi32EEEENS5_IJLi1ELi2ELi0ELi3EEEELi3ELi32ELi0ELb1ELb0ELb0EEENS3F_ILS3G_1EKSD_lLb1ELS3I_0EiEENSF_IJNS_12StaticBufferILS3G_4ESD_Li256ELb1EEES42_EEES3N_NS_25StaticBufferTupleOfVectorILS3G_4EfLi64ELi4ELb1ELb0EEEEEvRKT1_RKT2_RT3_RKT4_RT5_RKT6_RKT7_RT8_RKT9_RT10_RKT11_RT12_iENKUlT_T0_E_clISN_NSH_IiLi0EEEEEDaS51_S52_ENKUlS51_E_clISN_EEDaS51_EUlS51_E_EEvS51_EUlS51_E_EEvS51_@rel32@lo+4
	s_addc_u32 s5, s5, _ZNK2ck6detail7applierIiJLi0ELi1ELi2ELi3ELi4ELi5ELi6ELi7EEEclIZNKS_11static_fordINS_8SequenceIJLi1ELi8EEEENS5_IJLi0ELi1EEEEEclIZZZNKS_52BlockwiseGemmXdlops_pipeline_bpreshuffle_bdequant_v3ILNS_26BlockGemmPipelineSchedulerE0ELi256ENS_9f8_fnuz_tENS_7pk_i4_tESC_fNS_16TensorDescriptorINS_5TupleIJNS_5EmbedINSF_IJNS_17integral_constantIiLi8EEENSH_IiLi256EEENSH_IiLi16EEEEEENSF_IJSK_NSH_IiLi128EEENSH_IiLi1EEEEEELb0EEENS_3XorINSF_IJSJ_SI_EEELb1EEENS_11PassThroughISK_EENS_7UnMergeINSF_IJSI_SN_EEELb0EEENST_ISJ_EESU_NST_ISI_EENS_21Merge_v3_division_modINSF_IJSJ_SN_EEEEESU_EEENSF_IJNS5_IJLi0EEEENS5_IJLi2ELi1EEEENS5_IJLi3EEEENS5_IJLi5EEEENS5_IJLi4EEEENS5_IJLi6EEEENS5_IJLi7EEEENS5_IJLi9ELi8EEEENS5_IJLi10EEEEEEENSF_IJNS5_IJLi1ELi2ELi3EEEENS5_IJLi4ELi5EEEES19_NS5_IJLi7ELi8EEEENS5_IJLi9EEEES1C_NS5_IJLi11EEEENS5_IJLi12EEEENS5_IJLi13EEEEEEENS5_IJLi11ELi12ELi13EEEENSH_IlLl32768EEEEENSE_INSF_IJNSV_INSF_IJSI_SN_SN_NSH_IiLi32EEEEEELb0EEEEEENSF_IJS14_EEENSF_IJNS5_IJLi1ELi2ELi3ELi4EEEEEEES1U_NSH_IlLl256EEEEENSE_INSF_IJSP_SS_SU_SX_SY_SU_SZ_S12_SU_NS10_INSF_IJSI_SK_EEEEENSV_INSF_IJSI_NSH_IiLi2EEESK_EEELb0EEEEEENSF_IJS14_S15_S16_S17_S18_S19_S1A_S1B_S1C_NS5_IJLi11ELi13EEEES1J_EEENSF_IJS1E_S1F_S19_S1G_S1H_S1C_S1I_S1J_S1K_NS5_IJLi14EEEENS5_IJLi15ELi16ELi17EEEEEEENS5_IJLi15ELi16ELi17ELi14EEEES1N_EENSE_INSF_IJS1R_NS10_ISW_EES22_EEENSF_IJS14_NS5_IJLi1ELi3EEEENS5_IJLi2EEEEEEENSF_IJS1U_S17_NS5_IJLi6ELi7ELi8EEEEEEENS5_IJLi6ELi7ELi8ELi5EEEES1W_EELi16ELi32ELi256ELi256ELi128ELi16ELi16ELi8ELi8ELi32ELb0EE3RunILb1ELNS_10TailNumberE0ENSE_INSF_IJNSG_INSF_IJiiEEENSF_IJiSN_EEELb0EEENSV_IS2N_Lb0EEENST_IiEEEEENSF_IJS14_S2E_NS5_IJLi1EEEEEEENSF_IJNS5_IJLi1ELi2EEEENS5_IJLi3ELi4EEEES17_EEENS5_IJLi3ELi5ELi4EEEElEES1O_NS_35ThreadGroupTensorSliceTransfer_v4r1INS_15ThisThreadBlockILi256EEENS_16tensor_operation12element_wise11PassThroughES35_LNS_25InMemoryDataOperationEnumE0ENS5_IJLi8ELi256ELi16EEEENS5_IJLi8ELi32ELi1EEEENS5_IJLi1ELi0ELi2EEEESC_SC_RKS2Z_KS1O_S39_NS5_IJLi0ELi1ELi2EEEELi2ELi2ELi16ELi16ELi1ELi1ELb0ELb1ELi2EiEENS_13DynamicBufferILNS_16AddressSpaceEnumE1EKSC_lLb1ELNS_22AmdBufferCoherenceEnumE0EiEENSF_IJNS3F_ILS3G_2ESC_S1N_Lb1ELS3I_0EiEES3K_EEENSF_IJiiiEEENSE_INSF_IJNSG_INSF_IJiiiiEEENSF_IJiiiSN_EEELb0EEEEEES1T_S1V_S1U_lEENS_32ThreadwiseTensorSliceTransfer_v2ISD_SD_RKS3R_KS1X_NS5_IJLi8ELi1ELi1ELi32EEEENS5_IJLi1ELi2ELi0ELi3EEEELi3ELi32ELi0ELb1ELb0ELb0EEENS3F_ILS3G_1EKSD_lLb1ELS3I_0EiEENSF_IJNS_12StaticBufferILS3G_4ESD_Li256ELb1EEES42_EEES3N_NS_25StaticBufferTupleOfVectorILS3G_4EfLi64ELi4ELb1ELb0EEEEEvRKT1_RKT2_RT3_RKT4_RT5_RKT6_RKT7_RT8_RKT9_RT10_RKT11_RT12_iENKUlT_T0_E_clISN_NSH_IiLi0EEEEEDaS51_S52_ENKUlS51_E_clISN_EEDaS51_EUlS51_E_EEvS51_EUlS51_E_EEvS51_@rel32@hi+12
	s_waitcnt vmcnt(0) lgkmcnt(0)
	v_and_b32_e32 v4, 1, v4
	v_cmp_eq_u32_e32 vcc, 1, v4
	flat_load_dwordx4 v[4:7], v[52:53] offset:16
	v_and_b32_e32 v8, 1, v8
	v_cndmask_b32_e32 v3, 0, v3, vcc
	v_cndmask_b32_e32 v2, 0, v2, vcc
	v_cndmask_b32_e32 v1, 0, v1, vcc
	v_cndmask_b32_e32 v0, 0, v0, vcc
	v_cmp_eq_u32_e32 vcc, 1, v8
	flat_load_dwordx4 v[8:11], v[52:53] offset:32
	v_and_b32_e32 v12, 1, v12
	flat_store_dwordx4 v[52:53], v[0:3]
	flat_store_dwordx4 v[52:53], v[0:3] offset:560
	s_waitcnt vmcnt(0) lgkmcnt(0)
	v_cndmask_b32_e32 v7, 0, v7, vcc
	v_cndmask_b32_e32 v6, 0, v6, vcc
	;; [unrolled: 1-line block ×4, first 2 shown]
	v_cmp_eq_u32_e32 vcc, 1, v12
	flat_load_dwordx4 v[12:15], v[52:53] offset:48
	v_cndmask_b32_e32 v11, 0, v11, vcc
	v_cndmask_b32_e32 v10, 0, v10, vcc
	;; [unrolled: 1-line block ×4, first 2 shown]
	flat_store_dwordx4 v[52:53], v[8:11] offset:32
	flat_load_ubyte v11, v[52:53] offset:336
	s_waitcnt vmcnt(0) lgkmcnt(0)
	v_and_b32_e32 v11, 1, v11
	v_cmp_eq_u32_e32 vcc, 1, v11
	flat_load_ubyte v11, v[52:53] offset:352
	v_cndmask_b32_e32 v15, 0, v15, vcc
	v_cndmask_b32_e32 v14, 0, v14, vcc
	;; [unrolled: 1-line block ×4, first 2 shown]
	flat_store_dwordx4 v[52:53], v[12:15] offset:48
	flat_load_dwordx4 v[12:15], v[52:53] offset:64
	s_waitcnt vmcnt(0) lgkmcnt(0)
	v_and_b32_e32 v11, 1, v11
	v_cmp_eq_u32_e32 vcc, 1, v11
	flat_load_ubyte v11, v[52:53] offset:368
	v_cndmask_b32_e32 v15, 0, v15, vcc
	v_cndmask_b32_e32 v14, 0, v14, vcc
	;; [unrolled: 1-line block ×4, first 2 shown]
	flat_store_dwordx4 v[52:53], v[12:15] offset:64
	flat_load_dwordx4 v[12:15], v[52:53] offset:80
	s_waitcnt vmcnt(0) lgkmcnt(0)
	v_and_b32_e32 v11, 1, v11
	v_cmp_eq_u32_e32 vcc, 1, v11
	flat_load_ubyte v11, v[52:53] offset:384
	v_cndmask_b32_e32 v15, 0, v15, vcc
	v_cndmask_b32_e32 v14, 0, v14, vcc
	;; [unrolled: 1-line block ×4, first 2 shown]
	flat_store_dwordx4 v[52:53], v[4:7] offset:16
	flat_store_dwordx4 v[52:53], v[12:15] offset:80
	flat_load_dwordx4 v[12:15], v[52:53] offset:96
	v_perm_b32 v7, v7, v7, s38
	v_perm_b32 v6, v6, v6, s39
	;; [unrolled: 1-line block ×3, first 2 shown]
	flat_store_dwordx4 v[52:53], v[4:7] offset:576
	flat_load_dwordx4 v[4:7], v[52:53] offset:43
	s_waitcnt vmcnt(0) lgkmcnt(0)
	v_and_b32_e32 v11, 1, v11
	v_cmp_eq_u32_e32 vcc, 1, v11
	flat_load_ubyte v11, v[52:53] offset:400
	v_cndmask_b32_e32 v15, 0, v15, vcc
	v_cndmask_b32_e32 v14, 0, v14, vcc
	;; [unrolled: 1-line block ×4, first 2 shown]
	flat_store_dwordx4 v[52:53], v[12:15] offset:96
	flat_load_dwordx4 v[12:15], v[52:53] offset:112
	v_perm_b32 v10, v10, v4, s41
	s_waitcnt vmcnt(0) lgkmcnt(0)
	v_and_b32_e32 v11, 1, v11
	v_cmp_eq_u32_e32 vcc, 1, v11
	v_perm_b32 v11, v4, v5, s40
	flat_store_dwordx4 v[52:53], v[8:11] offset:592
	flat_load_dwordx4 v[8:11], v[52:53] offset:59
	v_cndmask_b32_e32 v15, 0, v15, vcc
	v_cndmask_b32_e32 v14, 0, v14, vcc
	;; [unrolled: 1-line block ×4, first 2 shown]
	flat_store_dwordx4 v[52:53], v[12:15] offset:112
	s_nop 0
	v_perm_b32 v13, v6, v7, s40
	v_perm_b32 v12, v5, v6, s40
	s_waitcnt vmcnt(0) lgkmcnt(0)
	v_perm_b32 v14, v7, v8, s40
	flat_load_dwordx4 v[4:7], v[52:53] offset:75
	v_perm_b32 v15, v8, v9, s40
	flat_store_dwordx4 v[52:53], v[12:15] offset:608
	s_nop 0
	v_perm_b32 v13, v10, v11, s40
	v_perm_b32 v12, v9, v10, s40
	s_waitcnt vmcnt(0) lgkmcnt(0)
	v_perm_b32 v14, v11, v4, s40
	flat_load_dwordx4 v[8:11], v[52:53] offset:91
	v_perm_b32 v15, v4, v5, s40
	;; [unrolled: 8-line block ×3, first 2 shown]
	flat_store_dwordx4 v[52:53], v[12:15] offset:640
	flat_load_sbyte v8, v[52:53] offset:127
	v_perm_b32 v13, v10, v11, s40
	v_perm_b32 v12, v9, v10, s40
	s_waitcnt vmcnt(0) lgkmcnt(0)
	v_perm_b32 v15, v4, v5, s40
	v_perm_b32 v14, v11, v4, s40
	flat_load_dword v4, v[52:53] offset:123
	s_waitcnt vmcnt(0) lgkmcnt(0)
	v_perm_b32 v9, v4, v8, s40
	v_perm_b32 v8, v7, v4, s40
	;; [unrolled: 1-line block ×4, first 2 shown]
	flat_store_dwordx4 v[52:53], v[12:15] offset:656
	flat_store_dwordx4 v[52:53], v[6:9] offset:672
	flat_load_dword v6, v[52:53] offset:728
	s_waitcnt vmcnt(0) lgkmcnt(0)
	v_ashrrev_i32_e32 v7, 31, v6
	flat_load_dwordx2 v[4:5], v[28:29]
	s_waitcnt vmcnt(0) lgkmcnt(0)
	v_add_co_u32_e32 v4, vcc, v4, v6
	v_addc_co_u32_e32 v5, vcc, v5, v7, vcc
	flat_store_dwordx4 v[4:5], v[0:3]
	flat_load_dword v0, v[52:53] offset:776
	s_waitcnt vmcnt(0) lgkmcnt(0)
	v_add_u32_e32 v67, 1, v0
	flat_load_dwordx2 v[0:1], v[52:53] offset:760
	flat_load_dwordx2 v[2:3], v[52:53] offset:744
	s_waitcnt vmcnt(0) lgkmcnt(0)
	v_sub_u32_e32 v1, v67, v1
	v_add_u32_e32 v6, v2, v1
	v_sub_u32_e32 v7, v3, v0
	flat_load_dwordx3 v[2:4], v[52:53] offset:728
	v_ashrrev_i32_e32 v0, 31, v6
	v_lshrrev_b32_e32 v0, 29, v0
	v_add_u32_e32 v0, v6, v0
	v_and_b32_e32 v0, -8, v0
	v_sub_u32_e32 v0, v6, v0
	v_xor_b32_e32 v1, v7, v0
	flat_store_dword v[52:53], v67 offset:776
	flat_store_dwordx2 v[52:53], v[66:67] offset:760
	flat_store_dwordx2 v[52:53], v[6:7] offset:744
	s_waitcnt vmcnt(0) lgkmcnt(0)
	v_sub_u32_e32 v0, v1, v3
	v_sub_u32_e32 v3, v6, v4
	v_lshlrev_b32_e32 v0, 4, v0
	v_lshlrev_b32_e32 v3, 7, v3
	v_add3_u32 v0, v3, v0, v2
	v_mov_b32_e32 v2, v6
	flat_store_dwordx3 v[52:53], v[0:2] offset:728
	flat_load_dwordx2 v[2:3], v[28:29]
	v_ashrrev_i32_e32 v1, 31, v0
	s_waitcnt vmcnt(0) lgkmcnt(0)
	v_add_co_u32_e32 v4, vcc, v2, v0
	v_addc_co_u32_e32 v5, vcc, v3, v1, vcc
	flat_load_dwordx4 v[0:3], v[52:53] offset:576
	s_waitcnt vmcnt(0) lgkmcnt(0)
	flat_store_dwordx4 v[4:5], v[0:3]
	flat_load_dword v0, v[52:53] offset:776
	s_nop 0
	flat_load_dwordx2 v[2:3], v[52:53] offset:744
	s_waitcnt vmcnt(0) lgkmcnt(0)
	v_add_u32_e32 v67, 1, v0
	flat_load_dwordx2 v[0:1], v[52:53] offset:760
	s_waitcnt vmcnt(0) lgkmcnt(0)
	v_sub_u32_e32 v1, v67, v1
	v_add_u32_e32 v6, v2, v1
	v_sub_u32_e32 v7, v3, v0
	flat_load_dwordx3 v[2:4], v[52:53] offset:728
	v_ashrrev_i32_e32 v0, 31, v6
	v_lshrrev_b32_e32 v0, 29, v0
	v_add_u32_e32 v0, v6, v0
	v_and_b32_e32 v0, -8, v0
	v_sub_u32_e32 v0, v6, v0
	v_xor_b32_e32 v1, v7, v0
	flat_store_dword v[52:53], v67 offset:776
	flat_store_dwordx2 v[52:53], v[66:67] offset:760
	flat_store_dwordx2 v[52:53], v[6:7] offset:744
	s_waitcnt vmcnt(0) lgkmcnt(0)
	v_sub_u32_e32 v0, v1, v3
	v_sub_u32_e32 v3, v6, v4
	v_lshlrev_b32_e32 v0, 4, v0
	v_lshlrev_b32_e32 v3, 7, v3
	v_add3_u32 v0, v3, v0, v2
	v_mov_b32_e32 v2, v6
	flat_store_dwordx3 v[52:53], v[0:2] offset:728
	flat_load_dwordx2 v[2:3], v[28:29]
	v_ashrrev_i32_e32 v1, 31, v0
	s_waitcnt vmcnt(0) lgkmcnt(0)
	v_add_co_u32_e32 v4, vcc, v2, v0
	v_addc_co_u32_e32 v5, vcc, v3, v1, vcc
	flat_load_dwordx4 v[0:3], v[52:53] offset:592
	s_waitcnt vmcnt(0) lgkmcnt(0)
	flat_store_dwordx4 v[4:5], v[0:3]
	flat_load_dword v0, v[52:53] offset:776
	s_nop 0
	flat_load_dwordx2 v[2:3], v[52:53] offset:744
	s_waitcnt vmcnt(0) lgkmcnt(0)
	v_add_u32_e32 v67, 1, v0
	;; [unrolled: 36-line block ×6, first 2 shown]
	flat_load_dwordx2 v[0:1], v[52:53] offset:760
	s_waitcnt vmcnt(0) lgkmcnt(0)
	v_sub_u32_e32 v1, v67, v1
	v_add_u32_e32 v6, v2, v1
	v_sub_u32_e32 v7, v3, v0
	flat_load_dwordx3 v[2:4], v[52:53] offset:728
	v_ashrrev_i32_e32 v0, 31, v6
	v_lshrrev_b32_e32 v0, 29, v0
	v_add_u32_e32 v0, v6, v0
	v_and_b32_e32 v0, -8, v0
	v_sub_u32_e32 v0, v6, v0
	v_xor_b32_e32 v1, v7, v0
	flat_store_dword v[52:53], v67 offset:776
	flat_store_dwordx2 v[52:53], v[66:67] offset:760
	flat_store_dwordx2 v[52:53], v[6:7] offset:744
	s_waitcnt vmcnt(0) lgkmcnt(0)
	v_sub_u32_e32 v0, v1, v3
	v_sub_u32_e32 v3, v6, v4
	v_lshlrev_b32_e32 v0, 4, v0
	v_lshlrev_b32_e32 v3, 7, v3
	v_add3_u32 v0, v3, v0, v2
	v_mov_b32_e32 v2, v6
	flat_store_dwordx3 v[52:53], v[0:2] offset:728
	flat_load_dwordx2 v[2:3], v[28:29]
	v_ashrrev_i32_e32 v1, 31, v0
	s_waitcnt vmcnt(0) lgkmcnt(0)
	v_add_co_u32_e32 v4, vcc, v2, v0
	v_addc_co_u32_e32 v5, vcc, v3, v1, vcc
	flat_load_dwordx4 v[0:3], v[52:53] offset:672
	s_waitcnt vmcnt(0) lgkmcnt(0)
	flat_store_dwordx4 v[4:5], v[0:3]
	flat_load_dword v0, v[52:53] offset:776
	s_nop 0
	flat_load_dwordx2 v[2:3], v[52:53] offset:744
	s_waitcnt vmcnt(0) lgkmcnt(0)
	v_add_u32_e32 v67, -7, v0
	flat_load_dwordx2 v[0:1], v[52:53] offset:760
	s_waitcnt vmcnt(0) lgkmcnt(0)
	v_sub_u32_e32 v1, v67, v1
	v_add_u32_e32 v4, v2, v1
	v_sub_u32_e32 v5, v3, v0
	flat_load_dwordx3 v[0:2], v[52:53] offset:728
	v_ashrrev_i32_e32 v3, 31, v4
	v_lshrrev_b32_e32 v3, 29, v3
	v_add_u32_e32 v3, v4, v3
	v_and_b32_e32 v3, -8, v3
	v_sub_u32_e32 v3, v4, v3
	v_xor_b32_e32 v3, v5, v3
	flat_store_dword v[52:53], v67 offset:776
	flat_store_dwordx2 v[52:53], v[66:67] offset:760
	flat_store_dwordx2 v[52:53], v[4:5] offset:744
	buffer_store_dword v70, off, s[0:3], s33 offset:12
	buffer_store_dword v71, off, s[0:3], s33 offset:8
	;; [unrolled: 1-line block ×10, first 2 shown]
	s_waitcnt vmcnt(0) lgkmcnt(0)
	v_sub_u32_e32 v2, v4, v2
	v_sub_u32_e32 v1, v3, v1
	v_lshlrev_b32_e32 v1, 4, v1
	v_lshlrev_b32_e32 v2, 7, v2
	v_add3_u32 v2, v2, v1, v0
	v_mov_b32_e32 v0, s29
	v_mov_b32_e32 v1, s34
	flat_store_dwordx3 v[52:53], v[2:4] offset:728
	s_swappc_b64 s[30:31], s[4:5]
	flat_load_dwordx2 v[12:13], v[30:31] offset:1148
	flat_load_dwordx2 v[14:15], v[30:31] offset:1164
	flat_load_dwordx4 v[0:3], v[30:31] offset:1176
	flat_load_dwordx3 v[8:10], v[30:31] offset:1132
	flat_load_dwordx2 v[16:17], v[28:29] offset:16
	s_waitcnt vmcnt(0) lgkmcnt(0)
	v_sub_u32_e32 v4, v12, v15
	v_add3_u32 v1, v4, v1, 64
	v_ashrrev_i32_e32 v4, 31, v1
	v_lshrrev_b32_e32 v4, 29, v4
	v_add_u32_e32 v4, v1, v4
	v_and_b32_e32 v4, -8, v4
	v_sub_u32_e32 v5, v13, v14
	v_sub_u32_e32 v6, v1, v10
	;; [unrolled: 1-line block ×3, first 2 shown]
	v_xor_b32_e32 v4, v1, v5
	v_sub_u32_e32 v4, v4, v9
	v_lshlrev_b32_e32 v10, 7, v6
	v_lshlrev_b32_e32 v4, 4, v4
	v_add3_u32 v4, v10, v8, v4
	v_ashrrev_i32_e32 v5, 31, v4
	v_add_co_u32_e32 v4, vcc, v16, v4
	v_addc_co_u32_e32 v5, vcc, v17, v5, vcc
	flat_load_dwordx4 v[4:7], v[4:5]
	v_add_u32_e32 v3, 16, v3
	v_sub_u32_e32 v2, v8, v2
	v_ashrrev_i32_e32 v8, 31, v3
	v_lshrrev_b32_e32 v8, 28, v8
	v_add_u32_e32 v0, v14, v0
	v_add_u32_e32 v8, v3, v8
	v_sub_u32_e32 v0, v13, v0
	v_lshrrev_b32_e32 v11, 4, v8
	v_add_u32_e32 v0, v0, v11
	v_xor_b32_e32 v0, v0, v1
	v_and_b32_e32 v8, -16, v8
	v_sub_u32_e32 v0, v0, v9
	v_add_u32_e32 v2, v2, v10
	v_sub_u32_e32 v3, v3, v8
	v_lshlrev_b32_e32 v0, 4, v0
	v_add3_u32 v0, v2, v3, v0
	v_ashrrev_i32_e32 v1, 31, v0
	v_add_co_u32_e32 v0, vcc, v16, v0
	v_addc_co_u32_e32 v1, vcc, v17, v1, vcc
	s_waitcnt vmcnt(0) lgkmcnt(0)
	buffer_store_dword v4, off, s[0:3], s33 offset:52
	buffer_store_dword v5, off, s[0:3], s33 offset:56
	;; [unrolled: 1-line block ×4, first 2 shown]
	flat_load_dwordx4 v[0:3], v[0:1]
	s_waitcnt vmcnt(0) lgkmcnt(0)
	buffer_store_dword v0, off, s[0:3], s33 offset:68
	buffer_store_dword v1, off, s[0:3], s33 offset:72
	;; [unrolled: 1-line block ×4, first 2 shown]
	v_mov_b32_e32 v0, v64
	v_mov_b32_e32 v1, s15
	;; [unrolled: 1-line block ×4, first 2 shown]
	s_swappc_b64 s[30:31], s[20:21]
	; sched_group_barrier mask(0x00000008) size(3) SyncID(0)
	; sched_group_barrier mask(0x00000200) size(1) SyncID(0)
	;; [unrolled: 1-line block ×20, first 2 shown]
	; sched_barrier mask(0x00000000)
	flat_store_byte v[52:53], v69 offset:288
	flat_load_dwordx2 v[12:13], v[52:53] offset:704
	flat_load_dwordx4 v[0:3], v[50:51]
	s_waitcnt vmcnt(0) lgkmcnt(0)
	v_mov_b32_e32 v3, s37
	s_mov_b64 s[6:7], exec
.LBB26_123:                             ;   Parent Loop BB26_64 Depth=1
                                        ; =>  This Inner Loop Header: Depth=2
	v_readfirstlane_b32 s8, v0
	v_readfirstlane_b32 s9, v1
	;; [unrolled: 1-line block ×4, first 2 shown]
	v_cmp_eq_u64_e32 vcc, s[8:9], v[0:1]
	v_cmp_eq_u64_e64 s[4:5], s[10:11], v[2:3]
	s_and_b64 s[4:5], vcc, s[4:5]
	s_and_saveexec_b64 s[4:5], s[4:5]
	s_nop 0
	buffer_load_dwordx4 v[4:7], v12, s[8:11], 0 offen
                                        ; implicit-def: $vgpr0_vgpr1_vgpr2_vgpr3
	s_xor_b64 exec, exec, s[4:5]
	s_cbranch_execnz .LBB26_123
; %bb.124:                              ;   in Loop: Header=BB26_64 Depth=1
	s_mov_b64 exec, s[6:7]
	flat_load_dwordx3 v[8:10], v[52:53] offset:716
	v_add_u32_e32 v0, 1, v13
	flat_store_dword v[52:53], v0 offset:708
	s_waitcnt vmcnt(0)
	flat_store_dwordx4 v[52:53], v[4:7]
	s_mov_b64 s[6:7], exec
	s_waitcnt lgkmcnt(0)
	v_add_u32_e32 v0, 1, v10
	flat_store_dword v[52:53], v0 offset:724
	flat_load_dword v0, v[54:55] offset:8
	s_waitcnt vmcnt(0) lgkmcnt(0)
	v_add_u32_e32 v11, v0, v12
	flat_store_dword v[52:53], v11 offset:704
	flat_store_byte v[52:53], v69 offset:304
	flat_load_dwordx4 v[0:3], v[50:51]
	s_waitcnt vmcnt(0) lgkmcnt(0)
	v_mov_b32_e32 v3, s37
.LBB26_125:                             ;   Parent Loop BB26_64 Depth=1
                                        ; =>  This Inner Loop Header: Depth=2
	v_readfirstlane_b32 s8, v0
	v_readfirstlane_b32 s9, v1
	v_readfirstlane_b32 s10, v2
	v_readfirstlane_b32 s11, v3
	v_cmp_eq_u64_e32 vcc, s[8:9], v[0:1]
	v_cmp_eq_u64_e64 s[4:5], s[10:11], v[2:3]
	s_and_b64 s[4:5], vcc, s[4:5]
	s_and_saveexec_b64 s[4:5], s[4:5]
	s_nop 0
	buffer_load_dwordx4 v[4:7], v11, s[8:11], 0 offen
                                        ; implicit-def: $vgpr0_vgpr1_vgpr2_vgpr3
	s_xor_b64 exec, exec, s[4:5]
	s_cbranch_execnz .LBB26_125
; %bb.126:                              ;   in Loop: Header=BB26_64 Depth=1
	s_mov_b64 exec, s[6:7]
	v_add_u32_e32 v0, 2, v10
	flat_store_dword v[52:53], v0 offset:724
	v_add_u32_e32 v0, 2, v13
	s_waitcnt vmcnt(0)
	flat_store_dwordx4 v[52:53], v[4:7] offset:16
	flat_store_dword v[52:53], v0 offset:708
	flat_load_dword v0, v[54:55] offset:8
	s_mov_b64 s[6:7], exec
	s_waitcnt vmcnt(0) lgkmcnt(0)
	v_add_u32_e32 v11, v0, v11
	flat_store_dword v[52:53], v11 offset:704
	flat_store_byte v[52:53], v69 offset:320
	flat_load_dwordx4 v[0:3], v[50:51]
	s_waitcnt vmcnt(0) lgkmcnt(0)
	v_mov_b32_e32 v3, s37
.LBB26_127:                             ;   Parent Loop BB26_64 Depth=1
                                        ; =>  This Inner Loop Header: Depth=2
	v_readfirstlane_b32 s8, v0
	v_readfirstlane_b32 s9, v1
	v_readfirstlane_b32 s10, v2
	v_readfirstlane_b32 s11, v3
	v_cmp_eq_u64_e32 vcc, s[8:9], v[0:1]
	v_cmp_eq_u64_e64 s[4:5], s[10:11], v[2:3]
	s_and_b64 s[4:5], vcc, s[4:5]
	s_and_saveexec_b64 s[4:5], s[4:5]
	s_nop 0
	buffer_load_dwordx4 v[4:7], v11, s[8:11], 0 offen
                                        ; implicit-def: $vgpr0_vgpr1_vgpr2_vgpr3
	s_xor_b64 exec, exec, s[4:5]
	s_cbranch_execnz .LBB26_127
; %bb.128:                              ;   in Loop: Header=BB26_64 Depth=1
	s_mov_b64 exec, s[6:7]
	v_add_u32_e32 v0, 3, v10
	flat_store_dword v[52:53], v0 offset:724
	v_add_u32_e32 v0, 3, v13
	s_waitcnt vmcnt(0)
	flat_store_dwordx4 v[52:53], v[4:7] offset:32
	flat_store_dword v[52:53], v0 offset:708
	flat_load_dword v0, v[54:55] offset:8
	s_mov_b64 s[6:7], exec
	;; [unrolled: 32-line block ×6, first 2 shown]
	s_waitcnt vmcnt(0) lgkmcnt(0)
	v_add_u32_e32 v11, v0, v11
	flat_store_dword v[52:53], v11 offset:704
	flat_load_dwordx4 v[0:3], v[50:51]
	s_waitcnt vmcnt(0) lgkmcnt(0)
	v_mov_b32_e32 v3, s37
	flat_store_byte v[52:53], v69 offset:400
.LBB26_137:                             ;   Parent Loop BB26_64 Depth=1
                                        ; =>  This Inner Loop Header: Depth=2
	v_readfirstlane_b32 s8, v0
	v_readfirstlane_b32 s9, v1
	v_readfirstlane_b32 s10, v2
	v_readfirstlane_b32 s11, v3
	v_cmp_eq_u64_e32 vcc, s[8:9], v[0:1]
	v_cmp_eq_u64_e64 s[4:5], s[10:11], v[2:3]
	s_and_b64 s[4:5], vcc, s[4:5]
	s_and_saveexec_b64 s[4:5], s[4:5]
	s_nop 0
	buffer_load_dwordx4 v[4:7], v11, s[8:11], 0 offen
                                        ; implicit-def: $vgpr0_vgpr1_vgpr2_vgpr3
	s_xor_b64 exec, exec, s[4:5]
	s_cbranch_execnz .LBB26_137
; %bb.138:                              ;   in Loop: Header=BB26_64 Depth=1
	s_mov_b64 exec, s[6:7]
	s_waitcnt vmcnt(0)
	flat_store_dwordx4 v[52:53], v[4:7] offset:112
	flat_load_dwordx3 v[0:2], v[48:49]
	s_waitcnt vmcnt(0) lgkmcnt(0)
	v_add_u32_e32 v3, -7, v1
	v_add_u32_e32 v6, v1, v10
	v_add_u32_e32 v5, v9, v2
	;; [unrolled: 1-line block ×3, first 2 shown]
	v_cmp_ne_u32_e32 vcc, 0, v3
	flat_store_dwordx3 v[52:53], v[4:6] offset:716
	s_and_saveexec_b64 s[4:5], vcc
	s_cbranch_execz .LBB26_140
; %bb.139:                              ;   in Loop: Header=BB26_64 Depth=1
	v_add_u32_e32 v1, v1, v13
	flat_store_dword v[52:53], v1 offset:708
.LBB26_140:                             ;   in Loop: Header=BB26_64 Depth=1
	s_or_b64 exec, exec, s[4:5]
	v_or_b32_e32 v1, v2, v0
	v_cmp_ne_u32_e32 vcc, 0, v1
	v_mov_b32_e32 v4, 0
	s_and_saveexec_b64 s[4:5], vcc
	s_cbranch_execz .LBB26_142
; %bb.141:                              ;   in Loop: Header=BB26_64 Depth=1
	flat_load_dword v4, v[54:55] offset:24
	flat_load_dword v6, v[52:53] offset:712
	s_waitcnt vmcnt(0) lgkmcnt(0)
	v_mad_u64_u32 v[4:5], s[6:7], v4, v0, v[2:3]
	v_add_u32_e32 v0, v4, v6
	flat_store_dword v[52:53], v0 offset:712
.LBB26_142:                             ;   in Loop: Header=BB26_64 Depth=1
	s_or_b64 exec, exec, s[4:5]
	v_or_b32_e32 v0, v1, v3
	v_cmp_ne_u32_e32 vcc, 0, v0
	s_and_saveexec_b64 s[4:5], vcc
	s_cbranch_execz .LBB26_63
; %bb.143:                              ;   in Loop: Header=BB26_64 Depth=1
	flat_load_dword v0, v[54:55] offset:8
	s_waitcnt vmcnt(0) lgkmcnt(0)
	v_mul_lo_u32 v0, v0, v3
	v_add3_u32 v0, v4, v11, v0
	flat_store_dword v[52:53], v0 offset:704
	s_branch .LBB26_63
.LBB26_144:
	s_or_b64 exec, exec, s[18:19]
	s_mov_b64 s[16:17], src_private_base
	v_lshrrev_b32_e64 v0, 6, s33
	v_mov_b32_e32 v32, s17
	v_lshrrev_b32_e64 v33, 6, s33
	v_mov_b32_e32 v34, s15
	v_mov_b32_e32 v35, s22
	;; [unrolled: 1-line block ×4, first 2 shown]
	v_add_u32_e32 v0, 8, v0
	v_mov_b32_e32 v1, s17
	buffer_store_dword v32, off, s[0:3], s33 offset:12
	buffer_store_dword v33, off, s[0:3], s33 offset:8
	buffer_store_dword v34, off, s[0:3], s33 offset:20
	buffer_store_dword v35, off, s[0:3], s33 offset:16
	buffer_store_dword v36, off, s[0:3], s33 offset:28
	buffer_store_dword v37, off, s[0:3], s33 offset:24
	buffer_store_dword v27, off, s[0:3], s33 offset:36
	buffer_store_dword v26, off, s[0:3], s33 offset:32
	s_getpc_b64 s[4:5]
	s_add_u32 s4, s4, _ZNK2ck6detail7applierIiJLi0ELi1ELi2ELi3ELi4ELi5ELi6ELi7EEEclIZNKS_11static_fordINS_8SequenceIJLi1ELi8EEEENS5_IJLi0ELi1EEEEEclIZZNKS_52BlockwiseGemmXdlops_pipeline_bpreshuffle_bdequant_v3ILNS_26BlockGemmPipelineSchedulerE0ELi256ENS_9f8_fnuz_tENS_7pk_i4_tESC_fNS_16TensorDescriptorINS_5TupleIJNS_5EmbedINSF_IJNS_17integral_constantIiLi8EEENSH_IiLi256EEENSH_IiLi16EEEEEENSF_IJSK_NSH_IiLi128EEENSH_IiLi1EEEEEELb0EEENS_3XorINSF_IJSJ_SI_EEELb1EEENS_11PassThroughISK_EENS_7UnMergeINSF_IJSI_SN_EEELb0EEENST_ISJ_EESU_NST_ISI_EENS_21Merge_v3_division_modINSF_IJSJ_SN_EEEEESU_EEENSF_IJNS5_IJLi0EEEENS5_IJLi2ELi1EEEENS5_IJLi3EEEENS5_IJLi5EEEENS5_IJLi4EEEENS5_IJLi6EEEENS5_IJLi7EEEENS5_IJLi9ELi8EEEENS5_IJLi10EEEEEEENSF_IJNS5_IJLi1ELi2ELi3EEEENS5_IJLi4ELi5EEEES19_NS5_IJLi7ELi8EEEENS5_IJLi9EEEES1C_NS5_IJLi11EEEENS5_IJLi12EEEENS5_IJLi13EEEEEEENS5_IJLi11ELi12ELi13EEEENSH_IlLl32768EEEEENSE_INSF_IJNSV_INSF_IJSI_SN_SN_NSH_IiLi32EEEEEELb0EEEEEENSF_IJS14_EEENSF_IJNS5_IJLi1ELi2ELi3ELi4EEEEEEES1U_NSH_IlLl256EEEEENSE_INSF_IJSP_SS_SU_SX_SY_SU_SZ_S12_SU_NS10_INSF_IJSI_SK_EEEEENSV_INSF_IJSI_NSH_IiLi2EEESK_EEELb0EEEEEENSF_IJS14_S15_S16_S17_S18_S19_S1A_S1B_S1C_NS5_IJLi11ELi13EEEES1J_EEENSF_IJS1E_S1F_S19_S1G_S1H_S1C_S1I_S1J_S1K_NS5_IJLi14EEEENS5_IJLi15ELi16ELi17EEEEEEENS5_IJLi15ELi16ELi17ELi14EEEES1N_EENSE_INSF_IJS1R_NS10_ISW_EES22_EEENSF_IJS14_NS5_IJLi1ELi3EEEENS5_IJLi2EEEEEEENSF_IJS1U_S17_NS5_IJLi6ELi7ELi8EEEEEEENS5_IJLi6ELi7ELi8ELi5EEEES1W_EELi16ELi32ELi256ELi256ELi128ELi16ELi16ELi8ELi8ELi32ELb0EE3RunILb1ELNS_10TailNumberE0ENSE_INSF_IJNSG_INSF_IJiiEEENSF_IJiSN_EEELb0EEENSV_IS2N_Lb0EEENST_IiEEEEENSF_IJS14_S2E_NS5_IJLi1EEEEEEENSF_IJNS5_IJLi1ELi2EEEENS5_IJLi3ELi4EEEES17_EEENS5_IJLi3ELi5ELi4EEEElEES1O_NS_35ThreadGroupTensorSliceTransfer_v4r1INS_15ThisThreadBlockILi256EEENS_16tensor_operation12element_wise11PassThroughES35_LNS_25InMemoryDataOperationEnumE0ENS5_IJLi8ELi256ELi16EEEENS5_IJLi8ELi32ELi1EEEENS5_IJLi1ELi0ELi2EEEESC_SC_RKS2Z_KS1O_S39_NS5_IJLi0ELi1ELi2EEEELi2ELi2ELi16ELi16ELi1ELi1ELb0ELb1ELi2EiEENS_13DynamicBufferILNS_16AddressSpaceEnumE1EKSC_lLb1ELNS_22AmdBufferCoherenceEnumE0EiEENSF_IJNS3F_ILS3G_2ESC_S1N_Lb1ELS3I_0EiEES3K_EEENSF_IJiiiEEENSE_INSF_IJNSG_INSF_IJiiiiEEENSF_IJiiiSN_EEELb0EEEEEES1T_S1V_S1U_lEENS_32ThreadwiseTensorSliceTransfer_v2ISD_SD_RKS3R_KS1X_NS5_IJLi8ELi1ELi1ELi32EEEENS5_IJLi1ELi2ELi0ELi3EEEELi3ELi32ELi0ELb1ELb0ELb0EEENS3F_ILS3G_1EKSD_lLb1ELS3I_0EiEENSF_IJNS_12StaticBufferILS3G_4ESD_Li256ELb1EEES42_EEES3N_NS_25StaticBufferTupleOfVectorILS3G_4EfLi64ELi4ELb1ELb0EEEEEvRKT1_RKT2_RT3_RKT4_RT5_RKT6_RKT7_RT8_RKT9_RT10_RKT11_RT12_iENKUlT_E0_clINSH_IiLi0EEEEEDaS51_EUlS51_E_EEvS51_EUlS51_E_EEvS51_@rel32@lo+4
	s_addc_u32 s5, s5, _ZNK2ck6detail7applierIiJLi0ELi1ELi2ELi3ELi4ELi5ELi6ELi7EEEclIZNKS_11static_fordINS_8SequenceIJLi1ELi8EEEENS5_IJLi0ELi1EEEEEclIZZNKS_52BlockwiseGemmXdlops_pipeline_bpreshuffle_bdequant_v3ILNS_26BlockGemmPipelineSchedulerE0ELi256ENS_9f8_fnuz_tENS_7pk_i4_tESC_fNS_16TensorDescriptorINS_5TupleIJNS_5EmbedINSF_IJNS_17integral_constantIiLi8EEENSH_IiLi256EEENSH_IiLi16EEEEEENSF_IJSK_NSH_IiLi128EEENSH_IiLi1EEEEEELb0EEENS_3XorINSF_IJSJ_SI_EEELb1EEENS_11PassThroughISK_EENS_7UnMergeINSF_IJSI_SN_EEELb0EEENST_ISJ_EESU_NST_ISI_EENS_21Merge_v3_division_modINSF_IJSJ_SN_EEEEESU_EEENSF_IJNS5_IJLi0EEEENS5_IJLi2ELi1EEEENS5_IJLi3EEEENS5_IJLi5EEEENS5_IJLi4EEEENS5_IJLi6EEEENS5_IJLi7EEEENS5_IJLi9ELi8EEEENS5_IJLi10EEEEEEENSF_IJNS5_IJLi1ELi2ELi3EEEENS5_IJLi4ELi5EEEES19_NS5_IJLi7ELi8EEEENS5_IJLi9EEEES1C_NS5_IJLi11EEEENS5_IJLi12EEEENS5_IJLi13EEEEEEENS5_IJLi11ELi12ELi13EEEENSH_IlLl32768EEEEENSE_INSF_IJNSV_INSF_IJSI_SN_SN_NSH_IiLi32EEEEEELb0EEEEEENSF_IJS14_EEENSF_IJNS5_IJLi1ELi2ELi3ELi4EEEEEEES1U_NSH_IlLl256EEEEENSE_INSF_IJSP_SS_SU_SX_SY_SU_SZ_S12_SU_NS10_INSF_IJSI_SK_EEEEENSV_INSF_IJSI_NSH_IiLi2EEESK_EEELb0EEEEEENSF_IJS14_S15_S16_S17_S18_S19_S1A_S1B_S1C_NS5_IJLi11ELi13EEEES1J_EEENSF_IJS1E_S1F_S19_S1G_S1H_S1C_S1I_S1J_S1K_NS5_IJLi14EEEENS5_IJLi15ELi16ELi17EEEEEEENS5_IJLi15ELi16ELi17ELi14EEEES1N_EENSE_INSF_IJS1R_NS10_ISW_EES22_EEENSF_IJS14_NS5_IJLi1ELi3EEEENS5_IJLi2EEEEEEENSF_IJS1U_S17_NS5_IJLi6ELi7ELi8EEEEEEENS5_IJLi6ELi7ELi8ELi5EEEES1W_EELi16ELi32ELi256ELi256ELi128ELi16ELi16ELi8ELi8ELi32ELb0EE3RunILb1ELNS_10TailNumberE0ENSE_INSF_IJNSG_INSF_IJiiEEENSF_IJiSN_EEELb0EEENSV_IS2N_Lb0EEENST_IiEEEEENSF_IJS14_S2E_NS5_IJLi1EEEEEEENSF_IJNS5_IJLi1ELi2EEEENS5_IJLi3ELi4EEEES17_EEENS5_IJLi3ELi5ELi4EEEElEES1O_NS_35ThreadGroupTensorSliceTransfer_v4r1INS_15ThisThreadBlockILi256EEENS_16tensor_operation12element_wise11PassThroughES35_LNS_25InMemoryDataOperationEnumE0ENS5_IJLi8ELi256ELi16EEEENS5_IJLi8ELi32ELi1EEEENS5_IJLi1ELi0ELi2EEEESC_SC_RKS2Z_KS1O_S39_NS5_IJLi0ELi1ELi2EEEELi2ELi2ELi16ELi16ELi1ELi1ELb0ELb1ELi2EiEENS_13DynamicBufferILNS_16AddressSpaceEnumE1EKSC_lLb1ELNS_22AmdBufferCoherenceEnumE0EiEENSF_IJNS3F_ILS3G_2ESC_S1N_Lb1ELS3I_0EiEES3K_EEENSF_IJiiiEEENSE_INSF_IJNSG_INSF_IJiiiiEEENSF_IJiiiSN_EEELb0EEEEEES1T_S1V_S1U_lEENS_32ThreadwiseTensorSliceTransfer_v2ISD_SD_RKS3R_KS1X_NS5_IJLi8ELi1ELi1ELi32EEEENS5_IJLi1ELi2ELi0ELi3EEEELi3ELi32ELi0ELb1ELb0ELb0EEENS3F_ILS3G_1EKSD_lLb1ELS3I_0EiEENSF_IJNS_12StaticBufferILS3G_4ESD_Li256ELb1EEES42_EEES3N_NS_25StaticBufferTupleOfVectorILS3G_4EfLi64ELi4ELb1ELb0EEEEEvRKT1_RKT2_RT3_RKT4_RT5_RKT6_RKT7_RT8_RKT9_RT10_RKT11_RT12_iENKUlT_E0_clINSH_IiLi0EEEEEDaS51_EUlS51_E_EEvS51_EUlS51_E_EEvS51_@rel32@hi+12
	s_swappc_b64 s[30:31], s[4:5]
	flat_load_dwordx2 v[12:13], v[30:31] offset:1148
	flat_load_dwordx2 v[14:15], v[30:31] offset:1164
	flat_load_dwordx4 v[0:3], v[30:31] offset:1176
	flat_load_dwordx3 v[8:10], v[30:31] offset:1132
	flat_load_dwordx2 v[16:17], v[28:29]
	; sched_group_barrier mask(0x00000008) size(16) SyncID(0)
	; sched_group_barrier mask(0x00000100) size(1) SyncID(0)
	;; [unrolled: 1-line block ×4, first 2 shown]
	s_waitcnt vmcnt(0) lgkmcnt(0)
	v_sub_u32_e32 v4, v12, v15
	v_add3_u32 v1, v4, v1, 32
	v_ashrrev_i32_e32 v4, 31, v1
	v_lshrrev_b32_e32 v4, 29, v4
	v_add_u32_e32 v4, v1, v4
	v_and_b32_e32 v4, -8, v4
	v_sub_u32_e32 v5, v13, v14
	v_sub_u32_e32 v6, v1, v10
	;; [unrolled: 1-line block ×3, first 2 shown]
	v_xor_b32_e32 v4, v1, v5
	v_sub_u32_e32 v4, v4, v9
	v_lshlrev_b32_e32 v10, 7, v6
	v_lshlrev_b32_e32 v4, 4, v4
	v_add3_u32 v4, v10, v8, v4
	v_ashrrev_i32_e32 v5, 31, v4
	v_add_co_u32_e32 v4, vcc, v16, v4
	v_addc_co_u32_e32 v5, vcc, v17, v5, vcc
	flat_load_dwordx4 v[4:7], v[4:5]
	v_add_u32_e32 v3, 16, v3
	v_sub_u32_e32 v2, v8, v2
	v_ashrrev_i32_e32 v8, 31, v3
	v_lshrrev_b32_e32 v8, 28, v8
	v_add_u32_e32 v0, v14, v0
	v_add_u32_e32 v8, v3, v8
	v_sub_u32_e32 v0, v13, v0
	v_lshrrev_b32_e32 v11, 4, v8
	v_add_u32_e32 v0, v0, v11
	v_xor_b32_e32 v0, v0, v1
	v_and_b32_e32 v8, -16, v8
	v_sub_u32_e32 v0, v0, v9
	v_add_u32_e32 v2, v2, v10
	v_sub_u32_e32 v3, v3, v8
	v_lshlrev_b32_e32 v0, 4, v0
	v_add3_u32 v0, v2, v3, v0
	v_ashrrev_i32_e32 v1, 31, v0
	v_add_co_u32_e32 v0, vcc, v16, v0
	v_addc_co_u32_e32 v1, vcc, v17, v1, vcc
	s_waitcnt vmcnt(0) lgkmcnt(0)
	buffer_store_dword v4, off, s[0:3], s33 offset:84
	buffer_store_dword v5, off, s[0:3], s33 offset:88
	;; [unrolled: 1-line block ×4, first 2 shown]
	flat_load_dwordx4 v[0:3], v[0:1]
	s_nop 0
	buffer_load_dword v4, off, s[0:3], s33 offset:116
	buffer_load_dword v5, off, s[0:3], s33 offset:120
	;; [unrolled: 1-line block ×4, first 2 shown]
	s_waitcnt vmcnt(0) lgkmcnt(0)
	buffer_store_dword v0, off, s[0:3], s33 offset:100
	buffer_store_dword v1, off, s[0:3], s33 offset:104
	;; [unrolled: 1-line block ×4, first 2 shown]
	;;#ASMSTART
	v_cvt_off_f32_i4 v0, v4
v_cvt_off_f32_i4 v1, v4, src0_sel:BYTE_2
v_cvt_pk_fp8_f32 v3, v0, v1
v_cvt_off_f32_i4 v0, v4, src0_sel:BYTE_1
v_cvt_off_f32_i4 v1, v4, src0_sel:BYTE_3
v_cvt_pk_fp8_f32 v8, v0, v1
v_lshrrev_b32 v2, 4, v4
v_cvt_off_f32_i4 v0, v2
v_cvt_off_f32_i4 v1, v2, src0_sel:BYTE_2
v_cvt_pk_fp8_f32 v3, v0, v1, op_sel:[0, 0, 1]
v_cvt_off_f32_i4 v0, v2, src0_sel:BYTE_1
v_cvt_off_f32_i4 v1, v2, src0_sel:BYTE_3
v_cvt_pk_fp8_f32 v8, v0, v1, op_sel:[0, 0, 1]

	;;#ASMEND
	;;#ASMSTART
	v_cvt_off_f32_i4 v0, v5
v_cvt_off_f32_i4 v1, v5, src0_sel:BYTE_2
v_cvt_pk_fp8_f32 v4, v0, v1
v_cvt_off_f32_i4 v0, v5, src0_sel:BYTE_1
v_cvt_off_f32_i4 v1, v5, src0_sel:BYTE_3
v_cvt_pk_fp8_f32 v9, v0, v1
v_lshrrev_b32 v2, 4, v5
v_cvt_off_f32_i4 v0, v2
v_cvt_off_f32_i4 v1, v2, src0_sel:BYTE_2
v_cvt_pk_fp8_f32 v4, v0, v1, op_sel:[0, 0, 1]
v_cvt_off_f32_i4 v0, v2, src0_sel:BYTE_1
v_cvt_off_f32_i4 v1, v2, src0_sel:BYTE_3
v_cvt_pk_fp8_f32 v9, v0, v1, op_sel:[0, 0, 1]

	;;#ASMEND
	;; [unrolled: 16-line block ×4, first 2 shown]
	buffer_load_dword v0, off, s[0:3], s33 offset:148
	buffer_load_dword v1, off, s[0:3], s33 offset:152
	;; [unrolled: 1-line block ×4, first 2 shown]
	s_nop 0
	buffer_store_dword v3, off, s[0:3], s33 offset:628
	buffer_store_dword v8, off, s[0:3], s33 offset:632
	;; [unrolled: 1-line block ×8, first 2 shown]
	s_waitcnt vmcnt(11)
	;;#ASMSTART
	v_cvt_off_f32_i4 v3, v0
v_cvt_off_f32_i4 v4, v0, src0_sel:BYTE_2
v_cvt_pk_fp8_f32 v6, v3, v4
v_cvt_off_f32_i4 v3, v0, src0_sel:BYTE_1
v_cvt_off_f32_i4 v4, v0, src0_sel:BYTE_3
v_cvt_pk_fp8_f32 v8, v3, v4
v_lshrrev_b32 v5, 4, v0
v_cvt_off_f32_i4 v3, v5
v_cvt_off_f32_i4 v4, v5, src0_sel:BYTE_2
v_cvt_pk_fp8_f32 v6, v3, v4, op_sel:[0, 0, 1]
v_cvt_off_f32_i4 v3, v5, src0_sel:BYTE_1
v_cvt_off_f32_i4 v4, v5, src0_sel:BYTE_3
v_cvt_pk_fp8_f32 v8, v3, v4, op_sel:[0, 0, 1]

	;;#ASMEND
	s_waitcnt vmcnt(10)
	;;#ASMSTART
	v_cvt_off_f32_i4 v0, v1
v_cvt_off_f32_i4 v3, v1, src0_sel:BYTE_2
v_cvt_pk_fp8_f32 v5, v0, v3
v_cvt_off_f32_i4 v0, v1, src0_sel:BYTE_1
v_cvt_off_f32_i4 v3, v1, src0_sel:BYTE_3
v_cvt_pk_fp8_f32 v9, v0, v3
v_lshrrev_b32 v4, 4, v1
v_cvt_off_f32_i4 v0, v4
v_cvt_off_f32_i4 v3, v4, src0_sel:BYTE_2
v_cvt_pk_fp8_f32 v5, v0, v3, op_sel:[0, 0, 1]
v_cvt_off_f32_i4 v0, v4, src0_sel:BYTE_1
v_cvt_off_f32_i4 v3, v4, src0_sel:BYTE_3
v_cvt_pk_fp8_f32 v9, v0, v3, op_sel:[0, 0, 1]

	;;#ASMEND
	;; [unrolled: 17-line block ×4, first 2 shown]
	buffer_load_dword v0, off, s[0:3], s33 offset:180
	buffer_load_dword v1, off, s[0:3], s33 offset:184
	;; [unrolled: 1-line block ×4, first 2 shown]
	s_nop 0
	buffer_store_dword v6, off, s[0:3], s33 offset:660
	buffer_store_dword v8, off, s[0:3], s33 offset:664
	;; [unrolled: 1-line block ×8, first 2 shown]
	s_waitcnt vmcnt(11)
	;;#ASMSTART
	v_cvt_off_f32_i4 v3, v0
v_cvt_off_f32_i4 v4, v0, src0_sel:BYTE_2
v_cvt_pk_fp8_f32 v6, v3, v4
v_cvt_off_f32_i4 v3, v0, src0_sel:BYTE_1
v_cvt_off_f32_i4 v4, v0, src0_sel:BYTE_3
v_cvt_pk_fp8_f32 v8, v3, v4
v_lshrrev_b32 v5, 4, v0
v_cvt_off_f32_i4 v3, v5
v_cvt_off_f32_i4 v4, v5, src0_sel:BYTE_2
v_cvt_pk_fp8_f32 v6, v3, v4, op_sel:[0, 0, 1]
v_cvt_off_f32_i4 v3, v5, src0_sel:BYTE_1
v_cvt_off_f32_i4 v4, v5, src0_sel:BYTE_3
v_cvt_pk_fp8_f32 v8, v3, v4, op_sel:[0, 0, 1]

	;;#ASMEND
	s_waitcnt vmcnt(10)
	;;#ASMSTART
	v_cvt_off_f32_i4 v0, v1
v_cvt_off_f32_i4 v3, v1, src0_sel:BYTE_2
v_cvt_pk_fp8_f32 v5, v0, v3
v_cvt_off_f32_i4 v0, v1, src0_sel:BYTE_1
v_cvt_off_f32_i4 v3, v1, src0_sel:BYTE_3
v_cvt_pk_fp8_f32 v9, v0, v3
v_lshrrev_b32 v4, 4, v1
v_cvt_off_f32_i4 v0, v4
v_cvt_off_f32_i4 v3, v4, src0_sel:BYTE_2
v_cvt_pk_fp8_f32 v5, v0, v3, op_sel:[0, 0, 1]
v_cvt_off_f32_i4 v0, v4, src0_sel:BYTE_1
v_cvt_off_f32_i4 v3, v4, src0_sel:BYTE_3
v_cvt_pk_fp8_f32 v9, v0, v3, op_sel:[0, 0, 1]

	;;#ASMEND
	;; [unrolled: 17-line block ×4, first 2 shown]
	buffer_load_dword v0, off, s[0:3], s33 offset:212
	buffer_load_dword v1, off, s[0:3], s33 offset:216
	;; [unrolled: 1-line block ×4, first 2 shown]
	s_nop 0
	buffer_store_dword v6, off, s[0:3], s33 offset:692
	buffer_store_dword v8, off, s[0:3], s33 offset:696
	;; [unrolled: 1-line block ×8, first 2 shown]
	s_waitcnt vmcnt(11)
	;;#ASMSTART
	v_cvt_off_f32_i4 v3, v0
v_cvt_off_f32_i4 v4, v0, src0_sel:BYTE_2
v_cvt_pk_fp8_f32 v6, v3, v4
v_cvt_off_f32_i4 v3, v0, src0_sel:BYTE_1
v_cvt_off_f32_i4 v4, v0, src0_sel:BYTE_3
v_cvt_pk_fp8_f32 v8, v3, v4
v_lshrrev_b32 v5, 4, v0
v_cvt_off_f32_i4 v3, v5
v_cvt_off_f32_i4 v4, v5, src0_sel:BYTE_2
v_cvt_pk_fp8_f32 v6, v3, v4, op_sel:[0, 0, 1]
v_cvt_off_f32_i4 v3, v5, src0_sel:BYTE_1
v_cvt_off_f32_i4 v4, v5, src0_sel:BYTE_3
v_cvt_pk_fp8_f32 v8, v3, v4, op_sel:[0, 0, 1]

	;;#ASMEND
	s_waitcnt vmcnt(10)
	;;#ASMSTART
	v_cvt_off_f32_i4 v0, v1
v_cvt_off_f32_i4 v3, v1, src0_sel:BYTE_2
v_cvt_pk_fp8_f32 v5, v0, v3
v_cvt_off_f32_i4 v0, v1, src0_sel:BYTE_1
v_cvt_off_f32_i4 v3, v1, src0_sel:BYTE_3
v_cvt_pk_fp8_f32 v9, v0, v3
v_lshrrev_b32 v4, 4, v1
v_cvt_off_f32_i4 v0, v4
v_cvt_off_f32_i4 v3, v4, src0_sel:BYTE_2
v_cvt_pk_fp8_f32 v5, v0, v3, op_sel:[0, 0, 1]
v_cvt_off_f32_i4 v0, v4, src0_sel:BYTE_1
v_cvt_off_f32_i4 v3, v4, src0_sel:BYTE_3
v_cvt_pk_fp8_f32 v9, v0, v3, op_sel:[0, 0, 1]

	;;#ASMEND
	;; [unrolled: 17-line block ×4, first 2 shown]
	buffer_load_dword v0, off, s[0:3], s33 offset:244
	buffer_load_dword v1, off, s[0:3], s33 offset:248
	;; [unrolled: 1-line block ×4, first 2 shown]
	s_nop 0
	buffer_store_dword v6, off, s[0:3], s33 offset:724
	buffer_store_dword v8, off, s[0:3], s33 offset:728
	;; [unrolled: 1-line block ×8, first 2 shown]
	s_waitcnt vmcnt(11)
	;;#ASMSTART
	v_cvt_off_f32_i4 v3, v0
v_cvt_off_f32_i4 v4, v0, src0_sel:BYTE_2
v_cvt_pk_fp8_f32 v6, v3, v4
v_cvt_off_f32_i4 v3, v0, src0_sel:BYTE_1
v_cvt_off_f32_i4 v4, v0, src0_sel:BYTE_3
v_cvt_pk_fp8_f32 v8, v3, v4
v_lshrrev_b32 v5, 4, v0
v_cvt_off_f32_i4 v3, v5
v_cvt_off_f32_i4 v4, v5, src0_sel:BYTE_2
v_cvt_pk_fp8_f32 v6, v3, v4, op_sel:[0, 0, 1]
v_cvt_off_f32_i4 v3, v5, src0_sel:BYTE_1
v_cvt_off_f32_i4 v4, v5, src0_sel:BYTE_3
v_cvt_pk_fp8_f32 v8, v3, v4, op_sel:[0, 0, 1]

	;;#ASMEND
	s_waitcnt vmcnt(10)
	;;#ASMSTART
	v_cvt_off_f32_i4 v0, v1
v_cvt_off_f32_i4 v3, v1, src0_sel:BYTE_2
v_cvt_pk_fp8_f32 v5, v0, v3
v_cvt_off_f32_i4 v0, v1, src0_sel:BYTE_1
v_cvt_off_f32_i4 v3, v1, src0_sel:BYTE_3
v_cvt_pk_fp8_f32 v9, v0, v3
v_lshrrev_b32 v4, 4, v1
v_cvt_off_f32_i4 v0, v4
v_cvt_off_f32_i4 v3, v4, src0_sel:BYTE_2
v_cvt_pk_fp8_f32 v5, v0, v3, op_sel:[0, 0, 1]
v_cvt_off_f32_i4 v0, v4, src0_sel:BYTE_1
v_cvt_off_f32_i4 v3, v4, src0_sel:BYTE_3
v_cvt_pk_fp8_f32 v9, v0, v3, op_sel:[0, 0, 1]

	;;#ASMEND
	;; [unrolled: 17-line block ×4, first 2 shown]
	buffer_load_dword v0, off, s[0:3], s33 offset:276
	buffer_load_dword v1, off, s[0:3], s33 offset:280
	;; [unrolled: 1-line block ×4, first 2 shown]
	s_nop 0
	buffer_store_dword v6, off, s[0:3], s33 offset:756
	buffer_store_dword v8, off, s[0:3], s33 offset:760
	;; [unrolled: 1-line block ×8, first 2 shown]
	s_waitcnt vmcnt(11)
	;;#ASMSTART
	v_cvt_off_f32_i4 v3, v0
v_cvt_off_f32_i4 v4, v0, src0_sel:BYTE_2
v_cvt_pk_fp8_f32 v6, v3, v4
v_cvt_off_f32_i4 v3, v0, src0_sel:BYTE_1
v_cvt_off_f32_i4 v4, v0, src0_sel:BYTE_3
v_cvt_pk_fp8_f32 v8, v3, v4
v_lshrrev_b32 v5, 4, v0
v_cvt_off_f32_i4 v3, v5
v_cvt_off_f32_i4 v4, v5, src0_sel:BYTE_2
v_cvt_pk_fp8_f32 v6, v3, v4, op_sel:[0, 0, 1]
v_cvt_off_f32_i4 v3, v5, src0_sel:BYTE_1
v_cvt_off_f32_i4 v4, v5, src0_sel:BYTE_3
v_cvt_pk_fp8_f32 v8, v3, v4, op_sel:[0, 0, 1]

	;;#ASMEND
	s_waitcnt vmcnt(10)
	;;#ASMSTART
	v_cvt_off_f32_i4 v0, v1
v_cvt_off_f32_i4 v3, v1, src0_sel:BYTE_2
v_cvt_pk_fp8_f32 v5, v0, v3
v_cvt_off_f32_i4 v0, v1, src0_sel:BYTE_1
v_cvt_off_f32_i4 v3, v1, src0_sel:BYTE_3
v_cvt_pk_fp8_f32 v9, v0, v3
v_lshrrev_b32 v4, 4, v1
v_cvt_off_f32_i4 v0, v4
v_cvt_off_f32_i4 v3, v4, src0_sel:BYTE_2
v_cvt_pk_fp8_f32 v5, v0, v3, op_sel:[0, 0, 1]
v_cvt_off_f32_i4 v0, v4, src0_sel:BYTE_1
v_cvt_off_f32_i4 v3, v4, src0_sel:BYTE_3
v_cvt_pk_fp8_f32 v9, v0, v3, op_sel:[0, 0, 1]

	;;#ASMEND
	;; [unrolled: 17-line block ×4, first 2 shown]
	buffer_load_dword v0, off, s[0:3], s33 offset:308
	buffer_load_dword v1, off, s[0:3], s33 offset:312
	;; [unrolled: 1-line block ×4, first 2 shown]
	s_nop 0
	buffer_store_dword v6, off, s[0:3], s33 offset:788
	buffer_store_dword v8, off, s[0:3], s33 offset:792
	;; [unrolled: 1-line block ×8, first 2 shown]
	s_waitcnt vmcnt(11)
	;;#ASMSTART
	v_cvt_off_f32_i4 v3, v0
v_cvt_off_f32_i4 v4, v0, src0_sel:BYTE_2
v_cvt_pk_fp8_f32 v6, v3, v4
v_cvt_off_f32_i4 v3, v0, src0_sel:BYTE_1
v_cvt_off_f32_i4 v4, v0, src0_sel:BYTE_3
v_cvt_pk_fp8_f32 v8, v3, v4
v_lshrrev_b32 v5, 4, v0
v_cvt_off_f32_i4 v3, v5
v_cvt_off_f32_i4 v4, v5, src0_sel:BYTE_2
v_cvt_pk_fp8_f32 v6, v3, v4, op_sel:[0, 0, 1]
v_cvt_off_f32_i4 v3, v5, src0_sel:BYTE_1
v_cvt_off_f32_i4 v4, v5, src0_sel:BYTE_3
v_cvt_pk_fp8_f32 v8, v3, v4, op_sel:[0, 0, 1]

	;;#ASMEND
	s_waitcnt vmcnt(10)
	;;#ASMSTART
	v_cvt_off_f32_i4 v0, v1
v_cvt_off_f32_i4 v3, v1, src0_sel:BYTE_2
v_cvt_pk_fp8_f32 v5, v0, v3
v_cvt_off_f32_i4 v0, v1, src0_sel:BYTE_1
v_cvt_off_f32_i4 v3, v1, src0_sel:BYTE_3
v_cvt_pk_fp8_f32 v9, v0, v3
v_lshrrev_b32 v4, 4, v1
v_cvt_off_f32_i4 v0, v4
v_cvt_off_f32_i4 v3, v4, src0_sel:BYTE_2
v_cvt_pk_fp8_f32 v5, v0, v3, op_sel:[0, 0, 1]
v_cvt_off_f32_i4 v0, v4, src0_sel:BYTE_1
v_cvt_off_f32_i4 v3, v4, src0_sel:BYTE_3
v_cvt_pk_fp8_f32 v9, v0, v3, op_sel:[0, 0, 1]

	;;#ASMEND
	;; [unrolled: 17-line block ×4, first 2 shown]
	buffer_load_dword v0, off, s[0:3], s33 offset:340
	buffer_load_dword v1, off, s[0:3], s33 offset:344
	buffer_load_dword v2, off, s[0:3], s33 offset:348
	buffer_load_dword v7, off, s[0:3], s33 offset:352
	s_nop 0
	buffer_store_dword v6, off, s[0:3], s33 offset:820
	buffer_store_dword v8, off, s[0:3], s33 offset:824
	;; [unrolled: 1-line block ×8, first 2 shown]
	s_waitcnt vmcnt(11)
	;;#ASMSTART
	v_cvt_off_f32_i4 v3, v0
v_cvt_off_f32_i4 v4, v0, src0_sel:BYTE_2
v_cvt_pk_fp8_f32 v6, v3, v4
v_cvt_off_f32_i4 v3, v0, src0_sel:BYTE_1
v_cvt_off_f32_i4 v4, v0, src0_sel:BYTE_3
v_cvt_pk_fp8_f32 v8, v3, v4
v_lshrrev_b32 v5, 4, v0
v_cvt_off_f32_i4 v3, v5
v_cvt_off_f32_i4 v4, v5, src0_sel:BYTE_2
v_cvt_pk_fp8_f32 v6, v3, v4, op_sel:[0, 0, 1]
v_cvt_off_f32_i4 v3, v5, src0_sel:BYTE_1
v_cvt_off_f32_i4 v4, v5, src0_sel:BYTE_3
v_cvt_pk_fp8_f32 v8, v3, v4, op_sel:[0, 0, 1]

	;;#ASMEND
	s_waitcnt vmcnt(10)
	;;#ASMSTART
	v_cvt_off_f32_i4 v0, v1
v_cvt_off_f32_i4 v3, v1, src0_sel:BYTE_2
v_cvt_pk_fp8_f32 v5, v0, v3
v_cvt_off_f32_i4 v0, v1, src0_sel:BYTE_1
v_cvt_off_f32_i4 v3, v1, src0_sel:BYTE_3
v_cvt_pk_fp8_f32 v9, v0, v3
v_lshrrev_b32 v4, 4, v1
v_cvt_off_f32_i4 v0, v4
v_cvt_off_f32_i4 v3, v4, src0_sel:BYTE_2
v_cvt_pk_fp8_f32 v5, v0, v3, op_sel:[0, 0, 1]
v_cvt_off_f32_i4 v0, v4, src0_sel:BYTE_1
v_cvt_off_f32_i4 v3, v4, src0_sel:BYTE_3
v_cvt_pk_fp8_f32 v9, v0, v3, op_sel:[0, 0, 1]

	;;#ASMEND
	;; [unrolled: 17-line block ×4, first 2 shown]
	buffer_store_dword v6, off, s[0:3], s33 offset:852
	buffer_store_dword v8, off, s[0:3], s33 offset:856
	;; [unrolled: 1-line block ×8, first 2 shown]
	; sched_barrier mask(0x00000000)
	v_lshrrev_b32_e64 v0, 6, s33
	v_add_u32_e32 v0, 8, v0
	v_mov_b32_e32 v1, s17
	buffer_store_dword v32, off, s[0:3], s33 offset:12
	buffer_store_dword v33, off, s[0:3], s33 offset:8
	;; [unrolled: 1-line block ×8, first 2 shown]
	s_getpc_b64 s[4:5]
	s_add_u32 s4, s4, _ZNK2ck6detail7applierIiJLi0ELi1ELi2ELi3ELi4ELi5ELi6ELi7EEEclIZNKS_11static_fordINS_8SequenceIJLi1ELi8EEEENS5_IJLi0ELi1EEEEEclIZZNKS_52BlockwiseGemmXdlops_pipeline_bpreshuffle_bdequant_v3ILNS_26BlockGemmPipelineSchedulerE0ELi256ENS_9f8_fnuz_tENS_7pk_i4_tESC_fNS_16TensorDescriptorINS_5TupleIJNS_5EmbedINSF_IJNS_17integral_constantIiLi8EEENSH_IiLi256EEENSH_IiLi16EEEEEENSF_IJSK_NSH_IiLi128EEENSH_IiLi1EEEEEELb0EEENS_3XorINSF_IJSJ_SI_EEELb1EEENS_11PassThroughISK_EENS_7UnMergeINSF_IJSI_SN_EEELb0EEENST_ISJ_EESU_NST_ISI_EENS_21Merge_v3_division_modINSF_IJSJ_SN_EEEEESU_EEENSF_IJNS5_IJLi0EEEENS5_IJLi2ELi1EEEENS5_IJLi3EEEENS5_IJLi5EEEENS5_IJLi4EEEENS5_IJLi6EEEENS5_IJLi7EEEENS5_IJLi9ELi8EEEENS5_IJLi10EEEEEEENSF_IJNS5_IJLi1ELi2ELi3EEEENS5_IJLi4ELi5EEEES19_NS5_IJLi7ELi8EEEENS5_IJLi9EEEES1C_NS5_IJLi11EEEENS5_IJLi12EEEENS5_IJLi13EEEEEEENS5_IJLi11ELi12ELi13EEEENSH_IlLl32768EEEEENSE_INSF_IJNSV_INSF_IJSI_SN_SN_NSH_IiLi32EEEEEELb0EEEEEENSF_IJS14_EEENSF_IJNS5_IJLi1ELi2ELi3ELi4EEEEEEES1U_NSH_IlLl256EEEEENSE_INSF_IJSP_SS_SU_SX_SY_SU_SZ_S12_SU_NS10_INSF_IJSI_SK_EEEEENSV_INSF_IJSI_NSH_IiLi2EEESK_EEELb0EEEEEENSF_IJS14_S15_S16_S17_S18_S19_S1A_S1B_S1C_NS5_IJLi11ELi13EEEES1J_EEENSF_IJS1E_S1F_S19_S1G_S1H_S1C_S1I_S1J_S1K_NS5_IJLi14EEEENS5_IJLi15ELi16ELi17EEEEEEENS5_IJLi15ELi16ELi17ELi14EEEES1N_EENSE_INSF_IJS1R_NS10_ISW_EES22_EEENSF_IJS14_NS5_IJLi1ELi3EEEENS5_IJLi2EEEEEEENSF_IJS1U_S17_NS5_IJLi6ELi7ELi8EEEEEEENS5_IJLi6ELi7ELi8ELi5EEEES1W_EELi16ELi32ELi256ELi256ELi128ELi16ELi16ELi8ELi8ELi32ELb0EE3RunILb1ELNS_10TailNumberE0ENSE_INSF_IJNSG_INSF_IJiiEEENSF_IJiSN_EEELb0EEENSV_IS2N_Lb0EEENST_IiEEEEENSF_IJS14_S2E_NS5_IJLi1EEEEEEENSF_IJNS5_IJLi1ELi2EEEENS5_IJLi3ELi4EEEES17_EEENS5_IJLi3ELi5ELi4EEEElEES1O_NS_35ThreadGroupTensorSliceTransfer_v4r1INS_15ThisThreadBlockILi256EEENS_16tensor_operation12element_wise11PassThroughES35_LNS_25InMemoryDataOperationEnumE0ENS5_IJLi8ELi256ELi16EEEENS5_IJLi8ELi32ELi1EEEENS5_IJLi1ELi0ELi2EEEESC_SC_RKS2Z_KS1O_S39_NS5_IJLi0ELi1ELi2EEEELi2ELi2ELi16ELi16ELi1ELi1ELb0ELb1ELi2EiEENS_13DynamicBufferILNS_16AddressSpaceEnumE1EKSC_lLb1ELNS_22AmdBufferCoherenceEnumE0EiEENSF_IJNS3F_ILS3G_2ESC_S1N_Lb1ELS3I_0EiEES3K_EEENSF_IJiiiEEENSE_INSF_IJNSG_INSF_IJiiiiEEENSF_IJiiiSN_EEELb0EEEEEES1T_S1V_S1U_lEENS_32ThreadwiseTensorSliceTransfer_v2ISD_SD_RKS3R_KS1X_NS5_IJLi8ELi1ELi1ELi32EEEENS5_IJLi1ELi2ELi0ELi3EEEELi3ELi32ELi0ELb1ELb0ELb0EEENS3F_ILS3G_1EKSD_lLb1ELS3I_0EiEENSF_IJNS_12StaticBufferILS3G_4ESD_Li256ELb1EEES42_EEES3N_NS_25StaticBufferTupleOfVectorILS3G_4EfLi64ELi4ELb1ELb0EEEEEvRKT1_RKT2_RT3_RKT4_RT5_RKT6_RKT7_RT8_RKT9_RT10_RKT11_RT12_iENKUlT_E0_clISN_EEDaS51_EUlS51_E_EEvS51_EUlS51_E_EEvS51_@rel32@lo+4
	s_addc_u32 s5, s5, _ZNK2ck6detail7applierIiJLi0ELi1ELi2ELi3ELi4ELi5ELi6ELi7EEEclIZNKS_11static_fordINS_8SequenceIJLi1ELi8EEEENS5_IJLi0ELi1EEEEEclIZZNKS_52BlockwiseGemmXdlops_pipeline_bpreshuffle_bdequant_v3ILNS_26BlockGemmPipelineSchedulerE0ELi256ENS_9f8_fnuz_tENS_7pk_i4_tESC_fNS_16TensorDescriptorINS_5TupleIJNS_5EmbedINSF_IJNS_17integral_constantIiLi8EEENSH_IiLi256EEENSH_IiLi16EEEEEENSF_IJSK_NSH_IiLi128EEENSH_IiLi1EEEEEELb0EEENS_3XorINSF_IJSJ_SI_EEELb1EEENS_11PassThroughISK_EENS_7UnMergeINSF_IJSI_SN_EEELb0EEENST_ISJ_EESU_NST_ISI_EENS_21Merge_v3_division_modINSF_IJSJ_SN_EEEEESU_EEENSF_IJNS5_IJLi0EEEENS5_IJLi2ELi1EEEENS5_IJLi3EEEENS5_IJLi5EEEENS5_IJLi4EEEENS5_IJLi6EEEENS5_IJLi7EEEENS5_IJLi9ELi8EEEENS5_IJLi10EEEEEEENSF_IJNS5_IJLi1ELi2ELi3EEEENS5_IJLi4ELi5EEEES19_NS5_IJLi7ELi8EEEENS5_IJLi9EEEES1C_NS5_IJLi11EEEENS5_IJLi12EEEENS5_IJLi13EEEEEEENS5_IJLi11ELi12ELi13EEEENSH_IlLl32768EEEEENSE_INSF_IJNSV_INSF_IJSI_SN_SN_NSH_IiLi32EEEEEELb0EEEEEENSF_IJS14_EEENSF_IJNS5_IJLi1ELi2ELi3ELi4EEEEEEES1U_NSH_IlLl256EEEEENSE_INSF_IJSP_SS_SU_SX_SY_SU_SZ_S12_SU_NS10_INSF_IJSI_SK_EEEEENSV_INSF_IJSI_NSH_IiLi2EEESK_EEELb0EEEEEENSF_IJS14_S15_S16_S17_S18_S19_S1A_S1B_S1C_NS5_IJLi11ELi13EEEES1J_EEENSF_IJS1E_S1F_S19_S1G_S1H_S1C_S1I_S1J_S1K_NS5_IJLi14EEEENS5_IJLi15ELi16ELi17EEEEEEENS5_IJLi15ELi16ELi17ELi14EEEES1N_EENSE_INSF_IJS1R_NS10_ISW_EES22_EEENSF_IJS14_NS5_IJLi1ELi3EEEENS5_IJLi2EEEEEEENSF_IJS1U_S17_NS5_IJLi6ELi7ELi8EEEEEEENS5_IJLi6ELi7ELi8ELi5EEEES1W_EELi16ELi32ELi256ELi256ELi128ELi16ELi16ELi8ELi8ELi32ELb0EE3RunILb1ELNS_10TailNumberE0ENSE_INSF_IJNSG_INSF_IJiiEEENSF_IJiSN_EEELb0EEENSV_IS2N_Lb0EEENST_IiEEEEENSF_IJS14_S2E_NS5_IJLi1EEEEEEENSF_IJNS5_IJLi1ELi2EEEENS5_IJLi3ELi4EEEES17_EEENS5_IJLi3ELi5ELi4EEEElEES1O_NS_35ThreadGroupTensorSliceTransfer_v4r1INS_15ThisThreadBlockILi256EEENS_16tensor_operation12element_wise11PassThroughES35_LNS_25InMemoryDataOperationEnumE0ENS5_IJLi8ELi256ELi16EEEENS5_IJLi8ELi32ELi1EEEENS5_IJLi1ELi0ELi2EEEESC_SC_RKS2Z_KS1O_S39_NS5_IJLi0ELi1ELi2EEEELi2ELi2ELi16ELi16ELi1ELi1ELb0ELb1ELi2EiEENS_13DynamicBufferILNS_16AddressSpaceEnumE1EKSC_lLb1ELNS_22AmdBufferCoherenceEnumE0EiEENSF_IJNS3F_ILS3G_2ESC_S1N_Lb1ELS3I_0EiEES3K_EEENSF_IJiiiEEENSE_INSF_IJNSG_INSF_IJiiiiEEENSF_IJiiiSN_EEELb0EEEEEES1T_S1V_S1U_lEENS_32ThreadwiseTensorSliceTransfer_v2ISD_SD_RKS3R_KS1X_NS5_IJLi8ELi1ELi1ELi32EEEENS5_IJLi1ELi2ELi0ELi3EEEELi3ELi32ELi0ELb1ELb0ELb0EEENS3F_ILS3G_1EKSD_lLb1ELS3I_0EiEENSF_IJNS_12StaticBufferILS3G_4ESD_Li256ELb1EEES42_EEES3N_NS_25StaticBufferTupleOfVectorILS3G_4EfLi64ELi4ELb1ELb0EEEEEvRKT1_RKT2_RT3_RKT4_RT5_RKT6_RKT7_RT8_RKT9_RT10_RKT11_RT12_iENKUlT_E0_clISN_EEDaS51_EUlS51_E_EEvS51_EUlS51_E_EEvS51_@rel32@hi+12
	s_swappc_b64 s[30:31], s[4:5]
	flat_load_dwordx2 v[12:13], v[30:31] offset:1148
	flat_load_dwordx2 v[14:15], v[30:31] offset:1164
	flat_load_dwordx4 v[0:3], v[30:31] offset:1176
	flat_load_dwordx3 v[8:10], v[30:31] offset:1132
	flat_load_dwordx2 v[16:17], v[28:29]
	; sched_group_barrier mask(0x00000008) size(16) SyncID(0)
	; sched_group_barrier mask(0x00000100) size(1) SyncID(0)
	;; [unrolled: 1-line block ×4, first 2 shown]
	s_waitcnt vmcnt(0) lgkmcnt(0)
	v_sub_u32_e32 v4, v12, v15
	v_add3_u32 v1, v4, v1, 64
	v_ashrrev_i32_e32 v4, 31, v1
	v_lshrrev_b32_e32 v4, 29, v4
	v_add_u32_e32 v4, v1, v4
	v_and_b32_e32 v4, -8, v4
	v_sub_u32_e32 v5, v13, v14
	v_sub_u32_e32 v6, v1, v10
	;; [unrolled: 1-line block ×3, first 2 shown]
	v_xor_b32_e32 v4, v1, v5
	v_sub_u32_e32 v4, v4, v9
	v_lshlrev_b32_e32 v10, 7, v6
	v_lshlrev_b32_e32 v4, 4, v4
	v_add3_u32 v4, v10, v8, v4
	v_ashrrev_i32_e32 v5, 31, v4
	v_add_co_u32_e32 v4, vcc, v16, v4
	v_addc_co_u32_e32 v5, vcc, v17, v5, vcc
	flat_load_dwordx4 v[4:7], v[4:5]
	v_add_u32_e32 v3, 16, v3
	v_sub_u32_e32 v2, v8, v2
	v_ashrrev_i32_e32 v8, 31, v3
	v_lshrrev_b32_e32 v8, 28, v8
	v_add_u32_e32 v0, v14, v0
	v_add_u32_e32 v8, v3, v8
	v_sub_u32_e32 v0, v13, v0
	v_lshrrev_b32_e32 v11, 4, v8
	v_add_u32_e32 v0, v0, v11
	v_xor_b32_e32 v0, v0, v1
	v_and_b32_e32 v8, -16, v8
	v_sub_u32_e32 v0, v0, v9
	v_add_u32_e32 v2, v2, v10
	v_sub_u32_e32 v3, v3, v8
	v_lshlrev_b32_e32 v0, 4, v0
	v_add3_u32 v0, v2, v3, v0
	v_ashrrev_i32_e32 v1, 31, v0
	v_add_co_u32_e32 v0, vcc, v16, v0
	v_addc_co_u32_e32 v1, vcc, v17, v1, vcc
	s_waitcnt vmcnt(0) lgkmcnt(0)
	buffer_store_dword v4, off, s[0:3], s33 offset:52
	buffer_store_dword v5, off, s[0:3], s33 offset:56
	;; [unrolled: 1-line block ×4, first 2 shown]
	flat_load_dwordx4 v[0:3], v[0:1]
	s_nop 0
	buffer_load_dword v4, off, s[0:3], s33 offset:116
	buffer_load_dword v5, off, s[0:3], s33 offset:120
	;; [unrolled: 1-line block ×4, first 2 shown]
	s_waitcnt vmcnt(0) lgkmcnt(0)
	buffer_store_dword v0, off, s[0:3], s33 offset:68
	buffer_store_dword v1, off, s[0:3], s33 offset:72
	;; [unrolled: 1-line block ×4, first 2 shown]
	;;#ASMSTART
	v_cvt_off_f32_i4 v0, v4
v_cvt_off_f32_i4 v1, v4, src0_sel:BYTE_2
v_cvt_pk_fp8_f32 v3, v0, v1
v_cvt_off_f32_i4 v0, v4, src0_sel:BYTE_1
v_cvt_off_f32_i4 v1, v4, src0_sel:BYTE_3
v_cvt_pk_fp8_f32 v8, v0, v1
v_lshrrev_b32 v2, 4, v4
v_cvt_off_f32_i4 v0, v2
v_cvt_off_f32_i4 v1, v2, src0_sel:BYTE_2
v_cvt_pk_fp8_f32 v3, v0, v1, op_sel:[0, 0, 1]
v_cvt_off_f32_i4 v0, v2, src0_sel:BYTE_1
v_cvt_off_f32_i4 v1, v2, src0_sel:BYTE_3
v_cvt_pk_fp8_f32 v8, v0, v1, op_sel:[0, 0, 1]

	;;#ASMEND
	;;#ASMSTART
	v_cvt_off_f32_i4 v0, v5
v_cvt_off_f32_i4 v1, v5, src0_sel:BYTE_2
v_cvt_pk_fp8_f32 v4, v0, v1
v_cvt_off_f32_i4 v0, v5, src0_sel:BYTE_1
v_cvt_off_f32_i4 v1, v5, src0_sel:BYTE_3
v_cvt_pk_fp8_f32 v9, v0, v1
v_lshrrev_b32 v2, 4, v5
v_cvt_off_f32_i4 v0, v2
v_cvt_off_f32_i4 v1, v2, src0_sel:BYTE_2
v_cvt_pk_fp8_f32 v4, v0, v1, op_sel:[0, 0, 1]
v_cvt_off_f32_i4 v0, v2, src0_sel:BYTE_1
v_cvt_off_f32_i4 v1, v2, src0_sel:BYTE_3
v_cvt_pk_fp8_f32 v9, v0, v1, op_sel:[0, 0, 1]

	;;#ASMEND
	;; [unrolled: 16-line block ×4, first 2 shown]
	buffer_load_dword v0, off, s[0:3], s33 offset:148
	buffer_load_dword v1, off, s[0:3], s33 offset:152
	;; [unrolled: 1-line block ×4, first 2 shown]
	s_nop 0
	buffer_store_dword v3, off, s[0:3], s33 offset:628
	buffer_store_dword v8, off, s[0:3], s33 offset:632
	;; [unrolled: 1-line block ×8, first 2 shown]
	s_waitcnt vmcnt(11)
	;;#ASMSTART
	v_cvt_off_f32_i4 v3, v0
v_cvt_off_f32_i4 v4, v0, src0_sel:BYTE_2
v_cvt_pk_fp8_f32 v6, v3, v4
v_cvt_off_f32_i4 v3, v0, src0_sel:BYTE_1
v_cvt_off_f32_i4 v4, v0, src0_sel:BYTE_3
v_cvt_pk_fp8_f32 v8, v3, v4
v_lshrrev_b32 v5, 4, v0
v_cvt_off_f32_i4 v3, v5
v_cvt_off_f32_i4 v4, v5, src0_sel:BYTE_2
v_cvt_pk_fp8_f32 v6, v3, v4, op_sel:[0, 0, 1]
v_cvt_off_f32_i4 v3, v5, src0_sel:BYTE_1
v_cvt_off_f32_i4 v4, v5, src0_sel:BYTE_3
v_cvt_pk_fp8_f32 v8, v3, v4, op_sel:[0, 0, 1]

	;;#ASMEND
	s_waitcnt vmcnt(10)
	;;#ASMSTART
	v_cvt_off_f32_i4 v0, v1
v_cvt_off_f32_i4 v3, v1, src0_sel:BYTE_2
v_cvt_pk_fp8_f32 v5, v0, v3
v_cvt_off_f32_i4 v0, v1, src0_sel:BYTE_1
v_cvt_off_f32_i4 v3, v1, src0_sel:BYTE_3
v_cvt_pk_fp8_f32 v9, v0, v3
v_lshrrev_b32 v4, 4, v1
v_cvt_off_f32_i4 v0, v4
v_cvt_off_f32_i4 v3, v4, src0_sel:BYTE_2
v_cvt_pk_fp8_f32 v5, v0, v3, op_sel:[0, 0, 1]
v_cvt_off_f32_i4 v0, v4, src0_sel:BYTE_1
v_cvt_off_f32_i4 v3, v4, src0_sel:BYTE_3
v_cvt_pk_fp8_f32 v9, v0, v3, op_sel:[0, 0, 1]

	;;#ASMEND
	;; [unrolled: 17-line block ×4, first 2 shown]
	buffer_load_dword v0, off, s[0:3], s33 offset:180
	buffer_load_dword v1, off, s[0:3], s33 offset:184
	;; [unrolled: 1-line block ×4, first 2 shown]
	s_nop 0
	buffer_store_dword v6, off, s[0:3], s33 offset:660
	buffer_store_dword v8, off, s[0:3], s33 offset:664
	;; [unrolled: 1-line block ×8, first 2 shown]
	s_waitcnt vmcnt(11)
	;;#ASMSTART
	v_cvt_off_f32_i4 v3, v0
v_cvt_off_f32_i4 v4, v0, src0_sel:BYTE_2
v_cvt_pk_fp8_f32 v6, v3, v4
v_cvt_off_f32_i4 v3, v0, src0_sel:BYTE_1
v_cvt_off_f32_i4 v4, v0, src0_sel:BYTE_3
v_cvt_pk_fp8_f32 v8, v3, v4
v_lshrrev_b32 v5, 4, v0
v_cvt_off_f32_i4 v3, v5
v_cvt_off_f32_i4 v4, v5, src0_sel:BYTE_2
v_cvt_pk_fp8_f32 v6, v3, v4, op_sel:[0, 0, 1]
v_cvt_off_f32_i4 v3, v5, src0_sel:BYTE_1
v_cvt_off_f32_i4 v4, v5, src0_sel:BYTE_3
v_cvt_pk_fp8_f32 v8, v3, v4, op_sel:[0, 0, 1]

	;;#ASMEND
	s_waitcnt vmcnt(10)
	;;#ASMSTART
	v_cvt_off_f32_i4 v0, v1
v_cvt_off_f32_i4 v3, v1, src0_sel:BYTE_2
v_cvt_pk_fp8_f32 v5, v0, v3
v_cvt_off_f32_i4 v0, v1, src0_sel:BYTE_1
v_cvt_off_f32_i4 v3, v1, src0_sel:BYTE_3
v_cvt_pk_fp8_f32 v9, v0, v3
v_lshrrev_b32 v4, 4, v1
v_cvt_off_f32_i4 v0, v4
v_cvt_off_f32_i4 v3, v4, src0_sel:BYTE_2
v_cvt_pk_fp8_f32 v5, v0, v3, op_sel:[0, 0, 1]
v_cvt_off_f32_i4 v0, v4, src0_sel:BYTE_1
v_cvt_off_f32_i4 v3, v4, src0_sel:BYTE_3
v_cvt_pk_fp8_f32 v9, v0, v3, op_sel:[0, 0, 1]

	;;#ASMEND
	;; [unrolled: 17-line block ×4, first 2 shown]
	buffer_load_dword v0, off, s[0:3], s33 offset:212
	buffer_load_dword v1, off, s[0:3], s33 offset:216
	;; [unrolled: 1-line block ×4, first 2 shown]
	s_nop 0
	buffer_store_dword v6, off, s[0:3], s33 offset:692
	buffer_store_dword v8, off, s[0:3], s33 offset:696
	;; [unrolled: 1-line block ×8, first 2 shown]
	s_waitcnt vmcnt(11)
	;;#ASMSTART
	v_cvt_off_f32_i4 v3, v0
v_cvt_off_f32_i4 v4, v0, src0_sel:BYTE_2
v_cvt_pk_fp8_f32 v6, v3, v4
v_cvt_off_f32_i4 v3, v0, src0_sel:BYTE_1
v_cvt_off_f32_i4 v4, v0, src0_sel:BYTE_3
v_cvt_pk_fp8_f32 v8, v3, v4
v_lshrrev_b32 v5, 4, v0
v_cvt_off_f32_i4 v3, v5
v_cvt_off_f32_i4 v4, v5, src0_sel:BYTE_2
v_cvt_pk_fp8_f32 v6, v3, v4, op_sel:[0, 0, 1]
v_cvt_off_f32_i4 v3, v5, src0_sel:BYTE_1
v_cvt_off_f32_i4 v4, v5, src0_sel:BYTE_3
v_cvt_pk_fp8_f32 v8, v3, v4, op_sel:[0, 0, 1]

	;;#ASMEND
	s_waitcnt vmcnt(10)
	;;#ASMSTART
	v_cvt_off_f32_i4 v0, v1
v_cvt_off_f32_i4 v3, v1, src0_sel:BYTE_2
v_cvt_pk_fp8_f32 v5, v0, v3
v_cvt_off_f32_i4 v0, v1, src0_sel:BYTE_1
v_cvt_off_f32_i4 v3, v1, src0_sel:BYTE_3
v_cvt_pk_fp8_f32 v9, v0, v3
v_lshrrev_b32 v4, 4, v1
v_cvt_off_f32_i4 v0, v4
v_cvt_off_f32_i4 v3, v4, src0_sel:BYTE_2
v_cvt_pk_fp8_f32 v5, v0, v3, op_sel:[0, 0, 1]
v_cvt_off_f32_i4 v0, v4, src0_sel:BYTE_1
v_cvt_off_f32_i4 v3, v4, src0_sel:BYTE_3
v_cvt_pk_fp8_f32 v9, v0, v3, op_sel:[0, 0, 1]

	;;#ASMEND
	;; [unrolled: 17-line block ×4, first 2 shown]
	buffer_load_dword v0, off, s[0:3], s33 offset:244
	buffer_load_dword v1, off, s[0:3], s33 offset:248
	;; [unrolled: 1-line block ×4, first 2 shown]
	s_nop 0
	buffer_store_dword v6, off, s[0:3], s33 offset:724
	buffer_store_dword v8, off, s[0:3], s33 offset:728
	;; [unrolled: 1-line block ×8, first 2 shown]
	s_waitcnt vmcnt(11)
	;;#ASMSTART
	v_cvt_off_f32_i4 v3, v0
v_cvt_off_f32_i4 v4, v0, src0_sel:BYTE_2
v_cvt_pk_fp8_f32 v6, v3, v4
v_cvt_off_f32_i4 v3, v0, src0_sel:BYTE_1
v_cvt_off_f32_i4 v4, v0, src0_sel:BYTE_3
v_cvt_pk_fp8_f32 v8, v3, v4
v_lshrrev_b32 v5, 4, v0
v_cvt_off_f32_i4 v3, v5
v_cvt_off_f32_i4 v4, v5, src0_sel:BYTE_2
v_cvt_pk_fp8_f32 v6, v3, v4, op_sel:[0, 0, 1]
v_cvt_off_f32_i4 v3, v5, src0_sel:BYTE_1
v_cvt_off_f32_i4 v4, v5, src0_sel:BYTE_3
v_cvt_pk_fp8_f32 v8, v3, v4, op_sel:[0, 0, 1]

	;;#ASMEND
	s_waitcnt vmcnt(10)
	;;#ASMSTART
	v_cvt_off_f32_i4 v0, v1
v_cvt_off_f32_i4 v3, v1, src0_sel:BYTE_2
v_cvt_pk_fp8_f32 v5, v0, v3
v_cvt_off_f32_i4 v0, v1, src0_sel:BYTE_1
v_cvt_off_f32_i4 v3, v1, src0_sel:BYTE_3
v_cvt_pk_fp8_f32 v9, v0, v3
v_lshrrev_b32 v4, 4, v1
v_cvt_off_f32_i4 v0, v4
v_cvt_off_f32_i4 v3, v4, src0_sel:BYTE_2
v_cvt_pk_fp8_f32 v5, v0, v3, op_sel:[0, 0, 1]
v_cvt_off_f32_i4 v0, v4, src0_sel:BYTE_1
v_cvt_off_f32_i4 v3, v4, src0_sel:BYTE_3
v_cvt_pk_fp8_f32 v9, v0, v3, op_sel:[0, 0, 1]

	;;#ASMEND
	;; [unrolled: 17-line block ×4, first 2 shown]
	buffer_load_dword v0, off, s[0:3], s33 offset:276
	buffer_load_dword v1, off, s[0:3], s33 offset:280
	;; [unrolled: 1-line block ×4, first 2 shown]
	s_nop 0
	buffer_store_dword v6, off, s[0:3], s33 offset:756
	buffer_store_dword v8, off, s[0:3], s33 offset:760
	;; [unrolled: 1-line block ×8, first 2 shown]
	s_waitcnt vmcnt(11)
	;;#ASMSTART
	v_cvt_off_f32_i4 v3, v0
v_cvt_off_f32_i4 v4, v0, src0_sel:BYTE_2
v_cvt_pk_fp8_f32 v6, v3, v4
v_cvt_off_f32_i4 v3, v0, src0_sel:BYTE_1
v_cvt_off_f32_i4 v4, v0, src0_sel:BYTE_3
v_cvt_pk_fp8_f32 v8, v3, v4
v_lshrrev_b32 v5, 4, v0
v_cvt_off_f32_i4 v3, v5
v_cvt_off_f32_i4 v4, v5, src0_sel:BYTE_2
v_cvt_pk_fp8_f32 v6, v3, v4, op_sel:[0, 0, 1]
v_cvt_off_f32_i4 v3, v5, src0_sel:BYTE_1
v_cvt_off_f32_i4 v4, v5, src0_sel:BYTE_3
v_cvt_pk_fp8_f32 v8, v3, v4, op_sel:[0, 0, 1]

	;;#ASMEND
	s_waitcnt vmcnt(10)
	;;#ASMSTART
	v_cvt_off_f32_i4 v0, v1
v_cvt_off_f32_i4 v3, v1, src0_sel:BYTE_2
v_cvt_pk_fp8_f32 v5, v0, v3
v_cvt_off_f32_i4 v0, v1, src0_sel:BYTE_1
v_cvt_off_f32_i4 v3, v1, src0_sel:BYTE_3
v_cvt_pk_fp8_f32 v9, v0, v3
v_lshrrev_b32 v4, 4, v1
v_cvt_off_f32_i4 v0, v4
v_cvt_off_f32_i4 v3, v4, src0_sel:BYTE_2
v_cvt_pk_fp8_f32 v5, v0, v3, op_sel:[0, 0, 1]
v_cvt_off_f32_i4 v0, v4, src0_sel:BYTE_1
v_cvt_off_f32_i4 v3, v4, src0_sel:BYTE_3
v_cvt_pk_fp8_f32 v9, v0, v3, op_sel:[0, 0, 1]

	;;#ASMEND
	;; [unrolled: 17-line block ×4, first 2 shown]
	buffer_load_dword v0, off, s[0:3], s33 offset:308
	buffer_load_dword v1, off, s[0:3], s33 offset:312
	;; [unrolled: 1-line block ×4, first 2 shown]
	s_nop 0
	buffer_store_dword v6, off, s[0:3], s33 offset:788
	buffer_store_dword v8, off, s[0:3], s33 offset:792
	;; [unrolled: 1-line block ×8, first 2 shown]
	s_waitcnt vmcnt(11)
	;;#ASMSTART
	v_cvt_off_f32_i4 v3, v0
v_cvt_off_f32_i4 v4, v0, src0_sel:BYTE_2
v_cvt_pk_fp8_f32 v6, v3, v4
v_cvt_off_f32_i4 v3, v0, src0_sel:BYTE_1
v_cvt_off_f32_i4 v4, v0, src0_sel:BYTE_3
v_cvt_pk_fp8_f32 v8, v3, v4
v_lshrrev_b32 v5, 4, v0
v_cvt_off_f32_i4 v3, v5
v_cvt_off_f32_i4 v4, v5, src0_sel:BYTE_2
v_cvt_pk_fp8_f32 v6, v3, v4, op_sel:[0, 0, 1]
v_cvt_off_f32_i4 v3, v5, src0_sel:BYTE_1
v_cvt_off_f32_i4 v4, v5, src0_sel:BYTE_3
v_cvt_pk_fp8_f32 v8, v3, v4, op_sel:[0, 0, 1]

	;;#ASMEND
	s_waitcnt vmcnt(10)
	;;#ASMSTART
	v_cvt_off_f32_i4 v0, v1
v_cvt_off_f32_i4 v3, v1, src0_sel:BYTE_2
v_cvt_pk_fp8_f32 v5, v0, v3
v_cvt_off_f32_i4 v0, v1, src0_sel:BYTE_1
v_cvt_off_f32_i4 v3, v1, src0_sel:BYTE_3
v_cvt_pk_fp8_f32 v9, v0, v3
v_lshrrev_b32 v4, 4, v1
v_cvt_off_f32_i4 v0, v4
v_cvt_off_f32_i4 v3, v4, src0_sel:BYTE_2
v_cvt_pk_fp8_f32 v5, v0, v3, op_sel:[0, 0, 1]
v_cvt_off_f32_i4 v0, v4, src0_sel:BYTE_1
v_cvt_off_f32_i4 v3, v4, src0_sel:BYTE_3
v_cvt_pk_fp8_f32 v9, v0, v3, op_sel:[0, 0, 1]

	;;#ASMEND
	;; [unrolled: 17-line block ×4, first 2 shown]
	buffer_load_dword v0, off, s[0:3], s33 offset:340
	buffer_load_dword v1, off, s[0:3], s33 offset:344
	;; [unrolled: 1-line block ×4, first 2 shown]
	s_nop 0
	buffer_store_dword v6, off, s[0:3], s33 offset:820
	buffer_store_dword v8, off, s[0:3], s33 offset:824
	;; [unrolled: 1-line block ×8, first 2 shown]
	s_waitcnt vmcnt(11)
	;;#ASMSTART
	v_cvt_off_f32_i4 v3, v0
v_cvt_off_f32_i4 v4, v0, src0_sel:BYTE_2
v_cvt_pk_fp8_f32 v6, v3, v4
v_cvt_off_f32_i4 v3, v0, src0_sel:BYTE_1
v_cvt_off_f32_i4 v4, v0, src0_sel:BYTE_3
v_cvt_pk_fp8_f32 v8, v3, v4
v_lshrrev_b32 v5, 4, v0
v_cvt_off_f32_i4 v3, v5
v_cvt_off_f32_i4 v4, v5, src0_sel:BYTE_2
v_cvt_pk_fp8_f32 v6, v3, v4, op_sel:[0, 0, 1]
v_cvt_off_f32_i4 v3, v5, src0_sel:BYTE_1
v_cvt_off_f32_i4 v4, v5, src0_sel:BYTE_3
v_cvt_pk_fp8_f32 v8, v3, v4, op_sel:[0, 0, 1]

	;;#ASMEND
	s_waitcnt vmcnt(10)
	;;#ASMSTART
	v_cvt_off_f32_i4 v0, v1
v_cvt_off_f32_i4 v3, v1, src0_sel:BYTE_2
v_cvt_pk_fp8_f32 v5, v0, v3
v_cvt_off_f32_i4 v0, v1, src0_sel:BYTE_1
v_cvt_off_f32_i4 v3, v1, src0_sel:BYTE_3
v_cvt_pk_fp8_f32 v9, v0, v3
v_lshrrev_b32 v4, 4, v1
v_cvt_off_f32_i4 v0, v4
v_cvt_off_f32_i4 v3, v4, src0_sel:BYTE_2
v_cvt_pk_fp8_f32 v5, v0, v3, op_sel:[0, 0, 1]
v_cvt_off_f32_i4 v0, v4, src0_sel:BYTE_1
v_cvt_off_f32_i4 v3, v4, src0_sel:BYTE_3
v_cvt_pk_fp8_f32 v9, v0, v3, op_sel:[0, 0, 1]

	;;#ASMEND
	;; [unrolled: 17-line block ×4, first 2 shown]
	buffer_store_dword v6, off, s[0:3], s33 offset:852
	buffer_store_dword v8, off, s[0:3], s33 offset:856
	;; [unrolled: 1-line block ×8, first 2 shown]
	; sched_barrier mask(0x00000000)
	v_lshrrev_b32_e64 v0, 6, s33
	v_add_u32_e32 v0, 8, v0
	v_mov_b32_e32 v1, s17
	buffer_store_dword v32, off, s[0:3], s33 offset:12
	buffer_store_dword v33, off, s[0:3], s33 offset:8
	;; [unrolled: 1-line block ×8, first 2 shown]
	s_getpc_b64 s[4:5]
	s_add_u32 s4, s4, _ZNK2ck6detail7applierIiJLi0ELi1ELi2ELi3ELi4ELi5ELi6ELi7EEEclIZNKS_11static_fordINS_8SequenceIJLi1ELi8EEEENS5_IJLi0ELi1EEEEEclIZZNKS_52BlockwiseGemmXdlops_pipeline_bpreshuffle_bdequant_v3ILNS_26BlockGemmPipelineSchedulerE0ELi256ENS_9f8_fnuz_tENS_7pk_i4_tESC_fNS_16TensorDescriptorINS_5TupleIJNS_5EmbedINSF_IJNS_17integral_constantIiLi8EEENSH_IiLi256EEENSH_IiLi16EEEEEENSF_IJSK_NSH_IiLi128EEENSH_IiLi1EEEEEELb0EEENS_3XorINSF_IJSJ_SI_EEELb1EEENS_11PassThroughISK_EENS_7UnMergeINSF_IJSI_SN_EEELb0EEENST_ISJ_EESU_NST_ISI_EENS_21Merge_v3_division_modINSF_IJSJ_SN_EEEEESU_EEENSF_IJNS5_IJLi0EEEENS5_IJLi2ELi1EEEENS5_IJLi3EEEENS5_IJLi5EEEENS5_IJLi4EEEENS5_IJLi6EEEENS5_IJLi7EEEENS5_IJLi9ELi8EEEENS5_IJLi10EEEEEEENSF_IJNS5_IJLi1ELi2ELi3EEEENS5_IJLi4ELi5EEEES19_NS5_IJLi7ELi8EEEENS5_IJLi9EEEES1C_NS5_IJLi11EEEENS5_IJLi12EEEENS5_IJLi13EEEEEEENS5_IJLi11ELi12ELi13EEEENSH_IlLl32768EEEEENSE_INSF_IJNSV_INSF_IJSI_SN_SN_NSH_IiLi32EEEEEELb0EEEEEENSF_IJS14_EEENSF_IJNS5_IJLi1ELi2ELi3ELi4EEEEEEES1U_NSH_IlLl256EEEEENSE_INSF_IJSP_SS_SU_SX_SY_SU_SZ_S12_SU_NS10_INSF_IJSI_SK_EEEEENSV_INSF_IJSI_NSH_IiLi2EEESK_EEELb0EEEEEENSF_IJS14_S15_S16_S17_S18_S19_S1A_S1B_S1C_NS5_IJLi11ELi13EEEES1J_EEENSF_IJS1E_S1F_S19_S1G_S1H_S1C_S1I_S1J_S1K_NS5_IJLi14EEEENS5_IJLi15ELi16ELi17EEEEEEENS5_IJLi15ELi16ELi17ELi14EEEES1N_EENSE_INSF_IJS1R_NS10_ISW_EES22_EEENSF_IJS14_NS5_IJLi1ELi3EEEENS5_IJLi2EEEEEEENSF_IJS1U_S17_NS5_IJLi6ELi7ELi8EEEEEEENS5_IJLi6ELi7ELi8ELi5EEEES1W_EELi16ELi32ELi256ELi256ELi128ELi16ELi16ELi8ELi8ELi32ELb0EE3RunILb1ELNS_10TailNumberE0ENSE_INSF_IJNSG_INSF_IJiiEEENSF_IJiSN_EEELb0EEENSV_IS2N_Lb0EEENST_IiEEEEENSF_IJS14_S2E_NS5_IJLi1EEEEEEENSF_IJNS5_IJLi1ELi2EEEENS5_IJLi3ELi4EEEES17_EEENS5_IJLi3ELi5ELi4EEEElEES1O_NS_35ThreadGroupTensorSliceTransfer_v4r1INS_15ThisThreadBlockILi256EEENS_16tensor_operation12element_wise11PassThroughES35_LNS_25InMemoryDataOperationEnumE0ENS5_IJLi8ELi256ELi16EEEENS5_IJLi8ELi32ELi1EEEENS5_IJLi1ELi0ELi2EEEESC_SC_RKS2Z_KS1O_S39_NS5_IJLi0ELi1ELi2EEEELi2ELi2ELi16ELi16ELi1ELi1ELb0ELb1ELi2EiEENS_13DynamicBufferILNS_16AddressSpaceEnumE1EKSC_lLb1ELNS_22AmdBufferCoherenceEnumE0EiEENSF_IJNS3F_ILS3G_2ESC_S1N_Lb1ELS3I_0EiEES3K_EEENSF_IJiiiEEENSE_INSF_IJNSG_INSF_IJiiiiEEENSF_IJiiiSN_EEELb0EEEEEES1T_S1V_S1U_lEENS_32ThreadwiseTensorSliceTransfer_v2ISD_SD_RKS3R_KS1X_NS5_IJLi8ELi1ELi1ELi32EEEENS5_IJLi1ELi2ELi0ELi3EEEELi3ELi32ELi0ELb1ELb0ELb0EEENS3F_ILS3G_1EKSD_lLb1ELS3I_0EiEENSF_IJNS_12StaticBufferILS3G_4ESD_Li256ELb1EEES42_EEES3N_NS_25StaticBufferTupleOfVectorILS3G_4EfLi64ELi4ELb1ELb0EEEEEvRKT1_RKT2_RT3_RKT4_RT5_RKT6_RKT7_RT8_RKT9_RT10_RKT11_RT12_iENKUlT_E0_clIS20_EEDaS51_EUlS51_E_EEvS51_EUlS51_E_EEvS51_@rel32@lo+4
	s_addc_u32 s5, s5, _ZNK2ck6detail7applierIiJLi0ELi1ELi2ELi3ELi4ELi5ELi6ELi7EEEclIZNKS_11static_fordINS_8SequenceIJLi1ELi8EEEENS5_IJLi0ELi1EEEEEclIZZNKS_52BlockwiseGemmXdlops_pipeline_bpreshuffle_bdequant_v3ILNS_26BlockGemmPipelineSchedulerE0ELi256ENS_9f8_fnuz_tENS_7pk_i4_tESC_fNS_16TensorDescriptorINS_5TupleIJNS_5EmbedINSF_IJNS_17integral_constantIiLi8EEENSH_IiLi256EEENSH_IiLi16EEEEEENSF_IJSK_NSH_IiLi128EEENSH_IiLi1EEEEEELb0EEENS_3XorINSF_IJSJ_SI_EEELb1EEENS_11PassThroughISK_EENS_7UnMergeINSF_IJSI_SN_EEELb0EEENST_ISJ_EESU_NST_ISI_EENS_21Merge_v3_division_modINSF_IJSJ_SN_EEEEESU_EEENSF_IJNS5_IJLi0EEEENS5_IJLi2ELi1EEEENS5_IJLi3EEEENS5_IJLi5EEEENS5_IJLi4EEEENS5_IJLi6EEEENS5_IJLi7EEEENS5_IJLi9ELi8EEEENS5_IJLi10EEEEEEENSF_IJNS5_IJLi1ELi2ELi3EEEENS5_IJLi4ELi5EEEES19_NS5_IJLi7ELi8EEEENS5_IJLi9EEEES1C_NS5_IJLi11EEEENS5_IJLi12EEEENS5_IJLi13EEEEEEENS5_IJLi11ELi12ELi13EEEENSH_IlLl32768EEEEENSE_INSF_IJNSV_INSF_IJSI_SN_SN_NSH_IiLi32EEEEEELb0EEEEEENSF_IJS14_EEENSF_IJNS5_IJLi1ELi2ELi3ELi4EEEEEEES1U_NSH_IlLl256EEEEENSE_INSF_IJSP_SS_SU_SX_SY_SU_SZ_S12_SU_NS10_INSF_IJSI_SK_EEEEENSV_INSF_IJSI_NSH_IiLi2EEESK_EEELb0EEEEEENSF_IJS14_S15_S16_S17_S18_S19_S1A_S1B_S1C_NS5_IJLi11ELi13EEEES1J_EEENSF_IJS1E_S1F_S19_S1G_S1H_S1C_S1I_S1J_S1K_NS5_IJLi14EEEENS5_IJLi15ELi16ELi17EEEEEEENS5_IJLi15ELi16ELi17ELi14EEEES1N_EENSE_INSF_IJS1R_NS10_ISW_EES22_EEENSF_IJS14_NS5_IJLi1ELi3EEEENS5_IJLi2EEEEEEENSF_IJS1U_S17_NS5_IJLi6ELi7ELi8EEEEEEENS5_IJLi6ELi7ELi8ELi5EEEES1W_EELi16ELi32ELi256ELi256ELi128ELi16ELi16ELi8ELi8ELi32ELb0EE3RunILb1ELNS_10TailNumberE0ENSE_INSF_IJNSG_INSF_IJiiEEENSF_IJiSN_EEELb0EEENSV_IS2N_Lb0EEENST_IiEEEEENSF_IJS14_S2E_NS5_IJLi1EEEEEEENSF_IJNS5_IJLi1ELi2EEEENS5_IJLi3ELi4EEEES17_EEENS5_IJLi3ELi5ELi4EEEElEES1O_NS_35ThreadGroupTensorSliceTransfer_v4r1INS_15ThisThreadBlockILi256EEENS_16tensor_operation12element_wise11PassThroughES35_LNS_25InMemoryDataOperationEnumE0ENS5_IJLi8ELi256ELi16EEEENS5_IJLi8ELi32ELi1EEEENS5_IJLi1ELi0ELi2EEEESC_SC_RKS2Z_KS1O_S39_NS5_IJLi0ELi1ELi2EEEELi2ELi2ELi16ELi16ELi1ELi1ELb0ELb1ELi2EiEENS_13DynamicBufferILNS_16AddressSpaceEnumE1EKSC_lLb1ELNS_22AmdBufferCoherenceEnumE0EiEENSF_IJNS3F_ILS3G_2ESC_S1N_Lb1ELS3I_0EiEES3K_EEENSF_IJiiiEEENSE_INSF_IJNSG_INSF_IJiiiiEEENSF_IJiiiSN_EEELb0EEEEEES1T_S1V_S1U_lEENS_32ThreadwiseTensorSliceTransfer_v2ISD_SD_RKS3R_KS1X_NS5_IJLi8ELi1ELi1ELi32EEEENS5_IJLi1ELi2ELi0ELi3EEEELi3ELi32ELi0ELb1ELb0ELb0EEENS3F_ILS3G_1EKSD_lLb1ELS3I_0EiEENSF_IJNS_12StaticBufferILS3G_4ESD_Li256ELb1EEES42_EEES3N_NS_25StaticBufferTupleOfVectorILS3G_4EfLi64ELi4ELb1ELb0EEEEEvRKT1_RKT2_RT3_RKT4_RT5_RKT6_RKT7_RT8_RKT9_RT10_RKT11_RT12_iENKUlT_E0_clIS20_EEDaS51_EUlS51_E_EEvS51_EUlS51_E_EEvS51_@rel32@hi+12
	s_swappc_b64 s[30:31], s[4:5]
	flat_load_dwordx2 v[12:13], v[30:31] offset:1148
	flat_load_dwordx2 v[14:15], v[30:31] offset:1164
	flat_load_dwordx4 v[0:3], v[30:31] offset:1176
	flat_load_dwordx3 v[8:10], v[30:31] offset:1132
	flat_load_dwordx2 v[16:17], v[28:29]
	s_movk_i32 s4, 0x60
	; sched_group_barrier mask(0x00000008) size(16) SyncID(0)
	; sched_group_barrier mask(0x00000100) size(1) SyncID(0)
	;; [unrolled: 1-line block ×4, first 2 shown]
	s_waitcnt vmcnt(0) lgkmcnt(0)
	v_sub_u32_e32 v4, v12, v15
	v_add3_u32 v1, v4, v1, s4
	v_ashrrev_i32_e32 v4, 31, v1
	v_lshrrev_b32_e32 v4, 29, v4
	v_add_u32_e32 v4, v1, v4
	v_and_b32_e32 v4, -8, v4
	v_sub_u32_e32 v5, v13, v14
	v_sub_u32_e32 v6, v1, v10
	;; [unrolled: 1-line block ×3, first 2 shown]
	v_xor_b32_e32 v4, v1, v5
	v_sub_u32_e32 v4, v4, v9
	v_lshlrev_b32_e32 v10, 7, v6
	v_lshlrev_b32_e32 v4, 4, v4
	v_add3_u32 v4, v10, v8, v4
	v_ashrrev_i32_e32 v5, 31, v4
	v_add_co_u32_e32 v4, vcc, v16, v4
	v_addc_co_u32_e32 v5, vcc, v17, v5, vcc
	flat_load_dwordx4 v[4:7], v[4:5]
	v_add_u32_e32 v3, 16, v3
	v_sub_u32_e32 v2, v8, v2
	v_ashrrev_i32_e32 v8, 31, v3
	v_lshrrev_b32_e32 v8, 28, v8
	v_add_u32_e32 v0, v14, v0
	v_add_u32_e32 v8, v3, v8
	v_sub_u32_e32 v0, v13, v0
	v_lshrrev_b32_e32 v11, 4, v8
	v_add_u32_e32 v0, v0, v11
	v_xor_b32_e32 v0, v0, v1
	v_and_b32_e32 v8, -16, v8
	v_sub_u32_e32 v0, v0, v9
	v_add_u32_e32 v2, v2, v10
	v_sub_u32_e32 v3, v3, v8
	v_lshlrev_b32_e32 v0, 4, v0
	v_add3_u32 v0, v2, v3, v0
	v_ashrrev_i32_e32 v1, 31, v0
	v_add_co_u32_e32 v0, vcc, v16, v0
	v_addc_co_u32_e32 v1, vcc, v17, v1, vcc
	s_waitcnt vmcnt(0) lgkmcnt(0)
	buffer_store_dword v4, off, s[0:3], s33 offset:84
	buffer_store_dword v5, off, s[0:3], s33 offset:88
	;; [unrolled: 1-line block ×4, first 2 shown]
	flat_load_dwordx4 v[0:3], v[0:1]
	s_nop 0
	buffer_load_dword v4, off, s[0:3], s33 offset:116
	buffer_load_dword v5, off, s[0:3], s33 offset:120
	;; [unrolled: 1-line block ×4, first 2 shown]
	s_waitcnt vmcnt(0) lgkmcnt(0)
	buffer_store_dword v0, off, s[0:3], s33 offset:100
	buffer_store_dword v1, off, s[0:3], s33 offset:104
	;; [unrolled: 1-line block ×4, first 2 shown]
	;;#ASMSTART
	v_cvt_off_f32_i4 v0, v4
v_cvt_off_f32_i4 v1, v4, src0_sel:BYTE_2
v_cvt_pk_fp8_f32 v3, v0, v1
v_cvt_off_f32_i4 v0, v4, src0_sel:BYTE_1
v_cvt_off_f32_i4 v1, v4, src0_sel:BYTE_3
v_cvt_pk_fp8_f32 v8, v0, v1
v_lshrrev_b32 v2, 4, v4
v_cvt_off_f32_i4 v0, v2
v_cvt_off_f32_i4 v1, v2, src0_sel:BYTE_2
v_cvt_pk_fp8_f32 v3, v0, v1, op_sel:[0, 0, 1]
v_cvt_off_f32_i4 v0, v2, src0_sel:BYTE_1
v_cvt_off_f32_i4 v1, v2, src0_sel:BYTE_3
v_cvt_pk_fp8_f32 v8, v0, v1, op_sel:[0, 0, 1]

	;;#ASMEND
	;;#ASMSTART
	v_cvt_off_f32_i4 v0, v5
v_cvt_off_f32_i4 v1, v5, src0_sel:BYTE_2
v_cvt_pk_fp8_f32 v4, v0, v1
v_cvt_off_f32_i4 v0, v5, src0_sel:BYTE_1
v_cvt_off_f32_i4 v1, v5, src0_sel:BYTE_3
v_cvt_pk_fp8_f32 v9, v0, v1
v_lshrrev_b32 v2, 4, v5
v_cvt_off_f32_i4 v0, v2
v_cvt_off_f32_i4 v1, v2, src0_sel:BYTE_2
v_cvt_pk_fp8_f32 v4, v0, v1, op_sel:[0, 0, 1]
v_cvt_off_f32_i4 v0, v2, src0_sel:BYTE_1
v_cvt_off_f32_i4 v1, v2, src0_sel:BYTE_3
v_cvt_pk_fp8_f32 v9, v0, v1, op_sel:[0, 0, 1]

	;;#ASMEND
	;; [unrolled: 16-line block ×4, first 2 shown]
	buffer_load_dword v0, off, s[0:3], s33 offset:148
	buffer_load_dword v1, off, s[0:3], s33 offset:152
	;; [unrolled: 1-line block ×4, first 2 shown]
	s_nop 0
	buffer_store_dword v3, off, s[0:3], s33 offset:628
	buffer_store_dword v8, off, s[0:3], s33 offset:632
	buffer_store_dword v4, off, s[0:3], s33 offset:636
	buffer_store_dword v9, off, s[0:3], s33 offset:640
	buffer_store_dword v5, off, s[0:3], s33 offset:644
	buffer_store_dword v10, off, s[0:3], s33 offset:648
	buffer_store_dword v6, off, s[0:3], s33 offset:652
	buffer_store_dword v11, off, s[0:3], s33 offset:656
	s_waitcnt vmcnt(11)
	;;#ASMSTART
	v_cvt_off_f32_i4 v3, v0
v_cvt_off_f32_i4 v4, v0, src0_sel:BYTE_2
v_cvt_pk_fp8_f32 v6, v3, v4
v_cvt_off_f32_i4 v3, v0, src0_sel:BYTE_1
v_cvt_off_f32_i4 v4, v0, src0_sel:BYTE_3
v_cvt_pk_fp8_f32 v8, v3, v4
v_lshrrev_b32 v5, 4, v0
v_cvt_off_f32_i4 v3, v5
v_cvt_off_f32_i4 v4, v5, src0_sel:BYTE_2
v_cvt_pk_fp8_f32 v6, v3, v4, op_sel:[0, 0, 1]
v_cvt_off_f32_i4 v3, v5, src0_sel:BYTE_1
v_cvt_off_f32_i4 v4, v5, src0_sel:BYTE_3
v_cvt_pk_fp8_f32 v8, v3, v4, op_sel:[0, 0, 1]

	;;#ASMEND
	s_waitcnt vmcnt(10)
	;;#ASMSTART
	v_cvt_off_f32_i4 v0, v1
v_cvt_off_f32_i4 v3, v1, src0_sel:BYTE_2
v_cvt_pk_fp8_f32 v5, v0, v3
v_cvt_off_f32_i4 v0, v1, src0_sel:BYTE_1
v_cvt_off_f32_i4 v3, v1, src0_sel:BYTE_3
v_cvt_pk_fp8_f32 v9, v0, v3
v_lshrrev_b32 v4, 4, v1
v_cvt_off_f32_i4 v0, v4
v_cvt_off_f32_i4 v3, v4, src0_sel:BYTE_2
v_cvt_pk_fp8_f32 v5, v0, v3, op_sel:[0, 0, 1]
v_cvt_off_f32_i4 v0, v4, src0_sel:BYTE_1
v_cvt_off_f32_i4 v3, v4, src0_sel:BYTE_3
v_cvt_pk_fp8_f32 v9, v0, v3, op_sel:[0, 0, 1]

	;;#ASMEND
	s_waitcnt vmcnt(9)
	;;#ASMSTART
	v_cvt_off_f32_i4 v0, v2
v_cvt_off_f32_i4 v1, v2, src0_sel:BYTE_2
v_cvt_pk_fp8_f32 v4, v0, v1
v_cvt_off_f32_i4 v0, v2, src0_sel:BYTE_1
v_cvt_off_f32_i4 v1, v2, src0_sel:BYTE_3
v_cvt_pk_fp8_f32 v10, v0, v1
v_lshrrev_b32 v3, 4, v2
v_cvt_off_f32_i4 v0, v3
v_cvt_off_f32_i4 v1, v3, src0_sel:BYTE_2
v_cvt_pk_fp8_f32 v4, v0, v1, op_sel:[0, 0, 1]
v_cvt_off_f32_i4 v0, v3, src0_sel:BYTE_1
v_cvt_off_f32_i4 v1, v3, src0_sel:BYTE_3
v_cvt_pk_fp8_f32 v10, v0, v1, op_sel:[0, 0, 1]

	;;#ASMEND
	s_waitcnt vmcnt(8)
	;;#ASMSTART
	v_cvt_off_f32_i4 v0, v7
v_cvt_off_f32_i4 v1, v7, src0_sel:BYTE_2
v_cvt_pk_fp8_f32 v3, v0, v1
v_cvt_off_f32_i4 v0, v7, src0_sel:BYTE_1
v_cvt_off_f32_i4 v1, v7, src0_sel:BYTE_3
v_cvt_pk_fp8_f32 v11, v0, v1
v_lshrrev_b32 v2, 4, v7
v_cvt_off_f32_i4 v0, v2
v_cvt_off_f32_i4 v1, v2, src0_sel:BYTE_2
v_cvt_pk_fp8_f32 v3, v0, v1, op_sel:[0, 0, 1]
v_cvt_off_f32_i4 v0, v2, src0_sel:BYTE_1
v_cvt_off_f32_i4 v1, v2, src0_sel:BYTE_3
v_cvt_pk_fp8_f32 v11, v0, v1, op_sel:[0, 0, 1]

	;;#ASMEND
	buffer_load_dword v0, off, s[0:3], s33 offset:180
	buffer_load_dword v1, off, s[0:3], s33 offset:184
	buffer_load_dword v2, off, s[0:3], s33 offset:188
	buffer_load_dword v7, off, s[0:3], s33 offset:192
	s_nop 0
	buffer_store_dword v6, off, s[0:3], s33 offset:660
	buffer_store_dword v8, off, s[0:3], s33 offset:664
	;; [unrolled: 1-line block ×8, first 2 shown]
	s_waitcnt vmcnt(11)
	;;#ASMSTART
	v_cvt_off_f32_i4 v3, v0
v_cvt_off_f32_i4 v4, v0, src0_sel:BYTE_2
v_cvt_pk_fp8_f32 v6, v3, v4
v_cvt_off_f32_i4 v3, v0, src0_sel:BYTE_1
v_cvt_off_f32_i4 v4, v0, src0_sel:BYTE_3
v_cvt_pk_fp8_f32 v8, v3, v4
v_lshrrev_b32 v5, 4, v0
v_cvt_off_f32_i4 v3, v5
v_cvt_off_f32_i4 v4, v5, src0_sel:BYTE_2
v_cvt_pk_fp8_f32 v6, v3, v4, op_sel:[0, 0, 1]
v_cvt_off_f32_i4 v3, v5, src0_sel:BYTE_1
v_cvt_off_f32_i4 v4, v5, src0_sel:BYTE_3
v_cvt_pk_fp8_f32 v8, v3, v4, op_sel:[0, 0, 1]

	;;#ASMEND
	s_waitcnt vmcnt(10)
	;;#ASMSTART
	v_cvt_off_f32_i4 v0, v1
v_cvt_off_f32_i4 v3, v1, src0_sel:BYTE_2
v_cvt_pk_fp8_f32 v5, v0, v3
v_cvt_off_f32_i4 v0, v1, src0_sel:BYTE_1
v_cvt_off_f32_i4 v3, v1, src0_sel:BYTE_3
v_cvt_pk_fp8_f32 v9, v0, v3
v_lshrrev_b32 v4, 4, v1
v_cvt_off_f32_i4 v0, v4
v_cvt_off_f32_i4 v3, v4, src0_sel:BYTE_2
v_cvt_pk_fp8_f32 v5, v0, v3, op_sel:[0, 0, 1]
v_cvt_off_f32_i4 v0, v4, src0_sel:BYTE_1
v_cvt_off_f32_i4 v3, v4, src0_sel:BYTE_3
v_cvt_pk_fp8_f32 v9, v0, v3, op_sel:[0, 0, 1]

	;;#ASMEND
	s_waitcnt vmcnt(9)
	;;#ASMSTART
	v_cvt_off_f32_i4 v0, v2
v_cvt_off_f32_i4 v1, v2, src0_sel:BYTE_2
v_cvt_pk_fp8_f32 v4, v0, v1
v_cvt_off_f32_i4 v0, v2, src0_sel:BYTE_1
v_cvt_off_f32_i4 v1, v2, src0_sel:BYTE_3
v_cvt_pk_fp8_f32 v10, v0, v1
v_lshrrev_b32 v3, 4, v2
v_cvt_off_f32_i4 v0, v3
v_cvt_off_f32_i4 v1, v3, src0_sel:BYTE_2
v_cvt_pk_fp8_f32 v4, v0, v1, op_sel:[0, 0, 1]
v_cvt_off_f32_i4 v0, v3, src0_sel:BYTE_1
v_cvt_off_f32_i4 v1, v3, src0_sel:BYTE_3
v_cvt_pk_fp8_f32 v10, v0, v1, op_sel:[0, 0, 1]

	;;#ASMEND
	s_waitcnt vmcnt(8)
	;;#ASMSTART
	v_cvt_off_f32_i4 v0, v7
v_cvt_off_f32_i4 v1, v7, src0_sel:BYTE_2
v_cvt_pk_fp8_f32 v3, v0, v1
v_cvt_off_f32_i4 v0, v7, src0_sel:BYTE_1
v_cvt_off_f32_i4 v1, v7, src0_sel:BYTE_3
v_cvt_pk_fp8_f32 v11, v0, v1
v_lshrrev_b32 v2, 4, v7
v_cvt_off_f32_i4 v0, v2
v_cvt_off_f32_i4 v1, v2, src0_sel:BYTE_2
v_cvt_pk_fp8_f32 v3, v0, v1, op_sel:[0, 0, 1]
v_cvt_off_f32_i4 v0, v2, src0_sel:BYTE_1
v_cvt_off_f32_i4 v1, v2, src0_sel:BYTE_3
v_cvt_pk_fp8_f32 v11, v0, v1, op_sel:[0, 0, 1]

	;;#ASMEND
	buffer_load_dword v0, off, s[0:3], s33 offset:212
	buffer_load_dword v1, off, s[0:3], s33 offset:216
	;; [unrolled: 1-line block ×4, first 2 shown]
	s_nop 0
	buffer_store_dword v6, off, s[0:3], s33 offset:692
	buffer_store_dword v8, off, s[0:3], s33 offset:696
	;; [unrolled: 1-line block ×8, first 2 shown]
	s_waitcnt vmcnt(11)
	;;#ASMSTART
	v_cvt_off_f32_i4 v3, v0
v_cvt_off_f32_i4 v4, v0, src0_sel:BYTE_2
v_cvt_pk_fp8_f32 v6, v3, v4
v_cvt_off_f32_i4 v3, v0, src0_sel:BYTE_1
v_cvt_off_f32_i4 v4, v0, src0_sel:BYTE_3
v_cvt_pk_fp8_f32 v8, v3, v4
v_lshrrev_b32 v5, 4, v0
v_cvt_off_f32_i4 v3, v5
v_cvt_off_f32_i4 v4, v5, src0_sel:BYTE_2
v_cvt_pk_fp8_f32 v6, v3, v4, op_sel:[0, 0, 1]
v_cvt_off_f32_i4 v3, v5, src0_sel:BYTE_1
v_cvt_off_f32_i4 v4, v5, src0_sel:BYTE_3
v_cvt_pk_fp8_f32 v8, v3, v4, op_sel:[0, 0, 1]

	;;#ASMEND
	s_waitcnt vmcnt(10)
	;;#ASMSTART
	v_cvt_off_f32_i4 v0, v1
v_cvt_off_f32_i4 v3, v1, src0_sel:BYTE_2
v_cvt_pk_fp8_f32 v5, v0, v3
v_cvt_off_f32_i4 v0, v1, src0_sel:BYTE_1
v_cvt_off_f32_i4 v3, v1, src0_sel:BYTE_3
v_cvt_pk_fp8_f32 v9, v0, v3
v_lshrrev_b32 v4, 4, v1
v_cvt_off_f32_i4 v0, v4
v_cvt_off_f32_i4 v3, v4, src0_sel:BYTE_2
v_cvt_pk_fp8_f32 v5, v0, v3, op_sel:[0, 0, 1]
v_cvt_off_f32_i4 v0, v4, src0_sel:BYTE_1
v_cvt_off_f32_i4 v3, v4, src0_sel:BYTE_3
v_cvt_pk_fp8_f32 v9, v0, v3, op_sel:[0, 0, 1]

	;;#ASMEND
	;; [unrolled: 17-line block ×4, first 2 shown]
	buffer_load_dword v0, off, s[0:3], s33 offset:244
	buffer_load_dword v1, off, s[0:3], s33 offset:248
	;; [unrolled: 1-line block ×4, first 2 shown]
	s_nop 0
	buffer_store_dword v6, off, s[0:3], s33 offset:724
	buffer_store_dword v8, off, s[0:3], s33 offset:728
	buffer_store_dword v5, off, s[0:3], s33 offset:732
	buffer_store_dword v9, off, s[0:3], s33 offset:736
	buffer_store_dword v4, off, s[0:3], s33 offset:740
	buffer_store_dword v10, off, s[0:3], s33 offset:744
	buffer_store_dword v3, off, s[0:3], s33 offset:748
	buffer_store_dword v11, off, s[0:3], s33 offset:752
	s_waitcnt vmcnt(11)
	;;#ASMSTART
	v_cvt_off_f32_i4 v3, v0
v_cvt_off_f32_i4 v4, v0, src0_sel:BYTE_2
v_cvt_pk_fp8_f32 v6, v3, v4
v_cvt_off_f32_i4 v3, v0, src0_sel:BYTE_1
v_cvt_off_f32_i4 v4, v0, src0_sel:BYTE_3
v_cvt_pk_fp8_f32 v8, v3, v4
v_lshrrev_b32 v5, 4, v0
v_cvt_off_f32_i4 v3, v5
v_cvt_off_f32_i4 v4, v5, src0_sel:BYTE_2
v_cvt_pk_fp8_f32 v6, v3, v4, op_sel:[0, 0, 1]
v_cvt_off_f32_i4 v3, v5, src0_sel:BYTE_1
v_cvt_off_f32_i4 v4, v5, src0_sel:BYTE_3
v_cvt_pk_fp8_f32 v8, v3, v4, op_sel:[0, 0, 1]

	;;#ASMEND
	s_waitcnt vmcnt(10)
	;;#ASMSTART
	v_cvt_off_f32_i4 v0, v1
v_cvt_off_f32_i4 v3, v1, src0_sel:BYTE_2
v_cvt_pk_fp8_f32 v5, v0, v3
v_cvt_off_f32_i4 v0, v1, src0_sel:BYTE_1
v_cvt_off_f32_i4 v3, v1, src0_sel:BYTE_3
v_cvt_pk_fp8_f32 v9, v0, v3
v_lshrrev_b32 v4, 4, v1
v_cvt_off_f32_i4 v0, v4
v_cvt_off_f32_i4 v3, v4, src0_sel:BYTE_2
v_cvt_pk_fp8_f32 v5, v0, v3, op_sel:[0, 0, 1]
v_cvt_off_f32_i4 v0, v4, src0_sel:BYTE_1
v_cvt_off_f32_i4 v3, v4, src0_sel:BYTE_3
v_cvt_pk_fp8_f32 v9, v0, v3, op_sel:[0, 0, 1]

	;;#ASMEND
	;; [unrolled: 17-line block ×4, first 2 shown]
	buffer_load_dword v0, off, s[0:3], s33 offset:276
	buffer_load_dword v1, off, s[0:3], s33 offset:280
	;; [unrolled: 1-line block ×4, first 2 shown]
	s_nop 0
	buffer_store_dword v6, off, s[0:3], s33 offset:756
	buffer_store_dword v8, off, s[0:3], s33 offset:760
	;; [unrolled: 1-line block ×8, first 2 shown]
	s_waitcnt vmcnt(11)
	;;#ASMSTART
	v_cvt_off_f32_i4 v3, v0
v_cvt_off_f32_i4 v4, v0, src0_sel:BYTE_2
v_cvt_pk_fp8_f32 v6, v3, v4
v_cvt_off_f32_i4 v3, v0, src0_sel:BYTE_1
v_cvt_off_f32_i4 v4, v0, src0_sel:BYTE_3
v_cvt_pk_fp8_f32 v8, v3, v4
v_lshrrev_b32 v5, 4, v0
v_cvt_off_f32_i4 v3, v5
v_cvt_off_f32_i4 v4, v5, src0_sel:BYTE_2
v_cvt_pk_fp8_f32 v6, v3, v4, op_sel:[0, 0, 1]
v_cvt_off_f32_i4 v3, v5, src0_sel:BYTE_1
v_cvt_off_f32_i4 v4, v5, src0_sel:BYTE_3
v_cvt_pk_fp8_f32 v8, v3, v4, op_sel:[0, 0, 1]

	;;#ASMEND
	s_waitcnt vmcnt(10)
	;;#ASMSTART
	v_cvt_off_f32_i4 v0, v1
v_cvt_off_f32_i4 v3, v1, src0_sel:BYTE_2
v_cvt_pk_fp8_f32 v5, v0, v3
v_cvt_off_f32_i4 v0, v1, src0_sel:BYTE_1
v_cvt_off_f32_i4 v3, v1, src0_sel:BYTE_3
v_cvt_pk_fp8_f32 v9, v0, v3
v_lshrrev_b32 v4, 4, v1
v_cvt_off_f32_i4 v0, v4
v_cvt_off_f32_i4 v3, v4, src0_sel:BYTE_2
v_cvt_pk_fp8_f32 v5, v0, v3, op_sel:[0, 0, 1]
v_cvt_off_f32_i4 v0, v4, src0_sel:BYTE_1
v_cvt_off_f32_i4 v3, v4, src0_sel:BYTE_3
v_cvt_pk_fp8_f32 v9, v0, v3, op_sel:[0, 0, 1]

	;;#ASMEND
	;; [unrolled: 17-line block ×4, first 2 shown]
	buffer_load_dword v0, off, s[0:3], s33 offset:308
	buffer_load_dword v1, off, s[0:3], s33 offset:312
	;; [unrolled: 1-line block ×4, first 2 shown]
	s_nop 0
	buffer_store_dword v6, off, s[0:3], s33 offset:788
	buffer_store_dword v8, off, s[0:3], s33 offset:792
	;; [unrolled: 1-line block ×8, first 2 shown]
	s_waitcnt vmcnt(11)
	;;#ASMSTART
	v_cvt_off_f32_i4 v3, v0
v_cvt_off_f32_i4 v4, v0, src0_sel:BYTE_2
v_cvt_pk_fp8_f32 v6, v3, v4
v_cvt_off_f32_i4 v3, v0, src0_sel:BYTE_1
v_cvt_off_f32_i4 v4, v0, src0_sel:BYTE_3
v_cvt_pk_fp8_f32 v8, v3, v4
v_lshrrev_b32 v5, 4, v0
v_cvt_off_f32_i4 v3, v5
v_cvt_off_f32_i4 v4, v5, src0_sel:BYTE_2
v_cvt_pk_fp8_f32 v6, v3, v4, op_sel:[0, 0, 1]
v_cvt_off_f32_i4 v3, v5, src0_sel:BYTE_1
v_cvt_off_f32_i4 v4, v5, src0_sel:BYTE_3
v_cvt_pk_fp8_f32 v8, v3, v4, op_sel:[0, 0, 1]

	;;#ASMEND
	s_waitcnt vmcnt(10)
	;;#ASMSTART
	v_cvt_off_f32_i4 v0, v1
v_cvt_off_f32_i4 v3, v1, src0_sel:BYTE_2
v_cvt_pk_fp8_f32 v5, v0, v3
v_cvt_off_f32_i4 v0, v1, src0_sel:BYTE_1
v_cvt_off_f32_i4 v3, v1, src0_sel:BYTE_3
v_cvt_pk_fp8_f32 v9, v0, v3
v_lshrrev_b32 v4, 4, v1
v_cvt_off_f32_i4 v0, v4
v_cvt_off_f32_i4 v3, v4, src0_sel:BYTE_2
v_cvt_pk_fp8_f32 v5, v0, v3, op_sel:[0, 0, 1]
v_cvt_off_f32_i4 v0, v4, src0_sel:BYTE_1
v_cvt_off_f32_i4 v3, v4, src0_sel:BYTE_3
v_cvt_pk_fp8_f32 v9, v0, v3, op_sel:[0, 0, 1]

	;;#ASMEND
	;; [unrolled: 17-line block ×4, first 2 shown]
	buffer_load_dword v0, off, s[0:3], s33 offset:340
	buffer_load_dword v1, off, s[0:3], s33 offset:344
	;; [unrolled: 1-line block ×4, first 2 shown]
	s_nop 0
	buffer_store_dword v6, off, s[0:3], s33 offset:820
	buffer_store_dword v8, off, s[0:3], s33 offset:824
	;; [unrolled: 1-line block ×8, first 2 shown]
	s_waitcnt vmcnt(11)
	;;#ASMSTART
	v_cvt_off_f32_i4 v3, v0
v_cvt_off_f32_i4 v4, v0, src0_sel:BYTE_2
v_cvt_pk_fp8_f32 v6, v3, v4
v_cvt_off_f32_i4 v3, v0, src0_sel:BYTE_1
v_cvt_off_f32_i4 v4, v0, src0_sel:BYTE_3
v_cvt_pk_fp8_f32 v8, v3, v4
v_lshrrev_b32 v5, 4, v0
v_cvt_off_f32_i4 v3, v5
v_cvt_off_f32_i4 v4, v5, src0_sel:BYTE_2
v_cvt_pk_fp8_f32 v6, v3, v4, op_sel:[0, 0, 1]
v_cvt_off_f32_i4 v3, v5, src0_sel:BYTE_1
v_cvt_off_f32_i4 v4, v5, src0_sel:BYTE_3
v_cvt_pk_fp8_f32 v8, v3, v4, op_sel:[0, 0, 1]

	;;#ASMEND
	s_waitcnt vmcnt(10)
	;;#ASMSTART
	v_cvt_off_f32_i4 v0, v1
v_cvt_off_f32_i4 v3, v1, src0_sel:BYTE_2
v_cvt_pk_fp8_f32 v5, v0, v3
v_cvt_off_f32_i4 v0, v1, src0_sel:BYTE_1
v_cvt_off_f32_i4 v3, v1, src0_sel:BYTE_3
v_cvt_pk_fp8_f32 v9, v0, v3
v_lshrrev_b32 v4, 4, v1
v_cvt_off_f32_i4 v0, v4
v_cvt_off_f32_i4 v3, v4, src0_sel:BYTE_2
v_cvt_pk_fp8_f32 v5, v0, v3, op_sel:[0, 0, 1]
v_cvt_off_f32_i4 v0, v4, src0_sel:BYTE_1
v_cvt_off_f32_i4 v3, v4, src0_sel:BYTE_3
v_cvt_pk_fp8_f32 v9, v0, v3, op_sel:[0, 0, 1]

	;;#ASMEND
	;; [unrolled: 17-line block ×4, first 2 shown]
	buffer_store_dword v6, off, s[0:3], s33 offset:852
	buffer_store_dword v8, off, s[0:3], s33 offset:856
	;; [unrolled: 1-line block ×8, first 2 shown]
	; sched_barrier mask(0x00000000)
	v_lshrrev_b32_e64 v0, 6, s33
	v_add_u32_e32 v0, 8, v0
	v_mov_b32_e32 v1, s17
	buffer_store_dword v32, off, s[0:3], s33 offset:12
	buffer_store_dword v33, off, s[0:3], s33 offset:8
	;; [unrolled: 1-line block ×8, first 2 shown]
	s_getpc_b64 s[4:5]
	s_add_u32 s4, s4, _ZNK2ck6detail7applierIiJLi0ELi1ELi2ELi3ELi4ELi5ELi6ELi7EEEclIZNKS_11static_fordINS_8SequenceIJLi1ELi8EEEENS5_IJLi0ELi1EEEEEclIZZNKS_52BlockwiseGemmXdlops_pipeline_bpreshuffle_bdequant_v3ILNS_26BlockGemmPipelineSchedulerE0ELi256ENS_9f8_fnuz_tENS_7pk_i4_tESC_fNS_16TensorDescriptorINS_5TupleIJNS_5EmbedINSF_IJNS_17integral_constantIiLi8EEENSH_IiLi256EEENSH_IiLi16EEEEEENSF_IJSK_NSH_IiLi128EEENSH_IiLi1EEEEEELb0EEENS_3XorINSF_IJSJ_SI_EEELb1EEENS_11PassThroughISK_EENS_7UnMergeINSF_IJSI_SN_EEELb0EEENST_ISJ_EESU_NST_ISI_EENS_21Merge_v3_division_modINSF_IJSJ_SN_EEEEESU_EEENSF_IJNS5_IJLi0EEEENS5_IJLi2ELi1EEEENS5_IJLi3EEEENS5_IJLi5EEEENS5_IJLi4EEEENS5_IJLi6EEEENS5_IJLi7EEEENS5_IJLi9ELi8EEEENS5_IJLi10EEEEEEENSF_IJNS5_IJLi1ELi2ELi3EEEENS5_IJLi4ELi5EEEES19_NS5_IJLi7ELi8EEEENS5_IJLi9EEEES1C_NS5_IJLi11EEEENS5_IJLi12EEEENS5_IJLi13EEEEEEENS5_IJLi11ELi12ELi13EEEENSH_IlLl32768EEEEENSE_INSF_IJNSV_INSF_IJSI_SN_SN_NSH_IiLi32EEEEEELb0EEEEEENSF_IJS14_EEENSF_IJNS5_IJLi1ELi2ELi3ELi4EEEEEEES1U_NSH_IlLl256EEEEENSE_INSF_IJSP_SS_SU_SX_SY_SU_SZ_S12_SU_NS10_INSF_IJSI_SK_EEEEENSV_INSF_IJSI_NSH_IiLi2EEESK_EEELb0EEEEEENSF_IJS14_S15_S16_S17_S18_S19_S1A_S1B_S1C_NS5_IJLi11ELi13EEEES1J_EEENSF_IJS1E_S1F_S19_S1G_S1H_S1C_S1I_S1J_S1K_NS5_IJLi14EEEENS5_IJLi15ELi16ELi17EEEEEEENS5_IJLi15ELi16ELi17ELi14EEEES1N_EENSE_INSF_IJS1R_NS10_ISW_EES22_EEENSF_IJS14_NS5_IJLi1ELi3EEEENS5_IJLi2EEEEEEENSF_IJS1U_S17_NS5_IJLi6ELi7ELi8EEEEEEENS5_IJLi6ELi7ELi8ELi5EEEES1W_EELi16ELi32ELi256ELi256ELi128ELi16ELi16ELi8ELi8ELi32ELb0EE3RunILb1ELNS_10TailNumberE0ENSE_INSF_IJNSG_INSF_IJiiEEENSF_IJiSN_EEELb0EEENSV_IS2N_Lb0EEENST_IiEEEEENSF_IJS14_S2E_NS5_IJLi1EEEEEEENSF_IJNS5_IJLi1ELi2EEEENS5_IJLi3ELi4EEEES17_EEENS5_IJLi3ELi5ELi4EEEElEES1O_NS_35ThreadGroupTensorSliceTransfer_v4r1INS_15ThisThreadBlockILi256EEENS_16tensor_operation12element_wise11PassThroughES35_LNS_25InMemoryDataOperationEnumE0ENS5_IJLi8ELi256ELi16EEEENS5_IJLi8ELi32ELi1EEEENS5_IJLi1ELi0ELi2EEEESC_SC_RKS2Z_KS1O_S39_NS5_IJLi0ELi1ELi2EEEELi2ELi2ELi16ELi16ELi1ELi1ELb0ELb1ELi2EiEENS_13DynamicBufferILNS_16AddressSpaceEnumE1EKSC_lLb1ELNS_22AmdBufferCoherenceEnumE0EiEENSF_IJNS3F_ILS3G_2ESC_S1N_Lb1ELS3I_0EiEES3K_EEENSF_IJiiiEEENSE_INSF_IJNSG_INSF_IJiiiiEEENSF_IJiiiSN_EEELb0EEEEEES1T_S1V_S1U_lEENS_32ThreadwiseTensorSliceTransfer_v2ISD_SD_RKS3R_KS1X_NS5_IJLi8ELi1ELi1ELi32EEEENS5_IJLi1ELi2ELi0ELi3EEEELi3ELi32ELi0ELb1ELb0ELb0EEENS3F_ILS3G_1EKSD_lLb1ELS3I_0EiEENSF_IJNS_12StaticBufferILS3G_4ESD_Li256ELb1EEES42_EEES3N_NS_25StaticBufferTupleOfVectorILS3G_4EfLi64ELi4ELb1ELb0EEEEEvRKT1_RKT2_RT3_RKT4_RT5_RKT6_RKT7_RT8_RKT9_RT10_RKT11_RT12_iENKUlT_E0_clINSH_IiLi3EEEEEDaS51_EUlS51_E_EEvS51_EUlS51_E_EEvS51_@rel32@lo+4
	s_addc_u32 s5, s5, _ZNK2ck6detail7applierIiJLi0ELi1ELi2ELi3ELi4ELi5ELi6ELi7EEEclIZNKS_11static_fordINS_8SequenceIJLi1ELi8EEEENS5_IJLi0ELi1EEEEEclIZZNKS_52BlockwiseGemmXdlops_pipeline_bpreshuffle_bdequant_v3ILNS_26BlockGemmPipelineSchedulerE0ELi256ENS_9f8_fnuz_tENS_7pk_i4_tESC_fNS_16TensorDescriptorINS_5TupleIJNS_5EmbedINSF_IJNS_17integral_constantIiLi8EEENSH_IiLi256EEENSH_IiLi16EEEEEENSF_IJSK_NSH_IiLi128EEENSH_IiLi1EEEEEELb0EEENS_3XorINSF_IJSJ_SI_EEELb1EEENS_11PassThroughISK_EENS_7UnMergeINSF_IJSI_SN_EEELb0EEENST_ISJ_EESU_NST_ISI_EENS_21Merge_v3_division_modINSF_IJSJ_SN_EEEEESU_EEENSF_IJNS5_IJLi0EEEENS5_IJLi2ELi1EEEENS5_IJLi3EEEENS5_IJLi5EEEENS5_IJLi4EEEENS5_IJLi6EEEENS5_IJLi7EEEENS5_IJLi9ELi8EEEENS5_IJLi10EEEEEEENSF_IJNS5_IJLi1ELi2ELi3EEEENS5_IJLi4ELi5EEEES19_NS5_IJLi7ELi8EEEENS5_IJLi9EEEES1C_NS5_IJLi11EEEENS5_IJLi12EEEENS5_IJLi13EEEEEEENS5_IJLi11ELi12ELi13EEEENSH_IlLl32768EEEEENSE_INSF_IJNSV_INSF_IJSI_SN_SN_NSH_IiLi32EEEEEELb0EEEEEENSF_IJS14_EEENSF_IJNS5_IJLi1ELi2ELi3ELi4EEEEEEES1U_NSH_IlLl256EEEEENSE_INSF_IJSP_SS_SU_SX_SY_SU_SZ_S12_SU_NS10_INSF_IJSI_SK_EEEEENSV_INSF_IJSI_NSH_IiLi2EEESK_EEELb0EEEEEENSF_IJS14_S15_S16_S17_S18_S19_S1A_S1B_S1C_NS5_IJLi11ELi13EEEES1J_EEENSF_IJS1E_S1F_S19_S1G_S1H_S1C_S1I_S1J_S1K_NS5_IJLi14EEEENS5_IJLi15ELi16ELi17EEEEEEENS5_IJLi15ELi16ELi17ELi14EEEES1N_EENSE_INSF_IJS1R_NS10_ISW_EES22_EEENSF_IJS14_NS5_IJLi1ELi3EEEENS5_IJLi2EEEEEEENSF_IJS1U_S17_NS5_IJLi6ELi7ELi8EEEEEEENS5_IJLi6ELi7ELi8ELi5EEEES1W_EELi16ELi32ELi256ELi256ELi128ELi16ELi16ELi8ELi8ELi32ELb0EE3RunILb1ELNS_10TailNumberE0ENSE_INSF_IJNSG_INSF_IJiiEEENSF_IJiSN_EEELb0EEENSV_IS2N_Lb0EEENST_IiEEEEENSF_IJS14_S2E_NS5_IJLi1EEEEEEENSF_IJNS5_IJLi1ELi2EEEENS5_IJLi3ELi4EEEES17_EEENS5_IJLi3ELi5ELi4EEEElEES1O_NS_35ThreadGroupTensorSliceTransfer_v4r1INS_15ThisThreadBlockILi256EEENS_16tensor_operation12element_wise11PassThroughES35_LNS_25InMemoryDataOperationEnumE0ENS5_IJLi8ELi256ELi16EEEENS5_IJLi8ELi32ELi1EEEENS5_IJLi1ELi0ELi2EEEESC_SC_RKS2Z_KS1O_S39_NS5_IJLi0ELi1ELi2EEEELi2ELi2ELi16ELi16ELi1ELi1ELb0ELb1ELi2EiEENS_13DynamicBufferILNS_16AddressSpaceEnumE1EKSC_lLb1ELNS_22AmdBufferCoherenceEnumE0EiEENSF_IJNS3F_ILS3G_2ESC_S1N_Lb1ELS3I_0EiEES3K_EEENSF_IJiiiEEENSE_INSF_IJNSG_INSF_IJiiiiEEENSF_IJiiiSN_EEELb0EEEEEES1T_S1V_S1U_lEENS_32ThreadwiseTensorSliceTransfer_v2ISD_SD_RKS3R_KS1X_NS5_IJLi8ELi1ELi1ELi32EEEENS5_IJLi1ELi2ELi0ELi3EEEELi3ELi32ELi0ELb1ELb0ELb0EEENS3F_ILS3G_1EKSD_lLb1ELS3I_0EiEENSF_IJNS_12StaticBufferILS3G_4ESD_Li256ELb1EEES42_EEES3N_NS_25StaticBufferTupleOfVectorILS3G_4EfLi64ELi4ELb1ELb0EEEEEvRKT1_RKT2_RT3_RKT4_RT5_RKT6_RKT7_RT8_RKT9_RT10_RKT11_RT12_iENKUlT_E0_clINSH_IiLi3EEEEEDaS51_EUlS51_E_EEvS51_EUlS51_E_EEvS51_@rel32@hi+12
	s_swappc_b64 s[30:31], s[4:5]
	flat_load_dwordx2 v[12:13], v[30:31] offset:1148
	flat_load_dwordx2 v[14:15], v[30:31] offset:1164
	flat_load_dwordx4 v[0:3], v[30:31] offset:1176
	flat_load_dwordx3 v[8:10], v[30:31] offset:1132
	flat_load_dwordx2 v[16:17], v[28:29]
	s_movk_i32 s4, 0x80
	; sched_group_barrier mask(0x00000008) size(16) SyncID(0)
	; sched_group_barrier mask(0x00000100) size(1) SyncID(0)
	;; [unrolled: 1-line block ×4, first 2 shown]
	s_waitcnt vmcnt(0) lgkmcnt(0)
	v_sub_u32_e32 v4, v12, v15
	v_add3_u32 v1, v4, v1, s4
	v_ashrrev_i32_e32 v4, 31, v1
	v_lshrrev_b32_e32 v4, 29, v4
	v_add_u32_e32 v4, v1, v4
	v_and_b32_e32 v4, -8, v4
	v_sub_u32_e32 v5, v13, v14
	v_sub_u32_e32 v6, v1, v10
	;; [unrolled: 1-line block ×3, first 2 shown]
	v_xor_b32_e32 v4, v1, v5
	v_sub_u32_e32 v4, v4, v9
	v_lshlrev_b32_e32 v10, 7, v6
	v_lshlrev_b32_e32 v4, 4, v4
	v_add3_u32 v4, v10, v8, v4
	v_ashrrev_i32_e32 v5, 31, v4
	v_add_co_u32_e32 v4, vcc, v16, v4
	v_addc_co_u32_e32 v5, vcc, v17, v5, vcc
	flat_load_dwordx4 v[4:7], v[4:5]
	v_add_u32_e32 v3, 16, v3
	v_sub_u32_e32 v2, v8, v2
	v_ashrrev_i32_e32 v8, 31, v3
	v_lshrrev_b32_e32 v8, 28, v8
	v_add_u32_e32 v0, v14, v0
	v_add_u32_e32 v8, v3, v8
	v_sub_u32_e32 v0, v13, v0
	v_lshrrev_b32_e32 v11, 4, v8
	v_add_u32_e32 v0, v0, v11
	v_xor_b32_e32 v0, v0, v1
	v_and_b32_e32 v8, -16, v8
	v_sub_u32_e32 v0, v0, v9
	v_add_u32_e32 v2, v2, v10
	v_sub_u32_e32 v3, v3, v8
	v_lshlrev_b32_e32 v0, 4, v0
	v_add3_u32 v0, v2, v3, v0
	v_ashrrev_i32_e32 v1, 31, v0
	v_add_co_u32_e32 v0, vcc, v16, v0
	v_addc_co_u32_e32 v1, vcc, v17, v1, vcc
	s_waitcnt vmcnt(0) lgkmcnt(0)
	buffer_store_dword v4, off, s[0:3], s33 offset:52
	buffer_store_dword v5, off, s[0:3], s33 offset:56
	;; [unrolled: 1-line block ×4, first 2 shown]
	flat_load_dwordx4 v[0:3], v[0:1]
	s_nop 0
	buffer_load_dword v4, off, s[0:3], s33 offset:116
	buffer_load_dword v5, off, s[0:3], s33 offset:120
	;; [unrolled: 1-line block ×4, first 2 shown]
	s_waitcnt vmcnt(0) lgkmcnt(0)
	buffer_store_dword v0, off, s[0:3], s33 offset:68
	buffer_store_dword v1, off, s[0:3], s33 offset:72
	buffer_store_dword v2, off, s[0:3], s33 offset:76
	buffer_store_dword v3, off, s[0:3], s33 offset:80
	;;#ASMSTART
	v_cvt_off_f32_i4 v0, v4
v_cvt_off_f32_i4 v1, v4, src0_sel:BYTE_2
v_cvt_pk_fp8_f32 v3, v0, v1
v_cvt_off_f32_i4 v0, v4, src0_sel:BYTE_1
v_cvt_off_f32_i4 v1, v4, src0_sel:BYTE_3
v_cvt_pk_fp8_f32 v8, v0, v1
v_lshrrev_b32 v2, 4, v4
v_cvt_off_f32_i4 v0, v2
v_cvt_off_f32_i4 v1, v2, src0_sel:BYTE_2
v_cvt_pk_fp8_f32 v3, v0, v1, op_sel:[0, 0, 1]
v_cvt_off_f32_i4 v0, v2, src0_sel:BYTE_1
v_cvt_off_f32_i4 v1, v2, src0_sel:BYTE_3
v_cvt_pk_fp8_f32 v8, v0, v1, op_sel:[0, 0, 1]

	;;#ASMEND
	;;#ASMSTART
	v_cvt_off_f32_i4 v0, v5
v_cvt_off_f32_i4 v1, v5, src0_sel:BYTE_2
v_cvt_pk_fp8_f32 v4, v0, v1
v_cvt_off_f32_i4 v0, v5, src0_sel:BYTE_1
v_cvt_off_f32_i4 v1, v5, src0_sel:BYTE_3
v_cvt_pk_fp8_f32 v9, v0, v1
v_lshrrev_b32 v2, 4, v5
v_cvt_off_f32_i4 v0, v2
v_cvt_off_f32_i4 v1, v2, src0_sel:BYTE_2
v_cvt_pk_fp8_f32 v4, v0, v1, op_sel:[0, 0, 1]
v_cvt_off_f32_i4 v0, v2, src0_sel:BYTE_1
v_cvt_off_f32_i4 v1, v2, src0_sel:BYTE_3
v_cvt_pk_fp8_f32 v9, v0, v1, op_sel:[0, 0, 1]

	;;#ASMEND
	;; [unrolled: 16-line block ×4, first 2 shown]
	buffer_load_dword v0, off, s[0:3], s33 offset:148
	buffer_load_dword v1, off, s[0:3], s33 offset:152
	buffer_load_dword v2, off, s[0:3], s33 offset:156
	buffer_load_dword v7, off, s[0:3], s33 offset:160
	s_nop 0
	buffer_store_dword v3, off, s[0:3], s33 offset:628
	buffer_store_dword v8, off, s[0:3], s33 offset:632
	;; [unrolled: 1-line block ×8, first 2 shown]
	s_waitcnt vmcnt(11)
	;;#ASMSTART
	v_cvt_off_f32_i4 v3, v0
v_cvt_off_f32_i4 v4, v0, src0_sel:BYTE_2
v_cvt_pk_fp8_f32 v6, v3, v4
v_cvt_off_f32_i4 v3, v0, src0_sel:BYTE_1
v_cvt_off_f32_i4 v4, v0, src0_sel:BYTE_3
v_cvt_pk_fp8_f32 v8, v3, v4
v_lshrrev_b32 v5, 4, v0
v_cvt_off_f32_i4 v3, v5
v_cvt_off_f32_i4 v4, v5, src0_sel:BYTE_2
v_cvt_pk_fp8_f32 v6, v3, v4, op_sel:[0, 0, 1]
v_cvt_off_f32_i4 v3, v5, src0_sel:BYTE_1
v_cvt_off_f32_i4 v4, v5, src0_sel:BYTE_3
v_cvt_pk_fp8_f32 v8, v3, v4, op_sel:[0, 0, 1]

	;;#ASMEND
	s_waitcnt vmcnt(10)
	;;#ASMSTART
	v_cvt_off_f32_i4 v0, v1
v_cvt_off_f32_i4 v3, v1, src0_sel:BYTE_2
v_cvt_pk_fp8_f32 v5, v0, v3
v_cvt_off_f32_i4 v0, v1, src0_sel:BYTE_1
v_cvt_off_f32_i4 v3, v1, src0_sel:BYTE_3
v_cvt_pk_fp8_f32 v9, v0, v3
v_lshrrev_b32 v4, 4, v1
v_cvt_off_f32_i4 v0, v4
v_cvt_off_f32_i4 v3, v4, src0_sel:BYTE_2
v_cvt_pk_fp8_f32 v5, v0, v3, op_sel:[0, 0, 1]
v_cvt_off_f32_i4 v0, v4, src0_sel:BYTE_1
v_cvt_off_f32_i4 v3, v4, src0_sel:BYTE_3
v_cvt_pk_fp8_f32 v9, v0, v3, op_sel:[0, 0, 1]

	;;#ASMEND
	;; [unrolled: 17-line block ×4, first 2 shown]
	buffer_load_dword v0, off, s[0:3], s33 offset:180
	buffer_load_dword v1, off, s[0:3], s33 offset:184
	;; [unrolled: 1-line block ×4, first 2 shown]
	s_nop 0
	buffer_store_dword v6, off, s[0:3], s33 offset:660
	buffer_store_dword v8, off, s[0:3], s33 offset:664
	;; [unrolled: 1-line block ×8, first 2 shown]
	s_waitcnt vmcnt(11)
	;;#ASMSTART
	v_cvt_off_f32_i4 v3, v0
v_cvt_off_f32_i4 v4, v0, src0_sel:BYTE_2
v_cvt_pk_fp8_f32 v6, v3, v4
v_cvt_off_f32_i4 v3, v0, src0_sel:BYTE_1
v_cvt_off_f32_i4 v4, v0, src0_sel:BYTE_3
v_cvt_pk_fp8_f32 v8, v3, v4
v_lshrrev_b32 v5, 4, v0
v_cvt_off_f32_i4 v3, v5
v_cvt_off_f32_i4 v4, v5, src0_sel:BYTE_2
v_cvt_pk_fp8_f32 v6, v3, v4, op_sel:[0, 0, 1]
v_cvt_off_f32_i4 v3, v5, src0_sel:BYTE_1
v_cvt_off_f32_i4 v4, v5, src0_sel:BYTE_3
v_cvt_pk_fp8_f32 v8, v3, v4, op_sel:[0, 0, 1]

	;;#ASMEND
	s_waitcnt vmcnt(10)
	;;#ASMSTART
	v_cvt_off_f32_i4 v0, v1
v_cvt_off_f32_i4 v3, v1, src0_sel:BYTE_2
v_cvt_pk_fp8_f32 v5, v0, v3
v_cvt_off_f32_i4 v0, v1, src0_sel:BYTE_1
v_cvt_off_f32_i4 v3, v1, src0_sel:BYTE_3
v_cvt_pk_fp8_f32 v9, v0, v3
v_lshrrev_b32 v4, 4, v1
v_cvt_off_f32_i4 v0, v4
v_cvt_off_f32_i4 v3, v4, src0_sel:BYTE_2
v_cvt_pk_fp8_f32 v5, v0, v3, op_sel:[0, 0, 1]
v_cvt_off_f32_i4 v0, v4, src0_sel:BYTE_1
v_cvt_off_f32_i4 v3, v4, src0_sel:BYTE_3
v_cvt_pk_fp8_f32 v9, v0, v3, op_sel:[0, 0, 1]

	;;#ASMEND
	;; [unrolled: 17-line block ×4, first 2 shown]
	buffer_load_dword v0, off, s[0:3], s33 offset:212
	buffer_load_dword v1, off, s[0:3], s33 offset:216
	;; [unrolled: 1-line block ×4, first 2 shown]
	s_nop 0
	buffer_store_dword v6, off, s[0:3], s33 offset:692
	buffer_store_dword v8, off, s[0:3], s33 offset:696
	;; [unrolled: 1-line block ×8, first 2 shown]
	s_waitcnt vmcnt(11)
	;;#ASMSTART
	v_cvt_off_f32_i4 v3, v0
v_cvt_off_f32_i4 v4, v0, src0_sel:BYTE_2
v_cvt_pk_fp8_f32 v6, v3, v4
v_cvt_off_f32_i4 v3, v0, src0_sel:BYTE_1
v_cvt_off_f32_i4 v4, v0, src0_sel:BYTE_3
v_cvt_pk_fp8_f32 v8, v3, v4
v_lshrrev_b32 v5, 4, v0
v_cvt_off_f32_i4 v3, v5
v_cvt_off_f32_i4 v4, v5, src0_sel:BYTE_2
v_cvt_pk_fp8_f32 v6, v3, v4, op_sel:[0, 0, 1]
v_cvt_off_f32_i4 v3, v5, src0_sel:BYTE_1
v_cvt_off_f32_i4 v4, v5, src0_sel:BYTE_3
v_cvt_pk_fp8_f32 v8, v3, v4, op_sel:[0, 0, 1]

	;;#ASMEND
	s_waitcnt vmcnt(10)
	;;#ASMSTART
	v_cvt_off_f32_i4 v0, v1
v_cvt_off_f32_i4 v3, v1, src0_sel:BYTE_2
v_cvt_pk_fp8_f32 v5, v0, v3
v_cvt_off_f32_i4 v0, v1, src0_sel:BYTE_1
v_cvt_off_f32_i4 v3, v1, src0_sel:BYTE_3
v_cvt_pk_fp8_f32 v9, v0, v3
v_lshrrev_b32 v4, 4, v1
v_cvt_off_f32_i4 v0, v4
v_cvt_off_f32_i4 v3, v4, src0_sel:BYTE_2
v_cvt_pk_fp8_f32 v5, v0, v3, op_sel:[0, 0, 1]
v_cvt_off_f32_i4 v0, v4, src0_sel:BYTE_1
v_cvt_off_f32_i4 v3, v4, src0_sel:BYTE_3
v_cvt_pk_fp8_f32 v9, v0, v3, op_sel:[0, 0, 1]

	;;#ASMEND
	;; [unrolled: 17-line block ×4, first 2 shown]
	buffer_load_dword v0, off, s[0:3], s33 offset:244
	buffer_load_dword v1, off, s[0:3], s33 offset:248
	;; [unrolled: 1-line block ×4, first 2 shown]
	s_nop 0
	buffer_store_dword v6, off, s[0:3], s33 offset:724
	buffer_store_dword v8, off, s[0:3], s33 offset:728
	;; [unrolled: 1-line block ×8, first 2 shown]
	s_waitcnt vmcnt(11)
	;;#ASMSTART
	v_cvt_off_f32_i4 v3, v0
v_cvt_off_f32_i4 v4, v0, src0_sel:BYTE_2
v_cvt_pk_fp8_f32 v6, v3, v4
v_cvt_off_f32_i4 v3, v0, src0_sel:BYTE_1
v_cvt_off_f32_i4 v4, v0, src0_sel:BYTE_3
v_cvt_pk_fp8_f32 v8, v3, v4
v_lshrrev_b32 v5, 4, v0
v_cvt_off_f32_i4 v3, v5
v_cvt_off_f32_i4 v4, v5, src0_sel:BYTE_2
v_cvt_pk_fp8_f32 v6, v3, v4, op_sel:[0, 0, 1]
v_cvt_off_f32_i4 v3, v5, src0_sel:BYTE_1
v_cvt_off_f32_i4 v4, v5, src0_sel:BYTE_3
v_cvt_pk_fp8_f32 v8, v3, v4, op_sel:[0, 0, 1]

	;;#ASMEND
	s_waitcnt vmcnt(10)
	;;#ASMSTART
	v_cvt_off_f32_i4 v0, v1
v_cvt_off_f32_i4 v3, v1, src0_sel:BYTE_2
v_cvt_pk_fp8_f32 v5, v0, v3
v_cvt_off_f32_i4 v0, v1, src0_sel:BYTE_1
v_cvt_off_f32_i4 v3, v1, src0_sel:BYTE_3
v_cvt_pk_fp8_f32 v9, v0, v3
v_lshrrev_b32 v4, 4, v1
v_cvt_off_f32_i4 v0, v4
v_cvt_off_f32_i4 v3, v4, src0_sel:BYTE_2
v_cvt_pk_fp8_f32 v5, v0, v3, op_sel:[0, 0, 1]
v_cvt_off_f32_i4 v0, v4, src0_sel:BYTE_1
v_cvt_off_f32_i4 v3, v4, src0_sel:BYTE_3
v_cvt_pk_fp8_f32 v9, v0, v3, op_sel:[0, 0, 1]

	;;#ASMEND
	;; [unrolled: 17-line block ×4, first 2 shown]
	buffer_load_dword v0, off, s[0:3], s33 offset:276
	buffer_load_dword v1, off, s[0:3], s33 offset:280
	buffer_load_dword v2, off, s[0:3], s33 offset:284
	buffer_load_dword v7, off, s[0:3], s33 offset:288
	s_nop 0
	buffer_store_dword v6, off, s[0:3], s33 offset:756
	buffer_store_dword v8, off, s[0:3], s33 offset:760
	;; [unrolled: 1-line block ×8, first 2 shown]
	s_waitcnt vmcnt(11)
	;;#ASMSTART
	v_cvt_off_f32_i4 v3, v0
v_cvt_off_f32_i4 v4, v0, src0_sel:BYTE_2
v_cvt_pk_fp8_f32 v6, v3, v4
v_cvt_off_f32_i4 v3, v0, src0_sel:BYTE_1
v_cvt_off_f32_i4 v4, v0, src0_sel:BYTE_3
v_cvt_pk_fp8_f32 v8, v3, v4
v_lshrrev_b32 v5, 4, v0
v_cvt_off_f32_i4 v3, v5
v_cvt_off_f32_i4 v4, v5, src0_sel:BYTE_2
v_cvt_pk_fp8_f32 v6, v3, v4, op_sel:[0, 0, 1]
v_cvt_off_f32_i4 v3, v5, src0_sel:BYTE_1
v_cvt_off_f32_i4 v4, v5, src0_sel:BYTE_3
v_cvt_pk_fp8_f32 v8, v3, v4, op_sel:[0, 0, 1]

	;;#ASMEND
	s_waitcnt vmcnt(10)
	;;#ASMSTART
	v_cvt_off_f32_i4 v0, v1
v_cvt_off_f32_i4 v3, v1, src0_sel:BYTE_2
v_cvt_pk_fp8_f32 v5, v0, v3
v_cvt_off_f32_i4 v0, v1, src0_sel:BYTE_1
v_cvt_off_f32_i4 v3, v1, src0_sel:BYTE_3
v_cvt_pk_fp8_f32 v9, v0, v3
v_lshrrev_b32 v4, 4, v1
v_cvt_off_f32_i4 v0, v4
v_cvt_off_f32_i4 v3, v4, src0_sel:BYTE_2
v_cvt_pk_fp8_f32 v5, v0, v3, op_sel:[0, 0, 1]
v_cvt_off_f32_i4 v0, v4, src0_sel:BYTE_1
v_cvt_off_f32_i4 v3, v4, src0_sel:BYTE_3
v_cvt_pk_fp8_f32 v9, v0, v3, op_sel:[0, 0, 1]

	;;#ASMEND
	;; [unrolled: 17-line block ×4, first 2 shown]
	buffer_load_dword v0, off, s[0:3], s33 offset:308
	buffer_load_dword v1, off, s[0:3], s33 offset:312
	;; [unrolled: 1-line block ×4, first 2 shown]
	s_nop 0
	buffer_store_dword v6, off, s[0:3], s33 offset:788
	buffer_store_dword v8, off, s[0:3], s33 offset:792
	;; [unrolled: 1-line block ×8, first 2 shown]
	s_waitcnt vmcnt(11)
	;;#ASMSTART
	v_cvt_off_f32_i4 v3, v0
v_cvt_off_f32_i4 v4, v0, src0_sel:BYTE_2
v_cvt_pk_fp8_f32 v6, v3, v4
v_cvt_off_f32_i4 v3, v0, src0_sel:BYTE_1
v_cvt_off_f32_i4 v4, v0, src0_sel:BYTE_3
v_cvt_pk_fp8_f32 v8, v3, v4
v_lshrrev_b32 v5, 4, v0
v_cvt_off_f32_i4 v3, v5
v_cvt_off_f32_i4 v4, v5, src0_sel:BYTE_2
v_cvt_pk_fp8_f32 v6, v3, v4, op_sel:[0, 0, 1]
v_cvt_off_f32_i4 v3, v5, src0_sel:BYTE_1
v_cvt_off_f32_i4 v4, v5, src0_sel:BYTE_3
v_cvt_pk_fp8_f32 v8, v3, v4, op_sel:[0, 0, 1]

	;;#ASMEND
	s_waitcnt vmcnt(10)
	;;#ASMSTART
	v_cvt_off_f32_i4 v0, v1
v_cvt_off_f32_i4 v3, v1, src0_sel:BYTE_2
v_cvt_pk_fp8_f32 v5, v0, v3
v_cvt_off_f32_i4 v0, v1, src0_sel:BYTE_1
v_cvt_off_f32_i4 v3, v1, src0_sel:BYTE_3
v_cvt_pk_fp8_f32 v9, v0, v3
v_lshrrev_b32 v4, 4, v1
v_cvt_off_f32_i4 v0, v4
v_cvt_off_f32_i4 v3, v4, src0_sel:BYTE_2
v_cvt_pk_fp8_f32 v5, v0, v3, op_sel:[0, 0, 1]
v_cvt_off_f32_i4 v0, v4, src0_sel:BYTE_1
v_cvt_off_f32_i4 v3, v4, src0_sel:BYTE_3
v_cvt_pk_fp8_f32 v9, v0, v3, op_sel:[0, 0, 1]

	;;#ASMEND
	;; [unrolled: 17-line block ×4, first 2 shown]
	buffer_load_dword v0, off, s[0:3], s33 offset:340
	buffer_load_dword v1, off, s[0:3], s33 offset:344
	;; [unrolled: 1-line block ×4, first 2 shown]
	s_nop 0
	buffer_store_dword v6, off, s[0:3], s33 offset:820
	buffer_store_dword v8, off, s[0:3], s33 offset:824
	;; [unrolled: 1-line block ×8, first 2 shown]
	s_waitcnt vmcnt(11)
	;;#ASMSTART
	v_cvt_off_f32_i4 v3, v0
v_cvt_off_f32_i4 v4, v0, src0_sel:BYTE_2
v_cvt_pk_fp8_f32 v6, v3, v4
v_cvt_off_f32_i4 v3, v0, src0_sel:BYTE_1
v_cvt_off_f32_i4 v4, v0, src0_sel:BYTE_3
v_cvt_pk_fp8_f32 v8, v3, v4
v_lshrrev_b32 v5, 4, v0
v_cvt_off_f32_i4 v3, v5
v_cvt_off_f32_i4 v4, v5, src0_sel:BYTE_2
v_cvt_pk_fp8_f32 v6, v3, v4, op_sel:[0, 0, 1]
v_cvt_off_f32_i4 v3, v5, src0_sel:BYTE_1
v_cvt_off_f32_i4 v4, v5, src0_sel:BYTE_3
v_cvt_pk_fp8_f32 v8, v3, v4, op_sel:[0, 0, 1]

	;;#ASMEND
	s_waitcnt vmcnt(10)
	;;#ASMSTART
	v_cvt_off_f32_i4 v0, v1
v_cvt_off_f32_i4 v3, v1, src0_sel:BYTE_2
v_cvt_pk_fp8_f32 v5, v0, v3
v_cvt_off_f32_i4 v0, v1, src0_sel:BYTE_1
v_cvt_off_f32_i4 v3, v1, src0_sel:BYTE_3
v_cvt_pk_fp8_f32 v9, v0, v3
v_lshrrev_b32 v4, 4, v1
v_cvt_off_f32_i4 v0, v4
v_cvt_off_f32_i4 v3, v4, src0_sel:BYTE_2
v_cvt_pk_fp8_f32 v5, v0, v3, op_sel:[0, 0, 1]
v_cvt_off_f32_i4 v0, v4, src0_sel:BYTE_1
v_cvt_off_f32_i4 v3, v4, src0_sel:BYTE_3
v_cvt_pk_fp8_f32 v9, v0, v3, op_sel:[0, 0, 1]

	;;#ASMEND
	s_waitcnt vmcnt(9)
	;;#ASMSTART
	v_cvt_off_f32_i4 v0, v2
v_cvt_off_f32_i4 v1, v2, src0_sel:BYTE_2
v_cvt_pk_fp8_f32 v4, v0, v1
v_cvt_off_f32_i4 v0, v2, src0_sel:BYTE_1
v_cvt_off_f32_i4 v1, v2, src0_sel:BYTE_3
v_cvt_pk_fp8_f32 v10, v0, v1
v_lshrrev_b32 v3, 4, v2
v_cvt_off_f32_i4 v0, v3
v_cvt_off_f32_i4 v1, v3, src0_sel:BYTE_2
v_cvt_pk_fp8_f32 v4, v0, v1, op_sel:[0, 0, 1]
v_cvt_off_f32_i4 v0, v3, src0_sel:BYTE_1
v_cvt_off_f32_i4 v1, v3, src0_sel:BYTE_3
v_cvt_pk_fp8_f32 v10, v0, v1, op_sel:[0, 0, 1]

	;;#ASMEND
	s_waitcnt vmcnt(8)
	;;#ASMSTART
	v_cvt_off_f32_i4 v0, v7
v_cvt_off_f32_i4 v1, v7, src0_sel:BYTE_2
v_cvt_pk_fp8_f32 v3, v0, v1
v_cvt_off_f32_i4 v0, v7, src0_sel:BYTE_1
v_cvt_off_f32_i4 v1, v7, src0_sel:BYTE_3
v_cvt_pk_fp8_f32 v11, v0, v1
v_lshrrev_b32 v2, 4, v7
v_cvt_off_f32_i4 v0, v2
v_cvt_off_f32_i4 v1, v2, src0_sel:BYTE_2
v_cvt_pk_fp8_f32 v3, v0, v1, op_sel:[0, 0, 1]
v_cvt_off_f32_i4 v0, v2, src0_sel:BYTE_1
v_cvt_off_f32_i4 v1, v2, src0_sel:BYTE_3
v_cvt_pk_fp8_f32 v11, v0, v1, op_sel:[0, 0, 1]

	;;#ASMEND
	buffer_store_dword v6, off, s[0:3], s33 offset:852
	buffer_store_dword v8, off, s[0:3], s33 offset:856
	;; [unrolled: 1-line block ×8, first 2 shown]
	; sched_barrier mask(0x00000000)
	v_lshrrev_b32_e64 v0, 6, s33
	v_add_u32_e32 v0, 8, v0
	v_mov_b32_e32 v1, s17
	buffer_store_dword v32, off, s[0:3], s33 offset:12
	buffer_store_dword v33, off, s[0:3], s33 offset:8
	;; [unrolled: 1-line block ×8, first 2 shown]
	s_getpc_b64 s[4:5]
	s_add_u32 s4, s4, _ZNK2ck6detail7applierIiJLi0ELi1ELi2ELi3ELi4ELi5ELi6ELi7EEEclIZNKS_11static_fordINS_8SequenceIJLi1ELi8EEEENS5_IJLi0ELi1EEEEEclIZZNKS_52BlockwiseGemmXdlops_pipeline_bpreshuffle_bdequant_v3ILNS_26BlockGemmPipelineSchedulerE0ELi256ENS_9f8_fnuz_tENS_7pk_i4_tESC_fNS_16TensorDescriptorINS_5TupleIJNS_5EmbedINSF_IJNS_17integral_constantIiLi8EEENSH_IiLi256EEENSH_IiLi16EEEEEENSF_IJSK_NSH_IiLi128EEENSH_IiLi1EEEEEELb0EEENS_3XorINSF_IJSJ_SI_EEELb1EEENS_11PassThroughISK_EENS_7UnMergeINSF_IJSI_SN_EEELb0EEENST_ISJ_EESU_NST_ISI_EENS_21Merge_v3_division_modINSF_IJSJ_SN_EEEEESU_EEENSF_IJNS5_IJLi0EEEENS5_IJLi2ELi1EEEENS5_IJLi3EEEENS5_IJLi5EEEENS5_IJLi4EEEENS5_IJLi6EEEENS5_IJLi7EEEENS5_IJLi9ELi8EEEENS5_IJLi10EEEEEEENSF_IJNS5_IJLi1ELi2ELi3EEEENS5_IJLi4ELi5EEEES19_NS5_IJLi7ELi8EEEENS5_IJLi9EEEES1C_NS5_IJLi11EEEENS5_IJLi12EEEENS5_IJLi13EEEEEEENS5_IJLi11ELi12ELi13EEEENSH_IlLl32768EEEEENSE_INSF_IJNSV_INSF_IJSI_SN_SN_NSH_IiLi32EEEEEELb0EEEEEENSF_IJS14_EEENSF_IJNS5_IJLi1ELi2ELi3ELi4EEEEEEES1U_NSH_IlLl256EEEEENSE_INSF_IJSP_SS_SU_SX_SY_SU_SZ_S12_SU_NS10_INSF_IJSI_SK_EEEEENSV_INSF_IJSI_NSH_IiLi2EEESK_EEELb0EEEEEENSF_IJS14_S15_S16_S17_S18_S19_S1A_S1B_S1C_NS5_IJLi11ELi13EEEES1J_EEENSF_IJS1E_S1F_S19_S1G_S1H_S1C_S1I_S1J_S1K_NS5_IJLi14EEEENS5_IJLi15ELi16ELi17EEEEEEENS5_IJLi15ELi16ELi17ELi14EEEES1N_EENSE_INSF_IJS1R_NS10_ISW_EES22_EEENSF_IJS14_NS5_IJLi1ELi3EEEENS5_IJLi2EEEEEEENSF_IJS1U_S17_NS5_IJLi6ELi7ELi8EEEEEEENS5_IJLi6ELi7ELi8ELi5EEEES1W_EELi16ELi32ELi256ELi256ELi128ELi16ELi16ELi8ELi8ELi32ELb0EE3RunILb1ELNS_10TailNumberE0ENSE_INSF_IJNSG_INSF_IJiiEEENSF_IJiSN_EEELb0EEENSV_IS2N_Lb0EEENST_IiEEEEENSF_IJS14_S2E_NS5_IJLi1EEEEEEENSF_IJNS5_IJLi1ELi2EEEENS5_IJLi3ELi4EEEES17_EEENS5_IJLi3ELi5ELi4EEEElEES1O_NS_35ThreadGroupTensorSliceTransfer_v4r1INS_15ThisThreadBlockILi256EEENS_16tensor_operation12element_wise11PassThroughES35_LNS_25InMemoryDataOperationEnumE0ENS5_IJLi8ELi256ELi16EEEENS5_IJLi8ELi32ELi1EEEENS5_IJLi1ELi0ELi2EEEESC_SC_RKS2Z_KS1O_S39_NS5_IJLi0ELi1ELi2EEEELi2ELi2ELi16ELi16ELi1ELi1ELb0ELb1ELi2EiEENS_13DynamicBufferILNS_16AddressSpaceEnumE1EKSC_lLb1ELNS_22AmdBufferCoherenceEnumE0EiEENSF_IJNS3F_ILS3G_2ESC_S1N_Lb1ELS3I_0EiEES3K_EEENSF_IJiiiEEENSE_INSF_IJNSG_INSF_IJiiiiEEENSF_IJiiiSN_EEELb0EEEEEES1T_S1V_S1U_lEENS_32ThreadwiseTensorSliceTransfer_v2ISD_SD_RKS3R_KS1X_NS5_IJLi8ELi1ELi1ELi32EEEENS5_IJLi1ELi2ELi0ELi3EEEELi3ELi32ELi0ELb1ELb0ELb0EEENS3F_ILS3G_1EKSD_lLb1ELS3I_0EiEENSF_IJNS_12StaticBufferILS3G_4ESD_Li256ELb1EEES42_EEES3N_NS_25StaticBufferTupleOfVectorILS3G_4EfLi64ELi4ELb1ELb0EEEEEvRKT1_RKT2_RT3_RKT4_RT5_RKT6_RKT7_RT8_RKT9_RT10_RKT11_RT12_iENKUlT_E0_clINSH_IiLi4EEEEEDaS51_EUlS51_E_EEvS51_EUlS51_E_EEvS51_@rel32@lo+4
	s_addc_u32 s5, s5, _ZNK2ck6detail7applierIiJLi0ELi1ELi2ELi3ELi4ELi5ELi6ELi7EEEclIZNKS_11static_fordINS_8SequenceIJLi1ELi8EEEENS5_IJLi0ELi1EEEEEclIZZNKS_52BlockwiseGemmXdlops_pipeline_bpreshuffle_bdequant_v3ILNS_26BlockGemmPipelineSchedulerE0ELi256ENS_9f8_fnuz_tENS_7pk_i4_tESC_fNS_16TensorDescriptorINS_5TupleIJNS_5EmbedINSF_IJNS_17integral_constantIiLi8EEENSH_IiLi256EEENSH_IiLi16EEEEEENSF_IJSK_NSH_IiLi128EEENSH_IiLi1EEEEEELb0EEENS_3XorINSF_IJSJ_SI_EEELb1EEENS_11PassThroughISK_EENS_7UnMergeINSF_IJSI_SN_EEELb0EEENST_ISJ_EESU_NST_ISI_EENS_21Merge_v3_division_modINSF_IJSJ_SN_EEEEESU_EEENSF_IJNS5_IJLi0EEEENS5_IJLi2ELi1EEEENS5_IJLi3EEEENS5_IJLi5EEEENS5_IJLi4EEEENS5_IJLi6EEEENS5_IJLi7EEEENS5_IJLi9ELi8EEEENS5_IJLi10EEEEEEENSF_IJNS5_IJLi1ELi2ELi3EEEENS5_IJLi4ELi5EEEES19_NS5_IJLi7ELi8EEEENS5_IJLi9EEEES1C_NS5_IJLi11EEEENS5_IJLi12EEEENS5_IJLi13EEEEEEENS5_IJLi11ELi12ELi13EEEENSH_IlLl32768EEEEENSE_INSF_IJNSV_INSF_IJSI_SN_SN_NSH_IiLi32EEEEEELb0EEEEEENSF_IJS14_EEENSF_IJNS5_IJLi1ELi2ELi3ELi4EEEEEEES1U_NSH_IlLl256EEEEENSE_INSF_IJSP_SS_SU_SX_SY_SU_SZ_S12_SU_NS10_INSF_IJSI_SK_EEEEENSV_INSF_IJSI_NSH_IiLi2EEESK_EEELb0EEEEEENSF_IJS14_S15_S16_S17_S18_S19_S1A_S1B_S1C_NS5_IJLi11ELi13EEEES1J_EEENSF_IJS1E_S1F_S19_S1G_S1H_S1C_S1I_S1J_S1K_NS5_IJLi14EEEENS5_IJLi15ELi16ELi17EEEEEEENS5_IJLi15ELi16ELi17ELi14EEEES1N_EENSE_INSF_IJS1R_NS10_ISW_EES22_EEENSF_IJS14_NS5_IJLi1ELi3EEEENS5_IJLi2EEEEEEENSF_IJS1U_S17_NS5_IJLi6ELi7ELi8EEEEEEENS5_IJLi6ELi7ELi8ELi5EEEES1W_EELi16ELi32ELi256ELi256ELi128ELi16ELi16ELi8ELi8ELi32ELb0EE3RunILb1ELNS_10TailNumberE0ENSE_INSF_IJNSG_INSF_IJiiEEENSF_IJiSN_EEELb0EEENSV_IS2N_Lb0EEENST_IiEEEEENSF_IJS14_S2E_NS5_IJLi1EEEEEEENSF_IJNS5_IJLi1ELi2EEEENS5_IJLi3ELi4EEEES17_EEENS5_IJLi3ELi5ELi4EEEElEES1O_NS_35ThreadGroupTensorSliceTransfer_v4r1INS_15ThisThreadBlockILi256EEENS_16tensor_operation12element_wise11PassThroughES35_LNS_25InMemoryDataOperationEnumE0ENS5_IJLi8ELi256ELi16EEEENS5_IJLi8ELi32ELi1EEEENS5_IJLi1ELi0ELi2EEEESC_SC_RKS2Z_KS1O_S39_NS5_IJLi0ELi1ELi2EEEELi2ELi2ELi16ELi16ELi1ELi1ELb0ELb1ELi2EiEENS_13DynamicBufferILNS_16AddressSpaceEnumE1EKSC_lLb1ELNS_22AmdBufferCoherenceEnumE0EiEENSF_IJNS3F_ILS3G_2ESC_S1N_Lb1ELS3I_0EiEES3K_EEENSF_IJiiiEEENSE_INSF_IJNSG_INSF_IJiiiiEEENSF_IJiiiSN_EEELb0EEEEEES1T_S1V_S1U_lEENS_32ThreadwiseTensorSliceTransfer_v2ISD_SD_RKS3R_KS1X_NS5_IJLi8ELi1ELi1ELi32EEEENS5_IJLi1ELi2ELi0ELi3EEEELi3ELi32ELi0ELb1ELb0ELb0EEENS3F_ILS3G_1EKSD_lLb1ELS3I_0EiEENSF_IJNS_12StaticBufferILS3G_4ESD_Li256ELb1EEES42_EEES3N_NS_25StaticBufferTupleOfVectorILS3G_4EfLi64ELi4ELb1ELb0EEEEEvRKT1_RKT2_RT3_RKT4_RT5_RKT6_RKT7_RT8_RKT9_RT10_RKT11_RT12_iENKUlT_E0_clINSH_IiLi4EEEEEDaS51_EUlS51_E_EEvS51_EUlS51_E_EEvS51_@rel32@hi+12
	s_swappc_b64 s[30:31], s[4:5]
	flat_load_dwordx2 v[12:13], v[30:31] offset:1148
	flat_load_dwordx2 v[14:15], v[30:31] offset:1164
	flat_load_dwordx4 v[0:3], v[30:31] offset:1176
	flat_load_dwordx3 v[8:10], v[30:31] offset:1132
	flat_load_dwordx2 v[16:17], v[28:29]
	s_movk_i32 s4, 0xa0
	; sched_group_barrier mask(0x00000008) size(16) SyncID(0)
	; sched_group_barrier mask(0x00000100) size(1) SyncID(0)
	; sched_group_barrier mask(0x00000008) size(16) SyncID(0)
	; sched_group_barrier mask(0x00000100) size(1) SyncID(0)
	s_waitcnt vmcnt(0) lgkmcnt(0)
	v_sub_u32_e32 v4, v12, v15
	v_add3_u32 v1, v4, v1, s4
	v_ashrrev_i32_e32 v4, 31, v1
	v_lshrrev_b32_e32 v4, 29, v4
	v_add_u32_e32 v4, v1, v4
	v_and_b32_e32 v4, -8, v4
	v_sub_u32_e32 v5, v13, v14
	v_sub_u32_e32 v6, v1, v10
	;; [unrolled: 1-line block ×3, first 2 shown]
	v_xor_b32_e32 v4, v1, v5
	v_sub_u32_e32 v4, v4, v9
	v_lshlrev_b32_e32 v10, 7, v6
	v_lshlrev_b32_e32 v4, 4, v4
	v_add3_u32 v4, v10, v8, v4
	v_ashrrev_i32_e32 v5, 31, v4
	v_add_co_u32_e32 v4, vcc, v16, v4
	v_addc_co_u32_e32 v5, vcc, v17, v5, vcc
	flat_load_dwordx4 v[4:7], v[4:5]
	v_add_u32_e32 v3, 16, v3
	v_sub_u32_e32 v2, v8, v2
	v_ashrrev_i32_e32 v8, 31, v3
	v_lshrrev_b32_e32 v8, 28, v8
	v_add_u32_e32 v0, v14, v0
	v_add_u32_e32 v8, v3, v8
	v_sub_u32_e32 v0, v13, v0
	v_lshrrev_b32_e32 v11, 4, v8
	v_add_u32_e32 v0, v0, v11
	v_xor_b32_e32 v0, v0, v1
	v_and_b32_e32 v8, -16, v8
	v_sub_u32_e32 v0, v0, v9
	v_add_u32_e32 v2, v2, v10
	v_sub_u32_e32 v3, v3, v8
	v_lshlrev_b32_e32 v0, 4, v0
	v_add3_u32 v0, v2, v3, v0
	v_ashrrev_i32_e32 v1, 31, v0
	v_add_co_u32_e32 v0, vcc, v16, v0
	v_addc_co_u32_e32 v1, vcc, v17, v1, vcc
	s_waitcnt vmcnt(0) lgkmcnt(0)
	buffer_store_dword v4, off, s[0:3], s33 offset:84
	buffer_store_dword v5, off, s[0:3], s33 offset:88
	;; [unrolled: 1-line block ×4, first 2 shown]
	flat_load_dwordx4 v[0:3], v[0:1]
	s_nop 0
	buffer_load_dword v4, off, s[0:3], s33 offset:116
	buffer_load_dword v5, off, s[0:3], s33 offset:120
	;; [unrolled: 1-line block ×4, first 2 shown]
	s_waitcnt vmcnt(0) lgkmcnt(0)
	buffer_store_dword v0, off, s[0:3], s33 offset:100
	buffer_store_dword v1, off, s[0:3], s33 offset:104
	;; [unrolled: 1-line block ×4, first 2 shown]
	;;#ASMSTART
	v_cvt_off_f32_i4 v0, v4
v_cvt_off_f32_i4 v1, v4, src0_sel:BYTE_2
v_cvt_pk_fp8_f32 v3, v0, v1
v_cvt_off_f32_i4 v0, v4, src0_sel:BYTE_1
v_cvt_off_f32_i4 v1, v4, src0_sel:BYTE_3
v_cvt_pk_fp8_f32 v8, v0, v1
v_lshrrev_b32 v2, 4, v4
v_cvt_off_f32_i4 v0, v2
v_cvt_off_f32_i4 v1, v2, src0_sel:BYTE_2
v_cvt_pk_fp8_f32 v3, v0, v1, op_sel:[0, 0, 1]
v_cvt_off_f32_i4 v0, v2, src0_sel:BYTE_1
v_cvt_off_f32_i4 v1, v2, src0_sel:BYTE_3
v_cvt_pk_fp8_f32 v8, v0, v1, op_sel:[0, 0, 1]

	;;#ASMEND
	;;#ASMSTART
	v_cvt_off_f32_i4 v0, v5
v_cvt_off_f32_i4 v1, v5, src0_sel:BYTE_2
v_cvt_pk_fp8_f32 v4, v0, v1
v_cvt_off_f32_i4 v0, v5, src0_sel:BYTE_1
v_cvt_off_f32_i4 v1, v5, src0_sel:BYTE_3
v_cvt_pk_fp8_f32 v9, v0, v1
v_lshrrev_b32 v2, 4, v5
v_cvt_off_f32_i4 v0, v2
v_cvt_off_f32_i4 v1, v2, src0_sel:BYTE_2
v_cvt_pk_fp8_f32 v4, v0, v1, op_sel:[0, 0, 1]
v_cvt_off_f32_i4 v0, v2, src0_sel:BYTE_1
v_cvt_off_f32_i4 v1, v2, src0_sel:BYTE_3
v_cvt_pk_fp8_f32 v9, v0, v1, op_sel:[0, 0, 1]

	;;#ASMEND
	;; [unrolled: 16-line block ×4, first 2 shown]
	buffer_load_dword v0, off, s[0:3], s33 offset:148
	buffer_load_dword v1, off, s[0:3], s33 offset:152
	;; [unrolled: 1-line block ×4, first 2 shown]
	s_nop 0
	buffer_store_dword v3, off, s[0:3], s33 offset:628
	buffer_store_dword v8, off, s[0:3], s33 offset:632
	;; [unrolled: 1-line block ×8, first 2 shown]
	s_waitcnt vmcnt(11)
	;;#ASMSTART
	v_cvt_off_f32_i4 v3, v0
v_cvt_off_f32_i4 v4, v0, src0_sel:BYTE_2
v_cvt_pk_fp8_f32 v6, v3, v4
v_cvt_off_f32_i4 v3, v0, src0_sel:BYTE_1
v_cvt_off_f32_i4 v4, v0, src0_sel:BYTE_3
v_cvt_pk_fp8_f32 v8, v3, v4
v_lshrrev_b32 v5, 4, v0
v_cvt_off_f32_i4 v3, v5
v_cvt_off_f32_i4 v4, v5, src0_sel:BYTE_2
v_cvt_pk_fp8_f32 v6, v3, v4, op_sel:[0, 0, 1]
v_cvt_off_f32_i4 v3, v5, src0_sel:BYTE_1
v_cvt_off_f32_i4 v4, v5, src0_sel:BYTE_3
v_cvt_pk_fp8_f32 v8, v3, v4, op_sel:[0, 0, 1]

	;;#ASMEND
	s_waitcnt vmcnt(10)
	;;#ASMSTART
	v_cvt_off_f32_i4 v0, v1
v_cvt_off_f32_i4 v3, v1, src0_sel:BYTE_2
v_cvt_pk_fp8_f32 v5, v0, v3
v_cvt_off_f32_i4 v0, v1, src0_sel:BYTE_1
v_cvt_off_f32_i4 v3, v1, src0_sel:BYTE_3
v_cvt_pk_fp8_f32 v9, v0, v3
v_lshrrev_b32 v4, 4, v1
v_cvt_off_f32_i4 v0, v4
v_cvt_off_f32_i4 v3, v4, src0_sel:BYTE_2
v_cvt_pk_fp8_f32 v5, v0, v3, op_sel:[0, 0, 1]
v_cvt_off_f32_i4 v0, v4, src0_sel:BYTE_1
v_cvt_off_f32_i4 v3, v4, src0_sel:BYTE_3
v_cvt_pk_fp8_f32 v9, v0, v3, op_sel:[0, 0, 1]

	;;#ASMEND
	;; [unrolled: 17-line block ×4, first 2 shown]
	buffer_load_dword v0, off, s[0:3], s33 offset:180
	buffer_load_dword v1, off, s[0:3], s33 offset:184
	;; [unrolled: 1-line block ×4, first 2 shown]
	s_nop 0
	buffer_store_dword v6, off, s[0:3], s33 offset:660
	buffer_store_dword v8, off, s[0:3], s33 offset:664
	;; [unrolled: 1-line block ×8, first 2 shown]
	s_waitcnt vmcnt(11)
	;;#ASMSTART
	v_cvt_off_f32_i4 v3, v0
v_cvt_off_f32_i4 v4, v0, src0_sel:BYTE_2
v_cvt_pk_fp8_f32 v6, v3, v4
v_cvt_off_f32_i4 v3, v0, src0_sel:BYTE_1
v_cvt_off_f32_i4 v4, v0, src0_sel:BYTE_3
v_cvt_pk_fp8_f32 v8, v3, v4
v_lshrrev_b32 v5, 4, v0
v_cvt_off_f32_i4 v3, v5
v_cvt_off_f32_i4 v4, v5, src0_sel:BYTE_2
v_cvt_pk_fp8_f32 v6, v3, v4, op_sel:[0, 0, 1]
v_cvt_off_f32_i4 v3, v5, src0_sel:BYTE_1
v_cvt_off_f32_i4 v4, v5, src0_sel:BYTE_3
v_cvt_pk_fp8_f32 v8, v3, v4, op_sel:[0, 0, 1]

	;;#ASMEND
	s_waitcnt vmcnt(10)
	;;#ASMSTART
	v_cvt_off_f32_i4 v0, v1
v_cvt_off_f32_i4 v3, v1, src0_sel:BYTE_2
v_cvt_pk_fp8_f32 v5, v0, v3
v_cvt_off_f32_i4 v0, v1, src0_sel:BYTE_1
v_cvt_off_f32_i4 v3, v1, src0_sel:BYTE_3
v_cvt_pk_fp8_f32 v9, v0, v3
v_lshrrev_b32 v4, 4, v1
v_cvt_off_f32_i4 v0, v4
v_cvt_off_f32_i4 v3, v4, src0_sel:BYTE_2
v_cvt_pk_fp8_f32 v5, v0, v3, op_sel:[0, 0, 1]
v_cvt_off_f32_i4 v0, v4, src0_sel:BYTE_1
v_cvt_off_f32_i4 v3, v4, src0_sel:BYTE_3
v_cvt_pk_fp8_f32 v9, v0, v3, op_sel:[0, 0, 1]

	;;#ASMEND
	s_waitcnt vmcnt(9)
	;;#ASMSTART
	v_cvt_off_f32_i4 v0, v2
v_cvt_off_f32_i4 v1, v2, src0_sel:BYTE_2
v_cvt_pk_fp8_f32 v4, v0, v1
v_cvt_off_f32_i4 v0, v2, src0_sel:BYTE_1
v_cvt_off_f32_i4 v1, v2, src0_sel:BYTE_3
v_cvt_pk_fp8_f32 v10, v0, v1
v_lshrrev_b32 v3, 4, v2
v_cvt_off_f32_i4 v0, v3
v_cvt_off_f32_i4 v1, v3, src0_sel:BYTE_2
v_cvt_pk_fp8_f32 v4, v0, v1, op_sel:[0, 0, 1]
v_cvt_off_f32_i4 v0, v3, src0_sel:BYTE_1
v_cvt_off_f32_i4 v1, v3, src0_sel:BYTE_3
v_cvt_pk_fp8_f32 v10, v0, v1, op_sel:[0, 0, 1]

	;;#ASMEND
	s_waitcnt vmcnt(8)
	;;#ASMSTART
	v_cvt_off_f32_i4 v0, v7
v_cvt_off_f32_i4 v1, v7, src0_sel:BYTE_2
v_cvt_pk_fp8_f32 v3, v0, v1
v_cvt_off_f32_i4 v0, v7, src0_sel:BYTE_1
v_cvt_off_f32_i4 v1, v7, src0_sel:BYTE_3
v_cvt_pk_fp8_f32 v11, v0, v1
v_lshrrev_b32 v2, 4, v7
v_cvt_off_f32_i4 v0, v2
v_cvt_off_f32_i4 v1, v2, src0_sel:BYTE_2
v_cvt_pk_fp8_f32 v3, v0, v1, op_sel:[0, 0, 1]
v_cvt_off_f32_i4 v0, v2, src0_sel:BYTE_1
v_cvt_off_f32_i4 v1, v2, src0_sel:BYTE_3
v_cvt_pk_fp8_f32 v11, v0, v1, op_sel:[0, 0, 1]

	;;#ASMEND
	buffer_load_dword v0, off, s[0:3], s33 offset:212
	buffer_load_dword v1, off, s[0:3], s33 offset:216
	;; [unrolled: 1-line block ×4, first 2 shown]
	s_nop 0
	buffer_store_dword v6, off, s[0:3], s33 offset:692
	buffer_store_dword v8, off, s[0:3], s33 offset:696
	;; [unrolled: 1-line block ×8, first 2 shown]
	s_waitcnt vmcnt(11)
	;;#ASMSTART
	v_cvt_off_f32_i4 v3, v0
v_cvt_off_f32_i4 v4, v0, src0_sel:BYTE_2
v_cvt_pk_fp8_f32 v6, v3, v4
v_cvt_off_f32_i4 v3, v0, src0_sel:BYTE_1
v_cvt_off_f32_i4 v4, v0, src0_sel:BYTE_3
v_cvt_pk_fp8_f32 v8, v3, v4
v_lshrrev_b32 v5, 4, v0
v_cvt_off_f32_i4 v3, v5
v_cvt_off_f32_i4 v4, v5, src0_sel:BYTE_2
v_cvt_pk_fp8_f32 v6, v3, v4, op_sel:[0, 0, 1]
v_cvt_off_f32_i4 v3, v5, src0_sel:BYTE_1
v_cvt_off_f32_i4 v4, v5, src0_sel:BYTE_3
v_cvt_pk_fp8_f32 v8, v3, v4, op_sel:[0, 0, 1]

	;;#ASMEND
	s_waitcnt vmcnt(10)
	;;#ASMSTART
	v_cvt_off_f32_i4 v0, v1
v_cvt_off_f32_i4 v3, v1, src0_sel:BYTE_2
v_cvt_pk_fp8_f32 v5, v0, v3
v_cvt_off_f32_i4 v0, v1, src0_sel:BYTE_1
v_cvt_off_f32_i4 v3, v1, src0_sel:BYTE_3
v_cvt_pk_fp8_f32 v9, v0, v3
v_lshrrev_b32 v4, 4, v1
v_cvt_off_f32_i4 v0, v4
v_cvt_off_f32_i4 v3, v4, src0_sel:BYTE_2
v_cvt_pk_fp8_f32 v5, v0, v3, op_sel:[0, 0, 1]
v_cvt_off_f32_i4 v0, v4, src0_sel:BYTE_1
v_cvt_off_f32_i4 v3, v4, src0_sel:BYTE_3
v_cvt_pk_fp8_f32 v9, v0, v3, op_sel:[0, 0, 1]

	;;#ASMEND
	;; [unrolled: 17-line block ×4, first 2 shown]
	buffer_load_dword v0, off, s[0:3], s33 offset:244
	buffer_load_dword v1, off, s[0:3], s33 offset:248
	;; [unrolled: 1-line block ×4, first 2 shown]
	s_nop 0
	buffer_store_dword v6, off, s[0:3], s33 offset:724
	buffer_store_dword v8, off, s[0:3], s33 offset:728
	;; [unrolled: 1-line block ×8, first 2 shown]
	s_waitcnt vmcnt(11)
	;;#ASMSTART
	v_cvt_off_f32_i4 v3, v0
v_cvt_off_f32_i4 v4, v0, src0_sel:BYTE_2
v_cvt_pk_fp8_f32 v6, v3, v4
v_cvt_off_f32_i4 v3, v0, src0_sel:BYTE_1
v_cvt_off_f32_i4 v4, v0, src0_sel:BYTE_3
v_cvt_pk_fp8_f32 v8, v3, v4
v_lshrrev_b32 v5, 4, v0
v_cvt_off_f32_i4 v3, v5
v_cvt_off_f32_i4 v4, v5, src0_sel:BYTE_2
v_cvt_pk_fp8_f32 v6, v3, v4, op_sel:[0, 0, 1]
v_cvt_off_f32_i4 v3, v5, src0_sel:BYTE_1
v_cvt_off_f32_i4 v4, v5, src0_sel:BYTE_3
v_cvt_pk_fp8_f32 v8, v3, v4, op_sel:[0, 0, 1]

	;;#ASMEND
	s_waitcnt vmcnt(10)
	;;#ASMSTART
	v_cvt_off_f32_i4 v0, v1
v_cvt_off_f32_i4 v3, v1, src0_sel:BYTE_2
v_cvt_pk_fp8_f32 v5, v0, v3
v_cvt_off_f32_i4 v0, v1, src0_sel:BYTE_1
v_cvt_off_f32_i4 v3, v1, src0_sel:BYTE_3
v_cvt_pk_fp8_f32 v9, v0, v3
v_lshrrev_b32 v4, 4, v1
v_cvt_off_f32_i4 v0, v4
v_cvt_off_f32_i4 v3, v4, src0_sel:BYTE_2
v_cvt_pk_fp8_f32 v5, v0, v3, op_sel:[0, 0, 1]
v_cvt_off_f32_i4 v0, v4, src0_sel:BYTE_1
v_cvt_off_f32_i4 v3, v4, src0_sel:BYTE_3
v_cvt_pk_fp8_f32 v9, v0, v3, op_sel:[0, 0, 1]

	;;#ASMEND
	;; [unrolled: 17-line block ×4, first 2 shown]
	buffer_load_dword v0, off, s[0:3], s33 offset:276
	buffer_load_dword v1, off, s[0:3], s33 offset:280
	;; [unrolled: 1-line block ×4, first 2 shown]
	s_nop 0
	buffer_store_dword v6, off, s[0:3], s33 offset:756
	buffer_store_dword v8, off, s[0:3], s33 offset:760
	;; [unrolled: 1-line block ×8, first 2 shown]
	s_waitcnt vmcnt(11)
	;;#ASMSTART
	v_cvt_off_f32_i4 v3, v0
v_cvt_off_f32_i4 v4, v0, src0_sel:BYTE_2
v_cvt_pk_fp8_f32 v6, v3, v4
v_cvt_off_f32_i4 v3, v0, src0_sel:BYTE_1
v_cvt_off_f32_i4 v4, v0, src0_sel:BYTE_3
v_cvt_pk_fp8_f32 v8, v3, v4
v_lshrrev_b32 v5, 4, v0
v_cvt_off_f32_i4 v3, v5
v_cvt_off_f32_i4 v4, v5, src0_sel:BYTE_2
v_cvt_pk_fp8_f32 v6, v3, v4, op_sel:[0, 0, 1]
v_cvt_off_f32_i4 v3, v5, src0_sel:BYTE_1
v_cvt_off_f32_i4 v4, v5, src0_sel:BYTE_3
v_cvt_pk_fp8_f32 v8, v3, v4, op_sel:[0, 0, 1]

	;;#ASMEND
	s_waitcnt vmcnt(10)
	;;#ASMSTART
	v_cvt_off_f32_i4 v0, v1
v_cvt_off_f32_i4 v3, v1, src0_sel:BYTE_2
v_cvt_pk_fp8_f32 v5, v0, v3
v_cvt_off_f32_i4 v0, v1, src0_sel:BYTE_1
v_cvt_off_f32_i4 v3, v1, src0_sel:BYTE_3
v_cvt_pk_fp8_f32 v9, v0, v3
v_lshrrev_b32 v4, 4, v1
v_cvt_off_f32_i4 v0, v4
v_cvt_off_f32_i4 v3, v4, src0_sel:BYTE_2
v_cvt_pk_fp8_f32 v5, v0, v3, op_sel:[0, 0, 1]
v_cvt_off_f32_i4 v0, v4, src0_sel:BYTE_1
v_cvt_off_f32_i4 v3, v4, src0_sel:BYTE_3
v_cvt_pk_fp8_f32 v9, v0, v3, op_sel:[0, 0, 1]

	;;#ASMEND
	;; [unrolled: 17-line block ×4, first 2 shown]
	buffer_load_dword v0, off, s[0:3], s33 offset:308
	buffer_load_dword v1, off, s[0:3], s33 offset:312
	;; [unrolled: 1-line block ×4, first 2 shown]
	s_nop 0
	buffer_store_dword v6, off, s[0:3], s33 offset:788
	buffer_store_dword v8, off, s[0:3], s33 offset:792
	buffer_store_dword v5, off, s[0:3], s33 offset:796
	buffer_store_dword v9, off, s[0:3], s33 offset:800
	buffer_store_dword v4, off, s[0:3], s33 offset:804
	buffer_store_dword v10, off, s[0:3], s33 offset:808
	buffer_store_dword v3, off, s[0:3], s33 offset:812
	buffer_store_dword v11, off, s[0:3], s33 offset:816
	s_waitcnt vmcnt(11)
	;;#ASMSTART
	v_cvt_off_f32_i4 v3, v0
v_cvt_off_f32_i4 v4, v0, src0_sel:BYTE_2
v_cvt_pk_fp8_f32 v6, v3, v4
v_cvt_off_f32_i4 v3, v0, src0_sel:BYTE_1
v_cvt_off_f32_i4 v4, v0, src0_sel:BYTE_3
v_cvt_pk_fp8_f32 v8, v3, v4
v_lshrrev_b32 v5, 4, v0
v_cvt_off_f32_i4 v3, v5
v_cvt_off_f32_i4 v4, v5, src0_sel:BYTE_2
v_cvt_pk_fp8_f32 v6, v3, v4, op_sel:[0, 0, 1]
v_cvt_off_f32_i4 v3, v5, src0_sel:BYTE_1
v_cvt_off_f32_i4 v4, v5, src0_sel:BYTE_3
v_cvt_pk_fp8_f32 v8, v3, v4, op_sel:[0, 0, 1]

	;;#ASMEND
	s_waitcnt vmcnt(10)
	;;#ASMSTART
	v_cvt_off_f32_i4 v0, v1
v_cvt_off_f32_i4 v3, v1, src0_sel:BYTE_2
v_cvt_pk_fp8_f32 v5, v0, v3
v_cvt_off_f32_i4 v0, v1, src0_sel:BYTE_1
v_cvt_off_f32_i4 v3, v1, src0_sel:BYTE_3
v_cvt_pk_fp8_f32 v9, v0, v3
v_lshrrev_b32 v4, 4, v1
v_cvt_off_f32_i4 v0, v4
v_cvt_off_f32_i4 v3, v4, src0_sel:BYTE_2
v_cvt_pk_fp8_f32 v5, v0, v3, op_sel:[0, 0, 1]
v_cvt_off_f32_i4 v0, v4, src0_sel:BYTE_1
v_cvt_off_f32_i4 v3, v4, src0_sel:BYTE_3
v_cvt_pk_fp8_f32 v9, v0, v3, op_sel:[0, 0, 1]

	;;#ASMEND
	;; [unrolled: 17-line block ×4, first 2 shown]
	buffer_load_dword v0, off, s[0:3], s33 offset:340
	buffer_load_dword v1, off, s[0:3], s33 offset:344
	;; [unrolled: 1-line block ×4, first 2 shown]
	s_nop 0
	buffer_store_dword v6, off, s[0:3], s33 offset:820
	buffer_store_dword v8, off, s[0:3], s33 offset:824
	;; [unrolled: 1-line block ×8, first 2 shown]
	s_waitcnt vmcnt(11)
	;;#ASMSTART
	v_cvt_off_f32_i4 v3, v0
v_cvt_off_f32_i4 v4, v0, src0_sel:BYTE_2
v_cvt_pk_fp8_f32 v6, v3, v4
v_cvt_off_f32_i4 v3, v0, src0_sel:BYTE_1
v_cvt_off_f32_i4 v4, v0, src0_sel:BYTE_3
v_cvt_pk_fp8_f32 v8, v3, v4
v_lshrrev_b32 v5, 4, v0
v_cvt_off_f32_i4 v3, v5
v_cvt_off_f32_i4 v4, v5, src0_sel:BYTE_2
v_cvt_pk_fp8_f32 v6, v3, v4, op_sel:[0, 0, 1]
v_cvt_off_f32_i4 v3, v5, src0_sel:BYTE_1
v_cvt_off_f32_i4 v4, v5, src0_sel:BYTE_3
v_cvt_pk_fp8_f32 v8, v3, v4, op_sel:[0, 0, 1]

	;;#ASMEND
	s_waitcnt vmcnt(10)
	;;#ASMSTART
	v_cvt_off_f32_i4 v0, v1
v_cvt_off_f32_i4 v3, v1, src0_sel:BYTE_2
v_cvt_pk_fp8_f32 v5, v0, v3
v_cvt_off_f32_i4 v0, v1, src0_sel:BYTE_1
v_cvt_off_f32_i4 v3, v1, src0_sel:BYTE_3
v_cvt_pk_fp8_f32 v9, v0, v3
v_lshrrev_b32 v4, 4, v1
v_cvt_off_f32_i4 v0, v4
v_cvt_off_f32_i4 v3, v4, src0_sel:BYTE_2
v_cvt_pk_fp8_f32 v5, v0, v3, op_sel:[0, 0, 1]
v_cvt_off_f32_i4 v0, v4, src0_sel:BYTE_1
v_cvt_off_f32_i4 v3, v4, src0_sel:BYTE_3
v_cvt_pk_fp8_f32 v9, v0, v3, op_sel:[0, 0, 1]

	;;#ASMEND
	;; [unrolled: 17-line block ×4, first 2 shown]
	buffer_store_dword v6, off, s[0:3], s33 offset:852
	buffer_store_dword v8, off, s[0:3], s33 offset:856
	buffer_store_dword v5, off, s[0:3], s33 offset:860
	buffer_store_dword v9, off, s[0:3], s33 offset:864
	buffer_store_dword v4, off, s[0:3], s33 offset:868
	buffer_store_dword v10, off, s[0:3], s33 offset:872
	buffer_store_dword v3, off, s[0:3], s33 offset:876
	buffer_store_dword v11, off, s[0:3], s33 offset:880
	; sched_barrier mask(0x00000000)
	v_lshrrev_b32_e64 v0, 6, s33
	v_add_u32_e32 v0, 8, v0
	v_mov_b32_e32 v1, s17
	buffer_store_dword v32, off, s[0:3], s33 offset:12
	buffer_store_dword v33, off, s[0:3], s33 offset:8
	;; [unrolled: 1-line block ×8, first 2 shown]
	s_getpc_b64 s[4:5]
	s_add_u32 s4, s4, _ZNK2ck6detail7applierIiJLi0ELi1ELi2ELi3ELi4ELi5ELi6ELi7EEEclIZNKS_11static_fordINS_8SequenceIJLi1ELi8EEEENS5_IJLi0ELi1EEEEEclIZZNKS_52BlockwiseGemmXdlops_pipeline_bpreshuffle_bdequant_v3ILNS_26BlockGemmPipelineSchedulerE0ELi256ENS_9f8_fnuz_tENS_7pk_i4_tESC_fNS_16TensorDescriptorINS_5TupleIJNS_5EmbedINSF_IJNS_17integral_constantIiLi8EEENSH_IiLi256EEENSH_IiLi16EEEEEENSF_IJSK_NSH_IiLi128EEENSH_IiLi1EEEEEELb0EEENS_3XorINSF_IJSJ_SI_EEELb1EEENS_11PassThroughISK_EENS_7UnMergeINSF_IJSI_SN_EEELb0EEENST_ISJ_EESU_NST_ISI_EENS_21Merge_v3_division_modINSF_IJSJ_SN_EEEEESU_EEENSF_IJNS5_IJLi0EEEENS5_IJLi2ELi1EEEENS5_IJLi3EEEENS5_IJLi5EEEENS5_IJLi4EEEENS5_IJLi6EEEENS5_IJLi7EEEENS5_IJLi9ELi8EEEENS5_IJLi10EEEEEEENSF_IJNS5_IJLi1ELi2ELi3EEEENS5_IJLi4ELi5EEEES19_NS5_IJLi7ELi8EEEENS5_IJLi9EEEES1C_NS5_IJLi11EEEENS5_IJLi12EEEENS5_IJLi13EEEEEEENS5_IJLi11ELi12ELi13EEEENSH_IlLl32768EEEEENSE_INSF_IJNSV_INSF_IJSI_SN_SN_NSH_IiLi32EEEEEELb0EEEEEENSF_IJS14_EEENSF_IJNS5_IJLi1ELi2ELi3ELi4EEEEEEES1U_NSH_IlLl256EEEEENSE_INSF_IJSP_SS_SU_SX_SY_SU_SZ_S12_SU_NS10_INSF_IJSI_SK_EEEEENSV_INSF_IJSI_NSH_IiLi2EEESK_EEELb0EEEEEENSF_IJS14_S15_S16_S17_S18_S19_S1A_S1B_S1C_NS5_IJLi11ELi13EEEES1J_EEENSF_IJS1E_S1F_S19_S1G_S1H_S1C_S1I_S1J_S1K_NS5_IJLi14EEEENS5_IJLi15ELi16ELi17EEEEEEENS5_IJLi15ELi16ELi17ELi14EEEES1N_EENSE_INSF_IJS1R_NS10_ISW_EES22_EEENSF_IJS14_NS5_IJLi1ELi3EEEENS5_IJLi2EEEEEEENSF_IJS1U_S17_NS5_IJLi6ELi7ELi8EEEEEEENS5_IJLi6ELi7ELi8ELi5EEEES1W_EELi16ELi32ELi256ELi256ELi128ELi16ELi16ELi8ELi8ELi32ELb0EE3RunILb1ELNS_10TailNumberE0ENSE_INSF_IJNSG_INSF_IJiiEEENSF_IJiSN_EEELb0EEENSV_IS2N_Lb0EEENST_IiEEEEENSF_IJS14_S2E_NS5_IJLi1EEEEEEENSF_IJNS5_IJLi1ELi2EEEENS5_IJLi3ELi4EEEES17_EEENS5_IJLi3ELi5ELi4EEEElEES1O_NS_35ThreadGroupTensorSliceTransfer_v4r1INS_15ThisThreadBlockILi256EEENS_16tensor_operation12element_wise11PassThroughES35_LNS_25InMemoryDataOperationEnumE0ENS5_IJLi8ELi256ELi16EEEENS5_IJLi8ELi32ELi1EEEENS5_IJLi1ELi0ELi2EEEESC_SC_RKS2Z_KS1O_S39_NS5_IJLi0ELi1ELi2EEEELi2ELi2ELi16ELi16ELi1ELi1ELb0ELb1ELi2EiEENS_13DynamicBufferILNS_16AddressSpaceEnumE1EKSC_lLb1ELNS_22AmdBufferCoherenceEnumE0EiEENSF_IJNS3F_ILS3G_2ESC_S1N_Lb1ELS3I_0EiEES3K_EEENSF_IJiiiEEENSE_INSF_IJNSG_INSF_IJiiiiEEENSF_IJiiiSN_EEELb0EEEEEES1T_S1V_S1U_lEENS_32ThreadwiseTensorSliceTransfer_v2ISD_SD_RKS3R_KS1X_NS5_IJLi8ELi1ELi1ELi32EEEENS5_IJLi1ELi2ELi0ELi3EEEELi3ELi32ELi0ELb1ELb0ELb0EEENS3F_ILS3G_1EKSD_lLb1ELS3I_0EiEENSF_IJNS_12StaticBufferILS3G_4ESD_Li256ELb1EEES42_EEES3N_NS_25StaticBufferTupleOfVectorILS3G_4EfLi64ELi4ELb1ELb0EEEEEvRKT1_RKT2_RT3_RKT4_RT5_RKT6_RKT7_RT8_RKT9_RT10_RKT11_RT12_iENKUlT_E0_clINSH_IiLi5EEEEEDaS51_EUlS51_E_EEvS51_EUlS51_E_EEvS51_@rel32@lo+4
	s_addc_u32 s5, s5, _ZNK2ck6detail7applierIiJLi0ELi1ELi2ELi3ELi4ELi5ELi6ELi7EEEclIZNKS_11static_fordINS_8SequenceIJLi1ELi8EEEENS5_IJLi0ELi1EEEEEclIZZNKS_52BlockwiseGemmXdlops_pipeline_bpreshuffle_bdequant_v3ILNS_26BlockGemmPipelineSchedulerE0ELi256ENS_9f8_fnuz_tENS_7pk_i4_tESC_fNS_16TensorDescriptorINS_5TupleIJNS_5EmbedINSF_IJNS_17integral_constantIiLi8EEENSH_IiLi256EEENSH_IiLi16EEEEEENSF_IJSK_NSH_IiLi128EEENSH_IiLi1EEEEEELb0EEENS_3XorINSF_IJSJ_SI_EEELb1EEENS_11PassThroughISK_EENS_7UnMergeINSF_IJSI_SN_EEELb0EEENST_ISJ_EESU_NST_ISI_EENS_21Merge_v3_division_modINSF_IJSJ_SN_EEEEESU_EEENSF_IJNS5_IJLi0EEEENS5_IJLi2ELi1EEEENS5_IJLi3EEEENS5_IJLi5EEEENS5_IJLi4EEEENS5_IJLi6EEEENS5_IJLi7EEEENS5_IJLi9ELi8EEEENS5_IJLi10EEEEEEENSF_IJNS5_IJLi1ELi2ELi3EEEENS5_IJLi4ELi5EEEES19_NS5_IJLi7ELi8EEEENS5_IJLi9EEEES1C_NS5_IJLi11EEEENS5_IJLi12EEEENS5_IJLi13EEEEEEENS5_IJLi11ELi12ELi13EEEENSH_IlLl32768EEEEENSE_INSF_IJNSV_INSF_IJSI_SN_SN_NSH_IiLi32EEEEEELb0EEEEEENSF_IJS14_EEENSF_IJNS5_IJLi1ELi2ELi3ELi4EEEEEEES1U_NSH_IlLl256EEEEENSE_INSF_IJSP_SS_SU_SX_SY_SU_SZ_S12_SU_NS10_INSF_IJSI_SK_EEEEENSV_INSF_IJSI_NSH_IiLi2EEESK_EEELb0EEEEEENSF_IJS14_S15_S16_S17_S18_S19_S1A_S1B_S1C_NS5_IJLi11ELi13EEEES1J_EEENSF_IJS1E_S1F_S19_S1G_S1H_S1C_S1I_S1J_S1K_NS5_IJLi14EEEENS5_IJLi15ELi16ELi17EEEEEEENS5_IJLi15ELi16ELi17ELi14EEEES1N_EENSE_INSF_IJS1R_NS10_ISW_EES22_EEENSF_IJS14_NS5_IJLi1ELi3EEEENS5_IJLi2EEEEEEENSF_IJS1U_S17_NS5_IJLi6ELi7ELi8EEEEEEENS5_IJLi6ELi7ELi8ELi5EEEES1W_EELi16ELi32ELi256ELi256ELi128ELi16ELi16ELi8ELi8ELi32ELb0EE3RunILb1ELNS_10TailNumberE0ENSE_INSF_IJNSG_INSF_IJiiEEENSF_IJiSN_EEELb0EEENSV_IS2N_Lb0EEENST_IiEEEEENSF_IJS14_S2E_NS5_IJLi1EEEEEEENSF_IJNS5_IJLi1ELi2EEEENS5_IJLi3ELi4EEEES17_EEENS5_IJLi3ELi5ELi4EEEElEES1O_NS_35ThreadGroupTensorSliceTransfer_v4r1INS_15ThisThreadBlockILi256EEENS_16tensor_operation12element_wise11PassThroughES35_LNS_25InMemoryDataOperationEnumE0ENS5_IJLi8ELi256ELi16EEEENS5_IJLi8ELi32ELi1EEEENS5_IJLi1ELi0ELi2EEEESC_SC_RKS2Z_KS1O_S39_NS5_IJLi0ELi1ELi2EEEELi2ELi2ELi16ELi16ELi1ELi1ELb0ELb1ELi2EiEENS_13DynamicBufferILNS_16AddressSpaceEnumE1EKSC_lLb1ELNS_22AmdBufferCoherenceEnumE0EiEENSF_IJNS3F_ILS3G_2ESC_S1N_Lb1ELS3I_0EiEES3K_EEENSF_IJiiiEEENSE_INSF_IJNSG_INSF_IJiiiiEEENSF_IJiiiSN_EEELb0EEEEEES1T_S1V_S1U_lEENS_32ThreadwiseTensorSliceTransfer_v2ISD_SD_RKS3R_KS1X_NS5_IJLi8ELi1ELi1ELi32EEEENS5_IJLi1ELi2ELi0ELi3EEEELi3ELi32ELi0ELb1ELb0ELb0EEENS3F_ILS3G_1EKSD_lLb1ELS3I_0EiEENSF_IJNS_12StaticBufferILS3G_4ESD_Li256ELb1EEES42_EEES3N_NS_25StaticBufferTupleOfVectorILS3G_4EfLi64ELi4ELb1ELb0EEEEEvRKT1_RKT2_RT3_RKT4_RT5_RKT6_RKT7_RT8_RKT9_RT10_RKT11_RT12_iENKUlT_E0_clINSH_IiLi5EEEEEDaS51_EUlS51_E_EEvS51_EUlS51_E_EEvS51_@rel32@hi+12
	s_swappc_b64 s[30:31], s[4:5]
	flat_load_dwordx2 v[12:13], v[30:31] offset:1148
	flat_load_dwordx2 v[14:15], v[30:31] offset:1164
	flat_load_dwordx4 v[0:3], v[30:31] offset:1176
	flat_load_dwordx3 v[8:10], v[30:31] offset:1132
	flat_load_dwordx2 v[16:17], v[28:29]
	s_movk_i32 s4, 0xc0
	; sched_group_barrier mask(0x00000008) size(16) SyncID(0)
	; sched_group_barrier mask(0x00000100) size(1) SyncID(0)
	;; [unrolled: 1-line block ×4, first 2 shown]
	s_waitcnt vmcnt(0) lgkmcnt(0)
	v_sub_u32_e32 v4, v12, v15
	v_add3_u32 v1, v4, v1, s4
	v_ashrrev_i32_e32 v4, 31, v1
	v_lshrrev_b32_e32 v4, 29, v4
	v_add_u32_e32 v4, v1, v4
	v_and_b32_e32 v4, -8, v4
	v_sub_u32_e32 v5, v13, v14
	v_sub_u32_e32 v6, v1, v10
	;; [unrolled: 1-line block ×3, first 2 shown]
	v_xor_b32_e32 v4, v1, v5
	v_sub_u32_e32 v4, v4, v9
	v_lshlrev_b32_e32 v10, 7, v6
	v_lshlrev_b32_e32 v4, 4, v4
	v_add3_u32 v4, v10, v8, v4
	v_ashrrev_i32_e32 v5, 31, v4
	v_add_co_u32_e32 v4, vcc, v16, v4
	v_addc_co_u32_e32 v5, vcc, v17, v5, vcc
	flat_load_dwordx4 v[4:7], v[4:5]
	v_add_u32_e32 v3, 16, v3
	v_sub_u32_e32 v2, v8, v2
	v_ashrrev_i32_e32 v8, 31, v3
	v_lshrrev_b32_e32 v8, 28, v8
	v_add_u32_e32 v0, v14, v0
	v_add_u32_e32 v8, v3, v8
	v_sub_u32_e32 v0, v13, v0
	v_lshrrev_b32_e32 v11, 4, v8
	v_add_u32_e32 v0, v0, v11
	v_xor_b32_e32 v0, v0, v1
	v_and_b32_e32 v8, -16, v8
	v_sub_u32_e32 v0, v0, v9
	v_add_u32_e32 v2, v2, v10
	v_sub_u32_e32 v3, v3, v8
	v_lshlrev_b32_e32 v0, 4, v0
	v_add3_u32 v0, v2, v3, v0
	v_ashrrev_i32_e32 v1, 31, v0
	v_add_co_u32_e32 v0, vcc, v16, v0
	v_addc_co_u32_e32 v1, vcc, v17, v1, vcc
	s_waitcnt vmcnt(0) lgkmcnt(0)
	buffer_store_dword v4, off, s[0:3], s33 offset:52
	buffer_store_dword v5, off, s[0:3], s33 offset:56
	;; [unrolled: 1-line block ×4, first 2 shown]
	flat_load_dwordx4 v[0:3], v[0:1]
	s_nop 0
	buffer_load_dword v4, off, s[0:3], s33 offset:116
	buffer_load_dword v5, off, s[0:3], s33 offset:120
	buffer_load_dword v6, off, s[0:3], s33 offset:124
	buffer_load_dword v7, off, s[0:3], s33 offset:128
	s_waitcnt vmcnt(0) lgkmcnt(0)
	buffer_store_dword v0, off, s[0:3], s33 offset:68
	buffer_store_dword v1, off, s[0:3], s33 offset:72
	;; [unrolled: 1-line block ×4, first 2 shown]
	;;#ASMSTART
	v_cvt_off_f32_i4 v0, v4
v_cvt_off_f32_i4 v1, v4, src0_sel:BYTE_2
v_cvt_pk_fp8_f32 v3, v0, v1
v_cvt_off_f32_i4 v0, v4, src0_sel:BYTE_1
v_cvt_off_f32_i4 v1, v4, src0_sel:BYTE_3
v_cvt_pk_fp8_f32 v8, v0, v1
v_lshrrev_b32 v2, 4, v4
v_cvt_off_f32_i4 v0, v2
v_cvt_off_f32_i4 v1, v2, src0_sel:BYTE_2
v_cvt_pk_fp8_f32 v3, v0, v1, op_sel:[0, 0, 1]
v_cvt_off_f32_i4 v0, v2, src0_sel:BYTE_1
v_cvt_off_f32_i4 v1, v2, src0_sel:BYTE_3
v_cvt_pk_fp8_f32 v8, v0, v1, op_sel:[0, 0, 1]

	;;#ASMEND
	;;#ASMSTART
	v_cvt_off_f32_i4 v0, v5
v_cvt_off_f32_i4 v1, v5, src0_sel:BYTE_2
v_cvt_pk_fp8_f32 v4, v0, v1
v_cvt_off_f32_i4 v0, v5, src0_sel:BYTE_1
v_cvt_off_f32_i4 v1, v5, src0_sel:BYTE_3
v_cvt_pk_fp8_f32 v9, v0, v1
v_lshrrev_b32 v2, 4, v5
v_cvt_off_f32_i4 v0, v2
v_cvt_off_f32_i4 v1, v2, src0_sel:BYTE_2
v_cvt_pk_fp8_f32 v4, v0, v1, op_sel:[0, 0, 1]
v_cvt_off_f32_i4 v0, v2, src0_sel:BYTE_1
v_cvt_off_f32_i4 v1, v2, src0_sel:BYTE_3
v_cvt_pk_fp8_f32 v9, v0, v1, op_sel:[0, 0, 1]

	;;#ASMEND
	;; [unrolled: 16-line block ×4, first 2 shown]
	buffer_load_dword v0, off, s[0:3], s33 offset:148
	buffer_load_dword v1, off, s[0:3], s33 offset:152
	;; [unrolled: 1-line block ×4, first 2 shown]
	s_nop 0
	buffer_store_dword v3, off, s[0:3], s33 offset:628
	buffer_store_dword v8, off, s[0:3], s33 offset:632
	;; [unrolled: 1-line block ×8, first 2 shown]
	s_waitcnt vmcnt(11)
	;;#ASMSTART
	v_cvt_off_f32_i4 v3, v0
v_cvt_off_f32_i4 v4, v0, src0_sel:BYTE_2
v_cvt_pk_fp8_f32 v6, v3, v4
v_cvt_off_f32_i4 v3, v0, src0_sel:BYTE_1
v_cvt_off_f32_i4 v4, v0, src0_sel:BYTE_3
v_cvt_pk_fp8_f32 v8, v3, v4
v_lshrrev_b32 v5, 4, v0
v_cvt_off_f32_i4 v3, v5
v_cvt_off_f32_i4 v4, v5, src0_sel:BYTE_2
v_cvt_pk_fp8_f32 v6, v3, v4, op_sel:[0, 0, 1]
v_cvt_off_f32_i4 v3, v5, src0_sel:BYTE_1
v_cvt_off_f32_i4 v4, v5, src0_sel:BYTE_3
v_cvt_pk_fp8_f32 v8, v3, v4, op_sel:[0, 0, 1]

	;;#ASMEND
	s_waitcnt vmcnt(10)
	;;#ASMSTART
	v_cvt_off_f32_i4 v0, v1
v_cvt_off_f32_i4 v3, v1, src0_sel:BYTE_2
v_cvt_pk_fp8_f32 v5, v0, v3
v_cvt_off_f32_i4 v0, v1, src0_sel:BYTE_1
v_cvt_off_f32_i4 v3, v1, src0_sel:BYTE_3
v_cvt_pk_fp8_f32 v9, v0, v3
v_lshrrev_b32 v4, 4, v1
v_cvt_off_f32_i4 v0, v4
v_cvt_off_f32_i4 v3, v4, src0_sel:BYTE_2
v_cvt_pk_fp8_f32 v5, v0, v3, op_sel:[0, 0, 1]
v_cvt_off_f32_i4 v0, v4, src0_sel:BYTE_1
v_cvt_off_f32_i4 v3, v4, src0_sel:BYTE_3
v_cvt_pk_fp8_f32 v9, v0, v3, op_sel:[0, 0, 1]

	;;#ASMEND
	;; [unrolled: 17-line block ×4, first 2 shown]
	buffer_load_dword v0, off, s[0:3], s33 offset:180
	buffer_load_dword v1, off, s[0:3], s33 offset:184
	;; [unrolled: 1-line block ×4, first 2 shown]
	s_nop 0
	buffer_store_dword v6, off, s[0:3], s33 offset:660
	buffer_store_dword v8, off, s[0:3], s33 offset:664
	;; [unrolled: 1-line block ×8, first 2 shown]
	s_waitcnt vmcnt(11)
	;;#ASMSTART
	v_cvt_off_f32_i4 v3, v0
v_cvt_off_f32_i4 v4, v0, src0_sel:BYTE_2
v_cvt_pk_fp8_f32 v6, v3, v4
v_cvt_off_f32_i4 v3, v0, src0_sel:BYTE_1
v_cvt_off_f32_i4 v4, v0, src0_sel:BYTE_3
v_cvt_pk_fp8_f32 v8, v3, v4
v_lshrrev_b32 v5, 4, v0
v_cvt_off_f32_i4 v3, v5
v_cvt_off_f32_i4 v4, v5, src0_sel:BYTE_2
v_cvt_pk_fp8_f32 v6, v3, v4, op_sel:[0, 0, 1]
v_cvt_off_f32_i4 v3, v5, src0_sel:BYTE_1
v_cvt_off_f32_i4 v4, v5, src0_sel:BYTE_3
v_cvt_pk_fp8_f32 v8, v3, v4, op_sel:[0, 0, 1]

	;;#ASMEND
	s_waitcnt vmcnt(10)
	;;#ASMSTART
	v_cvt_off_f32_i4 v0, v1
v_cvt_off_f32_i4 v3, v1, src0_sel:BYTE_2
v_cvt_pk_fp8_f32 v5, v0, v3
v_cvt_off_f32_i4 v0, v1, src0_sel:BYTE_1
v_cvt_off_f32_i4 v3, v1, src0_sel:BYTE_3
v_cvt_pk_fp8_f32 v9, v0, v3
v_lshrrev_b32 v4, 4, v1
v_cvt_off_f32_i4 v0, v4
v_cvt_off_f32_i4 v3, v4, src0_sel:BYTE_2
v_cvt_pk_fp8_f32 v5, v0, v3, op_sel:[0, 0, 1]
v_cvt_off_f32_i4 v0, v4, src0_sel:BYTE_1
v_cvt_off_f32_i4 v3, v4, src0_sel:BYTE_3
v_cvt_pk_fp8_f32 v9, v0, v3, op_sel:[0, 0, 1]

	;;#ASMEND
	;; [unrolled: 17-line block ×4, first 2 shown]
	buffer_load_dword v0, off, s[0:3], s33 offset:212
	buffer_load_dword v1, off, s[0:3], s33 offset:216
	;; [unrolled: 1-line block ×4, first 2 shown]
	s_nop 0
	buffer_store_dword v6, off, s[0:3], s33 offset:692
	buffer_store_dword v8, off, s[0:3], s33 offset:696
	;; [unrolled: 1-line block ×8, first 2 shown]
	s_waitcnt vmcnt(11)
	;;#ASMSTART
	v_cvt_off_f32_i4 v3, v0
v_cvt_off_f32_i4 v4, v0, src0_sel:BYTE_2
v_cvt_pk_fp8_f32 v6, v3, v4
v_cvt_off_f32_i4 v3, v0, src0_sel:BYTE_1
v_cvt_off_f32_i4 v4, v0, src0_sel:BYTE_3
v_cvt_pk_fp8_f32 v8, v3, v4
v_lshrrev_b32 v5, 4, v0
v_cvt_off_f32_i4 v3, v5
v_cvt_off_f32_i4 v4, v5, src0_sel:BYTE_2
v_cvt_pk_fp8_f32 v6, v3, v4, op_sel:[0, 0, 1]
v_cvt_off_f32_i4 v3, v5, src0_sel:BYTE_1
v_cvt_off_f32_i4 v4, v5, src0_sel:BYTE_3
v_cvt_pk_fp8_f32 v8, v3, v4, op_sel:[0, 0, 1]

	;;#ASMEND
	s_waitcnt vmcnt(10)
	;;#ASMSTART
	v_cvt_off_f32_i4 v0, v1
v_cvt_off_f32_i4 v3, v1, src0_sel:BYTE_2
v_cvt_pk_fp8_f32 v5, v0, v3
v_cvt_off_f32_i4 v0, v1, src0_sel:BYTE_1
v_cvt_off_f32_i4 v3, v1, src0_sel:BYTE_3
v_cvt_pk_fp8_f32 v9, v0, v3
v_lshrrev_b32 v4, 4, v1
v_cvt_off_f32_i4 v0, v4
v_cvt_off_f32_i4 v3, v4, src0_sel:BYTE_2
v_cvt_pk_fp8_f32 v5, v0, v3, op_sel:[0, 0, 1]
v_cvt_off_f32_i4 v0, v4, src0_sel:BYTE_1
v_cvt_off_f32_i4 v3, v4, src0_sel:BYTE_3
v_cvt_pk_fp8_f32 v9, v0, v3, op_sel:[0, 0, 1]

	;;#ASMEND
	;; [unrolled: 17-line block ×4, first 2 shown]
	buffer_load_dword v0, off, s[0:3], s33 offset:244
	buffer_load_dword v1, off, s[0:3], s33 offset:248
	;; [unrolled: 1-line block ×4, first 2 shown]
	s_nop 0
	buffer_store_dword v6, off, s[0:3], s33 offset:724
	buffer_store_dword v8, off, s[0:3], s33 offset:728
	;; [unrolled: 1-line block ×8, first 2 shown]
	s_waitcnt vmcnt(11)
	;;#ASMSTART
	v_cvt_off_f32_i4 v3, v0
v_cvt_off_f32_i4 v4, v0, src0_sel:BYTE_2
v_cvt_pk_fp8_f32 v6, v3, v4
v_cvt_off_f32_i4 v3, v0, src0_sel:BYTE_1
v_cvt_off_f32_i4 v4, v0, src0_sel:BYTE_3
v_cvt_pk_fp8_f32 v8, v3, v4
v_lshrrev_b32 v5, 4, v0
v_cvt_off_f32_i4 v3, v5
v_cvt_off_f32_i4 v4, v5, src0_sel:BYTE_2
v_cvt_pk_fp8_f32 v6, v3, v4, op_sel:[0, 0, 1]
v_cvt_off_f32_i4 v3, v5, src0_sel:BYTE_1
v_cvt_off_f32_i4 v4, v5, src0_sel:BYTE_3
v_cvt_pk_fp8_f32 v8, v3, v4, op_sel:[0, 0, 1]

	;;#ASMEND
	s_waitcnt vmcnt(10)
	;;#ASMSTART
	v_cvt_off_f32_i4 v0, v1
v_cvt_off_f32_i4 v3, v1, src0_sel:BYTE_2
v_cvt_pk_fp8_f32 v5, v0, v3
v_cvt_off_f32_i4 v0, v1, src0_sel:BYTE_1
v_cvt_off_f32_i4 v3, v1, src0_sel:BYTE_3
v_cvt_pk_fp8_f32 v9, v0, v3
v_lshrrev_b32 v4, 4, v1
v_cvt_off_f32_i4 v0, v4
v_cvt_off_f32_i4 v3, v4, src0_sel:BYTE_2
v_cvt_pk_fp8_f32 v5, v0, v3, op_sel:[0, 0, 1]
v_cvt_off_f32_i4 v0, v4, src0_sel:BYTE_1
v_cvt_off_f32_i4 v3, v4, src0_sel:BYTE_3
v_cvt_pk_fp8_f32 v9, v0, v3, op_sel:[0, 0, 1]

	;;#ASMEND
	;; [unrolled: 17-line block ×4, first 2 shown]
	buffer_load_dword v0, off, s[0:3], s33 offset:276
	buffer_load_dword v1, off, s[0:3], s33 offset:280
	;; [unrolled: 1-line block ×4, first 2 shown]
	s_nop 0
	buffer_store_dword v6, off, s[0:3], s33 offset:756
	buffer_store_dword v8, off, s[0:3], s33 offset:760
	;; [unrolled: 1-line block ×8, first 2 shown]
	s_waitcnt vmcnt(11)
	;;#ASMSTART
	v_cvt_off_f32_i4 v3, v0
v_cvt_off_f32_i4 v4, v0, src0_sel:BYTE_2
v_cvt_pk_fp8_f32 v6, v3, v4
v_cvt_off_f32_i4 v3, v0, src0_sel:BYTE_1
v_cvt_off_f32_i4 v4, v0, src0_sel:BYTE_3
v_cvt_pk_fp8_f32 v8, v3, v4
v_lshrrev_b32 v5, 4, v0
v_cvt_off_f32_i4 v3, v5
v_cvt_off_f32_i4 v4, v5, src0_sel:BYTE_2
v_cvt_pk_fp8_f32 v6, v3, v4, op_sel:[0, 0, 1]
v_cvt_off_f32_i4 v3, v5, src0_sel:BYTE_1
v_cvt_off_f32_i4 v4, v5, src0_sel:BYTE_3
v_cvt_pk_fp8_f32 v8, v3, v4, op_sel:[0, 0, 1]

	;;#ASMEND
	s_waitcnt vmcnt(10)
	;;#ASMSTART
	v_cvt_off_f32_i4 v0, v1
v_cvt_off_f32_i4 v3, v1, src0_sel:BYTE_2
v_cvt_pk_fp8_f32 v5, v0, v3
v_cvt_off_f32_i4 v0, v1, src0_sel:BYTE_1
v_cvt_off_f32_i4 v3, v1, src0_sel:BYTE_3
v_cvt_pk_fp8_f32 v9, v0, v3
v_lshrrev_b32 v4, 4, v1
v_cvt_off_f32_i4 v0, v4
v_cvt_off_f32_i4 v3, v4, src0_sel:BYTE_2
v_cvt_pk_fp8_f32 v5, v0, v3, op_sel:[0, 0, 1]
v_cvt_off_f32_i4 v0, v4, src0_sel:BYTE_1
v_cvt_off_f32_i4 v3, v4, src0_sel:BYTE_3
v_cvt_pk_fp8_f32 v9, v0, v3, op_sel:[0, 0, 1]

	;;#ASMEND
	;; [unrolled: 17-line block ×4, first 2 shown]
	buffer_load_dword v0, off, s[0:3], s33 offset:308
	buffer_load_dword v1, off, s[0:3], s33 offset:312
	;; [unrolled: 1-line block ×4, first 2 shown]
	s_nop 0
	buffer_store_dword v6, off, s[0:3], s33 offset:788
	buffer_store_dword v8, off, s[0:3], s33 offset:792
	;; [unrolled: 1-line block ×8, first 2 shown]
	s_waitcnt vmcnt(11)
	;;#ASMSTART
	v_cvt_off_f32_i4 v3, v0
v_cvt_off_f32_i4 v4, v0, src0_sel:BYTE_2
v_cvt_pk_fp8_f32 v6, v3, v4
v_cvt_off_f32_i4 v3, v0, src0_sel:BYTE_1
v_cvt_off_f32_i4 v4, v0, src0_sel:BYTE_3
v_cvt_pk_fp8_f32 v8, v3, v4
v_lshrrev_b32 v5, 4, v0
v_cvt_off_f32_i4 v3, v5
v_cvt_off_f32_i4 v4, v5, src0_sel:BYTE_2
v_cvt_pk_fp8_f32 v6, v3, v4, op_sel:[0, 0, 1]
v_cvt_off_f32_i4 v3, v5, src0_sel:BYTE_1
v_cvt_off_f32_i4 v4, v5, src0_sel:BYTE_3
v_cvt_pk_fp8_f32 v8, v3, v4, op_sel:[0, 0, 1]

	;;#ASMEND
	s_waitcnt vmcnt(10)
	;;#ASMSTART
	v_cvt_off_f32_i4 v0, v1
v_cvt_off_f32_i4 v3, v1, src0_sel:BYTE_2
v_cvt_pk_fp8_f32 v5, v0, v3
v_cvt_off_f32_i4 v0, v1, src0_sel:BYTE_1
v_cvt_off_f32_i4 v3, v1, src0_sel:BYTE_3
v_cvt_pk_fp8_f32 v9, v0, v3
v_lshrrev_b32 v4, 4, v1
v_cvt_off_f32_i4 v0, v4
v_cvt_off_f32_i4 v3, v4, src0_sel:BYTE_2
v_cvt_pk_fp8_f32 v5, v0, v3, op_sel:[0, 0, 1]
v_cvt_off_f32_i4 v0, v4, src0_sel:BYTE_1
v_cvt_off_f32_i4 v3, v4, src0_sel:BYTE_3
v_cvt_pk_fp8_f32 v9, v0, v3, op_sel:[0, 0, 1]

	;;#ASMEND
	;; [unrolled: 17-line block ×4, first 2 shown]
	buffer_load_dword v0, off, s[0:3], s33 offset:340
	buffer_load_dword v1, off, s[0:3], s33 offset:344
	;; [unrolled: 1-line block ×4, first 2 shown]
	s_nop 0
	buffer_store_dword v6, off, s[0:3], s33 offset:820
	buffer_store_dword v8, off, s[0:3], s33 offset:824
	;; [unrolled: 1-line block ×8, first 2 shown]
	s_waitcnt vmcnt(11)
	;;#ASMSTART
	v_cvt_off_f32_i4 v3, v0
v_cvt_off_f32_i4 v4, v0, src0_sel:BYTE_2
v_cvt_pk_fp8_f32 v6, v3, v4
v_cvt_off_f32_i4 v3, v0, src0_sel:BYTE_1
v_cvt_off_f32_i4 v4, v0, src0_sel:BYTE_3
v_cvt_pk_fp8_f32 v8, v3, v4
v_lshrrev_b32 v5, 4, v0
v_cvt_off_f32_i4 v3, v5
v_cvt_off_f32_i4 v4, v5, src0_sel:BYTE_2
v_cvt_pk_fp8_f32 v6, v3, v4, op_sel:[0, 0, 1]
v_cvt_off_f32_i4 v3, v5, src0_sel:BYTE_1
v_cvt_off_f32_i4 v4, v5, src0_sel:BYTE_3
v_cvt_pk_fp8_f32 v8, v3, v4, op_sel:[0, 0, 1]

	;;#ASMEND
	s_waitcnt vmcnt(10)
	;;#ASMSTART
	v_cvt_off_f32_i4 v0, v1
v_cvt_off_f32_i4 v3, v1, src0_sel:BYTE_2
v_cvt_pk_fp8_f32 v5, v0, v3
v_cvt_off_f32_i4 v0, v1, src0_sel:BYTE_1
v_cvt_off_f32_i4 v3, v1, src0_sel:BYTE_3
v_cvt_pk_fp8_f32 v9, v0, v3
v_lshrrev_b32 v4, 4, v1
v_cvt_off_f32_i4 v0, v4
v_cvt_off_f32_i4 v3, v4, src0_sel:BYTE_2
v_cvt_pk_fp8_f32 v5, v0, v3, op_sel:[0, 0, 1]
v_cvt_off_f32_i4 v0, v4, src0_sel:BYTE_1
v_cvt_off_f32_i4 v3, v4, src0_sel:BYTE_3
v_cvt_pk_fp8_f32 v9, v0, v3, op_sel:[0, 0, 1]

	;;#ASMEND
	;; [unrolled: 17-line block ×4, first 2 shown]
	buffer_store_dword v6, off, s[0:3], s33 offset:852
	buffer_store_dword v8, off, s[0:3], s33 offset:856
	;; [unrolled: 1-line block ×8, first 2 shown]
	; sched_barrier mask(0x00000000)
	v_lshrrev_b32_e64 v0, 6, s33
	v_add_u32_e32 v0, 8, v0
	v_mov_b32_e32 v1, s17
	buffer_store_dword v32, off, s[0:3], s33 offset:12
	buffer_store_dword v33, off, s[0:3], s33 offset:8
	;; [unrolled: 1-line block ×8, first 2 shown]
	s_getpc_b64 s[4:5]
	s_add_u32 s4, s4, _ZNK2ck6detail7applierIiJLi0ELi1ELi2ELi3ELi4ELi5ELi6ELi7EEEclIZNKS_11static_fordINS_8SequenceIJLi1ELi8EEEENS5_IJLi0ELi1EEEEEclIZZNKS_52BlockwiseGemmXdlops_pipeline_bpreshuffle_bdequant_v3ILNS_26BlockGemmPipelineSchedulerE0ELi256ENS_9f8_fnuz_tENS_7pk_i4_tESC_fNS_16TensorDescriptorINS_5TupleIJNS_5EmbedINSF_IJNS_17integral_constantIiLi8EEENSH_IiLi256EEENSH_IiLi16EEEEEENSF_IJSK_NSH_IiLi128EEENSH_IiLi1EEEEEELb0EEENS_3XorINSF_IJSJ_SI_EEELb1EEENS_11PassThroughISK_EENS_7UnMergeINSF_IJSI_SN_EEELb0EEENST_ISJ_EESU_NST_ISI_EENS_21Merge_v3_division_modINSF_IJSJ_SN_EEEEESU_EEENSF_IJNS5_IJLi0EEEENS5_IJLi2ELi1EEEENS5_IJLi3EEEENS5_IJLi5EEEENS5_IJLi4EEEENS5_IJLi6EEEENS5_IJLi7EEEENS5_IJLi9ELi8EEEENS5_IJLi10EEEEEEENSF_IJNS5_IJLi1ELi2ELi3EEEENS5_IJLi4ELi5EEEES19_NS5_IJLi7ELi8EEEENS5_IJLi9EEEES1C_NS5_IJLi11EEEENS5_IJLi12EEEENS5_IJLi13EEEEEEENS5_IJLi11ELi12ELi13EEEENSH_IlLl32768EEEEENSE_INSF_IJNSV_INSF_IJSI_SN_SN_NSH_IiLi32EEEEEELb0EEEEEENSF_IJS14_EEENSF_IJNS5_IJLi1ELi2ELi3ELi4EEEEEEES1U_NSH_IlLl256EEEEENSE_INSF_IJSP_SS_SU_SX_SY_SU_SZ_S12_SU_NS10_INSF_IJSI_SK_EEEEENSV_INSF_IJSI_NSH_IiLi2EEESK_EEELb0EEEEEENSF_IJS14_S15_S16_S17_S18_S19_S1A_S1B_S1C_NS5_IJLi11ELi13EEEES1J_EEENSF_IJS1E_S1F_S19_S1G_S1H_S1C_S1I_S1J_S1K_NS5_IJLi14EEEENS5_IJLi15ELi16ELi17EEEEEEENS5_IJLi15ELi16ELi17ELi14EEEES1N_EENSE_INSF_IJS1R_NS10_ISW_EES22_EEENSF_IJS14_NS5_IJLi1ELi3EEEENS5_IJLi2EEEEEEENSF_IJS1U_S17_NS5_IJLi6ELi7ELi8EEEEEEENS5_IJLi6ELi7ELi8ELi5EEEES1W_EELi16ELi32ELi256ELi256ELi128ELi16ELi16ELi8ELi8ELi32ELb0EE3RunILb1ELNS_10TailNumberE0ENSE_INSF_IJNSG_INSF_IJiiEEENSF_IJiSN_EEELb0EEENSV_IS2N_Lb0EEENST_IiEEEEENSF_IJS14_S2E_NS5_IJLi1EEEEEEENSF_IJNS5_IJLi1ELi2EEEENS5_IJLi3ELi4EEEES17_EEENS5_IJLi3ELi5ELi4EEEElEES1O_NS_35ThreadGroupTensorSliceTransfer_v4r1INS_15ThisThreadBlockILi256EEENS_16tensor_operation12element_wise11PassThroughES35_LNS_25InMemoryDataOperationEnumE0ENS5_IJLi8ELi256ELi16EEEENS5_IJLi8ELi32ELi1EEEENS5_IJLi1ELi0ELi2EEEESC_SC_RKS2Z_KS1O_S39_NS5_IJLi0ELi1ELi2EEEELi2ELi2ELi16ELi16ELi1ELi1ELb0ELb1ELi2EiEENS_13DynamicBufferILNS_16AddressSpaceEnumE1EKSC_lLb1ELNS_22AmdBufferCoherenceEnumE0EiEENSF_IJNS3F_ILS3G_2ESC_S1N_Lb1ELS3I_0EiEES3K_EEENSF_IJiiiEEENSE_INSF_IJNSG_INSF_IJiiiiEEENSF_IJiiiSN_EEELb0EEEEEES1T_S1V_S1U_lEENS_32ThreadwiseTensorSliceTransfer_v2ISD_SD_RKS3R_KS1X_NS5_IJLi8ELi1ELi1ELi32EEEENS5_IJLi1ELi2ELi0ELi3EEEELi3ELi32ELi0ELb1ELb0ELb0EEENS3F_ILS3G_1EKSD_lLb1ELS3I_0EiEENSF_IJNS_12StaticBufferILS3G_4ESD_Li256ELb1EEES42_EEES3N_NS_25StaticBufferTupleOfVectorILS3G_4EfLi64ELi4ELb1ELb0EEEEEvRKT1_RKT2_RT3_RKT4_RT5_RKT6_RKT7_RT8_RKT9_RT10_RKT11_RT12_iENKUlT_E0_clINSH_IiLi6EEEEEDaS51_EUlS51_E_EEvS51_EUlS51_E_EEvS51_@rel32@lo+4
	s_addc_u32 s5, s5, _ZNK2ck6detail7applierIiJLi0ELi1ELi2ELi3ELi4ELi5ELi6ELi7EEEclIZNKS_11static_fordINS_8SequenceIJLi1ELi8EEEENS5_IJLi0ELi1EEEEEclIZZNKS_52BlockwiseGemmXdlops_pipeline_bpreshuffle_bdequant_v3ILNS_26BlockGemmPipelineSchedulerE0ELi256ENS_9f8_fnuz_tENS_7pk_i4_tESC_fNS_16TensorDescriptorINS_5TupleIJNS_5EmbedINSF_IJNS_17integral_constantIiLi8EEENSH_IiLi256EEENSH_IiLi16EEEEEENSF_IJSK_NSH_IiLi128EEENSH_IiLi1EEEEEELb0EEENS_3XorINSF_IJSJ_SI_EEELb1EEENS_11PassThroughISK_EENS_7UnMergeINSF_IJSI_SN_EEELb0EEENST_ISJ_EESU_NST_ISI_EENS_21Merge_v3_division_modINSF_IJSJ_SN_EEEEESU_EEENSF_IJNS5_IJLi0EEEENS5_IJLi2ELi1EEEENS5_IJLi3EEEENS5_IJLi5EEEENS5_IJLi4EEEENS5_IJLi6EEEENS5_IJLi7EEEENS5_IJLi9ELi8EEEENS5_IJLi10EEEEEEENSF_IJNS5_IJLi1ELi2ELi3EEEENS5_IJLi4ELi5EEEES19_NS5_IJLi7ELi8EEEENS5_IJLi9EEEES1C_NS5_IJLi11EEEENS5_IJLi12EEEENS5_IJLi13EEEEEEENS5_IJLi11ELi12ELi13EEEENSH_IlLl32768EEEEENSE_INSF_IJNSV_INSF_IJSI_SN_SN_NSH_IiLi32EEEEEELb0EEEEEENSF_IJS14_EEENSF_IJNS5_IJLi1ELi2ELi3ELi4EEEEEEES1U_NSH_IlLl256EEEEENSE_INSF_IJSP_SS_SU_SX_SY_SU_SZ_S12_SU_NS10_INSF_IJSI_SK_EEEEENSV_INSF_IJSI_NSH_IiLi2EEESK_EEELb0EEEEEENSF_IJS14_S15_S16_S17_S18_S19_S1A_S1B_S1C_NS5_IJLi11ELi13EEEES1J_EEENSF_IJS1E_S1F_S19_S1G_S1H_S1C_S1I_S1J_S1K_NS5_IJLi14EEEENS5_IJLi15ELi16ELi17EEEEEEENS5_IJLi15ELi16ELi17ELi14EEEES1N_EENSE_INSF_IJS1R_NS10_ISW_EES22_EEENSF_IJS14_NS5_IJLi1ELi3EEEENS5_IJLi2EEEEEEENSF_IJS1U_S17_NS5_IJLi6ELi7ELi8EEEEEEENS5_IJLi6ELi7ELi8ELi5EEEES1W_EELi16ELi32ELi256ELi256ELi128ELi16ELi16ELi8ELi8ELi32ELb0EE3RunILb1ELNS_10TailNumberE0ENSE_INSF_IJNSG_INSF_IJiiEEENSF_IJiSN_EEELb0EEENSV_IS2N_Lb0EEENST_IiEEEEENSF_IJS14_S2E_NS5_IJLi1EEEEEEENSF_IJNS5_IJLi1ELi2EEEENS5_IJLi3ELi4EEEES17_EEENS5_IJLi3ELi5ELi4EEEElEES1O_NS_35ThreadGroupTensorSliceTransfer_v4r1INS_15ThisThreadBlockILi256EEENS_16tensor_operation12element_wise11PassThroughES35_LNS_25InMemoryDataOperationEnumE0ENS5_IJLi8ELi256ELi16EEEENS5_IJLi8ELi32ELi1EEEENS5_IJLi1ELi0ELi2EEEESC_SC_RKS2Z_KS1O_S39_NS5_IJLi0ELi1ELi2EEEELi2ELi2ELi16ELi16ELi1ELi1ELb0ELb1ELi2EiEENS_13DynamicBufferILNS_16AddressSpaceEnumE1EKSC_lLb1ELNS_22AmdBufferCoherenceEnumE0EiEENSF_IJNS3F_ILS3G_2ESC_S1N_Lb1ELS3I_0EiEES3K_EEENSF_IJiiiEEENSE_INSF_IJNSG_INSF_IJiiiiEEENSF_IJiiiSN_EEELb0EEEEEES1T_S1V_S1U_lEENS_32ThreadwiseTensorSliceTransfer_v2ISD_SD_RKS3R_KS1X_NS5_IJLi8ELi1ELi1ELi32EEEENS5_IJLi1ELi2ELi0ELi3EEEELi3ELi32ELi0ELb1ELb0ELb0EEENS3F_ILS3G_1EKSD_lLb1ELS3I_0EiEENSF_IJNS_12StaticBufferILS3G_4ESD_Li256ELb1EEES42_EEES3N_NS_25StaticBufferTupleOfVectorILS3G_4EfLi64ELi4ELb1ELb0EEEEEvRKT1_RKT2_RT3_RKT4_RT5_RKT6_RKT7_RT8_RKT9_RT10_RKT11_RT12_iENKUlT_E0_clINSH_IiLi6EEEEEDaS51_EUlS51_E_EEvS51_EUlS51_E_EEvS51_@rel32@hi+12
	s_swappc_b64 s[30:31], s[4:5]
	flat_load_dwordx2 v[12:13], v[30:31] offset:1148
	flat_load_dwordx2 v[14:15], v[30:31] offset:1164
	flat_load_dwordx4 v[0:3], v[30:31] offset:1176
	flat_load_dwordx3 v[8:10], v[30:31] offset:1132
	flat_load_dwordx2 v[16:17], v[28:29]
	s_movk_i32 s4, 0xe0
                                        ; kill: killed $vgpr28 killed $vgpr29
                                        ; kill: killed $vgpr30 killed $vgpr31
	; sched_group_barrier mask(0x00000008) size(16) SyncID(0)
	; sched_group_barrier mask(0x00000100) size(1) SyncID(0)
	;; [unrolled: 1-line block ×4, first 2 shown]
	s_waitcnt vmcnt(0) lgkmcnt(0)
	v_sub_u32_e32 v4, v12, v15
	v_add3_u32 v1, v4, v1, s4
	v_ashrrev_i32_e32 v4, 31, v1
	v_lshrrev_b32_e32 v4, 29, v4
	v_add_u32_e32 v4, v1, v4
	v_and_b32_e32 v4, -8, v4
	v_sub_u32_e32 v5, v13, v14
	v_sub_u32_e32 v6, v1, v10
	;; [unrolled: 1-line block ×3, first 2 shown]
	v_xor_b32_e32 v4, v1, v5
	v_sub_u32_e32 v4, v4, v9
	v_lshlrev_b32_e32 v10, 7, v6
	v_lshlrev_b32_e32 v4, 4, v4
	v_add3_u32 v4, v10, v8, v4
	v_ashrrev_i32_e32 v5, 31, v4
	v_add_co_u32_e32 v4, vcc, v16, v4
	v_addc_co_u32_e32 v5, vcc, v17, v5, vcc
	flat_load_dwordx4 v[4:7], v[4:5]
	v_add_u32_e32 v3, 16, v3
	v_sub_u32_e32 v2, v8, v2
	v_ashrrev_i32_e32 v8, 31, v3
	v_lshrrev_b32_e32 v8, 28, v8
	v_add_u32_e32 v0, v14, v0
	v_add_u32_e32 v8, v3, v8
	v_sub_u32_e32 v0, v13, v0
	v_lshrrev_b32_e32 v11, 4, v8
	v_add_u32_e32 v0, v0, v11
	v_xor_b32_e32 v0, v0, v1
	v_and_b32_e32 v8, -16, v8
	v_sub_u32_e32 v0, v0, v9
	v_add_u32_e32 v2, v2, v10
	v_sub_u32_e32 v3, v3, v8
	v_lshlrev_b32_e32 v0, 4, v0
	v_add3_u32 v0, v2, v3, v0
	v_ashrrev_i32_e32 v1, 31, v0
	v_add_co_u32_e32 v0, vcc, v16, v0
	v_addc_co_u32_e32 v1, vcc, v17, v1, vcc
	s_waitcnt vmcnt(0) lgkmcnt(0)
	buffer_store_dword v4, off, s[0:3], s33 offset:84
	buffer_store_dword v5, off, s[0:3], s33 offset:88
	buffer_store_dword v6, off, s[0:3], s33 offset:92
	buffer_store_dword v7, off, s[0:3], s33 offset:96
	flat_load_dwordx4 v[0:3], v[0:1]
	s_nop 0
	buffer_load_dword v4, off, s[0:3], s33 offset:116
	buffer_load_dword v5, off, s[0:3], s33 offset:120
	;; [unrolled: 1-line block ×4, first 2 shown]
	s_waitcnt vmcnt(0) lgkmcnt(0)
	buffer_store_dword v0, off, s[0:3], s33 offset:100
	buffer_store_dword v1, off, s[0:3], s33 offset:104
	;; [unrolled: 1-line block ×4, first 2 shown]
	;;#ASMSTART
	v_cvt_off_f32_i4 v0, v4
v_cvt_off_f32_i4 v1, v4, src0_sel:BYTE_2
v_cvt_pk_fp8_f32 v3, v0, v1
v_cvt_off_f32_i4 v0, v4, src0_sel:BYTE_1
v_cvt_off_f32_i4 v1, v4, src0_sel:BYTE_3
v_cvt_pk_fp8_f32 v8, v0, v1
v_lshrrev_b32 v2, 4, v4
v_cvt_off_f32_i4 v0, v2
v_cvt_off_f32_i4 v1, v2, src0_sel:BYTE_2
v_cvt_pk_fp8_f32 v3, v0, v1, op_sel:[0, 0, 1]
v_cvt_off_f32_i4 v0, v2, src0_sel:BYTE_1
v_cvt_off_f32_i4 v1, v2, src0_sel:BYTE_3
v_cvt_pk_fp8_f32 v8, v0, v1, op_sel:[0, 0, 1]

	;;#ASMEND
	;;#ASMSTART
	v_cvt_off_f32_i4 v0, v5
v_cvt_off_f32_i4 v1, v5, src0_sel:BYTE_2
v_cvt_pk_fp8_f32 v4, v0, v1
v_cvt_off_f32_i4 v0, v5, src0_sel:BYTE_1
v_cvt_off_f32_i4 v1, v5, src0_sel:BYTE_3
v_cvt_pk_fp8_f32 v9, v0, v1
v_lshrrev_b32 v2, 4, v5
v_cvt_off_f32_i4 v0, v2
v_cvt_off_f32_i4 v1, v2, src0_sel:BYTE_2
v_cvt_pk_fp8_f32 v4, v0, v1, op_sel:[0, 0, 1]
v_cvt_off_f32_i4 v0, v2, src0_sel:BYTE_1
v_cvt_off_f32_i4 v1, v2, src0_sel:BYTE_3
v_cvt_pk_fp8_f32 v9, v0, v1, op_sel:[0, 0, 1]

	;;#ASMEND
	;; [unrolled: 16-line block ×4, first 2 shown]
	buffer_load_dword v0, off, s[0:3], s33 offset:148
	buffer_load_dword v1, off, s[0:3], s33 offset:152
	;; [unrolled: 1-line block ×4, first 2 shown]
	s_nop 0
	buffer_store_dword v3, off, s[0:3], s33 offset:628
	buffer_store_dword v8, off, s[0:3], s33 offset:632
	;; [unrolled: 1-line block ×8, first 2 shown]
	s_waitcnt vmcnt(11)
	;;#ASMSTART
	v_cvt_off_f32_i4 v3, v0
v_cvt_off_f32_i4 v4, v0, src0_sel:BYTE_2
v_cvt_pk_fp8_f32 v6, v3, v4
v_cvt_off_f32_i4 v3, v0, src0_sel:BYTE_1
v_cvt_off_f32_i4 v4, v0, src0_sel:BYTE_3
v_cvt_pk_fp8_f32 v8, v3, v4
v_lshrrev_b32 v5, 4, v0
v_cvt_off_f32_i4 v3, v5
v_cvt_off_f32_i4 v4, v5, src0_sel:BYTE_2
v_cvt_pk_fp8_f32 v6, v3, v4, op_sel:[0, 0, 1]
v_cvt_off_f32_i4 v3, v5, src0_sel:BYTE_1
v_cvt_off_f32_i4 v4, v5, src0_sel:BYTE_3
v_cvt_pk_fp8_f32 v8, v3, v4, op_sel:[0, 0, 1]

	;;#ASMEND
	s_waitcnt vmcnt(10)
	;;#ASMSTART
	v_cvt_off_f32_i4 v0, v1
v_cvt_off_f32_i4 v3, v1, src0_sel:BYTE_2
v_cvt_pk_fp8_f32 v5, v0, v3
v_cvt_off_f32_i4 v0, v1, src0_sel:BYTE_1
v_cvt_off_f32_i4 v3, v1, src0_sel:BYTE_3
v_cvt_pk_fp8_f32 v9, v0, v3
v_lshrrev_b32 v4, 4, v1
v_cvt_off_f32_i4 v0, v4
v_cvt_off_f32_i4 v3, v4, src0_sel:BYTE_2
v_cvt_pk_fp8_f32 v5, v0, v3, op_sel:[0, 0, 1]
v_cvt_off_f32_i4 v0, v4, src0_sel:BYTE_1
v_cvt_off_f32_i4 v3, v4, src0_sel:BYTE_3
v_cvt_pk_fp8_f32 v9, v0, v3, op_sel:[0, 0, 1]

	;;#ASMEND
	;; [unrolled: 17-line block ×4, first 2 shown]
	buffer_load_dword v0, off, s[0:3], s33 offset:180
	buffer_load_dword v1, off, s[0:3], s33 offset:184
	;; [unrolled: 1-line block ×4, first 2 shown]
	s_nop 0
	buffer_store_dword v6, off, s[0:3], s33 offset:660
	buffer_store_dword v8, off, s[0:3], s33 offset:664
	;; [unrolled: 1-line block ×8, first 2 shown]
	s_waitcnt vmcnt(11)
	;;#ASMSTART
	v_cvt_off_f32_i4 v3, v0
v_cvt_off_f32_i4 v4, v0, src0_sel:BYTE_2
v_cvt_pk_fp8_f32 v6, v3, v4
v_cvt_off_f32_i4 v3, v0, src0_sel:BYTE_1
v_cvt_off_f32_i4 v4, v0, src0_sel:BYTE_3
v_cvt_pk_fp8_f32 v8, v3, v4
v_lshrrev_b32 v5, 4, v0
v_cvt_off_f32_i4 v3, v5
v_cvt_off_f32_i4 v4, v5, src0_sel:BYTE_2
v_cvt_pk_fp8_f32 v6, v3, v4, op_sel:[0, 0, 1]
v_cvt_off_f32_i4 v3, v5, src0_sel:BYTE_1
v_cvt_off_f32_i4 v4, v5, src0_sel:BYTE_3
v_cvt_pk_fp8_f32 v8, v3, v4, op_sel:[0, 0, 1]

	;;#ASMEND
	s_waitcnt vmcnt(10)
	;;#ASMSTART
	v_cvt_off_f32_i4 v0, v1
v_cvt_off_f32_i4 v3, v1, src0_sel:BYTE_2
v_cvt_pk_fp8_f32 v5, v0, v3
v_cvt_off_f32_i4 v0, v1, src0_sel:BYTE_1
v_cvt_off_f32_i4 v3, v1, src0_sel:BYTE_3
v_cvt_pk_fp8_f32 v9, v0, v3
v_lshrrev_b32 v4, 4, v1
v_cvt_off_f32_i4 v0, v4
v_cvt_off_f32_i4 v3, v4, src0_sel:BYTE_2
v_cvt_pk_fp8_f32 v5, v0, v3, op_sel:[0, 0, 1]
v_cvt_off_f32_i4 v0, v4, src0_sel:BYTE_1
v_cvt_off_f32_i4 v3, v4, src0_sel:BYTE_3
v_cvt_pk_fp8_f32 v9, v0, v3, op_sel:[0, 0, 1]

	;;#ASMEND
	;; [unrolled: 17-line block ×4, first 2 shown]
	buffer_load_dword v0, off, s[0:3], s33 offset:212
	buffer_load_dword v1, off, s[0:3], s33 offset:216
	;; [unrolled: 1-line block ×4, first 2 shown]
	s_nop 0
	buffer_store_dword v6, off, s[0:3], s33 offset:692
	buffer_store_dword v8, off, s[0:3], s33 offset:696
	buffer_store_dword v5, off, s[0:3], s33 offset:700
	buffer_store_dword v9, off, s[0:3], s33 offset:704
	buffer_store_dword v4, off, s[0:3], s33 offset:708
	buffer_store_dword v10, off, s[0:3], s33 offset:712
	buffer_store_dword v3, off, s[0:3], s33 offset:716
	buffer_store_dword v11, off, s[0:3], s33 offset:720
	s_waitcnt vmcnt(11)
	;;#ASMSTART
	v_cvt_off_f32_i4 v3, v0
v_cvt_off_f32_i4 v4, v0, src0_sel:BYTE_2
v_cvt_pk_fp8_f32 v6, v3, v4
v_cvt_off_f32_i4 v3, v0, src0_sel:BYTE_1
v_cvt_off_f32_i4 v4, v0, src0_sel:BYTE_3
v_cvt_pk_fp8_f32 v8, v3, v4
v_lshrrev_b32 v5, 4, v0
v_cvt_off_f32_i4 v3, v5
v_cvt_off_f32_i4 v4, v5, src0_sel:BYTE_2
v_cvt_pk_fp8_f32 v6, v3, v4, op_sel:[0, 0, 1]
v_cvt_off_f32_i4 v3, v5, src0_sel:BYTE_1
v_cvt_off_f32_i4 v4, v5, src0_sel:BYTE_3
v_cvt_pk_fp8_f32 v8, v3, v4, op_sel:[0, 0, 1]

	;;#ASMEND
	s_waitcnt vmcnt(10)
	;;#ASMSTART
	v_cvt_off_f32_i4 v0, v1
v_cvt_off_f32_i4 v3, v1, src0_sel:BYTE_2
v_cvt_pk_fp8_f32 v5, v0, v3
v_cvt_off_f32_i4 v0, v1, src0_sel:BYTE_1
v_cvt_off_f32_i4 v3, v1, src0_sel:BYTE_3
v_cvt_pk_fp8_f32 v9, v0, v3
v_lshrrev_b32 v4, 4, v1
v_cvt_off_f32_i4 v0, v4
v_cvt_off_f32_i4 v3, v4, src0_sel:BYTE_2
v_cvt_pk_fp8_f32 v5, v0, v3, op_sel:[0, 0, 1]
v_cvt_off_f32_i4 v0, v4, src0_sel:BYTE_1
v_cvt_off_f32_i4 v3, v4, src0_sel:BYTE_3
v_cvt_pk_fp8_f32 v9, v0, v3, op_sel:[0, 0, 1]

	;;#ASMEND
	;; [unrolled: 17-line block ×4, first 2 shown]
	buffer_load_dword v0, off, s[0:3], s33 offset:244
	buffer_load_dword v1, off, s[0:3], s33 offset:248
	;; [unrolled: 1-line block ×4, first 2 shown]
	s_nop 0
	buffer_store_dword v6, off, s[0:3], s33 offset:724
	buffer_store_dword v8, off, s[0:3], s33 offset:728
	;; [unrolled: 1-line block ×8, first 2 shown]
	s_waitcnt vmcnt(11)
	;;#ASMSTART
	v_cvt_off_f32_i4 v3, v0
v_cvt_off_f32_i4 v4, v0, src0_sel:BYTE_2
v_cvt_pk_fp8_f32 v6, v3, v4
v_cvt_off_f32_i4 v3, v0, src0_sel:BYTE_1
v_cvt_off_f32_i4 v4, v0, src0_sel:BYTE_3
v_cvt_pk_fp8_f32 v8, v3, v4
v_lshrrev_b32 v5, 4, v0
v_cvt_off_f32_i4 v3, v5
v_cvt_off_f32_i4 v4, v5, src0_sel:BYTE_2
v_cvt_pk_fp8_f32 v6, v3, v4, op_sel:[0, 0, 1]
v_cvt_off_f32_i4 v3, v5, src0_sel:BYTE_1
v_cvt_off_f32_i4 v4, v5, src0_sel:BYTE_3
v_cvt_pk_fp8_f32 v8, v3, v4, op_sel:[0, 0, 1]

	;;#ASMEND
	s_waitcnt vmcnt(10)
	;;#ASMSTART
	v_cvt_off_f32_i4 v0, v1
v_cvt_off_f32_i4 v3, v1, src0_sel:BYTE_2
v_cvt_pk_fp8_f32 v5, v0, v3
v_cvt_off_f32_i4 v0, v1, src0_sel:BYTE_1
v_cvt_off_f32_i4 v3, v1, src0_sel:BYTE_3
v_cvt_pk_fp8_f32 v9, v0, v3
v_lshrrev_b32 v4, 4, v1
v_cvt_off_f32_i4 v0, v4
v_cvt_off_f32_i4 v3, v4, src0_sel:BYTE_2
v_cvt_pk_fp8_f32 v5, v0, v3, op_sel:[0, 0, 1]
v_cvt_off_f32_i4 v0, v4, src0_sel:BYTE_1
v_cvt_off_f32_i4 v3, v4, src0_sel:BYTE_3
v_cvt_pk_fp8_f32 v9, v0, v3, op_sel:[0, 0, 1]

	;;#ASMEND
	;; [unrolled: 17-line block ×4, first 2 shown]
	buffer_load_dword v0, off, s[0:3], s33 offset:276
	buffer_load_dword v1, off, s[0:3], s33 offset:280
	;; [unrolled: 1-line block ×4, first 2 shown]
	s_nop 0
	buffer_store_dword v6, off, s[0:3], s33 offset:756
	buffer_store_dword v8, off, s[0:3], s33 offset:760
	;; [unrolled: 1-line block ×8, first 2 shown]
	s_waitcnt vmcnt(11)
	;;#ASMSTART
	v_cvt_off_f32_i4 v3, v0
v_cvt_off_f32_i4 v4, v0, src0_sel:BYTE_2
v_cvt_pk_fp8_f32 v6, v3, v4
v_cvt_off_f32_i4 v3, v0, src0_sel:BYTE_1
v_cvt_off_f32_i4 v4, v0, src0_sel:BYTE_3
v_cvt_pk_fp8_f32 v8, v3, v4
v_lshrrev_b32 v5, 4, v0
v_cvt_off_f32_i4 v3, v5
v_cvt_off_f32_i4 v4, v5, src0_sel:BYTE_2
v_cvt_pk_fp8_f32 v6, v3, v4, op_sel:[0, 0, 1]
v_cvt_off_f32_i4 v3, v5, src0_sel:BYTE_1
v_cvt_off_f32_i4 v4, v5, src0_sel:BYTE_3
v_cvt_pk_fp8_f32 v8, v3, v4, op_sel:[0, 0, 1]

	;;#ASMEND
	s_waitcnt vmcnt(10)
	;;#ASMSTART
	v_cvt_off_f32_i4 v0, v1
v_cvt_off_f32_i4 v3, v1, src0_sel:BYTE_2
v_cvt_pk_fp8_f32 v5, v0, v3
v_cvt_off_f32_i4 v0, v1, src0_sel:BYTE_1
v_cvt_off_f32_i4 v3, v1, src0_sel:BYTE_3
v_cvt_pk_fp8_f32 v9, v0, v3
v_lshrrev_b32 v4, 4, v1
v_cvt_off_f32_i4 v0, v4
v_cvt_off_f32_i4 v3, v4, src0_sel:BYTE_2
v_cvt_pk_fp8_f32 v5, v0, v3, op_sel:[0, 0, 1]
v_cvt_off_f32_i4 v0, v4, src0_sel:BYTE_1
v_cvt_off_f32_i4 v3, v4, src0_sel:BYTE_3
v_cvt_pk_fp8_f32 v9, v0, v3, op_sel:[0, 0, 1]

	;;#ASMEND
	;; [unrolled: 17-line block ×4, first 2 shown]
	buffer_load_dword v0, off, s[0:3], s33 offset:308
	buffer_load_dword v1, off, s[0:3], s33 offset:312
	;; [unrolled: 1-line block ×4, first 2 shown]
	s_nop 0
	buffer_store_dword v6, off, s[0:3], s33 offset:788
	buffer_store_dword v8, off, s[0:3], s33 offset:792
	;; [unrolled: 1-line block ×8, first 2 shown]
	s_waitcnt vmcnt(11)
	;;#ASMSTART
	v_cvt_off_f32_i4 v3, v0
v_cvt_off_f32_i4 v4, v0, src0_sel:BYTE_2
v_cvt_pk_fp8_f32 v6, v3, v4
v_cvt_off_f32_i4 v3, v0, src0_sel:BYTE_1
v_cvt_off_f32_i4 v4, v0, src0_sel:BYTE_3
v_cvt_pk_fp8_f32 v8, v3, v4
v_lshrrev_b32 v5, 4, v0
v_cvt_off_f32_i4 v3, v5
v_cvt_off_f32_i4 v4, v5, src0_sel:BYTE_2
v_cvt_pk_fp8_f32 v6, v3, v4, op_sel:[0, 0, 1]
v_cvt_off_f32_i4 v3, v5, src0_sel:BYTE_1
v_cvt_off_f32_i4 v4, v5, src0_sel:BYTE_3
v_cvt_pk_fp8_f32 v8, v3, v4, op_sel:[0, 0, 1]

	;;#ASMEND
	s_waitcnt vmcnt(10)
	;;#ASMSTART
	v_cvt_off_f32_i4 v0, v1
v_cvt_off_f32_i4 v3, v1, src0_sel:BYTE_2
v_cvt_pk_fp8_f32 v5, v0, v3
v_cvt_off_f32_i4 v0, v1, src0_sel:BYTE_1
v_cvt_off_f32_i4 v3, v1, src0_sel:BYTE_3
v_cvt_pk_fp8_f32 v9, v0, v3
v_lshrrev_b32 v4, 4, v1
v_cvt_off_f32_i4 v0, v4
v_cvt_off_f32_i4 v3, v4, src0_sel:BYTE_2
v_cvt_pk_fp8_f32 v5, v0, v3, op_sel:[0, 0, 1]
v_cvt_off_f32_i4 v0, v4, src0_sel:BYTE_1
v_cvt_off_f32_i4 v3, v4, src0_sel:BYTE_3
v_cvt_pk_fp8_f32 v9, v0, v3, op_sel:[0, 0, 1]

	;;#ASMEND
	;; [unrolled: 17-line block ×4, first 2 shown]
	buffer_load_dword v0, off, s[0:3], s33 offset:340
	buffer_load_dword v1, off, s[0:3], s33 offset:344
	;; [unrolled: 1-line block ×4, first 2 shown]
	s_nop 0
	buffer_store_dword v6, off, s[0:3], s33 offset:820
	buffer_store_dword v8, off, s[0:3], s33 offset:824
	;; [unrolled: 1-line block ×8, first 2 shown]
	s_waitcnt vmcnt(11)
	;;#ASMSTART
	v_cvt_off_f32_i4 v3, v0
v_cvt_off_f32_i4 v4, v0, src0_sel:BYTE_2
v_cvt_pk_fp8_f32 v6, v3, v4
v_cvt_off_f32_i4 v3, v0, src0_sel:BYTE_1
v_cvt_off_f32_i4 v4, v0, src0_sel:BYTE_3
v_cvt_pk_fp8_f32 v8, v3, v4
v_lshrrev_b32 v5, 4, v0
v_cvt_off_f32_i4 v3, v5
v_cvt_off_f32_i4 v4, v5, src0_sel:BYTE_2
v_cvt_pk_fp8_f32 v6, v3, v4, op_sel:[0, 0, 1]
v_cvt_off_f32_i4 v3, v5, src0_sel:BYTE_1
v_cvt_off_f32_i4 v4, v5, src0_sel:BYTE_3
v_cvt_pk_fp8_f32 v8, v3, v4, op_sel:[0, 0, 1]

	;;#ASMEND
	s_waitcnt vmcnt(10)
	;;#ASMSTART
	v_cvt_off_f32_i4 v0, v1
v_cvt_off_f32_i4 v3, v1, src0_sel:BYTE_2
v_cvt_pk_fp8_f32 v5, v0, v3
v_cvt_off_f32_i4 v0, v1, src0_sel:BYTE_1
v_cvt_off_f32_i4 v3, v1, src0_sel:BYTE_3
v_cvt_pk_fp8_f32 v9, v0, v3
v_lshrrev_b32 v4, 4, v1
v_cvt_off_f32_i4 v0, v4
v_cvt_off_f32_i4 v3, v4, src0_sel:BYTE_2
v_cvt_pk_fp8_f32 v5, v0, v3, op_sel:[0, 0, 1]
v_cvt_off_f32_i4 v0, v4, src0_sel:BYTE_1
v_cvt_off_f32_i4 v3, v4, src0_sel:BYTE_3
v_cvt_pk_fp8_f32 v9, v0, v3, op_sel:[0, 0, 1]

	;;#ASMEND
	;; [unrolled: 17-line block ×4, first 2 shown]
	buffer_store_dword v6, off, s[0:3], s33 offset:852
	buffer_store_dword v8, off, s[0:3], s33 offset:856
	buffer_store_dword v5, off, s[0:3], s33 offset:860
	buffer_store_dword v9, off, s[0:3], s33 offset:864
	buffer_store_dword v4, off, s[0:3], s33 offset:868
	buffer_store_dword v10, off, s[0:3], s33 offset:872
	buffer_store_dword v3, off, s[0:3], s33 offset:876
	buffer_store_dword v11, off, s[0:3], s33 offset:880
	; sched_barrier mask(0x00000000)
	v_lshrrev_b32_e64 v0, 6, s33
	v_add_u32_e32 v0, 8, v0
	v_mov_b32_e32 v1, s17
	buffer_store_dword v32, off, s[0:3], s33 offset:12
	buffer_store_dword v33, off, s[0:3], s33 offset:8
	;; [unrolled: 1-line block ×8, first 2 shown]
	s_getpc_b64 s[4:5]
	s_add_u32 s4, s4, _ZNK2ck6detail7applierIiJLi0ELi1ELi2ELi3ELi4ELi5ELi6ELi7EEEclIZNKS_11static_fordINS_8SequenceIJLi1ELi8EEEENS5_IJLi0ELi1EEEEEclIZZNKS_52BlockwiseGemmXdlops_pipeline_bpreshuffle_bdequant_v3ILNS_26BlockGemmPipelineSchedulerE0ELi256ENS_9f8_fnuz_tENS_7pk_i4_tESC_fNS_16TensorDescriptorINS_5TupleIJNS_5EmbedINSF_IJNS_17integral_constantIiLi8EEENSH_IiLi256EEENSH_IiLi16EEEEEENSF_IJSK_NSH_IiLi128EEENSH_IiLi1EEEEEELb0EEENS_3XorINSF_IJSJ_SI_EEELb1EEENS_11PassThroughISK_EENS_7UnMergeINSF_IJSI_SN_EEELb0EEENST_ISJ_EESU_NST_ISI_EENS_21Merge_v3_division_modINSF_IJSJ_SN_EEEEESU_EEENSF_IJNS5_IJLi0EEEENS5_IJLi2ELi1EEEENS5_IJLi3EEEENS5_IJLi5EEEENS5_IJLi4EEEENS5_IJLi6EEEENS5_IJLi7EEEENS5_IJLi9ELi8EEEENS5_IJLi10EEEEEEENSF_IJNS5_IJLi1ELi2ELi3EEEENS5_IJLi4ELi5EEEES19_NS5_IJLi7ELi8EEEENS5_IJLi9EEEES1C_NS5_IJLi11EEEENS5_IJLi12EEEENS5_IJLi13EEEEEEENS5_IJLi11ELi12ELi13EEEENSH_IlLl32768EEEEENSE_INSF_IJNSV_INSF_IJSI_SN_SN_NSH_IiLi32EEEEEELb0EEEEEENSF_IJS14_EEENSF_IJNS5_IJLi1ELi2ELi3ELi4EEEEEEES1U_NSH_IlLl256EEEEENSE_INSF_IJSP_SS_SU_SX_SY_SU_SZ_S12_SU_NS10_INSF_IJSI_SK_EEEEENSV_INSF_IJSI_NSH_IiLi2EEESK_EEELb0EEEEEENSF_IJS14_S15_S16_S17_S18_S19_S1A_S1B_S1C_NS5_IJLi11ELi13EEEES1J_EEENSF_IJS1E_S1F_S19_S1G_S1H_S1C_S1I_S1J_S1K_NS5_IJLi14EEEENS5_IJLi15ELi16ELi17EEEEEEENS5_IJLi15ELi16ELi17ELi14EEEES1N_EENSE_INSF_IJS1R_NS10_ISW_EES22_EEENSF_IJS14_NS5_IJLi1ELi3EEEENS5_IJLi2EEEEEEENSF_IJS1U_S17_NS5_IJLi6ELi7ELi8EEEEEEENS5_IJLi6ELi7ELi8ELi5EEEES1W_EELi16ELi32ELi256ELi256ELi128ELi16ELi16ELi8ELi8ELi32ELb0EE3RunILb1ELNS_10TailNumberE0ENSE_INSF_IJNSG_INSF_IJiiEEENSF_IJiSN_EEELb0EEENSV_IS2N_Lb0EEENST_IiEEEEENSF_IJS14_S2E_NS5_IJLi1EEEEEEENSF_IJNS5_IJLi1ELi2EEEENS5_IJLi3ELi4EEEES17_EEENS5_IJLi3ELi5ELi4EEEElEES1O_NS_35ThreadGroupTensorSliceTransfer_v4r1INS_15ThisThreadBlockILi256EEENS_16tensor_operation12element_wise11PassThroughES35_LNS_25InMemoryDataOperationEnumE0ENS5_IJLi8ELi256ELi16EEEENS5_IJLi8ELi32ELi1EEEENS5_IJLi1ELi0ELi2EEEESC_SC_RKS2Z_KS1O_S39_NS5_IJLi0ELi1ELi2EEEELi2ELi2ELi16ELi16ELi1ELi1ELb0ELb1ELi2EiEENS_13DynamicBufferILNS_16AddressSpaceEnumE1EKSC_lLb1ELNS_22AmdBufferCoherenceEnumE0EiEENSF_IJNS3F_ILS3G_2ESC_S1N_Lb1ELS3I_0EiEES3K_EEENSF_IJiiiEEENSE_INSF_IJNSG_INSF_IJiiiiEEENSF_IJiiiSN_EEELb0EEEEEES1T_S1V_S1U_lEENS_32ThreadwiseTensorSliceTransfer_v2ISD_SD_RKS3R_KS1X_NS5_IJLi8ELi1ELi1ELi32EEEENS5_IJLi1ELi2ELi0ELi3EEEELi3ELi32ELi0ELb1ELb0ELb0EEENS3F_ILS3G_1EKSD_lLb1ELS3I_0EiEENSF_IJNS_12StaticBufferILS3G_4ESD_Li256ELb1EEES42_EEES3N_NS_25StaticBufferTupleOfVectorILS3G_4EfLi64ELi4ELb1ELb0EEEEEvRKT1_RKT2_RT3_RKT4_RT5_RKT6_RKT7_RT8_RKT9_RT10_RKT11_RT12_iENKUlT_E0_clINSH_IiLi7EEEEEDaS51_EUlS51_E_EEvS51_EUlS51_E_EEvS51_@rel32@lo+4
	s_addc_u32 s5, s5, _ZNK2ck6detail7applierIiJLi0ELi1ELi2ELi3ELi4ELi5ELi6ELi7EEEclIZNKS_11static_fordINS_8SequenceIJLi1ELi8EEEENS5_IJLi0ELi1EEEEEclIZZNKS_52BlockwiseGemmXdlops_pipeline_bpreshuffle_bdequant_v3ILNS_26BlockGemmPipelineSchedulerE0ELi256ENS_9f8_fnuz_tENS_7pk_i4_tESC_fNS_16TensorDescriptorINS_5TupleIJNS_5EmbedINSF_IJNS_17integral_constantIiLi8EEENSH_IiLi256EEENSH_IiLi16EEEEEENSF_IJSK_NSH_IiLi128EEENSH_IiLi1EEEEEELb0EEENS_3XorINSF_IJSJ_SI_EEELb1EEENS_11PassThroughISK_EENS_7UnMergeINSF_IJSI_SN_EEELb0EEENST_ISJ_EESU_NST_ISI_EENS_21Merge_v3_division_modINSF_IJSJ_SN_EEEEESU_EEENSF_IJNS5_IJLi0EEEENS5_IJLi2ELi1EEEENS5_IJLi3EEEENS5_IJLi5EEEENS5_IJLi4EEEENS5_IJLi6EEEENS5_IJLi7EEEENS5_IJLi9ELi8EEEENS5_IJLi10EEEEEEENSF_IJNS5_IJLi1ELi2ELi3EEEENS5_IJLi4ELi5EEEES19_NS5_IJLi7ELi8EEEENS5_IJLi9EEEES1C_NS5_IJLi11EEEENS5_IJLi12EEEENS5_IJLi13EEEEEEENS5_IJLi11ELi12ELi13EEEENSH_IlLl32768EEEEENSE_INSF_IJNSV_INSF_IJSI_SN_SN_NSH_IiLi32EEEEEELb0EEEEEENSF_IJS14_EEENSF_IJNS5_IJLi1ELi2ELi3ELi4EEEEEEES1U_NSH_IlLl256EEEEENSE_INSF_IJSP_SS_SU_SX_SY_SU_SZ_S12_SU_NS10_INSF_IJSI_SK_EEEEENSV_INSF_IJSI_NSH_IiLi2EEESK_EEELb0EEEEEENSF_IJS14_S15_S16_S17_S18_S19_S1A_S1B_S1C_NS5_IJLi11ELi13EEEES1J_EEENSF_IJS1E_S1F_S19_S1G_S1H_S1C_S1I_S1J_S1K_NS5_IJLi14EEEENS5_IJLi15ELi16ELi17EEEEEEENS5_IJLi15ELi16ELi17ELi14EEEES1N_EENSE_INSF_IJS1R_NS10_ISW_EES22_EEENSF_IJS14_NS5_IJLi1ELi3EEEENS5_IJLi2EEEEEEENSF_IJS1U_S17_NS5_IJLi6ELi7ELi8EEEEEEENS5_IJLi6ELi7ELi8ELi5EEEES1W_EELi16ELi32ELi256ELi256ELi128ELi16ELi16ELi8ELi8ELi32ELb0EE3RunILb1ELNS_10TailNumberE0ENSE_INSF_IJNSG_INSF_IJiiEEENSF_IJiSN_EEELb0EEENSV_IS2N_Lb0EEENST_IiEEEEENSF_IJS14_S2E_NS5_IJLi1EEEEEEENSF_IJNS5_IJLi1ELi2EEEENS5_IJLi3ELi4EEEES17_EEENS5_IJLi3ELi5ELi4EEEElEES1O_NS_35ThreadGroupTensorSliceTransfer_v4r1INS_15ThisThreadBlockILi256EEENS_16tensor_operation12element_wise11PassThroughES35_LNS_25InMemoryDataOperationEnumE0ENS5_IJLi8ELi256ELi16EEEENS5_IJLi8ELi32ELi1EEEENS5_IJLi1ELi0ELi2EEEESC_SC_RKS2Z_KS1O_S39_NS5_IJLi0ELi1ELi2EEEELi2ELi2ELi16ELi16ELi1ELi1ELb0ELb1ELi2EiEENS_13DynamicBufferILNS_16AddressSpaceEnumE1EKSC_lLb1ELNS_22AmdBufferCoherenceEnumE0EiEENSF_IJNS3F_ILS3G_2ESC_S1N_Lb1ELS3I_0EiEES3K_EEENSF_IJiiiEEENSE_INSF_IJNSG_INSF_IJiiiiEEENSF_IJiiiSN_EEELb0EEEEEES1T_S1V_S1U_lEENS_32ThreadwiseTensorSliceTransfer_v2ISD_SD_RKS3R_KS1X_NS5_IJLi8ELi1ELi1ELi32EEEENS5_IJLi1ELi2ELi0ELi3EEEELi3ELi32ELi0ELb1ELb0ELb0EEENS3F_ILS3G_1EKSD_lLb1ELS3I_0EiEENSF_IJNS_12StaticBufferILS3G_4ESD_Li256ELb1EEES42_EEES3N_NS_25StaticBufferTupleOfVectorILS3G_4EfLi64ELi4ELb1ELb0EEEEEvRKT1_RKT2_RT3_RKT4_RT5_RKT6_RKT7_RT8_RKT9_RT10_RKT11_RT12_iENKUlT_E0_clINSH_IiLi7EEEEEDaS51_EUlS51_E_EEvS51_EUlS51_E_EEvS51_@rel32@hi+12
	s_swappc_b64 s[30:31], s[4:5]
	v_readlane_b32 s30, v40, 0
	v_readlane_b32 s31, v40, 1
	;; [unrolled: 1-line block ×3, first 2 shown]
	s_or_saveexec_b64 s[6:7], -1
	buffer_load_dword v40, off, s[0:3], s33 offset:1140 ; 4-byte Folded Reload
	s_mov_b64 exec, s[6:7]
	s_add_i32 s32, s32, 0xfffee000
	s_mov_b32 s33, s4
	s_waitcnt vmcnt(0)
	s_setpc_b64 s[30:31]
.Lfunc_end26:
	.size	_ZNK2ck52BlockwiseGemmXdlops_pipeline_bpreshuffle_bdequant_v3ILNS_26BlockGemmPipelineSchedulerE0ELi256ENS_9f8_fnuz_tENS_7pk_i4_tES2_fNS_16TensorDescriptorINS_5TupleIJNS_5EmbedINS5_IJNS_17integral_constantIiLi8EEENS7_IiLi256EEENS7_IiLi16EEEEEENS5_IJSA_NS7_IiLi128EEENS7_IiLi1EEEEEELb0EEENS_3XorINS5_IJS9_S8_EEELb1EEENS_11PassThroughISA_EENS_7UnMergeINS5_IJS8_SD_EEELb0EEENSJ_IS9_EESK_NSJ_IS8_EENS_21Merge_v3_division_modINS5_IJS9_SD_EEEEESK_EEENS5_IJNS_8SequenceIJLi0EEEENSU_IJLi2ELi1EEEENSU_IJLi3EEEENSU_IJLi5EEEENSU_IJLi4EEEENSU_IJLi6EEEENSU_IJLi7EEEENSU_IJLi9ELi8EEEENSU_IJLi10EEEEEEENS5_IJNSU_IJLi1ELi2ELi3EEEENSU_IJLi4ELi5EEEES10_NSU_IJLi7ELi8EEEENSU_IJLi9EEEES13_NSU_IJLi11EEEENSU_IJLi12EEEENSU_IJLi13EEEEEEENSU_IJLi11ELi12ELi13EEEENS7_IlLl32768EEEEENS4_INS5_IJNSL_INS5_IJS8_SD_SD_NS7_IiLi32EEEEEELb0EEEEEENS5_IJSV_EEENS5_IJNSU_IJLi1ELi2ELi3ELi4EEEEEEES1L_NS7_IlLl256EEEEENS4_INS5_IJSF_SI_SK_SN_SO_SK_SP_SS_SK_NSQ_INS5_IJS8_SA_EEEEENSL_INS5_IJS8_NS7_IiLi2EEESA_EEELb0EEEEEENS5_IJSV_SW_SX_SY_SZ_S10_S11_S12_S13_NSU_IJLi11ELi13EEEES1A_EEENS5_IJS15_S16_S10_S17_S18_S13_S19_S1A_S1B_NSU_IJLi14EEEENSU_IJLi15ELi16ELi17EEEEEEENSU_IJLi15ELi16ELi17ELi14EEEES1E_EENS4_INS5_IJS1I_NSQ_ISM_EES1T_EEENS5_IJSV_NSU_IJLi1ELi3EEEENSU_IJLi2EEEEEEENS5_IJS1L_SY_NSU_IJLi6ELi7ELi8EEEEEEENSU_IJLi6ELi7ELi8ELi5EEEES1N_EELi16ELi32ELi256ELi256ELi128ELi16ELi16ELi8ELi8ELi32ELb0EE3RunILb1ELNS_10TailNumberE0ENS4_INS5_IJNS6_INS5_IJiiEEENS5_IJiSD_EEELb0EEENSL_IS2E_Lb0EEENSJ_IiEEEEENS5_IJSV_S25_NSU_IJLi1EEEEEEENS5_IJNSU_IJLi1ELi2EEEENSU_IJLi3ELi4EEEESY_EEENSU_IJLi3ELi5ELi4EEEElEES1F_NS_35ThreadGroupTensorSliceTransfer_v4r1INS_15ThisThreadBlockILi256EEENS_16tensor_operation12element_wise11PassThroughES2W_LNS_25InMemoryDataOperationEnumE0ENSU_IJLi8ELi256ELi16EEEENSU_IJLi8ELi32ELi1EEEENSU_IJLi1ELi0ELi2EEEES2_S2_RKS2Q_KS1F_S30_NSU_IJLi0ELi1ELi2EEEELi2ELi2ELi16ELi16ELi1ELi1ELb0ELb1ELi2EiEENS_13DynamicBufferILNS_16AddressSpaceEnumE1EKS2_lLb1ELNS_22AmdBufferCoherenceEnumE0EiEENS5_IJNS36_ILS37_2ES2_S1E_Lb1ELS39_0EiEES3B_EEENS5_IJiiiEEENS4_INS5_IJNS6_INS5_IJiiiiEEENS5_IJiiiSD_EEELb0EEEEEES1K_S1M_S1L_lEENS_32ThreadwiseTensorSliceTransfer_v2IS3_S3_RKS3I_KS1O_NSU_IJLi8ELi1ELi1ELi32EEEENSU_IJLi1ELi2ELi0ELi3EEEELi3ELi32ELi0ELb1ELb0ELb0EEENS36_ILS37_1EKS3_lLb1ELS39_0EiEENS5_IJNS_12StaticBufferILS37_4ES3_Li256ELb1EEES3T_EEES3E_NS_25StaticBufferTupleOfVectorILS37_4EfLi64ELi4ELb1ELb0EEEEEvRKT1_RKT2_RT3_RKT4_RT5_RKT6_RKT7_RT8_RKT9_RT10_RKT11_RT12_i, .Lfunc_end26-_ZNK2ck52BlockwiseGemmXdlops_pipeline_bpreshuffle_bdequant_v3ILNS_26BlockGemmPipelineSchedulerE0ELi256ENS_9f8_fnuz_tENS_7pk_i4_tES2_fNS_16TensorDescriptorINS_5TupleIJNS_5EmbedINS5_IJNS_17integral_constantIiLi8EEENS7_IiLi256EEENS7_IiLi16EEEEEENS5_IJSA_NS7_IiLi128EEENS7_IiLi1EEEEEELb0EEENS_3XorINS5_IJS9_S8_EEELb1EEENS_11PassThroughISA_EENS_7UnMergeINS5_IJS8_SD_EEELb0EEENSJ_IS9_EESK_NSJ_IS8_EENS_21Merge_v3_division_modINS5_IJS9_SD_EEEEESK_EEENS5_IJNS_8SequenceIJLi0EEEENSU_IJLi2ELi1EEEENSU_IJLi3EEEENSU_IJLi5EEEENSU_IJLi4EEEENSU_IJLi6EEEENSU_IJLi7EEEENSU_IJLi9ELi8EEEENSU_IJLi10EEEEEEENS5_IJNSU_IJLi1ELi2ELi3EEEENSU_IJLi4ELi5EEEES10_NSU_IJLi7ELi8EEEENSU_IJLi9EEEES13_NSU_IJLi11EEEENSU_IJLi12EEEENSU_IJLi13EEEEEEENSU_IJLi11ELi12ELi13EEEENS7_IlLl32768EEEEENS4_INS5_IJNSL_INS5_IJS8_SD_SD_NS7_IiLi32EEEEEELb0EEEEEENS5_IJSV_EEENS5_IJNSU_IJLi1ELi2ELi3ELi4EEEEEEES1L_NS7_IlLl256EEEEENS4_INS5_IJSF_SI_SK_SN_SO_SK_SP_SS_SK_NSQ_INS5_IJS8_SA_EEEEENSL_INS5_IJS8_NS7_IiLi2EEESA_EEELb0EEEEEENS5_IJSV_SW_SX_SY_SZ_S10_S11_S12_S13_NSU_IJLi11ELi13EEEES1A_EEENS5_IJS15_S16_S10_S17_S18_S13_S19_S1A_S1B_NSU_IJLi14EEEENSU_IJLi15ELi16ELi17EEEEEEENSU_IJLi15ELi16ELi17ELi14EEEES1E_EENS4_INS5_IJS1I_NSQ_ISM_EES1T_EEENS5_IJSV_NSU_IJLi1ELi3EEEENSU_IJLi2EEEEEEENS5_IJS1L_SY_NSU_IJLi6ELi7ELi8EEEEEEENSU_IJLi6ELi7ELi8ELi5EEEES1N_EELi16ELi32ELi256ELi256ELi128ELi16ELi16ELi8ELi8ELi32ELb0EE3RunILb1ELNS_10TailNumberE0ENS4_INS5_IJNS6_INS5_IJiiEEENS5_IJiSD_EEELb0EEENSL_IS2E_Lb0EEENSJ_IiEEEEENS5_IJSV_S25_NSU_IJLi1EEEEEEENS5_IJNSU_IJLi1ELi2EEEENSU_IJLi3ELi4EEEESY_EEENSU_IJLi3ELi5ELi4EEEElEES1F_NS_35ThreadGroupTensorSliceTransfer_v4r1INS_15ThisThreadBlockILi256EEENS_16tensor_operation12element_wise11PassThroughES2W_LNS_25InMemoryDataOperationEnumE0ENSU_IJLi8ELi256ELi16EEEENSU_IJLi8ELi32ELi1EEEENSU_IJLi1ELi0ELi2EEEES2_S2_RKS2Q_KS1F_S30_NSU_IJLi0ELi1ELi2EEEELi2ELi2ELi16ELi16ELi1ELi1ELb0ELb1ELi2EiEENS_13DynamicBufferILNS_16AddressSpaceEnumE1EKS2_lLb1ELNS_22AmdBufferCoherenceEnumE0EiEENS5_IJNS36_ILS37_2ES2_S1E_Lb1ELS39_0EiEES3B_EEENS5_IJiiiEEENS4_INS5_IJNS6_INS5_IJiiiiEEENS5_IJiiiSD_EEELb0EEEEEES1K_S1M_S1L_lEENS_32ThreadwiseTensorSliceTransfer_v2IS3_S3_RKS3I_KS1O_NSU_IJLi8ELi1ELi1ELi32EEEENSU_IJLi1ELi2ELi0ELi3EEEELi3ELi32ELi0ELb1ELb0ELb0EEENS36_ILS37_1EKS3_lLb1ELS39_0EiEENS5_IJNS_12StaticBufferILS37_4ES3_Li256ELb1EEES3T_EEES3E_NS_25StaticBufferTupleOfVectorILS37_4EfLi64ELi4ELb1ELb0EEEEEvRKT1_RKT2_RT3_RKT4_RT5_RKT6_RKT7_RT8_RKT9_RT10_RKT11_RT12_i
                                        ; -- End function
	.section	.AMDGPU.csdata,"",@progbits
; Function info:
; codeLenInByte = 63588
; NumSgprs: 51
; NumVgprs: 86
; NumAgprs: 4
; TotalNumVgprs: 92
; ScratchSize: 1152
; MemoryBound: 0
	.section	.text._ZN2ck45kernel_gemm_xdl_cshuffle_v3_b_preshuffle_2ldsINS_41GridwiseGemm_xdl_cshuffle_v3_b_preshuffleINS_13tensor_layout4gemm8RowMajorENS3_11ColumnMajorES4_NS_9f8_fnuz_tENS_7pk_i4_tEfDF16_DF16_NS_16tensor_operation12element_wise11PassThroughESA_SA_LNS8_6device18GemmSpecializationE0ELi256ELi256ELi256ELi128ELi16ELi32ELi16ELi16ELi8ELi8ENS_8SequenceIJLi8ELi32ELi1EEEENSD_IJLi1ELi0ELi2EEEESF_Li2ELi16ELi16ELb0ELi0ENSD_IJLi4ELi64ELi1EEEESF_SF_Li2ELi32ELi32ELb0ELi0ELi1ELi1ENSD_IJLi1ELi32ELi1ELi8EEEELi4ELNS_26BlockGemmPipelineSchedulerE0ELNS_24BlockGemmPipelineVersionE2ES6_S6_Lb0ELb0ELi0EEELb1ELNS_25InMemoryDataOperationEnumE1ELi1ELNS_10TailNumberE0EEEvNT_8ArgumentE,"axG",@progbits,_ZN2ck45kernel_gemm_xdl_cshuffle_v3_b_preshuffle_2ldsINS_41GridwiseGemm_xdl_cshuffle_v3_b_preshuffleINS_13tensor_layout4gemm8RowMajorENS3_11ColumnMajorES4_NS_9f8_fnuz_tENS_7pk_i4_tEfDF16_DF16_NS_16tensor_operation12element_wise11PassThroughESA_SA_LNS8_6device18GemmSpecializationE0ELi256ELi256ELi256ELi128ELi16ELi32ELi16ELi16ELi8ELi8ENS_8SequenceIJLi8ELi32ELi1EEEENSD_IJLi1ELi0ELi2EEEESF_Li2ELi16ELi16ELb0ELi0ENSD_IJLi4ELi64ELi1EEEESF_SF_Li2ELi32ELi32ELb0ELi0ELi1ELi1ENSD_IJLi1ELi32ELi1ELi8EEEELi4ELNS_26BlockGemmPipelineSchedulerE0ELNS_24BlockGemmPipelineVersionE2ES6_S6_Lb0ELb0ELi0EEELb1ELNS_25InMemoryDataOperationEnumE1ELi1ELNS_10TailNumberE0EEEvNT_8ArgumentE,comdat
	.protected	_ZN2ck45kernel_gemm_xdl_cshuffle_v3_b_preshuffle_2ldsINS_41GridwiseGemm_xdl_cshuffle_v3_b_preshuffleINS_13tensor_layout4gemm8RowMajorENS3_11ColumnMajorES4_NS_9f8_fnuz_tENS_7pk_i4_tEfDF16_DF16_NS_16tensor_operation12element_wise11PassThroughESA_SA_LNS8_6device18GemmSpecializationE0ELi256ELi256ELi256ELi128ELi16ELi32ELi16ELi16ELi8ELi8ENS_8SequenceIJLi8ELi32ELi1EEEENSD_IJLi1ELi0ELi2EEEESF_Li2ELi16ELi16ELb0ELi0ENSD_IJLi4ELi64ELi1EEEESF_SF_Li2ELi32ELi32ELb0ELi0ELi1ELi1ENSD_IJLi1ELi32ELi1ELi8EEEELi4ELNS_26BlockGemmPipelineSchedulerE0ELNS_24BlockGemmPipelineVersionE2ES6_S6_Lb0ELb0ELi0EEELb1ELNS_25InMemoryDataOperationEnumE1ELi1ELNS_10TailNumberE0EEEvNT_8ArgumentE ; -- Begin function _ZN2ck45kernel_gemm_xdl_cshuffle_v3_b_preshuffle_2ldsINS_41GridwiseGemm_xdl_cshuffle_v3_b_preshuffleINS_13tensor_layout4gemm8RowMajorENS3_11ColumnMajorES4_NS_9f8_fnuz_tENS_7pk_i4_tEfDF16_DF16_NS_16tensor_operation12element_wise11PassThroughESA_SA_LNS8_6device18GemmSpecializationE0ELi256ELi256ELi256ELi128ELi16ELi32ELi16ELi16ELi8ELi8ENS_8SequenceIJLi8ELi32ELi1EEEENSD_IJLi1ELi0ELi2EEEESF_Li2ELi16ELi16ELb0ELi0ENSD_IJLi4ELi64ELi1EEEESF_SF_Li2ELi32ELi32ELb0ELi0ELi1ELi1ENSD_IJLi1ELi32ELi1ELi8EEEELi4ELNS_26BlockGemmPipelineSchedulerE0ELNS_24BlockGemmPipelineVersionE2ES6_S6_Lb0ELb0ELi0EEELb1ELNS_25InMemoryDataOperationEnumE1ELi1ELNS_10TailNumberE0EEEvNT_8ArgumentE
	.globl	_ZN2ck45kernel_gemm_xdl_cshuffle_v3_b_preshuffle_2ldsINS_41GridwiseGemm_xdl_cshuffle_v3_b_preshuffleINS_13tensor_layout4gemm8RowMajorENS3_11ColumnMajorES4_NS_9f8_fnuz_tENS_7pk_i4_tEfDF16_DF16_NS_16tensor_operation12element_wise11PassThroughESA_SA_LNS8_6device18GemmSpecializationE0ELi256ELi256ELi256ELi128ELi16ELi32ELi16ELi16ELi8ELi8ENS_8SequenceIJLi8ELi32ELi1EEEENSD_IJLi1ELi0ELi2EEEESF_Li2ELi16ELi16ELb0ELi0ENSD_IJLi4ELi64ELi1EEEESF_SF_Li2ELi32ELi32ELb0ELi0ELi1ELi1ENSD_IJLi1ELi32ELi1ELi8EEEELi4ELNS_26BlockGemmPipelineSchedulerE0ELNS_24BlockGemmPipelineVersionE2ES6_S6_Lb0ELb0ELi0EEELb1ELNS_25InMemoryDataOperationEnumE1ELi1ELNS_10TailNumberE0EEEvNT_8ArgumentE
	.p2align	8
	.type	_ZN2ck45kernel_gemm_xdl_cshuffle_v3_b_preshuffle_2ldsINS_41GridwiseGemm_xdl_cshuffle_v3_b_preshuffleINS_13tensor_layout4gemm8RowMajorENS3_11ColumnMajorES4_NS_9f8_fnuz_tENS_7pk_i4_tEfDF16_DF16_NS_16tensor_operation12element_wise11PassThroughESA_SA_LNS8_6device18GemmSpecializationE0ELi256ELi256ELi256ELi128ELi16ELi32ELi16ELi16ELi8ELi8ENS_8SequenceIJLi8ELi32ELi1EEEENSD_IJLi1ELi0ELi2EEEESF_Li2ELi16ELi16ELb0ELi0ENSD_IJLi4ELi64ELi1EEEESF_SF_Li2ELi32ELi32ELb0ELi0ELi1ELi1ENSD_IJLi1ELi32ELi1ELi8EEEELi4ELNS_26BlockGemmPipelineSchedulerE0ELNS_24BlockGemmPipelineVersionE2ES6_S6_Lb0ELb0ELi0EEELb1ELNS_25InMemoryDataOperationEnumE1ELi1ELNS_10TailNumberE0EEEvNT_8ArgumentE,@function
_ZN2ck45kernel_gemm_xdl_cshuffle_v3_b_preshuffle_2ldsINS_41GridwiseGemm_xdl_cshuffle_v3_b_preshuffleINS_13tensor_layout4gemm8RowMajorENS3_11ColumnMajorES4_NS_9f8_fnuz_tENS_7pk_i4_tEfDF16_DF16_NS_16tensor_operation12element_wise11PassThroughESA_SA_LNS8_6device18GemmSpecializationE0ELi256ELi256ELi256ELi128ELi16ELi32ELi16ELi16ELi8ELi8ENS_8SequenceIJLi8ELi32ELi1EEEENSD_IJLi1ELi0ELi2EEEESF_Li2ELi16ELi16ELb0ELi0ENSD_IJLi4ELi64ELi1EEEESF_SF_Li2ELi32ELi32ELb0ELi0ELi1ELi1ENSD_IJLi1ELi32ELi1ELi8EEEELi4ELNS_26BlockGemmPipelineSchedulerE0ELNS_24BlockGemmPipelineVersionE2ES6_S6_Lb0ELb0ELi0EEELb1ELNS_25InMemoryDataOperationEnumE1ELi1ELNS_10TailNumberE0EEEvNT_8ArgumentE: ; @_ZN2ck45kernel_gemm_xdl_cshuffle_v3_b_preshuffle_2ldsINS_41GridwiseGemm_xdl_cshuffle_v3_b_preshuffleINS_13tensor_layout4gemm8RowMajorENS3_11ColumnMajorES4_NS_9f8_fnuz_tENS_7pk_i4_tEfDF16_DF16_NS_16tensor_operation12element_wise11PassThroughESA_SA_LNS8_6device18GemmSpecializationE0ELi256ELi256ELi256ELi128ELi16ELi32ELi16ELi16ELi8ELi8ENS_8SequenceIJLi8ELi32ELi1EEEENSD_IJLi1ELi0ELi2EEEESF_Li2ELi16ELi16ELb0ELi0ENSD_IJLi4ELi64ELi1EEEESF_SF_Li2ELi32ELi32ELb0ELi0ELi1ELi1ENSD_IJLi1ELi32ELi1ELi8EEEELi4ELNS_26BlockGemmPipelineSchedulerE0ELNS_24BlockGemmPipelineVersionE2ES6_S6_Lb0ELb0ELi0EEELb1ELNS_25InMemoryDataOperationEnumE1ELi1ELNS_10TailNumberE0EEEvNT_8ArgumentE
; %bb.0:
	s_add_u32 flat_scratch_lo, s6, s10
	s_addc_u32 flat_scratch_hi, s7, 0
	s_add_u32 s0, s0, s10
	s_mov_b32 s47, s8
	s_load_dwordx4 s[48:51], s[4:5], 0x10
	s_load_dwordx2 s[56:57], s[4:5], 0x24
	s_load_dword s10, s[4:5], 0x34
	s_load_dword s8, s[4:5], 0x3c
	;; [unrolled: 1-line block ×3, first 2 shown]
	s_load_dwordx2 s[6:7], s[4:5], 0x60
	s_load_dwordx4 s[12:15], s[4:5], 0x50
	s_addc_u32 s1, s1, 0
	s_waitcnt lgkmcnt(0)
	s_cmp_gt_i32 s57, 1
	s_cselect_b64 s[4:5], -1, 0
	s_bitcmp1_b32 s11, 0
	s_cselect_b64 s[16:17], -1, 0
	s_and_b64 s[4:5], s[4:5], s[16:17]
	v_mov_b32_e32 v41, v0
	s_andn2_b64 vcc, exec, s[4:5]
	s_mov_b64 s[4:5], 0
	s_mov_b32 s32, 0x33c00
	s_cbranch_vccnz .LBB27_2
; %bb.1:
	s_mul_i32 s4, s48, s9
	s_mul_i32 s4, s4, s49
	s_ashr_i32 s5, s4, 31
.LBB27_2:
	s_add_i32 s16, s57, -1
	s_mul_i32 s17, s16, s10
	s_sub_i32 s17, s50, s17
	s_mul_i32 s11, s10, s9
	s_cmp_lt_u32 s9, s16
	s_cselect_b32 s17, s10, s17
	s_ashr_i32 s10, s11, 31
	s_add_u32 s18, s12, s11
	s_addc_u32 s19, s13, s10
	s_add_i32 s10, s50, 0x7f
	s_ashr_i32 s11, s10, 31
	s_lshr_b32 s11, s11, 25
	s_add_i32 s10, s10, s11
	s_add_i32 s16, s49, 15
	s_ashr_i32 s20, s10, 7
	s_add_u32 s12, 0, 0
	s_addc_u32 s13, s48, -1
	s_mul_i32 s10, s13, s51
	s_ashr_i32 s11, s10, 31
	s_ashr_i32 s21, s17, 31
	v_mov_b32_e32 v1, s17
	s_add_u32 s10, s10, s17
	buffer_store_dword v1, off, s[0:3], 0 offset:3204
	v_mov_b32_e32 v1, s51
	s_addc_u32 s11, s11, s21
	s_mul_i32 s21, s48, s8
	buffer_store_dword v1, off, s[0:3], 0 offset:3208
	v_mov_b32_e32 v1, s8
	s_lshl_b32 s21, s21, 4
	v_mov_b32_e32 v0, s48
	v_mov_b32_e32 v2, 0
	buffer_store_dword v1, off, s[0:3], 0 offset:3216
	v_mov_b32_e32 v1, 16
	buffer_store_dword v0, off, s[0:3], 0 offset:3200
	buffer_store_dword v2, off, s[0:3], 0 offset:3212
	buffer_store_dword v1, off, s[0:3], 0 offset:3224
	buffer_store_dword v1, off, s[0:3], 0 offset:3220
	buffer_store_dword v0, off, s[0:3], 0 offset:3232
	v_mov_b32_e32 v0, s21
	s_ashr_i32 s8, s16, 31
	buffer_store_dword v0, off, s[0:3], 0 offset:3236
	v_mov_b32_e32 v0, s11
	v_mov_b32_e32 v1, s10
	s_getpc_b64 s[10:11]
	s_add_u32 s10, s10, _ZN2ck41GridwiseGemm_xdl_cshuffle_v3_b_preshuffleINS_13tensor_layout4gemm8RowMajorENS2_11ColumnMajorES3_NS_9f8_fnuz_tENS_7pk_i4_tEfDF16_DF16_NS_16tensor_operation12element_wise11PassThroughES9_S9_LNS7_6device18GemmSpecializationE0ELi256ELi256ELi256ELi128ELi16ELi32ELi16ELi16ELi8ELi8ENS_8SequenceIJLi8ELi32ELi1EEEENSC_IJLi1ELi0ELi2EEEESE_Li2ELi16ELi16ELb0ELi0ENSC_IJLi4ELi64ELi1EEEESE_SE_Li2ELi32ELi32ELb0ELi0ELi1ELi1ENSC_IJLi1ELi32ELi1ELi8EEEELi4ELNS_26BlockGemmPipelineSchedulerE0ELNS_24BlockGemmPipelineVersionE2ES5_S5_Lb0ELb0ELi0EE5NWaveE@rel32@lo+4
	s_addc_u32 s11, s11, _ZN2ck41GridwiseGemm_xdl_cshuffle_v3_b_preshuffleINS_13tensor_layout4gemm8RowMajorENS2_11ColumnMajorES3_NS_9f8_fnuz_tENS_7pk_i4_tEfDF16_DF16_NS_16tensor_operation12element_wise11PassThroughES9_S9_LNS7_6device18GemmSpecializationE0ELi256ELi256ELi256ELi128ELi16ELi32ELi16ELi16ELi8ELi8ENS_8SequenceIJLi8ELi32ELi1EEEENSC_IJLi1ELi0ELi2EEEESE_Li2ELi16ELi16ELb0ELi0ENSC_IJLi4ELi64ELi1EEEESE_SE_Li2ELi32ELi32ELb0ELi0ELi1ELi1ENSC_IJLi1ELi32ELi1ELi8EEEELi4ELNS_26BlockGemmPipelineSchedulerE0ELNS_24BlockGemmPipelineVersionE2ES5_S5_Lb0ELb0ELi0EE5NWaveE@rel32@hi+12
	s_load_dword s10, s[10:11], 0x0
	s_lshr_b32 s8, s8, 27
	s_add_i32 s16, s16, s8
	s_ashr_i32 s11, s16, 5
	v_mov_b32_e32 v3, s11
	s_add_i32 s21, s11, -1
	buffer_store_dword v3, off, s[0:3], 0 offset:3248
	s_waitcnt lgkmcnt(0)
	v_mov_b32_e32 v3, s10
	s_lshl_b32 s16, s20, 12
	s_add_i32 s22, s10, -1
	buffer_store_dword v3, off, s[0:3], 0 offset:3252
	v_mov_b32_e32 v3, s20
	s_lshl_b32 s8, s20, 11
	s_mul_i32 s20, s16, s21
	s_mul_i32 s22, s22, s8
	s_add_i32 s23, s8, 0xfffff800
	s_bitset1_b32 s20, 11
	s_ashr_i32 s21, s22, 31
	s_ashr_i32 s24, s23, 31
	;; [unrolled: 1-line block ×3, first 2 shown]
	s_add_u32 s20, s20, s23
	s_addc_u32 s23, s25, s24
	s_mul_i32 s11, s8, s11
	v_mov_b32_e32 v4, s8
	buffer_store_dword v3, off, s[0:3], 0 offset:3256
	v_mov_b32_e32 v3, 0x800
	s_add_u32 s20, s20, s22
	s_mul_i32 s10, s11, s10
	buffer_store_dword v4, off, s[0:3], 0 offset:3268
	v_mov_b32_e32 v4, s16
	buffer_store_dword v0, off, s[0:3], 0 offset:3244
	buffer_store_dword v1, off, s[0:3], 0 offset:3240
	;; [unrolled: 1-line block ×3, first 2 shown]
	s_addc_u32 s21, s23, s21
	buffer_store_dword v4, off, s[0:3], 0 offset:3264
	buffer_store_dword v3, off, s[0:3], 0 offset:3272
	v_mov_b32_e32 v3, s10
	v_mov_b32_e32 v5, s19
	buffer_store_dword v3, off, s[0:3], 0 offset:3280
	v_mov_b32_e32 v3, s21
	v_mov_b32_e32 v4, s20
	buffer_store_dword v5, off, s[0:3], 0 offset:4
	v_mov_b32_e32 v5, s18
	buffer_store_dword v3, off, s[0:3], 0 offset:3292
	buffer_store_dword v4, off, s[0:3], 0 offset:3288
	buffer_store_dword v5, off, s[0:3], 0
	buffer_store_dword v0, off, s[0:3], 0 offset:12
	buffer_store_dword v1, off, s[0:3], 0 offset:8
	v_mov_b32_e32 v0, s15
	s_add_i32 s11, s48, -1
	s_mov_b32 s50, 0
	s_mov_b32 s10, 0
	buffer_store_dword v0, off, s[0:3], 0 offset:28
	v_mov_b32_e32 v0, s14
	s_cmpk_lt_u32 s11, 0x100
	buffer_store_byte v2, off, s[0:3], 0 offset:16
	buffer_store_dword v0, off, s[0:3], 0 offset:24
	buffer_store_dword v3, off, s[0:3], 0 offset:36
	;; [unrolled: 1-line block ×3, first 2 shown]
	buffer_store_byte v2, off, s[0:3], 0 offset:40
	s_cbranch_scc1 .LBB27_10
; %bb.3:
	s_add_i32 s11, s49, -1
	s_cmpk_lt_u32 s11, 0x100
	s_cbranch_scc1 .LBB27_9
; %bb.4:
	s_add_i32 s10, s48, 0xff
	s_ashr_i32 s11, s10, 31
	s_lshr_b32 s11, s11, 24
	s_add_i32 s10, s10, s11
	s_ashr_i32 s15, s10, 8
	s_add_i32 s10, s49, 0xff
	s_ashr_i32 s11, s10, 31
	s_lshr_b32 s11, s11, 24
	s_add_i32 s10, s10, s11
	s_ashr_i32 s14, s10, 8
	s_mul_i32 s10, s14, s15
	s_add_i32 s11, s10, 7
	s_ashr_i32 s18, s11, 31
	s_lshr_b32 s18, s18, 29
	s_add_i32 s11, s11, s18
	s_ashr_i32 s18, s11, 3
	s_and_b32 s11, s11, -8
	s_sub_i32 s19, s10, s11
	s_ashr_i32 s10, s47, 31
	s_lshr_b32 s10, s10, 29
	s_add_i32 s22, s47, s10
	s_and_b32 s10, s22, -8
	s_add_i32 s19, s19, 8
	s_sub_i32 s21, s47, s10
	s_cmp_gt_i32 s21, s19
	s_cbranch_scc1 .LBB27_6
; %bb.5:
	s_mul_i32 s20, s18, s21
	s_ashr_i32 s10, s22, 3
	s_cbranch_execz .LBB27_7
	s_branch .LBB27_8
.LBB27_6:
                                        ; implicit-def: $sgpr20
	s_ashr_i32 s10, s22, 3
.LBB27_7:
	s_add_i32 s11, s18, -1
	s_mul_i32 s11, s11, s21
	s_add_i32 s20, s19, s11
.LBB27_8:
	s_abs_i32 s11, s14
	v_cvt_f32_u32_e32 v0, s11
	s_add_i32 s10, s20, s10
	s_sub_i32 s20, 0, s11
	s_abs_i32 s19, s10
	v_rcp_iflag_f32_e32 v0, v0
	s_xor_b32 s18, s10, s14
	s_ashr_i32 s18, s18, 31
	v_mul_f32_e32 v0, 0x4f7ffffe, v0
	v_cvt_u32_f32_e32 v0, v0
	v_readfirstlane_b32 s21, v0
	s_mul_i32 s20, s20, s21
	s_mul_hi_u32 s20, s21, s20
	s_add_i32 s21, s21, s20
	s_mul_hi_u32 s20, s19, s21
	s_mul_i32 s21, s20, s11
	s_sub_i32 s19, s19, s21
	s_add_i32 s22, s20, 1
	s_sub_i32 s21, s19, s11
	s_cmp_ge_u32 s19, s11
	s_cselect_b32 s20, s22, s20
	s_cselect_b32 s19, s21, s19
	s_add_i32 s21, s20, 1
	s_cmp_ge_u32 s19, s11
	s_cselect_b32 s11, s21, s20
	s_xor_b32 s11, s11, s18
	s_lshr_b32 s19, s15, 30
	s_sub_i32 s11, s11, s18
	s_add_i32 s19, s15, s19
	s_mul_i32 s18, s11, s14
	s_sub_i32 s10, s10, s18
	s_and_b32 s18, s19, -4
	s_sub_i32 s15, s15, s18
	s_cmp_ge_i32 s11, s18
	s_cselect_b32 s15, s15, 4
	s_abs_i32 s19, s15
	v_cvt_f32_u32_e32 v0, s19
	s_ashr_i32 s18, s11, 31
	s_lshr_b32 s18, s18, 30
	s_add_i32 s18, s11, s18
	v_rcp_iflag_f32_e32 v0, v0
	s_and_b32 s18, s18, -4
	s_sub_i32 s18, s11, s18
	s_sub_i32 s21, 0, s19
	v_mul_f32_e32 v0, 0x4f7ffffe, v0
	v_cvt_u32_f32_e32 v0, v0
	s_mul_i32 s14, s18, s14
	s_add_i32 s14, s14, s10
	s_abs_i32 s20, s14
	v_readfirstlane_b32 s22, v0
	s_mul_i32 s21, s21, s22
	s_mul_hi_u32 s21, s22, s21
	s_add_i32 s22, s22, s21
	s_mul_hi_u32 s21, s20, s22
	s_mul_i32 s22, s21, s19
	s_xor_b32 s10, s14, s15
	s_sub_i32 s20, s20, s22
	s_ashr_i32 s10, s10, 31
	s_add_i32 s22, s21, 1
	s_sub_i32 s23, s20, s19
	s_cmp_ge_u32 s20, s19
	s_cselect_b32 s21, s22, s21
	s_cselect_b32 s20, s23, s20
	s_add_i32 s22, s21, 1
	s_cmp_ge_u32 s20, s19
	s_cselect_b32 s19, s22, s21
	s_xor_b32 s19, s19, s10
	s_sub_i32 s10, s19, s10
	s_mul_i32 s15, s10, s15
	s_sub_i32 s14, s14, s15
	s_add_i32 s14, s14, s11
	s_sub_i32 s47, s14, s18
.LBB27_9:
	s_mov_b32 s50, s47
	s_mov_b32 s47, s10
.LBB27_10:
	s_add_i32 s10, s17, 0x7f
	s_ashr_i32 s11, s10, 31
	s_lshr_b32 s11, s11, 25
	s_add_i32 s10, s10, s11
	s_lshl_b32 s11, s50, 8
	v_and_b32_e32 v1, 7, v41
	v_and_b32_e32 v3, 0xf8, v41
	v_add_u32_e32 v6, s11, v3
	v_lshlrev_b32_e32 v0, 4, v1
	v_mad_u64_u32 v[4:5], s[14:15], v6, s51, v[0:1]
	s_ashr_i32 s10, s10, 7
	buffer_store_dword v2, off, s[0:3], 0 offset:172
	buffer_store_dword v2, off, s[0:3], 0 offset:168
	;; [unrolled: 1-line block ×32, first 2 shown]
	buffer_store_short v2, off, s[0:3], 0 offset:176
	buffer_store_dword v2, off, s[0:3], 0 offset:204
	buffer_store_dword v2, off, s[0:3], 0 offset:200
	;; [unrolled: 1-line block ×32, first 2 shown]
	buffer_store_short v2, off, s[0:3], 0 offset:320
	buffer_store_dword v2, off, s[0:3], 0 offset:460
	buffer_store_dword v2, off, s[0:3], 0 offset:456
	buffer_store_dword v2, off, s[0:3], 0 offset:452
	buffer_store_dword v2, off, s[0:3], 0 offset:448
	buffer_store_dword v2, off, s[0:3], 0 offset:444
	buffer_store_dword v2, off, s[0:3], 0 offset:440
	buffer_store_dword v2, off, s[0:3], 0 offset:436
	buffer_store_dword v2, off, s[0:3], 0 offset:432
	buffer_store_dword v2, off, s[0:3], 0 offset:428
	buffer_store_dword v2, off, s[0:3], 0 offset:424
	buffer_store_dword v2, off, s[0:3], 0 offset:420
	buffer_store_dword v2, off, s[0:3], 0 offset:416
	buffer_store_dword v2, off, s[0:3], 0 offset:412
	buffer_store_dword v2, off, s[0:3], 0 offset:408
	buffer_store_dword v2, off, s[0:3], 0 offset:404
	buffer_store_dword v2, off, s[0:3], 0 offset:400
	buffer_store_dword v2, off, s[0:3], 0 offset:396
	buffer_store_dword v2, off, s[0:3], 0 offset:392
	buffer_store_dword v2, off, s[0:3], 0 offset:388
	buffer_store_dword v2, off, s[0:3], 0 offset:384
	buffer_store_dword v2, off, s[0:3], 0 offset:380
	buffer_store_dword v2, off, s[0:3], 0 offset:376
	buffer_store_dword v2, off, s[0:3], 0 offset:372
	buffer_store_dword v2, off, s[0:3], 0 offset:368
	buffer_store_dword v2, off, s[0:3], 0 offset:364
	buffer_store_dword v2, off, s[0:3], 0 offset:360
	buffer_store_dword v2, off, s[0:3], 0 offset:356
	buffer_store_dword v2, off, s[0:3], 0 offset:352
	buffer_store_dword v2, off, s[0:3], 0 offset:348
	buffer_store_dword v2, off, s[0:3], 0 offset:344
	buffer_store_dword v2, off, s[0:3], 0 offset:340
	buffer_store_dword v2, off, s[0:3], 0 offset:336
	buffer_store_byte v2, off, s[0:3], 0 offset:464
	buffer_store_dword v2, off, s[0:3], 0 offset:470
	buffer_store_dword v2, off, s[0:3], 0 offset:466
	;; [unrolled: 1-line block ×32, first 2 shown]
	buffer_store_byte v2, off, s[0:3], 0 offset:594
	buffer_store_dword v2, off, s[0:3], 0 offset:732
	buffer_store_dword v2, off, s[0:3], 0 offset:728
	;; [unrolled: 1-line block ×32, first 2 shown]
	buffer_store_short v2, off, s[0:3], 0 offset:736
	buffer_store_dword v2, off, s[0:3], 0 offset:768
	buffer_store_dword v4, off, s[0:3], 0 offset:752
	;; [unrolled: 1-line block ×6, first 2 shown]
	v_lshl_or_b32 v0, v3, 7, v0
	s_mul_i32 s9, s10, s9
	s_lshl_b32 s10, s47, 3
	buffer_store_dword v0, off, s[0:3], 0 offset:776
	buffer_store_dword v3, off, s[0:3], 0 offset:784
	;; [unrolled: 1-line block ×14, first 2 shown]
	v_bfe_u32 v3, v41, 6, 1
	v_lshlrev_b32_e32 v0, 5, v41
	v_and_b32_e32 v0, 0x7e0, v0
	s_mul_i32 s11, s10, s16
	v_mul_lo_u32 v1, s8, v3
	s_lshl_b32 s8, s9, 11
	v_or_b32_e32 v1, v1, v0
	s_add_i32 s11, s11, s8
	v_add_u32_e32 v1, s11, v1
	buffer_store_dword v1, off, s[0:3], 0 offset:848
	v_mov_b32_e32 v1, s10
	buffer_store_dword v1, off, s[0:3], 0 offset:852
	buffer_store_dword v3, off, s[0:3], 0 offset:856
	v_mov_b32_e32 v1, s9
	s_mov_b64 s[8:9], src_shared_base
	buffer_store_dword v1, off, s[0:3], 0 offset:860
	buffer_store_dword v0, off, s[0:3], 0 offset:864
	v_mov_b32_e32 v0, s9
	s_getpc_b64 s[8:9]
	s_add_u32 s8, s8, __const._ZN2ck41GridwiseGemm_xdl_cshuffle_v3_b_preshuffleINS_13tensor_layout4gemm8RowMajorENS2_11ColumnMajorES3_NS_9f8_fnuz_tENS_7pk_i4_tEfDF16_DF16_NS_16tensor_operation12element_wise11PassThroughES9_S9_LNS7_6device18GemmSpecializationE0ELi256ELi256ELi256ELi128ELi16ELi32ELi16ELi16ELi8ELi8ENS_8SequenceIJLi8ELi32ELi1EEEENSC_IJLi1ELi0ELi2EEEESE_Li2ELi16ELi16ELb0ELi0ENSC_IJLi4ELi64ELi1EEEESE_SE_Li2ELi32ELi32ELb0ELi0ELi1ELi1ENSC_IJLi1ELi32ELi1ELi8EEEELi4ELNS_26BlockGemmPipelineSchedulerE0ELNS_24BlockGemmPipelineVersionE2ES5_S5_Lb0ELb0ELi0EE8Run_2LdsIKNS_16TensorDescriptorINS_5TupleIJNS_5EmbedINSM_IJiiEEENSM_IJiNS_17integral_constantIiLi1EEEEEELb0EEENS_7UnMergeISO_Lb0EEENS_11PassThroughIiEEEEENSM_IJNSC_IJLi0EEEENSC_IJLi2EEEENSC_IJLi1EEEEEEENSM_IJNSC_IJLi1ELi2EEEENSC_IJLi3ELi4EEEENSC_IJLi5EEEEEEENSC_IJLi3ELi5ELi4EEEElEEKNSL_INSM_IJNSN_INSM_IJiiiiEEENSM_IJiiiSQ_EEELb0EEEEEENSM_IJSY_EEENSM_IJNSC_IJLi1ELi2ELi3ELi4EEEEEEES1E_lEEKNSL_INSM_IJSS_NS_8RightPadIiiLb0EEES1J_NST_INSM_IJiNSP_IiLi256EEEEEELb0EEES1M_EEENSM_IJSY_S10_SZ_NSC_IJLi3EEEENSC_IJLi4EEEEEEENSM_IJS12_S1O_S1P_NSC_IJLi5ELi6EEEENSC_IJLi7ELi8EEEEEEENSC_IJLi5ELi6ELi7ELi8EEEElEELb1ELNS_25InMemoryDataOperationEnumE1ELNS_10TailNumberE0EEEvPKS5_PKS6_PDF16_PvS24_RKNSJ_7ProblemERKT_RKT0_RKT1_i.a_block_slice_copy_step@rel32@lo+4
	s_addc_u32 s9, s9, __const._ZN2ck41GridwiseGemm_xdl_cshuffle_v3_b_preshuffleINS_13tensor_layout4gemm8RowMajorENS2_11ColumnMajorES3_NS_9f8_fnuz_tENS_7pk_i4_tEfDF16_DF16_NS_16tensor_operation12element_wise11PassThroughES9_S9_LNS7_6device18GemmSpecializationE0ELi256ELi256ELi256ELi128ELi16ELi32ELi16ELi16ELi8ELi8ENS_8SequenceIJLi8ELi32ELi1EEEENSC_IJLi1ELi0ELi2EEEESE_Li2ELi16ELi16ELb0ELi0ENSC_IJLi4ELi64ELi1EEEESE_SE_Li2ELi32ELi32ELb0ELi0ELi1ELi1ENSC_IJLi1ELi32ELi1ELi8EEEELi4ELNS_26BlockGemmPipelineSchedulerE0ELNS_24BlockGemmPipelineVersionE2ES5_S5_Lb0ELb0ELi0EE8Run_2LdsIKNS_16TensorDescriptorINS_5TupleIJNS_5EmbedINSM_IJiiEEENSM_IJiNS_17integral_constantIiLi1EEEEEELb0EEENS_7UnMergeISO_Lb0EEENS_11PassThroughIiEEEEENSM_IJNSC_IJLi0EEEENSC_IJLi2EEEENSC_IJLi1EEEEEEENSM_IJNSC_IJLi1ELi2EEEENSC_IJLi3ELi4EEEENSC_IJLi5EEEEEEENSC_IJLi3ELi5ELi4EEEElEEKNSL_INSM_IJNSN_INSM_IJiiiiEEENSM_IJiiiSQ_EEELb0EEEEEENSM_IJSY_EEENSM_IJNSC_IJLi1ELi2ELi3ELi4EEEEEEES1E_lEEKNSL_INSM_IJSS_NS_8RightPadIiiLb0EEES1J_NST_INSM_IJiNSP_IiLi256EEEEEELb0EEES1M_EEENSM_IJSY_S10_SZ_NSC_IJLi3EEEENSC_IJLi4EEEEEEENSM_IJS12_S1O_S1P_NSC_IJLi5ELi6EEEENSC_IJLi7ELi8EEEEEEENSC_IJLi5ELi6ELi7ELi8EEEElEELb1ELNS_25InMemoryDataOperationEnumE1ELNS_10TailNumberE0EEEvPKS5_PKS6_PDF16_PvS24_RKNSJ_7ProblemERKT_RKT0_RKT1_i.a_block_slice_copy_step@rel32@hi+12
	s_load_dwordx2 s[14:15], s[8:9], 0x0
	s_getpc_b64 s[8:9]
	s_add_u32 s8, s8, __const._ZN2ck41GridwiseGemm_xdl_cshuffle_v3_b_preshuffleINS_13tensor_layout4gemm8RowMajorENS2_11ColumnMajorES3_NS_9f8_fnuz_tENS_7pk_i4_tEfDF16_DF16_NS_16tensor_operation12element_wise11PassThroughES9_S9_LNS7_6device18GemmSpecializationE0ELi256ELi256ELi256ELi128ELi16ELi32ELi16ELi16ELi8ELi8ENS_8SequenceIJLi8ELi32ELi1EEEENSC_IJLi1ELi0ELi2EEEESE_Li2ELi16ELi16ELb0ELi0ENSC_IJLi4ELi64ELi1EEEESE_SE_Li2ELi32ELi32ELb0ELi0ELi1ELi1ENSC_IJLi1ELi32ELi1ELi8EEEELi4ELNS_26BlockGemmPipelineSchedulerE0ELNS_24BlockGemmPipelineVersionE2ES5_S5_Lb0ELb0ELi0EE8Run_2LdsIKNS_16TensorDescriptorINS_5TupleIJNS_5EmbedINSM_IJiiEEENSM_IJiNS_17integral_constantIiLi1EEEEEELb0EEENS_7UnMergeISO_Lb0EEENS_11PassThroughIiEEEEENSM_IJNSC_IJLi0EEEENSC_IJLi2EEEENSC_IJLi1EEEEEEENSM_IJNSC_IJLi1ELi2EEEENSC_IJLi3ELi4EEEENSC_IJLi5EEEEEEENSC_IJLi3ELi5ELi4EEEElEEKNSL_INSM_IJNSN_INSM_IJiiiiEEENSM_IJiiiSQ_EEELb0EEEEEENSM_IJSY_EEENSM_IJNSC_IJLi1ELi2ELi3ELi4EEEEEEES1E_lEEKNSL_INSM_IJSS_NS_8RightPadIiiLb0EEES1J_NST_INSM_IJiNSP_IiLi256EEEEEELb0EEES1M_EEENSM_IJSY_S10_SZ_NSC_IJLi3EEEENSC_IJLi4EEEEEEENSM_IJS12_S1O_S1P_NSC_IJLi5ELi6EEEENSC_IJLi7ELi8EEEEEEENSC_IJLi5ELi6ELi7ELi8EEEElEELb1ELNS_25InMemoryDataOperationEnumE1ELNS_10TailNumberE0EEEvPKS5_PKS6_PDF16_PvS24_RKNSJ_7ProblemERKT_RKT0_RKT1_i.b_block_slice_copy_step@rel32@lo+4
	s_addc_u32 s9, s9, __const._ZN2ck41GridwiseGemm_xdl_cshuffle_v3_b_preshuffleINS_13tensor_layout4gemm8RowMajorENS2_11ColumnMajorES3_NS_9f8_fnuz_tENS_7pk_i4_tEfDF16_DF16_NS_16tensor_operation12element_wise11PassThroughES9_S9_LNS7_6device18GemmSpecializationE0ELi256ELi256ELi256ELi128ELi16ELi32ELi16ELi16ELi8ELi8ENS_8SequenceIJLi8ELi32ELi1EEEENSC_IJLi1ELi0ELi2EEEESE_Li2ELi16ELi16ELb0ELi0ENSC_IJLi4ELi64ELi1EEEESE_SE_Li2ELi32ELi32ELb0ELi0ELi1ELi1ENSC_IJLi1ELi32ELi1ELi8EEEELi4ELNS_26BlockGemmPipelineSchedulerE0ELNS_24BlockGemmPipelineVersionE2ES5_S5_Lb0ELb0ELi0EE8Run_2LdsIKNS_16TensorDescriptorINS_5TupleIJNS_5EmbedINSM_IJiiEEENSM_IJiNS_17integral_constantIiLi1EEEEEELb0EEENS_7UnMergeISO_Lb0EEENS_11PassThroughIiEEEEENSM_IJNSC_IJLi0EEEENSC_IJLi2EEEENSC_IJLi1EEEEEEENSM_IJNSC_IJLi1ELi2EEEENSC_IJLi3ELi4EEEENSC_IJLi5EEEEEEENSC_IJLi3ELi5ELi4EEEElEEKNSL_INSM_IJNSN_INSM_IJiiiiEEENSM_IJiiiSQ_EEELb0EEEEEENSM_IJSY_EEENSM_IJNSC_IJLi1ELi2ELi3ELi4EEEEEEES1E_lEEKNSL_INSM_IJSS_NS_8RightPadIiiLb0EEES1J_NST_INSM_IJiNSP_IiLi256EEEEEELb0EEES1M_EEENSM_IJSY_S10_SZ_NSC_IJLi3EEEENSC_IJLi4EEEEEEENSM_IJS12_S1O_S1P_NSC_IJLi5ELi6EEEENSC_IJLi7ELi8EEEEEEENSC_IJLi5ELi6ELi7ELi8EEEElEELb1ELNS_25InMemoryDataOperationEnumE1ELNS_10TailNumberE0EEEvPKS5_PKS6_PDF16_PvS24_RKNSJ_7ProblemERKT_RKT0_RKT1_i.b_block_slice_copy_step@rel32@hi+12
	s_load_dwordx4 s[8:11], s[8:9], 0x0
	buffer_store_dword v0, off, s[0:3], 0 offset:876
	buffer_store_dword v2, off, s[0:3], 0 offset:872
	buffer_store_byte v2, off, s[0:3], 0 offset:881
	buffer_store_dword v0, off, s[0:3], 0 offset:892
	v_mov_b32_e32 v0, 0x8000
	buffer_store_dword v0, off, s[0:3], 0 offset:888
	buffer_store_byte v2, off, s[0:3], 0 offset:897
	s_waitcnt lgkmcnt(0)
	v_mov_b32_e32 v0, s15
	buffer_store_dword v0, off, s[0:3], 0 offset:908
	v_mov_b32_e32 v0, s14
	buffer_store_dword v0, off, s[0:3], 0 offset:904
	buffer_store_dword v2, off, s[0:3], 0 offset:912
	v_mov_b32_e32 v0, s11
	buffer_store_dword v0, off, s[0:3], 0 offset:928
	v_mov_b32_e32 v0, s10
	buffer_store_dword v0, off, s[0:3], 0 offset:924
	v_mov_b32_e32 v0, s9
	buffer_store_dword v0, off, s[0:3], 0 offset:920
	v_mov_b32_e32 v0, s8
	buffer_store_dword v0, off, s[0:3], 0 offset:916
	v_mov_b32_e32 v0, 0x4d0
	v_mov_b32_e32 v4, 0x3b0
	s_mov_b64 s[8:9], 0
	v_mov_b32_e32 v1, 0
.LBB27_11:                              ; =>This Inner Loop Header: Depth=1
	s_add_u32 s8, s8, 1
	s_addc_u32 s9, s9, 0
	v_cmp_lt_u64_e32 vcc, s[8:9], v[0:1]
	buffer_store_byte v2, v4, s[0:3], 0 offen
	v_add_u32_e32 v4, 1, v4
	s_cbranch_vccnz .LBB27_11
; %bb.12:
	v_and_b32_e32 v0, 63, v41
	v_and_b32_e32 v2, 48, v41
	v_lshrrev_b32_e32 v1, 7, v41
	v_sub_u32_e32 v0, v0, v2
	v_lshl_add_u32 v4, v1, 4, v0
	v_ashrrev_i16_e32 v6, 15, v4
	v_lshrrev_b16_e32 v6, 13, v6
	v_lshlrev_b32_e32 v2, 1, v41
	v_add_u16_e32 v6, v4, v6
	v_and_b32_e32 v2, 0x60, v2
	v_and_b32_e32 v6, -8, v6
	v_lshrrev_b32_e32 v5, 4, v2
	v_sub_u16_e32 v6, v4, v6
	v_xor_b32_sdwa v7, v5, sext(v6) dst_sel:DWORD dst_unused:UNUSED_PAD src0_sel:DWORD src1_sel:WORD_0
	v_lshlrev_b32_e32 v8, 7, v4
	v_lshl_add_u32 v9, v7, 4, v8
	buffer_store_dword v9, off, s[0:3], 0 offset:1968
	buffer_store_dword v7, off, s[0:3], 0 offset:1972
	;; [unrolled: 1-line block ×12, first 2 shown]
	v_lshl_add_u32 v5, v3, 4, v0
	v_add_lshl_u32 v7, v5, v2, 5
	buffer_store_dword v7, off, s[0:3], 0 offset:2040
	buffer_store_dword v2, off, s[0:3], 0 offset:2044
	;; [unrolled: 1-line block ×6, first 2 shown]
	v_bfe_u32 v2, v41, 4, 2
	v_lshlrev_b32_e32 v5, 1, v2
	v_xor_b32_sdwa v6, v5, sext(v6) dst_sel:DWORD dst_unused:UNUSED_PAD src0_sel:DWORD src1_sel:WORD_0
	v_lshl_add_u32 v7, v6, 4, v8
	v_lshlrev_b32_e32 v3, 5, v2
	buffer_store_dword v7, off, s[0:3], 0 offset:2076
	buffer_store_dword v6, off, s[0:3], 0 offset:2080
	;; [unrolled: 1-line block ×15, first 2 shown]
	v_mov_b32_e32 v0, 0
	buffer_store_dword v0, off, s[0:3], 0 offset:3196
	buffer_store_dword v0, off, s[0:3], 0 offset:3192
	;; [unrolled: 1-line block ×177, first 2 shown]
	buffer_load_dword v1, off, s[0:3], 0 offset:3216
	buffer_load_dword v2, off, s[0:3], 0 offset:3220
	s_nop 0
	buffer_store_dword v0, off, s[0:3], 0 offset:2488
	buffer_store_dword v0, off, s[0:3], 0 offset:2484
	;; [unrolled: 1-line block ×79, first 2 shown]
	s_lshl_b64 s[4:5], s[4:5], 1
	s_add_u32 s52, s6, s4
	s_addc_u32 s53, s7, s5
	s_mov_b64 s[4:5], src_private_base
	s_mul_i32 s13, s13, s56
	s_mul_hi_u32 s51, s12, s56
	s_add_i32 s51, s51, s13
	v_mov_b32_e32 v3, s5
	v_mov_b32_e32 v4, 48
	;; [unrolled: 1-line block ×19, first 2 shown]
	s_getpc_b64 s[6:7]
	s_add_u32 s6, s6, _ZNK2ck52BlockwiseGemmXdlops_pipeline_bpreshuffle_bdequant_v3ILNS_26BlockGemmPipelineSchedulerE0ELi256ENS_9f8_fnuz_tENS_7pk_i4_tES2_fNS_16TensorDescriptorINS_5TupleIJNS_5EmbedINS5_IJNS_17integral_constantIiLi8EEENS7_IiLi256EEENS7_IiLi16EEEEEENS5_IJSA_NS7_IiLi128EEENS7_IiLi1EEEEEELb0EEENS_3XorINS5_IJS9_S8_EEELb1EEENS_11PassThroughISA_EENS_7UnMergeINS5_IJS8_SD_EEELb0EEENSJ_IS9_EESK_NSJ_IS8_EENS_21Merge_v3_division_modINS5_IJS9_SD_EEEEESK_EEENS5_IJNS_8SequenceIJLi0EEEENSU_IJLi2ELi1EEEENSU_IJLi3EEEENSU_IJLi5EEEENSU_IJLi4EEEENSU_IJLi6EEEENSU_IJLi7EEEENSU_IJLi9ELi8EEEENSU_IJLi10EEEEEEENS5_IJNSU_IJLi1ELi2ELi3EEEENSU_IJLi4ELi5EEEES10_NSU_IJLi7ELi8EEEENSU_IJLi9EEEES13_NSU_IJLi11EEEENSU_IJLi12EEEENSU_IJLi13EEEEEEENSU_IJLi11ELi12ELi13EEEENS7_IlLl32768EEEEENS4_INS5_IJNSL_INS5_IJS8_SD_SD_NS7_IiLi32EEEEEELb0EEEEEENS5_IJSV_EEENS5_IJNSU_IJLi1ELi2ELi3ELi4EEEEEEES1L_NS7_IlLl256EEEEENS4_INS5_IJSF_SI_SK_SN_SO_SK_SP_SS_SK_NSQ_INS5_IJS8_SA_EEEEENSL_INS5_IJS8_NS7_IiLi2EEESA_EEELb0EEEEEENS5_IJSV_SW_SX_SY_SZ_S10_S11_S12_S13_NSU_IJLi11ELi13EEEES1A_EEENS5_IJS15_S16_S10_S17_S18_S13_S19_S1A_S1B_NSU_IJLi14EEEENSU_IJLi15ELi16ELi17EEEEEEENSU_IJLi15ELi16ELi17ELi14EEEES1E_EENS4_INS5_IJS1I_NSQ_ISM_EES1T_EEENS5_IJSV_NSU_IJLi1ELi3EEEENSU_IJLi2EEEEEEENS5_IJS1L_SY_NSU_IJLi6ELi7ELi8EEEEEEENSU_IJLi6ELi7ELi8ELi5EEEES1N_EELi16ELi32ELi256ELi256ELi128ELi16ELi16ELi8ELi8ELi32ELb0EE3RunILb1ELNS_10TailNumberE0ENS4_INS5_IJNS6_INS5_IJiiEEENS5_IJiSD_EEELb0EEENSL_IS2E_Lb0EEENSJ_IiEEEEENS5_IJSV_S25_NSU_IJLi1EEEEEEENS5_IJNSU_IJLi1ELi2EEEENSU_IJLi3ELi4EEEESY_EEENSU_IJLi3ELi5ELi4EEEElEES1F_NS_35ThreadGroupTensorSliceTransfer_v4r1INS_15ThisThreadBlockILi256EEENS_16tensor_operation12element_wise11PassThroughES2W_LNS_25InMemoryDataOperationEnumE0ENSU_IJLi8ELi256ELi16EEEENSU_IJLi8ELi32ELi1EEEENSU_IJLi1ELi0ELi2EEEES2_S2_RKS2Q_KS1F_S30_NSU_IJLi0ELi1ELi2EEEELi2ELi2ELi16ELi16ELi1ELi1ELb0ELb1ELi2EiEENS_13DynamicBufferILNS_16AddressSpaceEnumE1EKS2_lLb1ELNS_22AmdBufferCoherenceEnumE0EiEENS5_IJNS36_ILS37_2ES2_S1E_Lb1ELS39_0EiEES3B_EEENS5_IJiiiEEENS4_INS5_IJNS6_INS5_IJiiiiEEENS5_IJiiiSD_EEELb0EEEEEES1K_S1M_S1L_lEENS_32ThreadwiseTensorSliceTransfer_v2IS3_S3_RKS3I_KS1O_NSU_IJLi8ELi1ELi1ELi32EEEENSU_IJLi1ELi2ELi0ELi3EEEELi3ELi32ELi0ELb1ELb0ELb0EEENS36_ILS37_1EKS3_lLb1ELS39_0EiEENS5_IJNS_12StaticBufferILS37_4ES3_Li256ELb1EEES3T_EEES3E_NS_25StaticBufferTupleOfVectorILS37_4EfLi64ELi4ELb1ELb0EEEEEvRKT1_RKT2_RT3_RKT4_RT5_RKT6_RKT7_RT8_RKT9_RT10_RKT11_RT12_i@rel32@lo+4
	s_addc_u32 s7, s7, _ZNK2ck52BlockwiseGemmXdlops_pipeline_bpreshuffle_bdequant_v3ILNS_26BlockGemmPipelineSchedulerE0ELi256ENS_9f8_fnuz_tENS_7pk_i4_tES2_fNS_16TensorDescriptorINS_5TupleIJNS_5EmbedINS5_IJNS_17integral_constantIiLi8EEENS7_IiLi256EEENS7_IiLi16EEEEEENS5_IJSA_NS7_IiLi128EEENS7_IiLi1EEEEEELb0EEENS_3XorINS5_IJS9_S8_EEELb1EEENS_11PassThroughISA_EENS_7UnMergeINS5_IJS8_SD_EEELb0EEENSJ_IS9_EESK_NSJ_IS8_EENS_21Merge_v3_division_modINS5_IJS9_SD_EEEEESK_EEENS5_IJNS_8SequenceIJLi0EEEENSU_IJLi2ELi1EEEENSU_IJLi3EEEENSU_IJLi5EEEENSU_IJLi4EEEENSU_IJLi6EEEENSU_IJLi7EEEENSU_IJLi9ELi8EEEENSU_IJLi10EEEEEEENS5_IJNSU_IJLi1ELi2ELi3EEEENSU_IJLi4ELi5EEEES10_NSU_IJLi7ELi8EEEENSU_IJLi9EEEES13_NSU_IJLi11EEEENSU_IJLi12EEEENSU_IJLi13EEEEEEENSU_IJLi11ELi12ELi13EEEENS7_IlLl32768EEEEENS4_INS5_IJNSL_INS5_IJS8_SD_SD_NS7_IiLi32EEEEEELb0EEEEEENS5_IJSV_EEENS5_IJNSU_IJLi1ELi2ELi3ELi4EEEEEEES1L_NS7_IlLl256EEEEENS4_INS5_IJSF_SI_SK_SN_SO_SK_SP_SS_SK_NSQ_INS5_IJS8_SA_EEEEENSL_INS5_IJS8_NS7_IiLi2EEESA_EEELb0EEEEEENS5_IJSV_SW_SX_SY_SZ_S10_S11_S12_S13_NSU_IJLi11ELi13EEEES1A_EEENS5_IJS15_S16_S10_S17_S18_S13_S19_S1A_S1B_NSU_IJLi14EEEENSU_IJLi15ELi16ELi17EEEEEEENSU_IJLi15ELi16ELi17ELi14EEEES1E_EENS4_INS5_IJS1I_NSQ_ISM_EES1T_EEENS5_IJSV_NSU_IJLi1ELi3EEEENSU_IJLi2EEEEEEENS5_IJS1L_SY_NSU_IJLi6ELi7ELi8EEEEEEENSU_IJLi6ELi7ELi8ELi5EEEES1N_EELi16ELi32ELi256ELi256ELi128ELi16ELi16ELi8ELi8ELi32ELb0EE3RunILb1ELNS_10TailNumberE0ENS4_INS5_IJNS6_INS5_IJiiEEENS5_IJiSD_EEELb0EEENSL_IS2E_Lb0EEENSJ_IiEEEEENS5_IJSV_S25_NSU_IJLi1EEEEEEENS5_IJNSU_IJLi1ELi2EEEENSU_IJLi3ELi4EEEESY_EEENSU_IJLi3ELi5ELi4EEEElEES1F_NS_35ThreadGroupTensorSliceTransfer_v4r1INS_15ThisThreadBlockILi256EEENS_16tensor_operation12element_wise11PassThroughES2W_LNS_25InMemoryDataOperationEnumE0ENSU_IJLi8ELi256ELi16EEEENSU_IJLi8ELi32ELi1EEEENSU_IJLi1ELi0ELi2EEEES2_S2_RKS2Q_KS1F_S30_NSU_IJLi0ELi1ELi2EEEELi2ELi2ELi16ELi16ELi1ELi1ELb0ELb1ELi2EiEENS_13DynamicBufferILNS_16AddressSpaceEnumE1EKS2_lLb1ELNS_22AmdBufferCoherenceEnumE0EiEENS5_IJNS36_ILS37_2ES2_S1E_Lb1ELS39_0EiEES3B_EEENS5_IJiiiEEENS4_INS5_IJNS6_INS5_IJiiiiEEENS5_IJiiiSD_EEELb0EEEEEES1K_S1M_S1L_lEENS_32ThreadwiseTensorSliceTransfer_v2IS3_S3_RKS3I_KS1O_NSU_IJLi8ELi1ELi1ELi32EEEENSU_IJLi1ELi2ELi0ELi3EEEELi3ELi32ELi0ELb1ELb0ELb0EEENS36_ILS37_1EKS3_lLb1ELS39_0EiEENS5_IJNS_12StaticBufferILS37_4ES3_Li256ELb1EEES3T_EEES3E_NS_25StaticBufferTupleOfVectorILS37_4EfLi64ELi4ELb1ELb0EEEEEvRKT1_RKT2_RT3_RKT4_RT5_RKT6_RKT7_RT8_RKT9_RT10_RKT11_RT12_i@rel32@hi+12
	s_waitcnt vmcnt(62)
	v_mul_lo_u32 v0, v2, v1
	v_ashrrev_i32_e32 v1, 31, v0
	v_lshrrev_b32_e32 v1, 25, v1
	v_add_u32_e32 v0, v0, v1
	v_ashrrev_i32_e32 v0, 7, v0
	v_readfirstlane_b32 s4, v0
	v_mov_b32_e32 v0, 0x3b0
	v_mov_b32_e32 v1, s5
	;; [unrolled: 1-line block ×4, first 2 shown]
	s_swappc_b64 s[30:31], s[6:7]
	s_waitcnt lgkmcnt(0)
	s_barrier
	buffer_load_dword v5, off, s[0:3], 0 offset:2176
	buffer_load_dword v7, off, s[0:3], 0 offset:2180
	;; [unrolled: 1-line block ×4, first 2 shown]
	v_and_b32_e32 v0, 15, v41
	v_lshrrev_b32_e32 v1, 2, v41
	v_lshlrev_b32_e32 v3, 2, v41
	v_lshlrev_b32_e32 v4, 3, v41
	s_movk_i32 s4, 0x180
	v_lshrrev_b32_e32 v10, 3, v41
	v_and_b32_e32 v1, 16, v1
	v_and_b32_e32 v6, 0x200, v3
	v_and_or_b32 v0, v4, s4, v0
	v_and_b32_e32 v3, 28, v3
	s_add_i32 s5, s49, s51
	v_lshl_or_b32 v4, s50, 8, v10
	v_or3_b32 v11, v0, v6, v1
	v_lshl_or_b32 v6, s47, 8, v3
	s_lshl_b32 s54, s5, 1
	v_lshlrev_b32_e32 v12, 1, v3
	v_lshlrev_b32_e32 v3, 1, v11
	v_cmp_gt_i32_e64 s[18:19], s48, v4
	v_cmp_gt_i32_e32 vcc, s49, v6
	v_bfrev_b32_e32 v2, 1
	s_mov_b32 s55, 0x20000
	v_or_b32_e32 v11, 32, v6
	s_lshl_b32 s22, s56, 5
	v_or_b32_e32 v21, 64, v4
	v_or_b32_e32 v33, 0x60, v4
	s_waitcnt vmcnt(3)
	v_cvt_f16_f32_e32 v5, v5
	s_waitcnt vmcnt(2)
	v_mad_u64_u32 v[0:1], s[4:5], v4, s56, v[6:7]
	v_cvt_f16_f32_e32 v7, v7
	s_waitcnt vmcnt(1)
	v_cvt_f16_f32_e32 v8, v8
	v_lshl_or_b32 v1, v10, 6, v12
	s_waitcnt vmcnt(0)
	v_cvt_f16_f32_e32 v9, v9
	ds_write_b16 v3, v5
	ds_write_b16 v3, v7 offset:64
	ds_write_b16 v3, v8 offset:128
	;; [unrolled: 1-line block ×3, first 2 shown]
	s_waitcnt lgkmcnt(0)
	s_barrier
	ds_read_b64 v[8:9], v1
	s_and_b64 s[4:5], s[18:19], vcc
	v_lshlrev_b32_e32 v5, 1, v0
	v_cndmask_b32_e64 v7, v2, 0, s[4:5]
	v_add_u32_e32 v7, v7, v5
	s_waitcnt lgkmcnt(0)
	buffer_atomic_pk_add_f16 v8, v7, s[52:55], 0 offen
	buffer_atomic_pk_add_f16 v9, v7, s[52:55], 4 offen
	s_waitcnt lgkmcnt(0)
	s_barrier
	buffer_load_dword v7, off, s[0:3], 0 offset:2192
	buffer_load_dword v8, off, s[0:3], 0 offset:2196
	buffer_load_dword v9, off, s[0:3], 0 offset:2200
	buffer_load_dword v10, off, s[0:3], 0 offset:2204
	v_cmp_gt_i32_e64 s[4:5], s49, v11
	s_and_b64 s[6:7], s[18:19], s[4:5]
	v_or_b32_e32 v11, 64, v6
	s_waitcnt vmcnt(3)
	v_cvt_f16_f32_e32 v7, v7
	s_waitcnt vmcnt(2)
	v_cvt_f16_f32_e32 v8, v8
	s_waitcnt vmcnt(1)
	v_cvt_f16_f32_e32 v9, v9
	s_waitcnt vmcnt(0)
	v_cvt_f16_f32_e32 v10, v10
	ds_write_b16 v3, v7
	ds_write_b16 v3, v8 offset:64
	ds_write_b16 v3, v9 offset:128
	ds_write_b16 v3, v10 offset:192
	s_waitcnt lgkmcnt(0)
	s_barrier
	ds_read_b64 v[8:9], v1
	v_cndmask_b32_e64 v7, v2, 0, s[6:7]
	v_add_u32_e32 v7, v5, v7
	s_waitcnt lgkmcnt(0)
	buffer_atomic_pk_add_f16 v8, v7, s[52:55], 0 offen offset:64
	buffer_atomic_pk_add_f16 v9, v7, s[52:55], 4 offen offset:64
	s_waitcnt lgkmcnt(0)
	s_barrier
	buffer_load_dword v7, off, s[0:3], 0 offset:2208
	buffer_load_dword v8, off, s[0:3], 0 offset:2212
	buffer_load_dword v9, off, s[0:3], 0 offset:2216
	buffer_load_dword v10, off, s[0:3], 0 offset:2220
	v_cmp_gt_i32_e64 s[6:7], s49, v11
	s_and_b64 s[8:9], s[18:19], s[6:7]
	v_or_b32_e32 v11, 0x60, v6
	s_waitcnt vmcnt(3)
	v_cvt_f16_f32_e32 v7, v7
	s_waitcnt vmcnt(2)
	v_cvt_f16_f32_e32 v8, v8
	s_waitcnt vmcnt(1)
	v_cvt_f16_f32_e32 v9, v9
	s_waitcnt vmcnt(0)
	v_cvt_f16_f32_e32 v10, v10
	ds_write_b16 v3, v7
	ds_write_b16 v3, v8 offset:64
	ds_write_b16 v3, v9 offset:128
	ds_write_b16 v3, v10 offset:192
	s_waitcnt lgkmcnt(0)
	s_barrier
	ds_read_b64 v[8:9], v1
	v_cndmask_b32_e64 v7, v2, 0, s[8:9]
	v_add_u32_e32 v7, v5, v7
	s_waitcnt lgkmcnt(0)
	buffer_atomic_pk_add_f16 v8, v7, s[52:55], 0 offen offset:128
	buffer_atomic_pk_add_f16 v9, v7, s[52:55], 4 offen offset:128
	;; [unrolled: 29-line block ×5, first 2 shown]
	s_waitcnt lgkmcnt(0)
	s_barrier
	buffer_load_dword v7, off, s[0:3], 0 offset:2272
	buffer_load_dword v8, off, s[0:3], 0 offset:2276
	;; [unrolled: 1-line block ×4, first 2 shown]
	v_cmp_gt_i32_e64 s[14:15], s49, v11
	s_and_b64 s[16:17], s[18:19], s[14:15]
	v_add_u32_e32 v11, 0xe0, v0
	v_add_lshl_u32 v20, v11, s22, 1
	v_add_u32_e32 v0, s22, v0
	v_add_u32_e32 v30, s22, v0
	v_lshlrev_b32_e32 v31, 1, v30
	s_waitcnt vmcnt(3)
	v_cvt_f16_f32_e32 v7, v7
	s_waitcnt vmcnt(2)
	v_cvt_f16_f32_e32 v8, v8
	;; [unrolled: 2-line block ×4, first 2 shown]
	ds_write_b16 v3, v7
	ds_write_b16 v3, v8 offset:64
	ds_write_b16 v3, v9 offset:128
	;; [unrolled: 1-line block ×3, first 2 shown]
	s_waitcnt lgkmcnt(0)
	s_barrier
	ds_read_b64 v[8:9], v1
	v_cndmask_b32_e64 v7, v2, 0, s[16:17]
	v_add_u32_e32 v5, v5, v7
	s_waitcnt lgkmcnt(0)
	buffer_atomic_pk_add_f16 v8, v5, s[52:55], 0 offen offset:384
	buffer_atomic_pk_add_f16 v9, v5, s[52:55], 4 offen offset:384
	s_waitcnt lgkmcnt(0)
	s_barrier
	buffer_load_dword v5, off, s[0:3], 0 offset:2288
	buffer_load_dword v7, off, s[0:3], 0 offset:2292
	;; [unrolled: 1-line block ×4, first 2 shown]
	v_or_b32_e32 v10, 0xe0, v6
	v_cmp_gt_i32_e64 s[16:17], s49, v10
	s_and_b64 s[18:19], s[18:19], s[16:17]
	s_waitcnt vmcnt(3)
	v_cvt_f16_f32_e32 v5, v5
	s_waitcnt vmcnt(2)
	v_cvt_f16_f32_e32 v6, v7
	;; [unrolled: 2-line block ×4, first 2 shown]
	ds_write_b16 v3, v5
	ds_write_b16 v3, v6 offset:64
	ds_write_b16 v3, v7 offset:128
	;; [unrolled: 1-line block ×3, first 2 shown]
	s_waitcnt lgkmcnt(0)
	s_barrier
	ds_read_b64 v[6:7], v1
	v_cndmask_b32_e64 v5, v2, 0, s[18:19]
	v_lshl_add_u32 v5, v11, 1, v5
	s_waitcnt lgkmcnt(0)
	buffer_atomic_pk_add_f16 v6, v5, s[52:55], 0 offen
	buffer_atomic_pk_add_f16 v7, v5, s[52:55], 4 offen
	s_waitcnt lgkmcnt(0)
	s_barrier
	buffer_load_dword v5, off, s[0:3], 0 offset:2416
	buffer_load_dword v6, off, s[0:3], 0 offset:2420
	buffer_load_dword v7, off, s[0:3], 0 offset:2424
	buffer_load_dword v8, off, s[0:3], 0 offset:2428
	v_or_b32_e32 v9, 32, v4
	v_cmp_gt_i32_e64 s[18:19], s48, v9
	s_and_b64 s[20:21], s[18:19], s[16:17]
	s_waitcnt vmcnt(3)
	v_cvt_f16_f32_e32 v5, v5
	s_waitcnt vmcnt(2)
	v_cvt_f16_f32_e32 v6, v6
	;; [unrolled: 2-line block ×4, first 2 shown]
	ds_write_b16 v3, v5
	ds_write_b16 v3, v6 offset:64
	ds_write_b16 v3, v7 offset:128
	;; [unrolled: 1-line block ×3, first 2 shown]
	s_waitcnt lgkmcnt(0)
	s_barrier
	ds_read_b64 v[6:7], v1
	v_cndmask_b32_e64 v5, v2, 0, s[20:21]
	v_add_u32_e32 v5, v20, v5
	s_waitcnt lgkmcnt(0)
	buffer_atomic_pk_add_f16 v6, v5, s[52:55], 0 offen
	buffer_atomic_pk_add_f16 v7, v5, s[52:55], 4 offen
	s_waitcnt lgkmcnt(0)
	s_barrier
	buffer_load_dword v6, off, s[0:3], 0 offset:2400
	buffer_load_dword v7, off, s[0:3], 0 offset:2404
	;; [unrolled: 1-line block ×4, first 2 shown]
	v_mov_b32_e32 v5, 0x7fffffc0
	s_and_b64 s[20:21], s[18:19], s[14:15]
	s_waitcnt vmcnt(3)
	v_cvt_f16_f32_e32 v6, v6
	s_waitcnt vmcnt(2)
	v_cvt_f16_f32_e32 v7, v7
	;; [unrolled: 2-line block ×4, first 2 shown]
	ds_write_b16 v3, v6
	ds_write_b16 v3, v7 offset:64
	ds_write_b16 v3, v8 offset:128
	;; [unrolled: 1-line block ×3, first 2 shown]
	s_waitcnt lgkmcnt(0)
	s_barrier
	ds_read_b64 v[8:9], v1
	v_not_b32_e32 v7, 63
	v_cndmask_b32_e64 v6, v5, v7, s[20:21]
	v_add_u32_e32 v6, v20, v6
	s_waitcnt lgkmcnt(0)
	buffer_atomic_pk_add_f16 v8, v6, s[52:55], 0 offen
	buffer_atomic_pk_add_f16 v9, v6, s[52:55], 4 offen
	s_waitcnt lgkmcnt(0)
	s_barrier
	buffer_load_dword v8, off, s[0:3], 0 offset:2384
	buffer_load_dword v9, off, s[0:3], 0 offset:2388
	buffer_load_dword v10, off, s[0:3], 0 offset:2392
	buffer_load_dword v11, off, s[0:3], 0 offset:2396
	v_mov_b32_e32 v6, 0x7fffff80
	s_and_b64 s[20:21], s[18:19], s[12:13]
	s_waitcnt vmcnt(3)
	v_cvt_f16_f32_e32 v8, v8
	s_waitcnt vmcnt(2)
	v_cvt_f16_f32_e32 v9, v9
	s_waitcnt vmcnt(1)
	v_cvt_f16_f32_e32 v10, v10
	s_waitcnt vmcnt(0)
	v_cvt_f16_f32_e32 v11, v11
	ds_write_b16 v3, v8
	ds_write_b16 v3, v9 offset:64
	ds_write_b16 v3, v10 offset:128
	ds_write_b16 v3, v11 offset:192
	s_waitcnt lgkmcnt(0)
	s_barrier
	ds_read_b64 v[10:11], v1
	v_mov_b32_e32 v9, 0xffffff80
	v_cndmask_b32_e64 v8, v6, v9, s[20:21]
	v_add_u32_e32 v8, v20, v8
	s_waitcnt lgkmcnt(0)
	buffer_atomic_pk_add_f16 v10, v8, s[52:55], 0 offen
	buffer_atomic_pk_add_f16 v11, v8, s[52:55], 4 offen
	s_waitcnt lgkmcnt(0)
	s_barrier
	buffer_load_dword v10, off, s[0:3], 0 offset:2368
	buffer_load_dword v11, off, s[0:3], 0 offset:2372
	buffer_load_dword v12, off, s[0:3], 0 offset:2376
	buffer_load_dword v13, off, s[0:3], 0 offset:2380
	v_mov_b32_e32 v8, 0x7fffff40
	s_and_b64 s[20:21], s[18:19], s[10:11]
	s_waitcnt vmcnt(3)
	v_cvt_f16_f32_e32 v10, v10
	s_waitcnt vmcnt(2)
	v_cvt_f16_f32_e32 v11, v11
	s_waitcnt vmcnt(1)
	v_cvt_f16_f32_e32 v12, v12
	s_waitcnt vmcnt(0)
	v_cvt_f16_f32_e32 v13, v13
	ds_write_b16 v3, v10
	ds_write_b16 v3, v11 offset:64
	ds_write_b16 v3, v12 offset:128
	ds_write_b16 v3, v13 offset:192
	s_waitcnt lgkmcnt(0)
	s_barrier
	ds_read_b64 v[12:13], v1
	v_mov_b32_e32 v11, 0xffffff40
	;; [unrolled: 29-line block ×4, first 2 shown]
	v_cndmask_b32_e64 v14, v12, v15, s[20:21]
	v_add_u32_e32 v14, v20, v14
	s_waitcnt lgkmcnt(0)
	buffer_atomic_pk_add_f16 v16, v14, s[52:55], 0 offen
	buffer_atomic_pk_add_f16 v17, v14, s[52:55], 4 offen
	s_waitcnt lgkmcnt(0)
	s_barrier
	buffer_load_dword v16, off, s[0:3], 0 offset:2320
	buffer_load_dword v17, off, s[0:3], 0 offset:2324
	;; [unrolled: 1-line block ×4, first 2 shown]
	v_mov_b32_e32 v14, 0x7ffffe80
	s_and_b64 s[20:21], s[18:19], s[4:5]
	s_and_b64 s[18:19], vcc, s[18:19]
	s_waitcnt vmcnt(3)
	v_cvt_f16_f32_e32 v16, v16
	s_waitcnt vmcnt(2)
	v_cvt_f16_f32_e32 v17, v17
	;; [unrolled: 2-line block ×4, first 2 shown]
	ds_write_b16 v3, v16
	ds_write_b16 v3, v17 offset:64
	ds_write_b16 v3, v18 offset:128
	ds_write_b16 v3, v19 offset:192
	s_waitcnt lgkmcnt(0)
	s_barrier
	ds_read_b64 v[18:19], v1
	v_mov_b32_e32 v16, 0xfffffe80
	v_cndmask_b32_e64 v17, v14, v16, s[20:21]
	v_add_u32_e32 v17, v20, v17
	s_waitcnt lgkmcnt(0)
	buffer_atomic_pk_add_f16 v18, v17, s[52:55], 0 offen
	buffer_atomic_pk_add_f16 v19, v17, s[52:55], 4 offen
	s_waitcnt lgkmcnt(0)
	s_barrier
	buffer_load_dword v17, off, s[0:3], 0 offset:2304
	buffer_load_dword v18, off, s[0:3], 0 offset:2308
	buffer_load_dword v19, off, s[0:3], 0 offset:2312
	buffer_load_dword v20, off, s[0:3], 0 offset:2316
	s_waitcnt vmcnt(3)
	v_cvt_f16_f32_e32 v17, v17
	s_waitcnt vmcnt(2)
	v_cvt_f16_f32_e32 v18, v18
	;; [unrolled: 2-line block ×4, first 2 shown]
	ds_write_b16 v3, v17
	ds_write_b16 v3, v18 offset:64
	ds_write_b16 v3, v19 offset:128
	;; [unrolled: 1-line block ×3, first 2 shown]
	s_waitcnt lgkmcnt(0)
	s_barrier
	ds_read_b64 v[18:19], v1
	v_cndmask_b32_e64 v17, v2, 0, s[18:19]
	v_lshl_add_u32 v17, v0, 1, v17
	s_waitcnt lgkmcnt(0)
	buffer_atomic_pk_add_f16 v18, v17, s[52:55], 0 offen
	buffer_atomic_pk_add_f16 v19, v17, s[52:55], 4 offen
	s_waitcnt lgkmcnt(0)
	s_barrier
	buffer_load_dword v17, off, s[0:3], 0 offset:2432
	buffer_load_dword v18, off, s[0:3], 0 offset:2436
	;; [unrolled: 1-line block ×4, first 2 shown]
	v_cmp_gt_i32_e64 s[18:19], s48, v21
	s_and_b64 s[20:21], vcc, s[18:19]
	s_waitcnt vmcnt(3)
	v_cvt_f16_f32_e32 v17, v17
	s_waitcnt vmcnt(2)
	v_cvt_f16_f32_e32 v18, v18
	;; [unrolled: 2-line block ×4, first 2 shown]
	ds_write_b16 v3, v17
	ds_write_b16 v3, v18 offset:64
	ds_write_b16 v3, v19 offset:128
	;; [unrolled: 1-line block ×3, first 2 shown]
	s_waitcnt lgkmcnt(0)
	s_barrier
	ds_read_b64 v[18:19], v1
	v_cndmask_b32_e64 v17, v2, 0, s[20:21]
	v_add_u32_e32 v0, v31, v17
	s_waitcnt lgkmcnt(0)
	buffer_atomic_pk_add_f16 v18, v0, s[52:55], 0 offen
	buffer_atomic_pk_add_f16 v19, v0, s[52:55], 4 offen
	s_waitcnt lgkmcnt(0)
	s_barrier
	buffer_load_dword v0, off, s[0:3], 0 offset:2448
	buffer_load_dword v17, off, s[0:3], 0 offset:2452
	;; [unrolled: 1-line block ×4, first 2 shown]
	s_and_b64 s[20:21], s[18:19], s[4:5]
	s_waitcnt vmcnt(3)
	v_cvt_f16_f32_e32 v0, v0
	s_waitcnt vmcnt(2)
	v_cvt_f16_f32_e32 v17, v17
	s_waitcnt vmcnt(1)
	v_cvt_f16_f32_e32 v18, v18
	s_waitcnt vmcnt(0)
	v_cvt_f16_f32_e32 v19, v19
	ds_write_b16 v3, v0
	ds_write_b16 v3, v17 offset:64
	ds_write_b16 v3, v18 offset:128
	ds_write_b16 v3, v19 offset:192
	s_waitcnt lgkmcnt(0)
	s_barrier
	ds_read_b64 v[18:19], v1
	v_mov_b32_e32 v17, 0x80000040
	v_cndmask_b32_e64 v0, v17, 64, s[20:21]
	v_add_u32_e32 v0, v31, v0
	s_waitcnt lgkmcnt(0)
	buffer_atomic_pk_add_f16 v18, v0, s[52:55], 0 offen
	buffer_atomic_pk_add_f16 v19, v0, s[52:55], 4 offen
	s_waitcnt lgkmcnt(0)
	s_barrier
	buffer_load_dword v18, off, s[0:3], 0 offset:2464
	buffer_load_dword v19, off, s[0:3], 0 offset:2468
	buffer_load_dword v20, off, s[0:3], 0 offset:2472
	buffer_load_dword v21, off, s[0:3], 0 offset:2476
	v_mov_b32_e32 v0, 0x80000080
	s_and_b64 s[20:21], s[18:19], s[6:7]
	s_waitcnt vmcnt(3)
	v_cvt_f16_f32_e32 v18, v18
	s_waitcnt vmcnt(2)
	v_cvt_f16_f32_e32 v19, v19
	s_waitcnt vmcnt(1)
	v_cvt_f16_f32_e32 v20, v20
	s_waitcnt vmcnt(0)
	v_cvt_f16_f32_e32 v21, v21
	ds_write_b16 v3, v18
	ds_write_b16 v3, v19 offset:64
	ds_write_b16 v3, v20 offset:128
	ds_write_b16 v3, v21 offset:192
	s_waitcnt lgkmcnt(0)
	s_barrier
	ds_read_b64 v[20:21], v1
	v_mov_b32_e32 v19, 0x80
	v_cndmask_b32_e64 v18, v0, v19, s[20:21]
	v_add_u32_e32 v18, v31, v18
	s_waitcnt lgkmcnt(0)
	buffer_atomic_pk_add_f16 v20, v18, s[52:55], 0 offen
	buffer_atomic_pk_add_f16 v21, v18, s[52:55], 4 offen
	s_waitcnt lgkmcnt(0)
	s_barrier
	buffer_load_dword v20, off, s[0:3], 0 offset:2480
	buffer_load_dword v21, off, s[0:3], 0 offset:2484
	buffer_load_dword v22, off, s[0:3], 0 offset:2488
	buffer_load_dword v23, off, s[0:3], 0 offset:2492
	v_mov_b32_e32 v18, 0x800000c0
	;; [unrolled: 29-line block ×5, first 2 shown]
	s_and_b64 s[20:21], s[18:19], s[14:15]
	s_and_b64 s[18:19], s[18:19], s[16:17]
	s_waitcnt vmcnt(3)
	v_cvt_f16_f32_e32 v26, v26
	s_waitcnt vmcnt(2)
	v_cvt_f16_f32_e32 v27, v27
	;; [unrolled: 2-line block ×4, first 2 shown]
	ds_write_b16 v3, v26
	ds_write_b16 v3, v27 offset:64
	ds_write_b16 v3, v28 offset:128
	;; [unrolled: 1-line block ×3, first 2 shown]
	s_waitcnt lgkmcnt(0)
	s_barrier
	ds_read_b64 v[28:29], v1
	v_mov_b32_e32 v26, 0x180
	v_cndmask_b32_e64 v27, v24, v26, s[20:21]
	v_add_u32_e32 v27, v31, v27
	s_waitcnt lgkmcnt(0)
	buffer_atomic_pk_add_f16 v28, v27, s[52:55], 0 offen
	buffer_atomic_pk_add_f16 v29, v27, s[52:55], 4 offen
	s_waitcnt lgkmcnt(0)
	s_barrier
	buffer_load_dword v27, off, s[0:3], 0 offset:2544
	buffer_load_dword v28, off, s[0:3], 0 offset:2548
	;; [unrolled: 1-line block ×4, first 2 shown]
	s_waitcnt vmcnt(3)
	v_cvt_f16_f32_e32 v27, v27
	s_waitcnt vmcnt(2)
	v_cvt_f16_f32_e32 v28, v28
	;; [unrolled: 2-line block ×4, first 2 shown]
	ds_write_b16 v3, v27
	ds_write_b16 v3, v28 offset:64
	ds_write_b16 v3, v29 offset:128
	;; [unrolled: 1-line block ×3, first 2 shown]
	s_waitcnt lgkmcnt(0)
	s_barrier
	ds_read_b64 v[28:29], v1
	v_cndmask_b32_e64 v27, v2, 0, s[18:19]
	v_add_u32_e32 v31, 0xe0, v30
	v_lshl_add_u32 v27, v31, 1, v27
	s_waitcnt lgkmcnt(0)
	buffer_atomic_pk_add_f16 v28, v27, s[52:55], 0 offen
	buffer_atomic_pk_add_f16 v29, v27, s[52:55], 4 offen
	s_waitcnt lgkmcnt(0)
	s_barrier
	buffer_load_dword v27, off, s[0:3], 0 offset:2672
	buffer_load_dword v28, off, s[0:3], 0 offset:2676
	;; [unrolled: 1-line block ×4, first 2 shown]
	v_cmp_gt_i32_e64 s[18:19], s48, v33
	s_and_b64 s[20:21], s[18:19], s[16:17]
	v_add_lshl_u32 v31, v31, s22, 1
	v_add_u32_e32 v30, s22, v30
	v_or_b32_e32 v33, 0xa0, v4
	s_waitcnt vmcnt(3)
	v_cvt_f16_f32_e32 v27, v27
	s_waitcnt vmcnt(2)
	v_cvt_f16_f32_e32 v28, v28
	s_waitcnt vmcnt(1)
	v_cvt_f16_f32_e32 v29, v29
	s_waitcnt vmcnt(0)
	v_cvt_f16_f32_e32 v32, v32
	ds_write_b16 v3, v27
	ds_write_b16 v3, v28 offset:64
	ds_write_b16 v3, v29 offset:128
	ds_write_b16 v3, v32 offset:192
	s_waitcnt lgkmcnt(0)
	s_barrier
	ds_read_b64 v[28:29], v1
	v_cndmask_b32_e64 v27, v2, 0, s[20:21]
	v_add_u32_e32 v27, v31, v27
	s_waitcnt lgkmcnt(0)
	buffer_atomic_pk_add_f16 v28, v27, s[52:55], 0 offen
	buffer_atomic_pk_add_f16 v29, v27, s[52:55], 4 offen
	s_waitcnt lgkmcnt(0)
	s_barrier
	buffer_load_dword v27, off, s[0:3], 0 offset:2656
	buffer_load_dword v28, off, s[0:3], 0 offset:2660
	buffer_load_dword v29, off, s[0:3], 0 offset:2664
	buffer_load_dword v32, off, s[0:3], 0 offset:2668
	s_and_b64 s[20:21], s[18:19], s[14:15]
	s_waitcnt vmcnt(3)
	v_cvt_f16_f32_e32 v27, v27
	s_waitcnt vmcnt(2)
	v_cvt_f16_f32_e32 v28, v28
	s_waitcnt vmcnt(1)
	v_cvt_f16_f32_e32 v29, v29
	s_waitcnt vmcnt(0)
	v_cvt_f16_f32_e32 v32, v32
	ds_write_b16 v3, v27
	ds_write_b16 v3, v28 offset:64
	ds_write_b16 v3, v29 offset:128
	ds_write_b16 v3, v32 offset:192
	s_waitcnt lgkmcnt(0)
	s_barrier
	ds_read_b64 v[28:29], v1
	v_cndmask_b32_e64 v27, v5, v7, s[20:21]
	v_add_u32_e32 v27, v31, v27
	s_waitcnt lgkmcnt(0)
	buffer_atomic_pk_add_f16 v28, v27, s[52:55], 0 offen
	buffer_atomic_pk_add_f16 v29, v27, s[52:55], 4 offen
	s_waitcnt lgkmcnt(0)
	s_barrier
	buffer_load_dword v27, off, s[0:3], 0 offset:2640
	buffer_load_dword v28, off, s[0:3], 0 offset:2644
	buffer_load_dword v29, off, s[0:3], 0 offset:2648
	buffer_load_dword v32, off, s[0:3], 0 offset:2652
	s_and_b64 s[20:21], s[18:19], s[12:13]
	;; [unrolled: 27-line block ×6, first 2 shown]
	s_and_b64 s[18:19], vcc, s[18:19]
	s_waitcnt vmcnt(3)
	v_cvt_f16_f32_e32 v27, v27
	s_waitcnt vmcnt(2)
	v_cvt_f16_f32_e32 v28, v28
	;; [unrolled: 2-line block ×4, first 2 shown]
	ds_write_b16 v3, v27
	ds_write_b16 v3, v28 offset:64
	ds_write_b16 v3, v29 offset:128
	;; [unrolled: 1-line block ×3, first 2 shown]
	s_waitcnt lgkmcnt(0)
	s_barrier
	ds_read_b64 v[28:29], v1
	v_cndmask_b32_e64 v27, v14, v16, s[20:21]
	v_add_u32_e32 v27, v31, v27
	s_waitcnt lgkmcnt(0)
	buffer_atomic_pk_add_f16 v28, v27, s[52:55], 0 offen
	buffer_atomic_pk_add_f16 v29, v27, s[52:55], 4 offen
	s_waitcnt lgkmcnt(0)
	s_barrier
	buffer_load_dword v27, off, s[0:3], 0 offset:2560
	buffer_load_dword v28, off, s[0:3], 0 offset:2564
	;; [unrolled: 1-line block ×4, first 2 shown]
	v_or_b32_e32 v32, 0x80, v4
	s_waitcnt vmcnt(3)
	v_cvt_f16_f32_e32 v27, v27
	s_waitcnt vmcnt(2)
	v_cvt_f16_f32_e32 v28, v28
	;; [unrolled: 2-line block ×4, first 2 shown]
	ds_write_b16 v3, v27
	ds_write_b16 v3, v28 offset:64
	ds_write_b16 v3, v29 offset:128
	;; [unrolled: 1-line block ×3, first 2 shown]
	s_waitcnt lgkmcnt(0)
	s_barrier
	ds_read_b64 v[28:29], v1
	v_cndmask_b32_e64 v27, v2, 0, s[18:19]
	v_lshl_add_u32 v27, v30, 1, v27
	s_waitcnt lgkmcnt(0)
	buffer_atomic_pk_add_f16 v28, v27, s[52:55], 0 offen
	buffer_atomic_pk_add_f16 v29, v27, s[52:55], 4 offen
	s_waitcnt lgkmcnt(0)
	s_barrier
	buffer_load_dword v27, off, s[0:3], 0 offset:2688
	buffer_load_dword v28, off, s[0:3], 0 offset:2692
	buffer_load_dword v29, off, s[0:3], 0 offset:2696
	buffer_load_dword v31, off, s[0:3], 0 offset:2700
	v_cmp_gt_i32_e64 s[18:19], s48, v32
	s_and_b64 s[20:21], vcc, s[18:19]
	v_add_u32_e32 v30, s22, v30
	s_waitcnt vmcnt(3)
	v_cvt_f16_f32_e32 v27, v27
	s_waitcnt vmcnt(2)
	v_cvt_f16_f32_e32 v28, v28
	;; [unrolled: 2-line block ×4, first 2 shown]
	ds_write_b16 v3, v27
	ds_write_b16 v3, v28 offset:64
	ds_write_b16 v3, v29 offset:128
	;; [unrolled: 1-line block ×3, first 2 shown]
	s_waitcnt lgkmcnt(0)
	s_barrier
	ds_read_b64 v[28:29], v1
	v_cndmask_b32_e64 v27, v2, 0, s[20:21]
	v_lshlrev_b32_e32 v31, 1, v30
	v_add_u32_e32 v27, v31, v27
	s_waitcnt lgkmcnt(0)
	buffer_atomic_pk_add_f16 v28, v27, s[52:55], 0 offen
	buffer_atomic_pk_add_f16 v29, v27, s[52:55], 4 offen
	s_waitcnt lgkmcnt(0)
	s_barrier
	buffer_load_dword v27, off, s[0:3], 0 offset:2704
	buffer_load_dword v28, off, s[0:3], 0 offset:2708
	buffer_load_dword v29, off, s[0:3], 0 offset:2712
	buffer_load_dword v32, off, s[0:3], 0 offset:2716
	s_and_b64 s[20:21], s[18:19], s[4:5]
	s_waitcnt vmcnt(3)
	v_cvt_f16_f32_e32 v27, v27
	s_waitcnt vmcnt(2)
	v_cvt_f16_f32_e32 v28, v28
	s_waitcnt vmcnt(1)
	v_cvt_f16_f32_e32 v29, v29
	s_waitcnt vmcnt(0)
	v_cvt_f16_f32_e32 v32, v32
	ds_write_b16 v3, v27
	ds_write_b16 v3, v28 offset:64
	ds_write_b16 v3, v29 offset:128
	ds_write_b16 v3, v32 offset:192
	s_waitcnt lgkmcnt(0)
	s_barrier
	ds_read_b64 v[28:29], v1
	v_cndmask_b32_e64 v27, v17, 64, s[20:21]
	v_add_u32_e32 v27, v31, v27
	s_waitcnt lgkmcnt(0)
	buffer_atomic_pk_add_f16 v28, v27, s[52:55], 0 offen
	buffer_atomic_pk_add_f16 v29, v27, s[52:55], 4 offen
	s_waitcnt lgkmcnt(0)
	s_barrier
	buffer_load_dword v27, off, s[0:3], 0 offset:2720
	buffer_load_dword v28, off, s[0:3], 0 offset:2724
	buffer_load_dword v29, off, s[0:3], 0 offset:2728
	buffer_load_dword v32, off, s[0:3], 0 offset:2732
	s_and_b64 s[20:21], s[18:19], s[6:7]
	s_waitcnt vmcnt(3)
	v_cvt_f16_f32_e32 v27, v27
	s_waitcnt vmcnt(2)
	v_cvt_f16_f32_e32 v28, v28
	s_waitcnt vmcnt(1)
	v_cvt_f16_f32_e32 v29, v29
	s_waitcnt vmcnt(0)
	v_cvt_f16_f32_e32 v32, v32
	ds_write_b16 v3, v27
	ds_write_b16 v3, v28 offset:64
	ds_write_b16 v3, v29 offset:128
	ds_write_b16 v3, v32 offset:192
	s_waitcnt lgkmcnt(0)
	s_barrier
	ds_read_b64 v[28:29], v1
	v_cndmask_b32_e64 v27, v0, v19, s[20:21]
	v_add_u32_e32 v27, v31, v27
	s_waitcnt lgkmcnt(0)
	buffer_atomic_pk_add_f16 v28, v27, s[52:55], 0 offen
	buffer_atomic_pk_add_f16 v29, v27, s[52:55], 4 offen
	s_waitcnt lgkmcnt(0)
	s_barrier
	buffer_load_dword v27, off, s[0:3], 0 offset:2736
	buffer_load_dword v28, off, s[0:3], 0 offset:2740
	buffer_load_dword v29, off, s[0:3], 0 offset:2744
	buffer_load_dword v32, off, s[0:3], 0 offset:2748
	s_and_b64 s[20:21], s[18:19], s[8:9]
	s_waitcnt vmcnt(3)
	v_cvt_f16_f32_e32 v27, v27
	s_waitcnt vmcnt(2)
	v_cvt_f16_f32_e32 v28, v28
	s_waitcnt vmcnt(1)
	v_cvt_f16_f32_e32 v29, v29
	s_waitcnt vmcnt(0)
	v_cvt_f16_f32_e32 v32, v32
	ds_write_b16 v3, v27
	ds_write_b16 v3, v28 offset:64
	ds_write_b16 v3, v29 offset:128
	ds_write_b16 v3, v32 offset:192
	s_waitcnt lgkmcnt(0)
	s_barrier
	ds_read_b64 v[28:29], v1
	v_cndmask_b32_e64 v27, v18, v21, s[20:21]
	v_add_u32_e32 v27, v31, v27
	s_waitcnt lgkmcnt(0)
	buffer_atomic_pk_add_f16 v28, v27, s[52:55], 0 offen
	buffer_atomic_pk_add_f16 v29, v27, s[52:55], 4 offen
	s_waitcnt lgkmcnt(0)
	s_barrier
	buffer_load_dword v27, off, s[0:3], 0 offset:2752
	buffer_load_dword v28, off, s[0:3], 0 offset:2756
	buffer_load_dword v29, off, s[0:3], 0 offset:2760
	buffer_load_dword v32, off, s[0:3], 0 offset:2764
	s_and_b64 s[20:21], s[18:19], s[10:11]
	s_waitcnt vmcnt(3)
	v_cvt_f16_f32_e32 v27, v27
	s_waitcnt vmcnt(2)
	v_cvt_f16_f32_e32 v28, v28
	s_waitcnt vmcnt(1)
	v_cvt_f16_f32_e32 v29, v29
	s_waitcnt vmcnt(0)
	v_cvt_f16_f32_e32 v32, v32
	ds_write_b16 v3, v27
	ds_write_b16 v3, v28 offset:64
	ds_write_b16 v3, v29 offset:128
	ds_write_b16 v3, v32 offset:192
	s_waitcnt lgkmcnt(0)
	s_barrier
	ds_read_b64 v[28:29], v1
	v_cndmask_b32_e64 v27, v20, v23, s[20:21]
	v_add_u32_e32 v27, v31, v27
	s_waitcnt lgkmcnt(0)
	buffer_atomic_pk_add_f16 v28, v27, s[52:55], 0 offen
	buffer_atomic_pk_add_f16 v29, v27, s[52:55], 4 offen
	s_waitcnt lgkmcnt(0)
	s_barrier
	buffer_load_dword v27, off, s[0:3], 0 offset:2768
	buffer_load_dword v28, off, s[0:3], 0 offset:2772
	buffer_load_dword v29, off, s[0:3], 0 offset:2776
	buffer_load_dword v32, off, s[0:3], 0 offset:2780
	s_and_b64 s[20:21], s[18:19], s[12:13]
	s_waitcnt vmcnt(3)
	v_cvt_f16_f32_e32 v27, v27
	s_waitcnt vmcnt(2)
	v_cvt_f16_f32_e32 v28, v28
	s_waitcnt vmcnt(1)
	v_cvt_f16_f32_e32 v29, v29
	s_waitcnt vmcnt(0)
	v_cvt_f16_f32_e32 v32, v32
	ds_write_b16 v3, v27
	ds_write_b16 v3, v28 offset:64
	ds_write_b16 v3, v29 offset:128
	ds_write_b16 v3, v32 offset:192
	s_waitcnt lgkmcnt(0)
	s_barrier
	ds_read_b64 v[28:29], v1
	v_cndmask_b32_e64 v27, v22, v25, s[20:21]
	v_add_u32_e32 v27, v31, v27
	s_waitcnt lgkmcnt(0)
	buffer_atomic_pk_add_f16 v28, v27, s[52:55], 0 offen
	buffer_atomic_pk_add_f16 v29, v27, s[52:55], 4 offen
	s_waitcnt lgkmcnt(0)
	s_barrier
	buffer_load_dword v27, off, s[0:3], 0 offset:2784
	buffer_load_dword v28, off, s[0:3], 0 offset:2788
	;; [unrolled: 1-line block ×4, first 2 shown]
	s_and_b64 s[20:21], s[18:19], s[14:15]
	s_and_b64 s[18:19], s[18:19], s[16:17]
	s_waitcnt vmcnt(3)
	v_cvt_f16_f32_e32 v27, v27
	s_waitcnt vmcnt(2)
	v_cvt_f16_f32_e32 v28, v28
	;; [unrolled: 2-line block ×4, first 2 shown]
	ds_write_b16 v3, v27
	ds_write_b16 v3, v28 offset:64
	ds_write_b16 v3, v29 offset:128
	;; [unrolled: 1-line block ×3, first 2 shown]
	s_waitcnt lgkmcnt(0)
	s_barrier
	ds_read_b64 v[28:29], v1
	v_cndmask_b32_e64 v27, v24, v26, s[20:21]
	v_add_u32_e32 v27, v31, v27
	s_waitcnt lgkmcnt(0)
	buffer_atomic_pk_add_f16 v28, v27, s[52:55], 0 offen
	buffer_atomic_pk_add_f16 v29, v27, s[52:55], 4 offen
	s_waitcnt lgkmcnt(0)
	s_barrier
	buffer_load_dword v27, off, s[0:3], 0 offset:2800
	buffer_load_dword v28, off, s[0:3], 0 offset:2804
	;; [unrolled: 1-line block ×4, first 2 shown]
	s_waitcnt vmcnt(3)
	v_cvt_f16_f32_e32 v27, v27
	s_waitcnt vmcnt(2)
	v_cvt_f16_f32_e32 v28, v28
	;; [unrolled: 2-line block ×4, first 2 shown]
	ds_write_b16 v3, v27
	ds_write_b16 v3, v28 offset:64
	ds_write_b16 v3, v29 offset:128
	;; [unrolled: 1-line block ×3, first 2 shown]
	s_waitcnt lgkmcnt(0)
	s_barrier
	ds_read_b64 v[28:29], v1
	v_cndmask_b32_e64 v27, v2, 0, s[18:19]
	v_add_u32_e32 v31, 0xe0, v30
	v_lshl_add_u32 v27, v31, 1, v27
	s_waitcnt lgkmcnt(0)
	buffer_atomic_pk_add_f16 v28, v27, s[52:55], 0 offen
	buffer_atomic_pk_add_f16 v29, v27, s[52:55], 4 offen
	s_waitcnt lgkmcnt(0)
	s_barrier
	buffer_load_dword v27, off, s[0:3], 0 offset:2928
	buffer_load_dword v28, off, s[0:3], 0 offset:2932
	;; [unrolled: 1-line block ×4, first 2 shown]
	v_cmp_gt_i32_e64 s[18:19], s48, v33
	s_and_b64 s[20:21], s[18:19], s[16:17]
	v_add_lshl_u32 v31, v31, s22, 1
	v_add_u32_e32 v30, s22, v30
	s_waitcnt vmcnt(3)
	v_cvt_f16_f32_e32 v27, v27
	s_waitcnt vmcnt(2)
	v_cvt_f16_f32_e32 v28, v28
	s_waitcnt vmcnt(1)
	v_cvt_f16_f32_e32 v29, v29
	s_waitcnt vmcnt(0)
	v_cvt_f16_f32_e32 v32, v32
	ds_write_b16 v3, v27
	ds_write_b16 v3, v28 offset:64
	ds_write_b16 v3, v29 offset:128
	ds_write_b16 v3, v32 offset:192
	s_waitcnt lgkmcnt(0)
	s_barrier
	ds_read_b64 v[28:29], v1
	v_cndmask_b32_e64 v27, v2, 0, s[20:21]
	v_add_u32_e32 v27, v31, v27
	s_waitcnt lgkmcnt(0)
	buffer_atomic_pk_add_f16 v28, v27, s[52:55], 0 offen
	buffer_atomic_pk_add_f16 v29, v27, s[52:55], 4 offen
	s_waitcnt lgkmcnt(0)
	s_barrier
	buffer_load_dword v27, off, s[0:3], 0 offset:2912
	buffer_load_dword v28, off, s[0:3], 0 offset:2916
	buffer_load_dword v29, off, s[0:3], 0 offset:2920
	buffer_load_dword v32, off, s[0:3], 0 offset:2924
	s_and_b64 s[20:21], s[18:19], s[14:15]
	s_waitcnt vmcnt(3)
	v_cvt_f16_f32_e32 v27, v27
	s_waitcnt vmcnt(2)
	v_cvt_f16_f32_e32 v28, v28
	s_waitcnt vmcnt(1)
	v_cvt_f16_f32_e32 v29, v29
	s_waitcnt vmcnt(0)
	v_cvt_f16_f32_e32 v32, v32
	ds_write_b16 v3, v27
	ds_write_b16 v3, v28 offset:64
	ds_write_b16 v3, v29 offset:128
	ds_write_b16 v3, v32 offset:192
	s_waitcnt lgkmcnt(0)
	s_barrier
	ds_read_b64 v[28:29], v1
	v_cndmask_b32_e64 v27, v5, v7, s[20:21]
	v_add_u32_e32 v27, v31, v27
	s_waitcnt lgkmcnt(0)
	buffer_atomic_pk_add_f16 v28, v27, s[52:55], 0 offen
	buffer_atomic_pk_add_f16 v29, v27, s[52:55], 4 offen
	s_waitcnt lgkmcnt(0)
	s_barrier
	buffer_load_dword v27, off, s[0:3], 0 offset:2896
	buffer_load_dword v28, off, s[0:3], 0 offset:2900
	buffer_load_dword v29, off, s[0:3], 0 offset:2904
	buffer_load_dword v32, off, s[0:3], 0 offset:2908
	s_and_b64 s[20:21], s[18:19], s[12:13]
	;; [unrolled: 27-line block ×6, first 2 shown]
	s_and_b64 s[18:19], vcc, s[18:19]
	s_waitcnt vmcnt(3)
	v_cvt_f16_f32_e32 v27, v27
	s_waitcnt vmcnt(2)
	v_cvt_f16_f32_e32 v28, v28
	;; [unrolled: 2-line block ×4, first 2 shown]
	ds_write_b16 v3, v27
	ds_write_b16 v3, v28 offset:64
	ds_write_b16 v3, v29 offset:128
	;; [unrolled: 1-line block ×3, first 2 shown]
	s_waitcnt lgkmcnt(0)
	s_barrier
	ds_read_b64 v[28:29], v1
	v_cndmask_b32_e64 v27, v14, v16, s[20:21]
	v_add_u32_e32 v27, v31, v27
	s_waitcnt lgkmcnt(0)
	buffer_atomic_pk_add_f16 v28, v27, s[52:55], 0 offen
	buffer_atomic_pk_add_f16 v29, v27, s[52:55], 4 offen
	s_waitcnt lgkmcnt(0)
	s_barrier
	buffer_load_dword v27, off, s[0:3], 0 offset:2816
	buffer_load_dword v28, off, s[0:3], 0 offset:2820
	;; [unrolled: 1-line block ×4, first 2 shown]
	v_or_b32_e32 v32, 0xc0, v4
	v_or_b32_e32 v4, 0xe0, v4
	s_waitcnt vmcnt(3)
	v_cvt_f16_f32_e32 v27, v27
	s_waitcnt vmcnt(2)
	v_cvt_f16_f32_e32 v28, v28
	;; [unrolled: 2-line block ×4, first 2 shown]
	ds_write_b16 v3, v27
	ds_write_b16 v3, v28 offset:64
	ds_write_b16 v3, v29 offset:128
	;; [unrolled: 1-line block ×3, first 2 shown]
	s_waitcnt lgkmcnt(0)
	s_barrier
	ds_read_b64 v[28:29], v1
	v_cndmask_b32_e64 v27, v2, 0, s[18:19]
	v_lshl_add_u32 v27, v30, 1, v27
	s_waitcnt lgkmcnt(0)
	buffer_atomic_pk_add_f16 v28, v27, s[52:55], 0 offen
	buffer_atomic_pk_add_f16 v29, v27, s[52:55], 4 offen
	s_waitcnt lgkmcnt(0)
	s_barrier
	buffer_load_dword v27, off, s[0:3], 0 offset:2944
	buffer_load_dword v28, off, s[0:3], 0 offset:2948
	;; [unrolled: 1-line block ×4, first 2 shown]
	v_cmp_gt_i32_e64 s[18:19], s48, v32
	s_and_b64 s[20:21], vcc, s[18:19]
	v_add_u32_e32 v30, s22, v30
	s_waitcnt vmcnt(3)
	v_cvt_f16_f32_e32 v27, v27
	s_waitcnt vmcnt(2)
	v_cvt_f16_f32_e32 v28, v28
	;; [unrolled: 2-line block ×4, first 2 shown]
	ds_write_b16 v3, v27
	ds_write_b16 v3, v28 offset:64
	ds_write_b16 v3, v29 offset:128
	;; [unrolled: 1-line block ×3, first 2 shown]
	s_waitcnt lgkmcnt(0)
	s_barrier
	ds_read_b64 v[28:29], v1
	v_cndmask_b32_e64 v27, v2, 0, s[20:21]
	v_lshlrev_b32_e32 v31, 1, v30
	v_add_u32_e32 v27, v31, v27
	s_waitcnt lgkmcnt(0)
	buffer_atomic_pk_add_f16 v28, v27, s[52:55], 0 offen
	buffer_atomic_pk_add_f16 v29, v27, s[52:55], 4 offen
	s_waitcnt lgkmcnt(0)
	s_barrier
	buffer_load_dword v27, off, s[0:3], 0 offset:2960
	buffer_load_dword v28, off, s[0:3], 0 offset:2964
	;; [unrolled: 1-line block ×4, first 2 shown]
	s_and_b64 s[20:21], s[18:19], s[4:5]
	v_cndmask_b32_e64 v17, v17, 64, s[20:21]
	v_add_u32_e32 v17, v31, v17
	s_and_b64 s[20:21], s[18:19], s[6:7]
	v_cndmask_b32_e64 v0, v0, v19, s[20:21]
	v_add_u32_e32 v0, v31, v0
	s_and_b64 s[20:21], s[18:19], s[8:9]
	s_waitcnt vmcnt(3)
	v_cvt_f16_f32_e32 v27, v27
	s_waitcnt vmcnt(2)
	v_cvt_f16_f32_e32 v28, v28
	;; [unrolled: 2-line block ×4, first 2 shown]
	ds_write_b16 v3, v27
	ds_write_b16 v3, v28 offset:64
	ds_write_b16 v3, v29 offset:128
	;; [unrolled: 1-line block ×3, first 2 shown]
	s_waitcnt lgkmcnt(0)
	s_barrier
	ds_read_b64 v[28:29], v1
	s_waitcnt lgkmcnt(0)
	buffer_atomic_pk_add_f16 v28, v17, s[52:55], 0 offen
	buffer_atomic_pk_add_f16 v29, v17, s[52:55], 4 offen
	s_waitcnt lgkmcnt(0)
	s_barrier
	buffer_load_dword v17, off, s[0:3], 0 offset:2976
	buffer_load_dword v27, off, s[0:3], 0 offset:2980
	buffer_load_dword v28, off, s[0:3], 0 offset:2984
	buffer_load_dword v29, off, s[0:3], 0 offset:2988
	s_waitcnt vmcnt(3)
	v_cvt_f16_f32_e32 v17, v17
	s_waitcnt vmcnt(2)
	v_cvt_f16_f32_e32 v27, v27
	;; [unrolled: 2-line block ×4, first 2 shown]
	ds_write_b16 v3, v17
	ds_write_b16 v3, v27 offset:64
	ds_write_b16 v3, v28 offset:128
	;; [unrolled: 1-line block ×3, first 2 shown]
	s_waitcnt lgkmcnt(0)
	s_barrier
	ds_read_b64 v[28:29], v1
	s_waitcnt lgkmcnt(0)
	buffer_atomic_pk_add_f16 v28, v0, s[52:55], 0 offen
	buffer_atomic_pk_add_f16 v29, v0, s[52:55], 4 offen
	s_waitcnt lgkmcnt(0)
	s_barrier
	buffer_load_dword v0, off, s[0:3], 0 offset:2992
	buffer_load_dword v17, off, s[0:3], 0 offset:2996
	buffer_load_dword v19, off, s[0:3], 0 offset:3000
	buffer_load_dword v27, off, s[0:3], 0 offset:3004
	s_waitcnt vmcnt(3)
	v_cvt_f16_f32_e32 v0, v0
	s_waitcnt vmcnt(2)
	v_cvt_f16_f32_e32 v17, v17
	s_waitcnt vmcnt(1)
	v_cvt_f16_f32_e32 v19, v19
	s_waitcnt vmcnt(0)
	v_cvt_f16_f32_e32 v27, v27
	ds_write_b16 v3, v0
	ds_write_b16 v3, v17 offset:64
	ds_write_b16 v3, v19 offset:128
	ds_write_b16 v3, v27 offset:192
	s_waitcnt lgkmcnt(0)
	s_barrier
	ds_read_b64 v[28:29], v1
	v_cndmask_b32_e64 v0, v18, v21, s[20:21]
	v_add_u32_e32 v0, v31, v0
	s_waitcnt lgkmcnt(0)
	buffer_atomic_pk_add_f16 v28, v0, s[52:55], 0 offen
	buffer_atomic_pk_add_f16 v29, v0, s[52:55], 4 offen
	s_waitcnt lgkmcnt(0)
	s_barrier
	buffer_load_dword v0, off, s[0:3], 0 offset:3008
	buffer_load_dword v17, off, s[0:3], 0 offset:3012
	buffer_load_dword v18, off, s[0:3], 0 offset:3016
	buffer_load_dword v19, off, s[0:3], 0 offset:3020
	s_and_b64 s[20:21], s[18:19], s[10:11]
	s_waitcnt vmcnt(3)
	v_cvt_f16_f32_e32 v0, v0
	s_waitcnt vmcnt(2)
	v_cvt_f16_f32_e32 v17, v17
	s_waitcnt vmcnt(1)
	v_cvt_f16_f32_e32 v18, v18
	s_waitcnt vmcnt(0)
	v_cvt_f16_f32_e32 v19, v19
	ds_write_b16 v3, v0
	ds_write_b16 v3, v17 offset:64
	ds_write_b16 v3, v18 offset:128
	ds_write_b16 v3, v19 offset:192
	s_waitcnt lgkmcnt(0)
	s_barrier
	ds_read_b64 v[18:19], v1
	v_cndmask_b32_e64 v0, v20, v23, s[20:21]
	v_add_u32_e32 v0, v31, v0
	s_waitcnt lgkmcnt(0)
	buffer_atomic_pk_add_f16 v18, v0, s[52:55], 0 offen
	buffer_atomic_pk_add_f16 v19, v0, s[52:55], 4 offen
	s_waitcnt lgkmcnt(0)
	s_barrier
	buffer_load_dword v0, off, s[0:3], 0 offset:3024
	buffer_load_dword v17, off, s[0:3], 0 offset:3028
	buffer_load_dword v18, off, s[0:3], 0 offset:3032
	buffer_load_dword v19, off, s[0:3], 0 offset:3036
	s_and_b64 s[20:21], s[18:19], s[12:13]
	;; [unrolled: 27-line block ×3, first 2 shown]
	s_and_b64 s[18:19], s[18:19], s[16:17]
	s_waitcnt vmcnt(3)
	v_cvt_f16_f32_e32 v0, v0
	s_waitcnt vmcnt(2)
	v_cvt_f16_f32_e32 v17, v17
	s_waitcnt vmcnt(1)
	v_cvt_f16_f32_e32 v18, v18
	s_waitcnt vmcnt(0)
	v_cvt_f16_f32_e32 v19, v19
	ds_write_b16 v3, v0
	ds_write_b16 v3, v17 offset:64
	ds_write_b16 v3, v18 offset:128
	;; [unrolled: 1-line block ×3, first 2 shown]
	s_waitcnt lgkmcnt(0)
	s_barrier
	ds_read_b64 v[18:19], v1
	v_cndmask_b32_e64 v0, v24, v26, s[20:21]
	v_add_u32_e32 v0, v31, v0
	s_waitcnt lgkmcnt(0)
	buffer_atomic_pk_add_f16 v18, v0, s[52:55], 0 offen
	buffer_atomic_pk_add_f16 v19, v0, s[52:55], 4 offen
	s_waitcnt lgkmcnt(0)
	s_barrier
	buffer_load_dword v0, off, s[0:3], 0 offset:3056
	buffer_load_dword v17, off, s[0:3], 0 offset:3060
	;; [unrolled: 1-line block ×4, first 2 shown]
	s_waitcnt vmcnt(3)
	v_cvt_f16_f32_e32 v0, v0
	s_waitcnt vmcnt(2)
	v_cvt_f16_f32_e32 v17, v17
	;; [unrolled: 2-line block ×4, first 2 shown]
	ds_write_b16 v3, v0
	ds_write_b16 v3, v17 offset:64
	ds_write_b16 v3, v18 offset:128
	;; [unrolled: 1-line block ×3, first 2 shown]
	s_waitcnt lgkmcnt(0)
	s_barrier
	ds_read_b64 v[18:19], v1
	v_cndmask_b32_e64 v0, v2, 0, s[18:19]
	v_add_u32_e32 v17, 0xe0, v30
	v_lshl_add_u32 v0, v17, 1, v0
	s_waitcnt lgkmcnt(0)
	buffer_atomic_pk_add_f16 v18, v0, s[52:55], 0 offen
	buffer_atomic_pk_add_f16 v19, v0, s[52:55], 4 offen
	s_waitcnt lgkmcnt(0)
	s_barrier
	buffer_load_dword v0, off, s[0:3], 0 offset:3184
	buffer_load_dword v18, off, s[0:3], 0 offset:3188
	;; [unrolled: 1-line block ×4, first 2 shown]
	v_cmp_gt_i32_e64 s[18:19], s48, v4
	s_and_b64 s[16:17], s[18:19], s[16:17]
	v_add_lshl_u32 v17, v17, s22, 1
	s_and_b64 s[14:15], s[18:19], s[14:15]
	s_and_b64 s[12:13], s[18:19], s[12:13]
	;; [unrolled: 1-line block ×6, first 2 shown]
	s_waitcnt vmcnt(3)
	v_cvt_f16_f32_e32 v0, v0
	s_waitcnt vmcnt(2)
	v_cvt_f16_f32_e32 v4, v18
	s_waitcnt vmcnt(1)
	v_cvt_f16_f32_e32 v18, v19
	s_waitcnt vmcnt(0)
	v_cvt_f16_f32_e32 v19, v20
	ds_write_b16 v3, v0
	ds_write_b16 v3, v4 offset:64
	ds_write_b16 v3, v18 offset:128
	ds_write_b16 v3, v19 offset:192
	s_waitcnt lgkmcnt(0)
	s_barrier
	ds_read_b64 v[18:19], v1
	v_cndmask_b32_e64 v0, v2, 0, s[16:17]
	v_add_u32_e32 v0, v17, v0
	s_waitcnt lgkmcnt(0)
	buffer_atomic_pk_add_f16 v18, v0, s[52:55], 0 offen
	buffer_atomic_pk_add_f16 v19, v0, s[52:55], 4 offen
	s_waitcnt lgkmcnt(0)
	s_barrier
	buffer_load_dword v0, off, s[0:3], 0 offset:3168
	buffer_load_dword v4, off, s[0:3], 0 offset:3172
	buffer_load_dword v18, off, s[0:3], 0 offset:3176
	buffer_load_dword v19, off, s[0:3], 0 offset:3180
	s_waitcnt vmcnt(3)
	v_cvt_f16_f32_e32 v0, v0
	s_waitcnt vmcnt(2)
	v_cvt_f16_f32_e32 v4, v4
	s_waitcnt vmcnt(1)
	v_cvt_f16_f32_e32 v18, v18
	s_waitcnt vmcnt(0)
	v_cvt_f16_f32_e32 v19, v19
	ds_write_b16 v3, v0
	ds_write_b16 v3, v4 offset:64
	ds_write_b16 v3, v18 offset:128
	ds_write_b16 v3, v19 offset:192
	s_waitcnt lgkmcnt(0)
	s_barrier
	ds_read_b64 v[18:19], v1
	v_cndmask_b32_e64 v0, v5, v7, s[14:15]
	v_add_u32_e32 v0, v17, v0
	s_waitcnt lgkmcnt(0)
	buffer_atomic_pk_add_f16 v18, v0, s[52:55], 0 offen
	buffer_atomic_pk_add_f16 v19, v0, s[52:55], 4 offen
	s_waitcnt lgkmcnt(0)
	s_barrier
	buffer_load_dword v0, off, s[0:3], 0 offset:3152
	buffer_load_dword v4, off, s[0:3], 0 offset:3156
	buffer_load_dword v5, off, s[0:3], 0 offset:3160
	buffer_load_dword v7, off, s[0:3], 0 offset:3164
	;; [unrolled: 26-line block ×7, first 2 shown]
	s_and_b64 s[4:5], vcc, s[18:19]
	v_cndmask_b32_e64 v2, v2, 0, s[4:5]
	s_waitcnt vmcnt(3)
	v_cvt_f16_f32_e32 v0, v0
	s_waitcnt vmcnt(2)
	v_cvt_f16_f32_e32 v4, v4
	;; [unrolled: 2-line block ×4, first 2 shown]
	ds_write_b16 v3, v0
	ds_write_b16 v3, v4 offset:64
	ds_write_b16 v3, v5 offset:128
	;; [unrolled: 1-line block ×3, first 2 shown]
	s_waitcnt lgkmcnt(0)
	s_barrier
	ds_read_b64 v[0:1], v1
	v_add_u32_e32 v3, s22, v30
	v_lshl_add_u32 v2, v3, 1, v2
	s_waitcnt lgkmcnt(0)
	buffer_atomic_pk_add_f16 v0, v2, s[52:55], 0 offen
	buffer_atomic_pk_add_f16 v1, v2, s[52:55], 4 offen
	s_endpgm
	.section	.rodata,"a",@progbits
	.p2align	6, 0x0
	.amdhsa_kernel _ZN2ck45kernel_gemm_xdl_cshuffle_v3_b_preshuffle_2ldsINS_41GridwiseGemm_xdl_cshuffle_v3_b_preshuffleINS_13tensor_layout4gemm8RowMajorENS3_11ColumnMajorES4_NS_9f8_fnuz_tENS_7pk_i4_tEfDF16_DF16_NS_16tensor_operation12element_wise11PassThroughESA_SA_LNS8_6device18GemmSpecializationE0ELi256ELi256ELi256ELi128ELi16ELi32ELi16ELi16ELi8ELi8ENS_8SequenceIJLi8ELi32ELi1EEEENSD_IJLi1ELi0ELi2EEEESF_Li2ELi16ELi16ELb0ELi0ENSD_IJLi4ELi64ELi1EEEESF_SF_Li2ELi32ELi32ELb0ELi0ELi1ELi1ENSD_IJLi1ELi32ELi1ELi8EEEELi4ELNS_26BlockGemmPipelineSchedulerE0ELNS_24BlockGemmPipelineVersionE2ES6_S6_Lb0ELb0ELi0EEELb1ELNS_25InMemoryDataOperationEnumE1ELi1ELNS_10TailNumberE0EEEvNT_8ArgumentE
		.amdhsa_group_segment_fixed_size 65536
		.amdhsa_private_segment_fixed_size 4464
		.amdhsa_kernarg_size 112
		.amdhsa_user_sgpr_count 8
		.amdhsa_user_sgpr_private_segment_buffer 1
		.amdhsa_user_sgpr_dispatch_ptr 0
		.amdhsa_user_sgpr_queue_ptr 0
		.amdhsa_user_sgpr_kernarg_segment_ptr 1
		.amdhsa_user_sgpr_dispatch_id 0
		.amdhsa_user_sgpr_flat_scratch_init 1
		.amdhsa_user_sgpr_kernarg_preload_length 0
		.amdhsa_user_sgpr_kernarg_preload_offset 0
		.amdhsa_user_sgpr_private_segment_size 0
		.amdhsa_uses_dynamic_stack 0
		.amdhsa_system_sgpr_private_segment_wavefront_offset 1
		.amdhsa_system_sgpr_workgroup_id_x 1
		.amdhsa_system_sgpr_workgroup_id_y 0
		.amdhsa_system_sgpr_workgroup_id_z 1
		.amdhsa_system_sgpr_workgroup_info 0
		.amdhsa_system_vgpr_workitem_id 0
		.amdhsa_next_free_vgpr 92
		.amdhsa_next_free_sgpr 58
		.amdhsa_accum_offset 88
		.amdhsa_reserve_vcc 1
		.amdhsa_reserve_flat_scratch 1
		.amdhsa_float_round_mode_32 0
		.amdhsa_float_round_mode_16_64 0
		.amdhsa_float_denorm_mode_32 3
		.amdhsa_float_denorm_mode_16_64 3
		.amdhsa_dx10_clamp 1
		.amdhsa_ieee_mode 1
		.amdhsa_fp16_overflow 0
		.amdhsa_tg_split 0
		.amdhsa_exception_fp_ieee_invalid_op 0
		.amdhsa_exception_fp_denorm_src 0
		.amdhsa_exception_fp_ieee_div_zero 0
		.amdhsa_exception_fp_ieee_overflow 0
		.amdhsa_exception_fp_ieee_underflow 0
		.amdhsa_exception_fp_ieee_inexact 0
		.amdhsa_exception_int_div_zero 0
	.end_amdhsa_kernel
	.section	.text._ZN2ck45kernel_gemm_xdl_cshuffle_v3_b_preshuffle_2ldsINS_41GridwiseGemm_xdl_cshuffle_v3_b_preshuffleINS_13tensor_layout4gemm8RowMajorENS3_11ColumnMajorES4_NS_9f8_fnuz_tENS_7pk_i4_tEfDF16_DF16_NS_16tensor_operation12element_wise11PassThroughESA_SA_LNS8_6device18GemmSpecializationE0ELi256ELi256ELi256ELi128ELi16ELi32ELi16ELi16ELi8ELi8ENS_8SequenceIJLi8ELi32ELi1EEEENSD_IJLi1ELi0ELi2EEEESF_Li2ELi16ELi16ELb0ELi0ENSD_IJLi4ELi64ELi1EEEESF_SF_Li2ELi32ELi32ELb0ELi0ELi1ELi1ENSD_IJLi1ELi32ELi1ELi8EEEELi4ELNS_26BlockGemmPipelineSchedulerE0ELNS_24BlockGemmPipelineVersionE2ES6_S6_Lb0ELb0ELi0EEELb1ELNS_25InMemoryDataOperationEnumE1ELi1ELNS_10TailNumberE0EEEvNT_8ArgumentE,"axG",@progbits,_ZN2ck45kernel_gemm_xdl_cshuffle_v3_b_preshuffle_2ldsINS_41GridwiseGemm_xdl_cshuffle_v3_b_preshuffleINS_13tensor_layout4gemm8RowMajorENS3_11ColumnMajorES4_NS_9f8_fnuz_tENS_7pk_i4_tEfDF16_DF16_NS_16tensor_operation12element_wise11PassThroughESA_SA_LNS8_6device18GemmSpecializationE0ELi256ELi256ELi256ELi128ELi16ELi32ELi16ELi16ELi8ELi8ENS_8SequenceIJLi8ELi32ELi1EEEENSD_IJLi1ELi0ELi2EEEESF_Li2ELi16ELi16ELb0ELi0ENSD_IJLi4ELi64ELi1EEEESF_SF_Li2ELi32ELi32ELb0ELi0ELi1ELi1ENSD_IJLi1ELi32ELi1ELi8EEEELi4ELNS_26BlockGemmPipelineSchedulerE0ELNS_24BlockGemmPipelineVersionE2ES6_S6_Lb0ELb0ELi0EEELb1ELNS_25InMemoryDataOperationEnumE1ELi1ELNS_10TailNumberE0EEEvNT_8ArgumentE,comdat
.Lfunc_end27:
	.size	_ZN2ck45kernel_gemm_xdl_cshuffle_v3_b_preshuffle_2ldsINS_41GridwiseGemm_xdl_cshuffle_v3_b_preshuffleINS_13tensor_layout4gemm8RowMajorENS3_11ColumnMajorES4_NS_9f8_fnuz_tENS_7pk_i4_tEfDF16_DF16_NS_16tensor_operation12element_wise11PassThroughESA_SA_LNS8_6device18GemmSpecializationE0ELi256ELi256ELi256ELi128ELi16ELi32ELi16ELi16ELi8ELi8ENS_8SequenceIJLi8ELi32ELi1EEEENSD_IJLi1ELi0ELi2EEEESF_Li2ELi16ELi16ELb0ELi0ENSD_IJLi4ELi64ELi1EEEESF_SF_Li2ELi32ELi32ELb0ELi0ELi1ELi1ENSD_IJLi1ELi32ELi1ELi8EEEELi4ELNS_26BlockGemmPipelineSchedulerE0ELNS_24BlockGemmPipelineVersionE2ES6_S6_Lb0ELb0ELi0EEELb1ELNS_25InMemoryDataOperationEnumE1ELi1ELNS_10TailNumberE0EEEvNT_8ArgumentE, .Lfunc_end27-_ZN2ck45kernel_gemm_xdl_cshuffle_v3_b_preshuffle_2ldsINS_41GridwiseGemm_xdl_cshuffle_v3_b_preshuffleINS_13tensor_layout4gemm8RowMajorENS3_11ColumnMajorES4_NS_9f8_fnuz_tENS_7pk_i4_tEfDF16_DF16_NS_16tensor_operation12element_wise11PassThroughESA_SA_LNS8_6device18GemmSpecializationE0ELi256ELi256ELi256ELi128ELi16ELi32ELi16ELi16ELi8ELi8ENS_8SequenceIJLi8ELi32ELi1EEEENSD_IJLi1ELi0ELi2EEEESF_Li2ELi16ELi16ELb0ELi0ENSD_IJLi4ELi64ELi1EEEESF_SF_Li2ELi32ELi32ELb0ELi0ELi1ELi1ENSD_IJLi1ELi32ELi1ELi8EEEELi4ELNS_26BlockGemmPipelineSchedulerE0ELNS_24BlockGemmPipelineVersionE2ES6_S6_Lb0ELb0ELi0EEELb1ELNS_25InMemoryDataOperationEnumE1ELi1ELNS_10TailNumberE0EEEvNT_8ArgumentE
                                        ; -- End function
	.section	.AMDGPU.csdata,"",@progbits
; Kernel info:
; codeLenInByte = 16400
; NumSgprs: 64
; NumVgprs: 86
; NumAgprs: 4
; TotalNumVgprs: 92
; ScratchSize: 4464
; MemoryBound: 0
; FloatMode: 240
; IeeeMode: 1
; LDSByteSize: 65536 bytes/workgroup (compile time only)
; SGPRBlocks: 7
; VGPRBlocks: 11
; NumSGPRsForWavesPerEU: 64
; NumVGPRsForWavesPerEU: 92
; AccumOffset: 88
; Occupancy: 1
; WaveLimiterHint : 1
; COMPUTE_PGM_RSRC2:SCRATCH_EN: 1
; COMPUTE_PGM_RSRC2:USER_SGPR: 8
; COMPUTE_PGM_RSRC2:TRAP_HANDLER: 0
; COMPUTE_PGM_RSRC2:TGID_X_EN: 1
; COMPUTE_PGM_RSRC2:TGID_Y_EN: 0
; COMPUTE_PGM_RSRC2:TGID_Z_EN: 1
; COMPUTE_PGM_RSRC2:TIDIG_COMP_CNT: 0
; COMPUTE_PGM_RSRC3_GFX90A:ACCUM_OFFSET: 21
; COMPUTE_PGM_RSRC3_GFX90A:TG_SPLIT: 0
	.text
	.p2align	2                               ; -- Begin function _ZNK2ck6detail7applierIiJLi0ELi1ELi2ELi3ELi4ELi5ELi6ELi7EEEclIZNKS_11static_fordINS_8SequenceIJLi1ELi8EEEENS5_IJLi0ELi1EEEEEclIZZZNKS_52BlockwiseGemmXdlops_pipeline_bpreshuffle_bdequant_v3ILNS_26BlockGemmPipelineSchedulerE0ELi256ENS_9f8_fnuz_tENS_7pk_i4_tESC_fNS_16TensorDescriptorINS_5TupleIJNS_5EmbedINSF_IJNS_17integral_constantIiLi8EEENSH_IiLi256EEENSH_IiLi16EEEEEENSF_IJSK_NSH_IiLi128EEENSH_IiLi1EEEEEELb0EEENS_3XorINSF_IJSJ_SI_EEELb1EEENS_11PassThroughISK_EENS_7UnMergeINSF_IJSI_SN_EEELb0EEENST_ISJ_EESU_NST_ISI_EENS_21Merge_v3_division_modINSF_IJSJ_SN_EEEEESU_EEENSF_IJNS5_IJLi0EEEENS5_IJLi2ELi1EEEENS5_IJLi3EEEENS5_IJLi5EEEENS5_IJLi4EEEENS5_IJLi6EEEENS5_IJLi7EEEENS5_IJLi9ELi8EEEENS5_IJLi10EEEEEEENSF_IJNS5_IJLi1ELi2ELi3EEEENS5_IJLi4ELi5EEEES19_NS5_IJLi7ELi8EEEENS5_IJLi9EEEES1C_NS5_IJLi11EEEENS5_IJLi12EEEENS5_IJLi13EEEEEEENS5_IJLi11ELi12ELi13EEEENSH_IlLl32768EEEEENSE_INSF_IJNSV_INSF_IJSI_SN_SN_NSH_IiLi32EEEEEELb0EEEEEENSF_IJS14_EEENSF_IJNS5_IJLi1ELi2ELi3ELi4EEEEEEES1U_NSH_IlLl256EEEEENSE_INSF_IJSP_SS_SU_SX_SY_SU_SZ_S12_SU_NS10_INSF_IJSI_SK_EEEEENSV_INSF_IJSI_NSH_IiLi2EEESK_EEELb0EEEEEENSF_IJS14_S15_S16_S17_S18_S19_S1A_S1B_S1C_NS5_IJLi11ELi13EEEES1J_EEENSF_IJS1E_S1F_S19_S1G_S1H_S1C_S1I_S1J_S1K_NS5_IJLi14EEEENS5_IJLi15ELi16ELi17EEEEEEENS5_IJLi15ELi16ELi17ELi14EEEES1N_EENSE_INSF_IJS1R_NS10_ISW_EES22_EEENSF_IJS14_NS5_IJLi1ELi3EEEENS5_IJLi2EEEEEEENSF_IJS1U_S17_NS5_IJLi6ELi7ELi8EEEEEEENS5_IJLi6ELi7ELi8ELi5EEEES1W_EELi16ELi32ELi256ELi256ELi128ELi16ELi16ELi8ELi8ELi32ELb0EE3RunILb1ELNS_10TailNumberE1ENSE_INSF_IJNSG_INSF_IJiiEEENSF_IJiSN_EEELb0EEENSV_IS2N_Lb0EEENST_IiEEEEENSF_IJS14_S2E_NS5_IJLi1EEEEEEENSF_IJNS5_IJLi1ELi2EEEENS5_IJLi3ELi4EEEES17_EEENS5_IJLi3ELi5ELi4EEEElEES1O_NS_35ThreadGroupTensorSliceTransfer_v4r1INS_15ThisThreadBlockILi256EEENS_16tensor_operation12element_wise11PassThroughES35_LNS_25InMemoryDataOperationEnumE0ENS5_IJLi8ELi256ELi16EEEENS5_IJLi8ELi32ELi1EEEENS5_IJLi1ELi0ELi2EEEESC_SC_RKS2Z_KS1O_S39_NS5_IJLi0ELi1ELi2EEEELi2ELi2ELi16ELi16ELi1ELi1ELb0ELb1ELi2EiEENS_13DynamicBufferILNS_16AddressSpaceEnumE1EKSC_lLb1ELNS_22AmdBufferCoherenceEnumE0EiEENSF_IJNS3F_ILS3G_2ESC_S1N_Lb1ELS3I_0EiEES3K_EEENSF_IJiiiEEENSE_INSF_IJNSG_INSF_IJiiiiEEENSF_IJiiiSN_EEELb0EEEEEES1T_S1V_S1U_lEENS_32ThreadwiseTensorSliceTransfer_v2ISD_SD_RKS3R_KS1X_NS5_IJLi8ELi1ELi1ELi32EEEENS5_IJLi1ELi2ELi0ELi3EEEELi3ELi32ELi0ELb1ELb0ELb0EEENS3F_ILS3G_1EKSD_lLb1ELS3I_0EiEENSF_IJNS_12StaticBufferILS3G_4ESD_Li256ELb1EEES42_EEES3N_NS_25StaticBufferTupleOfVectorILS3G_4EfLi64ELi4ELb1ELb0EEEEEvRKT1_RKT2_RT3_RKT4_RT5_RKT6_RKT7_RT8_RKT9_RT10_RKT11_RT12_iENKUlT_T0_E_clINSH_IiLi0EEESN_EEDaS51_S52_ENKUlS51_E_clIS55_EEDaS51_EUlS51_E_EEvS51_EUlS51_E_EEvS51_
	.type	_ZNK2ck6detail7applierIiJLi0ELi1ELi2ELi3ELi4ELi5ELi6ELi7EEEclIZNKS_11static_fordINS_8SequenceIJLi1ELi8EEEENS5_IJLi0ELi1EEEEEclIZZZNKS_52BlockwiseGemmXdlops_pipeline_bpreshuffle_bdequant_v3ILNS_26BlockGemmPipelineSchedulerE0ELi256ENS_9f8_fnuz_tENS_7pk_i4_tESC_fNS_16TensorDescriptorINS_5TupleIJNS_5EmbedINSF_IJNS_17integral_constantIiLi8EEENSH_IiLi256EEENSH_IiLi16EEEEEENSF_IJSK_NSH_IiLi128EEENSH_IiLi1EEEEEELb0EEENS_3XorINSF_IJSJ_SI_EEELb1EEENS_11PassThroughISK_EENS_7UnMergeINSF_IJSI_SN_EEELb0EEENST_ISJ_EESU_NST_ISI_EENS_21Merge_v3_division_modINSF_IJSJ_SN_EEEEESU_EEENSF_IJNS5_IJLi0EEEENS5_IJLi2ELi1EEEENS5_IJLi3EEEENS5_IJLi5EEEENS5_IJLi4EEEENS5_IJLi6EEEENS5_IJLi7EEEENS5_IJLi9ELi8EEEENS5_IJLi10EEEEEEENSF_IJNS5_IJLi1ELi2ELi3EEEENS5_IJLi4ELi5EEEES19_NS5_IJLi7ELi8EEEENS5_IJLi9EEEES1C_NS5_IJLi11EEEENS5_IJLi12EEEENS5_IJLi13EEEEEEENS5_IJLi11ELi12ELi13EEEENSH_IlLl32768EEEEENSE_INSF_IJNSV_INSF_IJSI_SN_SN_NSH_IiLi32EEEEEELb0EEEEEENSF_IJS14_EEENSF_IJNS5_IJLi1ELi2ELi3ELi4EEEEEEES1U_NSH_IlLl256EEEEENSE_INSF_IJSP_SS_SU_SX_SY_SU_SZ_S12_SU_NS10_INSF_IJSI_SK_EEEEENSV_INSF_IJSI_NSH_IiLi2EEESK_EEELb0EEEEEENSF_IJS14_S15_S16_S17_S18_S19_S1A_S1B_S1C_NS5_IJLi11ELi13EEEES1J_EEENSF_IJS1E_S1F_S19_S1G_S1H_S1C_S1I_S1J_S1K_NS5_IJLi14EEEENS5_IJLi15ELi16ELi17EEEEEEENS5_IJLi15ELi16ELi17ELi14EEEES1N_EENSE_INSF_IJS1R_NS10_ISW_EES22_EEENSF_IJS14_NS5_IJLi1ELi3EEEENS5_IJLi2EEEEEEENSF_IJS1U_S17_NS5_IJLi6ELi7ELi8EEEEEEENS5_IJLi6ELi7ELi8ELi5EEEES1W_EELi16ELi32ELi256ELi256ELi128ELi16ELi16ELi8ELi8ELi32ELb0EE3RunILb1ELNS_10TailNumberE1ENSE_INSF_IJNSG_INSF_IJiiEEENSF_IJiSN_EEELb0EEENSV_IS2N_Lb0EEENST_IiEEEEENSF_IJS14_S2E_NS5_IJLi1EEEEEEENSF_IJNS5_IJLi1ELi2EEEENS5_IJLi3ELi4EEEES17_EEENS5_IJLi3ELi5ELi4EEEElEES1O_NS_35ThreadGroupTensorSliceTransfer_v4r1INS_15ThisThreadBlockILi256EEENS_16tensor_operation12element_wise11PassThroughES35_LNS_25InMemoryDataOperationEnumE0ENS5_IJLi8ELi256ELi16EEEENS5_IJLi8ELi32ELi1EEEENS5_IJLi1ELi0ELi2EEEESC_SC_RKS2Z_KS1O_S39_NS5_IJLi0ELi1ELi2EEEELi2ELi2ELi16ELi16ELi1ELi1ELb0ELb1ELi2EiEENS_13DynamicBufferILNS_16AddressSpaceEnumE1EKSC_lLb1ELNS_22AmdBufferCoherenceEnumE0EiEENSF_IJNS3F_ILS3G_2ESC_S1N_Lb1ELS3I_0EiEES3K_EEENSF_IJiiiEEENSE_INSF_IJNSG_INSF_IJiiiiEEENSF_IJiiiSN_EEELb0EEEEEES1T_S1V_S1U_lEENS_32ThreadwiseTensorSliceTransfer_v2ISD_SD_RKS3R_KS1X_NS5_IJLi8ELi1ELi1ELi32EEEENS5_IJLi1ELi2ELi0ELi3EEEELi3ELi32ELi0ELb1ELb0ELb0EEENS3F_ILS3G_1EKSD_lLb1ELS3I_0EiEENSF_IJNS_12StaticBufferILS3G_4ESD_Li256ELb1EEES42_EEES3N_NS_25StaticBufferTupleOfVectorILS3G_4EfLi64ELi4ELb1ELb0EEEEEvRKT1_RKT2_RT3_RKT4_RT5_RKT6_RKT7_RT8_RKT9_RT10_RKT11_RT12_iENKUlT_T0_E_clINSH_IiLi0EEESN_EEDaS51_S52_ENKUlS51_E_clIS55_EEDaS51_EUlS51_E_EEvS51_EUlS51_E_EEvS51_,@function
_ZNK2ck6detail7applierIiJLi0ELi1ELi2ELi3ELi4ELi5ELi6ELi7EEEclIZNKS_11static_fordINS_8SequenceIJLi1ELi8EEEENS5_IJLi0ELi1EEEEEclIZZZNKS_52BlockwiseGemmXdlops_pipeline_bpreshuffle_bdequant_v3ILNS_26BlockGemmPipelineSchedulerE0ELi256ENS_9f8_fnuz_tENS_7pk_i4_tESC_fNS_16TensorDescriptorINS_5TupleIJNS_5EmbedINSF_IJNS_17integral_constantIiLi8EEENSH_IiLi256EEENSH_IiLi16EEEEEENSF_IJSK_NSH_IiLi128EEENSH_IiLi1EEEEEELb0EEENS_3XorINSF_IJSJ_SI_EEELb1EEENS_11PassThroughISK_EENS_7UnMergeINSF_IJSI_SN_EEELb0EEENST_ISJ_EESU_NST_ISI_EENS_21Merge_v3_division_modINSF_IJSJ_SN_EEEEESU_EEENSF_IJNS5_IJLi0EEEENS5_IJLi2ELi1EEEENS5_IJLi3EEEENS5_IJLi5EEEENS5_IJLi4EEEENS5_IJLi6EEEENS5_IJLi7EEEENS5_IJLi9ELi8EEEENS5_IJLi10EEEEEEENSF_IJNS5_IJLi1ELi2ELi3EEEENS5_IJLi4ELi5EEEES19_NS5_IJLi7ELi8EEEENS5_IJLi9EEEES1C_NS5_IJLi11EEEENS5_IJLi12EEEENS5_IJLi13EEEEEEENS5_IJLi11ELi12ELi13EEEENSH_IlLl32768EEEEENSE_INSF_IJNSV_INSF_IJSI_SN_SN_NSH_IiLi32EEEEEELb0EEEEEENSF_IJS14_EEENSF_IJNS5_IJLi1ELi2ELi3ELi4EEEEEEES1U_NSH_IlLl256EEEEENSE_INSF_IJSP_SS_SU_SX_SY_SU_SZ_S12_SU_NS10_INSF_IJSI_SK_EEEEENSV_INSF_IJSI_NSH_IiLi2EEESK_EEELb0EEEEEENSF_IJS14_S15_S16_S17_S18_S19_S1A_S1B_S1C_NS5_IJLi11ELi13EEEES1J_EEENSF_IJS1E_S1F_S19_S1G_S1H_S1C_S1I_S1J_S1K_NS5_IJLi14EEEENS5_IJLi15ELi16ELi17EEEEEEENS5_IJLi15ELi16ELi17ELi14EEEES1N_EENSE_INSF_IJS1R_NS10_ISW_EES22_EEENSF_IJS14_NS5_IJLi1ELi3EEEENS5_IJLi2EEEEEEENSF_IJS1U_S17_NS5_IJLi6ELi7ELi8EEEEEEENS5_IJLi6ELi7ELi8ELi5EEEES1W_EELi16ELi32ELi256ELi256ELi128ELi16ELi16ELi8ELi8ELi32ELb0EE3RunILb1ELNS_10TailNumberE1ENSE_INSF_IJNSG_INSF_IJiiEEENSF_IJiSN_EEELb0EEENSV_IS2N_Lb0EEENST_IiEEEEENSF_IJS14_S2E_NS5_IJLi1EEEEEEENSF_IJNS5_IJLi1ELi2EEEENS5_IJLi3ELi4EEEES17_EEENS5_IJLi3ELi5ELi4EEEElEES1O_NS_35ThreadGroupTensorSliceTransfer_v4r1INS_15ThisThreadBlockILi256EEENS_16tensor_operation12element_wise11PassThroughES35_LNS_25InMemoryDataOperationEnumE0ENS5_IJLi8ELi256ELi16EEEENS5_IJLi8ELi32ELi1EEEENS5_IJLi1ELi0ELi2EEEESC_SC_RKS2Z_KS1O_S39_NS5_IJLi0ELi1ELi2EEEELi2ELi2ELi16ELi16ELi1ELi1ELb0ELb1ELi2EiEENS_13DynamicBufferILNS_16AddressSpaceEnumE1EKSC_lLb1ELNS_22AmdBufferCoherenceEnumE0EiEENSF_IJNS3F_ILS3G_2ESC_S1N_Lb1ELS3I_0EiEES3K_EEENSF_IJiiiEEENSE_INSF_IJNSG_INSF_IJiiiiEEENSF_IJiiiSN_EEELb0EEEEEES1T_S1V_S1U_lEENS_32ThreadwiseTensorSliceTransfer_v2ISD_SD_RKS3R_KS1X_NS5_IJLi8ELi1ELi1ELi32EEEENS5_IJLi1ELi2ELi0ELi3EEEELi3ELi32ELi0ELb1ELb0ELb0EEENS3F_ILS3G_1EKSD_lLb1ELS3I_0EiEENSF_IJNS_12StaticBufferILS3G_4ESD_Li256ELb1EEES42_EEES3N_NS_25StaticBufferTupleOfVectorILS3G_4EfLi64ELi4ELb1ELb0EEEEEvRKT1_RKT2_RT3_RKT4_RT5_RKT6_RKT7_RT8_RKT9_RT10_RKT11_RT12_iENKUlT_T0_E_clINSH_IiLi0EEESN_EEDaS51_S52_ENKUlS51_E_clIS55_EEDaS51_EUlS51_E_EEvS51_EUlS51_E_EEvS51_: ; @_ZNK2ck6detail7applierIiJLi0ELi1ELi2ELi3ELi4ELi5ELi6ELi7EEEclIZNKS_11static_fordINS_8SequenceIJLi1ELi8EEEENS5_IJLi0ELi1EEEEEclIZZZNKS_52BlockwiseGemmXdlops_pipeline_bpreshuffle_bdequant_v3ILNS_26BlockGemmPipelineSchedulerE0ELi256ENS_9f8_fnuz_tENS_7pk_i4_tESC_fNS_16TensorDescriptorINS_5TupleIJNS_5EmbedINSF_IJNS_17integral_constantIiLi8EEENSH_IiLi256EEENSH_IiLi16EEEEEENSF_IJSK_NSH_IiLi128EEENSH_IiLi1EEEEEELb0EEENS_3XorINSF_IJSJ_SI_EEELb1EEENS_11PassThroughISK_EENS_7UnMergeINSF_IJSI_SN_EEELb0EEENST_ISJ_EESU_NST_ISI_EENS_21Merge_v3_division_modINSF_IJSJ_SN_EEEEESU_EEENSF_IJNS5_IJLi0EEEENS5_IJLi2ELi1EEEENS5_IJLi3EEEENS5_IJLi5EEEENS5_IJLi4EEEENS5_IJLi6EEEENS5_IJLi7EEEENS5_IJLi9ELi8EEEENS5_IJLi10EEEEEEENSF_IJNS5_IJLi1ELi2ELi3EEEENS5_IJLi4ELi5EEEES19_NS5_IJLi7ELi8EEEENS5_IJLi9EEEES1C_NS5_IJLi11EEEENS5_IJLi12EEEENS5_IJLi13EEEEEEENS5_IJLi11ELi12ELi13EEEENSH_IlLl32768EEEEENSE_INSF_IJNSV_INSF_IJSI_SN_SN_NSH_IiLi32EEEEEELb0EEEEEENSF_IJS14_EEENSF_IJNS5_IJLi1ELi2ELi3ELi4EEEEEEES1U_NSH_IlLl256EEEEENSE_INSF_IJSP_SS_SU_SX_SY_SU_SZ_S12_SU_NS10_INSF_IJSI_SK_EEEEENSV_INSF_IJSI_NSH_IiLi2EEESK_EEELb0EEEEEENSF_IJS14_S15_S16_S17_S18_S19_S1A_S1B_S1C_NS5_IJLi11ELi13EEEES1J_EEENSF_IJS1E_S1F_S19_S1G_S1H_S1C_S1I_S1J_S1K_NS5_IJLi14EEEENS5_IJLi15ELi16ELi17EEEEEEENS5_IJLi15ELi16ELi17ELi14EEEES1N_EENSE_INSF_IJS1R_NS10_ISW_EES22_EEENSF_IJS14_NS5_IJLi1ELi3EEEENS5_IJLi2EEEEEEENSF_IJS1U_S17_NS5_IJLi6ELi7ELi8EEEEEEENS5_IJLi6ELi7ELi8ELi5EEEES1W_EELi16ELi32ELi256ELi256ELi128ELi16ELi16ELi8ELi8ELi32ELb0EE3RunILb1ELNS_10TailNumberE1ENSE_INSF_IJNSG_INSF_IJiiEEENSF_IJiSN_EEELb0EEENSV_IS2N_Lb0EEENST_IiEEEEENSF_IJS14_S2E_NS5_IJLi1EEEEEEENSF_IJNS5_IJLi1ELi2EEEENS5_IJLi3ELi4EEEES17_EEENS5_IJLi3ELi5ELi4EEEElEES1O_NS_35ThreadGroupTensorSliceTransfer_v4r1INS_15ThisThreadBlockILi256EEENS_16tensor_operation12element_wise11PassThroughES35_LNS_25InMemoryDataOperationEnumE0ENS5_IJLi8ELi256ELi16EEEENS5_IJLi8ELi32ELi1EEEENS5_IJLi1ELi0ELi2EEEESC_SC_RKS2Z_KS1O_S39_NS5_IJLi0ELi1ELi2EEEELi2ELi2ELi16ELi16ELi1ELi1ELb0ELb1ELi2EiEENS_13DynamicBufferILNS_16AddressSpaceEnumE1EKSC_lLb1ELNS_22AmdBufferCoherenceEnumE0EiEENSF_IJNS3F_ILS3G_2ESC_S1N_Lb1ELS3I_0EiEES3K_EEENSF_IJiiiEEENSE_INSF_IJNSG_INSF_IJiiiiEEENSF_IJiiiSN_EEELb0EEEEEES1T_S1V_S1U_lEENS_32ThreadwiseTensorSliceTransfer_v2ISD_SD_RKS3R_KS1X_NS5_IJLi8ELi1ELi1ELi32EEEENS5_IJLi1ELi2ELi0ELi3EEEELi3ELi32ELi0ELb1ELb0ELb0EEENS3F_ILS3G_1EKSD_lLb1ELS3I_0EiEENSF_IJNS_12StaticBufferILS3G_4ESD_Li256ELb1EEES42_EEES3N_NS_25StaticBufferTupleOfVectorILS3G_4EfLi64ELi4ELb1ELb0EEEEEvRKT1_RKT2_RT3_RKT4_RT5_RKT6_RKT7_RT8_RKT9_RT10_RKT11_RT12_iENKUlT_T0_E_clINSH_IiLi0EEESN_EEDaS51_S52_ENKUlS51_E_clIS55_EEDaS51_EUlS51_E_EEvS51_EUlS51_E_EEvS51_
; %bb.0:
	s_waitcnt vmcnt(0) expcnt(0) lgkmcnt(0)
	flat_load_dwordx4 v[20:23], v[0:1] offset:16
	flat_load_dwordx2 v[18:19], v[0:1] offset:32
	s_movk_i32 s4, 0x7f
                                        ; implicit-def: $sgpr10
	s_waitcnt vmcnt(0) lgkmcnt(0)
	flat_load_dwordx4 v[14:17], v[20:21]
	flat_load_dwordx4 v[10:13], v[22:23]
	flat_load_dwordx4 v[6:9], v[20:21] offset:16
	flat_load_dwordx4 v[2:5], v[22:23] offset:16
	s_waitcnt vmcnt(0) lgkmcnt(0)
	v_cmp_gt_i16_sdwa s[6:7], v14, s4 src0_sel:BYTE_0 src1_sel:DWORD
	s_mov_b64 s[4:5], 0
	s_and_saveexec_b64 s[8:9], s[6:7]
	s_xor_b64 s[6:7], exec, s[8:9]
	s_cbranch_execnz .LBB28_2049
; %bb.1:
	s_or_saveexec_b64 s[6:7], s[6:7]
	v_mov_b32_e32 v20, s10
	s_xor_b64 exec, exec, s[6:7]
	s_cbranch_execnz .LBB28_2052
.LBB28_2:
	s_or_b64 exec, exec, s[6:7]
	s_and_saveexec_b64 s[6:7], s[4:5]
	s_cbranch_execz .LBB28_4
.LBB28_3:
	v_and_b32_e32 v20, 7, v14
	v_ffbh_u32_e32 v22, v20
	v_min_u32_e32 v22, 32, v22
	v_lshrrev_b16_e32 v21, 3, v14
	v_subrev_u32_e32 v23, 28, v22
	v_and_b32_e32 v21, 15, v21
	v_lshlrev_b32_e32 v23, v23, v14
	v_sub_u32_e32 v22, 29, v22
	v_and_b32_e32 v23, 7, v23
	v_cmp_eq_u16_e32 vcc, 0, v21
	v_cndmask_b32_e32 v20, v20, v23, vcc
	v_cndmask_b32_e32 v21, v21, v22, vcc
	v_lshlrev_b32_e32 v22, 24, v14
	v_mov_b32_e32 v23, 0x3b800000
	v_lshlrev_b32_e32 v20, 20, v20
	v_and_b32_e32 v22, 0x80000000, v22
	v_lshl_add_u32 v21, v21, 23, v23
	v_or3_b32 v20, v22, v21, v20
.LBB28_4:
	s_or_b64 exec, exec, s[6:7]
	s_movk_i32 s4, 0x7f
	v_cmp_gt_i16_sdwa s[6:7], v10, s4 src0_sel:BYTE_0 src1_sel:DWORD
	s_mov_b64 s[4:5], 0
                                        ; implicit-def: $sgpr10
	s_and_saveexec_b64 s[8:9], s[6:7]
	s_xor_b64 s[6:7], exec, s[8:9]
	s_cbranch_execnz .LBB28_2053
; %bb.5:
	s_or_saveexec_b64 s[6:7], s[6:7]
	v_mov_b32_e32 v21, s10
	s_xor_b64 exec, exec, s[6:7]
	s_cbranch_execnz .LBB28_2056
.LBB28_6:
	s_or_b64 exec, exec, s[6:7]
	s_and_saveexec_b64 s[6:7], s[4:5]
	s_cbranch_execz .LBB28_8
.LBB28_7:
	v_and_b32_e32 v21, 7, v10
	v_ffbh_u32_e32 v23, v21
	v_min_u32_e32 v23, 32, v23
	v_lshrrev_b16_e32 v22, 3, v10
	v_subrev_u32_e32 v24, 28, v23
	v_and_b32_e32 v22, 15, v22
	v_lshlrev_b32_e32 v24, v24, v10
	v_sub_u32_e32 v23, 29, v23
	v_and_b32_e32 v24, 7, v24
	v_cmp_eq_u16_e32 vcc, 0, v22
	v_cndmask_b32_e32 v21, v21, v24, vcc
	v_cndmask_b32_e32 v22, v22, v23, vcc
	v_lshlrev_b32_e32 v23, 24, v10
	v_mov_b32_e32 v24, 0x3b800000
	v_lshlrev_b32_e32 v21, 20, v21
	v_and_b32_e32 v23, 0x80000000, v23
	v_lshl_add_u32 v22, v22, 23, v24
	v_or3_b32 v21, v23, v22, v21
.LBB28_8:
	s_or_b64 exec, exec, s[6:7]
	flat_load_dwordx4 a[0:3], v[18:19]
	s_movk_i32 s4, 0x7f
                                        ; implicit-def: $sgpr10
	s_waitcnt vmcnt(0) lgkmcnt(0)
	v_mfma_f32_16x16x4f32 a[0:3], v20, v21, a[0:3]
	v_lshrrev_b32_e32 v21, 8, v14
	v_cmp_gt_i16_sdwa s[6:7], v21, s4 src0_sel:BYTE_0 src1_sel:DWORD
	s_mov_b64 s[4:5], 0
	s_and_saveexec_b64 s[8:9], s[6:7]
	s_xor_b64 s[6:7], exec, s[8:9]
	s_cbranch_execnz .LBB28_2057
; %bb.9:
	s_or_saveexec_b64 s[6:7], s[6:7]
	v_mov_b32_e32 v20, s10
	s_xor_b64 exec, exec, s[6:7]
	s_cbranch_execnz .LBB28_2060
.LBB28_10:
	s_or_b64 exec, exec, s[6:7]
	s_and_saveexec_b64 s[6:7], s[4:5]
	s_cbranch_execz .LBB28_12
.LBB28_11:
	v_bfe_u32 v20, v14, 8, 3
	v_ffbh_u32_e32 v23, v20
	v_min_u32_e32 v23, 32, v23
	v_lshrrev_b16_e32 v22, 3, v21
	v_subrev_u32_e32 v24, 28, v23
	v_and_b32_e32 v22, 15, v22
	v_lshlrev_b32_e32 v21, v24, v21
	v_sub_u32_e32 v23, 29, v23
	v_and_b32_e32 v21, 7, v21
	v_cmp_eq_u16_e32 vcc, 0, v22
	v_cndmask_b32_e32 v20, v20, v21, vcc
	v_cndmask_b32_e32 v21, v22, v23, vcc
	v_lshlrev_b32_e32 v22, 16, v14
	v_mov_b32_e32 v23, 0x3b800000
	v_lshlrev_b32_e32 v20, 20, v20
	v_and_b32_e32 v22, 0x80000000, v22
	v_lshl_add_u32 v21, v21, 23, v23
	v_or3_b32 v20, v22, v21, v20
.LBB28_12:
	s_or_b64 exec, exec, s[6:7]
	v_lshrrev_b32_e32 v21, 8, v10
	s_movk_i32 s4, 0x7f
	v_cmp_gt_i16_sdwa s[6:7], v21, s4 src0_sel:BYTE_0 src1_sel:DWORD
	s_mov_b64 s[4:5], 0
                                        ; implicit-def: $sgpr10
	s_and_saveexec_b64 s[8:9], s[6:7]
	s_xor_b64 s[6:7], exec, s[8:9]
	s_cbranch_execnz .LBB28_2061
; %bb.13:
	s_or_saveexec_b64 s[6:7], s[6:7]
	v_mov_b32_e32 v22, s10
	s_xor_b64 exec, exec, s[6:7]
	s_cbranch_execnz .LBB28_2064
.LBB28_14:
	s_or_b64 exec, exec, s[6:7]
	s_and_saveexec_b64 s[6:7], s[4:5]
	s_cbranch_execz .LBB28_16
.LBB28_15:
	v_bfe_u32 v22, v10, 8, 3
	v_ffbh_u32_e32 v24, v22
	v_min_u32_e32 v24, 32, v24
	v_lshrrev_b16_e32 v23, 3, v21
	v_subrev_u32_e32 v25, 28, v24
	v_and_b32_e32 v23, 15, v23
	v_lshlrev_b32_e32 v21, v25, v21
	v_sub_u32_e32 v24, 29, v24
	v_and_b32_e32 v21, 7, v21
	v_cmp_eq_u16_e32 vcc, 0, v23
	v_cndmask_b32_e32 v21, v22, v21, vcc
	v_cndmask_b32_e32 v22, v23, v24, vcc
	v_lshlrev_b32_e32 v23, 16, v10
	v_mov_b32_e32 v24, 0x3b800000
	v_lshlrev_b32_e32 v21, 20, v21
	v_and_b32_e32 v23, 0x80000000, v23
	v_lshl_add_u32 v22, v22, 23, v24
	v_or3_b32 v22, v23, v22, v21
.LBB28_16:
	s_or_b64 exec, exec, s[6:7]
	s_nop 0
	v_mfma_f32_16x16x4f32 a[0:3], v20, v22, a[0:3]
	s_movk_i32 s4, 0xff
	v_and_b32_sdwa v21, v14, s4 dst_sel:DWORD dst_unused:UNUSED_PAD src0_sel:WORD_1 src1_sel:DWORD
	s_movk_i32 s4, 0x7f
	v_cmp_lt_i16_e32 vcc, s4, v21
	s_mov_b64 s[4:5], 0
                                        ; implicit-def: $sgpr10
	s_and_saveexec_b64 s[6:7], vcc
	s_xor_b64 s[6:7], exec, s[6:7]
	s_cbranch_execnz .LBB28_2065
; %bb.17:
	s_or_saveexec_b64 s[6:7], s[6:7]
	v_mov_b32_e32 v20, s10
	s_xor_b64 exec, exec, s[6:7]
	s_cbranch_execnz .LBB28_2068
.LBB28_18:
	s_or_b64 exec, exec, s[6:7]
	s_and_saveexec_b64 s[6:7], s[4:5]
	s_cbranch_execz .LBB28_20
.LBB28_19:
	v_bfe_u32 v20, v14, 16, 3
	v_ffbh_u32_e32 v23, v20
	v_min_u32_e32 v23, 32, v23
	v_lshrrev_b32_e32 v21, 19, v14
	v_subrev_u32_e32 v24, 28, v23
	v_and_b32_e32 v21, 15, v21
	v_lshlrev_b32_sdwa v24, v24, v14 dst_sel:DWORD dst_unused:UNUSED_PAD src0_sel:DWORD src1_sel:WORD_1
	v_bfe_u32 v22, v14, 19, 4
	v_sub_u32_e32 v23, 29, v23
	v_and_b32_e32 v24, 7, v24
	v_cmp_eq_u16_e32 vcc, 0, v21
	v_cndmask_b32_e32 v20, v20, v24, vcc
	v_cndmask_b32_e32 v21, v22, v23, vcc
	v_lshlrev_b32_e32 v22, 8, v14
	v_mov_b32_e32 v23, 0x3b800000
	v_lshlrev_b32_e32 v20, 20, v20
	v_and_b32_e32 v22, 0x80000000, v22
	v_lshl_add_u32 v21, v21, 23, v23
	v_or3_b32 v20, v22, v21, v20
.LBB28_20:
	s_or_b64 exec, exec, s[6:7]
	s_movk_i32 s4, 0xff
	v_and_b32_sdwa v21, v10, s4 dst_sel:DWORD dst_unused:UNUSED_PAD src0_sel:WORD_1 src1_sel:DWORD
	s_movk_i32 s4, 0x7f
	v_cmp_lt_i16_e32 vcc, s4, v21
	s_mov_b64 s[4:5], 0
                                        ; implicit-def: $sgpr10
	s_and_saveexec_b64 s[6:7], vcc
	s_xor_b64 s[6:7], exec, s[6:7]
	s_cbranch_execnz .LBB28_2069
; %bb.21:
	s_or_saveexec_b64 s[6:7], s[6:7]
	v_mov_b32_e32 v22, s10
	s_xor_b64 exec, exec, s[6:7]
	s_cbranch_execnz .LBB28_2072
.LBB28_22:
	s_or_b64 exec, exec, s[6:7]
	s_and_saveexec_b64 s[6:7], s[4:5]
	s_cbranch_execz .LBB28_24
.LBB28_23:
	v_bfe_u32 v21, v10, 16, 3
	v_ffbh_u32_e32 v24, v21
	v_min_u32_e32 v24, 32, v24
	v_lshrrev_b32_e32 v22, 19, v10
	v_subrev_u32_e32 v25, 28, v24
	v_and_b32_e32 v22, 15, v22
	v_lshlrev_b32_sdwa v25, v25, v10 dst_sel:DWORD dst_unused:UNUSED_PAD src0_sel:DWORD src1_sel:WORD_1
	v_bfe_u32 v23, v10, 19, 4
	v_sub_u32_e32 v24, 29, v24
	v_and_b32_e32 v25, 7, v25
	v_cmp_eq_u16_e32 vcc, 0, v22
	v_cndmask_b32_e32 v21, v21, v25, vcc
	v_cndmask_b32_e32 v22, v23, v24, vcc
	v_lshlrev_b32_e32 v23, 8, v10
	v_mov_b32_e32 v24, 0x3b800000
	v_lshlrev_b32_e32 v21, 20, v21
	v_and_b32_e32 v23, 0x80000000, v23
	v_lshl_add_u32 v22, v22, 23, v24
	v_or3_b32 v22, v23, v22, v21
.LBB28_24:
	s_or_b64 exec, exec, s[6:7]
	s_nop 0
	v_mfma_f32_16x16x4f32 a[0:3], v20, v22, a[0:3]
	s_movk_i32 s4, 0x7f
	v_cmp_gt_i16_sdwa s[6:7], v14, s4 src0_sel:BYTE_3 src1_sel:DWORD
	s_mov_b64 s[4:5], 0
                                        ; implicit-def: $sgpr10
	s_and_saveexec_b64 s[8:9], s[6:7]
	s_xor_b64 s[6:7], exec, s[8:9]
	s_cbranch_execnz .LBB28_2073
; %bb.25:
	s_or_saveexec_b64 s[6:7], s[6:7]
	v_mov_b32_e32 v20, s10
	s_xor_b64 exec, exec, s[6:7]
	s_cbranch_execnz .LBB28_2076
.LBB28_26:
	s_or_b64 exec, exec, s[6:7]
	s_and_saveexec_b64 s[6:7], s[4:5]
	s_cbranch_execz .LBB28_28
.LBB28_27:
	v_bfe_u32 v20, v14, 24, 3
	v_ffbh_u32_e32 v24, v20
	v_min_u32_e32 v24, 32, v24
	v_lshrrev_b32_e32 v22, 27, v14
	v_subrev_u32_e32 v25, 28, v24
	v_and_b32_e32 v21, 0x80000000, v14
	v_and_b32_e32 v22, 15, v22
	v_bfe_u32 v23, v14, 27, 4
	v_lshlrev_b32_sdwa v14, v25, v14 dst_sel:DWORD dst_unused:UNUSED_PAD src0_sel:DWORD src1_sel:BYTE_3
	v_sub_u32_e32 v24, 29, v24
	v_and_b32_e32 v14, 7, v14
	v_cmp_eq_u16_e32 vcc, 0, v22
	v_cndmask_b32_e32 v14, v20, v14, vcc
	v_cndmask_b32_e32 v20, v23, v24, vcc
	v_mov_b32_e32 v22, 0x3b800000
	v_lshlrev_b32_e32 v14, 20, v14
	v_lshl_add_u32 v20, v20, 23, v22
	v_or3_b32 v20, v21, v20, v14
.LBB28_28:
	s_or_b64 exec, exec, s[6:7]
	s_movk_i32 s4, 0x7f
	v_cmp_gt_i16_sdwa s[6:7], v10, s4 src0_sel:BYTE_3 src1_sel:DWORD
	s_mov_b64 s[4:5], 0
                                        ; implicit-def: $sgpr10
	s_and_saveexec_b64 s[8:9], s[6:7]
	s_xor_b64 s[6:7], exec, s[8:9]
	s_cbranch_execnz .LBB28_2077
; %bb.29:
	s_or_saveexec_b64 s[6:7], s[6:7]
	v_mov_b32_e32 v14, s10
	s_xor_b64 exec, exec, s[6:7]
	s_cbranch_execnz .LBB28_2080
.LBB28_30:
	s_or_b64 exec, exec, s[6:7]
	s_and_saveexec_b64 s[6:7], s[4:5]
	s_cbranch_execz .LBB28_32
.LBB28_31:
	v_bfe_u32 v14, v10, 24, 3
	v_ffbh_u32_e32 v24, v14
	v_min_u32_e32 v24, 32, v24
	v_lshrrev_b32_e32 v22, 27, v10
	v_subrev_u32_e32 v25, 28, v24
	v_and_b32_e32 v21, 0x80000000, v10
	v_and_b32_e32 v22, 15, v22
	v_bfe_u32 v23, v10, 27, 4
	v_lshlrev_b32_sdwa v10, v25, v10 dst_sel:DWORD dst_unused:UNUSED_PAD src0_sel:DWORD src1_sel:BYTE_3
	v_sub_u32_e32 v24, 29, v24
	v_and_b32_e32 v10, 7, v10
	v_cmp_eq_u16_e32 vcc, 0, v22
	v_cndmask_b32_e32 v10, v14, v10, vcc
	v_cndmask_b32_e32 v14, v23, v24, vcc
	v_mov_b32_e32 v22, 0x3b800000
	v_lshlrev_b32_e32 v10, 20, v10
	v_lshl_add_u32 v14, v14, 23, v22
	v_or3_b32 v14, v21, v14, v10
.LBB28_32:
	s_or_b64 exec, exec, s[6:7]
	s_nop 0
	v_mfma_f32_16x16x4f32 a[0:3], v20, v14, a[0:3]
	s_movk_i32 s4, 0x7f
	v_cmp_gt_i16_sdwa s[6:7], v15, s4 src0_sel:BYTE_0 src1_sel:DWORD
	s_mov_b64 s[4:5], 0
                                        ; implicit-def: $sgpr10
	s_and_saveexec_b64 s[8:9], s[6:7]
	s_xor_b64 s[6:7], exec, s[8:9]
	s_cbranch_execnz .LBB28_2081
; %bb.33:
	s_or_saveexec_b64 s[6:7], s[6:7]
	v_mov_b32_e32 v10, s10
	s_xor_b64 exec, exec, s[6:7]
	s_cbranch_execnz .LBB28_2084
.LBB28_34:
	s_or_b64 exec, exec, s[6:7]
	s_and_saveexec_b64 s[6:7], s[4:5]
	s_cbranch_execz .LBB28_36
.LBB28_35:
	v_and_b32_e32 v10, 7, v15
	v_ffbh_u32_e32 v20, v10
	v_min_u32_e32 v20, 32, v20
	v_lshrrev_b16_e32 v14, 3, v15
	v_subrev_u32_e32 v21, 28, v20
	v_and_b32_e32 v14, 15, v14
	v_lshlrev_b32_e32 v21, v21, v15
	v_sub_u32_e32 v20, 29, v20
	v_and_b32_e32 v21, 7, v21
	v_cmp_eq_u16_e32 vcc, 0, v14
	v_cndmask_b32_e32 v10, v10, v21, vcc
	v_cndmask_b32_e32 v14, v14, v20, vcc
	v_lshlrev_b32_e32 v20, 24, v15
	v_mov_b32_e32 v21, 0x3b800000
	v_lshlrev_b32_e32 v10, 20, v10
	v_and_b32_e32 v20, 0x80000000, v20
	v_lshl_add_u32 v14, v14, 23, v21
	v_or3_b32 v10, v20, v14, v10
.LBB28_36:
	s_or_b64 exec, exec, s[6:7]
	s_movk_i32 s4, 0x7f
	v_cmp_gt_i16_sdwa s[6:7], v11, s4 src0_sel:BYTE_0 src1_sel:DWORD
	s_mov_b64 s[4:5], 0
                                        ; implicit-def: $sgpr10
	s_and_saveexec_b64 s[8:9], s[6:7]
	s_xor_b64 s[6:7], exec, s[8:9]
	s_cbranch_execnz .LBB28_2085
; %bb.37:
	s_or_saveexec_b64 s[6:7], s[6:7]
	v_mov_b32_e32 v14, s10
	s_xor_b64 exec, exec, s[6:7]
	s_cbranch_execnz .LBB28_2088
.LBB28_38:
	s_or_b64 exec, exec, s[6:7]
	s_and_saveexec_b64 s[6:7], s[4:5]
	s_cbranch_execz .LBB28_40
.LBB28_39:
	v_and_b32_e32 v14, 7, v11
	v_ffbh_u32_e32 v21, v14
	v_min_u32_e32 v21, 32, v21
	v_lshrrev_b16_e32 v20, 3, v11
	v_subrev_u32_e32 v22, 28, v21
	v_and_b32_e32 v20, 15, v20
	v_lshlrev_b32_e32 v22, v22, v11
	v_sub_u32_e32 v21, 29, v21
	v_and_b32_e32 v22, 7, v22
	v_cmp_eq_u16_e32 vcc, 0, v20
	v_cndmask_b32_e32 v14, v14, v22, vcc
	v_cndmask_b32_e32 v20, v20, v21, vcc
	v_lshlrev_b32_e32 v21, 24, v11
	v_mov_b32_e32 v22, 0x3b800000
	v_lshlrev_b32_e32 v14, 20, v14
	v_and_b32_e32 v21, 0x80000000, v21
	v_lshl_add_u32 v20, v20, 23, v22
	v_or3_b32 v14, v21, v20, v14
.LBB28_40:
	s_or_b64 exec, exec, s[6:7]
	s_nop 0
	v_mfma_f32_16x16x4f32 a[0:3], v10, v14, a[0:3]
	v_lshrrev_b32_e32 v14, 8, v15
	s_movk_i32 s4, 0x7f
	v_cmp_gt_i16_sdwa s[6:7], v14, s4 src0_sel:BYTE_0 src1_sel:DWORD
	s_mov_b64 s[4:5], 0
                                        ; implicit-def: $sgpr10
	s_and_saveexec_b64 s[8:9], s[6:7]
	s_xor_b64 s[6:7], exec, s[8:9]
	s_cbranch_execnz .LBB28_2089
; %bb.41:
	s_or_saveexec_b64 s[6:7], s[6:7]
	v_mov_b32_e32 v10, s10
	s_xor_b64 exec, exec, s[6:7]
	s_cbranch_execnz .LBB28_2092
.LBB28_42:
	s_or_b64 exec, exec, s[6:7]
	s_and_saveexec_b64 s[6:7], s[4:5]
	s_cbranch_execz .LBB28_44
.LBB28_43:
	v_bfe_u32 v10, v15, 8, 3
	v_ffbh_u32_e32 v21, v10
	v_min_u32_e32 v21, 32, v21
	v_lshrrev_b16_e32 v20, 3, v14
	v_subrev_u32_e32 v22, 28, v21
	v_and_b32_e32 v20, 15, v20
	v_lshlrev_b32_e32 v14, v22, v14
	v_sub_u32_e32 v21, 29, v21
	v_and_b32_e32 v14, 7, v14
	v_cmp_eq_u16_e32 vcc, 0, v20
	v_cndmask_b32_e32 v10, v10, v14, vcc
	v_cndmask_b32_e32 v14, v20, v21, vcc
	v_lshlrev_b32_e32 v20, 16, v15
	v_mov_b32_e32 v21, 0x3b800000
	v_lshlrev_b32_e32 v10, 20, v10
	v_and_b32_e32 v20, 0x80000000, v20
	v_lshl_add_u32 v14, v14, 23, v21
	v_or3_b32 v10, v20, v14, v10
.LBB28_44:
	s_or_b64 exec, exec, s[6:7]
	v_lshrrev_b32_e32 v14, 8, v11
	s_movk_i32 s4, 0x7f
	v_cmp_gt_i16_sdwa s[6:7], v14, s4 src0_sel:BYTE_0 src1_sel:DWORD
	s_mov_b64 s[4:5], 0
                                        ; implicit-def: $sgpr10
	s_and_saveexec_b64 s[8:9], s[6:7]
	s_xor_b64 s[6:7], exec, s[8:9]
	s_cbranch_execnz .LBB28_2093
; %bb.45:
	s_or_saveexec_b64 s[6:7], s[6:7]
	v_mov_b32_e32 v20, s10
	s_xor_b64 exec, exec, s[6:7]
	s_cbranch_execnz .LBB28_2096
.LBB28_46:
	s_or_b64 exec, exec, s[6:7]
	s_and_saveexec_b64 s[6:7], s[4:5]
	s_cbranch_execz .LBB28_48
.LBB28_47:
	v_bfe_u32 v20, v11, 8, 3
	v_ffbh_u32_e32 v22, v20
	v_min_u32_e32 v22, 32, v22
	v_lshrrev_b16_e32 v21, 3, v14
	v_subrev_u32_e32 v23, 28, v22
	v_and_b32_e32 v21, 15, v21
	v_lshlrev_b32_e32 v14, v23, v14
	v_sub_u32_e32 v22, 29, v22
	v_and_b32_e32 v14, 7, v14
	v_cmp_eq_u16_e32 vcc, 0, v21
	v_cndmask_b32_e32 v14, v20, v14, vcc
	v_cndmask_b32_e32 v20, v21, v22, vcc
	v_lshlrev_b32_e32 v21, 16, v11
	v_mov_b32_e32 v22, 0x3b800000
	v_lshlrev_b32_e32 v14, 20, v14
	v_and_b32_e32 v21, 0x80000000, v21
	v_lshl_add_u32 v20, v20, 23, v22
	v_or3_b32 v20, v21, v20, v14
.LBB28_48:
	s_or_b64 exec, exec, s[6:7]
	s_nop 0
	v_mfma_f32_16x16x4f32 a[0:3], v10, v20, a[0:3]
	s_movk_i32 s4, 0xff
	v_and_b32_sdwa v14, v15, s4 dst_sel:DWORD dst_unused:UNUSED_PAD src0_sel:WORD_1 src1_sel:DWORD
	s_movk_i32 s4, 0x7f
	v_cmp_lt_i16_e32 vcc, s4, v14
	s_mov_b64 s[4:5], 0
                                        ; implicit-def: $sgpr10
	s_and_saveexec_b64 s[6:7], vcc
	s_xor_b64 s[6:7], exec, s[6:7]
	s_cbranch_execnz .LBB28_2097
; %bb.49:
	s_or_saveexec_b64 s[6:7], s[6:7]
	v_mov_b32_e32 v10, s10
	s_xor_b64 exec, exec, s[6:7]
	s_cbranch_execnz .LBB28_2100
.LBB28_50:
	s_or_b64 exec, exec, s[6:7]
	s_and_saveexec_b64 s[6:7], s[4:5]
	s_cbranch_execz .LBB28_52
.LBB28_51:
	v_bfe_u32 v10, v15, 16, 3
	v_ffbh_u32_e32 v21, v10
	v_min_u32_e32 v21, 32, v21
	v_lshrrev_b32_e32 v14, 19, v15
	v_subrev_u32_e32 v22, 28, v21
	v_and_b32_e32 v14, 15, v14
	v_lshlrev_b32_sdwa v22, v22, v15 dst_sel:DWORD dst_unused:UNUSED_PAD src0_sel:DWORD src1_sel:WORD_1
	v_bfe_u32 v20, v15, 19, 4
	v_sub_u32_e32 v21, 29, v21
	v_and_b32_e32 v22, 7, v22
	v_cmp_eq_u16_e32 vcc, 0, v14
	v_cndmask_b32_e32 v10, v10, v22, vcc
	v_cndmask_b32_e32 v14, v20, v21, vcc
	v_lshlrev_b32_e32 v20, 8, v15
	v_mov_b32_e32 v21, 0x3b800000
	v_lshlrev_b32_e32 v10, 20, v10
	v_and_b32_e32 v20, 0x80000000, v20
	v_lshl_add_u32 v14, v14, 23, v21
	v_or3_b32 v10, v20, v14, v10
.LBB28_52:
	s_or_b64 exec, exec, s[6:7]
	s_movk_i32 s4, 0xff
	v_and_b32_sdwa v14, v11, s4 dst_sel:DWORD dst_unused:UNUSED_PAD src0_sel:WORD_1 src1_sel:DWORD
	s_movk_i32 s4, 0x7f
	v_cmp_lt_i16_e32 vcc, s4, v14
	s_mov_b64 s[4:5], 0
                                        ; implicit-def: $sgpr10
	s_and_saveexec_b64 s[6:7], vcc
	s_xor_b64 s[6:7], exec, s[6:7]
	s_cbranch_execnz .LBB28_2101
; %bb.53:
	s_or_saveexec_b64 s[6:7], s[6:7]
	v_mov_b32_e32 v20, s10
	s_xor_b64 exec, exec, s[6:7]
	s_cbranch_execnz .LBB28_2104
.LBB28_54:
	s_or_b64 exec, exec, s[6:7]
	s_and_saveexec_b64 s[6:7], s[4:5]
	s_cbranch_execz .LBB28_56
.LBB28_55:
	v_bfe_u32 v14, v11, 16, 3
	v_ffbh_u32_e32 v22, v14
	v_min_u32_e32 v22, 32, v22
	v_lshrrev_b32_e32 v20, 19, v11
	v_subrev_u32_e32 v23, 28, v22
	v_and_b32_e32 v20, 15, v20
	v_lshlrev_b32_sdwa v23, v23, v11 dst_sel:DWORD dst_unused:UNUSED_PAD src0_sel:DWORD src1_sel:WORD_1
	v_bfe_u32 v21, v11, 19, 4
	v_sub_u32_e32 v22, 29, v22
	v_and_b32_e32 v23, 7, v23
	v_cmp_eq_u16_e32 vcc, 0, v20
	v_cndmask_b32_e32 v14, v14, v23, vcc
	v_cndmask_b32_e32 v20, v21, v22, vcc
	v_lshlrev_b32_e32 v21, 8, v11
	v_mov_b32_e32 v22, 0x3b800000
	v_lshlrev_b32_e32 v14, 20, v14
	v_and_b32_e32 v21, 0x80000000, v21
	v_lshl_add_u32 v20, v20, 23, v22
	v_or3_b32 v20, v21, v20, v14
.LBB28_56:
	s_or_b64 exec, exec, s[6:7]
	s_nop 0
	v_mfma_f32_16x16x4f32 a[0:3], v10, v20, a[0:3]
	s_movk_i32 s4, 0x7f
	v_cmp_gt_i16_sdwa s[6:7], v15, s4 src0_sel:BYTE_3 src1_sel:DWORD
	s_mov_b64 s[4:5], 0
                                        ; implicit-def: $sgpr10
	s_and_saveexec_b64 s[8:9], s[6:7]
	s_xor_b64 s[6:7], exec, s[8:9]
	s_cbranch_execnz .LBB28_2105
; %bb.57:
	s_or_saveexec_b64 s[6:7], s[6:7]
	v_mov_b32_e32 v10, s10
	s_xor_b64 exec, exec, s[6:7]
	s_cbranch_execnz .LBB28_2108
.LBB28_58:
	s_or_b64 exec, exec, s[6:7]
	s_and_saveexec_b64 s[6:7], s[4:5]
	s_cbranch_execz .LBB28_60
.LBB28_59:
	v_bfe_u32 v10, v15, 24, 3
	v_ffbh_u32_e32 v22, v10
	v_min_u32_e32 v22, 32, v22
	v_lshrrev_b32_e32 v20, 27, v15
	v_subrev_u32_e32 v23, 28, v22
	v_and_b32_e32 v14, 0x80000000, v15
	v_and_b32_e32 v20, 15, v20
	v_bfe_u32 v21, v15, 27, 4
	v_lshlrev_b32_sdwa v15, v23, v15 dst_sel:DWORD dst_unused:UNUSED_PAD src0_sel:DWORD src1_sel:BYTE_3
	v_sub_u32_e32 v22, 29, v22
	v_and_b32_e32 v15, 7, v15
	v_cmp_eq_u16_e32 vcc, 0, v20
	v_cndmask_b32_e32 v10, v10, v15, vcc
	v_cndmask_b32_e32 v15, v21, v22, vcc
	v_mov_b32_e32 v20, 0x3b800000
	v_lshlrev_b32_e32 v10, 20, v10
	v_lshl_add_u32 v15, v15, 23, v20
	v_or3_b32 v10, v14, v15, v10
.LBB28_60:
	s_or_b64 exec, exec, s[6:7]
	s_movk_i32 s4, 0x7f
	v_cmp_gt_i16_sdwa s[6:7], v11, s4 src0_sel:BYTE_3 src1_sel:DWORD
	s_mov_b64 s[4:5], 0
                                        ; implicit-def: $sgpr10
	s_and_saveexec_b64 s[8:9], s[6:7]
	s_xor_b64 s[6:7], exec, s[8:9]
	s_cbranch_execnz .LBB28_2109
; %bb.61:
	s_or_saveexec_b64 s[6:7], s[6:7]
	v_mov_b32_e32 v14, s10
	s_xor_b64 exec, exec, s[6:7]
	s_cbranch_execnz .LBB28_2112
.LBB28_62:
	s_or_b64 exec, exec, s[6:7]
	s_and_saveexec_b64 s[6:7], s[4:5]
	s_cbranch_execz .LBB28_64
.LBB28_63:
	v_bfe_u32 v14, v11, 24, 3
	v_ffbh_u32_e32 v22, v14
	v_min_u32_e32 v22, 32, v22
	v_lshrrev_b32_e32 v20, 27, v11
	v_subrev_u32_e32 v23, 28, v22
	v_and_b32_e32 v15, 0x80000000, v11
	v_and_b32_e32 v20, 15, v20
	v_bfe_u32 v21, v11, 27, 4
	v_lshlrev_b32_sdwa v11, v23, v11 dst_sel:DWORD dst_unused:UNUSED_PAD src0_sel:DWORD src1_sel:BYTE_3
	v_sub_u32_e32 v22, 29, v22
	v_and_b32_e32 v11, 7, v11
	v_cmp_eq_u16_e32 vcc, 0, v20
	v_cndmask_b32_e32 v11, v14, v11, vcc
	v_cndmask_b32_e32 v14, v21, v22, vcc
	v_mov_b32_e32 v20, 0x3b800000
	v_lshlrev_b32_e32 v11, 20, v11
	v_lshl_add_u32 v14, v14, 23, v20
	v_or3_b32 v14, v15, v14, v11
.LBB28_64:
	s_or_b64 exec, exec, s[6:7]
	s_nop 0
	v_mfma_f32_16x16x4f32 a[0:3], v10, v14, a[0:3]
	s_movk_i32 s4, 0x7f
	v_cmp_gt_i16_sdwa s[6:7], v16, s4 src0_sel:BYTE_0 src1_sel:DWORD
	s_mov_b64 s[4:5], 0
                                        ; implicit-def: $sgpr10
	s_and_saveexec_b64 s[8:9], s[6:7]
	s_xor_b64 s[6:7], exec, s[8:9]
	s_cbranch_execnz .LBB28_2113
; %bb.65:
	s_or_saveexec_b64 s[6:7], s[6:7]
	v_mov_b32_e32 v10, s10
	s_xor_b64 exec, exec, s[6:7]
	s_cbranch_execnz .LBB28_2116
.LBB28_66:
	s_or_b64 exec, exec, s[6:7]
	s_and_saveexec_b64 s[6:7], s[4:5]
	s_cbranch_execz .LBB28_68
.LBB28_67:
	v_and_b32_e32 v10, 7, v16
	v_ffbh_u32_e32 v14, v10
	v_min_u32_e32 v14, 32, v14
	v_lshrrev_b16_e32 v11, 3, v16
	v_subrev_u32_e32 v15, 28, v14
	v_and_b32_e32 v11, 15, v11
	v_lshlrev_b32_e32 v15, v15, v16
	v_sub_u32_e32 v14, 29, v14
	v_and_b32_e32 v15, 7, v15
	v_cmp_eq_u16_e32 vcc, 0, v11
	v_cndmask_b32_e32 v10, v10, v15, vcc
	v_cndmask_b32_e32 v11, v11, v14, vcc
	v_lshlrev_b32_e32 v14, 24, v16
	v_mov_b32_e32 v15, 0x3b800000
	v_lshlrev_b32_e32 v10, 20, v10
	v_and_b32_e32 v14, 0x80000000, v14
	v_lshl_add_u32 v11, v11, 23, v15
	v_or3_b32 v10, v14, v11, v10
.LBB28_68:
	s_or_b64 exec, exec, s[6:7]
	s_movk_i32 s4, 0x7f
	v_cmp_gt_i16_sdwa s[6:7], v12, s4 src0_sel:BYTE_0 src1_sel:DWORD
	s_mov_b64 s[4:5], 0
                                        ; implicit-def: $sgpr10
	s_and_saveexec_b64 s[8:9], s[6:7]
	s_xor_b64 s[6:7], exec, s[8:9]
	s_cbranch_execnz .LBB28_2117
; %bb.69:
	s_or_saveexec_b64 s[6:7], s[6:7]
	v_mov_b32_e32 v11, s10
	s_xor_b64 exec, exec, s[6:7]
	s_cbranch_execnz .LBB28_2120
.LBB28_70:
	s_or_b64 exec, exec, s[6:7]
	s_and_saveexec_b64 s[6:7], s[4:5]
	s_cbranch_execz .LBB28_72
.LBB28_71:
	v_and_b32_e32 v11, 7, v12
	v_ffbh_u32_e32 v15, v11
	v_min_u32_e32 v15, 32, v15
	v_lshrrev_b16_e32 v14, 3, v12
	v_subrev_u32_e32 v20, 28, v15
	v_and_b32_e32 v14, 15, v14
	v_lshlrev_b32_e32 v20, v20, v12
	v_sub_u32_e32 v15, 29, v15
	v_and_b32_e32 v20, 7, v20
	v_cmp_eq_u16_e32 vcc, 0, v14
	v_cndmask_b32_e32 v11, v11, v20, vcc
	v_cndmask_b32_e32 v14, v14, v15, vcc
	v_lshlrev_b32_e32 v15, 24, v12
	v_mov_b32_e32 v20, 0x3b800000
	v_lshlrev_b32_e32 v11, 20, v11
	v_and_b32_e32 v15, 0x80000000, v15
	v_lshl_add_u32 v14, v14, 23, v20
	v_or3_b32 v11, v15, v14, v11
.LBB28_72:
	s_or_b64 exec, exec, s[6:7]
	s_nop 0
	v_mfma_f32_16x16x4f32 a[0:3], v10, v11, a[0:3]
	v_lshrrev_b32_e32 v11, 8, v16
	s_movk_i32 s4, 0x7f
	v_cmp_gt_i16_sdwa s[6:7], v11, s4 src0_sel:BYTE_0 src1_sel:DWORD
	s_mov_b64 s[4:5], 0
                                        ; implicit-def: $sgpr10
	s_and_saveexec_b64 s[8:9], s[6:7]
	s_xor_b64 s[6:7], exec, s[8:9]
	s_cbranch_execnz .LBB28_2121
; %bb.73:
	s_or_saveexec_b64 s[6:7], s[6:7]
	v_mov_b32_e32 v10, s10
	s_xor_b64 exec, exec, s[6:7]
	s_cbranch_execnz .LBB28_2124
.LBB28_74:
	s_or_b64 exec, exec, s[6:7]
	s_and_saveexec_b64 s[6:7], s[4:5]
	s_cbranch_execz .LBB28_76
.LBB28_75:
	v_bfe_u32 v10, v16, 8, 3
	v_ffbh_u32_e32 v15, v10
	v_min_u32_e32 v15, 32, v15
	v_lshrrev_b16_e32 v14, 3, v11
	v_subrev_u32_e32 v20, 28, v15
	v_and_b32_e32 v14, 15, v14
	v_lshlrev_b32_e32 v11, v20, v11
	v_sub_u32_e32 v15, 29, v15
	v_and_b32_e32 v11, 7, v11
	v_cmp_eq_u16_e32 vcc, 0, v14
	v_cndmask_b32_e32 v10, v10, v11, vcc
	v_cndmask_b32_e32 v11, v14, v15, vcc
	v_lshlrev_b32_e32 v14, 16, v16
	v_mov_b32_e32 v15, 0x3b800000
	v_lshlrev_b32_e32 v10, 20, v10
	v_and_b32_e32 v14, 0x80000000, v14
	v_lshl_add_u32 v11, v11, 23, v15
	v_or3_b32 v10, v14, v11, v10
.LBB28_76:
	s_or_b64 exec, exec, s[6:7]
	v_lshrrev_b32_e32 v11, 8, v12
	s_movk_i32 s4, 0x7f
	v_cmp_gt_i16_sdwa s[6:7], v11, s4 src0_sel:BYTE_0 src1_sel:DWORD
	s_mov_b64 s[4:5], 0
                                        ; implicit-def: $sgpr10
	s_and_saveexec_b64 s[8:9], s[6:7]
	s_xor_b64 s[6:7], exec, s[8:9]
	s_cbranch_execnz .LBB28_2125
; %bb.77:
	s_or_saveexec_b64 s[6:7], s[6:7]
	v_mov_b32_e32 v14, s10
	s_xor_b64 exec, exec, s[6:7]
	s_cbranch_execnz .LBB28_2128
.LBB28_78:
	s_or_b64 exec, exec, s[6:7]
	s_and_saveexec_b64 s[6:7], s[4:5]
	s_cbranch_execz .LBB28_80
.LBB28_79:
	v_bfe_u32 v14, v12, 8, 3
	v_ffbh_u32_e32 v20, v14
	v_min_u32_e32 v20, 32, v20
	v_lshrrev_b16_e32 v15, 3, v11
	v_subrev_u32_e32 v21, 28, v20
	v_and_b32_e32 v15, 15, v15
	v_lshlrev_b32_e32 v11, v21, v11
	v_sub_u32_e32 v20, 29, v20
	v_and_b32_e32 v11, 7, v11
	v_cmp_eq_u16_e32 vcc, 0, v15
	v_cndmask_b32_e32 v11, v14, v11, vcc
	v_cndmask_b32_e32 v14, v15, v20, vcc
	v_lshlrev_b32_e32 v15, 16, v12
	v_mov_b32_e32 v20, 0x3b800000
	v_lshlrev_b32_e32 v11, 20, v11
	v_and_b32_e32 v15, 0x80000000, v15
	v_lshl_add_u32 v14, v14, 23, v20
	v_or3_b32 v14, v15, v14, v11
.LBB28_80:
	s_or_b64 exec, exec, s[6:7]
	s_nop 0
	v_mfma_f32_16x16x4f32 a[0:3], v10, v14, a[0:3]
	s_movk_i32 s4, 0xff
	v_and_b32_sdwa v11, v16, s4 dst_sel:DWORD dst_unused:UNUSED_PAD src0_sel:WORD_1 src1_sel:DWORD
	s_movk_i32 s4, 0x7f
	v_cmp_lt_i16_e32 vcc, s4, v11
	s_mov_b64 s[4:5], 0
                                        ; implicit-def: $sgpr10
	s_and_saveexec_b64 s[6:7], vcc
	s_xor_b64 s[6:7], exec, s[6:7]
	s_cbranch_execnz .LBB28_2129
; %bb.81:
	s_or_saveexec_b64 s[6:7], s[6:7]
	v_mov_b32_e32 v10, s10
	s_xor_b64 exec, exec, s[6:7]
	s_cbranch_execnz .LBB28_2132
.LBB28_82:
	s_or_b64 exec, exec, s[6:7]
	s_and_saveexec_b64 s[6:7], s[4:5]
	s_cbranch_execz .LBB28_84
.LBB28_83:
	v_bfe_u32 v10, v16, 16, 3
	v_ffbh_u32_e32 v15, v10
	v_min_u32_e32 v15, 32, v15
	v_lshrrev_b32_e32 v11, 19, v16
	v_subrev_u32_e32 v20, 28, v15
	v_and_b32_e32 v11, 15, v11
	v_lshlrev_b32_sdwa v20, v20, v16 dst_sel:DWORD dst_unused:UNUSED_PAD src0_sel:DWORD src1_sel:WORD_1
	v_bfe_u32 v14, v16, 19, 4
	v_sub_u32_e32 v15, 29, v15
	v_and_b32_e32 v20, 7, v20
	v_cmp_eq_u16_e32 vcc, 0, v11
	v_cndmask_b32_e32 v10, v10, v20, vcc
	v_cndmask_b32_e32 v11, v14, v15, vcc
	v_lshlrev_b32_e32 v14, 8, v16
	v_mov_b32_e32 v15, 0x3b800000
	v_lshlrev_b32_e32 v10, 20, v10
	v_and_b32_e32 v14, 0x80000000, v14
	v_lshl_add_u32 v11, v11, 23, v15
	v_or3_b32 v10, v14, v11, v10
.LBB28_84:
	s_or_b64 exec, exec, s[6:7]
	s_movk_i32 s4, 0xff
	v_and_b32_sdwa v11, v12, s4 dst_sel:DWORD dst_unused:UNUSED_PAD src0_sel:WORD_1 src1_sel:DWORD
	s_movk_i32 s4, 0x7f
	v_cmp_lt_i16_e32 vcc, s4, v11
	s_mov_b64 s[4:5], 0
                                        ; implicit-def: $sgpr10
	s_and_saveexec_b64 s[6:7], vcc
	s_xor_b64 s[6:7], exec, s[6:7]
	s_cbranch_execnz .LBB28_2133
; %bb.85:
	s_or_saveexec_b64 s[6:7], s[6:7]
	v_mov_b32_e32 v14, s10
	s_xor_b64 exec, exec, s[6:7]
	s_cbranch_execnz .LBB28_2136
.LBB28_86:
	s_or_b64 exec, exec, s[6:7]
	s_and_saveexec_b64 s[6:7], s[4:5]
	s_cbranch_execz .LBB28_88
.LBB28_87:
	v_bfe_u32 v11, v12, 16, 3
	v_ffbh_u32_e32 v20, v11
	v_min_u32_e32 v20, 32, v20
	v_lshrrev_b32_e32 v14, 19, v12
	v_subrev_u32_e32 v21, 28, v20
	v_and_b32_e32 v14, 15, v14
	v_lshlrev_b32_sdwa v21, v21, v12 dst_sel:DWORD dst_unused:UNUSED_PAD src0_sel:DWORD src1_sel:WORD_1
	v_bfe_u32 v15, v12, 19, 4
	v_sub_u32_e32 v20, 29, v20
	v_and_b32_e32 v21, 7, v21
	v_cmp_eq_u16_e32 vcc, 0, v14
	v_cndmask_b32_e32 v11, v11, v21, vcc
	v_cndmask_b32_e32 v14, v15, v20, vcc
	v_lshlrev_b32_e32 v15, 8, v12
	v_mov_b32_e32 v20, 0x3b800000
	v_lshlrev_b32_e32 v11, 20, v11
	v_and_b32_e32 v15, 0x80000000, v15
	v_lshl_add_u32 v14, v14, 23, v20
	v_or3_b32 v14, v15, v14, v11
.LBB28_88:
	s_or_b64 exec, exec, s[6:7]
	s_nop 0
	v_mfma_f32_16x16x4f32 a[0:3], v10, v14, a[0:3]
	s_movk_i32 s4, 0x7f
	v_cmp_gt_i16_sdwa s[6:7], v16, s4 src0_sel:BYTE_3 src1_sel:DWORD
	s_mov_b64 s[4:5], 0
                                        ; implicit-def: $sgpr10
	s_and_saveexec_b64 s[8:9], s[6:7]
	s_xor_b64 s[6:7], exec, s[8:9]
	s_cbranch_execnz .LBB28_2137
; %bb.89:
	s_or_saveexec_b64 s[6:7], s[6:7]
	v_mov_b32_e32 v10, s10
	s_xor_b64 exec, exec, s[6:7]
	s_cbranch_execnz .LBB28_2140
.LBB28_90:
	s_or_b64 exec, exec, s[6:7]
	s_and_saveexec_b64 s[6:7], s[4:5]
	s_cbranch_execz .LBB28_92
.LBB28_91:
	v_bfe_u32 v10, v16, 24, 3
	v_ffbh_u32_e32 v20, v10
	v_min_u32_e32 v20, 32, v20
	v_lshrrev_b32_e32 v14, 27, v16
	v_subrev_u32_e32 v21, 28, v20
	v_and_b32_e32 v11, 0x80000000, v16
	v_and_b32_e32 v14, 15, v14
	v_bfe_u32 v15, v16, 27, 4
	v_lshlrev_b32_sdwa v16, v21, v16 dst_sel:DWORD dst_unused:UNUSED_PAD src0_sel:DWORD src1_sel:BYTE_3
	v_sub_u32_e32 v20, 29, v20
	v_and_b32_e32 v16, 7, v16
	v_cmp_eq_u16_e32 vcc, 0, v14
	v_cndmask_b32_e32 v10, v10, v16, vcc
	v_cndmask_b32_e32 v14, v15, v20, vcc
	v_mov_b32_e32 v15, 0x3b800000
	v_lshlrev_b32_e32 v10, 20, v10
	v_lshl_add_u32 v14, v14, 23, v15
	v_or3_b32 v10, v11, v14, v10
.LBB28_92:
	s_or_b64 exec, exec, s[6:7]
	s_movk_i32 s4, 0x7f
	v_cmp_gt_i16_sdwa s[6:7], v12, s4 src0_sel:BYTE_3 src1_sel:DWORD
	s_mov_b64 s[4:5], 0
                                        ; implicit-def: $sgpr10
	s_and_saveexec_b64 s[8:9], s[6:7]
	s_xor_b64 s[6:7], exec, s[8:9]
	s_cbranch_execnz .LBB28_2141
; %bb.93:
	s_or_saveexec_b64 s[6:7], s[6:7]
	v_mov_b32_e32 v11, s10
	s_xor_b64 exec, exec, s[6:7]
	s_cbranch_execnz .LBB28_2144
.LBB28_94:
	s_or_b64 exec, exec, s[6:7]
	s_and_saveexec_b64 s[6:7], s[4:5]
	s_cbranch_execz .LBB28_96
.LBB28_95:
	v_bfe_u32 v11, v12, 24, 3
	v_ffbh_u32_e32 v20, v11
	v_min_u32_e32 v20, 32, v20
	v_lshrrev_b32_e32 v15, 27, v12
	v_subrev_u32_e32 v21, 28, v20
	v_and_b32_e32 v14, 0x80000000, v12
	v_and_b32_e32 v15, 15, v15
	v_bfe_u32 v16, v12, 27, 4
	v_lshlrev_b32_sdwa v12, v21, v12 dst_sel:DWORD dst_unused:UNUSED_PAD src0_sel:DWORD src1_sel:BYTE_3
	v_sub_u32_e32 v20, 29, v20
	v_and_b32_e32 v12, 7, v12
	v_cmp_eq_u16_e32 vcc, 0, v15
	v_cndmask_b32_e32 v11, v11, v12, vcc
	v_cndmask_b32_e32 v12, v16, v20, vcc
	v_mov_b32_e32 v15, 0x3b800000
	v_lshlrev_b32_e32 v11, 20, v11
	v_lshl_add_u32 v12, v12, 23, v15
	v_or3_b32 v11, v14, v12, v11
.LBB28_96:
	s_or_b64 exec, exec, s[6:7]
	s_nop 0
	v_mfma_f32_16x16x4f32 a[0:3], v10, v11, a[0:3]
	s_movk_i32 s4, 0x7f
	v_cmp_gt_i16_sdwa s[6:7], v17, s4 src0_sel:BYTE_0 src1_sel:DWORD
	s_mov_b64 s[4:5], 0
                                        ; implicit-def: $sgpr10
	s_and_saveexec_b64 s[8:9], s[6:7]
	s_xor_b64 s[6:7], exec, s[8:9]
	s_cbranch_execnz .LBB28_2145
; %bb.97:
	s_or_saveexec_b64 s[6:7], s[6:7]
	v_mov_b32_e32 v10, s10
	s_xor_b64 exec, exec, s[6:7]
	s_cbranch_execnz .LBB28_2148
.LBB28_98:
	s_or_b64 exec, exec, s[6:7]
	s_and_saveexec_b64 s[6:7], s[4:5]
	s_cbranch_execz .LBB28_100
.LBB28_99:
	v_and_b32_e32 v10, 7, v17
	v_ffbh_u32_e32 v12, v10
	v_min_u32_e32 v12, 32, v12
	v_lshrrev_b16_e32 v11, 3, v17
	v_subrev_u32_e32 v14, 28, v12
	v_and_b32_e32 v11, 15, v11
	v_lshlrev_b32_e32 v14, v14, v17
	v_sub_u32_e32 v12, 29, v12
	v_and_b32_e32 v14, 7, v14
	v_cmp_eq_u16_e32 vcc, 0, v11
	v_cndmask_b32_e32 v10, v10, v14, vcc
	v_cndmask_b32_e32 v11, v11, v12, vcc
	v_lshlrev_b32_e32 v12, 24, v17
	v_mov_b32_e32 v14, 0x3b800000
	v_lshlrev_b32_e32 v10, 20, v10
	v_and_b32_e32 v12, 0x80000000, v12
	v_lshl_add_u32 v11, v11, 23, v14
	v_or3_b32 v10, v12, v11, v10
.LBB28_100:
	s_or_b64 exec, exec, s[6:7]
	s_movk_i32 s4, 0x7f
	v_cmp_gt_i16_sdwa s[6:7], v13, s4 src0_sel:BYTE_0 src1_sel:DWORD
	s_mov_b64 s[4:5], 0
                                        ; implicit-def: $sgpr10
	s_and_saveexec_b64 s[8:9], s[6:7]
	s_xor_b64 s[6:7], exec, s[8:9]
	s_cbranch_execnz .LBB28_2149
; %bb.101:
	s_or_saveexec_b64 s[6:7], s[6:7]
	v_mov_b32_e32 v11, s10
	s_xor_b64 exec, exec, s[6:7]
	s_cbranch_execnz .LBB28_2152
.LBB28_102:
	s_or_b64 exec, exec, s[6:7]
	s_and_saveexec_b64 s[6:7], s[4:5]
	s_cbranch_execz .LBB28_104
.LBB28_103:
	v_and_b32_e32 v11, 7, v13
	v_ffbh_u32_e32 v14, v11
	v_min_u32_e32 v14, 32, v14
	v_lshrrev_b16_e32 v12, 3, v13
	v_subrev_u32_e32 v15, 28, v14
	v_and_b32_e32 v12, 15, v12
	v_lshlrev_b32_e32 v15, v15, v13
	v_sub_u32_e32 v14, 29, v14
	v_and_b32_e32 v15, 7, v15
	v_cmp_eq_u16_e32 vcc, 0, v12
	v_cndmask_b32_e32 v11, v11, v15, vcc
	v_cndmask_b32_e32 v12, v12, v14, vcc
	v_lshlrev_b32_e32 v14, 24, v13
	v_mov_b32_e32 v15, 0x3b800000
	v_lshlrev_b32_e32 v11, 20, v11
	v_and_b32_e32 v14, 0x80000000, v14
	v_lshl_add_u32 v12, v12, 23, v15
	v_or3_b32 v11, v14, v12, v11
.LBB28_104:
	s_or_b64 exec, exec, s[6:7]
	s_nop 0
	v_mfma_f32_16x16x4f32 a[0:3], v10, v11, a[0:3]
	v_lshrrev_b32_e32 v11, 8, v17
	s_movk_i32 s4, 0x7f
	v_cmp_gt_i16_sdwa s[6:7], v11, s4 src0_sel:BYTE_0 src1_sel:DWORD
	s_mov_b64 s[4:5], 0
                                        ; implicit-def: $sgpr10
	s_and_saveexec_b64 s[8:9], s[6:7]
	s_xor_b64 s[6:7], exec, s[8:9]
	s_cbranch_execnz .LBB28_2153
; %bb.105:
	s_or_saveexec_b64 s[6:7], s[6:7]
	v_mov_b32_e32 v10, s10
	s_xor_b64 exec, exec, s[6:7]
	s_cbranch_execnz .LBB28_2156
.LBB28_106:
	s_or_b64 exec, exec, s[6:7]
	s_and_saveexec_b64 s[6:7], s[4:5]
	s_cbranch_execz .LBB28_108
.LBB28_107:
	v_bfe_u32 v10, v17, 8, 3
	v_ffbh_u32_e32 v14, v10
	v_min_u32_e32 v14, 32, v14
	v_lshrrev_b16_e32 v12, 3, v11
	v_subrev_u32_e32 v15, 28, v14
	v_and_b32_e32 v12, 15, v12
	v_lshlrev_b32_e32 v11, v15, v11
	v_sub_u32_e32 v14, 29, v14
	v_and_b32_e32 v11, 7, v11
	v_cmp_eq_u16_e32 vcc, 0, v12
	v_cndmask_b32_e32 v10, v10, v11, vcc
	v_cndmask_b32_e32 v11, v12, v14, vcc
	v_lshlrev_b32_e32 v12, 16, v17
	v_mov_b32_e32 v14, 0x3b800000
	v_lshlrev_b32_e32 v10, 20, v10
	v_and_b32_e32 v12, 0x80000000, v12
	v_lshl_add_u32 v11, v11, 23, v14
	v_or3_b32 v10, v12, v11, v10
.LBB28_108:
	s_or_b64 exec, exec, s[6:7]
	v_lshrrev_b32_e32 v11, 8, v13
	s_movk_i32 s4, 0x7f
	v_cmp_gt_i16_sdwa s[6:7], v11, s4 src0_sel:BYTE_0 src1_sel:DWORD
	s_mov_b64 s[4:5], 0
                                        ; implicit-def: $sgpr10
	s_and_saveexec_b64 s[8:9], s[6:7]
	s_xor_b64 s[6:7], exec, s[8:9]
	s_cbranch_execnz .LBB28_2157
; %bb.109:
	s_or_saveexec_b64 s[6:7], s[6:7]
	v_mov_b32_e32 v12, s10
	s_xor_b64 exec, exec, s[6:7]
	s_cbranch_execnz .LBB28_2160
.LBB28_110:
	s_or_b64 exec, exec, s[6:7]
	s_and_saveexec_b64 s[6:7], s[4:5]
	s_cbranch_execz .LBB28_112
.LBB28_111:
	v_bfe_u32 v12, v13, 8, 3
	v_ffbh_u32_e32 v15, v12
	v_min_u32_e32 v15, 32, v15
	v_lshrrev_b16_e32 v14, 3, v11
	v_subrev_u32_e32 v16, 28, v15
	v_and_b32_e32 v14, 15, v14
	v_lshlrev_b32_e32 v11, v16, v11
	v_sub_u32_e32 v15, 29, v15
	v_and_b32_e32 v11, 7, v11
	v_cmp_eq_u16_e32 vcc, 0, v14
	v_cndmask_b32_e32 v11, v12, v11, vcc
	v_cndmask_b32_e32 v12, v14, v15, vcc
	v_lshlrev_b32_e32 v14, 16, v13
	v_mov_b32_e32 v15, 0x3b800000
	v_lshlrev_b32_e32 v11, 20, v11
	v_and_b32_e32 v14, 0x80000000, v14
	v_lshl_add_u32 v12, v12, 23, v15
	v_or3_b32 v12, v14, v12, v11
.LBB28_112:
	s_or_b64 exec, exec, s[6:7]
	s_nop 0
	v_mfma_f32_16x16x4f32 a[0:3], v10, v12, a[0:3]
	s_movk_i32 s4, 0xff
	v_and_b32_sdwa v11, v17, s4 dst_sel:DWORD dst_unused:UNUSED_PAD src0_sel:WORD_1 src1_sel:DWORD
	s_movk_i32 s4, 0x7f
	v_cmp_lt_i16_e32 vcc, s4, v11
	s_mov_b64 s[4:5], 0
                                        ; implicit-def: $sgpr10
	s_and_saveexec_b64 s[6:7], vcc
	s_xor_b64 s[6:7], exec, s[6:7]
	s_cbranch_execnz .LBB28_2161
; %bb.113:
	s_or_saveexec_b64 s[6:7], s[6:7]
	v_mov_b32_e32 v10, s10
	s_xor_b64 exec, exec, s[6:7]
	s_cbranch_execnz .LBB28_2164
.LBB28_114:
	s_or_b64 exec, exec, s[6:7]
	s_and_saveexec_b64 s[6:7], s[4:5]
	s_cbranch_execz .LBB28_116
.LBB28_115:
	v_bfe_u32 v10, v17, 16, 3
	v_ffbh_u32_e32 v14, v10
	v_min_u32_e32 v14, 32, v14
	v_lshrrev_b32_e32 v11, 19, v17
	v_subrev_u32_e32 v15, 28, v14
	v_and_b32_e32 v11, 15, v11
	v_lshlrev_b32_sdwa v15, v15, v17 dst_sel:DWORD dst_unused:UNUSED_PAD src0_sel:DWORD src1_sel:WORD_1
	v_bfe_u32 v12, v17, 19, 4
	v_sub_u32_e32 v14, 29, v14
	v_and_b32_e32 v15, 7, v15
	v_cmp_eq_u16_e32 vcc, 0, v11
	v_cndmask_b32_e32 v10, v10, v15, vcc
	v_cndmask_b32_e32 v11, v12, v14, vcc
	v_lshlrev_b32_e32 v12, 8, v17
	v_mov_b32_e32 v14, 0x3b800000
	v_lshlrev_b32_e32 v10, 20, v10
	v_and_b32_e32 v12, 0x80000000, v12
	v_lshl_add_u32 v11, v11, 23, v14
	v_or3_b32 v10, v12, v11, v10
.LBB28_116:
	s_or_b64 exec, exec, s[6:7]
	s_movk_i32 s4, 0xff
	v_and_b32_sdwa v11, v13, s4 dst_sel:DWORD dst_unused:UNUSED_PAD src0_sel:WORD_1 src1_sel:DWORD
	s_movk_i32 s4, 0x7f
	v_cmp_lt_i16_e32 vcc, s4, v11
	s_mov_b64 s[4:5], 0
                                        ; implicit-def: $sgpr10
	s_and_saveexec_b64 s[6:7], vcc
	s_xor_b64 s[6:7], exec, s[6:7]
	s_cbranch_execnz .LBB28_2165
; %bb.117:
	s_or_saveexec_b64 s[6:7], s[6:7]
	v_mov_b32_e32 v12, s10
	s_xor_b64 exec, exec, s[6:7]
	s_cbranch_execnz .LBB28_2168
.LBB28_118:
	s_or_b64 exec, exec, s[6:7]
	s_and_saveexec_b64 s[6:7], s[4:5]
	s_cbranch_execz .LBB28_120
.LBB28_119:
	v_bfe_u32 v11, v13, 16, 3
	v_ffbh_u32_e32 v15, v11
	v_min_u32_e32 v15, 32, v15
	v_lshrrev_b32_e32 v12, 19, v13
	v_subrev_u32_e32 v16, 28, v15
	v_and_b32_e32 v12, 15, v12
	v_lshlrev_b32_sdwa v16, v16, v13 dst_sel:DWORD dst_unused:UNUSED_PAD src0_sel:DWORD src1_sel:WORD_1
	v_bfe_u32 v14, v13, 19, 4
	v_sub_u32_e32 v15, 29, v15
	v_and_b32_e32 v16, 7, v16
	v_cmp_eq_u16_e32 vcc, 0, v12
	v_cndmask_b32_e32 v11, v11, v16, vcc
	v_cndmask_b32_e32 v12, v14, v15, vcc
	v_lshlrev_b32_e32 v14, 8, v13
	v_mov_b32_e32 v15, 0x3b800000
	v_lshlrev_b32_e32 v11, 20, v11
	v_and_b32_e32 v14, 0x80000000, v14
	v_lshl_add_u32 v12, v12, 23, v15
	v_or3_b32 v12, v14, v12, v11
.LBB28_120:
	s_or_b64 exec, exec, s[6:7]
	s_nop 0
	v_mfma_f32_16x16x4f32 a[0:3], v10, v12, a[0:3]
	s_movk_i32 s4, 0x7f
	v_cmp_gt_i16_sdwa s[6:7], v17, s4 src0_sel:BYTE_3 src1_sel:DWORD
	s_mov_b64 s[4:5], 0
                                        ; implicit-def: $sgpr10
	s_and_saveexec_b64 s[8:9], s[6:7]
	s_xor_b64 s[6:7], exec, s[8:9]
	s_cbranch_execnz .LBB28_2169
; %bb.121:
	s_or_saveexec_b64 s[6:7], s[6:7]
	v_mov_b32_e32 v10, s10
	s_xor_b64 exec, exec, s[6:7]
	s_cbranch_execnz .LBB28_2172
.LBB28_122:
	s_or_b64 exec, exec, s[6:7]
	s_and_saveexec_b64 s[6:7], s[4:5]
	s_cbranch_execz .LBB28_124
.LBB28_123:
	v_bfe_u32 v10, v17, 24, 3
	v_ffbh_u32_e32 v15, v10
	v_min_u32_e32 v15, 32, v15
	v_lshrrev_b32_e32 v12, 27, v17
	v_subrev_u32_e32 v16, 28, v15
	v_and_b32_e32 v12, 15, v12
	v_lshlrev_b32_sdwa v16, v16, v17 dst_sel:DWORD dst_unused:UNUSED_PAD src0_sel:DWORD src1_sel:BYTE_3
	v_bfe_u32 v14, v17, 27, 4
	v_sub_u32_e32 v15, 29, v15
	v_and_b32_e32 v16, 7, v16
	v_cmp_eq_u16_e32 vcc, 0, v12
	v_cndmask_b32_e32 v10, v10, v16, vcc
	v_cndmask_b32_e32 v12, v14, v15, vcc
	v_mov_b32_e32 v14, 0x3b800000
	v_and_b32_e32 v11, 0x80000000, v17
	v_lshlrev_b32_e32 v10, 20, v10
	v_lshl_add_u32 v12, v12, 23, v14
	v_or3_b32 v10, v11, v12, v10
.LBB28_124:
	s_or_b64 exec, exec, s[6:7]
	s_movk_i32 s4, 0x7f
	v_cmp_gt_i16_sdwa s[6:7], v13, s4 src0_sel:BYTE_3 src1_sel:DWORD
	s_mov_b64 s[4:5], 0
                                        ; implicit-def: $sgpr10
	s_and_saveexec_b64 s[8:9], s[6:7]
	s_xor_b64 s[6:7], exec, s[8:9]
	s_cbranch_execnz .LBB28_2173
; %bb.125:
	s_or_saveexec_b64 s[6:7], s[6:7]
	v_mov_b32_e32 v11, s10
	s_xor_b64 exec, exec, s[6:7]
	s_cbranch_execnz .LBB28_2176
.LBB28_126:
	s_or_b64 exec, exec, s[6:7]
	s_and_saveexec_b64 s[6:7], s[4:5]
	s_cbranch_execz .LBB28_128
.LBB28_127:
	v_bfe_u32 v11, v13, 24, 3
	v_ffbh_u32_e32 v16, v11
	v_min_u32_e32 v16, 32, v16
	v_lshrrev_b32_e32 v14, 27, v13
	v_subrev_u32_e32 v17, 28, v16
	v_and_b32_e32 v12, 0x80000000, v13
	v_and_b32_e32 v14, 15, v14
	v_bfe_u32 v15, v13, 27, 4
	v_lshlrev_b32_sdwa v13, v17, v13 dst_sel:DWORD dst_unused:UNUSED_PAD src0_sel:DWORD src1_sel:BYTE_3
	v_sub_u32_e32 v16, 29, v16
	v_and_b32_e32 v13, 7, v13
	v_cmp_eq_u16_e32 vcc, 0, v14
	v_cndmask_b32_e32 v11, v11, v13, vcc
	v_cndmask_b32_e32 v13, v15, v16, vcc
	v_mov_b32_e32 v14, 0x3b800000
	v_lshlrev_b32_e32 v11, 20, v11
	v_lshl_add_u32 v13, v13, 23, v14
	v_or3_b32 v11, v12, v13, v11
.LBB28_128:
	s_or_b64 exec, exec, s[6:7]
	s_nop 0
	v_mfma_f32_16x16x4f32 a[0:3], v10, v11, a[0:3]
	s_movk_i32 s4, 0x7f
	v_cmp_gt_i16_sdwa s[6:7], v6, s4 src0_sel:BYTE_0 src1_sel:DWORD
	s_mov_b64 s[4:5], 0
                                        ; implicit-def: $sgpr10
	s_and_saveexec_b64 s[8:9], s[6:7]
	s_xor_b64 s[6:7], exec, s[8:9]
	s_cbranch_execnz .LBB28_2177
; %bb.129:
	s_or_saveexec_b64 s[6:7], s[6:7]
	v_mov_b32_e32 v10, s10
	s_xor_b64 exec, exec, s[6:7]
	s_cbranch_execnz .LBB28_2180
.LBB28_130:
	s_or_b64 exec, exec, s[6:7]
	s_and_saveexec_b64 s[6:7], s[4:5]
	s_cbranch_execz .LBB28_132
.LBB28_131:
	v_and_b32_e32 v10, 7, v6
	v_ffbh_u32_e32 v12, v10
	v_min_u32_e32 v12, 32, v12
	v_lshrrev_b16_e32 v11, 3, v6
	v_subrev_u32_e32 v13, 28, v12
	v_and_b32_e32 v11, 15, v11
	v_lshlrev_b32_e32 v13, v13, v6
	v_sub_u32_e32 v12, 29, v12
	v_and_b32_e32 v13, 7, v13
	v_cmp_eq_u16_e32 vcc, 0, v11
	v_cndmask_b32_e32 v10, v10, v13, vcc
	v_cndmask_b32_e32 v11, v11, v12, vcc
	v_lshlrev_b32_e32 v12, 24, v6
	v_mov_b32_e32 v13, 0x3b800000
	v_lshlrev_b32_e32 v10, 20, v10
	v_and_b32_e32 v12, 0x80000000, v12
	v_lshl_add_u32 v11, v11, 23, v13
	v_or3_b32 v10, v12, v11, v10
.LBB28_132:
	s_or_b64 exec, exec, s[6:7]
	s_movk_i32 s4, 0x7f
	v_cmp_gt_i16_sdwa s[6:7], v2, s4 src0_sel:BYTE_0 src1_sel:DWORD
	s_mov_b64 s[4:5], 0
                                        ; implicit-def: $sgpr10
	s_and_saveexec_b64 s[8:9], s[6:7]
	s_xor_b64 s[6:7], exec, s[8:9]
	s_cbranch_execnz .LBB28_2181
; %bb.133:
	s_or_saveexec_b64 s[6:7], s[6:7]
	v_mov_b32_e32 v11, s10
	s_xor_b64 exec, exec, s[6:7]
	s_cbranch_execnz .LBB28_2184
.LBB28_134:
	s_or_b64 exec, exec, s[6:7]
	s_and_saveexec_b64 s[6:7], s[4:5]
	s_cbranch_execz .LBB28_136
.LBB28_135:
	v_and_b32_e32 v11, 7, v2
	v_ffbh_u32_e32 v13, v11
	v_min_u32_e32 v13, 32, v13
	v_lshrrev_b16_e32 v12, 3, v2
	v_subrev_u32_e32 v14, 28, v13
	v_and_b32_e32 v12, 15, v12
	v_lshlrev_b32_e32 v14, v14, v2
	v_sub_u32_e32 v13, 29, v13
	v_and_b32_e32 v14, 7, v14
	v_cmp_eq_u16_e32 vcc, 0, v12
	v_cndmask_b32_e32 v11, v11, v14, vcc
	v_cndmask_b32_e32 v12, v12, v13, vcc
	v_lshlrev_b32_e32 v13, 24, v2
	v_mov_b32_e32 v14, 0x3b800000
	v_lshlrev_b32_e32 v11, 20, v11
	v_and_b32_e32 v13, 0x80000000, v13
	v_lshl_add_u32 v12, v12, 23, v14
	v_or3_b32 v11, v13, v12, v11
.LBB28_136:
	s_or_b64 exec, exec, s[6:7]
	s_nop 0
	v_mfma_f32_16x16x4f32 a[0:3], v10, v11, a[0:3]
	v_lshrrev_b32_e32 v11, 8, v6
	s_movk_i32 s4, 0x7f
	v_cmp_gt_i16_sdwa s[6:7], v11, s4 src0_sel:BYTE_0 src1_sel:DWORD
	s_mov_b64 s[4:5], 0
                                        ; implicit-def: $sgpr10
	s_and_saveexec_b64 s[8:9], s[6:7]
	s_xor_b64 s[6:7], exec, s[8:9]
	s_cbranch_execnz .LBB28_2185
; %bb.137:
	s_or_saveexec_b64 s[6:7], s[6:7]
	v_mov_b32_e32 v10, s10
	s_xor_b64 exec, exec, s[6:7]
	s_cbranch_execnz .LBB28_2188
.LBB28_138:
	s_or_b64 exec, exec, s[6:7]
	s_and_saveexec_b64 s[6:7], s[4:5]
	s_cbranch_execz .LBB28_140
.LBB28_139:
	v_bfe_u32 v10, v6, 8, 3
	v_ffbh_u32_e32 v13, v10
	v_min_u32_e32 v13, 32, v13
	v_lshrrev_b16_e32 v12, 3, v11
	v_subrev_u32_e32 v14, 28, v13
	v_and_b32_e32 v12, 15, v12
	v_lshlrev_b32_e32 v11, v14, v11
	v_sub_u32_e32 v13, 29, v13
	v_and_b32_e32 v11, 7, v11
	v_cmp_eq_u16_e32 vcc, 0, v12
	v_cndmask_b32_e32 v10, v10, v11, vcc
	v_cndmask_b32_e32 v11, v12, v13, vcc
	v_lshlrev_b32_e32 v12, 16, v6
	v_mov_b32_e32 v13, 0x3b800000
	v_lshlrev_b32_e32 v10, 20, v10
	v_and_b32_e32 v12, 0x80000000, v12
	v_lshl_add_u32 v11, v11, 23, v13
	v_or3_b32 v10, v12, v11, v10
.LBB28_140:
	s_or_b64 exec, exec, s[6:7]
	v_lshrrev_b32_e32 v11, 8, v2
	s_movk_i32 s4, 0x7f
	v_cmp_gt_i16_sdwa s[6:7], v11, s4 src0_sel:BYTE_0 src1_sel:DWORD
	s_mov_b64 s[4:5], 0
                                        ; implicit-def: $sgpr10
	s_and_saveexec_b64 s[8:9], s[6:7]
	s_xor_b64 s[6:7], exec, s[8:9]
	s_cbranch_execnz .LBB28_2189
; %bb.141:
	s_or_saveexec_b64 s[6:7], s[6:7]
	v_mov_b32_e32 v12, s10
	s_xor_b64 exec, exec, s[6:7]
	s_cbranch_execnz .LBB28_2192
.LBB28_142:
	s_or_b64 exec, exec, s[6:7]
	s_and_saveexec_b64 s[6:7], s[4:5]
	s_cbranch_execz .LBB28_144
.LBB28_143:
	v_bfe_u32 v12, v2, 8, 3
	v_ffbh_u32_e32 v14, v12
	v_min_u32_e32 v14, 32, v14
	v_lshrrev_b16_e32 v13, 3, v11
	v_subrev_u32_e32 v15, 28, v14
	v_and_b32_e32 v13, 15, v13
	v_lshlrev_b32_e32 v11, v15, v11
	v_sub_u32_e32 v14, 29, v14
	v_and_b32_e32 v11, 7, v11
	v_cmp_eq_u16_e32 vcc, 0, v13
	v_cndmask_b32_e32 v11, v12, v11, vcc
	v_cndmask_b32_e32 v12, v13, v14, vcc
	v_lshlrev_b32_e32 v13, 16, v2
	v_mov_b32_e32 v14, 0x3b800000
	v_lshlrev_b32_e32 v11, 20, v11
	v_and_b32_e32 v13, 0x80000000, v13
	v_lshl_add_u32 v12, v12, 23, v14
	v_or3_b32 v12, v13, v12, v11
.LBB28_144:
	s_or_b64 exec, exec, s[6:7]
	s_nop 0
	v_mfma_f32_16x16x4f32 a[0:3], v10, v12, a[0:3]
	s_movk_i32 s4, 0xff
	v_and_b32_sdwa v11, v6, s4 dst_sel:DWORD dst_unused:UNUSED_PAD src0_sel:WORD_1 src1_sel:DWORD
	s_movk_i32 s4, 0x7f
	v_cmp_lt_i16_e32 vcc, s4, v11
	s_mov_b64 s[4:5], 0
                                        ; implicit-def: $sgpr10
	s_and_saveexec_b64 s[6:7], vcc
	s_xor_b64 s[6:7], exec, s[6:7]
	s_cbranch_execnz .LBB28_2193
; %bb.145:
	s_or_saveexec_b64 s[6:7], s[6:7]
	v_mov_b32_e32 v10, s10
	s_xor_b64 exec, exec, s[6:7]
	s_cbranch_execnz .LBB28_2196
.LBB28_146:
	s_or_b64 exec, exec, s[6:7]
	s_and_saveexec_b64 s[6:7], s[4:5]
	s_cbranch_execz .LBB28_148
.LBB28_147:
	v_bfe_u32 v10, v6, 16, 3
	v_ffbh_u32_e32 v13, v10
	v_min_u32_e32 v13, 32, v13
	v_lshrrev_b32_e32 v11, 19, v6
	v_subrev_u32_e32 v14, 28, v13
	v_and_b32_e32 v11, 15, v11
	v_lshlrev_b32_sdwa v14, v14, v6 dst_sel:DWORD dst_unused:UNUSED_PAD src0_sel:DWORD src1_sel:WORD_1
	v_bfe_u32 v12, v6, 19, 4
	v_sub_u32_e32 v13, 29, v13
	v_and_b32_e32 v14, 7, v14
	v_cmp_eq_u16_e32 vcc, 0, v11
	v_cndmask_b32_e32 v10, v10, v14, vcc
	v_cndmask_b32_e32 v11, v12, v13, vcc
	v_lshlrev_b32_e32 v12, 8, v6
	v_mov_b32_e32 v13, 0x3b800000
	v_lshlrev_b32_e32 v10, 20, v10
	v_and_b32_e32 v12, 0x80000000, v12
	v_lshl_add_u32 v11, v11, 23, v13
	v_or3_b32 v10, v12, v11, v10
.LBB28_148:
	s_or_b64 exec, exec, s[6:7]
	s_movk_i32 s4, 0xff
	v_and_b32_sdwa v11, v2, s4 dst_sel:DWORD dst_unused:UNUSED_PAD src0_sel:WORD_1 src1_sel:DWORD
	s_movk_i32 s4, 0x7f
	v_cmp_lt_i16_e32 vcc, s4, v11
	s_mov_b64 s[4:5], 0
                                        ; implicit-def: $sgpr10
	s_and_saveexec_b64 s[6:7], vcc
	s_xor_b64 s[6:7], exec, s[6:7]
	s_cbranch_execnz .LBB28_2197
; %bb.149:
	s_or_saveexec_b64 s[6:7], s[6:7]
	v_mov_b32_e32 v12, s10
	s_xor_b64 exec, exec, s[6:7]
	s_cbranch_execnz .LBB28_2200
.LBB28_150:
	s_or_b64 exec, exec, s[6:7]
	s_and_saveexec_b64 s[6:7], s[4:5]
	s_cbranch_execz .LBB28_152
.LBB28_151:
	v_bfe_u32 v11, v2, 16, 3
	v_ffbh_u32_e32 v14, v11
	v_min_u32_e32 v14, 32, v14
	v_lshrrev_b32_e32 v12, 19, v2
	v_subrev_u32_e32 v15, 28, v14
	v_and_b32_e32 v12, 15, v12
	v_lshlrev_b32_sdwa v15, v15, v2 dst_sel:DWORD dst_unused:UNUSED_PAD src0_sel:DWORD src1_sel:WORD_1
	v_bfe_u32 v13, v2, 19, 4
	v_sub_u32_e32 v14, 29, v14
	v_and_b32_e32 v15, 7, v15
	v_cmp_eq_u16_e32 vcc, 0, v12
	v_cndmask_b32_e32 v11, v11, v15, vcc
	v_cndmask_b32_e32 v12, v13, v14, vcc
	v_lshlrev_b32_e32 v13, 8, v2
	v_mov_b32_e32 v14, 0x3b800000
	v_lshlrev_b32_e32 v11, 20, v11
	v_and_b32_e32 v13, 0x80000000, v13
	v_lshl_add_u32 v12, v12, 23, v14
	v_or3_b32 v12, v13, v12, v11
.LBB28_152:
	s_or_b64 exec, exec, s[6:7]
	s_nop 0
	v_mfma_f32_16x16x4f32 a[0:3], v10, v12, a[0:3]
	s_movk_i32 s4, 0x7f
	v_cmp_gt_i16_sdwa s[6:7], v6, s4 src0_sel:BYTE_3 src1_sel:DWORD
	s_mov_b64 s[4:5], 0
                                        ; implicit-def: $sgpr10
	s_and_saveexec_b64 s[8:9], s[6:7]
	s_xor_b64 s[6:7], exec, s[8:9]
	s_cbranch_execnz .LBB28_2201
; %bb.153:
	s_or_saveexec_b64 s[6:7], s[6:7]
	v_mov_b32_e32 v10, s10
	s_xor_b64 exec, exec, s[6:7]
	s_cbranch_execnz .LBB28_2204
.LBB28_154:
	s_or_b64 exec, exec, s[6:7]
	s_and_saveexec_b64 s[6:7], s[4:5]
	s_cbranch_execz .LBB28_156
.LBB28_155:
	v_bfe_u32 v10, v6, 24, 3
	v_ffbh_u32_e32 v14, v10
	v_min_u32_e32 v14, 32, v14
	v_lshrrev_b32_e32 v12, 27, v6
	v_subrev_u32_e32 v15, 28, v14
	v_and_b32_e32 v11, 0x80000000, v6
	v_and_b32_e32 v12, 15, v12
	v_bfe_u32 v13, v6, 27, 4
	v_lshlrev_b32_sdwa v6, v15, v6 dst_sel:DWORD dst_unused:UNUSED_PAD src0_sel:DWORD src1_sel:BYTE_3
	v_sub_u32_e32 v14, 29, v14
	v_and_b32_e32 v6, 7, v6
	v_cmp_eq_u16_e32 vcc, 0, v12
	v_cndmask_b32_e32 v6, v10, v6, vcc
	v_cndmask_b32_e32 v10, v13, v14, vcc
	v_mov_b32_e32 v12, 0x3b800000
	v_lshlrev_b32_e32 v6, 20, v6
	v_lshl_add_u32 v10, v10, 23, v12
	v_or3_b32 v10, v11, v10, v6
.LBB28_156:
	s_or_b64 exec, exec, s[6:7]
	s_movk_i32 s4, 0x7f
	v_cmp_gt_i16_sdwa s[6:7], v2, s4 src0_sel:BYTE_3 src1_sel:DWORD
	s_mov_b64 s[4:5], 0
                                        ; implicit-def: $sgpr10
	s_and_saveexec_b64 s[8:9], s[6:7]
	s_xor_b64 s[6:7], exec, s[8:9]
	s_cbranch_execnz .LBB28_2205
; %bb.157:
	s_or_saveexec_b64 s[6:7], s[6:7]
	v_mov_b32_e32 v6, s10
	s_xor_b64 exec, exec, s[6:7]
	s_cbranch_execnz .LBB28_2208
.LBB28_158:
	s_or_b64 exec, exec, s[6:7]
	s_and_saveexec_b64 s[6:7], s[4:5]
	s_cbranch_execz .LBB28_160
.LBB28_159:
	v_bfe_u32 v6, v2, 24, 3
	v_ffbh_u32_e32 v14, v6
	v_min_u32_e32 v14, 32, v14
	v_lshrrev_b32_e32 v12, 27, v2
	v_subrev_u32_e32 v15, 28, v14
	v_and_b32_e32 v11, 0x80000000, v2
	v_and_b32_e32 v12, 15, v12
	v_bfe_u32 v13, v2, 27, 4
	v_lshlrev_b32_sdwa v2, v15, v2 dst_sel:DWORD dst_unused:UNUSED_PAD src0_sel:DWORD src1_sel:BYTE_3
	v_sub_u32_e32 v14, 29, v14
	v_and_b32_e32 v2, 7, v2
	v_cmp_eq_u16_e32 vcc, 0, v12
	v_cndmask_b32_e32 v2, v6, v2, vcc
	v_cndmask_b32_e32 v6, v13, v14, vcc
	v_mov_b32_e32 v12, 0x3b800000
	v_lshlrev_b32_e32 v2, 20, v2
	v_lshl_add_u32 v6, v6, 23, v12
	v_or3_b32 v6, v11, v6, v2
.LBB28_160:
	s_or_b64 exec, exec, s[6:7]
	s_nop 0
	v_mfma_f32_16x16x4f32 a[0:3], v10, v6, a[0:3]
	s_movk_i32 s4, 0x7f
	v_cmp_gt_i16_sdwa s[6:7], v7, s4 src0_sel:BYTE_0 src1_sel:DWORD
	s_mov_b64 s[4:5], 0
                                        ; implicit-def: $sgpr10
	s_and_saveexec_b64 s[8:9], s[6:7]
	s_xor_b64 s[6:7], exec, s[8:9]
	s_cbranch_execnz .LBB28_2209
; %bb.161:
	s_or_saveexec_b64 s[6:7], s[6:7]
	v_mov_b32_e32 v2, s10
	s_xor_b64 exec, exec, s[6:7]
	s_cbranch_execnz .LBB28_2212
.LBB28_162:
	s_or_b64 exec, exec, s[6:7]
	s_and_saveexec_b64 s[6:7], s[4:5]
	s_cbranch_execz .LBB28_164
.LBB28_163:
	v_and_b32_e32 v2, 7, v7
	v_ffbh_u32_e32 v10, v2
	v_min_u32_e32 v10, 32, v10
	v_lshrrev_b16_e32 v6, 3, v7
	v_subrev_u32_e32 v11, 28, v10
	v_and_b32_e32 v6, 15, v6
	v_lshlrev_b32_e32 v11, v11, v7
	v_sub_u32_e32 v10, 29, v10
	v_and_b32_e32 v11, 7, v11
	v_cmp_eq_u16_e32 vcc, 0, v6
	v_cndmask_b32_e32 v2, v2, v11, vcc
	v_cndmask_b32_e32 v6, v6, v10, vcc
	v_lshlrev_b32_e32 v10, 24, v7
	v_mov_b32_e32 v11, 0x3b800000
	v_lshlrev_b32_e32 v2, 20, v2
	v_and_b32_e32 v10, 0x80000000, v10
	v_lshl_add_u32 v6, v6, 23, v11
	v_or3_b32 v2, v10, v6, v2
.LBB28_164:
	s_or_b64 exec, exec, s[6:7]
	s_movk_i32 s4, 0x7f
	v_cmp_gt_i16_sdwa s[6:7], v3, s4 src0_sel:BYTE_0 src1_sel:DWORD
	s_mov_b64 s[4:5], 0
                                        ; implicit-def: $sgpr10
	s_and_saveexec_b64 s[8:9], s[6:7]
	s_xor_b64 s[6:7], exec, s[8:9]
	s_cbranch_execnz .LBB28_2213
; %bb.165:
	s_or_saveexec_b64 s[6:7], s[6:7]
	v_mov_b32_e32 v6, s10
	s_xor_b64 exec, exec, s[6:7]
	s_cbranch_execnz .LBB28_2216
.LBB28_166:
	s_or_b64 exec, exec, s[6:7]
	s_and_saveexec_b64 s[6:7], s[4:5]
	s_cbranch_execz .LBB28_168
.LBB28_167:
	v_and_b32_e32 v6, 7, v3
	v_ffbh_u32_e32 v11, v6
	v_min_u32_e32 v11, 32, v11
	v_lshrrev_b16_e32 v10, 3, v3
	v_subrev_u32_e32 v12, 28, v11
	v_and_b32_e32 v10, 15, v10
	v_lshlrev_b32_e32 v12, v12, v3
	v_sub_u32_e32 v11, 29, v11
	v_and_b32_e32 v12, 7, v12
	v_cmp_eq_u16_e32 vcc, 0, v10
	v_cndmask_b32_e32 v6, v6, v12, vcc
	v_cndmask_b32_e32 v10, v10, v11, vcc
	v_lshlrev_b32_e32 v11, 24, v3
	v_mov_b32_e32 v12, 0x3b800000
	v_lshlrev_b32_e32 v6, 20, v6
	v_and_b32_e32 v11, 0x80000000, v11
	v_lshl_add_u32 v10, v10, 23, v12
	v_or3_b32 v6, v11, v10, v6
.LBB28_168:
	s_or_b64 exec, exec, s[6:7]
	s_nop 0
	v_mfma_f32_16x16x4f32 a[0:3], v2, v6, a[0:3]
	v_lshrrev_b32_e32 v6, 8, v7
	s_movk_i32 s4, 0x7f
	v_cmp_gt_i16_sdwa s[6:7], v6, s4 src0_sel:BYTE_0 src1_sel:DWORD
	s_mov_b64 s[4:5], 0
                                        ; implicit-def: $sgpr10
	s_and_saveexec_b64 s[8:9], s[6:7]
	s_xor_b64 s[6:7], exec, s[8:9]
	s_cbranch_execnz .LBB28_2217
; %bb.169:
	s_or_saveexec_b64 s[6:7], s[6:7]
	v_mov_b32_e32 v2, s10
	s_xor_b64 exec, exec, s[6:7]
	s_cbranch_execnz .LBB28_2220
.LBB28_170:
	s_or_b64 exec, exec, s[6:7]
	s_and_saveexec_b64 s[6:7], s[4:5]
	s_cbranch_execz .LBB28_172
.LBB28_171:
	v_bfe_u32 v2, v7, 8, 3
	v_ffbh_u32_e32 v11, v2
	v_min_u32_e32 v11, 32, v11
	v_lshrrev_b16_e32 v10, 3, v6
	v_subrev_u32_e32 v12, 28, v11
	v_and_b32_e32 v10, 15, v10
	v_lshlrev_b32_e32 v6, v12, v6
	v_sub_u32_e32 v11, 29, v11
	v_and_b32_e32 v6, 7, v6
	v_cmp_eq_u16_e32 vcc, 0, v10
	v_cndmask_b32_e32 v2, v2, v6, vcc
	v_cndmask_b32_e32 v6, v10, v11, vcc
	v_lshlrev_b32_e32 v10, 16, v7
	v_mov_b32_e32 v11, 0x3b800000
	v_lshlrev_b32_e32 v2, 20, v2
	v_and_b32_e32 v10, 0x80000000, v10
	v_lshl_add_u32 v6, v6, 23, v11
	v_or3_b32 v2, v10, v6, v2
.LBB28_172:
	s_or_b64 exec, exec, s[6:7]
	v_lshrrev_b32_e32 v6, 8, v3
	s_movk_i32 s4, 0x7f
	v_cmp_gt_i16_sdwa s[6:7], v6, s4 src0_sel:BYTE_0 src1_sel:DWORD
	s_mov_b64 s[4:5], 0
                                        ; implicit-def: $sgpr10
	s_and_saveexec_b64 s[8:9], s[6:7]
	s_xor_b64 s[6:7], exec, s[8:9]
	s_cbranch_execnz .LBB28_2221
; %bb.173:
	s_or_saveexec_b64 s[6:7], s[6:7]
	v_mov_b32_e32 v10, s10
	s_xor_b64 exec, exec, s[6:7]
	s_cbranch_execnz .LBB28_2224
.LBB28_174:
	s_or_b64 exec, exec, s[6:7]
	s_and_saveexec_b64 s[6:7], s[4:5]
	s_cbranch_execz .LBB28_176
.LBB28_175:
	v_bfe_u32 v10, v3, 8, 3
	v_ffbh_u32_e32 v12, v10
	v_min_u32_e32 v12, 32, v12
	v_lshrrev_b16_e32 v11, 3, v6
	v_subrev_u32_e32 v13, 28, v12
	v_and_b32_e32 v11, 15, v11
	v_lshlrev_b32_e32 v6, v13, v6
	v_sub_u32_e32 v12, 29, v12
	v_and_b32_e32 v6, 7, v6
	v_cmp_eq_u16_e32 vcc, 0, v11
	v_cndmask_b32_e32 v6, v10, v6, vcc
	v_cndmask_b32_e32 v10, v11, v12, vcc
	v_lshlrev_b32_e32 v11, 16, v3
	v_mov_b32_e32 v12, 0x3b800000
	v_lshlrev_b32_e32 v6, 20, v6
	v_and_b32_e32 v11, 0x80000000, v11
	v_lshl_add_u32 v10, v10, 23, v12
	v_or3_b32 v10, v11, v10, v6
.LBB28_176:
	s_or_b64 exec, exec, s[6:7]
	s_nop 0
	v_mfma_f32_16x16x4f32 a[0:3], v2, v10, a[0:3]
	s_movk_i32 s4, 0xff
	v_and_b32_sdwa v6, v7, s4 dst_sel:DWORD dst_unused:UNUSED_PAD src0_sel:WORD_1 src1_sel:DWORD
	s_movk_i32 s4, 0x7f
	v_cmp_lt_i16_e32 vcc, s4, v6
	s_mov_b64 s[4:5], 0
                                        ; implicit-def: $sgpr10
	s_and_saveexec_b64 s[6:7], vcc
	s_xor_b64 s[6:7], exec, s[6:7]
	s_cbranch_execnz .LBB28_2225
; %bb.177:
	s_or_saveexec_b64 s[6:7], s[6:7]
	v_mov_b32_e32 v2, s10
	s_xor_b64 exec, exec, s[6:7]
	s_cbranch_execnz .LBB28_2228
.LBB28_178:
	s_or_b64 exec, exec, s[6:7]
	s_and_saveexec_b64 s[6:7], s[4:5]
	s_cbranch_execz .LBB28_180
.LBB28_179:
	v_bfe_u32 v2, v7, 16, 3
	v_ffbh_u32_e32 v11, v2
	v_min_u32_e32 v11, 32, v11
	v_lshrrev_b32_e32 v6, 19, v7
	v_subrev_u32_e32 v12, 28, v11
	v_and_b32_e32 v6, 15, v6
	v_lshlrev_b32_sdwa v12, v12, v7 dst_sel:DWORD dst_unused:UNUSED_PAD src0_sel:DWORD src1_sel:WORD_1
	v_bfe_u32 v10, v7, 19, 4
	v_sub_u32_e32 v11, 29, v11
	v_and_b32_e32 v12, 7, v12
	v_cmp_eq_u16_e32 vcc, 0, v6
	v_cndmask_b32_e32 v2, v2, v12, vcc
	v_cndmask_b32_e32 v6, v10, v11, vcc
	v_lshlrev_b32_e32 v10, 8, v7
	v_mov_b32_e32 v11, 0x3b800000
	v_lshlrev_b32_e32 v2, 20, v2
	v_and_b32_e32 v10, 0x80000000, v10
	v_lshl_add_u32 v6, v6, 23, v11
	v_or3_b32 v2, v10, v6, v2
.LBB28_180:
	s_or_b64 exec, exec, s[6:7]
	s_movk_i32 s4, 0xff
	v_and_b32_sdwa v6, v3, s4 dst_sel:DWORD dst_unused:UNUSED_PAD src0_sel:WORD_1 src1_sel:DWORD
	s_movk_i32 s4, 0x7f
	v_cmp_lt_i16_e32 vcc, s4, v6
	s_mov_b64 s[4:5], 0
                                        ; implicit-def: $sgpr10
	s_and_saveexec_b64 s[6:7], vcc
	s_xor_b64 s[6:7], exec, s[6:7]
	s_cbranch_execnz .LBB28_2229
; %bb.181:
	s_or_saveexec_b64 s[6:7], s[6:7]
	v_mov_b32_e32 v10, s10
	s_xor_b64 exec, exec, s[6:7]
	s_cbranch_execnz .LBB28_2232
.LBB28_182:
	s_or_b64 exec, exec, s[6:7]
	s_and_saveexec_b64 s[6:7], s[4:5]
	s_cbranch_execz .LBB28_184
.LBB28_183:
	v_bfe_u32 v6, v3, 16, 3
	v_ffbh_u32_e32 v12, v6
	v_min_u32_e32 v12, 32, v12
	v_lshrrev_b32_e32 v10, 19, v3
	v_subrev_u32_e32 v13, 28, v12
	v_and_b32_e32 v10, 15, v10
	v_lshlrev_b32_sdwa v13, v13, v3 dst_sel:DWORD dst_unused:UNUSED_PAD src0_sel:DWORD src1_sel:WORD_1
	v_bfe_u32 v11, v3, 19, 4
	v_sub_u32_e32 v12, 29, v12
	v_and_b32_e32 v13, 7, v13
	v_cmp_eq_u16_e32 vcc, 0, v10
	v_cndmask_b32_e32 v6, v6, v13, vcc
	v_cndmask_b32_e32 v10, v11, v12, vcc
	v_lshlrev_b32_e32 v11, 8, v3
	v_mov_b32_e32 v12, 0x3b800000
	v_lshlrev_b32_e32 v6, 20, v6
	v_and_b32_e32 v11, 0x80000000, v11
	v_lshl_add_u32 v10, v10, 23, v12
	v_or3_b32 v10, v11, v10, v6
.LBB28_184:
	s_or_b64 exec, exec, s[6:7]
	s_nop 0
	v_mfma_f32_16x16x4f32 a[0:3], v2, v10, a[0:3]
	s_movk_i32 s4, 0x7f
	v_cmp_gt_i16_sdwa s[6:7], v7, s4 src0_sel:BYTE_3 src1_sel:DWORD
	s_mov_b64 s[4:5], 0
                                        ; implicit-def: $sgpr10
	s_and_saveexec_b64 s[8:9], s[6:7]
	s_xor_b64 s[6:7], exec, s[8:9]
	s_cbranch_execnz .LBB28_2233
; %bb.185:
	s_or_saveexec_b64 s[6:7], s[6:7]
	v_mov_b32_e32 v2, s10
	s_xor_b64 exec, exec, s[6:7]
	s_cbranch_execnz .LBB28_2236
.LBB28_186:
	s_or_b64 exec, exec, s[6:7]
	s_and_saveexec_b64 s[6:7], s[4:5]
	s_cbranch_execz .LBB28_188
.LBB28_187:
	v_bfe_u32 v2, v7, 24, 3
	v_ffbh_u32_e32 v12, v2
	v_min_u32_e32 v12, 32, v12
	v_lshrrev_b32_e32 v10, 27, v7
	v_subrev_u32_e32 v13, 28, v12
	v_and_b32_e32 v6, 0x80000000, v7
	v_and_b32_e32 v10, 15, v10
	v_bfe_u32 v11, v7, 27, 4
	v_lshlrev_b32_sdwa v7, v13, v7 dst_sel:DWORD dst_unused:UNUSED_PAD src0_sel:DWORD src1_sel:BYTE_3
	v_sub_u32_e32 v12, 29, v12
	v_and_b32_e32 v7, 7, v7
	v_cmp_eq_u16_e32 vcc, 0, v10
	v_cndmask_b32_e32 v2, v2, v7, vcc
	v_cndmask_b32_e32 v7, v11, v12, vcc
	v_mov_b32_e32 v10, 0x3b800000
	v_lshlrev_b32_e32 v2, 20, v2
	v_lshl_add_u32 v7, v7, 23, v10
	v_or3_b32 v2, v6, v7, v2
.LBB28_188:
	s_or_b64 exec, exec, s[6:7]
	s_movk_i32 s4, 0x7f
	v_cmp_gt_i16_sdwa s[6:7], v3, s4 src0_sel:BYTE_3 src1_sel:DWORD
	s_mov_b64 s[4:5], 0
                                        ; implicit-def: $sgpr10
	s_and_saveexec_b64 s[8:9], s[6:7]
	s_xor_b64 s[6:7], exec, s[8:9]
	s_cbranch_execnz .LBB28_2237
; %bb.189:
	s_or_saveexec_b64 s[6:7], s[6:7]
	v_mov_b32_e32 v6, s10
	s_xor_b64 exec, exec, s[6:7]
	s_cbranch_execnz .LBB28_2240
.LBB28_190:
	s_or_b64 exec, exec, s[6:7]
	s_and_saveexec_b64 s[6:7], s[4:5]
	s_cbranch_execz .LBB28_192
.LBB28_191:
	v_bfe_u32 v6, v3, 24, 3
	v_ffbh_u32_e32 v12, v6
	v_min_u32_e32 v12, 32, v12
	v_lshrrev_b32_e32 v10, 27, v3
	v_subrev_u32_e32 v13, 28, v12
	v_and_b32_e32 v7, 0x80000000, v3
	v_and_b32_e32 v10, 15, v10
	v_bfe_u32 v11, v3, 27, 4
	v_lshlrev_b32_sdwa v3, v13, v3 dst_sel:DWORD dst_unused:UNUSED_PAD src0_sel:DWORD src1_sel:BYTE_3
	v_sub_u32_e32 v12, 29, v12
	v_and_b32_e32 v3, 7, v3
	v_cmp_eq_u16_e32 vcc, 0, v10
	v_cndmask_b32_e32 v3, v6, v3, vcc
	v_cndmask_b32_e32 v6, v11, v12, vcc
	v_mov_b32_e32 v10, 0x3b800000
	v_lshlrev_b32_e32 v3, 20, v3
	v_lshl_add_u32 v6, v6, 23, v10
	v_or3_b32 v6, v7, v6, v3
.LBB28_192:
	s_or_b64 exec, exec, s[6:7]
	s_nop 0
	v_mfma_f32_16x16x4f32 a[0:3], v2, v6, a[0:3]
	s_movk_i32 s4, 0x7f
	v_cmp_gt_i16_sdwa s[6:7], v8, s4 src0_sel:BYTE_0 src1_sel:DWORD
	s_mov_b64 s[4:5], 0
                                        ; implicit-def: $sgpr10
	s_and_saveexec_b64 s[8:9], s[6:7]
	s_xor_b64 s[6:7], exec, s[8:9]
	s_cbranch_execnz .LBB28_2241
; %bb.193:
	s_or_saveexec_b64 s[6:7], s[6:7]
	v_mov_b32_e32 v2, s10
	s_xor_b64 exec, exec, s[6:7]
	s_cbranch_execnz .LBB28_2244
.LBB28_194:
	s_or_b64 exec, exec, s[6:7]
	s_and_saveexec_b64 s[6:7], s[4:5]
	s_cbranch_execz .LBB28_196
.LBB28_195:
	v_and_b32_e32 v2, 7, v8
	v_ffbh_u32_e32 v6, v2
	v_min_u32_e32 v6, 32, v6
	v_lshrrev_b16_e32 v3, 3, v8
	v_subrev_u32_e32 v7, 28, v6
	v_and_b32_e32 v3, 15, v3
	v_lshlrev_b32_e32 v7, v7, v8
	v_sub_u32_e32 v6, 29, v6
	v_and_b32_e32 v7, 7, v7
	v_cmp_eq_u16_e32 vcc, 0, v3
	v_cndmask_b32_e32 v2, v2, v7, vcc
	v_cndmask_b32_e32 v3, v3, v6, vcc
	v_lshlrev_b32_e32 v6, 24, v8
	v_mov_b32_e32 v7, 0x3b800000
	v_lshlrev_b32_e32 v2, 20, v2
	v_and_b32_e32 v6, 0x80000000, v6
	v_lshl_add_u32 v3, v3, 23, v7
	v_or3_b32 v2, v6, v3, v2
.LBB28_196:
	s_or_b64 exec, exec, s[6:7]
	s_movk_i32 s4, 0x7f
	v_cmp_gt_i16_sdwa s[6:7], v4, s4 src0_sel:BYTE_0 src1_sel:DWORD
	s_mov_b64 s[4:5], 0
                                        ; implicit-def: $sgpr10
	s_and_saveexec_b64 s[8:9], s[6:7]
	s_xor_b64 s[6:7], exec, s[8:9]
	s_cbranch_execnz .LBB28_2245
; %bb.197:
	s_or_saveexec_b64 s[6:7], s[6:7]
	v_mov_b32_e32 v3, s10
	s_xor_b64 exec, exec, s[6:7]
	s_cbranch_execnz .LBB28_2248
.LBB28_198:
	s_or_b64 exec, exec, s[6:7]
	s_and_saveexec_b64 s[6:7], s[4:5]
	s_cbranch_execz .LBB28_200
.LBB28_199:
	v_and_b32_e32 v3, 7, v4
	v_ffbh_u32_e32 v7, v3
	v_min_u32_e32 v7, 32, v7
	v_lshrrev_b16_e32 v6, 3, v4
	v_subrev_u32_e32 v10, 28, v7
	v_and_b32_e32 v6, 15, v6
	v_lshlrev_b32_e32 v10, v10, v4
	v_sub_u32_e32 v7, 29, v7
	v_and_b32_e32 v10, 7, v10
	v_cmp_eq_u16_e32 vcc, 0, v6
	v_cndmask_b32_e32 v3, v3, v10, vcc
	v_cndmask_b32_e32 v6, v6, v7, vcc
	v_lshlrev_b32_e32 v7, 24, v4
	v_mov_b32_e32 v10, 0x3b800000
	v_lshlrev_b32_e32 v3, 20, v3
	v_and_b32_e32 v7, 0x80000000, v7
	v_lshl_add_u32 v6, v6, 23, v10
	v_or3_b32 v3, v7, v6, v3
.LBB28_200:
	s_or_b64 exec, exec, s[6:7]
	s_nop 0
	v_mfma_f32_16x16x4f32 a[0:3], v2, v3, a[0:3]
	v_lshrrev_b32_e32 v3, 8, v8
	s_movk_i32 s4, 0x7f
	v_cmp_gt_i16_sdwa s[6:7], v3, s4 src0_sel:BYTE_0 src1_sel:DWORD
	s_mov_b64 s[4:5], 0
                                        ; implicit-def: $sgpr10
	s_and_saveexec_b64 s[8:9], s[6:7]
	s_xor_b64 s[6:7], exec, s[8:9]
	s_cbranch_execnz .LBB28_2249
; %bb.201:
	s_or_saveexec_b64 s[6:7], s[6:7]
	v_mov_b32_e32 v2, s10
	s_xor_b64 exec, exec, s[6:7]
	s_cbranch_execnz .LBB28_2252
.LBB28_202:
	s_or_b64 exec, exec, s[6:7]
	s_and_saveexec_b64 s[6:7], s[4:5]
	s_cbranch_execz .LBB28_204
.LBB28_203:
	v_bfe_u32 v2, v8, 8, 3
	v_ffbh_u32_e32 v7, v2
	v_min_u32_e32 v7, 32, v7
	v_lshrrev_b16_e32 v6, 3, v3
	v_subrev_u32_e32 v10, 28, v7
	v_and_b32_e32 v6, 15, v6
	v_lshlrev_b32_e32 v3, v10, v3
	v_sub_u32_e32 v7, 29, v7
	v_and_b32_e32 v3, 7, v3
	v_cmp_eq_u16_e32 vcc, 0, v6
	v_cndmask_b32_e32 v2, v2, v3, vcc
	v_cndmask_b32_e32 v3, v6, v7, vcc
	v_lshlrev_b32_e32 v6, 16, v8
	v_mov_b32_e32 v7, 0x3b800000
	v_lshlrev_b32_e32 v2, 20, v2
	v_and_b32_e32 v6, 0x80000000, v6
	v_lshl_add_u32 v3, v3, 23, v7
	v_or3_b32 v2, v6, v3, v2
.LBB28_204:
	s_or_b64 exec, exec, s[6:7]
	v_lshrrev_b32_e32 v3, 8, v4
	s_movk_i32 s4, 0x7f
	v_cmp_gt_i16_sdwa s[6:7], v3, s4 src0_sel:BYTE_0 src1_sel:DWORD
	s_mov_b64 s[4:5], 0
                                        ; implicit-def: $sgpr10
	s_and_saveexec_b64 s[8:9], s[6:7]
	s_xor_b64 s[6:7], exec, s[8:9]
	s_cbranch_execnz .LBB28_2253
; %bb.205:
	s_or_saveexec_b64 s[6:7], s[6:7]
	v_mov_b32_e32 v6, s10
	s_xor_b64 exec, exec, s[6:7]
	s_cbranch_execnz .LBB28_2256
.LBB28_206:
	s_or_b64 exec, exec, s[6:7]
	s_and_saveexec_b64 s[6:7], s[4:5]
	s_cbranch_execz .LBB28_208
.LBB28_207:
	v_bfe_u32 v6, v4, 8, 3
	v_ffbh_u32_e32 v10, v6
	v_min_u32_e32 v10, 32, v10
	v_lshrrev_b16_e32 v7, 3, v3
	v_subrev_u32_e32 v11, 28, v10
	v_and_b32_e32 v7, 15, v7
	v_lshlrev_b32_e32 v3, v11, v3
	v_sub_u32_e32 v10, 29, v10
	v_and_b32_e32 v3, 7, v3
	v_cmp_eq_u16_e32 vcc, 0, v7
	v_cndmask_b32_e32 v3, v6, v3, vcc
	v_cndmask_b32_e32 v6, v7, v10, vcc
	v_lshlrev_b32_e32 v7, 16, v4
	v_mov_b32_e32 v10, 0x3b800000
	v_lshlrev_b32_e32 v3, 20, v3
	v_and_b32_e32 v7, 0x80000000, v7
	v_lshl_add_u32 v6, v6, 23, v10
	v_or3_b32 v6, v7, v6, v3
.LBB28_208:
	s_or_b64 exec, exec, s[6:7]
	s_nop 0
	v_mfma_f32_16x16x4f32 a[0:3], v2, v6, a[0:3]
	s_movk_i32 s4, 0xff
	v_and_b32_sdwa v3, v8, s4 dst_sel:DWORD dst_unused:UNUSED_PAD src0_sel:WORD_1 src1_sel:DWORD
	s_movk_i32 s4, 0x7f
	v_cmp_lt_i16_e32 vcc, s4, v3
	s_mov_b64 s[4:5], 0
                                        ; implicit-def: $sgpr10
	s_and_saveexec_b64 s[6:7], vcc
	s_xor_b64 s[6:7], exec, s[6:7]
	s_cbranch_execnz .LBB28_2257
; %bb.209:
	s_or_saveexec_b64 s[6:7], s[6:7]
	v_mov_b32_e32 v2, s10
	s_xor_b64 exec, exec, s[6:7]
	s_cbranch_execnz .LBB28_2260
.LBB28_210:
	s_or_b64 exec, exec, s[6:7]
	s_and_saveexec_b64 s[6:7], s[4:5]
	s_cbranch_execz .LBB28_212
.LBB28_211:
	v_bfe_u32 v2, v8, 16, 3
	v_ffbh_u32_e32 v7, v2
	v_min_u32_e32 v7, 32, v7
	v_lshrrev_b32_e32 v3, 19, v8
	v_subrev_u32_e32 v10, 28, v7
	v_and_b32_e32 v3, 15, v3
	v_lshlrev_b32_sdwa v10, v10, v8 dst_sel:DWORD dst_unused:UNUSED_PAD src0_sel:DWORD src1_sel:WORD_1
	v_bfe_u32 v6, v8, 19, 4
	v_sub_u32_e32 v7, 29, v7
	v_and_b32_e32 v10, 7, v10
	v_cmp_eq_u16_e32 vcc, 0, v3
	v_cndmask_b32_e32 v2, v2, v10, vcc
	v_cndmask_b32_e32 v3, v6, v7, vcc
	v_lshlrev_b32_e32 v6, 8, v8
	v_mov_b32_e32 v7, 0x3b800000
	v_lshlrev_b32_e32 v2, 20, v2
	v_and_b32_e32 v6, 0x80000000, v6
	v_lshl_add_u32 v3, v3, 23, v7
	v_or3_b32 v2, v6, v3, v2
.LBB28_212:
	s_or_b64 exec, exec, s[6:7]
	s_movk_i32 s4, 0xff
	v_and_b32_sdwa v3, v4, s4 dst_sel:DWORD dst_unused:UNUSED_PAD src0_sel:WORD_1 src1_sel:DWORD
	s_movk_i32 s4, 0x7f
	v_cmp_lt_i16_e32 vcc, s4, v3
	s_mov_b64 s[4:5], 0
                                        ; implicit-def: $sgpr10
	s_and_saveexec_b64 s[6:7], vcc
	s_xor_b64 s[6:7], exec, s[6:7]
	s_cbranch_execnz .LBB28_2261
; %bb.213:
	s_or_saveexec_b64 s[6:7], s[6:7]
	v_mov_b32_e32 v6, s10
	s_xor_b64 exec, exec, s[6:7]
	s_cbranch_execnz .LBB28_2264
.LBB28_214:
	s_or_b64 exec, exec, s[6:7]
	s_and_saveexec_b64 s[6:7], s[4:5]
	s_cbranch_execz .LBB28_216
.LBB28_215:
	v_bfe_u32 v3, v4, 16, 3
	v_ffbh_u32_e32 v10, v3
	v_min_u32_e32 v10, 32, v10
	v_lshrrev_b32_e32 v6, 19, v4
	v_subrev_u32_e32 v11, 28, v10
	v_and_b32_e32 v6, 15, v6
	v_lshlrev_b32_sdwa v11, v11, v4 dst_sel:DWORD dst_unused:UNUSED_PAD src0_sel:DWORD src1_sel:WORD_1
	v_bfe_u32 v7, v4, 19, 4
	v_sub_u32_e32 v10, 29, v10
	v_and_b32_e32 v11, 7, v11
	v_cmp_eq_u16_e32 vcc, 0, v6
	v_cndmask_b32_e32 v3, v3, v11, vcc
	v_cndmask_b32_e32 v6, v7, v10, vcc
	v_lshlrev_b32_e32 v7, 8, v4
	v_mov_b32_e32 v10, 0x3b800000
	v_lshlrev_b32_e32 v3, 20, v3
	v_and_b32_e32 v7, 0x80000000, v7
	v_lshl_add_u32 v6, v6, 23, v10
	v_or3_b32 v6, v7, v6, v3
.LBB28_216:
	s_or_b64 exec, exec, s[6:7]
	s_nop 0
	v_mfma_f32_16x16x4f32 a[0:3], v2, v6, a[0:3]
	s_movk_i32 s4, 0x7f
	v_cmp_gt_i16_sdwa s[6:7], v8, s4 src0_sel:BYTE_3 src1_sel:DWORD
	s_mov_b64 s[4:5], 0
                                        ; implicit-def: $sgpr10
	s_and_saveexec_b64 s[8:9], s[6:7]
	s_xor_b64 s[6:7], exec, s[8:9]
	s_cbranch_execnz .LBB28_2265
; %bb.217:
	s_or_saveexec_b64 s[6:7], s[6:7]
	v_mov_b32_e32 v2, s10
	s_xor_b64 exec, exec, s[6:7]
	s_cbranch_execnz .LBB28_2268
.LBB28_218:
	s_or_b64 exec, exec, s[6:7]
	s_and_saveexec_b64 s[6:7], s[4:5]
	s_cbranch_execz .LBB28_220
.LBB28_219:
	v_bfe_u32 v2, v8, 24, 3
	v_ffbh_u32_e32 v10, v2
	v_min_u32_e32 v10, 32, v10
	v_lshrrev_b32_e32 v6, 27, v8
	v_subrev_u32_e32 v11, 28, v10
	v_and_b32_e32 v3, 0x80000000, v8
	v_and_b32_e32 v6, 15, v6
	v_bfe_u32 v7, v8, 27, 4
	v_lshlrev_b32_sdwa v8, v11, v8 dst_sel:DWORD dst_unused:UNUSED_PAD src0_sel:DWORD src1_sel:BYTE_3
	v_sub_u32_e32 v10, 29, v10
	v_and_b32_e32 v8, 7, v8
	v_cmp_eq_u16_e32 vcc, 0, v6
	v_cndmask_b32_e32 v2, v2, v8, vcc
	v_cndmask_b32_e32 v6, v7, v10, vcc
	v_mov_b32_e32 v7, 0x3b800000
	v_lshlrev_b32_e32 v2, 20, v2
	v_lshl_add_u32 v6, v6, 23, v7
	v_or3_b32 v2, v3, v6, v2
.LBB28_220:
	s_or_b64 exec, exec, s[6:7]
	s_movk_i32 s4, 0x7f
	v_cmp_gt_i16_sdwa s[6:7], v4, s4 src0_sel:BYTE_3 src1_sel:DWORD
	s_mov_b64 s[4:5], 0
                                        ; implicit-def: $sgpr10
	s_and_saveexec_b64 s[8:9], s[6:7]
	s_xor_b64 s[6:7], exec, s[8:9]
	s_cbranch_execnz .LBB28_2269
; %bb.221:
	s_or_saveexec_b64 s[6:7], s[6:7]
	v_mov_b32_e32 v3, s10
	s_xor_b64 exec, exec, s[6:7]
	s_cbranch_execnz .LBB28_2272
.LBB28_222:
	s_or_b64 exec, exec, s[6:7]
	s_and_saveexec_b64 s[6:7], s[4:5]
	s_cbranch_execz .LBB28_224
.LBB28_223:
	v_bfe_u32 v3, v4, 24, 3
	v_ffbh_u32_e32 v10, v3
	v_min_u32_e32 v10, 32, v10
	v_lshrrev_b32_e32 v7, 27, v4
	v_subrev_u32_e32 v11, 28, v10
	v_and_b32_e32 v6, 0x80000000, v4
	v_and_b32_e32 v7, 15, v7
	v_bfe_u32 v8, v4, 27, 4
	v_lshlrev_b32_sdwa v4, v11, v4 dst_sel:DWORD dst_unused:UNUSED_PAD src0_sel:DWORD src1_sel:BYTE_3
	v_sub_u32_e32 v10, 29, v10
	v_and_b32_e32 v4, 7, v4
	v_cmp_eq_u16_e32 vcc, 0, v7
	v_cndmask_b32_e32 v3, v3, v4, vcc
	v_cndmask_b32_e32 v4, v8, v10, vcc
	v_mov_b32_e32 v7, 0x3b800000
	v_lshlrev_b32_e32 v3, 20, v3
	v_lshl_add_u32 v4, v4, 23, v7
	v_or3_b32 v3, v6, v4, v3
.LBB28_224:
	s_or_b64 exec, exec, s[6:7]
	s_nop 0
	v_mfma_f32_16x16x4f32 a[0:3], v2, v3, a[0:3]
	s_movk_i32 s4, 0x7f
	v_cmp_gt_i16_sdwa s[6:7], v9, s4 src0_sel:BYTE_0 src1_sel:DWORD
	s_mov_b64 s[4:5], 0
                                        ; implicit-def: $sgpr10
	s_and_saveexec_b64 s[8:9], s[6:7]
	s_xor_b64 s[6:7], exec, s[8:9]
	s_cbranch_execnz .LBB28_2273
; %bb.225:
	s_or_saveexec_b64 s[6:7], s[6:7]
	v_mov_b32_e32 v2, s10
	s_xor_b64 exec, exec, s[6:7]
	s_cbranch_execnz .LBB28_2276
.LBB28_226:
	s_or_b64 exec, exec, s[6:7]
	s_and_saveexec_b64 s[6:7], s[4:5]
	s_cbranch_execz .LBB28_228
.LBB28_227:
	v_mov_b32_e32 v2, 8
	v_and_b32_e32 v3, 7, v9
	v_lshrrev_b32_sdwa v2, v2, v9 dst_sel:BYTE_1 dst_unused:UNUSED_PAD src0_sel:DWORD src1_sel:DWORD
	v_ffbh_u32_e32 v4, v3
	v_or_b32_sdwa v2, v9, v2 dst_sel:DWORD dst_unused:UNUSED_PAD src0_sel:BYTE_0 src1_sel:DWORD
	v_min_u32_e32 v4, 32, v4
	v_lshrrev_b16_e32 v2, 3, v2
	v_subrev_u32_e32 v6, 28, v4
	v_and_b32_e32 v2, 15, v2
	v_lshlrev_b32_e32 v6, v6, v9
	v_sub_u32_e32 v4, 29, v4
	v_and_b32_e32 v6, 7, v6
	v_cmp_eq_u16_e32 vcc, 0, v2
	v_cndmask_b32_e32 v3, v3, v6, vcc
	v_cndmask_b32_e32 v2, v2, v4, vcc
	v_lshlrev_b32_e32 v4, 24, v9
	v_mov_b32_e32 v6, 0x3b800000
	v_lshlrev_b32_e32 v3, 20, v3
	v_and_b32_e32 v4, 0x80000000, v4
	v_lshl_add_u32 v2, v2, 23, v6
	v_or3_b32 v2, v4, v2, v3
.LBB28_228:
	s_or_b64 exec, exec, s[6:7]
	s_movk_i32 s4, 0x7f
	v_cmp_gt_i16_sdwa s[6:7], v5, s4 src0_sel:BYTE_0 src1_sel:DWORD
	s_mov_b64 s[4:5], 0
                                        ; implicit-def: $sgpr10
	s_and_saveexec_b64 s[8:9], s[6:7]
	s_xor_b64 s[6:7], exec, s[8:9]
	s_cbranch_execnz .LBB28_2277
; %bb.229:
	s_or_saveexec_b64 s[6:7], s[6:7]
	v_mov_b32_e32 v3, s10
	s_xor_b64 exec, exec, s[6:7]
	s_cbranch_execnz .LBB28_2280
.LBB28_230:
	s_or_b64 exec, exec, s[6:7]
	s_and_saveexec_b64 s[6:7], s[4:5]
	s_cbranch_execz .LBB28_232
.LBB28_231:
	v_mov_b32_e32 v3, 8
	v_and_b32_e32 v4, 7, v5
	v_lshrrev_b32_sdwa v3, v3, v5 dst_sel:BYTE_1 dst_unused:UNUSED_PAD src0_sel:DWORD src1_sel:DWORD
	v_ffbh_u32_e32 v6, v4
	v_or_b32_sdwa v3, v5, v3 dst_sel:DWORD dst_unused:UNUSED_PAD src0_sel:BYTE_0 src1_sel:DWORD
	v_min_u32_e32 v6, 32, v6
	v_lshrrev_b16_e32 v3, 3, v3
	v_subrev_u32_e32 v7, 28, v6
	v_and_b32_e32 v3, 15, v3
	v_lshlrev_b32_e32 v7, v7, v5
	v_sub_u32_e32 v6, 29, v6
	v_and_b32_e32 v7, 7, v7
	v_cmp_eq_u16_e32 vcc, 0, v3
	v_cndmask_b32_e32 v4, v4, v7, vcc
	v_cndmask_b32_e32 v3, v3, v6, vcc
	v_lshlrev_b32_e32 v6, 24, v5
	v_mov_b32_e32 v7, 0x3b800000
	v_lshlrev_b32_e32 v4, 20, v4
	v_and_b32_e32 v6, 0x80000000, v6
	v_lshl_add_u32 v3, v3, 23, v7
	v_or3_b32 v3, v6, v3, v4
.LBB28_232:
	s_or_b64 exec, exec, s[6:7]
	s_nop 0
	v_mfma_f32_16x16x4f32 a[0:3], v2, v3, a[0:3]
	v_lshrrev_b32_e32 v3, 8, v9
	s_movk_i32 s4, 0x7f
	v_cmp_gt_i16_sdwa s[6:7], v3, s4 src0_sel:BYTE_0 src1_sel:DWORD
	s_mov_b64 s[4:5], 0
                                        ; implicit-def: $sgpr10
	s_and_saveexec_b64 s[8:9], s[6:7]
	s_xor_b64 s[6:7], exec, s[8:9]
	s_cbranch_execnz .LBB28_2281
; %bb.233:
	s_or_saveexec_b64 s[6:7], s[6:7]
	v_mov_b32_e32 v2, s10
	s_xor_b64 exec, exec, s[6:7]
	s_cbranch_execnz .LBB28_2284
.LBB28_234:
	s_or_b64 exec, exec, s[6:7]
	s_and_saveexec_b64 s[6:7], s[4:5]
	s_cbranch_execz .LBB28_236
.LBB28_235:
	v_bfe_u32 v2, v9, 8, 3
	v_ffbh_u32_e32 v6, v2
	v_min_u32_e32 v6, 32, v6
	v_lshrrev_b16_e32 v4, 3, v3
	v_subrev_u32_e32 v7, 28, v6
	v_and_b32_e32 v4, 15, v4
	v_lshlrev_b32_e32 v3, v7, v3
	v_sub_u32_e32 v6, 29, v6
	v_and_b32_e32 v3, 7, v3
	v_cmp_eq_u16_e32 vcc, 0, v4
	v_cndmask_b32_e32 v2, v2, v3, vcc
	v_cndmask_b32_e32 v3, v4, v6, vcc
	v_lshlrev_b32_e32 v4, 16, v9
	v_mov_b32_e32 v6, 0x3b800000
	v_lshlrev_b32_e32 v2, 20, v2
	v_and_b32_e32 v4, 0x80000000, v4
	v_lshl_add_u32 v3, v3, 23, v6
	v_or3_b32 v2, v4, v3, v2
.LBB28_236:
	s_or_b64 exec, exec, s[6:7]
	v_lshrrev_b32_e32 v3, 8, v5
	s_movk_i32 s4, 0x7f
	v_cmp_gt_i16_sdwa s[6:7], v3, s4 src0_sel:BYTE_0 src1_sel:DWORD
	s_mov_b64 s[4:5], 0
                                        ; implicit-def: $sgpr10
	s_and_saveexec_b64 s[8:9], s[6:7]
	s_xor_b64 s[6:7], exec, s[8:9]
	s_cbranch_execnz .LBB28_2285
; %bb.237:
	s_or_saveexec_b64 s[6:7], s[6:7]
	v_mov_b32_e32 v4, s10
	s_xor_b64 exec, exec, s[6:7]
	s_cbranch_execnz .LBB28_2288
.LBB28_238:
	s_or_b64 exec, exec, s[6:7]
	s_and_saveexec_b64 s[6:7], s[4:5]
	s_cbranch_execz .LBB28_240
.LBB28_239:
	v_bfe_u32 v4, v5, 8, 3
	v_ffbh_u32_e32 v7, v4
	v_min_u32_e32 v7, 32, v7
	v_lshrrev_b16_e32 v6, 3, v3
	v_subrev_u32_e32 v8, 28, v7
	v_and_b32_e32 v6, 15, v6
	v_lshlrev_b32_e32 v3, v8, v3
	v_sub_u32_e32 v7, 29, v7
	v_and_b32_e32 v3, 7, v3
	v_cmp_eq_u16_e32 vcc, 0, v6
	v_cndmask_b32_e32 v3, v4, v3, vcc
	v_cndmask_b32_e32 v4, v6, v7, vcc
	v_lshlrev_b32_e32 v6, 16, v5
	v_mov_b32_e32 v7, 0x3b800000
	v_lshlrev_b32_e32 v3, 20, v3
	v_and_b32_e32 v6, 0x80000000, v6
	v_lshl_add_u32 v4, v4, 23, v7
	v_or3_b32 v4, v6, v4, v3
.LBB28_240:
	s_or_b64 exec, exec, s[6:7]
	s_nop 0
	v_mfma_f32_16x16x4f32 a[0:3], v2, v4, a[0:3]
	s_movk_i32 s4, 0xff
	v_and_b32_sdwa v3, v9, s4 dst_sel:DWORD dst_unused:UNUSED_PAD src0_sel:WORD_1 src1_sel:DWORD
	s_movk_i32 s4, 0x7f
	v_cmp_lt_i16_e32 vcc, s4, v3
	s_mov_b64 s[4:5], 0
                                        ; implicit-def: $sgpr10
	s_and_saveexec_b64 s[6:7], vcc
	s_xor_b64 s[6:7], exec, s[6:7]
	s_cbranch_execnz .LBB28_2289
; %bb.241:
	s_or_saveexec_b64 s[6:7], s[6:7]
	v_mov_b32_e32 v2, s10
	s_xor_b64 exec, exec, s[6:7]
	s_cbranch_execnz .LBB28_2292
.LBB28_242:
	s_or_b64 exec, exec, s[6:7]
	s_and_saveexec_b64 s[6:7], s[4:5]
	s_cbranch_execz .LBB28_244
.LBB28_243:
	v_bfe_u32 v2, v9, 16, 3
	v_ffbh_u32_e32 v6, v2
	v_min_u32_e32 v6, 32, v6
	v_lshrrev_b32_e32 v3, 19, v9
	v_subrev_u32_e32 v7, 28, v6
	v_and_b32_e32 v3, 15, v3
	v_lshlrev_b32_sdwa v7, v7, v9 dst_sel:DWORD dst_unused:UNUSED_PAD src0_sel:DWORD src1_sel:WORD_1
	v_bfe_u32 v4, v9, 19, 4
	v_sub_u32_e32 v6, 29, v6
	v_and_b32_e32 v7, 7, v7
	v_cmp_eq_u16_e32 vcc, 0, v3
	v_cndmask_b32_e32 v2, v2, v7, vcc
	v_cndmask_b32_e32 v3, v4, v6, vcc
	v_lshlrev_b32_e32 v4, 8, v9
	v_mov_b32_e32 v6, 0x3b800000
	v_lshlrev_b32_e32 v2, 20, v2
	v_and_b32_e32 v4, 0x80000000, v4
	v_lshl_add_u32 v3, v3, 23, v6
	v_or3_b32 v2, v4, v3, v2
.LBB28_244:
	s_or_b64 exec, exec, s[6:7]
	s_movk_i32 s4, 0xff
	v_and_b32_sdwa v3, v5, s4 dst_sel:DWORD dst_unused:UNUSED_PAD src0_sel:WORD_1 src1_sel:DWORD
	s_movk_i32 s4, 0x7f
	v_cmp_lt_i16_e32 vcc, s4, v3
	s_mov_b64 s[4:5], 0
                                        ; implicit-def: $sgpr10
	s_and_saveexec_b64 s[6:7], vcc
	s_xor_b64 s[6:7], exec, s[6:7]
	s_cbranch_execnz .LBB28_2293
; %bb.245:
	s_or_saveexec_b64 s[6:7], s[6:7]
	v_mov_b32_e32 v4, s10
	s_xor_b64 exec, exec, s[6:7]
	s_cbranch_execnz .LBB28_2296
.LBB28_246:
	s_or_b64 exec, exec, s[6:7]
	s_and_saveexec_b64 s[6:7], s[4:5]
	s_cbranch_execz .LBB28_248
.LBB28_247:
	v_bfe_u32 v3, v5, 16, 3
	v_ffbh_u32_e32 v7, v3
	v_min_u32_e32 v7, 32, v7
	v_lshrrev_b32_e32 v4, 19, v5
	v_subrev_u32_e32 v8, 28, v7
	v_and_b32_e32 v4, 15, v4
	v_lshlrev_b32_sdwa v8, v8, v5 dst_sel:DWORD dst_unused:UNUSED_PAD src0_sel:DWORD src1_sel:WORD_1
	v_bfe_u32 v6, v5, 19, 4
	v_sub_u32_e32 v7, 29, v7
	v_and_b32_e32 v8, 7, v8
	v_cmp_eq_u16_e32 vcc, 0, v4
	v_cndmask_b32_e32 v3, v3, v8, vcc
	v_cndmask_b32_e32 v4, v6, v7, vcc
	v_lshlrev_b32_e32 v6, 8, v5
	v_mov_b32_e32 v7, 0x3b800000
	v_lshlrev_b32_e32 v3, 20, v3
	v_and_b32_e32 v6, 0x80000000, v6
	v_lshl_add_u32 v4, v4, 23, v7
	v_or3_b32 v4, v6, v4, v3
.LBB28_248:
	s_or_b64 exec, exec, s[6:7]
	s_nop 0
	v_mfma_f32_16x16x4f32 a[0:3], v2, v4, a[0:3]
	s_movk_i32 s4, 0x7f
	v_cmp_gt_i16_sdwa s[6:7], v9, s4 src0_sel:BYTE_3 src1_sel:DWORD
	s_mov_b64 s[4:5], 0
                                        ; implicit-def: $sgpr10
	s_and_saveexec_b64 s[8:9], s[6:7]
	s_xor_b64 s[6:7], exec, s[8:9]
	s_cbranch_execnz .LBB28_2297
; %bb.249:
	s_or_saveexec_b64 s[6:7], s[6:7]
	v_mov_b32_e32 v2, s10
	s_xor_b64 exec, exec, s[6:7]
	s_cbranch_execnz .LBB28_2300
.LBB28_250:
	s_or_b64 exec, exec, s[6:7]
	s_and_saveexec_b64 s[6:7], s[4:5]
	s_cbranch_execz .LBB28_252
.LBB28_251:
	v_bfe_u32 v2, v9, 24, 3
	v_ffbh_u32_e32 v7, v2
	v_min_u32_e32 v7, 32, v7
	v_lshrrev_b32_e32 v4, 27, v9
	v_subrev_u32_e32 v8, 28, v7
	v_and_b32_e32 v4, 15, v4
	v_lshlrev_b32_sdwa v8, v8, v9 dst_sel:DWORD dst_unused:UNUSED_PAD src0_sel:DWORD src1_sel:BYTE_3
	v_bfe_u32 v6, v9, 27, 4
	v_sub_u32_e32 v7, 29, v7
	v_and_b32_e32 v8, 7, v8
	v_cmp_eq_u16_e32 vcc, 0, v4
	v_cndmask_b32_e32 v2, v2, v8, vcc
	v_cndmask_b32_e32 v4, v6, v7, vcc
	v_mov_b32_e32 v6, 0x3b800000
	v_and_b32_e32 v3, 0x80000000, v9
	v_lshlrev_b32_e32 v2, 20, v2
	v_lshl_add_u32 v4, v4, 23, v6
	v_or3_b32 v2, v3, v4, v2
.LBB28_252:
	s_or_b64 exec, exec, s[6:7]
	s_movk_i32 s4, 0x7f
	v_cmp_gt_i16_sdwa s[6:7], v5, s4 src0_sel:BYTE_3 src1_sel:DWORD
	s_mov_b64 s[4:5], 0
                                        ; implicit-def: $sgpr10
	s_and_saveexec_b64 s[8:9], s[6:7]
	s_xor_b64 s[6:7], exec, s[8:9]
	s_cbranch_execnz .LBB28_2301
; %bb.253:
	s_or_saveexec_b64 s[6:7], s[6:7]
	v_mov_b32_e32 v3, s10
	s_xor_b64 exec, exec, s[6:7]
	s_cbranch_execnz .LBB28_2304
.LBB28_254:
	s_or_b64 exec, exec, s[6:7]
	s_and_saveexec_b64 s[6:7], s[4:5]
	s_cbranch_execz .LBB28_256
.LBB28_255:
	v_bfe_u32 v3, v5, 24, 3
	v_ffbh_u32_e32 v8, v3
	v_min_u32_e32 v8, 32, v8
	v_lshrrev_b32_e32 v6, 27, v5
	v_subrev_u32_e32 v9, 28, v8
	v_and_b32_e32 v4, 0x80000000, v5
	v_and_b32_e32 v6, 15, v6
	v_bfe_u32 v7, v5, 27, 4
	v_lshlrev_b32_sdwa v5, v9, v5 dst_sel:DWORD dst_unused:UNUSED_PAD src0_sel:DWORD src1_sel:BYTE_3
	v_sub_u32_e32 v8, 29, v8
	v_and_b32_e32 v5, 7, v5
	v_cmp_eq_u16_e32 vcc, 0, v6
	v_cndmask_b32_e32 v3, v3, v5, vcc
	v_cndmask_b32_e32 v5, v7, v8, vcc
	v_mov_b32_e32 v6, 0x3b800000
	v_lshlrev_b32_e32 v3, 20, v3
	v_lshl_add_u32 v5, v5, 23, v6
	v_or3_b32 v3, v4, v5, v3
.LBB28_256:
	s_or_b64 exec, exec, s[6:7]
	s_nop 0
	v_mfma_f32_16x16x4f32 a[0:3], v2, v3, a[0:3]
	s_movk_i32 s4, 0x7f
                                        ; implicit-def: $sgpr10
	s_nop 7
	s_nop 1
	flat_store_dwordx4 v[18:19], a[0:3]
	flat_load_dwordx4 v[20:23], v[0:1] offset:16
	s_nop 0
	flat_load_dwordx2 v[18:19], v[0:1] offset:32
	s_waitcnt vmcnt(0) lgkmcnt(0)
	flat_load_dwordx4 v[14:17], v[20:21]
	flat_load_dwordx4 v[6:9], v[20:21] offset:16
	flat_load_dwordx4 v[10:13], v[22:23] offset:32
	flat_load_dwordx4 v[2:5], v[22:23] offset:48
	s_waitcnt vmcnt(0) lgkmcnt(0)
	v_cmp_gt_i16_sdwa s[6:7], v14, s4 src0_sel:BYTE_0 src1_sel:DWORD
	s_mov_b64 s[4:5], 0
	s_and_saveexec_b64 s[8:9], s[6:7]
	s_xor_b64 s[6:7], exec, s[8:9]
	s_cbranch_execnz .LBB28_2305
; %bb.257:
	s_or_saveexec_b64 s[6:7], s[6:7]
	v_mov_b32_e32 v20, s10
	s_xor_b64 exec, exec, s[6:7]
	s_cbranch_execnz .LBB28_2308
.LBB28_258:
	s_or_b64 exec, exec, s[6:7]
	s_and_saveexec_b64 s[6:7], s[4:5]
	s_cbranch_execz .LBB28_260
.LBB28_259:
	v_and_b32_e32 v20, 7, v14
	v_ffbh_u32_e32 v22, v20
	v_min_u32_e32 v22, 32, v22
	v_lshrrev_b16_e32 v21, 3, v14
	v_subrev_u32_e32 v23, 28, v22
	v_and_b32_e32 v21, 15, v21
	v_lshlrev_b32_e32 v23, v23, v14
	v_sub_u32_e32 v22, 29, v22
	v_and_b32_e32 v23, 7, v23
	v_cmp_eq_u16_e32 vcc, 0, v21
	v_cndmask_b32_e32 v20, v20, v23, vcc
	v_cndmask_b32_e32 v21, v21, v22, vcc
	v_lshlrev_b32_e32 v22, 24, v14
	v_mov_b32_e32 v23, 0x3b800000
	v_lshlrev_b32_e32 v20, 20, v20
	v_and_b32_e32 v22, 0x80000000, v22
	v_lshl_add_u32 v21, v21, 23, v23
	v_or3_b32 v20, v22, v21, v20
.LBB28_260:
	s_or_b64 exec, exec, s[6:7]
	s_movk_i32 s4, 0x7f
	v_cmp_gt_i16_sdwa s[6:7], v10, s4 src0_sel:BYTE_0 src1_sel:DWORD
	s_mov_b64 s[4:5], 0
                                        ; implicit-def: $sgpr10
	s_and_saveexec_b64 s[8:9], s[6:7]
	s_xor_b64 s[6:7], exec, s[8:9]
	s_cbranch_execnz .LBB28_2309
; %bb.261:
	s_or_saveexec_b64 s[6:7], s[6:7]
	v_mov_b32_e32 v21, s10
	s_xor_b64 exec, exec, s[6:7]
	s_cbranch_execnz .LBB28_2312
.LBB28_262:
	s_or_b64 exec, exec, s[6:7]
	s_and_saveexec_b64 s[6:7], s[4:5]
	s_cbranch_execz .LBB28_264
.LBB28_263:
	v_and_b32_e32 v21, 7, v10
	v_ffbh_u32_e32 v23, v21
	v_min_u32_e32 v23, 32, v23
	v_lshrrev_b16_e32 v22, 3, v10
	v_subrev_u32_e32 v24, 28, v23
	v_and_b32_e32 v22, 15, v22
	v_lshlrev_b32_e32 v24, v24, v10
	v_sub_u32_e32 v23, 29, v23
	v_and_b32_e32 v24, 7, v24
	v_cmp_eq_u16_e32 vcc, 0, v22
	v_cndmask_b32_e32 v21, v21, v24, vcc
	v_cndmask_b32_e32 v22, v22, v23, vcc
	v_lshlrev_b32_e32 v23, 24, v10
	v_mov_b32_e32 v24, 0x3b800000
	v_lshlrev_b32_e32 v21, 20, v21
	v_and_b32_e32 v23, 0x80000000, v23
	v_lshl_add_u32 v22, v22, 23, v24
	v_or3_b32 v21, v23, v22, v21
.LBB28_264:
	s_or_b64 exec, exec, s[6:7]
	flat_load_dwordx4 a[0:3], v[18:19] offset:16
	s_movk_i32 s4, 0x7f
                                        ; implicit-def: $sgpr10
	s_waitcnt vmcnt(0) lgkmcnt(0)
	v_mfma_f32_16x16x4f32 a[0:3], v20, v21, a[0:3]
	v_lshrrev_b32_e32 v21, 8, v14
	v_cmp_gt_i16_sdwa s[6:7], v21, s4 src0_sel:BYTE_0 src1_sel:DWORD
	s_mov_b64 s[4:5], 0
	s_and_saveexec_b64 s[8:9], s[6:7]
	s_xor_b64 s[6:7], exec, s[8:9]
	s_cbranch_execnz .LBB28_2313
; %bb.265:
	s_or_saveexec_b64 s[6:7], s[6:7]
	v_mov_b32_e32 v20, s10
	s_xor_b64 exec, exec, s[6:7]
	s_cbranch_execnz .LBB28_2316
.LBB28_266:
	s_or_b64 exec, exec, s[6:7]
	s_and_saveexec_b64 s[6:7], s[4:5]
	s_cbranch_execz .LBB28_268
.LBB28_267:
	v_bfe_u32 v20, v14, 8, 3
	v_ffbh_u32_e32 v23, v20
	v_min_u32_e32 v23, 32, v23
	v_lshrrev_b16_e32 v22, 3, v21
	v_subrev_u32_e32 v24, 28, v23
	v_and_b32_e32 v22, 15, v22
	v_lshlrev_b32_e32 v21, v24, v21
	v_sub_u32_e32 v23, 29, v23
	v_and_b32_e32 v21, 7, v21
	v_cmp_eq_u16_e32 vcc, 0, v22
	v_cndmask_b32_e32 v20, v20, v21, vcc
	v_cndmask_b32_e32 v21, v22, v23, vcc
	v_lshlrev_b32_e32 v22, 16, v14
	v_mov_b32_e32 v23, 0x3b800000
	v_lshlrev_b32_e32 v20, 20, v20
	v_and_b32_e32 v22, 0x80000000, v22
	v_lshl_add_u32 v21, v21, 23, v23
	v_or3_b32 v20, v22, v21, v20
.LBB28_268:
	s_or_b64 exec, exec, s[6:7]
	v_lshrrev_b32_e32 v21, 8, v10
	s_movk_i32 s4, 0x7f
	v_cmp_gt_i16_sdwa s[6:7], v21, s4 src0_sel:BYTE_0 src1_sel:DWORD
	s_mov_b64 s[4:5], 0
                                        ; implicit-def: $sgpr10
	s_and_saveexec_b64 s[8:9], s[6:7]
	s_xor_b64 s[6:7], exec, s[8:9]
	s_cbranch_execnz .LBB28_2317
; %bb.269:
	s_or_saveexec_b64 s[6:7], s[6:7]
	v_mov_b32_e32 v22, s10
	s_xor_b64 exec, exec, s[6:7]
	s_cbranch_execnz .LBB28_2320
.LBB28_270:
	s_or_b64 exec, exec, s[6:7]
	s_and_saveexec_b64 s[6:7], s[4:5]
	s_cbranch_execz .LBB28_272
.LBB28_271:
	v_bfe_u32 v22, v10, 8, 3
	v_ffbh_u32_e32 v24, v22
	v_min_u32_e32 v24, 32, v24
	v_lshrrev_b16_e32 v23, 3, v21
	v_subrev_u32_e32 v25, 28, v24
	v_and_b32_e32 v23, 15, v23
	v_lshlrev_b32_e32 v21, v25, v21
	v_sub_u32_e32 v24, 29, v24
	v_and_b32_e32 v21, 7, v21
	v_cmp_eq_u16_e32 vcc, 0, v23
	v_cndmask_b32_e32 v21, v22, v21, vcc
	v_cndmask_b32_e32 v22, v23, v24, vcc
	v_lshlrev_b32_e32 v23, 16, v10
	v_mov_b32_e32 v24, 0x3b800000
	v_lshlrev_b32_e32 v21, 20, v21
	v_and_b32_e32 v23, 0x80000000, v23
	v_lshl_add_u32 v22, v22, 23, v24
	v_or3_b32 v22, v23, v22, v21
.LBB28_272:
	s_or_b64 exec, exec, s[6:7]
	s_nop 0
	v_mfma_f32_16x16x4f32 a[0:3], v20, v22, a[0:3]
	s_movk_i32 s4, 0xff
	v_and_b32_sdwa v21, v14, s4 dst_sel:DWORD dst_unused:UNUSED_PAD src0_sel:WORD_1 src1_sel:DWORD
	s_movk_i32 s4, 0x7f
	v_cmp_lt_i16_e32 vcc, s4, v21
	s_mov_b64 s[4:5], 0
                                        ; implicit-def: $sgpr10
	s_and_saveexec_b64 s[6:7], vcc
	s_xor_b64 s[6:7], exec, s[6:7]
	s_cbranch_execnz .LBB28_2321
; %bb.273:
	s_or_saveexec_b64 s[6:7], s[6:7]
	v_mov_b32_e32 v20, s10
	s_xor_b64 exec, exec, s[6:7]
	s_cbranch_execnz .LBB28_2324
.LBB28_274:
	s_or_b64 exec, exec, s[6:7]
	s_and_saveexec_b64 s[6:7], s[4:5]
	s_cbranch_execz .LBB28_276
.LBB28_275:
	v_bfe_u32 v20, v14, 16, 3
	v_ffbh_u32_e32 v23, v20
	v_min_u32_e32 v23, 32, v23
	v_lshrrev_b32_e32 v21, 19, v14
	v_subrev_u32_e32 v24, 28, v23
	v_and_b32_e32 v21, 15, v21
	v_lshlrev_b32_sdwa v24, v24, v14 dst_sel:DWORD dst_unused:UNUSED_PAD src0_sel:DWORD src1_sel:WORD_1
	v_bfe_u32 v22, v14, 19, 4
	v_sub_u32_e32 v23, 29, v23
	v_and_b32_e32 v24, 7, v24
	v_cmp_eq_u16_e32 vcc, 0, v21
	v_cndmask_b32_e32 v20, v20, v24, vcc
	v_cndmask_b32_e32 v21, v22, v23, vcc
	v_lshlrev_b32_e32 v22, 8, v14
	v_mov_b32_e32 v23, 0x3b800000
	v_lshlrev_b32_e32 v20, 20, v20
	v_and_b32_e32 v22, 0x80000000, v22
	v_lshl_add_u32 v21, v21, 23, v23
	v_or3_b32 v20, v22, v21, v20
.LBB28_276:
	s_or_b64 exec, exec, s[6:7]
	s_movk_i32 s4, 0xff
	v_and_b32_sdwa v21, v10, s4 dst_sel:DWORD dst_unused:UNUSED_PAD src0_sel:WORD_1 src1_sel:DWORD
	s_movk_i32 s4, 0x7f
	v_cmp_lt_i16_e32 vcc, s4, v21
	s_mov_b64 s[4:5], 0
                                        ; implicit-def: $sgpr10
	s_and_saveexec_b64 s[6:7], vcc
	s_xor_b64 s[6:7], exec, s[6:7]
	s_cbranch_execnz .LBB28_2325
; %bb.277:
	s_or_saveexec_b64 s[6:7], s[6:7]
	v_mov_b32_e32 v22, s10
	s_xor_b64 exec, exec, s[6:7]
	s_cbranch_execnz .LBB28_2328
.LBB28_278:
	s_or_b64 exec, exec, s[6:7]
	s_and_saveexec_b64 s[6:7], s[4:5]
	s_cbranch_execz .LBB28_280
.LBB28_279:
	v_bfe_u32 v21, v10, 16, 3
	v_ffbh_u32_e32 v24, v21
	v_min_u32_e32 v24, 32, v24
	v_lshrrev_b32_e32 v22, 19, v10
	v_subrev_u32_e32 v25, 28, v24
	v_and_b32_e32 v22, 15, v22
	v_lshlrev_b32_sdwa v25, v25, v10 dst_sel:DWORD dst_unused:UNUSED_PAD src0_sel:DWORD src1_sel:WORD_1
	v_bfe_u32 v23, v10, 19, 4
	v_sub_u32_e32 v24, 29, v24
	v_and_b32_e32 v25, 7, v25
	v_cmp_eq_u16_e32 vcc, 0, v22
	v_cndmask_b32_e32 v21, v21, v25, vcc
	v_cndmask_b32_e32 v22, v23, v24, vcc
	v_lshlrev_b32_e32 v23, 8, v10
	v_mov_b32_e32 v24, 0x3b800000
	v_lshlrev_b32_e32 v21, 20, v21
	v_and_b32_e32 v23, 0x80000000, v23
	v_lshl_add_u32 v22, v22, 23, v24
	v_or3_b32 v22, v23, v22, v21
.LBB28_280:
	s_or_b64 exec, exec, s[6:7]
	s_nop 0
	v_mfma_f32_16x16x4f32 a[0:3], v20, v22, a[0:3]
	s_movk_i32 s4, 0x7f
	v_cmp_gt_i16_sdwa s[6:7], v14, s4 src0_sel:BYTE_3 src1_sel:DWORD
	s_mov_b64 s[4:5], 0
                                        ; implicit-def: $sgpr10
	s_and_saveexec_b64 s[8:9], s[6:7]
	s_xor_b64 s[6:7], exec, s[8:9]
	s_cbranch_execnz .LBB28_2329
; %bb.281:
	s_or_saveexec_b64 s[6:7], s[6:7]
	v_mov_b32_e32 v20, s10
	s_xor_b64 exec, exec, s[6:7]
	s_cbranch_execnz .LBB28_2332
.LBB28_282:
	s_or_b64 exec, exec, s[6:7]
	s_and_saveexec_b64 s[6:7], s[4:5]
	s_cbranch_execz .LBB28_284
.LBB28_283:
	v_bfe_u32 v20, v14, 24, 3
	v_ffbh_u32_e32 v24, v20
	v_min_u32_e32 v24, 32, v24
	v_lshrrev_b32_e32 v22, 27, v14
	v_subrev_u32_e32 v25, 28, v24
	v_and_b32_e32 v21, 0x80000000, v14
	v_and_b32_e32 v22, 15, v22
	v_bfe_u32 v23, v14, 27, 4
	v_lshlrev_b32_sdwa v14, v25, v14 dst_sel:DWORD dst_unused:UNUSED_PAD src0_sel:DWORD src1_sel:BYTE_3
	v_sub_u32_e32 v24, 29, v24
	v_and_b32_e32 v14, 7, v14
	v_cmp_eq_u16_e32 vcc, 0, v22
	v_cndmask_b32_e32 v14, v20, v14, vcc
	v_cndmask_b32_e32 v20, v23, v24, vcc
	v_mov_b32_e32 v22, 0x3b800000
	v_lshlrev_b32_e32 v14, 20, v14
	v_lshl_add_u32 v20, v20, 23, v22
	v_or3_b32 v20, v21, v20, v14
.LBB28_284:
	s_or_b64 exec, exec, s[6:7]
	s_movk_i32 s4, 0x7f
	v_cmp_gt_i16_sdwa s[6:7], v10, s4 src0_sel:BYTE_3 src1_sel:DWORD
	s_mov_b64 s[4:5], 0
                                        ; implicit-def: $sgpr10
	s_and_saveexec_b64 s[8:9], s[6:7]
	s_xor_b64 s[6:7], exec, s[8:9]
	s_cbranch_execnz .LBB28_2333
; %bb.285:
	s_or_saveexec_b64 s[6:7], s[6:7]
	v_mov_b32_e32 v14, s10
	s_xor_b64 exec, exec, s[6:7]
	s_cbranch_execnz .LBB28_2336
.LBB28_286:
	s_or_b64 exec, exec, s[6:7]
	s_and_saveexec_b64 s[6:7], s[4:5]
	s_cbranch_execz .LBB28_288
.LBB28_287:
	v_bfe_u32 v14, v10, 24, 3
	v_ffbh_u32_e32 v24, v14
	v_min_u32_e32 v24, 32, v24
	v_lshrrev_b32_e32 v22, 27, v10
	v_subrev_u32_e32 v25, 28, v24
	v_and_b32_e32 v21, 0x80000000, v10
	v_and_b32_e32 v22, 15, v22
	v_bfe_u32 v23, v10, 27, 4
	v_lshlrev_b32_sdwa v10, v25, v10 dst_sel:DWORD dst_unused:UNUSED_PAD src0_sel:DWORD src1_sel:BYTE_3
	v_sub_u32_e32 v24, 29, v24
	v_and_b32_e32 v10, 7, v10
	v_cmp_eq_u16_e32 vcc, 0, v22
	v_cndmask_b32_e32 v10, v14, v10, vcc
	v_cndmask_b32_e32 v14, v23, v24, vcc
	v_mov_b32_e32 v22, 0x3b800000
	v_lshlrev_b32_e32 v10, 20, v10
	v_lshl_add_u32 v14, v14, 23, v22
	v_or3_b32 v14, v21, v14, v10
.LBB28_288:
	s_or_b64 exec, exec, s[6:7]
	s_nop 0
	v_mfma_f32_16x16x4f32 a[0:3], v20, v14, a[0:3]
	s_movk_i32 s4, 0x7f
	v_cmp_gt_i16_sdwa s[6:7], v15, s4 src0_sel:BYTE_0 src1_sel:DWORD
	s_mov_b64 s[4:5], 0
                                        ; implicit-def: $sgpr10
	s_and_saveexec_b64 s[8:9], s[6:7]
	s_xor_b64 s[6:7], exec, s[8:9]
	s_cbranch_execnz .LBB28_2337
; %bb.289:
	s_or_saveexec_b64 s[6:7], s[6:7]
	v_mov_b32_e32 v10, s10
	s_xor_b64 exec, exec, s[6:7]
	s_cbranch_execnz .LBB28_2340
.LBB28_290:
	s_or_b64 exec, exec, s[6:7]
	s_and_saveexec_b64 s[6:7], s[4:5]
	s_cbranch_execz .LBB28_292
.LBB28_291:
	v_and_b32_e32 v10, 7, v15
	v_ffbh_u32_e32 v20, v10
	v_min_u32_e32 v20, 32, v20
	v_lshrrev_b16_e32 v14, 3, v15
	v_subrev_u32_e32 v21, 28, v20
	v_and_b32_e32 v14, 15, v14
	v_lshlrev_b32_e32 v21, v21, v15
	v_sub_u32_e32 v20, 29, v20
	v_and_b32_e32 v21, 7, v21
	v_cmp_eq_u16_e32 vcc, 0, v14
	v_cndmask_b32_e32 v10, v10, v21, vcc
	v_cndmask_b32_e32 v14, v14, v20, vcc
	v_lshlrev_b32_e32 v20, 24, v15
	v_mov_b32_e32 v21, 0x3b800000
	v_lshlrev_b32_e32 v10, 20, v10
	v_and_b32_e32 v20, 0x80000000, v20
	v_lshl_add_u32 v14, v14, 23, v21
	v_or3_b32 v10, v20, v14, v10
.LBB28_292:
	s_or_b64 exec, exec, s[6:7]
	s_movk_i32 s4, 0x7f
	v_cmp_gt_i16_sdwa s[6:7], v11, s4 src0_sel:BYTE_0 src1_sel:DWORD
	s_mov_b64 s[4:5], 0
                                        ; implicit-def: $sgpr10
	s_and_saveexec_b64 s[8:9], s[6:7]
	s_xor_b64 s[6:7], exec, s[8:9]
	s_cbranch_execnz .LBB28_2341
; %bb.293:
	s_or_saveexec_b64 s[6:7], s[6:7]
	v_mov_b32_e32 v14, s10
	s_xor_b64 exec, exec, s[6:7]
	s_cbranch_execnz .LBB28_2344
.LBB28_294:
	s_or_b64 exec, exec, s[6:7]
	s_and_saveexec_b64 s[6:7], s[4:5]
	s_cbranch_execz .LBB28_296
.LBB28_295:
	v_and_b32_e32 v14, 7, v11
	v_ffbh_u32_e32 v21, v14
	v_min_u32_e32 v21, 32, v21
	v_lshrrev_b16_e32 v20, 3, v11
	v_subrev_u32_e32 v22, 28, v21
	v_and_b32_e32 v20, 15, v20
	v_lshlrev_b32_e32 v22, v22, v11
	v_sub_u32_e32 v21, 29, v21
	v_and_b32_e32 v22, 7, v22
	v_cmp_eq_u16_e32 vcc, 0, v20
	v_cndmask_b32_e32 v14, v14, v22, vcc
	v_cndmask_b32_e32 v20, v20, v21, vcc
	v_lshlrev_b32_e32 v21, 24, v11
	v_mov_b32_e32 v22, 0x3b800000
	v_lshlrev_b32_e32 v14, 20, v14
	v_and_b32_e32 v21, 0x80000000, v21
	v_lshl_add_u32 v20, v20, 23, v22
	v_or3_b32 v14, v21, v20, v14
.LBB28_296:
	s_or_b64 exec, exec, s[6:7]
	s_nop 0
	v_mfma_f32_16x16x4f32 a[0:3], v10, v14, a[0:3]
	v_lshrrev_b32_e32 v14, 8, v15
	s_movk_i32 s4, 0x7f
	v_cmp_gt_i16_sdwa s[6:7], v14, s4 src0_sel:BYTE_0 src1_sel:DWORD
	s_mov_b64 s[4:5], 0
                                        ; implicit-def: $sgpr10
	s_and_saveexec_b64 s[8:9], s[6:7]
	s_xor_b64 s[6:7], exec, s[8:9]
	s_cbranch_execnz .LBB28_2345
; %bb.297:
	s_or_saveexec_b64 s[6:7], s[6:7]
	v_mov_b32_e32 v10, s10
	s_xor_b64 exec, exec, s[6:7]
	s_cbranch_execnz .LBB28_2348
.LBB28_298:
	s_or_b64 exec, exec, s[6:7]
	s_and_saveexec_b64 s[6:7], s[4:5]
	s_cbranch_execz .LBB28_300
.LBB28_299:
	v_bfe_u32 v10, v15, 8, 3
	v_ffbh_u32_e32 v21, v10
	v_min_u32_e32 v21, 32, v21
	v_lshrrev_b16_e32 v20, 3, v14
	v_subrev_u32_e32 v22, 28, v21
	v_and_b32_e32 v20, 15, v20
	v_lshlrev_b32_e32 v14, v22, v14
	v_sub_u32_e32 v21, 29, v21
	v_and_b32_e32 v14, 7, v14
	v_cmp_eq_u16_e32 vcc, 0, v20
	v_cndmask_b32_e32 v10, v10, v14, vcc
	v_cndmask_b32_e32 v14, v20, v21, vcc
	v_lshlrev_b32_e32 v20, 16, v15
	v_mov_b32_e32 v21, 0x3b800000
	v_lshlrev_b32_e32 v10, 20, v10
	v_and_b32_e32 v20, 0x80000000, v20
	v_lshl_add_u32 v14, v14, 23, v21
	v_or3_b32 v10, v20, v14, v10
.LBB28_300:
	s_or_b64 exec, exec, s[6:7]
	v_lshrrev_b32_e32 v14, 8, v11
	s_movk_i32 s4, 0x7f
	v_cmp_gt_i16_sdwa s[6:7], v14, s4 src0_sel:BYTE_0 src1_sel:DWORD
	s_mov_b64 s[4:5], 0
                                        ; implicit-def: $sgpr10
	s_and_saveexec_b64 s[8:9], s[6:7]
	s_xor_b64 s[6:7], exec, s[8:9]
	s_cbranch_execnz .LBB28_2349
; %bb.301:
	s_or_saveexec_b64 s[6:7], s[6:7]
	v_mov_b32_e32 v20, s10
	s_xor_b64 exec, exec, s[6:7]
	s_cbranch_execnz .LBB28_2352
.LBB28_302:
	s_or_b64 exec, exec, s[6:7]
	s_and_saveexec_b64 s[6:7], s[4:5]
	s_cbranch_execz .LBB28_304
.LBB28_303:
	v_bfe_u32 v20, v11, 8, 3
	v_ffbh_u32_e32 v22, v20
	v_min_u32_e32 v22, 32, v22
	v_lshrrev_b16_e32 v21, 3, v14
	v_subrev_u32_e32 v23, 28, v22
	v_and_b32_e32 v21, 15, v21
	v_lshlrev_b32_e32 v14, v23, v14
	v_sub_u32_e32 v22, 29, v22
	v_and_b32_e32 v14, 7, v14
	v_cmp_eq_u16_e32 vcc, 0, v21
	v_cndmask_b32_e32 v14, v20, v14, vcc
	v_cndmask_b32_e32 v20, v21, v22, vcc
	v_lshlrev_b32_e32 v21, 16, v11
	v_mov_b32_e32 v22, 0x3b800000
	v_lshlrev_b32_e32 v14, 20, v14
	v_and_b32_e32 v21, 0x80000000, v21
	v_lshl_add_u32 v20, v20, 23, v22
	v_or3_b32 v20, v21, v20, v14
.LBB28_304:
	s_or_b64 exec, exec, s[6:7]
	s_nop 0
	v_mfma_f32_16x16x4f32 a[0:3], v10, v20, a[0:3]
	s_movk_i32 s4, 0xff
	v_and_b32_sdwa v14, v15, s4 dst_sel:DWORD dst_unused:UNUSED_PAD src0_sel:WORD_1 src1_sel:DWORD
	s_movk_i32 s4, 0x7f
	v_cmp_lt_i16_e32 vcc, s4, v14
	s_mov_b64 s[4:5], 0
                                        ; implicit-def: $sgpr10
	s_and_saveexec_b64 s[6:7], vcc
	s_xor_b64 s[6:7], exec, s[6:7]
	s_cbranch_execnz .LBB28_2353
; %bb.305:
	s_or_saveexec_b64 s[6:7], s[6:7]
	v_mov_b32_e32 v10, s10
	s_xor_b64 exec, exec, s[6:7]
	s_cbranch_execnz .LBB28_2356
.LBB28_306:
	s_or_b64 exec, exec, s[6:7]
	s_and_saveexec_b64 s[6:7], s[4:5]
	s_cbranch_execz .LBB28_308
.LBB28_307:
	v_bfe_u32 v10, v15, 16, 3
	v_ffbh_u32_e32 v21, v10
	v_min_u32_e32 v21, 32, v21
	v_lshrrev_b32_e32 v14, 19, v15
	v_subrev_u32_e32 v22, 28, v21
	v_and_b32_e32 v14, 15, v14
	v_lshlrev_b32_sdwa v22, v22, v15 dst_sel:DWORD dst_unused:UNUSED_PAD src0_sel:DWORD src1_sel:WORD_1
	v_bfe_u32 v20, v15, 19, 4
	v_sub_u32_e32 v21, 29, v21
	v_and_b32_e32 v22, 7, v22
	v_cmp_eq_u16_e32 vcc, 0, v14
	v_cndmask_b32_e32 v10, v10, v22, vcc
	v_cndmask_b32_e32 v14, v20, v21, vcc
	v_lshlrev_b32_e32 v20, 8, v15
	v_mov_b32_e32 v21, 0x3b800000
	v_lshlrev_b32_e32 v10, 20, v10
	v_and_b32_e32 v20, 0x80000000, v20
	v_lshl_add_u32 v14, v14, 23, v21
	v_or3_b32 v10, v20, v14, v10
.LBB28_308:
	s_or_b64 exec, exec, s[6:7]
	s_movk_i32 s4, 0xff
	v_and_b32_sdwa v14, v11, s4 dst_sel:DWORD dst_unused:UNUSED_PAD src0_sel:WORD_1 src1_sel:DWORD
	s_movk_i32 s4, 0x7f
	v_cmp_lt_i16_e32 vcc, s4, v14
	s_mov_b64 s[4:5], 0
                                        ; implicit-def: $sgpr10
	s_and_saveexec_b64 s[6:7], vcc
	s_xor_b64 s[6:7], exec, s[6:7]
	s_cbranch_execnz .LBB28_2357
; %bb.309:
	s_or_saveexec_b64 s[6:7], s[6:7]
	v_mov_b32_e32 v20, s10
	s_xor_b64 exec, exec, s[6:7]
	s_cbranch_execnz .LBB28_2360
.LBB28_310:
	s_or_b64 exec, exec, s[6:7]
	s_and_saveexec_b64 s[6:7], s[4:5]
	s_cbranch_execz .LBB28_312
.LBB28_311:
	v_bfe_u32 v14, v11, 16, 3
	v_ffbh_u32_e32 v22, v14
	v_min_u32_e32 v22, 32, v22
	v_lshrrev_b32_e32 v20, 19, v11
	v_subrev_u32_e32 v23, 28, v22
	v_and_b32_e32 v20, 15, v20
	v_lshlrev_b32_sdwa v23, v23, v11 dst_sel:DWORD dst_unused:UNUSED_PAD src0_sel:DWORD src1_sel:WORD_1
	v_bfe_u32 v21, v11, 19, 4
	v_sub_u32_e32 v22, 29, v22
	v_and_b32_e32 v23, 7, v23
	v_cmp_eq_u16_e32 vcc, 0, v20
	v_cndmask_b32_e32 v14, v14, v23, vcc
	v_cndmask_b32_e32 v20, v21, v22, vcc
	v_lshlrev_b32_e32 v21, 8, v11
	v_mov_b32_e32 v22, 0x3b800000
	v_lshlrev_b32_e32 v14, 20, v14
	v_and_b32_e32 v21, 0x80000000, v21
	v_lshl_add_u32 v20, v20, 23, v22
	v_or3_b32 v20, v21, v20, v14
.LBB28_312:
	s_or_b64 exec, exec, s[6:7]
	s_nop 0
	v_mfma_f32_16x16x4f32 a[0:3], v10, v20, a[0:3]
	s_movk_i32 s4, 0x7f
	v_cmp_gt_i16_sdwa s[6:7], v15, s4 src0_sel:BYTE_3 src1_sel:DWORD
	s_mov_b64 s[4:5], 0
                                        ; implicit-def: $sgpr10
	s_and_saveexec_b64 s[8:9], s[6:7]
	s_xor_b64 s[6:7], exec, s[8:9]
	s_cbranch_execnz .LBB28_2361
; %bb.313:
	s_or_saveexec_b64 s[6:7], s[6:7]
	v_mov_b32_e32 v10, s10
	s_xor_b64 exec, exec, s[6:7]
	s_cbranch_execnz .LBB28_2364
.LBB28_314:
	s_or_b64 exec, exec, s[6:7]
	s_and_saveexec_b64 s[6:7], s[4:5]
	s_cbranch_execz .LBB28_316
.LBB28_315:
	v_bfe_u32 v10, v15, 24, 3
	v_ffbh_u32_e32 v22, v10
	v_min_u32_e32 v22, 32, v22
	v_lshrrev_b32_e32 v20, 27, v15
	v_subrev_u32_e32 v23, 28, v22
	v_and_b32_e32 v14, 0x80000000, v15
	v_and_b32_e32 v20, 15, v20
	v_bfe_u32 v21, v15, 27, 4
	v_lshlrev_b32_sdwa v15, v23, v15 dst_sel:DWORD dst_unused:UNUSED_PAD src0_sel:DWORD src1_sel:BYTE_3
	v_sub_u32_e32 v22, 29, v22
	v_and_b32_e32 v15, 7, v15
	v_cmp_eq_u16_e32 vcc, 0, v20
	v_cndmask_b32_e32 v10, v10, v15, vcc
	v_cndmask_b32_e32 v15, v21, v22, vcc
	v_mov_b32_e32 v20, 0x3b800000
	v_lshlrev_b32_e32 v10, 20, v10
	v_lshl_add_u32 v15, v15, 23, v20
	v_or3_b32 v10, v14, v15, v10
.LBB28_316:
	s_or_b64 exec, exec, s[6:7]
	s_movk_i32 s4, 0x7f
	v_cmp_gt_i16_sdwa s[6:7], v11, s4 src0_sel:BYTE_3 src1_sel:DWORD
	s_mov_b64 s[4:5], 0
                                        ; implicit-def: $sgpr10
	s_and_saveexec_b64 s[8:9], s[6:7]
	s_xor_b64 s[6:7], exec, s[8:9]
	s_cbranch_execnz .LBB28_2365
; %bb.317:
	s_or_saveexec_b64 s[6:7], s[6:7]
	v_mov_b32_e32 v14, s10
	s_xor_b64 exec, exec, s[6:7]
	s_cbranch_execnz .LBB28_2368
.LBB28_318:
	s_or_b64 exec, exec, s[6:7]
	s_and_saveexec_b64 s[6:7], s[4:5]
	s_cbranch_execz .LBB28_320
.LBB28_319:
	v_bfe_u32 v14, v11, 24, 3
	v_ffbh_u32_e32 v22, v14
	v_min_u32_e32 v22, 32, v22
	v_lshrrev_b32_e32 v20, 27, v11
	v_subrev_u32_e32 v23, 28, v22
	v_and_b32_e32 v15, 0x80000000, v11
	v_and_b32_e32 v20, 15, v20
	v_bfe_u32 v21, v11, 27, 4
	v_lshlrev_b32_sdwa v11, v23, v11 dst_sel:DWORD dst_unused:UNUSED_PAD src0_sel:DWORD src1_sel:BYTE_3
	v_sub_u32_e32 v22, 29, v22
	v_and_b32_e32 v11, 7, v11
	v_cmp_eq_u16_e32 vcc, 0, v20
	v_cndmask_b32_e32 v11, v14, v11, vcc
	v_cndmask_b32_e32 v14, v21, v22, vcc
	v_mov_b32_e32 v20, 0x3b800000
	v_lshlrev_b32_e32 v11, 20, v11
	v_lshl_add_u32 v14, v14, 23, v20
	v_or3_b32 v14, v15, v14, v11
.LBB28_320:
	s_or_b64 exec, exec, s[6:7]
	s_nop 0
	v_mfma_f32_16x16x4f32 a[0:3], v10, v14, a[0:3]
	s_movk_i32 s4, 0x7f
	v_cmp_gt_i16_sdwa s[6:7], v16, s4 src0_sel:BYTE_0 src1_sel:DWORD
	s_mov_b64 s[4:5], 0
                                        ; implicit-def: $sgpr10
	s_and_saveexec_b64 s[8:9], s[6:7]
	s_xor_b64 s[6:7], exec, s[8:9]
	s_cbranch_execnz .LBB28_2369
; %bb.321:
	s_or_saveexec_b64 s[6:7], s[6:7]
	v_mov_b32_e32 v10, s10
	s_xor_b64 exec, exec, s[6:7]
	s_cbranch_execnz .LBB28_2372
.LBB28_322:
	s_or_b64 exec, exec, s[6:7]
	s_and_saveexec_b64 s[6:7], s[4:5]
	s_cbranch_execz .LBB28_324
.LBB28_323:
	v_and_b32_e32 v10, 7, v16
	v_ffbh_u32_e32 v14, v10
	v_min_u32_e32 v14, 32, v14
	v_lshrrev_b16_e32 v11, 3, v16
	v_subrev_u32_e32 v15, 28, v14
	v_and_b32_e32 v11, 15, v11
	v_lshlrev_b32_e32 v15, v15, v16
	v_sub_u32_e32 v14, 29, v14
	v_and_b32_e32 v15, 7, v15
	v_cmp_eq_u16_e32 vcc, 0, v11
	v_cndmask_b32_e32 v10, v10, v15, vcc
	v_cndmask_b32_e32 v11, v11, v14, vcc
	v_lshlrev_b32_e32 v14, 24, v16
	v_mov_b32_e32 v15, 0x3b800000
	v_lshlrev_b32_e32 v10, 20, v10
	v_and_b32_e32 v14, 0x80000000, v14
	v_lshl_add_u32 v11, v11, 23, v15
	v_or3_b32 v10, v14, v11, v10
.LBB28_324:
	s_or_b64 exec, exec, s[6:7]
	s_movk_i32 s4, 0x7f
	v_cmp_gt_i16_sdwa s[6:7], v12, s4 src0_sel:BYTE_0 src1_sel:DWORD
	s_mov_b64 s[4:5], 0
                                        ; implicit-def: $sgpr10
	s_and_saveexec_b64 s[8:9], s[6:7]
	s_xor_b64 s[6:7], exec, s[8:9]
	s_cbranch_execnz .LBB28_2373
; %bb.325:
	s_or_saveexec_b64 s[6:7], s[6:7]
	v_mov_b32_e32 v11, s10
	s_xor_b64 exec, exec, s[6:7]
	s_cbranch_execnz .LBB28_2376
.LBB28_326:
	s_or_b64 exec, exec, s[6:7]
	s_and_saveexec_b64 s[6:7], s[4:5]
	s_cbranch_execz .LBB28_328
.LBB28_327:
	v_and_b32_e32 v11, 7, v12
	v_ffbh_u32_e32 v15, v11
	v_min_u32_e32 v15, 32, v15
	v_lshrrev_b16_e32 v14, 3, v12
	v_subrev_u32_e32 v20, 28, v15
	v_and_b32_e32 v14, 15, v14
	v_lshlrev_b32_e32 v20, v20, v12
	v_sub_u32_e32 v15, 29, v15
	v_and_b32_e32 v20, 7, v20
	v_cmp_eq_u16_e32 vcc, 0, v14
	v_cndmask_b32_e32 v11, v11, v20, vcc
	v_cndmask_b32_e32 v14, v14, v15, vcc
	v_lshlrev_b32_e32 v15, 24, v12
	v_mov_b32_e32 v20, 0x3b800000
	v_lshlrev_b32_e32 v11, 20, v11
	v_and_b32_e32 v15, 0x80000000, v15
	v_lshl_add_u32 v14, v14, 23, v20
	v_or3_b32 v11, v15, v14, v11
.LBB28_328:
	s_or_b64 exec, exec, s[6:7]
	s_nop 0
	v_mfma_f32_16x16x4f32 a[0:3], v10, v11, a[0:3]
	v_lshrrev_b32_e32 v11, 8, v16
	s_movk_i32 s4, 0x7f
	v_cmp_gt_i16_sdwa s[6:7], v11, s4 src0_sel:BYTE_0 src1_sel:DWORD
	s_mov_b64 s[4:5], 0
                                        ; implicit-def: $sgpr10
	s_and_saveexec_b64 s[8:9], s[6:7]
	s_xor_b64 s[6:7], exec, s[8:9]
	s_cbranch_execnz .LBB28_2377
; %bb.329:
	s_or_saveexec_b64 s[6:7], s[6:7]
	v_mov_b32_e32 v10, s10
	s_xor_b64 exec, exec, s[6:7]
	s_cbranch_execnz .LBB28_2380
.LBB28_330:
	s_or_b64 exec, exec, s[6:7]
	s_and_saveexec_b64 s[6:7], s[4:5]
	s_cbranch_execz .LBB28_332
.LBB28_331:
	v_bfe_u32 v10, v16, 8, 3
	v_ffbh_u32_e32 v15, v10
	v_min_u32_e32 v15, 32, v15
	v_lshrrev_b16_e32 v14, 3, v11
	v_subrev_u32_e32 v20, 28, v15
	v_and_b32_e32 v14, 15, v14
	v_lshlrev_b32_e32 v11, v20, v11
	v_sub_u32_e32 v15, 29, v15
	v_and_b32_e32 v11, 7, v11
	v_cmp_eq_u16_e32 vcc, 0, v14
	v_cndmask_b32_e32 v10, v10, v11, vcc
	v_cndmask_b32_e32 v11, v14, v15, vcc
	v_lshlrev_b32_e32 v14, 16, v16
	v_mov_b32_e32 v15, 0x3b800000
	v_lshlrev_b32_e32 v10, 20, v10
	v_and_b32_e32 v14, 0x80000000, v14
	v_lshl_add_u32 v11, v11, 23, v15
	v_or3_b32 v10, v14, v11, v10
.LBB28_332:
	s_or_b64 exec, exec, s[6:7]
	v_lshrrev_b32_e32 v11, 8, v12
	s_movk_i32 s4, 0x7f
	v_cmp_gt_i16_sdwa s[6:7], v11, s4 src0_sel:BYTE_0 src1_sel:DWORD
	s_mov_b64 s[4:5], 0
                                        ; implicit-def: $sgpr10
	s_and_saveexec_b64 s[8:9], s[6:7]
	s_xor_b64 s[6:7], exec, s[8:9]
	s_cbranch_execnz .LBB28_2381
; %bb.333:
	s_or_saveexec_b64 s[6:7], s[6:7]
	v_mov_b32_e32 v14, s10
	s_xor_b64 exec, exec, s[6:7]
	s_cbranch_execnz .LBB28_2384
.LBB28_334:
	s_or_b64 exec, exec, s[6:7]
	s_and_saveexec_b64 s[6:7], s[4:5]
	s_cbranch_execz .LBB28_336
.LBB28_335:
	v_bfe_u32 v14, v12, 8, 3
	v_ffbh_u32_e32 v20, v14
	v_min_u32_e32 v20, 32, v20
	v_lshrrev_b16_e32 v15, 3, v11
	v_subrev_u32_e32 v21, 28, v20
	v_and_b32_e32 v15, 15, v15
	v_lshlrev_b32_e32 v11, v21, v11
	v_sub_u32_e32 v20, 29, v20
	v_and_b32_e32 v11, 7, v11
	v_cmp_eq_u16_e32 vcc, 0, v15
	v_cndmask_b32_e32 v11, v14, v11, vcc
	v_cndmask_b32_e32 v14, v15, v20, vcc
	v_lshlrev_b32_e32 v15, 16, v12
	v_mov_b32_e32 v20, 0x3b800000
	v_lshlrev_b32_e32 v11, 20, v11
	v_and_b32_e32 v15, 0x80000000, v15
	v_lshl_add_u32 v14, v14, 23, v20
	v_or3_b32 v14, v15, v14, v11
.LBB28_336:
	s_or_b64 exec, exec, s[6:7]
	s_nop 0
	v_mfma_f32_16x16x4f32 a[0:3], v10, v14, a[0:3]
	s_movk_i32 s4, 0xff
	v_and_b32_sdwa v11, v16, s4 dst_sel:DWORD dst_unused:UNUSED_PAD src0_sel:WORD_1 src1_sel:DWORD
	s_movk_i32 s4, 0x7f
	v_cmp_lt_i16_e32 vcc, s4, v11
	s_mov_b64 s[4:5], 0
                                        ; implicit-def: $sgpr10
	s_and_saveexec_b64 s[6:7], vcc
	s_xor_b64 s[6:7], exec, s[6:7]
	s_cbranch_execnz .LBB28_2385
; %bb.337:
	s_or_saveexec_b64 s[6:7], s[6:7]
	v_mov_b32_e32 v10, s10
	s_xor_b64 exec, exec, s[6:7]
	s_cbranch_execnz .LBB28_2388
.LBB28_338:
	s_or_b64 exec, exec, s[6:7]
	s_and_saveexec_b64 s[6:7], s[4:5]
	s_cbranch_execz .LBB28_340
.LBB28_339:
	v_bfe_u32 v10, v16, 16, 3
	v_ffbh_u32_e32 v15, v10
	v_min_u32_e32 v15, 32, v15
	v_lshrrev_b32_e32 v11, 19, v16
	v_subrev_u32_e32 v20, 28, v15
	v_and_b32_e32 v11, 15, v11
	v_lshlrev_b32_sdwa v20, v20, v16 dst_sel:DWORD dst_unused:UNUSED_PAD src0_sel:DWORD src1_sel:WORD_1
	v_bfe_u32 v14, v16, 19, 4
	v_sub_u32_e32 v15, 29, v15
	v_and_b32_e32 v20, 7, v20
	v_cmp_eq_u16_e32 vcc, 0, v11
	v_cndmask_b32_e32 v10, v10, v20, vcc
	v_cndmask_b32_e32 v11, v14, v15, vcc
	v_lshlrev_b32_e32 v14, 8, v16
	v_mov_b32_e32 v15, 0x3b800000
	v_lshlrev_b32_e32 v10, 20, v10
	v_and_b32_e32 v14, 0x80000000, v14
	v_lshl_add_u32 v11, v11, 23, v15
	v_or3_b32 v10, v14, v11, v10
.LBB28_340:
	s_or_b64 exec, exec, s[6:7]
	s_movk_i32 s4, 0xff
	v_and_b32_sdwa v11, v12, s4 dst_sel:DWORD dst_unused:UNUSED_PAD src0_sel:WORD_1 src1_sel:DWORD
	s_movk_i32 s4, 0x7f
	v_cmp_lt_i16_e32 vcc, s4, v11
	s_mov_b64 s[4:5], 0
                                        ; implicit-def: $sgpr10
	s_and_saveexec_b64 s[6:7], vcc
	s_xor_b64 s[6:7], exec, s[6:7]
	s_cbranch_execnz .LBB28_2389
; %bb.341:
	s_or_saveexec_b64 s[6:7], s[6:7]
	v_mov_b32_e32 v14, s10
	s_xor_b64 exec, exec, s[6:7]
	s_cbranch_execnz .LBB28_2392
.LBB28_342:
	s_or_b64 exec, exec, s[6:7]
	s_and_saveexec_b64 s[6:7], s[4:5]
	s_cbranch_execz .LBB28_344
.LBB28_343:
	v_bfe_u32 v11, v12, 16, 3
	v_ffbh_u32_e32 v20, v11
	v_min_u32_e32 v20, 32, v20
	v_lshrrev_b32_e32 v14, 19, v12
	v_subrev_u32_e32 v21, 28, v20
	v_and_b32_e32 v14, 15, v14
	v_lshlrev_b32_sdwa v21, v21, v12 dst_sel:DWORD dst_unused:UNUSED_PAD src0_sel:DWORD src1_sel:WORD_1
	v_bfe_u32 v15, v12, 19, 4
	v_sub_u32_e32 v20, 29, v20
	v_and_b32_e32 v21, 7, v21
	v_cmp_eq_u16_e32 vcc, 0, v14
	v_cndmask_b32_e32 v11, v11, v21, vcc
	v_cndmask_b32_e32 v14, v15, v20, vcc
	v_lshlrev_b32_e32 v15, 8, v12
	v_mov_b32_e32 v20, 0x3b800000
	v_lshlrev_b32_e32 v11, 20, v11
	v_and_b32_e32 v15, 0x80000000, v15
	v_lshl_add_u32 v14, v14, 23, v20
	v_or3_b32 v14, v15, v14, v11
.LBB28_344:
	s_or_b64 exec, exec, s[6:7]
	s_nop 0
	v_mfma_f32_16x16x4f32 a[0:3], v10, v14, a[0:3]
	s_movk_i32 s4, 0x7f
	v_cmp_gt_i16_sdwa s[6:7], v16, s4 src0_sel:BYTE_3 src1_sel:DWORD
	s_mov_b64 s[4:5], 0
                                        ; implicit-def: $sgpr10
	s_and_saveexec_b64 s[8:9], s[6:7]
	s_xor_b64 s[6:7], exec, s[8:9]
	s_cbranch_execnz .LBB28_2393
; %bb.345:
	s_or_saveexec_b64 s[6:7], s[6:7]
	v_mov_b32_e32 v10, s10
	s_xor_b64 exec, exec, s[6:7]
	s_cbranch_execnz .LBB28_2396
.LBB28_346:
	s_or_b64 exec, exec, s[6:7]
	s_and_saveexec_b64 s[6:7], s[4:5]
	s_cbranch_execz .LBB28_348
.LBB28_347:
	v_bfe_u32 v10, v16, 24, 3
	v_ffbh_u32_e32 v20, v10
	v_min_u32_e32 v20, 32, v20
	v_lshrrev_b32_e32 v14, 27, v16
	v_subrev_u32_e32 v21, 28, v20
	v_and_b32_e32 v11, 0x80000000, v16
	v_and_b32_e32 v14, 15, v14
	v_bfe_u32 v15, v16, 27, 4
	v_lshlrev_b32_sdwa v16, v21, v16 dst_sel:DWORD dst_unused:UNUSED_PAD src0_sel:DWORD src1_sel:BYTE_3
	v_sub_u32_e32 v20, 29, v20
	v_and_b32_e32 v16, 7, v16
	v_cmp_eq_u16_e32 vcc, 0, v14
	v_cndmask_b32_e32 v10, v10, v16, vcc
	v_cndmask_b32_e32 v14, v15, v20, vcc
	v_mov_b32_e32 v15, 0x3b800000
	v_lshlrev_b32_e32 v10, 20, v10
	v_lshl_add_u32 v14, v14, 23, v15
	v_or3_b32 v10, v11, v14, v10
.LBB28_348:
	s_or_b64 exec, exec, s[6:7]
	s_movk_i32 s4, 0x7f
	v_cmp_gt_i16_sdwa s[6:7], v12, s4 src0_sel:BYTE_3 src1_sel:DWORD
	s_mov_b64 s[4:5], 0
                                        ; implicit-def: $sgpr10
	s_and_saveexec_b64 s[8:9], s[6:7]
	s_xor_b64 s[6:7], exec, s[8:9]
	s_cbranch_execnz .LBB28_2397
; %bb.349:
	s_or_saveexec_b64 s[6:7], s[6:7]
	v_mov_b32_e32 v11, s10
	s_xor_b64 exec, exec, s[6:7]
	s_cbranch_execnz .LBB28_2400
.LBB28_350:
	s_or_b64 exec, exec, s[6:7]
	s_and_saveexec_b64 s[6:7], s[4:5]
	s_cbranch_execz .LBB28_352
.LBB28_351:
	v_bfe_u32 v11, v12, 24, 3
	v_ffbh_u32_e32 v20, v11
	v_min_u32_e32 v20, 32, v20
	v_lshrrev_b32_e32 v15, 27, v12
	v_subrev_u32_e32 v21, 28, v20
	v_and_b32_e32 v14, 0x80000000, v12
	v_and_b32_e32 v15, 15, v15
	v_bfe_u32 v16, v12, 27, 4
	v_lshlrev_b32_sdwa v12, v21, v12 dst_sel:DWORD dst_unused:UNUSED_PAD src0_sel:DWORD src1_sel:BYTE_3
	v_sub_u32_e32 v20, 29, v20
	v_and_b32_e32 v12, 7, v12
	v_cmp_eq_u16_e32 vcc, 0, v15
	v_cndmask_b32_e32 v11, v11, v12, vcc
	v_cndmask_b32_e32 v12, v16, v20, vcc
	v_mov_b32_e32 v15, 0x3b800000
	v_lshlrev_b32_e32 v11, 20, v11
	v_lshl_add_u32 v12, v12, 23, v15
	v_or3_b32 v11, v14, v12, v11
.LBB28_352:
	s_or_b64 exec, exec, s[6:7]
	s_nop 0
	v_mfma_f32_16x16x4f32 a[0:3], v10, v11, a[0:3]
	s_movk_i32 s4, 0x7f
	v_cmp_gt_i16_sdwa s[6:7], v17, s4 src0_sel:BYTE_0 src1_sel:DWORD
	s_mov_b64 s[4:5], 0
                                        ; implicit-def: $sgpr10
	s_and_saveexec_b64 s[8:9], s[6:7]
	s_xor_b64 s[6:7], exec, s[8:9]
	s_cbranch_execnz .LBB28_2401
; %bb.353:
	s_or_saveexec_b64 s[6:7], s[6:7]
	v_mov_b32_e32 v10, s10
	s_xor_b64 exec, exec, s[6:7]
	s_cbranch_execnz .LBB28_2404
.LBB28_354:
	s_or_b64 exec, exec, s[6:7]
	s_and_saveexec_b64 s[6:7], s[4:5]
	s_cbranch_execz .LBB28_356
.LBB28_355:
	v_and_b32_e32 v10, 7, v17
	v_ffbh_u32_e32 v12, v10
	v_min_u32_e32 v12, 32, v12
	v_lshrrev_b16_e32 v11, 3, v17
	v_subrev_u32_e32 v14, 28, v12
	v_and_b32_e32 v11, 15, v11
	v_lshlrev_b32_e32 v14, v14, v17
	v_sub_u32_e32 v12, 29, v12
	v_and_b32_e32 v14, 7, v14
	v_cmp_eq_u16_e32 vcc, 0, v11
	v_cndmask_b32_e32 v10, v10, v14, vcc
	v_cndmask_b32_e32 v11, v11, v12, vcc
	v_lshlrev_b32_e32 v12, 24, v17
	v_mov_b32_e32 v14, 0x3b800000
	v_lshlrev_b32_e32 v10, 20, v10
	v_and_b32_e32 v12, 0x80000000, v12
	v_lshl_add_u32 v11, v11, 23, v14
	v_or3_b32 v10, v12, v11, v10
.LBB28_356:
	s_or_b64 exec, exec, s[6:7]
	s_movk_i32 s4, 0x7f
	v_cmp_gt_i16_sdwa s[6:7], v13, s4 src0_sel:BYTE_0 src1_sel:DWORD
	s_mov_b64 s[4:5], 0
                                        ; implicit-def: $sgpr10
	s_and_saveexec_b64 s[8:9], s[6:7]
	s_xor_b64 s[6:7], exec, s[8:9]
	s_cbranch_execnz .LBB28_2405
; %bb.357:
	s_or_saveexec_b64 s[6:7], s[6:7]
	v_mov_b32_e32 v11, s10
	s_xor_b64 exec, exec, s[6:7]
	s_cbranch_execnz .LBB28_2408
.LBB28_358:
	s_or_b64 exec, exec, s[6:7]
	s_and_saveexec_b64 s[6:7], s[4:5]
	s_cbranch_execz .LBB28_360
.LBB28_359:
	v_and_b32_e32 v11, 7, v13
	v_ffbh_u32_e32 v14, v11
	v_min_u32_e32 v14, 32, v14
	v_lshrrev_b16_e32 v12, 3, v13
	v_subrev_u32_e32 v15, 28, v14
	v_and_b32_e32 v12, 15, v12
	v_lshlrev_b32_e32 v15, v15, v13
	v_sub_u32_e32 v14, 29, v14
	v_and_b32_e32 v15, 7, v15
	v_cmp_eq_u16_e32 vcc, 0, v12
	v_cndmask_b32_e32 v11, v11, v15, vcc
	v_cndmask_b32_e32 v12, v12, v14, vcc
	v_lshlrev_b32_e32 v14, 24, v13
	v_mov_b32_e32 v15, 0x3b800000
	v_lshlrev_b32_e32 v11, 20, v11
	v_and_b32_e32 v14, 0x80000000, v14
	v_lshl_add_u32 v12, v12, 23, v15
	v_or3_b32 v11, v14, v12, v11
.LBB28_360:
	s_or_b64 exec, exec, s[6:7]
	s_nop 0
	v_mfma_f32_16x16x4f32 a[0:3], v10, v11, a[0:3]
	v_lshrrev_b32_e32 v11, 8, v17
	s_movk_i32 s4, 0x7f
	v_cmp_gt_i16_sdwa s[6:7], v11, s4 src0_sel:BYTE_0 src1_sel:DWORD
	s_mov_b64 s[4:5], 0
                                        ; implicit-def: $sgpr10
	s_and_saveexec_b64 s[8:9], s[6:7]
	s_xor_b64 s[6:7], exec, s[8:9]
	s_cbranch_execnz .LBB28_2409
; %bb.361:
	s_or_saveexec_b64 s[6:7], s[6:7]
	v_mov_b32_e32 v10, s10
	s_xor_b64 exec, exec, s[6:7]
	s_cbranch_execnz .LBB28_2412
.LBB28_362:
	s_or_b64 exec, exec, s[6:7]
	s_and_saveexec_b64 s[6:7], s[4:5]
	s_cbranch_execz .LBB28_364
.LBB28_363:
	v_bfe_u32 v10, v17, 8, 3
	v_ffbh_u32_e32 v14, v10
	v_min_u32_e32 v14, 32, v14
	v_lshrrev_b16_e32 v12, 3, v11
	v_subrev_u32_e32 v15, 28, v14
	v_and_b32_e32 v12, 15, v12
	v_lshlrev_b32_e32 v11, v15, v11
	v_sub_u32_e32 v14, 29, v14
	v_and_b32_e32 v11, 7, v11
	v_cmp_eq_u16_e32 vcc, 0, v12
	v_cndmask_b32_e32 v10, v10, v11, vcc
	v_cndmask_b32_e32 v11, v12, v14, vcc
	v_lshlrev_b32_e32 v12, 16, v17
	v_mov_b32_e32 v14, 0x3b800000
	v_lshlrev_b32_e32 v10, 20, v10
	v_and_b32_e32 v12, 0x80000000, v12
	v_lshl_add_u32 v11, v11, 23, v14
	v_or3_b32 v10, v12, v11, v10
.LBB28_364:
	s_or_b64 exec, exec, s[6:7]
	v_lshrrev_b32_e32 v11, 8, v13
	s_movk_i32 s4, 0x7f
	v_cmp_gt_i16_sdwa s[6:7], v11, s4 src0_sel:BYTE_0 src1_sel:DWORD
	s_mov_b64 s[4:5], 0
                                        ; implicit-def: $sgpr10
	s_and_saveexec_b64 s[8:9], s[6:7]
	s_xor_b64 s[6:7], exec, s[8:9]
	s_cbranch_execnz .LBB28_2413
; %bb.365:
	s_or_saveexec_b64 s[6:7], s[6:7]
	v_mov_b32_e32 v12, s10
	s_xor_b64 exec, exec, s[6:7]
	s_cbranch_execnz .LBB28_2416
.LBB28_366:
	s_or_b64 exec, exec, s[6:7]
	s_and_saveexec_b64 s[6:7], s[4:5]
	s_cbranch_execz .LBB28_368
.LBB28_367:
	v_bfe_u32 v12, v13, 8, 3
	v_ffbh_u32_e32 v15, v12
	v_min_u32_e32 v15, 32, v15
	v_lshrrev_b16_e32 v14, 3, v11
	v_subrev_u32_e32 v16, 28, v15
	v_and_b32_e32 v14, 15, v14
	v_lshlrev_b32_e32 v11, v16, v11
	v_sub_u32_e32 v15, 29, v15
	v_and_b32_e32 v11, 7, v11
	v_cmp_eq_u16_e32 vcc, 0, v14
	v_cndmask_b32_e32 v11, v12, v11, vcc
	v_cndmask_b32_e32 v12, v14, v15, vcc
	v_lshlrev_b32_e32 v14, 16, v13
	v_mov_b32_e32 v15, 0x3b800000
	v_lshlrev_b32_e32 v11, 20, v11
	v_and_b32_e32 v14, 0x80000000, v14
	v_lshl_add_u32 v12, v12, 23, v15
	v_or3_b32 v12, v14, v12, v11
.LBB28_368:
	s_or_b64 exec, exec, s[6:7]
	s_nop 0
	v_mfma_f32_16x16x4f32 a[0:3], v10, v12, a[0:3]
	s_movk_i32 s4, 0xff
	v_and_b32_sdwa v11, v17, s4 dst_sel:DWORD dst_unused:UNUSED_PAD src0_sel:WORD_1 src1_sel:DWORD
	s_movk_i32 s4, 0x7f
	v_cmp_lt_i16_e32 vcc, s4, v11
	s_mov_b64 s[4:5], 0
                                        ; implicit-def: $sgpr10
	s_and_saveexec_b64 s[6:7], vcc
	s_xor_b64 s[6:7], exec, s[6:7]
	s_cbranch_execnz .LBB28_2417
; %bb.369:
	s_or_saveexec_b64 s[6:7], s[6:7]
	v_mov_b32_e32 v10, s10
	s_xor_b64 exec, exec, s[6:7]
	s_cbranch_execnz .LBB28_2420
.LBB28_370:
	s_or_b64 exec, exec, s[6:7]
	s_and_saveexec_b64 s[6:7], s[4:5]
	s_cbranch_execz .LBB28_372
.LBB28_371:
	v_bfe_u32 v10, v17, 16, 3
	v_ffbh_u32_e32 v14, v10
	v_min_u32_e32 v14, 32, v14
	v_lshrrev_b32_e32 v11, 19, v17
	v_subrev_u32_e32 v15, 28, v14
	v_and_b32_e32 v11, 15, v11
	v_lshlrev_b32_sdwa v15, v15, v17 dst_sel:DWORD dst_unused:UNUSED_PAD src0_sel:DWORD src1_sel:WORD_1
	v_bfe_u32 v12, v17, 19, 4
	v_sub_u32_e32 v14, 29, v14
	v_and_b32_e32 v15, 7, v15
	v_cmp_eq_u16_e32 vcc, 0, v11
	v_cndmask_b32_e32 v10, v10, v15, vcc
	v_cndmask_b32_e32 v11, v12, v14, vcc
	v_lshlrev_b32_e32 v12, 8, v17
	v_mov_b32_e32 v14, 0x3b800000
	v_lshlrev_b32_e32 v10, 20, v10
	v_and_b32_e32 v12, 0x80000000, v12
	v_lshl_add_u32 v11, v11, 23, v14
	v_or3_b32 v10, v12, v11, v10
.LBB28_372:
	s_or_b64 exec, exec, s[6:7]
	s_movk_i32 s4, 0xff
	v_and_b32_sdwa v11, v13, s4 dst_sel:DWORD dst_unused:UNUSED_PAD src0_sel:WORD_1 src1_sel:DWORD
	s_movk_i32 s4, 0x7f
	v_cmp_lt_i16_e32 vcc, s4, v11
	s_mov_b64 s[4:5], 0
                                        ; implicit-def: $sgpr10
	s_and_saveexec_b64 s[6:7], vcc
	s_xor_b64 s[6:7], exec, s[6:7]
	s_cbranch_execnz .LBB28_2421
; %bb.373:
	s_or_saveexec_b64 s[6:7], s[6:7]
	v_mov_b32_e32 v12, s10
	s_xor_b64 exec, exec, s[6:7]
	s_cbranch_execnz .LBB28_2424
.LBB28_374:
	s_or_b64 exec, exec, s[6:7]
	s_and_saveexec_b64 s[6:7], s[4:5]
	s_cbranch_execz .LBB28_376
.LBB28_375:
	v_bfe_u32 v11, v13, 16, 3
	v_ffbh_u32_e32 v15, v11
	v_min_u32_e32 v15, 32, v15
	v_lshrrev_b32_e32 v12, 19, v13
	v_subrev_u32_e32 v16, 28, v15
	v_and_b32_e32 v12, 15, v12
	v_lshlrev_b32_sdwa v16, v16, v13 dst_sel:DWORD dst_unused:UNUSED_PAD src0_sel:DWORD src1_sel:WORD_1
	v_bfe_u32 v14, v13, 19, 4
	v_sub_u32_e32 v15, 29, v15
	v_and_b32_e32 v16, 7, v16
	v_cmp_eq_u16_e32 vcc, 0, v12
	v_cndmask_b32_e32 v11, v11, v16, vcc
	v_cndmask_b32_e32 v12, v14, v15, vcc
	v_lshlrev_b32_e32 v14, 8, v13
	v_mov_b32_e32 v15, 0x3b800000
	v_lshlrev_b32_e32 v11, 20, v11
	v_and_b32_e32 v14, 0x80000000, v14
	v_lshl_add_u32 v12, v12, 23, v15
	v_or3_b32 v12, v14, v12, v11
.LBB28_376:
	s_or_b64 exec, exec, s[6:7]
	s_nop 0
	v_mfma_f32_16x16x4f32 a[0:3], v10, v12, a[0:3]
	s_movk_i32 s4, 0x7f
	v_cmp_gt_i16_sdwa s[6:7], v17, s4 src0_sel:BYTE_3 src1_sel:DWORD
	s_mov_b64 s[4:5], 0
                                        ; implicit-def: $sgpr10
	s_and_saveexec_b64 s[8:9], s[6:7]
	s_xor_b64 s[6:7], exec, s[8:9]
	s_cbranch_execnz .LBB28_2425
; %bb.377:
	s_or_saveexec_b64 s[6:7], s[6:7]
	v_mov_b32_e32 v10, s10
	s_xor_b64 exec, exec, s[6:7]
	s_cbranch_execnz .LBB28_2428
.LBB28_378:
	s_or_b64 exec, exec, s[6:7]
	s_and_saveexec_b64 s[6:7], s[4:5]
	s_cbranch_execz .LBB28_380
.LBB28_379:
	v_bfe_u32 v10, v17, 24, 3
	v_ffbh_u32_e32 v15, v10
	v_min_u32_e32 v15, 32, v15
	v_lshrrev_b32_e32 v12, 27, v17
	v_subrev_u32_e32 v16, 28, v15
	v_and_b32_e32 v12, 15, v12
	v_lshlrev_b32_sdwa v16, v16, v17 dst_sel:DWORD dst_unused:UNUSED_PAD src0_sel:DWORD src1_sel:BYTE_3
	v_bfe_u32 v14, v17, 27, 4
	v_sub_u32_e32 v15, 29, v15
	v_and_b32_e32 v16, 7, v16
	v_cmp_eq_u16_e32 vcc, 0, v12
	v_cndmask_b32_e32 v10, v10, v16, vcc
	v_cndmask_b32_e32 v12, v14, v15, vcc
	v_mov_b32_e32 v14, 0x3b800000
	v_and_b32_e32 v11, 0x80000000, v17
	v_lshlrev_b32_e32 v10, 20, v10
	v_lshl_add_u32 v12, v12, 23, v14
	v_or3_b32 v10, v11, v12, v10
.LBB28_380:
	s_or_b64 exec, exec, s[6:7]
	s_movk_i32 s4, 0x7f
	v_cmp_gt_i16_sdwa s[6:7], v13, s4 src0_sel:BYTE_3 src1_sel:DWORD
	s_mov_b64 s[4:5], 0
                                        ; implicit-def: $sgpr10
	s_and_saveexec_b64 s[8:9], s[6:7]
	s_xor_b64 s[6:7], exec, s[8:9]
	s_cbranch_execnz .LBB28_2429
; %bb.381:
	s_or_saveexec_b64 s[6:7], s[6:7]
	v_mov_b32_e32 v11, s10
	s_xor_b64 exec, exec, s[6:7]
	s_cbranch_execnz .LBB28_2432
.LBB28_382:
	s_or_b64 exec, exec, s[6:7]
	s_and_saveexec_b64 s[6:7], s[4:5]
	s_cbranch_execz .LBB28_384
.LBB28_383:
	v_bfe_u32 v11, v13, 24, 3
	v_ffbh_u32_e32 v16, v11
	v_min_u32_e32 v16, 32, v16
	v_lshrrev_b32_e32 v14, 27, v13
	v_subrev_u32_e32 v17, 28, v16
	v_and_b32_e32 v12, 0x80000000, v13
	v_and_b32_e32 v14, 15, v14
	v_bfe_u32 v15, v13, 27, 4
	v_lshlrev_b32_sdwa v13, v17, v13 dst_sel:DWORD dst_unused:UNUSED_PAD src0_sel:DWORD src1_sel:BYTE_3
	v_sub_u32_e32 v16, 29, v16
	v_and_b32_e32 v13, 7, v13
	v_cmp_eq_u16_e32 vcc, 0, v14
	v_cndmask_b32_e32 v11, v11, v13, vcc
	v_cndmask_b32_e32 v13, v15, v16, vcc
	v_mov_b32_e32 v14, 0x3b800000
	v_lshlrev_b32_e32 v11, 20, v11
	v_lshl_add_u32 v13, v13, 23, v14
	v_or3_b32 v11, v12, v13, v11
.LBB28_384:
	s_or_b64 exec, exec, s[6:7]
	s_nop 0
	v_mfma_f32_16x16x4f32 a[0:3], v10, v11, a[0:3]
	s_movk_i32 s4, 0x7f
	v_cmp_gt_i16_sdwa s[6:7], v6, s4 src0_sel:BYTE_0 src1_sel:DWORD
	s_mov_b64 s[4:5], 0
                                        ; implicit-def: $sgpr10
	s_and_saveexec_b64 s[8:9], s[6:7]
	s_xor_b64 s[6:7], exec, s[8:9]
	s_cbranch_execnz .LBB28_2433
; %bb.385:
	s_or_saveexec_b64 s[6:7], s[6:7]
	v_mov_b32_e32 v10, s10
	s_xor_b64 exec, exec, s[6:7]
	s_cbranch_execnz .LBB28_2436
.LBB28_386:
	s_or_b64 exec, exec, s[6:7]
	s_and_saveexec_b64 s[6:7], s[4:5]
	s_cbranch_execz .LBB28_388
.LBB28_387:
	v_and_b32_e32 v10, 7, v6
	v_ffbh_u32_e32 v12, v10
	v_min_u32_e32 v12, 32, v12
	v_lshrrev_b16_e32 v11, 3, v6
	v_subrev_u32_e32 v13, 28, v12
	v_and_b32_e32 v11, 15, v11
	v_lshlrev_b32_e32 v13, v13, v6
	v_sub_u32_e32 v12, 29, v12
	v_and_b32_e32 v13, 7, v13
	v_cmp_eq_u16_e32 vcc, 0, v11
	v_cndmask_b32_e32 v10, v10, v13, vcc
	v_cndmask_b32_e32 v11, v11, v12, vcc
	v_lshlrev_b32_e32 v12, 24, v6
	v_mov_b32_e32 v13, 0x3b800000
	v_lshlrev_b32_e32 v10, 20, v10
	v_and_b32_e32 v12, 0x80000000, v12
	v_lshl_add_u32 v11, v11, 23, v13
	v_or3_b32 v10, v12, v11, v10
.LBB28_388:
	s_or_b64 exec, exec, s[6:7]
	s_movk_i32 s4, 0x7f
	v_cmp_gt_i16_sdwa s[6:7], v2, s4 src0_sel:BYTE_0 src1_sel:DWORD
	s_mov_b64 s[4:5], 0
                                        ; implicit-def: $sgpr10
	s_and_saveexec_b64 s[8:9], s[6:7]
	s_xor_b64 s[6:7], exec, s[8:9]
	s_cbranch_execnz .LBB28_2437
; %bb.389:
	s_or_saveexec_b64 s[6:7], s[6:7]
	v_mov_b32_e32 v11, s10
	s_xor_b64 exec, exec, s[6:7]
	s_cbranch_execnz .LBB28_2440
.LBB28_390:
	s_or_b64 exec, exec, s[6:7]
	s_and_saveexec_b64 s[6:7], s[4:5]
	s_cbranch_execz .LBB28_392
.LBB28_391:
	v_and_b32_e32 v11, 7, v2
	v_ffbh_u32_e32 v13, v11
	v_min_u32_e32 v13, 32, v13
	v_lshrrev_b16_e32 v12, 3, v2
	v_subrev_u32_e32 v14, 28, v13
	v_and_b32_e32 v12, 15, v12
	v_lshlrev_b32_e32 v14, v14, v2
	v_sub_u32_e32 v13, 29, v13
	v_and_b32_e32 v14, 7, v14
	v_cmp_eq_u16_e32 vcc, 0, v12
	v_cndmask_b32_e32 v11, v11, v14, vcc
	v_cndmask_b32_e32 v12, v12, v13, vcc
	v_lshlrev_b32_e32 v13, 24, v2
	v_mov_b32_e32 v14, 0x3b800000
	v_lshlrev_b32_e32 v11, 20, v11
	v_and_b32_e32 v13, 0x80000000, v13
	v_lshl_add_u32 v12, v12, 23, v14
	v_or3_b32 v11, v13, v12, v11
.LBB28_392:
	s_or_b64 exec, exec, s[6:7]
	s_nop 0
	v_mfma_f32_16x16x4f32 a[0:3], v10, v11, a[0:3]
	v_lshrrev_b32_e32 v11, 8, v6
	s_movk_i32 s4, 0x7f
	v_cmp_gt_i16_sdwa s[6:7], v11, s4 src0_sel:BYTE_0 src1_sel:DWORD
	s_mov_b64 s[4:5], 0
                                        ; implicit-def: $sgpr10
	s_and_saveexec_b64 s[8:9], s[6:7]
	s_xor_b64 s[6:7], exec, s[8:9]
	s_cbranch_execnz .LBB28_2441
; %bb.393:
	s_or_saveexec_b64 s[6:7], s[6:7]
	v_mov_b32_e32 v10, s10
	s_xor_b64 exec, exec, s[6:7]
	s_cbranch_execnz .LBB28_2444
.LBB28_394:
	s_or_b64 exec, exec, s[6:7]
	s_and_saveexec_b64 s[6:7], s[4:5]
	s_cbranch_execz .LBB28_396
.LBB28_395:
	v_bfe_u32 v10, v6, 8, 3
	v_ffbh_u32_e32 v13, v10
	v_min_u32_e32 v13, 32, v13
	v_lshrrev_b16_e32 v12, 3, v11
	v_subrev_u32_e32 v14, 28, v13
	v_and_b32_e32 v12, 15, v12
	v_lshlrev_b32_e32 v11, v14, v11
	v_sub_u32_e32 v13, 29, v13
	v_and_b32_e32 v11, 7, v11
	v_cmp_eq_u16_e32 vcc, 0, v12
	v_cndmask_b32_e32 v10, v10, v11, vcc
	v_cndmask_b32_e32 v11, v12, v13, vcc
	v_lshlrev_b32_e32 v12, 16, v6
	v_mov_b32_e32 v13, 0x3b800000
	v_lshlrev_b32_e32 v10, 20, v10
	v_and_b32_e32 v12, 0x80000000, v12
	v_lshl_add_u32 v11, v11, 23, v13
	v_or3_b32 v10, v12, v11, v10
.LBB28_396:
	s_or_b64 exec, exec, s[6:7]
	v_lshrrev_b32_e32 v11, 8, v2
	s_movk_i32 s4, 0x7f
	v_cmp_gt_i16_sdwa s[6:7], v11, s4 src0_sel:BYTE_0 src1_sel:DWORD
	s_mov_b64 s[4:5], 0
                                        ; implicit-def: $sgpr10
	s_and_saveexec_b64 s[8:9], s[6:7]
	s_xor_b64 s[6:7], exec, s[8:9]
	s_cbranch_execnz .LBB28_2445
; %bb.397:
	s_or_saveexec_b64 s[6:7], s[6:7]
	v_mov_b32_e32 v12, s10
	s_xor_b64 exec, exec, s[6:7]
	s_cbranch_execnz .LBB28_2448
.LBB28_398:
	s_or_b64 exec, exec, s[6:7]
	s_and_saveexec_b64 s[6:7], s[4:5]
	s_cbranch_execz .LBB28_400
.LBB28_399:
	v_bfe_u32 v12, v2, 8, 3
	v_ffbh_u32_e32 v14, v12
	v_min_u32_e32 v14, 32, v14
	v_lshrrev_b16_e32 v13, 3, v11
	v_subrev_u32_e32 v15, 28, v14
	v_and_b32_e32 v13, 15, v13
	v_lshlrev_b32_e32 v11, v15, v11
	v_sub_u32_e32 v14, 29, v14
	v_and_b32_e32 v11, 7, v11
	v_cmp_eq_u16_e32 vcc, 0, v13
	v_cndmask_b32_e32 v11, v12, v11, vcc
	v_cndmask_b32_e32 v12, v13, v14, vcc
	v_lshlrev_b32_e32 v13, 16, v2
	v_mov_b32_e32 v14, 0x3b800000
	v_lshlrev_b32_e32 v11, 20, v11
	v_and_b32_e32 v13, 0x80000000, v13
	v_lshl_add_u32 v12, v12, 23, v14
	v_or3_b32 v12, v13, v12, v11
.LBB28_400:
	s_or_b64 exec, exec, s[6:7]
	s_nop 0
	v_mfma_f32_16x16x4f32 a[0:3], v10, v12, a[0:3]
	s_movk_i32 s4, 0xff
	v_and_b32_sdwa v11, v6, s4 dst_sel:DWORD dst_unused:UNUSED_PAD src0_sel:WORD_1 src1_sel:DWORD
	s_movk_i32 s4, 0x7f
	v_cmp_lt_i16_e32 vcc, s4, v11
	s_mov_b64 s[4:5], 0
                                        ; implicit-def: $sgpr10
	s_and_saveexec_b64 s[6:7], vcc
	s_xor_b64 s[6:7], exec, s[6:7]
	s_cbranch_execnz .LBB28_2449
; %bb.401:
	s_or_saveexec_b64 s[6:7], s[6:7]
	v_mov_b32_e32 v10, s10
	s_xor_b64 exec, exec, s[6:7]
	s_cbranch_execnz .LBB28_2452
.LBB28_402:
	s_or_b64 exec, exec, s[6:7]
	s_and_saveexec_b64 s[6:7], s[4:5]
	s_cbranch_execz .LBB28_404
.LBB28_403:
	v_bfe_u32 v10, v6, 16, 3
	v_ffbh_u32_e32 v13, v10
	v_min_u32_e32 v13, 32, v13
	v_lshrrev_b32_e32 v11, 19, v6
	v_subrev_u32_e32 v14, 28, v13
	v_and_b32_e32 v11, 15, v11
	v_lshlrev_b32_sdwa v14, v14, v6 dst_sel:DWORD dst_unused:UNUSED_PAD src0_sel:DWORD src1_sel:WORD_1
	v_bfe_u32 v12, v6, 19, 4
	v_sub_u32_e32 v13, 29, v13
	v_and_b32_e32 v14, 7, v14
	v_cmp_eq_u16_e32 vcc, 0, v11
	v_cndmask_b32_e32 v10, v10, v14, vcc
	v_cndmask_b32_e32 v11, v12, v13, vcc
	v_lshlrev_b32_e32 v12, 8, v6
	v_mov_b32_e32 v13, 0x3b800000
	v_lshlrev_b32_e32 v10, 20, v10
	v_and_b32_e32 v12, 0x80000000, v12
	v_lshl_add_u32 v11, v11, 23, v13
	v_or3_b32 v10, v12, v11, v10
.LBB28_404:
	s_or_b64 exec, exec, s[6:7]
	s_movk_i32 s4, 0xff
	v_and_b32_sdwa v11, v2, s4 dst_sel:DWORD dst_unused:UNUSED_PAD src0_sel:WORD_1 src1_sel:DWORD
	s_movk_i32 s4, 0x7f
	v_cmp_lt_i16_e32 vcc, s4, v11
	s_mov_b64 s[4:5], 0
                                        ; implicit-def: $sgpr10
	s_and_saveexec_b64 s[6:7], vcc
	s_xor_b64 s[6:7], exec, s[6:7]
	s_cbranch_execnz .LBB28_2453
; %bb.405:
	s_or_saveexec_b64 s[6:7], s[6:7]
	v_mov_b32_e32 v12, s10
	s_xor_b64 exec, exec, s[6:7]
	s_cbranch_execnz .LBB28_2456
.LBB28_406:
	s_or_b64 exec, exec, s[6:7]
	s_and_saveexec_b64 s[6:7], s[4:5]
	s_cbranch_execz .LBB28_408
.LBB28_407:
	v_bfe_u32 v11, v2, 16, 3
	v_ffbh_u32_e32 v14, v11
	v_min_u32_e32 v14, 32, v14
	v_lshrrev_b32_e32 v12, 19, v2
	v_subrev_u32_e32 v15, 28, v14
	v_and_b32_e32 v12, 15, v12
	v_lshlrev_b32_sdwa v15, v15, v2 dst_sel:DWORD dst_unused:UNUSED_PAD src0_sel:DWORD src1_sel:WORD_1
	v_bfe_u32 v13, v2, 19, 4
	v_sub_u32_e32 v14, 29, v14
	v_and_b32_e32 v15, 7, v15
	v_cmp_eq_u16_e32 vcc, 0, v12
	v_cndmask_b32_e32 v11, v11, v15, vcc
	v_cndmask_b32_e32 v12, v13, v14, vcc
	v_lshlrev_b32_e32 v13, 8, v2
	v_mov_b32_e32 v14, 0x3b800000
	v_lshlrev_b32_e32 v11, 20, v11
	v_and_b32_e32 v13, 0x80000000, v13
	v_lshl_add_u32 v12, v12, 23, v14
	v_or3_b32 v12, v13, v12, v11
.LBB28_408:
	s_or_b64 exec, exec, s[6:7]
	s_nop 0
	v_mfma_f32_16x16x4f32 a[0:3], v10, v12, a[0:3]
	s_movk_i32 s4, 0x7f
	v_cmp_gt_i16_sdwa s[6:7], v6, s4 src0_sel:BYTE_3 src1_sel:DWORD
	s_mov_b64 s[4:5], 0
                                        ; implicit-def: $sgpr10
	s_and_saveexec_b64 s[8:9], s[6:7]
	s_xor_b64 s[6:7], exec, s[8:9]
	s_cbranch_execnz .LBB28_2457
; %bb.409:
	s_or_saveexec_b64 s[6:7], s[6:7]
	v_mov_b32_e32 v10, s10
	s_xor_b64 exec, exec, s[6:7]
	s_cbranch_execnz .LBB28_2460
.LBB28_410:
	s_or_b64 exec, exec, s[6:7]
	s_and_saveexec_b64 s[6:7], s[4:5]
	s_cbranch_execz .LBB28_412
.LBB28_411:
	v_bfe_u32 v10, v6, 24, 3
	v_ffbh_u32_e32 v14, v10
	v_min_u32_e32 v14, 32, v14
	v_lshrrev_b32_e32 v12, 27, v6
	v_subrev_u32_e32 v15, 28, v14
	v_and_b32_e32 v11, 0x80000000, v6
	v_and_b32_e32 v12, 15, v12
	v_bfe_u32 v13, v6, 27, 4
	v_lshlrev_b32_sdwa v6, v15, v6 dst_sel:DWORD dst_unused:UNUSED_PAD src0_sel:DWORD src1_sel:BYTE_3
	v_sub_u32_e32 v14, 29, v14
	v_and_b32_e32 v6, 7, v6
	v_cmp_eq_u16_e32 vcc, 0, v12
	v_cndmask_b32_e32 v6, v10, v6, vcc
	v_cndmask_b32_e32 v10, v13, v14, vcc
	v_mov_b32_e32 v12, 0x3b800000
	v_lshlrev_b32_e32 v6, 20, v6
	v_lshl_add_u32 v10, v10, 23, v12
	v_or3_b32 v10, v11, v10, v6
.LBB28_412:
	s_or_b64 exec, exec, s[6:7]
	s_movk_i32 s4, 0x7f
	v_cmp_gt_i16_sdwa s[6:7], v2, s4 src0_sel:BYTE_3 src1_sel:DWORD
	s_mov_b64 s[4:5], 0
                                        ; implicit-def: $sgpr10
	s_and_saveexec_b64 s[8:9], s[6:7]
	s_xor_b64 s[6:7], exec, s[8:9]
	s_cbranch_execnz .LBB28_2461
; %bb.413:
	s_or_saveexec_b64 s[6:7], s[6:7]
	v_mov_b32_e32 v6, s10
	s_xor_b64 exec, exec, s[6:7]
	s_cbranch_execnz .LBB28_2464
.LBB28_414:
	s_or_b64 exec, exec, s[6:7]
	s_and_saveexec_b64 s[6:7], s[4:5]
	s_cbranch_execz .LBB28_416
.LBB28_415:
	v_bfe_u32 v6, v2, 24, 3
	v_ffbh_u32_e32 v14, v6
	v_min_u32_e32 v14, 32, v14
	v_lshrrev_b32_e32 v12, 27, v2
	v_subrev_u32_e32 v15, 28, v14
	v_and_b32_e32 v11, 0x80000000, v2
	v_and_b32_e32 v12, 15, v12
	v_bfe_u32 v13, v2, 27, 4
	v_lshlrev_b32_sdwa v2, v15, v2 dst_sel:DWORD dst_unused:UNUSED_PAD src0_sel:DWORD src1_sel:BYTE_3
	v_sub_u32_e32 v14, 29, v14
	v_and_b32_e32 v2, 7, v2
	v_cmp_eq_u16_e32 vcc, 0, v12
	v_cndmask_b32_e32 v2, v6, v2, vcc
	v_cndmask_b32_e32 v6, v13, v14, vcc
	v_mov_b32_e32 v12, 0x3b800000
	v_lshlrev_b32_e32 v2, 20, v2
	v_lshl_add_u32 v6, v6, 23, v12
	v_or3_b32 v6, v11, v6, v2
.LBB28_416:
	s_or_b64 exec, exec, s[6:7]
	s_nop 0
	v_mfma_f32_16x16x4f32 a[0:3], v10, v6, a[0:3]
	s_movk_i32 s4, 0x7f
	v_cmp_gt_i16_sdwa s[6:7], v7, s4 src0_sel:BYTE_0 src1_sel:DWORD
	s_mov_b64 s[4:5], 0
                                        ; implicit-def: $sgpr10
	s_and_saveexec_b64 s[8:9], s[6:7]
	s_xor_b64 s[6:7], exec, s[8:9]
	s_cbranch_execnz .LBB28_2465
; %bb.417:
	s_or_saveexec_b64 s[6:7], s[6:7]
	v_mov_b32_e32 v2, s10
	s_xor_b64 exec, exec, s[6:7]
	s_cbranch_execnz .LBB28_2468
.LBB28_418:
	s_or_b64 exec, exec, s[6:7]
	s_and_saveexec_b64 s[6:7], s[4:5]
	s_cbranch_execz .LBB28_420
.LBB28_419:
	v_and_b32_e32 v2, 7, v7
	v_ffbh_u32_e32 v10, v2
	v_min_u32_e32 v10, 32, v10
	v_lshrrev_b16_e32 v6, 3, v7
	v_subrev_u32_e32 v11, 28, v10
	v_and_b32_e32 v6, 15, v6
	v_lshlrev_b32_e32 v11, v11, v7
	v_sub_u32_e32 v10, 29, v10
	v_and_b32_e32 v11, 7, v11
	v_cmp_eq_u16_e32 vcc, 0, v6
	v_cndmask_b32_e32 v2, v2, v11, vcc
	v_cndmask_b32_e32 v6, v6, v10, vcc
	v_lshlrev_b32_e32 v10, 24, v7
	v_mov_b32_e32 v11, 0x3b800000
	v_lshlrev_b32_e32 v2, 20, v2
	v_and_b32_e32 v10, 0x80000000, v10
	v_lshl_add_u32 v6, v6, 23, v11
	v_or3_b32 v2, v10, v6, v2
.LBB28_420:
	s_or_b64 exec, exec, s[6:7]
	s_movk_i32 s4, 0x7f
	v_cmp_gt_i16_sdwa s[6:7], v3, s4 src0_sel:BYTE_0 src1_sel:DWORD
	s_mov_b64 s[4:5], 0
                                        ; implicit-def: $sgpr10
	s_and_saveexec_b64 s[8:9], s[6:7]
	s_xor_b64 s[6:7], exec, s[8:9]
	s_cbranch_execnz .LBB28_2469
; %bb.421:
	s_or_saveexec_b64 s[6:7], s[6:7]
	v_mov_b32_e32 v6, s10
	s_xor_b64 exec, exec, s[6:7]
	s_cbranch_execnz .LBB28_2472
.LBB28_422:
	s_or_b64 exec, exec, s[6:7]
	s_and_saveexec_b64 s[6:7], s[4:5]
	s_cbranch_execz .LBB28_424
.LBB28_423:
	v_and_b32_e32 v6, 7, v3
	v_ffbh_u32_e32 v11, v6
	v_min_u32_e32 v11, 32, v11
	v_lshrrev_b16_e32 v10, 3, v3
	v_subrev_u32_e32 v12, 28, v11
	v_and_b32_e32 v10, 15, v10
	v_lshlrev_b32_e32 v12, v12, v3
	v_sub_u32_e32 v11, 29, v11
	v_and_b32_e32 v12, 7, v12
	v_cmp_eq_u16_e32 vcc, 0, v10
	v_cndmask_b32_e32 v6, v6, v12, vcc
	v_cndmask_b32_e32 v10, v10, v11, vcc
	v_lshlrev_b32_e32 v11, 24, v3
	v_mov_b32_e32 v12, 0x3b800000
	v_lshlrev_b32_e32 v6, 20, v6
	v_and_b32_e32 v11, 0x80000000, v11
	v_lshl_add_u32 v10, v10, 23, v12
	v_or3_b32 v6, v11, v10, v6
.LBB28_424:
	s_or_b64 exec, exec, s[6:7]
	s_nop 0
	v_mfma_f32_16x16x4f32 a[0:3], v2, v6, a[0:3]
	v_lshrrev_b32_e32 v6, 8, v7
	s_movk_i32 s4, 0x7f
	v_cmp_gt_i16_sdwa s[6:7], v6, s4 src0_sel:BYTE_0 src1_sel:DWORD
	s_mov_b64 s[4:5], 0
                                        ; implicit-def: $sgpr10
	s_and_saveexec_b64 s[8:9], s[6:7]
	s_xor_b64 s[6:7], exec, s[8:9]
	s_cbranch_execnz .LBB28_2473
; %bb.425:
	s_or_saveexec_b64 s[6:7], s[6:7]
	v_mov_b32_e32 v2, s10
	s_xor_b64 exec, exec, s[6:7]
	s_cbranch_execnz .LBB28_2476
.LBB28_426:
	s_or_b64 exec, exec, s[6:7]
	s_and_saveexec_b64 s[6:7], s[4:5]
	s_cbranch_execz .LBB28_428
.LBB28_427:
	v_bfe_u32 v2, v7, 8, 3
	v_ffbh_u32_e32 v11, v2
	v_min_u32_e32 v11, 32, v11
	v_lshrrev_b16_e32 v10, 3, v6
	v_subrev_u32_e32 v12, 28, v11
	v_and_b32_e32 v10, 15, v10
	v_lshlrev_b32_e32 v6, v12, v6
	v_sub_u32_e32 v11, 29, v11
	v_and_b32_e32 v6, 7, v6
	v_cmp_eq_u16_e32 vcc, 0, v10
	v_cndmask_b32_e32 v2, v2, v6, vcc
	v_cndmask_b32_e32 v6, v10, v11, vcc
	v_lshlrev_b32_e32 v10, 16, v7
	v_mov_b32_e32 v11, 0x3b800000
	v_lshlrev_b32_e32 v2, 20, v2
	v_and_b32_e32 v10, 0x80000000, v10
	v_lshl_add_u32 v6, v6, 23, v11
	v_or3_b32 v2, v10, v6, v2
.LBB28_428:
	s_or_b64 exec, exec, s[6:7]
	v_lshrrev_b32_e32 v6, 8, v3
	s_movk_i32 s4, 0x7f
	v_cmp_gt_i16_sdwa s[6:7], v6, s4 src0_sel:BYTE_0 src1_sel:DWORD
	s_mov_b64 s[4:5], 0
                                        ; implicit-def: $sgpr10
	s_and_saveexec_b64 s[8:9], s[6:7]
	s_xor_b64 s[6:7], exec, s[8:9]
	s_cbranch_execnz .LBB28_2477
; %bb.429:
	s_or_saveexec_b64 s[6:7], s[6:7]
	v_mov_b32_e32 v10, s10
	s_xor_b64 exec, exec, s[6:7]
	s_cbranch_execnz .LBB28_2480
.LBB28_430:
	s_or_b64 exec, exec, s[6:7]
	s_and_saveexec_b64 s[6:7], s[4:5]
	s_cbranch_execz .LBB28_432
.LBB28_431:
	v_bfe_u32 v10, v3, 8, 3
	v_ffbh_u32_e32 v12, v10
	v_min_u32_e32 v12, 32, v12
	v_lshrrev_b16_e32 v11, 3, v6
	v_subrev_u32_e32 v13, 28, v12
	v_and_b32_e32 v11, 15, v11
	v_lshlrev_b32_e32 v6, v13, v6
	v_sub_u32_e32 v12, 29, v12
	v_and_b32_e32 v6, 7, v6
	v_cmp_eq_u16_e32 vcc, 0, v11
	v_cndmask_b32_e32 v6, v10, v6, vcc
	v_cndmask_b32_e32 v10, v11, v12, vcc
	v_lshlrev_b32_e32 v11, 16, v3
	v_mov_b32_e32 v12, 0x3b800000
	v_lshlrev_b32_e32 v6, 20, v6
	v_and_b32_e32 v11, 0x80000000, v11
	v_lshl_add_u32 v10, v10, 23, v12
	v_or3_b32 v10, v11, v10, v6
.LBB28_432:
	s_or_b64 exec, exec, s[6:7]
	s_nop 0
	v_mfma_f32_16x16x4f32 a[0:3], v2, v10, a[0:3]
	s_movk_i32 s4, 0xff
	v_and_b32_sdwa v6, v7, s4 dst_sel:DWORD dst_unused:UNUSED_PAD src0_sel:WORD_1 src1_sel:DWORD
	s_movk_i32 s4, 0x7f
	v_cmp_lt_i16_e32 vcc, s4, v6
	s_mov_b64 s[4:5], 0
                                        ; implicit-def: $sgpr10
	s_and_saveexec_b64 s[6:7], vcc
	s_xor_b64 s[6:7], exec, s[6:7]
	s_cbranch_execnz .LBB28_2481
; %bb.433:
	s_or_saveexec_b64 s[6:7], s[6:7]
	v_mov_b32_e32 v2, s10
	s_xor_b64 exec, exec, s[6:7]
	s_cbranch_execnz .LBB28_2484
.LBB28_434:
	s_or_b64 exec, exec, s[6:7]
	s_and_saveexec_b64 s[6:7], s[4:5]
	s_cbranch_execz .LBB28_436
.LBB28_435:
	v_bfe_u32 v2, v7, 16, 3
	v_ffbh_u32_e32 v11, v2
	v_min_u32_e32 v11, 32, v11
	v_lshrrev_b32_e32 v6, 19, v7
	v_subrev_u32_e32 v12, 28, v11
	v_and_b32_e32 v6, 15, v6
	v_lshlrev_b32_sdwa v12, v12, v7 dst_sel:DWORD dst_unused:UNUSED_PAD src0_sel:DWORD src1_sel:WORD_1
	v_bfe_u32 v10, v7, 19, 4
	v_sub_u32_e32 v11, 29, v11
	v_and_b32_e32 v12, 7, v12
	v_cmp_eq_u16_e32 vcc, 0, v6
	v_cndmask_b32_e32 v2, v2, v12, vcc
	v_cndmask_b32_e32 v6, v10, v11, vcc
	v_lshlrev_b32_e32 v10, 8, v7
	v_mov_b32_e32 v11, 0x3b800000
	v_lshlrev_b32_e32 v2, 20, v2
	v_and_b32_e32 v10, 0x80000000, v10
	v_lshl_add_u32 v6, v6, 23, v11
	v_or3_b32 v2, v10, v6, v2
.LBB28_436:
	s_or_b64 exec, exec, s[6:7]
	s_movk_i32 s4, 0xff
	v_and_b32_sdwa v6, v3, s4 dst_sel:DWORD dst_unused:UNUSED_PAD src0_sel:WORD_1 src1_sel:DWORD
	s_movk_i32 s4, 0x7f
	v_cmp_lt_i16_e32 vcc, s4, v6
	s_mov_b64 s[4:5], 0
                                        ; implicit-def: $sgpr10
	s_and_saveexec_b64 s[6:7], vcc
	s_xor_b64 s[6:7], exec, s[6:7]
	s_cbranch_execnz .LBB28_2485
; %bb.437:
	s_or_saveexec_b64 s[6:7], s[6:7]
	v_mov_b32_e32 v10, s10
	s_xor_b64 exec, exec, s[6:7]
	s_cbranch_execnz .LBB28_2488
.LBB28_438:
	s_or_b64 exec, exec, s[6:7]
	s_and_saveexec_b64 s[6:7], s[4:5]
	s_cbranch_execz .LBB28_440
.LBB28_439:
	v_bfe_u32 v6, v3, 16, 3
	v_ffbh_u32_e32 v12, v6
	v_min_u32_e32 v12, 32, v12
	v_lshrrev_b32_e32 v10, 19, v3
	v_subrev_u32_e32 v13, 28, v12
	v_and_b32_e32 v10, 15, v10
	v_lshlrev_b32_sdwa v13, v13, v3 dst_sel:DWORD dst_unused:UNUSED_PAD src0_sel:DWORD src1_sel:WORD_1
	v_bfe_u32 v11, v3, 19, 4
	v_sub_u32_e32 v12, 29, v12
	v_and_b32_e32 v13, 7, v13
	v_cmp_eq_u16_e32 vcc, 0, v10
	v_cndmask_b32_e32 v6, v6, v13, vcc
	v_cndmask_b32_e32 v10, v11, v12, vcc
	v_lshlrev_b32_e32 v11, 8, v3
	v_mov_b32_e32 v12, 0x3b800000
	v_lshlrev_b32_e32 v6, 20, v6
	v_and_b32_e32 v11, 0x80000000, v11
	v_lshl_add_u32 v10, v10, 23, v12
	v_or3_b32 v10, v11, v10, v6
.LBB28_440:
	s_or_b64 exec, exec, s[6:7]
	s_nop 0
	v_mfma_f32_16x16x4f32 a[0:3], v2, v10, a[0:3]
	s_movk_i32 s4, 0x7f
	v_cmp_gt_i16_sdwa s[6:7], v7, s4 src0_sel:BYTE_3 src1_sel:DWORD
	s_mov_b64 s[4:5], 0
                                        ; implicit-def: $sgpr10
	s_and_saveexec_b64 s[8:9], s[6:7]
	s_xor_b64 s[6:7], exec, s[8:9]
	s_cbranch_execnz .LBB28_2489
; %bb.441:
	s_or_saveexec_b64 s[6:7], s[6:7]
	v_mov_b32_e32 v2, s10
	s_xor_b64 exec, exec, s[6:7]
	s_cbranch_execnz .LBB28_2492
.LBB28_442:
	s_or_b64 exec, exec, s[6:7]
	s_and_saveexec_b64 s[6:7], s[4:5]
	s_cbranch_execz .LBB28_444
.LBB28_443:
	v_bfe_u32 v2, v7, 24, 3
	v_ffbh_u32_e32 v12, v2
	v_min_u32_e32 v12, 32, v12
	v_lshrrev_b32_e32 v10, 27, v7
	v_subrev_u32_e32 v13, 28, v12
	v_and_b32_e32 v6, 0x80000000, v7
	v_and_b32_e32 v10, 15, v10
	v_bfe_u32 v11, v7, 27, 4
	v_lshlrev_b32_sdwa v7, v13, v7 dst_sel:DWORD dst_unused:UNUSED_PAD src0_sel:DWORD src1_sel:BYTE_3
	v_sub_u32_e32 v12, 29, v12
	v_and_b32_e32 v7, 7, v7
	v_cmp_eq_u16_e32 vcc, 0, v10
	v_cndmask_b32_e32 v2, v2, v7, vcc
	v_cndmask_b32_e32 v7, v11, v12, vcc
	v_mov_b32_e32 v10, 0x3b800000
	v_lshlrev_b32_e32 v2, 20, v2
	v_lshl_add_u32 v7, v7, 23, v10
	v_or3_b32 v2, v6, v7, v2
.LBB28_444:
	s_or_b64 exec, exec, s[6:7]
	s_movk_i32 s4, 0x7f
	v_cmp_gt_i16_sdwa s[6:7], v3, s4 src0_sel:BYTE_3 src1_sel:DWORD
	s_mov_b64 s[4:5], 0
                                        ; implicit-def: $sgpr10
	s_and_saveexec_b64 s[8:9], s[6:7]
	s_xor_b64 s[6:7], exec, s[8:9]
	s_cbranch_execnz .LBB28_2493
; %bb.445:
	s_or_saveexec_b64 s[6:7], s[6:7]
	v_mov_b32_e32 v6, s10
	s_xor_b64 exec, exec, s[6:7]
	s_cbranch_execnz .LBB28_2496
.LBB28_446:
	s_or_b64 exec, exec, s[6:7]
	s_and_saveexec_b64 s[6:7], s[4:5]
	s_cbranch_execz .LBB28_448
.LBB28_447:
	v_bfe_u32 v6, v3, 24, 3
	v_ffbh_u32_e32 v12, v6
	v_min_u32_e32 v12, 32, v12
	v_lshrrev_b32_e32 v10, 27, v3
	v_subrev_u32_e32 v13, 28, v12
	v_and_b32_e32 v7, 0x80000000, v3
	v_and_b32_e32 v10, 15, v10
	v_bfe_u32 v11, v3, 27, 4
	v_lshlrev_b32_sdwa v3, v13, v3 dst_sel:DWORD dst_unused:UNUSED_PAD src0_sel:DWORD src1_sel:BYTE_3
	v_sub_u32_e32 v12, 29, v12
	v_and_b32_e32 v3, 7, v3
	v_cmp_eq_u16_e32 vcc, 0, v10
	v_cndmask_b32_e32 v3, v6, v3, vcc
	v_cndmask_b32_e32 v6, v11, v12, vcc
	v_mov_b32_e32 v10, 0x3b800000
	v_lshlrev_b32_e32 v3, 20, v3
	v_lshl_add_u32 v6, v6, 23, v10
	v_or3_b32 v6, v7, v6, v3
.LBB28_448:
	s_or_b64 exec, exec, s[6:7]
	s_nop 0
	v_mfma_f32_16x16x4f32 a[0:3], v2, v6, a[0:3]
	s_movk_i32 s4, 0x7f
	v_cmp_gt_i16_sdwa s[6:7], v8, s4 src0_sel:BYTE_0 src1_sel:DWORD
	s_mov_b64 s[4:5], 0
                                        ; implicit-def: $sgpr10
	s_and_saveexec_b64 s[8:9], s[6:7]
	s_xor_b64 s[6:7], exec, s[8:9]
	s_cbranch_execnz .LBB28_2497
; %bb.449:
	s_or_saveexec_b64 s[6:7], s[6:7]
	v_mov_b32_e32 v2, s10
	s_xor_b64 exec, exec, s[6:7]
	s_cbranch_execnz .LBB28_2500
.LBB28_450:
	s_or_b64 exec, exec, s[6:7]
	s_and_saveexec_b64 s[6:7], s[4:5]
	s_cbranch_execz .LBB28_452
.LBB28_451:
	v_and_b32_e32 v2, 7, v8
	v_ffbh_u32_e32 v6, v2
	v_min_u32_e32 v6, 32, v6
	v_lshrrev_b16_e32 v3, 3, v8
	v_subrev_u32_e32 v7, 28, v6
	v_and_b32_e32 v3, 15, v3
	v_lshlrev_b32_e32 v7, v7, v8
	v_sub_u32_e32 v6, 29, v6
	v_and_b32_e32 v7, 7, v7
	v_cmp_eq_u16_e32 vcc, 0, v3
	v_cndmask_b32_e32 v2, v2, v7, vcc
	v_cndmask_b32_e32 v3, v3, v6, vcc
	v_lshlrev_b32_e32 v6, 24, v8
	v_mov_b32_e32 v7, 0x3b800000
	v_lshlrev_b32_e32 v2, 20, v2
	v_and_b32_e32 v6, 0x80000000, v6
	v_lshl_add_u32 v3, v3, 23, v7
	v_or3_b32 v2, v6, v3, v2
.LBB28_452:
	s_or_b64 exec, exec, s[6:7]
	s_movk_i32 s4, 0x7f
	v_cmp_gt_i16_sdwa s[6:7], v4, s4 src0_sel:BYTE_0 src1_sel:DWORD
	s_mov_b64 s[4:5], 0
                                        ; implicit-def: $sgpr10
	s_and_saveexec_b64 s[8:9], s[6:7]
	s_xor_b64 s[6:7], exec, s[8:9]
	s_cbranch_execnz .LBB28_2501
; %bb.453:
	s_or_saveexec_b64 s[6:7], s[6:7]
	v_mov_b32_e32 v3, s10
	s_xor_b64 exec, exec, s[6:7]
	s_cbranch_execnz .LBB28_2504
.LBB28_454:
	s_or_b64 exec, exec, s[6:7]
	s_and_saveexec_b64 s[6:7], s[4:5]
	s_cbranch_execz .LBB28_456
.LBB28_455:
	v_and_b32_e32 v3, 7, v4
	v_ffbh_u32_e32 v7, v3
	v_min_u32_e32 v7, 32, v7
	v_lshrrev_b16_e32 v6, 3, v4
	v_subrev_u32_e32 v10, 28, v7
	v_and_b32_e32 v6, 15, v6
	v_lshlrev_b32_e32 v10, v10, v4
	v_sub_u32_e32 v7, 29, v7
	v_and_b32_e32 v10, 7, v10
	v_cmp_eq_u16_e32 vcc, 0, v6
	v_cndmask_b32_e32 v3, v3, v10, vcc
	v_cndmask_b32_e32 v6, v6, v7, vcc
	v_lshlrev_b32_e32 v7, 24, v4
	v_mov_b32_e32 v10, 0x3b800000
	v_lshlrev_b32_e32 v3, 20, v3
	v_and_b32_e32 v7, 0x80000000, v7
	v_lshl_add_u32 v6, v6, 23, v10
	v_or3_b32 v3, v7, v6, v3
.LBB28_456:
	s_or_b64 exec, exec, s[6:7]
	s_nop 0
	v_mfma_f32_16x16x4f32 a[0:3], v2, v3, a[0:3]
	v_lshrrev_b32_e32 v3, 8, v8
	s_movk_i32 s4, 0x7f
	v_cmp_gt_i16_sdwa s[6:7], v3, s4 src0_sel:BYTE_0 src1_sel:DWORD
	s_mov_b64 s[4:5], 0
                                        ; implicit-def: $sgpr10
	s_and_saveexec_b64 s[8:9], s[6:7]
	s_xor_b64 s[6:7], exec, s[8:9]
	s_cbranch_execnz .LBB28_2505
; %bb.457:
	s_or_saveexec_b64 s[6:7], s[6:7]
	v_mov_b32_e32 v2, s10
	s_xor_b64 exec, exec, s[6:7]
	s_cbranch_execnz .LBB28_2508
.LBB28_458:
	s_or_b64 exec, exec, s[6:7]
	s_and_saveexec_b64 s[6:7], s[4:5]
	s_cbranch_execz .LBB28_460
.LBB28_459:
	v_bfe_u32 v2, v8, 8, 3
	v_ffbh_u32_e32 v7, v2
	v_min_u32_e32 v7, 32, v7
	v_lshrrev_b16_e32 v6, 3, v3
	v_subrev_u32_e32 v10, 28, v7
	v_and_b32_e32 v6, 15, v6
	v_lshlrev_b32_e32 v3, v10, v3
	v_sub_u32_e32 v7, 29, v7
	v_and_b32_e32 v3, 7, v3
	v_cmp_eq_u16_e32 vcc, 0, v6
	v_cndmask_b32_e32 v2, v2, v3, vcc
	v_cndmask_b32_e32 v3, v6, v7, vcc
	v_lshlrev_b32_e32 v6, 16, v8
	v_mov_b32_e32 v7, 0x3b800000
	v_lshlrev_b32_e32 v2, 20, v2
	v_and_b32_e32 v6, 0x80000000, v6
	v_lshl_add_u32 v3, v3, 23, v7
	v_or3_b32 v2, v6, v3, v2
.LBB28_460:
	s_or_b64 exec, exec, s[6:7]
	v_lshrrev_b32_e32 v3, 8, v4
	s_movk_i32 s4, 0x7f
	v_cmp_gt_i16_sdwa s[6:7], v3, s4 src0_sel:BYTE_0 src1_sel:DWORD
	s_mov_b64 s[4:5], 0
                                        ; implicit-def: $sgpr10
	s_and_saveexec_b64 s[8:9], s[6:7]
	s_xor_b64 s[6:7], exec, s[8:9]
	s_cbranch_execnz .LBB28_2509
; %bb.461:
	s_or_saveexec_b64 s[6:7], s[6:7]
	v_mov_b32_e32 v6, s10
	s_xor_b64 exec, exec, s[6:7]
	s_cbranch_execnz .LBB28_2512
.LBB28_462:
	s_or_b64 exec, exec, s[6:7]
	s_and_saveexec_b64 s[6:7], s[4:5]
	s_cbranch_execz .LBB28_464
.LBB28_463:
	v_bfe_u32 v6, v4, 8, 3
	v_ffbh_u32_e32 v10, v6
	v_min_u32_e32 v10, 32, v10
	v_lshrrev_b16_e32 v7, 3, v3
	v_subrev_u32_e32 v11, 28, v10
	v_and_b32_e32 v7, 15, v7
	v_lshlrev_b32_e32 v3, v11, v3
	v_sub_u32_e32 v10, 29, v10
	v_and_b32_e32 v3, 7, v3
	v_cmp_eq_u16_e32 vcc, 0, v7
	v_cndmask_b32_e32 v3, v6, v3, vcc
	v_cndmask_b32_e32 v6, v7, v10, vcc
	v_lshlrev_b32_e32 v7, 16, v4
	v_mov_b32_e32 v10, 0x3b800000
	v_lshlrev_b32_e32 v3, 20, v3
	v_and_b32_e32 v7, 0x80000000, v7
	v_lshl_add_u32 v6, v6, 23, v10
	v_or3_b32 v6, v7, v6, v3
.LBB28_464:
	s_or_b64 exec, exec, s[6:7]
	s_nop 0
	v_mfma_f32_16x16x4f32 a[0:3], v2, v6, a[0:3]
	s_movk_i32 s4, 0xff
	v_and_b32_sdwa v3, v8, s4 dst_sel:DWORD dst_unused:UNUSED_PAD src0_sel:WORD_1 src1_sel:DWORD
	s_movk_i32 s4, 0x7f
	v_cmp_lt_i16_e32 vcc, s4, v3
	s_mov_b64 s[4:5], 0
                                        ; implicit-def: $sgpr10
	s_and_saveexec_b64 s[6:7], vcc
	s_xor_b64 s[6:7], exec, s[6:7]
	s_cbranch_execnz .LBB28_2513
; %bb.465:
	s_or_saveexec_b64 s[6:7], s[6:7]
	v_mov_b32_e32 v2, s10
	s_xor_b64 exec, exec, s[6:7]
	s_cbranch_execnz .LBB28_2516
.LBB28_466:
	s_or_b64 exec, exec, s[6:7]
	s_and_saveexec_b64 s[6:7], s[4:5]
	s_cbranch_execz .LBB28_468
.LBB28_467:
	v_bfe_u32 v2, v8, 16, 3
	v_ffbh_u32_e32 v7, v2
	v_min_u32_e32 v7, 32, v7
	v_lshrrev_b32_e32 v3, 19, v8
	v_subrev_u32_e32 v10, 28, v7
	v_and_b32_e32 v3, 15, v3
	v_lshlrev_b32_sdwa v10, v10, v8 dst_sel:DWORD dst_unused:UNUSED_PAD src0_sel:DWORD src1_sel:WORD_1
	v_bfe_u32 v6, v8, 19, 4
	v_sub_u32_e32 v7, 29, v7
	v_and_b32_e32 v10, 7, v10
	v_cmp_eq_u16_e32 vcc, 0, v3
	v_cndmask_b32_e32 v2, v2, v10, vcc
	v_cndmask_b32_e32 v3, v6, v7, vcc
	v_lshlrev_b32_e32 v6, 8, v8
	v_mov_b32_e32 v7, 0x3b800000
	v_lshlrev_b32_e32 v2, 20, v2
	v_and_b32_e32 v6, 0x80000000, v6
	v_lshl_add_u32 v3, v3, 23, v7
	v_or3_b32 v2, v6, v3, v2
.LBB28_468:
	s_or_b64 exec, exec, s[6:7]
	s_movk_i32 s4, 0xff
	v_and_b32_sdwa v3, v4, s4 dst_sel:DWORD dst_unused:UNUSED_PAD src0_sel:WORD_1 src1_sel:DWORD
	s_movk_i32 s4, 0x7f
	v_cmp_lt_i16_e32 vcc, s4, v3
	s_mov_b64 s[4:5], 0
                                        ; implicit-def: $sgpr10
	s_and_saveexec_b64 s[6:7], vcc
	s_xor_b64 s[6:7], exec, s[6:7]
	s_cbranch_execnz .LBB28_2517
; %bb.469:
	s_or_saveexec_b64 s[6:7], s[6:7]
	v_mov_b32_e32 v6, s10
	s_xor_b64 exec, exec, s[6:7]
	s_cbranch_execnz .LBB28_2520
.LBB28_470:
	s_or_b64 exec, exec, s[6:7]
	s_and_saveexec_b64 s[6:7], s[4:5]
	s_cbranch_execz .LBB28_472
.LBB28_471:
	v_bfe_u32 v3, v4, 16, 3
	v_ffbh_u32_e32 v10, v3
	v_min_u32_e32 v10, 32, v10
	v_lshrrev_b32_e32 v6, 19, v4
	v_subrev_u32_e32 v11, 28, v10
	v_and_b32_e32 v6, 15, v6
	v_lshlrev_b32_sdwa v11, v11, v4 dst_sel:DWORD dst_unused:UNUSED_PAD src0_sel:DWORD src1_sel:WORD_1
	v_bfe_u32 v7, v4, 19, 4
	v_sub_u32_e32 v10, 29, v10
	v_and_b32_e32 v11, 7, v11
	v_cmp_eq_u16_e32 vcc, 0, v6
	v_cndmask_b32_e32 v3, v3, v11, vcc
	v_cndmask_b32_e32 v6, v7, v10, vcc
	v_lshlrev_b32_e32 v7, 8, v4
	v_mov_b32_e32 v10, 0x3b800000
	v_lshlrev_b32_e32 v3, 20, v3
	v_and_b32_e32 v7, 0x80000000, v7
	v_lshl_add_u32 v6, v6, 23, v10
	v_or3_b32 v6, v7, v6, v3
.LBB28_472:
	s_or_b64 exec, exec, s[6:7]
	s_nop 0
	v_mfma_f32_16x16x4f32 a[0:3], v2, v6, a[0:3]
	s_movk_i32 s4, 0x7f
	v_cmp_gt_i16_sdwa s[6:7], v8, s4 src0_sel:BYTE_3 src1_sel:DWORD
	s_mov_b64 s[4:5], 0
                                        ; implicit-def: $sgpr10
	s_and_saveexec_b64 s[8:9], s[6:7]
	s_xor_b64 s[6:7], exec, s[8:9]
	s_cbranch_execnz .LBB28_2521
; %bb.473:
	s_or_saveexec_b64 s[6:7], s[6:7]
	v_mov_b32_e32 v2, s10
	s_xor_b64 exec, exec, s[6:7]
	s_cbranch_execnz .LBB28_2524
.LBB28_474:
	s_or_b64 exec, exec, s[6:7]
	s_and_saveexec_b64 s[6:7], s[4:5]
	s_cbranch_execz .LBB28_476
.LBB28_475:
	v_bfe_u32 v2, v8, 24, 3
	v_ffbh_u32_e32 v10, v2
	v_min_u32_e32 v10, 32, v10
	v_lshrrev_b32_e32 v6, 27, v8
	v_subrev_u32_e32 v11, 28, v10
	v_and_b32_e32 v3, 0x80000000, v8
	v_and_b32_e32 v6, 15, v6
	v_bfe_u32 v7, v8, 27, 4
	v_lshlrev_b32_sdwa v8, v11, v8 dst_sel:DWORD dst_unused:UNUSED_PAD src0_sel:DWORD src1_sel:BYTE_3
	v_sub_u32_e32 v10, 29, v10
	v_and_b32_e32 v8, 7, v8
	v_cmp_eq_u16_e32 vcc, 0, v6
	v_cndmask_b32_e32 v2, v2, v8, vcc
	v_cndmask_b32_e32 v6, v7, v10, vcc
	v_mov_b32_e32 v7, 0x3b800000
	v_lshlrev_b32_e32 v2, 20, v2
	v_lshl_add_u32 v6, v6, 23, v7
	v_or3_b32 v2, v3, v6, v2
.LBB28_476:
	s_or_b64 exec, exec, s[6:7]
	s_movk_i32 s4, 0x7f
	v_cmp_gt_i16_sdwa s[6:7], v4, s4 src0_sel:BYTE_3 src1_sel:DWORD
	s_mov_b64 s[4:5], 0
                                        ; implicit-def: $sgpr10
	s_and_saveexec_b64 s[8:9], s[6:7]
	s_xor_b64 s[6:7], exec, s[8:9]
	s_cbranch_execnz .LBB28_2525
; %bb.477:
	s_or_saveexec_b64 s[6:7], s[6:7]
	v_mov_b32_e32 v3, s10
	s_xor_b64 exec, exec, s[6:7]
	s_cbranch_execnz .LBB28_2528
.LBB28_478:
	s_or_b64 exec, exec, s[6:7]
	s_and_saveexec_b64 s[6:7], s[4:5]
	s_cbranch_execz .LBB28_480
.LBB28_479:
	v_bfe_u32 v3, v4, 24, 3
	v_ffbh_u32_e32 v10, v3
	v_min_u32_e32 v10, 32, v10
	v_lshrrev_b32_e32 v7, 27, v4
	v_subrev_u32_e32 v11, 28, v10
	v_and_b32_e32 v6, 0x80000000, v4
	v_and_b32_e32 v7, 15, v7
	v_bfe_u32 v8, v4, 27, 4
	v_lshlrev_b32_sdwa v4, v11, v4 dst_sel:DWORD dst_unused:UNUSED_PAD src0_sel:DWORD src1_sel:BYTE_3
	v_sub_u32_e32 v10, 29, v10
	v_and_b32_e32 v4, 7, v4
	v_cmp_eq_u16_e32 vcc, 0, v7
	v_cndmask_b32_e32 v3, v3, v4, vcc
	v_cndmask_b32_e32 v4, v8, v10, vcc
	v_mov_b32_e32 v7, 0x3b800000
	v_lshlrev_b32_e32 v3, 20, v3
	v_lshl_add_u32 v4, v4, 23, v7
	v_or3_b32 v3, v6, v4, v3
.LBB28_480:
	s_or_b64 exec, exec, s[6:7]
	s_nop 0
	v_mfma_f32_16x16x4f32 a[0:3], v2, v3, a[0:3]
	s_movk_i32 s4, 0x7f
	v_cmp_gt_i16_sdwa s[6:7], v9, s4 src0_sel:BYTE_0 src1_sel:DWORD
	s_mov_b64 s[4:5], 0
                                        ; implicit-def: $sgpr10
	s_and_saveexec_b64 s[8:9], s[6:7]
	s_xor_b64 s[6:7], exec, s[8:9]
	s_cbranch_execnz .LBB28_2529
; %bb.481:
	s_or_saveexec_b64 s[6:7], s[6:7]
	v_mov_b32_e32 v2, s10
	s_xor_b64 exec, exec, s[6:7]
	s_cbranch_execnz .LBB28_2532
.LBB28_482:
	s_or_b64 exec, exec, s[6:7]
	s_and_saveexec_b64 s[6:7], s[4:5]
	s_cbranch_execz .LBB28_484
.LBB28_483:
	v_mov_b32_e32 v2, 8
	v_and_b32_e32 v3, 7, v9
	v_lshrrev_b32_sdwa v2, v2, v9 dst_sel:BYTE_1 dst_unused:UNUSED_PAD src0_sel:DWORD src1_sel:DWORD
	v_ffbh_u32_e32 v4, v3
	v_or_b32_sdwa v2, v9, v2 dst_sel:DWORD dst_unused:UNUSED_PAD src0_sel:BYTE_0 src1_sel:DWORD
	v_min_u32_e32 v4, 32, v4
	v_lshrrev_b16_e32 v2, 3, v2
	v_subrev_u32_e32 v6, 28, v4
	v_and_b32_e32 v2, 15, v2
	v_lshlrev_b32_e32 v6, v6, v9
	v_sub_u32_e32 v4, 29, v4
	v_and_b32_e32 v6, 7, v6
	v_cmp_eq_u16_e32 vcc, 0, v2
	v_cndmask_b32_e32 v3, v3, v6, vcc
	v_cndmask_b32_e32 v2, v2, v4, vcc
	v_lshlrev_b32_e32 v4, 24, v9
	v_mov_b32_e32 v6, 0x3b800000
	v_lshlrev_b32_e32 v3, 20, v3
	v_and_b32_e32 v4, 0x80000000, v4
	v_lshl_add_u32 v2, v2, 23, v6
	v_or3_b32 v2, v4, v2, v3
.LBB28_484:
	s_or_b64 exec, exec, s[6:7]
	s_movk_i32 s4, 0x7f
	v_cmp_gt_i16_sdwa s[6:7], v5, s4 src0_sel:BYTE_0 src1_sel:DWORD
	s_mov_b64 s[4:5], 0
                                        ; implicit-def: $sgpr10
	s_and_saveexec_b64 s[8:9], s[6:7]
	s_xor_b64 s[6:7], exec, s[8:9]
	s_cbranch_execnz .LBB28_2533
; %bb.485:
	s_or_saveexec_b64 s[6:7], s[6:7]
	v_mov_b32_e32 v3, s10
	s_xor_b64 exec, exec, s[6:7]
	s_cbranch_execnz .LBB28_2536
.LBB28_486:
	s_or_b64 exec, exec, s[6:7]
	s_and_saveexec_b64 s[6:7], s[4:5]
	s_cbranch_execz .LBB28_488
.LBB28_487:
	v_mov_b32_e32 v3, 8
	v_and_b32_e32 v4, 7, v5
	v_lshrrev_b32_sdwa v3, v3, v5 dst_sel:BYTE_1 dst_unused:UNUSED_PAD src0_sel:DWORD src1_sel:DWORD
	v_ffbh_u32_e32 v6, v4
	v_or_b32_sdwa v3, v5, v3 dst_sel:DWORD dst_unused:UNUSED_PAD src0_sel:BYTE_0 src1_sel:DWORD
	v_min_u32_e32 v6, 32, v6
	v_lshrrev_b16_e32 v3, 3, v3
	v_subrev_u32_e32 v7, 28, v6
	v_and_b32_e32 v3, 15, v3
	v_lshlrev_b32_e32 v7, v7, v5
	v_sub_u32_e32 v6, 29, v6
	v_and_b32_e32 v7, 7, v7
	v_cmp_eq_u16_e32 vcc, 0, v3
	v_cndmask_b32_e32 v4, v4, v7, vcc
	v_cndmask_b32_e32 v3, v3, v6, vcc
	v_lshlrev_b32_e32 v6, 24, v5
	v_mov_b32_e32 v7, 0x3b800000
	v_lshlrev_b32_e32 v4, 20, v4
	v_and_b32_e32 v6, 0x80000000, v6
	v_lshl_add_u32 v3, v3, 23, v7
	v_or3_b32 v3, v6, v3, v4
.LBB28_488:
	s_or_b64 exec, exec, s[6:7]
	s_nop 0
	v_mfma_f32_16x16x4f32 a[0:3], v2, v3, a[0:3]
	v_lshrrev_b32_e32 v3, 8, v9
	s_movk_i32 s4, 0x7f
	v_cmp_gt_i16_sdwa s[6:7], v3, s4 src0_sel:BYTE_0 src1_sel:DWORD
	s_mov_b64 s[4:5], 0
                                        ; implicit-def: $sgpr10
	s_and_saveexec_b64 s[8:9], s[6:7]
	s_xor_b64 s[6:7], exec, s[8:9]
	s_cbranch_execnz .LBB28_2537
; %bb.489:
	s_or_saveexec_b64 s[6:7], s[6:7]
	v_mov_b32_e32 v2, s10
	s_xor_b64 exec, exec, s[6:7]
	s_cbranch_execnz .LBB28_2540
.LBB28_490:
	s_or_b64 exec, exec, s[6:7]
	s_and_saveexec_b64 s[6:7], s[4:5]
	s_cbranch_execz .LBB28_492
.LBB28_491:
	v_bfe_u32 v2, v9, 8, 3
	v_ffbh_u32_e32 v6, v2
	v_min_u32_e32 v6, 32, v6
	v_lshrrev_b16_e32 v4, 3, v3
	v_subrev_u32_e32 v7, 28, v6
	v_and_b32_e32 v4, 15, v4
	v_lshlrev_b32_e32 v3, v7, v3
	v_sub_u32_e32 v6, 29, v6
	v_and_b32_e32 v3, 7, v3
	v_cmp_eq_u16_e32 vcc, 0, v4
	v_cndmask_b32_e32 v2, v2, v3, vcc
	v_cndmask_b32_e32 v3, v4, v6, vcc
	v_lshlrev_b32_e32 v4, 16, v9
	v_mov_b32_e32 v6, 0x3b800000
	v_lshlrev_b32_e32 v2, 20, v2
	v_and_b32_e32 v4, 0x80000000, v4
	v_lshl_add_u32 v3, v3, 23, v6
	v_or3_b32 v2, v4, v3, v2
.LBB28_492:
	s_or_b64 exec, exec, s[6:7]
	v_lshrrev_b32_e32 v3, 8, v5
	s_movk_i32 s4, 0x7f
	v_cmp_gt_i16_sdwa s[6:7], v3, s4 src0_sel:BYTE_0 src1_sel:DWORD
	s_mov_b64 s[4:5], 0
                                        ; implicit-def: $sgpr10
	s_and_saveexec_b64 s[8:9], s[6:7]
	s_xor_b64 s[6:7], exec, s[8:9]
	s_cbranch_execnz .LBB28_2541
; %bb.493:
	s_or_saveexec_b64 s[6:7], s[6:7]
	v_mov_b32_e32 v4, s10
	s_xor_b64 exec, exec, s[6:7]
	s_cbranch_execnz .LBB28_2544
.LBB28_494:
	s_or_b64 exec, exec, s[6:7]
	s_and_saveexec_b64 s[6:7], s[4:5]
	s_cbranch_execz .LBB28_496
.LBB28_495:
	v_bfe_u32 v4, v5, 8, 3
	v_ffbh_u32_e32 v7, v4
	v_min_u32_e32 v7, 32, v7
	v_lshrrev_b16_e32 v6, 3, v3
	v_subrev_u32_e32 v8, 28, v7
	v_and_b32_e32 v6, 15, v6
	v_lshlrev_b32_e32 v3, v8, v3
	v_sub_u32_e32 v7, 29, v7
	v_and_b32_e32 v3, 7, v3
	v_cmp_eq_u16_e32 vcc, 0, v6
	v_cndmask_b32_e32 v3, v4, v3, vcc
	v_cndmask_b32_e32 v4, v6, v7, vcc
	v_lshlrev_b32_e32 v6, 16, v5
	v_mov_b32_e32 v7, 0x3b800000
	v_lshlrev_b32_e32 v3, 20, v3
	v_and_b32_e32 v6, 0x80000000, v6
	v_lshl_add_u32 v4, v4, 23, v7
	v_or3_b32 v4, v6, v4, v3
.LBB28_496:
	s_or_b64 exec, exec, s[6:7]
	s_nop 0
	v_mfma_f32_16x16x4f32 a[0:3], v2, v4, a[0:3]
	s_movk_i32 s4, 0xff
	v_and_b32_sdwa v3, v9, s4 dst_sel:DWORD dst_unused:UNUSED_PAD src0_sel:WORD_1 src1_sel:DWORD
	s_movk_i32 s4, 0x7f
	v_cmp_lt_i16_e32 vcc, s4, v3
	s_mov_b64 s[4:5], 0
                                        ; implicit-def: $sgpr10
	s_and_saveexec_b64 s[6:7], vcc
	s_xor_b64 s[6:7], exec, s[6:7]
	s_cbranch_execnz .LBB28_2545
; %bb.497:
	s_or_saveexec_b64 s[6:7], s[6:7]
	v_mov_b32_e32 v2, s10
	s_xor_b64 exec, exec, s[6:7]
	s_cbranch_execnz .LBB28_2548
.LBB28_498:
	s_or_b64 exec, exec, s[6:7]
	s_and_saveexec_b64 s[6:7], s[4:5]
	s_cbranch_execz .LBB28_500
.LBB28_499:
	v_bfe_u32 v2, v9, 16, 3
	v_ffbh_u32_e32 v6, v2
	v_min_u32_e32 v6, 32, v6
	v_lshrrev_b32_e32 v3, 19, v9
	v_subrev_u32_e32 v7, 28, v6
	v_and_b32_e32 v3, 15, v3
	v_lshlrev_b32_sdwa v7, v7, v9 dst_sel:DWORD dst_unused:UNUSED_PAD src0_sel:DWORD src1_sel:WORD_1
	v_bfe_u32 v4, v9, 19, 4
	v_sub_u32_e32 v6, 29, v6
	v_and_b32_e32 v7, 7, v7
	v_cmp_eq_u16_e32 vcc, 0, v3
	v_cndmask_b32_e32 v2, v2, v7, vcc
	v_cndmask_b32_e32 v3, v4, v6, vcc
	v_lshlrev_b32_e32 v4, 8, v9
	v_mov_b32_e32 v6, 0x3b800000
	v_lshlrev_b32_e32 v2, 20, v2
	v_and_b32_e32 v4, 0x80000000, v4
	v_lshl_add_u32 v3, v3, 23, v6
	v_or3_b32 v2, v4, v3, v2
.LBB28_500:
	s_or_b64 exec, exec, s[6:7]
	s_movk_i32 s4, 0xff
	v_and_b32_sdwa v3, v5, s4 dst_sel:DWORD dst_unused:UNUSED_PAD src0_sel:WORD_1 src1_sel:DWORD
	s_movk_i32 s4, 0x7f
	v_cmp_lt_i16_e32 vcc, s4, v3
	s_mov_b64 s[4:5], 0
                                        ; implicit-def: $sgpr10
	s_and_saveexec_b64 s[6:7], vcc
	s_xor_b64 s[6:7], exec, s[6:7]
	s_cbranch_execnz .LBB28_2549
; %bb.501:
	s_or_saveexec_b64 s[6:7], s[6:7]
	v_mov_b32_e32 v4, s10
	s_xor_b64 exec, exec, s[6:7]
	s_cbranch_execnz .LBB28_2552
.LBB28_502:
	s_or_b64 exec, exec, s[6:7]
	s_and_saveexec_b64 s[6:7], s[4:5]
	s_cbranch_execz .LBB28_504
.LBB28_503:
	v_bfe_u32 v3, v5, 16, 3
	v_ffbh_u32_e32 v7, v3
	v_min_u32_e32 v7, 32, v7
	v_lshrrev_b32_e32 v4, 19, v5
	v_subrev_u32_e32 v8, 28, v7
	v_and_b32_e32 v4, 15, v4
	v_lshlrev_b32_sdwa v8, v8, v5 dst_sel:DWORD dst_unused:UNUSED_PAD src0_sel:DWORD src1_sel:WORD_1
	v_bfe_u32 v6, v5, 19, 4
	v_sub_u32_e32 v7, 29, v7
	v_and_b32_e32 v8, 7, v8
	v_cmp_eq_u16_e32 vcc, 0, v4
	v_cndmask_b32_e32 v3, v3, v8, vcc
	v_cndmask_b32_e32 v4, v6, v7, vcc
	v_lshlrev_b32_e32 v6, 8, v5
	v_mov_b32_e32 v7, 0x3b800000
	v_lshlrev_b32_e32 v3, 20, v3
	v_and_b32_e32 v6, 0x80000000, v6
	v_lshl_add_u32 v4, v4, 23, v7
	v_or3_b32 v4, v6, v4, v3
.LBB28_504:
	s_or_b64 exec, exec, s[6:7]
	s_nop 0
	v_mfma_f32_16x16x4f32 a[0:3], v2, v4, a[0:3]
	s_movk_i32 s4, 0x7f
	v_cmp_gt_i16_sdwa s[6:7], v9, s4 src0_sel:BYTE_3 src1_sel:DWORD
	s_mov_b64 s[4:5], 0
                                        ; implicit-def: $sgpr10
	s_and_saveexec_b64 s[8:9], s[6:7]
	s_xor_b64 s[6:7], exec, s[8:9]
	s_cbranch_execnz .LBB28_2553
; %bb.505:
	s_or_saveexec_b64 s[6:7], s[6:7]
	v_mov_b32_e32 v2, s10
	s_xor_b64 exec, exec, s[6:7]
	s_cbranch_execnz .LBB28_2556
.LBB28_506:
	s_or_b64 exec, exec, s[6:7]
	s_and_saveexec_b64 s[6:7], s[4:5]
	s_cbranch_execz .LBB28_508
.LBB28_507:
	v_bfe_u32 v2, v9, 24, 3
	v_ffbh_u32_e32 v7, v2
	v_min_u32_e32 v7, 32, v7
	v_lshrrev_b32_e32 v4, 27, v9
	v_subrev_u32_e32 v8, 28, v7
	v_and_b32_e32 v4, 15, v4
	v_lshlrev_b32_sdwa v8, v8, v9 dst_sel:DWORD dst_unused:UNUSED_PAD src0_sel:DWORD src1_sel:BYTE_3
	v_bfe_u32 v6, v9, 27, 4
	v_sub_u32_e32 v7, 29, v7
	v_and_b32_e32 v8, 7, v8
	v_cmp_eq_u16_e32 vcc, 0, v4
	v_cndmask_b32_e32 v2, v2, v8, vcc
	v_cndmask_b32_e32 v4, v6, v7, vcc
	v_mov_b32_e32 v6, 0x3b800000
	v_and_b32_e32 v3, 0x80000000, v9
	v_lshlrev_b32_e32 v2, 20, v2
	v_lshl_add_u32 v4, v4, 23, v6
	v_or3_b32 v2, v3, v4, v2
.LBB28_508:
	s_or_b64 exec, exec, s[6:7]
	s_movk_i32 s4, 0x7f
	v_cmp_gt_i16_sdwa s[6:7], v5, s4 src0_sel:BYTE_3 src1_sel:DWORD
	s_mov_b64 s[4:5], 0
                                        ; implicit-def: $sgpr10
	s_and_saveexec_b64 s[8:9], s[6:7]
	s_xor_b64 s[6:7], exec, s[8:9]
	s_cbranch_execnz .LBB28_2557
; %bb.509:
	s_or_saveexec_b64 s[6:7], s[6:7]
	v_mov_b32_e32 v3, s10
	s_xor_b64 exec, exec, s[6:7]
	s_cbranch_execnz .LBB28_2560
.LBB28_510:
	s_or_b64 exec, exec, s[6:7]
	s_and_saveexec_b64 s[6:7], s[4:5]
	s_cbranch_execz .LBB28_512
.LBB28_511:
	v_bfe_u32 v3, v5, 24, 3
	v_ffbh_u32_e32 v8, v3
	v_min_u32_e32 v8, 32, v8
	v_lshrrev_b32_e32 v6, 27, v5
	v_subrev_u32_e32 v9, 28, v8
	v_and_b32_e32 v4, 0x80000000, v5
	v_and_b32_e32 v6, 15, v6
	v_bfe_u32 v7, v5, 27, 4
	v_lshlrev_b32_sdwa v5, v9, v5 dst_sel:DWORD dst_unused:UNUSED_PAD src0_sel:DWORD src1_sel:BYTE_3
	v_sub_u32_e32 v8, 29, v8
	v_and_b32_e32 v5, 7, v5
	v_cmp_eq_u16_e32 vcc, 0, v6
	v_cndmask_b32_e32 v3, v3, v5, vcc
	v_cndmask_b32_e32 v5, v7, v8, vcc
	v_mov_b32_e32 v6, 0x3b800000
	v_lshlrev_b32_e32 v3, 20, v3
	v_lshl_add_u32 v5, v5, 23, v6
	v_or3_b32 v3, v4, v5, v3
.LBB28_512:
	s_or_b64 exec, exec, s[6:7]
	s_nop 0
	v_mfma_f32_16x16x4f32 a[0:3], v2, v3, a[0:3]
	s_movk_i32 s4, 0x7f
                                        ; implicit-def: $sgpr10
	s_nop 7
	s_nop 1
	flat_store_dwordx4 v[18:19], a[0:3] offset:16
	flat_load_dwordx4 v[20:23], v[0:1] offset:16
	s_nop 0
	flat_load_dwordx2 v[18:19], v[0:1] offset:32
	s_waitcnt vmcnt(0) lgkmcnt(0)
	flat_load_dwordx4 v[14:17], v[20:21]
	flat_load_dwordx4 v[6:9], v[20:21] offset:16
	flat_load_dwordx4 v[10:13], v[22:23] offset:64
	;; [unrolled: 1-line block ×3, first 2 shown]
	s_waitcnt vmcnt(0) lgkmcnt(0)
	v_cmp_gt_i16_sdwa s[6:7], v14, s4 src0_sel:BYTE_0 src1_sel:DWORD
	s_mov_b64 s[4:5], 0
	s_and_saveexec_b64 s[8:9], s[6:7]
	s_xor_b64 s[6:7], exec, s[8:9]
	s_cbranch_execnz .LBB28_2561
; %bb.513:
	s_or_saveexec_b64 s[6:7], s[6:7]
	v_mov_b32_e32 v20, s10
	s_xor_b64 exec, exec, s[6:7]
	s_cbranch_execnz .LBB28_2564
.LBB28_514:
	s_or_b64 exec, exec, s[6:7]
	s_and_saveexec_b64 s[6:7], s[4:5]
	s_cbranch_execz .LBB28_516
.LBB28_515:
	v_and_b32_e32 v20, 7, v14
	v_ffbh_u32_e32 v22, v20
	v_min_u32_e32 v22, 32, v22
	v_lshrrev_b16_e32 v21, 3, v14
	v_subrev_u32_e32 v23, 28, v22
	v_and_b32_e32 v21, 15, v21
	v_lshlrev_b32_e32 v23, v23, v14
	v_sub_u32_e32 v22, 29, v22
	v_and_b32_e32 v23, 7, v23
	v_cmp_eq_u16_e32 vcc, 0, v21
	v_cndmask_b32_e32 v20, v20, v23, vcc
	v_cndmask_b32_e32 v21, v21, v22, vcc
	v_lshlrev_b32_e32 v22, 24, v14
	v_mov_b32_e32 v23, 0x3b800000
	v_lshlrev_b32_e32 v20, 20, v20
	v_and_b32_e32 v22, 0x80000000, v22
	v_lshl_add_u32 v21, v21, 23, v23
	v_or3_b32 v20, v22, v21, v20
.LBB28_516:
	s_or_b64 exec, exec, s[6:7]
	s_movk_i32 s4, 0x7f
	v_cmp_gt_i16_sdwa s[6:7], v10, s4 src0_sel:BYTE_0 src1_sel:DWORD
	s_mov_b64 s[4:5], 0
                                        ; implicit-def: $sgpr10
	s_and_saveexec_b64 s[8:9], s[6:7]
	s_xor_b64 s[6:7], exec, s[8:9]
	s_cbranch_execnz .LBB28_2565
; %bb.517:
	s_or_saveexec_b64 s[6:7], s[6:7]
	v_mov_b32_e32 v21, s10
	s_xor_b64 exec, exec, s[6:7]
	s_cbranch_execnz .LBB28_2568
.LBB28_518:
	s_or_b64 exec, exec, s[6:7]
	s_and_saveexec_b64 s[6:7], s[4:5]
	s_cbranch_execz .LBB28_520
.LBB28_519:
	v_and_b32_e32 v21, 7, v10
	v_ffbh_u32_e32 v23, v21
	v_min_u32_e32 v23, 32, v23
	v_lshrrev_b16_e32 v22, 3, v10
	v_subrev_u32_e32 v24, 28, v23
	v_and_b32_e32 v22, 15, v22
	v_lshlrev_b32_e32 v24, v24, v10
	v_sub_u32_e32 v23, 29, v23
	v_and_b32_e32 v24, 7, v24
	v_cmp_eq_u16_e32 vcc, 0, v22
	v_cndmask_b32_e32 v21, v21, v24, vcc
	v_cndmask_b32_e32 v22, v22, v23, vcc
	v_lshlrev_b32_e32 v23, 24, v10
	v_mov_b32_e32 v24, 0x3b800000
	v_lshlrev_b32_e32 v21, 20, v21
	v_and_b32_e32 v23, 0x80000000, v23
	v_lshl_add_u32 v22, v22, 23, v24
	v_or3_b32 v21, v23, v22, v21
.LBB28_520:
	s_or_b64 exec, exec, s[6:7]
	flat_load_dwordx4 a[0:3], v[18:19] offset:32
	s_movk_i32 s4, 0x7f
                                        ; implicit-def: $sgpr10
	s_waitcnt vmcnt(0) lgkmcnt(0)
	v_mfma_f32_16x16x4f32 a[0:3], v20, v21, a[0:3]
	v_lshrrev_b32_e32 v21, 8, v14
	v_cmp_gt_i16_sdwa s[6:7], v21, s4 src0_sel:BYTE_0 src1_sel:DWORD
	s_mov_b64 s[4:5], 0
	s_and_saveexec_b64 s[8:9], s[6:7]
	s_xor_b64 s[6:7], exec, s[8:9]
	s_cbranch_execnz .LBB28_2569
; %bb.521:
	s_or_saveexec_b64 s[6:7], s[6:7]
	v_mov_b32_e32 v20, s10
	s_xor_b64 exec, exec, s[6:7]
	s_cbranch_execnz .LBB28_2572
.LBB28_522:
	s_or_b64 exec, exec, s[6:7]
	s_and_saveexec_b64 s[6:7], s[4:5]
	s_cbranch_execz .LBB28_524
.LBB28_523:
	v_bfe_u32 v20, v14, 8, 3
	v_ffbh_u32_e32 v23, v20
	v_min_u32_e32 v23, 32, v23
	v_lshrrev_b16_e32 v22, 3, v21
	v_subrev_u32_e32 v24, 28, v23
	v_and_b32_e32 v22, 15, v22
	v_lshlrev_b32_e32 v21, v24, v21
	v_sub_u32_e32 v23, 29, v23
	v_and_b32_e32 v21, 7, v21
	v_cmp_eq_u16_e32 vcc, 0, v22
	v_cndmask_b32_e32 v20, v20, v21, vcc
	v_cndmask_b32_e32 v21, v22, v23, vcc
	v_lshlrev_b32_e32 v22, 16, v14
	v_mov_b32_e32 v23, 0x3b800000
	v_lshlrev_b32_e32 v20, 20, v20
	v_and_b32_e32 v22, 0x80000000, v22
	v_lshl_add_u32 v21, v21, 23, v23
	v_or3_b32 v20, v22, v21, v20
.LBB28_524:
	s_or_b64 exec, exec, s[6:7]
	v_lshrrev_b32_e32 v21, 8, v10
	s_movk_i32 s4, 0x7f
	v_cmp_gt_i16_sdwa s[6:7], v21, s4 src0_sel:BYTE_0 src1_sel:DWORD
	s_mov_b64 s[4:5], 0
                                        ; implicit-def: $sgpr10
	s_and_saveexec_b64 s[8:9], s[6:7]
	s_xor_b64 s[6:7], exec, s[8:9]
	s_cbranch_execnz .LBB28_2573
; %bb.525:
	s_or_saveexec_b64 s[6:7], s[6:7]
	v_mov_b32_e32 v22, s10
	s_xor_b64 exec, exec, s[6:7]
	s_cbranch_execnz .LBB28_2576
.LBB28_526:
	s_or_b64 exec, exec, s[6:7]
	s_and_saveexec_b64 s[6:7], s[4:5]
	s_cbranch_execz .LBB28_528
.LBB28_527:
	v_bfe_u32 v22, v10, 8, 3
	v_ffbh_u32_e32 v24, v22
	v_min_u32_e32 v24, 32, v24
	v_lshrrev_b16_e32 v23, 3, v21
	v_subrev_u32_e32 v25, 28, v24
	v_and_b32_e32 v23, 15, v23
	v_lshlrev_b32_e32 v21, v25, v21
	v_sub_u32_e32 v24, 29, v24
	v_and_b32_e32 v21, 7, v21
	v_cmp_eq_u16_e32 vcc, 0, v23
	v_cndmask_b32_e32 v21, v22, v21, vcc
	v_cndmask_b32_e32 v22, v23, v24, vcc
	v_lshlrev_b32_e32 v23, 16, v10
	v_mov_b32_e32 v24, 0x3b800000
	v_lshlrev_b32_e32 v21, 20, v21
	v_and_b32_e32 v23, 0x80000000, v23
	v_lshl_add_u32 v22, v22, 23, v24
	v_or3_b32 v22, v23, v22, v21
.LBB28_528:
	s_or_b64 exec, exec, s[6:7]
	s_nop 0
	v_mfma_f32_16x16x4f32 a[0:3], v20, v22, a[0:3]
	s_movk_i32 s4, 0xff
	v_and_b32_sdwa v21, v14, s4 dst_sel:DWORD dst_unused:UNUSED_PAD src0_sel:WORD_1 src1_sel:DWORD
	s_movk_i32 s4, 0x7f
	v_cmp_lt_i16_e32 vcc, s4, v21
	s_mov_b64 s[4:5], 0
                                        ; implicit-def: $sgpr10
	s_and_saveexec_b64 s[6:7], vcc
	s_xor_b64 s[6:7], exec, s[6:7]
	s_cbranch_execnz .LBB28_2577
; %bb.529:
	s_or_saveexec_b64 s[6:7], s[6:7]
	v_mov_b32_e32 v20, s10
	s_xor_b64 exec, exec, s[6:7]
	s_cbranch_execnz .LBB28_2580
.LBB28_530:
	s_or_b64 exec, exec, s[6:7]
	s_and_saveexec_b64 s[6:7], s[4:5]
	s_cbranch_execz .LBB28_532
.LBB28_531:
	v_bfe_u32 v20, v14, 16, 3
	v_ffbh_u32_e32 v23, v20
	v_min_u32_e32 v23, 32, v23
	v_lshrrev_b32_e32 v21, 19, v14
	v_subrev_u32_e32 v24, 28, v23
	v_and_b32_e32 v21, 15, v21
	v_lshlrev_b32_sdwa v24, v24, v14 dst_sel:DWORD dst_unused:UNUSED_PAD src0_sel:DWORD src1_sel:WORD_1
	v_bfe_u32 v22, v14, 19, 4
	v_sub_u32_e32 v23, 29, v23
	v_and_b32_e32 v24, 7, v24
	v_cmp_eq_u16_e32 vcc, 0, v21
	v_cndmask_b32_e32 v20, v20, v24, vcc
	v_cndmask_b32_e32 v21, v22, v23, vcc
	v_lshlrev_b32_e32 v22, 8, v14
	v_mov_b32_e32 v23, 0x3b800000
	v_lshlrev_b32_e32 v20, 20, v20
	v_and_b32_e32 v22, 0x80000000, v22
	v_lshl_add_u32 v21, v21, 23, v23
	v_or3_b32 v20, v22, v21, v20
.LBB28_532:
	s_or_b64 exec, exec, s[6:7]
	s_movk_i32 s4, 0xff
	v_and_b32_sdwa v21, v10, s4 dst_sel:DWORD dst_unused:UNUSED_PAD src0_sel:WORD_1 src1_sel:DWORD
	s_movk_i32 s4, 0x7f
	v_cmp_lt_i16_e32 vcc, s4, v21
	s_mov_b64 s[4:5], 0
                                        ; implicit-def: $sgpr10
	s_and_saveexec_b64 s[6:7], vcc
	s_xor_b64 s[6:7], exec, s[6:7]
	s_cbranch_execnz .LBB28_2581
; %bb.533:
	s_or_saveexec_b64 s[6:7], s[6:7]
	v_mov_b32_e32 v22, s10
	s_xor_b64 exec, exec, s[6:7]
	s_cbranch_execnz .LBB28_2584
.LBB28_534:
	s_or_b64 exec, exec, s[6:7]
	s_and_saveexec_b64 s[6:7], s[4:5]
	s_cbranch_execz .LBB28_536
.LBB28_535:
	v_bfe_u32 v21, v10, 16, 3
	v_ffbh_u32_e32 v24, v21
	v_min_u32_e32 v24, 32, v24
	v_lshrrev_b32_e32 v22, 19, v10
	v_subrev_u32_e32 v25, 28, v24
	v_and_b32_e32 v22, 15, v22
	v_lshlrev_b32_sdwa v25, v25, v10 dst_sel:DWORD dst_unused:UNUSED_PAD src0_sel:DWORD src1_sel:WORD_1
	v_bfe_u32 v23, v10, 19, 4
	v_sub_u32_e32 v24, 29, v24
	v_and_b32_e32 v25, 7, v25
	v_cmp_eq_u16_e32 vcc, 0, v22
	v_cndmask_b32_e32 v21, v21, v25, vcc
	v_cndmask_b32_e32 v22, v23, v24, vcc
	v_lshlrev_b32_e32 v23, 8, v10
	v_mov_b32_e32 v24, 0x3b800000
	v_lshlrev_b32_e32 v21, 20, v21
	v_and_b32_e32 v23, 0x80000000, v23
	v_lshl_add_u32 v22, v22, 23, v24
	v_or3_b32 v22, v23, v22, v21
.LBB28_536:
	s_or_b64 exec, exec, s[6:7]
	s_nop 0
	v_mfma_f32_16x16x4f32 a[0:3], v20, v22, a[0:3]
	s_movk_i32 s4, 0x7f
	v_cmp_gt_i16_sdwa s[6:7], v14, s4 src0_sel:BYTE_3 src1_sel:DWORD
	s_mov_b64 s[4:5], 0
                                        ; implicit-def: $sgpr10
	s_and_saveexec_b64 s[8:9], s[6:7]
	s_xor_b64 s[6:7], exec, s[8:9]
	s_cbranch_execnz .LBB28_2585
; %bb.537:
	s_or_saveexec_b64 s[6:7], s[6:7]
	v_mov_b32_e32 v20, s10
	s_xor_b64 exec, exec, s[6:7]
	s_cbranch_execnz .LBB28_2588
.LBB28_538:
	s_or_b64 exec, exec, s[6:7]
	s_and_saveexec_b64 s[6:7], s[4:5]
	s_cbranch_execz .LBB28_540
.LBB28_539:
	v_bfe_u32 v20, v14, 24, 3
	v_ffbh_u32_e32 v24, v20
	v_min_u32_e32 v24, 32, v24
	v_lshrrev_b32_e32 v22, 27, v14
	v_subrev_u32_e32 v25, 28, v24
	v_and_b32_e32 v21, 0x80000000, v14
	v_and_b32_e32 v22, 15, v22
	v_bfe_u32 v23, v14, 27, 4
	v_lshlrev_b32_sdwa v14, v25, v14 dst_sel:DWORD dst_unused:UNUSED_PAD src0_sel:DWORD src1_sel:BYTE_3
	v_sub_u32_e32 v24, 29, v24
	v_and_b32_e32 v14, 7, v14
	v_cmp_eq_u16_e32 vcc, 0, v22
	v_cndmask_b32_e32 v14, v20, v14, vcc
	v_cndmask_b32_e32 v20, v23, v24, vcc
	v_mov_b32_e32 v22, 0x3b800000
	v_lshlrev_b32_e32 v14, 20, v14
	v_lshl_add_u32 v20, v20, 23, v22
	v_or3_b32 v20, v21, v20, v14
.LBB28_540:
	s_or_b64 exec, exec, s[6:7]
	s_movk_i32 s4, 0x7f
	v_cmp_gt_i16_sdwa s[6:7], v10, s4 src0_sel:BYTE_3 src1_sel:DWORD
	s_mov_b64 s[4:5], 0
                                        ; implicit-def: $sgpr10
	s_and_saveexec_b64 s[8:9], s[6:7]
	s_xor_b64 s[6:7], exec, s[8:9]
	s_cbranch_execnz .LBB28_2589
; %bb.541:
	s_or_saveexec_b64 s[6:7], s[6:7]
	v_mov_b32_e32 v14, s10
	s_xor_b64 exec, exec, s[6:7]
	s_cbranch_execnz .LBB28_2592
.LBB28_542:
	s_or_b64 exec, exec, s[6:7]
	s_and_saveexec_b64 s[6:7], s[4:5]
	s_cbranch_execz .LBB28_544
.LBB28_543:
	v_bfe_u32 v14, v10, 24, 3
	v_ffbh_u32_e32 v24, v14
	v_min_u32_e32 v24, 32, v24
	v_lshrrev_b32_e32 v22, 27, v10
	v_subrev_u32_e32 v25, 28, v24
	v_and_b32_e32 v21, 0x80000000, v10
	v_and_b32_e32 v22, 15, v22
	v_bfe_u32 v23, v10, 27, 4
	v_lshlrev_b32_sdwa v10, v25, v10 dst_sel:DWORD dst_unused:UNUSED_PAD src0_sel:DWORD src1_sel:BYTE_3
	v_sub_u32_e32 v24, 29, v24
	v_and_b32_e32 v10, 7, v10
	v_cmp_eq_u16_e32 vcc, 0, v22
	v_cndmask_b32_e32 v10, v14, v10, vcc
	v_cndmask_b32_e32 v14, v23, v24, vcc
	v_mov_b32_e32 v22, 0x3b800000
	v_lshlrev_b32_e32 v10, 20, v10
	v_lshl_add_u32 v14, v14, 23, v22
	v_or3_b32 v14, v21, v14, v10
.LBB28_544:
	s_or_b64 exec, exec, s[6:7]
	s_nop 0
	v_mfma_f32_16x16x4f32 a[0:3], v20, v14, a[0:3]
	s_movk_i32 s4, 0x7f
	v_cmp_gt_i16_sdwa s[6:7], v15, s4 src0_sel:BYTE_0 src1_sel:DWORD
	s_mov_b64 s[4:5], 0
                                        ; implicit-def: $sgpr10
	s_and_saveexec_b64 s[8:9], s[6:7]
	s_xor_b64 s[6:7], exec, s[8:9]
	s_cbranch_execnz .LBB28_2593
; %bb.545:
	s_or_saveexec_b64 s[6:7], s[6:7]
	v_mov_b32_e32 v10, s10
	s_xor_b64 exec, exec, s[6:7]
	s_cbranch_execnz .LBB28_2596
.LBB28_546:
	s_or_b64 exec, exec, s[6:7]
	s_and_saveexec_b64 s[6:7], s[4:5]
	s_cbranch_execz .LBB28_548
.LBB28_547:
	v_and_b32_e32 v10, 7, v15
	v_ffbh_u32_e32 v20, v10
	v_min_u32_e32 v20, 32, v20
	v_lshrrev_b16_e32 v14, 3, v15
	v_subrev_u32_e32 v21, 28, v20
	v_and_b32_e32 v14, 15, v14
	v_lshlrev_b32_e32 v21, v21, v15
	v_sub_u32_e32 v20, 29, v20
	v_and_b32_e32 v21, 7, v21
	v_cmp_eq_u16_e32 vcc, 0, v14
	v_cndmask_b32_e32 v10, v10, v21, vcc
	v_cndmask_b32_e32 v14, v14, v20, vcc
	v_lshlrev_b32_e32 v20, 24, v15
	v_mov_b32_e32 v21, 0x3b800000
	v_lshlrev_b32_e32 v10, 20, v10
	v_and_b32_e32 v20, 0x80000000, v20
	v_lshl_add_u32 v14, v14, 23, v21
	v_or3_b32 v10, v20, v14, v10
.LBB28_548:
	s_or_b64 exec, exec, s[6:7]
	s_movk_i32 s4, 0x7f
	v_cmp_gt_i16_sdwa s[6:7], v11, s4 src0_sel:BYTE_0 src1_sel:DWORD
	s_mov_b64 s[4:5], 0
                                        ; implicit-def: $sgpr10
	s_and_saveexec_b64 s[8:9], s[6:7]
	s_xor_b64 s[6:7], exec, s[8:9]
	s_cbranch_execnz .LBB28_2597
; %bb.549:
	s_or_saveexec_b64 s[6:7], s[6:7]
	v_mov_b32_e32 v14, s10
	s_xor_b64 exec, exec, s[6:7]
	s_cbranch_execnz .LBB28_2600
.LBB28_550:
	s_or_b64 exec, exec, s[6:7]
	s_and_saveexec_b64 s[6:7], s[4:5]
	s_cbranch_execz .LBB28_552
.LBB28_551:
	v_and_b32_e32 v14, 7, v11
	v_ffbh_u32_e32 v21, v14
	v_min_u32_e32 v21, 32, v21
	v_lshrrev_b16_e32 v20, 3, v11
	v_subrev_u32_e32 v22, 28, v21
	v_and_b32_e32 v20, 15, v20
	v_lshlrev_b32_e32 v22, v22, v11
	v_sub_u32_e32 v21, 29, v21
	v_and_b32_e32 v22, 7, v22
	v_cmp_eq_u16_e32 vcc, 0, v20
	v_cndmask_b32_e32 v14, v14, v22, vcc
	v_cndmask_b32_e32 v20, v20, v21, vcc
	v_lshlrev_b32_e32 v21, 24, v11
	v_mov_b32_e32 v22, 0x3b800000
	v_lshlrev_b32_e32 v14, 20, v14
	v_and_b32_e32 v21, 0x80000000, v21
	v_lshl_add_u32 v20, v20, 23, v22
	v_or3_b32 v14, v21, v20, v14
.LBB28_552:
	s_or_b64 exec, exec, s[6:7]
	s_nop 0
	v_mfma_f32_16x16x4f32 a[0:3], v10, v14, a[0:3]
	v_lshrrev_b32_e32 v14, 8, v15
	s_movk_i32 s4, 0x7f
	v_cmp_gt_i16_sdwa s[6:7], v14, s4 src0_sel:BYTE_0 src1_sel:DWORD
	s_mov_b64 s[4:5], 0
                                        ; implicit-def: $sgpr10
	s_and_saveexec_b64 s[8:9], s[6:7]
	s_xor_b64 s[6:7], exec, s[8:9]
	s_cbranch_execnz .LBB28_2601
; %bb.553:
	s_or_saveexec_b64 s[6:7], s[6:7]
	v_mov_b32_e32 v10, s10
	s_xor_b64 exec, exec, s[6:7]
	s_cbranch_execnz .LBB28_2604
.LBB28_554:
	s_or_b64 exec, exec, s[6:7]
	s_and_saveexec_b64 s[6:7], s[4:5]
	s_cbranch_execz .LBB28_556
.LBB28_555:
	v_bfe_u32 v10, v15, 8, 3
	v_ffbh_u32_e32 v21, v10
	v_min_u32_e32 v21, 32, v21
	v_lshrrev_b16_e32 v20, 3, v14
	v_subrev_u32_e32 v22, 28, v21
	v_and_b32_e32 v20, 15, v20
	v_lshlrev_b32_e32 v14, v22, v14
	v_sub_u32_e32 v21, 29, v21
	v_and_b32_e32 v14, 7, v14
	v_cmp_eq_u16_e32 vcc, 0, v20
	v_cndmask_b32_e32 v10, v10, v14, vcc
	v_cndmask_b32_e32 v14, v20, v21, vcc
	v_lshlrev_b32_e32 v20, 16, v15
	v_mov_b32_e32 v21, 0x3b800000
	v_lshlrev_b32_e32 v10, 20, v10
	v_and_b32_e32 v20, 0x80000000, v20
	v_lshl_add_u32 v14, v14, 23, v21
	v_or3_b32 v10, v20, v14, v10
.LBB28_556:
	s_or_b64 exec, exec, s[6:7]
	v_lshrrev_b32_e32 v14, 8, v11
	s_movk_i32 s4, 0x7f
	v_cmp_gt_i16_sdwa s[6:7], v14, s4 src0_sel:BYTE_0 src1_sel:DWORD
	s_mov_b64 s[4:5], 0
                                        ; implicit-def: $sgpr10
	s_and_saveexec_b64 s[8:9], s[6:7]
	s_xor_b64 s[6:7], exec, s[8:9]
	s_cbranch_execnz .LBB28_2605
; %bb.557:
	s_or_saveexec_b64 s[6:7], s[6:7]
	v_mov_b32_e32 v20, s10
	s_xor_b64 exec, exec, s[6:7]
	s_cbranch_execnz .LBB28_2608
.LBB28_558:
	s_or_b64 exec, exec, s[6:7]
	s_and_saveexec_b64 s[6:7], s[4:5]
	s_cbranch_execz .LBB28_560
.LBB28_559:
	v_bfe_u32 v20, v11, 8, 3
	v_ffbh_u32_e32 v22, v20
	v_min_u32_e32 v22, 32, v22
	v_lshrrev_b16_e32 v21, 3, v14
	v_subrev_u32_e32 v23, 28, v22
	v_and_b32_e32 v21, 15, v21
	v_lshlrev_b32_e32 v14, v23, v14
	v_sub_u32_e32 v22, 29, v22
	v_and_b32_e32 v14, 7, v14
	v_cmp_eq_u16_e32 vcc, 0, v21
	v_cndmask_b32_e32 v14, v20, v14, vcc
	v_cndmask_b32_e32 v20, v21, v22, vcc
	v_lshlrev_b32_e32 v21, 16, v11
	v_mov_b32_e32 v22, 0x3b800000
	v_lshlrev_b32_e32 v14, 20, v14
	v_and_b32_e32 v21, 0x80000000, v21
	v_lshl_add_u32 v20, v20, 23, v22
	v_or3_b32 v20, v21, v20, v14
.LBB28_560:
	s_or_b64 exec, exec, s[6:7]
	s_nop 0
	v_mfma_f32_16x16x4f32 a[0:3], v10, v20, a[0:3]
	s_movk_i32 s4, 0xff
	v_and_b32_sdwa v14, v15, s4 dst_sel:DWORD dst_unused:UNUSED_PAD src0_sel:WORD_1 src1_sel:DWORD
	s_movk_i32 s4, 0x7f
	v_cmp_lt_i16_e32 vcc, s4, v14
	s_mov_b64 s[4:5], 0
                                        ; implicit-def: $sgpr10
	s_and_saveexec_b64 s[6:7], vcc
	s_xor_b64 s[6:7], exec, s[6:7]
	s_cbranch_execnz .LBB28_2609
; %bb.561:
	s_or_saveexec_b64 s[6:7], s[6:7]
	v_mov_b32_e32 v10, s10
	s_xor_b64 exec, exec, s[6:7]
	s_cbranch_execnz .LBB28_2612
.LBB28_562:
	s_or_b64 exec, exec, s[6:7]
	s_and_saveexec_b64 s[6:7], s[4:5]
	s_cbranch_execz .LBB28_564
.LBB28_563:
	v_bfe_u32 v10, v15, 16, 3
	v_ffbh_u32_e32 v21, v10
	v_min_u32_e32 v21, 32, v21
	v_lshrrev_b32_e32 v14, 19, v15
	v_subrev_u32_e32 v22, 28, v21
	v_and_b32_e32 v14, 15, v14
	v_lshlrev_b32_sdwa v22, v22, v15 dst_sel:DWORD dst_unused:UNUSED_PAD src0_sel:DWORD src1_sel:WORD_1
	v_bfe_u32 v20, v15, 19, 4
	v_sub_u32_e32 v21, 29, v21
	v_and_b32_e32 v22, 7, v22
	v_cmp_eq_u16_e32 vcc, 0, v14
	v_cndmask_b32_e32 v10, v10, v22, vcc
	v_cndmask_b32_e32 v14, v20, v21, vcc
	v_lshlrev_b32_e32 v20, 8, v15
	v_mov_b32_e32 v21, 0x3b800000
	v_lshlrev_b32_e32 v10, 20, v10
	v_and_b32_e32 v20, 0x80000000, v20
	v_lshl_add_u32 v14, v14, 23, v21
	v_or3_b32 v10, v20, v14, v10
.LBB28_564:
	s_or_b64 exec, exec, s[6:7]
	s_movk_i32 s4, 0xff
	v_and_b32_sdwa v14, v11, s4 dst_sel:DWORD dst_unused:UNUSED_PAD src0_sel:WORD_1 src1_sel:DWORD
	s_movk_i32 s4, 0x7f
	v_cmp_lt_i16_e32 vcc, s4, v14
	s_mov_b64 s[4:5], 0
                                        ; implicit-def: $sgpr10
	s_and_saveexec_b64 s[6:7], vcc
	s_xor_b64 s[6:7], exec, s[6:7]
	s_cbranch_execnz .LBB28_2613
; %bb.565:
	s_or_saveexec_b64 s[6:7], s[6:7]
	v_mov_b32_e32 v20, s10
	s_xor_b64 exec, exec, s[6:7]
	s_cbranch_execnz .LBB28_2616
.LBB28_566:
	s_or_b64 exec, exec, s[6:7]
	s_and_saveexec_b64 s[6:7], s[4:5]
	s_cbranch_execz .LBB28_568
.LBB28_567:
	v_bfe_u32 v14, v11, 16, 3
	v_ffbh_u32_e32 v22, v14
	v_min_u32_e32 v22, 32, v22
	v_lshrrev_b32_e32 v20, 19, v11
	v_subrev_u32_e32 v23, 28, v22
	v_and_b32_e32 v20, 15, v20
	v_lshlrev_b32_sdwa v23, v23, v11 dst_sel:DWORD dst_unused:UNUSED_PAD src0_sel:DWORD src1_sel:WORD_1
	v_bfe_u32 v21, v11, 19, 4
	v_sub_u32_e32 v22, 29, v22
	v_and_b32_e32 v23, 7, v23
	v_cmp_eq_u16_e32 vcc, 0, v20
	v_cndmask_b32_e32 v14, v14, v23, vcc
	v_cndmask_b32_e32 v20, v21, v22, vcc
	v_lshlrev_b32_e32 v21, 8, v11
	v_mov_b32_e32 v22, 0x3b800000
	v_lshlrev_b32_e32 v14, 20, v14
	v_and_b32_e32 v21, 0x80000000, v21
	v_lshl_add_u32 v20, v20, 23, v22
	v_or3_b32 v20, v21, v20, v14
.LBB28_568:
	s_or_b64 exec, exec, s[6:7]
	s_nop 0
	v_mfma_f32_16x16x4f32 a[0:3], v10, v20, a[0:3]
	s_movk_i32 s4, 0x7f
	v_cmp_gt_i16_sdwa s[6:7], v15, s4 src0_sel:BYTE_3 src1_sel:DWORD
	s_mov_b64 s[4:5], 0
                                        ; implicit-def: $sgpr10
	s_and_saveexec_b64 s[8:9], s[6:7]
	s_xor_b64 s[6:7], exec, s[8:9]
	s_cbranch_execnz .LBB28_2617
; %bb.569:
	s_or_saveexec_b64 s[6:7], s[6:7]
	v_mov_b32_e32 v10, s10
	s_xor_b64 exec, exec, s[6:7]
	s_cbranch_execnz .LBB28_2620
.LBB28_570:
	s_or_b64 exec, exec, s[6:7]
	s_and_saveexec_b64 s[6:7], s[4:5]
	s_cbranch_execz .LBB28_572
.LBB28_571:
	v_bfe_u32 v10, v15, 24, 3
	v_ffbh_u32_e32 v22, v10
	v_min_u32_e32 v22, 32, v22
	v_lshrrev_b32_e32 v20, 27, v15
	v_subrev_u32_e32 v23, 28, v22
	v_and_b32_e32 v14, 0x80000000, v15
	v_and_b32_e32 v20, 15, v20
	v_bfe_u32 v21, v15, 27, 4
	v_lshlrev_b32_sdwa v15, v23, v15 dst_sel:DWORD dst_unused:UNUSED_PAD src0_sel:DWORD src1_sel:BYTE_3
	v_sub_u32_e32 v22, 29, v22
	v_and_b32_e32 v15, 7, v15
	v_cmp_eq_u16_e32 vcc, 0, v20
	v_cndmask_b32_e32 v10, v10, v15, vcc
	v_cndmask_b32_e32 v15, v21, v22, vcc
	v_mov_b32_e32 v20, 0x3b800000
	v_lshlrev_b32_e32 v10, 20, v10
	v_lshl_add_u32 v15, v15, 23, v20
	v_or3_b32 v10, v14, v15, v10
.LBB28_572:
	s_or_b64 exec, exec, s[6:7]
	s_movk_i32 s4, 0x7f
	v_cmp_gt_i16_sdwa s[6:7], v11, s4 src0_sel:BYTE_3 src1_sel:DWORD
	s_mov_b64 s[4:5], 0
                                        ; implicit-def: $sgpr10
	s_and_saveexec_b64 s[8:9], s[6:7]
	s_xor_b64 s[6:7], exec, s[8:9]
	s_cbranch_execnz .LBB28_2621
; %bb.573:
	s_or_saveexec_b64 s[6:7], s[6:7]
	v_mov_b32_e32 v14, s10
	s_xor_b64 exec, exec, s[6:7]
	s_cbranch_execnz .LBB28_2624
.LBB28_574:
	s_or_b64 exec, exec, s[6:7]
	s_and_saveexec_b64 s[6:7], s[4:5]
	s_cbranch_execz .LBB28_576
.LBB28_575:
	v_bfe_u32 v14, v11, 24, 3
	v_ffbh_u32_e32 v22, v14
	v_min_u32_e32 v22, 32, v22
	v_lshrrev_b32_e32 v20, 27, v11
	v_subrev_u32_e32 v23, 28, v22
	v_and_b32_e32 v15, 0x80000000, v11
	v_and_b32_e32 v20, 15, v20
	v_bfe_u32 v21, v11, 27, 4
	v_lshlrev_b32_sdwa v11, v23, v11 dst_sel:DWORD dst_unused:UNUSED_PAD src0_sel:DWORD src1_sel:BYTE_3
	v_sub_u32_e32 v22, 29, v22
	v_and_b32_e32 v11, 7, v11
	v_cmp_eq_u16_e32 vcc, 0, v20
	v_cndmask_b32_e32 v11, v14, v11, vcc
	v_cndmask_b32_e32 v14, v21, v22, vcc
	v_mov_b32_e32 v20, 0x3b800000
	v_lshlrev_b32_e32 v11, 20, v11
	v_lshl_add_u32 v14, v14, 23, v20
	v_or3_b32 v14, v15, v14, v11
.LBB28_576:
	s_or_b64 exec, exec, s[6:7]
	s_nop 0
	v_mfma_f32_16x16x4f32 a[0:3], v10, v14, a[0:3]
	s_movk_i32 s4, 0x7f
	v_cmp_gt_i16_sdwa s[6:7], v16, s4 src0_sel:BYTE_0 src1_sel:DWORD
	s_mov_b64 s[4:5], 0
                                        ; implicit-def: $sgpr10
	s_and_saveexec_b64 s[8:9], s[6:7]
	s_xor_b64 s[6:7], exec, s[8:9]
	s_cbranch_execnz .LBB28_2625
; %bb.577:
	s_or_saveexec_b64 s[6:7], s[6:7]
	v_mov_b32_e32 v10, s10
	s_xor_b64 exec, exec, s[6:7]
	s_cbranch_execnz .LBB28_2628
.LBB28_578:
	s_or_b64 exec, exec, s[6:7]
	s_and_saveexec_b64 s[6:7], s[4:5]
	s_cbranch_execz .LBB28_580
.LBB28_579:
	v_and_b32_e32 v10, 7, v16
	v_ffbh_u32_e32 v14, v10
	v_min_u32_e32 v14, 32, v14
	v_lshrrev_b16_e32 v11, 3, v16
	v_subrev_u32_e32 v15, 28, v14
	v_and_b32_e32 v11, 15, v11
	v_lshlrev_b32_e32 v15, v15, v16
	v_sub_u32_e32 v14, 29, v14
	v_and_b32_e32 v15, 7, v15
	v_cmp_eq_u16_e32 vcc, 0, v11
	v_cndmask_b32_e32 v10, v10, v15, vcc
	v_cndmask_b32_e32 v11, v11, v14, vcc
	v_lshlrev_b32_e32 v14, 24, v16
	v_mov_b32_e32 v15, 0x3b800000
	v_lshlrev_b32_e32 v10, 20, v10
	v_and_b32_e32 v14, 0x80000000, v14
	v_lshl_add_u32 v11, v11, 23, v15
	v_or3_b32 v10, v14, v11, v10
.LBB28_580:
	s_or_b64 exec, exec, s[6:7]
	s_movk_i32 s4, 0x7f
	v_cmp_gt_i16_sdwa s[6:7], v12, s4 src0_sel:BYTE_0 src1_sel:DWORD
	s_mov_b64 s[4:5], 0
                                        ; implicit-def: $sgpr10
	s_and_saveexec_b64 s[8:9], s[6:7]
	s_xor_b64 s[6:7], exec, s[8:9]
	s_cbranch_execnz .LBB28_2629
; %bb.581:
	s_or_saveexec_b64 s[6:7], s[6:7]
	v_mov_b32_e32 v11, s10
	s_xor_b64 exec, exec, s[6:7]
	s_cbranch_execnz .LBB28_2632
.LBB28_582:
	s_or_b64 exec, exec, s[6:7]
	s_and_saveexec_b64 s[6:7], s[4:5]
	s_cbranch_execz .LBB28_584
.LBB28_583:
	v_and_b32_e32 v11, 7, v12
	v_ffbh_u32_e32 v15, v11
	v_min_u32_e32 v15, 32, v15
	v_lshrrev_b16_e32 v14, 3, v12
	v_subrev_u32_e32 v20, 28, v15
	v_and_b32_e32 v14, 15, v14
	v_lshlrev_b32_e32 v20, v20, v12
	v_sub_u32_e32 v15, 29, v15
	v_and_b32_e32 v20, 7, v20
	v_cmp_eq_u16_e32 vcc, 0, v14
	v_cndmask_b32_e32 v11, v11, v20, vcc
	v_cndmask_b32_e32 v14, v14, v15, vcc
	v_lshlrev_b32_e32 v15, 24, v12
	v_mov_b32_e32 v20, 0x3b800000
	v_lshlrev_b32_e32 v11, 20, v11
	v_and_b32_e32 v15, 0x80000000, v15
	v_lshl_add_u32 v14, v14, 23, v20
	v_or3_b32 v11, v15, v14, v11
.LBB28_584:
	s_or_b64 exec, exec, s[6:7]
	s_nop 0
	v_mfma_f32_16x16x4f32 a[0:3], v10, v11, a[0:3]
	v_lshrrev_b32_e32 v11, 8, v16
	s_movk_i32 s4, 0x7f
	v_cmp_gt_i16_sdwa s[6:7], v11, s4 src0_sel:BYTE_0 src1_sel:DWORD
	s_mov_b64 s[4:5], 0
                                        ; implicit-def: $sgpr10
	s_and_saveexec_b64 s[8:9], s[6:7]
	s_xor_b64 s[6:7], exec, s[8:9]
	s_cbranch_execnz .LBB28_2633
; %bb.585:
	s_or_saveexec_b64 s[6:7], s[6:7]
	v_mov_b32_e32 v10, s10
	s_xor_b64 exec, exec, s[6:7]
	s_cbranch_execnz .LBB28_2636
.LBB28_586:
	s_or_b64 exec, exec, s[6:7]
	s_and_saveexec_b64 s[6:7], s[4:5]
	s_cbranch_execz .LBB28_588
.LBB28_587:
	v_bfe_u32 v10, v16, 8, 3
	v_ffbh_u32_e32 v15, v10
	v_min_u32_e32 v15, 32, v15
	v_lshrrev_b16_e32 v14, 3, v11
	v_subrev_u32_e32 v20, 28, v15
	v_and_b32_e32 v14, 15, v14
	v_lshlrev_b32_e32 v11, v20, v11
	v_sub_u32_e32 v15, 29, v15
	v_and_b32_e32 v11, 7, v11
	v_cmp_eq_u16_e32 vcc, 0, v14
	v_cndmask_b32_e32 v10, v10, v11, vcc
	v_cndmask_b32_e32 v11, v14, v15, vcc
	v_lshlrev_b32_e32 v14, 16, v16
	v_mov_b32_e32 v15, 0x3b800000
	v_lshlrev_b32_e32 v10, 20, v10
	v_and_b32_e32 v14, 0x80000000, v14
	v_lshl_add_u32 v11, v11, 23, v15
	v_or3_b32 v10, v14, v11, v10
.LBB28_588:
	s_or_b64 exec, exec, s[6:7]
	v_lshrrev_b32_e32 v11, 8, v12
	s_movk_i32 s4, 0x7f
	v_cmp_gt_i16_sdwa s[6:7], v11, s4 src0_sel:BYTE_0 src1_sel:DWORD
	s_mov_b64 s[4:5], 0
                                        ; implicit-def: $sgpr10
	s_and_saveexec_b64 s[8:9], s[6:7]
	s_xor_b64 s[6:7], exec, s[8:9]
	s_cbranch_execnz .LBB28_2637
; %bb.589:
	s_or_saveexec_b64 s[6:7], s[6:7]
	v_mov_b32_e32 v14, s10
	s_xor_b64 exec, exec, s[6:7]
	s_cbranch_execnz .LBB28_2640
.LBB28_590:
	s_or_b64 exec, exec, s[6:7]
	s_and_saveexec_b64 s[6:7], s[4:5]
	s_cbranch_execz .LBB28_592
.LBB28_591:
	v_bfe_u32 v14, v12, 8, 3
	v_ffbh_u32_e32 v20, v14
	v_min_u32_e32 v20, 32, v20
	v_lshrrev_b16_e32 v15, 3, v11
	v_subrev_u32_e32 v21, 28, v20
	v_and_b32_e32 v15, 15, v15
	v_lshlrev_b32_e32 v11, v21, v11
	v_sub_u32_e32 v20, 29, v20
	v_and_b32_e32 v11, 7, v11
	v_cmp_eq_u16_e32 vcc, 0, v15
	v_cndmask_b32_e32 v11, v14, v11, vcc
	v_cndmask_b32_e32 v14, v15, v20, vcc
	v_lshlrev_b32_e32 v15, 16, v12
	v_mov_b32_e32 v20, 0x3b800000
	v_lshlrev_b32_e32 v11, 20, v11
	v_and_b32_e32 v15, 0x80000000, v15
	v_lshl_add_u32 v14, v14, 23, v20
	v_or3_b32 v14, v15, v14, v11
.LBB28_592:
	s_or_b64 exec, exec, s[6:7]
	s_nop 0
	v_mfma_f32_16x16x4f32 a[0:3], v10, v14, a[0:3]
	s_movk_i32 s4, 0xff
	v_and_b32_sdwa v11, v16, s4 dst_sel:DWORD dst_unused:UNUSED_PAD src0_sel:WORD_1 src1_sel:DWORD
	s_movk_i32 s4, 0x7f
	v_cmp_lt_i16_e32 vcc, s4, v11
	s_mov_b64 s[4:5], 0
                                        ; implicit-def: $sgpr10
	s_and_saveexec_b64 s[6:7], vcc
	s_xor_b64 s[6:7], exec, s[6:7]
	s_cbranch_execnz .LBB28_2641
; %bb.593:
	s_or_saveexec_b64 s[6:7], s[6:7]
	v_mov_b32_e32 v10, s10
	s_xor_b64 exec, exec, s[6:7]
	s_cbranch_execnz .LBB28_2644
.LBB28_594:
	s_or_b64 exec, exec, s[6:7]
	s_and_saveexec_b64 s[6:7], s[4:5]
	s_cbranch_execz .LBB28_596
.LBB28_595:
	v_bfe_u32 v10, v16, 16, 3
	v_ffbh_u32_e32 v15, v10
	v_min_u32_e32 v15, 32, v15
	v_lshrrev_b32_e32 v11, 19, v16
	v_subrev_u32_e32 v20, 28, v15
	v_and_b32_e32 v11, 15, v11
	v_lshlrev_b32_sdwa v20, v20, v16 dst_sel:DWORD dst_unused:UNUSED_PAD src0_sel:DWORD src1_sel:WORD_1
	v_bfe_u32 v14, v16, 19, 4
	v_sub_u32_e32 v15, 29, v15
	v_and_b32_e32 v20, 7, v20
	v_cmp_eq_u16_e32 vcc, 0, v11
	v_cndmask_b32_e32 v10, v10, v20, vcc
	v_cndmask_b32_e32 v11, v14, v15, vcc
	v_lshlrev_b32_e32 v14, 8, v16
	v_mov_b32_e32 v15, 0x3b800000
	v_lshlrev_b32_e32 v10, 20, v10
	v_and_b32_e32 v14, 0x80000000, v14
	v_lshl_add_u32 v11, v11, 23, v15
	v_or3_b32 v10, v14, v11, v10
.LBB28_596:
	s_or_b64 exec, exec, s[6:7]
	s_movk_i32 s4, 0xff
	v_and_b32_sdwa v11, v12, s4 dst_sel:DWORD dst_unused:UNUSED_PAD src0_sel:WORD_1 src1_sel:DWORD
	s_movk_i32 s4, 0x7f
	v_cmp_lt_i16_e32 vcc, s4, v11
	s_mov_b64 s[4:5], 0
                                        ; implicit-def: $sgpr10
	s_and_saveexec_b64 s[6:7], vcc
	s_xor_b64 s[6:7], exec, s[6:7]
	s_cbranch_execnz .LBB28_2645
; %bb.597:
	s_or_saveexec_b64 s[6:7], s[6:7]
	v_mov_b32_e32 v14, s10
	s_xor_b64 exec, exec, s[6:7]
	s_cbranch_execnz .LBB28_2648
.LBB28_598:
	s_or_b64 exec, exec, s[6:7]
	s_and_saveexec_b64 s[6:7], s[4:5]
	s_cbranch_execz .LBB28_600
.LBB28_599:
	v_bfe_u32 v11, v12, 16, 3
	v_ffbh_u32_e32 v20, v11
	v_min_u32_e32 v20, 32, v20
	v_lshrrev_b32_e32 v14, 19, v12
	v_subrev_u32_e32 v21, 28, v20
	v_and_b32_e32 v14, 15, v14
	v_lshlrev_b32_sdwa v21, v21, v12 dst_sel:DWORD dst_unused:UNUSED_PAD src0_sel:DWORD src1_sel:WORD_1
	v_bfe_u32 v15, v12, 19, 4
	v_sub_u32_e32 v20, 29, v20
	v_and_b32_e32 v21, 7, v21
	v_cmp_eq_u16_e32 vcc, 0, v14
	v_cndmask_b32_e32 v11, v11, v21, vcc
	v_cndmask_b32_e32 v14, v15, v20, vcc
	v_lshlrev_b32_e32 v15, 8, v12
	v_mov_b32_e32 v20, 0x3b800000
	v_lshlrev_b32_e32 v11, 20, v11
	v_and_b32_e32 v15, 0x80000000, v15
	v_lshl_add_u32 v14, v14, 23, v20
	v_or3_b32 v14, v15, v14, v11
.LBB28_600:
	s_or_b64 exec, exec, s[6:7]
	s_nop 0
	v_mfma_f32_16x16x4f32 a[0:3], v10, v14, a[0:3]
	s_movk_i32 s4, 0x7f
	v_cmp_gt_i16_sdwa s[6:7], v16, s4 src0_sel:BYTE_3 src1_sel:DWORD
	s_mov_b64 s[4:5], 0
                                        ; implicit-def: $sgpr10
	s_and_saveexec_b64 s[8:9], s[6:7]
	s_xor_b64 s[6:7], exec, s[8:9]
	s_cbranch_execnz .LBB28_2649
; %bb.601:
	s_or_saveexec_b64 s[6:7], s[6:7]
	v_mov_b32_e32 v10, s10
	s_xor_b64 exec, exec, s[6:7]
	s_cbranch_execnz .LBB28_2652
.LBB28_602:
	s_or_b64 exec, exec, s[6:7]
	s_and_saveexec_b64 s[6:7], s[4:5]
	s_cbranch_execz .LBB28_604
.LBB28_603:
	v_bfe_u32 v10, v16, 24, 3
	v_ffbh_u32_e32 v20, v10
	v_min_u32_e32 v20, 32, v20
	v_lshrrev_b32_e32 v14, 27, v16
	v_subrev_u32_e32 v21, 28, v20
	v_and_b32_e32 v11, 0x80000000, v16
	v_and_b32_e32 v14, 15, v14
	v_bfe_u32 v15, v16, 27, 4
	v_lshlrev_b32_sdwa v16, v21, v16 dst_sel:DWORD dst_unused:UNUSED_PAD src0_sel:DWORD src1_sel:BYTE_3
	v_sub_u32_e32 v20, 29, v20
	v_and_b32_e32 v16, 7, v16
	v_cmp_eq_u16_e32 vcc, 0, v14
	v_cndmask_b32_e32 v10, v10, v16, vcc
	v_cndmask_b32_e32 v14, v15, v20, vcc
	v_mov_b32_e32 v15, 0x3b800000
	v_lshlrev_b32_e32 v10, 20, v10
	v_lshl_add_u32 v14, v14, 23, v15
	v_or3_b32 v10, v11, v14, v10
.LBB28_604:
	s_or_b64 exec, exec, s[6:7]
	s_movk_i32 s4, 0x7f
	v_cmp_gt_i16_sdwa s[6:7], v12, s4 src0_sel:BYTE_3 src1_sel:DWORD
	s_mov_b64 s[4:5], 0
                                        ; implicit-def: $sgpr10
	s_and_saveexec_b64 s[8:9], s[6:7]
	s_xor_b64 s[6:7], exec, s[8:9]
	s_cbranch_execnz .LBB28_2653
; %bb.605:
	s_or_saveexec_b64 s[6:7], s[6:7]
	v_mov_b32_e32 v11, s10
	s_xor_b64 exec, exec, s[6:7]
	s_cbranch_execnz .LBB28_2656
.LBB28_606:
	s_or_b64 exec, exec, s[6:7]
	s_and_saveexec_b64 s[6:7], s[4:5]
	s_cbranch_execz .LBB28_608
.LBB28_607:
	v_bfe_u32 v11, v12, 24, 3
	v_ffbh_u32_e32 v20, v11
	v_min_u32_e32 v20, 32, v20
	v_lshrrev_b32_e32 v15, 27, v12
	v_subrev_u32_e32 v21, 28, v20
	v_and_b32_e32 v14, 0x80000000, v12
	v_and_b32_e32 v15, 15, v15
	v_bfe_u32 v16, v12, 27, 4
	v_lshlrev_b32_sdwa v12, v21, v12 dst_sel:DWORD dst_unused:UNUSED_PAD src0_sel:DWORD src1_sel:BYTE_3
	v_sub_u32_e32 v20, 29, v20
	v_and_b32_e32 v12, 7, v12
	v_cmp_eq_u16_e32 vcc, 0, v15
	v_cndmask_b32_e32 v11, v11, v12, vcc
	v_cndmask_b32_e32 v12, v16, v20, vcc
	v_mov_b32_e32 v15, 0x3b800000
	v_lshlrev_b32_e32 v11, 20, v11
	v_lshl_add_u32 v12, v12, 23, v15
	v_or3_b32 v11, v14, v12, v11
.LBB28_608:
	s_or_b64 exec, exec, s[6:7]
	s_nop 0
	v_mfma_f32_16x16x4f32 a[0:3], v10, v11, a[0:3]
	s_movk_i32 s4, 0x7f
	v_cmp_gt_i16_sdwa s[6:7], v17, s4 src0_sel:BYTE_0 src1_sel:DWORD
	s_mov_b64 s[4:5], 0
                                        ; implicit-def: $sgpr10
	s_and_saveexec_b64 s[8:9], s[6:7]
	s_xor_b64 s[6:7], exec, s[8:9]
	s_cbranch_execnz .LBB28_2657
; %bb.609:
	s_or_saveexec_b64 s[6:7], s[6:7]
	v_mov_b32_e32 v10, s10
	s_xor_b64 exec, exec, s[6:7]
	s_cbranch_execnz .LBB28_2660
.LBB28_610:
	s_or_b64 exec, exec, s[6:7]
	s_and_saveexec_b64 s[6:7], s[4:5]
	s_cbranch_execz .LBB28_612
.LBB28_611:
	v_and_b32_e32 v10, 7, v17
	v_ffbh_u32_e32 v12, v10
	v_min_u32_e32 v12, 32, v12
	v_lshrrev_b16_e32 v11, 3, v17
	v_subrev_u32_e32 v14, 28, v12
	v_and_b32_e32 v11, 15, v11
	v_lshlrev_b32_e32 v14, v14, v17
	v_sub_u32_e32 v12, 29, v12
	v_and_b32_e32 v14, 7, v14
	v_cmp_eq_u16_e32 vcc, 0, v11
	v_cndmask_b32_e32 v10, v10, v14, vcc
	v_cndmask_b32_e32 v11, v11, v12, vcc
	v_lshlrev_b32_e32 v12, 24, v17
	v_mov_b32_e32 v14, 0x3b800000
	v_lshlrev_b32_e32 v10, 20, v10
	v_and_b32_e32 v12, 0x80000000, v12
	v_lshl_add_u32 v11, v11, 23, v14
	v_or3_b32 v10, v12, v11, v10
.LBB28_612:
	s_or_b64 exec, exec, s[6:7]
	s_movk_i32 s4, 0x7f
	v_cmp_gt_i16_sdwa s[6:7], v13, s4 src0_sel:BYTE_0 src1_sel:DWORD
	s_mov_b64 s[4:5], 0
                                        ; implicit-def: $sgpr10
	s_and_saveexec_b64 s[8:9], s[6:7]
	s_xor_b64 s[6:7], exec, s[8:9]
	s_cbranch_execnz .LBB28_2661
; %bb.613:
	s_or_saveexec_b64 s[6:7], s[6:7]
	v_mov_b32_e32 v11, s10
	s_xor_b64 exec, exec, s[6:7]
	s_cbranch_execnz .LBB28_2664
.LBB28_614:
	s_or_b64 exec, exec, s[6:7]
	s_and_saveexec_b64 s[6:7], s[4:5]
	s_cbranch_execz .LBB28_616
.LBB28_615:
	v_and_b32_e32 v11, 7, v13
	v_ffbh_u32_e32 v14, v11
	v_min_u32_e32 v14, 32, v14
	v_lshrrev_b16_e32 v12, 3, v13
	v_subrev_u32_e32 v15, 28, v14
	v_and_b32_e32 v12, 15, v12
	v_lshlrev_b32_e32 v15, v15, v13
	v_sub_u32_e32 v14, 29, v14
	v_and_b32_e32 v15, 7, v15
	v_cmp_eq_u16_e32 vcc, 0, v12
	v_cndmask_b32_e32 v11, v11, v15, vcc
	v_cndmask_b32_e32 v12, v12, v14, vcc
	v_lshlrev_b32_e32 v14, 24, v13
	v_mov_b32_e32 v15, 0x3b800000
	v_lshlrev_b32_e32 v11, 20, v11
	v_and_b32_e32 v14, 0x80000000, v14
	v_lshl_add_u32 v12, v12, 23, v15
	v_or3_b32 v11, v14, v12, v11
.LBB28_616:
	s_or_b64 exec, exec, s[6:7]
	s_nop 0
	v_mfma_f32_16x16x4f32 a[0:3], v10, v11, a[0:3]
	v_lshrrev_b32_e32 v11, 8, v17
	s_movk_i32 s4, 0x7f
	v_cmp_gt_i16_sdwa s[6:7], v11, s4 src0_sel:BYTE_0 src1_sel:DWORD
	s_mov_b64 s[4:5], 0
                                        ; implicit-def: $sgpr10
	s_and_saveexec_b64 s[8:9], s[6:7]
	s_xor_b64 s[6:7], exec, s[8:9]
	s_cbranch_execnz .LBB28_2665
; %bb.617:
	s_or_saveexec_b64 s[6:7], s[6:7]
	v_mov_b32_e32 v10, s10
	s_xor_b64 exec, exec, s[6:7]
	s_cbranch_execnz .LBB28_2668
.LBB28_618:
	s_or_b64 exec, exec, s[6:7]
	s_and_saveexec_b64 s[6:7], s[4:5]
	s_cbranch_execz .LBB28_620
.LBB28_619:
	v_bfe_u32 v10, v17, 8, 3
	v_ffbh_u32_e32 v14, v10
	v_min_u32_e32 v14, 32, v14
	v_lshrrev_b16_e32 v12, 3, v11
	v_subrev_u32_e32 v15, 28, v14
	v_and_b32_e32 v12, 15, v12
	v_lshlrev_b32_e32 v11, v15, v11
	v_sub_u32_e32 v14, 29, v14
	v_and_b32_e32 v11, 7, v11
	v_cmp_eq_u16_e32 vcc, 0, v12
	v_cndmask_b32_e32 v10, v10, v11, vcc
	v_cndmask_b32_e32 v11, v12, v14, vcc
	v_lshlrev_b32_e32 v12, 16, v17
	v_mov_b32_e32 v14, 0x3b800000
	v_lshlrev_b32_e32 v10, 20, v10
	v_and_b32_e32 v12, 0x80000000, v12
	v_lshl_add_u32 v11, v11, 23, v14
	v_or3_b32 v10, v12, v11, v10
.LBB28_620:
	s_or_b64 exec, exec, s[6:7]
	v_lshrrev_b32_e32 v11, 8, v13
	s_movk_i32 s4, 0x7f
	v_cmp_gt_i16_sdwa s[6:7], v11, s4 src0_sel:BYTE_0 src1_sel:DWORD
	s_mov_b64 s[4:5], 0
                                        ; implicit-def: $sgpr10
	s_and_saveexec_b64 s[8:9], s[6:7]
	s_xor_b64 s[6:7], exec, s[8:9]
	s_cbranch_execnz .LBB28_2669
; %bb.621:
	s_or_saveexec_b64 s[6:7], s[6:7]
	v_mov_b32_e32 v12, s10
	s_xor_b64 exec, exec, s[6:7]
	s_cbranch_execnz .LBB28_2672
.LBB28_622:
	s_or_b64 exec, exec, s[6:7]
	s_and_saveexec_b64 s[6:7], s[4:5]
	s_cbranch_execz .LBB28_624
.LBB28_623:
	v_bfe_u32 v12, v13, 8, 3
	v_ffbh_u32_e32 v15, v12
	v_min_u32_e32 v15, 32, v15
	v_lshrrev_b16_e32 v14, 3, v11
	v_subrev_u32_e32 v16, 28, v15
	v_and_b32_e32 v14, 15, v14
	v_lshlrev_b32_e32 v11, v16, v11
	v_sub_u32_e32 v15, 29, v15
	v_and_b32_e32 v11, 7, v11
	v_cmp_eq_u16_e32 vcc, 0, v14
	v_cndmask_b32_e32 v11, v12, v11, vcc
	v_cndmask_b32_e32 v12, v14, v15, vcc
	v_lshlrev_b32_e32 v14, 16, v13
	v_mov_b32_e32 v15, 0x3b800000
	v_lshlrev_b32_e32 v11, 20, v11
	v_and_b32_e32 v14, 0x80000000, v14
	v_lshl_add_u32 v12, v12, 23, v15
	v_or3_b32 v12, v14, v12, v11
.LBB28_624:
	s_or_b64 exec, exec, s[6:7]
	s_nop 0
	v_mfma_f32_16x16x4f32 a[0:3], v10, v12, a[0:3]
	s_movk_i32 s4, 0xff
	v_and_b32_sdwa v11, v17, s4 dst_sel:DWORD dst_unused:UNUSED_PAD src0_sel:WORD_1 src1_sel:DWORD
	s_movk_i32 s4, 0x7f
	v_cmp_lt_i16_e32 vcc, s4, v11
	s_mov_b64 s[4:5], 0
                                        ; implicit-def: $sgpr10
	s_and_saveexec_b64 s[6:7], vcc
	s_xor_b64 s[6:7], exec, s[6:7]
	s_cbranch_execnz .LBB28_2673
; %bb.625:
	s_or_saveexec_b64 s[6:7], s[6:7]
	v_mov_b32_e32 v10, s10
	s_xor_b64 exec, exec, s[6:7]
	s_cbranch_execnz .LBB28_2676
.LBB28_626:
	s_or_b64 exec, exec, s[6:7]
	s_and_saveexec_b64 s[6:7], s[4:5]
	s_cbranch_execz .LBB28_628
.LBB28_627:
	v_bfe_u32 v10, v17, 16, 3
	v_ffbh_u32_e32 v14, v10
	v_min_u32_e32 v14, 32, v14
	v_lshrrev_b32_e32 v11, 19, v17
	v_subrev_u32_e32 v15, 28, v14
	v_and_b32_e32 v11, 15, v11
	v_lshlrev_b32_sdwa v15, v15, v17 dst_sel:DWORD dst_unused:UNUSED_PAD src0_sel:DWORD src1_sel:WORD_1
	v_bfe_u32 v12, v17, 19, 4
	v_sub_u32_e32 v14, 29, v14
	v_and_b32_e32 v15, 7, v15
	v_cmp_eq_u16_e32 vcc, 0, v11
	v_cndmask_b32_e32 v10, v10, v15, vcc
	v_cndmask_b32_e32 v11, v12, v14, vcc
	v_lshlrev_b32_e32 v12, 8, v17
	v_mov_b32_e32 v14, 0x3b800000
	v_lshlrev_b32_e32 v10, 20, v10
	v_and_b32_e32 v12, 0x80000000, v12
	v_lshl_add_u32 v11, v11, 23, v14
	v_or3_b32 v10, v12, v11, v10
.LBB28_628:
	s_or_b64 exec, exec, s[6:7]
	s_movk_i32 s4, 0xff
	v_and_b32_sdwa v11, v13, s4 dst_sel:DWORD dst_unused:UNUSED_PAD src0_sel:WORD_1 src1_sel:DWORD
	s_movk_i32 s4, 0x7f
	v_cmp_lt_i16_e32 vcc, s4, v11
	s_mov_b64 s[4:5], 0
                                        ; implicit-def: $sgpr10
	s_and_saveexec_b64 s[6:7], vcc
	s_xor_b64 s[6:7], exec, s[6:7]
	s_cbranch_execnz .LBB28_2677
; %bb.629:
	s_or_saveexec_b64 s[6:7], s[6:7]
	v_mov_b32_e32 v12, s10
	s_xor_b64 exec, exec, s[6:7]
	s_cbranch_execnz .LBB28_2680
.LBB28_630:
	s_or_b64 exec, exec, s[6:7]
	s_and_saveexec_b64 s[6:7], s[4:5]
	s_cbranch_execz .LBB28_632
.LBB28_631:
	v_bfe_u32 v11, v13, 16, 3
	v_ffbh_u32_e32 v15, v11
	v_min_u32_e32 v15, 32, v15
	v_lshrrev_b32_e32 v12, 19, v13
	v_subrev_u32_e32 v16, 28, v15
	v_and_b32_e32 v12, 15, v12
	v_lshlrev_b32_sdwa v16, v16, v13 dst_sel:DWORD dst_unused:UNUSED_PAD src0_sel:DWORD src1_sel:WORD_1
	v_bfe_u32 v14, v13, 19, 4
	v_sub_u32_e32 v15, 29, v15
	v_and_b32_e32 v16, 7, v16
	v_cmp_eq_u16_e32 vcc, 0, v12
	v_cndmask_b32_e32 v11, v11, v16, vcc
	v_cndmask_b32_e32 v12, v14, v15, vcc
	v_lshlrev_b32_e32 v14, 8, v13
	v_mov_b32_e32 v15, 0x3b800000
	v_lshlrev_b32_e32 v11, 20, v11
	v_and_b32_e32 v14, 0x80000000, v14
	v_lshl_add_u32 v12, v12, 23, v15
	v_or3_b32 v12, v14, v12, v11
.LBB28_632:
	s_or_b64 exec, exec, s[6:7]
	s_nop 0
	v_mfma_f32_16x16x4f32 a[0:3], v10, v12, a[0:3]
	s_movk_i32 s4, 0x7f
	v_cmp_gt_i16_sdwa s[6:7], v17, s4 src0_sel:BYTE_3 src1_sel:DWORD
	s_mov_b64 s[4:5], 0
                                        ; implicit-def: $sgpr10
	s_and_saveexec_b64 s[8:9], s[6:7]
	s_xor_b64 s[6:7], exec, s[8:9]
	s_cbranch_execnz .LBB28_2681
; %bb.633:
	s_or_saveexec_b64 s[6:7], s[6:7]
	v_mov_b32_e32 v10, s10
	s_xor_b64 exec, exec, s[6:7]
	s_cbranch_execnz .LBB28_2684
.LBB28_634:
	s_or_b64 exec, exec, s[6:7]
	s_and_saveexec_b64 s[6:7], s[4:5]
	s_cbranch_execz .LBB28_636
.LBB28_635:
	v_bfe_u32 v10, v17, 24, 3
	v_ffbh_u32_e32 v15, v10
	v_min_u32_e32 v15, 32, v15
	v_lshrrev_b32_e32 v12, 27, v17
	v_subrev_u32_e32 v16, 28, v15
	v_and_b32_e32 v12, 15, v12
	v_lshlrev_b32_sdwa v16, v16, v17 dst_sel:DWORD dst_unused:UNUSED_PAD src0_sel:DWORD src1_sel:BYTE_3
	v_bfe_u32 v14, v17, 27, 4
	v_sub_u32_e32 v15, 29, v15
	v_and_b32_e32 v16, 7, v16
	v_cmp_eq_u16_e32 vcc, 0, v12
	v_cndmask_b32_e32 v10, v10, v16, vcc
	v_cndmask_b32_e32 v12, v14, v15, vcc
	v_mov_b32_e32 v14, 0x3b800000
	v_and_b32_e32 v11, 0x80000000, v17
	v_lshlrev_b32_e32 v10, 20, v10
	v_lshl_add_u32 v12, v12, 23, v14
	v_or3_b32 v10, v11, v12, v10
.LBB28_636:
	s_or_b64 exec, exec, s[6:7]
	s_movk_i32 s4, 0x7f
	v_cmp_gt_i16_sdwa s[6:7], v13, s4 src0_sel:BYTE_3 src1_sel:DWORD
	s_mov_b64 s[4:5], 0
                                        ; implicit-def: $sgpr10
	s_and_saveexec_b64 s[8:9], s[6:7]
	s_xor_b64 s[6:7], exec, s[8:9]
	s_cbranch_execnz .LBB28_2685
; %bb.637:
	s_or_saveexec_b64 s[6:7], s[6:7]
	v_mov_b32_e32 v11, s10
	s_xor_b64 exec, exec, s[6:7]
	s_cbranch_execnz .LBB28_2688
.LBB28_638:
	s_or_b64 exec, exec, s[6:7]
	s_and_saveexec_b64 s[6:7], s[4:5]
	s_cbranch_execz .LBB28_640
.LBB28_639:
	v_bfe_u32 v11, v13, 24, 3
	v_ffbh_u32_e32 v16, v11
	v_min_u32_e32 v16, 32, v16
	v_lshrrev_b32_e32 v14, 27, v13
	v_subrev_u32_e32 v17, 28, v16
	v_and_b32_e32 v12, 0x80000000, v13
	v_and_b32_e32 v14, 15, v14
	v_bfe_u32 v15, v13, 27, 4
	v_lshlrev_b32_sdwa v13, v17, v13 dst_sel:DWORD dst_unused:UNUSED_PAD src0_sel:DWORD src1_sel:BYTE_3
	v_sub_u32_e32 v16, 29, v16
	v_and_b32_e32 v13, 7, v13
	v_cmp_eq_u16_e32 vcc, 0, v14
	v_cndmask_b32_e32 v11, v11, v13, vcc
	v_cndmask_b32_e32 v13, v15, v16, vcc
	v_mov_b32_e32 v14, 0x3b800000
	v_lshlrev_b32_e32 v11, 20, v11
	v_lshl_add_u32 v13, v13, 23, v14
	v_or3_b32 v11, v12, v13, v11
.LBB28_640:
	s_or_b64 exec, exec, s[6:7]
	s_nop 0
	v_mfma_f32_16x16x4f32 a[0:3], v10, v11, a[0:3]
	s_movk_i32 s4, 0x7f
	v_cmp_gt_i16_sdwa s[6:7], v6, s4 src0_sel:BYTE_0 src1_sel:DWORD
	s_mov_b64 s[4:5], 0
                                        ; implicit-def: $sgpr10
	s_and_saveexec_b64 s[8:9], s[6:7]
	s_xor_b64 s[6:7], exec, s[8:9]
	s_cbranch_execnz .LBB28_2689
; %bb.641:
	s_or_saveexec_b64 s[6:7], s[6:7]
	v_mov_b32_e32 v10, s10
	s_xor_b64 exec, exec, s[6:7]
	s_cbranch_execnz .LBB28_2692
.LBB28_642:
	s_or_b64 exec, exec, s[6:7]
	s_and_saveexec_b64 s[6:7], s[4:5]
	s_cbranch_execz .LBB28_644
.LBB28_643:
	v_and_b32_e32 v10, 7, v6
	v_ffbh_u32_e32 v12, v10
	v_min_u32_e32 v12, 32, v12
	v_lshrrev_b16_e32 v11, 3, v6
	v_subrev_u32_e32 v13, 28, v12
	v_and_b32_e32 v11, 15, v11
	v_lshlrev_b32_e32 v13, v13, v6
	v_sub_u32_e32 v12, 29, v12
	v_and_b32_e32 v13, 7, v13
	v_cmp_eq_u16_e32 vcc, 0, v11
	v_cndmask_b32_e32 v10, v10, v13, vcc
	v_cndmask_b32_e32 v11, v11, v12, vcc
	v_lshlrev_b32_e32 v12, 24, v6
	v_mov_b32_e32 v13, 0x3b800000
	v_lshlrev_b32_e32 v10, 20, v10
	v_and_b32_e32 v12, 0x80000000, v12
	v_lshl_add_u32 v11, v11, 23, v13
	v_or3_b32 v10, v12, v11, v10
.LBB28_644:
	s_or_b64 exec, exec, s[6:7]
	s_movk_i32 s4, 0x7f
	v_cmp_gt_i16_sdwa s[6:7], v2, s4 src0_sel:BYTE_0 src1_sel:DWORD
	s_mov_b64 s[4:5], 0
                                        ; implicit-def: $sgpr10
	s_and_saveexec_b64 s[8:9], s[6:7]
	s_xor_b64 s[6:7], exec, s[8:9]
	s_cbranch_execnz .LBB28_2693
; %bb.645:
	s_or_saveexec_b64 s[6:7], s[6:7]
	v_mov_b32_e32 v11, s10
	s_xor_b64 exec, exec, s[6:7]
	s_cbranch_execnz .LBB28_2696
.LBB28_646:
	s_or_b64 exec, exec, s[6:7]
	s_and_saveexec_b64 s[6:7], s[4:5]
	s_cbranch_execz .LBB28_648
.LBB28_647:
	v_and_b32_e32 v11, 7, v2
	v_ffbh_u32_e32 v13, v11
	v_min_u32_e32 v13, 32, v13
	v_lshrrev_b16_e32 v12, 3, v2
	v_subrev_u32_e32 v14, 28, v13
	v_and_b32_e32 v12, 15, v12
	v_lshlrev_b32_e32 v14, v14, v2
	v_sub_u32_e32 v13, 29, v13
	v_and_b32_e32 v14, 7, v14
	v_cmp_eq_u16_e32 vcc, 0, v12
	v_cndmask_b32_e32 v11, v11, v14, vcc
	v_cndmask_b32_e32 v12, v12, v13, vcc
	v_lshlrev_b32_e32 v13, 24, v2
	v_mov_b32_e32 v14, 0x3b800000
	v_lshlrev_b32_e32 v11, 20, v11
	v_and_b32_e32 v13, 0x80000000, v13
	v_lshl_add_u32 v12, v12, 23, v14
	v_or3_b32 v11, v13, v12, v11
.LBB28_648:
	s_or_b64 exec, exec, s[6:7]
	s_nop 0
	v_mfma_f32_16x16x4f32 a[0:3], v10, v11, a[0:3]
	v_lshrrev_b32_e32 v11, 8, v6
	s_movk_i32 s4, 0x7f
	v_cmp_gt_i16_sdwa s[6:7], v11, s4 src0_sel:BYTE_0 src1_sel:DWORD
	s_mov_b64 s[4:5], 0
                                        ; implicit-def: $sgpr10
	s_and_saveexec_b64 s[8:9], s[6:7]
	s_xor_b64 s[6:7], exec, s[8:9]
	s_cbranch_execnz .LBB28_2697
; %bb.649:
	s_or_saveexec_b64 s[6:7], s[6:7]
	v_mov_b32_e32 v10, s10
	s_xor_b64 exec, exec, s[6:7]
	s_cbranch_execnz .LBB28_2700
.LBB28_650:
	s_or_b64 exec, exec, s[6:7]
	s_and_saveexec_b64 s[6:7], s[4:5]
	s_cbranch_execz .LBB28_652
.LBB28_651:
	v_bfe_u32 v10, v6, 8, 3
	v_ffbh_u32_e32 v13, v10
	v_min_u32_e32 v13, 32, v13
	v_lshrrev_b16_e32 v12, 3, v11
	v_subrev_u32_e32 v14, 28, v13
	v_and_b32_e32 v12, 15, v12
	v_lshlrev_b32_e32 v11, v14, v11
	v_sub_u32_e32 v13, 29, v13
	v_and_b32_e32 v11, 7, v11
	v_cmp_eq_u16_e32 vcc, 0, v12
	v_cndmask_b32_e32 v10, v10, v11, vcc
	v_cndmask_b32_e32 v11, v12, v13, vcc
	v_lshlrev_b32_e32 v12, 16, v6
	v_mov_b32_e32 v13, 0x3b800000
	v_lshlrev_b32_e32 v10, 20, v10
	v_and_b32_e32 v12, 0x80000000, v12
	v_lshl_add_u32 v11, v11, 23, v13
	v_or3_b32 v10, v12, v11, v10
.LBB28_652:
	s_or_b64 exec, exec, s[6:7]
	v_lshrrev_b32_e32 v11, 8, v2
	s_movk_i32 s4, 0x7f
	v_cmp_gt_i16_sdwa s[6:7], v11, s4 src0_sel:BYTE_0 src1_sel:DWORD
	s_mov_b64 s[4:5], 0
                                        ; implicit-def: $sgpr10
	s_and_saveexec_b64 s[8:9], s[6:7]
	s_xor_b64 s[6:7], exec, s[8:9]
	s_cbranch_execnz .LBB28_2701
; %bb.653:
	s_or_saveexec_b64 s[6:7], s[6:7]
	v_mov_b32_e32 v12, s10
	s_xor_b64 exec, exec, s[6:7]
	s_cbranch_execnz .LBB28_2704
.LBB28_654:
	s_or_b64 exec, exec, s[6:7]
	s_and_saveexec_b64 s[6:7], s[4:5]
	s_cbranch_execz .LBB28_656
.LBB28_655:
	v_bfe_u32 v12, v2, 8, 3
	v_ffbh_u32_e32 v14, v12
	v_min_u32_e32 v14, 32, v14
	v_lshrrev_b16_e32 v13, 3, v11
	v_subrev_u32_e32 v15, 28, v14
	v_and_b32_e32 v13, 15, v13
	v_lshlrev_b32_e32 v11, v15, v11
	v_sub_u32_e32 v14, 29, v14
	v_and_b32_e32 v11, 7, v11
	v_cmp_eq_u16_e32 vcc, 0, v13
	v_cndmask_b32_e32 v11, v12, v11, vcc
	v_cndmask_b32_e32 v12, v13, v14, vcc
	v_lshlrev_b32_e32 v13, 16, v2
	v_mov_b32_e32 v14, 0x3b800000
	v_lshlrev_b32_e32 v11, 20, v11
	v_and_b32_e32 v13, 0x80000000, v13
	v_lshl_add_u32 v12, v12, 23, v14
	v_or3_b32 v12, v13, v12, v11
.LBB28_656:
	s_or_b64 exec, exec, s[6:7]
	s_nop 0
	v_mfma_f32_16x16x4f32 a[0:3], v10, v12, a[0:3]
	s_movk_i32 s4, 0xff
	v_and_b32_sdwa v11, v6, s4 dst_sel:DWORD dst_unused:UNUSED_PAD src0_sel:WORD_1 src1_sel:DWORD
	s_movk_i32 s4, 0x7f
	v_cmp_lt_i16_e32 vcc, s4, v11
	s_mov_b64 s[4:5], 0
                                        ; implicit-def: $sgpr10
	s_and_saveexec_b64 s[6:7], vcc
	s_xor_b64 s[6:7], exec, s[6:7]
	s_cbranch_execnz .LBB28_2705
; %bb.657:
	s_or_saveexec_b64 s[6:7], s[6:7]
	v_mov_b32_e32 v10, s10
	s_xor_b64 exec, exec, s[6:7]
	s_cbranch_execnz .LBB28_2708
.LBB28_658:
	s_or_b64 exec, exec, s[6:7]
	s_and_saveexec_b64 s[6:7], s[4:5]
	s_cbranch_execz .LBB28_660
.LBB28_659:
	v_bfe_u32 v10, v6, 16, 3
	v_ffbh_u32_e32 v13, v10
	v_min_u32_e32 v13, 32, v13
	v_lshrrev_b32_e32 v11, 19, v6
	v_subrev_u32_e32 v14, 28, v13
	v_and_b32_e32 v11, 15, v11
	v_lshlrev_b32_sdwa v14, v14, v6 dst_sel:DWORD dst_unused:UNUSED_PAD src0_sel:DWORD src1_sel:WORD_1
	v_bfe_u32 v12, v6, 19, 4
	v_sub_u32_e32 v13, 29, v13
	v_and_b32_e32 v14, 7, v14
	v_cmp_eq_u16_e32 vcc, 0, v11
	v_cndmask_b32_e32 v10, v10, v14, vcc
	v_cndmask_b32_e32 v11, v12, v13, vcc
	v_lshlrev_b32_e32 v12, 8, v6
	v_mov_b32_e32 v13, 0x3b800000
	v_lshlrev_b32_e32 v10, 20, v10
	v_and_b32_e32 v12, 0x80000000, v12
	v_lshl_add_u32 v11, v11, 23, v13
	v_or3_b32 v10, v12, v11, v10
.LBB28_660:
	s_or_b64 exec, exec, s[6:7]
	s_movk_i32 s4, 0xff
	v_and_b32_sdwa v11, v2, s4 dst_sel:DWORD dst_unused:UNUSED_PAD src0_sel:WORD_1 src1_sel:DWORD
	s_movk_i32 s4, 0x7f
	v_cmp_lt_i16_e32 vcc, s4, v11
	s_mov_b64 s[4:5], 0
                                        ; implicit-def: $sgpr10
	s_and_saveexec_b64 s[6:7], vcc
	s_xor_b64 s[6:7], exec, s[6:7]
	s_cbranch_execnz .LBB28_2709
; %bb.661:
	s_or_saveexec_b64 s[6:7], s[6:7]
	v_mov_b32_e32 v12, s10
	s_xor_b64 exec, exec, s[6:7]
	s_cbranch_execnz .LBB28_2712
.LBB28_662:
	s_or_b64 exec, exec, s[6:7]
	s_and_saveexec_b64 s[6:7], s[4:5]
	s_cbranch_execz .LBB28_664
.LBB28_663:
	v_bfe_u32 v11, v2, 16, 3
	v_ffbh_u32_e32 v14, v11
	v_min_u32_e32 v14, 32, v14
	v_lshrrev_b32_e32 v12, 19, v2
	v_subrev_u32_e32 v15, 28, v14
	v_and_b32_e32 v12, 15, v12
	v_lshlrev_b32_sdwa v15, v15, v2 dst_sel:DWORD dst_unused:UNUSED_PAD src0_sel:DWORD src1_sel:WORD_1
	v_bfe_u32 v13, v2, 19, 4
	v_sub_u32_e32 v14, 29, v14
	v_and_b32_e32 v15, 7, v15
	v_cmp_eq_u16_e32 vcc, 0, v12
	v_cndmask_b32_e32 v11, v11, v15, vcc
	v_cndmask_b32_e32 v12, v13, v14, vcc
	v_lshlrev_b32_e32 v13, 8, v2
	v_mov_b32_e32 v14, 0x3b800000
	v_lshlrev_b32_e32 v11, 20, v11
	v_and_b32_e32 v13, 0x80000000, v13
	v_lshl_add_u32 v12, v12, 23, v14
	v_or3_b32 v12, v13, v12, v11
.LBB28_664:
	s_or_b64 exec, exec, s[6:7]
	s_nop 0
	v_mfma_f32_16x16x4f32 a[0:3], v10, v12, a[0:3]
	s_movk_i32 s4, 0x7f
	v_cmp_gt_i16_sdwa s[6:7], v6, s4 src0_sel:BYTE_3 src1_sel:DWORD
	s_mov_b64 s[4:5], 0
                                        ; implicit-def: $sgpr10
	s_and_saveexec_b64 s[8:9], s[6:7]
	s_xor_b64 s[6:7], exec, s[8:9]
	s_cbranch_execnz .LBB28_2713
; %bb.665:
	s_or_saveexec_b64 s[6:7], s[6:7]
	v_mov_b32_e32 v10, s10
	s_xor_b64 exec, exec, s[6:7]
	s_cbranch_execnz .LBB28_2716
.LBB28_666:
	s_or_b64 exec, exec, s[6:7]
	s_and_saveexec_b64 s[6:7], s[4:5]
	s_cbranch_execz .LBB28_668
.LBB28_667:
	v_bfe_u32 v10, v6, 24, 3
	v_ffbh_u32_e32 v14, v10
	v_min_u32_e32 v14, 32, v14
	v_lshrrev_b32_e32 v12, 27, v6
	v_subrev_u32_e32 v15, 28, v14
	v_and_b32_e32 v11, 0x80000000, v6
	v_and_b32_e32 v12, 15, v12
	v_bfe_u32 v13, v6, 27, 4
	v_lshlrev_b32_sdwa v6, v15, v6 dst_sel:DWORD dst_unused:UNUSED_PAD src0_sel:DWORD src1_sel:BYTE_3
	v_sub_u32_e32 v14, 29, v14
	v_and_b32_e32 v6, 7, v6
	v_cmp_eq_u16_e32 vcc, 0, v12
	v_cndmask_b32_e32 v6, v10, v6, vcc
	v_cndmask_b32_e32 v10, v13, v14, vcc
	v_mov_b32_e32 v12, 0x3b800000
	v_lshlrev_b32_e32 v6, 20, v6
	v_lshl_add_u32 v10, v10, 23, v12
	v_or3_b32 v10, v11, v10, v6
.LBB28_668:
	s_or_b64 exec, exec, s[6:7]
	s_movk_i32 s4, 0x7f
	v_cmp_gt_i16_sdwa s[6:7], v2, s4 src0_sel:BYTE_3 src1_sel:DWORD
	s_mov_b64 s[4:5], 0
                                        ; implicit-def: $sgpr10
	s_and_saveexec_b64 s[8:9], s[6:7]
	s_xor_b64 s[6:7], exec, s[8:9]
	s_cbranch_execnz .LBB28_2717
; %bb.669:
	s_or_saveexec_b64 s[6:7], s[6:7]
	v_mov_b32_e32 v6, s10
	s_xor_b64 exec, exec, s[6:7]
	s_cbranch_execnz .LBB28_2720
.LBB28_670:
	s_or_b64 exec, exec, s[6:7]
	s_and_saveexec_b64 s[6:7], s[4:5]
	s_cbranch_execz .LBB28_672
.LBB28_671:
	v_bfe_u32 v6, v2, 24, 3
	v_ffbh_u32_e32 v14, v6
	v_min_u32_e32 v14, 32, v14
	v_lshrrev_b32_e32 v12, 27, v2
	v_subrev_u32_e32 v15, 28, v14
	v_and_b32_e32 v11, 0x80000000, v2
	v_and_b32_e32 v12, 15, v12
	v_bfe_u32 v13, v2, 27, 4
	v_lshlrev_b32_sdwa v2, v15, v2 dst_sel:DWORD dst_unused:UNUSED_PAD src0_sel:DWORD src1_sel:BYTE_3
	v_sub_u32_e32 v14, 29, v14
	v_and_b32_e32 v2, 7, v2
	v_cmp_eq_u16_e32 vcc, 0, v12
	v_cndmask_b32_e32 v2, v6, v2, vcc
	v_cndmask_b32_e32 v6, v13, v14, vcc
	v_mov_b32_e32 v12, 0x3b800000
	v_lshlrev_b32_e32 v2, 20, v2
	v_lshl_add_u32 v6, v6, 23, v12
	v_or3_b32 v6, v11, v6, v2
.LBB28_672:
	s_or_b64 exec, exec, s[6:7]
	s_nop 0
	v_mfma_f32_16x16x4f32 a[0:3], v10, v6, a[0:3]
	s_movk_i32 s4, 0x7f
	v_cmp_gt_i16_sdwa s[6:7], v7, s4 src0_sel:BYTE_0 src1_sel:DWORD
	s_mov_b64 s[4:5], 0
                                        ; implicit-def: $sgpr10
	s_and_saveexec_b64 s[8:9], s[6:7]
	s_xor_b64 s[6:7], exec, s[8:9]
	s_cbranch_execnz .LBB28_2721
; %bb.673:
	s_or_saveexec_b64 s[6:7], s[6:7]
	v_mov_b32_e32 v2, s10
	s_xor_b64 exec, exec, s[6:7]
	s_cbranch_execnz .LBB28_2724
.LBB28_674:
	s_or_b64 exec, exec, s[6:7]
	s_and_saveexec_b64 s[6:7], s[4:5]
	s_cbranch_execz .LBB28_676
.LBB28_675:
	v_and_b32_e32 v2, 7, v7
	v_ffbh_u32_e32 v10, v2
	v_min_u32_e32 v10, 32, v10
	v_lshrrev_b16_e32 v6, 3, v7
	v_subrev_u32_e32 v11, 28, v10
	v_and_b32_e32 v6, 15, v6
	v_lshlrev_b32_e32 v11, v11, v7
	v_sub_u32_e32 v10, 29, v10
	v_and_b32_e32 v11, 7, v11
	v_cmp_eq_u16_e32 vcc, 0, v6
	v_cndmask_b32_e32 v2, v2, v11, vcc
	v_cndmask_b32_e32 v6, v6, v10, vcc
	v_lshlrev_b32_e32 v10, 24, v7
	v_mov_b32_e32 v11, 0x3b800000
	v_lshlrev_b32_e32 v2, 20, v2
	v_and_b32_e32 v10, 0x80000000, v10
	v_lshl_add_u32 v6, v6, 23, v11
	v_or3_b32 v2, v10, v6, v2
.LBB28_676:
	s_or_b64 exec, exec, s[6:7]
	s_movk_i32 s4, 0x7f
	v_cmp_gt_i16_sdwa s[6:7], v3, s4 src0_sel:BYTE_0 src1_sel:DWORD
	s_mov_b64 s[4:5], 0
                                        ; implicit-def: $sgpr10
	s_and_saveexec_b64 s[8:9], s[6:7]
	s_xor_b64 s[6:7], exec, s[8:9]
	s_cbranch_execnz .LBB28_2725
; %bb.677:
	s_or_saveexec_b64 s[6:7], s[6:7]
	v_mov_b32_e32 v6, s10
	s_xor_b64 exec, exec, s[6:7]
	s_cbranch_execnz .LBB28_2728
.LBB28_678:
	s_or_b64 exec, exec, s[6:7]
	s_and_saveexec_b64 s[6:7], s[4:5]
	s_cbranch_execz .LBB28_680
.LBB28_679:
	v_and_b32_e32 v6, 7, v3
	v_ffbh_u32_e32 v11, v6
	v_min_u32_e32 v11, 32, v11
	v_lshrrev_b16_e32 v10, 3, v3
	v_subrev_u32_e32 v12, 28, v11
	v_and_b32_e32 v10, 15, v10
	v_lshlrev_b32_e32 v12, v12, v3
	v_sub_u32_e32 v11, 29, v11
	v_and_b32_e32 v12, 7, v12
	v_cmp_eq_u16_e32 vcc, 0, v10
	v_cndmask_b32_e32 v6, v6, v12, vcc
	v_cndmask_b32_e32 v10, v10, v11, vcc
	v_lshlrev_b32_e32 v11, 24, v3
	v_mov_b32_e32 v12, 0x3b800000
	v_lshlrev_b32_e32 v6, 20, v6
	v_and_b32_e32 v11, 0x80000000, v11
	v_lshl_add_u32 v10, v10, 23, v12
	v_or3_b32 v6, v11, v10, v6
.LBB28_680:
	s_or_b64 exec, exec, s[6:7]
	s_nop 0
	v_mfma_f32_16x16x4f32 a[0:3], v2, v6, a[0:3]
	v_lshrrev_b32_e32 v6, 8, v7
	s_movk_i32 s4, 0x7f
	v_cmp_gt_i16_sdwa s[6:7], v6, s4 src0_sel:BYTE_0 src1_sel:DWORD
	s_mov_b64 s[4:5], 0
                                        ; implicit-def: $sgpr10
	s_and_saveexec_b64 s[8:9], s[6:7]
	s_xor_b64 s[6:7], exec, s[8:9]
	s_cbranch_execnz .LBB28_2729
; %bb.681:
	s_or_saveexec_b64 s[6:7], s[6:7]
	v_mov_b32_e32 v2, s10
	s_xor_b64 exec, exec, s[6:7]
	s_cbranch_execnz .LBB28_2732
.LBB28_682:
	s_or_b64 exec, exec, s[6:7]
	s_and_saveexec_b64 s[6:7], s[4:5]
	s_cbranch_execz .LBB28_684
.LBB28_683:
	v_bfe_u32 v2, v7, 8, 3
	v_ffbh_u32_e32 v11, v2
	v_min_u32_e32 v11, 32, v11
	v_lshrrev_b16_e32 v10, 3, v6
	v_subrev_u32_e32 v12, 28, v11
	v_and_b32_e32 v10, 15, v10
	v_lshlrev_b32_e32 v6, v12, v6
	v_sub_u32_e32 v11, 29, v11
	v_and_b32_e32 v6, 7, v6
	v_cmp_eq_u16_e32 vcc, 0, v10
	v_cndmask_b32_e32 v2, v2, v6, vcc
	v_cndmask_b32_e32 v6, v10, v11, vcc
	v_lshlrev_b32_e32 v10, 16, v7
	v_mov_b32_e32 v11, 0x3b800000
	v_lshlrev_b32_e32 v2, 20, v2
	v_and_b32_e32 v10, 0x80000000, v10
	v_lshl_add_u32 v6, v6, 23, v11
	v_or3_b32 v2, v10, v6, v2
.LBB28_684:
	s_or_b64 exec, exec, s[6:7]
	v_lshrrev_b32_e32 v6, 8, v3
	s_movk_i32 s4, 0x7f
	v_cmp_gt_i16_sdwa s[6:7], v6, s4 src0_sel:BYTE_0 src1_sel:DWORD
	s_mov_b64 s[4:5], 0
                                        ; implicit-def: $sgpr10
	s_and_saveexec_b64 s[8:9], s[6:7]
	s_xor_b64 s[6:7], exec, s[8:9]
	s_cbranch_execnz .LBB28_2733
; %bb.685:
	s_or_saveexec_b64 s[6:7], s[6:7]
	v_mov_b32_e32 v10, s10
	s_xor_b64 exec, exec, s[6:7]
	s_cbranch_execnz .LBB28_2736
.LBB28_686:
	s_or_b64 exec, exec, s[6:7]
	s_and_saveexec_b64 s[6:7], s[4:5]
	s_cbranch_execz .LBB28_688
.LBB28_687:
	v_bfe_u32 v10, v3, 8, 3
	v_ffbh_u32_e32 v12, v10
	v_min_u32_e32 v12, 32, v12
	v_lshrrev_b16_e32 v11, 3, v6
	v_subrev_u32_e32 v13, 28, v12
	v_and_b32_e32 v11, 15, v11
	v_lshlrev_b32_e32 v6, v13, v6
	v_sub_u32_e32 v12, 29, v12
	v_and_b32_e32 v6, 7, v6
	v_cmp_eq_u16_e32 vcc, 0, v11
	v_cndmask_b32_e32 v6, v10, v6, vcc
	v_cndmask_b32_e32 v10, v11, v12, vcc
	v_lshlrev_b32_e32 v11, 16, v3
	v_mov_b32_e32 v12, 0x3b800000
	v_lshlrev_b32_e32 v6, 20, v6
	v_and_b32_e32 v11, 0x80000000, v11
	v_lshl_add_u32 v10, v10, 23, v12
	v_or3_b32 v10, v11, v10, v6
.LBB28_688:
	s_or_b64 exec, exec, s[6:7]
	s_nop 0
	v_mfma_f32_16x16x4f32 a[0:3], v2, v10, a[0:3]
	s_movk_i32 s4, 0xff
	v_and_b32_sdwa v6, v7, s4 dst_sel:DWORD dst_unused:UNUSED_PAD src0_sel:WORD_1 src1_sel:DWORD
	s_movk_i32 s4, 0x7f
	v_cmp_lt_i16_e32 vcc, s4, v6
	s_mov_b64 s[4:5], 0
                                        ; implicit-def: $sgpr10
	s_and_saveexec_b64 s[6:7], vcc
	s_xor_b64 s[6:7], exec, s[6:7]
	s_cbranch_execnz .LBB28_2737
; %bb.689:
	s_or_saveexec_b64 s[6:7], s[6:7]
	v_mov_b32_e32 v2, s10
	s_xor_b64 exec, exec, s[6:7]
	s_cbranch_execnz .LBB28_2740
.LBB28_690:
	s_or_b64 exec, exec, s[6:7]
	s_and_saveexec_b64 s[6:7], s[4:5]
	s_cbranch_execz .LBB28_692
.LBB28_691:
	v_bfe_u32 v2, v7, 16, 3
	v_ffbh_u32_e32 v11, v2
	v_min_u32_e32 v11, 32, v11
	v_lshrrev_b32_e32 v6, 19, v7
	v_subrev_u32_e32 v12, 28, v11
	v_and_b32_e32 v6, 15, v6
	v_lshlrev_b32_sdwa v12, v12, v7 dst_sel:DWORD dst_unused:UNUSED_PAD src0_sel:DWORD src1_sel:WORD_1
	v_bfe_u32 v10, v7, 19, 4
	v_sub_u32_e32 v11, 29, v11
	v_and_b32_e32 v12, 7, v12
	v_cmp_eq_u16_e32 vcc, 0, v6
	v_cndmask_b32_e32 v2, v2, v12, vcc
	v_cndmask_b32_e32 v6, v10, v11, vcc
	v_lshlrev_b32_e32 v10, 8, v7
	v_mov_b32_e32 v11, 0x3b800000
	v_lshlrev_b32_e32 v2, 20, v2
	v_and_b32_e32 v10, 0x80000000, v10
	v_lshl_add_u32 v6, v6, 23, v11
	v_or3_b32 v2, v10, v6, v2
.LBB28_692:
	s_or_b64 exec, exec, s[6:7]
	s_movk_i32 s4, 0xff
	v_and_b32_sdwa v6, v3, s4 dst_sel:DWORD dst_unused:UNUSED_PAD src0_sel:WORD_1 src1_sel:DWORD
	s_movk_i32 s4, 0x7f
	v_cmp_lt_i16_e32 vcc, s4, v6
	s_mov_b64 s[4:5], 0
                                        ; implicit-def: $sgpr10
	s_and_saveexec_b64 s[6:7], vcc
	s_xor_b64 s[6:7], exec, s[6:7]
	s_cbranch_execnz .LBB28_2741
; %bb.693:
	s_or_saveexec_b64 s[6:7], s[6:7]
	v_mov_b32_e32 v10, s10
	s_xor_b64 exec, exec, s[6:7]
	s_cbranch_execnz .LBB28_2744
.LBB28_694:
	s_or_b64 exec, exec, s[6:7]
	s_and_saveexec_b64 s[6:7], s[4:5]
	s_cbranch_execz .LBB28_696
.LBB28_695:
	v_bfe_u32 v6, v3, 16, 3
	v_ffbh_u32_e32 v12, v6
	v_min_u32_e32 v12, 32, v12
	v_lshrrev_b32_e32 v10, 19, v3
	v_subrev_u32_e32 v13, 28, v12
	v_and_b32_e32 v10, 15, v10
	v_lshlrev_b32_sdwa v13, v13, v3 dst_sel:DWORD dst_unused:UNUSED_PAD src0_sel:DWORD src1_sel:WORD_1
	v_bfe_u32 v11, v3, 19, 4
	v_sub_u32_e32 v12, 29, v12
	v_and_b32_e32 v13, 7, v13
	v_cmp_eq_u16_e32 vcc, 0, v10
	v_cndmask_b32_e32 v6, v6, v13, vcc
	v_cndmask_b32_e32 v10, v11, v12, vcc
	v_lshlrev_b32_e32 v11, 8, v3
	v_mov_b32_e32 v12, 0x3b800000
	v_lshlrev_b32_e32 v6, 20, v6
	v_and_b32_e32 v11, 0x80000000, v11
	v_lshl_add_u32 v10, v10, 23, v12
	v_or3_b32 v10, v11, v10, v6
.LBB28_696:
	s_or_b64 exec, exec, s[6:7]
	s_nop 0
	v_mfma_f32_16x16x4f32 a[0:3], v2, v10, a[0:3]
	s_movk_i32 s4, 0x7f
	v_cmp_gt_i16_sdwa s[6:7], v7, s4 src0_sel:BYTE_3 src1_sel:DWORD
	s_mov_b64 s[4:5], 0
                                        ; implicit-def: $sgpr10
	s_and_saveexec_b64 s[8:9], s[6:7]
	s_xor_b64 s[6:7], exec, s[8:9]
	s_cbranch_execnz .LBB28_2745
; %bb.697:
	s_or_saveexec_b64 s[6:7], s[6:7]
	v_mov_b32_e32 v2, s10
	s_xor_b64 exec, exec, s[6:7]
	s_cbranch_execnz .LBB28_2748
.LBB28_698:
	s_or_b64 exec, exec, s[6:7]
	s_and_saveexec_b64 s[6:7], s[4:5]
	s_cbranch_execz .LBB28_700
.LBB28_699:
	v_bfe_u32 v2, v7, 24, 3
	v_ffbh_u32_e32 v12, v2
	v_min_u32_e32 v12, 32, v12
	v_lshrrev_b32_e32 v10, 27, v7
	v_subrev_u32_e32 v13, 28, v12
	v_and_b32_e32 v6, 0x80000000, v7
	v_and_b32_e32 v10, 15, v10
	v_bfe_u32 v11, v7, 27, 4
	v_lshlrev_b32_sdwa v7, v13, v7 dst_sel:DWORD dst_unused:UNUSED_PAD src0_sel:DWORD src1_sel:BYTE_3
	v_sub_u32_e32 v12, 29, v12
	v_and_b32_e32 v7, 7, v7
	v_cmp_eq_u16_e32 vcc, 0, v10
	v_cndmask_b32_e32 v2, v2, v7, vcc
	v_cndmask_b32_e32 v7, v11, v12, vcc
	v_mov_b32_e32 v10, 0x3b800000
	v_lshlrev_b32_e32 v2, 20, v2
	v_lshl_add_u32 v7, v7, 23, v10
	v_or3_b32 v2, v6, v7, v2
.LBB28_700:
	s_or_b64 exec, exec, s[6:7]
	s_movk_i32 s4, 0x7f
	v_cmp_gt_i16_sdwa s[6:7], v3, s4 src0_sel:BYTE_3 src1_sel:DWORD
	s_mov_b64 s[4:5], 0
                                        ; implicit-def: $sgpr10
	s_and_saveexec_b64 s[8:9], s[6:7]
	s_xor_b64 s[6:7], exec, s[8:9]
	s_cbranch_execnz .LBB28_2749
; %bb.701:
	s_or_saveexec_b64 s[6:7], s[6:7]
	v_mov_b32_e32 v6, s10
	s_xor_b64 exec, exec, s[6:7]
	s_cbranch_execnz .LBB28_2752
.LBB28_702:
	s_or_b64 exec, exec, s[6:7]
	s_and_saveexec_b64 s[6:7], s[4:5]
	s_cbranch_execz .LBB28_704
.LBB28_703:
	v_bfe_u32 v6, v3, 24, 3
	v_ffbh_u32_e32 v12, v6
	v_min_u32_e32 v12, 32, v12
	v_lshrrev_b32_e32 v10, 27, v3
	v_subrev_u32_e32 v13, 28, v12
	v_and_b32_e32 v7, 0x80000000, v3
	v_and_b32_e32 v10, 15, v10
	v_bfe_u32 v11, v3, 27, 4
	v_lshlrev_b32_sdwa v3, v13, v3 dst_sel:DWORD dst_unused:UNUSED_PAD src0_sel:DWORD src1_sel:BYTE_3
	v_sub_u32_e32 v12, 29, v12
	v_and_b32_e32 v3, 7, v3
	v_cmp_eq_u16_e32 vcc, 0, v10
	v_cndmask_b32_e32 v3, v6, v3, vcc
	v_cndmask_b32_e32 v6, v11, v12, vcc
	v_mov_b32_e32 v10, 0x3b800000
	v_lshlrev_b32_e32 v3, 20, v3
	v_lshl_add_u32 v6, v6, 23, v10
	v_or3_b32 v6, v7, v6, v3
.LBB28_704:
	s_or_b64 exec, exec, s[6:7]
	s_nop 0
	v_mfma_f32_16x16x4f32 a[0:3], v2, v6, a[0:3]
	s_movk_i32 s4, 0x7f
	v_cmp_gt_i16_sdwa s[6:7], v8, s4 src0_sel:BYTE_0 src1_sel:DWORD
	s_mov_b64 s[4:5], 0
                                        ; implicit-def: $sgpr10
	s_and_saveexec_b64 s[8:9], s[6:7]
	s_xor_b64 s[6:7], exec, s[8:9]
	s_cbranch_execnz .LBB28_2753
; %bb.705:
	s_or_saveexec_b64 s[6:7], s[6:7]
	v_mov_b32_e32 v2, s10
	s_xor_b64 exec, exec, s[6:7]
	s_cbranch_execnz .LBB28_2756
.LBB28_706:
	s_or_b64 exec, exec, s[6:7]
	s_and_saveexec_b64 s[6:7], s[4:5]
	s_cbranch_execz .LBB28_708
.LBB28_707:
	v_and_b32_e32 v2, 7, v8
	v_ffbh_u32_e32 v6, v2
	v_min_u32_e32 v6, 32, v6
	v_lshrrev_b16_e32 v3, 3, v8
	v_subrev_u32_e32 v7, 28, v6
	v_and_b32_e32 v3, 15, v3
	v_lshlrev_b32_e32 v7, v7, v8
	v_sub_u32_e32 v6, 29, v6
	v_and_b32_e32 v7, 7, v7
	v_cmp_eq_u16_e32 vcc, 0, v3
	v_cndmask_b32_e32 v2, v2, v7, vcc
	v_cndmask_b32_e32 v3, v3, v6, vcc
	v_lshlrev_b32_e32 v6, 24, v8
	v_mov_b32_e32 v7, 0x3b800000
	v_lshlrev_b32_e32 v2, 20, v2
	v_and_b32_e32 v6, 0x80000000, v6
	v_lshl_add_u32 v3, v3, 23, v7
	v_or3_b32 v2, v6, v3, v2
.LBB28_708:
	s_or_b64 exec, exec, s[6:7]
	s_movk_i32 s4, 0x7f
	v_cmp_gt_i16_sdwa s[6:7], v4, s4 src0_sel:BYTE_0 src1_sel:DWORD
	s_mov_b64 s[4:5], 0
                                        ; implicit-def: $sgpr10
	s_and_saveexec_b64 s[8:9], s[6:7]
	s_xor_b64 s[6:7], exec, s[8:9]
	s_cbranch_execnz .LBB28_2757
; %bb.709:
	s_or_saveexec_b64 s[6:7], s[6:7]
	v_mov_b32_e32 v3, s10
	s_xor_b64 exec, exec, s[6:7]
	s_cbranch_execnz .LBB28_2760
.LBB28_710:
	s_or_b64 exec, exec, s[6:7]
	s_and_saveexec_b64 s[6:7], s[4:5]
	s_cbranch_execz .LBB28_712
.LBB28_711:
	v_and_b32_e32 v3, 7, v4
	v_ffbh_u32_e32 v7, v3
	v_min_u32_e32 v7, 32, v7
	v_lshrrev_b16_e32 v6, 3, v4
	v_subrev_u32_e32 v10, 28, v7
	v_and_b32_e32 v6, 15, v6
	v_lshlrev_b32_e32 v10, v10, v4
	v_sub_u32_e32 v7, 29, v7
	v_and_b32_e32 v10, 7, v10
	v_cmp_eq_u16_e32 vcc, 0, v6
	v_cndmask_b32_e32 v3, v3, v10, vcc
	v_cndmask_b32_e32 v6, v6, v7, vcc
	v_lshlrev_b32_e32 v7, 24, v4
	v_mov_b32_e32 v10, 0x3b800000
	v_lshlrev_b32_e32 v3, 20, v3
	v_and_b32_e32 v7, 0x80000000, v7
	v_lshl_add_u32 v6, v6, 23, v10
	v_or3_b32 v3, v7, v6, v3
.LBB28_712:
	s_or_b64 exec, exec, s[6:7]
	s_nop 0
	v_mfma_f32_16x16x4f32 a[0:3], v2, v3, a[0:3]
	v_lshrrev_b32_e32 v3, 8, v8
	s_movk_i32 s4, 0x7f
	v_cmp_gt_i16_sdwa s[6:7], v3, s4 src0_sel:BYTE_0 src1_sel:DWORD
	s_mov_b64 s[4:5], 0
                                        ; implicit-def: $sgpr10
	s_and_saveexec_b64 s[8:9], s[6:7]
	s_xor_b64 s[6:7], exec, s[8:9]
	s_cbranch_execnz .LBB28_2761
; %bb.713:
	s_or_saveexec_b64 s[6:7], s[6:7]
	v_mov_b32_e32 v2, s10
	s_xor_b64 exec, exec, s[6:7]
	s_cbranch_execnz .LBB28_2764
.LBB28_714:
	s_or_b64 exec, exec, s[6:7]
	s_and_saveexec_b64 s[6:7], s[4:5]
	s_cbranch_execz .LBB28_716
.LBB28_715:
	v_bfe_u32 v2, v8, 8, 3
	v_ffbh_u32_e32 v7, v2
	v_min_u32_e32 v7, 32, v7
	v_lshrrev_b16_e32 v6, 3, v3
	v_subrev_u32_e32 v10, 28, v7
	v_and_b32_e32 v6, 15, v6
	v_lshlrev_b32_e32 v3, v10, v3
	v_sub_u32_e32 v7, 29, v7
	v_and_b32_e32 v3, 7, v3
	v_cmp_eq_u16_e32 vcc, 0, v6
	v_cndmask_b32_e32 v2, v2, v3, vcc
	v_cndmask_b32_e32 v3, v6, v7, vcc
	v_lshlrev_b32_e32 v6, 16, v8
	v_mov_b32_e32 v7, 0x3b800000
	v_lshlrev_b32_e32 v2, 20, v2
	v_and_b32_e32 v6, 0x80000000, v6
	v_lshl_add_u32 v3, v3, 23, v7
	v_or3_b32 v2, v6, v3, v2
.LBB28_716:
	s_or_b64 exec, exec, s[6:7]
	v_lshrrev_b32_e32 v3, 8, v4
	s_movk_i32 s4, 0x7f
	v_cmp_gt_i16_sdwa s[6:7], v3, s4 src0_sel:BYTE_0 src1_sel:DWORD
	s_mov_b64 s[4:5], 0
                                        ; implicit-def: $sgpr10
	s_and_saveexec_b64 s[8:9], s[6:7]
	s_xor_b64 s[6:7], exec, s[8:9]
	s_cbranch_execnz .LBB28_2765
; %bb.717:
	s_or_saveexec_b64 s[6:7], s[6:7]
	v_mov_b32_e32 v6, s10
	s_xor_b64 exec, exec, s[6:7]
	s_cbranch_execnz .LBB28_2768
.LBB28_718:
	s_or_b64 exec, exec, s[6:7]
	s_and_saveexec_b64 s[6:7], s[4:5]
	s_cbranch_execz .LBB28_720
.LBB28_719:
	v_bfe_u32 v6, v4, 8, 3
	v_ffbh_u32_e32 v10, v6
	v_min_u32_e32 v10, 32, v10
	v_lshrrev_b16_e32 v7, 3, v3
	v_subrev_u32_e32 v11, 28, v10
	v_and_b32_e32 v7, 15, v7
	v_lshlrev_b32_e32 v3, v11, v3
	v_sub_u32_e32 v10, 29, v10
	v_and_b32_e32 v3, 7, v3
	v_cmp_eq_u16_e32 vcc, 0, v7
	v_cndmask_b32_e32 v3, v6, v3, vcc
	v_cndmask_b32_e32 v6, v7, v10, vcc
	v_lshlrev_b32_e32 v7, 16, v4
	v_mov_b32_e32 v10, 0x3b800000
	v_lshlrev_b32_e32 v3, 20, v3
	v_and_b32_e32 v7, 0x80000000, v7
	v_lshl_add_u32 v6, v6, 23, v10
	v_or3_b32 v6, v7, v6, v3
.LBB28_720:
	s_or_b64 exec, exec, s[6:7]
	s_nop 0
	v_mfma_f32_16x16x4f32 a[0:3], v2, v6, a[0:3]
	s_movk_i32 s4, 0xff
	v_and_b32_sdwa v3, v8, s4 dst_sel:DWORD dst_unused:UNUSED_PAD src0_sel:WORD_1 src1_sel:DWORD
	s_movk_i32 s4, 0x7f
	v_cmp_lt_i16_e32 vcc, s4, v3
	s_mov_b64 s[4:5], 0
                                        ; implicit-def: $sgpr10
	s_and_saveexec_b64 s[6:7], vcc
	s_xor_b64 s[6:7], exec, s[6:7]
	s_cbranch_execnz .LBB28_2769
; %bb.721:
	s_or_saveexec_b64 s[6:7], s[6:7]
	v_mov_b32_e32 v2, s10
	s_xor_b64 exec, exec, s[6:7]
	s_cbranch_execnz .LBB28_2772
.LBB28_722:
	s_or_b64 exec, exec, s[6:7]
	s_and_saveexec_b64 s[6:7], s[4:5]
	s_cbranch_execz .LBB28_724
.LBB28_723:
	v_bfe_u32 v2, v8, 16, 3
	v_ffbh_u32_e32 v7, v2
	v_min_u32_e32 v7, 32, v7
	v_lshrrev_b32_e32 v3, 19, v8
	v_subrev_u32_e32 v10, 28, v7
	v_and_b32_e32 v3, 15, v3
	v_lshlrev_b32_sdwa v10, v10, v8 dst_sel:DWORD dst_unused:UNUSED_PAD src0_sel:DWORD src1_sel:WORD_1
	v_bfe_u32 v6, v8, 19, 4
	v_sub_u32_e32 v7, 29, v7
	v_and_b32_e32 v10, 7, v10
	v_cmp_eq_u16_e32 vcc, 0, v3
	v_cndmask_b32_e32 v2, v2, v10, vcc
	v_cndmask_b32_e32 v3, v6, v7, vcc
	v_lshlrev_b32_e32 v6, 8, v8
	v_mov_b32_e32 v7, 0x3b800000
	v_lshlrev_b32_e32 v2, 20, v2
	v_and_b32_e32 v6, 0x80000000, v6
	v_lshl_add_u32 v3, v3, 23, v7
	v_or3_b32 v2, v6, v3, v2
.LBB28_724:
	s_or_b64 exec, exec, s[6:7]
	s_movk_i32 s4, 0xff
	v_and_b32_sdwa v3, v4, s4 dst_sel:DWORD dst_unused:UNUSED_PAD src0_sel:WORD_1 src1_sel:DWORD
	s_movk_i32 s4, 0x7f
	v_cmp_lt_i16_e32 vcc, s4, v3
	s_mov_b64 s[4:5], 0
                                        ; implicit-def: $sgpr10
	s_and_saveexec_b64 s[6:7], vcc
	s_xor_b64 s[6:7], exec, s[6:7]
	s_cbranch_execnz .LBB28_2773
; %bb.725:
	s_or_saveexec_b64 s[6:7], s[6:7]
	v_mov_b32_e32 v6, s10
	s_xor_b64 exec, exec, s[6:7]
	s_cbranch_execnz .LBB28_2776
.LBB28_726:
	s_or_b64 exec, exec, s[6:7]
	s_and_saveexec_b64 s[6:7], s[4:5]
	s_cbranch_execz .LBB28_728
.LBB28_727:
	v_bfe_u32 v3, v4, 16, 3
	v_ffbh_u32_e32 v10, v3
	v_min_u32_e32 v10, 32, v10
	v_lshrrev_b32_e32 v6, 19, v4
	v_subrev_u32_e32 v11, 28, v10
	v_and_b32_e32 v6, 15, v6
	v_lshlrev_b32_sdwa v11, v11, v4 dst_sel:DWORD dst_unused:UNUSED_PAD src0_sel:DWORD src1_sel:WORD_1
	v_bfe_u32 v7, v4, 19, 4
	v_sub_u32_e32 v10, 29, v10
	v_and_b32_e32 v11, 7, v11
	v_cmp_eq_u16_e32 vcc, 0, v6
	v_cndmask_b32_e32 v3, v3, v11, vcc
	v_cndmask_b32_e32 v6, v7, v10, vcc
	v_lshlrev_b32_e32 v7, 8, v4
	v_mov_b32_e32 v10, 0x3b800000
	v_lshlrev_b32_e32 v3, 20, v3
	v_and_b32_e32 v7, 0x80000000, v7
	v_lshl_add_u32 v6, v6, 23, v10
	v_or3_b32 v6, v7, v6, v3
.LBB28_728:
	s_or_b64 exec, exec, s[6:7]
	s_nop 0
	v_mfma_f32_16x16x4f32 a[0:3], v2, v6, a[0:3]
	s_movk_i32 s4, 0x7f
	v_cmp_gt_i16_sdwa s[6:7], v8, s4 src0_sel:BYTE_3 src1_sel:DWORD
	s_mov_b64 s[4:5], 0
                                        ; implicit-def: $sgpr10
	s_and_saveexec_b64 s[8:9], s[6:7]
	s_xor_b64 s[6:7], exec, s[8:9]
	s_cbranch_execnz .LBB28_2777
; %bb.729:
	s_or_saveexec_b64 s[6:7], s[6:7]
	v_mov_b32_e32 v2, s10
	s_xor_b64 exec, exec, s[6:7]
	s_cbranch_execnz .LBB28_2780
.LBB28_730:
	s_or_b64 exec, exec, s[6:7]
	s_and_saveexec_b64 s[6:7], s[4:5]
	s_cbranch_execz .LBB28_732
.LBB28_731:
	v_bfe_u32 v2, v8, 24, 3
	v_ffbh_u32_e32 v10, v2
	v_min_u32_e32 v10, 32, v10
	v_lshrrev_b32_e32 v6, 27, v8
	v_subrev_u32_e32 v11, 28, v10
	v_and_b32_e32 v3, 0x80000000, v8
	v_and_b32_e32 v6, 15, v6
	v_bfe_u32 v7, v8, 27, 4
	v_lshlrev_b32_sdwa v8, v11, v8 dst_sel:DWORD dst_unused:UNUSED_PAD src0_sel:DWORD src1_sel:BYTE_3
	v_sub_u32_e32 v10, 29, v10
	v_and_b32_e32 v8, 7, v8
	v_cmp_eq_u16_e32 vcc, 0, v6
	v_cndmask_b32_e32 v2, v2, v8, vcc
	v_cndmask_b32_e32 v6, v7, v10, vcc
	v_mov_b32_e32 v7, 0x3b800000
	v_lshlrev_b32_e32 v2, 20, v2
	v_lshl_add_u32 v6, v6, 23, v7
	v_or3_b32 v2, v3, v6, v2
.LBB28_732:
	s_or_b64 exec, exec, s[6:7]
	s_movk_i32 s4, 0x7f
	v_cmp_gt_i16_sdwa s[6:7], v4, s4 src0_sel:BYTE_3 src1_sel:DWORD
	s_mov_b64 s[4:5], 0
                                        ; implicit-def: $sgpr10
	s_and_saveexec_b64 s[8:9], s[6:7]
	s_xor_b64 s[6:7], exec, s[8:9]
	s_cbranch_execnz .LBB28_2781
; %bb.733:
	s_or_saveexec_b64 s[6:7], s[6:7]
	v_mov_b32_e32 v3, s10
	s_xor_b64 exec, exec, s[6:7]
	s_cbranch_execnz .LBB28_2784
.LBB28_734:
	s_or_b64 exec, exec, s[6:7]
	s_and_saveexec_b64 s[6:7], s[4:5]
	s_cbranch_execz .LBB28_736
.LBB28_735:
	v_bfe_u32 v3, v4, 24, 3
	v_ffbh_u32_e32 v10, v3
	v_min_u32_e32 v10, 32, v10
	v_lshrrev_b32_e32 v7, 27, v4
	v_subrev_u32_e32 v11, 28, v10
	v_and_b32_e32 v6, 0x80000000, v4
	v_and_b32_e32 v7, 15, v7
	v_bfe_u32 v8, v4, 27, 4
	v_lshlrev_b32_sdwa v4, v11, v4 dst_sel:DWORD dst_unused:UNUSED_PAD src0_sel:DWORD src1_sel:BYTE_3
	v_sub_u32_e32 v10, 29, v10
	v_and_b32_e32 v4, 7, v4
	v_cmp_eq_u16_e32 vcc, 0, v7
	v_cndmask_b32_e32 v3, v3, v4, vcc
	v_cndmask_b32_e32 v4, v8, v10, vcc
	v_mov_b32_e32 v7, 0x3b800000
	v_lshlrev_b32_e32 v3, 20, v3
	v_lshl_add_u32 v4, v4, 23, v7
	v_or3_b32 v3, v6, v4, v3
.LBB28_736:
	s_or_b64 exec, exec, s[6:7]
	s_nop 0
	v_mfma_f32_16x16x4f32 a[0:3], v2, v3, a[0:3]
	s_movk_i32 s4, 0x7f
	v_cmp_gt_i16_sdwa s[6:7], v9, s4 src0_sel:BYTE_0 src1_sel:DWORD
	s_mov_b64 s[4:5], 0
                                        ; implicit-def: $sgpr10
	s_and_saveexec_b64 s[8:9], s[6:7]
	s_xor_b64 s[6:7], exec, s[8:9]
	s_cbranch_execnz .LBB28_2785
; %bb.737:
	s_or_saveexec_b64 s[6:7], s[6:7]
	v_mov_b32_e32 v2, s10
	s_xor_b64 exec, exec, s[6:7]
	s_cbranch_execnz .LBB28_2788
.LBB28_738:
	s_or_b64 exec, exec, s[6:7]
	s_and_saveexec_b64 s[6:7], s[4:5]
	s_cbranch_execz .LBB28_740
.LBB28_739:
	v_mov_b32_e32 v2, 8
	v_and_b32_e32 v3, 7, v9
	v_lshrrev_b32_sdwa v2, v2, v9 dst_sel:BYTE_1 dst_unused:UNUSED_PAD src0_sel:DWORD src1_sel:DWORD
	v_ffbh_u32_e32 v4, v3
	v_or_b32_sdwa v2, v9, v2 dst_sel:DWORD dst_unused:UNUSED_PAD src0_sel:BYTE_0 src1_sel:DWORD
	v_min_u32_e32 v4, 32, v4
	v_lshrrev_b16_e32 v2, 3, v2
	v_subrev_u32_e32 v6, 28, v4
	v_and_b32_e32 v2, 15, v2
	v_lshlrev_b32_e32 v6, v6, v9
	v_sub_u32_e32 v4, 29, v4
	v_and_b32_e32 v6, 7, v6
	v_cmp_eq_u16_e32 vcc, 0, v2
	v_cndmask_b32_e32 v3, v3, v6, vcc
	v_cndmask_b32_e32 v2, v2, v4, vcc
	v_lshlrev_b32_e32 v4, 24, v9
	v_mov_b32_e32 v6, 0x3b800000
	v_lshlrev_b32_e32 v3, 20, v3
	v_and_b32_e32 v4, 0x80000000, v4
	v_lshl_add_u32 v2, v2, 23, v6
	v_or3_b32 v2, v4, v2, v3
.LBB28_740:
	s_or_b64 exec, exec, s[6:7]
	s_movk_i32 s4, 0x7f
	v_cmp_gt_i16_sdwa s[6:7], v5, s4 src0_sel:BYTE_0 src1_sel:DWORD
	s_mov_b64 s[4:5], 0
                                        ; implicit-def: $sgpr10
	s_and_saveexec_b64 s[8:9], s[6:7]
	s_xor_b64 s[6:7], exec, s[8:9]
	s_cbranch_execnz .LBB28_2789
; %bb.741:
	s_or_saveexec_b64 s[6:7], s[6:7]
	v_mov_b32_e32 v3, s10
	s_xor_b64 exec, exec, s[6:7]
	s_cbranch_execnz .LBB28_2792
.LBB28_742:
	s_or_b64 exec, exec, s[6:7]
	s_and_saveexec_b64 s[6:7], s[4:5]
	s_cbranch_execz .LBB28_744
.LBB28_743:
	v_mov_b32_e32 v3, 8
	v_and_b32_e32 v4, 7, v5
	v_lshrrev_b32_sdwa v3, v3, v5 dst_sel:BYTE_1 dst_unused:UNUSED_PAD src0_sel:DWORD src1_sel:DWORD
	v_ffbh_u32_e32 v6, v4
	v_or_b32_sdwa v3, v5, v3 dst_sel:DWORD dst_unused:UNUSED_PAD src0_sel:BYTE_0 src1_sel:DWORD
	v_min_u32_e32 v6, 32, v6
	v_lshrrev_b16_e32 v3, 3, v3
	v_subrev_u32_e32 v7, 28, v6
	v_and_b32_e32 v3, 15, v3
	v_lshlrev_b32_e32 v7, v7, v5
	v_sub_u32_e32 v6, 29, v6
	v_and_b32_e32 v7, 7, v7
	v_cmp_eq_u16_e32 vcc, 0, v3
	v_cndmask_b32_e32 v4, v4, v7, vcc
	v_cndmask_b32_e32 v3, v3, v6, vcc
	v_lshlrev_b32_e32 v6, 24, v5
	v_mov_b32_e32 v7, 0x3b800000
	v_lshlrev_b32_e32 v4, 20, v4
	v_and_b32_e32 v6, 0x80000000, v6
	v_lshl_add_u32 v3, v3, 23, v7
	v_or3_b32 v3, v6, v3, v4
.LBB28_744:
	s_or_b64 exec, exec, s[6:7]
	s_nop 0
	v_mfma_f32_16x16x4f32 a[0:3], v2, v3, a[0:3]
	v_lshrrev_b32_e32 v3, 8, v9
	s_movk_i32 s4, 0x7f
	v_cmp_gt_i16_sdwa s[6:7], v3, s4 src0_sel:BYTE_0 src1_sel:DWORD
	s_mov_b64 s[4:5], 0
                                        ; implicit-def: $sgpr10
	s_and_saveexec_b64 s[8:9], s[6:7]
	s_xor_b64 s[6:7], exec, s[8:9]
	s_cbranch_execnz .LBB28_2793
; %bb.745:
	s_or_saveexec_b64 s[6:7], s[6:7]
	v_mov_b32_e32 v2, s10
	s_xor_b64 exec, exec, s[6:7]
	s_cbranch_execnz .LBB28_2796
.LBB28_746:
	s_or_b64 exec, exec, s[6:7]
	s_and_saveexec_b64 s[6:7], s[4:5]
	s_cbranch_execz .LBB28_748
.LBB28_747:
	v_bfe_u32 v2, v9, 8, 3
	v_ffbh_u32_e32 v6, v2
	v_min_u32_e32 v6, 32, v6
	v_lshrrev_b16_e32 v4, 3, v3
	v_subrev_u32_e32 v7, 28, v6
	v_and_b32_e32 v4, 15, v4
	v_lshlrev_b32_e32 v3, v7, v3
	v_sub_u32_e32 v6, 29, v6
	v_and_b32_e32 v3, 7, v3
	v_cmp_eq_u16_e32 vcc, 0, v4
	v_cndmask_b32_e32 v2, v2, v3, vcc
	v_cndmask_b32_e32 v3, v4, v6, vcc
	v_lshlrev_b32_e32 v4, 16, v9
	v_mov_b32_e32 v6, 0x3b800000
	v_lshlrev_b32_e32 v2, 20, v2
	v_and_b32_e32 v4, 0x80000000, v4
	v_lshl_add_u32 v3, v3, 23, v6
	v_or3_b32 v2, v4, v3, v2
.LBB28_748:
	s_or_b64 exec, exec, s[6:7]
	v_lshrrev_b32_e32 v3, 8, v5
	s_movk_i32 s4, 0x7f
	v_cmp_gt_i16_sdwa s[6:7], v3, s4 src0_sel:BYTE_0 src1_sel:DWORD
	s_mov_b64 s[4:5], 0
                                        ; implicit-def: $sgpr10
	s_and_saveexec_b64 s[8:9], s[6:7]
	s_xor_b64 s[6:7], exec, s[8:9]
	s_cbranch_execnz .LBB28_2797
; %bb.749:
	s_or_saveexec_b64 s[6:7], s[6:7]
	v_mov_b32_e32 v4, s10
	s_xor_b64 exec, exec, s[6:7]
	s_cbranch_execnz .LBB28_2800
.LBB28_750:
	s_or_b64 exec, exec, s[6:7]
	s_and_saveexec_b64 s[6:7], s[4:5]
	s_cbranch_execz .LBB28_752
.LBB28_751:
	v_bfe_u32 v4, v5, 8, 3
	v_ffbh_u32_e32 v7, v4
	v_min_u32_e32 v7, 32, v7
	v_lshrrev_b16_e32 v6, 3, v3
	v_subrev_u32_e32 v8, 28, v7
	v_and_b32_e32 v6, 15, v6
	v_lshlrev_b32_e32 v3, v8, v3
	v_sub_u32_e32 v7, 29, v7
	v_and_b32_e32 v3, 7, v3
	v_cmp_eq_u16_e32 vcc, 0, v6
	v_cndmask_b32_e32 v3, v4, v3, vcc
	v_cndmask_b32_e32 v4, v6, v7, vcc
	v_lshlrev_b32_e32 v6, 16, v5
	v_mov_b32_e32 v7, 0x3b800000
	v_lshlrev_b32_e32 v3, 20, v3
	v_and_b32_e32 v6, 0x80000000, v6
	v_lshl_add_u32 v4, v4, 23, v7
	v_or3_b32 v4, v6, v4, v3
.LBB28_752:
	s_or_b64 exec, exec, s[6:7]
	s_nop 0
	v_mfma_f32_16x16x4f32 a[0:3], v2, v4, a[0:3]
	s_movk_i32 s4, 0xff
	v_and_b32_sdwa v3, v9, s4 dst_sel:DWORD dst_unused:UNUSED_PAD src0_sel:WORD_1 src1_sel:DWORD
	s_movk_i32 s4, 0x7f
	v_cmp_lt_i16_e32 vcc, s4, v3
	s_mov_b64 s[4:5], 0
                                        ; implicit-def: $sgpr10
	s_and_saveexec_b64 s[6:7], vcc
	s_xor_b64 s[6:7], exec, s[6:7]
	s_cbranch_execnz .LBB28_2801
; %bb.753:
	s_or_saveexec_b64 s[6:7], s[6:7]
	v_mov_b32_e32 v2, s10
	s_xor_b64 exec, exec, s[6:7]
	s_cbranch_execnz .LBB28_2804
.LBB28_754:
	s_or_b64 exec, exec, s[6:7]
	s_and_saveexec_b64 s[6:7], s[4:5]
	s_cbranch_execz .LBB28_756
.LBB28_755:
	v_bfe_u32 v2, v9, 16, 3
	v_ffbh_u32_e32 v6, v2
	v_min_u32_e32 v6, 32, v6
	v_lshrrev_b32_e32 v3, 19, v9
	v_subrev_u32_e32 v7, 28, v6
	v_and_b32_e32 v3, 15, v3
	v_lshlrev_b32_sdwa v7, v7, v9 dst_sel:DWORD dst_unused:UNUSED_PAD src0_sel:DWORD src1_sel:WORD_1
	v_bfe_u32 v4, v9, 19, 4
	v_sub_u32_e32 v6, 29, v6
	v_and_b32_e32 v7, 7, v7
	v_cmp_eq_u16_e32 vcc, 0, v3
	v_cndmask_b32_e32 v2, v2, v7, vcc
	v_cndmask_b32_e32 v3, v4, v6, vcc
	v_lshlrev_b32_e32 v4, 8, v9
	v_mov_b32_e32 v6, 0x3b800000
	v_lshlrev_b32_e32 v2, 20, v2
	v_and_b32_e32 v4, 0x80000000, v4
	v_lshl_add_u32 v3, v3, 23, v6
	v_or3_b32 v2, v4, v3, v2
.LBB28_756:
	s_or_b64 exec, exec, s[6:7]
	s_movk_i32 s4, 0xff
	v_and_b32_sdwa v3, v5, s4 dst_sel:DWORD dst_unused:UNUSED_PAD src0_sel:WORD_1 src1_sel:DWORD
	s_movk_i32 s4, 0x7f
	v_cmp_lt_i16_e32 vcc, s4, v3
	s_mov_b64 s[4:5], 0
                                        ; implicit-def: $sgpr10
	s_and_saveexec_b64 s[6:7], vcc
	s_xor_b64 s[6:7], exec, s[6:7]
	s_cbranch_execnz .LBB28_2805
; %bb.757:
	s_or_saveexec_b64 s[6:7], s[6:7]
	v_mov_b32_e32 v4, s10
	s_xor_b64 exec, exec, s[6:7]
	s_cbranch_execnz .LBB28_2808
.LBB28_758:
	s_or_b64 exec, exec, s[6:7]
	s_and_saveexec_b64 s[6:7], s[4:5]
	s_cbranch_execz .LBB28_760
.LBB28_759:
	v_bfe_u32 v3, v5, 16, 3
	v_ffbh_u32_e32 v7, v3
	v_min_u32_e32 v7, 32, v7
	v_lshrrev_b32_e32 v4, 19, v5
	v_subrev_u32_e32 v8, 28, v7
	v_and_b32_e32 v4, 15, v4
	v_lshlrev_b32_sdwa v8, v8, v5 dst_sel:DWORD dst_unused:UNUSED_PAD src0_sel:DWORD src1_sel:WORD_1
	v_bfe_u32 v6, v5, 19, 4
	v_sub_u32_e32 v7, 29, v7
	v_and_b32_e32 v8, 7, v8
	v_cmp_eq_u16_e32 vcc, 0, v4
	v_cndmask_b32_e32 v3, v3, v8, vcc
	v_cndmask_b32_e32 v4, v6, v7, vcc
	v_lshlrev_b32_e32 v6, 8, v5
	v_mov_b32_e32 v7, 0x3b800000
	v_lshlrev_b32_e32 v3, 20, v3
	v_and_b32_e32 v6, 0x80000000, v6
	v_lshl_add_u32 v4, v4, 23, v7
	v_or3_b32 v4, v6, v4, v3
.LBB28_760:
	s_or_b64 exec, exec, s[6:7]
	s_nop 0
	v_mfma_f32_16x16x4f32 a[0:3], v2, v4, a[0:3]
	s_movk_i32 s4, 0x7f
	v_cmp_gt_i16_sdwa s[6:7], v9, s4 src0_sel:BYTE_3 src1_sel:DWORD
	s_mov_b64 s[4:5], 0
                                        ; implicit-def: $sgpr10
	s_and_saveexec_b64 s[8:9], s[6:7]
	s_xor_b64 s[6:7], exec, s[8:9]
	s_cbranch_execnz .LBB28_2809
; %bb.761:
	s_or_saveexec_b64 s[6:7], s[6:7]
	v_mov_b32_e32 v2, s10
	s_xor_b64 exec, exec, s[6:7]
	s_cbranch_execnz .LBB28_2812
.LBB28_762:
	s_or_b64 exec, exec, s[6:7]
	s_and_saveexec_b64 s[6:7], s[4:5]
	s_cbranch_execz .LBB28_764
.LBB28_763:
	v_bfe_u32 v2, v9, 24, 3
	v_ffbh_u32_e32 v7, v2
	v_min_u32_e32 v7, 32, v7
	v_lshrrev_b32_e32 v4, 27, v9
	v_subrev_u32_e32 v8, 28, v7
	v_and_b32_e32 v4, 15, v4
	v_lshlrev_b32_sdwa v8, v8, v9 dst_sel:DWORD dst_unused:UNUSED_PAD src0_sel:DWORD src1_sel:BYTE_3
	v_bfe_u32 v6, v9, 27, 4
	v_sub_u32_e32 v7, 29, v7
	v_and_b32_e32 v8, 7, v8
	v_cmp_eq_u16_e32 vcc, 0, v4
	v_cndmask_b32_e32 v2, v2, v8, vcc
	v_cndmask_b32_e32 v4, v6, v7, vcc
	v_mov_b32_e32 v6, 0x3b800000
	v_and_b32_e32 v3, 0x80000000, v9
	v_lshlrev_b32_e32 v2, 20, v2
	v_lshl_add_u32 v4, v4, 23, v6
	v_or3_b32 v2, v3, v4, v2
.LBB28_764:
	s_or_b64 exec, exec, s[6:7]
	s_movk_i32 s4, 0x7f
	v_cmp_gt_i16_sdwa s[6:7], v5, s4 src0_sel:BYTE_3 src1_sel:DWORD
	s_mov_b64 s[4:5], 0
                                        ; implicit-def: $sgpr10
	s_and_saveexec_b64 s[8:9], s[6:7]
	s_xor_b64 s[6:7], exec, s[8:9]
	s_cbranch_execnz .LBB28_2813
; %bb.765:
	s_or_saveexec_b64 s[6:7], s[6:7]
	v_mov_b32_e32 v3, s10
	s_xor_b64 exec, exec, s[6:7]
	s_cbranch_execnz .LBB28_2816
.LBB28_766:
	s_or_b64 exec, exec, s[6:7]
	s_and_saveexec_b64 s[6:7], s[4:5]
	s_cbranch_execz .LBB28_768
.LBB28_767:
	v_bfe_u32 v3, v5, 24, 3
	v_ffbh_u32_e32 v8, v3
	v_min_u32_e32 v8, 32, v8
	v_lshrrev_b32_e32 v6, 27, v5
	v_subrev_u32_e32 v9, 28, v8
	v_and_b32_e32 v4, 0x80000000, v5
	v_and_b32_e32 v6, 15, v6
	v_bfe_u32 v7, v5, 27, 4
	v_lshlrev_b32_sdwa v5, v9, v5 dst_sel:DWORD dst_unused:UNUSED_PAD src0_sel:DWORD src1_sel:BYTE_3
	v_sub_u32_e32 v8, 29, v8
	v_and_b32_e32 v5, 7, v5
	v_cmp_eq_u16_e32 vcc, 0, v6
	v_cndmask_b32_e32 v3, v3, v5, vcc
	v_cndmask_b32_e32 v5, v7, v8, vcc
	v_mov_b32_e32 v6, 0x3b800000
	v_lshlrev_b32_e32 v3, 20, v3
	v_lshl_add_u32 v5, v5, 23, v6
	v_or3_b32 v3, v4, v5, v3
.LBB28_768:
	s_or_b64 exec, exec, s[6:7]
	s_nop 0
	v_mfma_f32_16x16x4f32 a[0:3], v2, v3, a[0:3]
	s_movk_i32 s4, 0x7f
                                        ; implicit-def: $sgpr10
	s_nop 7
	s_nop 1
	flat_store_dwordx4 v[18:19], a[0:3] offset:32
	flat_load_dwordx4 v[20:23], v[0:1] offset:16
	s_nop 0
	flat_load_dwordx2 v[18:19], v[0:1] offset:32
	s_waitcnt vmcnt(0) lgkmcnt(0)
	flat_load_dwordx4 v[14:17], v[20:21]
	flat_load_dwordx4 v[6:9], v[20:21] offset:16
	flat_load_dwordx4 v[10:13], v[22:23] offset:96
	;; [unrolled: 1-line block ×3, first 2 shown]
	s_waitcnt vmcnt(0) lgkmcnt(0)
	v_cmp_gt_i16_sdwa s[6:7], v14, s4 src0_sel:BYTE_0 src1_sel:DWORD
	s_mov_b64 s[4:5], 0
	s_and_saveexec_b64 s[8:9], s[6:7]
	s_xor_b64 s[6:7], exec, s[8:9]
	s_cbranch_execnz .LBB28_2817
; %bb.769:
	s_or_saveexec_b64 s[6:7], s[6:7]
	v_mov_b32_e32 v20, s10
	s_xor_b64 exec, exec, s[6:7]
	s_cbranch_execnz .LBB28_2820
.LBB28_770:
	s_or_b64 exec, exec, s[6:7]
	s_and_saveexec_b64 s[6:7], s[4:5]
	s_cbranch_execz .LBB28_772
.LBB28_771:
	v_and_b32_e32 v20, 7, v14
	v_ffbh_u32_e32 v22, v20
	v_min_u32_e32 v22, 32, v22
	v_lshrrev_b16_e32 v21, 3, v14
	v_subrev_u32_e32 v23, 28, v22
	v_and_b32_e32 v21, 15, v21
	v_lshlrev_b32_e32 v23, v23, v14
	v_sub_u32_e32 v22, 29, v22
	v_and_b32_e32 v23, 7, v23
	v_cmp_eq_u16_e32 vcc, 0, v21
	v_cndmask_b32_e32 v20, v20, v23, vcc
	v_cndmask_b32_e32 v21, v21, v22, vcc
	v_lshlrev_b32_e32 v22, 24, v14
	v_mov_b32_e32 v23, 0x3b800000
	v_lshlrev_b32_e32 v20, 20, v20
	v_and_b32_e32 v22, 0x80000000, v22
	v_lshl_add_u32 v21, v21, 23, v23
	v_or3_b32 v20, v22, v21, v20
.LBB28_772:
	s_or_b64 exec, exec, s[6:7]
	s_movk_i32 s4, 0x7f
	v_cmp_gt_i16_sdwa s[6:7], v10, s4 src0_sel:BYTE_0 src1_sel:DWORD
	s_mov_b64 s[4:5], 0
                                        ; implicit-def: $sgpr10
	s_and_saveexec_b64 s[8:9], s[6:7]
	s_xor_b64 s[6:7], exec, s[8:9]
	s_cbranch_execnz .LBB28_2821
; %bb.773:
	s_or_saveexec_b64 s[6:7], s[6:7]
	v_mov_b32_e32 v21, s10
	s_xor_b64 exec, exec, s[6:7]
	s_cbranch_execnz .LBB28_2824
.LBB28_774:
	s_or_b64 exec, exec, s[6:7]
	s_and_saveexec_b64 s[6:7], s[4:5]
	s_cbranch_execz .LBB28_776
.LBB28_775:
	v_and_b32_e32 v21, 7, v10
	v_ffbh_u32_e32 v23, v21
	v_min_u32_e32 v23, 32, v23
	v_lshrrev_b16_e32 v22, 3, v10
	v_subrev_u32_e32 v24, 28, v23
	v_and_b32_e32 v22, 15, v22
	v_lshlrev_b32_e32 v24, v24, v10
	v_sub_u32_e32 v23, 29, v23
	v_and_b32_e32 v24, 7, v24
	v_cmp_eq_u16_e32 vcc, 0, v22
	v_cndmask_b32_e32 v21, v21, v24, vcc
	v_cndmask_b32_e32 v22, v22, v23, vcc
	v_lshlrev_b32_e32 v23, 24, v10
	v_mov_b32_e32 v24, 0x3b800000
	v_lshlrev_b32_e32 v21, 20, v21
	v_and_b32_e32 v23, 0x80000000, v23
	v_lshl_add_u32 v22, v22, 23, v24
	v_or3_b32 v21, v23, v22, v21
.LBB28_776:
	s_or_b64 exec, exec, s[6:7]
	flat_load_dwordx4 a[0:3], v[18:19] offset:48
	s_movk_i32 s4, 0x7f
                                        ; implicit-def: $sgpr10
	s_waitcnt vmcnt(0) lgkmcnt(0)
	v_mfma_f32_16x16x4f32 a[0:3], v20, v21, a[0:3]
	v_lshrrev_b32_e32 v21, 8, v14
	v_cmp_gt_i16_sdwa s[6:7], v21, s4 src0_sel:BYTE_0 src1_sel:DWORD
	s_mov_b64 s[4:5], 0
	s_and_saveexec_b64 s[8:9], s[6:7]
	s_xor_b64 s[6:7], exec, s[8:9]
	s_cbranch_execnz .LBB28_2825
; %bb.777:
	s_or_saveexec_b64 s[6:7], s[6:7]
	v_mov_b32_e32 v20, s10
	s_xor_b64 exec, exec, s[6:7]
	s_cbranch_execnz .LBB28_2828
.LBB28_778:
	s_or_b64 exec, exec, s[6:7]
	s_and_saveexec_b64 s[6:7], s[4:5]
	s_cbranch_execz .LBB28_780
.LBB28_779:
	v_bfe_u32 v20, v14, 8, 3
	v_ffbh_u32_e32 v23, v20
	v_min_u32_e32 v23, 32, v23
	v_lshrrev_b16_e32 v22, 3, v21
	v_subrev_u32_e32 v24, 28, v23
	v_and_b32_e32 v22, 15, v22
	v_lshlrev_b32_e32 v21, v24, v21
	v_sub_u32_e32 v23, 29, v23
	v_and_b32_e32 v21, 7, v21
	v_cmp_eq_u16_e32 vcc, 0, v22
	v_cndmask_b32_e32 v20, v20, v21, vcc
	v_cndmask_b32_e32 v21, v22, v23, vcc
	v_lshlrev_b32_e32 v22, 16, v14
	v_mov_b32_e32 v23, 0x3b800000
	v_lshlrev_b32_e32 v20, 20, v20
	v_and_b32_e32 v22, 0x80000000, v22
	v_lshl_add_u32 v21, v21, 23, v23
	v_or3_b32 v20, v22, v21, v20
.LBB28_780:
	s_or_b64 exec, exec, s[6:7]
	v_lshrrev_b32_e32 v21, 8, v10
	s_movk_i32 s4, 0x7f
	v_cmp_gt_i16_sdwa s[6:7], v21, s4 src0_sel:BYTE_0 src1_sel:DWORD
	s_mov_b64 s[4:5], 0
                                        ; implicit-def: $sgpr10
	s_and_saveexec_b64 s[8:9], s[6:7]
	s_xor_b64 s[6:7], exec, s[8:9]
	s_cbranch_execnz .LBB28_2829
; %bb.781:
	s_or_saveexec_b64 s[6:7], s[6:7]
	v_mov_b32_e32 v22, s10
	s_xor_b64 exec, exec, s[6:7]
	s_cbranch_execnz .LBB28_2832
.LBB28_782:
	s_or_b64 exec, exec, s[6:7]
	s_and_saveexec_b64 s[6:7], s[4:5]
	s_cbranch_execz .LBB28_784
.LBB28_783:
	v_bfe_u32 v22, v10, 8, 3
	v_ffbh_u32_e32 v24, v22
	v_min_u32_e32 v24, 32, v24
	v_lshrrev_b16_e32 v23, 3, v21
	v_subrev_u32_e32 v25, 28, v24
	v_and_b32_e32 v23, 15, v23
	v_lshlrev_b32_e32 v21, v25, v21
	v_sub_u32_e32 v24, 29, v24
	v_and_b32_e32 v21, 7, v21
	v_cmp_eq_u16_e32 vcc, 0, v23
	v_cndmask_b32_e32 v21, v22, v21, vcc
	v_cndmask_b32_e32 v22, v23, v24, vcc
	v_lshlrev_b32_e32 v23, 16, v10
	v_mov_b32_e32 v24, 0x3b800000
	v_lshlrev_b32_e32 v21, 20, v21
	v_and_b32_e32 v23, 0x80000000, v23
	v_lshl_add_u32 v22, v22, 23, v24
	v_or3_b32 v22, v23, v22, v21
.LBB28_784:
	s_or_b64 exec, exec, s[6:7]
	s_nop 0
	v_mfma_f32_16x16x4f32 a[0:3], v20, v22, a[0:3]
	s_movk_i32 s4, 0xff
	v_and_b32_sdwa v21, v14, s4 dst_sel:DWORD dst_unused:UNUSED_PAD src0_sel:WORD_1 src1_sel:DWORD
	s_movk_i32 s4, 0x7f
	v_cmp_lt_i16_e32 vcc, s4, v21
	s_mov_b64 s[4:5], 0
                                        ; implicit-def: $sgpr10
	s_and_saveexec_b64 s[6:7], vcc
	s_xor_b64 s[6:7], exec, s[6:7]
	s_cbranch_execnz .LBB28_2833
; %bb.785:
	s_or_saveexec_b64 s[6:7], s[6:7]
	v_mov_b32_e32 v20, s10
	s_xor_b64 exec, exec, s[6:7]
	s_cbranch_execnz .LBB28_2836
.LBB28_786:
	s_or_b64 exec, exec, s[6:7]
	s_and_saveexec_b64 s[6:7], s[4:5]
	s_cbranch_execz .LBB28_788
.LBB28_787:
	v_bfe_u32 v20, v14, 16, 3
	v_ffbh_u32_e32 v23, v20
	v_min_u32_e32 v23, 32, v23
	v_lshrrev_b32_e32 v21, 19, v14
	v_subrev_u32_e32 v24, 28, v23
	v_and_b32_e32 v21, 15, v21
	v_lshlrev_b32_sdwa v24, v24, v14 dst_sel:DWORD dst_unused:UNUSED_PAD src0_sel:DWORD src1_sel:WORD_1
	v_bfe_u32 v22, v14, 19, 4
	v_sub_u32_e32 v23, 29, v23
	v_and_b32_e32 v24, 7, v24
	v_cmp_eq_u16_e32 vcc, 0, v21
	v_cndmask_b32_e32 v20, v20, v24, vcc
	v_cndmask_b32_e32 v21, v22, v23, vcc
	v_lshlrev_b32_e32 v22, 8, v14
	v_mov_b32_e32 v23, 0x3b800000
	v_lshlrev_b32_e32 v20, 20, v20
	v_and_b32_e32 v22, 0x80000000, v22
	v_lshl_add_u32 v21, v21, 23, v23
	v_or3_b32 v20, v22, v21, v20
.LBB28_788:
	s_or_b64 exec, exec, s[6:7]
	s_movk_i32 s4, 0xff
	v_and_b32_sdwa v21, v10, s4 dst_sel:DWORD dst_unused:UNUSED_PAD src0_sel:WORD_1 src1_sel:DWORD
	s_movk_i32 s4, 0x7f
	v_cmp_lt_i16_e32 vcc, s4, v21
	s_mov_b64 s[4:5], 0
                                        ; implicit-def: $sgpr10
	s_and_saveexec_b64 s[6:7], vcc
	s_xor_b64 s[6:7], exec, s[6:7]
	s_cbranch_execnz .LBB28_2837
; %bb.789:
	s_or_saveexec_b64 s[6:7], s[6:7]
	v_mov_b32_e32 v22, s10
	s_xor_b64 exec, exec, s[6:7]
	s_cbranch_execnz .LBB28_2840
.LBB28_790:
	s_or_b64 exec, exec, s[6:7]
	s_and_saveexec_b64 s[6:7], s[4:5]
	s_cbranch_execz .LBB28_792
.LBB28_791:
	v_bfe_u32 v21, v10, 16, 3
	v_ffbh_u32_e32 v24, v21
	v_min_u32_e32 v24, 32, v24
	v_lshrrev_b32_e32 v22, 19, v10
	v_subrev_u32_e32 v25, 28, v24
	v_and_b32_e32 v22, 15, v22
	v_lshlrev_b32_sdwa v25, v25, v10 dst_sel:DWORD dst_unused:UNUSED_PAD src0_sel:DWORD src1_sel:WORD_1
	v_bfe_u32 v23, v10, 19, 4
	v_sub_u32_e32 v24, 29, v24
	v_and_b32_e32 v25, 7, v25
	v_cmp_eq_u16_e32 vcc, 0, v22
	v_cndmask_b32_e32 v21, v21, v25, vcc
	v_cndmask_b32_e32 v22, v23, v24, vcc
	v_lshlrev_b32_e32 v23, 8, v10
	v_mov_b32_e32 v24, 0x3b800000
	v_lshlrev_b32_e32 v21, 20, v21
	v_and_b32_e32 v23, 0x80000000, v23
	v_lshl_add_u32 v22, v22, 23, v24
	v_or3_b32 v22, v23, v22, v21
.LBB28_792:
	s_or_b64 exec, exec, s[6:7]
	s_nop 0
	v_mfma_f32_16x16x4f32 a[0:3], v20, v22, a[0:3]
	s_movk_i32 s4, 0x7f
	v_cmp_gt_i16_sdwa s[6:7], v14, s4 src0_sel:BYTE_3 src1_sel:DWORD
	s_mov_b64 s[4:5], 0
                                        ; implicit-def: $sgpr10
	s_and_saveexec_b64 s[8:9], s[6:7]
	s_xor_b64 s[6:7], exec, s[8:9]
	s_cbranch_execnz .LBB28_2841
; %bb.793:
	s_or_saveexec_b64 s[6:7], s[6:7]
	v_mov_b32_e32 v20, s10
	s_xor_b64 exec, exec, s[6:7]
	s_cbranch_execnz .LBB28_2844
.LBB28_794:
	s_or_b64 exec, exec, s[6:7]
	s_and_saveexec_b64 s[6:7], s[4:5]
	s_cbranch_execz .LBB28_796
.LBB28_795:
	v_bfe_u32 v20, v14, 24, 3
	v_ffbh_u32_e32 v24, v20
	v_min_u32_e32 v24, 32, v24
	v_lshrrev_b32_e32 v22, 27, v14
	v_subrev_u32_e32 v25, 28, v24
	v_and_b32_e32 v21, 0x80000000, v14
	v_and_b32_e32 v22, 15, v22
	v_bfe_u32 v23, v14, 27, 4
	v_lshlrev_b32_sdwa v14, v25, v14 dst_sel:DWORD dst_unused:UNUSED_PAD src0_sel:DWORD src1_sel:BYTE_3
	v_sub_u32_e32 v24, 29, v24
	v_and_b32_e32 v14, 7, v14
	v_cmp_eq_u16_e32 vcc, 0, v22
	v_cndmask_b32_e32 v14, v20, v14, vcc
	v_cndmask_b32_e32 v20, v23, v24, vcc
	v_mov_b32_e32 v22, 0x3b800000
	v_lshlrev_b32_e32 v14, 20, v14
	v_lshl_add_u32 v20, v20, 23, v22
	v_or3_b32 v20, v21, v20, v14
.LBB28_796:
	s_or_b64 exec, exec, s[6:7]
	s_movk_i32 s4, 0x7f
	v_cmp_gt_i16_sdwa s[6:7], v10, s4 src0_sel:BYTE_3 src1_sel:DWORD
	s_mov_b64 s[4:5], 0
                                        ; implicit-def: $sgpr10
	s_and_saveexec_b64 s[8:9], s[6:7]
	s_xor_b64 s[6:7], exec, s[8:9]
	s_cbranch_execnz .LBB28_2845
; %bb.797:
	s_or_saveexec_b64 s[6:7], s[6:7]
	v_mov_b32_e32 v14, s10
	s_xor_b64 exec, exec, s[6:7]
	s_cbranch_execnz .LBB28_2848
.LBB28_798:
	s_or_b64 exec, exec, s[6:7]
	s_and_saveexec_b64 s[6:7], s[4:5]
	s_cbranch_execz .LBB28_800
.LBB28_799:
	v_bfe_u32 v14, v10, 24, 3
	v_ffbh_u32_e32 v24, v14
	v_min_u32_e32 v24, 32, v24
	v_lshrrev_b32_e32 v22, 27, v10
	v_subrev_u32_e32 v25, 28, v24
	v_and_b32_e32 v21, 0x80000000, v10
	v_and_b32_e32 v22, 15, v22
	v_bfe_u32 v23, v10, 27, 4
	v_lshlrev_b32_sdwa v10, v25, v10 dst_sel:DWORD dst_unused:UNUSED_PAD src0_sel:DWORD src1_sel:BYTE_3
	v_sub_u32_e32 v24, 29, v24
	v_and_b32_e32 v10, 7, v10
	v_cmp_eq_u16_e32 vcc, 0, v22
	v_cndmask_b32_e32 v10, v14, v10, vcc
	v_cndmask_b32_e32 v14, v23, v24, vcc
	v_mov_b32_e32 v22, 0x3b800000
	v_lshlrev_b32_e32 v10, 20, v10
	v_lshl_add_u32 v14, v14, 23, v22
	v_or3_b32 v14, v21, v14, v10
.LBB28_800:
	s_or_b64 exec, exec, s[6:7]
	s_nop 0
	v_mfma_f32_16x16x4f32 a[0:3], v20, v14, a[0:3]
	s_movk_i32 s4, 0x7f
	v_cmp_gt_i16_sdwa s[6:7], v15, s4 src0_sel:BYTE_0 src1_sel:DWORD
	s_mov_b64 s[4:5], 0
                                        ; implicit-def: $sgpr10
	s_and_saveexec_b64 s[8:9], s[6:7]
	s_xor_b64 s[6:7], exec, s[8:9]
	s_cbranch_execnz .LBB28_2849
; %bb.801:
	s_or_saveexec_b64 s[6:7], s[6:7]
	v_mov_b32_e32 v10, s10
	s_xor_b64 exec, exec, s[6:7]
	s_cbranch_execnz .LBB28_2852
.LBB28_802:
	s_or_b64 exec, exec, s[6:7]
	s_and_saveexec_b64 s[6:7], s[4:5]
	s_cbranch_execz .LBB28_804
.LBB28_803:
	v_and_b32_e32 v10, 7, v15
	v_ffbh_u32_e32 v20, v10
	v_min_u32_e32 v20, 32, v20
	v_lshrrev_b16_e32 v14, 3, v15
	v_subrev_u32_e32 v21, 28, v20
	v_and_b32_e32 v14, 15, v14
	v_lshlrev_b32_e32 v21, v21, v15
	v_sub_u32_e32 v20, 29, v20
	v_and_b32_e32 v21, 7, v21
	v_cmp_eq_u16_e32 vcc, 0, v14
	v_cndmask_b32_e32 v10, v10, v21, vcc
	v_cndmask_b32_e32 v14, v14, v20, vcc
	v_lshlrev_b32_e32 v20, 24, v15
	v_mov_b32_e32 v21, 0x3b800000
	v_lshlrev_b32_e32 v10, 20, v10
	v_and_b32_e32 v20, 0x80000000, v20
	v_lshl_add_u32 v14, v14, 23, v21
	v_or3_b32 v10, v20, v14, v10
.LBB28_804:
	s_or_b64 exec, exec, s[6:7]
	s_movk_i32 s4, 0x7f
	v_cmp_gt_i16_sdwa s[6:7], v11, s4 src0_sel:BYTE_0 src1_sel:DWORD
	s_mov_b64 s[4:5], 0
                                        ; implicit-def: $sgpr10
	s_and_saveexec_b64 s[8:9], s[6:7]
	s_xor_b64 s[6:7], exec, s[8:9]
	s_cbranch_execnz .LBB28_2853
; %bb.805:
	s_or_saveexec_b64 s[6:7], s[6:7]
	v_mov_b32_e32 v14, s10
	s_xor_b64 exec, exec, s[6:7]
	s_cbranch_execnz .LBB28_2856
.LBB28_806:
	s_or_b64 exec, exec, s[6:7]
	s_and_saveexec_b64 s[6:7], s[4:5]
	s_cbranch_execz .LBB28_808
.LBB28_807:
	v_and_b32_e32 v14, 7, v11
	v_ffbh_u32_e32 v21, v14
	v_min_u32_e32 v21, 32, v21
	v_lshrrev_b16_e32 v20, 3, v11
	v_subrev_u32_e32 v22, 28, v21
	v_and_b32_e32 v20, 15, v20
	v_lshlrev_b32_e32 v22, v22, v11
	v_sub_u32_e32 v21, 29, v21
	v_and_b32_e32 v22, 7, v22
	v_cmp_eq_u16_e32 vcc, 0, v20
	v_cndmask_b32_e32 v14, v14, v22, vcc
	v_cndmask_b32_e32 v20, v20, v21, vcc
	v_lshlrev_b32_e32 v21, 24, v11
	v_mov_b32_e32 v22, 0x3b800000
	v_lshlrev_b32_e32 v14, 20, v14
	v_and_b32_e32 v21, 0x80000000, v21
	v_lshl_add_u32 v20, v20, 23, v22
	v_or3_b32 v14, v21, v20, v14
.LBB28_808:
	s_or_b64 exec, exec, s[6:7]
	s_nop 0
	v_mfma_f32_16x16x4f32 a[0:3], v10, v14, a[0:3]
	v_lshrrev_b32_e32 v14, 8, v15
	s_movk_i32 s4, 0x7f
	v_cmp_gt_i16_sdwa s[6:7], v14, s4 src0_sel:BYTE_0 src1_sel:DWORD
	s_mov_b64 s[4:5], 0
                                        ; implicit-def: $sgpr10
	s_and_saveexec_b64 s[8:9], s[6:7]
	s_xor_b64 s[6:7], exec, s[8:9]
	s_cbranch_execnz .LBB28_2857
; %bb.809:
	s_or_saveexec_b64 s[6:7], s[6:7]
	v_mov_b32_e32 v10, s10
	s_xor_b64 exec, exec, s[6:7]
	s_cbranch_execnz .LBB28_2860
.LBB28_810:
	s_or_b64 exec, exec, s[6:7]
	s_and_saveexec_b64 s[6:7], s[4:5]
	s_cbranch_execz .LBB28_812
.LBB28_811:
	v_bfe_u32 v10, v15, 8, 3
	v_ffbh_u32_e32 v21, v10
	v_min_u32_e32 v21, 32, v21
	v_lshrrev_b16_e32 v20, 3, v14
	v_subrev_u32_e32 v22, 28, v21
	v_and_b32_e32 v20, 15, v20
	v_lshlrev_b32_e32 v14, v22, v14
	v_sub_u32_e32 v21, 29, v21
	v_and_b32_e32 v14, 7, v14
	v_cmp_eq_u16_e32 vcc, 0, v20
	v_cndmask_b32_e32 v10, v10, v14, vcc
	v_cndmask_b32_e32 v14, v20, v21, vcc
	v_lshlrev_b32_e32 v20, 16, v15
	v_mov_b32_e32 v21, 0x3b800000
	v_lshlrev_b32_e32 v10, 20, v10
	v_and_b32_e32 v20, 0x80000000, v20
	v_lshl_add_u32 v14, v14, 23, v21
	v_or3_b32 v10, v20, v14, v10
.LBB28_812:
	s_or_b64 exec, exec, s[6:7]
	v_lshrrev_b32_e32 v14, 8, v11
	s_movk_i32 s4, 0x7f
	v_cmp_gt_i16_sdwa s[6:7], v14, s4 src0_sel:BYTE_0 src1_sel:DWORD
	s_mov_b64 s[4:5], 0
                                        ; implicit-def: $sgpr10
	s_and_saveexec_b64 s[8:9], s[6:7]
	s_xor_b64 s[6:7], exec, s[8:9]
	s_cbranch_execnz .LBB28_2861
; %bb.813:
	s_or_saveexec_b64 s[6:7], s[6:7]
	v_mov_b32_e32 v20, s10
	s_xor_b64 exec, exec, s[6:7]
	s_cbranch_execnz .LBB28_2864
.LBB28_814:
	s_or_b64 exec, exec, s[6:7]
	s_and_saveexec_b64 s[6:7], s[4:5]
	s_cbranch_execz .LBB28_816
.LBB28_815:
	v_bfe_u32 v20, v11, 8, 3
	v_ffbh_u32_e32 v22, v20
	v_min_u32_e32 v22, 32, v22
	v_lshrrev_b16_e32 v21, 3, v14
	v_subrev_u32_e32 v23, 28, v22
	v_and_b32_e32 v21, 15, v21
	v_lshlrev_b32_e32 v14, v23, v14
	v_sub_u32_e32 v22, 29, v22
	v_and_b32_e32 v14, 7, v14
	v_cmp_eq_u16_e32 vcc, 0, v21
	v_cndmask_b32_e32 v14, v20, v14, vcc
	v_cndmask_b32_e32 v20, v21, v22, vcc
	v_lshlrev_b32_e32 v21, 16, v11
	v_mov_b32_e32 v22, 0x3b800000
	v_lshlrev_b32_e32 v14, 20, v14
	v_and_b32_e32 v21, 0x80000000, v21
	v_lshl_add_u32 v20, v20, 23, v22
	v_or3_b32 v20, v21, v20, v14
.LBB28_816:
	s_or_b64 exec, exec, s[6:7]
	s_nop 0
	v_mfma_f32_16x16x4f32 a[0:3], v10, v20, a[0:3]
	s_movk_i32 s4, 0xff
	v_and_b32_sdwa v14, v15, s4 dst_sel:DWORD dst_unused:UNUSED_PAD src0_sel:WORD_1 src1_sel:DWORD
	s_movk_i32 s4, 0x7f
	v_cmp_lt_i16_e32 vcc, s4, v14
	s_mov_b64 s[4:5], 0
                                        ; implicit-def: $sgpr10
	s_and_saveexec_b64 s[6:7], vcc
	s_xor_b64 s[6:7], exec, s[6:7]
	s_cbranch_execnz .LBB28_2865
; %bb.817:
	s_or_saveexec_b64 s[6:7], s[6:7]
	v_mov_b32_e32 v10, s10
	s_xor_b64 exec, exec, s[6:7]
	s_cbranch_execnz .LBB28_2868
.LBB28_818:
	s_or_b64 exec, exec, s[6:7]
	s_and_saveexec_b64 s[6:7], s[4:5]
	s_cbranch_execz .LBB28_820
.LBB28_819:
	v_bfe_u32 v10, v15, 16, 3
	v_ffbh_u32_e32 v21, v10
	v_min_u32_e32 v21, 32, v21
	v_lshrrev_b32_e32 v14, 19, v15
	v_subrev_u32_e32 v22, 28, v21
	v_and_b32_e32 v14, 15, v14
	v_lshlrev_b32_sdwa v22, v22, v15 dst_sel:DWORD dst_unused:UNUSED_PAD src0_sel:DWORD src1_sel:WORD_1
	v_bfe_u32 v20, v15, 19, 4
	v_sub_u32_e32 v21, 29, v21
	v_and_b32_e32 v22, 7, v22
	v_cmp_eq_u16_e32 vcc, 0, v14
	v_cndmask_b32_e32 v10, v10, v22, vcc
	v_cndmask_b32_e32 v14, v20, v21, vcc
	v_lshlrev_b32_e32 v20, 8, v15
	v_mov_b32_e32 v21, 0x3b800000
	v_lshlrev_b32_e32 v10, 20, v10
	v_and_b32_e32 v20, 0x80000000, v20
	v_lshl_add_u32 v14, v14, 23, v21
	v_or3_b32 v10, v20, v14, v10
.LBB28_820:
	s_or_b64 exec, exec, s[6:7]
	s_movk_i32 s4, 0xff
	v_and_b32_sdwa v14, v11, s4 dst_sel:DWORD dst_unused:UNUSED_PAD src0_sel:WORD_1 src1_sel:DWORD
	s_movk_i32 s4, 0x7f
	v_cmp_lt_i16_e32 vcc, s4, v14
	s_mov_b64 s[4:5], 0
                                        ; implicit-def: $sgpr10
	s_and_saveexec_b64 s[6:7], vcc
	s_xor_b64 s[6:7], exec, s[6:7]
	s_cbranch_execnz .LBB28_2869
; %bb.821:
	s_or_saveexec_b64 s[6:7], s[6:7]
	v_mov_b32_e32 v20, s10
	s_xor_b64 exec, exec, s[6:7]
	s_cbranch_execnz .LBB28_2872
.LBB28_822:
	s_or_b64 exec, exec, s[6:7]
	s_and_saveexec_b64 s[6:7], s[4:5]
	s_cbranch_execz .LBB28_824
.LBB28_823:
	v_bfe_u32 v14, v11, 16, 3
	v_ffbh_u32_e32 v22, v14
	v_min_u32_e32 v22, 32, v22
	v_lshrrev_b32_e32 v20, 19, v11
	v_subrev_u32_e32 v23, 28, v22
	v_and_b32_e32 v20, 15, v20
	v_lshlrev_b32_sdwa v23, v23, v11 dst_sel:DWORD dst_unused:UNUSED_PAD src0_sel:DWORD src1_sel:WORD_1
	v_bfe_u32 v21, v11, 19, 4
	v_sub_u32_e32 v22, 29, v22
	v_and_b32_e32 v23, 7, v23
	v_cmp_eq_u16_e32 vcc, 0, v20
	v_cndmask_b32_e32 v14, v14, v23, vcc
	v_cndmask_b32_e32 v20, v21, v22, vcc
	v_lshlrev_b32_e32 v21, 8, v11
	v_mov_b32_e32 v22, 0x3b800000
	v_lshlrev_b32_e32 v14, 20, v14
	v_and_b32_e32 v21, 0x80000000, v21
	v_lshl_add_u32 v20, v20, 23, v22
	v_or3_b32 v20, v21, v20, v14
.LBB28_824:
	s_or_b64 exec, exec, s[6:7]
	s_nop 0
	v_mfma_f32_16x16x4f32 a[0:3], v10, v20, a[0:3]
	s_movk_i32 s4, 0x7f
	v_cmp_gt_i16_sdwa s[6:7], v15, s4 src0_sel:BYTE_3 src1_sel:DWORD
	s_mov_b64 s[4:5], 0
                                        ; implicit-def: $sgpr10
	s_and_saveexec_b64 s[8:9], s[6:7]
	s_xor_b64 s[6:7], exec, s[8:9]
	s_cbranch_execnz .LBB28_2873
; %bb.825:
	s_or_saveexec_b64 s[6:7], s[6:7]
	v_mov_b32_e32 v10, s10
	s_xor_b64 exec, exec, s[6:7]
	s_cbranch_execnz .LBB28_2876
.LBB28_826:
	s_or_b64 exec, exec, s[6:7]
	s_and_saveexec_b64 s[6:7], s[4:5]
	s_cbranch_execz .LBB28_828
.LBB28_827:
	v_bfe_u32 v10, v15, 24, 3
	v_ffbh_u32_e32 v22, v10
	v_min_u32_e32 v22, 32, v22
	v_lshrrev_b32_e32 v20, 27, v15
	v_subrev_u32_e32 v23, 28, v22
	v_and_b32_e32 v14, 0x80000000, v15
	v_and_b32_e32 v20, 15, v20
	v_bfe_u32 v21, v15, 27, 4
	v_lshlrev_b32_sdwa v15, v23, v15 dst_sel:DWORD dst_unused:UNUSED_PAD src0_sel:DWORD src1_sel:BYTE_3
	v_sub_u32_e32 v22, 29, v22
	v_and_b32_e32 v15, 7, v15
	v_cmp_eq_u16_e32 vcc, 0, v20
	v_cndmask_b32_e32 v10, v10, v15, vcc
	v_cndmask_b32_e32 v15, v21, v22, vcc
	v_mov_b32_e32 v20, 0x3b800000
	v_lshlrev_b32_e32 v10, 20, v10
	v_lshl_add_u32 v15, v15, 23, v20
	v_or3_b32 v10, v14, v15, v10
.LBB28_828:
	s_or_b64 exec, exec, s[6:7]
	s_movk_i32 s4, 0x7f
	v_cmp_gt_i16_sdwa s[6:7], v11, s4 src0_sel:BYTE_3 src1_sel:DWORD
	s_mov_b64 s[4:5], 0
                                        ; implicit-def: $sgpr10
	s_and_saveexec_b64 s[8:9], s[6:7]
	s_xor_b64 s[6:7], exec, s[8:9]
	s_cbranch_execnz .LBB28_2877
; %bb.829:
	s_or_saveexec_b64 s[6:7], s[6:7]
	v_mov_b32_e32 v14, s10
	s_xor_b64 exec, exec, s[6:7]
	s_cbranch_execnz .LBB28_2880
.LBB28_830:
	s_or_b64 exec, exec, s[6:7]
	s_and_saveexec_b64 s[6:7], s[4:5]
	s_cbranch_execz .LBB28_832
.LBB28_831:
	v_bfe_u32 v14, v11, 24, 3
	v_ffbh_u32_e32 v22, v14
	v_min_u32_e32 v22, 32, v22
	v_lshrrev_b32_e32 v20, 27, v11
	v_subrev_u32_e32 v23, 28, v22
	v_and_b32_e32 v15, 0x80000000, v11
	v_and_b32_e32 v20, 15, v20
	v_bfe_u32 v21, v11, 27, 4
	v_lshlrev_b32_sdwa v11, v23, v11 dst_sel:DWORD dst_unused:UNUSED_PAD src0_sel:DWORD src1_sel:BYTE_3
	v_sub_u32_e32 v22, 29, v22
	v_and_b32_e32 v11, 7, v11
	v_cmp_eq_u16_e32 vcc, 0, v20
	v_cndmask_b32_e32 v11, v14, v11, vcc
	v_cndmask_b32_e32 v14, v21, v22, vcc
	v_mov_b32_e32 v20, 0x3b800000
	v_lshlrev_b32_e32 v11, 20, v11
	v_lshl_add_u32 v14, v14, 23, v20
	v_or3_b32 v14, v15, v14, v11
.LBB28_832:
	s_or_b64 exec, exec, s[6:7]
	s_nop 0
	v_mfma_f32_16x16x4f32 a[0:3], v10, v14, a[0:3]
	s_movk_i32 s4, 0x7f
	v_cmp_gt_i16_sdwa s[6:7], v16, s4 src0_sel:BYTE_0 src1_sel:DWORD
	s_mov_b64 s[4:5], 0
                                        ; implicit-def: $sgpr10
	s_and_saveexec_b64 s[8:9], s[6:7]
	s_xor_b64 s[6:7], exec, s[8:9]
	s_cbranch_execnz .LBB28_2881
; %bb.833:
	s_or_saveexec_b64 s[6:7], s[6:7]
	v_mov_b32_e32 v10, s10
	s_xor_b64 exec, exec, s[6:7]
	s_cbranch_execnz .LBB28_2884
.LBB28_834:
	s_or_b64 exec, exec, s[6:7]
	s_and_saveexec_b64 s[6:7], s[4:5]
	s_cbranch_execz .LBB28_836
.LBB28_835:
	v_and_b32_e32 v10, 7, v16
	v_ffbh_u32_e32 v14, v10
	v_min_u32_e32 v14, 32, v14
	v_lshrrev_b16_e32 v11, 3, v16
	v_subrev_u32_e32 v15, 28, v14
	v_and_b32_e32 v11, 15, v11
	v_lshlrev_b32_e32 v15, v15, v16
	v_sub_u32_e32 v14, 29, v14
	v_and_b32_e32 v15, 7, v15
	v_cmp_eq_u16_e32 vcc, 0, v11
	v_cndmask_b32_e32 v10, v10, v15, vcc
	v_cndmask_b32_e32 v11, v11, v14, vcc
	v_lshlrev_b32_e32 v14, 24, v16
	v_mov_b32_e32 v15, 0x3b800000
	v_lshlrev_b32_e32 v10, 20, v10
	v_and_b32_e32 v14, 0x80000000, v14
	v_lshl_add_u32 v11, v11, 23, v15
	v_or3_b32 v10, v14, v11, v10
.LBB28_836:
	s_or_b64 exec, exec, s[6:7]
	s_movk_i32 s4, 0x7f
	v_cmp_gt_i16_sdwa s[6:7], v12, s4 src0_sel:BYTE_0 src1_sel:DWORD
	s_mov_b64 s[4:5], 0
                                        ; implicit-def: $sgpr10
	s_and_saveexec_b64 s[8:9], s[6:7]
	s_xor_b64 s[6:7], exec, s[8:9]
	s_cbranch_execnz .LBB28_2885
; %bb.837:
	s_or_saveexec_b64 s[6:7], s[6:7]
	v_mov_b32_e32 v11, s10
	s_xor_b64 exec, exec, s[6:7]
	s_cbranch_execnz .LBB28_2888
.LBB28_838:
	s_or_b64 exec, exec, s[6:7]
	s_and_saveexec_b64 s[6:7], s[4:5]
	s_cbranch_execz .LBB28_840
.LBB28_839:
	v_and_b32_e32 v11, 7, v12
	v_ffbh_u32_e32 v15, v11
	v_min_u32_e32 v15, 32, v15
	v_lshrrev_b16_e32 v14, 3, v12
	v_subrev_u32_e32 v20, 28, v15
	v_and_b32_e32 v14, 15, v14
	v_lshlrev_b32_e32 v20, v20, v12
	v_sub_u32_e32 v15, 29, v15
	v_and_b32_e32 v20, 7, v20
	v_cmp_eq_u16_e32 vcc, 0, v14
	v_cndmask_b32_e32 v11, v11, v20, vcc
	v_cndmask_b32_e32 v14, v14, v15, vcc
	v_lshlrev_b32_e32 v15, 24, v12
	v_mov_b32_e32 v20, 0x3b800000
	v_lshlrev_b32_e32 v11, 20, v11
	v_and_b32_e32 v15, 0x80000000, v15
	v_lshl_add_u32 v14, v14, 23, v20
	v_or3_b32 v11, v15, v14, v11
.LBB28_840:
	s_or_b64 exec, exec, s[6:7]
	s_nop 0
	v_mfma_f32_16x16x4f32 a[0:3], v10, v11, a[0:3]
	v_lshrrev_b32_e32 v11, 8, v16
	s_movk_i32 s4, 0x7f
	v_cmp_gt_i16_sdwa s[6:7], v11, s4 src0_sel:BYTE_0 src1_sel:DWORD
	s_mov_b64 s[4:5], 0
                                        ; implicit-def: $sgpr10
	s_and_saveexec_b64 s[8:9], s[6:7]
	s_xor_b64 s[6:7], exec, s[8:9]
	s_cbranch_execnz .LBB28_2889
; %bb.841:
	s_or_saveexec_b64 s[6:7], s[6:7]
	v_mov_b32_e32 v10, s10
	s_xor_b64 exec, exec, s[6:7]
	s_cbranch_execnz .LBB28_2892
.LBB28_842:
	s_or_b64 exec, exec, s[6:7]
	s_and_saveexec_b64 s[6:7], s[4:5]
	s_cbranch_execz .LBB28_844
.LBB28_843:
	v_bfe_u32 v10, v16, 8, 3
	v_ffbh_u32_e32 v15, v10
	v_min_u32_e32 v15, 32, v15
	v_lshrrev_b16_e32 v14, 3, v11
	v_subrev_u32_e32 v20, 28, v15
	v_and_b32_e32 v14, 15, v14
	v_lshlrev_b32_e32 v11, v20, v11
	v_sub_u32_e32 v15, 29, v15
	v_and_b32_e32 v11, 7, v11
	v_cmp_eq_u16_e32 vcc, 0, v14
	v_cndmask_b32_e32 v10, v10, v11, vcc
	v_cndmask_b32_e32 v11, v14, v15, vcc
	v_lshlrev_b32_e32 v14, 16, v16
	v_mov_b32_e32 v15, 0x3b800000
	v_lshlrev_b32_e32 v10, 20, v10
	v_and_b32_e32 v14, 0x80000000, v14
	v_lshl_add_u32 v11, v11, 23, v15
	v_or3_b32 v10, v14, v11, v10
.LBB28_844:
	s_or_b64 exec, exec, s[6:7]
	v_lshrrev_b32_e32 v11, 8, v12
	s_movk_i32 s4, 0x7f
	v_cmp_gt_i16_sdwa s[6:7], v11, s4 src0_sel:BYTE_0 src1_sel:DWORD
	s_mov_b64 s[4:5], 0
                                        ; implicit-def: $sgpr10
	s_and_saveexec_b64 s[8:9], s[6:7]
	s_xor_b64 s[6:7], exec, s[8:9]
	s_cbranch_execnz .LBB28_2893
; %bb.845:
	s_or_saveexec_b64 s[6:7], s[6:7]
	v_mov_b32_e32 v14, s10
	s_xor_b64 exec, exec, s[6:7]
	s_cbranch_execnz .LBB28_2896
.LBB28_846:
	s_or_b64 exec, exec, s[6:7]
	s_and_saveexec_b64 s[6:7], s[4:5]
	s_cbranch_execz .LBB28_848
.LBB28_847:
	v_bfe_u32 v14, v12, 8, 3
	v_ffbh_u32_e32 v20, v14
	v_min_u32_e32 v20, 32, v20
	v_lshrrev_b16_e32 v15, 3, v11
	v_subrev_u32_e32 v21, 28, v20
	v_and_b32_e32 v15, 15, v15
	v_lshlrev_b32_e32 v11, v21, v11
	v_sub_u32_e32 v20, 29, v20
	v_and_b32_e32 v11, 7, v11
	v_cmp_eq_u16_e32 vcc, 0, v15
	v_cndmask_b32_e32 v11, v14, v11, vcc
	v_cndmask_b32_e32 v14, v15, v20, vcc
	v_lshlrev_b32_e32 v15, 16, v12
	v_mov_b32_e32 v20, 0x3b800000
	v_lshlrev_b32_e32 v11, 20, v11
	v_and_b32_e32 v15, 0x80000000, v15
	v_lshl_add_u32 v14, v14, 23, v20
	v_or3_b32 v14, v15, v14, v11
.LBB28_848:
	s_or_b64 exec, exec, s[6:7]
	s_nop 0
	v_mfma_f32_16x16x4f32 a[0:3], v10, v14, a[0:3]
	s_movk_i32 s4, 0xff
	v_and_b32_sdwa v11, v16, s4 dst_sel:DWORD dst_unused:UNUSED_PAD src0_sel:WORD_1 src1_sel:DWORD
	s_movk_i32 s4, 0x7f
	v_cmp_lt_i16_e32 vcc, s4, v11
	s_mov_b64 s[4:5], 0
                                        ; implicit-def: $sgpr10
	s_and_saveexec_b64 s[6:7], vcc
	s_xor_b64 s[6:7], exec, s[6:7]
	s_cbranch_execnz .LBB28_2897
; %bb.849:
	s_or_saveexec_b64 s[6:7], s[6:7]
	v_mov_b32_e32 v10, s10
	s_xor_b64 exec, exec, s[6:7]
	s_cbranch_execnz .LBB28_2900
.LBB28_850:
	s_or_b64 exec, exec, s[6:7]
	s_and_saveexec_b64 s[6:7], s[4:5]
	s_cbranch_execz .LBB28_852
.LBB28_851:
	v_bfe_u32 v10, v16, 16, 3
	v_ffbh_u32_e32 v15, v10
	v_min_u32_e32 v15, 32, v15
	v_lshrrev_b32_e32 v11, 19, v16
	v_subrev_u32_e32 v20, 28, v15
	v_and_b32_e32 v11, 15, v11
	v_lshlrev_b32_sdwa v20, v20, v16 dst_sel:DWORD dst_unused:UNUSED_PAD src0_sel:DWORD src1_sel:WORD_1
	v_bfe_u32 v14, v16, 19, 4
	v_sub_u32_e32 v15, 29, v15
	v_and_b32_e32 v20, 7, v20
	v_cmp_eq_u16_e32 vcc, 0, v11
	v_cndmask_b32_e32 v10, v10, v20, vcc
	v_cndmask_b32_e32 v11, v14, v15, vcc
	v_lshlrev_b32_e32 v14, 8, v16
	v_mov_b32_e32 v15, 0x3b800000
	v_lshlrev_b32_e32 v10, 20, v10
	v_and_b32_e32 v14, 0x80000000, v14
	v_lshl_add_u32 v11, v11, 23, v15
	v_or3_b32 v10, v14, v11, v10
.LBB28_852:
	s_or_b64 exec, exec, s[6:7]
	s_movk_i32 s4, 0xff
	v_and_b32_sdwa v11, v12, s4 dst_sel:DWORD dst_unused:UNUSED_PAD src0_sel:WORD_1 src1_sel:DWORD
	s_movk_i32 s4, 0x7f
	v_cmp_lt_i16_e32 vcc, s4, v11
	s_mov_b64 s[4:5], 0
                                        ; implicit-def: $sgpr10
	s_and_saveexec_b64 s[6:7], vcc
	s_xor_b64 s[6:7], exec, s[6:7]
	s_cbranch_execnz .LBB28_2901
; %bb.853:
	s_or_saveexec_b64 s[6:7], s[6:7]
	v_mov_b32_e32 v14, s10
	s_xor_b64 exec, exec, s[6:7]
	s_cbranch_execnz .LBB28_2904
.LBB28_854:
	s_or_b64 exec, exec, s[6:7]
	s_and_saveexec_b64 s[6:7], s[4:5]
	s_cbranch_execz .LBB28_856
.LBB28_855:
	v_bfe_u32 v11, v12, 16, 3
	v_ffbh_u32_e32 v20, v11
	v_min_u32_e32 v20, 32, v20
	v_lshrrev_b32_e32 v14, 19, v12
	v_subrev_u32_e32 v21, 28, v20
	v_and_b32_e32 v14, 15, v14
	v_lshlrev_b32_sdwa v21, v21, v12 dst_sel:DWORD dst_unused:UNUSED_PAD src0_sel:DWORD src1_sel:WORD_1
	v_bfe_u32 v15, v12, 19, 4
	v_sub_u32_e32 v20, 29, v20
	v_and_b32_e32 v21, 7, v21
	v_cmp_eq_u16_e32 vcc, 0, v14
	v_cndmask_b32_e32 v11, v11, v21, vcc
	v_cndmask_b32_e32 v14, v15, v20, vcc
	v_lshlrev_b32_e32 v15, 8, v12
	v_mov_b32_e32 v20, 0x3b800000
	v_lshlrev_b32_e32 v11, 20, v11
	v_and_b32_e32 v15, 0x80000000, v15
	v_lshl_add_u32 v14, v14, 23, v20
	v_or3_b32 v14, v15, v14, v11
.LBB28_856:
	s_or_b64 exec, exec, s[6:7]
	s_nop 0
	v_mfma_f32_16x16x4f32 a[0:3], v10, v14, a[0:3]
	s_movk_i32 s4, 0x7f
	v_cmp_gt_i16_sdwa s[6:7], v16, s4 src0_sel:BYTE_3 src1_sel:DWORD
	s_mov_b64 s[4:5], 0
                                        ; implicit-def: $sgpr10
	s_and_saveexec_b64 s[8:9], s[6:7]
	s_xor_b64 s[6:7], exec, s[8:9]
	s_cbranch_execnz .LBB28_2905
; %bb.857:
	s_or_saveexec_b64 s[6:7], s[6:7]
	v_mov_b32_e32 v10, s10
	s_xor_b64 exec, exec, s[6:7]
	s_cbranch_execnz .LBB28_2908
.LBB28_858:
	s_or_b64 exec, exec, s[6:7]
	s_and_saveexec_b64 s[6:7], s[4:5]
	s_cbranch_execz .LBB28_860
.LBB28_859:
	v_bfe_u32 v10, v16, 24, 3
	v_ffbh_u32_e32 v20, v10
	v_min_u32_e32 v20, 32, v20
	v_lshrrev_b32_e32 v14, 27, v16
	v_subrev_u32_e32 v21, 28, v20
	v_and_b32_e32 v11, 0x80000000, v16
	v_and_b32_e32 v14, 15, v14
	v_bfe_u32 v15, v16, 27, 4
	v_lshlrev_b32_sdwa v16, v21, v16 dst_sel:DWORD dst_unused:UNUSED_PAD src0_sel:DWORD src1_sel:BYTE_3
	v_sub_u32_e32 v20, 29, v20
	v_and_b32_e32 v16, 7, v16
	v_cmp_eq_u16_e32 vcc, 0, v14
	v_cndmask_b32_e32 v10, v10, v16, vcc
	v_cndmask_b32_e32 v14, v15, v20, vcc
	v_mov_b32_e32 v15, 0x3b800000
	v_lshlrev_b32_e32 v10, 20, v10
	v_lshl_add_u32 v14, v14, 23, v15
	v_or3_b32 v10, v11, v14, v10
.LBB28_860:
	s_or_b64 exec, exec, s[6:7]
	s_movk_i32 s4, 0x7f
	v_cmp_gt_i16_sdwa s[6:7], v12, s4 src0_sel:BYTE_3 src1_sel:DWORD
	s_mov_b64 s[4:5], 0
                                        ; implicit-def: $sgpr10
	s_and_saveexec_b64 s[8:9], s[6:7]
	s_xor_b64 s[6:7], exec, s[8:9]
	s_cbranch_execnz .LBB28_2909
; %bb.861:
	s_or_saveexec_b64 s[6:7], s[6:7]
	v_mov_b32_e32 v11, s10
	s_xor_b64 exec, exec, s[6:7]
	s_cbranch_execnz .LBB28_2912
.LBB28_862:
	s_or_b64 exec, exec, s[6:7]
	s_and_saveexec_b64 s[6:7], s[4:5]
	s_cbranch_execz .LBB28_864
.LBB28_863:
	v_bfe_u32 v11, v12, 24, 3
	v_ffbh_u32_e32 v20, v11
	v_min_u32_e32 v20, 32, v20
	v_lshrrev_b32_e32 v15, 27, v12
	v_subrev_u32_e32 v21, 28, v20
	v_and_b32_e32 v14, 0x80000000, v12
	v_and_b32_e32 v15, 15, v15
	v_bfe_u32 v16, v12, 27, 4
	v_lshlrev_b32_sdwa v12, v21, v12 dst_sel:DWORD dst_unused:UNUSED_PAD src0_sel:DWORD src1_sel:BYTE_3
	v_sub_u32_e32 v20, 29, v20
	v_and_b32_e32 v12, 7, v12
	v_cmp_eq_u16_e32 vcc, 0, v15
	v_cndmask_b32_e32 v11, v11, v12, vcc
	v_cndmask_b32_e32 v12, v16, v20, vcc
	v_mov_b32_e32 v15, 0x3b800000
	v_lshlrev_b32_e32 v11, 20, v11
	v_lshl_add_u32 v12, v12, 23, v15
	v_or3_b32 v11, v14, v12, v11
.LBB28_864:
	s_or_b64 exec, exec, s[6:7]
	s_nop 0
	v_mfma_f32_16x16x4f32 a[0:3], v10, v11, a[0:3]
	s_movk_i32 s4, 0x7f
	v_cmp_gt_i16_sdwa s[6:7], v17, s4 src0_sel:BYTE_0 src1_sel:DWORD
	s_mov_b64 s[4:5], 0
                                        ; implicit-def: $sgpr10
	s_and_saveexec_b64 s[8:9], s[6:7]
	s_xor_b64 s[6:7], exec, s[8:9]
	s_cbranch_execnz .LBB28_2913
; %bb.865:
	s_or_saveexec_b64 s[6:7], s[6:7]
	v_mov_b32_e32 v10, s10
	s_xor_b64 exec, exec, s[6:7]
	s_cbranch_execnz .LBB28_2916
.LBB28_866:
	s_or_b64 exec, exec, s[6:7]
	s_and_saveexec_b64 s[6:7], s[4:5]
	s_cbranch_execz .LBB28_868
.LBB28_867:
	v_and_b32_e32 v10, 7, v17
	v_ffbh_u32_e32 v12, v10
	v_min_u32_e32 v12, 32, v12
	v_lshrrev_b16_e32 v11, 3, v17
	v_subrev_u32_e32 v14, 28, v12
	v_and_b32_e32 v11, 15, v11
	v_lshlrev_b32_e32 v14, v14, v17
	v_sub_u32_e32 v12, 29, v12
	v_and_b32_e32 v14, 7, v14
	v_cmp_eq_u16_e32 vcc, 0, v11
	v_cndmask_b32_e32 v10, v10, v14, vcc
	v_cndmask_b32_e32 v11, v11, v12, vcc
	v_lshlrev_b32_e32 v12, 24, v17
	v_mov_b32_e32 v14, 0x3b800000
	v_lshlrev_b32_e32 v10, 20, v10
	v_and_b32_e32 v12, 0x80000000, v12
	v_lshl_add_u32 v11, v11, 23, v14
	v_or3_b32 v10, v12, v11, v10
.LBB28_868:
	s_or_b64 exec, exec, s[6:7]
	s_movk_i32 s4, 0x7f
	v_cmp_gt_i16_sdwa s[6:7], v13, s4 src0_sel:BYTE_0 src1_sel:DWORD
	s_mov_b64 s[4:5], 0
                                        ; implicit-def: $sgpr10
	s_and_saveexec_b64 s[8:9], s[6:7]
	s_xor_b64 s[6:7], exec, s[8:9]
	s_cbranch_execnz .LBB28_2917
; %bb.869:
	s_or_saveexec_b64 s[6:7], s[6:7]
	v_mov_b32_e32 v11, s10
	s_xor_b64 exec, exec, s[6:7]
	s_cbranch_execnz .LBB28_2920
.LBB28_870:
	s_or_b64 exec, exec, s[6:7]
	s_and_saveexec_b64 s[6:7], s[4:5]
	s_cbranch_execz .LBB28_872
.LBB28_871:
	v_and_b32_e32 v11, 7, v13
	v_ffbh_u32_e32 v14, v11
	v_min_u32_e32 v14, 32, v14
	v_lshrrev_b16_e32 v12, 3, v13
	v_subrev_u32_e32 v15, 28, v14
	v_and_b32_e32 v12, 15, v12
	v_lshlrev_b32_e32 v15, v15, v13
	v_sub_u32_e32 v14, 29, v14
	v_and_b32_e32 v15, 7, v15
	v_cmp_eq_u16_e32 vcc, 0, v12
	v_cndmask_b32_e32 v11, v11, v15, vcc
	v_cndmask_b32_e32 v12, v12, v14, vcc
	v_lshlrev_b32_e32 v14, 24, v13
	v_mov_b32_e32 v15, 0x3b800000
	v_lshlrev_b32_e32 v11, 20, v11
	v_and_b32_e32 v14, 0x80000000, v14
	v_lshl_add_u32 v12, v12, 23, v15
	v_or3_b32 v11, v14, v12, v11
.LBB28_872:
	s_or_b64 exec, exec, s[6:7]
	s_nop 0
	v_mfma_f32_16x16x4f32 a[0:3], v10, v11, a[0:3]
	v_lshrrev_b32_e32 v11, 8, v17
	s_movk_i32 s4, 0x7f
	v_cmp_gt_i16_sdwa s[6:7], v11, s4 src0_sel:BYTE_0 src1_sel:DWORD
	s_mov_b64 s[4:5], 0
                                        ; implicit-def: $sgpr10
	s_and_saveexec_b64 s[8:9], s[6:7]
	s_xor_b64 s[6:7], exec, s[8:9]
	s_cbranch_execnz .LBB28_2921
; %bb.873:
	s_or_saveexec_b64 s[6:7], s[6:7]
	v_mov_b32_e32 v10, s10
	s_xor_b64 exec, exec, s[6:7]
	s_cbranch_execnz .LBB28_2924
.LBB28_874:
	s_or_b64 exec, exec, s[6:7]
	s_and_saveexec_b64 s[6:7], s[4:5]
	s_cbranch_execz .LBB28_876
.LBB28_875:
	v_bfe_u32 v10, v17, 8, 3
	v_ffbh_u32_e32 v14, v10
	v_min_u32_e32 v14, 32, v14
	v_lshrrev_b16_e32 v12, 3, v11
	v_subrev_u32_e32 v15, 28, v14
	v_and_b32_e32 v12, 15, v12
	v_lshlrev_b32_e32 v11, v15, v11
	v_sub_u32_e32 v14, 29, v14
	v_and_b32_e32 v11, 7, v11
	v_cmp_eq_u16_e32 vcc, 0, v12
	v_cndmask_b32_e32 v10, v10, v11, vcc
	v_cndmask_b32_e32 v11, v12, v14, vcc
	v_lshlrev_b32_e32 v12, 16, v17
	v_mov_b32_e32 v14, 0x3b800000
	v_lshlrev_b32_e32 v10, 20, v10
	v_and_b32_e32 v12, 0x80000000, v12
	v_lshl_add_u32 v11, v11, 23, v14
	v_or3_b32 v10, v12, v11, v10
.LBB28_876:
	s_or_b64 exec, exec, s[6:7]
	v_lshrrev_b32_e32 v11, 8, v13
	s_movk_i32 s4, 0x7f
	v_cmp_gt_i16_sdwa s[6:7], v11, s4 src0_sel:BYTE_0 src1_sel:DWORD
	s_mov_b64 s[4:5], 0
                                        ; implicit-def: $sgpr10
	s_and_saveexec_b64 s[8:9], s[6:7]
	s_xor_b64 s[6:7], exec, s[8:9]
	s_cbranch_execnz .LBB28_2925
; %bb.877:
	s_or_saveexec_b64 s[6:7], s[6:7]
	v_mov_b32_e32 v12, s10
	s_xor_b64 exec, exec, s[6:7]
	s_cbranch_execnz .LBB28_2928
.LBB28_878:
	s_or_b64 exec, exec, s[6:7]
	s_and_saveexec_b64 s[6:7], s[4:5]
	s_cbranch_execz .LBB28_880
.LBB28_879:
	v_bfe_u32 v12, v13, 8, 3
	v_ffbh_u32_e32 v15, v12
	v_min_u32_e32 v15, 32, v15
	v_lshrrev_b16_e32 v14, 3, v11
	v_subrev_u32_e32 v16, 28, v15
	v_and_b32_e32 v14, 15, v14
	v_lshlrev_b32_e32 v11, v16, v11
	v_sub_u32_e32 v15, 29, v15
	v_and_b32_e32 v11, 7, v11
	v_cmp_eq_u16_e32 vcc, 0, v14
	v_cndmask_b32_e32 v11, v12, v11, vcc
	v_cndmask_b32_e32 v12, v14, v15, vcc
	v_lshlrev_b32_e32 v14, 16, v13
	v_mov_b32_e32 v15, 0x3b800000
	v_lshlrev_b32_e32 v11, 20, v11
	v_and_b32_e32 v14, 0x80000000, v14
	v_lshl_add_u32 v12, v12, 23, v15
	v_or3_b32 v12, v14, v12, v11
.LBB28_880:
	s_or_b64 exec, exec, s[6:7]
	s_nop 0
	v_mfma_f32_16x16x4f32 a[0:3], v10, v12, a[0:3]
	s_movk_i32 s4, 0xff
	v_and_b32_sdwa v11, v17, s4 dst_sel:DWORD dst_unused:UNUSED_PAD src0_sel:WORD_1 src1_sel:DWORD
	s_movk_i32 s4, 0x7f
	v_cmp_lt_i16_e32 vcc, s4, v11
	s_mov_b64 s[4:5], 0
                                        ; implicit-def: $sgpr10
	s_and_saveexec_b64 s[6:7], vcc
	s_xor_b64 s[6:7], exec, s[6:7]
	s_cbranch_execnz .LBB28_2929
; %bb.881:
	s_or_saveexec_b64 s[6:7], s[6:7]
	v_mov_b32_e32 v10, s10
	s_xor_b64 exec, exec, s[6:7]
	s_cbranch_execnz .LBB28_2932
.LBB28_882:
	s_or_b64 exec, exec, s[6:7]
	s_and_saveexec_b64 s[6:7], s[4:5]
	s_cbranch_execz .LBB28_884
.LBB28_883:
	v_bfe_u32 v10, v17, 16, 3
	v_ffbh_u32_e32 v14, v10
	v_min_u32_e32 v14, 32, v14
	v_lshrrev_b32_e32 v11, 19, v17
	v_subrev_u32_e32 v15, 28, v14
	v_and_b32_e32 v11, 15, v11
	v_lshlrev_b32_sdwa v15, v15, v17 dst_sel:DWORD dst_unused:UNUSED_PAD src0_sel:DWORD src1_sel:WORD_1
	v_bfe_u32 v12, v17, 19, 4
	v_sub_u32_e32 v14, 29, v14
	v_and_b32_e32 v15, 7, v15
	v_cmp_eq_u16_e32 vcc, 0, v11
	v_cndmask_b32_e32 v10, v10, v15, vcc
	v_cndmask_b32_e32 v11, v12, v14, vcc
	v_lshlrev_b32_e32 v12, 8, v17
	v_mov_b32_e32 v14, 0x3b800000
	v_lshlrev_b32_e32 v10, 20, v10
	v_and_b32_e32 v12, 0x80000000, v12
	v_lshl_add_u32 v11, v11, 23, v14
	v_or3_b32 v10, v12, v11, v10
.LBB28_884:
	s_or_b64 exec, exec, s[6:7]
	s_movk_i32 s4, 0xff
	v_and_b32_sdwa v11, v13, s4 dst_sel:DWORD dst_unused:UNUSED_PAD src0_sel:WORD_1 src1_sel:DWORD
	s_movk_i32 s4, 0x7f
	v_cmp_lt_i16_e32 vcc, s4, v11
	s_mov_b64 s[4:5], 0
                                        ; implicit-def: $sgpr10
	s_and_saveexec_b64 s[6:7], vcc
	s_xor_b64 s[6:7], exec, s[6:7]
	s_cbranch_execnz .LBB28_2933
; %bb.885:
	s_or_saveexec_b64 s[6:7], s[6:7]
	v_mov_b32_e32 v12, s10
	s_xor_b64 exec, exec, s[6:7]
	s_cbranch_execnz .LBB28_2936
.LBB28_886:
	s_or_b64 exec, exec, s[6:7]
	s_and_saveexec_b64 s[6:7], s[4:5]
	s_cbranch_execz .LBB28_888
.LBB28_887:
	v_bfe_u32 v11, v13, 16, 3
	v_ffbh_u32_e32 v15, v11
	v_min_u32_e32 v15, 32, v15
	v_lshrrev_b32_e32 v12, 19, v13
	v_subrev_u32_e32 v16, 28, v15
	v_and_b32_e32 v12, 15, v12
	v_lshlrev_b32_sdwa v16, v16, v13 dst_sel:DWORD dst_unused:UNUSED_PAD src0_sel:DWORD src1_sel:WORD_1
	v_bfe_u32 v14, v13, 19, 4
	v_sub_u32_e32 v15, 29, v15
	v_and_b32_e32 v16, 7, v16
	v_cmp_eq_u16_e32 vcc, 0, v12
	v_cndmask_b32_e32 v11, v11, v16, vcc
	v_cndmask_b32_e32 v12, v14, v15, vcc
	v_lshlrev_b32_e32 v14, 8, v13
	v_mov_b32_e32 v15, 0x3b800000
	v_lshlrev_b32_e32 v11, 20, v11
	v_and_b32_e32 v14, 0x80000000, v14
	v_lshl_add_u32 v12, v12, 23, v15
	v_or3_b32 v12, v14, v12, v11
.LBB28_888:
	s_or_b64 exec, exec, s[6:7]
	s_nop 0
	v_mfma_f32_16x16x4f32 a[0:3], v10, v12, a[0:3]
	s_movk_i32 s4, 0x7f
	v_cmp_gt_i16_sdwa s[6:7], v17, s4 src0_sel:BYTE_3 src1_sel:DWORD
	s_mov_b64 s[4:5], 0
                                        ; implicit-def: $sgpr10
	s_and_saveexec_b64 s[8:9], s[6:7]
	s_xor_b64 s[6:7], exec, s[8:9]
	s_cbranch_execnz .LBB28_2937
; %bb.889:
	s_or_saveexec_b64 s[6:7], s[6:7]
	v_mov_b32_e32 v10, s10
	s_xor_b64 exec, exec, s[6:7]
	s_cbranch_execnz .LBB28_2940
.LBB28_890:
	s_or_b64 exec, exec, s[6:7]
	s_and_saveexec_b64 s[6:7], s[4:5]
	s_cbranch_execz .LBB28_892
.LBB28_891:
	v_bfe_u32 v10, v17, 24, 3
	v_ffbh_u32_e32 v15, v10
	v_min_u32_e32 v15, 32, v15
	v_lshrrev_b32_e32 v12, 27, v17
	v_subrev_u32_e32 v16, 28, v15
	v_and_b32_e32 v12, 15, v12
	v_lshlrev_b32_sdwa v16, v16, v17 dst_sel:DWORD dst_unused:UNUSED_PAD src0_sel:DWORD src1_sel:BYTE_3
	v_bfe_u32 v14, v17, 27, 4
	v_sub_u32_e32 v15, 29, v15
	v_and_b32_e32 v16, 7, v16
	v_cmp_eq_u16_e32 vcc, 0, v12
	v_cndmask_b32_e32 v10, v10, v16, vcc
	v_cndmask_b32_e32 v12, v14, v15, vcc
	v_mov_b32_e32 v14, 0x3b800000
	v_and_b32_e32 v11, 0x80000000, v17
	v_lshlrev_b32_e32 v10, 20, v10
	v_lshl_add_u32 v12, v12, 23, v14
	v_or3_b32 v10, v11, v12, v10
.LBB28_892:
	s_or_b64 exec, exec, s[6:7]
	s_movk_i32 s4, 0x7f
	v_cmp_gt_i16_sdwa s[6:7], v13, s4 src0_sel:BYTE_3 src1_sel:DWORD
	s_mov_b64 s[4:5], 0
                                        ; implicit-def: $sgpr10
	s_and_saveexec_b64 s[8:9], s[6:7]
	s_xor_b64 s[6:7], exec, s[8:9]
	s_cbranch_execnz .LBB28_2941
; %bb.893:
	s_or_saveexec_b64 s[6:7], s[6:7]
	v_mov_b32_e32 v11, s10
	s_xor_b64 exec, exec, s[6:7]
	s_cbranch_execnz .LBB28_2944
.LBB28_894:
	s_or_b64 exec, exec, s[6:7]
	s_and_saveexec_b64 s[6:7], s[4:5]
	s_cbranch_execz .LBB28_896
.LBB28_895:
	v_bfe_u32 v11, v13, 24, 3
	v_ffbh_u32_e32 v16, v11
	v_min_u32_e32 v16, 32, v16
	v_lshrrev_b32_e32 v14, 27, v13
	v_subrev_u32_e32 v17, 28, v16
	v_and_b32_e32 v12, 0x80000000, v13
	v_and_b32_e32 v14, 15, v14
	v_bfe_u32 v15, v13, 27, 4
	v_lshlrev_b32_sdwa v13, v17, v13 dst_sel:DWORD dst_unused:UNUSED_PAD src0_sel:DWORD src1_sel:BYTE_3
	v_sub_u32_e32 v16, 29, v16
	v_and_b32_e32 v13, 7, v13
	v_cmp_eq_u16_e32 vcc, 0, v14
	v_cndmask_b32_e32 v11, v11, v13, vcc
	v_cndmask_b32_e32 v13, v15, v16, vcc
	v_mov_b32_e32 v14, 0x3b800000
	v_lshlrev_b32_e32 v11, 20, v11
	v_lshl_add_u32 v13, v13, 23, v14
	v_or3_b32 v11, v12, v13, v11
.LBB28_896:
	s_or_b64 exec, exec, s[6:7]
	s_nop 0
	v_mfma_f32_16x16x4f32 a[0:3], v10, v11, a[0:3]
	s_movk_i32 s4, 0x7f
	v_cmp_gt_i16_sdwa s[6:7], v6, s4 src0_sel:BYTE_0 src1_sel:DWORD
	s_mov_b64 s[4:5], 0
                                        ; implicit-def: $sgpr10
	s_and_saveexec_b64 s[8:9], s[6:7]
	s_xor_b64 s[6:7], exec, s[8:9]
	s_cbranch_execnz .LBB28_2945
; %bb.897:
	s_or_saveexec_b64 s[6:7], s[6:7]
	v_mov_b32_e32 v10, s10
	s_xor_b64 exec, exec, s[6:7]
	s_cbranch_execnz .LBB28_2948
.LBB28_898:
	s_or_b64 exec, exec, s[6:7]
	s_and_saveexec_b64 s[6:7], s[4:5]
	s_cbranch_execz .LBB28_900
.LBB28_899:
	v_and_b32_e32 v10, 7, v6
	v_ffbh_u32_e32 v12, v10
	v_min_u32_e32 v12, 32, v12
	v_lshrrev_b16_e32 v11, 3, v6
	v_subrev_u32_e32 v13, 28, v12
	v_and_b32_e32 v11, 15, v11
	v_lshlrev_b32_e32 v13, v13, v6
	v_sub_u32_e32 v12, 29, v12
	v_and_b32_e32 v13, 7, v13
	v_cmp_eq_u16_e32 vcc, 0, v11
	v_cndmask_b32_e32 v10, v10, v13, vcc
	v_cndmask_b32_e32 v11, v11, v12, vcc
	v_lshlrev_b32_e32 v12, 24, v6
	v_mov_b32_e32 v13, 0x3b800000
	v_lshlrev_b32_e32 v10, 20, v10
	v_and_b32_e32 v12, 0x80000000, v12
	v_lshl_add_u32 v11, v11, 23, v13
	v_or3_b32 v10, v12, v11, v10
.LBB28_900:
	s_or_b64 exec, exec, s[6:7]
	s_movk_i32 s4, 0x7f
	v_cmp_gt_i16_sdwa s[6:7], v2, s4 src0_sel:BYTE_0 src1_sel:DWORD
	s_mov_b64 s[4:5], 0
                                        ; implicit-def: $sgpr10
	s_and_saveexec_b64 s[8:9], s[6:7]
	s_xor_b64 s[6:7], exec, s[8:9]
	s_cbranch_execnz .LBB28_2949
; %bb.901:
	s_or_saveexec_b64 s[6:7], s[6:7]
	v_mov_b32_e32 v11, s10
	s_xor_b64 exec, exec, s[6:7]
	s_cbranch_execnz .LBB28_2952
.LBB28_902:
	s_or_b64 exec, exec, s[6:7]
	s_and_saveexec_b64 s[6:7], s[4:5]
	s_cbranch_execz .LBB28_904
.LBB28_903:
	v_and_b32_e32 v11, 7, v2
	v_ffbh_u32_e32 v13, v11
	v_min_u32_e32 v13, 32, v13
	v_lshrrev_b16_e32 v12, 3, v2
	v_subrev_u32_e32 v14, 28, v13
	v_and_b32_e32 v12, 15, v12
	v_lshlrev_b32_e32 v14, v14, v2
	v_sub_u32_e32 v13, 29, v13
	v_and_b32_e32 v14, 7, v14
	v_cmp_eq_u16_e32 vcc, 0, v12
	v_cndmask_b32_e32 v11, v11, v14, vcc
	v_cndmask_b32_e32 v12, v12, v13, vcc
	v_lshlrev_b32_e32 v13, 24, v2
	v_mov_b32_e32 v14, 0x3b800000
	v_lshlrev_b32_e32 v11, 20, v11
	v_and_b32_e32 v13, 0x80000000, v13
	v_lshl_add_u32 v12, v12, 23, v14
	v_or3_b32 v11, v13, v12, v11
.LBB28_904:
	s_or_b64 exec, exec, s[6:7]
	s_nop 0
	v_mfma_f32_16x16x4f32 a[0:3], v10, v11, a[0:3]
	v_lshrrev_b32_e32 v11, 8, v6
	s_movk_i32 s4, 0x7f
	v_cmp_gt_i16_sdwa s[6:7], v11, s4 src0_sel:BYTE_0 src1_sel:DWORD
	s_mov_b64 s[4:5], 0
                                        ; implicit-def: $sgpr10
	s_and_saveexec_b64 s[8:9], s[6:7]
	s_xor_b64 s[6:7], exec, s[8:9]
	s_cbranch_execnz .LBB28_2953
; %bb.905:
	s_or_saveexec_b64 s[6:7], s[6:7]
	v_mov_b32_e32 v10, s10
	s_xor_b64 exec, exec, s[6:7]
	s_cbranch_execnz .LBB28_2956
.LBB28_906:
	s_or_b64 exec, exec, s[6:7]
	s_and_saveexec_b64 s[6:7], s[4:5]
	s_cbranch_execz .LBB28_908
.LBB28_907:
	v_bfe_u32 v10, v6, 8, 3
	v_ffbh_u32_e32 v13, v10
	v_min_u32_e32 v13, 32, v13
	v_lshrrev_b16_e32 v12, 3, v11
	v_subrev_u32_e32 v14, 28, v13
	v_and_b32_e32 v12, 15, v12
	v_lshlrev_b32_e32 v11, v14, v11
	v_sub_u32_e32 v13, 29, v13
	v_and_b32_e32 v11, 7, v11
	v_cmp_eq_u16_e32 vcc, 0, v12
	v_cndmask_b32_e32 v10, v10, v11, vcc
	v_cndmask_b32_e32 v11, v12, v13, vcc
	v_lshlrev_b32_e32 v12, 16, v6
	v_mov_b32_e32 v13, 0x3b800000
	v_lshlrev_b32_e32 v10, 20, v10
	v_and_b32_e32 v12, 0x80000000, v12
	v_lshl_add_u32 v11, v11, 23, v13
	v_or3_b32 v10, v12, v11, v10
.LBB28_908:
	s_or_b64 exec, exec, s[6:7]
	v_lshrrev_b32_e32 v11, 8, v2
	s_movk_i32 s4, 0x7f
	v_cmp_gt_i16_sdwa s[6:7], v11, s4 src0_sel:BYTE_0 src1_sel:DWORD
	s_mov_b64 s[4:5], 0
                                        ; implicit-def: $sgpr10
	s_and_saveexec_b64 s[8:9], s[6:7]
	s_xor_b64 s[6:7], exec, s[8:9]
	s_cbranch_execnz .LBB28_2957
; %bb.909:
	s_or_saveexec_b64 s[6:7], s[6:7]
	v_mov_b32_e32 v12, s10
	s_xor_b64 exec, exec, s[6:7]
	s_cbranch_execnz .LBB28_2960
.LBB28_910:
	s_or_b64 exec, exec, s[6:7]
	s_and_saveexec_b64 s[6:7], s[4:5]
	s_cbranch_execz .LBB28_912
.LBB28_911:
	v_bfe_u32 v12, v2, 8, 3
	v_ffbh_u32_e32 v14, v12
	v_min_u32_e32 v14, 32, v14
	v_lshrrev_b16_e32 v13, 3, v11
	v_subrev_u32_e32 v15, 28, v14
	v_and_b32_e32 v13, 15, v13
	v_lshlrev_b32_e32 v11, v15, v11
	v_sub_u32_e32 v14, 29, v14
	v_and_b32_e32 v11, 7, v11
	v_cmp_eq_u16_e32 vcc, 0, v13
	v_cndmask_b32_e32 v11, v12, v11, vcc
	v_cndmask_b32_e32 v12, v13, v14, vcc
	v_lshlrev_b32_e32 v13, 16, v2
	v_mov_b32_e32 v14, 0x3b800000
	v_lshlrev_b32_e32 v11, 20, v11
	v_and_b32_e32 v13, 0x80000000, v13
	v_lshl_add_u32 v12, v12, 23, v14
	v_or3_b32 v12, v13, v12, v11
.LBB28_912:
	s_or_b64 exec, exec, s[6:7]
	s_nop 0
	v_mfma_f32_16x16x4f32 a[0:3], v10, v12, a[0:3]
	s_movk_i32 s4, 0xff
	v_and_b32_sdwa v11, v6, s4 dst_sel:DWORD dst_unused:UNUSED_PAD src0_sel:WORD_1 src1_sel:DWORD
	s_movk_i32 s4, 0x7f
	v_cmp_lt_i16_e32 vcc, s4, v11
	s_mov_b64 s[4:5], 0
                                        ; implicit-def: $sgpr10
	s_and_saveexec_b64 s[6:7], vcc
	s_xor_b64 s[6:7], exec, s[6:7]
	s_cbranch_execnz .LBB28_2961
; %bb.913:
	s_or_saveexec_b64 s[6:7], s[6:7]
	v_mov_b32_e32 v10, s10
	s_xor_b64 exec, exec, s[6:7]
	s_cbranch_execnz .LBB28_2964
.LBB28_914:
	s_or_b64 exec, exec, s[6:7]
	s_and_saveexec_b64 s[6:7], s[4:5]
	s_cbranch_execz .LBB28_916
.LBB28_915:
	v_bfe_u32 v10, v6, 16, 3
	v_ffbh_u32_e32 v13, v10
	v_min_u32_e32 v13, 32, v13
	v_lshrrev_b32_e32 v11, 19, v6
	v_subrev_u32_e32 v14, 28, v13
	v_and_b32_e32 v11, 15, v11
	v_lshlrev_b32_sdwa v14, v14, v6 dst_sel:DWORD dst_unused:UNUSED_PAD src0_sel:DWORD src1_sel:WORD_1
	v_bfe_u32 v12, v6, 19, 4
	v_sub_u32_e32 v13, 29, v13
	v_and_b32_e32 v14, 7, v14
	v_cmp_eq_u16_e32 vcc, 0, v11
	v_cndmask_b32_e32 v10, v10, v14, vcc
	v_cndmask_b32_e32 v11, v12, v13, vcc
	v_lshlrev_b32_e32 v12, 8, v6
	v_mov_b32_e32 v13, 0x3b800000
	v_lshlrev_b32_e32 v10, 20, v10
	v_and_b32_e32 v12, 0x80000000, v12
	v_lshl_add_u32 v11, v11, 23, v13
	v_or3_b32 v10, v12, v11, v10
.LBB28_916:
	s_or_b64 exec, exec, s[6:7]
	s_movk_i32 s4, 0xff
	v_and_b32_sdwa v11, v2, s4 dst_sel:DWORD dst_unused:UNUSED_PAD src0_sel:WORD_1 src1_sel:DWORD
	s_movk_i32 s4, 0x7f
	v_cmp_lt_i16_e32 vcc, s4, v11
	s_mov_b64 s[4:5], 0
                                        ; implicit-def: $sgpr10
	s_and_saveexec_b64 s[6:7], vcc
	s_xor_b64 s[6:7], exec, s[6:7]
	s_cbranch_execnz .LBB28_2965
; %bb.917:
	s_or_saveexec_b64 s[6:7], s[6:7]
	v_mov_b32_e32 v12, s10
	s_xor_b64 exec, exec, s[6:7]
	s_cbranch_execnz .LBB28_2968
.LBB28_918:
	s_or_b64 exec, exec, s[6:7]
	s_and_saveexec_b64 s[6:7], s[4:5]
	s_cbranch_execz .LBB28_920
.LBB28_919:
	v_bfe_u32 v11, v2, 16, 3
	v_ffbh_u32_e32 v14, v11
	v_min_u32_e32 v14, 32, v14
	v_lshrrev_b32_e32 v12, 19, v2
	v_subrev_u32_e32 v15, 28, v14
	v_and_b32_e32 v12, 15, v12
	v_lshlrev_b32_sdwa v15, v15, v2 dst_sel:DWORD dst_unused:UNUSED_PAD src0_sel:DWORD src1_sel:WORD_1
	v_bfe_u32 v13, v2, 19, 4
	v_sub_u32_e32 v14, 29, v14
	v_and_b32_e32 v15, 7, v15
	v_cmp_eq_u16_e32 vcc, 0, v12
	v_cndmask_b32_e32 v11, v11, v15, vcc
	v_cndmask_b32_e32 v12, v13, v14, vcc
	v_lshlrev_b32_e32 v13, 8, v2
	v_mov_b32_e32 v14, 0x3b800000
	v_lshlrev_b32_e32 v11, 20, v11
	v_and_b32_e32 v13, 0x80000000, v13
	v_lshl_add_u32 v12, v12, 23, v14
	v_or3_b32 v12, v13, v12, v11
.LBB28_920:
	s_or_b64 exec, exec, s[6:7]
	s_nop 0
	v_mfma_f32_16x16x4f32 a[0:3], v10, v12, a[0:3]
	s_movk_i32 s4, 0x7f
	v_cmp_gt_i16_sdwa s[6:7], v6, s4 src0_sel:BYTE_3 src1_sel:DWORD
	s_mov_b64 s[4:5], 0
                                        ; implicit-def: $sgpr10
	s_and_saveexec_b64 s[8:9], s[6:7]
	s_xor_b64 s[6:7], exec, s[8:9]
	s_cbranch_execnz .LBB28_2969
; %bb.921:
	s_or_saveexec_b64 s[6:7], s[6:7]
	v_mov_b32_e32 v10, s10
	s_xor_b64 exec, exec, s[6:7]
	s_cbranch_execnz .LBB28_2972
.LBB28_922:
	s_or_b64 exec, exec, s[6:7]
	s_and_saveexec_b64 s[6:7], s[4:5]
	s_cbranch_execz .LBB28_924
.LBB28_923:
	v_bfe_u32 v10, v6, 24, 3
	v_ffbh_u32_e32 v14, v10
	v_min_u32_e32 v14, 32, v14
	v_lshrrev_b32_e32 v12, 27, v6
	v_subrev_u32_e32 v15, 28, v14
	v_and_b32_e32 v11, 0x80000000, v6
	v_and_b32_e32 v12, 15, v12
	v_bfe_u32 v13, v6, 27, 4
	v_lshlrev_b32_sdwa v6, v15, v6 dst_sel:DWORD dst_unused:UNUSED_PAD src0_sel:DWORD src1_sel:BYTE_3
	v_sub_u32_e32 v14, 29, v14
	v_and_b32_e32 v6, 7, v6
	v_cmp_eq_u16_e32 vcc, 0, v12
	v_cndmask_b32_e32 v6, v10, v6, vcc
	v_cndmask_b32_e32 v10, v13, v14, vcc
	v_mov_b32_e32 v12, 0x3b800000
	v_lshlrev_b32_e32 v6, 20, v6
	v_lshl_add_u32 v10, v10, 23, v12
	v_or3_b32 v10, v11, v10, v6
.LBB28_924:
	s_or_b64 exec, exec, s[6:7]
	s_movk_i32 s4, 0x7f
	v_cmp_gt_i16_sdwa s[6:7], v2, s4 src0_sel:BYTE_3 src1_sel:DWORD
	s_mov_b64 s[4:5], 0
                                        ; implicit-def: $sgpr10
	s_and_saveexec_b64 s[8:9], s[6:7]
	s_xor_b64 s[6:7], exec, s[8:9]
	s_cbranch_execnz .LBB28_2973
; %bb.925:
	s_or_saveexec_b64 s[6:7], s[6:7]
	v_mov_b32_e32 v6, s10
	s_xor_b64 exec, exec, s[6:7]
	s_cbranch_execnz .LBB28_2976
.LBB28_926:
	s_or_b64 exec, exec, s[6:7]
	s_and_saveexec_b64 s[6:7], s[4:5]
	s_cbranch_execz .LBB28_928
.LBB28_927:
	v_bfe_u32 v6, v2, 24, 3
	v_ffbh_u32_e32 v14, v6
	v_min_u32_e32 v14, 32, v14
	v_lshrrev_b32_e32 v12, 27, v2
	v_subrev_u32_e32 v15, 28, v14
	v_and_b32_e32 v11, 0x80000000, v2
	v_and_b32_e32 v12, 15, v12
	v_bfe_u32 v13, v2, 27, 4
	v_lshlrev_b32_sdwa v2, v15, v2 dst_sel:DWORD dst_unused:UNUSED_PAD src0_sel:DWORD src1_sel:BYTE_3
	v_sub_u32_e32 v14, 29, v14
	v_and_b32_e32 v2, 7, v2
	v_cmp_eq_u16_e32 vcc, 0, v12
	v_cndmask_b32_e32 v2, v6, v2, vcc
	v_cndmask_b32_e32 v6, v13, v14, vcc
	v_mov_b32_e32 v12, 0x3b800000
	v_lshlrev_b32_e32 v2, 20, v2
	v_lshl_add_u32 v6, v6, 23, v12
	v_or3_b32 v6, v11, v6, v2
.LBB28_928:
	s_or_b64 exec, exec, s[6:7]
	s_nop 0
	v_mfma_f32_16x16x4f32 a[0:3], v10, v6, a[0:3]
	s_movk_i32 s4, 0x7f
	v_cmp_gt_i16_sdwa s[6:7], v7, s4 src0_sel:BYTE_0 src1_sel:DWORD
	s_mov_b64 s[4:5], 0
                                        ; implicit-def: $sgpr10
	s_and_saveexec_b64 s[8:9], s[6:7]
	s_xor_b64 s[6:7], exec, s[8:9]
	s_cbranch_execnz .LBB28_2977
; %bb.929:
	s_or_saveexec_b64 s[6:7], s[6:7]
	v_mov_b32_e32 v2, s10
	s_xor_b64 exec, exec, s[6:7]
	s_cbranch_execnz .LBB28_2980
.LBB28_930:
	s_or_b64 exec, exec, s[6:7]
	s_and_saveexec_b64 s[6:7], s[4:5]
	s_cbranch_execz .LBB28_932
.LBB28_931:
	v_and_b32_e32 v2, 7, v7
	v_ffbh_u32_e32 v10, v2
	v_min_u32_e32 v10, 32, v10
	v_lshrrev_b16_e32 v6, 3, v7
	v_subrev_u32_e32 v11, 28, v10
	v_and_b32_e32 v6, 15, v6
	v_lshlrev_b32_e32 v11, v11, v7
	v_sub_u32_e32 v10, 29, v10
	v_and_b32_e32 v11, 7, v11
	v_cmp_eq_u16_e32 vcc, 0, v6
	v_cndmask_b32_e32 v2, v2, v11, vcc
	v_cndmask_b32_e32 v6, v6, v10, vcc
	v_lshlrev_b32_e32 v10, 24, v7
	v_mov_b32_e32 v11, 0x3b800000
	v_lshlrev_b32_e32 v2, 20, v2
	v_and_b32_e32 v10, 0x80000000, v10
	v_lshl_add_u32 v6, v6, 23, v11
	v_or3_b32 v2, v10, v6, v2
.LBB28_932:
	s_or_b64 exec, exec, s[6:7]
	s_movk_i32 s4, 0x7f
	v_cmp_gt_i16_sdwa s[6:7], v3, s4 src0_sel:BYTE_0 src1_sel:DWORD
	s_mov_b64 s[4:5], 0
                                        ; implicit-def: $sgpr10
	s_and_saveexec_b64 s[8:9], s[6:7]
	s_xor_b64 s[6:7], exec, s[8:9]
	s_cbranch_execnz .LBB28_2981
; %bb.933:
	s_or_saveexec_b64 s[6:7], s[6:7]
	v_mov_b32_e32 v6, s10
	s_xor_b64 exec, exec, s[6:7]
	s_cbranch_execnz .LBB28_2984
.LBB28_934:
	s_or_b64 exec, exec, s[6:7]
	s_and_saveexec_b64 s[6:7], s[4:5]
	s_cbranch_execz .LBB28_936
.LBB28_935:
	v_and_b32_e32 v6, 7, v3
	v_ffbh_u32_e32 v11, v6
	v_min_u32_e32 v11, 32, v11
	v_lshrrev_b16_e32 v10, 3, v3
	v_subrev_u32_e32 v12, 28, v11
	v_and_b32_e32 v10, 15, v10
	v_lshlrev_b32_e32 v12, v12, v3
	v_sub_u32_e32 v11, 29, v11
	v_and_b32_e32 v12, 7, v12
	v_cmp_eq_u16_e32 vcc, 0, v10
	v_cndmask_b32_e32 v6, v6, v12, vcc
	v_cndmask_b32_e32 v10, v10, v11, vcc
	v_lshlrev_b32_e32 v11, 24, v3
	v_mov_b32_e32 v12, 0x3b800000
	v_lshlrev_b32_e32 v6, 20, v6
	v_and_b32_e32 v11, 0x80000000, v11
	v_lshl_add_u32 v10, v10, 23, v12
	v_or3_b32 v6, v11, v10, v6
.LBB28_936:
	s_or_b64 exec, exec, s[6:7]
	s_nop 0
	v_mfma_f32_16x16x4f32 a[0:3], v2, v6, a[0:3]
	v_lshrrev_b32_e32 v6, 8, v7
	s_movk_i32 s4, 0x7f
	v_cmp_gt_i16_sdwa s[6:7], v6, s4 src0_sel:BYTE_0 src1_sel:DWORD
	s_mov_b64 s[4:5], 0
                                        ; implicit-def: $sgpr10
	s_and_saveexec_b64 s[8:9], s[6:7]
	s_xor_b64 s[6:7], exec, s[8:9]
	s_cbranch_execnz .LBB28_2985
; %bb.937:
	s_or_saveexec_b64 s[6:7], s[6:7]
	v_mov_b32_e32 v2, s10
	s_xor_b64 exec, exec, s[6:7]
	s_cbranch_execnz .LBB28_2988
.LBB28_938:
	s_or_b64 exec, exec, s[6:7]
	s_and_saveexec_b64 s[6:7], s[4:5]
	s_cbranch_execz .LBB28_940
.LBB28_939:
	v_bfe_u32 v2, v7, 8, 3
	v_ffbh_u32_e32 v11, v2
	v_min_u32_e32 v11, 32, v11
	v_lshrrev_b16_e32 v10, 3, v6
	v_subrev_u32_e32 v12, 28, v11
	v_and_b32_e32 v10, 15, v10
	v_lshlrev_b32_e32 v6, v12, v6
	v_sub_u32_e32 v11, 29, v11
	v_and_b32_e32 v6, 7, v6
	v_cmp_eq_u16_e32 vcc, 0, v10
	v_cndmask_b32_e32 v2, v2, v6, vcc
	v_cndmask_b32_e32 v6, v10, v11, vcc
	v_lshlrev_b32_e32 v10, 16, v7
	v_mov_b32_e32 v11, 0x3b800000
	v_lshlrev_b32_e32 v2, 20, v2
	v_and_b32_e32 v10, 0x80000000, v10
	v_lshl_add_u32 v6, v6, 23, v11
	v_or3_b32 v2, v10, v6, v2
.LBB28_940:
	s_or_b64 exec, exec, s[6:7]
	v_lshrrev_b32_e32 v6, 8, v3
	s_movk_i32 s4, 0x7f
	v_cmp_gt_i16_sdwa s[6:7], v6, s4 src0_sel:BYTE_0 src1_sel:DWORD
	s_mov_b64 s[4:5], 0
                                        ; implicit-def: $sgpr10
	s_and_saveexec_b64 s[8:9], s[6:7]
	s_xor_b64 s[6:7], exec, s[8:9]
	s_cbranch_execnz .LBB28_2989
; %bb.941:
	s_or_saveexec_b64 s[6:7], s[6:7]
	v_mov_b32_e32 v10, s10
	s_xor_b64 exec, exec, s[6:7]
	s_cbranch_execnz .LBB28_2992
.LBB28_942:
	s_or_b64 exec, exec, s[6:7]
	s_and_saveexec_b64 s[6:7], s[4:5]
	s_cbranch_execz .LBB28_944
.LBB28_943:
	v_bfe_u32 v10, v3, 8, 3
	v_ffbh_u32_e32 v12, v10
	v_min_u32_e32 v12, 32, v12
	v_lshrrev_b16_e32 v11, 3, v6
	v_subrev_u32_e32 v13, 28, v12
	v_and_b32_e32 v11, 15, v11
	v_lshlrev_b32_e32 v6, v13, v6
	v_sub_u32_e32 v12, 29, v12
	v_and_b32_e32 v6, 7, v6
	v_cmp_eq_u16_e32 vcc, 0, v11
	v_cndmask_b32_e32 v6, v10, v6, vcc
	v_cndmask_b32_e32 v10, v11, v12, vcc
	v_lshlrev_b32_e32 v11, 16, v3
	v_mov_b32_e32 v12, 0x3b800000
	v_lshlrev_b32_e32 v6, 20, v6
	v_and_b32_e32 v11, 0x80000000, v11
	v_lshl_add_u32 v10, v10, 23, v12
	v_or3_b32 v10, v11, v10, v6
.LBB28_944:
	s_or_b64 exec, exec, s[6:7]
	s_nop 0
	v_mfma_f32_16x16x4f32 a[0:3], v2, v10, a[0:3]
	s_movk_i32 s4, 0xff
	v_and_b32_sdwa v6, v7, s4 dst_sel:DWORD dst_unused:UNUSED_PAD src0_sel:WORD_1 src1_sel:DWORD
	s_movk_i32 s4, 0x7f
	v_cmp_lt_i16_e32 vcc, s4, v6
	s_mov_b64 s[4:5], 0
                                        ; implicit-def: $sgpr10
	s_and_saveexec_b64 s[6:7], vcc
	s_xor_b64 s[6:7], exec, s[6:7]
	s_cbranch_execnz .LBB28_2993
; %bb.945:
	s_or_saveexec_b64 s[6:7], s[6:7]
	v_mov_b32_e32 v2, s10
	s_xor_b64 exec, exec, s[6:7]
	s_cbranch_execnz .LBB28_2996
.LBB28_946:
	s_or_b64 exec, exec, s[6:7]
	s_and_saveexec_b64 s[6:7], s[4:5]
	s_cbranch_execz .LBB28_948
.LBB28_947:
	v_bfe_u32 v2, v7, 16, 3
	v_ffbh_u32_e32 v11, v2
	v_min_u32_e32 v11, 32, v11
	v_lshrrev_b32_e32 v6, 19, v7
	v_subrev_u32_e32 v12, 28, v11
	v_and_b32_e32 v6, 15, v6
	v_lshlrev_b32_sdwa v12, v12, v7 dst_sel:DWORD dst_unused:UNUSED_PAD src0_sel:DWORD src1_sel:WORD_1
	v_bfe_u32 v10, v7, 19, 4
	v_sub_u32_e32 v11, 29, v11
	v_and_b32_e32 v12, 7, v12
	v_cmp_eq_u16_e32 vcc, 0, v6
	v_cndmask_b32_e32 v2, v2, v12, vcc
	v_cndmask_b32_e32 v6, v10, v11, vcc
	v_lshlrev_b32_e32 v10, 8, v7
	v_mov_b32_e32 v11, 0x3b800000
	v_lshlrev_b32_e32 v2, 20, v2
	v_and_b32_e32 v10, 0x80000000, v10
	v_lshl_add_u32 v6, v6, 23, v11
	v_or3_b32 v2, v10, v6, v2
.LBB28_948:
	s_or_b64 exec, exec, s[6:7]
	s_movk_i32 s4, 0xff
	v_and_b32_sdwa v6, v3, s4 dst_sel:DWORD dst_unused:UNUSED_PAD src0_sel:WORD_1 src1_sel:DWORD
	s_movk_i32 s4, 0x7f
	v_cmp_lt_i16_e32 vcc, s4, v6
	s_mov_b64 s[4:5], 0
                                        ; implicit-def: $sgpr10
	s_and_saveexec_b64 s[6:7], vcc
	s_xor_b64 s[6:7], exec, s[6:7]
	s_cbranch_execnz .LBB28_2997
; %bb.949:
	s_or_saveexec_b64 s[6:7], s[6:7]
	v_mov_b32_e32 v10, s10
	s_xor_b64 exec, exec, s[6:7]
	s_cbranch_execnz .LBB28_3000
.LBB28_950:
	s_or_b64 exec, exec, s[6:7]
	s_and_saveexec_b64 s[6:7], s[4:5]
	s_cbranch_execz .LBB28_952
.LBB28_951:
	v_bfe_u32 v6, v3, 16, 3
	v_ffbh_u32_e32 v12, v6
	v_min_u32_e32 v12, 32, v12
	v_lshrrev_b32_e32 v10, 19, v3
	v_subrev_u32_e32 v13, 28, v12
	v_and_b32_e32 v10, 15, v10
	v_lshlrev_b32_sdwa v13, v13, v3 dst_sel:DWORD dst_unused:UNUSED_PAD src0_sel:DWORD src1_sel:WORD_1
	v_bfe_u32 v11, v3, 19, 4
	v_sub_u32_e32 v12, 29, v12
	v_and_b32_e32 v13, 7, v13
	v_cmp_eq_u16_e32 vcc, 0, v10
	v_cndmask_b32_e32 v6, v6, v13, vcc
	v_cndmask_b32_e32 v10, v11, v12, vcc
	v_lshlrev_b32_e32 v11, 8, v3
	v_mov_b32_e32 v12, 0x3b800000
	v_lshlrev_b32_e32 v6, 20, v6
	v_and_b32_e32 v11, 0x80000000, v11
	v_lshl_add_u32 v10, v10, 23, v12
	v_or3_b32 v10, v11, v10, v6
.LBB28_952:
	s_or_b64 exec, exec, s[6:7]
	s_nop 0
	v_mfma_f32_16x16x4f32 a[0:3], v2, v10, a[0:3]
	s_movk_i32 s4, 0x7f
	v_cmp_gt_i16_sdwa s[6:7], v7, s4 src0_sel:BYTE_3 src1_sel:DWORD
	s_mov_b64 s[4:5], 0
                                        ; implicit-def: $sgpr10
	s_and_saveexec_b64 s[8:9], s[6:7]
	s_xor_b64 s[6:7], exec, s[8:9]
	s_cbranch_execnz .LBB28_3001
; %bb.953:
	s_or_saveexec_b64 s[6:7], s[6:7]
	v_mov_b32_e32 v2, s10
	s_xor_b64 exec, exec, s[6:7]
	s_cbranch_execnz .LBB28_3004
.LBB28_954:
	s_or_b64 exec, exec, s[6:7]
	s_and_saveexec_b64 s[6:7], s[4:5]
	s_cbranch_execz .LBB28_956
.LBB28_955:
	v_bfe_u32 v2, v7, 24, 3
	v_ffbh_u32_e32 v12, v2
	v_min_u32_e32 v12, 32, v12
	v_lshrrev_b32_e32 v10, 27, v7
	v_subrev_u32_e32 v13, 28, v12
	v_and_b32_e32 v6, 0x80000000, v7
	v_and_b32_e32 v10, 15, v10
	v_bfe_u32 v11, v7, 27, 4
	v_lshlrev_b32_sdwa v7, v13, v7 dst_sel:DWORD dst_unused:UNUSED_PAD src0_sel:DWORD src1_sel:BYTE_3
	v_sub_u32_e32 v12, 29, v12
	v_and_b32_e32 v7, 7, v7
	v_cmp_eq_u16_e32 vcc, 0, v10
	v_cndmask_b32_e32 v2, v2, v7, vcc
	v_cndmask_b32_e32 v7, v11, v12, vcc
	v_mov_b32_e32 v10, 0x3b800000
	v_lshlrev_b32_e32 v2, 20, v2
	v_lshl_add_u32 v7, v7, 23, v10
	v_or3_b32 v2, v6, v7, v2
.LBB28_956:
	s_or_b64 exec, exec, s[6:7]
	s_movk_i32 s4, 0x7f
	v_cmp_gt_i16_sdwa s[6:7], v3, s4 src0_sel:BYTE_3 src1_sel:DWORD
	s_mov_b64 s[4:5], 0
                                        ; implicit-def: $sgpr10
	s_and_saveexec_b64 s[8:9], s[6:7]
	s_xor_b64 s[6:7], exec, s[8:9]
	s_cbranch_execnz .LBB28_3005
; %bb.957:
	s_or_saveexec_b64 s[6:7], s[6:7]
	v_mov_b32_e32 v6, s10
	s_xor_b64 exec, exec, s[6:7]
	s_cbranch_execnz .LBB28_3008
.LBB28_958:
	s_or_b64 exec, exec, s[6:7]
	s_and_saveexec_b64 s[6:7], s[4:5]
	s_cbranch_execz .LBB28_960
.LBB28_959:
	v_bfe_u32 v6, v3, 24, 3
	v_ffbh_u32_e32 v12, v6
	v_min_u32_e32 v12, 32, v12
	v_lshrrev_b32_e32 v10, 27, v3
	v_subrev_u32_e32 v13, 28, v12
	v_and_b32_e32 v7, 0x80000000, v3
	v_and_b32_e32 v10, 15, v10
	v_bfe_u32 v11, v3, 27, 4
	v_lshlrev_b32_sdwa v3, v13, v3 dst_sel:DWORD dst_unused:UNUSED_PAD src0_sel:DWORD src1_sel:BYTE_3
	v_sub_u32_e32 v12, 29, v12
	v_and_b32_e32 v3, 7, v3
	v_cmp_eq_u16_e32 vcc, 0, v10
	v_cndmask_b32_e32 v3, v6, v3, vcc
	v_cndmask_b32_e32 v6, v11, v12, vcc
	v_mov_b32_e32 v10, 0x3b800000
	v_lshlrev_b32_e32 v3, 20, v3
	v_lshl_add_u32 v6, v6, 23, v10
	v_or3_b32 v6, v7, v6, v3
.LBB28_960:
	s_or_b64 exec, exec, s[6:7]
	s_nop 0
	v_mfma_f32_16x16x4f32 a[0:3], v2, v6, a[0:3]
	s_movk_i32 s4, 0x7f
	v_cmp_gt_i16_sdwa s[6:7], v8, s4 src0_sel:BYTE_0 src1_sel:DWORD
	s_mov_b64 s[4:5], 0
                                        ; implicit-def: $sgpr10
	s_and_saveexec_b64 s[8:9], s[6:7]
	s_xor_b64 s[6:7], exec, s[8:9]
	s_cbranch_execnz .LBB28_3009
; %bb.961:
	s_or_saveexec_b64 s[6:7], s[6:7]
	v_mov_b32_e32 v2, s10
	s_xor_b64 exec, exec, s[6:7]
	s_cbranch_execnz .LBB28_3012
.LBB28_962:
	s_or_b64 exec, exec, s[6:7]
	s_and_saveexec_b64 s[6:7], s[4:5]
	s_cbranch_execz .LBB28_964
.LBB28_963:
	v_and_b32_e32 v2, 7, v8
	v_ffbh_u32_e32 v6, v2
	v_min_u32_e32 v6, 32, v6
	v_lshrrev_b16_e32 v3, 3, v8
	v_subrev_u32_e32 v7, 28, v6
	v_and_b32_e32 v3, 15, v3
	v_lshlrev_b32_e32 v7, v7, v8
	v_sub_u32_e32 v6, 29, v6
	v_and_b32_e32 v7, 7, v7
	v_cmp_eq_u16_e32 vcc, 0, v3
	v_cndmask_b32_e32 v2, v2, v7, vcc
	v_cndmask_b32_e32 v3, v3, v6, vcc
	v_lshlrev_b32_e32 v6, 24, v8
	v_mov_b32_e32 v7, 0x3b800000
	v_lshlrev_b32_e32 v2, 20, v2
	v_and_b32_e32 v6, 0x80000000, v6
	v_lshl_add_u32 v3, v3, 23, v7
	v_or3_b32 v2, v6, v3, v2
.LBB28_964:
	s_or_b64 exec, exec, s[6:7]
	s_movk_i32 s4, 0x7f
	v_cmp_gt_i16_sdwa s[6:7], v4, s4 src0_sel:BYTE_0 src1_sel:DWORD
	s_mov_b64 s[4:5], 0
                                        ; implicit-def: $sgpr10
	s_and_saveexec_b64 s[8:9], s[6:7]
	s_xor_b64 s[6:7], exec, s[8:9]
	s_cbranch_execnz .LBB28_3013
; %bb.965:
	s_or_saveexec_b64 s[6:7], s[6:7]
	v_mov_b32_e32 v3, s10
	s_xor_b64 exec, exec, s[6:7]
	s_cbranch_execnz .LBB28_3016
.LBB28_966:
	s_or_b64 exec, exec, s[6:7]
	s_and_saveexec_b64 s[6:7], s[4:5]
	s_cbranch_execz .LBB28_968
.LBB28_967:
	v_and_b32_e32 v3, 7, v4
	v_ffbh_u32_e32 v7, v3
	v_min_u32_e32 v7, 32, v7
	v_lshrrev_b16_e32 v6, 3, v4
	v_subrev_u32_e32 v10, 28, v7
	v_and_b32_e32 v6, 15, v6
	v_lshlrev_b32_e32 v10, v10, v4
	v_sub_u32_e32 v7, 29, v7
	v_and_b32_e32 v10, 7, v10
	v_cmp_eq_u16_e32 vcc, 0, v6
	v_cndmask_b32_e32 v3, v3, v10, vcc
	v_cndmask_b32_e32 v6, v6, v7, vcc
	v_lshlrev_b32_e32 v7, 24, v4
	v_mov_b32_e32 v10, 0x3b800000
	v_lshlrev_b32_e32 v3, 20, v3
	v_and_b32_e32 v7, 0x80000000, v7
	v_lshl_add_u32 v6, v6, 23, v10
	v_or3_b32 v3, v7, v6, v3
.LBB28_968:
	s_or_b64 exec, exec, s[6:7]
	s_nop 0
	v_mfma_f32_16x16x4f32 a[0:3], v2, v3, a[0:3]
	v_lshrrev_b32_e32 v3, 8, v8
	s_movk_i32 s4, 0x7f
	v_cmp_gt_i16_sdwa s[6:7], v3, s4 src0_sel:BYTE_0 src1_sel:DWORD
	s_mov_b64 s[4:5], 0
                                        ; implicit-def: $sgpr10
	s_and_saveexec_b64 s[8:9], s[6:7]
	s_xor_b64 s[6:7], exec, s[8:9]
	s_cbranch_execnz .LBB28_3017
; %bb.969:
	s_or_saveexec_b64 s[6:7], s[6:7]
	v_mov_b32_e32 v2, s10
	s_xor_b64 exec, exec, s[6:7]
	s_cbranch_execnz .LBB28_3020
.LBB28_970:
	s_or_b64 exec, exec, s[6:7]
	s_and_saveexec_b64 s[6:7], s[4:5]
	s_cbranch_execz .LBB28_972
.LBB28_971:
	v_bfe_u32 v2, v8, 8, 3
	v_ffbh_u32_e32 v7, v2
	v_min_u32_e32 v7, 32, v7
	v_lshrrev_b16_e32 v6, 3, v3
	v_subrev_u32_e32 v10, 28, v7
	v_and_b32_e32 v6, 15, v6
	v_lshlrev_b32_e32 v3, v10, v3
	v_sub_u32_e32 v7, 29, v7
	v_and_b32_e32 v3, 7, v3
	v_cmp_eq_u16_e32 vcc, 0, v6
	v_cndmask_b32_e32 v2, v2, v3, vcc
	v_cndmask_b32_e32 v3, v6, v7, vcc
	v_lshlrev_b32_e32 v6, 16, v8
	v_mov_b32_e32 v7, 0x3b800000
	v_lshlrev_b32_e32 v2, 20, v2
	v_and_b32_e32 v6, 0x80000000, v6
	v_lshl_add_u32 v3, v3, 23, v7
	v_or3_b32 v2, v6, v3, v2
.LBB28_972:
	s_or_b64 exec, exec, s[6:7]
	v_lshrrev_b32_e32 v3, 8, v4
	s_movk_i32 s4, 0x7f
	v_cmp_gt_i16_sdwa s[6:7], v3, s4 src0_sel:BYTE_0 src1_sel:DWORD
	s_mov_b64 s[4:5], 0
                                        ; implicit-def: $sgpr10
	s_and_saveexec_b64 s[8:9], s[6:7]
	s_xor_b64 s[6:7], exec, s[8:9]
	s_cbranch_execnz .LBB28_3021
; %bb.973:
	s_or_saveexec_b64 s[6:7], s[6:7]
	v_mov_b32_e32 v6, s10
	s_xor_b64 exec, exec, s[6:7]
	s_cbranch_execnz .LBB28_3024
.LBB28_974:
	s_or_b64 exec, exec, s[6:7]
	s_and_saveexec_b64 s[6:7], s[4:5]
	s_cbranch_execz .LBB28_976
.LBB28_975:
	v_bfe_u32 v6, v4, 8, 3
	v_ffbh_u32_e32 v10, v6
	v_min_u32_e32 v10, 32, v10
	v_lshrrev_b16_e32 v7, 3, v3
	v_subrev_u32_e32 v11, 28, v10
	v_and_b32_e32 v7, 15, v7
	v_lshlrev_b32_e32 v3, v11, v3
	v_sub_u32_e32 v10, 29, v10
	v_and_b32_e32 v3, 7, v3
	v_cmp_eq_u16_e32 vcc, 0, v7
	v_cndmask_b32_e32 v3, v6, v3, vcc
	v_cndmask_b32_e32 v6, v7, v10, vcc
	v_lshlrev_b32_e32 v7, 16, v4
	v_mov_b32_e32 v10, 0x3b800000
	v_lshlrev_b32_e32 v3, 20, v3
	v_and_b32_e32 v7, 0x80000000, v7
	v_lshl_add_u32 v6, v6, 23, v10
	v_or3_b32 v6, v7, v6, v3
.LBB28_976:
	s_or_b64 exec, exec, s[6:7]
	s_nop 0
	v_mfma_f32_16x16x4f32 a[0:3], v2, v6, a[0:3]
	s_movk_i32 s4, 0xff
	v_and_b32_sdwa v3, v8, s4 dst_sel:DWORD dst_unused:UNUSED_PAD src0_sel:WORD_1 src1_sel:DWORD
	s_movk_i32 s4, 0x7f
	v_cmp_lt_i16_e32 vcc, s4, v3
	s_mov_b64 s[4:5], 0
                                        ; implicit-def: $sgpr10
	s_and_saveexec_b64 s[6:7], vcc
	s_xor_b64 s[6:7], exec, s[6:7]
	s_cbranch_execnz .LBB28_3025
; %bb.977:
	s_or_saveexec_b64 s[6:7], s[6:7]
	v_mov_b32_e32 v2, s10
	s_xor_b64 exec, exec, s[6:7]
	s_cbranch_execnz .LBB28_3028
.LBB28_978:
	s_or_b64 exec, exec, s[6:7]
	s_and_saveexec_b64 s[6:7], s[4:5]
	s_cbranch_execz .LBB28_980
.LBB28_979:
	v_bfe_u32 v2, v8, 16, 3
	v_ffbh_u32_e32 v7, v2
	v_min_u32_e32 v7, 32, v7
	v_lshrrev_b32_e32 v3, 19, v8
	v_subrev_u32_e32 v10, 28, v7
	v_and_b32_e32 v3, 15, v3
	v_lshlrev_b32_sdwa v10, v10, v8 dst_sel:DWORD dst_unused:UNUSED_PAD src0_sel:DWORD src1_sel:WORD_1
	v_bfe_u32 v6, v8, 19, 4
	v_sub_u32_e32 v7, 29, v7
	v_and_b32_e32 v10, 7, v10
	v_cmp_eq_u16_e32 vcc, 0, v3
	v_cndmask_b32_e32 v2, v2, v10, vcc
	v_cndmask_b32_e32 v3, v6, v7, vcc
	v_lshlrev_b32_e32 v6, 8, v8
	v_mov_b32_e32 v7, 0x3b800000
	v_lshlrev_b32_e32 v2, 20, v2
	v_and_b32_e32 v6, 0x80000000, v6
	v_lshl_add_u32 v3, v3, 23, v7
	v_or3_b32 v2, v6, v3, v2
.LBB28_980:
	s_or_b64 exec, exec, s[6:7]
	s_movk_i32 s4, 0xff
	v_and_b32_sdwa v3, v4, s4 dst_sel:DWORD dst_unused:UNUSED_PAD src0_sel:WORD_1 src1_sel:DWORD
	s_movk_i32 s4, 0x7f
	v_cmp_lt_i16_e32 vcc, s4, v3
	s_mov_b64 s[4:5], 0
                                        ; implicit-def: $sgpr10
	s_and_saveexec_b64 s[6:7], vcc
	s_xor_b64 s[6:7], exec, s[6:7]
	s_cbranch_execnz .LBB28_3029
; %bb.981:
	s_or_saveexec_b64 s[6:7], s[6:7]
	v_mov_b32_e32 v6, s10
	s_xor_b64 exec, exec, s[6:7]
	s_cbranch_execnz .LBB28_3032
.LBB28_982:
	s_or_b64 exec, exec, s[6:7]
	s_and_saveexec_b64 s[6:7], s[4:5]
	s_cbranch_execz .LBB28_984
.LBB28_983:
	v_bfe_u32 v3, v4, 16, 3
	v_ffbh_u32_e32 v10, v3
	v_min_u32_e32 v10, 32, v10
	v_lshrrev_b32_e32 v6, 19, v4
	v_subrev_u32_e32 v11, 28, v10
	v_and_b32_e32 v6, 15, v6
	v_lshlrev_b32_sdwa v11, v11, v4 dst_sel:DWORD dst_unused:UNUSED_PAD src0_sel:DWORD src1_sel:WORD_1
	v_bfe_u32 v7, v4, 19, 4
	v_sub_u32_e32 v10, 29, v10
	v_and_b32_e32 v11, 7, v11
	v_cmp_eq_u16_e32 vcc, 0, v6
	v_cndmask_b32_e32 v3, v3, v11, vcc
	v_cndmask_b32_e32 v6, v7, v10, vcc
	v_lshlrev_b32_e32 v7, 8, v4
	v_mov_b32_e32 v10, 0x3b800000
	v_lshlrev_b32_e32 v3, 20, v3
	v_and_b32_e32 v7, 0x80000000, v7
	v_lshl_add_u32 v6, v6, 23, v10
	v_or3_b32 v6, v7, v6, v3
.LBB28_984:
	s_or_b64 exec, exec, s[6:7]
	s_nop 0
	v_mfma_f32_16x16x4f32 a[0:3], v2, v6, a[0:3]
	s_movk_i32 s4, 0x7f
	v_cmp_gt_i16_sdwa s[6:7], v8, s4 src0_sel:BYTE_3 src1_sel:DWORD
	s_mov_b64 s[4:5], 0
                                        ; implicit-def: $sgpr10
	s_and_saveexec_b64 s[8:9], s[6:7]
	s_xor_b64 s[6:7], exec, s[8:9]
	s_cbranch_execnz .LBB28_3033
; %bb.985:
	s_or_saveexec_b64 s[6:7], s[6:7]
	v_mov_b32_e32 v2, s10
	s_xor_b64 exec, exec, s[6:7]
	s_cbranch_execnz .LBB28_3036
.LBB28_986:
	s_or_b64 exec, exec, s[6:7]
	s_and_saveexec_b64 s[6:7], s[4:5]
	s_cbranch_execz .LBB28_988
.LBB28_987:
	v_bfe_u32 v2, v8, 24, 3
	v_ffbh_u32_e32 v10, v2
	v_min_u32_e32 v10, 32, v10
	v_lshrrev_b32_e32 v6, 27, v8
	v_subrev_u32_e32 v11, 28, v10
	v_and_b32_e32 v3, 0x80000000, v8
	v_and_b32_e32 v6, 15, v6
	v_bfe_u32 v7, v8, 27, 4
	v_lshlrev_b32_sdwa v8, v11, v8 dst_sel:DWORD dst_unused:UNUSED_PAD src0_sel:DWORD src1_sel:BYTE_3
	v_sub_u32_e32 v10, 29, v10
	v_and_b32_e32 v8, 7, v8
	v_cmp_eq_u16_e32 vcc, 0, v6
	v_cndmask_b32_e32 v2, v2, v8, vcc
	v_cndmask_b32_e32 v6, v7, v10, vcc
	v_mov_b32_e32 v7, 0x3b800000
	v_lshlrev_b32_e32 v2, 20, v2
	v_lshl_add_u32 v6, v6, 23, v7
	v_or3_b32 v2, v3, v6, v2
.LBB28_988:
	s_or_b64 exec, exec, s[6:7]
	s_movk_i32 s4, 0x7f
	v_cmp_gt_i16_sdwa s[6:7], v4, s4 src0_sel:BYTE_3 src1_sel:DWORD
	s_mov_b64 s[4:5], 0
                                        ; implicit-def: $sgpr10
	s_and_saveexec_b64 s[8:9], s[6:7]
	s_xor_b64 s[6:7], exec, s[8:9]
	s_cbranch_execnz .LBB28_3037
; %bb.989:
	s_or_saveexec_b64 s[6:7], s[6:7]
	v_mov_b32_e32 v3, s10
	s_xor_b64 exec, exec, s[6:7]
	s_cbranch_execnz .LBB28_3040
.LBB28_990:
	s_or_b64 exec, exec, s[6:7]
	s_and_saveexec_b64 s[6:7], s[4:5]
	s_cbranch_execz .LBB28_992
.LBB28_991:
	v_bfe_u32 v3, v4, 24, 3
	v_ffbh_u32_e32 v10, v3
	v_min_u32_e32 v10, 32, v10
	v_lshrrev_b32_e32 v7, 27, v4
	v_subrev_u32_e32 v11, 28, v10
	v_and_b32_e32 v6, 0x80000000, v4
	v_and_b32_e32 v7, 15, v7
	v_bfe_u32 v8, v4, 27, 4
	v_lshlrev_b32_sdwa v4, v11, v4 dst_sel:DWORD dst_unused:UNUSED_PAD src0_sel:DWORD src1_sel:BYTE_3
	v_sub_u32_e32 v10, 29, v10
	v_and_b32_e32 v4, 7, v4
	v_cmp_eq_u16_e32 vcc, 0, v7
	v_cndmask_b32_e32 v3, v3, v4, vcc
	v_cndmask_b32_e32 v4, v8, v10, vcc
	v_mov_b32_e32 v7, 0x3b800000
	v_lshlrev_b32_e32 v3, 20, v3
	v_lshl_add_u32 v4, v4, 23, v7
	v_or3_b32 v3, v6, v4, v3
.LBB28_992:
	s_or_b64 exec, exec, s[6:7]
	s_nop 0
	v_mfma_f32_16x16x4f32 a[0:3], v2, v3, a[0:3]
	s_movk_i32 s4, 0x7f
	v_cmp_gt_i16_sdwa s[6:7], v9, s4 src0_sel:BYTE_0 src1_sel:DWORD
	s_mov_b64 s[4:5], 0
                                        ; implicit-def: $sgpr10
	s_and_saveexec_b64 s[8:9], s[6:7]
	s_xor_b64 s[6:7], exec, s[8:9]
	s_cbranch_execnz .LBB28_3041
; %bb.993:
	s_or_saveexec_b64 s[6:7], s[6:7]
	v_mov_b32_e32 v2, s10
	s_xor_b64 exec, exec, s[6:7]
	s_cbranch_execnz .LBB28_3044
.LBB28_994:
	s_or_b64 exec, exec, s[6:7]
	s_and_saveexec_b64 s[6:7], s[4:5]
	s_cbranch_execz .LBB28_996
.LBB28_995:
	v_mov_b32_e32 v2, 8
	v_and_b32_e32 v3, 7, v9
	v_lshrrev_b32_sdwa v2, v2, v9 dst_sel:BYTE_1 dst_unused:UNUSED_PAD src0_sel:DWORD src1_sel:DWORD
	v_ffbh_u32_e32 v4, v3
	v_or_b32_sdwa v2, v9, v2 dst_sel:DWORD dst_unused:UNUSED_PAD src0_sel:BYTE_0 src1_sel:DWORD
	v_min_u32_e32 v4, 32, v4
	v_lshrrev_b16_e32 v2, 3, v2
	v_subrev_u32_e32 v6, 28, v4
	v_and_b32_e32 v2, 15, v2
	v_lshlrev_b32_e32 v6, v6, v9
	v_sub_u32_e32 v4, 29, v4
	v_and_b32_e32 v6, 7, v6
	v_cmp_eq_u16_e32 vcc, 0, v2
	v_cndmask_b32_e32 v3, v3, v6, vcc
	v_cndmask_b32_e32 v2, v2, v4, vcc
	v_lshlrev_b32_e32 v4, 24, v9
	v_mov_b32_e32 v6, 0x3b800000
	v_lshlrev_b32_e32 v3, 20, v3
	v_and_b32_e32 v4, 0x80000000, v4
	v_lshl_add_u32 v2, v2, 23, v6
	v_or3_b32 v2, v4, v2, v3
.LBB28_996:
	s_or_b64 exec, exec, s[6:7]
	s_movk_i32 s4, 0x7f
	v_cmp_gt_i16_sdwa s[6:7], v5, s4 src0_sel:BYTE_0 src1_sel:DWORD
	s_mov_b64 s[4:5], 0
                                        ; implicit-def: $sgpr10
	s_and_saveexec_b64 s[8:9], s[6:7]
	s_xor_b64 s[6:7], exec, s[8:9]
	s_cbranch_execnz .LBB28_3045
; %bb.997:
	s_or_saveexec_b64 s[6:7], s[6:7]
	v_mov_b32_e32 v3, s10
	s_xor_b64 exec, exec, s[6:7]
	s_cbranch_execnz .LBB28_3048
.LBB28_998:
	s_or_b64 exec, exec, s[6:7]
	s_and_saveexec_b64 s[6:7], s[4:5]
	s_cbranch_execz .LBB28_1000
.LBB28_999:
	v_mov_b32_e32 v3, 8
	v_and_b32_e32 v4, 7, v5
	v_lshrrev_b32_sdwa v3, v3, v5 dst_sel:BYTE_1 dst_unused:UNUSED_PAD src0_sel:DWORD src1_sel:DWORD
	v_ffbh_u32_e32 v6, v4
	v_or_b32_sdwa v3, v5, v3 dst_sel:DWORD dst_unused:UNUSED_PAD src0_sel:BYTE_0 src1_sel:DWORD
	v_min_u32_e32 v6, 32, v6
	v_lshrrev_b16_e32 v3, 3, v3
	v_subrev_u32_e32 v7, 28, v6
	v_and_b32_e32 v3, 15, v3
	v_lshlrev_b32_e32 v7, v7, v5
	v_sub_u32_e32 v6, 29, v6
	v_and_b32_e32 v7, 7, v7
	v_cmp_eq_u16_e32 vcc, 0, v3
	v_cndmask_b32_e32 v4, v4, v7, vcc
	v_cndmask_b32_e32 v3, v3, v6, vcc
	v_lshlrev_b32_e32 v6, 24, v5
	v_mov_b32_e32 v7, 0x3b800000
	v_lshlrev_b32_e32 v4, 20, v4
	v_and_b32_e32 v6, 0x80000000, v6
	v_lshl_add_u32 v3, v3, 23, v7
	v_or3_b32 v3, v6, v3, v4
.LBB28_1000:
	s_or_b64 exec, exec, s[6:7]
	s_nop 0
	v_mfma_f32_16x16x4f32 a[0:3], v2, v3, a[0:3]
	v_lshrrev_b32_e32 v3, 8, v9
	s_movk_i32 s4, 0x7f
	v_cmp_gt_i16_sdwa s[6:7], v3, s4 src0_sel:BYTE_0 src1_sel:DWORD
	s_mov_b64 s[4:5], 0
                                        ; implicit-def: $sgpr10
	s_and_saveexec_b64 s[8:9], s[6:7]
	s_xor_b64 s[6:7], exec, s[8:9]
	s_cbranch_execnz .LBB28_3049
; %bb.1001:
	s_or_saveexec_b64 s[6:7], s[6:7]
	v_mov_b32_e32 v2, s10
	s_xor_b64 exec, exec, s[6:7]
	s_cbranch_execnz .LBB28_3052
.LBB28_1002:
	s_or_b64 exec, exec, s[6:7]
	s_and_saveexec_b64 s[6:7], s[4:5]
	s_cbranch_execz .LBB28_1004
.LBB28_1003:
	v_bfe_u32 v2, v9, 8, 3
	v_ffbh_u32_e32 v6, v2
	v_min_u32_e32 v6, 32, v6
	v_lshrrev_b16_e32 v4, 3, v3
	v_subrev_u32_e32 v7, 28, v6
	v_and_b32_e32 v4, 15, v4
	v_lshlrev_b32_e32 v3, v7, v3
	v_sub_u32_e32 v6, 29, v6
	v_and_b32_e32 v3, 7, v3
	v_cmp_eq_u16_e32 vcc, 0, v4
	v_cndmask_b32_e32 v2, v2, v3, vcc
	v_cndmask_b32_e32 v3, v4, v6, vcc
	v_lshlrev_b32_e32 v4, 16, v9
	v_mov_b32_e32 v6, 0x3b800000
	v_lshlrev_b32_e32 v2, 20, v2
	v_and_b32_e32 v4, 0x80000000, v4
	v_lshl_add_u32 v3, v3, 23, v6
	v_or3_b32 v2, v4, v3, v2
.LBB28_1004:
	s_or_b64 exec, exec, s[6:7]
	v_lshrrev_b32_e32 v3, 8, v5
	s_movk_i32 s4, 0x7f
	v_cmp_gt_i16_sdwa s[6:7], v3, s4 src0_sel:BYTE_0 src1_sel:DWORD
	s_mov_b64 s[4:5], 0
                                        ; implicit-def: $sgpr10
	s_and_saveexec_b64 s[8:9], s[6:7]
	s_xor_b64 s[6:7], exec, s[8:9]
	s_cbranch_execnz .LBB28_3053
; %bb.1005:
	s_or_saveexec_b64 s[6:7], s[6:7]
	v_mov_b32_e32 v4, s10
	s_xor_b64 exec, exec, s[6:7]
	s_cbranch_execnz .LBB28_3056
.LBB28_1006:
	s_or_b64 exec, exec, s[6:7]
	s_and_saveexec_b64 s[6:7], s[4:5]
	s_cbranch_execz .LBB28_1008
.LBB28_1007:
	v_bfe_u32 v4, v5, 8, 3
	v_ffbh_u32_e32 v7, v4
	v_min_u32_e32 v7, 32, v7
	v_lshrrev_b16_e32 v6, 3, v3
	v_subrev_u32_e32 v8, 28, v7
	v_and_b32_e32 v6, 15, v6
	v_lshlrev_b32_e32 v3, v8, v3
	v_sub_u32_e32 v7, 29, v7
	v_and_b32_e32 v3, 7, v3
	v_cmp_eq_u16_e32 vcc, 0, v6
	v_cndmask_b32_e32 v3, v4, v3, vcc
	v_cndmask_b32_e32 v4, v6, v7, vcc
	v_lshlrev_b32_e32 v6, 16, v5
	v_mov_b32_e32 v7, 0x3b800000
	v_lshlrev_b32_e32 v3, 20, v3
	v_and_b32_e32 v6, 0x80000000, v6
	v_lshl_add_u32 v4, v4, 23, v7
	v_or3_b32 v4, v6, v4, v3
.LBB28_1008:
	s_or_b64 exec, exec, s[6:7]
	s_nop 0
	v_mfma_f32_16x16x4f32 a[0:3], v2, v4, a[0:3]
	s_movk_i32 s4, 0xff
	v_and_b32_sdwa v3, v9, s4 dst_sel:DWORD dst_unused:UNUSED_PAD src0_sel:WORD_1 src1_sel:DWORD
	s_movk_i32 s4, 0x7f
	v_cmp_lt_i16_e32 vcc, s4, v3
	s_mov_b64 s[4:5], 0
                                        ; implicit-def: $sgpr10
	s_and_saveexec_b64 s[6:7], vcc
	s_xor_b64 s[6:7], exec, s[6:7]
	s_cbranch_execnz .LBB28_3057
; %bb.1009:
	s_or_saveexec_b64 s[6:7], s[6:7]
	v_mov_b32_e32 v2, s10
	s_xor_b64 exec, exec, s[6:7]
	s_cbranch_execnz .LBB28_3060
.LBB28_1010:
	s_or_b64 exec, exec, s[6:7]
	s_and_saveexec_b64 s[6:7], s[4:5]
	s_cbranch_execz .LBB28_1012
.LBB28_1011:
	v_bfe_u32 v2, v9, 16, 3
	v_ffbh_u32_e32 v6, v2
	v_min_u32_e32 v6, 32, v6
	v_lshrrev_b32_e32 v3, 19, v9
	v_subrev_u32_e32 v7, 28, v6
	v_and_b32_e32 v3, 15, v3
	v_lshlrev_b32_sdwa v7, v7, v9 dst_sel:DWORD dst_unused:UNUSED_PAD src0_sel:DWORD src1_sel:WORD_1
	v_bfe_u32 v4, v9, 19, 4
	v_sub_u32_e32 v6, 29, v6
	v_and_b32_e32 v7, 7, v7
	v_cmp_eq_u16_e32 vcc, 0, v3
	v_cndmask_b32_e32 v2, v2, v7, vcc
	v_cndmask_b32_e32 v3, v4, v6, vcc
	v_lshlrev_b32_e32 v4, 8, v9
	v_mov_b32_e32 v6, 0x3b800000
	v_lshlrev_b32_e32 v2, 20, v2
	v_and_b32_e32 v4, 0x80000000, v4
	v_lshl_add_u32 v3, v3, 23, v6
	v_or3_b32 v2, v4, v3, v2
.LBB28_1012:
	s_or_b64 exec, exec, s[6:7]
	s_movk_i32 s4, 0xff
	v_and_b32_sdwa v3, v5, s4 dst_sel:DWORD dst_unused:UNUSED_PAD src0_sel:WORD_1 src1_sel:DWORD
	s_movk_i32 s4, 0x7f
	v_cmp_lt_i16_e32 vcc, s4, v3
	s_mov_b64 s[4:5], 0
                                        ; implicit-def: $sgpr10
	s_and_saveexec_b64 s[6:7], vcc
	s_xor_b64 s[6:7], exec, s[6:7]
	s_cbranch_execnz .LBB28_3061
; %bb.1013:
	s_or_saveexec_b64 s[6:7], s[6:7]
	v_mov_b32_e32 v4, s10
	s_xor_b64 exec, exec, s[6:7]
	s_cbranch_execnz .LBB28_3064
.LBB28_1014:
	s_or_b64 exec, exec, s[6:7]
	s_and_saveexec_b64 s[6:7], s[4:5]
	s_cbranch_execz .LBB28_1016
.LBB28_1015:
	v_bfe_u32 v3, v5, 16, 3
	v_ffbh_u32_e32 v7, v3
	v_min_u32_e32 v7, 32, v7
	v_lshrrev_b32_e32 v4, 19, v5
	v_subrev_u32_e32 v8, 28, v7
	v_and_b32_e32 v4, 15, v4
	v_lshlrev_b32_sdwa v8, v8, v5 dst_sel:DWORD dst_unused:UNUSED_PAD src0_sel:DWORD src1_sel:WORD_1
	v_bfe_u32 v6, v5, 19, 4
	v_sub_u32_e32 v7, 29, v7
	v_and_b32_e32 v8, 7, v8
	v_cmp_eq_u16_e32 vcc, 0, v4
	v_cndmask_b32_e32 v3, v3, v8, vcc
	v_cndmask_b32_e32 v4, v6, v7, vcc
	v_lshlrev_b32_e32 v6, 8, v5
	v_mov_b32_e32 v7, 0x3b800000
	v_lshlrev_b32_e32 v3, 20, v3
	v_and_b32_e32 v6, 0x80000000, v6
	v_lshl_add_u32 v4, v4, 23, v7
	v_or3_b32 v4, v6, v4, v3
.LBB28_1016:
	s_or_b64 exec, exec, s[6:7]
	s_nop 0
	v_mfma_f32_16x16x4f32 a[0:3], v2, v4, a[0:3]
	s_movk_i32 s4, 0x7f
	v_cmp_gt_i16_sdwa s[6:7], v9, s4 src0_sel:BYTE_3 src1_sel:DWORD
	s_mov_b64 s[4:5], 0
                                        ; implicit-def: $sgpr10
	s_and_saveexec_b64 s[8:9], s[6:7]
	s_xor_b64 s[6:7], exec, s[8:9]
	s_cbranch_execnz .LBB28_3065
; %bb.1017:
	s_or_saveexec_b64 s[6:7], s[6:7]
	v_mov_b32_e32 v2, s10
	s_xor_b64 exec, exec, s[6:7]
	s_cbranch_execnz .LBB28_3068
.LBB28_1018:
	s_or_b64 exec, exec, s[6:7]
	s_and_saveexec_b64 s[6:7], s[4:5]
	s_cbranch_execz .LBB28_1020
.LBB28_1019:
	v_bfe_u32 v2, v9, 24, 3
	v_ffbh_u32_e32 v7, v2
	v_min_u32_e32 v7, 32, v7
	v_lshrrev_b32_e32 v4, 27, v9
	v_subrev_u32_e32 v8, 28, v7
	v_and_b32_e32 v4, 15, v4
	v_lshlrev_b32_sdwa v8, v8, v9 dst_sel:DWORD dst_unused:UNUSED_PAD src0_sel:DWORD src1_sel:BYTE_3
	v_bfe_u32 v6, v9, 27, 4
	v_sub_u32_e32 v7, 29, v7
	v_and_b32_e32 v8, 7, v8
	v_cmp_eq_u16_e32 vcc, 0, v4
	v_cndmask_b32_e32 v2, v2, v8, vcc
	v_cndmask_b32_e32 v4, v6, v7, vcc
	v_mov_b32_e32 v6, 0x3b800000
	v_and_b32_e32 v3, 0x80000000, v9
	v_lshlrev_b32_e32 v2, 20, v2
	v_lshl_add_u32 v4, v4, 23, v6
	v_or3_b32 v2, v3, v4, v2
.LBB28_1020:
	s_or_b64 exec, exec, s[6:7]
	s_movk_i32 s4, 0x7f
	v_cmp_gt_i16_sdwa s[6:7], v5, s4 src0_sel:BYTE_3 src1_sel:DWORD
	s_mov_b64 s[4:5], 0
                                        ; implicit-def: $sgpr10
	s_and_saveexec_b64 s[8:9], s[6:7]
	s_xor_b64 s[6:7], exec, s[8:9]
	s_cbranch_execnz .LBB28_3069
; %bb.1021:
	s_or_saveexec_b64 s[6:7], s[6:7]
	v_mov_b32_e32 v3, s10
	s_xor_b64 exec, exec, s[6:7]
	s_cbranch_execnz .LBB28_3072
.LBB28_1022:
	s_or_b64 exec, exec, s[6:7]
	s_and_saveexec_b64 s[6:7], s[4:5]
	s_cbranch_execz .LBB28_1024
.LBB28_1023:
	v_bfe_u32 v3, v5, 24, 3
	v_ffbh_u32_e32 v8, v3
	v_min_u32_e32 v8, 32, v8
	v_lshrrev_b32_e32 v6, 27, v5
	v_subrev_u32_e32 v9, 28, v8
	v_and_b32_e32 v4, 0x80000000, v5
	v_and_b32_e32 v6, 15, v6
	v_bfe_u32 v7, v5, 27, 4
	v_lshlrev_b32_sdwa v5, v9, v5 dst_sel:DWORD dst_unused:UNUSED_PAD src0_sel:DWORD src1_sel:BYTE_3
	v_sub_u32_e32 v8, 29, v8
	v_and_b32_e32 v5, 7, v5
	v_cmp_eq_u16_e32 vcc, 0, v6
	v_cndmask_b32_e32 v3, v3, v5, vcc
	v_cndmask_b32_e32 v5, v7, v8, vcc
	v_mov_b32_e32 v6, 0x3b800000
	v_lshlrev_b32_e32 v3, 20, v3
	v_lshl_add_u32 v5, v5, 23, v6
	v_or3_b32 v3, v4, v5, v3
.LBB28_1024:
	s_or_b64 exec, exec, s[6:7]
	s_nop 0
	v_mfma_f32_16x16x4f32 a[0:3], v2, v3, a[0:3]
	s_movk_i32 s4, 0x7f
                                        ; implicit-def: $sgpr10
	s_nop 7
	s_nop 1
	flat_store_dwordx4 v[18:19], a[0:3] offset:48
	flat_load_dwordx4 v[20:23], v[0:1] offset:16
	s_nop 0
	flat_load_dwordx2 v[18:19], v[0:1] offset:32
	s_waitcnt vmcnt(0) lgkmcnt(0)
	flat_load_dwordx4 v[14:17], v[20:21]
	flat_load_dwordx4 v[6:9], v[20:21] offset:16
	flat_load_dwordx4 v[10:13], v[22:23] offset:128
	;; [unrolled: 1-line block ×3, first 2 shown]
	s_waitcnt vmcnt(0) lgkmcnt(0)
	v_cmp_gt_i16_sdwa s[6:7], v14, s4 src0_sel:BYTE_0 src1_sel:DWORD
	s_mov_b64 s[4:5], 0
	s_and_saveexec_b64 s[8:9], s[6:7]
	s_xor_b64 s[6:7], exec, s[8:9]
	s_cbranch_execnz .LBB28_3073
; %bb.1025:
	s_or_saveexec_b64 s[6:7], s[6:7]
	v_mov_b32_e32 v20, s10
	s_xor_b64 exec, exec, s[6:7]
	s_cbranch_execnz .LBB28_3076
.LBB28_1026:
	s_or_b64 exec, exec, s[6:7]
	s_and_saveexec_b64 s[6:7], s[4:5]
	s_cbranch_execz .LBB28_1028
.LBB28_1027:
	v_and_b32_e32 v20, 7, v14
	v_ffbh_u32_e32 v22, v20
	v_min_u32_e32 v22, 32, v22
	v_lshrrev_b16_e32 v21, 3, v14
	v_subrev_u32_e32 v23, 28, v22
	v_and_b32_e32 v21, 15, v21
	v_lshlrev_b32_e32 v23, v23, v14
	v_sub_u32_e32 v22, 29, v22
	v_and_b32_e32 v23, 7, v23
	v_cmp_eq_u16_e32 vcc, 0, v21
	v_cndmask_b32_e32 v20, v20, v23, vcc
	v_cndmask_b32_e32 v21, v21, v22, vcc
	v_lshlrev_b32_e32 v22, 24, v14
	v_mov_b32_e32 v23, 0x3b800000
	v_lshlrev_b32_e32 v20, 20, v20
	v_and_b32_e32 v22, 0x80000000, v22
	v_lshl_add_u32 v21, v21, 23, v23
	v_or3_b32 v20, v22, v21, v20
.LBB28_1028:
	s_or_b64 exec, exec, s[6:7]
	s_movk_i32 s4, 0x7f
	v_cmp_gt_i16_sdwa s[6:7], v10, s4 src0_sel:BYTE_0 src1_sel:DWORD
	s_mov_b64 s[4:5], 0
                                        ; implicit-def: $sgpr10
	s_and_saveexec_b64 s[8:9], s[6:7]
	s_xor_b64 s[6:7], exec, s[8:9]
	s_cbranch_execnz .LBB28_3077
; %bb.1029:
	s_or_saveexec_b64 s[6:7], s[6:7]
	v_mov_b32_e32 v21, s10
	s_xor_b64 exec, exec, s[6:7]
	s_cbranch_execnz .LBB28_3080
.LBB28_1030:
	s_or_b64 exec, exec, s[6:7]
	s_and_saveexec_b64 s[6:7], s[4:5]
	s_cbranch_execz .LBB28_1032
.LBB28_1031:
	v_and_b32_e32 v21, 7, v10
	v_ffbh_u32_e32 v23, v21
	v_min_u32_e32 v23, 32, v23
	v_lshrrev_b16_e32 v22, 3, v10
	v_subrev_u32_e32 v24, 28, v23
	v_and_b32_e32 v22, 15, v22
	v_lshlrev_b32_e32 v24, v24, v10
	v_sub_u32_e32 v23, 29, v23
	v_and_b32_e32 v24, 7, v24
	v_cmp_eq_u16_e32 vcc, 0, v22
	v_cndmask_b32_e32 v21, v21, v24, vcc
	v_cndmask_b32_e32 v22, v22, v23, vcc
	v_lshlrev_b32_e32 v23, 24, v10
	v_mov_b32_e32 v24, 0x3b800000
	v_lshlrev_b32_e32 v21, 20, v21
	v_and_b32_e32 v23, 0x80000000, v23
	v_lshl_add_u32 v22, v22, 23, v24
	v_or3_b32 v21, v23, v22, v21
.LBB28_1032:
	s_or_b64 exec, exec, s[6:7]
	flat_load_dwordx4 a[0:3], v[18:19] offset:64
	s_movk_i32 s4, 0x7f
                                        ; implicit-def: $sgpr10
	s_waitcnt vmcnt(0) lgkmcnt(0)
	v_mfma_f32_16x16x4f32 a[0:3], v20, v21, a[0:3]
	v_lshrrev_b32_e32 v21, 8, v14
	v_cmp_gt_i16_sdwa s[6:7], v21, s4 src0_sel:BYTE_0 src1_sel:DWORD
	s_mov_b64 s[4:5], 0
	s_and_saveexec_b64 s[8:9], s[6:7]
	s_xor_b64 s[6:7], exec, s[8:9]
	s_cbranch_execnz .LBB28_3081
; %bb.1033:
	s_or_saveexec_b64 s[6:7], s[6:7]
	v_mov_b32_e32 v20, s10
	s_xor_b64 exec, exec, s[6:7]
	s_cbranch_execnz .LBB28_3084
.LBB28_1034:
	s_or_b64 exec, exec, s[6:7]
	s_and_saveexec_b64 s[6:7], s[4:5]
	s_cbranch_execz .LBB28_1036
.LBB28_1035:
	v_bfe_u32 v20, v14, 8, 3
	v_ffbh_u32_e32 v23, v20
	v_min_u32_e32 v23, 32, v23
	v_lshrrev_b16_e32 v22, 3, v21
	v_subrev_u32_e32 v24, 28, v23
	v_and_b32_e32 v22, 15, v22
	v_lshlrev_b32_e32 v21, v24, v21
	v_sub_u32_e32 v23, 29, v23
	v_and_b32_e32 v21, 7, v21
	v_cmp_eq_u16_e32 vcc, 0, v22
	v_cndmask_b32_e32 v20, v20, v21, vcc
	v_cndmask_b32_e32 v21, v22, v23, vcc
	v_lshlrev_b32_e32 v22, 16, v14
	v_mov_b32_e32 v23, 0x3b800000
	v_lshlrev_b32_e32 v20, 20, v20
	v_and_b32_e32 v22, 0x80000000, v22
	v_lshl_add_u32 v21, v21, 23, v23
	v_or3_b32 v20, v22, v21, v20
.LBB28_1036:
	s_or_b64 exec, exec, s[6:7]
	v_lshrrev_b32_e32 v21, 8, v10
	s_movk_i32 s4, 0x7f
	v_cmp_gt_i16_sdwa s[6:7], v21, s4 src0_sel:BYTE_0 src1_sel:DWORD
	s_mov_b64 s[4:5], 0
                                        ; implicit-def: $sgpr10
	s_and_saveexec_b64 s[8:9], s[6:7]
	s_xor_b64 s[6:7], exec, s[8:9]
	s_cbranch_execnz .LBB28_3085
; %bb.1037:
	s_or_saveexec_b64 s[6:7], s[6:7]
	v_mov_b32_e32 v22, s10
	s_xor_b64 exec, exec, s[6:7]
	s_cbranch_execnz .LBB28_3088
.LBB28_1038:
	s_or_b64 exec, exec, s[6:7]
	s_and_saveexec_b64 s[6:7], s[4:5]
	s_cbranch_execz .LBB28_1040
.LBB28_1039:
	v_bfe_u32 v22, v10, 8, 3
	v_ffbh_u32_e32 v24, v22
	v_min_u32_e32 v24, 32, v24
	v_lshrrev_b16_e32 v23, 3, v21
	v_subrev_u32_e32 v25, 28, v24
	v_and_b32_e32 v23, 15, v23
	v_lshlrev_b32_e32 v21, v25, v21
	v_sub_u32_e32 v24, 29, v24
	v_and_b32_e32 v21, 7, v21
	v_cmp_eq_u16_e32 vcc, 0, v23
	v_cndmask_b32_e32 v21, v22, v21, vcc
	v_cndmask_b32_e32 v22, v23, v24, vcc
	v_lshlrev_b32_e32 v23, 16, v10
	v_mov_b32_e32 v24, 0x3b800000
	v_lshlrev_b32_e32 v21, 20, v21
	v_and_b32_e32 v23, 0x80000000, v23
	v_lshl_add_u32 v22, v22, 23, v24
	v_or3_b32 v22, v23, v22, v21
.LBB28_1040:
	s_or_b64 exec, exec, s[6:7]
	s_nop 0
	v_mfma_f32_16x16x4f32 a[0:3], v20, v22, a[0:3]
	s_movk_i32 s4, 0xff
	v_and_b32_sdwa v21, v14, s4 dst_sel:DWORD dst_unused:UNUSED_PAD src0_sel:WORD_1 src1_sel:DWORD
	s_movk_i32 s4, 0x7f
	v_cmp_lt_i16_e32 vcc, s4, v21
	s_mov_b64 s[4:5], 0
                                        ; implicit-def: $sgpr10
	s_and_saveexec_b64 s[6:7], vcc
	s_xor_b64 s[6:7], exec, s[6:7]
	s_cbranch_execnz .LBB28_3089
; %bb.1041:
	s_or_saveexec_b64 s[6:7], s[6:7]
	v_mov_b32_e32 v20, s10
	s_xor_b64 exec, exec, s[6:7]
	s_cbranch_execnz .LBB28_3092
.LBB28_1042:
	s_or_b64 exec, exec, s[6:7]
	s_and_saveexec_b64 s[6:7], s[4:5]
	s_cbranch_execz .LBB28_1044
.LBB28_1043:
	v_bfe_u32 v20, v14, 16, 3
	v_ffbh_u32_e32 v23, v20
	v_min_u32_e32 v23, 32, v23
	v_lshrrev_b32_e32 v21, 19, v14
	v_subrev_u32_e32 v24, 28, v23
	v_and_b32_e32 v21, 15, v21
	v_lshlrev_b32_sdwa v24, v24, v14 dst_sel:DWORD dst_unused:UNUSED_PAD src0_sel:DWORD src1_sel:WORD_1
	v_bfe_u32 v22, v14, 19, 4
	v_sub_u32_e32 v23, 29, v23
	v_and_b32_e32 v24, 7, v24
	v_cmp_eq_u16_e32 vcc, 0, v21
	v_cndmask_b32_e32 v20, v20, v24, vcc
	v_cndmask_b32_e32 v21, v22, v23, vcc
	v_lshlrev_b32_e32 v22, 8, v14
	v_mov_b32_e32 v23, 0x3b800000
	v_lshlrev_b32_e32 v20, 20, v20
	v_and_b32_e32 v22, 0x80000000, v22
	v_lshl_add_u32 v21, v21, 23, v23
	v_or3_b32 v20, v22, v21, v20
.LBB28_1044:
	s_or_b64 exec, exec, s[6:7]
	s_movk_i32 s4, 0xff
	v_and_b32_sdwa v21, v10, s4 dst_sel:DWORD dst_unused:UNUSED_PAD src0_sel:WORD_1 src1_sel:DWORD
	s_movk_i32 s4, 0x7f
	v_cmp_lt_i16_e32 vcc, s4, v21
	s_mov_b64 s[4:5], 0
                                        ; implicit-def: $sgpr10
	s_and_saveexec_b64 s[6:7], vcc
	s_xor_b64 s[6:7], exec, s[6:7]
	s_cbranch_execnz .LBB28_3093
; %bb.1045:
	s_or_saveexec_b64 s[6:7], s[6:7]
	v_mov_b32_e32 v22, s10
	s_xor_b64 exec, exec, s[6:7]
	s_cbranch_execnz .LBB28_3096
.LBB28_1046:
	s_or_b64 exec, exec, s[6:7]
	s_and_saveexec_b64 s[6:7], s[4:5]
	s_cbranch_execz .LBB28_1048
.LBB28_1047:
	v_bfe_u32 v21, v10, 16, 3
	v_ffbh_u32_e32 v24, v21
	v_min_u32_e32 v24, 32, v24
	v_lshrrev_b32_e32 v22, 19, v10
	v_subrev_u32_e32 v25, 28, v24
	v_and_b32_e32 v22, 15, v22
	v_lshlrev_b32_sdwa v25, v25, v10 dst_sel:DWORD dst_unused:UNUSED_PAD src0_sel:DWORD src1_sel:WORD_1
	v_bfe_u32 v23, v10, 19, 4
	v_sub_u32_e32 v24, 29, v24
	v_and_b32_e32 v25, 7, v25
	v_cmp_eq_u16_e32 vcc, 0, v22
	v_cndmask_b32_e32 v21, v21, v25, vcc
	v_cndmask_b32_e32 v22, v23, v24, vcc
	v_lshlrev_b32_e32 v23, 8, v10
	v_mov_b32_e32 v24, 0x3b800000
	v_lshlrev_b32_e32 v21, 20, v21
	v_and_b32_e32 v23, 0x80000000, v23
	v_lshl_add_u32 v22, v22, 23, v24
	v_or3_b32 v22, v23, v22, v21
.LBB28_1048:
	s_or_b64 exec, exec, s[6:7]
	s_nop 0
	v_mfma_f32_16x16x4f32 a[0:3], v20, v22, a[0:3]
	s_movk_i32 s4, 0x7f
	v_cmp_gt_i16_sdwa s[6:7], v14, s4 src0_sel:BYTE_3 src1_sel:DWORD
	s_mov_b64 s[4:5], 0
                                        ; implicit-def: $sgpr10
	s_and_saveexec_b64 s[8:9], s[6:7]
	s_xor_b64 s[6:7], exec, s[8:9]
	s_cbranch_execnz .LBB28_3097
; %bb.1049:
	s_or_saveexec_b64 s[6:7], s[6:7]
	v_mov_b32_e32 v20, s10
	s_xor_b64 exec, exec, s[6:7]
	s_cbranch_execnz .LBB28_3100
.LBB28_1050:
	s_or_b64 exec, exec, s[6:7]
	s_and_saveexec_b64 s[6:7], s[4:5]
	s_cbranch_execz .LBB28_1052
.LBB28_1051:
	v_bfe_u32 v20, v14, 24, 3
	v_ffbh_u32_e32 v24, v20
	v_min_u32_e32 v24, 32, v24
	v_lshrrev_b32_e32 v22, 27, v14
	v_subrev_u32_e32 v25, 28, v24
	v_and_b32_e32 v21, 0x80000000, v14
	v_and_b32_e32 v22, 15, v22
	v_bfe_u32 v23, v14, 27, 4
	v_lshlrev_b32_sdwa v14, v25, v14 dst_sel:DWORD dst_unused:UNUSED_PAD src0_sel:DWORD src1_sel:BYTE_3
	v_sub_u32_e32 v24, 29, v24
	v_and_b32_e32 v14, 7, v14
	v_cmp_eq_u16_e32 vcc, 0, v22
	v_cndmask_b32_e32 v14, v20, v14, vcc
	v_cndmask_b32_e32 v20, v23, v24, vcc
	v_mov_b32_e32 v22, 0x3b800000
	v_lshlrev_b32_e32 v14, 20, v14
	v_lshl_add_u32 v20, v20, 23, v22
	v_or3_b32 v20, v21, v20, v14
.LBB28_1052:
	s_or_b64 exec, exec, s[6:7]
	s_movk_i32 s4, 0x7f
	v_cmp_gt_i16_sdwa s[6:7], v10, s4 src0_sel:BYTE_3 src1_sel:DWORD
	s_mov_b64 s[4:5], 0
                                        ; implicit-def: $sgpr10
	s_and_saveexec_b64 s[8:9], s[6:7]
	s_xor_b64 s[6:7], exec, s[8:9]
	s_cbranch_execnz .LBB28_3101
; %bb.1053:
	s_or_saveexec_b64 s[6:7], s[6:7]
	v_mov_b32_e32 v14, s10
	s_xor_b64 exec, exec, s[6:7]
	s_cbranch_execnz .LBB28_3104
.LBB28_1054:
	s_or_b64 exec, exec, s[6:7]
	s_and_saveexec_b64 s[6:7], s[4:5]
	s_cbranch_execz .LBB28_1056
.LBB28_1055:
	v_bfe_u32 v14, v10, 24, 3
	v_ffbh_u32_e32 v24, v14
	v_min_u32_e32 v24, 32, v24
	v_lshrrev_b32_e32 v22, 27, v10
	v_subrev_u32_e32 v25, 28, v24
	v_and_b32_e32 v21, 0x80000000, v10
	v_and_b32_e32 v22, 15, v22
	v_bfe_u32 v23, v10, 27, 4
	v_lshlrev_b32_sdwa v10, v25, v10 dst_sel:DWORD dst_unused:UNUSED_PAD src0_sel:DWORD src1_sel:BYTE_3
	v_sub_u32_e32 v24, 29, v24
	v_and_b32_e32 v10, 7, v10
	v_cmp_eq_u16_e32 vcc, 0, v22
	v_cndmask_b32_e32 v10, v14, v10, vcc
	v_cndmask_b32_e32 v14, v23, v24, vcc
	v_mov_b32_e32 v22, 0x3b800000
	v_lshlrev_b32_e32 v10, 20, v10
	v_lshl_add_u32 v14, v14, 23, v22
	v_or3_b32 v14, v21, v14, v10
.LBB28_1056:
	s_or_b64 exec, exec, s[6:7]
	s_nop 0
	v_mfma_f32_16x16x4f32 a[0:3], v20, v14, a[0:3]
	s_movk_i32 s4, 0x7f
	v_cmp_gt_i16_sdwa s[6:7], v15, s4 src0_sel:BYTE_0 src1_sel:DWORD
	s_mov_b64 s[4:5], 0
                                        ; implicit-def: $sgpr10
	s_and_saveexec_b64 s[8:9], s[6:7]
	s_xor_b64 s[6:7], exec, s[8:9]
	s_cbranch_execnz .LBB28_3105
; %bb.1057:
	s_or_saveexec_b64 s[6:7], s[6:7]
	v_mov_b32_e32 v10, s10
	s_xor_b64 exec, exec, s[6:7]
	s_cbranch_execnz .LBB28_3108
.LBB28_1058:
	s_or_b64 exec, exec, s[6:7]
	s_and_saveexec_b64 s[6:7], s[4:5]
	s_cbranch_execz .LBB28_1060
.LBB28_1059:
	v_and_b32_e32 v10, 7, v15
	v_ffbh_u32_e32 v20, v10
	v_min_u32_e32 v20, 32, v20
	v_lshrrev_b16_e32 v14, 3, v15
	v_subrev_u32_e32 v21, 28, v20
	v_and_b32_e32 v14, 15, v14
	v_lshlrev_b32_e32 v21, v21, v15
	v_sub_u32_e32 v20, 29, v20
	v_and_b32_e32 v21, 7, v21
	v_cmp_eq_u16_e32 vcc, 0, v14
	v_cndmask_b32_e32 v10, v10, v21, vcc
	v_cndmask_b32_e32 v14, v14, v20, vcc
	v_lshlrev_b32_e32 v20, 24, v15
	v_mov_b32_e32 v21, 0x3b800000
	v_lshlrev_b32_e32 v10, 20, v10
	v_and_b32_e32 v20, 0x80000000, v20
	v_lshl_add_u32 v14, v14, 23, v21
	v_or3_b32 v10, v20, v14, v10
.LBB28_1060:
	s_or_b64 exec, exec, s[6:7]
	s_movk_i32 s4, 0x7f
	v_cmp_gt_i16_sdwa s[6:7], v11, s4 src0_sel:BYTE_0 src1_sel:DWORD
	s_mov_b64 s[4:5], 0
                                        ; implicit-def: $sgpr10
	s_and_saveexec_b64 s[8:9], s[6:7]
	s_xor_b64 s[6:7], exec, s[8:9]
	s_cbranch_execnz .LBB28_3109
; %bb.1061:
	s_or_saveexec_b64 s[6:7], s[6:7]
	v_mov_b32_e32 v14, s10
	s_xor_b64 exec, exec, s[6:7]
	s_cbranch_execnz .LBB28_3112
.LBB28_1062:
	s_or_b64 exec, exec, s[6:7]
	s_and_saveexec_b64 s[6:7], s[4:5]
	s_cbranch_execz .LBB28_1064
.LBB28_1063:
	v_and_b32_e32 v14, 7, v11
	v_ffbh_u32_e32 v21, v14
	v_min_u32_e32 v21, 32, v21
	v_lshrrev_b16_e32 v20, 3, v11
	v_subrev_u32_e32 v22, 28, v21
	v_and_b32_e32 v20, 15, v20
	v_lshlrev_b32_e32 v22, v22, v11
	v_sub_u32_e32 v21, 29, v21
	v_and_b32_e32 v22, 7, v22
	v_cmp_eq_u16_e32 vcc, 0, v20
	v_cndmask_b32_e32 v14, v14, v22, vcc
	v_cndmask_b32_e32 v20, v20, v21, vcc
	v_lshlrev_b32_e32 v21, 24, v11
	v_mov_b32_e32 v22, 0x3b800000
	v_lshlrev_b32_e32 v14, 20, v14
	v_and_b32_e32 v21, 0x80000000, v21
	v_lshl_add_u32 v20, v20, 23, v22
	v_or3_b32 v14, v21, v20, v14
.LBB28_1064:
	s_or_b64 exec, exec, s[6:7]
	s_nop 0
	v_mfma_f32_16x16x4f32 a[0:3], v10, v14, a[0:3]
	v_lshrrev_b32_e32 v14, 8, v15
	s_movk_i32 s4, 0x7f
	v_cmp_gt_i16_sdwa s[6:7], v14, s4 src0_sel:BYTE_0 src1_sel:DWORD
	s_mov_b64 s[4:5], 0
                                        ; implicit-def: $sgpr10
	s_and_saveexec_b64 s[8:9], s[6:7]
	s_xor_b64 s[6:7], exec, s[8:9]
	s_cbranch_execnz .LBB28_3113
; %bb.1065:
	s_or_saveexec_b64 s[6:7], s[6:7]
	v_mov_b32_e32 v10, s10
	s_xor_b64 exec, exec, s[6:7]
	s_cbranch_execnz .LBB28_3116
.LBB28_1066:
	s_or_b64 exec, exec, s[6:7]
	s_and_saveexec_b64 s[6:7], s[4:5]
	s_cbranch_execz .LBB28_1068
.LBB28_1067:
	v_bfe_u32 v10, v15, 8, 3
	v_ffbh_u32_e32 v21, v10
	v_min_u32_e32 v21, 32, v21
	v_lshrrev_b16_e32 v20, 3, v14
	v_subrev_u32_e32 v22, 28, v21
	v_and_b32_e32 v20, 15, v20
	v_lshlrev_b32_e32 v14, v22, v14
	v_sub_u32_e32 v21, 29, v21
	v_and_b32_e32 v14, 7, v14
	v_cmp_eq_u16_e32 vcc, 0, v20
	v_cndmask_b32_e32 v10, v10, v14, vcc
	v_cndmask_b32_e32 v14, v20, v21, vcc
	v_lshlrev_b32_e32 v20, 16, v15
	v_mov_b32_e32 v21, 0x3b800000
	v_lshlrev_b32_e32 v10, 20, v10
	v_and_b32_e32 v20, 0x80000000, v20
	v_lshl_add_u32 v14, v14, 23, v21
	v_or3_b32 v10, v20, v14, v10
.LBB28_1068:
	s_or_b64 exec, exec, s[6:7]
	v_lshrrev_b32_e32 v14, 8, v11
	s_movk_i32 s4, 0x7f
	v_cmp_gt_i16_sdwa s[6:7], v14, s4 src0_sel:BYTE_0 src1_sel:DWORD
	s_mov_b64 s[4:5], 0
                                        ; implicit-def: $sgpr10
	s_and_saveexec_b64 s[8:9], s[6:7]
	s_xor_b64 s[6:7], exec, s[8:9]
	s_cbranch_execnz .LBB28_3117
; %bb.1069:
	s_or_saveexec_b64 s[6:7], s[6:7]
	v_mov_b32_e32 v20, s10
	s_xor_b64 exec, exec, s[6:7]
	s_cbranch_execnz .LBB28_3120
.LBB28_1070:
	s_or_b64 exec, exec, s[6:7]
	s_and_saveexec_b64 s[6:7], s[4:5]
	s_cbranch_execz .LBB28_1072
.LBB28_1071:
	v_bfe_u32 v20, v11, 8, 3
	v_ffbh_u32_e32 v22, v20
	v_min_u32_e32 v22, 32, v22
	v_lshrrev_b16_e32 v21, 3, v14
	v_subrev_u32_e32 v23, 28, v22
	v_and_b32_e32 v21, 15, v21
	v_lshlrev_b32_e32 v14, v23, v14
	v_sub_u32_e32 v22, 29, v22
	v_and_b32_e32 v14, 7, v14
	v_cmp_eq_u16_e32 vcc, 0, v21
	v_cndmask_b32_e32 v14, v20, v14, vcc
	v_cndmask_b32_e32 v20, v21, v22, vcc
	v_lshlrev_b32_e32 v21, 16, v11
	v_mov_b32_e32 v22, 0x3b800000
	v_lshlrev_b32_e32 v14, 20, v14
	v_and_b32_e32 v21, 0x80000000, v21
	v_lshl_add_u32 v20, v20, 23, v22
	v_or3_b32 v20, v21, v20, v14
.LBB28_1072:
	s_or_b64 exec, exec, s[6:7]
	s_nop 0
	v_mfma_f32_16x16x4f32 a[0:3], v10, v20, a[0:3]
	s_movk_i32 s4, 0xff
	v_and_b32_sdwa v14, v15, s4 dst_sel:DWORD dst_unused:UNUSED_PAD src0_sel:WORD_1 src1_sel:DWORD
	s_movk_i32 s4, 0x7f
	v_cmp_lt_i16_e32 vcc, s4, v14
	s_mov_b64 s[4:5], 0
                                        ; implicit-def: $sgpr10
	s_and_saveexec_b64 s[6:7], vcc
	s_xor_b64 s[6:7], exec, s[6:7]
	s_cbranch_execnz .LBB28_3121
; %bb.1073:
	s_or_saveexec_b64 s[6:7], s[6:7]
	v_mov_b32_e32 v10, s10
	s_xor_b64 exec, exec, s[6:7]
	s_cbranch_execnz .LBB28_3124
.LBB28_1074:
	s_or_b64 exec, exec, s[6:7]
	s_and_saveexec_b64 s[6:7], s[4:5]
	s_cbranch_execz .LBB28_1076
.LBB28_1075:
	v_bfe_u32 v10, v15, 16, 3
	v_ffbh_u32_e32 v21, v10
	v_min_u32_e32 v21, 32, v21
	v_lshrrev_b32_e32 v14, 19, v15
	v_subrev_u32_e32 v22, 28, v21
	v_and_b32_e32 v14, 15, v14
	v_lshlrev_b32_sdwa v22, v22, v15 dst_sel:DWORD dst_unused:UNUSED_PAD src0_sel:DWORD src1_sel:WORD_1
	v_bfe_u32 v20, v15, 19, 4
	v_sub_u32_e32 v21, 29, v21
	v_and_b32_e32 v22, 7, v22
	v_cmp_eq_u16_e32 vcc, 0, v14
	v_cndmask_b32_e32 v10, v10, v22, vcc
	v_cndmask_b32_e32 v14, v20, v21, vcc
	v_lshlrev_b32_e32 v20, 8, v15
	v_mov_b32_e32 v21, 0x3b800000
	v_lshlrev_b32_e32 v10, 20, v10
	v_and_b32_e32 v20, 0x80000000, v20
	v_lshl_add_u32 v14, v14, 23, v21
	v_or3_b32 v10, v20, v14, v10
.LBB28_1076:
	s_or_b64 exec, exec, s[6:7]
	s_movk_i32 s4, 0xff
	v_and_b32_sdwa v14, v11, s4 dst_sel:DWORD dst_unused:UNUSED_PAD src0_sel:WORD_1 src1_sel:DWORD
	s_movk_i32 s4, 0x7f
	v_cmp_lt_i16_e32 vcc, s4, v14
	s_mov_b64 s[4:5], 0
                                        ; implicit-def: $sgpr10
	s_and_saveexec_b64 s[6:7], vcc
	s_xor_b64 s[6:7], exec, s[6:7]
	s_cbranch_execnz .LBB28_3125
; %bb.1077:
	s_or_saveexec_b64 s[6:7], s[6:7]
	v_mov_b32_e32 v20, s10
	s_xor_b64 exec, exec, s[6:7]
	s_cbranch_execnz .LBB28_3128
.LBB28_1078:
	s_or_b64 exec, exec, s[6:7]
	s_and_saveexec_b64 s[6:7], s[4:5]
	s_cbranch_execz .LBB28_1080
.LBB28_1079:
	v_bfe_u32 v14, v11, 16, 3
	v_ffbh_u32_e32 v22, v14
	v_min_u32_e32 v22, 32, v22
	v_lshrrev_b32_e32 v20, 19, v11
	v_subrev_u32_e32 v23, 28, v22
	v_and_b32_e32 v20, 15, v20
	v_lshlrev_b32_sdwa v23, v23, v11 dst_sel:DWORD dst_unused:UNUSED_PAD src0_sel:DWORD src1_sel:WORD_1
	v_bfe_u32 v21, v11, 19, 4
	v_sub_u32_e32 v22, 29, v22
	v_and_b32_e32 v23, 7, v23
	v_cmp_eq_u16_e32 vcc, 0, v20
	v_cndmask_b32_e32 v14, v14, v23, vcc
	v_cndmask_b32_e32 v20, v21, v22, vcc
	v_lshlrev_b32_e32 v21, 8, v11
	v_mov_b32_e32 v22, 0x3b800000
	v_lshlrev_b32_e32 v14, 20, v14
	v_and_b32_e32 v21, 0x80000000, v21
	v_lshl_add_u32 v20, v20, 23, v22
	v_or3_b32 v20, v21, v20, v14
.LBB28_1080:
	s_or_b64 exec, exec, s[6:7]
	s_nop 0
	v_mfma_f32_16x16x4f32 a[0:3], v10, v20, a[0:3]
	s_movk_i32 s4, 0x7f
	v_cmp_gt_i16_sdwa s[6:7], v15, s4 src0_sel:BYTE_3 src1_sel:DWORD
	s_mov_b64 s[4:5], 0
                                        ; implicit-def: $sgpr10
	s_and_saveexec_b64 s[8:9], s[6:7]
	s_xor_b64 s[6:7], exec, s[8:9]
	s_cbranch_execnz .LBB28_3129
; %bb.1081:
	s_or_saveexec_b64 s[6:7], s[6:7]
	v_mov_b32_e32 v10, s10
	s_xor_b64 exec, exec, s[6:7]
	s_cbranch_execnz .LBB28_3132
.LBB28_1082:
	s_or_b64 exec, exec, s[6:7]
	s_and_saveexec_b64 s[6:7], s[4:5]
	s_cbranch_execz .LBB28_1084
.LBB28_1083:
	v_bfe_u32 v10, v15, 24, 3
	v_ffbh_u32_e32 v22, v10
	v_min_u32_e32 v22, 32, v22
	v_lshrrev_b32_e32 v20, 27, v15
	v_subrev_u32_e32 v23, 28, v22
	v_and_b32_e32 v14, 0x80000000, v15
	v_and_b32_e32 v20, 15, v20
	v_bfe_u32 v21, v15, 27, 4
	v_lshlrev_b32_sdwa v15, v23, v15 dst_sel:DWORD dst_unused:UNUSED_PAD src0_sel:DWORD src1_sel:BYTE_3
	v_sub_u32_e32 v22, 29, v22
	v_and_b32_e32 v15, 7, v15
	v_cmp_eq_u16_e32 vcc, 0, v20
	v_cndmask_b32_e32 v10, v10, v15, vcc
	v_cndmask_b32_e32 v15, v21, v22, vcc
	v_mov_b32_e32 v20, 0x3b800000
	v_lshlrev_b32_e32 v10, 20, v10
	v_lshl_add_u32 v15, v15, 23, v20
	v_or3_b32 v10, v14, v15, v10
.LBB28_1084:
	s_or_b64 exec, exec, s[6:7]
	s_movk_i32 s4, 0x7f
	v_cmp_gt_i16_sdwa s[6:7], v11, s4 src0_sel:BYTE_3 src1_sel:DWORD
	s_mov_b64 s[4:5], 0
                                        ; implicit-def: $sgpr10
	s_and_saveexec_b64 s[8:9], s[6:7]
	s_xor_b64 s[6:7], exec, s[8:9]
	s_cbranch_execnz .LBB28_3133
; %bb.1085:
	s_or_saveexec_b64 s[6:7], s[6:7]
	v_mov_b32_e32 v14, s10
	s_xor_b64 exec, exec, s[6:7]
	s_cbranch_execnz .LBB28_3136
.LBB28_1086:
	s_or_b64 exec, exec, s[6:7]
	s_and_saveexec_b64 s[6:7], s[4:5]
	s_cbranch_execz .LBB28_1088
.LBB28_1087:
	v_bfe_u32 v14, v11, 24, 3
	v_ffbh_u32_e32 v22, v14
	v_min_u32_e32 v22, 32, v22
	v_lshrrev_b32_e32 v20, 27, v11
	v_subrev_u32_e32 v23, 28, v22
	v_and_b32_e32 v15, 0x80000000, v11
	v_and_b32_e32 v20, 15, v20
	v_bfe_u32 v21, v11, 27, 4
	v_lshlrev_b32_sdwa v11, v23, v11 dst_sel:DWORD dst_unused:UNUSED_PAD src0_sel:DWORD src1_sel:BYTE_3
	v_sub_u32_e32 v22, 29, v22
	v_and_b32_e32 v11, 7, v11
	v_cmp_eq_u16_e32 vcc, 0, v20
	v_cndmask_b32_e32 v11, v14, v11, vcc
	v_cndmask_b32_e32 v14, v21, v22, vcc
	v_mov_b32_e32 v20, 0x3b800000
	v_lshlrev_b32_e32 v11, 20, v11
	v_lshl_add_u32 v14, v14, 23, v20
	v_or3_b32 v14, v15, v14, v11
.LBB28_1088:
	s_or_b64 exec, exec, s[6:7]
	s_nop 0
	v_mfma_f32_16x16x4f32 a[0:3], v10, v14, a[0:3]
	s_movk_i32 s4, 0x7f
	v_cmp_gt_i16_sdwa s[6:7], v16, s4 src0_sel:BYTE_0 src1_sel:DWORD
	s_mov_b64 s[4:5], 0
                                        ; implicit-def: $sgpr10
	s_and_saveexec_b64 s[8:9], s[6:7]
	s_xor_b64 s[6:7], exec, s[8:9]
	s_cbranch_execnz .LBB28_3137
; %bb.1089:
	s_or_saveexec_b64 s[6:7], s[6:7]
	v_mov_b32_e32 v10, s10
	s_xor_b64 exec, exec, s[6:7]
	s_cbranch_execnz .LBB28_3140
.LBB28_1090:
	s_or_b64 exec, exec, s[6:7]
	s_and_saveexec_b64 s[6:7], s[4:5]
	s_cbranch_execz .LBB28_1092
.LBB28_1091:
	v_and_b32_e32 v10, 7, v16
	v_ffbh_u32_e32 v14, v10
	v_min_u32_e32 v14, 32, v14
	v_lshrrev_b16_e32 v11, 3, v16
	v_subrev_u32_e32 v15, 28, v14
	v_and_b32_e32 v11, 15, v11
	v_lshlrev_b32_e32 v15, v15, v16
	v_sub_u32_e32 v14, 29, v14
	v_and_b32_e32 v15, 7, v15
	v_cmp_eq_u16_e32 vcc, 0, v11
	v_cndmask_b32_e32 v10, v10, v15, vcc
	v_cndmask_b32_e32 v11, v11, v14, vcc
	v_lshlrev_b32_e32 v14, 24, v16
	v_mov_b32_e32 v15, 0x3b800000
	v_lshlrev_b32_e32 v10, 20, v10
	v_and_b32_e32 v14, 0x80000000, v14
	v_lshl_add_u32 v11, v11, 23, v15
	v_or3_b32 v10, v14, v11, v10
.LBB28_1092:
	s_or_b64 exec, exec, s[6:7]
	s_movk_i32 s4, 0x7f
	v_cmp_gt_i16_sdwa s[6:7], v12, s4 src0_sel:BYTE_0 src1_sel:DWORD
	s_mov_b64 s[4:5], 0
                                        ; implicit-def: $sgpr10
	s_and_saveexec_b64 s[8:9], s[6:7]
	s_xor_b64 s[6:7], exec, s[8:9]
	s_cbranch_execnz .LBB28_3141
; %bb.1093:
	s_or_saveexec_b64 s[6:7], s[6:7]
	v_mov_b32_e32 v11, s10
	s_xor_b64 exec, exec, s[6:7]
	s_cbranch_execnz .LBB28_3144
.LBB28_1094:
	s_or_b64 exec, exec, s[6:7]
	s_and_saveexec_b64 s[6:7], s[4:5]
	s_cbranch_execz .LBB28_1096
.LBB28_1095:
	v_and_b32_e32 v11, 7, v12
	v_ffbh_u32_e32 v15, v11
	v_min_u32_e32 v15, 32, v15
	v_lshrrev_b16_e32 v14, 3, v12
	v_subrev_u32_e32 v20, 28, v15
	v_and_b32_e32 v14, 15, v14
	v_lshlrev_b32_e32 v20, v20, v12
	v_sub_u32_e32 v15, 29, v15
	v_and_b32_e32 v20, 7, v20
	v_cmp_eq_u16_e32 vcc, 0, v14
	v_cndmask_b32_e32 v11, v11, v20, vcc
	v_cndmask_b32_e32 v14, v14, v15, vcc
	v_lshlrev_b32_e32 v15, 24, v12
	v_mov_b32_e32 v20, 0x3b800000
	v_lshlrev_b32_e32 v11, 20, v11
	v_and_b32_e32 v15, 0x80000000, v15
	v_lshl_add_u32 v14, v14, 23, v20
	v_or3_b32 v11, v15, v14, v11
.LBB28_1096:
	s_or_b64 exec, exec, s[6:7]
	s_nop 0
	v_mfma_f32_16x16x4f32 a[0:3], v10, v11, a[0:3]
	v_lshrrev_b32_e32 v11, 8, v16
	s_movk_i32 s4, 0x7f
	v_cmp_gt_i16_sdwa s[6:7], v11, s4 src0_sel:BYTE_0 src1_sel:DWORD
	s_mov_b64 s[4:5], 0
                                        ; implicit-def: $sgpr10
	s_and_saveexec_b64 s[8:9], s[6:7]
	s_xor_b64 s[6:7], exec, s[8:9]
	s_cbranch_execnz .LBB28_3145
; %bb.1097:
	s_or_saveexec_b64 s[6:7], s[6:7]
	v_mov_b32_e32 v10, s10
	s_xor_b64 exec, exec, s[6:7]
	s_cbranch_execnz .LBB28_3148
.LBB28_1098:
	s_or_b64 exec, exec, s[6:7]
	s_and_saveexec_b64 s[6:7], s[4:5]
	s_cbranch_execz .LBB28_1100
.LBB28_1099:
	v_bfe_u32 v10, v16, 8, 3
	v_ffbh_u32_e32 v15, v10
	v_min_u32_e32 v15, 32, v15
	v_lshrrev_b16_e32 v14, 3, v11
	v_subrev_u32_e32 v20, 28, v15
	v_and_b32_e32 v14, 15, v14
	v_lshlrev_b32_e32 v11, v20, v11
	v_sub_u32_e32 v15, 29, v15
	v_and_b32_e32 v11, 7, v11
	v_cmp_eq_u16_e32 vcc, 0, v14
	v_cndmask_b32_e32 v10, v10, v11, vcc
	v_cndmask_b32_e32 v11, v14, v15, vcc
	v_lshlrev_b32_e32 v14, 16, v16
	v_mov_b32_e32 v15, 0x3b800000
	v_lshlrev_b32_e32 v10, 20, v10
	v_and_b32_e32 v14, 0x80000000, v14
	v_lshl_add_u32 v11, v11, 23, v15
	v_or3_b32 v10, v14, v11, v10
.LBB28_1100:
	s_or_b64 exec, exec, s[6:7]
	v_lshrrev_b32_e32 v11, 8, v12
	s_movk_i32 s4, 0x7f
	v_cmp_gt_i16_sdwa s[6:7], v11, s4 src0_sel:BYTE_0 src1_sel:DWORD
	s_mov_b64 s[4:5], 0
                                        ; implicit-def: $sgpr10
	s_and_saveexec_b64 s[8:9], s[6:7]
	s_xor_b64 s[6:7], exec, s[8:9]
	s_cbranch_execnz .LBB28_3149
; %bb.1101:
	s_or_saveexec_b64 s[6:7], s[6:7]
	v_mov_b32_e32 v14, s10
	s_xor_b64 exec, exec, s[6:7]
	s_cbranch_execnz .LBB28_3152
.LBB28_1102:
	s_or_b64 exec, exec, s[6:7]
	s_and_saveexec_b64 s[6:7], s[4:5]
	s_cbranch_execz .LBB28_1104
.LBB28_1103:
	v_bfe_u32 v14, v12, 8, 3
	v_ffbh_u32_e32 v20, v14
	v_min_u32_e32 v20, 32, v20
	v_lshrrev_b16_e32 v15, 3, v11
	v_subrev_u32_e32 v21, 28, v20
	v_and_b32_e32 v15, 15, v15
	v_lshlrev_b32_e32 v11, v21, v11
	v_sub_u32_e32 v20, 29, v20
	v_and_b32_e32 v11, 7, v11
	v_cmp_eq_u16_e32 vcc, 0, v15
	v_cndmask_b32_e32 v11, v14, v11, vcc
	v_cndmask_b32_e32 v14, v15, v20, vcc
	v_lshlrev_b32_e32 v15, 16, v12
	v_mov_b32_e32 v20, 0x3b800000
	v_lshlrev_b32_e32 v11, 20, v11
	v_and_b32_e32 v15, 0x80000000, v15
	v_lshl_add_u32 v14, v14, 23, v20
	v_or3_b32 v14, v15, v14, v11
.LBB28_1104:
	s_or_b64 exec, exec, s[6:7]
	s_nop 0
	v_mfma_f32_16x16x4f32 a[0:3], v10, v14, a[0:3]
	s_movk_i32 s4, 0xff
	v_and_b32_sdwa v11, v16, s4 dst_sel:DWORD dst_unused:UNUSED_PAD src0_sel:WORD_1 src1_sel:DWORD
	s_movk_i32 s4, 0x7f
	v_cmp_lt_i16_e32 vcc, s4, v11
	s_mov_b64 s[4:5], 0
                                        ; implicit-def: $sgpr10
	s_and_saveexec_b64 s[6:7], vcc
	s_xor_b64 s[6:7], exec, s[6:7]
	s_cbranch_execnz .LBB28_3153
; %bb.1105:
	s_or_saveexec_b64 s[6:7], s[6:7]
	v_mov_b32_e32 v10, s10
	s_xor_b64 exec, exec, s[6:7]
	s_cbranch_execnz .LBB28_3156
.LBB28_1106:
	s_or_b64 exec, exec, s[6:7]
	s_and_saveexec_b64 s[6:7], s[4:5]
	s_cbranch_execz .LBB28_1108
.LBB28_1107:
	v_bfe_u32 v10, v16, 16, 3
	v_ffbh_u32_e32 v15, v10
	v_min_u32_e32 v15, 32, v15
	v_lshrrev_b32_e32 v11, 19, v16
	v_subrev_u32_e32 v20, 28, v15
	v_and_b32_e32 v11, 15, v11
	v_lshlrev_b32_sdwa v20, v20, v16 dst_sel:DWORD dst_unused:UNUSED_PAD src0_sel:DWORD src1_sel:WORD_1
	v_bfe_u32 v14, v16, 19, 4
	v_sub_u32_e32 v15, 29, v15
	v_and_b32_e32 v20, 7, v20
	v_cmp_eq_u16_e32 vcc, 0, v11
	v_cndmask_b32_e32 v10, v10, v20, vcc
	v_cndmask_b32_e32 v11, v14, v15, vcc
	v_lshlrev_b32_e32 v14, 8, v16
	v_mov_b32_e32 v15, 0x3b800000
	v_lshlrev_b32_e32 v10, 20, v10
	v_and_b32_e32 v14, 0x80000000, v14
	v_lshl_add_u32 v11, v11, 23, v15
	v_or3_b32 v10, v14, v11, v10
.LBB28_1108:
	s_or_b64 exec, exec, s[6:7]
	s_movk_i32 s4, 0xff
	v_and_b32_sdwa v11, v12, s4 dst_sel:DWORD dst_unused:UNUSED_PAD src0_sel:WORD_1 src1_sel:DWORD
	s_movk_i32 s4, 0x7f
	v_cmp_lt_i16_e32 vcc, s4, v11
	s_mov_b64 s[4:5], 0
                                        ; implicit-def: $sgpr10
	s_and_saveexec_b64 s[6:7], vcc
	s_xor_b64 s[6:7], exec, s[6:7]
	s_cbranch_execnz .LBB28_3157
; %bb.1109:
	s_or_saveexec_b64 s[6:7], s[6:7]
	v_mov_b32_e32 v14, s10
	s_xor_b64 exec, exec, s[6:7]
	s_cbranch_execnz .LBB28_3160
.LBB28_1110:
	s_or_b64 exec, exec, s[6:7]
	s_and_saveexec_b64 s[6:7], s[4:5]
	s_cbranch_execz .LBB28_1112
.LBB28_1111:
	v_bfe_u32 v11, v12, 16, 3
	v_ffbh_u32_e32 v20, v11
	v_min_u32_e32 v20, 32, v20
	v_lshrrev_b32_e32 v14, 19, v12
	v_subrev_u32_e32 v21, 28, v20
	v_and_b32_e32 v14, 15, v14
	v_lshlrev_b32_sdwa v21, v21, v12 dst_sel:DWORD dst_unused:UNUSED_PAD src0_sel:DWORD src1_sel:WORD_1
	v_bfe_u32 v15, v12, 19, 4
	v_sub_u32_e32 v20, 29, v20
	v_and_b32_e32 v21, 7, v21
	v_cmp_eq_u16_e32 vcc, 0, v14
	v_cndmask_b32_e32 v11, v11, v21, vcc
	v_cndmask_b32_e32 v14, v15, v20, vcc
	v_lshlrev_b32_e32 v15, 8, v12
	v_mov_b32_e32 v20, 0x3b800000
	v_lshlrev_b32_e32 v11, 20, v11
	v_and_b32_e32 v15, 0x80000000, v15
	v_lshl_add_u32 v14, v14, 23, v20
	v_or3_b32 v14, v15, v14, v11
.LBB28_1112:
	s_or_b64 exec, exec, s[6:7]
	s_nop 0
	v_mfma_f32_16x16x4f32 a[0:3], v10, v14, a[0:3]
	s_movk_i32 s4, 0x7f
	v_cmp_gt_i16_sdwa s[6:7], v16, s4 src0_sel:BYTE_3 src1_sel:DWORD
	s_mov_b64 s[4:5], 0
                                        ; implicit-def: $sgpr10
	s_and_saveexec_b64 s[8:9], s[6:7]
	s_xor_b64 s[6:7], exec, s[8:9]
	s_cbranch_execnz .LBB28_3161
; %bb.1113:
	s_or_saveexec_b64 s[6:7], s[6:7]
	v_mov_b32_e32 v10, s10
	s_xor_b64 exec, exec, s[6:7]
	s_cbranch_execnz .LBB28_3164
.LBB28_1114:
	s_or_b64 exec, exec, s[6:7]
	s_and_saveexec_b64 s[6:7], s[4:5]
	s_cbranch_execz .LBB28_1116
.LBB28_1115:
	v_bfe_u32 v10, v16, 24, 3
	v_ffbh_u32_e32 v20, v10
	v_min_u32_e32 v20, 32, v20
	v_lshrrev_b32_e32 v14, 27, v16
	v_subrev_u32_e32 v21, 28, v20
	v_and_b32_e32 v11, 0x80000000, v16
	v_and_b32_e32 v14, 15, v14
	v_bfe_u32 v15, v16, 27, 4
	v_lshlrev_b32_sdwa v16, v21, v16 dst_sel:DWORD dst_unused:UNUSED_PAD src0_sel:DWORD src1_sel:BYTE_3
	v_sub_u32_e32 v20, 29, v20
	v_and_b32_e32 v16, 7, v16
	v_cmp_eq_u16_e32 vcc, 0, v14
	v_cndmask_b32_e32 v10, v10, v16, vcc
	v_cndmask_b32_e32 v14, v15, v20, vcc
	v_mov_b32_e32 v15, 0x3b800000
	v_lshlrev_b32_e32 v10, 20, v10
	v_lshl_add_u32 v14, v14, 23, v15
	v_or3_b32 v10, v11, v14, v10
.LBB28_1116:
	s_or_b64 exec, exec, s[6:7]
	s_movk_i32 s4, 0x7f
	v_cmp_gt_i16_sdwa s[6:7], v12, s4 src0_sel:BYTE_3 src1_sel:DWORD
	s_mov_b64 s[4:5], 0
                                        ; implicit-def: $sgpr10
	s_and_saveexec_b64 s[8:9], s[6:7]
	s_xor_b64 s[6:7], exec, s[8:9]
	s_cbranch_execnz .LBB28_3165
; %bb.1117:
	s_or_saveexec_b64 s[6:7], s[6:7]
	v_mov_b32_e32 v11, s10
	s_xor_b64 exec, exec, s[6:7]
	s_cbranch_execnz .LBB28_3168
.LBB28_1118:
	s_or_b64 exec, exec, s[6:7]
	s_and_saveexec_b64 s[6:7], s[4:5]
	s_cbranch_execz .LBB28_1120
.LBB28_1119:
	v_bfe_u32 v11, v12, 24, 3
	v_ffbh_u32_e32 v20, v11
	v_min_u32_e32 v20, 32, v20
	v_lshrrev_b32_e32 v15, 27, v12
	v_subrev_u32_e32 v21, 28, v20
	v_and_b32_e32 v14, 0x80000000, v12
	v_and_b32_e32 v15, 15, v15
	v_bfe_u32 v16, v12, 27, 4
	v_lshlrev_b32_sdwa v12, v21, v12 dst_sel:DWORD dst_unused:UNUSED_PAD src0_sel:DWORD src1_sel:BYTE_3
	v_sub_u32_e32 v20, 29, v20
	v_and_b32_e32 v12, 7, v12
	v_cmp_eq_u16_e32 vcc, 0, v15
	v_cndmask_b32_e32 v11, v11, v12, vcc
	v_cndmask_b32_e32 v12, v16, v20, vcc
	v_mov_b32_e32 v15, 0x3b800000
	v_lshlrev_b32_e32 v11, 20, v11
	v_lshl_add_u32 v12, v12, 23, v15
	v_or3_b32 v11, v14, v12, v11
.LBB28_1120:
	s_or_b64 exec, exec, s[6:7]
	s_nop 0
	v_mfma_f32_16x16x4f32 a[0:3], v10, v11, a[0:3]
	s_movk_i32 s4, 0x7f
	v_cmp_gt_i16_sdwa s[6:7], v17, s4 src0_sel:BYTE_0 src1_sel:DWORD
	s_mov_b64 s[4:5], 0
                                        ; implicit-def: $sgpr10
	s_and_saveexec_b64 s[8:9], s[6:7]
	s_xor_b64 s[6:7], exec, s[8:9]
	s_cbranch_execnz .LBB28_3169
; %bb.1121:
	s_or_saveexec_b64 s[6:7], s[6:7]
	v_mov_b32_e32 v10, s10
	s_xor_b64 exec, exec, s[6:7]
	s_cbranch_execnz .LBB28_3172
.LBB28_1122:
	s_or_b64 exec, exec, s[6:7]
	s_and_saveexec_b64 s[6:7], s[4:5]
	s_cbranch_execz .LBB28_1124
.LBB28_1123:
	v_and_b32_e32 v10, 7, v17
	v_ffbh_u32_e32 v12, v10
	v_min_u32_e32 v12, 32, v12
	v_lshrrev_b16_e32 v11, 3, v17
	v_subrev_u32_e32 v14, 28, v12
	v_and_b32_e32 v11, 15, v11
	v_lshlrev_b32_e32 v14, v14, v17
	v_sub_u32_e32 v12, 29, v12
	v_and_b32_e32 v14, 7, v14
	v_cmp_eq_u16_e32 vcc, 0, v11
	v_cndmask_b32_e32 v10, v10, v14, vcc
	v_cndmask_b32_e32 v11, v11, v12, vcc
	v_lshlrev_b32_e32 v12, 24, v17
	v_mov_b32_e32 v14, 0x3b800000
	v_lshlrev_b32_e32 v10, 20, v10
	v_and_b32_e32 v12, 0x80000000, v12
	v_lshl_add_u32 v11, v11, 23, v14
	v_or3_b32 v10, v12, v11, v10
.LBB28_1124:
	s_or_b64 exec, exec, s[6:7]
	s_movk_i32 s4, 0x7f
	v_cmp_gt_i16_sdwa s[6:7], v13, s4 src0_sel:BYTE_0 src1_sel:DWORD
	s_mov_b64 s[4:5], 0
                                        ; implicit-def: $sgpr10
	s_and_saveexec_b64 s[8:9], s[6:7]
	s_xor_b64 s[6:7], exec, s[8:9]
	s_cbranch_execnz .LBB28_3173
; %bb.1125:
	s_or_saveexec_b64 s[6:7], s[6:7]
	v_mov_b32_e32 v11, s10
	s_xor_b64 exec, exec, s[6:7]
	s_cbranch_execnz .LBB28_3176
.LBB28_1126:
	s_or_b64 exec, exec, s[6:7]
	s_and_saveexec_b64 s[6:7], s[4:5]
	s_cbranch_execz .LBB28_1128
.LBB28_1127:
	v_and_b32_e32 v11, 7, v13
	v_ffbh_u32_e32 v14, v11
	v_min_u32_e32 v14, 32, v14
	v_lshrrev_b16_e32 v12, 3, v13
	v_subrev_u32_e32 v15, 28, v14
	v_and_b32_e32 v12, 15, v12
	v_lshlrev_b32_e32 v15, v15, v13
	v_sub_u32_e32 v14, 29, v14
	v_and_b32_e32 v15, 7, v15
	v_cmp_eq_u16_e32 vcc, 0, v12
	v_cndmask_b32_e32 v11, v11, v15, vcc
	v_cndmask_b32_e32 v12, v12, v14, vcc
	v_lshlrev_b32_e32 v14, 24, v13
	v_mov_b32_e32 v15, 0x3b800000
	v_lshlrev_b32_e32 v11, 20, v11
	v_and_b32_e32 v14, 0x80000000, v14
	v_lshl_add_u32 v12, v12, 23, v15
	v_or3_b32 v11, v14, v12, v11
.LBB28_1128:
	s_or_b64 exec, exec, s[6:7]
	s_nop 0
	v_mfma_f32_16x16x4f32 a[0:3], v10, v11, a[0:3]
	v_lshrrev_b32_e32 v11, 8, v17
	s_movk_i32 s4, 0x7f
	v_cmp_gt_i16_sdwa s[6:7], v11, s4 src0_sel:BYTE_0 src1_sel:DWORD
	s_mov_b64 s[4:5], 0
                                        ; implicit-def: $sgpr10
	s_and_saveexec_b64 s[8:9], s[6:7]
	s_xor_b64 s[6:7], exec, s[8:9]
	s_cbranch_execnz .LBB28_3177
; %bb.1129:
	s_or_saveexec_b64 s[6:7], s[6:7]
	v_mov_b32_e32 v10, s10
	s_xor_b64 exec, exec, s[6:7]
	s_cbranch_execnz .LBB28_3180
.LBB28_1130:
	s_or_b64 exec, exec, s[6:7]
	s_and_saveexec_b64 s[6:7], s[4:5]
	s_cbranch_execz .LBB28_1132
.LBB28_1131:
	v_bfe_u32 v10, v17, 8, 3
	v_ffbh_u32_e32 v14, v10
	v_min_u32_e32 v14, 32, v14
	v_lshrrev_b16_e32 v12, 3, v11
	v_subrev_u32_e32 v15, 28, v14
	v_and_b32_e32 v12, 15, v12
	v_lshlrev_b32_e32 v11, v15, v11
	v_sub_u32_e32 v14, 29, v14
	v_and_b32_e32 v11, 7, v11
	v_cmp_eq_u16_e32 vcc, 0, v12
	v_cndmask_b32_e32 v10, v10, v11, vcc
	v_cndmask_b32_e32 v11, v12, v14, vcc
	v_lshlrev_b32_e32 v12, 16, v17
	v_mov_b32_e32 v14, 0x3b800000
	v_lshlrev_b32_e32 v10, 20, v10
	v_and_b32_e32 v12, 0x80000000, v12
	v_lshl_add_u32 v11, v11, 23, v14
	v_or3_b32 v10, v12, v11, v10
.LBB28_1132:
	s_or_b64 exec, exec, s[6:7]
	v_lshrrev_b32_e32 v11, 8, v13
	s_movk_i32 s4, 0x7f
	v_cmp_gt_i16_sdwa s[6:7], v11, s4 src0_sel:BYTE_0 src1_sel:DWORD
	s_mov_b64 s[4:5], 0
                                        ; implicit-def: $sgpr10
	s_and_saveexec_b64 s[8:9], s[6:7]
	s_xor_b64 s[6:7], exec, s[8:9]
	s_cbranch_execnz .LBB28_3181
; %bb.1133:
	s_or_saveexec_b64 s[6:7], s[6:7]
	v_mov_b32_e32 v12, s10
	s_xor_b64 exec, exec, s[6:7]
	s_cbranch_execnz .LBB28_3184
.LBB28_1134:
	s_or_b64 exec, exec, s[6:7]
	s_and_saveexec_b64 s[6:7], s[4:5]
	s_cbranch_execz .LBB28_1136
.LBB28_1135:
	v_bfe_u32 v12, v13, 8, 3
	v_ffbh_u32_e32 v15, v12
	v_min_u32_e32 v15, 32, v15
	v_lshrrev_b16_e32 v14, 3, v11
	v_subrev_u32_e32 v16, 28, v15
	v_and_b32_e32 v14, 15, v14
	v_lshlrev_b32_e32 v11, v16, v11
	v_sub_u32_e32 v15, 29, v15
	v_and_b32_e32 v11, 7, v11
	v_cmp_eq_u16_e32 vcc, 0, v14
	v_cndmask_b32_e32 v11, v12, v11, vcc
	v_cndmask_b32_e32 v12, v14, v15, vcc
	v_lshlrev_b32_e32 v14, 16, v13
	v_mov_b32_e32 v15, 0x3b800000
	v_lshlrev_b32_e32 v11, 20, v11
	v_and_b32_e32 v14, 0x80000000, v14
	v_lshl_add_u32 v12, v12, 23, v15
	v_or3_b32 v12, v14, v12, v11
.LBB28_1136:
	s_or_b64 exec, exec, s[6:7]
	s_nop 0
	v_mfma_f32_16x16x4f32 a[0:3], v10, v12, a[0:3]
	s_movk_i32 s4, 0xff
	v_and_b32_sdwa v11, v17, s4 dst_sel:DWORD dst_unused:UNUSED_PAD src0_sel:WORD_1 src1_sel:DWORD
	s_movk_i32 s4, 0x7f
	v_cmp_lt_i16_e32 vcc, s4, v11
	s_mov_b64 s[4:5], 0
                                        ; implicit-def: $sgpr10
	s_and_saveexec_b64 s[6:7], vcc
	s_xor_b64 s[6:7], exec, s[6:7]
	s_cbranch_execnz .LBB28_3185
; %bb.1137:
	s_or_saveexec_b64 s[6:7], s[6:7]
	v_mov_b32_e32 v10, s10
	s_xor_b64 exec, exec, s[6:7]
	s_cbranch_execnz .LBB28_3188
.LBB28_1138:
	s_or_b64 exec, exec, s[6:7]
	s_and_saveexec_b64 s[6:7], s[4:5]
	s_cbranch_execz .LBB28_1140
.LBB28_1139:
	v_bfe_u32 v10, v17, 16, 3
	v_ffbh_u32_e32 v14, v10
	v_min_u32_e32 v14, 32, v14
	v_lshrrev_b32_e32 v11, 19, v17
	v_subrev_u32_e32 v15, 28, v14
	v_and_b32_e32 v11, 15, v11
	v_lshlrev_b32_sdwa v15, v15, v17 dst_sel:DWORD dst_unused:UNUSED_PAD src0_sel:DWORD src1_sel:WORD_1
	v_bfe_u32 v12, v17, 19, 4
	v_sub_u32_e32 v14, 29, v14
	v_and_b32_e32 v15, 7, v15
	v_cmp_eq_u16_e32 vcc, 0, v11
	v_cndmask_b32_e32 v10, v10, v15, vcc
	v_cndmask_b32_e32 v11, v12, v14, vcc
	v_lshlrev_b32_e32 v12, 8, v17
	v_mov_b32_e32 v14, 0x3b800000
	v_lshlrev_b32_e32 v10, 20, v10
	v_and_b32_e32 v12, 0x80000000, v12
	v_lshl_add_u32 v11, v11, 23, v14
	v_or3_b32 v10, v12, v11, v10
.LBB28_1140:
	s_or_b64 exec, exec, s[6:7]
	s_movk_i32 s4, 0xff
	v_and_b32_sdwa v11, v13, s4 dst_sel:DWORD dst_unused:UNUSED_PAD src0_sel:WORD_1 src1_sel:DWORD
	s_movk_i32 s4, 0x7f
	v_cmp_lt_i16_e32 vcc, s4, v11
	s_mov_b64 s[4:5], 0
                                        ; implicit-def: $sgpr10
	s_and_saveexec_b64 s[6:7], vcc
	s_xor_b64 s[6:7], exec, s[6:7]
	s_cbranch_execnz .LBB28_3189
; %bb.1141:
	s_or_saveexec_b64 s[6:7], s[6:7]
	v_mov_b32_e32 v12, s10
	s_xor_b64 exec, exec, s[6:7]
	s_cbranch_execnz .LBB28_3192
.LBB28_1142:
	s_or_b64 exec, exec, s[6:7]
	s_and_saveexec_b64 s[6:7], s[4:5]
	s_cbranch_execz .LBB28_1144
.LBB28_1143:
	v_bfe_u32 v11, v13, 16, 3
	v_ffbh_u32_e32 v15, v11
	v_min_u32_e32 v15, 32, v15
	v_lshrrev_b32_e32 v12, 19, v13
	v_subrev_u32_e32 v16, 28, v15
	v_and_b32_e32 v12, 15, v12
	v_lshlrev_b32_sdwa v16, v16, v13 dst_sel:DWORD dst_unused:UNUSED_PAD src0_sel:DWORD src1_sel:WORD_1
	v_bfe_u32 v14, v13, 19, 4
	v_sub_u32_e32 v15, 29, v15
	v_and_b32_e32 v16, 7, v16
	v_cmp_eq_u16_e32 vcc, 0, v12
	v_cndmask_b32_e32 v11, v11, v16, vcc
	v_cndmask_b32_e32 v12, v14, v15, vcc
	v_lshlrev_b32_e32 v14, 8, v13
	v_mov_b32_e32 v15, 0x3b800000
	v_lshlrev_b32_e32 v11, 20, v11
	v_and_b32_e32 v14, 0x80000000, v14
	v_lshl_add_u32 v12, v12, 23, v15
	v_or3_b32 v12, v14, v12, v11
.LBB28_1144:
	s_or_b64 exec, exec, s[6:7]
	s_nop 0
	v_mfma_f32_16x16x4f32 a[0:3], v10, v12, a[0:3]
	s_movk_i32 s4, 0x7f
	v_cmp_gt_i16_sdwa s[6:7], v17, s4 src0_sel:BYTE_3 src1_sel:DWORD
	s_mov_b64 s[4:5], 0
                                        ; implicit-def: $sgpr10
	s_and_saveexec_b64 s[8:9], s[6:7]
	s_xor_b64 s[6:7], exec, s[8:9]
	s_cbranch_execnz .LBB28_3193
; %bb.1145:
	s_or_saveexec_b64 s[6:7], s[6:7]
	v_mov_b32_e32 v10, s10
	s_xor_b64 exec, exec, s[6:7]
	s_cbranch_execnz .LBB28_3196
.LBB28_1146:
	s_or_b64 exec, exec, s[6:7]
	s_and_saveexec_b64 s[6:7], s[4:5]
	s_cbranch_execz .LBB28_1148
.LBB28_1147:
	v_bfe_u32 v10, v17, 24, 3
	v_ffbh_u32_e32 v15, v10
	v_min_u32_e32 v15, 32, v15
	v_lshrrev_b32_e32 v12, 27, v17
	v_subrev_u32_e32 v16, 28, v15
	v_and_b32_e32 v12, 15, v12
	v_lshlrev_b32_sdwa v16, v16, v17 dst_sel:DWORD dst_unused:UNUSED_PAD src0_sel:DWORD src1_sel:BYTE_3
	v_bfe_u32 v14, v17, 27, 4
	v_sub_u32_e32 v15, 29, v15
	v_and_b32_e32 v16, 7, v16
	v_cmp_eq_u16_e32 vcc, 0, v12
	v_cndmask_b32_e32 v10, v10, v16, vcc
	v_cndmask_b32_e32 v12, v14, v15, vcc
	v_mov_b32_e32 v14, 0x3b800000
	v_and_b32_e32 v11, 0x80000000, v17
	v_lshlrev_b32_e32 v10, 20, v10
	v_lshl_add_u32 v12, v12, 23, v14
	v_or3_b32 v10, v11, v12, v10
.LBB28_1148:
	s_or_b64 exec, exec, s[6:7]
	s_movk_i32 s4, 0x7f
	v_cmp_gt_i16_sdwa s[6:7], v13, s4 src0_sel:BYTE_3 src1_sel:DWORD
	s_mov_b64 s[4:5], 0
                                        ; implicit-def: $sgpr10
	s_and_saveexec_b64 s[8:9], s[6:7]
	s_xor_b64 s[6:7], exec, s[8:9]
	s_cbranch_execnz .LBB28_3197
; %bb.1149:
	s_or_saveexec_b64 s[6:7], s[6:7]
	v_mov_b32_e32 v11, s10
	s_xor_b64 exec, exec, s[6:7]
	s_cbranch_execnz .LBB28_3200
.LBB28_1150:
	s_or_b64 exec, exec, s[6:7]
	s_and_saveexec_b64 s[6:7], s[4:5]
	s_cbranch_execz .LBB28_1152
.LBB28_1151:
	v_bfe_u32 v11, v13, 24, 3
	v_ffbh_u32_e32 v16, v11
	v_min_u32_e32 v16, 32, v16
	v_lshrrev_b32_e32 v14, 27, v13
	v_subrev_u32_e32 v17, 28, v16
	v_and_b32_e32 v12, 0x80000000, v13
	v_and_b32_e32 v14, 15, v14
	v_bfe_u32 v15, v13, 27, 4
	v_lshlrev_b32_sdwa v13, v17, v13 dst_sel:DWORD dst_unused:UNUSED_PAD src0_sel:DWORD src1_sel:BYTE_3
	v_sub_u32_e32 v16, 29, v16
	v_and_b32_e32 v13, 7, v13
	v_cmp_eq_u16_e32 vcc, 0, v14
	v_cndmask_b32_e32 v11, v11, v13, vcc
	v_cndmask_b32_e32 v13, v15, v16, vcc
	v_mov_b32_e32 v14, 0x3b800000
	v_lshlrev_b32_e32 v11, 20, v11
	v_lshl_add_u32 v13, v13, 23, v14
	v_or3_b32 v11, v12, v13, v11
.LBB28_1152:
	s_or_b64 exec, exec, s[6:7]
	s_nop 0
	v_mfma_f32_16x16x4f32 a[0:3], v10, v11, a[0:3]
	s_movk_i32 s4, 0x7f
	v_cmp_gt_i16_sdwa s[6:7], v6, s4 src0_sel:BYTE_0 src1_sel:DWORD
	s_mov_b64 s[4:5], 0
                                        ; implicit-def: $sgpr10
	s_and_saveexec_b64 s[8:9], s[6:7]
	s_xor_b64 s[6:7], exec, s[8:9]
	s_cbranch_execnz .LBB28_3201
; %bb.1153:
	s_or_saveexec_b64 s[6:7], s[6:7]
	v_mov_b32_e32 v10, s10
	s_xor_b64 exec, exec, s[6:7]
	s_cbranch_execnz .LBB28_3204
.LBB28_1154:
	s_or_b64 exec, exec, s[6:7]
	s_and_saveexec_b64 s[6:7], s[4:5]
	s_cbranch_execz .LBB28_1156
.LBB28_1155:
	v_and_b32_e32 v10, 7, v6
	v_ffbh_u32_e32 v12, v10
	v_min_u32_e32 v12, 32, v12
	v_lshrrev_b16_e32 v11, 3, v6
	v_subrev_u32_e32 v13, 28, v12
	v_and_b32_e32 v11, 15, v11
	v_lshlrev_b32_e32 v13, v13, v6
	v_sub_u32_e32 v12, 29, v12
	v_and_b32_e32 v13, 7, v13
	v_cmp_eq_u16_e32 vcc, 0, v11
	v_cndmask_b32_e32 v10, v10, v13, vcc
	v_cndmask_b32_e32 v11, v11, v12, vcc
	v_lshlrev_b32_e32 v12, 24, v6
	v_mov_b32_e32 v13, 0x3b800000
	v_lshlrev_b32_e32 v10, 20, v10
	v_and_b32_e32 v12, 0x80000000, v12
	v_lshl_add_u32 v11, v11, 23, v13
	v_or3_b32 v10, v12, v11, v10
.LBB28_1156:
	s_or_b64 exec, exec, s[6:7]
	s_movk_i32 s4, 0x7f
	v_cmp_gt_i16_sdwa s[6:7], v2, s4 src0_sel:BYTE_0 src1_sel:DWORD
	s_mov_b64 s[4:5], 0
                                        ; implicit-def: $sgpr10
	s_and_saveexec_b64 s[8:9], s[6:7]
	s_xor_b64 s[6:7], exec, s[8:9]
	s_cbranch_execnz .LBB28_3205
; %bb.1157:
	s_or_saveexec_b64 s[6:7], s[6:7]
	v_mov_b32_e32 v11, s10
	s_xor_b64 exec, exec, s[6:7]
	s_cbranch_execnz .LBB28_3208
.LBB28_1158:
	s_or_b64 exec, exec, s[6:7]
	s_and_saveexec_b64 s[6:7], s[4:5]
	s_cbranch_execz .LBB28_1160
.LBB28_1159:
	v_and_b32_e32 v11, 7, v2
	v_ffbh_u32_e32 v13, v11
	v_min_u32_e32 v13, 32, v13
	v_lshrrev_b16_e32 v12, 3, v2
	v_subrev_u32_e32 v14, 28, v13
	v_and_b32_e32 v12, 15, v12
	v_lshlrev_b32_e32 v14, v14, v2
	v_sub_u32_e32 v13, 29, v13
	v_and_b32_e32 v14, 7, v14
	v_cmp_eq_u16_e32 vcc, 0, v12
	v_cndmask_b32_e32 v11, v11, v14, vcc
	v_cndmask_b32_e32 v12, v12, v13, vcc
	v_lshlrev_b32_e32 v13, 24, v2
	v_mov_b32_e32 v14, 0x3b800000
	v_lshlrev_b32_e32 v11, 20, v11
	v_and_b32_e32 v13, 0x80000000, v13
	v_lshl_add_u32 v12, v12, 23, v14
	v_or3_b32 v11, v13, v12, v11
.LBB28_1160:
	s_or_b64 exec, exec, s[6:7]
	s_nop 0
	v_mfma_f32_16x16x4f32 a[0:3], v10, v11, a[0:3]
	v_lshrrev_b32_e32 v11, 8, v6
	s_movk_i32 s4, 0x7f
	v_cmp_gt_i16_sdwa s[6:7], v11, s4 src0_sel:BYTE_0 src1_sel:DWORD
	s_mov_b64 s[4:5], 0
                                        ; implicit-def: $sgpr10
	s_and_saveexec_b64 s[8:9], s[6:7]
	s_xor_b64 s[6:7], exec, s[8:9]
	s_cbranch_execnz .LBB28_3209
; %bb.1161:
	s_or_saveexec_b64 s[6:7], s[6:7]
	v_mov_b32_e32 v10, s10
	s_xor_b64 exec, exec, s[6:7]
	s_cbranch_execnz .LBB28_3212
.LBB28_1162:
	s_or_b64 exec, exec, s[6:7]
	s_and_saveexec_b64 s[6:7], s[4:5]
	s_cbranch_execz .LBB28_1164
.LBB28_1163:
	v_bfe_u32 v10, v6, 8, 3
	v_ffbh_u32_e32 v13, v10
	v_min_u32_e32 v13, 32, v13
	v_lshrrev_b16_e32 v12, 3, v11
	v_subrev_u32_e32 v14, 28, v13
	v_and_b32_e32 v12, 15, v12
	v_lshlrev_b32_e32 v11, v14, v11
	v_sub_u32_e32 v13, 29, v13
	v_and_b32_e32 v11, 7, v11
	v_cmp_eq_u16_e32 vcc, 0, v12
	v_cndmask_b32_e32 v10, v10, v11, vcc
	v_cndmask_b32_e32 v11, v12, v13, vcc
	v_lshlrev_b32_e32 v12, 16, v6
	v_mov_b32_e32 v13, 0x3b800000
	v_lshlrev_b32_e32 v10, 20, v10
	v_and_b32_e32 v12, 0x80000000, v12
	v_lshl_add_u32 v11, v11, 23, v13
	v_or3_b32 v10, v12, v11, v10
.LBB28_1164:
	s_or_b64 exec, exec, s[6:7]
	v_lshrrev_b32_e32 v11, 8, v2
	s_movk_i32 s4, 0x7f
	v_cmp_gt_i16_sdwa s[6:7], v11, s4 src0_sel:BYTE_0 src1_sel:DWORD
	s_mov_b64 s[4:5], 0
                                        ; implicit-def: $sgpr10
	s_and_saveexec_b64 s[8:9], s[6:7]
	s_xor_b64 s[6:7], exec, s[8:9]
	s_cbranch_execnz .LBB28_3213
; %bb.1165:
	s_or_saveexec_b64 s[6:7], s[6:7]
	v_mov_b32_e32 v12, s10
	s_xor_b64 exec, exec, s[6:7]
	s_cbranch_execnz .LBB28_3216
.LBB28_1166:
	s_or_b64 exec, exec, s[6:7]
	s_and_saveexec_b64 s[6:7], s[4:5]
	s_cbranch_execz .LBB28_1168
.LBB28_1167:
	v_bfe_u32 v12, v2, 8, 3
	v_ffbh_u32_e32 v14, v12
	v_min_u32_e32 v14, 32, v14
	v_lshrrev_b16_e32 v13, 3, v11
	v_subrev_u32_e32 v15, 28, v14
	v_and_b32_e32 v13, 15, v13
	v_lshlrev_b32_e32 v11, v15, v11
	v_sub_u32_e32 v14, 29, v14
	v_and_b32_e32 v11, 7, v11
	v_cmp_eq_u16_e32 vcc, 0, v13
	v_cndmask_b32_e32 v11, v12, v11, vcc
	v_cndmask_b32_e32 v12, v13, v14, vcc
	v_lshlrev_b32_e32 v13, 16, v2
	v_mov_b32_e32 v14, 0x3b800000
	v_lshlrev_b32_e32 v11, 20, v11
	v_and_b32_e32 v13, 0x80000000, v13
	v_lshl_add_u32 v12, v12, 23, v14
	v_or3_b32 v12, v13, v12, v11
.LBB28_1168:
	s_or_b64 exec, exec, s[6:7]
	s_nop 0
	v_mfma_f32_16x16x4f32 a[0:3], v10, v12, a[0:3]
	s_movk_i32 s4, 0xff
	v_and_b32_sdwa v11, v6, s4 dst_sel:DWORD dst_unused:UNUSED_PAD src0_sel:WORD_1 src1_sel:DWORD
	s_movk_i32 s4, 0x7f
	v_cmp_lt_i16_e32 vcc, s4, v11
	s_mov_b64 s[4:5], 0
                                        ; implicit-def: $sgpr10
	s_and_saveexec_b64 s[6:7], vcc
	s_xor_b64 s[6:7], exec, s[6:7]
	s_cbranch_execnz .LBB28_3217
; %bb.1169:
	s_or_saveexec_b64 s[6:7], s[6:7]
	v_mov_b32_e32 v10, s10
	s_xor_b64 exec, exec, s[6:7]
	s_cbranch_execnz .LBB28_3220
.LBB28_1170:
	s_or_b64 exec, exec, s[6:7]
	s_and_saveexec_b64 s[6:7], s[4:5]
	s_cbranch_execz .LBB28_1172
.LBB28_1171:
	v_bfe_u32 v10, v6, 16, 3
	v_ffbh_u32_e32 v13, v10
	v_min_u32_e32 v13, 32, v13
	v_lshrrev_b32_e32 v11, 19, v6
	v_subrev_u32_e32 v14, 28, v13
	v_and_b32_e32 v11, 15, v11
	v_lshlrev_b32_sdwa v14, v14, v6 dst_sel:DWORD dst_unused:UNUSED_PAD src0_sel:DWORD src1_sel:WORD_1
	v_bfe_u32 v12, v6, 19, 4
	v_sub_u32_e32 v13, 29, v13
	v_and_b32_e32 v14, 7, v14
	v_cmp_eq_u16_e32 vcc, 0, v11
	v_cndmask_b32_e32 v10, v10, v14, vcc
	v_cndmask_b32_e32 v11, v12, v13, vcc
	v_lshlrev_b32_e32 v12, 8, v6
	v_mov_b32_e32 v13, 0x3b800000
	v_lshlrev_b32_e32 v10, 20, v10
	v_and_b32_e32 v12, 0x80000000, v12
	v_lshl_add_u32 v11, v11, 23, v13
	v_or3_b32 v10, v12, v11, v10
.LBB28_1172:
	s_or_b64 exec, exec, s[6:7]
	s_movk_i32 s4, 0xff
	v_and_b32_sdwa v11, v2, s4 dst_sel:DWORD dst_unused:UNUSED_PAD src0_sel:WORD_1 src1_sel:DWORD
	s_movk_i32 s4, 0x7f
	v_cmp_lt_i16_e32 vcc, s4, v11
	s_mov_b64 s[4:5], 0
                                        ; implicit-def: $sgpr10
	s_and_saveexec_b64 s[6:7], vcc
	s_xor_b64 s[6:7], exec, s[6:7]
	s_cbranch_execnz .LBB28_3221
; %bb.1173:
	s_or_saveexec_b64 s[6:7], s[6:7]
	v_mov_b32_e32 v12, s10
	s_xor_b64 exec, exec, s[6:7]
	s_cbranch_execnz .LBB28_3224
.LBB28_1174:
	s_or_b64 exec, exec, s[6:7]
	s_and_saveexec_b64 s[6:7], s[4:5]
	s_cbranch_execz .LBB28_1176
.LBB28_1175:
	v_bfe_u32 v11, v2, 16, 3
	v_ffbh_u32_e32 v14, v11
	v_min_u32_e32 v14, 32, v14
	v_lshrrev_b32_e32 v12, 19, v2
	v_subrev_u32_e32 v15, 28, v14
	v_and_b32_e32 v12, 15, v12
	v_lshlrev_b32_sdwa v15, v15, v2 dst_sel:DWORD dst_unused:UNUSED_PAD src0_sel:DWORD src1_sel:WORD_1
	v_bfe_u32 v13, v2, 19, 4
	v_sub_u32_e32 v14, 29, v14
	v_and_b32_e32 v15, 7, v15
	v_cmp_eq_u16_e32 vcc, 0, v12
	v_cndmask_b32_e32 v11, v11, v15, vcc
	v_cndmask_b32_e32 v12, v13, v14, vcc
	v_lshlrev_b32_e32 v13, 8, v2
	v_mov_b32_e32 v14, 0x3b800000
	v_lshlrev_b32_e32 v11, 20, v11
	v_and_b32_e32 v13, 0x80000000, v13
	v_lshl_add_u32 v12, v12, 23, v14
	v_or3_b32 v12, v13, v12, v11
.LBB28_1176:
	s_or_b64 exec, exec, s[6:7]
	s_nop 0
	v_mfma_f32_16x16x4f32 a[0:3], v10, v12, a[0:3]
	s_movk_i32 s4, 0x7f
	v_cmp_gt_i16_sdwa s[6:7], v6, s4 src0_sel:BYTE_3 src1_sel:DWORD
	s_mov_b64 s[4:5], 0
                                        ; implicit-def: $sgpr10
	s_and_saveexec_b64 s[8:9], s[6:7]
	s_xor_b64 s[6:7], exec, s[8:9]
	s_cbranch_execnz .LBB28_3225
; %bb.1177:
	s_or_saveexec_b64 s[6:7], s[6:7]
	v_mov_b32_e32 v10, s10
	s_xor_b64 exec, exec, s[6:7]
	s_cbranch_execnz .LBB28_3228
.LBB28_1178:
	s_or_b64 exec, exec, s[6:7]
	s_and_saveexec_b64 s[6:7], s[4:5]
	s_cbranch_execz .LBB28_1180
.LBB28_1179:
	v_bfe_u32 v10, v6, 24, 3
	v_ffbh_u32_e32 v14, v10
	v_min_u32_e32 v14, 32, v14
	v_lshrrev_b32_e32 v12, 27, v6
	v_subrev_u32_e32 v15, 28, v14
	v_and_b32_e32 v11, 0x80000000, v6
	v_and_b32_e32 v12, 15, v12
	v_bfe_u32 v13, v6, 27, 4
	v_lshlrev_b32_sdwa v6, v15, v6 dst_sel:DWORD dst_unused:UNUSED_PAD src0_sel:DWORD src1_sel:BYTE_3
	v_sub_u32_e32 v14, 29, v14
	v_and_b32_e32 v6, 7, v6
	v_cmp_eq_u16_e32 vcc, 0, v12
	v_cndmask_b32_e32 v6, v10, v6, vcc
	v_cndmask_b32_e32 v10, v13, v14, vcc
	v_mov_b32_e32 v12, 0x3b800000
	v_lshlrev_b32_e32 v6, 20, v6
	v_lshl_add_u32 v10, v10, 23, v12
	v_or3_b32 v10, v11, v10, v6
.LBB28_1180:
	s_or_b64 exec, exec, s[6:7]
	s_movk_i32 s4, 0x7f
	v_cmp_gt_i16_sdwa s[6:7], v2, s4 src0_sel:BYTE_3 src1_sel:DWORD
	s_mov_b64 s[4:5], 0
                                        ; implicit-def: $sgpr10
	s_and_saveexec_b64 s[8:9], s[6:7]
	s_xor_b64 s[6:7], exec, s[8:9]
	s_cbranch_execnz .LBB28_3229
; %bb.1181:
	s_or_saveexec_b64 s[6:7], s[6:7]
	v_mov_b32_e32 v6, s10
	s_xor_b64 exec, exec, s[6:7]
	s_cbranch_execnz .LBB28_3232
.LBB28_1182:
	s_or_b64 exec, exec, s[6:7]
	s_and_saveexec_b64 s[6:7], s[4:5]
	s_cbranch_execz .LBB28_1184
.LBB28_1183:
	v_bfe_u32 v6, v2, 24, 3
	v_ffbh_u32_e32 v14, v6
	v_min_u32_e32 v14, 32, v14
	v_lshrrev_b32_e32 v12, 27, v2
	v_subrev_u32_e32 v15, 28, v14
	v_and_b32_e32 v11, 0x80000000, v2
	v_and_b32_e32 v12, 15, v12
	v_bfe_u32 v13, v2, 27, 4
	v_lshlrev_b32_sdwa v2, v15, v2 dst_sel:DWORD dst_unused:UNUSED_PAD src0_sel:DWORD src1_sel:BYTE_3
	v_sub_u32_e32 v14, 29, v14
	v_and_b32_e32 v2, 7, v2
	v_cmp_eq_u16_e32 vcc, 0, v12
	v_cndmask_b32_e32 v2, v6, v2, vcc
	v_cndmask_b32_e32 v6, v13, v14, vcc
	v_mov_b32_e32 v12, 0x3b800000
	v_lshlrev_b32_e32 v2, 20, v2
	v_lshl_add_u32 v6, v6, 23, v12
	v_or3_b32 v6, v11, v6, v2
.LBB28_1184:
	s_or_b64 exec, exec, s[6:7]
	s_nop 0
	v_mfma_f32_16x16x4f32 a[0:3], v10, v6, a[0:3]
	s_movk_i32 s4, 0x7f
	v_cmp_gt_i16_sdwa s[6:7], v7, s4 src0_sel:BYTE_0 src1_sel:DWORD
	s_mov_b64 s[4:5], 0
                                        ; implicit-def: $sgpr10
	s_and_saveexec_b64 s[8:9], s[6:7]
	s_xor_b64 s[6:7], exec, s[8:9]
	s_cbranch_execnz .LBB28_3233
; %bb.1185:
	s_or_saveexec_b64 s[6:7], s[6:7]
	v_mov_b32_e32 v2, s10
	s_xor_b64 exec, exec, s[6:7]
	s_cbranch_execnz .LBB28_3236
.LBB28_1186:
	s_or_b64 exec, exec, s[6:7]
	s_and_saveexec_b64 s[6:7], s[4:5]
	s_cbranch_execz .LBB28_1188
.LBB28_1187:
	v_and_b32_e32 v2, 7, v7
	v_ffbh_u32_e32 v10, v2
	v_min_u32_e32 v10, 32, v10
	v_lshrrev_b16_e32 v6, 3, v7
	v_subrev_u32_e32 v11, 28, v10
	v_and_b32_e32 v6, 15, v6
	v_lshlrev_b32_e32 v11, v11, v7
	v_sub_u32_e32 v10, 29, v10
	v_and_b32_e32 v11, 7, v11
	v_cmp_eq_u16_e32 vcc, 0, v6
	v_cndmask_b32_e32 v2, v2, v11, vcc
	v_cndmask_b32_e32 v6, v6, v10, vcc
	v_lshlrev_b32_e32 v10, 24, v7
	v_mov_b32_e32 v11, 0x3b800000
	v_lshlrev_b32_e32 v2, 20, v2
	v_and_b32_e32 v10, 0x80000000, v10
	v_lshl_add_u32 v6, v6, 23, v11
	v_or3_b32 v2, v10, v6, v2
.LBB28_1188:
	s_or_b64 exec, exec, s[6:7]
	s_movk_i32 s4, 0x7f
	v_cmp_gt_i16_sdwa s[6:7], v3, s4 src0_sel:BYTE_0 src1_sel:DWORD
	s_mov_b64 s[4:5], 0
                                        ; implicit-def: $sgpr10
	s_and_saveexec_b64 s[8:9], s[6:7]
	s_xor_b64 s[6:7], exec, s[8:9]
	s_cbranch_execnz .LBB28_3237
; %bb.1189:
	s_or_saveexec_b64 s[6:7], s[6:7]
	v_mov_b32_e32 v6, s10
	s_xor_b64 exec, exec, s[6:7]
	s_cbranch_execnz .LBB28_3240
.LBB28_1190:
	s_or_b64 exec, exec, s[6:7]
	s_and_saveexec_b64 s[6:7], s[4:5]
	s_cbranch_execz .LBB28_1192
.LBB28_1191:
	v_and_b32_e32 v6, 7, v3
	v_ffbh_u32_e32 v11, v6
	v_min_u32_e32 v11, 32, v11
	v_lshrrev_b16_e32 v10, 3, v3
	v_subrev_u32_e32 v12, 28, v11
	v_and_b32_e32 v10, 15, v10
	v_lshlrev_b32_e32 v12, v12, v3
	v_sub_u32_e32 v11, 29, v11
	v_and_b32_e32 v12, 7, v12
	v_cmp_eq_u16_e32 vcc, 0, v10
	v_cndmask_b32_e32 v6, v6, v12, vcc
	v_cndmask_b32_e32 v10, v10, v11, vcc
	v_lshlrev_b32_e32 v11, 24, v3
	v_mov_b32_e32 v12, 0x3b800000
	v_lshlrev_b32_e32 v6, 20, v6
	v_and_b32_e32 v11, 0x80000000, v11
	v_lshl_add_u32 v10, v10, 23, v12
	v_or3_b32 v6, v11, v10, v6
.LBB28_1192:
	s_or_b64 exec, exec, s[6:7]
	s_nop 0
	v_mfma_f32_16x16x4f32 a[0:3], v2, v6, a[0:3]
	v_lshrrev_b32_e32 v6, 8, v7
	s_movk_i32 s4, 0x7f
	v_cmp_gt_i16_sdwa s[6:7], v6, s4 src0_sel:BYTE_0 src1_sel:DWORD
	s_mov_b64 s[4:5], 0
                                        ; implicit-def: $sgpr10
	s_and_saveexec_b64 s[8:9], s[6:7]
	s_xor_b64 s[6:7], exec, s[8:9]
	s_cbranch_execnz .LBB28_3241
; %bb.1193:
	s_or_saveexec_b64 s[6:7], s[6:7]
	v_mov_b32_e32 v2, s10
	s_xor_b64 exec, exec, s[6:7]
	s_cbranch_execnz .LBB28_3244
.LBB28_1194:
	s_or_b64 exec, exec, s[6:7]
	s_and_saveexec_b64 s[6:7], s[4:5]
	s_cbranch_execz .LBB28_1196
.LBB28_1195:
	v_bfe_u32 v2, v7, 8, 3
	v_ffbh_u32_e32 v11, v2
	v_min_u32_e32 v11, 32, v11
	v_lshrrev_b16_e32 v10, 3, v6
	v_subrev_u32_e32 v12, 28, v11
	v_and_b32_e32 v10, 15, v10
	v_lshlrev_b32_e32 v6, v12, v6
	v_sub_u32_e32 v11, 29, v11
	v_and_b32_e32 v6, 7, v6
	v_cmp_eq_u16_e32 vcc, 0, v10
	v_cndmask_b32_e32 v2, v2, v6, vcc
	v_cndmask_b32_e32 v6, v10, v11, vcc
	v_lshlrev_b32_e32 v10, 16, v7
	v_mov_b32_e32 v11, 0x3b800000
	v_lshlrev_b32_e32 v2, 20, v2
	v_and_b32_e32 v10, 0x80000000, v10
	v_lshl_add_u32 v6, v6, 23, v11
	v_or3_b32 v2, v10, v6, v2
.LBB28_1196:
	s_or_b64 exec, exec, s[6:7]
	v_lshrrev_b32_e32 v6, 8, v3
	s_movk_i32 s4, 0x7f
	v_cmp_gt_i16_sdwa s[6:7], v6, s4 src0_sel:BYTE_0 src1_sel:DWORD
	s_mov_b64 s[4:5], 0
                                        ; implicit-def: $sgpr10
	s_and_saveexec_b64 s[8:9], s[6:7]
	s_xor_b64 s[6:7], exec, s[8:9]
	s_cbranch_execnz .LBB28_3245
; %bb.1197:
	s_or_saveexec_b64 s[6:7], s[6:7]
	v_mov_b32_e32 v10, s10
	s_xor_b64 exec, exec, s[6:7]
	s_cbranch_execnz .LBB28_3248
.LBB28_1198:
	s_or_b64 exec, exec, s[6:7]
	s_and_saveexec_b64 s[6:7], s[4:5]
	s_cbranch_execz .LBB28_1200
.LBB28_1199:
	v_bfe_u32 v10, v3, 8, 3
	v_ffbh_u32_e32 v12, v10
	v_min_u32_e32 v12, 32, v12
	v_lshrrev_b16_e32 v11, 3, v6
	v_subrev_u32_e32 v13, 28, v12
	v_and_b32_e32 v11, 15, v11
	v_lshlrev_b32_e32 v6, v13, v6
	v_sub_u32_e32 v12, 29, v12
	v_and_b32_e32 v6, 7, v6
	v_cmp_eq_u16_e32 vcc, 0, v11
	v_cndmask_b32_e32 v6, v10, v6, vcc
	v_cndmask_b32_e32 v10, v11, v12, vcc
	v_lshlrev_b32_e32 v11, 16, v3
	v_mov_b32_e32 v12, 0x3b800000
	v_lshlrev_b32_e32 v6, 20, v6
	v_and_b32_e32 v11, 0x80000000, v11
	v_lshl_add_u32 v10, v10, 23, v12
	v_or3_b32 v10, v11, v10, v6
.LBB28_1200:
	s_or_b64 exec, exec, s[6:7]
	s_nop 0
	v_mfma_f32_16x16x4f32 a[0:3], v2, v10, a[0:3]
	s_movk_i32 s4, 0xff
	v_and_b32_sdwa v6, v7, s4 dst_sel:DWORD dst_unused:UNUSED_PAD src0_sel:WORD_1 src1_sel:DWORD
	s_movk_i32 s4, 0x7f
	v_cmp_lt_i16_e32 vcc, s4, v6
	s_mov_b64 s[4:5], 0
                                        ; implicit-def: $sgpr10
	s_and_saveexec_b64 s[6:7], vcc
	s_xor_b64 s[6:7], exec, s[6:7]
	s_cbranch_execnz .LBB28_3249
; %bb.1201:
	s_or_saveexec_b64 s[6:7], s[6:7]
	v_mov_b32_e32 v2, s10
	s_xor_b64 exec, exec, s[6:7]
	s_cbranch_execnz .LBB28_3252
.LBB28_1202:
	s_or_b64 exec, exec, s[6:7]
	s_and_saveexec_b64 s[6:7], s[4:5]
	s_cbranch_execz .LBB28_1204
.LBB28_1203:
	v_bfe_u32 v2, v7, 16, 3
	v_ffbh_u32_e32 v11, v2
	v_min_u32_e32 v11, 32, v11
	v_lshrrev_b32_e32 v6, 19, v7
	v_subrev_u32_e32 v12, 28, v11
	v_and_b32_e32 v6, 15, v6
	v_lshlrev_b32_sdwa v12, v12, v7 dst_sel:DWORD dst_unused:UNUSED_PAD src0_sel:DWORD src1_sel:WORD_1
	v_bfe_u32 v10, v7, 19, 4
	v_sub_u32_e32 v11, 29, v11
	v_and_b32_e32 v12, 7, v12
	v_cmp_eq_u16_e32 vcc, 0, v6
	v_cndmask_b32_e32 v2, v2, v12, vcc
	v_cndmask_b32_e32 v6, v10, v11, vcc
	v_lshlrev_b32_e32 v10, 8, v7
	v_mov_b32_e32 v11, 0x3b800000
	v_lshlrev_b32_e32 v2, 20, v2
	v_and_b32_e32 v10, 0x80000000, v10
	v_lshl_add_u32 v6, v6, 23, v11
	v_or3_b32 v2, v10, v6, v2
.LBB28_1204:
	s_or_b64 exec, exec, s[6:7]
	s_movk_i32 s4, 0xff
	v_and_b32_sdwa v6, v3, s4 dst_sel:DWORD dst_unused:UNUSED_PAD src0_sel:WORD_1 src1_sel:DWORD
	s_movk_i32 s4, 0x7f
	v_cmp_lt_i16_e32 vcc, s4, v6
	s_mov_b64 s[4:5], 0
                                        ; implicit-def: $sgpr10
	s_and_saveexec_b64 s[6:7], vcc
	s_xor_b64 s[6:7], exec, s[6:7]
	s_cbranch_execnz .LBB28_3253
; %bb.1205:
	s_or_saveexec_b64 s[6:7], s[6:7]
	v_mov_b32_e32 v10, s10
	s_xor_b64 exec, exec, s[6:7]
	s_cbranch_execnz .LBB28_3256
.LBB28_1206:
	s_or_b64 exec, exec, s[6:7]
	s_and_saveexec_b64 s[6:7], s[4:5]
	s_cbranch_execz .LBB28_1208
.LBB28_1207:
	v_bfe_u32 v6, v3, 16, 3
	v_ffbh_u32_e32 v12, v6
	v_min_u32_e32 v12, 32, v12
	v_lshrrev_b32_e32 v10, 19, v3
	v_subrev_u32_e32 v13, 28, v12
	v_and_b32_e32 v10, 15, v10
	v_lshlrev_b32_sdwa v13, v13, v3 dst_sel:DWORD dst_unused:UNUSED_PAD src0_sel:DWORD src1_sel:WORD_1
	v_bfe_u32 v11, v3, 19, 4
	v_sub_u32_e32 v12, 29, v12
	v_and_b32_e32 v13, 7, v13
	v_cmp_eq_u16_e32 vcc, 0, v10
	v_cndmask_b32_e32 v6, v6, v13, vcc
	v_cndmask_b32_e32 v10, v11, v12, vcc
	v_lshlrev_b32_e32 v11, 8, v3
	v_mov_b32_e32 v12, 0x3b800000
	v_lshlrev_b32_e32 v6, 20, v6
	v_and_b32_e32 v11, 0x80000000, v11
	v_lshl_add_u32 v10, v10, 23, v12
	v_or3_b32 v10, v11, v10, v6
.LBB28_1208:
	s_or_b64 exec, exec, s[6:7]
	s_nop 0
	v_mfma_f32_16x16x4f32 a[0:3], v2, v10, a[0:3]
	s_movk_i32 s4, 0x7f
	v_cmp_gt_i16_sdwa s[6:7], v7, s4 src0_sel:BYTE_3 src1_sel:DWORD
	s_mov_b64 s[4:5], 0
                                        ; implicit-def: $sgpr10
	s_and_saveexec_b64 s[8:9], s[6:7]
	s_xor_b64 s[6:7], exec, s[8:9]
	s_cbranch_execnz .LBB28_3257
; %bb.1209:
	s_or_saveexec_b64 s[6:7], s[6:7]
	v_mov_b32_e32 v2, s10
	s_xor_b64 exec, exec, s[6:7]
	s_cbranch_execnz .LBB28_3260
.LBB28_1210:
	s_or_b64 exec, exec, s[6:7]
	s_and_saveexec_b64 s[6:7], s[4:5]
	s_cbranch_execz .LBB28_1212
.LBB28_1211:
	v_bfe_u32 v2, v7, 24, 3
	v_ffbh_u32_e32 v12, v2
	v_min_u32_e32 v12, 32, v12
	v_lshrrev_b32_e32 v10, 27, v7
	v_subrev_u32_e32 v13, 28, v12
	v_and_b32_e32 v6, 0x80000000, v7
	v_and_b32_e32 v10, 15, v10
	v_bfe_u32 v11, v7, 27, 4
	v_lshlrev_b32_sdwa v7, v13, v7 dst_sel:DWORD dst_unused:UNUSED_PAD src0_sel:DWORD src1_sel:BYTE_3
	v_sub_u32_e32 v12, 29, v12
	v_and_b32_e32 v7, 7, v7
	v_cmp_eq_u16_e32 vcc, 0, v10
	v_cndmask_b32_e32 v2, v2, v7, vcc
	v_cndmask_b32_e32 v7, v11, v12, vcc
	v_mov_b32_e32 v10, 0x3b800000
	v_lshlrev_b32_e32 v2, 20, v2
	v_lshl_add_u32 v7, v7, 23, v10
	v_or3_b32 v2, v6, v7, v2
.LBB28_1212:
	s_or_b64 exec, exec, s[6:7]
	s_movk_i32 s4, 0x7f
	v_cmp_gt_i16_sdwa s[6:7], v3, s4 src0_sel:BYTE_3 src1_sel:DWORD
	s_mov_b64 s[4:5], 0
                                        ; implicit-def: $sgpr10
	s_and_saveexec_b64 s[8:9], s[6:7]
	s_xor_b64 s[6:7], exec, s[8:9]
	s_cbranch_execnz .LBB28_3261
; %bb.1213:
	s_or_saveexec_b64 s[6:7], s[6:7]
	v_mov_b32_e32 v6, s10
	s_xor_b64 exec, exec, s[6:7]
	s_cbranch_execnz .LBB28_3264
.LBB28_1214:
	s_or_b64 exec, exec, s[6:7]
	s_and_saveexec_b64 s[6:7], s[4:5]
	s_cbranch_execz .LBB28_1216
.LBB28_1215:
	v_bfe_u32 v6, v3, 24, 3
	v_ffbh_u32_e32 v12, v6
	v_min_u32_e32 v12, 32, v12
	v_lshrrev_b32_e32 v10, 27, v3
	v_subrev_u32_e32 v13, 28, v12
	v_and_b32_e32 v7, 0x80000000, v3
	v_and_b32_e32 v10, 15, v10
	v_bfe_u32 v11, v3, 27, 4
	v_lshlrev_b32_sdwa v3, v13, v3 dst_sel:DWORD dst_unused:UNUSED_PAD src0_sel:DWORD src1_sel:BYTE_3
	v_sub_u32_e32 v12, 29, v12
	v_and_b32_e32 v3, 7, v3
	v_cmp_eq_u16_e32 vcc, 0, v10
	v_cndmask_b32_e32 v3, v6, v3, vcc
	v_cndmask_b32_e32 v6, v11, v12, vcc
	v_mov_b32_e32 v10, 0x3b800000
	v_lshlrev_b32_e32 v3, 20, v3
	v_lshl_add_u32 v6, v6, 23, v10
	v_or3_b32 v6, v7, v6, v3
.LBB28_1216:
	s_or_b64 exec, exec, s[6:7]
	s_nop 0
	v_mfma_f32_16x16x4f32 a[0:3], v2, v6, a[0:3]
	s_movk_i32 s4, 0x7f
	v_cmp_gt_i16_sdwa s[6:7], v8, s4 src0_sel:BYTE_0 src1_sel:DWORD
	s_mov_b64 s[4:5], 0
                                        ; implicit-def: $sgpr10
	s_and_saveexec_b64 s[8:9], s[6:7]
	s_xor_b64 s[6:7], exec, s[8:9]
	s_cbranch_execnz .LBB28_3265
; %bb.1217:
	s_or_saveexec_b64 s[6:7], s[6:7]
	v_mov_b32_e32 v2, s10
	s_xor_b64 exec, exec, s[6:7]
	s_cbranch_execnz .LBB28_3268
.LBB28_1218:
	s_or_b64 exec, exec, s[6:7]
	s_and_saveexec_b64 s[6:7], s[4:5]
	s_cbranch_execz .LBB28_1220
.LBB28_1219:
	v_and_b32_e32 v2, 7, v8
	v_ffbh_u32_e32 v6, v2
	v_min_u32_e32 v6, 32, v6
	v_lshrrev_b16_e32 v3, 3, v8
	v_subrev_u32_e32 v7, 28, v6
	v_and_b32_e32 v3, 15, v3
	v_lshlrev_b32_e32 v7, v7, v8
	v_sub_u32_e32 v6, 29, v6
	v_and_b32_e32 v7, 7, v7
	v_cmp_eq_u16_e32 vcc, 0, v3
	v_cndmask_b32_e32 v2, v2, v7, vcc
	v_cndmask_b32_e32 v3, v3, v6, vcc
	v_lshlrev_b32_e32 v6, 24, v8
	v_mov_b32_e32 v7, 0x3b800000
	v_lshlrev_b32_e32 v2, 20, v2
	v_and_b32_e32 v6, 0x80000000, v6
	v_lshl_add_u32 v3, v3, 23, v7
	v_or3_b32 v2, v6, v3, v2
.LBB28_1220:
	s_or_b64 exec, exec, s[6:7]
	s_movk_i32 s4, 0x7f
	v_cmp_gt_i16_sdwa s[6:7], v4, s4 src0_sel:BYTE_0 src1_sel:DWORD
	s_mov_b64 s[4:5], 0
                                        ; implicit-def: $sgpr10
	s_and_saveexec_b64 s[8:9], s[6:7]
	s_xor_b64 s[6:7], exec, s[8:9]
	s_cbranch_execnz .LBB28_3269
; %bb.1221:
	s_or_saveexec_b64 s[6:7], s[6:7]
	v_mov_b32_e32 v3, s10
	s_xor_b64 exec, exec, s[6:7]
	s_cbranch_execnz .LBB28_3272
.LBB28_1222:
	s_or_b64 exec, exec, s[6:7]
	s_and_saveexec_b64 s[6:7], s[4:5]
	s_cbranch_execz .LBB28_1224
.LBB28_1223:
	v_and_b32_e32 v3, 7, v4
	v_ffbh_u32_e32 v7, v3
	v_min_u32_e32 v7, 32, v7
	v_lshrrev_b16_e32 v6, 3, v4
	v_subrev_u32_e32 v10, 28, v7
	v_and_b32_e32 v6, 15, v6
	v_lshlrev_b32_e32 v10, v10, v4
	v_sub_u32_e32 v7, 29, v7
	v_and_b32_e32 v10, 7, v10
	v_cmp_eq_u16_e32 vcc, 0, v6
	v_cndmask_b32_e32 v3, v3, v10, vcc
	v_cndmask_b32_e32 v6, v6, v7, vcc
	v_lshlrev_b32_e32 v7, 24, v4
	v_mov_b32_e32 v10, 0x3b800000
	v_lshlrev_b32_e32 v3, 20, v3
	v_and_b32_e32 v7, 0x80000000, v7
	v_lshl_add_u32 v6, v6, 23, v10
	v_or3_b32 v3, v7, v6, v3
.LBB28_1224:
	s_or_b64 exec, exec, s[6:7]
	s_nop 0
	v_mfma_f32_16x16x4f32 a[0:3], v2, v3, a[0:3]
	v_lshrrev_b32_e32 v3, 8, v8
	s_movk_i32 s4, 0x7f
	v_cmp_gt_i16_sdwa s[6:7], v3, s4 src0_sel:BYTE_0 src1_sel:DWORD
	s_mov_b64 s[4:5], 0
                                        ; implicit-def: $sgpr10
	s_and_saveexec_b64 s[8:9], s[6:7]
	s_xor_b64 s[6:7], exec, s[8:9]
	s_cbranch_execnz .LBB28_3273
; %bb.1225:
	s_or_saveexec_b64 s[6:7], s[6:7]
	v_mov_b32_e32 v2, s10
	s_xor_b64 exec, exec, s[6:7]
	s_cbranch_execnz .LBB28_3276
.LBB28_1226:
	s_or_b64 exec, exec, s[6:7]
	s_and_saveexec_b64 s[6:7], s[4:5]
	s_cbranch_execz .LBB28_1228
.LBB28_1227:
	v_bfe_u32 v2, v8, 8, 3
	v_ffbh_u32_e32 v7, v2
	v_min_u32_e32 v7, 32, v7
	v_lshrrev_b16_e32 v6, 3, v3
	v_subrev_u32_e32 v10, 28, v7
	v_and_b32_e32 v6, 15, v6
	v_lshlrev_b32_e32 v3, v10, v3
	v_sub_u32_e32 v7, 29, v7
	v_and_b32_e32 v3, 7, v3
	v_cmp_eq_u16_e32 vcc, 0, v6
	v_cndmask_b32_e32 v2, v2, v3, vcc
	v_cndmask_b32_e32 v3, v6, v7, vcc
	v_lshlrev_b32_e32 v6, 16, v8
	v_mov_b32_e32 v7, 0x3b800000
	v_lshlrev_b32_e32 v2, 20, v2
	v_and_b32_e32 v6, 0x80000000, v6
	v_lshl_add_u32 v3, v3, 23, v7
	v_or3_b32 v2, v6, v3, v2
.LBB28_1228:
	s_or_b64 exec, exec, s[6:7]
	v_lshrrev_b32_e32 v3, 8, v4
	s_movk_i32 s4, 0x7f
	v_cmp_gt_i16_sdwa s[6:7], v3, s4 src0_sel:BYTE_0 src1_sel:DWORD
	s_mov_b64 s[4:5], 0
                                        ; implicit-def: $sgpr10
	s_and_saveexec_b64 s[8:9], s[6:7]
	s_xor_b64 s[6:7], exec, s[8:9]
	s_cbranch_execnz .LBB28_3277
; %bb.1229:
	s_or_saveexec_b64 s[6:7], s[6:7]
	v_mov_b32_e32 v6, s10
	s_xor_b64 exec, exec, s[6:7]
	s_cbranch_execnz .LBB28_3280
.LBB28_1230:
	s_or_b64 exec, exec, s[6:7]
	s_and_saveexec_b64 s[6:7], s[4:5]
	s_cbranch_execz .LBB28_1232
.LBB28_1231:
	v_bfe_u32 v6, v4, 8, 3
	v_ffbh_u32_e32 v10, v6
	v_min_u32_e32 v10, 32, v10
	v_lshrrev_b16_e32 v7, 3, v3
	v_subrev_u32_e32 v11, 28, v10
	v_and_b32_e32 v7, 15, v7
	v_lshlrev_b32_e32 v3, v11, v3
	v_sub_u32_e32 v10, 29, v10
	v_and_b32_e32 v3, 7, v3
	v_cmp_eq_u16_e32 vcc, 0, v7
	v_cndmask_b32_e32 v3, v6, v3, vcc
	v_cndmask_b32_e32 v6, v7, v10, vcc
	v_lshlrev_b32_e32 v7, 16, v4
	v_mov_b32_e32 v10, 0x3b800000
	v_lshlrev_b32_e32 v3, 20, v3
	v_and_b32_e32 v7, 0x80000000, v7
	v_lshl_add_u32 v6, v6, 23, v10
	v_or3_b32 v6, v7, v6, v3
.LBB28_1232:
	s_or_b64 exec, exec, s[6:7]
	s_nop 0
	v_mfma_f32_16x16x4f32 a[0:3], v2, v6, a[0:3]
	s_movk_i32 s4, 0xff
	v_and_b32_sdwa v3, v8, s4 dst_sel:DWORD dst_unused:UNUSED_PAD src0_sel:WORD_1 src1_sel:DWORD
	s_movk_i32 s4, 0x7f
	v_cmp_lt_i16_e32 vcc, s4, v3
	s_mov_b64 s[4:5], 0
                                        ; implicit-def: $sgpr10
	s_and_saveexec_b64 s[6:7], vcc
	s_xor_b64 s[6:7], exec, s[6:7]
	s_cbranch_execnz .LBB28_3281
; %bb.1233:
	s_or_saveexec_b64 s[6:7], s[6:7]
	v_mov_b32_e32 v2, s10
	s_xor_b64 exec, exec, s[6:7]
	s_cbranch_execnz .LBB28_3284
.LBB28_1234:
	s_or_b64 exec, exec, s[6:7]
	s_and_saveexec_b64 s[6:7], s[4:5]
	s_cbranch_execz .LBB28_1236
.LBB28_1235:
	v_bfe_u32 v2, v8, 16, 3
	v_ffbh_u32_e32 v7, v2
	v_min_u32_e32 v7, 32, v7
	v_lshrrev_b32_e32 v3, 19, v8
	v_subrev_u32_e32 v10, 28, v7
	v_and_b32_e32 v3, 15, v3
	v_lshlrev_b32_sdwa v10, v10, v8 dst_sel:DWORD dst_unused:UNUSED_PAD src0_sel:DWORD src1_sel:WORD_1
	v_bfe_u32 v6, v8, 19, 4
	v_sub_u32_e32 v7, 29, v7
	v_and_b32_e32 v10, 7, v10
	v_cmp_eq_u16_e32 vcc, 0, v3
	v_cndmask_b32_e32 v2, v2, v10, vcc
	v_cndmask_b32_e32 v3, v6, v7, vcc
	v_lshlrev_b32_e32 v6, 8, v8
	v_mov_b32_e32 v7, 0x3b800000
	v_lshlrev_b32_e32 v2, 20, v2
	v_and_b32_e32 v6, 0x80000000, v6
	v_lshl_add_u32 v3, v3, 23, v7
	v_or3_b32 v2, v6, v3, v2
.LBB28_1236:
	s_or_b64 exec, exec, s[6:7]
	s_movk_i32 s4, 0xff
	v_and_b32_sdwa v3, v4, s4 dst_sel:DWORD dst_unused:UNUSED_PAD src0_sel:WORD_1 src1_sel:DWORD
	s_movk_i32 s4, 0x7f
	v_cmp_lt_i16_e32 vcc, s4, v3
	s_mov_b64 s[4:5], 0
                                        ; implicit-def: $sgpr10
	s_and_saveexec_b64 s[6:7], vcc
	s_xor_b64 s[6:7], exec, s[6:7]
	s_cbranch_execnz .LBB28_3285
; %bb.1237:
	s_or_saveexec_b64 s[6:7], s[6:7]
	v_mov_b32_e32 v6, s10
	s_xor_b64 exec, exec, s[6:7]
	s_cbranch_execnz .LBB28_3288
.LBB28_1238:
	s_or_b64 exec, exec, s[6:7]
	s_and_saveexec_b64 s[6:7], s[4:5]
	s_cbranch_execz .LBB28_1240
.LBB28_1239:
	v_bfe_u32 v3, v4, 16, 3
	v_ffbh_u32_e32 v10, v3
	v_min_u32_e32 v10, 32, v10
	v_lshrrev_b32_e32 v6, 19, v4
	v_subrev_u32_e32 v11, 28, v10
	v_and_b32_e32 v6, 15, v6
	v_lshlrev_b32_sdwa v11, v11, v4 dst_sel:DWORD dst_unused:UNUSED_PAD src0_sel:DWORD src1_sel:WORD_1
	v_bfe_u32 v7, v4, 19, 4
	v_sub_u32_e32 v10, 29, v10
	v_and_b32_e32 v11, 7, v11
	v_cmp_eq_u16_e32 vcc, 0, v6
	v_cndmask_b32_e32 v3, v3, v11, vcc
	v_cndmask_b32_e32 v6, v7, v10, vcc
	v_lshlrev_b32_e32 v7, 8, v4
	v_mov_b32_e32 v10, 0x3b800000
	v_lshlrev_b32_e32 v3, 20, v3
	v_and_b32_e32 v7, 0x80000000, v7
	v_lshl_add_u32 v6, v6, 23, v10
	v_or3_b32 v6, v7, v6, v3
.LBB28_1240:
	s_or_b64 exec, exec, s[6:7]
	s_nop 0
	v_mfma_f32_16x16x4f32 a[0:3], v2, v6, a[0:3]
	s_movk_i32 s4, 0x7f
	v_cmp_gt_i16_sdwa s[6:7], v8, s4 src0_sel:BYTE_3 src1_sel:DWORD
	s_mov_b64 s[4:5], 0
                                        ; implicit-def: $sgpr10
	s_and_saveexec_b64 s[8:9], s[6:7]
	s_xor_b64 s[6:7], exec, s[8:9]
	s_cbranch_execnz .LBB28_3289
; %bb.1241:
	s_or_saveexec_b64 s[6:7], s[6:7]
	v_mov_b32_e32 v2, s10
	s_xor_b64 exec, exec, s[6:7]
	s_cbranch_execnz .LBB28_3292
.LBB28_1242:
	s_or_b64 exec, exec, s[6:7]
	s_and_saveexec_b64 s[6:7], s[4:5]
	s_cbranch_execz .LBB28_1244
.LBB28_1243:
	v_bfe_u32 v2, v8, 24, 3
	v_ffbh_u32_e32 v10, v2
	v_min_u32_e32 v10, 32, v10
	v_lshrrev_b32_e32 v6, 27, v8
	v_subrev_u32_e32 v11, 28, v10
	v_and_b32_e32 v3, 0x80000000, v8
	v_and_b32_e32 v6, 15, v6
	v_bfe_u32 v7, v8, 27, 4
	v_lshlrev_b32_sdwa v8, v11, v8 dst_sel:DWORD dst_unused:UNUSED_PAD src0_sel:DWORD src1_sel:BYTE_3
	v_sub_u32_e32 v10, 29, v10
	v_and_b32_e32 v8, 7, v8
	v_cmp_eq_u16_e32 vcc, 0, v6
	v_cndmask_b32_e32 v2, v2, v8, vcc
	v_cndmask_b32_e32 v6, v7, v10, vcc
	v_mov_b32_e32 v7, 0x3b800000
	v_lshlrev_b32_e32 v2, 20, v2
	v_lshl_add_u32 v6, v6, 23, v7
	v_or3_b32 v2, v3, v6, v2
.LBB28_1244:
	s_or_b64 exec, exec, s[6:7]
	s_movk_i32 s4, 0x7f
	v_cmp_gt_i16_sdwa s[6:7], v4, s4 src0_sel:BYTE_3 src1_sel:DWORD
	s_mov_b64 s[4:5], 0
                                        ; implicit-def: $sgpr10
	s_and_saveexec_b64 s[8:9], s[6:7]
	s_xor_b64 s[6:7], exec, s[8:9]
	s_cbranch_execnz .LBB28_3293
; %bb.1245:
	s_or_saveexec_b64 s[6:7], s[6:7]
	v_mov_b32_e32 v3, s10
	s_xor_b64 exec, exec, s[6:7]
	s_cbranch_execnz .LBB28_3296
.LBB28_1246:
	s_or_b64 exec, exec, s[6:7]
	s_and_saveexec_b64 s[6:7], s[4:5]
	s_cbranch_execz .LBB28_1248
.LBB28_1247:
	v_bfe_u32 v3, v4, 24, 3
	v_ffbh_u32_e32 v10, v3
	v_min_u32_e32 v10, 32, v10
	v_lshrrev_b32_e32 v7, 27, v4
	v_subrev_u32_e32 v11, 28, v10
	v_and_b32_e32 v6, 0x80000000, v4
	v_and_b32_e32 v7, 15, v7
	v_bfe_u32 v8, v4, 27, 4
	v_lshlrev_b32_sdwa v4, v11, v4 dst_sel:DWORD dst_unused:UNUSED_PAD src0_sel:DWORD src1_sel:BYTE_3
	v_sub_u32_e32 v10, 29, v10
	v_and_b32_e32 v4, 7, v4
	v_cmp_eq_u16_e32 vcc, 0, v7
	v_cndmask_b32_e32 v3, v3, v4, vcc
	v_cndmask_b32_e32 v4, v8, v10, vcc
	v_mov_b32_e32 v7, 0x3b800000
	v_lshlrev_b32_e32 v3, 20, v3
	v_lshl_add_u32 v4, v4, 23, v7
	v_or3_b32 v3, v6, v4, v3
.LBB28_1248:
	s_or_b64 exec, exec, s[6:7]
	s_nop 0
	v_mfma_f32_16x16x4f32 a[0:3], v2, v3, a[0:3]
	s_movk_i32 s4, 0x7f
	v_cmp_gt_i16_sdwa s[6:7], v9, s4 src0_sel:BYTE_0 src1_sel:DWORD
	s_mov_b64 s[4:5], 0
                                        ; implicit-def: $sgpr10
	s_and_saveexec_b64 s[8:9], s[6:7]
	s_xor_b64 s[6:7], exec, s[8:9]
	s_cbranch_execnz .LBB28_3297
; %bb.1249:
	s_or_saveexec_b64 s[6:7], s[6:7]
	v_mov_b32_e32 v2, s10
	s_xor_b64 exec, exec, s[6:7]
	s_cbranch_execnz .LBB28_3300
.LBB28_1250:
	s_or_b64 exec, exec, s[6:7]
	s_and_saveexec_b64 s[6:7], s[4:5]
	s_cbranch_execz .LBB28_1252
.LBB28_1251:
	v_mov_b32_e32 v2, 8
	v_and_b32_e32 v3, 7, v9
	v_lshrrev_b32_sdwa v2, v2, v9 dst_sel:BYTE_1 dst_unused:UNUSED_PAD src0_sel:DWORD src1_sel:DWORD
	v_ffbh_u32_e32 v4, v3
	v_or_b32_sdwa v2, v9, v2 dst_sel:DWORD dst_unused:UNUSED_PAD src0_sel:BYTE_0 src1_sel:DWORD
	v_min_u32_e32 v4, 32, v4
	v_lshrrev_b16_e32 v2, 3, v2
	v_subrev_u32_e32 v6, 28, v4
	v_and_b32_e32 v2, 15, v2
	v_lshlrev_b32_e32 v6, v6, v9
	v_sub_u32_e32 v4, 29, v4
	v_and_b32_e32 v6, 7, v6
	v_cmp_eq_u16_e32 vcc, 0, v2
	v_cndmask_b32_e32 v3, v3, v6, vcc
	v_cndmask_b32_e32 v2, v2, v4, vcc
	v_lshlrev_b32_e32 v4, 24, v9
	v_mov_b32_e32 v6, 0x3b800000
	v_lshlrev_b32_e32 v3, 20, v3
	v_and_b32_e32 v4, 0x80000000, v4
	v_lshl_add_u32 v2, v2, 23, v6
	v_or3_b32 v2, v4, v2, v3
.LBB28_1252:
	s_or_b64 exec, exec, s[6:7]
	s_movk_i32 s4, 0x7f
	v_cmp_gt_i16_sdwa s[6:7], v5, s4 src0_sel:BYTE_0 src1_sel:DWORD
	s_mov_b64 s[4:5], 0
                                        ; implicit-def: $sgpr10
	s_and_saveexec_b64 s[8:9], s[6:7]
	s_xor_b64 s[6:7], exec, s[8:9]
	s_cbranch_execnz .LBB28_3301
; %bb.1253:
	s_or_saveexec_b64 s[6:7], s[6:7]
	v_mov_b32_e32 v3, s10
	s_xor_b64 exec, exec, s[6:7]
	s_cbranch_execnz .LBB28_3304
.LBB28_1254:
	s_or_b64 exec, exec, s[6:7]
	s_and_saveexec_b64 s[6:7], s[4:5]
	s_cbranch_execz .LBB28_1256
.LBB28_1255:
	v_mov_b32_e32 v3, 8
	v_and_b32_e32 v4, 7, v5
	v_lshrrev_b32_sdwa v3, v3, v5 dst_sel:BYTE_1 dst_unused:UNUSED_PAD src0_sel:DWORD src1_sel:DWORD
	v_ffbh_u32_e32 v6, v4
	v_or_b32_sdwa v3, v5, v3 dst_sel:DWORD dst_unused:UNUSED_PAD src0_sel:BYTE_0 src1_sel:DWORD
	v_min_u32_e32 v6, 32, v6
	v_lshrrev_b16_e32 v3, 3, v3
	v_subrev_u32_e32 v7, 28, v6
	v_and_b32_e32 v3, 15, v3
	v_lshlrev_b32_e32 v7, v7, v5
	v_sub_u32_e32 v6, 29, v6
	v_and_b32_e32 v7, 7, v7
	v_cmp_eq_u16_e32 vcc, 0, v3
	v_cndmask_b32_e32 v4, v4, v7, vcc
	v_cndmask_b32_e32 v3, v3, v6, vcc
	v_lshlrev_b32_e32 v6, 24, v5
	v_mov_b32_e32 v7, 0x3b800000
	v_lshlrev_b32_e32 v4, 20, v4
	v_and_b32_e32 v6, 0x80000000, v6
	v_lshl_add_u32 v3, v3, 23, v7
	v_or3_b32 v3, v6, v3, v4
.LBB28_1256:
	s_or_b64 exec, exec, s[6:7]
	s_nop 0
	v_mfma_f32_16x16x4f32 a[0:3], v2, v3, a[0:3]
	v_lshrrev_b32_e32 v3, 8, v9
	s_movk_i32 s4, 0x7f
	v_cmp_gt_i16_sdwa s[6:7], v3, s4 src0_sel:BYTE_0 src1_sel:DWORD
	s_mov_b64 s[4:5], 0
                                        ; implicit-def: $sgpr10
	s_and_saveexec_b64 s[8:9], s[6:7]
	s_xor_b64 s[6:7], exec, s[8:9]
	s_cbranch_execnz .LBB28_3305
; %bb.1257:
	s_or_saveexec_b64 s[6:7], s[6:7]
	v_mov_b32_e32 v2, s10
	s_xor_b64 exec, exec, s[6:7]
	s_cbranch_execnz .LBB28_3308
.LBB28_1258:
	s_or_b64 exec, exec, s[6:7]
	s_and_saveexec_b64 s[6:7], s[4:5]
	s_cbranch_execz .LBB28_1260
.LBB28_1259:
	v_bfe_u32 v2, v9, 8, 3
	v_ffbh_u32_e32 v6, v2
	v_min_u32_e32 v6, 32, v6
	v_lshrrev_b16_e32 v4, 3, v3
	v_subrev_u32_e32 v7, 28, v6
	v_and_b32_e32 v4, 15, v4
	v_lshlrev_b32_e32 v3, v7, v3
	v_sub_u32_e32 v6, 29, v6
	v_and_b32_e32 v3, 7, v3
	v_cmp_eq_u16_e32 vcc, 0, v4
	v_cndmask_b32_e32 v2, v2, v3, vcc
	v_cndmask_b32_e32 v3, v4, v6, vcc
	v_lshlrev_b32_e32 v4, 16, v9
	v_mov_b32_e32 v6, 0x3b800000
	v_lshlrev_b32_e32 v2, 20, v2
	v_and_b32_e32 v4, 0x80000000, v4
	v_lshl_add_u32 v3, v3, 23, v6
	v_or3_b32 v2, v4, v3, v2
.LBB28_1260:
	s_or_b64 exec, exec, s[6:7]
	v_lshrrev_b32_e32 v3, 8, v5
	s_movk_i32 s4, 0x7f
	v_cmp_gt_i16_sdwa s[6:7], v3, s4 src0_sel:BYTE_0 src1_sel:DWORD
	s_mov_b64 s[4:5], 0
                                        ; implicit-def: $sgpr10
	s_and_saveexec_b64 s[8:9], s[6:7]
	s_xor_b64 s[6:7], exec, s[8:9]
	s_cbranch_execnz .LBB28_3309
; %bb.1261:
	s_or_saveexec_b64 s[6:7], s[6:7]
	v_mov_b32_e32 v4, s10
	s_xor_b64 exec, exec, s[6:7]
	s_cbranch_execnz .LBB28_3312
.LBB28_1262:
	s_or_b64 exec, exec, s[6:7]
	s_and_saveexec_b64 s[6:7], s[4:5]
	s_cbranch_execz .LBB28_1264
.LBB28_1263:
	v_bfe_u32 v4, v5, 8, 3
	v_ffbh_u32_e32 v7, v4
	v_min_u32_e32 v7, 32, v7
	v_lshrrev_b16_e32 v6, 3, v3
	v_subrev_u32_e32 v8, 28, v7
	v_and_b32_e32 v6, 15, v6
	v_lshlrev_b32_e32 v3, v8, v3
	v_sub_u32_e32 v7, 29, v7
	v_and_b32_e32 v3, 7, v3
	v_cmp_eq_u16_e32 vcc, 0, v6
	v_cndmask_b32_e32 v3, v4, v3, vcc
	v_cndmask_b32_e32 v4, v6, v7, vcc
	v_lshlrev_b32_e32 v6, 16, v5
	v_mov_b32_e32 v7, 0x3b800000
	v_lshlrev_b32_e32 v3, 20, v3
	v_and_b32_e32 v6, 0x80000000, v6
	v_lshl_add_u32 v4, v4, 23, v7
	v_or3_b32 v4, v6, v4, v3
.LBB28_1264:
	s_or_b64 exec, exec, s[6:7]
	s_nop 0
	v_mfma_f32_16x16x4f32 a[0:3], v2, v4, a[0:3]
	s_movk_i32 s4, 0xff
	v_and_b32_sdwa v3, v9, s4 dst_sel:DWORD dst_unused:UNUSED_PAD src0_sel:WORD_1 src1_sel:DWORD
	s_movk_i32 s4, 0x7f
	v_cmp_lt_i16_e32 vcc, s4, v3
	s_mov_b64 s[4:5], 0
                                        ; implicit-def: $sgpr10
	s_and_saveexec_b64 s[6:7], vcc
	s_xor_b64 s[6:7], exec, s[6:7]
	s_cbranch_execnz .LBB28_3313
; %bb.1265:
	s_or_saveexec_b64 s[6:7], s[6:7]
	v_mov_b32_e32 v2, s10
	s_xor_b64 exec, exec, s[6:7]
	s_cbranch_execnz .LBB28_3316
.LBB28_1266:
	s_or_b64 exec, exec, s[6:7]
	s_and_saveexec_b64 s[6:7], s[4:5]
	s_cbranch_execz .LBB28_1268
.LBB28_1267:
	v_bfe_u32 v2, v9, 16, 3
	v_ffbh_u32_e32 v6, v2
	v_min_u32_e32 v6, 32, v6
	v_lshrrev_b32_e32 v3, 19, v9
	v_subrev_u32_e32 v7, 28, v6
	v_and_b32_e32 v3, 15, v3
	v_lshlrev_b32_sdwa v7, v7, v9 dst_sel:DWORD dst_unused:UNUSED_PAD src0_sel:DWORD src1_sel:WORD_1
	v_bfe_u32 v4, v9, 19, 4
	v_sub_u32_e32 v6, 29, v6
	v_and_b32_e32 v7, 7, v7
	v_cmp_eq_u16_e32 vcc, 0, v3
	v_cndmask_b32_e32 v2, v2, v7, vcc
	v_cndmask_b32_e32 v3, v4, v6, vcc
	v_lshlrev_b32_e32 v4, 8, v9
	v_mov_b32_e32 v6, 0x3b800000
	v_lshlrev_b32_e32 v2, 20, v2
	v_and_b32_e32 v4, 0x80000000, v4
	v_lshl_add_u32 v3, v3, 23, v6
	v_or3_b32 v2, v4, v3, v2
.LBB28_1268:
	s_or_b64 exec, exec, s[6:7]
	s_movk_i32 s4, 0xff
	v_and_b32_sdwa v3, v5, s4 dst_sel:DWORD dst_unused:UNUSED_PAD src0_sel:WORD_1 src1_sel:DWORD
	s_movk_i32 s4, 0x7f
	v_cmp_lt_i16_e32 vcc, s4, v3
	s_mov_b64 s[4:5], 0
                                        ; implicit-def: $sgpr10
	s_and_saveexec_b64 s[6:7], vcc
	s_xor_b64 s[6:7], exec, s[6:7]
	s_cbranch_execnz .LBB28_3317
; %bb.1269:
	s_or_saveexec_b64 s[6:7], s[6:7]
	v_mov_b32_e32 v4, s10
	s_xor_b64 exec, exec, s[6:7]
	s_cbranch_execnz .LBB28_3320
.LBB28_1270:
	s_or_b64 exec, exec, s[6:7]
	s_and_saveexec_b64 s[6:7], s[4:5]
	s_cbranch_execz .LBB28_1272
.LBB28_1271:
	v_bfe_u32 v3, v5, 16, 3
	v_ffbh_u32_e32 v7, v3
	v_min_u32_e32 v7, 32, v7
	v_lshrrev_b32_e32 v4, 19, v5
	v_subrev_u32_e32 v8, 28, v7
	v_and_b32_e32 v4, 15, v4
	v_lshlrev_b32_sdwa v8, v8, v5 dst_sel:DWORD dst_unused:UNUSED_PAD src0_sel:DWORD src1_sel:WORD_1
	v_bfe_u32 v6, v5, 19, 4
	v_sub_u32_e32 v7, 29, v7
	v_and_b32_e32 v8, 7, v8
	v_cmp_eq_u16_e32 vcc, 0, v4
	v_cndmask_b32_e32 v3, v3, v8, vcc
	v_cndmask_b32_e32 v4, v6, v7, vcc
	v_lshlrev_b32_e32 v6, 8, v5
	v_mov_b32_e32 v7, 0x3b800000
	v_lshlrev_b32_e32 v3, 20, v3
	v_and_b32_e32 v6, 0x80000000, v6
	v_lshl_add_u32 v4, v4, 23, v7
	v_or3_b32 v4, v6, v4, v3
.LBB28_1272:
	s_or_b64 exec, exec, s[6:7]
	s_nop 0
	v_mfma_f32_16x16x4f32 a[0:3], v2, v4, a[0:3]
	s_movk_i32 s4, 0x7f
	v_cmp_gt_i16_sdwa s[6:7], v9, s4 src0_sel:BYTE_3 src1_sel:DWORD
	s_mov_b64 s[4:5], 0
                                        ; implicit-def: $sgpr10
	s_and_saveexec_b64 s[8:9], s[6:7]
	s_xor_b64 s[6:7], exec, s[8:9]
	s_cbranch_execnz .LBB28_3321
; %bb.1273:
	s_or_saveexec_b64 s[6:7], s[6:7]
	v_mov_b32_e32 v2, s10
	s_xor_b64 exec, exec, s[6:7]
	s_cbranch_execnz .LBB28_3324
.LBB28_1274:
	s_or_b64 exec, exec, s[6:7]
	s_and_saveexec_b64 s[6:7], s[4:5]
	s_cbranch_execz .LBB28_1276
.LBB28_1275:
	v_bfe_u32 v2, v9, 24, 3
	v_ffbh_u32_e32 v7, v2
	v_min_u32_e32 v7, 32, v7
	v_lshrrev_b32_e32 v4, 27, v9
	v_subrev_u32_e32 v8, 28, v7
	v_and_b32_e32 v4, 15, v4
	v_lshlrev_b32_sdwa v8, v8, v9 dst_sel:DWORD dst_unused:UNUSED_PAD src0_sel:DWORD src1_sel:BYTE_3
	v_bfe_u32 v6, v9, 27, 4
	v_sub_u32_e32 v7, 29, v7
	v_and_b32_e32 v8, 7, v8
	v_cmp_eq_u16_e32 vcc, 0, v4
	v_cndmask_b32_e32 v2, v2, v8, vcc
	v_cndmask_b32_e32 v4, v6, v7, vcc
	v_mov_b32_e32 v6, 0x3b800000
	v_and_b32_e32 v3, 0x80000000, v9
	v_lshlrev_b32_e32 v2, 20, v2
	v_lshl_add_u32 v4, v4, 23, v6
	v_or3_b32 v2, v3, v4, v2
.LBB28_1276:
	s_or_b64 exec, exec, s[6:7]
	s_movk_i32 s4, 0x7f
	v_cmp_gt_i16_sdwa s[6:7], v5, s4 src0_sel:BYTE_3 src1_sel:DWORD
	s_mov_b64 s[4:5], 0
                                        ; implicit-def: $sgpr10
	s_and_saveexec_b64 s[8:9], s[6:7]
	s_xor_b64 s[6:7], exec, s[8:9]
	s_cbranch_execnz .LBB28_3325
; %bb.1277:
	s_or_saveexec_b64 s[6:7], s[6:7]
	v_mov_b32_e32 v3, s10
	s_xor_b64 exec, exec, s[6:7]
	s_cbranch_execnz .LBB28_3328
.LBB28_1278:
	s_or_b64 exec, exec, s[6:7]
	s_and_saveexec_b64 s[6:7], s[4:5]
	s_cbranch_execz .LBB28_1280
.LBB28_1279:
	v_bfe_u32 v3, v5, 24, 3
	v_ffbh_u32_e32 v8, v3
	v_min_u32_e32 v8, 32, v8
	v_lshrrev_b32_e32 v6, 27, v5
	v_subrev_u32_e32 v9, 28, v8
	v_and_b32_e32 v4, 0x80000000, v5
	v_and_b32_e32 v6, 15, v6
	v_bfe_u32 v7, v5, 27, 4
	v_lshlrev_b32_sdwa v5, v9, v5 dst_sel:DWORD dst_unused:UNUSED_PAD src0_sel:DWORD src1_sel:BYTE_3
	v_sub_u32_e32 v8, 29, v8
	v_and_b32_e32 v5, 7, v5
	v_cmp_eq_u16_e32 vcc, 0, v6
	v_cndmask_b32_e32 v3, v3, v5, vcc
	v_cndmask_b32_e32 v5, v7, v8, vcc
	v_mov_b32_e32 v6, 0x3b800000
	v_lshlrev_b32_e32 v3, 20, v3
	v_lshl_add_u32 v5, v5, 23, v6
	v_or3_b32 v3, v4, v5, v3
.LBB28_1280:
	s_or_b64 exec, exec, s[6:7]
	s_nop 0
	v_mfma_f32_16x16x4f32 a[0:3], v2, v3, a[0:3]
	s_movk_i32 s4, 0x7f
                                        ; implicit-def: $sgpr10
	s_nop 7
	s_nop 1
	flat_store_dwordx4 v[18:19], a[0:3] offset:64
	flat_load_dwordx4 v[20:23], v[0:1] offset:16
	s_nop 0
	flat_load_dwordx2 v[18:19], v[0:1] offset:32
	s_waitcnt vmcnt(0) lgkmcnt(0)
	flat_load_dwordx4 v[14:17], v[20:21]
	flat_load_dwordx4 v[6:9], v[20:21] offset:16
	flat_load_dwordx4 v[10:13], v[22:23] offset:160
	;; [unrolled: 1-line block ×3, first 2 shown]
	s_waitcnt vmcnt(0) lgkmcnt(0)
	v_cmp_gt_i16_sdwa s[6:7], v14, s4 src0_sel:BYTE_0 src1_sel:DWORD
	s_mov_b64 s[4:5], 0
	s_and_saveexec_b64 s[8:9], s[6:7]
	s_xor_b64 s[6:7], exec, s[8:9]
	s_cbranch_execnz .LBB28_3329
; %bb.1281:
	s_or_saveexec_b64 s[6:7], s[6:7]
	v_mov_b32_e32 v20, s10
	s_xor_b64 exec, exec, s[6:7]
	s_cbranch_execnz .LBB28_3332
.LBB28_1282:
	s_or_b64 exec, exec, s[6:7]
	s_and_saveexec_b64 s[6:7], s[4:5]
	s_cbranch_execz .LBB28_1284
.LBB28_1283:
	v_and_b32_e32 v20, 7, v14
	v_ffbh_u32_e32 v22, v20
	v_min_u32_e32 v22, 32, v22
	v_lshrrev_b16_e32 v21, 3, v14
	v_subrev_u32_e32 v23, 28, v22
	v_and_b32_e32 v21, 15, v21
	v_lshlrev_b32_e32 v23, v23, v14
	v_sub_u32_e32 v22, 29, v22
	v_and_b32_e32 v23, 7, v23
	v_cmp_eq_u16_e32 vcc, 0, v21
	v_cndmask_b32_e32 v20, v20, v23, vcc
	v_cndmask_b32_e32 v21, v21, v22, vcc
	v_lshlrev_b32_e32 v22, 24, v14
	v_mov_b32_e32 v23, 0x3b800000
	v_lshlrev_b32_e32 v20, 20, v20
	v_and_b32_e32 v22, 0x80000000, v22
	v_lshl_add_u32 v21, v21, 23, v23
	v_or3_b32 v20, v22, v21, v20
.LBB28_1284:
	s_or_b64 exec, exec, s[6:7]
	s_movk_i32 s4, 0x7f
	v_cmp_gt_i16_sdwa s[6:7], v10, s4 src0_sel:BYTE_0 src1_sel:DWORD
	s_mov_b64 s[4:5], 0
                                        ; implicit-def: $sgpr10
	s_and_saveexec_b64 s[8:9], s[6:7]
	s_xor_b64 s[6:7], exec, s[8:9]
	s_cbranch_execnz .LBB28_3333
; %bb.1285:
	s_or_saveexec_b64 s[6:7], s[6:7]
	v_mov_b32_e32 v21, s10
	s_xor_b64 exec, exec, s[6:7]
	s_cbranch_execnz .LBB28_3336
.LBB28_1286:
	s_or_b64 exec, exec, s[6:7]
	s_and_saveexec_b64 s[6:7], s[4:5]
	s_cbranch_execz .LBB28_1288
.LBB28_1287:
	v_and_b32_e32 v21, 7, v10
	v_ffbh_u32_e32 v23, v21
	v_min_u32_e32 v23, 32, v23
	v_lshrrev_b16_e32 v22, 3, v10
	v_subrev_u32_e32 v24, 28, v23
	v_and_b32_e32 v22, 15, v22
	v_lshlrev_b32_e32 v24, v24, v10
	v_sub_u32_e32 v23, 29, v23
	v_and_b32_e32 v24, 7, v24
	v_cmp_eq_u16_e32 vcc, 0, v22
	v_cndmask_b32_e32 v21, v21, v24, vcc
	v_cndmask_b32_e32 v22, v22, v23, vcc
	v_lshlrev_b32_e32 v23, 24, v10
	v_mov_b32_e32 v24, 0x3b800000
	v_lshlrev_b32_e32 v21, 20, v21
	v_and_b32_e32 v23, 0x80000000, v23
	v_lshl_add_u32 v22, v22, 23, v24
	v_or3_b32 v21, v23, v22, v21
.LBB28_1288:
	s_or_b64 exec, exec, s[6:7]
	flat_load_dwordx4 a[0:3], v[18:19] offset:80
	s_movk_i32 s4, 0x7f
                                        ; implicit-def: $sgpr10
	s_waitcnt vmcnt(0) lgkmcnt(0)
	v_mfma_f32_16x16x4f32 a[0:3], v20, v21, a[0:3]
	v_lshrrev_b32_e32 v21, 8, v14
	v_cmp_gt_i16_sdwa s[6:7], v21, s4 src0_sel:BYTE_0 src1_sel:DWORD
	s_mov_b64 s[4:5], 0
	s_and_saveexec_b64 s[8:9], s[6:7]
	s_xor_b64 s[6:7], exec, s[8:9]
	s_cbranch_execnz .LBB28_3337
; %bb.1289:
	s_or_saveexec_b64 s[6:7], s[6:7]
	v_mov_b32_e32 v20, s10
	s_xor_b64 exec, exec, s[6:7]
	s_cbranch_execnz .LBB28_3340
.LBB28_1290:
	s_or_b64 exec, exec, s[6:7]
	s_and_saveexec_b64 s[6:7], s[4:5]
	s_cbranch_execz .LBB28_1292
.LBB28_1291:
	v_bfe_u32 v20, v14, 8, 3
	v_ffbh_u32_e32 v23, v20
	v_min_u32_e32 v23, 32, v23
	v_lshrrev_b16_e32 v22, 3, v21
	v_subrev_u32_e32 v24, 28, v23
	v_and_b32_e32 v22, 15, v22
	v_lshlrev_b32_e32 v21, v24, v21
	v_sub_u32_e32 v23, 29, v23
	v_and_b32_e32 v21, 7, v21
	v_cmp_eq_u16_e32 vcc, 0, v22
	v_cndmask_b32_e32 v20, v20, v21, vcc
	v_cndmask_b32_e32 v21, v22, v23, vcc
	v_lshlrev_b32_e32 v22, 16, v14
	v_mov_b32_e32 v23, 0x3b800000
	v_lshlrev_b32_e32 v20, 20, v20
	v_and_b32_e32 v22, 0x80000000, v22
	v_lshl_add_u32 v21, v21, 23, v23
	v_or3_b32 v20, v22, v21, v20
.LBB28_1292:
	s_or_b64 exec, exec, s[6:7]
	v_lshrrev_b32_e32 v21, 8, v10
	s_movk_i32 s4, 0x7f
	v_cmp_gt_i16_sdwa s[6:7], v21, s4 src0_sel:BYTE_0 src1_sel:DWORD
	s_mov_b64 s[4:5], 0
                                        ; implicit-def: $sgpr10
	s_and_saveexec_b64 s[8:9], s[6:7]
	s_xor_b64 s[6:7], exec, s[8:9]
	s_cbranch_execnz .LBB28_3341
; %bb.1293:
	s_or_saveexec_b64 s[6:7], s[6:7]
	v_mov_b32_e32 v22, s10
	s_xor_b64 exec, exec, s[6:7]
	s_cbranch_execnz .LBB28_3344
.LBB28_1294:
	s_or_b64 exec, exec, s[6:7]
	s_and_saveexec_b64 s[6:7], s[4:5]
	s_cbranch_execz .LBB28_1296
.LBB28_1295:
	v_bfe_u32 v22, v10, 8, 3
	v_ffbh_u32_e32 v24, v22
	v_min_u32_e32 v24, 32, v24
	v_lshrrev_b16_e32 v23, 3, v21
	v_subrev_u32_e32 v25, 28, v24
	v_and_b32_e32 v23, 15, v23
	v_lshlrev_b32_e32 v21, v25, v21
	v_sub_u32_e32 v24, 29, v24
	v_and_b32_e32 v21, 7, v21
	v_cmp_eq_u16_e32 vcc, 0, v23
	v_cndmask_b32_e32 v21, v22, v21, vcc
	v_cndmask_b32_e32 v22, v23, v24, vcc
	v_lshlrev_b32_e32 v23, 16, v10
	v_mov_b32_e32 v24, 0x3b800000
	v_lshlrev_b32_e32 v21, 20, v21
	v_and_b32_e32 v23, 0x80000000, v23
	v_lshl_add_u32 v22, v22, 23, v24
	v_or3_b32 v22, v23, v22, v21
.LBB28_1296:
	s_or_b64 exec, exec, s[6:7]
	s_nop 0
	v_mfma_f32_16x16x4f32 a[0:3], v20, v22, a[0:3]
	s_movk_i32 s4, 0xff
	v_and_b32_sdwa v21, v14, s4 dst_sel:DWORD dst_unused:UNUSED_PAD src0_sel:WORD_1 src1_sel:DWORD
	s_movk_i32 s4, 0x7f
	v_cmp_lt_i16_e32 vcc, s4, v21
	s_mov_b64 s[4:5], 0
                                        ; implicit-def: $sgpr10
	s_and_saveexec_b64 s[6:7], vcc
	s_xor_b64 s[6:7], exec, s[6:7]
	s_cbranch_execnz .LBB28_3345
; %bb.1297:
	s_or_saveexec_b64 s[6:7], s[6:7]
	v_mov_b32_e32 v20, s10
	s_xor_b64 exec, exec, s[6:7]
	s_cbranch_execnz .LBB28_3348
.LBB28_1298:
	s_or_b64 exec, exec, s[6:7]
	s_and_saveexec_b64 s[6:7], s[4:5]
	s_cbranch_execz .LBB28_1300
.LBB28_1299:
	v_bfe_u32 v20, v14, 16, 3
	v_ffbh_u32_e32 v23, v20
	v_min_u32_e32 v23, 32, v23
	v_lshrrev_b32_e32 v21, 19, v14
	v_subrev_u32_e32 v24, 28, v23
	v_and_b32_e32 v21, 15, v21
	v_lshlrev_b32_sdwa v24, v24, v14 dst_sel:DWORD dst_unused:UNUSED_PAD src0_sel:DWORD src1_sel:WORD_1
	v_bfe_u32 v22, v14, 19, 4
	v_sub_u32_e32 v23, 29, v23
	v_and_b32_e32 v24, 7, v24
	v_cmp_eq_u16_e32 vcc, 0, v21
	v_cndmask_b32_e32 v20, v20, v24, vcc
	v_cndmask_b32_e32 v21, v22, v23, vcc
	v_lshlrev_b32_e32 v22, 8, v14
	v_mov_b32_e32 v23, 0x3b800000
	v_lshlrev_b32_e32 v20, 20, v20
	v_and_b32_e32 v22, 0x80000000, v22
	v_lshl_add_u32 v21, v21, 23, v23
	v_or3_b32 v20, v22, v21, v20
.LBB28_1300:
	s_or_b64 exec, exec, s[6:7]
	s_movk_i32 s4, 0xff
	v_and_b32_sdwa v21, v10, s4 dst_sel:DWORD dst_unused:UNUSED_PAD src0_sel:WORD_1 src1_sel:DWORD
	s_movk_i32 s4, 0x7f
	v_cmp_lt_i16_e32 vcc, s4, v21
	s_mov_b64 s[4:5], 0
                                        ; implicit-def: $sgpr10
	s_and_saveexec_b64 s[6:7], vcc
	s_xor_b64 s[6:7], exec, s[6:7]
	s_cbranch_execnz .LBB28_3349
; %bb.1301:
	s_or_saveexec_b64 s[6:7], s[6:7]
	v_mov_b32_e32 v22, s10
	s_xor_b64 exec, exec, s[6:7]
	s_cbranch_execnz .LBB28_3352
.LBB28_1302:
	s_or_b64 exec, exec, s[6:7]
	s_and_saveexec_b64 s[6:7], s[4:5]
	s_cbranch_execz .LBB28_1304
.LBB28_1303:
	v_bfe_u32 v21, v10, 16, 3
	v_ffbh_u32_e32 v24, v21
	v_min_u32_e32 v24, 32, v24
	v_lshrrev_b32_e32 v22, 19, v10
	v_subrev_u32_e32 v25, 28, v24
	v_and_b32_e32 v22, 15, v22
	v_lshlrev_b32_sdwa v25, v25, v10 dst_sel:DWORD dst_unused:UNUSED_PAD src0_sel:DWORD src1_sel:WORD_1
	v_bfe_u32 v23, v10, 19, 4
	v_sub_u32_e32 v24, 29, v24
	v_and_b32_e32 v25, 7, v25
	v_cmp_eq_u16_e32 vcc, 0, v22
	v_cndmask_b32_e32 v21, v21, v25, vcc
	v_cndmask_b32_e32 v22, v23, v24, vcc
	v_lshlrev_b32_e32 v23, 8, v10
	v_mov_b32_e32 v24, 0x3b800000
	v_lshlrev_b32_e32 v21, 20, v21
	v_and_b32_e32 v23, 0x80000000, v23
	v_lshl_add_u32 v22, v22, 23, v24
	v_or3_b32 v22, v23, v22, v21
.LBB28_1304:
	s_or_b64 exec, exec, s[6:7]
	s_nop 0
	v_mfma_f32_16x16x4f32 a[0:3], v20, v22, a[0:3]
	s_movk_i32 s4, 0x7f
	v_cmp_gt_i16_sdwa s[6:7], v14, s4 src0_sel:BYTE_3 src1_sel:DWORD
	s_mov_b64 s[4:5], 0
                                        ; implicit-def: $sgpr10
	s_and_saveexec_b64 s[8:9], s[6:7]
	s_xor_b64 s[6:7], exec, s[8:9]
	s_cbranch_execnz .LBB28_3353
; %bb.1305:
	s_or_saveexec_b64 s[6:7], s[6:7]
	v_mov_b32_e32 v20, s10
	s_xor_b64 exec, exec, s[6:7]
	s_cbranch_execnz .LBB28_3356
.LBB28_1306:
	s_or_b64 exec, exec, s[6:7]
	s_and_saveexec_b64 s[6:7], s[4:5]
	s_cbranch_execz .LBB28_1308
.LBB28_1307:
	v_bfe_u32 v20, v14, 24, 3
	v_ffbh_u32_e32 v24, v20
	v_min_u32_e32 v24, 32, v24
	v_lshrrev_b32_e32 v22, 27, v14
	v_subrev_u32_e32 v25, 28, v24
	v_and_b32_e32 v21, 0x80000000, v14
	v_and_b32_e32 v22, 15, v22
	v_bfe_u32 v23, v14, 27, 4
	v_lshlrev_b32_sdwa v14, v25, v14 dst_sel:DWORD dst_unused:UNUSED_PAD src0_sel:DWORD src1_sel:BYTE_3
	v_sub_u32_e32 v24, 29, v24
	v_and_b32_e32 v14, 7, v14
	v_cmp_eq_u16_e32 vcc, 0, v22
	v_cndmask_b32_e32 v14, v20, v14, vcc
	v_cndmask_b32_e32 v20, v23, v24, vcc
	v_mov_b32_e32 v22, 0x3b800000
	v_lshlrev_b32_e32 v14, 20, v14
	v_lshl_add_u32 v20, v20, 23, v22
	v_or3_b32 v20, v21, v20, v14
.LBB28_1308:
	s_or_b64 exec, exec, s[6:7]
	s_movk_i32 s4, 0x7f
	v_cmp_gt_i16_sdwa s[6:7], v10, s4 src0_sel:BYTE_3 src1_sel:DWORD
	s_mov_b64 s[4:5], 0
                                        ; implicit-def: $sgpr10
	s_and_saveexec_b64 s[8:9], s[6:7]
	s_xor_b64 s[6:7], exec, s[8:9]
	s_cbranch_execnz .LBB28_3357
; %bb.1309:
	s_or_saveexec_b64 s[6:7], s[6:7]
	v_mov_b32_e32 v14, s10
	s_xor_b64 exec, exec, s[6:7]
	s_cbranch_execnz .LBB28_3360
.LBB28_1310:
	s_or_b64 exec, exec, s[6:7]
	s_and_saveexec_b64 s[6:7], s[4:5]
	s_cbranch_execz .LBB28_1312
.LBB28_1311:
	v_bfe_u32 v14, v10, 24, 3
	v_ffbh_u32_e32 v24, v14
	v_min_u32_e32 v24, 32, v24
	v_lshrrev_b32_e32 v22, 27, v10
	v_subrev_u32_e32 v25, 28, v24
	v_and_b32_e32 v21, 0x80000000, v10
	v_and_b32_e32 v22, 15, v22
	v_bfe_u32 v23, v10, 27, 4
	v_lshlrev_b32_sdwa v10, v25, v10 dst_sel:DWORD dst_unused:UNUSED_PAD src0_sel:DWORD src1_sel:BYTE_3
	v_sub_u32_e32 v24, 29, v24
	v_and_b32_e32 v10, 7, v10
	v_cmp_eq_u16_e32 vcc, 0, v22
	v_cndmask_b32_e32 v10, v14, v10, vcc
	v_cndmask_b32_e32 v14, v23, v24, vcc
	v_mov_b32_e32 v22, 0x3b800000
	v_lshlrev_b32_e32 v10, 20, v10
	v_lshl_add_u32 v14, v14, 23, v22
	v_or3_b32 v14, v21, v14, v10
.LBB28_1312:
	s_or_b64 exec, exec, s[6:7]
	s_nop 0
	v_mfma_f32_16x16x4f32 a[0:3], v20, v14, a[0:3]
	s_movk_i32 s4, 0x7f
	v_cmp_gt_i16_sdwa s[6:7], v15, s4 src0_sel:BYTE_0 src1_sel:DWORD
	s_mov_b64 s[4:5], 0
                                        ; implicit-def: $sgpr10
	s_and_saveexec_b64 s[8:9], s[6:7]
	s_xor_b64 s[6:7], exec, s[8:9]
	s_cbranch_execnz .LBB28_3361
; %bb.1313:
	s_or_saveexec_b64 s[6:7], s[6:7]
	v_mov_b32_e32 v10, s10
	s_xor_b64 exec, exec, s[6:7]
	s_cbranch_execnz .LBB28_3364
.LBB28_1314:
	s_or_b64 exec, exec, s[6:7]
	s_and_saveexec_b64 s[6:7], s[4:5]
	s_cbranch_execz .LBB28_1316
.LBB28_1315:
	v_and_b32_e32 v10, 7, v15
	v_ffbh_u32_e32 v20, v10
	v_min_u32_e32 v20, 32, v20
	v_lshrrev_b16_e32 v14, 3, v15
	v_subrev_u32_e32 v21, 28, v20
	v_and_b32_e32 v14, 15, v14
	v_lshlrev_b32_e32 v21, v21, v15
	v_sub_u32_e32 v20, 29, v20
	v_and_b32_e32 v21, 7, v21
	v_cmp_eq_u16_e32 vcc, 0, v14
	v_cndmask_b32_e32 v10, v10, v21, vcc
	v_cndmask_b32_e32 v14, v14, v20, vcc
	v_lshlrev_b32_e32 v20, 24, v15
	v_mov_b32_e32 v21, 0x3b800000
	v_lshlrev_b32_e32 v10, 20, v10
	v_and_b32_e32 v20, 0x80000000, v20
	v_lshl_add_u32 v14, v14, 23, v21
	v_or3_b32 v10, v20, v14, v10
.LBB28_1316:
	s_or_b64 exec, exec, s[6:7]
	s_movk_i32 s4, 0x7f
	v_cmp_gt_i16_sdwa s[6:7], v11, s4 src0_sel:BYTE_0 src1_sel:DWORD
	s_mov_b64 s[4:5], 0
                                        ; implicit-def: $sgpr10
	s_and_saveexec_b64 s[8:9], s[6:7]
	s_xor_b64 s[6:7], exec, s[8:9]
	s_cbranch_execnz .LBB28_3365
; %bb.1317:
	s_or_saveexec_b64 s[6:7], s[6:7]
	v_mov_b32_e32 v14, s10
	s_xor_b64 exec, exec, s[6:7]
	s_cbranch_execnz .LBB28_3368
.LBB28_1318:
	s_or_b64 exec, exec, s[6:7]
	s_and_saveexec_b64 s[6:7], s[4:5]
	s_cbranch_execz .LBB28_1320
.LBB28_1319:
	v_and_b32_e32 v14, 7, v11
	v_ffbh_u32_e32 v21, v14
	v_min_u32_e32 v21, 32, v21
	v_lshrrev_b16_e32 v20, 3, v11
	v_subrev_u32_e32 v22, 28, v21
	v_and_b32_e32 v20, 15, v20
	v_lshlrev_b32_e32 v22, v22, v11
	v_sub_u32_e32 v21, 29, v21
	v_and_b32_e32 v22, 7, v22
	v_cmp_eq_u16_e32 vcc, 0, v20
	v_cndmask_b32_e32 v14, v14, v22, vcc
	v_cndmask_b32_e32 v20, v20, v21, vcc
	v_lshlrev_b32_e32 v21, 24, v11
	v_mov_b32_e32 v22, 0x3b800000
	v_lshlrev_b32_e32 v14, 20, v14
	v_and_b32_e32 v21, 0x80000000, v21
	v_lshl_add_u32 v20, v20, 23, v22
	v_or3_b32 v14, v21, v20, v14
.LBB28_1320:
	s_or_b64 exec, exec, s[6:7]
	s_nop 0
	v_mfma_f32_16x16x4f32 a[0:3], v10, v14, a[0:3]
	v_lshrrev_b32_e32 v14, 8, v15
	s_movk_i32 s4, 0x7f
	v_cmp_gt_i16_sdwa s[6:7], v14, s4 src0_sel:BYTE_0 src1_sel:DWORD
	s_mov_b64 s[4:5], 0
                                        ; implicit-def: $sgpr10
	s_and_saveexec_b64 s[8:9], s[6:7]
	s_xor_b64 s[6:7], exec, s[8:9]
	s_cbranch_execnz .LBB28_3369
; %bb.1321:
	s_or_saveexec_b64 s[6:7], s[6:7]
	v_mov_b32_e32 v10, s10
	s_xor_b64 exec, exec, s[6:7]
	s_cbranch_execnz .LBB28_3372
.LBB28_1322:
	s_or_b64 exec, exec, s[6:7]
	s_and_saveexec_b64 s[6:7], s[4:5]
	s_cbranch_execz .LBB28_1324
.LBB28_1323:
	v_bfe_u32 v10, v15, 8, 3
	v_ffbh_u32_e32 v21, v10
	v_min_u32_e32 v21, 32, v21
	v_lshrrev_b16_e32 v20, 3, v14
	v_subrev_u32_e32 v22, 28, v21
	v_and_b32_e32 v20, 15, v20
	v_lshlrev_b32_e32 v14, v22, v14
	v_sub_u32_e32 v21, 29, v21
	v_and_b32_e32 v14, 7, v14
	v_cmp_eq_u16_e32 vcc, 0, v20
	v_cndmask_b32_e32 v10, v10, v14, vcc
	v_cndmask_b32_e32 v14, v20, v21, vcc
	v_lshlrev_b32_e32 v20, 16, v15
	v_mov_b32_e32 v21, 0x3b800000
	v_lshlrev_b32_e32 v10, 20, v10
	v_and_b32_e32 v20, 0x80000000, v20
	v_lshl_add_u32 v14, v14, 23, v21
	v_or3_b32 v10, v20, v14, v10
.LBB28_1324:
	s_or_b64 exec, exec, s[6:7]
	v_lshrrev_b32_e32 v14, 8, v11
	s_movk_i32 s4, 0x7f
	v_cmp_gt_i16_sdwa s[6:7], v14, s4 src0_sel:BYTE_0 src1_sel:DWORD
	s_mov_b64 s[4:5], 0
                                        ; implicit-def: $sgpr10
	s_and_saveexec_b64 s[8:9], s[6:7]
	s_xor_b64 s[6:7], exec, s[8:9]
	s_cbranch_execnz .LBB28_3373
; %bb.1325:
	s_or_saveexec_b64 s[6:7], s[6:7]
	v_mov_b32_e32 v20, s10
	s_xor_b64 exec, exec, s[6:7]
	s_cbranch_execnz .LBB28_3376
.LBB28_1326:
	s_or_b64 exec, exec, s[6:7]
	s_and_saveexec_b64 s[6:7], s[4:5]
	s_cbranch_execz .LBB28_1328
.LBB28_1327:
	v_bfe_u32 v20, v11, 8, 3
	v_ffbh_u32_e32 v22, v20
	v_min_u32_e32 v22, 32, v22
	v_lshrrev_b16_e32 v21, 3, v14
	v_subrev_u32_e32 v23, 28, v22
	v_and_b32_e32 v21, 15, v21
	v_lshlrev_b32_e32 v14, v23, v14
	v_sub_u32_e32 v22, 29, v22
	v_and_b32_e32 v14, 7, v14
	v_cmp_eq_u16_e32 vcc, 0, v21
	v_cndmask_b32_e32 v14, v20, v14, vcc
	v_cndmask_b32_e32 v20, v21, v22, vcc
	v_lshlrev_b32_e32 v21, 16, v11
	v_mov_b32_e32 v22, 0x3b800000
	v_lshlrev_b32_e32 v14, 20, v14
	v_and_b32_e32 v21, 0x80000000, v21
	v_lshl_add_u32 v20, v20, 23, v22
	v_or3_b32 v20, v21, v20, v14
.LBB28_1328:
	s_or_b64 exec, exec, s[6:7]
	s_nop 0
	v_mfma_f32_16x16x4f32 a[0:3], v10, v20, a[0:3]
	s_movk_i32 s4, 0xff
	v_and_b32_sdwa v14, v15, s4 dst_sel:DWORD dst_unused:UNUSED_PAD src0_sel:WORD_1 src1_sel:DWORD
	s_movk_i32 s4, 0x7f
	v_cmp_lt_i16_e32 vcc, s4, v14
	s_mov_b64 s[4:5], 0
                                        ; implicit-def: $sgpr10
	s_and_saveexec_b64 s[6:7], vcc
	s_xor_b64 s[6:7], exec, s[6:7]
	s_cbranch_execnz .LBB28_3377
; %bb.1329:
	s_or_saveexec_b64 s[6:7], s[6:7]
	v_mov_b32_e32 v10, s10
	s_xor_b64 exec, exec, s[6:7]
	s_cbranch_execnz .LBB28_3380
.LBB28_1330:
	s_or_b64 exec, exec, s[6:7]
	s_and_saveexec_b64 s[6:7], s[4:5]
	s_cbranch_execz .LBB28_1332
.LBB28_1331:
	v_bfe_u32 v10, v15, 16, 3
	v_ffbh_u32_e32 v21, v10
	v_min_u32_e32 v21, 32, v21
	v_lshrrev_b32_e32 v14, 19, v15
	v_subrev_u32_e32 v22, 28, v21
	v_and_b32_e32 v14, 15, v14
	v_lshlrev_b32_sdwa v22, v22, v15 dst_sel:DWORD dst_unused:UNUSED_PAD src0_sel:DWORD src1_sel:WORD_1
	v_bfe_u32 v20, v15, 19, 4
	v_sub_u32_e32 v21, 29, v21
	v_and_b32_e32 v22, 7, v22
	v_cmp_eq_u16_e32 vcc, 0, v14
	v_cndmask_b32_e32 v10, v10, v22, vcc
	v_cndmask_b32_e32 v14, v20, v21, vcc
	v_lshlrev_b32_e32 v20, 8, v15
	v_mov_b32_e32 v21, 0x3b800000
	v_lshlrev_b32_e32 v10, 20, v10
	v_and_b32_e32 v20, 0x80000000, v20
	v_lshl_add_u32 v14, v14, 23, v21
	v_or3_b32 v10, v20, v14, v10
.LBB28_1332:
	s_or_b64 exec, exec, s[6:7]
	s_movk_i32 s4, 0xff
	v_and_b32_sdwa v14, v11, s4 dst_sel:DWORD dst_unused:UNUSED_PAD src0_sel:WORD_1 src1_sel:DWORD
	s_movk_i32 s4, 0x7f
	v_cmp_lt_i16_e32 vcc, s4, v14
	s_mov_b64 s[4:5], 0
                                        ; implicit-def: $sgpr10
	s_and_saveexec_b64 s[6:7], vcc
	s_xor_b64 s[6:7], exec, s[6:7]
	s_cbranch_execnz .LBB28_3381
; %bb.1333:
	s_or_saveexec_b64 s[6:7], s[6:7]
	v_mov_b32_e32 v20, s10
	s_xor_b64 exec, exec, s[6:7]
	s_cbranch_execnz .LBB28_3384
.LBB28_1334:
	s_or_b64 exec, exec, s[6:7]
	s_and_saveexec_b64 s[6:7], s[4:5]
	s_cbranch_execz .LBB28_1336
.LBB28_1335:
	v_bfe_u32 v14, v11, 16, 3
	v_ffbh_u32_e32 v22, v14
	v_min_u32_e32 v22, 32, v22
	v_lshrrev_b32_e32 v20, 19, v11
	v_subrev_u32_e32 v23, 28, v22
	v_and_b32_e32 v20, 15, v20
	v_lshlrev_b32_sdwa v23, v23, v11 dst_sel:DWORD dst_unused:UNUSED_PAD src0_sel:DWORD src1_sel:WORD_1
	v_bfe_u32 v21, v11, 19, 4
	v_sub_u32_e32 v22, 29, v22
	v_and_b32_e32 v23, 7, v23
	v_cmp_eq_u16_e32 vcc, 0, v20
	v_cndmask_b32_e32 v14, v14, v23, vcc
	v_cndmask_b32_e32 v20, v21, v22, vcc
	v_lshlrev_b32_e32 v21, 8, v11
	v_mov_b32_e32 v22, 0x3b800000
	v_lshlrev_b32_e32 v14, 20, v14
	v_and_b32_e32 v21, 0x80000000, v21
	v_lshl_add_u32 v20, v20, 23, v22
	v_or3_b32 v20, v21, v20, v14
.LBB28_1336:
	s_or_b64 exec, exec, s[6:7]
	s_nop 0
	v_mfma_f32_16x16x4f32 a[0:3], v10, v20, a[0:3]
	s_movk_i32 s4, 0x7f
	v_cmp_gt_i16_sdwa s[6:7], v15, s4 src0_sel:BYTE_3 src1_sel:DWORD
	s_mov_b64 s[4:5], 0
                                        ; implicit-def: $sgpr10
	s_and_saveexec_b64 s[8:9], s[6:7]
	s_xor_b64 s[6:7], exec, s[8:9]
	s_cbranch_execnz .LBB28_3385
; %bb.1337:
	s_or_saveexec_b64 s[6:7], s[6:7]
	v_mov_b32_e32 v10, s10
	s_xor_b64 exec, exec, s[6:7]
	s_cbranch_execnz .LBB28_3388
.LBB28_1338:
	s_or_b64 exec, exec, s[6:7]
	s_and_saveexec_b64 s[6:7], s[4:5]
	s_cbranch_execz .LBB28_1340
.LBB28_1339:
	v_bfe_u32 v10, v15, 24, 3
	v_ffbh_u32_e32 v22, v10
	v_min_u32_e32 v22, 32, v22
	v_lshrrev_b32_e32 v20, 27, v15
	v_subrev_u32_e32 v23, 28, v22
	v_and_b32_e32 v14, 0x80000000, v15
	v_and_b32_e32 v20, 15, v20
	v_bfe_u32 v21, v15, 27, 4
	v_lshlrev_b32_sdwa v15, v23, v15 dst_sel:DWORD dst_unused:UNUSED_PAD src0_sel:DWORD src1_sel:BYTE_3
	v_sub_u32_e32 v22, 29, v22
	v_and_b32_e32 v15, 7, v15
	v_cmp_eq_u16_e32 vcc, 0, v20
	v_cndmask_b32_e32 v10, v10, v15, vcc
	v_cndmask_b32_e32 v15, v21, v22, vcc
	v_mov_b32_e32 v20, 0x3b800000
	v_lshlrev_b32_e32 v10, 20, v10
	v_lshl_add_u32 v15, v15, 23, v20
	v_or3_b32 v10, v14, v15, v10
.LBB28_1340:
	s_or_b64 exec, exec, s[6:7]
	s_movk_i32 s4, 0x7f
	v_cmp_gt_i16_sdwa s[6:7], v11, s4 src0_sel:BYTE_3 src1_sel:DWORD
	s_mov_b64 s[4:5], 0
                                        ; implicit-def: $sgpr10
	s_and_saveexec_b64 s[8:9], s[6:7]
	s_xor_b64 s[6:7], exec, s[8:9]
	s_cbranch_execnz .LBB28_3389
; %bb.1341:
	s_or_saveexec_b64 s[6:7], s[6:7]
	v_mov_b32_e32 v14, s10
	s_xor_b64 exec, exec, s[6:7]
	s_cbranch_execnz .LBB28_3392
.LBB28_1342:
	s_or_b64 exec, exec, s[6:7]
	s_and_saveexec_b64 s[6:7], s[4:5]
	s_cbranch_execz .LBB28_1344
.LBB28_1343:
	v_bfe_u32 v14, v11, 24, 3
	v_ffbh_u32_e32 v22, v14
	v_min_u32_e32 v22, 32, v22
	v_lshrrev_b32_e32 v20, 27, v11
	v_subrev_u32_e32 v23, 28, v22
	v_and_b32_e32 v15, 0x80000000, v11
	v_and_b32_e32 v20, 15, v20
	v_bfe_u32 v21, v11, 27, 4
	v_lshlrev_b32_sdwa v11, v23, v11 dst_sel:DWORD dst_unused:UNUSED_PAD src0_sel:DWORD src1_sel:BYTE_3
	v_sub_u32_e32 v22, 29, v22
	v_and_b32_e32 v11, 7, v11
	v_cmp_eq_u16_e32 vcc, 0, v20
	v_cndmask_b32_e32 v11, v14, v11, vcc
	v_cndmask_b32_e32 v14, v21, v22, vcc
	v_mov_b32_e32 v20, 0x3b800000
	v_lshlrev_b32_e32 v11, 20, v11
	v_lshl_add_u32 v14, v14, 23, v20
	v_or3_b32 v14, v15, v14, v11
.LBB28_1344:
	s_or_b64 exec, exec, s[6:7]
	s_nop 0
	v_mfma_f32_16x16x4f32 a[0:3], v10, v14, a[0:3]
	s_movk_i32 s4, 0x7f
	v_cmp_gt_i16_sdwa s[6:7], v16, s4 src0_sel:BYTE_0 src1_sel:DWORD
	s_mov_b64 s[4:5], 0
                                        ; implicit-def: $sgpr10
	s_and_saveexec_b64 s[8:9], s[6:7]
	s_xor_b64 s[6:7], exec, s[8:9]
	s_cbranch_execnz .LBB28_3393
; %bb.1345:
	s_or_saveexec_b64 s[6:7], s[6:7]
	v_mov_b32_e32 v10, s10
	s_xor_b64 exec, exec, s[6:7]
	s_cbranch_execnz .LBB28_3396
.LBB28_1346:
	s_or_b64 exec, exec, s[6:7]
	s_and_saveexec_b64 s[6:7], s[4:5]
	s_cbranch_execz .LBB28_1348
.LBB28_1347:
	v_and_b32_e32 v10, 7, v16
	v_ffbh_u32_e32 v14, v10
	v_min_u32_e32 v14, 32, v14
	v_lshrrev_b16_e32 v11, 3, v16
	v_subrev_u32_e32 v15, 28, v14
	v_and_b32_e32 v11, 15, v11
	v_lshlrev_b32_e32 v15, v15, v16
	v_sub_u32_e32 v14, 29, v14
	v_and_b32_e32 v15, 7, v15
	v_cmp_eq_u16_e32 vcc, 0, v11
	v_cndmask_b32_e32 v10, v10, v15, vcc
	v_cndmask_b32_e32 v11, v11, v14, vcc
	v_lshlrev_b32_e32 v14, 24, v16
	v_mov_b32_e32 v15, 0x3b800000
	v_lshlrev_b32_e32 v10, 20, v10
	v_and_b32_e32 v14, 0x80000000, v14
	v_lshl_add_u32 v11, v11, 23, v15
	v_or3_b32 v10, v14, v11, v10
.LBB28_1348:
	s_or_b64 exec, exec, s[6:7]
	s_movk_i32 s4, 0x7f
	v_cmp_gt_i16_sdwa s[6:7], v12, s4 src0_sel:BYTE_0 src1_sel:DWORD
	s_mov_b64 s[4:5], 0
                                        ; implicit-def: $sgpr10
	s_and_saveexec_b64 s[8:9], s[6:7]
	s_xor_b64 s[6:7], exec, s[8:9]
	s_cbranch_execnz .LBB28_3397
; %bb.1349:
	s_or_saveexec_b64 s[6:7], s[6:7]
	v_mov_b32_e32 v11, s10
	s_xor_b64 exec, exec, s[6:7]
	s_cbranch_execnz .LBB28_3400
.LBB28_1350:
	s_or_b64 exec, exec, s[6:7]
	s_and_saveexec_b64 s[6:7], s[4:5]
	s_cbranch_execz .LBB28_1352
.LBB28_1351:
	v_and_b32_e32 v11, 7, v12
	v_ffbh_u32_e32 v15, v11
	v_min_u32_e32 v15, 32, v15
	v_lshrrev_b16_e32 v14, 3, v12
	v_subrev_u32_e32 v20, 28, v15
	v_and_b32_e32 v14, 15, v14
	v_lshlrev_b32_e32 v20, v20, v12
	v_sub_u32_e32 v15, 29, v15
	v_and_b32_e32 v20, 7, v20
	v_cmp_eq_u16_e32 vcc, 0, v14
	v_cndmask_b32_e32 v11, v11, v20, vcc
	v_cndmask_b32_e32 v14, v14, v15, vcc
	v_lshlrev_b32_e32 v15, 24, v12
	v_mov_b32_e32 v20, 0x3b800000
	v_lshlrev_b32_e32 v11, 20, v11
	v_and_b32_e32 v15, 0x80000000, v15
	v_lshl_add_u32 v14, v14, 23, v20
	v_or3_b32 v11, v15, v14, v11
.LBB28_1352:
	s_or_b64 exec, exec, s[6:7]
	s_nop 0
	v_mfma_f32_16x16x4f32 a[0:3], v10, v11, a[0:3]
	v_lshrrev_b32_e32 v11, 8, v16
	s_movk_i32 s4, 0x7f
	v_cmp_gt_i16_sdwa s[6:7], v11, s4 src0_sel:BYTE_0 src1_sel:DWORD
	s_mov_b64 s[4:5], 0
                                        ; implicit-def: $sgpr10
	s_and_saveexec_b64 s[8:9], s[6:7]
	s_xor_b64 s[6:7], exec, s[8:9]
	s_cbranch_execnz .LBB28_3401
; %bb.1353:
	s_or_saveexec_b64 s[6:7], s[6:7]
	v_mov_b32_e32 v10, s10
	s_xor_b64 exec, exec, s[6:7]
	s_cbranch_execnz .LBB28_3404
.LBB28_1354:
	s_or_b64 exec, exec, s[6:7]
	s_and_saveexec_b64 s[6:7], s[4:5]
	s_cbranch_execz .LBB28_1356
.LBB28_1355:
	v_bfe_u32 v10, v16, 8, 3
	v_ffbh_u32_e32 v15, v10
	v_min_u32_e32 v15, 32, v15
	v_lshrrev_b16_e32 v14, 3, v11
	v_subrev_u32_e32 v20, 28, v15
	v_and_b32_e32 v14, 15, v14
	v_lshlrev_b32_e32 v11, v20, v11
	v_sub_u32_e32 v15, 29, v15
	v_and_b32_e32 v11, 7, v11
	v_cmp_eq_u16_e32 vcc, 0, v14
	v_cndmask_b32_e32 v10, v10, v11, vcc
	v_cndmask_b32_e32 v11, v14, v15, vcc
	v_lshlrev_b32_e32 v14, 16, v16
	v_mov_b32_e32 v15, 0x3b800000
	v_lshlrev_b32_e32 v10, 20, v10
	v_and_b32_e32 v14, 0x80000000, v14
	v_lshl_add_u32 v11, v11, 23, v15
	v_or3_b32 v10, v14, v11, v10
.LBB28_1356:
	s_or_b64 exec, exec, s[6:7]
	v_lshrrev_b32_e32 v11, 8, v12
	s_movk_i32 s4, 0x7f
	v_cmp_gt_i16_sdwa s[6:7], v11, s4 src0_sel:BYTE_0 src1_sel:DWORD
	s_mov_b64 s[4:5], 0
                                        ; implicit-def: $sgpr10
	s_and_saveexec_b64 s[8:9], s[6:7]
	s_xor_b64 s[6:7], exec, s[8:9]
	s_cbranch_execnz .LBB28_3405
; %bb.1357:
	s_or_saveexec_b64 s[6:7], s[6:7]
	v_mov_b32_e32 v14, s10
	s_xor_b64 exec, exec, s[6:7]
	s_cbranch_execnz .LBB28_3408
.LBB28_1358:
	s_or_b64 exec, exec, s[6:7]
	s_and_saveexec_b64 s[6:7], s[4:5]
	s_cbranch_execz .LBB28_1360
.LBB28_1359:
	v_bfe_u32 v14, v12, 8, 3
	v_ffbh_u32_e32 v20, v14
	v_min_u32_e32 v20, 32, v20
	v_lshrrev_b16_e32 v15, 3, v11
	v_subrev_u32_e32 v21, 28, v20
	v_and_b32_e32 v15, 15, v15
	v_lshlrev_b32_e32 v11, v21, v11
	v_sub_u32_e32 v20, 29, v20
	v_and_b32_e32 v11, 7, v11
	v_cmp_eq_u16_e32 vcc, 0, v15
	v_cndmask_b32_e32 v11, v14, v11, vcc
	v_cndmask_b32_e32 v14, v15, v20, vcc
	v_lshlrev_b32_e32 v15, 16, v12
	v_mov_b32_e32 v20, 0x3b800000
	v_lshlrev_b32_e32 v11, 20, v11
	v_and_b32_e32 v15, 0x80000000, v15
	v_lshl_add_u32 v14, v14, 23, v20
	v_or3_b32 v14, v15, v14, v11
.LBB28_1360:
	s_or_b64 exec, exec, s[6:7]
	s_nop 0
	v_mfma_f32_16x16x4f32 a[0:3], v10, v14, a[0:3]
	s_movk_i32 s4, 0xff
	v_and_b32_sdwa v11, v16, s4 dst_sel:DWORD dst_unused:UNUSED_PAD src0_sel:WORD_1 src1_sel:DWORD
	s_movk_i32 s4, 0x7f
	v_cmp_lt_i16_e32 vcc, s4, v11
	s_mov_b64 s[4:5], 0
                                        ; implicit-def: $sgpr10
	s_and_saveexec_b64 s[6:7], vcc
	s_xor_b64 s[6:7], exec, s[6:7]
	s_cbranch_execnz .LBB28_3409
; %bb.1361:
	s_or_saveexec_b64 s[6:7], s[6:7]
	v_mov_b32_e32 v10, s10
	s_xor_b64 exec, exec, s[6:7]
	s_cbranch_execnz .LBB28_3412
.LBB28_1362:
	s_or_b64 exec, exec, s[6:7]
	s_and_saveexec_b64 s[6:7], s[4:5]
	s_cbranch_execz .LBB28_1364
.LBB28_1363:
	v_bfe_u32 v10, v16, 16, 3
	v_ffbh_u32_e32 v15, v10
	v_min_u32_e32 v15, 32, v15
	v_lshrrev_b32_e32 v11, 19, v16
	v_subrev_u32_e32 v20, 28, v15
	v_and_b32_e32 v11, 15, v11
	v_lshlrev_b32_sdwa v20, v20, v16 dst_sel:DWORD dst_unused:UNUSED_PAD src0_sel:DWORD src1_sel:WORD_1
	v_bfe_u32 v14, v16, 19, 4
	v_sub_u32_e32 v15, 29, v15
	v_and_b32_e32 v20, 7, v20
	v_cmp_eq_u16_e32 vcc, 0, v11
	v_cndmask_b32_e32 v10, v10, v20, vcc
	v_cndmask_b32_e32 v11, v14, v15, vcc
	v_lshlrev_b32_e32 v14, 8, v16
	v_mov_b32_e32 v15, 0x3b800000
	v_lshlrev_b32_e32 v10, 20, v10
	v_and_b32_e32 v14, 0x80000000, v14
	v_lshl_add_u32 v11, v11, 23, v15
	v_or3_b32 v10, v14, v11, v10
.LBB28_1364:
	s_or_b64 exec, exec, s[6:7]
	s_movk_i32 s4, 0xff
	v_and_b32_sdwa v11, v12, s4 dst_sel:DWORD dst_unused:UNUSED_PAD src0_sel:WORD_1 src1_sel:DWORD
	s_movk_i32 s4, 0x7f
	v_cmp_lt_i16_e32 vcc, s4, v11
	s_mov_b64 s[4:5], 0
                                        ; implicit-def: $sgpr10
	s_and_saveexec_b64 s[6:7], vcc
	s_xor_b64 s[6:7], exec, s[6:7]
	s_cbranch_execnz .LBB28_3413
; %bb.1365:
	s_or_saveexec_b64 s[6:7], s[6:7]
	v_mov_b32_e32 v14, s10
	s_xor_b64 exec, exec, s[6:7]
	s_cbranch_execnz .LBB28_3416
.LBB28_1366:
	s_or_b64 exec, exec, s[6:7]
	s_and_saveexec_b64 s[6:7], s[4:5]
	s_cbranch_execz .LBB28_1368
.LBB28_1367:
	v_bfe_u32 v11, v12, 16, 3
	v_ffbh_u32_e32 v20, v11
	v_min_u32_e32 v20, 32, v20
	v_lshrrev_b32_e32 v14, 19, v12
	v_subrev_u32_e32 v21, 28, v20
	v_and_b32_e32 v14, 15, v14
	v_lshlrev_b32_sdwa v21, v21, v12 dst_sel:DWORD dst_unused:UNUSED_PAD src0_sel:DWORD src1_sel:WORD_1
	v_bfe_u32 v15, v12, 19, 4
	v_sub_u32_e32 v20, 29, v20
	v_and_b32_e32 v21, 7, v21
	v_cmp_eq_u16_e32 vcc, 0, v14
	v_cndmask_b32_e32 v11, v11, v21, vcc
	v_cndmask_b32_e32 v14, v15, v20, vcc
	v_lshlrev_b32_e32 v15, 8, v12
	v_mov_b32_e32 v20, 0x3b800000
	v_lshlrev_b32_e32 v11, 20, v11
	v_and_b32_e32 v15, 0x80000000, v15
	v_lshl_add_u32 v14, v14, 23, v20
	v_or3_b32 v14, v15, v14, v11
.LBB28_1368:
	s_or_b64 exec, exec, s[6:7]
	s_nop 0
	v_mfma_f32_16x16x4f32 a[0:3], v10, v14, a[0:3]
	s_movk_i32 s4, 0x7f
	v_cmp_gt_i16_sdwa s[6:7], v16, s4 src0_sel:BYTE_3 src1_sel:DWORD
	s_mov_b64 s[4:5], 0
                                        ; implicit-def: $sgpr10
	s_and_saveexec_b64 s[8:9], s[6:7]
	s_xor_b64 s[6:7], exec, s[8:9]
	s_cbranch_execnz .LBB28_3417
; %bb.1369:
	s_or_saveexec_b64 s[6:7], s[6:7]
	v_mov_b32_e32 v10, s10
	s_xor_b64 exec, exec, s[6:7]
	s_cbranch_execnz .LBB28_3420
.LBB28_1370:
	s_or_b64 exec, exec, s[6:7]
	s_and_saveexec_b64 s[6:7], s[4:5]
	s_cbranch_execz .LBB28_1372
.LBB28_1371:
	v_bfe_u32 v10, v16, 24, 3
	v_ffbh_u32_e32 v20, v10
	v_min_u32_e32 v20, 32, v20
	v_lshrrev_b32_e32 v14, 27, v16
	v_subrev_u32_e32 v21, 28, v20
	v_and_b32_e32 v11, 0x80000000, v16
	v_and_b32_e32 v14, 15, v14
	v_bfe_u32 v15, v16, 27, 4
	v_lshlrev_b32_sdwa v16, v21, v16 dst_sel:DWORD dst_unused:UNUSED_PAD src0_sel:DWORD src1_sel:BYTE_3
	v_sub_u32_e32 v20, 29, v20
	v_and_b32_e32 v16, 7, v16
	v_cmp_eq_u16_e32 vcc, 0, v14
	v_cndmask_b32_e32 v10, v10, v16, vcc
	v_cndmask_b32_e32 v14, v15, v20, vcc
	v_mov_b32_e32 v15, 0x3b800000
	v_lshlrev_b32_e32 v10, 20, v10
	v_lshl_add_u32 v14, v14, 23, v15
	v_or3_b32 v10, v11, v14, v10
.LBB28_1372:
	s_or_b64 exec, exec, s[6:7]
	s_movk_i32 s4, 0x7f
	v_cmp_gt_i16_sdwa s[6:7], v12, s4 src0_sel:BYTE_3 src1_sel:DWORD
	s_mov_b64 s[4:5], 0
                                        ; implicit-def: $sgpr10
	s_and_saveexec_b64 s[8:9], s[6:7]
	s_xor_b64 s[6:7], exec, s[8:9]
	s_cbranch_execnz .LBB28_3421
; %bb.1373:
	s_or_saveexec_b64 s[6:7], s[6:7]
	v_mov_b32_e32 v11, s10
	s_xor_b64 exec, exec, s[6:7]
	s_cbranch_execnz .LBB28_3424
.LBB28_1374:
	s_or_b64 exec, exec, s[6:7]
	s_and_saveexec_b64 s[6:7], s[4:5]
	s_cbranch_execz .LBB28_1376
.LBB28_1375:
	v_bfe_u32 v11, v12, 24, 3
	v_ffbh_u32_e32 v20, v11
	v_min_u32_e32 v20, 32, v20
	v_lshrrev_b32_e32 v15, 27, v12
	v_subrev_u32_e32 v21, 28, v20
	v_and_b32_e32 v14, 0x80000000, v12
	v_and_b32_e32 v15, 15, v15
	v_bfe_u32 v16, v12, 27, 4
	v_lshlrev_b32_sdwa v12, v21, v12 dst_sel:DWORD dst_unused:UNUSED_PAD src0_sel:DWORD src1_sel:BYTE_3
	v_sub_u32_e32 v20, 29, v20
	v_and_b32_e32 v12, 7, v12
	v_cmp_eq_u16_e32 vcc, 0, v15
	v_cndmask_b32_e32 v11, v11, v12, vcc
	v_cndmask_b32_e32 v12, v16, v20, vcc
	v_mov_b32_e32 v15, 0x3b800000
	v_lshlrev_b32_e32 v11, 20, v11
	v_lshl_add_u32 v12, v12, 23, v15
	v_or3_b32 v11, v14, v12, v11
.LBB28_1376:
	s_or_b64 exec, exec, s[6:7]
	s_nop 0
	v_mfma_f32_16x16x4f32 a[0:3], v10, v11, a[0:3]
	s_movk_i32 s4, 0x7f
	v_cmp_gt_i16_sdwa s[6:7], v17, s4 src0_sel:BYTE_0 src1_sel:DWORD
	s_mov_b64 s[4:5], 0
                                        ; implicit-def: $sgpr10
	s_and_saveexec_b64 s[8:9], s[6:7]
	s_xor_b64 s[6:7], exec, s[8:9]
	s_cbranch_execnz .LBB28_3425
; %bb.1377:
	s_or_saveexec_b64 s[6:7], s[6:7]
	v_mov_b32_e32 v10, s10
	s_xor_b64 exec, exec, s[6:7]
	s_cbranch_execnz .LBB28_3428
.LBB28_1378:
	s_or_b64 exec, exec, s[6:7]
	s_and_saveexec_b64 s[6:7], s[4:5]
	s_cbranch_execz .LBB28_1380
.LBB28_1379:
	v_and_b32_e32 v10, 7, v17
	v_ffbh_u32_e32 v12, v10
	v_min_u32_e32 v12, 32, v12
	v_lshrrev_b16_e32 v11, 3, v17
	v_subrev_u32_e32 v14, 28, v12
	v_and_b32_e32 v11, 15, v11
	v_lshlrev_b32_e32 v14, v14, v17
	v_sub_u32_e32 v12, 29, v12
	v_and_b32_e32 v14, 7, v14
	v_cmp_eq_u16_e32 vcc, 0, v11
	v_cndmask_b32_e32 v10, v10, v14, vcc
	v_cndmask_b32_e32 v11, v11, v12, vcc
	v_lshlrev_b32_e32 v12, 24, v17
	v_mov_b32_e32 v14, 0x3b800000
	v_lshlrev_b32_e32 v10, 20, v10
	v_and_b32_e32 v12, 0x80000000, v12
	v_lshl_add_u32 v11, v11, 23, v14
	v_or3_b32 v10, v12, v11, v10
.LBB28_1380:
	s_or_b64 exec, exec, s[6:7]
	s_movk_i32 s4, 0x7f
	v_cmp_gt_i16_sdwa s[6:7], v13, s4 src0_sel:BYTE_0 src1_sel:DWORD
	s_mov_b64 s[4:5], 0
                                        ; implicit-def: $sgpr10
	s_and_saveexec_b64 s[8:9], s[6:7]
	s_xor_b64 s[6:7], exec, s[8:9]
	s_cbranch_execnz .LBB28_3429
; %bb.1381:
	s_or_saveexec_b64 s[6:7], s[6:7]
	v_mov_b32_e32 v11, s10
	s_xor_b64 exec, exec, s[6:7]
	s_cbranch_execnz .LBB28_3432
.LBB28_1382:
	s_or_b64 exec, exec, s[6:7]
	s_and_saveexec_b64 s[6:7], s[4:5]
	s_cbranch_execz .LBB28_1384
.LBB28_1383:
	v_and_b32_e32 v11, 7, v13
	v_ffbh_u32_e32 v14, v11
	v_min_u32_e32 v14, 32, v14
	v_lshrrev_b16_e32 v12, 3, v13
	v_subrev_u32_e32 v15, 28, v14
	v_and_b32_e32 v12, 15, v12
	v_lshlrev_b32_e32 v15, v15, v13
	v_sub_u32_e32 v14, 29, v14
	v_and_b32_e32 v15, 7, v15
	v_cmp_eq_u16_e32 vcc, 0, v12
	v_cndmask_b32_e32 v11, v11, v15, vcc
	v_cndmask_b32_e32 v12, v12, v14, vcc
	v_lshlrev_b32_e32 v14, 24, v13
	v_mov_b32_e32 v15, 0x3b800000
	v_lshlrev_b32_e32 v11, 20, v11
	v_and_b32_e32 v14, 0x80000000, v14
	v_lshl_add_u32 v12, v12, 23, v15
	v_or3_b32 v11, v14, v12, v11
.LBB28_1384:
	s_or_b64 exec, exec, s[6:7]
	s_nop 0
	v_mfma_f32_16x16x4f32 a[0:3], v10, v11, a[0:3]
	v_lshrrev_b32_e32 v11, 8, v17
	s_movk_i32 s4, 0x7f
	v_cmp_gt_i16_sdwa s[6:7], v11, s4 src0_sel:BYTE_0 src1_sel:DWORD
	s_mov_b64 s[4:5], 0
                                        ; implicit-def: $sgpr10
	s_and_saveexec_b64 s[8:9], s[6:7]
	s_xor_b64 s[6:7], exec, s[8:9]
	s_cbranch_execnz .LBB28_3433
; %bb.1385:
	s_or_saveexec_b64 s[6:7], s[6:7]
	v_mov_b32_e32 v10, s10
	s_xor_b64 exec, exec, s[6:7]
	s_cbranch_execnz .LBB28_3436
.LBB28_1386:
	s_or_b64 exec, exec, s[6:7]
	s_and_saveexec_b64 s[6:7], s[4:5]
	s_cbranch_execz .LBB28_1388
.LBB28_1387:
	v_bfe_u32 v10, v17, 8, 3
	v_ffbh_u32_e32 v14, v10
	v_min_u32_e32 v14, 32, v14
	v_lshrrev_b16_e32 v12, 3, v11
	v_subrev_u32_e32 v15, 28, v14
	v_and_b32_e32 v12, 15, v12
	v_lshlrev_b32_e32 v11, v15, v11
	v_sub_u32_e32 v14, 29, v14
	v_and_b32_e32 v11, 7, v11
	v_cmp_eq_u16_e32 vcc, 0, v12
	v_cndmask_b32_e32 v10, v10, v11, vcc
	v_cndmask_b32_e32 v11, v12, v14, vcc
	v_lshlrev_b32_e32 v12, 16, v17
	v_mov_b32_e32 v14, 0x3b800000
	v_lshlrev_b32_e32 v10, 20, v10
	v_and_b32_e32 v12, 0x80000000, v12
	v_lshl_add_u32 v11, v11, 23, v14
	v_or3_b32 v10, v12, v11, v10
.LBB28_1388:
	s_or_b64 exec, exec, s[6:7]
	v_lshrrev_b32_e32 v11, 8, v13
	s_movk_i32 s4, 0x7f
	v_cmp_gt_i16_sdwa s[6:7], v11, s4 src0_sel:BYTE_0 src1_sel:DWORD
	s_mov_b64 s[4:5], 0
                                        ; implicit-def: $sgpr10
	s_and_saveexec_b64 s[8:9], s[6:7]
	s_xor_b64 s[6:7], exec, s[8:9]
	s_cbranch_execnz .LBB28_3437
; %bb.1389:
	s_or_saveexec_b64 s[6:7], s[6:7]
	v_mov_b32_e32 v12, s10
	s_xor_b64 exec, exec, s[6:7]
	s_cbranch_execnz .LBB28_3440
.LBB28_1390:
	s_or_b64 exec, exec, s[6:7]
	s_and_saveexec_b64 s[6:7], s[4:5]
	s_cbranch_execz .LBB28_1392
.LBB28_1391:
	v_bfe_u32 v12, v13, 8, 3
	v_ffbh_u32_e32 v15, v12
	v_min_u32_e32 v15, 32, v15
	v_lshrrev_b16_e32 v14, 3, v11
	v_subrev_u32_e32 v16, 28, v15
	v_and_b32_e32 v14, 15, v14
	v_lshlrev_b32_e32 v11, v16, v11
	v_sub_u32_e32 v15, 29, v15
	v_and_b32_e32 v11, 7, v11
	v_cmp_eq_u16_e32 vcc, 0, v14
	v_cndmask_b32_e32 v11, v12, v11, vcc
	v_cndmask_b32_e32 v12, v14, v15, vcc
	v_lshlrev_b32_e32 v14, 16, v13
	v_mov_b32_e32 v15, 0x3b800000
	v_lshlrev_b32_e32 v11, 20, v11
	v_and_b32_e32 v14, 0x80000000, v14
	v_lshl_add_u32 v12, v12, 23, v15
	v_or3_b32 v12, v14, v12, v11
.LBB28_1392:
	s_or_b64 exec, exec, s[6:7]
	s_nop 0
	v_mfma_f32_16x16x4f32 a[0:3], v10, v12, a[0:3]
	s_movk_i32 s4, 0xff
	v_and_b32_sdwa v11, v17, s4 dst_sel:DWORD dst_unused:UNUSED_PAD src0_sel:WORD_1 src1_sel:DWORD
	s_movk_i32 s4, 0x7f
	v_cmp_lt_i16_e32 vcc, s4, v11
	s_mov_b64 s[4:5], 0
                                        ; implicit-def: $sgpr10
	s_and_saveexec_b64 s[6:7], vcc
	s_xor_b64 s[6:7], exec, s[6:7]
	s_cbranch_execnz .LBB28_3441
; %bb.1393:
	s_or_saveexec_b64 s[6:7], s[6:7]
	v_mov_b32_e32 v10, s10
	s_xor_b64 exec, exec, s[6:7]
	s_cbranch_execnz .LBB28_3444
.LBB28_1394:
	s_or_b64 exec, exec, s[6:7]
	s_and_saveexec_b64 s[6:7], s[4:5]
	s_cbranch_execz .LBB28_1396
.LBB28_1395:
	v_bfe_u32 v10, v17, 16, 3
	v_ffbh_u32_e32 v14, v10
	v_min_u32_e32 v14, 32, v14
	v_lshrrev_b32_e32 v11, 19, v17
	v_subrev_u32_e32 v15, 28, v14
	v_and_b32_e32 v11, 15, v11
	v_lshlrev_b32_sdwa v15, v15, v17 dst_sel:DWORD dst_unused:UNUSED_PAD src0_sel:DWORD src1_sel:WORD_1
	v_bfe_u32 v12, v17, 19, 4
	v_sub_u32_e32 v14, 29, v14
	v_and_b32_e32 v15, 7, v15
	v_cmp_eq_u16_e32 vcc, 0, v11
	v_cndmask_b32_e32 v10, v10, v15, vcc
	v_cndmask_b32_e32 v11, v12, v14, vcc
	v_lshlrev_b32_e32 v12, 8, v17
	v_mov_b32_e32 v14, 0x3b800000
	v_lshlrev_b32_e32 v10, 20, v10
	v_and_b32_e32 v12, 0x80000000, v12
	v_lshl_add_u32 v11, v11, 23, v14
	v_or3_b32 v10, v12, v11, v10
.LBB28_1396:
	s_or_b64 exec, exec, s[6:7]
	s_movk_i32 s4, 0xff
	v_and_b32_sdwa v11, v13, s4 dst_sel:DWORD dst_unused:UNUSED_PAD src0_sel:WORD_1 src1_sel:DWORD
	s_movk_i32 s4, 0x7f
	v_cmp_lt_i16_e32 vcc, s4, v11
	s_mov_b64 s[4:5], 0
                                        ; implicit-def: $sgpr10
	s_and_saveexec_b64 s[6:7], vcc
	s_xor_b64 s[6:7], exec, s[6:7]
	s_cbranch_execnz .LBB28_3445
; %bb.1397:
	s_or_saveexec_b64 s[6:7], s[6:7]
	v_mov_b32_e32 v12, s10
	s_xor_b64 exec, exec, s[6:7]
	s_cbranch_execnz .LBB28_3448
.LBB28_1398:
	s_or_b64 exec, exec, s[6:7]
	s_and_saveexec_b64 s[6:7], s[4:5]
	s_cbranch_execz .LBB28_1400
.LBB28_1399:
	v_bfe_u32 v11, v13, 16, 3
	v_ffbh_u32_e32 v15, v11
	v_min_u32_e32 v15, 32, v15
	v_lshrrev_b32_e32 v12, 19, v13
	v_subrev_u32_e32 v16, 28, v15
	v_and_b32_e32 v12, 15, v12
	v_lshlrev_b32_sdwa v16, v16, v13 dst_sel:DWORD dst_unused:UNUSED_PAD src0_sel:DWORD src1_sel:WORD_1
	v_bfe_u32 v14, v13, 19, 4
	v_sub_u32_e32 v15, 29, v15
	v_and_b32_e32 v16, 7, v16
	v_cmp_eq_u16_e32 vcc, 0, v12
	v_cndmask_b32_e32 v11, v11, v16, vcc
	v_cndmask_b32_e32 v12, v14, v15, vcc
	v_lshlrev_b32_e32 v14, 8, v13
	v_mov_b32_e32 v15, 0x3b800000
	v_lshlrev_b32_e32 v11, 20, v11
	v_and_b32_e32 v14, 0x80000000, v14
	v_lshl_add_u32 v12, v12, 23, v15
	v_or3_b32 v12, v14, v12, v11
.LBB28_1400:
	s_or_b64 exec, exec, s[6:7]
	s_nop 0
	v_mfma_f32_16x16x4f32 a[0:3], v10, v12, a[0:3]
	s_movk_i32 s4, 0x7f
	v_cmp_gt_i16_sdwa s[6:7], v17, s4 src0_sel:BYTE_3 src1_sel:DWORD
	s_mov_b64 s[4:5], 0
                                        ; implicit-def: $sgpr10
	s_and_saveexec_b64 s[8:9], s[6:7]
	s_xor_b64 s[6:7], exec, s[8:9]
	s_cbranch_execnz .LBB28_3449
; %bb.1401:
	s_or_saveexec_b64 s[6:7], s[6:7]
	v_mov_b32_e32 v10, s10
	s_xor_b64 exec, exec, s[6:7]
	s_cbranch_execnz .LBB28_3452
.LBB28_1402:
	s_or_b64 exec, exec, s[6:7]
	s_and_saveexec_b64 s[6:7], s[4:5]
	s_cbranch_execz .LBB28_1404
.LBB28_1403:
	v_bfe_u32 v10, v17, 24, 3
	v_ffbh_u32_e32 v15, v10
	v_min_u32_e32 v15, 32, v15
	v_lshrrev_b32_e32 v12, 27, v17
	v_subrev_u32_e32 v16, 28, v15
	v_and_b32_e32 v12, 15, v12
	v_lshlrev_b32_sdwa v16, v16, v17 dst_sel:DWORD dst_unused:UNUSED_PAD src0_sel:DWORD src1_sel:BYTE_3
	v_bfe_u32 v14, v17, 27, 4
	v_sub_u32_e32 v15, 29, v15
	v_and_b32_e32 v16, 7, v16
	v_cmp_eq_u16_e32 vcc, 0, v12
	v_cndmask_b32_e32 v10, v10, v16, vcc
	v_cndmask_b32_e32 v12, v14, v15, vcc
	v_mov_b32_e32 v14, 0x3b800000
	v_and_b32_e32 v11, 0x80000000, v17
	v_lshlrev_b32_e32 v10, 20, v10
	v_lshl_add_u32 v12, v12, 23, v14
	v_or3_b32 v10, v11, v12, v10
.LBB28_1404:
	s_or_b64 exec, exec, s[6:7]
	s_movk_i32 s4, 0x7f
	v_cmp_gt_i16_sdwa s[6:7], v13, s4 src0_sel:BYTE_3 src1_sel:DWORD
	s_mov_b64 s[4:5], 0
                                        ; implicit-def: $sgpr10
	s_and_saveexec_b64 s[8:9], s[6:7]
	s_xor_b64 s[6:7], exec, s[8:9]
	s_cbranch_execnz .LBB28_3453
; %bb.1405:
	s_or_saveexec_b64 s[6:7], s[6:7]
	v_mov_b32_e32 v11, s10
	s_xor_b64 exec, exec, s[6:7]
	s_cbranch_execnz .LBB28_3456
.LBB28_1406:
	s_or_b64 exec, exec, s[6:7]
	s_and_saveexec_b64 s[6:7], s[4:5]
	s_cbranch_execz .LBB28_1408
.LBB28_1407:
	v_bfe_u32 v11, v13, 24, 3
	v_ffbh_u32_e32 v16, v11
	v_min_u32_e32 v16, 32, v16
	v_lshrrev_b32_e32 v14, 27, v13
	v_subrev_u32_e32 v17, 28, v16
	v_and_b32_e32 v12, 0x80000000, v13
	v_and_b32_e32 v14, 15, v14
	v_bfe_u32 v15, v13, 27, 4
	v_lshlrev_b32_sdwa v13, v17, v13 dst_sel:DWORD dst_unused:UNUSED_PAD src0_sel:DWORD src1_sel:BYTE_3
	v_sub_u32_e32 v16, 29, v16
	v_and_b32_e32 v13, 7, v13
	v_cmp_eq_u16_e32 vcc, 0, v14
	v_cndmask_b32_e32 v11, v11, v13, vcc
	v_cndmask_b32_e32 v13, v15, v16, vcc
	v_mov_b32_e32 v14, 0x3b800000
	v_lshlrev_b32_e32 v11, 20, v11
	v_lshl_add_u32 v13, v13, 23, v14
	v_or3_b32 v11, v12, v13, v11
.LBB28_1408:
	s_or_b64 exec, exec, s[6:7]
	s_nop 0
	v_mfma_f32_16x16x4f32 a[0:3], v10, v11, a[0:3]
	s_movk_i32 s4, 0x7f
	v_cmp_gt_i16_sdwa s[6:7], v6, s4 src0_sel:BYTE_0 src1_sel:DWORD
	s_mov_b64 s[4:5], 0
                                        ; implicit-def: $sgpr10
	s_and_saveexec_b64 s[8:9], s[6:7]
	s_xor_b64 s[6:7], exec, s[8:9]
	s_cbranch_execnz .LBB28_3457
; %bb.1409:
	s_or_saveexec_b64 s[6:7], s[6:7]
	v_mov_b32_e32 v10, s10
	s_xor_b64 exec, exec, s[6:7]
	s_cbranch_execnz .LBB28_3460
.LBB28_1410:
	s_or_b64 exec, exec, s[6:7]
	s_and_saveexec_b64 s[6:7], s[4:5]
	s_cbranch_execz .LBB28_1412
.LBB28_1411:
	v_and_b32_e32 v10, 7, v6
	v_ffbh_u32_e32 v12, v10
	v_min_u32_e32 v12, 32, v12
	v_lshrrev_b16_e32 v11, 3, v6
	v_subrev_u32_e32 v13, 28, v12
	v_and_b32_e32 v11, 15, v11
	v_lshlrev_b32_e32 v13, v13, v6
	v_sub_u32_e32 v12, 29, v12
	v_and_b32_e32 v13, 7, v13
	v_cmp_eq_u16_e32 vcc, 0, v11
	v_cndmask_b32_e32 v10, v10, v13, vcc
	v_cndmask_b32_e32 v11, v11, v12, vcc
	v_lshlrev_b32_e32 v12, 24, v6
	v_mov_b32_e32 v13, 0x3b800000
	v_lshlrev_b32_e32 v10, 20, v10
	v_and_b32_e32 v12, 0x80000000, v12
	v_lshl_add_u32 v11, v11, 23, v13
	v_or3_b32 v10, v12, v11, v10
.LBB28_1412:
	s_or_b64 exec, exec, s[6:7]
	s_movk_i32 s4, 0x7f
	v_cmp_gt_i16_sdwa s[6:7], v2, s4 src0_sel:BYTE_0 src1_sel:DWORD
	s_mov_b64 s[4:5], 0
                                        ; implicit-def: $sgpr10
	s_and_saveexec_b64 s[8:9], s[6:7]
	s_xor_b64 s[6:7], exec, s[8:9]
	s_cbranch_execnz .LBB28_3461
; %bb.1413:
	s_or_saveexec_b64 s[6:7], s[6:7]
	v_mov_b32_e32 v11, s10
	s_xor_b64 exec, exec, s[6:7]
	s_cbranch_execnz .LBB28_3464
.LBB28_1414:
	s_or_b64 exec, exec, s[6:7]
	s_and_saveexec_b64 s[6:7], s[4:5]
	s_cbranch_execz .LBB28_1416
.LBB28_1415:
	v_and_b32_e32 v11, 7, v2
	v_ffbh_u32_e32 v13, v11
	v_min_u32_e32 v13, 32, v13
	v_lshrrev_b16_e32 v12, 3, v2
	v_subrev_u32_e32 v14, 28, v13
	v_and_b32_e32 v12, 15, v12
	v_lshlrev_b32_e32 v14, v14, v2
	v_sub_u32_e32 v13, 29, v13
	v_and_b32_e32 v14, 7, v14
	v_cmp_eq_u16_e32 vcc, 0, v12
	v_cndmask_b32_e32 v11, v11, v14, vcc
	v_cndmask_b32_e32 v12, v12, v13, vcc
	v_lshlrev_b32_e32 v13, 24, v2
	v_mov_b32_e32 v14, 0x3b800000
	v_lshlrev_b32_e32 v11, 20, v11
	v_and_b32_e32 v13, 0x80000000, v13
	v_lshl_add_u32 v12, v12, 23, v14
	v_or3_b32 v11, v13, v12, v11
.LBB28_1416:
	s_or_b64 exec, exec, s[6:7]
	s_nop 0
	v_mfma_f32_16x16x4f32 a[0:3], v10, v11, a[0:3]
	v_lshrrev_b32_e32 v11, 8, v6
	s_movk_i32 s4, 0x7f
	v_cmp_gt_i16_sdwa s[6:7], v11, s4 src0_sel:BYTE_0 src1_sel:DWORD
	s_mov_b64 s[4:5], 0
                                        ; implicit-def: $sgpr10
	s_and_saveexec_b64 s[8:9], s[6:7]
	s_xor_b64 s[6:7], exec, s[8:9]
	s_cbranch_execnz .LBB28_3465
; %bb.1417:
	s_or_saveexec_b64 s[6:7], s[6:7]
	v_mov_b32_e32 v10, s10
	s_xor_b64 exec, exec, s[6:7]
	s_cbranch_execnz .LBB28_3468
.LBB28_1418:
	s_or_b64 exec, exec, s[6:7]
	s_and_saveexec_b64 s[6:7], s[4:5]
	s_cbranch_execz .LBB28_1420
.LBB28_1419:
	v_bfe_u32 v10, v6, 8, 3
	v_ffbh_u32_e32 v13, v10
	v_min_u32_e32 v13, 32, v13
	v_lshrrev_b16_e32 v12, 3, v11
	v_subrev_u32_e32 v14, 28, v13
	v_and_b32_e32 v12, 15, v12
	v_lshlrev_b32_e32 v11, v14, v11
	v_sub_u32_e32 v13, 29, v13
	v_and_b32_e32 v11, 7, v11
	v_cmp_eq_u16_e32 vcc, 0, v12
	v_cndmask_b32_e32 v10, v10, v11, vcc
	v_cndmask_b32_e32 v11, v12, v13, vcc
	v_lshlrev_b32_e32 v12, 16, v6
	v_mov_b32_e32 v13, 0x3b800000
	v_lshlrev_b32_e32 v10, 20, v10
	v_and_b32_e32 v12, 0x80000000, v12
	v_lshl_add_u32 v11, v11, 23, v13
	v_or3_b32 v10, v12, v11, v10
.LBB28_1420:
	s_or_b64 exec, exec, s[6:7]
	v_lshrrev_b32_e32 v11, 8, v2
	s_movk_i32 s4, 0x7f
	v_cmp_gt_i16_sdwa s[6:7], v11, s4 src0_sel:BYTE_0 src1_sel:DWORD
	s_mov_b64 s[4:5], 0
                                        ; implicit-def: $sgpr10
	s_and_saveexec_b64 s[8:9], s[6:7]
	s_xor_b64 s[6:7], exec, s[8:9]
	s_cbranch_execnz .LBB28_3469
; %bb.1421:
	s_or_saveexec_b64 s[6:7], s[6:7]
	v_mov_b32_e32 v12, s10
	s_xor_b64 exec, exec, s[6:7]
	s_cbranch_execnz .LBB28_3472
.LBB28_1422:
	s_or_b64 exec, exec, s[6:7]
	s_and_saveexec_b64 s[6:7], s[4:5]
	s_cbranch_execz .LBB28_1424
.LBB28_1423:
	v_bfe_u32 v12, v2, 8, 3
	v_ffbh_u32_e32 v14, v12
	v_min_u32_e32 v14, 32, v14
	v_lshrrev_b16_e32 v13, 3, v11
	v_subrev_u32_e32 v15, 28, v14
	v_and_b32_e32 v13, 15, v13
	v_lshlrev_b32_e32 v11, v15, v11
	v_sub_u32_e32 v14, 29, v14
	v_and_b32_e32 v11, 7, v11
	v_cmp_eq_u16_e32 vcc, 0, v13
	v_cndmask_b32_e32 v11, v12, v11, vcc
	v_cndmask_b32_e32 v12, v13, v14, vcc
	v_lshlrev_b32_e32 v13, 16, v2
	v_mov_b32_e32 v14, 0x3b800000
	v_lshlrev_b32_e32 v11, 20, v11
	v_and_b32_e32 v13, 0x80000000, v13
	v_lshl_add_u32 v12, v12, 23, v14
	v_or3_b32 v12, v13, v12, v11
.LBB28_1424:
	s_or_b64 exec, exec, s[6:7]
	s_nop 0
	v_mfma_f32_16x16x4f32 a[0:3], v10, v12, a[0:3]
	s_movk_i32 s4, 0xff
	v_and_b32_sdwa v11, v6, s4 dst_sel:DWORD dst_unused:UNUSED_PAD src0_sel:WORD_1 src1_sel:DWORD
	s_movk_i32 s4, 0x7f
	v_cmp_lt_i16_e32 vcc, s4, v11
	s_mov_b64 s[4:5], 0
                                        ; implicit-def: $sgpr10
	s_and_saveexec_b64 s[6:7], vcc
	s_xor_b64 s[6:7], exec, s[6:7]
	s_cbranch_execnz .LBB28_3473
; %bb.1425:
	s_or_saveexec_b64 s[6:7], s[6:7]
	v_mov_b32_e32 v10, s10
	s_xor_b64 exec, exec, s[6:7]
	s_cbranch_execnz .LBB28_3476
.LBB28_1426:
	s_or_b64 exec, exec, s[6:7]
	s_and_saveexec_b64 s[6:7], s[4:5]
	s_cbranch_execz .LBB28_1428
.LBB28_1427:
	v_bfe_u32 v10, v6, 16, 3
	v_ffbh_u32_e32 v13, v10
	v_min_u32_e32 v13, 32, v13
	v_lshrrev_b32_e32 v11, 19, v6
	v_subrev_u32_e32 v14, 28, v13
	v_and_b32_e32 v11, 15, v11
	v_lshlrev_b32_sdwa v14, v14, v6 dst_sel:DWORD dst_unused:UNUSED_PAD src0_sel:DWORD src1_sel:WORD_1
	v_bfe_u32 v12, v6, 19, 4
	v_sub_u32_e32 v13, 29, v13
	v_and_b32_e32 v14, 7, v14
	v_cmp_eq_u16_e32 vcc, 0, v11
	v_cndmask_b32_e32 v10, v10, v14, vcc
	v_cndmask_b32_e32 v11, v12, v13, vcc
	v_lshlrev_b32_e32 v12, 8, v6
	v_mov_b32_e32 v13, 0x3b800000
	v_lshlrev_b32_e32 v10, 20, v10
	v_and_b32_e32 v12, 0x80000000, v12
	v_lshl_add_u32 v11, v11, 23, v13
	v_or3_b32 v10, v12, v11, v10
.LBB28_1428:
	s_or_b64 exec, exec, s[6:7]
	s_movk_i32 s4, 0xff
	v_and_b32_sdwa v11, v2, s4 dst_sel:DWORD dst_unused:UNUSED_PAD src0_sel:WORD_1 src1_sel:DWORD
	s_movk_i32 s4, 0x7f
	v_cmp_lt_i16_e32 vcc, s4, v11
	s_mov_b64 s[4:5], 0
                                        ; implicit-def: $sgpr10
	s_and_saveexec_b64 s[6:7], vcc
	s_xor_b64 s[6:7], exec, s[6:7]
	s_cbranch_execnz .LBB28_3477
; %bb.1429:
	s_or_saveexec_b64 s[6:7], s[6:7]
	v_mov_b32_e32 v12, s10
	s_xor_b64 exec, exec, s[6:7]
	s_cbranch_execnz .LBB28_3480
.LBB28_1430:
	s_or_b64 exec, exec, s[6:7]
	s_and_saveexec_b64 s[6:7], s[4:5]
	s_cbranch_execz .LBB28_1432
.LBB28_1431:
	v_bfe_u32 v11, v2, 16, 3
	v_ffbh_u32_e32 v14, v11
	v_min_u32_e32 v14, 32, v14
	v_lshrrev_b32_e32 v12, 19, v2
	v_subrev_u32_e32 v15, 28, v14
	v_and_b32_e32 v12, 15, v12
	v_lshlrev_b32_sdwa v15, v15, v2 dst_sel:DWORD dst_unused:UNUSED_PAD src0_sel:DWORD src1_sel:WORD_1
	v_bfe_u32 v13, v2, 19, 4
	v_sub_u32_e32 v14, 29, v14
	v_and_b32_e32 v15, 7, v15
	v_cmp_eq_u16_e32 vcc, 0, v12
	v_cndmask_b32_e32 v11, v11, v15, vcc
	v_cndmask_b32_e32 v12, v13, v14, vcc
	v_lshlrev_b32_e32 v13, 8, v2
	v_mov_b32_e32 v14, 0x3b800000
	v_lshlrev_b32_e32 v11, 20, v11
	v_and_b32_e32 v13, 0x80000000, v13
	v_lshl_add_u32 v12, v12, 23, v14
	v_or3_b32 v12, v13, v12, v11
.LBB28_1432:
	s_or_b64 exec, exec, s[6:7]
	s_nop 0
	v_mfma_f32_16x16x4f32 a[0:3], v10, v12, a[0:3]
	s_movk_i32 s4, 0x7f
	v_cmp_gt_i16_sdwa s[6:7], v6, s4 src0_sel:BYTE_3 src1_sel:DWORD
	s_mov_b64 s[4:5], 0
                                        ; implicit-def: $sgpr10
	s_and_saveexec_b64 s[8:9], s[6:7]
	s_xor_b64 s[6:7], exec, s[8:9]
	s_cbranch_execnz .LBB28_3481
; %bb.1433:
	s_or_saveexec_b64 s[6:7], s[6:7]
	v_mov_b32_e32 v10, s10
	s_xor_b64 exec, exec, s[6:7]
	s_cbranch_execnz .LBB28_3484
.LBB28_1434:
	s_or_b64 exec, exec, s[6:7]
	s_and_saveexec_b64 s[6:7], s[4:5]
	s_cbranch_execz .LBB28_1436
.LBB28_1435:
	v_bfe_u32 v10, v6, 24, 3
	v_ffbh_u32_e32 v14, v10
	v_min_u32_e32 v14, 32, v14
	v_lshrrev_b32_e32 v12, 27, v6
	v_subrev_u32_e32 v15, 28, v14
	v_and_b32_e32 v11, 0x80000000, v6
	v_and_b32_e32 v12, 15, v12
	v_bfe_u32 v13, v6, 27, 4
	v_lshlrev_b32_sdwa v6, v15, v6 dst_sel:DWORD dst_unused:UNUSED_PAD src0_sel:DWORD src1_sel:BYTE_3
	v_sub_u32_e32 v14, 29, v14
	v_and_b32_e32 v6, 7, v6
	v_cmp_eq_u16_e32 vcc, 0, v12
	v_cndmask_b32_e32 v6, v10, v6, vcc
	v_cndmask_b32_e32 v10, v13, v14, vcc
	v_mov_b32_e32 v12, 0x3b800000
	v_lshlrev_b32_e32 v6, 20, v6
	v_lshl_add_u32 v10, v10, 23, v12
	v_or3_b32 v10, v11, v10, v6
.LBB28_1436:
	s_or_b64 exec, exec, s[6:7]
	s_movk_i32 s4, 0x7f
	v_cmp_gt_i16_sdwa s[6:7], v2, s4 src0_sel:BYTE_3 src1_sel:DWORD
	s_mov_b64 s[4:5], 0
                                        ; implicit-def: $sgpr10
	s_and_saveexec_b64 s[8:9], s[6:7]
	s_xor_b64 s[6:7], exec, s[8:9]
	s_cbranch_execnz .LBB28_3485
; %bb.1437:
	s_or_saveexec_b64 s[6:7], s[6:7]
	v_mov_b32_e32 v6, s10
	s_xor_b64 exec, exec, s[6:7]
	s_cbranch_execnz .LBB28_3488
.LBB28_1438:
	s_or_b64 exec, exec, s[6:7]
	s_and_saveexec_b64 s[6:7], s[4:5]
	s_cbranch_execz .LBB28_1440
.LBB28_1439:
	v_bfe_u32 v6, v2, 24, 3
	v_ffbh_u32_e32 v14, v6
	v_min_u32_e32 v14, 32, v14
	v_lshrrev_b32_e32 v12, 27, v2
	v_subrev_u32_e32 v15, 28, v14
	v_and_b32_e32 v11, 0x80000000, v2
	v_and_b32_e32 v12, 15, v12
	v_bfe_u32 v13, v2, 27, 4
	v_lshlrev_b32_sdwa v2, v15, v2 dst_sel:DWORD dst_unused:UNUSED_PAD src0_sel:DWORD src1_sel:BYTE_3
	v_sub_u32_e32 v14, 29, v14
	v_and_b32_e32 v2, 7, v2
	v_cmp_eq_u16_e32 vcc, 0, v12
	v_cndmask_b32_e32 v2, v6, v2, vcc
	v_cndmask_b32_e32 v6, v13, v14, vcc
	v_mov_b32_e32 v12, 0x3b800000
	v_lshlrev_b32_e32 v2, 20, v2
	v_lshl_add_u32 v6, v6, 23, v12
	v_or3_b32 v6, v11, v6, v2
.LBB28_1440:
	s_or_b64 exec, exec, s[6:7]
	s_nop 0
	v_mfma_f32_16x16x4f32 a[0:3], v10, v6, a[0:3]
	s_movk_i32 s4, 0x7f
	v_cmp_gt_i16_sdwa s[6:7], v7, s4 src0_sel:BYTE_0 src1_sel:DWORD
	s_mov_b64 s[4:5], 0
                                        ; implicit-def: $sgpr10
	s_and_saveexec_b64 s[8:9], s[6:7]
	s_xor_b64 s[6:7], exec, s[8:9]
	s_cbranch_execnz .LBB28_3489
; %bb.1441:
	s_or_saveexec_b64 s[6:7], s[6:7]
	v_mov_b32_e32 v2, s10
	s_xor_b64 exec, exec, s[6:7]
	s_cbranch_execnz .LBB28_3492
.LBB28_1442:
	s_or_b64 exec, exec, s[6:7]
	s_and_saveexec_b64 s[6:7], s[4:5]
	s_cbranch_execz .LBB28_1444
.LBB28_1443:
	v_and_b32_e32 v2, 7, v7
	v_ffbh_u32_e32 v10, v2
	v_min_u32_e32 v10, 32, v10
	v_lshrrev_b16_e32 v6, 3, v7
	v_subrev_u32_e32 v11, 28, v10
	v_and_b32_e32 v6, 15, v6
	v_lshlrev_b32_e32 v11, v11, v7
	v_sub_u32_e32 v10, 29, v10
	v_and_b32_e32 v11, 7, v11
	v_cmp_eq_u16_e32 vcc, 0, v6
	v_cndmask_b32_e32 v2, v2, v11, vcc
	v_cndmask_b32_e32 v6, v6, v10, vcc
	v_lshlrev_b32_e32 v10, 24, v7
	v_mov_b32_e32 v11, 0x3b800000
	v_lshlrev_b32_e32 v2, 20, v2
	v_and_b32_e32 v10, 0x80000000, v10
	v_lshl_add_u32 v6, v6, 23, v11
	v_or3_b32 v2, v10, v6, v2
.LBB28_1444:
	s_or_b64 exec, exec, s[6:7]
	s_movk_i32 s4, 0x7f
	v_cmp_gt_i16_sdwa s[6:7], v3, s4 src0_sel:BYTE_0 src1_sel:DWORD
	s_mov_b64 s[4:5], 0
                                        ; implicit-def: $sgpr10
	s_and_saveexec_b64 s[8:9], s[6:7]
	s_xor_b64 s[6:7], exec, s[8:9]
	s_cbranch_execnz .LBB28_3493
; %bb.1445:
	s_or_saveexec_b64 s[6:7], s[6:7]
	v_mov_b32_e32 v6, s10
	s_xor_b64 exec, exec, s[6:7]
	s_cbranch_execnz .LBB28_3496
.LBB28_1446:
	s_or_b64 exec, exec, s[6:7]
	s_and_saveexec_b64 s[6:7], s[4:5]
	s_cbranch_execz .LBB28_1448
.LBB28_1447:
	v_and_b32_e32 v6, 7, v3
	v_ffbh_u32_e32 v11, v6
	v_min_u32_e32 v11, 32, v11
	v_lshrrev_b16_e32 v10, 3, v3
	v_subrev_u32_e32 v12, 28, v11
	v_and_b32_e32 v10, 15, v10
	v_lshlrev_b32_e32 v12, v12, v3
	v_sub_u32_e32 v11, 29, v11
	v_and_b32_e32 v12, 7, v12
	v_cmp_eq_u16_e32 vcc, 0, v10
	v_cndmask_b32_e32 v6, v6, v12, vcc
	v_cndmask_b32_e32 v10, v10, v11, vcc
	v_lshlrev_b32_e32 v11, 24, v3
	v_mov_b32_e32 v12, 0x3b800000
	v_lshlrev_b32_e32 v6, 20, v6
	v_and_b32_e32 v11, 0x80000000, v11
	v_lshl_add_u32 v10, v10, 23, v12
	v_or3_b32 v6, v11, v10, v6
.LBB28_1448:
	s_or_b64 exec, exec, s[6:7]
	s_nop 0
	v_mfma_f32_16x16x4f32 a[0:3], v2, v6, a[0:3]
	v_lshrrev_b32_e32 v6, 8, v7
	s_movk_i32 s4, 0x7f
	v_cmp_gt_i16_sdwa s[6:7], v6, s4 src0_sel:BYTE_0 src1_sel:DWORD
	s_mov_b64 s[4:5], 0
                                        ; implicit-def: $sgpr10
	s_and_saveexec_b64 s[8:9], s[6:7]
	s_xor_b64 s[6:7], exec, s[8:9]
	s_cbranch_execnz .LBB28_3497
; %bb.1449:
	s_or_saveexec_b64 s[6:7], s[6:7]
	v_mov_b32_e32 v2, s10
	s_xor_b64 exec, exec, s[6:7]
	s_cbranch_execnz .LBB28_3500
.LBB28_1450:
	s_or_b64 exec, exec, s[6:7]
	s_and_saveexec_b64 s[6:7], s[4:5]
	s_cbranch_execz .LBB28_1452
.LBB28_1451:
	v_bfe_u32 v2, v7, 8, 3
	v_ffbh_u32_e32 v11, v2
	v_min_u32_e32 v11, 32, v11
	v_lshrrev_b16_e32 v10, 3, v6
	v_subrev_u32_e32 v12, 28, v11
	v_and_b32_e32 v10, 15, v10
	v_lshlrev_b32_e32 v6, v12, v6
	v_sub_u32_e32 v11, 29, v11
	v_and_b32_e32 v6, 7, v6
	v_cmp_eq_u16_e32 vcc, 0, v10
	v_cndmask_b32_e32 v2, v2, v6, vcc
	v_cndmask_b32_e32 v6, v10, v11, vcc
	v_lshlrev_b32_e32 v10, 16, v7
	v_mov_b32_e32 v11, 0x3b800000
	v_lshlrev_b32_e32 v2, 20, v2
	v_and_b32_e32 v10, 0x80000000, v10
	v_lshl_add_u32 v6, v6, 23, v11
	v_or3_b32 v2, v10, v6, v2
.LBB28_1452:
	s_or_b64 exec, exec, s[6:7]
	v_lshrrev_b32_e32 v6, 8, v3
	s_movk_i32 s4, 0x7f
	v_cmp_gt_i16_sdwa s[6:7], v6, s4 src0_sel:BYTE_0 src1_sel:DWORD
	s_mov_b64 s[4:5], 0
                                        ; implicit-def: $sgpr10
	s_and_saveexec_b64 s[8:9], s[6:7]
	s_xor_b64 s[6:7], exec, s[8:9]
	s_cbranch_execnz .LBB28_3501
; %bb.1453:
	s_or_saveexec_b64 s[6:7], s[6:7]
	v_mov_b32_e32 v10, s10
	s_xor_b64 exec, exec, s[6:7]
	s_cbranch_execnz .LBB28_3504
.LBB28_1454:
	s_or_b64 exec, exec, s[6:7]
	s_and_saveexec_b64 s[6:7], s[4:5]
	s_cbranch_execz .LBB28_1456
.LBB28_1455:
	v_bfe_u32 v10, v3, 8, 3
	v_ffbh_u32_e32 v12, v10
	v_min_u32_e32 v12, 32, v12
	v_lshrrev_b16_e32 v11, 3, v6
	v_subrev_u32_e32 v13, 28, v12
	v_and_b32_e32 v11, 15, v11
	v_lshlrev_b32_e32 v6, v13, v6
	v_sub_u32_e32 v12, 29, v12
	v_and_b32_e32 v6, 7, v6
	v_cmp_eq_u16_e32 vcc, 0, v11
	v_cndmask_b32_e32 v6, v10, v6, vcc
	v_cndmask_b32_e32 v10, v11, v12, vcc
	v_lshlrev_b32_e32 v11, 16, v3
	v_mov_b32_e32 v12, 0x3b800000
	v_lshlrev_b32_e32 v6, 20, v6
	v_and_b32_e32 v11, 0x80000000, v11
	v_lshl_add_u32 v10, v10, 23, v12
	v_or3_b32 v10, v11, v10, v6
.LBB28_1456:
	s_or_b64 exec, exec, s[6:7]
	s_nop 0
	v_mfma_f32_16x16x4f32 a[0:3], v2, v10, a[0:3]
	s_movk_i32 s4, 0xff
	v_and_b32_sdwa v6, v7, s4 dst_sel:DWORD dst_unused:UNUSED_PAD src0_sel:WORD_1 src1_sel:DWORD
	s_movk_i32 s4, 0x7f
	v_cmp_lt_i16_e32 vcc, s4, v6
	s_mov_b64 s[4:5], 0
                                        ; implicit-def: $sgpr10
	s_and_saveexec_b64 s[6:7], vcc
	s_xor_b64 s[6:7], exec, s[6:7]
	s_cbranch_execnz .LBB28_3505
; %bb.1457:
	s_or_saveexec_b64 s[6:7], s[6:7]
	v_mov_b32_e32 v2, s10
	s_xor_b64 exec, exec, s[6:7]
	s_cbranch_execnz .LBB28_3508
.LBB28_1458:
	s_or_b64 exec, exec, s[6:7]
	s_and_saveexec_b64 s[6:7], s[4:5]
	s_cbranch_execz .LBB28_1460
.LBB28_1459:
	v_bfe_u32 v2, v7, 16, 3
	v_ffbh_u32_e32 v11, v2
	v_min_u32_e32 v11, 32, v11
	v_lshrrev_b32_e32 v6, 19, v7
	v_subrev_u32_e32 v12, 28, v11
	v_and_b32_e32 v6, 15, v6
	v_lshlrev_b32_sdwa v12, v12, v7 dst_sel:DWORD dst_unused:UNUSED_PAD src0_sel:DWORD src1_sel:WORD_1
	v_bfe_u32 v10, v7, 19, 4
	v_sub_u32_e32 v11, 29, v11
	v_and_b32_e32 v12, 7, v12
	v_cmp_eq_u16_e32 vcc, 0, v6
	v_cndmask_b32_e32 v2, v2, v12, vcc
	v_cndmask_b32_e32 v6, v10, v11, vcc
	v_lshlrev_b32_e32 v10, 8, v7
	v_mov_b32_e32 v11, 0x3b800000
	v_lshlrev_b32_e32 v2, 20, v2
	v_and_b32_e32 v10, 0x80000000, v10
	v_lshl_add_u32 v6, v6, 23, v11
	v_or3_b32 v2, v10, v6, v2
.LBB28_1460:
	s_or_b64 exec, exec, s[6:7]
	s_movk_i32 s4, 0xff
	v_and_b32_sdwa v6, v3, s4 dst_sel:DWORD dst_unused:UNUSED_PAD src0_sel:WORD_1 src1_sel:DWORD
	s_movk_i32 s4, 0x7f
	v_cmp_lt_i16_e32 vcc, s4, v6
	s_mov_b64 s[4:5], 0
                                        ; implicit-def: $sgpr10
	s_and_saveexec_b64 s[6:7], vcc
	s_xor_b64 s[6:7], exec, s[6:7]
	s_cbranch_execnz .LBB28_3509
; %bb.1461:
	s_or_saveexec_b64 s[6:7], s[6:7]
	v_mov_b32_e32 v10, s10
	s_xor_b64 exec, exec, s[6:7]
	s_cbranch_execnz .LBB28_3512
.LBB28_1462:
	s_or_b64 exec, exec, s[6:7]
	s_and_saveexec_b64 s[6:7], s[4:5]
	s_cbranch_execz .LBB28_1464
.LBB28_1463:
	v_bfe_u32 v6, v3, 16, 3
	v_ffbh_u32_e32 v12, v6
	v_min_u32_e32 v12, 32, v12
	v_lshrrev_b32_e32 v10, 19, v3
	v_subrev_u32_e32 v13, 28, v12
	v_and_b32_e32 v10, 15, v10
	v_lshlrev_b32_sdwa v13, v13, v3 dst_sel:DWORD dst_unused:UNUSED_PAD src0_sel:DWORD src1_sel:WORD_1
	v_bfe_u32 v11, v3, 19, 4
	v_sub_u32_e32 v12, 29, v12
	v_and_b32_e32 v13, 7, v13
	v_cmp_eq_u16_e32 vcc, 0, v10
	v_cndmask_b32_e32 v6, v6, v13, vcc
	v_cndmask_b32_e32 v10, v11, v12, vcc
	v_lshlrev_b32_e32 v11, 8, v3
	v_mov_b32_e32 v12, 0x3b800000
	v_lshlrev_b32_e32 v6, 20, v6
	v_and_b32_e32 v11, 0x80000000, v11
	v_lshl_add_u32 v10, v10, 23, v12
	v_or3_b32 v10, v11, v10, v6
.LBB28_1464:
	s_or_b64 exec, exec, s[6:7]
	s_nop 0
	v_mfma_f32_16x16x4f32 a[0:3], v2, v10, a[0:3]
	s_movk_i32 s4, 0x7f
	v_cmp_gt_i16_sdwa s[6:7], v7, s4 src0_sel:BYTE_3 src1_sel:DWORD
	s_mov_b64 s[4:5], 0
                                        ; implicit-def: $sgpr10
	s_and_saveexec_b64 s[8:9], s[6:7]
	s_xor_b64 s[6:7], exec, s[8:9]
	s_cbranch_execnz .LBB28_3513
; %bb.1465:
	s_or_saveexec_b64 s[6:7], s[6:7]
	v_mov_b32_e32 v2, s10
	s_xor_b64 exec, exec, s[6:7]
	s_cbranch_execnz .LBB28_3516
.LBB28_1466:
	s_or_b64 exec, exec, s[6:7]
	s_and_saveexec_b64 s[6:7], s[4:5]
	s_cbranch_execz .LBB28_1468
.LBB28_1467:
	v_bfe_u32 v2, v7, 24, 3
	v_ffbh_u32_e32 v12, v2
	v_min_u32_e32 v12, 32, v12
	v_lshrrev_b32_e32 v10, 27, v7
	v_subrev_u32_e32 v13, 28, v12
	v_and_b32_e32 v6, 0x80000000, v7
	v_and_b32_e32 v10, 15, v10
	v_bfe_u32 v11, v7, 27, 4
	v_lshlrev_b32_sdwa v7, v13, v7 dst_sel:DWORD dst_unused:UNUSED_PAD src0_sel:DWORD src1_sel:BYTE_3
	v_sub_u32_e32 v12, 29, v12
	v_and_b32_e32 v7, 7, v7
	v_cmp_eq_u16_e32 vcc, 0, v10
	v_cndmask_b32_e32 v2, v2, v7, vcc
	v_cndmask_b32_e32 v7, v11, v12, vcc
	v_mov_b32_e32 v10, 0x3b800000
	v_lshlrev_b32_e32 v2, 20, v2
	v_lshl_add_u32 v7, v7, 23, v10
	v_or3_b32 v2, v6, v7, v2
.LBB28_1468:
	s_or_b64 exec, exec, s[6:7]
	s_movk_i32 s4, 0x7f
	v_cmp_gt_i16_sdwa s[6:7], v3, s4 src0_sel:BYTE_3 src1_sel:DWORD
	s_mov_b64 s[4:5], 0
                                        ; implicit-def: $sgpr10
	s_and_saveexec_b64 s[8:9], s[6:7]
	s_xor_b64 s[6:7], exec, s[8:9]
	s_cbranch_execnz .LBB28_3517
; %bb.1469:
	s_or_saveexec_b64 s[6:7], s[6:7]
	v_mov_b32_e32 v6, s10
	s_xor_b64 exec, exec, s[6:7]
	s_cbranch_execnz .LBB28_3520
.LBB28_1470:
	s_or_b64 exec, exec, s[6:7]
	s_and_saveexec_b64 s[6:7], s[4:5]
	s_cbranch_execz .LBB28_1472
.LBB28_1471:
	v_bfe_u32 v6, v3, 24, 3
	v_ffbh_u32_e32 v12, v6
	v_min_u32_e32 v12, 32, v12
	v_lshrrev_b32_e32 v10, 27, v3
	v_subrev_u32_e32 v13, 28, v12
	v_and_b32_e32 v7, 0x80000000, v3
	v_and_b32_e32 v10, 15, v10
	v_bfe_u32 v11, v3, 27, 4
	v_lshlrev_b32_sdwa v3, v13, v3 dst_sel:DWORD dst_unused:UNUSED_PAD src0_sel:DWORD src1_sel:BYTE_3
	v_sub_u32_e32 v12, 29, v12
	v_and_b32_e32 v3, 7, v3
	v_cmp_eq_u16_e32 vcc, 0, v10
	v_cndmask_b32_e32 v3, v6, v3, vcc
	v_cndmask_b32_e32 v6, v11, v12, vcc
	v_mov_b32_e32 v10, 0x3b800000
	v_lshlrev_b32_e32 v3, 20, v3
	v_lshl_add_u32 v6, v6, 23, v10
	v_or3_b32 v6, v7, v6, v3
.LBB28_1472:
	s_or_b64 exec, exec, s[6:7]
	s_nop 0
	v_mfma_f32_16x16x4f32 a[0:3], v2, v6, a[0:3]
	s_movk_i32 s4, 0x7f
	v_cmp_gt_i16_sdwa s[6:7], v8, s4 src0_sel:BYTE_0 src1_sel:DWORD
	s_mov_b64 s[4:5], 0
                                        ; implicit-def: $sgpr10
	s_and_saveexec_b64 s[8:9], s[6:7]
	s_xor_b64 s[6:7], exec, s[8:9]
	s_cbranch_execnz .LBB28_3521
; %bb.1473:
	s_or_saveexec_b64 s[6:7], s[6:7]
	v_mov_b32_e32 v2, s10
	s_xor_b64 exec, exec, s[6:7]
	s_cbranch_execnz .LBB28_3524
.LBB28_1474:
	s_or_b64 exec, exec, s[6:7]
	s_and_saveexec_b64 s[6:7], s[4:5]
	s_cbranch_execz .LBB28_1476
.LBB28_1475:
	v_and_b32_e32 v2, 7, v8
	v_ffbh_u32_e32 v6, v2
	v_min_u32_e32 v6, 32, v6
	v_lshrrev_b16_e32 v3, 3, v8
	v_subrev_u32_e32 v7, 28, v6
	v_and_b32_e32 v3, 15, v3
	v_lshlrev_b32_e32 v7, v7, v8
	v_sub_u32_e32 v6, 29, v6
	v_and_b32_e32 v7, 7, v7
	v_cmp_eq_u16_e32 vcc, 0, v3
	v_cndmask_b32_e32 v2, v2, v7, vcc
	v_cndmask_b32_e32 v3, v3, v6, vcc
	v_lshlrev_b32_e32 v6, 24, v8
	v_mov_b32_e32 v7, 0x3b800000
	v_lshlrev_b32_e32 v2, 20, v2
	v_and_b32_e32 v6, 0x80000000, v6
	v_lshl_add_u32 v3, v3, 23, v7
	v_or3_b32 v2, v6, v3, v2
.LBB28_1476:
	s_or_b64 exec, exec, s[6:7]
	s_movk_i32 s4, 0x7f
	v_cmp_gt_i16_sdwa s[6:7], v4, s4 src0_sel:BYTE_0 src1_sel:DWORD
	s_mov_b64 s[4:5], 0
                                        ; implicit-def: $sgpr10
	s_and_saveexec_b64 s[8:9], s[6:7]
	s_xor_b64 s[6:7], exec, s[8:9]
	s_cbranch_execnz .LBB28_3525
; %bb.1477:
	s_or_saveexec_b64 s[6:7], s[6:7]
	v_mov_b32_e32 v3, s10
	s_xor_b64 exec, exec, s[6:7]
	s_cbranch_execnz .LBB28_3528
.LBB28_1478:
	s_or_b64 exec, exec, s[6:7]
	s_and_saveexec_b64 s[6:7], s[4:5]
	s_cbranch_execz .LBB28_1480
.LBB28_1479:
	v_and_b32_e32 v3, 7, v4
	v_ffbh_u32_e32 v7, v3
	v_min_u32_e32 v7, 32, v7
	v_lshrrev_b16_e32 v6, 3, v4
	v_subrev_u32_e32 v10, 28, v7
	v_and_b32_e32 v6, 15, v6
	v_lshlrev_b32_e32 v10, v10, v4
	v_sub_u32_e32 v7, 29, v7
	v_and_b32_e32 v10, 7, v10
	v_cmp_eq_u16_e32 vcc, 0, v6
	v_cndmask_b32_e32 v3, v3, v10, vcc
	v_cndmask_b32_e32 v6, v6, v7, vcc
	v_lshlrev_b32_e32 v7, 24, v4
	v_mov_b32_e32 v10, 0x3b800000
	v_lshlrev_b32_e32 v3, 20, v3
	v_and_b32_e32 v7, 0x80000000, v7
	v_lshl_add_u32 v6, v6, 23, v10
	v_or3_b32 v3, v7, v6, v3
.LBB28_1480:
	s_or_b64 exec, exec, s[6:7]
	s_nop 0
	v_mfma_f32_16x16x4f32 a[0:3], v2, v3, a[0:3]
	v_lshrrev_b32_e32 v3, 8, v8
	s_movk_i32 s4, 0x7f
	v_cmp_gt_i16_sdwa s[6:7], v3, s4 src0_sel:BYTE_0 src1_sel:DWORD
	s_mov_b64 s[4:5], 0
                                        ; implicit-def: $sgpr10
	s_and_saveexec_b64 s[8:9], s[6:7]
	s_xor_b64 s[6:7], exec, s[8:9]
	s_cbranch_execnz .LBB28_3529
; %bb.1481:
	s_or_saveexec_b64 s[6:7], s[6:7]
	v_mov_b32_e32 v2, s10
	s_xor_b64 exec, exec, s[6:7]
	s_cbranch_execnz .LBB28_3532
.LBB28_1482:
	s_or_b64 exec, exec, s[6:7]
	s_and_saveexec_b64 s[6:7], s[4:5]
	s_cbranch_execz .LBB28_1484
.LBB28_1483:
	v_bfe_u32 v2, v8, 8, 3
	v_ffbh_u32_e32 v7, v2
	v_min_u32_e32 v7, 32, v7
	v_lshrrev_b16_e32 v6, 3, v3
	v_subrev_u32_e32 v10, 28, v7
	v_and_b32_e32 v6, 15, v6
	v_lshlrev_b32_e32 v3, v10, v3
	v_sub_u32_e32 v7, 29, v7
	v_and_b32_e32 v3, 7, v3
	v_cmp_eq_u16_e32 vcc, 0, v6
	v_cndmask_b32_e32 v2, v2, v3, vcc
	v_cndmask_b32_e32 v3, v6, v7, vcc
	v_lshlrev_b32_e32 v6, 16, v8
	v_mov_b32_e32 v7, 0x3b800000
	v_lshlrev_b32_e32 v2, 20, v2
	v_and_b32_e32 v6, 0x80000000, v6
	v_lshl_add_u32 v3, v3, 23, v7
	v_or3_b32 v2, v6, v3, v2
.LBB28_1484:
	s_or_b64 exec, exec, s[6:7]
	v_lshrrev_b32_e32 v3, 8, v4
	s_movk_i32 s4, 0x7f
	v_cmp_gt_i16_sdwa s[6:7], v3, s4 src0_sel:BYTE_0 src1_sel:DWORD
	s_mov_b64 s[4:5], 0
                                        ; implicit-def: $sgpr10
	s_and_saveexec_b64 s[8:9], s[6:7]
	s_xor_b64 s[6:7], exec, s[8:9]
	s_cbranch_execnz .LBB28_3533
; %bb.1485:
	s_or_saveexec_b64 s[6:7], s[6:7]
	v_mov_b32_e32 v6, s10
	s_xor_b64 exec, exec, s[6:7]
	s_cbranch_execnz .LBB28_3536
.LBB28_1486:
	s_or_b64 exec, exec, s[6:7]
	s_and_saveexec_b64 s[6:7], s[4:5]
	s_cbranch_execz .LBB28_1488
.LBB28_1487:
	v_bfe_u32 v6, v4, 8, 3
	v_ffbh_u32_e32 v10, v6
	v_min_u32_e32 v10, 32, v10
	v_lshrrev_b16_e32 v7, 3, v3
	v_subrev_u32_e32 v11, 28, v10
	v_and_b32_e32 v7, 15, v7
	v_lshlrev_b32_e32 v3, v11, v3
	v_sub_u32_e32 v10, 29, v10
	v_and_b32_e32 v3, 7, v3
	v_cmp_eq_u16_e32 vcc, 0, v7
	v_cndmask_b32_e32 v3, v6, v3, vcc
	v_cndmask_b32_e32 v6, v7, v10, vcc
	v_lshlrev_b32_e32 v7, 16, v4
	v_mov_b32_e32 v10, 0x3b800000
	v_lshlrev_b32_e32 v3, 20, v3
	v_and_b32_e32 v7, 0x80000000, v7
	v_lshl_add_u32 v6, v6, 23, v10
	v_or3_b32 v6, v7, v6, v3
.LBB28_1488:
	s_or_b64 exec, exec, s[6:7]
	s_nop 0
	v_mfma_f32_16x16x4f32 a[0:3], v2, v6, a[0:3]
	s_movk_i32 s4, 0xff
	v_and_b32_sdwa v3, v8, s4 dst_sel:DWORD dst_unused:UNUSED_PAD src0_sel:WORD_1 src1_sel:DWORD
	s_movk_i32 s4, 0x7f
	v_cmp_lt_i16_e32 vcc, s4, v3
	s_mov_b64 s[4:5], 0
                                        ; implicit-def: $sgpr10
	s_and_saveexec_b64 s[6:7], vcc
	s_xor_b64 s[6:7], exec, s[6:7]
	s_cbranch_execnz .LBB28_3537
; %bb.1489:
	s_or_saveexec_b64 s[6:7], s[6:7]
	v_mov_b32_e32 v2, s10
	s_xor_b64 exec, exec, s[6:7]
	s_cbranch_execnz .LBB28_3540
.LBB28_1490:
	s_or_b64 exec, exec, s[6:7]
	s_and_saveexec_b64 s[6:7], s[4:5]
	s_cbranch_execz .LBB28_1492
.LBB28_1491:
	v_bfe_u32 v2, v8, 16, 3
	v_ffbh_u32_e32 v7, v2
	v_min_u32_e32 v7, 32, v7
	v_lshrrev_b32_e32 v3, 19, v8
	v_subrev_u32_e32 v10, 28, v7
	v_and_b32_e32 v3, 15, v3
	v_lshlrev_b32_sdwa v10, v10, v8 dst_sel:DWORD dst_unused:UNUSED_PAD src0_sel:DWORD src1_sel:WORD_1
	v_bfe_u32 v6, v8, 19, 4
	v_sub_u32_e32 v7, 29, v7
	v_and_b32_e32 v10, 7, v10
	v_cmp_eq_u16_e32 vcc, 0, v3
	v_cndmask_b32_e32 v2, v2, v10, vcc
	v_cndmask_b32_e32 v3, v6, v7, vcc
	v_lshlrev_b32_e32 v6, 8, v8
	v_mov_b32_e32 v7, 0x3b800000
	v_lshlrev_b32_e32 v2, 20, v2
	v_and_b32_e32 v6, 0x80000000, v6
	v_lshl_add_u32 v3, v3, 23, v7
	v_or3_b32 v2, v6, v3, v2
.LBB28_1492:
	s_or_b64 exec, exec, s[6:7]
	s_movk_i32 s4, 0xff
	v_and_b32_sdwa v3, v4, s4 dst_sel:DWORD dst_unused:UNUSED_PAD src0_sel:WORD_1 src1_sel:DWORD
	s_movk_i32 s4, 0x7f
	v_cmp_lt_i16_e32 vcc, s4, v3
	s_mov_b64 s[4:5], 0
                                        ; implicit-def: $sgpr10
	s_and_saveexec_b64 s[6:7], vcc
	s_xor_b64 s[6:7], exec, s[6:7]
	s_cbranch_execnz .LBB28_3541
; %bb.1493:
	s_or_saveexec_b64 s[6:7], s[6:7]
	v_mov_b32_e32 v6, s10
	s_xor_b64 exec, exec, s[6:7]
	s_cbranch_execnz .LBB28_3544
.LBB28_1494:
	s_or_b64 exec, exec, s[6:7]
	s_and_saveexec_b64 s[6:7], s[4:5]
	s_cbranch_execz .LBB28_1496
.LBB28_1495:
	v_bfe_u32 v3, v4, 16, 3
	v_ffbh_u32_e32 v10, v3
	v_min_u32_e32 v10, 32, v10
	v_lshrrev_b32_e32 v6, 19, v4
	v_subrev_u32_e32 v11, 28, v10
	v_and_b32_e32 v6, 15, v6
	v_lshlrev_b32_sdwa v11, v11, v4 dst_sel:DWORD dst_unused:UNUSED_PAD src0_sel:DWORD src1_sel:WORD_1
	v_bfe_u32 v7, v4, 19, 4
	v_sub_u32_e32 v10, 29, v10
	v_and_b32_e32 v11, 7, v11
	v_cmp_eq_u16_e32 vcc, 0, v6
	v_cndmask_b32_e32 v3, v3, v11, vcc
	v_cndmask_b32_e32 v6, v7, v10, vcc
	v_lshlrev_b32_e32 v7, 8, v4
	v_mov_b32_e32 v10, 0x3b800000
	v_lshlrev_b32_e32 v3, 20, v3
	v_and_b32_e32 v7, 0x80000000, v7
	v_lshl_add_u32 v6, v6, 23, v10
	v_or3_b32 v6, v7, v6, v3
.LBB28_1496:
	s_or_b64 exec, exec, s[6:7]
	s_nop 0
	v_mfma_f32_16x16x4f32 a[0:3], v2, v6, a[0:3]
	s_movk_i32 s4, 0x7f
	v_cmp_gt_i16_sdwa s[6:7], v8, s4 src0_sel:BYTE_3 src1_sel:DWORD
	s_mov_b64 s[4:5], 0
                                        ; implicit-def: $sgpr10
	s_and_saveexec_b64 s[8:9], s[6:7]
	s_xor_b64 s[6:7], exec, s[8:9]
	s_cbranch_execnz .LBB28_3545
; %bb.1497:
	s_or_saveexec_b64 s[6:7], s[6:7]
	v_mov_b32_e32 v2, s10
	s_xor_b64 exec, exec, s[6:7]
	s_cbranch_execnz .LBB28_3548
.LBB28_1498:
	s_or_b64 exec, exec, s[6:7]
	s_and_saveexec_b64 s[6:7], s[4:5]
	s_cbranch_execz .LBB28_1500
.LBB28_1499:
	v_bfe_u32 v2, v8, 24, 3
	v_ffbh_u32_e32 v10, v2
	v_min_u32_e32 v10, 32, v10
	v_lshrrev_b32_e32 v6, 27, v8
	v_subrev_u32_e32 v11, 28, v10
	v_and_b32_e32 v3, 0x80000000, v8
	v_and_b32_e32 v6, 15, v6
	v_bfe_u32 v7, v8, 27, 4
	v_lshlrev_b32_sdwa v8, v11, v8 dst_sel:DWORD dst_unused:UNUSED_PAD src0_sel:DWORD src1_sel:BYTE_3
	v_sub_u32_e32 v10, 29, v10
	v_and_b32_e32 v8, 7, v8
	v_cmp_eq_u16_e32 vcc, 0, v6
	v_cndmask_b32_e32 v2, v2, v8, vcc
	v_cndmask_b32_e32 v6, v7, v10, vcc
	v_mov_b32_e32 v7, 0x3b800000
	v_lshlrev_b32_e32 v2, 20, v2
	v_lshl_add_u32 v6, v6, 23, v7
	v_or3_b32 v2, v3, v6, v2
.LBB28_1500:
	s_or_b64 exec, exec, s[6:7]
	s_movk_i32 s4, 0x7f
	v_cmp_gt_i16_sdwa s[6:7], v4, s4 src0_sel:BYTE_3 src1_sel:DWORD
	s_mov_b64 s[4:5], 0
                                        ; implicit-def: $sgpr10
	s_and_saveexec_b64 s[8:9], s[6:7]
	s_xor_b64 s[6:7], exec, s[8:9]
	s_cbranch_execnz .LBB28_3549
; %bb.1501:
	s_or_saveexec_b64 s[6:7], s[6:7]
	v_mov_b32_e32 v3, s10
	s_xor_b64 exec, exec, s[6:7]
	s_cbranch_execnz .LBB28_3552
.LBB28_1502:
	s_or_b64 exec, exec, s[6:7]
	s_and_saveexec_b64 s[6:7], s[4:5]
	s_cbranch_execz .LBB28_1504
.LBB28_1503:
	v_bfe_u32 v3, v4, 24, 3
	v_ffbh_u32_e32 v10, v3
	v_min_u32_e32 v10, 32, v10
	v_lshrrev_b32_e32 v7, 27, v4
	v_subrev_u32_e32 v11, 28, v10
	v_and_b32_e32 v6, 0x80000000, v4
	v_and_b32_e32 v7, 15, v7
	v_bfe_u32 v8, v4, 27, 4
	v_lshlrev_b32_sdwa v4, v11, v4 dst_sel:DWORD dst_unused:UNUSED_PAD src0_sel:DWORD src1_sel:BYTE_3
	v_sub_u32_e32 v10, 29, v10
	v_and_b32_e32 v4, 7, v4
	v_cmp_eq_u16_e32 vcc, 0, v7
	v_cndmask_b32_e32 v3, v3, v4, vcc
	v_cndmask_b32_e32 v4, v8, v10, vcc
	v_mov_b32_e32 v7, 0x3b800000
	v_lshlrev_b32_e32 v3, 20, v3
	v_lshl_add_u32 v4, v4, 23, v7
	v_or3_b32 v3, v6, v4, v3
.LBB28_1504:
	s_or_b64 exec, exec, s[6:7]
	s_nop 0
	v_mfma_f32_16x16x4f32 a[0:3], v2, v3, a[0:3]
	s_movk_i32 s4, 0x7f
	v_cmp_gt_i16_sdwa s[6:7], v9, s4 src0_sel:BYTE_0 src1_sel:DWORD
	s_mov_b64 s[4:5], 0
                                        ; implicit-def: $sgpr10
	s_and_saveexec_b64 s[8:9], s[6:7]
	s_xor_b64 s[6:7], exec, s[8:9]
	s_cbranch_execnz .LBB28_3553
; %bb.1505:
	s_or_saveexec_b64 s[6:7], s[6:7]
	v_mov_b32_e32 v2, s10
	s_xor_b64 exec, exec, s[6:7]
	s_cbranch_execnz .LBB28_3556
.LBB28_1506:
	s_or_b64 exec, exec, s[6:7]
	s_and_saveexec_b64 s[6:7], s[4:5]
	s_cbranch_execz .LBB28_1508
.LBB28_1507:
	v_mov_b32_e32 v2, 8
	v_and_b32_e32 v3, 7, v9
	v_lshrrev_b32_sdwa v2, v2, v9 dst_sel:BYTE_1 dst_unused:UNUSED_PAD src0_sel:DWORD src1_sel:DWORD
	v_ffbh_u32_e32 v4, v3
	v_or_b32_sdwa v2, v9, v2 dst_sel:DWORD dst_unused:UNUSED_PAD src0_sel:BYTE_0 src1_sel:DWORD
	v_min_u32_e32 v4, 32, v4
	v_lshrrev_b16_e32 v2, 3, v2
	v_subrev_u32_e32 v6, 28, v4
	v_and_b32_e32 v2, 15, v2
	v_lshlrev_b32_e32 v6, v6, v9
	v_sub_u32_e32 v4, 29, v4
	v_and_b32_e32 v6, 7, v6
	v_cmp_eq_u16_e32 vcc, 0, v2
	v_cndmask_b32_e32 v3, v3, v6, vcc
	v_cndmask_b32_e32 v2, v2, v4, vcc
	v_lshlrev_b32_e32 v4, 24, v9
	v_mov_b32_e32 v6, 0x3b800000
	v_lshlrev_b32_e32 v3, 20, v3
	v_and_b32_e32 v4, 0x80000000, v4
	v_lshl_add_u32 v2, v2, 23, v6
	v_or3_b32 v2, v4, v2, v3
.LBB28_1508:
	s_or_b64 exec, exec, s[6:7]
	s_movk_i32 s4, 0x7f
	v_cmp_gt_i16_sdwa s[6:7], v5, s4 src0_sel:BYTE_0 src1_sel:DWORD
	s_mov_b64 s[4:5], 0
                                        ; implicit-def: $sgpr10
	s_and_saveexec_b64 s[8:9], s[6:7]
	s_xor_b64 s[6:7], exec, s[8:9]
	s_cbranch_execnz .LBB28_3557
; %bb.1509:
	s_or_saveexec_b64 s[6:7], s[6:7]
	v_mov_b32_e32 v3, s10
	s_xor_b64 exec, exec, s[6:7]
	s_cbranch_execnz .LBB28_3560
.LBB28_1510:
	s_or_b64 exec, exec, s[6:7]
	s_and_saveexec_b64 s[6:7], s[4:5]
	s_cbranch_execz .LBB28_1512
.LBB28_1511:
	v_mov_b32_e32 v3, 8
	v_and_b32_e32 v4, 7, v5
	v_lshrrev_b32_sdwa v3, v3, v5 dst_sel:BYTE_1 dst_unused:UNUSED_PAD src0_sel:DWORD src1_sel:DWORD
	v_ffbh_u32_e32 v6, v4
	v_or_b32_sdwa v3, v5, v3 dst_sel:DWORD dst_unused:UNUSED_PAD src0_sel:BYTE_0 src1_sel:DWORD
	v_min_u32_e32 v6, 32, v6
	v_lshrrev_b16_e32 v3, 3, v3
	v_subrev_u32_e32 v7, 28, v6
	v_and_b32_e32 v3, 15, v3
	v_lshlrev_b32_e32 v7, v7, v5
	v_sub_u32_e32 v6, 29, v6
	v_and_b32_e32 v7, 7, v7
	v_cmp_eq_u16_e32 vcc, 0, v3
	v_cndmask_b32_e32 v4, v4, v7, vcc
	v_cndmask_b32_e32 v3, v3, v6, vcc
	v_lshlrev_b32_e32 v6, 24, v5
	v_mov_b32_e32 v7, 0x3b800000
	v_lshlrev_b32_e32 v4, 20, v4
	v_and_b32_e32 v6, 0x80000000, v6
	v_lshl_add_u32 v3, v3, 23, v7
	v_or3_b32 v3, v6, v3, v4
.LBB28_1512:
	s_or_b64 exec, exec, s[6:7]
	s_nop 0
	v_mfma_f32_16x16x4f32 a[0:3], v2, v3, a[0:3]
	v_lshrrev_b32_e32 v3, 8, v9
	s_movk_i32 s4, 0x7f
	v_cmp_gt_i16_sdwa s[6:7], v3, s4 src0_sel:BYTE_0 src1_sel:DWORD
	s_mov_b64 s[4:5], 0
                                        ; implicit-def: $sgpr10
	s_and_saveexec_b64 s[8:9], s[6:7]
	s_xor_b64 s[6:7], exec, s[8:9]
	s_cbranch_execnz .LBB28_3561
; %bb.1513:
	s_or_saveexec_b64 s[6:7], s[6:7]
	v_mov_b32_e32 v2, s10
	s_xor_b64 exec, exec, s[6:7]
	s_cbranch_execnz .LBB28_3564
.LBB28_1514:
	s_or_b64 exec, exec, s[6:7]
	s_and_saveexec_b64 s[6:7], s[4:5]
	s_cbranch_execz .LBB28_1516
.LBB28_1515:
	v_bfe_u32 v2, v9, 8, 3
	v_ffbh_u32_e32 v6, v2
	v_min_u32_e32 v6, 32, v6
	v_lshrrev_b16_e32 v4, 3, v3
	v_subrev_u32_e32 v7, 28, v6
	v_and_b32_e32 v4, 15, v4
	v_lshlrev_b32_e32 v3, v7, v3
	v_sub_u32_e32 v6, 29, v6
	v_and_b32_e32 v3, 7, v3
	v_cmp_eq_u16_e32 vcc, 0, v4
	v_cndmask_b32_e32 v2, v2, v3, vcc
	v_cndmask_b32_e32 v3, v4, v6, vcc
	v_lshlrev_b32_e32 v4, 16, v9
	v_mov_b32_e32 v6, 0x3b800000
	v_lshlrev_b32_e32 v2, 20, v2
	v_and_b32_e32 v4, 0x80000000, v4
	v_lshl_add_u32 v3, v3, 23, v6
	v_or3_b32 v2, v4, v3, v2
.LBB28_1516:
	s_or_b64 exec, exec, s[6:7]
	v_lshrrev_b32_e32 v3, 8, v5
	s_movk_i32 s4, 0x7f
	v_cmp_gt_i16_sdwa s[6:7], v3, s4 src0_sel:BYTE_0 src1_sel:DWORD
	s_mov_b64 s[4:5], 0
                                        ; implicit-def: $sgpr10
	s_and_saveexec_b64 s[8:9], s[6:7]
	s_xor_b64 s[6:7], exec, s[8:9]
	s_cbranch_execnz .LBB28_3565
; %bb.1517:
	s_or_saveexec_b64 s[6:7], s[6:7]
	v_mov_b32_e32 v4, s10
	s_xor_b64 exec, exec, s[6:7]
	s_cbranch_execnz .LBB28_3568
.LBB28_1518:
	s_or_b64 exec, exec, s[6:7]
	s_and_saveexec_b64 s[6:7], s[4:5]
	s_cbranch_execz .LBB28_1520
.LBB28_1519:
	v_bfe_u32 v4, v5, 8, 3
	v_ffbh_u32_e32 v7, v4
	v_min_u32_e32 v7, 32, v7
	v_lshrrev_b16_e32 v6, 3, v3
	v_subrev_u32_e32 v8, 28, v7
	v_and_b32_e32 v6, 15, v6
	v_lshlrev_b32_e32 v3, v8, v3
	v_sub_u32_e32 v7, 29, v7
	v_and_b32_e32 v3, 7, v3
	v_cmp_eq_u16_e32 vcc, 0, v6
	v_cndmask_b32_e32 v3, v4, v3, vcc
	v_cndmask_b32_e32 v4, v6, v7, vcc
	v_lshlrev_b32_e32 v6, 16, v5
	v_mov_b32_e32 v7, 0x3b800000
	v_lshlrev_b32_e32 v3, 20, v3
	v_and_b32_e32 v6, 0x80000000, v6
	v_lshl_add_u32 v4, v4, 23, v7
	v_or3_b32 v4, v6, v4, v3
.LBB28_1520:
	s_or_b64 exec, exec, s[6:7]
	s_nop 0
	v_mfma_f32_16x16x4f32 a[0:3], v2, v4, a[0:3]
	s_movk_i32 s4, 0xff
	v_and_b32_sdwa v3, v9, s4 dst_sel:DWORD dst_unused:UNUSED_PAD src0_sel:WORD_1 src1_sel:DWORD
	s_movk_i32 s4, 0x7f
	v_cmp_lt_i16_e32 vcc, s4, v3
	s_mov_b64 s[4:5], 0
                                        ; implicit-def: $sgpr10
	s_and_saveexec_b64 s[6:7], vcc
	s_xor_b64 s[6:7], exec, s[6:7]
	s_cbranch_execnz .LBB28_3569
; %bb.1521:
	s_or_saveexec_b64 s[6:7], s[6:7]
	v_mov_b32_e32 v2, s10
	s_xor_b64 exec, exec, s[6:7]
	s_cbranch_execnz .LBB28_3572
.LBB28_1522:
	s_or_b64 exec, exec, s[6:7]
	s_and_saveexec_b64 s[6:7], s[4:5]
	s_cbranch_execz .LBB28_1524
.LBB28_1523:
	v_bfe_u32 v2, v9, 16, 3
	v_ffbh_u32_e32 v6, v2
	v_min_u32_e32 v6, 32, v6
	v_lshrrev_b32_e32 v3, 19, v9
	v_subrev_u32_e32 v7, 28, v6
	v_and_b32_e32 v3, 15, v3
	v_lshlrev_b32_sdwa v7, v7, v9 dst_sel:DWORD dst_unused:UNUSED_PAD src0_sel:DWORD src1_sel:WORD_1
	v_bfe_u32 v4, v9, 19, 4
	v_sub_u32_e32 v6, 29, v6
	v_and_b32_e32 v7, 7, v7
	v_cmp_eq_u16_e32 vcc, 0, v3
	v_cndmask_b32_e32 v2, v2, v7, vcc
	v_cndmask_b32_e32 v3, v4, v6, vcc
	v_lshlrev_b32_e32 v4, 8, v9
	v_mov_b32_e32 v6, 0x3b800000
	v_lshlrev_b32_e32 v2, 20, v2
	v_and_b32_e32 v4, 0x80000000, v4
	v_lshl_add_u32 v3, v3, 23, v6
	v_or3_b32 v2, v4, v3, v2
.LBB28_1524:
	s_or_b64 exec, exec, s[6:7]
	s_movk_i32 s4, 0xff
	v_and_b32_sdwa v3, v5, s4 dst_sel:DWORD dst_unused:UNUSED_PAD src0_sel:WORD_1 src1_sel:DWORD
	s_movk_i32 s4, 0x7f
	v_cmp_lt_i16_e32 vcc, s4, v3
	s_mov_b64 s[4:5], 0
                                        ; implicit-def: $sgpr10
	s_and_saveexec_b64 s[6:7], vcc
	s_xor_b64 s[6:7], exec, s[6:7]
	s_cbranch_execnz .LBB28_3573
; %bb.1525:
	s_or_saveexec_b64 s[6:7], s[6:7]
	v_mov_b32_e32 v4, s10
	s_xor_b64 exec, exec, s[6:7]
	s_cbranch_execnz .LBB28_3576
.LBB28_1526:
	s_or_b64 exec, exec, s[6:7]
	s_and_saveexec_b64 s[6:7], s[4:5]
	s_cbranch_execz .LBB28_1528
.LBB28_1527:
	v_bfe_u32 v3, v5, 16, 3
	v_ffbh_u32_e32 v7, v3
	v_min_u32_e32 v7, 32, v7
	v_lshrrev_b32_e32 v4, 19, v5
	v_subrev_u32_e32 v8, 28, v7
	v_and_b32_e32 v4, 15, v4
	v_lshlrev_b32_sdwa v8, v8, v5 dst_sel:DWORD dst_unused:UNUSED_PAD src0_sel:DWORD src1_sel:WORD_1
	v_bfe_u32 v6, v5, 19, 4
	v_sub_u32_e32 v7, 29, v7
	v_and_b32_e32 v8, 7, v8
	v_cmp_eq_u16_e32 vcc, 0, v4
	v_cndmask_b32_e32 v3, v3, v8, vcc
	v_cndmask_b32_e32 v4, v6, v7, vcc
	v_lshlrev_b32_e32 v6, 8, v5
	v_mov_b32_e32 v7, 0x3b800000
	v_lshlrev_b32_e32 v3, 20, v3
	v_and_b32_e32 v6, 0x80000000, v6
	v_lshl_add_u32 v4, v4, 23, v7
	v_or3_b32 v4, v6, v4, v3
.LBB28_1528:
	s_or_b64 exec, exec, s[6:7]
	s_nop 0
	v_mfma_f32_16x16x4f32 a[0:3], v2, v4, a[0:3]
	s_movk_i32 s4, 0x7f
	v_cmp_gt_i16_sdwa s[6:7], v9, s4 src0_sel:BYTE_3 src1_sel:DWORD
	s_mov_b64 s[4:5], 0
                                        ; implicit-def: $sgpr10
	s_and_saveexec_b64 s[8:9], s[6:7]
	s_xor_b64 s[6:7], exec, s[8:9]
	s_cbranch_execnz .LBB28_3577
; %bb.1529:
	s_or_saveexec_b64 s[6:7], s[6:7]
	v_mov_b32_e32 v2, s10
	s_xor_b64 exec, exec, s[6:7]
	s_cbranch_execnz .LBB28_3580
.LBB28_1530:
	s_or_b64 exec, exec, s[6:7]
	s_and_saveexec_b64 s[6:7], s[4:5]
	s_cbranch_execz .LBB28_1532
.LBB28_1531:
	v_bfe_u32 v2, v9, 24, 3
	v_ffbh_u32_e32 v7, v2
	v_min_u32_e32 v7, 32, v7
	v_lshrrev_b32_e32 v4, 27, v9
	v_subrev_u32_e32 v8, 28, v7
	v_and_b32_e32 v4, 15, v4
	v_lshlrev_b32_sdwa v8, v8, v9 dst_sel:DWORD dst_unused:UNUSED_PAD src0_sel:DWORD src1_sel:BYTE_3
	v_bfe_u32 v6, v9, 27, 4
	v_sub_u32_e32 v7, 29, v7
	v_and_b32_e32 v8, 7, v8
	v_cmp_eq_u16_e32 vcc, 0, v4
	v_cndmask_b32_e32 v2, v2, v8, vcc
	v_cndmask_b32_e32 v4, v6, v7, vcc
	v_mov_b32_e32 v6, 0x3b800000
	v_and_b32_e32 v3, 0x80000000, v9
	v_lshlrev_b32_e32 v2, 20, v2
	v_lshl_add_u32 v4, v4, 23, v6
	v_or3_b32 v2, v3, v4, v2
.LBB28_1532:
	s_or_b64 exec, exec, s[6:7]
	s_movk_i32 s4, 0x7f
	v_cmp_gt_i16_sdwa s[6:7], v5, s4 src0_sel:BYTE_3 src1_sel:DWORD
	s_mov_b64 s[4:5], 0
                                        ; implicit-def: $sgpr10
	s_and_saveexec_b64 s[8:9], s[6:7]
	s_xor_b64 s[6:7], exec, s[8:9]
	s_cbranch_execnz .LBB28_3581
; %bb.1533:
	s_or_saveexec_b64 s[6:7], s[6:7]
	v_mov_b32_e32 v3, s10
	s_xor_b64 exec, exec, s[6:7]
	s_cbranch_execnz .LBB28_3584
.LBB28_1534:
	s_or_b64 exec, exec, s[6:7]
	s_and_saveexec_b64 s[6:7], s[4:5]
	s_cbranch_execz .LBB28_1536
.LBB28_1535:
	v_bfe_u32 v3, v5, 24, 3
	v_ffbh_u32_e32 v8, v3
	v_min_u32_e32 v8, 32, v8
	v_lshrrev_b32_e32 v6, 27, v5
	v_subrev_u32_e32 v9, 28, v8
	v_and_b32_e32 v4, 0x80000000, v5
	v_and_b32_e32 v6, 15, v6
	v_bfe_u32 v7, v5, 27, 4
	v_lshlrev_b32_sdwa v5, v9, v5 dst_sel:DWORD dst_unused:UNUSED_PAD src0_sel:DWORD src1_sel:BYTE_3
	v_sub_u32_e32 v8, 29, v8
	v_and_b32_e32 v5, 7, v5
	v_cmp_eq_u16_e32 vcc, 0, v6
	v_cndmask_b32_e32 v3, v3, v5, vcc
	v_cndmask_b32_e32 v5, v7, v8, vcc
	v_mov_b32_e32 v6, 0x3b800000
	v_lshlrev_b32_e32 v3, 20, v3
	v_lshl_add_u32 v5, v5, 23, v6
	v_or3_b32 v3, v4, v5, v3
.LBB28_1536:
	s_or_b64 exec, exec, s[6:7]
	s_nop 0
	v_mfma_f32_16x16x4f32 a[0:3], v2, v3, a[0:3]
	s_movk_i32 s4, 0x7f
                                        ; implicit-def: $sgpr10
	s_nop 7
	s_nop 1
	flat_store_dwordx4 v[18:19], a[0:3] offset:80
	flat_load_dwordx4 v[20:23], v[0:1] offset:16
	s_nop 0
	flat_load_dwordx2 v[18:19], v[0:1] offset:32
	s_waitcnt vmcnt(0) lgkmcnt(0)
	flat_load_dwordx4 v[14:17], v[20:21]
	flat_load_dwordx4 v[6:9], v[20:21] offset:16
	flat_load_dwordx4 v[10:13], v[22:23] offset:192
	;; [unrolled: 1-line block ×3, first 2 shown]
	s_waitcnt vmcnt(0) lgkmcnt(0)
	v_cmp_gt_i16_sdwa s[6:7], v14, s4 src0_sel:BYTE_0 src1_sel:DWORD
	s_mov_b64 s[4:5], 0
	s_and_saveexec_b64 s[8:9], s[6:7]
	s_xor_b64 s[6:7], exec, s[8:9]
	s_cbranch_execnz .LBB28_3585
; %bb.1537:
	s_or_saveexec_b64 s[6:7], s[6:7]
	v_mov_b32_e32 v20, s10
	s_xor_b64 exec, exec, s[6:7]
	s_cbranch_execnz .LBB28_3588
.LBB28_1538:
	s_or_b64 exec, exec, s[6:7]
	s_and_saveexec_b64 s[6:7], s[4:5]
	s_cbranch_execz .LBB28_1540
.LBB28_1539:
	v_and_b32_e32 v20, 7, v14
	v_ffbh_u32_e32 v22, v20
	v_min_u32_e32 v22, 32, v22
	v_lshrrev_b16_e32 v21, 3, v14
	v_subrev_u32_e32 v23, 28, v22
	v_and_b32_e32 v21, 15, v21
	v_lshlrev_b32_e32 v23, v23, v14
	v_sub_u32_e32 v22, 29, v22
	v_and_b32_e32 v23, 7, v23
	v_cmp_eq_u16_e32 vcc, 0, v21
	v_cndmask_b32_e32 v20, v20, v23, vcc
	v_cndmask_b32_e32 v21, v21, v22, vcc
	v_lshlrev_b32_e32 v22, 24, v14
	v_mov_b32_e32 v23, 0x3b800000
	v_lshlrev_b32_e32 v20, 20, v20
	v_and_b32_e32 v22, 0x80000000, v22
	v_lshl_add_u32 v21, v21, 23, v23
	v_or3_b32 v20, v22, v21, v20
.LBB28_1540:
	s_or_b64 exec, exec, s[6:7]
	s_movk_i32 s4, 0x7f
	v_cmp_gt_i16_sdwa s[6:7], v10, s4 src0_sel:BYTE_0 src1_sel:DWORD
	s_mov_b64 s[4:5], 0
                                        ; implicit-def: $sgpr10
	s_and_saveexec_b64 s[8:9], s[6:7]
	s_xor_b64 s[6:7], exec, s[8:9]
	s_cbranch_execnz .LBB28_3589
; %bb.1541:
	s_or_saveexec_b64 s[6:7], s[6:7]
	v_mov_b32_e32 v21, s10
	s_xor_b64 exec, exec, s[6:7]
	s_cbranch_execnz .LBB28_3592
.LBB28_1542:
	s_or_b64 exec, exec, s[6:7]
	s_and_saveexec_b64 s[6:7], s[4:5]
	s_cbranch_execz .LBB28_1544
.LBB28_1543:
	v_and_b32_e32 v21, 7, v10
	v_ffbh_u32_e32 v23, v21
	v_min_u32_e32 v23, 32, v23
	v_lshrrev_b16_e32 v22, 3, v10
	v_subrev_u32_e32 v24, 28, v23
	v_and_b32_e32 v22, 15, v22
	v_lshlrev_b32_e32 v24, v24, v10
	v_sub_u32_e32 v23, 29, v23
	v_and_b32_e32 v24, 7, v24
	v_cmp_eq_u16_e32 vcc, 0, v22
	v_cndmask_b32_e32 v21, v21, v24, vcc
	v_cndmask_b32_e32 v22, v22, v23, vcc
	v_lshlrev_b32_e32 v23, 24, v10
	v_mov_b32_e32 v24, 0x3b800000
	v_lshlrev_b32_e32 v21, 20, v21
	v_and_b32_e32 v23, 0x80000000, v23
	v_lshl_add_u32 v22, v22, 23, v24
	v_or3_b32 v21, v23, v22, v21
.LBB28_1544:
	s_or_b64 exec, exec, s[6:7]
	flat_load_dwordx4 a[0:3], v[18:19] offset:96
	s_movk_i32 s4, 0x7f
                                        ; implicit-def: $sgpr10
	s_waitcnt vmcnt(0) lgkmcnt(0)
	v_mfma_f32_16x16x4f32 a[0:3], v20, v21, a[0:3]
	v_lshrrev_b32_e32 v21, 8, v14
	v_cmp_gt_i16_sdwa s[6:7], v21, s4 src0_sel:BYTE_0 src1_sel:DWORD
	s_mov_b64 s[4:5], 0
	s_and_saveexec_b64 s[8:9], s[6:7]
	s_xor_b64 s[6:7], exec, s[8:9]
	s_cbranch_execnz .LBB28_3593
; %bb.1545:
	s_or_saveexec_b64 s[6:7], s[6:7]
	v_mov_b32_e32 v20, s10
	s_xor_b64 exec, exec, s[6:7]
	s_cbranch_execnz .LBB28_3596
.LBB28_1546:
	s_or_b64 exec, exec, s[6:7]
	s_and_saveexec_b64 s[6:7], s[4:5]
	s_cbranch_execz .LBB28_1548
.LBB28_1547:
	v_bfe_u32 v20, v14, 8, 3
	v_ffbh_u32_e32 v23, v20
	v_min_u32_e32 v23, 32, v23
	v_lshrrev_b16_e32 v22, 3, v21
	v_subrev_u32_e32 v24, 28, v23
	v_and_b32_e32 v22, 15, v22
	v_lshlrev_b32_e32 v21, v24, v21
	v_sub_u32_e32 v23, 29, v23
	v_and_b32_e32 v21, 7, v21
	v_cmp_eq_u16_e32 vcc, 0, v22
	v_cndmask_b32_e32 v20, v20, v21, vcc
	v_cndmask_b32_e32 v21, v22, v23, vcc
	v_lshlrev_b32_e32 v22, 16, v14
	v_mov_b32_e32 v23, 0x3b800000
	v_lshlrev_b32_e32 v20, 20, v20
	v_and_b32_e32 v22, 0x80000000, v22
	v_lshl_add_u32 v21, v21, 23, v23
	v_or3_b32 v20, v22, v21, v20
.LBB28_1548:
	s_or_b64 exec, exec, s[6:7]
	v_lshrrev_b32_e32 v21, 8, v10
	s_movk_i32 s4, 0x7f
	v_cmp_gt_i16_sdwa s[6:7], v21, s4 src0_sel:BYTE_0 src1_sel:DWORD
	s_mov_b64 s[4:5], 0
                                        ; implicit-def: $sgpr10
	s_and_saveexec_b64 s[8:9], s[6:7]
	s_xor_b64 s[6:7], exec, s[8:9]
	s_cbranch_execnz .LBB28_3597
; %bb.1549:
	s_or_saveexec_b64 s[6:7], s[6:7]
	v_mov_b32_e32 v22, s10
	s_xor_b64 exec, exec, s[6:7]
	s_cbranch_execnz .LBB28_3600
.LBB28_1550:
	s_or_b64 exec, exec, s[6:7]
	s_and_saveexec_b64 s[6:7], s[4:5]
	s_cbranch_execz .LBB28_1552
.LBB28_1551:
	v_bfe_u32 v22, v10, 8, 3
	v_ffbh_u32_e32 v24, v22
	v_min_u32_e32 v24, 32, v24
	v_lshrrev_b16_e32 v23, 3, v21
	v_subrev_u32_e32 v25, 28, v24
	v_and_b32_e32 v23, 15, v23
	v_lshlrev_b32_e32 v21, v25, v21
	v_sub_u32_e32 v24, 29, v24
	v_and_b32_e32 v21, 7, v21
	v_cmp_eq_u16_e32 vcc, 0, v23
	v_cndmask_b32_e32 v21, v22, v21, vcc
	v_cndmask_b32_e32 v22, v23, v24, vcc
	v_lshlrev_b32_e32 v23, 16, v10
	v_mov_b32_e32 v24, 0x3b800000
	v_lshlrev_b32_e32 v21, 20, v21
	v_and_b32_e32 v23, 0x80000000, v23
	v_lshl_add_u32 v22, v22, 23, v24
	v_or3_b32 v22, v23, v22, v21
.LBB28_1552:
	s_or_b64 exec, exec, s[6:7]
	s_nop 0
	v_mfma_f32_16x16x4f32 a[0:3], v20, v22, a[0:3]
	s_movk_i32 s4, 0xff
	v_and_b32_sdwa v21, v14, s4 dst_sel:DWORD dst_unused:UNUSED_PAD src0_sel:WORD_1 src1_sel:DWORD
	s_movk_i32 s4, 0x7f
	v_cmp_lt_i16_e32 vcc, s4, v21
	s_mov_b64 s[4:5], 0
                                        ; implicit-def: $sgpr10
	s_and_saveexec_b64 s[6:7], vcc
	s_xor_b64 s[6:7], exec, s[6:7]
	s_cbranch_execnz .LBB28_3601
; %bb.1553:
	s_or_saveexec_b64 s[6:7], s[6:7]
	v_mov_b32_e32 v20, s10
	s_xor_b64 exec, exec, s[6:7]
	s_cbranch_execnz .LBB28_3604
.LBB28_1554:
	s_or_b64 exec, exec, s[6:7]
	s_and_saveexec_b64 s[6:7], s[4:5]
	s_cbranch_execz .LBB28_1556
.LBB28_1555:
	v_bfe_u32 v20, v14, 16, 3
	v_ffbh_u32_e32 v23, v20
	v_min_u32_e32 v23, 32, v23
	v_lshrrev_b32_e32 v21, 19, v14
	v_subrev_u32_e32 v24, 28, v23
	v_and_b32_e32 v21, 15, v21
	v_lshlrev_b32_sdwa v24, v24, v14 dst_sel:DWORD dst_unused:UNUSED_PAD src0_sel:DWORD src1_sel:WORD_1
	v_bfe_u32 v22, v14, 19, 4
	v_sub_u32_e32 v23, 29, v23
	v_and_b32_e32 v24, 7, v24
	v_cmp_eq_u16_e32 vcc, 0, v21
	v_cndmask_b32_e32 v20, v20, v24, vcc
	v_cndmask_b32_e32 v21, v22, v23, vcc
	v_lshlrev_b32_e32 v22, 8, v14
	v_mov_b32_e32 v23, 0x3b800000
	v_lshlrev_b32_e32 v20, 20, v20
	v_and_b32_e32 v22, 0x80000000, v22
	v_lshl_add_u32 v21, v21, 23, v23
	v_or3_b32 v20, v22, v21, v20
.LBB28_1556:
	s_or_b64 exec, exec, s[6:7]
	s_movk_i32 s4, 0xff
	v_and_b32_sdwa v21, v10, s4 dst_sel:DWORD dst_unused:UNUSED_PAD src0_sel:WORD_1 src1_sel:DWORD
	s_movk_i32 s4, 0x7f
	v_cmp_lt_i16_e32 vcc, s4, v21
	s_mov_b64 s[4:5], 0
                                        ; implicit-def: $sgpr10
	s_and_saveexec_b64 s[6:7], vcc
	s_xor_b64 s[6:7], exec, s[6:7]
	s_cbranch_execnz .LBB28_3605
; %bb.1557:
	s_or_saveexec_b64 s[6:7], s[6:7]
	v_mov_b32_e32 v22, s10
	s_xor_b64 exec, exec, s[6:7]
	s_cbranch_execnz .LBB28_3608
.LBB28_1558:
	s_or_b64 exec, exec, s[6:7]
	s_and_saveexec_b64 s[6:7], s[4:5]
	s_cbranch_execz .LBB28_1560
.LBB28_1559:
	v_bfe_u32 v21, v10, 16, 3
	v_ffbh_u32_e32 v24, v21
	v_min_u32_e32 v24, 32, v24
	v_lshrrev_b32_e32 v22, 19, v10
	v_subrev_u32_e32 v25, 28, v24
	v_and_b32_e32 v22, 15, v22
	v_lshlrev_b32_sdwa v25, v25, v10 dst_sel:DWORD dst_unused:UNUSED_PAD src0_sel:DWORD src1_sel:WORD_1
	v_bfe_u32 v23, v10, 19, 4
	v_sub_u32_e32 v24, 29, v24
	v_and_b32_e32 v25, 7, v25
	v_cmp_eq_u16_e32 vcc, 0, v22
	v_cndmask_b32_e32 v21, v21, v25, vcc
	v_cndmask_b32_e32 v22, v23, v24, vcc
	v_lshlrev_b32_e32 v23, 8, v10
	v_mov_b32_e32 v24, 0x3b800000
	v_lshlrev_b32_e32 v21, 20, v21
	v_and_b32_e32 v23, 0x80000000, v23
	v_lshl_add_u32 v22, v22, 23, v24
	v_or3_b32 v22, v23, v22, v21
.LBB28_1560:
	s_or_b64 exec, exec, s[6:7]
	s_nop 0
	v_mfma_f32_16x16x4f32 a[0:3], v20, v22, a[0:3]
	s_movk_i32 s4, 0x7f
	v_cmp_gt_i16_sdwa s[6:7], v14, s4 src0_sel:BYTE_3 src1_sel:DWORD
	s_mov_b64 s[4:5], 0
                                        ; implicit-def: $sgpr10
	s_and_saveexec_b64 s[8:9], s[6:7]
	s_xor_b64 s[6:7], exec, s[8:9]
	s_cbranch_execnz .LBB28_3609
; %bb.1561:
	s_or_saveexec_b64 s[6:7], s[6:7]
	v_mov_b32_e32 v20, s10
	s_xor_b64 exec, exec, s[6:7]
	s_cbranch_execnz .LBB28_3612
.LBB28_1562:
	s_or_b64 exec, exec, s[6:7]
	s_and_saveexec_b64 s[6:7], s[4:5]
	s_cbranch_execz .LBB28_1564
.LBB28_1563:
	v_bfe_u32 v20, v14, 24, 3
	v_ffbh_u32_e32 v24, v20
	v_min_u32_e32 v24, 32, v24
	v_lshrrev_b32_e32 v22, 27, v14
	v_subrev_u32_e32 v25, 28, v24
	v_and_b32_e32 v21, 0x80000000, v14
	v_and_b32_e32 v22, 15, v22
	v_bfe_u32 v23, v14, 27, 4
	v_lshlrev_b32_sdwa v14, v25, v14 dst_sel:DWORD dst_unused:UNUSED_PAD src0_sel:DWORD src1_sel:BYTE_3
	v_sub_u32_e32 v24, 29, v24
	v_and_b32_e32 v14, 7, v14
	v_cmp_eq_u16_e32 vcc, 0, v22
	v_cndmask_b32_e32 v14, v20, v14, vcc
	v_cndmask_b32_e32 v20, v23, v24, vcc
	v_mov_b32_e32 v22, 0x3b800000
	v_lshlrev_b32_e32 v14, 20, v14
	v_lshl_add_u32 v20, v20, 23, v22
	v_or3_b32 v20, v21, v20, v14
.LBB28_1564:
	s_or_b64 exec, exec, s[6:7]
	s_movk_i32 s4, 0x7f
	v_cmp_gt_i16_sdwa s[6:7], v10, s4 src0_sel:BYTE_3 src1_sel:DWORD
	s_mov_b64 s[4:5], 0
                                        ; implicit-def: $sgpr10
	s_and_saveexec_b64 s[8:9], s[6:7]
	s_xor_b64 s[6:7], exec, s[8:9]
	s_cbranch_execnz .LBB28_3613
; %bb.1565:
	s_or_saveexec_b64 s[6:7], s[6:7]
	v_mov_b32_e32 v14, s10
	s_xor_b64 exec, exec, s[6:7]
	s_cbranch_execnz .LBB28_3616
.LBB28_1566:
	s_or_b64 exec, exec, s[6:7]
	s_and_saveexec_b64 s[6:7], s[4:5]
	s_cbranch_execz .LBB28_1568
.LBB28_1567:
	v_bfe_u32 v14, v10, 24, 3
	v_ffbh_u32_e32 v24, v14
	v_min_u32_e32 v24, 32, v24
	v_lshrrev_b32_e32 v22, 27, v10
	v_subrev_u32_e32 v25, 28, v24
	v_and_b32_e32 v21, 0x80000000, v10
	v_and_b32_e32 v22, 15, v22
	v_bfe_u32 v23, v10, 27, 4
	v_lshlrev_b32_sdwa v10, v25, v10 dst_sel:DWORD dst_unused:UNUSED_PAD src0_sel:DWORD src1_sel:BYTE_3
	v_sub_u32_e32 v24, 29, v24
	v_and_b32_e32 v10, 7, v10
	v_cmp_eq_u16_e32 vcc, 0, v22
	v_cndmask_b32_e32 v10, v14, v10, vcc
	v_cndmask_b32_e32 v14, v23, v24, vcc
	v_mov_b32_e32 v22, 0x3b800000
	v_lshlrev_b32_e32 v10, 20, v10
	v_lshl_add_u32 v14, v14, 23, v22
	v_or3_b32 v14, v21, v14, v10
.LBB28_1568:
	s_or_b64 exec, exec, s[6:7]
	s_nop 0
	v_mfma_f32_16x16x4f32 a[0:3], v20, v14, a[0:3]
	s_movk_i32 s4, 0x7f
	v_cmp_gt_i16_sdwa s[6:7], v15, s4 src0_sel:BYTE_0 src1_sel:DWORD
	s_mov_b64 s[4:5], 0
                                        ; implicit-def: $sgpr10
	s_and_saveexec_b64 s[8:9], s[6:7]
	s_xor_b64 s[6:7], exec, s[8:9]
	s_cbranch_execnz .LBB28_3617
; %bb.1569:
	s_or_saveexec_b64 s[6:7], s[6:7]
	v_mov_b32_e32 v10, s10
	s_xor_b64 exec, exec, s[6:7]
	s_cbranch_execnz .LBB28_3620
.LBB28_1570:
	s_or_b64 exec, exec, s[6:7]
	s_and_saveexec_b64 s[6:7], s[4:5]
	s_cbranch_execz .LBB28_1572
.LBB28_1571:
	v_and_b32_e32 v10, 7, v15
	v_ffbh_u32_e32 v20, v10
	v_min_u32_e32 v20, 32, v20
	v_lshrrev_b16_e32 v14, 3, v15
	v_subrev_u32_e32 v21, 28, v20
	v_and_b32_e32 v14, 15, v14
	v_lshlrev_b32_e32 v21, v21, v15
	v_sub_u32_e32 v20, 29, v20
	v_and_b32_e32 v21, 7, v21
	v_cmp_eq_u16_e32 vcc, 0, v14
	v_cndmask_b32_e32 v10, v10, v21, vcc
	v_cndmask_b32_e32 v14, v14, v20, vcc
	v_lshlrev_b32_e32 v20, 24, v15
	v_mov_b32_e32 v21, 0x3b800000
	v_lshlrev_b32_e32 v10, 20, v10
	v_and_b32_e32 v20, 0x80000000, v20
	v_lshl_add_u32 v14, v14, 23, v21
	v_or3_b32 v10, v20, v14, v10
.LBB28_1572:
	s_or_b64 exec, exec, s[6:7]
	s_movk_i32 s4, 0x7f
	v_cmp_gt_i16_sdwa s[6:7], v11, s4 src0_sel:BYTE_0 src1_sel:DWORD
	s_mov_b64 s[4:5], 0
                                        ; implicit-def: $sgpr10
	s_and_saveexec_b64 s[8:9], s[6:7]
	s_xor_b64 s[6:7], exec, s[8:9]
	s_cbranch_execnz .LBB28_3621
; %bb.1573:
	s_or_saveexec_b64 s[6:7], s[6:7]
	v_mov_b32_e32 v14, s10
	s_xor_b64 exec, exec, s[6:7]
	s_cbranch_execnz .LBB28_3624
.LBB28_1574:
	s_or_b64 exec, exec, s[6:7]
	s_and_saveexec_b64 s[6:7], s[4:5]
	s_cbranch_execz .LBB28_1576
.LBB28_1575:
	v_and_b32_e32 v14, 7, v11
	v_ffbh_u32_e32 v21, v14
	v_min_u32_e32 v21, 32, v21
	v_lshrrev_b16_e32 v20, 3, v11
	v_subrev_u32_e32 v22, 28, v21
	v_and_b32_e32 v20, 15, v20
	v_lshlrev_b32_e32 v22, v22, v11
	v_sub_u32_e32 v21, 29, v21
	v_and_b32_e32 v22, 7, v22
	v_cmp_eq_u16_e32 vcc, 0, v20
	v_cndmask_b32_e32 v14, v14, v22, vcc
	v_cndmask_b32_e32 v20, v20, v21, vcc
	v_lshlrev_b32_e32 v21, 24, v11
	v_mov_b32_e32 v22, 0x3b800000
	v_lshlrev_b32_e32 v14, 20, v14
	v_and_b32_e32 v21, 0x80000000, v21
	v_lshl_add_u32 v20, v20, 23, v22
	v_or3_b32 v14, v21, v20, v14
.LBB28_1576:
	s_or_b64 exec, exec, s[6:7]
	s_nop 0
	v_mfma_f32_16x16x4f32 a[0:3], v10, v14, a[0:3]
	v_lshrrev_b32_e32 v14, 8, v15
	s_movk_i32 s4, 0x7f
	v_cmp_gt_i16_sdwa s[6:7], v14, s4 src0_sel:BYTE_0 src1_sel:DWORD
	s_mov_b64 s[4:5], 0
                                        ; implicit-def: $sgpr10
	s_and_saveexec_b64 s[8:9], s[6:7]
	s_xor_b64 s[6:7], exec, s[8:9]
	s_cbranch_execnz .LBB28_3625
; %bb.1577:
	s_or_saveexec_b64 s[6:7], s[6:7]
	v_mov_b32_e32 v10, s10
	s_xor_b64 exec, exec, s[6:7]
	s_cbranch_execnz .LBB28_3628
.LBB28_1578:
	s_or_b64 exec, exec, s[6:7]
	s_and_saveexec_b64 s[6:7], s[4:5]
	s_cbranch_execz .LBB28_1580
.LBB28_1579:
	v_bfe_u32 v10, v15, 8, 3
	v_ffbh_u32_e32 v21, v10
	v_min_u32_e32 v21, 32, v21
	v_lshrrev_b16_e32 v20, 3, v14
	v_subrev_u32_e32 v22, 28, v21
	v_and_b32_e32 v20, 15, v20
	v_lshlrev_b32_e32 v14, v22, v14
	v_sub_u32_e32 v21, 29, v21
	v_and_b32_e32 v14, 7, v14
	v_cmp_eq_u16_e32 vcc, 0, v20
	v_cndmask_b32_e32 v10, v10, v14, vcc
	v_cndmask_b32_e32 v14, v20, v21, vcc
	v_lshlrev_b32_e32 v20, 16, v15
	v_mov_b32_e32 v21, 0x3b800000
	v_lshlrev_b32_e32 v10, 20, v10
	v_and_b32_e32 v20, 0x80000000, v20
	v_lshl_add_u32 v14, v14, 23, v21
	v_or3_b32 v10, v20, v14, v10
.LBB28_1580:
	s_or_b64 exec, exec, s[6:7]
	v_lshrrev_b32_e32 v14, 8, v11
	s_movk_i32 s4, 0x7f
	v_cmp_gt_i16_sdwa s[6:7], v14, s4 src0_sel:BYTE_0 src1_sel:DWORD
	s_mov_b64 s[4:5], 0
                                        ; implicit-def: $sgpr10
	s_and_saveexec_b64 s[8:9], s[6:7]
	s_xor_b64 s[6:7], exec, s[8:9]
	s_cbranch_execnz .LBB28_3629
; %bb.1581:
	s_or_saveexec_b64 s[6:7], s[6:7]
	v_mov_b32_e32 v20, s10
	s_xor_b64 exec, exec, s[6:7]
	s_cbranch_execnz .LBB28_3632
.LBB28_1582:
	s_or_b64 exec, exec, s[6:7]
	s_and_saveexec_b64 s[6:7], s[4:5]
	s_cbranch_execz .LBB28_1584
.LBB28_1583:
	v_bfe_u32 v20, v11, 8, 3
	v_ffbh_u32_e32 v22, v20
	v_min_u32_e32 v22, 32, v22
	v_lshrrev_b16_e32 v21, 3, v14
	v_subrev_u32_e32 v23, 28, v22
	v_and_b32_e32 v21, 15, v21
	v_lshlrev_b32_e32 v14, v23, v14
	v_sub_u32_e32 v22, 29, v22
	v_and_b32_e32 v14, 7, v14
	v_cmp_eq_u16_e32 vcc, 0, v21
	v_cndmask_b32_e32 v14, v20, v14, vcc
	v_cndmask_b32_e32 v20, v21, v22, vcc
	v_lshlrev_b32_e32 v21, 16, v11
	v_mov_b32_e32 v22, 0x3b800000
	v_lshlrev_b32_e32 v14, 20, v14
	v_and_b32_e32 v21, 0x80000000, v21
	v_lshl_add_u32 v20, v20, 23, v22
	v_or3_b32 v20, v21, v20, v14
.LBB28_1584:
	s_or_b64 exec, exec, s[6:7]
	s_nop 0
	v_mfma_f32_16x16x4f32 a[0:3], v10, v20, a[0:3]
	s_movk_i32 s4, 0xff
	v_and_b32_sdwa v14, v15, s4 dst_sel:DWORD dst_unused:UNUSED_PAD src0_sel:WORD_1 src1_sel:DWORD
	s_movk_i32 s4, 0x7f
	v_cmp_lt_i16_e32 vcc, s4, v14
	s_mov_b64 s[4:5], 0
                                        ; implicit-def: $sgpr10
	s_and_saveexec_b64 s[6:7], vcc
	s_xor_b64 s[6:7], exec, s[6:7]
	s_cbranch_execnz .LBB28_3633
; %bb.1585:
	s_or_saveexec_b64 s[6:7], s[6:7]
	v_mov_b32_e32 v10, s10
	s_xor_b64 exec, exec, s[6:7]
	s_cbranch_execnz .LBB28_3636
.LBB28_1586:
	s_or_b64 exec, exec, s[6:7]
	s_and_saveexec_b64 s[6:7], s[4:5]
	s_cbranch_execz .LBB28_1588
.LBB28_1587:
	v_bfe_u32 v10, v15, 16, 3
	v_ffbh_u32_e32 v21, v10
	v_min_u32_e32 v21, 32, v21
	v_lshrrev_b32_e32 v14, 19, v15
	v_subrev_u32_e32 v22, 28, v21
	v_and_b32_e32 v14, 15, v14
	v_lshlrev_b32_sdwa v22, v22, v15 dst_sel:DWORD dst_unused:UNUSED_PAD src0_sel:DWORD src1_sel:WORD_1
	v_bfe_u32 v20, v15, 19, 4
	v_sub_u32_e32 v21, 29, v21
	v_and_b32_e32 v22, 7, v22
	v_cmp_eq_u16_e32 vcc, 0, v14
	v_cndmask_b32_e32 v10, v10, v22, vcc
	v_cndmask_b32_e32 v14, v20, v21, vcc
	v_lshlrev_b32_e32 v20, 8, v15
	v_mov_b32_e32 v21, 0x3b800000
	v_lshlrev_b32_e32 v10, 20, v10
	v_and_b32_e32 v20, 0x80000000, v20
	v_lshl_add_u32 v14, v14, 23, v21
	v_or3_b32 v10, v20, v14, v10
.LBB28_1588:
	s_or_b64 exec, exec, s[6:7]
	s_movk_i32 s4, 0xff
	v_and_b32_sdwa v14, v11, s4 dst_sel:DWORD dst_unused:UNUSED_PAD src0_sel:WORD_1 src1_sel:DWORD
	s_movk_i32 s4, 0x7f
	v_cmp_lt_i16_e32 vcc, s4, v14
	s_mov_b64 s[4:5], 0
                                        ; implicit-def: $sgpr10
	s_and_saveexec_b64 s[6:7], vcc
	s_xor_b64 s[6:7], exec, s[6:7]
	s_cbranch_execnz .LBB28_3637
; %bb.1589:
	s_or_saveexec_b64 s[6:7], s[6:7]
	v_mov_b32_e32 v20, s10
	s_xor_b64 exec, exec, s[6:7]
	s_cbranch_execnz .LBB28_3640
.LBB28_1590:
	s_or_b64 exec, exec, s[6:7]
	s_and_saveexec_b64 s[6:7], s[4:5]
	s_cbranch_execz .LBB28_1592
.LBB28_1591:
	v_bfe_u32 v14, v11, 16, 3
	v_ffbh_u32_e32 v22, v14
	v_min_u32_e32 v22, 32, v22
	v_lshrrev_b32_e32 v20, 19, v11
	v_subrev_u32_e32 v23, 28, v22
	v_and_b32_e32 v20, 15, v20
	v_lshlrev_b32_sdwa v23, v23, v11 dst_sel:DWORD dst_unused:UNUSED_PAD src0_sel:DWORD src1_sel:WORD_1
	v_bfe_u32 v21, v11, 19, 4
	v_sub_u32_e32 v22, 29, v22
	v_and_b32_e32 v23, 7, v23
	v_cmp_eq_u16_e32 vcc, 0, v20
	v_cndmask_b32_e32 v14, v14, v23, vcc
	v_cndmask_b32_e32 v20, v21, v22, vcc
	v_lshlrev_b32_e32 v21, 8, v11
	v_mov_b32_e32 v22, 0x3b800000
	v_lshlrev_b32_e32 v14, 20, v14
	v_and_b32_e32 v21, 0x80000000, v21
	v_lshl_add_u32 v20, v20, 23, v22
	v_or3_b32 v20, v21, v20, v14
.LBB28_1592:
	s_or_b64 exec, exec, s[6:7]
	s_nop 0
	v_mfma_f32_16x16x4f32 a[0:3], v10, v20, a[0:3]
	s_movk_i32 s4, 0x7f
	v_cmp_gt_i16_sdwa s[6:7], v15, s4 src0_sel:BYTE_3 src1_sel:DWORD
	s_mov_b64 s[4:5], 0
                                        ; implicit-def: $sgpr10
	s_and_saveexec_b64 s[8:9], s[6:7]
	s_xor_b64 s[6:7], exec, s[8:9]
	s_cbranch_execnz .LBB28_3641
; %bb.1593:
	s_or_saveexec_b64 s[6:7], s[6:7]
	v_mov_b32_e32 v10, s10
	s_xor_b64 exec, exec, s[6:7]
	s_cbranch_execnz .LBB28_3644
.LBB28_1594:
	s_or_b64 exec, exec, s[6:7]
	s_and_saveexec_b64 s[6:7], s[4:5]
	s_cbranch_execz .LBB28_1596
.LBB28_1595:
	v_bfe_u32 v10, v15, 24, 3
	v_ffbh_u32_e32 v22, v10
	v_min_u32_e32 v22, 32, v22
	v_lshrrev_b32_e32 v20, 27, v15
	v_subrev_u32_e32 v23, 28, v22
	v_and_b32_e32 v14, 0x80000000, v15
	v_and_b32_e32 v20, 15, v20
	v_bfe_u32 v21, v15, 27, 4
	v_lshlrev_b32_sdwa v15, v23, v15 dst_sel:DWORD dst_unused:UNUSED_PAD src0_sel:DWORD src1_sel:BYTE_3
	v_sub_u32_e32 v22, 29, v22
	v_and_b32_e32 v15, 7, v15
	v_cmp_eq_u16_e32 vcc, 0, v20
	v_cndmask_b32_e32 v10, v10, v15, vcc
	v_cndmask_b32_e32 v15, v21, v22, vcc
	v_mov_b32_e32 v20, 0x3b800000
	v_lshlrev_b32_e32 v10, 20, v10
	v_lshl_add_u32 v15, v15, 23, v20
	v_or3_b32 v10, v14, v15, v10
.LBB28_1596:
	s_or_b64 exec, exec, s[6:7]
	s_movk_i32 s4, 0x7f
	v_cmp_gt_i16_sdwa s[6:7], v11, s4 src0_sel:BYTE_3 src1_sel:DWORD
	s_mov_b64 s[4:5], 0
                                        ; implicit-def: $sgpr10
	s_and_saveexec_b64 s[8:9], s[6:7]
	s_xor_b64 s[6:7], exec, s[8:9]
	s_cbranch_execnz .LBB28_3645
; %bb.1597:
	s_or_saveexec_b64 s[6:7], s[6:7]
	v_mov_b32_e32 v14, s10
	s_xor_b64 exec, exec, s[6:7]
	s_cbranch_execnz .LBB28_3648
.LBB28_1598:
	s_or_b64 exec, exec, s[6:7]
	s_and_saveexec_b64 s[6:7], s[4:5]
	s_cbranch_execz .LBB28_1600
.LBB28_1599:
	v_bfe_u32 v14, v11, 24, 3
	v_ffbh_u32_e32 v22, v14
	v_min_u32_e32 v22, 32, v22
	v_lshrrev_b32_e32 v20, 27, v11
	v_subrev_u32_e32 v23, 28, v22
	v_and_b32_e32 v15, 0x80000000, v11
	v_and_b32_e32 v20, 15, v20
	v_bfe_u32 v21, v11, 27, 4
	v_lshlrev_b32_sdwa v11, v23, v11 dst_sel:DWORD dst_unused:UNUSED_PAD src0_sel:DWORD src1_sel:BYTE_3
	v_sub_u32_e32 v22, 29, v22
	v_and_b32_e32 v11, 7, v11
	v_cmp_eq_u16_e32 vcc, 0, v20
	v_cndmask_b32_e32 v11, v14, v11, vcc
	v_cndmask_b32_e32 v14, v21, v22, vcc
	v_mov_b32_e32 v20, 0x3b800000
	v_lshlrev_b32_e32 v11, 20, v11
	v_lshl_add_u32 v14, v14, 23, v20
	v_or3_b32 v14, v15, v14, v11
.LBB28_1600:
	s_or_b64 exec, exec, s[6:7]
	s_nop 0
	v_mfma_f32_16x16x4f32 a[0:3], v10, v14, a[0:3]
	s_movk_i32 s4, 0x7f
	v_cmp_gt_i16_sdwa s[6:7], v16, s4 src0_sel:BYTE_0 src1_sel:DWORD
	s_mov_b64 s[4:5], 0
                                        ; implicit-def: $sgpr10
	s_and_saveexec_b64 s[8:9], s[6:7]
	s_xor_b64 s[6:7], exec, s[8:9]
	s_cbranch_execnz .LBB28_3649
; %bb.1601:
	s_or_saveexec_b64 s[6:7], s[6:7]
	v_mov_b32_e32 v10, s10
	s_xor_b64 exec, exec, s[6:7]
	s_cbranch_execnz .LBB28_3652
.LBB28_1602:
	s_or_b64 exec, exec, s[6:7]
	s_and_saveexec_b64 s[6:7], s[4:5]
	s_cbranch_execz .LBB28_1604
.LBB28_1603:
	v_and_b32_e32 v10, 7, v16
	v_ffbh_u32_e32 v14, v10
	v_min_u32_e32 v14, 32, v14
	v_lshrrev_b16_e32 v11, 3, v16
	v_subrev_u32_e32 v15, 28, v14
	v_and_b32_e32 v11, 15, v11
	v_lshlrev_b32_e32 v15, v15, v16
	v_sub_u32_e32 v14, 29, v14
	v_and_b32_e32 v15, 7, v15
	v_cmp_eq_u16_e32 vcc, 0, v11
	v_cndmask_b32_e32 v10, v10, v15, vcc
	v_cndmask_b32_e32 v11, v11, v14, vcc
	v_lshlrev_b32_e32 v14, 24, v16
	v_mov_b32_e32 v15, 0x3b800000
	v_lshlrev_b32_e32 v10, 20, v10
	v_and_b32_e32 v14, 0x80000000, v14
	v_lshl_add_u32 v11, v11, 23, v15
	v_or3_b32 v10, v14, v11, v10
.LBB28_1604:
	s_or_b64 exec, exec, s[6:7]
	s_movk_i32 s4, 0x7f
	v_cmp_gt_i16_sdwa s[6:7], v12, s4 src0_sel:BYTE_0 src1_sel:DWORD
	s_mov_b64 s[4:5], 0
                                        ; implicit-def: $sgpr10
	s_and_saveexec_b64 s[8:9], s[6:7]
	s_xor_b64 s[6:7], exec, s[8:9]
	s_cbranch_execnz .LBB28_3653
; %bb.1605:
	s_or_saveexec_b64 s[6:7], s[6:7]
	v_mov_b32_e32 v11, s10
	s_xor_b64 exec, exec, s[6:7]
	s_cbranch_execnz .LBB28_3656
.LBB28_1606:
	s_or_b64 exec, exec, s[6:7]
	s_and_saveexec_b64 s[6:7], s[4:5]
	s_cbranch_execz .LBB28_1608
.LBB28_1607:
	v_and_b32_e32 v11, 7, v12
	v_ffbh_u32_e32 v15, v11
	v_min_u32_e32 v15, 32, v15
	v_lshrrev_b16_e32 v14, 3, v12
	v_subrev_u32_e32 v20, 28, v15
	v_and_b32_e32 v14, 15, v14
	v_lshlrev_b32_e32 v20, v20, v12
	v_sub_u32_e32 v15, 29, v15
	v_and_b32_e32 v20, 7, v20
	v_cmp_eq_u16_e32 vcc, 0, v14
	v_cndmask_b32_e32 v11, v11, v20, vcc
	v_cndmask_b32_e32 v14, v14, v15, vcc
	v_lshlrev_b32_e32 v15, 24, v12
	v_mov_b32_e32 v20, 0x3b800000
	v_lshlrev_b32_e32 v11, 20, v11
	v_and_b32_e32 v15, 0x80000000, v15
	v_lshl_add_u32 v14, v14, 23, v20
	v_or3_b32 v11, v15, v14, v11
.LBB28_1608:
	s_or_b64 exec, exec, s[6:7]
	s_nop 0
	v_mfma_f32_16x16x4f32 a[0:3], v10, v11, a[0:3]
	v_lshrrev_b32_e32 v11, 8, v16
	s_movk_i32 s4, 0x7f
	v_cmp_gt_i16_sdwa s[6:7], v11, s4 src0_sel:BYTE_0 src1_sel:DWORD
	s_mov_b64 s[4:5], 0
                                        ; implicit-def: $sgpr10
	s_and_saveexec_b64 s[8:9], s[6:7]
	s_xor_b64 s[6:7], exec, s[8:9]
	s_cbranch_execnz .LBB28_3657
; %bb.1609:
	s_or_saveexec_b64 s[6:7], s[6:7]
	v_mov_b32_e32 v10, s10
	s_xor_b64 exec, exec, s[6:7]
	s_cbranch_execnz .LBB28_3660
.LBB28_1610:
	s_or_b64 exec, exec, s[6:7]
	s_and_saveexec_b64 s[6:7], s[4:5]
	s_cbranch_execz .LBB28_1612
.LBB28_1611:
	v_bfe_u32 v10, v16, 8, 3
	v_ffbh_u32_e32 v15, v10
	v_min_u32_e32 v15, 32, v15
	v_lshrrev_b16_e32 v14, 3, v11
	v_subrev_u32_e32 v20, 28, v15
	v_and_b32_e32 v14, 15, v14
	v_lshlrev_b32_e32 v11, v20, v11
	v_sub_u32_e32 v15, 29, v15
	v_and_b32_e32 v11, 7, v11
	v_cmp_eq_u16_e32 vcc, 0, v14
	v_cndmask_b32_e32 v10, v10, v11, vcc
	v_cndmask_b32_e32 v11, v14, v15, vcc
	v_lshlrev_b32_e32 v14, 16, v16
	v_mov_b32_e32 v15, 0x3b800000
	v_lshlrev_b32_e32 v10, 20, v10
	v_and_b32_e32 v14, 0x80000000, v14
	v_lshl_add_u32 v11, v11, 23, v15
	v_or3_b32 v10, v14, v11, v10
.LBB28_1612:
	s_or_b64 exec, exec, s[6:7]
	v_lshrrev_b32_e32 v11, 8, v12
	s_movk_i32 s4, 0x7f
	v_cmp_gt_i16_sdwa s[6:7], v11, s4 src0_sel:BYTE_0 src1_sel:DWORD
	s_mov_b64 s[4:5], 0
                                        ; implicit-def: $sgpr10
	s_and_saveexec_b64 s[8:9], s[6:7]
	s_xor_b64 s[6:7], exec, s[8:9]
	s_cbranch_execnz .LBB28_3661
; %bb.1613:
	s_or_saveexec_b64 s[6:7], s[6:7]
	v_mov_b32_e32 v14, s10
	s_xor_b64 exec, exec, s[6:7]
	s_cbranch_execnz .LBB28_3664
.LBB28_1614:
	s_or_b64 exec, exec, s[6:7]
	s_and_saveexec_b64 s[6:7], s[4:5]
	s_cbranch_execz .LBB28_1616
.LBB28_1615:
	v_bfe_u32 v14, v12, 8, 3
	v_ffbh_u32_e32 v20, v14
	v_min_u32_e32 v20, 32, v20
	v_lshrrev_b16_e32 v15, 3, v11
	v_subrev_u32_e32 v21, 28, v20
	v_and_b32_e32 v15, 15, v15
	v_lshlrev_b32_e32 v11, v21, v11
	v_sub_u32_e32 v20, 29, v20
	v_and_b32_e32 v11, 7, v11
	v_cmp_eq_u16_e32 vcc, 0, v15
	v_cndmask_b32_e32 v11, v14, v11, vcc
	v_cndmask_b32_e32 v14, v15, v20, vcc
	v_lshlrev_b32_e32 v15, 16, v12
	v_mov_b32_e32 v20, 0x3b800000
	v_lshlrev_b32_e32 v11, 20, v11
	v_and_b32_e32 v15, 0x80000000, v15
	v_lshl_add_u32 v14, v14, 23, v20
	v_or3_b32 v14, v15, v14, v11
.LBB28_1616:
	s_or_b64 exec, exec, s[6:7]
	s_nop 0
	v_mfma_f32_16x16x4f32 a[0:3], v10, v14, a[0:3]
	s_movk_i32 s4, 0xff
	v_and_b32_sdwa v11, v16, s4 dst_sel:DWORD dst_unused:UNUSED_PAD src0_sel:WORD_1 src1_sel:DWORD
	s_movk_i32 s4, 0x7f
	v_cmp_lt_i16_e32 vcc, s4, v11
	s_mov_b64 s[4:5], 0
                                        ; implicit-def: $sgpr10
	s_and_saveexec_b64 s[6:7], vcc
	s_xor_b64 s[6:7], exec, s[6:7]
	s_cbranch_execnz .LBB28_3665
; %bb.1617:
	s_or_saveexec_b64 s[6:7], s[6:7]
	v_mov_b32_e32 v10, s10
	s_xor_b64 exec, exec, s[6:7]
	s_cbranch_execnz .LBB28_3668
.LBB28_1618:
	s_or_b64 exec, exec, s[6:7]
	s_and_saveexec_b64 s[6:7], s[4:5]
	s_cbranch_execz .LBB28_1620
.LBB28_1619:
	v_bfe_u32 v10, v16, 16, 3
	v_ffbh_u32_e32 v15, v10
	v_min_u32_e32 v15, 32, v15
	v_lshrrev_b32_e32 v11, 19, v16
	v_subrev_u32_e32 v20, 28, v15
	v_and_b32_e32 v11, 15, v11
	v_lshlrev_b32_sdwa v20, v20, v16 dst_sel:DWORD dst_unused:UNUSED_PAD src0_sel:DWORD src1_sel:WORD_1
	v_bfe_u32 v14, v16, 19, 4
	v_sub_u32_e32 v15, 29, v15
	v_and_b32_e32 v20, 7, v20
	v_cmp_eq_u16_e32 vcc, 0, v11
	v_cndmask_b32_e32 v10, v10, v20, vcc
	v_cndmask_b32_e32 v11, v14, v15, vcc
	v_lshlrev_b32_e32 v14, 8, v16
	v_mov_b32_e32 v15, 0x3b800000
	v_lshlrev_b32_e32 v10, 20, v10
	v_and_b32_e32 v14, 0x80000000, v14
	v_lshl_add_u32 v11, v11, 23, v15
	v_or3_b32 v10, v14, v11, v10
.LBB28_1620:
	s_or_b64 exec, exec, s[6:7]
	s_movk_i32 s4, 0xff
	v_and_b32_sdwa v11, v12, s4 dst_sel:DWORD dst_unused:UNUSED_PAD src0_sel:WORD_1 src1_sel:DWORD
	s_movk_i32 s4, 0x7f
	v_cmp_lt_i16_e32 vcc, s4, v11
	s_mov_b64 s[4:5], 0
                                        ; implicit-def: $sgpr10
	s_and_saveexec_b64 s[6:7], vcc
	s_xor_b64 s[6:7], exec, s[6:7]
	s_cbranch_execnz .LBB28_3669
; %bb.1621:
	s_or_saveexec_b64 s[6:7], s[6:7]
	v_mov_b32_e32 v14, s10
	s_xor_b64 exec, exec, s[6:7]
	s_cbranch_execnz .LBB28_3672
.LBB28_1622:
	s_or_b64 exec, exec, s[6:7]
	s_and_saveexec_b64 s[6:7], s[4:5]
	s_cbranch_execz .LBB28_1624
.LBB28_1623:
	v_bfe_u32 v11, v12, 16, 3
	v_ffbh_u32_e32 v20, v11
	v_min_u32_e32 v20, 32, v20
	v_lshrrev_b32_e32 v14, 19, v12
	v_subrev_u32_e32 v21, 28, v20
	v_and_b32_e32 v14, 15, v14
	v_lshlrev_b32_sdwa v21, v21, v12 dst_sel:DWORD dst_unused:UNUSED_PAD src0_sel:DWORD src1_sel:WORD_1
	v_bfe_u32 v15, v12, 19, 4
	v_sub_u32_e32 v20, 29, v20
	v_and_b32_e32 v21, 7, v21
	v_cmp_eq_u16_e32 vcc, 0, v14
	v_cndmask_b32_e32 v11, v11, v21, vcc
	v_cndmask_b32_e32 v14, v15, v20, vcc
	v_lshlrev_b32_e32 v15, 8, v12
	v_mov_b32_e32 v20, 0x3b800000
	v_lshlrev_b32_e32 v11, 20, v11
	v_and_b32_e32 v15, 0x80000000, v15
	v_lshl_add_u32 v14, v14, 23, v20
	v_or3_b32 v14, v15, v14, v11
.LBB28_1624:
	s_or_b64 exec, exec, s[6:7]
	s_nop 0
	v_mfma_f32_16x16x4f32 a[0:3], v10, v14, a[0:3]
	s_movk_i32 s4, 0x7f
	v_cmp_gt_i16_sdwa s[6:7], v16, s4 src0_sel:BYTE_3 src1_sel:DWORD
	s_mov_b64 s[4:5], 0
                                        ; implicit-def: $sgpr10
	s_and_saveexec_b64 s[8:9], s[6:7]
	s_xor_b64 s[6:7], exec, s[8:9]
	s_cbranch_execnz .LBB28_3673
; %bb.1625:
	s_or_saveexec_b64 s[6:7], s[6:7]
	v_mov_b32_e32 v10, s10
	s_xor_b64 exec, exec, s[6:7]
	s_cbranch_execnz .LBB28_3676
.LBB28_1626:
	s_or_b64 exec, exec, s[6:7]
	s_and_saveexec_b64 s[6:7], s[4:5]
	s_cbranch_execz .LBB28_1628
.LBB28_1627:
	v_bfe_u32 v10, v16, 24, 3
	v_ffbh_u32_e32 v20, v10
	v_min_u32_e32 v20, 32, v20
	v_lshrrev_b32_e32 v14, 27, v16
	v_subrev_u32_e32 v21, 28, v20
	v_and_b32_e32 v11, 0x80000000, v16
	v_and_b32_e32 v14, 15, v14
	v_bfe_u32 v15, v16, 27, 4
	v_lshlrev_b32_sdwa v16, v21, v16 dst_sel:DWORD dst_unused:UNUSED_PAD src0_sel:DWORD src1_sel:BYTE_3
	v_sub_u32_e32 v20, 29, v20
	v_and_b32_e32 v16, 7, v16
	v_cmp_eq_u16_e32 vcc, 0, v14
	v_cndmask_b32_e32 v10, v10, v16, vcc
	v_cndmask_b32_e32 v14, v15, v20, vcc
	v_mov_b32_e32 v15, 0x3b800000
	v_lshlrev_b32_e32 v10, 20, v10
	v_lshl_add_u32 v14, v14, 23, v15
	v_or3_b32 v10, v11, v14, v10
.LBB28_1628:
	s_or_b64 exec, exec, s[6:7]
	s_movk_i32 s4, 0x7f
	v_cmp_gt_i16_sdwa s[6:7], v12, s4 src0_sel:BYTE_3 src1_sel:DWORD
	s_mov_b64 s[4:5], 0
                                        ; implicit-def: $sgpr10
	s_and_saveexec_b64 s[8:9], s[6:7]
	s_xor_b64 s[6:7], exec, s[8:9]
	s_cbranch_execnz .LBB28_3677
; %bb.1629:
	s_or_saveexec_b64 s[6:7], s[6:7]
	v_mov_b32_e32 v11, s10
	s_xor_b64 exec, exec, s[6:7]
	s_cbranch_execnz .LBB28_3680
.LBB28_1630:
	s_or_b64 exec, exec, s[6:7]
	s_and_saveexec_b64 s[6:7], s[4:5]
	s_cbranch_execz .LBB28_1632
.LBB28_1631:
	v_bfe_u32 v11, v12, 24, 3
	v_ffbh_u32_e32 v20, v11
	v_min_u32_e32 v20, 32, v20
	v_lshrrev_b32_e32 v15, 27, v12
	v_subrev_u32_e32 v21, 28, v20
	v_and_b32_e32 v14, 0x80000000, v12
	v_and_b32_e32 v15, 15, v15
	v_bfe_u32 v16, v12, 27, 4
	v_lshlrev_b32_sdwa v12, v21, v12 dst_sel:DWORD dst_unused:UNUSED_PAD src0_sel:DWORD src1_sel:BYTE_3
	v_sub_u32_e32 v20, 29, v20
	v_and_b32_e32 v12, 7, v12
	v_cmp_eq_u16_e32 vcc, 0, v15
	v_cndmask_b32_e32 v11, v11, v12, vcc
	v_cndmask_b32_e32 v12, v16, v20, vcc
	v_mov_b32_e32 v15, 0x3b800000
	v_lshlrev_b32_e32 v11, 20, v11
	v_lshl_add_u32 v12, v12, 23, v15
	v_or3_b32 v11, v14, v12, v11
.LBB28_1632:
	s_or_b64 exec, exec, s[6:7]
	s_nop 0
	v_mfma_f32_16x16x4f32 a[0:3], v10, v11, a[0:3]
	s_movk_i32 s4, 0x7f
	v_cmp_gt_i16_sdwa s[6:7], v17, s4 src0_sel:BYTE_0 src1_sel:DWORD
	s_mov_b64 s[4:5], 0
                                        ; implicit-def: $sgpr10
	s_and_saveexec_b64 s[8:9], s[6:7]
	s_xor_b64 s[6:7], exec, s[8:9]
	s_cbranch_execnz .LBB28_3681
; %bb.1633:
	s_or_saveexec_b64 s[6:7], s[6:7]
	v_mov_b32_e32 v10, s10
	s_xor_b64 exec, exec, s[6:7]
	s_cbranch_execnz .LBB28_3684
.LBB28_1634:
	s_or_b64 exec, exec, s[6:7]
	s_and_saveexec_b64 s[6:7], s[4:5]
	s_cbranch_execz .LBB28_1636
.LBB28_1635:
	v_and_b32_e32 v10, 7, v17
	v_ffbh_u32_e32 v12, v10
	v_min_u32_e32 v12, 32, v12
	v_lshrrev_b16_e32 v11, 3, v17
	v_subrev_u32_e32 v14, 28, v12
	v_and_b32_e32 v11, 15, v11
	v_lshlrev_b32_e32 v14, v14, v17
	v_sub_u32_e32 v12, 29, v12
	v_and_b32_e32 v14, 7, v14
	v_cmp_eq_u16_e32 vcc, 0, v11
	v_cndmask_b32_e32 v10, v10, v14, vcc
	v_cndmask_b32_e32 v11, v11, v12, vcc
	v_lshlrev_b32_e32 v12, 24, v17
	v_mov_b32_e32 v14, 0x3b800000
	v_lshlrev_b32_e32 v10, 20, v10
	v_and_b32_e32 v12, 0x80000000, v12
	v_lshl_add_u32 v11, v11, 23, v14
	v_or3_b32 v10, v12, v11, v10
.LBB28_1636:
	s_or_b64 exec, exec, s[6:7]
	s_movk_i32 s4, 0x7f
	v_cmp_gt_i16_sdwa s[6:7], v13, s4 src0_sel:BYTE_0 src1_sel:DWORD
	s_mov_b64 s[4:5], 0
                                        ; implicit-def: $sgpr10
	s_and_saveexec_b64 s[8:9], s[6:7]
	s_xor_b64 s[6:7], exec, s[8:9]
	s_cbranch_execnz .LBB28_3685
; %bb.1637:
	s_or_saveexec_b64 s[6:7], s[6:7]
	v_mov_b32_e32 v11, s10
	s_xor_b64 exec, exec, s[6:7]
	s_cbranch_execnz .LBB28_3688
.LBB28_1638:
	s_or_b64 exec, exec, s[6:7]
	s_and_saveexec_b64 s[6:7], s[4:5]
	s_cbranch_execz .LBB28_1640
.LBB28_1639:
	v_and_b32_e32 v11, 7, v13
	v_ffbh_u32_e32 v14, v11
	v_min_u32_e32 v14, 32, v14
	v_lshrrev_b16_e32 v12, 3, v13
	v_subrev_u32_e32 v15, 28, v14
	v_and_b32_e32 v12, 15, v12
	v_lshlrev_b32_e32 v15, v15, v13
	v_sub_u32_e32 v14, 29, v14
	v_and_b32_e32 v15, 7, v15
	v_cmp_eq_u16_e32 vcc, 0, v12
	v_cndmask_b32_e32 v11, v11, v15, vcc
	v_cndmask_b32_e32 v12, v12, v14, vcc
	v_lshlrev_b32_e32 v14, 24, v13
	v_mov_b32_e32 v15, 0x3b800000
	v_lshlrev_b32_e32 v11, 20, v11
	v_and_b32_e32 v14, 0x80000000, v14
	v_lshl_add_u32 v12, v12, 23, v15
	v_or3_b32 v11, v14, v12, v11
.LBB28_1640:
	s_or_b64 exec, exec, s[6:7]
	s_nop 0
	v_mfma_f32_16x16x4f32 a[0:3], v10, v11, a[0:3]
	v_lshrrev_b32_e32 v11, 8, v17
	s_movk_i32 s4, 0x7f
	v_cmp_gt_i16_sdwa s[6:7], v11, s4 src0_sel:BYTE_0 src1_sel:DWORD
	s_mov_b64 s[4:5], 0
                                        ; implicit-def: $sgpr10
	s_and_saveexec_b64 s[8:9], s[6:7]
	s_xor_b64 s[6:7], exec, s[8:9]
	s_cbranch_execnz .LBB28_3689
; %bb.1641:
	s_or_saveexec_b64 s[6:7], s[6:7]
	v_mov_b32_e32 v10, s10
	s_xor_b64 exec, exec, s[6:7]
	s_cbranch_execnz .LBB28_3692
.LBB28_1642:
	s_or_b64 exec, exec, s[6:7]
	s_and_saveexec_b64 s[6:7], s[4:5]
	s_cbranch_execz .LBB28_1644
.LBB28_1643:
	v_bfe_u32 v10, v17, 8, 3
	v_ffbh_u32_e32 v14, v10
	v_min_u32_e32 v14, 32, v14
	v_lshrrev_b16_e32 v12, 3, v11
	v_subrev_u32_e32 v15, 28, v14
	v_and_b32_e32 v12, 15, v12
	v_lshlrev_b32_e32 v11, v15, v11
	v_sub_u32_e32 v14, 29, v14
	v_and_b32_e32 v11, 7, v11
	v_cmp_eq_u16_e32 vcc, 0, v12
	v_cndmask_b32_e32 v10, v10, v11, vcc
	v_cndmask_b32_e32 v11, v12, v14, vcc
	v_lshlrev_b32_e32 v12, 16, v17
	v_mov_b32_e32 v14, 0x3b800000
	v_lshlrev_b32_e32 v10, 20, v10
	v_and_b32_e32 v12, 0x80000000, v12
	v_lshl_add_u32 v11, v11, 23, v14
	v_or3_b32 v10, v12, v11, v10
.LBB28_1644:
	s_or_b64 exec, exec, s[6:7]
	v_lshrrev_b32_e32 v11, 8, v13
	s_movk_i32 s4, 0x7f
	v_cmp_gt_i16_sdwa s[6:7], v11, s4 src0_sel:BYTE_0 src1_sel:DWORD
	s_mov_b64 s[4:5], 0
                                        ; implicit-def: $sgpr10
	s_and_saveexec_b64 s[8:9], s[6:7]
	s_xor_b64 s[6:7], exec, s[8:9]
	s_cbranch_execnz .LBB28_3693
; %bb.1645:
	s_or_saveexec_b64 s[6:7], s[6:7]
	v_mov_b32_e32 v12, s10
	s_xor_b64 exec, exec, s[6:7]
	s_cbranch_execnz .LBB28_3696
.LBB28_1646:
	s_or_b64 exec, exec, s[6:7]
	s_and_saveexec_b64 s[6:7], s[4:5]
	s_cbranch_execz .LBB28_1648
.LBB28_1647:
	v_bfe_u32 v12, v13, 8, 3
	v_ffbh_u32_e32 v15, v12
	v_min_u32_e32 v15, 32, v15
	v_lshrrev_b16_e32 v14, 3, v11
	v_subrev_u32_e32 v16, 28, v15
	v_and_b32_e32 v14, 15, v14
	v_lshlrev_b32_e32 v11, v16, v11
	v_sub_u32_e32 v15, 29, v15
	v_and_b32_e32 v11, 7, v11
	v_cmp_eq_u16_e32 vcc, 0, v14
	v_cndmask_b32_e32 v11, v12, v11, vcc
	v_cndmask_b32_e32 v12, v14, v15, vcc
	v_lshlrev_b32_e32 v14, 16, v13
	v_mov_b32_e32 v15, 0x3b800000
	v_lshlrev_b32_e32 v11, 20, v11
	v_and_b32_e32 v14, 0x80000000, v14
	v_lshl_add_u32 v12, v12, 23, v15
	v_or3_b32 v12, v14, v12, v11
.LBB28_1648:
	s_or_b64 exec, exec, s[6:7]
	s_nop 0
	v_mfma_f32_16x16x4f32 a[0:3], v10, v12, a[0:3]
	s_movk_i32 s4, 0xff
	v_and_b32_sdwa v11, v17, s4 dst_sel:DWORD dst_unused:UNUSED_PAD src0_sel:WORD_1 src1_sel:DWORD
	s_movk_i32 s4, 0x7f
	v_cmp_lt_i16_e32 vcc, s4, v11
	s_mov_b64 s[4:5], 0
                                        ; implicit-def: $sgpr10
	s_and_saveexec_b64 s[6:7], vcc
	s_xor_b64 s[6:7], exec, s[6:7]
	s_cbranch_execnz .LBB28_3697
; %bb.1649:
	s_or_saveexec_b64 s[6:7], s[6:7]
	v_mov_b32_e32 v10, s10
	s_xor_b64 exec, exec, s[6:7]
	s_cbranch_execnz .LBB28_3700
.LBB28_1650:
	s_or_b64 exec, exec, s[6:7]
	s_and_saveexec_b64 s[6:7], s[4:5]
	s_cbranch_execz .LBB28_1652
.LBB28_1651:
	v_bfe_u32 v10, v17, 16, 3
	v_ffbh_u32_e32 v14, v10
	v_min_u32_e32 v14, 32, v14
	v_lshrrev_b32_e32 v11, 19, v17
	v_subrev_u32_e32 v15, 28, v14
	v_and_b32_e32 v11, 15, v11
	v_lshlrev_b32_sdwa v15, v15, v17 dst_sel:DWORD dst_unused:UNUSED_PAD src0_sel:DWORD src1_sel:WORD_1
	v_bfe_u32 v12, v17, 19, 4
	v_sub_u32_e32 v14, 29, v14
	v_and_b32_e32 v15, 7, v15
	v_cmp_eq_u16_e32 vcc, 0, v11
	v_cndmask_b32_e32 v10, v10, v15, vcc
	v_cndmask_b32_e32 v11, v12, v14, vcc
	v_lshlrev_b32_e32 v12, 8, v17
	v_mov_b32_e32 v14, 0x3b800000
	v_lshlrev_b32_e32 v10, 20, v10
	v_and_b32_e32 v12, 0x80000000, v12
	v_lshl_add_u32 v11, v11, 23, v14
	v_or3_b32 v10, v12, v11, v10
.LBB28_1652:
	s_or_b64 exec, exec, s[6:7]
	s_movk_i32 s4, 0xff
	v_and_b32_sdwa v11, v13, s4 dst_sel:DWORD dst_unused:UNUSED_PAD src0_sel:WORD_1 src1_sel:DWORD
	s_movk_i32 s4, 0x7f
	v_cmp_lt_i16_e32 vcc, s4, v11
	s_mov_b64 s[4:5], 0
                                        ; implicit-def: $sgpr10
	s_and_saveexec_b64 s[6:7], vcc
	s_xor_b64 s[6:7], exec, s[6:7]
	s_cbranch_execnz .LBB28_3701
; %bb.1653:
	s_or_saveexec_b64 s[6:7], s[6:7]
	v_mov_b32_e32 v12, s10
	s_xor_b64 exec, exec, s[6:7]
	s_cbranch_execnz .LBB28_3704
.LBB28_1654:
	s_or_b64 exec, exec, s[6:7]
	s_and_saveexec_b64 s[6:7], s[4:5]
	s_cbranch_execz .LBB28_1656
.LBB28_1655:
	v_bfe_u32 v11, v13, 16, 3
	v_ffbh_u32_e32 v15, v11
	v_min_u32_e32 v15, 32, v15
	v_lshrrev_b32_e32 v12, 19, v13
	v_subrev_u32_e32 v16, 28, v15
	v_and_b32_e32 v12, 15, v12
	v_lshlrev_b32_sdwa v16, v16, v13 dst_sel:DWORD dst_unused:UNUSED_PAD src0_sel:DWORD src1_sel:WORD_1
	v_bfe_u32 v14, v13, 19, 4
	v_sub_u32_e32 v15, 29, v15
	v_and_b32_e32 v16, 7, v16
	v_cmp_eq_u16_e32 vcc, 0, v12
	v_cndmask_b32_e32 v11, v11, v16, vcc
	v_cndmask_b32_e32 v12, v14, v15, vcc
	v_lshlrev_b32_e32 v14, 8, v13
	v_mov_b32_e32 v15, 0x3b800000
	v_lshlrev_b32_e32 v11, 20, v11
	v_and_b32_e32 v14, 0x80000000, v14
	v_lshl_add_u32 v12, v12, 23, v15
	v_or3_b32 v12, v14, v12, v11
.LBB28_1656:
	s_or_b64 exec, exec, s[6:7]
	s_nop 0
	v_mfma_f32_16x16x4f32 a[0:3], v10, v12, a[0:3]
	s_movk_i32 s4, 0x7f
	v_cmp_gt_i16_sdwa s[6:7], v17, s4 src0_sel:BYTE_3 src1_sel:DWORD
	s_mov_b64 s[4:5], 0
                                        ; implicit-def: $sgpr10
	s_and_saveexec_b64 s[8:9], s[6:7]
	s_xor_b64 s[6:7], exec, s[8:9]
	s_cbranch_execnz .LBB28_3705
; %bb.1657:
	s_or_saveexec_b64 s[6:7], s[6:7]
	v_mov_b32_e32 v10, s10
	s_xor_b64 exec, exec, s[6:7]
	s_cbranch_execnz .LBB28_3708
.LBB28_1658:
	s_or_b64 exec, exec, s[6:7]
	s_and_saveexec_b64 s[6:7], s[4:5]
	s_cbranch_execz .LBB28_1660
.LBB28_1659:
	v_bfe_u32 v10, v17, 24, 3
	v_ffbh_u32_e32 v15, v10
	v_min_u32_e32 v15, 32, v15
	v_lshrrev_b32_e32 v12, 27, v17
	v_subrev_u32_e32 v16, 28, v15
	v_and_b32_e32 v12, 15, v12
	v_lshlrev_b32_sdwa v16, v16, v17 dst_sel:DWORD dst_unused:UNUSED_PAD src0_sel:DWORD src1_sel:BYTE_3
	v_bfe_u32 v14, v17, 27, 4
	v_sub_u32_e32 v15, 29, v15
	v_and_b32_e32 v16, 7, v16
	v_cmp_eq_u16_e32 vcc, 0, v12
	v_cndmask_b32_e32 v10, v10, v16, vcc
	v_cndmask_b32_e32 v12, v14, v15, vcc
	v_mov_b32_e32 v14, 0x3b800000
	v_and_b32_e32 v11, 0x80000000, v17
	v_lshlrev_b32_e32 v10, 20, v10
	v_lshl_add_u32 v12, v12, 23, v14
	v_or3_b32 v10, v11, v12, v10
.LBB28_1660:
	s_or_b64 exec, exec, s[6:7]
	s_movk_i32 s4, 0x7f
	v_cmp_gt_i16_sdwa s[6:7], v13, s4 src0_sel:BYTE_3 src1_sel:DWORD
	s_mov_b64 s[4:5], 0
                                        ; implicit-def: $sgpr10
	s_and_saveexec_b64 s[8:9], s[6:7]
	s_xor_b64 s[6:7], exec, s[8:9]
	s_cbranch_execnz .LBB28_3709
; %bb.1661:
	s_or_saveexec_b64 s[6:7], s[6:7]
	v_mov_b32_e32 v11, s10
	s_xor_b64 exec, exec, s[6:7]
	s_cbranch_execnz .LBB28_3712
.LBB28_1662:
	s_or_b64 exec, exec, s[6:7]
	s_and_saveexec_b64 s[6:7], s[4:5]
	s_cbranch_execz .LBB28_1664
.LBB28_1663:
	v_bfe_u32 v11, v13, 24, 3
	v_ffbh_u32_e32 v16, v11
	v_min_u32_e32 v16, 32, v16
	v_lshrrev_b32_e32 v14, 27, v13
	v_subrev_u32_e32 v17, 28, v16
	v_and_b32_e32 v12, 0x80000000, v13
	v_and_b32_e32 v14, 15, v14
	v_bfe_u32 v15, v13, 27, 4
	v_lshlrev_b32_sdwa v13, v17, v13 dst_sel:DWORD dst_unused:UNUSED_PAD src0_sel:DWORD src1_sel:BYTE_3
	v_sub_u32_e32 v16, 29, v16
	v_and_b32_e32 v13, 7, v13
	v_cmp_eq_u16_e32 vcc, 0, v14
	v_cndmask_b32_e32 v11, v11, v13, vcc
	v_cndmask_b32_e32 v13, v15, v16, vcc
	v_mov_b32_e32 v14, 0x3b800000
	v_lshlrev_b32_e32 v11, 20, v11
	v_lshl_add_u32 v13, v13, 23, v14
	v_or3_b32 v11, v12, v13, v11
.LBB28_1664:
	s_or_b64 exec, exec, s[6:7]
	s_nop 0
	v_mfma_f32_16x16x4f32 a[0:3], v10, v11, a[0:3]
	s_movk_i32 s4, 0x7f
	v_cmp_gt_i16_sdwa s[6:7], v6, s4 src0_sel:BYTE_0 src1_sel:DWORD
	s_mov_b64 s[4:5], 0
                                        ; implicit-def: $sgpr10
	s_and_saveexec_b64 s[8:9], s[6:7]
	s_xor_b64 s[6:7], exec, s[8:9]
	s_cbranch_execnz .LBB28_3713
; %bb.1665:
	s_or_saveexec_b64 s[6:7], s[6:7]
	v_mov_b32_e32 v10, s10
	s_xor_b64 exec, exec, s[6:7]
	s_cbranch_execnz .LBB28_3716
.LBB28_1666:
	s_or_b64 exec, exec, s[6:7]
	s_and_saveexec_b64 s[6:7], s[4:5]
	s_cbranch_execz .LBB28_1668
.LBB28_1667:
	v_and_b32_e32 v10, 7, v6
	v_ffbh_u32_e32 v12, v10
	v_min_u32_e32 v12, 32, v12
	v_lshrrev_b16_e32 v11, 3, v6
	v_subrev_u32_e32 v13, 28, v12
	v_and_b32_e32 v11, 15, v11
	v_lshlrev_b32_e32 v13, v13, v6
	v_sub_u32_e32 v12, 29, v12
	v_and_b32_e32 v13, 7, v13
	v_cmp_eq_u16_e32 vcc, 0, v11
	v_cndmask_b32_e32 v10, v10, v13, vcc
	v_cndmask_b32_e32 v11, v11, v12, vcc
	v_lshlrev_b32_e32 v12, 24, v6
	v_mov_b32_e32 v13, 0x3b800000
	v_lshlrev_b32_e32 v10, 20, v10
	v_and_b32_e32 v12, 0x80000000, v12
	v_lshl_add_u32 v11, v11, 23, v13
	v_or3_b32 v10, v12, v11, v10
.LBB28_1668:
	s_or_b64 exec, exec, s[6:7]
	s_movk_i32 s4, 0x7f
	v_cmp_gt_i16_sdwa s[6:7], v2, s4 src0_sel:BYTE_0 src1_sel:DWORD
	s_mov_b64 s[4:5], 0
                                        ; implicit-def: $sgpr10
	s_and_saveexec_b64 s[8:9], s[6:7]
	s_xor_b64 s[6:7], exec, s[8:9]
	s_cbranch_execnz .LBB28_3717
; %bb.1669:
	s_or_saveexec_b64 s[6:7], s[6:7]
	v_mov_b32_e32 v11, s10
	s_xor_b64 exec, exec, s[6:7]
	s_cbranch_execnz .LBB28_3720
.LBB28_1670:
	s_or_b64 exec, exec, s[6:7]
	s_and_saveexec_b64 s[6:7], s[4:5]
	s_cbranch_execz .LBB28_1672
.LBB28_1671:
	v_and_b32_e32 v11, 7, v2
	v_ffbh_u32_e32 v13, v11
	v_min_u32_e32 v13, 32, v13
	v_lshrrev_b16_e32 v12, 3, v2
	v_subrev_u32_e32 v14, 28, v13
	v_and_b32_e32 v12, 15, v12
	v_lshlrev_b32_e32 v14, v14, v2
	v_sub_u32_e32 v13, 29, v13
	v_and_b32_e32 v14, 7, v14
	v_cmp_eq_u16_e32 vcc, 0, v12
	v_cndmask_b32_e32 v11, v11, v14, vcc
	v_cndmask_b32_e32 v12, v12, v13, vcc
	v_lshlrev_b32_e32 v13, 24, v2
	v_mov_b32_e32 v14, 0x3b800000
	v_lshlrev_b32_e32 v11, 20, v11
	v_and_b32_e32 v13, 0x80000000, v13
	v_lshl_add_u32 v12, v12, 23, v14
	v_or3_b32 v11, v13, v12, v11
.LBB28_1672:
	s_or_b64 exec, exec, s[6:7]
	s_nop 0
	v_mfma_f32_16x16x4f32 a[0:3], v10, v11, a[0:3]
	v_lshrrev_b32_e32 v11, 8, v6
	s_movk_i32 s4, 0x7f
	v_cmp_gt_i16_sdwa s[6:7], v11, s4 src0_sel:BYTE_0 src1_sel:DWORD
	s_mov_b64 s[4:5], 0
                                        ; implicit-def: $sgpr10
	s_and_saveexec_b64 s[8:9], s[6:7]
	s_xor_b64 s[6:7], exec, s[8:9]
	s_cbranch_execnz .LBB28_3721
; %bb.1673:
	s_or_saveexec_b64 s[6:7], s[6:7]
	v_mov_b32_e32 v10, s10
	s_xor_b64 exec, exec, s[6:7]
	s_cbranch_execnz .LBB28_3724
.LBB28_1674:
	s_or_b64 exec, exec, s[6:7]
	s_and_saveexec_b64 s[6:7], s[4:5]
	s_cbranch_execz .LBB28_1676
.LBB28_1675:
	v_bfe_u32 v10, v6, 8, 3
	v_ffbh_u32_e32 v13, v10
	v_min_u32_e32 v13, 32, v13
	v_lshrrev_b16_e32 v12, 3, v11
	v_subrev_u32_e32 v14, 28, v13
	v_and_b32_e32 v12, 15, v12
	v_lshlrev_b32_e32 v11, v14, v11
	v_sub_u32_e32 v13, 29, v13
	v_and_b32_e32 v11, 7, v11
	v_cmp_eq_u16_e32 vcc, 0, v12
	v_cndmask_b32_e32 v10, v10, v11, vcc
	v_cndmask_b32_e32 v11, v12, v13, vcc
	v_lshlrev_b32_e32 v12, 16, v6
	v_mov_b32_e32 v13, 0x3b800000
	v_lshlrev_b32_e32 v10, 20, v10
	v_and_b32_e32 v12, 0x80000000, v12
	v_lshl_add_u32 v11, v11, 23, v13
	v_or3_b32 v10, v12, v11, v10
.LBB28_1676:
	s_or_b64 exec, exec, s[6:7]
	v_lshrrev_b32_e32 v11, 8, v2
	s_movk_i32 s4, 0x7f
	v_cmp_gt_i16_sdwa s[6:7], v11, s4 src0_sel:BYTE_0 src1_sel:DWORD
	s_mov_b64 s[4:5], 0
                                        ; implicit-def: $sgpr10
	s_and_saveexec_b64 s[8:9], s[6:7]
	s_xor_b64 s[6:7], exec, s[8:9]
	s_cbranch_execnz .LBB28_3725
; %bb.1677:
	s_or_saveexec_b64 s[6:7], s[6:7]
	v_mov_b32_e32 v12, s10
	s_xor_b64 exec, exec, s[6:7]
	s_cbranch_execnz .LBB28_3728
.LBB28_1678:
	s_or_b64 exec, exec, s[6:7]
	s_and_saveexec_b64 s[6:7], s[4:5]
	s_cbranch_execz .LBB28_1680
.LBB28_1679:
	v_bfe_u32 v12, v2, 8, 3
	v_ffbh_u32_e32 v14, v12
	v_min_u32_e32 v14, 32, v14
	v_lshrrev_b16_e32 v13, 3, v11
	v_subrev_u32_e32 v15, 28, v14
	v_and_b32_e32 v13, 15, v13
	v_lshlrev_b32_e32 v11, v15, v11
	v_sub_u32_e32 v14, 29, v14
	v_and_b32_e32 v11, 7, v11
	v_cmp_eq_u16_e32 vcc, 0, v13
	v_cndmask_b32_e32 v11, v12, v11, vcc
	v_cndmask_b32_e32 v12, v13, v14, vcc
	v_lshlrev_b32_e32 v13, 16, v2
	v_mov_b32_e32 v14, 0x3b800000
	v_lshlrev_b32_e32 v11, 20, v11
	v_and_b32_e32 v13, 0x80000000, v13
	v_lshl_add_u32 v12, v12, 23, v14
	v_or3_b32 v12, v13, v12, v11
.LBB28_1680:
	s_or_b64 exec, exec, s[6:7]
	s_nop 0
	v_mfma_f32_16x16x4f32 a[0:3], v10, v12, a[0:3]
	s_movk_i32 s4, 0xff
	v_and_b32_sdwa v11, v6, s4 dst_sel:DWORD dst_unused:UNUSED_PAD src0_sel:WORD_1 src1_sel:DWORD
	s_movk_i32 s4, 0x7f
	v_cmp_lt_i16_e32 vcc, s4, v11
	s_mov_b64 s[4:5], 0
                                        ; implicit-def: $sgpr10
	s_and_saveexec_b64 s[6:7], vcc
	s_xor_b64 s[6:7], exec, s[6:7]
	s_cbranch_execnz .LBB28_3729
; %bb.1681:
	s_or_saveexec_b64 s[6:7], s[6:7]
	v_mov_b32_e32 v10, s10
	s_xor_b64 exec, exec, s[6:7]
	s_cbranch_execnz .LBB28_3732
.LBB28_1682:
	s_or_b64 exec, exec, s[6:7]
	s_and_saveexec_b64 s[6:7], s[4:5]
	s_cbranch_execz .LBB28_1684
.LBB28_1683:
	v_bfe_u32 v10, v6, 16, 3
	v_ffbh_u32_e32 v13, v10
	v_min_u32_e32 v13, 32, v13
	v_lshrrev_b32_e32 v11, 19, v6
	v_subrev_u32_e32 v14, 28, v13
	v_and_b32_e32 v11, 15, v11
	v_lshlrev_b32_sdwa v14, v14, v6 dst_sel:DWORD dst_unused:UNUSED_PAD src0_sel:DWORD src1_sel:WORD_1
	v_bfe_u32 v12, v6, 19, 4
	v_sub_u32_e32 v13, 29, v13
	v_and_b32_e32 v14, 7, v14
	v_cmp_eq_u16_e32 vcc, 0, v11
	v_cndmask_b32_e32 v10, v10, v14, vcc
	v_cndmask_b32_e32 v11, v12, v13, vcc
	v_lshlrev_b32_e32 v12, 8, v6
	v_mov_b32_e32 v13, 0x3b800000
	v_lshlrev_b32_e32 v10, 20, v10
	v_and_b32_e32 v12, 0x80000000, v12
	v_lshl_add_u32 v11, v11, 23, v13
	v_or3_b32 v10, v12, v11, v10
.LBB28_1684:
	s_or_b64 exec, exec, s[6:7]
	s_movk_i32 s4, 0xff
	v_and_b32_sdwa v11, v2, s4 dst_sel:DWORD dst_unused:UNUSED_PAD src0_sel:WORD_1 src1_sel:DWORD
	s_movk_i32 s4, 0x7f
	v_cmp_lt_i16_e32 vcc, s4, v11
	s_mov_b64 s[4:5], 0
                                        ; implicit-def: $sgpr10
	s_and_saveexec_b64 s[6:7], vcc
	s_xor_b64 s[6:7], exec, s[6:7]
	s_cbranch_execnz .LBB28_3733
; %bb.1685:
	s_or_saveexec_b64 s[6:7], s[6:7]
	v_mov_b32_e32 v12, s10
	s_xor_b64 exec, exec, s[6:7]
	s_cbranch_execnz .LBB28_3736
.LBB28_1686:
	s_or_b64 exec, exec, s[6:7]
	s_and_saveexec_b64 s[6:7], s[4:5]
	s_cbranch_execz .LBB28_1688
.LBB28_1687:
	v_bfe_u32 v11, v2, 16, 3
	v_ffbh_u32_e32 v14, v11
	v_min_u32_e32 v14, 32, v14
	v_lshrrev_b32_e32 v12, 19, v2
	v_subrev_u32_e32 v15, 28, v14
	v_and_b32_e32 v12, 15, v12
	v_lshlrev_b32_sdwa v15, v15, v2 dst_sel:DWORD dst_unused:UNUSED_PAD src0_sel:DWORD src1_sel:WORD_1
	v_bfe_u32 v13, v2, 19, 4
	v_sub_u32_e32 v14, 29, v14
	v_and_b32_e32 v15, 7, v15
	v_cmp_eq_u16_e32 vcc, 0, v12
	v_cndmask_b32_e32 v11, v11, v15, vcc
	v_cndmask_b32_e32 v12, v13, v14, vcc
	v_lshlrev_b32_e32 v13, 8, v2
	v_mov_b32_e32 v14, 0x3b800000
	v_lshlrev_b32_e32 v11, 20, v11
	v_and_b32_e32 v13, 0x80000000, v13
	v_lshl_add_u32 v12, v12, 23, v14
	v_or3_b32 v12, v13, v12, v11
.LBB28_1688:
	s_or_b64 exec, exec, s[6:7]
	s_nop 0
	v_mfma_f32_16x16x4f32 a[0:3], v10, v12, a[0:3]
	s_movk_i32 s4, 0x7f
	v_cmp_gt_i16_sdwa s[6:7], v6, s4 src0_sel:BYTE_3 src1_sel:DWORD
	s_mov_b64 s[4:5], 0
                                        ; implicit-def: $sgpr10
	s_and_saveexec_b64 s[8:9], s[6:7]
	s_xor_b64 s[6:7], exec, s[8:9]
	s_cbranch_execnz .LBB28_3737
; %bb.1689:
	s_or_saveexec_b64 s[6:7], s[6:7]
	v_mov_b32_e32 v10, s10
	s_xor_b64 exec, exec, s[6:7]
	s_cbranch_execnz .LBB28_3740
.LBB28_1690:
	s_or_b64 exec, exec, s[6:7]
	s_and_saveexec_b64 s[6:7], s[4:5]
	s_cbranch_execz .LBB28_1692
.LBB28_1691:
	v_bfe_u32 v10, v6, 24, 3
	v_ffbh_u32_e32 v14, v10
	v_min_u32_e32 v14, 32, v14
	v_lshrrev_b32_e32 v12, 27, v6
	v_subrev_u32_e32 v15, 28, v14
	v_and_b32_e32 v11, 0x80000000, v6
	v_and_b32_e32 v12, 15, v12
	v_bfe_u32 v13, v6, 27, 4
	v_lshlrev_b32_sdwa v6, v15, v6 dst_sel:DWORD dst_unused:UNUSED_PAD src0_sel:DWORD src1_sel:BYTE_3
	v_sub_u32_e32 v14, 29, v14
	v_and_b32_e32 v6, 7, v6
	v_cmp_eq_u16_e32 vcc, 0, v12
	v_cndmask_b32_e32 v6, v10, v6, vcc
	v_cndmask_b32_e32 v10, v13, v14, vcc
	v_mov_b32_e32 v12, 0x3b800000
	v_lshlrev_b32_e32 v6, 20, v6
	v_lshl_add_u32 v10, v10, 23, v12
	v_or3_b32 v10, v11, v10, v6
.LBB28_1692:
	s_or_b64 exec, exec, s[6:7]
	s_movk_i32 s4, 0x7f
	v_cmp_gt_i16_sdwa s[6:7], v2, s4 src0_sel:BYTE_3 src1_sel:DWORD
	s_mov_b64 s[4:5], 0
                                        ; implicit-def: $sgpr10
	s_and_saveexec_b64 s[8:9], s[6:7]
	s_xor_b64 s[6:7], exec, s[8:9]
	s_cbranch_execnz .LBB28_3741
; %bb.1693:
	s_or_saveexec_b64 s[6:7], s[6:7]
	v_mov_b32_e32 v6, s10
	s_xor_b64 exec, exec, s[6:7]
	s_cbranch_execnz .LBB28_3744
.LBB28_1694:
	s_or_b64 exec, exec, s[6:7]
	s_and_saveexec_b64 s[6:7], s[4:5]
	s_cbranch_execz .LBB28_1696
.LBB28_1695:
	v_bfe_u32 v6, v2, 24, 3
	v_ffbh_u32_e32 v14, v6
	v_min_u32_e32 v14, 32, v14
	v_lshrrev_b32_e32 v12, 27, v2
	v_subrev_u32_e32 v15, 28, v14
	v_and_b32_e32 v11, 0x80000000, v2
	v_and_b32_e32 v12, 15, v12
	v_bfe_u32 v13, v2, 27, 4
	v_lshlrev_b32_sdwa v2, v15, v2 dst_sel:DWORD dst_unused:UNUSED_PAD src0_sel:DWORD src1_sel:BYTE_3
	v_sub_u32_e32 v14, 29, v14
	v_and_b32_e32 v2, 7, v2
	v_cmp_eq_u16_e32 vcc, 0, v12
	v_cndmask_b32_e32 v2, v6, v2, vcc
	v_cndmask_b32_e32 v6, v13, v14, vcc
	v_mov_b32_e32 v12, 0x3b800000
	v_lshlrev_b32_e32 v2, 20, v2
	v_lshl_add_u32 v6, v6, 23, v12
	v_or3_b32 v6, v11, v6, v2
.LBB28_1696:
	s_or_b64 exec, exec, s[6:7]
	s_nop 0
	v_mfma_f32_16x16x4f32 a[0:3], v10, v6, a[0:3]
	s_movk_i32 s4, 0x7f
	v_cmp_gt_i16_sdwa s[6:7], v7, s4 src0_sel:BYTE_0 src1_sel:DWORD
	s_mov_b64 s[4:5], 0
                                        ; implicit-def: $sgpr10
	s_and_saveexec_b64 s[8:9], s[6:7]
	s_xor_b64 s[6:7], exec, s[8:9]
	s_cbranch_execnz .LBB28_3745
; %bb.1697:
	s_or_saveexec_b64 s[6:7], s[6:7]
	v_mov_b32_e32 v2, s10
	s_xor_b64 exec, exec, s[6:7]
	s_cbranch_execnz .LBB28_3748
.LBB28_1698:
	s_or_b64 exec, exec, s[6:7]
	s_and_saveexec_b64 s[6:7], s[4:5]
	s_cbranch_execz .LBB28_1700
.LBB28_1699:
	v_and_b32_e32 v2, 7, v7
	v_ffbh_u32_e32 v10, v2
	v_min_u32_e32 v10, 32, v10
	v_lshrrev_b16_e32 v6, 3, v7
	v_subrev_u32_e32 v11, 28, v10
	v_and_b32_e32 v6, 15, v6
	v_lshlrev_b32_e32 v11, v11, v7
	v_sub_u32_e32 v10, 29, v10
	v_and_b32_e32 v11, 7, v11
	v_cmp_eq_u16_e32 vcc, 0, v6
	v_cndmask_b32_e32 v2, v2, v11, vcc
	v_cndmask_b32_e32 v6, v6, v10, vcc
	v_lshlrev_b32_e32 v10, 24, v7
	v_mov_b32_e32 v11, 0x3b800000
	v_lshlrev_b32_e32 v2, 20, v2
	v_and_b32_e32 v10, 0x80000000, v10
	v_lshl_add_u32 v6, v6, 23, v11
	v_or3_b32 v2, v10, v6, v2
.LBB28_1700:
	s_or_b64 exec, exec, s[6:7]
	s_movk_i32 s4, 0x7f
	v_cmp_gt_i16_sdwa s[6:7], v3, s4 src0_sel:BYTE_0 src1_sel:DWORD
	s_mov_b64 s[4:5], 0
                                        ; implicit-def: $sgpr10
	s_and_saveexec_b64 s[8:9], s[6:7]
	s_xor_b64 s[6:7], exec, s[8:9]
	s_cbranch_execnz .LBB28_3749
; %bb.1701:
	s_or_saveexec_b64 s[6:7], s[6:7]
	v_mov_b32_e32 v6, s10
	s_xor_b64 exec, exec, s[6:7]
	s_cbranch_execnz .LBB28_3752
.LBB28_1702:
	s_or_b64 exec, exec, s[6:7]
	s_and_saveexec_b64 s[6:7], s[4:5]
	s_cbranch_execz .LBB28_1704
.LBB28_1703:
	v_and_b32_e32 v6, 7, v3
	v_ffbh_u32_e32 v11, v6
	v_min_u32_e32 v11, 32, v11
	v_lshrrev_b16_e32 v10, 3, v3
	v_subrev_u32_e32 v12, 28, v11
	v_and_b32_e32 v10, 15, v10
	v_lshlrev_b32_e32 v12, v12, v3
	v_sub_u32_e32 v11, 29, v11
	v_and_b32_e32 v12, 7, v12
	v_cmp_eq_u16_e32 vcc, 0, v10
	v_cndmask_b32_e32 v6, v6, v12, vcc
	v_cndmask_b32_e32 v10, v10, v11, vcc
	v_lshlrev_b32_e32 v11, 24, v3
	v_mov_b32_e32 v12, 0x3b800000
	v_lshlrev_b32_e32 v6, 20, v6
	v_and_b32_e32 v11, 0x80000000, v11
	v_lshl_add_u32 v10, v10, 23, v12
	v_or3_b32 v6, v11, v10, v6
.LBB28_1704:
	s_or_b64 exec, exec, s[6:7]
	s_nop 0
	v_mfma_f32_16x16x4f32 a[0:3], v2, v6, a[0:3]
	v_lshrrev_b32_e32 v6, 8, v7
	s_movk_i32 s4, 0x7f
	v_cmp_gt_i16_sdwa s[6:7], v6, s4 src0_sel:BYTE_0 src1_sel:DWORD
	s_mov_b64 s[4:5], 0
                                        ; implicit-def: $sgpr10
	s_and_saveexec_b64 s[8:9], s[6:7]
	s_xor_b64 s[6:7], exec, s[8:9]
	s_cbranch_execnz .LBB28_3753
; %bb.1705:
	s_or_saveexec_b64 s[6:7], s[6:7]
	v_mov_b32_e32 v2, s10
	s_xor_b64 exec, exec, s[6:7]
	s_cbranch_execnz .LBB28_3756
.LBB28_1706:
	s_or_b64 exec, exec, s[6:7]
	s_and_saveexec_b64 s[6:7], s[4:5]
	s_cbranch_execz .LBB28_1708
.LBB28_1707:
	v_bfe_u32 v2, v7, 8, 3
	v_ffbh_u32_e32 v11, v2
	v_min_u32_e32 v11, 32, v11
	v_lshrrev_b16_e32 v10, 3, v6
	v_subrev_u32_e32 v12, 28, v11
	v_and_b32_e32 v10, 15, v10
	v_lshlrev_b32_e32 v6, v12, v6
	v_sub_u32_e32 v11, 29, v11
	v_and_b32_e32 v6, 7, v6
	v_cmp_eq_u16_e32 vcc, 0, v10
	v_cndmask_b32_e32 v2, v2, v6, vcc
	v_cndmask_b32_e32 v6, v10, v11, vcc
	v_lshlrev_b32_e32 v10, 16, v7
	v_mov_b32_e32 v11, 0x3b800000
	v_lshlrev_b32_e32 v2, 20, v2
	v_and_b32_e32 v10, 0x80000000, v10
	v_lshl_add_u32 v6, v6, 23, v11
	v_or3_b32 v2, v10, v6, v2
.LBB28_1708:
	s_or_b64 exec, exec, s[6:7]
	v_lshrrev_b32_e32 v6, 8, v3
	s_movk_i32 s4, 0x7f
	v_cmp_gt_i16_sdwa s[6:7], v6, s4 src0_sel:BYTE_0 src1_sel:DWORD
	s_mov_b64 s[4:5], 0
                                        ; implicit-def: $sgpr10
	s_and_saveexec_b64 s[8:9], s[6:7]
	s_xor_b64 s[6:7], exec, s[8:9]
	s_cbranch_execnz .LBB28_3757
; %bb.1709:
	s_or_saveexec_b64 s[6:7], s[6:7]
	v_mov_b32_e32 v10, s10
	s_xor_b64 exec, exec, s[6:7]
	s_cbranch_execnz .LBB28_3760
.LBB28_1710:
	s_or_b64 exec, exec, s[6:7]
	s_and_saveexec_b64 s[6:7], s[4:5]
	s_cbranch_execz .LBB28_1712
.LBB28_1711:
	v_bfe_u32 v10, v3, 8, 3
	v_ffbh_u32_e32 v12, v10
	v_min_u32_e32 v12, 32, v12
	v_lshrrev_b16_e32 v11, 3, v6
	v_subrev_u32_e32 v13, 28, v12
	v_and_b32_e32 v11, 15, v11
	v_lshlrev_b32_e32 v6, v13, v6
	v_sub_u32_e32 v12, 29, v12
	v_and_b32_e32 v6, 7, v6
	v_cmp_eq_u16_e32 vcc, 0, v11
	v_cndmask_b32_e32 v6, v10, v6, vcc
	v_cndmask_b32_e32 v10, v11, v12, vcc
	v_lshlrev_b32_e32 v11, 16, v3
	v_mov_b32_e32 v12, 0x3b800000
	v_lshlrev_b32_e32 v6, 20, v6
	v_and_b32_e32 v11, 0x80000000, v11
	v_lshl_add_u32 v10, v10, 23, v12
	v_or3_b32 v10, v11, v10, v6
.LBB28_1712:
	s_or_b64 exec, exec, s[6:7]
	s_nop 0
	v_mfma_f32_16x16x4f32 a[0:3], v2, v10, a[0:3]
	s_movk_i32 s4, 0xff
	v_and_b32_sdwa v6, v7, s4 dst_sel:DWORD dst_unused:UNUSED_PAD src0_sel:WORD_1 src1_sel:DWORD
	s_movk_i32 s4, 0x7f
	v_cmp_lt_i16_e32 vcc, s4, v6
	s_mov_b64 s[4:5], 0
                                        ; implicit-def: $sgpr10
	s_and_saveexec_b64 s[6:7], vcc
	s_xor_b64 s[6:7], exec, s[6:7]
	s_cbranch_execnz .LBB28_3761
; %bb.1713:
	s_or_saveexec_b64 s[6:7], s[6:7]
	v_mov_b32_e32 v2, s10
	s_xor_b64 exec, exec, s[6:7]
	s_cbranch_execnz .LBB28_3764
.LBB28_1714:
	s_or_b64 exec, exec, s[6:7]
	s_and_saveexec_b64 s[6:7], s[4:5]
	s_cbranch_execz .LBB28_1716
.LBB28_1715:
	v_bfe_u32 v2, v7, 16, 3
	v_ffbh_u32_e32 v11, v2
	v_min_u32_e32 v11, 32, v11
	v_lshrrev_b32_e32 v6, 19, v7
	v_subrev_u32_e32 v12, 28, v11
	v_and_b32_e32 v6, 15, v6
	v_lshlrev_b32_sdwa v12, v12, v7 dst_sel:DWORD dst_unused:UNUSED_PAD src0_sel:DWORD src1_sel:WORD_1
	v_bfe_u32 v10, v7, 19, 4
	v_sub_u32_e32 v11, 29, v11
	v_and_b32_e32 v12, 7, v12
	v_cmp_eq_u16_e32 vcc, 0, v6
	v_cndmask_b32_e32 v2, v2, v12, vcc
	v_cndmask_b32_e32 v6, v10, v11, vcc
	v_lshlrev_b32_e32 v10, 8, v7
	v_mov_b32_e32 v11, 0x3b800000
	v_lshlrev_b32_e32 v2, 20, v2
	v_and_b32_e32 v10, 0x80000000, v10
	v_lshl_add_u32 v6, v6, 23, v11
	v_or3_b32 v2, v10, v6, v2
.LBB28_1716:
	s_or_b64 exec, exec, s[6:7]
	s_movk_i32 s4, 0xff
	v_and_b32_sdwa v6, v3, s4 dst_sel:DWORD dst_unused:UNUSED_PAD src0_sel:WORD_1 src1_sel:DWORD
	s_movk_i32 s4, 0x7f
	v_cmp_lt_i16_e32 vcc, s4, v6
	s_mov_b64 s[4:5], 0
                                        ; implicit-def: $sgpr10
	s_and_saveexec_b64 s[6:7], vcc
	s_xor_b64 s[6:7], exec, s[6:7]
	s_cbranch_execnz .LBB28_3765
; %bb.1717:
	s_or_saveexec_b64 s[6:7], s[6:7]
	v_mov_b32_e32 v10, s10
	s_xor_b64 exec, exec, s[6:7]
	s_cbranch_execnz .LBB28_3768
.LBB28_1718:
	s_or_b64 exec, exec, s[6:7]
	s_and_saveexec_b64 s[6:7], s[4:5]
	s_cbranch_execz .LBB28_1720
.LBB28_1719:
	v_bfe_u32 v6, v3, 16, 3
	v_ffbh_u32_e32 v12, v6
	v_min_u32_e32 v12, 32, v12
	v_lshrrev_b32_e32 v10, 19, v3
	v_subrev_u32_e32 v13, 28, v12
	v_and_b32_e32 v10, 15, v10
	v_lshlrev_b32_sdwa v13, v13, v3 dst_sel:DWORD dst_unused:UNUSED_PAD src0_sel:DWORD src1_sel:WORD_1
	v_bfe_u32 v11, v3, 19, 4
	v_sub_u32_e32 v12, 29, v12
	v_and_b32_e32 v13, 7, v13
	v_cmp_eq_u16_e32 vcc, 0, v10
	v_cndmask_b32_e32 v6, v6, v13, vcc
	v_cndmask_b32_e32 v10, v11, v12, vcc
	v_lshlrev_b32_e32 v11, 8, v3
	v_mov_b32_e32 v12, 0x3b800000
	v_lshlrev_b32_e32 v6, 20, v6
	v_and_b32_e32 v11, 0x80000000, v11
	v_lshl_add_u32 v10, v10, 23, v12
	v_or3_b32 v10, v11, v10, v6
.LBB28_1720:
	s_or_b64 exec, exec, s[6:7]
	s_nop 0
	v_mfma_f32_16x16x4f32 a[0:3], v2, v10, a[0:3]
	s_movk_i32 s4, 0x7f
	v_cmp_gt_i16_sdwa s[6:7], v7, s4 src0_sel:BYTE_3 src1_sel:DWORD
	s_mov_b64 s[4:5], 0
                                        ; implicit-def: $sgpr10
	s_and_saveexec_b64 s[8:9], s[6:7]
	s_xor_b64 s[6:7], exec, s[8:9]
	s_cbranch_execnz .LBB28_3769
; %bb.1721:
	s_or_saveexec_b64 s[6:7], s[6:7]
	v_mov_b32_e32 v2, s10
	s_xor_b64 exec, exec, s[6:7]
	s_cbranch_execnz .LBB28_3772
.LBB28_1722:
	s_or_b64 exec, exec, s[6:7]
	s_and_saveexec_b64 s[6:7], s[4:5]
	s_cbranch_execz .LBB28_1724
.LBB28_1723:
	v_bfe_u32 v2, v7, 24, 3
	v_ffbh_u32_e32 v12, v2
	v_min_u32_e32 v12, 32, v12
	v_lshrrev_b32_e32 v10, 27, v7
	v_subrev_u32_e32 v13, 28, v12
	v_and_b32_e32 v6, 0x80000000, v7
	v_and_b32_e32 v10, 15, v10
	v_bfe_u32 v11, v7, 27, 4
	v_lshlrev_b32_sdwa v7, v13, v7 dst_sel:DWORD dst_unused:UNUSED_PAD src0_sel:DWORD src1_sel:BYTE_3
	v_sub_u32_e32 v12, 29, v12
	v_and_b32_e32 v7, 7, v7
	v_cmp_eq_u16_e32 vcc, 0, v10
	v_cndmask_b32_e32 v2, v2, v7, vcc
	v_cndmask_b32_e32 v7, v11, v12, vcc
	v_mov_b32_e32 v10, 0x3b800000
	v_lshlrev_b32_e32 v2, 20, v2
	v_lshl_add_u32 v7, v7, 23, v10
	v_or3_b32 v2, v6, v7, v2
.LBB28_1724:
	s_or_b64 exec, exec, s[6:7]
	s_movk_i32 s4, 0x7f
	v_cmp_gt_i16_sdwa s[6:7], v3, s4 src0_sel:BYTE_3 src1_sel:DWORD
	s_mov_b64 s[4:5], 0
                                        ; implicit-def: $sgpr10
	s_and_saveexec_b64 s[8:9], s[6:7]
	s_xor_b64 s[6:7], exec, s[8:9]
	s_cbranch_execnz .LBB28_3773
; %bb.1725:
	s_or_saveexec_b64 s[6:7], s[6:7]
	v_mov_b32_e32 v6, s10
	s_xor_b64 exec, exec, s[6:7]
	s_cbranch_execnz .LBB28_3776
.LBB28_1726:
	s_or_b64 exec, exec, s[6:7]
	s_and_saveexec_b64 s[6:7], s[4:5]
	s_cbranch_execz .LBB28_1728
.LBB28_1727:
	v_bfe_u32 v6, v3, 24, 3
	v_ffbh_u32_e32 v12, v6
	v_min_u32_e32 v12, 32, v12
	v_lshrrev_b32_e32 v10, 27, v3
	v_subrev_u32_e32 v13, 28, v12
	v_and_b32_e32 v7, 0x80000000, v3
	v_and_b32_e32 v10, 15, v10
	v_bfe_u32 v11, v3, 27, 4
	v_lshlrev_b32_sdwa v3, v13, v3 dst_sel:DWORD dst_unused:UNUSED_PAD src0_sel:DWORD src1_sel:BYTE_3
	v_sub_u32_e32 v12, 29, v12
	v_and_b32_e32 v3, 7, v3
	v_cmp_eq_u16_e32 vcc, 0, v10
	v_cndmask_b32_e32 v3, v6, v3, vcc
	v_cndmask_b32_e32 v6, v11, v12, vcc
	v_mov_b32_e32 v10, 0x3b800000
	v_lshlrev_b32_e32 v3, 20, v3
	v_lshl_add_u32 v6, v6, 23, v10
	v_or3_b32 v6, v7, v6, v3
.LBB28_1728:
	s_or_b64 exec, exec, s[6:7]
	s_nop 0
	v_mfma_f32_16x16x4f32 a[0:3], v2, v6, a[0:3]
	s_movk_i32 s4, 0x7f
	v_cmp_gt_i16_sdwa s[6:7], v8, s4 src0_sel:BYTE_0 src1_sel:DWORD
	s_mov_b64 s[4:5], 0
                                        ; implicit-def: $sgpr10
	s_and_saveexec_b64 s[8:9], s[6:7]
	s_xor_b64 s[6:7], exec, s[8:9]
	s_cbranch_execnz .LBB28_3777
; %bb.1729:
	s_or_saveexec_b64 s[6:7], s[6:7]
	v_mov_b32_e32 v2, s10
	s_xor_b64 exec, exec, s[6:7]
	s_cbranch_execnz .LBB28_3780
.LBB28_1730:
	s_or_b64 exec, exec, s[6:7]
	s_and_saveexec_b64 s[6:7], s[4:5]
	s_cbranch_execz .LBB28_1732
.LBB28_1731:
	v_and_b32_e32 v2, 7, v8
	v_ffbh_u32_e32 v6, v2
	v_min_u32_e32 v6, 32, v6
	v_lshrrev_b16_e32 v3, 3, v8
	v_subrev_u32_e32 v7, 28, v6
	v_and_b32_e32 v3, 15, v3
	v_lshlrev_b32_e32 v7, v7, v8
	v_sub_u32_e32 v6, 29, v6
	v_and_b32_e32 v7, 7, v7
	v_cmp_eq_u16_e32 vcc, 0, v3
	v_cndmask_b32_e32 v2, v2, v7, vcc
	v_cndmask_b32_e32 v3, v3, v6, vcc
	v_lshlrev_b32_e32 v6, 24, v8
	v_mov_b32_e32 v7, 0x3b800000
	v_lshlrev_b32_e32 v2, 20, v2
	v_and_b32_e32 v6, 0x80000000, v6
	v_lshl_add_u32 v3, v3, 23, v7
	v_or3_b32 v2, v6, v3, v2
.LBB28_1732:
	s_or_b64 exec, exec, s[6:7]
	s_movk_i32 s4, 0x7f
	v_cmp_gt_i16_sdwa s[6:7], v4, s4 src0_sel:BYTE_0 src1_sel:DWORD
	s_mov_b64 s[4:5], 0
                                        ; implicit-def: $sgpr10
	s_and_saveexec_b64 s[8:9], s[6:7]
	s_xor_b64 s[6:7], exec, s[8:9]
	s_cbranch_execnz .LBB28_3781
; %bb.1733:
	s_or_saveexec_b64 s[6:7], s[6:7]
	v_mov_b32_e32 v3, s10
	s_xor_b64 exec, exec, s[6:7]
	s_cbranch_execnz .LBB28_3784
.LBB28_1734:
	s_or_b64 exec, exec, s[6:7]
	s_and_saveexec_b64 s[6:7], s[4:5]
	s_cbranch_execz .LBB28_1736
.LBB28_1735:
	v_and_b32_e32 v3, 7, v4
	v_ffbh_u32_e32 v7, v3
	v_min_u32_e32 v7, 32, v7
	v_lshrrev_b16_e32 v6, 3, v4
	v_subrev_u32_e32 v10, 28, v7
	v_and_b32_e32 v6, 15, v6
	v_lshlrev_b32_e32 v10, v10, v4
	v_sub_u32_e32 v7, 29, v7
	v_and_b32_e32 v10, 7, v10
	v_cmp_eq_u16_e32 vcc, 0, v6
	v_cndmask_b32_e32 v3, v3, v10, vcc
	v_cndmask_b32_e32 v6, v6, v7, vcc
	v_lshlrev_b32_e32 v7, 24, v4
	v_mov_b32_e32 v10, 0x3b800000
	v_lshlrev_b32_e32 v3, 20, v3
	v_and_b32_e32 v7, 0x80000000, v7
	v_lshl_add_u32 v6, v6, 23, v10
	v_or3_b32 v3, v7, v6, v3
.LBB28_1736:
	s_or_b64 exec, exec, s[6:7]
	s_nop 0
	v_mfma_f32_16x16x4f32 a[0:3], v2, v3, a[0:3]
	v_lshrrev_b32_e32 v3, 8, v8
	s_movk_i32 s4, 0x7f
	v_cmp_gt_i16_sdwa s[6:7], v3, s4 src0_sel:BYTE_0 src1_sel:DWORD
	s_mov_b64 s[4:5], 0
                                        ; implicit-def: $sgpr10
	s_and_saveexec_b64 s[8:9], s[6:7]
	s_xor_b64 s[6:7], exec, s[8:9]
	s_cbranch_execnz .LBB28_3785
; %bb.1737:
	s_or_saveexec_b64 s[6:7], s[6:7]
	v_mov_b32_e32 v2, s10
	s_xor_b64 exec, exec, s[6:7]
	s_cbranch_execnz .LBB28_3788
.LBB28_1738:
	s_or_b64 exec, exec, s[6:7]
	s_and_saveexec_b64 s[6:7], s[4:5]
	s_cbranch_execz .LBB28_1740
.LBB28_1739:
	v_bfe_u32 v2, v8, 8, 3
	v_ffbh_u32_e32 v7, v2
	v_min_u32_e32 v7, 32, v7
	v_lshrrev_b16_e32 v6, 3, v3
	v_subrev_u32_e32 v10, 28, v7
	v_and_b32_e32 v6, 15, v6
	v_lshlrev_b32_e32 v3, v10, v3
	v_sub_u32_e32 v7, 29, v7
	v_and_b32_e32 v3, 7, v3
	v_cmp_eq_u16_e32 vcc, 0, v6
	v_cndmask_b32_e32 v2, v2, v3, vcc
	v_cndmask_b32_e32 v3, v6, v7, vcc
	v_lshlrev_b32_e32 v6, 16, v8
	v_mov_b32_e32 v7, 0x3b800000
	v_lshlrev_b32_e32 v2, 20, v2
	v_and_b32_e32 v6, 0x80000000, v6
	v_lshl_add_u32 v3, v3, 23, v7
	v_or3_b32 v2, v6, v3, v2
.LBB28_1740:
	s_or_b64 exec, exec, s[6:7]
	v_lshrrev_b32_e32 v3, 8, v4
	s_movk_i32 s4, 0x7f
	v_cmp_gt_i16_sdwa s[6:7], v3, s4 src0_sel:BYTE_0 src1_sel:DWORD
	s_mov_b64 s[4:5], 0
                                        ; implicit-def: $sgpr10
	s_and_saveexec_b64 s[8:9], s[6:7]
	s_xor_b64 s[6:7], exec, s[8:9]
	s_cbranch_execnz .LBB28_3789
; %bb.1741:
	s_or_saveexec_b64 s[6:7], s[6:7]
	v_mov_b32_e32 v6, s10
	s_xor_b64 exec, exec, s[6:7]
	s_cbranch_execnz .LBB28_3792
.LBB28_1742:
	s_or_b64 exec, exec, s[6:7]
	s_and_saveexec_b64 s[6:7], s[4:5]
	s_cbranch_execz .LBB28_1744
.LBB28_1743:
	v_bfe_u32 v6, v4, 8, 3
	v_ffbh_u32_e32 v10, v6
	v_min_u32_e32 v10, 32, v10
	v_lshrrev_b16_e32 v7, 3, v3
	v_subrev_u32_e32 v11, 28, v10
	v_and_b32_e32 v7, 15, v7
	v_lshlrev_b32_e32 v3, v11, v3
	v_sub_u32_e32 v10, 29, v10
	v_and_b32_e32 v3, 7, v3
	v_cmp_eq_u16_e32 vcc, 0, v7
	v_cndmask_b32_e32 v3, v6, v3, vcc
	v_cndmask_b32_e32 v6, v7, v10, vcc
	v_lshlrev_b32_e32 v7, 16, v4
	v_mov_b32_e32 v10, 0x3b800000
	v_lshlrev_b32_e32 v3, 20, v3
	v_and_b32_e32 v7, 0x80000000, v7
	v_lshl_add_u32 v6, v6, 23, v10
	v_or3_b32 v6, v7, v6, v3
.LBB28_1744:
	s_or_b64 exec, exec, s[6:7]
	s_nop 0
	v_mfma_f32_16x16x4f32 a[0:3], v2, v6, a[0:3]
	s_movk_i32 s4, 0xff
	v_and_b32_sdwa v3, v8, s4 dst_sel:DWORD dst_unused:UNUSED_PAD src0_sel:WORD_1 src1_sel:DWORD
	s_movk_i32 s4, 0x7f
	v_cmp_lt_i16_e32 vcc, s4, v3
	s_mov_b64 s[4:5], 0
                                        ; implicit-def: $sgpr10
	s_and_saveexec_b64 s[6:7], vcc
	s_xor_b64 s[6:7], exec, s[6:7]
	s_cbranch_execnz .LBB28_3793
; %bb.1745:
	s_or_saveexec_b64 s[6:7], s[6:7]
	v_mov_b32_e32 v2, s10
	s_xor_b64 exec, exec, s[6:7]
	s_cbranch_execnz .LBB28_3796
.LBB28_1746:
	s_or_b64 exec, exec, s[6:7]
	s_and_saveexec_b64 s[6:7], s[4:5]
	s_cbranch_execz .LBB28_1748
.LBB28_1747:
	v_bfe_u32 v2, v8, 16, 3
	v_ffbh_u32_e32 v7, v2
	v_min_u32_e32 v7, 32, v7
	v_lshrrev_b32_e32 v3, 19, v8
	v_subrev_u32_e32 v10, 28, v7
	v_and_b32_e32 v3, 15, v3
	v_lshlrev_b32_sdwa v10, v10, v8 dst_sel:DWORD dst_unused:UNUSED_PAD src0_sel:DWORD src1_sel:WORD_1
	v_bfe_u32 v6, v8, 19, 4
	v_sub_u32_e32 v7, 29, v7
	v_and_b32_e32 v10, 7, v10
	v_cmp_eq_u16_e32 vcc, 0, v3
	v_cndmask_b32_e32 v2, v2, v10, vcc
	v_cndmask_b32_e32 v3, v6, v7, vcc
	v_lshlrev_b32_e32 v6, 8, v8
	v_mov_b32_e32 v7, 0x3b800000
	v_lshlrev_b32_e32 v2, 20, v2
	v_and_b32_e32 v6, 0x80000000, v6
	v_lshl_add_u32 v3, v3, 23, v7
	v_or3_b32 v2, v6, v3, v2
.LBB28_1748:
	s_or_b64 exec, exec, s[6:7]
	s_movk_i32 s4, 0xff
	v_and_b32_sdwa v3, v4, s4 dst_sel:DWORD dst_unused:UNUSED_PAD src0_sel:WORD_1 src1_sel:DWORD
	s_movk_i32 s4, 0x7f
	v_cmp_lt_i16_e32 vcc, s4, v3
	s_mov_b64 s[4:5], 0
                                        ; implicit-def: $sgpr10
	s_and_saveexec_b64 s[6:7], vcc
	s_xor_b64 s[6:7], exec, s[6:7]
	s_cbranch_execnz .LBB28_3797
; %bb.1749:
	s_or_saveexec_b64 s[6:7], s[6:7]
	v_mov_b32_e32 v6, s10
	s_xor_b64 exec, exec, s[6:7]
	s_cbranch_execnz .LBB28_3800
.LBB28_1750:
	s_or_b64 exec, exec, s[6:7]
	s_and_saveexec_b64 s[6:7], s[4:5]
	s_cbranch_execz .LBB28_1752
.LBB28_1751:
	v_bfe_u32 v3, v4, 16, 3
	v_ffbh_u32_e32 v10, v3
	v_min_u32_e32 v10, 32, v10
	v_lshrrev_b32_e32 v6, 19, v4
	v_subrev_u32_e32 v11, 28, v10
	v_and_b32_e32 v6, 15, v6
	v_lshlrev_b32_sdwa v11, v11, v4 dst_sel:DWORD dst_unused:UNUSED_PAD src0_sel:DWORD src1_sel:WORD_1
	v_bfe_u32 v7, v4, 19, 4
	v_sub_u32_e32 v10, 29, v10
	v_and_b32_e32 v11, 7, v11
	v_cmp_eq_u16_e32 vcc, 0, v6
	v_cndmask_b32_e32 v3, v3, v11, vcc
	v_cndmask_b32_e32 v6, v7, v10, vcc
	v_lshlrev_b32_e32 v7, 8, v4
	v_mov_b32_e32 v10, 0x3b800000
	v_lshlrev_b32_e32 v3, 20, v3
	v_and_b32_e32 v7, 0x80000000, v7
	v_lshl_add_u32 v6, v6, 23, v10
	v_or3_b32 v6, v7, v6, v3
.LBB28_1752:
	s_or_b64 exec, exec, s[6:7]
	s_nop 0
	v_mfma_f32_16x16x4f32 a[0:3], v2, v6, a[0:3]
	s_movk_i32 s4, 0x7f
	v_cmp_gt_i16_sdwa s[6:7], v8, s4 src0_sel:BYTE_3 src1_sel:DWORD
	s_mov_b64 s[4:5], 0
                                        ; implicit-def: $sgpr10
	s_and_saveexec_b64 s[8:9], s[6:7]
	s_xor_b64 s[6:7], exec, s[8:9]
	s_cbranch_execnz .LBB28_3801
; %bb.1753:
	s_or_saveexec_b64 s[6:7], s[6:7]
	v_mov_b32_e32 v2, s10
	s_xor_b64 exec, exec, s[6:7]
	s_cbranch_execnz .LBB28_3804
.LBB28_1754:
	s_or_b64 exec, exec, s[6:7]
	s_and_saveexec_b64 s[6:7], s[4:5]
	s_cbranch_execz .LBB28_1756
.LBB28_1755:
	v_bfe_u32 v2, v8, 24, 3
	v_ffbh_u32_e32 v10, v2
	v_min_u32_e32 v10, 32, v10
	v_lshrrev_b32_e32 v6, 27, v8
	v_subrev_u32_e32 v11, 28, v10
	v_and_b32_e32 v3, 0x80000000, v8
	v_and_b32_e32 v6, 15, v6
	v_bfe_u32 v7, v8, 27, 4
	v_lshlrev_b32_sdwa v8, v11, v8 dst_sel:DWORD dst_unused:UNUSED_PAD src0_sel:DWORD src1_sel:BYTE_3
	v_sub_u32_e32 v10, 29, v10
	v_and_b32_e32 v8, 7, v8
	v_cmp_eq_u16_e32 vcc, 0, v6
	v_cndmask_b32_e32 v2, v2, v8, vcc
	v_cndmask_b32_e32 v6, v7, v10, vcc
	v_mov_b32_e32 v7, 0x3b800000
	v_lshlrev_b32_e32 v2, 20, v2
	v_lshl_add_u32 v6, v6, 23, v7
	v_or3_b32 v2, v3, v6, v2
.LBB28_1756:
	s_or_b64 exec, exec, s[6:7]
	s_movk_i32 s4, 0x7f
	v_cmp_gt_i16_sdwa s[6:7], v4, s4 src0_sel:BYTE_3 src1_sel:DWORD
	s_mov_b64 s[4:5], 0
                                        ; implicit-def: $sgpr10
	s_and_saveexec_b64 s[8:9], s[6:7]
	s_xor_b64 s[6:7], exec, s[8:9]
	s_cbranch_execnz .LBB28_3805
; %bb.1757:
	s_or_saveexec_b64 s[6:7], s[6:7]
	v_mov_b32_e32 v3, s10
	s_xor_b64 exec, exec, s[6:7]
	s_cbranch_execnz .LBB28_3808
.LBB28_1758:
	s_or_b64 exec, exec, s[6:7]
	s_and_saveexec_b64 s[6:7], s[4:5]
	s_cbranch_execz .LBB28_1760
.LBB28_1759:
	v_bfe_u32 v3, v4, 24, 3
	v_ffbh_u32_e32 v10, v3
	v_min_u32_e32 v10, 32, v10
	v_lshrrev_b32_e32 v7, 27, v4
	v_subrev_u32_e32 v11, 28, v10
	v_and_b32_e32 v6, 0x80000000, v4
	v_and_b32_e32 v7, 15, v7
	v_bfe_u32 v8, v4, 27, 4
	v_lshlrev_b32_sdwa v4, v11, v4 dst_sel:DWORD dst_unused:UNUSED_PAD src0_sel:DWORD src1_sel:BYTE_3
	v_sub_u32_e32 v10, 29, v10
	v_and_b32_e32 v4, 7, v4
	v_cmp_eq_u16_e32 vcc, 0, v7
	v_cndmask_b32_e32 v3, v3, v4, vcc
	v_cndmask_b32_e32 v4, v8, v10, vcc
	v_mov_b32_e32 v7, 0x3b800000
	v_lshlrev_b32_e32 v3, 20, v3
	v_lshl_add_u32 v4, v4, 23, v7
	v_or3_b32 v3, v6, v4, v3
.LBB28_1760:
	s_or_b64 exec, exec, s[6:7]
	s_nop 0
	v_mfma_f32_16x16x4f32 a[0:3], v2, v3, a[0:3]
	s_movk_i32 s4, 0x7f
	v_cmp_gt_i16_sdwa s[6:7], v9, s4 src0_sel:BYTE_0 src1_sel:DWORD
	s_mov_b64 s[4:5], 0
                                        ; implicit-def: $sgpr10
	s_and_saveexec_b64 s[8:9], s[6:7]
	s_xor_b64 s[6:7], exec, s[8:9]
	s_cbranch_execnz .LBB28_3809
; %bb.1761:
	s_or_saveexec_b64 s[6:7], s[6:7]
	v_mov_b32_e32 v2, s10
	s_xor_b64 exec, exec, s[6:7]
	s_cbranch_execnz .LBB28_3812
.LBB28_1762:
	s_or_b64 exec, exec, s[6:7]
	s_and_saveexec_b64 s[6:7], s[4:5]
	s_cbranch_execz .LBB28_1764
.LBB28_1763:
	v_mov_b32_e32 v2, 8
	v_and_b32_e32 v3, 7, v9
	v_lshrrev_b32_sdwa v2, v2, v9 dst_sel:BYTE_1 dst_unused:UNUSED_PAD src0_sel:DWORD src1_sel:DWORD
	v_ffbh_u32_e32 v4, v3
	v_or_b32_sdwa v2, v9, v2 dst_sel:DWORD dst_unused:UNUSED_PAD src0_sel:BYTE_0 src1_sel:DWORD
	v_min_u32_e32 v4, 32, v4
	v_lshrrev_b16_e32 v2, 3, v2
	v_subrev_u32_e32 v6, 28, v4
	v_and_b32_e32 v2, 15, v2
	v_lshlrev_b32_e32 v6, v6, v9
	v_sub_u32_e32 v4, 29, v4
	v_and_b32_e32 v6, 7, v6
	v_cmp_eq_u16_e32 vcc, 0, v2
	v_cndmask_b32_e32 v3, v3, v6, vcc
	v_cndmask_b32_e32 v2, v2, v4, vcc
	v_lshlrev_b32_e32 v4, 24, v9
	v_mov_b32_e32 v6, 0x3b800000
	v_lshlrev_b32_e32 v3, 20, v3
	v_and_b32_e32 v4, 0x80000000, v4
	v_lshl_add_u32 v2, v2, 23, v6
	v_or3_b32 v2, v4, v2, v3
.LBB28_1764:
	s_or_b64 exec, exec, s[6:7]
	s_movk_i32 s4, 0x7f
	v_cmp_gt_i16_sdwa s[6:7], v5, s4 src0_sel:BYTE_0 src1_sel:DWORD
	s_mov_b64 s[4:5], 0
                                        ; implicit-def: $sgpr10
	s_and_saveexec_b64 s[8:9], s[6:7]
	s_xor_b64 s[6:7], exec, s[8:9]
	s_cbranch_execnz .LBB28_3813
; %bb.1765:
	s_or_saveexec_b64 s[6:7], s[6:7]
	v_mov_b32_e32 v3, s10
	s_xor_b64 exec, exec, s[6:7]
	s_cbranch_execnz .LBB28_3816
.LBB28_1766:
	s_or_b64 exec, exec, s[6:7]
	s_and_saveexec_b64 s[6:7], s[4:5]
	s_cbranch_execz .LBB28_1768
.LBB28_1767:
	v_mov_b32_e32 v3, 8
	v_and_b32_e32 v4, 7, v5
	v_lshrrev_b32_sdwa v3, v3, v5 dst_sel:BYTE_1 dst_unused:UNUSED_PAD src0_sel:DWORD src1_sel:DWORD
	v_ffbh_u32_e32 v6, v4
	v_or_b32_sdwa v3, v5, v3 dst_sel:DWORD dst_unused:UNUSED_PAD src0_sel:BYTE_0 src1_sel:DWORD
	v_min_u32_e32 v6, 32, v6
	v_lshrrev_b16_e32 v3, 3, v3
	v_subrev_u32_e32 v7, 28, v6
	v_and_b32_e32 v3, 15, v3
	v_lshlrev_b32_e32 v7, v7, v5
	v_sub_u32_e32 v6, 29, v6
	v_and_b32_e32 v7, 7, v7
	v_cmp_eq_u16_e32 vcc, 0, v3
	v_cndmask_b32_e32 v4, v4, v7, vcc
	v_cndmask_b32_e32 v3, v3, v6, vcc
	v_lshlrev_b32_e32 v6, 24, v5
	v_mov_b32_e32 v7, 0x3b800000
	v_lshlrev_b32_e32 v4, 20, v4
	v_and_b32_e32 v6, 0x80000000, v6
	v_lshl_add_u32 v3, v3, 23, v7
	v_or3_b32 v3, v6, v3, v4
.LBB28_1768:
	s_or_b64 exec, exec, s[6:7]
	s_nop 0
	v_mfma_f32_16x16x4f32 a[0:3], v2, v3, a[0:3]
	v_lshrrev_b32_e32 v3, 8, v9
	s_movk_i32 s4, 0x7f
	v_cmp_gt_i16_sdwa s[6:7], v3, s4 src0_sel:BYTE_0 src1_sel:DWORD
	s_mov_b64 s[4:5], 0
                                        ; implicit-def: $sgpr10
	s_and_saveexec_b64 s[8:9], s[6:7]
	s_xor_b64 s[6:7], exec, s[8:9]
	s_cbranch_execnz .LBB28_3817
; %bb.1769:
	s_or_saveexec_b64 s[6:7], s[6:7]
	v_mov_b32_e32 v2, s10
	s_xor_b64 exec, exec, s[6:7]
	s_cbranch_execnz .LBB28_3820
.LBB28_1770:
	s_or_b64 exec, exec, s[6:7]
	s_and_saveexec_b64 s[6:7], s[4:5]
	s_cbranch_execz .LBB28_1772
.LBB28_1771:
	v_bfe_u32 v2, v9, 8, 3
	v_ffbh_u32_e32 v6, v2
	v_min_u32_e32 v6, 32, v6
	v_lshrrev_b16_e32 v4, 3, v3
	v_subrev_u32_e32 v7, 28, v6
	v_and_b32_e32 v4, 15, v4
	v_lshlrev_b32_e32 v3, v7, v3
	v_sub_u32_e32 v6, 29, v6
	v_and_b32_e32 v3, 7, v3
	v_cmp_eq_u16_e32 vcc, 0, v4
	v_cndmask_b32_e32 v2, v2, v3, vcc
	v_cndmask_b32_e32 v3, v4, v6, vcc
	v_lshlrev_b32_e32 v4, 16, v9
	v_mov_b32_e32 v6, 0x3b800000
	v_lshlrev_b32_e32 v2, 20, v2
	v_and_b32_e32 v4, 0x80000000, v4
	v_lshl_add_u32 v3, v3, 23, v6
	v_or3_b32 v2, v4, v3, v2
.LBB28_1772:
	s_or_b64 exec, exec, s[6:7]
	v_lshrrev_b32_e32 v3, 8, v5
	s_movk_i32 s4, 0x7f
	v_cmp_gt_i16_sdwa s[6:7], v3, s4 src0_sel:BYTE_0 src1_sel:DWORD
	s_mov_b64 s[4:5], 0
                                        ; implicit-def: $sgpr10
	s_and_saveexec_b64 s[8:9], s[6:7]
	s_xor_b64 s[6:7], exec, s[8:9]
	s_cbranch_execnz .LBB28_3821
; %bb.1773:
	s_or_saveexec_b64 s[6:7], s[6:7]
	v_mov_b32_e32 v4, s10
	s_xor_b64 exec, exec, s[6:7]
	s_cbranch_execnz .LBB28_3824
.LBB28_1774:
	s_or_b64 exec, exec, s[6:7]
	s_and_saveexec_b64 s[6:7], s[4:5]
	s_cbranch_execz .LBB28_1776
.LBB28_1775:
	v_bfe_u32 v4, v5, 8, 3
	v_ffbh_u32_e32 v7, v4
	v_min_u32_e32 v7, 32, v7
	v_lshrrev_b16_e32 v6, 3, v3
	v_subrev_u32_e32 v8, 28, v7
	v_and_b32_e32 v6, 15, v6
	v_lshlrev_b32_e32 v3, v8, v3
	v_sub_u32_e32 v7, 29, v7
	v_and_b32_e32 v3, 7, v3
	v_cmp_eq_u16_e32 vcc, 0, v6
	v_cndmask_b32_e32 v3, v4, v3, vcc
	v_cndmask_b32_e32 v4, v6, v7, vcc
	v_lshlrev_b32_e32 v6, 16, v5
	v_mov_b32_e32 v7, 0x3b800000
	v_lshlrev_b32_e32 v3, 20, v3
	v_and_b32_e32 v6, 0x80000000, v6
	v_lshl_add_u32 v4, v4, 23, v7
	v_or3_b32 v4, v6, v4, v3
.LBB28_1776:
	s_or_b64 exec, exec, s[6:7]
	s_nop 0
	v_mfma_f32_16x16x4f32 a[0:3], v2, v4, a[0:3]
	s_movk_i32 s4, 0xff
	v_and_b32_sdwa v3, v9, s4 dst_sel:DWORD dst_unused:UNUSED_PAD src0_sel:WORD_1 src1_sel:DWORD
	s_movk_i32 s4, 0x7f
	v_cmp_lt_i16_e32 vcc, s4, v3
	s_mov_b64 s[4:5], 0
                                        ; implicit-def: $sgpr10
	s_and_saveexec_b64 s[6:7], vcc
	s_xor_b64 s[6:7], exec, s[6:7]
	s_cbranch_execnz .LBB28_3825
; %bb.1777:
	s_or_saveexec_b64 s[6:7], s[6:7]
	v_mov_b32_e32 v2, s10
	s_xor_b64 exec, exec, s[6:7]
	s_cbranch_execnz .LBB28_3828
.LBB28_1778:
	s_or_b64 exec, exec, s[6:7]
	s_and_saveexec_b64 s[6:7], s[4:5]
	s_cbranch_execz .LBB28_1780
.LBB28_1779:
	v_bfe_u32 v2, v9, 16, 3
	v_ffbh_u32_e32 v6, v2
	v_min_u32_e32 v6, 32, v6
	v_lshrrev_b32_e32 v3, 19, v9
	v_subrev_u32_e32 v7, 28, v6
	v_and_b32_e32 v3, 15, v3
	v_lshlrev_b32_sdwa v7, v7, v9 dst_sel:DWORD dst_unused:UNUSED_PAD src0_sel:DWORD src1_sel:WORD_1
	v_bfe_u32 v4, v9, 19, 4
	v_sub_u32_e32 v6, 29, v6
	v_and_b32_e32 v7, 7, v7
	v_cmp_eq_u16_e32 vcc, 0, v3
	v_cndmask_b32_e32 v2, v2, v7, vcc
	v_cndmask_b32_e32 v3, v4, v6, vcc
	v_lshlrev_b32_e32 v4, 8, v9
	v_mov_b32_e32 v6, 0x3b800000
	v_lshlrev_b32_e32 v2, 20, v2
	v_and_b32_e32 v4, 0x80000000, v4
	v_lshl_add_u32 v3, v3, 23, v6
	v_or3_b32 v2, v4, v3, v2
.LBB28_1780:
	s_or_b64 exec, exec, s[6:7]
	s_movk_i32 s4, 0xff
	v_and_b32_sdwa v3, v5, s4 dst_sel:DWORD dst_unused:UNUSED_PAD src0_sel:WORD_1 src1_sel:DWORD
	s_movk_i32 s4, 0x7f
	v_cmp_lt_i16_e32 vcc, s4, v3
	s_mov_b64 s[4:5], 0
                                        ; implicit-def: $sgpr10
	s_and_saveexec_b64 s[6:7], vcc
	s_xor_b64 s[6:7], exec, s[6:7]
	s_cbranch_execnz .LBB28_3829
; %bb.1781:
	s_or_saveexec_b64 s[6:7], s[6:7]
	v_mov_b32_e32 v4, s10
	s_xor_b64 exec, exec, s[6:7]
	s_cbranch_execnz .LBB28_3832
.LBB28_1782:
	s_or_b64 exec, exec, s[6:7]
	s_and_saveexec_b64 s[6:7], s[4:5]
	s_cbranch_execz .LBB28_1784
.LBB28_1783:
	v_bfe_u32 v3, v5, 16, 3
	v_ffbh_u32_e32 v7, v3
	v_min_u32_e32 v7, 32, v7
	v_lshrrev_b32_e32 v4, 19, v5
	v_subrev_u32_e32 v8, 28, v7
	v_and_b32_e32 v4, 15, v4
	v_lshlrev_b32_sdwa v8, v8, v5 dst_sel:DWORD dst_unused:UNUSED_PAD src0_sel:DWORD src1_sel:WORD_1
	v_bfe_u32 v6, v5, 19, 4
	v_sub_u32_e32 v7, 29, v7
	v_and_b32_e32 v8, 7, v8
	v_cmp_eq_u16_e32 vcc, 0, v4
	v_cndmask_b32_e32 v3, v3, v8, vcc
	v_cndmask_b32_e32 v4, v6, v7, vcc
	v_lshlrev_b32_e32 v6, 8, v5
	v_mov_b32_e32 v7, 0x3b800000
	v_lshlrev_b32_e32 v3, 20, v3
	v_and_b32_e32 v6, 0x80000000, v6
	v_lshl_add_u32 v4, v4, 23, v7
	v_or3_b32 v4, v6, v4, v3
.LBB28_1784:
	s_or_b64 exec, exec, s[6:7]
	s_nop 0
	v_mfma_f32_16x16x4f32 a[0:3], v2, v4, a[0:3]
	s_movk_i32 s4, 0x7f
	v_cmp_gt_i16_sdwa s[6:7], v9, s4 src0_sel:BYTE_3 src1_sel:DWORD
	s_mov_b64 s[4:5], 0
                                        ; implicit-def: $sgpr10
	s_and_saveexec_b64 s[8:9], s[6:7]
	s_xor_b64 s[6:7], exec, s[8:9]
	s_cbranch_execnz .LBB28_3833
; %bb.1785:
	s_or_saveexec_b64 s[6:7], s[6:7]
	v_mov_b32_e32 v2, s10
	s_xor_b64 exec, exec, s[6:7]
	s_cbranch_execnz .LBB28_3836
.LBB28_1786:
	s_or_b64 exec, exec, s[6:7]
	s_and_saveexec_b64 s[6:7], s[4:5]
	s_cbranch_execz .LBB28_1788
.LBB28_1787:
	v_bfe_u32 v2, v9, 24, 3
	v_ffbh_u32_e32 v7, v2
	v_min_u32_e32 v7, 32, v7
	v_lshrrev_b32_e32 v4, 27, v9
	v_subrev_u32_e32 v8, 28, v7
	v_and_b32_e32 v4, 15, v4
	v_lshlrev_b32_sdwa v8, v8, v9 dst_sel:DWORD dst_unused:UNUSED_PAD src0_sel:DWORD src1_sel:BYTE_3
	v_bfe_u32 v6, v9, 27, 4
	v_sub_u32_e32 v7, 29, v7
	v_and_b32_e32 v8, 7, v8
	v_cmp_eq_u16_e32 vcc, 0, v4
	v_cndmask_b32_e32 v2, v2, v8, vcc
	v_cndmask_b32_e32 v4, v6, v7, vcc
	v_mov_b32_e32 v6, 0x3b800000
	v_and_b32_e32 v3, 0x80000000, v9
	v_lshlrev_b32_e32 v2, 20, v2
	v_lshl_add_u32 v4, v4, 23, v6
	v_or3_b32 v2, v3, v4, v2
.LBB28_1788:
	s_or_b64 exec, exec, s[6:7]
	s_movk_i32 s4, 0x7f
	v_cmp_gt_i16_sdwa s[6:7], v5, s4 src0_sel:BYTE_3 src1_sel:DWORD
	s_mov_b64 s[4:5], 0
                                        ; implicit-def: $sgpr10
	s_and_saveexec_b64 s[8:9], s[6:7]
	s_xor_b64 s[6:7], exec, s[8:9]
	s_cbranch_execnz .LBB28_3837
; %bb.1789:
	s_or_saveexec_b64 s[6:7], s[6:7]
	v_mov_b32_e32 v3, s10
	s_xor_b64 exec, exec, s[6:7]
	s_cbranch_execnz .LBB28_3840
.LBB28_1790:
	s_or_b64 exec, exec, s[6:7]
	s_and_saveexec_b64 s[6:7], s[4:5]
	s_cbranch_execz .LBB28_1792
.LBB28_1791:
	v_bfe_u32 v3, v5, 24, 3
	v_ffbh_u32_e32 v8, v3
	v_min_u32_e32 v8, 32, v8
	v_lshrrev_b32_e32 v6, 27, v5
	v_subrev_u32_e32 v9, 28, v8
	v_and_b32_e32 v4, 0x80000000, v5
	v_and_b32_e32 v6, 15, v6
	v_bfe_u32 v7, v5, 27, 4
	v_lshlrev_b32_sdwa v5, v9, v5 dst_sel:DWORD dst_unused:UNUSED_PAD src0_sel:DWORD src1_sel:BYTE_3
	v_sub_u32_e32 v8, 29, v8
	v_and_b32_e32 v5, 7, v5
	v_cmp_eq_u16_e32 vcc, 0, v6
	v_cndmask_b32_e32 v3, v3, v5, vcc
	v_cndmask_b32_e32 v5, v7, v8, vcc
	v_mov_b32_e32 v6, 0x3b800000
	v_lshlrev_b32_e32 v3, 20, v3
	v_lshl_add_u32 v5, v5, 23, v6
	v_or3_b32 v3, v4, v5, v3
.LBB28_1792:
	s_or_b64 exec, exec, s[6:7]
	s_nop 0
	v_mfma_f32_16x16x4f32 a[0:3], v2, v3, a[0:3]
	s_movk_i32 s4, 0x7f
                                        ; implicit-def: $sgpr10
	s_nop 7
	s_nop 1
	flat_store_dwordx4 v[18:19], a[0:3] offset:96
	flat_load_dwordx4 v[18:21], v[0:1] offset:16
	s_nop 0
	flat_load_dwordx2 v[16:17], v[0:1] offset:32
	s_waitcnt vmcnt(0) lgkmcnt(0)
	flat_load_dwordx4 v[12:15], v[18:19]
	flat_load_dwordx4 v[4:7], v[18:19] offset:16
	flat_load_dwordx4 v[8:11], v[20:21] offset:224
	;; [unrolled: 1-line block ×3, first 2 shown]
	s_waitcnt vmcnt(0) lgkmcnt(0)
	v_cmp_gt_i16_sdwa s[6:7], v12, s4 src0_sel:BYTE_0 src1_sel:DWORD
	s_mov_b64 s[4:5], 0
	s_and_saveexec_b64 s[8:9], s[6:7]
	s_xor_b64 s[6:7], exec, s[8:9]
	s_cbranch_execnz .LBB28_3841
; %bb.1793:
	s_or_saveexec_b64 s[6:7], s[6:7]
	v_mov_b32_e32 v18, s10
	s_xor_b64 exec, exec, s[6:7]
	s_cbranch_execnz .LBB28_3844
.LBB28_1794:
	s_or_b64 exec, exec, s[6:7]
	s_and_saveexec_b64 s[6:7], s[4:5]
	s_cbranch_execz .LBB28_1796
.LBB28_1795:
	v_and_b32_e32 v18, 7, v12
	v_ffbh_u32_e32 v20, v18
	v_min_u32_e32 v20, 32, v20
	v_lshrrev_b16_e32 v19, 3, v12
	v_subrev_u32_e32 v21, 28, v20
	v_and_b32_e32 v19, 15, v19
	v_lshlrev_b32_e32 v21, v21, v12
	v_sub_u32_e32 v20, 29, v20
	v_and_b32_e32 v21, 7, v21
	v_cmp_eq_u16_e32 vcc, 0, v19
	v_cndmask_b32_e32 v18, v18, v21, vcc
	v_cndmask_b32_e32 v19, v19, v20, vcc
	v_lshlrev_b32_e32 v20, 24, v12
	v_mov_b32_e32 v21, 0x3b800000
	v_lshlrev_b32_e32 v18, 20, v18
	v_and_b32_e32 v20, 0x80000000, v20
	v_lshl_add_u32 v19, v19, 23, v21
	v_or3_b32 v18, v20, v19, v18
.LBB28_1796:
	s_or_b64 exec, exec, s[6:7]
	s_movk_i32 s4, 0x7f
	v_cmp_gt_i16_sdwa s[6:7], v8, s4 src0_sel:BYTE_0 src1_sel:DWORD
	s_mov_b64 s[4:5], 0
                                        ; implicit-def: $sgpr10
	s_and_saveexec_b64 s[8:9], s[6:7]
	s_xor_b64 s[6:7], exec, s[8:9]
	s_cbranch_execnz .LBB28_3845
; %bb.1797:
	s_or_saveexec_b64 s[6:7], s[6:7]
	v_mov_b32_e32 v19, s10
	s_xor_b64 exec, exec, s[6:7]
	s_cbranch_execnz .LBB28_3848
.LBB28_1798:
	s_or_b64 exec, exec, s[6:7]
	s_and_saveexec_b64 s[6:7], s[4:5]
	s_cbranch_execz .LBB28_1800
.LBB28_1799:
	v_and_b32_e32 v19, 7, v8
	v_ffbh_u32_e32 v21, v19
	v_min_u32_e32 v21, 32, v21
	v_lshrrev_b16_e32 v20, 3, v8
	v_subrev_u32_e32 v22, 28, v21
	v_and_b32_e32 v20, 15, v20
	v_lshlrev_b32_e32 v22, v22, v8
	v_sub_u32_e32 v21, 29, v21
	v_and_b32_e32 v22, 7, v22
	v_cmp_eq_u16_e32 vcc, 0, v20
	v_cndmask_b32_e32 v19, v19, v22, vcc
	v_cndmask_b32_e32 v20, v20, v21, vcc
	v_lshlrev_b32_e32 v21, 24, v8
	v_mov_b32_e32 v22, 0x3b800000
	v_lshlrev_b32_e32 v19, 20, v19
	v_and_b32_e32 v21, 0x80000000, v21
	v_lshl_add_u32 v20, v20, 23, v22
	v_or3_b32 v19, v21, v20, v19
.LBB28_1800:
	s_or_b64 exec, exec, s[6:7]
	flat_load_dwordx4 a[0:3], v[16:17] offset:112
	s_movk_i32 s4, 0x7f
                                        ; implicit-def: $sgpr10
	s_waitcnt vmcnt(0) lgkmcnt(0)
	v_mfma_f32_16x16x4f32 a[0:3], v18, v19, a[0:3]
	v_lshrrev_b32_e32 v19, 8, v12
	v_cmp_gt_i16_sdwa s[6:7], v19, s4 src0_sel:BYTE_0 src1_sel:DWORD
	s_mov_b64 s[4:5], 0
	s_and_saveexec_b64 s[8:9], s[6:7]
	s_xor_b64 s[6:7], exec, s[8:9]
	s_cbranch_execnz .LBB28_3849
; %bb.1801:
	s_or_saveexec_b64 s[6:7], s[6:7]
	v_mov_b32_e32 v18, s10
	s_xor_b64 exec, exec, s[6:7]
	s_cbranch_execnz .LBB28_3852
.LBB28_1802:
	s_or_b64 exec, exec, s[6:7]
	s_and_saveexec_b64 s[6:7], s[4:5]
	s_cbranch_execz .LBB28_1804
.LBB28_1803:
	v_bfe_u32 v18, v12, 8, 3
	v_ffbh_u32_e32 v21, v18
	v_min_u32_e32 v21, 32, v21
	v_lshrrev_b16_e32 v20, 3, v19
	v_subrev_u32_e32 v22, 28, v21
	v_and_b32_e32 v20, 15, v20
	v_lshlrev_b32_e32 v19, v22, v19
	v_sub_u32_e32 v21, 29, v21
	v_and_b32_e32 v19, 7, v19
	v_cmp_eq_u16_e32 vcc, 0, v20
	v_cndmask_b32_e32 v18, v18, v19, vcc
	v_cndmask_b32_e32 v19, v20, v21, vcc
	v_lshlrev_b32_e32 v20, 16, v12
	v_mov_b32_e32 v21, 0x3b800000
	v_lshlrev_b32_e32 v18, 20, v18
	v_and_b32_e32 v20, 0x80000000, v20
	v_lshl_add_u32 v19, v19, 23, v21
	v_or3_b32 v18, v20, v19, v18
.LBB28_1804:
	s_or_b64 exec, exec, s[6:7]
	v_lshrrev_b32_e32 v19, 8, v8
	s_movk_i32 s4, 0x7f
	v_cmp_gt_i16_sdwa s[6:7], v19, s4 src0_sel:BYTE_0 src1_sel:DWORD
	s_mov_b64 s[4:5], 0
                                        ; implicit-def: $sgpr10
	s_and_saveexec_b64 s[8:9], s[6:7]
	s_xor_b64 s[6:7], exec, s[8:9]
	s_cbranch_execnz .LBB28_3853
; %bb.1805:
	s_or_saveexec_b64 s[6:7], s[6:7]
	v_mov_b32_e32 v20, s10
	s_xor_b64 exec, exec, s[6:7]
	s_cbranch_execnz .LBB28_3856
.LBB28_1806:
	s_or_b64 exec, exec, s[6:7]
	s_and_saveexec_b64 s[6:7], s[4:5]
	s_cbranch_execz .LBB28_1808
.LBB28_1807:
	v_bfe_u32 v20, v8, 8, 3
	v_ffbh_u32_e32 v22, v20
	v_min_u32_e32 v22, 32, v22
	v_lshrrev_b16_e32 v21, 3, v19
	v_subrev_u32_e32 v23, 28, v22
	v_and_b32_e32 v21, 15, v21
	v_lshlrev_b32_e32 v19, v23, v19
	v_sub_u32_e32 v22, 29, v22
	v_and_b32_e32 v19, 7, v19
	v_cmp_eq_u16_e32 vcc, 0, v21
	v_cndmask_b32_e32 v19, v20, v19, vcc
	v_cndmask_b32_e32 v20, v21, v22, vcc
	v_lshlrev_b32_e32 v21, 16, v8
	v_mov_b32_e32 v22, 0x3b800000
	v_lshlrev_b32_e32 v19, 20, v19
	v_and_b32_e32 v21, 0x80000000, v21
	v_lshl_add_u32 v20, v20, 23, v22
	v_or3_b32 v20, v21, v20, v19
.LBB28_1808:
	s_or_b64 exec, exec, s[6:7]
	s_nop 0
	v_mfma_f32_16x16x4f32 a[0:3], v18, v20, a[0:3]
	s_movk_i32 s4, 0xff
	v_and_b32_sdwa v19, v12, s4 dst_sel:DWORD dst_unused:UNUSED_PAD src0_sel:WORD_1 src1_sel:DWORD
	s_movk_i32 s4, 0x7f
	v_cmp_lt_i16_e32 vcc, s4, v19
	s_mov_b64 s[4:5], 0
                                        ; implicit-def: $sgpr10
	s_and_saveexec_b64 s[6:7], vcc
	s_xor_b64 s[6:7], exec, s[6:7]
	s_cbranch_execnz .LBB28_3857
; %bb.1809:
	s_or_saveexec_b64 s[6:7], s[6:7]
	v_mov_b32_e32 v18, s10
	s_xor_b64 exec, exec, s[6:7]
	s_cbranch_execnz .LBB28_3860
.LBB28_1810:
	s_or_b64 exec, exec, s[6:7]
	s_and_saveexec_b64 s[6:7], s[4:5]
	s_cbranch_execz .LBB28_1812
.LBB28_1811:
	v_bfe_u32 v18, v12, 16, 3
	v_ffbh_u32_e32 v21, v18
	v_min_u32_e32 v21, 32, v21
	v_lshrrev_b32_e32 v19, 19, v12
	v_subrev_u32_e32 v22, 28, v21
	v_and_b32_e32 v19, 15, v19
	v_lshlrev_b32_sdwa v22, v22, v12 dst_sel:DWORD dst_unused:UNUSED_PAD src0_sel:DWORD src1_sel:WORD_1
	v_bfe_u32 v20, v12, 19, 4
	v_sub_u32_e32 v21, 29, v21
	v_and_b32_e32 v22, 7, v22
	v_cmp_eq_u16_e32 vcc, 0, v19
	v_cndmask_b32_e32 v18, v18, v22, vcc
	v_cndmask_b32_e32 v19, v20, v21, vcc
	v_lshlrev_b32_e32 v20, 8, v12
	v_mov_b32_e32 v21, 0x3b800000
	v_lshlrev_b32_e32 v18, 20, v18
	v_and_b32_e32 v20, 0x80000000, v20
	v_lshl_add_u32 v19, v19, 23, v21
	v_or3_b32 v18, v20, v19, v18
.LBB28_1812:
	s_or_b64 exec, exec, s[6:7]
	s_movk_i32 s4, 0xff
	v_and_b32_sdwa v19, v8, s4 dst_sel:DWORD dst_unused:UNUSED_PAD src0_sel:WORD_1 src1_sel:DWORD
	s_movk_i32 s4, 0x7f
	v_cmp_lt_i16_e32 vcc, s4, v19
	s_mov_b64 s[4:5], 0
                                        ; implicit-def: $sgpr10
	s_and_saveexec_b64 s[6:7], vcc
	s_xor_b64 s[6:7], exec, s[6:7]
	s_cbranch_execnz .LBB28_3861
; %bb.1813:
	s_or_saveexec_b64 s[6:7], s[6:7]
	v_mov_b32_e32 v20, s10
	s_xor_b64 exec, exec, s[6:7]
	s_cbranch_execnz .LBB28_3864
.LBB28_1814:
	s_or_b64 exec, exec, s[6:7]
	s_and_saveexec_b64 s[6:7], s[4:5]
	s_cbranch_execz .LBB28_1816
.LBB28_1815:
	v_bfe_u32 v19, v8, 16, 3
	v_ffbh_u32_e32 v22, v19
	v_min_u32_e32 v22, 32, v22
	v_lshrrev_b32_e32 v20, 19, v8
	v_subrev_u32_e32 v23, 28, v22
	v_and_b32_e32 v20, 15, v20
	v_lshlrev_b32_sdwa v23, v23, v8 dst_sel:DWORD dst_unused:UNUSED_PAD src0_sel:DWORD src1_sel:WORD_1
	v_bfe_u32 v21, v8, 19, 4
	v_sub_u32_e32 v22, 29, v22
	v_and_b32_e32 v23, 7, v23
	v_cmp_eq_u16_e32 vcc, 0, v20
	v_cndmask_b32_e32 v19, v19, v23, vcc
	v_cndmask_b32_e32 v20, v21, v22, vcc
	v_lshlrev_b32_e32 v21, 8, v8
	v_mov_b32_e32 v22, 0x3b800000
	v_lshlrev_b32_e32 v19, 20, v19
	v_and_b32_e32 v21, 0x80000000, v21
	v_lshl_add_u32 v20, v20, 23, v22
	v_or3_b32 v20, v21, v20, v19
.LBB28_1816:
	s_or_b64 exec, exec, s[6:7]
	s_nop 0
	v_mfma_f32_16x16x4f32 a[0:3], v18, v20, a[0:3]
	s_movk_i32 s4, 0x7f
	v_cmp_gt_i16_sdwa s[6:7], v12, s4 src0_sel:BYTE_3 src1_sel:DWORD
	s_mov_b64 s[4:5], 0
                                        ; implicit-def: $sgpr10
	s_and_saveexec_b64 s[8:9], s[6:7]
	s_xor_b64 s[6:7], exec, s[8:9]
	s_cbranch_execnz .LBB28_3865
; %bb.1817:
	s_or_saveexec_b64 s[6:7], s[6:7]
	v_mov_b32_e32 v18, s10
	s_xor_b64 exec, exec, s[6:7]
	s_cbranch_execnz .LBB28_3868
.LBB28_1818:
	s_or_b64 exec, exec, s[6:7]
	s_and_saveexec_b64 s[6:7], s[4:5]
	s_cbranch_execz .LBB28_1820
.LBB28_1819:
	v_bfe_u32 v18, v12, 24, 3
	v_ffbh_u32_e32 v22, v18
	v_min_u32_e32 v22, 32, v22
	v_lshrrev_b32_e32 v20, 27, v12
	v_subrev_u32_e32 v23, 28, v22
	v_and_b32_e32 v19, 0x80000000, v12
	v_and_b32_e32 v20, 15, v20
	v_bfe_u32 v21, v12, 27, 4
	v_lshlrev_b32_sdwa v12, v23, v12 dst_sel:DWORD dst_unused:UNUSED_PAD src0_sel:DWORD src1_sel:BYTE_3
	v_sub_u32_e32 v22, 29, v22
	v_and_b32_e32 v12, 7, v12
	v_cmp_eq_u16_e32 vcc, 0, v20
	v_cndmask_b32_e32 v12, v18, v12, vcc
	v_cndmask_b32_e32 v18, v21, v22, vcc
	v_mov_b32_e32 v20, 0x3b800000
	v_lshlrev_b32_e32 v12, 20, v12
	v_lshl_add_u32 v18, v18, 23, v20
	v_or3_b32 v18, v19, v18, v12
.LBB28_1820:
	s_or_b64 exec, exec, s[6:7]
	s_movk_i32 s4, 0x7f
	v_cmp_gt_i16_sdwa s[6:7], v8, s4 src0_sel:BYTE_3 src1_sel:DWORD
	s_mov_b64 s[4:5], 0
                                        ; implicit-def: $sgpr10
	s_and_saveexec_b64 s[8:9], s[6:7]
	s_xor_b64 s[6:7], exec, s[8:9]
	s_cbranch_execnz .LBB28_3869
; %bb.1821:
	s_or_saveexec_b64 s[6:7], s[6:7]
	v_mov_b32_e32 v12, s10
	s_xor_b64 exec, exec, s[6:7]
	s_cbranch_execnz .LBB28_3872
.LBB28_1822:
	s_or_b64 exec, exec, s[6:7]
	s_and_saveexec_b64 s[6:7], s[4:5]
	s_cbranch_execz .LBB28_1824
.LBB28_1823:
	v_bfe_u32 v12, v8, 24, 3
	v_ffbh_u32_e32 v22, v12
	v_min_u32_e32 v22, 32, v22
	v_lshrrev_b32_e32 v20, 27, v8
	v_subrev_u32_e32 v23, 28, v22
	v_and_b32_e32 v19, 0x80000000, v8
	v_and_b32_e32 v20, 15, v20
	v_bfe_u32 v21, v8, 27, 4
	v_lshlrev_b32_sdwa v8, v23, v8 dst_sel:DWORD dst_unused:UNUSED_PAD src0_sel:DWORD src1_sel:BYTE_3
	v_sub_u32_e32 v22, 29, v22
	v_and_b32_e32 v8, 7, v8
	v_cmp_eq_u16_e32 vcc, 0, v20
	v_cndmask_b32_e32 v8, v12, v8, vcc
	v_cndmask_b32_e32 v12, v21, v22, vcc
	v_mov_b32_e32 v20, 0x3b800000
	v_lshlrev_b32_e32 v8, 20, v8
	v_lshl_add_u32 v12, v12, 23, v20
	v_or3_b32 v12, v19, v12, v8
.LBB28_1824:
	s_or_b64 exec, exec, s[6:7]
	s_nop 0
	v_mfma_f32_16x16x4f32 a[0:3], v18, v12, a[0:3]
	s_movk_i32 s4, 0x7f
	v_cmp_gt_i16_sdwa s[6:7], v13, s4 src0_sel:BYTE_0 src1_sel:DWORD
	s_mov_b64 s[4:5], 0
                                        ; implicit-def: $sgpr10
	s_and_saveexec_b64 s[8:9], s[6:7]
	s_xor_b64 s[6:7], exec, s[8:9]
	s_cbranch_execnz .LBB28_3873
; %bb.1825:
	s_or_saveexec_b64 s[6:7], s[6:7]
	v_mov_b32_e32 v8, s10
	s_xor_b64 exec, exec, s[6:7]
	s_cbranch_execnz .LBB28_3876
.LBB28_1826:
	s_or_b64 exec, exec, s[6:7]
	s_and_saveexec_b64 s[6:7], s[4:5]
	s_cbranch_execz .LBB28_1828
.LBB28_1827:
	v_and_b32_e32 v8, 7, v13
	v_ffbh_u32_e32 v18, v8
	v_min_u32_e32 v18, 32, v18
	v_lshrrev_b16_e32 v12, 3, v13
	v_subrev_u32_e32 v19, 28, v18
	v_and_b32_e32 v12, 15, v12
	v_lshlrev_b32_e32 v19, v19, v13
	v_sub_u32_e32 v18, 29, v18
	v_and_b32_e32 v19, 7, v19
	v_cmp_eq_u16_e32 vcc, 0, v12
	v_cndmask_b32_e32 v8, v8, v19, vcc
	v_cndmask_b32_e32 v12, v12, v18, vcc
	v_lshlrev_b32_e32 v18, 24, v13
	v_mov_b32_e32 v19, 0x3b800000
	v_lshlrev_b32_e32 v8, 20, v8
	v_and_b32_e32 v18, 0x80000000, v18
	v_lshl_add_u32 v12, v12, 23, v19
	v_or3_b32 v8, v18, v12, v8
.LBB28_1828:
	s_or_b64 exec, exec, s[6:7]
	s_movk_i32 s4, 0x7f
	v_cmp_gt_i16_sdwa s[6:7], v9, s4 src0_sel:BYTE_0 src1_sel:DWORD
	s_mov_b64 s[4:5], 0
                                        ; implicit-def: $sgpr10
	s_and_saveexec_b64 s[8:9], s[6:7]
	s_xor_b64 s[6:7], exec, s[8:9]
	s_cbranch_execnz .LBB28_3877
; %bb.1829:
	s_or_saveexec_b64 s[6:7], s[6:7]
	v_mov_b32_e32 v12, s10
	s_xor_b64 exec, exec, s[6:7]
	s_cbranch_execnz .LBB28_3880
.LBB28_1830:
	s_or_b64 exec, exec, s[6:7]
	s_and_saveexec_b64 s[6:7], s[4:5]
	s_cbranch_execz .LBB28_1832
.LBB28_1831:
	v_and_b32_e32 v12, 7, v9
	v_ffbh_u32_e32 v19, v12
	v_min_u32_e32 v19, 32, v19
	v_lshrrev_b16_e32 v18, 3, v9
	v_subrev_u32_e32 v20, 28, v19
	v_and_b32_e32 v18, 15, v18
	v_lshlrev_b32_e32 v20, v20, v9
	v_sub_u32_e32 v19, 29, v19
	v_and_b32_e32 v20, 7, v20
	v_cmp_eq_u16_e32 vcc, 0, v18
	v_cndmask_b32_e32 v12, v12, v20, vcc
	v_cndmask_b32_e32 v18, v18, v19, vcc
	v_lshlrev_b32_e32 v19, 24, v9
	v_mov_b32_e32 v20, 0x3b800000
	v_lshlrev_b32_e32 v12, 20, v12
	v_and_b32_e32 v19, 0x80000000, v19
	v_lshl_add_u32 v18, v18, 23, v20
	v_or3_b32 v12, v19, v18, v12
.LBB28_1832:
	s_or_b64 exec, exec, s[6:7]
	s_nop 0
	v_mfma_f32_16x16x4f32 a[0:3], v8, v12, a[0:3]
	v_lshrrev_b32_e32 v12, 8, v13
	s_movk_i32 s4, 0x7f
	v_cmp_gt_i16_sdwa s[6:7], v12, s4 src0_sel:BYTE_0 src1_sel:DWORD
	s_mov_b64 s[4:5], 0
                                        ; implicit-def: $sgpr10
	s_and_saveexec_b64 s[8:9], s[6:7]
	s_xor_b64 s[6:7], exec, s[8:9]
	s_cbranch_execnz .LBB28_3881
; %bb.1833:
	s_or_saveexec_b64 s[6:7], s[6:7]
	v_mov_b32_e32 v8, s10
	s_xor_b64 exec, exec, s[6:7]
	s_cbranch_execnz .LBB28_3884
.LBB28_1834:
	s_or_b64 exec, exec, s[6:7]
	s_and_saveexec_b64 s[6:7], s[4:5]
	s_cbranch_execz .LBB28_1836
.LBB28_1835:
	v_bfe_u32 v8, v13, 8, 3
	v_ffbh_u32_e32 v19, v8
	v_min_u32_e32 v19, 32, v19
	v_lshrrev_b16_e32 v18, 3, v12
	v_subrev_u32_e32 v20, 28, v19
	v_and_b32_e32 v18, 15, v18
	v_lshlrev_b32_e32 v12, v20, v12
	v_sub_u32_e32 v19, 29, v19
	v_and_b32_e32 v12, 7, v12
	v_cmp_eq_u16_e32 vcc, 0, v18
	v_cndmask_b32_e32 v8, v8, v12, vcc
	v_cndmask_b32_e32 v12, v18, v19, vcc
	v_lshlrev_b32_e32 v18, 16, v13
	v_mov_b32_e32 v19, 0x3b800000
	v_lshlrev_b32_e32 v8, 20, v8
	v_and_b32_e32 v18, 0x80000000, v18
	v_lshl_add_u32 v12, v12, 23, v19
	v_or3_b32 v8, v18, v12, v8
.LBB28_1836:
	s_or_b64 exec, exec, s[6:7]
	v_lshrrev_b32_e32 v12, 8, v9
	s_movk_i32 s4, 0x7f
	v_cmp_gt_i16_sdwa s[6:7], v12, s4 src0_sel:BYTE_0 src1_sel:DWORD
	s_mov_b64 s[4:5], 0
                                        ; implicit-def: $sgpr10
	s_and_saveexec_b64 s[8:9], s[6:7]
	s_xor_b64 s[6:7], exec, s[8:9]
	s_cbranch_execnz .LBB28_3885
; %bb.1837:
	s_or_saveexec_b64 s[6:7], s[6:7]
	v_mov_b32_e32 v18, s10
	s_xor_b64 exec, exec, s[6:7]
	s_cbranch_execnz .LBB28_3888
.LBB28_1838:
	s_or_b64 exec, exec, s[6:7]
	s_and_saveexec_b64 s[6:7], s[4:5]
	s_cbranch_execz .LBB28_1840
.LBB28_1839:
	v_bfe_u32 v18, v9, 8, 3
	v_ffbh_u32_e32 v20, v18
	v_min_u32_e32 v20, 32, v20
	v_lshrrev_b16_e32 v19, 3, v12
	v_subrev_u32_e32 v21, 28, v20
	v_and_b32_e32 v19, 15, v19
	v_lshlrev_b32_e32 v12, v21, v12
	v_sub_u32_e32 v20, 29, v20
	v_and_b32_e32 v12, 7, v12
	v_cmp_eq_u16_e32 vcc, 0, v19
	v_cndmask_b32_e32 v12, v18, v12, vcc
	v_cndmask_b32_e32 v18, v19, v20, vcc
	v_lshlrev_b32_e32 v19, 16, v9
	v_mov_b32_e32 v20, 0x3b800000
	v_lshlrev_b32_e32 v12, 20, v12
	v_and_b32_e32 v19, 0x80000000, v19
	v_lshl_add_u32 v18, v18, 23, v20
	v_or3_b32 v18, v19, v18, v12
.LBB28_1840:
	s_or_b64 exec, exec, s[6:7]
	s_nop 0
	v_mfma_f32_16x16x4f32 a[0:3], v8, v18, a[0:3]
	s_movk_i32 s4, 0xff
	v_and_b32_sdwa v12, v13, s4 dst_sel:DWORD dst_unused:UNUSED_PAD src0_sel:WORD_1 src1_sel:DWORD
	s_movk_i32 s4, 0x7f
	v_cmp_lt_i16_e32 vcc, s4, v12
	s_mov_b64 s[4:5], 0
                                        ; implicit-def: $sgpr10
	s_and_saveexec_b64 s[6:7], vcc
	s_xor_b64 s[6:7], exec, s[6:7]
	s_cbranch_execnz .LBB28_3889
; %bb.1841:
	s_or_saveexec_b64 s[6:7], s[6:7]
	v_mov_b32_e32 v8, s10
	s_xor_b64 exec, exec, s[6:7]
	s_cbranch_execnz .LBB28_3892
.LBB28_1842:
	s_or_b64 exec, exec, s[6:7]
	s_and_saveexec_b64 s[6:7], s[4:5]
	s_cbranch_execz .LBB28_1844
.LBB28_1843:
	v_bfe_u32 v8, v13, 16, 3
	v_ffbh_u32_e32 v19, v8
	v_min_u32_e32 v19, 32, v19
	v_lshrrev_b32_e32 v12, 19, v13
	v_subrev_u32_e32 v20, 28, v19
	v_and_b32_e32 v12, 15, v12
	v_lshlrev_b32_sdwa v20, v20, v13 dst_sel:DWORD dst_unused:UNUSED_PAD src0_sel:DWORD src1_sel:WORD_1
	v_bfe_u32 v18, v13, 19, 4
	v_sub_u32_e32 v19, 29, v19
	v_and_b32_e32 v20, 7, v20
	v_cmp_eq_u16_e32 vcc, 0, v12
	v_cndmask_b32_e32 v8, v8, v20, vcc
	v_cndmask_b32_e32 v12, v18, v19, vcc
	v_lshlrev_b32_e32 v18, 8, v13
	v_mov_b32_e32 v19, 0x3b800000
	v_lshlrev_b32_e32 v8, 20, v8
	v_and_b32_e32 v18, 0x80000000, v18
	v_lshl_add_u32 v12, v12, 23, v19
	v_or3_b32 v8, v18, v12, v8
.LBB28_1844:
	s_or_b64 exec, exec, s[6:7]
	s_movk_i32 s4, 0xff
	v_and_b32_sdwa v12, v9, s4 dst_sel:DWORD dst_unused:UNUSED_PAD src0_sel:WORD_1 src1_sel:DWORD
	s_movk_i32 s4, 0x7f
	v_cmp_lt_i16_e32 vcc, s4, v12
	s_mov_b64 s[4:5], 0
                                        ; implicit-def: $sgpr10
	s_and_saveexec_b64 s[6:7], vcc
	s_xor_b64 s[6:7], exec, s[6:7]
	s_cbranch_execnz .LBB28_3893
; %bb.1845:
	s_or_saveexec_b64 s[6:7], s[6:7]
	v_mov_b32_e32 v18, s10
	s_xor_b64 exec, exec, s[6:7]
	s_cbranch_execnz .LBB28_3896
.LBB28_1846:
	s_or_b64 exec, exec, s[6:7]
	s_and_saveexec_b64 s[6:7], s[4:5]
	s_cbranch_execz .LBB28_1848
.LBB28_1847:
	v_bfe_u32 v12, v9, 16, 3
	v_ffbh_u32_e32 v20, v12
	v_min_u32_e32 v20, 32, v20
	v_lshrrev_b32_e32 v18, 19, v9
	v_subrev_u32_e32 v21, 28, v20
	v_and_b32_e32 v18, 15, v18
	v_lshlrev_b32_sdwa v21, v21, v9 dst_sel:DWORD dst_unused:UNUSED_PAD src0_sel:DWORD src1_sel:WORD_1
	v_bfe_u32 v19, v9, 19, 4
	v_sub_u32_e32 v20, 29, v20
	v_and_b32_e32 v21, 7, v21
	v_cmp_eq_u16_e32 vcc, 0, v18
	v_cndmask_b32_e32 v12, v12, v21, vcc
	v_cndmask_b32_e32 v18, v19, v20, vcc
	v_lshlrev_b32_e32 v19, 8, v9
	v_mov_b32_e32 v20, 0x3b800000
	v_lshlrev_b32_e32 v12, 20, v12
	v_and_b32_e32 v19, 0x80000000, v19
	v_lshl_add_u32 v18, v18, 23, v20
	v_or3_b32 v18, v19, v18, v12
.LBB28_1848:
	s_or_b64 exec, exec, s[6:7]
	s_nop 0
	v_mfma_f32_16x16x4f32 a[0:3], v8, v18, a[0:3]
	s_movk_i32 s4, 0x7f
	v_cmp_gt_i16_sdwa s[6:7], v13, s4 src0_sel:BYTE_3 src1_sel:DWORD
	s_mov_b64 s[4:5], 0
                                        ; implicit-def: $sgpr10
	s_and_saveexec_b64 s[8:9], s[6:7]
	s_xor_b64 s[6:7], exec, s[8:9]
	s_cbranch_execnz .LBB28_3897
; %bb.1849:
	s_or_saveexec_b64 s[6:7], s[6:7]
	v_mov_b32_e32 v8, s10
	s_xor_b64 exec, exec, s[6:7]
	s_cbranch_execnz .LBB28_3900
.LBB28_1850:
	s_or_b64 exec, exec, s[6:7]
	s_and_saveexec_b64 s[6:7], s[4:5]
	s_cbranch_execz .LBB28_1852
.LBB28_1851:
	v_bfe_u32 v8, v13, 24, 3
	v_ffbh_u32_e32 v20, v8
	v_min_u32_e32 v20, 32, v20
	v_lshrrev_b32_e32 v18, 27, v13
	v_subrev_u32_e32 v21, 28, v20
	v_and_b32_e32 v12, 0x80000000, v13
	v_and_b32_e32 v18, 15, v18
	v_bfe_u32 v19, v13, 27, 4
	v_lshlrev_b32_sdwa v13, v21, v13 dst_sel:DWORD dst_unused:UNUSED_PAD src0_sel:DWORD src1_sel:BYTE_3
	v_sub_u32_e32 v20, 29, v20
	v_and_b32_e32 v13, 7, v13
	v_cmp_eq_u16_e32 vcc, 0, v18
	v_cndmask_b32_e32 v8, v8, v13, vcc
	v_cndmask_b32_e32 v13, v19, v20, vcc
	v_mov_b32_e32 v18, 0x3b800000
	v_lshlrev_b32_e32 v8, 20, v8
	v_lshl_add_u32 v13, v13, 23, v18
	v_or3_b32 v8, v12, v13, v8
.LBB28_1852:
	s_or_b64 exec, exec, s[6:7]
	s_movk_i32 s4, 0x7f
	v_cmp_gt_i16_sdwa s[6:7], v9, s4 src0_sel:BYTE_3 src1_sel:DWORD
	s_mov_b64 s[4:5], 0
                                        ; implicit-def: $sgpr10
	s_and_saveexec_b64 s[8:9], s[6:7]
	s_xor_b64 s[6:7], exec, s[8:9]
	s_cbranch_execnz .LBB28_3901
; %bb.1853:
	s_or_saveexec_b64 s[6:7], s[6:7]
	v_mov_b32_e32 v12, s10
	s_xor_b64 exec, exec, s[6:7]
	s_cbranch_execnz .LBB28_3904
.LBB28_1854:
	s_or_b64 exec, exec, s[6:7]
	s_and_saveexec_b64 s[6:7], s[4:5]
	s_cbranch_execz .LBB28_1856
.LBB28_1855:
	v_bfe_u32 v12, v9, 24, 3
	v_ffbh_u32_e32 v20, v12
	v_min_u32_e32 v20, 32, v20
	v_lshrrev_b32_e32 v18, 27, v9
	v_subrev_u32_e32 v21, 28, v20
	v_and_b32_e32 v13, 0x80000000, v9
	v_and_b32_e32 v18, 15, v18
	v_bfe_u32 v19, v9, 27, 4
	v_lshlrev_b32_sdwa v9, v21, v9 dst_sel:DWORD dst_unused:UNUSED_PAD src0_sel:DWORD src1_sel:BYTE_3
	v_sub_u32_e32 v20, 29, v20
	v_and_b32_e32 v9, 7, v9
	v_cmp_eq_u16_e32 vcc, 0, v18
	v_cndmask_b32_e32 v9, v12, v9, vcc
	v_cndmask_b32_e32 v12, v19, v20, vcc
	v_mov_b32_e32 v18, 0x3b800000
	v_lshlrev_b32_e32 v9, 20, v9
	v_lshl_add_u32 v12, v12, 23, v18
	v_or3_b32 v12, v13, v12, v9
.LBB28_1856:
	s_or_b64 exec, exec, s[6:7]
	s_nop 0
	v_mfma_f32_16x16x4f32 a[0:3], v8, v12, a[0:3]
	s_movk_i32 s4, 0x7f
	v_cmp_gt_i16_sdwa s[6:7], v14, s4 src0_sel:BYTE_0 src1_sel:DWORD
	s_mov_b64 s[4:5], 0
                                        ; implicit-def: $sgpr10
	s_and_saveexec_b64 s[8:9], s[6:7]
	s_xor_b64 s[6:7], exec, s[8:9]
	s_cbranch_execnz .LBB28_3905
; %bb.1857:
	s_or_saveexec_b64 s[6:7], s[6:7]
	v_mov_b32_e32 v8, s10
	s_xor_b64 exec, exec, s[6:7]
	s_cbranch_execnz .LBB28_3908
.LBB28_1858:
	s_or_b64 exec, exec, s[6:7]
	s_and_saveexec_b64 s[6:7], s[4:5]
	s_cbranch_execz .LBB28_1860
.LBB28_1859:
	v_and_b32_e32 v8, 7, v14
	v_ffbh_u32_e32 v12, v8
	v_min_u32_e32 v12, 32, v12
	v_lshrrev_b16_e32 v9, 3, v14
	v_subrev_u32_e32 v13, 28, v12
	v_and_b32_e32 v9, 15, v9
	v_lshlrev_b32_e32 v13, v13, v14
	v_sub_u32_e32 v12, 29, v12
	v_and_b32_e32 v13, 7, v13
	v_cmp_eq_u16_e32 vcc, 0, v9
	v_cndmask_b32_e32 v8, v8, v13, vcc
	v_cndmask_b32_e32 v9, v9, v12, vcc
	v_lshlrev_b32_e32 v12, 24, v14
	v_mov_b32_e32 v13, 0x3b800000
	v_lshlrev_b32_e32 v8, 20, v8
	v_and_b32_e32 v12, 0x80000000, v12
	v_lshl_add_u32 v9, v9, 23, v13
	v_or3_b32 v8, v12, v9, v8
.LBB28_1860:
	s_or_b64 exec, exec, s[6:7]
	s_movk_i32 s4, 0x7f
	v_cmp_gt_i16_sdwa s[6:7], v10, s4 src0_sel:BYTE_0 src1_sel:DWORD
	s_mov_b64 s[4:5], 0
                                        ; implicit-def: $sgpr10
	s_and_saveexec_b64 s[8:9], s[6:7]
	s_xor_b64 s[6:7], exec, s[8:9]
	s_cbranch_execnz .LBB28_3909
; %bb.1861:
	s_or_saveexec_b64 s[6:7], s[6:7]
	v_mov_b32_e32 v9, s10
	s_xor_b64 exec, exec, s[6:7]
	s_cbranch_execnz .LBB28_3912
.LBB28_1862:
	s_or_b64 exec, exec, s[6:7]
	s_and_saveexec_b64 s[6:7], s[4:5]
	s_cbranch_execz .LBB28_1864
.LBB28_1863:
	v_and_b32_e32 v9, 7, v10
	v_ffbh_u32_e32 v13, v9
	v_min_u32_e32 v13, 32, v13
	v_lshrrev_b16_e32 v12, 3, v10
	v_subrev_u32_e32 v18, 28, v13
	v_and_b32_e32 v12, 15, v12
	v_lshlrev_b32_e32 v18, v18, v10
	v_sub_u32_e32 v13, 29, v13
	v_and_b32_e32 v18, 7, v18
	v_cmp_eq_u16_e32 vcc, 0, v12
	v_cndmask_b32_e32 v9, v9, v18, vcc
	v_cndmask_b32_e32 v12, v12, v13, vcc
	v_lshlrev_b32_e32 v13, 24, v10
	v_mov_b32_e32 v18, 0x3b800000
	v_lshlrev_b32_e32 v9, 20, v9
	v_and_b32_e32 v13, 0x80000000, v13
	v_lshl_add_u32 v12, v12, 23, v18
	v_or3_b32 v9, v13, v12, v9
.LBB28_1864:
	s_or_b64 exec, exec, s[6:7]
	s_nop 0
	v_mfma_f32_16x16x4f32 a[0:3], v8, v9, a[0:3]
	v_lshrrev_b32_e32 v9, 8, v14
	s_movk_i32 s4, 0x7f
	v_cmp_gt_i16_sdwa s[6:7], v9, s4 src0_sel:BYTE_0 src1_sel:DWORD
	s_mov_b64 s[4:5], 0
                                        ; implicit-def: $sgpr10
	s_and_saveexec_b64 s[8:9], s[6:7]
	s_xor_b64 s[6:7], exec, s[8:9]
	s_cbranch_execnz .LBB28_3913
; %bb.1865:
	s_or_saveexec_b64 s[6:7], s[6:7]
	v_mov_b32_e32 v8, s10
	s_xor_b64 exec, exec, s[6:7]
	s_cbranch_execnz .LBB28_3916
.LBB28_1866:
	s_or_b64 exec, exec, s[6:7]
	s_and_saveexec_b64 s[6:7], s[4:5]
	s_cbranch_execz .LBB28_1868
.LBB28_1867:
	v_bfe_u32 v8, v14, 8, 3
	v_ffbh_u32_e32 v13, v8
	v_min_u32_e32 v13, 32, v13
	v_lshrrev_b16_e32 v12, 3, v9
	v_subrev_u32_e32 v18, 28, v13
	v_and_b32_e32 v12, 15, v12
	v_lshlrev_b32_e32 v9, v18, v9
	v_sub_u32_e32 v13, 29, v13
	v_and_b32_e32 v9, 7, v9
	v_cmp_eq_u16_e32 vcc, 0, v12
	v_cndmask_b32_e32 v8, v8, v9, vcc
	v_cndmask_b32_e32 v9, v12, v13, vcc
	v_lshlrev_b32_e32 v12, 16, v14
	v_mov_b32_e32 v13, 0x3b800000
	v_lshlrev_b32_e32 v8, 20, v8
	v_and_b32_e32 v12, 0x80000000, v12
	v_lshl_add_u32 v9, v9, 23, v13
	v_or3_b32 v8, v12, v9, v8
.LBB28_1868:
	s_or_b64 exec, exec, s[6:7]
	v_lshrrev_b32_e32 v9, 8, v10
	s_movk_i32 s4, 0x7f
	v_cmp_gt_i16_sdwa s[6:7], v9, s4 src0_sel:BYTE_0 src1_sel:DWORD
	s_mov_b64 s[4:5], 0
                                        ; implicit-def: $sgpr10
	s_and_saveexec_b64 s[8:9], s[6:7]
	s_xor_b64 s[6:7], exec, s[8:9]
	s_cbranch_execnz .LBB28_3917
; %bb.1869:
	s_or_saveexec_b64 s[6:7], s[6:7]
	v_mov_b32_e32 v12, s10
	s_xor_b64 exec, exec, s[6:7]
	s_cbranch_execnz .LBB28_3920
.LBB28_1870:
	s_or_b64 exec, exec, s[6:7]
	s_and_saveexec_b64 s[6:7], s[4:5]
	s_cbranch_execz .LBB28_1872
.LBB28_1871:
	v_bfe_u32 v12, v10, 8, 3
	v_ffbh_u32_e32 v18, v12
	v_min_u32_e32 v18, 32, v18
	v_lshrrev_b16_e32 v13, 3, v9
	v_subrev_u32_e32 v19, 28, v18
	v_and_b32_e32 v13, 15, v13
	v_lshlrev_b32_e32 v9, v19, v9
	v_sub_u32_e32 v18, 29, v18
	v_and_b32_e32 v9, 7, v9
	v_cmp_eq_u16_e32 vcc, 0, v13
	v_cndmask_b32_e32 v9, v12, v9, vcc
	v_cndmask_b32_e32 v12, v13, v18, vcc
	v_lshlrev_b32_e32 v13, 16, v10
	v_mov_b32_e32 v18, 0x3b800000
	v_lshlrev_b32_e32 v9, 20, v9
	v_and_b32_e32 v13, 0x80000000, v13
	v_lshl_add_u32 v12, v12, 23, v18
	v_or3_b32 v12, v13, v12, v9
.LBB28_1872:
	s_or_b64 exec, exec, s[6:7]
	s_nop 0
	v_mfma_f32_16x16x4f32 a[0:3], v8, v12, a[0:3]
	s_movk_i32 s4, 0xff
	v_and_b32_sdwa v9, v14, s4 dst_sel:DWORD dst_unused:UNUSED_PAD src0_sel:WORD_1 src1_sel:DWORD
	s_movk_i32 s4, 0x7f
	v_cmp_lt_i16_e32 vcc, s4, v9
	s_mov_b64 s[4:5], 0
                                        ; implicit-def: $sgpr10
	s_and_saveexec_b64 s[6:7], vcc
	s_xor_b64 s[6:7], exec, s[6:7]
	s_cbranch_execnz .LBB28_3921
; %bb.1873:
	s_or_saveexec_b64 s[6:7], s[6:7]
	v_mov_b32_e32 v8, s10
	s_xor_b64 exec, exec, s[6:7]
	s_cbranch_execnz .LBB28_3924
.LBB28_1874:
	s_or_b64 exec, exec, s[6:7]
	s_and_saveexec_b64 s[6:7], s[4:5]
	s_cbranch_execz .LBB28_1876
.LBB28_1875:
	v_bfe_u32 v8, v14, 16, 3
	v_ffbh_u32_e32 v13, v8
	v_min_u32_e32 v13, 32, v13
	v_lshrrev_b32_e32 v9, 19, v14
	v_subrev_u32_e32 v18, 28, v13
	v_and_b32_e32 v9, 15, v9
	v_lshlrev_b32_sdwa v18, v18, v14 dst_sel:DWORD dst_unused:UNUSED_PAD src0_sel:DWORD src1_sel:WORD_1
	v_bfe_u32 v12, v14, 19, 4
	v_sub_u32_e32 v13, 29, v13
	v_and_b32_e32 v18, 7, v18
	v_cmp_eq_u16_e32 vcc, 0, v9
	v_cndmask_b32_e32 v8, v8, v18, vcc
	v_cndmask_b32_e32 v9, v12, v13, vcc
	v_lshlrev_b32_e32 v12, 8, v14
	v_mov_b32_e32 v13, 0x3b800000
	v_lshlrev_b32_e32 v8, 20, v8
	v_and_b32_e32 v12, 0x80000000, v12
	v_lshl_add_u32 v9, v9, 23, v13
	v_or3_b32 v8, v12, v9, v8
.LBB28_1876:
	s_or_b64 exec, exec, s[6:7]
	s_movk_i32 s4, 0xff
	v_and_b32_sdwa v9, v10, s4 dst_sel:DWORD dst_unused:UNUSED_PAD src0_sel:WORD_1 src1_sel:DWORD
	s_movk_i32 s4, 0x7f
	v_cmp_lt_i16_e32 vcc, s4, v9
	s_mov_b64 s[4:5], 0
                                        ; implicit-def: $sgpr10
	s_and_saveexec_b64 s[6:7], vcc
	s_xor_b64 s[6:7], exec, s[6:7]
	s_cbranch_execnz .LBB28_3925
; %bb.1877:
	s_or_saveexec_b64 s[6:7], s[6:7]
	v_mov_b32_e32 v12, s10
	s_xor_b64 exec, exec, s[6:7]
	s_cbranch_execnz .LBB28_3928
.LBB28_1878:
	s_or_b64 exec, exec, s[6:7]
	s_and_saveexec_b64 s[6:7], s[4:5]
	s_cbranch_execz .LBB28_1880
.LBB28_1879:
	v_bfe_u32 v9, v10, 16, 3
	v_ffbh_u32_e32 v18, v9
	v_min_u32_e32 v18, 32, v18
	v_lshrrev_b32_e32 v12, 19, v10
	v_subrev_u32_e32 v19, 28, v18
	v_and_b32_e32 v12, 15, v12
	v_lshlrev_b32_sdwa v19, v19, v10 dst_sel:DWORD dst_unused:UNUSED_PAD src0_sel:DWORD src1_sel:WORD_1
	v_bfe_u32 v13, v10, 19, 4
	v_sub_u32_e32 v18, 29, v18
	v_and_b32_e32 v19, 7, v19
	v_cmp_eq_u16_e32 vcc, 0, v12
	v_cndmask_b32_e32 v9, v9, v19, vcc
	v_cndmask_b32_e32 v12, v13, v18, vcc
	v_lshlrev_b32_e32 v13, 8, v10
	v_mov_b32_e32 v18, 0x3b800000
	v_lshlrev_b32_e32 v9, 20, v9
	v_and_b32_e32 v13, 0x80000000, v13
	v_lshl_add_u32 v12, v12, 23, v18
	v_or3_b32 v12, v13, v12, v9
.LBB28_1880:
	s_or_b64 exec, exec, s[6:7]
	s_nop 0
	v_mfma_f32_16x16x4f32 a[0:3], v8, v12, a[0:3]
	s_movk_i32 s4, 0x7f
	v_cmp_gt_i16_sdwa s[6:7], v14, s4 src0_sel:BYTE_3 src1_sel:DWORD
	s_mov_b64 s[4:5], 0
                                        ; implicit-def: $sgpr10
	s_and_saveexec_b64 s[8:9], s[6:7]
	s_xor_b64 s[6:7], exec, s[8:9]
	s_cbranch_execnz .LBB28_3929
; %bb.1881:
	s_or_saveexec_b64 s[6:7], s[6:7]
	v_mov_b32_e32 v8, s10
	s_xor_b64 exec, exec, s[6:7]
	s_cbranch_execnz .LBB28_3932
.LBB28_1882:
	s_or_b64 exec, exec, s[6:7]
	s_and_saveexec_b64 s[6:7], s[4:5]
	s_cbranch_execz .LBB28_1884
.LBB28_1883:
	v_bfe_u32 v8, v14, 24, 3
	v_ffbh_u32_e32 v18, v8
	v_min_u32_e32 v18, 32, v18
	v_lshrrev_b32_e32 v12, 27, v14
	v_subrev_u32_e32 v19, 28, v18
	v_and_b32_e32 v9, 0x80000000, v14
	v_and_b32_e32 v12, 15, v12
	v_bfe_u32 v13, v14, 27, 4
	v_lshlrev_b32_sdwa v14, v19, v14 dst_sel:DWORD dst_unused:UNUSED_PAD src0_sel:DWORD src1_sel:BYTE_3
	v_sub_u32_e32 v18, 29, v18
	v_and_b32_e32 v14, 7, v14
	v_cmp_eq_u16_e32 vcc, 0, v12
	v_cndmask_b32_e32 v8, v8, v14, vcc
	v_cndmask_b32_e32 v12, v13, v18, vcc
	v_mov_b32_e32 v13, 0x3b800000
	v_lshlrev_b32_e32 v8, 20, v8
	v_lshl_add_u32 v12, v12, 23, v13
	v_or3_b32 v8, v9, v12, v8
.LBB28_1884:
	s_or_b64 exec, exec, s[6:7]
	s_movk_i32 s4, 0x7f
	v_cmp_gt_i16_sdwa s[6:7], v10, s4 src0_sel:BYTE_3 src1_sel:DWORD
	s_mov_b64 s[4:5], 0
                                        ; implicit-def: $sgpr10
	s_and_saveexec_b64 s[8:9], s[6:7]
	s_xor_b64 s[6:7], exec, s[8:9]
	s_cbranch_execnz .LBB28_3933
; %bb.1885:
	s_or_saveexec_b64 s[6:7], s[6:7]
	v_mov_b32_e32 v9, s10
	s_xor_b64 exec, exec, s[6:7]
	s_cbranch_execnz .LBB28_3936
.LBB28_1886:
	s_or_b64 exec, exec, s[6:7]
	s_and_saveexec_b64 s[6:7], s[4:5]
	s_cbranch_execz .LBB28_1888
.LBB28_1887:
	v_bfe_u32 v9, v10, 24, 3
	v_ffbh_u32_e32 v18, v9
	v_min_u32_e32 v18, 32, v18
	v_lshrrev_b32_e32 v13, 27, v10
	v_subrev_u32_e32 v19, 28, v18
	v_and_b32_e32 v12, 0x80000000, v10
	v_and_b32_e32 v13, 15, v13
	v_bfe_u32 v14, v10, 27, 4
	v_lshlrev_b32_sdwa v10, v19, v10 dst_sel:DWORD dst_unused:UNUSED_PAD src0_sel:DWORD src1_sel:BYTE_3
	v_sub_u32_e32 v18, 29, v18
	v_and_b32_e32 v10, 7, v10
	v_cmp_eq_u16_e32 vcc, 0, v13
	v_cndmask_b32_e32 v9, v9, v10, vcc
	v_cndmask_b32_e32 v10, v14, v18, vcc
	v_mov_b32_e32 v13, 0x3b800000
	v_lshlrev_b32_e32 v9, 20, v9
	v_lshl_add_u32 v10, v10, 23, v13
	v_or3_b32 v9, v12, v10, v9
.LBB28_1888:
	s_or_b64 exec, exec, s[6:7]
	s_nop 0
	v_mfma_f32_16x16x4f32 a[0:3], v8, v9, a[0:3]
	s_movk_i32 s4, 0x7f
	v_cmp_gt_i16_sdwa s[6:7], v15, s4 src0_sel:BYTE_0 src1_sel:DWORD
	s_mov_b64 s[4:5], 0
                                        ; implicit-def: $sgpr10
	s_and_saveexec_b64 s[8:9], s[6:7]
	s_xor_b64 s[6:7], exec, s[8:9]
	s_cbranch_execnz .LBB28_3937
; %bb.1889:
	s_or_saveexec_b64 s[6:7], s[6:7]
	v_mov_b32_e32 v8, s10
	s_xor_b64 exec, exec, s[6:7]
	s_cbranch_execnz .LBB28_3940
.LBB28_1890:
	s_or_b64 exec, exec, s[6:7]
	s_and_saveexec_b64 s[6:7], s[4:5]
	s_cbranch_execz .LBB28_1892
.LBB28_1891:
	v_and_b32_e32 v8, 7, v15
	v_ffbh_u32_e32 v10, v8
	v_min_u32_e32 v10, 32, v10
	v_lshrrev_b16_e32 v9, 3, v15
	v_subrev_u32_e32 v12, 28, v10
	v_and_b32_e32 v9, 15, v9
	v_lshlrev_b32_e32 v12, v12, v15
	v_sub_u32_e32 v10, 29, v10
	v_and_b32_e32 v12, 7, v12
	v_cmp_eq_u16_e32 vcc, 0, v9
	v_cndmask_b32_e32 v8, v8, v12, vcc
	v_cndmask_b32_e32 v9, v9, v10, vcc
	v_lshlrev_b32_e32 v10, 24, v15
	v_mov_b32_e32 v12, 0x3b800000
	v_lshlrev_b32_e32 v8, 20, v8
	v_and_b32_e32 v10, 0x80000000, v10
	v_lshl_add_u32 v9, v9, 23, v12
	v_or3_b32 v8, v10, v9, v8
.LBB28_1892:
	s_or_b64 exec, exec, s[6:7]
	s_movk_i32 s4, 0x7f
	v_cmp_gt_i16_sdwa s[6:7], v11, s4 src0_sel:BYTE_0 src1_sel:DWORD
	s_mov_b64 s[4:5], 0
                                        ; implicit-def: $sgpr10
	s_and_saveexec_b64 s[8:9], s[6:7]
	s_xor_b64 s[6:7], exec, s[8:9]
	s_cbranch_execnz .LBB28_3941
; %bb.1893:
	s_or_saveexec_b64 s[6:7], s[6:7]
	v_mov_b32_e32 v9, s10
	s_xor_b64 exec, exec, s[6:7]
	s_cbranch_execnz .LBB28_3944
.LBB28_1894:
	s_or_b64 exec, exec, s[6:7]
	s_and_saveexec_b64 s[6:7], s[4:5]
	s_cbranch_execz .LBB28_1896
.LBB28_1895:
	v_and_b32_e32 v9, 7, v11
	v_ffbh_u32_e32 v12, v9
	v_min_u32_e32 v12, 32, v12
	v_lshrrev_b16_e32 v10, 3, v11
	v_subrev_u32_e32 v13, 28, v12
	v_and_b32_e32 v10, 15, v10
	v_lshlrev_b32_e32 v13, v13, v11
	v_sub_u32_e32 v12, 29, v12
	v_and_b32_e32 v13, 7, v13
	v_cmp_eq_u16_e32 vcc, 0, v10
	v_cndmask_b32_e32 v9, v9, v13, vcc
	v_cndmask_b32_e32 v10, v10, v12, vcc
	v_lshlrev_b32_e32 v12, 24, v11
	v_mov_b32_e32 v13, 0x3b800000
	v_lshlrev_b32_e32 v9, 20, v9
	v_and_b32_e32 v12, 0x80000000, v12
	v_lshl_add_u32 v10, v10, 23, v13
	v_or3_b32 v9, v12, v10, v9
.LBB28_1896:
	s_or_b64 exec, exec, s[6:7]
	s_nop 0
	v_mfma_f32_16x16x4f32 a[0:3], v8, v9, a[0:3]
	v_lshrrev_b32_e32 v9, 8, v15
	s_movk_i32 s4, 0x7f
	v_cmp_gt_i16_sdwa s[6:7], v9, s4 src0_sel:BYTE_0 src1_sel:DWORD
	s_mov_b64 s[4:5], 0
                                        ; implicit-def: $sgpr10
	s_and_saveexec_b64 s[8:9], s[6:7]
	s_xor_b64 s[6:7], exec, s[8:9]
	s_cbranch_execnz .LBB28_3945
; %bb.1897:
	s_or_saveexec_b64 s[6:7], s[6:7]
	v_mov_b32_e32 v8, s10
	s_xor_b64 exec, exec, s[6:7]
	s_cbranch_execnz .LBB28_3948
.LBB28_1898:
	s_or_b64 exec, exec, s[6:7]
	s_and_saveexec_b64 s[6:7], s[4:5]
	s_cbranch_execz .LBB28_1900
.LBB28_1899:
	v_bfe_u32 v8, v15, 8, 3
	v_ffbh_u32_e32 v12, v8
	v_min_u32_e32 v12, 32, v12
	v_lshrrev_b16_e32 v10, 3, v9
	v_subrev_u32_e32 v13, 28, v12
	v_and_b32_e32 v10, 15, v10
	v_lshlrev_b32_e32 v9, v13, v9
	v_sub_u32_e32 v12, 29, v12
	v_and_b32_e32 v9, 7, v9
	v_cmp_eq_u16_e32 vcc, 0, v10
	v_cndmask_b32_e32 v8, v8, v9, vcc
	v_cndmask_b32_e32 v9, v10, v12, vcc
	v_lshlrev_b32_e32 v10, 16, v15
	v_mov_b32_e32 v12, 0x3b800000
	v_lshlrev_b32_e32 v8, 20, v8
	v_and_b32_e32 v10, 0x80000000, v10
	v_lshl_add_u32 v9, v9, 23, v12
	v_or3_b32 v8, v10, v9, v8
.LBB28_1900:
	s_or_b64 exec, exec, s[6:7]
	v_lshrrev_b32_e32 v9, 8, v11
	s_movk_i32 s4, 0x7f
	v_cmp_gt_i16_sdwa s[6:7], v9, s4 src0_sel:BYTE_0 src1_sel:DWORD
	s_mov_b64 s[4:5], 0
                                        ; implicit-def: $sgpr10
	s_and_saveexec_b64 s[8:9], s[6:7]
	s_xor_b64 s[6:7], exec, s[8:9]
	s_cbranch_execnz .LBB28_3949
; %bb.1901:
	s_or_saveexec_b64 s[6:7], s[6:7]
	v_mov_b32_e32 v10, s10
	s_xor_b64 exec, exec, s[6:7]
	s_cbranch_execnz .LBB28_3952
.LBB28_1902:
	s_or_b64 exec, exec, s[6:7]
	s_and_saveexec_b64 s[6:7], s[4:5]
	s_cbranch_execz .LBB28_1904
.LBB28_1903:
	v_bfe_u32 v10, v11, 8, 3
	v_ffbh_u32_e32 v13, v10
	v_min_u32_e32 v13, 32, v13
	v_lshrrev_b16_e32 v12, 3, v9
	v_subrev_u32_e32 v14, 28, v13
	v_and_b32_e32 v12, 15, v12
	v_lshlrev_b32_e32 v9, v14, v9
	v_sub_u32_e32 v13, 29, v13
	v_and_b32_e32 v9, 7, v9
	v_cmp_eq_u16_e32 vcc, 0, v12
	v_cndmask_b32_e32 v9, v10, v9, vcc
	v_cndmask_b32_e32 v10, v12, v13, vcc
	v_lshlrev_b32_e32 v12, 16, v11
	v_mov_b32_e32 v13, 0x3b800000
	v_lshlrev_b32_e32 v9, 20, v9
	v_and_b32_e32 v12, 0x80000000, v12
	v_lshl_add_u32 v10, v10, 23, v13
	v_or3_b32 v10, v12, v10, v9
.LBB28_1904:
	s_or_b64 exec, exec, s[6:7]
	s_nop 0
	v_mfma_f32_16x16x4f32 a[0:3], v8, v10, a[0:3]
	s_movk_i32 s4, 0xff
	v_and_b32_sdwa v9, v15, s4 dst_sel:DWORD dst_unused:UNUSED_PAD src0_sel:WORD_1 src1_sel:DWORD
	s_movk_i32 s4, 0x7f
	v_cmp_lt_i16_e32 vcc, s4, v9
	s_mov_b64 s[4:5], 0
                                        ; implicit-def: $sgpr10
	s_and_saveexec_b64 s[6:7], vcc
	s_xor_b64 s[6:7], exec, s[6:7]
	s_cbranch_execnz .LBB28_3953
; %bb.1905:
	s_or_saveexec_b64 s[6:7], s[6:7]
	v_mov_b32_e32 v8, s10
	s_xor_b64 exec, exec, s[6:7]
	s_cbranch_execnz .LBB28_3956
.LBB28_1906:
	s_or_b64 exec, exec, s[6:7]
	s_and_saveexec_b64 s[6:7], s[4:5]
	s_cbranch_execz .LBB28_1908
.LBB28_1907:
	v_bfe_u32 v8, v15, 16, 3
	v_ffbh_u32_e32 v12, v8
	v_min_u32_e32 v12, 32, v12
	v_lshrrev_b32_e32 v9, 19, v15
	v_subrev_u32_e32 v13, 28, v12
	v_and_b32_e32 v9, 15, v9
	v_lshlrev_b32_sdwa v13, v13, v15 dst_sel:DWORD dst_unused:UNUSED_PAD src0_sel:DWORD src1_sel:WORD_1
	v_bfe_u32 v10, v15, 19, 4
	v_sub_u32_e32 v12, 29, v12
	v_and_b32_e32 v13, 7, v13
	v_cmp_eq_u16_e32 vcc, 0, v9
	v_cndmask_b32_e32 v8, v8, v13, vcc
	v_cndmask_b32_e32 v9, v10, v12, vcc
	v_lshlrev_b32_e32 v10, 8, v15
	v_mov_b32_e32 v12, 0x3b800000
	v_lshlrev_b32_e32 v8, 20, v8
	v_and_b32_e32 v10, 0x80000000, v10
	v_lshl_add_u32 v9, v9, 23, v12
	v_or3_b32 v8, v10, v9, v8
.LBB28_1908:
	s_or_b64 exec, exec, s[6:7]
	s_movk_i32 s4, 0xff
	v_and_b32_sdwa v9, v11, s4 dst_sel:DWORD dst_unused:UNUSED_PAD src0_sel:WORD_1 src1_sel:DWORD
	s_movk_i32 s4, 0x7f
	v_cmp_lt_i16_e32 vcc, s4, v9
	s_mov_b64 s[4:5], 0
                                        ; implicit-def: $sgpr10
	s_and_saveexec_b64 s[6:7], vcc
	s_xor_b64 s[6:7], exec, s[6:7]
	s_cbranch_execnz .LBB28_3957
; %bb.1909:
	s_or_saveexec_b64 s[6:7], s[6:7]
	v_mov_b32_e32 v10, s10
	s_xor_b64 exec, exec, s[6:7]
	s_cbranch_execnz .LBB28_3960
.LBB28_1910:
	s_or_b64 exec, exec, s[6:7]
	s_and_saveexec_b64 s[6:7], s[4:5]
	s_cbranch_execz .LBB28_1912
.LBB28_1911:
	v_bfe_u32 v9, v11, 16, 3
	v_ffbh_u32_e32 v13, v9
	v_min_u32_e32 v13, 32, v13
	v_lshrrev_b32_e32 v10, 19, v11
	v_subrev_u32_e32 v14, 28, v13
	v_and_b32_e32 v10, 15, v10
	v_lshlrev_b32_sdwa v14, v14, v11 dst_sel:DWORD dst_unused:UNUSED_PAD src0_sel:DWORD src1_sel:WORD_1
	v_bfe_u32 v12, v11, 19, 4
	v_sub_u32_e32 v13, 29, v13
	v_and_b32_e32 v14, 7, v14
	v_cmp_eq_u16_e32 vcc, 0, v10
	v_cndmask_b32_e32 v9, v9, v14, vcc
	v_cndmask_b32_e32 v10, v12, v13, vcc
	v_lshlrev_b32_e32 v12, 8, v11
	v_mov_b32_e32 v13, 0x3b800000
	v_lshlrev_b32_e32 v9, 20, v9
	v_and_b32_e32 v12, 0x80000000, v12
	v_lshl_add_u32 v10, v10, 23, v13
	v_or3_b32 v10, v12, v10, v9
.LBB28_1912:
	s_or_b64 exec, exec, s[6:7]
	s_nop 0
	v_mfma_f32_16x16x4f32 a[0:3], v8, v10, a[0:3]
	s_movk_i32 s4, 0x7f
	v_cmp_gt_i16_sdwa s[6:7], v15, s4 src0_sel:BYTE_3 src1_sel:DWORD
	s_mov_b64 s[4:5], 0
                                        ; implicit-def: $sgpr10
	s_and_saveexec_b64 s[8:9], s[6:7]
	s_xor_b64 s[6:7], exec, s[8:9]
	s_cbranch_execnz .LBB28_3961
; %bb.1913:
	s_or_saveexec_b64 s[6:7], s[6:7]
	v_mov_b32_e32 v8, s10
	s_xor_b64 exec, exec, s[6:7]
	s_cbranch_execnz .LBB28_3964
.LBB28_1914:
	s_or_b64 exec, exec, s[6:7]
	s_and_saveexec_b64 s[6:7], s[4:5]
	s_cbranch_execz .LBB28_1916
.LBB28_1915:
	v_bfe_u32 v8, v15, 24, 3
	v_ffbh_u32_e32 v13, v8
	v_min_u32_e32 v13, 32, v13
	v_lshrrev_b32_e32 v10, 27, v15
	v_subrev_u32_e32 v14, 28, v13
	v_and_b32_e32 v10, 15, v10
	v_lshlrev_b32_sdwa v14, v14, v15 dst_sel:DWORD dst_unused:UNUSED_PAD src0_sel:DWORD src1_sel:BYTE_3
	v_bfe_u32 v12, v15, 27, 4
	v_sub_u32_e32 v13, 29, v13
	v_and_b32_e32 v14, 7, v14
	v_cmp_eq_u16_e32 vcc, 0, v10
	v_cndmask_b32_e32 v8, v8, v14, vcc
	v_cndmask_b32_e32 v10, v12, v13, vcc
	v_mov_b32_e32 v12, 0x3b800000
	v_and_b32_e32 v9, 0x80000000, v15
	v_lshlrev_b32_e32 v8, 20, v8
	v_lshl_add_u32 v10, v10, 23, v12
	v_or3_b32 v8, v9, v10, v8
.LBB28_1916:
	s_or_b64 exec, exec, s[6:7]
	s_movk_i32 s4, 0x7f
	v_cmp_gt_i16_sdwa s[6:7], v11, s4 src0_sel:BYTE_3 src1_sel:DWORD
	s_mov_b64 s[4:5], 0
                                        ; implicit-def: $sgpr10
	s_and_saveexec_b64 s[8:9], s[6:7]
	s_xor_b64 s[6:7], exec, s[8:9]
	s_cbranch_execnz .LBB28_3965
; %bb.1917:
	s_or_saveexec_b64 s[6:7], s[6:7]
	v_mov_b32_e32 v9, s10
	s_xor_b64 exec, exec, s[6:7]
	s_cbranch_execnz .LBB28_3968
.LBB28_1918:
	s_or_b64 exec, exec, s[6:7]
	s_and_saveexec_b64 s[6:7], s[4:5]
	s_cbranch_execz .LBB28_1920
.LBB28_1919:
	v_bfe_u32 v9, v11, 24, 3
	v_ffbh_u32_e32 v14, v9
	v_min_u32_e32 v14, 32, v14
	v_lshrrev_b32_e32 v12, 27, v11
	v_subrev_u32_e32 v15, 28, v14
	v_and_b32_e32 v10, 0x80000000, v11
	v_and_b32_e32 v12, 15, v12
	v_bfe_u32 v13, v11, 27, 4
	v_lshlrev_b32_sdwa v11, v15, v11 dst_sel:DWORD dst_unused:UNUSED_PAD src0_sel:DWORD src1_sel:BYTE_3
	v_sub_u32_e32 v14, 29, v14
	v_and_b32_e32 v11, 7, v11
	v_cmp_eq_u16_e32 vcc, 0, v12
	v_cndmask_b32_e32 v9, v9, v11, vcc
	v_cndmask_b32_e32 v11, v13, v14, vcc
	v_mov_b32_e32 v12, 0x3b800000
	v_lshlrev_b32_e32 v9, 20, v9
	v_lshl_add_u32 v11, v11, 23, v12
	v_or3_b32 v9, v10, v11, v9
.LBB28_1920:
	s_or_b64 exec, exec, s[6:7]
	s_nop 0
	v_mfma_f32_16x16x4f32 a[0:3], v8, v9, a[0:3]
	s_movk_i32 s4, 0x7f
	v_cmp_gt_i16_sdwa s[6:7], v4, s4 src0_sel:BYTE_0 src1_sel:DWORD
	s_mov_b64 s[4:5], 0
                                        ; implicit-def: $sgpr10
	s_and_saveexec_b64 s[8:9], s[6:7]
	s_xor_b64 s[6:7], exec, s[8:9]
	s_cbranch_execnz .LBB28_3969
; %bb.1921:
	s_or_saveexec_b64 s[6:7], s[6:7]
	v_mov_b32_e32 v8, s10
	s_xor_b64 exec, exec, s[6:7]
	s_cbranch_execnz .LBB28_3972
.LBB28_1922:
	s_or_b64 exec, exec, s[6:7]
	s_and_saveexec_b64 s[6:7], s[4:5]
	s_cbranch_execz .LBB28_1924
.LBB28_1923:
	v_and_b32_e32 v8, 7, v4
	v_ffbh_u32_e32 v10, v8
	v_min_u32_e32 v10, 32, v10
	v_lshrrev_b16_e32 v9, 3, v4
	v_subrev_u32_e32 v11, 28, v10
	v_and_b32_e32 v9, 15, v9
	v_lshlrev_b32_e32 v11, v11, v4
	v_sub_u32_e32 v10, 29, v10
	v_and_b32_e32 v11, 7, v11
	v_cmp_eq_u16_e32 vcc, 0, v9
	v_cndmask_b32_e32 v8, v8, v11, vcc
	v_cndmask_b32_e32 v9, v9, v10, vcc
	v_lshlrev_b32_e32 v10, 24, v4
	v_mov_b32_e32 v11, 0x3b800000
	v_lshlrev_b32_e32 v8, 20, v8
	v_and_b32_e32 v10, 0x80000000, v10
	v_lshl_add_u32 v9, v9, 23, v11
	v_or3_b32 v8, v10, v9, v8
.LBB28_1924:
	s_or_b64 exec, exec, s[6:7]
	s_movk_i32 s4, 0x7f
	v_cmp_gt_i16_sdwa s[6:7], v0, s4 src0_sel:BYTE_0 src1_sel:DWORD
	s_mov_b64 s[4:5], 0
                                        ; implicit-def: $sgpr10
	s_and_saveexec_b64 s[8:9], s[6:7]
	s_xor_b64 s[6:7], exec, s[8:9]
	s_cbranch_execnz .LBB28_3973
; %bb.1925:
	s_or_saveexec_b64 s[6:7], s[6:7]
	v_mov_b32_e32 v9, s10
	s_xor_b64 exec, exec, s[6:7]
	s_cbranch_execnz .LBB28_3976
.LBB28_1926:
	s_or_b64 exec, exec, s[6:7]
	s_and_saveexec_b64 s[6:7], s[4:5]
	s_cbranch_execz .LBB28_1928
.LBB28_1927:
	v_and_b32_e32 v9, 7, v0
	v_ffbh_u32_e32 v11, v9
	v_min_u32_e32 v11, 32, v11
	v_lshrrev_b16_e32 v10, 3, v0
	v_subrev_u32_e32 v12, 28, v11
	v_and_b32_e32 v10, 15, v10
	v_lshlrev_b32_e32 v12, v12, v0
	v_sub_u32_e32 v11, 29, v11
	v_and_b32_e32 v12, 7, v12
	v_cmp_eq_u16_e32 vcc, 0, v10
	v_cndmask_b32_e32 v9, v9, v12, vcc
	v_cndmask_b32_e32 v10, v10, v11, vcc
	v_lshlrev_b32_e32 v11, 24, v0
	v_mov_b32_e32 v12, 0x3b800000
	v_lshlrev_b32_e32 v9, 20, v9
	v_and_b32_e32 v11, 0x80000000, v11
	v_lshl_add_u32 v10, v10, 23, v12
	v_or3_b32 v9, v11, v10, v9
.LBB28_1928:
	s_or_b64 exec, exec, s[6:7]
	s_nop 0
	v_mfma_f32_16x16x4f32 a[0:3], v8, v9, a[0:3]
	v_lshrrev_b32_e32 v9, 8, v4
	s_movk_i32 s4, 0x7f
	v_cmp_gt_i16_sdwa s[6:7], v9, s4 src0_sel:BYTE_0 src1_sel:DWORD
	s_mov_b64 s[4:5], 0
                                        ; implicit-def: $sgpr10
	s_and_saveexec_b64 s[8:9], s[6:7]
	s_xor_b64 s[6:7], exec, s[8:9]
	s_cbranch_execnz .LBB28_3977
; %bb.1929:
	s_or_saveexec_b64 s[6:7], s[6:7]
	v_mov_b32_e32 v8, s10
	s_xor_b64 exec, exec, s[6:7]
	s_cbranch_execnz .LBB28_3980
.LBB28_1930:
	s_or_b64 exec, exec, s[6:7]
	s_and_saveexec_b64 s[6:7], s[4:5]
	s_cbranch_execz .LBB28_1932
.LBB28_1931:
	v_bfe_u32 v8, v4, 8, 3
	v_ffbh_u32_e32 v11, v8
	v_min_u32_e32 v11, 32, v11
	v_lshrrev_b16_e32 v10, 3, v9
	v_subrev_u32_e32 v12, 28, v11
	v_and_b32_e32 v10, 15, v10
	v_lshlrev_b32_e32 v9, v12, v9
	v_sub_u32_e32 v11, 29, v11
	v_and_b32_e32 v9, 7, v9
	v_cmp_eq_u16_e32 vcc, 0, v10
	v_cndmask_b32_e32 v8, v8, v9, vcc
	v_cndmask_b32_e32 v9, v10, v11, vcc
	v_lshlrev_b32_e32 v10, 16, v4
	v_mov_b32_e32 v11, 0x3b800000
	v_lshlrev_b32_e32 v8, 20, v8
	v_and_b32_e32 v10, 0x80000000, v10
	v_lshl_add_u32 v9, v9, 23, v11
	v_or3_b32 v8, v10, v9, v8
.LBB28_1932:
	s_or_b64 exec, exec, s[6:7]
	v_lshrrev_b32_e32 v9, 8, v0
	s_movk_i32 s4, 0x7f
	v_cmp_gt_i16_sdwa s[6:7], v9, s4 src0_sel:BYTE_0 src1_sel:DWORD
	s_mov_b64 s[4:5], 0
                                        ; implicit-def: $sgpr10
	s_and_saveexec_b64 s[8:9], s[6:7]
	s_xor_b64 s[6:7], exec, s[8:9]
	s_cbranch_execnz .LBB28_3981
; %bb.1933:
	s_or_saveexec_b64 s[6:7], s[6:7]
	v_mov_b32_e32 v10, s10
	s_xor_b64 exec, exec, s[6:7]
	s_cbranch_execnz .LBB28_3984
.LBB28_1934:
	s_or_b64 exec, exec, s[6:7]
	s_and_saveexec_b64 s[6:7], s[4:5]
	s_cbranch_execz .LBB28_1936
.LBB28_1935:
	v_bfe_u32 v10, v0, 8, 3
	v_ffbh_u32_e32 v12, v10
	v_min_u32_e32 v12, 32, v12
	v_lshrrev_b16_e32 v11, 3, v9
	v_subrev_u32_e32 v13, 28, v12
	v_and_b32_e32 v11, 15, v11
	v_lshlrev_b32_e32 v9, v13, v9
	v_sub_u32_e32 v12, 29, v12
	v_and_b32_e32 v9, 7, v9
	v_cmp_eq_u16_e32 vcc, 0, v11
	v_cndmask_b32_e32 v9, v10, v9, vcc
	v_cndmask_b32_e32 v10, v11, v12, vcc
	v_lshlrev_b32_e32 v11, 16, v0
	v_mov_b32_e32 v12, 0x3b800000
	v_lshlrev_b32_e32 v9, 20, v9
	v_and_b32_e32 v11, 0x80000000, v11
	v_lshl_add_u32 v10, v10, 23, v12
	v_or3_b32 v10, v11, v10, v9
.LBB28_1936:
	s_or_b64 exec, exec, s[6:7]
	s_nop 0
	v_mfma_f32_16x16x4f32 a[0:3], v8, v10, a[0:3]
	s_movk_i32 s4, 0xff
	v_and_b32_sdwa v9, v4, s4 dst_sel:DWORD dst_unused:UNUSED_PAD src0_sel:WORD_1 src1_sel:DWORD
	s_movk_i32 s4, 0x7f
	v_cmp_lt_i16_e32 vcc, s4, v9
	s_mov_b64 s[4:5], 0
                                        ; implicit-def: $sgpr10
	s_and_saveexec_b64 s[6:7], vcc
	s_xor_b64 s[6:7], exec, s[6:7]
	s_cbranch_execnz .LBB28_3985
; %bb.1937:
	s_or_saveexec_b64 s[6:7], s[6:7]
	v_mov_b32_e32 v8, s10
	s_xor_b64 exec, exec, s[6:7]
	s_cbranch_execnz .LBB28_3988
.LBB28_1938:
	s_or_b64 exec, exec, s[6:7]
	s_and_saveexec_b64 s[6:7], s[4:5]
	s_cbranch_execz .LBB28_1940
.LBB28_1939:
	v_bfe_u32 v8, v4, 16, 3
	v_ffbh_u32_e32 v11, v8
	v_min_u32_e32 v11, 32, v11
	v_lshrrev_b32_e32 v9, 19, v4
	v_subrev_u32_e32 v12, 28, v11
	v_and_b32_e32 v9, 15, v9
	v_lshlrev_b32_sdwa v12, v12, v4 dst_sel:DWORD dst_unused:UNUSED_PAD src0_sel:DWORD src1_sel:WORD_1
	v_bfe_u32 v10, v4, 19, 4
	v_sub_u32_e32 v11, 29, v11
	v_and_b32_e32 v12, 7, v12
	v_cmp_eq_u16_e32 vcc, 0, v9
	v_cndmask_b32_e32 v8, v8, v12, vcc
	v_cndmask_b32_e32 v9, v10, v11, vcc
	v_lshlrev_b32_e32 v10, 8, v4
	v_mov_b32_e32 v11, 0x3b800000
	v_lshlrev_b32_e32 v8, 20, v8
	v_and_b32_e32 v10, 0x80000000, v10
	v_lshl_add_u32 v9, v9, 23, v11
	v_or3_b32 v8, v10, v9, v8
.LBB28_1940:
	s_or_b64 exec, exec, s[6:7]
	s_movk_i32 s4, 0xff
	v_and_b32_sdwa v9, v0, s4 dst_sel:DWORD dst_unused:UNUSED_PAD src0_sel:WORD_1 src1_sel:DWORD
	s_movk_i32 s4, 0x7f
	v_cmp_lt_i16_e32 vcc, s4, v9
	s_mov_b64 s[4:5], 0
                                        ; implicit-def: $sgpr10
	s_and_saveexec_b64 s[6:7], vcc
	s_xor_b64 s[6:7], exec, s[6:7]
	s_cbranch_execnz .LBB28_3989
; %bb.1941:
	s_or_saveexec_b64 s[6:7], s[6:7]
	v_mov_b32_e32 v10, s10
	s_xor_b64 exec, exec, s[6:7]
	s_cbranch_execnz .LBB28_3992
.LBB28_1942:
	s_or_b64 exec, exec, s[6:7]
	s_and_saveexec_b64 s[6:7], s[4:5]
	s_cbranch_execz .LBB28_1944
.LBB28_1943:
	v_bfe_u32 v9, v0, 16, 3
	v_ffbh_u32_e32 v12, v9
	v_min_u32_e32 v12, 32, v12
	v_lshrrev_b32_e32 v10, 19, v0
	v_subrev_u32_e32 v13, 28, v12
	v_and_b32_e32 v10, 15, v10
	v_lshlrev_b32_sdwa v13, v13, v0 dst_sel:DWORD dst_unused:UNUSED_PAD src0_sel:DWORD src1_sel:WORD_1
	v_bfe_u32 v11, v0, 19, 4
	v_sub_u32_e32 v12, 29, v12
	v_and_b32_e32 v13, 7, v13
	v_cmp_eq_u16_e32 vcc, 0, v10
	v_cndmask_b32_e32 v9, v9, v13, vcc
	v_cndmask_b32_e32 v10, v11, v12, vcc
	v_lshlrev_b32_e32 v11, 8, v0
	v_mov_b32_e32 v12, 0x3b800000
	v_lshlrev_b32_e32 v9, 20, v9
	v_and_b32_e32 v11, 0x80000000, v11
	v_lshl_add_u32 v10, v10, 23, v12
	v_or3_b32 v10, v11, v10, v9
.LBB28_1944:
	s_or_b64 exec, exec, s[6:7]
	s_nop 0
	v_mfma_f32_16x16x4f32 a[0:3], v8, v10, a[0:3]
	s_movk_i32 s4, 0x7f
	v_cmp_gt_i16_sdwa s[6:7], v4, s4 src0_sel:BYTE_3 src1_sel:DWORD
	s_mov_b64 s[4:5], 0
                                        ; implicit-def: $sgpr10
	s_and_saveexec_b64 s[8:9], s[6:7]
	s_xor_b64 s[6:7], exec, s[8:9]
	s_cbranch_execnz .LBB28_3993
; %bb.1945:
	s_or_saveexec_b64 s[6:7], s[6:7]
	v_mov_b32_e32 v8, s10
	s_xor_b64 exec, exec, s[6:7]
	s_cbranch_execnz .LBB28_3996
.LBB28_1946:
	s_or_b64 exec, exec, s[6:7]
	s_and_saveexec_b64 s[6:7], s[4:5]
	s_cbranch_execz .LBB28_1948
.LBB28_1947:
	v_bfe_u32 v8, v4, 24, 3
	v_ffbh_u32_e32 v12, v8
	v_min_u32_e32 v12, 32, v12
	v_lshrrev_b32_e32 v10, 27, v4
	v_subrev_u32_e32 v13, 28, v12
	v_and_b32_e32 v9, 0x80000000, v4
	v_and_b32_e32 v10, 15, v10
	v_bfe_u32 v11, v4, 27, 4
	v_lshlrev_b32_sdwa v4, v13, v4 dst_sel:DWORD dst_unused:UNUSED_PAD src0_sel:DWORD src1_sel:BYTE_3
	v_sub_u32_e32 v12, 29, v12
	v_and_b32_e32 v4, 7, v4
	v_cmp_eq_u16_e32 vcc, 0, v10
	v_cndmask_b32_e32 v4, v8, v4, vcc
	v_cndmask_b32_e32 v8, v11, v12, vcc
	v_mov_b32_e32 v10, 0x3b800000
	v_lshlrev_b32_e32 v4, 20, v4
	v_lshl_add_u32 v8, v8, 23, v10
	v_or3_b32 v8, v9, v8, v4
.LBB28_1948:
	s_or_b64 exec, exec, s[6:7]
	s_movk_i32 s4, 0x7f
	v_cmp_gt_i16_sdwa s[6:7], v0, s4 src0_sel:BYTE_3 src1_sel:DWORD
	s_mov_b64 s[4:5], 0
                                        ; implicit-def: $sgpr10
	s_and_saveexec_b64 s[8:9], s[6:7]
	s_xor_b64 s[6:7], exec, s[8:9]
	s_cbranch_execnz .LBB28_3997
; %bb.1949:
	s_or_saveexec_b64 s[6:7], s[6:7]
	v_mov_b32_e32 v4, s10
	s_xor_b64 exec, exec, s[6:7]
	s_cbranch_execnz .LBB28_4000
.LBB28_1950:
	s_or_b64 exec, exec, s[6:7]
	s_and_saveexec_b64 s[6:7], s[4:5]
	s_cbranch_execz .LBB28_1952
.LBB28_1951:
	v_bfe_u32 v4, v0, 24, 3
	v_ffbh_u32_e32 v12, v4
	v_min_u32_e32 v12, 32, v12
	v_lshrrev_b32_e32 v10, 27, v0
	v_subrev_u32_e32 v13, 28, v12
	v_and_b32_e32 v9, 0x80000000, v0
	v_and_b32_e32 v10, 15, v10
	v_bfe_u32 v11, v0, 27, 4
	v_lshlrev_b32_sdwa v0, v13, v0 dst_sel:DWORD dst_unused:UNUSED_PAD src0_sel:DWORD src1_sel:BYTE_3
	v_sub_u32_e32 v12, 29, v12
	v_and_b32_e32 v0, 7, v0
	v_cmp_eq_u16_e32 vcc, 0, v10
	v_cndmask_b32_e32 v0, v4, v0, vcc
	v_cndmask_b32_e32 v4, v11, v12, vcc
	v_mov_b32_e32 v10, 0x3b800000
	v_lshlrev_b32_e32 v0, 20, v0
	v_lshl_add_u32 v4, v4, 23, v10
	v_or3_b32 v4, v9, v4, v0
.LBB28_1952:
	s_or_b64 exec, exec, s[6:7]
	s_nop 0
	v_mfma_f32_16x16x4f32 a[0:3], v8, v4, a[0:3]
	s_movk_i32 s4, 0x7f
	v_cmp_gt_i16_sdwa s[6:7], v5, s4 src0_sel:BYTE_0 src1_sel:DWORD
	s_mov_b64 s[4:5], 0
                                        ; implicit-def: $sgpr10
	s_and_saveexec_b64 s[8:9], s[6:7]
	s_xor_b64 s[6:7], exec, s[8:9]
	s_cbranch_execnz .LBB28_4001
; %bb.1953:
	s_or_saveexec_b64 s[6:7], s[6:7]
	v_mov_b32_e32 v0, s10
	s_xor_b64 exec, exec, s[6:7]
	s_cbranch_execnz .LBB28_4004
.LBB28_1954:
	s_or_b64 exec, exec, s[6:7]
	s_and_saveexec_b64 s[6:7], s[4:5]
	s_cbranch_execz .LBB28_1956
.LBB28_1955:
	v_and_b32_e32 v0, 7, v5
	v_ffbh_u32_e32 v8, v0
	v_min_u32_e32 v8, 32, v8
	v_lshrrev_b16_e32 v4, 3, v5
	v_subrev_u32_e32 v9, 28, v8
	v_and_b32_e32 v4, 15, v4
	v_lshlrev_b32_e32 v9, v9, v5
	v_sub_u32_e32 v8, 29, v8
	v_and_b32_e32 v9, 7, v9
	v_cmp_eq_u16_e32 vcc, 0, v4
	v_cndmask_b32_e32 v0, v0, v9, vcc
	v_cndmask_b32_e32 v4, v4, v8, vcc
	v_lshlrev_b32_e32 v8, 24, v5
	v_mov_b32_e32 v9, 0x3b800000
	v_lshlrev_b32_e32 v0, 20, v0
	v_and_b32_e32 v8, 0x80000000, v8
	v_lshl_add_u32 v4, v4, 23, v9
	v_or3_b32 v0, v8, v4, v0
.LBB28_1956:
	s_or_b64 exec, exec, s[6:7]
	s_movk_i32 s4, 0x7f
	v_cmp_gt_i16_sdwa s[6:7], v1, s4 src0_sel:BYTE_0 src1_sel:DWORD
	s_mov_b64 s[4:5], 0
                                        ; implicit-def: $sgpr10
	s_and_saveexec_b64 s[8:9], s[6:7]
	s_xor_b64 s[6:7], exec, s[8:9]
	s_cbranch_execnz .LBB28_4005
; %bb.1957:
	s_or_saveexec_b64 s[6:7], s[6:7]
	v_mov_b32_e32 v4, s10
	s_xor_b64 exec, exec, s[6:7]
	s_cbranch_execnz .LBB28_4008
.LBB28_1958:
	s_or_b64 exec, exec, s[6:7]
	s_and_saveexec_b64 s[6:7], s[4:5]
	s_cbranch_execz .LBB28_1960
.LBB28_1959:
	v_and_b32_e32 v4, 7, v1
	v_ffbh_u32_e32 v9, v4
	v_min_u32_e32 v9, 32, v9
	v_lshrrev_b16_e32 v8, 3, v1
	v_subrev_u32_e32 v10, 28, v9
	v_and_b32_e32 v8, 15, v8
	v_lshlrev_b32_e32 v10, v10, v1
	v_sub_u32_e32 v9, 29, v9
	v_and_b32_e32 v10, 7, v10
	v_cmp_eq_u16_e32 vcc, 0, v8
	v_cndmask_b32_e32 v4, v4, v10, vcc
	v_cndmask_b32_e32 v8, v8, v9, vcc
	v_lshlrev_b32_e32 v9, 24, v1
	v_mov_b32_e32 v10, 0x3b800000
	v_lshlrev_b32_e32 v4, 20, v4
	v_and_b32_e32 v9, 0x80000000, v9
	v_lshl_add_u32 v8, v8, 23, v10
	v_or3_b32 v4, v9, v8, v4
.LBB28_1960:
	s_or_b64 exec, exec, s[6:7]
	s_nop 0
	v_mfma_f32_16x16x4f32 a[0:3], v0, v4, a[0:3]
	v_lshrrev_b32_e32 v4, 8, v5
	s_movk_i32 s4, 0x7f
	v_cmp_gt_i16_sdwa s[6:7], v4, s4 src0_sel:BYTE_0 src1_sel:DWORD
	s_mov_b64 s[4:5], 0
                                        ; implicit-def: $sgpr10
	s_and_saveexec_b64 s[8:9], s[6:7]
	s_xor_b64 s[6:7], exec, s[8:9]
	s_cbranch_execnz .LBB28_4009
; %bb.1961:
	s_or_saveexec_b64 s[6:7], s[6:7]
	v_mov_b32_e32 v0, s10
	s_xor_b64 exec, exec, s[6:7]
	s_cbranch_execnz .LBB28_4012
.LBB28_1962:
	s_or_b64 exec, exec, s[6:7]
	s_and_saveexec_b64 s[6:7], s[4:5]
	s_cbranch_execz .LBB28_1964
.LBB28_1963:
	v_bfe_u32 v0, v5, 8, 3
	v_ffbh_u32_e32 v9, v0
	v_min_u32_e32 v9, 32, v9
	v_lshrrev_b16_e32 v8, 3, v4
	v_subrev_u32_e32 v10, 28, v9
	v_and_b32_e32 v8, 15, v8
	v_lshlrev_b32_e32 v4, v10, v4
	v_sub_u32_e32 v9, 29, v9
	v_and_b32_e32 v4, 7, v4
	v_cmp_eq_u16_e32 vcc, 0, v8
	v_cndmask_b32_e32 v0, v0, v4, vcc
	v_cndmask_b32_e32 v4, v8, v9, vcc
	v_lshlrev_b32_e32 v8, 16, v5
	v_mov_b32_e32 v9, 0x3b800000
	v_lshlrev_b32_e32 v0, 20, v0
	v_and_b32_e32 v8, 0x80000000, v8
	v_lshl_add_u32 v4, v4, 23, v9
	v_or3_b32 v0, v8, v4, v0
.LBB28_1964:
	s_or_b64 exec, exec, s[6:7]
	v_lshrrev_b32_e32 v4, 8, v1
	s_movk_i32 s4, 0x7f
	v_cmp_gt_i16_sdwa s[6:7], v4, s4 src0_sel:BYTE_0 src1_sel:DWORD
	s_mov_b64 s[4:5], 0
                                        ; implicit-def: $sgpr10
	s_and_saveexec_b64 s[8:9], s[6:7]
	s_xor_b64 s[6:7], exec, s[8:9]
	s_cbranch_execnz .LBB28_4013
; %bb.1965:
	s_or_saveexec_b64 s[6:7], s[6:7]
	v_mov_b32_e32 v8, s10
	s_xor_b64 exec, exec, s[6:7]
	s_cbranch_execnz .LBB28_4016
.LBB28_1966:
	s_or_b64 exec, exec, s[6:7]
	s_and_saveexec_b64 s[6:7], s[4:5]
	s_cbranch_execz .LBB28_1968
.LBB28_1967:
	v_bfe_u32 v8, v1, 8, 3
	v_ffbh_u32_e32 v10, v8
	v_min_u32_e32 v10, 32, v10
	v_lshrrev_b16_e32 v9, 3, v4
	v_subrev_u32_e32 v11, 28, v10
	v_and_b32_e32 v9, 15, v9
	v_lshlrev_b32_e32 v4, v11, v4
	v_sub_u32_e32 v10, 29, v10
	v_and_b32_e32 v4, 7, v4
	v_cmp_eq_u16_e32 vcc, 0, v9
	v_cndmask_b32_e32 v4, v8, v4, vcc
	v_cndmask_b32_e32 v8, v9, v10, vcc
	v_lshlrev_b32_e32 v9, 16, v1
	v_mov_b32_e32 v10, 0x3b800000
	v_lshlrev_b32_e32 v4, 20, v4
	v_and_b32_e32 v9, 0x80000000, v9
	v_lshl_add_u32 v8, v8, 23, v10
	v_or3_b32 v8, v9, v8, v4
.LBB28_1968:
	s_or_b64 exec, exec, s[6:7]
	s_nop 0
	v_mfma_f32_16x16x4f32 a[0:3], v0, v8, a[0:3]
	s_movk_i32 s4, 0xff
	v_and_b32_sdwa v4, v5, s4 dst_sel:DWORD dst_unused:UNUSED_PAD src0_sel:WORD_1 src1_sel:DWORD
	s_movk_i32 s4, 0x7f
	v_cmp_lt_i16_e32 vcc, s4, v4
	s_mov_b64 s[4:5], 0
                                        ; implicit-def: $sgpr10
	s_and_saveexec_b64 s[6:7], vcc
	s_xor_b64 s[6:7], exec, s[6:7]
	s_cbranch_execnz .LBB28_4017
; %bb.1969:
	s_or_saveexec_b64 s[6:7], s[6:7]
	v_mov_b32_e32 v0, s10
	s_xor_b64 exec, exec, s[6:7]
	s_cbranch_execnz .LBB28_4020
.LBB28_1970:
	s_or_b64 exec, exec, s[6:7]
	s_and_saveexec_b64 s[6:7], s[4:5]
	s_cbranch_execz .LBB28_1972
.LBB28_1971:
	v_bfe_u32 v0, v5, 16, 3
	v_ffbh_u32_e32 v9, v0
	v_min_u32_e32 v9, 32, v9
	v_lshrrev_b32_e32 v4, 19, v5
	v_subrev_u32_e32 v10, 28, v9
	v_and_b32_e32 v4, 15, v4
	v_lshlrev_b32_sdwa v10, v10, v5 dst_sel:DWORD dst_unused:UNUSED_PAD src0_sel:DWORD src1_sel:WORD_1
	v_bfe_u32 v8, v5, 19, 4
	v_sub_u32_e32 v9, 29, v9
	v_and_b32_e32 v10, 7, v10
	v_cmp_eq_u16_e32 vcc, 0, v4
	v_cndmask_b32_e32 v0, v0, v10, vcc
	v_cndmask_b32_e32 v4, v8, v9, vcc
	v_lshlrev_b32_e32 v8, 8, v5
	v_mov_b32_e32 v9, 0x3b800000
	v_lshlrev_b32_e32 v0, 20, v0
	v_and_b32_e32 v8, 0x80000000, v8
	v_lshl_add_u32 v4, v4, 23, v9
	v_or3_b32 v0, v8, v4, v0
.LBB28_1972:
	s_or_b64 exec, exec, s[6:7]
	s_movk_i32 s4, 0xff
	v_and_b32_sdwa v4, v1, s4 dst_sel:DWORD dst_unused:UNUSED_PAD src0_sel:WORD_1 src1_sel:DWORD
	s_movk_i32 s4, 0x7f
	v_cmp_lt_i16_e32 vcc, s4, v4
	s_mov_b64 s[4:5], 0
                                        ; implicit-def: $sgpr10
	s_and_saveexec_b64 s[6:7], vcc
	s_xor_b64 s[6:7], exec, s[6:7]
	s_cbranch_execnz .LBB28_4021
; %bb.1973:
	s_or_saveexec_b64 s[6:7], s[6:7]
	v_mov_b32_e32 v8, s10
	s_xor_b64 exec, exec, s[6:7]
	s_cbranch_execnz .LBB28_4024
.LBB28_1974:
	s_or_b64 exec, exec, s[6:7]
	s_and_saveexec_b64 s[6:7], s[4:5]
	s_cbranch_execz .LBB28_1976
.LBB28_1975:
	v_bfe_u32 v4, v1, 16, 3
	v_ffbh_u32_e32 v10, v4
	v_min_u32_e32 v10, 32, v10
	v_lshrrev_b32_e32 v8, 19, v1
	v_subrev_u32_e32 v11, 28, v10
	v_and_b32_e32 v8, 15, v8
	v_lshlrev_b32_sdwa v11, v11, v1 dst_sel:DWORD dst_unused:UNUSED_PAD src0_sel:DWORD src1_sel:WORD_1
	v_bfe_u32 v9, v1, 19, 4
	v_sub_u32_e32 v10, 29, v10
	v_and_b32_e32 v11, 7, v11
	v_cmp_eq_u16_e32 vcc, 0, v8
	v_cndmask_b32_e32 v4, v4, v11, vcc
	v_cndmask_b32_e32 v8, v9, v10, vcc
	v_lshlrev_b32_e32 v9, 8, v1
	v_mov_b32_e32 v10, 0x3b800000
	v_lshlrev_b32_e32 v4, 20, v4
	v_and_b32_e32 v9, 0x80000000, v9
	v_lshl_add_u32 v8, v8, 23, v10
	v_or3_b32 v8, v9, v8, v4
.LBB28_1976:
	s_or_b64 exec, exec, s[6:7]
	s_nop 0
	v_mfma_f32_16x16x4f32 a[0:3], v0, v8, a[0:3]
	s_movk_i32 s4, 0x7f
	v_cmp_gt_i16_sdwa s[6:7], v5, s4 src0_sel:BYTE_3 src1_sel:DWORD
	s_mov_b64 s[4:5], 0
                                        ; implicit-def: $sgpr10
	s_and_saveexec_b64 s[8:9], s[6:7]
	s_xor_b64 s[6:7], exec, s[8:9]
	s_cbranch_execnz .LBB28_4025
; %bb.1977:
	s_or_saveexec_b64 s[6:7], s[6:7]
	v_mov_b32_e32 v0, s10
	s_xor_b64 exec, exec, s[6:7]
	s_cbranch_execnz .LBB28_4028
.LBB28_1978:
	s_or_b64 exec, exec, s[6:7]
	s_and_saveexec_b64 s[6:7], s[4:5]
	s_cbranch_execz .LBB28_1980
.LBB28_1979:
	v_bfe_u32 v0, v5, 24, 3
	v_ffbh_u32_e32 v10, v0
	v_min_u32_e32 v10, 32, v10
	v_lshrrev_b32_e32 v8, 27, v5
	v_subrev_u32_e32 v11, 28, v10
	v_and_b32_e32 v4, 0x80000000, v5
	v_and_b32_e32 v8, 15, v8
	v_bfe_u32 v9, v5, 27, 4
	v_lshlrev_b32_sdwa v5, v11, v5 dst_sel:DWORD dst_unused:UNUSED_PAD src0_sel:DWORD src1_sel:BYTE_3
	v_sub_u32_e32 v10, 29, v10
	v_and_b32_e32 v5, 7, v5
	v_cmp_eq_u16_e32 vcc, 0, v8
	v_cndmask_b32_e32 v0, v0, v5, vcc
	v_cndmask_b32_e32 v5, v9, v10, vcc
	v_mov_b32_e32 v8, 0x3b800000
	v_lshlrev_b32_e32 v0, 20, v0
	v_lshl_add_u32 v5, v5, 23, v8
	v_or3_b32 v0, v4, v5, v0
.LBB28_1980:
	s_or_b64 exec, exec, s[6:7]
	s_movk_i32 s4, 0x7f
	v_cmp_gt_i16_sdwa s[6:7], v1, s4 src0_sel:BYTE_3 src1_sel:DWORD
	s_mov_b64 s[4:5], 0
                                        ; implicit-def: $sgpr10
	s_and_saveexec_b64 s[8:9], s[6:7]
	s_xor_b64 s[6:7], exec, s[8:9]
	s_cbranch_execnz .LBB28_4029
; %bb.1981:
	s_or_saveexec_b64 s[6:7], s[6:7]
	v_mov_b32_e32 v4, s10
	s_xor_b64 exec, exec, s[6:7]
	s_cbranch_execnz .LBB28_4032
.LBB28_1982:
	s_or_b64 exec, exec, s[6:7]
	s_and_saveexec_b64 s[6:7], s[4:5]
	s_cbranch_execz .LBB28_1984
.LBB28_1983:
	v_bfe_u32 v4, v1, 24, 3
	v_ffbh_u32_e32 v10, v4
	v_min_u32_e32 v10, 32, v10
	v_lshrrev_b32_e32 v8, 27, v1
	v_subrev_u32_e32 v11, 28, v10
	v_and_b32_e32 v5, 0x80000000, v1
	v_and_b32_e32 v8, 15, v8
	v_bfe_u32 v9, v1, 27, 4
	v_lshlrev_b32_sdwa v1, v11, v1 dst_sel:DWORD dst_unused:UNUSED_PAD src0_sel:DWORD src1_sel:BYTE_3
	v_sub_u32_e32 v10, 29, v10
	v_and_b32_e32 v1, 7, v1
	v_cmp_eq_u16_e32 vcc, 0, v8
	v_cndmask_b32_e32 v1, v4, v1, vcc
	v_cndmask_b32_e32 v4, v9, v10, vcc
	v_mov_b32_e32 v8, 0x3b800000
	v_lshlrev_b32_e32 v1, 20, v1
	v_lshl_add_u32 v4, v4, 23, v8
	v_or3_b32 v4, v5, v4, v1
.LBB28_1984:
	s_or_b64 exec, exec, s[6:7]
	s_nop 0
	v_mfma_f32_16x16x4f32 a[0:3], v0, v4, a[0:3]
	s_movk_i32 s4, 0x7f
	v_cmp_gt_i16_sdwa s[6:7], v6, s4 src0_sel:BYTE_0 src1_sel:DWORD
	s_mov_b64 s[4:5], 0
                                        ; implicit-def: $sgpr10
	s_and_saveexec_b64 s[8:9], s[6:7]
	s_xor_b64 s[6:7], exec, s[8:9]
	s_cbranch_execnz .LBB28_4033
; %bb.1985:
	s_or_saveexec_b64 s[6:7], s[6:7]
	v_mov_b32_e32 v0, s10
	s_xor_b64 exec, exec, s[6:7]
	s_cbranch_execnz .LBB28_4036
.LBB28_1986:
	s_or_b64 exec, exec, s[6:7]
	s_and_saveexec_b64 s[6:7], s[4:5]
	s_cbranch_execz .LBB28_1988
.LBB28_1987:
	v_and_b32_e32 v0, 7, v6
	v_ffbh_u32_e32 v4, v0
	v_min_u32_e32 v4, 32, v4
	v_lshrrev_b16_e32 v1, 3, v6
	v_subrev_u32_e32 v5, 28, v4
	v_and_b32_e32 v1, 15, v1
	v_lshlrev_b32_e32 v5, v5, v6
	v_sub_u32_e32 v4, 29, v4
	v_and_b32_e32 v5, 7, v5
	v_cmp_eq_u16_e32 vcc, 0, v1
	v_cndmask_b32_e32 v0, v0, v5, vcc
	v_cndmask_b32_e32 v1, v1, v4, vcc
	v_lshlrev_b32_e32 v4, 24, v6
	v_mov_b32_e32 v5, 0x3b800000
	v_lshlrev_b32_e32 v0, 20, v0
	v_and_b32_e32 v4, 0x80000000, v4
	v_lshl_add_u32 v1, v1, 23, v5
	v_or3_b32 v0, v4, v1, v0
.LBB28_1988:
	s_or_b64 exec, exec, s[6:7]
	s_movk_i32 s4, 0x7f
	v_cmp_gt_i16_sdwa s[6:7], v2, s4 src0_sel:BYTE_0 src1_sel:DWORD
	s_mov_b64 s[4:5], 0
                                        ; implicit-def: $sgpr10
	s_and_saveexec_b64 s[8:9], s[6:7]
	s_xor_b64 s[6:7], exec, s[8:9]
	s_cbranch_execnz .LBB28_4037
; %bb.1989:
	s_or_saveexec_b64 s[6:7], s[6:7]
	v_mov_b32_e32 v1, s10
	s_xor_b64 exec, exec, s[6:7]
	s_cbranch_execnz .LBB28_4040
.LBB28_1990:
	s_or_b64 exec, exec, s[6:7]
	s_and_saveexec_b64 s[6:7], s[4:5]
	s_cbranch_execz .LBB28_1992
.LBB28_1991:
	v_and_b32_e32 v1, 7, v2
	v_ffbh_u32_e32 v5, v1
	v_min_u32_e32 v5, 32, v5
	v_lshrrev_b16_e32 v4, 3, v2
	v_subrev_u32_e32 v8, 28, v5
	v_and_b32_e32 v4, 15, v4
	v_lshlrev_b32_e32 v8, v8, v2
	v_sub_u32_e32 v5, 29, v5
	v_and_b32_e32 v8, 7, v8
	v_cmp_eq_u16_e32 vcc, 0, v4
	v_cndmask_b32_e32 v1, v1, v8, vcc
	v_cndmask_b32_e32 v4, v4, v5, vcc
	v_lshlrev_b32_e32 v5, 24, v2
	v_mov_b32_e32 v8, 0x3b800000
	v_lshlrev_b32_e32 v1, 20, v1
	v_and_b32_e32 v5, 0x80000000, v5
	v_lshl_add_u32 v4, v4, 23, v8
	v_or3_b32 v1, v5, v4, v1
.LBB28_1992:
	s_or_b64 exec, exec, s[6:7]
	s_nop 0
	v_mfma_f32_16x16x4f32 a[0:3], v0, v1, a[0:3]
	v_lshrrev_b32_e32 v1, 8, v6
	s_movk_i32 s4, 0x7f
	v_cmp_gt_i16_sdwa s[6:7], v1, s4 src0_sel:BYTE_0 src1_sel:DWORD
	s_mov_b64 s[4:5], 0
                                        ; implicit-def: $sgpr10
	s_and_saveexec_b64 s[8:9], s[6:7]
	s_xor_b64 s[6:7], exec, s[8:9]
	s_cbranch_execnz .LBB28_4041
; %bb.1993:
	s_or_saveexec_b64 s[6:7], s[6:7]
	v_mov_b32_e32 v0, s10
	s_xor_b64 exec, exec, s[6:7]
	s_cbranch_execnz .LBB28_4044
.LBB28_1994:
	s_or_b64 exec, exec, s[6:7]
	s_and_saveexec_b64 s[6:7], s[4:5]
	s_cbranch_execz .LBB28_1996
.LBB28_1995:
	v_bfe_u32 v0, v6, 8, 3
	v_ffbh_u32_e32 v5, v0
	v_min_u32_e32 v5, 32, v5
	v_lshrrev_b16_e32 v4, 3, v1
	v_subrev_u32_e32 v8, 28, v5
	v_and_b32_e32 v4, 15, v4
	v_lshlrev_b32_e32 v1, v8, v1
	v_sub_u32_e32 v5, 29, v5
	v_and_b32_e32 v1, 7, v1
	v_cmp_eq_u16_e32 vcc, 0, v4
	v_cndmask_b32_e32 v0, v0, v1, vcc
	v_cndmask_b32_e32 v1, v4, v5, vcc
	v_lshlrev_b32_e32 v4, 16, v6
	v_mov_b32_e32 v5, 0x3b800000
	v_lshlrev_b32_e32 v0, 20, v0
	v_and_b32_e32 v4, 0x80000000, v4
	v_lshl_add_u32 v1, v1, 23, v5
	v_or3_b32 v0, v4, v1, v0
.LBB28_1996:
	s_or_b64 exec, exec, s[6:7]
	v_lshrrev_b32_e32 v1, 8, v2
	s_movk_i32 s4, 0x7f
	v_cmp_gt_i16_sdwa s[6:7], v1, s4 src0_sel:BYTE_0 src1_sel:DWORD
	s_mov_b64 s[4:5], 0
                                        ; implicit-def: $sgpr10
	s_and_saveexec_b64 s[8:9], s[6:7]
	s_xor_b64 s[6:7], exec, s[8:9]
	s_cbranch_execnz .LBB28_4045
; %bb.1997:
	s_or_saveexec_b64 s[6:7], s[6:7]
	v_mov_b32_e32 v4, s10
	s_xor_b64 exec, exec, s[6:7]
	s_cbranch_execnz .LBB28_4048
.LBB28_1998:
	s_or_b64 exec, exec, s[6:7]
	s_and_saveexec_b64 s[6:7], s[4:5]
	s_cbranch_execz .LBB28_2000
.LBB28_1999:
	v_bfe_u32 v4, v2, 8, 3
	v_ffbh_u32_e32 v8, v4
	v_min_u32_e32 v8, 32, v8
	v_lshrrev_b16_e32 v5, 3, v1
	v_subrev_u32_e32 v9, 28, v8
	v_and_b32_e32 v5, 15, v5
	v_lshlrev_b32_e32 v1, v9, v1
	v_sub_u32_e32 v8, 29, v8
	v_and_b32_e32 v1, 7, v1
	v_cmp_eq_u16_e32 vcc, 0, v5
	v_cndmask_b32_e32 v1, v4, v1, vcc
	v_cndmask_b32_e32 v4, v5, v8, vcc
	v_lshlrev_b32_e32 v5, 16, v2
	v_mov_b32_e32 v8, 0x3b800000
	v_lshlrev_b32_e32 v1, 20, v1
	v_and_b32_e32 v5, 0x80000000, v5
	v_lshl_add_u32 v4, v4, 23, v8
	v_or3_b32 v4, v5, v4, v1
.LBB28_2000:
	s_or_b64 exec, exec, s[6:7]
	s_nop 0
	v_mfma_f32_16x16x4f32 a[0:3], v0, v4, a[0:3]
	s_movk_i32 s4, 0xff
	v_and_b32_sdwa v1, v6, s4 dst_sel:DWORD dst_unused:UNUSED_PAD src0_sel:WORD_1 src1_sel:DWORD
	s_movk_i32 s4, 0x7f
	v_cmp_lt_i16_e32 vcc, s4, v1
	s_mov_b64 s[4:5], 0
                                        ; implicit-def: $sgpr10
	s_and_saveexec_b64 s[6:7], vcc
	s_xor_b64 s[6:7], exec, s[6:7]
	s_cbranch_execnz .LBB28_4049
; %bb.2001:
	s_or_saveexec_b64 s[6:7], s[6:7]
	v_mov_b32_e32 v0, s10
	s_xor_b64 exec, exec, s[6:7]
	s_cbranch_execnz .LBB28_4052
.LBB28_2002:
	s_or_b64 exec, exec, s[6:7]
	s_and_saveexec_b64 s[6:7], s[4:5]
	s_cbranch_execz .LBB28_2004
.LBB28_2003:
	v_bfe_u32 v0, v6, 16, 3
	v_ffbh_u32_e32 v5, v0
	v_min_u32_e32 v5, 32, v5
	v_lshrrev_b32_e32 v1, 19, v6
	v_subrev_u32_e32 v8, 28, v5
	v_and_b32_e32 v1, 15, v1
	v_lshlrev_b32_sdwa v8, v8, v6 dst_sel:DWORD dst_unused:UNUSED_PAD src0_sel:DWORD src1_sel:WORD_1
	v_bfe_u32 v4, v6, 19, 4
	v_sub_u32_e32 v5, 29, v5
	v_and_b32_e32 v8, 7, v8
	v_cmp_eq_u16_e32 vcc, 0, v1
	v_cndmask_b32_e32 v0, v0, v8, vcc
	v_cndmask_b32_e32 v1, v4, v5, vcc
	v_lshlrev_b32_e32 v4, 8, v6
	v_mov_b32_e32 v5, 0x3b800000
	v_lshlrev_b32_e32 v0, 20, v0
	v_and_b32_e32 v4, 0x80000000, v4
	v_lshl_add_u32 v1, v1, 23, v5
	v_or3_b32 v0, v4, v1, v0
.LBB28_2004:
	s_or_b64 exec, exec, s[6:7]
	s_movk_i32 s4, 0xff
	v_and_b32_sdwa v1, v2, s4 dst_sel:DWORD dst_unused:UNUSED_PAD src0_sel:WORD_1 src1_sel:DWORD
	s_movk_i32 s4, 0x7f
	v_cmp_lt_i16_e32 vcc, s4, v1
	s_mov_b64 s[4:5], 0
                                        ; implicit-def: $sgpr10
	s_and_saveexec_b64 s[6:7], vcc
	s_xor_b64 s[6:7], exec, s[6:7]
	s_cbranch_execnz .LBB28_4053
; %bb.2005:
	s_or_saveexec_b64 s[6:7], s[6:7]
	v_mov_b32_e32 v4, s10
	s_xor_b64 exec, exec, s[6:7]
	s_cbranch_execnz .LBB28_4056
.LBB28_2006:
	s_or_b64 exec, exec, s[6:7]
	s_and_saveexec_b64 s[6:7], s[4:5]
	s_cbranch_execz .LBB28_2008
.LBB28_2007:
	v_bfe_u32 v1, v2, 16, 3
	v_ffbh_u32_e32 v8, v1
	v_min_u32_e32 v8, 32, v8
	v_lshrrev_b32_e32 v4, 19, v2
	v_subrev_u32_e32 v9, 28, v8
	v_and_b32_e32 v4, 15, v4
	v_lshlrev_b32_sdwa v9, v9, v2 dst_sel:DWORD dst_unused:UNUSED_PAD src0_sel:DWORD src1_sel:WORD_1
	v_bfe_u32 v5, v2, 19, 4
	v_sub_u32_e32 v8, 29, v8
	v_and_b32_e32 v9, 7, v9
	v_cmp_eq_u16_e32 vcc, 0, v4
	v_cndmask_b32_e32 v1, v1, v9, vcc
	v_cndmask_b32_e32 v4, v5, v8, vcc
	v_lshlrev_b32_e32 v5, 8, v2
	v_mov_b32_e32 v8, 0x3b800000
	v_lshlrev_b32_e32 v1, 20, v1
	v_and_b32_e32 v5, 0x80000000, v5
	v_lshl_add_u32 v4, v4, 23, v8
	v_or3_b32 v4, v5, v4, v1
.LBB28_2008:
	s_or_b64 exec, exec, s[6:7]
	s_nop 0
	v_mfma_f32_16x16x4f32 a[0:3], v0, v4, a[0:3]
	s_movk_i32 s4, 0x7f
	v_cmp_gt_i16_sdwa s[6:7], v6, s4 src0_sel:BYTE_3 src1_sel:DWORD
	s_mov_b64 s[4:5], 0
                                        ; implicit-def: $sgpr10
	s_and_saveexec_b64 s[8:9], s[6:7]
	s_xor_b64 s[6:7], exec, s[8:9]
	s_cbranch_execnz .LBB28_4057
; %bb.2009:
	s_or_saveexec_b64 s[6:7], s[6:7]
	v_mov_b32_e32 v0, s10
	s_xor_b64 exec, exec, s[6:7]
	s_cbranch_execnz .LBB28_4060
.LBB28_2010:
	s_or_b64 exec, exec, s[6:7]
	s_and_saveexec_b64 s[6:7], s[4:5]
	s_cbranch_execz .LBB28_2012
.LBB28_2011:
	v_bfe_u32 v0, v6, 24, 3
	v_ffbh_u32_e32 v8, v0
	v_min_u32_e32 v8, 32, v8
	v_lshrrev_b32_e32 v4, 27, v6
	v_subrev_u32_e32 v9, 28, v8
	v_and_b32_e32 v1, 0x80000000, v6
	v_and_b32_e32 v4, 15, v4
	v_bfe_u32 v5, v6, 27, 4
	v_lshlrev_b32_sdwa v6, v9, v6 dst_sel:DWORD dst_unused:UNUSED_PAD src0_sel:DWORD src1_sel:BYTE_3
	v_sub_u32_e32 v8, 29, v8
	v_and_b32_e32 v6, 7, v6
	v_cmp_eq_u16_e32 vcc, 0, v4
	v_cndmask_b32_e32 v0, v0, v6, vcc
	v_cndmask_b32_e32 v4, v5, v8, vcc
	v_mov_b32_e32 v5, 0x3b800000
	v_lshlrev_b32_e32 v0, 20, v0
	v_lshl_add_u32 v4, v4, 23, v5
	v_or3_b32 v0, v1, v4, v0
.LBB28_2012:
	s_or_b64 exec, exec, s[6:7]
	s_movk_i32 s4, 0x7f
	v_cmp_gt_i16_sdwa s[6:7], v2, s4 src0_sel:BYTE_3 src1_sel:DWORD
	s_mov_b64 s[4:5], 0
                                        ; implicit-def: $sgpr10
	s_and_saveexec_b64 s[8:9], s[6:7]
	s_xor_b64 s[6:7], exec, s[8:9]
	s_cbranch_execnz .LBB28_4061
; %bb.2013:
	s_or_saveexec_b64 s[6:7], s[6:7]
	v_mov_b32_e32 v1, s10
	s_xor_b64 exec, exec, s[6:7]
	s_cbranch_execnz .LBB28_4064
.LBB28_2014:
	s_or_b64 exec, exec, s[6:7]
	s_and_saveexec_b64 s[6:7], s[4:5]
	s_cbranch_execz .LBB28_2016
.LBB28_2015:
	v_bfe_u32 v1, v2, 24, 3
	v_ffbh_u32_e32 v8, v1
	v_min_u32_e32 v8, 32, v8
	v_lshrrev_b32_e32 v5, 27, v2
	v_subrev_u32_e32 v9, 28, v8
	v_and_b32_e32 v4, 0x80000000, v2
	v_and_b32_e32 v5, 15, v5
	v_bfe_u32 v6, v2, 27, 4
	v_lshlrev_b32_sdwa v2, v9, v2 dst_sel:DWORD dst_unused:UNUSED_PAD src0_sel:DWORD src1_sel:BYTE_3
	v_sub_u32_e32 v8, 29, v8
	v_and_b32_e32 v2, 7, v2
	v_cmp_eq_u16_e32 vcc, 0, v5
	v_cndmask_b32_e32 v1, v1, v2, vcc
	v_cndmask_b32_e32 v2, v6, v8, vcc
	v_mov_b32_e32 v5, 0x3b800000
	v_lshlrev_b32_e32 v1, 20, v1
	v_lshl_add_u32 v2, v2, 23, v5
	v_or3_b32 v1, v4, v2, v1
.LBB28_2016:
	s_or_b64 exec, exec, s[6:7]
	s_nop 0
	v_mfma_f32_16x16x4f32 a[0:3], v0, v1, a[0:3]
	s_movk_i32 s4, 0x7f
	v_cmp_gt_i16_sdwa s[6:7], v7, s4 src0_sel:BYTE_0 src1_sel:DWORD
	s_mov_b64 s[4:5], 0
                                        ; implicit-def: $sgpr10
	s_and_saveexec_b64 s[8:9], s[6:7]
	s_xor_b64 s[6:7], exec, s[8:9]
	s_cbranch_execnz .LBB28_4065
; %bb.2017:
	s_or_saveexec_b64 s[6:7], s[6:7]
	v_mov_b32_e32 v0, s10
	s_xor_b64 exec, exec, s[6:7]
	s_cbranch_execnz .LBB28_4068
.LBB28_2018:
	s_or_b64 exec, exec, s[6:7]
	s_and_saveexec_b64 s[6:7], s[4:5]
	s_cbranch_execz .LBB28_2020
.LBB28_2019:
	v_mov_b32_e32 v0, 8
	v_and_b32_e32 v1, 7, v7
	v_lshrrev_b32_sdwa v0, v0, v7 dst_sel:BYTE_1 dst_unused:UNUSED_PAD src0_sel:DWORD src1_sel:DWORD
	v_ffbh_u32_e32 v2, v1
	v_or_b32_sdwa v0, v7, v0 dst_sel:DWORD dst_unused:UNUSED_PAD src0_sel:BYTE_0 src1_sel:DWORD
	v_min_u32_e32 v2, 32, v2
	v_lshrrev_b16_e32 v0, 3, v0
	v_subrev_u32_e32 v4, 28, v2
	v_and_b32_e32 v0, 15, v0
	v_lshlrev_b32_e32 v4, v4, v7
	v_sub_u32_e32 v2, 29, v2
	v_and_b32_e32 v4, 7, v4
	v_cmp_eq_u16_e32 vcc, 0, v0
	v_cndmask_b32_e32 v1, v1, v4, vcc
	v_cndmask_b32_e32 v0, v0, v2, vcc
	v_lshlrev_b32_e32 v2, 24, v7
	v_mov_b32_e32 v4, 0x3b800000
	v_lshlrev_b32_e32 v1, 20, v1
	v_and_b32_e32 v2, 0x80000000, v2
	v_lshl_add_u32 v0, v0, 23, v4
	v_or3_b32 v0, v2, v0, v1
.LBB28_2020:
	s_or_b64 exec, exec, s[6:7]
	s_movk_i32 s4, 0x7f
	v_cmp_gt_i16_sdwa s[6:7], v3, s4 src0_sel:BYTE_0 src1_sel:DWORD
	s_mov_b64 s[4:5], 0
                                        ; implicit-def: $sgpr10
	s_and_saveexec_b64 s[8:9], s[6:7]
	s_xor_b64 s[6:7], exec, s[8:9]
	s_cbranch_execnz .LBB28_4069
; %bb.2021:
	s_or_saveexec_b64 s[6:7], s[6:7]
	v_mov_b32_e32 v1, s10
	s_xor_b64 exec, exec, s[6:7]
	s_cbranch_execnz .LBB28_4072
.LBB28_2022:
	s_or_b64 exec, exec, s[6:7]
	s_and_saveexec_b64 s[6:7], s[4:5]
	s_cbranch_execz .LBB28_2024
.LBB28_2023:
	v_mov_b32_e32 v1, 8
	v_and_b32_e32 v2, 7, v3
	v_lshrrev_b32_sdwa v1, v1, v3 dst_sel:BYTE_1 dst_unused:UNUSED_PAD src0_sel:DWORD src1_sel:DWORD
	v_ffbh_u32_e32 v4, v2
	v_or_b32_sdwa v1, v3, v1 dst_sel:DWORD dst_unused:UNUSED_PAD src0_sel:BYTE_0 src1_sel:DWORD
	v_min_u32_e32 v4, 32, v4
	v_lshrrev_b16_e32 v1, 3, v1
	v_subrev_u32_e32 v5, 28, v4
	v_and_b32_e32 v1, 15, v1
	v_lshlrev_b32_e32 v5, v5, v3
	v_sub_u32_e32 v4, 29, v4
	v_and_b32_e32 v5, 7, v5
	v_cmp_eq_u16_e32 vcc, 0, v1
	v_cndmask_b32_e32 v2, v2, v5, vcc
	v_cndmask_b32_e32 v1, v1, v4, vcc
	v_lshlrev_b32_e32 v4, 24, v3
	v_mov_b32_e32 v5, 0x3b800000
	v_lshlrev_b32_e32 v2, 20, v2
	v_and_b32_e32 v4, 0x80000000, v4
	v_lshl_add_u32 v1, v1, 23, v5
	v_or3_b32 v1, v4, v1, v2
.LBB28_2024:
	s_or_b64 exec, exec, s[6:7]
	s_nop 0
	v_mfma_f32_16x16x4f32 a[0:3], v0, v1, a[0:3]
	v_lshrrev_b32_e32 v1, 8, v7
	s_movk_i32 s4, 0x7f
	v_cmp_gt_i16_sdwa s[6:7], v1, s4 src0_sel:BYTE_0 src1_sel:DWORD
	s_mov_b64 s[4:5], 0
                                        ; implicit-def: $sgpr10
	s_and_saveexec_b64 s[8:9], s[6:7]
	s_xor_b64 s[6:7], exec, s[8:9]
	s_cbranch_execnz .LBB28_4073
; %bb.2025:
	s_or_saveexec_b64 s[6:7], s[6:7]
	v_mov_b32_e32 v0, s10
	s_xor_b64 exec, exec, s[6:7]
	s_cbranch_execnz .LBB28_4076
.LBB28_2026:
	s_or_b64 exec, exec, s[6:7]
	s_and_saveexec_b64 s[6:7], s[4:5]
	s_cbranch_execz .LBB28_2028
.LBB28_2027:
	v_bfe_u32 v0, v7, 8, 3
	v_ffbh_u32_e32 v4, v0
	v_min_u32_e32 v4, 32, v4
	v_lshrrev_b16_e32 v2, 3, v1
	v_subrev_u32_e32 v5, 28, v4
	v_and_b32_e32 v2, 15, v2
	v_lshlrev_b32_e32 v1, v5, v1
	v_sub_u32_e32 v4, 29, v4
	v_and_b32_e32 v1, 7, v1
	v_cmp_eq_u16_e32 vcc, 0, v2
	v_cndmask_b32_e32 v0, v0, v1, vcc
	v_cndmask_b32_e32 v1, v2, v4, vcc
	v_lshlrev_b32_e32 v2, 16, v7
	v_mov_b32_e32 v4, 0x3b800000
	v_lshlrev_b32_e32 v0, 20, v0
	v_and_b32_e32 v2, 0x80000000, v2
	v_lshl_add_u32 v1, v1, 23, v4
	v_or3_b32 v0, v2, v1, v0
.LBB28_2028:
	s_or_b64 exec, exec, s[6:7]
	v_lshrrev_b32_e32 v1, 8, v3
	s_movk_i32 s4, 0x7f
	v_cmp_gt_i16_sdwa s[6:7], v1, s4 src0_sel:BYTE_0 src1_sel:DWORD
	s_mov_b64 s[4:5], 0
                                        ; implicit-def: $sgpr10
	s_and_saveexec_b64 s[8:9], s[6:7]
	s_xor_b64 s[6:7], exec, s[8:9]
	s_cbranch_execnz .LBB28_4077
; %bb.2029:
	s_or_saveexec_b64 s[6:7], s[6:7]
	v_mov_b32_e32 v2, s10
	s_xor_b64 exec, exec, s[6:7]
	s_cbranch_execnz .LBB28_4080
.LBB28_2030:
	s_or_b64 exec, exec, s[6:7]
	s_and_saveexec_b64 s[6:7], s[4:5]
	s_cbranch_execz .LBB28_2032
.LBB28_2031:
	v_bfe_u32 v2, v3, 8, 3
	v_ffbh_u32_e32 v5, v2
	v_min_u32_e32 v5, 32, v5
	v_lshrrev_b16_e32 v4, 3, v1
	v_subrev_u32_e32 v6, 28, v5
	v_and_b32_e32 v4, 15, v4
	v_lshlrev_b32_e32 v1, v6, v1
	v_sub_u32_e32 v5, 29, v5
	v_and_b32_e32 v1, 7, v1
	v_cmp_eq_u16_e32 vcc, 0, v4
	v_cndmask_b32_e32 v1, v2, v1, vcc
	v_cndmask_b32_e32 v2, v4, v5, vcc
	v_lshlrev_b32_e32 v4, 16, v3
	v_mov_b32_e32 v5, 0x3b800000
	v_lshlrev_b32_e32 v1, 20, v1
	v_and_b32_e32 v4, 0x80000000, v4
	v_lshl_add_u32 v2, v2, 23, v5
	v_or3_b32 v2, v4, v2, v1
.LBB28_2032:
	s_or_b64 exec, exec, s[6:7]
	s_nop 0
	v_mfma_f32_16x16x4f32 a[0:3], v0, v2, a[0:3]
	s_movk_i32 s4, 0xff
	v_and_b32_sdwa v1, v7, s4 dst_sel:DWORD dst_unused:UNUSED_PAD src0_sel:WORD_1 src1_sel:DWORD
	s_movk_i32 s4, 0x7f
	v_cmp_lt_i16_e32 vcc, s4, v1
	s_mov_b64 s[4:5], 0
                                        ; implicit-def: $sgpr10
	s_and_saveexec_b64 s[6:7], vcc
	s_xor_b64 s[6:7], exec, s[6:7]
	s_cbranch_execnz .LBB28_4081
; %bb.2033:
	s_or_saveexec_b64 s[6:7], s[6:7]
	v_mov_b32_e32 v0, s10
	s_xor_b64 exec, exec, s[6:7]
	s_cbranch_execnz .LBB28_4084
.LBB28_2034:
	s_or_b64 exec, exec, s[6:7]
	s_and_saveexec_b64 s[6:7], s[4:5]
	s_cbranch_execz .LBB28_2036
.LBB28_2035:
	v_bfe_u32 v0, v7, 16, 3
	v_ffbh_u32_e32 v4, v0
	v_min_u32_e32 v4, 32, v4
	v_lshrrev_b32_e32 v1, 19, v7
	v_subrev_u32_e32 v5, 28, v4
	v_and_b32_e32 v1, 15, v1
	v_lshlrev_b32_sdwa v5, v5, v7 dst_sel:DWORD dst_unused:UNUSED_PAD src0_sel:DWORD src1_sel:WORD_1
	v_bfe_u32 v2, v7, 19, 4
	v_sub_u32_e32 v4, 29, v4
	v_and_b32_e32 v5, 7, v5
	v_cmp_eq_u16_e32 vcc, 0, v1
	v_cndmask_b32_e32 v0, v0, v5, vcc
	v_cndmask_b32_e32 v1, v2, v4, vcc
	v_lshlrev_b32_e32 v2, 8, v7
	v_mov_b32_e32 v4, 0x3b800000
	v_lshlrev_b32_e32 v0, 20, v0
	v_and_b32_e32 v2, 0x80000000, v2
	v_lshl_add_u32 v1, v1, 23, v4
	v_or3_b32 v0, v2, v1, v0
.LBB28_2036:
	s_or_b64 exec, exec, s[6:7]
	s_movk_i32 s4, 0xff
	v_and_b32_sdwa v1, v3, s4 dst_sel:DWORD dst_unused:UNUSED_PAD src0_sel:WORD_1 src1_sel:DWORD
	s_movk_i32 s4, 0x7f
	v_cmp_lt_i16_e32 vcc, s4, v1
	s_mov_b64 s[4:5], 0
                                        ; implicit-def: $sgpr10
	s_and_saveexec_b64 s[6:7], vcc
	s_xor_b64 s[6:7], exec, s[6:7]
	s_cbranch_execnz .LBB28_4085
; %bb.2037:
	s_or_saveexec_b64 s[6:7], s[6:7]
	v_mov_b32_e32 v2, s10
	s_xor_b64 exec, exec, s[6:7]
	s_cbranch_execnz .LBB28_4088
.LBB28_2038:
	s_or_b64 exec, exec, s[6:7]
	s_and_saveexec_b64 s[6:7], s[4:5]
	s_cbranch_execz .LBB28_2040
.LBB28_2039:
	v_bfe_u32 v1, v3, 16, 3
	v_ffbh_u32_e32 v5, v1
	v_min_u32_e32 v5, 32, v5
	v_lshrrev_b32_e32 v2, 19, v3
	v_subrev_u32_e32 v6, 28, v5
	v_and_b32_e32 v2, 15, v2
	v_lshlrev_b32_sdwa v6, v6, v3 dst_sel:DWORD dst_unused:UNUSED_PAD src0_sel:DWORD src1_sel:WORD_1
	v_bfe_u32 v4, v3, 19, 4
	v_sub_u32_e32 v5, 29, v5
	v_and_b32_e32 v6, 7, v6
	v_cmp_eq_u16_e32 vcc, 0, v2
	v_cndmask_b32_e32 v1, v1, v6, vcc
	v_cndmask_b32_e32 v2, v4, v5, vcc
	v_lshlrev_b32_e32 v4, 8, v3
	v_mov_b32_e32 v5, 0x3b800000
	v_lshlrev_b32_e32 v1, 20, v1
	v_and_b32_e32 v4, 0x80000000, v4
	v_lshl_add_u32 v2, v2, 23, v5
	v_or3_b32 v2, v4, v2, v1
.LBB28_2040:
	s_or_b64 exec, exec, s[6:7]
	s_nop 0
	v_mfma_f32_16x16x4f32 a[0:3], v0, v2, a[0:3]
	s_movk_i32 s4, 0x7f
	v_cmp_gt_i16_sdwa s[6:7], v7, s4 src0_sel:BYTE_3 src1_sel:DWORD
	s_mov_b64 s[4:5], 0
                                        ; implicit-def: $sgpr10
	s_and_saveexec_b64 s[8:9], s[6:7]
	s_xor_b64 s[6:7], exec, s[8:9]
	s_cbranch_execnz .LBB28_4089
; %bb.2041:
	s_or_saveexec_b64 s[6:7], s[6:7]
	v_mov_b32_e32 v0, s10
	s_xor_b64 exec, exec, s[6:7]
	s_cbranch_execnz .LBB28_4092
.LBB28_2042:
	s_or_b64 exec, exec, s[6:7]
	s_and_saveexec_b64 s[6:7], s[4:5]
	s_cbranch_execz .LBB28_2044
.LBB28_2043:
	v_bfe_u32 v0, v7, 24, 3
	v_ffbh_u32_e32 v5, v0
	v_min_u32_e32 v5, 32, v5
	v_lshrrev_b32_e32 v2, 27, v7
	v_subrev_u32_e32 v6, 28, v5
	v_and_b32_e32 v2, 15, v2
	v_lshlrev_b32_sdwa v6, v6, v7 dst_sel:DWORD dst_unused:UNUSED_PAD src0_sel:DWORD src1_sel:BYTE_3
	v_bfe_u32 v4, v7, 27, 4
	v_sub_u32_e32 v5, 29, v5
	v_and_b32_e32 v6, 7, v6
	v_cmp_eq_u16_e32 vcc, 0, v2
	v_cndmask_b32_e32 v0, v0, v6, vcc
	v_cndmask_b32_e32 v2, v4, v5, vcc
	v_mov_b32_e32 v4, 0x3b800000
	v_and_b32_e32 v1, 0x80000000, v7
	v_lshlrev_b32_e32 v0, 20, v0
	v_lshl_add_u32 v2, v2, 23, v4
	v_or3_b32 v0, v1, v2, v0
.LBB28_2044:
	s_or_b64 exec, exec, s[6:7]
	s_movk_i32 s4, 0x7f
	v_cmp_gt_i16_sdwa s[6:7], v3, s4 src0_sel:BYTE_3 src1_sel:DWORD
	s_mov_b64 s[4:5], 0
                                        ; implicit-def: $sgpr10
	s_and_saveexec_b64 s[8:9], s[6:7]
	s_xor_b64 s[6:7], exec, s[8:9]
	s_cbranch_execnz .LBB28_4093
; %bb.2045:
	s_or_saveexec_b64 s[6:7], s[6:7]
	v_mov_b32_e32 v1, s10
	s_xor_b64 exec, exec, s[6:7]
	s_cbranch_execnz .LBB28_4096
.LBB28_2046:
	s_or_b64 exec, exec, s[6:7]
	s_and_saveexec_b64 s[6:7], s[4:5]
	s_cbranch_execz .LBB28_2048
.LBB28_2047:
	v_bfe_u32 v1, v3, 24, 3
	v_ffbh_u32_e32 v6, v1
	v_min_u32_e32 v6, 32, v6
	v_lshrrev_b32_e32 v4, 27, v3
	v_subrev_u32_e32 v7, 28, v6
	v_and_b32_e32 v2, 0x80000000, v3
	v_and_b32_e32 v4, 15, v4
	v_bfe_u32 v5, v3, 27, 4
	v_lshlrev_b32_sdwa v3, v7, v3 dst_sel:DWORD dst_unused:UNUSED_PAD src0_sel:DWORD src1_sel:BYTE_3
	v_sub_u32_e32 v6, 29, v6
	v_and_b32_e32 v3, 7, v3
	v_cmp_eq_u16_e32 vcc, 0, v4
	v_cndmask_b32_e32 v1, v1, v3, vcc
	v_cndmask_b32_e32 v3, v5, v6, vcc
	v_mov_b32_e32 v4, 0x3b800000
	v_lshlrev_b32_e32 v1, 20, v1
	v_lshl_add_u32 v3, v3, 23, v4
	v_or3_b32 v1, v2, v3, v1
.LBB28_2048:
	s_or_b64 exec, exec, s[6:7]
	s_nop 0
	v_mfma_f32_16x16x4f32 a[0:3], v0, v1, a[0:3]
	s_nop 7
	s_nop 2
	flat_store_dwordx4 v[16:17], a[0:3] offset:112
	s_waitcnt vmcnt(0) lgkmcnt(0)
	s_setpc_b64 s[30:31]
.LBB28_2049:
	s_movk_i32 s4, 0x80
	v_cmp_eq_u16_sdwa s[12:13], v14, s4 src0_sel:BYTE_0 src1_sel:DWORD
	s_mov_b64 s[4:5], -1
                                        ; implicit-def: $sgpr10
	s_and_saveexec_b64 s[8:9], s[12:13]
; %bb.2050:
	s_mov_b32 s10, 0x7f800001
	s_xor_b64 s[4:5], exec, -1
; %bb.2051:
	s_or_b64 exec, exec, s[8:9]
	s_and_b64 s[4:5], s[4:5], exec
	s_or_saveexec_b64 s[6:7], s[6:7]
	v_mov_b32_e32 v20, s10
	s_xor_b64 exec, exec, s[6:7]
	s_cbranch_execz .LBB28_2
.LBB28_2052:
	v_mov_b32_e32 v20, 0
	v_cmp_ne_u16_sdwa s[8:9], v14, v20 src0_sel:BYTE_0 src1_sel:DWORD
	s_andn2_b64 s[4:5], s[4:5], exec
	s_and_b64 s[8:9], s[8:9], exec
	s_or_b64 s[4:5], s[4:5], s[8:9]
	s_or_b64 exec, exec, s[6:7]
	s_and_saveexec_b64 s[6:7], s[4:5]
	s_cbranch_execnz .LBB28_3
	s_branch .LBB28_4
.LBB28_2053:
	s_movk_i32 s4, 0x80
	v_cmp_eq_u16_sdwa s[12:13], v10, s4 src0_sel:BYTE_0 src1_sel:DWORD
	s_mov_b64 s[4:5], -1
                                        ; implicit-def: $sgpr10
	s_and_saveexec_b64 s[8:9], s[12:13]
; %bb.2054:
	s_mov_b32 s10, 0x7f800001
	s_xor_b64 s[4:5], exec, -1
; %bb.2055:
	s_or_b64 exec, exec, s[8:9]
	s_and_b64 s[4:5], s[4:5], exec
	s_or_saveexec_b64 s[6:7], s[6:7]
	v_mov_b32_e32 v21, s10
	s_xor_b64 exec, exec, s[6:7]
	s_cbranch_execz .LBB28_6
.LBB28_2056:
	v_mov_b32_e32 v21, 0
	v_cmp_ne_u16_sdwa s[8:9], v10, v21 src0_sel:BYTE_0 src1_sel:DWORD
	s_andn2_b64 s[4:5], s[4:5], exec
	s_and_b64 s[8:9], s[8:9], exec
	s_or_b64 s[4:5], s[4:5], s[8:9]
	s_or_b64 exec, exec, s[6:7]
	s_and_saveexec_b64 s[6:7], s[4:5]
	s_cbranch_execnz .LBB28_7
	s_branch .LBB28_8
.LBB28_2057:
	s_movk_i32 s4, 0x80
	v_cmp_eq_u16_sdwa s[12:13], v21, s4 src0_sel:BYTE_0 src1_sel:DWORD
	s_mov_b64 s[4:5], -1
                                        ; implicit-def: $sgpr10
	s_and_saveexec_b64 s[8:9], s[12:13]
; %bb.2058:
	s_mov_b32 s10, 0x7f800001
	s_xor_b64 s[4:5], exec, -1
; %bb.2059:
	s_or_b64 exec, exec, s[8:9]
	s_and_b64 s[4:5], s[4:5], exec
	s_or_saveexec_b64 s[6:7], s[6:7]
	v_mov_b32_e32 v20, s10
	s_xor_b64 exec, exec, s[6:7]
	s_cbranch_execz .LBB28_10
.LBB28_2060:
	v_mov_b32_e32 v20, 0
	v_cmp_ne_u16_sdwa s[8:9], v21, v20 src0_sel:BYTE_0 src1_sel:DWORD
	s_andn2_b64 s[4:5], s[4:5], exec
	s_and_b64 s[8:9], s[8:9], exec
	s_or_b64 s[4:5], s[4:5], s[8:9]
	s_or_b64 exec, exec, s[6:7]
	s_and_saveexec_b64 s[6:7], s[4:5]
	s_cbranch_execnz .LBB28_11
	s_branch .LBB28_12
.LBB28_2061:
	s_movk_i32 s4, 0x80
	v_cmp_eq_u16_sdwa s[12:13], v21, s4 src0_sel:BYTE_0 src1_sel:DWORD
	s_mov_b64 s[4:5], -1
                                        ; implicit-def: $sgpr10
	s_and_saveexec_b64 s[8:9], s[12:13]
; %bb.2062:
	s_mov_b32 s10, 0x7f800001
	s_xor_b64 s[4:5], exec, -1
; %bb.2063:
	s_or_b64 exec, exec, s[8:9]
	s_and_b64 s[4:5], s[4:5], exec
	s_or_saveexec_b64 s[6:7], s[6:7]
	v_mov_b32_e32 v22, s10
	s_xor_b64 exec, exec, s[6:7]
	s_cbranch_execz .LBB28_14
.LBB28_2064:
	v_mov_b32_e32 v22, 0
	v_cmp_ne_u16_sdwa s[8:9], v21, v22 src0_sel:BYTE_0 src1_sel:DWORD
	s_andn2_b64 s[4:5], s[4:5], exec
	s_and_b64 s[8:9], s[8:9], exec
	s_or_b64 s[4:5], s[4:5], s[8:9]
	s_or_b64 exec, exec, s[6:7]
	s_and_saveexec_b64 s[6:7], s[4:5]
	s_cbranch_execnz .LBB28_15
	s_branch .LBB28_16
.LBB28_2065:
	s_movk_i32 s4, 0x80
	v_cmp_eq_u16_e32 vcc, s4, v21
	s_mov_b64 s[4:5], -1
                                        ; implicit-def: $sgpr10
	s_and_saveexec_b64 s[8:9], vcc
; %bb.2066:
	s_mov_b32 s10, 0x7f800001
	s_xor_b64 s[4:5], exec, -1
; %bb.2067:
	s_or_b64 exec, exec, s[8:9]
	s_and_b64 s[4:5], s[4:5], exec
                                        ; implicit-def: $vgpr21
	s_or_saveexec_b64 s[6:7], s[6:7]
	v_mov_b32_e32 v20, s10
	s_xor_b64 exec, exec, s[6:7]
	s_cbranch_execz .LBB28_18
.LBB28_2068:
	v_cmp_ne_u16_e32 vcc, 0, v21
	s_andn2_b64 s[4:5], s[4:5], exec
	s_and_b64 s[8:9], vcc, exec
	v_mov_b32_e32 v20, 0
	s_or_b64 s[4:5], s[4:5], s[8:9]
	s_or_b64 exec, exec, s[6:7]
	s_and_saveexec_b64 s[6:7], s[4:5]
	s_cbranch_execnz .LBB28_19
	s_branch .LBB28_20
.LBB28_2069:
	s_movk_i32 s4, 0x80
	v_cmp_eq_u16_e32 vcc, s4, v21
	s_mov_b64 s[4:5], -1
                                        ; implicit-def: $sgpr10
	s_and_saveexec_b64 s[8:9], vcc
; %bb.2070:
	s_mov_b32 s10, 0x7f800001
	s_xor_b64 s[4:5], exec, -1
; %bb.2071:
	s_or_b64 exec, exec, s[8:9]
	s_and_b64 s[4:5], s[4:5], exec
                                        ; implicit-def: $vgpr21
	s_or_saveexec_b64 s[6:7], s[6:7]
	v_mov_b32_e32 v22, s10
	s_xor_b64 exec, exec, s[6:7]
	s_cbranch_execz .LBB28_22
.LBB28_2072:
	v_cmp_ne_u16_e32 vcc, 0, v21
	s_andn2_b64 s[4:5], s[4:5], exec
	s_and_b64 s[8:9], vcc, exec
	v_mov_b32_e32 v22, 0
	s_or_b64 s[4:5], s[4:5], s[8:9]
	s_or_b64 exec, exec, s[6:7]
	s_and_saveexec_b64 s[6:7], s[4:5]
	s_cbranch_execnz .LBB28_23
	s_branch .LBB28_24
.LBB28_2073:
	s_movk_i32 s4, 0x80
	v_cmp_eq_u16_sdwa s[12:13], v14, s4 src0_sel:BYTE_3 src1_sel:DWORD
	s_mov_b64 s[4:5], -1
                                        ; implicit-def: $sgpr10
	s_and_saveexec_b64 s[8:9], s[12:13]
; %bb.2074:
	s_mov_b32 s10, 0x7f800001
	s_xor_b64 s[4:5], exec, -1
; %bb.2075:
	s_or_b64 exec, exec, s[8:9]
	s_and_b64 s[4:5], s[4:5], exec
	s_or_saveexec_b64 s[6:7], s[6:7]
	v_mov_b32_e32 v20, s10
	s_xor_b64 exec, exec, s[6:7]
	s_cbranch_execz .LBB28_26
.LBB28_2076:
	v_mov_b32_e32 v20, 0
	v_cmp_ne_u16_sdwa s[8:9], v14, v20 src0_sel:BYTE_3 src1_sel:DWORD
	s_andn2_b64 s[4:5], s[4:5], exec
	s_and_b64 s[8:9], s[8:9], exec
	s_or_b64 s[4:5], s[4:5], s[8:9]
	s_or_b64 exec, exec, s[6:7]
	s_and_saveexec_b64 s[6:7], s[4:5]
	s_cbranch_execnz .LBB28_27
	s_branch .LBB28_28
.LBB28_2077:
	s_movk_i32 s4, 0x80
	v_cmp_eq_u16_sdwa s[12:13], v10, s4 src0_sel:BYTE_3 src1_sel:DWORD
	s_mov_b64 s[4:5], -1
                                        ; implicit-def: $sgpr10
	s_and_saveexec_b64 s[8:9], s[12:13]
; %bb.2078:
	s_mov_b32 s10, 0x7f800001
	s_xor_b64 s[4:5], exec, -1
; %bb.2079:
	s_or_b64 exec, exec, s[8:9]
	s_and_b64 s[4:5], s[4:5], exec
	s_or_saveexec_b64 s[6:7], s[6:7]
	v_mov_b32_e32 v14, s10
	s_xor_b64 exec, exec, s[6:7]
	s_cbranch_execz .LBB28_30
.LBB28_2080:
	v_mov_b32_e32 v14, 0
	v_cmp_ne_u16_sdwa s[8:9], v10, v14 src0_sel:BYTE_3 src1_sel:DWORD
	s_andn2_b64 s[4:5], s[4:5], exec
	s_and_b64 s[8:9], s[8:9], exec
	s_or_b64 s[4:5], s[4:5], s[8:9]
	s_or_b64 exec, exec, s[6:7]
	s_and_saveexec_b64 s[6:7], s[4:5]
	s_cbranch_execnz .LBB28_31
	s_branch .LBB28_32
.LBB28_2081:
	s_movk_i32 s4, 0x80
	v_cmp_eq_u16_sdwa s[12:13], v15, s4 src0_sel:BYTE_0 src1_sel:DWORD
	s_mov_b64 s[4:5], -1
                                        ; implicit-def: $sgpr10
	s_and_saveexec_b64 s[8:9], s[12:13]
; %bb.2082:
	s_mov_b32 s10, 0x7f800001
	s_xor_b64 s[4:5], exec, -1
; %bb.2083:
	s_or_b64 exec, exec, s[8:9]
	s_and_b64 s[4:5], s[4:5], exec
	s_or_saveexec_b64 s[6:7], s[6:7]
	v_mov_b32_e32 v10, s10
	s_xor_b64 exec, exec, s[6:7]
	s_cbranch_execz .LBB28_34
.LBB28_2084:
	v_mov_b32_e32 v10, 0
	v_cmp_ne_u16_sdwa s[8:9], v15, v10 src0_sel:BYTE_0 src1_sel:DWORD
	s_andn2_b64 s[4:5], s[4:5], exec
	s_and_b64 s[8:9], s[8:9], exec
	s_or_b64 s[4:5], s[4:5], s[8:9]
	s_or_b64 exec, exec, s[6:7]
	s_and_saveexec_b64 s[6:7], s[4:5]
	s_cbranch_execnz .LBB28_35
	s_branch .LBB28_36
.LBB28_2085:
	s_movk_i32 s4, 0x80
	v_cmp_eq_u16_sdwa s[12:13], v11, s4 src0_sel:BYTE_0 src1_sel:DWORD
	s_mov_b64 s[4:5], -1
                                        ; implicit-def: $sgpr10
	s_and_saveexec_b64 s[8:9], s[12:13]
; %bb.2086:
	s_mov_b32 s10, 0x7f800001
	s_xor_b64 s[4:5], exec, -1
; %bb.2087:
	s_or_b64 exec, exec, s[8:9]
	s_and_b64 s[4:5], s[4:5], exec
	s_or_saveexec_b64 s[6:7], s[6:7]
	v_mov_b32_e32 v14, s10
	s_xor_b64 exec, exec, s[6:7]
	s_cbranch_execz .LBB28_38
.LBB28_2088:
	v_mov_b32_e32 v14, 0
	v_cmp_ne_u16_sdwa s[8:9], v11, v14 src0_sel:BYTE_0 src1_sel:DWORD
	s_andn2_b64 s[4:5], s[4:5], exec
	s_and_b64 s[8:9], s[8:9], exec
	s_or_b64 s[4:5], s[4:5], s[8:9]
	s_or_b64 exec, exec, s[6:7]
	s_and_saveexec_b64 s[6:7], s[4:5]
	s_cbranch_execnz .LBB28_39
	s_branch .LBB28_40
.LBB28_2089:
	s_movk_i32 s4, 0x80
	v_cmp_eq_u16_sdwa s[12:13], v14, s4 src0_sel:BYTE_0 src1_sel:DWORD
	s_mov_b64 s[4:5], -1
                                        ; implicit-def: $sgpr10
	s_and_saveexec_b64 s[8:9], s[12:13]
; %bb.2090:
	s_mov_b32 s10, 0x7f800001
	s_xor_b64 s[4:5], exec, -1
; %bb.2091:
	s_or_b64 exec, exec, s[8:9]
	s_and_b64 s[4:5], s[4:5], exec
	s_or_saveexec_b64 s[6:7], s[6:7]
	v_mov_b32_e32 v10, s10
	s_xor_b64 exec, exec, s[6:7]
	s_cbranch_execz .LBB28_42
.LBB28_2092:
	v_mov_b32_e32 v10, 0
	v_cmp_ne_u16_sdwa s[8:9], v14, v10 src0_sel:BYTE_0 src1_sel:DWORD
	s_andn2_b64 s[4:5], s[4:5], exec
	s_and_b64 s[8:9], s[8:9], exec
	s_or_b64 s[4:5], s[4:5], s[8:9]
	s_or_b64 exec, exec, s[6:7]
	s_and_saveexec_b64 s[6:7], s[4:5]
	s_cbranch_execnz .LBB28_43
	s_branch .LBB28_44
.LBB28_2093:
	s_movk_i32 s4, 0x80
	v_cmp_eq_u16_sdwa s[12:13], v14, s4 src0_sel:BYTE_0 src1_sel:DWORD
	s_mov_b64 s[4:5], -1
                                        ; implicit-def: $sgpr10
	s_and_saveexec_b64 s[8:9], s[12:13]
; %bb.2094:
	s_mov_b32 s10, 0x7f800001
	s_xor_b64 s[4:5], exec, -1
; %bb.2095:
	s_or_b64 exec, exec, s[8:9]
	s_and_b64 s[4:5], s[4:5], exec
	s_or_saveexec_b64 s[6:7], s[6:7]
	v_mov_b32_e32 v20, s10
	s_xor_b64 exec, exec, s[6:7]
	s_cbranch_execz .LBB28_46
.LBB28_2096:
	v_mov_b32_e32 v20, 0
	v_cmp_ne_u16_sdwa s[8:9], v14, v20 src0_sel:BYTE_0 src1_sel:DWORD
	s_andn2_b64 s[4:5], s[4:5], exec
	s_and_b64 s[8:9], s[8:9], exec
	s_or_b64 s[4:5], s[4:5], s[8:9]
	s_or_b64 exec, exec, s[6:7]
	s_and_saveexec_b64 s[6:7], s[4:5]
	s_cbranch_execnz .LBB28_47
	s_branch .LBB28_48
.LBB28_2097:
	s_movk_i32 s4, 0x80
	v_cmp_eq_u16_e32 vcc, s4, v14
	s_mov_b64 s[4:5], -1
                                        ; implicit-def: $sgpr10
	s_and_saveexec_b64 s[8:9], vcc
; %bb.2098:
	s_mov_b32 s10, 0x7f800001
	s_xor_b64 s[4:5], exec, -1
; %bb.2099:
	s_or_b64 exec, exec, s[8:9]
	s_and_b64 s[4:5], s[4:5], exec
                                        ; implicit-def: $vgpr14
	s_or_saveexec_b64 s[6:7], s[6:7]
	v_mov_b32_e32 v10, s10
	s_xor_b64 exec, exec, s[6:7]
	s_cbranch_execz .LBB28_50
.LBB28_2100:
	v_cmp_ne_u16_e32 vcc, 0, v14
	s_andn2_b64 s[4:5], s[4:5], exec
	s_and_b64 s[8:9], vcc, exec
	v_mov_b32_e32 v10, 0
	s_or_b64 s[4:5], s[4:5], s[8:9]
	s_or_b64 exec, exec, s[6:7]
	s_and_saveexec_b64 s[6:7], s[4:5]
	s_cbranch_execnz .LBB28_51
	s_branch .LBB28_52
.LBB28_2101:
	s_movk_i32 s4, 0x80
	v_cmp_eq_u16_e32 vcc, s4, v14
	s_mov_b64 s[4:5], -1
                                        ; implicit-def: $sgpr10
	s_and_saveexec_b64 s[8:9], vcc
; %bb.2102:
	s_mov_b32 s10, 0x7f800001
	s_xor_b64 s[4:5], exec, -1
; %bb.2103:
	s_or_b64 exec, exec, s[8:9]
	s_and_b64 s[4:5], s[4:5], exec
                                        ; implicit-def: $vgpr14
	s_or_saveexec_b64 s[6:7], s[6:7]
	v_mov_b32_e32 v20, s10
	s_xor_b64 exec, exec, s[6:7]
	s_cbranch_execz .LBB28_54
.LBB28_2104:
	v_cmp_ne_u16_e32 vcc, 0, v14
	s_andn2_b64 s[4:5], s[4:5], exec
	s_and_b64 s[8:9], vcc, exec
	v_mov_b32_e32 v20, 0
	s_or_b64 s[4:5], s[4:5], s[8:9]
	s_or_b64 exec, exec, s[6:7]
	s_and_saveexec_b64 s[6:7], s[4:5]
	s_cbranch_execnz .LBB28_55
	s_branch .LBB28_56
.LBB28_2105:
	s_movk_i32 s4, 0x80
	v_cmp_eq_u16_sdwa s[12:13], v15, s4 src0_sel:BYTE_3 src1_sel:DWORD
	s_mov_b64 s[4:5], -1
                                        ; implicit-def: $sgpr10
	s_and_saveexec_b64 s[8:9], s[12:13]
; %bb.2106:
	s_mov_b32 s10, 0x7f800001
	s_xor_b64 s[4:5], exec, -1
; %bb.2107:
	s_or_b64 exec, exec, s[8:9]
	s_and_b64 s[4:5], s[4:5], exec
	s_or_saveexec_b64 s[6:7], s[6:7]
	v_mov_b32_e32 v10, s10
	s_xor_b64 exec, exec, s[6:7]
	s_cbranch_execz .LBB28_58
.LBB28_2108:
	v_mov_b32_e32 v10, 0
	v_cmp_ne_u16_sdwa s[8:9], v15, v10 src0_sel:BYTE_3 src1_sel:DWORD
	s_andn2_b64 s[4:5], s[4:5], exec
	s_and_b64 s[8:9], s[8:9], exec
	s_or_b64 s[4:5], s[4:5], s[8:9]
	s_or_b64 exec, exec, s[6:7]
	s_and_saveexec_b64 s[6:7], s[4:5]
	s_cbranch_execnz .LBB28_59
	s_branch .LBB28_60
.LBB28_2109:
	s_movk_i32 s4, 0x80
	v_cmp_eq_u16_sdwa s[12:13], v11, s4 src0_sel:BYTE_3 src1_sel:DWORD
	s_mov_b64 s[4:5], -1
                                        ; implicit-def: $sgpr10
	s_and_saveexec_b64 s[8:9], s[12:13]
; %bb.2110:
	s_mov_b32 s10, 0x7f800001
	s_xor_b64 s[4:5], exec, -1
; %bb.2111:
	s_or_b64 exec, exec, s[8:9]
	s_and_b64 s[4:5], s[4:5], exec
	s_or_saveexec_b64 s[6:7], s[6:7]
	v_mov_b32_e32 v14, s10
	s_xor_b64 exec, exec, s[6:7]
	s_cbranch_execz .LBB28_62
.LBB28_2112:
	v_mov_b32_e32 v14, 0
	v_cmp_ne_u16_sdwa s[8:9], v11, v14 src0_sel:BYTE_3 src1_sel:DWORD
	s_andn2_b64 s[4:5], s[4:5], exec
	s_and_b64 s[8:9], s[8:9], exec
	s_or_b64 s[4:5], s[4:5], s[8:9]
	s_or_b64 exec, exec, s[6:7]
	s_and_saveexec_b64 s[6:7], s[4:5]
	s_cbranch_execnz .LBB28_63
	s_branch .LBB28_64
.LBB28_2113:
	s_movk_i32 s4, 0x80
	v_cmp_eq_u16_sdwa s[12:13], v16, s4 src0_sel:BYTE_0 src1_sel:DWORD
	s_mov_b64 s[4:5], -1
                                        ; implicit-def: $sgpr10
	s_and_saveexec_b64 s[8:9], s[12:13]
; %bb.2114:
	s_mov_b32 s10, 0x7f800001
	s_xor_b64 s[4:5], exec, -1
; %bb.2115:
	s_or_b64 exec, exec, s[8:9]
	s_and_b64 s[4:5], s[4:5], exec
	s_or_saveexec_b64 s[6:7], s[6:7]
	v_mov_b32_e32 v10, s10
	s_xor_b64 exec, exec, s[6:7]
	s_cbranch_execz .LBB28_66
.LBB28_2116:
	v_mov_b32_e32 v10, 0
	v_cmp_ne_u16_sdwa s[8:9], v16, v10 src0_sel:BYTE_0 src1_sel:DWORD
	s_andn2_b64 s[4:5], s[4:5], exec
	s_and_b64 s[8:9], s[8:9], exec
	s_or_b64 s[4:5], s[4:5], s[8:9]
	s_or_b64 exec, exec, s[6:7]
	s_and_saveexec_b64 s[6:7], s[4:5]
	s_cbranch_execnz .LBB28_67
	s_branch .LBB28_68
.LBB28_2117:
	s_movk_i32 s4, 0x80
	v_cmp_eq_u16_sdwa s[12:13], v12, s4 src0_sel:BYTE_0 src1_sel:DWORD
	s_mov_b64 s[4:5], -1
                                        ; implicit-def: $sgpr10
	s_and_saveexec_b64 s[8:9], s[12:13]
; %bb.2118:
	s_mov_b32 s10, 0x7f800001
	s_xor_b64 s[4:5], exec, -1
; %bb.2119:
	s_or_b64 exec, exec, s[8:9]
	s_and_b64 s[4:5], s[4:5], exec
	s_or_saveexec_b64 s[6:7], s[6:7]
	v_mov_b32_e32 v11, s10
	s_xor_b64 exec, exec, s[6:7]
	s_cbranch_execz .LBB28_70
.LBB28_2120:
	v_mov_b32_e32 v11, 0
	v_cmp_ne_u16_sdwa s[8:9], v12, v11 src0_sel:BYTE_0 src1_sel:DWORD
	s_andn2_b64 s[4:5], s[4:5], exec
	s_and_b64 s[8:9], s[8:9], exec
	s_or_b64 s[4:5], s[4:5], s[8:9]
	s_or_b64 exec, exec, s[6:7]
	s_and_saveexec_b64 s[6:7], s[4:5]
	s_cbranch_execnz .LBB28_71
	s_branch .LBB28_72
.LBB28_2121:
	s_movk_i32 s4, 0x80
	v_cmp_eq_u16_sdwa s[12:13], v11, s4 src0_sel:BYTE_0 src1_sel:DWORD
	s_mov_b64 s[4:5], -1
                                        ; implicit-def: $sgpr10
	s_and_saveexec_b64 s[8:9], s[12:13]
; %bb.2122:
	s_mov_b32 s10, 0x7f800001
	s_xor_b64 s[4:5], exec, -1
; %bb.2123:
	s_or_b64 exec, exec, s[8:9]
	s_and_b64 s[4:5], s[4:5], exec
	s_or_saveexec_b64 s[6:7], s[6:7]
	v_mov_b32_e32 v10, s10
	s_xor_b64 exec, exec, s[6:7]
	s_cbranch_execz .LBB28_74
.LBB28_2124:
	v_mov_b32_e32 v10, 0
	v_cmp_ne_u16_sdwa s[8:9], v11, v10 src0_sel:BYTE_0 src1_sel:DWORD
	s_andn2_b64 s[4:5], s[4:5], exec
	s_and_b64 s[8:9], s[8:9], exec
	s_or_b64 s[4:5], s[4:5], s[8:9]
	s_or_b64 exec, exec, s[6:7]
	s_and_saveexec_b64 s[6:7], s[4:5]
	s_cbranch_execnz .LBB28_75
	s_branch .LBB28_76
.LBB28_2125:
	s_movk_i32 s4, 0x80
	v_cmp_eq_u16_sdwa s[12:13], v11, s4 src0_sel:BYTE_0 src1_sel:DWORD
	s_mov_b64 s[4:5], -1
                                        ; implicit-def: $sgpr10
	s_and_saveexec_b64 s[8:9], s[12:13]
; %bb.2126:
	s_mov_b32 s10, 0x7f800001
	s_xor_b64 s[4:5], exec, -1
; %bb.2127:
	s_or_b64 exec, exec, s[8:9]
	s_and_b64 s[4:5], s[4:5], exec
	s_or_saveexec_b64 s[6:7], s[6:7]
	v_mov_b32_e32 v14, s10
	s_xor_b64 exec, exec, s[6:7]
	s_cbranch_execz .LBB28_78
.LBB28_2128:
	v_mov_b32_e32 v14, 0
	v_cmp_ne_u16_sdwa s[8:9], v11, v14 src0_sel:BYTE_0 src1_sel:DWORD
	s_andn2_b64 s[4:5], s[4:5], exec
	s_and_b64 s[8:9], s[8:9], exec
	s_or_b64 s[4:5], s[4:5], s[8:9]
	s_or_b64 exec, exec, s[6:7]
	s_and_saveexec_b64 s[6:7], s[4:5]
	s_cbranch_execnz .LBB28_79
	s_branch .LBB28_80
.LBB28_2129:
	s_movk_i32 s4, 0x80
	v_cmp_eq_u16_e32 vcc, s4, v11
	s_mov_b64 s[4:5], -1
                                        ; implicit-def: $sgpr10
	s_and_saveexec_b64 s[8:9], vcc
; %bb.2130:
	s_mov_b32 s10, 0x7f800001
	s_xor_b64 s[4:5], exec, -1
; %bb.2131:
	s_or_b64 exec, exec, s[8:9]
	s_and_b64 s[4:5], s[4:5], exec
                                        ; implicit-def: $vgpr11
	s_or_saveexec_b64 s[6:7], s[6:7]
	v_mov_b32_e32 v10, s10
	s_xor_b64 exec, exec, s[6:7]
	s_cbranch_execz .LBB28_82
.LBB28_2132:
	v_cmp_ne_u16_e32 vcc, 0, v11
	s_andn2_b64 s[4:5], s[4:5], exec
	s_and_b64 s[8:9], vcc, exec
	v_mov_b32_e32 v10, 0
	s_or_b64 s[4:5], s[4:5], s[8:9]
	s_or_b64 exec, exec, s[6:7]
	s_and_saveexec_b64 s[6:7], s[4:5]
	s_cbranch_execnz .LBB28_83
	s_branch .LBB28_84
.LBB28_2133:
	s_movk_i32 s4, 0x80
	v_cmp_eq_u16_e32 vcc, s4, v11
	s_mov_b64 s[4:5], -1
                                        ; implicit-def: $sgpr10
	s_and_saveexec_b64 s[8:9], vcc
; %bb.2134:
	s_mov_b32 s10, 0x7f800001
	s_xor_b64 s[4:5], exec, -1
; %bb.2135:
	s_or_b64 exec, exec, s[8:9]
	s_and_b64 s[4:5], s[4:5], exec
                                        ; implicit-def: $vgpr11
	s_or_saveexec_b64 s[6:7], s[6:7]
	v_mov_b32_e32 v14, s10
	s_xor_b64 exec, exec, s[6:7]
	s_cbranch_execz .LBB28_86
.LBB28_2136:
	v_cmp_ne_u16_e32 vcc, 0, v11
	s_andn2_b64 s[4:5], s[4:5], exec
	s_and_b64 s[8:9], vcc, exec
	v_mov_b32_e32 v14, 0
	s_or_b64 s[4:5], s[4:5], s[8:9]
	s_or_b64 exec, exec, s[6:7]
	s_and_saveexec_b64 s[6:7], s[4:5]
	s_cbranch_execnz .LBB28_87
	s_branch .LBB28_88
.LBB28_2137:
	s_movk_i32 s4, 0x80
	v_cmp_eq_u16_sdwa s[12:13], v16, s4 src0_sel:BYTE_3 src1_sel:DWORD
	s_mov_b64 s[4:5], -1
                                        ; implicit-def: $sgpr10
	s_and_saveexec_b64 s[8:9], s[12:13]
; %bb.2138:
	s_mov_b32 s10, 0x7f800001
	s_xor_b64 s[4:5], exec, -1
; %bb.2139:
	s_or_b64 exec, exec, s[8:9]
	s_and_b64 s[4:5], s[4:5], exec
	s_or_saveexec_b64 s[6:7], s[6:7]
	v_mov_b32_e32 v10, s10
	s_xor_b64 exec, exec, s[6:7]
	s_cbranch_execz .LBB28_90
.LBB28_2140:
	v_mov_b32_e32 v10, 0
	v_cmp_ne_u16_sdwa s[8:9], v16, v10 src0_sel:BYTE_3 src1_sel:DWORD
	s_andn2_b64 s[4:5], s[4:5], exec
	s_and_b64 s[8:9], s[8:9], exec
	s_or_b64 s[4:5], s[4:5], s[8:9]
	s_or_b64 exec, exec, s[6:7]
	s_and_saveexec_b64 s[6:7], s[4:5]
	s_cbranch_execnz .LBB28_91
	s_branch .LBB28_92
.LBB28_2141:
	s_movk_i32 s4, 0x80
	v_cmp_eq_u16_sdwa s[12:13], v12, s4 src0_sel:BYTE_3 src1_sel:DWORD
	s_mov_b64 s[4:5], -1
                                        ; implicit-def: $sgpr10
	s_and_saveexec_b64 s[8:9], s[12:13]
; %bb.2142:
	s_mov_b32 s10, 0x7f800001
	s_xor_b64 s[4:5], exec, -1
; %bb.2143:
	s_or_b64 exec, exec, s[8:9]
	s_and_b64 s[4:5], s[4:5], exec
	s_or_saveexec_b64 s[6:7], s[6:7]
	v_mov_b32_e32 v11, s10
	s_xor_b64 exec, exec, s[6:7]
	s_cbranch_execz .LBB28_94
.LBB28_2144:
	v_mov_b32_e32 v11, 0
	v_cmp_ne_u16_sdwa s[8:9], v12, v11 src0_sel:BYTE_3 src1_sel:DWORD
	s_andn2_b64 s[4:5], s[4:5], exec
	s_and_b64 s[8:9], s[8:9], exec
	s_or_b64 s[4:5], s[4:5], s[8:9]
	s_or_b64 exec, exec, s[6:7]
	s_and_saveexec_b64 s[6:7], s[4:5]
	s_cbranch_execnz .LBB28_95
	s_branch .LBB28_96
.LBB28_2145:
	s_movk_i32 s4, 0x80
	v_cmp_eq_u16_sdwa s[12:13], v17, s4 src0_sel:BYTE_0 src1_sel:DWORD
	s_mov_b64 s[4:5], -1
                                        ; implicit-def: $sgpr10
	s_and_saveexec_b64 s[8:9], s[12:13]
; %bb.2146:
	s_mov_b32 s10, 0x7f800001
	s_xor_b64 s[4:5], exec, -1
; %bb.2147:
	s_or_b64 exec, exec, s[8:9]
	s_and_b64 s[4:5], s[4:5], exec
	s_or_saveexec_b64 s[6:7], s[6:7]
	v_mov_b32_e32 v10, s10
	s_xor_b64 exec, exec, s[6:7]
	s_cbranch_execz .LBB28_98
.LBB28_2148:
	v_mov_b32_e32 v10, 0
	v_cmp_ne_u16_sdwa s[8:9], v17, v10 src0_sel:BYTE_0 src1_sel:DWORD
	s_andn2_b64 s[4:5], s[4:5], exec
	s_and_b64 s[8:9], s[8:9], exec
	s_or_b64 s[4:5], s[4:5], s[8:9]
	s_or_b64 exec, exec, s[6:7]
	s_and_saveexec_b64 s[6:7], s[4:5]
	s_cbranch_execnz .LBB28_99
	s_branch .LBB28_100
.LBB28_2149:
	s_movk_i32 s4, 0x80
	v_cmp_eq_u16_sdwa s[12:13], v13, s4 src0_sel:BYTE_0 src1_sel:DWORD
	s_mov_b64 s[4:5], -1
                                        ; implicit-def: $sgpr10
	s_and_saveexec_b64 s[8:9], s[12:13]
; %bb.2150:
	s_mov_b32 s10, 0x7f800001
	s_xor_b64 s[4:5], exec, -1
; %bb.2151:
	s_or_b64 exec, exec, s[8:9]
	s_and_b64 s[4:5], s[4:5], exec
	s_or_saveexec_b64 s[6:7], s[6:7]
	v_mov_b32_e32 v11, s10
	s_xor_b64 exec, exec, s[6:7]
	s_cbranch_execz .LBB28_102
.LBB28_2152:
	v_mov_b32_e32 v11, 0
	v_cmp_ne_u16_sdwa s[8:9], v13, v11 src0_sel:BYTE_0 src1_sel:DWORD
	s_andn2_b64 s[4:5], s[4:5], exec
	s_and_b64 s[8:9], s[8:9], exec
	s_or_b64 s[4:5], s[4:5], s[8:9]
	s_or_b64 exec, exec, s[6:7]
	s_and_saveexec_b64 s[6:7], s[4:5]
	s_cbranch_execnz .LBB28_103
	s_branch .LBB28_104
.LBB28_2153:
	s_movk_i32 s4, 0x80
	v_cmp_eq_u16_sdwa s[12:13], v11, s4 src0_sel:BYTE_0 src1_sel:DWORD
	s_mov_b64 s[4:5], -1
                                        ; implicit-def: $sgpr10
	s_and_saveexec_b64 s[8:9], s[12:13]
; %bb.2154:
	s_mov_b32 s10, 0x7f800001
	s_xor_b64 s[4:5], exec, -1
; %bb.2155:
	s_or_b64 exec, exec, s[8:9]
	s_and_b64 s[4:5], s[4:5], exec
	s_or_saveexec_b64 s[6:7], s[6:7]
	v_mov_b32_e32 v10, s10
	s_xor_b64 exec, exec, s[6:7]
	s_cbranch_execz .LBB28_106
.LBB28_2156:
	v_mov_b32_e32 v10, 0
	v_cmp_ne_u16_sdwa s[8:9], v11, v10 src0_sel:BYTE_0 src1_sel:DWORD
	s_andn2_b64 s[4:5], s[4:5], exec
	s_and_b64 s[8:9], s[8:9], exec
	s_or_b64 s[4:5], s[4:5], s[8:9]
	s_or_b64 exec, exec, s[6:7]
	s_and_saveexec_b64 s[6:7], s[4:5]
	s_cbranch_execnz .LBB28_107
	s_branch .LBB28_108
.LBB28_2157:
	s_movk_i32 s4, 0x80
	v_cmp_eq_u16_sdwa s[12:13], v11, s4 src0_sel:BYTE_0 src1_sel:DWORD
	s_mov_b64 s[4:5], -1
                                        ; implicit-def: $sgpr10
	s_and_saveexec_b64 s[8:9], s[12:13]
; %bb.2158:
	s_mov_b32 s10, 0x7f800001
	s_xor_b64 s[4:5], exec, -1
; %bb.2159:
	s_or_b64 exec, exec, s[8:9]
	s_and_b64 s[4:5], s[4:5], exec
	s_or_saveexec_b64 s[6:7], s[6:7]
	v_mov_b32_e32 v12, s10
	s_xor_b64 exec, exec, s[6:7]
	s_cbranch_execz .LBB28_110
.LBB28_2160:
	v_mov_b32_e32 v12, 0
	v_cmp_ne_u16_sdwa s[8:9], v11, v12 src0_sel:BYTE_0 src1_sel:DWORD
	s_andn2_b64 s[4:5], s[4:5], exec
	s_and_b64 s[8:9], s[8:9], exec
	s_or_b64 s[4:5], s[4:5], s[8:9]
	s_or_b64 exec, exec, s[6:7]
	s_and_saveexec_b64 s[6:7], s[4:5]
	s_cbranch_execnz .LBB28_111
	s_branch .LBB28_112
.LBB28_2161:
	s_movk_i32 s4, 0x80
	v_cmp_eq_u16_e32 vcc, s4, v11
	s_mov_b64 s[4:5], -1
                                        ; implicit-def: $sgpr10
	s_and_saveexec_b64 s[8:9], vcc
; %bb.2162:
	s_mov_b32 s10, 0x7f800001
	s_xor_b64 s[4:5], exec, -1
; %bb.2163:
	s_or_b64 exec, exec, s[8:9]
	s_and_b64 s[4:5], s[4:5], exec
                                        ; implicit-def: $vgpr11
	s_or_saveexec_b64 s[6:7], s[6:7]
	v_mov_b32_e32 v10, s10
	s_xor_b64 exec, exec, s[6:7]
	s_cbranch_execz .LBB28_114
.LBB28_2164:
	v_cmp_ne_u16_e32 vcc, 0, v11
	s_andn2_b64 s[4:5], s[4:5], exec
	s_and_b64 s[8:9], vcc, exec
	v_mov_b32_e32 v10, 0
	s_or_b64 s[4:5], s[4:5], s[8:9]
	s_or_b64 exec, exec, s[6:7]
	s_and_saveexec_b64 s[6:7], s[4:5]
	s_cbranch_execnz .LBB28_115
	s_branch .LBB28_116
.LBB28_2165:
	s_movk_i32 s4, 0x80
	v_cmp_eq_u16_e32 vcc, s4, v11
	s_mov_b64 s[4:5], -1
                                        ; implicit-def: $sgpr10
	s_and_saveexec_b64 s[8:9], vcc
; %bb.2166:
	s_mov_b32 s10, 0x7f800001
	s_xor_b64 s[4:5], exec, -1
; %bb.2167:
	s_or_b64 exec, exec, s[8:9]
	s_and_b64 s[4:5], s[4:5], exec
                                        ; implicit-def: $vgpr11
	s_or_saveexec_b64 s[6:7], s[6:7]
	v_mov_b32_e32 v12, s10
	s_xor_b64 exec, exec, s[6:7]
	s_cbranch_execz .LBB28_118
.LBB28_2168:
	v_cmp_ne_u16_e32 vcc, 0, v11
	s_andn2_b64 s[4:5], s[4:5], exec
	s_and_b64 s[8:9], vcc, exec
	v_mov_b32_e32 v12, 0
	s_or_b64 s[4:5], s[4:5], s[8:9]
	s_or_b64 exec, exec, s[6:7]
	s_and_saveexec_b64 s[6:7], s[4:5]
	s_cbranch_execnz .LBB28_119
	s_branch .LBB28_120
.LBB28_2169:
	s_movk_i32 s4, 0x80
	v_cmp_eq_u16_sdwa s[12:13], v17, s4 src0_sel:BYTE_3 src1_sel:DWORD
	s_mov_b64 s[4:5], -1
                                        ; implicit-def: $sgpr10
	s_and_saveexec_b64 s[8:9], s[12:13]
; %bb.2170:
	s_mov_b32 s10, 0x7f800001
	s_xor_b64 s[4:5], exec, -1
; %bb.2171:
	s_or_b64 exec, exec, s[8:9]
	s_and_b64 s[4:5], s[4:5], exec
	s_or_saveexec_b64 s[6:7], s[6:7]
	v_mov_b32_e32 v10, s10
	s_xor_b64 exec, exec, s[6:7]
	s_cbranch_execz .LBB28_122
.LBB28_2172:
	v_mov_b32_e32 v10, 0
	v_cmp_ne_u16_sdwa s[8:9], v17, v10 src0_sel:BYTE_3 src1_sel:DWORD
	s_andn2_b64 s[4:5], s[4:5], exec
	s_and_b64 s[8:9], s[8:9], exec
	s_or_b64 s[4:5], s[4:5], s[8:9]
	s_or_b64 exec, exec, s[6:7]
	s_and_saveexec_b64 s[6:7], s[4:5]
	s_cbranch_execnz .LBB28_123
	s_branch .LBB28_124
.LBB28_2173:
	s_movk_i32 s4, 0x80
	v_cmp_eq_u16_sdwa s[12:13], v13, s4 src0_sel:BYTE_3 src1_sel:DWORD
	s_mov_b64 s[4:5], -1
                                        ; implicit-def: $sgpr10
	s_and_saveexec_b64 s[8:9], s[12:13]
; %bb.2174:
	s_mov_b32 s10, 0x7f800001
	s_xor_b64 s[4:5], exec, -1
; %bb.2175:
	s_or_b64 exec, exec, s[8:9]
	s_and_b64 s[4:5], s[4:5], exec
	s_or_saveexec_b64 s[6:7], s[6:7]
	v_mov_b32_e32 v11, s10
	s_xor_b64 exec, exec, s[6:7]
	s_cbranch_execz .LBB28_126
.LBB28_2176:
	v_mov_b32_e32 v11, 0
	v_cmp_ne_u16_sdwa s[8:9], v13, v11 src0_sel:BYTE_3 src1_sel:DWORD
	s_andn2_b64 s[4:5], s[4:5], exec
	s_and_b64 s[8:9], s[8:9], exec
	s_or_b64 s[4:5], s[4:5], s[8:9]
	s_or_b64 exec, exec, s[6:7]
	s_and_saveexec_b64 s[6:7], s[4:5]
	s_cbranch_execnz .LBB28_127
	s_branch .LBB28_128
.LBB28_2177:
	s_movk_i32 s4, 0x80
	v_cmp_eq_u16_sdwa s[12:13], v6, s4 src0_sel:BYTE_0 src1_sel:DWORD
	s_mov_b64 s[4:5], -1
                                        ; implicit-def: $sgpr10
	s_and_saveexec_b64 s[8:9], s[12:13]
; %bb.2178:
	s_mov_b32 s10, 0x7f800001
	s_xor_b64 s[4:5], exec, -1
; %bb.2179:
	s_or_b64 exec, exec, s[8:9]
	s_and_b64 s[4:5], s[4:5], exec
	s_or_saveexec_b64 s[6:7], s[6:7]
	v_mov_b32_e32 v10, s10
	s_xor_b64 exec, exec, s[6:7]
	s_cbranch_execz .LBB28_130
.LBB28_2180:
	v_mov_b32_e32 v10, 0
	v_cmp_ne_u16_sdwa s[8:9], v6, v10 src0_sel:BYTE_0 src1_sel:DWORD
	s_andn2_b64 s[4:5], s[4:5], exec
	s_and_b64 s[8:9], s[8:9], exec
	s_or_b64 s[4:5], s[4:5], s[8:9]
	s_or_b64 exec, exec, s[6:7]
	s_and_saveexec_b64 s[6:7], s[4:5]
	s_cbranch_execnz .LBB28_131
	s_branch .LBB28_132
.LBB28_2181:
	s_movk_i32 s4, 0x80
	v_cmp_eq_u16_sdwa s[12:13], v2, s4 src0_sel:BYTE_0 src1_sel:DWORD
	s_mov_b64 s[4:5], -1
                                        ; implicit-def: $sgpr10
	s_and_saveexec_b64 s[8:9], s[12:13]
; %bb.2182:
	s_mov_b32 s10, 0x7f800001
	s_xor_b64 s[4:5], exec, -1
; %bb.2183:
	s_or_b64 exec, exec, s[8:9]
	s_and_b64 s[4:5], s[4:5], exec
	s_or_saveexec_b64 s[6:7], s[6:7]
	v_mov_b32_e32 v11, s10
	s_xor_b64 exec, exec, s[6:7]
	s_cbranch_execz .LBB28_134
.LBB28_2184:
	v_mov_b32_e32 v11, 0
	v_cmp_ne_u16_sdwa s[8:9], v2, v11 src0_sel:BYTE_0 src1_sel:DWORD
	s_andn2_b64 s[4:5], s[4:5], exec
	s_and_b64 s[8:9], s[8:9], exec
	s_or_b64 s[4:5], s[4:5], s[8:9]
	s_or_b64 exec, exec, s[6:7]
	s_and_saveexec_b64 s[6:7], s[4:5]
	s_cbranch_execnz .LBB28_135
	s_branch .LBB28_136
.LBB28_2185:
	s_movk_i32 s4, 0x80
	v_cmp_eq_u16_sdwa s[12:13], v11, s4 src0_sel:BYTE_0 src1_sel:DWORD
	s_mov_b64 s[4:5], -1
                                        ; implicit-def: $sgpr10
	s_and_saveexec_b64 s[8:9], s[12:13]
; %bb.2186:
	s_mov_b32 s10, 0x7f800001
	s_xor_b64 s[4:5], exec, -1
; %bb.2187:
	s_or_b64 exec, exec, s[8:9]
	s_and_b64 s[4:5], s[4:5], exec
	s_or_saveexec_b64 s[6:7], s[6:7]
	v_mov_b32_e32 v10, s10
	s_xor_b64 exec, exec, s[6:7]
	s_cbranch_execz .LBB28_138
.LBB28_2188:
	v_mov_b32_e32 v10, 0
	v_cmp_ne_u16_sdwa s[8:9], v11, v10 src0_sel:BYTE_0 src1_sel:DWORD
	s_andn2_b64 s[4:5], s[4:5], exec
	s_and_b64 s[8:9], s[8:9], exec
	s_or_b64 s[4:5], s[4:5], s[8:9]
	s_or_b64 exec, exec, s[6:7]
	s_and_saveexec_b64 s[6:7], s[4:5]
	s_cbranch_execnz .LBB28_139
	s_branch .LBB28_140
.LBB28_2189:
	s_movk_i32 s4, 0x80
	v_cmp_eq_u16_sdwa s[12:13], v11, s4 src0_sel:BYTE_0 src1_sel:DWORD
	s_mov_b64 s[4:5], -1
                                        ; implicit-def: $sgpr10
	s_and_saveexec_b64 s[8:9], s[12:13]
; %bb.2190:
	s_mov_b32 s10, 0x7f800001
	s_xor_b64 s[4:5], exec, -1
; %bb.2191:
	s_or_b64 exec, exec, s[8:9]
	s_and_b64 s[4:5], s[4:5], exec
	s_or_saveexec_b64 s[6:7], s[6:7]
	v_mov_b32_e32 v12, s10
	s_xor_b64 exec, exec, s[6:7]
	s_cbranch_execz .LBB28_142
.LBB28_2192:
	v_mov_b32_e32 v12, 0
	v_cmp_ne_u16_sdwa s[8:9], v11, v12 src0_sel:BYTE_0 src1_sel:DWORD
	s_andn2_b64 s[4:5], s[4:5], exec
	s_and_b64 s[8:9], s[8:9], exec
	s_or_b64 s[4:5], s[4:5], s[8:9]
	s_or_b64 exec, exec, s[6:7]
	s_and_saveexec_b64 s[6:7], s[4:5]
	s_cbranch_execnz .LBB28_143
	s_branch .LBB28_144
.LBB28_2193:
	s_movk_i32 s4, 0x80
	v_cmp_eq_u16_e32 vcc, s4, v11
	s_mov_b64 s[4:5], -1
                                        ; implicit-def: $sgpr10
	s_and_saveexec_b64 s[8:9], vcc
; %bb.2194:
	s_mov_b32 s10, 0x7f800001
	s_xor_b64 s[4:5], exec, -1
; %bb.2195:
	s_or_b64 exec, exec, s[8:9]
	s_and_b64 s[4:5], s[4:5], exec
                                        ; implicit-def: $vgpr11
	s_or_saveexec_b64 s[6:7], s[6:7]
	v_mov_b32_e32 v10, s10
	s_xor_b64 exec, exec, s[6:7]
	s_cbranch_execz .LBB28_146
.LBB28_2196:
	v_cmp_ne_u16_e32 vcc, 0, v11
	s_andn2_b64 s[4:5], s[4:5], exec
	s_and_b64 s[8:9], vcc, exec
	v_mov_b32_e32 v10, 0
	s_or_b64 s[4:5], s[4:5], s[8:9]
	s_or_b64 exec, exec, s[6:7]
	s_and_saveexec_b64 s[6:7], s[4:5]
	s_cbranch_execnz .LBB28_147
	s_branch .LBB28_148
.LBB28_2197:
	s_movk_i32 s4, 0x80
	v_cmp_eq_u16_e32 vcc, s4, v11
	s_mov_b64 s[4:5], -1
                                        ; implicit-def: $sgpr10
	s_and_saveexec_b64 s[8:9], vcc
; %bb.2198:
	s_mov_b32 s10, 0x7f800001
	s_xor_b64 s[4:5], exec, -1
; %bb.2199:
	s_or_b64 exec, exec, s[8:9]
	s_and_b64 s[4:5], s[4:5], exec
                                        ; implicit-def: $vgpr11
	s_or_saveexec_b64 s[6:7], s[6:7]
	v_mov_b32_e32 v12, s10
	s_xor_b64 exec, exec, s[6:7]
	s_cbranch_execz .LBB28_150
.LBB28_2200:
	v_cmp_ne_u16_e32 vcc, 0, v11
	s_andn2_b64 s[4:5], s[4:5], exec
	s_and_b64 s[8:9], vcc, exec
	v_mov_b32_e32 v12, 0
	s_or_b64 s[4:5], s[4:5], s[8:9]
	s_or_b64 exec, exec, s[6:7]
	s_and_saveexec_b64 s[6:7], s[4:5]
	s_cbranch_execnz .LBB28_151
	s_branch .LBB28_152
.LBB28_2201:
	s_movk_i32 s4, 0x80
	v_cmp_eq_u16_sdwa s[12:13], v6, s4 src0_sel:BYTE_3 src1_sel:DWORD
	s_mov_b64 s[4:5], -1
                                        ; implicit-def: $sgpr10
	s_and_saveexec_b64 s[8:9], s[12:13]
; %bb.2202:
	s_mov_b32 s10, 0x7f800001
	s_xor_b64 s[4:5], exec, -1
; %bb.2203:
	s_or_b64 exec, exec, s[8:9]
	s_and_b64 s[4:5], s[4:5], exec
	s_or_saveexec_b64 s[6:7], s[6:7]
	v_mov_b32_e32 v10, s10
	s_xor_b64 exec, exec, s[6:7]
	s_cbranch_execz .LBB28_154
.LBB28_2204:
	v_mov_b32_e32 v10, 0
	v_cmp_ne_u16_sdwa s[8:9], v6, v10 src0_sel:BYTE_3 src1_sel:DWORD
	s_andn2_b64 s[4:5], s[4:5], exec
	s_and_b64 s[8:9], s[8:9], exec
	s_or_b64 s[4:5], s[4:5], s[8:9]
	s_or_b64 exec, exec, s[6:7]
	s_and_saveexec_b64 s[6:7], s[4:5]
	s_cbranch_execnz .LBB28_155
	s_branch .LBB28_156
.LBB28_2205:
	s_movk_i32 s4, 0x80
	v_cmp_eq_u16_sdwa s[12:13], v2, s4 src0_sel:BYTE_3 src1_sel:DWORD
	s_mov_b64 s[4:5], -1
                                        ; implicit-def: $sgpr10
	s_and_saveexec_b64 s[8:9], s[12:13]
; %bb.2206:
	s_mov_b32 s10, 0x7f800001
	s_xor_b64 s[4:5], exec, -1
; %bb.2207:
	s_or_b64 exec, exec, s[8:9]
	s_and_b64 s[4:5], s[4:5], exec
	s_or_saveexec_b64 s[6:7], s[6:7]
	v_mov_b32_e32 v6, s10
	s_xor_b64 exec, exec, s[6:7]
	s_cbranch_execz .LBB28_158
.LBB28_2208:
	v_mov_b32_e32 v6, 0
	v_cmp_ne_u16_sdwa s[8:9], v2, v6 src0_sel:BYTE_3 src1_sel:DWORD
	s_andn2_b64 s[4:5], s[4:5], exec
	s_and_b64 s[8:9], s[8:9], exec
	s_or_b64 s[4:5], s[4:5], s[8:9]
	s_or_b64 exec, exec, s[6:7]
	s_and_saveexec_b64 s[6:7], s[4:5]
	s_cbranch_execnz .LBB28_159
	s_branch .LBB28_160
.LBB28_2209:
	s_movk_i32 s4, 0x80
	v_cmp_eq_u16_sdwa s[12:13], v7, s4 src0_sel:BYTE_0 src1_sel:DWORD
	s_mov_b64 s[4:5], -1
                                        ; implicit-def: $sgpr10
	s_and_saveexec_b64 s[8:9], s[12:13]
; %bb.2210:
	s_mov_b32 s10, 0x7f800001
	s_xor_b64 s[4:5], exec, -1
; %bb.2211:
	s_or_b64 exec, exec, s[8:9]
	s_and_b64 s[4:5], s[4:5], exec
	s_or_saveexec_b64 s[6:7], s[6:7]
	v_mov_b32_e32 v2, s10
	s_xor_b64 exec, exec, s[6:7]
	s_cbranch_execz .LBB28_162
.LBB28_2212:
	v_mov_b32_e32 v2, 0
	v_cmp_ne_u16_sdwa s[8:9], v7, v2 src0_sel:BYTE_0 src1_sel:DWORD
	s_andn2_b64 s[4:5], s[4:5], exec
	s_and_b64 s[8:9], s[8:9], exec
	s_or_b64 s[4:5], s[4:5], s[8:9]
	s_or_b64 exec, exec, s[6:7]
	s_and_saveexec_b64 s[6:7], s[4:5]
	s_cbranch_execnz .LBB28_163
	s_branch .LBB28_164
.LBB28_2213:
	s_movk_i32 s4, 0x80
	v_cmp_eq_u16_sdwa s[12:13], v3, s4 src0_sel:BYTE_0 src1_sel:DWORD
	s_mov_b64 s[4:5], -1
                                        ; implicit-def: $sgpr10
	s_and_saveexec_b64 s[8:9], s[12:13]
; %bb.2214:
	s_mov_b32 s10, 0x7f800001
	s_xor_b64 s[4:5], exec, -1
; %bb.2215:
	s_or_b64 exec, exec, s[8:9]
	s_and_b64 s[4:5], s[4:5], exec
	s_or_saveexec_b64 s[6:7], s[6:7]
	v_mov_b32_e32 v6, s10
	s_xor_b64 exec, exec, s[6:7]
	s_cbranch_execz .LBB28_166
.LBB28_2216:
	v_mov_b32_e32 v6, 0
	v_cmp_ne_u16_sdwa s[8:9], v3, v6 src0_sel:BYTE_0 src1_sel:DWORD
	s_andn2_b64 s[4:5], s[4:5], exec
	s_and_b64 s[8:9], s[8:9], exec
	s_or_b64 s[4:5], s[4:5], s[8:9]
	s_or_b64 exec, exec, s[6:7]
	s_and_saveexec_b64 s[6:7], s[4:5]
	s_cbranch_execnz .LBB28_167
	s_branch .LBB28_168
.LBB28_2217:
	s_movk_i32 s4, 0x80
	v_cmp_eq_u16_sdwa s[12:13], v6, s4 src0_sel:BYTE_0 src1_sel:DWORD
	s_mov_b64 s[4:5], -1
                                        ; implicit-def: $sgpr10
	s_and_saveexec_b64 s[8:9], s[12:13]
; %bb.2218:
	s_mov_b32 s10, 0x7f800001
	s_xor_b64 s[4:5], exec, -1
; %bb.2219:
	s_or_b64 exec, exec, s[8:9]
	s_and_b64 s[4:5], s[4:5], exec
	s_or_saveexec_b64 s[6:7], s[6:7]
	v_mov_b32_e32 v2, s10
	s_xor_b64 exec, exec, s[6:7]
	s_cbranch_execz .LBB28_170
.LBB28_2220:
	v_mov_b32_e32 v2, 0
	v_cmp_ne_u16_sdwa s[8:9], v6, v2 src0_sel:BYTE_0 src1_sel:DWORD
	s_andn2_b64 s[4:5], s[4:5], exec
	s_and_b64 s[8:9], s[8:9], exec
	s_or_b64 s[4:5], s[4:5], s[8:9]
	s_or_b64 exec, exec, s[6:7]
	s_and_saveexec_b64 s[6:7], s[4:5]
	s_cbranch_execnz .LBB28_171
	s_branch .LBB28_172
.LBB28_2221:
	s_movk_i32 s4, 0x80
	v_cmp_eq_u16_sdwa s[12:13], v6, s4 src0_sel:BYTE_0 src1_sel:DWORD
	s_mov_b64 s[4:5], -1
                                        ; implicit-def: $sgpr10
	s_and_saveexec_b64 s[8:9], s[12:13]
; %bb.2222:
	s_mov_b32 s10, 0x7f800001
	s_xor_b64 s[4:5], exec, -1
; %bb.2223:
	s_or_b64 exec, exec, s[8:9]
	s_and_b64 s[4:5], s[4:5], exec
	s_or_saveexec_b64 s[6:7], s[6:7]
	v_mov_b32_e32 v10, s10
	s_xor_b64 exec, exec, s[6:7]
	s_cbranch_execz .LBB28_174
.LBB28_2224:
	v_mov_b32_e32 v10, 0
	v_cmp_ne_u16_sdwa s[8:9], v6, v10 src0_sel:BYTE_0 src1_sel:DWORD
	s_andn2_b64 s[4:5], s[4:5], exec
	s_and_b64 s[8:9], s[8:9], exec
	s_or_b64 s[4:5], s[4:5], s[8:9]
	s_or_b64 exec, exec, s[6:7]
	s_and_saveexec_b64 s[6:7], s[4:5]
	s_cbranch_execnz .LBB28_175
	s_branch .LBB28_176
.LBB28_2225:
	s_movk_i32 s4, 0x80
	v_cmp_eq_u16_e32 vcc, s4, v6
	s_mov_b64 s[4:5], -1
                                        ; implicit-def: $sgpr10
	s_and_saveexec_b64 s[8:9], vcc
; %bb.2226:
	s_mov_b32 s10, 0x7f800001
	s_xor_b64 s[4:5], exec, -1
; %bb.2227:
	s_or_b64 exec, exec, s[8:9]
	s_and_b64 s[4:5], s[4:5], exec
                                        ; implicit-def: $vgpr6
	s_or_saveexec_b64 s[6:7], s[6:7]
	v_mov_b32_e32 v2, s10
	s_xor_b64 exec, exec, s[6:7]
	s_cbranch_execz .LBB28_178
.LBB28_2228:
	v_cmp_ne_u16_e32 vcc, 0, v6
	s_andn2_b64 s[4:5], s[4:5], exec
	s_and_b64 s[8:9], vcc, exec
	v_mov_b32_e32 v2, 0
	s_or_b64 s[4:5], s[4:5], s[8:9]
	s_or_b64 exec, exec, s[6:7]
	s_and_saveexec_b64 s[6:7], s[4:5]
	s_cbranch_execnz .LBB28_179
	s_branch .LBB28_180
.LBB28_2229:
	s_movk_i32 s4, 0x80
	v_cmp_eq_u16_e32 vcc, s4, v6
	s_mov_b64 s[4:5], -1
                                        ; implicit-def: $sgpr10
	s_and_saveexec_b64 s[8:9], vcc
; %bb.2230:
	s_mov_b32 s10, 0x7f800001
	s_xor_b64 s[4:5], exec, -1
; %bb.2231:
	s_or_b64 exec, exec, s[8:9]
	s_and_b64 s[4:5], s[4:5], exec
                                        ; implicit-def: $vgpr6
	s_or_saveexec_b64 s[6:7], s[6:7]
	v_mov_b32_e32 v10, s10
	s_xor_b64 exec, exec, s[6:7]
	s_cbranch_execz .LBB28_182
.LBB28_2232:
	v_cmp_ne_u16_e32 vcc, 0, v6
	s_andn2_b64 s[4:5], s[4:5], exec
	s_and_b64 s[8:9], vcc, exec
	v_mov_b32_e32 v10, 0
	s_or_b64 s[4:5], s[4:5], s[8:9]
	s_or_b64 exec, exec, s[6:7]
	s_and_saveexec_b64 s[6:7], s[4:5]
	s_cbranch_execnz .LBB28_183
	s_branch .LBB28_184
.LBB28_2233:
	s_movk_i32 s4, 0x80
	v_cmp_eq_u16_sdwa s[12:13], v7, s4 src0_sel:BYTE_3 src1_sel:DWORD
	s_mov_b64 s[4:5], -1
                                        ; implicit-def: $sgpr10
	s_and_saveexec_b64 s[8:9], s[12:13]
; %bb.2234:
	s_mov_b32 s10, 0x7f800001
	s_xor_b64 s[4:5], exec, -1
; %bb.2235:
	s_or_b64 exec, exec, s[8:9]
	s_and_b64 s[4:5], s[4:5], exec
	s_or_saveexec_b64 s[6:7], s[6:7]
	v_mov_b32_e32 v2, s10
	s_xor_b64 exec, exec, s[6:7]
	s_cbranch_execz .LBB28_186
.LBB28_2236:
	v_mov_b32_e32 v2, 0
	v_cmp_ne_u16_sdwa s[8:9], v7, v2 src0_sel:BYTE_3 src1_sel:DWORD
	s_andn2_b64 s[4:5], s[4:5], exec
	s_and_b64 s[8:9], s[8:9], exec
	s_or_b64 s[4:5], s[4:5], s[8:9]
	s_or_b64 exec, exec, s[6:7]
	s_and_saveexec_b64 s[6:7], s[4:5]
	s_cbranch_execnz .LBB28_187
	s_branch .LBB28_188
.LBB28_2237:
	s_movk_i32 s4, 0x80
	v_cmp_eq_u16_sdwa s[12:13], v3, s4 src0_sel:BYTE_3 src1_sel:DWORD
	s_mov_b64 s[4:5], -1
                                        ; implicit-def: $sgpr10
	s_and_saveexec_b64 s[8:9], s[12:13]
; %bb.2238:
	s_mov_b32 s10, 0x7f800001
	s_xor_b64 s[4:5], exec, -1
; %bb.2239:
	s_or_b64 exec, exec, s[8:9]
	s_and_b64 s[4:5], s[4:5], exec
	s_or_saveexec_b64 s[6:7], s[6:7]
	v_mov_b32_e32 v6, s10
	s_xor_b64 exec, exec, s[6:7]
	s_cbranch_execz .LBB28_190
.LBB28_2240:
	v_mov_b32_e32 v6, 0
	v_cmp_ne_u16_sdwa s[8:9], v3, v6 src0_sel:BYTE_3 src1_sel:DWORD
	s_andn2_b64 s[4:5], s[4:5], exec
	s_and_b64 s[8:9], s[8:9], exec
	s_or_b64 s[4:5], s[4:5], s[8:9]
	s_or_b64 exec, exec, s[6:7]
	s_and_saveexec_b64 s[6:7], s[4:5]
	s_cbranch_execnz .LBB28_191
	s_branch .LBB28_192
.LBB28_2241:
	s_movk_i32 s4, 0x80
	v_cmp_eq_u16_sdwa s[12:13], v8, s4 src0_sel:BYTE_0 src1_sel:DWORD
	s_mov_b64 s[4:5], -1
                                        ; implicit-def: $sgpr10
	s_and_saveexec_b64 s[8:9], s[12:13]
; %bb.2242:
	s_mov_b32 s10, 0x7f800001
	s_xor_b64 s[4:5], exec, -1
; %bb.2243:
	s_or_b64 exec, exec, s[8:9]
	s_and_b64 s[4:5], s[4:5], exec
	s_or_saveexec_b64 s[6:7], s[6:7]
	v_mov_b32_e32 v2, s10
	s_xor_b64 exec, exec, s[6:7]
	s_cbranch_execz .LBB28_194
.LBB28_2244:
	v_mov_b32_e32 v2, 0
	v_cmp_ne_u16_sdwa s[8:9], v8, v2 src0_sel:BYTE_0 src1_sel:DWORD
	s_andn2_b64 s[4:5], s[4:5], exec
	s_and_b64 s[8:9], s[8:9], exec
	s_or_b64 s[4:5], s[4:5], s[8:9]
	s_or_b64 exec, exec, s[6:7]
	s_and_saveexec_b64 s[6:7], s[4:5]
	s_cbranch_execnz .LBB28_195
	s_branch .LBB28_196
.LBB28_2245:
	s_movk_i32 s4, 0x80
	v_cmp_eq_u16_sdwa s[12:13], v4, s4 src0_sel:BYTE_0 src1_sel:DWORD
	s_mov_b64 s[4:5], -1
                                        ; implicit-def: $sgpr10
	s_and_saveexec_b64 s[8:9], s[12:13]
; %bb.2246:
	s_mov_b32 s10, 0x7f800001
	s_xor_b64 s[4:5], exec, -1
; %bb.2247:
	s_or_b64 exec, exec, s[8:9]
	s_and_b64 s[4:5], s[4:5], exec
	s_or_saveexec_b64 s[6:7], s[6:7]
	v_mov_b32_e32 v3, s10
	s_xor_b64 exec, exec, s[6:7]
	s_cbranch_execz .LBB28_198
.LBB28_2248:
	v_mov_b32_e32 v3, 0
	v_cmp_ne_u16_sdwa s[8:9], v4, v3 src0_sel:BYTE_0 src1_sel:DWORD
	s_andn2_b64 s[4:5], s[4:5], exec
	s_and_b64 s[8:9], s[8:9], exec
	s_or_b64 s[4:5], s[4:5], s[8:9]
	s_or_b64 exec, exec, s[6:7]
	s_and_saveexec_b64 s[6:7], s[4:5]
	s_cbranch_execnz .LBB28_199
	s_branch .LBB28_200
.LBB28_2249:
	s_movk_i32 s4, 0x80
	v_cmp_eq_u16_sdwa s[12:13], v3, s4 src0_sel:BYTE_0 src1_sel:DWORD
	s_mov_b64 s[4:5], -1
                                        ; implicit-def: $sgpr10
	s_and_saveexec_b64 s[8:9], s[12:13]
; %bb.2250:
	s_mov_b32 s10, 0x7f800001
	s_xor_b64 s[4:5], exec, -1
; %bb.2251:
	s_or_b64 exec, exec, s[8:9]
	s_and_b64 s[4:5], s[4:5], exec
	s_or_saveexec_b64 s[6:7], s[6:7]
	v_mov_b32_e32 v2, s10
	s_xor_b64 exec, exec, s[6:7]
	s_cbranch_execz .LBB28_202
.LBB28_2252:
	v_mov_b32_e32 v2, 0
	v_cmp_ne_u16_sdwa s[8:9], v3, v2 src0_sel:BYTE_0 src1_sel:DWORD
	s_andn2_b64 s[4:5], s[4:5], exec
	s_and_b64 s[8:9], s[8:9], exec
	s_or_b64 s[4:5], s[4:5], s[8:9]
	s_or_b64 exec, exec, s[6:7]
	s_and_saveexec_b64 s[6:7], s[4:5]
	s_cbranch_execnz .LBB28_203
	s_branch .LBB28_204
.LBB28_2253:
	s_movk_i32 s4, 0x80
	v_cmp_eq_u16_sdwa s[12:13], v3, s4 src0_sel:BYTE_0 src1_sel:DWORD
	s_mov_b64 s[4:5], -1
                                        ; implicit-def: $sgpr10
	s_and_saveexec_b64 s[8:9], s[12:13]
; %bb.2254:
	s_mov_b32 s10, 0x7f800001
	s_xor_b64 s[4:5], exec, -1
; %bb.2255:
	s_or_b64 exec, exec, s[8:9]
	s_and_b64 s[4:5], s[4:5], exec
	s_or_saveexec_b64 s[6:7], s[6:7]
	v_mov_b32_e32 v6, s10
	s_xor_b64 exec, exec, s[6:7]
	s_cbranch_execz .LBB28_206
.LBB28_2256:
	v_mov_b32_e32 v6, 0
	v_cmp_ne_u16_sdwa s[8:9], v3, v6 src0_sel:BYTE_0 src1_sel:DWORD
	s_andn2_b64 s[4:5], s[4:5], exec
	s_and_b64 s[8:9], s[8:9], exec
	s_or_b64 s[4:5], s[4:5], s[8:9]
	s_or_b64 exec, exec, s[6:7]
	s_and_saveexec_b64 s[6:7], s[4:5]
	s_cbranch_execnz .LBB28_207
	s_branch .LBB28_208
.LBB28_2257:
	s_movk_i32 s4, 0x80
	v_cmp_eq_u16_e32 vcc, s4, v3
	s_mov_b64 s[4:5], -1
                                        ; implicit-def: $sgpr10
	s_and_saveexec_b64 s[8:9], vcc
; %bb.2258:
	s_mov_b32 s10, 0x7f800001
	s_xor_b64 s[4:5], exec, -1
; %bb.2259:
	s_or_b64 exec, exec, s[8:9]
	s_and_b64 s[4:5], s[4:5], exec
                                        ; implicit-def: $vgpr3
	s_or_saveexec_b64 s[6:7], s[6:7]
	v_mov_b32_e32 v2, s10
	s_xor_b64 exec, exec, s[6:7]
	s_cbranch_execz .LBB28_210
.LBB28_2260:
	v_cmp_ne_u16_e32 vcc, 0, v3
	s_andn2_b64 s[4:5], s[4:5], exec
	s_and_b64 s[8:9], vcc, exec
	v_mov_b32_e32 v2, 0
	s_or_b64 s[4:5], s[4:5], s[8:9]
	s_or_b64 exec, exec, s[6:7]
	s_and_saveexec_b64 s[6:7], s[4:5]
	s_cbranch_execnz .LBB28_211
	s_branch .LBB28_212
.LBB28_2261:
	s_movk_i32 s4, 0x80
	v_cmp_eq_u16_e32 vcc, s4, v3
	s_mov_b64 s[4:5], -1
                                        ; implicit-def: $sgpr10
	s_and_saveexec_b64 s[8:9], vcc
; %bb.2262:
	s_mov_b32 s10, 0x7f800001
	s_xor_b64 s[4:5], exec, -1
; %bb.2263:
	s_or_b64 exec, exec, s[8:9]
	s_and_b64 s[4:5], s[4:5], exec
                                        ; implicit-def: $vgpr3
	s_or_saveexec_b64 s[6:7], s[6:7]
	v_mov_b32_e32 v6, s10
	s_xor_b64 exec, exec, s[6:7]
	s_cbranch_execz .LBB28_214
.LBB28_2264:
	v_cmp_ne_u16_e32 vcc, 0, v3
	s_andn2_b64 s[4:5], s[4:5], exec
	s_and_b64 s[8:9], vcc, exec
	v_mov_b32_e32 v6, 0
	s_or_b64 s[4:5], s[4:5], s[8:9]
	s_or_b64 exec, exec, s[6:7]
	s_and_saveexec_b64 s[6:7], s[4:5]
	s_cbranch_execnz .LBB28_215
	s_branch .LBB28_216
.LBB28_2265:
	s_movk_i32 s4, 0x80
	v_cmp_eq_u16_sdwa s[12:13], v8, s4 src0_sel:BYTE_3 src1_sel:DWORD
	s_mov_b64 s[4:5], -1
                                        ; implicit-def: $sgpr10
	s_and_saveexec_b64 s[8:9], s[12:13]
; %bb.2266:
	s_mov_b32 s10, 0x7f800001
	s_xor_b64 s[4:5], exec, -1
; %bb.2267:
	s_or_b64 exec, exec, s[8:9]
	s_and_b64 s[4:5], s[4:5], exec
	s_or_saveexec_b64 s[6:7], s[6:7]
	v_mov_b32_e32 v2, s10
	s_xor_b64 exec, exec, s[6:7]
	s_cbranch_execz .LBB28_218
.LBB28_2268:
	v_mov_b32_e32 v2, 0
	v_cmp_ne_u16_sdwa s[8:9], v8, v2 src0_sel:BYTE_3 src1_sel:DWORD
	s_andn2_b64 s[4:5], s[4:5], exec
	s_and_b64 s[8:9], s[8:9], exec
	s_or_b64 s[4:5], s[4:5], s[8:9]
	s_or_b64 exec, exec, s[6:7]
	s_and_saveexec_b64 s[6:7], s[4:5]
	s_cbranch_execnz .LBB28_219
	s_branch .LBB28_220
.LBB28_2269:
	s_movk_i32 s4, 0x80
	v_cmp_eq_u16_sdwa s[12:13], v4, s4 src0_sel:BYTE_3 src1_sel:DWORD
	s_mov_b64 s[4:5], -1
                                        ; implicit-def: $sgpr10
	s_and_saveexec_b64 s[8:9], s[12:13]
; %bb.2270:
	s_mov_b32 s10, 0x7f800001
	s_xor_b64 s[4:5], exec, -1
; %bb.2271:
	s_or_b64 exec, exec, s[8:9]
	s_and_b64 s[4:5], s[4:5], exec
	s_or_saveexec_b64 s[6:7], s[6:7]
	v_mov_b32_e32 v3, s10
	s_xor_b64 exec, exec, s[6:7]
	s_cbranch_execz .LBB28_222
.LBB28_2272:
	v_mov_b32_e32 v3, 0
	v_cmp_ne_u16_sdwa s[8:9], v4, v3 src0_sel:BYTE_3 src1_sel:DWORD
	s_andn2_b64 s[4:5], s[4:5], exec
	s_and_b64 s[8:9], s[8:9], exec
	s_or_b64 s[4:5], s[4:5], s[8:9]
	s_or_b64 exec, exec, s[6:7]
	s_and_saveexec_b64 s[6:7], s[4:5]
	s_cbranch_execnz .LBB28_223
	s_branch .LBB28_224
.LBB28_2273:
	s_movk_i32 s4, 0x80
	v_cmp_eq_u16_sdwa s[12:13], v9, s4 src0_sel:BYTE_0 src1_sel:DWORD
	s_mov_b64 s[4:5], -1
                                        ; implicit-def: $sgpr10
	s_and_saveexec_b64 s[8:9], s[12:13]
; %bb.2274:
	s_mov_b32 s10, 0x7f800001
	s_xor_b64 s[4:5], exec, -1
; %bb.2275:
	s_or_b64 exec, exec, s[8:9]
	s_and_b64 s[4:5], s[4:5], exec
	s_or_saveexec_b64 s[6:7], s[6:7]
	v_mov_b32_e32 v2, s10
	s_xor_b64 exec, exec, s[6:7]
	s_cbranch_execz .LBB28_226
.LBB28_2276:
	v_mov_b32_e32 v2, 0
	v_cmp_ne_u16_sdwa s[8:9], v9, v2 src0_sel:BYTE_0 src1_sel:DWORD
	s_andn2_b64 s[4:5], s[4:5], exec
	s_and_b64 s[8:9], s[8:9], exec
	s_or_b64 s[4:5], s[4:5], s[8:9]
	s_or_b64 exec, exec, s[6:7]
	s_and_saveexec_b64 s[6:7], s[4:5]
	s_cbranch_execnz .LBB28_227
	s_branch .LBB28_228
.LBB28_2277:
	s_movk_i32 s4, 0x80
	v_cmp_eq_u16_sdwa s[12:13], v5, s4 src0_sel:BYTE_0 src1_sel:DWORD
	s_mov_b64 s[4:5], -1
                                        ; implicit-def: $sgpr10
	s_and_saveexec_b64 s[8:9], s[12:13]
; %bb.2278:
	s_mov_b32 s10, 0x7f800001
	s_xor_b64 s[4:5], exec, -1
; %bb.2279:
	s_or_b64 exec, exec, s[8:9]
	s_and_b64 s[4:5], s[4:5], exec
	s_or_saveexec_b64 s[6:7], s[6:7]
	v_mov_b32_e32 v3, s10
	s_xor_b64 exec, exec, s[6:7]
	s_cbranch_execz .LBB28_230
.LBB28_2280:
	v_mov_b32_e32 v3, 0
	v_cmp_ne_u16_sdwa s[8:9], v5, v3 src0_sel:BYTE_0 src1_sel:DWORD
	s_andn2_b64 s[4:5], s[4:5], exec
	s_and_b64 s[8:9], s[8:9], exec
	s_or_b64 s[4:5], s[4:5], s[8:9]
	s_or_b64 exec, exec, s[6:7]
	s_and_saveexec_b64 s[6:7], s[4:5]
	s_cbranch_execnz .LBB28_231
	s_branch .LBB28_232
.LBB28_2281:
	s_movk_i32 s4, 0x80
	v_cmp_eq_u16_sdwa s[12:13], v3, s4 src0_sel:BYTE_0 src1_sel:DWORD
	s_mov_b64 s[4:5], -1
                                        ; implicit-def: $sgpr10
	s_and_saveexec_b64 s[8:9], s[12:13]
; %bb.2282:
	s_mov_b32 s10, 0x7f800001
	s_xor_b64 s[4:5], exec, -1
; %bb.2283:
	s_or_b64 exec, exec, s[8:9]
	s_and_b64 s[4:5], s[4:5], exec
	s_or_saveexec_b64 s[6:7], s[6:7]
	v_mov_b32_e32 v2, s10
	s_xor_b64 exec, exec, s[6:7]
	s_cbranch_execz .LBB28_234
.LBB28_2284:
	v_mov_b32_e32 v2, 0
	v_cmp_ne_u16_sdwa s[8:9], v3, v2 src0_sel:BYTE_0 src1_sel:DWORD
	s_andn2_b64 s[4:5], s[4:5], exec
	s_and_b64 s[8:9], s[8:9], exec
	s_or_b64 s[4:5], s[4:5], s[8:9]
	s_or_b64 exec, exec, s[6:7]
	s_and_saveexec_b64 s[6:7], s[4:5]
	s_cbranch_execnz .LBB28_235
	s_branch .LBB28_236
.LBB28_2285:
	s_movk_i32 s4, 0x80
	v_cmp_eq_u16_sdwa s[12:13], v3, s4 src0_sel:BYTE_0 src1_sel:DWORD
	s_mov_b64 s[4:5], -1
                                        ; implicit-def: $sgpr10
	s_and_saveexec_b64 s[8:9], s[12:13]
; %bb.2286:
	s_mov_b32 s10, 0x7f800001
	s_xor_b64 s[4:5], exec, -1
; %bb.2287:
	s_or_b64 exec, exec, s[8:9]
	s_and_b64 s[4:5], s[4:5], exec
	s_or_saveexec_b64 s[6:7], s[6:7]
	v_mov_b32_e32 v4, s10
	s_xor_b64 exec, exec, s[6:7]
	s_cbranch_execz .LBB28_238
.LBB28_2288:
	v_mov_b32_e32 v4, 0
	v_cmp_ne_u16_sdwa s[8:9], v3, v4 src0_sel:BYTE_0 src1_sel:DWORD
	s_andn2_b64 s[4:5], s[4:5], exec
	s_and_b64 s[8:9], s[8:9], exec
	s_or_b64 s[4:5], s[4:5], s[8:9]
	s_or_b64 exec, exec, s[6:7]
	s_and_saveexec_b64 s[6:7], s[4:5]
	s_cbranch_execnz .LBB28_239
	s_branch .LBB28_240
.LBB28_2289:
	s_movk_i32 s4, 0x80
	v_cmp_eq_u16_e32 vcc, s4, v3
	s_mov_b64 s[4:5], -1
                                        ; implicit-def: $sgpr10
	s_and_saveexec_b64 s[8:9], vcc
; %bb.2290:
	s_mov_b32 s10, 0x7f800001
	s_xor_b64 s[4:5], exec, -1
; %bb.2291:
	s_or_b64 exec, exec, s[8:9]
	s_and_b64 s[4:5], s[4:5], exec
                                        ; implicit-def: $vgpr3
	s_or_saveexec_b64 s[6:7], s[6:7]
	v_mov_b32_e32 v2, s10
	s_xor_b64 exec, exec, s[6:7]
	s_cbranch_execz .LBB28_242
.LBB28_2292:
	v_cmp_ne_u16_e32 vcc, 0, v3
	s_andn2_b64 s[4:5], s[4:5], exec
	s_and_b64 s[8:9], vcc, exec
	v_mov_b32_e32 v2, 0
	s_or_b64 s[4:5], s[4:5], s[8:9]
	s_or_b64 exec, exec, s[6:7]
	s_and_saveexec_b64 s[6:7], s[4:5]
	s_cbranch_execnz .LBB28_243
	s_branch .LBB28_244
.LBB28_2293:
	s_movk_i32 s4, 0x80
	v_cmp_eq_u16_e32 vcc, s4, v3
	s_mov_b64 s[4:5], -1
                                        ; implicit-def: $sgpr10
	s_and_saveexec_b64 s[8:9], vcc
; %bb.2294:
	s_mov_b32 s10, 0x7f800001
	s_xor_b64 s[4:5], exec, -1
; %bb.2295:
	s_or_b64 exec, exec, s[8:9]
	s_and_b64 s[4:5], s[4:5], exec
                                        ; implicit-def: $vgpr3
	s_or_saveexec_b64 s[6:7], s[6:7]
	v_mov_b32_e32 v4, s10
	s_xor_b64 exec, exec, s[6:7]
	s_cbranch_execz .LBB28_246
.LBB28_2296:
	v_cmp_ne_u16_e32 vcc, 0, v3
	s_andn2_b64 s[4:5], s[4:5], exec
	s_and_b64 s[8:9], vcc, exec
	v_mov_b32_e32 v4, 0
	s_or_b64 s[4:5], s[4:5], s[8:9]
	s_or_b64 exec, exec, s[6:7]
	s_and_saveexec_b64 s[6:7], s[4:5]
	s_cbranch_execnz .LBB28_247
	s_branch .LBB28_248
.LBB28_2297:
	s_movk_i32 s4, 0x80
	v_cmp_eq_u16_sdwa s[12:13], v9, s4 src0_sel:BYTE_3 src1_sel:DWORD
	s_mov_b64 s[4:5], -1
                                        ; implicit-def: $sgpr10
	s_and_saveexec_b64 s[8:9], s[12:13]
; %bb.2298:
	s_mov_b32 s10, 0x7f800001
	s_xor_b64 s[4:5], exec, -1
; %bb.2299:
	s_or_b64 exec, exec, s[8:9]
	s_and_b64 s[4:5], s[4:5], exec
	s_or_saveexec_b64 s[6:7], s[6:7]
	v_mov_b32_e32 v2, s10
	s_xor_b64 exec, exec, s[6:7]
	s_cbranch_execz .LBB28_250
.LBB28_2300:
	v_mov_b32_e32 v2, 0
	v_cmp_ne_u16_sdwa s[8:9], v9, v2 src0_sel:BYTE_3 src1_sel:DWORD
	s_andn2_b64 s[4:5], s[4:5], exec
	s_and_b64 s[8:9], s[8:9], exec
	s_or_b64 s[4:5], s[4:5], s[8:9]
	s_or_b64 exec, exec, s[6:7]
	s_and_saveexec_b64 s[6:7], s[4:5]
	s_cbranch_execnz .LBB28_251
	s_branch .LBB28_252
.LBB28_2301:
	s_movk_i32 s4, 0x80
	v_cmp_eq_u16_sdwa s[12:13], v5, s4 src0_sel:BYTE_3 src1_sel:DWORD
	s_mov_b64 s[4:5], -1
                                        ; implicit-def: $sgpr10
	s_and_saveexec_b64 s[8:9], s[12:13]
; %bb.2302:
	s_mov_b32 s10, 0x7f800001
	s_xor_b64 s[4:5], exec, -1
; %bb.2303:
	s_or_b64 exec, exec, s[8:9]
	s_and_b64 s[4:5], s[4:5], exec
	s_or_saveexec_b64 s[6:7], s[6:7]
	v_mov_b32_e32 v3, s10
	s_xor_b64 exec, exec, s[6:7]
	s_cbranch_execz .LBB28_254
.LBB28_2304:
	v_mov_b32_e32 v3, 0
	v_cmp_ne_u16_sdwa s[8:9], v5, v3 src0_sel:BYTE_3 src1_sel:DWORD
	s_andn2_b64 s[4:5], s[4:5], exec
	s_and_b64 s[8:9], s[8:9], exec
	s_or_b64 s[4:5], s[4:5], s[8:9]
	s_or_b64 exec, exec, s[6:7]
	s_and_saveexec_b64 s[6:7], s[4:5]
	s_cbranch_execnz .LBB28_255
	s_branch .LBB28_256
.LBB28_2305:
	s_movk_i32 s4, 0x80
	v_cmp_eq_u16_sdwa s[12:13], v14, s4 src0_sel:BYTE_0 src1_sel:DWORD
	s_mov_b64 s[4:5], -1
                                        ; implicit-def: $sgpr10
	s_and_saveexec_b64 s[8:9], s[12:13]
; %bb.2306:
	s_mov_b32 s10, 0x7f800001
	s_xor_b64 s[4:5], exec, -1
; %bb.2307:
	s_or_b64 exec, exec, s[8:9]
	s_and_b64 s[4:5], s[4:5], exec
	s_or_saveexec_b64 s[6:7], s[6:7]
	v_mov_b32_e32 v20, s10
	s_xor_b64 exec, exec, s[6:7]
	s_cbranch_execz .LBB28_258
.LBB28_2308:
	v_mov_b32_e32 v20, 0
	v_cmp_ne_u16_sdwa s[8:9], v14, v20 src0_sel:BYTE_0 src1_sel:DWORD
	s_andn2_b64 s[4:5], s[4:5], exec
	s_and_b64 s[8:9], s[8:9], exec
	s_or_b64 s[4:5], s[4:5], s[8:9]
	s_or_b64 exec, exec, s[6:7]
	s_and_saveexec_b64 s[6:7], s[4:5]
	s_cbranch_execnz .LBB28_259
	s_branch .LBB28_260
.LBB28_2309:
	s_movk_i32 s4, 0x80
	v_cmp_eq_u16_sdwa s[12:13], v10, s4 src0_sel:BYTE_0 src1_sel:DWORD
	s_mov_b64 s[4:5], -1
                                        ; implicit-def: $sgpr10
	s_and_saveexec_b64 s[8:9], s[12:13]
; %bb.2310:
	s_mov_b32 s10, 0x7f800001
	s_xor_b64 s[4:5], exec, -1
; %bb.2311:
	s_or_b64 exec, exec, s[8:9]
	s_and_b64 s[4:5], s[4:5], exec
	s_or_saveexec_b64 s[6:7], s[6:7]
	v_mov_b32_e32 v21, s10
	s_xor_b64 exec, exec, s[6:7]
	s_cbranch_execz .LBB28_262
.LBB28_2312:
	v_mov_b32_e32 v21, 0
	v_cmp_ne_u16_sdwa s[8:9], v10, v21 src0_sel:BYTE_0 src1_sel:DWORD
	s_andn2_b64 s[4:5], s[4:5], exec
	s_and_b64 s[8:9], s[8:9], exec
	s_or_b64 s[4:5], s[4:5], s[8:9]
	s_or_b64 exec, exec, s[6:7]
	s_and_saveexec_b64 s[6:7], s[4:5]
	s_cbranch_execnz .LBB28_263
	s_branch .LBB28_264
.LBB28_2313:
	s_movk_i32 s4, 0x80
	v_cmp_eq_u16_sdwa s[12:13], v21, s4 src0_sel:BYTE_0 src1_sel:DWORD
	s_mov_b64 s[4:5], -1
                                        ; implicit-def: $sgpr10
	s_and_saveexec_b64 s[8:9], s[12:13]
; %bb.2314:
	s_mov_b32 s10, 0x7f800001
	s_xor_b64 s[4:5], exec, -1
; %bb.2315:
	s_or_b64 exec, exec, s[8:9]
	s_and_b64 s[4:5], s[4:5], exec
	s_or_saveexec_b64 s[6:7], s[6:7]
	v_mov_b32_e32 v20, s10
	s_xor_b64 exec, exec, s[6:7]
	s_cbranch_execz .LBB28_266
.LBB28_2316:
	v_mov_b32_e32 v20, 0
	v_cmp_ne_u16_sdwa s[8:9], v21, v20 src0_sel:BYTE_0 src1_sel:DWORD
	s_andn2_b64 s[4:5], s[4:5], exec
	s_and_b64 s[8:9], s[8:9], exec
	s_or_b64 s[4:5], s[4:5], s[8:9]
	s_or_b64 exec, exec, s[6:7]
	s_and_saveexec_b64 s[6:7], s[4:5]
	s_cbranch_execnz .LBB28_267
	s_branch .LBB28_268
.LBB28_2317:
	s_movk_i32 s4, 0x80
	v_cmp_eq_u16_sdwa s[12:13], v21, s4 src0_sel:BYTE_0 src1_sel:DWORD
	s_mov_b64 s[4:5], -1
                                        ; implicit-def: $sgpr10
	s_and_saveexec_b64 s[8:9], s[12:13]
; %bb.2318:
	s_mov_b32 s10, 0x7f800001
	s_xor_b64 s[4:5], exec, -1
; %bb.2319:
	s_or_b64 exec, exec, s[8:9]
	s_and_b64 s[4:5], s[4:5], exec
	s_or_saveexec_b64 s[6:7], s[6:7]
	v_mov_b32_e32 v22, s10
	s_xor_b64 exec, exec, s[6:7]
	s_cbranch_execz .LBB28_270
.LBB28_2320:
	v_mov_b32_e32 v22, 0
	v_cmp_ne_u16_sdwa s[8:9], v21, v22 src0_sel:BYTE_0 src1_sel:DWORD
	s_andn2_b64 s[4:5], s[4:5], exec
	s_and_b64 s[8:9], s[8:9], exec
	s_or_b64 s[4:5], s[4:5], s[8:9]
	s_or_b64 exec, exec, s[6:7]
	s_and_saveexec_b64 s[6:7], s[4:5]
	s_cbranch_execnz .LBB28_271
	s_branch .LBB28_272
.LBB28_2321:
	s_movk_i32 s4, 0x80
	v_cmp_eq_u16_e32 vcc, s4, v21
	s_mov_b64 s[4:5], -1
                                        ; implicit-def: $sgpr10
	s_and_saveexec_b64 s[8:9], vcc
; %bb.2322:
	s_mov_b32 s10, 0x7f800001
	s_xor_b64 s[4:5], exec, -1
; %bb.2323:
	s_or_b64 exec, exec, s[8:9]
	s_and_b64 s[4:5], s[4:5], exec
                                        ; implicit-def: $vgpr21
	s_or_saveexec_b64 s[6:7], s[6:7]
	v_mov_b32_e32 v20, s10
	s_xor_b64 exec, exec, s[6:7]
	s_cbranch_execz .LBB28_274
.LBB28_2324:
	v_cmp_ne_u16_e32 vcc, 0, v21
	s_andn2_b64 s[4:5], s[4:5], exec
	s_and_b64 s[8:9], vcc, exec
	v_mov_b32_e32 v20, 0
	s_or_b64 s[4:5], s[4:5], s[8:9]
	s_or_b64 exec, exec, s[6:7]
	s_and_saveexec_b64 s[6:7], s[4:5]
	s_cbranch_execnz .LBB28_275
	s_branch .LBB28_276
.LBB28_2325:
	s_movk_i32 s4, 0x80
	v_cmp_eq_u16_e32 vcc, s4, v21
	s_mov_b64 s[4:5], -1
                                        ; implicit-def: $sgpr10
	s_and_saveexec_b64 s[8:9], vcc
; %bb.2326:
	s_mov_b32 s10, 0x7f800001
	s_xor_b64 s[4:5], exec, -1
; %bb.2327:
	s_or_b64 exec, exec, s[8:9]
	s_and_b64 s[4:5], s[4:5], exec
                                        ; implicit-def: $vgpr21
	s_or_saveexec_b64 s[6:7], s[6:7]
	v_mov_b32_e32 v22, s10
	s_xor_b64 exec, exec, s[6:7]
	s_cbranch_execz .LBB28_278
.LBB28_2328:
	v_cmp_ne_u16_e32 vcc, 0, v21
	s_andn2_b64 s[4:5], s[4:5], exec
	s_and_b64 s[8:9], vcc, exec
	v_mov_b32_e32 v22, 0
	s_or_b64 s[4:5], s[4:5], s[8:9]
	s_or_b64 exec, exec, s[6:7]
	s_and_saveexec_b64 s[6:7], s[4:5]
	s_cbranch_execnz .LBB28_279
	s_branch .LBB28_280
.LBB28_2329:
	s_movk_i32 s4, 0x80
	v_cmp_eq_u16_sdwa s[12:13], v14, s4 src0_sel:BYTE_3 src1_sel:DWORD
	s_mov_b64 s[4:5], -1
                                        ; implicit-def: $sgpr10
	s_and_saveexec_b64 s[8:9], s[12:13]
; %bb.2330:
	s_mov_b32 s10, 0x7f800001
	s_xor_b64 s[4:5], exec, -1
; %bb.2331:
	s_or_b64 exec, exec, s[8:9]
	s_and_b64 s[4:5], s[4:5], exec
	s_or_saveexec_b64 s[6:7], s[6:7]
	v_mov_b32_e32 v20, s10
	s_xor_b64 exec, exec, s[6:7]
	s_cbranch_execz .LBB28_282
.LBB28_2332:
	v_mov_b32_e32 v20, 0
	v_cmp_ne_u16_sdwa s[8:9], v14, v20 src0_sel:BYTE_3 src1_sel:DWORD
	s_andn2_b64 s[4:5], s[4:5], exec
	s_and_b64 s[8:9], s[8:9], exec
	s_or_b64 s[4:5], s[4:5], s[8:9]
	s_or_b64 exec, exec, s[6:7]
	s_and_saveexec_b64 s[6:7], s[4:5]
	s_cbranch_execnz .LBB28_283
	s_branch .LBB28_284
.LBB28_2333:
	s_movk_i32 s4, 0x80
	v_cmp_eq_u16_sdwa s[12:13], v10, s4 src0_sel:BYTE_3 src1_sel:DWORD
	s_mov_b64 s[4:5], -1
                                        ; implicit-def: $sgpr10
	s_and_saveexec_b64 s[8:9], s[12:13]
; %bb.2334:
	s_mov_b32 s10, 0x7f800001
	s_xor_b64 s[4:5], exec, -1
; %bb.2335:
	s_or_b64 exec, exec, s[8:9]
	s_and_b64 s[4:5], s[4:5], exec
	s_or_saveexec_b64 s[6:7], s[6:7]
	v_mov_b32_e32 v14, s10
	s_xor_b64 exec, exec, s[6:7]
	s_cbranch_execz .LBB28_286
.LBB28_2336:
	v_mov_b32_e32 v14, 0
	v_cmp_ne_u16_sdwa s[8:9], v10, v14 src0_sel:BYTE_3 src1_sel:DWORD
	s_andn2_b64 s[4:5], s[4:5], exec
	s_and_b64 s[8:9], s[8:9], exec
	s_or_b64 s[4:5], s[4:5], s[8:9]
	s_or_b64 exec, exec, s[6:7]
	s_and_saveexec_b64 s[6:7], s[4:5]
	s_cbranch_execnz .LBB28_287
	s_branch .LBB28_288
.LBB28_2337:
	s_movk_i32 s4, 0x80
	v_cmp_eq_u16_sdwa s[12:13], v15, s4 src0_sel:BYTE_0 src1_sel:DWORD
	s_mov_b64 s[4:5], -1
                                        ; implicit-def: $sgpr10
	s_and_saveexec_b64 s[8:9], s[12:13]
; %bb.2338:
	s_mov_b32 s10, 0x7f800001
	s_xor_b64 s[4:5], exec, -1
; %bb.2339:
	s_or_b64 exec, exec, s[8:9]
	s_and_b64 s[4:5], s[4:5], exec
	s_or_saveexec_b64 s[6:7], s[6:7]
	v_mov_b32_e32 v10, s10
	s_xor_b64 exec, exec, s[6:7]
	s_cbranch_execz .LBB28_290
.LBB28_2340:
	v_mov_b32_e32 v10, 0
	v_cmp_ne_u16_sdwa s[8:9], v15, v10 src0_sel:BYTE_0 src1_sel:DWORD
	s_andn2_b64 s[4:5], s[4:5], exec
	s_and_b64 s[8:9], s[8:9], exec
	s_or_b64 s[4:5], s[4:5], s[8:9]
	s_or_b64 exec, exec, s[6:7]
	s_and_saveexec_b64 s[6:7], s[4:5]
	s_cbranch_execnz .LBB28_291
	s_branch .LBB28_292
.LBB28_2341:
	s_movk_i32 s4, 0x80
	v_cmp_eq_u16_sdwa s[12:13], v11, s4 src0_sel:BYTE_0 src1_sel:DWORD
	s_mov_b64 s[4:5], -1
                                        ; implicit-def: $sgpr10
	s_and_saveexec_b64 s[8:9], s[12:13]
; %bb.2342:
	s_mov_b32 s10, 0x7f800001
	s_xor_b64 s[4:5], exec, -1
; %bb.2343:
	s_or_b64 exec, exec, s[8:9]
	s_and_b64 s[4:5], s[4:5], exec
	s_or_saveexec_b64 s[6:7], s[6:7]
	v_mov_b32_e32 v14, s10
	s_xor_b64 exec, exec, s[6:7]
	s_cbranch_execz .LBB28_294
.LBB28_2344:
	v_mov_b32_e32 v14, 0
	v_cmp_ne_u16_sdwa s[8:9], v11, v14 src0_sel:BYTE_0 src1_sel:DWORD
	s_andn2_b64 s[4:5], s[4:5], exec
	s_and_b64 s[8:9], s[8:9], exec
	s_or_b64 s[4:5], s[4:5], s[8:9]
	s_or_b64 exec, exec, s[6:7]
	s_and_saveexec_b64 s[6:7], s[4:5]
	s_cbranch_execnz .LBB28_295
	s_branch .LBB28_296
.LBB28_2345:
	s_movk_i32 s4, 0x80
	v_cmp_eq_u16_sdwa s[12:13], v14, s4 src0_sel:BYTE_0 src1_sel:DWORD
	s_mov_b64 s[4:5], -1
                                        ; implicit-def: $sgpr10
	s_and_saveexec_b64 s[8:9], s[12:13]
; %bb.2346:
	s_mov_b32 s10, 0x7f800001
	s_xor_b64 s[4:5], exec, -1
; %bb.2347:
	s_or_b64 exec, exec, s[8:9]
	s_and_b64 s[4:5], s[4:5], exec
	s_or_saveexec_b64 s[6:7], s[6:7]
	v_mov_b32_e32 v10, s10
	s_xor_b64 exec, exec, s[6:7]
	s_cbranch_execz .LBB28_298
.LBB28_2348:
	v_mov_b32_e32 v10, 0
	v_cmp_ne_u16_sdwa s[8:9], v14, v10 src0_sel:BYTE_0 src1_sel:DWORD
	s_andn2_b64 s[4:5], s[4:5], exec
	s_and_b64 s[8:9], s[8:9], exec
	s_or_b64 s[4:5], s[4:5], s[8:9]
	s_or_b64 exec, exec, s[6:7]
	s_and_saveexec_b64 s[6:7], s[4:5]
	s_cbranch_execnz .LBB28_299
	s_branch .LBB28_300
.LBB28_2349:
	s_movk_i32 s4, 0x80
	v_cmp_eq_u16_sdwa s[12:13], v14, s4 src0_sel:BYTE_0 src1_sel:DWORD
	s_mov_b64 s[4:5], -1
                                        ; implicit-def: $sgpr10
	s_and_saveexec_b64 s[8:9], s[12:13]
; %bb.2350:
	s_mov_b32 s10, 0x7f800001
	s_xor_b64 s[4:5], exec, -1
; %bb.2351:
	s_or_b64 exec, exec, s[8:9]
	s_and_b64 s[4:5], s[4:5], exec
	s_or_saveexec_b64 s[6:7], s[6:7]
	v_mov_b32_e32 v20, s10
	s_xor_b64 exec, exec, s[6:7]
	s_cbranch_execz .LBB28_302
.LBB28_2352:
	v_mov_b32_e32 v20, 0
	v_cmp_ne_u16_sdwa s[8:9], v14, v20 src0_sel:BYTE_0 src1_sel:DWORD
	s_andn2_b64 s[4:5], s[4:5], exec
	s_and_b64 s[8:9], s[8:9], exec
	s_or_b64 s[4:5], s[4:5], s[8:9]
	s_or_b64 exec, exec, s[6:7]
	s_and_saveexec_b64 s[6:7], s[4:5]
	s_cbranch_execnz .LBB28_303
	s_branch .LBB28_304
.LBB28_2353:
	s_movk_i32 s4, 0x80
	v_cmp_eq_u16_e32 vcc, s4, v14
	s_mov_b64 s[4:5], -1
                                        ; implicit-def: $sgpr10
	s_and_saveexec_b64 s[8:9], vcc
; %bb.2354:
	s_mov_b32 s10, 0x7f800001
	s_xor_b64 s[4:5], exec, -1
; %bb.2355:
	s_or_b64 exec, exec, s[8:9]
	s_and_b64 s[4:5], s[4:5], exec
                                        ; implicit-def: $vgpr14
	s_or_saveexec_b64 s[6:7], s[6:7]
	v_mov_b32_e32 v10, s10
	s_xor_b64 exec, exec, s[6:7]
	s_cbranch_execz .LBB28_306
.LBB28_2356:
	v_cmp_ne_u16_e32 vcc, 0, v14
	s_andn2_b64 s[4:5], s[4:5], exec
	s_and_b64 s[8:9], vcc, exec
	v_mov_b32_e32 v10, 0
	s_or_b64 s[4:5], s[4:5], s[8:9]
	s_or_b64 exec, exec, s[6:7]
	s_and_saveexec_b64 s[6:7], s[4:5]
	s_cbranch_execnz .LBB28_307
	s_branch .LBB28_308
.LBB28_2357:
	s_movk_i32 s4, 0x80
	v_cmp_eq_u16_e32 vcc, s4, v14
	s_mov_b64 s[4:5], -1
                                        ; implicit-def: $sgpr10
	s_and_saveexec_b64 s[8:9], vcc
; %bb.2358:
	s_mov_b32 s10, 0x7f800001
	s_xor_b64 s[4:5], exec, -1
; %bb.2359:
	s_or_b64 exec, exec, s[8:9]
	s_and_b64 s[4:5], s[4:5], exec
                                        ; implicit-def: $vgpr14
	s_or_saveexec_b64 s[6:7], s[6:7]
	v_mov_b32_e32 v20, s10
	s_xor_b64 exec, exec, s[6:7]
	s_cbranch_execz .LBB28_310
.LBB28_2360:
	v_cmp_ne_u16_e32 vcc, 0, v14
	s_andn2_b64 s[4:5], s[4:5], exec
	s_and_b64 s[8:9], vcc, exec
	v_mov_b32_e32 v20, 0
	s_or_b64 s[4:5], s[4:5], s[8:9]
	s_or_b64 exec, exec, s[6:7]
	s_and_saveexec_b64 s[6:7], s[4:5]
	s_cbranch_execnz .LBB28_311
	s_branch .LBB28_312
.LBB28_2361:
	s_movk_i32 s4, 0x80
	v_cmp_eq_u16_sdwa s[12:13], v15, s4 src0_sel:BYTE_3 src1_sel:DWORD
	s_mov_b64 s[4:5], -1
                                        ; implicit-def: $sgpr10
	s_and_saveexec_b64 s[8:9], s[12:13]
; %bb.2362:
	s_mov_b32 s10, 0x7f800001
	s_xor_b64 s[4:5], exec, -1
; %bb.2363:
	s_or_b64 exec, exec, s[8:9]
	s_and_b64 s[4:5], s[4:5], exec
	s_or_saveexec_b64 s[6:7], s[6:7]
	v_mov_b32_e32 v10, s10
	s_xor_b64 exec, exec, s[6:7]
	s_cbranch_execz .LBB28_314
.LBB28_2364:
	v_mov_b32_e32 v10, 0
	v_cmp_ne_u16_sdwa s[8:9], v15, v10 src0_sel:BYTE_3 src1_sel:DWORD
	s_andn2_b64 s[4:5], s[4:5], exec
	s_and_b64 s[8:9], s[8:9], exec
	s_or_b64 s[4:5], s[4:5], s[8:9]
	s_or_b64 exec, exec, s[6:7]
	s_and_saveexec_b64 s[6:7], s[4:5]
	s_cbranch_execnz .LBB28_315
	s_branch .LBB28_316
.LBB28_2365:
	s_movk_i32 s4, 0x80
	v_cmp_eq_u16_sdwa s[12:13], v11, s4 src0_sel:BYTE_3 src1_sel:DWORD
	s_mov_b64 s[4:5], -1
                                        ; implicit-def: $sgpr10
	s_and_saveexec_b64 s[8:9], s[12:13]
; %bb.2366:
	s_mov_b32 s10, 0x7f800001
	s_xor_b64 s[4:5], exec, -1
; %bb.2367:
	s_or_b64 exec, exec, s[8:9]
	s_and_b64 s[4:5], s[4:5], exec
	s_or_saveexec_b64 s[6:7], s[6:7]
	v_mov_b32_e32 v14, s10
	s_xor_b64 exec, exec, s[6:7]
	s_cbranch_execz .LBB28_318
.LBB28_2368:
	v_mov_b32_e32 v14, 0
	v_cmp_ne_u16_sdwa s[8:9], v11, v14 src0_sel:BYTE_3 src1_sel:DWORD
	s_andn2_b64 s[4:5], s[4:5], exec
	s_and_b64 s[8:9], s[8:9], exec
	s_or_b64 s[4:5], s[4:5], s[8:9]
	s_or_b64 exec, exec, s[6:7]
	s_and_saveexec_b64 s[6:7], s[4:5]
	s_cbranch_execnz .LBB28_319
	s_branch .LBB28_320
.LBB28_2369:
	s_movk_i32 s4, 0x80
	v_cmp_eq_u16_sdwa s[12:13], v16, s4 src0_sel:BYTE_0 src1_sel:DWORD
	s_mov_b64 s[4:5], -1
                                        ; implicit-def: $sgpr10
	s_and_saveexec_b64 s[8:9], s[12:13]
; %bb.2370:
	s_mov_b32 s10, 0x7f800001
	s_xor_b64 s[4:5], exec, -1
; %bb.2371:
	s_or_b64 exec, exec, s[8:9]
	s_and_b64 s[4:5], s[4:5], exec
	s_or_saveexec_b64 s[6:7], s[6:7]
	v_mov_b32_e32 v10, s10
	s_xor_b64 exec, exec, s[6:7]
	s_cbranch_execz .LBB28_322
.LBB28_2372:
	v_mov_b32_e32 v10, 0
	v_cmp_ne_u16_sdwa s[8:9], v16, v10 src0_sel:BYTE_0 src1_sel:DWORD
	s_andn2_b64 s[4:5], s[4:5], exec
	s_and_b64 s[8:9], s[8:9], exec
	s_or_b64 s[4:5], s[4:5], s[8:9]
	s_or_b64 exec, exec, s[6:7]
	s_and_saveexec_b64 s[6:7], s[4:5]
	s_cbranch_execnz .LBB28_323
	s_branch .LBB28_324
.LBB28_2373:
	s_movk_i32 s4, 0x80
	v_cmp_eq_u16_sdwa s[12:13], v12, s4 src0_sel:BYTE_0 src1_sel:DWORD
	s_mov_b64 s[4:5], -1
                                        ; implicit-def: $sgpr10
	s_and_saveexec_b64 s[8:9], s[12:13]
; %bb.2374:
	s_mov_b32 s10, 0x7f800001
	s_xor_b64 s[4:5], exec, -1
; %bb.2375:
	s_or_b64 exec, exec, s[8:9]
	s_and_b64 s[4:5], s[4:5], exec
	s_or_saveexec_b64 s[6:7], s[6:7]
	v_mov_b32_e32 v11, s10
	s_xor_b64 exec, exec, s[6:7]
	s_cbranch_execz .LBB28_326
.LBB28_2376:
	v_mov_b32_e32 v11, 0
	v_cmp_ne_u16_sdwa s[8:9], v12, v11 src0_sel:BYTE_0 src1_sel:DWORD
	s_andn2_b64 s[4:5], s[4:5], exec
	s_and_b64 s[8:9], s[8:9], exec
	s_or_b64 s[4:5], s[4:5], s[8:9]
	s_or_b64 exec, exec, s[6:7]
	s_and_saveexec_b64 s[6:7], s[4:5]
	s_cbranch_execnz .LBB28_327
	s_branch .LBB28_328
.LBB28_2377:
	s_movk_i32 s4, 0x80
	v_cmp_eq_u16_sdwa s[12:13], v11, s4 src0_sel:BYTE_0 src1_sel:DWORD
	s_mov_b64 s[4:5], -1
                                        ; implicit-def: $sgpr10
	s_and_saveexec_b64 s[8:9], s[12:13]
; %bb.2378:
	s_mov_b32 s10, 0x7f800001
	s_xor_b64 s[4:5], exec, -1
; %bb.2379:
	s_or_b64 exec, exec, s[8:9]
	s_and_b64 s[4:5], s[4:5], exec
	s_or_saveexec_b64 s[6:7], s[6:7]
	v_mov_b32_e32 v10, s10
	s_xor_b64 exec, exec, s[6:7]
	s_cbranch_execz .LBB28_330
.LBB28_2380:
	v_mov_b32_e32 v10, 0
	v_cmp_ne_u16_sdwa s[8:9], v11, v10 src0_sel:BYTE_0 src1_sel:DWORD
	s_andn2_b64 s[4:5], s[4:5], exec
	s_and_b64 s[8:9], s[8:9], exec
	s_or_b64 s[4:5], s[4:5], s[8:9]
	s_or_b64 exec, exec, s[6:7]
	s_and_saveexec_b64 s[6:7], s[4:5]
	s_cbranch_execnz .LBB28_331
	s_branch .LBB28_332
.LBB28_2381:
	s_movk_i32 s4, 0x80
	v_cmp_eq_u16_sdwa s[12:13], v11, s4 src0_sel:BYTE_0 src1_sel:DWORD
	s_mov_b64 s[4:5], -1
                                        ; implicit-def: $sgpr10
	s_and_saveexec_b64 s[8:9], s[12:13]
; %bb.2382:
	s_mov_b32 s10, 0x7f800001
	s_xor_b64 s[4:5], exec, -1
; %bb.2383:
	s_or_b64 exec, exec, s[8:9]
	s_and_b64 s[4:5], s[4:5], exec
	s_or_saveexec_b64 s[6:7], s[6:7]
	v_mov_b32_e32 v14, s10
	s_xor_b64 exec, exec, s[6:7]
	s_cbranch_execz .LBB28_334
.LBB28_2384:
	v_mov_b32_e32 v14, 0
	v_cmp_ne_u16_sdwa s[8:9], v11, v14 src0_sel:BYTE_0 src1_sel:DWORD
	s_andn2_b64 s[4:5], s[4:5], exec
	s_and_b64 s[8:9], s[8:9], exec
	s_or_b64 s[4:5], s[4:5], s[8:9]
	s_or_b64 exec, exec, s[6:7]
	s_and_saveexec_b64 s[6:7], s[4:5]
	s_cbranch_execnz .LBB28_335
	s_branch .LBB28_336
.LBB28_2385:
	s_movk_i32 s4, 0x80
	v_cmp_eq_u16_e32 vcc, s4, v11
	s_mov_b64 s[4:5], -1
                                        ; implicit-def: $sgpr10
	s_and_saveexec_b64 s[8:9], vcc
; %bb.2386:
	s_mov_b32 s10, 0x7f800001
	s_xor_b64 s[4:5], exec, -1
; %bb.2387:
	s_or_b64 exec, exec, s[8:9]
	s_and_b64 s[4:5], s[4:5], exec
                                        ; implicit-def: $vgpr11
	s_or_saveexec_b64 s[6:7], s[6:7]
	v_mov_b32_e32 v10, s10
	s_xor_b64 exec, exec, s[6:7]
	s_cbranch_execz .LBB28_338
.LBB28_2388:
	v_cmp_ne_u16_e32 vcc, 0, v11
	s_andn2_b64 s[4:5], s[4:5], exec
	s_and_b64 s[8:9], vcc, exec
	v_mov_b32_e32 v10, 0
	s_or_b64 s[4:5], s[4:5], s[8:9]
	s_or_b64 exec, exec, s[6:7]
	s_and_saveexec_b64 s[6:7], s[4:5]
	s_cbranch_execnz .LBB28_339
	s_branch .LBB28_340
.LBB28_2389:
	s_movk_i32 s4, 0x80
	v_cmp_eq_u16_e32 vcc, s4, v11
	s_mov_b64 s[4:5], -1
                                        ; implicit-def: $sgpr10
	s_and_saveexec_b64 s[8:9], vcc
; %bb.2390:
	s_mov_b32 s10, 0x7f800001
	s_xor_b64 s[4:5], exec, -1
; %bb.2391:
	s_or_b64 exec, exec, s[8:9]
	s_and_b64 s[4:5], s[4:5], exec
                                        ; implicit-def: $vgpr11
	s_or_saveexec_b64 s[6:7], s[6:7]
	v_mov_b32_e32 v14, s10
	s_xor_b64 exec, exec, s[6:7]
	s_cbranch_execz .LBB28_342
.LBB28_2392:
	v_cmp_ne_u16_e32 vcc, 0, v11
	s_andn2_b64 s[4:5], s[4:5], exec
	s_and_b64 s[8:9], vcc, exec
	v_mov_b32_e32 v14, 0
	s_or_b64 s[4:5], s[4:5], s[8:9]
	s_or_b64 exec, exec, s[6:7]
	s_and_saveexec_b64 s[6:7], s[4:5]
	s_cbranch_execnz .LBB28_343
	s_branch .LBB28_344
.LBB28_2393:
	s_movk_i32 s4, 0x80
	v_cmp_eq_u16_sdwa s[12:13], v16, s4 src0_sel:BYTE_3 src1_sel:DWORD
	s_mov_b64 s[4:5], -1
                                        ; implicit-def: $sgpr10
	s_and_saveexec_b64 s[8:9], s[12:13]
; %bb.2394:
	s_mov_b32 s10, 0x7f800001
	s_xor_b64 s[4:5], exec, -1
; %bb.2395:
	s_or_b64 exec, exec, s[8:9]
	s_and_b64 s[4:5], s[4:5], exec
	s_or_saveexec_b64 s[6:7], s[6:7]
	v_mov_b32_e32 v10, s10
	s_xor_b64 exec, exec, s[6:7]
	s_cbranch_execz .LBB28_346
.LBB28_2396:
	v_mov_b32_e32 v10, 0
	v_cmp_ne_u16_sdwa s[8:9], v16, v10 src0_sel:BYTE_3 src1_sel:DWORD
	s_andn2_b64 s[4:5], s[4:5], exec
	s_and_b64 s[8:9], s[8:9], exec
	s_or_b64 s[4:5], s[4:5], s[8:9]
	s_or_b64 exec, exec, s[6:7]
	s_and_saveexec_b64 s[6:7], s[4:5]
	s_cbranch_execnz .LBB28_347
	s_branch .LBB28_348
.LBB28_2397:
	s_movk_i32 s4, 0x80
	v_cmp_eq_u16_sdwa s[12:13], v12, s4 src0_sel:BYTE_3 src1_sel:DWORD
	s_mov_b64 s[4:5], -1
                                        ; implicit-def: $sgpr10
	s_and_saveexec_b64 s[8:9], s[12:13]
; %bb.2398:
	s_mov_b32 s10, 0x7f800001
	s_xor_b64 s[4:5], exec, -1
; %bb.2399:
	s_or_b64 exec, exec, s[8:9]
	s_and_b64 s[4:5], s[4:5], exec
	s_or_saveexec_b64 s[6:7], s[6:7]
	v_mov_b32_e32 v11, s10
	s_xor_b64 exec, exec, s[6:7]
	s_cbranch_execz .LBB28_350
.LBB28_2400:
	v_mov_b32_e32 v11, 0
	v_cmp_ne_u16_sdwa s[8:9], v12, v11 src0_sel:BYTE_3 src1_sel:DWORD
	s_andn2_b64 s[4:5], s[4:5], exec
	s_and_b64 s[8:9], s[8:9], exec
	s_or_b64 s[4:5], s[4:5], s[8:9]
	s_or_b64 exec, exec, s[6:7]
	s_and_saveexec_b64 s[6:7], s[4:5]
	s_cbranch_execnz .LBB28_351
	s_branch .LBB28_352
.LBB28_2401:
	s_movk_i32 s4, 0x80
	v_cmp_eq_u16_sdwa s[12:13], v17, s4 src0_sel:BYTE_0 src1_sel:DWORD
	s_mov_b64 s[4:5], -1
                                        ; implicit-def: $sgpr10
	s_and_saveexec_b64 s[8:9], s[12:13]
; %bb.2402:
	s_mov_b32 s10, 0x7f800001
	s_xor_b64 s[4:5], exec, -1
; %bb.2403:
	s_or_b64 exec, exec, s[8:9]
	s_and_b64 s[4:5], s[4:5], exec
	s_or_saveexec_b64 s[6:7], s[6:7]
	v_mov_b32_e32 v10, s10
	s_xor_b64 exec, exec, s[6:7]
	s_cbranch_execz .LBB28_354
.LBB28_2404:
	v_mov_b32_e32 v10, 0
	v_cmp_ne_u16_sdwa s[8:9], v17, v10 src0_sel:BYTE_0 src1_sel:DWORD
	s_andn2_b64 s[4:5], s[4:5], exec
	s_and_b64 s[8:9], s[8:9], exec
	s_or_b64 s[4:5], s[4:5], s[8:9]
	s_or_b64 exec, exec, s[6:7]
	s_and_saveexec_b64 s[6:7], s[4:5]
	s_cbranch_execnz .LBB28_355
	s_branch .LBB28_356
.LBB28_2405:
	s_movk_i32 s4, 0x80
	v_cmp_eq_u16_sdwa s[12:13], v13, s4 src0_sel:BYTE_0 src1_sel:DWORD
	s_mov_b64 s[4:5], -1
                                        ; implicit-def: $sgpr10
	s_and_saveexec_b64 s[8:9], s[12:13]
; %bb.2406:
	s_mov_b32 s10, 0x7f800001
	s_xor_b64 s[4:5], exec, -1
; %bb.2407:
	s_or_b64 exec, exec, s[8:9]
	s_and_b64 s[4:5], s[4:5], exec
	s_or_saveexec_b64 s[6:7], s[6:7]
	v_mov_b32_e32 v11, s10
	s_xor_b64 exec, exec, s[6:7]
	s_cbranch_execz .LBB28_358
.LBB28_2408:
	v_mov_b32_e32 v11, 0
	v_cmp_ne_u16_sdwa s[8:9], v13, v11 src0_sel:BYTE_0 src1_sel:DWORD
	s_andn2_b64 s[4:5], s[4:5], exec
	s_and_b64 s[8:9], s[8:9], exec
	s_or_b64 s[4:5], s[4:5], s[8:9]
	s_or_b64 exec, exec, s[6:7]
	s_and_saveexec_b64 s[6:7], s[4:5]
	s_cbranch_execnz .LBB28_359
	s_branch .LBB28_360
.LBB28_2409:
	s_movk_i32 s4, 0x80
	v_cmp_eq_u16_sdwa s[12:13], v11, s4 src0_sel:BYTE_0 src1_sel:DWORD
	s_mov_b64 s[4:5], -1
                                        ; implicit-def: $sgpr10
	s_and_saveexec_b64 s[8:9], s[12:13]
; %bb.2410:
	s_mov_b32 s10, 0x7f800001
	s_xor_b64 s[4:5], exec, -1
; %bb.2411:
	s_or_b64 exec, exec, s[8:9]
	s_and_b64 s[4:5], s[4:5], exec
	s_or_saveexec_b64 s[6:7], s[6:7]
	v_mov_b32_e32 v10, s10
	s_xor_b64 exec, exec, s[6:7]
	s_cbranch_execz .LBB28_362
.LBB28_2412:
	v_mov_b32_e32 v10, 0
	v_cmp_ne_u16_sdwa s[8:9], v11, v10 src0_sel:BYTE_0 src1_sel:DWORD
	s_andn2_b64 s[4:5], s[4:5], exec
	s_and_b64 s[8:9], s[8:9], exec
	s_or_b64 s[4:5], s[4:5], s[8:9]
	s_or_b64 exec, exec, s[6:7]
	s_and_saveexec_b64 s[6:7], s[4:5]
	s_cbranch_execnz .LBB28_363
	s_branch .LBB28_364
.LBB28_2413:
	s_movk_i32 s4, 0x80
	v_cmp_eq_u16_sdwa s[12:13], v11, s4 src0_sel:BYTE_0 src1_sel:DWORD
	s_mov_b64 s[4:5], -1
                                        ; implicit-def: $sgpr10
	s_and_saveexec_b64 s[8:9], s[12:13]
; %bb.2414:
	s_mov_b32 s10, 0x7f800001
	s_xor_b64 s[4:5], exec, -1
; %bb.2415:
	s_or_b64 exec, exec, s[8:9]
	s_and_b64 s[4:5], s[4:5], exec
	s_or_saveexec_b64 s[6:7], s[6:7]
	v_mov_b32_e32 v12, s10
	s_xor_b64 exec, exec, s[6:7]
	s_cbranch_execz .LBB28_366
.LBB28_2416:
	v_mov_b32_e32 v12, 0
	v_cmp_ne_u16_sdwa s[8:9], v11, v12 src0_sel:BYTE_0 src1_sel:DWORD
	s_andn2_b64 s[4:5], s[4:5], exec
	s_and_b64 s[8:9], s[8:9], exec
	s_or_b64 s[4:5], s[4:5], s[8:9]
	s_or_b64 exec, exec, s[6:7]
	s_and_saveexec_b64 s[6:7], s[4:5]
	s_cbranch_execnz .LBB28_367
	s_branch .LBB28_368
.LBB28_2417:
	s_movk_i32 s4, 0x80
	v_cmp_eq_u16_e32 vcc, s4, v11
	s_mov_b64 s[4:5], -1
                                        ; implicit-def: $sgpr10
	s_and_saveexec_b64 s[8:9], vcc
; %bb.2418:
	s_mov_b32 s10, 0x7f800001
	s_xor_b64 s[4:5], exec, -1
; %bb.2419:
	s_or_b64 exec, exec, s[8:9]
	s_and_b64 s[4:5], s[4:5], exec
                                        ; implicit-def: $vgpr11
	s_or_saveexec_b64 s[6:7], s[6:7]
	v_mov_b32_e32 v10, s10
	s_xor_b64 exec, exec, s[6:7]
	s_cbranch_execz .LBB28_370
.LBB28_2420:
	v_cmp_ne_u16_e32 vcc, 0, v11
	s_andn2_b64 s[4:5], s[4:5], exec
	s_and_b64 s[8:9], vcc, exec
	v_mov_b32_e32 v10, 0
	s_or_b64 s[4:5], s[4:5], s[8:9]
	s_or_b64 exec, exec, s[6:7]
	s_and_saveexec_b64 s[6:7], s[4:5]
	s_cbranch_execnz .LBB28_371
	s_branch .LBB28_372
.LBB28_2421:
	s_movk_i32 s4, 0x80
	v_cmp_eq_u16_e32 vcc, s4, v11
	s_mov_b64 s[4:5], -1
                                        ; implicit-def: $sgpr10
	s_and_saveexec_b64 s[8:9], vcc
; %bb.2422:
	s_mov_b32 s10, 0x7f800001
	s_xor_b64 s[4:5], exec, -1
; %bb.2423:
	s_or_b64 exec, exec, s[8:9]
	s_and_b64 s[4:5], s[4:5], exec
                                        ; implicit-def: $vgpr11
	s_or_saveexec_b64 s[6:7], s[6:7]
	v_mov_b32_e32 v12, s10
	s_xor_b64 exec, exec, s[6:7]
	s_cbranch_execz .LBB28_374
.LBB28_2424:
	v_cmp_ne_u16_e32 vcc, 0, v11
	s_andn2_b64 s[4:5], s[4:5], exec
	s_and_b64 s[8:9], vcc, exec
	v_mov_b32_e32 v12, 0
	s_or_b64 s[4:5], s[4:5], s[8:9]
	s_or_b64 exec, exec, s[6:7]
	s_and_saveexec_b64 s[6:7], s[4:5]
	s_cbranch_execnz .LBB28_375
	s_branch .LBB28_376
.LBB28_2425:
	s_movk_i32 s4, 0x80
	v_cmp_eq_u16_sdwa s[12:13], v17, s4 src0_sel:BYTE_3 src1_sel:DWORD
	s_mov_b64 s[4:5], -1
                                        ; implicit-def: $sgpr10
	s_and_saveexec_b64 s[8:9], s[12:13]
; %bb.2426:
	s_mov_b32 s10, 0x7f800001
	s_xor_b64 s[4:5], exec, -1
; %bb.2427:
	s_or_b64 exec, exec, s[8:9]
	s_and_b64 s[4:5], s[4:5], exec
	s_or_saveexec_b64 s[6:7], s[6:7]
	v_mov_b32_e32 v10, s10
	s_xor_b64 exec, exec, s[6:7]
	s_cbranch_execz .LBB28_378
.LBB28_2428:
	v_mov_b32_e32 v10, 0
	v_cmp_ne_u16_sdwa s[8:9], v17, v10 src0_sel:BYTE_3 src1_sel:DWORD
	s_andn2_b64 s[4:5], s[4:5], exec
	s_and_b64 s[8:9], s[8:9], exec
	s_or_b64 s[4:5], s[4:5], s[8:9]
	s_or_b64 exec, exec, s[6:7]
	s_and_saveexec_b64 s[6:7], s[4:5]
	s_cbranch_execnz .LBB28_379
	s_branch .LBB28_380
.LBB28_2429:
	s_movk_i32 s4, 0x80
	v_cmp_eq_u16_sdwa s[12:13], v13, s4 src0_sel:BYTE_3 src1_sel:DWORD
	s_mov_b64 s[4:5], -1
                                        ; implicit-def: $sgpr10
	s_and_saveexec_b64 s[8:9], s[12:13]
; %bb.2430:
	s_mov_b32 s10, 0x7f800001
	s_xor_b64 s[4:5], exec, -1
; %bb.2431:
	s_or_b64 exec, exec, s[8:9]
	s_and_b64 s[4:5], s[4:5], exec
	s_or_saveexec_b64 s[6:7], s[6:7]
	v_mov_b32_e32 v11, s10
	s_xor_b64 exec, exec, s[6:7]
	s_cbranch_execz .LBB28_382
.LBB28_2432:
	v_mov_b32_e32 v11, 0
	v_cmp_ne_u16_sdwa s[8:9], v13, v11 src0_sel:BYTE_3 src1_sel:DWORD
	s_andn2_b64 s[4:5], s[4:5], exec
	s_and_b64 s[8:9], s[8:9], exec
	s_or_b64 s[4:5], s[4:5], s[8:9]
	s_or_b64 exec, exec, s[6:7]
	s_and_saveexec_b64 s[6:7], s[4:5]
	s_cbranch_execnz .LBB28_383
	s_branch .LBB28_384
.LBB28_2433:
	s_movk_i32 s4, 0x80
	v_cmp_eq_u16_sdwa s[12:13], v6, s4 src0_sel:BYTE_0 src1_sel:DWORD
	s_mov_b64 s[4:5], -1
                                        ; implicit-def: $sgpr10
	s_and_saveexec_b64 s[8:9], s[12:13]
; %bb.2434:
	s_mov_b32 s10, 0x7f800001
	s_xor_b64 s[4:5], exec, -1
; %bb.2435:
	s_or_b64 exec, exec, s[8:9]
	s_and_b64 s[4:5], s[4:5], exec
	s_or_saveexec_b64 s[6:7], s[6:7]
	v_mov_b32_e32 v10, s10
	s_xor_b64 exec, exec, s[6:7]
	s_cbranch_execz .LBB28_386
.LBB28_2436:
	v_mov_b32_e32 v10, 0
	v_cmp_ne_u16_sdwa s[8:9], v6, v10 src0_sel:BYTE_0 src1_sel:DWORD
	s_andn2_b64 s[4:5], s[4:5], exec
	s_and_b64 s[8:9], s[8:9], exec
	s_or_b64 s[4:5], s[4:5], s[8:9]
	s_or_b64 exec, exec, s[6:7]
	s_and_saveexec_b64 s[6:7], s[4:5]
	s_cbranch_execnz .LBB28_387
	s_branch .LBB28_388
.LBB28_2437:
	s_movk_i32 s4, 0x80
	v_cmp_eq_u16_sdwa s[12:13], v2, s4 src0_sel:BYTE_0 src1_sel:DWORD
	s_mov_b64 s[4:5], -1
                                        ; implicit-def: $sgpr10
	s_and_saveexec_b64 s[8:9], s[12:13]
; %bb.2438:
	s_mov_b32 s10, 0x7f800001
	s_xor_b64 s[4:5], exec, -1
; %bb.2439:
	s_or_b64 exec, exec, s[8:9]
	s_and_b64 s[4:5], s[4:5], exec
	s_or_saveexec_b64 s[6:7], s[6:7]
	v_mov_b32_e32 v11, s10
	s_xor_b64 exec, exec, s[6:7]
	s_cbranch_execz .LBB28_390
.LBB28_2440:
	v_mov_b32_e32 v11, 0
	v_cmp_ne_u16_sdwa s[8:9], v2, v11 src0_sel:BYTE_0 src1_sel:DWORD
	s_andn2_b64 s[4:5], s[4:5], exec
	s_and_b64 s[8:9], s[8:9], exec
	s_or_b64 s[4:5], s[4:5], s[8:9]
	s_or_b64 exec, exec, s[6:7]
	s_and_saveexec_b64 s[6:7], s[4:5]
	s_cbranch_execnz .LBB28_391
	s_branch .LBB28_392
.LBB28_2441:
	s_movk_i32 s4, 0x80
	v_cmp_eq_u16_sdwa s[12:13], v11, s4 src0_sel:BYTE_0 src1_sel:DWORD
	s_mov_b64 s[4:5], -1
                                        ; implicit-def: $sgpr10
	s_and_saveexec_b64 s[8:9], s[12:13]
; %bb.2442:
	s_mov_b32 s10, 0x7f800001
	s_xor_b64 s[4:5], exec, -1
; %bb.2443:
	s_or_b64 exec, exec, s[8:9]
	s_and_b64 s[4:5], s[4:5], exec
	s_or_saveexec_b64 s[6:7], s[6:7]
	v_mov_b32_e32 v10, s10
	s_xor_b64 exec, exec, s[6:7]
	s_cbranch_execz .LBB28_394
.LBB28_2444:
	v_mov_b32_e32 v10, 0
	v_cmp_ne_u16_sdwa s[8:9], v11, v10 src0_sel:BYTE_0 src1_sel:DWORD
	s_andn2_b64 s[4:5], s[4:5], exec
	s_and_b64 s[8:9], s[8:9], exec
	s_or_b64 s[4:5], s[4:5], s[8:9]
	s_or_b64 exec, exec, s[6:7]
	s_and_saveexec_b64 s[6:7], s[4:5]
	s_cbranch_execnz .LBB28_395
	s_branch .LBB28_396
.LBB28_2445:
	s_movk_i32 s4, 0x80
	v_cmp_eq_u16_sdwa s[12:13], v11, s4 src0_sel:BYTE_0 src1_sel:DWORD
	s_mov_b64 s[4:5], -1
                                        ; implicit-def: $sgpr10
	s_and_saveexec_b64 s[8:9], s[12:13]
; %bb.2446:
	s_mov_b32 s10, 0x7f800001
	s_xor_b64 s[4:5], exec, -1
; %bb.2447:
	s_or_b64 exec, exec, s[8:9]
	s_and_b64 s[4:5], s[4:5], exec
	s_or_saveexec_b64 s[6:7], s[6:7]
	v_mov_b32_e32 v12, s10
	s_xor_b64 exec, exec, s[6:7]
	s_cbranch_execz .LBB28_398
.LBB28_2448:
	v_mov_b32_e32 v12, 0
	v_cmp_ne_u16_sdwa s[8:9], v11, v12 src0_sel:BYTE_0 src1_sel:DWORD
	s_andn2_b64 s[4:5], s[4:5], exec
	s_and_b64 s[8:9], s[8:9], exec
	s_or_b64 s[4:5], s[4:5], s[8:9]
	s_or_b64 exec, exec, s[6:7]
	s_and_saveexec_b64 s[6:7], s[4:5]
	s_cbranch_execnz .LBB28_399
	s_branch .LBB28_400
.LBB28_2449:
	s_movk_i32 s4, 0x80
	v_cmp_eq_u16_e32 vcc, s4, v11
	s_mov_b64 s[4:5], -1
                                        ; implicit-def: $sgpr10
	s_and_saveexec_b64 s[8:9], vcc
; %bb.2450:
	s_mov_b32 s10, 0x7f800001
	s_xor_b64 s[4:5], exec, -1
; %bb.2451:
	s_or_b64 exec, exec, s[8:9]
	s_and_b64 s[4:5], s[4:5], exec
                                        ; implicit-def: $vgpr11
	s_or_saveexec_b64 s[6:7], s[6:7]
	v_mov_b32_e32 v10, s10
	s_xor_b64 exec, exec, s[6:7]
	s_cbranch_execz .LBB28_402
.LBB28_2452:
	v_cmp_ne_u16_e32 vcc, 0, v11
	s_andn2_b64 s[4:5], s[4:5], exec
	s_and_b64 s[8:9], vcc, exec
	v_mov_b32_e32 v10, 0
	s_or_b64 s[4:5], s[4:5], s[8:9]
	s_or_b64 exec, exec, s[6:7]
	s_and_saveexec_b64 s[6:7], s[4:5]
	s_cbranch_execnz .LBB28_403
	s_branch .LBB28_404
.LBB28_2453:
	s_movk_i32 s4, 0x80
	v_cmp_eq_u16_e32 vcc, s4, v11
	s_mov_b64 s[4:5], -1
                                        ; implicit-def: $sgpr10
	s_and_saveexec_b64 s[8:9], vcc
; %bb.2454:
	s_mov_b32 s10, 0x7f800001
	s_xor_b64 s[4:5], exec, -1
; %bb.2455:
	s_or_b64 exec, exec, s[8:9]
	s_and_b64 s[4:5], s[4:5], exec
                                        ; implicit-def: $vgpr11
	s_or_saveexec_b64 s[6:7], s[6:7]
	v_mov_b32_e32 v12, s10
	s_xor_b64 exec, exec, s[6:7]
	s_cbranch_execz .LBB28_406
.LBB28_2456:
	v_cmp_ne_u16_e32 vcc, 0, v11
	s_andn2_b64 s[4:5], s[4:5], exec
	s_and_b64 s[8:9], vcc, exec
	v_mov_b32_e32 v12, 0
	s_or_b64 s[4:5], s[4:5], s[8:9]
	s_or_b64 exec, exec, s[6:7]
	s_and_saveexec_b64 s[6:7], s[4:5]
	s_cbranch_execnz .LBB28_407
	s_branch .LBB28_408
.LBB28_2457:
	s_movk_i32 s4, 0x80
	v_cmp_eq_u16_sdwa s[12:13], v6, s4 src0_sel:BYTE_3 src1_sel:DWORD
	s_mov_b64 s[4:5], -1
                                        ; implicit-def: $sgpr10
	s_and_saveexec_b64 s[8:9], s[12:13]
; %bb.2458:
	s_mov_b32 s10, 0x7f800001
	s_xor_b64 s[4:5], exec, -1
; %bb.2459:
	s_or_b64 exec, exec, s[8:9]
	s_and_b64 s[4:5], s[4:5], exec
	s_or_saveexec_b64 s[6:7], s[6:7]
	v_mov_b32_e32 v10, s10
	s_xor_b64 exec, exec, s[6:7]
	s_cbranch_execz .LBB28_410
.LBB28_2460:
	v_mov_b32_e32 v10, 0
	v_cmp_ne_u16_sdwa s[8:9], v6, v10 src0_sel:BYTE_3 src1_sel:DWORD
	s_andn2_b64 s[4:5], s[4:5], exec
	s_and_b64 s[8:9], s[8:9], exec
	s_or_b64 s[4:5], s[4:5], s[8:9]
	s_or_b64 exec, exec, s[6:7]
	s_and_saveexec_b64 s[6:7], s[4:5]
	s_cbranch_execnz .LBB28_411
	s_branch .LBB28_412
.LBB28_2461:
	s_movk_i32 s4, 0x80
	v_cmp_eq_u16_sdwa s[12:13], v2, s4 src0_sel:BYTE_3 src1_sel:DWORD
	s_mov_b64 s[4:5], -1
                                        ; implicit-def: $sgpr10
	s_and_saveexec_b64 s[8:9], s[12:13]
; %bb.2462:
	s_mov_b32 s10, 0x7f800001
	s_xor_b64 s[4:5], exec, -1
; %bb.2463:
	s_or_b64 exec, exec, s[8:9]
	s_and_b64 s[4:5], s[4:5], exec
	s_or_saveexec_b64 s[6:7], s[6:7]
	v_mov_b32_e32 v6, s10
	s_xor_b64 exec, exec, s[6:7]
	s_cbranch_execz .LBB28_414
.LBB28_2464:
	v_mov_b32_e32 v6, 0
	v_cmp_ne_u16_sdwa s[8:9], v2, v6 src0_sel:BYTE_3 src1_sel:DWORD
	s_andn2_b64 s[4:5], s[4:5], exec
	s_and_b64 s[8:9], s[8:9], exec
	s_or_b64 s[4:5], s[4:5], s[8:9]
	s_or_b64 exec, exec, s[6:7]
	s_and_saveexec_b64 s[6:7], s[4:5]
	s_cbranch_execnz .LBB28_415
	s_branch .LBB28_416
.LBB28_2465:
	s_movk_i32 s4, 0x80
	v_cmp_eq_u16_sdwa s[12:13], v7, s4 src0_sel:BYTE_0 src1_sel:DWORD
	s_mov_b64 s[4:5], -1
                                        ; implicit-def: $sgpr10
	s_and_saveexec_b64 s[8:9], s[12:13]
; %bb.2466:
	s_mov_b32 s10, 0x7f800001
	s_xor_b64 s[4:5], exec, -1
; %bb.2467:
	s_or_b64 exec, exec, s[8:9]
	s_and_b64 s[4:5], s[4:5], exec
	s_or_saveexec_b64 s[6:7], s[6:7]
	v_mov_b32_e32 v2, s10
	s_xor_b64 exec, exec, s[6:7]
	s_cbranch_execz .LBB28_418
.LBB28_2468:
	v_mov_b32_e32 v2, 0
	v_cmp_ne_u16_sdwa s[8:9], v7, v2 src0_sel:BYTE_0 src1_sel:DWORD
	s_andn2_b64 s[4:5], s[4:5], exec
	s_and_b64 s[8:9], s[8:9], exec
	s_or_b64 s[4:5], s[4:5], s[8:9]
	s_or_b64 exec, exec, s[6:7]
	s_and_saveexec_b64 s[6:7], s[4:5]
	s_cbranch_execnz .LBB28_419
	s_branch .LBB28_420
.LBB28_2469:
	s_movk_i32 s4, 0x80
	v_cmp_eq_u16_sdwa s[12:13], v3, s4 src0_sel:BYTE_0 src1_sel:DWORD
	s_mov_b64 s[4:5], -1
                                        ; implicit-def: $sgpr10
	s_and_saveexec_b64 s[8:9], s[12:13]
; %bb.2470:
	s_mov_b32 s10, 0x7f800001
	s_xor_b64 s[4:5], exec, -1
; %bb.2471:
	s_or_b64 exec, exec, s[8:9]
	s_and_b64 s[4:5], s[4:5], exec
	s_or_saveexec_b64 s[6:7], s[6:7]
	v_mov_b32_e32 v6, s10
	s_xor_b64 exec, exec, s[6:7]
	s_cbranch_execz .LBB28_422
.LBB28_2472:
	v_mov_b32_e32 v6, 0
	v_cmp_ne_u16_sdwa s[8:9], v3, v6 src0_sel:BYTE_0 src1_sel:DWORD
	s_andn2_b64 s[4:5], s[4:5], exec
	s_and_b64 s[8:9], s[8:9], exec
	s_or_b64 s[4:5], s[4:5], s[8:9]
	s_or_b64 exec, exec, s[6:7]
	s_and_saveexec_b64 s[6:7], s[4:5]
	s_cbranch_execnz .LBB28_423
	s_branch .LBB28_424
.LBB28_2473:
	s_movk_i32 s4, 0x80
	v_cmp_eq_u16_sdwa s[12:13], v6, s4 src0_sel:BYTE_0 src1_sel:DWORD
	s_mov_b64 s[4:5], -1
                                        ; implicit-def: $sgpr10
	s_and_saveexec_b64 s[8:9], s[12:13]
; %bb.2474:
	s_mov_b32 s10, 0x7f800001
	s_xor_b64 s[4:5], exec, -1
; %bb.2475:
	s_or_b64 exec, exec, s[8:9]
	s_and_b64 s[4:5], s[4:5], exec
	s_or_saveexec_b64 s[6:7], s[6:7]
	v_mov_b32_e32 v2, s10
	s_xor_b64 exec, exec, s[6:7]
	s_cbranch_execz .LBB28_426
.LBB28_2476:
	v_mov_b32_e32 v2, 0
	v_cmp_ne_u16_sdwa s[8:9], v6, v2 src0_sel:BYTE_0 src1_sel:DWORD
	s_andn2_b64 s[4:5], s[4:5], exec
	s_and_b64 s[8:9], s[8:9], exec
	s_or_b64 s[4:5], s[4:5], s[8:9]
	s_or_b64 exec, exec, s[6:7]
	s_and_saveexec_b64 s[6:7], s[4:5]
	s_cbranch_execnz .LBB28_427
	s_branch .LBB28_428
.LBB28_2477:
	s_movk_i32 s4, 0x80
	v_cmp_eq_u16_sdwa s[12:13], v6, s4 src0_sel:BYTE_0 src1_sel:DWORD
	s_mov_b64 s[4:5], -1
                                        ; implicit-def: $sgpr10
	s_and_saveexec_b64 s[8:9], s[12:13]
; %bb.2478:
	s_mov_b32 s10, 0x7f800001
	s_xor_b64 s[4:5], exec, -1
; %bb.2479:
	s_or_b64 exec, exec, s[8:9]
	s_and_b64 s[4:5], s[4:5], exec
	s_or_saveexec_b64 s[6:7], s[6:7]
	v_mov_b32_e32 v10, s10
	s_xor_b64 exec, exec, s[6:7]
	s_cbranch_execz .LBB28_430
.LBB28_2480:
	v_mov_b32_e32 v10, 0
	v_cmp_ne_u16_sdwa s[8:9], v6, v10 src0_sel:BYTE_0 src1_sel:DWORD
	s_andn2_b64 s[4:5], s[4:5], exec
	s_and_b64 s[8:9], s[8:9], exec
	s_or_b64 s[4:5], s[4:5], s[8:9]
	s_or_b64 exec, exec, s[6:7]
	s_and_saveexec_b64 s[6:7], s[4:5]
	s_cbranch_execnz .LBB28_431
	s_branch .LBB28_432
.LBB28_2481:
	s_movk_i32 s4, 0x80
	v_cmp_eq_u16_e32 vcc, s4, v6
	s_mov_b64 s[4:5], -1
                                        ; implicit-def: $sgpr10
	s_and_saveexec_b64 s[8:9], vcc
; %bb.2482:
	s_mov_b32 s10, 0x7f800001
	s_xor_b64 s[4:5], exec, -1
; %bb.2483:
	s_or_b64 exec, exec, s[8:9]
	s_and_b64 s[4:5], s[4:5], exec
                                        ; implicit-def: $vgpr6
	s_or_saveexec_b64 s[6:7], s[6:7]
	v_mov_b32_e32 v2, s10
	s_xor_b64 exec, exec, s[6:7]
	s_cbranch_execz .LBB28_434
.LBB28_2484:
	v_cmp_ne_u16_e32 vcc, 0, v6
	s_andn2_b64 s[4:5], s[4:5], exec
	s_and_b64 s[8:9], vcc, exec
	v_mov_b32_e32 v2, 0
	s_or_b64 s[4:5], s[4:5], s[8:9]
	s_or_b64 exec, exec, s[6:7]
	s_and_saveexec_b64 s[6:7], s[4:5]
	s_cbranch_execnz .LBB28_435
	s_branch .LBB28_436
.LBB28_2485:
	s_movk_i32 s4, 0x80
	v_cmp_eq_u16_e32 vcc, s4, v6
	s_mov_b64 s[4:5], -1
                                        ; implicit-def: $sgpr10
	s_and_saveexec_b64 s[8:9], vcc
; %bb.2486:
	s_mov_b32 s10, 0x7f800001
	s_xor_b64 s[4:5], exec, -1
; %bb.2487:
	s_or_b64 exec, exec, s[8:9]
	s_and_b64 s[4:5], s[4:5], exec
                                        ; implicit-def: $vgpr6
	s_or_saveexec_b64 s[6:7], s[6:7]
	v_mov_b32_e32 v10, s10
	s_xor_b64 exec, exec, s[6:7]
	s_cbranch_execz .LBB28_438
.LBB28_2488:
	v_cmp_ne_u16_e32 vcc, 0, v6
	s_andn2_b64 s[4:5], s[4:5], exec
	s_and_b64 s[8:9], vcc, exec
	v_mov_b32_e32 v10, 0
	s_or_b64 s[4:5], s[4:5], s[8:9]
	s_or_b64 exec, exec, s[6:7]
	s_and_saveexec_b64 s[6:7], s[4:5]
	s_cbranch_execnz .LBB28_439
	s_branch .LBB28_440
.LBB28_2489:
	s_movk_i32 s4, 0x80
	v_cmp_eq_u16_sdwa s[12:13], v7, s4 src0_sel:BYTE_3 src1_sel:DWORD
	s_mov_b64 s[4:5], -1
                                        ; implicit-def: $sgpr10
	s_and_saveexec_b64 s[8:9], s[12:13]
; %bb.2490:
	s_mov_b32 s10, 0x7f800001
	s_xor_b64 s[4:5], exec, -1
; %bb.2491:
	s_or_b64 exec, exec, s[8:9]
	s_and_b64 s[4:5], s[4:5], exec
	s_or_saveexec_b64 s[6:7], s[6:7]
	v_mov_b32_e32 v2, s10
	s_xor_b64 exec, exec, s[6:7]
	s_cbranch_execz .LBB28_442
.LBB28_2492:
	v_mov_b32_e32 v2, 0
	v_cmp_ne_u16_sdwa s[8:9], v7, v2 src0_sel:BYTE_3 src1_sel:DWORD
	s_andn2_b64 s[4:5], s[4:5], exec
	s_and_b64 s[8:9], s[8:9], exec
	s_or_b64 s[4:5], s[4:5], s[8:9]
	s_or_b64 exec, exec, s[6:7]
	s_and_saveexec_b64 s[6:7], s[4:5]
	s_cbranch_execnz .LBB28_443
	s_branch .LBB28_444
.LBB28_2493:
	s_movk_i32 s4, 0x80
	v_cmp_eq_u16_sdwa s[12:13], v3, s4 src0_sel:BYTE_3 src1_sel:DWORD
	s_mov_b64 s[4:5], -1
                                        ; implicit-def: $sgpr10
	s_and_saveexec_b64 s[8:9], s[12:13]
; %bb.2494:
	s_mov_b32 s10, 0x7f800001
	s_xor_b64 s[4:5], exec, -1
; %bb.2495:
	s_or_b64 exec, exec, s[8:9]
	s_and_b64 s[4:5], s[4:5], exec
	s_or_saveexec_b64 s[6:7], s[6:7]
	v_mov_b32_e32 v6, s10
	s_xor_b64 exec, exec, s[6:7]
	s_cbranch_execz .LBB28_446
.LBB28_2496:
	v_mov_b32_e32 v6, 0
	v_cmp_ne_u16_sdwa s[8:9], v3, v6 src0_sel:BYTE_3 src1_sel:DWORD
	s_andn2_b64 s[4:5], s[4:5], exec
	s_and_b64 s[8:9], s[8:9], exec
	s_or_b64 s[4:5], s[4:5], s[8:9]
	s_or_b64 exec, exec, s[6:7]
	s_and_saveexec_b64 s[6:7], s[4:5]
	s_cbranch_execnz .LBB28_447
	s_branch .LBB28_448
.LBB28_2497:
	s_movk_i32 s4, 0x80
	v_cmp_eq_u16_sdwa s[12:13], v8, s4 src0_sel:BYTE_0 src1_sel:DWORD
	s_mov_b64 s[4:5], -1
                                        ; implicit-def: $sgpr10
	s_and_saveexec_b64 s[8:9], s[12:13]
; %bb.2498:
	s_mov_b32 s10, 0x7f800001
	s_xor_b64 s[4:5], exec, -1
; %bb.2499:
	s_or_b64 exec, exec, s[8:9]
	s_and_b64 s[4:5], s[4:5], exec
	s_or_saveexec_b64 s[6:7], s[6:7]
	v_mov_b32_e32 v2, s10
	s_xor_b64 exec, exec, s[6:7]
	s_cbranch_execz .LBB28_450
.LBB28_2500:
	v_mov_b32_e32 v2, 0
	v_cmp_ne_u16_sdwa s[8:9], v8, v2 src0_sel:BYTE_0 src1_sel:DWORD
	s_andn2_b64 s[4:5], s[4:5], exec
	s_and_b64 s[8:9], s[8:9], exec
	s_or_b64 s[4:5], s[4:5], s[8:9]
	s_or_b64 exec, exec, s[6:7]
	s_and_saveexec_b64 s[6:7], s[4:5]
	s_cbranch_execnz .LBB28_451
	s_branch .LBB28_452
.LBB28_2501:
	s_movk_i32 s4, 0x80
	v_cmp_eq_u16_sdwa s[12:13], v4, s4 src0_sel:BYTE_0 src1_sel:DWORD
	s_mov_b64 s[4:5], -1
                                        ; implicit-def: $sgpr10
	s_and_saveexec_b64 s[8:9], s[12:13]
; %bb.2502:
	s_mov_b32 s10, 0x7f800001
	s_xor_b64 s[4:5], exec, -1
; %bb.2503:
	s_or_b64 exec, exec, s[8:9]
	s_and_b64 s[4:5], s[4:5], exec
	s_or_saveexec_b64 s[6:7], s[6:7]
	v_mov_b32_e32 v3, s10
	s_xor_b64 exec, exec, s[6:7]
	s_cbranch_execz .LBB28_454
.LBB28_2504:
	v_mov_b32_e32 v3, 0
	v_cmp_ne_u16_sdwa s[8:9], v4, v3 src0_sel:BYTE_0 src1_sel:DWORD
	s_andn2_b64 s[4:5], s[4:5], exec
	s_and_b64 s[8:9], s[8:9], exec
	s_or_b64 s[4:5], s[4:5], s[8:9]
	s_or_b64 exec, exec, s[6:7]
	s_and_saveexec_b64 s[6:7], s[4:5]
	s_cbranch_execnz .LBB28_455
	s_branch .LBB28_456
.LBB28_2505:
	s_movk_i32 s4, 0x80
	v_cmp_eq_u16_sdwa s[12:13], v3, s4 src0_sel:BYTE_0 src1_sel:DWORD
	s_mov_b64 s[4:5], -1
                                        ; implicit-def: $sgpr10
	s_and_saveexec_b64 s[8:9], s[12:13]
; %bb.2506:
	s_mov_b32 s10, 0x7f800001
	s_xor_b64 s[4:5], exec, -1
; %bb.2507:
	s_or_b64 exec, exec, s[8:9]
	s_and_b64 s[4:5], s[4:5], exec
	s_or_saveexec_b64 s[6:7], s[6:7]
	v_mov_b32_e32 v2, s10
	s_xor_b64 exec, exec, s[6:7]
	s_cbranch_execz .LBB28_458
.LBB28_2508:
	v_mov_b32_e32 v2, 0
	v_cmp_ne_u16_sdwa s[8:9], v3, v2 src0_sel:BYTE_0 src1_sel:DWORD
	s_andn2_b64 s[4:5], s[4:5], exec
	s_and_b64 s[8:9], s[8:9], exec
	s_or_b64 s[4:5], s[4:5], s[8:9]
	s_or_b64 exec, exec, s[6:7]
	s_and_saveexec_b64 s[6:7], s[4:5]
	s_cbranch_execnz .LBB28_459
	s_branch .LBB28_460
.LBB28_2509:
	s_movk_i32 s4, 0x80
	v_cmp_eq_u16_sdwa s[12:13], v3, s4 src0_sel:BYTE_0 src1_sel:DWORD
	s_mov_b64 s[4:5], -1
                                        ; implicit-def: $sgpr10
	s_and_saveexec_b64 s[8:9], s[12:13]
; %bb.2510:
	s_mov_b32 s10, 0x7f800001
	s_xor_b64 s[4:5], exec, -1
; %bb.2511:
	s_or_b64 exec, exec, s[8:9]
	s_and_b64 s[4:5], s[4:5], exec
	s_or_saveexec_b64 s[6:7], s[6:7]
	v_mov_b32_e32 v6, s10
	s_xor_b64 exec, exec, s[6:7]
	s_cbranch_execz .LBB28_462
.LBB28_2512:
	v_mov_b32_e32 v6, 0
	v_cmp_ne_u16_sdwa s[8:9], v3, v6 src0_sel:BYTE_0 src1_sel:DWORD
	s_andn2_b64 s[4:5], s[4:5], exec
	s_and_b64 s[8:9], s[8:9], exec
	s_or_b64 s[4:5], s[4:5], s[8:9]
	s_or_b64 exec, exec, s[6:7]
	s_and_saveexec_b64 s[6:7], s[4:5]
	s_cbranch_execnz .LBB28_463
	s_branch .LBB28_464
.LBB28_2513:
	s_movk_i32 s4, 0x80
	v_cmp_eq_u16_e32 vcc, s4, v3
	s_mov_b64 s[4:5], -1
                                        ; implicit-def: $sgpr10
	s_and_saveexec_b64 s[8:9], vcc
; %bb.2514:
	s_mov_b32 s10, 0x7f800001
	s_xor_b64 s[4:5], exec, -1
; %bb.2515:
	s_or_b64 exec, exec, s[8:9]
	s_and_b64 s[4:5], s[4:5], exec
                                        ; implicit-def: $vgpr3
	s_or_saveexec_b64 s[6:7], s[6:7]
	v_mov_b32_e32 v2, s10
	s_xor_b64 exec, exec, s[6:7]
	s_cbranch_execz .LBB28_466
.LBB28_2516:
	v_cmp_ne_u16_e32 vcc, 0, v3
	s_andn2_b64 s[4:5], s[4:5], exec
	s_and_b64 s[8:9], vcc, exec
	v_mov_b32_e32 v2, 0
	s_or_b64 s[4:5], s[4:5], s[8:9]
	s_or_b64 exec, exec, s[6:7]
	s_and_saveexec_b64 s[6:7], s[4:5]
	s_cbranch_execnz .LBB28_467
	s_branch .LBB28_468
.LBB28_2517:
	s_movk_i32 s4, 0x80
	v_cmp_eq_u16_e32 vcc, s4, v3
	s_mov_b64 s[4:5], -1
                                        ; implicit-def: $sgpr10
	s_and_saveexec_b64 s[8:9], vcc
; %bb.2518:
	s_mov_b32 s10, 0x7f800001
	s_xor_b64 s[4:5], exec, -1
; %bb.2519:
	s_or_b64 exec, exec, s[8:9]
	s_and_b64 s[4:5], s[4:5], exec
                                        ; implicit-def: $vgpr3
	s_or_saveexec_b64 s[6:7], s[6:7]
	v_mov_b32_e32 v6, s10
	s_xor_b64 exec, exec, s[6:7]
	s_cbranch_execz .LBB28_470
.LBB28_2520:
	v_cmp_ne_u16_e32 vcc, 0, v3
	s_andn2_b64 s[4:5], s[4:5], exec
	s_and_b64 s[8:9], vcc, exec
	v_mov_b32_e32 v6, 0
	s_or_b64 s[4:5], s[4:5], s[8:9]
	s_or_b64 exec, exec, s[6:7]
	s_and_saveexec_b64 s[6:7], s[4:5]
	s_cbranch_execnz .LBB28_471
	s_branch .LBB28_472
.LBB28_2521:
	s_movk_i32 s4, 0x80
	v_cmp_eq_u16_sdwa s[12:13], v8, s4 src0_sel:BYTE_3 src1_sel:DWORD
	s_mov_b64 s[4:5], -1
                                        ; implicit-def: $sgpr10
	s_and_saveexec_b64 s[8:9], s[12:13]
; %bb.2522:
	s_mov_b32 s10, 0x7f800001
	s_xor_b64 s[4:5], exec, -1
; %bb.2523:
	s_or_b64 exec, exec, s[8:9]
	s_and_b64 s[4:5], s[4:5], exec
	s_or_saveexec_b64 s[6:7], s[6:7]
	v_mov_b32_e32 v2, s10
	s_xor_b64 exec, exec, s[6:7]
	s_cbranch_execz .LBB28_474
.LBB28_2524:
	v_mov_b32_e32 v2, 0
	v_cmp_ne_u16_sdwa s[8:9], v8, v2 src0_sel:BYTE_3 src1_sel:DWORD
	s_andn2_b64 s[4:5], s[4:5], exec
	s_and_b64 s[8:9], s[8:9], exec
	s_or_b64 s[4:5], s[4:5], s[8:9]
	s_or_b64 exec, exec, s[6:7]
	s_and_saveexec_b64 s[6:7], s[4:5]
	s_cbranch_execnz .LBB28_475
	s_branch .LBB28_476
.LBB28_2525:
	s_movk_i32 s4, 0x80
	v_cmp_eq_u16_sdwa s[12:13], v4, s4 src0_sel:BYTE_3 src1_sel:DWORD
	s_mov_b64 s[4:5], -1
                                        ; implicit-def: $sgpr10
	s_and_saveexec_b64 s[8:9], s[12:13]
; %bb.2526:
	s_mov_b32 s10, 0x7f800001
	s_xor_b64 s[4:5], exec, -1
; %bb.2527:
	s_or_b64 exec, exec, s[8:9]
	s_and_b64 s[4:5], s[4:5], exec
	s_or_saveexec_b64 s[6:7], s[6:7]
	v_mov_b32_e32 v3, s10
	s_xor_b64 exec, exec, s[6:7]
	s_cbranch_execz .LBB28_478
.LBB28_2528:
	v_mov_b32_e32 v3, 0
	v_cmp_ne_u16_sdwa s[8:9], v4, v3 src0_sel:BYTE_3 src1_sel:DWORD
	s_andn2_b64 s[4:5], s[4:5], exec
	s_and_b64 s[8:9], s[8:9], exec
	s_or_b64 s[4:5], s[4:5], s[8:9]
	s_or_b64 exec, exec, s[6:7]
	s_and_saveexec_b64 s[6:7], s[4:5]
	s_cbranch_execnz .LBB28_479
	s_branch .LBB28_480
.LBB28_2529:
	s_movk_i32 s4, 0x80
	v_cmp_eq_u16_sdwa s[12:13], v9, s4 src0_sel:BYTE_0 src1_sel:DWORD
	s_mov_b64 s[4:5], -1
                                        ; implicit-def: $sgpr10
	s_and_saveexec_b64 s[8:9], s[12:13]
; %bb.2530:
	s_mov_b32 s10, 0x7f800001
	s_xor_b64 s[4:5], exec, -1
; %bb.2531:
	s_or_b64 exec, exec, s[8:9]
	s_and_b64 s[4:5], s[4:5], exec
	s_or_saveexec_b64 s[6:7], s[6:7]
	v_mov_b32_e32 v2, s10
	s_xor_b64 exec, exec, s[6:7]
	s_cbranch_execz .LBB28_482
.LBB28_2532:
	v_mov_b32_e32 v2, 0
	v_cmp_ne_u16_sdwa s[8:9], v9, v2 src0_sel:BYTE_0 src1_sel:DWORD
	s_andn2_b64 s[4:5], s[4:5], exec
	s_and_b64 s[8:9], s[8:9], exec
	s_or_b64 s[4:5], s[4:5], s[8:9]
	s_or_b64 exec, exec, s[6:7]
	s_and_saveexec_b64 s[6:7], s[4:5]
	s_cbranch_execnz .LBB28_483
	s_branch .LBB28_484
.LBB28_2533:
	s_movk_i32 s4, 0x80
	v_cmp_eq_u16_sdwa s[12:13], v5, s4 src0_sel:BYTE_0 src1_sel:DWORD
	s_mov_b64 s[4:5], -1
                                        ; implicit-def: $sgpr10
	s_and_saveexec_b64 s[8:9], s[12:13]
; %bb.2534:
	s_mov_b32 s10, 0x7f800001
	s_xor_b64 s[4:5], exec, -1
; %bb.2535:
	s_or_b64 exec, exec, s[8:9]
	s_and_b64 s[4:5], s[4:5], exec
	s_or_saveexec_b64 s[6:7], s[6:7]
	v_mov_b32_e32 v3, s10
	s_xor_b64 exec, exec, s[6:7]
	s_cbranch_execz .LBB28_486
.LBB28_2536:
	v_mov_b32_e32 v3, 0
	v_cmp_ne_u16_sdwa s[8:9], v5, v3 src0_sel:BYTE_0 src1_sel:DWORD
	s_andn2_b64 s[4:5], s[4:5], exec
	s_and_b64 s[8:9], s[8:9], exec
	s_or_b64 s[4:5], s[4:5], s[8:9]
	s_or_b64 exec, exec, s[6:7]
	s_and_saveexec_b64 s[6:7], s[4:5]
	s_cbranch_execnz .LBB28_487
	s_branch .LBB28_488
.LBB28_2537:
	s_movk_i32 s4, 0x80
	v_cmp_eq_u16_sdwa s[12:13], v3, s4 src0_sel:BYTE_0 src1_sel:DWORD
	s_mov_b64 s[4:5], -1
                                        ; implicit-def: $sgpr10
	s_and_saveexec_b64 s[8:9], s[12:13]
; %bb.2538:
	s_mov_b32 s10, 0x7f800001
	s_xor_b64 s[4:5], exec, -1
; %bb.2539:
	s_or_b64 exec, exec, s[8:9]
	s_and_b64 s[4:5], s[4:5], exec
	s_or_saveexec_b64 s[6:7], s[6:7]
	v_mov_b32_e32 v2, s10
	s_xor_b64 exec, exec, s[6:7]
	s_cbranch_execz .LBB28_490
.LBB28_2540:
	v_mov_b32_e32 v2, 0
	v_cmp_ne_u16_sdwa s[8:9], v3, v2 src0_sel:BYTE_0 src1_sel:DWORD
	s_andn2_b64 s[4:5], s[4:5], exec
	s_and_b64 s[8:9], s[8:9], exec
	s_or_b64 s[4:5], s[4:5], s[8:9]
	s_or_b64 exec, exec, s[6:7]
	s_and_saveexec_b64 s[6:7], s[4:5]
	s_cbranch_execnz .LBB28_491
	s_branch .LBB28_492
.LBB28_2541:
	s_movk_i32 s4, 0x80
	v_cmp_eq_u16_sdwa s[12:13], v3, s4 src0_sel:BYTE_0 src1_sel:DWORD
	s_mov_b64 s[4:5], -1
                                        ; implicit-def: $sgpr10
	s_and_saveexec_b64 s[8:9], s[12:13]
; %bb.2542:
	s_mov_b32 s10, 0x7f800001
	s_xor_b64 s[4:5], exec, -1
; %bb.2543:
	s_or_b64 exec, exec, s[8:9]
	s_and_b64 s[4:5], s[4:5], exec
	s_or_saveexec_b64 s[6:7], s[6:7]
	v_mov_b32_e32 v4, s10
	s_xor_b64 exec, exec, s[6:7]
	s_cbranch_execz .LBB28_494
.LBB28_2544:
	v_mov_b32_e32 v4, 0
	v_cmp_ne_u16_sdwa s[8:9], v3, v4 src0_sel:BYTE_0 src1_sel:DWORD
	s_andn2_b64 s[4:5], s[4:5], exec
	s_and_b64 s[8:9], s[8:9], exec
	s_or_b64 s[4:5], s[4:5], s[8:9]
	s_or_b64 exec, exec, s[6:7]
	s_and_saveexec_b64 s[6:7], s[4:5]
	s_cbranch_execnz .LBB28_495
	s_branch .LBB28_496
.LBB28_2545:
	s_movk_i32 s4, 0x80
	v_cmp_eq_u16_e32 vcc, s4, v3
	s_mov_b64 s[4:5], -1
                                        ; implicit-def: $sgpr10
	s_and_saveexec_b64 s[8:9], vcc
; %bb.2546:
	s_mov_b32 s10, 0x7f800001
	s_xor_b64 s[4:5], exec, -1
; %bb.2547:
	s_or_b64 exec, exec, s[8:9]
	s_and_b64 s[4:5], s[4:5], exec
                                        ; implicit-def: $vgpr3
	s_or_saveexec_b64 s[6:7], s[6:7]
	v_mov_b32_e32 v2, s10
	s_xor_b64 exec, exec, s[6:7]
	s_cbranch_execz .LBB28_498
.LBB28_2548:
	v_cmp_ne_u16_e32 vcc, 0, v3
	s_andn2_b64 s[4:5], s[4:5], exec
	s_and_b64 s[8:9], vcc, exec
	v_mov_b32_e32 v2, 0
	s_or_b64 s[4:5], s[4:5], s[8:9]
	s_or_b64 exec, exec, s[6:7]
	s_and_saveexec_b64 s[6:7], s[4:5]
	s_cbranch_execnz .LBB28_499
	s_branch .LBB28_500
.LBB28_2549:
	s_movk_i32 s4, 0x80
	v_cmp_eq_u16_e32 vcc, s4, v3
	s_mov_b64 s[4:5], -1
                                        ; implicit-def: $sgpr10
	s_and_saveexec_b64 s[8:9], vcc
; %bb.2550:
	s_mov_b32 s10, 0x7f800001
	s_xor_b64 s[4:5], exec, -1
; %bb.2551:
	s_or_b64 exec, exec, s[8:9]
	s_and_b64 s[4:5], s[4:5], exec
                                        ; implicit-def: $vgpr3
	s_or_saveexec_b64 s[6:7], s[6:7]
	v_mov_b32_e32 v4, s10
	s_xor_b64 exec, exec, s[6:7]
	s_cbranch_execz .LBB28_502
.LBB28_2552:
	v_cmp_ne_u16_e32 vcc, 0, v3
	s_andn2_b64 s[4:5], s[4:5], exec
	s_and_b64 s[8:9], vcc, exec
	v_mov_b32_e32 v4, 0
	s_or_b64 s[4:5], s[4:5], s[8:9]
	s_or_b64 exec, exec, s[6:7]
	s_and_saveexec_b64 s[6:7], s[4:5]
	s_cbranch_execnz .LBB28_503
	s_branch .LBB28_504
.LBB28_2553:
	s_movk_i32 s4, 0x80
	v_cmp_eq_u16_sdwa s[12:13], v9, s4 src0_sel:BYTE_3 src1_sel:DWORD
	s_mov_b64 s[4:5], -1
                                        ; implicit-def: $sgpr10
	s_and_saveexec_b64 s[8:9], s[12:13]
; %bb.2554:
	s_mov_b32 s10, 0x7f800001
	s_xor_b64 s[4:5], exec, -1
; %bb.2555:
	s_or_b64 exec, exec, s[8:9]
	s_and_b64 s[4:5], s[4:5], exec
	s_or_saveexec_b64 s[6:7], s[6:7]
	v_mov_b32_e32 v2, s10
	s_xor_b64 exec, exec, s[6:7]
	s_cbranch_execz .LBB28_506
.LBB28_2556:
	v_mov_b32_e32 v2, 0
	v_cmp_ne_u16_sdwa s[8:9], v9, v2 src0_sel:BYTE_3 src1_sel:DWORD
	s_andn2_b64 s[4:5], s[4:5], exec
	s_and_b64 s[8:9], s[8:9], exec
	s_or_b64 s[4:5], s[4:5], s[8:9]
	s_or_b64 exec, exec, s[6:7]
	s_and_saveexec_b64 s[6:7], s[4:5]
	s_cbranch_execnz .LBB28_507
	s_branch .LBB28_508
.LBB28_2557:
	s_movk_i32 s4, 0x80
	v_cmp_eq_u16_sdwa s[12:13], v5, s4 src0_sel:BYTE_3 src1_sel:DWORD
	s_mov_b64 s[4:5], -1
                                        ; implicit-def: $sgpr10
	s_and_saveexec_b64 s[8:9], s[12:13]
; %bb.2558:
	s_mov_b32 s10, 0x7f800001
	s_xor_b64 s[4:5], exec, -1
; %bb.2559:
	s_or_b64 exec, exec, s[8:9]
	s_and_b64 s[4:5], s[4:5], exec
	s_or_saveexec_b64 s[6:7], s[6:7]
	v_mov_b32_e32 v3, s10
	s_xor_b64 exec, exec, s[6:7]
	s_cbranch_execz .LBB28_510
.LBB28_2560:
	v_mov_b32_e32 v3, 0
	v_cmp_ne_u16_sdwa s[8:9], v5, v3 src0_sel:BYTE_3 src1_sel:DWORD
	s_andn2_b64 s[4:5], s[4:5], exec
	s_and_b64 s[8:9], s[8:9], exec
	s_or_b64 s[4:5], s[4:5], s[8:9]
	s_or_b64 exec, exec, s[6:7]
	s_and_saveexec_b64 s[6:7], s[4:5]
	s_cbranch_execnz .LBB28_511
	s_branch .LBB28_512
.LBB28_2561:
	s_movk_i32 s4, 0x80
	v_cmp_eq_u16_sdwa s[12:13], v14, s4 src0_sel:BYTE_0 src1_sel:DWORD
	s_mov_b64 s[4:5], -1
                                        ; implicit-def: $sgpr10
	s_and_saveexec_b64 s[8:9], s[12:13]
; %bb.2562:
	s_mov_b32 s10, 0x7f800001
	s_xor_b64 s[4:5], exec, -1
; %bb.2563:
	s_or_b64 exec, exec, s[8:9]
	s_and_b64 s[4:5], s[4:5], exec
	s_or_saveexec_b64 s[6:7], s[6:7]
	v_mov_b32_e32 v20, s10
	s_xor_b64 exec, exec, s[6:7]
	s_cbranch_execz .LBB28_514
.LBB28_2564:
	v_mov_b32_e32 v20, 0
	v_cmp_ne_u16_sdwa s[8:9], v14, v20 src0_sel:BYTE_0 src1_sel:DWORD
	s_andn2_b64 s[4:5], s[4:5], exec
	s_and_b64 s[8:9], s[8:9], exec
	s_or_b64 s[4:5], s[4:5], s[8:9]
	s_or_b64 exec, exec, s[6:7]
	s_and_saveexec_b64 s[6:7], s[4:5]
	s_cbranch_execnz .LBB28_515
	s_branch .LBB28_516
.LBB28_2565:
	s_movk_i32 s4, 0x80
	v_cmp_eq_u16_sdwa s[12:13], v10, s4 src0_sel:BYTE_0 src1_sel:DWORD
	s_mov_b64 s[4:5], -1
                                        ; implicit-def: $sgpr10
	s_and_saveexec_b64 s[8:9], s[12:13]
; %bb.2566:
	s_mov_b32 s10, 0x7f800001
	s_xor_b64 s[4:5], exec, -1
; %bb.2567:
	s_or_b64 exec, exec, s[8:9]
	s_and_b64 s[4:5], s[4:5], exec
	s_or_saveexec_b64 s[6:7], s[6:7]
	v_mov_b32_e32 v21, s10
	s_xor_b64 exec, exec, s[6:7]
	s_cbranch_execz .LBB28_518
.LBB28_2568:
	v_mov_b32_e32 v21, 0
	v_cmp_ne_u16_sdwa s[8:9], v10, v21 src0_sel:BYTE_0 src1_sel:DWORD
	s_andn2_b64 s[4:5], s[4:5], exec
	s_and_b64 s[8:9], s[8:9], exec
	s_or_b64 s[4:5], s[4:5], s[8:9]
	s_or_b64 exec, exec, s[6:7]
	s_and_saveexec_b64 s[6:7], s[4:5]
	s_cbranch_execnz .LBB28_519
	s_branch .LBB28_520
.LBB28_2569:
	s_movk_i32 s4, 0x80
	v_cmp_eq_u16_sdwa s[12:13], v21, s4 src0_sel:BYTE_0 src1_sel:DWORD
	s_mov_b64 s[4:5], -1
                                        ; implicit-def: $sgpr10
	s_and_saveexec_b64 s[8:9], s[12:13]
; %bb.2570:
	s_mov_b32 s10, 0x7f800001
	s_xor_b64 s[4:5], exec, -1
; %bb.2571:
	s_or_b64 exec, exec, s[8:9]
	s_and_b64 s[4:5], s[4:5], exec
	s_or_saveexec_b64 s[6:7], s[6:7]
	v_mov_b32_e32 v20, s10
	s_xor_b64 exec, exec, s[6:7]
	s_cbranch_execz .LBB28_522
.LBB28_2572:
	v_mov_b32_e32 v20, 0
	v_cmp_ne_u16_sdwa s[8:9], v21, v20 src0_sel:BYTE_0 src1_sel:DWORD
	s_andn2_b64 s[4:5], s[4:5], exec
	s_and_b64 s[8:9], s[8:9], exec
	s_or_b64 s[4:5], s[4:5], s[8:9]
	s_or_b64 exec, exec, s[6:7]
	s_and_saveexec_b64 s[6:7], s[4:5]
	s_cbranch_execnz .LBB28_523
	s_branch .LBB28_524
.LBB28_2573:
	s_movk_i32 s4, 0x80
	v_cmp_eq_u16_sdwa s[12:13], v21, s4 src0_sel:BYTE_0 src1_sel:DWORD
	s_mov_b64 s[4:5], -1
                                        ; implicit-def: $sgpr10
	s_and_saveexec_b64 s[8:9], s[12:13]
; %bb.2574:
	s_mov_b32 s10, 0x7f800001
	s_xor_b64 s[4:5], exec, -1
; %bb.2575:
	s_or_b64 exec, exec, s[8:9]
	s_and_b64 s[4:5], s[4:5], exec
	s_or_saveexec_b64 s[6:7], s[6:7]
	v_mov_b32_e32 v22, s10
	s_xor_b64 exec, exec, s[6:7]
	s_cbranch_execz .LBB28_526
.LBB28_2576:
	v_mov_b32_e32 v22, 0
	v_cmp_ne_u16_sdwa s[8:9], v21, v22 src0_sel:BYTE_0 src1_sel:DWORD
	s_andn2_b64 s[4:5], s[4:5], exec
	s_and_b64 s[8:9], s[8:9], exec
	s_or_b64 s[4:5], s[4:5], s[8:9]
	s_or_b64 exec, exec, s[6:7]
	s_and_saveexec_b64 s[6:7], s[4:5]
	s_cbranch_execnz .LBB28_527
	s_branch .LBB28_528
.LBB28_2577:
	s_movk_i32 s4, 0x80
	v_cmp_eq_u16_e32 vcc, s4, v21
	s_mov_b64 s[4:5], -1
                                        ; implicit-def: $sgpr10
	s_and_saveexec_b64 s[8:9], vcc
; %bb.2578:
	s_mov_b32 s10, 0x7f800001
	s_xor_b64 s[4:5], exec, -1
; %bb.2579:
	s_or_b64 exec, exec, s[8:9]
	s_and_b64 s[4:5], s[4:5], exec
                                        ; implicit-def: $vgpr21
	s_or_saveexec_b64 s[6:7], s[6:7]
	v_mov_b32_e32 v20, s10
	s_xor_b64 exec, exec, s[6:7]
	s_cbranch_execz .LBB28_530
.LBB28_2580:
	v_cmp_ne_u16_e32 vcc, 0, v21
	s_andn2_b64 s[4:5], s[4:5], exec
	s_and_b64 s[8:9], vcc, exec
	v_mov_b32_e32 v20, 0
	s_or_b64 s[4:5], s[4:5], s[8:9]
	s_or_b64 exec, exec, s[6:7]
	s_and_saveexec_b64 s[6:7], s[4:5]
	s_cbranch_execnz .LBB28_531
	s_branch .LBB28_532
.LBB28_2581:
	s_movk_i32 s4, 0x80
	v_cmp_eq_u16_e32 vcc, s4, v21
	s_mov_b64 s[4:5], -1
                                        ; implicit-def: $sgpr10
	s_and_saveexec_b64 s[8:9], vcc
; %bb.2582:
	s_mov_b32 s10, 0x7f800001
	s_xor_b64 s[4:5], exec, -1
; %bb.2583:
	s_or_b64 exec, exec, s[8:9]
	s_and_b64 s[4:5], s[4:5], exec
                                        ; implicit-def: $vgpr21
	s_or_saveexec_b64 s[6:7], s[6:7]
	v_mov_b32_e32 v22, s10
	s_xor_b64 exec, exec, s[6:7]
	s_cbranch_execz .LBB28_534
.LBB28_2584:
	v_cmp_ne_u16_e32 vcc, 0, v21
	s_andn2_b64 s[4:5], s[4:5], exec
	s_and_b64 s[8:9], vcc, exec
	v_mov_b32_e32 v22, 0
	s_or_b64 s[4:5], s[4:5], s[8:9]
	s_or_b64 exec, exec, s[6:7]
	s_and_saveexec_b64 s[6:7], s[4:5]
	s_cbranch_execnz .LBB28_535
	s_branch .LBB28_536
.LBB28_2585:
	s_movk_i32 s4, 0x80
	v_cmp_eq_u16_sdwa s[12:13], v14, s4 src0_sel:BYTE_3 src1_sel:DWORD
	s_mov_b64 s[4:5], -1
                                        ; implicit-def: $sgpr10
	s_and_saveexec_b64 s[8:9], s[12:13]
; %bb.2586:
	s_mov_b32 s10, 0x7f800001
	s_xor_b64 s[4:5], exec, -1
; %bb.2587:
	s_or_b64 exec, exec, s[8:9]
	s_and_b64 s[4:5], s[4:5], exec
	s_or_saveexec_b64 s[6:7], s[6:7]
	v_mov_b32_e32 v20, s10
	s_xor_b64 exec, exec, s[6:7]
	s_cbranch_execz .LBB28_538
.LBB28_2588:
	v_mov_b32_e32 v20, 0
	v_cmp_ne_u16_sdwa s[8:9], v14, v20 src0_sel:BYTE_3 src1_sel:DWORD
	s_andn2_b64 s[4:5], s[4:5], exec
	s_and_b64 s[8:9], s[8:9], exec
	s_or_b64 s[4:5], s[4:5], s[8:9]
	s_or_b64 exec, exec, s[6:7]
	s_and_saveexec_b64 s[6:7], s[4:5]
	s_cbranch_execnz .LBB28_539
	s_branch .LBB28_540
.LBB28_2589:
	s_movk_i32 s4, 0x80
	v_cmp_eq_u16_sdwa s[12:13], v10, s4 src0_sel:BYTE_3 src1_sel:DWORD
	s_mov_b64 s[4:5], -1
                                        ; implicit-def: $sgpr10
	s_and_saveexec_b64 s[8:9], s[12:13]
; %bb.2590:
	s_mov_b32 s10, 0x7f800001
	s_xor_b64 s[4:5], exec, -1
; %bb.2591:
	s_or_b64 exec, exec, s[8:9]
	s_and_b64 s[4:5], s[4:5], exec
	s_or_saveexec_b64 s[6:7], s[6:7]
	v_mov_b32_e32 v14, s10
	s_xor_b64 exec, exec, s[6:7]
	s_cbranch_execz .LBB28_542
.LBB28_2592:
	v_mov_b32_e32 v14, 0
	v_cmp_ne_u16_sdwa s[8:9], v10, v14 src0_sel:BYTE_3 src1_sel:DWORD
	s_andn2_b64 s[4:5], s[4:5], exec
	s_and_b64 s[8:9], s[8:9], exec
	s_or_b64 s[4:5], s[4:5], s[8:9]
	s_or_b64 exec, exec, s[6:7]
	s_and_saveexec_b64 s[6:7], s[4:5]
	s_cbranch_execnz .LBB28_543
	s_branch .LBB28_544
.LBB28_2593:
	s_movk_i32 s4, 0x80
	v_cmp_eq_u16_sdwa s[12:13], v15, s4 src0_sel:BYTE_0 src1_sel:DWORD
	s_mov_b64 s[4:5], -1
                                        ; implicit-def: $sgpr10
	s_and_saveexec_b64 s[8:9], s[12:13]
; %bb.2594:
	s_mov_b32 s10, 0x7f800001
	s_xor_b64 s[4:5], exec, -1
; %bb.2595:
	s_or_b64 exec, exec, s[8:9]
	s_and_b64 s[4:5], s[4:5], exec
	s_or_saveexec_b64 s[6:7], s[6:7]
	v_mov_b32_e32 v10, s10
	s_xor_b64 exec, exec, s[6:7]
	s_cbranch_execz .LBB28_546
.LBB28_2596:
	v_mov_b32_e32 v10, 0
	v_cmp_ne_u16_sdwa s[8:9], v15, v10 src0_sel:BYTE_0 src1_sel:DWORD
	s_andn2_b64 s[4:5], s[4:5], exec
	s_and_b64 s[8:9], s[8:9], exec
	s_or_b64 s[4:5], s[4:5], s[8:9]
	s_or_b64 exec, exec, s[6:7]
	s_and_saveexec_b64 s[6:7], s[4:5]
	s_cbranch_execnz .LBB28_547
	s_branch .LBB28_548
.LBB28_2597:
	s_movk_i32 s4, 0x80
	v_cmp_eq_u16_sdwa s[12:13], v11, s4 src0_sel:BYTE_0 src1_sel:DWORD
	s_mov_b64 s[4:5], -1
                                        ; implicit-def: $sgpr10
	s_and_saveexec_b64 s[8:9], s[12:13]
; %bb.2598:
	s_mov_b32 s10, 0x7f800001
	s_xor_b64 s[4:5], exec, -1
; %bb.2599:
	s_or_b64 exec, exec, s[8:9]
	s_and_b64 s[4:5], s[4:5], exec
	s_or_saveexec_b64 s[6:7], s[6:7]
	v_mov_b32_e32 v14, s10
	s_xor_b64 exec, exec, s[6:7]
	s_cbranch_execz .LBB28_550
.LBB28_2600:
	v_mov_b32_e32 v14, 0
	v_cmp_ne_u16_sdwa s[8:9], v11, v14 src0_sel:BYTE_0 src1_sel:DWORD
	s_andn2_b64 s[4:5], s[4:5], exec
	s_and_b64 s[8:9], s[8:9], exec
	s_or_b64 s[4:5], s[4:5], s[8:9]
	s_or_b64 exec, exec, s[6:7]
	s_and_saveexec_b64 s[6:7], s[4:5]
	s_cbranch_execnz .LBB28_551
	s_branch .LBB28_552
.LBB28_2601:
	s_movk_i32 s4, 0x80
	v_cmp_eq_u16_sdwa s[12:13], v14, s4 src0_sel:BYTE_0 src1_sel:DWORD
	s_mov_b64 s[4:5], -1
                                        ; implicit-def: $sgpr10
	s_and_saveexec_b64 s[8:9], s[12:13]
; %bb.2602:
	s_mov_b32 s10, 0x7f800001
	s_xor_b64 s[4:5], exec, -1
; %bb.2603:
	s_or_b64 exec, exec, s[8:9]
	s_and_b64 s[4:5], s[4:5], exec
	s_or_saveexec_b64 s[6:7], s[6:7]
	v_mov_b32_e32 v10, s10
	s_xor_b64 exec, exec, s[6:7]
	s_cbranch_execz .LBB28_554
.LBB28_2604:
	v_mov_b32_e32 v10, 0
	v_cmp_ne_u16_sdwa s[8:9], v14, v10 src0_sel:BYTE_0 src1_sel:DWORD
	s_andn2_b64 s[4:5], s[4:5], exec
	s_and_b64 s[8:9], s[8:9], exec
	s_or_b64 s[4:5], s[4:5], s[8:9]
	s_or_b64 exec, exec, s[6:7]
	s_and_saveexec_b64 s[6:7], s[4:5]
	s_cbranch_execnz .LBB28_555
	s_branch .LBB28_556
.LBB28_2605:
	s_movk_i32 s4, 0x80
	v_cmp_eq_u16_sdwa s[12:13], v14, s4 src0_sel:BYTE_0 src1_sel:DWORD
	s_mov_b64 s[4:5], -1
                                        ; implicit-def: $sgpr10
	s_and_saveexec_b64 s[8:9], s[12:13]
; %bb.2606:
	s_mov_b32 s10, 0x7f800001
	s_xor_b64 s[4:5], exec, -1
; %bb.2607:
	s_or_b64 exec, exec, s[8:9]
	s_and_b64 s[4:5], s[4:5], exec
	s_or_saveexec_b64 s[6:7], s[6:7]
	v_mov_b32_e32 v20, s10
	s_xor_b64 exec, exec, s[6:7]
	s_cbranch_execz .LBB28_558
.LBB28_2608:
	v_mov_b32_e32 v20, 0
	v_cmp_ne_u16_sdwa s[8:9], v14, v20 src0_sel:BYTE_0 src1_sel:DWORD
	s_andn2_b64 s[4:5], s[4:5], exec
	s_and_b64 s[8:9], s[8:9], exec
	s_or_b64 s[4:5], s[4:5], s[8:9]
	s_or_b64 exec, exec, s[6:7]
	s_and_saveexec_b64 s[6:7], s[4:5]
	s_cbranch_execnz .LBB28_559
	s_branch .LBB28_560
.LBB28_2609:
	s_movk_i32 s4, 0x80
	v_cmp_eq_u16_e32 vcc, s4, v14
	s_mov_b64 s[4:5], -1
                                        ; implicit-def: $sgpr10
	s_and_saveexec_b64 s[8:9], vcc
; %bb.2610:
	s_mov_b32 s10, 0x7f800001
	s_xor_b64 s[4:5], exec, -1
; %bb.2611:
	s_or_b64 exec, exec, s[8:9]
	s_and_b64 s[4:5], s[4:5], exec
                                        ; implicit-def: $vgpr14
	s_or_saveexec_b64 s[6:7], s[6:7]
	v_mov_b32_e32 v10, s10
	s_xor_b64 exec, exec, s[6:7]
	s_cbranch_execz .LBB28_562
.LBB28_2612:
	v_cmp_ne_u16_e32 vcc, 0, v14
	s_andn2_b64 s[4:5], s[4:5], exec
	s_and_b64 s[8:9], vcc, exec
	v_mov_b32_e32 v10, 0
	s_or_b64 s[4:5], s[4:5], s[8:9]
	s_or_b64 exec, exec, s[6:7]
	s_and_saveexec_b64 s[6:7], s[4:5]
	s_cbranch_execnz .LBB28_563
	s_branch .LBB28_564
.LBB28_2613:
	s_movk_i32 s4, 0x80
	v_cmp_eq_u16_e32 vcc, s4, v14
	s_mov_b64 s[4:5], -1
                                        ; implicit-def: $sgpr10
	s_and_saveexec_b64 s[8:9], vcc
; %bb.2614:
	s_mov_b32 s10, 0x7f800001
	s_xor_b64 s[4:5], exec, -1
; %bb.2615:
	s_or_b64 exec, exec, s[8:9]
	s_and_b64 s[4:5], s[4:5], exec
                                        ; implicit-def: $vgpr14
	s_or_saveexec_b64 s[6:7], s[6:7]
	v_mov_b32_e32 v20, s10
	s_xor_b64 exec, exec, s[6:7]
	s_cbranch_execz .LBB28_566
.LBB28_2616:
	v_cmp_ne_u16_e32 vcc, 0, v14
	s_andn2_b64 s[4:5], s[4:5], exec
	s_and_b64 s[8:9], vcc, exec
	v_mov_b32_e32 v20, 0
	s_or_b64 s[4:5], s[4:5], s[8:9]
	s_or_b64 exec, exec, s[6:7]
	s_and_saveexec_b64 s[6:7], s[4:5]
	s_cbranch_execnz .LBB28_567
	s_branch .LBB28_568
.LBB28_2617:
	s_movk_i32 s4, 0x80
	v_cmp_eq_u16_sdwa s[12:13], v15, s4 src0_sel:BYTE_3 src1_sel:DWORD
	s_mov_b64 s[4:5], -1
                                        ; implicit-def: $sgpr10
	s_and_saveexec_b64 s[8:9], s[12:13]
; %bb.2618:
	s_mov_b32 s10, 0x7f800001
	s_xor_b64 s[4:5], exec, -1
; %bb.2619:
	s_or_b64 exec, exec, s[8:9]
	s_and_b64 s[4:5], s[4:5], exec
	s_or_saveexec_b64 s[6:7], s[6:7]
	v_mov_b32_e32 v10, s10
	s_xor_b64 exec, exec, s[6:7]
	s_cbranch_execz .LBB28_570
.LBB28_2620:
	v_mov_b32_e32 v10, 0
	v_cmp_ne_u16_sdwa s[8:9], v15, v10 src0_sel:BYTE_3 src1_sel:DWORD
	s_andn2_b64 s[4:5], s[4:5], exec
	s_and_b64 s[8:9], s[8:9], exec
	s_or_b64 s[4:5], s[4:5], s[8:9]
	s_or_b64 exec, exec, s[6:7]
	s_and_saveexec_b64 s[6:7], s[4:5]
	s_cbranch_execnz .LBB28_571
	s_branch .LBB28_572
.LBB28_2621:
	s_movk_i32 s4, 0x80
	v_cmp_eq_u16_sdwa s[12:13], v11, s4 src0_sel:BYTE_3 src1_sel:DWORD
	s_mov_b64 s[4:5], -1
                                        ; implicit-def: $sgpr10
	s_and_saveexec_b64 s[8:9], s[12:13]
; %bb.2622:
	s_mov_b32 s10, 0x7f800001
	s_xor_b64 s[4:5], exec, -1
; %bb.2623:
	s_or_b64 exec, exec, s[8:9]
	s_and_b64 s[4:5], s[4:5], exec
	s_or_saveexec_b64 s[6:7], s[6:7]
	v_mov_b32_e32 v14, s10
	s_xor_b64 exec, exec, s[6:7]
	s_cbranch_execz .LBB28_574
.LBB28_2624:
	v_mov_b32_e32 v14, 0
	v_cmp_ne_u16_sdwa s[8:9], v11, v14 src0_sel:BYTE_3 src1_sel:DWORD
	s_andn2_b64 s[4:5], s[4:5], exec
	s_and_b64 s[8:9], s[8:9], exec
	s_or_b64 s[4:5], s[4:5], s[8:9]
	s_or_b64 exec, exec, s[6:7]
	s_and_saveexec_b64 s[6:7], s[4:5]
	s_cbranch_execnz .LBB28_575
	s_branch .LBB28_576
.LBB28_2625:
	s_movk_i32 s4, 0x80
	v_cmp_eq_u16_sdwa s[12:13], v16, s4 src0_sel:BYTE_0 src1_sel:DWORD
	s_mov_b64 s[4:5], -1
                                        ; implicit-def: $sgpr10
	s_and_saveexec_b64 s[8:9], s[12:13]
; %bb.2626:
	s_mov_b32 s10, 0x7f800001
	s_xor_b64 s[4:5], exec, -1
; %bb.2627:
	s_or_b64 exec, exec, s[8:9]
	s_and_b64 s[4:5], s[4:5], exec
	s_or_saveexec_b64 s[6:7], s[6:7]
	v_mov_b32_e32 v10, s10
	s_xor_b64 exec, exec, s[6:7]
	s_cbranch_execz .LBB28_578
.LBB28_2628:
	v_mov_b32_e32 v10, 0
	v_cmp_ne_u16_sdwa s[8:9], v16, v10 src0_sel:BYTE_0 src1_sel:DWORD
	s_andn2_b64 s[4:5], s[4:5], exec
	s_and_b64 s[8:9], s[8:9], exec
	s_or_b64 s[4:5], s[4:5], s[8:9]
	s_or_b64 exec, exec, s[6:7]
	s_and_saveexec_b64 s[6:7], s[4:5]
	s_cbranch_execnz .LBB28_579
	s_branch .LBB28_580
.LBB28_2629:
	s_movk_i32 s4, 0x80
	v_cmp_eq_u16_sdwa s[12:13], v12, s4 src0_sel:BYTE_0 src1_sel:DWORD
	s_mov_b64 s[4:5], -1
                                        ; implicit-def: $sgpr10
	s_and_saveexec_b64 s[8:9], s[12:13]
; %bb.2630:
	s_mov_b32 s10, 0x7f800001
	s_xor_b64 s[4:5], exec, -1
; %bb.2631:
	s_or_b64 exec, exec, s[8:9]
	s_and_b64 s[4:5], s[4:5], exec
	s_or_saveexec_b64 s[6:7], s[6:7]
	v_mov_b32_e32 v11, s10
	s_xor_b64 exec, exec, s[6:7]
	s_cbranch_execz .LBB28_582
.LBB28_2632:
	v_mov_b32_e32 v11, 0
	v_cmp_ne_u16_sdwa s[8:9], v12, v11 src0_sel:BYTE_0 src1_sel:DWORD
	s_andn2_b64 s[4:5], s[4:5], exec
	s_and_b64 s[8:9], s[8:9], exec
	s_or_b64 s[4:5], s[4:5], s[8:9]
	s_or_b64 exec, exec, s[6:7]
	s_and_saveexec_b64 s[6:7], s[4:5]
	s_cbranch_execnz .LBB28_583
	s_branch .LBB28_584
.LBB28_2633:
	s_movk_i32 s4, 0x80
	v_cmp_eq_u16_sdwa s[12:13], v11, s4 src0_sel:BYTE_0 src1_sel:DWORD
	s_mov_b64 s[4:5], -1
                                        ; implicit-def: $sgpr10
	s_and_saveexec_b64 s[8:9], s[12:13]
; %bb.2634:
	s_mov_b32 s10, 0x7f800001
	s_xor_b64 s[4:5], exec, -1
; %bb.2635:
	s_or_b64 exec, exec, s[8:9]
	s_and_b64 s[4:5], s[4:5], exec
	s_or_saveexec_b64 s[6:7], s[6:7]
	v_mov_b32_e32 v10, s10
	s_xor_b64 exec, exec, s[6:7]
	s_cbranch_execz .LBB28_586
.LBB28_2636:
	v_mov_b32_e32 v10, 0
	v_cmp_ne_u16_sdwa s[8:9], v11, v10 src0_sel:BYTE_0 src1_sel:DWORD
	s_andn2_b64 s[4:5], s[4:5], exec
	s_and_b64 s[8:9], s[8:9], exec
	s_or_b64 s[4:5], s[4:5], s[8:9]
	s_or_b64 exec, exec, s[6:7]
	s_and_saveexec_b64 s[6:7], s[4:5]
	s_cbranch_execnz .LBB28_587
	s_branch .LBB28_588
.LBB28_2637:
	s_movk_i32 s4, 0x80
	v_cmp_eq_u16_sdwa s[12:13], v11, s4 src0_sel:BYTE_0 src1_sel:DWORD
	s_mov_b64 s[4:5], -1
                                        ; implicit-def: $sgpr10
	s_and_saveexec_b64 s[8:9], s[12:13]
; %bb.2638:
	s_mov_b32 s10, 0x7f800001
	s_xor_b64 s[4:5], exec, -1
; %bb.2639:
	s_or_b64 exec, exec, s[8:9]
	s_and_b64 s[4:5], s[4:5], exec
	s_or_saveexec_b64 s[6:7], s[6:7]
	v_mov_b32_e32 v14, s10
	s_xor_b64 exec, exec, s[6:7]
	s_cbranch_execz .LBB28_590
.LBB28_2640:
	v_mov_b32_e32 v14, 0
	v_cmp_ne_u16_sdwa s[8:9], v11, v14 src0_sel:BYTE_0 src1_sel:DWORD
	s_andn2_b64 s[4:5], s[4:5], exec
	s_and_b64 s[8:9], s[8:9], exec
	s_or_b64 s[4:5], s[4:5], s[8:9]
	s_or_b64 exec, exec, s[6:7]
	s_and_saveexec_b64 s[6:7], s[4:5]
	s_cbranch_execnz .LBB28_591
	s_branch .LBB28_592
.LBB28_2641:
	s_movk_i32 s4, 0x80
	v_cmp_eq_u16_e32 vcc, s4, v11
	s_mov_b64 s[4:5], -1
                                        ; implicit-def: $sgpr10
	s_and_saveexec_b64 s[8:9], vcc
; %bb.2642:
	s_mov_b32 s10, 0x7f800001
	s_xor_b64 s[4:5], exec, -1
; %bb.2643:
	s_or_b64 exec, exec, s[8:9]
	s_and_b64 s[4:5], s[4:5], exec
                                        ; implicit-def: $vgpr11
	s_or_saveexec_b64 s[6:7], s[6:7]
	v_mov_b32_e32 v10, s10
	s_xor_b64 exec, exec, s[6:7]
	s_cbranch_execz .LBB28_594
.LBB28_2644:
	v_cmp_ne_u16_e32 vcc, 0, v11
	s_andn2_b64 s[4:5], s[4:5], exec
	s_and_b64 s[8:9], vcc, exec
	v_mov_b32_e32 v10, 0
	s_or_b64 s[4:5], s[4:5], s[8:9]
	s_or_b64 exec, exec, s[6:7]
	s_and_saveexec_b64 s[6:7], s[4:5]
	s_cbranch_execnz .LBB28_595
	s_branch .LBB28_596
.LBB28_2645:
	s_movk_i32 s4, 0x80
	v_cmp_eq_u16_e32 vcc, s4, v11
	s_mov_b64 s[4:5], -1
                                        ; implicit-def: $sgpr10
	s_and_saveexec_b64 s[8:9], vcc
; %bb.2646:
	s_mov_b32 s10, 0x7f800001
	s_xor_b64 s[4:5], exec, -1
; %bb.2647:
	s_or_b64 exec, exec, s[8:9]
	s_and_b64 s[4:5], s[4:5], exec
                                        ; implicit-def: $vgpr11
	s_or_saveexec_b64 s[6:7], s[6:7]
	v_mov_b32_e32 v14, s10
	s_xor_b64 exec, exec, s[6:7]
	s_cbranch_execz .LBB28_598
.LBB28_2648:
	v_cmp_ne_u16_e32 vcc, 0, v11
	s_andn2_b64 s[4:5], s[4:5], exec
	s_and_b64 s[8:9], vcc, exec
	v_mov_b32_e32 v14, 0
	s_or_b64 s[4:5], s[4:5], s[8:9]
	s_or_b64 exec, exec, s[6:7]
	s_and_saveexec_b64 s[6:7], s[4:5]
	s_cbranch_execnz .LBB28_599
	s_branch .LBB28_600
.LBB28_2649:
	s_movk_i32 s4, 0x80
	v_cmp_eq_u16_sdwa s[12:13], v16, s4 src0_sel:BYTE_3 src1_sel:DWORD
	s_mov_b64 s[4:5], -1
                                        ; implicit-def: $sgpr10
	s_and_saveexec_b64 s[8:9], s[12:13]
; %bb.2650:
	s_mov_b32 s10, 0x7f800001
	s_xor_b64 s[4:5], exec, -1
; %bb.2651:
	s_or_b64 exec, exec, s[8:9]
	s_and_b64 s[4:5], s[4:5], exec
	s_or_saveexec_b64 s[6:7], s[6:7]
	v_mov_b32_e32 v10, s10
	s_xor_b64 exec, exec, s[6:7]
	s_cbranch_execz .LBB28_602
.LBB28_2652:
	v_mov_b32_e32 v10, 0
	v_cmp_ne_u16_sdwa s[8:9], v16, v10 src0_sel:BYTE_3 src1_sel:DWORD
	s_andn2_b64 s[4:5], s[4:5], exec
	s_and_b64 s[8:9], s[8:9], exec
	s_or_b64 s[4:5], s[4:5], s[8:9]
	s_or_b64 exec, exec, s[6:7]
	s_and_saveexec_b64 s[6:7], s[4:5]
	s_cbranch_execnz .LBB28_603
	s_branch .LBB28_604
.LBB28_2653:
	s_movk_i32 s4, 0x80
	v_cmp_eq_u16_sdwa s[12:13], v12, s4 src0_sel:BYTE_3 src1_sel:DWORD
	s_mov_b64 s[4:5], -1
                                        ; implicit-def: $sgpr10
	s_and_saveexec_b64 s[8:9], s[12:13]
; %bb.2654:
	s_mov_b32 s10, 0x7f800001
	s_xor_b64 s[4:5], exec, -1
; %bb.2655:
	s_or_b64 exec, exec, s[8:9]
	s_and_b64 s[4:5], s[4:5], exec
	s_or_saveexec_b64 s[6:7], s[6:7]
	v_mov_b32_e32 v11, s10
	s_xor_b64 exec, exec, s[6:7]
	s_cbranch_execz .LBB28_606
.LBB28_2656:
	v_mov_b32_e32 v11, 0
	v_cmp_ne_u16_sdwa s[8:9], v12, v11 src0_sel:BYTE_3 src1_sel:DWORD
	s_andn2_b64 s[4:5], s[4:5], exec
	s_and_b64 s[8:9], s[8:9], exec
	s_or_b64 s[4:5], s[4:5], s[8:9]
	s_or_b64 exec, exec, s[6:7]
	s_and_saveexec_b64 s[6:7], s[4:5]
	s_cbranch_execnz .LBB28_607
	s_branch .LBB28_608
.LBB28_2657:
	s_movk_i32 s4, 0x80
	v_cmp_eq_u16_sdwa s[12:13], v17, s4 src0_sel:BYTE_0 src1_sel:DWORD
	s_mov_b64 s[4:5], -1
                                        ; implicit-def: $sgpr10
	s_and_saveexec_b64 s[8:9], s[12:13]
; %bb.2658:
	s_mov_b32 s10, 0x7f800001
	s_xor_b64 s[4:5], exec, -1
; %bb.2659:
	s_or_b64 exec, exec, s[8:9]
	s_and_b64 s[4:5], s[4:5], exec
	s_or_saveexec_b64 s[6:7], s[6:7]
	v_mov_b32_e32 v10, s10
	s_xor_b64 exec, exec, s[6:7]
	s_cbranch_execz .LBB28_610
.LBB28_2660:
	v_mov_b32_e32 v10, 0
	v_cmp_ne_u16_sdwa s[8:9], v17, v10 src0_sel:BYTE_0 src1_sel:DWORD
	s_andn2_b64 s[4:5], s[4:5], exec
	s_and_b64 s[8:9], s[8:9], exec
	s_or_b64 s[4:5], s[4:5], s[8:9]
	s_or_b64 exec, exec, s[6:7]
	s_and_saveexec_b64 s[6:7], s[4:5]
	s_cbranch_execnz .LBB28_611
	s_branch .LBB28_612
.LBB28_2661:
	s_movk_i32 s4, 0x80
	v_cmp_eq_u16_sdwa s[12:13], v13, s4 src0_sel:BYTE_0 src1_sel:DWORD
	s_mov_b64 s[4:5], -1
                                        ; implicit-def: $sgpr10
	s_and_saveexec_b64 s[8:9], s[12:13]
; %bb.2662:
	s_mov_b32 s10, 0x7f800001
	s_xor_b64 s[4:5], exec, -1
; %bb.2663:
	s_or_b64 exec, exec, s[8:9]
	s_and_b64 s[4:5], s[4:5], exec
	s_or_saveexec_b64 s[6:7], s[6:7]
	v_mov_b32_e32 v11, s10
	s_xor_b64 exec, exec, s[6:7]
	s_cbranch_execz .LBB28_614
.LBB28_2664:
	v_mov_b32_e32 v11, 0
	v_cmp_ne_u16_sdwa s[8:9], v13, v11 src0_sel:BYTE_0 src1_sel:DWORD
	s_andn2_b64 s[4:5], s[4:5], exec
	s_and_b64 s[8:9], s[8:9], exec
	s_or_b64 s[4:5], s[4:5], s[8:9]
	s_or_b64 exec, exec, s[6:7]
	s_and_saveexec_b64 s[6:7], s[4:5]
	s_cbranch_execnz .LBB28_615
	s_branch .LBB28_616
.LBB28_2665:
	s_movk_i32 s4, 0x80
	v_cmp_eq_u16_sdwa s[12:13], v11, s4 src0_sel:BYTE_0 src1_sel:DWORD
	s_mov_b64 s[4:5], -1
                                        ; implicit-def: $sgpr10
	s_and_saveexec_b64 s[8:9], s[12:13]
; %bb.2666:
	s_mov_b32 s10, 0x7f800001
	s_xor_b64 s[4:5], exec, -1
; %bb.2667:
	s_or_b64 exec, exec, s[8:9]
	s_and_b64 s[4:5], s[4:5], exec
	s_or_saveexec_b64 s[6:7], s[6:7]
	v_mov_b32_e32 v10, s10
	s_xor_b64 exec, exec, s[6:7]
	s_cbranch_execz .LBB28_618
.LBB28_2668:
	v_mov_b32_e32 v10, 0
	v_cmp_ne_u16_sdwa s[8:9], v11, v10 src0_sel:BYTE_0 src1_sel:DWORD
	s_andn2_b64 s[4:5], s[4:5], exec
	s_and_b64 s[8:9], s[8:9], exec
	s_or_b64 s[4:5], s[4:5], s[8:9]
	s_or_b64 exec, exec, s[6:7]
	s_and_saveexec_b64 s[6:7], s[4:5]
	s_cbranch_execnz .LBB28_619
	s_branch .LBB28_620
.LBB28_2669:
	s_movk_i32 s4, 0x80
	v_cmp_eq_u16_sdwa s[12:13], v11, s4 src0_sel:BYTE_0 src1_sel:DWORD
	s_mov_b64 s[4:5], -1
                                        ; implicit-def: $sgpr10
	s_and_saveexec_b64 s[8:9], s[12:13]
; %bb.2670:
	s_mov_b32 s10, 0x7f800001
	s_xor_b64 s[4:5], exec, -1
; %bb.2671:
	s_or_b64 exec, exec, s[8:9]
	s_and_b64 s[4:5], s[4:5], exec
	s_or_saveexec_b64 s[6:7], s[6:7]
	v_mov_b32_e32 v12, s10
	s_xor_b64 exec, exec, s[6:7]
	s_cbranch_execz .LBB28_622
.LBB28_2672:
	v_mov_b32_e32 v12, 0
	v_cmp_ne_u16_sdwa s[8:9], v11, v12 src0_sel:BYTE_0 src1_sel:DWORD
	s_andn2_b64 s[4:5], s[4:5], exec
	s_and_b64 s[8:9], s[8:9], exec
	s_or_b64 s[4:5], s[4:5], s[8:9]
	s_or_b64 exec, exec, s[6:7]
	s_and_saveexec_b64 s[6:7], s[4:5]
	s_cbranch_execnz .LBB28_623
	s_branch .LBB28_624
.LBB28_2673:
	s_movk_i32 s4, 0x80
	v_cmp_eq_u16_e32 vcc, s4, v11
	s_mov_b64 s[4:5], -1
                                        ; implicit-def: $sgpr10
	s_and_saveexec_b64 s[8:9], vcc
; %bb.2674:
	s_mov_b32 s10, 0x7f800001
	s_xor_b64 s[4:5], exec, -1
; %bb.2675:
	s_or_b64 exec, exec, s[8:9]
	s_and_b64 s[4:5], s[4:5], exec
                                        ; implicit-def: $vgpr11
	s_or_saveexec_b64 s[6:7], s[6:7]
	v_mov_b32_e32 v10, s10
	s_xor_b64 exec, exec, s[6:7]
	s_cbranch_execz .LBB28_626
.LBB28_2676:
	v_cmp_ne_u16_e32 vcc, 0, v11
	s_andn2_b64 s[4:5], s[4:5], exec
	s_and_b64 s[8:9], vcc, exec
	v_mov_b32_e32 v10, 0
	s_or_b64 s[4:5], s[4:5], s[8:9]
	s_or_b64 exec, exec, s[6:7]
	s_and_saveexec_b64 s[6:7], s[4:5]
	s_cbranch_execnz .LBB28_627
	s_branch .LBB28_628
.LBB28_2677:
	s_movk_i32 s4, 0x80
	v_cmp_eq_u16_e32 vcc, s4, v11
	s_mov_b64 s[4:5], -1
                                        ; implicit-def: $sgpr10
	s_and_saveexec_b64 s[8:9], vcc
; %bb.2678:
	s_mov_b32 s10, 0x7f800001
	s_xor_b64 s[4:5], exec, -1
; %bb.2679:
	s_or_b64 exec, exec, s[8:9]
	s_and_b64 s[4:5], s[4:5], exec
                                        ; implicit-def: $vgpr11
	s_or_saveexec_b64 s[6:7], s[6:7]
	v_mov_b32_e32 v12, s10
	s_xor_b64 exec, exec, s[6:7]
	s_cbranch_execz .LBB28_630
.LBB28_2680:
	v_cmp_ne_u16_e32 vcc, 0, v11
	s_andn2_b64 s[4:5], s[4:5], exec
	s_and_b64 s[8:9], vcc, exec
	v_mov_b32_e32 v12, 0
	s_or_b64 s[4:5], s[4:5], s[8:9]
	s_or_b64 exec, exec, s[6:7]
	s_and_saveexec_b64 s[6:7], s[4:5]
	s_cbranch_execnz .LBB28_631
	s_branch .LBB28_632
.LBB28_2681:
	s_movk_i32 s4, 0x80
	v_cmp_eq_u16_sdwa s[12:13], v17, s4 src0_sel:BYTE_3 src1_sel:DWORD
	s_mov_b64 s[4:5], -1
                                        ; implicit-def: $sgpr10
	s_and_saveexec_b64 s[8:9], s[12:13]
; %bb.2682:
	s_mov_b32 s10, 0x7f800001
	s_xor_b64 s[4:5], exec, -1
; %bb.2683:
	s_or_b64 exec, exec, s[8:9]
	s_and_b64 s[4:5], s[4:5], exec
	s_or_saveexec_b64 s[6:7], s[6:7]
	v_mov_b32_e32 v10, s10
	s_xor_b64 exec, exec, s[6:7]
	s_cbranch_execz .LBB28_634
.LBB28_2684:
	v_mov_b32_e32 v10, 0
	v_cmp_ne_u16_sdwa s[8:9], v17, v10 src0_sel:BYTE_3 src1_sel:DWORD
	s_andn2_b64 s[4:5], s[4:5], exec
	s_and_b64 s[8:9], s[8:9], exec
	s_or_b64 s[4:5], s[4:5], s[8:9]
	s_or_b64 exec, exec, s[6:7]
	s_and_saveexec_b64 s[6:7], s[4:5]
	s_cbranch_execnz .LBB28_635
	s_branch .LBB28_636
.LBB28_2685:
	s_movk_i32 s4, 0x80
	v_cmp_eq_u16_sdwa s[12:13], v13, s4 src0_sel:BYTE_3 src1_sel:DWORD
	s_mov_b64 s[4:5], -1
                                        ; implicit-def: $sgpr10
	s_and_saveexec_b64 s[8:9], s[12:13]
; %bb.2686:
	s_mov_b32 s10, 0x7f800001
	s_xor_b64 s[4:5], exec, -1
; %bb.2687:
	s_or_b64 exec, exec, s[8:9]
	s_and_b64 s[4:5], s[4:5], exec
	s_or_saveexec_b64 s[6:7], s[6:7]
	v_mov_b32_e32 v11, s10
	s_xor_b64 exec, exec, s[6:7]
	s_cbranch_execz .LBB28_638
.LBB28_2688:
	v_mov_b32_e32 v11, 0
	v_cmp_ne_u16_sdwa s[8:9], v13, v11 src0_sel:BYTE_3 src1_sel:DWORD
	s_andn2_b64 s[4:5], s[4:5], exec
	s_and_b64 s[8:9], s[8:9], exec
	s_or_b64 s[4:5], s[4:5], s[8:9]
	s_or_b64 exec, exec, s[6:7]
	s_and_saveexec_b64 s[6:7], s[4:5]
	s_cbranch_execnz .LBB28_639
	s_branch .LBB28_640
.LBB28_2689:
	s_movk_i32 s4, 0x80
	v_cmp_eq_u16_sdwa s[12:13], v6, s4 src0_sel:BYTE_0 src1_sel:DWORD
	s_mov_b64 s[4:5], -1
                                        ; implicit-def: $sgpr10
	s_and_saveexec_b64 s[8:9], s[12:13]
; %bb.2690:
	s_mov_b32 s10, 0x7f800001
	s_xor_b64 s[4:5], exec, -1
; %bb.2691:
	s_or_b64 exec, exec, s[8:9]
	s_and_b64 s[4:5], s[4:5], exec
	s_or_saveexec_b64 s[6:7], s[6:7]
	v_mov_b32_e32 v10, s10
	s_xor_b64 exec, exec, s[6:7]
	s_cbranch_execz .LBB28_642
.LBB28_2692:
	v_mov_b32_e32 v10, 0
	v_cmp_ne_u16_sdwa s[8:9], v6, v10 src0_sel:BYTE_0 src1_sel:DWORD
	s_andn2_b64 s[4:5], s[4:5], exec
	s_and_b64 s[8:9], s[8:9], exec
	s_or_b64 s[4:5], s[4:5], s[8:9]
	s_or_b64 exec, exec, s[6:7]
	s_and_saveexec_b64 s[6:7], s[4:5]
	s_cbranch_execnz .LBB28_643
	s_branch .LBB28_644
.LBB28_2693:
	s_movk_i32 s4, 0x80
	v_cmp_eq_u16_sdwa s[12:13], v2, s4 src0_sel:BYTE_0 src1_sel:DWORD
	s_mov_b64 s[4:5], -1
                                        ; implicit-def: $sgpr10
	s_and_saveexec_b64 s[8:9], s[12:13]
; %bb.2694:
	s_mov_b32 s10, 0x7f800001
	s_xor_b64 s[4:5], exec, -1
; %bb.2695:
	s_or_b64 exec, exec, s[8:9]
	s_and_b64 s[4:5], s[4:5], exec
	s_or_saveexec_b64 s[6:7], s[6:7]
	v_mov_b32_e32 v11, s10
	s_xor_b64 exec, exec, s[6:7]
	s_cbranch_execz .LBB28_646
.LBB28_2696:
	v_mov_b32_e32 v11, 0
	v_cmp_ne_u16_sdwa s[8:9], v2, v11 src0_sel:BYTE_0 src1_sel:DWORD
	s_andn2_b64 s[4:5], s[4:5], exec
	s_and_b64 s[8:9], s[8:9], exec
	s_or_b64 s[4:5], s[4:5], s[8:9]
	s_or_b64 exec, exec, s[6:7]
	s_and_saveexec_b64 s[6:7], s[4:5]
	s_cbranch_execnz .LBB28_647
	s_branch .LBB28_648
.LBB28_2697:
	s_movk_i32 s4, 0x80
	v_cmp_eq_u16_sdwa s[12:13], v11, s4 src0_sel:BYTE_0 src1_sel:DWORD
	s_mov_b64 s[4:5], -1
                                        ; implicit-def: $sgpr10
	s_and_saveexec_b64 s[8:9], s[12:13]
; %bb.2698:
	s_mov_b32 s10, 0x7f800001
	s_xor_b64 s[4:5], exec, -1
; %bb.2699:
	s_or_b64 exec, exec, s[8:9]
	s_and_b64 s[4:5], s[4:5], exec
	s_or_saveexec_b64 s[6:7], s[6:7]
	v_mov_b32_e32 v10, s10
	s_xor_b64 exec, exec, s[6:7]
	s_cbranch_execz .LBB28_650
.LBB28_2700:
	v_mov_b32_e32 v10, 0
	v_cmp_ne_u16_sdwa s[8:9], v11, v10 src0_sel:BYTE_0 src1_sel:DWORD
	s_andn2_b64 s[4:5], s[4:5], exec
	s_and_b64 s[8:9], s[8:9], exec
	s_or_b64 s[4:5], s[4:5], s[8:9]
	s_or_b64 exec, exec, s[6:7]
	s_and_saveexec_b64 s[6:7], s[4:5]
	s_cbranch_execnz .LBB28_651
	s_branch .LBB28_652
.LBB28_2701:
	s_movk_i32 s4, 0x80
	v_cmp_eq_u16_sdwa s[12:13], v11, s4 src0_sel:BYTE_0 src1_sel:DWORD
	s_mov_b64 s[4:5], -1
                                        ; implicit-def: $sgpr10
	s_and_saveexec_b64 s[8:9], s[12:13]
; %bb.2702:
	s_mov_b32 s10, 0x7f800001
	s_xor_b64 s[4:5], exec, -1
; %bb.2703:
	s_or_b64 exec, exec, s[8:9]
	s_and_b64 s[4:5], s[4:5], exec
	s_or_saveexec_b64 s[6:7], s[6:7]
	v_mov_b32_e32 v12, s10
	s_xor_b64 exec, exec, s[6:7]
	s_cbranch_execz .LBB28_654
.LBB28_2704:
	v_mov_b32_e32 v12, 0
	v_cmp_ne_u16_sdwa s[8:9], v11, v12 src0_sel:BYTE_0 src1_sel:DWORD
	s_andn2_b64 s[4:5], s[4:5], exec
	s_and_b64 s[8:9], s[8:9], exec
	s_or_b64 s[4:5], s[4:5], s[8:9]
	s_or_b64 exec, exec, s[6:7]
	s_and_saveexec_b64 s[6:7], s[4:5]
	s_cbranch_execnz .LBB28_655
	s_branch .LBB28_656
.LBB28_2705:
	s_movk_i32 s4, 0x80
	v_cmp_eq_u16_e32 vcc, s4, v11
	s_mov_b64 s[4:5], -1
                                        ; implicit-def: $sgpr10
	s_and_saveexec_b64 s[8:9], vcc
; %bb.2706:
	s_mov_b32 s10, 0x7f800001
	s_xor_b64 s[4:5], exec, -1
; %bb.2707:
	s_or_b64 exec, exec, s[8:9]
	s_and_b64 s[4:5], s[4:5], exec
                                        ; implicit-def: $vgpr11
	s_or_saveexec_b64 s[6:7], s[6:7]
	v_mov_b32_e32 v10, s10
	s_xor_b64 exec, exec, s[6:7]
	s_cbranch_execz .LBB28_658
.LBB28_2708:
	v_cmp_ne_u16_e32 vcc, 0, v11
	s_andn2_b64 s[4:5], s[4:5], exec
	s_and_b64 s[8:9], vcc, exec
	v_mov_b32_e32 v10, 0
	s_or_b64 s[4:5], s[4:5], s[8:9]
	s_or_b64 exec, exec, s[6:7]
	s_and_saveexec_b64 s[6:7], s[4:5]
	s_cbranch_execnz .LBB28_659
	s_branch .LBB28_660
.LBB28_2709:
	s_movk_i32 s4, 0x80
	v_cmp_eq_u16_e32 vcc, s4, v11
	s_mov_b64 s[4:5], -1
                                        ; implicit-def: $sgpr10
	s_and_saveexec_b64 s[8:9], vcc
; %bb.2710:
	s_mov_b32 s10, 0x7f800001
	s_xor_b64 s[4:5], exec, -1
; %bb.2711:
	s_or_b64 exec, exec, s[8:9]
	s_and_b64 s[4:5], s[4:5], exec
                                        ; implicit-def: $vgpr11
	s_or_saveexec_b64 s[6:7], s[6:7]
	v_mov_b32_e32 v12, s10
	s_xor_b64 exec, exec, s[6:7]
	s_cbranch_execz .LBB28_662
.LBB28_2712:
	v_cmp_ne_u16_e32 vcc, 0, v11
	s_andn2_b64 s[4:5], s[4:5], exec
	s_and_b64 s[8:9], vcc, exec
	v_mov_b32_e32 v12, 0
	s_or_b64 s[4:5], s[4:5], s[8:9]
	s_or_b64 exec, exec, s[6:7]
	s_and_saveexec_b64 s[6:7], s[4:5]
	s_cbranch_execnz .LBB28_663
	s_branch .LBB28_664
.LBB28_2713:
	s_movk_i32 s4, 0x80
	v_cmp_eq_u16_sdwa s[12:13], v6, s4 src0_sel:BYTE_3 src1_sel:DWORD
	s_mov_b64 s[4:5], -1
                                        ; implicit-def: $sgpr10
	s_and_saveexec_b64 s[8:9], s[12:13]
; %bb.2714:
	s_mov_b32 s10, 0x7f800001
	s_xor_b64 s[4:5], exec, -1
; %bb.2715:
	s_or_b64 exec, exec, s[8:9]
	s_and_b64 s[4:5], s[4:5], exec
	s_or_saveexec_b64 s[6:7], s[6:7]
	v_mov_b32_e32 v10, s10
	s_xor_b64 exec, exec, s[6:7]
	s_cbranch_execz .LBB28_666
.LBB28_2716:
	v_mov_b32_e32 v10, 0
	v_cmp_ne_u16_sdwa s[8:9], v6, v10 src0_sel:BYTE_3 src1_sel:DWORD
	s_andn2_b64 s[4:5], s[4:5], exec
	s_and_b64 s[8:9], s[8:9], exec
	s_or_b64 s[4:5], s[4:5], s[8:9]
	s_or_b64 exec, exec, s[6:7]
	s_and_saveexec_b64 s[6:7], s[4:5]
	s_cbranch_execnz .LBB28_667
	s_branch .LBB28_668
.LBB28_2717:
	s_movk_i32 s4, 0x80
	v_cmp_eq_u16_sdwa s[12:13], v2, s4 src0_sel:BYTE_3 src1_sel:DWORD
	s_mov_b64 s[4:5], -1
                                        ; implicit-def: $sgpr10
	s_and_saveexec_b64 s[8:9], s[12:13]
; %bb.2718:
	s_mov_b32 s10, 0x7f800001
	s_xor_b64 s[4:5], exec, -1
; %bb.2719:
	s_or_b64 exec, exec, s[8:9]
	s_and_b64 s[4:5], s[4:5], exec
	s_or_saveexec_b64 s[6:7], s[6:7]
	v_mov_b32_e32 v6, s10
	s_xor_b64 exec, exec, s[6:7]
	s_cbranch_execz .LBB28_670
.LBB28_2720:
	v_mov_b32_e32 v6, 0
	v_cmp_ne_u16_sdwa s[8:9], v2, v6 src0_sel:BYTE_3 src1_sel:DWORD
	s_andn2_b64 s[4:5], s[4:5], exec
	s_and_b64 s[8:9], s[8:9], exec
	s_or_b64 s[4:5], s[4:5], s[8:9]
	s_or_b64 exec, exec, s[6:7]
	s_and_saveexec_b64 s[6:7], s[4:5]
	s_cbranch_execnz .LBB28_671
	s_branch .LBB28_672
.LBB28_2721:
	s_movk_i32 s4, 0x80
	v_cmp_eq_u16_sdwa s[12:13], v7, s4 src0_sel:BYTE_0 src1_sel:DWORD
	s_mov_b64 s[4:5], -1
                                        ; implicit-def: $sgpr10
	s_and_saveexec_b64 s[8:9], s[12:13]
; %bb.2722:
	s_mov_b32 s10, 0x7f800001
	s_xor_b64 s[4:5], exec, -1
; %bb.2723:
	s_or_b64 exec, exec, s[8:9]
	s_and_b64 s[4:5], s[4:5], exec
	s_or_saveexec_b64 s[6:7], s[6:7]
	v_mov_b32_e32 v2, s10
	s_xor_b64 exec, exec, s[6:7]
	s_cbranch_execz .LBB28_674
.LBB28_2724:
	v_mov_b32_e32 v2, 0
	v_cmp_ne_u16_sdwa s[8:9], v7, v2 src0_sel:BYTE_0 src1_sel:DWORD
	s_andn2_b64 s[4:5], s[4:5], exec
	s_and_b64 s[8:9], s[8:9], exec
	s_or_b64 s[4:5], s[4:5], s[8:9]
	s_or_b64 exec, exec, s[6:7]
	s_and_saveexec_b64 s[6:7], s[4:5]
	s_cbranch_execnz .LBB28_675
	s_branch .LBB28_676
.LBB28_2725:
	s_movk_i32 s4, 0x80
	v_cmp_eq_u16_sdwa s[12:13], v3, s4 src0_sel:BYTE_0 src1_sel:DWORD
	s_mov_b64 s[4:5], -1
                                        ; implicit-def: $sgpr10
	s_and_saveexec_b64 s[8:9], s[12:13]
; %bb.2726:
	s_mov_b32 s10, 0x7f800001
	s_xor_b64 s[4:5], exec, -1
; %bb.2727:
	s_or_b64 exec, exec, s[8:9]
	s_and_b64 s[4:5], s[4:5], exec
	s_or_saveexec_b64 s[6:7], s[6:7]
	v_mov_b32_e32 v6, s10
	s_xor_b64 exec, exec, s[6:7]
	s_cbranch_execz .LBB28_678
.LBB28_2728:
	v_mov_b32_e32 v6, 0
	v_cmp_ne_u16_sdwa s[8:9], v3, v6 src0_sel:BYTE_0 src1_sel:DWORD
	s_andn2_b64 s[4:5], s[4:5], exec
	s_and_b64 s[8:9], s[8:9], exec
	s_or_b64 s[4:5], s[4:5], s[8:9]
	s_or_b64 exec, exec, s[6:7]
	s_and_saveexec_b64 s[6:7], s[4:5]
	s_cbranch_execnz .LBB28_679
	s_branch .LBB28_680
.LBB28_2729:
	s_movk_i32 s4, 0x80
	v_cmp_eq_u16_sdwa s[12:13], v6, s4 src0_sel:BYTE_0 src1_sel:DWORD
	s_mov_b64 s[4:5], -1
                                        ; implicit-def: $sgpr10
	s_and_saveexec_b64 s[8:9], s[12:13]
; %bb.2730:
	s_mov_b32 s10, 0x7f800001
	s_xor_b64 s[4:5], exec, -1
; %bb.2731:
	s_or_b64 exec, exec, s[8:9]
	s_and_b64 s[4:5], s[4:5], exec
	s_or_saveexec_b64 s[6:7], s[6:7]
	v_mov_b32_e32 v2, s10
	s_xor_b64 exec, exec, s[6:7]
	s_cbranch_execz .LBB28_682
.LBB28_2732:
	v_mov_b32_e32 v2, 0
	v_cmp_ne_u16_sdwa s[8:9], v6, v2 src0_sel:BYTE_0 src1_sel:DWORD
	s_andn2_b64 s[4:5], s[4:5], exec
	s_and_b64 s[8:9], s[8:9], exec
	s_or_b64 s[4:5], s[4:5], s[8:9]
	s_or_b64 exec, exec, s[6:7]
	s_and_saveexec_b64 s[6:7], s[4:5]
	s_cbranch_execnz .LBB28_683
	s_branch .LBB28_684
.LBB28_2733:
	s_movk_i32 s4, 0x80
	v_cmp_eq_u16_sdwa s[12:13], v6, s4 src0_sel:BYTE_0 src1_sel:DWORD
	s_mov_b64 s[4:5], -1
                                        ; implicit-def: $sgpr10
	s_and_saveexec_b64 s[8:9], s[12:13]
; %bb.2734:
	s_mov_b32 s10, 0x7f800001
	s_xor_b64 s[4:5], exec, -1
; %bb.2735:
	s_or_b64 exec, exec, s[8:9]
	s_and_b64 s[4:5], s[4:5], exec
	s_or_saveexec_b64 s[6:7], s[6:7]
	v_mov_b32_e32 v10, s10
	s_xor_b64 exec, exec, s[6:7]
	s_cbranch_execz .LBB28_686
.LBB28_2736:
	v_mov_b32_e32 v10, 0
	v_cmp_ne_u16_sdwa s[8:9], v6, v10 src0_sel:BYTE_0 src1_sel:DWORD
	s_andn2_b64 s[4:5], s[4:5], exec
	s_and_b64 s[8:9], s[8:9], exec
	s_or_b64 s[4:5], s[4:5], s[8:9]
	s_or_b64 exec, exec, s[6:7]
	s_and_saveexec_b64 s[6:7], s[4:5]
	s_cbranch_execnz .LBB28_687
	s_branch .LBB28_688
.LBB28_2737:
	s_movk_i32 s4, 0x80
	v_cmp_eq_u16_e32 vcc, s4, v6
	s_mov_b64 s[4:5], -1
                                        ; implicit-def: $sgpr10
	s_and_saveexec_b64 s[8:9], vcc
; %bb.2738:
	s_mov_b32 s10, 0x7f800001
	s_xor_b64 s[4:5], exec, -1
; %bb.2739:
	s_or_b64 exec, exec, s[8:9]
	s_and_b64 s[4:5], s[4:5], exec
                                        ; implicit-def: $vgpr6
	s_or_saveexec_b64 s[6:7], s[6:7]
	v_mov_b32_e32 v2, s10
	s_xor_b64 exec, exec, s[6:7]
	s_cbranch_execz .LBB28_690
.LBB28_2740:
	v_cmp_ne_u16_e32 vcc, 0, v6
	s_andn2_b64 s[4:5], s[4:5], exec
	s_and_b64 s[8:9], vcc, exec
	v_mov_b32_e32 v2, 0
	s_or_b64 s[4:5], s[4:5], s[8:9]
	s_or_b64 exec, exec, s[6:7]
	s_and_saveexec_b64 s[6:7], s[4:5]
	s_cbranch_execnz .LBB28_691
	s_branch .LBB28_692
.LBB28_2741:
	s_movk_i32 s4, 0x80
	v_cmp_eq_u16_e32 vcc, s4, v6
	s_mov_b64 s[4:5], -1
                                        ; implicit-def: $sgpr10
	s_and_saveexec_b64 s[8:9], vcc
; %bb.2742:
	s_mov_b32 s10, 0x7f800001
	s_xor_b64 s[4:5], exec, -1
; %bb.2743:
	s_or_b64 exec, exec, s[8:9]
	s_and_b64 s[4:5], s[4:5], exec
                                        ; implicit-def: $vgpr6
	s_or_saveexec_b64 s[6:7], s[6:7]
	v_mov_b32_e32 v10, s10
	s_xor_b64 exec, exec, s[6:7]
	s_cbranch_execz .LBB28_694
.LBB28_2744:
	v_cmp_ne_u16_e32 vcc, 0, v6
	s_andn2_b64 s[4:5], s[4:5], exec
	s_and_b64 s[8:9], vcc, exec
	v_mov_b32_e32 v10, 0
	s_or_b64 s[4:5], s[4:5], s[8:9]
	s_or_b64 exec, exec, s[6:7]
	s_and_saveexec_b64 s[6:7], s[4:5]
	s_cbranch_execnz .LBB28_695
	s_branch .LBB28_696
.LBB28_2745:
	s_movk_i32 s4, 0x80
	v_cmp_eq_u16_sdwa s[12:13], v7, s4 src0_sel:BYTE_3 src1_sel:DWORD
	s_mov_b64 s[4:5], -1
                                        ; implicit-def: $sgpr10
	s_and_saveexec_b64 s[8:9], s[12:13]
; %bb.2746:
	s_mov_b32 s10, 0x7f800001
	s_xor_b64 s[4:5], exec, -1
; %bb.2747:
	s_or_b64 exec, exec, s[8:9]
	s_and_b64 s[4:5], s[4:5], exec
	s_or_saveexec_b64 s[6:7], s[6:7]
	v_mov_b32_e32 v2, s10
	s_xor_b64 exec, exec, s[6:7]
	s_cbranch_execz .LBB28_698
.LBB28_2748:
	v_mov_b32_e32 v2, 0
	v_cmp_ne_u16_sdwa s[8:9], v7, v2 src0_sel:BYTE_3 src1_sel:DWORD
	s_andn2_b64 s[4:5], s[4:5], exec
	s_and_b64 s[8:9], s[8:9], exec
	s_or_b64 s[4:5], s[4:5], s[8:9]
	s_or_b64 exec, exec, s[6:7]
	s_and_saveexec_b64 s[6:7], s[4:5]
	s_cbranch_execnz .LBB28_699
	s_branch .LBB28_700
.LBB28_2749:
	s_movk_i32 s4, 0x80
	v_cmp_eq_u16_sdwa s[12:13], v3, s4 src0_sel:BYTE_3 src1_sel:DWORD
	s_mov_b64 s[4:5], -1
                                        ; implicit-def: $sgpr10
	s_and_saveexec_b64 s[8:9], s[12:13]
; %bb.2750:
	s_mov_b32 s10, 0x7f800001
	s_xor_b64 s[4:5], exec, -1
; %bb.2751:
	s_or_b64 exec, exec, s[8:9]
	s_and_b64 s[4:5], s[4:5], exec
	s_or_saveexec_b64 s[6:7], s[6:7]
	v_mov_b32_e32 v6, s10
	s_xor_b64 exec, exec, s[6:7]
	s_cbranch_execz .LBB28_702
.LBB28_2752:
	v_mov_b32_e32 v6, 0
	v_cmp_ne_u16_sdwa s[8:9], v3, v6 src0_sel:BYTE_3 src1_sel:DWORD
	s_andn2_b64 s[4:5], s[4:5], exec
	s_and_b64 s[8:9], s[8:9], exec
	s_or_b64 s[4:5], s[4:5], s[8:9]
	s_or_b64 exec, exec, s[6:7]
	s_and_saveexec_b64 s[6:7], s[4:5]
	s_cbranch_execnz .LBB28_703
	s_branch .LBB28_704
.LBB28_2753:
	s_movk_i32 s4, 0x80
	v_cmp_eq_u16_sdwa s[12:13], v8, s4 src0_sel:BYTE_0 src1_sel:DWORD
	s_mov_b64 s[4:5], -1
                                        ; implicit-def: $sgpr10
	s_and_saveexec_b64 s[8:9], s[12:13]
; %bb.2754:
	s_mov_b32 s10, 0x7f800001
	s_xor_b64 s[4:5], exec, -1
; %bb.2755:
	s_or_b64 exec, exec, s[8:9]
	s_and_b64 s[4:5], s[4:5], exec
	s_or_saveexec_b64 s[6:7], s[6:7]
	v_mov_b32_e32 v2, s10
	s_xor_b64 exec, exec, s[6:7]
	s_cbranch_execz .LBB28_706
.LBB28_2756:
	v_mov_b32_e32 v2, 0
	v_cmp_ne_u16_sdwa s[8:9], v8, v2 src0_sel:BYTE_0 src1_sel:DWORD
	s_andn2_b64 s[4:5], s[4:5], exec
	s_and_b64 s[8:9], s[8:9], exec
	s_or_b64 s[4:5], s[4:5], s[8:9]
	s_or_b64 exec, exec, s[6:7]
	s_and_saveexec_b64 s[6:7], s[4:5]
	s_cbranch_execnz .LBB28_707
	s_branch .LBB28_708
.LBB28_2757:
	s_movk_i32 s4, 0x80
	v_cmp_eq_u16_sdwa s[12:13], v4, s4 src0_sel:BYTE_0 src1_sel:DWORD
	s_mov_b64 s[4:5], -1
                                        ; implicit-def: $sgpr10
	s_and_saveexec_b64 s[8:9], s[12:13]
; %bb.2758:
	s_mov_b32 s10, 0x7f800001
	s_xor_b64 s[4:5], exec, -1
; %bb.2759:
	s_or_b64 exec, exec, s[8:9]
	s_and_b64 s[4:5], s[4:5], exec
	s_or_saveexec_b64 s[6:7], s[6:7]
	v_mov_b32_e32 v3, s10
	s_xor_b64 exec, exec, s[6:7]
	s_cbranch_execz .LBB28_710
.LBB28_2760:
	v_mov_b32_e32 v3, 0
	v_cmp_ne_u16_sdwa s[8:9], v4, v3 src0_sel:BYTE_0 src1_sel:DWORD
	s_andn2_b64 s[4:5], s[4:5], exec
	s_and_b64 s[8:9], s[8:9], exec
	s_or_b64 s[4:5], s[4:5], s[8:9]
	s_or_b64 exec, exec, s[6:7]
	s_and_saveexec_b64 s[6:7], s[4:5]
	s_cbranch_execnz .LBB28_711
	s_branch .LBB28_712
.LBB28_2761:
	s_movk_i32 s4, 0x80
	v_cmp_eq_u16_sdwa s[12:13], v3, s4 src0_sel:BYTE_0 src1_sel:DWORD
	s_mov_b64 s[4:5], -1
                                        ; implicit-def: $sgpr10
	s_and_saveexec_b64 s[8:9], s[12:13]
; %bb.2762:
	s_mov_b32 s10, 0x7f800001
	s_xor_b64 s[4:5], exec, -1
; %bb.2763:
	s_or_b64 exec, exec, s[8:9]
	s_and_b64 s[4:5], s[4:5], exec
	s_or_saveexec_b64 s[6:7], s[6:7]
	v_mov_b32_e32 v2, s10
	s_xor_b64 exec, exec, s[6:7]
	s_cbranch_execz .LBB28_714
.LBB28_2764:
	v_mov_b32_e32 v2, 0
	v_cmp_ne_u16_sdwa s[8:9], v3, v2 src0_sel:BYTE_0 src1_sel:DWORD
	s_andn2_b64 s[4:5], s[4:5], exec
	s_and_b64 s[8:9], s[8:9], exec
	s_or_b64 s[4:5], s[4:5], s[8:9]
	s_or_b64 exec, exec, s[6:7]
	s_and_saveexec_b64 s[6:7], s[4:5]
	s_cbranch_execnz .LBB28_715
	s_branch .LBB28_716
.LBB28_2765:
	s_movk_i32 s4, 0x80
	v_cmp_eq_u16_sdwa s[12:13], v3, s4 src0_sel:BYTE_0 src1_sel:DWORD
	s_mov_b64 s[4:5], -1
                                        ; implicit-def: $sgpr10
	s_and_saveexec_b64 s[8:9], s[12:13]
; %bb.2766:
	s_mov_b32 s10, 0x7f800001
	s_xor_b64 s[4:5], exec, -1
; %bb.2767:
	s_or_b64 exec, exec, s[8:9]
	s_and_b64 s[4:5], s[4:5], exec
	s_or_saveexec_b64 s[6:7], s[6:7]
	v_mov_b32_e32 v6, s10
	s_xor_b64 exec, exec, s[6:7]
	s_cbranch_execz .LBB28_718
.LBB28_2768:
	v_mov_b32_e32 v6, 0
	v_cmp_ne_u16_sdwa s[8:9], v3, v6 src0_sel:BYTE_0 src1_sel:DWORD
	s_andn2_b64 s[4:5], s[4:5], exec
	s_and_b64 s[8:9], s[8:9], exec
	s_or_b64 s[4:5], s[4:5], s[8:9]
	s_or_b64 exec, exec, s[6:7]
	s_and_saveexec_b64 s[6:7], s[4:5]
	s_cbranch_execnz .LBB28_719
	s_branch .LBB28_720
.LBB28_2769:
	s_movk_i32 s4, 0x80
	v_cmp_eq_u16_e32 vcc, s4, v3
	s_mov_b64 s[4:5], -1
                                        ; implicit-def: $sgpr10
	s_and_saveexec_b64 s[8:9], vcc
; %bb.2770:
	s_mov_b32 s10, 0x7f800001
	s_xor_b64 s[4:5], exec, -1
; %bb.2771:
	s_or_b64 exec, exec, s[8:9]
	s_and_b64 s[4:5], s[4:5], exec
                                        ; implicit-def: $vgpr3
	s_or_saveexec_b64 s[6:7], s[6:7]
	v_mov_b32_e32 v2, s10
	s_xor_b64 exec, exec, s[6:7]
	s_cbranch_execz .LBB28_722
.LBB28_2772:
	v_cmp_ne_u16_e32 vcc, 0, v3
	s_andn2_b64 s[4:5], s[4:5], exec
	s_and_b64 s[8:9], vcc, exec
	v_mov_b32_e32 v2, 0
	s_or_b64 s[4:5], s[4:5], s[8:9]
	s_or_b64 exec, exec, s[6:7]
	s_and_saveexec_b64 s[6:7], s[4:5]
	s_cbranch_execnz .LBB28_723
	s_branch .LBB28_724
.LBB28_2773:
	s_movk_i32 s4, 0x80
	v_cmp_eq_u16_e32 vcc, s4, v3
	s_mov_b64 s[4:5], -1
                                        ; implicit-def: $sgpr10
	s_and_saveexec_b64 s[8:9], vcc
; %bb.2774:
	s_mov_b32 s10, 0x7f800001
	s_xor_b64 s[4:5], exec, -1
; %bb.2775:
	s_or_b64 exec, exec, s[8:9]
	s_and_b64 s[4:5], s[4:5], exec
                                        ; implicit-def: $vgpr3
	s_or_saveexec_b64 s[6:7], s[6:7]
	v_mov_b32_e32 v6, s10
	s_xor_b64 exec, exec, s[6:7]
	s_cbranch_execz .LBB28_726
.LBB28_2776:
	v_cmp_ne_u16_e32 vcc, 0, v3
	s_andn2_b64 s[4:5], s[4:5], exec
	s_and_b64 s[8:9], vcc, exec
	v_mov_b32_e32 v6, 0
	s_or_b64 s[4:5], s[4:5], s[8:9]
	s_or_b64 exec, exec, s[6:7]
	s_and_saveexec_b64 s[6:7], s[4:5]
	s_cbranch_execnz .LBB28_727
	s_branch .LBB28_728
.LBB28_2777:
	s_movk_i32 s4, 0x80
	v_cmp_eq_u16_sdwa s[12:13], v8, s4 src0_sel:BYTE_3 src1_sel:DWORD
	s_mov_b64 s[4:5], -1
                                        ; implicit-def: $sgpr10
	s_and_saveexec_b64 s[8:9], s[12:13]
; %bb.2778:
	s_mov_b32 s10, 0x7f800001
	s_xor_b64 s[4:5], exec, -1
; %bb.2779:
	s_or_b64 exec, exec, s[8:9]
	s_and_b64 s[4:5], s[4:5], exec
	s_or_saveexec_b64 s[6:7], s[6:7]
	v_mov_b32_e32 v2, s10
	s_xor_b64 exec, exec, s[6:7]
	s_cbranch_execz .LBB28_730
.LBB28_2780:
	v_mov_b32_e32 v2, 0
	v_cmp_ne_u16_sdwa s[8:9], v8, v2 src0_sel:BYTE_3 src1_sel:DWORD
	s_andn2_b64 s[4:5], s[4:5], exec
	s_and_b64 s[8:9], s[8:9], exec
	s_or_b64 s[4:5], s[4:5], s[8:9]
	s_or_b64 exec, exec, s[6:7]
	s_and_saveexec_b64 s[6:7], s[4:5]
	s_cbranch_execnz .LBB28_731
	s_branch .LBB28_732
.LBB28_2781:
	s_movk_i32 s4, 0x80
	v_cmp_eq_u16_sdwa s[12:13], v4, s4 src0_sel:BYTE_3 src1_sel:DWORD
	s_mov_b64 s[4:5], -1
                                        ; implicit-def: $sgpr10
	s_and_saveexec_b64 s[8:9], s[12:13]
; %bb.2782:
	s_mov_b32 s10, 0x7f800001
	s_xor_b64 s[4:5], exec, -1
; %bb.2783:
	s_or_b64 exec, exec, s[8:9]
	s_and_b64 s[4:5], s[4:5], exec
	s_or_saveexec_b64 s[6:7], s[6:7]
	v_mov_b32_e32 v3, s10
	s_xor_b64 exec, exec, s[6:7]
	s_cbranch_execz .LBB28_734
.LBB28_2784:
	v_mov_b32_e32 v3, 0
	v_cmp_ne_u16_sdwa s[8:9], v4, v3 src0_sel:BYTE_3 src1_sel:DWORD
	s_andn2_b64 s[4:5], s[4:5], exec
	s_and_b64 s[8:9], s[8:9], exec
	s_or_b64 s[4:5], s[4:5], s[8:9]
	s_or_b64 exec, exec, s[6:7]
	s_and_saveexec_b64 s[6:7], s[4:5]
	s_cbranch_execnz .LBB28_735
	s_branch .LBB28_736
.LBB28_2785:
	s_movk_i32 s4, 0x80
	v_cmp_eq_u16_sdwa s[12:13], v9, s4 src0_sel:BYTE_0 src1_sel:DWORD
	s_mov_b64 s[4:5], -1
                                        ; implicit-def: $sgpr10
	s_and_saveexec_b64 s[8:9], s[12:13]
; %bb.2786:
	s_mov_b32 s10, 0x7f800001
	s_xor_b64 s[4:5], exec, -1
; %bb.2787:
	s_or_b64 exec, exec, s[8:9]
	s_and_b64 s[4:5], s[4:5], exec
	s_or_saveexec_b64 s[6:7], s[6:7]
	v_mov_b32_e32 v2, s10
	s_xor_b64 exec, exec, s[6:7]
	s_cbranch_execz .LBB28_738
.LBB28_2788:
	v_mov_b32_e32 v2, 0
	v_cmp_ne_u16_sdwa s[8:9], v9, v2 src0_sel:BYTE_0 src1_sel:DWORD
	s_andn2_b64 s[4:5], s[4:5], exec
	s_and_b64 s[8:9], s[8:9], exec
	s_or_b64 s[4:5], s[4:5], s[8:9]
	s_or_b64 exec, exec, s[6:7]
	s_and_saveexec_b64 s[6:7], s[4:5]
	s_cbranch_execnz .LBB28_739
	s_branch .LBB28_740
.LBB28_2789:
	s_movk_i32 s4, 0x80
	v_cmp_eq_u16_sdwa s[12:13], v5, s4 src0_sel:BYTE_0 src1_sel:DWORD
	s_mov_b64 s[4:5], -1
                                        ; implicit-def: $sgpr10
	s_and_saveexec_b64 s[8:9], s[12:13]
; %bb.2790:
	s_mov_b32 s10, 0x7f800001
	s_xor_b64 s[4:5], exec, -1
; %bb.2791:
	s_or_b64 exec, exec, s[8:9]
	s_and_b64 s[4:5], s[4:5], exec
	s_or_saveexec_b64 s[6:7], s[6:7]
	v_mov_b32_e32 v3, s10
	s_xor_b64 exec, exec, s[6:7]
	s_cbranch_execz .LBB28_742
.LBB28_2792:
	v_mov_b32_e32 v3, 0
	v_cmp_ne_u16_sdwa s[8:9], v5, v3 src0_sel:BYTE_0 src1_sel:DWORD
	s_andn2_b64 s[4:5], s[4:5], exec
	s_and_b64 s[8:9], s[8:9], exec
	s_or_b64 s[4:5], s[4:5], s[8:9]
	s_or_b64 exec, exec, s[6:7]
	s_and_saveexec_b64 s[6:7], s[4:5]
	s_cbranch_execnz .LBB28_743
	s_branch .LBB28_744
.LBB28_2793:
	s_movk_i32 s4, 0x80
	v_cmp_eq_u16_sdwa s[12:13], v3, s4 src0_sel:BYTE_0 src1_sel:DWORD
	s_mov_b64 s[4:5], -1
                                        ; implicit-def: $sgpr10
	s_and_saveexec_b64 s[8:9], s[12:13]
; %bb.2794:
	s_mov_b32 s10, 0x7f800001
	s_xor_b64 s[4:5], exec, -1
; %bb.2795:
	s_or_b64 exec, exec, s[8:9]
	s_and_b64 s[4:5], s[4:5], exec
	s_or_saveexec_b64 s[6:7], s[6:7]
	v_mov_b32_e32 v2, s10
	s_xor_b64 exec, exec, s[6:7]
	s_cbranch_execz .LBB28_746
.LBB28_2796:
	v_mov_b32_e32 v2, 0
	v_cmp_ne_u16_sdwa s[8:9], v3, v2 src0_sel:BYTE_0 src1_sel:DWORD
	s_andn2_b64 s[4:5], s[4:5], exec
	s_and_b64 s[8:9], s[8:9], exec
	s_or_b64 s[4:5], s[4:5], s[8:9]
	s_or_b64 exec, exec, s[6:7]
	s_and_saveexec_b64 s[6:7], s[4:5]
	s_cbranch_execnz .LBB28_747
	s_branch .LBB28_748
.LBB28_2797:
	s_movk_i32 s4, 0x80
	v_cmp_eq_u16_sdwa s[12:13], v3, s4 src0_sel:BYTE_0 src1_sel:DWORD
	s_mov_b64 s[4:5], -1
                                        ; implicit-def: $sgpr10
	s_and_saveexec_b64 s[8:9], s[12:13]
; %bb.2798:
	s_mov_b32 s10, 0x7f800001
	s_xor_b64 s[4:5], exec, -1
; %bb.2799:
	s_or_b64 exec, exec, s[8:9]
	s_and_b64 s[4:5], s[4:5], exec
	s_or_saveexec_b64 s[6:7], s[6:7]
	v_mov_b32_e32 v4, s10
	s_xor_b64 exec, exec, s[6:7]
	s_cbranch_execz .LBB28_750
.LBB28_2800:
	v_mov_b32_e32 v4, 0
	v_cmp_ne_u16_sdwa s[8:9], v3, v4 src0_sel:BYTE_0 src1_sel:DWORD
	s_andn2_b64 s[4:5], s[4:5], exec
	s_and_b64 s[8:9], s[8:9], exec
	s_or_b64 s[4:5], s[4:5], s[8:9]
	s_or_b64 exec, exec, s[6:7]
	s_and_saveexec_b64 s[6:7], s[4:5]
	s_cbranch_execnz .LBB28_751
	s_branch .LBB28_752
.LBB28_2801:
	s_movk_i32 s4, 0x80
	v_cmp_eq_u16_e32 vcc, s4, v3
	s_mov_b64 s[4:5], -1
                                        ; implicit-def: $sgpr10
	s_and_saveexec_b64 s[8:9], vcc
; %bb.2802:
	s_mov_b32 s10, 0x7f800001
	s_xor_b64 s[4:5], exec, -1
; %bb.2803:
	s_or_b64 exec, exec, s[8:9]
	s_and_b64 s[4:5], s[4:5], exec
                                        ; implicit-def: $vgpr3
	s_or_saveexec_b64 s[6:7], s[6:7]
	v_mov_b32_e32 v2, s10
	s_xor_b64 exec, exec, s[6:7]
	s_cbranch_execz .LBB28_754
.LBB28_2804:
	v_cmp_ne_u16_e32 vcc, 0, v3
	s_andn2_b64 s[4:5], s[4:5], exec
	s_and_b64 s[8:9], vcc, exec
	v_mov_b32_e32 v2, 0
	s_or_b64 s[4:5], s[4:5], s[8:9]
	s_or_b64 exec, exec, s[6:7]
	s_and_saveexec_b64 s[6:7], s[4:5]
	s_cbranch_execnz .LBB28_755
	s_branch .LBB28_756
.LBB28_2805:
	s_movk_i32 s4, 0x80
	v_cmp_eq_u16_e32 vcc, s4, v3
	s_mov_b64 s[4:5], -1
                                        ; implicit-def: $sgpr10
	s_and_saveexec_b64 s[8:9], vcc
; %bb.2806:
	s_mov_b32 s10, 0x7f800001
	s_xor_b64 s[4:5], exec, -1
; %bb.2807:
	s_or_b64 exec, exec, s[8:9]
	s_and_b64 s[4:5], s[4:5], exec
                                        ; implicit-def: $vgpr3
	s_or_saveexec_b64 s[6:7], s[6:7]
	v_mov_b32_e32 v4, s10
	s_xor_b64 exec, exec, s[6:7]
	s_cbranch_execz .LBB28_758
.LBB28_2808:
	v_cmp_ne_u16_e32 vcc, 0, v3
	s_andn2_b64 s[4:5], s[4:5], exec
	s_and_b64 s[8:9], vcc, exec
	v_mov_b32_e32 v4, 0
	s_or_b64 s[4:5], s[4:5], s[8:9]
	s_or_b64 exec, exec, s[6:7]
	s_and_saveexec_b64 s[6:7], s[4:5]
	s_cbranch_execnz .LBB28_759
	s_branch .LBB28_760
.LBB28_2809:
	s_movk_i32 s4, 0x80
	v_cmp_eq_u16_sdwa s[12:13], v9, s4 src0_sel:BYTE_3 src1_sel:DWORD
	s_mov_b64 s[4:5], -1
                                        ; implicit-def: $sgpr10
	s_and_saveexec_b64 s[8:9], s[12:13]
; %bb.2810:
	s_mov_b32 s10, 0x7f800001
	s_xor_b64 s[4:5], exec, -1
; %bb.2811:
	s_or_b64 exec, exec, s[8:9]
	s_and_b64 s[4:5], s[4:5], exec
	s_or_saveexec_b64 s[6:7], s[6:7]
	v_mov_b32_e32 v2, s10
	s_xor_b64 exec, exec, s[6:7]
	s_cbranch_execz .LBB28_762
.LBB28_2812:
	v_mov_b32_e32 v2, 0
	v_cmp_ne_u16_sdwa s[8:9], v9, v2 src0_sel:BYTE_3 src1_sel:DWORD
	s_andn2_b64 s[4:5], s[4:5], exec
	s_and_b64 s[8:9], s[8:9], exec
	s_or_b64 s[4:5], s[4:5], s[8:9]
	s_or_b64 exec, exec, s[6:7]
	s_and_saveexec_b64 s[6:7], s[4:5]
	s_cbranch_execnz .LBB28_763
	s_branch .LBB28_764
.LBB28_2813:
	s_movk_i32 s4, 0x80
	v_cmp_eq_u16_sdwa s[12:13], v5, s4 src0_sel:BYTE_3 src1_sel:DWORD
	s_mov_b64 s[4:5], -1
                                        ; implicit-def: $sgpr10
	s_and_saveexec_b64 s[8:9], s[12:13]
; %bb.2814:
	s_mov_b32 s10, 0x7f800001
	s_xor_b64 s[4:5], exec, -1
; %bb.2815:
	s_or_b64 exec, exec, s[8:9]
	s_and_b64 s[4:5], s[4:5], exec
	s_or_saveexec_b64 s[6:7], s[6:7]
	v_mov_b32_e32 v3, s10
	s_xor_b64 exec, exec, s[6:7]
	s_cbranch_execz .LBB28_766
.LBB28_2816:
	v_mov_b32_e32 v3, 0
	v_cmp_ne_u16_sdwa s[8:9], v5, v3 src0_sel:BYTE_3 src1_sel:DWORD
	s_andn2_b64 s[4:5], s[4:5], exec
	s_and_b64 s[8:9], s[8:9], exec
	s_or_b64 s[4:5], s[4:5], s[8:9]
	s_or_b64 exec, exec, s[6:7]
	s_and_saveexec_b64 s[6:7], s[4:5]
	s_cbranch_execnz .LBB28_767
	s_branch .LBB28_768
.LBB28_2817:
	s_movk_i32 s4, 0x80
	v_cmp_eq_u16_sdwa s[12:13], v14, s4 src0_sel:BYTE_0 src1_sel:DWORD
	s_mov_b64 s[4:5], -1
                                        ; implicit-def: $sgpr10
	s_and_saveexec_b64 s[8:9], s[12:13]
; %bb.2818:
	s_mov_b32 s10, 0x7f800001
	s_xor_b64 s[4:5], exec, -1
; %bb.2819:
	s_or_b64 exec, exec, s[8:9]
	s_and_b64 s[4:5], s[4:5], exec
	s_or_saveexec_b64 s[6:7], s[6:7]
	v_mov_b32_e32 v20, s10
	s_xor_b64 exec, exec, s[6:7]
	s_cbranch_execz .LBB28_770
.LBB28_2820:
	v_mov_b32_e32 v20, 0
	v_cmp_ne_u16_sdwa s[8:9], v14, v20 src0_sel:BYTE_0 src1_sel:DWORD
	s_andn2_b64 s[4:5], s[4:5], exec
	s_and_b64 s[8:9], s[8:9], exec
	s_or_b64 s[4:5], s[4:5], s[8:9]
	s_or_b64 exec, exec, s[6:7]
	s_and_saveexec_b64 s[6:7], s[4:5]
	s_cbranch_execnz .LBB28_771
	s_branch .LBB28_772
.LBB28_2821:
	s_movk_i32 s4, 0x80
	v_cmp_eq_u16_sdwa s[12:13], v10, s4 src0_sel:BYTE_0 src1_sel:DWORD
	s_mov_b64 s[4:5], -1
                                        ; implicit-def: $sgpr10
	s_and_saveexec_b64 s[8:9], s[12:13]
; %bb.2822:
	s_mov_b32 s10, 0x7f800001
	s_xor_b64 s[4:5], exec, -1
; %bb.2823:
	s_or_b64 exec, exec, s[8:9]
	s_and_b64 s[4:5], s[4:5], exec
	s_or_saveexec_b64 s[6:7], s[6:7]
	v_mov_b32_e32 v21, s10
	s_xor_b64 exec, exec, s[6:7]
	s_cbranch_execz .LBB28_774
.LBB28_2824:
	v_mov_b32_e32 v21, 0
	v_cmp_ne_u16_sdwa s[8:9], v10, v21 src0_sel:BYTE_0 src1_sel:DWORD
	s_andn2_b64 s[4:5], s[4:5], exec
	s_and_b64 s[8:9], s[8:9], exec
	s_or_b64 s[4:5], s[4:5], s[8:9]
	s_or_b64 exec, exec, s[6:7]
	s_and_saveexec_b64 s[6:7], s[4:5]
	s_cbranch_execnz .LBB28_775
	s_branch .LBB28_776
.LBB28_2825:
	s_movk_i32 s4, 0x80
	v_cmp_eq_u16_sdwa s[12:13], v21, s4 src0_sel:BYTE_0 src1_sel:DWORD
	s_mov_b64 s[4:5], -1
                                        ; implicit-def: $sgpr10
	s_and_saveexec_b64 s[8:9], s[12:13]
; %bb.2826:
	s_mov_b32 s10, 0x7f800001
	s_xor_b64 s[4:5], exec, -1
; %bb.2827:
	s_or_b64 exec, exec, s[8:9]
	s_and_b64 s[4:5], s[4:5], exec
	s_or_saveexec_b64 s[6:7], s[6:7]
	v_mov_b32_e32 v20, s10
	s_xor_b64 exec, exec, s[6:7]
	s_cbranch_execz .LBB28_778
.LBB28_2828:
	v_mov_b32_e32 v20, 0
	v_cmp_ne_u16_sdwa s[8:9], v21, v20 src0_sel:BYTE_0 src1_sel:DWORD
	s_andn2_b64 s[4:5], s[4:5], exec
	s_and_b64 s[8:9], s[8:9], exec
	s_or_b64 s[4:5], s[4:5], s[8:9]
	s_or_b64 exec, exec, s[6:7]
	s_and_saveexec_b64 s[6:7], s[4:5]
	s_cbranch_execnz .LBB28_779
	s_branch .LBB28_780
.LBB28_2829:
	s_movk_i32 s4, 0x80
	v_cmp_eq_u16_sdwa s[12:13], v21, s4 src0_sel:BYTE_0 src1_sel:DWORD
	s_mov_b64 s[4:5], -1
                                        ; implicit-def: $sgpr10
	s_and_saveexec_b64 s[8:9], s[12:13]
; %bb.2830:
	s_mov_b32 s10, 0x7f800001
	s_xor_b64 s[4:5], exec, -1
; %bb.2831:
	s_or_b64 exec, exec, s[8:9]
	s_and_b64 s[4:5], s[4:5], exec
	s_or_saveexec_b64 s[6:7], s[6:7]
	v_mov_b32_e32 v22, s10
	s_xor_b64 exec, exec, s[6:7]
	s_cbranch_execz .LBB28_782
.LBB28_2832:
	v_mov_b32_e32 v22, 0
	v_cmp_ne_u16_sdwa s[8:9], v21, v22 src0_sel:BYTE_0 src1_sel:DWORD
	s_andn2_b64 s[4:5], s[4:5], exec
	s_and_b64 s[8:9], s[8:9], exec
	s_or_b64 s[4:5], s[4:5], s[8:9]
	s_or_b64 exec, exec, s[6:7]
	s_and_saveexec_b64 s[6:7], s[4:5]
	s_cbranch_execnz .LBB28_783
	s_branch .LBB28_784
.LBB28_2833:
	s_movk_i32 s4, 0x80
	v_cmp_eq_u16_e32 vcc, s4, v21
	s_mov_b64 s[4:5], -1
                                        ; implicit-def: $sgpr10
	s_and_saveexec_b64 s[8:9], vcc
; %bb.2834:
	s_mov_b32 s10, 0x7f800001
	s_xor_b64 s[4:5], exec, -1
; %bb.2835:
	s_or_b64 exec, exec, s[8:9]
	s_and_b64 s[4:5], s[4:5], exec
                                        ; implicit-def: $vgpr21
	s_or_saveexec_b64 s[6:7], s[6:7]
	v_mov_b32_e32 v20, s10
	s_xor_b64 exec, exec, s[6:7]
	s_cbranch_execz .LBB28_786
.LBB28_2836:
	v_cmp_ne_u16_e32 vcc, 0, v21
	s_andn2_b64 s[4:5], s[4:5], exec
	s_and_b64 s[8:9], vcc, exec
	v_mov_b32_e32 v20, 0
	s_or_b64 s[4:5], s[4:5], s[8:9]
	s_or_b64 exec, exec, s[6:7]
	s_and_saveexec_b64 s[6:7], s[4:5]
	s_cbranch_execnz .LBB28_787
	s_branch .LBB28_788
.LBB28_2837:
	s_movk_i32 s4, 0x80
	v_cmp_eq_u16_e32 vcc, s4, v21
	s_mov_b64 s[4:5], -1
                                        ; implicit-def: $sgpr10
	s_and_saveexec_b64 s[8:9], vcc
; %bb.2838:
	s_mov_b32 s10, 0x7f800001
	s_xor_b64 s[4:5], exec, -1
; %bb.2839:
	s_or_b64 exec, exec, s[8:9]
	s_and_b64 s[4:5], s[4:5], exec
                                        ; implicit-def: $vgpr21
	s_or_saveexec_b64 s[6:7], s[6:7]
	v_mov_b32_e32 v22, s10
	s_xor_b64 exec, exec, s[6:7]
	s_cbranch_execz .LBB28_790
.LBB28_2840:
	v_cmp_ne_u16_e32 vcc, 0, v21
	s_andn2_b64 s[4:5], s[4:5], exec
	s_and_b64 s[8:9], vcc, exec
	v_mov_b32_e32 v22, 0
	s_or_b64 s[4:5], s[4:5], s[8:9]
	s_or_b64 exec, exec, s[6:7]
	s_and_saveexec_b64 s[6:7], s[4:5]
	s_cbranch_execnz .LBB28_791
	s_branch .LBB28_792
.LBB28_2841:
	s_movk_i32 s4, 0x80
	v_cmp_eq_u16_sdwa s[12:13], v14, s4 src0_sel:BYTE_3 src1_sel:DWORD
	s_mov_b64 s[4:5], -1
                                        ; implicit-def: $sgpr10
	s_and_saveexec_b64 s[8:9], s[12:13]
; %bb.2842:
	s_mov_b32 s10, 0x7f800001
	s_xor_b64 s[4:5], exec, -1
; %bb.2843:
	s_or_b64 exec, exec, s[8:9]
	s_and_b64 s[4:5], s[4:5], exec
	s_or_saveexec_b64 s[6:7], s[6:7]
	v_mov_b32_e32 v20, s10
	s_xor_b64 exec, exec, s[6:7]
	s_cbranch_execz .LBB28_794
.LBB28_2844:
	v_mov_b32_e32 v20, 0
	v_cmp_ne_u16_sdwa s[8:9], v14, v20 src0_sel:BYTE_3 src1_sel:DWORD
	s_andn2_b64 s[4:5], s[4:5], exec
	s_and_b64 s[8:9], s[8:9], exec
	s_or_b64 s[4:5], s[4:5], s[8:9]
	s_or_b64 exec, exec, s[6:7]
	s_and_saveexec_b64 s[6:7], s[4:5]
	s_cbranch_execnz .LBB28_795
	s_branch .LBB28_796
.LBB28_2845:
	s_movk_i32 s4, 0x80
	v_cmp_eq_u16_sdwa s[12:13], v10, s4 src0_sel:BYTE_3 src1_sel:DWORD
	s_mov_b64 s[4:5], -1
                                        ; implicit-def: $sgpr10
	s_and_saveexec_b64 s[8:9], s[12:13]
; %bb.2846:
	s_mov_b32 s10, 0x7f800001
	s_xor_b64 s[4:5], exec, -1
; %bb.2847:
	s_or_b64 exec, exec, s[8:9]
	s_and_b64 s[4:5], s[4:5], exec
	s_or_saveexec_b64 s[6:7], s[6:7]
	v_mov_b32_e32 v14, s10
	s_xor_b64 exec, exec, s[6:7]
	s_cbranch_execz .LBB28_798
.LBB28_2848:
	v_mov_b32_e32 v14, 0
	v_cmp_ne_u16_sdwa s[8:9], v10, v14 src0_sel:BYTE_3 src1_sel:DWORD
	s_andn2_b64 s[4:5], s[4:5], exec
	s_and_b64 s[8:9], s[8:9], exec
	s_or_b64 s[4:5], s[4:5], s[8:9]
	s_or_b64 exec, exec, s[6:7]
	s_and_saveexec_b64 s[6:7], s[4:5]
	s_cbranch_execnz .LBB28_799
	s_branch .LBB28_800
.LBB28_2849:
	s_movk_i32 s4, 0x80
	v_cmp_eq_u16_sdwa s[12:13], v15, s4 src0_sel:BYTE_0 src1_sel:DWORD
	s_mov_b64 s[4:5], -1
                                        ; implicit-def: $sgpr10
	s_and_saveexec_b64 s[8:9], s[12:13]
; %bb.2850:
	s_mov_b32 s10, 0x7f800001
	s_xor_b64 s[4:5], exec, -1
; %bb.2851:
	s_or_b64 exec, exec, s[8:9]
	s_and_b64 s[4:5], s[4:5], exec
	s_or_saveexec_b64 s[6:7], s[6:7]
	v_mov_b32_e32 v10, s10
	s_xor_b64 exec, exec, s[6:7]
	s_cbranch_execz .LBB28_802
.LBB28_2852:
	v_mov_b32_e32 v10, 0
	v_cmp_ne_u16_sdwa s[8:9], v15, v10 src0_sel:BYTE_0 src1_sel:DWORD
	s_andn2_b64 s[4:5], s[4:5], exec
	s_and_b64 s[8:9], s[8:9], exec
	s_or_b64 s[4:5], s[4:5], s[8:9]
	s_or_b64 exec, exec, s[6:7]
	s_and_saveexec_b64 s[6:7], s[4:5]
	s_cbranch_execnz .LBB28_803
	s_branch .LBB28_804
.LBB28_2853:
	s_movk_i32 s4, 0x80
	v_cmp_eq_u16_sdwa s[12:13], v11, s4 src0_sel:BYTE_0 src1_sel:DWORD
	s_mov_b64 s[4:5], -1
                                        ; implicit-def: $sgpr10
	s_and_saveexec_b64 s[8:9], s[12:13]
; %bb.2854:
	s_mov_b32 s10, 0x7f800001
	s_xor_b64 s[4:5], exec, -1
; %bb.2855:
	s_or_b64 exec, exec, s[8:9]
	s_and_b64 s[4:5], s[4:5], exec
	s_or_saveexec_b64 s[6:7], s[6:7]
	v_mov_b32_e32 v14, s10
	s_xor_b64 exec, exec, s[6:7]
	s_cbranch_execz .LBB28_806
.LBB28_2856:
	v_mov_b32_e32 v14, 0
	v_cmp_ne_u16_sdwa s[8:9], v11, v14 src0_sel:BYTE_0 src1_sel:DWORD
	s_andn2_b64 s[4:5], s[4:5], exec
	s_and_b64 s[8:9], s[8:9], exec
	s_or_b64 s[4:5], s[4:5], s[8:9]
	s_or_b64 exec, exec, s[6:7]
	s_and_saveexec_b64 s[6:7], s[4:5]
	s_cbranch_execnz .LBB28_807
	s_branch .LBB28_808
.LBB28_2857:
	s_movk_i32 s4, 0x80
	v_cmp_eq_u16_sdwa s[12:13], v14, s4 src0_sel:BYTE_0 src1_sel:DWORD
	s_mov_b64 s[4:5], -1
                                        ; implicit-def: $sgpr10
	s_and_saveexec_b64 s[8:9], s[12:13]
; %bb.2858:
	s_mov_b32 s10, 0x7f800001
	s_xor_b64 s[4:5], exec, -1
; %bb.2859:
	s_or_b64 exec, exec, s[8:9]
	s_and_b64 s[4:5], s[4:5], exec
	s_or_saveexec_b64 s[6:7], s[6:7]
	v_mov_b32_e32 v10, s10
	s_xor_b64 exec, exec, s[6:7]
	s_cbranch_execz .LBB28_810
.LBB28_2860:
	v_mov_b32_e32 v10, 0
	v_cmp_ne_u16_sdwa s[8:9], v14, v10 src0_sel:BYTE_0 src1_sel:DWORD
	s_andn2_b64 s[4:5], s[4:5], exec
	s_and_b64 s[8:9], s[8:9], exec
	s_or_b64 s[4:5], s[4:5], s[8:9]
	s_or_b64 exec, exec, s[6:7]
	s_and_saveexec_b64 s[6:7], s[4:5]
	s_cbranch_execnz .LBB28_811
	s_branch .LBB28_812
.LBB28_2861:
	s_movk_i32 s4, 0x80
	v_cmp_eq_u16_sdwa s[12:13], v14, s4 src0_sel:BYTE_0 src1_sel:DWORD
	s_mov_b64 s[4:5], -1
                                        ; implicit-def: $sgpr10
	s_and_saveexec_b64 s[8:9], s[12:13]
; %bb.2862:
	s_mov_b32 s10, 0x7f800001
	s_xor_b64 s[4:5], exec, -1
; %bb.2863:
	s_or_b64 exec, exec, s[8:9]
	s_and_b64 s[4:5], s[4:5], exec
	s_or_saveexec_b64 s[6:7], s[6:7]
	v_mov_b32_e32 v20, s10
	s_xor_b64 exec, exec, s[6:7]
	s_cbranch_execz .LBB28_814
.LBB28_2864:
	v_mov_b32_e32 v20, 0
	v_cmp_ne_u16_sdwa s[8:9], v14, v20 src0_sel:BYTE_0 src1_sel:DWORD
	s_andn2_b64 s[4:5], s[4:5], exec
	s_and_b64 s[8:9], s[8:9], exec
	s_or_b64 s[4:5], s[4:5], s[8:9]
	s_or_b64 exec, exec, s[6:7]
	s_and_saveexec_b64 s[6:7], s[4:5]
	s_cbranch_execnz .LBB28_815
	s_branch .LBB28_816
.LBB28_2865:
	s_movk_i32 s4, 0x80
	v_cmp_eq_u16_e32 vcc, s4, v14
	s_mov_b64 s[4:5], -1
                                        ; implicit-def: $sgpr10
	s_and_saveexec_b64 s[8:9], vcc
; %bb.2866:
	s_mov_b32 s10, 0x7f800001
	s_xor_b64 s[4:5], exec, -1
; %bb.2867:
	s_or_b64 exec, exec, s[8:9]
	s_and_b64 s[4:5], s[4:5], exec
                                        ; implicit-def: $vgpr14
	s_or_saveexec_b64 s[6:7], s[6:7]
	v_mov_b32_e32 v10, s10
	s_xor_b64 exec, exec, s[6:7]
	s_cbranch_execz .LBB28_818
.LBB28_2868:
	v_cmp_ne_u16_e32 vcc, 0, v14
	s_andn2_b64 s[4:5], s[4:5], exec
	s_and_b64 s[8:9], vcc, exec
	v_mov_b32_e32 v10, 0
	s_or_b64 s[4:5], s[4:5], s[8:9]
	s_or_b64 exec, exec, s[6:7]
	s_and_saveexec_b64 s[6:7], s[4:5]
	s_cbranch_execnz .LBB28_819
	s_branch .LBB28_820
.LBB28_2869:
	s_movk_i32 s4, 0x80
	v_cmp_eq_u16_e32 vcc, s4, v14
	s_mov_b64 s[4:5], -1
                                        ; implicit-def: $sgpr10
	s_and_saveexec_b64 s[8:9], vcc
; %bb.2870:
	s_mov_b32 s10, 0x7f800001
	s_xor_b64 s[4:5], exec, -1
; %bb.2871:
	s_or_b64 exec, exec, s[8:9]
	s_and_b64 s[4:5], s[4:5], exec
                                        ; implicit-def: $vgpr14
	s_or_saveexec_b64 s[6:7], s[6:7]
	v_mov_b32_e32 v20, s10
	s_xor_b64 exec, exec, s[6:7]
	s_cbranch_execz .LBB28_822
.LBB28_2872:
	v_cmp_ne_u16_e32 vcc, 0, v14
	s_andn2_b64 s[4:5], s[4:5], exec
	s_and_b64 s[8:9], vcc, exec
	v_mov_b32_e32 v20, 0
	s_or_b64 s[4:5], s[4:5], s[8:9]
	s_or_b64 exec, exec, s[6:7]
	s_and_saveexec_b64 s[6:7], s[4:5]
	s_cbranch_execnz .LBB28_823
	s_branch .LBB28_824
.LBB28_2873:
	s_movk_i32 s4, 0x80
	v_cmp_eq_u16_sdwa s[12:13], v15, s4 src0_sel:BYTE_3 src1_sel:DWORD
	s_mov_b64 s[4:5], -1
                                        ; implicit-def: $sgpr10
	s_and_saveexec_b64 s[8:9], s[12:13]
; %bb.2874:
	s_mov_b32 s10, 0x7f800001
	s_xor_b64 s[4:5], exec, -1
; %bb.2875:
	s_or_b64 exec, exec, s[8:9]
	s_and_b64 s[4:5], s[4:5], exec
	s_or_saveexec_b64 s[6:7], s[6:7]
	v_mov_b32_e32 v10, s10
	s_xor_b64 exec, exec, s[6:7]
	s_cbranch_execz .LBB28_826
.LBB28_2876:
	v_mov_b32_e32 v10, 0
	v_cmp_ne_u16_sdwa s[8:9], v15, v10 src0_sel:BYTE_3 src1_sel:DWORD
	s_andn2_b64 s[4:5], s[4:5], exec
	s_and_b64 s[8:9], s[8:9], exec
	s_or_b64 s[4:5], s[4:5], s[8:9]
	s_or_b64 exec, exec, s[6:7]
	s_and_saveexec_b64 s[6:7], s[4:5]
	s_cbranch_execnz .LBB28_827
	s_branch .LBB28_828
.LBB28_2877:
	s_movk_i32 s4, 0x80
	v_cmp_eq_u16_sdwa s[12:13], v11, s4 src0_sel:BYTE_3 src1_sel:DWORD
	s_mov_b64 s[4:5], -1
                                        ; implicit-def: $sgpr10
	s_and_saveexec_b64 s[8:9], s[12:13]
; %bb.2878:
	s_mov_b32 s10, 0x7f800001
	s_xor_b64 s[4:5], exec, -1
; %bb.2879:
	s_or_b64 exec, exec, s[8:9]
	s_and_b64 s[4:5], s[4:5], exec
	s_or_saveexec_b64 s[6:7], s[6:7]
	v_mov_b32_e32 v14, s10
	s_xor_b64 exec, exec, s[6:7]
	s_cbranch_execz .LBB28_830
.LBB28_2880:
	v_mov_b32_e32 v14, 0
	v_cmp_ne_u16_sdwa s[8:9], v11, v14 src0_sel:BYTE_3 src1_sel:DWORD
	s_andn2_b64 s[4:5], s[4:5], exec
	s_and_b64 s[8:9], s[8:9], exec
	s_or_b64 s[4:5], s[4:5], s[8:9]
	s_or_b64 exec, exec, s[6:7]
	s_and_saveexec_b64 s[6:7], s[4:5]
	s_cbranch_execnz .LBB28_831
	s_branch .LBB28_832
.LBB28_2881:
	s_movk_i32 s4, 0x80
	v_cmp_eq_u16_sdwa s[12:13], v16, s4 src0_sel:BYTE_0 src1_sel:DWORD
	s_mov_b64 s[4:5], -1
                                        ; implicit-def: $sgpr10
	s_and_saveexec_b64 s[8:9], s[12:13]
; %bb.2882:
	s_mov_b32 s10, 0x7f800001
	s_xor_b64 s[4:5], exec, -1
; %bb.2883:
	s_or_b64 exec, exec, s[8:9]
	s_and_b64 s[4:5], s[4:5], exec
	s_or_saveexec_b64 s[6:7], s[6:7]
	v_mov_b32_e32 v10, s10
	s_xor_b64 exec, exec, s[6:7]
	s_cbranch_execz .LBB28_834
.LBB28_2884:
	v_mov_b32_e32 v10, 0
	v_cmp_ne_u16_sdwa s[8:9], v16, v10 src0_sel:BYTE_0 src1_sel:DWORD
	s_andn2_b64 s[4:5], s[4:5], exec
	s_and_b64 s[8:9], s[8:9], exec
	s_or_b64 s[4:5], s[4:5], s[8:9]
	s_or_b64 exec, exec, s[6:7]
	s_and_saveexec_b64 s[6:7], s[4:5]
	s_cbranch_execnz .LBB28_835
	s_branch .LBB28_836
.LBB28_2885:
	s_movk_i32 s4, 0x80
	v_cmp_eq_u16_sdwa s[12:13], v12, s4 src0_sel:BYTE_0 src1_sel:DWORD
	s_mov_b64 s[4:5], -1
                                        ; implicit-def: $sgpr10
	s_and_saveexec_b64 s[8:9], s[12:13]
; %bb.2886:
	s_mov_b32 s10, 0x7f800001
	s_xor_b64 s[4:5], exec, -1
; %bb.2887:
	s_or_b64 exec, exec, s[8:9]
	s_and_b64 s[4:5], s[4:5], exec
	s_or_saveexec_b64 s[6:7], s[6:7]
	v_mov_b32_e32 v11, s10
	s_xor_b64 exec, exec, s[6:7]
	s_cbranch_execz .LBB28_838
.LBB28_2888:
	v_mov_b32_e32 v11, 0
	v_cmp_ne_u16_sdwa s[8:9], v12, v11 src0_sel:BYTE_0 src1_sel:DWORD
	s_andn2_b64 s[4:5], s[4:5], exec
	s_and_b64 s[8:9], s[8:9], exec
	s_or_b64 s[4:5], s[4:5], s[8:9]
	s_or_b64 exec, exec, s[6:7]
	s_and_saveexec_b64 s[6:7], s[4:5]
	s_cbranch_execnz .LBB28_839
	s_branch .LBB28_840
.LBB28_2889:
	s_movk_i32 s4, 0x80
	v_cmp_eq_u16_sdwa s[12:13], v11, s4 src0_sel:BYTE_0 src1_sel:DWORD
	s_mov_b64 s[4:5], -1
                                        ; implicit-def: $sgpr10
	s_and_saveexec_b64 s[8:9], s[12:13]
; %bb.2890:
	s_mov_b32 s10, 0x7f800001
	s_xor_b64 s[4:5], exec, -1
; %bb.2891:
	s_or_b64 exec, exec, s[8:9]
	s_and_b64 s[4:5], s[4:5], exec
	s_or_saveexec_b64 s[6:7], s[6:7]
	v_mov_b32_e32 v10, s10
	s_xor_b64 exec, exec, s[6:7]
	s_cbranch_execz .LBB28_842
.LBB28_2892:
	v_mov_b32_e32 v10, 0
	v_cmp_ne_u16_sdwa s[8:9], v11, v10 src0_sel:BYTE_0 src1_sel:DWORD
	s_andn2_b64 s[4:5], s[4:5], exec
	s_and_b64 s[8:9], s[8:9], exec
	s_or_b64 s[4:5], s[4:5], s[8:9]
	s_or_b64 exec, exec, s[6:7]
	s_and_saveexec_b64 s[6:7], s[4:5]
	s_cbranch_execnz .LBB28_843
	s_branch .LBB28_844
.LBB28_2893:
	s_movk_i32 s4, 0x80
	v_cmp_eq_u16_sdwa s[12:13], v11, s4 src0_sel:BYTE_0 src1_sel:DWORD
	s_mov_b64 s[4:5], -1
                                        ; implicit-def: $sgpr10
	s_and_saveexec_b64 s[8:9], s[12:13]
; %bb.2894:
	s_mov_b32 s10, 0x7f800001
	s_xor_b64 s[4:5], exec, -1
; %bb.2895:
	s_or_b64 exec, exec, s[8:9]
	s_and_b64 s[4:5], s[4:5], exec
	s_or_saveexec_b64 s[6:7], s[6:7]
	v_mov_b32_e32 v14, s10
	s_xor_b64 exec, exec, s[6:7]
	s_cbranch_execz .LBB28_846
.LBB28_2896:
	v_mov_b32_e32 v14, 0
	v_cmp_ne_u16_sdwa s[8:9], v11, v14 src0_sel:BYTE_0 src1_sel:DWORD
	s_andn2_b64 s[4:5], s[4:5], exec
	s_and_b64 s[8:9], s[8:9], exec
	s_or_b64 s[4:5], s[4:5], s[8:9]
	s_or_b64 exec, exec, s[6:7]
	s_and_saveexec_b64 s[6:7], s[4:5]
	s_cbranch_execnz .LBB28_847
	s_branch .LBB28_848
.LBB28_2897:
	s_movk_i32 s4, 0x80
	v_cmp_eq_u16_e32 vcc, s4, v11
	s_mov_b64 s[4:5], -1
                                        ; implicit-def: $sgpr10
	s_and_saveexec_b64 s[8:9], vcc
; %bb.2898:
	s_mov_b32 s10, 0x7f800001
	s_xor_b64 s[4:5], exec, -1
; %bb.2899:
	s_or_b64 exec, exec, s[8:9]
	s_and_b64 s[4:5], s[4:5], exec
                                        ; implicit-def: $vgpr11
	s_or_saveexec_b64 s[6:7], s[6:7]
	v_mov_b32_e32 v10, s10
	s_xor_b64 exec, exec, s[6:7]
	s_cbranch_execz .LBB28_850
.LBB28_2900:
	v_cmp_ne_u16_e32 vcc, 0, v11
	s_andn2_b64 s[4:5], s[4:5], exec
	s_and_b64 s[8:9], vcc, exec
	v_mov_b32_e32 v10, 0
	s_or_b64 s[4:5], s[4:5], s[8:9]
	s_or_b64 exec, exec, s[6:7]
	s_and_saveexec_b64 s[6:7], s[4:5]
	s_cbranch_execnz .LBB28_851
	s_branch .LBB28_852
.LBB28_2901:
	s_movk_i32 s4, 0x80
	v_cmp_eq_u16_e32 vcc, s4, v11
	s_mov_b64 s[4:5], -1
                                        ; implicit-def: $sgpr10
	s_and_saveexec_b64 s[8:9], vcc
; %bb.2902:
	s_mov_b32 s10, 0x7f800001
	s_xor_b64 s[4:5], exec, -1
; %bb.2903:
	s_or_b64 exec, exec, s[8:9]
	s_and_b64 s[4:5], s[4:5], exec
                                        ; implicit-def: $vgpr11
	s_or_saveexec_b64 s[6:7], s[6:7]
	v_mov_b32_e32 v14, s10
	s_xor_b64 exec, exec, s[6:7]
	s_cbranch_execz .LBB28_854
.LBB28_2904:
	v_cmp_ne_u16_e32 vcc, 0, v11
	s_andn2_b64 s[4:5], s[4:5], exec
	s_and_b64 s[8:9], vcc, exec
	v_mov_b32_e32 v14, 0
	s_or_b64 s[4:5], s[4:5], s[8:9]
	s_or_b64 exec, exec, s[6:7]
	s_and_saveexec_b64 s[6:7], s[4:5]
	s_cbranch_execnz .LBB28_855
	s_branch .LBB28_856
.LBB28_2905:
	s_movk_i32 s4, 0x80
	v_cmp_eq_u16_sdwa s[12:13], v16, s4 src0_sel:BYTE_3 src1_sel:DWORD
	s_mov_b64 s[4:5], -1
                                        ; implicit-def: $sgpr10
	s_and_saveexec_b64 s[8:9], s[12:13]
; %bb.2906:
	s_mov_b32 s10, 0x7f800001
	s_xor_b64 s[4:5], exec, -1
; %bb.2907:
	s_or_b64 exec, exec, s[8:9]
	s_and_b64 s[4:5], s[4:5], exec
	s_or_saveexec_b64 s[6:7], s[6:7]
	v_mov_b32_e32 v10, s10
	s_xor_b64 exec, exec, s[6:7]
	s_cbranch_execz .LBB28_858
.LBB28_2908:
	v_mov_b32_e32 v10, 0
	v_cmp_ne_u16_sdwa s[8:9], v16, v10 src0_sel:BYTE_3 src1_sel:DWORD
	s_andn2_b64 s[4:5], s[4:5], exec
	s_and_b64 s[8:9], s[8:9], exec
	s_or_b64 s[4:5], s[4:5], s[8:9]
	s_or_b64 exec, exec, s[6:7]
	s_and_saveexec_b64 s[6:7], s[4:5]
	s_cbranch_execnz .LBB28_859
	s_branch .LBB28_860
.LBB28_2909:
	s_movk_i32 s4, 0x80
	v_cmp_eq_u16_sdwa s[12:13], v12, s4 src0_sel:BYTE_3 src1_sel:DWORD
	s_mov_b64 s[4:5], -1
                                        ; implicit-def: $sgpr10
	s_and_saveexec_b64 s[8:9], s[12:13]
; %bb.2910:
	s_mov_b32 s10, 0x7f800001
	s_xor_b64 s[4:5], exec, -1
; %bb.2911:
	s_or_b64 exec, exec, s[8:9]
	s_and_b64 s[4:5], s[4:5], exec
	s_or_saveexec_b64 s[6:7], s[6:7]
	v_mov_b32_e32 v11, s10
	s_xor_b64 exec, exec, s[6:7]
	s_cbranch_execz .LBB28_862
.LBB28_2912:
	v_mov_b32_e32 v11, 0
	v_cmp_ne_u16_sdwa s[8:9], v12, v11 src0_sel:BYTE_3 src1_sel:DWORD
	s_andn2_b64 s[4:5], s[4:5], exec
	s_and_b64 s[8:9], s[8:9], exec
	s_or_b64 s[4:5], s[4:5], s[8:9]
	s_or_b64 exec, exec, s[6:7]
	s_and_saveexec_b64 s[6:7], s[4:5]
	s_cbranch_execnz .LBB28_863
	s_branch .LBB28_864
.LBB28_2913:
	s_movk_i32 s4, 0x80
	v_cmp_eq_u16_sdwa s[12:13], v17, s4 src0_sel:BYTE_0 src1_sel:DWORD
	s_mov_b64 s[4:5], -1
                                        ; implicit-def: $sgpr10
	s_and_saveexec_b64 s[8:9], s[12:13]
; %bb.2914:
	s_mov_b32 s10, 0x7f800001
	s_xor_b64 s[4:5], exec, -1
; %bb.2915:
	s_or_b64 exec, exec, s[8:9]
	s_and_b64 s[4:5], s[4:5], exec
	s_or_saveexec_b64 s[6:7], s[6:7]
	v_mov_b32_e32 v10, s10
	s_xor_b64 exec, exec, s[6:7]
	s_cbranch_execz .LBB28_866
.LBB28_2916:
	v_mov_b32_e32 v10, 0
	v_cmp_ne_u16_sdwa s[8:9], v17, v10 src0_sel:BYTE_0 src1_sel:DWORD
	s_andn2_b64 s[4:5], s[4:5], exec
	s_and_b64 s[8:9], s[8:9], exec
	s_or_b64 s[4:5], s[4:5], s[8:9]
	s_or_b64 exec, exec, s[6:7]
	s_and_saveexec_b64 s[6:7], s[4:5]
	s_cbranch_execnz .LBB28_867
	s_branch .LBB28_868
.LBB28_2917:
	s_movk_i32 s4, 0x80
	v_cmp_eq_u16_sdwa s[12:13], v13, s4 src0_sel:BYTE_0 src1_sel:DWORD
	s_mov_b64 s[4:5], -1
                                        ; implicit-def: $sgpr10
	s_and_saveexec_b64 s[8:9], s[12:13]
; %bb.2918:
	s_mov_b32 s10, 0x7f800001
	s_xor_b64 s[4:5], exec, -1
; %bb.2919:
	s_or_b64 exec, exec, s[8:9]
	s_and_b64 s[4:5], s[4:5], exec
	s_or_saveexec_b64 s[6:7], s[6:7]
	v_mov_b32_e32 v11, s10
	s_xor_b64 exec, exec, s[6:7]
	s_cbranch_execz .LBB28_870
.LBB28_2920:
	v_mov_b32_e32 v11, 0
	v_cmp_ne_u16_sdwa s[8:9], v13, v11 src0_sel:BYTE_0 src1_sel:DWORD
	s_andn2_b64 s[4:5], s[4:5], exec
	s_and_b64 s[8:9], s[8:9], exec
	s_or_b64 s[4:5], s[4:5], s[8:9]
	s_or_b64 exec, exec, s[6:7]
	s_and_saveexec_b64 s[6:7], s[4:5]
	s_cbranch_execnz .LBB28_871
	s_branch .LBB28_872
.LBB28_2921:
	s_movk_i32 s4, 0x80
	v_cmp_eq_u16_sdwa s[12:13], v11, s4 src0_sel:BYTE_0 src1_sel:DWORD
	s_mov_b64 s[4:5], -1
                                        ; implicit-def: $sgpr10
	s_and_saveexec_b64 s[8:9], s[12:13]
; %bb.2922:
	s_mov_b32 s10, 0x7f800001
	s_xor_b64 s[4:5], exec, -1
; %bb.2923:
	s_or_b64 exec, exec, s[8:9]
	s_and_b64 s[4:5], s[4:5], exec
	s_or_saveexec_b64 s[6:7], s[6:7]
	v_mov_b32_e32 v10, s10
	s_xor_b64 exec, exec, s[6:7]
	s_cbranch_execz .LBB28_874
.LBB28_2924:
	v_mov_b32_e32 v10, 0
	v_cmp_ne_u16_sdwa s[8:9], v11, v10 src0_sel:BYTE_0 src1_sel:DWORD
	s_andn2_b64 s[4:5], s[4:5], exec
	s_and_b64 s[8:9], s[8:9], exec
	s_or_b64 s[4:5], s[4:5], s[8:9]
	s_or_b64 exec, exec, s[6:7]
	s_and_saveexec_b64 s[6:7], s[4:5]
	s_cbranch_execnz .LBB28_875
	s_branch .LBB28_876
.LBB28_2925:
	s_movk_i32 s4, 0x80
	v_cmp_eq_u16_sdwa s[12:13], v11, s4 src0_sel:BYTE_0 src1_sel:DWORD
	s_mov_b64 s[4:5], -1
                                        ; implicit-def: $sgpr10
	s_and_saveexec_b64 s[8:9], s[12:13]
; %bb.2926:
	s_mov_b32 s10, 0x7f800001
	s_xor_b64 s[4:5], exec, -1
; %bb.2927:
	s_or_b64 exec, exec, s[8:9]
	s_and_b64 s[4:5], s[4:5], exec
	s_or_saveexec_b64 s[6:7], s[6:7]
	v_mov_b32_e32 v12, s10
	s_xor_b64 exec, exec, s[6:7]
	s_cbranch_execz .LBB28_878
.LBB28_2928:
	v_mov_b32_e32 v12, 0
	v_cmp_ne_u16_sdwa s[8:9], v11, v12 src0_sel:BYTE_0 src1_sel:DWORD
	s_andn2_b64 s[4:5], s[4:5], exec
	s_and_b64 s[8:9], s[8:9], exec
	s_or_b64 s[4:5], s[4:5], s[8:9]
	s_or_b64 exec, exec, s[6:7]
	s_and_saveexec_b64 s[6:7], s[4:5]
	s_cbranch_execnz .LBB28_879
	s_branch .LBB28_880
.LBB28_2929:
	s_movk_i32 s4, 0x80
	v_cmp_eq_u16_e32 vcc, s4, v11
	s_mov_b64 s[4:5], -1
                                        ; implicit-def: $sgpr10
	s_and_saveexec_b64 s[8:9], vcc
; %bb.2930:
	s_mov_b32 s10, 0x7f800001
	s_xor_b64 s[4:5], exec, -1
; %bb.2931:
	s_or_b64 exec, exec, s[8:9]
	s_and_b64 s[4:5], s[4:5], exec
                                        ; implicit-def: $vgpr11
	s_or_saveexec_b64 s[6:7], s[6:7]
	v_mov_b32_e32 v10, s10
	s_xor_b64 exec, exec, s[6:7]
	s_cbranch_execz .LBB28_882
.LBB28_2932:
	v_cmp_ne_u16_e32 vcc, 0, v11
	s_andn2_b64 s[4:5], s[4:5], exec
	s_and_b64 s[8:9], vcc, exec
	v_mov_b32_e32 v10, 0
	s_or_b64 s[4:5], s[4:5], s[8:9]
	s_or_b64 exec, exec, s[6:7]
	s_and_saveexec_b64 s[6:7], s[4:5]
	s_cbranch_execnz .LBB28_883
	s_branch .LBB28_884
.LBB28_2933:
	s_movk_i32 s4, 0x80
	v_cmp_eq_u16_e32 vcc, s4, v11
	s_mov_b64 s[4:5], -1
                                        ; implicit-def: $sgpr10
	s_and_saveexec_b64 s[8:9], vcc
; %bb.2934:
	s_mov_b32 s10, 0x7f800001
	s_xor_b64 s[4:5], exec, -1
; %bb.2935:
	s_or_b64 exec, exec, s[8:9]
	s_and_b64 s[4:5], s[4:5], exec
                                        ; implicit-def: $vgpr11
	s_or_saveexec_b64 s[6:7], s[6:7]
	v_mov_b32_e32 v12, s10
	s_xor_b64 exec, exec, s[6:7]
	s_cbranch_execz .LBB28_886
.LBB28_2936:
	v_cmp_ne_u16_e32 vcc, 0, v11
	s_andn2_b64 s[4:5], s[4:5], exec
	s_and_b64 s[8:9], vcc, exec
	v_mov_b32_e32 v12, 0
	s_or_b64 s[4:5], s[4:5], s[8:9]
	s_or_b64 exec, exec, s[6:7]
	s_and_saveexec_b64 s[6:7], s[4:5]
	s_cbranch_execnz .LBB28_887
	s_branch .LBB28_888
.LBB28_2937:
	s_movk_i32 s4, 0x80
	v_cmp_eq_u16_sdwa s[12:13], v17, s4 src0_sel:BYTE_3 src1_sel:DWORD
	s_mov_b64 s[4:5], -1
                                        ; implicit-def: $sgpr10
	s_and_saveexec_b64 s[8:9], s[12:13]
; %bb.2938:
	s_mov_b32 s10, 0x7f800001
	s_xor_b64 s[4:5], exec, -1
; %bb.2939:
	s_or_b64 exec, exec, s[8:9]
	s_and_b64 s[4:5], s[4:5], exec
	s_or_saveexec_b64 s[6:7], s[6:7]
	v_mov_b32_e32 v10, s10
	s_xor_b64 exec, exec, s[6:7]
	s_cbranch_execz .LBB28_890
.LBB28_2940:
	v_mov_b32_e32 v10, 0
	v_cmp_ne_u16_sdwa s[8:9], v17, v10 src0_sel:BYTE_3 src1_sel:DWORD
	s_andn2_b64 s[4:5], s[4:5], exec
	s_and_b64 s[8:9], s[8:9], exec
	s_or_b64 s[4:5], s[4:5], s[8:9]
	s_or_b64 exec, exec, s[6:7]
	s_and_saveexec_b64 s[6:7], s[4:5]
	s_cbranch_execnz .LBB28_891
	s_branch .LBB28_892
.LBB28_2941:
	s_movk_i32 s4, 0x80
	v_cmp_eq_u16_sdwa s[12:13], v13, s4 src0_sel:BYTE_3 src1_sel:DWORD
	s_mov_b64 s[4:5], -1
                                        ; implicit-def: $sgpr10
	s_and_saveexec_b64 s[8:9], s[12:13]
; %bb.2942:
	s_mov_b32 s10, 0x7f800001
	s_xor_b64 s[4:5], exec, -1
; %bb.2943:
	s_or_b64 exec, exec, s[8:9]
	s_and_b64 s[4:5], s[4:5], exec
	s_or_saveexec_b64 s[6:7], s[6:7]
	v_mov_b32_e32 v11, s10
	s_xor_b64 exec, exec, s[6:7]
	s_cbranch_execz .LBB28_894
.LBB28_2944:
	v_mov_b32_e32 v11, 0
	v_cmp_ne_u16_sdwa s[8:9], v13, v11 src0_sel:BYTE_3 src1_sel:DWORD
	s_andn2_b64 s[4:5], s[4:5], exec
	s_and_b64 s[8:9], s[8:9], exec
	s_or_b64 s[4:5], s[4:5], s[8:9]
	s_or_b64 exec, exec, s[6:7]
	s_and_saveexec_b64 s[6:7], s[4:5]
	s_cbranch_execnz .LBB28_895
	s_branch .LBB28_896
.LBB28_2945:
	s_movk_i32 s4, 0x80
	v_cmp_eq_u16_sdwa s[12:13], v6, s4 src0_sel:BYTE_0 src1_sel:DWORD
	s_mov_b64 s[4:5], -1
                                        ; implicit-def: $sgpr10
	s_and_saveexec_b64 s[8:9], s[12:13]
; %bb.2946:
	s_mov_b32 s10, 0x7f800001
	s_xor_b64 s[4:5], exec, -1
; %bb.2947:
	s_or_b64 exec, exec, s[8:9]
	s_and_b64 s[4:5], s[4:5], exec
	s_or_saveexec_b64 s[6:7], s[6:7]
	v_mov_b32_e32 v10, s10
	s_xor_b64 exec, exec, s[6:7]
	s_cbranch_execz .LBB28_898
.LBB28_2948:
	v_mov_b32_e32 v10, 0
	v_cmp_ne_u16_sdwa s[8:9], v6, v10 src0_sel:BYTE_0 src1_sel:DWORD
	s_andn2_b64 s[4:5], s[4:5], exec
	s_and_b64 s[8:9], s[8:9], exec
	s_or_b64 s[4:5], s[4:5], s[8:9]
	s_or_b64 exec, exec, s[6:7]
	s_and_saveexec_b64 s[6:7], s[4:5]
	s_cbranch_execnz .LBB28_899
	s_branch .LBB28_900
.LBB28_2949:
	s_movk_i32 s4, 0x80
	v_cmp_eq_u16_sdwa s[12:13], v2, s4 src0_sel:BYTE_0 src1_sel:DWORD
	s_mov_b64 s[4:5], -1
                                        ; implicit-def: $sgpr10
	s_and_saveexec_b64 s[8:9], s[12:13]
; %bb.2950:
	s_mov_b32 s10, 0x7f800001
	s_xor_b64 s[4:5], exec, -1
; %bb.2951:
	s_or_b64 exec, exec, s[8:9]
	s_and_b64 s[4:5], s[4:5], exec
	s_or_saveexec_b64 s[6:7], s[6:7]
	v_mov_b32_e32 v11, s10
	s_xor_b64 exec, exec, s[6:7]
	s_cbranch_execz .LBB28_902
.LBB28_2952:
	v_mov_b32_e32 v11, 0
	v_cmp_ne_u16_sdwa s[8:9], v2, v11 src0_sel:BYTE_0 src1_sel:DWORD
	s_andn2_b64 s[4:5], s[4:5], exec
	s_and_b64 s[8:9], s[8:9], exec
	s_or_b64 s[4:5], s[4:5], s[8:9]
	s_or_b64 exec, exec, s[6:7]
	s_and_saveexec_b64 s[6:7], s[4:5]
	s_cbranch_execnz .LBB28_903
	s_branch .LBB28_904
.LBB28_2953:
	s_movk_i32 s4, 0x80
	v_cmp_eq_u16_sdwa s[12:13], v11, s4 src0_sel:BYTE_0 src1_sel:DWORD
	s_mov_b64 s[4:5], -1
                                        ; implicit-def: $sgpr10
	s_and_saveexec_b64 s[8:9], s[12:13]
; %bb.2954:
	s_mov_b32 s10, 0x7f800001
	s_xor_b64 s[4:5], exec, -1
; %bb.2955:
	s_or_b64 exec, exec, s[8:9]
	s_and_b64 s[4:5], s[4:5], exec
	s_or_saveexec_b64 s[6:7], s[6:7]
	v_mov_b32_e32 v10, s10
	s_xor_b64 exec, exec, s[6:7]
	s_cbranch_execz .LBB28_906
.LBB28_2956:
	v_mov_b32_e32 v10, 0
	v_cmp_ne_u16_sdwa s[8:9], v11, v10 src0_sel:BYTE_0 src1_sel:DWORD
	s_andn2_b64 s[4:5], s[4:5], exec
	s_and_b64 s[8:9], s[8:9], exec
	s_or_b64 s[4:5], s[4:5], s[8:9]
	s_or_b64 exec, exec, s[6:7]
	s_and_saveexec_b64 s[6:7], s[4:5]
	s_cbranch_execnz .LBB28_907
	s_branch .LBB28_908
.LBB28_2957:
	s_movk_i32 s4, 0x80
	v_cmp_eq_u16_sdwa s[12:13], v11, s4 src0_sel:BYTE_0 src1_sel:DWORD
	s_mov_b64 s[4:5], -1
                                        ; implicit-def: $sgpr10
	s_and_saveexec_b64 s[8:9], s[12:13]
; %bb.2958:
	s_mov_b32 s10, 0x7f800001
	s_xor_b64 s[4:5], exec, -1
; %bb.2959:
	s_or_b64 exec, exec, s[8:9]
	s_and_b64 s[4:5], s[4:5], exec
	s_or_saveexec_b64 s[6:7], s[6:7]
	v_mov_b32_e32 v12, s10
	s_xor_b64 exec, exec, s[6:7]
	s_cbranch_execz .LBB28_910
.LBB28_2960:
	v_mov_b32_e32 v12, 0
	v_cmp_ne_u16_sdwa s[8:9], v11, v12 src0_sel:BYTE_0 src1_sel:DWORD
	s_andn2_b64 s[4:5], s[4:5], exec
	s_and_b64 s[8:9], s[8:9], exec
	s_or_b64 s[4:5], s[4:5], s[8:9]
	s_or_b64 exec, exec, s[6:7]
	s_and_saveexec_b64 s[6:7], s[4:5]
	s_cbranch_execnz .LBB28_911
	s_branch .LBB28_912
.LBB28_2961:
	s_movk_i32 s4, 0x80
	v_cmp_eq_u16_e32 vcc, s4, v11
	s_mov_b64 s[4:5], -1
                                        ; implicit-def: $sgpr10
	s_and_saveexec_b64 s[8:9], vcc
; %bb.2962:
	s_mov_b32 s10, 0x7f800001
	s_xor_b64 s[4:5], exec, -1
; %bb.2963:
	s_or_b64 exec, exec, s[8:9]
	s_and_b64 s[4:5], s[4:5], exec
                                        ; implicit-def: $vgpr11
	s_or_saveexec_b64 s[6:7], s[6:7]
	v_mov_b32_e32 v10, s10
	s_xor_b64 exec, exec, s[6:7]
	s_cbranch_execz .LBB28_914
.LBB28_2964:
	v_cmp_ne_u16_e32 vcc, 0, v11
	s_andn2_b64 s[4:5], s[4:5], exec
	s_and_b64 s[8:9], vcc, exec
	v_mov_b32_e32 v10, 0
	s_or_b64 s[4:5], s[4:5], s[8:9]
	s_or_b64 exec, exec, s[6:7]
	s_and_saveexec_b64 s[6:7], s[4:5]
	s_cbranch_execnz .LBB28_915
	s_branch .LBB28_916
.LBB28_2965:
	s_movk_i32 s4, 0x80
	v_cmp_eq_u16_e32 vcc, s4, v11
	s_mov_b64 s[4:5], -1
                                        ; implicit-def: $sgpr10
	s_and_saveexec_b64 s[8:9], vcc
; %bb.2966:
	s_mov_b32 s10, 0x7f800001
	s_xor_b64 s[4:5], exec, -1
; %bb.2967:
	s_or_b64 exec, exec, s[8:9]
	s_and_b64 s[4:5], s[4:5], exec
                                        ; implicit-def: $vgpr11
	s_or_saveexec_b64 s[6:7], s[6:7]
	v_mov_b32_e32 v12, s10
	s_xor_b64 exec, exec, s[6:7]
	s_cbranch_execz .LBB28_918
.LBB28_2968:
	v_cmp_ne_u16_e32 vcc, 0, v11
	s_andn2_b64 s[4:5], s[4:5], exec
	s_and_b64 s[8:9], vcc, exec
	v_mov_b32_e32 v12, 0
	s_or_b64 s[4:5], s[4:5], s[8:9]
	s_or_b64 exec, exec, s[6:7]
	s_and_saveexec_b64 s[6:7], s[4:5]
	s_cbranch_execnz .LBB28_919
	s_branch .LBB28_920
.LBB28_2969:
	s_movk_i32 s4, 0x80
	v_cmp_eq_u16_sdwa s[12:13], v6, s4 src0_sel:BYTE_3 src1_sel:DWORD
	s_mov_b64 s[4:5], -1
                                        ; implicit-def: $sgpr10
	s_and_saveexec_b64 s[8:9], s[12:13]
; %bb.2970:
	s_mov_b32 s10, 0x7f800001
	s_xor_b64 s[4:5], exec, -1
; %bb.2971:
	s_or_b64 exec, exec, s[8:9]
	s_and_b64 s[4:5], s[4:5], exec
	s_or_saveexec_b64 s[6:7], s[6:7]
	v_mov_b32_e32 v10, s10
	s_xor_b64 exec, exec, s[6:7]
	s_cbranch_execz .LBB28_922
.LBB28_2972:
	v_mov_b32_e32 v10, 0
	v_cmp_ne_u16_sdwa s[8:9], v6, v10 src0_sel:BYTE_3 src1_sel:DWORD
	s_andn2_b64 s[4:5], s[4:5], exec
	s_and_b64 s[8:9], s[8:9], exec
	s_or_b64 s[4:5], s[4:5], s[8:9]
	s_or_b64 exec, exec, s[6:7]
	s_and_saveexec_b64 s[6:7], s[4:5]
	s_cbranch_execnz .LBB28_923
	s_branch .LBB28_924
.LBB28_2973:
	s_movk_i32 s4, 0x80
	v_cmp_eq_u16_sdwa s[12:13], v2, s4 src0_sel:BYTE_3 src1_sel:DWORD
	s_mov_b64 s[4:5], -1
                                        ; implicit-def: $sgpr10
	s_and_saveexec_b64 s[8:9], s[12:13]
; %bb.2974:
	s_mov_b32 s10, 0x7f800001
	s_xor_b64 s[4:5], exec, -1
; %bb.2975:
	s_or_b64 exec, exec, s[8:9]
	s_and_b64 s[4:5], s[4:5], exec
	s_or_saveexec_b64 s[6:7], s[6:7]
	v_mov_b32_e32 v6, s10
	s_xor_b64 exec, exec, s[6:7]
	s_cbranch_execz .LBB28_926
.LBB28_2976:
	v_mov_b32_e32 v6, 0
	v_cmp_ne_u16_sdwa s[8:9], v2, v6 src0_sel:BYTE_3 src1_sel:DWORD
	s_andn2_b64 s[4:5], s[4:5], exec
	s_and_b64 s[8:9], s[8:9], exec
	s_or_b64 s[4:5], s[4:5], s[8:9]
	s_or_b64 exec, exec, s[6:7]
	s_and_saveexec_b64 s[6:7], s[4:5]
	s_cbranch_execnz .LBB28_927
	s_branch .LBB28_928
.LBB28_2977:
	s_movk_i32 s4, 0x80
	v_cmp_eq_u16_sdwa s[12:13], v7, s4 src0_sel:BYTE_0 src1_sel:DWORD
	s_mov_b64 s[4:5], -1
                                        ; implicit-def: $sgpr10
	s_and_saveexec_b64 s[8:9], s[12:13]
; %bb.2978:
	s_mov_b32 s10, 0x7f800001
	s_xor_b64 s[4:5], exec, -1
; %bb.2979:
	s_or_b64 exec, exec, s[8:9]
	s_and_b64 s[4:5], s[4:5], exec
	s_or_saveexec_b64 s[6:7], s[6:7]
	v_mov_b32_e32 v2, s10
	s_xor_b64 exec, exec, s[6:7]
	s_cbranch_execz .LBB28_930
.LBB28_2980:
	v_mov_b32_e32 v2, 0
	v_cmp_ne_u16_sdwa s[8:9], v7, v2 src0_sel:BYTE_0 src1_sel:DWORD
	s_andn2_b64 s[4:5], s[4:5], exec
	s_and_b64 s[8:9], s[8:9], exec
	s_or_b64 s[4:5], s[4:5], s[8:9]
	s_or_b64 exec, exec, s[6:7]
	s_and_saveexec_b64 s[6:7], s[4:5]
	s_cbranch_execnz .LBB28_931
	s_branch .LBB28_932
.LBB28_2981:
	s_movk_i32 s4, 0x80
	v_cmp_eq_u16_sdwa s[12:13], v3, s4 src0_sel:BYTE_0 src1_sel:DWORD
	s_mov_b64 s[4:5], -1
                                        ; implicit-def: $sgpr10
	s_and_saveexec_b64 s[8:9], s[12:13]
; %bb.2982:
	s_mov_b32 s10, 0x7f800001
	s_xor_b64 s[4:5], exec, -1
; %bb.2983:
	s_or_b64 exec, exec, s[8:9]
	s_and_b64 s[4:5], s[4:5], exec
	s_or_saveexec_b64 s[6:7], s[6:7]
	v_mov_b32_e32 v6, s10
	s_xor_b64 exec, exec, s[6:7]
	s_cbranch_execz .LBB28_934
.LBB28_2984:
	v_mov_b32_e32 v6, 0
	v_cmp_ne_u16_sdwa s[8:9], v3, v6 src0_sel:BYTE_0 src1_sel:DWORD
	s_andn2_b64 s[4:5], s[4:5], exec
	s_and_b64 s[8:9], s[8:9], exec
	s_or_b64 s[4:5], s[4:5], s[8:9]
	s_or_b64 exec, exec, s[6:7]
	s_and_saveexec_b64 s[6:7], s[4:5]
	s_cbranch_execnz .LBB28_935
	s_branch .LBB28_936
.LBB28_2985:
	s_movk_i32 s4, 0x80
	v_cmp_eq_u16_sdwa s[12:13], v6, s4 src0_sel:BYTE_0 src1_sel:DWORD
	s_mov_b64 s[4:5], -1
                                        ; implicit-def: $sgpr10
	s_and_saveexec_b64 s[8:9], s[12:13]
; %bb.2986:
	s_mov_b32 s10, 0x7f800001
	s_xor_b64 s[4:5], exec, -1
; %bb.2987:
	s_or_b64 exec, exec, s[8:9]
	s_and_b64 s[4:5], s[4:5], exec
	s_or_saveexec_b64 s[6:7], s[6:7]
	v_mov_b32_e32 v2, s10
	s_xor_b64 exec, exec, s[6:7]
	s_cbranch_execz .LBB28_938
.LBB28_2988:
	v_mov_b32_e32 v2, 0
	v_cmp_ne_u16_sdwa s[8:9], v6, v2 src0_sel:BYTE_0 src1_sel:DWORD
	s_andn2_b64 s[4:5], s[4:5], exec
	s_and_b64 s[8:9], s[8:9], exec
	s_or_b64 s[4:5], s[4:5], s[8:9]
	s_or_b64 exec, exec, s[6:7]
	s_and_saveexec_b64 s[6:7], s[4:5]
	s_cbranch_execnz .LBB28_939
	s_branch .LBB28_940
.LBB28_2989:
	s_movk_i32 s4, 0x80
	v_cmp_eq_u16_sdwa s[12:13], v6, s4 src0_sel:BYTE_0 src1_sel:DWORD
	s_mov_b64 s[4:5], -1
                                        ; implicit-def: $sgpr10
	s_and_saveexec_b64 s[8:9], s[12:13]
; %bb.2990:
	s_mov_b32 s10, 0x7f800001
	s_xor_b64 s[4:5], exec, -1
; %bb.2991:
	s_or_b64 exec, exec, s[8:9]
	s_and_b64 s[4:5], s[4:5], exec
	s_or_saveexec_b64 s[6:7], s[6:7]
	v_mov_b32_e32 v10, s10
	s_xor_b64 exec, exec, s[6:7]
	s_cbranch_execz .LBB28_942
.LBB28_2992:
	v_mov_b32_e32 v10, 0
	v_cmp_ne_u16_sdwa s[8:9], v6, v10 src0_sel:BYTE_0 src1_sel:DWORD
	s_andn2_b64 s[4:5], s[4:5], exec
	s_and_b64 s[8:9], s[8:9], exec
	s_or_b64 s[4:5], s[4:5], s[8:9]
	s_or_b64 exec, exec, s[6:7]
	s_and_saveexec_b64 s[6:7], s[4:5]
	s_cbranch_execnz .LBB28_943
	s_branch .LBB28_944
.LBB28_2993:
	s_movk_i32 s4, 0x80
	v_cmp_eq_u16_e32 vcc, s4, v6
	s_mov_b64 s[4:5], -1
                                        ; implicit-def: $sgpr10
	s_and_saveexec_b64 s[8:9], vcc
; %bb.2994:
	s_mov_b32 s10, 0x7f800001
	s_xor_b64 s[4:5], exec, -1
; %bb.2995:
	s_or_b64 exec, exec, s[8:9]
	s_and_b64 s[4:5], s[4:5], exec
                                        ; implicit-def: $vgpr6
	s_or_saveexec_b64 s[6:7], s[6:7]
	v_mov_b32_e32 v2, s10
	s_xor_b64 exec, exec, s[6:7]
	s_cbranch_execz .LBB28_946
.LBB28_2996:
	v_cmp_ne_u16_e32 vcc, 0, v6
	s_andn2_b64 s[4:5], s[4:5], exec
	s_and_b64 s[8:9], vcc, exec
	v_mov_b32_e32 v2, 0
	s_or_b64 s[4:5], s[4:5], s[8:9]
	s_or_b64 exec, exec, s[6:7]
	s_and_saveexec_b64 s[6:7], s[4:5]
	s_cbranch_execnz .LBB28_947
	s_branch .LBB28_948
.LBB28_2997:
	s_movk_i32 s4, 0x80
	v_cmp_eq_u16_e32 vcc, s4, v6
	s_mov_b64 s[4:5], -1
                                        ; implicit-def: $sgpr10
	s_and_saveexec_b64 s[8:9], vcc
; %bb.2998:
	s_mov_b32 s10, 0x7f800001
	s_xor_b64 s[4:5], exec, -1
; %bb.2999:
	s_or_b64 exec, exec, s[8:9]
	s_and_b64 s[4:5], s[4:5], exec
                                        ; implicit-def: $vgpr6
	s_or_saveexec_b64 s[6:7], s[6:7]
	v_mov_b32_e32 v10, s10
	s_xor_b64 exec, exec, s[6:7]
	s_cbranch_execz .LBB28_950
.LBB28_3000:
	v_cmp_ne_u16_e32 vcc, 0, v6
	s_andn2_b64 s[4:5], s[4:5], exec
	s_and_b64 s[8:9], vcc, exec
	v_mov_b32_e32 v10, 0
	s_or_b64 s[4:5], s[4:5], s[8:9]
	s_or_b64 exec, exec, s[6:7]
	s_and_saveexec_b64 s[6:7], s[4:5]
	s_cbranch_execnz .LBB28_951
	s_branch .LBB28_952
.LBB28_3001:
	s_movk_i32 s4, 0x80
	v_cmp_eq_u16_sdwa s[12:13], v7, s4 src0_sel:BYTE_3 src1_sel:DWORD
	s_mov_b64 s[4:5], -1
                                        ; implicit-def: $sgpr10
	s_and_saveexec_b64 s[8:9], s[12:13]
; %bb.3002:
	s_mov_b32 s10, 0x7f800001
	s_xor_b64 s[4:5], exec, -1
; %bb.3003:
	s_or_b64 exec, exec, s[8:9]
	s_and_b64 s[4:5], s[4:5], exec
	s_or_saveexec_b64 s[6:7], s[6:7]
	v_mov_b32_e32 v2, s10
	s_xor_b64 exec, exec, s[6:7]
	s_cbranch_execz .LBB28_954
.LBB28_3004:
	v_mov_b32_e32 v2, 0
	v_cmp_ne_u16_sdwa s[8:9], v7, v2 src0_sel:BYTE_3 src1_sel:DWORD
	s_andn2_b64 s[4:5], s[4:5], exec
	s_and_b64 s[8:9], s[8:9], exec
	s_or_b64 s[4:5], s[4:5], s[8:9]
	s_or_b64 exec, exec, s[6:7]
	s_and_saveexec_b64 s[6:7], s[4:5]
	s_cbranch_execnz .LBB28_955
	s_branch .LBB28_956
.LBB28_3005:
	s_movk_i32 s4, 0x80
	v_cmp_eq_u16_sdwa s[12:13], v3, s4 src0_sel:BYTE_3 src1_sel:DWORD
	s_mov_b64 s[4:5], -1
                                        ; implicit-def: $sgpr10
	s_and_saveexec_b64 s[8:9], s[12:13]
; %bb.3006:
	s_mov_b32 s10, 0x7f800001
	s_xor_b64 s[4:5], exec, -1
; %bb.3007:
	s_or_b64 exec, exec, s[8:9]
	s_and_b64 s[4:5], s[4:5], exec
	s_or_saveexec_b64 s[6:7], s[6:7]
	v_mov_b32_e32 v6, s10
	s_xor_b64 exec, exec, s[6:7]
	s_cbranch_execz .LBB28_958
.LBB28_3008:
	v_mov_b32_e32 v6, 0
	v_cmp_ne_u16_sdwa s[8:9], v3, v6 src0_sel:BYTE_3 src1_sel:DWORD
	s_andn2_b64 s[4:5], s[4:5], exec
	s_and_b64 s[8:9], s[8:9], exec
	s_or_b64 s[4:5], s[4:5], s[8:9]
	s_or_b64 exec, exec, s[6:7]
	s_and_saveexec_b64 s[6:7], s[4:5]
	s_cbranch_execnz .LBB28_959
	s_branch .LBB28_960
.LBB28_3009:
	s_movk_i32 s4, 0x80
	v_cmp_eq_u16_sdwa s[12:13], v8, s4 src0_sel:BYTE_0 src1_sel:DWORD
	s_mov_b64 s[4:5], -1
                                        ; implicit-def: $sgpr10
	s_and_saveexec_b64 s[8:9], s[12:13]
; %bb.3010:
	s_mov_b32 s10, 0x7f800001
	s_xor_b64 s[4:5], exec, -1
; %bb.3011:
	s_or_b64 exec, exec, s[8:9]
	s_and_b64 s[4:5], s[4:5], exec
	s_or_saveexec_b64 s[6:7], s[6:7]
	v_mov_b32_e32 v2, s10
	s_xor_b64 exec, exec, s[6:7]
	s_cbranch_execz .LBB28_962
.LBB28_3012:
	v_mov_b32_e32 v2, 0
	v_cmp_ne_u16_sdwa s[8:9], v8, v2 src0_sel:BYTE_0 src1_sel:DWORD
	s_andn2_b64 s[4:5], s[4:5], exec
	s_and_b64 s[8:9], s[8:9], exec
	s_or_b64 s[4:5], s[4:5], s[8:9]
	s_or_b64 exec, exec, s[6:7]
	s_and_saveexec_b64 s[6:7], s[4:5]
	s_cbranch_execnz .LBB28_963
	s_branch .LBB28_964
.LBB28_3013:
	s_movk_i32 s4, 0x80
	v_cmp_eq_u16_sdwa s[12:13], v4, s4 src0_sel:BYTE_0 src1_sel:DWORD
	s_mov_b64 s[4:5], -1
                                        ; implicit-def: $sgpr10
	s_and_saveexec_b64 s[8:9], s[12:13]
; %bb.3014:
	s_mov_b32 s10, 0x7f800001
	s_xor_b64 s[4:5], exec, -1
; %bb.3015:
	s_or_b64 exec, exec, s[8:9]
	s_and_b64 s[4:5], s[4:5], exec
	s_or_saveexec_b64 s[6:7], s[6:7]
	v_mov_b32_e32 v3, s10
	s_xor_b64 exec, exec, s[6:7]
	s_cbranch_execz .LBB28_966
.LBB28_3016:
	v_mov_b32_e32 v3, 0
	v_cmp_ne_u16_sdwa s[8:9], v4, v3 src0_sel:BYTE_0 src1_sel:DWORD
	s_andn2_b64 s[4:5], s[4:5], exec
	s_and_b64 s[8:9], s[8:9], exec
	s_or_b64 s[4:5], s[4:5], s[8:9]
	s_or_b64 exec, exec, s[6:7]
	s_and_saveexec_b64 s[6:7], s[4:5]
	s_cbranch_execnz .LBB28_967
	s_branch .LBB28_968
.LBB28_3017:
	s_movk_i32 s4, 0x80
	v_cmp_eq_u16_sdwa s[12:13], v3, s4 src0_sel:BYTE_0 src1_sel:DWORD
	s_mov_b64 s[4:5], -1
                                        ; implicit-def: $sgpr10
	s_and_saveexec_b64 s[8:9], s[12:13]
; %bb.3018:
	s_mov_b32 s10, 0x7f800001
	s_xor_b64 s[4:5], exec, -1
; %bb.3019:
	s_or_b64 exec, exec, s[8:9]
	s_and_b64 s[4:5], s[4:5], exec
	s_or_saveexec_b64 s[6:7], s[6:7]
	v_mov_b32_e32 v2, s10
	s_xor_b64 exec, exec, s[6:7]
	s_cbranch_execz .LBB28_970
.LBB28_3020:
	v_mov_b32_e32 v2, 0
	v_cmp_ne_u16_sdwa s[8:9], v3, v2 src0_sel:BYTE_0 src1_sel:DWORD
	s_andn2_b64 s[4:5], s[4:5], exec
	s_and_b64 s[8:9], s[8:9], exec
	s_or_b64 s[4:5], s[4:5], s[8:9]
	s_or_b64 exec, exec, s[6:7]
	s_and_saveexec_b64 s[6:7], s[4:5]
	s_cbranch_execnz .LBB28_971
	s_branch .LBB28_972
.LBB28_3021:
	s_movk_i32 s4, 0x80
	v_cmp_eq_u16_sdwa s[12:13], v3, s4 src0_sel:BYTE_0 src1_sel:DWORD
	s_mov_b64 s[4:5], -1
                                        ; implicit-def: $sgpr10
	s_and_saveexec_b64 s[8:9], s[12:13]
; %bb.3022:
	s_mov_b32 s10, 0x7f800001
	s_xor_b64 s[4:5], exec, -1
; %bb.3023:
	s_or_b64 exec, exec, s[8:9]
	s_and_b64 s[4:5], s[4:5], exec
	s_or_saveexec_b64 s[6:7], s[6:7]
	v_mov_b32_e32 v6, s10
	s_xor_b64 exec, exec, s[6:7]
	s_cbranch_execz .LBB28_974
.LBB28_3024:
	v_mov_b32_e32 v6, 0
	v_cmp_ne_u16_sdwa s[8:9], v3, v6 src0_sel:BYTE_0 src1_sel:DWORD
	s_andn2_b64 s[4:5], s[4:5], exec
	s_and_b64 s[8:9], s[8:9], exec
	s_or_b64 s[4:5], s[4:5], s[8:9]
	s_or_b64 exec, exec, s[6:7]
	s_and_saveexec_b64 s[6:7], s[4:5]
	s_cbranch_execnz .LBB28_975
	s_branch .LBB28_976
.LBB28_3025:
	s_movk_i32 s4, 0x80
	v_cmp_eq_u16_e32 vcc, s4, v3
	s_mov_b64 s[4:5], -1
                                        ; implicit-def: $sgpr10
	s_and_saveexec_b64 s[8:9], vcc
; %bb.3026:
	s_mov_b32 s10, 0x7f800001
	s_xor_b64 s[4:5], exec, -1
; %bb.3027:
	s_or_b64 exec, exec, s[8:9]
	s_and_b64 s[4:5], s[4:5], exec
                                        ; implicit-def: $vgpr3
	s_or_saveexec_b64 s[6:7], s[6:7]
	v_mov_b32_e32 v2, s10
	s_xor_b64 exec, exec, s[6:7]
	s_cbranch_execz .LBB28_978
.LBB28_3028:
	v_cmp_ne_u16_e32 vcc, 0, v3
	s_andn2_b64 s[4:5], s[4:5], exec
	s_and_b64 s[8:9], vcc, exec
	v_mov_b32_e32 v2, 0
	s_or_b64 s[4:5], s[4:5], s[8:9]
	s_or_b64 exec, exec, s[6:7]
	s_and_saveexec_b64 s[6:7], s[4:5]
	s_cbranch_execnz .LBB28_979
	s_branch .LBB28_980
.LBB28_3029:
	s_movk_i32 s4, 0x80
	v_cmp_eq_u16_e32 vcc, s4, v3
	s_mov_b64 s[4:5], -1
                                        ; implicit-def: $sgpr10
	s_and_saveexec_b64 s[8:9], vcc
; %bb.3030:
	s_mov_b32 s10, 0x7f800001
	s_xor_b64 s[4:5], exec, -1
; %bb.3031:
	s_or_b64 exec, exec, s[8:9]
	s_and_b64 s[4:5], s[4:5], exec
                                        ; implicit-def: $vgpr3
	s_or_saveexec_b64 s[6:7], s[6:7]
	v_mov_b32_e32 v6, s10
	s_xor_b64 exec, exec, s[6:7]
	s_cbranch_execz .LBB28_982
.LBB28_3032:
	v_cmp_ne_u16_e32 vcc, 0, v3
	s_andn2_b64 s[4:5], s[4:5], exec
	s_and_b64 s[8:9], vcc, exec
	v_mov_b32_e32 v6, 0
	s_or_b64 s[4:5], s[4:5], s[8:9]
	s_or_b64 exec, exec, s[6:7]
	s_and_saveexec_b64 s[6:7], s[4:5]
	s_cbranch_execnz .LBB28_983
	s_branch .LBB28_984
.LBB28_3033:
	s_movk_i32 s4, 0x80
	v_cmp_eq_u16_sdwa s[12:13], v8, s4 src0_sel:BYTE_3 src1_sel:DWORD
	s_mov_b64 s[4:5], -1
                                        ; implicit-def: $sgpr10
	s_and_saveexec_b64 s[8:9], s[12:13]
; %bb.3034:
	s_mov_b32 s10, 0x7f800001
	s_xor_b64 s[4:5], exec, -1
; %bb.3035:
	s_or_b64 exec, exec, s[8:9]
	s_and_b64 s[4:5], s[4:5], exec
	s_or_saveexec_b64 s[6:7], s[6:7]
	v_mov_b32_e32 v2, s10
	s_xor_b64 exec, exec, s[6:7]
	s_cbranch_execz .LBB28_986
.LBB28_3036:
	v_mov_b32_e32 v2, 0
	v_cmp_ne_u16_sdwa s[8:9], v8, v2 src0_sel:BYTE_3 src1_sel:DWORD
	s_andn2_b64 s[4:5], s[4:5], exec
	s_and_b64 s[8:9], s[8:9], exec
	s_or_b64 s[4:5], s[4:5], s[8:9]
	s_or_b64 exec, exec, s[6:7]
	s_and_saveexec_b64 s[6:7], s[4:5]
	s_cbranch_execnz .LBB28_987
	s_branch .LBB28_988
.LBB28_3037:
	s_movk_i32 s4, 0x80
	v_cmp_eq_u16_sdwa s[12:13], v4, s4 src0_sel:BYTE_3 src1_sel:DWORD
	s_mov_b64 s[4:5], -1
                                        ; implicit-def: $sgpr10
	s_and_saveexec_b64 s[8:9], s[12:13]
; %bb.3038:
	s_mov_b32 s10, 0x7f800001
	s_xor_b64 s[4:5], exec, -1
; %bb.3039:
	s_or_b64 exec, exec, s[8:9]
	s_and_b64 s[4:5], s[4:5], exec
	s_or_saveexec_b64 s[6:7], s[6:7]
	v_mov_b32_e32 v3, s10
	s_xor_b64 exec, exec, s[6:7]
	s_cbranch_execz .LBB28_990
.LBB28_3040:
	v_mov_b32_e32 v3, 0
	v_cmp_ne_u16_sdwa s[8:9], v4, v3 src0_sel:BYTE_3 src1_sel:DWORD
	s_andn2_b64 s[4:5], s[4:5], exec
	s_and_b64 s[8:9], s[8:9], exec
	s_or_b64 s[4:5], s[4:5], s[8:9]
	s_or_b64 exec, exec, s[6:7]
	s_and_saveexec_b64 s[6:7], s[4:5]
	s_cbranch_execnz .LBB28_991
	s_branch .LBB28_992
.LBB28_3041:
	s_movk_i32 s4, 0x80
	v_cmp_eq_u16_sdwa s[12:13], v9, s4 src0_sel:BYTE_0 src1_sel:DWORD
	s_mov_b64 s[4:5], -1
                                        ; implicit-def: $sgpr10
	s_and_saveexec_b64 s[8:9], s[12:13]
; %bb.3042:
	s_mov_b32 s10, 0x7f800001
	s_xor_b64 s[4:5], exec, -1
; %bb.3043:
	s_or_b64 exec, exec, s[8:9]
	s_and_b64 s[4:5], s[4:5], exec
	s_or_saveexec_b64 s[6:7], s[6:7]
	v_mov_b32_e32 v2, s10
	s_xor_b64 exec, exec, s[6:7]
	s_cbranch_execz .LBB28_994
.LBB28_3044:
	v_mov_b32_e32 v2, 0
	v_cmp_ne_u16_sdwa s[8:9], v9, v2 src0_sel:BYTE_0 src1_sel:DWORD
	s_andn2_b64 s[4:5], s[4:5], exec
	s_and_b64 s[8:9], s[8:9], exec
	s_or_b64 s[4:5], s[4:5], s[8:9]
	s_or_b64 exec, exec, s[6:7]
	s_and_saveexec_b64 s[6:7], s[4:5]
	s_cbranch_execnz .LBB28_995
	s_branch .LBB28_996
.LBB28_3045:
	s_movk_i32 s4, 0x80
	v_cmp_eq_u16_sdwa s[12:13], v5, s4 src0_sel:BYTE_0 src1_sel:DWORD
	s_mov_b64 s[4:5], -1
                                        ; implicit-def: $sgpr10
	s_and_saveexec_b64 s[8:9], s[12:13]
; %bb.3046:
	s_mov_b32 s10, 0x7f800001
	s_xor_b64 s[4:5], exec, -1
; %bb.3047:
	s_or_b64 exec, exec, s[8:9]
	s_and_b64 s[4:5], s[4:5], exec
	s_or_saveexec_b64 s[6:7], s[6:7]
	v_mov_b32_e32 v3, s10
	s_xor_b64 exec, exec, s[6:7]
	s_cbranch_execz .LBB28_998
.LBB28_3048:
	v_mov_b32_e32 v3, 0
	v_cmp_ne_u16_sdwa s[8:9], v5, v3 src0_sel:BYTE_0 src1_sel:DWORD
	s_andn2_b64 s[4:5], s[4:5], exec
	s_and_b64 s[8:9], s[8:9], exec
	s_or_b64 s[4:5], s[4:5], s[8:9]
	s_or_b64 exec, exec, s[6:7]
	s_and_saveexec_b64 s[6:7], s[4:5]
	s_cbranch_execnz .LBB28_999
	s_branch .LBB28_1000
.LBB28_3049:
	s_movk_i32 s4, 0x80
	v_cmp_eq_u16_sdwa s[12:13], v3, s4 src0_sel:BYTE_0 src1_sel:DWORD
	s_mov_b64 s[4:5], -1
                                        ; implicit-def: $sgpr10
	s_and_saveexec_b64 s[8:9], s[12:13]
; %bb.3050:
	s_mov_b32 s10, 0x7f800001
	s_xor_b64 s[4:5], exec, -1
; %bb.3051:
	s_or_b64 exec, exec, s[8:9]
	s_and_b64 s[4:5], s[4:5], exec
	s_or_saveexec_b64 s[6:7], s[6:7]
	v_mov_b32_e32 v2, s10
	s_xor_b64 exec, exec, s[6:7]
	s_cbranch_execz .LBB28_1002
.LBB28_3052:
	v_mov_b32_e32 v2, 0
	v_cmp_ne_u16_sdwa s[8:9], v3, v2 src0_sel:BYTE_0 src1_sel:DWORD
	s_andn2_b64 s[4:5], s[4:5], exec
	s_and_b64 s[8:9], s[8:9], exec
	s_or_b64 s[4:5], s[4:5], s[8:9]
	s_or_b64 exec, exec, s[6:7]
	s_and_saveexec_b64 s[6:7], s[4:5]
	s_cbranch_execnz .LBB28_1003
	s_branch .LBB28_1004
.LBB28_3053:
	s_movk_i32 s4, 0x80
	v_cmp_eq_u16_sdwa s[12:13], v3, s4 src0_sel:BYTE_0 src1_sel:DWORD
	s_mov_b64 s[4:5], -1
                                        ; implicit-def: $sgpr10
	s_and_saveexec_b64 s[8:9], s[12:13]
; %bb.3054:
	s_mov_b32 s10, 0x7f800001
	s_xor_b64 s[4:5], exec, -1
; %bb.3055:
	s_or_b64 exec, exec, s[8:9]
	s_and_b64 s[4:5], s[4:5], exec
	s_or_saveexec_b64 s[6:7], s[6:7]
	v_mov_b32_e32 v4, s10
	s_xor_b64 exec, exec, s[6:7]
	s_cbranch_execz .LBB28_1006
.LBB28_3056:
	v_mov_b32_e32 v4, 0
	v_cmp_ne_u16_sdwa s[8:9], v3, v4 src0_sel:BYTE_0 src1_sel:DWORD
	s_andn2_b64 s[4:5], s[4:5], exec
	s_and_b64 s[8:9], s[8:9], exec
	s_or_b64 s[4:5], s[4:5], s[8:9]
	s_or_b64 exec, exec, s[6:7]
	s_and_saveexec_b64 s[6:7], s[4:5]
	s_cbranch_execnz .LBB28_1007
	s_branch .LBB28_1008
.LBB28_3057:
	s_movk_i32 s4, 0x80
	v_cmp_eq_u16_e32 vcc, s4, v3
	s_mov_b64 s[4:5], -1
                                        ; implicit-def: $sgpr10
	s_and_saveexec_b64 s[8:9], vcc
; %bb.3058:
	s_mov_b32 s10, 0x7f800001
	s_xor_b64 s[4:5], exec, -1
; %bb.3059:
	s_or_b64 exec, exec, s[8:9]
	s_and_b64 s[4:5], s[4:5], exec
                                        ; implicit-def: $vgpr3
	s_or_saveexec_b64 s[6:7], s[6:7]
	v_mov_b32_e32 v2, s10
	s_xor_b64 exec, exec, s[6:7]
	s_cbranch_execz .LBB28_1010
.LBB28_3060:
	v_cmp_ne_u16_e32 vcc, 0, v3
	s_andn2_b64 s[4:5], s[4:5], exec
	s_and_b64 s[8:9], vcc, exec
	v_mov_b32_e32 v2, 0
	s_or_b64 s[4:5], s[4:5], s[8:9]
	s_or_b64 exec, exec, s[6:7]
	s_and_saveexec_b64 s[6:7], s[4:5]
	s_cbranch_execnz .LBB28_1011
	s_branch .LBB28_1012
.LBB28_3061:
	s_movk_i32 s4, 0x80
	v_cmp_eq_u16_e32 vcc, s4, v3
	s_mov_b64 s[4:5], -1
                                        ; implicit-def: $sgpr10
	s_and_saveexec_b64 s[8:9], vcc
; %bb.3062:
	s_mov_b32 s10, 0x7f800001
	s_xor_b64 s[4:5], exec, -1
; %bb.3063:
	s_or_b64 exec, exec, s[8:9]
	s_and_b64 s[4:5], s[4:5], exec
                                        ; implicit-def: $vgpr3
	s_or_saveexec_b64 s[6:7], s[6:7]
	v_mov_b32_e32 v4, s10
	s_xor_b64 exec, exec, s[6:7]
	s_cbranch_execz .LBB28_1014
.LBB28_3064:
	v_cmp_ne_u16_e32 vcc, 0, v3
	s_andn2_b64 s[4:5], s[4:5], exec
	s_and_b64 s[8:9], vcc, exec
	v_mov_b32_e32 v4, 0
	s_or_b64 s[4:5], s[4:5], s[8:9]
	s_or_b64 exec, exec, s[6:7]
	s_and_saveexec_b64 s[6:7], s[4:5]
	s_cbranch_execnz .LBB28_1015
	s_branch .LBB28_1016
.LBB28_3065:
	s_movk_i32 s4, 0x80
	v_cmp_eq_u16_sdwa s[12:13], v9, s4 src0_sel:BYTE_3 src1_sel:DWORD
	s_mov_b64 s[4:5], -1
                                        ; implicit-def: $sgpr10
	s_and_saveexec_b64 s[8:9], s[12:13]
; %bb.3066:
	s_mov_b32 s10, 0x7f800001
	s_xor_b64 s[4:5], exec, -1
; %bb.3067:
	s_or_b64 exec, exec, s[8:9]
	s_and_b64 s[4:5], s[4:5], exec
	s_or_saveexec_b64 s[6:7], s[6:7]
	v_mov_b32_e32 v2, s10
	s_xor_b64 exec, exec, s[6:7]
	s_cbranch_execz .LBB28_1018
.LBB28_3068:
	v_mov_b32_e32 v2, 0
	v_cmp_ne_u16_sdwa s[8:9], v9, v2 src0_sel:BYTE_3 src1_sel:DWORD
	s_andn2_b64 s[4:5], s[4:5], exec
	s_and_b64 s[8:9], s[8:9], exec
	s_or_b64 s[4:5], s[4:5], s[8:9]
	s_or_b64 exec, exec, s[6:7]
	s_and_saveexec_b64 s[6:7], s[4:5]
	s_cbranch_execnz .LBB28_1019
	s_branch .LBB28_1020
.LBB28_3069:
	s_movk_i32 s4, 0x80
	v_cmp_eq_u16_sdwa s[12:13], v5, s4 src0_sel:BYTE_3 src1_sel:DWORD
	s_mov_b64 s[4:5], -1
                                        ; implicit-def: $sgpr10
	s_and_saveexec_b64 s[8:9], s[12:13]
; %bb.3070:
	s_mov_b32 s10, 0x7f800001
	s_xor_b64 s[4:5], exec, -1
; %bb.3071:
	s_or_b64 exec, exec, s[8:9]
	s_and_b64 s[4:5], s[4:5], exec
	s_or_saveexec_b64 s[6:7], s[6:7]
	v_mov_b32_e32 v3, s10
	s_xor_b64 exec, exec, s[6:7]
	s_cbranch_execz .LBB28_1022
.LBB28_3072:
	v_mov_b32_e32 v3, 0
	v_cmp_ne_u16_sdwa s[8:9], v5, v3 src0_sel:BYTE_3 src1_sel:DWORD
	s_andn2_b64 s[4:5], s[4:5], exec
	s_and_b64 s[8:9], s[8:9], exec
	s_or_b64 s[4:5], s[4:5], s[8:9]
	s_or_b64 exec, exec, s[6:7]
	s_and_saveexec_b64 s[6:7], s[4:5]
	s_cbranch_execnz .LBB28_1023
	s_branch .LBB28_1024
.LBB28_3073:
	s_movk_i32 s4, 0x80
	v_cmp_eq_u16_sdwa s[12:13], v14, s4 src0_sel:BYTE_0 src1_sel:DWORD
	s_mov_b64 s[4:5], -1
                                        ; implicit-def: $sgpr10
	s_and_saveexec_b64 s[8:9], s[12:13]
; %bb.3074:
	s_mov_b32 s10, 0x7f800001
	s_xor_b64 s[4:5], exec, -1
; %bb.3075:
	s_or_b64 exec, exec, s[8:9]
	s_and_b64 s[4:5], s[4:5], exec
	s_or_saveexec_b64 s[6:7], s[6:7]
	v_mov_b32_e32 v20, s10
	s_xor_b64 exec, exec, s[6:7]
	s_cbranch_execz .LBB28_1026
.LBB28_3076:
	v_mov_b32_e32 v20, 0
	v_cmp_ne_u16_sdwa s[8:9], v14, v20 src0_sel:BYTE_0 src1_sel:DWORD
	s_andn2_b64 s[4:5], s[4:5], exec
	s_and_b64 s[8:9], s[8:9], exec
	s_or_b64 s[4:5], s[4:5], s[8:9]
	s_or_b64 exec, exec, s[6:7]
	s_and_saveexec_b64 s[6:7], s[4:5]
	s_cbranch_execnz .LBB28_1027
	s_branch .LBB28_1028
.LBB28_3077:
	s_movk_i32 s4, 0x80
	v_cmp_eq_u16_sdwa s[12:13], v10, s4 src0_sel:BYTE_0 src1_sel:DWORD
	s_mov_b64 s[4:5], -1
                                        ; implicit-def: $sgpr10
	s_and_saveexec_b64 s[8:9], s[12:13]
; %bb.3078:
	s_mov_b32 s10, 0x7f800001
	s_xor_b64 s[4:5], exec, -1
; %bb.3079:
	s_or_b64 exec, exec, s[8:9]
	s_and_b64 s[4:5], s[4:5], exec
	s_or_saveexec_b64 s[6:7], s[6:7]
	v_mov_b32_e32 v21, s10
	s_xor_b64 exec, exec, s[6:7]
	s_cbranch_execz .LBB28_1030
.LBB28_3080:
	v_mov_b32_e32 v21, 0
	v_cmp_ne_u16_sdwa s[8:9], v10, v21 src0_sel:BYTE_0 src1_sel:DWORD
	s_andn2_b64 s[4:5], s[4:5], exec
	s_and_b64 s[8:9], s[8:9], exec
	s_or_b64 s[4:5], s[4:5], s[8:9]
	s_or_b64 exec, exec, s[6:7]
	s_and_saveexec_b64 s[6:7], s[4:5]
	s_cbranch_execnz .LBB28_1031
	s_branch .LBB28_1032
.LBB28_3081:
	s_movk_i32 s4, 0x80
	v_cmp_eq_u16_sdwa s[12:13], v21, s4 src0_sel:BYTE_0 src1_sel:DWORD
	s_mov_b64 s[4:5], -1
                                        ; implicit-def: $sgpr10
	s_and_saveexec_b64 s[8:9], s[12:13]
; %bb.3082:
	s_mov_b32 s10, 0x7f800001
	s_xor_b64 s[4:5], exec, -1
; %bb.3083:
	s_or_b64 exec, exec, s[8:9]
	s_and_b64 s[4:5], s[4:5], exec
	s_or_saveexec_b64 s[6:7], s[6:7]
	v_mov_b32_e32 v20, s10
	s_xor_b64 exec, exec, s[6:7]
	s_cbranch_execz .LBB28_1034
.LBB28_3084:
	v_mov_b32_e32 v20, 0
	v_cmp_ne_u16_sdwa s[8:9], v21, v20 src0_sel:BYTE_0 src1_sel:DWORD
	s_andn2_b64 s[4:5], s[4:5], exec
	s_and_b64 s[8:9], s[8:9], exec
	s_or_b64 s[4:5], s[4:5], s[8:9]
	s_or_b64 exec, exec, s[6:7]
	s_and_saveexec_b64 s[6:7], s[4:5]
	s_cbranch_execnz .LBB28_1035
	s_branch .LBB28_1036
.LBB28_3085:
	s_movk_i32 s4, 0x80
	v_cmp_eq_u16_sdwa s[12:13], v21, s4 src0_sel:BYTE_0 src1_sel:DWORD
	s_mov_b64 s[4:5], -1
                                        ; implicit-def: $sgpr10
	s_and_saveexec_b64 s[8:9], s[12:13]
; %bb.3086:
	s_mov_b32 s10, 0x7f800001
	s_xor_b64 s[4:5], exec, -1
; %bb.3087:
	s_or_b64 exec, exec, s[8:9]
	s_and_b64 s[4:5], s[4:5], exec
	s_or_saveexec_b64 s[6:7], s[6:7]
	v_mov_b32_e32 v22, s10
	s_xor_b64 exec, exec, s[6:7]
	s_cbranch_execz .LBB28_1038
.LBB28_3088:
	v_mov_b32_e32 v22, 0
	v_cmp_ne_u16_sdwa s[8:9], v21, v22 src0_sel:BYTE_0 src1_sel:DWORD
	s_andn2_b64 s[4:5], s[4:5], exec
	s_and_b64 s[8:9], s[8:9], exec
	s_or_b64 s[4:5], s[4:5], s[8:9]
	s_or_b64 exec, exec, s[6:7]
	s_and_saveexec_b64 s[6:7], s[4:5]
	s_cbranch_execnz .LBB28_1039
	s_branch .LBB28_1040
.LBB28_3089:
	s_movk_i32 s4, 0x80
	v_cmp_eq_u16_e32 vcc, s4, v21
	s_mov_b64 s[4:5], -1
                                        ; implicit-def: $sgpr10
	s_and_saveexec_b64 s[8:9], vcc
; %bb.3090:
	s_mov_b32 s10, 0x7f800001
	s_xor_b64 s[4:5], exec, -1
; %bb.3091:
	s_or_b64 exec, exec, s[8:9]
	s_and_b64 s[4:5], s[4:5], exec
                                        ; implicit-def: $vgpr21
	s_or_saveexec_b64 s[6:7], s[6:7]
	v_mov_b32_e32 v20, s10
	s_xor_b64 exec, exec, s[6:7]
	s_cbranch_execz .LBB28_1042
.LBB28_3092:
	v_cmp_ne_u16_e32 vcc, 0, v21
	s_andn2_b64 s[4:5], s[4:5], exec
	s_and_b64 s[8:9], vcc, exec
	v_mov_b32_e32 v20, 0
	s_or_b64 s[4:5], s[4:5], s[8:9]
	s_or_b64 exec, exec, s[6:7]
	s_and_saveexec_b64 s[6:7], s[4:5]
	s_cbranch_execnz .LBB28_1043
	s_branch .LBB28_1044
.LBB28_3093:
	s_movk_i32 s4, 0x80
	v_cmp_eq_u16_e32 vcc, s4, v21
	s_mov_b64 s[4:5], -1
                                        ; implicit-def: $sgpr10
	s_and_saveexec_b64 s[8:9], vcc
; %bb.3094:
	s_mov_b32 s10, 0x7f800001
	s_xor_b64 s[4:5], exec, -1
; %bb.3095:
	s_or_b64 exec, exec, s[8:9]
	s_and_b64 s[4:5], s[4:5], exec
                                        ; implicit-def: $vgpr21
	s_or_saveexec_b64 s[6:7], s[6:7]
	v_mov_b32_e32 v22, s10
	s_xor_b64 exec, exec, s[6:7]
	s_cbranch_execz .LBB28_1046
.LBB28_3096:
	v_cmp_ne_u16_e32 vcc, 0, v21
	s_andn2_b64 s[4:5], s[4:5], exec
	s_and_b64 s[8:9], vcc, exec
	v_mov_b32_e32 v22, 0
	s_or_b64 s[4:5], s[4:5], s[8:9]
	s_or_b64 exec, exec, s[6:7]
	s_and_saveexec_b64 s[6:7], s[4:5]
	s_cbranch_execnz .LBB28_1047
	s_branch .LBB28_1048
.LBB28_3097:
	s_movk_i32 s4, 0x80
	v_cmp_eq_u16_sdwa s[12:13], v14, s4 src0_sel:BYTE_3 src1_sel:DWORD
	s_mov_b64 s[4:5], -1
                                        ; implicit-def: $sgpr10
	s_and_saveexec_b64 s[8:9], s[12:13]
; %bb.3098:
	s_mov_b32 s10, 0x7f800001
	s_xor_b64 s[4:5], exec, -1
; %bb.3099:
	s_or_b64 exec, exec, s[8:9]
	s_and_b64 s[4:5], s[4:5], exec
	s_or_saveexec_b64 s[6:7], s[6:7]
	v_mov_b32_e32 v20, s10
	s_xor_b64 exec, exec, s[6:7]
	s_cbranch_execz .LBB28_1050
.LBB28_3100:
	v_mov_b32_e32 v20, 0
	v_cmp_ne_u16_sdwa s[8:9], v14, v20 src0_sel:BYTE_3 src1_sel:DWORD
	s_andn2_b64 s[4:5], s[4:5], exec
	s_and_b64 s[8:9], s[8:9], exec
	s_or_b64 s[4:5], s[4:5], s[8:9]
	s_or_b64 exec, exec, s[6:7]
	s_and_saveexec_b64 s[6:7], s[4:5]
	s_cbranch_execnz .LBB28_1051
	s_branch .LBB28_1052
.LBB28_3101:
	s_movk_i32 s4, 0x80
	v_cmp_eq_u16_sdwa s[12:13], v10, s4 src0_sel:BYTE_3 src1_sel:DWORD
	s_mov_b64 s[4:5], -1
                                        ; implicit-def: $sgpr10
	s_and_saveexec_b64 s[8:9], s[12:13]
; %bb.3102:
	s_mov_b32 s10, 0x7f800001
	s_xor_b64 s[4:5], exec, -1
; %bb.3103:
	s_or_b64 exec, exec, s[8:9]
	s_and_b64 s[4:5], s[4:5], exec
	s_or_saveexec_b64 s[6:7], s[6:7]
	v_mov_b32_e32 v14, s10
	s_xor_b64 exec, exec, s[6:7]
	s_cbranch_execz .LBB28_1054
.LBB28_3104:
	v_mov_b32_e32 v14, 0
	v_cmp_ne_u16_sdwa s[8:9], v10, v14 src0_sel:BYTE_3 src1_sel:DWORD
	s_andn2_b64 s[4:5], s[4:5], exec
	s_and_b64 s[8:9], s[8:9], exec
	s_or_b64 s[4:5], s[4:5], s[8:9]
	s_or_b64 exec, exec, s[6:7]
	s_and_saveexec_b64 s[6:7], s[4:5]
	s_cbranch_execnz .LBB28_1055
	s_branch .LBB28_1056
.LBB28_3105:
	s_movk_i32 s4, 0x80
	v_cmp_eq_u16_sdwa s[12:13], v15, s4 src0_sel:BYTE_0 src1_sel:DWORD
	s_mov_b64 s[4:5], -1
                                        ; implicit-def: $sgpr10
	s_and_saveexec_b64 s[8:9], s[12:13]
; %bb.3106:
	s_mov_b32 s10, 0x7f800001
	s_xor_b64 s[4:5], exec, -1
; %bb.3107:
	s_or_b64 exec, exec, s[8:9]
	s_and_b64 s[4:5], s[4:5], exec
	s_or_saveexec_b64 s[6:7], s[6:7]
	v_mov_b32_e32 v10, s10
	s_xor_b64 exec, exec, s[6:7]
	s_cbranch_execz .LBB28_1058
.LBB28_3108:
	v_mov_b32_e32 v10, 0
	v_cmp_ne_u16_sdwa s[8:9], v15, v10 src0_sel:BYTE_0 src1_sel:DWORD
	s_andn2_b64 s[4:5], s[4:5], exec
	s_and_b64 s[8:9], s[8:9], exec
	s_or_b64 s[4:5], s[4:5], s[8:9]
	s_or_b64 exec, exec, s[6:7]
	s_and_saveexec_b64 s[6:7], s[4:5]
	s_cbranch_execnz .LBB28_1059
	s_branch .LBB28_1060
.LBB28_3109:
	s_movk_i32 s4, 0x80
	v_cmp_eq_u16_sdwa s[12:13], v11, s4 src0_sel:BYTE_0 src1_sel:DWORD
	s_mov_b64 s[4:5], -1
                                        ; implicit-def: $sgpr10
	s_and_saveexec_b64 s[8:9], s[12:13]
; %bb.3110:
	s_mov_b32 s10, 0x7f800001
	s_xor_b64 s[4:5], exec, -1
; %bb.3111:
	s_or_b64 exec, exec, s[8:9]
	s_and_b64 s[4:5], s[4:5], exec
	s_or_saveexec_b64 s[6:7], s[6:7]
	v_mov_b32_e32 v14, s10
	s_xor_b64 exec, exec, s[6:7]
	s_cbranch_execz .LBB28_1062
.LBB28_3112:
	v_mov_b32_e32 v14, 0
	v_cmp_ne_u16_sdwa s[8:9], v11, v14 src0_sel:BYTE_0 src1_sel:DWORD
	s_andn2_b64 s[4:5], s[4:5], exec
	s_and_b64 s[8:9], s[8:9], exec
	s_or_b64 s[4:5], s[4:5], s[8:9]
	s_or_b64 exec, exec, s[6:7]
	s_and_saveexec_b64 s[6:7], s[4:5]
	s_cbranch_execnz .LBB28_1063
	s_branch .LBB28_1064
.LBB28_3113:
	s_movk_i32 s4, 0x80
	v_cmp_eq_u16_sdwa s[12:13], v14, s4 src0_sel:BYTE_0 src1_sel:DWORD
	s_mov_b64 s[4:5], -1
                                        ; implicit-def: $sgpr10
	s_and_saveexec_b64 s[8:9], s[12:13]
; %bb.3114:
	s_mov_b32 s10, 0x7f800001
	s_xor_b64 s[4:5], exec, -1
; %bb.3115:
	s_or_b64 exec, exec, s[8:9]
	s_and_b64 s[4:5], s[4:5], exec
	s_or_saveexec_b64 s[6:7], s[6:7]
	v_mov_b32_e32 v10, s10
	s_xor_b64 exec, exec, s[6:7]
	s_cbranch_execz .LBB28_1066
.LBB28_3116:
	v_mov_b32_e32 v10, 0
	v_cmp_ne_u16_sdwa s[8:9], v14, v10 src0_sel:BYTE_0 src1_sel:DWORD
	s_andn2_b64 s[4:5], s[4:5], exec
	s_and_b64 s[8:9], s[8:9], exec
	s_or_b64 s[4:5], s[4:5], s[8:9]
	s_or_b64 exec, exec, s[6:7]
	s_and_saveexec_b64 s[6:7], s[4:5]
	s_cbranch_execnz .LBB28_1067
	s_branch .LBB28_1068
.LBB28_3117:
	s_movk_i32 s4, 0x80
	v_cmp_eq_u16_sdwa s[12:13], v14, s4 src0_sel:BYTE_0 src1_sel:DWORD
	s_mov_b64 s[4:5], -1
                                        ; implicit-def: $sgpr10
	s_and_saveexec_b64 s[8:9], s[12:13]
; %bb.3118:
	s_mov_b32 s10, 0x7f800001
	s_xor_b64 s[4:5], exec, -1
; %bb.3119:
	s_or_b64 exec, exec, s[8:9]
	s_and_b64 s[4:5], s[4:5], exec
	s_or_saveexec_b64 s[6:7], s[6:7]
	v_mov_b32_e32 v20, s10
	s_xor_b64 exec, exec, s[6:7]
	s_cbranch_execz .LBB28_1070
.LBB28_3120:
	v_mov_b32_e32 v20, 0
	v_cmp_ne_u16_sdwa s[8:9], v14, v20 src0_sel:BYTE_0 src1_sel:DWORD
	s_andn2_b64 s[4:5], s[4:5], exec
	s_and_b64 s[8:9], s[8:9], exec
	s_or_b64 s[4:5], s[4:5], s[8:9]
	s_or_b64 exec, exec, s[6:7]
	s_and_saveexec_b64 s[6:7], s[4:5]
	s_cbranch_execnz .LBB28_1071
	s_branch .LBB28_1072
.LBB28_3121:
	s_movk_i32 s4, 0x80
	v_cmp_eq_u16_e32 vcc, s4, v14
	s_mov_b64 s[4:5], -1
                                        ; implicit-def: $sgpr10
	s_and_saveexec_b64 s[8:9], vcc
; %bb.3122:
	s_mov_b32 s10, 0x7f800001
	s_xor_b64 s[4:5], exec, -1
; %bb.3123:
	s_or_b64 exec, exec, s[8:9]
	s_and_b64 s[4:5], s[4:5], exec
                                        ; implicit-def: $vgpr14
	s_or_saveexec_b64 s[6:7], s[6:7]
	v_mov_b32_e32 v10, s10
	s_xor_b64 exec, exec, s[6:7]
	s_cbranch_execz .LBB28_1074
.LBB28_3124:
	v_cmp_ne_u16_e32 vcc, 0, v14
	s_andn2_b64 s[4:5], s[4:5], exec
	s_and_b64 s[8:9], vcc, exec
	v_mov_b32_e32 v10, 0
	s_or_b64 s[4:5], s[4:5], s[8:9]
	s_or_b64 exec, exec, s[6:7]
	s_and_saveexec_b64 s[6:7], s[4:5]
	s_cbranch_execnz .LBB28_1075
	s_branch .LBB28_1076
.LBB28_3125:
	s_movk_i32 s4, 0x80
	v_cmp_eq_u16_e32 vcc, s4, v14
	s_mov_b64 s[4:5], -1
                                        ; implicit-def: $sgpr10
	s_and_saveexec_b64 s[8:9], vcc
; %bb.3126:
	s_mov_b32 s10, 0x7f800001
	s_xor_b64 s[4:5], exec, -1
; %bb.3127:
	s_or_b64 exec, exec, s[8:9]
	s_and_b64 s[4:5], s[4:5], exec
                                        ; implicit-def: $vgpr14
	s_or_saveexec_b64 s[6:7], s[6:7]
	v_mov_b32_e32 v20, s10
	s_xor_b64 exec, exec, s[6:7]
	s_cbranch_execz .LBB28_1078
.LBB28_3128:
	v_cmp_ne_u16_e32 vcc, 0, v14
	s_andn2_b64 s[4:5], s[4:5], exec
	s_and_b64 s[8:9], vcc, exec
	v_mov_b32_e32 v20, 0
	s_or_b64 s[4:5], s[4:5], s[8:9]
	s_or_b64 exec, exec, s[6:7]
	s_and_saveexec_b64 s[6:7], s[4:5]
	s_cbranch_execnz .LBB28_1079
	s_branch .LBB28_1080
.LBB28_3129:
	s_movk_i32 s4, 0x80
	v_cmp_eq_u16_sdwa s[12:13], v15, s4 src0_sel:BYTE_3 src1_sel:DWORD
	s_mov_b64 s[4:5], -1
                                        ; implicit-def: $sgpr10
	s_and_saveexec_b64 s[8:9], s[12:13]
; %bb.3130:
	s_mov_b32 s10, 0x7f800001
	s_xor_b64 s[4:5], exec, -1
; %bb.3131:
	s_or_b64 exec, exec, s[8:9]
	s_and_b64 s[4:5], s[4:5], exec
	s_or_saveexec_b64 s[6:7], s[6:7]
	v_mov_b32_e32 v10, s10
	s_xor_b64 exec, exec, s[6:7]
	s_cbranch_execz .LBB28_1082
.LBB28_3132:
	v_mov_b32_e32 v10, 0
	v_cmp_ne_u16_sdwa s[8:9], v15, v10 src0_sel:BYTE_3 src1_sel:DWORD
	s_andn2_b64 s[4:5], s[4:5], exec
	s_and_b64 s[8:9], s[8:9], exec
	s_or_b64 s[4:5], s[4:5], s[8:9]
	s_or_b64 exec, exec, s[6:7]
	s_and_saveexec_b64 s[6:7], s[4:5]
	s_cbranch_execnz .LBB28_1083
	s_branch .LBB28_1084
.LBB28_3133:
	s_movk_i32 s4, 0x80
	v_cmp_eq_u16_sdwa s[12:13], v11, s4 src0_sel:BYTE_3 src1_sel:DWORD
	s_mov_b64 s[4:5], -1
                                        ; implicit-def: $sgpr10
	s_and_saveexec_b64 s[8:9], s[12:13]
; %bb.3134:
	s_mov_b32 s10, 0x7f800001
	s_xor_b64 s[4:5], exec, -1
; %bb.3135:
	s_or_b64 exec, exec, s[8:9]
	s_and_b64 s[4:5], s[4:5], exec
	s_or_saveexec_b64 s[6:7], s[6:7]
	v_mov_b32_e32 v14, s10
	s_xor_b64 exec, exec, s[6:7]
	s_cbranch_execz .LBB28_1086
.LBB28_3136:
	v_mov_b32_e32 v14, 0
	v_cmp_ne_u16_sdwa s[8:9], v11, v14 src0_sel:BYTE_3 src1_sel:DWORD
	s_andn2_b64 s[4:5], s[4:5], exec
	s_and_b64 s[8:9], s[8:9], exec
	s_or_b64 s[4:5], s[4:5], s[8:9]
	s_or_b64 exec, exec, s[6:7]
	s_and_saveexec_b64 s[6:7], s[4:5]
	s_cbranch_execnz .LBB28_1087
	s_branch .LBB28_1088
.LBB28_3137:
	s_movk_i32 s4, 0x80
	v_cmp_eq_u16_sdwa s[12:13], v16, s4 src0_sel:BYTE_0 src1_sel:DWORD
	s_mov_b64 s[4:5], -1
                                        ; implicit-def: $sgpr10
	s_and_saveexec_b64 s[8:9], s[12:13]
; %bb.3138:
	s_mov_b32 s10, 0x7f800001
	s_xor_b64 s[4:5], exec, -1
; %bb.3139:
	s_or_b64 exec, exec, s[8:9]
	s_and_b64 s[4:5], s[4:5], exec
	s_or_saveexec_b64 s[6:7], s[6:7]
	v_mov_b32_e32 v10, s10
	s_xor_b64 exec, exec, s[6:7]
	s_cbranch_execz .LBB28_1090
.LBB28_3140:
	v_mov_b32_e32 v10, 0
	v_cmp_ne_u16_sdwa s[8:9], v16, v10 src0_sel:BYTE_0 src1_sel:DWORD
	s_andn2_b64 s[4:5], s[4:5], exec
	s_and_b64 s[8:9], s[8:9], exec
	s_or_b64 s[4:5], s[4:5], s[8:9]
	s_or_b64 exec, exec, s[6:7]
	s_and_saveexec_b64 s[6:7], s[4:5]
	s_cbranch_execnz .LBB28_1091
	s_branch .LBB28_1092
.LBB28_3141:
	s_movk_i32 s4, 0x80
	v_cmp_eq_u16_sdwa s[12:13], v12, s4 src0_sel:BYTE_0 src1_sel:DWORD
	s_mov_b64 s[4:5], -1
                                        ; implicit-def: $sgpr10
	s_and_saveexec_b64 s[8:9], s[12:13]
; %bb.3142:
	s_mov_b32 s10, 0x7f800001
	s_xor_b64 s[4:5], exec, -1
; %bb.3143:
	s_or_b64 exec, exec, s[8:9]
	s_and_b64 s[4:5], s[4:5], exec
	s_or_saveexec_b64 s[6:7], s[6:7]
	v_mov_b32_e32 v11, s10
	s_xor_b64 exec, exec, s[6:7]
	s_cbranch_execz .LBB28_1094
.LBB28_3144:
	v_mov_b32_e32 v11, 0
	v_cmp_ne_u16_sdwa s[8:9], v12, v11 src0_sel:BYTE_0 src1_sel:DWORD
	s_andn2_b64 s[4:5], s[4:5], exec
	s_and_b64 s[8:9], s[8:9], exec
	s_or_b64 s[4:5], s[4:5], s[8:9]
	s_or_b64 exec, exec, s[6:7]
	s_and_saveexec_b64 s[6:7], s[4:5]
	s_cbranch_execnz .LBB28_1095
	s_branch .LBB28_1096
.LBB28_3145:
	s_movk_i32 s4, 0x80
	v_cmp_eq_u16_sdwa s[12:13], v11, s4 src0_sel:BYTE_0 src1_sel:DWORD
	s_mov_b64 s[4:5], -1
                                        ; implicit-def: $sgpr10
	s_and_saveexec_b64 s[8:9], s[12:13]
; %bb.3146:
	s_mov_b32 s10, 0x7f800001
	s_xor_b64 s[4:5], exec, -1
; %bb.3147:
	s_or_b64 exec, exec, s[8:9]
	s_and_b64 s[4:5], s[4:5], exec
	s_or_saveexec_b64 s[6:7], s[6:7]
	v_mov_b32_e32 v10, s10
	s_xor_b64 exec, exec, s[6:7]
	s_cbranch_execz .LBB28_1098
.LBB28_3148:
	v_mov_b32_e32 v10, 0
	v_cmp_ne_u16_sdwa s[8:9], v11, v10 src0_sel:BYTE_0 src1_sel:DWORD
	s_andn2_b64 s[4:5], s[4:5], exec
	s_and_b64 s[8:9], s[8:9], exec
	s_or_b64 s[4:5], s[4:5], s[8:9]
	s_or_b64 exec, exec, s[6:7]
	s_and_saveexec_b64 s[6:7], s[4:5]
	s_cbranch_execnz .LBB28_1099
	s_branch .LBB28_1100
.LBB28_3149:
	s_movk_i32 s4, 0x80
	v_cmp_eq_u16_sdwa s[12:13], v11, s4 src0_sel:BYTE_0 src1_sel:DWORD
	s_mov_b64 s[4:5], -1
                                        ; implicit-def: $sgpr10
	s_and_saveexec_b64 s[8:9], s[12:13]
; %bb.3150:
	s_mov_b32 s10, 0x7f800001
	s_xor_b64 s[4:5], exec, -1
; %bb.3151:
	s_or_b64 exec, exec, s[8:9]
	s_and_b64 s[4:5], s[4:5], exec
	s_or_saveexec_b64 s[6:7], s[6:7]
	v_mov_b32_e32 v14, s10
	s_xor_b64 exec, exec, s[6:7]
	s_cbranch_execz .LBB28_1102
.LBB28_3152:
	v_mov_b32_e32 v14, 0
	v_cmp_ne_u16_sdwa s[8:9], v11, v14 src0_sel:BYTE_0 src1_sel:DWORD
	s_andn2_b64 s[4:5], s[4:5], exec
	s_and_b64 s[8:9], s[8:9], exec
	s_or_b64 s[4:5], s[4:5], s[8:9]
	s_or_b64 exec, exec, s[6:7]
	s_and_saveexec_b64 s[6:7], s[4:5]
	s_cbranch_execnz .LBB28_1103
	s_branch .LBB28_1104
.LBB28_3153:
	s_movk_i32 s4, 0x80
	v_cmp_eq_u16_e32 vcc, s4, v11
	s_mov_b64 s[4:5], -1
                                        ; implicit-def: $sgpr10
	s_and_saveexec_b64 s[8:9], vcc
; %bb.3154:
	s_mov_b32 s10, 0x7f800001
	s_xor_b64 s[4:5], exec, -1
; %bb.3155:
	s_or_b64 exec, exec, s[8:9]
	s_and_b64 s[4:5], s[4:5], exec
                                        ; implicit-def: $vgpr11
	s_or_saveexec_b64 s[6:7], s[6:7]
	v_mov_b32_e32 v10, s10
	s_xor_b64 exec, exec, s[6:7]
	s_cbranch_execz .LBB28_1106
.LBB28_3156:
	v_cmp_ne_u16_e32 vcc, 0, v11
	s_andn2_b64 s[4:5], s[4:5], exec
	s_and_b64 s[8:9], vcc, exec
	v_mov_b32_e32 v10, 0
	s_or_b64 s[4:5], s[4:5], s[8:9]
	s_or_b64 exec, exec, s[6:7]
	s_and_saveexec_b64 s[6:7], s[4:5]
	s_cbranch_execnz .LBB28_1107
	s_branch .LBB28_1108
.LBB28_3157:
	s_movk_i32 s4, 0x80
	v_cmp_eq_u16_e32 vcc, s4, v11
	s_mov_b64 s[4:5], -1
                                        ; implicit-def: $sgpr10
	s_and_saveexec_b64 s[8:9], vcc
; %bb.3158:
	s_mov_b32 s10, 0x7f800001
	s_xor_b64 s[4:5], exec, -1
; %bb.3159:
	s_or_b64 exec, exec, s[8:9]
	s_and_b64 s[4:5], s[4:5], exec
                                        ; implicit-def: $vgpr11
	s_or_saveexec_b64 s[6:7], s[6:7]
	v_mov_b32_e32 v14, s10
	s_xor_b64 exec, exec, s[6:7]
	s_cbranch_execz .LBB28_1110
.LBB28_3160:
	v_cmp_ne_u16_e32 vcc, 0, v11
	s_andn2_b64 s[4:5], s[4:5], exec
	s_and_b64 s[8:9], vcc, exec
	v_mov_b32_e32 v14, 0
	s_or_b64 s[4:5], s[4:5], s[8:9]
	s_or_b64 exec, exec, s[6:7]
	s_and_saveexec_b64 s[6:7], s[4:5]
	s_cbranch_execnz .LBB28_1111
	s_branch .LBB28_1112
.LBB28_3161:
	s_movk_i32 s4, 0x80
	v_cmp_eq_u16_sdwa s[12:13], v16, s4 src0_sel:BYTE_3 src1_sel:DWORD
	s_mov_b64 s[4:5], -1
                                        ; implicit-def: $sgpr10
	s_and_saveexec_b64 s[8:9], s[12:13]
; %bb.3162:
	s_mov_b32 s10, 0x7f800001
	s_xor_b64 s[4:5], exec, -1
; %bb.3163:
	s_or_b64 exec, exec, s[8:9]
	s_and_b64 s[4:5], s[4:5], exec
	s_or_saveexec_b64 s[6:7], s[6:7]
	v_mov_b32_e32 v10, s10
	s_xor_b64 exec, exec, s[6:7]
	s_cbranch_execz .LBB28_1114
.LBB28_3164:
	v_mov_b32_e32 v10, 0
	v_cmp_ne_u16_sdwa s[8:9], v16, v10 src0_sel:BYTE_3 src1_sel:DWORD
	s_andn2_b64 s[4:5], s[4:5], exec
	s_and_b64 s[8:9], s[8:9], exec
	s_or_b64 s[4:5], s[4:5], s[8:9]
	s_or_b64 exec, exec, s[6:7]
	s_and_saveexec_b64 s[6:7], s[4:5]
	s_cbranch_execnz .LBB28_1115
	s_branch .LBB28_1116
.LBB28_3165:
	s_movk_i32 s4, 0x80
	v_cmp_eq_u16_sdwa s[12:13], v12, s4 src0_sel:BYTE_3 src1_sel:DWORD
	s_mov_b64 s[4:5], -1
                                        ; implicit-def: $sgpr10
	s_and_saveexec_b64 s[8:9], s[12:13]
; %bb.3166:
	s_mov_b32 s10, 0x7f800001
	s_xor_b64 s[4:5], exec, -1
; %bb.3167:
	s_or_b64 exec, exec, s[8:9]
	s_and_b64 s[4:5], s[4:5], exec
	s_or_saveexec_b64 s[6:7], s[6:7]
	v_mov_b32_e32 v11, s10
	s_xor_b64 exec, exec, s[6:7]
	s_cbranch_execz .LBB28_1118
.LBB28_3168:
	v_mov_b32_e32 v11, 0
	v_cmp_ne_u16_sdwa s[8:9], v12, v11 src0_sel:BYTE_3 src1_sel:DWORD
	s_andn2_b64 s[4:5], s[4:5], exec
	s_and_b64 s[8:9], s[8:9], exec
	s_or_b64 s[4:5], s[4:5], s[8:9]
	s_or_b64 exec, exec, s[6:7]
	s_and_saveexec_b64 s[6:7], s[4:5]
	s_cbranch_execnz .LBB28_1119
	s_branch .LBB28_1120
.LBB28_3169:
	s_movk_i32 s4, 0x80
	v_cmp_eq_u16_sdwa s[12:13], v17, s4 src0_sel:BYTE_0 src1_sel:DWORD
	s_mov_b64 s[4:5], -1
                                        ; implicit-def: $sgpr10
	s_and_saveexec_b64 s[8:9], s[12:13]
; %bb.3170:
	s_mov_b32 s10, 0x7f800001
	s_xor_b64 s[4:5], exec, -1
; %bb.3171:
	s_or_b64 exec, exec, s[8:9]
	s_and_b64 s[4:5], s[4:5], exec
	s_or_saveexec_b64 s[6:7], s[6:7]
	v_mov_b32_e32 v10, s10
	s_xor_b64 exec, exec, s[6:7]
	s_cbranch_execz .LBB28_1122
.LBB28_3172:
	v_mov_b32_e32 v10, 0
	v_cmp_ne_u16_sdwa s[8:9], v17, v10 src0_sel:BYTE_0 src1_sel:DWORD
	s_andn2_b64 s[4:5], s[4:5], exec
	s_and_b64 s[8:9], s[8:9], exec
	s_or_b64 s[4:5], s[4:5], s[8:9]
	s_or_b64 exec, exec, s[6:7]
	s_and_saveexec_b64 s[6:7], s[4:5]
	s_cbranch_execnz .LBB28_1123
	s_branch .LBB28_1124
.LBB28_3173:
	s_movk_i32 s4, 0x80
	v_cmp_eq_u16_sdwa s[12:13], v13, s4 src0_sel:BYTE_0 src1_sel:DWORD
	s_mov_b64 s[4:5], -1
                                        ; implicit-def: $sgpr10
	s_and_saveexec_b64 s[8:9], s[12:13]
; %bb.3174:
	s_mov_b32 s10, 0x7f800001
	s_xor_b64 s[4:5], exec, -1
; %bb.3175:
	s_or_b64 exec, exec, s[8:9]
	s_and_b64 s[4:5], s[4:5], exec
	s_or_saveexec_b64 s[6:7], s[6:7]
	v_mov_b32_e32 v11, s10
	s_xor_b64 exec, exec, s[6:7]
	s_cbranch_execz .LBB28_1126
.LBB28_3176:
	v_mov_b32_e32 v11, 0
	v_cmp_ne_u16_sdwa s[8:9], v13, v11 src0_sel:BYTE_0 src1_sel:DWORD
	s_andn2_b64 s[4:5], s[4:5], exec
	s_and_b64 s[8:9], s[8:9], exec
	s_or_b64 s[4:5], s[4:5], s[8:9]
	s_or_b64 exec, exec, s[6:7]
	s_and_saveexec_b64 s[6:7], s[4:5]
	s_cbranch_execnz .LBB28_1127
	s_branch .LBB28_1128
.LBB28_3177:
	s_movk_i32 s4, 0x80
	v_cmp_eq_u16_sdwa s[12:13], v11, s4 src0_sel:BYTE_0 src1_sel:DWORD
	s_mov_b64 s[4:5], -1
                                        ; implicit-def: $sgpr10
	s_and_saveexec_b64 s[8:9], s[12:13]
; %bb.3178:
	s_mov_b32 s10, 0x7f800001
	s_xor_b64 s[4:5], exec, -1
; %bb.3179:
	s_or_b64 exec, exec, s[8:9]
	s_and_b64 s[4:5], s[4:5], exec
	s_or_saveexec_b64 s[6:7], s[6:7]
	v_mov_b32_e32 v10, s10
	s_xor_b64 exec, exec, s[6:7]
	s_cbranch_execz .LBB28_1130
.LBB28_3180:
	v_mov_b32_e32 v10, 0
	v_cmp_ne_u16_sdwa s[8:9], v11, v10 src0_sel:BYTE_0 src1_sel:DWORD
	s_andn2_b64 s[4:5], s[4:5], exec
	s_and_b64 s[8:9], s[8:9], exec
	s_or_b64 s[4:5], s[4:5], s[8:9]
	s_or_b64 exec, exec, s[6:7]
	s_and_saveexec_b64 s[6:7], s[4:5]
	s_cbranch_execnz .LBB28_1131
	s_branch .LBB28_1132
.LBB28_3181:
	s_movk_i32 s4, 0x80
	v_cmp_eq_u16_sdwa s[12:13], v11, s4 src0_sel:BYTE_0 src1_sel:DWORD
	s_mov_b64 s[4:5], -1
                                        ; implicit-def: $sgpr10
	s_and_saveexec_b64 s[8:9], s[12:13]
; %bb.3182:
	s_mov_b32 s10, 0x7f800001
	s_xor_b64 s[4:5], exec, -1
; %bb.3183:
	s_or_b64 exec, exec, s[8:9]
	s_and_b64 s[4:5], s[4:5], exec
	s_or_saveexec_b64 s[6:7], s[6:7]
	v_mov_b32_e32 v12, s10
	s_xor_b64 exec, exec, s[6:7]
	s_cbranch_execz .LBB28_1134
.LBB28_3184:
	v_mov_b32_e32 v12, 0
	v_cmp_ne_u16_sdwa s[8:9], v11, v12 src0_sel:BYTE_0 src1_sel:DWORD
	s_andn2_b64 s[4:5], s[4:5], exec
	s_and_b64 s[8:9], s[8:9], exec
	s_or_b64 s[4:5], s[4:5], s[8:9]
	s_or_b64 exec, exec, s[6:7]
	s_and_saveexec_b64 s[6:7], s[4:5]
	s_cbranch_execnz .LBB28_1135
	s_branch .LBB28_1136
.LBB28_3185:
	s_movk_i32 s4, 0x80
	v_cmp_eq_u16_e32 vcc, s4, v11
	s_mov_b64 s[4:5], -1
                                        ; implicit-def: $sgpr10
	s_and_saveexec_b64 s[8:9], vcc
; %bb.3186:
	s_mov_b32 s10, 0x7f800001
	s_xor_b64 s[4:5], exec, -1
; %bb.3187:
	s_or_b64 exec, exec, s[8:9]
	s_and_b64 s[4:5], s[4:5], exec
                                        ; implicit-def: $vgpr11
	s_or_saveexec_b64 s[6:7], s[6:7]
	v_mov_b32_e32 v10, s10
	s_xor_b64 exec, exec, s[6:7]
	s_cbranch_execz .LBB28_1138
.LBB28_3188:
	v_cmp_ne_u16_e32 vcc, 0, v11
	s_andn2_b64 s[4:5], s[4:5], exec
	s_and_b64 s[8:9], vcc, exec
	v_mov_b32_e32 v10, 0
	s_or_b64 s[4:5], s[4:5], s[8:9]
	s_or_b64 exec, exec, s[6:7]
	s_and_saveexec_b64 s[6:7], s[4:5]
	s_cbranch_execnz .LBB28_1139
	s_branch .LBB28_1140
.LBB28_3189:
	s_movk_i32 s4, 0x80
	v_cmp_eq_u16_e32 vcc, s4, v11
	s_mov_b64 s[4:5], -1
                                        ; implicit-def: $sgpr10
	s_and_saveexec_b64 s[8:9], vcc
; %bb.3190:
	s_mov_b32 s10, 0x7f800001
	s_xor_b64 s[4:5], exec, -1
; %bb.3191:
	s_or_b64 exec, exec, s[8:9]
	s_and_b64 s[4:5], s[4:5], exec
                                        ; implicit-def: $vgpr11
	s_or_saveexec_b64 s[6:7], s[6:7]
	v_mov_b32_e32 v12, s10
	s_xor_b64 exec, exec, s[6:7]
	s_cbranch_execz .LBB28_1142
.LBB28_3192:
	v_cmp_ne_u16_e32 vcc, 0, v11
	s_andn2_b64 s[4:5], s[4:5], exec
	s_and_b64 s[8:9], vcc, exec
	v_mov_b32_e32 v12, 0
	s_or_b64 s[4:5], s[4:5], s[8:9]
	s_or_b64 exec, exec, s[6:7]
	s_and_saveexec_b64 s[6:7], s[4:5]
	s_cbranch_execnz .LBB28_1143
	s_branch .LBB28_1144
.LBB28_3193:
	s_movk_i32 s4, 0x80
	v_cmp_eq_u16_sdwa s[12:13], v17, s4 src0_sel:BYTE_3 src1_sel:DWORD
	s_mov_b64 s[4:5], -1
                                        ; implicit-def: $sgpr10
	s_and_saveexec_b64 s[8:9], s[12:13]
; %bb.3194:
	s_mov_b32 s10, 0x7f800001
	s_xor_b64 s[4:5], exec, -1
; %bb.3195:
	s_or_b64 exec, exec, s[8:9]
	s_and_b64 s[4:5], s[4:5], exec
	s_or_saveexec_b64 s[6:7], s[6:7]
	v_mov_b32_e32 v10, s10
	s_xor_b64 exec, exec, s[6:7]
	s_cbranch_execz .LBB28_1146
.LBB28_3196:
	v_mov_b32_e32 v10, 0
	v_cmp_ne_u16_sdwa s[8:9], v17, v10 src0_sel:BYTE_3 src1_sel:DWORD
	s_andn2_b64 s[4:5], s[4:5], exec
	s_and_b64 s[8:9], s[8:9], exec
	s_or_b64 s[4:5], s[4:5], s[8:9]
	s_or_b64 exec, exec, s[6:7]
	s_and_saveexec_b64 s[6:7], s[4:5]
	s_cbranch_execnz .LBB28_1147
	s_branch .LBB28_1148
.LBB28_3197:
	s_movk_i32 s4, 0x80
	v_cmp_eq_u16_sdwa s[12:13], v13, s4 src0_sel:BYTE_3 src1_sel:DWORD
	s_mov_b64 s[4:5], -1
                                        ; implicit-def: $sgpr10
	s_and_saveexec_b64 s[8:9], s[12:13]
; %bb.3198:
	s_mov_b32 s10, 0x7f800001
	s_xor_b64 s[4:5], exec, -1
; %bb.3199:
	s_or_b64 exec, exec, s[8:9]
	s_and_b64 s[4:5], s[4:5], exec
	s_or_saveexec_b64 s[6:7], s[6:7]
	v_mov_b32_e32 v11, s10
	s_xor_b64 exec, exec, s[6:7]
	s_cbranch_execz .LBB28_1150
.LBB28_3200:
	v_mov_b32_e32 v11, 0
	v_cmp_ne_u16_sdwa s[8:9], v13, v11 src0_sel:BYTE_3 src1_sel:DWORD
	s_andn2_b64 s[4:5], s[4:5], exec
	s_and_b64 s[8:9], s[8:9], exec
	s_or_b64 s[4:5], s[4:5], s[8:9]
	s_or_b64 exec, exec, s[6:7]
	s_and_saveexec_b64 s[6:7], s[4:5]
	s_cbranch_execnz .LBB28_1151
	s_branch .LBB28_1152
.LBB28_3201:
	s_movk_i32 s4, 0x80
	v_cmp_eq_u16_sdwa s[12:13], v6, s4 src0_sel:BYTE_0 src1_sel:DWORD
	s_mov_b64 s[4:5], -1
                                        ; implicit-def: $sgpr10
	s_and_saveexec_b64 s[8:9], s[12:13]
; %bb.3202:
	s_mov_b32 s10, 0x7f800001
	s_xor_b64 s[4:5], exec, -1
; %bb.3203:
	s_or_b64 exec, exec, s[8:9]
	s_and_b64 s[4:5], s[4:5], exec
	s_or_saveexec_b64 s[6:7], s[6:7]
	v_mov_b32_e32 v10, s10
	s_xor_b64 exec, exec, s[6:7]
	s_cbranch_execz .LBB28_1154
.LBB28_3204:
	v_mov_b32_e32 v10, 0
	v_cmp_ne_u16_sdwa s[8:9], v6, v10 src0_sel:BYTE_0 src1_sel:DWORD
	s_andn2_b64 s[4:5], s[4:5], exec
	s_and_b64 s[8:9], s[8:9], exec
	s_or_b64 s[4:5], s[4:5], s[8:9]
	s_or_b64 exec, exec, s[6:7]
	s_and_saveexec_b64 s[6:7], s[4:5]
	s_cbranch_execnz .LBB28_1155
	s_branch .LBB28_1156
.LBB28_3205:
	s_movk_i32 s4, 0x80
	v_cmp_eq_u16_sdwa s[12:13], v2, s4 src0_sel:BYTE_0 src1_sel:DWORD
	s_mov_b64 s[4:5], -1
                                        ; implicit-def: $sgpr10
	s_and_saveexec_b64 s[8:9], s[12:13]
; %bb.3206:
	s_mov_b32 s10, 0x7f800001
	s_xor_b64 s[4:5], exec, -1
; %bb.3207:
	s_or_b64 exec, exec, s[8:9]
	s_and_b64 s[4:5], s[4:5], exec
	s_or_saveexec_b64 s[6:7], s[6:7]
	v_mov_b32_e32 v11, s10
	s_xor_b64 exec, exec, s[6:7]
	s_cbranch_execz .LBB28_1158
.LBB28_3208:
	v_mov_b32_e32 v11, 0
	v_cmp_ne_u16_sdwa s[8:9], v2, v11 src0_sel:BYTE_0 src1_sel:DWORD
	s_andn2_b64 s[4:5], s[4:5], exec
	s_and_b64 s[8:9], s[8:9], exec
	s_or_b64 s[4:5], s[4:5], s[8:9]
	s_or_b64 exec, exec, s[6:7]
	s_and_saveexec_b64 s[6:7], s[4:5]
	s_cbranch_execnz .LBB28_1159
	s_branch .LBB28_1160
.LBB28_3209:
	s_movk_i32 s4, 0x80
	v_cmp_eq_u16_sdwa s[12:13], v11, s4 src0_sel:BYTE_0 src1_sel:DWORD
	s_mov_b64 s[4:5], -1
                                        ; implicit-def: $sgpr10
	s_and_saveexec_b64 s[8:9], s[12:13]
; %bb.3210:
	s_mov_b32 s10, 0x7f800001
	s_xor_b64 s[4:5], exec, -1
; %bb.3211:
	s_or_b64 exec, exec, s[8:9]
	s_and_b64 s[4:5], s[4:5], exec
	s_or_saveexec_b64 s[6:7], s[6:7]
	v_mov_b32_e32 v10, s10
	s_xor_b64 exec, exec, s[6:7]
	s_cbranch_execz .LBB28_1162
.LBB28_3212:
	v_mov_b32_e32 v10, 0
	v_cmp_ne_u16_sdwa s[8:9], v11, v10 src0_sel:BYTE_0 src1_sel:DWORD
	s_andn2_b64 s[4:5], s[4:5], exec
	s_and_b64 s[8:9], s[8:9], exec
	s_or_b64 s[4:5], s[4:5], s[8:9]
	s_or_b64 exec, exec, s[6:7]
	s_and_saveexec_b64 s[6:7], s[4:5]
	s_cbranch_execnz .LBB28_1163
	s_branch .LBB28_1164
.LBB28_3213:
	s_movk_i32 s4, 0x80
	v_cmp_eq_u16_sdwa s[12:13], v11, s4 src0_sel:BYTE_0 src1_sel:DWORD
	s_mov_b64 s[4:5], -1
                                        ; implicit-def: $sgpr10
	s_and_saveexec_b64 s[8:9], s[12:13]
; %bb.3214:
	s_mov_b32 s10, 0x7f800001
	s_xor_b64 s[4:5], exec, -1
; %bb.3215:
	s_or_b64 exec, exec, s[8:9]
	s_and_b64 s[4:5], s[4:5], exec
	s_or_saveexec_b64 s[6:7], s[6:7]
	v_mov_b32_e32 v12, s10
	s_xor_b64 exec, exec, s[6:7]
	s_cbranch_execz .LBB28_1166
.LBB28_3216:
	v_mov_b32_e32 v12, 0
	v_cmp_ne_u16_sdwa s[8:9], v11, v12 src0_sel:BYTE_0 src1_sel:DWORD
	s_andn2_b64 s[4:5], s[4:5], exec
	s_and_b64 s[8:9], s[8:9], exec
	s_or_b64 s[4:5], s[4:5], s[8:9]
	s_or_b64 exec, exec, s[6:7]
	s_and_saveexec_b64 s[6:7], s[4:5]
	s_cbranch_execnz .LBB28_1167
	s_branch .LBB28_1168
.LBB28_3217:
	s_movk_i32 s4, 0x80
	v_cmp_eq_u16_e32 vcc, s4, v11
	s_mov_b64 s[4:5], -1
                                        ; implicit-def: $sgpr10
	s_and_saveexec_b64 s[8:9], vcc
; %bb.3218:
	s_mov_b32 s10, 0x7f800001
	s_xor_b64 s[4:5], exec, -1
; %bb.3219:
	s_or_b64 exec, exec, s[8:9]
	s_and_b64 s[4:5], s[4:5], exec
                                        ; implicit-def: $vgpr11
	s_or_saveexec_b64 s[6:7], s[6:7]
	v_mov_b32_e32 v10, s10
	s_xor_b64 exec, exec, s[6:7]
	s_cbranch_execz .LBB28_1170
.LBB28_3220:
	v_cmp_ne_u16_e32 vcc, 0, v11
	s_andn2_b64 s[4:5], s[4:5], exec
	s_and_b64 s[8:9], vcc, exec
	v_mov_b32_e32 v10, 0
	s_or_b64 s[4:5], s[4:5], s[8:9]
	s_or_b64 exec, exec, s[6:7]
	s_and_saveexec_b64 s[6:7], s[4:5]
	s_cbranch_execnz .LBB28_1171
	s_branch .LBB28_1172
.LBB28_3221:
	s_movk_i32 s4, 0x80
	v_cmp_eq_u16_e32 vcc, s4, v11
	s_mov_b64 s[4:5], -1
                                        ; implicit-def: $sgpr10
	s_and_saveexec_b64 s[8:9], vcc
; %bb.3222:
	s_mov_b32 s10, 0x7f800001
	s_xor_b64 s[4:5], exec, -1
; %bb.3223:
	s_or_b64 exec, exec, s[8:9]
	s_and_b64 s[4:5], s[4:5], exec
                                        ; implicit-def: $vgpr11
	s_or_saveexec_b64 s[6:7], s[6:7]
	v_mov_b32_e32 v12, s10
	s_xor_b64 exec, exec, s[6:7]
	s_cbranch_execz .LBB28_1174
.LBB28_3224:
	v_cmp_ne_u16_e32 vcc, 0, v11
	s_andn2_b64 s[4:5], s[4:5], exec
	s_and_b64 s[8:9], vcc, exec
	v_mov_b32_e32 v12, 0
	s_or_b64 s[4:5], s[4:5], s[8:9]
	s_or_b64 exec, exec, s[6:7]
	s_and_saveexec_b64 s[6:7], s[4:5]
	s_cbranch_execnz .LBB28_1175
	s_branch .LBB28_1176
.LBB28_3225:
	s_movk_i32 s4, 0x80
	v_cmp_eq_u16_sdwa s[12:13], v6, s4 src0_sel:BYTE_3 src1_sel:DWORD
	s_mov_b64 s[4:5], -1
                                        ; implicit-def: $sgpr10
	s_and_saveexec_b64 s[8:9], s[12:13]
; %bb.3226:
	s_mov_b32 s10, 0x7f800001
	s_xor_b64 s[4:5], exec, -1
; %bb.3227:
	s_or_b64 exec, exec, s[8:9]
	s_and_b64 s[4:5], s[4:5], exec
	s_or_saveexec_b64 s[6:7], s[6:7]
	v_mov_b32_e32 v10, s10
	s_xor_b64 exec, exec, s[6:7]
	s_cbranch_execz .LBB28_1178
.LBB28_3228:
	v_mov_b32_e32 v10, 0
	v_cmp_ne_u16_sdwa s[8:9], v6, v10 src0_sel:BYTE_3 src1_sel:DWORD
	s_andn2_b64 s[4:5], s[4:5], exec
	s_and_b64 s[8:9], s[8:9], exec
	s_or_b64 s[4:5], s[4:5], s[8:9]
	s_or_b64 exec, exec, s[6:7]
	s_and_saveexec_b64 s[6:7], s[4:5]
	s_cbranch_execnz .LBB28_1179
	s_branch .LBB28_1180
.LBB28_3229:
	s_movk_i32 s4, 0x80
	v_cmp_eq_u16_sdwa s[12:13], v2, s4 src0_sel:BYTE_3 src1_sel:DWORD
	s_mov_b64 s[4:5], -1
                                        ; implicit-def: $sgpr10
	s_and_saveexec_b64 s[8:9], s[12:13]
; %bb.3230:
	s_mov_b32 s10, 0x7f800001
	s_xor_b64 s[4:5], exec, -1
; %bb.3231:
	s_or_b64 exec, exec, s[8:9]
	s_and_b64 s[4:5], s[4:5], exec
	s_or_saveexec_b64 s[6:7], s[6:7]
	v_mov_b32_e32 v6, s10
	s_xor_b64 exec, exec, s[6:7]
	s_cbranch_execz .LBB28_1182
.LBB28_3232:
	v_mov_b32_e32 v6, 0
	v_cmp_ne_u16_sdwa s[8:9], v2, v6 src0_sel:BYTE_3 src1_sel:DWORD
	s_andn2_b64 s[4:5], s[4:5], exec
	s_and_b64 s[8:9], s[8:9], exec
	s_or_b64 s[4:5], s[4:5], s[8:9]
	s_or_b64 exec, exec, s[6:7]
	s_and_saveexec_b64 s[6:7], s[4:5]
	s_cbranch_execnz .LBB28_1183
	s_branch .LBB28_1184
.LBB28_3233:
	s_movk_i32 s4, 0x80
	v_cmp_eq_u16_sdwa s[12:13], v7, s4 src0_sel:BYTE_0 src1_sel:DWORD
	s_mov_b64 s[4:5], -1
                                        ; implicit-def: $sgpr10
	s_and_saveexec_b64 s[8:9], s[12:13]
; %bb.3234:
	s_mov_b32 s10, 0x7f800001
	s_xor_b64 s[4:5], exec, -1
; %bb.3235:
	s_or_b64 exec, exec, s[8:9]
	s_and_b64 s[4:5], s[4:5], exec
	s_or_saveexec_b64 s[6:7], s[6:7]
	v_mov_b32_e32 v2, s10
	s_xor_b64 exec, exec, s[6:7]
	s_cbranch_execz .LBB28_1186
.LBB28_3236:
	v_mov_b32_e32 v2, 0
	v_cmp_ne_u16_sdwa s[8:9], v7, v2 src0_sel:BYTE_0 src1_sel:DWORD
	s_andn2_b64 s[4:5], s[4:5], exec
	s_and_b64 s[8:9], s[8:9], exec
	s_or_b64 s[4:5], s[4:5], s[8:9]
	s_or_b64 exec, exec, s[6:7]
	s_and_saveexec_b64 s[6:7], s[4:5]
	s_cbranch_execnz .LBB28_1187
	s_branch .LBB28_1188
.LBB28_3237:
	s_movk_i32 s4, 0x80
	v_cmp_eq_u16_sdwa s[12:13], v3, s4 src0_sel:BYTE_0 src1_sel:DWORD
	s_mov_b64 s[4:5], -1
                                        ; implicit-def: $sgpr10
	s_and_saveexec_b64 s[8:9], s[12:13]
; %bb.3238:
	s_mov_b32 s10, 0x7f800001
	s_xor_b64 s[4:5], exec, -1
; %bb.3239:
	s_or_b64 exec, exec, s[8:9]
	s_and_b64 s[4:5], s[4:5], exec
	s_or_saveexec_b64 s[6:7], s[6:7]
	v_mov_b32_e32 v6, s10
	s_xor_b64 exec, exec, s[6:7]
	s_cbranch_execz .LBB28_1190
.LBB28_3240:
	v_mov_b32_e32 v6, 0
	v_cmp_ne_u16_sdwa s[8:9], v3, v6 src0_sel:BYTE_0 src1_sel:DWORD
	s_andn2_b64 s[4:5], s[4:5], exec
	s_and_b64 s[8:9], s[8:9], exec
	s_or_b64 s[4:5], s[4:5], s[8:9]
	s_or_b64 exec, exec, s[6:7]
	s_and_saveexec_b64 s[6:7], s[4:5]
	s_cbranch_execnz .LBB28_1191
	s_branch .LBB28_1192
.LBB28_3241:
	s_movk_i32 s4, 0x80
	v_cmp_eq_u16_sdwa s[12:13], v6, s4 src0_sel:BYTE_0 src1_sel:DWORD
	s_mov_b64 s[4:5], -1
                                        ; implicit-def: $sgpr10
	s_and_saveexec_b64 s[8:9], s[12:13]
; %bb.3242:
	s_mov_b32 s10, 0x7f800001
	s_xor_b64 s[4:5], exec, -1
; %bb.3243:
	s_or_b64 exec, exec, s[8:9]
	s_and_b64 s[4:5], s[4:5], exec
	s_or_saveexec_b64 s[6:7], s[6:7]
	v_mov_b32_e32 v2, s10
	s_xor_b64 exec, exec, s[6:7]
	s_cbranch_execz .LBB28_1194
.LBB28_3244:
	v_mov_b32_e32 v2, 0
	v_cmp_ne_u16_sdwa s[8:9], v6, v2 src0_sel:BYTE_0 src1_sel:DWORD
	s_andn2_b64 s[4:5], s[4:5], exec
	s_and_b64 s[8:9], s[8:9], exec
	s_or_b64 s[4:5], s[4:5], s[8:9]
	s_or_b64 exec, exec, s[6:7]
	s_and_saveexec_b64 s[6:7], s[4:5]
	s_cbranch_execnz .LBB28_1195
	s_branch .LBB28_1196
.LBB28_3245:
	s_movk_i32 s4, 0x80
	v_cmp_eq_u16_sdwa s[12:13], v6, s4 src0_sel:BYTE_0 src1_sel:DWORD
	s_mov_b64 s[4:5], -1
                                        ; implicit-def: $sgpr10
	s_and_saveexec_b64 s[8:9], s[12:13]
; %bb.3246:
	s_mov_b32 s10, 0x7f800001
	s_xor_b64 s[4:5], exec, -1
; %bb.3247:
	s_or_b64 exec, exec, s[8:9]
	s_and_b64 s[4:5], s[4:5], exec
	s_or_saveexec_b64 s[6:7], s[6:7]
	v_mov_b32_e32 v10, s10
	s_xor_b64 exec, exec, s[6:7]
	s_cbranch_execz .LBB28_1198
.LBB28_3248:
	v_mov_b32_e32 v10, 0
	v_cmp_ne_u16_sdwa s[8:9], v6, v10 src0_sel:BYTE_0 src1_sel:DWORD
	s_andn2_b64 s[4:5], s[4:5], exec
	s_and_b64 s[8:9], s[8:9], exec
	s_or_b64 s[4:5], s[4:5], s[8:9]
	s_or_b64 exec, exec, s[6:7]
	s_and_saveexec_b64 s[6:7], s[4:5]
	s_cbranch_execnz .LBB28_1199
	s_branch .LBB28_1200
.LBB28_3249:
	s_movk_i32 s4, 0x80
	v_cmp_eq_u16_e32 vcc, s4, v6
	s_mov_b64 s[4:5], -1
                                        ; implicit-def: $sgpr10
	s_and_saveexec_b64 s[8:9], vcc
; %bb.3250:
	s_mov_b32 s10, 0x7f800001
	s_xor_b64 s[4:5], exec, -1
; %bb.3251:
	s_or_b64 exec, exec, s[8:9]
	s_and_b64 s[4:5], s[4:5], exec
                                        ; implicit-def: $vgpr6
	s_or_saveexec_b64 s[6:7], s[6:7]
	v_mov_b32_e32 v2, s10
	s_xor_b64 exec, exec, s[6:7]
	s_cbranch_execz .LBB28_1202
.LBB28_3252:
	v_cmp_ne_u16_e32 vcc, 0, v6
	s_andn2_b64 s[4:5], s[4:5], exec
	s_and_b64 s[8:9], vcc, exec
	v_mov_b32_e32 v2, 0
	s_or_b64 s[4:5], s[4:5], s[8:9]
	s_or_b64 exec, exec, s[6:7]
	s_and_saveexec_b64 s[6:7], s[4:5]
	s_cbranch_execnz .LBB28_1203
	s_branch .LBB28_1204
.LBB28_3253:
	s_movk_i32 s4, 0x80
	v_cmp_eq_u16_e32 vcc, s4, v6
	s_mov_b64 s[4:5], -1
                                        ; implicit-def: $sgpr10
	s_and_saveexec_b64 s[8:9], vcc
; %bb.3254:
	s_mov_b32 s10, 0x7f800001
	s_xor_b64 s[4:5], exec, -1
; %bb.3255:
	s_or_b64 exec, exec, s[8:9]
	s_and_b64 s[4:5], s[4:5], exec
                                        ; implicit-def: $vgpr6
	s_or_saveexec_b64 s[6:7], s[6:7]
	v_mov_b32_e32 v10, s10
	s_xor_b64 exec, exec, s[6:7]
	s_cbranch_execz .LBB28_1206
.LBB28_3256:
	v_cmp_ne_u16_e32 vcc, 0, v6
	s_andn2_b64 s[4:5], s[4:5], exec
	s_and_b64 s[8:9], vcc, exec
	v_mov_b32_e32 v10, 0
	s_or_b64 s[4:5], s[4:5], s[8:9]
	s_or_b64 exec, exec, s[6:7]
	s_and_saveexec_b64 s[6:7], s[4:5]
	s_cbranch_execnz .LBB28_1207
	s_branch .LBB28_1208
.LBB28_3257:
	s_movk_i32 s4, 0x80
	v_cmp_eq_u16_sdwa s[12:13], v7, s4 src0_sel:BYTE_3 src1_sel:DWORD
	s_mov_b64 s[4:5], -1
                                        ; implicit-def: $sgpr10
	s_and_saveexec_b64 s[8:9], s[12:13]
; %bb.3258:
	s_mov_b32 s10, 0x7f800001
	s_xor_b64 s[4:5], exec, -1
; %bb.3259:
	s_or_b64 exec, exec, s[8:9]
	s_and_b64 s[4:5], s[4:5], exec
	s_or_saveexec_b64 s[6:7], s[6:7]
	v_mov_b32_e32 v2, s10
	s_xor_b64 exec, exec, s[6:7]
	s_cbranch_execz .LBB28_1210
.LBB28_3260:
	v_mov_b32_e32 v2, 0
	v_cmp_ne_u16_sdwa s[8:9], v7, v2 src0_sel:BYTE_3 src1_sel:DWORD
	s_andn2_b64 s[4:5], s[4:5], exec
	s_and_b64 s[8:9], s[8:9], exec
	s_or_b64 s[4:5], s[4:5], s[8:9]
	s_or_b64 exec, exec, s[6:7]
	s_and_saveexec_b64 s[6:7], s[4:5]
	s_cbranch_execnz .LBB28_1211
	s_branch .LBB28_1212
.LBB28_3261:
	s_movk_i32 s4, 0x80
	v_cmp_eq_u16_sdwa s[12:13], v3, s4 src0_sel:BYTE_3 src1_sel:DWORD
	s_mov_b64 s[4:5], -1
                                        ; implicit-def: $sgpr10
	s_and_saveexec_b64 s[8:9], s[12:13]
; %bb.3262:
	s_mov_b32 s10, 0x7f800001
	s_xor_b64 s[4:5], exec, -1
; %bb.3263:
	s_or_b64 exec, exec, s[8:9]
	s_and_b64 s[4:5], s[4:5], exec
	s_or_saveexec_b64 s[6:7], s[6:7]
	v_mov_b32_e32 v6, s10
	s_xor_b64 exec, exec, s[6:7]
	s_cbranch_execz .LBB28_1214
.LBB28_3264:
	v_mov_b32_e32 v6, 0
	v_cmp_ne_u16_sdwa s[8:9], v3, v6 src0_sel:BYTE_3 src1_sel:DWORD
	s_andn2_b64 s[4:5], s[4:5], exec
	s_and_b64 s[8:9], s[8:9], exec
	s_or_b64 s[4:5], s[4:5], s[8:9]
	s_or_b64 exec, exec, s[6:7]
	s_and_saveexec_b64 s[6:7], s[4:5]
	s_cbranch_execnz .LBB28_1215
	s_branch .LBB28_1216
.LBB28_3265:
	s_movk_i32 s4, 0x80
	v_cmp_eq_u16_sdwa s[12:13], v8, s4 src0_sel:BYTE_0 src1_sel:DWORD
	s_mov_b64 s[4:5], -1
                                        ; implicit-def: $sgpr10
	s_and_saveexec_b64 s[8:9], s[12:13]
; %bb.3266:
	s_mov_b32 s10, 0x7f800001
	s_xor_b64 s[4:5], exec, -1
; %bb.3267:
	s_or_b64 exec, exec, s[8:9]
	s_and_b64 s[4:5], s[4:5], exec
	s_or_saveexec_b64 s[6:7], s[6:7]
	v_mov_b32_e32 v2, s10
	s_xor_b64 exec, exec, s[6:7]
	s_cbranch_execz .LBB28_1218
.LBB28_3268:
	v_mov_b32_e32 v2, 0
	v_cmp_ne_u16_sdwa s[8:9], v8, v2 src0_sel:BYTE_0 src1_sel:DWORD
	s_andn2_b64 s[4:5], s[4:5], exec
	s_and_b64 s[8:9], s[8:9], exec
	s_or_b64 s[4:5], s[4:5], s[8:9]
	s_or_b64 exec, exec, s[6:7]
	s_and_saveexec_b64 s[6:7], s[4:5]
	s_cbranch_execnz .LBB28_1219
	s_branch .LBB28_1220
.LBB28_3269:
	s_movk_i32 s4, 0x80
	v_cmp_eq_u16_sdwa s[12:13], v4, s4 src0_sel:BYTE_0 src1_sel:DWORD
	s_mov_b64 s[4:5], -1
                                        ; implicit-def: $sgpr10
	s_and_saveexec_b64 s[8:9], s[12:13]
; %bb.3270:
	s_mov_b32 s10, 0x7f800001
	s_xor_b64 s[4:5], exec, -1
; %bb.3271:
	s_or_b64 exec, exec, s[8:9]
	s_and_b64 s[4:5], s[4:5], exec
	s_or_saveexec_b64 s[6:7], s[6:7]
	v_mov_b32_e32 v3, s10
	s_xor_b64 exec, exec, s[6:7]
	s_cbranch_execz .LBB28_1222
.LBB28_3272:
	v_mov_b32_e32 v3, 0
	v_cmp_ne_u16_sdwa s[8:9], v4, v3 src0_sel:BYTE_0 src1_sel:DWORD
	s_andn2_b64 s[4:5], s[4:5], exec
	s_and_b64 s[8:9], s[8:9], exec
	s_or_b64 s[4:5], s[4:5], s[8:9]
	s_or_b64 exec, exec, s[6:7]
	s_and_saveexec_b64 s[6:7], s[4:5]
	s_cbranch_execnz .LBB28_1223
	s_branch .LBB28_1224
.LBB28_3273:
	s_movk_i32 s4, 0x80
	v_cmp_eq_u16_sdwa s[12:13], v3, s4 src0_sel:BYTE_0 src1_sel:DWORD
	s_mov_b64 s[4:5], -1
                                        ; implicit-def: $sgpr10
	s_and_saveexec_b64 s[8:9], s[12:13]
; %bb.3274:
	s_mov_b32 s10, 0x7f800001
	s_xor_b64 s[4:5], exec, -1
; %bb.3275:
	s_or_b64 exec, exec, s[8:9]
	s_and_b64 s[4:5], s[4:5], exec
	s_or_saveexec_b64 s[6:7], s[6:7]
	v_mov_b32_e32 v2, s10
	s_xor_b64 exec, exec, s[6:7]
	s_cbranch_execz .LBB28_1226
.LBB28_3276:
	v_mov_b32_e32 v2, 0
	v_cmp_ne_u16_sdwa s[8:9], v3, v2 src0_sel:BYTE_0 src1_sel:DWORD
	s_andn2_b64 s[4:5], s[4:5], exec
	s_and_b64 s[8:9], s[8:9], exec
	s_or_b64 s[4:5], s[4:5], s[8:9]
	s_or_b64 exec, exec, s[6:7]
	s_and_saveexec_b64 s[6:7], s[4:5]
	s_cbranch_execnz .LBB28_1227
	s_branch .LBB28_1228
.LBB28_3277:
	s_movk_i32 s4, 0x80
	v_cmp_eq_u16_sdwa s[12:13], v3, s4 src0_sel:BYTE_0 src1_sel:DWORD
	s_mov_b64 s[4:5], -1
                                        ; implicit-def: $sgpr10
	s_and_saveexec_b64 s[8:9], s[12:13]
; %bb.3278:
	s_mov_b32 s10, 0x7f800001
	s_xor_b64 s[4:5], exec, -1
; %bb.3279:
	s_or_b64 exec, exec, s[8:9]
	s_and_b64 s[4:5], s[4:5], exec
	s_or_saveexec_b64 s[6:7], s[6:7]
	v_mov_b32_e32 v6, s10
	s_xor_b64 exec, exec, s[6:7]
	s_cbranch_execz .LBB28_1230
.LBB28_3280:
	v_mov_b32_e32 v6, 0
	v_cmp_ne_u16_sdwa s[8:9], v3, v6 src0_sel:BYTE_0 src1_sel:DWORD
	s_andn2_b64 s[4:5], s[4:5], exec
	s_and_b64 s[8:9], s[8:9], exec
	s_or_b64 s[4:5], s[4:5], s[8:9]
	s_or_b64 exec, exec, s[6:7]
	s_and_saveexec_b64 s[6:7], s[4:5]
	s_cbranch_execnz .LBB28_1231
	s_branch .LBB28_1232
.LBB28_3281:
	s_movk_i32 s4, 0x80
	v_cmp_eq_u16_e32 vcc, s4, v3
	s_mov_b64 s[4:5], -1
                                        ; implicit-def: $sgpr10
	s_and_saveexec_b64 s[8:9], vcc
; %bb.3282:
	s_mov_b32 s10, 0x7f800001
	s_xor_b64 s[4:5], exec, -1
; %bb.3283:
	s_or_b64 exec, exec, s[8:9]
	s_and_b64 s[4:5], s[4:5], exec
                                        ; implicit-def: $vgpr3
	s_or_saveexec_b64 s[6:7], s[6:7]
	v_mov_b32_e32 v2, s10
	s_xor_b64 exec, exec, s[6:7]
	s_cbranch_execz .LBB28_1234
.LBB28_3284:
	v_cmp_ne_u16_e32 vcc, 0, v3
	s_andn2_b64 s[4:5], s[4:5], exec
	s_and_b64 s[8:9], vcc, exec
	v_mov_b32_e32 v2, 0
	s_or_b64 s[4:5], s[4:5], s[8:9]
	s_or_b64 exec, exec, s[6:7]
	s_and_saveexec_b64 s[6:7], s[4:5]
	s_cbranch_execnz .LBB28_1235
	s_branch .LBB28_1236
.LBB28_3285:
	s_movk_i32 s4, 0x80
	v_cmp_eq_u16_e32 vcc, s4, v3
	s_mov_b64 s[4:5], -1
                                        ; implicit-def: $sgpr10
	s_and_saveexec_b64 s[8:9], vcc
; %bb.3286:
	s_mov_b32 s10, 0x7f800001
	s_xor_b64 s[4:5], exec, -1
; %bb.3287:
	s_or_b64 exec, exec, s[8:9]
	s_and_b64 s[4:5], s[4:5], exec
                                        ; implicit-def: $vgpr3
	s_or_saveexec_b64 s[6:7], s[6:7]
	v_mov_b32_e32 v6, s10
	s_xor_b64 exec, exec, s[6:7]
	s_cbranch_execz .LBB28_1238
.LBB28_3288:
	v_cmp_ne_u16_e32 vcc, 0, v3
	s_andn2_b64 s[4:5], s[4:5], exec
	s_and_b64 s[8:9], vcc, exec
	v_mov_b32_e32 v6, 0
	s_or_b64 s[4:5], s[4:5], s[8:9]
	s_or_b64 exec, exec, s[6:7]
	s_and_saveexec_b64 s[6:7], s[4:5]
	s_cbranch_execnz .LBB28_1239
	s_branch .LBB28_1240
.LBB28_3289:
	s_movk_i32 s4, 0x80
	v_cmp_eq_u16_sdwa s[12:13], v8, s4 src0_sel:BYTE_3 src1_sel:DWORD
	s_mov_b64 s[4:5], -1
                                        ; implicit-def: $sgpr10
	s_and_saveexec_b64 s[8:9], s[12:13]
; %bb.3290:
	s_mov_b32 s10, 0x7f800001
	s_xor_b64 s[4:5], exec, -1
; %bb.3291:
	s_or_b64 exec, exec, s[8:9]
	s_and_b64 s[4:5], s[4:5], exec
	s_or_saveexec_b64 s[6:7], s[6:7]
	v_mov_b32_e32 v2, s10
	s_xor_b64 exec, exec, s[6:7]
	s_cbranch_execz .LBB28_1242
.LBB28_3292:
	v_mov_b32_e32 v2, 0
	v_cmp_ne_u16_sdwa s[8:9], v8, v2 src0_sel:BYTE_3 src1_sel:DWORD
	s_andn2_b64 s[4:5], s[4:5], exec
	s_and_b64 s[8:9], s[8:9], exec
	s_or_b64 s[4:5], s[4:5], s[8:9]
	s_or_b64 exec, exec, s[6:7]
	s_and_saveexec_b64 s[6:7], s[4:5]
	s_cbranch_execnz .LBB28_1243
	s_branch .LBB28_1244
.LBB28_3293:
	s_movk_i32 s4, 0x80
	v_cmp_eq_u16_sdwa s[12:13], v4, s4 src0_sel:BYTE_3 src1_sel:DWORD
	s_mov_b64 s[4:5], -1
                                        ; implicit-def: $sgpr10
	s_and_saveexec_b64 s[8:9], s[12:13]
; %bb.3294:
	s_mov_b32 s10, 0x7f800001
	s_xor_b64 s[4:5], exec, -1
; %bb.3295:
	s_or_b64 exec, exec, s[8:9]
	s_and_b64 s[4:5], s[4:5], exec
	s_or_saveexec_b64 s[6:7], s[6:7]
	v_mov_b32_e32 v3, s10
	s_xor_b64 exec, exec, s[6:7]
	s_cbranch_execz .LBB28_1246
.LBB28_3296:
	v_mov_b32_e32 v3, 0
	v_cmp_ne_u16_sdwa s[8:9], v4, v3 src0_sel:BYTE_3 src1_sel:DWORD
	s_andn2_b64 s[4:5], s[4:5], exec
	s_and_b64 s[8:9], s[8:9], exec
	s_or_b64 s[4:5], s[4:5], s[8:9]
	s_or_b64 exec, exec, s[6:7]
	s_and_saveexec_b64 s[6:7], s[4:5]
	s_cbranch_execnz .LBB28_1247
	s_branch .LBB28_1248
.LBB28_3297:
	s_movk_i32 s4, 0x80
	v_cmp_eq_u16_sdwa s[12:13], v9, s4 src0_sel:BYTE_0 src1_sel:DWORD
	s_mov_b64 s[4:5], -1
                                        ; implicit-def: $sgpr10
	s_and_saveexec_b64 s[8:9], s[12:13]
; %bb.3298:
	s_mov_b32 s10, 0x7f800001
	s_xor_b64 s[4:5], exec, -1
; %bb.3299:
	s_or_b64 exec, exec, s[8:9]
	s_and_b64 s[4:5], s[4:5], exec
	s_or_saveexec_b64 s[6:7], s[6:7]
	v_mov_b32_e32 v2, s10
	s_xor_b64 exec, exec, s[6:7]
	s_cbranch_execz .LBB28_1250
.LBB28_3300:
	v_mov_b32_e32 v2, 0
	v_cmp_ne_u16_sdwa s[8:9], v9, v2 src0_sel:BYTE_0 src1_sel:DWORD
	s_andn2_b64 s[4:5], s[4:5], exec
	s_and_b64 s[8:9], s[8:9], exec
	s_or_b64 s[4:5], s[4:5], s[8:9]
	s_or_b64 exec, exec, s[6:7]
	s_and_saveexec_b64 s[6:7], s[4:5]
	s_cbranch_execnz .LBB28_1251
	s_branch .LBB28_1252
.LBB28_3301:
	s_movk_i32 s4, 0x80
	v_cmp_eq_u16_sdwa s[12:13], v5, s4 src0_sel:BYTE_0 src1_sel:DWORD
	s_mov_b64 s[4:5], -1
                                        ; implicit-def: $sgpr10
	s_and_saveexec_b64 s[8:9], s[12:13]
; %bb.3302:
	s_mov_b32 s10, 0x7f800001
	s_xor_b64 s[4:5], exec, -1
; %bb.3303:
	s_or_b64 exec, exec, s[8:9]
	s_and_b64 s[4:5], s[4:5], exec
	s_or_saveexec_b64 s[6:7], s[6:7]
	v_mov_b32_e32 v3, s10
	s_xor_b64 exec, exec, s[6:7]
	s_cbranch_execz .LBB28_1254
.LBB28_3304:
	v_mov_b32_e32 v3, 0
	v_cmp_ne_u16_sdwa s[8:9], v5, v3 src0_sel:BYTE_0 src1_sel:DWORD
	s_andn2_b64 s[4:5], s[4:5], exec
	s_and_b64 s[8:9], s[8:9], exec
	s_or_b64 s[4:5], s[4:5], s[8:9]
	s_or_b64 exec, exec, s[6:7]
	s_and_saveexec_b64 s[6:7], s[4:5]
	s_cbranch_execnz .LBB28_1255
	s_branch .LBB28_1256
.LBB28_3305:
	s_movk_i32 s4, 0x80
	v_cmp_eq_u16_sdwa s[12:13], v3, s4 src0_sel:BYTE_0 src1_sel:DWORD
	s_mov_b64 s[4:5], -1
                                        ; implicit-def: $sgpr10
	s_and_saveexec_b64 s[8:9], s[12:13]
; %bb.3306:
	s_mov_b32 s10, 0x7f800001
	s_xor_b64 s[4:5], exec, -1
; %bb.3307:
	s_or_b64 exec, exec, s[8:9]
	s_and_b64 s[4:5], s[4:5], exec
	s_or_saveexec_b64 s[6:7], s[6:7]
	v_mov_b32_e32 v2, s10
	s_xor_b64 exec, exec, s[6:7]
	s_cbranch_execz .LBB28_1258
.LBB28_3308:
	v_mov_b32_e32 v2, 0
	v_cmp_ne_u16_sdwa s[8:9], v3, v2 src0_sel:BYTE_0 src1_sel:DWORD
	s_andn2_b64 s[4:5], s[4:5], exec
	s_and_b64 s[8:9], s[8:9], exec
	s_or_b64 s[4:5], s[4:5], s[8:9]
	s_or_b64 exec, exec, s[6:7]
	s_and_saveexec_b64 s[6:7], s[4:5]
	s_cbranch_execnz .LBB28_1259
	s_branch .LBB28_1260
.LBB28_3309:
	s_movk_i32 s4, 0x80
	v_cmp_eq_u16_sdwa s[12:13], v3, s4 src0_sel:BYTE_0 src1_sel:DWORD
	s_mov_b64 s[4:5], -1
                                        ; implicit-def: $sgpr10
	s_and_saveexec_b64 s[8:9], s[12:13]
; %bb.3310:
	s_mov_b32 s10, 0x7f800001
	s_xor_b64 s[4:5], exec, -1
; %bb.3311:
	s_or_b64 exec, exec, s[8:9]
	s_and_b64 s[4:5], s[4:5], exec
	s_or_saveexec_b64 s[6:7], s[6:7]
	v_mov_b32_e32 v4, s10
	s_xor_b64 exec, exec, s[6:7]
	s_cbranch_execz .LBB28_1262
.LBB28_3312:
	v_mov_b32_e32 v4, 0
	v_cmp_ne_u16_sdwa s[8:9], v3, v4 src0_sel:BYTE_0 src1_sel:DWORD
	s_andn2_b64 s[4:5], s[4:5], exec
	s_and_b64 s[8:9], s[8:9], exec
	s_or_b64 s[4:5], s[4:5], s[8:9]
	s_or_b64 exec, exec, s[6:7]
	s_and_saveexec_b64 s[6:7], s[4:5]
	s_cbranch_execnz .LBB28_1263
	s_branch .LBB28_1264
.LBB28_3313:
	s_movk_i32 s4, 0x80
	v_cmp_eq_u16_e32 vcc, s4, v3
	s_mov_b64 s[4:5], -1
                                        ; implicit-def: $sgpr10
	s_and_saveexec_b64 s[8:9], vcc
; %bb.3314:
	s_mov_b32 s10, 0x7f800001
	s_xor_b64 s[4:5], exec, -1
; %bb.3315:
	s_or_b64 exec, exec, s[8:9]
	s_and_b64 s[4:5], s[4:5], exec
                                        ; implicit-def: $vgpr3
	s_or_saveexec_b64 s[6:7], s[6:7]
	v_mov_b32_e32 v2, s10
	s_xor_b64 exec, exec, s[6:7]
	s_cbranch_execz .LBB28_1266
.LBB28_3316:
	v_cmp_ne_u16_e32 vcc, 0, v3
	s_andn2_b64 s[4:5], s[4:5], exec
	s_and_b64 s[8:9], vcc, exec
	v_mov_b32_e32 v2, 0
	s_or_b64 s[4:5], s[4:5], s[8:9]
	s_or_b64 exec, exec, s[6:7]
	s_and_saveexec_b64 s[6:7], s[4:5]
	s_cbranch_execnz .LBB28_1267
	s_branch .LBB28_1268
.LBB28_3317:
	s_movk_i32 s4, 0x80
	v_cmp_eq_u16_e32 vcc, s4, v3
	s_mov_b64 s[4:5], -1
                                        ; implicit-def: $sgpr10
	s_and_saveexec_b64 s[8:9], vcc
; %bb.3318:
	s_mov_b32 s10, 0x7f800001
	s_xor_b64 s[4:5], exec, -1
; %bb.3319:
	s_or_b64 exec, exec, s[8:9]
	s_and_b64 s[4:5], s[4:5], exec
                                        ; implicit-def: $vgpr3
	s_or_saveexec_b64 s[6:7], s[6:7]
	v_mov_b32_e32 v4, s10
	s_xor_b64 exec, exec, s[6:7]
	s_cbranch_execz .LBB28_1270
.LBB28_3320:
	v_cmp_ne_u16_e32 vcc, 0, v3
	s_andn2_b64 s[4:5], s[4:5], exec
	s_and_b64 s[8:9], vcc, exec
	v_mov_b32_e32 v4, 0
	s_or_b64 s[4:5], s[4:5], s[8:9]
	s_or_b64 exec, exec, s[6:7]
	s_and_saveexec_b64 s[6:7], s[4:5]
	s_cbranch_execnz .LBB28_1271
	s_branch .LBB28_1272
.LBB28_3321:
	s_movk_i32 s4, 0x80
	v_cmp_eq_u16_sdwa s[12:13], v9, s4 src0_sel:BYTE_3 src1_sel:DWORD
	s_mov_b64 s[4:5], -1
                                        ; implicit-def: $sgpr10
	s_and_saveexec_b64 s[8:9], s[12:13]
; %bb.3322:
	s_mov_b32 s10, 0x7f800001
	s_xor_b64 s[4:5], exec, -1
; %bb.3323:
	s_or_b64 exec, exec, s[8:9]
	s_and_b64 s[4:5], s[4:5], exec
	s_or_saveexec_b64 s[6:7], s[6:7]
	v_mov_b32_e32 v2, s10
	s_xor_b64 exec, exec, s[6:7]
	s_cbranch_execz .LBB28_1274
.LBB28_3324:
	v_mov_b32_e32 v2, 0
	v_cmp_ne_u16_sdwa s[8:9], v9, v2 src0_sel:BYTE_3 src1_sel:DWORD
	s_andn2_b64 s[4:5], s[4:5], exec
	s_and_b64 s[8:9], s[8:9], exec
	s_or_b64 s[4:5], s[4:5], s[8:9]
	s_or_b64 exec, exec, s[6:7]
	s_and_saveexec_b64 s[6:7], s[4:5]
	s_cbranch_execnz .LBB28_1275
	s_branch .LBB28_1276
.LBB28_3325:
	s_movk_i32 s4, 0x80
	v_cmp_eq_u16_sdwa s[12:13], v5, s4 src0_sel:BYTE_3 src1_sel:DWORD
	s_mov_b64 s[4:5], -1
                                        ; implicit-def: $sgpr10
	s_and_saveexec_b64 s[8:9], s[12:13]
; %bb.3326:
	s_mov_b32 s10, 0x7f800001
	s_xor_b64 s[4:5], exec, -1
; %bb.3327:
	s_or_b64 exec, exec, s[8:9]
	s_and_b64 s[4:5], s[4:5], exec
	s_or_saveexec_b64 s[6:7], s[6:7]
	v_mov_b32_e32 v3, s10
	s_xor_b64 exec, exec, s[6:7]
	s_cbranch_execz .LBB28_1278
.LBB28_3328:
	v_mov_b32_e32 v3, 0
	v_cmp_ne_u16_sdwa s[8:9], v5, v3 src0_sel:BYTE_3 src1_sel:DWORD
	s_andn2_b64 s[4:5], s[4:5], exec
	s_and_b64 s[8:9], s[8:9], exec
	s_or_b64 s[4:5], s[4:5], s[8:9]
	s_or_b64 exec, exec, s[6:7]
	s_and_saveexec_b64 s[6:7], s[4:5]
	s_cbranch_execnz .LBB28_1279
	s_branch .LBB28_1280
.LBB28_3329:
	s_movk_i32 s4, 0x80
	v_cmp_eq_u16_sdwa s[12:13], v14, s4 src0_sel:BYTE_0 src1_sel:DWORD
	s_mov_b64 s[4:5], -1
                                        ; implicit-def: $sgpr10
	s_and_saveexec_b64 s[8:9], s[12:13]
; %bb.3330:
	s_mov_b32 s10, 0x7f800001
	s_xor_b64 s[4:5], exec, -1
; %bb.3331:
	s_or_b64 exec, exec, s[8:9]
	s_and_b64 s[4:5], s[4:5], exec
	s_or_saveexec_b64 s[6:7], s[6:7]
	v_mov_b32_e32 v20, s10
	s_xor_b64 exec, exec, s[6:7]
	s_cbranch_execz .LBB28_1282
.LBB28_3332:
	v_mov_b32_e32 v20, 0
	v_cmp_ne_u16_sdwa s[8:9], v14, v20 src0_sel:BYTE_0 src1_sel:DWORD
	s_andn2_b64 s[4:5], s[4:5], exec
	s_and_b64 s[8:9], s[8:9], exec
	s_or_b64 s[4:5], s[4:5], s[8:9]
	s_or_b64 exec, exec, s[6:7]
	s_and_saveexec_b64 s[6:7], s[4:5]
	s_cbranch_execnz .LBB28_1283
	s_branch .LBB28_1284
.LBB28_3333:
	s_movk_i32 s4, 0x80
	v_cmp_eq_u16_sdwa s[12:13], v10, s4 src0_sel:BYTE_0 src1_sel:DWORD
	s_mov_b64 s[4:5], -1
                                        ; implicit-def: $sgpr10
	s_and_saveexec_b64 s[8:9], s[12:13]
; %bb.3334:
	s_mov_b32 s10, 0x7f800001
	s_xor_b64 s[4:5], exec, -1
; %bb.3335:
	s_or_b64 exec, exec, s[8:9]
	s_and_b64 s[4:5], s[4:5], exec
	s_or_saveexec_b64 s[6:7], s[6:7]
	v_mov_b32_e32 v21, s10
	s_xor_b64 exec, exec, s[6:7]
	s_cbranch_execz .LBB28_1286
.LBB28_3336:
	v_mov_b32_e32 v21, 0
	v_cmp_ne_u16_sdwa s[8:9], v10, v21 src0_sel:BYTE_0 src1_sel:DWORD
	s_andn2_b64 s[4:5], s[4:5], exec
	s_and_b64 s[8:9], s[8:9], exec
	s_or_b64 s[4:5], s[4:5], s[8:9]
	s_or_b64 exec, exec, s[6:7]
	s_and_saveexec_b64 s[6:7], s[4:5]
	s_cbranch_execnz .LBB28_1287
	s_branch .LBB28_1288
.LBB28_3337:
	s_movk_i32 s4, 0x80
	v_cmp_eq_u16_sdwa s[12:13], v21, s4 src0_sel:BYTE_0 src1_sel:DWORD
	s_mov_b64 s[4:5], -1
                                        ; implicit-def: $sgpr10
	s_and_saveexec_b64 s[8:9], s[12:13]
; %bb.3338:
	s_mov_b32 s10, 0x7f800001
	s_xor_b64 s[4:5], exec, -1
; %bb.3339:
	s_or_b64 exec, exec, s[8:9]
	s_and_b64 s[4:5], s[4:5], exec
	s_or_saveexec_b64 s[6:7], s[6:7]
	v_mov_b32_e32 v20, s10
	s_xor_b64 exec, exec, s[6:7]
	s_cbranch_execz .LBB28_1290
.LBB28_3340:
	v_mov_b32_e32 v20, 0
	v_cmp_ne_u16_sdwa s[8:9], v21, v20 src0_sel:BYTE_0 src1_sel:DWORD
	s_andn2_b64 s[4:5], s[4:5], exec
	s_and_b64 s[8:9], s[8:9], exec
	s_or_b64 s[4:5], s[4:5], s[8:9]
	s_or_b64 exec, exec, s[6:7]
	s_and_saveexec_b64 s[6:7], s[4:5]
	s_cbranch_execnz .LBB28_1291
	s_branch .LBB28_1292
.LBB28_3341:
	s_movk_i32 s4, 0x80
	v_cmp_eq_u16_sdwa s[12:13], v21, s4 src0_sel:BYTE_0 src1_sel:DWORD
	s_mov_b64 s[4:5], -1
                                        ; implicit-def: $sgpr10
	s_and_saveexec_b64 s[8:9], s[12:13]
; %bb.3342:
	s_mov_b32 s10, 0x7f800001
	s_xor_b64 s[4:5], exec, -1
; %bb.3343:
	s_or_b64 exec, exec, s[8:9]
	s_and_b64 s[4:5], s[4:5], exec
	s_or_saveexec_b64 s[6:7], s[6:7]
	v_mov_b32_e32 v22, s10
	s_xor_b64 exec, exec, s[6:7]
	s_cbranch_execz .LBB28_1294
.LBB28_3344:
	v_mov_b32_e32 v22, 0
	v_cmp_ne_u16_sdwa s[8:9], v21, v22 src0_sel:BYTE_0 src1_sel:DWORD
	s_andn2_b64 s[4:5], s[4:5], exec
	s_and_b64 s[8:9], s[8:9], exec
	s_or_b64 s[4:5], s[4:5], s[8:9]
	s_or_b64 exec, exec, s[6:7]
	s_and_saveexec_b64 s[6:7], s[4:5]
	s_cbranch_execnz .LBB28_1295
	s_branch .LBB28_1296
.LBB28_3345:
	s_movk_i32 s4, 0x80
	v_cmp_eq_u16_e32 vcc, s4, v21
	s_mov_b64 s[4:5], -1
                                        ; implicit-def: $sgpr10
	s_and_saveexec_b64 s[8:9], vcc
; %bb.3346:
	s_mov_b32 s10, 0x7f800001
	s_xor_b64 s[4:5], exec, -1
; %bb.3347:
	s_or_b64 exec, exec, s[8:9]
	s_and_b64 s[4:5], s[4:5], exec
                                        ; implicit-def: $vgpr21
	s_or_saveexec_b64 s[6:7], s[6:7]
	v_mov_b32_e32 v20, s10
	s_xor_b64 exec, exec, s[6:7]
	s_cbranch_execz .LBB28_1298
.LBB28_3348:
	v_cmp_ne_u16_e32 vcc, 0, v21
	s_andn2_b64 s[4:5], s[4:5], exec
	s_and_b64 s[8:9], vcc, exec
	v_mov_b32_e32 v20, 0
	s_or_b64 s[4:5], s[4:5], s[8:9]
	s_or_b64 exec, exec, s[6:7]
	s_and_saveexec_b64 s[6:7], s[4:5]
	s_cbranch_execnz .LBB28_1299
	s_branch .LBB28_1300
.LBB28_3349:
	s_movk_i32 s4, 0x80
	v_cmp_eq_u16_e32 vcc, s4, v21
	s_mov_b64 s[4:5], -1
                                        ; implicit-def: $sgpr10
	s_and_saveexec_b64 s[8:9], vcc
; %bb.3350:
	s_mov_b32 s10, 0x7f800001
	s_xor_b64 s[4:5], exec, -1
; %bb.3351:
	s_or_b64 exec, exec, s[8:9]
	s_and_b64 s[4:5], s[4:5], exec
                                        ; implicit-def: $vgpr21
	s_or_saveexec_b64 s[6:7], s[6:7]
	v_mov_b32_e32 v22, s10
	s_xor_b64 exec, exec, s[6:7]
	s_cbranch_execz .LBB28_1302
.LBB28_3352:
	v_cmp_ne_u16_e32 vcc, 0, v21
	s_andn2_b64 s[4:5], s[4:5], exec
	s_and_b64 s[8:9], vcc, exec
	v_mov_b32_e32 v22, 0
	s_or_b64 s[4:5], s[4:5], s[8:9]
	s_or_b64 exec, exec, s[6:7]
	s_and_saveexec_b64 s[6:7], s[4:5]
	s_cbranch_execnz .LBB28_1303
	s_branch .LBB28_1304
.LBB28_3353:
	s_movk_i32 s4, 0x80
	v_cmp_eq_u16_sdwa s[12:13], v14, s4 src0_sel:BYTE_3 src1_sel:DWORD
	s_mov_b64 s[4:5], -1
                                        ; implicit-def: $sgpr10
	s_and_saveexec_b64 s[8:9], s[12:13]
; %bb.3354:
	s_mov_b32 s10, 0x7f800001
	s_xor_b64 s[4:5], exec, -1
; %bb.3355:
	s_or_b64 exec, exec, s[8:9]
	s_and_b64 s[4:5], s[4:5], exec
	s_or_saveexec_b64 s[6:7], s[6:7]
	v_mov_b32_e32 v20, s10
	s_xor_b64 exec, exec, s[6:7]
	s_cbranch_execz .LBB28_1306
.LBB28_3356:
	v_mov_b32_e32 v20, 0
	v_cmp_ne_u16_sdwa s[8:9], v14, v20 src0_sel:BYTE_3 src1_sel:DWORD
	s_andn2_b64 s[4:5], s[4:5], exec
	s_and_b64 s[8:9], s[8:9], exec
	s_or_b64 s[4:5], s[4:5], s[8:9]
	s_or_b64 exec, exec, s[6:7]
	s_and_saveexec_b64 s[6:7], s[4:5]
	s_cbranch_execnz .LBB28_1307
	s_branch .LBB28_1308
.LBB28_3357:
	s_movk_i32 s4, 0x80
	v_cmp_eq_u16_sdwa s[12:13], v10, s4 src0_sel:BYTE_3 src1_sel:DWORD
	s_mov_b64 s[4:5], -1
                                        ; implicit-def: $sgpr10
	s_and_saveexec_b64 s[8:9], s[12:13]
; %bb.3358:
	s_mov_b32 s10, 0x7f800001
	s_xor_b64 s[4:5], exec, -1
; %bb.3359:
	s_or_b64 exec, exec, s[8:9]
	s_and_b64 s[4:5], s[4:5], exec
	s_or_saveexec_b64 s[6:7], s[6:7]
	v_mov_b32_e32 v14, s10
	s_xor_b64 exec, exec, s[6:7]
	s_cbranch_execz .LBB28_1310
.LBB28_3360:
	v_mov_b32_e32 v14, 0
	v_cmp_ne_u16_sdwa s[8:9], v10, v14 src0_sel:BYTE_3 src1_sel:DWORD
	s_andn2_b64 s[4:5], s[4:5], exec
	s_and_b64 s[8:9], s[8:9], exec
	s_or_b64 s[4:5], s[4:5], s[8:9]
	s_or_b64 exec, exec, s[6:7]
	s_and_saveexec_b64 s[6:7], s[4:5]
	s_cbranch_execnz .LBB28_1311
	s_branch .LBB28_1312
.LBB28_3361:
	s_movk_i32 s4, 0x80
	v_cmp_eq_u16_sdwa s[12:13], v15, s4 src0_sel:BYTE_0 src1_sel:DWORD
	s_mov_b64 s[4:5], -1
                                        ; implicit-def: $sgpr10
	s_and_saveexec_b64 s[8:9], s[12:13]
; %bb.3362:
	s_mov_b32 s10, 0x7f800001
	s_xor_b64 s[4:5], exec, -1
; %bb.3363:
	s_or_b64 exec, exec, s[8:9]
	s_and_b64 s[4:5], s[4:5], exec
	s_or_saveexec_b64 s[6:7], s[6:7]
	v_mov_b32_e32 v10, s10
	s_xor_b64 exec, exec, s[6:7]
	s_cbranch_execz .LBB28_1314
.LBB28_3364:
	v_mov_b32_e32 v10, 0
	v_cmp_ne_u16_sdwa s[8:9], v15, v10 src0_sel:BYTE_0 src1_sel:DWORD
	s_andn2_b64 s[4:5], s[4:5], exec
	s_and_b64 s[8:9], s[8:9], exec
	s_or_b64 s[4:5], s[4:5], s[8:9]
	s_or_b64 exec, exec, s[6:7]
	s_and_saveexec_b64 s[6:7], s[4:5]
	s_cbranch_execnz .LBB28_1315
	s_branch .LBB28_1316
.LBB28_3365:
	s_movk_i32 s4, 0x80
	v_cmp_eq_u16_sdwa s[12:13], v11, s4 src0_sel:BYTE_0 src1_sel:DWORD
	s_mov_b64 s[4:5], -1
                                        ; implicit-def: $sgpr10
	s_and_saveexec_b64 s[8:9], s[12:13]
; %bb.3366:
	s_mov_b32 s10, 0x7f800001
	s_xor_b64 s[4:5], exec, -1
; %bb.3367:
	s_or_b64 exec, exec, s[8:9]
	s_and_b64 s[4:5], s[4:5], exec
	s_or_saveexec_b64 s[6:7], s[6:7]
	v_mov_b32_e32 v14, s10
	s_xor_b64 exec, exec, s[6:7]
	s_cbranch_execz .LBB28_1318
.LBB28_3368:
	v_mov_b32_e32 v14, 0
	v_cmp_ne_u16_sdwa s[8:9], v11, v14 src0_sel:BYTE_0 src1_sel:DWORD
	s_andn2_b64 s[4:5], s[4:5], exec
	s_and_b64 s[8:9], s[8:9], exec
	s_or_b64 s[4:5], s[4:5], s[8:9]
	s_or_b64 exec, exec, s[6:7]
	s_and_saveexec_b64 s[6:7], s[4:5]
	s_cbranch_execnz .LBB28_1319
	s_branch .LBB28_1320
.LBB28_3369:
	s_movk_i32 s4, 0x80
	v_cmp_eq_u16_sdwa s[12:13], v14, s4 src0_sel:BYTE_0 src1_sel:DWORD
	s_mov_b64 s[4:5], -1
                                        ; implicit-def: $sgpr10
	s_and_saveexec_b64 s[8:9], s[12:13]
; %bb.3370:
	s_mov_b32 s10, 0x7f800001
	s_xor_b64 s[4:5], exec, -1
; %bb.3371:
	s_or_b64 exec, exec, s[8:9]
	s_and_b64 s[4:5], s[4:5], exec
	s_or_saveexec_b64 s[6:7], s[6:7]
	v_mov_b32_e32 v10, s10
	s_xor_b64 exec, exec, s[6:7]
	s_cbranch_execz .LBB28_1322
.LBB28_3372:
	v_mov_b32_e32 v10, 0
	v_cmp_ne_u16_sdwa s[8:9], v14, v10 src0_sel:BYTE_0 src1_sel:DWORD
	s_andn2_b64 s[4:5], s[4:5], exec
	s_and_b64 s[8:9], s[8:9], exec
	s_or_b64 s[4:5], s[4:5], s[8:9]
	s_or_b64 exec, exec, s[6:7]
	s_and_saveexec_b64 s[6:7], s[4:5]
	s_cbranch_execnz .LBB28_1323
	s_branch .LBB28_1324
.LBB28_3373:
	s_movk_i32 s4, 0x80
	v_cmp_eq_u16_sdwa s[12:13], v14, s4 src0_sel:BYTE_0 src1_sel:DWORD
	s_mov_b64 s[4:5], -1
                                        ; implicit-def: $sgpr10
	s_and_saveexec_b64 s[8:9], s[12:13]
; %bb.3374:
	s_mov_b32 s10, 0x7f800001
	s_xor_b64 s[4:5], exec, -1
; %bb.3375:
	s_or_b64 exec, exec, s[8:9]
	s_and_b64 s[4:5], s[4:5], exec
	s_or_saveexec_b64 s[6:7], s[6:7]
	v_mov_b32_e32 v20, s10
	s_xor_b64 exec, exec, s[6:7]
	s_cbranch_execz .LBB28_1326
.LBB28_3376:
	v_mov_b32_e32 v20, 0
	v_cmp_ne_u16_sdwa s[8:9], v14, v20 src0_sel:BYTE_0 src1_sel:DWORD
	s_andn2_b64 s[4:5], s[4:5], exec
	s_and_b64 s[8:9], s[8:9], exec
	s_or_b64 s[4:5], s[4:5], s[8:9]
	s_or_b64 exec, exec, s[6:7]
	s_and_saveexec_b64 s[6:7], s[4:5]
	s_cbranch_execnz .LBB28_1327
	s_branch .LBB28_1328
.LBB28_3377:
	s_movk_i32 s4, 0x80
	v_cmp_eq_u16_e32 vcc, s4, v14
	s_mov_b64 s[4:5], -1
                                        ; implicit-def: $sgpr10
	s_and_saveexec_b64 s[8:9], vcc
; %bb.3378:
	s_mov_b32 s10, 0x7f800001
	s_xor_b64 s[4:5], exec, -1
; %bb.3379:
	s_or_b64 exec, exec, s[8:9]
	s_and_b64 s[4:5], s[4:5], exec
                                        ; implicit-def: $vgpr14
	s_or_saveexec_b64 s[6:7], s[6:7]
	v_mov_b32_e32 v10, s10
	s_xor_b64 exec, exec, s[6:7]
	s_cbranch_execz .LBB28_1330
.LBB28_3380:
	v_cmp_ne_u16_e32 vcc, 0, v14
	s_andn2_b64 s[4:5], s[4:5], exec
	s_and_b64 s[8:9], vcc, exec
	v_mov_b32_e32 v10, 0
	s_or_b64 s[4:5], s[4:5], s[8:9]
	s_or_b64 exec, exec, s[6:7]
	s_and_saveexec_b64 s[6:7], s[4:5]
	s_cbranch_execnz .LBB28_1331
	s_branch .LBB28_1332
.LBB28_3381:
	s_movk_i32 s4, 0x80
	v_cmp_eq_u16_e32 vcc, s4, v14
	s_mov_b64 s[4:5], -1
                                        ; implicit-def: $sgpr10
	s_and_saveexec_b64 s[8:9], vcc
; %bb.3382:
	s_mov_b32 s10, 0x7f800001
	s_xor_b64 s[4:5], exec, -1
; %bb.3383:
	s_or_b64 exec, exec, s[8:9]
	s_and_b64 s[4:5], s[4:5], exec
                                        ; implicit-def: $vgpr14
	s_or_saveexec_b64 s[6:7], s[6:7]
	v_mov_b32_e32 v20, s10
	s_xor_b64 exec, exec, s[6:7]
	s_cbranch_execz .LBB28_1334
.LBB28_3384:
	v_cmp_ne_u16_e32 vcc, 0, v14
	s_andn2_b64 s[4:5], s[4:5], exec
	s_and_b64 s[8:9], vcc, exec
	v_mov_b32_e32 v20, 0
	s_or_b64 s[4:5], s[4:5], s[8:9]
	s_or_b64 exec, exec, s[6:7]
	s_and_saveexec_b64 s[6:7], s[4:5]
	s_cbranch_execnz .LBB28_1335
	s_branch .LBB28_1336
.LBB28_3385:
	s_movk_i32 s4, 0x80
	v_cmp_eq_u16_sdwa s[12:13], v15, s4 src0_sel:BYTE_3 src1_sel:DWORD
	s_mov_b64 s[4:5], -1
                                        ; implicit-def: $sgpr10
	s_and_saveexec_b64 s[8:9], s[12:13]
; %bb.3386:
	s_mov_b32 s10, 0x7f800001
	s_xor_b64 s[4:5], exec, -1
; %bb.3387:
	s_or_b64 exec, exec, s[8:9]
	s_and_b64 s[4:5], s[4:5], exec
	s_or_saveexec_b64 s[6:7], s[6:7]
	v_mov_b32_e32 v10, s10
	s_xor_b64 exec, exec, s[6:7]
	s_cbranch_execz .LBB28_1338
.LBB28_3388:
	v_mov_b32_e32 v10, 0
	v_cmp_ne_u16_sdwa s[8:9], v15, v10 src0_sel:BYTE_3 src1_sel:DWORD
	s_andn2_b64 s[4:5], s[4:5], exec
	s_and_b64 s[8:9], s[8:9], exec
	s_or_b64 s[4:5], s[4:5], s[8:9]
	s_or_b64 exec, exec, s[6:7]
	s_and_saveexec_b64 s[6:7], s[4:5]
	s_cbranch_execnz .LBB28_1339
	s_branch .LBB28_1340
.LBB28_3389:
	s_movk_i32 s4, 0x80
	v_cmp_eq_u16_sdwa s[12:13], v11, s4 src0_sel:BYTE_3 src1_sel:DWORD
	s_mov_b64 s[4:5], -1
                                        ; implicit-def: $sgpr10
	s_and_saveexec_b64 s[8:9], s[12:13]
; %bb.3390:
	s_mov_b32 s10, 0x7f800001
	s_xor_b64 s[4:5], exec, -1
; %bb.3391:
	s_or_b64 exec, exec, s[8:9]
	s_and_b64 s[4:5], s[4:5], exec
	s_or_saveexec_b64 s[6:7], s[6:7]
	v_mov_b32_e32 v14, s10
	s_xor_b64 exec, exec, s[6:7]
	s_cbranch_execz .LBB28_1342
.LBB28_3392:
	v_mov_b32_e32 v14, 0
	v_cmp_ne_u16_sdwa s[8:9], v11, v14 src0_sel:BYTE_3 src1_sel:DWORD
	s_andn2_b64 s[4:5], s[4:5], exec
	s_and_b64 s[8:9], s[8:9], exec
	s_or_b64 s[4:5], s[4:5], s[8:9]
	s_or_b64 exec, exec, s[6:7]
	s_and_saveexec_b64 s[6:7], s[4:5]
	s_cbranch_execnz .LBB28_1343
	s_branch .LBB28_1344
.LBB28_3393:
	s_movk_i32 s4, 0x80
	v_cmp_eq_u16_sdwa s[12:13], v16, s4 src0_sel:BYTE_0 src1_sel:DWORD
	s_mov_b64 s[4:5], -1
                                        ; implicit-def: $sgpr10
	s_and_saveexec_b64 s[8:9], s[12:13]
; %bb.3394:
	s_mov_b32 s10, 0x7f800001
	s_xor_b64 s[4:5], exec, -1
; %bb.3395:
	s_or_b64 exec, exec, s[8:9]
	s_and_b64 s[4:5], s[4:5], exec
	s_or_saveexec_b64 s[6:7], s[6:7]
	v_mov_b32_e32 v10, s10
	s_xor_b64 exec, exec, s[6:7]
	s_cbranch_execz .LBB28_1346
.LBB28_3396:
	v_mov_b32_e32 v10, 0
	v_cmp_ne_u16_sdwa s[8:9], v16, v10 src0_sel:BYTE_0 src1_sel:DWORD
	s_andn2_b64 s[4:5], s[4:5], exec
	s_and_b64 s[8:9], s[8:9], exec
	s_or_b64 s[4:5], s[4:5], s[8:9]
	s_or_b64 exec, exec, s[6:7]
	s_and_saveexec_b64 s[6:7], s[4:5]
	s_cbranch_execnz .LBB28_1347
	s_branch .LBB28_1348
.LBB28_3397:
	s_movk_i32 s4, 0x80
	v_cmp_eq_u16_sdwa s[12:13], v12, s4 src0_sel:BYTE_0 src1_sel:DWORD
	s_mov_b64 s[4:5], -1
                                        ; implicit-def: $sgpr10
	s_and_saveexec_b64 s[8:9], s[12:13]
; %bb.3398:
	s_mov_b32 s10, 0x7f800001
	s_xor_b64 s[4:5], exec, -1
; %bb.3399:
	s_or_b64 exec, exec, s[8:9]
	s_and_b64 s[4:5], s[4:5], exec
	s_or_saveexec_b64 s[6:7], s[6:7]
	v_mov_b32_e32 v11, s10
	s_xor_b64 exec, exec, s[6:7]
	s_cbranch_execz .LBB28_1350
.LBB28_3400:
	v_mov_b32_e32 v11, 0
	v_cmp_ne_u16_sdwa s[8:9], v12, v11 src0_sel:BYTE_0 src1_sel:DWORD
	s_andn2_b64 s[4:5], s[4:5], exec
	s_and_b64 s[8:9], s[8:9], exec
	s_or_b64 s[4:5], s[4:5], s[8:9]
	s_or_b64 exec, exec, s[6:7]
	s_and_saveexec_b64 s[6:7], s[4:5]
	s_cbranch_execnz .LBB28_1351
	s_branch .LBB28_1352
.LBB28_3401:
	s_movk_i32 s4, 0x80
	v_cmp_eq_u16_sdwa s[12:13], v11, s4 src0_sel:BYTE_0 src1_sel:DWORD
	s_mov_b64 s[4:5], -1
                                        ; implicit-def: $sgpr10
	s_and_saveexec_b64 s[8:9], s[12:13]
; %bb.3402:
	s_mov_b32 s10, 0x7f800001
	s_xor_b64 s[4:5], exec, -1
; %bb.3403:
	s_or_b64 exec, exec, s[8:9]
	s_and_b64 s[4:5], s[4:5], exec
	s_or_saveexec_b64 s[6:7], s[6:7]
	v_mov_b32_e32 v10, s10
	s_xor_b64 exec, exec, s[6:7]
	s_cbranch_execz .LBB28_1354
.LBB28_3404:
	v_mov_b32_e32 v10, 0
	v_cmp_ne_u16_sdwa s[8:9], v11, v10 src0_sel:BYTE_0 src1_sel:DWORD
	s_andn2_b64 s[4:5], s[4:5], exec
	s_and_b64 s[8:9], s[8:9], exec
	s_or_b64 s[4:5], s[4:5], s[8:9]
	s_or_b64 exec, exec, s[6:7]
	s_and_saveexec_b64 s[6:7], s[4:5]
	s_cbranch_execnz .LBB28_1355
	s_branch .LBB28_1356
.LBB28_3405:
	s_movk_i32 s4, 0x80
	v_cmp_eq_u16_sdwa s[12:13], v11, s4 src0_sel:BYTE_0 src1_sel:DWORD
	s_mov_b64 s[4:5], -1
                                        ; implicit-def: $sgpr10
	s_and_saveexec_b64 s[8:9], s[12:13]
; %bb.3406:
	s_mov_b32 s10, 0x7f800001
	s_xor_b64 s[4:5], exec, -1
; %bb.3407:
	s_or_b64 exec, exec, s[8:9]
	s_and_b64 s[4:5], s[4:5], exec
	s_or_saveexec_b64 s[6:7], s[6:7]
	v_mov_b32_e32 v14, s10
	s_xor_b64 exec, exec, s[6:7]
	s_cbranch_execz .LBB28_1358
.LBB28_3408:
	v_mov_b32_e32 v14, 0
	v_cmp_ne_u16_sdwa s[8:9], v11, v14 src0_sel:BYTE_0 src1_sel:DWORD
	s_andn2_b64 s[4:5], s[4:5], exec
	s_and_b64 s[8:9], s[8:9], exec
	s_or_b64 s[4:5], s[4:5], s[8:9]
	s_or_b64 exec, exec, s[6:7]
	s_and_saveexec_b64 s[6:7], s[4:5]
	s_cbranch_execnz .LBB28_1359
	s_branch .LBB28_1360
.LBB28_3409:
	s_movk_i32 s4, 0x80
	v_cmp_eq_u16_e32 vcc, s4, v11
	s_mov_b64 s[4:5], -1
                                        ; implicit-def: $sgpr10
	s_and_saveexec_b64 s[8:9], vcc
; %bb.3410:
	s_mov_b32 s10, 0x7f800001
	s_xor_b64 s[4:5], exec, -1
; %bb.3411:
	s_or_b64 exec, exec, s[8:9]
	s_and_b64 s[4:5], s[4:5], exec
                                        ; implicit-def: $vgpr11
	s_or_saveexec_b64 s[6:7], s[6:7]
	v_mov_b32_e32 v10, s10
	s_xor_b64 exec, exec, s[6:7]
	s_cbranch_execz .LBB28_1362
.LBB28_3412:
	v_cmp_ne_u16_e32 vcc, 0, v11
	s_andn2_b64 s[4:5], s[4:5], exec
	s_and_b64 s[8:9], vcc, exec
	v_mov_b32_e32 v10, 0
	s_or_b64 s[4:5], s[4:5], s[8:9]
	s_or_b64 exec, exec, s[6:7]
	s_and_saveexec_b64 s[6:7], s[4:5]
	s_cbranch_execnz .LBB28_1363
	s_branch .LBB28_1364
.LBB28_3413:
	s_movk_i32 s4, 0x80
	v_cmp_eq_u16_e32 vcc, s4, v11
	s_mov_b64 s[4:5], -1
                                        ; implicit-def: $sgpr10
	s_and_saveexec_b64 s[8:9], vcc
; %bb.3414:
	s_mov_b32 s10, 0x7f800001
	s_xor_b64 s[4:5], exec, -1
; %bb.3415:
	s_or_b64 exec, exec, s[8:9]
	s_and_b64 s[4:5], s[4:5], exec
                                        ; implicit-def: $vgpr11
	s_or_saveexec_b64 s[6:7], s[6:7]
	v_mov_b32_e32 v14, s10
	s_xor_b64 exec, exec, s[6:7]
	s_cbranch_execz .LBB28_1366
.LBB28_3416:
	v_cmp_ne_u16_e32 vcc, 0, v11
	s_andn2_b64 s[4:5], s[4:5], exec
	s_and_b64 s[8:9], vcc, exec
	v_mov_b32_e32 v14, 0
	s_or_b64 s[4:5], s[4:5], s[8:9]
	s_or_b64 exec, exec, s[6:7]
	s_and_saveexec_b64 s[6:7], s[4:5]
	s_cbranch_execnz .LBB28_1367
	s_branch .LBB28_1368
.LBB28_3417:
	s_movk_i32 s4, 0x80
	v_cmp_eq_u16_sdwa s[12:13], v16, s4 src0_sel:BYTE_3 src1_sel:DWORD
	s_mov_b64 s[4:5], -1
                                        ; implicit-def: $sgpr10
	s_and_saveexec_b64 s[8:9], s[12:13]
; %bb.3418:
	s_mov_b32 s10, 0x7f800001
	s_xor_b64 s[4:5], exec, -1
; %bb.3419:
	s_or_b64 exec, exec, s[8:9]
	s_and_b64 s[4:5], s[4:5], exec
	s_or_saveexec_b64 s[6:7], s[6:7]
	v_mov_b32_e32 v10, s10
	s_xor_b64 exec, exec, s[6:7]
	s_cbranch_execz .LBB28_1370
.LBB28_3420:
	v_mov_b32_e32 v10, 0
	v_cmp_ne_u16_sdwa s[8:9], v16, v10 src0_sel:BYTE_3 src1_sel:DWORD
	s_andn2_b64 s[4:5], s[4:5], exec
	s_and_b64 s[8:9], s[8:9], exec
	s_or_b64 s[4:5], s[4:5], s[8:9]
	s_or_b64 exec, exec, s[6:7]
	s_and_saveexec_b64 s[6:7], s[4:5]
	s_cbranch_execnz .LBB28_1371
	s_branch .LBB28_1372
.LBB28_3421:
	s_movk_i32 s4, 0x80
	v_cmp_eq_u16_sdwa s[12:13], v12, s4 src0_sel:BYTE_3 src1_sel:DWORD
	s_mov_b64 s[4:5], -1
                                        ; implicit-def: $sgpr10
	s_and_saveexec_b64 s[8:9], s[12:13]
; %bb.3422:
	s_mov_b32 s10, 0x7f800001
	s_xor_b64 s[4:5], exec, -1
; %bb.3423:
	s_or_b64 exec, exec, s[8:9]
	s_and_b64 s[4:5], s[4:5], exec
	s_or_saveexec_b64 s[6:7], s[6:7]
	v_mov_b32_e32 v11, s10
	s_xor_b64 exec, exec, s[6:7]
	s_cbranch_execz .LBB28_1374
.LBB28_3424:
	v_mov_b32_e32 v11, 0
	v_cmp_ne_u16_sdwa s[8:9], v12, v11 src0_sel:BYTE_3 src1_sel:DWORD
	s_andn2_b64 s[4:5], s[4:5], exec
	s_and_b64 s[8:9], s[8:9], exec
	s_or_b64 s[4:5], s[4:5], s[8:9]
	s_or_b64 exec, exec, s[6:7]
	s_and_saveexec_b64 s[6:7], s[4:5]
	s_cbranch_execnz .LBB28_1375
	s_branch .LBB28_1376
.LBB28_3425:
	s_movk_i32 s4, 0x80
	v_cmp_eq_u16_sdwa s[12:13], v17, s4 src0_sel:BYTE_0 src1_sel:DWORD
	s_mov_b64 s[4:5], -1
                                        ; implicit-def: $sgpr10
	s_and_saveexec_b64 s[8:9], s[12:13]
; %bb.3426:
	s_mov_b32 s10, 0x7f800001
	s_xor_b64 s[4:5], exec, -1
; %bb.3427:
	s_or_b64 exec, exec, s[8:9]
	s_and_b64 s[4:5], s[4:5], exec
	s_or_saveexec_b64 s[6:7], s[6:7]
	v_mov_b32_e32 v10, s10
	s_xor_b64 exec, exec, s[6:7]
	s_cbranch_execz .LBB28_1378
.LBB28_3428:
	v_mov_b32_e32 v10, 0
	v_cmp_ne_u16_sdwa s[8:9], v17, v10 src0_sel:BYTE_0 src1_sel:DWORD
	s_andn2_b64 s[4:5], s[4:5], exec
	s_and_b64 s[8:9], s[8:9], exec
	s_or_b64 s[4:5], s[4:5], s[8:9]
	s_or_b64 exec, exec, s[6:7]
	s_and_saveexec_b64 s[6:7], s[4:5]
	s_cbranch_execnz .LBB28_1379
	s_branch .LBB28_1380
.LBB28_3429:
	s_movk_i32 s4, 0x80
	v_cmp_eq_u16_sdwa s[12:13], v13, s4 src0_sel:BYTE_0 src1_sel:DWORD
	s_mov_b64 s[4:5], -1
                                        ; implicit-def: $sgpr10
	s_and_saveexec_b64 s[8:9], s[12:13]
; %bb.3430:
	s_mov_b32 s10, 0x7f800001
	s_xor_b64 s[4:5], exec, -1
; %bb.3431:
	s_or_b64 exec, exec, s[8:9]
	s_and_b64 s[4:5], s[4:5], exec
	s_or_saveexec_b64 s[6:7], s[6:7]
	v_mov_b32_e32 v11, s10
	s_xor_b64 exec, exec, s[6:7]
	s_cbranch_execz .LBB28_1382
.LBB28_3432:
	v_mov_b32_e32 v11, 0
	v_cmp_ne_u16_sdwa s[8:9], v13, v11 src0_sel:BYTE_0 src1_sel:DWORD
	s_andn2_b64 s[4:5], s[4:5], exec
	s_and_b64 s[8:9], s[8:9], exec
	s_or_b64 s[4:5], s[4:5], s[8:9]
	s_or_b64 exec, exec, s[6:7]
	s_and_saveexec_b64 s[6:7], s[4:5]
	s_cbranch_execnz .LBB28_1383
	s_branch .LBB28_1384
.LBB28_3433:
	s_movk_i32 s4, 0x80
	v_cmp_eq_u16_sdwa s[12:13], v11, s4 src0_sel:BYTE_0 src1_sel:DWORD
	s_mov_b64 s[4:5], -1
                                        ; implicit-def: $sgpr10
	s_and_saveexec_b64 s[8:9], s[12:13]
; %bb.3434:
	s_mov_b32 s10, 0x7f800001
	s_xor_b64 s[4:5], exec, -1
; %bb.3435:
	s_or_b64 exec, exec, s[8:9]
	s_and_b64 s[4:5], s[4:5], exec
	s_or_saveexec_b64 s[6:7], s[6:7]
	v_mov_b32_e32 v10, s10
	s_xor_b64 exec, exec, s[6:7]
	s_cbranch_execz .LBB28_1386
.LBB28_3436:
	v_mov_b32_e32 v10, 0
	v_cmp_ne_u16_sdwa s[8:9], v11, v10 src0_sel:BYTE_0 src1_sel:DWORD
	s_andn2_b64 s[4:5], s[4:5], exec
	s_and_b64 s[8:9], s[8:9], exec
	s_or_b64 s[4:5], s[4:5], s[8:9]
	s_or_b64 exec, exec, s[6:7]
	s_and_saveexec_b64 s[6:7], s[4:5]
	s_cbranch_execnz .LBB28_1387
	s_branch .LBB28_1388
.LBB28_3437:
	s_movk_i32 s4, 0x80
	v_cmp_eq_u16_sdwa s[12:13], v11, s4 src0_sel:BYTE_0 src1_sel:DWORD
	s_mov_b64 s[4:5], -1
                                        ; implicit-def: $sgpr10
	s_and_saveexec_b64 s[8:9], s[12:13]
; %bb.3438:
	s_mov_b32 s10, 0x7f800001
	s_xor_b64 s[4:5], exec, -1
; %bb.3439:
	s_or_b64 exec, exec, s[8:9]
	s_and_b64 s[4:5], s[4:5], exec
	s_or_saveexec_b64 s[6:7], s[6:7]
	v_mov_b32_e32 v12, s10
	s_xor_b64 exec, exec, s[6:7]
	s_cbranch_execz .LBB28_1390
.LBB28_3440:
	v_mov_b32_e32 v12, 0
	v_cmp_ne_u16_sdwa s[8:9], v11, v12 src0_sel:BYTE_0 src1_sel:DWORD
	s_andn2_b64 s[4:5], s[4:5], exec
	s_and_b64 s[8:9], s[8:9], exec
	s_or_b64 s[4:5], s[4:5], s[8:9]
	s_or_b64 exec, exec, s[6:7]
	s_and_saveexec_b64 s[6:7], s[4:5]
	s_cbranch_execnz .LBB28_1391
	s_branch .LBB28_1392
.LBB28_3441:
	s_movk_i32 s4, 0x80
	v_cmp_eq_u16_e32 vcc, s4, v11
	s_mov_b64 s[4:5], -1
                                        ; implicit-def: $sgpr10
	s_and_saveexec_b64 s[8:9], vcc
; %bb.3442:
	s_mov_b32 s10, 0x7f800001
	s_xor_b64 s[4:5], exec, -1
; %bb.3443:
	s_or_b64 exec, exec, s[8:9]
	s_and_b64 s[4:5], s[4:5], exec
                                        ; implicit-def: $vgpr11
	s_or_saveexec_b64 s[6:7], s[6:7]
	v_mov_b32_e32 v10, s10
	s_xor_b64 exec, exec, s[6:7]
	s_cbranch_execz .LBB28_1394
.LBB28_3444:
	v_cmp_ne_u16_e32 vcc, 0, v11
	s_andn2_b64 s[4:5], s[4:5], exec
	s_and_b64 s[8:9], vcc, exec
	v_mov_b32_e32 v10, 0
	s_or_b64 s[4:5], s[4:5], s[8:9]
	s_or_b64 exec, exec, s[6:7]
	s_and_saveexec_b64 s[6:7], s[4:5]
	s_cbranch_execnz .LBB28_1395
	s_branch .LBB28_1396
.LBB28_3445:
	s_movk_i32 s4, 0x80
	v_cmp_eq_u16_e32 vcc, s4, v11
	s_mov_b64 s[4:5], -1
                                        ; implicit-def: $sgpr10
	s_and_saveexec_b64 s[8:9], vcc
; %bb.3446:
	s_mov_b32 s10, 0x7f800001
	s_xor_b64 s[4:5], exec, -1
; %bb.3447:
	s_or_b64 exec, exec, s[8:9]
	s_and_b64 s[4:5], s[4:5], exec
                                        ; implicit-def: $vgpr11
	s_or_saveexec_b64 s[6:7], s[6:7]
	v_mov_b32_e32 v12, s10
	s_xor_b64 exec, exec, s[6:7]
	s_cbranch_execz .LBB28_1398
.LBB28_3448:
	v_cmp_ne_u16_e32 vcc, 0, v11
	s_andn2_b64 s[4:5], s[4:5], exec
	s_and_b64 s[8:9], vcc, exec
	v_mov_b32_e32 v12, 0
	s_or_b64 s[4:5], s[4:5], s[8:9]
	s_or_b64 exec, exec, s[6:7]
	s_and_saveexec_b64 s[6:7], s[4:5]
	s_cbranch_execnz .LBB28_1399
	s_branch .LBB28_1400
.LBB28_3449:
	s_movk_i32 s4, 0x80
	v_cmp_eq_u16_sdwa s[12:13], v17, s4 src0_sel:BYTE_3 src1_sel:DWORD
	s_mov_b64 s[4:5], -1
                                        ; implicit-def: $sgpr10
	s_and_saveexec_b64 s[8:9], s[12:13]
; %bb.3450:
	s_mov_b32 s10, 0x7f800001
	s_xor_b64 s[4:5], exec, -1
; %bb.3451:
	s_or_b64 exec, exec, s[8:9]
	s_and_b64 s[4:5], s[4:5], exec
	s_or_saveexec_b64 s[6:7], s[6:7]
	v_mov_b32_e32 v10, s10
	s_xor_b64 exec, exec, s[6:7]
	s_cbranch_execz .LBB28_1402
.LBB28_3452:
	v_mov_b32_e32 v10, 0
	v_cmp_ne_u16_sdwa s[8:9], v17, v10 src0_sel:BYTE_3 src1_sel:DWORD
	s_andn2_b64 s[4:5], s[4:5], exec
	s_and_b64 s[8:9], s[8:9], exec
	s_or_b64 s[4:5], s[4:5], s[8:9]
	s_or_b64 exec, exec, s[6:7]
	s_and_saveexec_b64 s[6:7], s[4:5]
	s_cbranch_execnz .LBB28_1403
	s_branch .LBB28_1404
.LBB28_3453:
	s_movk_i32 s4, 0x80
	v_cmp_eq_u16_sdwa s[12:13], v13, s4 src0_sel:BYTE_3 src1_sel:DWORD
	s_mov_b64 s[4:5], -1
                                        ; implicit-def: $sgpr10
	s_and_saveexec_b64 s[8:9], s[12:13]
; %bb.3454:
	s_mov_b32 s10, 0x7f800001
	s_xor_b64 s[4:5], exec, -1
; %bb.3455:
	s_or_b64 exec, exec, s[8:9]
	s_and_b64 s[4:5], s[4:5], exec
	s_or_saveexec_b64 s[6:7], s[6:7]
	v_mov_b32_e32 v11, s10
	s_xor_b64 exec, exec, s[6:7]
	s_cbranch_execz .LBB28_1406
.LBB28_3456:
	v_mov_b32_e32 v11, 0
	v_cmp_ne_u16_sdwa s[8:9], v13, v11 src0_sel:BYTE_3 src1_sel:DWORD
	s_andn2_b64 s[4:5], s[4:5], exec
	s_and_b64 s[8:9], s[8:9], exec
	s_or_b64 s[4:5], s[4:5], s[8:9]
	s_or_b64 exec, exec, s[6:7]
	s_and_saveexec_b64 s[6:7], s[4:5]
	s_cbranch_execnz .LBB28_1407
	s_branch .LBB28_1408
.LBB28_3457:
	s_movk_i32 s4, 0x80
	v_cmp_eq_u16_sdwa s[12:13], v6, s4 src0_sel:BYTE_0 src1_sel:DWORD
	s_mov_b64 s[4:5], -1
                                        ; implicit-def: $sgpr10
	s_and_saveexec_b64 s[8:9], s[12:13]
; %bb.3458:
	s_mov_b32 s10, 0x7f800001
	s_xor_b64 s[4:5], exec, -1
; %bb.3459:
	s_or_b64 exec, exec, s[8:9]
	s_and_b64 s[4:5], s[4:5], exec
	s_or_saveexec_b64 s[6:7], s[6:7]
	v_mov_b32_e32 v10, s10
	s_xor_b64 exec, exec, s[6:7]
	s_cbranch_execz .LBB28_1410
.LBB28_3460:
	v_mov_b32_e32 v10, 0
	v_cmp_ne_u16_sdwa s[8:9], v6, v10 src0_sel:BYTE_0 src1_sel:DWORD
	s_andn2_b64 s[4:5], s[4:5], exec
	s_and_b64 s[8:9], s[8:9], exec
	s_or_b64 s[4:5], s[4:5], s[8:9]
	s_or_b64 exec, exec, s[6:7]
	s_and_saveexec_b64 s[6:7], s[4:5]
	s_cbranch_execnz .LBB28_1411
	s_branch .LBB28_1412
.LBB28_3461:
	s_movk_i32 s4, 0x80
	v_cmp_eq_u16_sdwa s[12:13], v2, s4 src0_sel:BYTE_0 src1_sel:DWORD
	s_mov_b64 s[4:5], -1
                                        ; implicit-def: $sgpr10
	s_and_saveexec_b64 s[8:9], s[12:13]
; %bb.3462:
	s_mov_b32 s10, 0x7f800001
	s_xor_b64 s[4:5], exec, -1
; %bb.3463:
	s_or_b64 exec, exec, s[8:9]
	s_and_b64 s[4:5], s[4:5], exec
	s_or_saveexec_b64 s[6:7], s[6:7]
	v_mov_b32_e32 v11, s10
	s_xor_b64 exec, exec, s[6:7]
	s_cbranch_execz .LBB28_1414
.LBB28_3464:
	v_mov_b32_e32 v11, 0
	v_cmp_ne_u16_sdwa s[8:9], v2, v11 src0_sel:BYTE_0 src1_sel:DWORD
	s_andn2_b64 s[4:5], s[4:5], exec
	s_and_b64 s[8:9], s[8:9], exec
	s_or_b64 s[4:5], s[4:5], s[8:9]
	s_or_b64 exec, exec, s[6:7]
	s_and_saveexec_b64 s[6:7], s[4:5]
	s_cbranch_execnz .LBB28_1415
	s_branch .LBB28_1416
.LBB28_3465:
	s_movk_i32 s4, 0x80
	v_cmp_eq_u16_sdwa s[12:13], v11, s4 src0_sel:BYTE_0 src1_sel:DWORD
	s_mov_b64 s[4:5], -1
                                        ; implicit-def: $sgpr10
	s_and_saveexec_b64 s[8:9], s[12:13]
; %bb.3466:
	s_mov_b32 s10, 0x7f800001
	s_xor_b64 s[4:5], exec, -1
; %bb.3467:
	s_or_b64 exec, exec, s[8:9]
	s_and_b64 s[4:5], s[4:5], exec
	s_or_saveexec_b64 s[6:7], s[6:7]
	v_mov_b32_e32 v10, s10
	s_xor_b64 exec, exec, s[6:7]
	s_cbranch_execz .LBB28_1418
.LBB28_3468:
	v_mov_b32_e32 v10, 0
	v_cmp_ne_u16_sdwa s[8:9], v11, v10 src0_sel:BYTE_0 src1_sel:DWORD
	s_andn2_b64 s[4:5], s[4:5], exec
	s_and_b64 s[8:9], s[8:9], exec
	s_or_b64 s[4:5], s[4:5], s[8:9]
	s_or_b64 exec, exec, s[6:7]
	s_and_saveexec_b64 s[6:7], s[4:5]
	s_cbranch_execnz .LBB28_1419
	s_branch .LBB28_1420
.LBB28_3469:
	s_movk_i32 s4, 0x80
	v_cmp_eq_u16_sdwa s[12:13], v11, s4 src0_sel:BYTE_0 src1_sel:DWORD
	s_mov_b64 s[4:5], -1
                                        ; implicit-def: $sgpr10
	s_and_saveexec_b64 s[8:9], s[12:13]
; %bb.3470:
	s_mov_b32 s10, 0x7f800001
	s_xor_b64 s[4:5], exec, -1
; %bb.3471:
	s_or_b64 exec, exec, s[8:9]
	s_and_b64 s[4:5], s[4:5], exec
	s_or_saveexec_b64 s[6:7], s[6:7]
	v_mov_b32_e32 v12, s10
	s_xor_b64 exec, exec, s[6:7]
	s_cbranch_execz .LBB28_1422
.LBB28_3472:
	v_mov_b32_e32 v12, 0
	v_cmp_ne_u16_sdwa s[8:9], v11, v12 src0_sel:BYTE_0 src1_sel:DWORD
	s_andn2_b64 s[4:5], s[4:5], exec
	s_and_b64 s[8:9], s[8:9], exec
	s_or_b64 s[4:5], s[4:5], s[8:9]
	s_or_b64 exec, exec, s[6:7]
	s_and_saveexec_b64 s[6:7], s[4:5]
	s_cbranch_execnz .LBB28_1423
	s_branch .LBB28_1424
.LBB28_3473:
	s_movk_i32 s4, 0x80
	v_cmp_eq_u16_e32 vcc, s4, v11
	s_mov_b64 s[4:5], -1
                                        ; implicit-def: $sgpr10
	s_and_saveexec_b64 s[8:9], vcc
; %bb.3474:
	s_mov_b32 s10, 0x7f800001
	s_xor_b64 s[4:5], exec, -1
; %bb.3475:
	s_or_b64 exec, exec, s[8:9]
	s_and_b64 s[4:5], s[4:5], exec
                                        ; implicit-def: $vgpr11
	s_or_saveexec_b64 s[6:7], s[6:7]
	v_mov_b32_e32 v10, s10
	s_xor_b64 exec, exec, s[6:7]
	s_cbranch_execz .LBB28_1426
.LBB28_3476:
	v_cmp_ne_u16_e32 vcc, 0, v11
	s_andn2_b64 s[4:5], s[4:5], exec
	s_and_b64 s[8:9], vcc, exec
	v_mov_b32_e32 v10, 0
	s_or_b64 s[4:5], s[4:5], s[8:9]
	s_or_b64 exec, exec, s[6:7]
	s_and_saveexec_b64 s[6:7], s[4:5]
	s_cbranch_execnz .LBB28_1427
	s_branch .LBB28_1428
.LBB28_3477:
	s_movk_i32 s4, 0x80
	v_cmp_eq_u16_e32 vcc, s4, v11
	s_mov_b64 s[4:5], -1
                                        ; implicit-def: $sgpr10
	s_and_saveexec_b64 s[8:9], vcc
; %bb.3478:
	s_mov_b32 s10, 0x7f800001
	s_xor_b64 s[4:5], exec, -1
; %bb.3479:
	s_or_b64 exec, exec, s[8:9]
	s_and_b64 s[4:5], s[4:5], exec
                                        ; implicit-def: $vgpr11
	s_or_saveexec_b64 s[6:7], s[6:7]
	v_mov_b32_e32 v12, s10
	s_xor_b64 exec, exec, s[6:7]
	s_cbranch_execz .LBB28_1430
.LBB28_3480:
	v_cmp_ne_u16_e32 vcc, 0, v11
	s_andn2_b64 s[4:5], s[4:5], exec
	s_and_b64 s[8:9], vcc, exec
	v_mov_b32_e32 v12, 0
	s_or_b64 s[4:5], s[4:5], s[8:9]
	s_or_b64 exec, exec, s[6:7]
	s_and_saveexec_b64 s[6:7], s[4:5]
	s_cbranch_execnz .LBB28_1431
	s_branch .LBB28_1432
.LBB28_3481:
	s_movk_i32 s4, 0x80
	v_cmp_eq_u16_sdwa s[12:13], v6, s4 src0_sel:BYTE_3 src1_sel:DWORD
	s_mov_b64 s[4:5], -1
                                        ; implicit-def: $sgpr10
	s_and_saveexec_b64 s[8:9], s[12:13]
; %bb.3482:
	s_mov_b32 s10, 0x7f800001
	s_xor_b64 s[4:5], exec, -1
; %bb.3483:
	s_or_b64 exec, exec, s[8:9]
	s_and_b64 s[4:5], s[4:5], exec
	s_or_saveexec_b64 s[6:7], s[6:7]
	v_mov_b32_e32 v10, s10
	s_xor_b64 exec, exec, s[6:7]
	s_cbranch_execz .LBB28_1434
.LBB28_3484:
	v_mov_b32_e32 v10, 0
	v_cmp_ne_u16_sdwa s[8:9], v6, v10 src0_sel:BYTE_3 src1_sel:DWORD
	s_andn2_b64 s[4:5], s[4:5], exec
	s_and_b64 s[8:9], s[8:9], exec
	s_or_b64 s[4:5], s[4:5], s[8:9]
	s_or_b64 exec, exec, s[6:7]
	s_and_saveexec_b64 s[6:7], s[4:5]
	s_cbranch_execnz .LBB28_1435
	s_branch .LBB28_1436
.LBB28_3485:
	s_movk_i32 s4, 0x80
	v_cmp_eq_u16_sdwa s[12:13], v2, s4 src0_sel:BYTE_3 src1_sel:DWORD
	s_mov_b64 s[4:5], -1
                                        ; implicit-def: $sgpr10
	s_and_saveexec_b64 s[8:9], s[12:13]
; %bb.3486:
	s_mov_b32 s10, 0x7f800001
	s_xor_b64 s[4:5], exec, -1
; %bb.3487:
	s_or_b64 exec, exec, s[8:9]
	s_and_b64 s[4:5], s[4:5], exec
	s_or_saveexec_b64 s[6:7], s[6:7]
	v_mov_b32_e32 v6, s10
	s_xor_b64 exec, exec, s[6:7]
	s_cbranch_execz .LBB28_1438
.LBB28_3488:
	v_mov_b32_e32 v6, 0
	v_cmp_ne_u16_sdwa s[8:9], v2, v6 src0_sel:BYTE_3 src1_sel:DWORD
	s_andn2_b64 s[4:5], s[4:5], exec
	s_and_b64 s[8:9], s[8:9], exec
	s_or_b64 s[4:5], s[4:5], s[8:9]
	s_or_b64 exec, exec, s[6:7]
	s_and_saveexec_b64 s[6:7], s[4:5]
	s_cbranch_execnz .LBB28_1439
	s_branch .LBB28_1440
.LBB28_3489:
	s_movk_i32 s4, 0x80
	v_cmp_eq_u16_sdwa s[12:13], v7, s4 src0_sel:BYTE_0 src1_sel:DWORD
	s_mov_b64 s[4:5], -1
                                        ; implicit-def: $sgpr10
	s_and_saveexec_b64 s[8:9], s[12:13]
; %bb.3490:
	s_mov_b32 s10, 0x7f800001
	s_xor_b64 s[4:5], exec, -1
; %bb.3491:
	s_or_b64 exec, exec, s[8:9]
	s_and_b64 s[4:5], s[4:5], exec
	s_or_saveexec_b64 s[6:7], s[6:7]
	v_mov_b32_e32 v2, s10
	s_xor_b64 exec, exec, s[6:7]
	s_cbranch_execz .LBB28_1442
.LBB28_3492:
	v_mov_b32_e32 v2, 0
	v_cmp_ne_u16_sdwa s[8:9], v7, v2 src0_sel:BYTE_0 src1_sel:DWORD
	s_andn2_b64 s[4:5], s[4:5], exec
	s_and_b64 s[8:9], s[8:9], exec
	s_or_b64 s[4:5], s[4:5], s[8:9]
	s_or_b64 exec, exec, s[6:7]
	s_and_saveexec_b64 s[6:7], s[4:5]
	s_cbranch_execnz .LBB28_1443
	s_branch .LBB28_1444
.LBB28_3493:
	s_movk_i32 s4, 0x80
	v_cmp_eq_u16_sdwa s[12:13], v3, s4 src0_sel:BYTE_0 src1_sel:DWORD
	s_mov_b64 s[4:5], -1
                                        ; implicit-def: $sgpr10
	s_and_saveexec_b64 s[8:9], s[12:13]
; %bb.3494:
	s_mov_b32 s10, 0x7f800001
	s_xor_b64 s[4:5], exec, -1
; %bb.3495:
	s_or_b64 exec, exec, s[8:9]
	s_and_b64 s[4:5], s[4:5], exec
	s_or_saveexec_b64 s[6:7], s[6:7]
	v_mov_b32_e32 v6, s10
	s_xor_b64 exec, exec, s[6:7]
	s_cbranch_execz .LBB28_1446
.LBB28_3496:
	v_mov_b32_e32 v6, 0
	v_cmp_ne_u16_sdwa s[8:9], v3, v6 src0_sel:BYTE_0 src1_sel:DWORD
	s_andn2_b64 s[4:5], s[4:5], exec
	s_and_b64 s[8:9], s[8:9], exec
	s_or_b64 s[4:5], s[4:5], s[8:9]
	s_or_b64 exec, exec, s[6:7]
	s_and_saveexec_b64 s[6:7], s[4:5]
	s_cbranch_execnz .LBB28_1447
	s_branch .LBB28_1448
.LBB28_3497:
	s_movk_i32 s4, 0x80
	v_cmp_eq_u16_sdwa s[12:13], v6, s4 src0_sel:BYTE_0 src1_sel:DWORD
	s_mov_b64 s[4:5], -1
                                        ; implicit-def: $sgpr10
	s_and_saveexec_b64 s[8:9], s[12:13]
; %bb.3498:
	s_mov_b32 s10, 0x7f800001
	s_xor_b64 s[4:5], exec, -1
; %bb.3499:
	s_or_b64 exec, exec, s[8:9]
	s_and_b64 s[4:5], s[4:5], exec
	s_or_saveexec_b64 s[6:7], s[6:7]
	v_mov_b32_e32 v2, s10
	s_xor_b64 exec, exec, s[6:7]
	s_cbranch_execz .LBB28_1450
.LBB28_3500:
	v_mov_b32_e32 v2, 0
	v_cmp_ne_u16_sdwa s[8:9], v6, v2 src0_sel:BYTE_0 src1_sel:DWORD
	s_andn2_b64 s[4:5], s[4:5], exec
	s_and_b64 s[8:9], s[8:9], exec
	s_or_b64 s[4:5], s[4:5], s[8:9]
	s_or_b64 exec, exec, s[6:7]
	s_and_saveexec_b64 s[6:7], s[4:5]
	s_cbranch_execnz .LBB28_1451
	s_branch .LBB28_1452
.LBB28_3501:
	s_movk_i32 s4, 0x80
	v_cmp_eq_u16_sdwa s[12:13], v6, s4 src0_sel:BYTE_0 src1_sel:DWORD
	s_mov_b64 s[4:5], -1
                                        ; implicit-def: $sgpr10
	s_and_saveexec_b64 s[8:9], s[12:13]
; %bb.3502:
	s_mov_b32 s10, 0x7f800001
	s_xor_b64 s[4:5], exec, -1
; %bb.3503:
	s_or_b64 exec, exec, s[8:9]
	s_and_b64 s[4:5], s[4:5], exec
	s_or_saveexec_b64 s[6:7], s[6:7]
	v_mov_b32_e32 v10, s10
	s_xor_b64 exec, exec, s[6:7]
	s_cbranch_execz .LBB28_1454
.LBB28_3504:
	v_mov_b32_e32 v10, 0
	v_cmp_ne_u16_sdwa s[8:9], v6, v10 src0_sel:BYTE_0 src1_sel:DWORD
	s_andn2_b64 s[4:5], s[4:5], exec
	s_and_b64 s[8:9], s[8:9], exec
	s_or_b64 s[4:5], s[4:5], s[8:9]
	s_or_b64 exec, exec, s[6:7]
	s_and_saveexec_b64 s[6:7], s[4:5]
	s_cbranch_execnz .LBB28_1455
	s_branch .LBB28_1456
.LBB28_3505:
	s_movk_i32 s4, 0x80
	v_cmp_eq_u16_e32 vcc, s4, v6
	s_mov_b64 s[4:5], -1
                                        ; implicit-def: $sgpr10
	s_and_saveexec_b64 s[8:9], vcc
; %bb.3506:
	s_mov_b32 s10, 0x7f800001
	s_xor_b64 s[4:5], exec, -1
; %bb.3507:
	s_or_b64 exec, exec, s[8:9]
	s_and_b64 s[4:5], s[4:5], exec
                                        ; implicit-def: $vgpr6
	s_or_saveexec_b64 s[6:7], s[6:7]
	v_mov_b32_e32 v2, s10
	s_xor_b64 exec, exec, s[6:7]
	s_cbranch_execz .LBB28_1458
.LBB28_3508:
	v_cmp_ne_u16_e32 vcc, 0, v6
	s_andn2_b64 s[4:5], s[4:5], exec
	s_and_b64 s[8:9], vcc, exec
	v_mov_b32_e32 v2, 0
	s_or_b64 s[4:5], s[4:5], s[8:9]
	s_or_b64 exec, exec, s[6:7]
	s_and_saveexec_b64 s[6:7], s[4:5]
	s_cbranch_execnz .LBB28_1459
	s_branch .LBB28_1460
.LBB28_3509:
	s_movk_i32 s4, 0x80
	v_cmp_eq_u16_e32 vcc, s4, v6
	s_mov_b64 s[4:5], -1
                                        ; implicit-def: $sgpr10
	s_and_saveexec_b64 s[8:9], vcc
; %bb.3510:
	s_mov_b32 s10, 0x7f800001
	s_xor_b64 s[4:5], exec, -1
; %bb.3511:
	s_or_b64 exec, exec, s[8:9]
	s_and_b64 s[4:5], s[4:5], exec
                                        ; implicit-def: $vgpr6
	s_or_saveexec_b64 s[6:7], s[6:7]
	v_mov_b32_e32 v10, s10
	s_xor_b64 exec, exec, s[6:7]
	s_cbranch_execz .LBB28_1462
.LBB28_3512:
	v_cmp_ne_u16_e32 vcc, 0, v6
	s_andn2_b64 s[4:5], s[4:5], exec
	s_and_b64 s[8:9], vcc, exec
	v_mov_b32_e32 v10, 0
	s_or_b64 s[4:5], s[4:5], s[8:9]
	s_or_b64 exec, exec, s[6:7]
	s_and_saveexec_b64 s[6:7], s[4:5]
	s_cbranch_execnz .LBB28_1463
	s_branch .LBB28_1464
.LBB28_3513:
	s_movk_i32 s4, 0x80
	v_cmp_eq_u16_sdwa s[12:13], v7, s4 src0_sel:BYTE_3 src1_sel:DWORD
	s_mov_b64 s[4:5], -1
                                        ; implicit-def: $sgpr10
	s_and_saveexec_b64 s[8:9], s[12:13]
; %bb.3514:
	s_mov_b32 s10, 0x7f800001
	s_xor_b64 s[4:5], exec, -1
; %bb.3515:
	s_or_b64 exec, exec, s[8:9]
	s_and_b64 s[4:5], s[4:5], exec
	s_or_saveexec_b64 s[6:7], s[6:7]
	v_mov_b32_e32 v2, s10
	s_xor_b64 exec, exec, s[6:7]
	s_cbranch_execz .LBB28_1466
.LBB28_3516:
	v_mov_b32_e32 v2, 0
	v_cmp_ne_u16_sdwa s[8:9], v7, v2 src0_sel:BYTE_3 src1_sel:DWORD
	s_andn2_b64 s[4:5], s[4:5], exec
	s_and_b64 s[8:9], s[8:9], exec
	s_or_b64 s[4:5], s[4:5], s[8:9]
	s_or_b64 exec, exec, s[6:7]
	s_and_saveexec_b64 s[6:7], s[4:5]
	s_cbranch_execnz .LBB28_1467
	s_branch .LBB28_1468
.LBB28_3517:
	s_movk_i32 s4, 0x80
	v_cmp_eq_u16_sdwa s[12:13], v3, s4 src0_sel:BYTE_3 src1_sel:DWORD
	s_mov_b64 s[4:5], -1
                                        ; implicit-def: $sgpr10
	s_and_saveexec_b64 s[8:9], s[12:13]
; %bb.3518:
	s_mov_b32 s10, 0x7f800001
	s_xor_b64 s[4:5], exec, -1
; %bb.3519:
	s_or_b64 exec, exec, s[8:9]
	s_and_b64 s[4:5], s[4:5], exec
	s_or_saveexec_b64 s[6:7], s[6:7]
	v_mov_b32_e32 v6, s10
	s_xor_b64 exec, exec, s[6:7]
	s_cbranch_execz .LBB28_1470
.LBB28_3520:
	v_mov_b32_e32 v6, 0
	v_cmp_ne_u16_sdwa s[8:9], v3, v6 src0_sel:BYTE_3 src1_sel:DWORD
	s_andn2_b64 s[4:5], s[4:5], exec
	s_and_b64 s[8:9], s[8:9], exec
	s_or_b64 s[4:5], s[4:5], s[8:9]
	s_or_b64 exec, exec, s[6:7]
	s_and_saveexec_b64 s[6:7], s[4:5]
	s_cbranch_execnz .LBB28_1471
	s_branch .LBB28_1472
.LBB28_3521:
	s_movk_i32 s4, 0x80
	v_cmp_eq_u16_sdwa s[12:13], v8, s4 src0_sel:BYTE_0 src1_sel:DWORD
	s_mov_b64 s[4:5], -1
                                        ; implicit-def: $sgpr10
	s_and_saveexec_b64 s[8:9], s[12:13]
; %bb.3522:
	s_mov_b32 s10, 0x7f800001
	s_xor_b64 s[4:5], exec, -1
; %bb.3523:
	s_or_b64 exec, exec, s[8:9]
	s_and_b64 s[4:5], s[4:5], exec
	s_or_saveexec_b64 s[6:7], s[6:7]
	v_mov_b32_e32 v2, s10
	s_xor_b64 exec, exec, s[6:7]
	s_cbranch_execz .LBB28_1474
.LBB28_3524:
	v_mov_b32_e32 v2, 0
	v_cmp_ne_u16_sdwa s[8:9], v8, v2 src0_sel:BYTE_0 src1_sel:DWORD
	s_andn2_b64 s[4:5], s[4:5], exec
	s_and_b64 s[8:9], s[8:9], exec
	s_or_b64 s[4:5], s[4:5], s[8:9]
	s_or_b64 exec, exec, s[6:7]
	s_and_saveexec_b64 s[6:7], s[4:5]
	s_cbranch_execnz .LBB28_1475
	s_branch .LBB28_1476
.LBB28_3525:
	s_movk_i32 s4, 0x80
	v_cmp_eq_u16_sdwa s[12:13], v4, s4 src0_sel:BYTE_0 src1_sel:DWORD
	s_mov_b64 s[4:5], -1
                                        ; implicit-def: $sgpr10
	s_and_saveexec_b64 s[8:9], s[12:13]
; %bb.3526:
	s_mov_b32 s10, 0x7f800001
	s_xor_b64 s[4:5], exec, -1
; %bb.3527:
	s_or_b64 exec, exec, s[8:9]
	s_and_b64 s[4:5], s[4:5], exec
	s_or_saveexec_b64 s[6:7], s[6:7]
	v_mov_b32_e32 v3, s10
	s_xor_b64 exec, exec, s[6:7]
	s_cbranch_execz .LBB28_1478
.LBB28_3528:
	v_mov_b32_e32 v3, 0
	v_cmp_ne_u16_sdwa s[8:9], v4, v3 src0_sel:BYTE_0 src1_sel:DWORD
	s_andn2_b64 s[4:5], s[4:5], exec
	s_and_b64 s[8:9], s[8:9], exec
	s_or_b64 s[4:5], s[4:5], s[8:9]
	s_or_b64 exec, exec, s[6:7]
	s_and_saveexec_b64 s[6:7], s[4:5]
	s_cbranch_execnz .LBB28_1479
	s_branch .LBB28_1480
.LBB28_3529:
	s_movk_i32 s4, 0x80
	v_cmp_eq_u16_sdwa s[12:13], v3, s4 src0_sel:BYTE_0 src1_sel:DWORD
	s_mov_b64 s[4:5], -1
                                        ; implicit-def: $sgpr10
	s_and_saveexec_b64 s[8:9], s[12:13]
; %bb.3530:
	s_mov_b32 s10, 0x7f800001
	s_xor_b64 s[4:5], exec, -1
; %bb.3531:
	s_or_b64 exec, exec, s[8:9]
	s_and_b64 s[4:5], s[4:5], exec
	s_or_saveexec_b64 s[6:7], s[6:7]
	v_mov_b32_e32 v2, s10
	s_xor_b64 exec, exec, s[6:7]
	s_cbranch_execz .LBB28_1482
.LBB28_3532:
	v_mov_b32_e32 v2, 0
	v_cmp_ne_u16_sdwa s[8:9], v3, v2 src0_sel:BYTE_0 src1_sel:DWORD
	s_andn2_b64 s[4:5], s[4:5], exec
	s_and_b64 s[8:9], s[8:9], exec
	s_or_b64 s[4:5], s[4:5], s[8:9]
	s_or_b64 exec, exec, s[6:7]
	s_and_saveexec_b64 s[6:7], s[4:5]
	s_cbranch_execnz .LBB28_1483
	s_branch .LBB28_1484
.LBB28_3533:
	s_movk_i32 s4, 0x80
	v_cmp_eq_u16_sdwa s[12:13], v3, s4 src0_sel:BYTE_0 src1_sel:DWORD
	s_mov_b64 s[4:5], -1
                                        ; implicit-def: $sgpr10
	s_and_saveexec_b64 s[8:9], s[12:13]
; %bb.3534:
	s_mov_b32 s10, 0x7f800001
	s_xor_b64 s[4:5], exec, -1
; %bb.3535:
	s_or_b64 exec, exec, s[8:9]
	s_and_b64 s[4:5], s[4:5], exec
	s_or_saveexec_b64 s[6:7], s[6:7]
	v_mov_b32_e32 v6, s10
	s_xor_b64 exec, exec, s[6:7]
	s_cbranch_execz .LBB28_1486
.LBB28_3536:
	v_mov_b32_e32 v6, 0
	v_cmp_ne_u16_sdwa s[8:9], v3, v6 src0_sel:BYTE_0 src1_sel:DWORD
	s_andn2_b64 s[4:5], s[4:5], exec
	s_and_b64 s[8:9], s[8:9], exec
	s_or_b64 s[4:5], s[4:5], s[8:9]
	s_or_b64 exec, exec, s[6:7]
	s_and_saveexec_b64 s[6:7], s[4:5]
	s_cbranch_execnz .LBB28_1487
	s_branch .LBB28_1488
.LBB28_3537:
	s_movk_i32 s4, 0x80
	v_cmp_eq_u16_e32 vcc, s4, v3
	s_mov_b64 s[4:5], -1
                                        ; implicit-def: $sgpr10
	s_and_saveexec_b64 s[8:9], vcc
; %bb.3538:
	s_mov_b32 s10, 0x7f800001
	s_xor_b64 s[4:5], exec, -1
; %bb.3539:
	s_or_b64 exec, exec, s[8:9]
	s_and_b64 s[4:5], s[4:5], exec
                                        ; implicit-def: $vgpr3
	s_or_saveexec_b64 s[6:7], s[6:7]
	v_mov_b32_e32 v2, s10
	s_xor_b64 exec, exec, s[6:7]
	s_cbranch_execz .LBB28_1490
.LBB28_3540:
	v_cmp_ne_u16_e32 vcc, 0, v3
	s_andn2_b64 s[4:5], s[4:5], exec
	s_and_b64 s[8:9], vcc, exec
	v_mov_b32_e32 v2, 0
	s_or_b64 s[4:5], s[4:5], s[8:9]
	s_or_b64 exec, exec, s[6:7]
	s_and_saveexec_b64 s[6:7], s[4:5]
	s_cbranch_execnz .LBB28_1491
	s_branch .LBB28_1492
.LBB28_3541:
	s_movk_i32 s4, 0x80
	v_cmp_eq_u16_e32 vcc, s4, v3
	s_mov_b64 s[4:5], -1
                                        ; implicit-def: $sgpr10
	s_and_saveexec_b64 s[8:9], vcc
; %bb.3542:
	s_mov_b32 s10, 0x7f800001
	s_xor_b64 s[4:5], exec, -1
; %bb.3543:
	s_or_b64 exec, exec, s[8:9]
	s_and_b64 s[4:5], s[4:5], exec
                                        ; implicit-def: $vgpr3
	s_or_saveexec_b64 s[6:7], s[6:7]
	v_mov_b32_e32 v6, s10
	s_xor_b64 exec, exec, s[6:7]
	s_cbranch_execz .LBB28_1494
.LBB28_3544:
	v_cmp_ne_u16_e32 vcc, 0, v3
	s_andn2_b64 s[4:5], s[4:5], exec
	s_and_b64 s[8:9], vcc, exec
	v_mov_b32_e32 v6, 0
	s_or_b64 s[4:5], s[4:5], s[8:9]
	s_or_b64 exec, exec, s[6:7]
	s_and_saveexec_b64 s[6:7], s[4:5]
	s_cbranch_execnz .LBB28_1495
	s_branch .LBB28_1496
.LBB28_3545:
	s_movk_i32 s4, 0x80
	v_cmp_eq_u16_sdwa s[12:13], v8, s4 src0_sel:BYTE_3 src1_sel:DWORD
	s_mov_b64 s[4:5], -1
                                        ; implicit-def: $sgpr10
	s_and_saveexec_b64 s[8:9], s[12:13]
; %bb.3546:
	s_mov_b32 s10, 0x7f800001
	s_xor_b64 s[4:5], exec, -1
; %bb.3547:
	s_or_b64 exec, exec, s[8:9]
	s_and_b64 s[4:5], s[4:5], exec
	s_or_saveexec_b64 s[6:7], s[6:7]
	v_mov_b32_e32 v2, s10
	s_xor_b64 exec, exec, s[6:7]
	s_cbranch_execz .LBB28_1498
.LBB28_3548:
	v_mov_b32_e32 v2, 0
	v_cmp_ne_u16_sdwa s[8:9], v8, v2 src0_sel:BYTE_3 src1_sel:DWORD
	s_andn2_b64 s[4:5], s[4:5], exec
	s_and_b64 s[8:9], s[8:9], exec
	s_or_b64 s[4:5], s[4:5], s[8:9]
	s_or_b64 exec, exec, s[6:7]
	s_and_saveexec_b64 s[6:7], s[4:5]
	s_cbranch_execnz .LBB28_1499
	s_branch .LBB28_1500
.LBB28_3549:
	s_movk_i32 s4, 0x80
	v_cmp_eq_u16_sdwa s[12:13], v4, s4 src0_sel:BYTE_3 src1_sel:DWORD
	s_mov_b64 s[4:5], -1
                                        ; implicit-def: $sgpr10
	s_and_saveexec_b64 s[8:9], s[12:13]
; %bb.3550:
	s_mov_b32 s10, 0x7f800001
	s_xor_b64 s[4:5], exec, -1
; %bb.3551:
	s_or_b64 exec, exec, s[8:9]
	s_and_b64 s[4:5], s[4:5], exec
	s_or_saveexec_b64 s[6:7], s[6:7]
	v_mov_b32_e32 v3, s10
	s_xor_b64 exec, exec, s[6:7]
	s_cbranch_execz .LBB28_1502
.LBB28_3552:
	v_mov_b32_e32 v3, 0
	v_cmp_ne_u16_sdwa s[8:9], v4, v3 src0_sel:BYTE_3 src1_sel:DWORD
	s_andn2_b64 s[4:5], s[4:5], exec
	s_and_b64 s[8:9], s[8:9], exec
	s_or_b64 s[4:5], s[4:5], s[8:9]
	s_or_b64 exec, exec, s[6:7]
	s_and_saveexec_b64 s[6:7], s[4:5]
	s_cbranch_execnz .LBB28_1503
	s_branch .LBB28_1504
.LBB28_3553:
	s_movk_i32 s4, 0x80
	v_cmp_eq_u16_sdwa s[12:13], v9, s4 src0_sel:BYTE_0 src1_sel:DWORD
	s_mov_b64 s[4:5], -1
                                        ; implicit-def: $sgpr10
	s_and_saveexec_b64 s[8:9], s[12:13]
; %bb.3554:
	s_mov_b32 s10, 0x7f800001
	s_xor_b64 s[4:5], exec, -1
; %bb.3555:
	s_or_b64 exec, exec, s[8:9]
	s_and_b64 s[4:5], s[4:5], exec
	s_or_saveexec_b64 s[6:7], s[6:7]
	v_mov_b32_e32 v2, s10
	s_xor_b64 exec, exec, s[6:7]
	s_cbranch_execz .LBB28_1506
.LBB28_3556:
	v_mov_b32_e32 v2, 0
	v_cmp_ne_u16_sdwa s[8:9], v9, v2 src0_sel:BYTE_0 src1_sel:DWORD
	s_andn2_b64 s[4:5], s[4:5], exec
	s_and_b64 s[8:9], s[8:9], exec
	s_or_b64 s[4:5], s[4:5], s[8:9]
	s_or_b64 exec, exec, s[6:7]
	s_and_saveexec_b64 s[6:7], s[4:5]
	s_cbranch_execnz .LBB28_1507
	s_branch .LBB28_1508
.LBB28_3557:
	s_movk_i32 s4, 0x80
	v_cmp_eq_u16_sdwa s[12:13], v5, s4 src0_sel:BYTE_0 src1_sel:DWORD
	s_mov_b64 s[4:5], -1
                                        ; implicit-def: $sgpr10
	s_and_saveexec_b64 s[8:9], s[12:13]
; %bb.3558:
	s_mov_b32 s10, 0x7f800001
	s_xor_b64 s[4:5], exec, -1
; %bb.3559:
	s_or_b64 exec, exec, s[8:9]
	s_and_b64 s[4:5], s[4:5], exec
	s_or_saveexec_b64 s[6:7], s[6:7]
	v_mov_b32_e32 v3, s10
	s_xor_b64 exec, exec, s[6:7]
	s_cbranch_execz .LBB28_1510
.LBB28_3560:
	v_mov_b32_e32 v3, 0
	v_cmp_ne_u16_sdwa s[8:9], v5, v3 src0_sel:BYTE_0 src1_sel:DWORD
	s_andn2_b64 s[4:5], s[4:5], exec
	s_and_b64 s[8:9], s[8:9], exec
	s_or_b64 s[4:5], s[4:5], s[8:9]
	s_or_b64 exec, exec, s[6:7]
	s_and_saveexec_b64 s[6:7], s[4:5]
	s_cbranch_execnz .LBB28_1511
	s_branch .LBB28_1512
.LBB28_3561:
	s_movk_i32 s4, 0x80
	v_cmp_eq_u16_sdwa s[12:13], v3, s4 src0_sel:BYTE_0 src1_sel:DWORD
	s_mov_b64 s[4:5], -1
                                        ; implicit-def: $sgpr10
	s_and_saveexec_b64 s[8:9], s[12:13]
; %bb.3562:
	s_mov_b32 s10, 0x7f800001
	s_xor_b64 s[4:5], exec, -1
; %bb.3563:
	s_or_b64 exec, exec, s[8:9]
	s_and_b64 s[4:5], s[4:5], exec
	s_or_saveexec_b64 s[6:7], s[6:7]
	v_mov_b32_e32 v2, s10
	s_xor_b64 exec, exec, s[6:7]
	s_cbranch_execz .LBB28_1514
.LBB28_3564:
	v_mov_b32_e32 v2, 0
	v_cmp_ne_u16_sdwa s[8:9], v3, v2 src0_sel:BYTE_0 src1_sel:DWORD
	s_andn2_b64 s[4:5], s[4:5], exec
	s_and_b64 s[8:9], s[8:9], exec
	s_or_b64 s[4:5], s[4:5], s[8:9]
	s_or_b64 exec, exec, s[6:7]
	s_and_saveexec_b64 s[6:7], s[4:5]
	s_cbranch_execnz .LBB28_1515
	s_branch .LBB28_1516
.LBB28_3565:
	s_movk_i32 s4, 0x80
	v_cmp_eq_u16_sdwa s[12:13], v3, s4 src0_sel:BYTE_0 src1_sel:DWORD
	s_mov_b64 s[4:5], -1
                                        ; implicit-def: $sgpr10
	s_and_saveexec_b64 s[8:9], s[12:13]
; %bb.3566:
	s_mov_b32 s10, 0x7f800001
	s_xor_b64 s[4:5], exec, -1
; %bb.3567:
	s_or_b64 exec, exec, s[8:9]
	s_and_b64 s[4:5], s[4:5], exec
	s_or_saveexec_b64 s[6:7], s[6:7]
	v_mov_b32_e32 v4, s10
	s_xor_b64 exec, exec, s[6:7]
	s_cbranch_execz .LBB28_1518
.LBB28_3568:
	v_mov_b32_e32 v4, 0
	v_cmp_ne_u16_sdwa s[8:9], v3, v4 src0_sel:BYTE_0 src1_sel:DWORD
	s_andn2_b64 s[4:5], s[4:5], exec
	s_and_b64 s[8:9], s[8:9], exec
	s_or_b64 s[4:5], s[4:5], s[8:9]
	s_or_b64 exec, exec, s[6:7]
	s_and_saveexec_b64 s[6:7], s[4:5]
	s_cbranch_execnz .LBB28_1519
	s_branch .LBB28_1520
.LBB28_3569:
	s_movk_i32 s4, 0x80
	v_cmp_eq_u16_e32 vcc, s4, v3
	s_mov_b64 s[4:5], -1
                                        ; implicit-def: $sgpr10
	s_and_saveexec_b64 s[8:9], vcc
; %bb.3570:
	s_mov_b32 s10, 0x7f800001
	s_xor_b64 s[4:5], exec, -1
; %bb.3571:
	s_or_b64 exec, exec, s[8:9]
	s_and_b64 s[4:5], s[4:5], exec
                                        ; implicit-def: $vgpr3
	s_or_saveexec_b64 s[6:7], s[6:7]
	v_mov_b32_e32 v2, s10
	s_xor_b64 exec, exec, s[6:7]
	s_cbranch_execz .LBB28_1522
.LBB28_3572:
	v_cmp_ne_u16_e32 vcc, 0, v3
	s_andn2_b64 s[4:5], s[4:5], exec
	s_and_b64 s[8:9], vcc, exec
	v_mov_b32_e32 v2, 0
	s_or_b64 s[4:5], s[4:5], s[8:9]
	s_or_b64 exec, exec, s[6:7]
	s_and_saveexec_b64 s[6:7], s[4:5]
	s_cbranch_execnz .LBB28_1523
	s_branch .LBB28_1524
.LBB28_3573:
	s_movk_i32 s4, 0x80
	v_cmp_eq_u16_e32 vcc, s4, v3
	s_mov_b64 s[4:5], -1
                                        ; implicit-def: $sgpr10
	s_and_saveexec_b64 s[8:9], vcc
; %bb.3574:
	s_mov_b32 s10, 0x7f800001
	s_xor_b64 s[4:5], exec, -1
; %bb.3575:
	s_or_b64 exec, exec, s[8:9]
	s_and_b64 s[4:5], s[4:5], exec
                                        ; implicit-def: $vgpr3
	s_or_saveexec_b64 s[6:7], s[6:7]
	v_mov_b32_e32 v4, s10
	s_xor_b64 exec, exec, s[6:7]
	s_cbranch_execz .LBB28_1526
.LBB28_3576:
	v_cmp_ne_u16_e32 vcc, 0, v3
	s_andn2_b64 s[4:5], s[4:5], exec
	s_and_b64 s[8:9], vcc, exec
	v_mov_b32_e32 v4, 0
	s_or_b64 s[4:5], s[4:5], s[8:9]
	s_or_b64 exec, exec, s[6:7]
	s_and_saveexec_b64 s[6:7], s[4:5]
	s_cbranch_execnz .LBB28_1527
	s_branch .LBB28_1528
.LBB28_3577:
	s_movk_i32 s4, 0x80
	v_cmp_eq_u16_sdwa s[12:13], v9, s4 src0_sel:BYTE_3 src1_sel:DWORD
	s_mov_b64 s[4:5], -1
                                        ; implicit-def: $sgpr10
	s_and_saveexec_b64 s[8:9], s[12:13]
; %bb.3578:
	s_mov_b32 s10, 0x7f800001
	s_xor_b64 s[4:5], exec, -1
; %bb.3579:
	s_or_b64 exec, exec, s[8:9]
	s_and_b64 s[4:5], s[4:5], exec
	s_or_saveexec_b64 s[6:7], s[6:7]
	v_mov_b32_e32 v2, s10
	s_xor_b64 exec, exec, s[6:7]
	s_cbranch_execz .LBB28_1530
.LBB28_3580:
	v_mov_b32_e32 v2, 0
	v_cmp_ne_u16_sdwa s[8:9], v9, v2 src0_sel:BYTE_3 src1_sel:DWORD
	s_andn2_b64 s[4:5], s[4:5], exec
	s_and_b64 s[8:9], s[8:9], exec
	s_or_b64 s[4:5], s[4:5], s[8:9]
	s_or_b64 exec, exec, s[6:7]
	s_and_saveexec_b64 s[6:7], s[4:5]
	s_cbranch_execnz .LBB28_1531
	s_branch .LBB28_1532
.LBB28_3581:
	s_movk_i32 s4, 0x80
	v_cmp_eq_u16_sdwa s[12:13], v5, s4 src0_sel:BYTE_3 src1_sel:DWORD
	s_mov_b64 s[4:5], -1
                                        ; implicit-def: $sgpr10
	s_and_saveexec_b64 s[8:9], s[12:13]
; %bb.3582:
	s_mov_b32 s10, 0x7f800001
	s_xor_b64 s[4:5], exec, -1
; %bb.3583:
	s_or_b64 exec, exec, s[8:9]
	s_and_b64 s[4:5], s[4:5], exec
	s_or_saveexec_b64 s[6:7], s[6:7]
	v_mov_b32_e32 v3, s10
	s_xor_b64 exec, exec, s[6:7]
	s_cbranch_execz .LBB28_1534
.LBB28_3584:
	v_mov_b32_e32 v3, 0
	v_cmp_ne_u16_sdwa s[8:9], v5, v3 src0_sel:BYTE_3 src1_sel:DWORD
	s_andn2_b64 s[4:5], s[4:5], exec
	s_and_b64 s[8:9], s[8:9], exec
	s_or_b64 s[4:5], s[4:5], s[8:9]
	s_or_b64 exec, exec, s[6:7]
	s_and_saveexec_b64 s[6:7], s[4:5]
	s_cbranch_execnz .LBB28_1535
	s_branch .LBB28_1536
.LBB28_3585:
	s_movk_i32 s4, 0x80
	v_cmp_eq_u16_sdwa s[12:13], v14, s4 src0_sel:BYTE_0 src1_sel:DWORD
	s_mov_b64 s[4:5], -1
                                        ; implicit-def: $sgpr10
	s_and_saveexec_b64 s[8:9], s[12:13]
; %bb.3586:
	s_mov_b32 s10, 0x7f800001
	s_xor_b64 s[4:5], exec, -1
; %bb.3587:
	s_or_b64 exec, exec, s[8:9]
	s_and_b64 s[4:5], s[4:5], exec
	s_or_saveexec_b64 s[6:7], s[6:7]
	v_mov_b32_e32 v20, s10
	s_xor_b64 exec, exec, s[6:7]
	s_cbranch_execz .LBB28_1538
.LBB28_3588:
	v_mov_b32_e32 v20, 0
	v_cmp_ne_u16_sdwa s[8:9], v14, v20 src0_sel:BYTE_0 src1_sel:DWORD
	s_andn2_b64 s[4:5], s[4:5], exec
	s_and_b64 s[8:9], s[8:9], exec
	s_or_b64 s[4:5], s[4:5], s[8:9]
	s_or_b64 exec, exec, s[6:7]
	s_and_saveexec_b64 s[6:7], s[4:5]
	s_cbranch_execnz .LBB28_1539
	s_branch .LBB28_1540
.LBB28_3589:
	s_movk_i32 s4, 0x80
	v_cmp_eq_u16_sdwa s[12:13], v10, s4 src0_sel:BYTE_0 src1_sel:DWORD
	s_mov_b64 s[4:5], -1
                                        ; implicit-def: $sgpr10
	s_and_saveexec_b64 s[8:9], s[12:13]
; %bb.3590:
	s_mov_b32 s10, 0x7f800001
	s_xor_b64 s[4:5], exec, -1
; %bb.3591:
	s_or_b64 exec, exec, s[8:9]
	s_and_b64 s[4:5], s[4:5], exec
	s_or_saveexec_b64 s[6:7], s[6:7]
	v_mov_b32_e32 v21, s10
	s_xor_b64 exec, exec, s[6:7]
	s_cbranch_execz .LBB28_1542
.LBB28_3592:
	v_mov_b32_e32 v21, 0
	v_cmp_ne_u16_sdwa s[8:9], v10, v21 src0_sel:BYTE_0 src1_sel:DWORD
	s_andn2_b64 s[4:5], s[4:5], exec
	s_and_b64 s[8:9], s[8:9], exec
	s_or_b64 s[4:5], s[4:5], s[8:9]
	s_or_b64 exec, exec, s[6:7]
	s_and_saveexec_b64 s[6:7], s[4:5]
	s_cbranch_execnz .LBB28_1543
	s_branch .LBB28_1544
.LBB28_3593:
	s_movk_i32 s4, 0x80
	v_cmp_eq_u16_sdwa s[12:13], v21, s4 src0_sel:BYTE_0 src1_sel:DWORD
	s_mov_b64 s[4:5], -1
                                        ; implicit-def: $sgpr10
	s_and_saveexec_b64 s[8:9], s[12:13]
; %bb.3594:
	s_mov_b32 s10, 0x7f800001
	s_xor_b64 s[4:5], exec, -1
; %bb.3595:
	s_or_b64 exec, exec, s[8:9]
	s_and_b64 s[4:5], s[4:5], exec
	s_or_saveexec_b64 s[6:7], s[6:7]
	v_mov_b32_e32 v20, s10
	s_xor_b64 exec, exec, s[6:7]
	s_cbranch_execz .LBB28_1546
.LBB28_3596:
	v_mov_b32_e32 v20, 0
	v_cmp_ne_u16_sdwa s[8:9], v21, v20 src0_sel:BYTE_0 src1_sel:DWORD
	s_andn2_b64 s[4:5], s[4:5], exec
	s_and_b64 s[8:9], s[8:9], exec
	s_or_b64 s[4:5], s[4:5], s[8:9]
	s_or_b64 exec, exec, s[6:7]
	s_and_saveexec_b64 s[6:7], s[4:5]
	s_cbranch_execnz .LBB28_1547
	s_branch .LBB28_1548
.LBB28_3597:
	s_movk_i32 s4, 0x80
	v_cmp_eq_u16_sdwa s[12:13], v21, s4 src0_sel:BYTE_0 src1_sel:DWORD
	s_mov_b64 s[4:5], -1
                                        ; implicit-def: $sgpr10
	s_and_saveexec_b64 s[8:9], s[12:13]
; %bb.3598:
	s_mov_b32 s10, 0x7f800001
	s_xor_b64 s[4:5], exec, -1
; %bb.3599:
	s_or_b64 exec, exec, s[8:9]
	s_and_b64 s[4:5], s[4:5], exec
	s_or_saveexec_b64 s[6:7], s[6:7]
	v_mov_b32_e32 v22, s10
	s_xor_b64 exec, exec, s[6:7]
	s_cbranch_execz .LBB28_1550
.LBB28_3600:
	v_mov_b32_e32 v22, 0
	v_cmp_ne_u16_sdwa s[8:9], v21, v22 src0_sel:BYTE_0 src1_sel:DWORD
	s_andn2_b64 s[4:5], s[4:5], exec
	s_and_b64 s[8:9], s[8:9], exec
	s_or_b64 s[4:5], s[4:5], s[8:9]
	s_or_b64 exec, exec, s[6:7]
	s_and_saveexec_b64 s[6:7], s[4:5]
	s_cbranch_execnz .LBB28_1551
	s_branch .LBB28_1552
.LBB28_3601:
	s_movk_i32 s4, 0x80
	v_cmp_eq_u16_e32 vcc, s4, v21
	s_mov_b64 s[4:5], -1
                                        ; implicit-def: $sgpr10
	s_and_saveexec_b64 s[8:9], vcc
; %bb.3602:
	s_mov_b32 s10, 0x7f800001
	s_xor_b64 s[4:5], exec, -1
; %bb.3603:
	s_or_b64 exec, exec, s[8:9]
	s_and_b64 s[4:5], s[4:5], exec
                                        ; implicit-def: $vgpr21
	s_or_saveexec_b64 s[6:7], s[6:7]
	v_mov_b32_e32 v20, s10
	s_xor_b64 exec, exec, s[6:7]
	s_cbranch_execz .LBB28_1554
.LBB28_3604:
	v_cmp_ne_u16_e32 vcc, 0, v21
	s_andn2_b64 s[4:5], s[4:5], exec
	s_and_b64 s[8:9], vcc, exec
	v_mov_b32_e32 v20, 0
	s_or_b64 s[4:5], s[4:5], s[8:9]
	s_or_b64 exec, exec, s[6:7]
	s_and_saveexec_b64 s[6:7], s[4:5]
	s_cbranch_execnz .LBB28_1555
	s_branch .LBB28_1556
.LBB28_3605:
	s_movk_i32 s4, 0x80
	v_cmp_eq_u16_e32 vcc, s4, v21
	s_mov_b64 s[4:5], -1
                                        ; implicit-def: $sgpr10
	s_and_saveexec_b64 s[8:9], vcc
; %bb.3606:
	s_mov_b32 s10, 0x7f800001
	s_xor_b64 s[4:5], exec, -1
; %bb.3607:
	s_or_b64 exec, exec, s[8:9]
	s_and_b64 s[4:5], s[4:5], exec
                                        ; implicit-def: $vgpr21
	s_or_saveexec_b64 s[6:7], s[6:7]
	v_mov_b32_e32 v22, s10
	s_xor_b64 exec, exec, s[6:7]
	s_cbranch_execz .LBB28_1558
.LBB28_3608:
	v_cmp_ne_u16_e32 vcc, 0, v21
	s_andn2_b64 s[4:5], s[4:5], exec
	s_and_b64 s[8:9], vcc, exec
	v_mov_b32_e32 v22, 0
	s_or_b64 s[4:5], s[4:5], s[8:9]
	s_or_b64 exec, exec, s[6:7]
	s_and_saveexec_b64 s[6:7], s[4:5]
	s_cbranch_execnz .LBB28_1559
	s_branch .LBB28_1560
.LBB28_3609:
	s_movk_i32 s4, 0x80
	v_cmp_eq_u16_sdwa s[12:13], v14, s4 src0_sel:BYTE_3 src1_sel:DWORD
	s_mov_b64 s[4:5], -1
                                        ; implicit-def: $sgpr10
	s_and_saveexec_b64 s[8:9], s[12:13]
; %bb.3610:
	s_mov_b32 s10, 0x7f800001
	s_xor_b64 s[4:5], exec, -1
; %bb.3611:
	s_or_b64 exec, exec, s[8:9]
	s_and_b64 s[4:5], s[4:5], exec
	s_or_saveexec_b64 s[6:7], s[6:7]
	v_mov_b32_e32 v20, s10
	s_xor_b64 exec, exec, s[6:7]
	s_cbranch_execz .LBB28_1562
.LBB28_3612:
	v_mov_b32_e32 v20, 0
	v_cmp_ne_u16_sdwa s[8:9], v14, v20 src0_sel:BYTE_3 src1_sel:DWORD
	s_andn2_b64 s[4:5], s[4:5], exec
	s_and_b64 s[8:9], s[8:9], exec
	s_or_b64 s[4:5], s[4:5], s[8:9]
	s_or_b64 exec, exec, s[6:7]
	s_and_saveexec_b64 s[6:7], s[4:5]
	s_cbranch_execnz .LBB28_1563
	s_branch .LBB28_1564
.LBB28_3613:
	s_movk_i32 s4, 0x80
	v_cmp_eq_u16_sdwa s[12:13], v10, s4 src0_sel:BYTE_3 src1_sel:DWORD
	s_mov_b64 s[4:5], -1
                                        ; implicit-def: $sgpr10
	s_and_saveexec_b64 s[8:9], s[12:13]
; %bb.3614:
	s_mov_b32 s10, 0x7f800001
	s_xor_b64 s[4:5], exec, -1
; %bb.3615:
	s_or_b64 exec, exec, s[8:9]
	s_and_b64 s[4:5], s[4:5], exec
	s_or_saveexec_b64 s[6:7], s[6:7]
	v_mov_b32_e32 v14, s10
	s_xor_b64 exec, exec, s[6:7]
	s_cbranch_execz .LBB28_1566
.LBB28_3616:
	v_mov_b32_e32 v14, 0
	v_cmp_ne_u16_sdwa s[8:9], v10, v14 src0_sel:BYTE_3 src1_sel:DWORD
	s_andn2_b64 s[4:5], s[4:5], exec
	s_and_b64 s[8:9], s[8:9], exec
	s_or_b64 s[4:5], s[4:5], s[8:9]
	s_or_b64 exec, exec, s[6:7]
	s_and_saveexec_b64 s[6:7], s[4:5]
	s_cbranch_execnz .LBB28_1567
	s_branch .LBB28_1568
.LBB28_3617:
	s_movk_i32 s4, 0x80
	v_cmp_eq_u16_sdwa s[12:13], v15, s4 src0_sel:BYTE_0 src1_sel:DWORD
	s_mov_b64 s[4:5], -1
                                        ; implicit-def: $sgpr10
	s_and_saveexec_b64 s[8:9], s[12:13]
; %bb.3618:
	s_mov_b32 s10, 0x7f800001
	s_xor_b64 s[4:5], exec, -1
; %bb.3619:
	s_or_b64 exec, exec, s[8:9]
	s_and_b64 s[4:5], s[4:5], exec
	s_or_saveexec_b64 s[6:7], s[6:7]
	v_mov_b32_e32 v10, s10
	s_xor_b64 exec, exec, s[6:7]
	s_cbranch_execz .LBB28_1570
.LBB28_3620:
	v_mov_b32_e32 v10, 0
	v_cmp_ne_u16_sdwa s[8:9], v15, v10 src0_sel:BYTE_0 src1_sel:DWORD
	s_andn2_b64 s[4:5], s[4:5], exec
	s_and_b64 s[8:9], s[8:9], exec
	s_or_b64 s[4:5], s[4:5], s[8:9]
	s_or_b64 exec, exec, s[6:7]
	s_and_saveexec_b64 s[6:7], s[4:5]
	s_cbranch_execnz .LBB28_1571
	s_branch .LBB28_1572
.LBB28_3621:
	s_movk_i32 s4, 0x80
	v_cmp_eq_u16_sdwa s[12:13], v11, s4 src0_sel:BYTE_0 src1_sel:DWORD
	s_mov_b64 s[4:5], -1
                                        ; implicit-def: $sgpr10
	s_and_saveexec_b64 s[8:9], s[12:13]
; %bb.3622:
	s_mov_b32 s10, 0x7f800001
	s_xor_b64 s[4:5], exec, -1
; %bb.3623:
	s_or_b64 exec, exec, s[8:9]
	s_and_b64 s[4:5], s[4:5], exec
	s_or_saveexec_b64 s[6:7], s[6:7]
	v_mov_b32_e32 v14, s10
	s_xor_b64 exec, exec, s[6:7]
	s_cbranch_execz .LBB28_1574
.LBB28_3624:
	v_mov_b32_e32 v14, 0
	v_cmp_ne_u16_sdwa s[8:9], v11, v14 src0_sel:BYTE_0 src1_sel:DWORD
	s_andn2_b64 s[4:5], s[4:5], exec
	s_and_b64 s[8:9], s[8:9], exec
	s_or_b64 s[4:5], s[4:5], s[8:9]
	s_or_b64 exec, exec, s[6:7]
	s_and_saveexec_b64 s[6:7], s[4:5]
	s_cbranch_execnz .LBB28_1575
	s_branch .LBB28_1576
.LBB28_3625:
	s_movk_i32 s4, 0x80
	v_cmp_eq_u16_sdwa s[12:13], v14, s4 src0_sel:BYTE_0 src1_sel:DWORD
	s_mov_b64 s[4:5], -1
                                        ; implicit-def: $sgpr10
	s_and_saveexec_b64 s[8:9], s[12:13]
; %bb.3626:
	s_mov_b32 s10, 0x7f800001
	s_xor_b64 s[4:5], exec, -1
; %bb.3627:
	s_or_b64 exec, exec, s[8:9]
	s_and_b64 s[4:5], s[4:5], exec
	s_or_saveexec_b64 s[6:7], s[6:7]
	v_mov_b32_e32 v10, s10
	s_xor_b64 exec, exec, s[6:7]
	s_cbranch_execz .LBB28_1578
.LBB28_3628:
	v_mov_b32_e32 v10, 0
	v_cmp_ne_u16_sdwa s[8:9], v14, v10 src0_sel:BYTE_0 src1_sel:DWORD
	s_andn2_b64 s[4:5], s[4:5], exec
	s_and_b64 s[8:9], s[8:9], exec
	s_or_b64 s[4:5], s[4:5], s[8:9]
	s_or_b64 exec, exec, s[6:7]
	s_and_saveexec_b64 s[6:7], s[4:5]
	s_cbranch_execnz .LBB28_1579
	s_branch .LBB28_1580
.LBB28_3629:
	s_movk_i32 s4, 0x80
	v_cmp_eq_u16_sdwa s[12:13], v14, s4 src0_sel:BYTE_0 src1_sel:DWORD
	s_mov_b64 s[4:5], -1
                                        ; implicit-def: $sgpr10
	s_and_saveexec_b64 s[8:9], s[12:13]
; %bb.3630:
	s_mov_b32 s10, 0x7f800001
	s_xor_b64 s[4:5], exec, -1
; %bb.3631:
	s_or_b64 exec, exec, s[8:9]
	s_and_b64 s[4:5], s[4:5], exec
	s_or_saveexec_b64 s[6:7], s[6:7]
	v_mov_b32_e32 v20, s10
	s_xor_b64 exec, exec, s[6:7]
	s_cbranch_execz .LBB28_1582
.LBB28_3632:
	v_mov_b32_e32 v20, 0
	v_cmp_ne_u16_sdwa s[8:9], v14, v20 src0_sel:BYTE_0 src1_sel:DWORD
	s_andn2_b64 s[4:5], s[4:5], exec
	s_and_b64 s[8:9], s[8:9], exec
	s_or_b64 s[4:5], s[4:5], s[8:9]
	s_or_b64 exec, exec, s[6:7]
	s_and_saveexec_b64 s[6:7], s[4:5]
	s_cbranch_execnz .LBB28_1583
	s_branch .LBB28_1584
.LBB28_3633:
	s_movk_i32 s4, 0x80
	v_cmp_eq_u16_e32 vcc, s4, v14
	s_mov_b64 s[4:5], -1
                                        ; implicit-def: $sgpr10
	s_and_saveexec_b64 s[8:9], vcc
; %bb.3634:
	s_mov_b32 s10, 0x7f800001
	s_xor_b64 s[4:5], exec, -1
; %bb.3635:
	s_or_b64 exec, exec, s[8:9]
	s_and_b64 s[4:5], s[4:5], exec
                                        ; implicit-def: $vgpr14
	s_or_saveexec_b64 s[6:7], s[6:7]
	v_mov_b32_e32 v10, s10
	s_xor_b64 exec, exec, s[6:7]
	s_cbranch_execz .LBB28_1586
.LBB28_3636:
	v_cmp_ne_u16_e32 vcc, 0, v14
	s_andn2_b64 s[4:5], s[4:5], exec
	s_and_b64 s[8:9], vcc, exec
	v_mov_b32_e32 v10, 0
	s_or_b64 s[4:5], s[4:5], s[8:9]
	s_or_b64 exec, exec, s[6:7]
	s_and_saveexec_b64 s[6:7], s[4:5]
	s_cbranch_execnz .LBB28_1587
	s_branch .LBB28_1588
.LBB28_3637:
	s_movk_i32 s4, 0x80
	v_cmp_eq_u16_e32 vcc, s4, v14
	s_mov_b64 s[4:5], -1
                                        ; implicit-def: $sgpr10
	s_and_saveexec_b64 s[8:9], vcc
; %bb.3638:
	s_mov_b32 s10, 0x7f800001
	s_xor_b64 s[4:5], exec, -1
; %bb.3639:
	s_or_b64 exec, exec, s[8:9]
	s_and_b64 s[4:5], s[4:5], exec
                                        ; implicit-def: $vgpr14
	s_or_saveexec_b64 s[6:7], s[6:7]
	v_mov_b32_e32 v20, s10
	s_xor_b64 exec, exec, s[6:7]
	s_cbranch_execz .LBB28_1590
.LBB28_3640:
	v_cmp_ne_u16_e32 vcc, 0, v14
	s_andn2_b64 s[4:5], s[4:5], exec
	s_and_b64 s[8:9], vcc, exec
	v_mov_b32_e32 v20, 0
	s_or_b64 s[4:5], s[4:5], s[8:9]
	s_or_b64 exec, exec, s[6:7]
	s_and_saveexec_b64 s[6:7], s[4:5]
	s_cbranch_execnz .LBB28_1591
	s_branch .LBB28_1592
.LBB28_3641:
	s_movk_i32 s4, 0x80
	v_cmp_eq_u16_sdwa s[12:13], v15, s4 src0_sel:BYTE_3 src1_sel:DWORD
	s_mov_b64 s[4:5], -1
                                        ; implicit-def: $sgpr10
	s_and_saveexec_b64 s[8:9], s[12:13]
; %bb.3642:
	s_mov_b32 s10, 0x7f800001
	s_xor_b64 s[4:5], exec, -1
; %bb.3643:
	s_or_b64 exec, exec, s[8:9]
	s_and_b64 s[4:5], s[4:5], exec
	s_or_saveexec_b64 s[6:7], s[6:7]
	v_mov_b32_e32 v10, s10
	s_xor_b64 exec, exec, s[6:7]
	s_cbranch_execz .LBB28_1594
.LBB28_3644:
	v_mov_b32_e32 v10, 0
	v_cmp_ne_u16_sdwa s[8:9], v15, v10 src0_sel:BYTE_3 src1_sel:DWORD
	s_andn2_b64 s[4:5], s[4:5], exec
	s_and_b64 s[8:9], s[8:9], exec
	s_or_b64 s[4:5], s[4:5], s[8:9]
	s_or_b64 exec, exec, s[6:7]
	s_and_saveexec_b64 s[6:7], s[4:5]
	s_cbranch_execnz .LBB28_1595
	s_branch .LBB28_1596
.LBB28_3645:
	s_movk_i32 s4, 0x80
	v_cmp_eq_u16_sdwa s[12:13], v11, s4 src0_sel:BYTE_3 src1_sel:DWORD
	s_mov_b64 s[4:5], -1
                                        ; implicit-def: $sgpr10
	s_and_saveexec_b64 s[8:9], s[12:13]
; %bb.3646:
	s_mov_b32 s10, 0x7f800001
	s_xor_b64 s[4:5], exec, -1
; %bb.3647:
	s_or_b64 exec, exec, s[8:9]
	s_and_b64 s[4:5], s[4:5], exec
	s_or_saveexec_b64 s[6:7], s[6:7]
	v_mov_b32_e32 v14, s10
	s_xor_b64 exec, exec, s[6:7]
	s_cbranch_execz .LBB28_1598
.LBB28_3648:
	v_mov_b32_e32 v14, 0
	v_cmp_ne_u16_sdwa s[8:9], v11, v14 src0_sel:BYTE_3 src1_sel:DWORD
	s_andn2_b64 s[4:5], s[4:5], exec
	s_and_b64 s[8:9], s[8:9], exec
	s_or_b64 s[4:5], s[4:5], s[8:9]
	s_or_b64 exec, exec, s[6:7]
	s_and_saveexec_b64 s[6:7], s[4:5]
	s_cbranch_execnz .LBB28_1599
	s_branch .LBB28_1600
.LBB28_3649:
	s_movk_i32 s4, 0x80
	v_cmp_eq_u16_sdwa s[12:13], v16, s4 src0_sel:BYTE_0 src1_sel:DWORD
	s_mov_b64 s[4:5], -1
                                        ; implicit-def: $sgpr10
	s_and_saveexec_b64 s[8:9], s[12:13]
; %bb.3650:
	s_mov_b32 s10, 0x7f800001
	s_xor_b64 s[4:5], exec, -1
; %bb.3651:
	s_or_b64 exec, exec, s[8:9]
	s_and_b64 s[4:5], s[4:5], exec
	s_or_saveexec_b64 s[6:7], s[6:7]
	v_mov_b32_e32 v10, s10
	s_xor_b64 exec, exec, s[6:7]
	s_cbranch_execz .LBB28_1602
.LBB28_3652:
	v_mov_b32_e32 v10, 0
	v_cmp_ne_u16_sdwa s[8:9], v16, v10 src0_sel:BYTE_0 src1_sel:DWORD
	s_andn2_b64 s[4:5], s[4:5], exec
	s_and_b64 s[8:9], s[8:9], exec
	s_or_b64 s[4:5], s[4:5], s[8:9]
	s_or_b64 exec, exec, s[6:7]
	s_and_saveexec_b64 s[6:7], s[4:5]
	s_cbranch_execnz .LBB28_1603
	s_branch .LBB28_1604
.LBB28_3653:
	s_movk_i32 s4, 0x80
	v_cmp_eq_u16_sdwa s[12:13], v12, s4 src0_sel:BYTE_0 src1_sel:DWORD
	s_mov_b64 s[4:5], -1
                                        ; implicit-def: $sgpr10
	s_and_saveexec_b64 s[8:9], s[12:13]
; %bb.3654:
	s_mov_b32 s10, 0x7f800001
	s_xor_b64 s[4:5], exec, -1
; %bb.3655:
	s_or_b64 exec, exec, s[8:9]
	s_and_b64 s[4:5], s[4:5], exec
	s_or_saveexec_b64 s[6:7], s[6:7]
	v_mov_b32_e32 v11, s10
	s_xor_b64 exec, exec, s[6:7]
	s_cbranch_execz .LBB28_1606
.LBB28_3656:
	v_mov_b32_e32 v11, 0
	v_cmp_ne_u16_sdwa s[8:9], v12, v11 src0_sel:BYTE_0 src1_sel:DWORD
	s_andn2_b64 s[4:5], s[4:5], exec
	s_and_b64 s[8:9], s[8:9], exec
	s_or_b64 s[4:5], s[4:5], s[8:9]
	s_or_b64 exec, exec, s[6:7]
	s_and_saveexec_b64 s[6:7], s[4:5]
	s_cbranch_execnz .LBB28_1607
	s_branch .LBB28_1608
.LBB28_3657:
	s_movk_i32 s4, 0x80
	v_cmp_eq_u16_sdwa s[12:13], v11, s4 src0_sel:BYTE_0 src1_sel:DWORD
	s_mov_b64 s[4:5], -1
                                        ; implicit-def: $sgpr10
	s_and_saveexec_b64 s[8:9], s[12:13]
; %bb.3658:
	s_mov_b32 s10, 0x7f800001
	s_xor_b64 s[4:5], exec, -1
; %bb.3659:
	s_or_b64 exec, exec, s[8:9]
	s_and_b64 s[4:5], s[4:5], exec
	s_or_saveexec_b64 s[6:7], s[6:7]
	v_mov_b32_e32 v10, s10
	s_xor_b64 exec, exec, s[6:7]
	s_cbranch_execz .LBB28_1610
.LBB28_3660:
	v_mov_b32_e32 v10, 0
	v_cmp_ne_u16_sdwa s[8:9], v11, v10 src0_sel:BYTE_0 src1_sel:DWORD
	s_andn2_b64 s[4:5], s[4:5], exec
	s_and_b64 s[8:9], s[8:9], exec
	s_or_b64 s[4:5], s[4:5], s[8:9]
	s_or_b64 exec, exec, s[6:7]
	s_and_saveexec_b64 s[6:7], s[4:5]
	s_cbranch_execnz .LBB28_1611
	s_branch .LBB28_1612
.LBB28_3661:
	s_movk_i32 s4, 0x80
	v_cmp_eq_u16_sdwa s[12:13], v11, s4 src0_sel:BYTE_0 src1_sel:DWORD
	s_mov_b64 s[4:5], -1
                                        ; implicit-def: $sgpr10
	s_and_saveexec_b64 s[8:9], s[12:13]
; %bb.3662:
	s_mov_b32 s10, 0x7f800001
	s_xor_b64 s[4:5], exec, -1
; %bb.3663:
	s_or_b64 exec, exec, s[8:9]
	s_and_b64 s[4:5], s[4:5], exec
	s_or_saveexec_b64 s[6:7], s[6:7]
	v_mov_b32_e32 v14, s10
	s_xor_b64 exec, exec, s[6:7]
	s_cbranch_execz .LBB28_1614
.LBB28_3664:
	v_mov_b32_e32 v14, 0
	v_cmp_ne_u16_sdwa s[8:9], v11, v14 src0_sel:BYTE_0 src1_sel:DWORD
	s_andn2_b64 s[4:5], s[4:5], exec
	s_and_b64 s[8:9], s[8:9], exec
	s_or_b64 s[4:5], s[4:5], s[8:9]
	s_or_b64 exec, exec, s[6:7]
	s_and_saveexec_b64 s[6:7], s[4:5]
	s_cbranch_execnz .LBB28_1615
	s_branch .LBB28_1616
.LBB28_3665:
	s_movk_i32 s4, 0x80
	v_cmp_eq_u16_e32 vcc, s4, v11
	s_mov_b64 s[4:5], -1
                                        ; implicit-def: $sgpr10
	s_and_saveexec_b64 s[8:9], vcc
; %bb.3666:
	s_mov_b32 s10, 0x7f800001
	s_xor_b64 s[4:5], exec, -1
; %bb.3667:
	s_or_b64 exec, exec, s[8:9]
	s_and_b64 s[4:5], s[4:5], exec
                                        ; implicit-def: $vgpr11
	s_or_saveexec_b64 s[6:7], s[6:7]
	v_mov_b32_e32 v10, s10
	s_xor_b64 exec, exec, s[6:7]
	s_cbranch_execz .LBB28_1618
.LBB28_3668:
	v_cmp_ne_u16_e32 vcc, 0, v11
	s_andn2_b64 s[4:5], s[4:5], exec
	s_and_b64 s[8:9], vcc, exec
	v_mov_b32_e32 v10, 0
	s_or_b64 s[4:5], s[4:5], s[8:9]
	s_or_b64 exec, exec, s[6:7]
	s_and_saveexec_b64 s[6:7], s[4:5]
	s_cbranch_execnz .LBB28_1619
	s_branch .LBB28_1620
.LBB28_3669:
	s_movk_i32 s4, 0x80
	v_cmp_eq_u16_e32 vcc, s4, v11
	s_mov_b64 s[4:5], -1
                                        ; implicit-def: $sgpr10
	s_and_saveexec_b64 s[8:9], vcc
; %bb.3670:
	s_mov_b32 s10, 0x7f800001
	s_xor_b64 s[4:5], exec, -1
; %bb.3671:
	s_or_b64 exec, exec, s[8:9]
	s_and_b64 s[4:5], s[4:5], exec
                                        ; implicit-def: $vgpr11
	s_or_saveexec_b64 s[6:7], s[6:7]
	v_mov_b32_e32 v14, s10
	s_xor_b64 exec, exec, s[6:7]
	s_cbranch_execz .LBB28_1622
.LBB28_3672:
	v_cmp_ne_u16_e32 vcc, 0, v11
	s_andn2_b64 s[4:5], s[4:5], exec
	s_and_b64 s[8:9], vcc, exec
	v_mov_b32_e32 v14, 0
	s_or_b64 s[4:5], s[4:5], s[8:9]
	s_or_b64 exec, exec, s[6:7]
	s_and_saveexec_b64 s[6:7], s[4:5]
	s_cbranch_execnz .LBB28_1623
	s_branch .LBB28_1624
.LBB28_3673:
	s_movk_i32 s4, 0x80
	v_cmp_eq_u16_sdwa s[12:13], v16, s4 src0_sel:BYTE_3 src1_sel:DWORD
	s_mov_b64 s[4:5], -1
                                        ; implicit-def: $sgpr10
	s_and_saveexec_b64 s[8:9], s[12:13]
; %bb.3674:
	s_mov_b32 s10, 0x7f800001
	s_xor_b64 s[4:5], exec, -1
; %bb.3675:
	s_or_b64 exec, exec, s[8:9]
	s_and_b64 s[4:5], s[4:5], exec
	s_or_saveexec_b64 s[6:7], s[6:7]
	v_mov_b32_e32 v10, s10
	s_xor_b64 exec, exec, s[6:7]
	s_cbranch_execz .LBB28_1626
.LBB28_3676:
	v_mov_b32_e32 v10, 0
	v_cmp_ne_u16_sdwa s[8:9], v16, v10 src0_sel:BYTE_3 src1_sel:DWORD
	s_andn2_b64 s[4:5], s[4:5], exec
	s_and_b64 s[8:9], s[8:9], exec
	s_or_b64 s[4:5], s[4:5], s[8:9]
	s_or_b64 exec, exec, s[6:7]
	s_and_saveexec_b64 s[6:7], s[4:5]
	s_cbranch_execnz .LBB28_1627
	s_branch .LBB28_1628
.LBB28_3677:
	s_movk_i32 s4, 0x80
	v_cmp_eq_u16_sdwa s[12:13], v12, s4 src0_sel:BYTE_3 src1_sel:DWORD
	s_mov_b64 s[4:5], -1
                                        ; implicit-def: $sgpr10
	s_and_saveexec_b64 s[8:9], s[12:13]
; %bb.3678:
	s_mov_b32 s10, 0x7f800001
	s_xor_b64 s[4:5], exec, -1
; %bb.3679:
	s_or_b64 exec, exec, s[8:9]
	s_and_b64 s[4:5], s[4:5], exec
	s_or_saveexec_b64 s[6:7], s[6:7]
	v_mov_b32_e32 v11, s10
	s_xor_b64 exec, exec, s[6:7]
	s_cbranch_execz .LBB28_1630
.LBB28_3680:
	v_mov_b32_e32 v11, 0
	v_cmp_ne_u16_sdwa s[8:9], v12, v11 src0_sel:BYTE_3 src1_sel:DWORD
	s_andn2_b64 s[4:5], s[4:5], exec
	s_and_b64 s[8:9], s[8:9], exec
	s_or_b64 s[4:5], s[4:5], s[8:9]
	s_or_b64 exec, exec, s[6:7]
	s_and_saveexec_b64 s[6:7], s[4:5]
	s_cbranch_execnz .LBB28_1631
	s_branch .LBB28_1632
.LBB28_3681:
	s_movk_i32 s4, 0x80
	v_cmp_eq_u16_sdwa s[12:13], v17, s4 src0_sel:BYTE_0 src1_sel:DWORD
	s_mov_b64 s[4:5], -1
                                        ; implicit-def: $sgpr10
	s_and_saveexec_b64 s[8:9], s[12:13]
; %bb.3682:
	s_mov_b32 s10, 0x7f800001
	s_xor_b64 s[4:5], exec, -1
; %bb.3683:
	s_or_b64 exec, exec, s[8:9]
	s_and_b64 s[4:5], s[4:5], exec
	s_or_saveexec_b64 s[6:7], s[6:7]
	v_mov_b32_e32 v10, s10
	s_xor_b64 exec, exec, s[6:7]
	s_cbranch_execz .LBB28_1634
.LBB28_3684:
	v_mov_b32_e32 v10, 0
	v_cmp_ne_u16_sdwa s[8:9], v17, v10 src0_sel:BYTE_0 src1_sel:DWORD
	s_andn2_b64 s[4:5], s[4:5], exec
	s_and_b64 s[8:9], s[8:9], exec
	s_or_b64 s[4:5], s[4:5], s[8:9]
	s_or_b64 exec, exec, s[6:7]
	s_and_saveexec_b64 s[6:7], s[4:5]
	s_cbranch_execnz .LBB28_1635
	s_branch .LBB28_1636
.LBB28_3685:
	s_movk_i32 s4, 0x80
	v_cmp_eq_u16_sdwa s[12:13], v13, s4 src0_sel:BYTE_0 src1_sel:DWORD
	s_mov_b64 s[4:5], -1
                                        ; implicit-def: $sgpr10
	s_and_saveexec_b64 s[8:9], s[12:13]
; %bb.3686:
	s_mov_b32 s10, 0x7f800001
	s_xor_b64 s[4:5], exec, -1
; %bb.3687:
	s_or_b64 exec, exec, s[8:9]
	s_and_b64 s[4:5], s[4:5], exec
	s_or_saveexec_b64 s[6:7], s[6:7]
	v_mov_b32_e32 v11, s10
	s_xor_b64 exec, exec, s[6:7]
	s_cbranch_execz .LBB28_1638
.LBB28_3688:
	v_mov_b32_e32 v11, 0
	v_cmp_ne_u16_sdwa s[8:9], v13, v11 src0_sel:BYTE_0 src1_sel:DWORD
	s_andn2_b64 s[4:5], s[4:5], exec
	s_and_b64 s[8:9], s[8:9], exec
	s_or_b64 s[4:5], s[4:5], s[8:9]
	s_or_b64 exec, exec, s[6:7]
	s_and_saveexec_b64 s[6:7], s[4:5]
	s_cbranch_execnz .LBB28_1639
	s_branch .LBB28_1640
.LBB28_3689:
	s_movk_i32 s4, 0x80
	v_cmp_eq_u16_sdwa s[12:13], v11, s4 src0_sel:BYTE_0 src1_sel:DWORD
	s_mov_b64 s[4:5], -1
                                        ; implicit-def: $sgpr10
	s_and_saveexec_b64 s[8:9], s[12:13]
; %bb.3690:
	s_mov_b32 s10, 0x7f800001
	s_xor_b64 s[4:5], exec, -1
; %bb.3691:
	s_or_b64 exec, exec, s[8:9]
	s_and_b64 s[4:5], s[4:5], exec
	s_or_saveexec_b64 s[6:7], s[6:7]
	v_mov_b32_e32 v10, s10
	s_xor_b64 exec, exec, s[6:7]
	s_cbranch_execz .LBB28_1642
.LBB28_3692:
	v_mov_b32_e32 v10, 0
	v_cmp_ne_u16_sdwa s[8:9], v11, v10 src0_sel:BYTE_0 src1_sel:DWORD
	s_andn2_b64 s[4:5], s[4:5], exec
	s_and_b64 s[8:9], s[8:9], exec
	s_or_b64 s[4:5], s[4:5], s[8:9]
	s_or_b64 exec, exec, s[6:7]
	s_and_saveexec_b64 s[6:7], s[4:5]
	s_cbranch_execnz .LBB28_1643
	s_branch .LBB28_1644
.LBB28_3693:
	s_movk_i32 s4, 0x80
	v_cmp_eq_u16_sdwa s[12:13], v11, s4 src0_sel:BYTE_0 src1_sel:DWORD
	s_mov_b64 s[4:5], -1
                                        ; implicit-def: $sgpr10
	s_and_saveexec_b64 s[8:9], s[12:13]
; %bb.3694:
	s_mov_b32 s10, 0x7f800001
	s_xor_b64 s[4:5], exec, -1
; %bb.3695:
	s_or_b64 exec, exec, s[8:9]
	s_and_b64 s[4:5], s[4:5], exec
	s_or_saveexec_b64 s[6:7], s[6:7]
	v_mov_b32_e32 v12, s10
	s_xor_b64 exec, exec, s[6:7]
	s_cbranch_execz .LBB28_1646
.LBB28_3696:
	v_mov_b32_e32 v12, 0
	v_cmp_ne_u16_sdwa s[8:9], v11, v12 src0_sel:BYTE_0 src1_sel:DWORD
	s_andn2_b64 s[4:5], s[4:5], exec
	s_and_b64 s[8:9], s[8:9], exec
	s_or_b64 s[4:5], s[4:5], s[8:9]
	s_or_b64 exec, exec, s[6:7]
	s_and_saveexec_b64 s[6:7], s[4:5]
	s_cbranch_execnz .LBB28_1647
	s_branch .LBB28_1648
.LBB28_3697:
	s_movk_i32 s4, 0x80
	v_cmp_eq_u16_e32 vcc, s4, v11
	s_mov_b64 s[4:5], -1
                                        ; implicit-def: $sgpr10
	s_and_saveexec_b64 s[8:9], vcc
; %bb.3698:
	s_mov_b32 s10, 0x7f800001
	s_xor_b64 s[4:5], exec, -1
; %bb.3699:
	s_or_b64 exec, exec, s[8:9]
	s_and_b64 s[4:5], s[4:5], exec
                                        ; implicit-def: $vgpr11
	s_or_saveexec_b64 s[6:7], s[6:7]
	v_mov_b32_e32 v10, s10
	s_xor_b64 exec, exec, s[6:7]
	s_cbranch_execz .LBB28_1650
.LBB28_3700:
	v_cmp_ne_u16_e32 vcc, 0, v11
	s_andn2_b64 s[4:5], s[4:5], exec
	s_and_b64 s[8:9], vcc, exec
	v_mov_b32_e32 v10, 0
	s_or_b64 s[4:5], s[4:5], s[8:9]
	s_or_b64 exec, exec, s[6:7]
	s_and_saveexec_b64 s[6:7], s[4:5]
	s_cbranch_execnz .LBB28_1651
	s_branch .LBB28_1652
.LBB28_3701:
	s_movk_i32 s4, 0x80
	v_cmp_eq_u16_e32 vcc, s4, v11
	s_mov_b64 s[4:5], -1
                                        ; implicit-def: $sgpr10
	s_and_saveexec_b64 s[8:9], vcc
; %bb.3702:
	s_mov_b32 s10, 0x7f800001
	s_xor_b64 s[4:5], exec, -1
; %bb.3703:
	s_or_b64 exec, exec, s[8:9]
	s_and_b64 s[4:5], s[4:5], exec
                                        ; implicit-def: $vgpr11
	s_or_saveexec_b64 s[6:7], s[6:7]
	v_mov_b32_e32 v12, s10
	s_xor_b64 exec, exec, s[6:7]
	s_cbranch_execz .LBB28_1654
.LBB28_3704:
	v_cmp_ne_u16_e32 vcc, 0, v11
	s_andn2_b64 s[4:5], s[4:5], exec
	s_and_b64 s[8:9], vcc, exec
	v_mov_b32_e32 v12, 0
	s_or_b64 s[4:5], s[4:5], s[8:9]
	s_or_b64 exec, exec, s[6:7]
	s_and_saveexec_b64 s[6:7], s[4:5]
	s_cbranch_execnz .LBB28_1655
	s_branch .LBB28_1656
.LBB28_3705:
	s_movk_i32 s4, 0x80
	v_cmp_eq_u16_sdwa s[12:13], v17, s4 src0_sel:BYTE_3 src1_sel:DWORD
	s_mov_b64 s[4:5], -1
                                        ; implicit-def: $sgpr10
	s_and_saveexec_b64 s[8:9], s[12:13]
; %bb.3706:
	s_mov_b32 s10, 0x7f800001
	s_xor_b64 s[4:5], exec, -1
; %bb.3707:
	s_or_b64 exec, exec, s[8:9]
	s_and_b64 s[4:5], s[4:5], exec
	s_or_saveexec_b64 s[6:7], s[6:7]
	v_mov_b32_e32 v10, s10
	s_xor_b64 exec, exec, s[6:7]
	s_cbranch_execz .LBB28_1658
.LBB28_3708:
	v_mov_b32_e32 v10, 0
	v_cmp_ne_u16_sdwa s[8:9], v17, v10 src0_sel:BYTE_3 src1_sel:DWORD
	s_andn2_b64 s[4:5], s[4:5], exec
	s_and_b64 s[8:9], s[8:9], exec
	s_or_b64 s[4:5], s[4:5], s[8:9]
	s_or_b64 exec, exec, s[6:7]
	s_and_saveexec_b64 s[6:7], s[4:5]
	s_cbranch_execnz .LBB28_1659
	s_branch .LBB28_1660
.LBB28_3709:
	s_movk_i32 s4, 0x80
	v_cmp_eq_u16_sdwa s[12:13], v13, s4 src0_sel:BYTE_3 src1_sel:DWORD
	s_mov_b64 s[4:5], -1
                                        ; implicit-def: $sgpr10
	s_and_saveexec_b64 s[8:9], s[12:13]
; %bb.3710:
	s_mov_b32 s10, 0x7f800001
	s_xor_b64 s[4:5], exec, -1
; %bb.3711:
	s_or_b64 exec, exec, s[8:9]
	s_and_b64 s[4:5], s[4:5], exec
	s_or_saveexec_b64 s[6:7], s[6:7]
	v_mov_b32_e32 v11, s10
	s_xor_b64 exec, exec, s[6:7]
	s_cbranch_execz .LBB28_1662
.LBB28_3712:
	v_mov_b32_e32 v11, 0
	v_cmp_ne_u16_sdwa s[8:9], v13, v11 src0_sel:BYTE_3 src1_sel:DWORD
	s_andn2_b64 s[4:5], s[4:5], exec
	s_and_b64 s[8:9], s[8:9], exec
	s_or_b64 s[4:5], s[4:5], s[8:9]
	s_or_b64 exec, exec, s[6:7]
	s_and_saveexec_b64 s[6:7], s[4:5]
	s_cbranch_execnz .LBB28_1663
	s_branch .LBB28_1664
.LBB28_3713:
	s_movk_i32 s4, 0x80
	v_cmp_eq_u16_sdwa s[12:13], v6, s4 src0_sel:BYTE_0 src1_sel:DWORD
	s_mov_b64 s[4:5], -1
                                        ; implicit-def: $sgpr10
	s_and_saveexec_b64 s[8:9], s[12:13]
; %bb.3714:
	s_mov_b32 s10, 0x7f800001
	s_xor_b64 s[4:5], exec, -1
; %bb.3715:
	s_or_b64 exec, exec, s[8:9]
	s_and_b64 s[4:5], s[4:5], exec
	s_or_saveexec_b64 s[6:7], s[6:7]
	v_mov_b32_e32 v10, s10
	s_xor_b64 exec, exec, s[6:7]
	s_cbranch_execz .LBB28_1666
.LBB28_3716:
	v_mov_b32_e32 v10, 0
	v_cmp_ne_u16_sdwa s[8:9], v6, v10 src0_sel:BYTE_0 src1_sel:DWORD
	s_andn2_b64 s[4:5], s[4:5], exec
	s_and_b64 s[8:9], s[8:9], exec
	s_or_b64 s[4:5], s[4:5], s[8:9]
	s_or_b64 exec, exec, s[6:7]
	s_and_saveexec_b64 s[6:7], s[4:5]
	s_cbranch_execnz .LBB28_1667
	s_branch .LBB28_1668
.LBB28_3717:
	s_movk_i32 s4, 0x80
	v_cmp_eq_u16_sdwa s[12:13], v2, s4 src0_sel:BYTE_0 src1_sel:DWORD
	s_mov_b64 s[4:5], -1
                                        ; implicit-def: $sgpr10
	s_and_saveexec_b64 s[8:9], s[12:13]
; %bb.3718:
	s_mov_b32 s10, 0x7f800001
	s_xor_b64 s[4:5], exec, -1
; %bb.3719:
	s_or_b64 exec, exec, s[8:9]
	s_and_b64 s[4:5], s[4:5], exec
	s_or_saveexec_b64 s[6:7], s[6:7]
	v_mov_b32_e32 v11, s10
	s_xor_b64 exec, exec, s[6:7]
	s_cbranch_execz .LBB28_1670
.LBB28_3720:
	v_mov_b32_e32 v11, 0
	v_cmp_ne_u16_sdwa s[8:9], v2, v11 src0_sel:BYTE_0 src1_sel:DWORD
	s_andn2_b64 s[4:5], s[4:5], exec
	s_and_b64 s[8:9], s[8:9], exec
	s_or_b64 s[4:5], s[4:5], s[8:9]
	s_or_b64 exec, exec, s[6:7]
	s_and_saveexec_b64 s[6:7], s[4:5]
	s_cbranch_execnz .LBB28_1671
	s_branch .LBB28_1672
.LBB28_3721:
	s_movk_i32 s4, 0x80
	v_cmp_eq_u16_sdwa s[12:13], v11, s4 src0_sel:BYTE_0 src1_sel:DWORD
	s_mov_b64 s[4:5], -1
                                        ; implicit-def: $sgpr10
	s_and_saveexec_b64 s[8:9], s[12:13]
; %bb.3722:
	s_mov_b32 s10, 0x7f800001
	s_xor_b64 s[4:5], exec, -1
; %bb.3723:
	s_or_b64 exec, exec, s[8:9]
	s_and_b64 s[4:5], s[4:5], exec
	s_or_saveexec_b64 s[6:7], s[6:7]
	v_mov_b32_e32 v10, s10
	s_xor_b64 exec, exec, s[6:7]
	s_cbranch_execz .LBB28_1674
.LBB28_3724:
	v_mov_b32_e32 v10, 0
	v_cmp_ne_u16_sdwa s[8:9], v11, v10 src0_sel:BYTE_0 src1_sel:DWORD
	s_andn2_b64 s[4:5], s[4:5], exec
	s_and_b64 s[8:9], s[8:9], exec
	s_or_b64 s[4:5], s[4:5], s[8:9]
	s_or_b64 exec, exec, s[6:7]
	s_and_saveexec_b64 s[6:7], s[4:5]
	s_cbranch_execnz .LBB28_1675
	s_branch .LBB28_1676
.LBB28_3725:
	s_movk_i32 s4, 0x80
	v_cmp_eq_u16_sdwa s[12:13], v11, s4 src0_sel:BYTE_0 src1_sel:DWORD
	s_mov_b64 s[4:5], -1
                                        ; implicit-def: $sgpr10
	s_and_saveexec_b64 s[8:9], s[12:13]
; %bb.3726:
	s_mov_b32 s10, 0x7f800001
	s_xor_b64 s[4:5], exec, -1
; %bb.3727:
	s_or_b64 exec, exec, s[8:9]
	s_and_b64 s[4:5], s[4:5], exec
	s_or_saveexec_b64 s[6:7], s[6:7]
	v_mov_b32_e32 v12, s10
	s_xor_b64 exec, exec, s[6:7]
	s_cbranch_execz .LBB28_1678
.LBB28_3728:
	v_mov_b32_e32 v12, 0
	v_cmp_ne_u16_sdwa s[8:9], v11, v12 src0_sel:BYTE_0 src1_sel:DWORD
	s_andn2_b64 s[4:5], s[4:5], exec
	s_and_b64 s[8:9], s[8:9], exec
	s_or_b64 s[4:5], s[4:5], s[8:9]
	s_or_b64 exec, exec, s[6:7]
	s_and_saveexec_b64 s[6:7], s[4:5]
	s_cbranch_execnz .LBB28_1679
	s_branch .LBB28_1680
.LBB28_3729:
	s_movk_i32 s4, 0x80
	v_cmp_eq_u16_e32 vcc, s4, v11
	s_mov_b64 s[4:5], -1
                                        ; implicit-def: $sgpr10
	s_and_saveexec_b64 s[8:9], vcc
; %bb.3730:
	s_mov_b32 s10, 0x7f800001
	s_xor_b64 s[4:5], exec, -1
; %bb.3731:
	s_or_b64 exec, exec, s[8:9]
	s_and_b64 s[4:5], s[4:5], exec
                                        ; implicit-def: $vgpr11
	s_or_saveexec_b64 s[6:7], s[6:7]
	v_mov_b32_e32 v10, s10
	s_xor_b64 exec, exec, s[6:7]
	s_cbranch_execz .LBB28_1682
.LBB28_3732:
	v_cmp_ne_u16_e32 vcc, 0, v11
	s_andn2_b64 s[4:5], s[4:5], exec
	s_and_b64 s[8:9], vcc, exec
	v_mov_b32_e32 v10, 0
	s_or_b64 s[4:5], s[4:5], s[8:9]
	s_or_b64 exec, exec, s[6:7]
	s_and_saveexec_b64 s[6:7], s[4:5]
	s_cbranch_execnz .LBB28_1683
	s_branch .LBB28_1684
.LBB28_3733:
	s_movk_i32 s4, 0x80
	v_cmp_eq_u16_e32 vcc, s4, v11
	s_mov_b64 s[4:5], -1
                                        ; implicit-def: $sgpr10
	s_and_saveexec_b64 s[8:9], vcc
; %bb.3734:
	s_mov_b32 s10, 0x7f800001
	s_xor_b64 s[4:5], exec, -1
; %bb.3735:
	s_or_b64 exec, exec, s[8:9]
	s_and_b64 s[4:5], s[4:5], exec
                                        ; implicit-def: $vgpr11
	s_or_saveexec_b64 s[6:7], s[6:7]
	v_mov_b32_e32 v12, s10
	s_xor_b64 exec, exec, s[6:7]
	s_cbranch_execz .LBB28_1686
.LBB28_3736:
	v_cmp_ne_u16_e32 vcc, 0, v11
	s_andn2_b64 s[4:5], s[4:5], exec
	s_and_b64 s[8:9], vcc, exec
	v_mov_b32_e32 v12, 0
	s_or_b64 s[4:5], s[4:5], s[8:9]
	s_or_b64 exec, exec, s[6:7]
	s_and_saveexec_b64 s[6:7], s[4:5]
	s_cbranch_execnz .LBB28_1687
	s_branch .LBB28_1688
.LBB28_3737:
	s_movk_i32 s4, 0x80
	v_cmp_eq_u16_sdwa s[12:13], v6, s4 src0_sel:BYTE_3 src1_sel:DWORD
	s_mov_b64 s[4:5], -1
                                        ; implicit-def: $sgpr10
	s_and_saveexec_b64 s[8:9], s[12:13]
; %bb.3738:
	s_mov_b32 s10, 0x7f800001
	s_xor_b64 s[4:5], exec, -1
; %bb.3739:
	s_or_b64 exec, exec, s[8:9]
	s_and_b64 s[4:5], s[4:5], exec
	s_or_saveexec_b64 s[6:7], s[6:7]
	v_mov_b32_e32 v10, s10
	s_xor_b64 exec, exec, s[6:7]
	s_cbranch_execz .LBB28_1690
.LBB28_3740:
	v_mov_b32_e32 v10, 0
	v_cmp_ne_u16_sdwa s[8:9], v6, v10 src0_sel:BYTE_3 src1_sel:DWORD
	s_andn2_b64 s[4:5], s[4:5], exec
	s_and_b64 s[8:9], s[8:9], exec
	s_or_b64 s[4:5], s[4:5], s[8:9]
	s_or_b64 exec, exec, s[6:7]
	s_and_saveexec_b64 s[6:7], s[4:5]
	s_cbranch_execnz .LBB28_1691
	s_branch .LBB28_1692
.LBB28_3741:
	s_movk_i32 s4, 0x80
	v_cmp_eq_u16_sdwa s[12:13], v2, s4 src0_sel:BYTE_3 src1_sel:DWORD
	s_mov_b64 s[4:5], -1
                                        ; implicit-def: $sgpr10
	s_and_saveexec_b64 s[8:9], s[12:13]
; %bb.3742:
	s_mov_b32 s10, 0x7f800001
	s_xor_b64 s[4:5], exec, -1
; %bb.3743:
	s_or_b64 exec, exec, s[8:9]
	s_and_b64 s[4:5], s[4:5], exec
	s_or_saveexec_b64 s[6:7], s[6:7]
	v_mov_b32_e32 v6, s10
	s_xor_b64 exec, exec, s[6:7]
	s_cbranch_execz .LBB28_1694
.LBB28_3744:
	v_mov_b32_e32 v6, 0
	v_cmp_ne_u16_sdwa s[8:9], v2, v6 src0_sel:BYTE_3 src1_sel:DWORD
	s_andn2_b64 s[4:5], s[4:5], exec
	s_and_b64 s[8:9], s[8:9], exec
	s_or_b64 s[4:5], s[4:5], s[8:9]
	s_or_b64 exec, exec, s[6:7]
	s_and_saveexec_b64 s[6:7], s[4:5]
	s_cbranch_execnz .LBB28_1695
	s_branch .LBB28_1696
.LBB28_3745:
	s_movk_i32 s4, 0x80
	v_cmp_eq_u16_sdwa s[12:13], v7, s4 src0_sel:BYTE_0 src1_sel:DWORD
	s_mov_b64 s[4:5], -1
                                        ; implicit-def: $sgpr10
	s_and_saveexec_b64 s[8:9], s[12:13]
; %bb.3746:
	s_mov_b32 s10, 0x7f800001
	s_xor_b64 s[4:5], exec, -1
; %bb.3747:
	s_or_b64 exec, exec, s[8:9]
	s_and_b64 s[4:5], s[4:5], exec
	s_or_saveexec_b64 s[6:7], s[6:7]
	v_mov_b32_e32 v2, s10
	s_xor_b64 exec, exec, s[6:7]
	s_cbranch_execz .LBB28_1698
.LBB28_3748:
	v_mov_b32_e32 v2, 0
	v_cmp_ne_u16_sdwa s[8:9], v7, v2 src0_sel:BYTE_0 src1_sel:DWORD
	s_andn2_b64 s[4:5], s[4:5], exec
	s_and_b64 s[8:9], s[8:9], exec
	s_or_b64 s[4:5], s[4:5], s[8:9]
	s_or_b64 exec, exec, s[6:7]
	s_and_saveexec_b64 s[6:7], s[4:5]
	s_cbranch_execnz .LBB28_1699
	s_branch .LBB28_1700
.LBB28_3749:
	s_movk_i32 s4, 0x80
	v_cmp_eq_u16_sdwa s[12:13], v3, s4 src0_sel:BYTE_0 src1_sel:DWORD
	s_mov_b64 s[4:5], -1
                                        ; implicit-def: $sgpr10
	s_and_saveexec_b64 s[8:9], s[12:13]
; %bb.3750:
	s_mov_b32 s10, 0x7f800001
	s_xor_b64 s[4:5], exec, -1
; %bb.3751:
	s_or_b64 exec, exec, s[8:9]
	s_and_b64 s[4:5], s[4:5], exec
	s_or_saveexec_b64 s[6:7], s[6:7]
	v_mov_b32_e32 v6, s10
	s_xor_b64 exec, exec, s[6:7]
	s_cbranch_execz .LBB28_1702
.LBB28_3752:
	v_mov_b32_e32 v6, 0
	v_cmp_ne_u16_sdwa s[8:9], v3, v6 src0_sel:BYTE_0 src1_sel:DWORD
	s_andn2_b64 s[4:5], s[4:5], exec
	s_and_b64 s[8:9], s[8:9], exec
	s_or_b64 s[4:5], s[4:5], s[8:9]
	s_or_b64 exec, exec, s[6:7]
	s_and_saveexec_b64 s[6:7], s[4:5]
	s_cbranch_execnz .LBB28_1703
	s_branch .LBB28_1704
.LBB28_3753:
	s_movk_i32 s4, 0x80
	v_cmp_eq_u16_sdwa s[12:13], v6, s4 src0_sel:BYTE_0 src1_sel:DWORD
	s_mov_b64 s[4:5], -1
                                        ; implicit-def: $sgpr10
	s_and_saveexec_b64 s[8:9], s[12:13]
; %bb.3754:
	s_mov_b32 s10, 0x7f800001
	s_xor_b64 s[4:5], exec, -1
; %bb.3755:
	s_or_b64 exec, exec, s[8:9]
	s_and_b64 s[4:5], s[4:5], exec
	s_or_saveexec_b64 s[6:7], s[6:7]
	v_mov_b32_e32 v2, s10
	s_xor_b64 exec, exec, s[6:7]
	s_cbranch_execz .LBB28_1706
.LBB28_3756:
	v_mov_b32_e32 v2, 0
	v_cmp_ne_u16_sdwa s[8:9], v6, v2 src0_sel:BYTE_0 src1_sel:DWORD
	s_andn2_b64 s[4:5], s[4:5], exec
	s_and_b64 s[8:9], s[8:9], exec
	s_or_b64 s[4:5], s[4:5], s[8:9]
	s_or_b64 exec, exec, s[6:7]
	s_and_saveexec_b64 s[6:7], s[4:5]
	s_cbranch_execnz .LBB28_1707
	s_branch .LBB28_1708
.LBB28_3757:
	s_movk_i32 s4, 0x80
	v_cmp_eq_u16_sdwa s[12:13], v6, s4 src0_sel:BYTE_0 src1_sel:DWORD
	s_mov_b64 s[4:5], -1
                                        ; implicit-def: $sgpr10
	s_and_saveexec_b64 s[8:9], s[12:13]
; %bb.3758:
	s_mov_b32 s10, 0x7f800001
	s_xor_b64 s[4:5], exec, -1
; %bb.3759:
	s_or_b64 exec, exec, s[8:9]
	s_and_b64 s[4:5], s[4:5], exec
	s_or_saveexec_b64 s[6:7], s[6:7]
	v_mov_b32_e32 v10, s10
	s_xor_b64 exec, exec, s[6:7]
	s_cbranch_execz .LBB28_1710
.LBB28_3760:
	v_mov_b32_e32 v10, 0
	v_cmp_ne_u16_sdwa s[8:9], v6, v10 src0_sel:BYTE_0 src1_sel:DWORD
	s_andn2_b64 s[4:5], s[4:5], exec
	s_and_b64 s[8:9], s[8:9], exec
	s_or_b64 s[4:5], s[4:5], s[8:9]
	s_or_b64 exec, exec, s[6:7]
	s_and_saveexec_b64 s[6:7], s[4:5]
	s_cbranch_execnz .LBB28_1711
	s_branch .LBB28_1712
.LBB28_3761:
	s_movk_i32 s4, 0x80
	v_cmp_eq_u16_e32 vcc, s4, v6
	s_mov_b64 s[4:5], -1
                                        ; implicit-def: $sgpr10
	s_and_saveexec_b64 s[8:9], vcc
; %bb.3762:
	s_mov_b32 s10, 0x7f800001
	s_xor_b64 s[4:5], exec, -1
; %bb.3763:
	s_or_b64 exec, exec, s[8:9]
	s_and_b64 s[4:5], s[4:5], exec
                                        ; implicit-def: $vgpr6
	s_or_saveexec_b64 s[6:7], s[6:7]
	v_mov_b32_e32 v2, s10
	s_xor_b64 exec, exec, s[6:7]
	s_cbranch_execz .LBB28_1714
.LBB28_3764:
	v_cmp_ne_u16_e32 vcc, 0, v6
	s_andn2_b64 s[4:5], s[4:5], exec
	s_and_b64 s[8:9], vcc, exec
	v_mov_b32_e32 v2, 0
	s_or_b64 s[4:5], s[4:5], s[8:9]
	s_or_b64 exec, exec, s[6:7]
	s_and_saveexec_b64 s[6:7], s[4:5]
	s_cbranch_execnz .LBB28_1715
	s_branch .LBB28_1716
.LBB28_3765:
	s_movk_i32 s4, 0x80
	v_cmp_eq_u16_e32 vcc, s4, v6
	s_mov_b64 s[4:5], -1
                                        ; implicit-def: $sgpr10
	s_and_saveexec_b64 s[8:9], vcc
; %bb.3766:
	s_mov_b32 s10, 0x7f800001
	s_xor_b64 s[4:5], exec, -1
; %bb.3767:
	s_or_b64 exec, exec, s[8:9]
	s_and_b64 s[4:5], s[4:5], exec
                                        ; implicit-def: $vgpr6
	s_or_saveexec_b64 s[6:7], s[6:7]
	v_mov_b32_e32 v10, s10
	s_xor_b64 exec, exec, s[6:7]
	s_cbranch_execz .LBB28_1718
.LBB28_3768:
	v_cmp_ne_u16_e32 vcc, 0, v6
	s_andn2_b64 s[4:5], s[4:5], exec
	s_and_b64 s[8:9], vcc, exec
	v_mov_b32_e32 v10, 0
	s_or_b64 s[4:5], s[4:5], s[8:9]
	s_or_b64 exec, exec, s[6:7]
	s_and_saveexec_b64 s[6:7], s[4:5]
	s_cbranch_execnz .LBB28_1719
	s_branch .LBB28_1720
.LBB28_3769:
	s_movk_i32 s4, 0x80
	v_cmp_eq_u16_sdwa s[12:13], v7, s4 src0_sel:BYTE_3 src1_sel:DWORD
	s_mov_b64 s[4:5], -1
                                        ; implicit-def: $sgpr10
	s_and_saveexec_b64 s[8:9], s[12:13]
; %bb.3770:
	s_mov_b32 s10, 0x7f800001
	s_xor_b64 s[4:5], exec, -1
; %bb.3771:
	s_or_b64 exec, exec, s[8:9]
	s_and_b64 s[4:5], s[4:5], exec
	s_or_saveexec_b64 s[6:7], s[6:7]
	v_mov_b32_e32 v2, s10
	s_xor_b64 exec, exec, s[6:7]
	s_cbranch_execz .LBB28_1722
.LBB28_3772:
	v_mov_b32_e32 v2, 0
	v_cmp_ne_u16_sdwa s[8:9], v7, v2 src0_sel:BYTE_3 src1_sel:DWORD
	s_andn2_b64 s[4:5], s[4:5], exec
	s_and_b64 s[8:9], s[8:9], exec
	s_or_b64 s[4:5], s[4:5], s[8:9]
	s_or_b64 exec, exec, s[6:7]
	s_and_saveexec_b64 s[6:7], s[4:5]
	s_cbranch_execnz .LBB28_1723
	s_branch .LBB28_1724
.LBB28_3773:
	s_movk_i32 s4, 0x80
	v_cmp_eq_u16_sdwa s[12:13], v3, s4 src0_sel:BYTE_3 src1_sel:DWORD
	s_mov_b64 s[4:5], -1
                                        ; implicit-def: $sgpr10
	s_and_saveexec_b64 s[8:9], s[12:13]
; %bb.3774:
	s_mov_b32 s10, 0x7f800001
	s_xor_b64 s[4:5], exec, -1
; %bb.3775:
	s_or_b64 exec, exec, s[8:9]
	s_and_b64 s[4:5], s[4:5], exec
	s_or_saveexec_b64 s[6:7], s[6:7]
	v_mov_b32_e32 v6, s10
	s_xor_b64 exec, exec, s[6:7]
	s_cbranch_execz .LBB28_1726
.LBB28_3776:
	v_mov_b32_e32 v6, 0
	v_cmp_ne_u16_sdwa s[8:9], v3, v6 src0_sel:BYTE_3 src1_sel:DWORD
	s_andn2_b64 s[4:5], s[4:5], exec
	s_and_b64 s[8:9], s[8:9], exec
	s_or_b64 s[4:5], s[4:5], s[8:9]
	s_or_b64 exec, exec, s[6:7]
	s_and_saveexec_b64 s[6:7], s[4:5]
	s_cbranch_execnz .LBB28_1727
	s_branch .LBB28_1728
.LBB28_3777:
	s_movk_i32 s4, 0x80
	v_cmp_eq_u16_sdwa s[12:13], v8, s4 src0_sel:BYTE_0 src1_sel:DWORD
	s_mov_b64 s[4:5], -1
                                        ; implicit-def: $sgpr10
	s_and_saveexec_b64 s[8:9], s[12:13]
; %bb.3778:
	s_mov_b32 s10, 0x7f800001
	s_xor_b64 s[4:5], exec, -1
; %bb.3779:
	s_or_b64 exec, exec, s[8:9]
	s_and_b64 s[4:5], s[4:5], exec
	s_or_saveexec_b64 s[6:7], s[6:7]
	v_mov_b32_e32 v2, s10
	s_xor_b64 exec, exec, s[6:7]
	s_cbranch_execz .LBB28_1730
.LBB28_3780:
	v_mov_b32_e32 v2, 0
	v_cmp_ne_u16_sdwa s[8:9], v8, v2 src0_sel:BYTE_0 src1_sel:DWORD
	s_andn2_b64 s[4:5], s[4:5], exec
	s_and_b64 s[8:9], s[8:9], exec
	s_or_b64 s[4:5], s[4:5], s[8:9]
	s_or_b64 exec, exec, s[6:7]
	s_and_saveexec_b64 s[6:7], s[4:5]
	s_cbranch_execnz .LBB28_1731
	s_branch .LBB28_1732
.LBB28_3781:
	s_movk_i32 s4, 0x80
	v_cmp_eq_u16_sdwa s[12:13], v4, s4 src0_sel:BYTE_0 src1_sel:DWORD
	s_mov_b64 s[4:5], -1
                                        ; implicit-def: $sgpr10
	s_and_saveexec_b64 s[8:9], s[12:13]
; %bb.3782:
	s_mov_b32 s10, 0x7f800001
	s_xor_b64 s[4:5], exec, -1
; %bb.3783:
	s_or_b64 exec, exec, s[8:9]
	s_and_b64 s[4:5], s[4:5], exec
	s_or_saveexec_b64 s[6:7], s[6:7]
	v_mov_b32_e32 v3, s10
	s_xor_b64 exec, exec, s[6:7]
	s_cbranch_execz .LBB28_1734
.LBB28_3784:
	v_mov_b32_e32 v3, 0
	v_cmp_ne_u16_sdwa s[8:9], v4, v3 src0_sel:BYTE_0 src1_sel:DWORD
	s_andn2_b64 s[4:5], s[4:5], exec
	s_and_b64 s[8:9], s[8:9], exec
	s_or_b64 s[4:5], s[4:5], s[8:9]
	s_or_b64 exec, exec, s[6:7]
	s_and_saveexec_b64 s[6:7], s[4:5]
	s_cbranch_execnz .LBB28_1735
	s_branch .LBB28_1736
.LBB28_3785:
	s_movk_i32 s4, 0x80
	v_cmp_eq_u16_sdwa s[12:13], v3, s4 src0_sel:BYTE_0 src1_sel:DWORD
	s_mov_b64 s[4:5], -1
                                        ; implicit-def: $sgpr10
	s_and_saveexec_b64 s[8:9], s[12:13]
; %bb.3786:
	s_mov_b32 s10, 0x7f800001
	s_xor_b64 s[4:5], exec, -1
; %bb.3787:
	s_or_b64 exec, exec, s[8:9]
	s_and_b64 s[4:5], s[4:5], exec
	s_or_saveexec_b64 s[6:7], s[6:7]
	v_mov_b32_e32 v2, s10
	s_xor_b64 exec, exec, s[6:7]
	s_cbranch_execz .LBB28_1738
.LBB28_3788:
	v_mov_b32_e32 v2, 0
	v_cmp_ne_u16_sdwa s[8:9], v3, v2 src0_sel:BYTE_0 src1_sel:DWORD
	s_andn2_b64 s[4:5], s[4:5], exec
	s_and_b64 s[8:9], s[8:9], exec
	s_or_b64 s[4:5], s[4:5], s[8:9]
	s_or_b64 exec, exec, s[6:7]
	s_and_saveexec_b64 s[6:7], s[4:5]
	s_cbranch_execnz .LBB28_1739
	s_branch .LBB28_1740
.LBB28_3789:
	s_movk_i32 s4, 0x80
	v_cmp_eq_u16_sdwa s[12:13], v3, s4 src0_sel:BYTE_0 src1_sel:DWORD
	s_mov_b64 s[4:5], -1
                                        ; implicit-def: $sgpr10
	s_and_saveexec_b64 s[8:9], s[12:13]
; %bb.3790:
	s_mov_b32 s10, 0x7f800001
	s_xor_b64 s[4:5], exec, -1
; %bb.3791:
	s_or_b64 exec, exec, s[8:9]
	s_and_b64 s[4:5], s[4:5], exec
	s_or_saveexec_b64 s[6:7], s[6:7]
	v_mov_b32_e32 v6, s10
	s_xor_b64 exec, exec, s[6:7]
	s_cbranch_execz .LBB28_1742
.LBB28_3792:
	v_mov_b32_e32 v6, 0
	v_cmp_ne_u16_sdwa s[8:9], v3, v6 src0_sel:BYTE_0 src1_sel:DWORD
	s_andn2_b64 s[4:5], s[4:5], exec
	s_and_b64 s[8:9], s[8:9], exec
	s_or_b64 s[4:5], s[4:5], s[8:9]
	s_or_b64 exec, exec, s[6:7]
	s_and_saveexec_b64 s[6:7], s[4:5]
	s_cbranch_execnz .LBB28_1743
	s_branch .LBB28_1744
.LBB28_3793:
	s_movk_i32 s4, 0x80
	v_cmp_eq_u16_e32 vcc, s4, v3
	s_mov_b64 s[4:5], -1
                                        ; implicit-def: $sgpr10
	s_and_saveexec_b64 s[8:9], vcc
; %bb.3794:
	s_mov_b32 s10, 0x7f800001
	s_xor_b64 s[4:5], exec, -1
; %bb.3795:
	s_or_b64 exec, exec, s[8:9]
	s_and_b64 s[4:5], s[4:5], exec
                                        ; implicit-def: $vgpr3
	s_or_saveexec_b64 s[6:7], s[6:7]
	v_mov_b32_e32 v2, s10
	s_xor_b64 exec, exec, s[6:7]
	s_cbranch_execz .LBB28_1746
.LBB28_3796:
	v_cmp_ne_u16_e32 vcc, 0, v3
	s_andn2_b64 s[4:5], s[4:5], exec
	s_and_b64 s[8:9], vcc, exec
	v_mov_b32_e32 v2, 0
	s_or_b64 s[4:5], s[4:5], s[8:9]
	s_or_b64 exec, exec, s[6:7]
	s_and_saveexec_b64 s[6:7], s[4:5]
	s_cbranch_execnz .LBB28_1747
	s_branch .LBB28_1748
.LBB28_3797:
	s_movk_i32 s4, 0x80
	v_cmp_eq_u16_e32 vcc, s4, v3
	s_mov_b64 s[4:5], -1
                                        ; implicit-def: $sgpr10
	s_and_saveexec_b64 s[8:9], vcc
; %bb.3798:
	s_mov_b32 s10, 0x7f800001
	s_xor_b64 s[4:5], exec, -1
; %bb.3799:
	s_or_b64 exec, exec, s[8:9]
	s_and_b64 s[4:5], s[4:5], exec
                                        ; implicit-def: $vgpr3
	s_or_saveexec_b64 s[6:7], s[6:7]
	v_mov_b32_e32 v6, s10
	s_xor_b64 exec, exec, s[6:7]
	s_cbranch_execz .LBB28_1750
.LBB28_3800:
	v_cmp_ne_u16_e32 vcc, 0, v3
	s_andn2_b64 s[4:5], s[4:5], exec
	s_and_b64 s[8:9], vcc, exec
	v_mov_b32_e32 v6, 0
	s_or_b64 s[4:5], s[4:5], s[8:9]
	s_or_b64 exec, exec, s[6:7]
	s_and_saveexec_b64 s[6:7], s[4:5]
	s_cbranch_execnz .LBB28_1751
	s_branch .LBB28_1752
.LBB28_3801:
	s_movk_i32 s4, 0x80
	v_cmp_eq_u16_sdwa s[12:13], v8, s4 src0_sel:BYTE_3 src1_sel:DWORD
	s_mov_b64 s[4:5], -1
                                        ; implicit-def: $sgpr10
	s_and_saveexec_b64 s[8:9], s[12:13]
; %bb.3802:
	s_mov_b32 s10, 0x7f800001
	s_xor_b64 s[4:5], exec, -1
; %bb.3803:
	s_or_b64 exec, exec, s[8:9]
	s_and_b64 s[4:5], s[4:5], exec
	s_or_saveexec_b64 s[6:7], s[6:7]
	v_mov_b32_e32 v2, s10
	s_xor_b64 exec, exec, s[6:7]
	s_cbranch_execz .LBB28_1754
.LBB28_3804:
	v_mov_b32_e32 v2, 0
	v_cmp_ne_u16_sdwa s[8:9], v8, v2 src0_sel:BYTE_3 src1_sel:DWORD
	s_andn2_b64 s[4:5], s[4:5], exec
	s_and_b64 s[8:9], s[8:9], exec
	s_or_b64 s[4:5], s[4:5], s[8:9]
	s_or_b64 exec, exec, s[6:7]
	s_and_saveexec_b64 s[6:7], s[4:5]
	s_cbranch_execnz .LBB28_1755
	s_branch .LBB28_1756
.LBB28_3805:
	s_movk_i32 s4, 0x80
	v_cmp_eq_u16_sdwa s[12:13], v4, s4 src0_sel:BYTE_3 src1_sel:DWORD
	s_mov_b64 s[4:5], -1
                                        ; implicit-def: $sgpr10
	s_and_saveexec_b64 s[8:9], s[12:13]
; %bb.3806:
	s_mov_b32 s10, 0x7f800001
	s_xor_b64 s[4:5], exec, -1
; %bb.3807:
	s_or_b64 exec, exec, s[8:9]
	s_and_b64 s[4:5], s[4:5], exec
	s_or_saveexec_b64 s[6:7], s[6:7]
	v_mov_b32_e32 v3, s10
	s_xor_b64 exec, exec, s[6:7]
	s_cbranch_execz .LBB28_1758
.LBB28_3808:
	v_mov_b32_e32 v3, 0
	v_cmp_ne_u16_sdwa s[8:9], v4, v3 src0_sel:BYTE_3 src1_sel:DWORD
	s_andn2_b64 s[4:5], s[4:5], exec
	s_and_b64 s[8:9], s[8:9], exec
	s_or_b64 s[4:5], s[4:5], s[8:9]
	s_or_b64 exec, exec, s[6:7]
	s_and_saveexec_b64 s[6:7], s[4:5]
	s_cbranch_execnz .LBB28_1759
	s_branch .LBB28_1760
.LBB28_3809:
	s_movk_i32 s4, 0x80
	v_cmp_eq_u16_sdwa s[12:13], v9, s4 src0_sel:BYTE_0 src1_sel:DWORD
	s_mov_b64 s[4:5], -1
                                        ; implicit-def: $sgpr10
	s_and_saveexec_b64 s[8:9], s[12:13]
; %bb.3810:
	s_mov_b32 s10, 0x7f800001
	s_xor_b64 s[4:5], exec, -1
; %bb.3811:
	s_or_b64 exec, exec, s[8:9]
	s_and_b64 s[4:5], s[4:5], exec
	s_or_saveexec_b64 s[6:7], s[6:7]
	v_mov_b32_e32 v2, s10
	s_xor_b64 exec, exec, s[6:7]
	s_cbranch_execz .LBB28_1762
.LBB28_3812:
	v_mov_b32_e32 v2, 0
	v_cmp_ne_u16_sdwa s[8:9], v9, v2 src0_sel:BYTE_0 src1_sel:DWORD
	s_andn2_b64 s[4:5], s[4:5], exec
	s_and_b64 s[8:9], s[8:9], exec
	s_or_b64 s[4:5], s[4:5], s[8:9]
	s_or_b64 exec, exec, s[6:7]
	s_and_saveexec_b64 s[6:7], s[4:5]
	s_cbranch_execnz .LBB28_1763
	s_branch .LBB28_1764
.LBB28_3813:
	s_movk_i32 s4, 0x80
	v_cmp_eq_u16_sdwa s[12:13], v5, s4 src0_sel:BYTE_0 src1_sel:DWORD
	s_mov_b64 s[4:5], -1
                                        ; implicit-def: $sgpr10
	s_and_saveexec_b64 s[8:9], s[12:13]
; %bb.3814:
	s_mov_b32 s10, 0x7f800001
	s_xor_b64 s[4:5], exec, -1
; %bb.3815:
	s_or_b64 exec, exec, s[8:9]
	s_and_b64 s[4:5], s[4:5], exec
	s_or_saveexec_b64 s[6:7], s[6:7]
	v_mov_b32_e32 v3, s10
	s_xor_b64 exec, exec, s[6:7]
	s_cbranch_execz .LBB28_1766
.LBB28_3816:
	v_mov_b32_e32 v3, 0
	v_cmp_ne_u16_sdwa s[8:9], v5, v3 src0_sel:BYTE_0 src1_sel:DWORD
	s_andn2_b64 s[4:5], s[4:5], exec
	s_and_b64 s[8:9], s[8:9], exec
	s_or_b64 s[4:5], s[4:5], s[8:9]
	s_or_b64 exec, exec, s[6:7]
	s_and_saveexec_b64 s[6:7], s[4:5]
	s_cbranch_execnz .LBB28_1767
	s_branch .LBB28_1768
.LBB28_3817:
	s_movk_i32 s4, 0x80
	v_cmp_eq_u16_sdwa s[12:13], v3, s4 src0_sel:BYTE_0 src1_sel:DWORD
	s_mov_b64 s[4:5], -1
                                        ; implicit-def: $sgpr10
	s_and_saveexec_b64 s[8:9], s[12:13]
; %bb.3818:
	s_mov_b32 s10, 0x7f800001
	s_xor_b64 s[4:5], exec, -1
; %bb.3819:
	s_or_b64 exec, exec, s[8:9]
	s_and_b64 s[4:5], s[4:5], exec
	s_or_saveexec_b64 s[6:7], s[6:7]
	v_mov_b32_e32 v2, s10
	s_xor_b64 exec, exec, s[6:7]
	s_cbranch_execz .LBB28_1770
.LBB28_3820:
	v_mov_b32_e32 v2, 0
	v_cmp_ne_u16_sdwa s[8:9], v3, v2 src0_sel:BYTE_0 src1_sel:DWORD
	s_andn2_b64 s[4:5], s[4:5], exec
	s_and_b64 s[8:9], s[8:9], exec
	s_or_b64 s[4:5], s[4:5], s[8:9]
	s_or_b64 exec, exec, s[6:7]
	s_and_saveexec_b64 s[6:7], s[4:5]
	s_cbranch_execnz .LBB28_1771
	s_branch .LBB28_1772
.LBB28_3821:
	s_movk_i32 s4, 0x80
	v_cmp_eq_u16_sdwa s[12:13], v3, s4 src0_sel:BYTE_0 src1_sel:DWORD
	s_mov_b64 s[4:5], -1
                                        ; implicit-def: $sgpr10
	s_and_saveexec_b64 s[8:9], s[12:13]
; %bb.3822:
	s_mov_b32 s10, 0x7f800001
	s_xor_b64 s[4:5], exec, -1
; %bb.3823:
	s_or_b64 exec, exec, s[8:9]
	s_and_b64 s[4:5], s[4:5], exec
	s_or_saveexec_b64 s[6:7], s[6:7]
	v_mov_b32_e32 v4, s10
	s_xor_b64 exec, exec, s[6:7]
	s_cbranch_execz .LBB28_1774
.LBB28_3824:
	v_mov_b32_e32 v4, 0
	v_cmp_ne_u16_sdwa s[8:9], v3, v4 src0_sel:BYTE_0 src1_sel:DWORD
	s_andn2_b64 s[4:5], s[4:5], exec
	s_and_b64 s[8:9], s[8:9], exec
	s_or_b64 s[4:5], s[4:5], s[8:9]
	s_or_b64 exec, exec, s[6:7]
	s_and_saveexec_b64 s[6:7], s[4:5]
	s_cbranch_execnz .LBB28_1775
	s_branch .LBB28_1776
.LBB28_3825:
	s_movk_i32 s4, 0x80
	v_cmp_eq_u16_e32 vcc, s4, v3
	s_mov_b64 s[4:5], -1
                                        ; implicit-def: $sgpr10
	s_and_saveexec_b64 s[8:9], vcc
; %bb.3826:
	s_mov_b32 s10, 0x7f800001
	s_xor_b64 s[4:5], exec, -1
; %bb.3827:
	s_or_b64 exec, exec, s[8:9]
	s_and_b64 s[4:5], s[4:5], exec
                                        ; implicit-def: $vgpr3
	s_or_saveexec_b64 s[6:7], s[6:7]
	v_mov_b32_e32 v2, s10
	s_xor_b64 exec, exec, s[6:7]
	s_cbranch_execz .LBB28_1778
.LBB28_3828:
	v_cmp_ne_u16_e32 vcc, 0, v3
	s_andn2_b64 s[4:5], s[4:5], exec
	s_and_b64 s[8:9], vcc, exec
	v_mov_b32_e32 v2, 0
	s_or_b64 s[4:5], s[4:5], s[8:9]
	s_or_b64 exec, exec, s[6:7]
	s_and_saveexec_b64 s[6:7], s[4:5]
	s_cbranch_execnz .LBB28_1779
	s_branch .LBB28_1780
.LBB28_3829:
	s_movk_i32 s4, 0x80
	v_cmp_eq_u16_e32 vcc, s4, v3
	s_mov_b64 s[4:5], -1
                                        ; implicit-def: $sgpr10
	s_and_saveexec_b64 s[8:9], vcc
; %bb.3830:
	s_mov_b32 s10, 0x7f800001
	s_xor_b64 s[4:5], exec, -1
; %bb.3831:
	s_or_b64 exec, exec, s[8:9]
	s_and_b64 s[4:5], s[4:5], exec
                                        ; implicit-def: $vgpr3
	s_or_saveexec_b64 s[6:7], s[6:7]
	v_mov_b32_e32 v4, s10
	s_xor_b64 exec, exec, s[6:7]
	s_cbranch_execz .LBB28_1782
.LBB28_3832:
	v_cmp_ne_u16_e32 vcc, 0, v3
	s_andn2_b64 s[4:5], s[4:5], exec
	s_and_b64 s[8:9], vcc, exec
	v_mov_b32_e32 v4, 0
	s_or_b64 s[4:5], s[4:5], s[8:9]
	s_or_b64 exec, exec, s[6:7]
	s_and_saveexec_b64 s[6:7], s[4:5]
	s_cbranch_execnz .LBB28_1783
	s_branch .LBB28_1784
.LBB28_3833:
	s_movk_i32 s4, 0x80
	v_cmp_eq_u16_sdwa s[12:13], v9, s4 src0_sel:BYTE_3 src1_sel:DWORD
	s_mov_b64 s[4:5], -1
                                        ; implicit-def: $sgpr10
	s_and_saveexec_b64 s[8:9], s[12:13]
; %bb.3834:
	s_mov_b32 s10, 0x7f800001
	s_xor_b64 s[4:5], exec, -1
; %bb.3835:
	s_or_b64 exec, exec, s[8:9]
	s_and_b64 s[4:5], s[4:5], exec
	s_or_saveexec_b64 s[6:7], s[6:7]
	v_mov_b32_e32 v2, s10
	s_xor_b64 exec, exec, s[6:7]
	s_cbranch_execz .LBB28_1786
.LBB28_3836:
	v_mov_b32_e32 v2, 0
	v_cmp_ne_u16_sdwa s[8:9], v9, v2 src0_sel:BYTE_3 src1_sel:DWORD
	s_andn2_b64 s[4:5], s[4:5], exec
	s_and_b64 s[8:9], s[8:9], exec
	s_or_b64 s[4:5], s[4:5], s[8:9]
	s_or_b64 exec, exec, s[6:7]
	s_and_saveexec_b64 s[6:7], s[4:5]
	s_cbranch_execnz .LBB28_1787
	s_branch .LBB28_1788
.LBB28_3837:
	s_movk_i32 s4, 0x80
	v_cmp_eq_u16_sdwa s[12:13], v5, s4 src0_sel:BYTE_3 src1_sel:DWORD
	s_mov_b64 s[4:5], -1
                                        ; implicit-def: $sgpr10
	s_and_saveexec_b64 s[8:9], s[12:13]
; %bb.3838:
	s_mov_b32 s10, 0x7f800001
	s_xor_b64 s[4:5], exec, -1
; %bb.3839:
	s_or_b64 exec, exec, s[8:9]
	s_and_b64 s[4:5], s[4:5], exec
	s_or_saveexec_b64 s[6:7], s[6:7]
	v_mov_b32_e32 v3, s10
	s_xor_b64 exec, exec, s[6:7]
	s_cbranch_execz .LBB28_1790
.LBB28_3840:
	v_mov_b32_e32 v3, 0
	v_cmp_ne_u16_sdwa s[8:9], v5, v3 src0_sel:BYTE_3 src1_sel:DWORD
	s_andn2_b64 s[4:5], s[4:5], exec
	s_and_b64 s[8:9], s[8:9], exec
	s_or_b64 s[4:5], s[4:5], s[8:9]
	s_or_b64 exec, exec, s[6:7]
	s_and_saveexec_b64 s[6:7], s[4:5]
	s_cbranch_execnz .LBB28_1791
	s_branch .LBB28_1792
.LBB28_3841:
	s_movk_i32 s4, 0x80
	v_cmp_eq_u16_sdwa s[12:13], v12, s4 src0_sel:BYTE_0 src1_sel:DWORD
	s_mov_b64 s[4:5], -1
                                        ; implicit-def: $sgpr10
	s_and_saveexec_b64 s[8:9], s[12:13]
; %bb.3842:
	s_mov_b32 s10, 0x7f800001
	s_xor_b64 s[4:5], exec, -1
; %bb.3843:
	s_or_b64 exec, exec, s[8:9]
	s_and_b64 s[4:5], s[4:5], exec
	s_or_saveexec_b64 s[6:7], s[6:7]
	v_mov_b32_e32 v18, s10
	s_xor_b64 exec, exec, s[6:7]
	s_cbranch_execz .LBB28_1794
.LBB28_3844:
	v_mov_b32_e32 v18, 0
	v_cmp_ne_u16_sdwa s[8:9], v12, v18 src0_sel:BYTE_0 src1_sel:DWORD
	s_andn2_b64 s[4:5], s[4:5], exec
	s_and_b64 s[8:9], s[8:9], exec
	s_or_b64 s[4:5], s[4:5], s[8:9]
	s_or_b64 exec, exec, s[6:7]
	s_and_saveexec_b64 s[6:7], s[4:5]
	s_cbranch_execnz .LBB28_1795
	s_branch .LBB28_1796
.LBB28_3845:
	s_movk_i32 s4, 0x80
	v_cmp_eq_u16_sdwa s[12:13], v8, s4 src0_sel:BYTE_0 src1_sel:DWORD
	s_mov_b64 s[4:5], -1
                                        ; implicit-def: $sgpr10
	s_and_saveexec_b64 s[8:9], s[12:13]
; %bb.3846:
	s_mov_b32 s10, 0x7f800001
	s_xor_b64 s[4:5], exec, -1
; %bb.3847:
	s_or_b64 exec, exec, s[8:9]
	s_and_b64 s[4:5], s[4:5], exec
	s_or_saveexec_b64 s[6:7], s[6:7]
	v_mov_b32_e32 v19, s10
	s_xor_b64 exec, exec, s[6:7]
	s_cbranch_execz .LBB28_1798
.LBB28_3848:
	v_mov_b32_e32 v19, 0
	v_cmp_ne_u16_sdwa s[8:9], v8, v19 src0_sel:BYTE_0 src1_sel:DWORD
	s_andn2_b64 s[4:5], s[4:5], exec
	s_and_b64 s[8:9], s[8:9], exec
	s_or_b64 s[4:5], s[4:5], s[8:9]
	s_or_b64 exec, exec, s[6:7]
	s_and_saveexec_b64 s[6:7], s[4:5]
	s_cbranch_execnz .LBB28_1799
	s_branch .LBB28_1800
.LBB28_3849:
	s_movk_i32 s4, 0x80
	v_cmp_eq_u16_sdwa s[12:13], v19, s4 src0_sel:BYTE_0 src1_sel:DWORD
	s_mov_b64 s[4:5], -1
                                        ; implicit-def: $sgpr10
	s_and_saveexec_b64 s[8:9], s[12:13]
; %bb.3850:
	s_mov_b32 s10, 0x7f800001
	s_xor_b64 s[4:5], exec, -1
; %bb.3851:
	s_or_b64 exec, exec, s[8:9]
	s_and_b64 s[4:5], s[4:5], exec
	s_or_saveexec_b64 s[6:7], s[6:7]
	v_mov_b32_e32 v18, s10
	s_xor_b64 exec, exec, s[6:7]
	s_cbranch_execz .LBB28_1802
.LBB28_3852:
	v_mov_b32_e32 v18, 0
	v_cmp_ne_u16_sdwa s[8:9], v19, v18 src0_sel:BYTE_0 src1_sel:DWORD
	s_andn2_b64 s[4:5], s[4:5], exec
	s_and_b64 s[8:9], s[8:9], exec
	s_or_b64 s[4:5], s[4:5], s[8:9]
	s_or_b64 exec, exec, s[6:7]
	s_and_saveexec_b64 s[6:7], s[4:5]
	s_cbranch_execnz .LBB28_1803
	s_branch .LBB28_1804
.LBB28_3853:
	s_movk_i32 s4, 0x80
	v_cmp_eq_u16_sdwa s[12:13], v19, s4 src0_sel:BYTE_0 src1_sel:DWORD
	s_mov_b64 s[4:5], -1
                                        ; implicit-def: $sgpr10
	s_and_saveexec_b64 s[8:9], s[12:13]
; %bb.3854:
	s_mov_b32 s10, 0x7f800001
	s_xor_b64 s[4:5], exec, -1
; %bb.3855:
	s_or_b64 exec, exec, s[8:9]
	s_and_b64 s[4:5], s[4:5], exec
	s_or_saveexec_b64 s[6:7], s[6:7]
	v_mov_b32_e32 v20, s10
	s_xor_b64 exec, exec, s[6:7]
	s_cbranch_execz .LBB28_1806
.LBB28_3856:
	v_mov_b32_e32 v20, 0
	v_cmp_ne_u16_sdwa s[8:9], v19, v20 src0_sel:BYTE_0 src1_sel:DWORD
	s_andn2_b64 s[4:5], s[4:5], exec
	s_and_b64 s[8:9], s[8:9], exec
	s_or_b64 s[4:5], s[4:5], s[8:9]
	s_or_b64 exec, exec, s[6:7]
	s_and_saveexec_b64 s[6:7], s[4:5]
	s_cbranch_execnz .LBB28_1807
	s_branch .LBB28_1808
.LBB28_3857:
	s_movk_i32 s4, 0x80
	v_cmp_eq_u16_e32 vcc, s4, v19
	s_mov_b64 s[4:5], -1
                                        ; implicit-def: $sgpr10
	s_and_saveexec_b64 s[8:9], vcc
; %bb.3858:
	s_mov_b32 s10, 0x7f800001
	s_xor_b64 s[4:5], exec, -1
; %bb.3859:
	s_or_b64 exec, exec, s[8:9]
	s_and_b64 s[4:5], s[4:5], exec
                                        ; implicit-def: $vgpr19
	s_or_saveexec_b64 s[6:7], s[6:7]
	v_mov_b32_e32 v18, s10
	s_xor_b64 exec, exec, s[6:7]
	s_cbranch_execz .LBB28_1810
.LBB28_3860:
	v_cmp_ne_u16_e32 vcc, 0, v19
	s_andn2_b64 s[4:5], s[4:5], exec
	s_and_b64 s[8:9], vcc, exec
	v_mov_b32_e32 v18, 0
	s_or_b64 s[4:5], s[4:5], s[8:9]
	s_or_b64 exec, exec, s[6:7]
	s_and_saveexec_b64 s[6:7], s[4:5]
	s_cbranch_execnz .LBB28_1811
	s_branch .LBB28_1812
.LBB28_3861:
	s_movk_i32 s4, 0x80
	v_cmp_eq_u16_e32 vcc, s4, v19
	s_mov_b64 s[4:5], -1
                                        ; implicit-def: $sgpr10
	s_and_saveexec_b64 s[8:9], vcc
; %bb.3862:
	s_mov_b32 s10, 0x7f800001
	s_xor_b64 s[4:5], exec, -1
; %bb.3863:
	s_or_b64 exec, exec, s[8:9]
	s_and_b64 s[4:5], s[4:5], exec
                                        ; implicit-def: $vgpr19
	s_or_saveexec_b64 s[6:7], s[6:7]
	v_mov_b32_e32 v20, s10
	s_xor_b64 exec, exec, s[6:7]
	s_cbranch_execz .LBB28_1814
.LBB28_3864:
	v_cmp_ne_u16_e32 vcc, 0, v19
	s_andn2_b64 s[4:5], s[4:5], exec
	s_and_b64 s[8:9], vcc, exec
	v_mov_b32_e32 v20, 0
	s_or_b64 s[4:5], s[4:5], s[8:9]
	s_or_b64 exec, exec, s[6:7]
	s_and_saveexec_b64 s[6:7], s[4:5]
	s_cbranch_execnz .LBB28_1815
	s_branch .LBB28_1816
.LBB28_3865:
	s_movk_i32 s4, 0x80
	v_cmp_eq_u16_sdwa s[12:13], v12, s4 src0_sel:BYTE_3 src1_sel:DWORD
	s_mov_b64 s[4:5], -1
                                        ; implicit-def: $sgpr10
	s_and_saveexec_b64 s[8:9], s[12:13]
; %bb.3866:
	s_mov_b32 s10, 0x7f800001
	s_xor_b64 s[4:5], exec, -1
; %bb.3867:
	s_or_b64 exec, exec, s[8:9]
	s_and_b64 s[4:5], s[4:5], exec
	s_or_saveexec_b64 s[6:7], s[6:7]
	v_mov_b32_e32 v18, s10
	s_xor_b64 exec, exec, s[6:7]
	s_cbranch_execz .LBB28_1818
.LBB28_3868:
	v_mov_b32_e32 v18, 0
	v_cmp_ne_u16_sdwa s[8:9], v12, v18 src0_sel:BYTE_3 src1_sel:DWORD
	s_andn2_b64 s[4:5], s[4:5], exec
	s_and_b64 s[8:9], s[8:9], exec
	s_or_b64 s[4:5], s[4:5], s[8:9]
	s_or_b64 exec, exec, s[6:7]
	s_and_saveexec_b64 s[6:7], s[4:5]
	s_cbranch_execnz .LBB28_1819
	s_branch .LBB28_1820
.LBB28_3869:
	s_movk_i32 s4, 0x80
	v_cmp_eq_u16_sdwa s[12:13], v8, s4 src0_sel:BYTE_3 src1_sel:DWORD
	s_mov_b64 s[4:5], -1
                                        ; implicit-def: $sgpr10
	s_and_saveexec_b64 s[8:9], s[12:13]
; %bb.3870:
	s_mov_b32 s10, 0x7f800001
	s_xor_b64 s[4:5], exec, -1
; %bb.3871:
	s_or_b64 exec, exec, s[8:9]
	s_and_b64 s[4:5], s[4:5], exec
	s_or_saveexec_b64 s[6:7], s[6:7]
	v_mov_b32_e32 v12, s10
	s_xor_b64 exec, exec, s[6:7]
	s_cbranch_execz .LBB28_1822
.LBB28_3872:
	v_mov_b32_e32 v12, 0
	v_cmp_ne_u16_sdwa s[8:9], v8, v12 src0_sel:BYTE_3 src1_sel:DWORD
	s_andn2_b64 s[4:5], s[4:5], exec
	s_and_b64 s[8:9], s[8:9], exec
	s_or_b64 s[4:5], s[4:5], s[8:9]
	s_or_b64 exec, exec, s[6:7]
	s_and_saveexec_b64 s[6:7], s[4:5]
	s_cbranch_execnz .LBB28_1823
	s_branch .LBB28_1824
.LBB28_3873:
	s_movk_i32 s4, 0x80
	v_cmp_eq_u16_sdwa s[12:13], v13, s4 src0_sel:BYTE_0 src1_sel:DWORD
	s_mov_b64 s[4:5], -1
                                        ; implicit-def: $sgpr10
	s_and_saveexec_b64 s[8:9], s[12:13]
; %bb.3874:
	s_mov_b32 s10, 0x7f800001
	s_xor_b64 s[4:5], exec, -1
; %bb.3875:
	s_or_b64 exec, exec, s[8:9]
	s_and_b64 s[4:5], s[4:5], exec
	s_or_saveexec_b64 s[6:7], s[6:7]
	v_mov_b32_e32 v8, s10
	s_xor_b64 exec, exec, s[6:7]
	s_cbranch_execz .LBB28_1826
.LBB28_3876:
	v_mov_b32_e32 v8, 0
	v_cmp_ne_u16_sdwa s[8:9], v13, v8 src0_sel:BYTE_0 src1_sel:DWORD
	s_andn2_b64 s[4:5], s[4:5], exec
	s_and_b64 s[8:9], s[8:9], exec
	s_or_b64 s[4:5], s[4:5], s[8:9]
	s_or_b64 exec, exec, s[6:7]
	s_and_saveexec_b64 s[6:7], s[4:5]
	s_cbranch_execnz .LBB28_1827
	s_branch .LBB28_1828
.LBB28_3877:
	s_movk_i32 s4, 0x80
	v_cmp_eq_u16_sdwa s[12:13], v9, s4 src0_sel:BYTE_0 src1_sel:DWORD
	s_mov_b64 s[4:5], -1
                                        ; implicit-def: $sgpr10
	s_and_saveexec_b64 s[8:9], s[12:13]
; %bb.3878:
	s_mov_b32 s10, 0x7f800001
	s_xor_b64 s[4:5], exec, -1
; %bb.3879:
	s_or_b64 exec, exec, s[8:9]
	s_and_b64 s[4:5], s[4:5], exec
	s_or_saveexec_b64 s[6:7], s[6:7]
	v_mov_b32_e32 v12, s10
	s_xor_b64 exec, exec, s[6:7]
	s_cbranch_execz .LBB28_1830
.LBB28_3880:
	v_mov_b32_e32 v12, 0
	v_cmp_ne_u16_sdwa s[8:9], v9, v12 src0_sel:BYTE_0 src1_sel:DWORD
	s_andn2_b64 s[4:5], s[4:5], exec
	s_and_b64 s[8:9], s[8:9], exec
	s_or_b64 s[4:5], s[4:5], s[8:9]
	s_or_b64 exec, exec, s[6:7]
	s_and_saveexec_b64 s[6:7], s[4:5]
	s_cbranch_execnz .LBB28_1831
	s_branch .LBB28_1832
.LBB28_3881:
	s_movk_i32 s4, 0x80
	v_cmp_eq_u16_sdwa s[12:13], v12, s4 src0_sel:BYTE_0 src1_sel:DWORD
	s_mov_b64 s[4:5], -1
                                        ; implicit-def: $sgpr10
	s_and_saveexec_b64 s[8:9], s[12:13]
; %bb.3882:
	s_mov_b32 s10, 0x7f800001
	s_xor_b64 s[4:5], exec, -1
; %bb.3883:
	s_or_b64 exec, exec, s[8:9]
	s_and_b64 s[4:5], s[4:5], exec
	s_or_saveexec_b64 s[6:7], s[6:7]
	v_mov_b32_e32 v8, s10
	s_xor_b64 exec, exec, s[6:7]
	s_cbranch_execz .LBB28_1834
.LBB28_3884:
	v_mov_b32_e32 v8, 0
	v_cmp_ne_u16_sdwa s[8:9], v12, v8 src0_sel:BYTE_0 src1_sel:DWORD
	s_andn2_b64 s[4:5], s[4:5], exec
	s_and_b64 s[8:9], s[8:9], exec
	s_or_b64 s[4:5], s[4:5], s[8:9]
	s_or_b64 exec, exec, s[6:7]
	s_and_saveexec_b64 s[6:7], s[4:5]
	s_cbranch_execnz .LBB28_1835
	s_branch .LBB28_1836
.LBB28_3885:
	s_movk_i32 s4, 0x80
	v_cmp_eq_u16_sdwa s[12:13], v12, s4 src0_sel:BYTE_0 src1_sel:DWORD
	s_mov_b64 s[4:5], -1
                                        ; implicit-def: $sgpr10
	s_and_saveexec_b64 s[8:9], s[12:13]
; %bb.3886:
	s_mov_b32 s10, 0x7f800001
	s_xor_b64 s[4:5], exec, -1
; %bb.3887:
	s_or_b64 exec, exec, s[8:9]
	s_and_b64 s[4:5], s[4:5], exec
	s_or_saveexec_b64 s[6:7], s[6:7]
	v_mov_b32_e32 v18, s10
	s_xor_b64 exec, exec, s[6:7]
	s_cbranch_execz .LBB28_1838
.LBB28_3888:
	v_mov_b32_e32 v18, 0
	v_cmp_ne_u16_sdwa s[8:9], v12, v18 src0_sel:BYTE_0 src1_sel:DWORD
	s_andn2_b64 s[4:5], s[4:5], exec
	s_and_b64 s[8:9], s[8:9], exec
	s_or_b64 s[4:5], s[4:5], s[8:9]
	s_or_b64 exec, exec, s[6:7]
	s_and_saveexec_b64 s[6:7], s[4:5]
	s_cbranch_execnz .LBB28_1839
	s_branch .LBB28_1840
.LBB28_3889:
	s_movk_i32 s4, 0x80
	v_cmp_eq_u16_e32 vcc, s4, v12
	s_mov_b64 s[4:5], -1
                                        ; implicit-def: $sgpr10
	s_and_saveexec_b64 s[8:9], vcc
; %bb.3890:
	s_mov_b32 s10, 0x7f800001
	s_xor_b64 s[4:5], exec, -1
; %bb.3891:
	s_or_b64 exec, exec, s[8:9]
	s_and_b64 s[4:5], s[4:5], exec
                                        ; implicit-def: $vgpr12
	s_or_saveexec_b64 s[6:7], s[6:7]
	v_mov_b32_e32 v8, s10
	s_xor_b64 exec, exec, s[6:7]
	s_cbranch_execz .LBB28_1842
.LBB28_3892:
	v_cmp_ne_u16_e32 vcc, 0, v12
	s_andn2_b64 s[4:5], s[4:5], exec
	s_and_b64 s[8:9], vcc, exec
	v_mov_b32_e32 v8, 0
	s_or_b64 s[4:5], s[4:5], s[8:9]
	s_or_b64 exec, exec, s[6:7]
	s_and_saveexec_b64 s[6:7], s[4:5]
	s_cbranch_execnz .LBB28_1843
	s_branch .LBB28_1844
.LBB28_3893:
	s_movk_i32 s4, 0x80
	v_cmp_eq_u16_e32 vcc, s4, v12
	s_mov_b64 s[4:5], -1
                                        ; implicit-def: $sgpr10
	s_and_saveexec_b64 s[8:9], vcc
; %bb.3894:
	s_mov_b32 s10, 0x7f800001
	s_xor_b64 s[4:5], exec, -1
; %bb.3895:
	s_or_b64 exec, exec, s[8:9]
	s_and_b64 s[4:5], s[4:5], exec
                                        ; implicit-def: $vgpr12
	s_or_saveexec_b64 s[6:7], s[6:7]
	v_mov_b32_e32 v18, s10
	s_xor_b64 exec, exec, s[6:7]
	s_cbranch_execz .LBB28_1846
.LBB28_3896:
	v_cmp_ne_u16_e32 vcc, 0, v12
	s_andn2_b64 s[4:5], s[4:5], exec
	s_and_b64 s[8:9], vcc, exec
	v_mov_b32_e32 v18, 0
	s_or_b64 s[4:5], s[4:5], s[8:9]
	s_or_b64 exec, exec, s[6:7]
	s_and_saveexec_b64 s[6:7], s[4:5]
	s_cbranch_execnz .LBB28_1847
	s_branch .LBB28_1848
.LBB28_3897:
	s_movk_i32 s4, 0x80
	v_cmp_eq_u16_sdwa s[12:13], v13, s4 src0_sel:BYTE_3 src1_sel:DWORD
	s_mov_b64 s[4:5], -1
                                        ; implicit-def: $sgpr10
	s_and_saveexec_b64 s[8:9], s[12:13]
; %bb.3898:
	s_mov_b32 s10, 0x7f800001
	s_xor_b64 s[4:5], exec, -1
; %bb.3899:
	s_or_b64 exec, exec, s[8:9]
	s_and_b64 s[4:5], s[4:5], exec
	s_or_saveexec_b64 s[6:7], s[6:7]
	v_mov_b32_e32 v8, s10
	s_xor_b64 exec, exec, s[6:7]
	s_cbranch_execz .LBB28_1850
.LBB28_3900:
	v_mov_b32_e32 v8, 0
	v_cmp_ne_u16_sdwa s[8:9], v13, v8 src0_sel:BYTE_3 src1_sel:DWORD
	s_andn2_b64 s[4:5], s[4:5], exec
	s_and_b64 s[8:9], s[8:9], exec
	s_or_b64 s[4:5], s[4:5], s[8:9]
	s_or_b64 exec, exec, s[6:7]
	s_and_saveexec_b64 s[6:7], s[4:5]
	s_cbranch_execnz .LBB28_1851
	s_branch .LBB28_1852
.LBB28_3901:
	s_movk_i32 s4, 0x80
	v_cmp_eq_u16_sdwa s[12:13], v9, s4 src0_sel:BYTE_3 src1_sel:DWORD
	s_mov_b64 s[4:5], -1
                                        ; implicit-def: $sgpr10
	s_and_saveexec_b64 s[8:9], s[12:13]
; %bb.3902:
	s_mov_b32 s10, 0x7f800001
	s_xor_b64 s[4:5], exec, -1
; %bb.3903:
	s_or_b64 exec, exec, s[8:9]
	s_and_b64 s[4:5], s[4:5], exec
	s_or_saveexec_b64 s[6:7], s[6:7]
	v_mov_b32_e32 v12, s10
	s_xor_b64 exec, exec, s[6:7]
	s_cbranch_execz .LBB28_1854
.LBB28_3904:
	v_mov_b32_e32 v12, 0
	v_cmp_ne_u16_sdwa s[8:9], v9, v12 src0_sel:BYTE_3 src1_sel:DWORD
	s_andn2_b64 s[4:5], s[4:5], exec
	s_and_b64 s[8:9], s[8:9], exec
	s_or_b64 s[4:5], s[4:5], s[8:9]
	s_or_b64 exec, exec, s[6:7]
	s_and_saveexec_b64 s[6:7], s[4:5]
	s_cbranch_execnz .LBB28_1855
	s_branch .LBB28_1856
.LBB28_3905:
	s_movk_i32 s4, 0x80
	v_cmp_eq_u16_sdwa s[12:13], v14, s4 src0_sel:BYTE_0 src1_sel:DWORD
	s_mov_b64 s[4:5], -1
                                        ; implicit-def: $sgpr10
	s_and_saveexec_b64 s[8:9], s[12:13]
; %bb.3906:
	s_mov_b32 s10, 0x7f800001
	s_xor_b64 s[4:5], exec, -1
; %bb.3907:
	s_or_b64 exec, exec, s[8:9]
	s_and_b64 s[4:5], s[4:5], exec
	s_or_saveexec_b64 s[6:7], s[6:7]
	v_mov_b32_e32 v8, s10
	s_xor_b64 exec, exec, s[6:7]
	s_cbranch_execz .LBB28_1858
.LBB28_3908:
	v_mov_b32_e32 v8, 0
	v_cmp_ne_u16_sdwa s[8:9], v14, v8 src0_sel:BYTE_0 src1_sel:DWORD
	s_andn2_b64 s[4:5], s[4:5], exec
	s_and_b64 s[8:9], s[8:9], exec
	s_or_b64 s[4:5], s[4:5], s[8:9]
	s_or_b64 exec, exec, s[6:7]
	s_and_saveexec_b64 s[6:7], s[4:5]
	s_cbranch_execnz .LBB28_1859
	s_branch .LBB28_1860
.LBB28_3909:
	s_movk_i32 s4, 0x80
	v_cmp_eq_u16_sdwa s[12:13], v10, s4 src0_sel:BYTE_0 src1_sel:DWORD
	s_mov_b64 s[4:5], -1
                                        ; implicit-def: $sgpr10
	s_and_saveexec_b64 s[8:9], s[12:13]
; %bb.3910:
	s_mov_b32 s10, 0x7f800001
	s_xor_b64 s[4:5], exec, -1
; %bb.3911:
	s_or_b64 exec, exec, s[8:9]
	s_and_b64 s[4:5], s[4:5], exec
	s_or_saveexec_b64 s[6:7], s[6:7]
	v_mov_b32_e32 v9, s10
	s_xor_b64 exec, exec, s[6:7]
	s_cbranch_execz .LBB28_1862
.LBB28_3912:
	v_mov_b32_e32 v9, 0
	v_cmp_ne_u16_sdwa s[8:9], v10, v9 src0_sel:BYTE_0 src1_sel:DWORD
	s_andn2_b64 s[4:5], s[4:5], exec
	s_and_b64 s[8:9], s[8:9], exec
	s_or_b64 s[4:5], s[4:5], s[8:9]
	s_or_b64 exec, exec, s[6:7]
	s_and_saveexec_b64 s[6:7], s[4:5]
	s_cbranch_execnz .LBB28_1863
	s_branch .LBB28_1864
.LBB28_3913:
	s_movk_i32 s4, 0x80
	v_cmp_eq_u16_sdwa s[12:13], v9, s4 src0_sel:BYTE_0 src1_sel:DWORD
	s_mov_b64 s[4:5], -1
                                        ; implicit-def: $sgpr10
	s_and_saveexec_b64 s[8:9], s[12:13]
; %bb.3914:
	s_mov_b32 s10, 0x7f800001
	s_xor_b64 s[4:5], exec, -1
; %bb.3915:
	s_or_b64 exec, exec, s[8:9]
	s_and_b64 s[4:5], s[4:5], exec
	s_or_saveexec_b64 s[6:7], s[6:7]
	v_mov_b32_e32 v8, s10
	s_xor_b64 exec, exec, s[6:7]
	s_cbranch_execz .LBB28_1866
.LBB28_3916:
	v_mov_b32_e32 v8, 0
	v_cmp_ne_u16_sdwa s[8:9], v9, v8 src0_sel:BYTE_0 src1_sel:DWORD
	s_andn2_b64 s[4:5], s[4:5], exec
	s_and_b64 s[8:9], s[8:9], exec
	s_or_b64 s[4:5], s[4:5], s[8:9]
	s_or_b64 exec, exec, s[6:7]
	s_and_saveexec_b64 s[6:7], s[4:5]
	s_cbranch_execnz .LBB28_1867
	s_branch .LBB28_1868
.LBB28_3917:
	s_movk_i32 s4, 0x80
	v_cmp_eq_u16_sdwa s[12:13], v9, s4 src0_sel:BYTE_0 src1_sel:DWORD
	s_mov_b64 s[4:5], -1
                                        ; implicit-def: $sgpr10
	s_and_saveexec_b64 s[8:9], s[12:13]
; %bb.3918:
	s_mov_b32 s10, 0x7f800001
	s_xor_b64 s[4:5], exec, -1
; %bb.3919:
	s_or_b64 exec, exec, s[8:9]
	s_and_b64 s[4:5], s[4:5], exec
	s_or_saveexec_b64 s[6:7], s[6:7]
	v_mov_b32_e32 v12, s10
	s_xor_b64 exec, exec, s[6:7]
	s_cbranch_execz .LBB28_1870
.LBB28_3920:
	v_mov_b32_e32 v12, 0
	v_cmp_ne_u16_sdwa s[8:9], v9, v12 src0_sel:BYTE_0 src1_sel:DWORD
	s_andn2_b64 s[4:5], s[4:5], exec
	s_and_b64 s[8:9], s[8:9], exec
	s_or_b64 s[4:5], s[4:5], s[8:9]
	s_or_b64 exec, exec, s[6:7]
	s_and_saveexec_b64 s[6:7], s[4:5]
	s_cbranch_execnz .LBB28_1871
	s_branch .LBB28_1872
.LBB28_3921:
	s_movk_i32 s4, 0x80
	v_cmp_eq_u16_e32 vcc, s4, v9
	s_mov_b64 s[4:5], -1
                                        ; implicit-def: $sgpr10
	s_and_saveexec_b64 s[8:9], vcc
; %bb.3922:
	s_mov_b32 s10, 0x7f800001
	s_xor_b64 s[4:5], exec, -1
; %bb.3923:
	s_or_b64 exec, exec, s[8:9]
	s_and_b64 s[4:5], s[4:5], exec
                                        ; implicit-def: $vgpr9
	s_or_saveexec_b64 s[6:7], s[6:7]
	v_mov_b32_e32 v8, s10
	s_xor_b64 exec, exec, s[6:7]
	s_cbranch_execz .LBB28_1874
.LBB28_3924:
	v_cmp_ne_u16_e32 vcc, 0, v9
	s_andn2_b64 s[4:5], s[4:5], exec
	s_and_b64 s[8:9], vcc, exec
	v_mov_b32_e32 v8, 0
	s_or_b64 s[4:5], s[4:5], s[8:9]
	s_or_b64 exec, exec, s[6:7]
	s_and_saveexec_b64 s[6:7], s[4:5]
	s_cbranch_execnz .LBB28_1875
	s_branch .LBB28_1876
.LBB28_3925:
	s_movk_i32 s4, 0x80
	v_cmp_eq_u16_e32 vcc, s4, v9
	s_mov_b64 s[4:5], -1
                                        ; implicit-def: $sgpr10
	s_and_saveexec_b64 s[8:9], vcc
; %bb.3926:
	s_mov_b32 s10, 0x7f800001
	s_xor_b64 s[4:5], exec, -1
; %bb.3927:
	s_or_b64 exec, exec, s[8:9]
	s_and_b64 s[4:5], s[4:5], exec
                                        ; implicit-def: $vgpr9
	s_or_saveexec_b64 s[6:7], s[6:7]
	v_mov_b32_e32 v12, s10
	s_xor_b64 exec, exec, s[6:7]
	s_cbranch_execz .LBB28_1878
.LBB28_3928:
	v_cmp_ne_u16_e32 vcc, 0, v9
	s_andn2_b64 s[4:5], s[4:5], exec
	s_and_b64 s[8:9], vcc, exec
	v_mov_b32_e32 v12, 0
	s_or_b64 s[4:5], s[4:5], s[8:9]
	s_or_b64 exec, exec, s[6:7]
	s_and_saveexec_b64 s[6:7], s[4:5]
	s_cbranch_execnz .LBB28_1879
	s_branch .LBB28_1880
.LBB28_3929:
	s_movk_i32 s4, 0x80
	v_cmp_eq_u16_sdwa s[12:13], v14, s4 src0_sel:BYTE_3 src1_sel:DWORD
	s_mov_b64 s[4:5], -1
                                        ; implicit-def: $sgpr10
	s_and_saveexec_b64 s[8:9], s[12:13]
; %bb.3930:
	s_mov_b32 s10, 0x7f800001
	s_xor_b64 s[4:5], exec, -1
; %bb.3931:
	s_or_b64 exec, exec, s[8:9]
	s_and_b64 s[4:5], s[4:5], exec
	s_or_saveexec_b64 s[6:7], s[6:7]
	v_mov_b32_e32 v8, s10
	s_xor_b64 exec, exec, s[6:7]
	s_cbranch_execz .LBB28_1882
.LBB28_3932:
	v_mov_b32_e32 v8, 0
	v_cmp_ne_u16_sdwa s[8:9], v14, v8 src0_sel:BYTE_3 src1_sel:DWORD
	s_andn2_b64 s[4:5], s[4:5], exec
	s_and_b64 s[8:9], s[8:9], exec
	s_or_b64 s[4:5], s[4:5], s[8:9]
	s_or_b64 exec, exec, s[6:7]
	s_and_saveexec_b64 s[6:7], s[4:5]
	s_cbranch_execnz .LBB28_1883
	s_branch .LBB28_1884
.LBB28_3933:
	s_movk_i32 s4, 0x80
	v_cmp_eq_u16_sdwa s[12:13], v10, s4 src0_sel:BYTE_3 src1_sel:DWORD
	s_mov_b64 s[4:5], -1
                                        ; implicit-def: $sgpr10
	s_and_saveexec_b64 s[8:9], s[12:13]
; %bb.3934:
	s_mov_b32 s10, 0x7f800001
	s_xor_b64 s[4:5], exec, -1
; %bb.3935:
	s_or_b64 exec, exec, s[8:9]
	s_and_b64 s[4:5], s[4:5], exec
	s_or_saveexec_b64 s[6:7], s[6:7]
	v_mov_b32_e32 v9, s10
	s_xor_b64 exec, exec, s[6:7]
	s_cbranch_execz .LBB28_1886
.LBB28_3936:
	v_mov_b32_e32 v9, 0
	v_cmp_ne_u16_sdwa s[8:9], v10, v9 src0_sel:BYTE_3 src1_sel:DWORD
	s_andn2_b64 s[4:5], s[4:5], exec
	s_and_b64 s[8:9], s[8:9], exec
	s_or_b64 s[4:5], s[4:5], s[8:9]
	s_or_b64 exec, exec, s[6:7]
	s_and_saveexec_b64 s[6:7], s[4:5]
	s_cbranch_execnz .LBB28_1887
	s_branch .LBB28_1888
.LBB28_3937:
	s_movk_i32 s4, 0x80
	v_cmp_eq_u16_sdwa s[12:13], v15, s4 src0_sel:BYTE_0 src1_sel:DWORD
	s_mov_b64 s[4:5], -1
                                        ; implicit-def: $sgpr10
	s_and_saveexec_b64 s[8:9], s[12:13]
; %bb.3938:
	s_mov_b32 s10, 0x7f800001
	s_xor_b64 s[4:5], exec, -1
; %bb.3939:
	s_or_b64 exec, exec, s[8:9]
	s_and_b64 s[4:5], s[4:5], exec
	s_or_saveexec_b64 s[6:7], s[6:7]
	v_mov_b32_e32 v8, s10
	s_xor_b64 exec, exec, s[6:7]
	s_cbranch_execz .LBB28_1890
.LBB28_3940:
	v_mov_b32_e32 v8, 0
	v_cmp_ne_u16_sdwa s[8:9], v15, v8 src0_sel:BYTE_0 src1_sel:DWORD
	s_andn2_b64 s[4:5], s[4:5], exec
	s_and_b64 s[8:9], s[8:9], exec
	s_or_b64 s[4:5], s[4:5], s[8:9]
	s_or_b64 exec, exec, s[6:7]
	s_and_saveexec_b64 s[6:7], s[4:5]
	s_cbranch_execnz .LBB28_1891
	s_branch .LBB28_1892
.LBB28_3941:
	s_movk_i32 s4, 0x80
	v_cmp_eq_u16_sdwa s[12:13], v11, s4 src0_sel:BYTE_0 src1_sel:DWORD
	s_mov_b64 s[4:5], -1
                                        ; implicit-def: $sgpr10
	s_and_saveexec_b64 s[8:9], s[12:13]
; %bb.3942:
	s_mov_b32 s10, 0x7f800001
	s_xor_b64 s[4:5], exec, -1
; %bb.3943:
	s_or_b64 exec, exec, s[8:9]
	s_and_b64 s[4:5], s[4:5], exec
	s_or_saveexec_b64 s[6:7], s[6:7]
	v_mov_b32_e32 v9, s10
	s_xor_b64 exec, exec, s[6:7]
	s_cbranch_execz .LBB28_1894
.LBB28_3944:
	v_mov_b32_e32 v9, 0
	v_cmp_ne_u16_sdwa s[8:9], v11, v9 src0_sel:BYTE_0 src1_sel:DWORD
	s_andn2_b64 s[4:5], s[4:5], exec
	s_and_b64 s[8:9], s[8:9], exec
	s_or_b64 s[4:5], s[4:5], s[8:9]
	s_or_b64 exec, exec, s[6:7]
	s_and_saveexec_b64 s[6:7], s[4:5]
	s_cbranch_execnz .LBB28_1895
	s_branch .LBB28_1896
.LBB28_3945:
	s_movk_i32 s4, 0x80
	v_cmp_eq_u16_sdwa s[12:13], v9, s4 src0_sel:BYTE_0 src1_sel:DWORD
	s_mov_b64 s[4:5], -1
                                        ; implicit-def: $sgpr10
	s_and_saveexec_b64 s[8:9], s[12:13]
; %bb.3946:
	s_mov_b32 s10, 0x7f800001
	s_xor_b64 s[4:5], exec, -1
; %bb.3947:
	s_or_b64 exec, exec, s[8:9]
	s_and_b64 s[4:5], s[4:5], exec
	s_or_saveexec_b64 s[6:7], s[6:7]
	v_mov_b32_e32 v8, s10
	s_xor_b64 exec, exec, s[6:7]
	s_cbranch_execz .LBB28_1898
.LBB28_3948:
	v_mov_b32_e32 v8, 0
	v_cmp_ne_u16_sdwa s[8:9], v9, v8 src0_sel:BYTE_0 src1_sel:DWORD
	s_andn2_b64 s[4:5], s[4:5], exec
	s_and_b64 s[8:9], s[8:9], exec
	s_or_b64 s[4:5], s[4:5], s[8:9]
	s_or_b64 exec, exec, s[6:7]
	s_and_saveexec_b64 s[6:7], s[4:5]
	s_cbranch_execnz .LBB28_1899
	s_branch .LBB28_1900
.LBB28_3949:
	s_movk_i32 s4, 0x80
	v_cmp_eq_u16_sdwa s[12:13], v9, s4 src0_sel:BYTE_0 src1_sel:DWORD
	s_mov_b64 s[4:5], -1
                                        ; implicit-def: $sgpr10
	s_and_saveexec_b64 s[8:9], s[12:13]
; %bb.3950:
	s_mov_b32 s10, 0x7f800001
	s_xor_b64 s[4:5], exec, -1
; %bb.3951:
	s_or_b64 exec, exec, s[8:9]
	s_and_b64 s[4:5], s[4:5], exec
	s_or_saveexec_b64 s[6:7], s[6:7]
	v_mov_b32_e32 v10, s10
	s_xor_b64 exec, exec, s[6:7]
	s_cbranch_execz .LBB28_1902
.LBB28_3952:
	v_mov_b32_e32 v10, 0
	v_cmp_ne_u16_sdwa s[8:9], v9, v10 src0_sel:BYTE_0 src1_sel:DWORD
	s_andn2_b64 s[4:5], s[4:5], exec
	s_and_b64 s[8:9], s[8:9], exec
	s_or_b64 s[4:5], s[4:5], s[8:9]
	s_or_b64 exec, exec, s[6:7]
	s_and_saveexec_b64 s[6:7], s[4:5]
	s_cbranch_execnz .LBB28_1903
	s_branch .LBB28_1904
.LBB28_3953:
	s_movk_i32 s4, 0x80
	v_cmp_eq_u16_e32 vcc, s4, v9
	s_mov_b64 s[4:5], -1
                                        ; implicit-def: $sgpr10
	s_and_saveexec_b64 s[8:9], vcc
; %bb.3954:
	s_mov_b32 s10, 0x7f800001
	s_xor_b64 s[4:5], exec, -1
; %bb.3955:
	s_or_b64 exec, exec, s[8:9]
	s_and_b64 s[4:5], s[4:5], exec
                                        ; implicit-def: $vgpr9
	s_or_saveexec_b64 s[6:7], s[6:7]
	v_mov_b32_e32 v8, s10
	s_xor_b64 exec, exec, s[6:7]
	s_cbranch_execz .LBB28_1906
.LBB28_3956:
	v_cmp_ne_u16_e32 vcc, 0, v9
	s_andn2_b64 s[4:5], s[4:5], exec
	s_and_b64 s[8:9], vcc, exec
	v_mov_b32_e32 v8, 0
	s_or_b64 s[4:5], s[4:5], s[8:9]
	s_or_b64 exec, exec, s[6:7]
	s_and_saveexec_b64 s[6:7], s[4:5]
	s_cbranch_execnz .LBB28_1907
	s_branch .LBB28_1908
.LBB28_3957:
	s_movk_i32 s4, 0x80
	v_cmp_eq_u16_e32 vcc, s4, v9
	s_mov_b64 s[4:5], -1
                                        ; implicit-def: $sgpr10
	s_and_saveexec_b64 s[8:9], vcc
; %bb.3958:
	s_mov_b32 s10, 0x7f800001
	s_xor_b64 s[4:5], exec, -1
; %bb.3959:
	s_or_b64 exec, exec, s[8:9]
	s_and_b64 s[4:5], s[4:5], exec
                                        ; implicit-def: $vgpr9
	s_or_saveexec_b64 s[6:7], s[6:7]
	v_mov_b32_e32 v10, s10
	s_xor_b64 exec, exec, s[6:7]
	s_cbranch_execz .LBB28_1910
.LBB28_3960:
	v_cmp_ne_u16_e32 vcc, 0, v9
	s_andn2_b64 s[4:5], s[4:5], exec
	s_and_b64 s[8:9], vcc, exec
	v_mov_b32_e32 v10, 0
	s_or_b64 s[4:5], s[4:5], s[8:9]
	s_or_b64 exec, exec, s[6:7]
	s_and_saveexec_b64 s[6:7], s[4:5]
	s_cbranch_execnz .LBB28_1911
	s_branch .LBB28_1912
.LBB28_3961:
	s_movk_i32 s4, 0x80
	v_cmp_eq_u16_sdwa s[12:13], v15, s4 src0_sel:BYTE_3 src1_sel:DWORD
	s_mov_b64 s[4:5], -1
                                        ; implicit-def: $sgpr10
	s_and_saveexec_b64 s[8:9], s[12:13]
; %bb.3962:
	s_mov_b32 s10, 0x7f800001
	s_xor_b64 s[4:5], exec, -1
; %bb.3963:
	s_or_b64 exec, exec, s[8:9]
	s_and_b64 s[4:5], s[4:5], exec
	s_or_saveexec_b64 s[6:7], s[6:7]
	v_mov_b32_e32 v8, s10
	s_xor_b64 exec, exec, s[6:7]
	s_cbranch_execz .LBB28_1914
.LBB28_3964:
	v_mov_b32_e32 v8, 0
	v_cmp_ne_u16_sdwa s[8:9], v15, v8 src0_sel:BYTE_3 src1_sel:DWORD
	s_andn2_b64 s[4:5], s[4:5], exec
	s_and_b64 s[8:9], s[8:9], exec
	s_or_b64 s[4:5], s[4:5], s[8:9]
	s_or_b64 exec, exec, s[6:7]
	s_and_saveexec_b64 s[6:7], s[4:5]
	s_cbranch_execnz .LBB28_1915
	s_branch .LBB28_1916
.LBB28_3965:
	s_movk_i32 s4, 0x80
	v_cmp_eq_u16_sdwa s[12:13], v11, s4 src0_sel:BYTE_3 src1_sel:DWORD
	s_mov_b64 s[4:5], -1
                                        ; implicit-def: $sgpr10
	s_and_saveexec_b64 s[8:9], s[12:13]
; %bb.3966:
	s_mov_b32 s10, 0x7f800001
	s_xor_b64 s[4:5], exec, -1
; %bb.3967:
	s_or_b64 exec, exec, s[8:9]
	s_and_b64 s[4:5], s[4:5], exec
	s_or_saveexec_b64 s[6:7], s[6:7]
	v_mov_b32_e32 v9, s10
	s_xor_b64 exec, exec, s[6:7]
	s_cbranch_execz .LBB28_1918
.LBB28_3968:
	v_mov_b32_e32 v9, 0
	v_cmp_ne_u16_sdwa s[8:9], v11, v9 src0_sel:BYTE_3 src1_sel:DWORD
	s_andn2_b64 s[4:5], s[4:5], exec
	s_and_b64 s[8:9], s[8:9], exec
	s_or_b64 s[4:5], s[4:5], s[8:9]
	s_or_b64 exec, exec, s[6:7]
	s_and_saveexec_b64 s[6:7], s[4:5]
	s_cbranch_execnz .LBB28_1919
	s_branch .LBB28_1920
.LBB28_3969:
	s_movk_i32 s4, 0x80
	v_cmp_eq_u16_sdwa s[12:13], v4, s4 src0_sel:BYTE_0 src1_sel:DWORD
	s_mov_b64 s[4:5], -1
                                        ; implicit-def: $sgpr10
	s_and_saveexec_b64 s[8:9], s[12:13]
; %bb.3970:
	s_mov_b32 s10, 0x7f800001
	s_xor_b64 s[4:5], exec, -1
; %bb.3971:
	s_or_b64 exec, exec, s[8:9]
	s_and_b64 s[4:5], s[4:5], exec
	s_or_saveexec_b64 s[6:7], s[6:7]
	v_mov_b32_e32 v8, s10
	s_xor_b64 exec, exec, s[6:7]
	s_cbranch_execz .LBB28_1922
.LBB28_3972:
	v_mov_b32_e32 v8, 0
	v_cmp_ne_u16_sdwa s[8:9], v4, v8 src0_sel:BYTE_0 src1_sel:DWORD
	s_andn2_b64 s[4:5], s[4:5], exec
	s_and_b64 s[8:9], s[8:9], exec
	s_or_b64 s[4:5], s[4:5], s[8:9]
	s_or_b64 exec, exec, s[6:7]
	s_and_saveexec_b64 s[6:7], s[4:5]
	s_cbranch_execnz .LBB28_1923
	s_branch .LBB28_1924
.LBB28_3973:
	s_movk_i32 s4, 0x80
	v_cmp_eq_u16_sdwa s[12:13], v0, s4 src0_sel:BYTE_0 src1_sel:DWORD
	s_mov_b64 s[4:5], -1
                                        ; implicit-def: $sgpr10
	s_and_saveexec_b64 s[8:9], s[12:13]
; %bb.3974:
	s_mov_b32 s10, 0x7f800001
	s_xor_b64 s[4:5], exec, -1
; %bb.3975:
	s_or_b64 exec, exec, s[8:9]
	s_and_b64 s[4:5], s[4:5], exec
	s_or_saveexec_b64 s[6:7], s[6:7]
	v_mov_b32_e32 v9, s10
	s_xor_b64 exec, exec, s[6:7]
	s_cbranch_execz .LBB28_1926
.LBB28_3976:
	v_mov_b32_e32 v9, 0
	v_cmp_ne_u16_sdwa s[8:9], v0, v9 src0_sel:BYTE_0 src1_sel:DWORD
	s_andn2_b64 s[4:5], s[4:5], exec
	s_and_b64 s[8:9], s[8:9], exec
	s_or_b64 s[4:5], s[4:5], s[8:9]
	s_or_b64 exec, exec, s[6:7]
	s_and_saveexec_b64 s[6:7], s[4:5]
	s_cbranch_execnz .LBB28_1927
	s_branch .LBB28_1928
.LBB28_3977:
	s_movk_i32 s4, 0x80
	v_cmp_eq_u16_sdwa s[12:13], v9, s4 src0_sel:BYTE_0 src1_sel:DWORD
	s_mov_b64 s[4:5], -1
                                        ; implicit-def: $sgpr10
	s_and_saveexec_b64 s[8:9], s[12:13]
; %bb.3978:
	s_mov_b32 s10, 0x7f800001
	s_xor_b64 s[4:5], exec, -1
; %bb.3979:
	s_or_b64 exec, exec, s[8:9]
	s_and_b64 s[4:5], s[4:5], exec
	s_or_saveexec_b64 s[6:7], s[6:7]
	v_mov_b32_e32 v8, s10
	s_xor_b64 exec, exec, s[6:7]
	s_cbranch_execz .LBB28_1930
.LBB28_3980:
	v_mov_b32_e32 v8, 0
	v_cmp_ne_u16_sdwa s[8:9], v9, v8 src0_sel:BYTE_0 src1_sel:DWORD
	s_andn2_b64 s[4:5], s[4:5], exec
	s_and_b64 s[8:9], s[8:9], exec
	s_or_b64 s[4:5], s[4:5], s[8:9]
	s_or_b64 exec, exec, s[6:7]
	s_and_saveexec_b64 s[6:7], s[4:5]
	s_cbranch_execnz .LBB28_1931
	s_branch .LBB28_1932
.LBB28_3981:
	s_movk_i32 s4, 0x80
	v_cmp_eq_u16_sdwa s[12:13], v9, s4 src0_sel:BYTE_0 src1_sel:DWORD
	s_mov_b64 s[4:5], -1
                                        ; implicit-def: $sgpr10
	s_and_saveexec_b64 s[8:9], s[12:13]
; %bb.3982:
	s_mov_b32 s10, 0x7f800001
	s_xor_b64 s[4:5], exec, -1
; %bb.3983:
	s_or_b64 exec, exec, s[8:9]
	s_and_b64 s[4:5], s[4:5], exec
	s_or_saveexec_b64 s[6:7], s[6:7]
	v_mov_b32_e32 v10, s10
	s_xor_b64 exec, exec, s[6:7]
	s_cbranch_execz .LBB28_1934
.LBB28_3984:
	v_mov_b32_e32 v10, 0
	v_cmp_ne_u16_sdwa s[8:9], v9, v10 src0_sel:BYTE_0 src1_sel:DWORD
	s_andn2_b64 s[4:5], s[4:5], exec
	s_and_b64 s[8:9], s[8:9], exec
	s_or_b64 s[4:5], s[4:5], s[8:9]
	s_or_b64 exec, exec, s[6:7]
	s_and_saveexec_b64 s[6:7], s[4:5]
	s_cbranch_execnz .LBB28_1935
	s_branch .LBB28_1936
.LBB28_3985:
	s_movk_i32 s4, 0x80
	v_cmp_eq_u16_e32 vcc, s4, v9
	s_mov_b64 s[4:5], -1
                                        ; implicit-def: $sgpr10
	s_and_saveexec_b64 s[8:9], vcc
; %bb.3986:
	s_mov_b32 s10, 0x7f800001
	s_xor_b64 s[4:5], exec, -1
; %bb.3987:
	s_or_b64 exec, exec, s[8:9]
	s_and_b64 s[4:5], s[4:5], exec
                                        ; implicit-def: $vgpr9
	s_or_saveexec_b64 s[6:7], s[6:7]
	v_mov_b32_e32 v8, s10
	s_xor_b64 exec, exec, s[6:7]
	s_cbranch_execz .LBB28_1938
.LBB28_3988:
	v_cmp_ne_u16_e32 vcc, 0, v9
	s_andn2_b64 s[4:5], s[4:5], exec
	s_and_b64 s[8:9], vcc, exec
	v_mov_b32_e32 v8, 0
	s_or_b64 s[4:5], s[4:5], s[8:9]
	s_or_b64 exec, exec, s[6:7]
	s_and_saveexec_b64 s[6:7], s[4:5]
	s_cbranch_execnz .LBB28_1939
	s_branch .LBB28_1940
.LBB28_3989:
	s_movk_i32 s4, 0x80
	v_cmp_eq_u16_e32 vcc, s4, v9
	s_mov_b64 s[4:5], -1
                                        ; implicit-def: $sgpr10
	s_and_saveexec_b64 s[8:9], vcc
; %bb.3990:
	s_mov_b32 s10, 0x7f800001
	s_xor_b64 s[4:5], exec, -1
; %bb.3991:
	s_or_b64 exec, exec, s[8:9]
	s_and_b64 s[4:5], s[4:5], exec
                                        ; implicit-def: $vgpr9
	s_or_saveexec_b64 s[6:7], s[6:7]
	v_mov_b32_e32 v10, s10
	s_xor_b64 exec, exec, s[6:7]
	s_cbranch_execz .LBB28_1942
.LBB28_3992:
	v_cmp_ne_u16_e32 vcc, 0, v9
	s_andn2_b64 s[4:5], s[4:5], exec
	s_and_b64 s[8:9], vcc, exec
	v_mov_b32_e32 v10, 0
	s_or_b64 s[4:5], s[4:5], s[8:9]
	s_or_b64 exec, exec, s[6:7]
	s_and_saveexec_b64 s[6:7], s[4:5]
	s_cbranch_execnz .LBB28_1943
	s_branch .LBB28_1944
.LBB28_3993:
	s_movk_i32 s4, 0x80
	v_cmp_eq_u16_sdwa s[12:13], v4, s4 src0_sel:BYTE_3 src1_sel:DWORD
	s_mov_b64 s[4:5], -1
                                        ; implicit-def: $sgpr10
	s_and_saveexec_b64 s[8:9], s[12:13]
; %bb.3994:
	s_mov_b32 s10, 0x7f800001
	s_xor_b64 s[4:5], exec, -1
; %bb.3995:
	s_or_b64 exec, exec, s[8:9]
	s_and_b64 s[4:5], s[4:5], exec
	s_or_saveexec_b64 s[6:7], s[6:7]
	v_mov_b32_e32 v8, s10
	s_xor_b64 exec, exec, s[6:7]
	s_cbranch_execz .LBB28_1946
.LBB28_3996:
	v_mov_b32_e32 v8, 0
	v_cmp_ne_u16_sdwa s[8:9], v4, v8 src0_sel:BYTE_3 src1_sel:DWORD
	s_andn2_b64 s[4:5], s[4:5], exec
	s_and_b64 s[8:9], s[8:9], exec
	s_or_b64 s[4:5], s[4:5], s[8:9]
	s_or_b64 exec, exec, s[6:7]
	s_and_saveexec_b64 s[6:7], s[4:5]
	s_cbranch_execnz .LBB28_1947
	s_branch .LBB28_1948
.LBB28_3997:
	s_movk_i32 s4, 0x80
	v_cmp_eq_u16_sdwa s[12:13], v0, s4 src0_sel:BYTE_3 src1_sel:DWORD
	s_mov_b64 s[4:5], -1
                                        ; implicit-def: $sgpr10
	s_and_saveexec_b64 s[8:9], s[12:13]
; %bb.3998:
	s_mov_b32 s10, 0x7f800001
	s_xor_b64 s[4:5], exec, -1
; %bb.3999:
	s_or_b64 exec, exec, s[8:9]
	s_and_b64 s[4:5], s[4:5], exec
	s_or_saveexec_b64 s[6:7], s[6:7]
	v_mov_b32_e32 v4, s10
	s_xor_b64 exec, exec, s[6:7]
	s_cbranch_execz .LBB28_1950
.LBB28_4000:
	v_mov_b32_e32 v4, 0
	v_cmp_ne_u16_sdwa s[8:9], v0, v4 src0_sel:BYTE_3 src1_sel:DWORD
	s_andn2_b64 s[4:5], s[4:5], exec
	s_and_b64 s[8:9], s[8:9], exec
	s_or_b64 s[4:5], s[4:5], s[8:9]
	s_or_b64 exec, exec, s[6:7]
	s_and_saveexec_b64 s[6:7], s[4:5]
	s_cbranch_execnz .LBB28_1951
	s_branch .LBB28_1952
.LBB28_4001:
	s_movk_i32 s4, 0x80
	v_cmp_eq_u16_sdwa s[12:13], v5, s4 src0_sel:BYTE_0 src1_sel:DWORD
	s_mov_b64 s[4:5], -1
                                        ; implicit-def: $sgpr10
	s_and_saveexec_b64 s[8:9], s[12:13]
; %bb.4002:
	s_mov_b32 s10, 0x7f800001
	s_xor_b64 s[4:5], exec, -1
; %bb.4003:
	s_or_b64 exec, exec, s[8:9]
	s_and_b64 s[4:5], s[4:5], exec
	s_or_saveexec_b64 s[6:7], s[6:7]
	v_mov_b32_e32 v0, s10
	s_xor_b64 exec, exec, s[6:7]
	s_cbranch_execz .LBB28_1954
.LBB28_4004:
	v_mov_b32_e32 v0, 0
	v_cmp_ne_u16_sdwa s[8:9], v5, v0 src0_sel:BYTE_0 src1_sel:DWORD
	s_andn2_b64 s[4:5], s[4:5], exec
	s_and_b64 s[8:9], s[8:9], exec
	s_or_b64 s[4:5], s[4:5], s[8:9]
	s_or_b64 exec, exec, s[6:7]
	s_and_saveexec_b64 s[6:7], s[4:5]
	s_cbranch_execnz .LBB28_1955
	s_branch .LBB28_1956
.LBB28_4005:
	s_movk_i32 s4, 0x80
	v_cmp_eq_u16_sdwa s[12:13], v1, s4 src0_sel:BYTE_0 src1_sel:DWORD
	s_mov_b64 s[4:5], -1
                                        ; implicit-def: $sgpr10
	s_and_saveexec_b64 s[8:9], s[12:13]
; %bb.4006:
	s_mov_b32 s10, 0x7f800001
	s_xor_b64 s[4:5], exec, -1
; %bb.4007:
	s_or_b64 exec, exec, s[8:9]
	s_and_b64 s[4:5], s[4:5], exec
	s_or_saveexec_b64 s[6:7], s[6:7]
	v_mov_b32_e32 v4, s10
	s_xor_b64 exec, exec, s[6:7]
	s_cbranch_execz .LBB28_1958
.LBB28_4008:
	v_mov_b32_e32 v4, 0
	v_cmp_ne_u16_sdwa s[8:9], v1, v4 src0_sel:BYTE_0 src1_sel:DWORD
	s_andn2_b64 s[4:5], s[4:5], exec
	s_and_b64 s[8:9], s[8:9], exec
	s_or_b64 s[4:5], s[4:5], s[8:9]
	s_or_b64 exec, exec, s[6:7]
	s_and_saveexec_b64 s[6:7], s[4:5]
	s_cbranch_execnz .LBB28_1959
	s_branch .LBB28_1960
.LBB28_4009:
	s_movk_i32 s4, 0x80
	v_cmp_eq_u16_sdwa s[12:13], v4, s4 src0_sel:BYTE_0 src1_sel:DWORD
	s_mov_b64 s[4:5], -1
                                        ; implicit-def: $sgpr10
	s_and_saveexec_b64 s[8:9], s[12:13]
; %bb.4010:
	s_mov_b32 s10, 0x7f800001
	s_xor_b64 s[4:5], exec, -1
; %bb.4011:
	s_or_b64 exec, exec, s[8:9]
	s_and_b64 s[4:5], s[4:5], exec
	s_or_saveexec_b64 s[6:7], s[6:7]
	v_mov_b32_e32 v0, s10
	s_xor_b64 exec, exec, s[6:7]
	s_cbranch_execz .LBB28_1962
.LBB28_4012:
	v_mov_b32_e32 v0, 0
	v_cmp_ne_u16_sdwa s[8:9], v4, v0 src0_sel:BYTE_0 src1_sel:DWORD
	s_andn2_b64 s[4:5], s[4:5], exec
	s_and_b64 s[8:9], s[8:9], exec
	s_or_b64 s[4:5], s[4:5], s[8:9]
	s_or_b64 exec, exec, s[6:7]
	s_and_saveexec_b64 s[6:7], s[4:5]
	s_cbranch_execnz .LBB28_1963
	s_branch .LBB28_1964
.LBB28_4013:
	s_movk_i32 s4, 0x80
	v_cmp_eq_u16_sdwa s[12:13], v4, s4 src0_sel:BYTE_0 src1_sel:DWORD
	s_mov_b64 s[4:5], -1
                                        ; implicit-def: $sgpr10
	s_and_saveexec_b64 s[8:9], s[12:13]
; %bb.4014:
	s_mov_b32 s10, 0x7f800001
	s_xor_b64 s[4:5], exec, -1
; %bb.4015:
	s_or_b64 exec, exec, s[8:9]
	s_and_b64 s[4:5], s[4:5], exec
	s_or_saveexec_b64 s[6:7], s[6:7]
	v_mov_b32_e32 v8, s10
	s_xor_b64 exec, exec, s[6:7]
	s_cbranch_execz .LBB28_1966
.LBB28_4016:
	v_mov_b32_e32 v8, 0
	v_cmp_ne_u16_sdwa s[8:9], v4, v8 src0_sel:BYTE_0 src1_sel:DWORD
	s_andn2_b64 s[4:5], s[4:5], exec
	s_and_b64 s[8:9], s[8:9], exec
	s_or_b64 s[4:5], s[4:5], s[8:9]
	s_or_b64 exec, exec, s[6:7]
	s_and_saveexec_b64 s[6:7], s[4:5]
	s_cbranch_execnz .LBB28_1967
	s_branch .LBB28_1968
.LBB28_4017:
	s_movk_i32 s4, 0x80
	v_cmp_eq_u16_e32 vcc, s4, v4
	s_mov_b64 s[4:5], -1
                                        ; implicit-def: $sgpr10
	s_and_saveexec_b64 s[8:9], vcc
; %bb.4018:
	s_mov_b32 s10, 0x7f800001
	s_xor_b64 s[4:5], exec, -1
; %bb.4019:
	s_or_b64 exec, exec, s[8:9]
	s_and_b64 s[4:5], s[4:5], exec
                                        ; implicit-def: $vgpr4
	s_or_saveexec_b64 s[6:7], s[6:7]
	v_mov_b32_e32 v0, s10
	s_xor_b64 exec, exec, s[6:7]
	s_cbranch_execz .LBB28_1970
.LBB28_4020:
	v_cmp_ne_u16_e32 vcc, 0, v4
	s_andn2_b64 s[4:5], s[4:5], exec
	s_and_b64 s[8:9], vcc, exec
	v_mov_b32_e32 v0, 0
	s_or_b64 s[4:5], s[4:5], s[8:9]
	s_or_b64 exec, exec, s[6:7]
	s_and_saveexec_b64 s[6:7], s[4:5]
	s_cbranch_execnz .LBB28_1971
	s_branch .LBB28_1972
.LBB28_4021:
	s_movk_i32 s4, 0x80
	v_cmp_eq_u16_e32 vcc, s4, v4
	s_mov_b64 s[4:5], -1
                                        ; implicit-def: $sgpr10
	s_and_saveexec_b64 s[8:9], vcc
; %bb.4022:
	s_mov_b32 s10, 0x7f800001
	s_xor_b64 s[4:5], exec, -1
; %bb.4023:
	s_or_b64 exec, exec, s[8:9]
	s_and_b64 s[4:5], s[4:5], exec
                                        ; implicit-def: $vgpr4
	s_or_saveexec_b64 s[6:7], s[6:7]
	v_mov_b32_e32 v8, s10
	s_xor_b64 exec, exec, s[6:7]
	s_cbranch_execz .LBB28_1974
.LBB28_4024:
	v_cmp_ne_u16_e32 vcc, 0, v4
	s_andn2_b64 s[4:5], s[4:5], exec
	s_and_b64 s[8:9], vcc, exec
	v_mov_b32_e32 v8, 0
	s_or_b64 s[4:5], s[4:5], s[8:9]
	s_or_b64 exec, exec, s[6:7]
	s_and_saveexec_b64 s[6:7], s[4:5]
	s_cbranch_execnz .LBB28_1975
	s_branch .LBB28_1976
.LBB28_4025:
	s_movk_i32 s4, 0x80
	v_cmp_eq_u16_sdwa s[12:13], v5, s4 src0_sel:BYTE_3 src1_sel:DWORD
	s_mov_b64 s[4:5], -1
                                        ; implicit-def: $sgpr10
	s_and_saveexec_b64 s[8:9], s[12:13]
; %bb.4026:
	s_mov_b32 s10, 0x7f800001
	s_xor_b64 s[4:5], exec, -1
; %bb.4027:
	s_or_b64 exec, exec, s[8:9]
	s_and_b64 s[4:5], s[4:5], exec
	s_or_saveexec_b64 s[6:7], s[6:7]
	v_mov_b32_e32 v0, s10
	s_xor_b64 exec, exec, s[6:7]
	s_cbranch_execz .LBB28_1978
.LBB28_4028:
	v_mov_b32_e32 v0, 0
	v_cmp_ne_u16_sdwa s[8:9], v5, v0 src0_sel:BYTE_3 src1_sel:DWORD
	s_andn2_b64 s[4:5], s[4:5], exec
	s_and_b64 s[8:9], s[8:9], exec
	s_or_b64 s[4:5], s[4:5], s[8:9]
	s_or_b64 exec, exec, s[6:7]
	s_and_saveexec_b64 s[6:7], s[4:5]
	s_cbranch_execnz .LBB28_1979
	s_branch .LBB28_1980
.LBB28_4029:
	s_movk_i32 s4, 0x80
	v_cmp_eq_u16_sdwa s[12:13], v1, s4 src0_sel:BYTE_3 src1_sel:DWORD
	s_mov_b64 s[4:5], -1
                                        ; implicit-def: $sgpr10
	s_and_saveexec_b64 s[8:9], s[12:13]
; %bb.4030:
	s_mov_b32 s10, 0x7f800001
	s_xor_b64 s[4:5], exec, -1
; %bb.4031:
	s_or_b64 exec, exec, s[8:9]
	s_and_b64 s[4:5], s[4:5], exec
	s_or_saveexec_b64 s[6:7], s[6:7]
	v_mov_b32_e32 v4, s10
	s_xor_b64 exec, exec, s[6:7]
	s_cbranch_execz .LBB28_1982
.LBB28_4032:
	v_mov_b32_e32 v4, 0
	v_cmp_ne_u16_sdwa s[8:9], v1, v4 src0_sel:BYTE_3 src1_sel:DWORD
	s_andn2_b64 s[4:5], s[4:5], exec
	s_and_b64 s[8:9], s[8:9], exec
	s_or_b64 s[4:5], s[4:5], s[8:9]
	s_or_b64 exec, exec, s[6:7]
	s_and_saveexec_b64 s[6:7], s[4:5]
	s_cbranch_execnz .LBB28_1983
	s_branch .LBB28_1984
.LBB28_4033:
	s_movk_i32 s4, 0x80
	v_cmp_eq_u16_sdwa s[12:13], v6, s4 src0_sel:BYTE_0 src1_sel:DWORD
	s_mov_b64 s[4:5], -1
                                        ; implicit-def: $sgpr10
	s_and_saveexec_b64 s[8:9], s[12:13]
; %bb.4034:
	s_mov_b32 s10, 0x7f800001
	s_xor_b64 s[4:5], exec, -1
; %bb.4035:
	s_or_b64 exec, exec, s[8:9]
	s_and_b64 s[4:5], s[4:5], exec
	s_or_saveexec_b64 s[6:7], s[6:7]
	v_mov_b32_e32 v0, s10
	s_xor_b64 exec, exec, s[6:7]
	s_cbranch_execz .LBB28_1986
.LBB28_4036:
	v_mov_b32_e32 v0, 0
	v_cmp_ne_u16_sdwa s[8:9], v6, v0 src0_sel:BYTE_0 src1_sel:DWORD
	s_andn2_b64 s[4:5], s[4:5], exec
	s_and_b64 s[8:9], s[8:9], exec
	s_or_b64 s[4:5], s[4:5], s[8:9]
	s_or_b64 exec, exec, s[6:7]
	s_and_saveexec_b64 s[6:7], s[4:5]
	s_cbranch_execnz .LBB28_1987
	s_branch .LBB28_1988
.LBB28_4037:
	s_movk_i32 s4, 0x80
	v_cmp_eq_u16_sdwa s[12:13], v2, s4 src0_sel:BYTE_0 src1_sel:DWORD
	s_mov_b64 s[4:5], -1
                                        ; implicit-def: $sgpr10
	s_and_saveexec_b64 s[8:9], s[12:13]
; %bb.4038:
	s_mov_b32 s10, 0x7f800001
	s_xor_b64 s[4:5], exec, -1
; %bb.4039:
	s_or_b64 exec, exec, s[8:9]
	s_and_b64 s[4:5], s[4:5], exec
	s_or_saveexec_b64 s[6:7], s[6:7]
	v_mov_b32_e32 v1, s10
	s_xor_b64 exec, exec, s[6:7]
	s_cbranch_execz .LBB28_1990
.LBB28_4040:
	v_mov_b32_e32 v1, 0
	v_cmp_ne_u16_sdwa s[8:9], v2, v1 src0_sel:BYTE_0 src1_sel:DWORD
	s_andn2_b64 s[4:5], s[4:5], exec
	s_and_b64 s[8:9], s[8:9], exec
	s_or_b64 s[4:5], s[4:5], s[8:9]
	s_or_b64 exec, exec, s[6:7]
	s_and_saveexec_b64 s[6:7], s[4:5]
	s_cbranch_execnz .LBB28_1991
	s_branch .LBB28_1992
.LBB28_4041:
	s_movk_i32 s4, 0x80
	v_cmp_eq_u16_sdwa s[12:13], v1, s4 src0_sel:BYTE_0 src1_sel:DWORD
	s_mov_b64 s[4:5], -1
                                        ; implicit-def: $sgpr10
	s_and_saveexec_b64 s[8:9], s[12:13]
; %bb.4042:
	s_mov_b32 s10, 0x7f800001
	s_xor_b64 s[4:5], exec, -1
; %bb.4043:
	s_or_b64 exec, exec, s[8:9]
	s_and_b64 s[4:5], s[4:5], exec
	s_or_saveexec_b64 s[6:7], s[6:7]
	v_mov_b32_e32 v0, s10
	s_xor_b64 exec, exec, s[6:7]
	s_cbranch_execz .LBB28_1994
.LBB28_4044:
	v_mov_b32_e32 v0, 0
	v_cmp_ne_u16_sdwa s[8:9], v1, v0 src0_sel:BYTE_0 src1_sel:DWORD
	s_andn2_b64 s[4:5], s[4:5], exec
	s_and_b64 s[8:9], s[8:9], exec
	s_or_b64 s[4:5], s[4:5], s[8:9]
	s_or_b64 exec, exec, s[6:7]
	s_and_saveexec_b64 s[6:7], s[4:5]
	s_cbranch_execnz .LBB28_1995
	s_branch .LBB28_1996
.LBB28_4045:
	s_movk_i32 s4, 0x80
	v_cmp_eq_u16_sdwa s[12:13], v1, s4 src0_sel:BYTE_0 src1_sel:DWORD
	s_mov_b64 s[4:5], -1
                                        ; implicit-def: $sgpr10
	s_and_saveexec_b64 s[8:9], s[12:13]
; %bb.4046:
	s_mov_b32 s10, 0x7f800001
	s_xor_b64 s[4:5], exec, -1
; %bb.4047:
	s_or_b64 exec, exec, s[8:9]
	s_and_b64 s[4:5], s[4:5], exec
	s_or_saveexec_b64 s[6:7], s[6:7]
	v_mov_b32_e32 v4, s10
	s_xor_b64 exec, exec, s[6:7]
	s_cbranch_execz .LBB28_1998
.LBB28_4048:
	v_mov_b32_e32 v4, 0
	v_cmp_ne_u16_sdwa s[8:9], v1, v4 src0_sel:BYTE_0 src1_sel:DWORD
	s_andn2_b64 s[4:5], s[4:5], exec
	s_and_b64 s[8:9], s[8:9], exec
	s_or_b64 s[4:5], s[4:5], s[8:9]
	s_or_b64 exec, exec, s[6:7]
	s_and_saveexec_b64 s[6:7], s[4:5]
	s_cbranch_execnz .LBB28_1999
	s_branch .LBB28_2000
.LBB28_4049:
	s_movk_i32 s4, 0x80
	v_cmp_eq_u16_e32 vcc, s4, v1
	s_mov_b64 s[4:5], -1
                                        ; implicit-def: $sgpr10
	s_and_saveexec_b64 s[8:9], vcc
; %bb.4050:
	s_mov_b32 s10, 0x7f800001
	s_xor_b64 s[4:5], exec, -1
; %bb.4051:
	s_or_b64 exec, exec, s[8:9]
	s_and_b64 s[4:5], s[4:5], exec
                                        ; implicit-def: $vgpr1
	s_or_saveexec_b64 s[6:7], s[6:7]
	v_mov_b32_e32 v0, s10
	s_xor_b64 exec, exec, s[6:7]
	s_cbranch_execz .LBB28_2002
.LBB28_4052:
	v_cmp_ne_u16_e32 vcc, 0, v1
	s_andn2_b64 s[4:5], s[4:5], exec
	s_and_b64 s[8:9], vcc, exec
	v_mov_b32_e32 v0, 0
	s_or_b64 s[4:5], s[4:5], s[8:9]
	s_or_b64 exec, exec, s[6:7]
	s_and_saveexec_b64 s[6:7], s[4:5]
	s_cbranch_execnz .LBB28_2003
	s_branch .LBB28_2004
.LBB28_4053:
	s_movk_i32 s4, 0x80
	v_cmp_eq_u16_e32 vcc, s4, v1
	s_mov_b64 s[4:5], -1
                                        ; implicit-def: $sgpr10
	s_and_saveexec_b64 s[8:9], vcc
; %bb.4054:
	s_mov_b32 s10, 0x7f800001
	s_xor_b64 s[4:5], exec, -1
; %bb.4055:
	s_or_b64 exec, exec, s[8:9]
	s_and_b64 s[4:5], s[4:5], exec
                                        ; implicit-def: $vgpr1
	s_or_saveexec_b64 s[6:7], s[6:7]
	v_mov_b32_e32 v4, s10
	s_xor_b64 exec, exec, s[6:7]
	s_cbranch_execz .LBB28_2006
.LBB28_4056:
	v_cmp_ne_u16_e32 vcc, 0, v1
	s_andn2_b64 s[4:5], s[4:5], exec
	s_and_b64 s[8:9], vcc, exec
	v_mov_b32_e32 v4, 0
	s_or_b64 s[4:5], s[4:5], s[8:9]
	s_or_b64 exec, exec, s[6:7]
	s_and_saveexec_b64 s[6:7], s[4:5]
	s_cbranch_execnz .LBB28_2007
	s_branch .LBB28_2008
.LBB28_4057:
	s_movk_i32 s4, 0x80
	v_cmp_eq_u16_sdwa s[12:13], v6, s4 src0_sel:BYTE_3 src1_sel:DWORD
	s_mov_b64 s[4:5], -1
                                        ; implicit-def: $sgpr10
	s_and_saveexec_b64 s[8:9], s[12:13]
; %bb.4058:
	s_mov_b32 s10, 0x7f800001
	s_xor_b64 s[4:5], exec, -1
; %bb.4059:
	s_or_b64 exec, exec, s[8:9]
	s_and_b64 s[4:5], s[4:5], exec
	s_or_saveexec_b64 s[6:7], s[6:7]
	v_mov_b32_e32 v0, s10
	s_xor_b64 exec, exec, s[6:7]
	s_cbranch_execz .LBB28_2010
.LBB28_4060:
	v_mov_b32_e32 v0, 0
	v_cmp_ne_u16_sdwa s[8:9], v6, v0 src0_sel:BYTE_3 src1_sel:DWORD
	s_andn2_b64 s[4:5], s[4:5], exec
	s_and_b64 s[8:9], s[8:9], exec
	s_or_b64 s[4:5], s[4:5], s[8:9]
	s_or_b64 exec, exec, s[6:7]
	s_and_saveexec_b64 s[6:7], s[4:5]
	s_cbranch_execnz .LBB28_2011
	s_branch .LBB28_2012
.LBB28_4061:
	s_movk_i32 s4, 0x80
	v_cmp_eq_u16_sdwa s[12:13], v2, s4 src0_sel:BYTE_3 src1_sel:DWORD
	s_mov_b64 s[4:5], -1
                                        ; implicit-def: $sgpr10
	s_and_saveexec_b64 s[8:9], s[12:13]
; %bb.4062:
	s_mov_b32 s10, 0x7f800001
	s_xor_b64 s[4:5], exec, -1
; %bb.4063:
	s_or_b64 exec, exec, s[8:9]
	s_and_b64 s[4:5], s[4:5], exec
	s_or_saveexec_b64 s[6:7], s[6:7]
	v_mov_b32_e32 v1, s10
	s_xor_b64 exec, exec, s[6:7]
	s_cbranch_execz .LBB28_2014
.LBB28_4064:
	v_mov_b32_e32 v1, 0
	v_cmp_ne_u16_sdwa s[8:9], v2, v1 src0_sel:BYTE_3 src1_sel:DWORD
	s_andn2_b64 s[4:5], s[4:5], exec
	s_and_b64 s[8:9], s[8:9], exec
	s_or_b64 s[4:5], s[4:5], s[8:9]
	s_or_b64 exec, exec, s[6:7]
	s_and_saveexec_b64 s[6:7], s[4:5]
	s_cbranch_execnz .LBB28_2015
	s_branch .LBB28_2016
.LBB28_4065:
	s_movk_i32 s4, 0x80
	v_cmp_eq_u16_sdwa s[12:13], v7, s4 src0_sel:BYTE_0 src1_sel:DWORD
	s_mov_b64 s[4:5], -1
                                        ; implicit-def: $sgpr10
	s_and_saveexec_b64 s[8:9], s[12:13]
; %bb.4066:
	s_mov_b32 s10, 0x7f800001
	s_xor_b64 s[4:5], exec, -1
; %bb.4067:
	s_or_b64 exec, exec, s[8:9]
	s_and_b64 s[4:5], s[4:5], exec
	s_or_saveexec_b64 s[6:7], s[6:7]
	v_mov_b32_e32 v0, s10
	s_xor_b64 exec, exec, s[6:7]
	s_cbranch_execz .LBB28_2018
.LBB28_4068:
	v_mov_b32_e32 v0, 0
	v_cmp_ne_u16_sdwa s[8:9], v7, v0 src0_sel:BYTE_0 src1_sel:DWORD
	s_andn2_b64 s[4:5], s[4:5], exec
	s_and_b64 s[8:9], s[8:9], exec
	s_or_b64 s[4:5], s[4:5], s[8:9]
	s_or_b64 exec, exec, s[6:7]
	s_and_saveexec_b64 s[6:7], s[4:5]
	s_cbranch_execnz .LBB28_2019
	s_branch .LBB28_2020
.LBB28_4069:
	s_movk_i32 s4, 0x80
	v_cmp_eq_u16_sdwa s[12:13], v3, s4 src0_sel:BYTE_0 src1_sel:DWORD
	s_mov_b64 s[4:5], -1
                                        ; implicit-def: $sgpr10
	s_and_saveexec_b64 s[8:9], s[12:13]
; %bb.4070:
	s_mov_b32 s10, 0x7f800001
	s_xor_b64 s[4:5], exec, -1
; %bb.4071:
	s_or_b64 exec, exec, s[8:9]
	s_and_b64 s[4:5], s[4:5], exec
	s_or_saveexec_b64 s[6:7], s[6:7]
	v_mov_b32_e32 v1, s10
	s_xor_b64 exec, exec, s[6:7]
	s_cbranch_execz .LBB28_2022
.LBB28_4072:
	v_mov_b32_e32 v1, 0
	v_cmp_ne_u16_sdwa s[8:9], v3, v1 src0_sel:BYTE_0 src1_sel:DWORD
	s_andn2_b64 s[4:5], s[4:5], exec
	s_and_b64 s[8:9], s[8:9], exec
	s_or_b64 s[4:5], s[4:5], s[8:9]
	s_or_b64 exec, exec, s[6:7]
	s_and_saveexec_b64 s[6:7], s[4:5]
	s_cbranch_execnz .LBB28_2023
	s_branch .LBB28_2024
.LBB28_4073:
	s_movk_i32 s4, 0x80
	v_cmp_eq_u16_sdwa s[12:13], v1, s4 src0_sel:BYTE_0 src1_sel:DWORD
	s_mov_b64 s[4:5], -1
                                        ; implicit-def: $sgpr10
	s_and_saveexec_b64 s[8:9], s[12:13]
; %bb.4074:
	s_mov_b32 s10, 0x7f800001
	s_xor_b64 s[4:5], exec, -1
; %bb.4075:
	s_or_b64 exec, exec, s[8:9]
	s_and_b64 s[4:5], s[4:5], exec
	s_or_saveexec_b64 s[6:7], s[6:7]
	v_mov_b32_e32 v0, s10
	s_xor_b64 exec, exec, s[6:7]
	s_cbranch_execz .LBB28_2026
.LBB28_4076:
	v_mov_b32_e32 v0, 0
	v_cmp_ne_u16_sdwa s[8:9], v1, v0 src0_sel:BYTE_0 src1_sel:DWORD
	s_andn2_b64 s[4:5], s[4:5], exec
	s_and_b64 s[8:9], s[8:9], exec
	s_or_b64 s[4:5], s[4:5], s[8:9]
	s_or_b64 exec, exec, s[6:7]
	s_and_saveexec_b64 s[6:7], s[4:5]
	s_cbranch_execnz .LBB28_2027
	s_branch .LBB28_2028
.LBB28_4077:
	s_movk_i32 s4, 0x80
	v_cmp_eq_u16_sdwa s[12:13], v1, s4 src0_sel:BYTE_0 src1_sel:DWORD
	s_mov_b64 s[4:5], -1
                                        ; implicit-def: $sgpr10
	s_and_saveexec_b64 s[8:9], s[12:13]
; %bb.4078:
	s_mov_b32 s10, 0x7f800001
	s_xor_b64 s[4:5], exec, -1
; %bb.4079:
	s_or_b64 exec, exec, s[8:9]
	s_and_b64 s[4:5], s[4:5], exec
	s_or_saveexec_b64 s[6:7], s[6:7]
	v_mov_b32_e32 v2, s10
	s_xor_b64 exec, exec, s[6:7]
	s_cbranch_execz .LBB28_2030
.LBB28_4080:
	v_mov_b32_e32 v2, 0
	v_cmp_ne_u16_sdwa s[8:9], v1, v2 src0_sel:BYTE_0 src1_sel:DWORD
	s_andn2_b64 s[4:5], s[4:5], exec
	s_and_b64 s[8:9], s[8:9], exec
	s_or_b64 s[4:5], s[4:5], s[8:9]
	s_or_b64 exec, exec, s[6:7]
	s_and_saveexec_b64 s[6:7], s[4:5]
	s_cbranch_execnz .LBB28_2031
	s_branch .LBB28_2032
.LBB28_4081:
	s_movk_i32 s4, 0x80
	v_cmp_eq_u16_e32 vcc, s4, v1
	s_mov_b64 s[4:5], -1
                                        ; implicit-def: $sgpr10
	s_and_saveexec_b64 s[8:9], vcc
; %bb.4082:
	s_mov_b32 s10, 0x7f800001
	s_xor_b64 s[4:5], exec, -1
; %bb.4083:
	s_or_b64 exec, exec, s[8:9]
	s_and_b64 s[4:5], s[4:5], exec
                                        ; implicit-def: $vgpr1
	s_or_saveexec_b64 s[6:7], s[6:7]
	v_mov_b32_e32 v0, s10
	s_xor_b64 exec, exec, s[6:7]
	s_cbranch_execz .LBB28_2034
.LBB28_4084:
	v_cmp_ne_u16_e32 vcc, 0, v1
	s_andn2_b64 s[4:5], s[4:5], exec
	s_and_b64 s[8:9], vcc, exec
	v_mov_b32_e32 v0, 0
	s_or_b64 s[4:5], s[4:5], s[8:9]
	s_or_b64 exec, exec, s[6:7]
	s_and_saveexec_b64 s[6:7], s[4:5]
	s_cbranch_execnz .LBB28_2035
	s_branch .LBB28_2036
.LBB28_4085:
	s_movk_i32 s4, 0x80
	v_cmp_eq_u16_e32 vcc, s4, v1
	s_mov_b64 s[4:5], -1
                                        ; implicit-def: $sgpr10
	s_and_saveexec_b64 s[8:9], vcc
; %bb.4086:
	s_mov_b32 s10, 0x7f800001
	s_xor_b64 s[4:5], exec, -1
; %bb.4087:
	s_or_b64 exec, exec, s[8:9]
	s_and_b64 s[4:5], s[4:5], exec
                                        ; implicit-def: $vgpr1
	s_or_saveexec_b64 s[6:7], s[6:7]
	v_mov_b32_e32 v2, s10
	s_xor_b64 exec, exec, s[6:7]
	s_cbranch_execz .LBB28_2038
.LBB28_4088:
	v_cmp_ne_u16_e32 vcc, 0, v1
	s_andn2_b64 s[4:5], s[4:5], exec
	s_and_b64 s[8:9], vcc, exec
	v_mov_b32_e32 v2, 0
	s_or_b64 s[4:5], s[4:5], s[8:9]
	s_or_b64 exec, exec, s[6:7]
	s_and_saveexec_b64 s[6:7], s[4:5]
	s_cbranch_execnz .LBB28_2039
	s_branch .LBB28_2040
.LBB28_4089:
	s_movk_i32 s4, 0x80
	v_cmp_eq_u16_sdwa s[12:13], v7, s4 src0_sel:BYTE_3 src1_sel:DWORD
	s_mov_b64 s[4:5], -1
                                        ; implicit-def: $sgpr10
	s_and_saveexec_b64 s[8:9], s[12:13]
; %bb.4090:
	s_mov_b32 s10, 0x7f800001
	s_xor_b64 s[4:5], exec, -1
; %bb.4091:
	s_or_b64 exec, exec, s[8:9]
	s_and_b64 s[4:5], s[4:5], exec
	s_or_saveexec_b64 s[6:7], s[6:7]
	v_mov_b32_e32 v0, s10
	s_xor_b64 exec, exec, s[6:7]
	s_cbranch_execz .LBB28_2042
.LBB28_4092:
	v_mov_b32_e32 v0, 0
	v_cmp_ne_u16_sdwa s[8:9], v7, v0 src0_sel:BYTE_3 src1_sel:DWORD
	s_andn2_b64 s[4:5], s[4:5], exec
	s_and_b64 s[8:9], s[8:9], exec
	s_or_b64 s[4:5], s[4:5], s[8:9]
	s_or_b64 exec, exec, s[6:7]
	s_and_saveexec_b64 s[6:7], s[4:5]
	s_cbranch_execnz .LBB28_2043
	s_branch .LBB28_2044
.LBB28_4093:
	s_movk_i32 s4, 0x80
	v_cmp_eq_u16_sdwa s[12:13], v3, s4 src0_sel:BYTE_3 src1_sel:DWORD
	s_mov_b64 s[4:5], -1
                                        ; implicit-def: $sgpr10
	s_and_saveexec_b64 s[8:9], s[12:13]
; %bb.4094:
	s_mov_b32 s10, 0x7f800001
	s_xor_b64 s[4:5], exec, -1
; %bb.4095:
	s_or_b64 exec, exec, s[8:9]
	s_and_b64 s[4:5], s[4:5], exec
	s_or_saveexec_b64 s[6:7], s[6:7]
	v_mov_b32_e32 v1, s10
	s_xor_b64 exec, exec, s[6:7]
	s_cbranch_execz .LBB28_2046
.LBB28_4096:
	v_mov_b32_e32 v1, 0
	v_cmp_ne_u16_sdwa s[8:9], v3, v1 src0_sel:BYTE_3 src1_sel:DWORD
	s_andn2_b64 s[4:5], s[4:5], exec
	s_and_b64 s[8:9], s[8:9], exec
	s_or_b64 s[4:5], s[4:5], s[8:9]
	s_or_b64 exec, exec, s[6:7]
	s_and_saveexec_b64 s[6:7], s[4:5]
	s_cbranch_execnz .LBB28_2047
	s_branch .LBB28_2048
.Lfunc_end28:
	.size	_ZNK2ck6detail7applierIiJLi0ELi1ELi2ELi3ELi4ELi5ELi6ELi7EEEclIZNKS_11static_fordINS_8SequenceIJLi1ELi8EEEENS5_IJLi0ELi1EEEEEclIZZZNKS_52BlockwiseGemmXdlops_pipeline_bpreshuffle_bdequant_v3ILNS_26BlockGemmPipelineSchedulerE0ELi256ENS_9f8_fnuz_tENS_7pk_i4_tESC_fNS_16TensorDescriptorINS_5TupleIJNS_5EmbedINSF_IJNS_17integral_constantIiLi8EEENSH_IiLi256EEENSH_IiLi16EEEEEENSF_IJSK_NSH_IiLi128EEENSH_IiLi1EEEEEELb0EEENS_3XorINSF_IJSJ_SI_EEELb1EEENS_11PassThroughISK_EENS_7UnMergeINSF_IJSI_SN_EEELb0EEENST_ISJ_EESU_NST_ISI_EENS_21Merge_v3_division_modINSF_IJSJ_SN_EEEEESU_EEENSF_IJNS5_IJLi0EEEENS5_IJLi2ELi1EEEENS5_IJLi3EEEENS5_IJLi5EEEENS5_IJLi4EEEENS5_IJLi6EEEENS5_IJLi7EEEENS5_IJLi9ELi8EEEENS5_IJLi10EEEEEEENSF_IJNS5_IJLi1ELi2ELi3EEEENS5_IJLi4ELi5EEEES19_NS5_IJLi7ELi8EEEENS5_IJLi9EEEES1C_NS5_IJLi11EEEENS5_IJLi12EEEENS5_IJLi13EEEEEEENS5_IJLi11ELi12ELi13EEEENSH_IlLl32768EEEEENSE_INSF_IJNSV_INSF_IJSI_SN_SN_NSH_IiLi32EEEEEELb0EEEEEENSF_IJS14_EEENSF_IJNS5_IJLi1ELi2ELi3ELi4EEEEEEES1U_NSH_IlLl256EEEEENSE_INSF_IJSP_SS_SU_SX_SY_SU_SZ_S12_SU_NS10_INSF_IJSI_SK_EEEEENSV_INSF_IJSI_NSH_IiLi2EEESK_EEELb0EEEEEENSF_IJS14_S15_S16_S17_S18_S19_S1A_S1B_S1C_NS5_IJLi11ELi13EEEES1J_EEENSF_IJS1E_S1F_S19_S1G_S1H_S1C_S1I_S1J_S1K_NS5_IJLi14EEEENS5_IJLi15ELi16ELi17EEEEEEENS5_IJLi15ELi16ELi17ELi14EEEES1N_EENSE_INSF_IJS1R_NS10_ISW_EES22_EEENSF_IJS14_NS5_IJLi1ELi3EEEENS5_IJLi2EEEEEEENSF_IJS1U_S17_NS5_IJLi6ELi7ELi8EEEEEEENS5_IJLi6ELi7ELi8ELi5EEEES1W_EELi16ELi32ELi256ELi256ELi128ELi16ELi16ELi8ELi8ELi32ELb0EE3RunILb1ELNS_10TailNumberE1ENSE_INSF_IJNSG_INSF_IJiiEEENSF_IJiSN_EEELb0EEENSV_IS2N_Lb0EEENST_IiEEEEENSF_IJS14_S2E_NS5_IJLi1EEEEEEENSF_IJNS5_IJLi1ELi2EEEENS5_IJLi3ELi4EEEES17_EEENS5_IJLi3ELi5ELi4EEEElEES1O_NS_35ThreadGroupTensorSliceTransfer_v4r1INS_15ThisThreadBlockILi256EEENS_16tensor_operation12element_wise11PassThroughES35_LNS_25InMemoryDataOperationEnumE0ENS5_IJLi8ELi256ELi16EEEENS5_IJLi8ELi32ELi1EEEENS5_IJLi1ELi0ELi2EEEESC_SC_RKS2Z_KS1O_S39_NS5_IJLi0ELi1ELi2EEEELi2ELi2ELi16ELi16ELi1ELi1ELb0ELb1ELi2EiEENS_13DynamicBufferILNS_16AddressSpaceEnumE1EKSC_lLb1ELNS_22AmdBufferCoherenceEnumE0EiEENSF_IJNS3F_ILS3G_2ESC_S1N_Lb1ELS3I_0EiEES3K_EEENSF_IJiiiEEENSE_INSF_IJNSG_INSF_IJiiiiEEENSF_IJiiiSN_EEELb0EEEEEES1T_S1V_S1U_lEENS_32ThreadwiseTensorSliceTransfer_v2ISD_SD_RKS3R_KS1X_NS5_IJLi8ELi1ELi1ELi32EEEENS5_IJLi1ELi2ELi0ELi3EEEELi3ELi32ELi0ELb1ELb0ELb0EEENS3F_ILS3G_1EKSD_lLb1ELS3I_0EiEENSF_IJNS_12StaticBufferILS3G_4ESD_Li256ELb1EEES42_EEES3N_NS_25StaticBufferTupleOfVectorILS3G_4EfLi64ELi4ELb1ELb0EEEEEvRKT1_RKT2_RT3_RKT4_RT5_RKT6_RKT7_RT8_RKT9_RT10_RKT11_RT12_iENKUlT_T0_E_clINSH_IiLi0EEESN_EEDaS51_S52_ENKUlS51_E_clIS55_EEDaS51_EUlS51_E_EEvS51_EUlS51_E_EEvS51_, .Lfunc_end28-_ZNK2ck6detail7applierIiJLi0ELi1ELi2ELi3ELi4ELi5ELi6ELi7EEEclIZNKS_11static_fordINS_8SequenceIJLi1ELi8EEEENS5_IJLi0ELi1EEEEEclIZZZNKS_52BlockwiseGemmXdlops_pipeline_bpreshuffle_bdequant_v3ILNS_26BlockGemmPipelineSchedulerE0ELi256ENS_9f8_fnuz_tENS_7pk_i4_tESC_fNS_16TensorDescriptorINS_5TupleIJNS_5EmbedINSF_IJNS_17integral_constantIiLi8EEENSH_IiLi256EEENSH_IiLi16EEEEEENSF_IJSK_NSH_IiLi128EEENSH_IiLi1EEEEEELb0EEENS_3XorINSF_IJSJ_SI_EEELb1EEENS_11PassThroughISK_EENS_7UnMergeINSF_IJSI_SN_EEELb0EEENST_ISJ_EESU_NST_ISI_EENS_21Merge_v3_division_modINSF_IJSJ_SN_EEEEESU_EEENSF_IJNS5_IJLi0EEEENS5_IJLi2ELi1EEEENS5_IJLi3EEEENS5_IJLi5EEEENS5_IJLi4EEEENS5_IJLi6EEEENS5_IJLi7EEEENS5_IJLi9ELi8EEEENS5_IJLi10EEEEEEENSF_IJNS5_IJLi1ELi2ELi3EEEENS5_IJLi4ELi5EEEES19_NS5_IJLi7ELi8EEEENS5_IJLi9EEEES1C_NS5_IJLi11EEEENS5_IJLi12EEEENS5_IJLi13EEEEEEENS5_IJLi11ELi12ELi13EEEENSH_IlLl32768EEEEENSE_INSF_IJNSV_INSF_IJSI_SN_SN_NSH_IiLi32EEEEEELb0EEEEEENSF_IJS14_EEENSF_IJNS5_IJLi1ELi2ELi3ELi4EEEEEEES1U_NSH_IlLl256EEEEENSE_INSF_IJSP_SS_SU_SX_SY_SU_SZ_S12_SU_NS10_INSF_IJSI_SK_EEEEENSV_INSF_IJSI_NSH_IiLi2EEESK_EEELb0EEEEEENSF_IJS14_S15_S16_S17_S18_S19_S1A_S1B_S1C_NS5_IJLi11ELi13EEEES1J_EEENSF_IJS1E_S1F_S19_S1G_S1H_S1C_S1I_S1J_S1K_NS5_IJLi14EEEENS5_IJLi15ELi16ELi17EEEEEEENS5_IJLi15ELi16ELi17ELi14EEEES1N_EENSE_INSF_IJS1R_NS10_ISW_EES22_EEENSF_IJS14_NS5_IJLi1ELi3EEEENS5_IJLi2EEEEEEENSF_IJS1U_S17_NS5_IJLi6ELi7ELi8EEEEEEENS5_IJLi6ELi7ELi8ELi5EEEES1W_EELi16ELi32ELi256ELi256ELi128ELi16ELi16ELi8ELi8ELi32ELb0EE3RunILb1ELNS_10TailNumberE1ENSE_INSF_IJNSG_INSF_IJiiEEENSF_IJiSN_EEELb0EEENSV_IS2N_Lb0EEENST_IiEEEEENSF_IJS14_S2E_NS5_IJLi1EEEEEEENSF_IJNS5_IJLi1ELi2EEEENS5_IJLi3ELi4EEEES17_EEENS5_IJLi3ELi5ELi4EEEElEES1O_NS_35ThreadGroupTensorSliceTransfer_v4r1INS_15ThisThreadBlockILi256EEENS_16tensor_operation12element_wise11PassThroughES35_LNS_25InMemoryDataOperationEnumE0ENS5_IJLi8ELi256ELi16EEEENS5_IJLi8ELi32ELi1EEEENS5_IJLi1ELi0ELi2EEEESC_SC_RKS2Z_KS1O_S39_NS5_IJLi0ELi1ELi2EEEELi2ELi2ELi16ELi16ELi1ELi1ELb0ELb1ELi2EiEENS_13DynamicBufferILNS_16AddressSpaceEnumE1EKSC_lLb1ELNS_22AmdBufferCoherenceEnumE0EiEENSF_IJNS3F_ILS3G_2ESC_S1N_Lb1ELS3I_0EiEES3K_EEENSF_IJiiiEEENSE_INSF_IJNSG_INSF_IJiiiiEEENSF_IJiiiSN_EEELb0EEEEEES1T_S1V_S1U_lEENS_32ThreadwiseTensorSliceTransfer_v2ISD_SD_RKS3R_KS1X_NS5_IJLi8ELi1ELi1ELi32EEEENS5_IJLi1ELi2ELi0ELi3EEEELi3ELi32ELi0ELb1ELb0ELb0EEENS3F_ILS3G_1EKSD_lLb1ELS3I_0EiEENSF_IJNS_12StaticBufferILS3G_4ESD_Li256ELb1EEES42_EEES3N_NS_25StaticBufferTupleOfVectorILS3G_4EfLi64ELi4ELb1ELb0EEEEEvRKT1_RKT2_RT3_RKT4_RT5_RKT6_RKT7_RT8_RKT9_RT10_RKT11_RT12_iENKUlT_T0_E_clINSH_IiLi0EEESN_EEDaS51_S52_ENKUlS51_E_clIS55_EEDaS51_EUlS51_E_EEvS51_EUlS51_E_EEvS51_
                                        ; -- End function
	.section	.AMDGPU.csdata,"",@progbits
; Function info:
; codeLenInByte = 133608
; NumSgprs: 36
; NumVgprs: 26
; NumAgprs: 4
; TotalNumVgprs: 32
; ScratchSize: 0
; MemoryBound: 1
	.text
	.p2align	2                               ; -- Begin function _ZNK2ck6detail7applierIiJLi0ELi1ELi2ELi3ELi4ELi5ELi6ELi7EEEclIZNKS_11static_fordINS_8SequenceIJLi1ELi8EEEENS5_IJLi0ELi1EEEEEclIZZZNKS_52BlockwiseGemmXdlops_pipeline_bpreshuffle_bdequant_v3ILNS_26BlockGemmPipelineSchedulerE0ELi256ENS_9f8_fnuz_tENS_7pk_i4_tESC_fNS_16TensorDescriptorINS_5TupleIJNS_5EmbedINSF_IJNS_17integral_constantIiLi8EEENSH_IiLi256EEENSH_IiLi16EEEEEENSF_IJSK_NSH_IiLi128EEENSH_IiLi1EEEEEELb0EEENS_3XorINSF_IJSJ_SI_EEELb1EEENS_11PassThroughISK_EENS_7UnMergeINSF_IJSI_SN_EEELb0EEENST_ISJ_EESU_NST_ISI_EENS_21Merge_v3_division_modINSF_IJSJ_SN_EEEEESU_EEENSF_IJNS5_IJLi0EEEENS5_IJLi2ELi1EEEENS5_IJLi3EEEENS5_IJLi5EEEENS5_IJLi4EEEENS5_IJLi6EEEENS5_IJLi7EEEENS5_IJLi9ELi8EEEENS5_IJLi10EEEEEEENSF_IJNS5_IJLi1ELi2ELi3EEEENS5_IJLi4ELi5EEEES19_NS5_IJLi7ELi8EEEENS5_IJLi9EEEES1C_NS5_IJLi11EEEENS5_IJLi12EEEENS5_IJLi13EEEEEEENS5_IJLi11ELi12ELi13EEEENSH_IlLl32768EEEEENSE_INSF_IJNSV_INSF_IJSI_SN_SN_NSH_IiLi32EEEEEELb0EEEEEENSF_IJS14_EEENSF_IJNS5_IJLi1ELi2ELi3ELi4EEEEEEES1U_NSH_IlLl256EEEEENSE_INSF_IJSP_SS_SU_SX_SY_SU_SZ_S12_SU_NS10_INSF_IJSI_SK_EEEEENSV_INSF_IJSI_NSH_IiLi2EEESK_EEELb0EEEEEENSF_IJS14_S15_S16_S17_S18_S19_S1A_S1B_S1C_NS5_IJLi11ELi13EEEES1J_EEENSF_IJS1E_S1F_S19_S1G_S1H_S1C_S1I_S1J_S1K_NS5_IJLi14EEEENS5_IJLi15ELi16ELi17EEEEEEENS5_IJLi15ELi16ELi17ELi14EEEES1N_EENSE_INSF_IJS1R_NS10_ISW_EES22_EEENSF_IJS14_NS5_IJLi1ELi3EEEENS5_IJLi2EEEEEEENSF_IJS1U_S17_NS5_IJLi6ELi7ELi8EEEEEEENS5_IJLi6ELi7ELi8ELi5EEEES1W_EELi16ELi32ELi256ELi256ELi128ELi16ELi16ELi8ELi8ELi32ELb0EE3RunILb1ELNS_10TailNumberE1ENSE_INSF_IJNSG_INSF_IJiiEEENSF_IJiSN_EEELb0EEENSV_IS2N_Lb0EEENST_IiEEEEENSF_IJS14_S2E_NS5_IJLi1EEEEEEENSF_IJNS5_IJLi1ELi2EEEENS5_IJLi3ELi4EEEES17_EEENS5_IJLi3ELi5ELi4EEEElEES1O_NS_35ThreadGroupTensorSliceTransfer_v4r1INS_15ThisThreadBlockILi256EEENS_16tensor_operation12element_wise11PassThroughES35_LNS_25InMemoryDataOperationEnumE0ENS5_IJLi8ELi256ELi16EEEENS5_IJLi8ELi32ELi1EEEENS5_IJLi1ELi0ELi2EEEESC_SC_RKS2Z_KS1O_S39_NS5_IJLi0ELi1ELi2EEEELi2ELi2ELi16ELi16ELi1ELi1ELb0ELb1ELi2EiEENS_13DynamicBufferILNS_16AddressSpaceEnumE1EKSC_lLb1ELNS_22AmdBufferCoherenceEnumE0EiEENSF_IJNS3F_ILS3G_2ESC_S1N_Lb1ELS3I_0EiEES3K_EEENSF_IJiiiEEENSE_INSF_IJNSG_INSF_IJiiiiEEENSF_IJiiiSN_EEELb0EEEEEES1T_S1V_S1U_lEENS_32ThreadwiseTensorSliceTransfer_v2ISD_SD_RKS3R_KS1X_NS5_IJLi8ELi1ELi1ELi32EEEENS5_IJLi1ELi2ELi0ELi3EEEELi3ELi32ELi0ELb1ELb0ELb0EEENS3F_ILS3G_1EKSD_lLb1ELS3I_0EiEENSF_IJNS_12StaticBufferILS3G_4ESD_Li256ELb1EEES42_EEES3N_NS_25StaticBufferTupleOfVectorILS3G_4EfLi64ELi4ELb1ELb0EEEEEvRKT1_RKT2_RT3_RKT4_RT5_RKT6_RKT7_RT8_RKT9_RT10_RKT11_RT12_iENKUlT_T0_E_clINSH_IiLi0EEESN_EEDaS51_S52_ENKUlS51_E_clISN_EEDaS51_EUlS51_E_EEvS51_EUlS51_E_EEvS51_
	.type	_ZNK2ck6detail7applierIiJLi0ELi1ELi2ELi3ELi4ELi5ELi6ELi7EEEclIZNKS_11static_fordINS_8SequenceIJLi1ELi8EEEENS5_IJLi0ELi1EEEEEclIZZZNKS_52BlockwiseGemmXdlops_pipeline_bpreshuffle_bdequant_v3ILNS_26BlockGemmPipelineSchedulerE0ELi256ENS_9f8_fnuz_tENS_7pk_i4_tESC_fNS_16TensorDescriptorINS_5TupleIJNS_5EmbedINSF_IJNS_17integral_constantIiLi8EEENSH_IiLi256EEENSH_IiLi16EEEEEENSF_IJSK_NSH_IiLi128EEENSH_IiLi1EEEEEELb0EEENS_3XorINSF_IJSJ_SI_EEELb1EEENS_11PassThroughISK_EENS_7UnMergeINSF_IJSI_SN_EEELb0EEENST_ISJ_EESU_NST_ISI_EENS_21Merge_v3_division_modINSF_IJSJ_SN_EEEEESU_EEENSF_IJNS5_IJLi0EEEENS5_IJLi2ELi1EEEENS5_IJLi3EEEENS5_IJLi5EEEENS5_IJLi4EEEENS5_IJLi6EEEENS5_IJLi7EEEENS5_IJLi9ELi8EEEENS5_IJLi10EEEEEEENSF_IJNS5_IJLi1ELi2ELi3EEEENS5_IJLi4ELi5EEEES19_NS5_IJLi7ELi8EEEENS5_IJLi9EEEES1C_NS5_IJLi11EEEENS5_IJLi12EEEENS5_IJLi13EEEEEEENS5_IJLi11ELi12ELi13EEEENSH_IlLl32768EEEEENSE_INSF_IJNSV_INSF_IJSI_SN_SN_NSH_IiLi32EEEEEELb0EEEEEENSF_IJS14_EEENSF_IJNS5_IJLi1ELi2ELi3ELi4EEEEEEES1U_NSH_IlLl256EEEEENSE_INSF_IJSP_SS_SU_SX_SY_SU_SZ_S12_SU_NS10_INSF_IJSI_SK_EEEEENSV_INSF_IJSI_NSH_IiLi2EEESK_EEELb0EEEEEENSF_IJS14_S15_S16_S17_S18_S19_S1A_S1B_S1C_NS5_IJLi11ELi13EEEES1J_EEENSF_IJS1E_S1F_S19_S1G_S1H_S1C_S1I_S1J_S1K_NS5_IJLi14EEEENS5_IJLi15ELi16ELi17EEEEEEENS5_IJLi15ELi16ELi17ELi14EEEES1N_EENSE_INSF_IJS1R_NS10_ISW_EES22_EEENSF_IJS14_NS5_IJLi1ELi3EEEENS5_IJLi2EEEEEEENSF_IJS1U_S17_NS5_IJLi6ELi7ELi8EEEEEEENS5_IJLi6ELi7ELi8ELi5EEEES1W_EELi16ELi32ELi256ELi256ELi128ELi16ELi16ELi8ELi8ELi32ELb0EE3RunILb1ELNS_10TailNumberE1ENSE_INSF_IJNSG_INSF_IJiiEEENSF_IJiSN_EEELb0EEENSV_IS2N_Lb0EEENST_IiEEEEENSF_IJS14_S2E_NS5_IJLi1EEEEEEENSF_IJNS5_IJLi1ELi2EEEENS5_IJLi3ELi4EEEES17_EEENS5_IJLi3ELi5ELi4EEEElEES1O_NS_35ThreadGroupTensorSliceTransfer_v4r1INS_15ThisThreadBlockILi256EEENS_16tensor_operation12element_wise11PassThroughES35_LNS_25InMemoryDataOperationEnumE0ENS5_IJLi8ELi256ELi16EEEENS5_IJLi8ELi32ELi1EEEENS5_IJLi1ELi0ELi2EEEESC_SC_RKS2Z_KS1O_S39_NS5_IJLi0ELi1ELi2EEEELi2ELi2ELi16ELi16ELi1ELi1ELb0ELb1ELi2EiEENS_13DynamicBufferILNS_16AddressSpaceEnumE1EKSC_lLb1ELNS_22AmdBufferCoherenceEnumE0EiEENSF_IJNS3F_ILS3G_2ESC_S1N_Lb1ELS3I_0EiEES3K_EEENSF_IJiiiEEENSE_INSF_IJNSG_INSF_IJiiiiEEENSF_IJiiiSN_EEELb0EEEEEES1T_S1V_S1U_lEENS_32ThreadwiseTensorSliceTransfer_v2ISD_SD_RKS3R_KS1X_NS5_IJLi8ELi1ELi1ELi32EEEENS5_IJLi1ELi2ELi0ELi3EEEELi3ELi32ELi0ELb1ELb0ELb0EEENS3F_ILS3G_1EKSD_lLb1ELS3I_0EiEENSF_IJNS_12StaticBufferILS3G_4ESD_Li256ELb1EEES42_EEES3N_NS_25StaticBufferTupleOfVectorILS3G_4EfLi64ELi4ELb1ELb0EEEEEvRKT1_RKT2_RT3_RKT4_RT5_RKT6_RKT7_RT8_RKT9_RT10_RKT11_RT12_iENKUlT_T0_E_clINSH_IiLi0EEESN_EEDaS51_S52_ENKUlS51_E_clISN_EEDaS51_EUlS51_E_EEvS51_EUlS51_E_EEvS51_,@function
_ZNK2ck6detail7applierIiJLi0ELi1ELi2ELi3ELi4ELi5ELi6ELi7EEEclIZNKS_11static_fordINS_8SequenceIJLi1ELi8EEEENS5_IJLi0ELi1EEEEEclIZZZNKS_52BlockwiseGemmXdlops_pipeline_bpreshuffle_bdequant_v3ILNS_26BlockGemmPipelineSchedulerE0ELi256ENS_9f8_fnuz_tENS_7pk_i4_tESC_fNS_16TensorDescriptorINS_5TupleIJNS_5EmbedINSF_IJNS_17integral_constantIiLi8EEENSH_IiLi256EEENSH_IiLi16EEEEEENSF_IJSK_NSH_IiLi128EEENSH_IiLi1EEEEEELb0EEENS_3XorINSF_IJSJ_SI_EEELb1EEENS_11PassThroughISK_EENS_7UnMergeINSF_IJSI_SN_EEELb0EEENST_ISJ_EESU_NST_ISI_EENS_21Merge_v3_division_modINSF_IJSJ_SN_EEEEESU_EEENSF_IJNS5_IJLi0EEEENS5_IJLi2ELi1EEEENS5_IJLi3EEEENS5_IJLi5EEEENS5_IJLi4EEEENS5_IJLi6EEEENS5_IJLi7EEEENS5_IJLi9ELi8EEEENS5_IJLi10EEEEEEENSF_IJNS5_IJLi1ELi2ELi3EEEENS5_IJLi4ELi5EEEES19_NS5_IJLi7ELi8EEEENS5_IJLi9EEEES1C_NS5_IJLi11EEEENS5_IJLi12EEEENS5_IJLi13EEEEEEENS5_IJLi11ELi12ELi13EEEENSH_IlLl32768EEEEENSE_INSF_IJNSV_INSF_IJSI_SN_SN_NSH_IiLi32EEEEEELb0EEEEEENSF_IJS14_EEENSF_IJNS5_IJLi1ELi2ELi3ELi4EEEEEEES1U_NSH_IlLl256EEEEENSE_INSF_IJSP_SS_SU_SX_SY_SU_SZ_S12_SU_NS10_INSF_IJSI_SK_EEEEENSV_INSF_IJSI_NSH_IiLi2EEESK_EEELb0EEEEEENSF_IJS14_S15_S16_S17_S18_S19_S1A_S1B_S1C_NS5_IJLi11ELi13EEEES1J_EEENSF_IJS1E_S1F_S19_S1G_S1H_S1C_S1I_S1J_S1K_NS5_IJLi14EEEENS5_IJLi15ELi16ELi17EEEEEEENS5_IJLi15ELi16ELi17ELi14EEEES1N_EENSE_INSF_IJS1R_NS10_ISW_EES22_EEENSF_IJS14_NS5_IJLi1ELi3EEEENS5_IJLi2EEEEEEENSF_IJS1U_S17_NS5_IJLi6ELi7ELi8EEEEEEENS5_IJLi6ELi7ELi8ELi5EEEES1W_EELi16ELi32ELi256ELi256ELi128ELi16ELi16ELi8ELi8ELi32ELb0EE3RunILb1ELNS_10TailNumberE1ENSE_INSF_IJNSG_INSF_IJiiEEENSF_IJiSN_EEELb0EEENSV_IS2N_Lb0EEENST_IiEEEEENSF_IJS14_S2E_NS5_IJLi1EEEEEEENSF_IJNS5_IJLi1ELi2EEEENS5_IJLi3ELi4EEEES17_EEENS5_IJLi3ELi5ELi4EEEElEES1O_NS_35ThreadGroupTensorSliceTransfer_v4r1INS_15ThisThreadBlockILi256EEENS_16tensor_operation12element_wise11PassThroughES35_LNS_25InMemoryDataOperationEnumE0ENS5_IJLi8ELi256ELi16EEEENS5_IJLi8ELi32ELi1EEEENS5_IJLi1ELi0ELi2EEEESC_SC_RKS2Z_KS1O_S39_NS5_IJLi0ELi1ELi2EEEELi2ELi2ELi16ELi16ELi1ELi1ELb0ELb1ELi2EiEENS_13DynamicBufferILNS_16AddressSpaceEnumE1EKSC_lLb1ELNS_22AmdBufferCoherenceEnumE0EiEENSF_IJNS3F_ILS3G_2ESC_S1N_Lb1ELS3I_0EiEES3K_EEENSF_IJiiiEEENSE_INSF_IJNSG_INSF_IJiiiiEEENSF_IJiiiSN_EEELb0EEEEEES1T_S1V_S1U_lEENS_32ThreadwiseTensorSliceTransfer_v2ISD_SD_RKS3R_KS1X_NS5_IJLi8ELi1ELi1ELi32EEEENS5_IJLi1ELi2ELi0ELi3EEEELi3ELi32ELi0ELb1ELb0ELb0EEENS3F_ILS3G_1EKSD_lLb1ELS3I_0EiEENSF_IJNS_12StaticBufferILS3G_4ESD_Li256ELb1EEES42_EEES3N_NS_25StaticBufferTupleOfVectorILS3G_4EfLi64ELi4ELb1ELb0EEEEEvRKT1_RKT2_RT3_RKT4_RT5_RKT6_RKT7_RT8_RKT9_RT10_RKT11_RT12_iENKUlT_T0_E_clINSH_IiLi0EEESN_EEDaS51_S52_ENKUlS51_E_clISN_EEDaS51_EUlS51_E_EEvS51_EUlS51_E_EEvS51_: ; @_ZNK2ck6detail7applierIiJLi0ELi1ELi2ELi3ELi4ELi5ELi6ELi7EEEclIZNKS_11static_fordINS_8SequenceIJLi1ELi8EEEENS5_IJLi0ELi1EEEEEclIZZZNKS_52BlockwiseGemmXdlops_pipeline_bpreshuffle_bdequant_v3ILNS_26BlockGemmPipelineSchedulerE0ELi256ENS_9f8_fnuz_tENS_7pk_i4_tESC_fNS_16TensorDescriptorINS_5TupleIJNS_5EmbedINSF_IJNS_17integral_constantIiLi8EEENSH_IiLi256EEENSH_IiLi16EEEEEENSF_IJSK_NSH_IiLi128EEENSH_IiLi1EEEEEELb0EEENS_3XorINSF_IJSJ_SI_EEELb1EEENS_11PassThroughISK_EENS_7UnMergeINSF_IJSI_SN_EEELb0EEENST_ISJ_EESU_NST_ISI_EENS_21Merge_v3_division_modINSF_IJSJ_SN_EEEEESU_EEENSF_IJNS5_IJLi0EEEENS5_IJLi2ELi1EEEENS5_IJLi3EEEENS5_IJLi5EEEENS5_IJLi4EEEENS5_IJLi6EEEENS5_IJLi7EEEENS5_IJLi9ELi8EEEENS5_IJLi10EEEEEEENSF_IJNS5_IJLi1ELi2ELi3EEEENS5_IJLi4ELi5EEEES19_NS5_IJLi7ELi8EEEENS5_IJLi9EEEES1C_NS5_IJLi11EEEENS5_IJLi12EEEENS5_IJLi13EEEEEEENS5_IJLi11ELi12ELi13EEEENSH_IlLl32768EEEEENSE_INSF_IJNSV_INSF_IJSI_SN_SN_NSH_IiLi32EEEEEELb0EEEEEENSF_IJS14_EEENSF_IJNS5_IJLi1ELi2ELi3ELi4EEEEEEES1U_NSH_IlLl256EEEEENSE_INSF_IJSP_SS_SU_SX_SY_SU_SZ_S12_SU_NS10_INSF_IJSI_SK_EEEEENSV_INSF_IJSI_NSH_IiLi2EEESK_EEELb0EEEEEENSF_IJS14_S15_S16_S17_S18_S19_S1A_S1B_S1C_NS5_IJLi11ELi13EEEES1J_EEENSF_IJS1E_S1F_S19_S1G_S1H_S1C_S1I_S1J_S1K_NS5_IJLi14EEEENS5_IJLi15ELi16ELi17EEEEEEENS5_IJLi15ELi16ELi17ELi14EEEES1N_EENSE_INSF_IJS1R_NS10_ISW_EES22_EEENSF_IJS14_NS5_IJLi1ELi3EEEENS5_IJLi2EEEEEEENSF_IJS1U_S17_NS5_IJLi6ELi7ELi8EEEEEEENS5_IJLi6ELi7ELi8ELi5EEEES1W_EELi16ELi32ELi256ELi256ELi128ELi16ELi16ELi8ELi8ELi32ELb0EE3RunILb1ELNS_10TailNumberE1ENSE_INSF_IJNSG_INSF_IJiiEEENSF_IJiSN_EEELb0EEENSV_IS2N_Lb0EEENST_IiEEEEENSF_IJS14_S2E_NS5_IJLi1EEEEEEENSF_IJNS5_IJLi1ELi2EEEENS5_IJLi3ELi4EEEES17_EEENS5_IJLi3ELi5ELi4EEEElEES1O_NS_35ThreadGroupTensorSliceTransfer_v4r1INS_15ThisThreadBlockILi256EEENS_16tensor_operation12element_wise11PassThroughES35_LNS_25InMemoryDataOperationEnumE0ENS5_IJLi8ELi256ELi16EEEENS5_IJLi8ELi32ELi1EEEENS5_IJLi1ELi0ELi2EEEESC_SC_RKS2Z_KS1O_S39_NS5_IJLi0ELi1ELi2EEEELi2ELi2ELi16ELi16ELi1ELi1ELb0ELb1ELi2EiEENS_13DynamicBufferILNS_16AddressSpaceEnumE1EKSC_lLb1ELNS_22AmdBufferCoherenceEnumE0EiEENSF_IJNS3F_ILS3G_2ESC_S1N_Lb1ELS3I_0EiEES3K_EEENSF_IJiiiEEENSE_INSF_IJNSG_INSF_IJiiiiEEENSF_IJiiiSN_EEELb0EEEEEES1T_S1V_S1U_lEENS_32ThreadwiseTensorSliceTransfer_v2ISD_SD_RKS3R_KS1X_NS5_IJLi8ELi1ELi1ELi32EEEENS5_IJLi1ELi2ELi0ELi3EEEELi3ELi32ELi0ELb1ELb0ELb0EEENS3F_ILS3G_1EKSD_lLb1ELS3I_0EiEENSF_IJNS_12StaticBufferILS3G_4ESD_Li256ELb1EEES42_EEES3N_NS_25StaticBufferTupleOfVectorILS3G_4EfLi64ELi4ELb1ELb0EEEEEvRKT1_RKT2_RT3_RKT4_RT5_RKT6_RKT7_RT8_RKT9_RT10_RKT11_RT12_iENKUlT_T0_E_clINSH_IiLi0EEESN_EEDaS51_S52_ENKUlS51_E_clISN_EEDaS51_EUlS51_E_EEvS51_EUlS51_E_EEvS51_
; %bb.0:
	s_waitcnt vmcnt(0) expcnt(0) lgkmcnt(0)
	flat_load_dwordx4 v[20:23], v[0:1] offset:16
	flat_load_dwordx2 v[18:19], v[0:1] offset:32
	s_movk_i32 s4, 0x7f
                                        ; implicit-def: $sgpr10
	s_waitcnt vmcnt(0) lgkmcnt(0)
	flat_load_dwordx4 v[14:17], v[20:21] offset:32
	flat_load_dwordx4 v[6:9], v[20:21] offset:48
	flat_load_dwordx4 v[10:13], v[22:23]
	flat_load_dwordx4 v[2:5], v[22:23] offset:16
	s_waitcnt vmcnt(0) lgkmcnt(0)
	v_cmp_gt_i16_sdwa s[6:7], v14, s4 src0_sel:BYTE_0 src1_sel:DWORD
	s_mov_b64 s[4:5], 0
	s_and_saveexec_b64 s[8:9], s[6:7]
	s_xor_b64 s[6:7], exec, s[8:9]
	s_cbranch_execnz .LBB29_2049
; %bb.1:
	s_or_saveexec_b64 s[6:7], s[6:7]
	v_mov_b32_e32 v20, s10
	s_xor_b64 exec, exec, s[6:7]
	s_cbranch_execnz .LBB29_2052
.LBB29_2:
	s_or_b64 exec, exec, s[6:7]
	s_and_saveexec_b64 s[6:7], s[4:5]
	s_cbranch_execz .LBB29_4
.LBB29_3:
	v_and_b32_e32 v20, 7, v14
	v_ffbh_u32_e32 v22, v20
	v_min_u32_e32 v22, 32, v22
	v_lshrrev_b16_e32 v21, 3, v14
	v_subrev_u32_e32 v23, 28, v22
	v_and_b32_e32 v21, 15, v21
	v_lshlrev_b32_e32 v23, v23, v14
	v_sub_u32_e32 v22, 29, v22
	v_and_b32_e32 v23, 7, v23
	v_cmp_eq_u16_e32 vcc, 0, v21
	v_cndmask_b32_e32 v20, v20, v23, vcc
	v_cndmask_b32_e32 v21, v21, v22, vcc
	v_lshlrev_b32_e32 v22, 24, v14
	v_mov_b32_e32 v23, 0x3b800000
	v_lshlrev_b32_e32 v20, 20, v20
	v_and_b32_e32 v22, 0x80000000, v22
	v_lshl_add_u32 v21, v21, 23, v23
	v_or3_b32 v20, v22, v21, v20
.LBB29_4:
	s_or_b64 exec, exec, s[6:7]
	s_movk_i32 s4, 0x7f
	v_cmp_gt_i16_sdwa s[6:7], v10, s4 src0_sel:BYTE_0 src1_sel:DWORD
	s_mov_b64 s[4:5], 0
                                        ; implicit-def: $sgpr10
	s_and_saveexec_b64 s[8:9], s[6:7]
	s_xor_b64 s[6:7], exec, s[8:9]
	s_cbranch_execnz .LBB29_2053
; %bb.5:
	s_or_saveexec_b64 s[6:7], s[6:7]
	v_mov_b32_e32 v21, s10
	s_xor_b64 exec, exec, s[6:7]
	s_cbranch_execnz .LBB29_2056
.LBB29_6:
	s_or_b64 exec, exec, s[6:7]
	s_and_saveexec_b64 s[6:7], s[4:5]
	s_cbranch_execz .LBB29_8
.LBB29_7:
	v_and_b32_e32 v21, 7, v10
	v_ffbh_u32_e32 v23, v21
	v_min_u32_e32 v23, 32, v23
	v_lshrrev_b16_e32 v22, 3, v10
	v_subrev_u32_e32 v24, 28, v23
	v_and_b32_e32 v22, 15, v22
	v_lshlrev_b32_e32 v24, v24, v10
	v_sub_u32_e32 v23, 29, v23
	v_and_b32_e32 v24, 7, v24
	v_cmp_eq_u16_e32 vcc, 0, v22
	v_cndmask_b32_e32 v21, v21, v24, vcc
	v_cndmask_b32_e32 v22, v22, v23, vcc
	v_lshlrev_b32_e32 v23, 24, v10
	v_mov_b32_e32 v24, 0x3b800000
	v_lshlrev_b32_e32 v21, 20, v21
	v_and_b32_e32 v23, 0x80000000, v23
	v_lshl_add_u32 v22, v22, 23, v24
	v_or3_b32 v21, v23, v22, v21
.LBB29_8:
	s_or_b64 exec, exec, s[6:7]
	flat_load_dwordx4 a[0:3], v[18:19] offset:128
	s_movk_i32 s4, 0x7f
                                        ; implicit-def: $sgpr10
	s_waitcnt vmcnt(0) lgkmcnt(0)
	v_mfma_f32_16x16x4f32 a[0:3], v20, v21, a[0:3]
	v_lshrrev_b32_e32 v21, 8, v14
	v_cmp_gt_i16_sdwa s[6:7], v21, s4 src0_sel:BYTE_0 src1_sel:DWORD
	s_mov_b64 s[4:5], 0
	s_and_saveexec_b64 s[8:9], s[6:7]
	s_xor_b64 s[6:7], exec, s[8:9]
	s_cbranch_execnz .LBB29_2057
; %bb.9:
	s_or_saveexec_b64 s[6:7], s[6:7]
	v_mov_b32_e32 v20, s10
	s_xor_b64 exec, exec, s[6:7]
	s_cbranch_execnz .LBB29_2060
.LBB29_10:
	s_or_b64 exec, exec, s[6:7]
	s_and_saveexec_b64 s[6:7], s[4:5]
	s_cbranch_execz .LBB29_12
.LBB29_11:
	v_bfe_u32 v20, v14, 8, 3
	v_ffbh_u32_e32 v23, v20
	v_min_u32_e32 v23, 32, v23
	v_lshrrev_b16_e32 v22, 3, v21
	v_subrev_u32_e32 v24, 28, v23
	v_and_b32_e32 v22, 15, v22
	v_lshlrev_b32_e32 v21, v24, v21
	v_sub_u32_e32 v23, 29, v23
	v_and_b32_e32 v21, 7, v21
	v_cmp_eq_u16_e32 vcc, 0, v22
	v_cndmask_b32_e32 v20, v20, v21, vcc
	v_cndmask_b32_e32 v21, v22, v23, vcc
	v_lshlrev_b32_e32 v22, 16, v14
	v_mov_b32_e32 v23, 0x3b800000
	v_lshlrev_b32_e32 v20, 20, v20
	v_and_b32_e32 v22, 0x80000000, v22
	v_lshl_add_u32 v21, v21, 23, v23
	v_or3_b32 v20, v22, v21, v20
.LBB29_12:
	s_or_b64 exec, exec, s[6:7]
	v_lshrrev_b32_e32 v21, 8, v10
	s_movk_i32 s4, 0x7f
	v_cmp_gt_i16_sdwa s[6:7], v21, s4 src0_sel:BYTE_0 src1_sel:DWORD
	s_mov_b64 s[4:5], 0
                                        ; implicit-def: $sgpr10
	s_and_saveexec_b64 s[8:9], s[6:7]
	s_xor_b64 s[6:7], exec, s[8:9]
	s_cbranch_execnz .LBB29_2061
; %bb.13:
	s_or_saveexec_b64 s[6:7], s[6:7]
	v_mov_b32_e32 v22, s10
	s_xor_b64 exec, exec, s[6:7]
	s_cbranch_execnz .LBB29_2064
.LBB29_14:
	s_or_b64 exec, exec, s[6:7]
	s_and_saveexec_b64 s[6:7], s[4:5]
	s_cbranch_execz .LBB29_16
.LBB29_15:
	v_bfe_u32 v22, v10, 8, 3
	v_ffbh_u32_e32 v24, v22
	v_min_u32_e32 v24, 32, v24
	v_lshrrev_b16_e32 v23, 3, v21
	v_subrev_u32_e32 v25, 28, v24
	v_and_b32_e32 v23, 15, v23
	v_lshlrev_b32_e32 v21, v25, v21
	v_sub_u32_e32 v24, 29, v24
	v_and_b32_e32 v21, 7, v21
	v_cmp_eq_u16_e32 vcc, 0, v23
	v_cndmask_b32_e32 v21, v22, v21, vcc
	v_cndmask_b32_e32 v22, v23, v24, vcc
	v_lshlrev_b32_e32 v23, 16, v10
	v_mov_b32_e32 v24, 0x3b800000
	v_lshlrev_b32_e32 v21, 20, v21
	v_and_b32_e32 v23, 0x80000000, v23
	v_lshl_add_u32 v22, v22, 23, v24
	v_or3_b32 v22, v23, v22, v21
.LBB29_16:
	s_or_b64 exec, exec, s[6:7]
	s_nop 0
	v_mfma_f32_16x16x4f32 a[0:3], v20, v22, a[0:3]
	s_movk_i32 s4, 0xff
	v_and_b32_sdwa v21, v14, s4 dst_sel:DWORD dst_unused:UNUSED_PAD src0_sel:WORD_1 src1_sel:DWORD
	s_movk_i32 s4, 0x7f
	v_cmp_lt_i16_e32 vcc, s4, v21
	s_mov_b64 s[4:5], 0
                                        ; implicit-def: $sgpr10
	s_and_saveexec_b64 s[6:7], vcc
	s_xor_b64 s[6:7], exec, s[6:7]
	s_cbranch_execnz .LBB29_2065
; %bb.17:
	s_or_saveexec_b64 s[6:7], s[6:7]
	v_mov_b32_e32 v20, s10
	s_xor_b64 exec, exec, s[6:7]
	s_cbranch_execnz .LBB29_2068
.LBB29_18:
	s_or_b64 exec, exec, s[6:7]
	s_and_saveexec_b64 s[6:7], s[4:5]
	s_cbranch_execz .LBB29_20
.LBB29_19:
	v_bfe_u32 v20, v14, 16, 3
	v_ffbh_u32_e32 v23, v20
	v_min_u32_e32 v23, 32, v23
	v_lshrrev_b32_e32 v21, 19, v14
	v_subrev_u32_e32 v24, 28, v23
	v_and_b32_e32 v21, 15, v21
	v_lshlrev_b32_sdwa v24, v24, v14 dst_sel:DWORD dst_unused:UNUSED_PAD src0_sel:DWORD src1_sel:WORD_1
	v_bfe_u32 v22, v14, 19, 4
	v_sub_u32_e32 v23, 29, v23
	v_and_b32_e32 v24, 7, v24
	v_cmp_eq_u16_e32 vcc, 0, v21
	v_cndmask_b32_e32 v20, v20, v24, vcc
	v_cndmask_b32_e32 v21, v22, v23, vcc
	v_lshlrev_b32_e32 v22, 8, v14
	v_mov_b32_e32 v23, 0x3b800000
	v_lshlrev_b32_e32 v20, 20, v20
	v_and_b32_e32 v22, 0x80000000, v22
	v_lshl_add_u32 v21, v21, 23, v23
	v_or3_b32 v20, v22, v21, v20
.LBB29_20:
	s_or_b64 exec, exec, s[6:7]
	s_movk_i32 s4, 0xff
	v_and_b32_sdwa v21, v10, s4 dst_sel:DWORD dst_unused:UNUSED_PAD src0_sel:WORD_1 src1_sel:DWORD
	s_movk_i32 s4, 0x7f
	v_cmp_lt_i16_e32 vcc, s4, v21
	s_mov_b64 s[4:5], 0
                                        ; implicit-def: $sgpr10
	s_and_saveexec_b64 s[6:7], vcc
	s_xor_b64 s[6:7], exec, s[6:7]
	s_cbranch_execnz .LBB29_2069
; %bb.21:
	s_or_saveexec_b64 s[6:7], s[6:7]
	v_mov_b32_e32 v22, s10
	s_xor_b64 exec, exec, s[6:7]
	s_cbranch_execnz .LBB29_2072
.LBB29_22:
	s_or_b64 exec, exec, s[6:7]
	s_and_saveexec_b64 s[6:7], s[4:5]
	s_cbranch_execz .LBB29_24
.LBB29_23:
	v_bfe_u32 v21, v10, 16, 3
	v_ffbh_u32_e32 v24, v21
	v_min_u32_e32 v24, 32, v24
	v_lshrrev_b32_e32 v22, 19, v10
	v_subrev_u32_e32 v25, 28, v24
	v_and_b32_e32 v22, 15, v22
	v_lshlrev_b32_sdwa v25, v25, v10 dst_sel:DWORD dst_unused:UNUSED_PAD src0_sel:DWORD src1_sel:WORD_1
	v_bfe_u32 v23, v10, 19, 4
	v_sub_u32_e32 v24, 29, v24
	v_and_b32_e32 v25, 7, v25
	v_cmp_eq_u16_e32 vcc, 0, v22
	v_cndmask_b32_e32 v21, v21, v25, vcc
	v_cndmask_b32_e32 v22, v23, v24, vcc
	v_lshlrev_b32_e32 v23, 8, v10
	v_mov_b32_e32 v24, 0x3b800000
	v_lshlrev_b32_e32 v21, 20, v21
	v_and_b32_e32 v23, 0x80000000, v23
	v_lshl_add_u32 v22, v22, 23, v24
	v_or3_b32 v22, v23, v22, v21
.LBB29_24:
	s_or_b64 exec, exec, s[6:7]
	s_nop 0
	v_mfma_f32_16x16x4f32 a[0:3], v20, v22, a[0:3]
	s_movk_i32 s4, 0x7f
	v_cmp_gt_i16_sdwa s[6:7], v14, s4 src0_sel:BYTE_3 src1_sel:DWORD
	s_mov_b64 s[4:5], 0
                                        ; implicit-def: $sgpr10
	s_and_saveexec_b64 s[8:9], s[6:7]
	s_xor_b64 s[6:7], exec, s[8:9]
	s_cbranch_execnz .LBB29_2073
; %bb.25:
	s_or_saveexec_b64 s[6:7], s[6:7]
	v_mov_b32_e32 v20, s10
	s_xor_b64 exec, exec, s[6:7]
	s_cbranch_execnz .LBB29_2076
.LBB29_26:
	s_or_b64 exec, exec, s[6:7]
	s_and_saveexec_b64 s[6:7], s[4:5]
	s_cbranch_execz .LBB29_28
.LBB29_27:
	v_bfe_u32 v20, v14, 24, 3
	v_ffbh_u32_e32 v24, v20
	v_min_u32_e32 v24, 32, v24
	v_lshrrev_b32_e32 v22, 27, v14
	v_subrev_u32_e32 v25, 28, v24
	v_and_b32_e32 v21, 0x80000000, v14
	v_and_b32_e32 v22, 15, v22
	v_bfe_u32 v23, v14, 27, 4
	v_lshlrev_b32_sdwa v14, v25, v14 dst_sel:DWORD dst_unused:UNUSED_PAD src0_sel:DWORD src1_sel:BYTE_3
	v_sub_u32_e32 v24, 29, v24
	v_and_b32_e32 v14, 7, v14
	v_cmp_eq_u16_e32 vcc, 0, v22
	v_cndmask_b32_e32 v14, v20, v14, vcc
	v_cndmask_b32_e32 v20, v23, v24, vcc
	v_mov_b32_e32 v22, 0x3b800000
	v_lshlrev_b32_e32 v14, 20, v14
	v_lshl_add_u32 v20, v20, 23, v22
	v_or3_b32 v20, v21, v20, v14
.LBB29_28:
	s_or_b64 exec, exec, s[6:7]
	s_movk_i32 s4, 0x7f
	v_cmp_gt_i16_sdwa s[6:7], v10, s4 src0_sel:BYTE_3 src1_sel:DWORD
	s_mov_b64 s[4:5], 0
                                        ; implicit-def: $sgpr10
	s_and_saveexec_b64 s[8:9], s[6:7]
	s_xor_b64 s[6:7], exec, s[8:9]
	s_cbranch_execnz .LBB29_2077
; %bb.29:
	s_or_saveexec_b64 s[6:7], s[6:7]
	v_mov_b32_e32 v14, s10
	s_xor_b64 exec, exec, s[6:7]
	s_cbranch_execnz .LBB29_2080
.LBB29_30:
	s_or_b64 exec, exec, s[6:7]
	s_and_saveexec_b64 s[6:7], s[4:5]
	s_cbranch_execz .LBB29_32
.LBB29_31:
	v_bfe_u32 v14, v10, 24, 3
	v_ffbh_u32_e32 v24, v14
	v_min_u32_e32 v24, 32, v24
	v_lshrrev_b32_e32 v22, 27, v10
	v_subrev_u32_e32 v25, 28, v24
	v_and_b32_e32 v21, 0x80000000, v10
	v_and_b32_e32 v22, 15, v22
	v_bfe_u32 v23, v10, 27, 4
	v_lshlrev_b32_sdwa v10, v25, v10 dst_sel:DWORD dst_unused:UNUSED_PAD src0_sel:DWORD src1_sel:BYTE_3
	v_sub_u32_e32 v24, 29, v24
	v_and_b32_e32 v10, 7, v10
	v_cmp_eq_u16_e32 vcc, 0, v22
	v_cndmask_b32_e32 v10, v14, v10, vcc
	v_cndmask_b32_e32 v14, v23, v24, vcc
	v_mov_b32_e32 v22, 0x3b800000
	v_lshlrev_b32_e32 v10, 20, v10
	v_lshl_add_u32 v14, v14, 23, v22
	v_or3_b32 v14, v21, v14, v10
.LBB29_32:
	s_or_b64 exec, exec, s[6:7]
	s_nop 0
	v_mfma_f32_16x16x4f32 a[0:3], v20, v14, a[0:3]
	s_movk_i32 s4, 0x7f
	v_cmp_gt_i16_sdwa s[6:7], v15, s4 src0_sel:BYTE_0 src1_sel:DWORD
	s_mov_b64 s[4:5], 0
                                        ; implicit-def: $sgpr10
	s_and_saveexec_b64 s[8:9], s[6:7]
	s_xor_b64 s[6:7], exec, s[8:9]
	s_cbranch_execnz .LBB29_2081
; %bb.33:
	s_or_saveexec_b64 s[6:7], s[6:7]
	v_mov_b32_e32 v10, s10
	s_xor_b64 exec, exec, s[6:7]
	s_cbranch_execnz .LBB29_2084
.LBB29_34:
	s_or_b64 exec, exec, s[6:7]
	s_and_saveexec_b64 s[6:7], s[4:5]
	s_cbranch_execz .LBB29_36
.LBB29_35:
	v_and_b32_e32 v10, 7, v15
	v_ffbh_u32_e32 v20, v10
	v_min_u32_e32 v20, 32, v20
	v_lshrrev_b16_e32 v14, 3, v15
	v_subrev_u32_e32 v21, 28, v20
	v_and_b32_e32 v14, 15, v14
	v_lshlrev_b32_e32 v21, v21, v15
	v_sub_u32_e32 v20, 29, v20
	v_and_b32_e32 v21, 7, v21
	v_cmp_eq_u16_e32 vcc, 0, v14
	v_cndmask_b32_e32 v10, v10, v21, vcc
	v_cndmask_b32_e32 v14, v14, v20, vcc
	v_lshlrev_b32_e32 v20, 24, v15
	v_mov_b32_e32 v21, 0x3b800000
	v_lshlrev_b32_e32 v10, 20, v10
	v_and_b32_e32 v20, 0x80000000, v20
	v_lshl_add_u32 v14, v14, 23, v21
	v_or3_b32 v10, v20, v14, v10
.LBB29_36:
	s_or_b64 exec, exec, s[6:7]
	s_movk_i32 s4, 0x7f
	v_cmp_gt_i16_sdwa s[6:7], v11, s4 src0_sel:BYTE_0 src1_sel:DWORD
	s_mov_b64 s[4:5], 0
                                        ; implicit-def: $sgpr10
	s_and_saveexec_b64 s[8:9], s[6:7]
	s_xor_b64 s[6:7], exec, s[8:9]
	s_cbranch_execnz .LBB29_2085
; %bb.37:
	s_or_saveexec_b64 s[6:7], s[6:7]
	v_mov_b32_e32 v14, s10
	s_xor_b64 exec, exec, s[6:7]
	s_cbranch_execnz .LBB29_2088
.LBB29_38:
	s_or_b64 exec, exec, s[6:7]
	s_and_saveexec_b64 s[6:7], s[4:5]
	s_cbranch_execz .LBB29_40
.LBB29_39:
	v_and_b32_e32 v14, 7, v11
	v_ffbh_u32_e32 v21, v14
	v_min_u32_e32 v21, 32, v21
	v_lshrrev_b16_e32 v20, 3, v11
	v_subrev_u32_e32 v22, 28, v21
	v_and_b32_e32 v20, 15, v20
	v_lshlrev_b32_e32 v22, v22, v11
	v_sub_u32_e32 v21, 29, v21
	v_and_b32_e32 v22, 7, v22
	v_cmp_eq_u16_e32 vcc, 0, v20
	v_cndmask_b32_e32 v14, v14, v22, vcc
	v_cndmask_b32_e32 v20, v20, v21, vcc
	v_lshlrev_b32_e32 v21, 24, v11
	v_mov_b32_e32 v22, 0x3b800000
	v_lshlrev_b32_e32 v14, 20, v14
	v_and_b32_e32 v21, 0x80000000, v21
	v_lshl_add_u32 v20, v20, 23, v22
	v_or3_b32 v14, v21, v20, v14
.LBB29_40:
	s_or_b64 exec, exec, s[6:7]
	s_nop 0
	v_mfma_f32_16x16x4f32 a[0:3], v10, v14, a[0:3]
	v_lshrrev_b32_e32 v14, 8, v15
	s_movk_i32 s4, 0x7f
	v_cmp_gt_i16_sdwa s[6:7], v14, s4 src0_sel:BYTE_0 src1_sel:DWORD
	s_mov_b64 s[4:5], 0
                                        ; implicit-def: $sgpr10
	s_and_saveexec_b64 s[8:9], s[6:7]
	s_xor_b64 s[6:7], exec, s[8:9]
	s_cbranch_execnz .LBB29_2089
; %bb.41:
	s_or_saveexec_b64 s[6:7], s[6:7]
	v_mov_b32_e32 v10, s10
	s_xor_b64 exec, exec, s[6:7]
	s_cbranch_execnz .LBB29_2092
.LBB29_42:
	s_or_b64 exec, exec, s[6:7]
	s_and_saveexec_b64 s[6:7], s[4:5]
	s_cbranch_execz .LBB29_44
.LBB29_43:
	v_bfe_u32 v10, v15, 8, 3
	v_ffbh_u32_e32 v21, v10
	v_min_u32_e32 v21, 32, v21
	v_lshrrev_b16_e32 v20, 3, v14
	v_subrev_u32_e32 v22, 28, v21
	v_and_b32_e32 v20, 15, v20
	v_lshlrev_b32_e32 v14, v22, v14
	v_sub_u32_e32 v21, 29, v21
	v_and_b32_e32 v14, 7, v14
	v_cmp_eq_u16_e32 vcc, 0, v20
	v_cndmask_b32_e32 v10, v10, v14, vcc
	v_cndmask_b32_e32 v14, v20, v21, vcc
	v_lshlrev_b32_e32 v20, 16, v15
	v_mov_b32_e32 v21, 0x3b800000
	v_lshlrev_b32_e32 v10, 20, v10
	v_and_b32_e32 v20, 0x80000000, v20
	v_lshl_add_u32 v14, v14, 23, v21
	v_or3_b32 v10, v20, v14, v10
.LBB29_44:
	s_or_b64 exec, exec, s[6:7]
	v_lshrrev_b32_e32 v14, 8, v11
	s_movk_i32 s4, 0x7f
	v_cmp_gt_i16_sdwa s[6:7], v14, s4 src0_sel:BYTE_0 src1_sel:DWORD
	s_mov_b64 s[4:5], 0
                                        ; implicit-def: $sgpr10
	s_and_saveexec_b64 s[8:9], s[6:7]
	s_xor_b64 s[6:7], exec, s[8:9]
	s_cbranch_execnz .LBB29_2093
; %bb.45:
	s_or_saveexec_b64 s[6:7], s[6:7]
	v_mov_b32_e32 v20, s10
	s_xor_b64 exec, exec, s[6:7]
	s_cbranch_execnz .LBB29_2096
.LBB29_46:
	s_or_b64 exec, exec, s[6:7]
	s_and_saveexec_b64 s[6:7], s[4:5]
	s_cbranch_execz .LBB29_48
.LBB29_47:
	v_bfe_u32 v20, v11, 8, 3
	v_ffbh_u32_e32 v22, v20
	v_min_u32_e32 v22, 32, v22
	v_lshrrev_b16_e32 v21, 3, v14
	v_subrev_u32_e32 v23, 28, v22
	v_and_b32_e32 v21, 15, v21
	v_lshlrev_b32_e32 v14, v23, v14
	v_sub_u32_e32 v22, 29, v22
	v_and_b32_e32 v14, 7, v14
	v_cmp_eq_u16_e32 vcc, 0, v21
	v_cndmask_b32_e32 v14, v20, v14, vcc
	v_cndmask_b32_e32 v20, v21, v22, vcc
	v_lshlrev_b32_e32 v21, 16, v11
	v_mov_b32_e32 v22, 0x3b800000
	v_lshlrev_b32_e32 v14, 20, v14
	v_and_b32_e32 v21, 0x80000000, v21
	v_lshl_add_u32 v20, v20, 23, v22
	v_or3_b32 v20, v21, v20, v14
.LBB29_48:
	s_or_b64 exec, exec, s[6:7]
	s_nop 0
	v_mfma_f32_16x16x4f32 a[0:3], v10, v20, a[0:3]
	s_movk_i32 s4, 0xff
	v_and_b32_sdwa v14, v15, s4 dst_sel:DWORD dst_unused:UNUSED_PAD src0_sel:WORD_1 src1_sel:DWORD
	s_movk_i32 s4, 0x7f
	v_cmp_lt_i16_e32 vcc, s4, v14
	s_mov_b64 s[4:5], 0
                                        ; implicit-def: $sgpr10
	s_and_saveexec_b64 s[6:7], vcc
	s_xor_b64 s[6:7], exec, s[6:7]
	s_cbranch_execnz .LBB29_2097
; %bb.49:
	s_or_saveexec_b64 s[6:7], s[6:7]
	v_mov_b32_e32 v10, s10
	s_xor_b64 exec, exec, s[6:7]
	s_cbranch_execnz .LBB29_2100
.LBB29_50:
	s_or_b64 exec, exec, s[6:7]
	s_and_saveexec_b64 s[6:7], s[4:5]
	s_cbranch_execz .LBB29_52
.LBB29_51:
	v_bfe_u32 v10, v15, 16, 3
	v_ffbh_u32_e32 v21, v10
	v_min_u32_e32 v21, 32, v21
	v_lshrrev_b32_e32 v14, 19, v15
	v_subrev_u32_e32 v22, 28, v21
	v_and_b32_e32 v14, 15, v14
	v_lshlrev_b32_sdwa v22, v22, v15 dst_sel:DWORD dst_unused:UNUSED_PAD src0_sel:DWORD src1_sel:WORD_1
	v_bfe_u32 v20, v15, 19, 4
	v_sub_u32_e32 v21, 29, v21
	v_and_b32_e32 v22, 7, v22
	v_cmp_eq_u16_e32 vcc, 0, v14
	v_cndmask_b32_e32 v10, v10, v22, vcc
	v_cndmask_b32_e32 v14, v20, v21, vcc
	v_lshlrev_b32_e32 v20, 8, v15
	v_mov_b32_e32 v21, 0x3b800000
	v_lshlrev_b32_e32 v10, 20, v10
	v_and_b32_e32 v20, 0x80000000, v20
	v_lshl_add_u32 v14, v14, 23, v21
	v_or3_b32 v10, v20, v14, v10
.LBB29_52:
	s_or_b64 exec, exec, s[6:7]
	s_movk_i32 s4, 0xff
	v_and_b32_sdwa v14, v11, s4 dst_sel:DWORD dst_unused:UNUSED_PAD src0_sel:WORD_1 src1_sel:DWORD
	s_movk_i32 s4, 0x7f
	v_cmp_lt_i16_e32 vcc, s4, v14
	s_mov_b64 s[4:5], 0
                                        ; implicit-def: $sgpr10
	s_and_saveexec_b64 s[6:7], vcc
	s_xor_b64 s[6:7], exec, s[6:7]
	s_cbranch_execnz .LBB29_2101
; %bb.53:
	s_or_saveexec_b64 s[6:7], s[6:7]
	v_mov_b32_e32 v20, s10
	s_xor_b64 exec, exec, s[6:7]
	s_cbranch_execnz .LBB29_2104
.LBB29_54:
	s_or_b64 exec, exec, s[6:7]
	s_and_saveexec_b64 s[6:7], s[4:5]
	s_cbranch_execz .LBB29_56
.LBB29_55:
	v_bfe_u32 v14, v11, 16, 3
	v_ffbh_u32_e32 v22, v14
	v_min_u32_e32 v22, 32, v22
	v_lshrrev_b32_e32 v20, 19, v11
	v_subrev_u32_e32 v23, 28, v22
	v_and_b32_e32 v20, 15, v20
	v_lshlrev_b32_sdwa v23, v23, v11 dst_sel:DWORD dst_unused:UNUSED_PAD src0_sel:DWORD src1_sel:WORD_1
	v_bfe_u32 v21, v11, 19, 4
	v_sub_u32_e32 v22, 29, v22
	v_and_b32_e32 v23, 7, v23
	v_cmp_eq_u16_e32 vcc, 0, v20
	v_cndmask_b32_e32 v14, v14, v23, vcc
	v_cndmask_b32_e32 v20, v21, v22, vcc
	v_lshlrev_b32_e32 v21, 8, v11
	v_mov_b32_e32 v22, 0x3b800000
	v_lshlrev_b32_e32 v14, 20, v14
	v_and_b32_e32 v21, 0x80000000, v21
	v_lshl_add_u32 v20, v20, 23, v22
	v_or3_b32 v20, v21, v20, v14
.LBB29_56:
	s_or_b64 exec, exec, s[6:7]
	s_nop 0
	v_mfma_f32_16x16x4f32 a[0:3], v10, v20, a[0:3]
	s_movk_i32 s4, 0x7f
	v_cmp_gt_i16_sdwa s[6:7], v15, s4 src0_sel:BYTE_3 src1_sel:DWORD
	s_mov_b64 s[4:5], 0
                                        ; implicit-def: $sgpr10
	s_and_saveexec_b64 s[8:9], s[6:7]
	s_xor_b64 s[6:7], exec, s[8:9]
	s_cbranch_execnz .LBB29_2105
; %bb.57:
	s_or_saveexec_b64 s[6:7], s[6:7]
	v_mov_b32_e32 v10, s10
	s_xor_b64 exec, exec, s[6:7]
	s_cbranch_execnz .LBB29_2108
.LBB29_58:
	s_or_b64 exec, exec, s[6:7]
	s_and_saveexec_b64 s[6:7], s[4:5]
	s_cbranch_execz .LBB29_60
.LBB29_59:
	v_bfe_u32 v10, v15, 24, 3
	v_ffbh_u32_e32 v22, v10
	v_min_u32_e32 v22, 32, v22
	v_lshrrev_b32_e32 v20, 27, v15
	v_subrev_u32_e32 v23, 28, v22
	v_and_b32_e32 v14, 0x80000000, v15
	v_and_b32_e32 v20, 15, v20
	v_bfe_u32 v21, v15, 27, 4
	v_lshlrev_b32_sdwa v15, v23, v15 dst_sel:DWORD dst_unused:UNUSED_PAD src0_sel:DWORD src1_sel:BYTE_3
	v_sub_u32_e32 v22, 29, v22
	v_and_b32_e32 v15, 7, v15
	v_cmp_eq_u16_e32 vcc, 0, v20
	v_cndmask_b32_e32 v10, v10, v15, vcc
	v_cndmask_b32_e32 v15, v21, v22, vcc
	v_mov_b32_e32 v20, 0x3b800000
	v_lshlrev_b32_e32 v10, 20, v10
	v_lshl_add_u32 v15, v15, 23, v20
	v_or3_b32 v10, v14, v15, v10
.LBB29_60:
	s_or_b64 exec, exec, s[6:7]
	s_movk_i32 s4, 0x7f
	v_cmp_gt_i16_sdwa s[6:7], v11, s4 src0_sel:BYTE_3 src1_sel:DWORD
	s_mov_b64 s[4:5], 0
                                        ; implicit-def: $sgpr10
	s_and_saveexec_b64 s[8:9], s[6:7]
	s_xor_b64 s[6:7], exec, s[8:9]
	s_cbranch_execnz .LBB29_2109
; %bb.61:
	s_or_saveexec_b64 s[6:7], s[6:7]
	v_mov_b32_e32 v14, s10
	s_xor_b64 exec, exec, s[6:7]
	s_cbranch_execnz .LBB29_2112
.LBB29_62:
	s_or_b64 exec, exec, s[6:7]
	s_and_saveexec_b64 s[6:7], s[4:5]
	s_cbranch_execz .LBB29_64
.LBB29_63:
	v_bfe_u32 v14, v11, 24, 3
	v_ffbh_u32_e32 v22, v14
	v_min_u32_e32 v22, 32, v22
	v_lshrrev_b32_e32 v20, 27, v11
	v_subrev_u32_e32 v23, 28, v22
	v_and_b32_e32 v15, 0x80000000, v11
	v_and_b32_e32 v20, 15, v20
	v_bfe_u32 v21, v11, 27, 4
	v_lshlrev_b32_sdwa v11, v23, v11 dst_sel:DWORD dst_unused:UNUSED_PAD src0_sel:DWORD src1_sel:BYTE_3
	v_sub_u32_e32 v22, 29, v22
	v_and_b32_e32 v11, 7, v11
	v_cmp_eq_u16_e32 vcc, 0, v20
	v_cndmask_b32_e32 v11, v14, v11, vcc
	v_cndmask_b32_e32 v14, v21, v22, vcc
	v_mov_b32_e32 v20, 0x3b800000
	v_lshlrev_b32_e32 v11, 20, v11
	v_lshl_add_u32 v14, v14, 23, v20
	v_or3_b32 v14, v15, v14, v11
.LBB29_64:
	s_or_b64 exec, exec, s[6:7]
	s_nop 0
	v_mfma_f32_16x16x4f32 a[0:3], v10, v14, a[0:3]
	s_movk_i32 s4, 0x7f
	v_cmp_gt_i16_sdwa s[6:7], v16, s4 src0_sel:BYTE_0 src1_sel:DWORD
	s_mov_b64 s[4:5], 0
                                        ; implicit-def: $sgpr10
	s_and_saveexec_b64 s[8:9], s[6:7]
	s_xor_b64 s[6:7], exec, s[8:9]
	s_cbranch_execnz .LBB29_2113
; %bb.65:
	s_or_saveexec_b64 s[6:7], s[6:7]
	v_mov_b32_e32 v10, s10
	s_xor_b64 exec, exec, s[6:7]
	s_cbranch_execnz .LBB29_2116
.LBB29_66:
	s_or_b64 exec, exec, s[6:7]
	s_and_saveexec_b64 s[6:7], s[4:5]
	s_cbranch_execz .LBB29_68
.LBB29_67:
	v_and_b32_e32 v10, 7, v16
	v_ffbh_u32_e32 v14, v10
	v_min_u32_e32 v14, 32, v14
	v_lshrrev_b16_e32 v11, 3, v16
	v_subrev_u32_e32 v15, 28, v14
	v_and_b32_e32 v11, 15, v11
	v_lshlrev_b32_e32 v15, v15, v16
	v_sub_u32_e32 v14, 29, v14
	v_and_b32_e32 v15, 7, v15
	v_cmp_eq_u16_e32 vcc, 0, v11
	v_cndmask_b32_e32 v10, v10, v15, vcc
	v_cndmask_b32_e32 v11, v11, v14, vcc
	v_lshlrev_b32_e32 v14, 24, v16
	v_mov_b32_e32 v15, 0x3b800000
	v_lshlrev_b32_e32 v10, 20, v10
	v_and_b32_e32 v14, 0x80000000, v14
	v_lshl_add_u32 v11, v11, 23, v15
	v_or3_b32 v10, v14, v11, v10
.LBB29_68:
	s_or_b64 exec, exec, s[6:7]
	s_movk_i32 s4, 0x7f
	v_cmp_gt_i16_sdwa s[6:7], v12, s4 src0_sel:BYTE_0 src1_sel:DWORD
	s_mov_b64 s[4:5], 0
                                        ; implicit-def: $sgpr10
	s_and_saveexec_b64 s[8:9], s[6:7]
	s_xor_b64 s[6:7], exec, s[8:9]
	s_cbranch_execnz .LBB29_2117
; %bb.69:
	s_or_saveexec_b64 s[6:7], s[6:7]
	v_mov_b32_e32 v11, s10
	s_xor_b64 exec, exec, s[6:7]
	s_cbranch_execnz .LBB29_2120
.LBB29_70:
	s_or_b64 exec, exec, s[6:7]
	s_and_saveexec_b64 s[6:7], s[4:5]
	s_cbranch_execz .LBB29_72
.LBB29_71:
	v_and_b32_e32 v11, 7, v12
	v_ffbh_u32_e32 v15, v11
	v_min_u32_e32 v15, 32, v15
	v_lshrrev_b16_e32 v14, 3, v12
	v_subrev_u32_e32 v20, 28, v15
	v_and_b32_e32 v14, 15, v14
	v_lshlrev_b32_e32 v20, v20, v12
	v_sub_u32_e32 v15, 29, v15
	v_and_b32_e32 v20, 7, v20
	v_cmp_eq_u16_e32 vcc, 0, v14
	v_cndmask_b32_e32 v11, v11, v20, vcc
	v_cndmask_b32_e32 v14, v14, v15, vcc
	v_lshlrev_b32_e32 v15, 24, v12
	v_mov_b32_e32 v20, 0x3b800000
	v_lshlrev_b32_e32 v11, 20, v11
	v_and_b32_e32 v15, 0x80000000, v15
	v_lshl_add_u32 v14, v14, 23, v20
	v_or3_b32 v11, v15, v14, v11
.LBB29_72:
	s_or_b64 exec, exec, s[6:7]
	s_nop 0
	v_mfma_f32_16x16x4f32 a[0:3], v10, v11, a[0:3]
	v_lshrrev_b32_e32 v11, 8, v16
	s_movk_i32 s4, 0x7f
	v_cmp_gt_i16_sdwa s[6:7], v11, s4 src0_sel:BYTE_0 src1_sel:DWORD
	s_mov_b64 s[4:5], 0
                                        ; implicit-def: $sgpr10
	s_and_saveexec_b64 s[8:9], s[6:7]
	s_xor_b64 s[6:7], exec, s[8:9]
	s_cbranch_execnz .LBB29_2121
; %bb.73:
	s_or_saveexec_b64 s[6:7], s[6:7]
	v_mov_b32_e32 v10, s10
	s_xor_b64 exec, exec, s[6:7]
	s_cbranch_execnz .LBB29_2124
.LBB29_74:
	s_or_b64 exec, exec, s[6:7]
	s_and_saveexec_b64 s[6:7], s[4:5]
	s_cbranch_execz .LBB29_76
.LBB29_75:
	v_bfe_u32 v10, v16, 8, 3
	v_ffbh_u32_e32 v15, v10
	v_min_u32_e32 v15, 32, v15
	v_lshrrev_b16_e32 v14, 3, v11
	v_subrev_u32_e32 v20, 28, v15
	v_and_b32_e32 v14, 15, v14
	v_lshlrev_b32_e32 v11, v20, v11
	v_sub_u32_e32 v15, 29, v15
	v_and_b32_e32 v11, 7, v11
	v_cmp_eq_u16_e32 vcc, 0, v14
	v_cndmask_b32_e32 v10, v10, v11, vcc
	v_cndmask_b32_e32 v11, v14, v15, vcc
	v_lshlrev_b32_e32 v14, 16, v16
	v_mov_b32_e32 v15, 0x3b800000
	v_lshlrev_b32_e32 v10, 20, v10
	v_and_b32_e32 v14, 0x80000000, v14
	v_lshl_add_u32 v11, v11, 23, v15
	v_or3_b32 v10, v14, v11, v10
.LBB29_76:
	s_or_b64 exec, exec, s[6:7]
	v_lshrrev_b32_e32 v11, 8, v12
	s_movk_i32 s4, 0x7f
	v_cmp_gt_i16_sdwa s[6:7], v11, s4 src0_sel:BYTE_0 src1_sel:DWORD
	s_mov_b64 s[4:5], 0
                                        ; implicit-def: $sgpr10
	s_and_saveexec_b64 s[8:9], s[6:7]
	s_xor_b64 s[6:7], exec, s[8:9]
	s_cbranch_execnz .LBB29_2125
; %bb.77:
	s_or_saveexec_b64 s[6:7], s[6:7]
	v_mov_b32_e32 v14, s10
	s_xor_b64 exec, exec, s[6:7]
	s_cbranch_execnz .LBB29_2128
.LBB29_78:
	s_or_b64 exec, exec, s[6:7]
	s_and_saveexec_b64 s[6:7], s[4:5]
	s_cbranch_execz .LBB29_80
.LBB29_79:
	v_bfe_u32 v14, v12, 8, 3
	v_ffbh_u32_e32 v20, v14
	v_min_u32_e32 v20, 32, v20
	v_lshrrev_b16_e32 v15, 3, v11
	v_subrev_u32_e32 v21, 28, v20
	v_and_b32_e32 v15, 15, v15
	v_lshlrev_b32_e32 v11, v21, v11
	v_sub_u32_e32 v20, 29, v20
	v_and_b32_e32 v11, 7, v11
	v_cmp_eq_u16_e32 vcc, 0, v15
	v_cndmask_b32_e32 v11, v14, v11, vcc
	v_cndmask_b32_e32 v14, v15, v20, vcc
	v_lshlrev_b32_e32 v15, 16, v12
	v_mov_b32_e32 v20, 0x3b800000
	v_lshlrev_b32_e32 v11, 20, v11
	v_and_b32_e32 v15, 0x80000000, v15
	v_lshl_add_u32 v14, v14, 23, v20
	v_or3_b32 v14, v15, v14, v11
.LBB29_80:
	s_or_b64 exec, exec, s[6:7]
	s_nop 0
	v_mfma_f32_16x16x4f32 a[0:3], v10, v14, a[0:3]
	s_movk_i32 s4, 0xff
	v_and_b32_sdwa v11, v16, s4 dst_sel:DWORD dst_unused:UNUSED_PAD src0_sel:WORD_1 src1_sel:DWORD
	s_movk_i32 s4, 0x7f
	v_cmp_lt_i16_e32 vcc, s4, v11
	s_mov_b64 s[4:5], 0
                                        ; implicit-def: $sgpr10
	s_and_saveexec_b64 s[6:7], vcc
	s_xor_b64 s[6:7], exec, s[6:7]
	s_cbranch_execnz .LBB29_2129
; %bb.81:
	s_or_saveexec_b64 s[6:7], s[6:7]
	v_mov_b32_e32 v10, s10
	s_xor_b64 exec, exec, s[6:7]
	s_cbranch_execnz .LBB29_2132
.LBB29_82:
	s_or_b64 exec, exec, s[6:7]
	s_and_saveexec_b64 s[6:7], s[4:5]
	s_cbranch_execz .LBB29_84
.LBB29_83:
	v_bfe_u32 v10, v16, 16, 3
	v_ffbh_u32_e32 v15, v10
	v_min_u32_e32 v15, 32, v15
	v_lshrrev_b32_e32 v11, 19, v16
	v_subrev_u32_e32 v20, 28, v15
	v_and_b32_e32 v11, 15, v11
	v_lshlrev_b32_sdwa v20, v20, v16 dst_sel:DWORD dst_unused:UNUSED_PAD src0_sel:DWORD src1_sel:WORD_1
	v_bfe_u32 v14, v16, 19, 4
	v_sub_u32_e32 v15, 29, v15
	v_and_b32_e32 v20, 7, v20
	v_cmp_eq_u16_e32 vcc, 0, v11
	v_cndmask_b32_e32 v10, v10, v20, vcc
	v_cndmask_b32_e32 v11, v14, v15, vcc
	v_lshlrev_b32_e32 v14, 8, v16
	v_mov_b32_e32 v15, 0x3b800000
	v_lshlrev_b32_e32 v10, 20, v10
	v_and_b32_e32 v14, 0x80000000, v14
	v_lshl_add_u32 v11, v11, 23, v15
	v_or3_b32 v10, v14, v11, v10
.LBB29_84:
	s_or_b64 exec, exec, s[6:7]
	s_movk_i32 s4, 0xff
	v_and_b32_sdwa v11, v12, s4 dst_sel:DWORD dst_unused:UNUSED_PAD src0_sel:WORD_1 src1_sel:DWORD
	s_movk_i32 s4, 0x7f
	v_cmp_lt_i16_e32 vcc, s4, v11
	s_mov_b64 s[4:5], 0
                                        ; implicit-def: $sgpr10
	s_and_saveexec_b64 s[6:7], vcc
	s_xor_b64 s[6:7], exec, s[6:7]
	s_cbranch_execnz .LBB29_2133
; %bb.85:
	s_or_saveexec_b64 s[6:7], s[6:7]
	v_mov_b32_e32 v14, s10
	s_xor_b64 exec, exec, s[6:7]
	s_cbranch_execnz .LBB29_2136
.LBB29_86:
	s_or_b64 exec, exec, s[6:7]
	s_and_saveexec_b64 s[6:7], s[4:5]
	s_cbranch_execz .LBB29_88
.LBB29_87:
	v_bfe_u32 v11, v12, 16, 3
	v_ffbh_u32_e32 v20, v11
	v_min_u32_e32 v20, 32, v20
	v_lshrrev_b32_e32 v14, 19, v12
	v_subrev_u32_e32 v21, 28, v20
	v_and_b32_e32 v14, 15, v14
	v_lshlrev_b32_sdwa v21, v21, v12 dst_sel:DWORD dst_unused:UNUSED_PAD src0_sel:DWORD src1_sel:WORD_1
	v_bfe_u32 v15, v12, 19, 4
	v_sub_u32_e32 v20, 29, v20
	v_and_b32_e32 v21, 7, v21
	v_cmp_eq_u16_e32 vcc, 0, v14
	v_cndmask_b32_e32 v11, v11, v21, vcc
	v_cndmask_b32_e32 v14, v15, v20, vcc
	v_lshlrev_b32_e32 v15, 8, v12
	v_mov_b32_e32 v20, 0x3b800000
	v_lshlrev_b32_e32 v11, 20, v11
	v_and_b32_e32 v15, 0x80000000, v15
	v_lshl_add_u32 v14, v14, 23, v20
	v_or3_b32 v14, v15, v14, v11
.LBB29_88:
	s_or_b64 exec, exec, s[6:7]
	s_nop 0
	v_mfma_f32_16x16x4f32 a[0:3], v10, v14, a[0:3]
	s_movk_i32 s4, 0x7f
	v_cmp_gt_i16_sdwa s[6:7], v16, s4 src0_sel:BYTE_3 src1_sel:DWORD
	s_mov_b64 s[4:5], 0
                                        ; implicit-def: $sgpr10
	s_and_saveexec_b64 s[8:9], s[6:7]
	s_xor_b64 s[6:7], exec, s[8:9]
	s_cbranch_execnz .LBB29_2137
; %bb.89:
	s_or_saveexec_b64 s[6:7], s[6:7]
	v_mov_b32_e32 v10, s10
	s_xor_b64 exec, exec, s[6:7]
	s_cbranch_execnz .LBB29_2140
.LBB29_90:
	s_or_b64 exec, exec, s[6:7]
	s_and_saveexec_b64 s[6:7], s[4:5]
	s_cbranch_execz .LBB29_92
.LBB29_91:
	v_bfe_u32 v10, v16, 24, 3
	v_ffbh_u32_e32 v20, v10
	v_min_u32_e32 v20, 32, v20
	v_lshrrev_b32_e32 v14, 27, v16
	v_subrev_u32_e32 v21, 28, v20
	v_and_b32_e32 v11, 0x80000000, v16
	v_and_b32_e32 v14, 15, v14
	v_bfe_u32 v15, v16, 27, 4
	v_lshlrev_b32_sdwa v16, v21, v16 dst_sel:DWORD dst_unused:UNUSED_PAD src0_sel:DWORD src1_sel:BYTE_3
	v_sub_u32_e32 v20, 29, v20
	v_and_b32_e32 v16, 7, v16
	v_cmp_eq_u16_e32 vcc, 0, v14
	v_cndmask_b32_e32 v10, v10, v16, vcc
	v_cndmask_b32_e32 v14, v15, v20, vcc
	v_mov_b32_e32 v15, 0x3b800000
	v_lshlrev_b32_e32 v10, 20, v10
	v_lshl_add_u32 v14, v14, 23, v15
	v_or3_b32 v10, v11, v14, v10
.LBB29_92:
	s_or_b64 exec, exec, s[6:7]
	s_movk_i32 s4, 0x7f
	v_cmp_gt_i16_sdwa s[6:7], v12, s4 src0_sel:BYTE_3 src1_sel:DWORD
	s_mov_b64 s[4:5], 0
                                        ; implicit-def: $sgpr10
	s_and_saveexec_b64 s[8:9], s[6:7]
	s_xor_b64 s[6:7], exec, s[8:9]
	s_cbranch_execnz .LBB29_2141
; %bb.93:
	s_or_saveexec_b64 s[6:7], s[6:7]
	v_mov_b32_e32 v11, s10
	s_xor_b64 exec, exec, s[6:7]
	s_cbranch_execnz .LBB29_2144
.LBB29_94:
	s_or_b64 exec, exec, s[6:7]
	s_and_saveexec_b64 s[6:7], s[4:5]
	s_cbranch_execz .LBB29_96
.LBB29_95:
	v_bfe_u32 v11, v12, 24, 3
	v_ffbh_u32_e32 v20, v11
	v_min_u32_e32 v20, 32, v20
	v_lshrrev_b32_e32 v15, 27, v12
	v_subrev_u32_e32 v21, 28, v20
	v_and_b32_e32 v14, 0x80000000, v12
	v_and_b32_e32 v15, 15, v15
	v_bfe_u32 v16, v12, 27, 4
	v_lshlrev_b32_sdwa v12, v21, v12 dst_sel:DWORD dst_unused:UNUSED_PAD src0_sel:DWORD src1_sel:BYTE_3
	v_sub_u32_e32 v20, 29, v20
	v_and_b32_e32 v12, 7, v12
	v_cmp_eq_u16_e32 vcc, 0, v15
	v_cndmask_b32_e32 v11, v11, v12, vcc
	v_cndmask_b32_e32 v12, v16, v20, vcc
	v_mov_b32_e32 v15, 0x3b800000
	v_lshlrev_b32_e32 v11, 20, v11
	v_lshl_add_u32 v12, v12, 23, v15
	v_or3_b32 v11, v14, v12, v11
.LBB29_96:
	s_or_b64 exec, exec, s[6:7]
	s_nop 0
	v_mfma_f32_16x16x4f32 a[0:3], v10, v11, a[0:3]
	s_movk_i32 s4, 0x7f
	v_cmp_gt_i16_sdwa s[6:7], v17, s4 src0_sel:BYTE_0 src1_sel:DWORD
	s_mov_b64 s[4:5], 0
                                        ; implicit-def: $sgpr10
	s_and_saveexec_b64 s[8:9], s[6:7]
	s_xor_b64 s[6:7], exec, s[8:9]
	s_cbranch_execnz .LBB29_2145
; %bb.97:
	s_or_saveexec_b64 s[6:7], s[6:7]
	v_mov_b32_e32 v10, s10
	s_xor_b64 exec, exec, s[6:7]
	s_cbranch_execnz .LBB29_2148
.LBB29_98:
	s_or_b64 exec, exec, s[6:7]
	s_and_saveexec_b64 s[6:7], s[4:5]
	s_cbranch_execz .LBB29_100
.LBB29_99:
	v_and_b32_e32 v10, 7, v17
	v_ffbh_u32_e32 v12, v10
	v_min_u32_e32 v12, 32, v12
	v_lshrrev_b16_e32 v11, 3, v17
	v_subrev_u32_e32 v14, 28, v12
	v_and_b32_e32 v11, 15, v11
	v_lshlrev_b32_e32 v14, v14, v17
	v_sub_u32_e32 v12, 29, v12
	v_and_b32_e32 v14, 7, v14
	v_cmp_eq_u16_e32 vcc, 0, v11
	v_cndmask_b32_e32 v10, v10, v14, vcc
	v_cndmask_b32_e32 v11, v11, v12, vcc
	v_lshlrev_b32_e32 v12, 24, v17
	v_mov_b32_e32 v14, 0x3b800000
	v_lshlrev_b32_e32 v10, 20, v10
	v_and_b32_e32 v12, 0x80000000, v12
	v_lshl_add_u32 v11, v11, 23, v14
	v_or3_b32 v10, v12, v11, v10
.LBB29_100:
	s_or_b64 exec, exec, s[6:7]
	s_movk_i32 s4, 0x7f
	v_cmp_gt_i16_sdwa s[6:7], v13, s4 src0_sel:BYTE_0 src1_sel:DWORD
	s_mov_b64 s[4:5], 0
                                        ; implicit-def: $sgpr10
	s_and_saveexec_b64 s[8:9], s[6:7]
	s_xor_b64 s[6:7], exec, s[8:9]
	s_cbranch_execnz .LBB29_2149
; %bb.101:
	s_or_saveexec_b64 s[6:7], s[6:7]
	v_mov_b32_e32 v11, s10
	s_xor_b64 exec, exec, s[6:7]
	s_cbranch_execnz .LBB29_2152
.LBB29_102:
	s_or_b64 exec, exec, s[6:7]
	s_and_saveexec_b64 s[6:7], s[4:5]
	s_cbranch_execz .LBB29_104
.LBB29_103:
	v_and_b32_e32 v11, 7, v13
	v_ffbh_u32_e32 v14, v11
	v_min_u32_e32 v14, 32, v14
	v_lshrrev_b16_e32 v12, 3, v13
	v_subrev_u32_e32 v15, 28, v14
	v_and_b32_e32 v12, 15, v12
	v_lshlrev_b32_e32 v15, v15, v13
	v_sub_u32_e32 v14, 29, v14
	v_and_b32_e32 v15, 7, v15
	v_cmp_eq_u16_e32 vcc, 0, v12
	v_cndmask_b32_e32 v11, v11, v15, vcc
	v_cndmask_b32_e32 v12, v12, v14, vcc
	v_lshlrev_b32_e32 v14, 24, v13
	v_mov_b32_e32 v15, 0x3b800000
	v_lshlrev_b32_e32 v11, 20, v11
	v_and_b32_e32 v14, 0x80000000, v14
	v_lshl_add_u32 v12, v12, 23, v15
	v_or3_b32 v11, v14, v12, v11
.LBB29_104:
	s_or_b64 exec, exec, s[6:7]
	s_nop 0
	v_mfma_f32_16x16x4f32 a[0:3], v10, v11, a[0:3]
	v_lshrrev_b32_e32 v11, 8, v17
	s_movk_i32 s4, 0x7f
	v_cmp_gt_i16_sdwa s[6:7], v11, s4 src0_sel:BYTE_0 src1_sel:DWORD
	s_mov_b64 s[4:5], 0
                                        ; implicit-def: $sgpr10
	s_and_saveexec_b64 s[8:9], s[6:7]
	s_xor_b64 s[6:7], exec, s[8:9]
	s_cbranch_execnz .LBB29_2153
; %bb.105:
	s_or_saveexec_b64 s[6:7], s[6:7]
	v_mov_b32_e32 v10, s10
	s_xor_b64 exec, exec, s[6:7]
	s_cbranch_execnz .LBB29_2156
.LBB29_106:
	s_or_b64 exec, exec, s[6:7]
	s_and_saveexec_b64 s[6:7], s[4:5]
	s_cbranch_execz .LBB29_108
.LBB29_107:
	v_bfe_u32 v10, v17, 8, 3
	v_ffbh_u32_e32 v14, v10
	v_min_u32_e32 v14, 32, v14
	v_lshrrev_b16_e32 v12, 3, v11
	v_subrev_u32_e32 v15, 28, v14
	v_and_b32_e32 v12, 15, v12
	v_lshlrev_b32_e32 v11, v15, v11
	v_sub_u32_e32 v14, 29, v14
	v_and_b32_e32 v11, 7, v11
	v_cmp_eq_u16_e32 vcc, 0, v12
	v_cndmask_b32_e32 v10, v10, v11, vcc
	v_cndmask_b32_e32 v11, v12, v14, vcc
	v_lshlrev_b32_e32 v12, 16, v17
	v_mov_b32_e32 v14, 0x3b800000
	v_lshlrev_b32_e32 v10, 20, v10
	v_and_b32_e32 v12, 0x80000000, v12
	v_lshl_add_u32 v11, v11, 23, v14
	v_or3_b32 v10, v12, v11, v10
.LBB29_108:
	s_or_b64 exec, exec, s[6:7]
	v_lshrrev_b32_e32 v11, 8, v13
	s_movk_i32 s4, 0x7f
	v_cmp_gt_i16_sdwa s[6:7], v11, s4 src0_sel:BYTE_0 src1_sel:DWORD
	s_mov_b64 s[4:5], 0
                                        ; implicit-def: $sgpr10
	s_and_saveexec_b64 s[8:9], s[6:7]
	s_xor_b64 s[6:7], exec, s[8:9]
	s_cbranch_execnz .LBB29_2157
; %bb.109:
	s_or_saveexec_b64 s[6:7], s[6:7]
	v_mov_b32_e32 v12, s10
	s_xor_b64 exec, exec, s[6:7]
	s_cbranch_execnz .LBB29_2160
.LBB29_110:
	s_or_b64 exec, exec, s[6:7]
	s_and_saveexec_b64 s[6:7], s[4:5]
	s_cbranch_execz .LBB29_112
.LBB29_111:
	v_bfe_u32 v12, v13, 8, 3
	v_ffbh_u32_e32 v15, v12
	v_min_u32_e32 v15, 32, v15
	v_lshrrev_b16_e32 v14, 3, v11
	v_subrev_u32_e32 v16, 28, v15
	v_and_b32_e32 v14, 15, v14
	v_lshlrev_b32_e32 v11, v16, v11
	v_sub_u32_e32 v15, 29, v15
	v_and_b32_e32 v11, 7, v11
	v_cmp_eq_u16_e32 vcc, 0, v14
	v_cndmask_b32_e32 v11, v12, v11, vcc
	v_cndmask_b32_e32 v12, v14, v15, vcc
	v_lshlrev_b32_e32 v14, 16, v13
	v_mov_b32_e32 v15, 0x3b800000
	v_lshlrev_b32_e32 v11, 20, v11
	v_and_b32_e32 v14, 0x80000000, v14
	v_lshl_add_u32 v12, v12, 23, v15
	v_or3_b32 v12, v14, v12, v11
.LBB29_112:
	s_or_b64 exec, exec, s[6:7]
	s_nop 0
	v_mfma_f32_16x16x4f32 a[0:3], v10, v12, a[0:3]
	s_movk_i32 s4, 0xff
	v_and_b32_sdwa v11, v17, s4 dst_sel:DWORD dst_unused:UNUSED_PAD src0_sel:WORD_1 src1_sel:DWORD
	s_movk_i32 s4, 0x7f
	v_cmp_lt_i16_e32 vcc, s4, v11
	s_mov_b64 s[4:5], 0
                                        ; implicit-def: $sgpr10
	s_and_saveexec_b64 s[6:7], vcc
	s_xor_b64 s[6:7], exec, s[6:7]
	s_cbranch_execnz .LBB29_2161
; %bb.113:
	s_or_saveexec_b64 s[6:7], s[6:7]
	v_mov_b32_e32 v10, s10
	s_xor_b64 exec, exec, s[6:7]
	s_cbranch_execnz .LBB29_2164
.LBB29_114:
	s_or_b64 exec, exec, s[6:7]
	s_and_saveexec_b64 s[6:7], s[4:5]
	s_cbranch_execz .LBB29_116
.LBB29_115:
	v_bfe_u32 v10, v17, 16, 3
	v_ffbh_u32_e32 v14, v10
	v_min_u32_e32 v14, 32, v14
	v_lshrrev_b32_e32 v11, 19, v17
	v_subrev_u32_e32 v15, 28, v14
	v_and_b32_e32 v11, 15, v11
	v_lshlrev_b32_sdwa v15, v15, v17 dst_sel:DWORD dst_unused:UNUSED_PAD src0_sel:DWORD src1_sel:WORD_1
	v_bfe_u32 v12, v17, 19, 4
	v_sub_u32_e32 v14, 29, v14
	v_and_b32_e32 v15, 7, v15
	v_cmp_eq_u16_e32 vcc, 0, v11
	v_cndmask_b32_e32 v10, v10, v15, vcc
	v_cndmask_b32_e32 v11, v12, v14, vcc
	v_lshlrev_b32_e32 v12, 8, v17
	v_mov_b32_e32 v14, 0x3b800000
	v_lshlrev_b32_e32 v10, 20, v10
	v_and_b32_e32 v12, 0x80000000, v12
	v_lshl_add_u32 v11, v11, 23, v14
	v_or3_b32 v10, v12, v11, v10
.LBB29_116:
	s_or_b64 exec, exec, s[6:7]
	s_movk_i32 s4, 0xff
	v_and_b32_sdwa v11, v13, s4 dst_sel:DWORD dst_unused:UNUSED_PAD src0_sel:WORD_1 src1_sel:DWORD
	s_movk_i32 s4, 0x7f
	v_cmp_lt_i16_e32 vcc, s4, v11
	s_mov_b64 s[4:5], 0
                                        ; implicit-def: $sgpr10
	s_and_saveexec_b64 s[6:7], vcc
	s_xor_b64 s[6:7], exec, s[6:7]
	s_cbranch_execnz .LBB29_2165
; %bb.117:
	s_or_saveexec_b64 s[6:7], s[6:7]
	v_mov_b32_e32 v12, s10
	s_xor_b64 exec, exec, s[6:7]
	s_cbranch_execnz .LBB29_2168
.LBB29_118:
	s_or_b64 exec, exec, s[6:7]
	s_and_saveexec_b64 s[6:7], s[4:5]
	s_cbranch_execz .LBB29_120
.LBB29_119:
	v_bfe_u32 v11, v13, 16, 3
	v_ffbh_u32_e32 v15, v11
	v_min_u32_e32 v15, 32, v15
	v_lshrrev_b32_e32 v12, 19, v13
	v_subrev_u32_e32 v16, 28, v15
	v_and_b32_e32 v12, 15, v12
	v_lshlrev_b32_sdwa v16, v16, v13 dst_sel:DWORD dst_unused:UNUSED_PAD src0_sel:DWORD src1_sel:WORD_1
	v_bfe_u32 v14, v13, 19, 4
	v_sub_u32_e32 v15, 29, v15
	v_and_b32_e32 v16, 7, v16
	v_cmp_eq_u16_e32 vcc, 0, v12
	v_cndmask_b32_e32 v11, v11, v16, vcc
	v_cndmask_b32_e32 v12, v14, v15, vcc
	v_lshlrev_b32_e32 v14, 8, v13
	v_mov_b32_e32 v15, 0x3b800000
	v_lshlrev_b32_e32 v11, 20, v11
	v_and_b32_e32 v14, 0x80000000, v14
	v_lshl_add_u32 v12, v12, 23, v15
	v_or3_b32 v12, v14, v12, v11
.LBB29_120:
	s_or_b64 exec, exec, s[6:7]
	s_nop 0
	v_mfma_f32_16x16x4f32 a[0:3], v10, v12, a[0:3]
	s_movk_i32 s4, 0x7f
	v_cmp_gt_i16_sdwa s[6:7], v17, s4 src0_sel:BYTE_3 src1_sel:DWORD
	s_mov_b64 s[4:5], 0
                                        ; implicit-def: $sgpr10
	s_and_saveexec_b64 s[8:9], s[6:7]
	s_xor_b64 s[6:7], exec, s[8:9]
	s_cbranch_execnz .LBB29_2169
; %bb.121:
	s_or_saveexec_b64 s[6:7], s[6:7]
	v_mov_b32_e32 v10, s10
	s_xor_b64 exec, exec, s[6:7]
	s_cbranch_execnz .LBB29_2172
.LBB29_122:
	s_or_b64 exec, exec, s[6:7]
	s_and_saveexec_b64 s[6:7], s[4:5]
	s_cbranch_execz .LBB29_124
.LBB29_123:
	v_bfe_u32 v10, v17, 24, 3
	v_ffbh_u32_e32 v15, v10
	v_min_u32_e32 v15, 32, v15
	v_lshrrev_b32_e32 v12, 27, v17
	v_subrev_u32_e32 v16, 28, v15
	v_and_b32_e32 v12, 15, v12
	v_lshlrev_b32_sdwa v16, v16, v17 dst_sel:DWORD dst_unused:UNUSED_PAD src0_sel:DWORD src1_sel:BYTE_3
	v_bfe_u32 v14, v17, 27, 4
	v_sub_u32_e32 v15, 29, v15
	v_and_b32_e32 v16, 7, v16
	v_cmp_eq_u16_e32 vcc, 0, v12
	v_cndmask_b32_e32 v10, v10, v16, vcc
	v_cndmask_b32_e32 v12, v14, v15, vcc
	v_mov_b32_e32 v14, 0x3b800000
	v_and_b32_e32 v11, 0x80000000, v17
	v_lshlrev_b32_e32 v10, 20, v10
	v_lshl_add_u32 v12, v12, 23, v14
	v_or3_b32 v10, v11, v12, v10
.LBB29_124:
	s_or_b64 exec, exec, s[6:7]
	s_movk_i32 s4, 0x7f
	v_cmp_gt_i16_sdwa s[6:7], v13, s4 src0_sel:BYTE_3 src1_sel:DWORD
	s_mov_b64 s[4:5], 0
                                        ; implicit-def: $sgpr10
	s_and_saveexec_b64 s[8:9], s[6:7]
	s_xor_b64 s[6:7], exec, s[8:9]
	s_cbranch_execnz .LBB29_2173
; %bb.125:
	s_or_saveexec_b64 s[6:7], s[6:7]
	v_mov_b32_e32 v11, s10
	s_xor_b64 exec, exec, s[6:7]
	s_cbranch_execnz .LBB29_2176
.LBB29_126:
	s_or_b64 exec, exec, s[6:7]
	s_and_saveexec_b64 s[6:7], s[4:5]
	s_cbranch_execz .LBB29_128
.LBB29_127:
	v_bfe_u32 v11, v13, 24, 3
	v_ffbh_u32_e32 v16, v11
	v_min_u32_e32 v16, 32, v16
	v_lshrrev_b32_e32 v14, 27, v13
	v_subrev_u32_e32 v17, 28, v16
	v_and_b32_e32 v12, 0x80000000, v13
	v_and_b32_e32 v14, 15, v14
	v_bfe_u32 v15, v13, 27, 4
	v_lshlrev_b32_sdwa v13, v17, v13 dst_sel:DWORD dst_unused:UNUSED_PAD src0_sel:DWORD src1_sel:BYTE_3
	v_sub_u32_e32 v16, 29, v16
	v_and_b32_e32 v13, 7, v13
	v_cmp_eq_u16_e32 vcc, 0, v14
	v_cndmask_b32_e32 v11, v11, v13, vcc
	v_cndmask_b32_e32 v13, v15, v16, vcc
	v_mov_b32_e32 v14, 0x3b800000
	v_lshlrev_b32_e32 v11, 20, v11
	v_lshl_add_u32 v13, v13, 23, v14
	v_or3_b32 v11, v12, v13, v11
.LBB29_128:
	s_or_b64 exec, exec, s[6:7]
	s_nop 0
	v_mfma_f32_16x16x4f32 a[0:3], v10, v11, a[0:3]
	s_movk_i32 s4, 0x7f
	v_cmp_gt_i16_sdwa s[6:7], v6, s4 src0_sel:BYTE_0 src1_sel:DWORD
	s_mov_b64 s[4:5], 0
                                        ; implicit-def: $sgpr10
	s_and_saveexec_b64 s[8:9], s[6:7]
	s_xor_b64 s[6:7], exec, s[8:9]
	s_cbranch_execnz .LBB29_2177
; %bb.129:
	s_or_saveexec_b64 s[6:7], s[6:7]
	v_mov_b32_e32 v10, s10
	s_xor_b64 exec, exec, s[6:7]
	s_cbranch_execnz .LBB29_2180
.LBB29_130:
	s_or_b64 exec, exec, s[6:7]
	s_and_saveexec_b64 s[6:7], s[4:5]
	s_cbranch_execz .LBB29_132
.LBB29_131:
	v_and_b32_e32 v10, 7, v6
	v_ffbh_u32_e32 v12, v10
	v_min_u32_e32 v12, 32, v12
	v_lshrrev_b16_e32 v11, 3, v6
	v_subrev_u32_e32 v13, 28, v12
	v_and_b32_e32 v11, 15, v11
	v_lshlrev_b32_e32 v13, v13, v6
	v_sub_u32_e32 v12, 29, v12
	v_and_b32_e32 v13, 7, v13
	v_cmp_eq_u16_e32 vcc, 0, v11
	v_cndmask_b32_e32 v10, v10, v13, vcc
	v_cndmask_b32_e32 v11, v11, v12, vcc
	v_lshlrev_b32_e32 v12, 24, v6
	v_mov_b32_e32 v13, 0x3b800000
	v_lshlrev_b32_e32 v10, 20, v10
	v_and_b32_e32 v12, 0x80000000, v12
	v_lshl_add_u32 v11, v11, 23, v13
	v_or3_b32 v10, v12, v11, v10
.LBB29_132:
	s_or_b64 exec, exec, s[6:7]
	s_movk_i32 s4, 0x7f
	v_cmp_gt_i16_sdwa s[6:7], v2, s4 src0_sel:BYTE_0 src1_sel:DWORD
	s_mov_b64 s[4:5], 0
                                        ; implicit-def: $sgpr10
	s_and_saveexec_b64 s[8:9], s[6:7]
	s_xor_b64 s[6:7], exec, s[8:9]
	s_cbranch_execnz .LBB29_2181
; %bb.133:
	s_or_saveexec_b64 s[6:7], s[6:7]
	v_mov_b32_e32 v11, s10
	s_xor_b64 exec, exec, s[6:7]
	s_cbranch_execnz .LBB29_2184
.LBB29_134:
	s_or_b64 exec, exec, s[6:7]
	s_and_saveexec_b64 s[6:7], s[4:5]
	s_cbranch_execz .LBB29_136
.LBB29_135:
	v_and_b32_e32 v11, 7, v2
	v_ffbh_u32_e32 v13, v11
	v_min_u32_e32 v13, 32, v13
	v_lshrrev_b16_e32 v12, 3, v2
	v_subrev_u32_e32 v14, 28, v13
	v_and_b32_e32 v12, 15, v12
	v_lshlrev_b32_e32 v14, v14, v2
	v_sub_u32_e32 v13, 29, v13
	v_and_b32_e32 v14, 7, v14
	v_cmp_eq_u16_e32 vcc, 0, v12
	v_cndmask_b32_e32 v11, v11, v14, vcc
	v_cndmask_b32_e32 v12, v12, v13, vcc
	v_lshlrev_b32_e32 v13, 24, v2
	v_mov_b32_e32 v14, 0x3b800000
	v_lshlrev_b32_e32 v11, 20, v11
	v_and_b32_e32 v13, 0x80000000, v13
	v_lshl_add_u32 v12, v12, 23, v14
	v_or3_b32 v11, v13, v12, v11
.LBB29_136:
	s_or_b64 exec, exec, s[6:7]
	s_nop 0
	v_mfma_f32_16x16x4f32 a[0:3], v10, v11, a[0:3]
	v_lshrrev_b32_e32 v11, 8, v6
	s_movk_i32 s4, 0x7f
	v_cmp_gt_i16_sdwa s[6:7], v11, s4 src0_sel:BYTE_0 src1_sel:DWORD
	s_mov_b64 s[4:5], 0
                                        ; implicit-def: $sgpr10
	s_and_saveexec_b64 s[8:9], s[6:7]
	s_xor_b64 s[6:7], exec, s[8:9]
	s_cbranch_execnz .LBB29_2185
; %bb.137:
	s_or_saveexec_b64 s[6:7], s[6:7]
	v_mov_b32_e32 v10, s10
	s_xor_b64 exec, exec, s[6:7]
	s_cbranch_execnz .LBB29_2188
.LBB29_138:
	s_or_b64 exec, exec, s[6:7]
	s_and_saveexec_b64 s[6:7], s[4:5]
	s_cbranch_execz .LBB29_140
.LBB29_139:
	v_bfe_u32 v10, v6, 8, 3
	v_ffbh_u32_e32 v13, v10
	v_min_u32_e32 v13, 32, v13
	v_lshrrev_b16_e32 v12, 3, v11
	v_subrev_u32_e32 v14, 28, v13
	v_and_b32_e32 v12, 15, v12
	v_lshlrev_b32_e32 v11, v14, v11
	v_sub_u32_e32 v13, 29, v13
	v_and_b32_e32 v11, 7, v11
	v_cmp_eq_u16_e32 vcc, 0, v12
	v_cndmask_b32_e32 v10, v10, v11, vcc
	v_cndmask_b32_e32 v11, v12, v13, vcc
	v_lshlrev_b32_e32 v12, 16, v6
	v_mov_b32_e32 v13, 0x3b800000
	v_lshlrev_b32_e32 v10, 20, v10
	v_and_b32_e32 v12, 0x80000000, v12
	v_lshl_add_u32 v11, v11, 23, v13
	v_or3_b32 v10, v12, v11, v10
.LBB29_140:
	s_or_b64 exec, exec, s[6:7]
	v_lshrrev_b32_e32 v11, 8, v2
	s_movk_i32 s4, 0x7f
	v_cmp_gt_i16_sdwa s[6:7], v11, s4 src0_sel:BYTE_0 src1_sel:DWORD
	s_mov_b64 s[4:5], 0
                                        ; implicit-def: $sgpr10
	s_and_saveexec_b64 s[8:9], s[6:7]
	s_xor_b64 s[6:7], exec, s[8:9]
	s_cbranch_execnz .LBB29_2189
; %bb.141:
	s_or_saveexec_b64 s[6:7], s[6:7]
	v_mov_b32_e32 v12, s10
	s_xor_b64 exec, exec, s[6:7]
	s_cbranch_execnz .LBB29_2192
.LBB29_142:
	s_or_b64 exec, exec, s[6:7]
	s_and_saveexec_b64 s[6:7], s[4:5]
	s_cbranch_execz .LBB29_144
.LBB29_143:
	v_bfe_u32 v12, v2, 8, 3
	v_ffbh_u32_e32 v14, v12
	v_min_u32_e32 v14, 32, v14
	v_lshrrev_b16_e32 v13, 3, v11
	v_subrev_u32_e32 v15, 28, v14
	v_and_b32_e32 v13, 15, v13
	v_lshlrev_b32_e32 v11, v15, v11
	v_sub_u32_e32 v14, 29, v14
	v_and_b32_e32 v11, 7, v11
	v_cmp_eq_u16_e32 vcc, 0, v13
	v_cndmask_b32_e32 v11, v12, v11, vcc
	v_cndmask_b32_e32 v12, v13, v14, vcc
	v_lshlrev_b32_e32 v13, 16, v2
	v_mov_b32_e32 v14, 0x3b800000
	v_lshlrev_b32_e32 v11, 20, v11
	v_and_b32_e32 v13, 0x80000000, v13
	v_lshl_add_u32 v12, v12, 23, v14
	v_or3_b32 v12, v13, v12, v11
.LBB29_144:
	s_or_b64 exec, exec, s[6:7]
	s_nop 0
	v_mfma_f32_16x16x4f32 a[0:3], v10, v12, a[0:3]
	s_movk_i32 s4, 0xff
	v_and_b32_sdwa v11, v6, s4 dst_sel:DWORD dst_unused:UNUSED_PAD src0_sel:WORD_1 src1_sel:DWORD
	s_movk_i32 s4, 0x7f
	v_cmp_lt_i16_e32 vcc, s4, v11
	s_mov_b64 s[4:5], 0
                                        ; implicit-def: $sgpr10
	s_and_saveexec_b64 s[6:7], vcc
	s_xor_b64 s[6:7], exec, s[6:7]
	s_cbranch_execnz .LBB29_2193
; %bb.145:
	s_or_saveexec_b64 s[6:7], s[6:7]
	v_mov_b32_e32 v10, s10
	s_xor_b64 exec, exec, s[6:7]
	s_cbranch_execnz .LBB29_2196
.LBB29_146:
	s_or_b64 exec, exec, s[6:7]
	s_and_saveexec_b64 s[6:7], s[4:5]
	s_cbranch_execz .LBB29_148
.LBB29_147:
	v_bfe_u32 v10, v6, 16, 3
	v_ffbh_u32_e32 v13, v10
	v_min_u32_e32 v13, 32, v13
	v_lshrrev_b32_e32 v11, 19, v6
	v_subrev_u32_e32 v14, 28, v13
	v_and_b32_e32 v11, 15, v11
	v_lshlrev_b32_sdwa v14, v14, v6 dst_sel:DWORD dst_unused:UNUSED_PAD src0_sel:DWORD src1_sel:WORD_1
	v_bfe_u32 v12, v6, 19, 4
	v_sub_u32_e32 v13, 29, v13
	v_and_b32_e32 v14, 7, v14
	v_cmp_eq_u16_e32 vcc, 0, v11
	v_cndmask_b32_e32 v10, v10, v14, vcc
	v_cndmask_b32_e32 v11, v12, v13, vcc
	v_lshlrev_b32_e32 v12, 8, v6
	v_mov_b32_e32 v13, 0x3b800000
	v_lshlrev_b32_e32 v10, 20, v10
	v_and_b32_e32 v12, 0x80000000, v12
	v_lshl_add_u32 v11, v11, 23, v13
	v_or3_b32 v10, v12, v11, v10
.LBB29_148:
	s_or_b64 exec, exec, s[6:7]
	s_movk_i32 s4, 0xff
	v_and_b32_sdwa v11, v2, s4 dst_sel:DWORD dst_unused:UNUSED_PAD src0_sel:WORD_1 src1_sel:DWORD
	s_movk_i32 s4, 0x7f
	v_cmp_lt_i16_e32 vcc, s4, v11
	s_mov_b64 s[4:5], 0
                                        ; implicit-def: $sgpr10
	s_and_saveexec_b64 s[6:7], vcc
	s_xor_b64 s[6:7], exec, s[6:7]
	s_cbranch_execnz .LBB29_2197
; %bb.149:
	s_or_saveexec_b64 s[6:7], s[6:7]
	v_mov_b32_e32 v12, s10
	s_xor_b64 exec, exec, s[6:7]
	s_cbranch_execnz .LBB29_2200
.LBB29_150:
	s_or_b64 exec, exec, s[6:7]
	s_and_saveexec_b64 s[6:7], s[4:5]
	s_cbranch_execz .LBB29_152
.LBB29_151:
	v_bfe_u32 v11, v2, 16, 3
	v_ffbh_u32_e32 v14, v11
	v_min_u32_e32 v14, 32, v14
	v_lshrrev_b32_e32 v12, 19, v2
	v_subrev_u32_e32 v15, 28, v14
	v_and_b32_e32 v12, 15, v12
	v_lshlrev_b32_sdwa v15, v15, v2 dst_sel:DWORD dst_unused:UNUSED_PAD src0_sel:DWORD src1_sel:WORD_1
	v_bfe_u32 v13, v2, 19, 4
	v_sub_u32_e32 v14, 29, v14
	v_and_b32_e32 v15, 7, v15
	v_cmp_eq_u16_e32 vcc, 0, v12
	v_cndmask_b32_e32 v11, v11, v15, vcc
	v_cndmask_b32_e32 v12, v13, v14, vcc
	v_lshlrev_b32_e32 v13, 8, v2
	v_mov_b32_e32 v14, 0x3b800000
	v_lshlrev_b32_e32 v11, 20, v11
	v_and_b32_e32 v13, 0x80000000, v13
	v_lshl_add_u32 v12, v12, 23, v14
	v_or3_b32 v12, v13, v12, v11
.LBB29_152:
	s_or_b64 exec, exec, s[6:7]
	s_nop 0
	v_mfma_f32_16x16x4f32 a[0:3], v10, v12, a[0:3]
	s_movk_i32 s4, 0x7f
	v_cmp_gt_i16_sdwa s[6:7], v6, s4 src0_sel:BYTE_3 src1_sel:DWORD
	s_mov_b64 s[4:5], 0
                                        ; implicit-def: $sgpr10
	s_and_saveexec_b64 s[8:9], s[6:7]
	s_xor_b64 s[6:7], exec, s[8:9]
	s_cbranch_execnz .LBB29_2201
; %bb.153:
	s_or_saveexec_b64 s[6:7], s[6:7]
	v_mov_b32_e32 v10, s10
	s_xor_b64 exec, exec, s[6:7]
	s_cbranch_execnz .LBB29_2204
.LBB29_154:
	s_or_b64 exec, exec, s[6:7]
	s_and_saveexec_b64 s[6:7], s[4:5]
	s_cbranch_execz .LBB29_156
.LBB29_155:
	v_bfe_u32 v10, v6, 24, 3
	v_ffbh_u32_e32 v14, v10
	v_min_u32_e32 v14, 32, v14
	v_lshrrev_b32_e32 v12, 27, v6
	v_subrev_u32_e32 v15, 28, v14
	v_and_b32_e32 v11, 0x80000000, v6
	v_and_b32_e32 v12, 15, v12
	v_bfe_u32 v13, v6, 27, 4
	v_lshlrev_b32_sdwa v6, v15, v6 dst_sel:DWORD dst_unused:UNUSED_PAD src0_sel:DWORD src1_sel:BYTE_3
	v_sub_u32_e32 v14, 29, v14
	v_and_b32_e32 v6, 7, v6
	v_cmp_eq_u16_e32 vcc, 0, v12
	v_cndmask_b32_e32 v6, v10, v6, vcc
	v_cndmask_b32_e32 v10, v13, v14, vcc
	v_mov_b32_e32 v12, 0x3b800000
	v_lshlrev_b32_e32 v6, 20, v6
	v_lshl_add_u32 v10, v10, 23, v12
	v_or3_b32 v10, v11, v10, v6
.LBB29_156:
	s_or_b64 exec, exec, s[6:7]
	s_movk_i32 s4, 0x7f
	v_cmp_gt_i16_sdwa s[6:7], v2, s4 src0_sel:BYTE_3 src1_sel:DWORD
	s_mov_b64 s[4:5], 0
                                        ; implicit-def: $sgpr10
	s_and_saveexec_b64 s[8:9], s[6:7]
	s_xor_b64 s[6:7], exec, s[8:9]
	s_cbranch_execnz .LBB29_2205
; %bb.157:
	s_or_saveexec_b64 s[6:7], s[6:7]
	v_mov_b32_e32 v6, s10
	s_xor_b64 exec, exec, s[6:7]
	s_cbranch_execnz .LBB29_2208
.LBB29_158:
	s_or_b64 exec, exec, s[6:7]
	s_and_saveexec_b64 s[6:7], s[4:5]
	s_cbranch_execz .LBB29_160
.LBB29_159:
	v_bfe_u32 v6, v2, 24, 3
	v_ffbh_u32_e32 v14, v6
	v_min_u32_e32 v14, 32, v14
	v_lshrrev_b32_e32 v12, 27, v2
	v_subrev_u32_e32 v15, 28, v14
	v_and_b32_e32 v11, 0x80000000, v2
	v_and_b32_e32 v12, 15, v12
	v_bfe_u32 v13, v2, 27, 4
	v_lshlrev_b32_sdwa v2, v15, v2 dst_sel:DWORD dst_unused:UNUSED_PAD src0_sel:DWORD src1_sel:BYTE_3
	v_sub_u32_e32 v14, 29, v14
	v_and_b32_e32 v2, 7, v2
	v_cmp_eq_u16_e32 vcc, 0, v12
	v_cndmask_b32_e32 v2, v6, v2, vcc
	v_cndmask_b32_e32 v6, v13, v14, vcc
	v_mov_b32_e32 v12, 0x3b800000
	v_lshlrev_b32_e32 v2, 20, v2
	v_lshl_add_u32 v6, v6, 23, v12
	v_or3_b32 v6, v11, v6, v2
.LBB29_160:
	s_or_b64 exec, exec, s[6:7]
	s_nop 0
	v_mfma_f32_16x16x4f32 a[0:3], v10, v6, a[0:3]
	s_movk_i32 s4, 0x7f
	v_cmp_gt_i16_sdwa s[6:7], v7, s4 src0_sel:BYTE_0 src1_sel:DWORD
	s_mov_b64 s[4:5], 0
                                        ; implicit-def: $sgpr10
	s_and_saveexec_b64 s[8:9], s[6:7]
	s_xor_b64 s[6:7], exec, s[8:9]
	s_cbranch_execnz .LBB29_2209
; %bb.161:
	s_or_saveexec_b64 s[6:7], s[6:7]
	v_mov_b32_e32 v2, s10
	s_xor_b64 exec, exec, s[6:7]
	s_cbranch_execnz .LBB29_2212
.LBB29_162:
	s_or_b64 exec, exec, s[6:7]
	s_and_saveexec_b64 s[6:7], s[4:5]
	s_cbranch_execz .LBB29_164
.LBB29_163:
	v_and_b32_e32 v2, 7, v7
	v_ffbh_u32_e32 v10, v2
	v_min_u32_e32 v10, 32, v10
	v_lshrrev_b16_e32 v6, 3, v7
	v_subrev_u32_e32 v11, 28, v10
	v_and_b32_e32 v6, 15, v6
	v_lshlrev_b32_e32 v11, v11, v7
	v_sub_u32_e32 v10, 29, v10
	v_and_b32_e32 v11, 7, v11
	v_cmp_eq_u16_e32 vcc, 0, v6
	v_cndmask_b32_e32 v2, v2, v11, vcc
	v_cndmask_b32_e32 v6, v6, v10, vcc
	v_lshlrev_b32_e32 v10, 24, v7
	v_mov_b32_e32 v11, 0x3b800000
	v_lshlrev_b32_e32 v2, 20, v2
	v_and_b32_e32 v10, 0x80000000, v10
	v_lshl_add_u32 v6, v6, 23, v11
	v_or3_b32 v2, v10, v6, v2
.LBB29_164:
	s_or_b64 exec, exec, s[6:7]
	s_movk_i32 s4, 0x7f
	v_cmp_gt_i16_sdwa s[6:7], v3, s4 src0_sel:BYTE_0 src1_sel:DWORD
	s_mov_b64 s[4:5], 0
                                        ; implicit-def: $sgpr10
	s_and_saveexec_b64 s[8:9], s[6:7]
	s_xor_b64 s[6:7], exec, s[8:9]
	s_cbranch_execnz .LBB29_2213
; %bb.165:
	s_or_saveexec_b64 s[6:7], s[6:7]
	v_mov_b32_e32 v6, s10
	s_xor_b64 exec, exec, s[6:7]
	s_cbranch_execnz .LBB29_2216
.LBB29_166:
	s_or_b64 exec, exec, s[6:7]
	s_and_saveexec_b64 s[6:7], s[4:5]
	s_cbranch_execz .LBB29_168
.LBB29_167:
	v_and_b32_e32 v6, 7, v3
	v_ffbh_u32_e32 v11, v6
	v_min_u32_e32 v11, 32, v11
	v_lshrrev_b16_e32 v10, 3, v3
	v_subrev_u32_e32 v12, 28, v11
	v_and_b32_e32 v10, 15, v10
	v_lshlrev_b32_e32 v12, v12, v3
	v_sub_u32_e32 v11, 29, v11
	v_and_b32_e32 v12, 7, v12
	v_cmp_eq_u16_e32 vcc, 0, v10
	v_cndmask_b32_e32 v6, v6, v12, vcc
	v_cndmask_b32_e32 v10, v10, v11, vcc
	v_lshlrev_b32_e32 v11, 24, v3
	v_mov_b32_e32 v12, 0x3b800000
	v_lshlrev_b32_e32 v6, 20, v6
	v_and_b32_e32 v11, 0x80000000, v11
	v_lshl_add_u32 v10, v10, 23, v12
	v_or3_b32 v6, v11, v10, v6
.LBB29_168:
	s_or_b64 exec, exec, s[6:7]
	s_nop 0
	v_mfma_f32_16x16x4f32 a[0:3], v2, v6, a[0:3]
	v_lshrrev_b32_e32 v6, 8, v7
	s_movk_i32 s4, 0x7f
	v_cmp_gt_i16_sdwa s[6:7], v6, s4 src0_sel:BYTE_0 src1_sel:DWORD
	s_mov_b64 s[4:5], 0
                                        ; implicit-def: $sgpr10
	s_and_saveexec_b64 s[8:9], s[6:7]
	s_xor_b64 s[6:7], exec, s[8:9]
	s_cbranch_execnz .LBB29_2217
; %bb.169:
	s_or_saveexec_b64 s[6:7], s[6:7]
	v_mov_b32_e32 v2, s10
	s_xor_b64 exec, exec, s[6:7]
	s_cbranch_execnz .LBB29_2220
.LBB29_170:
	s_or_b64 exec, exec, s[6:7]
	s_and_saveexec_b64 s[6:7], s[4:5]
	s_cbranch_execz .LBB29_172
.LBB29_171:
	v_bfe_u32 v2, v7, 8, 3
	v_ffbh_u32_e32 v11, v2
	v_min_u32_e32 v11, 32, v11
	v_lshrrev_b16_e32 v10, 3, v6
	v_subrev_u32_e32 v12, 28, v11
	v_and_b32_e32 v10, 15, v10
	v_lshlrev_b32_e32 v6, v12, v6
	v_sub_u32_e32 v11, 29, v11
	v_and_b32_e32 v6, 7, v6
	v_cmp_eq_u16_e32 vcc, 0, v10
	v_cndmask_b32_e32 v2, v2, v6, vcc
	v_cndmask_b32_e32 v6, v10, v11, vcc
	v_lshlrev_b32_e32 v10, 16, v7
	v_mov_b32_e32 v11, 0x3b800000
	v_lshlrev_b32_e32 v2, 20, v2
	v_and_b32_e32 v10, 0x80000000, v10
	v_lshl_add_u32 v6, v6, 23, v11
	v_or3_b32 v2, v10, v6, v2
.LBB29_172:
	s_or_b64 exec, exec, s[6:7]
	v_lshrrev_b32_e32 v6, 8, v3
	s_movk_i32 s4, 0x7f
	v_cmp_gt_i16_sdwa s[6:7], v6, s4 src0_sel:BYTE_0 src1_sel:DWORD
	s_mov_b64 s[4:5], 0
                                        ; implicit-def: $sgpr10
	s_and_saveexec_b64 s[8:9], s[6:7]
	s_xor_b64 s[6:7], exec, s[8:9]
	s_cbranch_execnz .LBB29_2221
; %bb.173:
	s_or_saveexec_b64 s[6:7], s[6:7]
	v_mov_b32_e32 v10, s10
	s_xor_b64 exec, exec, s[6:7]
	s_cbranch_execnz .LBB29_2224
.LBB29_174:
	s_or_b64 exec, exec, s[6:7]
	s_and_saveexec_b64 s[6:7], s[4:5]
	s_cbranch_execz .LBB29_176
.LBB29_175:
	v_bfe_u32 v10, v3, 8, 3
	v_ffbh_u32_e32 v12, v10
	v_min_u32_e32 v12, 32, v12
	v_lshrrev_b16_e32 v11, 3, v6
	v_subrev_u32_e32 v13, 28, v12
	v_and_b32_e32 v11, 15, v11
	v_lshlrev_b32_e32 v6, v13, v6
	v_sub_u32_e32 v12, 29, v12
	v_and_b32_e32 v6, 7, v6
	v_cmp_eq_u16_e32 vcc, 0, v11
	v_cndmask_b32_e32 v6, v10, v6, vcc
	v_cndmask_b32_e32 v10, v11, v12, vcc
	v_lshlrev_b32_e32 v11, 16, v3
	v_mov_b32_e32 v12, 0x3b800000
	v_lshlrev_b32_e32 v6, 20, v6
	v_and_b32_e32 v11, 0x80000000, v11
	v_lshl_add_u32 v10, v10, 23, v12
	v_or3_b32 v10, v11, v10, v6
.LBB29_176:
	s_or_b64 exec, exec, s[6:7]
	s_nop 0
	v_mfma_f32_16x16x4f32 a[0:3], v2, v10, a[0:3]
	s_movk_i32 s4, 0xff
	v_and_b32_sdwa v6, v7, s4 dst_sel:DWORD dst_unused:UNUSED_PAD src0_sel:WORD_1 src1_sel:DWORD
	s_movk_i32 s4, 0x7f
	v_cmp_lt_i16_e32 vcc, s4, v6
	s_mov_b64 s[4:5], 0
                                        ; implicit-def: $sgpr10
	s_and_saveexec_b64 s[6:7], vcc
	s_xor_b64 s[6:7], exec, s[6:7]
	s_cbranch_execnz .LBB29_2225
; %bb.177:
	s_or_saveexec_b64 s[6:7], s[6:7]
	v_mov_b32_e32 v2, s10
	s_xor_b64 exec, exec, s[6:7]
	s_cbranch_execnz .LBB29_2228
.LBB29_178:
	s_or_b64 exec, exec, s[6:7]
	s_and_saveexec_b64 s[6:7], s[4:5]
	s_cbranch_execz .LBB29_180
.LBB29_179:
	v_bfe_u32 v2, v7, 16, 3
	v_ffbh_u32_e32 v11, v2
	v_min_u32_e32 v11, 32, v11
	v_lshrrev_b32_e32 v6, 19, v7
	v_subrev_u32_e32 v12, 28, v11
	v_and_b32_e32 v6, 15, v6
	v_lshlrev_b32_sdwa v12, v12, v7 dst_sel:DWORD dst_unused:UNUSED_PAD src0_sel:DWORD src1_sel:WORD_1
	v_bfe_u32 v10, v7, 19, 4
	v_sub_u32_e32 v11, 29, v11
	v_and_b32_e32 v12, 7, v12
	v_cmp_eq_u16_e32 vcc, 0, v6
	v_cndmask_b32_e32 v2, v2, v12, vcc
	v_cndmask_b32_e32 v6, v10, v11, vcc
	v_lshlrev_b32_e32 v10, 8, v7
	v_mov_b32_e32 v11, 0x3b800000
	v_lshlrev_b32_e32 v2, 20, v2
	v_and_b32_e32 v10, 0x80000000, v10
	v_lshl_add_u32 v6, v6, 23, v11
	v_or3_b32 v2, v10, v6, v2
.LBB29_180:
	s_or_b64 exec, exec, s[6:7]
	s_movk_i32 s4, 0xff
	v_and_b32_sdwa v6, v3, s4 dst_sel:DWORD dst_unused:UNUSED_PAD src0_sel:WORD_1 src1_sel:DWORD
	s_movk_i32 s4, 0x7f
	v_cmp_lt_i16_e32 vcc, s4, v6
	s_mov_b64 s[4:5], 0
                                        ; implicit-def: $sgpr10
	s_and_saveexec_b64 s[6:7], vcc
	s_xor_b64 s[6:7], exec, s[6:7]
	s_cbranch_execnz .LBB29_2229
; %bb.181:
	s_or_saveexec_b64 s[6:7], s[6:7]
	v_mov_b32_e32 v10, s10
	s_xor_b64 exec, exec, s[6:7]
	s_cbranch_execnz .LBB29_2232
.LBB29_182:
	s_or_b64 exec, exec, s[6:7]
	s_and_saveexec_b64 s[6:7], s[4:5]
	s_cbranch_execz .LBB29_184
.LBB29_183:
	v_bfe_u32 v6, v3, 16, 3
	v_ffbh_u32_e32 v12, v6
	v_min_u32_e32 v12, 32, v12
	v_lshrrev_b32_e32 v10, 19, v3
	v_subrev_u32_e32 v13, 28, v12
	v_and_b32_e32 v10, 15, v10
	v_lshlrev_b32_sdwa v13, v13, v3 dst_sel:DWORD dst_unused:UNUSED_PAD src0_sel:DWORD src1_sel:WORD_1
	v_bfe_u32 v11, v3, 19, 4
	v_sub_u32_e32 v12, 29, v12
	v_and_b32_e32 v13, 7, v13
	v_cmp_eq_u16_e32 vcc, 0, v10
	v_cndmask_b32_e32 v6, v6, v13, vcc
	v_cndmask_b32_e32 v10, v11, v12, vcc
	v_lshlrev_b32_e32 v11, 8, v3
	v_mov_b32_e32 v12, 0x3b800000
	v_lshlrev_b32_e32 v6, 20, v6
	v_and_b32_e32 v11, 0x80000000, v11
	v_lshl_add_u32 v10, v10, 23, v12
	v_or3_b32 v10, v11, v10, v6
.LBB29_184:
	s_or_b64 exec, exec, s[6:7]
	s_nop 0
	v_mfma_f32_16x16x4f32 a[0:3], v2, v10, a[0:3]
	s_movk_i32 s4, 0x7f
	v_cmp_gt_i16_sdwa s[6:7], v7, s4 src0_sel:BYTE_3 src1_sel:DWORD
	s_mov_b64 s[4:5], 0
                                        ; implicit-def: $sgpr10
	s_and_saveexec_b64 s[8:9], s[6:7]
	s_xor_b64 s[6:7], exec, s[8:9]
	s_cbranch_execnz .LBB29_2233
; %bb.185:
	s_or_saveexec_b64 s[6:7], s[6:7]
	v_mov_b32_e32 v2, s10
	s_xor_b64 exec, exec, s[6:7]
	s_cbranch_execnz .LBB29_2236
.LBB29_186:
	s_or_b64 exec, exec, s[6:7]
	s_and_saveexec_b64 s[6:7], s[4:5]
	s_cbranch_execz .LBB29_188
.LBB29_187:
	v_bfe_u32 v2, v7, 24, 3
	v_ffbh_u32_e32 v12, v2
	v_min_u32_e32 v12, 32, v12
	v_lshrrev_b32_e32 v10, 27, v7
	v_subrev_u32_e32 v13, 28, v12
	v_and_b32_e32 v6, 0x80000000, v7
	v_and_b32_e32 v10, 15, v10
	v_bfe_u32 v11, v7, 27, 4
	v_lshlrev_b32_sdwa v7, v13, v7 dst_sel:DWORD dst_unused:UNUSED_PAD src0_sel:DWORD src1_sel:BYTE_3
	v_sub_u32_e32 v12, 29, v12
	v_and_b32_e32 v7, 7, v7
	v_cmp_eq_u16_e32 vcc, 0, v10
	v_cndmask_b32_e32 v2, v2, v7, vcc
	v_cndmask_b32_e32 v7, v11, v12, vcc
	v_mov_b32_e32 v10, 0x3b800000
	v_lshlrev_b32_e32 v2, 20, v2
	v_lshl_add_u32 v7, v7, 23, v10
	v_or3_b32 v2, v6, v7, v2
.LBB29_188:
	s_or_b64 exec, exec, s[6:7]
	s_movk_i32 s4, 0x7f
	v_cmp_gt_i16_sdwa s[6:7], v3, s4 src0_sel:BYTE_3 src1_sel:DWORD
	s_mov_b64 s[4:5], 0
                                        ; implicit-def: $sgpr10
	s_and_saveexec_b64 s[8:9], s[6:7]
	s_xor_b64 s[6:7], exec, s[8:9]
	s_cbranch_execnz .LBB29_2237
; %bb.189:
	s_or_saveexec_b64 s[6:7], s[6:7]
	v_mov_b32_e32 v6, s10
	s_xor_b64 exec, exec, s[6:7]
	s_cbranch_execnz .LBB29_2240
.LBB29_190:
	s_or_b64 exec, exec, s[6:7]
	s_and_saveexec_b64 s[6:7], s[4:5]
	s_cbranch_execz .LBB29_192
.LBB29_191:
	v_bfe_u32 v6, v3, 24, 3
	v_ffbh_u32_e32 v12, v6
	v_min_u32_e32 v12, 32, v12
	v_lshrrev_b32_e32 v10, 27, v3
	v_subrev_u32_e32 v13, 28, v12
	v_and_b32_e32 v7, 0x80000000, v3
	v_and_b32_e32 v10, 15, v10
	v_bfe_u32 v11, v3, 27, 4
	v_lshlrev_b32_sdwa v3, v13, v3 dst_sel:DWORD dst_unused:UNUSED_PAD src0_sel:DWORD src1_sel:BYTE_3
	v_sub_u32_e32 v12, 29, v12
	v_and_b32_e32 v3, 7, v3
	v_cmp_eq_u16_e32 vcc, 0, v10
	v_cndmask_b32_e32 v3, v6, v3, vcc
	v_cndmask_b32_e32 v6, v11, v12, vcc
	v_mov_b32_e32 v10, 0x3b800000
	v_lshlrev_b32_e32 v3, 20, v3
	v_lshl_add_u32 v6, v6, 23, v10
	v_or3_b32 v6, v7, v6, v3
.LBB29_192:
	s_or_b64 exec, exec, s[6:7]
	s_nop 0
	v_mfma_f32_16x16x4f32 a[0:3], v2, v6, a[0:3]
	s_movk_i32 s4, 0x7f
	v_cmp_gt_i16_sdwa s[6:7], v8, s4 src0_sel:BYTE_0 src1_sel:DWORD
	s_mov_b64 s[4:5], 0
                                        ; implicit-def: $sgpr10
	s_and_saveexec_b64 s[8:9], s[6:7]
	s_xor_b64 s[6:7], exec, s[8:9]
	s_cbranch_execnz .LBB29_2241
; %bb.193:
	s_or_saveexec_b64 s[6:7], s[6:7]
	v_mov_b32_e32 v2, s10
	s_xor_b64 exec, exec, s[6:7]
	s_cbranch_execnz .LBB29_2244
.LBB29_194:
	s_or_b64 exec, exec, s[6:7]
	s_and_saveexec_b64 s[6:7], s[4:5]
	s_cbranch_execz .LBB29_196
.LBB29_195:
	v_and_b32_e32 v2, 7, v8
	v_ffbh_u32_e32 v6, v2
	v_min_u32_e32 v6, 32, v6
	v_lshrrev_b16_e32 v3, 3, v8
	v_subrev_u32_e32 v7, 28, v6
	v_and_b32_e32 v3, 15, v3
	v_lshlrev_b32_e32 v7, v7, v8
	v_sub_u32_e32 v6, 29, v6
	v_and_b32_e32 v7, 7, v7
	v_cmp_eq_u16_e32 vcc, 0, v3
	v_cndmask_b32_e32 v2, v2, v7, vcc
	v_cndmask_b32_e32 v3, v3, v6, vcc
	v_lshlrev_b32_e32 v6, 24, v8
	v_mov_b32_e32 v7, 0x3b800000
	v_lshlrev_b32_e32 v2, 20, v2
	v_and_b32_e32 v6, 0x80000000, v6
	v_lshl_add_u32 v3, v3, 23, v7
	v_or3_b32 v2, v6, v3, v2
.LBB29_196:
	s_or_b64 exec, exec, s[6:7]
	s_movk_i32 s4, 0x7f
	v_cmp_gt_i16_sdwa s[6:7], v4, s4 src0_sel:BYTE_0 src1_sel:DWORD
	s_mov_b64 s[4:5], 0
                                        ; implicit-def: $sgpr10
	s_and_saveexec_b64 s[8:9], s[6:7]
	s_xor_b64 s[6:7], exec, s[8:9]
	s_cbranch_execnz .LBB29_2245
; %bb.197:
	s_or_saveexec_b64 s[6:7], s[6:7]
	v_mov_b32_e32 v3, s10
	s_xor_b64 exec, exec, s[6:7]
	s_cbranch_execnz .LBB29_2248
.LBB29_198:
	s_or_b64 exec, exec, s[6:7]
	s_and_saveexec_b64 s[6:7], s[4:5]
	s_cbranch_execz .LBB29_200
.LBB29_199:
	v_and_b32_e32 v3, 7, v4
	v_ffbh_u32_e32 v7, v3
	v_min_u32_e32 v7, 32, v7
	v_lshrrev_b16_e32 v6, 3, v4
	v_subrev_u32_e32 v10, 28, v7
	v_and_b32_e32 v6, 15, v6
	v_lshlrev_b32_e32 v10, v10, v4
	v_sub_u32_e32 v7, 29, v7
	v_and_b32_e32 v10, 7, v10
	v_cmp_eq_u16_e32 vcc, 0, v6
	v_cndmask_b32_e32 v3, v3, v10, vcc
	v_cndmask_b32_e32 v6, v6, v7, vcc
	v_lshlrev_b32_e32 v7, 24, v4
	v_mov_b32_e32 v10, 0x3b800000
	v_lshlrev_b32_e32 v3, 20, v3
	v_and_b32_e32 v7, 0x80000000, v7
	v_lshl_add_u32 v6, v6, 23, v10
	v_or3_b32 v3, v7, v6, v3
.LBB29_200:
	s_or_b64 exec, exec, s[6:7]
	s_nop 0
	v_mfma_f32_16x16x4f32 a[0:3], v2, v3, a[0:3]
	v_lshrrev_b32_e32 v3, 8, v8
	s_movk_i32 s4, 0x7f
	v_cmp_gt_i16_sdwa s[6:7], v3, s4 src0_sel:BYTE_0 src1_sel:DWORD
	s_mov_b64 s[4:5], 0
                                        ; implicit-def: $sgpr10
	s_and_saveexec_b64 s[8:9], s[6:7]
	s_xor_b64 s[6:7], exec, s[8:9]
	s_cbranch_execnz .LBB29_2249
; %bb.201:
	s_or_saveexec_b64 s[6:7], s[6:7]
	v_mov_b32_e32 v2, s10
	s_xor_b64 exec, exec, s[6:7]
	s_cbranch_execnz .LBB29_2252
.LBB29_202:
	s_or_b64 exec, exec, s[6:7]
	s_and_saveexec_b64 s[6:7], s[4:5]
	s_cbranch_execz .LBB29_204
.LBB29_203:
	v_bfe_u32 v2, v8, 8, 3
	v_ffbh_u32_e32 v7, v2
	v_min_u32_e32 v7, 32, v7
	v_lshrrev_b16_e32 v6, 3, v3
	v_subrev_u32_e32 v10, 28, v7
	v_and_b32_e32 v6, 15, v6
	v_lshlrev_b32_e32 v3, v10, v3
	v_sub_u32_e32 v7, 29, v7
	v_and_b32_e32 v3, 7, v3
	v_cmp_eq_u16_e32 vcc, 0, v6
	v_cndmask_b32_e32 v2, v2, v3, vcc
	v_cndmask_b32_e32 v3, v6, v7, vcc
	v_lshlrev_b32_e32 v6, 16, v8
	v_mov_b32_e32 v7, 0x3b800000
	v_lshlrev_b32_e32 v2, 20, v2
	v_and_b32_e32 v6, 0x80000000, v6
	v_lshl_add_u32 v3, v3, 23, v7
	v_or3_b32 v2, v6, v3, v2
.LBB29_204:
	s_or_b64 exec, exec, s[6:7]
	v_lshrrev_b32_e32 v3, 8, v4
	s_movk_i32 s4, 0x7f
	v_cmp_gt_i16_sdwa s[6:7], v3, s4 src0_sel:BYTE_0 src1_sel:DWORD
	s_mov_b64 s[4:5], 0
                                        ; implicit-def: $sgpr10
	s_and_saveexec_b64 s[8:9], s[6:7]
	s_xor_b64 s[6:7], exec, s[8:9]
	s_cbranch_execnz .LBB29_2253
; %bb.205:
	s_or_saveexec_b64 s[6:7], s[6:7]
	v_mov_b32_e32 v6, s10
	s_xor_b64 exec, exec, s[6:7]
	s_cbranch_execnz .LBB29_2256
.LBB29_206:
	s_or_b64 exec, exec, s[6:7]
	s_and_saveexec_b64 s[6:7], s[4:5]
	s_cbranch_execz .LBB29_208
.LBB29_207:
	v_bfe_u32 v6, v4, 8, 3
	v_ffbh_u32_e32 v10, v6
	v_min_u32_e32 v10, 32, v10
	v_lshrrev_b16_e32 v7, 3, v3
	v_subrev_u32_e32 v11, 28, v10
	v_and_b32_e32 v7, 15, v7
	v_lshlrev_b32_e32 v3, v11, v3
	v_sub_u32_e32 v10, 29, v10
	v_and_b32_e32 v3, 7, v3
	v_cmp_eq_u16_e32 vcc, 0, v7
	v_cndmask_b32_e32 v3, v6, v3, vcc
	v_cndmask_b32_e32 v6, v7, v10, vcc
	v_lshlrev_b32_e32 v7, 16, v4
	v_mov_b32_e32 v10, 0x3b800000
	v_lshlrev_b32_e32 v3, 20, v3
	v_and_b32_e32 v7, 0x80000000, v7
	v_lshl_add_u32 v6, v6, 23, v10
	v_or3_b32 v6, v7, v6, v3
.LBB29_208:
	s_or_b64 exec, exec, s[6:7]
	s_nop 0
	v_mfma_f32_16x16x4f32 a[0:3], v2, v6, a[0:3]
	s_movk_i32 s4, 0xff
	v_and_b32_sdwa v3, v8, s4 dst_sel:DWORD dst_unused:UNUSED_PAD src0_sel:WORD_1 src1_sel:DWORD
	s_movk_i32 s4, 0x7f
	v_cmp_lt_i16_e32 vcc, s4, v3
	s_mov_b64 s[4:5], 0
                                        ; implicit-def: $sgpr10
	s_and_saveexec_b64 s[6:7], vcc
	s_xor_b64 s[6:7], exec, s[6:7]
	s_cbranch_execnz .LBB29_2257
; %bb.209:
	s_or_saveexec_b64 s[6:7], s[6:7]
	v_mov_b32_e32 v2, s10
	s_xor_b64 exec, exec, s[6:7]
	s_cbranch_execnz .LBB29_2260
.LBB29_210:
	s_or_b64 exec, exec, s[6:7]
	s_and_saveexec_b64 s[6:7], s[4:5]
	s_cbranch_execz .LBB29_212
.LBB29_211:
	v_bfe_u32 v2, v8, 16, 3
	v_ffbh_u32_e32 v7, v2
	v_min_u32_e32 v7, 32, v7
	v_lshrrev_b32_e32 v3, 19, v8
	v_subrev_u32_e32 v10, 28, v7
	v_and_b32_e32 v3, 15, v3
	v_lshlrev_b32_sdwa v10, v10, v8 dst_sel:DWORD dst_unused:UNUSED_PAD src0_sel:DWORD src1_sel:WORD_1
	v_bfe_u32 v6, v8, 19, 4
	v_sub_u32_e32 v7, 29, v7
	v_and_b32_e32 v10, 7, v10
	v_cmp_eq_u16_e32 vcc, 0, v3
	v_cndmask_b32_e32 v2, v2, v10, vcc
	v_cndmask_b32_e32 v3, v6, v7, vcc
	v_lshlrev_b32_e32 v6, 8, v8
	v_mov_b32_e32 v7, 0x3b800000
	v_lshlrev_b32_e32 v2, 20, v2
	v_and_b32_e32 v6, 0x80000000, v6
	v_lshl_add_u32 v3, v3, 23, v7
	v_or3_b32 v2, v6, v3, v2
.LBB29_212:
	s_or_b64 exec, exec, s[6:7]
	s_movk_i32 s4, 0xff
	v_and_b32_sdwa v3, v4, s4 dst_sel:DWORD dst_unused:UNUSED_PAD src0_sel:WORD_1 src1_sel:DWORD
	s_movk_i32 s4, 0x7f
	v_cmp_lt_i16_e32 vcc, s4, v3
	s_mov_b64 s[4:5], 0
                                        ; implicit-def: $sgpr10
	s_and_saveexec_b64 s[6:7], vcc
	s_xor_b64 s[6:7], exec, s[6:7]
	s_cbranch_execnz .LBB29_2261
; %bb.213:
	s_or_saveexec_b64 s[6:7], s[6:7]
	v_mov_b32_e32 v6, s10
	s_xor_b64 exec, exec, s[6:7]
	s_cbranch_execnz .LBB29_2264
.LBB29_214:
	s_or_b64 exec, exec, s[6:7]
	s_and_saveexec_b64 s[6:7], s[4:5]
	s_cbranch_execz .LBB29_216
.LBB29_215:
	v_bfe_u32 v3, v4, 16, 3
	v_ffbh_u32_e32 v10, v3
	v_min_u32_e32 v10, 32, v10
	v_lshrrev_b32_e32 v6, 19, v4
	v_subrev_u32_e32 v11, 28, v10
	v_and_b32_e32 v6, 15, v6
	v_lshlrev_b32_sdwa v11, v11, v4 dst_sel:DWORD dst_unused:UNUSED_PAD src0_sel:DWORD src1_sel:WORD_1
	v_bfe_u32 v7, v4, 19, 4
	v_sub_u32_e32 v10, 29, v10
	v_and_b32_e32 v11, 7, v11
	v_cmp_eq_u16_e32 vcc, 0, v6
	v_cndmask_b32_e32 v3, v3, v11, vcc
	v_cndmask_b32_e32 v6, v7, v10, vcc
	v_lshlrev_b32_e32 v7, 8, v4
	v_mov_b32_e32 v10, 0x3b800000
	v_lshlrev_b32_e32 v3, 20, v3
	v_and_b32_e32 v7, 0x80000000, v7
	v_lshl_add_u32 v6, v6, 23, v10
	v_or3_b32 v6, v7, v6, v3
.LBB29_216:
	s_or_b64 exec, exec, s[6:7]
	s_nop 0
	v_mfma_f32_16x16x4f32 a[0:3], v2, v6, a[0:3]
	s_movk_i32 s4, 0x7f
	v_cmp_gt_i16_sdwa s[6:7], v8, s4 src0_sel:BYTE_3 src1_sel:DWORD
	s_mov_b64 s[4:5], 0
                                        ; implicit-def: $sgpr10
	s_and_saveexec_b64 s[8:9], s[6:7]
	s_xor_b64 s[6:7], exec, s[8:9]
	s_cbranch_execnz .LBB29_2265
; %bb.217:
	s_or_saveexec_b64 s[6:7], s[6:7]
	v_mov_b32_e32 v2, s10
	s_xor_b64 exec, exec, s[6:7]
	s_cbranch_execnz .LBB29_2268
.LBB29_218:
	s_or_b64 exec, exec, s[6:7]
	s_and_saveexec_b64 s[6:7], s[4:5]
	s_cbranch_execz .LBB29_220
.LBB29_219:
	v_bfe_u32 v2, v8, 24, 3
	v_ffbh_u32_e32 v10, v2
	v_min_u32_e32 v10, 32, v10
	v_lshrrev_b32_e32 v6, 27, v8
	v_subrev_u32_e32 v11, 28, v10
	v_and_b32_e32 v3, 0x80000000, v8
	v_and_b32_e32 v6, 15, v6
	v_bfe_u32 v7, v8, 27, 4
	v_lshlrev_b32_sdwa v8, v11, v8 dst_sel:DWORD dst_unused:UNUSED_PAD src0_sel:DWORD src1_sel:BYTE_3
	v_sub_u32_e32 v10, 29, v10
	v_and_b32_e32 v8, 7, v8
	v_cmp_eq_u16_e32 vcc, 0, v6
	v_cndmask_b32_e32 v2, v2, v8, vcc
	v_cndmask_b32_e32 v6, v7, v10, vcc
	v_mov_b32_e32 v7, 0x3b800000
	v_lshlrev_b32_e32 v2, 20, v2
	v_lshl_add_u32 v6, v6, 23, v7
	v_or3_b32 v2, v3, v6, v2
.LBB29_220:
	s_or_b64 exec, exec, s[6:7]
	s_movk_i32 s4, 0x7f
	v_cmp_gt_i16_sdwa s[6:7], v4, s4 src0_sel:BYTE_3 src1_sel:DWORD
	s_mov_b64 s[4:5], 0
                                        ; implicit-def: $sgpr10
	s_and_saveexec_b64 s[8:9], s[6:7]
	s_xor_b64 s[6:7], exec, s[8:9]
	s_cbranch_execnz .LBB29_2269
; %bb.221:
	s_or_saveexec_b64 s[6:7], s[6:7]
	v_mov_b32_e32 v3, s10
	s_xor_b64 exec, exec, s[6:7]
	s_cbranch_execnz .LBB29_2272
.LBB29_222:
	s_or_b64 exec, exec, s[6:7]
	s_and_saveexec_b64 s[6:7], s[4:5]
	s_cbranch_execz .LBB29_224
.LBB29_223:
	v_bfe_u32 v3, v4, 24, 3
	v_ffbh_u32_e32 v10, v3
	v_min_u32_e32 v10, 32, v10
	v_lshrrev_b32_e32 v7, 27, v4
	v_subrev_u32_e32 v11, 28, v10
	v_and_b32_e32 v6, 0x80000000, v4
	v_and_b32_e32 v7, 15, v7
	v_bfe_u32 v8, v4, 27, 4
	v_lshlrev_b32_sdwa v4, v11, v4 dst_sel:DWORD dst_unused:UNUSED_PAD src0_sel:DWORD src1_sel:BYTE_3
	v_sub_u32_e32 v10, 29, v10
	v_and_b32_e32 v4, 7, v4
	v_cmp_eq_u16_e32 vcc, 0, v7
	v_cndmask_b32_e32 v3, v3, v4, vcc
	v_cndmask_b32_e32 v4, v8, v10, vcc
	v_mov_b32_e32 v7, 0x3b800000
	v_lshlrev_b32_e32 v3, 20, v3
	v_lshl_add_u32 v4, v4, 23, v7
	v_or3_b32 v3, v6, v4, v3
.LBB29_224:
	s_or_b64 exec, exec, s[6:7]
	s_nop 0
	v_mfma_f32_16x16x4f32 a[0:3], v2, v3, a[0:3]
	s_movk_i32 s4, 0x7f
	v_cmp_gt_i16_sdwa s[6:7], v9, s4 src0_sel:BYTE_0 src1_sel:DWORD
	s_mov_b64 s[4:5], 0
                                        ; implicit-def: $sgpr10
	s_and_saveexec_b64 s[8:9], s[6:7]
	s_xor_b64 s[6:7], exec, s[8:9]
	s_cbranch_execnz .LBB29_2273
; %bb.225:
	s_or_saveexec_b64 s[6:7], s[6:7]
	v_mov_b32_e32 v2, s10
	s_xor_b64 exec, exec, s[6:7]
	s_cbranch_execnz .LBB29_2276
.LBB29_226:
	s_or_b64 exec, exec, s[6:7]
	s_and_saveexec_b64 s[6:7], s[4:5]
	s_cbranch_execz .LBB29_228
.LBB29_227:
	v_mov_b32_e32 v2, 8
	v_and_b32_e32 v3, 7, v9
	v_lshrrev_b32_sdwa v2, v2, v9 dst_sel:BYTE_1 dst_unused:UNUSED_PAD src0_sel:DWORD src1_sel:DWORD
	v_ffbh_u32_e32 v4, v3
	v_or_b32_sdwa v2, v9, v2 dst_sel:DWORD dst_unused:UNUSED_PAD src0_sel:BYTE_0 src1_sel:DWORD
	v_min_u32_e32 v4, 32, v4
	v_lshrrev_b16_e32 v2, 3, v2
	v_subrev_u32_e32 v6, 28, v4
	v_and_b32_e32 v2, 15, v2
	v_lshlrev_b32_e32 v6, v6, v9
	v_sub_u32_e32 v4, 29, v4
	v_and_b32_e32 v6, 7, v6
	v_cmp_eq_u16_e32 vcc, 0, v2
	v_cndmask_b32_e32 v3, v3, v6, vcc
	v_cndmask_b32_e32 v2, v2, v4, vcc
	v_lshlrev_b32_e32 v4, 24, v9
	v_mov_b32_e32 v6, 0x3b800000
	v_lshlrev_b32_e32 v3, 20, v3
	v_and_b32_e32 v4, 0x80000000, v4
	v_lshl_add_u32 v2, v2, 23, v6
	v_or3_b32 v2, v4, v2, v3
.LBB29_228:
	s_or_b64 exec, exec, s[6:7]
	s_movk_i32 s4, 0x7f
	v_cmp_gt_i16_sdwa s[6:7], v5, s4 src0_sel:BYTE_0 src1_sel:DWORD
	s_mov_b64 s[4:5], 0
                                        ; implicit-def: $sgpr10
	s_and_saveexec_b64 s[8:9], s[6:7]
	s_xor_b64 s[6:7], exec, s[8:9]
	s_cbranch_execnz .LBB29_2277
; %bb.229:
	s_or_saveexec_b64 s[6:7], s[6:7]
	v_mov_b32_e32 v3, s10
	s_xor_b64 exec, exec, s[6:7]
	s_cbranch_execnz .LBB29_2280
.LBB29_230:
	s_or_b64 exec, exec, s[6:7]
	s_and_saveexec_b64 s[6:7], s[4:5]
	s_cbranch_execz .LBB29_232
.LBB29_231:
	v_mov_b32_e32 v3, 8
	v_and_b32_e32 v4, 7, v5
	v_lshrrev_b32_sdwa v3, v3, v5 dst_sel:BYTE_1 dst_unused:UNUSED_PAD src0_sel:DWORD src1_sel:DWORD
	v_ffbh_u32_e32 v6, v4
	v_or_b32_sdwa v3, v5, v3 dst_sel:DWORD dst_unused:UNUSED_PAD src0_sel:BYTE_0 src1_sel:DWORD
	v_min_u32_e32 v6, 32, v6
	v_lshrrev_b16_e32 v3, 3, v3
	v_subrev_u32_e32 v7, 28, v6
	v_and_b32_e32 v3, 15, v3
	v_lshlrev_b32_e32 v7, v7, v5
	v_sub_u32_e32 v6, 29, v6
	v_and_b32_e32 v7, 7, v7
	v_cmp_eq_u16_e32 vcc, 0, v3
	v_cndmask_b32_e32 v4, v4, v7, vcc
	v_cndmask_b32_e32 v3, v3, v6, vcc
	v_lshlrev_b32_e32 v6, 24, v5
	v_mov_b32_e32 v7, 0x3b800000
	v_lshlrev_b32_e32 v4, 20, v4
	v_and_b32_e32 v6, 0x80000000, v6
	v_lshl_add_u32 v3, v3, 23, v7
	v_or3_b32 v3, v6, v3, v4
.LBB29_232:
	s_or_b64 exec, exec, s[6:7]
	s_nop 0
	v_mfma_f32_16x16x4f32 a[0:3], v2, v3, a[0:3]
	v_lshrrev_b32_e32 v3, 8, v9
	s_movk_i32 s4, 0x7f
	v_cmp_gt_i16_sdwa s[6:7], v3, s4 src0_sel:BYTE_0 src1_sel:DWORD
	s_mov_b64 s[4:5], 0
                                        ; implicit-def: $sgpr10
	s_and_saveexec_b64 s[8:9], s[6:7]
	s_xor_b64 s[6:7], exec, s[8:9]
	s_cbranch_execnz .LBB29_2281
; %bb.233:
	s_or_saveexec_b64 s[6:7], s[6:7]
	v_mov_b32_e32 v2, s10
	s_xor_b64 exec, exec, s[6:7]
	s_cbranch_execnz .LBB29_2284
.LBB29_234:
	s_or_b64 exec, exec, s[6:7]
	s_and_saveexec_b64 s[6:7], s[4:5]
	s_cbranch_execz .LBB29_236
.LBB29_235:
	v_bfe_u32 v2, v9, 8, 3
	v_ffbh_u32_e32 v6, v2
	v_min_u32_e32 v6, 32, v6
	v_lshrrev_b16_e32 v4, 3, v3
	v_subrev_u32_e32 v7, 28, v6
	v_and_b32_e32 v4, 15, v4
	v_lshlrev_b32_e32 v3, v7, v3
	v_sub_u32_e32 v6, 29, v6
	v_and_b32_e32 v3, 7, v3
	v_cmp_eq_u16_e32 vcc, 0, v4
	v_cndmask_b32_e32 v2, v2, v3, vcc
	v_cndmask_b32_e32 v3, v4, v6, vcc
	v_lshlrev_b32_e32 v4, 16, v9
	v_mov_b32_e32 v6, 0x3b800000
	v_lshlrev_b32_e32 v2, 20, v2
	v_and_b32_e32 v4, 0x80000000, v4
	v_lshl_add_u32 v3, v3, 23, v6
	v_or3_b32 v2, v4, v3, v2
.LBB29_236:
	s_or_b64 exec, exec, s[6:7]
	v_lshrrev_b32_e32 v3, 8, v5
	s_movk_i32 s4, 0x7f
	v_cmp_gt_i16_sdwa s[6:7], v3, s4 src0_sel:BYTE_0 src1_sel:DWORD
	s_mov_b64 s[4:5], 0
                                        ; implicit-def: $sgpr10
	s_and_saveexec_b64 s[8:9], s[6:7]
	s_xor_b64 s[6:7], exec, s[8:9]
	s_cbranch_execnz .LBB29_2285
; %bb.237:
	s_or_saveexec_b64 s[6:7], s[6:7]
	v_mov_b32_e32 v4, s10
	s_xor_b64 exec, exec, s[6:7]
	s_cbranch_execnz .LBB29_2288
.LBB29_238:
	s_or_b64 exec, exec, s[6:7]
	s_and_saveexec_b64 s[6:7], s[4:5]
	s_cbranch_execz .LBB29_240
.LBB29_239:
	v_bfe_u32 v4, v5, 8, 3
	v_ffbh_u32_e32 v7, v4
	v_min_u32_e32 v7, 32, v7
	v_lshrrev_b16_e32 v6, 3, v3
	v_subrev_u32_e32 v8, 28, v7
	v_and_b32_e32 v6, 15, v6
	v_lshlrev_b32_e32 v3, v8, v3
	v_sub_u32_e32 v7, 29, v7
	v_and_b32_e32 v3, 7, v3
	v_cmp_eq_u16_e32 vcc, 0, v6
	v_cndmask_b32_e32 v3, v4, v3, vcc
	v_cndmask_b32_e32 v4, v6, v7, vcc
	v_lshlrev_b32_e32 v6, 16, v5
	v_mov_b32_e32 v7, 0x3b800000
	v_lshlrev_b32_e32 v3, 20, v3
	v_and_b32_e32 v6, 0x80000000, v6
	v_lshl_add_u32 v4, v4, 23, v7
	v_or3_b32 v4, v6, v4, v3
.LBB29_240:
	s_or_b64 exec, exec, s[6:7]
	s_nop 0
	v_mfma_f32_16x16x4f32 a[0:3], v2, v4, a[0:3]
	s_movk_i32 s4, 0xff
	v_and_b32_sdwa v3, v9, s4 dst_sel:DWORD dst_unused:UNUSED_PAD src0_sel:WORD_1 src1_sel:DWORD
	s_movk_i32 s4, 0x7f
	v_cmp_lt_i16_e32 vcc, s4, v3
	s_mov_b64 s[4:5], 0
                                        ; implicit-def: $sgpr10
	s_and_saveexec_b64 s[6:7], vcc
	s_xor_b64 s[6:7], exec, s[6:7]
	s_cbranch_execnz .LBB29_2289
; %bb.241:
	s_or_saveexec_b64 s[6:7], s[6:7]
	v_mov_b32_e32 v2, s10
	s_xor_b64 exec, exec, s[6:7]
	s_cbranch_execnz .LBB29_2292
.LBB29_242:
	s_or_b64 exec, exec, s[6:7]
	s_and_saveexec_b64 s[6:7], s[4:5]
	s_cbranch_execz .LBB29_244
.LBB29_243:
	v_bfe_u32 v2, v9, 16, 3
	v_ffbh_u32_e32 v6, v2
	v_min_u32_e32 v6, 32, v6
	v_lshrrev_b32_e32 v3, 19, v9
	v_subrev_u32_e32 v7, 28, v6
	v_and_b32_e32 v3, 15, v3
	v_lshlrev_b32_sdwa v7, v7, v9 dst_sel:DWORD dst_unused:UNUSED_PAD src0_sel:DWORD src1_sel:WORD_1
	v_bfe_u32 v4, v9, 19, 4
	v_sub_u32_e32 v6, 29, v6
	v_and_b32_e32 v7, 7, v7
	v_cmp_eq_u16_e32 vcc, 0, v3
	v_cndmask_b32_e32 v2, v2, v7, vcc
	v_cndmask_b32_e32 v3, v4, v6, vcc
	v_lshlrev_b32_e32 v4, 8, v9
	v_mov_b32_e32 v6, 0x3b800000
	v_lshlrev_b32_e32 v2, 20, v2
	v_and_b32_e32 v4, 0x80000000, v4
	v_lshl_add_u32 v3, v3, 23, v6
	v_or3_b32 v2, v4, v3, v2
.LBB29_244:
	s_or_b64 exec, exec, s[6:7]
	s_movk_i32 s4, 0xff
	v_and_b32_sdwa v3, v5, s4 dst_sel:DWORD dst_unused:UNUSED_PAD src0_sel:WORD_1 src1_sel:DWORD
	s_movk_i32 s4, 0x7f
	v_cmp_lt_i16_e32 vcc, s4, v3
	s_mov_b64 s[4:5], 0
                                        ; implicit-def: $sgpr10
	s_and_saveexec_b64 s[6:7], vcc
	s_xor_b64 s[6:7], exec, s[6:7]
	s_cbranch_execnz .LBB29_2293
; %bb.245:
	s_or_saveexec_b64 s[6:7], s[6:7]
	v_mov_b32_e32 v4, s10
	s_xor_b64 exec, exec, s[6:7]
	s_cbranch_execnz .LBB29_2296
.LBB29_246:
	s_or_b64 exec, exec, s[6:7]
	s_and_saveexec_b64 s[6:7], s[4:5]
	s_cbranch_execz .LBB29_248
.LBB29_247:
	v_bfe_u32 v3, v5, 16, 3
	v_ffbh_u32_e32 v7, v3
	v_min_u32_e32 v7, 32, v7
	v_lshrrev_b32_e32 v4, 19, v5
	v_subrev_u32_e32 v8, 28, v7
	v_and_b32_e32 v4, 15, v4
	v_lshlrev_b32_sdwa v8, v8, v5 dst_sel:DWORD dst_unused:UNUSED_PAD src0_sel:DWORD src1_sel:WORD_1
	v_bfe_u32 v6, v5, 19, 4
	v_sub_u32_e32 v7, 29, v7
	v_and_b32_e32 v8, 7, v8
	v_cmp_eq_u16_e32 vcc, 0, v4
	v_cndmask_b32_e32 v3, v3, v8, vcc
	v_cndmask_b32_e32 v4, v6, v7, vcc
	v_lshlrev_b32_e32 v6, 8, v5
	v_mov_b32_e32 v7, 0x3b800000
	v_lshlrev_b32_e32 v3, 20, v3
	v_and_b32_e32 v6, 0x80000000, v6
	v_lshl_add_u32 v4, v4, 23, v7
	v_or3_b32 v4, v6, v4, v3
.LBB29_248:
	s_or_b64 exec, exec, s[6:7]
	s_nop 0
	v_mfma_f32_16x16x4f32 a[0:3], v2, v4, a[0:3]
	s_movk_i32 s4, 0x7f
	v_cmp_gt_i16_sdwa s[6:7], v9, s4 src0_sel:BYTE_3 src1_sel:DWORD
	s_mov_b64 s[4:5], 0
                                        ; implicit-def: $sgpr10
	s_and_saveexec_b64 s[8:9], s[6:7]
	s_xor_b64 s[6:7], exec, s[8:9]
	s_cbranch_execnz .LBB29_2297
; %bb.249:
	s_or_saveexec_b64 s[6:7], s[6:7]
	v_mov_b32_e32 v2, s10
	s_xor_b64 exec, exec, s[6:7]
	s_cbranch_execnz .LBB29_2300
.LBB29_250:
	s_or_b64 exec, exec, s[6:7]
	s_and_saveexec_b64 s[6:7], s[4:5]
	s_cbranch_execz .LBB29_252
.LBB29_251:
	v_bfe_u32 v2, v9, 24, 3
	v_ffbh_u32_e32 v7, v2
	v_min_u32_e32 v7, 32, v7
	v_lshrrev_b32_e32 v4, 27, v9
	v_subrev_u32_e32 v8, 28, v7
	v_and_b32_e32 v4, 15, v4
	v_lshlrev_b32_sdwa v8, v8, v9 dst_sel:DWORD dst_unused:UNUSED_PAD src0_sel:DWORD src1_sel:BYTE_3
	v_bfe_u32 v6, v9, 27, 4
	v_sub_u32_e32 v7, 29, v7
	v_and_b32_e32 v8, 7, v8
	v_cmp_eq_u16_e32 vcc, 0, v4
	v_cndmask_b32_e32 v2, v2, v8, vcc
	v_cndmask_b32_e32 v4, v6, v7, vcc
	v_mov_b32_e32 v6, 0x3b800000
	v_and_b32_e32 v3, 0x80000000, v9
	v_lshlrev_b32_e32 v2, 20, v2
	v_lshl_add_u32 v4, v4, 23, v6
	v_or3_b32 v2, v3, v4, v2
.LBB29_252:
	s_or_b64 exec, exec, s[6:7]
	s_movk_i32 s4, 0x7f
	v_cmp_gt_i16_sdwa s[6:7], v5, s4 src0_sel:BYTE_3 src1_sel:DWORD
	s_mov_b64 s[4:5], 0
                                        ; implicit-def: $sgpr10
	s_and_saveexec_b64 s[8:9], s[6:7]
	s_xor_b64 s[6:7], exec, s[8:9]
	s_cbranch_execnz .LBB29_2301
; %bb.253:
	s_or_saveexec_b64 s[6:7], s[6:7]
	v_mov_b32_e32 v3, s10
	s_xor_b64 exec, exec, s[6:7]
	s_cbranch_execnz .LBB29_2304
.LBB29_254:
	s_or_b64 exec, exec, s[6:7]
	s_and_saveexec_b64 s[6:7], s[4:5]
	s_cbranch_execz .LBB29_256
.LBB29_255:
	v_bfe_u32 v3, v5, 24, 3
	v_ffbh_u32_e32 v8, v3
	v_min_u32_e32 v8, 32, v8
	v_lshrrev_b32_e32 v6, 27, v5
	v_subrev_u32_e32 v9, 28, v8
	v_and_b32_e32 v4, 0x80000000, v5
	v_and_b32_e32 v6, 15, v6
	v_bfe_u32 v7, v5, 27, 4
	v_lshlrev_b32_sdwa v5, v9, v5 dst_sel:DWORD dst_unused:UNUSED_PAD src0_sel:DWORD src1_sel:BYTE_3
	v_sub_u32_e32 v8, 29, v8
	v_and_b32_e32 v5, 7, v5
	v_cmp_eq_u16_e32 vcc, 0, v6
	v_cndmask_b32_e32 v3, v3, v5, vcc
	v_cndmask_b32_e32 v5, v7, v8, vcc
	v_mov_b32_e32 v6, 0x3b800000
	v_lshlrev_b32_e32 v3, 20, v3
	v_lshl_add_u32 v5, v5, 23, v6
	v_or3_b32 v3, v4, v5, v3
.LBB29_256:
	s_or_b64 exec, exec, s[6:7]
	s_nop 0
	v_mfma_f32_16x16x4f32 a[0:3], v2, v3, a[0:3]
	s_movk_i32 s4, 0x7f
                                        ; implicit-def: $sgpr10
	s_nop 7
	s_nop 1
	flat_store_dwordx4 v[18:19], a[0:3] offset:128
	flat_load_dwordx4 v[20:23], v[0:1] offset:16
	s_nop 0
	flat_load_dwordx2 v[18:19], v[0:1] offset:32
	s_waitcnt vmcnt(0) lgkmcnt(0)
	flat_load_dwordx4 v[14:17], v[20:21] offset:32
	flat_load_dwordx4 v[10:13], v[22:23] offset:32
	;; [unrolled: 1-line block ×4, first 2 shown]
	s_waitcnt vmcnt(0) lgkmcnt(0)
	v_cmp_gt_i16_sdwa s[6:7], v14, s4 src0_sel:BYTE_0 src1_sel:DWORD
	s_mov_b64 s[4:5], 0
	s_and_saveexec_b64 s[8:9], s[6:7]
	s_xor_b64 s[6:7], exec, s[8:9]
	s_cbranch_execnz .LBB29_2305
; %bb.257:
	s_or_saveexec_b64 s[6:7], s[6:7]
	v_mov_b32_e32 v20, s10
	s_xor_b64 exec, exec, s[6:7]
	s_cbranch_execnz .LBB29_2308
.LBB29_258:
	s_or_b64 exec, exec, s[6:7]
	s_and_saveexec_b64 s[6:7], s[4:5]
	s_cbranch_execz .LBB29_260
.LBB29_259:
	v_and_b32_e32 v20, 7, v14
	v_ffbh_u32_e32 v22, v20
	v_min_u32_e32 v22, 32, v22
	v_lshrrev_b16_e32 v21, 3, v14
	v_subrev_u32_e32 v23, 28, v22
	v_and_b32_e32 v21, 15, v21
	v_lshlrev_b32_e32 v23, v23, v14
	v_sub_u32_e32 v22, 29, v22
	v_and_b32_e32 v23, 7, v23
	v_cmp_eq_u16_e32 vcc, 0, v21
	v_cndmask_b32_e32 v20, v20, v23, vcc
	v_cndmask_b32_e32 v21, v21, v22, vcc
	v_lshlrev_b32_e32 v22, 24, v14
	v_mov_b32_e32 v23, 0x3b800000
	v_lshlrev_b32_e32 v20, 20, v20
	v_and_b32_e32 v22, 0x80000000, v22
	v_lshl_add_u32 v21, v21, 23, v23
	v_or3_b32 v20, v22, v21, v20
.LBB29_260:
	s_or_b64 exec, exec, s[6:7]
	s_movk_i32 s4, 0x7f
	v_cmp_gt_i16_sdwa s[6:7], v10, s4 src0_sel:BYTE_0 src1_sel:DWORD
	s_mov_b64 s[4:5], 0
                                        ; implicit-def: $sgpr10
	s_and_saveexec_b64 s[8:9], s[6:7]
	s_xor_b64 s[6:7], exec, s[8:9]
	s_cbranch_execnz .LBB29_2309
; %bb.261:
	s_or_saveexec_b64 s[6:7], s[6:7]
	v_mov_b32_e32 v21, s10
	s_xor_b64 exec, exec, s[6:7]
	s_cbranch_execnz .LBB29_2312
.LBB29_262:
	s_or_b64 exec, exec, s[6:7]
	s_and_saveexec_b64 s[6:7], s[4:5]
	s_cbranch_execz .LBB29_264
.LBB29_263:
	v_and_b32_e32 v21, 7, v10
	v_ffbh_u32_e32 v23, v21
	v_min_u32_e32 v23, 32, v23
	v_lshrrev_b16_e32 v22, 3, v10
	v_subrev_u32_e32 v24, 28, v23
	v_and_b32_e32 v22, 15, v22
	v_lshlrev_b32_e32 v24, v24, v10
	v_sub_u32_e32 v23, 29, v23
	v_and_b32_e32 v24, 7, v24
	v_cmp_eq_u16_e32 vcc, 0, v22
	v_cndmask_b32_e32 v21, v21, v24, vcc
	v_cndmask_b32_e32 v22, v22, v23, vcc
	v_lshlrev_b32_e32 v23, 24, v10
	v_mov_b32_e32 v24, 0x3b800000
	v_lshlrev_b32_e32 v21, 20, v21
	v_and_b32_e32 v23, 0x80000000, v23
	v_lshl_add_u32 v22, v22, 23, v24
	v_or3_b32 v21, v23, v22, v21
.LBB29_264:
	s_or_b64 exec, exec, s[6:7]
	flat_load_dwordx4 a[0:3], v[18:19] offset:144
	s_movk_i32 s4, 0x7f
                                        ; implicit-def: $sgpr10
	s_waitcnt vmcnt(0) lgkmcnt(0)
	v_mfma_f32_16x16x4f32 a[0:3], v20, v21, a[0:3]
	v_lshrrev_b32_e32 v21, 8, v14
	v_cmp_gt_i16_sdwa s[6:7], v21, s4 src0_sel:BYTE_0 src1_sel:DWORD
	s_mov_b64 s[4:5], 0
	s_and_saveexec_b64 s[8:9], s[6:7]
	s_xor_b64 s[6:7], exec, s[8:9]
	s_cbranch_execnz .LBB29_2313
; %bb.265:
	s_or_saveexec_b64 s[6:7], s[6:7]
	v_mov_b32_e32 v20, s10
	s_xor_b64 exec, exec, s[6:7]
	s_cbranch_execnz .LBB29_2316
.LBB29_266:
	s_or_b64 exec, exec, s[6:7]
	s_and_saveexec_b64 s[6:7], s[4:5]
	s_cbranch_execz .LBB29_268
.LBB29_267:
	v_bfe_u32 v20, v14, 8, 3
	v_ffbh_u32_e32 v23, v20
	v_min_u32_e32 v23, 32, v23
	v_lshrrev_b16_e32 v22, 3, v21
	v_subrev_u32_e32 v24, 28, v23
	v_and_b32_e32 v22, 15, v22
	v_lshlrev_b32_e32 v21, v24, v21
	v_sub_u32_e32 v23, 29, v23
	v_and_b32_e32 v21, 7, v21
	v_cmp_eq_u16_e32 vcc, 0, v22
	v_cndmask_b32_e32 v20, v20, v21, vcc
	v_cndmask_b32_e32 v21, v22, v23, vcc
	v_lshlrev_b32_e32 v22, 16, v14
	v_mov_b32_e32 v23, 0x3b800000
	v_lshlrev_b32_e32 v20, 20, v20
	v_and_b32_e32 v22, 0x80000000, v22
	v_lshl_add_u32 v21, v21, 23, v23
	v_or3_b32 v20, v22, v21, v20
.LBB29_268:
	s_or_b64 exec, exec, s[6:7]
	v_lshrrev_b32_e32 v21, 8, v10
	s_movk_i32 s4, 0x7f
	v_cmp_gt_i16_sdwa s[6:7], v21, s4 src0_sel:BYTE_0 src1_sel:DWORD
	s_mov_b64 s[4:5], 0
                                        ; implicit-def: $sgpr10
	s_and_saveexec_b64 s[8:9], s[6:7]
	s_xor_b64 s[6:7], exec, s[8:9]
	s_cbranch_execnz .LBB29_2317
; %bb.269:
	s_or_saveexec_b64 s[6:7], s[6:7]
	v_mov_b32_e32 v22, s10
	s_xor_b64 exec, exec, s[6:7]
	s_cbranch_execnz .LBB29_2320
.LBB29_270:
	s_or_b64 exec, exec, s[6:7]
	s_and_saveexec_b64 s[6:7], s[4:5]
	s_cbranch_execz .LBB29_272
.LBB29_271:
	v_bfe_u32 v22, v10, 8, 3
	v_ffbh_u32_e32 v24, v22
	v_min_u32_e32 v24, 32, v24
	v_lshrrev_b16_e32 v23, 3, v21
	v_subrev_u32_e32 v25, 28, v24
	v_and_b32_e32 v23, 15, v23
	v_lshlrev_b32_e32 v21, v25, v21
	v_sub_u32_e32 v24, 29, v24
	v_and_b32_e32 v21, 7, v21
	v_cmp_eq_u16_e32 vcc, 0, v23
	v_cndmask_b32_e32 v21, v22, v21, vcc
	v_cndmask_b32_e32 v22, v23, v24, vcc
	v_lshlrev_b32_e32 v23, 16, v10
	v_mov_b32_e32 v24, 0x3b800000
	v_lshlrev_b32_e32 v21, 20, v21
	v_and_b32_e32 v23, 0x80000000, v23
	v_lshl_add_u32 v22, v22, 23, v24
	v_or3_b32 v22, v23, v22, v21
.LBB29_272:
	s_or_b64 exec, exec, s[6:7]
	s_nop 0
	v_mfma_f32_16x16x4f32 a[0:3], v20, v22, a[0:3]
	s_movk_i32 s4, 0xff
	v_and_b32_sdwa v21, v14, s4 dst_sel:DWORD dst_unused:UNUSED_PAD src0_sel:WORD_1 src1_sel:DWORD
	s_movk_i32 s4, 0x7f
	v_cmp_lt_i16_e32 vcc, s4, v21
	s_mov_b64 s[4:5], 0
                                        ; implicit-def: $sgpr10
	s_and_saveexec_b64 s[6:7], vcc
	s_xor_b64 s[6:7], exec, s[6:7]
	s_cbranch_execnz .LBB29_2321
; %bb.273:
	s_or_saveexec_b64 s[6:7], s[6:7]
	v_mov_b32_e32 v20, s10
	s_xor_b64 exec, exec, s[6:7]
	s_cbranch_execnz .LBB29_2324
.LBB29_274:
	s_or_b64 exec, exec, s[6:7]
	s_and_saveexec_b64 s[6:7], s[4:5]
	s_cbranch_execz .LBB29_276
.LBB29_275:
	v_bfe_u32 v20, v14, 16, 3
	v_ffbh_u32_e32 v23, v20
	v_min_u32_e32 v23, 32, v23
	v_lshrrev_b32_e32 v21, 19, v14
	v_subrev_u32_e32 v24, 28, v23
	v_and_b32_e32 v21, 15, v21
	v_lshlrev_b32_sdwa v24, v24, v14 dst_sel:DWORD dst_unused:UNUSED_PAD src0_sel:DWORD src1_sel:WORD_1
	v_bfe_u32 v22, v14, 19, 4
	v_sub_u32_e32 v23, 29, v23
	v_and_b32_e32 v24, 7, v24
	v_cmp_eq_u16_e32 vcc, 0, v21
	v_cndmask_b32_e32 v20, v20, v24, vcc
	v_cndmask_b32_e32 v21, v22, v23, vcc
	v_lshlrev_b32_e32 v22, 8, v14
	v_mov_b32_e32 v23, 0x3b800000
	v_lshlrev_b32_e32 v20, 20, v20
	v_and_b32_e32 v22, 0x80000000, v22
	v_lshl_add_u32 v21, v21, 23, v23
	v_or3_b32 v20, v22, v21, v20
.LBB29_276:
	s_or_b64 exec, exec, s[6:7]
	s_movk_i32 s4, 0xff
	v_and_b32_sdwa v21, v10, s4 dst_sel:DWORD dst_unused:UNUSED_PAD src0_sel:WORD_1 src1_sel:DWORD
	s_movk_i32 s4, 0x7f
	v_cmp_lt_i16_e32 vcc, s4, v21
	s_mov_b64 s[4:5], 0
                                        ; implicit-def: $sgpr10
	s_and_saveexec_b64 s[6:7], vcc
	s_xor_b64 s[6:7], exec, s[6:7]
	s_cbranch_execnz .LBB29_2325
; %bb.277:
	s_or_saveexec_b64 s[6:7], s[6:7]
	v_mov_b32_e32 v22, s10
	s_xor_b64 exec, exec, s[6:7]
	s_cbranch_execnz .LBB29_2328
.LBB29_278:
	s_or_b64 exec, exec, s[6:7]
	s_and_saveexec_b64 s[6:7], s[4:5]
	s_cbranch_execz .LBB29_280
.LBB29_279:
	v_bfe_u32 v21, v10, 16, 3
	v_ffbh_u32_e32 v24, v21
	v_min_u32_e32 v24, 32, v24
	v_lshrrev_b32_e32 v22, 19, v10
	v_subrev_u32_e32 v25, 28, v24
	v_and_b32_e32 v22, 15, v22
	v_lshlrev_b32_sdwa v25, v25, v10 dst_sel:DWORD dst_unused:UNUSED_PAD src0_sel:DWORD src1_sel:WORD_1
	v_bfe_u32 v23, v10, 19, 4
	v_sub_u32_e32 v24, 29, v24
	v_and_b32_e32 v25, 7, v25
	v_cmp_eq_u16_e32 vcc, 0, v22
	v_cndmask_b32_e32 v21, v21, v25, vcc
	v_cndmask_b32_e32 v22, v23, v24, vcc
	v_lshlrev_b32_e32 v23, 8, v10
	v_mov_b32_e32 v24, 0x3b800000
	v_lshlrev_b32_e32 v21, 20, v21
	v_and_b32_e32 v23, 0x80000000, v23
	v_lshl_add_u32 v22, v22, 23, v24
	v_or3_b32 v22, v23, v22, v21
.LBB29_280:
	s_or_b64 exec, exec, s[6:7]
	s_nop 0
	v_mfma_f32_16x16x4f32 a[0:3], v20, v22, a[0:3]
	s_movk_i32 s4, 0x7f
	v_cmp_gt_i16_sdwa s[6:7], v14, s4 src0_sel:BYTE_3 src1_sel:DWORD
	s_mov_b64 s[4:5], 0
                                        ; implicit-def: $sgpr10
	s_and_saveexec_b64 s[8:9], s[6:7]
	s_xor_b64 s[6:7], exec, s[8:9]
	s_cbranch_execnz .LBB29_2329
; %bb.281:
	s_or_saveexec_b64 s[6:7], s[6:7]
	v_mov_b32_e32 v20, s10
	s_xor_b64 exec, exec, s[6:7]
	s_cbranch_execnz .LBB29_2332
.LBB29_282:
	s_or_b64 exec, exec, s[6:7]
	s_and_saveexec_b64 s[6:7], s[4:5]
	s_cbranch_execz .LBB29_284
.LBB29_283:
	v_bfe_u32 v20, v14, 24, 3
	v_ffbh_u32_e32 v24, v20
	v_min_u32_e32 v24, 32, v24
	v_lshrrev_b32_e32 v22, 27, v14
	v_subrev_u32_e32 v25, 28, v24
	v_and_b32_e32 v21, 0x80000000, v14
	v_and_b32_e32 v22, 15, v22
	v_bfe_u32 v23, v14, 27, 4
	v_lshlrev_b32_sdwa v14, v25, v14 dst_sel:DWORD dst_unused:UNUSED_PAD src0_sel:DWORD src1_sel:BYTE_3
	v_sub_u32_e32 v24, 29, v24
	v_and_b32_e32 v14, 7, v14
	v_cmp_eq_u16_e32 vcc, 0, v22
	v_cndmask_b32_e32 v14, v20, v14, vcc
	v_cndmask_b32_e32 v20, v23, v24, vcc
	v_mov_b32_e32 v22, 0x3b800000
	v_lshlrev_b32_e32 v14, 20, v14
	v_lshl_add_u32 v20, v20, 23, v22
	v_or3_b32 v20, v21, v20, v14
.LBB29_284:
	s_or_b64 exec, exec, s[6:7]
	s_movk_i32 s4, 0x7f
	v_cmp_gt_i16_sdwa s[6:7], v10, s4 src0_sel:BYTE_3 src1_sel:DWORD
	s_mov_b64 s[4:5], 0
                                        ; implicit-def: $sgpr10
	s_and_saveexec_b64 s[8:9], s[6:7]
	s_xor_b64 s[6:7], exec, s[8:9]
	s_cbranch_execnz .LBB29_2333
; %bb.285:
	s_or_saveexec_b64 s[6:7], s[6:7]
	v_mov_b32_e32 v14, s10
	s_xor_b64 exec, exec, s[6:7]
	s_cbranch_execnz .LBB29_2336
.LBB29_286:
	s_or_b64 exec, exec, s[6:7]
	s_and_saveexec_b64 s[6:7], s[4:5]
	s_cbranch_execz .LBB29_288
.LBB29_287:
	v_bfe_u32 v14, v10, 24, 3
	v_ffbh_u32_e32 v24, v14
	v_min_u32_e32 v24, 32, v24
	v_lshrrev_b32_e32 v22, 27, v10
	v_subrev_u32_e32 v25, 28, v24
	v_and_b32_e32 v21, 0x80000000, v10
	v_and_b32_e32 v22, 15, v22
	v_bfe_u32 v23, v10, 27, 4
	v_lshlrev_b32_sdwa v10, v25, v10 dst_sel:DWORD dst_unused:UNUSED_PAD src0_sel:DWORD src1_sel:BYTE_3
	v_sub_u32_e32 v24, 29, v24
	v_and_b32_e32 v10, 7, v10
	v_cmp_eq_u16_e32 vcc, 0, v22
	v_cndmask_b32_e32 v10, v14, v10, vcc
	v_cndmask_b32_e32 v14, v23, v24, vcc
	v_mov_b32_e32 v22, 0x3b800000
	v_lshlrev_b32_e32 v10, 20, v10
	v_lshl_add_u32 v14, v14, 23, v22
	v_or3_b32 v14, v21, v14, v10
.LBB29_288:
	s_or_b64 exec, exec, s[6:7]
	s_nop 0
	v_mfma_f32_16x16x4f32 a[0:3], v20, v14, a[0:3]
	s_movk_i32 s4, 0x7f
	v_cmp_gt_i16_sdwa s[6:7], v15, s4 src0_sel:BYTE_0 src1_sel:DWORD
	s_mov_b64 s[4:5], 0
                                        ; implicit-def: $sgpr10
	s_and_saveexec_b64 s[8:9], s[6:7]
	s_xor_b64 s[6:7], exec, s[8:9]
	s_cbranch_execnz .LBB29_2337
; %bb.289:
	s_or_saveexec_b64 s[6:7], s[6:7]
	v_mov_b32_e32 v10, s10
	s_xor_b64 exec, exec, s[6:7]
	s_cbranch_execnz .LBB29_2340
.LBB29_290:
	s_or_b64 exec, exec, s[6:7]
	s_and_saveexec_b64 s[6:7], s[4:5]
	s_cbranch_execz .LBB29_292
.LBB29_291:
	v_and_b32_e32 v10, 7, v15
	v_ffbh_u32_e32 v20, v10
	v_min_u32_e32 v20, 32, v20
	v_lshrrev_b16_e32 v14, 3, v15
	v_subrev_u32_e32 v21, 28, v20
	v_and_b32_e32 v14, 15, v14
	v_lshlrev_b32_e32 v21, v21, v15
	v_sub_u32_e32 v20, 29, v20
	v_and_b32_e32 v21, 7, v21
	v_cmp_eq_u16_e32 vcc, 0, v14
	v_cndmask_b32_e32 v10, v10, v21, vcc
	v_cndmask_b32_e32 v14, v14, v20, vcc
	v_lshlrev_b32_e32 v20, 24, v15
	v_mov_b32_e32 v21, 0x3b800000
	v_lshlrev_b32_e32 v10, 20, v10
	v_and_b32_e32 v20, 0x80000000, v20
	v_lshl_add_u32 v14, v14, 23, v21
	v_or3_b32 v10, v20, v14, v10
.LBB29_292:
	s_or_b64 exec, exec, s[6:7]
	s_movk_i32 s4, 0x7f
	v_cmp_gt_i16_sdwa s[6:7], v11, s4 src0_sel:BYTE_0 src1_sel:DWORD
	s_mov_b64 s[4:5], 0
                                        ; implicit-def: $sgpr10
	s_and_saveexec_b64 s[8:9], s[6:7]
	s_xor_b64 s[6:7], exec, s[8:9]
	s_cbranch_execnz .LBB29_2341
; %bb.293:
	s_or_saveexec_b64 s[6:7], s[6:7]
	v_mov_b32_e32 v14, s10
	s_xor_b64 exec, exec, s[6:7]
	s_cbranch_execnz .LBB29_2344
.LBB29_294:
	s_or_b64 exec, exec, s[6:7]
	s_and_saveexec_b64 s[6:7], s[4:5]
	s_cbranch_execz .LBB29_296
.LBB29_295:
	v_and_b32_e32 v14, 7, v11
	v_ffbh_u32_e32 v21, v14
	v_min_u32_e32 v21, 32, v21
	v_lshrrev_b16_e32 v20, 3, v11
	v_subrev_u32_e32 v22, 28, v21
	v_and_b32_e32 v20, 15, v20
	v_lshlrev_b32_e32 v22, v22, v11
	v_sub_u32_e32 v21, 29, v21
	v_and_b32_e32 v22, 7, v22
	v_cmp_eq_u16_e32 vcc, 0, v20
	v_cndmask_b32_e32 v14, v14, v22, vcc
	v_cndmask_b32_e32 v20, v20, v21, vcc
	v_lshlrev_b32_e32 v21, 24, v11
	v_mov_b32_e32 v22, 0x3b800000
	v_lshlrev_b32_e32 v14, 20, v14
	v_and_b32_e32 v21, 0x80000000, v21
	v_lshl_add_u32 v20, v20, 23, v22
	v_or3_b32 v14, v21, v20, v14
.LBB29_296:
	s_or_b64 exec, exec, s[6:7]
	s_nop 0
	v_mfma_f32_16x16x4f32 a[0:3], v10, v14, a[0:3]
	v_lshrrev_b32_e32 v14, 8, v15
	s_movk_i32 s4, 0x7f
	v_cmp_gt_i16_sdwa s[6:7], v14, s4 src0_sel:BYTE_0 src1_sel:DWORD
	s_mov_b64 s[4:5], 0
                                        ; implicit-def: $sgpr10
	s_and_saveexec_b64 s[8:9], s[6:7]
	s_xor_b64 s[6:7], exec, s[8:9]
	s_cbranch_execnz .LBB29_2345
; %bb.297:
	s_or_saveexec_b64 s[6:7], s[6:7]
	v_mov_b32_e32 v10, s10
	s_xor_b64 exec, exec, s[6:7]
	s_cbranch_execnz .LBB29_2348
.LBB29_298:
	s_or_b64 exec, exec, s[6:7]
	s_and_saveexec_b64 s[6:7], s[4:5]
	s_cbranch_execz .LBB29_300
.LBB29_299:
	v_bfe_u32 v10, v15, 8, 3
	v_ffbh_u32_e32 v21, v10
	v_min_u32_e32 v21, 32, v21
	v_lshrrev_b16_e32 v20, 3, v14
	v_subrev_u32_e32 v22, 28, v21
	v_and_b32_e32 v20, 15, v20
	v_lshlrev_b32_e32 v14, v22, v14
	v_sub_u32_e32 v21, 29, v21
	v_and_b32_e32 v14, 7, v14
	v_cmp_eq_u16_e32 vcc, 0, v20
	v_cndmask_b32_e32 v10, v10, v14, vcc
	v_cndmask_b32_e32 v14, v20, v21, vcc
	v_lshlrev_b32_e32 v20, 16, v15
	v_mov_b32_e32 v21, 0x3b800000
	v_lshlrev_b32_e32 v10, 20, v10
	v_and_b32_e32 v20, 0x80000000, v20
	v_lshl_add_u32 v14, v14, 23, v21
	v_or3_b32 v10, v20, v14, v10
.LBB29_300:
	s_or_b64 exec, exec, s[6:7]
	v_lshrrev_b32_e32 v14, 8, v11
	s_movk_i32 s4, 0x7f
	v_cmp_gt_i16_sdwa s[6:7], v14, s4 src0_sel:BYTE_0 src1_sel:DWORD
	s_mov_b64 s[4:5], 0
                                        ; implicit-def: $sgpr10
	s_and_saveexec_b64 s[8:9], s[6:7]
	s_xor_b64 s[6:7], exec, s[8:9]
	s_cbranch_execnz .LBB29_2349
; %bb.301:
	s_or_saveexec_b64 s[6:7], s[6:7]
	v_mov_b32_e32 v20, s10
	s_xor_b64 exec, exec, s[6:7]
	s_cbranch_execnz .LBB29_2352
.LBB29_302:
	s_or_b64 exec, exec, s[6:7]
	s_and_saveexec_b64 s[6:7], s[4:5]
	s_cbranch_execz .LBB29_304
.LBB29_303:
	v_bfe_u32 v20, v11, 8, 3
	v_ffbh_u32_e32 v22, v20
	v_min_u32_e32 v22, 32, v22
	v_lshrrev_b16_e32 v21, 3, v14
	v_subrev_u32_e32 v23, 28, v22
	v_and_b32_e32 v21, 15, v21
	v_lshlrev_b32_e32 v14, v23, v14
	v_sub_u32_e32 v22, 29, v22
	v_and_b32_e32 v14, 7, v14
	v_cmp_eq_u16_e32 vcc, 0, v21
	v_cndmask_b32_e32 v14, v20, v14, vcc
	v_cndmask_b32_e32 v20, v21, v22, vcc
	v_lshlrev_b32_e32 v21, 16, v11
	v_mov_b32_e32 v22, 0x3b800000
	v_lshlrev_b32_e32 v14, 20, v14
	v_and_b32_e32 v21, 0x80000000, v21
	v_lshl_add_u32 v20, v20, 23, v22
	v_or3_b32 v20, v21, v20, v14
.LBB29_304:
	s_or_b64 exec, exec, s[6:7]
	s_nop 0
	v_mfma_f32_16x16x4f32 a[0:3], v10, v20, a[0:3]
	s_movk_i32 s4, 0xff
	v_and_b32_sdwa v14, v15, s4 dst_sel:DWORD dst_unused:UNUSED_PAD src0_sel:WORD_1 src1_sel:DWORD
	s_movk_i32 s4, 0x7f
	v_cmp_lt_i16_e32 vcc, s4, v14
	s_mov_b64 s[4:5], 0
                                        ; implicit-def: $sgpr10
	s_and_saveexec_b64 s[6:7], vcc
	s_xor_b64 s[6:7], exec, s[6:7]
	s_cbranch_execnz .LBB29_2353
; %bb.305:
	s_or_saveexec_b64 s[6:7], s[6:7]
	v_mov_b32_e32 v10, s10
	s_xor_b64 exec, exec, s[6:7]
	s_cbranch_execnz .LBB29_2356
.LBB29_306:
	s_or_b64 exec, exec, s[6:7]
	s_and_saveexec_b64 s[6:7], s[4:5]
	s_cbranch_execz .LBB29_308
.LBB29_307:
	v_bfe_u32 v10, v15, 16, 3
	v_ffbh_u32_e32 v21, v10
	v_min_u32_e32 v21, 32, v21
	v_lshrrev_b32_e32 v14, 19, v15
	v_subrev_u32_e32 v22, 28, v21
	v_and_b32_e32 v14, 15, v14
	v_lshlrev_b32_sdwa v22, v22, v15 dst_sel:DWORD dst_unused:UNUSED_PAD src0_sel:DWORD src1_sel:WORD_1
	v_bfe_u32 v20, v15, 19, 4
	v_sub_u32_e32 v21, 29, v21
	v_and_b32_e32 v22, 7, v22
	v_cmp_eq_u16_e32 vcc, 0, v14
	v_cndmask_b32_e32 v10, v10, v22, vcc
	v_cndmask_b32_e32 v14, v20, v21, vcc
	v_lshlrev_b32_e32 v20, 8, v15
	v_mov_b32_e32 v21, 0x3b800000
	v_lshlrev_b32_e32 v10, 20, v10
	v_and_b32_e32 v20, 0x80000000, v20
	v_lshl_add_u32 v14, v14, 23, v21
	v_or3_b32 v10, v20, v14, v10
.LBB29_308:
	s_or_b64 exec, exec, s[6:7]
	s_movk_i32 s4, 0xff
	v_and_b32_sdwa v14, v11, s4 dst_sel:DWORD dst_unused:UNUSED_PAD src0_sel:WORD_1 src1_sel:DWORD
	s_movk_i32 s4, 0x7f
	v_cmp_lt_i16_e32 vcc, s4, v14
	s_mov_b64 s[4:5], 0
                                        ; implicit-def: $sgpr10
	s_and_saveexec_b64 s[6:7], vcc
	s_xor_b64 s[6:7], exec, s[6:7]
	s_cbranch_execnz .LBB29_2357
; %bb.309:
	s_or_saveexec_b64 s[6:7], s[6:7]
	v_mov_b32_e32 v20, s10
	s_xor_b64 exec, exec, s[6:7]
	s_cbranch_execnz .LBB29_2360
.LBB29_310:
	s_or_b64 exec, exec, s[6:7]
	s_and_saveexec_b64 s[6:7], s[4:5]
	s_cbranch_execz .LBB29_312
.LBB29_311:
	v_bfe_u32 v14, v11, 16, 3
	v_ffbh_u32_e32 v22, v14
	v_min_u32_e32 v22, 32, v22
	v_lshrrev_b32_e32 v20, 19, v11
	v_subrev_u32_e32 v23, 28, v22
	v_and_b32_e32 v20, 15, v20
	v_lshlrev_b32_sdwa v23, v23, v11 dst_sel:DWORD dst_unused:UNUSED_PAD src0_sel:DWORD src1_sel:WORD_1
	v_bfe_u32 v21, v11, 19, 4
	v_sub_u32_e32 v22, 29, v22
	v_and_b32_e32 v23, 7, v23
	v_cmp_eq_u16_e32 vcc, 0, v20
	v_cndmask_b32_e32 v14, v14, v23, vcc
	v_cndmask_b32_e32 v20, v21, v22, vcc
	v_lshlrev_b32_e32 v21, 8, v11
	v_mov_b32_e32 v22, 0x3b800000
	v_lshlrev_b32_e32 v14, 20, v14
	v_and_b32_e32 v21, 0x80000000, v21
	v_lshl_add_u32 v20, v20, 23, v22
	v_or3_b32 v20, v21, v20, v14
.LBB29_312:
	s_or_b64 exec, exec, s[6:7]
	s_nop 0
	v_mfma_f32_16x16x4f32 a[0:3], v10, v20, a[0:3]
	s_movk_i32 s4, 0x7f
	v_cmp_gt_i16_sdwa s[6:7], v15, s4 src0_sel:BYTE_3 src1_sel:DWORD
	s_mov_b64 s[4:5], 0
                                        ; implicit-def: $sgpr10
	s_and_saveexec_b64 s[8:9], s[6:7]
	s_xor_b64 s[6:7], exec, s[8:9]
	s_cbranch_execnz .LBB29_2361
; %bb.313:
	s_or_saveexec_b64 s[6:7], s[6:7]
	v_mov_b32_e32 v10, s10
	s_xor_b64 exec, exec, s[6:7]
	s_cbranch_execnz .LBB29_2364
.LBB29_314:
	s_or_b64 exec, exec, s[6:7]
	s_and_saveexec_b64 s[6:7], s[4:5]
	s_cbranch_execz .LBB29_316
.LBB29_315:
	v_bfe_u32 v10, v15, 24, 3
	v_ffbh_u32_e32 v22, v10
	v_min_u32_e32 v22, 32, v22
	v_lshrrev_b32_e32 v20, 27, v15
	v_subrev_u32_e32 v23, 28, v22
	v_and_b32_e32 v14, 0x80000000, v15
	v_and_b32_e32 v20, 15, v20
	v_bfe_u32 v21, v15, 27, 4
	v_lshlrev_b32_sdwa v15, v23, v15 dst_sel:DWORD dst_unused:UNUSED_PAD src0_sel:DWORD src1_sel:BYTE_3
	v_sub_u32_e32 v22, 29, v22
	v_and_b32_e32 v15, 7, v15
	v_cmp_eq_u16_e32 vcc, 0, v20
	v_cndmask_b32_e32 v10, v10, v15, vcc
	v_cndmask_b32_e32 v15, v21, v22, vcc
	v_mov_b32_e32 v20, 0x3b800000
	v_lshlrev_b32_e32 v10, 20, v10
	v_lshl_add_u32 v15, v15, 23, v20
	v_or3_b32 v10, v14, v15, v10
.LBB29_316:
	s_or_b64 exec, exec, s[6:7]
	s_movk_i32 s4, 0x7f
	v_cmp_gt_i16_sdwa s[6:7], v11, s4 src0_sel:BYTE_3 src1_sel:DWORD
	s_mov_b64 s[4:5], 0
                                        ; implicit-def: $sgpr10
	s_and_saveexec_b64 s[8:9], s[6:7]
	s_xor_b64 s[6:7], exec, s[8:9]
	s_cbranch_execnz .LBB29_2365
; %bb.317:
	s_or_saveexec_b64 s[6:7], s[6:7]
	v_mov_b32_e32 v14, s10
	s_xor_b64 exec, exec, s[6:7]
	s_cbranch_execnz .LBB29_2368
.LBB29_318:
	s_or_b64 exec, exec, s[6:7]
	s_and_saveexec_b64 s[6:7], s[4:5]
	s_cbranch_execz .LBB29_320
.LBB29_319:
	v_bfe_u32 v14, v11, 24, 3
	v_ffbh_u32_e32 v22, v14
	v_min_u32_e32 v22, 32, v22
	v_lshrrev_b32_e32 v20, 27, v11
	v_subrev_u32_e32 v23, 28, v22
	v_and_b32_e32 v15, 0x80000000, v11
	v_and_b32_e32 v20, 15, v20
	v_bfe_u32 v21, v11, 27, 4
	v_lshlrev_b32_sdwa v11, v23, v11 dst_sel:DWORD dst_unused:UNUSED_PAD src0_sel:DWORD src1_sel:BYTE_3
	v_sub_u32_e32 v22, 29, v22
	v_and_b32_e32 v11, 7, v11
	v_cmp_eq_u16_e32 vcc, 0, v20
	v_cndmask_b32_e32 v11, v14, v11, vcc
	v_cndmask_b32_e32 v14, v21, v22, vcc
	v_mov_b32_e32 v20, 0x3b800000
	v_lshlrev_b32_e32 v11, 20, v11
	v_lshl_add_u32 v14, v14, 23, v20
	v_or3_b32 v14, v15, v14, v11
.LBB29_320:
	s_or_b64 exec, exec, s[6:7]
	s_nop 0
	v_mfma_f32_16x16x4f32 a[0:3], v10, v14, a[0:3]
	s_movk_i32 s4, 0x7f
	v_cmp_gt_i16_sdwa s[6:7], v16, s4 src0_sel:BYTE_0 src1_sel:DWORD
	s_mov_b64 s[4:5], 0
                                        ; implicit-def: $sgpr10
	s_and_saveexec_b64 s[8:9], s[6:7]
	s_xor_b64 s[6:7], exec, s[8:9]
	s_cbranch_execnz .LBB29_2369
; %bb.321:
	s_or_saveexec_b64 s[6:7], s[6:7]
	v_mov_b32_e32 v10, s10
	s_xor_b64 exec, exec, s[6:7]
	s_cbranch_execnz .LBB29_2372
.LBB29_322:
	s_or_b64 exec, exec, s[6:7]
	s_and_saveexec_b64 s[6:7], s[4:5]
	s_cbranch_execz .LBB29_324
.LBB29_323:
	v_and_b32_e32 v10, 7, v16
	v_ffbh_u32_e32 v14, v10
	v_min_u32_e32 v14, 32, v14
	v_lshrrev_b16_e32 v11, 3, v16
	v_subrev_u32_e32 v15, 28, v14
	v_and_b32_e32 v11, 15, v11
	v_lshlrev_b32_e32 v15, v15, v16
	v_sub_u32_e32 v14, 29, v14
	v_and_b32_e32 v15, 7, v15
	v_cmp_eq_u16_e32 vcc, 0, v11
	v_cndmask_b32_e32 v10, v10, v15, vcc
	v_cndmask_b32_e32 v11, v11, v14, vcc
	v_lshlrev_b32_e32 v14, 24, v16
	v_mov_b32_e32 v15, 0x3b800000
	v_lshlrev_b32_e32 v10, 20, v10
	v_and_b32_e32 v14, 0x80000000, v14
	v_lshl_add_u32 v11, v11, 23, v15
	v_or3_b32 v10, v14, v11, v10
.LBB29_324:
	s_or_b64 exec, exec, s[6:7]
	s_movk_i32 s4, 0x7f
	v_cmp_gt_i16_sdwa s[6:7], v12, s4 src0_sel:BYTE_0 src1_sel:DWORD
	s_mov_b64 s[4:5], 0
                                        ; implicit-def: $sgpr10
	s_and_saveexec_b64 s[8:9], s[6:7]
	s_xor_b64 s[6:7], exec, s[8:9]
	s_cbranch_execnz .LBB29_2373
; %bb.325:
	s_or_saveexec_b64 s[6:7], s[6:7]
	v_mov_b32_e32 v11, s10
	s_xor_b64 exec, exec, s[6:7]
	s_cbranch_execnz .LBB29_2376
.LBB29_326:
	s_or_b64 exec, exec, s[6:7]
	s_and_saveexec_b64 s[6:7], s[4:5]
	s_cbranch_execz .LBB29_328
.LBB29_327:
	v_and_b32_e32 v11, 7, v12
	v_ffbh_u32_e32 v15, v11
	v_min_u32_e32 v15, 32, v15
	v_lshrrev_b16_e32 v14, 3, v12
	v_subrev_u32_e32 v20, 28, v15
	v_and_b32_e32 v14, 15, v14
	v_lshlrev_b32_e32 v20, v20, v12
	v_sub_u32_e32 v15, 29, v15
	v_and_b32_e32 v20, 7, v20
	v_cmp_eq_u16_e32 vcc, 0, v14
	v_cndmask_b32_e32 v11, v11, v20, vcc
	v_cndmask_b32_e32 v14, v14, v15, vcc
	v_lshlrev_b32_e32 v15, 24, v12
	v_mov_b32_e32 v20, 0x3b800000
	v_lshlrev_b32_e32 v11, 20, v11
	v_and_b32_e32 v15, 0x80000000, v15
	v_lshl_add_u32 v14, v14, 23, v20
	v_or3_b32 v11, v15, v14, v11
.LBB29_328:
	s_or_b64 exec, exec, s[6:7]
	s_nop 0
	v_mfma_f32_16x16x4f32 a[0:3], v10, v11, a[0:3]
	v_lshrrev_b32_e32 v11, 8, v16
	s_movk_i32 s4, 0x7f
	v_cmp_gt_i16_sdwa s[6:7], v11, s4 src0_sel:BYTE_0 src1_sel:DWORD
	s_mov_b64 s[4:5], 0
                                        ; implicit-def: $sgpr10
	s_and_saveexec_b64 s[8:9], s[6:7]
	s_xor_b64 s[6:7], exec, s[8:9]
	s_cbranch_execnz .LBB29_2377
; %bb.329:
	s_or_saveexec_b64 s[6:7], s[6:7]
	v_mov_b32_e32 v10, s10
	s_xor_b64 exec, exec, s[6:7]
	s_cbranch_execnz .LBB29_2380
.LBB29_330:
	s_or_b64 exec, exec, s[6:7]
	s_and_saveexec_b64 s[6:7], s[4:5]
	s_cbranch_execz .LBB29_332
.LBB29_331:
	v_bfe_u32 v10, v16, 8, 3
	v_ffbh_u32_e32 v15, v10
	v_min_u32_e32 v15, 32, v15
	v_lshrrev_b16_e32 v14, 3, v11
	v_subrev_u32_e32 v20, 28, v15
	v_and_b32_e32 v14, 15, v14
	v_lshlrev_b32_e32 v11, v20, v11
	v_sub_u32_e32 v15, 29, v15
	v_and_b32_e32 v11, 7, v11
	v_cmp_eq_u16_e32 vcc, 0, v14
	v_cndmask_b32_e32 v10, v10, v11, vcc
	v_cndmask_b32_e32 v11, v14, v15, vcc
	v_lshlrev_b32_e32 v14, 16, v16
	v_mov_b32_e32 v15, 0x3b800000
	v_lshlrev_b32_e32 v10, 20, v10
	v_and_b32_e32 v14, 0x80000000, v14
	v_lshl_add_u32 v11, v11, 23, v15
	v_or3_b32 v10, v14, v11, v10
.LBB29_332:
	s_or_b64 exec, exec, s[6:7]
	v_lshrrev_b32_e32 v11, 8, v12
	s_movk_i32 s4, 0x7f
	v_cmp_gt_i16_sdwa s[6:7], v11, s4 src0_sel:BYTE_0 src1_sel:DWORD
	s_mov_b64 s[4:5], 0
                                        ; implicit-def: $sgpr10
	s_and_saveexec_b64 s[8:9], s[6:7]
	s_xor_b64 s[6:7], exec, s[8:9]
	s_cbranch_execnz .LBB29_2381
; %bb.333:
	s_or_saveexec_b64 s[6:7], s[6:7]
	v_mov_b32_e32 v14, s10
	s_xor_b64 exec, exec, s[6:7]
	s_cbranch_execnz .LBB29_2384
.LBB29_334:
	s_or_b64 exec, exec, s[6:7]
	s_and_saveexec_b64 s[6:7], s[4:5]
	s_cbranch_execz .LBB29_336
.LBB29_335:
	v_bfe_u32 v14, v12, 8, 3
	v_ffbh_u32_e32 v20, v14
	v_min_u32_e32 v20, 32, v20
	v_lshrrev_b16_e32 v15, 3, v11
	v_subrev_u32_e32 v21, 28, v20
	v_and_b32_e32 v15, 15, v15
	v_lshlrev_b32_e32 v11, v21, v11
	v_sub_u32_e32 v20, 29, v20
	v_and_b32_e32 v11, 7, v11
	v_cmp_eq_u16_e32 vcc, 0, v15
	v_cndmask_b32_e32 v11, v14, v11, vcc
	v_cndmask_b32_e32 v14, v15, v20, vcc
	v_lshlrev_b32_e32 v15, 16, v12
	v_mov_b32_e32 v20, 0x3b800000
	v_lshlrev_b32_e32 v11, 20, v11
	v_and_b32_e32 v15, 0x80000000, v15
	v_lshl_add_u32 v14, v14, 23, v20
	v_or3_b32 v14, v15, v14, v11
.LBB29_336:
	s_or_b64 exec, exec, s[6:7]
	s_nop 0
	v_mfma_f32_16x16x4f32 a[0:3], v10, v14, a[0:3]
	s_movk_i32 s4, 0xff
	v_and_b32_sdwa v11, v16, s4 dst_sel:DWORD dst_unused:UNUSED_PAD src0_sel:WORD_1 src1_sel:DWORD
	s_movk_i32 s4, 0x7f
	v_cmp_lt_i16_e32 vcc, s4, v11
	s_mov_b64 s[4:5], 0
                                        ; implicit-def: $sgpr10
	s_and_saveexec_b64 s[6:7], vcc
	s_xor_b64 s[6:7], exec, s[6:7]
	s_cbranch_execnz .LBB29_2385
; %bb.337:
	s_or_saveexec_b64 s[6:7], s[6:7]
	v_mov_b32_e32 v10, s10
	s_xor_b64 exec, exec, s[6:7]
	s_cbranch_execnz .LBB29_2388
.LBB29_338:
	s_or_b64 exec, exec, s[6:7]
	s_and_saveexec_b64 s[6:7], s[4:5]
	s_cbranch_execz .LBB29_340
.LBB29_339:
	v_bfe_u32 v10, v16, 16, 3
	v_ffbh_u32_e32 v15, v10
	v_min_u32_e32 v15, 32, v15
	v_lshrrev_b32_e32 v11, 19, v16
	v_subrev_u32_e32 v20, 28, v15
	v_and_b32_e32 v11, 15, v11
	v_lshlrev_b32_sdwa v20, v20, v16 dst_sel:DWORD dst_unused:UNUSED_PAD src0_sel:DWORD src1_sel:WORD_1
	v_bfe_u32 v14, v16, 19, 4
	v_sub_u32_e32 v15, 29, v15
	v_and_b32_e32 v20, 7, v20
	v_cmp_eq_u16_e32 vcc, 0, v11
	v_cndmask_b32_e32 v10, v10, v20, vcc
	v_cndmask_b32_e32 v11, v14, v15, vcc
	v_lshlrev_b32_e32 v14, 8, v16
	v_mov_b32_e32 v15, 0x3b800000
	v_lshlrev_b32_e32 v10, 20, v10
	v_and_b32_e32 v14, 0x80000000, v14
	v_lshl_add_u32 v11, v11, 23, v15
	v_or3_b32 v10, v14, v11, v10
.LBB29_340:
	s_or_b64 exec, exec, s[6:7]
	s_movk_i32 s4, 0xff
	v_and_b32_sdwa v11, v12, s4 dst_sel:DWORD dst_unused:UNUSED_PAD src0_sel:WORD_1 src1_sel:DWORD
	s_movk_i32 s4, 0x7f
	v_cmp_lt_i16_e32 vcc, s4, v11
	s_mov_b64 s[4:5], 0
                                        ; implicit-def: $sgpr10
	s_and_saveexec_b64 s[6:7], vcc
	s_xor_b64 s[6:7], exec, s[6:7]
	s_cbranch_execnz .LBB29_2389
; %bb.341:
	s_or_saveexec_b64 s[6:7], s[6:7]
	v_mov_b32_e32 v14, s10
	s_xor_b64 exec, exec, s[6:7]
	s_cbranch_execnz .LBB29_2392
.LBB29_342:
	s_or_b64 exec, exec, s[6:7]
	s_and_saveexec_b64 s[6:7], s[4:5]
	s_cbranch_execz .LBB29_344
.LBB29_343:
	v_bfe_u32 v11, v12, 16, 3
	v_ffbh_u32_e32 v20, v11
	v_min_u32_e32 v20, 32, v20
	v_lshrrev_b32_e32 v14, 19, v12
	v_subrev_u32_e32 v21, 28, v20
	v_and_b32_e32 v14, 15, v14
	v_lshlrev_b32_sdwa v21, v21, v12 dst_sel:DWORD dst_unused:UNUSED_PAD src0_sel:DWORD src1_sel:WORD_1
	v_bfe_u32 v15, v12, 19, 4
	v_sub_u32_e32 v20, 29, v20
	v_and_b32_e32 v21, 7, v21
	v_cmp_eq_u16_e32 vcc, 0, v14
	v_cndmask_b32_e32 v11, v11, v21, vcc
	v_cndmask_b32_e32 v14, v15, v20, vcc
	v_lshlrev_b32_e32 v15, 8, v12
	v_mov_b32_e32 v20, 0x3b800000
	v_lshlrev_b32_e32 v11, 20, v11
	v_and_b32_e32 v15, 0x80000000, v15
	v_lshl_add_u32 v14, v14, 23, v20
	v_or3_b32 v14, v15, v14, v11
.LBB29_344:
	s_or_b64 exec, exec, s[6:7]
	s_nop 0
	v_mfma_f32_16x16x4f32 a[0:3], v10, v14, a[0:3]
	s_movk_i32 s4, 0x7f
	v_cmp_gt_i16_sdwa s[6:7], v16, s4 src0_sel:BYTE_3 src1_sel:DWORD
	s_mov_b64 s[4:5], 0
                                        ; implicit-def: $sgpr10
	s_and_saveexec_b64 s[8:9], s[6:7]
	s_xor_b64 s[6:7], exec, s[8:9]
	s_cbranch_execnz .LBB29_2393
; %bb.345:
	s_or_saveexec_b64 s[6:7], s[6:7]
	v_mov_b32_e32 v10, s10
	s_xor_b64 exec, exec, s[6:7]
	s_cbranch_execnz .LBB29_2396
.LBB29_346:
	s_or_b64 exec, exec, s[6:7]
	s_and_saveexec_b64 s[6:7], s[4:5]
	s_cbranch_execz .LBB29_348
.LBB29_347:
	v_bfe_u32 v10, v16, 24, 3
	v_ffbh_u32_e32 v20, v10
	v_min_u32_e32 v20, 32, v20
	v_lshrrev_b32_e32 v14, 27, v16
	v_subrev_u32_e32 v21, 28, v20
	v_and_b32_e32 v11, 0x80000000, v16
	v_and_b32_e32 v14, 15, v14
	v_bfe_u32 v15, v16, 27, 4
	v_lshlrev_b32_sdwa v16, v21, v16 dst_sel:DWORD dst_unused:UNUSED_PAD src0_sel:DWORD src1_sel:BYTE_3
	v_sub_u32_e32 v20, 29, v20
	v_and_b32_e32 v16, 7, v16
	v_cmp_eq_u16_e32 vcc, 0, v14
	v_cndmask_b32_e32 v10, v10, v16, vcc
	v_cndmask_b32_e32 v14, v15, v20, vcc
	v_mov_b32_e32 v15, 0x3b800000
	v_lshlrev_b32_e32 v10, 20, v10
	v_lshl_add_u32 v14, v14, 23, v15
	v_or3_b32 v10, v11, v14, v10
.LBB29_348:
	s_or_b64 exec, exec, s[6:7]
	s_movk_i32 s4, 0x7f
	v_cmp_gt_i16_sdwa s[6:7], v12, s4 src0_sel:BYTE_3 src1_sel:DWORD
	s_mov_b64 s[4:5], 0
                                        ; implicit-def: $sgpr10
	s_and_saveexec_b64 s[8:9], s[6:7]
	s_xor_b64 s[6:7], exec, s[8:9]
	s_cbranch_execnz .LBB29_2397
; %bb.349:
	s_or_saveexec_b64 s[6:7], s[6:7]
	v_mov_b32_e32 v11, s10
	s_xor_b64 exec, exec, s[6:7]
	s_cbranch_execnz .LBB29_2400
.LBB29_350:
	s_or_b64 exec, exec, s[6:7]
	s_and_saveexec_b64 s[6:7], s[4:5]
	s_cbranch_execz .LBB29_352
.LBB29_351:
	v_bfe_u32 v11, v12, 24, 3
	v_ffbh_u32_e32 v20, v11
	v_min_u32_e32 v20, 32, v20
	v_lshrrev_b32_e32 v15, 27, v12
	v_subrev_u32_e32 v21, 28, v20
	v_and_b32_e32 v14, 0x80000000, v12
	v_and_b32_e32 v15, 15, v15
	v_bfe_u32 v16, v12, 27, 4
	v_lshlrev_b32_sdwa v12, v21, v12 dst_sel:DWORD dst_unused:UNUSED_PAD src0_sel:DWORD src1_sel:BYTE_3
	v_sub_u32_e32 v20, 29, v20
	v_and_b32_e32 v12, 7, v12
	v_cmp_eq_u16_e32 vcc, 0, v15
	v_cndmask_b32_e32 v11, v11, v12, vcc
	v_cndmask_b32_e32 v12, v16, v20, vcc
	v_mov_b32_e32 v15, 0x3b800000
	v_lshlrev_b32_e32 v11, 20, v11
	v_lshl_add_u32 v12, v12, 23, v15
	v_or3_b32 v11, v14, v12, v11
.LBB29_352:
	s_or_b64 exec, exec, s[6:7]
	s_nop 0
	v_mfma_f32_16x16x4f32 a[0:3], v10, v11, a[0:3]
	s_movk_i32 s4, 0x7f
	v_cmp_gt_i16_sdwa s[6:7], v17, s4 src0_sel:BYTE_0 src1_sel:DWORD
	s_mov_b64 s[4:5], 0
                                        ; implicit-def: $sgpr10
	s_and_saveexec_b64 s[8:9], s[6:7]
	s_xor_b64 s[6:7], exec, s[8:9]
	s_cbranch_execnz .LBB29_2401
; %bb.353:
	s_or_saveexec_b64 s[6:7], s[6:7]
	v_mov_b32_e32 v10, s10
	s_xor_b64 exec, exec, s[6:7]
	s_cbranch_execnz .LBB29_2404
.LBB29_354:
	s_or_b64 exec, exec, s[6:7]
	s_and_saveexec_b64 s[6:7], s[4:5]
	s_cbranch_execz .LBB29_356
.LBB29_355:
	v_and_b32_e32 v10, 7, v17
	v_ffbh_u32_e32 v12, v10
	v_min_u32_e32 v12, 32, v12
	v_lshrrev_b16_e32 v11, 3, v17
	v_subrev_u32_e32 v14, 28, v12
	v_and_b32_e32 v11, 15, v11
	v_lshlrev_b32_e32 v14, v14, v17
	v_sub_u32_e32 v12, 29, v12
	v_and_b32_e32 v14, 7, v14
	v_cmp_eq_u16_e32 vcc, 0, v11
	v_cndmask_b32_e32 v10, v10, v14, vcc
	v_cndmask_b32_e32 v11, v11, v12, vcc
	v_lshlrev_b32_e32 v12, 24, v17
	v_mov_b32_e32 v14, 0x3b800000
	v_lshlrev_b32_e32 v10, 20, v10
	v_and_b32_e32 v12, 0x80000000, v12
	v_lshl_add_u32 v11, v11, 23, v14
	v_or3_b32 v10, v12, v11, v10
.LBB29_356:
	s_or_b64 exec, exec, s[6:7]
	s_movk_i32 s4, 0x7f
	v_cmp_gt_i16_sdwa s[6:7], v13, s4 src0_sel:BYTE_0 src1_sel:DWORD
	s_mov_b64 s[4:5], 0
                                        ; implicit-def: $sgpr10
	s_and_saveexec_b64 s[8:9], s[6:7]
	s_xor_b64 s[6:7], exec, s[8:9]
	s_cbranch_execnz .LBB29_2405
; %bb.357:
	s_or_saveexec_b64 s[6:7], s[6:7]
	v_mov_b32_e32 v11, s10
	s_xor_b64 exec, exec, s[6:7]
	s_cbranch_execnz .LBB29_2408
.LBB29_358:
	s_or_b64 exec, exec, s[6:7]
	s_and_saveexec_b64 s[6:7], s[4:5]
	s_cbranch_execz .LBB29_360
.LBB29_359:
	v_and_b32_e32 v11, 7, v13
	v_ffbh_u32_e32 v14, v11
	v_min_u32_e32 v14, 32, v14
	v_lshrrev_b16_e32 v12, 3, v13
	v_subrev_u32_e32 v15, 28, v14
	v_and_b32_e32 v12, 15, v12
	v_lshlrev_b32_e32 v15, v15, v13
	v_sub_u32_e32 v14, 29, v14
	v_and_b32_e32 v15, 7, v15
	v_cmp_eq_u16_e32 vcc, 0, v12
	v_cndmask_b32_e32 v11, v11, v15, vcc
	v_cndmask_b32_e32 v12, v12, v14, vcc
	v_lshlrev_b32_e32 v14, 24, v13
	v_mov_b32_e32 v15, 0x3b800000
	v_lshlrev_b32_e32 v11, 20, v11
	v_and_b32_e32 v14, 0x80000000, v14
	v_lshl_add_u32 v12, v12, 23, v15
	v_or3_b32 v11, v14, v12, v11
.LBB29_360:
	s_or_b64 exec, exec, s[6:7]
	s_nop 0
	v_mfma_f32_16x16x4f32 a[0:3], v10, v11, a[0:3]
	v_lshrrev_b32_e32 v11, 8, v17
	s_movk_i32 s4, 0x7f
	v_cmp_gt_i16_sdwa s[6:7], v11, s4 src0_sel:BYTE_0 src1_sel:DWORD
	s_mov_b64 s[4:5], 0
                                        ; implicit-def: $sgpr10
	s_and_saveexec_b64 s[8:9], s[6:7]
	s_xor_b64 s[6:7], exec, s[8:9]
	s_cbranch_execnz .LBB29_2409
; %bb.361:
	s_or_saveexec_b64 s[6:7], s[6:7]
	v_mov_b32_e32 v10, s10
	s_xor_b64 exec, exec, s[6:7]
	s_cbranch_execnz .LBB29_2412
.LBB29_362:
	s_or_b64 exec, exec, s[6:7]
	s_and_saveexec_b64 s[6:7], s[4:5]
	s_cbranch_execz .LBB29_364
.LBB29_363:
	v_bfe_u32 v10, v17, 8, 3
	v_ffbh_u32_e32 v14, v10
	v_min_u32_e32 v14, 32, v14
	v_lshrrev_b16_e32 v12, 3, v11
	v_subrev_u32_e32 v15, 28, v14
	v_and_b32_e32 v12, 15, v12
	v_lshlrev_b32_e32 v11, v15, v11
	v_sub_u32_e32 v14, 29, v14
	v_and_b32_e32 v11, 7, v11
	v_cmp_eq_u16_e32 vcc, 0, v12
	v_cndmask_b32_e32 v10, v10, v11, vcc
	v_cndmask_b32_e32 v11, v12, v14, vcc
	v_lshlrev_b32_e32 v12, 16, v17
	v_mov_b32_e32 v14, 0x3b800000
	v_lshlrev_b32_e32 v10, 20, v10
	v_and_b32_e32 v12, 0x80000000, v12
	v_lshl_add_u32 v11, v11, 23, v14
	v_or3_b32 v10, v12, v11, v10
.LBB29_364:
	s_or_b64 exec, exec, s[6:7]
	v_lshrrev_b32_e32 v11, 8, v13
	s_movk_i32 s4, 0x7f
	v_cmp_gt_i16_sdwa s[6:7], v11, s4 src0_sel:BYTE_0 src1_sel:DWORD
	s_mov_b64 s[4:5], 0
                                        ; implicit-def: $sgpr10
	s_and_saveexec_b64 s[8:9], s[6:7]
	s_xor_b64 s[6:7], exec, s[8:9]
	s_cbranch_execnz .LBB29_2413
; %bb.365:
	s_or_saveexec_b64 s[6:7], s[6:7]
	v_mov_b32_e32 v12, s10
	s_xor_b64 exec, exec, s[6:7]
	s_cbranch_execnz .LBB29_2416
.LBB29_366:
	s_or_b64 exec, exec, s[6:7]
	s_and_saveexec_b64 s[6:7], s[4:5]
	s_cbranch_execz .LBB29_368
.LBB29_367:
	v_bfe_u32 v12, v13, 8, 3
	v_ffbh_u32_e32 v15, v12
	v_min_u32_e32 v15, 32, v15
	v_lshrrev_b16_e32 v14, 3, v11
	v_subrev_u32_e32 v16, 28, v15
	v_and_b32_e32 v14, 15, v14
	v_lshlrev_b32_e32 v11, v16, v11
	v_sub_u32_e32 v15, 29, v15
	v_and_b32_e32 v11, 7, v11
	v_cmp_eq_u16_e32 vcc, 0, v14
	v_cndmask_b32_e32 v11, v12, v11, vcc
	v_cndmask_b32_e32 v12, v14, v15, vcc
	v_lshlrev_b32_e32 v14, 16, v13
	v_mov_b32_e32 v15, 0x3b800000
	v_lshlrev_b32_e32 v11, 20, v11
	v_and_b32_e32 v14, 0x80000000, v14
	v_lshl_add_u32 v12, v12, 23, v15
	v_or3_b32 v12, v14, v12, v11
.LBB29_368:
	s_or_b64 exec, exec, s[6:7]
	s_nop 0
	v_mfma_f32_16x16x4f32 a[0:3], v10, v12, a[0:3]
	s_movk_i32 s4, 0xff
	v_and_b32_sdwa v11, v17, s4 dst_sel:DWORD dst_unused:UNUSED_PAD src0_sel:WORD_1 src1_sel:DWORD
	s_movk_i32 s4, 0x7f
	v_cmp_lt_i16_e32 vcc, s4, v11
	s_mov_b64 s[4:5], 0
                                        ; implicit-def: $sgpr10
	s_and_saveexec_b64 s[6:7], vcc
	s_xor_b64 s[6:7], exec, s[6:7]
	s_cbranch_execnz .LBB29_2417
; %bb.369:
	s_or_saveexec_b64 s[6:7], s[6:7]
	v_mov_b32_e32 v10, s10
	s_xor_b64 exec, exec, s[6:7]
	s_cbranch_execnz .LBB29_2420
.LBB29_370:
	s_or_b64 exec, exec, s[6:7]
	s_and_saveexec_b64 s[6:7], s[4:5]
	s_cbranch_execz .LBB29_372
.LBB29_371:
	v_bfe_u32 v10, v17, 16, 3
	v_ffbh_u32_e32 v14, v10
	v_min_u32_e32 v14, 32, v14
	v_lshrrev_b32_e32 v11, 19, v17
	v_subrev_u32_e32 v15, 28, v14
	v_and_b32_e32 v11, 15, v11
	v_lshlrev_b32_sdwa v15, v15, v17 dst_sel:DWORD dst_unused:UNUSED_PAD src0_sel:DWORD src1_sel:WORD_1
	v_bfe_u32 v12, v17, 19, 4
	v_sub_u32_e32 v14, 29, v14
	v_and_b32_e32 v15, 7, v15
	v_cmp_eq_u16_e32 vcc, 0, v11
	v_cndmask_b32_e32 v10, v10, v15, vcc
	v_cndmask_b32_e32 v11, v12, v14, vcc
	v_lshlrev_b32_e32 v12, 8, v17
	v_mov_b32_e32 v14, 0x3b800000
	v_lshlrev_b32_e32 v10, 20, v10
	v_and_b32_e32 v12, 0x80000000, v12
	v_lshl_add_u32 v11, v11, 23, v14
	v_or3_b32 v10, v12, v11, v10
.LBB29_372:
	s_or_b64 exec, exec, s[6:7]
	s_movk_i32 s4, 0xff
	v_and_b32_sdwa v11, v13, s4 dst_sel:DWORD dst_unused:UNUSED_PAD src0_sel:WORD_1 src1_sel:DWORD
	s_movk_i32 s4, 0x7f
	v_cmp_lt_i16_e32 vcc, s4, v11
	s_mov_b64 s[4:5], 0
                                        ; implicit-def: $sgpr10
	s_and_saveexec_b64 s[6:7], vcc
	s_xor_b64 s[6:7], exec, s[6:7]
	s_cbranch_execnz .LBB29_2421
; %bb.373:
	s_or_saveexec_b64 s[6:7], s[6:7]
	v_mov_b32_e32 v12, s10
	s_xor_b64 exec, exec, s[6:7]
	s_cbranch_execnz .LBB29_2424
.LBB29_374:
	s_or_b64 exec, exec, s[6:7]
	s_and_saveexec_b64 s[6:7], s[4:5]
	s_cbranch_execz .LBB29_376
.LBB29_375:
	v_bfe_u32 v11, v13, 16, 3
	v_ffbh_u32_e32 v15, v11
	v_min_u32_e32 v15, 32, v15
	v_lshrrev_b32_e32 v12, 19, v13
	v_subrev_u32_e32 v16, 28, v15
	v_and_b32_e32 v12, 15, v12
	v_lshlrev_b32_sdwa v16, v16, v13 dst_sel:DWORD dst_unused:UNUSED_PAD src0_sel:DWORD src1_sel:WORD_1
	v_bfe_u32 v14, v13, 19, 4
	v_sub_u32_e32 v15, 29, v15
	v_and_b32_e32 v16, 7, v16
	v_cmp_eq_u16_e32 vcc, 0, v12
	v_cndmask_b32_e32 v11, v11, v16, vcc
	v_cndmask_b32_e32 v12, v14, v15, vcc
	v_lshlrev_b32_e32 v14, 8, v13
	v_mov_b32_e32 v15, 0x3b800000
	v_lshlrev_b32_e32 v11, 20, v11
	v_and_b32_e32 v14, 0x80000000, v14
	v_lshl_add_u32 v12, v12, 23, v15
	v_or3_b32 v12, v14, v12, v11
.LBB29_376:
	s_or_b64 exec, exec, s[6:7]
	s_nop 0
	v_mfma_f32_16x16x4f32 a[0:3], v10, v12, a[0:3]
	s_movk_i32 s4, 0x7f
	v_cmp_gt_i16_sdwa s[6:7], v17, s4 src0_sel:BYTE_3 src1_sel:DWORD
	s_mov_b64 s[4:5], 0
                                        ; implicit-def: $sgpr10
	s_and_saveexec_b64 s[8:9], s[6:7]
	s_xor_b64 s[6:7], exec, s[8:9]
	s_cbranch_execnz .LBB29_2425
; %bb.377:
	s_or_saveexec_b64 s[6:7], s[6:7]
	v_mov_b32_e32 v10, s10
	s_xor_b64 exec, exec, s[6:7]
	s_cbranch_execnz .LBB29_2428
.LBB29_378:
	s_or_b64 exec, exec, s[6:7]
	s_and_saveexec_b64 s[6:7], s[4:5]
	s_cbranch_execz .LBB29_380
.LBB29_379:
	v_bfe_u32 v10, v17, 24, 3
	v_ffbh_u32_e32 v15, v10
	v_min_u32_e32 v15, 32, v15
	v_lshrrev_b32_e32 v12, 27, v17
	v_subrev_u32_e32 v16, 28, v15
	v_and_b32_e32 v12, 15, v12
	v_lshlrev_b32_sdwa v16, v16, v17 dst_sel:DWORD dst_unused:UNUSED_PAD src0_sel:DWORD src1_sel:BYTE_3
	v_bfe_u32 v14, v17, 27, 4
	v_sub_u32_e32 v15, 29, v15
	v_and_b32_e32 v16, 7, v16
	v_cmp_eq_u16_e32 vcc, 0, v12
	v_cndmask_b32_e32 v10, v10, v16, vcc
	v_cndmask_b32_e32 v12, v14, v15, vcc
	v_mov_b32_e32 v14, 0x3b800000
	v_and_b32_e32 v11, 0x80000000, v17
	v_lshlrev_b32_e32 v10, 20, v10
	v_lshl_add_u32 v12, v12, 23, v14
	v_or3_b32 v10, v11, v12, v10
.LBB29_380:
	s_or_b64 exec, exec, s[6:7]
	s_movk_i32 s4, 0x7f
	v_cmp_gt_i16_sdwa s[6:7], v13, s4 src0_sel:BYTE_3 src1_sel:DWORD
	s_mov_b64 s[4:5], 0
                                        ; implicit-def: $sgpr10
	s_and_saveexec_b64 s[8:9], s[6:7]
	s_xor_b64 s[6:7], exec, s[8:9]
	s_cbranch_execnz .LBB29_2429
; %bb.381:
	s_or_saveexec_b64 s[6:7], s[6:7]
	v_mov_b32_e32 v11, s10
	s_xor_b64 exec, exec, s[6:7]
	s_cbranch_execnz .LBB29_2432
.LBB29_382:
	s_or_b64 exec, exec, s[6:7]
	s_and_saveexec_b64 s[6:7], s[4:5]
	s_cbranch_execz .LBB29_384
.LBB29_383:
	v_bfe_u32 v11, v13, 24, 3
	v_ffbh_u32_e32 v16, v11
	v_min_u32_e32 v16, 32, v16
	v_lshrrev_b32_e32 v14, 27, v13
	v_subrev_u32_e32 v17, 28, v16
	v_and_b32_e32 v12, 0x80000000, v13
	v_and_b32_e32 v14, 15, v14
	v_bfe_u32 v15, v13, 27, 4
	v_lshlrev_b32_sdwa v13, v17, v13 dst_sel:DWORD dst_unused:UNUSED_PAD src0_sel:DWORD src1_sel:BYTE_3
	v_sub_u32_e32 v16, 29, v16
	v_and_b32_e32 v13, 7, v13
	v_cmp_eq_u16_e32 vcc, 0, v14
	v_cndmask_b32_e32 v11, v11, v13, vcc
	v_cndmask_b32_e32 v13, v15, v16, vcc
	v_mov_b32_e32 v14, 0x3b800000
	v_lshlrev_b32_e32 v11, 20, v11
	v_lshl_add_u32 v13, v13, 23, v14
	v_or3_b32 v11, v12, v13, v11
.LBB29_384:
	s_or_b64 exec, exec, s[6:7]
	s_nop 0
	v_mfma_f32_16x16x4f32 a[0:3], v10, v11, a[0:3]
	s_movk_i32 s4, 0x7f
	v_cmp_gt_i16_sdwa s[6:7], v6, s4 src0_sel:BYTE_0 src1_sel:DWORD
	s_mov_b64 s[4:5], 0
                                        ; implicit-def: $sgpr10
	s_and_saveexec_b64 s[8:9], s[6:7]
	s_xor_b64 s[6:7], exec, s[8:9]
	s_cbranch_execnz .LBB29_2433
; %bb.385:
	s_or_saveexec_b64 s[6:7], s[6:7]
	v_mov_b32_e32 v10, s10
	s_xor_b64 exec, exec, s[6:7]
	s_cbranch_execnz .LBB29_2436
.LBB29_386:
	s_or_b64 exec, exec, s[6:7]
	s_and_saveexec_b64 s[6:7], s[4:5]
	s_cbranch_execz .LBB29_388
.LBB29_387:
	v_and_b32_e32 v10, 7, v6
	v_ffbh_u32_e32 v12, v10
	v_min_u32_e32 v12, 32, v12
	v_lshrrev_b16_e32 v11, 3, v6
	v_subrev_u32_e32 v13, 28, v12
	v_and_b32_e32 v11, 15, v11
	v_lshlrev_b32_e32 v13, v13, v6
	v_sub_u32_e32 v12, 29, v12
	v_and_b32_e32 v13, 7, v13
	v_cmp_eq_u16_e32 vcc, 0, v11
	v_cndmask_b32_e32 v10, v10, v13, vcc
	v_cndmask_b32_e32 v11, v11, v12, vcc
	v_lshlrev_b32_e32 v12, 24, v6
	v_mov_b32_e32 v13, 0x3b800000
	v_lshlrev_b32_e32 v10, 20, v10
	v_and_b32_e32 v12, 0x80000000, v12
	v_lshl_add_u32 v11, v11, 23, v13
	v_or3_b32 v10, v12, v11, v10
.LBB29_388:
	s_or_b64 exec, exec, s[6:7]
	s_movk_i32 s4, 0x7f
	v_cmp_gt_i16_sdwa s[6:7], v2, s4 src0_sel:BYTE_0 src1_sel:DWORD
	s_mov_b64 s[4:5], 0
                                        ; implicit-def: $sgpr10
	s_and_saveexec_b64 s[8:9], s[6:7]
	s_xor_b64 s[6:7], exec, s[8:9]
	s_cbranch_execnz .LBB29_2437
; %bb.389:
	s_or_saveexec_b64 s[6:7], s[6:7]
	v_mov_b32_e32 v11, s10
	s_xor_b64 exec, exec, s[6:7]
	s_cbranch_execnz .LBB29_2440
.LBB29_390:
	s_or_b64 exec, exec, s[6:7]
	s_and_saveexec_b64 s[6:7], s[4:5]
	s_cbranch_execz .LBB29_392
.LBB29_391:
	v_and_b32_e32 v11, 7, v2
	v_ffbh_u32_e32 v13, v11
	v_min_u32_e32 v13, 32, v13
	v_lshrrev_b16_e32 v12, 3, v2
	v_subrev_u32_e32 v14, 28, v13
	v_and_b32_e32 v12, 15, v12
	v_lshlrev_b32_e32 v14, v14, v2
	v_sub_u32_e32 v13, 29, v13
	v_and_b32_e32 v14, 7, v14
	v_cmp_eq_u16_e32 vcc, 0, v12
	v_cndmask_b32_e32 v11, v11, v14, vcc
	v_cndmask_b32_e32 v12, v12, v13, vcc
	v_lshlrev_b32_e32 v13, 24, v2
	v_mov_b32_e32 v14, 0x3b800000
	v_lshlrev_b32_e32 v11, 20, v11
	v_and_b32_e32 v13, 0x80000000, v13
	v_lshl_add_u32 v12, v12, 23, v14
	v_or3_b32 v11, v13, v12, v11
.LBB29_392:
	s_or_b64 exec, exec, s[6:7]
	s_nop 0
	v_mfma_f32_16x16x4f32 a[0:3], v10, v11, a[0:3]
	v_lshrrev_b32_e32 v11, 8, v6
	s_movk_i32 s4, 0x7f
	v_cmp_gt_i16_sdwa s[6:7], v11, s4 src0_sel:BYTE_0 src1_sel:DWORD
	s_mov_b64 s[4:5], 0
                                        ; implicit-def: $sgpr10
	s_and_saveexec_b64 s[8:9], s[6:7]
	s_xor_b64 s[6:7], exec, s[8:9]
	s_cbranch_execnz .LBB29_2441
; %bb.393:
	s_or_saveexec_b64 s[6:7], s[6:7]
	v_mov_b32_e32 v10, s10
	s_xor_b64 exec, exec, s[6:7]
	s_cbranch_execnz .LBB29_2444
.LBB29_394:
	s_or_b64 exec, exec, s[6:7]
	s_and_saveexec_b64 s[6:7], s[4:5]
	s_cbranch_execz .LBB29_396
.LBB29_395:
	v_bfe_u32 v10, v6, 8, 3
	v_ffbh_u32_e32 v13, v10
	v_min_u32_e32 v13, 32, v13
	v_lshrrev_b16_e32 v12, 3, v11
	v_subrev_u32_e32 v14, 28, v13
	v_and_b32_e32 v12, 15, v12
	v_lshlrev_b32_e32 v11, v14, v11
	v_sub_u32_e32 v13, 29, v13
	v_and_b32_e32 v11, 7, v11
	v_cmp_eq_u16_e32 vcc, 0, v12
	v_cndmask_b32_e32 v10, v10, v11, vcc
	v_cndmask_b32_e32 v11, v12, v13, vcc
	v_lshlrev_b32_e32 v12, 16, v6
	v_mov_b32_e32 v13, 0x3b800000
	v_lshlrev_b32_e32 v10, 20, v10
	v_and_b32_e32 v12, 0x80000000, v12
	v_lshl_add_u32 v11, v11, 23, v13
	v_or3_b32 v10, v12, v11, v10
.LBB29_396:
	s_or_b64 exec, exec, s[6:7]
	v_lshrrev_b32_e32 v11, 8, v2
	s_movk_i32 s4, 0x7f
	v_cmp_gt_i16_sdwa s[6:7], v11, s4 src0_sel:BYTE_0 src1_sel:DWORD
	s_mov_b64 s[4:5], 0
                                        ; implicit-def: $sgpr10
	s_and_saveexec_b64 s[8:9], s[6:7]
	s_xor_b64 s[6:7], exec, s[8:9]
	s_cbranch_execnz .LBB29_2445
; %bb.397:
	s_or_saveexec_b64 s[6:7], s[6:7]
	v_mov_b32_e32 v12, s10
	s_xor_b64 exec, exec, s[6:7]
	s_cbranch_execnz .LBB29_2448
.LBB29_398:
	s_or_b64 exec, exec, s[6:7]
	s_and_saveexec_b64 s[6:7], s[4:5]
	s_cbranch_execz .LBB29_400
.LBB29_399:
	v_bfe_u32 v12, v2, 8, 3
	v_ffbh_u32_e32 v14, v12
	v_min_u32_e32 v14, 32, v14
	v_lshrrev_b16_e32 v13, 3, v11
	v_subrev_u32_e32 v15, 28, v14
	v_and_b32_e32 v13, 15, v13
	v_lshlrev_b32_e32 v11, v15, v11
	v_sub_u32_e32 v14, 29, v14
	v_and_b32_e32 v11, 7, v11
	v_cmp_eq_u16_e32 vcc, 0, v13
	v_cndmask_b32_e32 v11, v12, v11, vcc
	v_cndmask_b32_e32 v12, v13, v14, vcc
	v_lshlrev_b32_e32 v13, 16, v2
	v_mov_b32_e32 v14, 0x3b800000
	v_lshlrev_b32_e32 v11, 20, v11
	v_and_b32_e32 v13, 0x80000000, v13
	v_lshl_add_u32 v12, v12, 23, v14
	v_or3_b32 v12, v13, v12, v11
.LBB29_400:
	s_or_b64 exec, exec, s[6:7]
	s_nop 0
	v_mfma_f32_16x16x4f32 a[0:3], v10, v12, a[0:3]
	s_movk_i32 s4, 0xff
	v_and_b32_sdwa v11, v6, s4 dst_sel:DWORD dst_unused:UNUSED_PAD src0_sel:WORD_1 src1_sel:DWORD
	s_movk_i32 s4, 0x7f
	v_cmp_lt_i16_e32 vcc, s4, v11
	s_mov_b64 s[4:5], 0
                                        ; implicit-def: $sgpr10
	s_and_saveexec_b64 s[6:7], vcc
	s_xor_b64 s[6:7], exec, s[6:7]
	s_cbranch_execnz .LBB29_2449
; %bb.401:
	s_or_saveexec_b64 s[6:7], s[6:7]
	v_mov_b32_e32 v10, s10
	s_xor_b64 exec, exec, s[6:7]
	s_cbranch_execnz .LBB29_2452
.LBB29_402:
	s_or_b64 exec, exec, s[6:7]
	s_and_saveexec_b64 s[6:7], s[4:5]
	s_cbranch_execz .LBB29_404
.LBB29_403:
	v_bfe_u32 v10, v6, 16, 3
	v_ffbh_u32_e32 v13, v10
	v_min_u32_e32 v13, 32, v13
	v_lshrrev_b32_e32 v11, 19, v6
	v_subrev_u32_e32 v14, 28, v13
	v_and_b32_e32 v11, 15, v11
	v_lshlrev_b32_sdwa v14, v14, v6 dst_sel:DWORD dst_unused:UNUSED_PAD src0_sel:DWORD src1_sel:WORD_1
	v_bfe_u32 v12, v6, 19, 4
	v_sub_u32_e32 v13, 29, v13
	v_and_b32_e32 v14, 7, v14
	v_cmp_eq_u16_e32 vcc, 0, v11
	v_cndmask_b32_e32 v10, v10, v14, vcc
	v_cndmask_b32_e32 v11, v12, v13, vcc
	v_lshlrev_b32_e32 v12, 8, v6
	v_mov_b32_e32 v13, 0x3b800000
	v_lshlrev_b32_e32 v10, 20, v10
	v_and_b32_e32 v12, 0x80000000, v12
	v_lshl_add_u32 v11, v11, 23, v13
	v_or3_b32 v10, v12, v11, v10
.LBB29_404:
	s_or_b64 exec, exec, s[6:7]
	s_movk_i32 s4, 0xff
	v_and_b32_sdwa v11, v2, s4 dst_sel:DWORD dst_unused:UNUSED_PAD src0_sel:WORD_1 src1_sel:DWORD
	s_movk_i32 s4, 0x7f
	v_cmp_lt_i16_e32 vcc, s4, v11
	s_mov_b64 s[4:5], 0
                                        ; implicit-def: $sgpr10
	s_and_saveexec_b64 s[6:7], vcc
	s_xor_b64 s[6:7], exec, s[6:7]
	s_cbranch_execnz .LBB29_2453
; %bb.405:
	s_or_saveexec_b64 s[6:7], s[6:7]
	v_mov_b32_e32 v12, s10
	s_xor_b64 exec, exec, s[6:7]
	s_cbranch_execnz .LBB29_2456
.LBB29_406:
	s_or_b64 exec, exec, s[6:7]
	s_and_saveexec_b64 s[6:7], s[4:5]
	s_cbranch_execz .LBB29_408
.LBB29_407:
	v_bfe_u32 v11, v2, 16, 3
	v_ffbh_u32_e32 v14, v11
	v_min_u32_e32 v14, 32, v14
	v_lshrrev_b32_e32 v12, 19, v2
	v_subrev_u32_e32 v15, 28, v14
	v_and_b32_e32 v12, 15, v12
	v_lshlrev_b32_sdwa v15, v15, v2 dst_sel:DWORD dst_unused:UNUSED_PAD src0_sel:DWORD src1_sel:WORD_1
	v_bfe_u32 v13, v2, 19, 4
	v_sub_u32_e32 v14, 29, v14
	v_and_b32_e32 v15, 7, v15
	v_cmp_eq_u16_e32 vcc, 0, v12
	v_cndmask_b32_e32 v11, v11, v15, vcc
	v_cndmask_b32_e32 v12, v13, v14, vcc
	v_lshlrev_b32_e32 v13, 8, v2
	v_mov_b32_e32 v14, 0x3b800000
	v_lshlrev_b32_e32 v11, 20, v11
	v_and_b32_e32 v13, 0x80000000, v13
	v_lshl_add_u32 v12, v12, 23, v14
	v_or3_b32 v12, v13, v12, v11
.LBB29_408:
	s_or_b64 exec, exec, s[6:7]
	s_nop 0
	v_mfma_f32_16x16x4f32 a[0:3], v10, v12, a[0:3]
	s_movk_i32 s4, 0x7f
	v_cmp_gt_i16_sdwa s[6:7], v6, s4 src0_sel:BYTE_3 src1_sel:DWORD
	s_mov_b64 s[4:5], 0
                                        ; implicit-def: $sgpr10
	s_and_saveexec_b64 s[8:9], s[6:7]
	s_xor_b64 s[6:7], exec, s[8:9]
	s_cbranch_execnz .LBB29_2457
; %bb.409:
	s_or_saveexec_b64 s[6:7], s[6:7]
	v_mov_b32_e32 v10, s10
	s_xor_b64 exec, exec, s[6:7]
	s_cbranch_execnz .LBB29_2460
.LBB29_410:
	s_or_b64 exec, exec, s[6:7]
	s_and_saveexec_b64 s[6:7], s[4:5]
	s_cbranch_execz .LBB29_412
.LBB29_411:
	v_bfe_u32 v10, v6, 24, 3
	v_ffbh_u32_e32 v14, v10
	v_min_u32_e32 v14, 32, v14
	v_lshrrev_b32_e32 v12, 27, v6
	v_subrev_u32_e32 v15, 28, v14
	v_and_b32_e32 v11, 0x80000000, v6
	v_and_b32_e32 v12, 15, v12
	v_bfe_u32 v13, v6, 27, 4
	v_lshlrev_b32_sdwa v6, v15, v6 dst_sel:DWORD dst_unused:UNUSED_PAD src0_sel:DWORD src1_sel:BYTE_3
	v_sub_u32_e32 v14, 29, v14
	v_and_b32_e32 v6, 7, v6
	v_cmp_eq_u16_e32 vcc, 0, v12
	v_cndmask_b32_e32 v6, v10, v6, vcc
	v_cndmask_b32_e32 v10, v13, v14, vcc
	v_mov_b32_e32 v12, 0x3b800000
	v_lshlrev_b32_e32 v6, 20, v6
	v_lshl_add_u32 v10, v10, 23, v12
	v_or3_b32 v10, v11, v10, v6
.LBB29_412:
	s_or_b64 exec, exec, s[6:7]
	s_movk_i32 s4, 0x7f
	v_cmp_gt_i16_sdwa s[6:7], v2, s4 src0_sel:BYTE_3 src1_sel:DWORD
	s_mov_b64 s[4:5], 0
                                        ; implicit-def: $sgpr10
	s_and_saveexec_b64 s[8:9], s[6:7]
	s_xor_b64 s[6:7], exec, s[8:9]
	s_cbranch_execnz .LBB29_2461
; %bb.413:
	s_or_saveexec_b64 s[6:7], s[6:7]
	v_mov_b32_e32 v6, s10
	s_xor_b64 exec, exec, s[6:7]
	s_cbranch_execnz .LBB29_2464
.LBB29_414:
	s_or_b64 exec, exec, s[6:7]
	s_and_saveexec_b64 s[6:7], s[4:5]
	s_cbranch_execz .LBB29_416
.LBB29_415:
	v_bfe_u32 v6, v2, 24, 3
	v_ffbh_u32_e32 v14, v6
	v_min_u32_e32 v14, 32, v14
	v_lshrrev_b32_e32 v12, 27, v2
	v_subrev_u32_e32 v15, 28, v14
	v_and_b32_e32 v11, 0x80000000, v2
	v_and_b32_e32 v12, 15, v12
	v_bfe_u32 v13, v2, 27, 4
	v_lshlrev_b32_sdwa v2, v15, v2 dst_sel:DWORD dst_unused:UNUSED_PAD src0_sel:DWORD src1_sel:BYTE_3
	v_sub_u32_e32 v14, 29, v14
	v_and_b32_e32 v2, 7, v2
	v_cmp_eq_u16_e32 vcc, 0, v12
	v_cndmask_b32_e32 v2, v6, v2, vcc
	v_cndmask_b32_e32 v6, v13, v14, vcc
	v_mov_b32_e32 v12, 0x3b800000
	v_lshlrev_b32_e32 v2, 20, v2
	v_lshl_add_u32 v6, v6, 23, v12
	v_or3_b32 v6, v11, v6, v2
.LBB29_416:
	s_or_b64 exec, exec, s[6:7]
	s_nop 0
	v_mfma_f32_16x16x4f32 a[0:3], v10, v6, a[0:3]
	s_movk_i32 s4, 0x7f
	v_cmp_gt_i16_sdwa s[6:7], v7, s4 src0_sel:BYTE_0 src1_sel:DWORD
	s_mov_b64 s[4:5], 0
                                        ; implicit-def: $sgpr10
	s_and_saveexec_b64 s[8:9], s[6:7]
	s_xor_b64 s[6:7], exec, s[8:9]
	s_cbranch_execnz .LBB29_2465
; %bb.417:
	s_or_saveexec_b64 s[6:7], s[6:7]
	v_mov_b32_e32 v2, s10
	s_xor_b64 exec, exec, s[6:7]
	s_cbranch_execnz .LBB29_2468
.LBB29_418:
	s_or_b64 exec, exec, s[6:7]
	s_and_saveexec_b64 s[6:7], s[4:5]
	s_cbranch_execz .LBB29_420
.LBB29_419:
	v_and_b32_e32 v2, 7, v7
	v_ffbh_u32_e32 v10, v2
	v_min_u32_e32 v10, 32, v10
	v_lshrrev_b16_e32 v6, 3, v7
	v_subrev_u32_e32 v11, 28, v10
	v_and_b32_e32 v6, 15, v6
	v_lshlrev_b32_e32 v11, v11, v7
	v_sub_u32_e32 v10, 29, v10
	v_and_b32_e32 v11, 7, v11
	v_cmp_eq_u16_e32 vcc, 0, v6
	v_cndmask_b32_e32 v2, v2, v11, vcc
	v_cndmask_b32_e32 v6, v6, v10, vcc
	v_lshlrev_b32_e32 v10, 24, v7
	v_mov_b32_e32 v11, 0x3b800000
	v_lshlrev_b32_e32 v2, 20, v2
	v_and_b32_e32 v10, 0x80000000, v10
	v_lshl_add_u32 v6, v6, 23, v11
	v_or3_b32 v2, v10, v6, v2
.LBB29_420:
	s_or_b64 exec, exec, s[6:7]
	s_movk_i32 s4, 0x7f
	v_cmp_gt_i16_sdwa s[6:7], v3, s4 src0_sel:BYTE_0 src1_sel:DWORD
	s_mov_b64 s[4:5], 0
                                        ; implicit-def: $sgpr10
	s_and_saveexec_b64 s[8:9], s[6:7]
	s_xor_b64 s[6:7], exec, s[8:9]
	s_cbranch_execnz .LBB29_2469
; %bb.421:
	s_or_saveexec_b64 s[6:7], s[6:7]
	v_mov_b32_e32 v6, s10
	s_xor_b64 exec, exec, s[6:7]
	s_cbranch_execnz .LBB29_2472
.LBB29_422:
	s_or_b64 exec, exec, s[6:7]
	s_and_saveexec_b64 s[6:7], s[4:5]
	s_cbranch_execz .LBB29_424
.LBB29_423:
	v_and_b32_e32 v6, 7, v3
	v_ffbh_u32_e32 v11, v6
	v_min_u32_e32 v11, 32, v11
	v_lshrrev_b16_e32 v10, 3, v3
	v_subrev_u32_e32 v12, 28, v11
	v_and_b32_e32 v10, 15, v10
	v_lshlrev_b32_e32 v12, v12, v3
	v_sub_u32_e32 v11, 29, v11
	v_and_b32_e32 v12, 7, v12
	v_cmp_eq_u16_e32 vcc, 0, v10
	v_cndmask_b32_e32 v6, v6, v12, vcc
	v_cndmask_b32_e32 v10, v10, v11, vcc
	v_lshlrev_b32_e32 v11, 24, v3
	v_mov_b32_e32 v12, 0x3b800000
	v_lshlrev_b32_e32 v6, 20, v6
	v_and_b32_e32 v11, 0x80000000, v11
	v_lshl_add_u32 v10, v10, 23, v12
	v_or3_b32 v6, v11, v10, v6
.LBB29_424:
	s_or_b64 exec, exec, s[6:7]
	s_nop 0
	v_mfma_f32_16x16x4f32 a[0:3], v2, v6, a[0:3]
	v_lshrrev_b32_e32 v6, 8, v7
	s_movk_i32 s4, 0x7f
	v_cmp_gt_i16_sdwa s[6:7], v6, s4 src0_sel:BYTE_0 src1_sel:DWORD
	s_mov_b64 s[4:5], 0
                                        ; implicit-def: $sgpr10
	s_and_saveexec_b64 s[8:9], s[6:7]
	s_xor_b64 s[6:7], exec, s[8:9]
	s_cbranch_execnz .LBB29_2473
; %bb.425:
	s_or_saveexec_b64 s[6:7], s[6:7]
	v_mov_b32_e32 v2, s10
	s_xor_b64 exec, exec, s[6:7]
	s_cbranch_execnz .LBB29_2476
.LBB29_426:
	s_or_b64 exec, exec, s[6:7]
	s_and_saveexec_b64 s[6:7], s[4:5]
	s_cbranch_execz .LBB29_428
.LBB29_427:
	v_bfe_u32 v2, v7, 8, 3
	v_ffbh_u32_e32 v11, v2
	v_min_u32_e32 v11, 32, v11
	v_lshrrev_b16_e32 v10, 3, v6
	v_subrev_u32_e32 v12, 28, v11
	v_and_b32_e32 v10, 15, v10
	v_lshlrev_b32_e32 v6, v12, v6
	v_sub_u32_e32 v11, 29, v11
	v_and_b32_e32 v6, 7, v6
	v_cmp_eq_u16_e32 vcc, 0, v10
	v_cndmask_b32_e32 v2, v2, v6, vcc
	v_cndmask_b32_e32 v6, v10, v11, vcc
	v_lshlrev_b32_e32 v10, 16, v7
	v_mov_b32_e32 v11, 0x3b800000
	v_lshlrev_b32_e32 v2, 20, v2
	v_and_b32_e32 v10, 0x80000000, v10
	v_lshl_add_u32 v6, v6, 23, v11
	v_or3_b32 v2, v10, v6, v2
.LBB29_428:
	s_or_b64 exec, exec, s[6:7]
	v_lshrrev_b32_e32 v6, 8, v3
	s_movk_i32 s4, 0x7f
	v_cmp_gt_i16_sdwa s[6:7], v6, s4 src0_sel:BYTE_0 src1_sel:DWORD
	s_mov_b64 s[4:5], 0
                                        ; implicit-def: $sgpr10
	s_and_saveexec_b64 s[8:9], s[6:7]
	s_xor_b64 s[6:7], exec, s[8:9]
	s_cbranch_execnz .LBB29_2477
; %bb.429:
	s_or_saveexec_b64 s[6:7], s[6:7]
	v_mov_b32_e32 v10, s10
	s_xor_b64 exec, exec, s[6:7]
	s_cbranch_execnz .LBB29_2480
.LBB29_430:
	s_or_b64 exec, exec, s[6:7]
	s_and_saveexec_b64 s[6:7], s[4:5]
	s_cbranch_execz .LBB29_432
.LBB29_431:
	v_bfe_u32 v10, v3, 8, 3
	v_ffbh_u32_e32 v12, v10
	v_min_u32_e32 v12, 32, v12
	v_lshrrev_b16_e32 v11, 3, v6
	v_subrev_u32_e32 v13, 28, v12
	v_and_b32_e32 v11, 15, v11
	v_lshlrev_b32_e32 v6, v13, v6
	v_sub_u32_e32 v12, 29, v12
	v_and_b32_e32 v6, 7, v6
	v_cmp_eq_u16_e32 vcc, 0, v11
	v_cndmask_b32_e32 v6, v10, v6, vcc
	v_cndmask_b32_e32 v10, v11, v12, vcc
	v_lshlrev_b32_e32 v11, 16, v3
	v_mov_b32_e32 v12, 0x3b800000
	v_lshlrev_b32_e32 v6, 20, v6
	v_and_b32_e32 v11, 0x80000000, v11
	v_lshl_add_u32 v10, v10, 23, v12
	v_or3_b32 v10, v11, v10, v6
.LBB29_432:
	s_or_b64 exec, exec, s[6:7]
	s_nop 0
	v_mfma_f32_16x16x4f32 a[0:3], v2, v10, a[0:3]
	s_movk_i32 s4, 0xff
	v_and_b32_sdwa v6, v7, s4 dst_sel:DWORD dst_unused:UNUSED_PAD src0_sel:WORD_1 src1_sel:DWORD
	s_movk_i32 s4, 0x7f
	v_cmp_lt_i16_e32 vcc, s4, v6
	s_mov_b64 s[4:5], 0
                                        ; implicit-def: $sgpr10
	s_and_saveexec_b64 s[6:7], vcc
	s_xor_b64 s[6:7], exec, s[6:7]
	s_cbranch_execnz .LBB29_2481
; %bb.433:
	s_or_saveexec_b64 s[6:7], s[6:7]
	v_mov_b32_e32 v2, s10
	s_xor_b64 exec, exec, s[6:7]
	s_cbranch_execnz .LBB29_2484
.LBB29_434:
	s_or_b64 exec, exec, s[6:7]
	s_and_saveexec_b64 s[6:7], s[4:5]
	s_cbranch_execz .LBB29_436
.LBB29_435:
	v_bfe_u32 v2, v7, 16, 3
	v_ffbh_u32_e32 v11, v2
	v_min_u32_e32 v11, 32, v11
	v_lshrrev_b32_e32 v6, 19, v7
	v_subrev_u32_e32 v12, 28, v11
	v_and_b32_e32 v6, 15, v6
	v_lshlrev_b32_sdwa v12, v12, v7 dst_sel:DWORD dst_unused:UNUSED_PAD src0_sel:DWORD src1_sel:WORD_1
	v_bfe_u32 v10, v7, 19, 4
	v_sub_u32_e32 v11, 29, v11
	v_and_b32_e32 v12, 7, v12
	v_cmp_eq_u16_e32 vcc, 0, v6
	v_cndmask_b32_e32 v2, v2, v12, vcc
	v_cndmask_b32_e32 v6, v10, v11, vcc
	v_lshlrev_b32_e32 v10, 8, v7
	v_mov_b32_e32 v11, 0x3b800000
	v_lshlrev_b32_e32 v2, 20, v2
	v_and_b32_e32 v10, 0x80000000, v10
	v_lshl_add_u32 v6, v6, 23, v11
	v_or3_b32 v2, v10, v6, v2
.LBB29_436:
	s_or_b64 exec, exec, s[6:7]
	s_movk_i32 s4, 0xff
	v_and_b32_sdwa v6, v3, s4 dst_sel:DWORD dst_unused:UNUSED_PAD src0_sel:WORD_1 src1_sel:DWORD
	s_movk_i32 s4, 0x7f
	v_cmp_lt_i16_e32 vcc, s4, v6
	s_mov_b64 s[4:5], 0
                                        ; implicit-def: $sgpr10
	s_and_saveexec_b64 s[6:7], vcc
	s_xor_b64 s[6:7], exec, s[6:7]
	s_cbranch_execnz .LBB29_2485
; %bb.437:
	s_or_saveexec_b64 s[6:7], s[6:7]
	v_mov_b32_e32 v10, s10
	s_xor_b64 exec, exec, s[6:7]
	s_cbranch_execnz .LBB29_2488
.LBB29_438:
	s_or_b64 exec, exec, s[6:7]
	s_and_saveexec_b64 s[6:7], s[4:5]
	s_cbranch_execz .LBB29_440
.LBB29_439:
	v_bfe_u32 v6, v3, 16, 3
	v_ffbh_u32_e32 v12, v6
	v_min_u32_e32 v12, 32, v12
	v_lshrrev_b32_e32 v10, 19, v3
	v_subrev_u32_e32 v13, 28, v12
	v_and_b32_e32 v10, 15, v10
	v_lshlrev_b32_sdwa v13, v13, v3 dst_sel:DWORD dst_unused:UNUSED_PAD src0_sel:DWORD src1_sel:WORD_1
	v_bfe_u32 v11, v3, 19, 4
	v_sub_u32_e32 v12, 29, v12
	v_and_b32_e32 v13, 7, v13
	v_cmp_eq_u16_e32 vcc, 0, v10
	v_cndmask_b32_e32 v6, v6, v13, vcc
	v_cndmask_b32_e32 v10, v11, v12, vcc
	v_lshlrev_b32_e32 v11, 8, v3
	v_mov_b32_e32 v12, 0x3b800000
	v_lshlrev_b32_e32 v6, 20, v6
	v_and_b32_e32 v11, 0x80000000, v11
	v_lshl_add_u32 v10, v10, 23, v12
	v_or3_b32 v10, v11, v10, v6
.LBB29_440:
	s_or_b64 exec, exec, s[6:7]
	s_nop 0
	v_mfma_f32_16x16x4f32 a[0:3], v2, v10, a[0:3]
	s_movk_i32 s4, 0x7f
	v_cmp_gt_i16_sdwa s[6:7], v7, s4 src0_sel:BYTE_3 src1_sel:DWORD
	s_mov_b64 s[4:5], 0
                                        ; implicit-def: $sgpr10
	s_and_saveexec_b64 s[8:9], s[6:7]
	s_xor_b64 s[6:7], exec, s[8:9]
	s_cbranch_execnz .LBB29_2489
; %bb.441:
	s_or_saveexec_b64 s[6:7], s[6:7]
	v_mov_b32_e32 v2, s10
	s_xor_b64 exec, exec, s[6:7]
	s_cbranch_execnz .LBB29_2492
.LBB29_442:
	s_or_b64 exec, exec, s[6:7]
	s_and_saveexec_b64 s[6:7], s[4:5]
	s_cbranch_execz .LBB29_444
.LBB29_443:
	v_bfe_u32 v2, v7, 24, 3
	v_ffbh_u32_e32 v12, v2
	v_min_u32_e32 v12, 32, v12
	v_lshrrev_b32_e32 v10, 27, v7
	v_subrev_u32_e32 v13, 28, v12
	v_and_b32_e32 v6, 0x80000000, v7
	v_and_b32_e32 v10, 15, v10
	v_bfe_u32 v11, v7, 27, 4
	v_lshlrev_b32_sdwa v7, v13, v7 dst_sel:DWORD dst_unused:UNUSED_PAD src0_sel:DWORD src1_sel:BYTE_3
	v_sub_u32_e32 v12, 29, v12
	v_and_b32_e32 v7, 7, v7
	v_cmp_eq_u16_e32 vcc, 0, v10
	v_cndmask_b32_e32 v2, v2, v7, vcc
	v_cndmask_b32_e32 v7, v11, v12, vcc
	v_mov_b32_e32 v10, 0x3b800000
	v_lshlrev_b32_e32 v2, 20, v2
	v_lshl_add_u32 v7, v7, 23, v10
	v_or3_b32 v2, v6, v7, v2
.LBB29_444:
	s_or_b64 exec, exec, s[6:7]
	s_movk_i32 s4, 0x7f
	v_cmp_gt_i16_sdwa s[6:7], v3, s4 src0_sel:BYTE_3 src1_sel:DWORD
	s_mov_b64 s[4:5], 0
                                        ; implicit-def: $sgpr10
	s_and_saveexec_b64 s[8:9], s[6:7]
	s_xor_b64 s[6:7], exec, s[8:9]
	s_cbranch_execnz .LBB29_2493
; %bb.445:
	s_or_saveexec_b64 s[6:7], s[6:7]
	v_mov_b32_e32 v6, s10
	s_xor_b64 exec, exec, s[6:7]
	s_cbranch_execnz .LBB29_2496
.LBB29_446:
	s_or_b64 exec, exec, s[6:7]
	s_and_saveexec_b64 s[6:7], s[4:5]
	s_cbranch_execz .LBB29_448
.LBB29_447:
	v_bfe_u32 v6, v3, 24, 3
	v_ffbh_u32_e32 v12, v6
	v_min_u32_e32 v12, 32, v12
	v_lshrrev_b32_e32 v10, 27, v3
	v_subrev_u32_e32 v13, 28, v12
	v_and_b32_e32 v7, 0x80000000, v3
	v_and_b32_e32 v10, 15, v10
	v_bfe_u32 v11, v3, 27, 4
	v_lshlrev_b32_sdwa v3, v13, v3 dst_sel:DWORD dst_unused:UNUSED_PAD src0_sel:DWORD src1_sel:BYTE_3
	v_sub_u32_e32 v12, 29, v12
	v_and_b32_e32 v3, 7, v3
	v_cmp_eq_u16_e32 vcc, 0, v10
	v_cndmask_b32_e32 v3, v6, v3, vcc
	v_cndmask_b32_e32 v6, v11, v12, vcc
	v_mov_b32_e32 v10, 0x3b800000
	v_lshlrev_b32_e32 v3, 20, v3
	v_lshl_add_u32 v6, v6, 23, v10
	v_or3_b32 v6, v7, v6, v3
.LBB29_448:
	s_or_b64 exec, exec, s[6:7]
	s_nop 0
	v_mfma_f32_16x16x4f32 a[0:3], v2, v6, a[0:3]
	s_movk_i32 s4, 0x7f
	v_cmp_gt_i16_sdwa s[6:7], v8, s4 src0_sel:BYTE_0 src1_sel:DWORD
	s_mov_b64 s[4:5], 0
                                        ; implicit-def: $sgpr10
	s_and_saveexec_b64 s[8:9], s[6:7]
	s_xor_b64 s[6:7], exec, s[8:9]
	s_cbranch_execnz .LBB29_2497
; %bb.449:
	s_or_saveexec_b64 s[6:7], s[6:7]
	v_mov_b32_e32 v2, s10
	s_xor_b64 exec, exec, s[6:7]
	s_cbranch_execnz .LBB29_2500
.LBB29_450:
	s_or_b64 exec, exec, s[6:7]
	s_and_saveexec_b64 s[6:7], s[4:5]
	s_cbranch_execz .LBB29_452
.LBB29_451:
	v_and_b32_e32 v2, 7, v8
	v_ffbh_u32_e32 v6, v2
	v_min_u32_e32 v6, 32, v6
	v_lshrrev_b16_e32 v3, 3, v8
	v_subrev_u32_e32 v7, 28, v6
	v_and_b32_e32 v3, 15, v3
	v_lshlrev_b32_e32 v7, v7, v8
	v_sub_u32_e32 v6, 29, v6
	v_and_b32_e32 v7, 7, v7
	v_cmp_eq_u16_e32 vcc, 0, v3
	v_cndmask_b32_e32 v2, v2, v7, vcc
	v_cndmask_b32_e32 v3, v3, v6, vcc
	v_lshlrev_b32_e32 v6, 24, v8
	v_mov_b32_e32 v7, 0x3b800000
	v_lshlrev_b32_e32 v2, 20, v2
	v_and_b32_e32 v6, 0x80000000, v6
	v_lshl_add_u32 v3, v3, 23, v7
	v_or3_b32 v2, v6, v3, v2
.LBB29_452:
	s_or_b64 exec, exec, s[6:7]
	s_movk_i32 s4, 0x7f
	v_cmp_gt_i16_sdwa s[6:7], v4, s4 src0_sel:BYTE_0 src1_sel:DWORD
	s_mov_b64 s[4:5], 0
                                        ; implicit-def: $sgpr10
	s_and_saveexec_b64 s[8:9], s[6:7]
	s_xor_b64 s[6:7], exec, s[8:9]
	s_cbranch_execnz .LBB29_2501
; %bb.453:
	s_or_saveexec_b64 s[6:7], s[6:7]
	v_mov_b32_e32 v3, s10
	s_xor_b64 exec, exec, s[6:7]
	s_cbranch_execnz .LBB29_2504
.LBB29_454:
	s_or_b64 exec, exec, s[6:7]
	s_and_saveexec_b64 s[6:7], s[4:5]
	s_cbranch_execz .LBB29_456
.LBB29_455:
	v_and_b32_e32 v3, 7, v4
	v_ffbh_u32_e32 v7, v3
	v_min_u32_e32 v7, 32, v7
	v_lshrrev_b16_e32 v6, 3, v4
	v_subrev_u32_e32 v10, 28, v7
	v_and_b32_e32 v6, 15, v6
	v_lshlrev_b32_e32 v10, v10, v4
	v_sub_u32_e32 v7, 29, v7
	v_and_b32_e32 v10, 7, v10
	v_cmp_eq_u16_e32 vcc, 0, v6
	v_cndmask_b32_e32 v3, v3, v10, vcc
	v_cndmask_b32_e32 v6, v6, v7, vcc
	v_lshlrev_b32_e32 v7, 24, v4
	v_mov_b32_e32 v10, 0x3b800000
	v_lshlrev_b32_e32 v3, 20, v3
	v_and_b32_e32 v7, 0x80000000, v7
	v_lshl_add_u32 v6, v6, 23, v10
	v_or3_b32 v3, v7, v6, v3
.LBB29_456:
	s_or_b64 exec, exec, s[6:7]
	s_nop 0
	v_mfma_f32_16x16x4f32 a[0:3], v2, v3, a[0:3]
	v_lshrrev_b32_e32 v3, 8, v8
	s_movk_i32 s4, 0x7f
	v_cmp_gt_i16_sdwa s[6:7], v3, s4 src0_sel:BYTE_0 src1_sel:DWORD
	s_mov_b64 s[4:5], 0
                                        ; implicit-def: $sgpr10
	s_and_saveexec_b64 s[8:9], s[6:7]
	s_xor_b64 s[6:7], exec, s[8:9]
	s_cbranch_execnz .LBB29_2505
; %bb.457:
	s_or_saveexec_b64 s[6:7], s[6:7]
	v_mov_b32_e32 v2, s10
	s_xor_b64 exec, exec, s[6:7]
	s_cbranch_execnz .LBB29_2508
.LBB29_458:
	s_or_b64 exec, exec, s[6:7]
	s_and_saveexec_b64 s[6:7], s[4:5]
	s_cbranch_execz .LBB29_460
.LBB29_459:
	v_bfe_u32 v2, v8, 8, 3
	v_ffbh_u32_e32 v7, v2
	v_min_u32_e32 v7, 32, v7
	v_lshrrev_b16_e32 v6, 3, v3
	v_subrev_u32_e32 v10, 28, v7
	v_and_b32_e32 v6, 15, v6
	v_lshlrev_b32_e32 v3, v10, v3
	v_sub_u32_e32 v7, 29, v7
	v_and_b32_e32 v3, 7, v3
	v_cmp_eq_u16_e32 vcc, 0, v6
	v_cndmask_b32_e32 v2, v2, v3, vcc
	v_cndmask_b32_e32 v3, v6, v7, vcc
	v_lshlrev_b32_e32 v6, 16, v8
	v_mov_b32_e32 v7, 0x3b800000
	v_lshlrev_b32_e32 v2, 20, v2
	v_and_b32_e32 v6, 0x80000000, v6
	v_lshl_add_u32 v3, v3, 23, v7
	v_or3_b32 v2, v6, v3, v2
.LBB29_460:
	s_or_b64 exec, exec, s[6:7]
	v_lshrrev_b32_e32 v3, 8, v4
	s_movk_i32 s4, 0x7f
	v_cmp_gt_i16_sdwa s[6:7], v3, s4 src0_sel:BYTE_0 src1_sel:DWORD
	s_mov_b64 s[4:5], 0
                                        ; implicit-def: $sgpr10
	s_and_saveexec_b64 s[8:9], s[6:7]
	s_xor_b64 s[6:7], exec, s[8:9]
	s_cbranch_execnz .LBB29_2509
; %bb.461:
	s_or_saveexec_b64 s[6:7], s[6:7]
	v_mov_b32_e32 v6, s10
	s_xor_b64 exec, exec, s[6:7]
	s_cbranch_execnz .LBB29_2512
.LBB29_462:
	s_or_b64 exec, exec, s[6:7]
	s_and_saveexec_b64 s[6:7], s[4:5]
	s_cbranch_execz .LBB29_464
.LBB29_463:
	v_bfe_u32 v6, v4, 8, 3
	v_ffbh_u32_e32 v10, v6
	v_min_u32_e32 v10, 32, v10
	v_lshrrev_b16_e32 v7, 3, v3
	v_subrev_u32_e32 v11, 28, v10
	v_and_b32_e32 v7, 15, v7
	v_lshlrev_b32_e32 v3, v11, v3
	v_sub_u32_e32 v10, 29, v10
	v_and_b32_e32 v3, 7, v3
	v_cmp_eq_u16_e32 vcc, 0, v7
	v_cndmask_b32_e32 v3, v6, v3, vcc
	v_cndmask_b32_e32 v6, v7, v10, vcc
	v_lshlrev_b32_e32 v7, 16, v4
	v_mov_b32_e32 v10, 0x3b800000
	v_lshlrev_b32_e32 v3, 20, v3
	v_and_b32_e32 v7, 0x80000000, v7
	v_lshl_add_u32 v6, v6, 23, v10
	v_or3_b32 v6, v7, v6, v3
.LBB29_464:
	s_or_b64 exec, exec, s[6:7]
	s_nop 0
	v_mfma_f32_16x16x4f32 a[0:3], v2, v6, a[0:3]
	s_movk_i32 s4, 0xff
	v_and_b32_sdwa v3, v8, s4 dst_sel:DWORD dst_unused:UNUSED_PAD src0_sel:WORD_1 src1_sel:DWORD
	s_movk_i32 s4, 0x7f
	v_cmp_lt_i16_e32 vcc, s4, v3
	s_mov_b64 s[4:5], 0
                                        ; implicit-def: $sgpr10
	s_and_saveexec_b64 s[6:7], vcc
	s_xor_b64 s[6:7], exec, s[6:7]
	s_cbranch_execnz .LBB29_2513
; %bb.465:
	s_or_saveexec_b64 s[6:7], s[6:7]
	v_mov_b32_e32 v2, s10
	s_xor_b64 exec, exec, s[6:7]
	s_cbranch_execnz .LBB29_2516
.LBB29_466:
	s_or_b64 exec, exec, s[6:7]
	s_and_saveexec_b64 s[6:7], s[4:5]
	s_cbranch_execz .LBB29_468
.LBB29_467:
	v_bfe_u32 v2, v8, 16, 3
	v_ffbh_u32_e32 v7, v2
	v_min_u32_e32 v7, 32, v7
	v_lshrrev_b32_e32 v3, 19, v8
	v_subrev_u32_e32 v10, 28, v7
	v_and_b32_e32 v3, 15, v3
	v_lshlrev_b32_sdwa v10, v10, v8 dst_sel:DWORD dst_unused:UNUSED_PAD src0_sel:DWORD src1_sel:WORD_1
	v_bfe_u32 v6, v8, 19, 4
	v_sub_u32_e32 v7, 29, v7
	v_and_b32_e32 v10, 7, v10
	v_cmp_eq_u16_e32 vcc, 0, v3
	v_cndmask_b32_e32 v2, v2, v10, vcc
	v_cndmask_b32_e32 v3, v6, v7, vcc
	v_lshlrev_b32_e32 v6, 8, v8
	v_mov_b32_e32 v7, 0x3b800000
	v_lshlrev_b32_e32 v2, 20, v2
	v_and_b32_e32 v6, 0x80000000, v6
	v_lshl_add_u32 v3, v3, 23, v7
	v_or3_b32 v2, v6, v3, v2
.LBB29_468:
	s_or_b64 exec, exec, s[6:7]
	s_movk_i32 s4, 0xff
	v_and_b32_sdwa v3, v4, s4 dst_sel:DWORD dst_unused:UNUSED_PAD src0_sel:WORD_1 src1_sel:DWORD
	s_movk_i32 s4, 0x7f
	v_cmp_lt_i16_e32 vcc, s4, v3
	s_mov_b64 s[4:5], 0
                                        ; implicit-def: $sgpr10
	s_and_saveexec_b64 s[6:7], vcc
	s_xor_b64 s[6:7], exec, s[6:7]
	s_cbranch_execnz .LBB29_2517
; %bb.469:
	s_or_saveexec_b64 s[6:7], s[6:7]
	v_mov_b32_e32 v6, s10
	s_xor_b64 exec, exec, s[6:7]
	s_cbranch_execnz .LBB29_2520
.LBB29_470:
	s_or_b64 exec, exec, s[6:7]
	s_and_saveexec_b64 s[6:7], s[4:5]
	s_cbranch_execz .LBB29_472
.LBB29_471:
	v_bfe_u32 v3, v4, 16, 3
	v_ffbh_u32_e32 v10, v3
	v_min_u32_e32 v10, 32, v10
	v_lshrrev_b32_e32 v6, 19, v4
	v_subrev_u32_e32 v11, 28, v10
	v_and_b32_e32 v6, 15, v6
	v_lshlrev_b32_sdwa v11, v11, v4 dst_sel:DWORD dst_unused:UNUSED_PAD src0_sel:DWORD src1_sel:WORD_1
	v_bfe_u32 v7, v4, 19, 4
	v_sub_u32_e32 v10, 29, v10
	v_and_b32_e32 v11, 7, v11
	v_cmp_eq_u16_e32 vcc, 0, v6
	v_cndmask_b32_e32 v3, v3, v11, vcc
	v_cndmask_b32_e32 v6, v7, v10, vcc
	v_lshlrev_b32_e32 v7, 8, v4
	v_mov_b32_e32 v10, 0x3b800000
	v_lshlrev_b32_e32 v3, 20, v3
	v_and_b32_e32 v7, 0x80000000, v7
	v_lshl_add_u32 v6, v6, 23, v10
	v_or3_b32 v6, v7, v6, v3
.LBB29_472:
	s_or_b64 exec, exec, s[6:7]
	s_nop 0
	v_mfma_f32_16x16x4f32 a[0:3], v2, v6, a[0:3]
	s_movk_i32 s4, 0x7f
	v_cmp_gt_i16_sdwa s[6:7], v8, s4 src0_sel:BYTE_3 src1_sel:DWORD
	s_mov_b64 s[4:5], 0
                                        ; implicit-def: $sgpr10
	s_and_saveexec_b64 s[8:9], s[6:7]
	s_xor_b64 s[6:7], exec, s[8:9]
	s_cbranch_execnz .LBB29_2521
; %bb.473:
	s_or_saveexec_b64 s[6:7], s[6:7]
	v_mov_b32_e32 v2, s10
	s_xor_b64 exec, exec, s[6:7]
	s_cbranch_execnz .LBB29_2524
.LBB29_474:
	s_or_b64 exec, exec, s[6:7]
	s_and_saveexec_b64 s[6:7], s[4:5]
	s_cbranch_execz .LBB29_476
.LBB29_475:
	v_bfe_u32 v2, v8, 24, 3
	v_ffbh_u32_e32 v10, v2
	v_min_u32_e32 v10, 32, v10
	v_lshrrev_b32_e32 v6, 27, v8
	v_subrev_u32_e32 v11, 28, v10
	v_and_b32_e32 v3, 0x80000000, v8
	v_and_b32_e32 v6, 15, v6
	v_bfe_u32 v7, v8, 27, 4
	v_lshlrev_b32_sdwa v8, v11, v8 dst_sel:DWORD dst_unused:UNUSED_PAD src0_sel:DWORD src1_sel:BYTE_3
	v_sub_u32_e32 v10, 29, v10
	v_and_b32_e32 v8, 7, v8
	v_cmp_eq_u16_e32 vcc, 0, v6
	v_cndmask_b32_e32 v2, v2, v8, vcc
	v_cndmask_b32_e32 v6, v7, v10, vcc
	v_mov_b32_e32 v7, 0x3b800000
	v_lshlrev_b32_e32 v2, 20, v2
	v_lshl_add_u32 v6, v6, 23, v7
	v_or3_b32 v2, v3, v6, v2
.LBB29_476:
	s_or_b64 exec, exec, s[6:7]
	s_movk_i32 s4, 0x7f
	v_cmp_gt_i16_sdwa s[6:7], v4, s4 src0_sel:BYTE_3 src1_sel:DWORD
	s_mov_b64 s[4:5], 0
                                        ; implicit-def: $sgpr10
	s_and_saveexec_b64 s[8:9], s[6:7]
	s_xor_b64 s[6:7], exec, s[8:9]
	s_cbranch_execnz .LBB29_2525
; %bb.477:
	s_or_saveexec_b64 s[6:7], s[6:7]
	v_mov_b32_e32 v3, s10
	s_xor_b64 exec, exec, s[6:7]
	s_cbranch_execnz .LBB29_2528
.LBB29_478:
	s_or_b64 exec, exec, s[6:7]
	s_and_saveexec_b64 s[6:7], s[4:5]
	s_cbranch_execz .LBB29_480
.LBB29_479:
	v_bfe_u32 v3, v4, 24, 3
	v_ffbh_u32_e32 v10, v3
	v_min_u32_e32 v10, 32, v10
	v_lshrrev_b32_e32 v7, 27, v4
	v_subrev_u32_e32 v11, 28, v10
	v_and_b32_e32 v6, 0x80000000, v4
	v_and_b32_e32 v7, 15, v7
	v_bfe_u32 v8, v4, 27, 4
	v_lshlrev_b32_sdwa v4, v11, v4 dst_sel:DWORD dst_unused:UNUSED_PAD src0_sel:DWORD src1_sel:BYTE_3
	v_sub_u32_e32 v10, 29, v10
	v_and_b32_e32 v4, 7, v4
	v_cmp_eq_u16_e32 vcc, 0, v7
	v_cndmask_b32_e32 v3, v3, v4, vcc
	v_cndmask_b32_e32 v4, v8, v10, vcc
	v_mov_b32_e32 v7, 0x3b800000
	v_lshlrev_b32_e32 v3, 20, v3
	v_lshl_add_u32 v4, v4, 23, v7
	v_or3_b32 v3, v6, v4, v3
.LBB29_480:
	s_or_b64 exec, exec, s[6:7]
	s_nop 0
	v_mfma_f32_16x16x4f32 a[0:3], v2, v3, a[0:3]
	s_movk_i32 s4, 0x7f
	v_cmp_gt_i16_sdwa s[6:7], v9, s4 src0_sel:BYTE_0 src1_sel:DWORD
	s_mov_b64 s[4:5], 0
                                        ; implicit-def: $sgpr10
	s_and_saveexec_b64 s[8:9], s[6:7]
	s_xor_b64 s[6:7], exec, s[8:9]
	s_cbranch_execnz .LBB29_2529
; %bb.481:
	s_or_saveexec_b64 s[6:7], s[6:7]
	v_mov_b32_e32 v2, s10
	s_xor_b64 exec, exec, s[6:7]
	s_cbranch_execnz .LBB29_2532
.LBB29_482:
	s_or_b64 exec, exec, s[6:7]
	s_and_saveexec_b64 s[6:7], s[4:5]
	s_cbranch_execz .LBB29_484
.LBB29_483:
	v_mov_b32_e32 v2, 8
	v_and_b32_e32 v3, 7, v9
	v_lshrrev_b32_sdwa v2, v2, v9 dst_sel:BYTE_1 dst_unused:UNUSED_PAD src0_sel:DWORD src1_sel:DWORD
	v_ffbh_u32_e32 v4, v3
	v_or_b32_sdwa v2, v9, v2 dst_sel:DWORD dst_unused:UNUSED_PAD src0_sel:BYTE_0 src1_sel:DWORD
	v_min_u32_e32 v4, 32, v4
	v_lshrrev_b16_e32 v2, 3, v2
	v_subrev_u32_e32 v6, 28, v4
	v_and_b32_e32 v2, 15, v2
	v_lshlrev_b32_e32 v6, v6, v9
	v_sub_u32_e32 v4, 29, v4
	v_and_b32_e32 v6, 7, v6
	v_cmp_eq_u16_e32 vcc, 0, v2
	v_cndmask_b32_e32 v3, v3, v6, vcc
	v_cndmask_b32_e32 v2, v2, v4, vcc
	v_lshlrev_b32_e32 v4, 24, v9
	v_mov_b32_e32 v6, 0x3b800000
	v_lshlrev_b32_e32 v3, 20, v3
	v_and_b32_e32 v4, 0x80000000, v4
	v_lshl_add_u32 v2, v2, 23, v6
	v_or3_b32 v2, v4, v2, v3
.LBB29_484:
	s_or_b64 exec, exec, s[6:7]
	s_movk_i32 s4, 0x7f
	v_cmp_gt_i16_sdwa s[6:7], v5, s4 src0_sel:BYTE_0 src1_sel:DWORD
	s_mov_b64 s[4:5], 0
                                        ; implicit-def: $sgpr10
	s_and_saveexec_b64 s[8:9], s[6:7]
	s_xor_b64 s[6:7], exec, s[8:9]
	s_cbranch_execnz .LBB29_2533
; %bb.485:
	s_or_saveexec_b64 s[6:7], s[6:7]
	v_mov_b32_e32 v3, s10
	s_xor_b64 exec, exec, s[6:7]
	s_cbranch_execnz .LBB29_2536
.LBB29_486:
	s_or_b64 exec, exec, s[6:7]
	s_and_saveexec_b64 s[6:7], s[4:5]
	s_cbranch_execz .LBB29_488
.LBB29_487:
	v_mov_b32_e32 v3, 8
	v_and_b32_e32 v4, 7, v5
	v_lshrrev_b32_sdwa v3, v3, v5 dst_sel:BYTE_1 dst_unused:UNUSED_PAD src0_sel:DWORD src1_sel:DWORD
	v_ffbh_u32_e32 v6, v4
	v_or_b32_sdwa v3, v5, v3 dst_sel:DWORD dst_unused:UNUSED_PAD src0_sel:BYTE_0 src1_sel:DWORD
	v_min_u32_e32 v6, 32, v6
	v_lshrrev_b16_e32 v3, 3, v3
	v_subrev_u32_e32 v7, 28, v6
	v_and_b32_e32 v3, 15, v3
	v_lshlrev_b32_e32 v7, v7, v5
	v_sub_u32_e32 v6, 29, v6
	v_and_b32_e32 v7, 7, v7
	v_cmp_eq_u16_e32 vcc, 0, v3
	v_cndmask_b32_e32 v4, v4, v7, vcc
	v_cndmask_b32_e32 v3, v3, v6, vcc
	v_lshlrev_b32_e32 v6, 24, v5
	v_mov_b32_e32 v7, 0x3b800000
	v_lshlrev_b32_e32 v4, 20, v4
	v_and_b32_e32 v6, 0x80000000, v6
	v_lshl_add_u32 v3, v3, 23, v7
	v_or3_b32 v3, v6, v3, v4
.LBB29_488:
	s_or_b64 exec, exec, s[6:7]
	s_nop 0
	v_mfma_f32_16x16x4f32 a[0:3], v2, v3, a[0:3]
	v_lshrrev_b32_e32 v3, 8, v9
	s_movk_i32 s4, 0x7f
	v_cmp_gt_i16_sdwa s[6:7], v3, s4 src0_sel:BYTE_0 src1_sel:DWORD
	s_mov_b64 s[4:5], 0
                                        ; implicit-def: $sgpr10
	s_and_saveexec_b64 s[8:9], s[6:7]
	s_xor_b64 s[6:7], exec, s[8:9]
	s_cbranch_execnz .LBB29_2537
; %bb.489:
	s_or_saveexec_b64 s[6:7], s[6:7]
	v_mov_b32_e32 v2, s10
	s_xor_b64 exec, exec, s[6:7]
	s_cbranch_execnz .LBB29_2540
.LBB29_490:
	s_or_b64 exec, exec, s[6:7]
	s_and_saveexec_b64 s[6:7], s[4:5]
	s_cbranch_execz .LBB29_492
.LBB29_491:
	v_bfe_u32 v2, v9, 8, 3
	v_ffbh_u32_e32 v6, v2
	v_min_u32_e32 v6, 32, v6
	v_lshrrev_b16_e32 v4, 3, v3
	v_subrev_u32_e32 v7, 28, v6
	v_and_b32_e32 v4, 15, v4
	v_lshlrev_b32_e32 v3, v7, v3
	v_sub_u32_e32 v6, 29, v6
	v_and_b32_e32 v3, 7, v3
	v_cmp_eq_u16_e32 vcc, 0, v4
	v_cndmask_b32_e32 v2, v2, v3, vcc
	v_cndmask_b32_e32 v3, v4, v6, vcc
	v_lshlrev_b32_e32 v4, 16, v9
	v_mov_b32_e32 v6, 0x3b800000
	v_lshlrev_b32_e32 v2, 20, v2
	v_and_b32_e32 v4, 0x80000000, v4
	v_lshl_add_u32 v3, v3, 23, v6
	v_or3_b32 v2, v4, v3, v2
.LBB29_492:
	s_or_b64 exec, exec, s[6:7]
	v_lshrrev_b32_e32 v3, 8, v5
	s_movk_i32 s4, 0x7f
	v_cmp_gt_i16_sdwa s[6:7], v3, s4 src0_sel:BYTE_0 src1_sel:DWORD
	s_mov_b64 s[4:5], 0
                                        ; implicit-def: $sgpr10
	s_and_saveexec_b64 s[8:9], s[6:7]
	s_xor_b64 s[6:7], exec, s[8:9]
	s_cbranch_execnz .LBB29_2541
; %bb.493:
	s_or_saveexec_b64 s[6:7], s[6:7]
	v_mov_b32_e32 v4, s10
	s_xor_b64 exec, exec, s[6:7]
	s_cbranch_execnz .LBB29_2544
.LBB29_494:
	s_or_b64 exec, exec, s[6:7]
	s_and_saveexec_b64 s[6:7], s[4:5]
	s_cbranch_execz .LBB29_496
.LBB29_495:
	v_bfe_u32 v4, v5, 8, 3
	v_ffbh_u32_e32 v7, v4
	v_min_u32_e32 v7, 32, v7
	v_lshrrev_b16_e32 v6, 3, v3
	v_subrev_u32_e32 v8, 28, v7
	v_and_b32_e32 v6, 15, v6
	v_lshlrev_b32_e32 v3, v8, v3
	v_sub_u32_e32 v7, 29, v7
	v_and_b32_e32 v3, 7, v3
	v_cmp_eq_u16_e32 vcc, 0, v6
	v_cndmask_b32_e32 v3, v4, v3, vcc
	v_cndmask_b32_e32 v4, v6, v7, vcc
	v_lshlrev_b32_e32 v6, 16, v5
	v_mov_b32_e32 v7, 0x3b800000
	v_lshlrev_b32_e32 v3, 20, v3
	v_and_b32_e32 v6, 0x80000000, v6
	v_lshl_add_u32 v4, v4, 23, v7
	v_or3_b32 v4, v6, v4, v3
.LBB29_496:
	s_or_b64 exec, exec, s[6:7]
	s_nop 0
	v_mfma_f32_16x16x4f32 a[0:3], v2, v4, a[0:3]
	s_movk_i32 s4, 0xff
	v_and_b32_sdwa v3, v9, s4 dst_sel:DWORD dst_unused:UNUSED_PAD src0_sel:WORD_1 src1_sel:DWORD
	s_movk_i32 s4, 0x7f
	v_cmp_lt_i16_e32 vcc, s4, v3
	s_mov_b64 s[4:5], 0
                                        ; implicit-def: $sgpr10
	s_and_saveexec_b64 s[6:7], vcc
	s_xor_b64 s[6:7], exec, s[6:7]
	s_cbranch_execnz .LBB29_2545
; %bb.497:
	s_or_saveexec_b64 s[6:7], s[6:7]
	v_mov_b32_e32 v2, s10
	s_xor_b64 exec, exec, s[6:7]
	s_cbranch_execnz .LBB29_2548
.LBB29_498:
	s_or_b64 exec, exec, s[6:7]
	s_and_saveexec_b64 s[6:7], s[4:5]
	s_cbranch_execz .LBB29_500
.LBB29_499:
	v_bfe_u32 v2, v9, 16, 3
	v_ffbh_u32_e32 v6, v2
	v_min_u32_e32 v6, 32, v6
	v_lshrrev_b32_e32 v3, 19, v9
	v_subrev_u32_e32 v7, 28, v6
	v_and_b32_e32 v3, 15, v3
	v_lshlrev_b32_sdwa v7, v7, v9 dst_sel:DWORD dst_unused:UNUSED_PAD src0_sel:DWORD src1_sel:WORD_1
	v_bfe_u32 v4, v9, 19, 4
	v_sub_u32_e32 v6, 29, v6
	v_and_b32_e32 v7, 7, v7
	v_cmp_eq_u16_e32 vcc, 0, v3
	v_cndmask_b32_e32 v2, v2, v7, vcc
	v_cndmask_b32_e32 v3, v4, v6, vcc
	v_lshlrev_b32_e32 v4, 8, v9
	v_mov_b32_e32 v6, 0x3b800000
	v_lshlrev_b32_e32 v2, 20, v2
	v_and_b32_e32 v4, 0x80000000, v4
	v_lshl_add_u32 v3, v3, 23, v6
	v_or3_b32 v2, v4, v3, v2
.LBB29_500:
	s_or_b64 exec, exec, s[6:7]
	s_movk_i32 s4, 0xff
	v_and_b32_sdwa v3, v5, s4 dst_sel:DWORD dst_unused:UNUSED_PAD src0_sel:WORD_1 src1_sel:DWORD
	s_movk_i32 s4, 0x7f
	v_cmp_lt_i16_e32 vcc, s4, v3
	s_mov_b64 s[4:5], 0
                                        ; implicit-def: $sgpr10
	s_and_saveexec_b64 s[6:7], vcc
	s_xor_b64 s[6:7], exec, s[6:7]
	s_cbranch_execnz .LBB29_2549
; %bb.501:
	s_or_saveexec_b64 s[6:7], s[6:7]
	v_mov_b32_e32 v4, s10
	s_xor_b64 exec, exec, s[6:7]
	s_cbranch_execnz .LBB29_2552
.LBB29_502:
	s_or_b64 exec, exec, s[6:7]
	s_and_saveexec_b64 s[6:7], s[4:5]
	s_cbranch_execz .LBB29_504
.LBB29_503:
	v_bfe_u32 v3, v5, 16, 3
	v_ffbh_u32_e32 v7, v3
	v_min_u32_e32 v7, 32, v7
	v_lshrrev_b32_e32 v4, 19, v5
	v_subrev_u32_e32 v8, 28, v7
	v_and_b32_e32 v4, 15, v4
	v_lshlrev_b32_sdwa v8, v8, v5 dst_sel:DWORD dst_unused:UNUSED_PAD src0_sel:DWORD src1_sel:WORD_1
	v_bfe_u32 v6, v5, 19, 4
	v_sub_u32_e32 v7, 29, v7
	v_and_b32_e32 v8, 7, v8
	v_cmp_eq_u16_e32 vcc, 0, v4
	v_cndmask_b32_e32 v3, v3, v8, vcc
	v_cndmask_b32_e32 v4, v6, v7, vcc
	v_lshlrev_b32_e32 v6, 8, v5
	v_mov_b32_e32 v7, 0x3b800000
	v_lshlrev_b32_e32 v3, 20, v3
	v_and_b32_e32 v6, 0x80000000, v6
	v_lshl_add_u32 v4, v4, 23, v7
	v_or3_b32 v4, v6, v4, v3
.LBB29_504:
	s_or_b64 exec, exec, s[6:7]
	s_nop 0
	v_mfma_f32_16x16x4f32 a[0:3], v2, v4, a[0:3]
	s_movk_i32 s4, 0x7f
	v_cmp_gt_i16_sdwa s[6:7], v9, s4 src0_sel:BYTE_3 src1_sel:DWORD
	s_mov_b64 s[4:5], 0
                                        ; implicit-def: $sgpr10
	s_and_saveexec_b64 s[8:9], s[6:7]
	s_xor_b64 s[6:7], exec, s[8:9]
	s_cbranch_execnz .LBB29_2553
; %bb.505:
	s_or_saveexec_b64 s[6:7], s[6:7]
	v_mov_b32_e32 v2, s10
	s_xor_b64 exec, exec, s[6:7]
	s_cbranch_execnz .LBB29_2556
.LBB29_506:
	s_or_b64 exec, exec, s[6:7]
	s_and_saveexec_b64 s[6:7], s[4:5]
	s_cbranch_execz .LBB29_508
.LBB29_507:
	v_bfe_u32 v2, v9, 24, 3
	v_ffbh_u32_e32 v7, v2
	v_min_u32_e32 v7, 32, v7
	v_lshrrev_b32_e32 v4, 27, v9
	v_subrev_u32_e32 v8, 28, v7
	v_and_b32_e32 v4, 15, v4
	v_lshlrev_b32_sdwa v8, v8, v9 dst_sel:DWORD dst_unused:UNUSED_PAD src0_sel:DWORD src1_sel:BYTE_3
	v_bfe_u32 v6, v9, 27, 4
	v_sub_u32_e32 v7, 29, v7
	v_and_b32_e32 v8, 7, v8
	v_cmp_eq_u16_e32 vcc, 0, v4
	v_cndmask_b32_e32 v2, v2, v8, vcc
	v_cndmask_b32_e32 v4, v6, v7, vcc
	v_mov_b32_e32 v6, 0x3b800000
	v_and_b32_e32 v3, 0x80000000, v9
	v_lshlrev_b32_e32 v2, 20, v2
	v_lshl_add_u32 v4, v4, 23, v6
	v_or3_b32 v2, v3, v4, v2
.LBB29_508:
	s_or_b64 exec, exec, s[6:7]
	s_movk_i32 s4, 0x7f
	v_cmp_gt_i16_sdwa s[6:7], v5, s4 src0_sel:BYTE_3 src1_sel:DWORD
	s_mov_b64 s[4:5], 0
                                        ; implicit-def: $sgpr10
	s_and_saveexec_b64 s[8:9], s[6:7]
	s_xor_b64 s[6:7], exec, s[8:9]
	s_cbranch_execnz .LBB29_2557
; %bb.509:
	s_or_saveexec_b64 s[6:7], s[6:7]
	v_mov_b32_e32 v3, s10
	s_xor_b64 exec, exec, s[6:7]
	s_cbranch_execnz .LBB29_2560
.LBB29_510:
	s_or_b64 exec, exec, s[6:7]
	s_and_saveexec_b64 s[6:7], s[4:5]
	s_cbranch_execz .LBB29_512
.LBB29_511:
	v_bfe_u32 v3, v5, 24, 3
	v_ffbh_u32_e32 v8, v3
	v_min_u32_e32 v8, 32, v8
	v_lshrrev_b32_e32 v6, 27, v5
	v_subrev_u32_e32 v9, 28, v8
	v_and_b32_e32 v4, 0x80000000, v5
	v_and_b32_e32 v6, 15, v6
	v_bfe_u32 v7, v5, 27, 4
	v_lshlrev_b32_sdwa v5, v9, v5 dst_sel:DWORD dst_unused:UNUSED_PAD src0_sel:DWORD src1_sel:BYTE_3
	v_sub_u32_e32 v8, 29, v8
	v_and_b32_e32 v5, 7, v5
	v_cmp_eq_u16_e32 vcc, 0, v6
	v_cndmask_b32_e32 v3, v3, v5, vcc
	v_cndmask_b32_e32 v5, v7, v8, vcc
	v_mov_b32_e32 v6, 0x3b800000
	v_lshlrev_b32_e32 v3, 20, v3
	v_lshl_add_u32 v5, v5, 23, v6
	v_or3_b32 v3, v4, v5, v3
.LBB29_512:
	s_or_b64 exec, exec, s[6:7]
	s_nop 0
	v_mfma_f32_16x16x4f32 a[0:3], v2, v3, a[0:3]
	s_movk_i32 s4, 0x7f
                                        ; implicit-def: $sgpr10
	s_nop 7
	s_nop 1
	flat_store_dwordx4 v[18:19], a[0:3] offset:144
	flat_load_dwordx4 v[20:23], v[0:1] offset:16
	s_nop 0
	flat_load_dwordx2 v[18:19], v[0:1] offset:32
	s_waitcnt vmcnt(0) lgkmcnt(0)
	flat_load_dwordx4 v[14:17], v[20:21] offset:32
	flat_load_dwordx4 v[6:9], v[20:21] offset:48
	;; [unrolled: 1-line block ×4, first 2 shown]
	s_waitcnt vmcnt(0) lgkmcnt(0)
	v_cmp_gt_i16_sdwa s[6:7], v14, s4 src0_sel:BYTE_0 src1_sel:DWORD
	s_mov_b64 s[4:5], 0
	s_and_saveexec_b64 s[8:9], s[6:7]
	s_xor_b64 s[6:7], exec, s[8:9]
	s_cbranch_execnz .LBB29_2561
; %bb.513:
	s_or_saveexec_b64 s[6:7], s[6:7]
	v_mov_b32_e32 v20, s10
	s_xor_b64 exec, exec, s[6:7]
	s_cbranch_execnz .LBB29_2564
.LBB29_514:
	s_or_b64 exec, exec, s[6:7]
	s_and_saveexec_b64 s[6:7], s[4:5]
	s_cbranch_execz .LBB29_516
.LBB29_515:
	v_and_b32_e32 v20, 7, v14
	v_ffbh_u32_e32 v22, v20
	v_min_u32_e32 v22, 32, v22
	v_lshrrev_b16_e32 v21, 3, v14
	v_subrev_u32_e32 v23, 28, v22
	v_and_b32_e32 v21, 15, v21
	v_lshlrev_b32_e32 v23, v23, v14
	v_sub_u32_e32 v22, 29, v22
	v_and_b32_e32 v23, 7, v23
	v_cmp_eq_u16_e32 vcc, 0, v21
	v_cndmask_b32_e32 v20, v20, v23, vcc
	v_cndmask_b32_e32 v21, v21, v22, vcc
	v_lshlrev_b32_e32 v22, 24, v14
	v_mov_b32_e32 v23, 0x3b800000
	v_lshlrev_b32_e32 v20, 20, v20
	v_and_b32_e32 v22, 0x80000000, v22
	v_lshl_add_u32 v21, v21, 23, v23
	v_or3_b32 v20, v22, v21, v20
.LBB29_516:
	s_or_b64 exec, exec, s[6:7]
	s_movk_i32 s4, 0x7f
	v_cmp_gt_i16_sdwa s[6:7], v10, s4 src0_sel:BYTE_0 src1_sel:DWORD
	s_mov_b64 s[4:5], 0
                                        ; implicit-def: $sgpr10
	s_and_saveexec_b64 s[8:9], s[6:7]
	s_xor_b64 s[6:7], exec, s[8:9]
	s_cbranch_execnz .LBB29_2565
; %bb.517:
	s_or_saveexec_b64 s[6:7], s[6:7]
	v_mov_b32_e32 v21, s10
	s_xor_b64 exec, exec, s[6:7]
	s_cbranch_execnz .LBB29_2568
.LBB29_518:
	s_or_b64 exec, exec, s[6:7]
	s_and_saveexec_b64 s[6:7], s[4:5]
	s_cbranch_execz .LBB29_520
.LBB29_519:
	v_and_b32_e32 v21, 7, v10
	v_ffbh_u32_e32 v23, v21
	v_min_u32_e32 v23, 32, v23
	v_lshrrev_b16_e32 v22, 3, v10
	v_subrev_u32_e32 v24, 28, v23
	v_and_b32_e32 v22, 15, v22
	v_lshlrev_b32_e32 v24, v24, v10
	v_sub_u32_e32 v23, 29, v23
	v_and_b32_e32 v24, 7, v24
	v_cmp_eq_u16_e32 vcc, 0, v22
	v_cndmask_b32_e32 v21, v21, v24, vcc
	v_cndmask_b32_e32 v22, v22, v23, vcc
	v_lshlrev_b32_e32 v23, 24, v10
	v_mov_b32_e32 v24, 0x3b800000
	v_lshlrev_b32_e32 v21, 20, v21
	v_and_b32_e32 v23, 0x80000000, v23
	v_lshl_add_u32 v22, v22, 23, v24
	v_or3_b32 v21, v23, v22, v21
.LBB29_520:
	s_or_b64 exec, exec, s[6:7]
	flat_load_dwordx4 a[0:3], v[18:19] offset:160
	s_movk_i32 s4, 0x7f
                                        ; implicit-def: $sgpr10
	s_waitcnt vmcnt(0) lgkmcnt(0)
	v_mfma_f32_16x16x4f32 a[0:3], v20, v21, a[0:3]
	v_lshrrev_b32_e32 v21, 8, v14
	v_cmp_gt_i16_sdwa s[6:7], v21, s4 src0_sel:BYTE_0 src1_sel:DWORD
	s_mov_b64 s[4:5], 0
	s_and_saveexec_b64 s[8:9], s[6:7]
	s_xor_b64 s[6:7], exec, s[8:9]
	s_cbranch_execnz .LBB29_2569
; %bb.521:
	s_or_saveexec_b64 s[6:7], s[6:7]
	v_mov_b32_e32 v20, s10
	s_xor_b64 exec, exec, s[6:7]
	s_cbranch_execnz .LBB29_2572
.LBB29_522:
	s_or_b64 exec, exec, s[6:7]
	s_and_saveexec_b64 s[6:7], s[4:5]
	s_cbranch_execz .LBB29_524
.LBB29_523:
	v_bfe_u32 v20, v14, 8, 3
	v_ffbh_u32_e32 v23, v20
	v_min_u32_e32 v23, 32, v23
	v_lshrrev_b16_e32 v22, 3, v21
	v_subrev_u32_e32 v24, 28, v23
	v_and_b32_e32 v22, 15, v22
	v_lshlrev_b32_e32 v21, v24, v21
	v_sub_u32_e32 v23, 29, v23
	v_and_b32_e32 v21, 7, v21
	v_cmp_eq_u16_e32 vcc, 0, v22
	v_cndmask_b32_e32 v20, v20, v21, vcc
	v_cndmask_b32_e32 v21, v22, v23, vcc
	v_lshlrev_b32_e32 v22, 16, v14
	v_mov_b32_e32 v23, 0x3b800000
	v_lshlrev_b32_e32 v20, 20, v20
	v_and_b32_e32 v22, 0x80000000, v22
	v_lshl_add_u32 v21, v21, 23, v23
	v_or3_b32 v20, v22, v21, v20
.LBB29_524:
	s_or_b64 exec, exec, s[6:7]
	v_lshrrev_b32_e32 v21, 8, v10
	s_movk_i32 s4, 0x7f
	v_cmp_gt_i16_sdwa s[6:7], v21, s4 src0_sel:BYTE_0 src1_sel:DWORD
	s_mov_b64 s[4:5], 0
                                        ; implicit-def: $sgpr10
	s_and_saveexec_b64 s[8:9], s[6:7]
	s_xor_b64 s[6:7], exec, s[8:9]
	s_cbranch_execnz .LBB29_2573
; %bb.525:
	s_or_saveexec_b64 s[6:7], s[6:7]
	v_mov_b32_e32 v22, s10
	s_xor_b64 exec, exec, s[6:7]
	s_cbranch_execnz .LBB29_2576
.LBB29_526:
	s_or_b64 exec, exec, s[6:7]
	s_and_saveexec_b64 s[6:7], s[4:5]
	s_cbranch_execz .LBB29_528
.LBB29_527:
	v_bfe_u32 v22, v10, 8, 3
	v_ffbh_u32_e32 v24, v22
	v_min_u32_e32 v24, 32, v24
	v_lshrrev_b16_e32 v23, 3, v21
	v_subrev_u32_e32 v25, 28, v24
	v_and_b32_e32 v23, 15, v23
	v_lshlrev_b32_e32 v21, v25, v21
	v_sub_u32_e32 v24, 29, v24
	v_and_b32_e32 v21, 7, v21
	v_cmp_eq_u16_e32 vcc, 0, v23
	v_cndmask_b32_e32 v21, v22, v21, vcc
	v_cndmask_b32_e32 v22, v23, v24, vcc
	v_lshlrev_b32_e32 v23, 16, v10
	v_mov_b32_e32 v24, 0x3b800000
	v_lshlrev_b32_e32 v21, 20, v21
	v_and_b32_e32 v23, 0x80000000, v23
	v_lshl_add_u32 v22, v22, 23, v24
	v_or3_b32 v22, v23, v22, v21
.LBB29_528:
	s_or_b64 exec, exec, s[6:7]
	s_nop 0
	v_mfma_f32_16x16x4f32 a[0:3], v20, v22, a[0:3]
	s_movk_i32 s4, 0xff
	v_and_b32_sdwa v21, v14, s4 dst_sel:DWORD dst_unused:UNUSED_PAD src0_sel:WORD_1 src1_sel:DWORD
	s_movk_i32 s4, 0x7f
	v_cmp_lt_i16_e32 vcc, s4, v21
	s_mov_b64 s[4:5], 0
                                        ; implicit-def: $sgpr10
	s_and_saveexec_b64 s[6:7], vcc
	s_xor_b64 s[6:7], exec, s[6:7]
	s_cbranch_execnz .LBB29_2577
; %bb.529:
	s_or_saveexec_b64 s[6:7], s[6:7]
	v_mov_b32_e32 v20, s10
	s_xor_b64 exec, exec, s[6:7]
	s_cbranch_execnz .LBB29_2580
.LBB29_530:
	s_or_b64 exec, exec, s[6:7]
	s_and_saveexec_b64 s[6:7], s[4:5]
	s_cbranch_execz .LBB29_532
.LBB29_531:
	v_bfe_u32 v20, v14, 16, 3
	v_ffbh_u32_e32 v23, v20
	v_min_u32_e32 v23, 32, v23
	v_lshrrev_b32_e32 v21, 19, v14
	v_subrev_u32_e32 v24, 28, v23
	v_and_b32_e32 v21, 15, v21
	v_lshlrev_b32_sdwa v24, v24, v14 dst_sel:DWORD dst_unused:UNUSED_PAD src0_sel:DWORD src1_sel:WORD_1
	v_bfe_u32 v22, v14, 19, 4
	v_sub_u32_e32 v23, 29, v23
	v_and_b32_e32 v24, 7, v24
	v_cmp_eq_u16_e32 vcc, 0, v21
	v_cndmask_b32_e32 v20, v20, v24, vcc
	v_cndmask_b32_e32 v21, v22, v23, vcc
	v_lshlrev_b32_e32 v22, 8, v14
	v_mov_b32_e32 v23, 0x3b800000
	v_lshlrev_b32_e32 v20, 20, v20
	v_and_b32_e32 v22, 0x80000000, v22
	v_lshl_add_u32 v21, v21, 23, v23
	v_or3_b32 v20, v22, v21, v20
.LBB29_532:
	s_or_b64 exec, exec, s[6:7]
	s_movk_i32 s4, 0xff
	v_and_b32_sdwa v21, v10, s4 dst_sel:DWORD dst_unused:UNUSED_PAD src0_sel:WORD_1 src1_sel:DWORD
	s_movk_i32 s4, 0x7f
	v_cmp_lt_i16_e32 vcc, s4, v21
	s_mov_b64 s[4:5], 0
                                        ; implicit-def: $sgpr10
	s_and_saveexec_b64 s[6:7], vcc
	s_xor_b64 s[6:7], exec, s[6:7]
	s_cbranch_execnz .LBB29_2581
; %bb.533:
	s_or_saveexec_b64 s[6:7], s[6:7]
	v_mov_b32_e32 v22, s10
	s_xor_b64 exec, exec, s[6:7]
	s_cbranch_execnz .LBB29_2584
.LBB29_534:
	s_or_b64 exec, exec, s[6:7]
	s_and_saveexec_b64 s[6:7], s[4:5]
	s_cbranch_execz .LBB29_536
.LBB29_535:
	v_bfe_u32 v21, v10, 16, 3
	v_ffbh_u32_e32 v24, v21
	v_min_u32_e32 v24, 32, v24
	v_lshrrev_b32_e32 v22, 19, v10
	v_subrev_u32_e32 v25, 28, v24
	v_and_b32_e32 v22, 15, v22
	v_lshlrev_b32_sdwa v25, v25, v10 dst_sel:DWORD dst_unused:UNUSED_PAD src0_sel:DWORD src1_sel:WORD_1
	v_bfe_u32 v23, v10, 19, 4
	v_sub_u32_e32 v24, 29, v24
	v_and_b32_e32 v25, 7, v25
	v_cmp_eq_u16_e32 vcc, 0, v22
	v_cndmask_b32_e32 v21, v21, v25, vcc
	v_cndmask_b32_e32 v22, v23, v24, vcc
	v_lshlrev_b32_e32 v23, 8, v10
	v_mov_b32_e32 v24, 0x3b800000
	v_lshlrev_b32_e32 v21, 20, v21
	v_and_b32_e32 v23, 0x80000000, v23
	v_lshl_add_u32 v22, v22, 23, v24
	v_or3_b32 v22, v23, v22, v21
.LBB29_536:
	s_or_b64 exec, exec, s[6:7]
	s_nop 0
	v_mfma_f32_16x16x4f32 a[0:3], v20, v22, a[0:3]
	s_movk_i32 s4, 0x7f
	v_cmp_gt_i16_sdwa s[6:7], v14, s4 src0_sel:BYTE_3 src1_sel:DWORD
	s_mov_b64 s[4:5], 0
                                        ; implicit-def: $sgpr10
	s_and_saveexec_b64 s[8:9], s[6:7]
	s_xor_b64 s[6:7], exec, s[8:9]
	s_cbranch_execnz .LBB29_2585
; %bb.537:
	s_or_saveexec_b64 s[6:7], s[6:7]
	v_mov_b32_e32 v20, s10
	s_xor_b64 exec, exec, s[6:7]
	s_cbranch_execnz .LBB29_2588
.LBB29_538:
	s_or_b64 exec, exec, s[6:7]
	s_and_saveexec_b64 s[6:7], s[4:5]
	s_cbranch_execz .LBB29_540
.LBB29_539:
	v_bfe_u32 v20, v14, 24, 3
	v_ffbh_u32_e32 v24, v20
	v_min_u32_e32 v24, 32, v24
	v_lshrrev_b32_e32 v22, 27, v14
	v_subrev_u32_e32 v25, 28, v24
	v_and_b32_e32 v21, 0x80000000, v14
	v_and_b32_e32 v22, 15, v22
	v_bfe_u32 v23, v14, 27, 4
	v_lshlrev_b32_sdwa v14, v25, v14 dst_sel:DWORD dst_unused:UNUSED_PAD src0_sel:DWORD src1_sel:BYTE_3
	v_sub_u32_e32 v24, 29, v24
	v_and_b32_e32 v14, 7, v14
	v_cmp_eq_u16_e32 vcc, 0, v22
	v_cndmask_b32_e32 v14, v20, v14, vcc
	v_cndmask_b32_e32 v20, v23, v24, vcc
	v_mov_b32_e32 v22, 0x3b800000
	v_lshlrev_b32_e32 v14, 20, v14
	v_lshl_add_u32 v20, v20, 23, v22
	v_or3_b32 v20, v21, v20, v14
.LBB29_540:
	s_or_b64 exec, exec, s[6:7]
	s_movk_i32 s4, 0x7f
	v_cmp_gt_i16_sdwa s[6:7], v10, s4 src0_sel:BYTE_3 src1_sel:DWORD
	s_mov_b64 s[4:5], 0
                                        ; implicit-def: $sgpr10
	s_and_saveexec_b64 s[8:9], s[6:7]
	s_xor_b64 s[6:7], exec, s[8:9]
	s_cbranch_execnz .LBB29_2589
; %bb.541:
	s_or_saveexec_b64 s[6:7], s[6:7]
	v_mov_b32_e32 v14, s10
	s_xor_b64 exec, exec, s[6:7]
	s_cbranch_execnz .LBB29_2592
.LBB29_542:
	s_or_b64 exec, exec, s[6:7]
	s_and_saveexec_b64 s[6:7], s[4:5]
	s_cbranch_execz .LBB29_544
.LBB29_543:
	v_bfe_u32 v14, v10, 24, 3
	v_ffbh_u32_e32 v24, v14
	v_min_u32_e32 v24, 32, v24
	v_lshrrev_b32_e32 v22, 27, v10
	v_subrev_u32_e32 v25, 28, v24
	v_and_b32_e32 v21, 0x80000000, v10
	v_and_b32_e32 v22, 15, v22
	v_bfe_u32 v23, v10, 27, 4
	v_lshlrev_b32_sdwa v10, v25, v10 dst_sel:DWORD dst_unused:UNUSED_PAD src0_sel:DWORD src1_sel:BYTE_3
	v_sub_u32_e32 v24, 29, v24
	v_and_b32_e32 v10, 7, v10
	v_cmp_eq_u16_e32 vcc, 0, v22
	v_cndmask_b32_e32 v10, v14, v10, vcc
	v_cndmask_b32_e32 v14, v23, v24, vcc
	v_mov_b32_e32 v22, 0x3b800000
	v_lshlrev_b32_e32 v10, 20, v10
	v_lshl_add_u32 v14, v14, 23, v22
	v_or3_b32 v14, v21, v14, v10
.LBB29_544:
	s_or_b64 exec, exec, s[6:7]
	s_nop 0
	v_mfma_f32_16x16x4f32 a[0:3], v20, v14, a[0:3]
	s_movk_i32 s4, 0x7f
	v_cmp_gt_i16_sdwa s[6:7], v15, s4 src0_sel:BYTE_0 src1_sel:DWORD
	s_mov_b64 s[4:5], 0
                                        ; implicit-def: $sgpr10
	s_and_saveexec_b64 s[8:9], s[6:7]
	s_xor_b64 s[6:7], exec, s[8:9]
	s_cbranch_execnz .LBB29_2593
; %bb.545:
	s_or_saveexec_b64 s[6:7], s[6:7]
	v_mov_b32_e32 v10, s10
	s_xor_b64 exec, exec, s[6:7]
	s_cbranch_execnz .LBB29_2596
.LBB29_546:
	s_or_b64 exec, exec, s[6:7]
	s_and_saveexec_b64 s[6:7], s[4:5]
	s_cbranch_execz .LBB29_548
.LBB29_547:
	v_and_b32_e32 v10, 7, v15
	v_ffbh_u32_e32 v20, v10
	v_min_u32_e32 v20, 32, v20
	v_lshrrev_b16_e32 v14, 3, v15
	v_subrev_u32_e32 v21, 28, v20
	v_and_b32_e32 v14, 15, v14
	v_lshlrev_b32_e32 v21, v21, v15
	v_sub_u32_e32 v20, 29, v20
	v_and_b32_e32 v21, 7, v21
	v_cmp_eq_u16_e32 vcc, 0, v14
	v_cndmask_b32_e32 v10, v10, v21, vcc
	v_cndmask_b32_e32 v14, v14, v20, vcc
	v_lshlrev_b32_e32 v20, 24, v15
	v_mov_b32_e32 v21, 0x3b800000
	v_lshlrev_b32_e32 v10, 20, v10
	v_and_b32_e32 v20, 0x80000000, v20
	v_lshl_add_u32 v14, v14, 23, v21
	v_or3_b32 v10, v20, v14, v10
.LBB29_548:
	s_or_b64 exec, exec, s[6:7]
	s_movk_i32 s4, 0x7f
	v_cmp_gt_i16_sdwa s[6:7], v11, s4 src0_sel:BYTE_0 src1_sel:DWORD
	s_mov_b64 s[4:5], 0
                                        ; implicit-def: $sgpr10
	s_and_saveexec_b64 s[8:9], s[6:7]
	s_xor_b64 s[6:7], exec, s[8:9]
	s_cbranch_execnz .LBB29_2597
; %bb.549:
	s_or_saveexec_b64 s[6:7], s[6:7]
	v_mov_b32_e32 v14, s10
	s_xor_b64 exec, exec, s[6:7]
	s_cbranch_execnz .LBB29_2600
.LBB29_550:
	s_or_b64 exec, exec, s[6:7]
	s_and_saveexec_b64 s[6:7], s[4:5]
	s_cbranch_execz .LBB29_552
.LBB29_551:
	v_and_b32_e32 v14, 7, v11
	v_ffbh_u32_e32 v21, v14
	v_min_u32_e32 v21, 32, v21
	v_lshrrev_b16_e32 v20, 3, v11
	v_subrev_u32_e32 v22, 28, v21
	v_and_b32_e32 v20, 15, v20
	v_lshlrev_b32_e32 v22, v22, v11
	v_sub_u32_e32 v21, 29, v21
	v_and_b32_e32 v22, 7, v22
	v_cmp_eq_u16_e32 vcc, 0, v20
	v_cndmask_b32_e32 v14, v14, v22, vcc
	v_cndmask_b32_e32 v20, v20, v21, vcc
	v_lshlrev_b32_e32 v21, 24, v11
	v_mov_b32_e32 v22, 0x3b800000
	v_lshlrev_b32_e32 v14, 20, v14
	v_and_b32_e32 v21, 0x80000000, v21
	v_lshl_add_u32 v20, v20, 23, v22
	v_or3_b32 v14, v21, v20, v14
.LBB29_552:
	s_or_b64 exec, exec, s[6:7]
	s_nop 0
	v_mfma_f32_16x16x4f32 a[0:3], v10, v14, a[0:3]
	v_lshrrev_b32_e32 v14, 8, v15
	s_movk_i32 s4, 0x7f
	v_cmp_gt_i16_sdwa s[6:7], v14, s4 src0_sel:BYTE_0 src1_sel:DWORD
	s_mov_b64 s[4:5], 0
                                        ; implicit-def: $sgpr10
	s_and_saveexec_b64 s[8:9], s[6:7]
	s_xor_b64 s[6:7], exec, s[8:9]
	s_cbranch_execnz .LBB29_2601
; %bb.553:
	s_or_saveexec_b64 s[6:7], s[6:7]
	v_mov_b32_e32 v10, s10
	s_xor_b64 exec, exec, s[6:7]
	s_cbranch_execnz .LBB29_2604
.LBB29_554:
	s_or_b64 exec, exec, s[6:7]
	s_and_saveexec_b64 s[6:7], s[4:5]
	s_cbranch_execz .LBB29_556
.LBB29_555:
	v_bfe_u32 v10, v15, 8, 3
	v_ffbh_u32_e32 v21, v10
	v_min_u32_e32 v21, 32, v21
	v_lshrrev_b16_e32 v20, 3, v14
	v_subrev_u32_e32 v22, 28, v21
	v_and_b32_e32 v20, 15, v20
	v_lshlrev_b32_e32 v14, v22, v14
	v_sub_u32_e32 v21, 29, v21
	v_and_b32_e32 v14, 7, v14
	v_cmp_eq_u16_e32 vcc, 0, v20
	v_cndmask_b32_e32 v10, v10, v14, vcc
	v_cndmask_b32_e32 v14, v20, v21, vcc
	v_lshlrev_b32_e32 v20, 16, v15
	v_mov_b32_e32 v21, 0x3b800000
	v_lshlrev_b32_e32 v10, 20, v10
	v_and_b32_e32 v20, 0x80000000, v20
	v_lshl_add_u32 v14, v14, 23, v21
	v_or3_b32 v10, v20, v14, v10
.LBB29_556:
	s_or_b64 exec, exec, s[6:7]
	v_lshrrev_b32_e32 v14, 8, v11
	s_movk_i32 s4, 0x7f
	v_cmp_gt_i16_sdwa s[6:7], v14, s4 src0_sel:BYTE_0 src1_sel:DWORD
	s_mov_b64 s[4:5], 0
                                        ; implicit-def: $sgpr10
	s_and_saveexec_b64 s[8:9], s[6:7]
	s_xor_b64 s[6:7], exec, s[8:9]
	s_cbranch_execnz .LBB29_2605
; %bb.557:
	s_or_saveexec_b64 s[6:7], s[6:7]
	v_mov_b32_e32 v20, s10
	s_xor_b64 exec, exec, s[6:7]
	s_cbranch_execnz .LBB29_2608
.LBB29_558:
	s_or_b64 exec, exec, s[6:7]
	s_and_saveexec_b64 s[6:7], s[4:5]
	s_cbranch_execz .LBB29_560
.LBB29_559:
	v_bfe_u32 v20, v11, 8, 3
	v_ffbh_u32_e32 v22, v20
	v_min_u32_e32 v22, 32, v22
	v_lshrrev_b16_e32 v21, 3, v14
	v_subrev_u32_e32 v23, 28, v22
	v_and_b32_e32 v21, 15, v21
	v_lshlrev_b32_e32 v14, v23, v14
	v_sub_u32_e32 v22, 29, v22
	v_and_b32_e32 v14, 7, v14
	v_cmp_eq_u16_e32 vcc, 0, v21
	v_cndmask_b32_e32 v14, v20, v14, vcc
	v_cndmask_b32_e32 v20, v21, v22, vcc
	v_lshlrev_b32_e32 v21, 16, v11
	v_mov_b32_e32 v22, 0x3b800000
	v_lshlrev_b32_e32 v14, 20, v14
	v_and_b32_e32 v21, 0x80000000, v21
	v_lshl_add_u32 v20, v20, 23, v22
	v_or3_b32 v20, v21, v20, v14
.LBB29_560:
	s_or_b64 exec, exec, s[6:7]
	s_nop 0
	v_mfma_f32_16x16x4f32 a[0:3], v10, v20, a[0:3]
	s_movk_i32 s4, 0xff
	v_and_b32_sdwa v14, v15, s4 dst_sel:DWORD dst_unused:UNUSED_PAD src0_sel:WORD_1 src1_sel:DWORD
	s_movk_i32 s4, 0x7f
	v_cmp_lt_i16_e32 vcc, s4, v14
	s_mov_b64 s[4:5], 0
                                        ; implicit-def: $sgpr10
	s_and_saveexec_b64 s[6:7], vcc
	s_xor_b64 s[6:7], exec, s[6:7]
	s_cbranch_execnz .LBB29_2609
; %bb.561:
	s_or_saveexec_b64 s[6:7], s[6:7]
	v_mov_b32_e32 v10, s10
	s_xor_b64 exec, exec, s[6:7]
	s_cbranch_execnz .LBB29_2612
.LBB29_562:
	s_or_b64 exec, exec, s[6:7]
	s_and_saveexec_b64 s[6:7], s[4:5]
	s_cbranch_execz .LBB29_564
.LBB29_563:
	v_bfe_u32 v10, v15, 16, 3
	v_ffbh_u32_e32 v21, v10
	v_min_u32_e32 v21, 32, v21
	v_lshrrev_b32_e32 v14, 19, v15
	v_subrev_u32_e32 v22, 28, v21
	v_and_b32_e32 v14, 15, v14
	v_lshlrev_b32_sdwa v22, v22, v15 dst_sel:DWORD dst_unused:UNUSED_PAD src0_sel:DWORD src1_sel:WORD_1
	v_bfe_u32 v20, v15, 19, 4
	v_sub_u32_e32 v21, 29, v21
	v_and_b32_e32 v22, 7, v22
	v_cmp_eq_u16_e32 vcc, 0, v14
	v_cndmask_b32_e32 v10, v10, v22, vcc
	v_cndmask_b32_e32 v14, v20, v21, vcc
	v_lshlrev_b32_e32 v20, 8, v15
	v_mov_b32_e32 v21, 0x3b800000
	v_lshlrev_b32_e32 v10, 20, v10
	v_and_b32_e32 v20, 0x80000000, v20
	v_lshl_add_u32 v14, v14, 23, v21
	v_or3_b32 v10, v20, v14, v10
.LBB29_564:
	s_or_b64 exec, exec, s[6:7]
	s_movk_i32 s4, 0xff
	v_and_b32_sdwa v14, v11, s4 dst_sel:DWORD dst_unused:UNUSED_PAD src0_sel:WORD_1 src1_sel:DWORD
	s_movk_i32 s4, 0x7f
	v_cmp_lt_i16_e32 vcc, s4, v14
	s_mov_b64 s[4:5], 0
                                        ; implicit-def: $sgpr10
	s_and_saveexec_b64 s[6:7], vcc
	s_xor_b64 s[6:7], exec, s[6:7]
	s_cbranch_execnz .LBB29_2613
; %bb.565:
	s_or_saveexec_b64 s[6:7], s[6:7]
	v_mov_b32_e32 v20, s10
	s_xor_b64 exec, exec, s[6:7]
	s_cbranch_execnz .LBB29_2616
.LBB29_566:
	s_or_b64 exec, exec, s[6:7]
	s_and_saveexec_b64 s[6:7], s[4:5]
	s_cbranch_execz .LBB29_568
.LBB29_567:
	v_bfe_u32 v14, v11, 16, 3
	v_ffbh_u32_e32 v22, v14
	v_min_u32_e32 v22, 32, v22
	v_lshrrev_b32_e32 v20, 19, v11
	v_subrev_u32_e32 v23, 28, v22
	v_and_b32_e32 v20, 15, v20
	v_lshlrev_b32_sdwa v23, v23, v11 dst_sel:DWORD dst_unused:UNUSED_PAD src0_sel:DWORD src1_sel:WORD_1
	v_bfe_u32 v21, v11, 19, 4
	v_sub_u32_e32 v22, 29, v22
	v_and_b32_e32 v23, 7, v23
	v_cmp_eq_u16_e32 vcc, 0, v20
	v_cndmask_b32_e32 v14, v14, v23, vcc
	v_cndmask_b32_e32 v20, v21, v22, vcc
	v_lshlrev_b32_e32 v21, 8, v11
	v_mov_b32_e32 v22, 0x3b800000
	v_lshlrev_b32_e32 v14, 20, v14
	v_and_b32_e32 v21, 0x80000000, v21
	v_lshl_add_u32 v20, v20, 23, v22
	v_or3_b32 v20, v21, v20, v14
.LBB29_568:
	s_or_b64 exec, exec, s[6:7]
	s_nop 0
	v_mfma_f32_16x16x4f32 a[0:3], v10, v20, a[0:3]
	s_movk_i32 s4, 0x7f
	v_cmp_gt_i16_sdwa s[6:7], v15, s4 src0_sel:BYTE_3 src1_sel:DWORD
	s_mov_b64 s[4:5], 0
                                        ; implicit-def: $sgpr10
	s_and_saveexec_b64 s[8:9], s[6:7]
	s_xor_b64 s[6:7], exec, s[8:9]
	s_cbranch_execnz .LBB29_2617
; %bb.569:
	s_or_saveexec_b64 s[6:7], s[6:7]
	v_mov_b32_e32 v10, s10
	s_xor_b64 exec, exec, s[6:7]
	s_cbranch_execnz .LBB29_2620
.LBB29_570:
	s_or_b64 exec, exec, s[6:7]
	s_and_saveexec_b64 s[6:7], s[4:5]
	s_cbranch_execz .LBB29_572
.LBB29_571:
	v_bfe_u32 v10, v15, 24, 3
	v_ffbh_u32_e32 v22, v10
	v_min_u32_e32 v22, 32, v22
	v_lshrrev_b32_e32 v20, 27, v15
	v_subrev_u32_e32 v23, 28, v22
	v_and_b32_e32 v14, 0x80000000, v15
	v_and_b32_e32 v20, 15, v20
	v_bfe_u32 v21, v15, 27, 4
	v_lshlrev_b32_sdwa v15, v23, v15 dst_sel:DWORD dst_unused:UNUSED_PAD src0_sel:DWORD src1_sel:BYTE_3
	v_sub_u32_e32 v22, 29, v22
	v_and_b32_e32 v15, 7, v15
	v_cmp_eq_u16_e32 vcc, 0, v20
	v_cndmask_b32_e32 v10, v10, v15, vcc
	v_cndmask_b32_e32 v15, v21, v22, vcc
	v_mov_b32_e32 v20, 0x3b800000
	v_lshlrev_b32_e32 v10, 20, v10
	v_lshl_add_u32 v15, v15, 23, v20
	v_or3_b32 v10, v14, v15, v10
.LBB29_572:
	s_or_b64 exec, exec, s[6:7]
	s_movk_i32 s4, 0x7f
	v_cmp_gt_i16_sdwa s[6:7], v11, s4 src0_sel:BYTE_3 src1_sel:DWORD
	s_mov_b64 s[4:5], 0
                                        ; implicit-def: $sgpr10
	s_and_saveexec_b64 s[8:9], s[6:7]
	s_xor_b64 s[6:7], exec, s[8:9]
	s_cbranch_execnz .LBB29_2621
; %bb.573:
	s_or_saveexec_b64 s[6:7], s[6:7]
	v_mov_b32_e32 v14, s10
	s_xor_b64 exec, exec, s[6:7]
	s_cbranch_execnz .LBB29_2624
.LBB29_574:
	s_or_b64 exec, exec, s[6:7]
	s_and_saveexec_b64 s[6:7], s[4:5]
	s_cbranch_execz .LBB29_576
.LBB29_575:
	v_bfe_u32 v14, v11, 24, 3
	v_ffbh_u32_e32 v22, v14
	v_min_u32_e32 v22, 32, v22
	v_lshrrev_b32_e32 v20, 27, v11
	v_subrev_u32_e32 v23, 28, v22
	v_and_b32_e32 v15, 0x80000000, v11
	v_and_b32_e32 v20, 15, v20
	v_bfe_u32 v21, v11, 27, 4
	v_lshlrev_b32_sdwa v11, v23, v11 dst_sel:DWORD dst_unused:UNUSED_PAD src0_sel:DWORD src1_sel:BYTE_3
	v_sub_u32_e32 v22, 29, v22
	v_and_b32_e32 v11, 7, v11
	v_cmp_eq_u16_e32 vcc, 0, v20
	v_cndmask_b32_e32 v11, v14, v11, vcc
	v_cndmask_b32_e32 v14, v21, v22, vcc
	v_mov_b32_e32 v20, 0x3b800000
	v_lshlrev_b32_e32 v11, 20, v11
	v_lshl_add_u32 v14, v14, 23, v20
	v_or3_b32 v14, v15, v14, v11
.LBB29_576:
	s_or_b64 exec, exec, s[6:7]
	s_nop 0
	v_mfma_f32_16x16x4f32 a[0:3], v10, v14, a[0:3]
	s_movk_i32 s4, 0x7f
	v_cmp_gt_i16_sdwa s[6:7], v16, s4 src0_sel:BYTE_0 src1_sel:DWORD
	s_mov_b64 s[4:5], 0
                                        ; implicit-def: $sgpr10
	s_and_saveexec_b64 s[8:9], s[6:7]
	s_xor_b64 s[6:7], exec, s[8:9]
	s_cbranch_execnz .LBB29_2625
; %bb.577:
	s_or_saveexec_b64 s[6:7], s[6:7]
	v_mov_b32_e32 v10, s10
	s_xor_b64 exec, exec, s[6:7]
	s_cbranch_execnz .LBB29_2628
.LBB29_578:
	s_or_b64 exec, exec, s[6:7]
	s_and_saveexec_b64 s[6:7], s[4:5]
	s_cbranch_execz .LBB29_580
.LBB29_579:
	v_and_b32_e32 v10, 7, v16
	v_ffbh_u32_e32 v14, v10
	v_min_u32_e32 v14, 32, v14
	v_lshrrev_b16_e32 v11, 3, v16
	v_subrev_u32_e32 v15, 28, v14
	v_and_b32_e32 v11, 15, v11
	v_lshlrev_b32_e32 v15, v15, v16
	v_sub_u32_e32 v14, 29, v14
	v_and_b32_e32 v15, 7, v15
	v_cmp_eq_u16_e32 vcc, 0, v11
	v_cndmask_b32_e32 v10, v10, v15, vcc
	v_cndmask_b32_e32 v11, v11, v14, vcc
	v_lshlrev_b32_e32 v14, 24, v16
	v_mov_b32_e32 v15, 0x3b800000
	v_lshlrev_b32_e32 v10, 20, v10
	v_and_b32_e32 v14, 0x80000000, v14
	v_lshl_add_u32 v11, v11, 23, v15
	v_or3_b32 v10, v14, v11, v10
.LBB29_580:
	s_or_b64 exec, exec, s[6:7]
	s_movk_i32 s4, 0x7f
	v_cmp_gt_i16_sdwa s[6:7], v12, s4 src0_sel:BYTE_0 src1_sel:DWORD
	s_mov_b64 s[4:5], 0
                                        ; implicit-def: $sgpr10
	s_and_saveexec_b64 s[8:9], s[6:7]
	s_xor_b64 s[6:7], exec, s[8:9]
	s_cbranch_execnz .LBB29_2629
; %bb.581:
	s_or_saveexec_b64 s[6:7], s[6:7]
	v_mov_b32_e32 v11, s10
	s_xor_b64 exec, exec, s[6:7]
	s_cbranch_execnz .LBB29_2632
.LBB29_582:
	s_or_b64 exec, exec, s[6:7]
	s_and_saveexec_b64 s[6:7], s[4:5]
	s_cbranch_execz .LBB29_584
.LBB29_583:
	v_and_b32_e32 v11, 7, v12
	v_ffbh_u32_e32 v15, v11
	v_min_u32_e32 v15, 32, v15
	v_lshrrev_b16_e32 v14, 3, v12
	v_subrev_u32_e32 v20, 28, v15
	v_and_b32_e32 v14, 15, v14
	v_lshlrev_b32_e32 v20, v20, v12
	v_sub_u32_e32 v15, 29, v15
	v_and_b32_e32 v20, 7, v20
	v_cmp_eq_u16_e32 vcc, 0, v14
	v_cndmask_b32_e32 v11, v11, v20, vcc
	v_cndmask_b32_e32 v14, v14, v15, vcc
	v_lshlrev_b32_e32 v15, 24, v12
	v_mov_b32_e32 v20, 0x3b800000
	v_lshlrev_b32_e32 v11, 20, v11
	v_and_b32_e32 v15, 0x80000000, v15
	v_lshl_add_u32 v14, v14, 23, v20
	v_or3_b32 v11, v15, v14, v11
.LBB29_584:
	s_or_b64 exec, exec, s[6:7]
	s_nop 0
	v_mfma_f32_16x16x4f32 a[0:3], v10, v11, a[0:3]
	v_lshrrev_b32_e32 v11, 8, v16
	s_movk_i32 s4, 0x7f
	v_cmp_gt_i16_sdwa s[6:7], v11, s4 src0_sel:BYTE_0 src1_sel:DWORD
	s_mov_b64 s[4:5], 0
                                        ; implicit-def: $sgpr10
	s_and_saveexec_b64 s[8:9], s[6:7]
	s_xor_b64 s[6:7], exec, s[8:9]
	s_cbranch_execnz .LBB29_2633
; %bb.585:
	s_or_saveexec_b64 s[6:7], s[6:7]
	v_mov_b32_e32 v10, s10
	s_xor_b64 exec, exec, s[6:7]
	s_cbranch_execnz .LBB29_2636
.LBB29_586:
	s_or_b64 exec, exec, s[6:7]
	s_and_saveexec_b64 s[6:7], s[4:5]
	s_cbranch_execz .LBB29_588
.LBB29_587:
	v_bfe_u32 v10, v16, 8, 3
	v_ffbh_u32_e32 v15, v10
	v_min_u32_e32 v15, 32, v15
	v_lshrrev_b16_e32 v14, 3, v11
	v_subrev_u32_e32 v20, 28, v15
	v_and_b32_e32 v14, 15, v14
	v_lshlrev_b32_e32 v11, v20, v11
	v_sub_u32_e32 v15, 29, v15
	v_and_b32_e32 v11, 7, v11
	v_cmp_eq_u16_e32 vcc, 0, v14
	v_cndmask_b32_e32 v10, v10, v11, vcc
	v_cndmask_b32_e32 v11, v14, v15, vcc
	v_lshlrev_b32_e32 v14, 16, v16
	v_mov_b32_e32 v15, 0x3b800000
	v_lshlrev_b32_e32 v10, 20, v10
	v_and_b32_e32 v14, 0x80000000, v14
	v_lshl_add_u32 v11, v11, 23, v15
	v_or3_b32 v10, v14, v11, v10
.LBB29_588:
	s_or_b64 exec, exec, s[6:7]
	v_lshrrev_b32_e32 v11, 8, v12
	s_movk_i32 s4, 0x7f
	v_cmp_gt_i16_sdwa s[6:7], v11, s4 src0_sel:BYTE_0 src1_sel:DWORD
	s_mov_b64 s[4:5], 0
                                        ; implicit-def: $sgpr10
	s_and_saveexec_b64 s[8:9], s[6:7]
	s_xor_b64 s[6:7], exec, s[8:9]
	s_cbranch_execnz .LBB29_2637
; %bb.589:
	s_or_saveexec_b64 s[6:7], s[6:7]
	v_mov_b32_e32 v14, s10
	s_xor_b64 exec, exec, s[6:7]
	s_cbranch_execnz .LBB29_2640
.LBB29_590:
	s_or_b64 exec, exec, s[6:7]
	s_and_saveexec_b64 s[6:7], s[4:5]
	s_cbranch_execz .LBB29_592
.LBB29_591:
	v_bfe_u32 v14, v12, 8, 3
	v_ffbh_u32_e32 v20, v14
	v_min_u32_e32 v20, 32, v20
	v_lshrrev_b16_e32 v15, 3, v11
	v_subrev_u32_e32 v21, 28, v20
	v_and_b32_e32 v15, 15, v15
	v_lshlrev_b32_e32 v11, v21, v11
	v_sub_u32_e32 v20, 29, v20
	v_and_b32_e32 v11, 7, v11
	v_cmp_eq_u16_e32 vcc, 0, v15
	v_cndmask_b32_e32 v11, v14, v11, vcc
	v_cndmask_b32_e32 v14, v15, v20, vcc
	v_lshlrev_b32_e32 v15, 16, v12
	v_mov_b32_e32 v20, 0x3b800000
	v_lshlrev_b32_e32 v11, 20, v11
	v_and_b32_e32 v15, 0x80000000, v15
	v_lshl_add_u32 v14, v14, 23, v20
	v_or3_b32 v14, v15, v14, v11
.LBB29_592:
	s_or_b64 exec, exec, s[6:7]
	s_nop 0
	v_mfma_f32_16x16x4f32 a[0:3], v10, v14, a[0:3]
	s_movk_i32 s4, 0xff
	v_and_b32_sdwa v11, v16, s4 dst_sel:DWORD dst_unused:UNUSED_PAD src0_sel:WORD_1 src1_sel:DWORD
	s_movk_i32 s4, 0x7f
	v_cmp_lt_i16_e32 vcc, s4, v11
	s_mov_b64 s[4:5], 0
                                        ; implicit-def: $sgpr10
	s_and_saveexec_b64 s[6:7], vcc
	s_xor_b64 s[6:7], exec, s[6:7]
	s_cbranch_execnz .LBB29_2641
; %bb.593:
	s_or_saveexec_b64 s[6:7], s[6:7]
	v_mov_b32_e32 v10, s10
	s_xor_b64 exec, exec, s[6:7]
	s_cbranch_execnz .LBB29_2644
.LBB29_594:
	s_or_b64 exec, exec, s[6:7]
	s_and_saveexec_b64 s[6:7], s[4:5]
	s_cbranch_execz .LBB29_596
.LBB29_595:
	v_bfe_u32 v10, v16, 16, 3
	v_ffbh_u32_e32 v15, v10
	v_min_u32_e32 v15, 32, v15
	v_lshrrev_b32_e32 v11, 19, v16
	v_subrev_u32_e32 v20, 28, v15
	v_and_b32_e32 v11, 15, v11
	v_lshlrev_b32_sdwa v20, v20, v16 dst_sel:DWORD dst_unused:UNUSED_PAD src0_sel:DWORD src1_sel:WORD_1
	v_bfe_u32 v14, v16, 19, 4
	v_sub_u32_e32 v15, 29, v15
	v_and_b32_e32 v20, 7, v20
	v_cmp_eq_u16_e32 vcc, 0, v11
	v_cndmask_b32_e32 v10, v10, v20, vcc
	v_cndmask_b32_e32 v11, v14, v15, vcc
	v_lshlrev_b32_e32 v14, 8, v16
	v_mov_b32_e32 v15, 0x3b800000
	v_lshlrev_b32_e32 v10, 20, v10
	v_and_b32_e32 v14, 0x80000000, v14
	v_lshl_add_u32 v11, v11, 23, v15
	v_or3_b32 v10, v14, v11, v10
.LBB29_596:
	s_or_b64 exec, exec, s[6:7]
	s_movk_i32 s4, 0xff
	v_and_b32_sdwa v11, v12, s4 dst_sel:DWORD dst_unused:UNUSED_PAD src0_sel:WORD_1 src1_sel:DWORD
	s_movk_i32 s4, 0x7f
	v_cmp_lt_i16_e32 vcc, s4, v11
	s_mov_b64 s[4:5], 0
                                        ; implicit-def: $sgpr10
	s_and_saveexec_b64 s[6:7], vcc
	s_xor_b64 s[6:7], exec, s[6:7]
	s_cbranch_execnz .LBB29_2645
; %bb.597:
	s_or_saveexec_b64 s[6:7], s[6:7]
	v_mov_b32_e32 v14, s10
	s_xor_b64 exec, exec, s[6:7]
	s_cbranch_execnz .LBB29_2648
.LBB29_598:
	s_or_b64 exec, exec, s[6:7]
	s_and_saveexec_b64 s[6:7], s[4:5]
	s_cbranch_execz .LBB29_600
.LBB29_599:
	v_bfe_u32 v11, v12, 16, 3
	v_ffbh_u32_e32 v20, v11
	v_min_u32_e32 v20, 32, v20
	v_lshrrev_b32_e32 v14, 19, v12
	v_subrev_u32_e32 v21, 28, v20
	v_and_b32_e32 v14, 15, v14
	v_lshlrev_b32_sdwa v21, v21, v12 dst_sel:DWORD dst_unused:UNUSED_PAD src0_sel:DWORD src1_sel:WORD_1
	v_bfe_u32 v15, v12, 19, 4
	v_sub_u32_e32 v20, 29, v20
	v_and_b32_e32 v21, 7, v21
	v_cmp_eq_u16_e32 vcc, 0, v14
	v_cndmask_b32_e32 v11, v11, v21, vcc
	v_cndmask_b32_e32 v14, v15, v20, vcc
	v_lshlrev_b32_e32 v15, 8, v12
	v_mov_b32_e32 v20, 0x3b800000
	v_lshlrev_b32_e32 v11, 20, v11
	v_and_b32_e32 v15, 0x80000000, v15
	v_lshl_add_u32 v14, v14, 23, v20
	v_or3_b32 v14, v15, v14, v11
.LBB29_600:
	s_or_b64 exec, exec, s[6:7]
	s_nop 0
	v_mfma_f32_16x16x4f32 a[0:3], v10, v14, a[0:3]
	s_movk_i32 s4, 0x7f
	v_cmp_gt_i16_sdwa s[6:7], v16, s4 src0_sel:BYTE_3 src1_sel:DWORD
	s_mov_b64 s[4:5], 0
                                        ; implicit-def: $sgpr10
	s_and_saveexec_b64 s[8:9], s[6:7]
	s_xor_b64 s[6:7], exec, s[8:9]
	s_cbranch_execnz .LBB29_2649
; %bb.601:
	s_or_saveexec_b64 s[6:7], s[6:7]
	v_mov_b32_e32 v10, s10
	s_xor_b64 exec, exec, s[6:7]
	s_cbranch_execnz .LBB29_2652
.LBB29_602:
	s_or_b64 exec, exec, s[6:7]
	s_and_saveexec_b64 s[6:7], s[4:5]
	s_cbranch_execz .LBB29_604
.LBB29_603:
	v_bfe_u32 v10, v16, 24, 3
	v_ffbh_u32_e32 v20, v10
	v_min_u32_e32 v20, 32, v20
	v_lshrrev_b32_e32 v14, 27, v16
	v_subrev_u32_e32 v21, 28, v20
	v_and_b32_e32 v11, 0x80000000, v16
	v_and_b32_e32 v14, 15, v14
	v_bfe_u32 v15, v16, 27, 4
	v_lshlrev_b32_sdwa v16, v21, v16 dst_sel:DWORD dst_unused:UNUSED_PAD src0_sel:DWORD src1_sel:BYTE_3
	v_sub_u32_e32 v20, 29, v20
	v_and_b32_e32 v16, 7, v16
	v_cmp_eq_u16_e32 vcc, 0, v14
	v_cndmask_b32_e32 v10, v10, v16, vcc
	v_cndmask_b32_e32 v14, v15, v20, vcc
	v_mov_b32_e32 v15, 0x3b800000
	v_lshlrev_b32_e32 v10, 20, v10
	v_lshl_add_u32 v14, v14, 23, v15
	v_or3_b32 v10, v11, v14, v10
.LBB29_604:
	s_or_b64 exec, exec, s[6:7]
	s_movk_i32 s4, 0x7f
	v_cmp_gt_i16_sdwa s[6:7], v12, s4 src0_sel:BYTE_3 src1_sel:DWORD
	s_mov_b64 s[4:5], 0
                                        ; implicit-def: $sgpr10
	s_and_saveexec_b64 s[8:9], s[6:7]
	s_xor_b64 s[6:7], exec, s[8:9]
	s_cbranch_execnz .LBB29_2653
; %bb.605:
	s_or_saveexec_b64 s[6:7], s[6:7]
	v_mov_b32_e32 v11, s10
	s_xor_b64 exec, exec, s[6:7]
	s_cbranch_execnz .LBB29_2656
.LBB29_606:
	s_or_b64 exec, exec, s[6:7]
	s_and_saveexec_b64 s[6:7], s[4:5]
	s_cbranch_execz .LBB29_608
.LBB29_607:
	v_bfe_u32 v11, v12, 24, 3
	v_ffbh_u32_e32 v20, v11
	v_min_u32_e32 v20, 32, v20
	v_lshrrev_b32_e32 v15, 27, v12
	v_subrev_u32_e32 v21, 28, v20
	v_and_b32_e32 v14, 0x80000000, v12
	v_and_b32_e32 v15, 15, v15
	v_bfe_u32 v16, v12, 27, 4
	v_lshlrev_b32_sdwa v12, v21, v12 dst_sel:DWORD dst_unused:UNUSED_PAD src0_sel:DWORD src1_sel:BYTE_3
	v_sub_u32_e32 v20, 29, v20
	v_and_b32_e32 v12, 7, v12
	v_cmp_eq_u16_e32 vcc, 0, v15
	v_cndmask_b32_e32 v11, v11, v12, vcc
	v_cndmask_b32_e32 v12, v16, v20, vcc
	v_mov_b32_e32 v15, 0x3b800000
	v_lshlrev_b32_e32 v11, 20, v11
	v_lshl_add_u32 v12, v12, 23, v15
	v_or3_b32 v11, v14, v12, v11
.LBB29_608:
	s_or_b64 exec, exec, s[6:7]
	s_nop 0
	v_mfma_f32_16x16x4f32 a[0:3], v10, v11, a[0:3]
	s_movk_i32 s4, 0x7f
	v_cmp_gt_i16_sdwa s[6:7], v17, s4 src0_sel:BYTE_0 src1_sel:DWORD
	s_mov_b64 s[4:5], 0
                                        ; implicit-def: $sgpr10
	s_and_saveexec_b64 s[8:9], s[6:7]
	s_xor_b64 s[6:7], exec, s[8:9]
	s_cbranch_execnz .LBB29_2657
; %bb.609:
	s_or_saveexec_b64 s[6:7], s[6:7]
	v_mov_b32_e32 v10, s10
	s_xor_b64 exec, exec, s[6:7]
	s_cbranch_execnz .LBB29_2660
.LBB29_610:
	s_or_b64 exec, exec, s[6:7]
	s_and_saveexec_b64 s[6:7], s[4:5]
	s_cbranch_execz .LBB29_612
.LBB29_611:
	v_and_b32_e32 v10, 7, v17
	v_ffbh_u32_e32 v12, v10
	v_min_u32_e32 v12, 32, v12
	v_lshrrev_b16_e32 v11, 3, v17
	v_subrev_u32_e32 v14, 28, v12
	v_and_b32_e32 v11, 15, v11
	v_lshlrev_b32_e32 v14, v14, v17
	v_sub_u32_e32 v12, 29, v12
	v_and_b32_e32 v14, 7, v14
	v_cmp_eq_u16_e32 vcc, 0, v11
	v_cndmask_b32_e32 v10, v10, v14, vcc
	v_cndmask_b32_e32 v11, v11, v12, vcc
	v_lshlrev_b32_e32 v12, 24, v17
	v_mov_b32_e32 v14, 0x3b800000
	v_lshlrev_b32_e32 v10, 20, v10
	v_and_b32_e32 v12, 0x80000000, v12
	v_lshl_add_u32 v11, v11, 23, v14
	v_or3_b32 v10, v12, v11, v10
.LBB29_612:
	s_or_b64 exec, exec, s[6:7]
	s_movk_i32 s4, 0x7f
	v_cmp_gt_i16_sdwa s[6:7], v13, s4 src0_sel:BYTE_0 src1_sel:DWORD
	s_mov_b64 s[4:5], 0
                                        ; implicit-def: $sgpr10
	s_and_saveexec_b64 s[8:9], s[6:7]
	s_xor_b64 s[6:7], exec, s[8:9]
	s_cbranch_execnz .LBB29_2661
; %bb.613:
	s_or_saveexec_b64 s[6:7], s[6:7]
	v_mov_b32_e32 v11, s10
	s_xor_b64 exec, exec, s[6:7]
	s_cbranch_execnz .LBB29_2664
.LBB29_614:
	s_or_b64 exec, exec, s[6:7]
	s_and_saveexec_b64 s[6:7], s[4:5]
	s_cbranch_execz .LBB29_616
.LBB29_615:
	v_and_b32_e32 v11, 7, v13
	v_ffbh_u32_e32 v14, v11
	v_min_u32_e32 v14, 32, v14
	v_lshrrev_b16_e32 v12, 3, v13
	v_subrev_u32_e32 v15, 28, v14
	v_and_b32_e32 v12, 15, v12
	v_lshlrev_b32_e32 v15, v15, v13
	v_sub_u32_e32 v14, 29, v14
	v_and_b32_e32 v15, 7, v15
	v_cmp_eq_u16_e32 vcc, 0, v12
	v_cndmask_b32_e32 v11, v11, v15, vcc
	v_cndmask_b32_e32 v12, v12, v14, vcc
	v_lshlrev_b32_e32 v14, 24, v13
	v_mov_b32_e32 v15, 0x3b800000
	v_lshlrev_b32_e32 v11, 20, v11
	v_and_b32_e32 v14, 0x80000000, v14
	v_lshl_add_u32 v12, v12, 23, v15
	v_or3_b32 v11, v14, v12, v11
.LBB29_616:
	s_or_b64 exec, exec, s[6:7]
	s_nop 0
	v_mfma_f32_16x16x4f32 a[0:3], v10, v11, a[0:3]
	v_lshrrev_b32_e32 v11, 8, v17
	s_movk_i32 s4, 0x7f
	v_cmp_gt_i16_sdwa s[6:7], v11, s4 src0_sel:BYTE_0 src1_sel:DWORD
	s_mov_b64 s[4:5], 0
                                        ; implicit-def: $sgpr10
	s_and_saveexec_b64 s[8:9], s[6:7]
	s_xor_b64 s[6:7], exec, s[8:9]
	s_cbranch_execnz .LBB29_2665
; %bb.617:
	s_or_saveexec_b64 s[6:7], s[6:7]
	v_mov_b32_e32 v10, s10
	s_xor_b64 exec, exec, s[6:7]
	s_cbranch_execnz .LBB29_2668
.LBB29_618:
	s_or_b64 exec, exec, s[6:7]
	s_and_saveexec_b64 s[6:7], s[4:5]
	s_cbranch_execz .LBB29_620
.LBB29_619:
	v_bfe_u32 v10, v17, 8, 3
	v_ffbh_u32_e32 v14, v10
	v_min_u32_e32 v14, 32, v14
	v_lshrrev_b16_e32 v12, 3, v11
	v_subrev_u32_e32 v15, 28, v14
	v_and_b32_e32 v12, 15, v12
	v_lshlrev_b32_e32 v11, v15, v11
	v_sub_u32_e32 v14, 29, v14
	v_and_b32_e32 v11, 7, v11
	v_cmp_eq_u16_e32 vcc, 0, v12
	v_cndmask_b32_e32 v10, v10, v11, vcc
	v_cndmask_b32_e32 v11, v12, v14, vcc
	v_lshlrev_b32_e32 v12, 16, v17
	v_mov_b32_e32 v14, 0x3b800000
	v_lshlrev_b32_e32 v10, 20, v10
	v_and_b32_e32 v12, 0x80000000, v12
	v_lshl_add_u32 v11, v11, 23, v14
	v_or3_b32 v10, v12, v11, v10
.LBB29_620:
	s_or_b64 exec, exec, s[6:7]
	v_lshrrev_b32_e32 v11, 8, v13
	s_movk_i32 s4, 0x7f
	v_cmp_gt_i16_sdwa s[6:7], v11, s4 src0_sel:BYTE_0 src1_sel:DWORD
	s_mov_b64 s[4:5], 0
                                        ; implicit-def: $sgpr10
	s_and_saveexec_b64 s[8:9], s[6:7]
	s_xor_b64 s[6:7], exec, s[8:9]
	s_cbranch_execnz .LBB29_2669
; %bb.621:
	s_or_saveexec_b64 s[6:7], s[6:7]
	v_mov_b32_e32 v12, s10
	s_xor_b64 exec, exec, s[6:7]
	s_cbranch_execnz .LBB29_2672
.LBB29_622:
	s_or_b64 exec, exec, s[6:7]
	s_and_saveexec_b64 s[6:7], s[4:5]
	s_cbranch_execz .LBB29_624
.LBB29_623:
	v_bfe_u32 v12, v13, 8, 3
	v_ffbh_u32_e32 v15, v12
	v_min_u32_e32 v15, 32, v15
	v_lshrrev_b16_e32 v14, 3, v11
	v_subrev_u32_e32 v16, 28, v15
	v_and_b32_e32 v14, 15, v14
	v_lshlrev_b32_e32 v11, v16, v11
	v_sub_u32_e32 v15, 29, v15
	v_and_b32_e32 v11, 7, v11
	v_cmp_eq_u16_e32 vcc, 0, v14
	v_cndmask_b32_e32 v11, v12, v11, vcc
	v_cndmask_b32_e32 v12, v14, v15, vcc
	v_lshlrev_b32_e32 v14, 16, v13
	v_mov_b32_e32 v15, 0x3b800000
	v_lshlrev_b32_e32 v11, 20, v11
	v_and_b32_e32 v14, 0x80000000, v14
	v_lshl_add_u32 v12, v12, 23, v15
	v_or3_b32 v12, v14, v12, v11
.LBB29_624:
	s_or_b64 exec, exec, s[6:7]
	s_nop 0
	v_mfma_f32_16x16x4f32 a[0:3], v10, v12, a[0:3]
	s_movk_i32 s4, 0xff
	v_and_b32_sdwa v11, v17, s4 dst_sel:DWORD dst_unused:UNUSED_PAD src0_sel:WORD_1 src1_sel:DWORD
	s_movk_i32 s4, 0x7f
	v_cmp_lt_i16_e32 vcc, s4, v11
	s_mov_b64 s[4:5], 0
                                        ; implicit-def: $sgpr10
	s_and_saveexec_b64 s[6:7], vcc
	s_xor_b64 s[6:7], exec, s[6:7]
	s_cbranch_execnz .LBB29_2673
; %bb.625:
	s_or_saveexec_b64 s[6:7], s[6:7]
	v_mov_b32_e32 v10, s10
	s_xor_b64 exec, exec, s[6:7]
	s_cbranch_execnz .LBB29_2676
.LBB29_626:
	s_or_b64 exec, exec, s[6:7]
	s_and_saveexec_b64 s[6:7], s[4:5]
	s_cbranch_execz .LBB29_628
.LBB29_627:
	v_bfe_u32 v10, v17, 16, 3
	v_ffbh_u32_e32 v14, v10
	v_min_u32_e32 v14, 32, v14
	v_lshrrev_b32_e32 v11, 19, v17
	v_subrev_u32_e32 v15, 28, v14
	v_and_b32_e32 v11, 15, v11
	v_lshlrev_b32_sdwa v15, v15, v17 dst_sel:DWORD dst_unused:UNUSED_PAD src0_sel:DWORD src1_sel:WORD_1
	v_bfe_u32 v12, v17, 19, 4
	v_sub_u32_e32 v14, 29, v14
	v_and_b32_e32 v15, 7, v15
	v_cmp_eq_u16_e32 vcc, 0, v11
	v_cndmask_b32_e32 v10, v10, v15, vcc
	v_cndmask_b32_e32 v11, v12, v14, vcc
	v_lshlrev_b32_e32 v12, 8, v17
	v_mov_b32_e32 v14, 0x3b800000
	v_lshlrev_b32_e32 v10, 20, v10
	v_and_b32_e32 v12, 0x80000000, v12
	v_lshl_add_u32 v11, v11, 23, v14
	v_or3_b32 v10, v12, v11, v10
.LBB29_628:
	s_or_b64 exec, exec, s[6:7]
	s_movk_i32 s4, 0xff
	v_and_b32_sdwa v11, v13, s4 dst_sel:DWORD dst_unused:UNUSED_PAD src0_sel:WORD_1 src1_sel:DWORD
	s_movk_i32 s4, 0x7f
	v_cmp_lt_i16_e32 vcc, s4, v11
	s_mov_b64 s[4:5], 0
                                        ; implicit-def: $sgpr10
	s_and_saveexec_b64 s[6:7], vcc
	s_xor_b64 s[6:7], exec, s[6:7]
	s_cbranch_execnz .LBB29_2677
; %bb.629:
	s_or_saveexec_b64 s[6:7], s[6:7]
	v_mov_b32_e32 v12, s10
	s_xor_b64 exec, exec, s[6:7]
	s_cbranch_execnz .LBB29_2680
.LBB29_630:
	s_or_b64 exec, exec, s[6:7]
	s_and_saveexec_b64 s[6:7], s[4:5]
	s_cbranch_execz .LBB29_632
.LBB29_631:
	v_bfe_u32 v11, v13, 16, 3
	v_ffbh_u32_e32 v15, v11
	v_min_u32_e32 v15, 32, v15
	v_lshrrev_b32_e32 v12, 19, v13
	v_subrev_u32_e32 v16, 28, v15
	v_and_b32_e32 v12, 15, v12
	v_lshlrev_b32_sdwa v16, v16, v13 dst_sel:DWORD dst_unused:UNUSED_PAD src0_sel:DWORD src1_sel:WORD_1
	v_bfe_u32 v14, v13, 19, 4
	v_sub_u32_e32 v15, 29, v15
	v_and_b32_e32 v16, 7, v16
	v_cmp_eq_u16_e32 vcc, 0, v12
	v_cndmask_b32_e32 v11, v11, v16, vcc
	v_cndmask_b32_e32 v12, v14, v15, vcc
	v_lshlrev_b32_e32 v14, 8, v13
	v_mov_b32_e32 v15, 0x3b800000
	v_lshlrev_b32_e32 v11, 20, v11
	v_and_b32_e32 v14, 0x80000000, v14
	v_lshl_add_u32 v12, v12, 23, v15
	v_or3_b32 v12, v14, v12, v11
.LBB29_632:
	s_or_b64 exec, exec, s[6:7]
	s_nop 0
	v_mfma_f32_16x16x4f32 a[0:3], v10, v12, a[0:3]
	s_movk_i32 s4, 0x7f
	v_cmp_gt_i16_sdwa s[6:7], v17, s4 src0_sel:BYTE_3 src1_sel:DWORD
	s_mov_b64 s[4:5], 0
                                        ; implicit-def: $sgpr10
	s_and_saveexec_b64 s[8:9], s[6:7]
	s_xor_b64 s[6:7], exec, s[8:9]
	s_cbranch_execnz .LBB29_2681
; %bb.633:
	s_or_saveexec_b64 s[6:7], s[6:7]
	v_mov_b32_e32 v10, s10
	s_xor_b64 exec, exec, s[6:7]
	s_cbranch_execnz .LBB29_2684
.LBB29_634:
	s_or_b64 exec, exec, s[6:7]
	s_and_saveexec_b64 s[6:7], s[4:5]
	s_cbranch_execz .LBB29_636
.LBB29_635:
	v_bfe_u32 v10, v17, 24, 3
	v_ffbh_u32_e32 v15, v10
	v_min_u32_e32 v15, 32, v15
	v_lshrrev_b32_e32 v12, 27, v17
	v_subrev_u32_e32 v16, 28, v15
	v_and_b32_e32 v12, 15, v12
	v_lshlrev_b32_sdwa v16, v16, v17 dst_sel:DWORD dst_unused:UNUSED_PAD src0_sel:DWORD src1_sel:BYTE_3
	v_bfe_u32 v14, v17, 27, 4
	v_sub_u32_e32 v15, 29, v15
	v_and_b32_e32 v16, 7, v16
	v_cmp_eq_u16_e32 vcc, 0, v12
	v_cndmask_b32_e32 v10, v10, v16, vcc
	v_cndmask_b32_e32 v12, v14, v15, vcc
	v_mov_b32_e32 v14, 0x3b800000
	v_and_b32_e32 v11, 0x80000000, v17
	v_lshlrev_b32_e32 v10, 20, v10
	v_lshl_add_u32 v12, v12, 23, v14
	v_or3_b32 v10, v11, v12, v10
.LBB29_636:
	s_or_b64 exec, exec, s[6:7]
	s_movk_i32 s4, 0x7f
	v_cmp_gt_i16_sdwa s[6:7], v13, s4 src0_sel:BYTE_3 src1_sel:DWORD
	s_mov_b64 s[4:5], 0
                                        ; implicit-def: $sgpr10
	s_and_saveexec_b64 s[8:9], s[6:7]
	s_xor_b64 s[6:7], exec, s[8:9]
	s_cbranch_execnz .LBB29_2685
; %bb.637:
	s_or_saveexec_b64 s[6:7], s[6:7]
	v_mov_b32_e32 v11, s10
	s_xor_b64 exec, exec, s[6:7]
	s_cbranch_execnz .LBB29_2688
.LBB29_638:
	s_or_b64 exec, exec, s[6:7]
	s_and_saveexec_b64 s[6:7], s[4:5]
	s_cbranch_execz .LBB29_640
.LBB29_639:
	v_bfe_u32 v11, v13, 24, 3
	v_ffbh_u32_e32 v16, v11
	v_min_u32_e32 v16, 32, v16
	v_lshrrev_b32_e32 v14, 27, v13
	v_subrev_u32_e32 v17, 28, v16
	v_and_b32_e32 v12, 0x80000000, v13
	v_and_b32_e32 v14, 15, v14
	v_bfe_u32 v15, v13, 27, 4
	v_lshlrev_b32_sdwa v13, v17, v13 dst_sel:DWORD dst_unused:UNUSED_PAD src0_sel:DWORD src1_sel:BYTE_3
	v_sub_u32_e32 v16, 29, v16
	v_and_b32_e32 v13, 7, v13
	v_cmp_eq_u16_e32 vcc, 0, v14
	v_cndmask_b32_e32 v11, v11, v13, vcc
	v_cndmask_b32_e32 v13, v15, v16, vcc
	v_mov_b32_e32 v14, 0x3b800000
	v_lshlrev_b32_e32 v11, 20, v11
	v_lshl_add_u32 v13, v13, 23, v14
	v_or3_b32 v11, v12, v13, v11
.LBB29_640:
	s_or_b64 exec, exec, s[6:7]
	s_nop 0
	v_mfma_f32_16x16x4f32 a[0:3], v10, v11, a[0:3]
	s_movk_i32 s4, 0x7f
	v_cmp_gt_i16_sdwa s[6:7], v6, s4 src0_sel:BYTE_0 src1_sel:DWORD
	s_mov_b64 s[4:5], 0
                                        ; implicit-def: $sgpr10
	s_and_saveexec_b64 s[8:9], s[6:7]
	s_xor_b64 s[6:7], exec, s[8:9]
	s_cbranch_execnz .LBB29_2689
; %bb.641:
	s_or_saveexec_b64 s[6:7], s[6:7]
	v_mov_b32_e32 v10, s10
	s_xor_b64 exec, exec, s[6:7]
	s_cbranch_execnz .LBB29_2692
.LBB29_642:
	s_or_b64 exec, exec, s[6:7]
	s_and_saveexec_b64 s[6:7], s[4:5]
	s_cbranch_execz .LBB29_644
.LBB29_643:
	v_and_b32_e32 v10, 7, v6
	v_ffbh_u32_e32 v12, v10
	v_min_u32_e32 v12, 32, v12
	v_lshrrev_b16_e32 v11, 3, v6
	v_subrev_u32_e32 v13, 28, v12
	v_and_b32_e32 v11, 15, v11
	v_lshlrev_b32_e32 v13, v13, v6
	v_sub_u32_e32 v12, 29, v12
	v_and_b32_e32 v13, 7, v13
	v_cmp_eq_u16_e32 vcc, 0, v11
	v_cndmask_b32_e32 v10, v10, v13, vcc
	v_cndmask_b32_e32 v11, v11, v12, vcc
	v_lshlrev_b32_e32 v12, 24, v6
	v_mov_b32_e32 v13, 0x3b800000
	v_lshlrev_b32_e32 v10, 20, v10
	v_and_b32_e32 v12, 0x80000000, v12
	v_lshl_add_u32 v11, v11, 23, v13
	v_or3_b32 v10, v12, v11, v10
.LBB29_644:
	s_or_b64 exec, exec, s[6:7]
	s_movk_i32 s4, 0x7f
	v_cmp_gt_i16_sdwa s[6:7], v2, s4 src0_sel:BYTE_0 src1_sel:DWORD
	s_mov_b64 s[4:5], 0
                                        ; implicit-def: $sgpr10
	s_and_saveexec_b64 s[8:9], s[6:7]
	s_xor_b64 s[6:7], exec, s[8:9]
	s_cbranch_execnz .LBB29_2693
; %bb.645:
	s_or_saveexec_b64 s[6:7], s[6:7]
	v_mov_b32_e32 v11, s10
	s_xor_b64 exec, exec, s[6:7]
	s_cbranch_execnz .LBB29_2696
.LBB29_646:
	s_or_b64 exec, exec, s[6:7]
	s_and_saveexec_b64 s[6:7], s[4:5]
	s_cbranch_execz .LBB29_648
.LBB29_647:
	v_and_b32_e32 v11, 7, v2
	v_ffbh_u32_e32 v13, v11
	v_min_u32_e32 v13, 32, v13
	v_lshrrev_b16_e32 v12, 3, v2
	v_subrev_u32_e32 v14, 28, v13
	v_and_b32_e32 v12, 15, v12
	v_lshlrev_b32_e32 v14, v14, v2
	v_sub_u32_e32 v13, 29, v13
	v_and_b32_e32 v14, 7, v14
	v_cmp_eq_u16_e32 vcc, 0, v12
	v_cndmask_b32_e32 v11, v11, v14, vcc
	v_cndmask_b32_e32 v12, v12, v13, vcc
	v_lshlrev_b32_e32 v13, 24, v2
	v_mov_b32_e32 v14, 0x3b800000
	v_lshlrev_b32_e32 v11, 20, v11
	v_and_b32_e32 v13, 0x80000000, v13
	v_lshl_add_u32 v12, v12, 23, v14
	v_or3_b32 v11, v13, v12, v11
.LBB29_648:
	s_or_b64 exec, exec, s[6:7]
	s_nop 0
	v_mfma_f32_16x16x4f32 a[0:3], v10, v11, a[0:3]
	v_lshrrev_b32_e32 v11, 8, v6
	s_movk_i32 s4, 0x7f
	v_cmp_gt_i16_sdwa s[6:7], v11, s4 src0_sel:BYTE_0 src1_sel:DWORD
	s_mov_b64 s[4:5], 0
                                        ; implicit-def: $sgpr10
	s_and_saveexec_b64 s[8:9], s[6:7]
	s_xor_b64 s[6:7], exec, s[8:9]
	s_cbranch_execnz .LBB29_2697
; %bb.649:
	s_or_saveexec_b64 s[6:7], s[6:7]
	v_mov_b32_e32 v10, s10
	s_xor_b64 exec, exec, s[6:7]
	s_cbranch_execnz .LBB29_2700
.LBB29_650:
	s_or_b64 exec, exec, s[6:7]
	s_and_saveexec_b64 s[6:7], s[4:5]
	s_cbranch_execz .LBB29_652
.LBB29_651:
	v_bfe_u32 v10, v6, 8, 3
	v_ffbh_u32_e32 v13, v10
	v_min_u32_e32 v13, 32, v13
	v_lshrrev_b16_e32 v12, 3, v11
	v_subrev_u32_e32 v14, 28, v13
	v_and_b32_e32 v12, 15, v12
	v_lshlrev_b32_e32 v11, v14, v11
	v_sub_u32_e32 v13, 29, v13
	v_and_b32_e32 v11, 7, v11
	v_cmp_eq_u16_e32 vcc, 0, v12
	v_cndmask_b32_e32 v10, v10, v11, vcc
	v_cndmask_b32_e32 v11, v12, v13, vcc
	v_lshlrev_b32_e32 v12, 16, v6
	v_mov_b32_e32 v13, 0x3b800000
	v_lshlrev_b32_e32 v10, 20, v10
	v_and_b32_e32 v12, 0x80000000, v12
	v_lshl_add_u32 v11, v11, 23, v13
	v_or3_b32 v10, v12, v11, v10
.LBB29_652:
	s_or_b64 exec, exec, s[6:7]
	v_lshrrev_b32_e32 v11, 8, v2
	s_movk_i32 s4, 0x7f
	v_cmp_gt_i16_sdwa s[6:7], v11, s4 src0_sel:BYTE_0 src1_sel:DWORD
	s_mov_b64 s[4:5], 0
                                        ; implicit-def: $sgpr10
	s_and_saveexec_b64 s[8:9], s[6:7]
	s_xor_b64 s[6:7], exec, s[8:9]
	s_cbranch_execnz .LBB29_2701
; %bb.653:
	s_or_saveexec_b64 s[6:7], s[6:7]
	v_mov_b32_e32 v12, s10
	s_xor_b64 exec, exec, s[6:7]
	s_cbranch_execnz .LBB29_2704
.LBB29_654:
	s_or_b64 exec, exec, s[6:7]
	s_and_saveexec_b64 s[6:7], s[4:5]
	s_cbranch_execz .LBB29_656
.LBB29_655:
	v_bfe_u32 v12, v2, 8, 3
	v_ffbh_u32_e32 v14, v12
	v_min_u32_e32 v14, 32, v14
	v_lshrrev_b16_e32 v13, 3, v11
	v_subrev_u32_e32 v15, 28, v14
	v_and_b32_e32 v13, 15, v13
	v_lshlrev_b32_e32 v11, v15, v11
	v_sub_u32_e32 v14, 29, v14
	v_and_b32_e32 v11, 7, v11
	v_cmp_eq_u16_e32 vcc, 0, v13
	v_cndmask_b32_e32 v11, v12, v11, vcc
	v_cndmask_b32_e32 v12, v13, v14, vcc
	v_lshlrev_b32_e32 v13, 16, v2
	v_mov_b32_e32 v14, 0x3b800000
	v_lshlrev_b32_e32 v11, 20, v11
	v_and_b32_e32 v13, 0x80000000, v13
	v_lshl_add_u32 v12, v12, 23, v14
	v_or3_b32 v12, v13, v12, v11
.LBB29_656:
	s_or_b64 exec, exec, s[6:7]
	s_nop 0
	v_mfma_f32_16x16x4f32 a[0:3], v10, v12, a[0:3]
	s_movk_i32 s4, 0xff
	v_and_b32_sdwa v11, v6, s4 dst_sel:DWORD dst_unused:UNUSED_PAD src0_sel:WORD_1 src1_sel:DWORD
	s_movk_i32 s4, 0x7f
	v_cmp_lt_i16_e32 vcc, s4, v11
	s_mov_b64 s[4:5], 0
                                        ; implicit-def: $sgpr10
	s_and_saveexec_b64 s[6:7], vcc
	s_xor_b64 s[6:7], exec, s[6:7]
	s_cbranch_execnz .LBB29_2705
; %bb.657:
	s_or_saveexec_b64 s[6:7], s[6:7]
	v_mov_b32_e32 v10, s10
	s_xor_b64 exec, exec, s[6:7]
	s_cbranch_execnz .LBB29_2708
.LBB29_658:
	s_or_b64 exec, exec, s[6:7]
	s_and_saveexec_b64 s[6:7], s[4:5]
	s_cbranch_execz .LBB29_660
.LBB29_659:
	v_bfe_u32 v10, v6, 16, 3
	v_ffbh_u32_e32 v13, v10
	v_min_u32_e32 v13, 32, v13
	v_lshrrev_b32_e32 v11, 19, v6
	v_subrev_u32_e32 v14, 28, v13
	v_and_b32_e32 v11, 15, v11
	v_lshlrev_b32_sdwa v14, v14, v6 dst_sel:DWORD dst_unused:UNUSED_PAD src0_sel:DWORD src1_sel:WORD_1
	v_bfe_u32 v12, v6, 19, 4
	v_sub_u32_e32 v13, 29, v13
	v_and_b32_e32 v14, 7, v14
	v_cmp_eq_u16_e32 vcc, 0, v11
	v_cndmask_b32_e32 v10, v10, v14, vcc
	v_cndmask_b32_e32 v11, v12, v13, vcc
	v_lshlrev_b32_e32 v12, 8, v6
	v_mov_b32_e32 v13, 0x3b800000
	v_lshlrev_b32_e32 v10, 20, v10
	v_and_b32_e32 v12, 0x80000000, v12
	v_lshl_add_u32 v11, v11, 23, v13
	v_or3_b32 v10, v12, v11, v10
.LBB29_660:
	s_or_b64 exec, exec, s[6:7]
	s_movk_i32 s4, 0xff
	v_and_b32_sdwa v11, v2, s4 dst_sel:DWORD dst_unused:UNUSED_PAD src0_sel:WORD_1 src1_sel:DWORD
	s_movk_i32 s4, 0x7f
	v_cmp_lt_i16_e32 vcc, s4, v11
	s_mov_b64 s[4:5], 0
                                        ; implicit-def: $sgpr10
	s_and_saveexec_b64 s[6:7], vcc
	s_xor_b64 s[6:7], exec, s[6:7]
	s_cbranch_execnz .LBB29_2709
; %bb.661:
	s_or_saveexec_b64 s[6:7], s[6:7]
	v_mov_b32_e32 v12, s10
	s_xor_b64 exec, exec, s[6:7]
	s_cbranch_execnz .LBB29_2712
.LBB29_662:
	s_or_b64 exec, exec, s[6:7]
	s_and_saveexec_b64 s[6:7], s[4:5]
	s_cbranch_execz .LBB29_664
.LBB29_663:
	v_bfe_u32 v11, v2, 16, 3
	v_ffbh_u32_e32 v14, v11
	v_min_u32_e32 v14, 32, v14
	v_lshrrev_b32_e32 v12, 19, v2
	v_subrev_u32_e32 v15, 28, v14
	v_and_b32_e32 v12, 15, v12
	v_lshlrev_b32_sdwa v15, v15, v2 dst_sel:DWORD dst_unused:UNUSED_PAD src0_sel:DWORD src1_sel:WORD_1
	v_bfe_u32 v13, v2, 19, 4
	v_sub_u32_e32 v14, 29, v14
	v_and_b32_e32 v15, 7, v15
	v_cmp_eq_u16_e32 vcc, 0, v12
	v_cndmask_b32_e32 v11, v11, v15, vcc
	v_cndmask_b32_e32 v12, v13, v14, vcc
	v_lshlrev_b32_e32 v13, 8, v2
	v_mov_b32_e32 v14, 0x3b800000
	v_lshlrev_b32_e32 v11, 20, v11
	v_and_b32_e32 v13, 0x80000000, v13
	v_lshl_add_u32 v12, v12, 23, v14
	v_or3_b32 v12, v13, v12, v11
.LBB29_664:
	s_or_b64 exec, exec, s[6:7]
	s_nop 0
	v_mfma_f32_16x16x4f32 a[0:3], v10, v12, a[0:3]
	s_movk_i32 s4, 0x7f
	v_cmp_gt_i16_sdwa s[6:7], v6, s4 src0_sel:BYTE_3 src1_sel:DWORD
	s_mov_b64 s[4:5], 0
                                        ; implicit-def: $sgpr10
	s_and_saveexec_b64 s[8:9], s[6:7]
	s_xor_b64 s[6:7], exec, s[8:9]
	s_cbranch_execnz .LBB29_2713
; %bb.665:
	s_or_saveexec_b64 s[6:7], s[6:7]
	v_mov_b32_e32 v10, s10
	s_xor_b64 exec, exec, s[6:7]
	s_cbranch_execnz .LBB29_2716
.LBB29_666:
	s_or_b64 exec, exec, s[6:7]
	s_and_saveexec_b64 s[6:7], s[4:5]
	s_cbranch_execz .LBB29_668
.LBB29_667:
	v_bfe_u32 v10, v6, 24, 3
	v_ffbh_u32_e32 v14, v10
	v_min_u32_e32 v14, 32, v14
	v_lshrrev_b32_e32 v12, 27, v6
	v_subrev_u32_e32 v15, 28, v14
	v_and_b32_e32 v11, 0x80000000, v6
	v_and_b32_e32 v12, 15, v12
	v_bfe_u32 v13, v6, 27, 4
	v_lshlrev_b32_sdwa v6, v15, v6 dst_sel:DWORD dst_unused:UNUSED_PAD src0_sel:DWORD src1_sel:BYTE_3
	v_sub_u32_e32 v14, 29, v14
	v_and_b32_e32 v6, 7, v6
	v_cmp_eq_u16_e32 vcc, 0, v12
	v_cndmask_b32_e32 v6, v10, v6, vcc
	v_cndmask_b32_e32 v10, v13, v14, vcc
	v_mov_b32_e32 v12, 0x3b800000
	v_lshlrev_b32_e32 v6, 20, v6
	v_lshl_add_u32 v10, v10, 23, v12
	v_or3_b32 v10, v11, v10, v6
.LBB29_668:
	s_or_b64 exec, exec, s[6:7]
	s_movk_i32 s4, 0x7f
	v_cmp_gt_i16_sdwa s[6:7], v2, s4 src0_sel:BYTE_3 src1_sel:DWORD
	s_mov_b64 s[4:5], 0
                                        ; implicit-def: $sgpr10
	s_and_saveexec_b64 s[8:9], s[6:7]
	s_xor_b64 s[6:7], exec, s[8:9]
	s_cbranch_execnz .LBB29_2717
; %bb.669:
	s_or_saveexec_b64 s[6:7], s[6:7]
	v_mov_b32_e32 v6, s10
	s_xor_b64 exec, exec, s[6:7]
	s_cbranch_execnz .LBB29_2720
.LBB29_670:
	s_or_b64 exec, exec, s[6:7]
	s_and_saveexec_b64 s[6:7], s[4:5]
	s_cbranch_execz .LBB29_672
.LBB29_671:
	v_bfe_u32 v6, v2, 24, 3
	v_ffbh_u32_e32 v14, v6
	v_min_u32_e32 v14, 32, v14
	v_lshrrev_b32_e32 v12, 27, v2
	v_subrev_u32_e32 v15, 28, v14
	v_and_b32_e32 v11, 0x80000000, v2
	v_and_b32_e32 v12, 15, v12
	v_bfe_u32 v13, v2, 27, 4
	v_lshlrev_b32_sdwa v2, v15, v2 dst_sel:DWORD dst_unused:UNUSED_PAD src0_sel:DWORD src1_sel:BYTE_3
	v_sub_u32_e32 v14, 29, v14
	v_and_b32_e32 v2, 7, v2
	v_cmp_eq_u16_e32 vcc, 0, v12
	v_cndmask_b32_e32 v2, v6, v2, vcc
	v_cndmask_b32_e32 v6, v13, v14, vcc
	v_mov_b32_e32 v12, 0x3b800000
	v_lshlrev_b32_e32 v2, 20, v2
	v_lshl_add_u32 v6, v6, 23, v12
	v_or3_b32 v6, v11, v6, v2
.LBB29_672:
	s_or_b64 exec, exec, s[6:7]
	s_nop 0
	v_mfma_f32_16x16x4f32 a[0:3], v10, v6, a[0:3]
	s_movk_i32 s4, 0x7f
	v_cmp_gt_i16_sdwa s[6:7], v7, s4 src0_sel:BYTE_0 src1_sel:DWORD
	s_mov_b64 s[4:5], 0
                                        ; implicit-def: $sgpr10
	s_and_saveexec_b64 s[8:9], s[6:7]
	s_xor_b64 s[6:7], exec, s[8:9]
	s_cbranch_execnz .LBB29_2721
; %bb.673:
	s_or_saveexec_b64 s[6:7], s[6:7]
	v_mov_b32_e32 v2, s10
	s_xor_b64 exec, exec, s[6:7]
	s_cbranch_execnz .LBB29_2724
.LBB29_674:
	s_or_b64 exec, exec, s[6:7]
	s_and_saveexec_b64 s[6:7], s[4:5]
	s_cbranch_execz .LBB29_676
.LBB29_675:
	v_and_b32_e32 v2, 7, v7
	v_ffbh_u32_e32 v10, v2
	v_min_u32_e32 v10, 32, v10
	v_lshrrev_b16_e32 v6, 3, v7
	v_subrev_u32_e32 v11, 28, v10
	v_and_b32_e32 v6, 15, v6
	v_lshlrev_b32_e32 v11, v11, v7
	v_sub_u32_e32 v10, 29, v10
	v_and_b32_e32 v11, 7, v11
	v_cmp_eq_u16_e32 vcc, 0, v6
	v_cndmask_b32_e32 v2, v2, v11, vcc
	v_cndmask_b32_e32 v6, v6, v10, vcc
	v_lshlrev_b32_e32 v10, 24, v7
	v_mov_b32_e32 v11, 0x3b800000
	v_lshlrev_b32_e32 v2, 20, v2
	v_and_b32_e32 v10, 0x80000000, v10
	v_lshl_add_u32 v6, v6, 23, v11
	v_or3_b32 v2, v10, v6, v2
.LBB29_676:
	s_or_b64 exec, exec, s[6:7]
	s_movk_i32 s4, 0x7f
	v_cmp_gt_i16_sdwa s[6:7], v3, s4 src0_sel:BYTE_0 src1_sel:DWORD
	s_mov_b64 s[4:5], 0
                                        ; implicit-def: $sgpr10
	s_and_saveexec_b64 s[8:9], s[6:7]
	s_xor_b64 s[6:7], exec, s[8:9]
	s_cbranch_execnz .LBB29_2725
; %bb.677:
	s_or_saveexec_b64 s[6:7], s[6:7]
	v_mov_b32_e32 v6, s10
	s_xor_b64 exec, exec, s[6:7]
	s_cbranch_execnz .LBB29_2728
.LBB29_678:
	s_or_b64 exec, exec, s[6:7]
	s_and_saveexec_b64 s[6:7], s[4:5]
	s_cbranch_execz .LBB29_680
.LBB29_679:
	v_and_b32_e32 v6, 7, v3
	v_ffbh_u32_e32 v11, v6
	v_min_u32_e32 v11, 32, v11
	v_lshrrev_b16_e32 v10, 3, v3
	v_subrev_u32_e32 v12, 28, v11
	v_and_b32_e32 v10, 15, v10
	v_lshlrev_b32_e32 v12, v12, v3
	v_sub_u32_e32 v11, 29, v11
	v_and_b32_e32 v12, 7, v12
	v_cmp_eq_u16_e32 vcc, 0, v10
	v_cndmask_b32_e32 v6, v6, v12, vcc
	v_cndmask_b32_e32 v10, v10, v11, vcc
	v_lshlrev_b32_e32 v11, 24, v3
	v_mov_b32_e32 v12, 0x3b800000
	v_lshlrev_b32_e32 v6, 20, v6
	v_and_b32_e32 v11, 0x80000000, v11
	v_lshl_add_u32 v10, v10, 23, v12
	v_or3_b32 v6, v11, v10, v6
.LBB29_680:
	s_or_b64 exec, exec, s[6:7]
	s_nop 0
	v_mfma_f32_16x16x4f32 a[0:3], v2, v6, a[0:3]
	v_lshrrev_b32_e32 v6, 8, v7
	s_movk_i32 s4, 0x7f
	v_cmp_gt_i16_sdwa s[6:7], v6, s4 src0_sel:BYTE_0 src1_sel:DWORD
	s_mov_b64 s[4:5], 0
                                        ; implicit-def: $sgpr10
	s_and_saveexec_b64 s[8:9], s[6:7]
	s_xor_b64 s[6:7], exec, s[8:9]
	s_cbranch_execnz .LBB29_2729
; %bb.681:
	s_or_saveexec_b64 s[6:7], s[6:7]
	v_mov_b32_e32 v2, s10
	s_xor_b64 exec, exec, s[6:7]
	s_cbranch_execnz .LBB29_2732
.LBB29_682:
	s_or_b64 exec, exec, s[6:7]
	s_and_saveexec_b64 s[6:7], s[4:5]
	s_cbranch_execz .LBB29_684
.LBB29_683:
	v_bfe_u32 v2, v7, 8, 3
	v_ffbh_u32_e32 v11, v2
	v_min_u32_e32 v11, 32, v11
	v_lshrrev_b16_e32 v10, 3, v6
	v_subrev_u32_e32 v12, 28, v11
	v_and_b32_e32 v10, 15, v10
	v_lshlrev_b32_e32 v6, v12, v6
	v_sub_u32_e32 v11, 29, v11
	v_and_b32_e32 v6, 7, v6
	v_cmp_eq_u16_e32 vcc, 0, v10
	v_cndmask_b32_e32 v2, v2, v6, vcc
	v_cndmask_b32_e32 v6, v10, v11, vcc
	v_lshlrev_b32_e32 v10, 16, v7
	v_mov_b32_e32 v11, 0x3b800000
	v_lshlrev_b32_e32 v2, 20, v2
	v_and_b32_e32 v10, 0x80000000, v10
	v_lshl_add_u32 v6, v6, 23, v11
	v_or3_b32 v2, v10, v6, v2
.LBB29_684:
	s_or_b64 exec, exec, s[6:7]
	v_lshrrev_b32_e32 v6, 8, v3
	s_movk_i32 s4, 0x7f
	v_cmp_gt_i16_sdwa s[6:7], v6, s4 src0_sel:BYTE_0 src1_sel:DWORD
	s_mov_b64 s[4:5], 0
                                        ; implicit-def: $sgpr10
	s_and_saveexec_b64 s[8:9], s[6:7]
	s_xor_b64 s[6:7], exec, s[8:9]
	s_cbranch_execnz .LBB29_2733
; %bb.685:
	s_or_saveexec_b64 s[6:7], s[6:7]
	v_mov_b32_e32 v10, s10
	s_xor_b64 exec, exec, s[6:7]
	s_cbranch_execnz .LBB29_2736
.LBB29_686:
	s_or_b64 exec, exec, s[6:7]
	s_and_saveexec_b64 s[6:7], s[4:5]
	s_cbranch_execz .LBB29_688
.LBB29_687:
	v_bfe_u32 v10, v3, 8, 3
	v_ffbh_u32_e32 v12, v10
	v_min_u32_e32 v12, 32, v12
	v_lshrrev_b16_e32 v11, 3, v6
	v_subrev_u32_e32 v13, 28, v12
	v_and_b32_e32 v11, 15, v11
	v_lshlrev_b32_e32 v6, v13, v6
	v_sub_u32_e32 v12, 29, v12
	v_and_b32_e32 v6, 7, v6
	v_cmp_eq_u16_e32 vcc, 0, v11
	v_cndmask_b32_e32 v6, v10, v6, vcc
	v_cndmask_b32_e32 v10, v11, v12, vcc
	v_lshlrev_b32_e32 v11, 16, v3
	v_mov_b32_e32 v12, 0x3b800000
	v_lshlrev_b32_e32 v6, 20, v6
	v_and_b32_e32 v11, 0x80000000, v11
	v_lshl_add_u32 v10, v10, 23, v12
	v_or3_b32 v10, v11, v10, v6
.LBB29_688:
	s_or_b64 exec, exec, s[6:7]
	s_nop 0
	v_mfma_f32_16x16x4f32 a[0:3], v2, v10, a[0:3]
	s_movk_i32 s4, 0xff
	v_and_b32_sdwa v6, v7, s4 dst_sel:DWORD dst_unused:UNUSED_PAD src0_sel:WORD_1 src1_sel:DWORD
	s_movk_i32 s4, 0x7f
	v_cmp_lt_i16_e32 vcc, s4, v6
	s_mov_b64 s[4:5], 0
                                        ; implicit-def: $sgpr10
	s_and_saveexec_b64 s[6:7], vcc
	s_xor_b64 s[6:7], exec, s[6:7]
	s_cbranch_execnz .LBB29_2737
; %bb.689:
	s_or_saveexec_b64 s[6:7], s[6:7]
	v_mov_b32_e32 v2, s10
	s_xor_b64 exec, exec, s[6:7]
	s_cbranch_execnz .LBB29_2740
.LBB29_690:
	s_or_b64 exec, exec, s[6:7]
	s_and_saveexec_b64 s[6:7], s[4:5]
	s_cbranch_execz .LBB29_692
.LBB29_691:
	v_bfe_u32 v2, v7, 16, 3
	v_ffbh_u32_e32 v11, v2
	v_min_u32_e32 v11, 32, v11
	v_lshrrev_b32_e32 v6, 19, v7
	v_subrev_u32_e32 v12, 28, v11
	v_and_b32_e32 v6, 15, v6
	v_lshlrev_b32_sdwa v12, v12, v7 dst_sel:DWORD dst_unused:UNUSED_PAD src0_sel:DWORD src1_sel:WORD_1
	v_bfe_u32 v10, v7, 19, 4
	v_sub_u32_e32 v11, 29, v11
	v_and_b32_e32 v12, 7, v12
	v_cmp_eq_u16_e32 vcc, 0, v6
	v_cndmask_b32_e32 v2, v2, v12, vcc
	v_cndmask_b32_e32 v6, v10, v11, vcc
	v_lshlrev_b32_e32 v10, 8, v7
	v_mov_b32_e32 v11, 0x3b800000
	v_lshlrev_b32_e32 v2, 20, v2
	v_and_b32_e32 v10, 0x80000000, v10
	v_lshl_add_u32 v6, v6, 23, v11
	v_or3_b32 v2, v10, v6, v2
.LBB29_692:
	s_or_b64 exec, exec, s[6:7]
	s_movk_i32 s4, 0xff
	v_and_b32_sdwa v6, v3, s4 dst_sel:DWORD dst_unused:UNUSED_PAD src0_sel:WORD_1 src1_sel:DWORD
	s_movk_i32 s4, 0x7f
	v_cmp_lt_i16_e32 vcc, s4, v6
	s_mov_b64 s[4:5], 0
                                        ; implicit-def: $sgpr10
	s_and_saveexec_b64 s[6:7], vcc
	s_xor_b64 s[6:7], exec, s[6:7]
	s_cbranch_execnz .LBB29_2741
; %bb.693:
	s_or_saveexec_b64 s[6:7], s[6:7]
	v_mov_b32_e32 v10, s10
	s_xor_b64 exec, exec, s[6:7]
	s_cbranch_execnz .LBB29_2744
.LBB29_694:
	s_or_b64 exec, exec, s[6:7]
	s_and_saveexec_b64 s[6:7], s[4:5]
	s_cbranch_execz .LBB29_696
.LBB29_695:
	v_bfe_u32 v6, v3, 16, 3
	v_ffbh_u32_e32 v12, v6
	v_min_u32_e32 v12, 32, v12
	v_lshrrev_b32_e32 v10, 19, v3
	v_subrev_u32_e32 v13, 28, v12
	v_and_b32_e32 v10, 15, v10
	v_lshlrev_b32_sdwa v13, v13, v3 dst_sel:DWORD dst_unused:UNUSED_PAD src0_sel:DWORD src1_sel:WORD_1
	v_bfe_u32 v11, v3, 19, 4
	v_sub_u32_e32 v12, 29, v12
	v_and_b32_e32 v13, 7, v13
	v_cmp_eq_u16_e32 vcc, 0, v10
	v_cndmask_b32_e32 v6, v6, v13, vcc
	v_cndmask_b32_e32 v10, v11, v12, vcc
	v_lshlrev_b32_e32 v11, 8, v3
	v_mov_b32_e32 v12, 0x3b800000
	v_lshlrev_b32_e32 v6, 20, v6
	v_and_b32_e32 v11, 0x80000000, v11
	v_lshl_add_u32 v10, v10, 23, v12
	v_or3_b32 v10, v11, v10, v6
.LBB29_696:
	s_or_b64 exec, exec, s[6:7]
	s_nop 0
	v_mfma_f32_16x16x4f32 a[0:3], v2, v10, a[0:3]
	s_movk_i32 s4, 0x7f
	v_cmp_gt_i16_sdwa s[6:7], v7, s4 src0_sel:BYTE_3 src1_sel:DWORD
	s_mov_b64 s[4:5], 0
                                        ; implicit-def: $sgpr10
	s_and_saveexec_b64 s[8:9], s[6:7]
	s_xor_b64 s[6:7], exec, s[8:9]
	s_cbranch_execnz .LBB29_2745
; %bb.697:
	s_or_saveexec_b64 s[6:7], s[6:7]
	v_mov_b32_e32 v2, s10
	s_xor_b64 exec, exec, s[6:7]
	s_cbranch_execnz .LBB29_2748
.LBB29_698:
	s_or_b64 exec, exec, s[6:7]
	s_and_saveexec_b64 s[6:7], s[4:5]
	s_cbranch_execz .LBB29_700
.LBB29_699:
	v_bfe_u32 v2, v7, 24, 3
	v_ffbh_u32_e32 v12, v2
	v_min_u32_e32 v12, 32, v12
	v_lshrrev_b32_e32 v10, 27, v7
	v_subrev_u32_e32 v13, 28, v12
	v_and_b32_e32 v6, 0x80000000, v7
	v_and_b32_e32 v10, 15, v10
	v_bfe_u32 v11, v7, 27, 4
	v_lshlrev_b32_sdwa v7, v13, v7 dst_sel:DWORD dst_unused:UNUSED_PAD src0_sel:DWORD src1_sel:BYTE_3
	v_sub_u32_e32 v12, 29, v12
	v_and_b32_e32 v7, 7, v7
	v_cmp_eq_u16_e32 vcc, 0, v10
	v_cndmask_b32_e32 v2, v2, v7, vcc
	v_cndmask_b32_e32 v7, v11, v12, vcc
	v_mov_b32_e32 v10, 0x3b800000
	v_lshlrev_b32_e32 v2, 20, v2
	v_lshl_add_u32 v7, v7, 23, v10
	v_or3_b32 v2, v6, v7, v2
.LBB29_700:
	s_or_b64 exec, exec, s[6:7]
	s_movk_i32 s4, 0x7f
	v_cmp_gt_i16_sdwa s[6:7], v3, s4 src0_sel:BYTE_3 src1_sel:DWORD
	s_mov_b64 s[4:5], 0
                                        ; implicit-def: $sgpr10
	s_and_saveexec_b64 s[8:9], s[6:7]
	s_xor_b64 s[6:7], exec, s[8:9]
	s_cbranch_execnz .LBB29_2749
; %bb.701:
	s_or_saveexec_b64 s[6:7], s[6:7]
	v_mov_b32_e32 v6, s10
	s_xor_b64 exec, exec, s[6:7]
	s_cbranch_execnz .LBB29_2752
.LBB29_702:
	s_or_b64 exec, exec, s[6:7]
	s_and_saveexec_b64 s[6:7], s[4:5]
	s_cbranch_execz .LBB29_704
.LBB29_703:
	v_bfe_u32 v6, v3, 24, 3
	v_ffbh_u32_e32 v12, v6
	v_min_u32_e32 v12, 32, v12
	v_lshrrev_b32_e32 v10, 27, v3
	v_subrev_u32_e32 v13, 28, v12
	v_and_b32_e32 v7, 0x80000000, v3
	v_and_b32_e32 v10, 15, v10
	v_bfe_u32 v11, v3, 27, 4
	v_lshlrev_b32_sdwa v3, v13, v3 dst_sel:DWORD dst_unused:UNUSED_PAD src0_sel:DWORD src1_sel:BYTE_3
	v_sub_u32_e32 v12, 29, v12
	v_and_b32_e32 v3, 7, v3
	v_cmp_eq_u16_e32 vcc, 0, v10
	v_cndmask_b32_e32 v3, v6, v3, vcc
	v_cndmask_b32_e32 v6, v11, v12, vcc
	v_mov_b32_e32 v10, 0x3b800000
	v_lshlrev_b32_e32 v3, 20, v3
	v_lshl_add_u32 v6, v6, 23, v10
	v_or3_b32 v6, v7, v6, v3
.LBB29_704:
	s_or_b64 exec, exec, s[6:7]
	s_nop 0
	v_mfma_f32_16x16x4f32 a[0:3], v2, v6, a[0:3]
	s_movk_i32 s4, 0x7f
	v_cmp_gt_i16_sdwa s[6:7], v8, s4 src0_sel:BYTE_0 src1_sel:DWORD
	s_mov_b64 s[4:5], 0
                                        ; implicit-def: $sgpr10
	s_and_saveexec_b64 s[8:9], s[6:7]
	s_xor_b64 s[6:7], exec, s[8:9]
	s_cbranch_execnz .LBB29_2753
; %bb.705:
	s_or_saveexec_b64 s[6:7], s[6:7]
	v_mov_b32_e32 v2, s10
	s_xor_b64 exec, exec, s[6:7]
	s_cbranch_execnz .LBB29_2756
.LBB29_706:
	s_or_b64 exec, exec, s[6:7]
	s_and_saveexec_b64 s[6:7], s[4:5]
	s_cbranch_execz .LBB29_708
.LBB29_707:
	v_and_b32_e32 v2, 7, v8
	v_ffbh_u32_e32 v6, v2
	v_min_u32_e32 v6, 32, v6
	v_lshrrev_b16_e32 v3, 3, v8
	v_subrev_u32_e32 v7, 28, v6
	v_and_b32_e32 v3, 15, v3
	v_lshlrev_b32_e32 v7, v7, v8
	v_sub_u32_e32 v6, 29, v6
	v_and_b32_e32 v7, 7, v7
	v_cmp_eq_u16_e32 vcc, 0, v3
	v_cndmask_b32_e32 v2, v2, v7, vcc
	v_cndmask_b32_e32 v3, v3, v6, vcc
	v_lshlrev_b32_e32 v6, 24, v8
	v_mov_b32_e32 v7, 0x3b800000
	v_lshlrev_b32_e32 v2, 20, v2
	v_and_b32_e32 v6, 0x80000000, v6
	v_lshl_add_u32 v3, v3, 23, v7
	v_or3_b32 v2, v6, v3, v2
.LBB29_708:
	s_or_b64 exec, exec, s[6:7]
	s_movk_i32 s4, 0x7f
	v_cmp_gt_i16_sdwa s[6:7], v4, s4 src0_sel:BYTE_0 src1_sel:DWORD
	s_mov_b64 s[4:5], 0
                                        ; implicit-def: $sgpr10
	s_and_saveexec_b64 s[8:9], s[6:7]
	s_xor_b64 s[6:7], exec, s[8:9]
	s_cbranch_execnz .LBB29_2757
; %bb.709:
	s_or_saveexec_b64 s[6:7], s[6:7]
	v_mov_b32_e32 v3, s10
	s_xor_b64 exec, exec, s[6:7]
	s_cbranch_execnz .LBB29_2760
.LBB29_710:
	s_or_b64 exec, exec, s[6:7]
	s_and_saveexec_b64 s[6:7], s[4:5]
	s_cbranch_execz .LBB29_712
.LBB29_711:
	v_and_b32_e32 v3, 7, v4
	v_ffbh_u32_e32 v7, v3
	v_min_u32_e32 v7, 32, v7
	v_lshrrev_b16_e32 v6, 3, v4
	v_subrev_u32_e32 v10, 28, v7
	v_and_b32_e32 v6, 15, v6
	v_lshlrev_b32_e32 v10, v10, v4
	v_sub_u32_e32 v7, 29, v7
	v_and_b32_e32 v10, 7, v10
	v_cmp_eq_u16_e32 vcc, 0, v6
	v_cndmask_b32_e32 v3, v3, v10, vcc
	v_cndmask_b32_e32 v6, v6, v7, vcc
	v_lshlrev_b32_e32 v7, 24, v4
	v_mov_b32_e32 v10, 0x3b800000
	v_lshlrev_b32_e32 v3, 20, v3
	v_and_b32_e32 v7, 0x80000000, v7
	v_lshl_add_u32 v6, v6, 23, v10
	v_or3_b32 v3, v7, v6, v3
.LBB29_712:
	s_or_b64 exec, exec, s[6:7]
	s_nop 0
	v_mfma_f32_16x16x4f32 a[0:3], v2, v3, a[0:3]
	v_lshrrev_b32_e32 v3, 8, v8
	s_movk_i32 s4, 0x7f
	v_cmp_gt_i16_sdwa s[6:7], v3, s4 src0_sel:BYTE_0 src1_sel:DWORD
	s_mov_b64 s[4:5], 0
                                        ; implicit-def: $sgpr10
	s_and_saveexec_b64 s[8:9], s[6:7]
	s_xor_b64 s[6:7], exec, s[8:9]
	s_cbranch_execnz .LBB29_2761
; %bb.713:
	s_or_saveexec_b64 s[6:7], s[6:7]
	v_mov_b32_e32 v2, s10
	s_xor_b64 exec, exec, s[6:7]
	s_cbranch_execnz .LBB29_2764
.LBB29_714:
	s_or_b64 exec, exec, s[6:7]
	s_and_saveexec_b64 s[6:7], s[4:5]
	s_cbranch_execz .LBB29_716
.LBB29_715:
	v_bfe_u32 v2, v8, 8, 3
	v_ffbh_u32_e32 v7, v2
	v_min_u32_e32 v7, 32, v7
	v_lshrrev_b16_e32 v6, 3, v3
	v_subrev_u32_e32 v10, 28, v7
	v_and_b32_e32 v6, 15, v6
	v_lshlrev_b32_e32 v3, v10, v3
	v_sub_u32_e32 v7, 29, v7
	v_and_b32_e32 v3, 7, v3
	v_cmp_eq_u16_e32 vcc, 0, v6
	v_cndmask_b32_e32 v2, v2, v3, vcc
	v_cndmask_b32_e32 v3, v6, v7, vcc
	v_lshlrev_b32_e32 v6, 16, v8
	v_mov_b32_e32 v7, 0x3b800000
	v_lshlrev_b32_e32 v2, 20, v2
	v_and_b32_e32 v6, 0x80000000, v6
	v_lshl_add_u32 v3, v3, 23, v7
	v_or3_b32 v2, v6, v3, v2
.LBB29_716:
	s_or_b64 exec, exec, s[6:7]
	v_lshrrev_b32_e32 v3, 8, v4
	s_movk_i32 s4, 0x7f
	v_cmp_gt_i16_sdwa s[6:7], v3, s4 src0_sel:BYTE_0 src1_sel:DWORD
	s_mov_b64 s[4:5], 0
                                        ; implicit-def: $sgpr10
	s_and_saveexec_b64 s[8:9], s[6:7]
	s_xor_b64 s[6:7], exec, s[8:9]
	s_cbranch_execnz .LBB29_2765
; %bb.717:
	s_or_saveexec_b64 s[6:7], s[6:7]
	v_mov_b32_e32 v6, s10
	s_xor_b64 exec, exec, s[6:7]
	s_cbranch_execnz .LBB29_2768
.LBB29_718:
	s_or_b64 exec, exec, s[6:7]
	s_and_saveexec_b64 s[6:7], s[4:5]
	s_cbranch_execz .LBB29_720
.LBB29_719:
	v_bfe_u32 v6, v4, 8, 3
	v_ffbh_u32_e32 v10, v6
	v_min_u32_e32 v10, 32, v10
	v_lshrrev_b16_e32 v7, 3, v3
	v_subrev_u32_e32 v11, 28, v10
	v_and_b32_e32 v7, 15, v7
	v_lshlrev_b32_e32 v3, v11, v3
	v_sub_u32_e32 v10, 29, v10
	v_and_b32_e32 v3, 7, v3
	v_cmp_eq_u16_e32 vcc, 0, v7
	v_cndmask_b32_e32 v3, v6, v3, vcc
	v_cndmask_b32_e32 v6, v7, v10, vcc
	v_lshlrev_b32_e32 v7, 16, v4
	v_mov_b32_e32 v10, 0x3b800000
	v_lshlrev_b32_e32 v3, 20, v3
	v_and_b32_e32 v7, 0x80000000, v7
	v_lshl_add_u32 v6, v6, 23, v10
	v_or3_b32 v6, v7, v6, v3
.LBB29_720:
	s_or_b64 exec, exec, s[6:7]
	s_nop 0
	v_mfma_f32_16x16x4f32 a[0:3], v2, v6, a[0:3]
	s_movk_i32 s4, 0xff
	v_and_b32_sdwa v3, v8, s4 dst_sel:DWORD dst_unused:UNUSED_PAD src0_sel:WORD_1 src1_sel:DWORD
	s_movk_i32 s4, 0x7f
	v_cmp_lt_i16_e32 vcc, s4, v3
	s_mov_b64 s[4:5], 0
                                        ; implicit-def: $sgpr10
	s_and_saveexec_b64 s[6:7], vcc
	s_xor_b64 s[6:7], exec, s[6:7]
	s_cbranch_execnz .LBB29_2769
; %bb.721:
	s_or_saveexec_b64 s[6:7], s[6:7]
	v_mov_b32_e32 v2, s10
	s_xor_b64 exec, exec, s[6:7]
	s_cbranch_execnz .LBB29_2772
.LBB29_722:
	s_or_b64 exec, exec, s[6:7]
	s_and_saveexec_b64 s[6:7], s[4:5]
	s_cbranch_execz .LBB29_724
.LBB29_723:
	v_bfe_u32 v2, v8, 16, 3
	v_ffbh_u32_e32 v7, v2
	v_min_u32_e32 v7, 32, v7
	v_lshrrev_b32_e32 v3, 19, v8
	v_subrev_u32_e32 v10, 28, v7
	v_and_b32_e32 v3, 15, v3
	v_lshlrev_b32_sdwa v10, v10, v8 dst_sel:DWORD dst_unused:UNUSED_PAD src0_sel:DWORD src1_sel:WORD_1
	v_bfe_u32 v6, v8, 19, 4
	v_sub_u32_e32 v7, 29, v7
	v_and_b32_e32 v10, 7, v10
	v_cmp_eq_u16_e32 vcc, 0, v3
	v_cndmask_b32_e32 v2, v2, v10, vcc
	v_cndmask_b32_e32 v3, v6, v7, vcc
	v_lshlrev_b32_e32 v6, 8, v8
	v_mov_b32_e32 v7, 0x3b800000
	v_lshlrev_b32_e32 v2, 20, v2
	v_and_b32_e32 v6, 0x80000000, v6
	v_lshl_add_u32 v3, v3, 23, v7
	v_or3_b32 v2, v6, v3, v2
.LBB29_724:
	s_or_b64 exec, exec, s[6:7]
	s_movk_i32 s4, 0xff
	v_and_b32_sdwa v3, v4, s4 dst_sel:DWORD dst_unused:UNUSED_PAD src0_sel:WORD_1 src1_sel:DWORD
	s_movk_i32 s4, 0x7f
	v_cmp_lt_i16_e32 vcc, s4, v3
	s_mov_b64 s[4:5], 0
                                        ; implicit-def: $sgpr10
	s_and_saveexec_b64 s[6:7], vcc
	s_xor_b64 s[6:7], exec, s[6:7]
	s_cbranch_execnz .LBB29_2773
; %bb.725:
	s_or_saveexec_b64 s[6:7], s[6:7]
	v_mov_b32_e32 v6, s10
	s_xor_b64 exec, exec, s[6:7]
	s_cbranch_execnz .LBB29_2776
.LBB29_726:
	s_or_b64 exec, exec, s[6:7]
	s_and_saveexec_b64 s[6:7], s[4:5]
	s_cbranch_execz .LBB29_728
.LBB29_727:
	v_bfe_u32 v3, v4, 16, 3
	v_ffbh_u32_e32 v10, v3
	v_min_u32_e32 v10, 32, v10
	v_lshrrev_b32_e32 v6, 19, v4
	v_subrev_u32_e32 v11, 28, v10
	v_and_b32_e32 v6, 15, v6
	v_lshlrev_b32_sdwa v11, v11, v4 dst_sel:DWORD dst_unused:UNUSED_PAD src0_sel:DWORD src1_sel:WORD_1
	v_bfe_u32 v7, v4, 19, 4
	v_sub_u32_e32 v10, 29, v10
	v_and_b32_e32 v11, 7, v11
	v_cmp_eq_u16_e32 vcc, 0, v6
	v_cndmask_b32_e32 v3, v3, v11, vcc
	v_cndmask_b32_e32 v6, v7, v10, vcc
	v_lshlrev_b32_e32 v7, 8, v4
	v_mov_b32_e32 v10, 0x3b800000
	v_lshlrev_b32_e32 v3, 20, v3
	v_and_b32_e32 v7, 0x80000000, v7
	v_lshl_add_u32 v6, v6, 23, v10
	v_or3_b32 v6, v7, v6, v3
.LBB29_728:
	s_or_b64 exec, exec, s[6:7]
	s_nop 0
	v_mfma_f32_16x16x4f32 a[0:3], v2, v6, a[0:3]
	s_movk_i32 s4, 0x7f
	v_cmp_gt_i16_sdwa s[6:7], v8, s4 src0_sel:BYTE_3 src1_sel:DWORD
	s_mov_b64 s[4:5], 0
                                        ; implicit-def: $sgpr10
	s_and_saveexec_b64 s[8:9], s[6:7]
	s_xor_b64 s[6:7], exec, s[8:9]
	s_cbranch_execnz .LBB29_2777
; %bb.729:
	s_or_saveexec_b64 s[6:7], s[6:7]
	v_mov_b32_e32 v2, s10
	s_xor_b64 exec, exec, s[6:7]
	s_cbranch_execnz .LBB29_2780
.LBB29_730:
	s_or_b64 exec, exec, s[6:7]
	s_and_saveexec_b64 s[6:7], s[4:5]
	s_cbranch_execz .LBB29_732
.LBB29_731:
	v_bfe_u32 v2, v8, 24, 3
	v_ffbh_u32_e32 v10, v2
	v_min_u32_e32 v10, 32, v10
	v_lshrrev_b32_e32 v6, 27, v8
	v_subrev_u32_e32 v11, 28, v10
	v_and_b32_e32 v3, 0x80000000, v8
	v_and_b32_e32 v6, 15, v6
	v_bfe_u32 v7, v8, 27, 4
	v_lshlrev_b32_sdwa v8, v11, v8 dst_sel:DWORD dst_unused:UNUSED_PAD src0_sel:DWORD src1_sel:BYTE_3
	v_sub_u32_e32 v10, 29, v10
	v_and_b32_e32 v8, 7, v8
	v_cmp_eq_u16_e32 vcc, 0, v6
	v_cndmask_b32_e32 v2, v2, v8, vcc
	v_cndmask_b32_e32 v6, v7, v10, vcc
	v_mov_b32_e32 v7, 0x3b800000
	v_lshlrev_b32_e32 v2, 20, v2
	v_lshl_add_u32 v6, v6, 23, v7
	v_or3_b32 v2, v3, v6, v2
.LBB29_732:
	s_or_b64 exec, exec, s[6:7]
	s_movk_i32 s4, 0x7f
	v_cmp_gt_i16_sdwa s[6:7], v4, s4 src0_sel:BYTE_3 src1_sel:DWORD
	s_mov_b64 s[4:5], 0
                                        ; implicit-def: $sgpr10
	s_and_saveexec_b64 s[8:9], s[6:7]
	s_xor_b64 s[6:7], exec, s[8:9]
	s_cbranch_execnz .LBB29_2781
; %bb.733:
	s_or_saveexec_b64 s[6:7], s[6:7]
	v_mov_b32_e32 v3, s10
	s_xor_b64 exec, exec, s[6:7]
	s_cbranch_execnz .LBB29_2784
.LBB29_734:
	s_or_b64 exec, exec, s[6:7]
	s_and_saveexec_b64 s[6:7], s[4:5]
	s_cbranch_execz .LBB29_736
.LBB29_735:
	v_bfe_u32 v3, v4, 24, 3
	v_ffbh_u32_e32 v10, v3
	v_min_u32_e32 v10, 32, v10
	v_lshrrev_b32_e32 v7, 27, v4
	v_subrev_u32_e32 v11, 28, v10
	v_and_b32_e32 v6, 0x80000000, v4
	v_and_b32_e32 v7, 15, v7
	v_bfe_u32 v8, v4, 27, 4
	v_lshlrev_b32_sdwa v4, v11, v4 dst_sel:DWORD dst_unused:UNUSED_PAD src0_sel:DWORD src1_sel:BYTE_3
	v_sub_u32_e32 v10, 29, v10
	v_and_b32_e32 v4, 7, v4
	v_cmp_eq_u16_e32 vcc, 0, v7
	v_cndmask_b32_e32 v3, v3, v4, vcc
	v_cndmask_b32_e32 v4, v8, v10, vcc
	v_mov_b32_e32 v7, 0x3b800000
	v_lshlrev_b32_e32 v3, 20, v3
	v_lshl_add_u32 v4, v4, 23, v7
	v_or3_b32 v3, v6, v4, v3
.LBB29_736:
	s_or_b64 exec, exec, s[6:7]
	s_nop 0
	v_mfma_f32_16x16x4f32 a[0:3], v2, v3, a[0:3]
	s_movk_i32 s4, 0x7f
	v_cmp_gt_i16_sdwa s[6:7], v9, s4 src0_sel:BYTE_0 src1_sel:DWORD
	s_mov_b64 s[4:5], 0
                                        ; implicit-def: $sgpr10
	s_and_saveexec_b64 s[8:9], s[6:7]
	s_xor_b64 s[6:7], exec, s[8:9]
	s_cbranch_execnz .LBB29_2785
; %bb.737:
	s_or_saveexec_b64 s[6:7], s[6:7]
	v_mov_b32_e32 v2, s10
	s_xor_b64 exec, exec, s[6:7]
	s_cbranch_execnz .LBB29_2788
.LBB29_738:
	s_or_b64 exec, exec, s[6:7]
	s_and_saveexec_b64 s[6:7], s[4:5]
	s_cbranch_execz .LBB29_740
.LBB29_739:
	v_mov_b32_e32 v2, 8
	v_and_b32_e32 v3, 7, v9
	v_lshrrev_b32_sdwa v2, v2, v9 dst_sel:BYTE_1 dst_unused:UNUSED_PAD src0_sel:DWORD src1_sel:DWORD
	v_ffbh_u32_e32 v4, v3
	v_or_b32_sdwa v2, v9, v2 dst_sel:DWORD dst_unused:UNUSED_PAD src0_sel:BYTE_0 src1_sel:DWORD
	v_min_u32_e32 v4, 32, v4
	v_lshrrev_b16_e32 v2, 3, v2
	v_subrev_u32_e32 v6, 28, v4
	v_and_b32_e32 v2, 15, v2
	v_lshlrev_b32_e32 v6, v6, v9
	v_sub_u32_e32 v4, 29, v4
	v_and_b32_e32 v6, 7, v6
	v_cmp_eq_u16_e32 vcc, 0, v2
	v_cndmask_b32_e32 v3, v3, v6, vcc
	v_cndmask_b32_e32 v2, v2, v4, vcc
	v_lshlrev_b32_e32 v4, 24, v9
	v_mov_b32_e32 v6, 0x3b800000
	v_lshlrev_b32_e32 v3, 20, v3
	v_and_b32_e32 v4, 0x80000000, v4
	v_lshl_add_u32 v2, v2, 23, v6
	v_or3_b32 v2, v4, v2, v3
.LBB29_740:
	s_or_b64 exec, exec, s[6:7]
	s_movk_i32 s4, 0x7f
	v_cmp_gt_i16_sdwa s[6:7], v5, s4 src0_sel:BYTE_0 src1_sel:DWORD
	s_mov_b64 s[4:5], 0
                                        ; implicit-def: $sgpr10
	s_and_saveexec_b64 s[8:9], s[6:7]
	s_xor_b64 s[6:7], exec, s[8:9]
	s_cbranch_execnz .LBB29_2789
; %bb.741:
	s_or_saveexec_b64 s[6:7], s[6:7]
	v_mov_b32_e32 v3, s10
	s_xor_b64 exec, exec, s[6:7]
	s_cbranch_execnz .LBB29_2792
.LBB29_742:
	s_or_b64 exec, exec, s[6:7]
	s_and_saveexec_b64 s[6:7], s[4:5]
	s_cbranch_execz .LBB29_744
.LBB29_743:
	v_mov_b32_e32 v3, 8
	v_and_b32_e32 v4, 7, v5
	v_lshrrev_b32_sdwa v3, v3, v5 dst_sel:BYTE_1 dst_unused:UNUSED_PAD src0_sel:DWORD src1_sel:DWORD
	v_ffbh_u32_e32 v6, v4
	v_or_b32_sdwa v3, v5, v3 dst_sel:DWORD dst_unused:UNUSED_PAD src0_sel:BYTE_0 src1_sel:DWORD
	v_min_u32_e32 v6, 32, v6
	v_lshrrev_b16_e32 v3, 3, v3
	v_subrev_u32_e32 v7, 28, v6
	v_and_b32_e32 v3, 15, v3
	v_lshlrev_b32_e32 v7, v7, v5
	v_sub_u32_e32 v6, 29, v6
	v_and_b32_e32 v7, 7, v7
	v_cmp_eq_u16_e32 vcc, 0, v3
	v_cndmask_b32_e32 v4, v4, v7, vcc
	v_cndmask_b32_e32 v3, v3, v6, vcc
	v_lshlrev_b32_e32 v6, 24, v5
	v_mov_b32_e32 v7, 0x3b800000
	v_lshlrev_b32_e32 v4, 20, v4
	v_and_b32_e32 v6, 0x80000000, v6
	v_lshl_add_u32 v3, v3, 23, v7
	v_or3_b32 v3, v6, v3, v4
.LBB29_744:
	s_or_b64 exec, exec, s[6:7]
	s_nop 0
	v_mfma_f32_16x16x4f32 a[0:3], v2, v3, a[0:3]
	v_lshrrev_b32_e32 v3, 8, v9
	s_movk_i32 s4, 0x7f
	v_cmp_gt_i16_sdwa s[6:7], v3, s4 src0_sel:BYTE_0 src1_sel:DWORD
	s_mov_b64 s[4:5], 0
                                        ; implicit-def: $sgpr10
	s_and_saveexec_b64 s[8:9], s[6:7]
	s_xor_b64 s[6:7], exec, s[8:9]
	s_cbranch_execnz .LBB29_2793
; %bb.745:
	s_or_saveexec_b64 s[6:7], s[6:7]
	v_mov_b32_e32 v2, s10
	s_xor_b64 exec, exec, s[6:7]
	s_cbranch_execnz .LBB29_2796
.LBB29_746:
	s_or_b64 exec, exec, s[6:7]
	s_and_saveexec_b64 s[6:7], s[4:5]
	s_cbranch_execz .LBB29_748
.LBB29_747:
	v_bfe_u32 v2, v9, 8, 3
	v_ffbh_u32_e32 v6, v2
	v_min_u32_e32 v6, 32, v6
	v_lshrrev_b16_e32 v4, 3, v3
	v_subrev_u32_e32 v7, 28, v6
	v_and_b32_e32 v4, 15, v4
	v_lshlrev_b32_e32 v3, v7, v3
	v_sub_u32_e32 v6, 29, v6
	v_and_b32_e32 v3, 7, v3
	v_cmp_eq_u16_e32 vcc, 0, v4
	v_cndmask_b32_e32 v2, v2, v3, vcc
	v_cndmask_b32_e32 v3, v4, v6, vcc
	v_lshlrev_b32_e32 v4, 16, v9
	v_mov_b32_e32 v6, 0x3b800000
	v_lshlrev_b32_e32 v2, 20, v2
	v_and_b32_e32 v4, 0x80000000, v4
	v_lshl_add_u32 v3, v3, 23, v6
	v_or3_b32 v2, v4, v3, v2
.LBB29_748:
	s_or_b64 exec, exec, s[6:7]
	v_lshrrev_b32_e32 v3, 8, v5
	s_movk_i32 s4, 0x7f
	v_cmp_gt_i16_sdwa s[6:7], v3, s4 src0_sel:BYTE_0 src1_sel:DWORD
	s_mov_b64 s[4:5], 0
                                        ; implicit-def: $sgpr10
	s_and_saveexec_b64 s[8:9], s[6:7]
	s_xor_b64 s[6:7], exec, s[8:9]
	s_cbranch_execnz .LBB29_2797
; %bb.749:
	s_or_saveexec_b64 s[6:7], s[6:7]
	v_mov_b32_e32 v4, s10
	s_xor_b64 exec, exec, s[6:7]
	s_cbranch_execnz .LBB29_2800
.LBB29_750:
	s_or_b64 exec, exec, s[6:7]
	s_and_saveexec_b64 s[6:7], s[4:5]
	s_cbranch_execz .LBB29_752
.LBB29_751:
	v_bfe_u32 v4, v5, 8, 3
	v_ffbh_u32_e32 v7, v4
	v_min_u32_e32 v7, 32, v7
	v_lshrrev_b16_e32 v6, 3, v3
	v_subrev_u32_e32 v8, 28, v7
	v_and_b32_e32 v6, 15, v6
	v_lshlrev_b32_e32 v3, v8, v3
	v_sub_u32_e32 v7, 29, v7
	v_and_b32_e32 v3, 7, v3
	v_cmp_eq_u16_e32 vcc, 0, v6
	v_cndmask_b32_e32 v3, v4, v3, vcc
	v_cndmask_b32_e32 v4, v6, v7, vcc
	v_lshlrev_b32_e32 v6, 16, v5
	v_mov_b32_e32 v7, 0x3b800000
	v_lshlrev_b32_e32 v3, 20, v3
	v_and_b32_e32 v6, 0x80000000, v6
	v_lshl_add_u32 v4, v4, 23, v7
	v_or3_b32 v4, v6, v4, v3
.LBB29_752:
	s_or_b64 exec, exec, s[6:7]
	s_nop 0
	v_mfma_f32_16x16x4f32 a[0:3], v2, v4, a[0:3]
	s_movk_i32 s4, 0xff
	v_and_b32_sdwa v3, v9, s4 dst_sel:DWORD dst_unused:UNUSED_PAD src0_sel:WORD_1 src1_sel:DWORD
	s_movk_i32 s4, 0x7f
	v_cmp_lt_i16_e32 vcc, s4, v3
	s_mov_b64 s[4:5], 0
                                        ; implicit-def: $sgpr10
	s_and_saveexec_b64 s[6:7], vcc
	s_xor_b64 s[6:7], exec, s[6:7]
	s_cbranch_execnz .LBB29_2801
; %bb.753:
	s_or_saveexec_b64 s[6:7], s[6:7]
	v_mov_b32_e32 v2, s10
	s_xor_b64 exec, exec, s[6:7]
	s_cbranch_execnz .LBB29_2804
.LBB29_754:
	s_or_b64 exec, exec, s[6:7]
	s_and_saveexec_b64 s[6:7], s[4:5]
	s_cbranch_execz .LBB29_756
.LBB29_755:
	v_bfe_u32 v2, v9, 16, 3
	v_ffbh_u32_e32 v6, v2
	v_min_u32_e32 v6, 32, v6
	v_lshrrev_b32_e32 v3, 19, v9
	v_subrev_u32_e32 v7, 28, v6
	v_and_b32_e32 v3, 15, v3
	v_lshlrev_b32_sdwa v7, v7, v9 dst_sel:DWORD dst_unused:UNUSED_PAD src0_sel:DWORD src1_sel:WORD_1
	v_bfe_u32 v4, v9, 19, 4
	v_sub_u32_e32 v6, 29, v6
	v_and_b32_e32 v7, 7, v7
	v_cmp_eq_u16_e32 vcc, 0, v3
	v_cndmask_b32_e32 v2, v2, v7, vcc
	v_cndmask_b32_e32 v3, v4, v6, vcc
	v_lshlrev_b32_e32 v4, 8, v9
	v_mov_b32_e32 v6, 0x3b800000
	v_lshlrev_b32_e32 v2, 20, v2
	v_and_b32_e32 v4, 0x80000000, v4
	v_lshl_add_u32 v3, v3, 23, v6
	v_or3_b32 v2, v4, v3, v2
.LBB29_756:
	s_or_b64 exec, exec, s[6:7]
	s_movk_i32 s4, 0xff
	v_and_b32_sdwa v3, v5, s4 dst_sel:DWORD dst_unused:UNUSED_PAD src0_sel:WORD_1 src1_sel:DWORD
	s_movk_i32 s4, 0x7f
	v_cmp_lt_i16_e32 vcc, s4, v3
	s_mov_b64 s[4:5], 0
                                        ; implicit-def: $sgpr10
	s_and_saveexec_b64 s[6:7], vcc
	s_xor_b64 s[6:7], exec, s[6:7]
	s_cbranch_execnz .LBB29_2805
; %bb.757:
	s_or_saveexec_b64 s[6:7], s[6:7]
	v_mov_b32_e32 v4, s10
	s_xor_b64 exec, exec, s[6:7]
	s_cbranch_execnz .LBB29_2808
.LBB29_758:
	s_or_b64 exec, exec, s[6:7]
	s_and_saveexec_b64 s[6:7], s[4:5]
	s_cbranch_execz .LBB29_760
.LBB29_759:
	v_bfe_u32 v3, v5, 16, 3
	v_ffbh_u32_e32 v7, v3
	v_min_u32_e32 v7, 32, v7
	v_lshrrev_b32_e32 v4, 19, v5
	v_subrev_u32_e32 v8, 28, v7
	v_and_b32_e32 v4, 15, v4
	v_lshlrev_b32_sdwa v8, v8, v5 dst_sel:DWORD dst_unused:UNUSED_PAD src0_sel:DWORD src1_sel:WORD_1
	v_bfe_u32 v6, v5, 19, 4
	v_sub_u32_e32 v7, 29, v7
	v_and_b32_e32 v8, 7, v8
	v_cmp_eq_u16_e32 vcc, 0, v4
	v_cndmask_b32_e32 v3, v3, v8, vcc
	v_cndmask_b32_e32 v4, v6, v7, vcc
	v_lshlrev_b32_e32 v6, 8, v5
	v_mov_b32_e32 v7, 0x3b800000
	v_lshlrev_b32_e32 v3, 20, v3
	v_and_b32_e32 v6, 0x80000000, v6
	v_lshl_add_u32 v4, v4, 23, v7
	v_or3_b32 v4, v6, v4, v3
.LBB29_760:
	s_or_b64 exec, exec, s[6:7]
	s_nop 0
	v_mfma_f32_16x16x4f32 a[0:3], v2, v4, a[0:3]
	s_movk_i32 s4, 0x7f
	v_cmp_gt_i16_sdwa s[6:7], v9, s4 src0_sel:BYTE_3 src1_sel:DWORD
	s_mov_b64 s[4:5], 0
                                        ; implicit-def: $sgpr10
	s_and_saveexec_b64 s[8:9], s[6:7]
	s_xor_b64 s[6:7], exec, s[8:9]
	s_cbranch_execnz .LBB29_2809
; %bb.761:
	s_or_saveexec_b64 s[6:7], s[6:7]
	v_mov_b32_e32 v2, s10
	s_xor_b64 exec, exec, s[6:7]
	s_cbranch_execnz .LBB29_2812
.LBB29_762:
	s_or_b64 exec, exec, s[6:7]
	s_and_saveexec_b64 s[6:7], s[4:5]
	s_cbranch_execz .LBB29_764
.LBB29_763:
	v_bfe_u32 v2, v9, 24, 3
	v_ffbh_u32_e32 v7, v2
	v_min_u32_e32 v7, 32, v7
	v_lshrrev_b32_e32 v4, 27, v9
	v_subrev_u32_e32 v8, 28, v7
	v_and_b32_e32 v4, 15, v4
	v_lshlrev_b32_sdwa v8, v8, v9 dst_sel:DWORD dst_unused:UNUSED_PAD src0_sel:DWORD src1_sel:BYTE_3
	v_bfe_u32 v6, v9, 27, 4
	v_sub_u32_e32 v7, 29, v7
	v_and_b32_e32 v8, 7, v8
	v_cmp_eq_u16_e32 vcc, 0, v4
	v_cndmask_b32_e32 v2, v2, v8, vcc
	v_cndmask_b32_e32 v4, v6, v7, vcc
	v_mov_b32_e32 v6, 0x3b800000
	v_and_b32_e32 v3, 0x80000000, v9
	v_lshlrev_b32_e32 v2, 20, v2
	v_lshl_add_u32 v4, v4, 23, v6
	v_or3_b32 v2, v3, v4, v2
.LBB29_764:
	s_or_b64 exec, exec, s[6:7]
	s_movk_i32 s4, 0x7f
	v_cmp_gt_i16_sdwa s[6:7], v5, s4 src0_sel:BYTE_3 src1_sel:DWORD
	s_mov_b64 s[4:5], 0
                                        ; implicit-def: $sgpr10
	s_and_saveexec_b64 s[8:9], s[6:7]
	s_xor_b64 s[6:7], exec, s[8:9]
	s_cbranch_execnz .LBB29_2813
; %bb.765:
	s_or_saveexec_b64 s[6:7], s[6:7]
	v_mov_b32_e32 v3, s10
	s_xor_b64 exec, exec, s[6:7]
	s_cbranch_execnz .LBB29_2816
.LBB29_766:
	s_or_b64 exec, exec, s[6:7]
	s_and_saveexec_b64 s[6:7], s[4:5]
	s_cbranch_execz .LBB29_768
.LBB29_767:
	v_bfe_u32 v3, v5, 24, 3
	v_ffbh_u32_e32 v8, v3
	v_min_u32_e32 v8, 32, v8
	v_lshrrev_b32_e32 v6, 27, v5
	v_subrev_u32_e32 v9, 28, v8
	v_and_b32_e32 v4, 0x80000000, v5
	v_and_b32_e32 v6, 15, v6
	v_bfe_u32 v7, v5, 27, 4
	v_lshlrev_b32_sdwa v5, v9, v5 dst_sel:DWORD dst_unused:UNUSED_PAD src0_sel:DWORD src1_sel:BYTE_3
	v_sub_u32_e32 v8, 29, v8
	v_and_b32_e32 v5, 7, v5
	v_cmp_eq_u16_e32 vcc, 0, v6
	v_cndmask_b32_e32 v3, v3, v5, vcc
	v_cndmask_b32_e32 v5, v7, v8, vcc
	v_mov_b32_e32 v6, 0x3b800000
	v_lshlrev_b32_e32 v3, 20, v3
	v_lshl_add_u32 v5, v5, 23, v6
	v_or3_b32 v3, v4, v5, v3
.LBB29_768:
	s_or_b64 exec, exec, s[6:7]
	s_nop 0
	v_mfma_f32_16x16x4f32 a[0:3], v2, v3, a[0:3]
	s_movk_i32 s4, 0x7f
                                        ; implicit-def: $sgpr10
	s_nop 7
	s_nop 1
	flat_store_dwordx4 v[18:19], a[0:3] offset:160
	flat_load_dwordx4 v[20:23], v[0:1] offset:16
	s_nop 0
	flat_load_dwordx2 v[18:19], v[0:1] offset:32
	s_waitcnt vmcnt(0) lgkmcnt(0)
	flat_load_dwordx4 v[14:17], v[20:21] offset:32
	flat_load_dwordx4 v[6:9], v[20:21] offset:48
	;; [unrolled: 1-line block ×4, first 2 shown]
	s_waitcnt vmcnt(0) lgkmcnt(0)
	v_cmp_gt_i16_sdwa s[6:7], v14, s4 src0_sel:BYTE_0 src1_sel:DWORD
	s_mov_b64 s[4:5], 0
	s_and_saveexec_b64 s[8:9], s[6:7]
	s_xor_b64 s[6:7], exec, s[8:9]
	s_cbranch_execnz .LBB29_2817
; %bb.769:
	s_or_saveexec_b64 s[6:7], s[6:7]
	v_mov_b32_e32 v20, s10
	s_xor_b64 exec, exec, s[6:7]
	s_cbranch_execnz .LBB29_2820
.LBB29_770:
	s_or_b64 exec, exec, s[6:7]
	s_and_saveexec_b64 s[6:7], s[4:5]
	s_cbranch_execz .LBB29_772
.LBB29_771:
	v_and_b32_e32 v20, 7, v14
	v_ffbh_u32_e32 v22, v20
	v_min_u32_e32 v22, 32, v22
	v_lshrrev_b16_e32 v21, 3, v14
	v_subrev_u32_e32 v23, 28, v22
	v_and_b32_e32 v21, 15, v21
	v_lshlrev_b32_e32 v23, v23, v14
	v_sub_u32_e32 v22, 29, v22
	v_and_b32_e32 v23, 7, v23
	v_cmp_eq_u16_e32 vcc, 0, v21
	v_cndmask_b32_e32 v20, v20, v23, vcc
	v_cndmask_b32_e32 v21, v21, v22, vcc
	v_lshlrev_b32_e32 v22, 24, v14
	v_mov_b32_e32 v23, 0x3b800000
	v_lshlrev_b32_e32 v20, 20, v20
	v_and_b32_e32 v22, 0x80000000, v22
	v_lshl_add_u32 v21, v21, 23, v23
	v_or3_b32 v20, v22, v21, v20
.LBB29_772:
	s_or_b64 exec, exec, s[6:7]
	s_movk_i32 s4, 0x7f
	v_cmp_gt_i16_sdwa s[6:7], v10, s4 src0_sel:BYTE_0 src1_sel:DWORD
	s_mov_b64 s[4:5], 0
                                        ; implicit-def: $sgpr10
	s_and_saveexec_b64 s[8:9], s[6:7]
	s_xor_b64 s[6:7], exec, s[8:9]
	s_cbranch_execnz .LBB29_2821
; %bb.773:
	s_or_saveexec_b64 s[6:7], s[6:7]
	v_mov_b32_e32 v21, s10
	s_xor_b64 exec, exec, s[6:7]
	s_cbranch_execnz .LBB29_2824
.LBB29_774:
	s_or_b64 exec, exec, s[6:7]
	s_and_saveexec_b64 s[6:7], s[4:5]
	s_cbranch_execz .LBB29_776
.LBB29_775:
	v_and_b32_e32 v21, 7, v10
	v_ffbh_u32_e32 v23, v21
	v_min_u32_e32 v23, 32, v23
	v_lshrrev_b16_e32 v22, 3, v10
	v_subrev_u32_e32 v24, 28, v23
	v_and_b32_e32 v22, 15, v22
	v_lshlrev_b32_e32 v24, v24, v10
	v_sub_u32_e32 v23, 29, v23
	v_and_b32_e32 v24, 7, v24
	v_cmp_eq_u16_e32 vcc, 0, v22
	v_cndmask_b32_e32 v21, v21, v24, vcc
	v_cndmask_b32_e32 v22, v22, v23, vcc
	v_lshlrev_b32_e32 v23, 24, v10
	v_mov_b32_e32 v24, 0x3b800000
	v_lshlrev_b32_e32 v21, 20, v21
	v_and_b32_e32 v23, 0x80000000, v23
	v_lshl_add_u32 v22, v22, 23, v24
	v_or3_b32 v21, v23, v22, v21
.LBB29_776:
	s_or_b64 exec, exec, s[6:7]
	flat_load_dwordx4 a[0:3], v[18:19] offset:176
	s_movk_i32 s4, 0x7f
                                        ; implicit-def: $sgpr10
	s_waitcnt vmcnt(0) lgkmcnt(0)
	v_mfma_f32_16x16x4f32 a[0:3], v20, v21, a[0:3]
	v_lshrrev_b32_e32 v21, 8, v14
	v_cmp_gt_i16_sdwa s[6:7], v21, s4 src0_sel:BYTE_0 src1_sel:DWORD
	s_mov_b64 s[4:5], 0
	s_and_saveexec_b64 s[8:9], s[6:7]
	s_xor_b64 s[6:7], exec, s[8:9]
	s_cbranch_execnz .LBB29_2825
; %bb.777:
	s_or_saveexec_b64 s[6:7], s[6:7]
	v_mov_b32_e32 v20, s10
	s_xor_b64 exec, exec, s[6:7]
	s_cbranch_execnz .LBB29_2828
.LBB29_778:
	s_or_b64 exec, exec, s[6:7]
	s_and_saveexec_b64 s[6:7], s[4:5]
	s_cbranch_execz .LBB29_780
.LBB29_779:
	v_bfe_u32 v20, v14, 8, 3
	v_ffbh_u32_e32 v23, v20
	v_min_u32_e32 v23, 32, v23
	v_lshrrev_b16_e32 v22, 3, v21
	v_subrev_u32_e32 v24, 28, v23
	v_and_b32_e32 v22, 15, v22
	v_lshlrev_b32_e32 v21, v24, v21
	v_sub_u32_e32 v23, 29, v23
	v_and_b32_e32 v21, 7, v21
	v_cmp_eq_u16_e32 vcc, 0, v22
	v_cndmask_b32_e32 v20, v20, v21, vcc
	v_cndmask_b32_e32 v21, v22, v23, vcc
	v_lshlrev_b32_e32 v22, 16, v14
	v_mov_b32_e32 v23, 0x3b800000
	v_lshlrev_b32_e32 v20, 20, v20
	v_and_b32_e32 v22, 0x80000000, v22
	v_lshl_add_u32 v21, v21, 23, v23
	v_or3_b32 v20, v22, v21, v20
.LBB29_780:
	s_or_b64 exec, exec, s[6:7]
	v_lshrrev_b32_e32 v21, 8, v10
	s_movk_i32 s4, 0x7f
	v_cmp_gt_i16_sdwa s[6:7], v21, s4 src0_sel:BYTE_0 src1_sel:DWORD
	s_mov_b64 s[4:5], 0
                                        ; implicit-def: $sgpr10
	s_and_saveexec_b64 s[8:9], s[6:7]
	s_xor_b64 s[6:7], exec, s[8:9]
	s_cbranch_execnz .LBB29_2829
; %bb.781:
	s_or_saveexec_b64 s[6:7], s[6:7]
	v_mov_b32_e32 v22, s10
	s_xor_b64 exec, exec, s[6:7]
	s_cbranch_execnz .LBB29_2832
.LBB29_782:
	s_or_b64 exec, exec, s[6:7]
	s_and_saveexec_b64 s[6:7], s[4:5]
	s_cbranch_execz .LBB29_784
.LBB29_783:
	v_bfe_u32 v22, v10, 8, 3
	v_ffbh_u32_e32 v24, v22
	v_min_u32_e32 v24, 32, v24
	v_lshrrev_b16_e32 v23, 3, v21
	v_subrev_u32_e32 v25, 28, v24
	v_and_b32_e32 v23, 15, v23
	v_lshlrev_b32_e32 v21, v25, v21
	v_sub_u32_e32 v24, 29, v24
	v_and_b32_e32 v21, 7, v21
	v_cmp_eq_u16_e32 vcc, 0, v23
	v_cndmask_b32_e32 v21, v22, v21, vcc
	v_cndmask_b32_e32 v22, v23, v24, vcc
	v_lshlrev_b32_e32 v23, 16, v10
	v_mov_b32_e32 v24, 0x3b800000
	v_lshlrev_b32_e32 v21, 20, v21
	v_and_b32_e32 v23, 0x80000000, v23
	v_lshl_add_u32 v22, v22, 23, v24
	v_or3_b32 v22, v23, v22, v21
.LBB29_784:
	s_or_b64 exec, exec, s[6:7]
	s_nop 0
	v_mfma_f32_16x16x4f32 a[0:3], v20, v22, a[0:3]
	s_movk_i32 s4, 0xff
	v_and_b32_sdwa v21, v14, s4 dst_sel:DWORD dst_unused:UNUSED_PAD src0_sel:WORD_1 src1_sel:DWORD
	s_movk_i32 s4, 0x7f
	v_cmp_lt_i16_e32 vcc, s4, v21
	s_mov_b64 s[4:5], 0
                                        ; implicit-def: $sgpr10
	s_and_saveexec_b64 s[6:7], vcc
	s_xor_b64 s[6:7], exec, s[6:7]
	s_cbranch_execnz .LBB29_2833
; %bb.785:
	s_or_saveexec_b64 s[6:7], s[6:7]
	v_mov_b32_e32 v20, s10
	s_xor_b64 exec, exec, s[6:7]
	s_cbranch_execnz .LBB29_2836
.LBB29_786:
	s_or_b64 exec, exec, s[6:7]
	s_and_saveexec_b64 s[6:7], s[4:5]
	s_cbranch_execz .LBB29_788
.LBB29_787:
	v_bfe_u32 v20, v14, 16, 3
	v_ffbh_u32_e32 v23, v20
	v_min_u32_e32 v23, 32, v23
	v_lshrrev_b32_e32 v21, 19, v14
	v_subrev_u32_e32 v24, 28, v23
	v_and_b32_e32 v21, 15, v21
	v_lshlrev_b32_sdwa v24, v24, v14 dst_sel:DWORD dst_unused:UNUSED_PAD src0_sel:DWORD src1_sel:WORD_1
	v_bfe_u32 v22, v14, 19, 4
	v_sub_u32_e32 v23, 29, v23
	v_and_b32_e32 v24, 7, v24
	v_cmp_eq_u16_e32 vcc, 0, v21
	v_cndmask_b32_e32 v20, v20, v24, vcc
	v_cndmask_b32_e32 v21, v22, v23, vcc
	v_lshlrev_b32_e32 v22, 8, v14
	v_mov_b32_e32 v23, 0x3b800000
	v_lshlrev_b32_e32 v20, 20, v20
	v_and_b32_e32 v22, 0x80000000, v22
	v_lshl_add_u32 v21, v21, 23, v23
	v_or3_b32 v20, v22, v21, v20
.LBB29_788:
	s_or_b64 exec, exec, s[6:7]
	s_movk_i32 s4, 0xff
	v_and_b32_sdwa v21, v10, s4 dst_sel:DWORD dst_unused:UNUSED_PAD src0_sel:WORD_1 src1_sel:DWORD
	s_movk_i32 s4, 0x7f
	v_cmp_lt_i16_e32 vcc, s4, v21
	s_mov_b64 s[4:5], 0
                                        ; implicit-def: $sgpr10
	s_and_saveexec_b64 s[6:7], vcc
	s_xor_b64 s[6:7], exec, s[6:7]
	s_cbranch_execnz .LBB29_2837
; %bb.789:
	s_or_saveexec_b64 s[6:7], s[6:7]
	v_mov_b32_e32 v22, s10
	s_xor_b64 exec, exec, s[6:7]
	s_cbranch_execnz .LBB29_2840
.LBB29_790:
	s_or_b64 exec, exec, s[6:7]
	s_and_saveexec_b64 s[6:7], s[4:5]
	s_cbranch_execz .LBB29_792
.LBB29_791:
	v_bfe_u32 v21, v10, 16, 3
	v_ffbh_u32_e32 v24, v21
	v_min_u32_e32 v24, 32, v24
	v_lshrrev_b32_e32 v22, 19, v10
	v_subrev_u32_e32 v25, 28, v24
	v_and_b32_e32 v22, 15, v22
	v_lshlrev_b32_sdwa v25, v25, v10 dst_sel:DWORD dst_unused:UNUSED_PAD src0_sel:DWORD src1_sel:WORD_1
	v_bfe_u32 v23, v10, 19, 4
	v_sub_u32_e32 v24, 29, v24
	v_and_b32_e32 v25, 7, v25
	v_cmp_eq_u16_e32 vcc, 0, v22
	v_cndmask_b32_e32 v21, v21, v25, vcc
	v_cndmask_b32_e32 v22, v23, v24, vcc
	v_lshlrev_b32_e32 v23, 8, v10
	v_mov_b32_e32 v24, 0x3b800000
	v_lshlrev_b32_e32 v21, 20, v21
	v_and_b32_e32 v23, 0x80000000, v23
	v_lshl_add_u32 v22, v22, 23, v24
	v_or3_b32 v22, v23, v22, v21
.LBB29_792:
	s_or_b64 exec, exec, s[6:7]
	s_nop 0
	v_mfma_f32_16x16x4f32 a[0:3], v20, v22, a[0:3]
	s_movk_i32 s4, 0x7f
	v_cmp_gt_i16_sdwa s[6:7], v14, s4 src0_sel:BYTE_3 src1_sel:DWORD
	s_mov_b64 s[4:5], 0
                                        ; implicit-def: $sgpr10
	s_and_saveexec_b64 s[8:9], s[6:7]
	s_xor_b64 s[6:7], exec, s[8:9]
	s_cbranch_execnz .LBB29_2841
; %bb.793:
	s_or_saveexec_b64 s[6:7], s[6:7]
	v_mov_b32_e32 v20, s10
	s_xor_b64 exec, exec, s[6:7]
	s_cbranch_execnz .LBB29_2844
.LBB29_794:
	s_or_b64 exec, exec, s[6:7]
	s_and_saveexec_b64 s[6:7], s[4:5]
	s_cbranch_execz .LBB29_796
.LBB29_795:
	v_bfe_u32 v20, v14, 24, 3
	v_ffbh_u32_e32 v24, v20
	v_min_u32_e32 v24, 32, v24
	v_lshrrev_b32_e32 v22, 27, v14
	v_subrev_u32_e32 v25, 28, v24
	v_and_b32_e32 v21, 0x80000000, v14
	v_and_b32_e32 v22, 15, v22
	v_bfe_u32 v23, v14, 27, 4
	v_lshlrev_b32_sdwa v14, v25, v14 dst_sel:DWORD dst_unused:UNUSED_PAD src0_sel:DWORD src1_sel:BYTE_3
	v_sub_u32_e32 v24, 29, v24
	v_and_b32_e32 v14, 7, v14
	v_cmp_eq_u16_e32 vcc, 0, v22
	v_cndmask_b32_e32 v14, v20, v14, vcc
	v_cndmask_b32_e32 v20, v23, v24, vcc
	v_mov_b32_e32 v22, 0x3b800000
	v_lshlrev_b32_e32 v14, 20, v14
	v_lshl_add_u32 v20, v20, 23, v22
	v_or3_b32 v20, v21, v20, v14
.LBB29_796:
	s_or_b64 exec, exec, s[6:7]
	s_movk_i32 s4, 0x7f
	v_cmp_gt_i16_sdwa s[6:7], v10, s4 src0_sel:BYTE_3 src1_sel:DWORD
	s_mov_b64 s[4:5], 0
                                        ; implicit-def: $sgpr10
	s_and_saveexec_b64 s[8:9], s[6:7]
	s_xor_b64 s[6:7], exec, s[8:9]
	s_cbranch_execnz .LBB29_2845
; %bb.797:
	s_or_saveexec_b64 s[6:7], s[6:7]
	v_mov_b32_e32 v14, s10
	s_xor_b64 exec, exec, s[6:7]
	s_cbranch_execnz .LBB29_2848
.LBB29_798:
	s_or_b64 exec, exec, s[6:7]
	s_and_saveexec_b64 s[6:7], s[4:5]
	s_cbranch_execz .LBB29_800
.LBB29_799:
	v_bfe_u32 v14, v10, 24, 3
	v_ffbh_u32_e32 v24, v14
	v_min_u32_e32 v24, 32, v24
	v_lshrrev_b32_e32 v22, 27, v10
	v_subrev_u32_e32 v25, 28, v24
	v_and_b32_e32 v21, 0x80000000, v10
	v_and_b32_e32 v22, 15, v22
	v_bfe_u32 v23, v10, 27, 4
	v_lshlrev_b32_sdwa v10, v25, v10 dst_sel:DWORD dst_unused:UNUSED_PAD src0_sel:DWORD src1_sel:BYTE_3
	v_sub_u32_e32 v24, 29, v24
	v_and_b32_e32 v10, 7, v10
	v_cmp_eq_u16_e32 vcc, 0, v22
	v_cndmask_b32_e32 v10, v14, v10, vcc
	v_cndmask_b32_e32 v14, v23, v24, vcc
	v_mov_b32_e32 v22, 0x3b800000
	v_lshlrev_b32_e32 v10, 20, v10
	v_lshl_add_u32 v14, v14, 23, v22
	v_or3_b32 v14, v21, v14, v10
.LBB29_800:
	s_or_b64 exec, exec, s[6:7]
	s_nop 0
	v_mfma_f32_16x16x4f32 a[0:3], v20, v14, a[0:3]
	s_movk_i32 s4, 0x7f
	v_cmp_gt_i16_sdwa s[6:7], v15, s4 src0_sel:BYTE_0 src1_sel:DWORD
	s_mov_b64 s[4:5], 0
                                        ; implicit-def: $sgpr10
	s_and_saveexec_b64 s[8:9], s[6:7]
	s_xor_b64 s[6:7], exec, s[8:9]
	s_cbranch_execnz .LBB29_2849
; %bb.801:
	s_or_saveexec_b64 s[6:7], s[6:7]
	v_mov_b32_e32 v10, s10
	s_xor_b64 exec, exec, s[6:7]
	s_cbranch_execnz .LBB29_2852
.LBB29_802:
	s_or_b64 exec, exec, s[6:7]
	s_and_saveexec_b64 s[6:7], s[4:5]
	s_cbranch_execz .LBB29_804
.LBB29_803:
	v_and_b32_e32 v10, 7, v15
	v_ffbh_u32_e32 v20, v10
	v_min_u32_e32 v20, 32, v20
	v_lshrrev_b16_e32 v14, 3, v15
	v_subrev_u32_e32 v21, 28, v20
	v_and_b32_e32 v14, 15, v14
	v_lshlrev_b32_e32 v21, v21, v15
	v_sub_u32_e32 v20, 29, v20
	v_and_b32_e32 v21, 7, v21
	v_cmp_eq_u16_e32 vcc, 0, v14
	v_cndmask_b32_e32 v10, v10, v21, vcc
	v_cndmask_b32_e32 v14, v14, v20, vcc
	v_lshlrev_b32_e32 v20, 24, v15
	v_mov_b32_e32 v21, 0x3b800000
	v_lshlrev_b32_e32 v10, 20, v10
	v_and_b32_e32 v20, 0x80000000, v20
	v_lshl_add_u32 v14, v14, 23, v21
	v_or3_b32 v10, v20, v14, v10
.LBB29_804:
	s_or_b64 exec, exec, s[6:7]
	s_movk_i32 s4, 0x7f
	v_cmp_gt_i16_sdwa s[6:7], v11, s4 src0_sel:BYTE_0 src1_sel:DWORD
	s_mov_b64 s[4:5], 0
                                        ; implicit-def: $sgpr10
	s_and_saveexec_b64 s[8:9], s[6:7]
	s_xor_b64 s[6:7], exec, s[8:9]
	s_cbranch_execnz .LBB29_2853
; %bb.805:
	s_or_saveexec_b64 s[6:7], s[6:7]
	v_mov_b32_e32 v14, s10
	s_xor_b64 exec, exec, s[6:7]
	s_cbranch_execnz .LBB29_2856
.LBB29_806:
	s_or_b64 exec, exec, s[6:7]
	s_and_saveexec_b64 s[6:7], s[4:5]
	s_cbranch_execz .LBB29_808
.LBB29_807:
	v_and_b32_e32 v14, 7, v11
	v_ffbh_u32_e32 v21, v14
	v_min_u32_e32 v21, 32, v21
	v_lshrrev_b16_e32 v20, 3, v11
	v_subrev_u32_e32 v22, 28, v21
	v_and_b32_e32 v20, 15, v20
	v_lshlrev_b32_e32 v22, v22, v11
	v_sub_u32_e32 v21, 29, v21
	v_and_b32_e32 v22, 7, v22
	v_cmp_eq_u16_e32 vcc, 0, v20
	v_cndmask_b32_e32 v14, v14, v22, vcc
	v_cndmask_b32_e32 v20, v20, v21, vcc
	v_lshlrev_b32_e32 v21, 24, v11
	v_mov_b32_e32 v22, 0x3b800000
	v_lshlrev_b32_e32 v14, 20, v14
	v_and_b32_e32 v21, 0x80000000, v21
	v_lshl_add_u32 v20, v20, 23, v22
	v_or3_b32 v14, v21, v20, v14
.LBB29_808:
	s_or_b64 exec, exec, s[6:7]
	s_nop 0
	v_mfma_f32_16x16x4f32 a[0:3], v10, v14, a[0:3]
	v_lshrrev_b32_e32 v14, 8, v15
	s_movk_i32 s4, 0x7f
	v_cmp_gt_i16_sdwa s[6:7], v14, s4 src0_sel:BYTE_0 src1_sel:DWORD
	s_mov_b64 s[4:5], 0
                                        ; implicit-def: $sgpr10
	s_and_saveexec_b64 s[8:9], s[6:7]
	s_xor_b64 s[6:7], exec, s[8:9]
	s_cbranch_execnz .LBB29_2857
; %bb.809:
	s_or_saveexec_b64 s[6:7], s[6:7]
	v_mov_b32_e32 v10, s10
	s_xor_b64 exec, exec, s[6:7]
	s_cbranch_execnz .LBB29_2860
.LBB29_810:
	s_or_b64 exec, exec, s[6:7]
	s_and_saveexec_b64 s[6:7], s[4:5]
	s_cbranch_execz .LBB29_812
.LBB29_811:
	v_bfe_u32 v10, v15, 8, 3
	v_ffbh_u32_e32 v21, v10
	v_min_u32_e32 v21, 32, v21
	v_lshrrev_b16_e32 v20, 3, v14
	v_subrev_u32_e32 v22, 28, v21
	v_and_b32_e32 v20, 15, v20
	v_lshlrev_b32_e32 v14, v22, v14
	v_sub_u32_e32 v21, 29, v21
	v_and_b32_e32 v14, 7, v14
	v_cmp_eq_u16_e32 vcc, 0, v20
	v_cndmask_b32_e32 v10, v10, v14, vcc
	v_cndmask_b32_e32 v14, v20, v21, vcc
	v_lshlrev_b32_e32 v20, 16, v15
	v_mov_b32_e32 v21, 0x3b800000
	v_lshlrev_b32_e32 v10, 20, v10
	v_and_b32_e32 v20, 0x80000000, v20
	v_lshl_add_u32 v14, v14, 23, v21
	v_or3_b32 v10, v20, v14, v10
.LBB29_812:
	s_or_b64 exec, exec, s[6:7]
	v_lshrrev_b32_e32 v14, 8, v11
	s_movk_i32 s4, 0x7f
	v_cmp_gt_i16_sdwa s[6:7], v14, s4 src0_sel:BYTE_0 src1_sel:DWORD
	s_mov_b64 s[4:5], 0
                                        ; implicit-def: $sgpr10
	s_and_saveexec_b64 s[8:9], s[6:7]
	s_xor_b64 s[6:7], exec, s[8:9]
	s_cbranch_execnz .LBB29_2861
; %bb.813:
	s_or_saveexec_b64 s[6:7], s[6:7]
	v_mov_b32_e32 v20, s10
	s_xor_b64 exec, exec, s[6:7]
	s_cbranch_execnz .LBB29_2864
.LBB29_814:
	s_or_b64 exec, exec, s[6:7]
	s_and_saveexec_b64 s[6:7], s[4:5]
	s_cbranch_execz .LBB29_816
.LBB29_815:
	v_bfe_u32 v20, v11, 8, 3
	v_ffbh_u32_e32 v22, v20
	v_min_u32_e32 v22, 32, v22
	v_lshrrev_b16_e32 v21, 3, v14
	v_subrev_u32_e32 v23, 28, v22
	v_and_b32_e32 v21, 15, v21
	v_lshlrev_b32_e32 v14, v23, v14
	v_sub_u32_e32 v22, 29, v22
	v_and_b32_e32 v14, 7, v14
	v_cmp_eq_u16_e32 vcc, 0, v21
	v_cndmask_b32_e32 v14, v20, v14, vcc
	v_cndmask_b32_e32 v20, v21, v22, vcc
	v_lshlrev_b32_e32 v21, 16, v11
	v_mov_b32_e32 v22, 0x3b800000
	v_lshlrev_b32_e32 v14, 20, v14
	v_and_b32_e32 v21, 0x80000000, v21
	v_lshl_add_u32 v20, v20, 23, v22
	v_or3_b32 v20, v21, v20, v14
.LBB29_816:
	s_or_b64 exec, exec, s[6:7]
	s_nop 0
	v_mfma_f32_16x16x4f32 a[0:3], v10, v20, a[0:3]
	s_movk_i32 s4, 0xff
	v_and_b32_sdwa v14, v15, s4 dst_sel:DWORD dst_unused:UNUSED_PAD src0_sel:WORD_1 src1_sel:DWORD
	s_movk_i32 s4, 0x7f
	v_cmp_lt_i16_e32 vcc, s4, v14
	s_mov_b64 s[4:5], 0
                                        ; implicit-def: $sgpr10
	s_and_saveexec_b64 s[6:7], vcc
	s_xor_b64 s[6:7], exec, s[6:7]
	s_cbranch_execnz .LBB29_2865
; %bb.817:
	s_or_saveexec_b64 s[6:7], s[6:7]
	v_mov_b32_e32 v10, s10
	s_xor_b64 exec, exec, s[6:7]
	s_cbranch_execnz .LBB29_2868
.LBB29_818:
	s_or_b64 exec, exec, s[6:7]
	s_and_saveexec_b64 s[6:7], s[4:5]
	s_cbranch_execz .LBB29_820
.LBB29_819:
	v_bfe_u32 v10, v15, 16, 3
	v_ffbh_u32_e32 v21, v10
	v_min_u32_e32 v21, 32, v21
	v_lshrrev_b32_e32 v14, 19, v15
	v_subrev_u32_e32 v22, 28, v21
	v_and_b32_e32 v14, 15, v14
	v_lshlrev_b32_sdwa v22, v22, v15 dst_sel:DWORD dst_unused:UNUSED_PAD src0_sel:DWORD src1_sel:WORD_1
	v_bfe_u32 v20, v15, 19, 4
	v_sub_u32_e32 v21, 29, v21
	v_and_b32_e32 v22, 7, v22
	v_cmp_eq_u16_e32 vcc, 0, v14
	v_cndmask_b32_e32 v10, v10, v22, vcc
	v_cndmask_b32_e32 v14, v20, v21, vcc
	v_lshlrev_b32_e32 v20, 8, v15
	v_mov_b32_e32 v21, 0x3b800000
	v_lshlrev_b32_e32 v10, 20, v10
	v_and_b32_e32 v20, 0x80000000, v20
	v_lshl_add_u32 v14, v14, 23, v21
	v_or3_b32 v10, v20, v14, v10
.LBB29_820:
	s_or_b64 exec, exec, s[6:7]
	s_movk_i32 s4, 0xff
	v_and_b32_sdwa v14, v11, s4 dst_sel:DWORD dst_unused:UNUSED_PAD src0_sel:WORD_1 src1_sel:DWORD
	s_movk_i32 s4, 0x7f
	v_cmp_lt_i16_e32 vcc, s4, v14
	s_mov_b64 s[4:5], 0
                                        ; implicit-def: $sgpr10
	s_and_saveexec_b64 s[6:7], vcc
	s_xor_b64 s[6:7], exec, s[6:7]
	s_cbranch_execnz .LBB29_2869
; %bb.821:
	s_or_saveexec_b64 s[6:7], s[6:7]
	v_mov_b32_e32 v20, s10
	s_xor_b64 exec, exec, s[6:7]
	s_cbranch_execnz .LBB29_2872
.LBB29_822:
	s_or_b64 exec, exec, s[6:7]
	s_and_saveexec_b64 s[6:7], s[4:5]
	s_cbranch_execz .LBB29_824
.LBB29_823:
	v_bfe_u32 v14, v11, 16, 3
	v_ffbh_u32_e32 v22, v14
	v_min_u32_e32 v22, 32, v22
	v_lshrrev_b32_e32 v20, 19, v11
	v_subrev_u32_e32 v23, 28, v22
	v_and_b32_e32 v20, 15, v20
	v_lshlrev_b32_sdwa v23, v23, v11 dst_sel:DWORD dst_unused:UNUSED_PAD src0_sel:DWORD src1_sel:WORD_1
	v_bfe_u32 v21, v11, 19, 4
	v_sub_u32_e32 v22, 29, v22
	v_and_b32_e32 v23, 7, v23
	v_cmp_eq_u16_e32 vcc, 0, v20
	v_cndmask_b32_e32 v14, v14, v23, vcc
	v_cndmask_b32_e32 v20, v21, v22, vcc
	v_lshlrev_b32_e32 v21, 8, v11
	v_mov_b32_e32 v22, 0x3b800000
	v_lshlrev_b32_e32 v14, 20, v14
	v_and_b32_e32 v21, 0x80000000, v21
	v_lshl_add_u32 v20, v20, 23, v22
	v_or3_b32 v20, v21, v20, v14
.LBB29_824:
	s_or_b64 exec, exec, s[6:7]
	s_nop 0
	v_mfma_f32_16x16x4f32 a[0:3], v10, v20, a[0:3]
	s_movk_i32 s4, 0x7f
	v_cmp_gt_i16_sdwa s[6:7], v15, s4 src0_sel:BYTE_3 src1_sel:DWORD
	s_mov_b64 s[4:5], 0
                                        ; implicit-def: $sgpr10
	s_and_saveexec_b64 s[8:9], s[6:7]
	s_xor_b64 s[6:7], exec, s[8:9]
	s_cbranch_execnz .LBB29_2873
; %bb.825:
	s_or_saveexec_b64 s[6:7], s[6:7]
	v_mov_b32_e32 v10, s10
	s_xor_b64 exec, exec, s[6:7]
	s_cbranch_execnz .LBB29_2876
.LBB29_826:
	s_or_b64 exec, exec, s[6:7]
	s_and_saveexec_b64 s[6:7], s[4:5]
	s_cbranch_execz .LBB29_828
.LBB29_827:
	v_bfe_u32 v10, v15, 24, 3
	v_ffbh_u32_e32 v22, v10
	v_min_u32_e32 v22, 32, v22
	v_lshrrev_b32_e32 v20, 27, v15
	v_subrev_u32_e32 v23, 28, v22
	v_and_b32_e32 v14, 0x80000000, v15
	v_and_b32_e32 v20, 15, v20
	v_bfe_u32 v21, v15, 27, 4
	v_lshlrev_b32_sdwa v15, v23, v15 dst_sel:DWORD dst_unused:UNUSED_PAD src0_sel:DWORD src1_sel:BYTE_3
	v_sub_u32_e32 v22, 29, v22
	v_and_b32_e32 v15, 7, v15
	v_cmp_eq_u16_e32 vcc, 0, v20
	v_cndmask_b32_e32 v10, v10, v15, vcc
	v_cndmask_b32_e32 v15, v21, v22, vcc
	v_mov_b32_e32 v20, 0x3b800000
	v_lshlrev_b32_e32 v10, 20, v10
	v_lshl_add_u32 v15, v15, 23, v20
	v_or3_b32 v10, v14, v15, v10
.LBB29_828:
	s_or_b64 exec, exec, s[6:7]
	s_movk_i32 s4, 0x7f
	v_cmp_gt_i16_sdwa s[6:7], v11, s4 src0_sel:BYTE_3 src1_sel:DWORD
	s_mov_b64 s[4:5], 0
                                        ; implicit-def: $sgpr10
	s_and_saveexec_b64 s[8:9], s[6:7]
	s_xor_b64 s[6:7], exec, s[8:9]
	s_cbranch_execnz .LBB29_2877
; %bb.829:
	s_or_saveexec_b64 s[6:7], s[6:7]
	v_mov_b32_e32 v14, s10
	s_xor_b64 exec, exec, s[6:7]
	s_cbranch_execnz .LBB29_2880
.LBB29_830:
	s_or_b64 exec, exec, s[6:7]
	s_and_saveexec_b64 s[6:7], s[4:5]
	s_cbranch_execz .LBB29_832
.LBB29_831:
	v_bfe_u32 v14, v11, 24, 3
	v_ffbh_u32_e32 v22, v14
	v_min_u32_e32 v22, 32, v22
	v_lshrrev_b32_e32 v20, 27, v11
	v_subrev_u32_e32 v23, 28, v22
	v_and_b32_e32 v15, 0x80000000, v11
	v_and_b32_e32 v20, 15, v20
	v_bfe_u32 v21, v11, 27, 4
	v_lshlrev_b32_sdwa v11, v23, v11 dst_sel:DWORD dst_unused:UNUSED_PAD src0_sel:DWORD src1_sel:BYTE_3
	v_sub_u32_e32 v22, 29, v22
	v_and_b32_e32 v11, 7, v11
	v_cmp_eq_u16_e32 vcc, 0, v20
	v_cndmask_b32_e32 v11, v14, v11, vcc
	v_cndmask_b32_e32 v14, v21, v22, vcc
	v_mov_b32_e32 v20, 0x3b800000
	v_lshlrev_b32_e32 v11, 20, v11
	v_lshl_add_u32 v14, v14, 23, v20
	v_or3_b32 v14, v15, v14, v11
.LBB29_832:
	s_or_b64 exec, exec, s[6:7]
	s_nop 0
	v_mfma_f32_16x16x4f32 a[0:3], v10, v14, a[0:3]
	s_movk_i32 s4, 0x7f
	v_cmp_gt_i16_sdwa s[6:7], v16, s4 src0_sel:BYTE_0 src1_sel:DWORD
	s_mov_b64 s[4:5], 0
                                        ; implicit-def: $sgpr10
	s_and_saveexec_b64 s[8:9], s[6:7]
	s_xor_b64 s[6:7], exec, s[8:9]
	s_cbranch_execnz .LBB29_2881
; %bb.833:
	s_or_saveexec_b64 s[6:7], s[6:7]
	v_mov_b32_e32 v10, s10
	s_xor_b64 exec, exec, s[6:7]
	s_cbranch_execnz .LBB29_2884
.LBB29_834:
	s_or_b64 exec, exec, s[6:7]
	s_and_saveexec_b64 s[6:7], s[4:5]
	s_cbranch_execz .LBB29_836
.LBB29_835:
	v_and_b32_e32 v10, 7, v16
	v_ffbh_u32_e32 v14, v10
	v_min_u32_e32 v14, 32, v14
	v_lshrrev_b16_e32 v11, 3, v16
	v_subrev_u32_e32 v15, 28, v14
	v_and_b32_e32 v11, 15, v11
	v_lshlrev_b32_e32 v15, v15, v16
	v_sub_u32_e32 v14, 29, v14
	v_and_b32_e32 v15, 7, v15
	v_cmp_eq_u16_e32 vcc, 0, v11
	v_cndmask_b32_e32 v10, v10, v15, vcc
	v_cndmask_b32_e32 v11, v11, v14, vcc
	v_lshlrev_b32_e32 v14, 24, v16
	v_mov_b32_e32 v15, 0x3b800000
	v_lshlrev_b32_e32 v10, 20, v10
	v_and_b32_e32 v14, 0x80000000, v14
	v_lshl_add_u32 v11, v11, 23, v15
	v_or3_b32 v10, v14, v11, v10
.LBB29_836:
	s_or_b64 exec, exec, s[6:7]
	s_movk_i32 s4, 0x7f
	v_cmp_gt_i16_sdwa s[6:7], v12, s4 src0_sel:BYTE_0 src1_sel:DWORD
	s_mov_b64 s[4:5], 0
                                        ; implicit-def: $sgpr10
	s_and_saveexec_b64 s[8:9], s[6:7]
	s_xor_b64 s[6:7], exec, s[8:9]
	s_cbranch_execnz .LBB29_2885
; %bb.837:
	s_or_saveexec_b64 s[6:7], s[6:7]
	v_mov_b32_e32 v11, s10
	s_xor_b64 exec, exec, s[6:7]
	s_cbranch_execnz .LBB29_2888
.LBB29_838:
	s_or_b64 exec, exec, s[6:7]
	s_and_saveexec_b64 s[6:7], s[4:5]
	s_cbranch_execz .LBB29_840
.LBB29_839:
	v_and_b32_e32 v11, 7, v12
	v_ffbh_u32_e32 v15, v11
	v_min_u32_e32 v15, 32, v15
	v_lshrrev_b16_e32 v14, 3, v12
	v_subrev_u32_e32 v20, 28, v15
	v_and_b32_e32 v14, 15, v14
	v_lshlrev_b32_e32 v20, v20, v12
	v_sub_u32_e32 v15, 29, v15
	v_and_b32_e32 v20, 7, v20
	v_cmp_eq_u16_e32 vcc, 0, v14
	v_cndmask_b32_e32 v11, v11, v20, vcc
	v_cndmask_b32_e32 v14, v14, v15, vcc
	v_lshlrev_b32_e32 v15, 24, v12
	v_mov_b32_e32 v20, 0x3b800000
	v_lshlrev_b32_e32 v11, 20, v11
	v_and_b32_e32 v15, 0x80000000, v15
	v_lshl_add_u32 v14, v14, 23, v20
	v_or3_b32 v11, v15, v14, v11
.LBB29_840:
	s_or_b64 exec, exec, s[6:7]
	s_nop 0
	v_mfma_f32_16x16x4f32 a[0:3], v10, v11, a[0:3]
	v_lshrrev_b32_e32 v11, 8, v16
	s_movk_i32 s4, 0x7f
	v_cmp_gt_i16_sdwa s[6:7], v11, s4 src0_sel:BYTE_0 src1_sel:DWORD
	s_mov_b64 s[4:5], 0
                                        ; implicit-def: $sgpr10
	s_and_saveexec_b64 s[8:9], s[6:7]
	s_xor_b64 s[6:7], exec, s[8:9]
	s_cbranch_execnz .LBB29_2889
; %bb.841:
	s_or_saveexec_b64 s[6:7], s[6:7]
	v_mov_b32_e32 v10, s10
	s_xor_b64 exec, exec, s[6:7]
	s_cbranch_execnz .LBB29_2892
.LBB29_842:
	s_or_b64 exec, exec, s[6:7]
	s_and_saveexec_b64 s[6:7], s[4:5]
	s_cbranch_execz .LBB29_844
.LBB29_843:
	v_bfe_u32 v10, v16, 8, 3
	v_ffbh_u32_e32 v15, v10
	v_min_u32_e32 v15, 32, v15
	v_lshrrev_b16_e32 v14, 3, v11
	v_subrev_u32_e32 v20, 28, v15
	v_and_b32_e32 v14, 15, v14
	v_lshlrev_b32_e32 v11, v20, v11
	v_sub_u32_e32 v15, 29, v15
	v_and_b32_e32 v11, 7, v11
	v_cmp_eq_u16_e32 vcc, 0, v14
	v_cndmask_b32_e32 v10, v10, v11, vcc
	v_cndmask_b32_e32 v11, v14, v15, vcc
	v_lshlrev_b32_e32 v14, 16, v16
	v_mov_b32_e32 v15, 0x3b800000
	v_lshlrev_b32_e32 v10, 20, v10
	v_and_b32_e32 v14, 0x80000000, v14
	v_lshl_add_u32 v11, v11, 23, v15
	v_or3_b32 v10, v14, v11, v10
.LBB29_844:
	s_or_b64 exec, exec, s[6:7]
	v_lshrrev_b32_e32 v11, 8, v12
	s_movk_i32 s4, 0x7f
	v_cmp_gt_i16_sdwa s[6:7], v11, s4 src0_sel:BYTE_0 src1_sel:DWORD
	s_mov_b64 s[4:5], 0
                                        ; implicit-def: $sgpr10
	s_and_saveexec_b64 s[8:9], s[6:7]
	s_xor_b64 s[6:7], exec, s[8:9]
	s_cbranch_execnz .LBB29_2893
; %bb.845:
	s_or_saveexec_b64 s[6:7], s[6:7]
	v_mov_b32_e32 v14, s10
	s_xor_b64 exec, exec, s[6:7]
	s_cbranch_execnz .LBB29_2896
.LBB29_846:
	s_or_b64 exec, exec, s[6:7]
	s_and_saveexec_b64 s[6:7], s[4:5]
	s_cbranch_execz .LBB29_848
.LBB29_847:
	v_bfe_u32 v14, v12, 8, 3
	v_ffbh_u32_e32 v20, v14
	v_min_u32_e32 v20, 32, v20
	v_lshrrev_b16_e32 v15, 3, v11
	v_subrev_u32_e32 v21, 28, v20
	v_and_b32_e32 v15, 15, v15
	v_lshlrev_b32_e32 v11, v21, v11
	v_sub_u32_e32 v20, 29, v20
	v_and_b32_e32 v11, 7, v11
	v_cmp_eq_u16_e32 vcc, 0, v15
	v_cndmask_b32_e32 v11, v14, v11, vcc
	v_cndmask_b32_e32 v14, v15, v20, vcc
	v_lshlrev_b32_e32 v15, 16, v12
	v_mov_b32_e32 v20, 0x3b800000
	v_lshlrev_b32_e32 v11, 20, v11
	v_and_b32_e32 v15, 0x80000000, v15
	v_lshl_add_u32 v14, v14, 23, v20
	v_or3_b32 v14, v15, v14, v11
.LBB29_848:
	s_or_b64 exec, exec, s[6:7]
	s_nop 0
	v_mfma_f32_16x16x4f32 a[0:3], v10, v14, a[0:3]
	s_movk_i32 s4, 0xff
	v_and_b32_sdwa v11, v16, s4 dst_sel:DWORD dst_unused:UNUSED_PAD src0_sel:WORD_1 src1_sel:DWORD
	s_movk_i32 s4, 0x7f
	v_cmp_lt_i16_e32 vcc, s4, v11
	s_mov_b64 s[4:5], 0
                                        ; implicit-def: $sgpr10
	s_and_saveexec_b64 s[6:7], vcc
	s_xor_b64 s[6:7], exec, s[6:7]
	s_cbranch_execnz .LBB29_2897
; %bb.849:
	s_or_saveexec_b64 s[6:7], s[6:7]
	v_mov_b32_e32 v10, s10
	s_xor_b64 exec, exec, s[6:7]
	s_cbranch_execnz .LBB29_2900
.LBB29_850:
	s_or_b64 exec, exec, s[6:7]
	s_and_saveexec_b64 s[6:7], s[4:5]
	s_cbranch_execz .LBB29_852
.LBB29_851:
	v_bfe_u32 v10, v16, 16, 3
	v_ffbh_u32_e32 v15, v10
	v_min_u32_e32 v15, 32, v15
	v_lshrrev_b32_e32 v11, 19, v16
	v_subrev_u32_e32 v20, 28, v15
	v_and_b32_e32 v11, 15, v11
	v_lshlrev_b32_sdwa v20, v20, v16 dst_sel:DWORD dst_unused:UNUSED_PAD src0_sel:DWORD src1_sel:WORD_1
	v_bfe_u32 v14, v16, 19, 4
	v_sub_u32_e32 v15, 29, v15
	v_and_b32_e32 v20, 7, v20
	v_cmp_eq_u16_e32 vcc, 0, v11
	v_cndmask_b32_e32 v10, v10, v20, vcc
	v_cndmask_b32_e32 v11, v14, v15, vcc
	v_lshlrev_b32_e32 v14, 8, v16
	v_mov_b32_e32 v15, 0x3b800000
	v_lshlrev_b32_e32 v10, 20, v10
	v_and_b32_e32 v14, 0x80000000, v14
	v_lshl_add_u32 v11, v11, 23, v15
	v_or3_b32 v10, v14, v11, v10
.LBB29_852:
	s_or_b64 exec, exec, s[6:7]
	s_movk_i32 s4, 0xff
	v_and_b32_sdwa v11, v12, s4 dst_sel:DWORD dst_unused:UNUSED_PAD src0_sel:WORD_1 src1_sel:DWORD
	s_movk_i32 s4, 0x7f
	v_cmp_lt_i16_e32 vcc, s4, v11
	s_mov_b64 s[4:5], 0
                                        ; implicit-def: $sgpr10
	s_and_saveexec_b64 s[6:7], vcc
	s_xor_b64 s[6:7], exec, s[6:7]
	s_cbranch_execnz .LBB29_2901
; %bb.853:
	s_or_saveexec_b64 s[6:7], s[6:7]
	v_mov_b32_e32 v14, s10
	s_xor_b64 exec, exec, s[6:7]
	s_cbranch_execnz .LBB29_2904
.LBB29_854:
	s_or_b64 exec, exec, s[6:7]
	s_and_saveexec_b64 s[6:7], s[4:5]
	s_cbranch_execz .LBB29_856
.LBB29_855:
	v_bfe_u32 v11, v12, 16, 3
	v_ffbh_u32_e32 v20, v11
	v_min_u32_e32 v20, 32, v20
	v_lshrrev_b32_e32 v14, 19, v12
	v_subrev_u32_e32 v21, 28, v20
	v_and_b32_e32 v14, 15, v14
	v_lshlrev_b32_sdwa v21, v21, v12 dst_sel:DWORD dst_unused:UNUSED_PAD src0_sel:DWORD src1_sel:WORD_1
	v_bfe_u32 v15, v12, 19, 4
	v_sub_u32_e32 v20, 29, v20
	v_and_b32_e32 v21, 7, v21
	v_cmp_eq_u16_e32 vcc, 0, v14
	v_cndmask_b32_e32 v11, v11, v21, vcc
	v_cndmask_b32_e32 v14, v15, v20, vcc
	v_lshlrev_b32_e32 v15, 8, v12
	v_mov_b32_e32 v20, 0x3b800000
	v_lshlrev_b32_e32 v11, 20, v11
	v_and_b32_e32 v15, 0x80000000, v15
	v_lshl_add_u32 v14, v14, 23, v20
	v_or3_b32 v14, v15, v14, v11
.LBB29_856:
	s_or_b64 exec, exec, s[6:7]
	s_nop 0
	v_mfma_f32_16x16x4f32 a[0:3], v10, v14, a[0:3]
	s_movk_i32 s4, 0x7f
	v_cmp_gt_i16_sdwa s[6:7], v16, s4 src0_sel:BYTE_3 src1_sel:DWORD
	s_mov_b64 s[4:5], 0
                                        ; implicit-def: $sgpr10
	s_and_saveexec_b64 s[8:9], s[6:7]
	s_xor_b64 s[6:7], exec, s[8:9]
	s_cbranch_execnz .LBB29_2905
; %bb.857:
	s_or_saveexec_b64 s[6:7], s[6:7]
	v_mov_b32_e32 v10, s10
	s_xor_b64 exec, exec, s[6:7]
	s_cbranch_execnz .LBB29_2908
.LBB29_858:
	s_or_b64 exec, exec, s[6:7]
	s_and_saveexec_b64 s[6:7], s[4:5]
	s_cbranch_execz .LBB29_860
.LBB29_859:
	v_bfe_u32 v10, v16, 24, 3
	v_ffbh_u32_e32 v20, v10
	v_min_u32_e32 v20, 32, v20
	v_lshrrev_b32_e32 v14, 27, v16
	v_subrev_u32_e32 v21, 28, v20
	v_and_b32_e32 v11, 0x80000000, v16
	v_and_b32_e32 v14, 15, v14
	v_bfe_u32 v15, v16, 27, 4
	v_lshlrev_b32_sdwa v16, v21, v16 dst_sel:DWORD dst_unused:UNUSED_PAD src0_sel:DWORD src1_sel:BYTE_3
	v_sub_u32_e32 v20, 29, v20
	v_and_b32_e32 v16, 7, v16
	v_cmp_eq_u16_e32 vcc, 0, v14
	v_cndmask_b32_e32 v10, v10, v16, vcc
	v_cndmask_b32_e32 v14, v15, v20, vcc
	v_mov_b32_e32 v15, 0x3b800000
	v_lshlrev_b32_e32 v10, 20, v10
	v_lshl_add_u32 v14, v14, 23, v15
	v_or3_b32 v10, v11, v14, v10
.LBB29_860:
	s_or_b64 exec, exec, s[6:7]
	s_movk_i32 s4, 0x7f
	v_cmp_gt_i16_sdwa s[6:7], v12, s4 src0_sel:BYTE_3 src1_sel:DWORD
	s_mov_b64 s[4:5], 0
                                        ; implicit-def: $sgpr10
	s_and_saveexec_b64 s[8:9], s[6:7]
	s_xor_b64 s[6:7], exec, s[8:9]
	s_cbranch_execnz .LBB29_2909
; %bb.861:
	s_or_saveexec_b64 s[6:7], s[6:7]
	v_mov_b32_e32 v11, s10
	s_xor_b64 exec, exec, s[6:7]
	s_cbranch_execnz .LBB29_2912
.LBB29_862:
	s_or_b64 exec, exec, s[6:7]
	s_and_saveexec_b64 s[6:7], s[4:5]
	s_cbranch_execz .LBB29_864
.LBB29_863:
	v_bfe_u32 v11, v12, 24, 3
	v_ffbh_u32_e32 v20, v11
	v_min_u32_e32 v20, 32, v20
	v_lshrrev_b32_e32 v15, 27, v12
	v_subrev_u32_e32 v21, 28, v20
	v_and_b32_e32 v14, 0x80000000, v12
	v_and_b32_e32 v15, 15, v15
	v_bfe_u32 v16, v12, 27, 4
	v_lshlrev_b32_sdwa v12, v21, v12 dst_sel:DWORD dst_unused:UNUSED_PAD src0_sel:DWORD src1_sel:BYTE_3
	v_sub_u32_e32 v20, 29, v20
	v_and_b32_e32 v12, 7, v12
	v_cmp_eq_u16_e32 vcc, 0, v15
	v_cndmask_b32_e32 v11, v11, v12, vcc
	v_cndmask_b32_e32 v12, v16, v20, vcc
	v_mov_b32_e32 v15, 0x3b800000
	v_lshlrev_b32_e32 v11, 20, v11
	v_lshl_add_u32 v12, v12, 23, v15
	v_or3_b32 v11, v14, v12, v11
.LBB29_864:
	s_or_b64 exec, exec, s[6:7]
	s_nop 0
	v_mfma_f32_16x16x4f32 a[0:3], v10, v11, a[0:3]
	s_movk_i32 s4, 0x7f
	v_cmp_gt_i16_sdwa s[6:7], v17, s4 src0_sel:BYTE_0 src1_sel:DWORD
	s_mov_b64 s[4:5], 0
                                        ; implicit-def: $sgpr10
	s_and_saveexec_b64 s[8:9], s[6:7]
	s_xor_b64 s[6:7], exec, s[8:9]
	s_cbranch_execnz .LBB29_2913
; %bb.865:
	s_or_saveexec_b64 s[6:7], s[6:7]
	v_mov_b32_e32 v10, s10
	s_xor_b64 exec, exec, s[6:7]
	s_cbranch_execnz .LBB29_2916
.LBB29_866:
	s_or_b64 exec, exec, s[6:7]
	s_and_saveexec_b64 s[6:7], s[4:5]
	s_cbranch_execz .LBB29_868
.LBB29_867:
	v_and_b32_e32 v10, 7, v17
	v_ffbh_u32_e32 v12, v10
	v_min_u32_e32 v12, 32, v12
	v_lshrrev_b16_e32 v11, 3, v17
	v_subrev_u32_e32 v14, 28, v12
	v_and_b32_e32 v11, 15, v11
	v_lshlrev_b32_e32 v14, v14, v17
	v_sub_u32_e32 v12, 29, v12
	v_and_b32_e32 v14, 7, v14
	v_cmp_eq_u16_e32 vcc, 0, v11
	v_cndmask_b32_e32 v10, v10, v14, vcc
	v_cndmask_b32_e32 v11, v11, v12, vcc
	v_lshlrev_b32_e32 v12, 24, v17
	v_mov_b32_e32 v14, 0x3b800000
	v_lshlrev_b32_e32 v10, 20, v10
	v_and_b32_e32 v12, 0x80000000, v12
	v_lshl_add_u32 v11, v11, 23, v14
	v_or3_b32 v10, v12, v11, v10
.LBB29_868:
	s_or_b64 exec, exec, s[6:7]
	s_movk_i32 s4, 0x7f
	v_cmp_gt_i16_sdwa s[6:7], v13, s4 src0_sel:BYTE_0 src1_sel:DWORD
	s_mov_b64 s[4:5], 0
                                        ; implicit-def: $sgpr10
	s_and_saveexec_b64 s[8:9], s[6:7]
	s_xor_b64 s[6:7], exec, s[8:9]
	s_cbranch_execnz .LBB29_2917
; %bb.869:
	s_or_saveexec_b64 s[6:7], s[6:7]
	v_mov_b32_e32 v11, s10
	s_xor_b64 exec, exec, s[6:7]
	s_cbranch_execnz .LBB29_2920
.LBB29_870:
	s_or_b64 exec, exec, s[6:7]
	s_and_saveexec_b64 s[6:7], s[4:5]
	s_cbranch_execz .LBB29_872
.LBB29_871:
	v_and_b32_e32 v11, 7, v13
	v_ffbh_u32_e32 v14, v11
	v_min_u32_e32 v14, 32, v14
	v_lshrrev_b16_e32 v12, 3, v13
	v_subrev_u32_e32 v15, 28, v14
	v_and_b32_e32 v12, 15, v12
	v_lshlrev_b32_e32 v15, v15, v13
	v_sub_u32_e32 v14, 29, v14
	v_and_b32_e32 v15, 7, v15
	v_cmp_eq_u16_e32 vcc, 0, v12
	v_cndmask_b32_e32 v11, v11, v15, vcc
	v_cndmask_b32_e32 v12, v12, v14, vcc
	v_lshlrev_b32_e32 v14, 24, v13
	v_mov_b32_e32 v15, 0x3b800000
	v_lshlrev_b32_e32 v11, 20, v11
	v_and_b32_e32 v14, 0x80000000, v14
	v_lshl_add_u32 v12, v12, 23, v15
	v_or3_b32 v11, v14, v12, v11
.LBB29_872:
	s_or_b64 exec, exec, s[6:7]
	s_nop 0
	v_mfma_f32_16x16x4f32 a[0:3], v10, v11, a[0:3]
	v_lshrrev_b32_e32 v11, 8, v17
	s_movk_i32 s4, 0x7f
	v_cmp_gt_i16_sdwa s[6:7], v11, s4 src0_sel:BYTE_0 src1_sel:DWORD
	s_mov_b64 s[4:5], 0
                                        ; implicit-def: $sgpr10
	s_and_saveexec_b64 s[8:9], s[6:7]
	s_xor_b64 s[6:7], exec, s[8:9]
	s_cbranch_execnz .LBB29_2921
; %bb.873:
	s_or_saveexec_b64 s[6:7], s[6:7]
	v_mov_b32_e32 v10, s10
	s_xor_b64 exec, exec, s[6:7]
	s_cbranch_execnz .LBB29_2924
.LBB29_874:
	s_or_b64 exec, exec, s[6:7]
	s_and_saveexec_b64 s[6:7], s[4:5]
	s_cbranch_execz .LBB29_876
.LBB29_875:
	v_bfe_u32 v10, v17, 8, 3
	v_ffbh_u32_e32 v14, v10
	v_min_u32_e32 v14, 32, v14
	v_lshrrev_b16_e32 v12, 3, v11
	v_subrev_u32_e32 v15, 28, v14
	v_and_b32_e32 v12, 15, v12
	v_lshlrev_b32_e32 v11, v15, v11
	v_sub_u32_e32 v14, 29, v14
	v_and_b32_e32 v11, 7, v11
	v_cmp_eq_u16_e32 vcc, 0, v12
	v_cndmask_b32_e32 v10, v10, v11, vcc
	v_cndmask_b32_e32 v11, v12, v14, vcc
	v_lshlrev_b32_e32 v12, 16, v17
	v_mov_b32_e32 v14, 0x3b800000
	v_lshlrev_b32_e32 v10, 20, v10
	v_and_b32_e32 v12, 0x80000000, v12
	v_lshl_add_u32 v11, v11, 23, v14
	v_or3_b32 v10, v12, v11, v10
.LBB29_876:
	s_or_b64 exec, exec, s[6:7]
	v_lshrrev_b32_e32 v11, 8, v13
	s_movk_i32 s4, 0x7f
	v_cmp_gt_i16_sdwa s[6:7], v11, s4 src0_sel:BYTE_0 src1_sel:DWORD
	s_mov_b64 s[4:5], 0
                                        ; implicit-def: $sgpr10
	s_and_saveexec_b64 s[8:9], s[6:7]
	s_xor_b64 s[6:7], exec, s[8:9]
	s_cbranch_execnz .LBB29_2925
; %bb.877:
	s_or_saveexec_b64 s[6:7], s[6:7]
	v_mov_b32_e32 v12, s10
	s_xor_b64 exec, exec, s[6:7]
	s_cbranch_execnz .LBB29_2928
.LBB29_878:
	s_or_b64 exec, exec, s[6:7]
	s_and_saveexec_b64 s[6:7], s[4:5]
	s_cbranch_execz .LBB29_880
.LBB29_879:
	v_bfe_u32 v12, v13, 8, 3
	v_ffbh_u32_e32 v15, v12
	v_min_u32_e32 v15, 32, v15
	v_lshrrev_b16_e32 v14, 3, v11
	v_subrev_u32_e32 v16, 28, v15
	v_and_b32_e32 v14, 15, v14
	v_lshlrev_b32_e32 v11, v16, v11
	v_sub_u32_e32 v15, 29, v15
	v_and_b32_e32 v11, 7, v11
	v_cmp_eq_u16_e32 vcc, 0, v14
	v_cndmask_b32_e32 v11, v12, v11, vcc
	v_cndmask_b32_e32 v12, v14, v15, vcc
	v_lshlrev_b32_e32 v14, 16, v13
	v_mov_b32_e32 v15, 0x3b800000
	v_lshlrev_b32_e32 v11, 20, v11
	v_and_b32_e32 v14, 0x80000000, v14
	v_lshl_add_u32 v12, v12, 23, v15
	v_or3_b32 v12, v14, v12, v11
.LBB29_880:
	s_or_b64 exec, exec, s[6:7]
	s_nop 0
	v_mfma_f32_16x16x4f32 a[0:3], v10, v12, a[0:3]
	s_movk_i32 s4, 0xff
	v_and_b32_sdwa v11, v17, s4 dst_sel:DWORD dst_unused:UNUSED_PAD src0_sel:WORD_1 src1_sel:DWORD
	s_movk_i32 s4, 0x7f
	v_cmp_lt_i16_e32 vcc, s4, v11
	s_mov_b64 s[4:5], 0
                                        ; implicit-def: $sgpr10
	s_and_saveexec_b64 s[6:7], vcc
	s_xor_b64 s[6:7], exec, s[6:7]
	s_cbranch_execnz .LBB29_2929
; %bb.881:
	s_or_saveexec_b64 s[6:7], s[6:7]
	v_mov_b32_e32 v10, s10
	s_xor_b64 exec, exec, s[6:7]
	s_cbranch_execnz .LBB29_2932
.LBB29_882:
	s_or_b64 exec, exec, s[6:7]
	s_and_saveexec_b64 s[6:7], s[4:5]
	s_cbranch_execz .LBB29_884
.LBB29_883:
	v_bfe_u32 v10, v17, 16, 3
	v_ffbh_u32_e32 v14, v10
	v_min_u32_e32 v14, 32, v14
	v_lshrrev_b32_e32 v11, 19, v17
	v_subrev_u32_e32 v15, 28, v14
	v_and_b32_e32 v11, 15, v11
	v_lshlrev_b32_sdwa v15, v15, v17 dst_sel:DWORD dst_unused:UNUSED_PAD src0_sel:DWORD src1_sel:WORD_1
	v_bfe_u32 v12, v17, 19, 4
	v_sub_u32_e32 v14, 29, v14
	v_and_b32_e32 v15, 7, v15
	v_cmp_eq_u16_e32 vcc, 0, v11
	v_cndmask_b32_e32 v10, v10, v15, vcc
	v_cndmask_b32_e32 v11, v12, v14, vcc
	v_lshlrev_b32_e32 v12, 8, v17
	v_mov_b32_e32 v14, 0x3b800000
	v_lshlrev_b32_e32 v10, 20, v10
	v_and_b32_e32 v12, 0x80000000, v12
	v_lshl_add_u32 v11, v11, 23, v14
	v_or3_b32 v10, v12, v11, v10
.LBB29_884:
	s_or_b64 exec, exec, s[6:7]
	s_movk_i32 s4, 0xff
	v_and_b32_sdwa v11, v13, s4 dst_sel:DWORD dst_unused:UNUSED_PAD src0_sel:WORD_1 src1_sel:DWORD
	s_movk_i32 s4, 0x7f
	v_cmp_lt_i16_e32 vcc, s4, v11
	s_mov_b64 s[4:5], 0
                                        ; implicit-def: $sgpr10
	s_and_saveexec_b64 s[6:7], vcc
	s_xor_b64 s[6:7], exec, s[6:7]
	s_cbranch_execnz .LBB29_2933
; %bb.885:
	s_or_saveexec_b64 s[6:7], s[6:7]
	v_mov_b32_e32 v12, s10
	s_xor_b64 exec, exec, s[6:7]
	s_cbranch_execnz .LBB29_2936
.LBB29_886:
	s_or_b64 exec, exec, s[6:7]
	s_and_saveexec_b64 s[6:7], s[4:5]
	s_cbranch_execz .LBB29_888
.LBB29_887:
	v_bfe_u32 v11, v13, 16, 3
	v_ffbh_u32_e32 v15, v11
	v_min_u32_e32 v15, 32, v15
	v_lshrrev_b32_e32 v12, 19, v13
	v_subrev_u32_e32 v16, 28, v15
	v_and_b32_e32 v12, 15, v12
	v_lshlrev_b32_sdwa v16, v16, v13 dst_sel:DWORD dst_unused:UNUSED_PAD src0_sel:DWORD src1_sel:WORD_1
	v_bfe_u32 v14, v13, 19, 4
	v_sub_u32_e32 v15, 29, v15
	v_and_b32_e32 v16, 7, v16
	v_cmp_eq_u16_e32 vcc, 0, v12
	v_cndmask_b32_e32 v11, v11, v16, vcc
	v_cndmask_b32_e32 v12, v14, v15, vcc
	v_lshlrev_b32_e32 v14, 8, v13
	v_mov_b32_e32 v15, 0x3b800000
	v_lshlrev_b32_e32 v11, 20, v11
	v_and_b32_e32 v14, 0x80000000, v14
	v_lshl_add_u32 v12, v12, 23, v15
	v_or3_b32 v12, v14, v12, v11
.LBB29_888:
	s_or_b64 exec, exec, s[6:7]
	s_nop 0
	v_mfma_f32_16x16x4f32 a[0:3], v10, v12, a[0:3]
	s_movk_i32 s4, 0x7f
	v_cmp_gt_i16_sdwa s[6:7], v17, s4 src0_sel:BYTE_3 src1_sel:DWORD
	s_mov_b64 s[4:5], 0
                                        ; implicit-def: $sgpr10
	s_and_saveexec_b64 s[8:9], s[6:7]
	s_xor_b64 s[6:7], exec, s[8:9]
	s_cbranch_execnz .LBB29_2937
; %bb.889:
	s_or_saveexec_b64 s[6:7], s[6:7]
	v_mov_b32_e32 v10, s10
	s_xor_b64 exec, exec, s[6:7]
	s_cbranch_execnz .LBB29_2940
.LBB29_890:
	s_or_b64 exec, exec, s[6:7]
	s_and_saveexec_b64 s[6:7], s[4:5]
	s_cbranch_execz .LBB29_892
.LBB29_891:
	v_bfe_u32 v10, v17, 24, 3
	v_ffbh_u32_e32 v15, v10
	v_min_u32_e32 v15, 32, v15
	v_lshrrev_b32_e32 v12, 27, v17
	v_subrev_u32_e32 v16, 28, v15
	v_and_b32_e32 v12, 15, v12
	v_lshlrev_b32_sdwa v16, v16, v17 dst_sel:DWORD dst_unused:UNUSED_PAD src0_sel:DWORD src1_sel:BYTE_3
	v_bfe_u32 v14, v17, 27, 4
	v_sub_u32_e32 v15, 29, v15
	v_and_b32_e32 v16, 7, v16
	v_cmp_eq_u16_e32 vcc, 0, v12
	v_cndmask_b32_e32 v10, v10, v16, vcc
	v_cndmask_b32_e32 v12, v14, v15, vcc
	v_mov_b32_e32 v14, 0x3b800000
	v_and_b32_e32 v11, 0x80000000, v17
	v_lshlrev_b32_e32 v10, 20, v10
	v_lshl_add_u32 v12, v12, 23, v14
	v_or3_b32 v10, v11, v12, v10
.LBB29_892:
	s_or_b64 exec, exec, s[6:7]
	s_movk_i32 s4, 0x7f
	v_cmp_gt_i16_sdwa s[6:7], v13, s4 src0_sel:BYTE_3 src1_sel:DWORD
	s_mov_b64 s[4:5], 0
                                        ; implicit-def: $sgpr10
	s_and_saveexec_b64 s[8:9], s[6:7]
	s_xor_b64 s[6:7], exec, s[8:9]
	s_cbranch_execnz .LBB29_2941
; %bb.893:
	s_or_saveexec_b64 s[6:7], s[6:7]
	v_mov_b32_e32 v11, s10
	s_xor_b64 exec, exec, s[6:7]
	s_cbranch_execnz .LBB29_2944
.LBB29_894:
	s_or_b64 exec, exec, s[6:7]
	s_and_saveexec_b64 s[6:7], s[4:5]
	s_cbranch_execz .LBB29_896
.LBB29_895:
	v_bfe_u32 v11, v13, 24, 3
	v_ffbh_u32_e32 v16, v11
	v_min_u32_e32 v16, 32, v16
	v_lshrrev_b32_e32 v14, 27, v13
	v_subrev_u32_e32 v17, 28, v16
	v_and_b32_e32 v12, 0x80000000, v13
	v_and_b32_e32 v14, 15, v14
	v_bfe_u32 v15, v13, 27, 4
	v_lshlrev_b32_sdwa v13, v17, v13 dst_sel:DWORD dst_unused:UNUSED_PAD src0_sel:DWORD src1_sel:BYTE_3
	v_sub_u32_e32 v16, 29, v16
	v_and_b32_e32 v13, 7, v13
	v_cmp_eq_u16_e32 vcc, 0, v14
	v_cndmask_b32_e32 v11, v11, v13, vcc
	v_cndmask_b32_e32 v13, v15, v16, vcc
	v_mov_b32_e32 v14, 0x3b800000
	v_lshlrev_b32_e32 v11, 20, v11
	v_lshl_add_u32 v13, v13, 23, v14
	v_or3_b32 v11, v12, v13, v11
.LBB29_896:
	s_or_b64 exec, exec, s[6:7]
	s_nop 0
	v_mfma_f32_16x16x4f32 a[0:3], v10, v11, a[0:3]
	s_movk_i32 s4, 0x7f
	v_cmp_gt_i16_sdwa s[6:7], v6, s4 src0_sel:BYTE_0 src1_sel:DWORD
	s_mov_b64 s[4:5], 0
                                        ; implicit-def: $sgpr10
	s_and_saveexec_b64 s[8:9], s[6:7]
	s_xor_b64 s[6:7], exec, s[8:9]
	s_cbranch_execnz .LBB29_2945
; %bb.897:
	s_or_saveexec_b64 s[6:7], s[6:7]
	v_mov_b32_e32 v10, s10
	s_xor_b64 exec, exec, s[6:7]
	s_cbranch_execnz .LBB29_2948
.LBB29_898:
	s_or_b64 exec, exec, s[6:7]
	s_and_saveexec_b64 s[6:7], s[4:5]
	s_cbranch_execz .LBB29_900
.LBB29_899:
	v_and_b32_e32 v10, 7, v6
	v_ffbh_u32_e32 v12, v10
	v_min_u32_e32 v12, 32, v12
	v_lshrrev_b16_e32 v11, 3, v6
	v_subrev_u32_e32 v13, 28, v12
	v_and_b32_e32 v11, 15, v11
	v_lshlrev_b32_e32 v13, v13, v6
	v_sub_u32_e32 v12, 29, v12
	v_and_b32_e32 v13, 7, v13
	v_cmp_eq_u16_e32 vcc, 0, v11
	v_cndmask_b32_e32 v10, v10, v13, vcc
	v_cndmask_b32_e32 v11, v11, v12, vcc
	v_lshlrev_b32_e32 v12, 24, v6
	v_mov_b32_e32 v13, 0x3b800000
	v_lshlrev_b32_e32 v10, 20, v10
	v_and_b32_e32 v12, 0x80000000, v12
	v_lshl_add_u32 v11, v11, 23, v13
	v_or3_b32 v10, v12, v11, v10
.LBB29_900:
	s_or_b64 exec, exec, s[6:7]
	s_movk_i32 s4, 0x7f
	v_cmp_gt_i16_sdwa s[6:7], v2, s4 src0_sel:BYTE_0 src1_sel:DWORD
	s_mov_b64 s[4:5], 0
                                        ; implicit-def: $sgpr10
	s_and_saveexec_b64 s[8:9], s[6:7]
	s_xor_b64 s[6:7], exec, s[8:9]
	s_cbranch_execnz .LBB29_2949
; %bb.901:
	s_or_saveexec_b64 s[6:7], s[6:7]
	v_mov_b32_e32 v11, s10
	s_xor_b64 exec, exec, s[6:7]
	s_cbranch_execnz .LBB29_2952
.LBB29_902:
	s_or_b64 exec, exec, s[6:7]
	s_and_saveexec_b64 s[6:7], s[4:5]
	s_cbranch_execz .LBB29_904
.LBB29_903:
	v_and_b32_e32 v11, 7, v2
	v_ffbh_u32_e32 v13, v11
	v_min_u32_e32 v13, 32, v13
	v_lshrrev_b16_e32 v12, 3, v2
	v_subrev_u32_e32 v14, 28, v13
	v_and_b32_e32 v12, 15, v12
	v_lshlrev_b32_e32 v14, v14, v2
	v_sub_u32_e32 v13, 29, v13
	v_and_b32_e32 v14, 7, v14
	v_cmp_eq_u16_e32 vcc, 0, v12
	v_cndmask_b32_e32 v11, v11, v14, vcc
	v_cndmask_b32_e32 v12, v12, v13, vcc
	v_lshlrev_b32_e32 v13, 24, v2
	v_mov_b32_e32 v14, 0x3b800000
	v_lshlrev_b32_e32 v11, 20, v11
	v_and_b32_e32 v13, 0x80000000, v13
	v_lshl_add_u32 v12, v12, 23, v14
	v_or3_b32 v11, v13, v12, v11
.LBB29_904:
	s_or_b64 exec, exec, s[6:7]
	s_nop 0
	v_mfma_f32_16x16x4f32 a[0:3], v10, v11, a[0:3]
	v_lshrrev_b32_e32 v11, 8, v6
	s_movk_i32 s4, 0x7f
	v_cmp_gt_i16_sdwa s[6:7], v11, s4 src0_sel:BYTE_0 src1_sel:DWORD
	s_mov_b64 s[4:5], 0
                                        ; implicit-def: $sgpr10
	s_and_saveexec_b64 s[8:9], s[6:7]
	s_xor_b64 s[6:7], exec, s[8:9]
	s_cbranch_execnz .LBB29_2953
; %bb.905:
	s_or_saveexec_b64 s[6:7], s[6:7]
	v_mov_b32_e32 v10, s10
	s_xor_b64 exec, exec, s[6:7]
	s_cbranch_execnz .LBB29_2956
.LBB29_906:
	s_or_b64 exec, exec, s[6:7]
	s_and_saveexec_b64 s[6:7], s[4:5]
	s_cbranch_execz .LBB29_908
.LBB29_907:
	v_bfe_u32 v10, v6, 8, 3
	v_ffbh_u32_e32 v13, v10
	v_min_u32_e32 v13, 32, v13
	v_lshrrev_b16_e32 v12, 3, v11
	v_subrev_u32_e32 v14, 28, v13
	v_and_b32_e32 v12, 15, v12
	v_lshlrev_b32_e32 v11, v14, v11
	v_sub_u32_e32 v13, 29, v13
	v_and_b32_e32 v11, 7, v11
	v_cmp_eq_u16_e32 vcc, 0, v12
	v_cndmask_b32_e32 v10, v10, v11, vcc
	v_cndmask_b32_e32 v11, v12, v13, vcc
	v_lshlrev_b32_e32 v12, 16, v6
	v_mov_b32_e32 v13, 0x3b800000
	v_lshlrev_b32_e32 v10, 20, v10
	v_and_b32_e32 v12, 0x80000000, v12
	v_lshl_add_u32 v11, v11, 23, v13
	v_or3_b32 v10, v12, v11, v10
.LBB29_908:
	s_or_b64 exec, exec, s[6:7]
	v_lshrrev_b32_e32 v11, 8, v2
	s_movk_i32 s4, 0x7f
	v_cmp_gt_i16_sdwa s[6:7], v11, s4 src0_sel:BYTE_0 src1_sel:DWORD
	s_mov_b64 s[4:5], 0
                                        ; implicit-def: $sgpr10
	s_and_saveexec_b64 s[8:9], s[6:7]
	s_xor_b64 s[6:7], exec, s[8:9]
	s_cbranch_execnz .LBB29_2957
; %bb.909:
	s_or_saveexec_b64 s[6:7], s[6:7]
	v_mov_b32_e32 v12, s10
	s_xor_b64 exec, exec, s[6:7]
	s_cbranch_execnz .LBB29_2960
.LBB29_910:
	s_or_b64 exec, exec, s[6:7]
	s_and_saveexec_b64 s[6:7], s[4:5]
	s_cbranch_execz .LBB29_912
.LBB29_911:
	v_bfe_u32 v12, v2, 8, 3
	v_ffbh_u32_e32 v14, v12
	v_min_u32_e32 v14, 32, v14
	v_lshrrev_b16_e32 v13, 3, v11
	v_subrev_u32_e32 v15, 28, v14
	v_and_b32_e32 v13, 15, v13
	v_lshlrev_b32_e32 v11, v15, v11
	v_sub_u32_e32 v14, 29, v14
	v_and_b32_e32 v11, 7, v11
	v_cmp_eq_u16_e32 vcc, 0, v13
	v_cndmask_b32_e32 v11, v12, v11, vcc
	v_cndmask_b32_e32 v12, v13, v14, vcc
	v_lshlrev_b32_e32 v13, 16, v2
	v_mov_b32_e32 v14, 0x3b800000
	v_lshlrev_b32_e32 v11, 20, v11
	v_and_b32_e32 v13, 0x80000000, v13
	v_lshl_add_u32 v12, v12, 23, v14
	v_or3_b32 v12, v13, v12, v11
.LBB29_912:
	s_or_b64 exec, exec, s[6:7]
	s_nop 0
	v_mfma_f32_16x16x4f32 a[0:3], v10, v12, a[0:3]
	s_movk_i32 s4, 0xff
	v_and_b32_sdwa v11, v6, s4 dst_sel:DWORD dst_unused:UNUSED_PAD src0_sel:WORD_1 src1_sel:DWORD
	s_movk_i32 s4, 0x7f
	v_cmp_lt_i16_e32 vcc, s4, v11
	s_mov_b64 s[4:5], 0
                                        ; implicit-def: $sgpr10
	s_and_saveexec_b64 s[6:7], vcc
	s_xor_b64 s[6:7], exec, s[6:7]
	s_cbranch_execnz .LBB29_2961
; %bb.913:
	s_or_saveexec_b64 s[6:7], s[6:7]
	v_mov_b32_e32 v10, s10
	s_xor_b64 exec, exec, s[6:7]
	s_cbranch_execnz .LBB29_2964
.LBB29_914:
	s_or_b64 exec, exec, s[6:7]
	s_and_saveexec_b64 s[6:7], s[4:5]
	s_cbranch_execz .LBB29_916
.LBB29_915:
	v_bfe_u32 v10, v6, 16, 3
	v_ffbh_u32_e32 v13, v10
	v_min_u32_e32 v13, 32, v13
	v_lshrrev_b32_e32 v11, 19, v6
	v_subrev_u32_e32 v14, 28, v13
	v_and_b32_e32 v11, 15, v11
	v_lshlrev_b32_sdwa v14, v14, v6 dst_sel:DWORD dst_unused:UNUSED_PAD src0_sel:DWORD src1_sel:WORD_1
	v_bfe_u32 v12, v6, 19, 4
	v_sub_u32_e32 v13, 29, v13
	v_and_b32_e32 v14, 7, v14
	v_cmp_eq_u16_e32 vcc, 0, v11
	v_cndmask_b32_e32 v10, v10, v14, vcc
	v_cndmask_b32_e32 v11, v12, v13, vcc
	v_lshlrev_b32_e32 v12, 8, v6
	v_mov_b32_e32 v13, 0x3b800000
	v_lshlrev_b32_e32 v10, 20, v10
	v_and_b32_e32 v12, 0x80000000, v12
	v_lshl_add_u32 v11, v11, 23, v13
	v_or3_b32 v10, v12, v11, v10
.LBB29_916:
	s_or_b64 exec, exec, s[6:7]
	s_movk_i32 s4, 0xff
	v_and_b32_sdwa v11, v2, s4 dst_sel:DWORD dst_unused:UNUSED_PAD src0_sel:WORD_1 src1_sel:DWORD
	s_movk_i32 s4, 0x7f
	v_cmp_lt_i16_e32 vcc, s4, v11
	s_mov_b64 s[4:5], 0
                                        ; implicit-def: $sgpr10
	s_and_saveexec_b64 s[6:7], vcc
	s_xor_b64 s[6:7], exec, s[6:7]
	s_cbranch_execnz .LBB29_2965
; %bb.917:
	s_or_saveexec_b64 s[6:7], s[6:7]
	v_mov_b32_e32 v12, s10
	s_xor_b64 exec, exec, s[6:7]
	s_cbranch_execnz .LBB29_2968
.LBB29_918:
	s_or_b64 exec, exec, s[6:7]
	s_and_saveexec_b64 s[6:7], s[4:5]
	s_cbranch_execz .LBB29_920
.LBB29_919:
	v_bfe_u32 v11, v2, 16, 3
	v_ffbh_u32_e32 v14, v11
	v_min_u32_e32 v14, 32, v14
	v_lshrrev_b32_e32 v12, 19, v2
	v_subrev_u32_e32 v15, 28, v14
	v_and_b32_e32 v12, 15, v12
	v_lshlrev_b32_sdwa v15, v15, v2 dst_sel:DWORD dst_unused:UNUSED_PAD src0_sel:DWORD src1_sel:WORD_1
	v_bfe_u32 v13, v2, 19, 4
	v_sub_u32_e32 v14, 29, v14
	v_and_b32_e32 v15, 7, v15
	v_cmp_eq_u16_e32 vcc, 0, v12
	v_cndmask_b32_e32 v11, v11, v15, vcc
	v_cndmask_b32_e32 v12, v13, v14, vcc
	v_lshlrev_b32_e32 v13, 8, v2
	v_mov_b32_e32 v14, 0x3b800000
	v_lshlrev_b32_e32 v11, 20, v11
	v_and_b32_e32 v13, 0x80000000, v13
	v_lshl_add_u32 v12, v12, 23, v14
	v_or3_b32 v12, v13, v12, v11
.LBB29_920:
	s_or_b64 exec, exec, s[6:7]
	s_nop 0
	v_mfma_f32_16x16x4f32 a[0:3], v10, v12, a[0:3]
	s_movk_i32 s4, 0x7f
	v_cmp_gt_i16_sdwa s[6:7], v6, s4 src0_sel:BYTE_3 src1_sel:DWORD
	s_mov_b64 s[4:5], 0
                                        ; implicit-def: $sgpr10
	s_and_saveexec_b64 s[8:9], s[6:7]
	s_xor_b64 s[6:7], exec, s[8:9]
	s_cbranch_execnz .LBB29_2969
; %bb.921:
	s_or_saveexec_b64 s[6:7], s[6:7]
	v_mov_b32_e32 v10, s10
	s_xor_b64 exec, exec, s[6:7]
	s_cbranch_execnz .LBB29_2972
.LBB29_922:
	s_or_b64 exec, exec, s[6:7]
	s_and_saveexec_b64 s[6:7], s[4:5]
	s_cbranch_execz .LBB29_924
.LBB29_923:
	v_bfe_u32 v10, v6, 24, 3
	v_ffbh_u32_e32 v14, v10
	v_min_u32_e32 v14, 32, v14
	v_lshrrev_b32_e32 v12, 27, v6
	v_subrev_u32_e32 v15, 28, v14
	v_and_b32_e32 v11, 0x80000000, v6
	v_and_b32_e32 v12, 15, v12
	v_bfe_u32 v13, v6, 27, 4
	v_lshlrev_b32_sdwa v6, v15, v6 dst_sel:DWORD dst_unused:UNUSED_PAD src0_sel:DWORD src1_sel:BYTE_3
	v_sub_u32_e32 v14, 29, v14
	v_and_b32_e32 v6, 7, v6
	v_cmp_eq_u16_e32 vcc, 0, v12
	v_cndmask_b32_e32 v6, v10, v6, vcc
	v_cndmask_b32_e32 v10, v13, v14, vcc
	v_mov_b32_e32 v12, 0x3b800000
	v_lshlrev_b32_e32 v6, 20, v6
	v_lshl_add_u32 v10, v10, 23, v12
	v_or3_b32 v10, v11, v10, v6
.LBB29_924:
	s_or_b64 exec, exec, s[6:7]
	s_movk_i32 s4, 0x7f
	v_cmp_gt_i16_sdwa s[6:7], v2, s4 src0_sel:BYTE_3 src1_sel:DWORD
	s_mov_b64 s[4:5], 0
                                        ; implicit-def: $sgpr10
	s_and_saveexec_b64 s[8:9], s[6:7]
	s_xor_b64 s[6:7], exec, s[8:9]
	s_cbranch_execnz .LBB29_2973
; %bb.925:
	s_or_saveexec_b64 s[6:7], s[6:7]
	v_mov_b32_e32 v6, s10
	s_xor_b64 exec, exec, s[6:7]
	s_cbranch_execnz .LBB29_2976
.LBB29_926:
	s_or_b64 exec, exec, s[6:7]
	s_and_saveexec_b64 s[6:7], s[4:5]
	s_cbranch_execz .LBB29_928
.LBB29_927:
	v_bfe_u32 v6, v2, 24, 3
	v_ffbh_u32_e32 v14, v6
	v_min_u32_e32 v14, 32, v14
	v_lshrrev_b32_e32 v12, 27, v2
	v_subrev_u32_e32 v15, 28, v14
	v_and_b32_e32 v11, 0x80000000, v2
	v_and_b32_e32 v12, 15, v12
	v_bfe_u32 v13, v2, 27, 4
	v_lshlrev_b32_sdwa v2, v15, v2 dst_sel:DWORD dst_unused:UNUSED_PAD src0_sel:DWORD src1_sel:BYTE_3
	v_sub_u32_e32 v14, 29, v14
	v_and_b32_e32 v2, 7, v2
	v_cmp_eq_u16_e32 vcc, 0, v12
	v_cndmask_b32_e32 v2, v6, v2, vcc
	v_cndmask_b32_e32 v6, v13, v14, vcc
	v_mov_b32_e32 v12, 0x3b800000
	v_lshlrev_b32_e32 v2, 20, v2
	v_lshl_add_u32 v6, v6, 23, v12
	v_or3_b32 v6, v11, v6, v2
.LBB29_928:
	s_or_b64 exec, exec, s[6:7]
	s_nop 0
	v_mfma_f32_16x16x4f32 a[0:3], v10, v6, a[0:3]
	s_movk_i32 s4, 0x7f
	v_cmp_gt_i16_sdwa s[6:7], v7, s4 src0_sel:BYTE_0 src1_sel:DWORD
	s_mov_b64 s[4:5], 0
                                        ; implicit-def: $sgpr10
	s_and_saveexec_b64 s[8:9], s[6:7]
	s_xor_b64 s[6:7], exec, s[8:9]
	s_cbranch_execnz .LBB29_2977
; %bb.929:
	s_or_saveexec_b64 s[6:7], s[6:7]
	v_mov_b32_e32 v2, s10
	s_xor_b64 exec, exec, s[6:7]
	s_cbranch_execnz .LBB29_2980
.LBB29_930:
	s_or_b64 exec, exec, s[6:7]
	s_and_saveexec_b64 s[6:7], s[4:5]
	s_cbranch_execz .LBB29_932
.LBB29_931:
	v_and_b32_e32 v2, 7, v7
	v_ffbh_u32_e32 v10, v2
	v_min_u32_e32 v10, 32, v10
	v_lshrrev_b16_e32 v6, 3, v7
	v_subrev_u32_e32 v11, 28, v10
	v_and_b32_e32 v6, 15, v6
	v_lshlrev_b32_e32 v11, v11, v7
	v_sub_u32_e32 v10, 29, v10
	v_and_b32_e32 v11, 7, v11
	v_cmp_eq_u16_e32 vcc, 0, v6
	v_cndmask_b32_e32 v2, v2, v11, vcc
	v_cndmask_b32_e32 v6, v6, v10, vcc
	v_lshlrev_b32_e32 v10, 24, v7
	v_mov_b32_e32 v11, 0x3b800000
	v_lshlrev_b32_e32 v2, 20, v2
	v_and_b32_e32 v10, 0x80000000, v10
	v_lshl_add_u32 v6, v6, 23, v11
	v_or3_b32 v2, v10, v6, v2
.LBB29_932:
	s_or_b64 exec, exec, s[6:7]
	s_movk_i32 s4, 0x7f
	v_cmp_gt_i16_sdwa s[6:7], v3, s4 src0_sel:BYTE_0 src1_sel:DWORD
	s_mov_b64 s[4:5], 0
                                        ; implicit-def: $sgpr10
	s_and_saveexec_b64 s[8:9], s[6:7]
	s_xor_b64 s[6:7], exec, s[8:9]
	s_cbranch_execnz .LBB29_2981
; %bb.933:
	s_or_saveexec_b64 s[6:7], s[6:7]
	v_mov_b32_e32 v6, s10
	s_xor_b64 exec, exec, s[6:7]
	s_cbranch_execnz .LBB29_2984
.LBB29_934:
	s_or_b64 exec, exec, s[6:7]
	s_and_saveexec_b64 s[6:7], s[4:5]
	s_cbranch_execz .LBB29_936
.LBB29_935:
	v_and_b32_e32 v6, 7, v3
	v_ffbh_u32_e32 v11, v6
	v_min_u32_e32 v11, 32, v11
	v_lshrrev_b16_e32 v10, 3, v3
	v_subrev_u32_e32 v12, 28, v11
	v_and_b32_e32 v10, 15, v10
	v_lshlrev_b32_e32 v12, v12, v3
	v_sub_u32_e32 v11, 29, v11
	v_and_b32_e32 v12, 7, v12
	v_cmp_eq_u16_e32 vcc, 0, v10
	v_cndmask_b32_e32 v6, v6, v12, vcc
	v_cndmask_b32_e32 v10, v10, v11, vcc
	v_lshlrev_b32_e32 v11, 24, v3
	v_mov_b32_e32 v12, 0x3b800000
	v_lshlrev_b32_e32 v6, 20, v6
	v_and_b32_e32 v11, 0x80000000, v11
	v_lshl_add_u32 v10, v10, 23, v12
	v_or3_b32 v6, v11, v10, v6
.LBB29_936:
	s_or_b64 exec, exec, s[6:7]
	s_nop 0
	v_mfma_f32_16x16x4f32 a[0:3], v2, v6, a[0:3]
	v_lshrrev_b32_e32 v6, 8, v7
	s_movk_i32 s4, 0x7f
	v_cmp_gt_i16_sdwa s[6:7], v6, s4 src0_sel:BYTE_0 src1_sel:DWORD
	s_mov_b64 s[4:5], 0
                                        ; implicit-def: $sgpr10
	s_and_saveexec_b64 s[8:9], s[6:7]
	s_xor_b64 s[6:7], exec, s[8:9]
	s_cbranch_execnz .LBB29_2985
; %bb.937:
	s_or_saveexec_b64 s[6:7], s[6:7]
	v_mov_b32_e32 v2, s10
	s_xor_b64 exec, exec, s[6:7]
	s_cbranch_execnz .LBB29_2988
.LBB29_938:
	s_or_b64 exec, exec, s[6:7]
	s_and_saveexec_b64 s[6:7], s[4:5]
	s_cbranch_execz .LBB29_940
.LBB29_939:
	v_bfe_u32 v2, v7, 8, 3
	v_ffbh_u32_e32 v11, v2
	v_min_u32_e32 v11, 32, v11
	v_lshrrev_b16_e32 v10, 3, v6
	v_subrev_u32_e32 v12, 28, v11
	v_and_b32_e32 v10, 15, v10
	v_lshlrev_b32_e32 v6, v12, v6
	v_sub_u32_e32 v11, 29, v11
	v_and_b32_e32 v6, 7, v6
	v_cmp_eq_u16_e32 vcc, 0, v10
	v_cndmask_b32_e32 v2, v2, v6, vcc
	v_cndmask_b32_e32 v6, v10, v11, vcc
	v_lshlrev_b32_e32 v10, 16, v7
	v_mov_b32_e32 v11, 0x3b800000
	v_lshlrev_b32_e32 v2, 20, v2
	v_and_b32_e32 v10, 0x80000000, v10
	v_lshl_add_u32 v6, v6, 23, v11
	v_or3_b32 v2, v10, v6, v2
.LBB29_940:
	s_or_b64 exec, exec, s[6:7]
	v_lshrrev_b32_e32 v6, 8, v3
	s_movk_i32 s4, 0x7f
	v_cmp_gt_i16_sdwa s[6:7], v6, s4 src0_sel:BYTE_0 src1_sel:DWORD
	s_mov_b64 s[4:5], 0
                                        ; implicit-def: $sgpr10
	s_and_saveexec_b64 s[8:9], s[6:7]
	s_xor_b64 s[6:7], exec, s[8:9]
	s_cbranch_execnz .LBB29_2989
; %bb.941:
	s_or_saveexec_b64 s[6:7], s[6:7]
	v_mov_b32_e32 v10, s10
	s_xor_b64 exec, exec, s[6:7]
	s_cbranch_execnz .LBB29_2992
.LBB29_942:
	s_or_b64 exec, exec, s[6:7]
	s_and_saveexec_b64 s[6:7], s[4:5]
	s_cbranch_execz .LBB29_944
.LBB29_943:
	v_bfe_u32 v10, v3, 8, 3
	v_ffbh_u32_e32 v12, v10
	v_min_u32_e32 v12, 32, v12
	v_lshrrev_b16_e32 v11, 3, v6
	v_subrev_u32_e32 v13, 28, v12
	v_and_b32_e32 v11, 15, v11
	v_lshlrev_b32_e32 v6, v13, v6
	v_sub_u32_e32 v12, 29, v12
	v_and_b32_e32 v6, 7, v6
	v_cmp_eq_u16_e32 vcc, 0, v11
	v_cndmask_b32_e32 v6, v10, v6, vcc
	v_cndmask_b32_e32 v10, v11, v12, vcc
	v_lshlrev_b32_e32 v11, 16, v3
	v_mov_b32_e32 v12, 0x3b800000
	v_lshlrev_b32_e32 v6, 20, v6
	v_and_b32_e32 v11, 0x80000000, v11
	v_lshl_add_u32 v10, v10, 23, v12
	v_or3_b32 v10, v11, v10, v6
.LBB29_944:
	s_or_b64 exec, exec, s[6:7]
	s_nop 0
	v_mfma_f32_16x16x4f32 a[0:3], v2, v10, a[0:3]
	s_movk_i32 s4, 0xff
	v_and_b32_sdwa v6, v7, s4 dst_sel:DWORD dst_unused:UNUSED_PAD src0_sel:WORD_1 src1_sel:DWORD
	s_movk_i32 s4, 0x7f
	v_cmp_lt_i16_e32 vcc, s4, v6
	s_mov_b64 s[4:5], 0
                                        ; implicit-def: $sgpr10
	s_and_saveexec_b64 s[6:7], vcc
	s_xor_b64 s[6:7], exec, s[6:7]
	s_cbranch_execnz .LBB29_2993
; %bb.945:
	s_or_saveexec_b64 s[6:7], s[6:7]
	v_mov_b32_e32 v2, s10
	s_xor_b64 exec, exec, s[6:7]
	s_cbranch_execnz .LBB29_2996
.LBB29_946:
	s_or_b64 exec, exec, s[6:7]
	s_and_saveexec_b64 s[6:7], s[4:5]
	s_cbranch_execz .LBB29_948
.LBB29_947:
	v_bfe_u32 v2, v7, 16, 3
	v_ffbh_u32_e32 v11, v2
	v_min_u32_e32 v11, 32, v11
	v_lshrrev_b32_e32 v6, 19, v7
	v_subrev_u32_e32 v12, 28, v11
	v_and_b32_e32 v6, 15, v6
	v_lshlrev_b32_sdwa v12, v12, v7 dst_sel:DWORD dst_unused:UNUSED_PAD src0_sel:DWORD src1_sel:WORD_1
	v_bfe_u32 v10, v7, 19, 4
	v_sub_u32_e32 v11, 29, v11
	v_and_b32_e32 v12, 7, v12
	v_cmp_eq_u16_e32 vcc, 0, v6
	v_cndmask_b32_e32 v2, v2, v12, vcc
	v_cndmask_b32_e32 v6, v10, v11, vcc
	v_lshlrev_b32_e32 v10, 8, v7
	v_mov_b32_e32 v11, 0x3b800000
	v_lshlrev_b32_e32 v2, 20, v2
	v_and_b32_e32 v10, 0x80000000, v10
	v_lshl_add_u32 v6, v6, 23, v11
	v_or3_b32 v2, v10, v6, v2
.LBB29_948:
	s_or_b64 exec, exec, s[6:7]
	s_movk_i32 s4, 0xff
	v_and_b32_sdwa v6, v3, s4 dst_sel:DWORD dst_unused:UNUSED_PAD src0_sel:WORD_1 src1_sel:DWORD
	s_movk_i32 s4, 0x7f
	v_cmp_lt_i16_e32 vcc, s4, v6
	s_mov_b64 s[4:5], 0
                                        ; implicit-def: $sgpr10
	s_and_saveexec_b64 s[6:7], vcc
	s_xor_b64 s[6:7], exec, s[6:7]
	s_cbranch_execnz .LBB29_2997
; %bb.949:
	s_or_saveexec_b64 s[6:7], s[6:7]
	v_mov_b32_e32 v10, s10
	s_xor_b64 exec, exec, s[6:7]
	s_cbranch_execnz .LBB29_3000
.LBB29_950:
	s_or_b64 exec, exec, s[6:7]
	s_and_saveexec_b64 s[6:7], s[4:5]
	s_cbranch_execz .LBB29_952
.LBB29_951:
	v_bfe_u32 v6, v3, 16, 3
	v_ffbh_u32_e32 v12, v6
	v_min_u32_e32 v12, 32, v12
	v_lshrrev_b32_e32 v10, 19, v3
	v_subrev_u32_e32 v13, 28, v12
	v_and_b32_e32 v10, 15, v10
	v_lshlrev_b32_sdwa v13, v13, v3 dst_sel:DWORD dst_unused:UNUSED_PAD src0_sel:DWORD src1_sel:WORD_1
	v_bfe_u32 v11, v3, 19, 4
	v_sub_u32_e32 v12, 29, v12
	v_and_b32_e32 v13, 7, v13
	v_cmp_eq_u16_e32 vcc, 0, v10
	v_cndmask_b32_e32 v6, v6, v13, vcc
	v_cndmask_b32_e32 v10, v11, v12, vcc
	v_lshlrev_b32_e32 v11, 8, v3
	v_mov_b32_e32 v12, 0x3b800000
	v_lshlrev_b32_e32 v6, 20, v6
	v_and_b32_e32 v11, 0x80000000, v11
	v_lshl_add_u32 v10, v10, 23, v12
	v_or3_b32 v10, v11, v10, v6
.LBB29_952:
	s_or_b64 exec, exec, s[6:7]
	s_nop 0
	v_mfma_f32_16x16x4f32 a[0:3], v2, v10, a[0:3]
	s_movk_i32 s4, 0x7f
	v_cmp_gt_i16_sdwa s[6:7], v7, s4 src0_sel:BYTE_3 src1_sel:DWORD
	s_mov_b64 s[4:5], 0
                                        ; implicit-def: $sgpr10
	s_and_saveexec_b64 s[8:9], s[6:7]
	s_xor_b64 s[6:7], exec, s[8:9]
	s_cbranch_execnz .LBB29_3001
; %bb.953:
	s_or_saveexec_b64 s[6:7], s[6:7]
	v_mov_b32_e32 v2, s10
	s_xor_b64 exec, exec, s[6:7]
	s_cbranch_execnz .LBB29_3004
.LBB29_954:
	s_or_b64 exec, exec, s[6:7]
	s_and_saveexec_b64 s[6:7], s[4:5]
	s_cbranch_execz .LBB29_956
.LBB29_955:
	v_bfe_u32 v2, v7, 24, 3
	v_ffbh_u32_e32 v12, v2
	v_min_u32_e32 v12, 32, v12
	v_lshrrev_b32_e32 v10, 27, v7
	v_subrev_u32_e32 v13, 28, v12
	v_and_b32_e32 v6, 0x80000000, v7
	v_and_b32_e32 v10, 15, v10
	v_bfe_u32 v11, v7, 27, 4
	v_lshlrev_b32_sdwa v7, v13, v7 dst_sel:DWORD dst_unused:UNUSED_PAD src0_sel:DWORD src1_sel:BYTE_3
	v_sub_u32_e32 v12, 29, v12
	v_and_b32_e32 v7, 7, v7
	v_cmp_eq_u16_e32 vcc, 0, v10
	v_cndmask_b32_e32 v2, v2, v7, vcc
	v_cndmask_b32_e32 v7, v11, v12, vcc
	v_mov_b32_e32 v10, 0x3b800000
	v_lshlrev_b32_e32 v2, 20, v2
	v_lshl_add_u32 v7, v7, 23, v10
	v_or3_b32 v2, v6, v7, v2
.LBB29_956:
	s_or_b64 exec, exec, s[6:7]
	s_movk_i32 s4, 0x7f
	v_cmp_gt_i16_sdwa s[6:7], v3, s4 src0_sel:BYTE_3 src1_sel:DWORD
	s_mov_b64 s[4:5], 0
                                        ; implicit-def: $sgpr10
	s_and_saveexec_b64 s[8:9], s[6:7]
	s_xor_b64 s[6:7], exec, s[8:9]
	s_cbranch_execnz .LBB29_3005
; %bb.957:
	s_or_saveexec_b64 s[6:7], s[6:7]
	v_mov_b32_e32 v6, s10
	s_xor_b64 exec, exec, s[6:7]
	s_cbranch_execnz .LBB29_3008
.LBB29_958:
	s_or_b64 exec, exec, s[6:7]
	s_and_saveexec_b64 s[6:7], s[4:5]
	s_cbranch_execz .LBB29_960
.LBB29_959:
	v_bfe_u32 v6, v3, 24, 3
	v_ffbh_u32_e32 v12, v6
	v_min_u32_e32 v12, 32, v12
	v_lshrrev_b32_e32 v10, 27, v3
	v_subrev_u32_e32 v13, 28, v12
	v_and_b32_e32 v7, 0x80000000, v3
	v_and_b32_e32 v10, 15, v10
	v_bfe_u32 v11, v3, 27, 4
	v_lshlrev_b32_sdwa v3, v13, v3 dst_sel:DWORD dst_unused:UNUSED_PAD src0_sel:DWORD src1_sel:BYTE_3
	v_sub_u32_e32 v12, 29, v12
	v_and_b32_e32 v3, 7, v3
	v_cmp_eq_u16_e32 vcc, 0, v10
	v_cndmask_b32_e32 v3, v6, v3, vcc
	v_cndmask_b32_e32 v6, v11, v12, vcc
	v_mov_b32_e32 v10, 0x3b800000
	v_lshlrev_b32_e32 v3, 20, v3
	v_lshl_add_u32 v6, v6, 23, v10
	v_or3_b32 v6, v7, v6, v3
.LBB29_960:
	s_or_b64 exec, exec, s[6:7]
	s_nop 0
	v_mfma_f32_16x16x4f32 a[0:3], v2, v6, a[0:3]
	s_movk_i32 s4, 0x7f
	v_cmp_gt_i16_sdwa s[6:7], v8, s4 src0_sel:BYTE_0 src1_sel:DWORD
	s_mov_b64 s[4:5], 0
                                        ; implicit-def: $sgpr10
	s_and_saveexec_b64 s[8:9], s[6:7]
	s_xor_b64 s[6:7], exec, s[8:9]
	s_cbranch_execnz .LBB29_3009
; %bb.961:
	s_or_saveexec_b64 s[6:7], s[6:7]
	v_mov_b32_e32 v2, s10
	s_xor_b64 exec, exec, s[6:7]
	s_cbranch_execnz .LBB29_3012
.LBB29_962:
	s_or_b64 exec, exec, s[6:7]
	s_and_saveexec_b64 s[6:7], s[4:5]
	s_cbranch_execz .LBB29_964
.LBB29_963:
	v_and_b32_e32 v2, 7, v8
	v_ffbh_u32_e32 v6, v2
	v_min_u32_e32 v6, 32, v6
	v_lshrrev_b16_e32 v3, 3, v8
	v_subrev_u32_e32 v7, 28, v6
	v_and_b32_e32 v3, 15, v3
	v_lshlrev_b32_e32 v7, v7, v8
	v_sub_u32_e32 v6, 29, v6
	v_and_b32_e32 v7, 7, v7
	v_cmp_eq_u16_e32 vcc, 0, v3
	v_cndmask_b32_e32 v2, v2, v7, vcc
	v_cndmask_b32_e32 v3, v3, v6, vcc
	v_lshlrev_b32_e32 v6, 24, v8
	v_mov_b32_e32 v7, 0x3b800000
	v_lshlrev_b32_e32 v2, 20, v2
	v_and_b32_e32 v6, 0x80000000, v6
	v_lshl_add_u32 v3, v3, 23, v7
	v_or3_b32 v2, v6, v3, v2
.LBB29_964:
	s_or_b64 exec, exec, s[6:7]
	s_movk_i32 s4, 0x7f
	v_cmp_gt_i16_sdwa s[6:7], v4, s4 src0_sel:BYTE_0 src1_sel:DWORD
	s_mov_b64 s[4:5], 0
                                        ; implicit-def: $sgpr10
	s_and_saveexec_b64 s[8:9], s[6:7]
	s_xor_b64 s[6:7], exec, s[8:9]
	s_cbranch_execnz .LBB29_3013
; %bb.965:
	s_or_saveexec_b64 s[6:7], s[6:7]
	v_mov_b32_e32 v3, s10
	s_xor_b64 exec, exec, s[6:7]
	s_cbranch_execnz .LBB29_3016
.LBB29_966:
	s_or_b64 exec, exec, s[6:7]
	s_and_saveexec_b64 s[6:7], s[4:5]
	s_cbranch_execz .LBB29_968
.LBB29_967:
	v_and_b32_e32 v3, 7, v4
	v_ffbh_u32_e32 v7, v3
	v_min_u32_e32 v7, 32, v7
	v_lshrrev_b16_e32 v6, 3, v4
	v_subrev_u32_e32 v10, 28, v7
	v_and_b32_e32 v6, 15, v6
	v_lshlrev_b32_e32 v10, v10, v4
	v_sub_u32_e32 v7, 29, v7
	v_and_b32_e32 v10, 7, v10
	v_cmp_eq_u16_e32 vcc, 0, v6
	v_cndmask_b32_e32 v3, v3, v10, vcc
	v_cndmask_b32_e32 v6, v6, v7, vcc
	v_lshlrev_b32_e32 v7, 24, v4
	v_mov_b32_e32 v10, 0x3b800000
	v_lshlrev_b32_e32 v3, 20, v3
	v_and_b32_e32 v7, 0x80000000, v7
	v_lshl_add_u32 v6, v6, 23, v10
	v_or3_b32 v3, v7, v6, v3
.LBB29_968:
	s_or_b64 exec, exec, s[6:7]
	s_nop 0
	v_mfma_f32_16x16x4f32 a[0:3], v2, v3, a[0:3]
	v_lshrrev_b32_e32 v3, 8, v8
	s_movk_i32 s4, 0x7f
	v_cmp_gt_i16_sdwa s[6:7], v3, s4 src0_sel:BYTE_0 src1_sel:DWORD
	s_mov_b64 s[4:5], 0
                                        ; implicit-def: $sgpr10
	s_and_saveexec_b64 s[8:9], s[6:7]
	s_xor_b64 s[6:7], exec, s[8:9]
	s_cbranch_execnz .LBB29_3017
; %bb.969:
	s_or_saveexec_b64 s[6:7], s[6:7]
	v_mov_b32_e32 v2, s10
	s_xor_b64 exec, exec, s[6:7]
	s_cbranch_execnz .LBB29_3020
.LBB29_970:
	s_or_b64 exec, exec, s[6:7]
	s_and_saveexec_b64 s[6:7], s[4:5]
	s_cbranch_execz .LBB29_972
.LBB29_971:
	v_bfe_u32 v2, v8, 8, 3
	v_ffbh_u32_e32 v7, v2
	v_min_u32_e32 v7, 32, v7
	v_lshrrev_b16_e32 v6, 3, v3
	v_subrev_u32_e32 v10, 28, v7
	v_and_b32_e32 v6, 15, v6
	v_lshlrev_b32_e32 v3, v10, v3
	v_sub_u32_e32 v7, 29, v7
	v_and_b32_e32 v3, 7, v3
	v_cmp_eq_u16_e32 vcc, 0, v6
	v_cndmask_b32_e32 v2, v2, v3, vcc
	v_cndmask_b32_e32 v3, v6, v7, vcc
	v_lshlrev_b32_e32 v6, 16, v8
	v_mov_b32_e32 v7, 0x3b800000
	v_lshlrev_b32_e32 v2, 20, v2
	v_and_b32_e32 v6, 0x80000000, v6
	v_lshl_add_u32 v3, v3, 23, v7
	v_or3_b32 v2, v6, v3, v2
.LBB29_972:
	s_or_b64 exec, exec, s[6:7]
	v_lshrrev_b32_e32 v3, 8, v4
	s_movk_i32 s4, 0x7f
	v_cmp_gt_i16_sdwa s[6:7], v3, s4 src0_sel:BYTE_0 src1_sel:DWORD
	s_mov_b64 s[4:5], 0
                                        ; implicit-def: $sgpr10
	s_and_saveexec_b64 s[8:9], s[6:7]
	s_xor_b64 s[6:7], exec, s[8:9]
	s_cbranch_execnz .LBB29_3021
; %bb.973:
	s_or_saveexec_b64 s[6:7], s[6:7]
	v_mov_b32_e32 v6, s10
	s_xor_b64 exec, exec, s[6:7]
	s_cbranch_execnz .LBB29_3024
.LBB29_974:
	s_or_b64 exec, exec, s[6:7]
	s_and_saveexec_b64 s[6:7], s[4:5]
	s_cbranch_execz .LBB29_976
.LBB29_975:
	v_bfe_u32 v6, v4, 8, 3
	v_ffbh_u32_e32 v10, v6
	v_min_u32_e32 v10, 32, v10
	v_lshrrev_b16_e32 v7, 3, v3
	v_subrev_u32_e32 v11, 28, v10
	v_and_b32_e32 v7, 15, v7
	v_lshlrev_b32_e32 v3, v11, v3
	v_sub_u32_e32 v10, 29, v10
	v_and_b32_e32 v3, 7, v3
	v_cmp_eq_u16_e32 vcc, 0, v7
	v_cndmask_b32_e32 v3, v6, v3, vcc
	v_cndmask_b32_e32 v6, v7, v10, vcc
	v_lshlrev_b32_e32 v7, 16, v4
	v_mov_b32_e32 v10, 0x3b800000
	v_lshlrev_b32_e32 v3, 20, v3
	v_and_b32_e32 v7, 0x80000000, v7
	v_lshl_add_u32 v6, v6, 23, v10
	v_or3_b32 v6, v7, v6, v3
.LBB29_976:
	s_or_b64 exec, exec, s[6:7]
	s_nop 0
	v_mfma_f32_16x16x4f32 a[0:3], v2, v6, a[0:3]
	s_movk_i32 s4, 0xff
	v_and_b32_sdwa v3, v8, s4 dst_sel:DWORD dst_unused:UNUSED_PAD src0_sel:WORD_1 src1_sel:DWORD
	s_movk_i32 s4, 0x7f
	v_cmp_lt_i16_e32 vcc, s4, v3
	s_mov_b64 s[4:5], 0
                                        ; implicit-def: $sgpr10
	s_and_saveexec_b64 s[6:7], vcc
	s_xor_b64 s[6:7], exec, s[6:7]
	s_cbranch_execnz .LBB29_3025
; %bb.977:
	s_or_saveexec_b64 s[6:7], s[6:7]
	v_mov_b32_e32 v2, s10
	s_xor_b64 exec, exec, s[6:7]
	s_cbranch_execnz .LBB29_3028
.LBB29_978:
	s_or_b64 exec, exec, s[6:7]
	s_and_saveexec_b64 s[6:7], s[4:5]
	s_cbranch_execz .LBB29_980
.LBB29_979:
	v_bfe_u32 v2, v8, 16, 3
	v_ffbh_u32_e32 v7, v2
	v_min_u32_e32 v7, 32, v7
	v_lshrrev_b32_e32 v3, 19, v8
	v_subrev_u32_e32 v10, 28, v7
	v_and_b32_e32 v3, 15, v3
	v_lshlrev_b32_sdwa v10, v10, v8 dst_sel:DWORD dst_unused:UNUSED_PAD src0_sel:DWORD src1_sel:WORD_1
	v_bfe_u32 v6, v8, 19, 4
	v_sub_u32_e32 v7, 29, v7
	v_and_b32_e32 v10, 7, v10
	v_cmp_eq_u16_e32 vcc, 0, v3
	v_cndmask_b32_e32 v2, v2, v10, vcc
	v_cndmask_b32_e32 v3, v6, v7, vcc
	v_lshlrev_b32_e32 v6, 8, v8
	v_mov_b32_e32 v7, 0x3b800000
	v_lshlrev_b32_e32 v2, 20, v2
	v_and_b32_e32 v6, 0x80000000, v6
	v_lshl_add_u32 v3, v3, 23, v7
	v_or3_b32 v2, v6, v3, v2
.LBB29_980:
	s_or_b64 exec, exec, s[6:7]
	s_movk_i32 s4, 0xff
	v_and_b32_sdwa v3, v4, s4 dst_sel:DWORD dst_unused:UNUSED_PAD src0_sel:WORD_1 src1_sel:DWORD
	s_movk_i32 s4, 0x7f
	v_cmp_lt_i16_e32 vcc, s4, v3
	s_mov_b64 s[4:5], 0
                                        ; implicit-def: $sgpr10
	s_and_saveexec_b64 s[6:7], vcc
	s_xor_b64 s[6:7], exec, s[6:7]
	s_cbranch_execnz .LBB29_3029
; %bb.981:
	s_or_saveexec_b64 s[6:7], s[6:7]
	v_mov_b32_e32 v6, s10
	s_xor_b64 exec, exec, s[6:7]
	s_cbranch_execnz .LBB29_3032
.LBB29_982:
	s_or_b64 exec, exec, s[6:7]
	s_and_saveexec_b64 s[6:7], s[4:5]
	s_cbranch_execz .LBB29_984
.LBB29_983:
	v_bfe_u32 v3, v4, 16, 3
	v_ffbh_u32_e32 v10, v3
	v_min_u32_e32 v10, 32, v10
	v_lshrrev_b32_e32 v6, 19, v4
	v_subrev_u32_e32 v11, 28, v10
	v_and_b32_e32 v6, 15, v6
	v_lshlrev_b32_sdwa v11, v11, v4 dst_sel:DWORD dst_unused:UNUSED_PAD src0_sel:DWORD src1_sel:WORD_1
	v_bfe_u32 v7, v4, 19, 4
	v_sub_u32_e32 v10, 29, v10
	v_and_b32_e32 v11, 7, v11
	v_cmp_eq_u16_e32 vcc, 0, v6
	v_cndmask_b32_e32 v3, v3, v11, vcc
	v_cndmask_b32_e32 v6, v7, v10, vcc
	v_lshlrev_b32_e32 v7, 8, v4
	v_mov_b32_e32 v10, 0x3b800000
	v_lshlrev_b32_e32 v3, 20, v3
	v_and_b32_e32 v7, 0x80000000, v7
	v_lshl_add_u32 v6, v6, 23, v10
	v_or3_b32 v6, v7, v6, v3
.LBB29_984:
	s_or_b64 exec, exec, s[6:7]
	s_nop 0
	v_mfma_f32_16x16x4f32 a[0:3], v2, v6, a[0:3]
	s_movk_i32 s4, 0x7f
	v_cmp_gt_i16_sdwa s[6:7], v8, s4 src0_sel:BYTE_3 src1_sel:DWORD
	s_mov_b64 s[4:5], 0
                                        ; implicit-def: $sgpr10
	s_and_saveexec_b64 s[8:9], s[6:7]
	s_xor_b64 s[6:7], exec, s[8:9]
	s_cbranch_execnz .LBB29_3033
; %bb.985:
	s_or_saveexec_b64 s[6:7], s[6:7]
	v_mov_b32_e32 v2, s10
	s_xor_b64 exec, exec, s[6:7]
	s_cbranch_execnz .LBB29_3036
.LBB29_986:
	s_or_b64 exec, exec, s[6:7]
	s_and_saveexec_b64 s[6:7], s[4:5]
	s_cbranch_execz .LBB29_988
.LBB29_987:
	v_bfe_u32 v2, v8, 24, 3
	v_ffbh_u32_e32 v10, v2
	v_min_u32_e32 v10, 32, v10
	v_lshrrev_b32_e32 v6, 27, v8
	v_subrev_u32_e32 v11, 28, v10
	v_and_b32_e32 v3, 0x80000000, v8
	v_and_b32_e32 v6, 15, v6
	v_bfe_u32 v7, v8, 27, 4
	v_lshlrev_b32_sdwa v8, v11, v8 dst_sel:DWORD dst_unused:UNUSED_PAD src0_sel:DWORD src1_sel:BYTE_3
	v_sub_u32_e32 v10, 29, v10
	v_and_b32_e32 v8, 7, v8
	v_cmp_eq_u16_e32 vcc, 0, v6
	v_cndmask_b32_e32 v2, v2, v8, vcc
	v_cndmask_b32_e32 v6, v7, v10, vcc
	v_mov_b32_e32 v7, 0x3b800000
	v_lshlrev_b32_e32 v2, 20, v2
	v_lshl_add_u32 v6, v6, 23, v7
	v_or3_b32 v2, v3, v6, v2
.LBB29_988:
	s_or_b64 exec, exec, s[6:7]
	s_movk_i32 s4, 0x7f
	v_cmp_gt_i16_sdwa s[6:7], v4, s4 src0_sel:BYTE_3 src1_sel:DWORD
	s_mov_b64 s[4:5], 0
                                        ; implicit-def: $sgpr10
	s_and_saveexec_b64 s[8:9], s[6:7]
	s_xor_b64 s[6:7], exec, s[8:9]
	s_cbranch_execnz .LBB29_3037
; %bb.989:
	s_or_saveexec_b64 s[6:7], s[6:7]
	v_mov_b32_e32 v3, s10
	s_xor_b64 exec, exec, s[6:7]
	s_cbranch_execnz .LBB29_3040
.LBB29_990:
	s_or_b64 exec, exec, s[6:7]
	s_and_saveexec_b64 s[6:7], s[4:5]
	s_cbranch_execz .LBB29_992
.LBB29_991:
	v_bfe_u32 v3, v4, 24, 3
	v_ffbh_u32_e32 v10, v3
	v_min_u32_e32 v10, 32, v10
	v_lshrrev_b32_e32 v7, 27, v4
	v_subrev_u32_e32 v11, 28, v10
	v_and_b32_e32 v6, 0x80000000, v4
	v_and_b32_e32 v7, 15, v7
	v_bfe_u32 v8, v4, 27, 4
	v_lshlrev_b32_sdwa v4, v11, v4 dst_sel:DWORD dst_unused:UNUSED_PAD src0_sel:DWORD src1_sel:BYTE_3
	v_sub_u32_e32 v10, 29, v10
	v_and_b32_e32 v4, 7, v4
	v_cmp_eq_u16_e32 vcc, 0, v7
	v_cndmask_b32_e32 v3, v3, v4, vcc
	v_cndmask_b32_e32 v4, v8, v10, vcc
	v_mov_b32_e32 v7, 0x3b800000
	v_lshlrev_b32_e32 v3, 20, v3
	v_lshl_add_u32 v4, v4, 23, v7
	v_or3_b32 v3, v6, v4, v3
.LBB29_992:
	s_or_b64 exec, exec, s[6:7]
	s_nop 0
	v_mfma_f32_16x16x4f32 a[0:3], v2, v3, a[0:3]
	s_movk_i32 s4, 0x7f
	v_cmp_gt_i16_sdwa s[6:7], v9, s4 src0_sel:BYTE_0 src1_sel:DWORD
	s_mov_b64 s[4:5], 0
                                        ; implicit-def: $sgpr10
	s_and_saveexec_b64 s[8:9], s[6:7]
	s_xor_b64 s[6:7], exec, s[8:9]
	s_cbranch_execnz .LBB29_3041
; %bb.993:
	s_or_saveexec_b64 s[6:7], s[6:7]
	v_mov_b32_e32 v2, s10
	s_xor_b64 exec, exec, s[6:7]
	s_cbranch_execnz .LBB29_3044
.LBB29_994:
	s_or_b64 exec, exec, s[6:7]
	s_and_saveexec_b64 s[6:7], s[4:5]
	s_cbranch_execz .LBB29_996
.LBB29_995:
	v_mov_b32_e32 v2, 8
	v_and_b32_e32 v3, 7, v9
	v_lshrrev_b32_sdwa v2, v2, v9 dst_sel:BYTE_1 dst_unused:UNUSED_PAD src0_sel:DWORD src1_sel:DWORD
	v_ffbh_u32_e32 v4, v3
	v_or_b32_sdwa v2, v9, v2 dst_sel:DWORD dst_unused:UNUSED_PAD src0_sel:BYTE_0 src1_sel:DWORD
	v_min_u32_e32 v4, 32, v4
	v_lshrrev_b16_e32 v2, 3, v2
	v_subrev_u32_e32 v6, 28, v4
	v_and_b32_e32 v2, 15, v2
	v_lshlrev_b32_e32 v6, v6, v9
	v_sub_u32_e32 v4, 29, v4
	v_and_b32_e32 v6, 7, v6
	v_cmp_eq_u16_e32 vcc, 0, v2
	v_cndmask_b32_e32 v3, v3, v6, vcc
	v_cndmask_b32_e32 v2, v2, v4, vcc
	v_lshlrev_b32_e32 v4, 24, v9
	v_mov_b32_e32 v6, 0x3b800000
	v_lshlrev_b32_e32 v3, 20, v3
	v_and_b32_e32 v4, 0x80000000, v4
	v_lshl_add_u32 v2, v2, 23, v6
	v_or3_b32 v2, v4, v2, v3
.LBB29_996:
	s_or_b64 exec, exec, s[6:7]
	s_movk_i32 s4, 0x7f
	v_cmp_gt_i16_sdwa s[6:7], v5, s4 src0_sel:BYTE_0 src1_sel:DWORD
	s_mov_b64 s[4:5], 0
                                        ; implicit-def: $sgpr10
	s_and_saveexec_b64 s[8:9], s[6:7]
	s_xor_b64 s[6:7], exec, s[8:9]
	s_cbranch_execnz .LBB29_3045
; %bb.997:
	s_or_saveexec_b64 s[6:7], s[6:7]
	v_mov_b32_e32 v3, s10
	s_xor_b64 exec, exec, s[6:7]
	s_cbranch_execnz .LBB29_3048
.LBB29_998:
	s_or_b64 exec, exec, s[6:7]
	s_and_saveexec_b64 s[6:7], s[4:5]
	s_cbranch_execz .LBB29_1000
.LBB29_999:
	v_mov_b32_e32 v3, 8
	v_and_b32_e32 v4, 7, v5
	v_lshrrev_b32_sdwa v3, v3, v5 dst_sel:BYTE_1 dst_unused:UNUSED_PAD src0_sel:DWORD src1_sel:DWORD
	v_ffbh_u32_e32 v6, v4
	v_or_b32_sdwa v3, v5, v3 dst_sel:DWORD dst_unused:UNUSED_PAD src0_sel:BYTE_0 src1_sel:DWORD
	v_min_u32_e32 v6, 32, v6
	v_lshrrev_b16_e32 v3, 3, v3
	v_subrev_u32_e32 v7, 28, v6
	v_and_b32_e32 v3, 15, v3
	v_lshlrev_b32_e32 v7, v7, v5
	v_sub_u32_e32 v6, 29, v6
	v_and_b32_e32 v7, 7, v7
	v_cmp_eq_u16_e32 vcc, 0, v3
	v_cndmask_b32_e32 v4, v4, v7, vcc
	v_cndmask_b32_e32 v3, v3, v6, vcc
	v_lshlrev_b32_e32 v6, 24, v5
	v_mov_b32_e32 v7, 0x3b800000
	v_lshlrev_b32_e32 v4, 20, v4
	v_and_b32_e32 v6, 0x80000000, v6
	v_lshl_add_u32 v3, v3, 23, v7
	v_or3_b32 v3, v6, v3, v4
.LBB29_1000:
	s_or_b64 exec, exec, s[6:7]
	s_nop 0
	v_mfma_f32_16x16x4f32 a[0:3], v2, v3, a[0:3]
	v_lshrrev_b32_e32 v3, 8, v9
	s_movk_i32 s4, 0x7f
	v_cmp_gt_i16_sdwa s[6:7], v3, s4 src0_sel:BYTE_0 src1_sel:DWORD
	s_mov_b64 s[4:5], 0
                                        ; implicit-def: $sgpr10
	s_and_saveexec_b64 s[8:9], s[6:7]
	s_xor_b64 s[6:7], exec, s[8:9]
	s_cbranch_execnz .LBB29_3049
; %bb.1001:
	s_or_saveexec_b64 s[6:7], s[6:7]
	v_mov_b32_e32 v2, s10
	s_xor_b64 exec, exec, s[6:7]
	s_cbranch_execnz .LBB29_3052
.LBB29_1002:
	s_or_b64 exec, exec, s[6:7]
	s_and_saveexec_b64 s[6:7], s[4:5]
	s_cbranch_execz .LBB29_1004
.LBB29_1003:
	v_bfe_u32 v2, v9, 8, 3
	v_ffbh_u32_e32 v6, v2
	v_min_u32_e32 v6, 32, v6
	v_lshrrev_b16_e32 v4, 3, v3
	v_subrev_u32_e32 v7, 28, v6
	v_and_b32_e32 v4, 15, v4
	v_lshlrev_b32_e32 v3, v7, v3
	v_sub_u32_e32 v6, 29, v6
	v_and_b32_e32 v3, 7, v3
	v_cmp_eq_u16_e32 vcc, 0, v4
	v_cndmask_b32_e32 v2, v2, v3, vcc
	v_cndmask_b32_e32 v3, v4, v6, vcc
	v_lshlrev_b32_e32 v4, 16, v9
	v_mov_b32_e32 v6, 0x3b800000
	v_lshlrev_b32_e32 v2, 20, v2
	v_and_b32_e32 v4, 0x80000000, v4
	v_lshl_add_u32 v3, v3, 23, v6
	v_or3_b32 v2, v4, v3, v2
.LBB29_1004:
	s_or_b64 exec, exec, s[6:7]
	v_lshrrev_b32_e32 v3, 8, v5
	s_movk_i32 s4, 0x7f
	v_cmp_gt_i16_sdwa s[6:7], v3, s4 src0_sel:BYTE_0 src1_sel:DWORD
	s_mov_b64 s[4:5], 0
                                        ; implicit-def: $sgpr10
	s_and_saveexec_b64 s[8:9], s[6:7]
	s_xor_b64 s[6:7], exec, s[8:9]
	s_cbranch_execnz .LBB29_3053
; %bb.1005:
	s_or_saveexec_b64 s[6:7], s[6:7]
	v_mov_b32_e32 v4, s10
	s_xor_b64 exec, exec, s[6:7]
	s_cbranch_execnz .LBB29_3056
.LBB29_1006:
	s_or_b64 exec, exec, s[6:7]
	s_and_saveexec_b64 s[6:7], s[4:5]
	s_cbranch_execz .LBB29_1008
.LBB29_1007:
	v_bfe_u32 v4, v5, 8, 3
	v_ffbh_u32_e32 v7, v4
	v_min_u32_e32 v7, 32, v7
	v_lshrrev_b16_e32 v6, 3, v3
	v_subrev_u32_e32 v8, 28, v7
	v_and_b32_e32 v6, 15, v6
	v_lshlrev_b32_e32 v3, v8, v3
	v_sub_u32_e32 v7, 29, v7
	v_and_b32_e32 v3, 7, v3
	v_cmp_eq_u16_e32 vcc, 0, v6
	v_cndmask_b32_e32 v3, v4, v3, vcc
	v_cndmask_b32_e32 v4, v6, v7, vcc
	v_lshlrev_b32_e32 v6, 16, v5
	v_mov_b32_e32 v7, 0x3b800000
	v_lshlrev_b32_e32 v3, 20, v3
	v_and_b32_e32 v6, 0x80000000, v6
	v_lshl_add_u32 v4, v4, 23, v7
	v_or3_b32 v4, v6, v4, v3
.LBB29_1008:
	s_or_b64 exec, exec, s[6:7]
	s_nop 0
	v_mfma_f32_16x16x4f32 a[0:3], v2, v4, a[0:3]
	s_movk_i32 s4, 0xff
	v_and_b32_sdwa v3, v9, s4 dst_sel:DWORD dst_unused:UNUSED_PAD src0_sel:WORD_1 src1_sel:DWORD
	s_movk_i32 s4, 0x7f
	v_cmp_lt_i16_e32 vcc, s4, v3
	s_mov_b64 s[4:5], 0
                                        ; implicit-def: $sgpr10
	s_and_saveexec_b64 s[6:7], vcc
	s_xor_b64 s[6:7], exec, s[6:7]
	s_cbranch_execnz .LBB29_3057
; %bb.1009:
	s_or_saveexec_b64 s[6:7], s[6:7]
	v_mov_b32_e32 v2, s10
	s_xor_b64 exec, exec, s[6:7]
	s_cbranch_execnz .LBB29_3060
.LBB29_1010:
	s_or_b64 exec, exec, s[6:7]
	s_and_saveexec_b64 s[6:7], s[4:5]
	s_cbranch_execz .LBB29_1012
.LBB29_1011:
	v_bfe_u32 v2, v9, 16, 3
	v_ffbh_u32_e32 v6, v2
	v_min_u32_e32 v6, 32, v6
	v_lshrrev_b32_e32 v3, 19, v9
	v_subrev_u32_e32 v7, 28, v6
	v_and_b32_e32 v3, 15, v3
	v_lshlrev_b32_sdwa v7, v7, v9 dst_sel:DWORD dst_unused:UNUSED_PAD src0_sel:DWORD src1_sel:WORD_1
	v_bfe_u32 v4, v9, 19, 4
	v_sub_u32_e32 v6, 29, v6
	v_and_b32_e32 v7, 7, v7
	v_cmp_eq_u16_e32 vcc, 0, v3
	v_cndmask_b32_e32 v2, v2, v7, vcc
	v_cndmask_b32_e32 v3, v4, v6, vcc
	v_lshlrev_b32_e32 v4, 8, v9
	v_mov_b32_e32 v6, 0x3b800000
	v_lshlrev_b32_e32 v2, 20, v2
	v_and_b32_e32 v4, 0x80000000, v4
	v_lshl_add_u32 v3, v3, 23, v6
	v_or3_b32 v2, v4, v3, v2
.LBB29_1012:
	s_or_b64 exec, exec, s[6:7]
	s_movk_i32 s4, 0xff
	v_and_b32_sdwa v3, v5, s4 dst_sel:DWORD dst_unused:UNUSED_PAD src0_sel:WORD_1 src1_sel:DWORD
	s_movk_i32 s4, 0x7f
	v_cmp_lt_i16_e32 vcc, s4, v3
	s_mov_b64 s[4:5], 0
                                        ; implicit-def: $sgpr10
	s_and_saveexec_b64 s[6:7], vcc
	s_xor_b64 s[6:7], exec, s[6:7]
	s_cbranch_execnz .LBB29_3061
; %bb.1013:
	s_or_saveexec_b64 s[6:7], s[6:7]
	v_mov_b32_e32 v4, s10
	s_xor_b64 exec, exec, s[6:7]
	s_cbranch_execnz .LBB29_3064
.LBB29_1014:
	s_or_b64 exec, exec, s[6:7]
	s_and_saveexec_b64 s[6:7], s[4:5]
	s_cbranch_execz .LBB29_1016
.LBB29_1015:
	v_bfe_u32 v3, v5, 16, 3
	v_ffbh_u32_e32 v7, v3
	v_min_u32_e32 v7, 32, v7
	v_lshrrev_b32_e32 v4, 19, v5
	v_subrev_u32_e32 v8, 28, v7
	v_and_b32_e32 v4, 15, v4
	v_lshlrev_b32_sdwa v8, v8, v5 dst_sel:DWORD dst_unused:UNUSED_PAD src0_sel:DWORD src1_sel:WORD_1
	v_bfe_u32 v6, v5, 19, 4
	v_sub_u32_e32 v7, 29, v7
	v_and_b32_e32 v8, 7, v8
	v_cmp_eq_u16_e32 vcc, 0, v4
	v_cndmask_b32_e32 v3, v3, v8, vcc
	v_cndmask_b32_e32 v4, v6, v7, vcc
	v_lshlrev_b32_e32 v6, 8, v5
	v_mov_b32_e32 v7, 0x3b800000
	v_lshlrev_b32_e32 v3, 20, v3
	v_and_b32_e32 v6, 0x80000000, v6
	v_lshl_add_u32 v4, v4, 23, v7
	v_or3_b32 v4, v6, v4, v3
.LBB29_1016:
	s_or_b64 exec, exec, s[6:7]
	s_nop 0
	v_mfma_f32_16x16x4f32 a[0:3], v2, v4, a[0:3]
	s_movk_i32 s4, 0x7f
	v_cmp_gt_i16_sdwa s[6:7], v9, s4 src0_sel:BYTE_3 src1_sel:DWORD
	s_mov_b64 s[4:5], 0
                                        ; implicit-def: $sgpr10
	s_and_saveexec_b64 s[8:9], s[6:7]
	s_xor_b64 s[6:7], exec, s[8:9]
	s_cbranch_execnz .LBB29_3065
; %bb.1017:
	s_or_saveexec_b64 s[6:7], s[6:7]
	v_mov_b32_e32 v2, s10
	s_xor_b64 exec, exec, s[6:7]
	s_cbranch_execnz .LBB29_3068
.LBB29_1018:
	s_or_b64 exec, exec, s[6:7]
	s_and_saveexec_b64 s[6:7], s[4:5]
	s_cbranch_execz .LBB29_1020
.LBB29_1019:
	v_bfe_u32 v2, v9, 24, 3
	v_ffbh_u32_e32 v7, v2
	v_min_u32_e32 v7, 32, v7
	v_lshrrev_b32_e32 v4, 27, v9
	v_subrev_u32_e32 v8, 28, v7
	v_and_b32_e32 v4, 15, v4
	v_lshlrev_b32_sdwa v8, v8, v9 dst_sel:DWORD dst_unused:UNUSED_PAD src0_sel:DWORD src1_sel:BYTE_3
	v_bfe_u32 v6, v9, 27, 4
	v_sub_u32_e32 v7, 29, v7
	v_and_b32_e32 v8, 7, v8
	v_cmp_eq_u16_e32 vcc, 0, v4
	v_cndmask_b32_e32 v2, v2, v8, vcc
	v_cndmask_b32_e32 v4, v6, v7, vcc
	v_mov_b32_e32 v6, 0x3b800000
	v_and_b32_e32 v3, 0x80000000, v9
	v_lshlrev_b32_e32 v2, 20, v2
	v_lshl_add_u32 v4, v4, 23, v6
	v_or3_b32 v2, v3, v4, v2
.LBB29_1020:
	s_or_b64 exec, exec, s[6:7]
	s_movk_i32 s4, 0x7f
	v_cmp_gt_i16_sdwa s[6:7], v5, s4 src0_sel:BYTE_3 src1_sel:DWORD
	s_mov_b64 s[4:5], 0
                                        ; implicit-def: $sgpr10
	s_and_saveexec_b64 s[8:9], s[6:7]
	s_xor_b64 s[6:7], exec, s[8:9]
	s_cbranch_execnz .LBB29_3069
; %bb.1021:
	s_or_saveexec_b64 s[6:7], s[6:7]
	v_mov_b32_e32 v3, s10
	s_xor_b64 exec, exec, s[6:7]
	s_cbranch_execnz .LBB29_3072
.LBB29_1022:
	s_or_b64 exec, exec, s[6:7]
	s_and_saveexec_b64 s[6:7], s[4:5]
	s_cbranch_execz .LBB29_1024
.LBB29_1023:
	v_bfe_u32 v3, v5, 24, 3
	v_ffbh_u32_e32 v8, v3
	v_min_u32_e32 v8, 32, v8
	v_lshrrev_b32_e32 v6, 27, v5
	v_subrev_u32_e32 v9, 28, v8
	v_and_b32_e32 v4, 0x80000000, v5
	v_and_b32_e32 v6, 15, v6
	v_bfe_u32 v7, v5, 27, 4
	v_lshlrev_b32_sdwa v5, v9, v5 dst_sel:DWORD dst_unused:UNUSED_PAD src0_sel:DWORD src1_sel:BYTE_3
	v_sub_u32_e32 v8, 29, v8
	v_and_b32_e32 v5, 7, v5
	v_cmp_eq_u16_e32 vcc, 0, v6
	v_cndmask_b32_e32 v3, v3, v5, vcc
	v_cndmask_b32_e32 v5, v7, v8, vcc
	v_mov_b32_e32 v6, 0x3b800000
	v_lshlrev_b32_e32 v3, 20, v3
	v_lshl_add_u32 v5, v5, 23, v6
	v_or3_b32 v3, v4, v5, v3
.LBB29_1024:
	s_or_b64 exec, exec, s[6:7]
	s_nop 0
	v_mfma_f32_16x16x4f32 a[0:3], v2, v3, a[0:3]
	s_movk_i32 s4, 0x7f
                                        ; implicit-def: $sgpr10
	s_nop 7
	s_nop 1
	flat_store_dwordx4 v[18:19], a[0:3] offset:176
	flat_load_dwordx4 v[20:23], v[0:1] offset:16
	s_nop 0
	flat_load_dwordx2 v[18:19], v[0:1] offset:32
	s_waitcnt vmcnt(0) lgkmcnt(0)
	flat_load_dwordx4 v[14:17], v[20:21] offset:32
	flat_load_dwordx4 v[6:9], v[20:21] offset:48
	;; [unrolled: 1-line block ×4, first 2 shown]
	s_waitcnt vmcnt(0) lgkmcnt(0)
	v_cmp_gt_i16_sdwa s[6:7], v14, s4 src0_sel:BYTE_0 src1_sel:DWORD
	s_mov_b64 s[4:5], 0
	s_and_saveexec_b64 s[8:9], s[6:7]
	s_xor_b64 s[6:7], exec, s[8:9]
	s_cbranch_execnz .LBB29_3073
; %bb.1025:
	s_or_saveexec_b64 s[6:7], s[6:7]
	v_mov_b32_e32 v20, s10
	s_xor_b64 exec, exec, s[6:7]
	s_cbranch_execnz .LBB29_3076
.LBB29_1026:
	s_or_b64 exec, exec, s[6:7]
	s_and_saveexec_b64 s[6:7], s[4:5]
	s_cbranch_execz .LBB29_1028
.LBB29_1027:
	v_and_b32_e32 v20, 7, v14
	v_ffbh_u32_e32 v22, v20
	v_min_u32_e32 v22, 32, v22
	v_lshrrev_b16_e32 v21, 3, v14
	v_subrev_u32_e32 v23, 28, v22
	v_and_b32_e32 v21, 15, v21
	v_lshlrev_b32_e32 v23, v23, v14
	v_sub_u32_e32 v22, 29, v22
	v_and_b32_e32 v23, 7, v23
	v_cmp_eq_u16_e32 vcc, 0, v21
	v_cndmask_b32_e32 v20, v20, v23, vcc
	v_cndmask_b32_e32 v21, v21, v22, vcc
	v_lshlrev_b32_e32 v22, 24, v14
	v_mov_b32_e32 v23, 0x3b800000
	v_lshlrev_b32_e32 v20, 20, v20
	v_and_b32_e32 v22, 0x80000000, v22
	v_lshl_add_u32 v21, v21, 23, v23
	v_or3_b32 v20, v22, v21, v20
.LBB29_1028:
	s_or_b64 exec, exec, s[6:7]
	s_movk_i32 s4, 0x7f
	v_cmp_gt_i16_sdwa s[6:7], v10, s4 src0_sel:BYTE_0 src1_sel:DWORD
	s_mov_b64 s[4:5], 0
                                        ; implicit-def: $sgpr10
	s_and_saveexec_b64 s[8:9], s[6:7]
	s_xor_b64 s[6:7], exec, s[8:9]
	s_cbranch_execnz .LBB29_3077
; %bb.1029:
	s_or_saveexec_b64 s[6:7], s[6:7]
	v_mov_b32_e32 v21, s10
	s_xor_b64 exec, exec, s[6:7]
	s_cbranch_execnz .LBB29_3080
.LBB29_1030:
	s_or_b64 exec, exec, s[6:7]
	s_and_saveexec_b64 s[6:7], s[4:5]
	s_cbranch_execz .LBB29_1032
.LBB29_1031:
	v_and_b32_e32 v21, 7, v10
	v_ffbh_u32_e32 v23, v21
	v_min_u32_e32 v23, 32, v23
	v_lshrrev_b16_e32 v22, 3, v10
	v_subrev_u32_e32 v24, 28, v23
	v_and_b32_e32 v22, 15, v22
	v_lshlrev_b32_e32 v24, v24, v10
	v_sub_u32_e32 v23, 29, v23
	v_and_b32_e32 v24, 7, v24
	v_cmp_eq_u16_e32 vcc, 0, v22
	v_cndmask_b32_e32 v21, v21, v24, vcc
	v_cndmask_b32_e32 v22, v22, v23, vcc
	v_lshlrev_b32_e32 v23, 24, v10
	v_mov_b32_e32 v24, 0x3b800000
	v_lshlrev_b32_e32 v21, 20, v21
	v_and_b32_e32 v23, 0x80000000, v23
	v_lshl_add_u32 v22, v22, 23, v24
	v_or3_b32 v21, v23, v22, v21
.LBB29_1032:
	s_or_b64 exec, exec, s[6:7]
	flat_load_dwordx4 a[0:3], v[18:19] offset:192
	s_movk_i32 s4, 0x7f
                                        ; implicit-def: $sgpr10
	s_waitcnt vmcnt(0) lgkmcnt(0)
	v_mfma_f32_16x16x4f32 a[0:3], v20, v21, a[0:3]
	v_lshrrev_b32_e32 v21, 8, v14
	v_cmp_gt_i16_sdwa s[6:7], v21, s4 src0_sel:BYTE_0 src1_sel:DWORD
	s_mov_b64 s[4:5], 0
	s_and_saveexec_b64 s[8:9], s[6:7]
	s_xor_b64 s[6:7], exec, s[8:9]
	s_cbranch_execnz .LBB29_3081
; %bb.1033:
	s_or_saveexec_b64 s[6:7], s[6:7]
	v_mov_b32_e32 v20, s10
	s_xor_b64 exec, exec, s[6:7]
	s_cbranch_execnz .LBB29_3084
.LBB29_1034:
	s_or_b64 exec, exec, s[6:7]
	s_and_saveexec_b64 s[6:7], s[4:5]
	s_cbranch_execz .LBB29_1036
.LBB29_1035:
	v_bfe_u32 v20, v14, 8, 3
	v_ffbh_u32_e32 v23, v20
	v_min_u32_e32 v23, 32, v23
	v_lshrrev_b16_e32 v22, 3, v21
	v_subrev_u32_e32 v24, 28, v23
	v_and_b32_e32 v22, 15, v22
	v_lshlrev_b32_e32 v21, v24, v21
	v_sub_u32_e32 v23, 29, v23
	v_and_b32_e32 v21, 7, v21
	v_cmp_eq_u16_e32 vcc, 0, v22
	v_cndmask_b32_e32 v20, v20, v21, vcc
	v_cndmask_b32_e32 v21, v22, v23, vcc
	v_lshlrev_b32_e32 v22, 16, v14
	v_mov_b32_e32 v23, 0x3b800000
	v_lshlrev_b32_e32 v20, 20, v20
	v_and_b32_e32 v22, 0x80000000, v22
	v_lshl_add_u32 v21, v21, 23, v23
	v_or3_b32 v20, v22, v21, v20
.LBB29_1036:
	s_or_b64 exec, exec, s[6:7]
	v_lshrrev_b32_e32 v21, 8, v10
	s_movk_i32 s4, 0x7f
	v_cmp_gt_i16_sdwa s[6:7], v21, s4 src0_sel:BYTE_0 src1_sel:DWORD
	s_mov_b64 s[4:5], 0
                                        ; implicit-def: $sgpr10
	s_and_saveexec_b64 s[8:9], s[6:7]
	s_xor_b64 s[6:7], exec, s[8:9]
	s_cbranch_execnz .LBB29_3085
; %bb.1037:
	s_or_saveexec_b64 s[6:7], s[6:7]
	v_mov_b32_e32 v22, s10
	s_xor_b64 exec, exec, s[6:7]
	s_cbranch_execnz .LBB29_3088
.LBB29_1038:
	s_or_b64 exec, exec, s[6:7]
	s_and_saveexec_b64 s[6:7], s[4:5]
	s_cbranch_execz .LBB29_1040
.LBB29_1039:
	v_bfe_u32 v22, v10, 8, 3
	v_ffbh_u32_e32 v24, v22
	v_min_u32_e32 v24, 32, v24
	v_lshrrev_b16_e32 v23, 3, v21
	v_subrev_u32_e32 v25, 28, v24
	v_and_b32_e32 v23, 15, v23
	v_lshlrev_b32_e32 v21, v25, v21
	v_sub_u32_e32 v24, 29, v24
	v_and_b32_e32 v21, 7, v21
	v_cmp_eq_u16_e32 vcc, 0, v23
	v_cndmask_b32_e32 v21, v22, v21, vcc
	v_cndmask_b32_e32 v22, v23, v24, vcc
	v_lshlrev_b32_e32 v23, 16, v10
	v_mov_b32_e32 v24, 0x3b800000
	v_lshlrev_b32_e32 v21, 20, v21
	v_and_b32_e32 v23, 0x80000000, v23
	v_lshl_add_u32 v22, v22, 23, v24
	v_or3_b32 v22, v23, v22, v21
.LBB29_1040:
	s_or_b64 exec, exec, s[6:7]
	s_nop 0
	v_mfma_f32_16x16x4f32 a[0:3], v20, v22, a[0:3]
	s_movk_i32 s4, 0xff
	v_and_b32_sdwa v21, v14, s4 dst_sel:DWORD dst_unused:UNUSED_PAD src0_sel:WORD_1 src1_sel:DWORD
	s_movk_i32 s4, 0x7f
	v_cmp_lt_i16_e32 vcc, s4, v21
	s_mov_b64 s[4:5], 0
                                        ; implicit-def: $sgpr10
	s_and_saveexec_b64 s[6:7], vcc
	s_xor_b64 s[6:7], exec, s[6:7]
	s_cbranch_execnz .LBB29_3089
; %bb.1041:
	s_or_saveexec_b64 s[6:7], s[6:7]
	v_mov_b32_e32 v20, s10
	s_xor_b64 exec, exec, s[6:7]
	s_cbranch_execnz .LBB29_3092
.LBB29_1042:
	s_or_b64 exec, exec, s[6:7]
	s_and_saveexec_b64 s[6:7], s[4:5]
	s_cbranch_execz .LBB29_1044
.LBB29_1043:
	v_bfe_u32 v20, v14, 16, 3
	v_ffbh_u32_e32 v23, v20
	v_min_u32_e32 v23, 32, v23
	v_lshrrev_b32_e32 v21, 19, v14
	v_subrev_u32_e32 v24, 28, v23
	v_and_b32_e32 v21, 15, v21
	v_lshlrev_b32_sdwa v24, v24, v14 dst_sel:DWORD dst_unused:UNUSED_PAD src0_sel:DWORD src1_sel:WORD_1
	v_bfe_u32 v22, v14, 19, 4
	v_sub_u32_e32 v23, 29, v23
	v_and_b32_e32 v24, 7, v24
	v_cmp_eq_u16_e32 vcc, 0, v21
	v_cndmask_b32_e32 v20, v20, v24, vcc
	v_cndmask_b32_e32 v21, v22, v23, vcc
	v_lshlrev_b32_e32 v22, 8, v14
	v_mov_b32_e32 v23, 0x3b800000
	v_lshlrev_b32_e32 v20, 20, v20
	v_and_b32_e32 v22, 0x80000000, v22
	v_lshl_add_u32 v21, v21, 23, v23
	v_or3_b32 v20, v22, v21, v20
.LBB29_1044:
	s_or_b64 exec, exec, s[6:7]
	s_movk_i32 s4, 0xff
	v_and_b32_sdwa v21, v10, s4 dst_sel:DWORD dst_unused:UNUSED_PAD src0_sel:WORD_1 src1_sel:DWORD
	s_movk_i32 s4, 0x7f
	v_cmp_lt_i16_e32 vcc, s4, v21
	s_mov_b64 s[4:5], 0
                                        ; implicit-def: $sgpr10
	s_and_saveexec_b64 s[6:7], vcc
	s_xor_b64 s[6:7], exec, s[6:7]
	s_cbranch_execnz .LBB29_3093
; %bb.1045:
	s_or_saveexec_b64 s[6:7], s[6:7]
	v_mov_b32_e32 v22, s10
	s_xor_b64 exec, exec, s[6:7]
	s_cbranch_execnz .LBB29_3096
.LBB29_1046:
	s_or_b64 exec, exec, s[6:7]
	s_and_saveexec_b64 s[6:7], s[4:5]
	s_cbranch_execz .LBB29_1048
.LBB29_1047:
	v_bfe_u32 v21, v10, 16, 3
	v_ffbh_u32_e32 v24, v21
	v_min_u32_e32 v24, 32, v24
	v_lshrrev_b32_e32 v22, 19, v10
	v_subrev_u32_e32 v25, 28, v24
	v_and_b32_e32 v22, 15, v22
	v_lshlrev_b32_sdwa v25, v25, v10 dst_sel:DWORD dst_unused:UNUSED_PAD src0_sel:DWORD src1_sel:WORD_1
	v_bfe_u32 v23, v10, 19, 4
	v_sub_u32_e32 v24, 29, v24
	v_and_b32_e32 v25, 7, v25
	v_cmp_eq_u16_e32 vcc, 0, v22
	v_cndmask_b32_e32 v21, v21, v25, vcc
	v_cndmask_b32_e32 v22, v23, v24, vcc
	v_lshlrev_b32_e32 v23, 8, v10
	v_mov_b32_e32 v24, 0x3b800000
	v_lshlrev_b32_e32 v21, 20, v21
	v_and_b32_e32 v23, 0x80000000, v23
	v_lshl_add_u32 v22, v22, 23, v24
	v_or3_b32 v22, v23, v22, v21
.LBB29_1048:
	s_or_b64 exec, exec, s[6:7]
	s_nop 0
	v_mfma_f32_16x16x4f32 a[0:3], v20, v22, a[0:3]
	s_movk_i32 s4, 0x7f
	v_cmp_gt_i16_sdwa s[6:7], v14, s4 src0_sel:BYTE_3 src1_sel:DWORD
	s_mov_b64 s[4:5], 0
                                        ; implicit-def: $sgpr10
	s_and_saveexec_b64 s[8:9], s[6:7]
	s_xor_b64 s[6:7], exec, s[8:9]
	s_cbranch_execnz .LBB29_3097
; %bb.1049:
	s_or_saveexec_b64 s[6:7], s[6:7]
	v_mov_b32_e32 v20, s10
	s_xor_b64 exec, exec, s[6:7]
	s_cbranch_execnz .LBB29_3100
.LBB29_1050:
	s_or_b64 exec, exec, s[6:7]
	s_and_saveexec_b64 s[6:7], s[4:5]
	s_cbranch_execz .LBB29_1052
.LBB29_1051:
	v_bfe_u32 v20, v14, 24, 3
	v_ffbh_u32_e32 v24, v20
	v_min_u32_e32 v24, 32, v24
	v_lshrrev_b32_e32 v22, 27, v14
	v_subrev_u32_e32 v25, 28, v24
	v_and_b32_e32 v21, 0x80000000, v14
	v_and_b32_e32 v22, 15, v22
	v_bfe_u32 v23, v14, 27, 4
	v_lshlrev_b32_sdwa v14, v25, v14 dst_sel:DWORD dst_unused:UNUSED_PAD src0_sel:DWORD src1_sel:BYTE_3
	v_sub_u32_e32 v24, 29, v24
	v_and_b32_e32 v14, 7, v14
	v_cmp_eq_u16_e32 vcc, 0, v22
	v_cndmask_b32_e32 v14, v20, v14, vcc
	v_cndmask_b32_e32 v20, v23, v24, vcc
	v_mov_b32_e32 v22, 0x3b800000
	v_lshlrev_b32_e32 v14, 20, v14
	v_lshl_add_u32 v20, v20, 23, v22
	v_or3_b32 v20, v21, v20, v14
.LBB29_1052:
	s_or_b64 exec, exec, s[6:7]
	s_movk_i32 s4, 0x7f
	v_cmp_gt_i16_sdwa s[6:7], v10, s4 src0_sel:BYTE_3 src1_sel:DWORD
	s_mov_b64 s[4:5], 0
                                        ; implicit-def: $sgpr10
	s_and_saveexec_b64 s[8:9], s[6:7]
	s_xor_b64 s[6:7], exec, s[8:9]
	s_cbranch_execnz .LBB29_3101
; %bb.1053:
	s_or_saveexec_b64 s[6:7], s[6:7]
	v_mov_b32_e32 v14, s10
	s_xor_b64 exec, exec, s[6:7]
	s_cbranch_execnz .LBB29_3104
.LBB29_1054:
	s_or_b64 exec, exec, s[6:7]
	s_and_saveexec_b64 s[6:7], s[4:5]
	s_cbranch_execz .LBB29_1056
.LBB29_1055:
	v_bfe_u32 v14, v10, 24, 3
	v_ffbh_u32_e32 v24, v14
	v_min_u32_e32 v24, 32, v24
	v_lshrrev_b32_e32 v22, 27, v10
	v_subrev_u32_e32 v25, 28, v24
	v_and_b32_e32 v21, 0x80000000, v10
	v_and_b32_e32 v22, 15, v22
	v_bfe_u32 v23, v10, 27, 4
	v_lshlrev_b32_sdwa v10, v25, v10 dst_sel:DWORD dst_unused:UNUSED_PAD src0_sel:DWORD src1_sel:BYTE_3
	v_sub_u32_e32 v24, 29, v24
	v_and_b32_e32 v10, 7, v10
	v_cmp_eq_u16_e32 vcc, 0, v22
	v_cndmask_b32_e32 v10, v14, v10, vcc
	v_cndmask_b32_e32 v14, v23, v24, vcc
	v_mov_b32_e32 v22, 0x3b800000
	v_lshlrev_b32_e32 v10, 20, v10
	v_lshl_add_u32 v14, v14, 23, v22
	v_or3_b32 v14, v21, v14, v10
.LBB29_1056:
	s_or_b64 exec, exec, s[6:7]
	s_nop 0
	v_mfma_f32_16x16x4f32 a[0:3], v20, v14, a[0:3]
	s_movk_i32 s4, 0x7f
	v_cmp_gt_i16_sdwa s[6:7], v15, s4 src0_sel:BYTE_0 src1_sel:DWORD
	s_mov_b64 s[4:5], 0
                                        ; implicit-def: $sgpr10
	s_and_saveexec_b64 s[8:9], s[6:7]
	s_xor_b64 s[6:7], exec, s[8:9]
	s_cbranch_execnz .LBB29_3105
; %bb.1057:
	s_or_saveexec_b64 s[6:7], s[6:7]
	v_mov_b32_e32 v10, s10
	s_xor_b64 exec, exec, s[6:7]
	s_cbranch_execnz .LBB29_3108
.LBB29_1058:
	s_or_b64 exec, exec, s[6:7]
	s_and_saveexec_b64 s[6:7], s[4:5]
	s_cbranch_execz .LBB29_1060
.LBB29_1059:
	v_and_b32_e32 v10, 7, v15
	v_ffbh_u32_e32 v20, v10
	v_min_u32_e32 v20, 32, v20
	v_lshrrev_b16_e32 v14, 3, v15
	v_subrev_u32_e32 v21, 28, v20
	v_and_b32_e32 v14, 15, v14
	v_lshlrev_b32_e32 v21, v21, v15
	v_sub_u32_e32 v20, 29, v20
	v_and_b32_e32 v21, 7, v21
	v_cmp_eq_u16_e32 vcc, 0, v14
	v_cndmask_b32_e32 v10, v10, v21, vcc
	v_cndmask_b32_e32 v14, v14, v20, vcc
	v_lshlrev_b32_e32 v20, 24, v15
	v_mov_b32_e32 v21, 0x3b800000
	v_lshlrev_b32_e32 v10, 20, v10
	v_and_b32_e32 v20, 0x80000000, v20
	v_lshl_add_u32 v14, v14, 23, v21
	v_or3_b32 v10, v20, v14, v10
.LBB29_1060:
	s_or_b64 exec, exec, s[6:7]
	s_movk_i32 s4, 0x7f
	v_cmp_gt_i16_sdwa s[6:7], v11, s4 src0_sel:BYTE_0 src1_sel:DWORD
	s_mov_b64 s[4:5], 0
                                        ; implicit-def: $sgpr10
	s_and_saveexec_b64 s[8:9], s[6:7]
	s_xor_b64 s[6:7], exec, s[8:9]
	s_cbranch_execnz .LBB29_3109
; %bb.1061:
	s_or_saveexec_b64 s[6:7], s[6:7]
	v_mov_b32_e32 v14, s10
	s_xor_b64 exec, exec, s[6:7]
	s_cbranch_execnz .LBB29_3112
.LBB29_1062:
	s_or_b64 exec, exec, s[6:7]
	s_and_saveexec_b64 s[6:7], s[4:5]
	s_cbranch_execz .LBB29_1064
.LBB29_1063:
	v_and_b32_e32 v14, 7, v11
	v_ffbh_u32_e32 v21, v14
	v_min_u32_e32 v21, 32, v21
	v_lshrrev_b16_e32 v20, 3, v11
	v_subrev_u32_e32 v22, 28, v21
	v_and_b32_e32 v20, 15, v20
	v_lshlrev_b32_e32 v22, v22, v11
	v_sub_u32_e32 v21, 29, v21
	v_and_b32_e32 v22, 7, v22
	v_cmp_eq_u16_e32 vcc, 0, v20
	v_cndmask_b32_e32 v14, v14, v22, vcc
	v_cndmask_b32_e32 v20, v20, v21, vcc
	v_lshlrev_b32_e32 v21, 24, v11
	v_mov_b32_e32 v22, 0x3b800000
	v_lshlrev_b32_e32 v14, 20, v14
	v_and_b32_e32 v21, 0x80000000, v21
	v_lshl_add_u32 v20, v20, 23, v22
	v_or3_b32 v14, v21, v20, v14
.LBB29_1064:
	s_or_b64 exec, exec, s[6:7]
	s_nop 0
	v_mfma_f32_16x16x4f32 a[0:3], v10, v14, a[0:3]
	v_lshrrev_b32_e32 v14, 8, v15
	s_movk_i32 s4, 0x7f
	v_cmp_gt_i16_sdwa s[6:7], v14, s4 src0_sel:BYTE_0 src1_sel:DWORD
	s_mov_b64 s[4:5], 0
                                        ; implicit-def: $sgpr10
	s_and_saveexec_b64 s[8:9], s[6:7]
	s_xor_b64 s[6:7], exec, s[8:9]
	s_cbranch_execnz .LBB29_3113
; %bb.1065:
	s_or_saveexec_b64 s[6:7], s[6:7]
	v_mov_b32_e32 v10, s10
	s_xor_b64 exec, exec, s[6:7]
	s_cbranch_execnz .LBB29_3116
.LBB29_1066:
	s_or_b64 exec, exec, s[6:7]
	s_and_saveexec_b64 s[6:7], s[4:5]
	s_cbranch_execz .LBB29_1068
.LBB29_1067:
	v_bfe_u32 v10, v15, 8, 3
	v_ffbh_u32_e32 v21, v10
	v_min_u32_e32 v21, 32, v21
	v_lshrrev_b16_e32 v20, 3, v14
	v_subrev_u32_e32 v22, 28, v21
	v_and_b32_e32 v20, 15, v20
	v_lshlrev_b32_e32 v14, v22, v14
	v_sub_u32_e32 v21, 29, v21
	v_and_b32_e32 v14, 7, v14
	v_cmp_eq_u16_e32 vcc, 0, v20
	v_cndmask_b32_e32 v10, v10, v14, vcc
	v_cndmask_b32_e32 v14, v20, v21, vcc
	v_lshlrev_b32_e32 v20, 16, v15
	v_mov_b32_e32 v21, 0x3b800000
	v_lshlrev_b32_e32 v10, 20, v10
	v_and_b32_e32 v20, 0x80000000, v20
	v_lshl_add_u32 v14, v14, 23, v21
	v_or3_b32 v10, v20, v14, v10
.LBB29_1068:
	s_or_b64 exec, exec, s[6:7]
	v_lshrrev_b32_e32 v14, 8, v11
	s_movk_i32 s4, 0x7f
	v_cmp_gt_i16_sdwa s[6:7], v14, s4 src0_sel:BYTE_0 src1_sel:DWORD
	s_mov_b64 s[4:5], 0
                                        ; implicit-def: $sgpr10
	s_and_saveexec_b64 s[8:9], s[6:7]
	s_xor_b64 s[6:7], exec, s[8:9]
	s_cbranch_execnz .LBB29_3117
; %bb.1069:
	s_or_saveexec_b64 s[6:7], s[6:7]
	v_mov_b32_e32 v20, s10
	s_xor_b64 exec, exec, s[6:7]
	s_cbranch_execnz .LBB29_3120
.LBB29_1070:
	s_or_b64 exec, exec, s[6:7]
	s_and_saveexec_b64 s[6:7], s[4:5]
	s_cbranch_execz .LBB29_1072
.LBB29_1071:
	v_bfe_u32 v20, v11, 8, 3
	v_ffbh_u32_e32 v22, v20
	v_min_u32_e32 v22, 32, v22
	v_lshrrev_b16_e32 v21, 3, v14
	v_subrev_u32_e32 v23, 28, v22
	v_and_b32_e32 v21, 15, v21
	v_lshlrev_b32_e32 v14, v23, v14
	v_sub_u32_e32 v22, 29, v22
	v_and_b32_e32 v14, 7, v14
	v_cmp_eq_u16_e32 vcc, 0, v21
	v_cndmask_b32_e32 v14, v20, v14, vcc
	v_cndmask_b32_e32 v20, v21, v22, vcc
	v_lshlrev_b32_e32 v21, 16, v11
	v_mov_b32_e32 v22, 0x3b800000
	v_lshlrev_b32_e32 v14, 20, v14
	v_and_b32_e32 v21, 0x80000000, v21
	v_lshl_add_u32 v20, v20, 23, v22
	v_or3_b32 v20, v21, v20, v14
.LBB29_1072:
	s_or_b64 exec, exec, s[6:7]
	s_nop 0
	v_mfma_f32_16x16x4f32 a[0:3], v10, v20, a[0:3]
	s_movk_i32 s4, 0xff
	v_and_b32_sdwa v14, v15, s4 dst_sel:DWORD dst_unused:UNUSED_PAD src0_sel:WORD_1 src1_sel:DWORD
	s_movk_i32 s4, 0x7f
	v_cmp_lt_i16_e32 vcc, s4, v14
	s_mov_b64 s[4:5], 0
                                        ; implicit-def: $sgpr10
	s_and_saveexec_b64 s[6:7], vcc
	s_xor_b64 s[6:7], exec, s[6:7]
	s_cbranch_execnz .LBB29_3121
; %bb.1073:
	s_or_saveexec_b64 s[6:7], s[6:7]
	v_mov_b32_e32 v10, s10
	s_xor_b64 exec, exec, s[6:7]
	s_cbranch_execnz .LBB29_3124
.LBB29_1074:
	s_or_b64 exec, exec, s[6:7]
	s_and_saveexec_b64 s[6:7], s[4:5]
	s_cbranch_execz .LBB29_1076
.LBB29_1075:
	v_bfe_u32 v10, v15, 16, 3
	v_ffbh_u32_e32 v21, v10
	v_min_u32_e32 v21, 32, v21
	v_lshrrev_b32_e32 v14, 19, v15
	v_subrev_u32_e32 v22, 28, v21
	v_and_b32_e32 v14, 15, v14
	v_lshlrev_b32_sdwa v22, v22, v15 dst_sel:DWORD dst_unused:UNUSED_PAD src0_sel:DWORD src1_sel:WORD_1
	v_bfe_u32 v20, v15, 19, 4
	v_sub_u32_e32 v21, 29, v21
	v_and_b32_e32 v22, 7, v22
	v_cmp_eq_u16_e32 vcc, 0, v14
	v_cndmask_b32_e32 v10, v10, v22, vcc
	v_cndmask_b32_e32 v14, v20, v21, vcc
	v_lshlrev_b32_e32 v20, 8, v15
	v_mov_b32_e32 v21, 0x3b800000
	v_lshlrev_b32_e32 v10, 20, v10
	v_and_b32_e32 v20, 0x80000000, v20
	v_lshl_add_u32 v14, v14, 23, v21
	v_or3_b32 v10, v20, v14, v10
.LBB29_1076:
	s_or_b64 exec, exec, s[6:7]
	s_movk_i32 s4, 0xff
	v_and_b32_sdwa v14, v11, s4 dst_sel:DWORD dst_unused:UNUSED_PAD src0_sel:WORD_1 src1_sel:DWORD
	s_movk_i32 s4, 0x7f
	v_cmp_lt_i16_e32 vcc, s4, v14
	s_mov_b64 s[4:5], 0
                                        ; implicit-def: $sgpr10
	s_and_saveexec_b64 s[6:7], vcc
	s_xor_b64 s[6:7], exec, s[6:7]
	s_cbranch_execnz .LBB29_3125
; %bb.1077:
	s_or_saveexec_b64 s[6:7], s[6:7]
	v_mov_b32_e32 v20, s10
	s_xor_b64 exec, exec, s[6:7]
	s_cbranch_execnz .LBB29_3128
.LBB29_1078:
	s_or_b64 exec, exec, s[6:7]
	s_and_saveexec_b64 s[6:7], s[4:5]
	s_cbranch_execz .LBB29_1080
.LBB29_1079:
	v_bfe_u32 v14, v11, 16, 3
	v_ffbh_u32_e32 v22, v14
	v_min_u32_e32 v22, 32, v22
	v_lshrrev_b32_e32 v20, 19, v11
	v_subrev_u32_e32 v23, 28, v22
	v_and_b32_e32 v20, 15, v20
	v_lshlrev_b32_sdwa v23, v23, v11 dst_sel:DWORD dst_unused:UNUSED_PAD src0_sel:DWORD src1_sel:WORD_1
	v_bfe_u32 v21, v11, 19, 4
	v_sub_u32_e32 v22, 29, v22
	v_and_b32_e32 v23, 7, v23
	v_cmp_eq_u16_e32 vcc, 0, v20
	v_cndmask_b32_e32 v14, v14, v23, vcc
	v_cndmask_b32_e32 v20, v21, v22, vcc
	v_lshlrev_b32_e32 v21, 8, v11
	v_mov_b32_e32 v22, 0x3b800000
	v_lshlrev_b32_e32 v14, 20, v14
	v_and_b32_e32 v21, 0x80000000, v21
	v_lshl_add_u32 v20, v20, 23, v22
	v_or3_b32 v20, v21, v20, v14
.LBB29_1080:
	s_or_b64 exec, exec, s[6:7]
	s_nop 0
	v_mfma_f32_16x16x4f32 a[0:3], v10, v20, a[0:3]
	s_movk_i32 s4, 0x7f
	v_cmp_gt_i16_sdwa s[6:7], v15, s4 src0_sel:BYTE_3 src1_sel:DWORD
	s_mov_b64 s[4:5], 0
                                        ; implicit-def: $sgpr10
	s_and_saveexec_b64 s[8:9], s[6:7]
	s_xor_b64 s[6:7], exec, s[8:9]
	s_cbranch_execnz .LBB29_3129
; %bb.1081:
	s_or_saveexec_b64 s[6:7], s[6:7]
	v_mov_b32_e32 v10, s10
	s_xor_b64 exec, exec, s[6:7]
	s_cbranch_execnz .LBB29_3132
.LBB29_1082:
	s_or_b64 exec, exec, s[6:7]
	s_and_saveexec_b64 s[6:7], s[4:5]
	s_cbranch_execz .LBB29_1084
.LBB29_1083:
	v_bfe_u32 v10, v15, 24, 3
	v_ffbh_u32_e32 v22, v10
	v_min_u32_e32 v22, 32, v22
	v_lshrrev_b32_e32 v20, 27, v15
	v_subrev_u32_e32 v23, 28, v22
	v_and_b32_e32 v14, 0x80000000, v15
	v_and_b32_e32 v20, 15, v20
	v_bfe_u32 v21, v15, 27, 4
	v_lshlrev_b32_sdwa v15, v23, v15 dst_sel:DWORD dst_unused:UNUSED_PAD src0_sel:DWORD src1_sel:BYTE_3
	v_sub_u32_e32 v22, 29, v22
	v_and_b32_e32 v15, 7, v15
	v_cmp_eq_u16_e32 vcc, 0, v20
	v_cndmask_b32_e32 v10, v10, v15, vcc
	v_cndmask_b32_e32 v15, v21, v22, vcc
	v_mov_b32_e32 v20, 0x3b800000
	v_lshlrev_b32_e32 v10, 20, v10
	v_lshl_add_u32 v15, v15, 23, v20
	v_or3_b32 v10, v14, v15, v10
.LBB29_1084:
	s_or_b64 exec, exec, s[6:7]
	s_movk_i32 s4, 0x7f
	v_cmp_gt_i16_sdwa s[6:7], v11, s4 src0_sel:BYTE_3 src1_sel:DWORD
	s_mov_b64 s[4:5], 0
                                        ; implicit-def: $sgpr10
	s_and_saveexec_b64 s[8:9], s[6:7]
	s_xor_b64 s[6:7], exec, s[8:9]
	s_cbranch_execnz .LBB29_3133
; %bb.1085:
	s_or_saveexec_b64 s[6:7], s[6:7]
	v_mov_b32_e32 v14, s10
	s_xor_b64 exec, exec, s[6:7]
	s_cbranch_execnz .LBB29_3136
.LBB29_1086:
	s_or_b64 exec, exec, s[6:7]
	s_and_saveexec_b64 s[6:7], s[4:5]
	s_cbranch_execz .LBB29_1088
.LBB29_1087:
	v_bfe_u32 v14, v11, 24, 3
	v_ffbh_u32_e32 v22, v14
	v_min_u32_e32 v22, 32, v22
	v_lshrrev_b32_e32 v20, 27, v11
	v_subrev_u32_e32 v23, 28, v22
	v_and_b32_e32 v15, 0x80000000, v11
	v_and_b32_e32 v20, 15, v20
	v_bfe_u32 v21, v11, 27, 4
	v_lshlrev_b32_sdwa v11, v23, v11 dst_sel:DWORD dst_unused:UNUSED_PAD src0_sel:DWORD src1_sel:BYTE_3
	v_sub_u32_e32 v22, 29, v22
	v_and_b32_e32 v11, 7, v11
	v_cmp_eq_u16_e32 vcc, 0, v20
	v_cndmask_b32_e32 v11, v14, v11, vcc
	v_cndmask_b32_e32 v14, v21, v22, vcc
	v_mov_b32_e32 v20, 0x3b800000
	v_lshlrev_b32_e32 v11, 20, v11
	v_lshl_add_u32 v14, v14, 23, v20
	v_or3_b32 v14, v15, v14, v11
.LBB29_1088:
	s_or_b64 exec, exec, s[6:7]
	s_nop 0
	v_mfma_f32_16x16x4f32 a[0:3], v10, v14, a[0:3]
	s_movk_i32 s4, 0x7f
	v_cmp_gt_i16_sdwa s[6:7], v16, s4 src0_sel:BYTE_0 src1_sel:DWORD
	s_mov_b64 s[4:5], 0
                                        ; implicit-def: $sgpr10
	s_and_saveexec_b64 s[8:9], s[6:7]
	s_xor_b64 s[6:7], exec, s[8:9]
	s_cbranch_execnz .LBB29_3137
; %bb.1089:
	s_or_saveexec_b64 s[6:7], s[6:7]
	v_mov_b32_e32 v10, s10
	s_xor_b64 exec, exec, s[6:7]
	s_cbranch_execnz .LBB29_3140
.LBB29_1090:
	s_or_b64 exec, exec, s[6:7]
	s_and_saveexec_b64 s[6:7], s[4:5]
	s_cbranch_execz .LBB29_1092
.LBB29_1091:
	v_and_b32_e32 v10, 7, v16
	v_ffbh_u32_e32 v14, v10
	v_min_u32_e32 v14, 32, v14
	v_lshrrev_b16_e32 v11, 3, v16
	v_subrev_u32_e32 v15, 28, v14
	v_and_b32_e32 v11, 15, v11
	v_lshlrev_b32_e32 v15, v15, v16
	v_sub_u32_e32 v14, 29, v14
	v_and_b32_e32 v15, 7, v15
	v_cmp_eq_u16_e32 vcc, 0, v11
	v_cndmask_b32_e32 v10, v10, v15, vcc
	v_cndmask_b32_e32 v11, v11, v14, vcc
	v_lshlrev_b32_e32 v14, 24, v16
	v_mov_b32_e32 v15, 0x3b800000
	v_lshlrev_b32_e32 v10, 20, v10
	v_and_b32_e32 v14, 0x80000000, v14
	v_lshl_add_u32 v11, v11, 23, v15
	v_or3_b32 v10, v14, v11, v10
.LBB29_1092:
	s_or_b64 exec, exec, s[6:7]
	s_movk_i32 s4, 0x7f
	v_cmp_gt_i16_sdwa s[6:7], v12, s4 src0_sel:BYTE_0 src1_sel:DWORD
	s_mov_b64 s[4:5], 0
                                        ; implicit-def: $sgpr10
	s_and_saveexec_b64 s[8:9], s[6:7]
	s_xor_b64 s[6:7], exec, s[8:9]
	s_cbranch_execnz .LBB29_3141
; %bb.1093:
	s_or_saveexec_b64 s[6:7], s[6:7]
	v_mov_b32_e32 v11, s10
	s_xor_b64 exec, exec, s[6:7]
	s_cbranch_execnz .LBB29_3144
.LBB29_1094:
	s_or_b64 exec, exec, s[6:7]
	s_and_saveexec_b64 s[6:7], s[4:5]
	s_cbranch_execz .LBB29_1096
.LBB29_1095:
	v_and_b32_e32 v11, 7, v12
	v_ffbh_u32_e32 v15, v11
	v_min_u32_e32 v15, 32, v15
	v_lshrrev_b16_e32 v14, 3, v12
	v_subrev_u32_e32 v20, 28, v15
	v_and_b32_e32 v14, 15, v14
	v_lshlrev_b32_e32 v20, v20, v12
	v_sub_u32_e32 v15, 29, v15
	v_and_b32_e32 v20, 7, v20
	v_cmp_eq_u16_e32 vcc, 0, v14
	v_cndmask_b32_e32 v11, v11, v20, vcc
	v_cndmask_b32_e32 v14, v14, v15, vcc
	v_lshlrev_b32_e32 v15, 24, v12
	v_mov_b32_e32 v20, 0x3b800000
	v_lshlrev_b32_e32 v11, 20, v11
	v_and_b32_e32 v15, 0x80000000, v15
	v_lshl_add_u32 v14, v14, 23, v20
	v_or3_b32 v11, v15, v14, v11
.LBB29_1096:
	s_or_b64 exec, exec, s[6:7]
	s_nop 0
	v_mfma_f32_16x16x4f32 a[0:3], v10, v11, a[0:3]
	v_lshrrev_b32_e32 v11, 8, v16
	s_movk_i32 s4, 0x7f
	v_cmp_gt_i16_sdwa s[6:7], v11, s4 src0_sel:BYTE_0 src1_sel:DWORD
	s_mov_b64 s[4:5], 0
                                        ; implicit-def: $sgpr10
	s_and_saveexec_b64 s[8:9], s[6:7]
	s_xor_b64 s[6:7], exec, s[8:9]
	s_cbranch_execnz .LBB29_3145
; %bb.1097:
	s_or_saveexec_b64 s[6:7], s[6:7]
	v_mov_b32_e32 v10, s10
	s_xor_b64 exec, exec, s[6:7]
	s_cbranch_execnz .LBB29_3148
.LBB29_1098:
	s_or_b64 exec, exec, s[6:7]
	s_and_saveexec_b64 s[6:7], s[4:5]
	s_cbranch_execz .LBB29_1100
.LBB29_1099:
	v_bfe_u32 v10, v16, 8, 3
	v_ffbh_u32_e32 v15, v10
	v_min_u32_e32 v15, 32, v15
	v_lshrrev_b16_e32 v14, 3, v11
	v_subrev_u32_e32 v20, 28, v15
	v_and_b32_e32 v14, 15, v14
	v_lshlrev_b32_e32 v11, v20, v11
	v_sub_u32_e32 v15, 29, v15
	v_and_b32_e32 v11, 7, v11
	v_cmp_eq_u16_e32 vcc, 0, v14
	v_cndmask_b32_e32 v10, v10, v11, vcc
	v_cndmask_b32_e32 v11, v14, v15, vcc
	v_lshlrev_b32_e32 v14, 16, v16
	v_mov_b32_e32 v15, 0x3b800000
	v_lshlrev_b32_e32 v10, 20, v10
	v_and_b32_e32 v14, 0x80000000, v14
	v_lshl_add_u32 v11, v11, 23, v15
	v_or3_b32 v10, v14, v11, v10
.LBB29_1100:
	s_or_b64 exec, exec, s[6:7]
	v_lshrrev_b32_e32 v11, 8, v12
	s_movk_i32 s4, 0x7f
	v_cmp_gt_i16_sdwa s[6:7], v11, s4 src0_sel:BYTE_0 src1_sel:DWORD
	s_mov_b64 s[4:5], 0
                                        ; implicit-def: $sgpr10
	s_and_saveexec_b64 s[8:9], s[6:7]
	s_xor_b64 s[6:7], exec, s[8:9]
	s_cbranch_execnz .LBB29_3149
; %bb.1101:
	s_or_saveexec_b64 s[6:7], s[6:7]
	v_mov_b32_e32 v14, s10
	s_xor_b64 exec, exec, s[6:7]
	s_cbranch_execnz .LBB29_3152
.LBB29_1102:
	s_or_b64 exec, exec, s[6:7]
	s_and_saveexec_b64 s[6:7], s[4:5]
	s_cbranch_execz .LBB29_1104
.LBB29_1103:
	v_bfe_u32 v14, v12, 8, 3
	v_ffbh_u32_e32 v20, v14
	v_min_u32_e32 v20, 32, v20
	v_lshrrev_b16_e32 v15, 3, v11
	v_subrev_u32_e32 v21, 28, v20
	v_and_b32_e32 v15, 15, v15
	v_lshlrev_b32_e32 v11, v21, v11
	v_sub_u32_e32 v20, 29, v20
	v_and_b32_e32 v11, 7, v11
	v_cmp_eq_u16_e32 vcc, 0, v15
	v_cndmask_b32_e32 v11, v14, v11, vcc
	v_cndmask_b32_e32 v14, v15, v20, vcc
	v_lshlrev_b32_e32 v15, 16, v12
	v_mov_b32_e32 v20, 0x3b800000
	v_lshlrev_b32_e32 v11, 20, v11
	v_and_b32_e32 v15, 0x80000000, v15
	v_lshl_add_u32 v14, v14, 23, v20
	v_or3_b32 v14, v15, v14, v11
.LBB29_1104:
	s_or_b64 exec, exec, s[6:7]
	s_nop 0
	v_mfma_f32_16x16x4f32 a[0:3], v10, v14, a[0:3]
	s_movk_i32 s4, 0xff
	v_and_b32_sdwa v11, v16, s4 dst_sel:DWORD dst_unused:UNUSED_PAD src0_sel:WORD_1 src1_sel:DWORD
	s_movk_i32 s4, 0x7f
	v_cmp_lt_i16_e32 vcc, s4, v11
	s_mov_b64 s[4:5], 0
                                        ; implicit-def: $sgpr10
	s_and_saveexec_b64 s[6:7], vcc
	s_xor_b64 s[6:7], exec, s[6:7]
	s_cbranch_execnz .LBB29_3153
; %bb.1105:
	s_or_saveexec_b64 s[6:7], s[6:7]
	v_mov_b32_e32 v10, s10
	s_xor_b64 exec, exec, s[6:7]
	s_cbranch_execnz .LBB29_3156
.LBB29_1106:
	s_or_b64 exec, exec, s[6:7]
	s_and_saveexec_b64 s[6:7], s[4:5]
	s_cbranch_execz .LBB29_1108
.LBB29_1107:
	v_bfe_u32 v10, v16, 16, 3
	v_ffbh_u32_e32 v15, v10
	v_min_u32_e32 v15, 32, v15
	v_lshrrev_b32_e32 v11, 19, v16
	v_subrev_u32_e32 v20, 28, v15
	v_and_b32_e32 v11, 15, v11
	v_lshlrev_b32_sdwa v20, v20, v16 dst_sel:DWORD dst_unused:UNUSED_PAD src0_sel:DWORD src1_sel:WORD_1
	v_bfe_u32 v14, v16, 19, 4
	v_sub_u32_e32 v15, 29, v15
	v_and_b32_e32 v20, 7, v20
	v_cmp_eq_u16_e32 vcc, 0, v11
	v_cndmask_b32_e32 v10, v10, v20, vcc
	v_cndmask_b32_e32 v11, v14, v15, vcc
	v_lshlrev_b32_e32 v14, 8, v16
	v_mov_b32_e32 v15, 0x3b800000
	v_lshlrev_b32_e32 v10, 20, v10
	v_and_b32_e32 v14, 0x80000000, v14
	v_lshl_add_u32 v11, v11, 23, v15
	v_or3_b32 v10, v14, v11, v10
.LBB29_1108:
	s_or_b64 exec, exec, s[6:7]
	s_movk_i32 s4, 0xff
	v_and_b32_sdwa v11, v12, s4 dst_sel:DWORD dst_unused:UNUSED_PAD src0_sel:WORD_1 src1_sel:DWORD
	s_movk_i32 s4, 0x7f
	v_cmp_lt_i16_e32 vcc, s4, v11
	s_mov_b64 s[4:5], 0
                                        ; implicit-def: $sgpr10
	s_and_saveexec_b64 s[6:7], vcc
	s_xor_b64 s[6:7], exec, s[6:7]
	s_cbranch_execnz .LBB29_3157
; %bb.1109:
	s_or_saveexec_b64 s[6:7], s[6:7]
	v_mov_b32_e32 v14, s10
	s_xor_b64 exec, exec, s[6:7]
	s_cbranch_execnz .LBB29_3160
.LBB29_1110:
	s_or_b64 exec, exec, s[6:7]
	s_and_saveexec_b64 s[6:7], s[4:5]
	s_cbranch_execz .LBB29_1112
.LBB29_1111:
	v_bfe_u32 v11, v12, 16, 3
	v_ffbh_u32_e32 v20, v11
	v_min_u32_e32 v20, 32, v20
	v_lshrrev_b32_e32 v14, 19, v12
	v_subrev_u32_e32 v21, 28, v20
	v_and_b32_e32 v14, 15, v14
	v_lshlrev_b32_sdwa v21, v21, v12 dst_sel:DWORD dst_unused:UNUSED_PAD src0_sel:DWORD src1_sel:WORD_1
	v_bfe_u32 v15, v12, 19, 4
	v_sub_u32_e32 v20, 29, v20
	v_and_b32_e32 v21, 7, v21
	v_cmp_eq_u16_e32 vcc, 0, v14
	v_cndmask_b32_e32 v11, v11, v21, vcc
	v_cndmask_b32_e32 v14, v15, v20, vcc
	v_lshlrev_b32_e32 v15, 8, v12
	v_mov_b32_e32 v20, 0x3b800000
	v_lshlrev_b32_e32 v11, 20, v11
	v_and_b32_e32 v15, 0x80000000, v15
	v_lshl_add_u32 v14, v14, 23, v20
	v_or3_b32 v14, v15, v14, v11
.LBB29_1112:
	s_or_b64 exec, exec, s[6:7]
	s_nop 0
	v_mfma_f32_16x16x4f32 a[0:3], v10, v14, a[0:3]
	s_movk_i32 s4, 0x7f
	v_cmp_gt_i16_sdwa s[6:7], v16, s4 src0_sel:BYTE_3 src1_sel:DWORD
	s_mov_b64 s[4:5], 0
                                        ; implicit-def: $sgpr10
	s_and_saveexec_b64 s[8:9], s[6:7]
	s_xor_b64 s[6:7], exec, s[8:9]
	s_cbranch_execnz .LBB29_3161
; %bb.1113:
	s_or_saveexec_b64 s[6:7], s[6:7]
	v_mov_b32_e32 v10, s10
	s_xor_b64 exec, exec, s[6:7]
	s_cbranch_execnz .LBB29_3164
.LBB29_1114:
	s_or_b64 exec, exec, s[6:7]
	s_and_saveexec_b64 s[6:7], s[4:5]
	s_cbranch_execz .LBB29_1116
.LBB29_1115:
	v_bfe_u32 v10, v16, 24, 3
	v_ffbh_u32_e32 v20, v10
	v_min_u32_e32 v20, 32, v20
	v_lshrrev_b32_e32 v14, 27, v16
	v_subrev_u32_e32 v21, 28, v20
	v_and_b32_e32 v11, 0x80000000, v16
	v_and_b32_e32 v14, 15, v14
	v_bfe_u32 v15, v16, 27, 4
	v_lshlrev_b32_sdwa v16, v21, v16 dst_sel:DWORD dst_unused:UNUSED_PAD src0_sel:DWORD src1_sel:BYTE_3
	v_sub_u32_e32 v20, 29, v20
	v_and_b32_e32 v16, 7, v16
	v_cmp_eq_u16_e32 vcc, 0, v14
	v_cndmask_b32_e32 v10, v10, v16, vcc
	v_cndmask_b32_e32 v14, v15, v20, vcc
	v_mov_b32_e32 v15, 0x3b800000
	v_lshlrev_b32_e32 v10, 20, v10
	v_lshl_add_u32 v14, v14, 23, v15
	v_or3_b32 v10, v11, v14, v10
.LBB29_1116:
	s_or_b64 exec, exec, s[6:7]
	s_movk_i32 s4, 0x7f
	v_cmp_gt_i16_sdwa s[6:7], v12, s4 src0_sel:BYTE_3 src1_sel:DWORD
	s_mov_b64 s[4:5], 0
                                        ; implicit-def: $sgpr10
	s_and_saveexec_b64 s[8:9], s[6:7]
	s_xor_b64 s[6:7], exec, s[8:9]
	s_cbranch_execnz .LBB29_3165
; %bb.1117:
	s_or_saveexec_b64 s[6:7], s[6:7]
	v_mov_b32_e32 v11, s10
	s_xor_b64 exec, exec, s[6:7]
	s_cbranch_execnz .LBB29_3168
.LBB29_1118:
	s_or_b64 exec, exec, s[6:7]
	s_and_saveexec_b64 s[6:7], s[4:5]
	s_cbranch_execz .LBB29_1120
.LBB29_1119:
	v_bfe_u32 v11, v12, 24, 3
	v_ffbh_u32_e32 v20, v11
	v_min_u32_e32 v20, 32, v20
	v_lshrrev_b32_e32 v15, 27, v12
	v_subrev_u32_e32 v21, 28, v20
	v_and_b32_e32 v14, 0x80000000, v12
	v_and_b32_e32 v15, 15, v15
	v_bfe_u32 v16, v12, 27, 4
	v_lshlrev_b32_sdwa v12, v21, v12 dst_sel:DWORD dst_unused:UNUSED_PAD src0_sel:DWORD src1_sel:BYTE_3
	v_sub_u32_e32 v20, 29, v20
	v_and_b32_e32 v12, 7, v12
	v_cmp_eq_u16_e32 vcc, 0, v15
	v_cndmask_b32_e32 v11, v11, v12, vcc
	v_cndmask_b32_e32 v12, v16, v20, vcc
	v_mov_b32_e32 v15, 0x3b800000
	v_lshlrev_b32_e32 v11, 20, v11
	v_lshl_add_u32 v12, v12, 23, v15
	v_or3_b32 v11, v14, v12, v11
.LBB29_1120:
	s_or_b64 exec, exec, s[6:7]
	s_nop 0
	v_mfma_f32_16x16x4f32 a[0:3], v10, v11, a[0:3]
	s_movk_i32 s4, 0x7f
	v_cmp_gt_i16_sdwa s[6:7], v17, s4 src0_sel:BYTE_0 src1_sel:DWORD
	s_mov_b64 s[4:5], 0
                                        ; implicit-def: $sgpr10
	s_and_saveexec_b64 s[8:9], s[6:7]
	s_xor_b64 s[6:7], exec, s[8:9]
	s_cbranch_execnz .LBB29_3169
; %bb.1121:
	s_or_saveexec_b64 s[6:7], s[6:7]
	v_mov_b32_e32 v10, s10
	s_xor_b64 exec, exec, s[6:7]
	s_cbranch_execnz .LBB29_3172
.LBB29_1122:
	s_or_b64 exec, exec, s[6:7]
	s_and_saveexec_b64 s[6:7], s[4:5]
	s_cbranch_execz .LBB29_1124
.LBB29_1123:
	v_and_b32_e32 v10, 7, v17
	v_ffbh_u32_e32 v12, v10
	v_min_u32_e32 v12, 32, v12
	v_lshrrev_b16_e32 v11, 3, v17
	v_subrev_u32_e32 v14, 28, v12
	v_and_b32_e32 v11, 15, v11
	v_lshlrev_b32_e32 v14, v14, v17
	v_sub_u32_e32 v12, 29, v12
	v_and_b32_e32 v14, 7, v14
	v_cmp_eq_u16_e32 vcc, 0, v11
	v_cndmask_b32_e32 v10, v10, v14, vcc
	v_cndmask_b32_e32 v11, v11, v12, vcc
	v_lshlrev_b32_e32 v12, 24, v17
	v_mov_b32_e32 v14, 0x3b800000
	v_lshlrev_b32_e32 v10, 20, v10
	v_and_b32_e32 v12, 0x80000000, v12
	v_lshl_add_u32 v11, v11, 23, v14
	v_or3_b32 v10, v12, v11, v10
.LBB29_1124:
	s_or_b64 exec, exec, s[6:7]
	s_movk_i32 s4, 0x7f
	v_cmp_gt_i16_sdwa s[6:7], v13, s4 src0_sel:BYTE_0 src1_sel:DWORD
	s_mov_b64 s[4:5], 0
                                        ; implicit-def: $sgpr10
	s_and_saveexec_b64 s[8:9], s[6:7]
	s_xor_b64 s[6:7], exec, s[8:9]
	s_cbranch_execnz .LBB29_3173
; %bb.1125:
	s_or_saveexec_b64 s[6:7], s[6:7]
	v_mov_b32_e32 v11, s10
	s_xor_b64 exec, exec, s[6:7]
	s_cbranch_execnz .LBB29_3176
.LBB29_1126:
	s_or_b64 exec, exec, s[6:7]
	s_and_saveexec_b64 s[6:7], s[4:5]
	s_cbranch_execz .LBB29_1128
.LBB29_1127:
	v_and_b32_e32 v11, 7, v13
	v_ffbh_u32_e32 v14, v11
	v_min_u32_e32 v14, 32, v14
	v_lshrrev_b16_e32 v12, 3, v13
	v_subrev_u32_e32 v15, 28, v14
	v_and_b32_e32 v12, 15, v12
	v_lshlrev_b32_e32 v15, v15, v13
	v_sub_u32_e32 v14, 29, v14
	v_and_b32_e32 v15, 7, v15
	v_cmp_eq_u16_e32 vcc, 0, v12
	v_cndmask_b32_e32 v11, v11, v15, vcc
	v_cndmask_b32_e32 v12, v12, v14, vcc
	v_lshlrev_b32_e32 v14, 24, v13
	v_mov_b32_e32 v15, 0x3b800000
	v_lshlrev_b32_e32 v11, 20, v11
	v_and_b32_e32 v14, 0x80000000, v14
	v_lshl_add_u32 v12, v12, 23, v15
	v_or3_b32 v11, v14, v12, v11
.LBB29_1128:
	s_or_b64 exec, exec, s[6:7]
	s_nop 0
	v_mfma_f32_16x16x4f32 a[0:3], v10, v11, a[0:3]
	v_lshrrev_b32_e32 v11, 8, v17
	s_movk_i32 s4, 0x7f
	v_cmp_gt_i16_sdwa s[6:7], v11, s4 src0_sel:BYTE_0 src1_sel:DWORD
	s_mov_b64 s[4:5], 0
                                        ; implicit-def: $sgpr10
	s_and_saveexec_b64 s[8:9], s[6:7]
	s_xor_b64 s[6:7], exec, s[8:9]
	s_cbranch_execnz .LBB29_3177
; %bb.1129:
	s_or_saveexec_b64 s[6:7], s[6:7]
	v_mov_b32_e32 v10, s10
	s_xor_b64 exec, exec, s[6:7]
	s_cbranch_execnz .LBB29_3180
.LBB29_1130:
	s_or_b64 exec, exec, s[6:7]
	s_and_saveexec_b64 s[6:7], s[4:5]
	s_cbranch_execz .LBB29_1132
.LBB29_1131:
	v_bfe_u32 v10, v17, 8, 3
	v_ffbh_u32_e32 v14, v10
	v_min_u32_e32 v14, 32, v14
	v_lshrrev_b16_e32 v12, 3, v11
	v_subrev_u32_e32 v15, 28, v14
	v_and_b32_e32 v12, 15, v12
	v_lshlrev_b32_e32 v11, v15, v11
	v_sub_u32_e32 v14, 29, v14
	v_and_b32_e32 v11, 7, v11
	v_cmp_eq_u16_e32 vcc, 0, v12
	v_cndmask_b32_e32 v10, v10, v11, vcc
	v_cndmask_b32_e32 v11, v12, v14, vcc
	v_lshlrev_b32_e32 v12, 16, v17
	v_mov_b32_e32 v14, 0x3b800000
	v_lshlrev_b32_e32 v10, 20, v10
	v_and_b32_e32 v12, 0x80000000, v12
	v_lshl_add_u32 v11, v11, 23, v14
	v_or3_b32 v10, v12, v11, v10
.LBB29_1132:
	s_or_b64 exec, exec, s[6:7]
	v_lshrrev_b32_e32 v11, 8, v13
	s_movk_i32 s4, 0x7f
	v_cmp_gt_i16_sdwa s[6:7], v11, s4 src0_sel:BYTE_0 src1_sel:DWORD
	s_mov_b64 s[4:5], 0
                                        ; implicit-def: $sgpr10
	s_and_saveexec_b64 s[8:9], s[6:7]
	s_xor_b64 s[6:7], exec, s[8:9]
	s_cbranch_execnz .LBB29_3181
; %bb.1133:
	s_or_saveexec_b64 s[6:7], s[6:7]
	v_mov_b32_e32 v12, s10
	s_xor_b64 exec, exec, s[6:7]
	s_cbranch_execnz .LBB29_3184
.LBB29_1134:
	s_or_b64 exec, exec, s[6:7]
	s_and_saveexec_b64 s[6:7], s[4:5]
	s_cbranch_execz .LBB29_1136
.LBB29_1135:
	v_bfe_u32 v12, v13, 8, 3
	v_ffbh_u32_e32 v15, v12
	v_min_u32_e32 v15, 32, v15
	v_lshrrev_b16_e32 v14, 3, v11
	v_subrev_u32_e32 v16, 28, v15
	v_and_b32_e32 v14, 15, v14
	v_lshlrev_b32_e32 v11, v16, v11
	v_sub_u32_e32 v15, 29, v15
	v_and_b32_e32 v11, 7, v11
	v_cmp_eq_u16_e32 vcc, 0, v14
	v_cndmask_b32_e32 v11, v12, v11, vcc
	v_cndmask_b32_e32 v12, v14, v15, vcc
	v_lshlrev_b32_e32 v14, 16, v13
	v_mov_b32_e32 v15, 0x3b800000
	v_lshlrev_b32_e32 v11, 20, v11
	v_and_b32_e32 v14, 0x80000000, v14
	v_lshl_add_u32 v12, v12, 23, v15
	v_or3_b32 v12, v14, v12, v11
.LBB29_1136:
	s_or_b64 exec, exec, s[6:7]
	s_nop 0
	v_mfma_f32_16x16x4f32 a[0:3], v10, v12, a[0:3]
	s_movk_i32 s4, 0xff
	v_and_b32_sdwa v11, v17, s4 dst_sel:DWORD dst_unused:UNUSED_PAD src0_sel:WORD_1 src1_sel:DWORD
	s_movk_i32 s4, 0x7f
	v_cmp_lt_i16_e32 vcc, s4, v11
	s_mov_b64 s[4:5], 0
                                        ; implicit-def: $sgpr10
	s_and_saveexec_b64 s[6:7], vcc
	s_xor_b64 s[6:7], exec, s[6:7]
	s_cbranch_execnz .LBB29_3185
; %bb.1137:
	s_or_saveexec_b64 s[6:7], s[6:7]
	v_mov_b32_e32 v10, s10
	s_xor_b64 exec, exec, s[6:7]
	s_cbranch_execnz .LBB29_3188
.LBB29_1138:
	s_or_b64 exec, exec, s[6:7]
	s_and_saveexec_b64 s[6:7], s[4:5]
	s_cbranch_execz .LBB29_1140
.LBB29_1139:
	v_bfe_u32 v10, v17, 16, 3
	v_ffbh_u32_e32 v14, v10
	v_min_u32_e32 v14, 32, v14
	v_lshrrev_b32_e32 v11, 19, v17
	v_subrev_u32_e32 v15, 28, v14
	v_and_b32_e32 v11, 15, v11
	v_lshlrev_b32_sdwa v15, v15, v17 dst_sel:DWORD dst_unused:UNUSED_PAD src0_sel:DWORD src1_sel:WORD_1
	v_bfe_u32 v12, v17, 19, 4
	v_sub_u32_e32 v14, 29, v14
	v_and_b32_e32 v15, 7, v15
	v_cmp_eq_u16_e32 vcc, 0, v11
	v_cndmask_b32_e32 v10, v10, v15, vcc
	v_cndmask_b32_e32 v11, v12, v14, vcc
	v_lshlrev_b32_e32 v12, 8, v17
	v_mov_b32_e32 v14, 0x3b800000
	v_lshlrev_b32_e32 v10, 20, v10
	v_and_b32_e32 v12, 0x80000000, v12
	v_lshl_add_u32 v11, v11, 23, v14
	v_or3_b32 v10, v12, v11, v10
.LBB29_1140:
	s_or_b64 exec, exec, s[6:7]
	s_movk_i32 s4, 0xff
	v_and_b32_sdwa v11, v13, s4 dst_sel:DWORD dst_unused:UNUSED_PAD src0_sel:WORD_1 src1_sel:DWORD
	s_movk_i32 s4, 0x7f
	v_cmp_lt_i16_e32 vcc, s4, v11
	s_mov_b64 s[4:5], 0
                                        ; implicit-def: $sgpr10
	s_and_saveexec_b64 s[6:7], vcc
	s_xor_b64 s[6:7], exec, s[6:7]
	s_cbranch_execnz .LBB29_3189
; %bb.1141:
	s_or_saveexec_b64 s[6:7], s[6:7]
	v_mov_b32_e32 v12, s10
	s_xor_b64 exec, exec, s[6:7]
	s_cbranch_execnz .LBB29_3192
.LBB29_1142:
	s_or_b64 exec, exec, s[6:7]
	s_and_saveexec_b64 s[6:7], s[4:5]
	s_cbranch_execz .LBB29_1144
.LBB29_1143:
	v_bfe_u32 v11, v13, 16, 3
	v_ffbh_u32_e32 v15, v11
	v_min_u32_e32 v15, 32, v15
	v_lshrrev_b32_e32 v12, 19, v13
	v_subrev_u32_e32 v16, 28, v15
	v_and_b32_e32 v12, 15, v12
	v_lshlrev_b32_sdwa v16, v16, v13 dst_sel:DWORD dst_unused:UNUSED_PAD src0_sel:DWORD src1_sel:WORD_1
	v_bfe_u32 v14, v13, 19, 4
	v_sub_u32_e32 v15, 29, v15
	v_and_b32_e32 v16, 7, v16
	v_cmp_eq_u16_e32 vcc, 0, v12
	v_cndmask_b32_e32 v11, v11, v16, vcc
	v_cndmask_b32_e32 v12, v14, v15, vcc
	v_lshlrev_b32_e32 v14, 8, v13
	v_mov_b32_e32 v15, 0x3b800000
	v_lshlrev_b32_e32 v11, 20, v11
	v_and_b32_e32 v14, 0x80000000, v14
	v_lshl_add_u32 v12, v12, 23, v15
	v_or3_b32 v12, v14, v12, v11
.LBB29_1144:
	s_or_b64 exec, exec, s[6:7]
	s_nop 0
	v_mfma_f32_16x16x4f32 a[0:3], v10, v12, a[0:3]
	s_movk_i32 s4, 0x7f
	v_cmp_gt_i16_sdwa s[6:7], v17, s4 src0_sel:BYTE_3 src1_sel:DWORD
	s_mov_b64 s[4:5], 0
                                        ; implicit-def: $sgpr10
	s_and_saveexec_b64 s[8:9], s[6:7]
	s_xor_b64 s[6:7], exec, s[8:9]
	s_cbranch_execnz .LBB29_3193
; %bb.1145:
	s_or_saveexec_b64 s[6:7], s[6:7]
	v_mov_b32_e32 v10, s10
	s_xor_b64 exec, exec, s[6:7]
	s_cbranch_execnz .LBB29_3196
.LBB29_1146:
	s_or_b64 exec, exec, s[6:7]
	s_and_saveexec_b64 s[6:7], s[4:5]
	s_cbranch_execz .LBB29_1148
.LBB29_1147:
	v_bfe_u32 v10, v17, 24, 3
	v_ffbh_u32_e32 v15, v10
	v_min_u32_e32 v15, 32, v15
	v_lshrrev_b32_e32 v12, 27, v17
	v_subrev_u32_e32 v16, 28, v15
	v_and_b32_e32 v12, 15, v12
	v_lshlrev_b32_sdwa v16, v16, v17 dst_sel:DWORD dst_unused:UNUSED_PAD src0_sel:DWORD src1_sel:BYTE_3
	v_bfe_u32 v14, v17, 27, 4
	v_sub_u32_e32 v15, 29, v15
	v_and_b32_e32 v16, 7, v16
	v_cmp_eq_u16_e32 vcc, 0, v12
	v_cndmask_b32_e32 v10, v10, v16, vcc
	v_cndmask_b32_e32 v12, v14, v15, vcc
	v_mov_b32_e32 v14, 0x3b800000
	v_and_b32_e32 v11, 0x80000000, v17
	v_lshlrev_b32_e32 v10, 20, v10
	v_lshl_add_u32 v12, v12, 23, v14
	v_or3_b32 v10, v11, v12, v10
.LBB29_1148:
	s_or_b64 exec, exec, s[6:7]
	s_movk_i32 s4, 0x7f
	v_cmp_gt_i16_sdwa s[6:7], v13, s4 src0_sel:BYTE_3 src1_sel:DWORD
	s_mov_b64 s[4:5], 0
                                        ; implicit-def: $sgpr10
	s_and_saveexec_b64 s[8:9], s[6:7]
	s_xor_b64 s[6:7], exec, s[8:9]
	s_cbranch_execnz .LBB29_3197
; %bb.1149:
	s_or_saveexec_b64 s[6:7], s[6:7]
	v_mov_b32_e32 v11, s10
	s_xor_b64 exec, exec, s[6:7]
	s_cbranch_execnz .LBB29_3200
.LBB29_1150:
	s_or_b64 exec, exec, s[6:7]
	s_and_saveexec_b64 s[6:7], s[4:5]
	s_cbranch_execz .LBB29_1152
.LBB29_1151:
	v_bfe_u32 v11, v13, 24, 3
	v_ffbh_u32_e32 v16, v11
	v_min_u32_e32 v16, 32, v16
	v_lshrrev_b32_e32 v14, 27, v13
	v_subrev_u32_e32 v17, 28, v16
	v_and_b32_e32 v12, 0x80000000, v13
	v_and_b32_e32 v14, 15, v14
	v_bfe_u32 v15, v13, 27, 4
	v_lshlrev_b32_sdwa v13, v17, v13 dst_sel:DWORD dst_unused:UNUSED_PAD src0_sel:DWORD src1_sel:BYTE_3
	v_sub_u32_e32 v16, 29, v16
	v_and_b32_e32 v13, 7, v13
	v_cmp_eq_u16_e32 vcc, 0, v14
	v_cndmask_b32_e32 v11, v11, v13, vcc
	v_cndmask_b32_e32 v13, v15, v16, vcc
	v_mov_b32_e32 v14, 0x3b800000
	v_lshlrev_b32_e32 v11, 20, v11
	v_lshl_add_u32 v13, v13, 23, v14
	v_or3_b32 v11, v12, v13, v11
.LBB29_1152:
	s_or_b64 exec, exec, s[6:7]
	s_nop 0
	v_mfma_f32_16x16x4f32 a[0:3], v10, v11, a[0:3]
	s_movk_i32 s4, 0x7f
	v_cmp_gt_i16_sdwa s[6:7], v6, s4 src0_sel:BYTE_0 src1_sel:DWORD
	s_mov_b64 s[4:5], 0
                                        ; implicit-def: $sgpr10
	s_and_saveexec_b64 s[8:9], s[6:7]
	s_xor_b64 s[6:7], exec, s[8:9]
	s_cbranch_execnz .LBB29_3201
; %bb.1153:
	s_or_saveexec_b64 s[6:7], s[6:7]
	v_mov_b32_e32 v10, s10
	s_xor_b64 exec, exec, s[6:7]
	s_cbranch_execnz .LBB29_3204
.LBB29_1154:
	s_or_b64 exec, exec, s[6:7]
	s_and_saveexec_b64 s[6:7], s[4:5]
	s_cbranch_execz .LBB29_1156
.LBB29_1155:
	v_and_b32_e32 v10, 7, v6
	v_ffbh_u32_e32 v12, v10
	v_min_u32_e32 v12, 32, v12
	v_lshrrev_b16_e32 v11, 3, v6
	v_subrev_u32_e32 v13, 28, v12
	v_and_b32_e32 v11, 15, v11
	v_lshlrev_b32_e32 v13, v13, v6
	v_sub_u32_e32 v12, 29, v12
	v_and_b32_e32 v13, 7, v13
	v_cmp_eq_u16_e32 vcc, 0, v11
	v_cndmask_b32_e32 v10, v10, v13, vcc
	v_cndmask_b32_e32 v11, v11, v12, vcc
	v_lshlrev_b32_e32 v12, 24, v6
	v_mov_b32_e32 v13, 0x3b800000
	v_lshlrev_b32_e32 v10, 20, v10
	v_and_b32_e32 v12, 0x80000000, v12
	v_lshl_add_u32 v11, v11, 23, v13
	v_or3_b32 v10, v12, v11, v10
.LBB29_1156:
	s_or_b64 exec, exec, s[6:7]
	s_movk_i32 s4, 0x7f
	v_cmp_gt_i16_sdwa s[6:7], v2, s4 src0_sel:BYTE_0 src1_sel:DWORD
	s_mov_b64 s[4:5], 0
                                        ; implicit-def: $sgpr10
	s_and_saveexec_b64 s[8:9], s[6:7]
	s_xor_b64 s[6:7], exec, s[8:9]
	s_cbranch_execnz .LBB29_3205
; %bb.1157:
	s_or_saveexec_b64 s[6:7], s[6:7]
	v_mov_b32_e32 v11, s10
	s_xor_b64 exec, exec, s[6:7]
	s_cbranch_execnz .LBB29_3208
.LBB29_1158:
	s_or_b64 exec, exec, s[6:7]
	s_and_saveexec_b64 s[6:7], s[4:5]
	s_cbranch_execz .LBB29_1160
.LBB29_1159:
	v_and_b32_e32 v11, 7, v2
	v_ffbh_u32_e32 v13, v11
	v_min_u32_e32 v13, 32, v13
	v_lshrrev_b16_e32 v12, 3, v2
	v_subrev_u32_e32 v14, 28, v13
	v_and_b32_e32 v12, 15, v12
	v_lshlrev_b32_e32 v14, v14, v2
	v_sub_u32_e32 v13, 29, v13
	v_and_b32_e32 v14, 7, v14
	v_cmp_eq_u16_e32 vcc, 0, v12
	v_cndmask_b32_e32 v11, v11, v14, vcc
	v_cndmask_b32_e32 v12, v12, v13, vcc
	v_lshlrev_b32_e32 v13, 24, v2
	v_mov_b32_e32 v14, 0x3b800000
	v_lshlrev_b32_e32 v11, 20, v11
	v_and_b32_e32 v13, 0x80000000, v13
	v_lshl_add_u32 v12, v12, 23, v14
	v_or3_b32 v11, v13, v12, v11
.LBB29_1160:
	s_or_b64 exec, exec, s[6:7]
	s_nop 0
	v_mfma_f32_16x16x4f32 a[0:3], v10, v11, a[0:3]
	v_lshrrev_b32_e32 v11, 8, v6
	s_movk_i32 s4, 0x7f
	v_cmp_gt_i16_sdwa s[6:7], v11, s4 src0_sel:BYTE_0 src1_sel:DWORD
	s_mov_b64 s[4:5], 0
                                        ; implicit-def: $sgpr10
	s_and_saveexec_b64 s[8:9], s[6:7]
	s_xor_b64 s[6:7], exec, s[8:9]
	s_cbranch_execnz .LBB29_3209
; %bb.1161:
	s_or_saveexec_b64 s[6:7], s[6:7]
	v_mov_b32_e32 v10, s10
	s_xor_b64 exec, exec, s[6:7]
	s_cbranch_execnz .LBB29_3212
.LBB29_1162:
	s_or_b64 exec, exec, s[6:7]
	s_and_saveexec_b64 s[6:7], s[4:5]
	s_cbranch_execz .LBB29_1164
.LBB29_1163:
	v_bfe_u32 v10, v6, 8, 3
	v_ffbh_u32_e32 v13, v10
	v_min_u32_e32 v13, 32, v13
	v_lshrrev_b16_e32 v12, 3, v11
	v_subrev_u32_e32 v14, 28, v13
	v_and_b32_e32 v12, 15, v12
	v_lshlrev_b32_e32 v11, v14, v11
	v_sub_u32_e32 v13, 29, v13
	v_and_b32_e32 v11, 7, v11
	v_cmp_eq_u16_e32 vcc, 0, v12
	v_cndmask_b32_e32 v10, v10, v11, vcc
	v_cndmask_b32_e32 v11, v12, v13, vcc
	v_lshlrev_b32_e32 v12, 16, v6
	v_mov_b32_e32 v13, 0x3b800000
	v_lshlrev_b32_e32 v10, 20, v10
	v_and_b32_e32 v12, 0x80000000, v12
	v_lshl_add_u32 v11, v11, 23, v13
	v_or3_b32 v10, v12, v11, v10
.LBB29_1164:
	s_or_b64 exec, exec, s[6:7]
	v_lshrrev_b32_e32 v11, 8, v2
	s_movk_i32 s4, 0x7f
	v_cmp_gt_i16_sdwa s[6:7], v11, s4 src0_sel:BYTE_0 src1_sel:DWORD
	s_mov_b64 s[4:5], 0
                                        ; implicit-def: $sgpr10
	s_and_saveexec_b64 s[8:9], s[6:7]
	s_xor_b64 s[6:7], exec, s[8:9]
	s_cbranch_execnz .LBB29_3213
; %bb.1165:
	s_or_saveexec_b64 s[6:7], s[6:7]
	v_mov_b32_e32 v12, s10
	s_xor_b64 exec, exec, s[6:7]
	s_cbranch_execnz .LBB29_3216
.LBB29_1166:
	s_or_b64 exec, exec, s[6:7]
	s_and_saveexec_b64 s[6:7], s[4:5]
	s_cbranch_execz .LBB29_1168
.LBB29_1167:
	v_bfe_u32 v12, v2, 8, 3
	v_ffbh_u32_e32 v14, v12
	v_min_u32_e32 v14, 32, v14
	v_lshrrev_b16_e32 v13, 3, v11
	v_subrev_u32_e32 v15, 28, v14
	v_and_b32_e32 v13, 15, v13
	v_lshlrev_b32_e32 v11, v15, v11
	v_sub_u32_e32 v14, 29, v14
	v_and_b32_e32 v11, 7, v11
	v_cmp_eq_u16_e32 vcc, 0, v13
	v_cndmask_b32_e32 v11, v12, v11, vcc
	v_cndmask_b32_e32 v12, v13, v14, vcc
	v_lshlrev_b32_e32 v13, 16, v2
	v_mov_b32_e32 v14, 0x3b800000
	v_lshlrev_b32_e32 v11, 20, v11
	v_and_b32_e32 v13, 0x80000000, v13
	v_lshl_add_u32 v12, v12, 23, v14
	v_or3_b32 v12, v13, v12, v11
.LBB29_1168:
	s_or_b64 exec, exec, s[6:7]
	s_nop 0
	v_mfma_f32_16x16x4f32 a[0:3], v10, v12, a[0:3]
	s_movk_i32 s4, 0xff
	v_and_b32_sdwa v11, v6, s4 dst_sel:DWORD dst_unused:UNUSED_PAD src0_sel:WORD_1 src1_sel:DWORD
	s_movk_i32 s4, 0x7f
	v_cmp_lt_i16_e32 vcc, s4, v11
	s_mov_b64 s[4:5], 0
                                        ; implicit-def: $sgpr10
	s_and_saveexec_b64 s[6:7], vcc
	s_xor_b64 s[6:7], exec, s[6:7]
	s_cbranch_execnz .LBB29_3217
; %bb.1169:
	s_or_saveexec_b64 s[6:7], s[6:7]
	v_mov_b32_e32 v10, s10
	s_xor_b64 exec, exec, s[6:7]
	s_cbranch_execnz .LBB29_3220
.LBB29_1170:
	s_or_b64 exec, exec, s[6:7]
	s_and_saveexec_b64 s[6:7], s[4:5]
	s_cbranch_execz .LBB29_1172
.LBB29_1171:
	v_bfe_u32 v10, v6, 16, 3
	v_ffbh_u32_e32 v13, v10
	v_min_u32_e32 v13, 32, v13
	v_lshrrev_b32_e32 v11, 19, v6
	v_subrev_u32_e32 v14, 28, v13
	v_and_b32_e32 v11, 15, v11
	v_lshlrev_b32_sdwa v14, v14, v6 dst_sel:DWORD dst_unused:UNUSED_PAD src0_sel:DWORD src1_sel:WORD_1
	v_bfe_u32 v12, v6, 19, 4
	v_sub_u32_e32 v13, 29, v13
	v_and_b32_e32 v14, 7, v14
	v_cmp_eq_u16_e32 vcc, 0, v11
	v_cndmask_b32_e32 v10, v10, v14, vcc
	v_cndmask_b32_e32 v11, v12, v13, vcc
	v_lshlrev_b32_e32 v12, 8, v6
	v_mov_b32_e32 v13, 0x3b800000
	v_lshlrev_b32_e32 v10, 20, v10
	v_and_b32_e32 v12, 0x80000000, v12
	v_lshl_add_u32 v11, v11, 23, v13
	v_or3_b32 v10, v12, v11, v10
.LBB29_1172:
	s_or_b64 exec, exec, s[6:7]
	s_movk_i32 s4, 0xff
	v_and_b32_sdwa v11, v2, s4 dst_sel:DWORD dst_unused:UNUSED_PAD src0_sel:WORD_1 src1_sel:DWORD
	s_movk_i32 s4, 0x7f
	v_cmp_lt_i16_e32 vcc, s4, v11
	s_mov_b64 s[4:5], 0
                                        ; implicit-def: $sgpr10
	s_and_saveexec_b64 s[6:7], vcc
	s_xor_b64 s[6:7], exec, s[6:7]
	s_cbranch_execnz .LBB29_3221
; %bb.1173:
	s_or_saveexec_b64 s[6:7], s[6:7]
	v_mov_b32_e32 v12, s10
	s_xor_b64 exec, exec, s[6:7]
	s_cbranch_execnz .LBB29_3224
.LBB29_1174:
	s_or_b64 exec, exec, s[6:7]
	s_and_saveexec_b64 s[6:7], s[4:5]
	s_cbranch_execz .LBB29_1176
.LBB29_1175:
	v_bfe_u32 v11, v2, 16, 3
	v_ffbh_u32_e32 v14, v11
	v_min_u32_e32 v14, 32, v14
	v_lshrrev_b32_e32 v12, 19, v2
	v_subrev_u32_e32 v15, 28, v14
	v_and_b32_e32 v12, 15, v12
	v_lshlrev_b32_sdwa v15, v15, v2 dst_sel:DWORD dst_unused:UNUSED_PAD src0_sel:DWORD src1_sel:WORD_1
	v_bfe_u32 v13, v2, 19, 4
	v_sub_u32_e32 v14, 29, v14
	v_and_b32_e32 v15, 7, v15
	v_cmp_eq_u16_e32 vcc, 0, v12
	v_cndmask_b32_e32 v11, v11, v15, vcc
	v_cndmask_b32_e32 v12, v13, v14, vcc
	v_lshlrev_b32_e32 v13, 8, v2
	v_mov_b32_e32 v14, 0x3b800000
	v_lshlrev_b32_e32 v11, 20, v11
	v_and_b32_e32 v13, 0x80000000, v13
	v_lshl_add_u32 v12, v12, 23, v14
	v_or3_b32 v12, v13, v12, v11
.LBB29_1176:
	s_or_b64 exec, exec, s[6:7]
	s_nop 0
	v_mfma_f32_16x16x4f32 a[0:3], v10, v12, a[0:3]
	s_movk_i32 s4, 0x7f
	v_cmp_gt_i16_sdwa s[6:7], v6, s4 src0_sel:BYTE_3 src1_sel:DWORD
	s_mov_b64 s[4:5], 0
                                        ; implicit-def: $sgpr10
	s_and_saveexec_b64 s[8:9], s[6:7]
	s_xor_b64 s[6:7], exec, s[8:9]
	s_cbranch_execnz .LBB29_3225
; %bb.1177:
	s_or_saveexec_b64 s[6:7], s[6:7]
	v_mov_b32_e32 v10, s10
	s_xor_b64 exec, exec, s[6:7]
	s_cbranch_execnz .LBB29_3228
.LBB29_1178:
	s_or_b64 exec, exec, s[6:7]
	s_and_saveexec_b64 s[6:7], s[4:5]
	s_cbranch_execz .LBB29_1180
.LBB29_1179:
	v_bfe_u32 v10, v6, 24, 3
	v_ffbh_u32_e32 v14, v10
	v_min_u32_e32 v14, 32, v14
	v_lshrrev_b32_e32 v12, 27, v6
	v_subrev_u32_e32 v15, 28, v14
	v_and_b32_e32 v11, 0x80000000, v6
	v_and_b32_e32 v12, 15, v12
	v_bfe_u32 v13, v6, 27, 4
	v_lshlrev_b32_sdwa v6, v15, v6 dst_sel:DWORD dst_unused:UNUSED_PAD src0_sel:DWORD src1_sel:BYTE_3
	v_sub_u32_e32 v14, 29, v14
	v_and_b32_e32 v6, 7, v6
	v_cmp_eq_u16_e32 vcc, 0, v12
	v_cndmask_b32_e32 v6, v10, v6, vcc
	v_cndmask_b32_e32 v10, v13, v14, vcc
	v_mov_b32_e32 v12, 0x3b800000
	v_lshlrev_b32_e32 v6, 20, v6
	v_lshl_add_u32 v10, v10, 23, v12
	v_or3_b32 v10, v11, v10, v6
.LBB29_1180:
	s_or_b64 exec, exec, s[6:7]
	s_movk_i32 s4, 0x7f
	v_cmp_gt_i16_sdwa s[6:7], v2, s4 src0_sel:BYTE_3 src1_sel:DWORD
	s_mov_b64 s[4:5], 0
                                        ; implicit-def: $sgpr10
	s_and_saveexec_b64 s[8:9], s[6:7]
	s_xor_b64 s[6:7], exec, s[8:9]
	s_cbranch_execnz .LBB29_3229
; %bb.1181:
	s_or_saveexec_b64 s[6:7], s[6:7]
	v_mov_b32_e32 v6, s10
	s_xor_b64 exec, exec, s[6:7]
	s_cbranch_execnz .LBB29_3232
.LBB29_1182:
	s_or_b64 exec, exec, s[6:7]
	s_and_saveexec_b64 s[6:7], s[4:5]
	s_cbranch_execz .LBB29_1184
.LBB29_1183:
	v_bfe_u32 v6, v2, 24, 3
	v_ffbh_u32_e32 v14, v6
	v_min_u32_e32 v14, 32, v14
	v_lshrrev_b32_e32 v12, 27, v2
	v_subrev_u32_e32 v15, 28, v14
	v_and_b32_e32 v11, 0x80000000, v2
	v_and_b32_e32 v12, 15, v12
	v_bfe_u32 v13, v2, 27, 4
	v_lshlrev_b32_sdwa v2, v15, v2 dst_sel:DWORD dst_unused:UNUSED_PAD src0_sel:DWORD src1_sel:BYTE_3
	v_sub_u32_e32 v14, 29, v14
	v_and_b32_e32 v2, 7, v2
	v_cmp_eq_u16_e32 vcc, 0, v12
	v_cndmask_b32_e32 v2, v6, v2, vcc
	v_cndmask_b32_e32 v6, v13, v14, vcc
	v_mov_b32_e32 v12, 0x3b800000
	v_lshlrev_b32_e32 v2, 20, v2
	v_lshl_add_u32 v6, v6, 23, v12
	v_or3_b32 v6, v11, v6, v2
.LBB29_1184:
	s_or_b64 exec, exec, s[6:7]
	s_nop 0
	v_mfma_f32_16x16x4f32 a[0:3], v10, v6, a[0:3]
	s_movk_i32 s4, 0x7f
	v_cmp_gt_i16_sdwa s[6:7], v7, s4 src0_sel:BYTE_0 src1_sel:DWORD
	s_mov_b64 s[4:5], 0
                                        ; implicit-def: $sgpr10
	s_and_saveexec_b64 s[8:9], s[6:7]
	s_xor_b64 s[6:7], exec, s[8:9]
	s_cbranch_execnz .LBB29_3233
; %bb.1185:
	s_or_saveexec_b64 s[6:7], s[6:7]
	v_mov_b32_e32 v2, s10
	s_xor_b64 exec, exec, s[6:7]
	s_cbranch_execnz .LBB29_3236
.LBB29_1186:
	s_or_b64 exec, exec, s[6:7]
	s_and_saveexec_b64 s[6:7], s[4:5]
	s_cbranch_execz .LBB29_1188
.LBB29_1187:
	v_and_b32_e32 v2, 7, v7
	v_ffbh_u32_e32 v10, v2
	v_min_u32_e32 v10, 32, v10
	v_lshrrev_b16_e32 v6, 3, v7
	v_subrev_u32_e32 v11, 28, v10
	v_and_b32_e32 v6, 15, v6
	v_lshlrev_b32_e32 v11, v11, v7
	v_sub_u32_e32 v10, 29, v10
	v_and_b32_e32 v11, 7, v11
	v_cmp_eq_u16_e32 vcc, 0, v6
	v_cndmask_b32_e32 v2, v2, v11, vcc
	v_cndmask_b32_e32 v6, v6, v10, vcc
	v_lshlrev_b32_e32 v10, 24, v7
	v_mov_b32_e32 v11, 0x3b800000
	v_lshlrev_b32_e32 v2, 20, v2
	v_and_b32_e32 v10, 0x80000000, v10
	v_lshl_add_u32 v6, v6, 23, v11
	v_or3_b32 v2, v10, v6, v2
.LBB29_1188:
	s_or_b64 exec, exec, s[6:7]
	s_movk_i32 s4, 0x7f
	v_cmp_gt_i16_sdwa s[6:7], v3, s4 src0_sel:BYTE_0 src1_sel:DWORD
	s_mov_b64 s[4:5], 0
                                        ; implicit-def: $sgpr10
	s_and_saveexec_b64 s[8:9], s[6:7]
	s_xor_b64 s[6:7], exec, s[8:9]
	s_cbranch_execnz .LBB29_3237
; %bb.1189:
	s_or_saveexec_b64 s[6:7], s[6:7]
	v_mov_b32_e32 v6, s10
	s_xor_b64 exec, exec, s[6:7]
	s_cbranch_execnz .LBB29_3240
.LBB29_1190:
	s_or_b64 exec, exec, s[6:7]
	s_and_saveexec_b64 s[6:7], s[4:5]
	s_cbranch_execz .LBB29_1192
.LBB29_1191:
	v_and_b32_e32 v6, 7, v3
	v_ffbh_u32_e32 v11, v6
	v_min_u32_e32 v11, 32, v11
	v_lshrrev_b16_e32 v10, 3, v3
	v_subrev_u32_e32 v12, 28, v11
	v_and_b32_e32 v10, 15, v10
	v_lshlrev_b32_e32 v12, v12, v3
	v_sub_u32_e32 v11, 29, v11
	v_and_b32_e32 v12, 7, v12
	v_cmp_eq_u16_e32 vcc, 0, v10
	v_cndmask_b32_e32 v6, v6, v12, vcc
	v_cndmask_b32_e32 v10, v10, v11, vcc
	v_lshlrev_b32_e32 v11, 24, v3
	v_mov_b32_e32 v12, 0x3b800000
	v_lshlrev_b32_e32 v6, 20, v6
	v_and_b32_e32 v11, 0x80000000, v11
	v_lshl_add_u32 v10, v10, 23, v12
	v_or3_b32 v6, v11, v10, v6
.LBB29_1192:
	s_or_b64 exec, exec, s[6:7]
	s_nop 0
	v_mfma_f32_16x16x4f32 a[0:3], v2, v6, a[0:3]
	v_lshrrev_b32_e32 v6, 8, v7
	s_movk_i32 s4, 0x7f
	v_cmp_gt_i16_sdwa s[6:7], v6, s4 src0_sel:BYTE_0 src1_sel:DWORD
	s_mov_b64 s[4:5], 0
                                        ; implicit-def: $sgpr10
	s_and_saveexec_b64 s[8:9], s[6:7]
	s_xor_b64 s[6:7], exec, s[8:9]
	s_cbranch_execnz .LBB29_3241
; %bb.1193:
	s_or_saveexec_b64 s[6:7], s[6:7]
	v_mov_b32_e32 v2, s10
	s_xor_b64 exec, exec, s[6:7]
	s_cbranch_execnz .LBB29_3244
.LBB29_1194:
	s_or_b64 exec, exec, s[6:7]
	s_and_saveexec_b64 s[6:7], s[4:5]
	s_cbranch_execz .LBB29_1196
.LBB29_1195:
	v_bfe_u32 v2, v7, 8, 3
	v_ffbh_u32_e32 v11, v2
	v_min_u32_e32 v11, 32, v11
	v_lshrrev_b16_e32 v10, 3, v6
	v_subrev_u32_e32 v12, 28, v11
	v_and_b32_e32 v10, 15, v10
	v_lshlrev_b32_e32 v6, v12, v6
	v_sub_u32_e32 v11, 29, v11
	v_and_b32_e32 v6, 7, v6
	v_cmp_eq_u16_e32 vcc, 0, v10
	v_cndmask_b32_e32 v2, v2, v6, vcc
	v_cndmask_b32_e32 v6, v10, v11, vcc
	v_lshlrev_b32_e32 v10, 16, v7
	v_mov_b32_e32 v11, 0x3b800000
	v_lshlrev_b32_e32 v2, 20, v2
	v_and_b32_e32 v10, 0x80000000, v10
	v_lshl_add_u32 v6, v6, 23, v11
	v_or3_b32 v2, v10, v6, v2
.LBB29_1196:
	s_or_b64 exec, exec, s[6:7]
	v_lshrrev_b32_e32 v6, 8, v3
	s_movk_i32 s4, 0x7f
	v_cmp_gt_i16_sdwa s[6:7], v6, s4 src0_sel:BYTE_0 src1_sel:DWORD
	s_mov_b64 s[4:5], 0
                                        ; implicit-def: $sgpr10
	s_and_saveexec_b64 s[8:9], s[6:7]
	s_xor_b64 s[6:7], exec, s[8:9]
	s_cbranch_execnz .LBB29_3245
; %bb.1197:
	s_or_saveexec_b64 s[6:7], s[6:7]
	v_mov_b32_e32 v10, s10
	s_xor_b64 exec, exec, s[6:7]
	s_cbranch_execnz .LBB29_3248
.LBB29_1198:
	s_or_b64 exec, exec, s[6:7]
	s_and_saveexec_b64 s[6:7], s[4:5]
	s_cbranch_execz .LBB29_1200
.LBB29_1199:
	v_bfe_u32 v10, v3, 8, 3
	v_ffbh_u32_e32 v12, v10
	v_min_u32_e32 v12, 32, v12
	v_lshrrev_b16_e32 v11, 3, v6
	v_subrev_u32_e32 v13, 28, v12
	v_and_b32_e32 v11, 15, v11
	v_lshlrev_b32_e32 v6, v13, v6
	v_sub_u32_e32 v12, 29, v12
	v_and_b32_e32 v6, 7, v6
	v_cmp_eq_u16_e32 vcc, 0, v11
	v_cndmask_b32_e32 v6, v10, v6, vcc
	v_cndmask_b32_e32 v10, v11, v12, vcc
	v_lshlrev_b32_e32 v11, 16, v3
	v_mov_b32_e32 v12, 0x3b800000
	v_lshlrev_b32_e32 v6, 20, v6
	v_and_b32_e32 v11, 0x80000000, v11
	v_lshl_add_u32 v10, v10, 23, v12
	v_or3_b32 v10, v11, v10, v6
.LBB29_1200:
	s_or_b64 exec, exec, s[6:7]
	s_nop 0
	v_mfma_f32_16x16x4f32 a[0:3], v2, v10, a[0:3]
	s_movk_i32 s4, 0xff
	v_and_b32_sdwa v6, v7, s4 dst_sel:DWORD dst_unused:UNUSED_PAD src0_sel:WORD_1 src1_sel:DWORD
	s_movk_i32 s4, 0x7f
	v_cmp_lt_i16_e32 vcc, s4, v6
	s_mov_b64 s[4:5], 0
                                        ; implicit-def: $sgpr10
	s_and_saveexec_b64 s[6:7], vcc
	s_xor_b64 s[6:7], exec, s[6:7]
	s_cbranch_execnz .LBB29_3249
; %bb.1201:
	s_or_saveexec_b64 s[6:7], s[6:7]
	v_mov_b32_e32 v2, s10
	s_xor_b64 exec, exec, s[6:7]
	s_cbranch_execnz .LBB29_3252
.LBB29_1202:
	s_or_b64 exec, exec, s[6:7]
	s_and_saveexec_b64 s[6:7], s[4:5]
	s_cbranch_execz .LBB29_1204
.LBB29_1203:
	v_bfe_u32 v2, v7, 16, 3
	v_ffbh_u32_e32 v11, v2
	v_min_u32_e32 v11, 32, v11
	v_lshrrev_b32_e32 v6, 19, v7
	v_subrev_u32_e32 v12, 28, v11
	v_and_b32_e32 v6, 15, v6
	v_lshlrev_b32_sdwa v12, v12, v7 dst_sel:DWORD dst_unused:UNUSED_PAD src0_sel:DWORD src1_sel:WORD_1
	v_bfe_u32 v10, v7, 19, 4
	v_sub_u32_e32 v11, 29, v11
	v_and_b32_e32 v12, 7, v12
	v_cmp_eq_u16_e32 vcc, 0, v6
	v_cndmask_b32_e32 v2, v2, v12, vcc
	v_cndmask_b32_e32 v6, v10, v11, vcc
	v_lshlrev_b32_e32 v10, 8, v7
	v_mov_b32_e32 v11, 0x3b800000
	v_lshlrev_b32_e32 v2, 20, v2
	v_and_b32_e32 v10, 0x80000000, v10
	v_lshl_add_u32 v6, v6, 23, v11
	v_or3_b32 v2, v10, v6, v2
.LBB29_1204:
	s_or_b64 exec, exec, s[6:7]
	s_movk_i32 s4, 0xff
	v_and_b32_sdwa v6, v3, s4 dst_sel:DWORD dst_unused:UNUSED_PAD src0_sel:WORD_1 src1_sel:DWORD
	s_movk_i32 s4, 0x7f
	v_cmp_lt_i16_e32 vcc, s4, v6
	s_mov_b64 s[4:5], 0
                                        ; implicit-def: $sgpr10
	s_and_saveexec_b64 s[6:7], vcc
	s_xor_b64 s[6:7], exec, s[6:7]
	s_cbranch_execnz .LBB29_3253
; %bb.1205:
	s_or_saveexec_b64 s[6:7], s[6:7]
	v_mov_b32_e32 v10, s10
	s_xor_b64 exec, exec, s[6:7]
	s_cbranch_execnz .LBB29_3256
.LBB29_1206:
	s_or_b64 exec, exec, s[6:7]
	s_and_saveexec_b64 s[6:7], s[4:5]
	s_cbranch_execz .LBB29_1208
.LBB29_1207:
	v_bfe_u32 v6, v3, 16, 3
	v_ffbh_u32_e32 v12, v6
	v_min_u32_e32 v12, 32, v12
	v_lshrrev_b32_e32 v10, 19, v3
	v_subrev_u32_e32 v13, 28, v12
	v_and_b32_e32 v10, 15, v10
	v_lshlrev_b32_sdwa v13, v13, v3 dst_sel:DWORD dst_unused:UNUSED_PAD src0_sel:DWORD src1_sel:WORD_1
	v_bfe_u32 v11, v3, 19, 4
	v_sub_u32_e32 v12, 29, v12
	v_and_b32_e32 v13, 7, v13
	v_cmp_eq_u16_e32 vcc, 0, v10
	v_cndmask_b32_e32 v6, v6, v13, vcc
	v_cndmask_b32_e32 v10, v11, v12, vcc
	v_lshlrev_b32_e32 v11, 8, v3
	v_mov_b32_e32 v12, 0x3b800000
	v_lshlrev_b32_e32 v6, 20, v6
	v_and_b32_e32 v11, 0x80000000, v11
	v_lshl_add_u32 v10, v10, 23, v12
	v_or3_b32 v10, v11, v10, v6
.LBB29_1208:
	s_or_b64 exec, exec, s[6:7]
	s_nop 0
	v_mfma_f32_16x16x4f32 a[0:3], v2, v10, a[0:3]
	s_movk_i32 s4, 0x7f
	v_cmp_gt_i16_sdwa s[6:7], v7, s4 src0_sel:BYTE_3 src1_sel:DWORD
	s_mov_b64 s[4:5], 0
                                        ; implicit-def: $sgpr10
	s_and_saveexec_b64 s[8:9], s[6:7]
	s_xor_b64 s[6:7], exec, s[8:9]
	s_cbranch_execnz .LBB29_3257
; %bb.1209:
	s_or_saveexec_b64 s[6:7], s[6:7]
	v_mov_b32_e32 v2, s10
	s_xor_b64 exec, exec, s[6:7]
	s_cbranch_execnz .LBB29_3260
.LBB29_1210:
	s_or_b64 exec, exec, s[6:7]
	s_and_saveexec_b64 s[6:7], s[4:5]
	s_cbranch_execz .LBB29_1212
.LBB29_1211:
	v_bfe_u32 v2, v7, 24, 3
	v_ffbh_u32_e32 v12, v2
	v_min_u32_e32 v12, 32, v12
	v_lshrrev_b32_e32 v10, 27, v7
	v_subrev_u32_e32 v13, 28, v12
	v_and_b32_e32 v6, 0x80000000, v7
	v_and_b32_e32 v10, 15, v10
	v_bfe_u32 v11, v7, 27, 4
	v_lshlrev_b32_sdwa v7, v13, v7 dst_sel:DWORD dst_unused:UNUSED_PAD src0_sel:DWORD src1_sel:BYTE_3
	v_sub_u32_e32 v12, 29, v12
	v_and_b32_e32 v7, 7, v7
	v_cmp_eq_u16_e32 vcc, 0, v10
	v_cndmask_b32_e32 v2, v2, v7, vcc
	v_cndmask_b32_e32 v7, v11, v12, vcc
	v_mov_b32_e32 v10, 0x3b800000
	v_lshlrev_b32_e32 v2, 20, v2
	v_lshl_add_u32 v7, v7, 23, v10
	v_or3_b32 v2, v6, v7, v2
.LBB29_1212:
	s_or_b64 exec, exec, s[6:7]
	s_movk_i32 s4, 0x7f
	v_cmp_gt_i16_sdwa s[6:7], v3, s4 src0_sel:BYTE_3 src1_sel:DWORD
	s_mov_b64 s[4:5], 0
                                        ; implicit-def: $sgpr10
	s_and_saveexec_b64 s[8:9], s[6:7]
	s_xor_b64 s[6:7], exec, s[8:9]
	s_cbranch_execnz .LBB29_3261
; %bb.1213:
	s_or_saveexec_b64 s[6:7], s[6:7]
	v_mov_b32_e32 v6, s10
	s_xor_b64 exec, exec, s[6:7]
	s_cbranch_execnz .LBB29_3264
.LBB29_1214:
	s_or_b64 exec, exec, s[6:7]
	s_and_saveexec_b64 s[6:7], s[4:5]
	s_cbranch_execz .LBB29_1216
.LBB29_1215:
	v_bfe_u32 v6, v3, 24, 3
	v_ffbh_u32_e32 v12, v6
	v_min_u32_e32 v12, 32, v12
	v_lshrrev_b32_e32 v10, 27, v3
	v_subrev_u32_e32 v13, 28, v12
	v_and_b32_e32 v7, 0x80000000, v3
	v_and_b32_e32 v10, 15, v10
	v_bfe_u32 v11, v3, 27, 4
	v_lshlrev_b32_sdwa v3, v13, v3 dst_sel:DWORD dst_unused:UNUSED_PAD src0_sel:DWORD src1_sel:BYTE_3
	v_sub_u32_e32 v12, 29, v12
	v_and_b32_e32 v3, 7, v3
	v_cmp_eq_u16_e32 vcc, 0, v10
	v_cndmask_b32_e32 v3, v6, v3, vcc
	v_cndmask_b32_e32 v6, v11, v12, vcc
	v_mov_b32_e32 v10, 0x3b800000
	v_lshlrev_b32_e32 v3, 20, v3
	v_lshl_add_u32 v6, v6, 23, v10
	v_or3_b32 v6, v7, v6, v3
.LBB29_1216:
	s_or_b64 exec, exec, s[6:7]
	s_nop 0
	v_mfma_f32_16x16x4f32 a[0:3], v2, v6, a[0:3]
	s_movk_i32 s4, 0x7f
	v_cmp_gt_i16_sdwa s[6:7], v8, s4 src0_sel:BYTE_0 src1_sel:DWORD
	s_mov_b64 s[4:5], 0
                                        ; implicit-def: $sgpr10
	s_and_saveexec_b64 s[8:9], s[6:7]
	s_xor_b64 s[6:7], exec, s[8:9]
	s_cbranch_execnz .LBB29_3265
; %bb.1217:
	s_or_saveexec_b64 s[6:7], s[6:7]
	v_mov_b32_e32 v2, s10
	s_xor_b64 exec, exec, s[6:7]
	s_cbranch_execnz .LBB29_3268
.LBB29_1218:
	s_or_b64 exec, exec, s[6:7]
	s_and_saveexec_b64 s[6:7], s[4:5]
	s_cbranch_execz .LBB29_1220
.LBB29_1219:
	v_and_b32_e32 v2, 7, v8
	v_ffbh_u32_e32 v6, v2
	v_min_u32_e32 v6, 32, v6
	v_lshrrev_b16_e32 v3, 3, v8
	v_subrev_u32_e32 v7, 28, v6
	v_and_b32_e32 v3, 15, v3
	v_lshlrev_b32_e32 v7, v7, v8
	v_sub_u32_e32 v6, 29, v6
	v_and_b32_e32 v7, 7, v7
	v_cmp_eq_u16_e32 vcc, 0, v3
	v_cndmask_b32_e32 v2, v2, v7, vcc
	v_cndmask_b32_e32 v3, v3, v6, vcc
	v_lshlrev_b32_e32 v6, 24, v8
	v_mov_b32_e32 v7, 0x3b800000
	v_lshlrev_b32_e32 v2, 20, v2
	v_and_b32_e32 v6, 0x80000000, v6
	v_lshl_add_u32 v3, v3, 23, v7
	v_or3_b32 v2, v6, v3, v2
.LBB29_1220:
	s_or_b64 exec, exec, s[6:7]
	s_movk_i32 s4, 0x7f
	v_cmp_gt_i16_sdwa s[6:7], v4, s4 src0_sel:BYTE_0 src1_sel:DWORD
	s_mov_b64 s[4:5], 0
                                        ; implicit-def: $sgpr10
	s_and_saveexec_b64 s[8:9], s[6:7]
	s_xor_b64 s[6:7], exec, s[8:9]
	s_cbranch_execnz .LBB29_3269
; %bb.1221:
	s_or_saveexec_b64 s[6:7], s[6:7]
	v_mov_b32_e32 v3, s10
	s_xor_b64 exec, exec, s[6:7]
	s_cbranch_execnz .LBB29_3272
.LBB29_1222:
	s_or_b64 exec, exec, s[6:7]
	s_and_saveexec_b64 s[6:7], s[4:5]
	s_cbranch_execz .LBB29_1224
.LBB29_1223:
	v_and_b32_e32 v3, 7, v4
	v_ffbh_u32_e32 v7, v3
	v_min_u32_e32 v7, 32, v7
	v_lshrrev_b16_e32 v6, 3, v4
	v_subrev_u32_e32 v10, 28, v7
	v_and_b32_e32 v6, 15, v6
	v_lshlrev_b32_e32 v10, v10, v4
	v_sub_u32_e32 v7, 29, v7
	v_and_b32_e32 v10, 7, v10
	v_cmp_eq_u16_e32 vcc, 0, v6
	v_cndmask_b32_e32 v3, v3, v10, vcc
	v_cndmask_b32_e32 v6, v6, v7, vcc
	v_lshlrev_b32_e32 v7, 24, v4
	v_mov_b32_e32 v10, 0x3b800000
	v_lshlrev_b32_e32 v3, 20, v3
	v_and_b32_e32 v7, 0x80000000, v7
	v_lshl_add_u32 v6, v6, 23, v10
	v_or3_b32 v3, v7, v6, v3
.LBB29_1224:
	s_or_b64 exec, exec, s[6:7]
	s_nop 0
	v_mfma_f32_16x16x4f32 a[0:3], v2, v3, a[0:3]
	v_lshrrev_b32_e32 v3, 8, v8
	s_movk_i32 s4, 0x7f
	v_cmp_gt_i16_sdwa s[6:7], v3, s4 src0_sel:BYTE_0 src1_sel:DWORD
	s_mov_b64 s[4:5], 0
                                        ; implicit-def: $sgpr10
	s_and_saveexec_b64 s[8:9], s[6:7]
	s_xor_b64 s[6:7], exec, s[8:9]
	s_cbranch_execnz .LBB29_3273
; %bb.1225:
	s_or_saveexec_b64 s[6:7], s[6:7]
	v_mov_b32_e32 v2, s10
	s_xor_b64 exec, exec, s[6:7]
	s_cbranch_execnz .LBB29_3276
.LBB29_1226:
	s_or_b64 exec, exec, s[6:7]
	s_and_saveexec_b64 s[6:7], s[4:5]
	s_cbranch_execz .LBB29_1228
.LBB29_1227:
	v_bfe_u32 v2, v8, 8, 3
	v_ffbh_u32_e32 v7, v2
	v_min_u32_e32 v7, 32, v7
	v_lshrrev_b16_e32 v6, 3, v3
	v_subrev_u32_e32 v10, 28, v7
	v_and_b32_e32 v6, 15, v6
	v_lshlrev_b32_e32 v3, v10, v3
	v_sub_u32_e32 v7, 29, v7
	v_and_b32_e32 v3, 7, v3
	v_cmp_eq_u16_e32 vcc, 0, v6
	v_cndmask_b32_e32 v2, v2, v3, vcc
	v_cndmask_b32_e32 v3, v6, v7, vcc
	v_lshlrev_b32_e32 v6, 16, v8
	v_mov_b32_e32 v7, 0x3b800000
	v_lshlrev_b32_e32 v2, 20, v2
	v_and_b32_e32 v6, 0x80000000, v6
	v_lshl_add_u32 v3, v3, 23, v7
	v_or3_b32 v2, v6, v3, v2
.LBB29_1228:
	s_or_b64 exec, exec, s[6:7]
	v_lshrrev_b32_e32 v3, 8, v4
	s_movk_i32 s4, 0x7f
	v_cmp_gt_i16_sdwa s[6:7], v3, s4 src0_sel:BYTE_0 src1_sel:DWORD
	s_mov_b64 s[4:5], 0
                                        ; implicit-def: $sgpr10
	s_and_saveexec_b64 s[8:9], s[6:7]
	s_xor_b64 s[6:7], exec, s[8:9]
	s_cbranch_execnz .LBB29_3277
; %bb.1229:
	s_or_saveexec_b64 s[6:7], s[6:7]
	v_mov_b32_e32 v6, s10
	s_xor_b64 exec, exec, s[6:7]
	s_cbranch_execnz .LBB29_3280
.LBB29_1230:
	s_or_b64 exec, exec, s[6:7]
	s_and_saveexec_b64 s[6:7], s[4:5]
	s_cbranch_execz .LBB29_1232
.LBB29_1231:
	v_bfe_u32 v6, v4, 8, 3
	v_ffbh_u32_e32 v10, v6
	v_min_u32_e32 v10, 32, v10
	v_lshrrev_b16_e32 v7, 3, v3
	v_subrev_u32_e32 v11, 28, v10
	v_and_b32_e32 v7, 15, v7
	v_lshlrev_b32_e32 v3, v11, v3
	v_sub_u32_e32 v10, 29, v10
	v_and_b32_e32 v3, 7, v3
	v_cmp_eq_u16_e32 vcc, 0, v7
	v_cndmask_b32_e32 v3, v6, v3, vcc
	v_cndmask_b32_e32 v6, v7, v10, vcc
	v_lshlrev_b32_e32 v7, 16, v4
	v_mov_b32_e32 v10, 0x3b800000
	v_lshlrev_b32_e32 v3, 20, v3
	v_and_b32_e32 v7, 0x80000000, v7
	v_lshl_add_u32 v6, v6, 23, v10
	v_or3_b32 v6, v7, v6, v3
.LBB29_1232:
	s_or_b64 exec, exec, s[6:7]
	s_nop 0
	v_mfma_f32_16x16x4f32 a[0:3], v2, v6, a[0:3]
	s_movk_i32 s4, 0xff
	v_and_b32_sdwa v3, v8, s4 dst_sel:DWORD dst_unused:UNUSED_PAD src0_sel:WORD_1 src1_sel:DWORD
	s_movk_i32 s4, 0x7f
	v_cmp_lt_i16_e32 vcc, s4, v3
	s_mov_b64 s[4:5], 0
                                        ; implicit-def: $sgpr10
	s_and_saveexec_b64 s[6:7], vcc
	s_xor_b64 s[6:7], exec, s[6:7]
	s_cbranch_execnz .LBB29_3281
; %bb.1233:
	s_or_saveexec_b64 s[6:7], s[6:7]
	v_mov_b32_e32 v2, s10
	s_xor_b64 exec, exec, s[6:7]
	s_cbranch_execnz .LBB29_3284
.LBB29_1234:
	s_or_b64 exec, exec, s[6:7]
	s_and_saveexec_b64 s[6:7], s[4:5]
	s_cbranch_execz .LBB29_1236
.LBB29_1235:
	v_bfe_u32 v2, v8, 16, 3
	v_ffbh_u32_e32 v7, v2
	v_min_u32_e32 v7, 32, v7
	v_lshrrev_b32_e32 v3, 19, v8
	v_subrev_u32_e32 v10, 28, v7
	v_and_b32_e32 v3, 15, v3
	v_lshlrev_b32_sdwa v10, v10, v8 dst_sel:DWORD dst_unused:UNUSED_PAD src0_sel:DWORD src1_sel:WORD_1
	v_bfe_u32 v6, v8, 19, 4
	v_sub_u32_e32 v7, 29, v7
	v_and_b32_e32 v10, 7, v10
	v_cmp_eq_u16_e32 vcc, 0, v3
	v_cndmask_b32_e32 v2, v2, v10, vcc
	v_cndmask_b32_e32 v3, v6, v7, vcc
	v_lshlrev_b32_e32 v6, 8, v8
	v_mov_b32_e32 v7, 0x3b800000
	v_lshlrev_b32_e32 v2, 20, v2
	v_and_b32_e32 v6, 0x80000000, v6
	v_lshl_add_u32 v3, v3, 23, v7
	v_or3_b32 v2, v6, v3, v2
.LBB29_1236:
	s_or_b64 exec, exec, s[6:7]
	s_movk_i32 s4, 0xff
	v_and_b32_sdwa v3, v4, s4 dst_sel:DWORD dst_unused:UNUSED_PAD src0_sel:WORD_1 src1_sel:DWORD
	s_movk_i32 s4, 0x7f
	v_cmp_lt_i16_e32 vcc, s4, v3
	s_mov_b64 s[4:5], 0
                                        ; implicit-def: $sgpr10
	s_and_saveexec_b64 s[6:7], vcc
	s_xor_b64 s[6:7], exec, s[6:7]
	s_cbranch_execnz .LBB29_3285
; %bb.1237:
	s_or_saveexec_b64 s[6:7], s[6:7]
	v_mov_b32_e32 v6, s10
	s_xor_b64 exec, exec, s[6:7]
	s_cbranch_execnz .LBB29_3288
.LBB29_1238:
	s_or_b64 exec, exec, s[6:7]
	s_and_saveexec_b64 s[6:7], s[4:5]
	s_cbranch_execz .LBB29_1240
.LBB29_1239:
	v_bfe_u32 v3, v4, 16, 3
	v_ffbh_u32_e32 v10, v3
	v_min_u32_e32 v10, 32, v10
	v_lshrrev_b32_e32 v6, 19, v4
	v_subrev_u32_e32 v11, 28, v10
	v_and_b32_e32 v6, 15, v6
	v_lshlrev_b32_sdwa v11, v11, v4 dst_sel:DWORD dst_unused:UNUSED_PAD src0_sel:DWORD src1_sel:WORD_1
	v_bfe_u32 v7, v4, 19, 4
	v_sub_u32_e32 v10, 29, v10
	v_and_b32_e32 v11, 7, v11
	v_cmp_eq_u16_e32 vcc, 0, v6
	v_cndmask_b32_e32 v3, v3, v11, vcc
	v_cndmask_b32_e32 v6, v7, v10, vcc
	v_lshlrev_b32_e32 v7, 8, v4
	v_mov_b32_e32 v10, 0x3b800000
	v_lshlrev_b32_e32 v3, 20, v3
	v_and_b32_e32 v7, 0x80000000, v7
	v_lshl_add_u32 v6, v6, 23, v10
	v_or3_b32 v6, v7, v6, v3
.LBB29_1240:
	s_or_b64 exec, exec, s[6:7]
	s_nop 0
	v_mfma_f32_16x16x4f32 a[0:3], v2, v6, a[0:3]
	s_movk_i32 s4, 0x7f
	v_cmp_gt_i16_sdwa s[6:7], v8, s4 src0_sel:BYTE_3 src1_sel:DWORD
	s_mov_b64 s[4:5], 0
                                        ; implicit-def: $sgpr10
	s_and_saveexec_b64 s[8:9], s[6:7]
	s_xor_b64 s[6:7], exec, s[8:9]
	s_cbranch_execnz .LBB29_3289
; %bb.1241:
	s_or_saveexec_b64 s[6:7], s[6:7]
	v_mov_b32_e32 v2, s10
	s_xor_b64 exec, exec, s[6:7]
	s_cbranch_execnz .LBB29_3292
.LBB29_1242:
	s_or_b64 exec, exec, s[6:7]
	s_and_saveexec_b64 s[6:7], s[4:5]
	s_cbranch_execz .LBB29_1244
.LBB29_1243:
	v_bfe_u32 v2, v8, 24, 3
	v_ffbh_u32_e32 v10, v2
	v_min_u32_e32 v10, 32, v10
	v_lshrrev_b32_e32 v6, 27, v8
	v_subrev_u32_e32 v11, 28, v10
	v_and_b32_e32 v3, 0x80000000, v8
	v_and_b32_e32 v6, 15, v6
	v_bfe_u32 v7, v8, 27, 4
	v_lshlrev_b32_sdwa v8, v11, v8 dst_sel:DWORD dst_unused:UNUSED_PAD src0_sel:DWORD src1_sel:BYTE_3
	v_sub_u32_e32 v10, 29, v10
	v_and_b32_e32 v8, 7, v8
	v_cmp_eq_u16_e32 vcc, 0, v6
	v_cndmask_b32_e32 v2, v2, v8, vcc
	v_cndmask_b32_e32 v6, v7, v10, vcc
	v_mov_b32_e32 v7, 0x3b800000
	v_lshlrev_b32_e32 v2, 20, v2
	v_lshl_add_u32 v6, v6, 23, v7
	v_or3_b32 v2, v3, v6, v2
.LBB29_1244:
	s_or_b64 exec, exec, s[6:7]
	s_movk_i32 s4, 0x7f
	v_cmp_gt_i16_sdwa s[6:7], v4, s4 src0_sel:BYTE_3 src1_sel:DWORD
	s_mov_b64 s[4:5], 0
                                        ; implicit-def: $sgpr10
	s_and_saveexec_b64 s[8:9], s[6:7]
	s_xor_b64 s[6:7], exec, s[8:9]
	s_cbranch_execnz .LBB29_3293
; %bb.1245:
	s_or_saveexec_b64 s[6:7], s[6:7]
	v_mov_b32_e32 v3, s10
	s_xor_b64 exec, exec, s[6:7]
	s_cbranch_execnz .LBB29_3296
.LBB29_1246:
	s_or_b64 exec, exec, s[6:7]
	s_and_saveexec_b64 s[6:7], s[4:5]
	s_cbranch_execz .LBB29_1248
.LBB29_1247:
	v_bfe_u32 v3, v4, 24, 3
	v_ffbh_u32_e32 v10, v3
	v_min_u32_e32 v10, 32, v10
	v_lshrrev_b32_e32 v7, 27, v4
	v_subrev_u32_e32 v11, 28, v10
	v_and_b32_e32 v6, 0x80000000, v4
	v_and_b32_e32 v7, 15, v7
	v_bfe_u32 v8, v4, 27, 4
	v_lshlrev_b32_sdwa v4, v11, v4 dst_sel:DWORD dst_unused:UNUSED_PAD src0_sel:DWORD src1_sel:BYTE_3
	v_sub_u32_e32 v10, 29, v10
	v_and_b32_e32 v4, 7, v4
	v_cmp_eq_u16_e32 vcc, 0, v7
	v_cndmask_b32_e32 v3, v3, v4, vcc
	v_cndmask_b32_e32 v4, v8, v10, vcc
	v_mov_b32_e32 v7, 0x3b800000
	v_lshlrev_b32_e32 v3, 20, v3
	v_lshl_add_u32 v4, v4, 23, v7
	v_or3_b32 v3, v6, v4, v3
.LBB29_1248:
	s_or_b64 exec, exec, s[6:7]
	s_nop 0
	v_mfma_f32_16x16x4f32 a[0:3], v2, v3, a[0:3]
	s_movk_i32 s4, 0x7f
	v_cmp_gt_i16_sdwa s[6:7], v9, s4 src0_sel:BYTE_0 src1_sel:DWORD
	s_mov_b64 s[4:5], 0
                                        ; implicit-def: $sgpr10
	s_and_saveexec_b64 s[8:9], s[6:7]
	s_xor_b64 s[6:7], exec, s[8:9]
	s_cbranch_execnz .LBB29_3297
; %bb.1249:
	s_or_saveexec_b64 s[6:7], s[6:7]
	v_mov_b32_e32 v2, s10
	s_xor_b64 exec, exec, s[6:7]
	s_cbranch_execnz .LBB29_3300
.LBB29_1250:
	s_or_b64 exec, exec, s[6:7]
	s_and_saveexec_b64 s[6:7], s[4:5]
	s_cbranch_execz .LBB29_1252
.LBB29_1251:
	v_mov_b32_e32 v2, 8
	v_and_b32_e32 v3, 7, v9
	v_lshrrev_b32_sdwa v2, v2, v9 dst_sel:BYTE_1 dst_unused:UNUSED_PAD src0_sel:DWORD src1_sel:DWORD
	v_ffbh_u32_e32 v4, v3
	v_or_b32_sdwa v2, v9, v2 dst_sel:DWORD dst_unused:UNUSED_PAD src0_sel:BYTE_0 src1_sel:DWORD
	v_min_u32_e32 v4, 32, v4
	v_lshrrev_b16_e32 v2, 3, v2
	v_subrev_u32_e32 v6, 28, v4
	v_and_b32_e32 v2, 15, v2
	v_lshlrev_b32_e32 v6, v6, v9
	v_sub_u32_e32 v4, 29, v4
	v_and_b32_e32 v6, 7, v6
	v_cmp_eq_u16_e32 vcc, 0, v2
	v_cndmask_b32_e32 v3, v3, v6, vcc
	v_cndmask_b32_e32 v2, v2, v4, vcc
	v_lshlrev_b32_e32 v4, 24, v9
	v_mov_b32_e32 v6, 0x3b800000
	v_lshlrev_b32_e32 v3, 20, v3
	v_and_b32_e32 v4, 0x80000000, v4
	v_lshl_add_u32 v2, v2, 23, v6
	v_or3_b32 v2, v4, v2, v3
.LBB29_1252:
	s_or_b64 exec, exec, s[6:7]
	s_movk_i32 s4, 0x7f
	v_cmp_gt_i16_sdwa s[6:7], v5, s4 src0_sel:BYTE_0 src1_sel:DWORD
	s_mov_b64 s[4:5], 0
                                        ; implicit-def: $sgpr10
	s_and_saveexec_b64 s[8:9], s[6:7]
	s_xor_b64 s[6:7], exec, s[8:9]
	s_cbranch_execnz .LBB29_3301
; %bb.1253:
	s_or_saveexec_b64 s[6:7], s[6:7]
	v_mov_b32_e32 v3, s10
	s_xor_b64 exec, exec, s[6:7]
	s_cbranch_execnz .LBB29_3304
.LBB29_1254:
	s_or_b64 exec, exec, s[6:7]
	s_and_saveexec_b64 s[6:7], s[4:5]
	s_cbranch_execz .LBB29_1256
.LBB29_1255:
	v_mov_b32_e32 v3, 8
	v_and_b32_e32 v4, 7, v5
	v_lshrrev_b32_sdwa v3, v3, v5 dst_sel:BYTE_1 dst_unused:UNUSED_PAD src0_sel:DWORD src1_sel:DWORD
	v_ffbh_u32_e32 v6, v4
	v_or_b32_sdwa v3, v5, v3 dst_sel:DWORD dst_unused:UNUSED_PAD src0_sel:BYTE_0 src1_sel:DWORD
	v_min_u32_e32 v6, 32, v6
	v_lshrrev_b16_e32 v3, 3, v3
	v_subrev_u32_e32 v7, 28, v6
	v_and_b32_e32 v3, 15, v3
	v_lshlrev_b32_e32 v7, v7, v5
	v_sub_u32_e32 v6, 29, v6
	v_and_b32_e32 v7, 7, v7
	v_cmp_eq_u16_e32 vcc, 0, v3
	v_cndmask_b32_e32 v4, v4, v7, vcc
	v_cndmask_b32_e32 v3, v3, v6, vcc
	v_lshlrev_b32_e32 v6, 24, v5
	v_mov_b32_e32 v7, 0x3b800000
	v_lshlrev_b32_e32 v4, 20, v4
	v_and_b32_e32 v6, 0x80000000, v6
	v_lshl_add_u32 v3, v3, 23, v7
	v_or3_b32 v3, v6, v3, v4
.LBB29_1256:
	s_or_b64 exec, exec, s[6:7]
	s_nop 0
	v_mfma_f32_16x16x4f32 a[0:3], v2, v3, a[0:3]
	v_lshrrev_b32_e32 v3, 8, v9
	s_movk_i32 s4, 0x7f
	v_cmp_gt_i16_sdwa s[6:7], v3, s4 src0_sel:BYTE_0 src1_sel:DWORD
	s_mov_b64 s[4:5], 0
                                        ; implicit-def: $sgpr10
	s_and_saveexec_b64 s[8:9], s[6:7]
	s_xor_b64 s[6:7], exec, s[8:9]
	s_cbranch_execnz .LBB29_3305
; %bb.1257:
	s_or_saveexec_b64 s[6:7], s[6:7]
	v_mov_b32_e32 v2, s10
	s_xor_b64 exec, exec, s[6:7]
	s_cbranch_execnz .LBB29_3308
.LBB29_1258:
	s_or_b64 exec, exec, s[6:7]
	s_and_saveexec_b64 s[6:7], s[4:5]
	s_cbranch_execz .LBB29_1260
.LBB29_1259:
	v_bfe_u32 v2, v9, 8, 3
	v_ffbh_u32_e32 v6, v2
	v_min_u32_e32 v6, 32, v6
	v_lshrrev_b16_e32 v4, 3, v3
	v_subrev_u32_e32 v7, 28, v6
	v_and_b32_e32 v4, 15, v4
	v_lshlrev_b32_e32 v3, v7, v3
	v_sub_u32_e32 v6, 29, v6
	v_and_b32_e32 v3, 7, v3
	v_cmp_eq_u16_e32 vcc, 0, v4
	v_cndmask_b32_e32 v2, v2, v3, vcc
	v_cndmask_b32_e32 v3, v4, v6, vcc
	v_lshlrev_b32_e32 v4, 16, v9
	v_mov_b32_e32 v6, 0x3b800000
	v_lshlrev_b32_e32 v2, 20, v2
	v_and_b32_e32 v4, 0x80000000, v4
	v_lshl_add_u32 v3, v3, 23, v6
	v_or3_b32 v2, v4, v3, v2
.LBB29_1260:
	s_or_b64 exec, exec, s[6:7]
	v_lshrrev_b32_e32 v3, 8, v5
	s_movk_i32 s4, 0x7f
	v_cmp_gt_i16_sdwa s[6:7], v3, s4 src0_sel:BYTE_0 src1_sel:DWORD
	s_mov_b64 s[4:5], 0
                                        ; implicit-def: $sgpr10
	s_and_saveexec_b64 s[8:9], s[6:7]
	s_xor_b64 s[6:7], exec, s[8:9]
	s_cbranch_execnz .LBB29_3309
; %bb.1261:
	s_or_saveexec_b64 s[6:7], s[6:7]
	v_mov_b32_e32 v4, s10
	s_xor_b64 exec, exec, s[6:7]
	s_cbranch_execnz .LBB29_3312
.LBB29_1262:
	s_or_b64 exec, exec, s[6:7]
	s_and_saveexec_b64 s[6:7], s[4:5]
	s_cbranch_execz .LBB29_1264
.LBB29_1263:
	v_bfe_u32 v4, v5, 8, 3
	v_ffbh_u32_e32 v7, v4
	v_min_u32_e32 v7, 32, v7
	v_lshrrev_b16_e32 v6, 3, v3
	v_subrev_u32_e32 v8, 28, v7
	v_and_b32_e32 v6, 15, v6
	v_lshlrev_b32_e32 v3, v8, v3
	v_sub_u32_e32 v7, 29, v7
	v_and_b32_e32 v3, 7, v3
	v_cmp_eq_u16_e32 vcc, 0, v6
	v_cndmask_b32_e32 v3, v4, v3, vcc
	v_cndmask_b32_e32 v4, v6, v7, vcc
	v_lshlrev_b32_e32 v6, 16, v5
	v_mov_b32_e32 v7, 0x3b800000
	v_lshlrev_b32_e32 v3, 20, v3
	v_and_b32_e32 v6, 0x80000000, v6
	v_lshl_add_u32 v4, v4, 23, v7
	v_or3_b32 v4, v6, v4, v3
.LBB29_1264:
	s_or_b64 exec, exec, s[6:7]
	s_nop 0
	v_mfma_f32_16x16x4f32 a[0:3], v2, v4, a[0:3]
	s_movk_i32 s4, 0xff
	v_and_b32_sdwa v3, v9, s4 dst_sel:DWORD dst_unused:UNUSED_PAD src0_sel:WORD_1 src1_sel:DWORD
	s_movk_i32 s4, 0x7f
	v_cmp_lt_i16_e32 vcc, s4, v3
	s_mov_b64 s[4:5], 0
                                        ; implicit-def: $sgpr10
	s_and_saveexec_b64 s[6:7], vcc
	s_xor_b64 s[6:7], exec, s[6:7]
	s_cbranch_execnz .LBB29_3313
; %bb.1265:
	s_or_saveexec_b64 s[6:7], s[6:7]
	v_mov_b32_e32 v2, s10
	s_xor_b64 exec, exec, s[6:7]
	s_cbranch_execnz .LBB29_3316
.LBB29_1266:
	s_or_b64 exec, exec, s[6:7]
	s_and_saveexec_b64 s[6:7], s[4:5]
	s_cbranch_execz .LBB29_1268
.LBB29_1267:
	v_bfe_u32 v2, v9, 16, 3
	v_ffbh_u32_e32 v6, v2
	v_min_u32_e32 v6, 32, v6
	v_lshrrev_b32_e32 v3, 19, v9
	v_subrev_u32_e32 v7, 28, v6
	v_and_b32_e32 v3, 15, v3
	v_lshlrev_b32_sdwa v7, v7, v9 dst_sel:DWORD dst_unused:UNUSED_PAD src0_sel:DWORD src1_sel:WORD_1
	v_bfe_u32 v4, v9, 19, 4
	v_sub_u32_e32 v6, 29, v6
	v_and_b32_e32 v7, 7, v7
	v_cmp_eq_u16_e32 vcc, 0, v3
	v_cndmask_b32_e32 v2, v2, v7, vcc
	v_cndmask_b32_e32 v3, v4, v6, vcc
	v_lshlrev_b32_e32 v4, 8, v9
	v_mov_b32_e32 v6, 0x3b800000
	v_lshlrev_b32_e32 v2, 20, v2
	v_and_b32_e32 v4, 0x80000000, v4
	v_lshl_add_u32 v3, v3, 23, v6
	v_or3_b32 v2, v4, v3, v2
.LBB29_1268:
	s_or_b64 exec, exec, s[6:7]
	s_movk_i32 s4, 0xff
	v_and_b32_sdwa v3, v5, s4 dst_sel:DWORD dst_unused:UNUSED_PAD src0_sel:WORD_1 src1_sel:DWORD
	s_movk_i32 s4, 0x7f
	v_cmp_lt_i16_e32 vcc, s4, v3
	s_mov_b64 s[4:5], 0
                                        ; implicit-def: $sgpr10
	s_and_saveexec_b64 s[6:7], vcc
	s_xor_b64 s[6:7], exec, s[6:7]
	s_cbranch_execnz .LBB29_3317
; %bb.1269:
	s_or_saveexec_b64 s[6:7], s[6:7]
	v_mov_b32_e32 v4, s10
	s_xor_b64 exec, exec, s[6:7]
	s_cbranch_execnz .LBB29_3320
.LBB29_1270:
	s_or_b64 exec, exec, s[6:7]
	s_and_saveexec_b64 s[6:7], s[4:5]
	s_cbranch_execz .LBB29_1272
.LBB29_1271:
	v_bfe_u32 v3, v5, 16, 3
	v_ffbh_u32_e32 v7, v3
	v_min_u32_e32 v7, 32, v7
	v_lshrrev_b32_e32 v4, 19, v5
	v_subrev_u32_e32 v8, 28, v7
	v_and_b32_e32 v4, 15, v4
	v_lshlrev_b32_sdwa v8, v8, v5 dst_sel:DWORD dst_unused:UNUSED_PAD src0_sel:DWORD src1_sel:WORD_1
	v_bfe_u32 v6, v5, 19, 4
	v_sub_u32_e32 v7, 29, v7
	v_and_b32_e32 v8, 7, v8
	v_cmp_eq_u16_e32 vcc, 0, v4
	v_cndmask_b32_e32 v3, v3, v8, vcc
	v_cndmask_b32_e32 v4, v6, v7, vcc
	v_lshlrev_b32_e32 v6, 8, v5
	v_mov_b32_e32 v7, 0x3b800000
	v_lshlrev_b32_e32 v3, 20, v3
	v_and_b32_e32 v6, 0x80000000, v6
	v_lshl_add_u32 v4, v4, 23, v7
	v_or3_b32 v4, v6, v4, v3
.LBB29_1272:
	s_or_b64 exec, exec, s[6:7]
	s_nop 0
	v_mfma_f32_16x16x4f32 a[0:3], v2, v4, a[0:3]
	s_movk_i32 s4, 0x7f
	v_cmp_gt_i16_sdwa s[6:7], v9, s4 src0_sel:BYTE_3 src1_sel:DWORD
	s_mov_b64 s[4:5], 0
                                        ; implicit-def: $sgpr10
	s_and_saveexec_b64 s[8:9], s[6:7]
	s_xor_b64 s[6:7], exec, s[8:9]
	s_cbranch_execnz .LBB29_3321
; %bb.1273:
	s_or_saveexec_b64 s[6:7], s[6:7]
	v_mov_b32_e32 v2, s10
	s_xor_b64 exec, exec, s[6:7]
	s_cbranch_execnz .LBB29_3324
.LBB29_1274:
	s_or_b64 exec, exec, s[6:7]
	s_and_saveexec_b64 s[6:7], s[4:5]
	s_cbranch_execz .LBB29_1276
.LBB29_1275:
	v_bfe_u32 v2, v9, 24, 3
	v_ffbh_u32_e32 v7, v2
	v_min_u32_e32 v7, 32, v7
	v_lshrrev_b32_e32 v4, 27, v9
	v_subrev_u32_e32 v8, 28, v7
	v_and_b32_e32 v4, 15, v4
	v_lshlrev_b32_sdwa v8, v8, v9 dst_sel:DWORD dst_unused:UNUSED_PAD src0_sel:DWORD src1_sel:BYTE_3
	v_bfe_u32 v6, v9, 27, 4
	v_sub_u32_e32 v7, 29, v7
	v_and_b32_e32 v8, 7, v8
	v_cmp_eq_u16_e32 vcc, 0, v4
	v_cndmask_b32_e32 v2, v2, v8, vcc
	v_cndmask_b32_e32 v4, v6, v7, vcc
	v_mov_b32_e32 v6, 0x3b800000
	v_and_b32_e32 v3, 0x80000000, v9
	v_lshlrev_b32_e32 v2, 20, v2
	v_lshl_add_u32 v4, v4, 23, v6
	v_or3_b32 v2, v3, v4, v2
.LBB29_1276:
	s_or_b64 exec, exec, s[6:7]
	s_movk_i32 s4, 0x7f
	v_cmp_gt_i16_sdwa s[6:7], v5, s4 src0_sel:BYTE_3 src1_sel:DWORD
	s_mov_b64 s[4:5], 0
                                        ; implicit-def: $sgpr10
	s_and_saveexec_b64 s[8:9], s[6:7]
	s_xor_b64 s[6:7], exec, s[8:9]
	s_cbranch_execnz .LBB29_3325
; %bb.1277:
	s_or_saveexec_b64 s[6:7], s[6:7]
	v_mov_b32_e32 v3, s10
	s_xor_b64 exec, exec, s[6:7]
	s_cbranch_execnz .LBB29_3328
.LBB29_1278:
	s_or_b64 exec, exec, s[6:7]
	s_and_saveexec_b64 s[6:7], s[4:5]
	s_cbranch_execz .LBB29_1280
.LBB29_1279:
	v_bfe_u32 v3, v5, 24, 3
	v_ffbh_u32_e32 v8, v3
	v_min_u32_e32 v8, 32, v8
	v_lshrrev_b32_e32 v6, 27, v5
	v_subrev_u32_e32 v9, 28, v8
	v_and_b32_e32 v4, 0x80000000, v5
	v_and_b32_e32 v6, 15, v6
	v_bfe_u32 v7, v5, 27, 4
	v_lshlrev_b32_sdwa v5, v9, v5 dst_sel:DWORD dst_unused:UNUSED_PAD src0_sel:DWORD src1_sel:BYTE_3
	v_sub_u32_e32 v8, 29, v8
	v_and_b32_e32 v5, 7, v5
	v_cmp_eq_u16_e32 vcc, 0, v6
	v_cndmask_b32_e32 v3, v3, v5, vcc
	v_cndmask_b32_e32 v5, v7, v8, vcc
	v_mov_b32_e32 v6, 0x3b800000
	v_lshlrev_b32_e32 v3, 20, v3
	v_lshl_add_u32 v5, v5, 23, v6
	v_or3_b32 v3, v4, v5, v3
.LBB29_1280:
	s_or_b64 exec, exec, s[6:7]
	s_nop 0
	v_mfma_f32_16x16x4f32 a[0:3], v2, v3, a[0:3]
	s_movk_i32 s4, 0x7f
                                        ; implicit-def: $sgpr10
	s_nop 7
	s_nop 1
	flat_store_dwordx4 v[18:19], a[0:3] offset:192
	flat_load_dwordx4 v[20:23], v[0:1] offset:16
	s_nop 0
	flat_load_dwordx2 v[18:19], v[0:1] offset:32
	s_waitcnt vmcnt(0) lgkmcnt(0)
	flat_load_dwordx4 v[14:17], v[20:21] offset:32
	flat_load_dwordx4 v[6:9], v[20:21] offset:48
	;; [unrolled: 1-line block ×4, first 2 shown]
	s_waitcnt vmcnt(0) lgkmcnt(0)
	v_cmp_gt_i16_sdwa s[6:7], v14, s4 src0_sel:BYTE_0 src1_sel:DWORD
	s_mov_b64 s[4:5], 0
	s_and_saveexec_b64 s[8:9], s[6:7]
	s_xor_b64 s[6:7], exec, s[8:9]
	s_cbranch_execnz .LBB29_3329
; %bb.1281:
	s_or_saveexec_b64 s[6:7], s[6:7]
	v_mov_b32_e32 v20, s10
	s_xor_b64 exec, exec, s[6:7]
	s_cbranch_execnz .LBB29_3332
.LBB29_1282:
	s_or_b64 exec, exec, s[6:7]
	s_and_saveexec_b64 s[6:7], s[4:5]
	s_cbranch_execz .LBB29_1284
.LBB29_1283:
	v_and_b32_e32 v20, 7, v14
	v_ffbh_u32_e32 v22, v20
	v_min_u32_e32 v22, 32, v22
	v_lshrrev_b16_e32 v21, 3, v14
	v_subrev_u32_e32 v23, 28, v22
	v_and_b32_e32 v21, 15, v21
	v_lshlrev_b32_e32 v23, v23, v14
	v_sub_u32_e32 v22, 29, v22
	v_and_b32_e32 v23, 7, v23
	v_cmp_eq_u16_e32 vcc, 0, v21
	v_cndmask_b32_e32 v20, v20, v23, vcc
	v_cndmask_b32_e32 v21, v21, v22, vcc
	v_lshlrev_b32_e32 v22, 24, v14
	v_mov_b32_e32 v23, 0x3b800000
	v_lshlrev_b32_e32 v20, 20, v20
	v_and_b32_e32 v22, 0x80000000, v22
	v_lshl_add_u32 v21, v21, 23, v23
	v_or3_b32 v20, v22, v21, v20
.LBB29_1284:
	s_or_b64 exec, exec, s[6:7]
	s_movk_i32 s4, 0x7f
	v_cmp_gt_i16_sdwa s[6:7], v10, s4 src0_sel:BYTE_0 src1_sel:DWORD
	s_mov_b64 s[4:5], 0
                                        ; implicit-def: $sgpr10
	s_and_saveexec_b64 s[8:9], s[6:7]
	s_xor_b64 s[6:7], exec, s[8:9]
	s_cbranch_execnz .LBB29_3333
; %bb.1285:
	s_or_saveexec_b64 s[6:7], s[6:7]
	v_mov_b32_e32 v21, s10
	s_xor_b64 exec, exec, s[6:7]
	s_cbranch_execnz .LBB29_3336
.LBB29_1286:
	s_or_b64 exec, exec, s[6:7]
	s_and_saveexec_b64 s[6:7], s[4:5]
	s_cbranch_execz .LBB29_1288
.LBB29_1287:
	v_and_b32_e32 v21, 7, v10
	v_ffbh_u32_e32 v23, v21
	v_min_u32_e32 v23, 32, v23
	v_lshrrev_b16_e32 v22, 3, v10
	v_subrev_u32_e32 v24, 28, v23
	v_and_b32_e32 v22, 15, v22
	v_lshlrev_b32_e32 v24, v24, v10
	v_sub_u32_e32 v23, 29, v23
	v_and_b32_e32 v24, 7, v24
	v_cmp_eq_u16_e32 vcc, 0, v22
	v_cndmask_b32_e32 v21, v21, v24, vcc
	v_cndmask_b32_e32 v22, v22, v23, vcc
	v_lshlrev_b32_e32 v23, 24, v10
	v_mov_b32_e32 v24, 0x3b800000
	v_lshlrev_b32_e32 v21, 20, v21
	v_and_b32_e32 v23, 0x80000000, v23
	v_lshl_add_u32 v22, v22, 23, v24
	v_or3_b32 v21, v23, v22, v21
.LBB29_1288:
	s_or_b64 exec, exec, s[6:7]
	flat_load_dwordx4 a[0:3], v[18:19] offset:208
	s_movk_i32 s4, 0x7f
                                        ; implicit-def: $sgpr10
	s_waitcnt vmcnt(0) lgkmcnt(0)
	v_mfma_f32_16x16x4f32 a[0:3], v20, v21, a[0:3]
	v_lshrrev_b32_e32 v21, 8, v14
	v_cmp_gt_i16_sdwa s[6:7], v21, s4 src0_sel:BYTE_0 src1_sel:DWORD
	s_mov_b64 s[4:5], 0
	s_and_saveexec_b64 s[8:9], s[6:7]
	s_xor_b64 s[6:7], exec, s[8:9]
	s_cbranch_execnz .LBB29_3337
; %bb.1289:
	s_or_saveexec_b64 s[6:7], s[6:7]
	v_mov_b32_e32 v20, s10
	s_xor_b64 exec, exec, s[6:7]
	s_cbranch_execnz .LBB29_3340
.LBB29_1290:
	s_or_b64 exec, exec, s[6:7]
	s_and_saveexec_b64 s[6:7], s[4:5]
	s_cbranch_execz .LBB29_1292
.LBB29_1291:
	v_bfe_u32 v20, v14, 8, 3
	v_ffbh_u32_e32 v23, v20
	v_min_u32_e32 v23, 32, v23
	v_lshrrev_b16_e32 v22, 3, v21
	v_subrev_u32_e32 v24, 28, v23
	v_and_b32_e32 v22, 15, v22
	v_lshlrev_b32_e32 v21, v24, v21
	v_sub_u32_e32 v23, 29, v23
	v_and_b32_e32 v21, 7, v21
	v_cmp_eq_u16_e32 vcc, 0, v22
	v_cndmask_b32_e32 v20, v20, v21, vcc
	v_cndmask_b32_e32 v21, v22, v23, vcc
	v_lshlrev_b32_e32 v22, 16, v14
	v_mov_b32_e32 v23, 0x3b800000
	v_lshlrev_b32_e32 v20, 20, v20
	v_and_b32_e32 v22, 0x80000000, v22
	v_lshl_add_u32 v21, v21, 23, v23
	v_or3_b32 v20, v22, v21, v20
.LBB29_1292:
	s_or_b64 exec, exec, s[6:7]
	v_lshrrev_b32_e32 v21, 8, v10
	s_movk_i32 s4, 0x7f
	v_cmp_gt_i16_sdwa s[6:7], v21, s4 src0_sel:BYTE_0 src1_sel:DWORD
	s_mov_b64 s[4:5], 0
                                        ; implicit-def: $sgpr10
	s_and_saveexec_b64 s[8:9], s[6:7]
	s_xor_b64 s[6:7], exec, s[8:9]
	s_cbranch_execnz .LBB29_3341
; %bb.1293:
	s_or_saveexec_b64 s[6:7], s[6:7]
	v_mov_b32_e32 v22, s10
	s_xor_b64 exec, exec, s[6:7]
	s_cbranch_execnz .LBB29_3344
.LBB29_1294:
	s_or_b64 exec, exec, s[6:7]
	s_and_saveexec_b64 s[6:7], s[4:5]
	s_cbranch_execz .LBB29_1296
.LBB29_1295:
	v_bfe_u32 v22, v10, 8, 3
	v_ffbh_u32_e32 v24, v22
	v_min_u32_e32 v24, 32, v24
	v_lshrrev_b16_e32 v23, 3, v21
	v_subrev_u32_e32 v25, 28, v24
	v_and_b32_e32 v23, 15, v23
	v_lshlrev_b32_e32 v21, v25, v21
	v_sub_u32_e32 v24, 29, v24
	v_and_b32_e32 v21, 7, v21
	v_cmp_eq_u16_e32 vcc, 0, v23
	v_cndmask_b32_e32 v21, v22, v21, vcc
	v_cndmask_b32_e32 v22, v23, v24, vcc
	v_lshlrev_b32_e32 v23, 16, v10
	v_mov_b32_e32 v24, 0x3b800000
	v_lshlrev_b32_e32 v21, 20, v21
	v_and_b32_e32 v23, 0x80000000, v23
	v_lshl_add_u32 v22, v22, 23, v24
	v_or3_b32 v22, v23, v22, v21
.LBB29_1296:
	s_or_b64 exec, exec, s[6:7]
	s_nop 0
	v_mfma_f32_16x16x4f32 a[0:3], v20, v22, a[0:3]
	s_movk_i32 s4, 0xff
	v_and_b32_sdwa v21, v14, s4 dst_sel:DWORD dst_unused:UNUSED_PAD src0_sel:WORD_1 src1_sel:DWORD
	s_movk_i32 s4, 0x7f
	v_cmp_lt_i16_e32 vcc, s4, v21
	s_mov_b64 s[4:5], 0
                                        ; implicit-def: $sgpr10
	s_and_saveexec_b64 s[6:7], vcc
	s_xor_b64 s[6:7], exec, s[6:7]
	s_cbranch_execnz .LBB29_3345
; %bb.1297:
	s_or_saveexec_b64 s[6:7], s[6:7]
	v_mov_b32_e32 v20, s10
	s_xor_b64 exec, exec, s[6:7]
	s_cbranch_execnz .LBB29_3348
.LBB29_1298:
	s_or_b64 exec, exec, s[6:7]
	s_and_saveexec_b64 s[6:7], s[4:5]
	s_cbranch_execz .LBB29_1300
.LBB29_1299:
	v_bfe_u32 v20, v14, 16, 3
	v_ffbh_u32_e32 v23, v20
	v_min_u32_e32 v23, 32, v23
	v_lshrrev_b32_e32 v21, 19, v14
	v_subrev_u32_e32 v24, 28, v23
	v_and_b32_e32 v21, 15, v21
	v_lshlrev_b32_sdwa v24, v24, v14 dst_sel:DWORD dst_unused:UNUSED_PAD src0_sel:DWORD src1_sel:WORD_1
	v_bfe_u32 v22, v14, 19, 4
	v_sub_u32_e32 v23, 29, v23
	v_and_b32_e32 v24, 7, v24
	v_cmp_eq_u16_e32 vcc, 0, v21
	v_cndmask_b32_e32 v20, v20, v24, vcc
	v_cndmask_b32_e32 v21, v22, v23, vcc
	v_lshlrev_b32_e32 v22, 8, v14
	v_mov_b32_e32 v23, 0x3b800000
	v_lshlrev_b32_e32 v20, 20, v20
	v_and_b32_e32 v22, 0x80000000, v22
	v_lshl_add_u32 v21, v21, 23, v23
	v_or3_b32 v20, v22, v21, v20
.LBB29_1300:
	s_or_b64 exec, exec, s[6:7]
	s_movk_i32 s4, 0xff
	v_and_b32_sdwa v21, v10, s4 dst_sel:DWORD dst_unused:UNUSED_PAD src0_sel:WORD_1 src1_sel:DWORD
	s_movk_i32 s4, 0x7f
	v_cmp_lt_i16_e32 vcc, s4, v21
	s_mov_b64 s[4:5], 0
                                        ; implicit-def: $sgpr10
	s_and_saveexec_b64 s[6:7], vcc
	s_xor_b64 s[6:7], exec, s[6:7]
	s_cbranch_execnz .LBB29_3349
; %bb.1301:
	s_or_saveexec_b64 s[6:7], s[6:7]
	v_mov_b32_e32 v22, s10
	s_xor_b64 exec, exec, s[6:7]
	s_cbranch_execnz .LBB29_3352
.LBB29_1302:
	s_or_b64 exec, exec, s[6:7]
	s_and_saveexec_b64 s[6:7], s[4:5]
	s_cbranch_execz .LBB29_1304
.LBB29_1303:
	v_bfe_u32 v21, v10, 16, 3
	v_ffbh_u32_e32 v24, v21
	v_min_u32_e32 v24, 32, v24
	v_lshrrev_b32_e32 v22, 19, v10
	v_subrev_u32_e32 v25, 28, v24
	v_and_b32_e32 v22, 15, v22
	v_lshlrev_b32_sdwa v25, v25, v10 dst_sel:DWORD dst_unused:UNUSED_PAD src0_sel:DWORD src1_sel:WORD_1
	v_bfe_u32 v23, v10, 19, 4
	v_sub_u32_e32 v24, 29, v24
	v_and_b32_e32 v25, 7, v25
	v_cmp_eq_u16_e32 vcc, 0, v22
	v_cndmask_b32_e32 v21, v21, v25, vcc
	v_cndmask_b32_e32 v22, v23, v24, vcc
	v_lshlrev_b32_e32 v23, 8, v10
	v_mov_b32_e32 v24, 0x3b800000
	v_lshlrev_b32_e32 v21, 20, v21
	v_and_b32_e32 v23, 0x80000000, v23
	v_lshl_add_u32 v22, v22, 23, v24
	v_or3_b32 v22, v23, v22, v21
.LBB29_1304:
	s_or_b64 exec, exec, s[6:7]
	s_nop 0
	v_mfma_f32_16x16x4f32 a[0:3], v20, v22, a[0:3]
	s_movk_i32 s4, 0x7f
	v_cmp_gt_i16_sdwa s[6:7], v14, s4 src0_sel:BYTE_3 src1_sel:DWORD
	s_mov_b64 s[4:5], 0
                                        ; implicit-def: $sgpr10
	s_and_saveexec_b64 s[8:9], s[6:7]
	s_xor_b64 s[6:7], exec, s[8:9]
	s_cbranch_execnz .LBB29_3353
; %bb.1305:
	s_or_saveexec_b64 s[6:7], s[6:7]
	v_mov_b32_e32 v20, s10
	s_xor_b64 exec, exec, s[6:7]
	s_cbranch_execnz .LBB29_3356
.LBB29_1306:
	s_or_b64 exec, exec, s[6:7]
	s_and_saveexec_b64 s[6:7], s[4:5]
	s_cbranch_execz .LBB29_1308
.LBB29_1307:
	v_bfe_u32 v20, v14, 24, 3
	v_ffbh_u32_e32 v24, v20
	v_min_u32_e32 v24, 32, v24
	v_lshrrev_b32_e32 v22, 27, v14
	v_subrev_u32_e32 v25, 28, v24
	v_and_b32_e32 v21, 0x80000000, v14
	v_and_b32_e32 v22, 15, v22
	v_bfe_u32 v23, v14, 27, 4
	v_lshlrev_b32_sdwa v14, v25, v14 dst_sel:DWORD dst_unused:UNUSED_PAD src0_sel:DWORD src1_sel:BYTE_3
	v_sub_u32_e32 v24, 29, v24
	v_and_b32_e32 v14, 7, v14
	v_cmp_eq_u16_e32 vcc, 0, v22
	v_cndmask_b32_e32 v14, v20, v14, vcc
	v_cndmask_b32_e32 v20, v23, v24, vcc
	v_mov_b32_e32 v22, 0x3b800000
	v_lshlrev_b32_e32 v14, 20, v14
	v_lshl_add_u32 v20, v20, 23, v22
	v_or3_b32 v20, v21, v20, v14
.LBB29_1308:
	s_or_b64 exec, exec, s[6:7]
	s_movk_i32 s4, 0x7f
	v_cmp_gt_i16_sdwa s[6:7], v10, s4 src0_sel:BYTE_3 src1_sel:DWORD
	s_mov_b64 s[4:5], 0
                                        ; implicit-def: $sgpr10
	s_and_saveexec_b64 s[8:9], s[6:7]
	s_xor_b64 s[6:7], exec, s[8:9]
	s_cbranch_execnz .LBB29_3357
; %bb.1309:
	s_or_saveexec_b64 s[6:7], s[6:7]
	v_mov_b32_e32 v14, s10
	s_xor_b64 exec, exec, s[6:7]
	s_cbranch_execnz .LBB29_3360
.LBB29_1310:
	s_or_b64 exec, exec, s[6:7]
	s_and_saveexec_b64 s[6:7], s[4:5]
	s_cbranch_execz .LBB29_1312
.LBB29_1311:
	v_bfe_u32 v14, v10, 24, 3
	v_ffbh_u32_e32 v24, v14
	v_min_u32_e32 v24, 32, v24
	v_lshrrev_b32_e32 v22, 27, v10
	v_subrev_u32_e32 v25, 28, v24
	v_and_b32_e32 v21, 0x80000000, v10
	v_and_b32_e32 v22, 15, v22
	v_bfe_u32 v23, v10, 27, 4
	v_lshlrev_b32_sdwa v10, v25, v10 dst_sel:DWORD dst_unused:UNUSED_PAD src0_sel:DWORD src1_sel:BYTE_3
	v_sub_u32_e32 v24, 29, v24
	v_and_b32_e32 v10, 7, v10
	v_cmp_eq_u16_e32 vcc, 0, v22
	v_cndmask_b32_e32 v10, v14, v10, vcc
	v_cndmask_b32_e32 v14, v23, v24, vcc
	v_mov_b32_e32 v22, 0x3b800000
	v_lshlrev_b32_e32 v10, 20, v10
	v_lshl_add_u32 v14, v14, 23, v22
	v_or3_b32 v14, v21, v14, v10
.LBB29_1312:
	s_or_b64 exec, exec, s[6:7]
	s_nop 0
	v_mfma_f32_16x16x4f32 a[0:3], v20, v14, a[0:3]
	s_movk_i32 s4, 0x7f
	v_cmp_gt_i16_sdwa s[6:7], v15, s4 src0_sel:BYTE_0 src1_sel:DWORD
	s_mov_b64 s[4:5], 0
                                        ; implicit-def: $sgpr10
	s_and_saveexec_b64 s[8:9], s[6:7]
	s_xor_b64 s[6:7], exec, s[8:9]
	s_cbranch_execnz .LBB29_3361
; %bb.1313:
	s_or_saveexec_b64 s[6:7], s[6:7]
	v_mov_b32_e32 v10, s10
	s_xor_b64 exec, exec, s[6:7]
	s_cbranch_execnz .LBB29_3364
.LBB29_1314:
	s_or_b64 exec, exec, s[6:7]
	s_and_saveexec_b64 s[6:7], s[4:5]
	s_cbranch_execz .LBB29_1316
.LBB29_1315:
	v_and_b32_e32 v10, 7, v15
	v_ffbh_u32_e32 v20, v10
	v_min_u32_e32 v20, 32, v20
	v_lshrrev_b16_e32 v14, 3, v15
	v_subrev_u32_e32 v21, 28, v20
	v_and_b32_e32 v14, 15, v14
	v_lshlrev_b32_e32 v21, v21, v15
	v_sub_u32_e32 v20, 29, v20
	v_and_b32_e32 v21, 7, v21
	v_cmp_eq_u16_e32 vcc, 0, v14
	v_cndmask_b32_e32 v10, v10, v21, vcc
	v_cndmask_b32_e32 v14, v14, v20, vcc
	v_lshlrev_b32_e32 v20, 24, v15
	v_mov_b32_e32 v21, 0x3b800000
	v_lshlrev_b32_e32 v10, 20, v10
	v_and_b32_e32 v20, 0x80000000, v20
	v_lshl_add_u32 v14, v14, 23, v21
	v_or3_b32 v10, v20, v14, v10
.LBB29_1316:
	s_or_b64 exec, exec, s[6:7]
	s_movk_i32 s4, 0x7f
	v_cmp_gt_i16_sdwa s[6:7], v11, s4 src0_sel:BYTE_0 src1_sel:DWORD
	s_mov_b64 s[4:5], 0
                                        ; implicit-def: $sgpr10
	s_and_saveexec_b64 s[8:9], s[6:7]
	s_xor_b64 s[6:7], exec, s[8:9]
	s_cbranch_execnz .LBB29_3365
; %bb.1317:
	s_or_saveexec_b64 s[6:7], s[6:7]
	v_mov_b32_e32 v14, s10
	s_xor_b64 exec, exec, s[6:7]
	s_cbranch_execnz .LBB29_3368
.LBB29_1318:
	s_or_b64 exec, exec, s[6:7]
	s_and_saveexec_b64 s[6:7], s[4:5]
	s_cbranch_execz .LBB29_1320
.LBB29_1319:
	v_and_b32_e32 v14, 7, v11
	v_ffbh_u32_e32 v21, v14
	v_min_u32_e32 v21, 32, v21
	v_lshrrev_b16_e32 v20, 3, v11
	v_subrev_u32_e32 v22, 28, v21
	v_and_b32_e32 v20, 15, v20
	v_lshlrev_b32_e32 v22, v22, v11
	v_sub_u32_e32 v21, 29, v21
	v_and_b32_e32 v22, 7, v22
	v_cmp_eq_u16_e32 vcc, 0, v20
	v_cndmask_b32_e32 v14, v14, v22, vcc
	v_cndmask_b32_e32 v20, v20, v21, vcc
	v_lshlrev_b32_e32 v21, 24, v11
	v_mov_b32_e32 v22, 0x3b800000
	v_lshlrev_b32_e32 v14, 20, v14
	v_and_b32_e32 v21, 0x80000000, v21
	v_lshl_add_u32 v20, v20, 23, v22
	v_or3_b32 v14, v21, v20, v14
.LBB29_1320:
	s_or_b64 exec, exec, s[6:7]
	s_nop 0
	v_mfma_f32_16x16x4f32 a[0:3], v10, v14, a[0:3]
	v_lshrrev_b32_e32 v14, 8, v15
	s_movk_i32 s4, 0x7f
	v_cmp_gt_i16_sdwa s[6:7], v14, s4 src0_sel:BYTE_0 src1_sel:DWORD
	s_mov_b64 s[4:5], 0
                                        ; implicit-def: $sgpr10
	s_and_saveexec_b64 s[8:9], s[6:7]
	s_xor_b64 s[6:7], exec, s[8:9]
	s_cbranch_execnz .LBB29_3369
; %bb.1321:
	s_or_saveexec_b64 s[6:7], s[6:7]
	v_mov_b32_e32 v10, s10
	s_xor_b64 exec, exec, s[6:7]
	s_cbranch_execnz .LBB29_3372
.LBB29_1322:
	s_or_b64 exec, exec, s[6:7]
	s_and_saveexec_b64 s[6:7], s[4:5]
	s_cbranch_execz .LBB29_1324
.LBB29_1323:
	v_bfe_u32 v10, v15, 8, 3
	v_ffbh_u32_e32 v21, v10
	v_min_u32_e32 v21, 32, v21
	v_lshrrev_b16_e32 v20, 3, v14
	v_subrev_u32_e32 v22, 28, v21
	v_and_b32_e32 v20, 15, v20
	v_lshlrev_b32_e32 v14, v22, v14
	v_sub_u32_e32 v21, 29, v21
	v_and_b32_e32 v14, 7, v14
	v_cmp_eq_u16_e32 vcc, 0, v20
	v_cndmask_b32_e32 v10, v10, v14, vcc
	v_cndmask_b32_e32 v14, v20, v21, vcc
	v_lshlrev_b32_e32 v20, 16, v15
	v_mov_b32_e32 v21, 0x3b800000
	v_lshlrev_b32_e32 v10, 20, v10
	v_and_b32_e32 v20, 0x80000000, v20
	v_lshl_add_u32 v14, v14, 23, v21
	v_or3_b32 v10, v20, v14, v10
.LBB29_1324:
	s_or_b64 exec, exec, s[6:7]
	v_lshrrev_b32_e32 v14, 8, v11
	s_movk_i32 s4, 0x7f
	v_cmp_gt_i16_sdwa s[6:7], v14, s4 src0_sel:BYTE_0 src1_sel:DWORD
	s_mov_b64 s[4:5], 0
                                        ; implicit-def: $sgpr10
	s_and_saveexec_b64 s[8:9], s[6:7]
	s_xor_b64 s[6:7], exec, s[8:9]
	s_cbranch_execnz .LBB29_3373
; %bb.1325:
	s_or_saveexec_b64 s[6:7], s[6:7]
	v_mov_b32_e32 v20, s10
	s_xor_b64 exec, exec, s[6:7]
	s_cbranch_execnz .LBB29_3376
.LBB29_1326:
	s_or_b64 exec, exec, s[6:7]
	s_and_saveexec_b64 s[6:7], s[4:5]
	s_cbranch_execz .LBB29_1328
.LBB29_1327:
	v_bfe_u32 v20, v11, 8, 3
	v_ffbh_u32_e32 v22, v20
	v_min_u32_e32 v22, 32, v22
	v_lshrrev_b16_e32 v21, 3, v14
	v_subrev_u32_e32 v23, 28, v22
	v_and_b32_e32 v21, 15, v21
	v_lshlrev_b32_e32 v14, v23, v14
	v_sub_u32_e32 v22, 29, v22
	v_and_b32_e32 v14, 7, v14
	v_cmp_eq_u16_e32 vcc, 0, v21
	v_cndmask_b32_e32 v14, v20, v14, vcc
	v_cndmask_b32_e32 v20, v21, v22, vcc
	v_lshlrev_b32_e32 v21, 16, v11
	v_mov_b32_e32 v22, 0x3b800000
	v_lshlrev_b32_e32 v14, 20, v14
	v_and_b32_e32 v21, 0x80000000, v21
	v_lshl_add_u32 v20, v20, 23, v22
	v_or3_b32 v20, v21, v20, v14
.LBB29_1328:
	s_or_b64 exec, exec, s[6:7]
	s_nop 0
	v_mfma_f32_16x16x4f32 a[0:3], v10, v20, a[0:3]
	s_movk_i32 s4, 0xff
	v_and_b32_sdwa v14, v15, s4 dst_sel:DWORD dst_unused:UNUSED_PAD src0_sel:WORD_1 src1_sel:DWORD
	s_movk_i32 s4, 0x7f
	v_cmp_lt_i16_e32 vcc, s4, v14
	s_mov_b64 s[4:5], 0
                                        ; implicit-def: $sgpr10
	s_and_saveexec_b64 s[6:7], vcc
	s_xor_b64 s[6:7], exec, s[6:7]
	s_cbranch_execnz .LBB29_3377
; %bb.1329:
	s_or_saveexec_b64 s[6:7], s[6:7]
	v_mov_b32_e32 v10, s10
	s_xor_b64 exec, exec, s[6:7]
	s_cbranch_execnz .LBB29_3380
.LBB29_1330:
	s_or_b64 exec, exec, s[6:7]
	s_and_saveexec_b64 s[6:7], s[4:5]
	s_cbranch_execz .LBB29_1332
.LBB29_1331:
	v_bfe_u32 v10, v15, 16, 3
	v_ffbh_u32_e32 v21, v10
	v_min_u32_e32 v21, 32, v21
	v_lshrrev_b32_e32 v14, 19, v15
	v_subrev_u32_e32 v22, 28, v21
	v_and_b32_e32 v14, 15, v14
	v_lshlrev_b32_sdwa v22, v22, v15 dst_sel:DWORD dst_unused:UNUSED_PAD src0_sel:DWORD src1_sel:WORD_1
	v_bfe_u32 v20, v15, 19, 4
	v_sub_u32_e32 v21, 29, v21
	v_and_b32_e32 v22, 7, v22
	v_cmp_eq_u16_e32 vcc, 0, v14
	v_cndmask_b32_e32 v10, v10, v22, vcc
	v_cndmask_b32_e32 v14, v20, v21, vcc
	v_lshlrev_b32_e32 v20, 8, v15
	v_mov_b32_e32 v21, 0x3b800000
	v_lshlrev_b32_e32 v10, 20, v10
	v_and_b32_e32 v20, 0x80000000, v20
	v_lshl_add_u32 v14, v14, 23, v21
	v_or3_b32 v10, v20, v14, v10
.LBB29_1332:
	s_or_b64 exec, exec, s[6:7]
	s_movk_i32 s4, 0xff
	v_and_b32_sdwa v14, v11, s4 dst_sel:DWORD dst_unused:UNUSED_PAD src0_sel:WORD_1 src1_sel:DWORD
	s_movk_i32 s4, 0x7f
	v_cmp_lt_i16_e32 vcc, s4, v14
	s_mov_b64 s[4:5], 0
                                        ; implicit-def: $sgpr10
	s_and_saveexec_b64 s[6:7], vcc
	s_xor_b64 s[6:7], exec, s[6:7]
	s_cbranch_execnz .LBB29_3381
; %bb.1333:
	s_or_saveexec_b64 s[6:7], s[6:7]
	v_mov_b32_e32 v20, s10
	s_xor_b64 exec, exec, s[6:7]
	s_cbranch_execnz .LBB29_3384
.LBB29_1334:
	s_or_b64 exec, exec, s[6:7]
	s_and_saveexec_b64 s[6:7], s[4:5]
	s_cbranch_execz .LBB29_1336
.LBB29_1335:
	v_bfe_u32 v14, v11, 16, 3
	v_ffbh_u32_e32 v22, v14
	v_min_u32_e32 v22, 32, v22
	v_lshrrev_b32_e32 v20, 19, v11
	v_subrev_u32_e32 v23, 28, v22
	v_and_b32_e32 v20, 15, v20
	v_lshlrev_b32_sdwa v23, v23, v11 dst_sel:DWORD dst_unused:UNUSED_PAD src0_sel:DWORD src1_sel:WORD_1
	v_bfe_u32 v21, v11, 19, 4
	v_sub_u32_e32 v22, 29, v22
	v_and_b32_e32 v23, 7, v23
	v_cmp_eq_u16_e32 vcc, 0, v20
	v_cndmask_b32_e32 v14, v14, v23, vcc
	v_cndmask_b32_e32 v20, v21, v22, vcc
	v_lshlrev_b32_e32 v21, 8, v11
	v_mov_b32_e32 v22, 0x3b800000
	v_lshlrev_b32_e32 v14, 20, v14
	v_and_b32_e32 v21, 0x80000000, v21
	v_lshl_add_u32 v20, v20, 23, v22
	v_or3_b32 v20, v21, v20, v14
.LBB29_1336:
	s_or_b64 exec, exec, s[6:7]
	s_nop 0
	v_mfma_f32_16x16x4f32 a[0:3], v10, v20, a[0:3]
	s_movk_i32 s4, 0x7f
	v_cmp_gt_i16_sdwa s[6:7], v15, s4 src0_sel:BYTE_3 src1_sel:DWORD
	s_mov_b64 s[4:5], 0
                                        ; implicit-def: $sgpr10
	s_and_saveexec_b64 s[8:9], s[6:7]
	s_xor_b64 s[6:7], exec, s[8:9]
	s_cbranch_execnz .LBB29_3385
; %bb.1337:
	s_or_saveexec_b64 s[6:7], s[6:7]
	v_mov_b32_e32 v10, s10
	s_xor_b64 exec, exec, s[6:7]
	s_cbranch_execnz .LBB29_3388
.LBB29_1338:
	s_or_b64 exec, exec, s[6:7]
	s_and_saveexec_b64 s[6:7], s[4:5]
	s_cbranch_execz .LBB29_1340
.LBB29_1339:
	v_bfe_u32 v10, v15, 24, 3
	v_ffbh_u32_e32 v22, v10
	v_min_u32_e32 v22, 32, v22
	v_lshrrev_b32_e32 v20, 27, v15
	v_subrev_u32_e32 v23, 28, v22
	v_and_b32_e32 v14, 0x80000000, v15
	v_and_b32_e32 v20, 15, v20
	v_bfe_u32 v21, v15, 27, 4
	v_lshlrev_b32_sdwa v15, v23, v15 dst_sel:DWORD dst_unused:UNUSED_PAD src0_sel:DWORD src1_sel:BYTE_3
	v_sub_u32_e32 v22, 29, v22
	v_and_b32_e32 v15, 7, v15
	v_cmp_eq_u16_e32 vcc, 0, v20
	v_cndmask_b32_e32 v10, v10, v15, vcc
	v_cndmask_b32_e32 v15, v21, v22, vcc
	v_mov_b32_e32 v20, 0x3b800000
	v_lshlrev_b32_e32 v10, 20, v10
	v_lshl_add_u32 v15, v15, 23, v20
	v_or3_b32 v10, v14, v15, v10
.LBB29_1340:
	s_or_b64 exec, exec, s[6:7]
	s_movk_i32 s4, 0x7f
	v_cmp_gt_i16_sdwa s[6:7], v11, s4 src0_sel:BYTE_3 src1_sel:DWORD
	s_mov_b64 s[4:5], 0
                                        ; implicit-def: $sgpr10
	s_and_saveexec_b64 s[8:9], s[6:7]
	s_xor_b64 s[6:7], exec, s[8:9]
	s_cbranch_execnz .LBB29_3389
; %bb.1341:
	s_or_saveexec_b64 s[6:7], s[6:7]
	v_mov_b32_e32 v14, s10
	s_xor_b64 exec, exec, s[6:7]
	s_cbranch_execnz .LBB29_3392
.LBB29_1342:
	s_or_b64 exec, exec, s[6:7]
	s_and_saveexec_b64 s[6:7], s[4:5]
	s_cbranch_execz .LBB29_1344
.LBB29_1343:
	v_bfe_u32 v14, v11, 24, 3
	v_ffbh_u32_e32 v22, v14
	v_min_u32_e32 v22, 32, v22
	v_lshrrev_b32_e32 v20, 27, v11
	v_subrev_u32_e32 v23, 28, v22
	v_and_b32_e32 v15, 0x80000000, v11
	v_and_b32_e32 v20, 15, v20
	v_bfe_u32 v21, v11, 27, 4
	v_lshlrev_b32_sdwa v11, v23, v11 dst_sel:DWORD dst_unused:UNUSED_PAD src0_sel:DWORD src1_sel:BYTE_3
	v_sub_u32_e32 v22, 29, v22
	v_and_b32_e32 v11, 7, v11
	v_cmp_eq_u16_e32 vcc, 0, v20
	v_cndmask_b32_e32 v11, v14, v11, vcc
	v_cndmask_b32_e32 v14, v21, v22, vcc
	v_mov_b32_e32 v20, 0x3b800000
	v_lshlrev_b32_e32 v11, 20, v11
	v_lshl_add_u32 v14, v14, 23, v20
	v_or3_b32 v14, v15, v14, v11
.LBB29_1344:
	s_or_b64 exec, exec, s[6:7]
	s_nop 0
	v_mfma_f32_16x16x4f32 a[0:3], v10, v14, a[0:3]
	s_movk_i32 s4, 0x7f
	v_cmp_gt_i16_sdwa s[6:7], v16, s4 src0_sel:BYTE_0 src1_sel:DWORD
	s_mov_b64 s[4:5], 0
                                        ; implicit-def: $sgpr10
	s_and_saveexec_b64 s[8:9], s[6:7]
	s_xor_b64 s[6:7], exec, s[8:9]
	s_cbranch_execnz .LBB29_3393
; %bb.1345:
	s_or_saveexec_b64 s[6:7], s[6:7]
	v_mov_b32_e32 v10, s10
	s_xor_b64 exec, exec, s[6:7]
	s_cbranch_execnz .LBB29_3396
.LBB29_1346:
	s_or_b64 exec, exec, s[6:7]
	s_and_saveexec_b64 s[6:7], s[4:5]
	s_cbranch_execz .LBB29_1348
.LBB29_1347:
	v_and_b32_e32 v10, 7, v16
	v_ffbh_u32_e32 v14, v10
	v_min_u32_e32 v14, 32, v14
	v_lshrrev_b16_e32 v11, 3, v16
	v_subrev_u32_e32 v15, 28, v14
	v_and_b32_e32 v11, 15, v11
	v_lshlrev_b32_e32 v15, v15, v16
	v_sub_u32_e32 v14, 29, v14
	v_and_b32_e32 v15, 7, v15
	v_cmp_eq_u16_e32 vcc, 0, v11
	v_cndmask_b32_e32 v10, v10, v15, vcc
	v_cndmask_b32_e32 v11, v11, v14, vcc
	v_lshlrev_b32_e32 v14, 24, v16
	v_mov_b32_e32 v15, 0x3b800000
	v_lshlrev_b32_e32 v10, 20, v10
	v_and_b32_e32 v14, 0x80000000, v14
	v_lshl_add_u32 v11, v11, 23, v15
	v_or3_b32 v10, v14, v11, v10
.LBB29_1348:
	s_or_b64 exec, exec, s[6:7]
	s_movk_i32 s4, 0x7f
	v_cmp_gt_i16_sdwa s[6:7], v12, s4 src0_sel:BYTE_0 src1_sel:DWORD
	s_mov_b64 s[4:5], 0
                                        ; implicit-def: $sgpr10
	s_and_saveexec_b64 s[8:9], s[6:7]
	s_xor_b64 s[6:7], exec, s[8:9]
	s_cbranch_execnz .LBB29_3397
; %bb.1349:
	s_or_saveexec_b64 s[6:7], s[6:7]
	v_mov_b32_e32 v11, s10
	s_xor_b64 exec, exec, s[6:7]
	s_cbranch_execnz .LBB29_3400
.LBB29_1350:
	s_or_b64 exec, exec, s[6:7]
	s_and_saveexec_b64 s[6:7], s[4:5]
	s_cbranch_execz .LBB29_1352
.LBB29_1351:
	v_and_b32_e32 v11, 7, v12
	v_ffbh_u32_e32 v15, v11
	v_min_u32_e32 v15, 32, v15
	v_lshrrev_b16_e32 v14, 3, v12
	v_subrev_u32_e32 v20, 28, v15
	v_and_b32_e32 v14, 15, v14
	v_lshlrev_b32_e32 v20, v20, v12
	v_sub_u32_e32 v15, 29, v15
	v_and_b32_e32 v20, 7, v20
	v_cmp_eq_u16_e32 vcc, 0, v14
	v_cndmask_b32_e32 v11, v11, v20, vcc
	v_cndmask_b32_e32 v14, v14, v15, vcc
	v_lshlrev_b32_e32 v15, 24, v12
	v_mov_b32_e32 v20, 0x3b800000
	v_lshlrev_b32_e32 v11, 20, v11
	v_and_b32_e32 v15, 0x80000000, v15
	v_lshl_add_u32 v14, v14, 23, v20
	v_or3_b32 v11, v15, v14, v11
.LBB29_1352:
	s_or_b64 exec, exec, s[6:7]
	s_nop 0
	v_mfma_f32_16x16x4f32 a[0:3], v10, v11, a[0:3]
	v_lshrrev_b32_e32 v11, 8, v16
	s_movk_i32 s4, 0x7f
	v_cmp_gt_i16_sdwa s[6:7], v11, s4 src0_sel:BYTE_0 src1_sel:DWORD
	s_mov_b64 s[4:5], 0
                                        ; implicit-def: $sgpr10
	s_and_saveexec_b64 s[8:9], s[6:7]
	s_xor_b64 s[6:7], exec, s[8:9]
	s_cbranch_execnz .LBB29_3401
; %bb.1353:
	s_or_saveexec_b64 s[6:7], s[6:7]
	v_mov_b32_e32 v10, s10
	s_xor_b64 exec, exec, s[6:7]
	s_cbranch_execnz .LBB29_3404
.LBB29_1354:
	s_or_b64 exec, exec, s[6:7]
	s_and_saveexec_b64 s[6:7], s[4:5]
	s_cbranch_execz .LBB29_1356
.LBB29_1355:
	v_bfe_u32 v10, v16, 8, 3
	v_ffbh_u32_e32 v15, v10
	v_min_u32_e32 v15, 32, v15
	v_lshrrev_b16_e32 v14, 3, v11
	v_subrev_u32_e32 v20, 28, v15
	v_and_b32_e32 v14, 15, v14
	v_lshlrev_b32_e32 v11, v20, v11
	v_sub_u32_e32 v15, 29, v15
	v_and_b32_e32 v11, 7, v11
	v_cmp_eq_u16_e32 vcc, 0, v14
	v_cndmask_b32_e32 v10, v10, v11, vcc
	v_cndmask_b32_e32 v11, v14, v15, vcc
	v_lshlrev_b32_e32 v14, 16, v16
	v_mov_b32_e32 v15, 0x3b800000
	v_lshlrev_b32_e32 v10, 20, v10
	v_and_b32_e32 v14, 0x80000000, v14
	v_lshl_add_u32 v11, v11, 23, v15
	v_or3_b32 v10, v14, v11, v10
.LBB29_1356:
	s_or_b64 exec, exec, s[6:7]
	v_lshrrev_b32_e32 v11, 8, v12
	s_movk_i32 s4, 0x7f
	v_cmp_gt_i16_sdwa s[6:7], v11, s4 src0_sel:BYTE_0 src1_sel:DWORD
	s_mov_b64 s[4:5], 0
                                        ; implicit-def: $sgpr10
	s_and_saveexec_b64 s[8:9], s[6:7]
	s_xor_b64 s[6:7], exec, s[8:9]
	s_cbranch_execnz .LBB29_3405
; %bb.1357:
	s_or_saveexec_b64 s[6:7], s[6:7]
	v_mov_b32_e32 v14, s10
	s_xor_b64 exec, exec, s[6:7]
	s_cbranch_execnz .LBB29_3408
.LBB29_1358:
	s_or_b64 exec, exec, s[6:7]
	s_and_saveexec_b64 s[6:7], s[4:5]
	s_cbranch_execz .LBB29_1360
.LBB29_1359:
	v_bfe_u32 v14, v12, 8, 3
	v_ffbh_u32_e32 v20, v14
	v_min_u32_e32 v20, 32, v20
	v_lshrrev_b16_e32 v15, 3, v11
	v_subrev_u32_e32 v21, 28, v20
	v_and_b32_e32 v15, 15, v15
	v_lshlrev_b32_e32 v11, v21, v11
	v_sub_u32_e32 v20, 29, v20
	v_and_b32_e32 v11, 7, v11
	v_cmp_eq_u16_e32 vcc, 0, v15
	v_cndmask_b32_e32 v11, v14, v11, vcc
	v_cndmask_b32_e32 v14, v15, v20, vcc
	v_lshlrev_b32_e32 v15, 16, v12
	v_mov_b32_e32 v20, 0x3b800000
	v_lshlrev_b32_e32 v11, 20, v11
	v_and_b32_e32 v15, 0x80000000, v15
	v_lshl_add_u32 v14, v14, 23, v20
	v_or3_b32 v14, v15, v14, v11
.LBB29_1360:
	s_or_b64 exec, exec, s[6:7]
	s_nop 0
	v_mfma_f32_16x16x4f32 a[0:3], v10, v14, a[0:3]
	s_movk_i32 s4, 0xff
	v_and_b32_sdwa v11, v16, s4 dst_sel:DWORD dst_unused:UNUSED_PAD src0_sel:WORD_1 src1_sel:DWORD
	s_movk_i32 s4, 0x7f
	v_cmp_lt_i16_e32 vcc, s4, v11
	s_mov_b64 s[4:5], 0
                                        ; implicit-def: $sgpr10
	s_and_saveexec_b64 s[6:7], vcc
	s_xor_b64 s[6:7], exec, s[6:7]
	s_cbranch_execnz .LBB29_3409
; %bb.1361:
	s_or_saveexec_b64 s[6:7], s[6:7]
	v_mov_b32_e32 v10, s10
	s_xor_b64 exec, exec, s[6:7]
	s_cbranch_execnz .LBB29_3412
.LBB29_1362:
	s_or_b64 exec, exec, s[6:7]
	s_and_saveexec_b64 s[6:7], s[4:5]
	s_cbranch_execz .LBB29_1364
.LBB29_1363:
	v_bfe_u32 v10, v16, 16, 3
	v_ffbh_u32_e32 v15, v10
	v_min_u32_e32 v15, 32, v15
	v_lshrrev_b32_e32 v11, 19, v16
	v_subrev_u32_e32 v20, 28, v15
	v_and_b32_e32 v11, 15, v11
	v_lshlrev_b32_sdwa v20, v20, v16 dst_sel:DWORD dst_unused:UNUSED_PAD src0_sel:DWORD src1_sel:WORD_1
	v_bfe_u32 v14, v16, 19, 4
	v_sub_u32_e32 v15, 29, v15
	v_and_b32_e32 v20, 7, v20
	v_cmp_eq_u16_e32 vcc, 0, v11
	v_cndmask_b32_e32 v10, v10, v20, vcc
	v_cndmask_b32_e32 v11, v14, v15, vcc
	v_lshlrev_b32_e32 v14, 8, v16
	v_mov_b32_e32 v15, 0x3b800000
	v_lshlrev_b32_e32 v10, 20, v10
	v_and_b32_e32 v14, 0x80000000, v14
	v_lshl_add_u32 v11, v11, 23, v15
	v_or3_b32 v10, v14, v11, v10
.LBB29_1364:
	s_or_b64 exec, exec, s[6:7]
	s_movk_i32 s4, 0xff
	v_and_b32_sdwa v11, v12, s4 dst_sel:DWORD dst_unused:UNUSED_PAD src0_sel:WORD_1 src1_sel:DWORD
	s_movk_i32 s4, 0x7f
	v_cmp_lt_i16_e32 vcc, s4, v11
	s_mov_b64 s[4:5], 0
                                        ; implicit-def: $sgpr10
	s_and_saveexec_b64 s[6:7], vcc
	s_xor_b64 s[6:7], exec, s[6:7]
	s_cbranch_execnz .LBB29_3413
; %bb.1365:
	s_or_saveexec_b64 s[6:7], s[6:7]
	v_mov_b32_e32 v14, s10
	s_xor_b64 exec, exec, s[6:7]
	s_cbranch_execnz .LBB29_3416
.LBB29_1366:
	s_or_b64 exec, exec, s[6:7]
	s_and_saveexec_b64 s[6:7], s[4:5]
	s_cbranch_execz .LBB29_1368
.LBB29_1367:
	v_bfe_u32 v11, v12, 16, 3
	v_ffbh_u32_e32 v20, v11
	v_min_u32_e32 v20, 32, v20
	v_lshrrev_b32_e32 v14, 19, v12
	v_subrev_u32_e32 v21, 28, v20
	v_and_b32_e32 v14, 15, v14
	v_lshlrev_b32_sdwa v21, v21, v12 dst_sel:DWORD dst_unused:UNUSED_PAD src0_sel:DWORD src1_sel:WORD_1
	v_bfe_u32 v15, v12, 19, 4
	v_sub_u32_e32 v20, 29, v20
	v_and_b32_e32 v21, 7, v21
	v_cmp_eq_u16_e32 vcc, 0, v14
	v_cndmask_b32_e32 v11, v11, v21, vcc
	v_cndmask_b32_e32 v14, v15, v20, vcc
	v_lshlrev_b32_e32 v15, 8, v12
	v_mov_b32_e32 v20, 0x3b800000
	v_lshlrev_b32_e32 v11, 20, v11
	v_and_b32_e32 v15, 0x80000000, v15
	v_lshl_add_u32 v14, v14, 23, v20
	v_or3_b32 v14, v15, v14, v11
.LBB29_1368:
	s_or_b64 exec, exec, s[6:7]
	s_nop 0
	v_mfma_f32_16x16x4f32 a[0:3], v10, v14, a[0:3]
	s_movk_i32 s4, 0x7f
	v_cmp_gt_i16_sdwa s[6:7], v16, s4 src0_sel:BYTE_3 src1_sel:DWORD
	s_mov_b64 s[4:5], 0
                                        ; implicit-def: $sgpr10
	s_and_saveexec_b64 s[8:9], s[6:7]
	s_xor_b64 s[6:7], exec, s[8:9]
	s_cbranch_execnz .LBB29_3417
; %bb.1369:
	s_or_saveexec_b64 s[6:7], s[6:7]
	v_mov_b32_e32 v10, s10
	s_xor_b64 exec, exec, s[6:7]
	s_cbranch_execnz .LBB29_3420
.LBB29_1370:
	s_or_b64 exec, exec, s[6:7]
	s_and_saveexec_b64 s[6:7], s[4:5]
	s_cbranch_execz .LBB29_1372
.LBB29_1371:
	v_bfe_u32 v10, v16, 24, 3
	v_ffbh_u32_e32 v20, v10
	v_min_u32_e32 v20, 32, v20
	v_lshrrev_b32_e32 v14, 27, v16
	v_subrev_u32_e32 v21, 28, v20
	v_and_b32_e32 v11, 0x80000000, v16
	v_and_b32_e32 v14, 15, v14
	v_bfe_u32 v15, v16, 27, 4
	v_lshlrev_b32_sdwa v16, v21, v16 dst_sel:DWORD dst_unused:UNUSED_PAD src0_sel:DWORD src1_sel:BYTE_3
	v_sub_u32_e32 v20, 29, v20
	v_and_b32_e32 v16, 7, v16
	v_cmp_eq_u16_e32 vcc, 0, v14
	v_cndmask_b32_e32 v10, v10, v16, vcc
	v_cndmask_b32_e32 v14, v15, v20, vcc
	v_mov_b32_e32 v15, 0x3b800000
	v_lshlrev_b32_e32 v10, 20, v10
	v_lshl_add_u32 v14, v14, 23, v15
	v_or3_b32 v10, v11, v14, v10
.LBB29_1372:
	s_or_b64 exec, exec, s[6:7]
	s_movk_i32 s4, 0x7f
	v_cmp_gt_i16_sdwa s[6:7], v12, s4 src0_sel:BYTE_3 src1_sel:DWORD
	s_mov_b64 s[4:5], 0
                                        ; implicit-def: $sgpr10
	s_and_saveexec_b64 s[8:9], s[6:7]
	s_xor_b64 s[6:7], exec, s[8:9]
	s_cbranch_execnz .LBB29_3421
; %bb.1373:
	s_or_saveexec_b64 s[6:7], s[6:7]
	v_mov_b32_e32 v11, s10
	s_xor_b64 exec, exec, s[6:7]
	s_cbranch_execnz .LBB29_3424
.LBB29_1374:
	s_or_b64 exec, exec, s[6:7]
	s_and_saveexec_b64 s[6:7], s[4:5]
	s_cbranch_execz .LBB29_1376
.LBB29_1375:
	v_bfe_u32 v11, v12, 24, 3
	v_ffbh_u32_e32 v20, v11
	v_min_u32_e32 v20, 32, v20
	v_lshrrev_b32_e32 v15, 27, v12
	v_subrev_u32_e32 v21, 28, v20
	v_and_b32_e32 v14, 0x80000000, v12
	v_and_b32_e32 v15, 15, v15
	v_bfe_u32 v16, v12, 27, 4
	v_lshlrev_b32_sdwa v12, v21, v12 dst_sel:DWORD dst_unused:UNUSED_PAD src0_sel:DWORD src1_sel:BYTE_3
	v_sub_u32_e32 v20, 29, v20
	v_and_b32_e32 v12, 7, v12
	v_cmp_eq_u16_e32 vcc, 0, v15
	v_cndmask_b32_e32 v11, v11, v12, vcc
	v_cndmask_b32_e32 v12, v16, v20, vcc
	v_mov_b32_e32 v15, 0x3b800000
	v_lshlrev_b32_e32 v11, 20, v11
	v_lshl_add_u32 v12, v12, 23, v15
	v_or3_b32 v11, v14, v12, v11
.LBB29_1376:
	s_or_b64 exec, exec, s[6:7]
	s_nop 0
	v_mfma_f32_16x16x4f32 a[0:3], v10, v11, a[0:3]
	s_movk_i32 s4, 0x7f
	v_cmp_gt_i16_sdwa s[6:7], v17, s4 src0_sel:BYTE_0 src1_sel:DWORD
	s_mov_b64 s[4:5], 0
                                        ; implicit-def: $sgpr10
	s_and_saveexec_b64 s[8:9], s[6:7]
	s_xor_b64 s[6:7], exec, s[8:9]
	s_cbranch_execnz .LBB29_3425
; %bb.1377:
	s_or_saveexec_b64 s[6:7], s[6:7]
	v_mov_b32_e32 v10, s10
	s_xor_b64 exec, exec, s[6:7]
	s_cbranch_execnz .LBB29_3428
.LBB29_1378:
	s_or_b64 exec, exec, s[6:7]
	s_and_saveexec_b64 s[6:7], s[4:5]
	s_cbranch_execz .LBB29_1380
.LBB29_1379:
	v_and_b32_e32 v10, 7, v17
	v_ffbh_u32_e32 v12, v10
	v_min_u32_e32 v12, 32, v12
	v_lshrrev_b16_e32 v11, 3, v17
	v_subrev_u32_e32 v14, 28, v12
	v_and_b32_e32 v11, 15, v11
	v_lshlrev_b32_e32 v14, v14, v17
	v_sub_u32_e32 v12, 29, v12
	v_and_b32_e32 v14, 7, v14
	v_cmp_eq_u16_e32 vcc, 0, v11
	v_cndmask_b32_e32 v10, v10, v14, vcc
	v_cndmask_b32_e32 v11, v11, v12, vcc
	v_lshlrev_b32_e32 v12, 24, v17
	v_mov_b32_e32 v14, 0x3b800000
	v_lshlrev_b32_e32 v10, 20, v10
	v_and_b32_e32 v12, 0x80000000, v12
	v_lshl_add_u32 v11, v11, 23, v14
	v_or3_b32 v10, v12, v11, v10
.LBB29_1380:
	s_or_b64 exec, exec, s[6:7]
	s_movk_i32 s4, 0x7f
	v_cmp_gt_i16_sdwa s[6:7], v13, s4 src0_sel:BYTE_0 src1_sel:DWORD
	s_mov_b64 s[4:5], 0
                                        ; implicit-def: $sgpr10
	s_and_saveexec_b64 s[8:9], s[6:7]
	s_xor_b64 s[6:7], exec, s[8:9]
	s_cbranch_execnz .LBB29_3429
; %bb.1381:
	s_or_saveexec_b64 s[6:7], s[6:7]
	v_mov_b32_e32 v11, s10
	s_xor_b64 exec, exec, s[6:7]
	s_cbranch_execnz .LBB29_3432
.LBB29_1382:
	s_or_b64 exec, exec, s[6:7]
	s_and_saveexec_b64 s[6:7], s[4:5]
	s_cbranch_execz .LBB29_1384
.LBB29_1383:
	v_and_b32_e32 v11, 7, v13
	v_ffbh_u32_e32 v14, v11
	v_min_u32_e32 v14, 32, v14
	v_lshrrev_b16_e32 v12, 3, v13
	v_subrev_u32_e32 v15, 28, v14
	v_and_b32_e32 v12, 15, v12
	v_lshlrev_b32_e32 v15, v15, v13
	v_sub_u32_e32 v14, 29, v14
	v_and_b32_e32 v15, 7, v15
	v_cmp_eq_u16_e32 vcc, 0, v12
	v_cndmask_b32_e32 v11, v11, v15, vcc
	v_cndmask_b32_e32 v12, v12, v14, vcc
	v_lshlrev_b32_e32 v14, 24, v13
	v_mov_b32_e32 v15, 0x3b800000
	v_lshlrev_b32_e32 v11, 20, v11
	v_and_b32_e32 v14, 0x80000000, v14
	v_lshl_add_u32 v12, v12, 23, v15
	v_or3_b32 v11, v14, v12, v11
.LBB29_1384:
	s_or_b64 exec, exec, s[6:7]
	s_nop 0
	v_mfma_f32_16x16x4f32 a[0:3], v10, v11, a[0:3]
	v_lshrrev_b32_e32 v11, 8, v17
	s_movk_i32 s4, 0x7f
	v_cmp_gt_i16_sdwa s[6:7], v11, s4 src0_sel:BYTE_0 src1_sel:DWORD
	s_mov_b64 s[4:5], 0
                                        ; implicit-def: $sgpr10
	s_and_saveexec_b64 s[8:9], s[6:7]
	s_xor_b64 s[6:7], exec, s[8:9]
	s_cbranch_execnz .LBB29_3433
; %bb.1385:
	s_or_saveexec_b64 s[6:7], s[6:7]
	v_mov_b32_e32 v10, s10
	s_xor_b64 exec, exec, s[6:7]
	s_cbranch_execnz .LBB29_3436
.LBB29_1386:
	s_or_b64 exec, exec, s[6:7]
	s_and_saveexec_b64 s[6:7], s[4:5]
	s_cbranch_execz .LBB29_1388
.LBB29_1387:
	v_bfe_u32 v10, v17, 8, 3
	v_ffbh_u32_e32 v14, v10
	v_min_u32_e32 v14, 32, v14
	v_lshrrev_b16_e32 v12, 3, v11
	v_subrev_u32_e32 v15, 28, v14
	v_and_b32_e32 v12, 15, v12
	v_lshlrev_b32_e32 v11, v15, v11
	v_sub_u32_e32 v14, 29, v14
	v_and_b32_e32 v11, 7, v11
	v_cmp_eq_u16_e32 vcc, 0, v12
	v_cndmask_b32_e32 v10, v10, v11, vcc
	v_cndmask_b32_e32 v11, v12, v14, vcc
	v_lshlrev_b32_e32 v12, 16, v17
	v_mov_b32_e32 v14, 0x3b800000
	v_lshlrev_b32_e32 v10, 20, v10
	v_and_b32_e32 v12, 0x80000000, v12
	v_lshl_add_u32 v11, v11, 23, v14
	v_or3_b32 v10, v12, v11, v10
.LBB29_1388:
	s_or_b64 exec, exec, s[6:7]
	v_lshrrev_b32_e32 v11, 8, v13
	s_movk_i32 s4, 0x7f
	v_cmp_gt_i16_sdwa s[6:7], v11, s4 src0_sel:BYTE_0 src1_sel:DWORD
	s_mov_b64 s[4:5], 0
                                        ; implicit-def: $sgpr10
	s_and_saveexec_b64 s[8:9], s[6:7]
	s_xor_b64 s[6:7], exec, s[8:9]
	s_cbranch_execnz .LBB29_3437
; %bb.1389:
	s_or_saveexec_b64 s[6:7], s[6:7]
	v_mov_b32_e32 v12, s10
	s_xor_b64 exec, exec, s[6:7]
	s_cbranch_execnz .LBB29_3440
.LBB29_1390:
	s_or_b64 exec, exec, s[6:7]
	s_and_saveexec_b64 s[6:7], s[4:5]
	s_cbranch_execz .LBB29_1392
.LBB29_1391:
	v_bfe_u32 v12, v13, 8, 3
	v_ffbh_u32_e32 v15, v12
	v_min_u32_e32 v15, 32, v15
	v_lshrrev_b16_e32 v14, 3, v11
	v_subrev_u32_e32 v16, 28, v15
	v_and_b32_e32 v14, 15, v14
	v_lshlrev_b32_e32 v11, v16, v11
	v_sub_u32_e32 v15, 29, v15
	v_and_b32_e32 v11, 7, v11
	v_cmp_eq_u16_e32 vcc, 0, v14
	v_cndmask_b32_e32 v11, v12, v11, vcc
	v_cndmask_b32_e32 v12, v14, v15, vcc
	v_lshlrev_b32_e32 v14, 16, v13
	v_mov_b32_e32 v15, 0x3b800000
	v_lshlrev_b32_e32 v11, 20, v11
	v_and_b32_e32 v14, 0x80000000, v14
	v_lshl_add_u32 v12, v12, 23, v15
	v_or3_b32 v12, v14, v12, v11
.LBB29_1392:
	s_or_b64 exec, exec, s[6:7]
	s_nop 0
	v_mfma_f32_16x16x4f32 a[0:3], v10, v12, a[0:3]
	s_movk_i32 s4, 0xff
	v_and_b32_sdwa v11, v17, s4 dst_sel:DWORD dst_unused:UNUSED_PAD src0_sel:WORD_1 src1_sel:DWORD
	s_movk_i32 s4, 0x7f
	v_cmp_lt_i16_e32 vcc, s4, v11
	s_mov_b64 s[4:5], 0
                                        ; implicit-def: $sgpr10
	s_and_saveexec_b64 s[6:7], vcc
	s_xor_b64 s[6:7], exec, s[6:7]
	s_cbranch_execnz .LBB29_3441
; %bb.1393:
	s_or_saveexec_b64 s[6:7], s[6:7]
	v_mov_b32_e32 v10, s10
	s_xor_b64 exec, exec, s[6:7]
	s_cbranch_execnz .LBB29_3444
.LBB29_1394:
	s_or_b64 exec, exec, s[6:7]
	s_and_saveexec_b64 s[6:7], s[4:5]
	s_cbranch_execz .LBB29_1396
.LBB29_1395:
	v_bfe_u32 v10, v17, 16, 3
	v_ffbh_u32_e32 v14, v10
	v_min_u32_e32 v14, 32, v14
	v_lshrrev_b32_e32 v11, 19, v17
	v_subrev_u32_e32 v15, 28, v14
	v_and_b32_e32 v11, 15, v11
	v_lshlrev_b32_sdwa v15, v15, v17 dst_sel:DWORD dst_unused:UNUSED_PAD src0_sel:DWORD src1_sel:WORD_1
	v_bfe_u32 v12, v17, 19, 4
	v_sub_u32_e32 v14, 29, v14
	v_and_b32_e32 v15, 7, v15
	v_cmp_eq_u16_e32 vcc, 0, v11
	v_cndmask_b32_e32 v10, v10, v15, vcc
	v_cndmask_b32_e32 v11, v12, v14, vcc
	v_lshlrev_b32_e32 v12, 8, v17
	v_mov_b32_e32 v14, 0x3b800000
	v_lshlrev_b32_e32 v10, 20, v10
	v_and_b32_e32 v12, 0x80000000, v12
	v_lshl_add_u32 v11, v11, 23, v14
	v_or3_b32 v10, v12, v11, v10
.LBB29_1396:
	s_or_b64 exec, exec, s[6:7]
	s_movk_i32 s4, 0xff
	v_and_b32_sdwa v11, v13, s4 dst_sel:DWORD dst_unused:UNUSED_PAD src0_sel:WORD_1 src1_sel:DWORD
	s_movk_i32 s4, 0x7f
	v_cmp_lt_i16_e32 vcc, s4, v11
	s_mov_b64 s[4:5], 0
                                        ; implicit-def: $sgpr10
	s_and_saveexec_b64 s[6:7], vcc
	s_xor_b64 s[6:7], exec, s[6:7]
	s_cbranch_execnz .LBB29_3445
; %bb.1397:
	s_or_saveexec_b64 s[6:7], s[6:7]
	v_mov_b32_e32 v12, s10
	s_xor_b64 exec, exec, s[6:7]
	s_cbranch_execnz .LBB29_3448
.LBB29_1398:
	s_or_b64 exec, exec, s[6:7]
	s_and_saveexec_b64 s[6:7], s[4:5]
	s_cbranch_execz .LBB29_1400
.LBB29_1399:
	v_bfe_u32 v11, v13, 16, 3
	v_ffbh_u32_e32 v15, v11
	v_min_u32_e32 v15, 32, v15
	v_lshrrev_b32_e32 v12, 19, v13
	v_subrev_u32_e32 v16, 28, v15
	v_and_b32_e32 v12, 15, v12
	v_lshlrev_b32_sdwa v16, v16, v13 dst_sel:DWORD dst_unused:UNUSED_PAD src0_sel:DWORD src1_sel:WORD_1
	v_bfe_u32 v14, v13, 19, 4
	v_sub_u32_e32 v15, 29, v15
	v_and_b32_e32 v16, 7, v16
	v_cmp_eq_u16_e32 vcc, 0, v12
	v_cndmask_b32_e32 v11, v11, v16, vcc
	v_cndmask_b32_e32 v12, v14, v15, vcc
	v_lshlrev_b32_e32 v14, 8, v13
	v_mov_b32_e32 v15, 0x3b800000
	v_lshlrev_b32_e32 v11, 20, v11
	v_and_b32_e32 v14, 0x80000000, v14
	v_lshl_add_u32 v12, v12, 23, v15
	v_or3_b32 v12, v14, v12, v11
.LBB29_1400:
	s_or_b64 exec, exec, s[6:7]
	s_nop 0
	v_mfma_f32_16x16x4f32 a[0:3], v10, v12, a[0:3]
	s_movk_i32 s4, 0x7f
	v_cmp_gt_i16_sdwa s[6:7], v17, s4 src0_sel:BYTE_3 src1_sel:DWORD
	s_mov_b64 s[4:5], 0
                                        ; implicit-def: $sgpr10
	s_and_saveexec_b64 s[8:9], s[6:7]
	s_xor_b64 s[6:7], exec, s[8:9]
	s_cbranch_execnz .LBB29_3449
; %bb.1401:
	s_or_saveexec_b64 s[6:7], s[6:7]
	v_mov_b32_e32 v10, s10
	s_xor_b64 exec, exec, s[6:7]
	s_cbranch_execnz .LBB29_3452
.LBB29_1402:
	s_or_b64 exec, exec, s[6:7]
	s_and_saveexec_b64 s[6:7], s[4:5]
	s_cbranch_execz .LBB29_1404
.LBB29_1403:
	v_bfe_u32 v10, v17, 24, 3
	v_ffbh_u32_e32 v15, v10
	v_min_u32_e32 v15, 32, v15
	v_lshrrev_b32_e32 v12, 27, v17
	v_subrev_u32_e32 v16, 28, v15
	v_and_b32_e32 v12, 15, v12
	v_lshlrev_b32_sdwa v16, v16, v17 dst_sel:DWORD dst_unused:UNUSED_PAD src0_sel:DWORD src1_sel:BYTE_3
	v_bfe_u32 v14, v17, 27, 4
	v_sub_u32_e32 v15, 29, v15
	v_and_b32_e32 v16, 7, v16
	v_cmp_eq_u16_e32 vcc, 0, v12
	v_cndmask_b32_e32 v10, v10, v16, vcc
	v_cndmask_b32_e32 v12, v14, v15, vcc
	v_mov_b32_e32 v14, 0x3b800000
	v_and_b32_e32 v11, 0x80000000, v17
	v_lshlrev_b32_e32 v10, 20, v10
	v_lshl_add_u32 v12, v12, 23, v14
	v_or3_b32 v10, v11, v12, v10
.LBB29_1404:
	s_or_b64 exec, exec, s[6:7]
	s_movk_i32 s4, 0x7f
	v_cmp_gt_i16_sdwa s[6:7], v13, s4 src0_sel:BYTE_3 src1_sel:DWORD
	s_mov_b64 s[4:5], 0
                                        ; implicit-def: $sgpr10
	s_and_saveexec_b64 s[8:9], s[6:7]
	s_xor_b64 s[6:7], exec, s[8:9]
	s_cbranch_execnz .LBB29_3453
; %bb.1405:
	s_or_saveexec_b64 s[6:7], s[6:7]
	v_mov_b32_e32 v11, s10
	s_xor_b64 exec, exec, s[6:7]
	s_cbranch_execnz .LBB29_3456
.LBB29_1406:
	s_or_b64 exec, exec, s[6:7]
	s_and_saveexec_b64 s[6:7], s[4:5]
	s_cbranch_execz .LBB29_1408
.LBB29_1407:
	v_bfe_u32 v11, v13, 24, 3
	v_ffbh_u32_e32 v16, v11
	v_min_u32_e32 v16, 32, v16
	v_lshrrev_b32_e32 v14, 27, v13
	v_subrev_u32_e32 v17, 28, v16
	v_and_b32_e32 v12, 0x80000000, v13
	v_and_b32_e32 v14, 15, v14
	v_bfe_u32 v15, v13, 27, 4
	v_lshlrev_b32_sdwa v13, v17, v13 dst_sel:DWORD dst_unused:UNUSED_PAD src0_sel:DWORD src1_sel:BYTE_3
	v_sub_u32_e32 v16, 29, v16
	v_and_b32_e32 v13, 7, v13
	v_cmp_eq_u16_e32 vcc, 0, v14
	v_cndmask_b32_e32 v11, v11, v13, vcc
	v_cndmask_b32_e32 v13, v15, v16, vcc
	v_mov_b32_e32 v14, 0x3b800000
	v_lshlrev_b32_e32 v11, 20, v11
	v_lshl_add_u32 v13, v13, 23, v14
	v_or3_b32 v11, v12, v13, v11
.LBB29_1408:
	s_or_b64 exec, exec, s[6:7]
	s_nop 0
	v_mfma_f32_16x16x4f32 a[0:3], v10, v11, a[0:3]
	s_movk_i32 s4, 0x7f
	v_cmp_gt_i16_sdwa s[6:7], v6, s4 src0_sel:BYTE_0 src1_sel:DWORD
	s_mov_b64 s[4:5], 0
                                        ; implicit-def: $sgpr10
	s_and_saveexec_b64 s[8:9], s[6:7]
	s_xor_b64 s[6:7], exec, s[8:9]
	s_cbranch_execnz .LBB29_3457
; %bb.1409:
	s_or_saveexec_b64 s[6:7], s[6:7]
	v_mov_b32_e32 v10, s10
	s_xor_b64 exec, exec, s[6:7]
	s_cbranch_execnz .LBB29_3460
.LBB29_1410:
	s_or_b64 exec, exec, s[6:7]
	s_and_saveexec_b64 s[6:7], s[4:5]
	s_cbranch_execz .LBB29_1412
.LBB29_1411:
	v_and_b32_e32 v10, 7, v6
	v_ffbh_u32_e32 v12, v10
	v_min_u32_e32 v12, 32, v12
	v_lshrrev_b16_e32 v11, 3, v6
	v_subrev_u32_e32 v13, 28, v12
	v_and_b32_e32 v11, 15, v11
	v_lshlrev_b32_e32 v13, v13, v6
	v_sub_u32_e32 v12, 29, v12
	v_and_b32_e32 v13, 7, v13
	v_cmp_eq_u16_e32 vcc, 0, v11
	v_cndmask_b32_e32 v10, v10, v13, vcc
	v_cndmask_b32_e32 v11, v11, v12, vcc
	v_lshlrev_b32_e32 v12, 24, v6
	v_mov_b32_e32 v13, 0x3b800000
	v_lshlrev_b32_e32 v10, 20, v10
	v_and_b32_e32 v12, 0x80000000, v12
	v_lshl_add_u32 v11, v11, 23, v13
	v_or3_b32 v10, v12, v11, v10
.LBB29_1412:
	s_or_b64 exec, exec, s[6:7]
	s_movk_i32 s4, 0x7f
	v_cmp_gt_i16_sdwa s[6:7], v2, s4 src0_sel:BYTE_0 src1_sel:DWORD
	s_mov_b64 s[4:5], 0
                                        ; implicit-def: $sgpr10
	s_and_saveexec_b64 s[8:9], s[6:7]
	s_xor_b64 s[6:7], exec, s[8:9]
	s_cbranch_execnz .LBB29_3461
; %bb.1413:
	s_or_saveexec_b64 s[6:7], s[6:7]
	v_mov_b32_e32 v11, s10
	s_xor_b64 exec, exec, s[6:7]
	s_cbranch_execnz .LBB29_3464
.LBB29_1414:
	s_or_b64 exec, exec, s[6:7]
	s_and_saveexec_b64 s[6:7], s[4:5]
	s_cbranch_execz .LBB29_1416
.LBB29_1415:
	v_and_b32_e32 v11, 7, v2
	v_ffbh_u32_e32 v13, v11
	v_min_u32_e32 v13, 32, v13
	v_lshrrev_b16_e32 v12, 3, v2
	v_subrev_u32_e32 v14, 28, v13
	v_and_b32_e32 v12, 15, v12
	v_lshlrev_b32_e32 v14, v14, v2
	v_sub_u32_e32 v13, 29, v13
	v_and_b32_e32 v14, 7, v14
	v_cmp_eq_u16_e32 vcc, 0, v12
	v_cndmask_b32_e32 v11, v11, v14, vcc
	v_cndmask_b32_e32 v12, v12, v13, vcc
	v_lshlrev_b32_e32 v13, 24, v2
	v_mov_b32_e32 v14, 0x3b800000
	v_lshlrev_b32_e32 v11, 20, v11
	v_and_b32_e32 v13, 0x80000000, v13
	v_lshl_add_u32 v12, v12, 23, v14
	v_or3_b32 v11, v13, v12, v11
.LBB29_1416:
	s_or_b64 exec, exec, s[6:7]
	s_nop 0
	v_mfma_f32_16x16x4f32 a[0:3], v10, v11, a[0:3]
	v_lshrrev_b32_e32 v11, 8, v6
	s_movk_i32 s4, 0x7f
	v_cmp_gt_i16_sdwa s[6:7], v11, s4 src0_sel:BYTE_0 src1_sel:DWORD
	s_mov_b64 s[4:5], 0
                                        ; implicit-def: $sgpr10
	s_and_saveexec_b64 s[8:9], s[6:7]
	s_xor_b64 s[6:7], exec, s[8:9]
	s_cbranch_execnz .LBB29_3465
; %bb.1417:
	s_or_saveexec_b64 s[6:7], s[6:7]
	v_mov_b32_e32 v10, s10
	s_xor_b64 exec, exec, s[6:7]
	s_cbranch_execnz .LBB29_3468
.LBB29_1418:
	s_or_b64 exec, exec, s[6:7]
	s_and_saveexec_b64 s[6:7], s[4:5]
	s_cbranch_execz .LBB29_1420
.LBB29_1419:
	v_bfe_u32 v10, v6, 8, 3
	v_ffbh_u32_e32 v13, v10
	v_min_u32_e32 v13, 32, v13
	v_lshrrev_b16_e32 v12, 3, v11
	v_subrev_u32_e32 v14, 28, v13
	v_and_b32_e32 v12, 15, v12
	v_lshlrev_b32_e32 v11, v14, v11
	v_sub_u32_e32 v13, 29, v13
	v_and_b32_e32 v11, 7, v11
	v_cmp_eq_u16_e32 vcc, 0, v12
	v_cndmask_b32_e32 v10, v10, v11, vcc
	v_cndmask_b32_e32 v11, v12, v13, vcc
	v_lshlrev_b32_e32 v12, 16, v6
	v_mov_b32_e32 v13, 0x3b800000
	v_lshlrev_b32_e32 v10, 20, v10
	v_and_b32_e32 v12, 0x80000000, v12
	v_lshl_add_u32 v11, v11, 23, v13
	v_or3_b32 v10, v12, v11, v10
.LBB29_1420:
	s_or_b64 exec, exec, s[6:7]
	v_lshrrev_b32_e32 v11, 8, v2
	s_movk_i32 s4, 0x7f
	v_cmp_gt_i16_sdwa s[6:7], v11, s4 src0_sel:BYTE_0 src1_sel:DWORD
	s_mov_b64 s[4:5], 0
                                        ; implicit-def: $sgpr10
	s_and_saveexec_b64 s[8:9], s[6:7]
	s_xor_b64 s[6:7], exec, s[8:9]
	s_cbranch_execnz .LBB29_3469
; %bb.1421:
	s_or_saveexec_b64 s[6:7], s[6:7]
	v_mov_b32_e32 v12, s10
	s_xor_b64 exec, exec, s[6:7]
	s_cbranch_execnz .LBB29_3472
.LBB29_1422:
	s_or_b64 exec, exec, s[6:7]
	s_and_saveexec_b64 s[6:7], s[4:5]
	s_cbranch_execz .LBB29_1424
.LBB29_1423:
	v_bfe_u32 v12, v2, 8, 3
	v_ffbh_u32_e32 v14, v12
	v_min_u32_e32 v14, 32, v14
	v_lshrrev_b16_e32 v13, 3, v11
	v_subrev_u32_e32 v15, 28, v14
	v_and_b32_e32 v13, 15, v13
	v_lshlrev_b32_e32 v11, v15, v11
	v_sub_u32_e32 v14, 29, v14
	v_and_b32_e32 v11, 7, v11
	v_cmp_eq_u16_e32 vcc, 0, v13
	v_cndmask_b32_e32 v11, v12, v11, vcc
	v_cndmask_b32_e32 v12, v13, v14, vcc
	v_lshlrev_b32_e32 v13, 16, v2
	v_mov_b32_e32 v14, 0x3b800000
	v_lshlrev_b32_e32 v11, 20, v11
	v_and_b32_e32 v13, 0x80000000, v13
	v_lshl_add_u32 v12, v12, 23, v14
	v_or3_b32 v12, v13, v12, v11
.LBB29_1424:
	s_or_b64 exec, exec, s[6:7]
	s_nop 0
	v_mfma_f32_16x16x4f32 a[0:3], v10, v12, a[0:3]
	s_movk_i32 s4, 0xff
	v_and_b32_sdwa v11, v6, s4 dst_sel:DWORD dst_unused:UNUSED_PAD src0_sel:WORD_1 src1_sel:DWORD
	s_movk_i32 s4, 0x7f
	v_cmp_lt_i16_e32 vcc, s4, v11
	s_mov_b64 s[4:5], 0
                                        ; implicit-def: $sgpr10
	s_and_saveexec_b64 s[6:7], vcc
	s_xor_b64 s[6:7], exec, s[6:7]
	s_cbranch_execnz .LBB29_3473
; %bb.1425:
	s_or_saveexec_b64 s[6:7], s[6:7]
	v_mov_b32_e32 v10, s10
	s_xor_b64 exec, exec, s[6:7]
	s_cbranch_execnz .LBB29_3476
.LBB29_1426:
	s_or_b64 exec, exec, s[6:7]
	s_and_saveexec_b64 s[6:7], s[4:5]
	s_cbranch_execz .LBB29_1428
.LBB29_1427:
	v_bfe_u32 v10, v6, 16, 3
	v_ffbh_u32_e32 v13, v10
	v_min_u32_e32 v13, 32, v13
	v_lshrrev_b32_e32 v11, 19, v6
	v_subrev_u32_e32 v14, 28, v13
	v_and_b32_e32 v11, 15, v11
	v_lshlrev_b32_sdwa v14, v14, v6 dst_sel:DWORD dst_unused:UNUSED_PAD src0_sel:DWORD src1_sel:WORD_1
	v_bfe_u32 v12, v6, 19, 4
	v_sub_u32_e32 v13, 29, v13
	v_and_b32_e32 v14, 7, v14
	v_cmp_eq_u16_e32 vcc, 0, v11
	v_cndmask_b32_e32 v10, v10, v14, vcc
	v_cndmask_b32_e32 v11, v12, v13, vcc
	v_lshlrev_b32_e32 v12, 8, v6
	v_mov_b32_e32 v13, 0x3b800000
	v_lshlrev_b32_e32 v10, 20, v10
	v_and_b32_e32 v12, 0x80000000, v12
	v_lshl_add_u32 v11, v11, 23, v13
	v_or3_b32 v10, v12, v11, v10
.LBB29_1428:
	s_or_b64 exec, exec, s[6:7]
	s_movk_i32 s4, 0xff
	v_and_b32_sdwa v11, v2, s4 dst_sel:DWORD dst_unused:UNUSED_PAD src0_sel:WORD_1 src1_sel:DWORD
	s_movk_i32 s4, 0x7f
	v_cmp_lt_i16_e32 vcc, s4, v11
	s_mov_b64 s[4:5], 0
                                        ; implicit-def: $sgpr10
	s_and_saveexec_b64 s[6:7], vcc
	s_xor_b64 s[6:7], exec, s[6:7]
	s_cbranch_execnz .LBB29_3477
; %bb.1429:
	s_or_saveexec_b64 s[6:7], s[6:7]
	v_mov_b32_e32 v12, s10
	s_xor_b64 exec, exec, s[6:7]
	s_cbranch_execnz .LBB29_3480
.LBB29_1430:
	s_or_b64 exec, exec, s[6:7]
	s_and_saveexec_b64 s[6:7], s[4:5]
	s_cbranch_execz .LBB29_1432
.LBB29_1431:
	v_bfe_u32 v11, v2, 16, 3
	v_ffbh_u32_e32 v14, v11
	v_min_u32_e32 v14, 32, v14
	v_lshrrev_b32_e32 v12, 19, v2
	v_subrev_u32_e32 v15, 28, v14
	v_and_b32_e32 v12, 15, v12
	v_lshlrev_b32_sdwa v15, v15, v2 dst_sel:DWORD dst_unused:UNUSED_PAD src0_sel:DWORD src1_sel:WORD_1
	v_bfe_u32 v13, v2, 19, 4
	v_sub_u32_e32 v14, 29, v14
	v_and_b32_e32 v15, 7, v15
	v_cmp_eq_u16_e32 vcc, 0, v12
	v_cndmask_b32_e32 v11, v11, v15, vcc
	v_cndmask_b32_e32 v12, v13, v14, vcc
	v_lshlrev_b32_e32 v13, 8, v2
	v_mov_b32_e32 v14, 0x3b800000
	v_lshlrev_b32_e32 v11, 20, v11
	v_and_b32_e32 v13, 0x80000000, v13
	v_lshl_add_u32 v12, v12, 23, v14
	v_or3_b32 v12, v13, v12, v11
.LBB29_1432:
	s_or_b64 exec, exec, s[6:7]
	s_nop 0
	v_mfma_f32_16x16x4f32 a[0:3], v10, v12, a[0:3]
	s_movk_i32 s4, 0x7f
	v_cmp_gt_i16_sdwa s[6:7], v6, s4 src0_sel:BYTE_3 src1_sel:DWORD
	s_mov_b64 s[4:5], 0
                                        ; implicit-def: $sgpr10
	s_and_saveexec_b64 s[8:9], s[6:7]
	s_xor_b64 s[6:7], exec, s[8:9]
	s_cbranch_execnz .LBB29_3481
; %bb.1433:
	s_or_saveexec_b64 s[6:7], s[6:7]
	v_mov_b32_e32 v10, s10
	s_xor_b64 exec, exec, s[6:7]
	s_cbranch_execnz .LBB29_3484
.LBB29_1434:
	s_or_b64 exec, exec, s[6:7]
	s_and_saveexec_b64 s[6:7], s[4:5]
	s_cbranch_execz .LBB29_1436
.LBB29_1435:
	v_bfe_u32 v10, v6, 24, 3
	v_ffbh_u32_e32 v14, v10
	v_min_u32_e32 v14, 32, v14
	v_lshrrev_b32_e32 v12, 27, v6
	v_subrev_u32_e32 v15, 28, v14
	v_and_b32_e32 v11, 0x80000000, v6
	v_and_b32_e32 v12, 15, v12
	v_bfe_u32 v13, v6, 27, 4
	v_lshlrev_b32_sdwa v6, v15, v6 dst_sel:DWORD dst_unused:UNUSED_PAD src0_sel:DWORD src1_sel:BYTE_3
	v_sub_u32_e32 v14, 29, v14
	v_and_b32_e32 v6, 7, v6
	v_cmp_eq_u16_e32 vcc, 0, v12
	v_cndmask_b32_e32 v6, v10, v6, vcc
	v_cndmask_b32_e32 v10, v13, v14, vcc
	v_mov_b32_e32 v12, 0x3b800000
	v_lshlrev_b32_e32 v6, 20, v6
	v_lshl_add_u32 v10, v10, 23, v12
	v_or3_b32 v10, v11, v10, v6
.LBB29_1436:
	s_or_b64 exec, exec, s[6:7]
	s_movk_i32 s4, 0x7f
	v_cmp_gt_i16_sdwa s[6:7], v2, s4 src0_sel:BYTE_3 src1_sel:DWORD
	s_mov_b64 s[4:5], 0
                                        ; implicit-def: $sgpr10
	s_and_saveexec_b64 s[8:9], s[6:7]
	s_xor_b64 s[6:7], exec, s[8:9]
	s_cbranch_execnz .LBB29_3485
; %bb.1437:
	s_or_saveexec_b64 s[6:7], s[6:7]
	v_mov_b32_e32 v6, s10
	s_xor_b64 exec, exec, s[6:7]
	s_cbranch_execnz .LBB29_3488
.LBB29_1438:
	s_or_b64 exec, exec, s[6:7]
	s_and_saveexec_b64 s[6:7], s[4:5]
	s_cbranch_execz .LBB29_1440
.LBB29_1439:
	v_bfe_u32 v6, v2, 24, 3
	v_ffbh_u32_e32 v14, v6
	v_min_u32_e32 v14, 32, v14
	v_lshrrev_b32_e32 v12, 27, v2
	v_subrev_u32_e32 v15, 28, v14
	v_and_b32_e32 v11, 0x80000000, v2
	v_and_b32_e32 v12, 15, v12
	v_bfe_u32 v13, v2, 27, 4
	v_lshlrev_b32_sdwa v2, v15, v2 dst_sel:DWORD dst_unused:UNUSED_PAD src0_sel:DWORD src1_sel:BYTE_3
	v_sub_u32_e32 v14, 29, v14
	v_and_b32_e32 v2, 7, v2
	v_cmp_eq_u16_e32 vcc, 0, v12
	v_cndmask_b32_e32 v2, v6, v2, vcc
	v_cndmask_b32_e32 v6, v13, v14, vcc
	v_mov_b32_e32 v12, 0x3b800000
	v_lshlrev_b32_e32 v2, 20, v2
	v_lshl_add_u32 v6, v6, 23, v12
	v_or3_b32 v6, v11, v6, v2
.LBB29_1440:
	s_or_b64 exec, exec, s[6:7]
	s_nop 0
	v_mfma_f32_16x16x4f32 a[0:3], v10, v6, a[0:3]
	s_movk_i32 s4, 0x7f
	v_cmp_gt_i16_sdwa s[6:7], v7, s4 src0_sel:BYTE_0 src1_sel:DWORD
	s_mov_b64 s[4:5], 0
                                        ; implicit-def: $sgpr10
	s_and_saveexec_b64 s[8:9], s[6:7]
	s_xor_b64 s[6:7], exec, s[8:9]
	s_cbranch_execnz .LBB29_3489
; %bb.1441:
	s_or_saveexec_b64 s[6:7], s[6:7]
	v_mov_b32_e32 v2, s10
	s_xor_b64 exec, exec, s[6:7]
	s_cbranch_execnz .LBB29_3492
.LBB29_1442:
	s_or_b64 exec, exec, s[6:7]
	s_and_saveexec_b64 s[6:7], s[4:5]
	s_cbranch_execz .LBB29_1444
.LBB29_1443:
	v_and_b32_e32 v2, 7, v7
	v_ffbh_u32_e32 v10, v2
	v_min_u32_e32 v10, 32, v10
	v_lshrrev_b16_e32 v6, 3, v7
	v_subrev_u32_e32 v11, 28, v10
	v_and_b32_e32 v6, 15, v6
	v_lshlrev_b32_e32 v11, v11, v7
	v_sub_u32_e32 v10, 29, v10
	v_and_b32_e32 v11, 7, v11
	v_cmp_eq_u16_e32 vcc, 0, v6
	v_cndmask_b32_e32 v2, v2, v11, vcc
	v_cndmask_b32_e32 v6, v6, v10, vcc
	v_lshlrev_b32_e32 v10, 24, v7
	v_mov_b32_e32 v11, 0x3b800000
	v_lshlrev_b32_e32 v2, 20, v2
	v_and_b32_e32 v10, 0x80000000, v10
	v_lshl_add_u32 v6, v6, 23, v11
	v_or3_b32 v2, v10, v6, v2
.LBB29_1444:
	s_or_b64 exec, exec, s[6:7]
	s_movk_i32 s4, 0x7f
	v_cmp_gt_i16_sdwa s[6:7], v3, s4 src0_sel:BYTE_0 src1_sel:DWORD
	s_mov_b64 s[4:5], 0
                                        ; implicit-def: $sgpr10
	s_and_saveexec_b64 s[8:9], s[6:7]
	s_xor_b64 s[6:7], exec, s[8:9]
	s_cbranch_execnz .LBB29_3493
; %bb.1445:
	s_or_saveexec_b64 s[6:7], s[6:7]
	v_mov_b32_e32 v6, s10
	s_xor_b64 exec, exec, s[6:7]
	s_cbranch_execnz .LBB29_3496
.LBB29_1446:
	s_or_b64 exec, exec, s[6:7]
	s_and_saveexec_b64 s[6:7], s[4:5]
	s_cbranch_execz .LBB29_1448
.LBB29_1447:
	v_and_b32_e32 v6, 7, v3
	v_ffbh_u32_e32 v11, v6
	v_min_u32_e32 v11, 32, v11
	v_lshrrev_b16_e32 v10, 3, v3
	v_subrev_u32_e32 v12, 28, v11
	v_and_b32_e32 v10, 15, v10
	v_lshlrev_b32_e32 v12, v12, v3
	v_sub_u32_e32 v11, 29, v11
	v_and_b32_e32 v12, 7, v12
	v_cmp_eq_u16_e32 vcc, 0, v10
	v_cndmask_b32_e32 v6, v6, v12, vcc
	v_cndmask_b32_e32 v10, v10, v11, vcc
	v_lshlrev_b32_e32 v11, 24, v3
	v_mov_b32_e32 v12, 0x3b800000
	v_lshlrev_b32_e32 v6, 20, v6
	v_and_b32_e32 v11, 0x80000000, v11
	v_lshl_add_u32 v10, v10, 23, v12
	v_or3_b32 v6, v11, v10, v6
.LBB29_1448:
	s_or_b64 exec, exec, s[6:7]
	s_nop 0
	v_mfma_f32_16x16x4f32 a[0:3], v2, v6, a[0:3]
	v_lshrrev_b32_e32 v6, 8, v7
	s_movk_i32 s4, 0x7f
	v_cmp_gt_i16_sdwa s[6:7], v6, s4 src0_sel:BYTE_0 src1_sel:DWORD
	s_mov_b64 s[4:5], 0
                                        ; implicit-def: $sgpr10
	s_and_saveexec_b64 s[8:9], s[6:7]
	s_xor_b64 s[6:7], exec, s[8:9]
	s_cbranch_execnz .LBB29_3497
; %bb.1449:
	s_or_saveexec_b64 s[6:7], s[6:7]
	v_mov_b32_e32 v2, s10
	s_xor_b64 exec, exec, s[6:7]
	s_cbranch_execnz .LBB29_3500
.LBB29_1450:
	s_or_b64 exec, exec, s[6:7]
	s_and_saveexec_b64 s[6:7], s[4:5]
	s_cbranch_execz .LBB29_1452
.LBB29_1451:
	v_bfe_u32 v2, v7, 8, 3
	v_ffbh_u32_e32 v11, v2
	v_min_u32_e32 v11, 32, v11
	v_lshrrev_b16_e32 v10, 3, v6
	v_subrev_u32_e32 v12, 28, v11
	v_and_b32_e32 v10, 15, v10
	v_lshlrev_b32_e32 v6, v12, v6
	v_sub_u32_e32 v11, 29, v11
	v_and_b32_e32 v6, 7, v6
	v_cmp_eq_u16_e32 vcc, 0, v10
	v_cndmask_b32_e32 v2, v2, v6, vcc
	v_cndmask_b32_e32 v6, v10, v11, vcc
	v_lshlrev_b32_e32 v10, 16, v7
	v_mov_b32_e32 v11, 0x3b800000
	v_lshlrev_b32_e32 v2, 20, v2
	v_and_b32_e32 v10, 0x80000000, v10
	v_lshl_add_u32 v6, v6, 23, v11
	v_or3_b32 v2, v10, v6, v2
.LBB29_1452:
	s_or_b64 exec, exec, s[6:7]
	v_lshrrev_b32_e32 v6, 8, v3
	s_movk_i32 s4, 0x7f
	v_cmp_gt_i16_sdwa s[6:7], v6, s4 src0_sel:BYTE_0 src1_sel:DWORD
	s_mov_b64 s[4:5], 0
                                        ; implicit-def: $sgpr10
	s_and_saveexec_b64 s[8:9], s[6:7]
	s_xor_b64 s[6:7], exec, s[8:9]
	s_cbranch_execnz .LBB29_3501
; %bb.1453:
	s_or_saveexec_b64 s[6:7], s[6:7]
	v_mov_b32_e32 v10, s10
	s_xor_b64 exec, exec, s[6:7]
	s_cbranch_execnz .LBB29_3504
.LBB29_1454:
	s_or_b64 exec, exec, s[6:7]
	s_and_saveexec_b64 s[6:7], s[4:5]
	s_cbranch_execz .LBB29_1456
.LBB29_1455:
	v_bfe_u32 v10, v3, 8, 3
	v_ffbh_u32_e32 v12, v10
	v_min_u32_e32 v12, 32, v12
	v_lshrrev_b16_e32 v11, 3, v6
	v_subrev_u32_e32 v13, 28, v12
	v_and_b32_e32 v11, 15, v11
	v_lshlrev_b32_e32 v6, v13, v6
	v_sub_u32_e32 v12, 29, v12
	v_and_b32_e32 v6, 7, v6
	v_cmp_eq_u16_e32 vcc, 0, v11
	v_cndmask_b32_e32 v6, v10, v6, vcc
	v_cndmask_b32_e32 v10, v11, v12, vcc
	v_lshlrev_b32_e32 v11, 16, v3
	v_mov_b32_e32 v12, 0x3b800000
	v_lshlrev_b32_e32 v6, 20, v6
	v_and_b32_e32 v11, 0x80000000, v11
	v_lshl_add_u32 v10, v10, 23, v12
	v_or3_b32 v10, v11, v10, v6
.LBB29_1456:
	s_or_b64 exec, exec, s[6:7]
	s_nop 0
	v_mfma_f32_16x16x4f32 a[0:3], v2, v10, a[0:3]
	s_movk_i32 s4, 0xff
	v_and_b32_sdwa v6, v7, s4 dst_sel:DWORD dst_unused:UNUSED_PAD src0_sel:WORD_1 src1_sel:DWORD
	s_movk_i32 s4, 0x7f
	v_cmp_lt_i16_e32 vcc, s4, v6
	s_mov_b64 s[4:5], 0
                                        ; implicit-def: $sgpr10
	s_and_saveexec_b64 s[6:7], vcc
	s_xor_b64 s[6:7], exec, s[6:7]
	s_cbranch_execnz .LBB29_3505
; %bb.1457:
	s_or_saveexec_b64 s[6:7], s[6:7]
	v_mov_b32_e32 v2, s10
	s_xor_b64 exec, exec, s[6:7]
	s_cbranch_execnz .LBB29_3508
.LBB29_1458:
	s_or_b64 exec, exec, s[6:7]
	s_and_saveexec_b64 s[6:7], s[4:5]
	s_cbranch_execz .LBB29_1460
.LBB29_1459:
	v_bfe_u32 v2, v7, 16, 3
	v_ffbh_u32_e32 v11, v2
	v_min_u32_e32 v11, 32, v11
	v_lshrrev_b32_e32 v6, 19, v7
	v_subrev_u32_e32 v12, 28, v11
	v_and_b32_e32 v6, 15, v6
	v_lshlrev_b32_sdwa v12, v12, v7 dst_sel:DWORD dst_unused:UNUSED_PAD src0_sel:DWORD src1_sel:WORD_1
	v_bfe_u32 v10, v7, 19, 4
	v_sub_u32_e32 v11, 29, v11
	v_and_b32_e32 v12, 7, v12
	v_cmp_eq_u16_e32 vcc, 0, v6
	v_cndmask_b32_e32 v2, v2, v12, vcc
	v_cndmask_b32_e32 v6, v10, v11, vcc
	v_lshlrev_b32_e32 v10, 8, v7
	v_mov_b32_e32 v11, 0x3b800000
	v_lshlrev_b32_e32 v2, 20, v2
	v_and_b32_e32 v10, 0x80000000, v10
	v_lshl_add_u32 v6, v6, 23, v11
	v_or3_b32 v2, v10, v6, v2
.LBB29_1460:
	s_or_b64 exec, exec, s[6:7]
	s_movk_i32 s4, 0xff
	v_and_b32_sdwa v6, v3, s4 dst_sel:DWORD dst_unused:UNUSED_PAD src0_sel:WORD_1 src1_sel:DWORD
	s_movk_i32 s4, 0x7f
	v_cmp_lt_i16_e32 vcc, s4, v6
	s_mov_b64 s[4:5], 0
                                        ; implicit-def: $sgpr10
	s_and_saveexec_b64 s[6:7], vcc
	s_xor_b64 s[6:7], exec, s[6:7]
	s_cbranch_execnz .LBB29_3509
; %bb.1461:
	s_or_saveexec_b64 s[6:7], s[6:7]
	v_mov_b32_e32 v10, s10
	s_xor_b64 exec, exec, s[6:7]
	s_cbranch_execnz .LBB29_3512
.LBB29_1462:
	s_or_b64 exec, exec, s[6:7]
	s_and_saveexec_b64 s[6:7], s[4:5]
	s_cbranch_execz .LBB29_1464
.LBB29_1463:
	v_bfe_u32 v6, v3, 16, 3
	v_ffbh_u32_e32 v12, v6
	v_min_u32_e32 v12, 32, v12
	v_lshrrev_b32_e32 v10, 19, v3
	v_subrev_u32_e32 v13, 28, v12
	v_and_b32_e32 v10, 15, v10
	v_lshlrev_b32_sdwa v13, v13, v3 dst_sel:DWORD dst_unused:UNUSED_PAD src0_sel:DWORD src1_sel:WORD_1
	v_bfe_u32 v11, v3, 19, 4
	v_sub_u32_e32 v12, 29, v12
	v_and_b32_e32 v13, 7, v13
	v_cmp_eq_u16_e32 vcc, 0, v10
	v_cndmask_b32_e32 v6, v6, v13, vcc
	v_cndmask_b32_e32 v10, v11, v12, vcc
	v_lshlrev_b32_e32 v11, 8, v3
	v_mov_b32_e32 v12, 0x3b800000
	v_lshlrev_b32_e32 v6, 20, v6
	v_and_b32_e32 v11, 0x80000000, v11
	v_lshl_add_u32 v10, v10, 23, v12
	v_or3_b32 v10, v11, v10, v6
.LBB29_1464:
	s_or_b64 exec, exec, s[6:7]
	s_nop 0
	v_mfma_f32_16x16x4f32 a[0:3], v2, v10, a[0:3]
	s_movk_i32 s4, 0x7f
	v_cmp_gt_i16_sdwa s[6:7], v7, s4 src0_sel:BYTE_3 src1_sel:DWORD
	s_mov_b64 s[4:5], 0
                                        ; implicit-def: $sgpr10
	s_and_saveexec_b64 s[8:9], s[6:7]
	s_xor_b64 s[6:7], exec, s[8:9]
	s_cbranch_execnz .LBB29_3513
; %bb.1465:
	s_or_saveexec_b64 s[6:7], s[6:7]
	v_mov_b32_e32 v2, s10
	s_xor_b64 exec, exec, s[6:7]
	s_cbranch_execnz .LBB29_3516
.LBB29_1466:
	s_or_b64 exec, exec, s[6:7]
	s_and_saveexec_b64 s[6:7], s[4:5]
	s_cbranch_execz .LBB29_1468
.LBB29_1467:
	v_bfe_u32 v2, v7, 24, 3
	v_ffbh_u32_e32 v12, v2
	v_min_u32_e32 v12, 32, v12
	v_lshrrev_b32_e32 v10, 27, v7
	v_subrev_u32_e32 v13, 28, v12
	v_and_b32_e32 v6, 0x80000000, v7
	v_and_b32_e32 v10, 15, v10
	v_bfe_u32 v11, v7, 27, 4
	v_lshlrev_b32_sdwa v7, v13, v7 dst_sel:DWORD dst_unused:UNUSED_PAD src0_sel:DWORD src1_sel:BYTE_3
	v_sub_u32_e32 v12, 29, v12
	v_and_b32_e32 v7, 7, v7
	v_cmp_eq_u16_e32 vcc, 0, v10
	v_cndmask_b32_e32 v2, v2, v7, vcc
	v_cndmask_b32_e32 v7, v11, v12, vcc
	v_mov_b32_e32 v10, 0x3b800000
	v_lshlrev_b32_e32 v2, 20, v2
	v_lshl_add_u32 v7, v7, 23, v10
	v_or3_b32 v2, v6, v7, v2
.LBB29_1468:
	s_or_b64 exec, exec, s[6:7]
	s_movk_i32 s4, 0x7f
	v_cmp_gt_i16_sdwa s[6:7], v3, s4 src0_sel:BYTE_3 src1_sel:DWORD
	s_mov_b64 s[4:5], 0
                                        ; implicit-def: $sgpr10
	s_and_saveexec_b64 s[8:9], s[6:7]
	s_xor_b64 s[6:7], exec, s[8:9]
	s_cbranch_execnz .LBB29_3517
; %bb.1469:
	s_or_saveexec_b64 s[6:7], s[6:7]
	v_mov_b32_e32 v6, s10
	s_xor_b64 exec, exec, s[6:7]
	s_cbranch_execnz .LBB29_3520
.LBB29_1470:
	s_or_b64 exec, exec, s[6:7]
	s_and_saveexec_b64 s[6:7], s[4:5]
	s_cbranch_execz .LBB29_1472
.LBB29_1471:
	v_bfe_u32 v6, v3, 24, 3
	v_ffbh_u32_e32 v12, v6
	v_min_u32_e32 v12, 32, v12
	v_lshrrev_b32_e32 v10, 27, v3
	v_subrev_u32_e32 v13, 28, v12
	v_and_b32_e32 v7, 0x80000000, v3
	v_and_b32_e32 v10, 15, v10
	v_bfe_u32 v11, v3, 27, 4
	v_lshlrev_b32_sdwa v3, v13, v3 dst_sel:DWORD dst_unused:UNUSED_PAD src0_sel:DWORD src1_sel:BYTE_3
	v_sub_u32_e32 v12, 29, v12
	v_and_b32_e32 v3, 7, v3
	v_cmp_eq_u16_e32 vcc, 0, v10
	v_cndmask_b32_e32 v3, v6, v3, vcc
	v_cndmask_b32_e32 v6, v11, v12, vcc
	v_mov_b32_e32 v10, 0x3b800000
	v_lshlrev_b32_e32 v3, 20, v3
	v_lshl_add_u32 v6, v6, 23, v10
	v_or3_b32 v6, v7, v6, v3
.LBB29_1472:
	s_or_b64 exec, exec, s[6:7]
	s_nop 0
	v_mfma_f32_16x16x4f32 a[0:3], v2, v6, a[0:3]
	s_movk_i32 s4, 0x7f
	v_cmp_gt_i16_sdwa s[6:7], v8, s4 src0_sel:BYTE_0 src1_sel:DWORD
	s_mov_b64 s[4:5], 0
                                        ; implicit-def: $sgpr10
	s_and_saveexec_b64 s[8:9], s[6:7]
	s_xor_b64 s[6:7], exec, s[8:9]
	s_cbranch_execnz .LBB29_3521
; %bb.1473:
	s_or_saveexec_b64 s[6:7], s[6:7]
	v_mov_b32_e32 v2, s10
	s_xor_b64 exec, exec, s[6:7]
	s_cbranch_execnz .LBB29_3524
.LBB29_1474:
	s_or_b64 exec, exec, s[6:7]
	s_and_saveexec_b64 s[6:7], s[4:5]
	s_cbranch_execz .LBB29_1476
.LBB29_1475:
	v_and_b32_e32 v2, 7, v8
	v_ffbh_u32_e32 v6, v2
	v_min_u32_e32 v6, 32, v6
	v_lshrrev_b16_e32 v3, 3, v8
	v_subrev_u32_e32 v7, 28, v6
	v_and_b32_e32 v3, 15, v3
	v_lshlrev_b32_e32 v7, v7, v8
	v_sub_u32_e32 v6, 29, v6
	v_and_b32_e32 v7, 7, v7
	v_cmp_eq_u16_e32 vcc, 0, v3
	v_cndmask_b32_e32 v2, v2, v7, vcc
	v_cndmask_b32_e32 v3, v3, v6, vcc
	v_lshlrev_b32_e32 v6, 24, v8
	v_mov_b32_e32 v7, 0x3b800000
	v_lshlrev_b32_e32 v2, 20, v2
	v_and_b32_e32 v6, 0x80000000, v6
	v_lshl_add_u32 v3, v3, 23, v7
	v_or3_b32 v2, v6, v3, v2
.LBB29_1476:
	s_or_b64 exec, exec, s[6:7]
	s_movk_i32 s4, 0x7f
	v_cmp_gt_i16_sdwa s[6:7], v4, s4 src0_sel:BYTE_0 src1_sel:DWORD
	s_mov_b64 s[4:5], 0
                                        ; implicit-def: $sgpr10
	s_and_saveexec_b64 s[8:9], s[6:7]
	s_xor_b64 s[6:7], exec, s[8:9]
	s_cbranch_execnz .LBB29_3525
; %bb.1477:
	s_or_saveexec_b64 s[6:7], s[6:7]
	v_mov_b32_e32 v3, s10
	s_xor_b64 exec, exec, s[6:7]
	s_cbranch_execnz .LBB29_3528
.LBB29_1478:
	s_or_b64 exec, exec, s[6:7]
	s_and_saveexec_b64 s[6:7], s[4:5]
	s_cbranch_execz .LBB29_1480
.LBB29_1479:
	v_and_b32_e32 v3, 7, v4
	v_ffbh_u32_e32 v7, v3
	v_min_u32_e32 v7, 32, v7
	v_lshrrev_b16_e32 v6, 3, v4
	v_subrev_u32_e32 v10, 28, v7
	v_and_b32_e32 v6, 15, v6
	v_lshlrev_b32_e32 v10, v10, v4
	v_sub_u32_e32 v7, 29, v7
	v_and_b32_e32 v10, 7, v10
	v_cmp_eq_u16_e32 vcc, 0, v6
	v_cndmask_b32_e32 v3, v3, v10, vcc
	v_cndmask_b32_e32 v6, v6, v7, vcc
	v_lshlrev_b32_e32 v7, 24, v4
	v_mov_b32_e32 v10, 0x3b800000
	v_lshlrev_b32_e32 v3, 20, v3
	v_and_b32_e32 v7, 0x80000000, v7
	v_lshl_add_u32 v6, v6, 23, v10
	v_or3_b32 v3, v7, v6, v3
.LBB29_1480:
	s_or_b64 exec, exec, s[6:7]
	s_nop 0
	v_mfma_f32_16x16x4f32 a[0:3], v2, v3, a[0:3]
	v_lshrrev_b32_e32 v3, 8, v8
	s_movk_i32 s4, 0x7f
	v_cmp_gt_i16_sdwa s[6:7], v3, s4 src0_sel:BYTE_0 src1_sel:DWORD
	s_mov_b64 s[4:5], 0
                                        ; implicit-def: $sgpr10
	s_and_saveexec_b64 s[8:9], s[6:7]
	s_xor_b64 s[6:7], exec, s[8:9]
	s_cbranch_execnz .LBB29_3529
; %bb.1481:
	s_or_saveexec_b64 s[6:7], s[6:7]
	v_mov_b32_e32 v2, s10
	s_xor_b64 exec, exec, s[6:7]
	s_cbranch_execnz .LBB29_3532
.LBB29_1482:
	s_or_b64 exec, exec, s[6:7]
	s_and_saveexec_b64 s[6:7], s[4:5]
	s_cbranch_execz .LBB29_1484
.LBB29_1483:
	v_bfe_u32 v2, v8, 8, 3
	v_ffbh_u32_e32 v7, v2
	v_min_u32_e32 v7, 32, v7
	v_lshrrev_b16_e32 v6, 3, v3
	v_subrev_u32_e32 v10, 28, v7
	v_and_b32_e32 v6, 15, v6
	v_lshlrev_b32_e32 v3, v10, v3
	v_sub_u32_e32 v7, 29, v7
	v_and_b32_e32 v3, 7, v3
	v_cmp_eq_u16_e32 vcc, 0, v6
	v_cndmask_b32_e32 v2, v2, v3, vcc
	v_cndmask_b32_e32 v3, v6, v7, vcc
	v_lshlrev_b32_e32 v6, 16, v8
	v_mov_b32_e32 v7, 0x3b800000
	v_lshlrev_b32_e32 v2, 20, v2
	v_and_b32_e32 v6, 0x80000000, v6
	v_lshl_add_u32 v3, v3, 23, v7
	v_or3_b32 v2, v6, v3, v2
.LBB29_1484:
	s_or_b64 exec, exec, s[6:7]
	v_lshrrev_b32_e32 v3, 8, v4
	s_movk_i32 s4, 0x7f
	v_cmp_gt_i16_sdwa s[6:7], v3, s4 src0_sel:BYTE_0 src1_sel:DWORD
	s_mov_b64 s[4:5], 0
                                        ; implicit-def: $sgpr10
	s_and_saveexec_b64 s[8:9], s[6:7]
	s_xor_b64 s[6:7], exec, s[8:9]
	s_cbranch_execnz .LBB29_3533
; %bb.1485:
	s_or_saveexec_b64 s[6:7], s[6:7]
	v_mov_b32_e32 v6, s10
	s_xor_b64 exec, exec, s[6:7]
	s_cbranch_execnz .LBB29_3536
.LBB29_1486:
	s_or_b64 exec, exec, s[6:7]
	s_and_saveexec_b64 s[6:7], s[4:5]
	s_cbranch_execz .LBB29_1488
.LBB29_1487:
	v_bfe_u32 v6, v4, 8, 3
	v_ffbh_u32_e32 v10, v6
	v_min_u32_e32 v10, 32, v10
	v_lshrrev_b16_e32 v7, 3, v3
	v_subrev_u32_e32 v11, 28, v10
	v_and_b32_e32 v7, 15, v7
	v_lshlrev_b32_e32 v3, v11, v3
	v_sub_u32_e32 v10, 29, v10
	v_and_b32_e32 v3, 7, v3
	v_cmp_eq_u16_e32 vcc, 0, v7
	v_cndmask_b32_e32 v3, v6, v3, vcc
	v_cndmask_b32_e32 v6, v7, v10, vcc
	v_lshlrev_b32_e32 v7, 16, v4
	v_mov_b32_e32 v10, 0x3b800000
	v_lshlrev_b32_e32 v3, 20, v3
	v_and_b32_e32 v7, 0x80000000, v7
	v_lshl_add_u32 v6, v6, 23, v10
	v_or3_b32 v6, v7, v6, v3
.LBB29_1488:
	s_or_b64 exec, exec, s[6:7]
	s_nop 0
	v_mfma_f32_16x16x4f32 a[0:3], v2, v6, a[0:3]
	s_movk_i32 s4, 0xff
	v_and_b32_sdwa v3, v8, s4 dst_sel:DWORD dst_unused:UNUSED_PAD src0_sel:WORD_1 src1_sel:DWORD
	s_movk_i32 s4, 0x7f
	v_cmp_lt_i16_e32 vcc, s4, v3
	s_mov_b64 s[4:5], 0
                                        ; implicit-def: $sgpr10
	s_and_saveexec_b64 s[6:7], vcc
	s_xor_b64 s[6:7], exec, s[6:7]
	s_cbranch_execnz .LBB29_3537
; %bb.1489:
	s_or_saveexec_b64 s[6:7], s[6:7]
	v_mov_b32_e32 v2, s10
	s_xor_b64 exec, exec, s[6:7]
	s_cbranch_execnz .LBB29_3540
.LBB29_1490:
	s_or_b64 exec, exec, s[6:7]
	s_and_saveexec_b64 s[6:7], s[4:5]
	s_cbranch_execz .LBB29_1492
.LBB29_1491:
	v_bfe_u32 v2, v8, 16, 3
	v_ffbh_u32_e32 v7, v2
	v_min_u32_e32 v7, 32, v7
	v_lshrrev_b32_e32 v3, 19, v8
	v_subrev_u32_e32 v10, 28, v7
	v_and_b32_e32 v3, 15, v3
	v_lshlrev_b32_sdwa v10, v10, v8 dst_sel:DWORD dst_unused:UNUSED_PAD src0_sel:DWORD src1_sel:WORD_1
	v_bfe_u32 v6, v8, 19, 4
	v_sub_u32_e32 v7, 29, v7
	v_and_b32_e32 v10, 7, v10
	v_cmp_eq_u16_e32 vcc, 0, v3
	v_cndmask_b32_e32 v2, v2, v10, vcc
	v_cndmask_b32_e32 v3, v6, v7, vcc
	v_lshlrev_b32_e32 v6, 8, v8
	v_mov_b32_e32 v7, 0x3b800000
	v_lshlrev_b32_e32 v2, 20, v2
	v_and_b32_e32 v6, 0x80000000, v6
	v_lshl_add_u32 v3, v3, 23, v7
	v_or3_b32 v2, v6, v3, v2
.LBB29_1492:
	s_or_b64 exec, exec, s[6:7]
	s_movk_i32 s4, 0xff
	v_and_b32_sdwa v3, v4, s4 dst_sel:DWORD dst_unused:UNUSED_PAD src0_sel:WORD_1 src1_sel:DWORD
	s_movk_i32 s4, 0x7f
	v_cmp_lt_i16_e32 vcc, s4, v3
	s_mov_b64 s[4:5], 0
                                        ; implicit-def: $sgpr10
	s_and_saveexec_b64 s[6:7], vcc
	s_xor_b64 s[6:7], exec, s[6:7]
	s_cbranch_execnz .LBB29_3541
; %bb.1493:
	s_or_saveexec_b64 s[6:7], s[6:7]
	v_mov_b32_e32 v6, s10
	s_xor_b64 exec, exec, s[6:7]
	s_cbranch_execnz .LBB29_3544
.LBB29_1494:
	s_or_b64 exec, exec, s[6:7]
	s_and_saveexec_b64 s[6:7], s[4:5]
	s_cbranch_execz .LBB29_1496
.LBB29_1495:
	v_bfe_u32 v3, v4, 16, 3
	v_ffbh_u32_e32 v10, v3
	v_min_u32_e32 v10, 32, v10
	v_lshrrev_b32_e32 v6, 19, v4
	v_subrev_u32_e32 v11, 28, v10
	v_and_b32_e32 v6, 15, v6
	v_lshlrev_b32_sdwa v11, v11, v4 dst_sel:DWORD dst_unused:UNUSED_PAD src0_sel:DWORD src1_sel:WORD_1
	v_bfe_u32 v7, v4, 19, 4
	v_sub_u32_e32 v10, 29, v10
	v_and_b32_e32 v11, 7, v11
	v_cmp_eq_u16_e32 vcc, 0, v6
	v_cndmask_b32_e32 v3, v3, v11, vcc
	v_cndmask_b32_e32 v6, v7, v10, vcc
	v_lshlrev_b32_e32 v7, 8, v4
	v_mov_b32_e32 v10, 0x3b800000
	v_lshlrev_b32_e32 v3, 20, v3
	v_and_b32_e32 v7, 0x80000000, v7
	v_lshl_add_u32 v6, v6, 23, v10
	v_or3_b32 v6, v7, v6, v3
.LBB29_1496:
	s_or_b64 exec, exec, s[6:7]
	s_nop 0
	v_mfma_f32_16x16x4f32 a[0:3], v2, v6, a[0:3]
	s_movk_i32 s4, 0x7f
	v_cmp_gt_i16_sdwa s[6:7], v8, s4 src0_sel:BYTE_3 src1_sel:DWORD
	s_mov_b64 s[4:5], 0
                                        ; implicit-def: $sgpr10
	s_and_saveexec_b64 s[8:9], s[6:7]
	s_xor_b64 s[6:7], exec, s[8:9]
	s_cbranch_execnz .LBB29_3545
; %bb.1497:
	s_or_saveexec_b64 s[6:7], s[6:7]
	v_mov_b32_e32 v2, s10
	s_xor_b64 exec, exec, s[6:7]
	s_cbranch_execnz .LBB29_3548
.LBB29_1498:
	s_or_b64 exec, exec, s[6:7]
	s_and_saveexec_b64 s[6:7], s[4:5]
	s_cbranch_execz .LBB29_1500
.LBB29_1499:
	v_bfe_u32 v2, v8, 24, 3
	v_ffbh_u32_e32 v10, v2
	v_min_u32_e32 v10, 32, v10
	v_lshrrev_b32_e32 v6, 27, v8
	v_subrev_u32_e32 v11, 28, v10
	v_and_b32_e32 v3, 0x80000000, v8
	v_and_b32_e32 v6, 15, v6
	v_bfe_u32 v7, v8, 27, 4
	v_lshlrev_b32_sdwa v8, v11, v8 dst_sel:DWORD dst_unused:UNUSED_PAD src0_sel:DWORD src1_sel:BYTE_3
	v_sub_u32_e32 v10, 29, v10
	v_and_b32_e32 v8, 7, v8
	v_cmp_eq_u16_e32 vcc, 0, v6
	v_cndmask_b32_e32 v2, v2, v8, vcc
	v_cndmask_b32_e32 v6, v7, v10, vcc
	v_mov_b32_e32 v7, 0x3b800000
	v_lshlrev_b32_e32 v2, 20, v2
	v_lshl_add_u32 v6, v6, 23, v7
	v_or3_b32 v2, v3, v6, v2
.LBB29_1500:
	s_or_b64 exec, exec, s[6:7]
	s_movk_i32 s4, 0x7f
	v_cmp_gt_i16_sdwa s[6:7], v4, s4 src0_sel:BYTE_3 src1_sel:DWORD
	s_mov_b64 s[4:5], 0
                                        ; implicit-def: $sgpr10
	s_and_saveexec_b64 s[8:9], s[6:7]
	s_xor_b64 s[6:7], exec, s[8:9]
	s_cbranch_execnz .LBB29_3549
; %bb.1501:
	s_or_saveexec_b64 s[6:7], s[6:7]
	v_mov_b32_e32 v3, s10
	s_xor_b64 exec, exec, s[6:7]
	s_cbranch_execnz .LBB29_3552
.LBB29_1502:
	s_or_b64 exec, exec, s[6:7]
	s_and_saveexec_b64 s[6:7], s[4:5]
	s_cbranch_execz .LBB29_1504
.LBB29_1503:
	v_bfe_u32 v3, v4, 24, 3
	v_ffbh_u32_e32 v10, v3
	v_min_u32_e32 v10, 32, v10
	v_lshrrev_b32_e32 v7, 27, v4
	v_subrev_u32_e32 v11, 28, v10
	v_and_b32_e32 v6, 0x80000000, v4
	v_and_b32_e32 v7, 15, v7
	v_bfe_u32 v8, v4, 27, 4
	v_lshlrev_b32_sdwa v4, v11, v4 dst_sel:DWORD dst_unused:UNUSED_PAD src0_sel:DWORD src1_sel:BYTE_3
	v_sub_u32_e32 v10, 29, v10
	v_and_b32_e32 v4, 7, v4
	v_cmp_eq_u16_e32 vcc, 0, v7
	v_cndmask_b32_e32 v3, v3, v4, vcc
	v_cndmask_b32_e32 v4, v8, v10, vcc
	v_mov_b32_e32 v7, 0x3b800000
	v_lshlrev_b32_e32 v3, 20, v3
	v_lshl_add_u32 v4, v4, 23, v7
	v_or3_b32 v3, v6, v4, v3
.LBB29_1504:
	s_or_b64 exec, exec, s[6:7]
	s_nop 0
	v_mfma_f32_16x16x4f32 a[0:3], v2, v3, a[0:3]
	s_movk_i32 s4, 0x7f
	v_cmp_gt_i16_sdwa s[6:7], v9, s4 src0_sel:BYTE_0 src1_sel:DWORD
	s_mov_b64 s[4:5], 0
                                        ; implicit-def: $sgpr10
	s_and_saveexec_b64 s[8:9], s[6:7]
	s_xor_b64 s[6:7], exec, s[8:9]
	s_cbranch_execnz .LBB29_3553
; %bb.1505:
	s_or_saveexec_b64 s[6:7], s[6:7]
	v_mov_b32_e32 v2, s10
	s_xor_b64 exec, exec, s[6:7]
	s_cbranch_execnz .LBB29_3556
.LBB29_1506:
	s_or_b64 exec, exec, s[6:7]
	s_and_saveexec_b64 s[6:7], s[4:5]
	s_cbranch_execz .LBB29_1508
.LBB29_1507:
	v_mov_b32_e32 v2, 8
	v_and_b32_e32 v3, 7, v9
	v_lshrrev_b32_sdwa v2, v2, v9 dst_sel:BYTE_1 dst_unused:UNUSED_PAD src0_sel:DWORD src1_sel:DWORD
	v_ffbh_u32_e32 v4, v3
	v_or_b32_sdwa v2, v9, v2 dst_sel:DWORD dst_unused:UNUSED_PAD src0_sel:BYTE_0 src1_sel:DWORD
	v_min_u32_e32 v4, 32, v4
	v_lshrrev_b16_e32 v2, 3, v2
	v_subrev_u32_e32 v6, 28, v4
	v_and_b32_e32 v2, 15, v2
	v_lshlrev_b32_e32 v6, v6, v9
	v_sub_u32_e32 v4, 29, v4
	v_and_b32_e32 v6, 7, v6
	v_cmp_eq_u16_e32 vcc, 0, v2
	v_cndmask_b32_e32 v3, v3, v6, vcc
	v_cndmask_b32_e32 v2, v2, v4, vcc
	v_lshlrev_b32_e32 v4, 24, v9
	v_mov_b32_e32 v6, 0x3b800000
	v_lshlrev_b32_e32 v3, 20, v3
	v_and_b32_e32 v4, 0x80000000, v4
	v_lshl_add_u32 v2, v2, 23, v6
	v_or3_b32 v2, v4, v2, v3
.LBB29_1508:
	s_or_b64 exec, exec, s[6:7]
	s_movk_i32 s4, 0x7f
	v_cmp_gt_i16_sdwa s[6:7], v5, s4 src0_sel:BYTE_0 src1_sel:DWORD
	s_mov_b64 s[4:5], 0
                                        ; implicit-def: $sgpr10
	s_and_saveexec_b64 s[8:9], s[6:7]
	s_xor_b64 s[6:7], exec, s[8:9]
	s_cbranch_execnz .LBB29_3557
; %bb.1509:
	s_or_saveexec_b64 s[6:7], s[6:7]
	v_mov_b32_e32 v3, s10
	s_xor_b64 exec, exec, s[6:7]
	s_cbranch_execnz .LBB29_3560
.LBB29_1510:
	s_or_b64 exec, exec, s[6:7]
	s_and_saveexec_b64 s[6:7], s[4:5]
	s_cbranch_execz .LBB29_1512
.LBB29_1511:
	v_mov_b32_e32 v3, 8
	v_and_b32_e32 v4, 7, v5
	v_lshrrev_b32_sdwa v3, v3, v5 dst_sel:BYTE_1 dst_unused:UNUSED_PAD src0_sel:DWORD src1_sel:DWORD
	v_ffbh_u32_e32 v6, v4
	v_or_b32_sdwa v3, v5, v3 dst_sel:DWORD dst_unused:UNUSED_PAD src0_sel:BYTE_0 src1_sel:DWORD
	v_min_u32_e32 v6, 32, v6
	v_lshrrev_b16_e32 v3, 3, v3
	v_subrev_u32_e32 v7, 28, v6
	v_and_b32_e32 v3, 15, v3
	v_lshlrev_b32_e32 v7, v7, v5
	v_sub_u32_e32 v6, 29, v6
	v_and_b32_e32 v7, 7, v7
	v_cmp_eq_u16_e32 vcc, 0, v3
	v_cndmask_b32_e32 v4, v4, v7, vcc
	v_cndmask_b32_e32 v3, v3, v6, vcc
	v_lshlrev_b32_e32 v6, 24, v5
	v_mov_b32_e32 v7, 0x3b800000
	v_lshlrev_b32_e32 v4, 20, v4
	v_and_b32_e32 v6, 0x80000000, v6
	v_lshl_add_u32 v3, v3, 23, v7
	v_or3_b32 v3, v6, v3, v4
.LBB29_1512:
	s_or_b64 exec, exec, s[6:7]
	s_nop 0
	v_mfma_f32_16x16x4f32 a[0:3], v2, v3, a[0:3]
	v_lshrrev_b32_e32 v3, 8, v9
	s_movk_i32 s4, 0x7f
	v_cmp_gt_i16_sdwa s[6:7], v3, s4 src0_sel:BYTE_0 src1_sel:DWORD
	s_mov_b64 s[4:5], 0
                                        ; implicit-def: $sgpr10
	s_and_saveexec_b64 s[8:9], s[6:7]
	s_xor_b64 s[6:7], exec, s[8:9]
	s_cbranch_execnz .LBB29_3561
; %bb.1513:
	s_or_saveexec_b64 s[6:7], s[6:7]
	v_mov_b32_e32 v2, s10
	s_xor_b64 exec, exec, s[6:7]
	s_cbranch_execnz .LBB29_3564
.LBB29_1514:
	s_or_b64 exec, exec, s[6:7]
	s_and_saveexec_b64 s[6:7], s[4:5]
	s_cbranch_execz .LBB29_1516
.LBB29_1515:
	v_bfe_u32 v2, v9, 8, 3
	v_ffbh_u32_e32 v6, v2
	v_min_u32_e32 v6, 32, v6
	v_lshrrev_b16_e32 v4, 3, v3
	v_subrev_u32_e32 v7, 28, v6
	v_and_b32_e32 v4, 15, v4
	v_lshlrev_b32_e32 v3, v7, v3
	v_sub_u32_e32 v6, 29, v6
	v_and_b32_e32 v3, 7, v3
	v_cmp_eq_u16_e32 vcc, 0, v4
	v_cndmask_b32_e32 v2, v2, v3, vcc
	v_cndmask_b32_e32 v3, v4, v6, vcc
	v_lshlrev_b32_e32 v4, 16, v9
	v_mov_b32_e32 v6, 0x3b800000
	v_lshlrev_b32_e32 v2, 20, v2
	v_and_b32_e32 v4, 0x80000000, v4
	v_lshl_add_u32 v3, v3, 23, v6
	v_or3_b32 v2, v4, v3, v2
.LBB29_1516:
	s_or_b64 exec, exec, s[6:7]
	v_lshrrev_b32_e32 v3, 8, v5
	s_movk_i32 s4, 0x7f
	v_cmp_gt_i16_sdwa s[6:7], v3, s4 src0_sel:BYTE_0 src1_sel:DWORD
	s_mov_b64 s[4:5], 0
                                        ; implicit-def: $sgpr10
	s_and_saveexec_b64 s[8:9], s[6:7]
	s_xor_b64 s[6:7], exec, s[8:9]
	s_cbranch_execnz .LBB29_3565
; %bb.1517:
	s_or_saveexec_b64 s[6:7], s[6:7]
	v_mov_b32_e32 v4, s10
	s_xor_b64 exec, exec, s[6:7]
	s_cbranch_execnz .LBB29_3568
.LBB29_1518:
	s_or_b64 exec, exec, s[6:7]
	s_and_saveexec_b64 s[6:7], s[4:5]
	s_cbranch_execz .LBB29_1520
.LBB29_1519:
	v_bfe_u32 v4, v5, 8, 3
	v_ffbh_u32_e32 v7, v4
	v_min_u32_e32 v7, 32, v7
	v_lshrrev_b16_e32 v6, 3, v3
	v_subrev_u32_e32 v8, 28, v7
	v_and_b32_e32 v6, 15, v6
	v_lshlrev_b32_e32 v3, v8, v3
	v_sub_u32_e32 v7, 29, v7
	v_and_b32_e32 v3, 7, v3
	v_cmp_eq_u16_e32 vcc, 0, v6
	v_cndmask_b32_e32 v3, v4, v3, vcc
	v_cndmask_b32_e32 v4, v6, v7, vcc
	v_lshlrev_b32_e32 v6, 16, v5
	v_mov_b32_e32 v7, 0x3b800000
	v_lshlrev_b32_e32 v3, 20, v3
	v_and_b32_e32 v6, 0x80000000, v6
	v_lshl_add_u32 v4, v4, 23, v7
	v_or3_b32 v4, v6, v4, v3
.LBB29_1520:
	s_or_b64 exec, exec, s[6:7]
	s_nop 0
	v_mfma_f32_16x16x4f32 a[0:3], v2, v4, a[0:3]
	s_movk_i32 s4, 0xff
	v_and_b32_sdwa v3, v9, s4 dst_sel:DWORD dst_unused:UNUSED_PAD src0_sel:WORD_1 src1_sel:DWORD
	s_movk_i32 s4, 0x7f
	v_cmp_lt_i16_e32 vcc, s4, v3
	s_mov_b64 s[4:5], 0
                                        ; implicit-def: $sgpr10
	s_and_saveexec_b64 s[6:7], vcc
	s_xor_b64 s[6:7], exec, s[6:7]
	s_cbranch_execnz .LBB29_3569
; %bb.1521:
	s_or_saveexec_b64 s[6:7], s[6:7]
	v_mov_b32_e32 v2, s10
	s_xor_b64 exec, exec, s[6:7]
	s_cbranch_execnz .LBB29_3572
.LBB29_1522:
	s_or_b64 exec, exec, s[6:7]
	s_and_saveexec_b64 s[6:7], s[4:5]
	s_cbranch_execz .LBB29_1524
.LBB29_1523:
	v_bfe_u32 v2, v9, 16, 3
	v_ffbh_u32_e32 v6, v2
	v_min_u32_e32 v6, 32, v6
	v_lshrrev_b32_e32 v3, 19, v9
	v_subrev_u32_e32 v7, 28, v6
	v_and_b32_e32 v3, 15, v3
	v_lshlrev_b32_sdwa v7, v7, v9 dst_sel:DWORD dst_unused:UNUSED_PAD src0_sel:DWORD src1_sel:WORD_1
	v_bfe_u32 v4, v9, 19, 4
	v_sub_u32_e32 v6, 29, v6
	v_and_b32_e32 v7, 7, v7
	v_cmp_eq_u16_e32 vcc, 0, v3
	v_cndmask_b32_e32 v2, v2, v7, vcc
	v_cndmask_b32_e32 v3, v4, v6, vcc
	v_lshlrev_b32_e32 v4, 8, v9
	v_mov_b32_e32 v6, 0x3b800000
	v_lshlrev_b32_e32 v2, 20, v2
	v_and_b32_e32 v4, 0x80000000, v4
	v_lshl_add_u32 v3, v3, 23, v6
	v_or3_b32 v2, v4, v3, v2
.LBB29_1524:
	s_or_b64 exec, exec, s[6:7]
	s_movk_i32 s4, 0xff
	v_and_b32_sdwa v3, v5, s4 dst_sel:DWORD dst_unused:UNUSED_PAD src0_sel:WORD_1 src1_sel:DWORD
	s_movk_i32 s4, 0x7f
	v_cmp_lt_i16_e32 vcc, s4, v3
	s_mov_b64 s[4:5], 0
                                        ; implicit-def: $sgpr10
	s_and_saveexec_b64 s[6:7], vcc
	s_xor_b64 s[6:7], exec, s[6:7]
	s_cbranch_execnz .LBB29_3573
; %bb.1525:
	s_or_saveexec_b64 s[6:7], s[6:7]
	v_mov_b32_e32 v4, s10
	s_xor_b64 exec, exec, s[6:7]
	s_cbranch_execnz .LBB29_3576
.LBB29_1526:
	s_or_b64 exec, exec, s[6:7]
	s_and_saveexec_b64 s[6:7], s[4:5]
	s_cbranch_execz .LBB29_1528
.LBB29_1527:
	v_bfe_u32 v3, v5, 16, 3
	v_ffbh_u32_e32 v7, v3
	v_min_u32_e32 v7, 32, v7
	v_lshrrev_b32_e32 v4, 19, v5
	v_subrev_u32_e32 v8, 28, v7
	v_and_b32_e32 v4, 15, v4
	v_lshlrev_b32_sdwa v8, v8, v5 dst_sel:DWORD dst_unused:UNUSED_PAD src0_sel:DWORD src1_sel:WORD_1
	v_bfe_u32 v6, v5, 19, 4
	v_sub_u32_e32 v7, 29, v7
	v_and_b32_e32 v8, 7, v8
	v_cmp_eq_u16_e32 vcc, 0, v4
	v_cndmask_b32_e32 v3, v3, v8, vcc
	v_cndmask_b32_e32 v4, v6, v7, vcc
	v_lshlrev_b32_e32 v6, 8, v5
	v_mov_b32_e32 v7, 0x3b800000
	v_lshlrev_b32_e32 v3, 20, v3
	v_and_b32_e32 v6, 0x80000000, v6
	v_lshl_add_u32 v4, v4, 23, v7
	v_or3_b32 v4, v6, v4, v3
.LBB29_1528:
	s_or_b64 exec, exec, s[6:7]
	s_nop 0
	v_mfma_f32_16x16x4f32 a[0:3], v2, v4, a[0:3]
	s_movk_i32 s4, 0x7f
	v_cmp_gt_i16_sdwa s[6:7], v9, s4 src0_sel:BYTE_3 src1_sel:DWORD
	s_mov_b64 s[4:5], 0
                                        ; implicit-def: $sgpr10
	s_and_saveexec_b64 s[8:9], s[6:7]
	s_xor_b64 s[6:7], exec, s[8:9]
	s_cbranch_execnz .LBB29_3577
; %bb.1529:
	s_or_saveexec_b64 s[6:7], s[6:7]
	v_mov_b32_e32 v2, s10
	s_xor_b64 exec, exec, s[6:7]
	s_cbranch_execnz .LBB29_3580
.LBB29_1530:
	s_or_b64 exec, exec, s[6:7]
	s_and_saveexec_b64 s[6:7], s[4:5]
	s_cbranch_execz .LBB29_1532
.LBB29_1531:
	v_bfe_u32 v2, v9, 24, 3
	v_ffbh_u32_e32 v7, v2
	v_min_u32_e32 v7, 32, v7
	v_lshrrev_b32_e32 v4, 27, v9
	v_subrev_u32_e32 v8, 28, v7
	v_and_b32_e32 v4, 15, v4
	v_lshlrev_b32_sdwa v8, v8, v9 dst_sel:DWORD dst_unused:UNUSED_PAD src0_sel:DWORD src1_sel:BYTE_3
	v_bfe_u32 v6, v9, 27, 4
	v_sub_u32_e32 v7, 29, v7
	v_and_b32_e32 v8, 7, v8
	v_cmp_eq_u16_e32 vcc, 0, v4
	v_cndmask_b32_e32 v2, v2, v8, vcc
	v_cndmask_b32_e32 v4, v6, v7, vcc
	v_mov_b32_e32 v6, 0x3b800000
	v_and_b32_e32 v3, 0x80000000, v9
	v_lshlrev_b32_e32 v2, 20, v2
	v_lshl_add_u32 v4, v4, 23, v6
	v_or3_b32 v2, v3, v4, v2
.LBB29_1532:
	s_or_b64 exec, exec, s[6:7]
	s_movk_i32 s4, 0x7f
	v_cmp_gt_i16_sdwa s[6:7], v5, s4 src0_sel:BYTE_3 src1_sel:DWORD
	s_mov_b64 s[4:5], 0
                                        ; implicit-def: $sgpr10
	s_and_saveexec_b64 s[8:9], s[6:7]
	s_xor_b64 s[6:7], exec, s[8:9]
	s_cbranch_execnz .LBB29_3581
; %bb.1533:
	s_or_saveexec_b64 s[6:7], s[6:7]
	v_mov_b32_e32 v3, s10
	s_xor_b64 exec, exec, s[6:7]
	s_cbranch_execnz .LBB29_3584
.LBB29_1534:
	s_or_b64 exec, exec, s[6:7]
	s_and_saveexec_b64 s[6:7], s[4:5]
	s_cbranch_execz .LBB29_1536
.LBB29_1535:
	v_bfe_u32 v3, v5, 24, 3
	v_ffbh_u32_e32 v8, v3
	v_min_u32_e32 v8, 32, v8
	v_lshrrev_b32_e32 v6, 27, v5
	v_subrev_u32_e32 v9, 28, v8
	v_and_b32_e32 v4, 0x80000000, v5
	v_and_b32_e32 v6, 15, v6
	v_bfe_u32 v7, v5, 27, 4
	v_lshlrev_b32_sdwa v5, v9, v5 dst_sel:DWORD dst_unused:UNUSED_PAD src0_sel:DWORD src1_sel:BYTE_3
	v_sub_u32_e32 v8, 29, v8
	v_and_b32_e32 v5, 7, v5
	v_cmp_eq_u16_e32 vcc, 0, v6
	v_cndmask_b32_e32 v3, v3, v5, vcc
	v_cndmask_b32_e32 v5, v7, v8, vcc
	v_mov_b32_e32 v6, 0x3b800000
	v_lshlrev_b32_e32 v3, 20, v3
	v_lshl_add_u32 v5, v5, 23, v6
	v_or3_b32 v3, v4, v5, v3
.LBB29_1536:
	s_or_b64 exec, exec, s[6:7]
	s_nop 0
	v_mfma_f32_16x16x4f32 a[0:3], v2, v3, a[0:3]
	s_movk_i32 s4, 0x7f
                                        ; implicit-def: $sgpr10
	s_nop 7
	s_nop 1
	flat_store_dwordx4 v[18:19], a[0:3] offset:208
	flat_load_dwordx4 v[20:23], v[0:1] offset:16
	s_nop 0
	flat_load_dwordx2 v[18:19], v[0:1] offset:32
	s_waitcnt vmcnt(0) lgkmcnt(0)
	flat_load_dwordx4 v[14:17], v[20:21] offset:32
	flat_load_dwordx4 v[6:9], v[20:21] offset:48
	;; [unrolled: 1-line block ×4, first 2 shown]
	s_waitcnt vmcnt(0) lgkmcnt(0)
	v_cmp_gt_i16_sdwa s[6:7], v14, s4 src0_sel:BYTE_0 src1_sel:DWORD
	s_mov_b64 s[4:5], 0
	s_and_saveexec_b64 s[8:9], s[6:7]
	s_xor_b64 s[6:7], exec, s[8:9]
	s_cbranch_execnz .LBB29_3585
; %bb.1537:
	s_or_saveexec_b64 s[6:7], s[6:7]
	v_mov_b32_e32 v20, s10
	s_xor_b64 exec, exec, s[6:7]
	s_cbranch_execnz .LBB29_3588
.LBB29_1538:
	s_or_b64 exec, exec, s[6:7]
	s_and_saveexec_b64 s[6:7], s[4:5]
	s_cbranch_execz .LBB29_1540
.LBB29_1539:
	v_and_b32_e32 v20, 7, v14
	v_ffbh_u32_e32 v22, v20
	v_min_u32_e32 v22, 32, v22
	v_lshrrev_b16_e32 v21, 3, v14
	v_subrev_u32_e32 v23, 28, v22
	v_and_b32_e32 v21, 15, v21
	v_lshlrev_b32_e32 v23, v23, v14
	v_sub_u32_e32 v22, 29, v22
	v_and_b32_e32 v23, 7, v23
	v_cmp_eq_u16_e32 vcc, 0, v21
	v_cndmask_b32_e32 v20, v20, v23, vcc
	v_cndmask_b32_e32 v21, v21, v22, vcc
	v_lshlrev_b32_e32 v22, 24, v14
	v_mov_b32_e32 v23, 0x3b800000
	v_lshlrev_b32_e32 v20, 20, v20
	v_and_b32_e32 v22, 0x80000000, v22
	v_lshl_add_u32 v21, v21, 23, v23
	v_or3_b32 v20, v22, v21, v20
.LBB29_1540:
	s_or_b64 exec, exec, s[6:7]
	s_movk_i32 s4, 0x7f
	v_cmp_gt_i16_sdwa s[6:7], v10, s4 src0_sel:BYTE_0 src1_sel:DWORD
	s_mov_b64 s[4:5], 0
                                        ; implicit-def: $sgpr10
	s_and_saveexec_b64 s[8:9], s[6:7]
	s_xor_b64 s[6:7], exec, s[8:9]
	s_cbranch_execnz .LBB29_3589
; %bb.1541:
	s_or_saveexec_b64 s[6:7], s[6:7]
	v_mov_b32_e32 v21, s10
	s_xor_b64 exec, exec, s[6:7]
	s_cbranch_execnz .LBB29_3592
.LBB29_1542:
	s_or_b64 exec, exec, s[6:7]
	s_and_saveexec_b64 s[6:7], s[4:5]
	s_cbranch_execz .LBB29_1544
.LBB29_1543:
	v_and_b32_e32 v21, 7, v10
	v_ffbh_u32_e32 v23, v21
	v_min_u32_e32 v23, 32, v23
	v_lshrrev_b16_e32 v22, 3, v10
	v_subrev_u32_e32 v24, 28, v23
	v_and_b32_e32 v22, 15, v22
	v_lshlrev_b32_e32 v24, v24, v10
	v_sub_u32_e32 v23, 29, v23
	v_and_b32_e32 v24, 7, v24
	v_cmp_eq_u16_e32 vcc, 0, v22
	v_cndmask_b32_e32 v21, v21, v24, vcc
	v_cndmask_b32_e32 v22, v22, v23, vcc
	v_lshlrev_b32_e32 v23, 24, v10
	v_mov_b32_e32 v24, 0x3b800000
	v_lshlrev_b32_e32 v21, 20, v21
	v_and_b32_e32 v23, 0x80000000, v23
	v_lshl_add_u32 v22, v22, 23, v24
	v_or3_b32 v21, v23, v22, v21
.LBB29_1544:
	s_or_b64 exec, exec, s[6:7]
	flat_load_dwordx4 a[0:3], v[18:19] offset:224
	s_movk_i32 s4, 0x7f
                                        ; implicit-def: $sgpr10
	s_waitcnt vmcnt(0) lgkmcnt(0)
	v_mfma_f32_16x16x4f32 a[0:3], v20, v21, a[0:3]
	v_lshrrev_b32_e32 v21, 8, v14
	v_cmp_gt_i16_sdwa s[6:7], v21, s4 src0_sel:BYTE_0 src1_sel:DWORD
	s_mov_b64 s[4:5], 0
	s_and_saveexec_b64 s[8:9], s[6:7]
	s_xor_b64 s[6:7], exec, s[8:9]
	s_cbranch_execnz .LBB29_3593
; %bb.1545:
	s_or_saveexec_b64 s[6:7], s[6:7]
	v_mov_b32_e32 v20, s10
	s_xor_b64 exec, exec, s[6:7]
	s_cbranch_execnz .LBB29_3596
.LBB29_1546:
	s_or_b64 exec, exec, s[6:7]
	s_and_saveexec_b64 s[6:7], s[4:5]
	s_cbranch_execz .LBB29_1548
.LBB29_1547:
	v_bfe_u32 v20, v14, 8, 3
	v_ffbh_u32_e32 v23, v20
	v_min_u32_e32 v23, 32, v23
	v_lshrrev_b16_e32 v22, 3, v21
	v_subrev_u32_e32 v24, 28, v23
	v_and_b32_e32 v22, 15, v22
	v_lshlrev_b32_e32 v21, v24, v21
	v_sub_u32_e32 v23, 29, v23
	v_and_b32_e32 v21, 7, v21
	v_cmp_eq_u16_e32 vcc, 0, v22
	v_cndmask_b32_e32 v20, v20, v21, vcc
	v_cndmask_b32_e32 v21, v22, v23, vcc
	v_lshlrev_b32_e32 v22, 16, v14
	v_mov_b32_e32 v23, 0x3b800000
	v_lshlrev_b32_e32 v20, 20, v20
	v_and_b32_e32 v22, 0x80000000, v22
	v_lshl_add_u32 v21, v21, 23, v23
	v_or3_b32 v20, v22, v21, v20
.LBB29_1548:
	s_or_b64 exec, exec, s[6:7]
	v_lshrrev_b32_e32 v21, 8, v10
	s_movk_i32 s4, 0x7f
	v_cmp_gt_i16_sdwa s[6:7], v21, s4 src0_sel:BYTE_0 src1_sel:DWORD
	s_mov_b64 s[4:5], 0
                                        ; implicit-def: $sgpr10
	s_and_saveexec_b64 s[8:9], s[6:7]
	s_xor_b64 s[6:7], exec, s[8:9]
	s_cbranch_execnz .LBB29_3597
; %bb.1549:
	s_or_saveexec_b64 s[6:7], s[6:7]
	v_mov_b32_e32 v22, s10
	s_xor_b64 exec, exec, s[6:7]
	s_cbranch_execnz .LBB29_3600
.LBB29_1550:
	s_or_b64 exec, exec, s[6:7]
	s_and_saveexec_b64 s[6:7], s[4:5]
	s_cbranch_execz .LBB29_1552
.LBB29_1551:
	v_bfe_u32 v22, v10, 8, 3
	v_ffbh_u32_e32 v24, v22
	v_min_u32_e32 v24, 32, v24
	v_lshrrev_b16_e32 v23, 3, v21
	v_subrev_u32_e32 v25, 28, v24
	v_and_b32_e32 v23, 15, v23
	v_lshlrev_b32_e32 v21, v25, v21
	v_sub_u32_e32 v24, 29, v24
	v_and_b32_e32 v21, 7, v21
	v_cmp_eq_u16_e32 vcc, 0, v23
	v_cndmask_b32_e32 v21, v22, v21, vcc
	v_cndmask_b32_e32 v22, v23, v24, vcc
	v_lshlrev_b32_e32 v23, 16, v10
	v_mov_b32_e32 v24, 0x3b800000
	v_lshlrev_b32_e32 v21, 20, v21
	v_and_b32_e32 v23, 0x80000000, v23
	v_lshl_add_u32 v22, v22, 23, v24
	v_or3_b32 v22, v23, v22, v21
.LBB29_1552:
	s_or_b64 exec, exec, s[6:7]
	s_nop 0
	v_mfma_f32_16x16x4f32 a[0:3], v20, v22, a[0:3]
	s_movk_i32 s4, 0xff
	v_and_b32_sdwa v21, v14, s4 dst_sel:DWORD dst_unused:UNUSED_PAD src0_sel:WORD_1 src1_sel:DWORD
	s_movk_i32 s4, 0x7f
	v_cmp_lt_i16_e32 vcc, s4, v21
	s_mov_b64 s[4:5], 0
                                        ; implicit-def: $sgpr10
	s_and_saveexec_b64 s[6:7], vcc
	s_xor_b64 s[6:7], exec, s[6:7]
	s_cbranch_execnz .LBB29_3601
; %bb.1553:
	s_or_saveexec_b64 s[6:7], s[6:7]
	v_mov_b32_e32 v20, s10
	s_xor_b64 exec, exec, s[6:7]
	s_cbranch_execnz .LBB29_3604
.LBB29_1554:
	s_or_b64 exec, exec, s[6:7]
	s_and_saveexec_b64 s[6:7], s[4:5]
	s_cbranch_execz .LBB29_1556
.LBB29_1555:
	v_bfe_u32 v20, v14, 16, 3
	v_ffbh_u32_e32 v23, v20
	v_min_u32_e32 v23, 32, v23
	v_lshrrev_b32_e32 v21, 19, v14
	v_subrev_u32_e32 v24, 28, v23
	v_and_b32_e32 v21, 15, v21
	v_lshlrev_b32_sdwa v24, v24, v14 dst_sel:DWORD dst_unused:UNUSED_PAD src0_sel:DWORD src1_sel:WORD_1
	v_bfe_u32 v22, v14, 19, 4
	v_sub_u32_e32 v23, 29, v23
	v_and_b32_e32 v24, 7, v24
	v_cmp_eq_u16_e32 vcc, 0, v21
	v_cndmask_b32_e32 v20, v20, v24, vcc
	v_cndmask_b32_e32 v21, v22, v23, vcc
	v_lshlrev_b32_e32 v22, 8, v14
	v_mov_b32_e32 v23, 0x3b800000
	v_lshlrev_b32_e32 v20, 20, v20
	v_and_b32_e32 v22, 0x80000000, v22
	v_lshl_add_u32 v21, v21, 23, v23
	v_or3_b32 v20, v22, v21, v20
.LBB29_1556:
	s_or_b64 exec, exec, s[6:7]
	s_movk_i32 s4, 0xff
	v_and_b32_sdwa v21, v10, s4 dst_sel:DWORD dst_unused:UNUSED_PAD src0_sel:WORD_1 src1_sel:DWORD
	s_movk_i32 s4, 0x7f
	v_cmp_lt_i16_e32 vcc, s4, v21
	s_mov_b64 s[4:5], 0
                                        ; implicit-def: $sgpr10
	s_and_saveexec_b64 s[6:7], vcc
	s_xor_b64 s[6:7], exec, s[6:7]
	s_cbranch_execnz .LBB29_3605
; %bb.1557:
	s_or_saveexec_b64 s[6:7], s[6:7]
	v_mov_b32_e32 v22, s10
	s_xor_b64 exec, exec, s[6:7]
	s_cbranch_execnz .LBB29_3608
.LBB29_1558:
	s_or_b64 exec, exec, s[6:7]
	s_and_saveexec_b64 s[6:7], s[4:5]
	s_cbranch_execz .LBB29_1560
.LBB29_1559:
	v_bfe_u32 v21, v10, 16, 3
	v_ffbh_u32_e32 v24, v21
	v_min_u32_e32 v24, 32, v24
	v_lshrrev_b32_e32 v22, 19, v10
	v_subrev_u32_e32 v25, 28, v24
	v_and_b32_e32 v22, 15, v22
	v_lshlrev_b32_sdwa v25, v25, v10 dst_sel:DWORD dst_unused:UNUSED_PAD src0_sel:DWORD src1_sel:WORD_1
	v_bfe_u32 v23, v10, 19, 4
	v_sub_u32_e32 v24, 29, v24
	v_and_b32_e32 v25, 7, v25
	v_cmp_eq_u16_e32 vcc, 0, v22
	v_cndmask_b32_e32 v21, v21, v25, vcc
	v_cndmask_b32_e32 v22, v23, v24, vcc
	v_lshlrev_b32_e32 v23, 8, v10
	v_mov_b32_e32 v24, 0x3b800000
	v_lshlrev_b32_e32 v21, 20, v21
	v_and_b32_e32 v23, 0x80000000, v23
	v_lshl_add_u32 v22, v22, 23, v24
	v_or3_b32 v22, v23, v22, v21
.LBB29_1560:
	s_or_b64 exec, exec, s[6:7]
	s_nop 0
	v_mfma_f32_16x16x4f32 a[0:3], v20, v22, a[0:3]
	s_movk_i32 s4, 0x7f
	v_cmp_gt_i16_sdwa s[6:7], v14, s4 src0_sel:BYTE_3 src1_sel:DWORD
	s_mov_b64 s[4:5], 0
                                        ; implicit-def: $sgpr10
	s_and_saveexec_b64 s[8:9], s[6:7]
	s_xor_b64 s[6:7], exec, s[8:9]
	s_cbranch_execnz .LBB29_3609
; %bb.1561:
	s_or_saveexec_b64 s[6:7], s[6:7]
	v_mov_b32_e32 v20, s10
	s_xor_b64 exec, exec, s[6:7]
	s_cbranch_execnz .LBB29_3612
.LBB29_1562:
	s_or_b64 exec, exec, s[6:7]
	s_and_saveexec_b64 s[6:7], s[4:5]
	s_cbranch_execz .LBB29_1564
.LBB29_1563:
	v_bfe_u32 v20, v14, 24, 3
	v_ffbh_u32_e32 v24, v20
	v_min_u32_e32 v24, 32, v24
	v_lshrrev_b32_e32 v22, 27, v14
	v_subrev_u32_e32 v25, 28, v24
	v_and_b32_e32 v21, 0x80000000, v14
	v_and_b32_e32 v22, 15, v22
	v_bfe_u32 v23, v14, 27, 4
	v_lshlrev_b32_sdwa v14, v25, v14 dst_sel:DWORD dst_unused:UNUSED_PAD src0_sel:DWORD src1_sel:BYTE_3
	v_sub_u32_e32 v24, 29, v24
	v_and_b32_e32 v14, 7, v14
	v_cmp_eq_u16_e32 vcc, 0, v22
	v_cndmask_b32_e32 v14, v20, v14, vcc
	v_cndmask_b32_e32 v20, v23, v24, vcc
	v_mov_b32_e32 v22, 0x3b800000
	v_lshlrev_b32_e32 v14, 20, v14
	v_lshl_add_u32 v20, v20, 23, v22
	v_or3_b32 v20, v21, v20, v14
.LBB29_1564:
	s_or_b64 exec, exec, s[6:7]
	s_movk_i32 s4, 0x7f
	v_cmp_gt_i16_sdwa s[6:7], v10, s4 src0_sel:BYTE_3 src1_sel:DWORD
	s_mov_b64 s[4:5], 0
                                        ; implicit-def: $sgpr10
	s_and_saveexec_b64 s[8:9], s[6:7]
	s_xor_b64 s[6:7], exec, s[8:9]
	s_cbranch_execnz .LBB29_3613
; %bb.1565:
	s_or_saveexec_b64 s[6:7], s[6:7]
	v_mov_b32_e32 v14, s10
	s_xor_b64 exec, exec, s[6:7]
	s_cbranch_execnz .LBB29_3616
.LBB29_1566:
	s_or_b64 exec, exec, s[6:7]
	s_and_saveexec_b64 s[6:7], s[4:5]
	s_cbranch_execz .LBB29_1568
.LBB29_1567:
	v_bfe_u32 v14, v10, 24, 3
	v_ffbh_u32_e32 v24, v14
	v_min_u32_e32 v24, 32, v24
	v_lshrrev_b32_e32 v22, 27, v10
	v_subrev_u32_e32 v25, 28, v24
	v_and_b32_e32 v21, 0x80000000, v10
	v_and_b32_e32 v22, 15, v22
	v_bfe_u32 v23, v10, 27, 4
	v_lshlrev_b32_sdwa v10, v25, v10 dst_sel:DWORD dst_unused:UNUSED_PAD src0_sel:DWORD src1_sel:BYTE_3
	v_sub_u32_e32 v24, 29, v24
	v_and_b32_e32 v10, 7, v10
	v_cmp_eq_u16_e32 vcc, 0, v22
	v_cndmask_b32_e32 v10, v14, v10, vcc
	v_cndmask_b32_e32 v14, v23, v24, vcc
	v_mov_b32_e32 v22, 0x3b800000
	v_lshlrev_b32_e32 v10, 20, v10
	v_lshl_add_u32 v14, v14, 23, v22
	v_or3_b32 v14, v21, v14, v10
.LBB29_1568:
	s_or_b64 exec, exec, s[6:7]
	s_nop 0
	v_mfma_f32_16x16x4f32 a[0:3], v20, v14, a[0:3]
	s_movk_i32 s4, 0x7f
	v_cmp_gt_i16_sdwa s[6:7], v15, s4 src0_sel:BYTE_0 src1_sel:DWORD
	s_mov_b64 s[4:5], 0
                                        ; implicit-def: $sgpr10
	s_and_saveexec_b64 s[8:9], s[6:7]
	s_xor_b64 s[6:7], exec, s[8:9]
	s_cbranch_execnz .LBB29_3617
; %bb.1569:
	s_or_saveexec_b64 s[6:7], s[6:7]
	v_mov_b32_e32 v10, s10
	s_xor_b64 exec, exec, s[6:7]
	s_cbranch_execnz .LBB29_3620
.LBB29_1570:
	s_or_b64 exec, exec, s[6:7]
	s_and_saveexec_b64 s[6:7], s[4:5]
	s_cbranch_execz .LBB29_1572
.LBB29_1571:
	v_and_b32_e32 v10, 7, v15
	v_ffbh_u32_e32 v20, v10
	v_min_u32_e32 v20, 32, v20
	v_lshrrev_b16_e32 v14, 3, v15
	v_subrev_u32_e32 v21, 28, v20
	v_and_b32_e32 v14, 15, v14
	v_lshlrev_b32_e32 v21, v21, v15
	v_sub_u32_e32 v20, 29, v20
	v_and_b32_e32 v21, 7, v21
	v_cmp_eq_u16_e32 vcc, 0, v14
	v_cndmask_b32_e32 v10, v10, v21, vcc
	v_cndmask_b32_e32 v14, v14, v20, vcc
	v_lshlrev_b32_e32 v20, 24, v15
	v_mov_b32_e32 v21, 0x3b800000
	v_lshlrev_b32_e32 v10, 20, v10
	v_and_b32_e32 v20, 0x80000000, v20
	v_lshl_add_u32 v14, v14, 23, v21
	v_or3_b32 v10, v20, v14, v10
.LBB29_1572:
	s_or_b64 exec, exec, s[6:7]
	s_movk_i32 s4, 0x7f
	v_cmp_gt_i16_sdwa s[6:7], v11, s4 src0_sel:BYTE_0 src1_sel:DWORD
	s_mov_b64 s[4:5], 0
                                        ; implicit-def: $sgpr10
	s_and_saveexec_b64 s[8:9], s[6:7]
	s_xor_b64 s[6:7], exec, s[8:9]
	s_cbranch_execnz .LBB29_3621
; %bb.1573:
	s_or_saveexec_b64 s[6:7], s[6:7]
	v_mov_b32_e32 v14, s10
	s_xor_b64 exec, exec, s[6:7]
	s_cbranch_execnz .LBB29_3624
.LBB29_1574:
	s_or_b64 exec, exec, s[6:7]
	s_and_saveexec_b64 s[6:7], s[4:5]
	s_cbranch_execz .LBB29_1576
.LBB29_1575:
	v_and_b32_e32 v14, 7, v11
	v_ffbh_u32_e32 v21, v14
	v_min_u32_e32 v21, 32, v21
	v_lshrrev_b16_e32 v20, 3, v11
	v_subrev_u32_e32 v22, 28, v21
	v_and_b32_e32 v20, 15, v20
	v_lshlrev_b32_e32 v22, v22, v11
	v_sub_u32_e32 v21, 29, v21
	v_and_b32_e32 v22, 7, v22
	v_cmp_eq_u16_e32 vcc, 0, v20
	v_cndmask_b32_e32 v14, v14, v22, vcc
	v_cndmask_b32_e32 v20, v20, v21, vcc
	v_lshlrev_b32_e32 v21, 24, v11
	v_mov_b32_e32 v22, 0x3b800000
	v_lshlrev_b32_e32 v14, 20, v14
	v_and_b32_e32 v21, 0x80000000, v21
	v_lshl_add_u32 v20, v20, 23, v22
	v_or3_b32 v14, v21, v20, v14
.LBB29_1576:
	s_or_b64 exec, exec, s[6:7]
	s_nop 0
	v_mfma_f32_16x16x4f32 a[0:3], v10, v14, a[0:3]
	v_lshrrev_b32_e32 v14, 8, v15
	s_movk_i32 s4, 0x7f
	v_cmp_gt_i16_sdwa s[6:7], v14, s4 src0_sel:BYTE_0 src1_sel:DWORD
	s_mov_b64 s[4:5], 0
                                        ; implicit-def: $sgpr10
	s_and_saveexec_b64 s[8:9], s[6:7]
	s_xor_b64 s[6:7], exec, s[8:9]
	s_cbranch_execnz .LBB29_3625
; %bb.1577:
	s_or_saveexec_b64 s[6:7], s[6:7]
	v_mov_b32_e32 v10, s10
	s_xor_b64 exec, exec, s[6:7]
	s_cbranch_execnz .LBB29_3628
.LBB29_1578:
	s_or_b64 exec, exec, s[6:7]
	s_and_saveexec_b64 s[6:7], s[4:5]
	s_cbranch_execz .LBB29_1580
.LBB29_1579:
	v_bfe_u32 v10, v15, 8, 3
	v_ffbh_u32_e32 v21, v10
	v_min_u32_e32 v21, 32, v21
	v_lshrrev_b16_e32 v20, 3, v14
	v_subrev_u32_e32 v22, 28, v21
	v_and_b32_e32 v20, 15, v20
	v_lshlrev_b32_e32 v14, v22, v14
	v_sub_u32_e32 v21, 29, v21
	v_and_b32_e32 v14, 7, v14
	v_cmp_eq_u16_e32 vcc, 0, v20
	v_cndmask_b32_e32 v10, v10, v14, vcc
	v_cndmask_b32_e32 v14, v20, v21, vcc
	v_lshlrev_b32_e32 v20, 16, v15
	v_mov_b32_e32 v21, 0x3b800000
	v_lshlrev_b32_e32 v10, 20, v10
	v_and_b32_e32 v20, 0x80000000, v20
	v_lshl_add_u32 v14, v14, 23, v21
	v_or3_b32 v10, v20, v14, v10
.LBB29_1580:
	s_or_b64 exec, exec, s[6:7]
	v_lshrrev_b32_e32 v14, 8, v11
	s_movk_i32 s4, 0x7f
	v_cmp_gt_i16_sdwa s[6:7], v14, s4 src0_sel:BYTE_0 src1_sel:DWORD
	s_mov_b64 s[4:5], 0
                                        ; implicit-def: $sgpr10
	s_and_saveexec_b64 s[8:9], s[6:7]
	s_xor_b64 s[6:7], exec, s[8:9]
	s_cbranch_execnz .LBB29_3629
; %bb.1581:
	s_or_saveexec_b64 s[6:7], s[6:7]
	v_mov_b32_e32 v20, s10
	s_xor_b64 exec, exec, s[6:7]
	s_cbranch_execnz .LBB29_3632
.LBB29_1582:
	s_or_b64 exec, exec, s[6:7]
	s_and_saveexec_b64 s[6:7], s[4:5]
	s_cbranch_execz .LBB29_1584
.LBB29_1583:
	v_bfe_u32 v20, v11, 8, 3
	v_ffbh_u32_e32 v22, v20
	v_min_u32_e32 v22, 32, v22
	v_lshrrev_b16_e32 v21, 3, v14
	v_subrev_u32_e32 v23, 28, v22
	v_and_b32_e32 v21, 15, v21
	v_lshlrev_b32_e32 v14, v23, v14
	v_sub_u32_e32 v22, 29, v22
	v_and_b32_e32 v14, 7, v14
	v_cmp_eq_u16_e32 vcc, 0, v21
	v_cndmask_b32_e32 v14, v20, v14, vcc
	v_cndmask_b32_e32 v20, v21, v22, vcc
	v_lshlrev_b32_e32 v21, 16, v11
	v_mov_b32_e32 v22, 0x3b800000
	v_lshlrev_b32_e32 v14, 20, v14
	v_and_b32_e32 v21, 0x80000000, v21
	v_lshl_add_u32 v20, v20, 23, v22
	v_or3_b32 v20, v21, v20, v14
.LBB29_1584:
	s_or_b64 exec, exec, s[6:7]
	s_nop 0
	v_mfma_f32_16x16x4f32 a[0:3], v10, v20, a[0:3]
	s_movk_i32 s4, 0xff
	v_and_b32_sdwa v14, v15, s4 dst_sel:DWORD dst_unused:UNUSED_PAD src0_sel:WORD_1 src1_sel:DWORD
	s_movk_i32 s4, 0x7f
	v_cmp_lt_i16_e32 vcc, s4, v14
	s_mov_b64 s[4:5], 0
                                        ; implicit-def: $sgpr10
	s_and_saveexec_b64 s[6:7], vcc
	s_xor_b64 s[6:7], exec, s[6:7]
	s_cbranch_execnz .LBB29_3633
; %bb.1585:
	s_or_saveexec_b64 s[6:7], s[6:7]
	v_mov_b32_e32 v10, s10
	s_xor_b64 exec, exec, s[6:7]
	s_cbranch_execnz .LBB29_3636
.LBB29_1586:
	s_or_b64 exec, exec, s[6:7]
	s_and_saveexec_b64 s[6:7], s[4:5]
	s_cbranch_execz .LBB29_1588
.LBB29_1587:
	v_bfe_u32 v10, v15, 16, 3
	v_ffbh_u32_e32 v21, v10
	v_min_u32_e32 v21, 32, v21
	v_lshrrev_b32_e32 v14, 19, v15
	v_subrev_u32_e32 v22, 28, v21
	v_and_b32_e32 v14, 15, v14
	v_lshlrev_b32_sdwa v22, v22, v15 dst_sel:DWORD dst_unused:UNUSED_PAD src0_sel:DWORD src1_sel:WORD_1
	v_bfe_u32 v20, v15, 19, 4
	v_sub_u32_e32 v21, 29, v21
	v_and_b32_e32 v22, 7, v22
	v_cmp_eq_u16_e32 vcc, 0, v14
	v_cndmask_b32_e32 v10, v10, v22, vcc
	v_cndmask_b32_e32 v14, v20, v21, vcc
	v_lshlrev_b32_e32 v20, 8, v15
	v_mov_b32_e32 v21, 0x3b800000
	v_lshlrev_b32_e32 v10, 20, v10
	v_and_b32_e32 v20, 0x80000000, v20
	v_lshl_add_u32 v14, v14, 23, v21
	v_or3_b32 v10, v20, v14, v10
.LBB29_1588:
	s_or_b64 exec, exec, s[6:7]
	s_movk_i32 s4, 0xff
	v_and_b32_sdwa v14, v11, s4 dst_sel:DWORD dst_unused:UNUSED_PAD src0_sel:WORD_1 src1_sel:DWORD
	s_movk_i32 s4, 0x7f
	v_cmp_lt_i16_e32 vcc, s4, v14
	s_mov_b64 s[4:5], 0
                                        ; implicit-def: $sgpr10
	s_and_saveexec_b64 s[6:7], vcc
	s_xor_b64 s[6:7], exec, s[6:7]
	s_cbranch_execnz .LBB29_3637
; %bb.1589:
	s_or_saveexec_b64 s[6:7], s[6:7]
	v_mov_b32_e32 v20, s10
	s_xor_b64 exec, exec, s[6:7]
	s_cbranch_execnz .LBB29_3640
.LBB29_1590:
	s_or_b64 exec, exec, s[6:7]
	s_and_saveexec_b64 s[6:7], s[4:5]
	s_cbranch_execz .LBB29_1592
.LBB29_1591:
	v_bfe_u32 v14, v11, 16, 3
	v_ffbh_u32_e32 v22, v14
	v_min_u32_e32 v22, 32, v22
	v_lshrrev_b32_e32 v20, 19, v11
	v_subrev_u32_e32 v23, 28, v22
	v_and_b32_e32 v20, 15, v20
	v_lshlrev_b32_sdwa v23, v23, v11 dst_sel:DWORD dst_unused:UNUSED_PAD src0_sel:DWORD src1_sel:WORD_1
	v_bfe_u32 v21, v11, 19, 4
	v_sub_u32_e32 v22, 29, v22
	v_and_b32_e32 v23, 7, v23
	v_cmp_eq_u16_e32 vcc, 0, v20
	v_cndmask_b32_e32 v14, v14, v23, vcc
	v_cndmask_b32_e32 v20, v21, v22, vcc
	v_lshlrev_b32_e32 v21, 8, v11
	v_mov_b32_e32 v22, 0x3b800000
	v_lshlrev_b32_e32 v14, 20, v14
	v_and_b32_e32 v21, 0x80000000, v21
	v_lshl_add_u32 v20, v20, 23, v22
	v_or3_b32 v20, v21, v20, v14
.LBB29_1592:
	s_or_b64 exec, exec, s[6:7]
	s_nop 0
	v_mfma_f32_16x16x4f32 a[0:3], v10, v20, a[0:3]
	s_movk_i32 s4, 0x7f
	v_cmp_gt_i16_sdwa s[6:7], v15, s4 src0_sel:BYTE_3 src1_sel:DWORD
	s_mov_b64 s[4:5], 0
                                        ; implicit-def: $sgpr10
	s_and_saveexec_b64 s[8:9], s[6:7]
	s_xor_b64 s[6:7], exec, s[8:9]
	s_cbranch_execnz .LBB29_3641
; %bb.1593:
	s_or_saveexec_b64 s[6:7], s[6:7]
	v_mov_b32_e32 v10, s10
	s_xor_b64 exec, exec, s[6:7]
	s_cbranch_execnz .LBB29_3644
.LBB29_1594:
	s_or_b64 exec, exec, s[6:7]
	s_and_saveexec_b64 s[6:7], s[4:5]
	s_cbranch_execz .LBB29_1596
.LBB29_1595:
	v_bfe_u32 v10, v15, 24, 3
	v_ffbh_u32_e32 v22, v10
	v_min_u32_e32 v22, 32, v22
	v_lshrrev_b32_e32 v20, 27, v15
	v_subrev_u32_e32 v23, 28, v22
	v_and_b32_e32 v14, 0x80000000, v15
	v_and_b32_e32 v20, 15, v20
	v_bfe_u32 v21, v15, 27, 4
	v_lshlrev_b32_sdwa v15, v23, v15 dst_sel:DWORD dst_unused:UNUSED_PAD src0_sel:DWORD src1_sel:BYTE_3
	v_sub_u32_e32 v22, 29, v22
	v_and_b32_e32 v15, 7, v15
	v_cmp_eq_u16_e32 vcc, 0, v20
	v_cndmask_b32_e32 v10, v10, v15, vcc
	v_cndmask_b32_e32 v15, v21, v22, vcc
	v_mov_b32_e32 v20, 0x3b800000
	v_lshlrev_b32_e32 v10, 20, v10
	v_lshl_add_u32 v15, v15, 23, v20
	v_or3_b32 v10, v14, v15, v10
.LBB29_1596:
	s_or_b64 exec, exec, s[6:7]
	s_movk_i32 s4, 0x7f
	v_cmp_gt_i16_sdwa s[6:7], v11, s4 src0_sel:BYTE_3 src1_sel:DWORD
	s_mov_b64 s[4:5], 0
                                        ; implicit-def: $sgpr10
	s_and_saveexec_b64 s[8:9], s[6:7]
	s_xor_b64 s[6:7], exec, s[8:9]
	s_cbranch_execnz .LBB29_3645
; %bb.1597:
	s_or_saveexec_b64 s[6:7], s[6:7]
	v_mov_b32_e32 v14, s10
	s_xor_b64 exec, exec, s[6:7]
	s_cbranch_execnz .LBB29_3648
.LBB29_1598:
	s_or_b64 exec, exec, s[6:7]
	s_and_saveexec_b64 s[6:7], s[4:5]
	s_cbranch_execz .LBB29_1600
.LBB29_1599:
	v_bfe_u32 v14, v11, 24, 3
	v_ffbh_u32_e32 v22, v14
	v_min_u32_e32 v22, 32, v22
	v_lshrrev_b32_e32 v20, 27, v11
	v_subrev_u32_e32 v23, 28, v22
	v_and_b32_e32 v15, 0x80000000, v11
	v_and_b32_e32 v20, 15, v20
	v_bfe_u32 v21, v11, 27, 4
	v_lshlrev_b32_sdwa v11, v23, v11 dst_sel:DWORD dst_unused:UNUSED_PAD src0_sel:DWORD src1_sel:BYTE_3
	v_sub_u32_e32 v22, 29, v22
	v_and_b32_e32 v11, 7, v11
	v_cmp_eq_u16_e32 vcc, 0, v20
	v_cndmask_b32_e32 v11, v14, v11, vcc
	v_cndmask_b32_e32 v14, v21, v22, vcc
	v_mov_b32_e32 v20, 0x3b800000
	v_lshlrev_b32_e32 v11, 20, v11
	v_lshl_add_u32 v14, v14, 23, v20
	v_or3_b32 v14, v15, v14, v11
.LBB29_1600:
	s_or_b64 exec, exec, s[6:7]
	s_nop 0
	v_mfma_f32_16x16x4f32 a[0:3], v10, v14, a[0:3]
	s_movk_i32 s4, 0x7f
	v_cmp_gt_i16_sdwa s[6:7], v16, s4 src0_sel:BYTE_0 src1_sel:DWORD
	s_mov_b64 s[4:5], 0
                                        ; implicit-def: $sgpr10
	s_and_saveexec_b64 s[8:9], s[6:7]
	s_xor_b64 s[6:7], exec, s[8:9]
	s_cbranch_execnz .LBB29_3649
; %bb.1601:
	s_or_saveexec_b64 s[6:7], s[6:7]
	v_mov_b32_e32 v10, s10
	s_xor_b64 exec, exec, s[6:7]
	s_cbranch_execnz .LBB29_3652
.LBB29_1602:
	s_or_b64 exec, exec, s[6:7]
	s_and_saveexec_b64 s[6:7], s[4:5]
	s_cbranch_execz .LBB29_1604
.LBB29_1603:
	v_and_b32_e32 v10, 7, v16
	v_ffbh_u32_e32 v14, v10
	v_min_u32_e32 v14, 32, v14
	v_lshrrev_b16_e32 v11, 3, v16
	v_subrev_u32_e32 v15, 28, v14
	v_and_b32_e32 v11, 15, v11
	v_lshlrev_b32_e32 v15, v15, v16
	v_sub_u32_e32 v14, 29, v14
	v_and_b32_e32 v15, 7, v15
	v_cmp_eq_u16_e32 vcc, 0, v11
	v_cndmask_b32_e32 v10, v10, v15, vcc
	v_cndmask_b32_e32 v11, v11, v14, vcc
	v_lshlrev_b32_e32 v14, 24, v16
	v_mov_b32_e32 v15, 0x3b800000
	v_lshlrev_b32_e32 v10, 20, v10
	v_and_b32_e32 v14, 0x80000000, v14
	v_lshl_add_u32 v11, v11, 23, v15
	v_or3_b32 v10, v14, v11, v10
.LBB29_1604:
	s_or_b64 exec, exec, s[6:7]
	s_movk_i32 s4, 0x7f
	v_cmp_gt_i16_sdwa s[6:7], v12, s4 src0_sel:BYTE_0 src1_sel:DWORD
	s_mov_b64 s[4:5], 0
                                        ; implicit-def: $sgpr10
	s_and_saveexec_b64 s[8:9], s[6:7]
	s_xor_b64 s[6:7], exec, s[8:9]
	s_cbranch_execnz .LBB29_3653
; %bb.1605:
	s_or_saveexec_b64 s[6:7], s[6:7]
	v_mov_b32_e32 v11, s10
	s_xor_b64 exec, exec, s[6:7]
	s_cbranch_execnz .LBB29_3656
.LBB29_1606:
	s_or_b64 exec, exec, s[6:7]
	s_and_saveexec_b64 s[6:7], s[4:5]
	s_cbranch_execz .LBB29_1608
.LBB29_1607:
	v_and_b32_e32 v11, 7, v12
	v_ffbh_u32_e32 v15, v11
	v_min_u32_e32 v15, 32, v15
	v_lshrrev_b16_e32 v14, 3, v12
	v_subrev_u32_e32 v20, 28, v15
	v_and_b32_e32 v14, 15, v14
	v_lshlrev_b32_e32 v20, v20, v12
	v_sub_u32_e32 v15, 29, v15
	v_and_b32_e32 v20, 7, v20
	v_cmp_eq_u16_e32 vcc, 0, v14
	v_cndmask_b32_e32 v11, v11, v20, vcc
	v_cndmask_b32_e32 v14, v14, v15, vcc
	v_lshlrev_b32_e32 v15, 24, v12
	v_mov_b32_e32 v20, 0x3b800000
	v_lshlrev_b32_e32 v11, 20, v11
	v_and_b32_e32 v15, 0x80000000, v15
	v_lshl_add_u32 v14, v14, 23, v20
	v_or3_b32 v11, v15, v14, v11
.LBB29_1608:
	s_or_b64 exec, exec, s[6:7]
	s_nop 0
	v_mfma_f32_16x16x4f32 a[0:3], v10, v11, a[0:3]
	v_lshrrev_b32_e32 v11, 8, v16
	s_movk_i32 s4, 0x7f
	v_cmp_gt_i16_sdwa s[6:7], v11, s4 src0_sel:BYTE_0 src1_sel:DWORD
	s_mov_b64 s[4:5], 0
                                        ; implicit-def: $sgpr10
	s_and_saveexec_b64 s[8:9], s[6:7]
	s_xor_b64 s[6:7], exec, s[8:9]
	s_cbranch_execnz .LBB29_3657
; %bb.1609:
	s_or_saveexec_b64 s[6:7], s[6:7]
	v_mov_b32_e32 v10, s10
	s_xor_b64 exec, exec, s[6:7]
	s_cbranch_execnz .LBB29_3660
.LBB29_1610:
	s_or_b64 exec, exec, s[6:7]
	s_and_saveexec_b64 s[6:7], s[4:5]
	s_cbranch_execz .LBB29_1612
.LBB29_1611:
	v_bfe_u32 v10, v16, 8, 3
	v_ffbh_u32_e32 v15, v10
	v_min_u32_e32 v15, 32, v15
	v_lshrrev_b16_e32 v14, 3, v11
	v_subrev_u32_e32 v20, 28, v15
	v_and_b32_e32 v14, 15, v14
	v_lshlrev_b32_e32 v11, v20, v11
	v_sub_u32_e32 v15, 29, v15
	v_and_b32_e32 v11, 7, v11
	v_cmp_eq_u16_e32 vcc, 0, v14
	v_cndmask_b32_e32 v10, v10, v11, vcc
	v_cndmask_b32_e32 v11, v14, v15, vcc
	v_lshlrev_b32_e32 v14, 16, v16
	v_mov_b32_e32 v15, 0x3b800000
	v_lshlrev_b32_e32 v10, 20, v10
	v_and_b32_e32 v14, 0x80000000, v14
	v_lshl_add_u32 v11, v11, 23, v15
	v_or3_b32 v10, v14, v11, v10
.LBB29_1612:
	s_or_b64 exec, exec, s[6:7]
	v_lshrrev_b32_e32 v11, 8, v12
	s_movk_i32 s4, 0x7f
	v_cmp_gt_i16_sdwa s[6:7], v11, s4 src0_sel:BYTE_0 src1_sel:DWORD
	s_mov_b64 s[4:5], 0
                                        ; implicit-def: $sgpr10
	s_and_saveexec_b64 s[8:9], s[6:7]
	s_xor_b64 s[6:7], exec, s[8:9]
	s_cbranch_execnz .LBB29_3661
; %bb.1613:
	s_or_saveexec_b64 s[6:7], s[6:7]
	v_mov_b32_e32 v14, s10
	s_xor_b64 exec, exec, s[6:7]
	s_cbranch_execnz .LBB29_3664
.LBB29_1614:
	s_or_b64 exec, exec, s[6:7]
	s_and_saveexec_b64 s[6:7], s[4:5]
	s_cbranch_execz .LBB29_1616
.LBB29_1615:
	v_bfe_u32 v14, v12, 8, 3
	v_ffbh_u32_e32 v20, v14
	v_min_u32_e32 v20, 32, v20
	v_lshrrev_b16_e32 v15, 3, v11
	v_subrev_u32_e32 v21, 28, v20
	v_and_b32_e32 v15, 15, v15
	v_lshlrev_b32_e32 v11, v21, v11
	v_sub_u32_e32 v20, 29, v20
	v_and_b32_e32 v11, 7, v11
	v_cmp_eq_u16_e32 vcc, 0, v15
	v_cndmask_b32_e32 v11, v14, v11, vcc
	v_cndmask_b32_e32 v14, v15, v20, vcc
	v_lshlrev_b32_e32 v15, 16, v12
	v_mov_b32_e32 v20, 0x3b800000
	v_lshlrev_b32_e32 v11, 20, v11
	v_and_b32_e32 v15, 0x80000000, v15
	v_lshl_add_u32 v14, v14, 23, v20
	v_or3_b32 v14, v15, v14, v11
.LBB29_1616:
	s_or_b64 exec, exec, s[6:7]
	s_nop 0
	v_mfma_f32_16x16x4f32 a[0:3], v10, v14, a[0:3]
	s_movk_i32 s4, 0xff
	v_and_b32_sdwa v11, v16, s4 dst_sel:DWORD dst_unused:UNUSED_PAD src0_sel:WORD_1 src1_sel:DWORD
	s_movk_i32 s4, 0x7f
	v_cmp_lt_i16_e32 vcc, s4, v11
	s_mov_b64 s[4:5], 0
                                        ; implicit-def: $sgpr10
	s_and_saveexec_b64 s[6:7], vcc
	s_xor_b64 s[6:7], exec, s[6:7]
	s_cbranch_execnz .LBB29_3665
; %bb.1617:
	s_or_saveexec_b64 s[6:7], s[6:7]
	v_mov_b32_e32 v10, s10
	s_xor_b64 exec, exec, s[6:7]
	s_cbranch_execnz .LBB29_3668
.LBB29_1618:
	s_or_b64 exec, exec, s[6:7]
	s_and_saveexec_b64 s[6:7], s[4:5]
	s_cbranch_execz .LBB29_1620
.LBB29_1619:
	v_bfe_u32 v10, v16, 16, 3
	v_ffbh_u32_e32 v15, v10
	v_min_u32_e32 v15, 32, v15
	v_lshrrev_b32_e32 v11, 19, v16
	v_subrev_u32_e32 v20, 28, v15
	v_and_b32_e32 v11, 15, v11
	v_lshlrev_b32_sdwa v20, v20, v16 dst_sel:DWORD dst_unused:UNUSED_PAD src0_sel:DWORD src1_sel:WORD_1
	v_bfe_u32 v14, v16, 19, 4
	v_sub_u32_e32 v15, 29, v15
	v_and_b32_e32 v20, 7, v20
	v_cmp_eq_u16_e32 vcc, 0, v11
	v_cndmask_b32_e32 v10, v10, v20, vcc
	v_cndmask_b32_e32 v11, v14, v15, vcc
	v_lshlrev_b32_e32 v14, 8, v16
	v_mov_b32_e32 v15, 0x3b800000
	v_lshlrev_b32_e32 v10, 20, v10
	v_and_b32_e32 v14, 0x80000000, v14
	v_lshl_add_u32 v11, v11, 23, v15
	v_or3_b32 v10, v14, v11, v10
.LBB29_1620:
	s_or_b64 exec, exec, s[6:7]
	s_movk_i32 s4, 0xff
	v_and_b32_sdwa v11, v12, s4 dst_sel:DWORD dst_unused:UNUSED_PAD src0_sel:WORD_1 src1_sel:DWORD
	s_movk_i32 s4, 0x7f
	v_cmp_lt_i16_e32 vcc, s4, v11
	s_mov_b64 s[4:5], 0
                                        ; implicit-def: $sgpr10
	s_and_saveexec_b64 s[6:7], vcc
	s_xor_b64 s[6:7], exec, s[6:7]
	s_cbranch_execnz .LBB29_3669
; %bb.1621:
	s_or_saveexec_b64 s[6:7], s[6:7]
	v_mov_b32_e32 v14, s10
	s_xor_b64 exec, exec, s[6:7]
	s_cbranch_execnz .LBB29_3672
.LBB29_1622:
	s_or_b64 exec, exec, s[6:7]
	s_and_saveexec_b64 s[6:7], s[4:5]
	s_cbranch_execz .LBB29_1624
.LBB29_1623:
	v_bfe_u32 v11, v12, 16, 3
	v_ffbh_u32_e32 v20, v11
	v_min_u32_e32 v20, 32, v20
	v_lshrrev_b32_e32 v14, 19, v12
	v_subrev_u32_e32 v21, 28, v20
	v_and_b32_e32 v14, 15, v14
	v_lshlrev_b32_sdwa v21, v21, v12 dst_sel:DWORD dst_unused:UNUSED_PAD src0_sel:DWORD src1_sel:WORD_1
	v_bfe_u32 v15, v12, 19, 4
	v_sub_u32_e32 v20, 29, v20
	v_and_b32_e32 v21, 7, v21
	v_cmp_eq_u16_e32 vcc, 0, v14
	v_cndmask_b32_e32 v11, v11, v21, vcc
	v_cndmask_b32_e32 v14, v15, v20, vcc
	v_lshlrev_b32_e32 v15, 8, v12
	v_mov_b32_e32 v20, 0x3b800000
	v_lshlrev_b32_e32 v11, 20, v11
	v_and_b32_e32 v15, 0x80000000, v15
	v_lshl_add_u32 v14, v14, 23, v20
	v_or3_b32 v14, v15, v14, v11
.LBB29_1624:
	s_or_b64 exec, exec, s[6:7]
	s_nop 0
	v_mfma_f32_16x16x4f32 a[0:3], v10, v14, a[0:3]
	s_movk_i32 s4, 0x7f
	v_cmp_gt_i16_sdwa s[6:7], v16, s4 src0_sel:BYTE_3 src1_sel:DWORD
	s_mov_b64 s[4:5], 0
                                        ; implicit-def: $sgpr10
	s_and_saveexec_b64 s[8:9], s[6:7]
	s_xor_b64 s[6:7], exec, s[8:9]
	s_cbranch_execnz .LBB29_3673
; %bb.1625:
	s_or_saveexec_b64 s[6:7], s[6:7]
	v_mov_b32_e32 v10, s10
	s_xor_b64 exec, exec, s[6:7]
	s_cbranch_execnz .LBB29_3676
.LBB29_1626:
	s_or_b64 exec, exec, s[6:7]
	s_and_saveexec_b64 s[6:7], s[4:5]
	s_cbranch_execz .LBB29_1628
.LBB29_1627:
	v_bfe_u32 v10, v16, 24, 3
	v_ffbh_u32_e32 v20, v10
	v_min_u32_e32 v20, 32, v20
	v_lshrrev_b32_e32 v14, 27, v16
	v_subrev_u32_e32 v21, 28, v20
	v_and_b32_e32 v11, 0x80000000, v16
	v_and_b32_e32 v14, 15, v14
	v_bfe_u32 v15, v16, 27, 4
	v_lshlrev_b32_sdwa v16, v21, v16 dst_sel:DWORD dst_unused:UNUSED_PAD src0_sel:DWORD src1_sel:BYTE_3
	v_sub_u32_e32 v20, 29, v20
	v_and_b32_e32 v16, 7, v16
	v_cmp_eq_u16_e32 vcc, 0, v14
	v_cndmask_b32_e32 v10, v10, v16, vcc
	v_cndmask_b32_e32 v14, v15, v20, vcc
	v_mov_b32_e32 v15, 0x3b800000
	v_lshlrev_b32_e32 v10, 20, v10
	v_lshl_add_u32 v14, v14, 23, v15
	v_or3_b32 v10, v11, v14, v10
.LBB29_1628:
	s_or_b64 exec, exec, s[6:7]
	s_movk_i32 s4, 0x7f
	v_cmp_gt_i16_sdwa s[6:7], v12, s4 src0_sel:BYTE_3 src1_sel:DWORD
	s_mov_b64 s[4:5], 0
                                        ; implicit-def: $sgpr10
	s_and_saveexec_b64 s[8:9], s[6:7]
	s_xor_b64 s[6:7], exec, s[8:9]
	s_cbranch_execnz .LBB29_3677
; %bb.1629:
	s_or_saveexec_b64 s[6:7], s[6:7]
	v_mov_b32_e32 v11, s10
	s_xor_b64 exec, exec, s[6:7]
	s_cbranch_execnz .LBB29_3680
.LBB29_1630:
	s_or_b64 exec, exec, s[6:7]
	s_and_saveexec_b64 s[6:7], s[4:5]
	s_cbranch_execz .LBB29_1632
.LBB29_1631:
	v_bfe_u32 v11, v12, 24, 3
	v_ffbh_u32_e32 v20, v11
	v_min_u32_e32 v20, 32, v20
	v_lshrrev_b32_e32 v15, 27, v12
	v_subrev_u32_e32 v21, 28, v20
	v_and_b32_e32 v14, 0x80000000, v12
	v_and_b32_e32 v15, 15, v15
	v_bfe_u32 v16, v12, 27, 4
	v_lshlrev_b32_sdwa v12, v21, v12 dst_sel:DWORD dst_unused:UNUSED_PAD src0_sel:DWORD src1_sel:BYTE_3
	v_sub_u32_e32 v20, 29, v20
	v_and_b32_e32 v12, 7, v12
	v_cmp_eq_u16_e32 vcc, 0, v15
	v_cndmask_b32_e32 v11, v11, v12, vcc
	v_cndmask_b32_e32 v12, v16, v20, vcc
	v_mov_b32_e32 v15, 0x3b800000
	v_lshlrev_b32_e32 v11, 20, v11
	v_lshl_add_u32 v12, v12, 23, v15
	v_or3_b32 v11, v14, v12, v11
.LBB29_1632:
	s_or_b64 exec, exec, s[6:7]
	s_nop 0
	v_mfma_f32_16x16x4f32 a[0:3], v10, v11, a[0:3]
	s_movk_i32 s4, 0x7f
	v_cmp_gt_i16_sdwa s[6:7], v17, s4 src0_sel:BYTE_0 src1_sel:DWORD
	s_mov_b64 s[4:5], 0
                                        ; implicit-def: $sgpr10
	s_and_saveexec_b64 s[8:9], s[6:7]
	s_xor_b64 s[6:7], exec, s[8:9]
	s_cbranch_execnz .LBB29_3681
; %bb.1633:
	s_or_saveexec_b64 s[6:7], s[6:7]
	v_mov_b32_e32 v10, s10
	s_xor_b64 exec, exec, s[6:7]
	s_cbranch_execnz .LBB29_3684
.LBB29_1634:
	s_or_b64 exec, exec, s[6:7]
	s_and_saveexec_b64 s[6:7], s[4:5]
	s_cbranch_execz .LBB29_1636
.LBB29_1635:
	v_and_b32_e32 v10, 7, v17
	v_ffbh_u32_e32 v12, v10
	v_min_u32_e32 v12, 32, v12
	v_lshrrev_b16_e32 v11, 3, v17
	v_subrev_u32_e32 v14, 28, v12
	v_and_b32_e32 v11, 15, v11
	v_lshlrev_b32_e32 v14, v14, v17
	v_sub_u32_e32 v12, 29, v12
	v_and_b32_e32 v14, 7, v14
	v_cmp_eq_u16_e32 vcc, 0, v11
	v_cndmask_b32_e32 v10, v10, v14, vcc
	v_cndmask_b32_e32 v11, v11, v12, vcc
	v_lshlrev_b32_e32 v12, 24, v17
	v_mov_b32_e32 v14, 0x3b800000
	v_lshlrev_b32_e32 v10, 20, v10
	v_and_b32_e32 v12, 0x80000000, v12
	v_lshl_add_u32 v11, v11, 23, v14
	v_or3_b32 v10, v12, v11, v10
.LBB29_1636:
	s_or_b64 exec, exec, s[6:7]
	s_movk_i32 s4, 0x7f
	v_cmp_gt_i16_sdwa s[6:7], v13, s4 src0_sel:BYTE_0 src1_sel:DWORD
	s_mov_b64 s[4:5], 0
                                        ; implicit-def: $sgpr10
	s_and_saveexec_b64 s[8:9], s[6:7]
	s_xor_b64 s[6:7], exec, s[8:9]
	s_cbranch_execnz .LBB29_3685
; %bb.1637:
	s_or_saveexec_b64 s[6:7], s[6:7]
	v_mov_b32_e32 v11, s10
	s_xor_b64 exec, exec, s[6:7]
	s_cbranch_execnz .LBB29_3688
.LBB29_1638:
	s_or_b64 exec, exec, s[6:7]
	s_and_saveexec_b64 s[6:7], s[4:5]
	s_cbranch_execz .LBB29_1640
.LBB29_1639:
	v_and_b32_e32 v11, 7, v13
	v_ffbh_u32_e32 v14, v11
	v_min_u32_e32 v14, 32, v14
	v_lshrrev_b16_e32 v12, 3, v13
	v_subrev_u32_e32 v15, 28, v14
	v_and_b32_e32 v12, 15, v12
	v_lshlrev_b32_e32 v15, v15, v13
	v_sub_u32_e32 v14, 29, v14
	v_and_b32_e32 v15, 7, v15
	v_cmp_eq_u16_e32 vcc, 0, v12
	v_cndmask_b32_e32 v11, v11, v15, vcc
	v_cndmask_b32_e32 v12, v12, v14, vcc
	v_lshlrev_b32_e32 v14, 24, v13
	v_mov_b32_e32 v15, 0x3b800000
	v_lshlrev_b32_e32 v11, 20, v11
	v_and_b32_e32 v14, 0x80000000, v14
	v_lshl_add_u32 v12, v12, 23, v15
	v_or3_b32 v11, v14, v12, v11
.LBB29_1640:
	s_or_b64 exec, exec, s[6:7]
	s_nop 0
	v_mfma_f32_16x16x4f32 a[0:3], v10, v11, a[0:3]
	v_lshrrev_b32_e32 v11, 8, v17
	s_movk_i32 s4, 0x7f
	v_cmp_gt_i16_sdwa s[6:7], v11, s4 src0_sel:BYTE_0 src1_sel:DWORD
	s_mov_b64 s[4:5], 0
                                        ; implicit-def: $sgpr10
	s_and_saveexec_b64 s[8:9], s[6:7]
	s_xor_b64 s[6:7], exec, s[8:9]
	s_cbranch_execnz .LBB29_3689
; %bb.1641:
	s_or_saveexec_b64 s[6:7], s[6:7]
	v_mov_b32_e32 v10, s10
	s_xor_b64 exec, exec, s[6:7]
	s_cbranch_execnz .LBB29_3692
.LBB29_1642:
	s_or_b64 exec, exec, s[6:7]
	s_and_saveexec_b64 s[6:7], s[4:5]
	s_cbranch_execz .LBB29_1644
.LBB29_1643:
	v_bfe_u32 v10, v17, 8, 3
	v_ffbh_u32_e32 v14, v10
	v_min_u32_e32 v14, 32, v14
	v_lshrrev_b16_e32 v12, 3, v11
	v_subrev_u32_e32 v15, 28, v14
	v_and_b32_e32 v12, 15, v12
	v_lshlrev_b32_e32 v11, v15, v11
	v_sub_u32_e32 v14, 29, v14
	v_and_b32_e32 v11, 7, v11
	v_cmp_eq_u16_e32 vcc, 0, v12
	v_cndmask_b32_e32 v10, v10, v11, vcc
	v_cndmask_b32_e32 v11, v12, v14, vcc
	v_lshlrev_b32_e32 v12, 16, v17
	v_mov_b32_e32 v14, 0x3b800000
	v_lshlrev_b32_e32 v10, 20, v10
	v_and_b32_e32 v12, 0x80000000, v12
	v_lshl_add_u32 v11, v11, 23, v14
	v_or3_b32 v10, v12, v11, v10
.LBB29_1644:
	s_or_b64 exec, exec, s[6:7]
	v_lshrrev_b32_e32 v11, 8, v13
	s_movk_i32 s4, 0x7f
	v_cmp_gt_i16_sdwa s[6:7], v11, s4 src0_sel:BYTE_0 src1_sel:DWORD
	s_mov_b64 s[4:5], 0
                                        ; implicit-def: $sgpr10
	s_and_saveexec_b64 s[8:9], s[6:7]
	s_xor_b64 s[6:7], exec, s[8:9]
	s_cbranch_execnz .LBB29_3693
; %bb.1645:
	s_or_saveexec_b64 s[6:7], s[6:7]
	v_mov_b32_e32 v12, s10
	s_xor_b64 exec, exec, s[6:7]
	s_cbranch_execnz .LBB29_3696
.LBB29_1646:
	s_or_b64 exec, exec, s[6:7]
	s_and_saveexec_b64 s[6:7], s[4:5]
	s_cbranch_execz .LBB29_1648
.LBB29_1647:
	v_bfe_u32 v12, v13, 8, 3
	v_ffbh_u32_e32 v15, v12
	v_min_u32_e32 v15, 32, v15
	v_lshrrev_b16_e32 v14, 3, v11
	v_subrev_u32_e32 v16, 28, v15
	v_and_b32_e32 v14, 15, v14
	v_lshlrev_b32_e32 v11, v16, v11
	v_sub_u32_e32 v15, 29, v15
	v_and_b32_e32 v11, 7, v11
	v_cmp_eq_u16_e32 vcc, 0, v14
	v_cndmask_b32_e32 v11, v12, v11, vcc
	v_cndmask_b32_e32 v12, v14, v15, vcc
	v_lshlrev_b32_e32 v14, 16, v13
	v_mov_b32_e32 v15, 0x3b800000
	v_lshlrev_b32_e32 v11, 20, v11
	v_and_b32_e32 v14, 0x80000000, v14
	v_lshl_add_u32 v12, v12, 23, v15
	v_or3_b32 v12, v14, v12, v11
.LBB29_1648:
	s_or_b64 exec, exec, s[6:7]
	s_nop 0
	v_mfma_f32_16x16x4f32 a[0:3], v10, v12, a[0:3]
	s_movk_i32 s4, 0xff
	v_and_b32_sdwa v11, v17, s4 dst_sel:DWORD dst_unused:UNUSED_PAD src0_sel:WORD_1 src1_sel:DWORD
	s_movk_i32 s4, 0x7f
	v_cmp_lt_i16_e32 vcc, s4, v11
	s_mov_b64 s[4:5], 0
                                        ; implicit-def: $sgpr10
	s_and_saveexec_b64 s[6:7], vcc
	s_xor_b64 s[6:7], exec, s[6:7]
	s_cbranch_execnz .LBB29_3697
; %bb.1649:
	s_or_saveexec_b64 s[6:7], s[6:7]
	v_mov_b32_e32 v10, s10
	s_xor_b64 exec, exec, s[6:7]
	s_cbranch_execnz .LBB29_3700
.LBB29_1650:
	s_or_b64 exec, exec, s[6:7]
	s_and_saveexec_b64 s[6:7], s[4:5]
	s_cbranch_execz .LBB29_1652
.LBB29_1651:
	v_bfe_u32 v10, v17, 16, 3
	v_ffbh_u32_e32 v14, v10
	v_min_u32_e32 v14, 32, v14
	v_lshrrev_b32_e32 v11, 19, v17
	v_subrev_u32_e32 v15, 28, v14
	v_and_b32_e32 v11, 15, v11
	v_lshlrev_b32_sdwa v15, v15, v17 dst_sel:DWORD dst_unused:UNUSED_PAD src0_sel:DWORD src1_sel:WORD_1
	v_bfe_u32 v12, v17, 19, 4
	v_sub_u32_e32 v14, 29, v14
	v_and_b32_e32 v15, 7, v15
	v_cmp_eq_u16_e32 vcc, 0, v11
	v_cndmask_b32_e32 v10, v10, v15, vcc
	v_cndmask_b32_e32 v11, v12, v14, vcc
	v_lshlrev_b32_e32 v12, 8, v17
	v_mov_b32_e32 v14, 0x3b800000
	v_lshlrev_b32_e32 v10, 20, v10
	v_and_b32_e32 v12, 0x80000000, v12
	v_lshl_add_u32 v11, v11, 23, v14
	v_or3_b32 v10, v12, v11, v10
.LBB29_1652:
	s_or_b64 exec, exec, s[6:7]
	s_movk_i32 s4, 0xff
	v_and_b32_sdwa v11, v13, s4 dst_sel:DWORD dst_unused:UNUSED_PAD src0_sel:WORD_1 src1_sel:DWORD
	s_movk_i32 s4, 0x7f
	v_cmp_lt_i16_e32 vcc, s4, v11
	s_mov_b64 s[4:5], 0
                                        ; implicit-def: $sgpr10
	s_and_saveexec_b64 s[6:7], vcc
	s_xor_b64 s[6:7], exec, s[6:7]
	s_cbranch_execnz .LBB29_3701
; %bb.1653:
	s_or_saveexec_b64 s[6:7], s[6:7]
	v_mov_b32_e32 v12, s10
	s_xor_b64 exec, exec, s[6:7]
	s_cbranch_execnz .LBB29_3704
.LBB29_1654:
	s_or_b64 exec, exec, s[6:7]
	s_and_saveexec_b64 s[6:7], s[4:5]
	s_cbranch_execz .LBB29_1656
.LBB29_1655:
	v_bfe_u32 v11, v13, 16, 3
	v_ffbh_u32_e32 v15, v11
	v_min_u32_e32 v15, 32, v15
	v_lshrrev_b32_e32 v12, 19, v13
	v_subrev_u32_e32 v16, 28, v15
	v_and_b32_e32 v12, 15, v12
	v_lshlrev_b32_sdwa v16, v16, v13 dst_sel:DWORD dst_unused:UNUSED_PAD src0_sel:DWORD src1_sel:WORD_1
	v_bfe_u32 v14, v13, 19, 4
	v_sub_u32_e32 v15, 29, v15
	v_and_b32_e32 v16, 7, v16
	v_cmp_eq_u16_e32 vcc, 0, v12
	v_cndmask_b32_e32 v11, v11, v16, vcc
	v_cndmask_b32_e32 v12, v14, v15, vcc
	v_lshlrev_b32_e32 v14, 8, v13
	v_mov_b32_e32 v15, 0x3b800000
	v_lshlrev_b32_e32 v11, 20, v11
	v_and_b32_e32 v14, 0x80000000, v14
	v_lshl_add_u32 v12, v12, 23, v15
	v_or3_b32 v12, v14, v12, v11
.LBB29_1656:
	s_or_b64 exec, exec, s[6:7]
	s_nop 0
	v_mfma_f32_16x16x4f32 a[0:3], v10, v12, a[0:3]
	s_movk_i32 s4, 0x7f
	v_cmp_gt_i16_sdwa s[6:7], v17, s4 src0_sel:BYTE_3 src1_sel:DWORD
	s_mov_b64 s[4:5], 0
                                        ; implicit-def: $sgpr10
	s_and_saveexec_b64 s[8:9], s[6:7]
	s_xor_b64 s[6:7], exec, s[8:9]
	s_cbranch_execnz .LBB29_3705
; %bb.1657:
	s_or_saveexec_b64 s[6:7], s[6:7]
	v_mov_b32_e32 v10, s10
	s_xor_b64 exec, exec, s[6:7]
	s_cbranch_execnz .LBB29_3708
.LBB29_1658:
	s_or_b64 exec, exec, s[6:7]
	s_and_saveexec_b64 s[6:7], s[4:5]
	s_cbranch_execz .LBB29_1660
.LBB29_1659:
	v_bfe_u32 v10, v17, 24, 3
	v_ffbh_u32_e32 v15, v10
	v_min_u32_e32 v15, 32, v15
	v_lshrrev_b32_e32 v12, 27, v17
	v_subrev_u32_e32 v16, 28, v15
	v_and_b32_e32 v12, 15, v12
	v_lshlrev_b32_sdwa v16, v16, v17 dst_sel:DWORD dst_unused:UNUSED_PAD src0_sel:DWORD src1_sel:BYTE_3
	v_bfe_u32 v14, v17, 27, 4
	v_sub_u32_e32 v15, 29, v15
	v_and_b32_e32 v16, 7, v16
	v_cmp_eq_u16_e32 vcc, 0, v12
	v_cndmask_b32_e32 v10, v10, v16, vcc
	v_cndmask_b32_e32 v12, v14, v15, vcc
	v_mov_b32_e32 v14, 0x3b800000
	v_and_b32_e32 v11, 0x80000000, v17
	v_lshlrev_b32_e32 v10, 20, v10
	v_lshl_add_u32 v12, v12, 23, v14
	v_or3_b32 v10, v11, v12, v10
.LBB29_1660:
	s_or_b64 exec, exec, s[6:7]
	s_movk_i32 s4, 0x7f
	v_cmp_gt_i16_sdwa s[6:7], v13, s4 src0_sel:BYTE_3 src1_sel:DWORD
	s_mov_b64 s[4:5], 0
                                        ; implicit-def: $sgpr10
	s_and_saveexec_b64 s[8:9], s[6:7]
	s_xor_b64 s[6:7], exec, s[8:9]
	s_cbranch_execnz .LBB29_3709
; %bb.1661:
	s_or_saveexec_b64 s[6:7], s[6:7]
	v_mov_b32_e32 v11, s10
	s_xor_b64 exec, exec, s[6:7]
	s_cbranch_execnz .LBB29_3712
.LBB29_1662:
	s_or_b64 exec, exec, s[6:7]
	s_and_saveexec_b64 s[6:7], s[4:5]
	s_cbranch_execz .LBB29_1664
.LBB29_1663:
	v_bfe_u32 v11, v13, 24, 3
	v_ffbh_u32_e32 v16, v11
	v_min_u32_e32 v16, 32, v16
	v_lshrrev_b32_e32 v14, 27, v13
	v_subrev_u32_e32 v17, 28, v16
	v_and_b32_e32 v12, 0x80000000, v13
	v_and_b32_e32 v14, 15, v14
	v_bfe_u32 v15, v13, 27, 4
	v_lshlrev_b32_sdwa v13, v17, v13 dst_sel:DWORD dst_unused:UNUSED_PAD src0_sel:DWORD src1_sel:BYTE_3
	v_sub_u32_e32 v16, 29, v16
	v_and_b32_e32 v13, 7, v13
	v_cmp_eq_u16_e32 vcc, 0, v14
	v_cndmask_b32_e32 v11, v11, v13, vcc
	v_cndmask_b32_e32 v13, v15, v16, vcc
	v_mov_b32_e32 v14, 0x3b800000
	v_lshlrev_b32_e32 v11, 20, v11
	v_lshl_add_u32 v13, v13, 23, v14
	v_or3_b32 v11, v12, v13, v11
.LBB29_1664:
	s_or_b64 exec, exec, s[6:7]
	s_nop 0
	v_mfma_f32_16x16x4f32 a[0:3], v10, v11, a[0:3]
	s_movk_i32 s4, 0x7f
	v_cmp_gt_i16_sdwa s[6:7], v6, s4 src0_sel:BYTE_0 src1_sel:DWORD
	s_mov_b64 s[4:5], 0
                                        ; implicit-def: $sgpr10
	s_and_saveexec_b64 s[8:9], s[6:7]
	s_xor_b64 s[6:7], exec, s[8:9]
	s_cbranch_execnz .LBB29_3713
; %bb.1665:
	s_or_saveexec_b64 s[6:7], s[6:7]
	v_mov_b32_e32 v10, s10
	s_xor_b64 exec, exec, s[6:7]
	s_cbranch_execnz .LBB29_3716
.LBB29_1666:
	s_or_b64 exec, exec, s[6:7]
	s_and_saveexec_b64 s[6:7], s[4:5]
	s_cbranch_execz .LBB29_1668
.LBB29_1667:
	v_and_b32_e32 v10, 7, v6
	v_ffbh_u32_e32 v12, v10
	v_min_u32_e32 v12, 32, v12
	v_lshrrev_b16_e32 v11, 3, v6
	v_subrev_u32_e32 v13, 28, v12
	v_and_b32_e32 v11, 15, v11
	v_lshlrev_b32_e32 v13, v13, v6
	v_sub_u32_e32 v12, 29, v12
	v_and_b32_e32 v13, 7, v13
	v_cmp_eq_u16_e32 vcc, 0, v11
	v_cndmask_b32_e32 v10, v10, v13, vcc
	v_cndmask_b32_e32 v11, v11, v12, vcc
	v_lshlrev_b32_e32 v12, 24, v6
	v_mov_b32_e32 v13, 0x3b800000
	v_lshlrev_b32_e32 v10, 20, v10
	v_and_b32_e32 v12, 0x80000000, v12
	v_lshl_add_u32 v11, v11, 23, v13
	v_or3_b32 v10, v12, v11, v10
.LBB29_1668:
	s_or_b64 exec, exec, s[6:7]
	s_movk_i32 s4, 0x7f
	v_cmp_gt_i16_sdwa s[6:7], v2, s4 src0_sel:BYTE_0 src1_sel:DWORD
	s_mov_b64 s[4:5], 0
                                        ; implicit-def: $sgpr10
	s_and_saveexec_b64 s[8:9], s[6:7]
	s_xor_b64 s[6:7], exec, s[8:9]
	s_cbranch_execnz .LBB29_3717
; %bb.1669:
	s_or_saveexec_b64 s[6:7], s[6:7]
	v_mov_b32_e32 v11, s10
	s_xor_b64 exec, exec, s[6:7]
	s_cbranch_execnz .LBB29_3720
.LBB29_1670:
	s_or_b64 exec, exec, s[6:7]
	s_and_saveexec_b64 s[6:7], s[4:5]
	s_cbranch_execz .LBB29_1672
.LBB29_1671:
	v_and_b32_e32 v11, 7, v2
	v_ffbh_u32_e32 v13, v11
	v_min_u32_e32 v13, 32, v13
	v_lshrrev_b16_e32 v12, 3, v2
	v_subrev_u32_e32 v14, 28, v13
	v_and_b32_e32 v12, 15, v12
	v_lshlrev_b32_e32 v14, v14, v2
	v_sub_u32_e32 v13, 29, v13
	v_and_b32_e32 v14, 7, v14
	v_cmp_eq_u16_e32 vcc, 0, v12
	v_cndmask_b32_e32 v11, v11, v14, vcc
	v_cndmask_b32_e32 v12, v12, v13, vcc
	v_lshlrev_b32_e32 v13, 24, v2
	v_mov_b32_e32 v14, 0x3b800000
	v_lshlrev_b32_e32 v11, 20, v11
	v_and_b32_e32 v13, 0x80000000, v13
	v_lshl_add_u32 v12, v12, 23, v14
	v_or3_b32 v11, v13, v12, v11
.LBB29_1672:
	s_or_b64 exec, exec, s[6:7]
	s_nop 0
	v_mfma_f32_16x16x4f32 a[0:3], v10, v11, a[0:3]
	v_lshrrev_b32_e32 v11, 8, v6
	s_movk_i32 s4, 0x7f
	v_cmp_gt_i16_sdwa s[6:7], v11, s4 src0_sel:BYTE_0 src1_sel:DWORD
	s_mov_b64 s[4:5], 0
                                        ; implicit-def: $sgpr10
	s_and_saveexec_b64 s[8:9], s[6:7]
	s_xor_b64 s[6:7], exec, s[8:9]
	s_cbranch_execnz .LBB29_3721
; %bb.1673:
	s_or_saveexec_b64 s[6:7], s[6:7]
	v_mov_b32_e32 v10, s10
	s_xor_b64 exec, exec, s[6:7]
	s_cbranch_execnz .LBB29_3724
.LBB29_1674:
	s_or_b64 exec, exec, s[6:7]
	s_and_saveexec_b64 s[6:7], s[4:5]
	s_cbranch_execz .LBB29_1676
.LBB29_1675:
	v_bfe_u32 v10, v6, 8, 3
	v_ffbh_u32_e32 v13, v10
	v_min_u32_e32 v13, 32, v13
	v_lshrrev_b16_e32 v12, 3, v11
	v_subrev_u32_e32 v14, 28, v13
	v_and_b32_e32 v12, 15, v12
	v_lshlrev_b32_e32 v11, v14, v11
	v_sub_u32_e32 v13, 29, v13
	v_and_b32_e32 v11, 7, v11
	v_cmp_eq_u16_e32 vcc, 0, v12
	v_cndmask_b32_e32 v10, v10, v11, vcc
	v_cndmask_b32_e32 v11, v12, v13, vcc
	v_lshlrev_b32_e32 v12, 16, v6
	v_mov_b32_e32 v13, 0x3b800000
	v_lshlrev_b32_e32 v10, 20, v10
	v_and_b32_e32 v12, 0x80000000, v12
	v_lshl_add_u32 v11, v11, 23, v13
	v_or3_b32 v10, v12, v11, v10
.LBB29_1676:
	s_or_b64 exec, exec, s[6:7]
	v_lshrrev_b32_e32 v11, 8, v2
	s_movk_i32 s4, 0x7f
	v_cmp_gt_i16_sdwa s[6:7], v11, s4 src0_sel:BYTE_0 src1_sel:DWORD
	s_mov_b64 s[4:5], 0
                                        ; implicit-def: $sgpr10
	s_and_saveexec_b64 s[8:9], s[6:7]
	s_xor_b64 s[6:7], exec, s[8:9]
	s_cbranch_execnz .LBB29_3725
; %bb.1677:
	s_or_saveexec_b64 s[6:7], s[6:7]
	v_mov_b32_e32 v12, s10
	s_xor_b64 exec, exec, s[6:7]
	s_cbranch_execnz .LBB29_3728
.LBB29_1678:
	s_or_b64 exec, exec, s[6:7]
	s_and_saveexec_b64 s[6:7], s[4:5]
	s_cbranch_execz .LBB29_1680
.LBB29_1679:
	v_bfe_u32 v12, v2, 8, 3
	v_ffbh_u32_e32 v14, v12
	v_min_u32_e32 v14, 32, v14
	v_lshrrev_b16_e32 v13, 3, v11
	v_subrev_u32_e32 v15, 28, v14
	v_and_b32_e32 v13, 15, v13
	v_lshlrev_b32_e32 v11, v15, v11
	v_sub_u32_e32 v14, 29, v14
	v_and_b32_e32 v11, 7, v11
	v_cmp_eq_u16_e32 vcc, 0, v13
	v_cndmask_b32_e32 v11, v12, v11, vcc
	v_cndmask_b32_e32 v12, v13, v14, vcc
	v_lshlrev_b32_e32 v13, 16, v2
	v_mov_b32_e32 v14, 0x3b800000
	v_lshlrev_b32_e32 v11, 20, v11
	v_and_b32_e32 v13, 0x80000000, v13
	v_lshl_add_u32 v12, v12, 23, v14
	v_or3_b32 v12, v13, v12, v11
.LBB29_1680:
	s_or_b64 exec, exec, s[6:7]
	s_nop 0
	v_mfma_f32_16x16x4f32 a[0:3], v10, v12, a[0:3]
	s_movk_i32 s4, 0xff
	v_and_b32_sdwa v11, v6, s4 dst_sel:DWORD dst_unused:UNUSED_PAD src0_sel:WORD_1 src1_sel:DWORD
	s_movk_i32 s4, 0x7f
	v_cmp_lt_i16_e32 vcc, s4, v11
	s_mov_b64 s[4:5], 0
                                        ; implicit-def: $sgpr10
	s_and_saveexec_b64 s[6:7], vcc
	s_xor_b64 s[6:7], exec, s[6:7]
	s_cbranch_execnz .LBB29_3729
; %bb.1681:
	s_or_saveexec_b64 s[6:7], s[6:7]
	v_mov_b32_e32 v10, s10
	s_xor_b64 exec, exec, s[6:7]
	s_cbranch_execnz .LBB29_3732
.LBB29_1682:
	s_or_b64 exec, exec, s[6:7]
	s_and_saveexec_b64 s[6:7], s[4:5]
	s_cbranch_execz .LBB29_1684
.LBB29_1683:
	v_bfe_u32 v10, v6, 16, 3
	v_ffbh_u32_e32 v13, v10
	v_min_u32_e32 v13, 32, v13
	v_lshrrev_b32_e32 v11, 19, v6
	v_subrev_u32_e32 v14, 28, v13
	v_and_b32_e32 v11, 15, v11
	v_lshlrev_b32_sdwa v14, v14, v6 dst_sel:DWORD dst_unused:UNUSED_PAD src0_sel:DWORD src1_sel:WORD_1
	v_bfe_u32 v12, v6, 19, 4
	v_sub_u32_e32 v13, 29, v13
	v_and_b32_e32 v14, 7, v14
	v_cmp_eq_u16_e32 vcc, 0, v11
	v_cndmask_b32_e32 v10, v10, v14, vcc
	v_cndmask_b32_e32 v11, v12, v13, vcc
	v_lshlrev_b32_e32 v12, 8, v6
	v_mov_b32_e32 v13, 0x3b800000
	v_lshlrev_b32_e32 v10, 20, v10
	v_and_b32_e32 v12, 0x80000000, v12
	v_lshl_add_u32 v11, v11, 23, v13
	v_or3_b32 v10, v12, v11, v10
.LBB29_1684:
	s_or_b64 exec, exec, s[6:7]
	s_movk_i32 s4, 0xff
	v_and_b32_sdwa v11, v2, s4 dst_sel:DWORD dst_unused:UNUSED_PAD src0_sel:WORD_1 src1_sel:DWORD
	s_movk_i32 s4, 0x7f
	v_cmp_lt_i16_e32 vcc, s4, v11
	s_mov_b64 s[4:5], 0
                                        ; implicit-def: $sgpr10
	s_and_saveexec_b64 s[6:7], vcc
	s_xor_b64 s[6:7], exec, s[6:7]
	s_cbranch_execnz .LBB29_3733
; %bb.1685:
	s_or_saveexec_b64 s[6:7], s[6:7]
	v_mov_b32_e32 v12, s10
	s_xor_b64 exec, exec, s[6:7]
	s_cbranch_execnz .LBB29_3736
.LBB29_1686:
	s_or_b64 exec, exec, s[6:7]
	s_and_saveexec_b64 s[6:7], s[4:5]
	s_cbranch_execz .LBB29_1688
.LBB29_1687:
	v_bfe_u32 v11, v2, 16, 3
	v_ffbh_u32_e32 v14, v11
	v_min_u32_e32 v14, 32, v14
	v_lshrrev_b32_e32 v12, 19, v2
	v_subrev_u32_e32 v15, 28, v14
	v_and_b32_e32 v12, 15, v12
	v_lshlrev_b32_sdwa v15, v15, v2 dst_sel:DWORD dst_unused:UNUSED_PAD src0_sel:DWORD src1_sel:WORD_1
	v_bfe_u32 v13, v2, 19, 4
	v_sub_u32_e32 v14, 29, v14
	v_and_b32_e32 v15, 7, v15
	v_cmp_eq_u16_e32 vcc, 0, v12
	v_cndmask_b32_e32 v11, v11, v15, vcc
	v_cndmask_b32_e32 v12, v13, v14, vcc
	v_lshlrev_b32_e32 v13, 8, v2
	v_mov_b32_e32 v14, 0x3b800000
	v_lshlrev_b32_e32 v11, 20, v11
	v_and_b32_e32 v13, 0x80000000, v13
	v_lshl_add_u32 v12, v12, 23, v14
	v_or3_b32 v12, v13, v12, v11
.LBB29_1688:
	s_or_b64 exec, exec, s[6:7]
	s_nop 0
	v_mfma_f32_16x16x4f32 a[0:3], v10, v12, a[0:3]
	s_movk_i32 s4, 0x7f
	v_cmp_gt_i16_sdwa s[6:7], v6, s4 src0_sel:BYTE_3 src1_sel:DWORD
	s_mov_b64 s[4:5], 0
                                        ; implicit-def: $sgpr10
	s_and_saveexec_b64 s[8:9], s[6:7]
	s_xor_b64 s[6:7], exec, s[8:9]
	s_cbranch_execnz .LBB29_3737
; %bb.1689:
	s_or_saveexec_b64 s[6:7], s[6:7]
	v_mov_b32_e32 v10, s10
	s_xor_b64 exec, exec, s[6:7]
	s_cbranch_execnz .LBB29_3740
.LBB29_1690:
	s_or_b64 exec, exec, s[6:7]
	s_and_saveexec_b64 s[6:7], s[4:5]
	s_cbranch_execz .LBB29_1692
.LBB29_1691:
	v_bfe_u32 v10, v6, 24, 3
	v_ffbh_u32_e32 v14, v10
	v_min_u32_e32 v14, 32, v14
	v_lshrrev_b32_e32 v12, 27, v6
	v_subrev_u32_e32 v15, 28, v14
	v_and_b32_e32 v11, 0x80000000, v6
	v_and_b32_e32 v12, 15, v12
	v_bfe_u32 v13, v6, 27, 4
	v_lshlrev_b32_sdwa v6, v15, v6 dst_sel:DWORD dst_unused:UNUSED_PAD src0_sel:DWORD src1_sel:BYTE_3
	v_sub_u32_e32 v14, 29, v14
	v_and_b32_e32 v6, 7, v6
	v_cmp_eq_u16_e32 vcc, 0, v12
	v_cndmask_b32_e32 v6, v10, v6, vcc
	v_cndmask_b32_e32 v10, v13, v14, vcc
	v_mov_b32_e32 v12, 0x3b800000
	v_lshlrev_b32_e32 v6, 20, v6
	v_lshl_add_u32 v10, v10, 23, v12
	v_or3_b32 v10, v11, v10, v6
.LBB29_1692:
	s_or_b64 exec, exec, s[6:7]
	s_movk_i32 s4, 0x7f
	v_cmp_gt_i16_sdwa s[6:7], v2, s4 src0_sel:BYTE_3 src1_sel:DWORD
	s_mov_b64 s[4:5], 0
                                        ; implicit-def: $sgpr10
	s_and_saveexec_b64 s[8:9], s[6:7]
	s_xor_b64 s[6:7], exec, s[8:9]
	s_cbranch_execnz .LBB29_3741
; %bb.1693:
	s_or_saveexec_b64 s[6:7], s[6:7]
	v_mov_b32_e32 v6, s10
	s_xor_b64 exec, exec, s[6:7]
	s_cbranch_execnz .LBB29_3744
.LBB29_1694:
	s_or_b64 exec, exec, s[6:7]
	s_and_saveexec_b64 s[6:7], s[4:5]
	s_cbranch_execz .LBB29_1696
.LBB29_1695:
	v_bfe_u32 v6, v2, 24, 3
	v_ffbh_u32_e32 v14, v6
	v_min_u32_e32 v14, 32, v14
	v_lshrrev_b32_e32 v12, 27, v2
	v_subrev_u32_e32 v15, 28, v14
	v_and_b32_e32 v11, 0x80000000, v2
	v_and_b32_e32 v12, 15, v12
	v_bfe_u32 v13, v2, 27, 4
	v_lshlrev_b32_sdwa v2, v15, v2 dst_sel:DWORD dst_unused:UNUSED_PAD src0_sel:DWORD src1_sel:BYTE_3
	v_sub_u32_e32 v14, 29, v14
	v_and_b32_e32 v2, 7, v2
	v_cmp_eq_u16_e32 vcc, 0, v12
	v_cndmask_b32_e32 v2, v6, v2, vcc
	v_cndmask_b32_e32 v6, v13, v14, vcc
	v_mov_b32_e32 v12, 0x3b800000
	v_lshlrev_b32_e32 v2, 20, v2
	v_lshl_add_u32 v6, v6, 23, v12
	v_or3_b32 v6, v11, v6, v2
.LBB29_1696:
	s_or_b64 exec, exec, s[6:7]
	s_nop 0
	v_mfma_f32_16x16x4f32 a[0:3], v10, v6, a[0:3]
	s_movk_i32 s4, 0x7f
	v_cmp_gt_i16_sdwa s[6:7], v7, s4 src0_sel:BYTE_0 src1_sel:DWORD
	s_mov_b64 s[4:5], 0
                                        ; implicit-def: $sgpr10
	s_and_saveexec_b64 s[8:9], s[6:7]
	s_xor_b64 s[6:7], exec, s[8:9]
	s_cbranch_execnz .LBB29_3745
; %bb.1697:
	s_or_saveexec_b64 s[6:7], s[6:7]
	v_mov_b32_e32 v2, s10
	s_xor_b64 exec, exec, s[6:7]
	s_cbranch_execnz .LBB29_3748
.LBB29_1698:
	s_or_b64 exec, exec, s[6:7]
	s_and_saveexec_b64 s[6:7], s[4:5]
	s_cbranch_execz .LBB29_1700
.LBB29_1699:
	v_and_b32_e32 v2, 7, v7
	v_ffbh_u32_e32 v10, v2
	v_min_u32_e32 v10, 32, v10
	v_lshrrev_b16_e32 v6, 3, v7
	v_subrev_u32_e32 v11, 28, v10
	v_and_b32_e32 v6, 15, v6
	v_lshlrev_b32_e32 v11, v11, v7
	v_sub_u32_e32 v10, 29, v10
	v_and_b32_e32 v11, 7, v11
	v_cmp_eq_u16_e32 vcc, 0, v6
	v_cndmask_b32_e32 v2, v2, v11, vcc
	v_cndmask_b32_e32 v6, v6, v10, vcc
	v_lshlrev_b32_e32 v10, 24, v7
	v_mov_b32_e32 v11, 0x3b800000
	v_lshlrev_b32_e32 v2, 20, v2
	v_and_b32_e32 v10, 0x80000000, v10
	v_lshl_add_u32 v6, v6, 23, v11
	v_or3_b32 v2, v10, v6, v2
.LBB29_1700:
	s_or_b64 exec, exec, s[6:7]
	s_movk_i32 s4, 0x7f
	v_cmp_gt_i16_sdwa s[6:7], v3, s4 src0_sel:BYTE_0 src1_sel:DWORD
	s_mov_b64 s[4:5], 0
                                        ; implicit-def: $sgpr10
	s_and_saveexec_b64 s[8:9], s[6:7]
	s_xor_b64 s[6:7], exec, s[8:9]
	s_cbranch_execnz .LBB29_3749
; %bb.1701:
	s_or_saveexec_b64 s[6:7], s[6:7]
	v_mov_b32_e32 v6, s10
	s_xor_b64 exec, exec, s[6:7]
	s_cbranch_execnz .LBB29_3752
.LBB29_1702:
	s_or_b64 exec, exec, s[6:7]
	s_and_saveexec_b64 s[6:7], s[4:5]
	s_cbranch_execz .LBB29_1704
.LBB29_1703:
	v_and_b32_e32 v6, 7, v3
	v_ffbh_u32_e32 v11, v6
	v_min_u32_e32 v11, 32, v11
	v_lshrrev_b16_e32 v10, 3, v3
	v_subrev_u32_e32 v12, 28, v11
	v_and_b32_e32 v10, 15, v10
	v_lshlrev_b32_e32 v12, v12, v3
	v_sub_u32_e32 v11, 29, v11
	v_and_b32_e32 v12, 7, v12
	v_cmp_eq_u16_e32 vcc, 0, v10
	v_cndmask_b32_e32 v6, v6, v12, vcc
	v_cndmask_b32_e32 v10, v10, v11, vcc
	v_lshlrev_b32_e32 v11, 24, v3
	v_mov_b32_e32 v12, 0x3b800000
	v_lshlrev_b32_e32 v6, 20, v6
	v_and_b32_e32 v11, 0x80000000, v11
	v_lshl_add_u32 v10, v10, 23, v12
	v_or3_b32 v6, v11, v10, v6
.LBB29_1704:
	s_or_b64 exec, exec, s[6:7]
	s_nop 0
	v_mfma_f32_16x16x4f32 a[0:3], v2, v6, a[0:3]
	v_lshrrev_b32_e32 v6, 8, v7
	s_movk_i32 s4, 0x7f
	v_cmp_gt_i16_sdwa s[6:7], v6, s4 src0_sel:BYTE_0 src1_sel:DWORD
	s_mov_b64 s[4:5], 0
                                        ; implicit-def: $sgpr10
	s_and_saveexec_b64 s[8:9], s[6:7]
	s_xor_b64 s[6:7], exec, s[8:9]
	s_cbranch_execnz .LBB29_3753
; %bb.1705:
	s_or_saveexec_b64 s[6:7], s[6:7]
	v_mov_b32_e32 v2, s10
	s_xor_b64 exec, exec, s[6:7]
	s_cbranch_execnz .LBB29_3756
.LBB29_1706:
	s_or_b64 exec, exec, s[6:7]
	s_and_saveexec_b64 s[6:7], s[4:5]
	s_cbranch_execz .LBB29_1708
.LBB29_1707:
	v_bfe_u32 v2, v7, 8, 3
	v_ffbh_u32_e32 v11, v2
	v_min_u32_e32 v11, 32, v11
	v_lshrrev_b16_e32 v10, 3, v6
	v_subrev_u32_e32 v12, 28, v11
	v_and_b32_e32 v10, 15, v10
	v_lshlrev_b32_e32 v6, v12, v6
	v_sub_u32_e32 v11, 29, v11
	v_and_b32_e32 v6, 7, v6
	v_cmp_eq_u16_e32 vcc, 0, v10
	v_cndmask_b32_e32 v2, v2, v6, vcc
	v_cndmask_b32_e32 v6, v10, v11, vcc
	v_lshlrev_b32_e32 v10, 16, v7
	v_mov_b32_e32 v11, 0x3b800000
	v_lshlrev_b32_e32 v2, 20, v2
	v_and_b32_e32 v10, 0x80000000, v10
	v_lshl_add_u32 v6, v6, 23, v11
	v_or3_b32 v2, v10, v6, v2
.LBB29_1708:
	s_or_b64 exec, exec, s[6:7]
	v_lshrrev_b32_e32 v6, 8, v3
	s_movk_i32 s4, 0x7f
	v_cmp_gt_i16_sdwa s[6:7], v6, s4 src0_sel:BYTE_0 src1_sel:DWORD
	s_mov_b64 s[4:5], 0
                                        ; implicit-def: $sgpr10
	s_and_saveexec_b64 s[8:9], s[6:7]
	s_xor_b64 s[6:7], exec, s[8:9]
	s_cbranch_execnz .LBB29_3757
; %bb.1709:
	s_or_saveexec_b64 s[6:7], s[6:7]
	v_mov_b32_e32 v10, s10
	s_xor_b64 exec, exec, s[6:7]
	s_cbranch_execnz .LBB29_3760
.LBB29_1710:
	s_or_b64 exec, exec, s[6:7]
	s_and_saveexec_b64 s[6:7], s[4:5]
	s_cbranch_execz .LBB29_1712
.LBB29_1711:
	v_bfe_u32 v10, v3, 8, 3
	v_ffbh_u32_e32 v12, v10
	v_min_u32_e32 v12, 32, v12
	v_lshrrev_b16_e32 v11, 3, v6
	v_subrev_u32_e32 v13, 28, v12
	v_and_b32_e32 v11, 15, v11
	v_lshlrev_b32_e32 v6, v13, v6
	v_sub_u32_e32 v12, 29, v12
	v_and_b32_e32 v6, 7, v6
	v_cmp_eq_u16_e32 vcc, 0, v11
	v_cndmask_b32_e32 v6, v10, v6, vcc
	v_cndmask_b32_e32 v10, v11, v12, vcc
	v_lshlrev_b32_e32 v11, 16, v3
	v_mov_b32_e32 v12, 0x3b800000
	v_lshlrev_b32_e32 v6, 20, v6
	v_and_b32_e32 v11, 0x80000000, v11
	v_lshl_add_u32 v10, v10, 23, v12
	v_or3_b32 v10, v11, v10, v6
.LBB29_1712:
	s_or_b64 exec, exec, s[6:7]
	s_nop 0
	v_mfma_f32_16x16x4f32 a[0:3], v2, v10, a[0:3]
	s_movk_i32 s4, 0xff
	v_and_b32_sdwa v6, v7, s4 dst_sel:DWORD dst_unused:UNUSED_PAD src0_sel:WORD_1 src1_sel:DWORD
	s_movk_i32 s4, 0x7f
	v_cmp_lt_i16_e32 vcc, s4, v6
	s_mov_b64 s[4:5], 0
                                        ; implicit-def: $sgpr10
	s_and_saveexec_b64 s[6:7], vcc
	s_xor_b64 s[6:7], exec, s[6:7]
	s_cbranch_execnz .LBB29_3761
; %bb.1713:
	s_or_saveexec_b64 s[6:7], s[6:7]
	v_mov_b32_e32 v2, s10
	s_xor_b64 exec, exec, s[6:7]
	s_cbranch_execnz .LBB29_3764
.LBB29_1714:
	s_or_b64 exec, exec, s[6:7]
	s_and_saveexec_b64 s[6:7], s[4:5]
	s_cbranch_execz .LBB29_1716
.LBB29_1715:
	v_bfe_u32 v2, v7, 16, 3
	v_ffbh_u32_e32 v11, v2
	v_min_u32_e32 v11, 32, v11
	v_lshrrev_b32_e32 v6, 19, v7
	v_subrev_u32_e32 v12, 28, v11
	v_and_b32_e32 v6, 15, v6
	v_lshlrev_b32_sdwa v12, v12, v7 dst_sel:DWORD dst_unused:UNUSED_PAD src0_sel:DWORD src1_sel:WORD_1
	v_bfe_u32 v10, v7, 19, 4
	v_sub_u32_e32 v11, 29, v11
	v_and_b32_e32 v12, 7, v12
	v_cmp_eq_u16_e32 vcc, 0, v6
	v_cndmask_b32_e32 v2, v2, v12, vcc
	v_cndmask_b32_e32 v6, v10, v11, vcc
	v_lshlrev_b32_e32 v10, 8, v7
	v_mov_b32_e32 v11, 0x3b800000
	v_lshlrev_b32_e32 v2, 20, v2
	v_and_b32_e32 v10, 0x80000000, v10
	v_lshl_add_u32 v6, v6, 23, v11
	v_or3_b32 v2, v10, v6, v2
.LBB29_1716:
	s_or_b64 exec, exec, s[6:7]
	s_movk_i32 s4, 0xff
	v_and_b32_sdwa v6, v3, s4 dst_sel:DWORD dst_unused:UNUSED_PAD src0_sel:WORD_1 src1_sel:DWORD
	s_movk_i32 s4, 0x7f
	v_cmp_lt_i16_e32 vcc, s4, v6
	s_mov_b64 s[4:5], 0
                                        ; implicit-def: $sgpr10
	s_and_saveexec_b64 s[6:7], vcc
	s_xor_b64 s[6:7], exec, s[6:7]
	s_cbranch_execnz .LBB29_3765
; %bb.1717:
	s_or_saveexec_b64 s[6:7], s[6:7]
	v_mov_b32_e32 v10, s10
	s_xor_b64 exec, exec, s[6:7]
	s_cbranch_execnz .LBB29_3768
.LBB29_1718:
	s_or_b64 exec, exec, s[6:7]
	s_and_saveexec_b64 s[6:7], s[4:5]
	s_cbranch_execz .LBB29_1720
.LBB29_1719:
	v_bfe_u32 v6, v3, 16, 3
	v_ffbh_u32_e32 v12, v6
	v_min_u32_e32 v12, 32, v12
	v_lshrrev_b32_e32 v10, 19, v3
	v_subrev_u32_e32 v13, 28, v12
	v_and_b32_e32 v10, 15, v10
	v_lshlrev_b32_sdwa v13, v13, v3 dst_sel:DWORD dst_unused:UNUSED_PAD src0_sel:DWORD src1_sel:WORD_1
	v_bfe_u32 v11, v3, 19, 4
	v_sub_u32_e32 v12, 29, v12
	v_and_b32_e32 v13, 7, v13
	v_cmp_eq_u16_e32 vcc, 0, v10
	v_cndmask_b32_e32 v6, v6, v13, vcc
	v_cndmask_b32_e32 v10, v11, v12, vcc
	v_lshlrev_b32_e32 v11, 8, v3
	v_mov_b32_e32 v12, 0x3b800000
	v_lshlrev_b32_e32 v6, 20, v6
	v_and_b32_e32 v11, 0x80000000, v11
	v_lshl_add_u32 v10, v10, 23, v12
	v_or3_b32 v10, v11, v10, v6
.LBB29_1720:
	s_or_b64 exec, exec, s[6:7]
	s_nop 0
	v_mfma_f32_16x16x4f32 a[0:3], v2, v10, a[0:3]
	s_movk_i32 s4, 0x7f
	v_cmp_gt_i16_sdwa s[6:7], v7, s4 src0_sel:BYTE_3 src1_sel:DWORD
	s_mov_b64 s[4:5], 0
                                        ; implicit-def: $sgpr10
	s_and_saveexec_b64 s[8:9], s[6:7]
	s_xor_b64 s[6:7], exec, s[8:9]
	s_cbranch_execnz .LBB29_3769
; %bb.1721:
	s_or_saveexec_b64 s[6:7], s[6:7]
	v_mov_b32_e32 v2, s10
	s_xor_b64 exec, exec, s[6:7]
	s_cbranch_execnz .LBB29_3772
.LBB29_1722:
	s_or_b64 exec, exec, s[6:7]
	s_and_saveexec_b64 s[6:7], s[4:5]
	s_cbranch_execz .LBB29_1724
.LBB29_1723:
	v_bfe_u32 v2, v7, 24, 3
	v_ffbh_u32_e32 v12, v2
	v_min_u32_e32 v12, 32, v12
	v_lshrrev_b32_e32 v10, 27, v7
	v_subrev_u32_e32 v13, 28, v12
	v_and_b32_e32 v6, 0x80000000, v7
	v_and_b32_e32 v10, 15, v10
	v_bfe_u32 v11, v7, 27, 4
	v_lshlrev_b32_sdwa v7, v13, v7 dst_sel:DWORD dst_unused:UNUSED_PAD src0_sel:DWORD src1_sel:BYTE_3
	v_sub_u32_e32 v12, 29, v12
	v_and_b32_e32 v7, 7, v7
	v_cmp_eq_u16_e32 vcc, 0, v10
	v_cndmask_b32_e32 v2, v2, v7, vcc
	v_cndmask_b32_e32 v7, v11, v12, vcc
	v_mov_b32_e32 v10, 0x3b800000
	v_lshlrev_b32_e32 v2, 20, v2
	v_lshl_add_u32 v7, v7, 23, v10
	v_or3_b32 v2, v6, v7, v2
.LBB29_1724:
	s_or_b64 exec, exec, s[6:7]
	s_movk_i32 s4, 0x7f
	v_cmp_gt_i16_sdwa s[6:7], v3, s4 src0_sel:BYTE_3 src1_sel:DWORD
	s_mov_b64 s[4:5], 0
                                        ; implicit-def: $sgpr10
	s_and_saveexec_b64 s[8:9], s[6:7]
	s_xor_b64 s[6:7], exec, s[8:9]
	s_cbranch_execnz .LBB29_3773
; %bb.1725:
	s_or_saveexec_b64 s[6:7], s[6:7]
	v_mov_b32_e32 v6, s10
	s_xor_b64 exec, exec, s[6:7]
	s_cbranch_execnz .LBB29_3776
.LBB29_1726:
	s_or_b64 exec, exec, s[6:7]
	s_and_saveexec_b64 s[6:7], s[4:5]
	s_cbranch_execz .LBB29_1728
.LBB29_1727:
	v_bfe_u32 v6, v3, 24, 3
	v_ffbh_u32_e32 v12, v6
	v_min_u32_e32 v12, 32, v12
	v_lshrrev_b32_e32 v10, 27, v3
	v_subrev_u32_e32 v13, 28, v12
	v_and_b32_e32 v7, 0x80000000, v3
	v_and_b32_e32 v10, 15, v10
	v_bfe_u32 v11, v3, 27, 4
	v_lshlrev_b32_sdwa v3, v13, v3 dst_sel:DWORD dst_unused:UNUSED_PAD src0_sel:DWORD src1_sel:BYTE_3
	v_sub_u32_e32 v12, 29, v12
	v_and_b32_e32 v3, 7, v3
	v_cmp_eq_u16_e32 vcc, 0, v10
	v_cndmask_b32_e32 v3, v6, v3, vcc
	v_cndmask_b32_e32 v6, v11, v12, vcc
	v_mov_b32_e32 v10, 0x3b800000
	v_lshlrev_b32_e32 v3, 20, v3
	v_lshl_add_u32 v6, v6, 23, v10
	v_or3_b32 v6, v7, v6, v3
.LBB29_1728:
	s_or_b64 exec, exec, s[6:7]
	s_nop 0
	v_mfma_f32_16x16x4f32 a[0:3], v2, v6, a[0:3]
	s_movk_i32 s4, 0x7f
	v_cmp_gt_i16_sdwa s[6:7], v8, s4 src0_sel:BYTE_0 src1_sel:DWORD
	s_mov_b64 s[4:5], 0
                                        ; implicit-def: $sgpr10
	s_and_saveexec_b64 s[8:9], s[6:7]
	s_xor_b64 s[6:7], exec, s[8:9]
	s_cbranch_execnz .LBB29_3777
; %bb.1729:
	s_or_saveexec_b64 s[6:7], s[6:7]
	v_mov_b32_e32 v2, s10
	s_xor_b64 exec, exec, s[6:7]
	s_cbranch_execnz .LBB29_3780
.LBB29_1730:
	s_or_b64 exec, exec, s[6:7]
	s_and_saveexec_b64 s[6:7], s[4:5]
	s_cbranch_execz .LBB29_1732
.LBB29_1731:
	v_and_b32_e32 v2, 7, v8
	v_ffbh_u32_e32 v6, v2
	v_min_u32_e32 v6, 32, v6
	v_lshrrev_b16_e32 v3, 3, v8
	v_subrev_u32_e32 v7, 28, v6
	v_and_b32_e32 v3, 15, v3
	v_lshlrev_b32_e32 v7, v7, v8
	v_sub_u32_e32 v6, 29, v6
	v_and_b32_e32 v7, 7, v7
	v_cmp_eq_u16_e32 vcc, 0, v3
	v_cndmask_b32_e32 v2, v2, v7, vcc
	v_cndmask_b32_e32 v3, v3, v6, vcc
	v_lshlrev_b32_e32 v6, 24, v8
	v_mov_b32_e32 v7, 0x3b800000
	v_lshlrev_b32_e32 v2, 20, v2
	v_and_b32_e32 v6, 0x80000000, v6
	v_lshl_add_u32 v3, v3, 23, v7
	v_or3_b32 v2, v6, v3, v2
.LBB29_1732:
	s_or_b64 exec, exec, s[6:7]
	s_movk_i32 s4, 0x7f
	v_cmp_gt_i16_sdwa s[6:7], v4, s4 src0_sel:BYTE_0 src1_sel:DWORD
	s_mov_b64 s[4:5], 0
                                        ; implicit-def: $sgpr10
	s_and_saveexec_b64 s[8:9], s[6:7]
	s_xor_b64 s[6:7], exec, s[8:9]
	s_cbranch_execnz .LBB29_3781
; %bb.1733:
	s_or_saveexec_b64 s[6:7], s[6:7]
	v_mov_b32_e32 v3, s10
	s_xor_b64 exec, exec, s[6:7]
	s_cbranch_execnz .LBB29_3784
.LBB29_1734:
	s_or_b64 exec, exec, s[6:7]
	s_and_saveexec_b64 s[6:7], s[4:5]
	s_cbranch_execz .LBB29_1736
.LBB29_1735:
	v_and_b32_e32 v3, 7, v4
	v_ffbh_u32_e32 v7, v3
	v_min_u32_e32 v7, 32, v7
	v_lshrrev_b16_e32 v6, 3, v4
	v_subrev_u32_e32 v10, 28, v7
	v_and_b32_e32 v6, 15, v6
	v_lshlrev_b32_e32 v10, v10, v4
	v_sub_u32_e32 v7, 29, v7
	v_and_b32_e32 v10, 7, v10
	v_cmp_eq_u16_e32 vcc, 0, v6
	v_cndmask_b32_e32 v3, v3, v10, vcc
	v_cndmask_b32_e32 v6, v6, v7, vcc
	v_lshlrev_b32_e32 v7, 24, v4
	v_mov_b32_e32 v10, 0x3b800000
	v_lshlrev_b32_e32 v3, 20, v3
	v_and_b32_e32 v7, 0x80000000, v7
	v_lshl_add_u32 v6, v6, 23, v10
	v_or3_b32 v3, v7, v6, v3
.LBB29_1736:
	s_or_b64 exec, exec, s[6:7]
	s_nop 0
	v_mfma_f32_16x16x4f32 a[0:3], v2, v3, a[0:3]
	v_lshrrev_b32_e32 v3, 8, v8
	s_movk_i32 s4, 0x7f
	v_cmp_gt_i16_sdwa s[6:7], v3, s4 src0_sel:BYTE_0 src1_sel:DWORD
	s_mov_b64 s[4:5], 0
                                        ; implicit-def: $sgpr10
	s_and_saveexec_b64 s[8:9], s[6:7]
	s_xor_b64 s[6:7], exec, s[8:9]
	s_cbranch_execnz .LBB29_3785
; %bb.1737:
	s_or_saveexec_b64 s[6:7], s[6:7]
	v_mov_b32_e32 v2, s10
	s_xor_b64 exec, exec, s[6:7]
	s_cbranch_execnz .LBB29_3788
.LBB29_1738:
	s_or_b64 exec, exec, s[6:7]
	s_and_saveexec_b64 s[6:7], s[4:5]
	s_cbranch_execz .LBB29_1740
.LBB29_1739:
	v_bfe_u32 v2, v8, 8, 3
	v_ffbh_u32_e32 v7, v2
	v_min_u32_e32 v7, 32, v7
	v_lshrrev_b16_e32 v6, 3, v3
	v_subrev_u32_e32 v10, 28, v7
	v_and_b32_e32 v6, 15, v6
	v_lshlrev_b32_e32 v3, v10, v3
	v_sub_u32_e32 v7, 29, v7
	v_and_b32_e32 v3, 7, v3
	v_cmp_eq_u16_e32 vcc, 0, v6
	v_cndmask_b32_e32 v2, v2, v3, vcc
	v_cndmask_b32_e32 v3, v6, v7, vcc
	v_lshlrev_b32_e32 v6, 16, v8
	v_mov_b32_e32 v7, 0x3b800000
	v_lshlrev_b32_e32 v2, 20, v2
	v_and_b32_e32 v6, 0x80000000, v6
	v_lshl_add_u32 v3, v3, 23, v7
	v_or3_b32 v2, v6, v3, v2
.LBB29_1740:
	s_or_b64 exec, exec, s[6:7]
	v_lshrrev_b32_e32 v3, 8, v4
	s_movk_i32 s4, 0x7f
	v_cmp_gt_i16_sdwa s[6:7], v3, s4 src0_sel:BYTE_0 src1_sel:DWORD
	s_mov_b64 s[4:5], 0
                                        ; implicit-def: $sgpr10
	s_and_saveexec_b64 s[8:9], s[6:7]
	s_xor_b64 s[6:7], exec, s[8:9]
	s_cbranch_execnz .LBB29_3789
; %bb.1741:
	s_or_saveexec_b64 s[6:7], s[6:7]
	v_mov_b32_e32 v6, s10
	s_xor_b64 exec, exec, s[6:7]
	s_cbranch_execnz .LBB29_3792
.LBB29_1742:
	s_or_b64 exec, exec, s[6:7]
	s_and_saveexec_b64 s[6:7], s[4:5]
	s_cbranch_execz .LBB29_1744
.LBB29_1743:
	v_bfe_u32 v6, v4, 8, 3
	v_ffbh_u32_e32 v10, v6
	v_min_u32_e32 v10, 32, v10
	v_lshrrev_b16_e32 v7, 3, v3
	v_subrev_u32_e32 v11, 28, v10
	v_and_b32_e32 v7, 15, v7
	v_lshlrev_b32_e32 v3, v11, v3
	v_sub_u32_e32 v10, 29, v10
	v_and_b32_e32 v3, 7, v3
	v_cmp_eq_u16_e32 vcc, 0, v7
	v_cndmask_b32_e32 v3, v6, v3, vcc
	v_cndmask_b32_e32 v6, v7, v10, vcc
	v_lshlrev_b32_e32 v7, 16, v4
	v_mov_b32_e32 v10, 0x3b800000
	v_lshlrev_b32_e32 v3, 20, v3
	v_and_b32_e32 v7, 0x80000000, v7
	v_lshl_add_u32 v6, v6, 23, v10
	v_or3_b32 v6, v7, v6, v3
.LBB29_1744:
	s_or_b64 exec, exec, s[6:7]
	s_nop 0
	v_mfma_f32_16x16x4f32 a[0:3], v2, v6, a[0:3]
	s_movk_i32 s4, 0xff
	v_and_b32_sdwa v3, v8, s4 dst_sel:DWORD dst_unused:UNUSED_PAD src0_sel:WORD_1 src1_sel:DWORD
	s_movk_i32 s4, 0x7f
	v_cmp_lt_i16_e32 vcc, s4, v3
	s_mov_b64 s[4:5], 0
                                        ; implicit-def: $sgpr10
	s_and_saveexec_b64 s[6:7], vcc
	s_xor_b64 s[6:7], exec, s[6:7]
	s_cbranch_execnz .LBB29_3793
; %bb.1745:
	s_or_saveexec_b64 s[6:7], s[6:7]
	v_mov_b32_e32 v2, s10
	s_xor_b64 exec, exec, s[6:7]
	s_cbranch_execnz .LBB29_3796
.LBB29_1746:
	s_or_b64 exec, exec, s[6:7]
	s_and_saveexec_b64 s[6:7], s[4:5]
	s_cbranch_execz .LBB29_1748
.LBB29_1747:
	v_bfe_u32 v2, v8, 16, 3
	v_ffbh_u32_e32 v7, v2
	v_min_u32_e32 v7, 32, v7
	v_lshrrev_b32_e32 v3, 19, v8
	v_subrev_u32_e32 v10, 28, v7
	v_and_b32_e32 v3, 15, v3
	v_lshlrev_b32_sdwa v10, v10, v8 dst_sel:DWORD dst_unused:UNUSED_PAD src0_sel:DWORD src1_sel:WORD_1
	v_bfe_u32 v6, v8, 19, 4
	v_sub_u32_e32 v7, 29, v7
	v_and_b32_e32 v10, 7, v10
	v_cmp_eq_u16_e32 vcc, 0, v3
	v_cndmask_b32_e32 v2, v2, v10, vcc
	v_cndmask_b32_e32 v3, v6, v7, vcc
	v_lshlrev_b32_e32 v6, 8, v8
	v_mov_b32_e32 v7, 0x3b800000
	v_lshlrev_b32_e32 v2, 20, v2
	v_and_b32_e32 v6, 0x80000000, v6
	v_lshl_add_u32 v3, v3, 23, v7
	v_or3_b32 v2, v6, v3, v2
.LBB29_1748:
	s_or_b64 exec, exec, s[6:7]
	s_movk_i32 s4, 0xff
	v_and_b32_sdwa v3, v4, s4 dst_sel:DWORD dst_unused:UNUSED_PAD src0_sel:WORD_1 src1_sel:DWORD
	s_movk_i32 s4, 0x7f
	v_cmp_lt_i16_e32 vcc, s4, v3
	s_mov_b64 s[4:5], 0
                                        ; implicit-def: $sgpr10
	s_and_saveexec_b64 s[6:7], vcc
	s_xor_b64 s[6:7], exec, s[6:7]
	s_cbranch_execnz .LBB29_3797
; %bb.1749:
	s_or_saveexec_b64 s[6:7], s[6:7]
	v_mov_b32_e32 v6, s10
	s_xor_b64 exec, exec, s[6:7]
	s_cbranch_execnz .LBB29_3800
.LBB29_1750:
	s_or_b64 exec, exec, s[6:7]
	s_and_saveexec_b64 s[6:7], s[4:5]
	s_cbranch_execz .LBB29_1752
.LBB29_1751:
	v_bfe_u32 v3, v4, 16, 3
	v_ffbh_u32_e32 v10, v3
	v_min_u32_e32 v10, 32, v10
	v_lshrrev_b32_e32 v6, 19, v4
	v_subrev_u32_e32 v11, 28, v10
	v_and_b32_e32 v6, 15, v6
	v_lshlrev_b32_sdwa v11, v11, v4 dst_sel:DWORD dst_unused:UNUSED_PAD src0_sel:DWORD src1_sel:WORD_1
	v_bfe_u32 v7, v4, 19, 4
	v_sub_u32_e32 v10, 29, v10
	v_and_b32_e32 v11, 7, v11
	v_cmp_eq_u16_e32 vcc, 0, v6
	v_cndmask_b32_e32 v3, v3, v11, vcc
	v_cndmask_b32_e32 v6, v7, v10, vcc
	v_lshlrev_b32_e32 v7, 8, v4
	v_mov_b32_e32 v10, 0x3b800000
	v_lshlrev_b32_e32 v3, 20, v3
	v_and_b32_e32 v7, 0x80000000, v7
	v_lshl_add_u32 v6, v6, 23, v10
	v_or3_b32 v6, v7, v6, v3
.LBB29_1752:
	s_or_b64 exec, exec, s[6:7]
	s_nop 0
	v_mfma_f32_16x16x4f32 a[0:3], v2, v6, a[0:3]
	s_movk_i32 s4, 0x7f
	v_cmp_gt_i16_sdwa s[6:7], v8, s4 src0_sel:BYTE_3 src1_sel:DWORD
	s_mov_b64 s[4:5], 0
                                        ; implicit-def: $sgpr10
	s_and_saveexec_b64 s[8:9], s[6:7]
	s_xor_b64 s[6:7], exec, s[8:9]
	s_cbranch_execnz .LBB29_3801
; %bb.1753:
	s_or_saveexec_b64 s[6:7], s[6:7]
	v_mov_b32_e32 v2, s10
	s_xor_b64 exec, exec, s[6:7]
	s_cbranch_execnz .LBB29_3804
.LBB29_1754:
	s_or_b64 exec, exec, s[6:7]
	s_and_saveexec_b64 s[6:7], s[4:5]
	s_cbranch_execz .LBB29_1756
.LBB29_1755:
	v_bfe_u32 v2, v8, 24, 3
	v_ffbh_u32_e32 v10, v2
	v_min_u32_e32 v10, 32, v10
	v_lshrrev_b32_e32 v6, 27, v8
	v_subrev_u32_e32 v11, 28, v10
	v_and_b32_e32 v3, 0x80000000, v8
	v_and_b32_e32 v6, 15, v6
	v_bfe_u32 v7, v8, 27, 4
	v_lshlrev_b32_sdwa v8, v11, v8 dst_sel:DWORD dst_unused:UNUSED_PAD src0_sel:DWORD src1_sel:BYTE_3
	v_sub_u32_e32 v10, 29, v10
	v_and_b32_e32 v8, 7, v8
	v_cmp_eq_u16_e32 vcc, 0, v6
	v_cndmask_b32_e32 v2, v2, v8, vcc
	v_cndmask_b32_e32 v6, v7, v10, vcc
	v_mov_b32_e32 v7, 0x3b800000
	v_lshlrev_b32_e32 v2, 20, v2
	v_lshl_add_u32 v6, v6, 23, v7
	v_or3_b32 v2, v3, v6, v2
.LBB29_1756:
	s_or_b64 exec, exec, s[6:7]
	s_movk_i32 s4, 0x7f
	v_cmp_gt_i16_sdwa s[6:7], v4, s4 src0_sel:BYTE_3 src1_sel:DWORD
	s_mov_b64 s[4:5], 0
                                        ; implicit-def: $sgpr10
	s_and_saveexec_b64 s[8:9], s[6:7]
	s_xor_b64 s[6:7], exec, s[8:9]
	s_cbranch_execnz .LBB29_3805
; %bb.1757:
	s_or_saveexec_b64 s[6:7], s[6:7]
	v_mov_b32_e32 v3, s10
	s_xor_b64 exec, exec, s[6:7]
	s_cbranch_execnz .LBB29_3808
.LBB29_1758:
	s_or_b64 exec, exec, s[6:7]
	s_and_saveexec_b64 s[6:7], s[4:5]
	s_cbranch_execz .LBB29_1760
.LBB29_1759:
	v_bfe_u32 v3, v4, 24, 3
	v_ffbh_u32_e32 v10, v3
	v_min_u32_e32 v10, 32, v10
	v_lshrrev_b32_e32 v7, 27, v4
	v_subrev_u32_e32 v11, 28, v10
	v_and_b32_e32 v6, 0x80000000, v4
	v_and_b32_e32 v7, 15, v7
	v_bfe_u32 v8, v4, 27, 4
	v_lshlrev_b32_sdwa v4, v11, v4 dst_sel:DWORD dst_unused:UNUSED_PAD src0_sel:DWORD src1_sel:BYTE_3
	v_sub_u32_e32 v10, 29, v10
	v_and_b32_e32 v4, 7, v4
	v_cmp_eq_u16_e32 vcc, 0, v7
	v_cndmask_b32_e32 v3, v3, v4, vcc
	v_cndmask_b32_e32 v4, v8, v10, vcc
	v_mov_b32_e32 v7, 0x3b800000
	v_lshlrev_b32_e32 v3, 20, v3
	v_lshl_add_u32 v4, v4, 23, v7
	v_or3_b32 v3, v6, v4, v3
.LBB29_1760:
	s_or_b64 exec, exec, s[6:7]
	s_nop 0
	v_mfma_f32_16x16x4f32 a[0:3], v2, v3, a[0:3]
	s_movk_i32 s4, 0x7f
	v_cmp_gt_i16_sdwa s[6:7], v9, s4 src0_sel:BYTE_0 src1_sel:DWORD
	s_mov_b64 s[4:5], 0
                                        ; implicit-def: $sgpr10
	s_and_saveexec_b64 s[8:9], s[6:7]
	s_xor_b64 s[6:7], exec, s[8:9]
	s_cbranch_execnz .LBB29_3809
; %bb.1761:
	s_or_saveexec_b64 s[6:7], s[6:7]
	v_mov_b32_e32 v2, s10
	s_xor_b64 exec, exec, s[6:7]
	s_cbranch_execnz .LBB29_3812
.LBB29_1762:
	s_or_b64 exec, exec, s[6:7]
	s_and_saveexec_b64 s[6:7], s[4:5]
	s_cbranch_execz .LBB29_1764
.LBB29_1763:
	v_mov_b32_e32 v2, 8
	v_and_b32_e32 v3, 7, v9
	v_lshrrev_b32_sdwa v2, v2, v9 dst_sel:BYTE_1 dst_unused:UNUSED_PAD src0_sel:DWORD src1_sel:DWORD
	v_ffbh_u32_e32 v4, v3
	v_or_b32_sdwa v2, v9, v2 dst_sel:DWORD dst_unused:UNUSED_PAD src0_sel:BYTE_0 src1_sel:DWORD
	v_min_u32_e32 v4, 32, v4
	v_lshrrev_b16_e32 v2, 3, v2
	v_subrev_u32_e32 v6, 28, v4
	v_and_b32_e32 v2, 15, v2
	v_lshlrev_b32_e32 v6, v6, v9
	v_sub_u32_e32 v4, 29, v4
	v_and_b32_e32 v6, 7, v6
	v_cmp_eq_u16_e32 vcc, 0, v2
	v_cndmask_b32_e32 v3, v3, v6, vcc
	v_cndmask_b32_e32 v2, v2, v4, vcc
	v_lshlrev_b32_e32 v4, 24, v9
	v_mov_b32_e32 v6, 0x3b800000
	v_lshlrev_b32_e32 v3, 20, v3
	v_and_b32_e32 v4, 0x80000000, v4
	v_lshl_add_u32 v2, v2, 23, v6
	v_or3_b32 v2, v4, v2, v3
.LBB29_1764:
	s_or_b64 exec, exec, s[6:7]
	s_movk_i32 s4, 0x7f
	v_cmp_gt_i16_sdwa s[6:7], v5, s4 src0_sel:BYTE_0 src1_sel:DWORD
	s_mov_b64 s[4:5], 0
                                        ; implicit-def: $sgpr10
	s_and_saveexec_b64 s[8:9], s[6:7]
	s_xor_b64 s[6:7], exec, s[8:9]
	s_cbranch_execnz .LBB29_3813
; %bb.1765:
	s_or_saveexec_b64 s[6:7], s[6:7]
	v_mov_b32_e32 v3, s10
	s_xor_b64 exec, exec, s[6:7]
	s_cbranch_execnz .LBB29_3816
.LBB29_1766:
	s_or_b64 exec, exec, s[6:7]
	s_and_saveexec_b64 s[6:7], s[4:5]
	s_cbranch_execz .LBB29_1768
.LBB29_1767:
	v_mov_b32_e32 v3, 8
	v_and_b32_e32 v4, 7, v5
	v_lshrrev_b32_sdwa v3, v3, v5 dst_sel:BYTE_1 dst_unused:UNUSED_PAD src0_sel:DWORD src1_sel:DWORD
	v_ffbh_u32_e32 v6, v4
	v_or_b32_sdwa v3, v5, v3 dst_sel:DWORD dst_unused:UNUSED_PAD src0_sel:BYTE_0 src1_sel:DWORD
	v_min_u32_e32 v6, 32, v6
	v_lshrrev_b16_e32 v3, 3, v3
	v_subrev_u32_e32 v7, 28, v6
	v_and_b32_e32 v3, 15, v3
	v_lshlrev_b32_e32 v7, v7, v5
	v_sub_u32_e32 v6, 29, v6
	v_and_b32_e32 v7, 7, v7
	v_cmp_eq_u16_e32 vcc, 0, v3
	v_cndmask_b32_e32 v4, v4, v7, vcc
	v_cndmask_b32_e32 v3, v3, v6, vcc
	v_lshlrev_b32_e32 v6, 24, v5
	v_mov_b32_e32 v7, 0x3b800000
	v_lshlrev_b32_e32 v4, 20, v4
	v_and_b32_e32 v6, 0x80000000, v6
	v_lshl_add_u32 v3, v3, 23, v7
	v_or3_b32 v3, v6, v3, v4
.LBB29_1768:
	s_or_b64 exec, exec, s[6:7]
	s_nop 0
	v_mfma_f32_16x16x4f32 a[0:3], v2, v3, a[0:3]
	v_lshrrev_b32_e32 v3, 8, v9
	s_movk_i32 s4, 0x7f
	v_cmp_gt_i16_sdwa s[6:7], v3, s4 src0_sel:BYTE_0 src1_sel:DWORD
	s_mov_b64 s[4:5], 0
                                        ; implicit-def: $sgpr10
	s_and_saveexec_b64 s[8:9], s[6:7]
	s_xor_b64 s[6:7], exec, s[8:9]
	s_cbranch_execnz .LBB29_3817
; %bb.1769:
	s_or_saveexec_b64 s[6:7], s[6:7]
	v_mov_b32_e32 v2, s10
	s_xor_b64 exec, exec, s[6:7]
	s_cbranch_execnz .LBB29_3820
.LBB29_1770:
	s_or_b64 exec, exec, s[6:7]
	s_and_saveexec_b64 s[6:7], s[4:5]
	s_cbranch_execz .LBB29_1772
.LBB29_1771:
	v_bfe_u32 v2, v9, 8, 3
	v_ffbh_u32_e32 v6, v2
	v_min_u32_e32 v6, 32, v6
	v_lshrrev_b16_e32 v4, 3, v3
	v_subrev_u32_e32 v7, 28, v6
	v_and_b32_e32 v4, 15, v4
	v_lshlrev_b32_e32 v3, v7, v3
	v_sub_u32_e32 v6, 29, v6
	v_and_b32_e32 v3, 7, v3
	v_cmp_eq_u16_e32 vcc, 0, v4
	v_cndmask_b32_e32 v2, v2, v3, vcc
	v_cndmask_b32_e32 v3, v4, v6, vcc
	v_lshlrev_b32_e32 v4, 16, v9
	v_mov_b32_e32 v6, 0x3b800000
	v_lshlrev_b32_e32 v2, 20, v2
	v_and_b32_e32 v4, 0x80000000, v4
	v_lshl_add_u32 v3, v3, 23, v6
	v_or3_b32 v2, v4, v3, v2
.LBB29_1772:
	s_or_b64 exec, exec, s[6:7]
	v_lshrrev_b32_e32 v3, 8, v5
	s_movk_i32 s4, 0x7f
	v_cmp_gt_i16_sdwa s[6:7], v3, s4 src0_sel:BYTE_0 src1_sel:DWORD
	s_mov_b64 s[4:5], 0
                                        ; implicit-def: $sgpr10
	s_and_saveexec_b64 s[8:9], s[6:7]
	s_xor_b64 s[6:7], exec, s[8:9]
	s_cbranch_execnz .LBB29_3821
; %bb.1773:
	s_or_saveexec_b64 s[6:7], s[6:7]
	v_mov_b32_e32 v4, s10
	s_xor_b64 exec, exec, s[6:7]
	s_cbranch_execnz .LBB29_3824
.LBB29_1774:
	s_or_b64 exec, exec, s[6:7]
	s_and_saveexec_b64 s[6:7], s[4:5]
	s_cbranch_execz .LBB29_1776
.LBB29_1775:
	v_bfe_u32 v4, v5, 8, 3
	v_ffbh_u32_e32 v7, v4
	v_min_u32_e32 v7, 32, v7
	v_lshrrev_b16_e32 v6, 3, v3
	v_subrev_u32_e32 v8, 28, v7
	v_and_b32_e32 v6, 15, v6
	v_lshlrev_b32_e32 v3, v8, v3
	v_sub_u32_e32 v7, 29, v7
	v_and_b32_e32 v3, 7, v3
	v_cmp_eq_u16_e32 vcc, 0, v6
	v_cndmask_b32_e32 v3, v4, v3, vcc
	v_cndmask_b32_e32 v4, v6, v7, vcc
	v_lshlrev_b32_e32 v6, 16, v5
	v_mov_b32_e32 v7, 0x3b800000
	v_lshlrev_b32_e32 v3, 20, v3
	v_and_b32_e32 v6, 0x80000000, v6
	v_lshl_add_u32 v4, v4, 23, v7
	v_or3_b32 v4, v6, v4, v3
.LBB29_1776:
	s_or_b64 exec, exec, s[6:7]
	s_nop 0
	v_mfma_f32_16x16x4f32 a[0:3], v2, v4, a[0:3]
	s_movk_i32 s4, 0xff
	v_and_b32_sdwa v3, v9, s4 dst_sel:DWORD dst_unused:UNUSED_PAD src0_sel:WORD_1 src1_sel:DWORD
	s_movk_i32 s4, 0x7f
	v_cmp_lt_i16_e32 vcc, s4, v3
	s_mov_b64 s[4:5], 0
                                        ; implicit-def: $sgpr10
	s_and_saveexec_b64 s[6:7], vcc
	s_xor_b64 s[6:7], exec, s[6:7]
	s_cbranch_execnz .LBB29_3825
; %bb.1777:
	s_or_saveexec_b64 s[6:7], s[6:7]
	v_mov_b32_e32 v2, s10
	s_xor_b64 exec, exec, s[6:7]
	s_cbranch_execnz .LBB29_3828
.LBB29_1778:
	s_or_b64 exec, exec, s[6:7]
	s_and_saveexec_b64 s[6:7], s[4:5]
	s_cbranch_execz .LBB29_1780
.LBB29_1779:
	v_bfe_u32 v2, v9, 16, 3
	v_ffbh_u32_e32 v6, v2
	v_min_u32_e32 v6, 32, v6
	v_lshrrev_b32_e32 v3, 19, v9
	v_subrev_u32_e32 v7, 28, v6
	v_and_b32_e32 v3, 15, v3
	v_lshlrev_b32_sdwa v7, v7, v9 dst_sel:DWORD dst_unused:UNUSED_PAD src0_sel:DWORD src1_sel:WORD_1
	v_bfe_u32 v4, v9, 19, 4
	v_sub_u32_e32 v6, 29, v6
	v_and_b32_e32 v7, 7, v7
	v_cmp_eq_u16_e32 vcc, 0, v3
	v_cndmask_b32_e32 v2, v2, v7, vcc
	v_cndmask_b32_e32 v3, v4, v6, vcc
	v_lshlrev_b32_e32 v4, 8, v9
	v_mov_b32_e32 v6, 0x3b800000
	v_lshlrev_b32_e32 v2, 20, v2
	v_and_b32_e32 v4, 0x80000000, v4
	v_lshl_add_u32 v3, v3, 23, v6
	v_or3_b32 v2, v4, v3, v2
.LBB29_1780:
	s_or_b64 exec, exec, s[6:7]
	s_movk_i32 s4, 0xff
	v_and_b32_sdwa v3, v5, s4 dst_sel:DWORD dst_unused:UNUSED_PAD src0_sel:WORD_1 src1_sel:DWORD
	s_movk_i32 s4, 0x7f
	v_cmp_lt_i16_e32 vcc, s4, v3
	s_mov_b64 s[4:5], 0
                                        ; implicit-def: $sgpr10
	s_and_saveexec_b64 s[6:7], vcc
	s_xor_b64 s[6:7], exec, s[6:7]
	s_cbranch_execnz .LBB29_3829
; %bb.1781:
	s_or_saveexec_b64 s[6:7], s[6:7]
	v_mov_b32_e32 v4, s10
	s_xor_b64 exec, exec, s[6:7]
	s_cbranch_execnz .LBB29_3832
.LBB29_1782:
	s_or_b64 exec, exec, s[6:7]
	s_and_saveexec_b64 s[6:7], s[4:5]
	s_cbranch_execz .LBB29_1784
.LBB29_1783:
	v_bfe_u32 v3, v5, 16, 3
	v_ffbh_u32_e32 v7, v3
	v_min_u32_e32 v7, 32, v7
	v_lshrrev_b32_e32 v4, 19, v5
	v_subrev_u32_e32 v8, 28, v7
	v_and_b32_e32 v4, 15, v4
	v_lshlrev_b32_sdwa v8, v8, v5 dst_sel:DWORD dst_unused:UNUSED_PAD src0_sel:DWORD src1_sel:WORD_1
	v_bfe_u32 v6, v5, 19, 4
	v_sub_u32_e32 v7, 29, v7
	v_and_b32_e32 v8, 7, v8
	v_cmp_eq_u16_e32 vcc, 0, v4
	v_cndmask_b32_e32 v3, v3, v8, vcc
	v_cndmask_b32_e32 v4, v6, v7, vcc
	v_lshlrev_b32_e32 v6, 8, v5
	v_mov_b32_e32 v7, 0x3b800000
	v_lshlrev_b32_e32 v3, 20, v3
	v_and_b32_e32 v6, 0x80000000, v6
	v_lshl_add_u32 v4, v4, 23, v7
	v_or3_b32 v4, v6, v4, v3
.LBB29_1784:
	s_or_b64 exec, exec, s[6:7]
	s_nop 0
	v_mfma_f32_16x16x4f32 a[0:3], v2, v4, a[0:3]
	s_movk_i32 s4, 0x7f
	v_cmp_gt_i16_sdwa s[6:7], v9, s4 src0_sel:BYTE_3 src1_sel:DWORD
	s_mov_b64 s[4:5], 0
                                        ; implicit-def: $sgpr10
	s_and_saveexec_b64 s[8:9], s[6:7]
	s_xor_b64 s[6:7], exec, s[8:9]
	s_cbranch_execnz .LBB29_3833
; %bb.1785:
	s_or_saveexec_b64 s[6:7], s[6:7]
	v_mov_b32_e32 v2, s10
	s_xor_b64 exec, exec, s[6:7]
	s_cbranch_execnz .LBB29_3836
.LBB29_1786:
	s_or_b64 exec, exec, s[6:7]
	s_and_saveexec_b64 s[6:7], s[4:5]
	s_cbranch_execz .LBB29_1788
.LBB29_1787:
	v_bfe_u32 v2, v9, 24, 3
	v_ffbh_u32_e32 v7, v2
	v_min_u32_e32 v7, 32, v7
	v_lshrrev_b32_e32 v4, 27, v9
	v_subrev_u32_e32 v8, 28, v7
	v_and_b32_e32 v4, 15, v4
	v_lshlrev_b32_sdwa v8, v8, v9 dst_sel:DWORD dst_unused:UNUSED_PAD src0_sel:DWORD src1_sel:BYTE_3
	v_bfe_u32 v6, v9, 27, 4
	v_sub_u32_e32 v7, 29, v7
	v_and_b32_e32 v8, 7, v8
	v_cmp_eq_u16_e32 vcc, 0, v4
	v_cndmask_b32_e32 v2, v2, v8, vcc
	v_cndmask_b32_e32 v4, v6, v7, vcc
	v_mov_b32_e32 v6, 0x3b800000
	v_and_b32_e32 v3, 0x80000000, v9
	v_lshlrev_b32_e32 v2, 20, v2
	v_lshl_add_u32 v4, v4, 23, v6
	v_or3_b32 v2, v3, v4, v2
.LBB29_1788:
	s_or_b64 exec, exec, s[6:7]
	s_movk_i32 s4, 0x7f
	v_cmp_gt_i16_sdwa s[6:7], v5, s4 src0_sel:BYTE_3 src1_sel:DWORD
	s_mov_b64 s[4:5], 0
                                        ; implicit-def: $sgpr10
	s_and_saveexec_b64 s[8:9], s[6:7]
	s_xor_b64 s[6:7], exec, s[8:9]
	s_cbranch_execnz .LBB29_3837
; %bb.1789:
	s_or_saveexec_b64 s[6:7], s[6:7]
	v_mov_b32_e32 v3, s10
	s_xor_b64 exec, exec, s[6:7]
	s_cbranch_execnz .LBB29_3840
.LBB29_1790:
	s_or_b64 exec, exec, s[6:7]
	s_and_saveexec_b64 s[6:7], s[4:5]
	s_cbranch_execz .LBB29_1792
.LBB29_1791:
	v_bfe_u32 v3, v5, 24, 3
	v_ffbh_u32_e32 v8, v3
	v_min_u32_e32 v8, 32, v8
	v_lshrrev_b32_e32 v6, 27, v5
	v_subrev_u32_e32 v9, 28, v8
	v_and_b32_e32 v4, 0x80000000, v5
	v_and_b32_e32 v6, 15, v6
	v_bfe_u32 v7, v5, 27, 4
	v_lshlrev_b32_sdwa v5, v9, v5 dst_sel:DWORD dst_unused:UNUSED_PAD src0_sel:DWORD src1_sel:BYTE_3
	v_sub_u32_e32 v8, 29, v8
	v_and_b32_e32 v5, 7, v5
	v_cmp_eq_u16_e32 vcc, 0, v6
	v_cndmask_b32_e32 v3, v3, v5, vcc
	v_cndmask_b32_e32 v5, v7, v8, vcc
	v_mov_b32_e32 v6, 0x3b800000
	v_lshlrev_b32_e32 v3, 20, v3
	v_lshl_add_u32 v5, v5, 23, v6
	v_or3_b32 v3, v4, v5, v3
.LBB29_1792:
	s_or_b64 exec, exec, s[6:7]
	s_nop 0
	v_mfma_f32_16x16x4f32 a[0:3], v2, v3, a[0:3]
	s_movk_i32 s4, 0x7f
                                        ; implicit-def: $sgpr10
	s_nop 7
	s_nop 1
	flat_store_dwordx4 v[18:19], a[0:3] offset:224
	flat_load_dwordx4 v[18:21], v[0:1] offset:16
	s_nop 0
	flat_load_dwordx2 v[16:17], v[0:1] offset:32
	s_waitcnt vmcnt(0) lgkmcnt(0)
	flat_load_dwordx4 v[12:15], v[18:19] offset:32
	flat_load_dwordx4 v[4:7], v[18:19] offset:48
	;; [unrolled: 1-line block ×4, first 2 shown]
	s_waitcnt vmcnt(0) lgkmcnt(0)
	v_cmp_gt_i16_sdwa s[6:7], v12, s4 src0_sel:BYTE_0 src1_sel:DWORD
	s_mov_b64 s[4:5], 0
	s_and_saveexec_b64 s[8:9], s[6:7]
	s_xor_b64 s[6:7], exec, s[8:9]
	s_cbranch_execnz .LBB29_3841
; %bb.1793:
	s_or_saveexec_b64 s[6:7], s[6:7]
	v_mov_b32_e32 v18, s10
	s_xor_b64 exec, exec, s[6:7]
	s_cbranch_execnz .LBB29_3844
.LBB29_1794:
	s_or_b64 exec, exec, s[6:7]
	s_and_saveexec_b64 s[6:7], s[4:5]
	s_cbranch_execz .LBB29_1796
.LBB29_1795:
	v_and_b32_e32 v18, 7, v12
	v_ffbh_u32_e32 v20, v18
	v_min_u32_e32 v20, 32, v20
	v_lshrrev_b16_e32 v19, 3, v12
	v_subrev_u32_e32 v21, 28, v20
	v_and_b32_e32 v19, 15, v19
	v_lshlrev_b32_e32 v21, v21, v12
	v_sub_u32_e32 v20, 29, v20
	v_and_b32_e32 v21, 7, v21
	v_cmp_eq_u16_e32 vcc, 0, v19
	v_cndmask_b32_e32 v18, v18, v21, vcc
	v_cndmask_b32_e32 v19, v19, v20, vcc
	v_lshlrev_b32_e32 v20, 24, v12
	v_mov_b32_e32 v21, 0x3b800000
	v_lshlrev_b32_e32 v18, 20, v18
	v_and_b32_e32 v20, 0x80000000, v20
	v_lshl_add_u32 v19, v19, 23, v21
	v_or3_b32 v18, v20, v19, v18
.LBB29_1796:
	s_or_b64 exec, exec, s[6:7]
	s_movk_i32 s4, 0x7f
	v_cmp_gt_i16_sdwa s[6:7], v8, s4 src0_sel:BYTE_0 src1_sel:DWORD
	s_mov_b64 s[4:5], 0
                                        ; implicit-def: $sgpr10
	s_and_saveexec_b64 s[8:9], s[6:7]
	s_xor_b64 s[6:7], exec, s[8:9]
	s_cbranch_execnz .LBB29_3845
; %bb.1797:
	s_or_saveexec_b64 s[6:7], s[6:7]
	v_mov_b32_e32 v19, s10
	s_xor_b64 exec, exec, s[6:7]
	s_cbranch_execnz .LBB29_3848
.LBB29_1798:
	s_or_b64 exec, exec, s[6:7]
	s_and_saveexec_b64 s[6:7], s[4:5]
	s_cbranch_execz .LBB29_1800
.LBB29_1799:
	v_and_b32_e32 v19, 7, v8
	v_ffbh_u32_e32 v21, v19
	v_min_u32_e32 v21, 32, v21
	v_lshrrev_b16_e32 v20, 3, v8
	v_subrev_u32_e32 v22, 28, v21
	v_and_b32_e32 v20, 15, v20
	v_lshlrev_b32_e32 v22, v22, v8
	v_sub_u32_e32 v21, 29, v21
	v_and_b32_e32 v22, 7, v22
	v_cmp_eq_u16_e32 vcc, 0, v20
	v_cndmask_b32_e32 v19, v19, v22, vcc
	v_cndmask_b32_e32 v20, v20, v21, vcc
	v_lshlrev_b32_e32 v21, 24, v8
	v_mov_b32_e32 v22, 0x3b800000
	v_lshlrev_b32_e32 v19, 20, v19
	v_and_b32_e32 v21, 0x80000000, v21
	v_lshl_add_u32 v20, v20, 23, v22
	v_or3_b32 v19, v21, v20, v19
.LBB29_1800:
	s_or_b64 exec, exec, s[6:7]
	flat_load_dwordx4 a[0:3], v[16:17] offset:240
	s_movk_i32 s4, 0x7f
                                        ; implicit-def: $sgpr10
	s_waitcnt vmcnt(0) lgkmcnt(0)
	v_mfma_f32_16x16x4f32 a[0:3], v18, v19, a[0:3]
	v_lshrrev_b32_e32 v19, 8, v12
	v_cmp_gt_i16_sdwa s[6:7], v19, s4 src0_sel:BYTE_0 src1_sel:DWORD
	s_mov_b64 s[4:5], 0
	s_and_saveexec_b64 s[8:9], s[6:7]
	s_xor_b64 s[6:7], exec, s[8:9]
	s_cbranch_execnz .LBB29_3849
; %bb.1801:
	s_or_saveexec_b64 s[6:7], s[6:7]
	v_mov_b32_e32 v18, s10
	s_xor_b64 exec, exec, s[6:7]
	s_cbranch_execnz .LBB29_3852
.LBB29_1802:
	s_or_b64 exec, exec, s[6:7]
	s_and_saveexec_b64 s[6:7], s[4:5]
	s_cbranch_execz .LBB29_1804
.LBB29_1803:
	v_bfe_u32 v18, v12, 8, 3
	v_ffbh_u32_e32 v21, v18
	v_min_u32_e32 v21, 32, v21
	v_lshrrev_b16_e32 v20, 3, v19
	v_subrev_u32_e32 v22, 28, v21
	v_and_b32_e32 v20, 15, v20
	v_lshlrev_b32_e32 v19, v22, v19
	v_sub_u32_e32 v21, 29, v21
	v_and_b32_e32 v19, 7, v19
	v_cmp_eq_u16_e32 vcc, 0, v20
	v_cndmask_b32_e32 v18, v18, v19, vcc
	v_cndmask_b32_e32 v19, v20, v21, vcc
	v_lshlrev_b32_e32 v20, 16, v12
	v_mov_b32_e32 v21, 0x3b800000
	v_lshlrev_b32_e32 v18, 20, v18
	v_and_b32_e32 v20, 0x80000000, v20
	v_lshl_add_u32 v19, v19, 23, v21
	v_or3_b32 v18, v20, v19, v18
.LBB29_1804:
	s_or_b64 exec, exec, s[6:7]
	v_lshrrev_b32_e32 v19, 8, v8
	s_movk_i32 s4, 0x7f
	v_cmp_gt_i16_sdwa s[6:7], v19, s4 src0_sel:BYTE_0 src1_sel:DWORD
	s_mov_b64 s[4:5], 0
                                        ; implicit-def: $sgpr10
	s_and_saveexec_b64 s[8:9], s[6:7]
	s_xor_b64 s[6:7], exec, s[8:9]
	s_cbranch_execnz .LBB29_3853
; %bb.1805:
	s_or_saveexec_b64 s[6:7], s[6:7]
	v_mov_b32_e32 v20, s10
	s_xor_b64 exec, exec, s[6:7]
	s_cbranch_execnz .LBB29_3856
.LBB29_1806:
	s_or_b64 exec, exec, s[6:7]
	s_and_saveexec_b64 s[6:7], s[4:5]
	s_cbranch_execz .LBB29_1808
.LBB29_1807:
	v_bfe_u32 v20, v8, 8, 3
	v_ffbh_u32_e32 v22, v20
	v_min_u32_e32 v22, 32, v22
	v_lshrrev_b16_e32 v21, 3, v19
	v_subrev_u32_e32 v23, 28, v22
	v_and_b32_e32 v21, 15, v21
	v_lshlrev_b32_e32 v19, v23, v19
	v_sub_u32_e32 v22, 29, v22
	v_and_b32_e32 v19, 7, v19
	v_cmp_eq_u16_e32 vcc, 0, v21
	v_cndmask_b32_e32 v19, v20, v19, vcc
	v_cndmask_b32_e32 v20, v21, v22, vcc
	v_lshlrev_b32_e32 v21, 16, v8
	v_mov_b32_e32 v22, 0x3b800000
	v_lshlrev_b32_e32 v19, 20, v19
	v_and_b32_e32 v21, 0x80000000, v21
	v_lshl_add_u32 v20, v20, 23, v22
	v_or3_b32 v20, v21, v20, v19
.LBB29_1808:
	s_or_b64 exec, exec, s[6:7]
	s_nop 0
	v_mfma_f32_16x16x4f32 a[0:3], v18, v20, a[0:3]
	s_movk_i32 s4, 0xff
	v_and_b32_sdwa v19, v12, s4 dst_sel:DWORD dst_unused:UNUSED_PAD src0_sel:WORD_1 src1_sel:DWORD
	s_movk_i32 s4, 0x7f
	v_cmp_lt_i16_e32 vcc, s4, v19
	s_mov_b64 s[4:5], 0
                                        ; implicit-def: $sgpr10
	s_and_saveexec_b64 s[6:7], vcc
	s_xor_b64 s[6:7], exec, s[6:7]
	s_cbranch_execnz .LBB29_3857
; %bb.1809:
	s_or_saveexec_b64 s[6:7], s[6:7]
	v_mov_b32_e32 v18, s10
	s_xor_b64 exec, exec, s[6:7]
	s_cbranch_execnz .LBB29_3860
.LBB29_1810:
	s_or_b64 exec, exec, s[6:7]
	s_and_saveexec_b64 s[6:7], s[4:5]
	s_cbranch_execz .LBB29_1812
.LBB29_1811:
	v_bfe_u32 v18, v12, 16, 3
	v_ffbh_u32_e32 v21, v18
	v_min_u32_e32 v21, 32, v21
	v_lshrrev_b32_e32 v19, 19, v12
	v_subrev_u32_e32 v22, 28, v21
	v_and_b32_e32 v19, 15, v19
	v_lshlrev_b32_sdwa v22, v22, v12 dst_sel:DWORD dst_unused:UNUSED_PAD src0_sel:DWORD src1_sel:WORD_1
	v_bfe_u32 v20, v12, 19, 4
	v_sub_u32_e32 v21, 29, v21
	v_and_b32_e32 v22, 7, v22
	v_cmp_eq_u16_e32 vcc, 0, v19
	v_cndmask_b32_e32 v18, v18, v22, vcc
	v_cndmask_b32_e32 v19, v20, v21, vcc
	v_lshlrev_b32_e32 v20, 8, v12
	v_mov_b32_e32 v21, 0x3b800000
	v_lshlrev_b32_e32 v18, 20, v18
	v_and_b32_e32 v20, 0x80000000, v20
	v_lshl_add_u32 v19, v19, 23, v21
	v_or3_b32 v18, v20, v19, v18
.LBB29_1812:
	s_or_b64 exec, exec, s[6:7]
	s_movk_i32 s4, 0xff
	v_and_b32_sdwa v19, v8, s4 dst_sel:DWORD dst_unused:UNUSED_PAD src0_sel:WORD_1 src1_sel:DWORD
	s_movk_i32 s4, 0x7f
	v_cmp_lt_i16_e32 vcc, s4, v19
	s_mov_b64 s[4:5], 0
                                        ; implicit-def: $sgpr10
	s_and_saveexec_b64 s[6:7], vcc
	s_xor_b64 s[6:7], exec, s[6:7]
	s_cbranch_execnz .LBB29_3861
; %bb.1813:
	s_or_saveexec_b64 s[6:7], s[6:7]
	v_mov_b32_e32 v20, s10
	s_xor_b64 exec, exec, s[6:7]
	s_cbranch_execnz .LBB29_3864
.LBB29_1814:
	s_or_b64 exec, exec, s[6:7]
	s_and_saveexec_b64 s[6:7], s[4:5]
	s_cbranch_execz .LBB29_1816
.LBB29_1815:
	v_bfe_u32 v19, v8, 16, 3
	v_ffbh_u32_e32 v22, v19
	v_min_u32_e32 v22, 32, v22
	v_lshrrev_b32_e32 v20, 19, v8
	v_subrev_u32_e32 v23, 28, v22
	v_and_b32_e32 v20, 15, v20
	v_lshlrev_b32_sdwa v23, v23, v8 dst_sel:DWORD dst_unused:UNUSED_PAD src0_sel:DWORD src1_sel:WORD_1
	v_bfe_u32 v21, v8, 19, 4
	v_sub_u32_e32 v22, 29, v22
	v_and_b32_e32 v23, 7, v23
	v_cmp_eq_u16_e32 vcc, 0, v20
	v_cndmask_b32_e32 v19, v19, v23, vcc
	v_cndmask_b32_e32 v20, v21, v22, vcc
	v_lshlrev_b32_e32 v21, 8, v8
	v_mov_b32_e32 v22, 0x3b800000
	v_lshlrev_b32_e32 v19, 20, v19
	v_and_b32_e32 v21, 0x80000000, v21
	v_lshl_add_u32 v20, v20, 23, v22
	v_or3_b32 v20, v21, v20, v19
.LBB29_1816:
	s_or_b64 exec, exec, s[6:7]
	s_nop 0
	v_mfma_f32_16x16x4f32 a[0:3], v18, v20, a[0:3]
	s_movk_i32 s4, 0x7f
	v_cmp_gt_i16_sdwa s[6:7], v12, s4 src0_sel:BYTE_3 src1_sel:DWORD
	s_mov_b64 s[4:5], 0
                                        ; implicit-def: $sgpr10
	s_and_saveexec_b64 s[8:9], s[6:7]
	s_xor_b64 s[6:7], exec, s[8:9]
	s_cbranch_execnz .LBB29_3865
; %bb.1817:
	s_or_saveexec_b64 s[6:7], s[6:7]
	v_mov_b32_e32 v18, s10
	s_xor_b64 exec, exec, s[6:7]
	s_cbranch_execnz .LBB29_3868
.LBB29_1818:
	s_or_b64 exec, exec, s[6:7]
	s_and_saveexec_b64 s[6:7], s[4:5]
	s_cbranch_execz .LBB29_1820
.LBB29_1819:
	v_bfe_u32 v18, v12, 24, 3
	v_ffbh_u32_e32 v22, v18
	v_min_u32_e32 v22, 32, v22
	v_lshrrev_b32_e32 v20, 27, v12
	v_subrev_u32_e32 v23, 28, v22
	v_and_b32_e32 v19, 0x80000000, v12
	v_and_b32_e32 v20, 15, v20
	v_bfe_u32 v21, v12, 27, 4
	v_lshlrev_b32_sdwa v12, v23, v12 dst_sel:DWORD dst_unused:UNUSED_PAD src0_sel:DWORD src1_sel:BYTE_3
	v_sub_u32_e32 v22, 29, v22
	v_and_b32_e32 v12, 7, v12
	v_cmp_eq_u16_e32 vcc, 0, v20
	v_cndmask_b32_e32 v12, v18, v12, vcc
	v_cndmask_b32_e32 v18, v21, v22, vcc
	v_mov_b32_e32 v20, 0x3b800000
	v_lshlrev_b32_e32 v12, 20, v12
	v_lshl_add_u32 v18, v18, 23, v20
	v_or3_b32 v18, v19, v18, v12
.LBB29_1820:
	s_or_b64 exec, exec, s[6:7]
	s_movk_i32 s4, 0x7f
	v_cmp_gt_i16_sdwa s[6:7], v8, s4 src0_sel:BYTE_3 src1_sel:DWORD
	s_mov_b64 s[4:5], 0
                                        ; implicit-def: $sgpr10
	s_and_saveexec_b64 s[8:9], s[6:7]
	s_xor_b64 s[6:7], exec, s[8:9]
	s_cbranch_execnz .LBB29_3869
; %bb.1821:
	s_or_saveexec_b64 s[6:7], s[6:7]
	v_mov_b32_e32 v12, s10
	s_xor_b64 exec, exec, s[6:7]
	s_cbranch_execnz .LBB29_3872
.LBB29_1822:
	s_or_b64 exec, exec, s[6:7]
	s_and_saveexec_b64 s[6:7], s[4:5]
	s_cbranch_execz .LBB29_1824
.LBB29_1823:
	v_bfe_u32 v12, v8, 24, 3
	v_ffbh_u32_e32 v22, v12
	v_min_u32_e32 v22, 32, v22
	v_lshrrev_b32_e32 v20, 27, v8
	v_subrev_u32_e32 v23, 28, v22
	v_and_b32_e32 v19, 0x80000000, v8
	v_and_b32_e32 v20, 15, v20
	v_bfe_u32 v21, v8, 27, 4
	v_lshlrev_b32_sdwa v8, v23, v8 dst_sel:DWORD dst_unused:UNUSED_PAD src0_sel:DWORD src1_sel:BYTE_3
	v_sub_u32_e32 v22, 29, v22
	v_and_b32_e32 v8, 7, v8
	v_cmp_eq_u16_e32 vcc, 0, v20
	v_cndmask_b32_e32 v8, v12, v8, vcc
	v_cndmask_b32_e32 v12, v21, v22, vcc
	v_mov_b32_e32 v20, 0x3b800000
	v_lshlrev_b32_e32 v8, 20, v8
	v_lshl_add_u32 v12, v12, 23, v20
	v_or3_b32 v12, v19, v12, v8
.LBB29_1824:
	s_or_b64 exec, exec, s[6:7]
	s_nop 0
	v_mfma_f32_16x16x4f32 a[0:3], v18, v12, a[0:3]
	s_movk_i32 s4, 0x7f
	v_cmp_gt_i16_sdwa s[6:7], v13, s4 src0_sel:BYTE_0 src1_sel:DWORD
	s_mov_b64 s[4:5], 0
                                        ; implicit-def: $sgpr10
	s_and_saveexec_b64 s[8:9], s[6:7]
	s_xor_b64 s[6:7], exec, s[8:9]
	s_cbranch_execnz .LBB29_3873
; %bb.1825:
	s_or_saveexec_b64 s[6:7], s[6:7]
	v_mov_b32_e32 v8, s10
	s_xor_b64 exec, exec, s[6:7]
	s_cbranch_execnz .LBB29_3876
.LBB29_1826:
	s_or_b64 exec, exec, s[6:7]
	s_and_saveexec_b64 s[6:7], s[4:5]
	s_cbranch_execz .LBB29_1828
.LBB29_1827:
	v_and_b32_e32 v8, 7, v13
	v_ffbh_u32_e32 v18, v8
	v_min_u32_e32 v18, 32, v18
	v_lshrrev_b16_e32 v12, 3, v13
	v_subrev_u32_e32 v19, 28, v18
	v_and_b32_e32 v12, 15, v12
	v_lshlrev_b32_e32 v19, v19, v13
	v_sub_u32_e32 v18, 29, v18
	v_and_b32_e32 v19, 7, v19
	v_cmp_eq_u16_e32 vcc, 0, v12
	v_cndmask_b32_e32 v8, v8, v19, vcc
	v_cndmask_b32_e32 v12, v12, v18, vcc
	v_lshlrev_b32_e32 v18, 24, v13
	v_mov_b32_e32 v19, 0x3b800000
	v_lshlrev_b32_e32 v8, 20, v8
	v_and_b32_e32 v18, 0x80000000, v18
	v_lshl_add_u32 v12, v12, 23, v19
	v_or3_b32 v8, v18, v12, v8
.LBB29_1828:
	s_or_b64 exec, exec, s[6:7]
	s_movk_i32 s4, 0x7f
	v_cmp_gt_i16_sdwa s[6:7], v9, s4 src0_sel:BYTE_0 src1_sel:DWORD
	s_mov_b64 s[4:5], 0
                                        ; implicit-def: $sgpr10
	s_and_saveexec_b64 s[8:9], s[6:7]
	s_xor_b64 s[6:7], exec, s[8:9]
	s_cbranch_execnz .LBB29_3877
; %bb.1829:
	s_or_saveexec_b64 s[6:7], s[6:7]
	v_mov_b32_e32 v12, s10
	s_xor_b64 exec, exec, s[6:7]
	s_cbranch_execnz .LBB29_3880
.LBB29_1830:
	s_or_b64 exec, exec, s[6:7]
	s_and_saveexec_b64 s[6:7], s[4:5]
	s_cbranch_execz .LBB29_1832
.LBB29_1831:
	v_and_b32_e32 v12, 7, v9
	v_ffbh_u32_e32 v19, v12
	v_min_u32_e32 v19, 32, v19
	v_lshrrev_b16_e32 v18, 3, v9
	v_subrev_u32_e32 v20, 28, v19
	v_and_b32_e32 v18, 15, v18
	v_lshlrev_b32_e32 v20, v20, v9
	v_sub_u32_e32 v19, 29, v19
	v_and_b32_e32 v20, 7, v20
	v_cmp_eq_u16_e32 vcc, 0, v18
	v_cndmask_b32_e32 v12, v12, v20, vcc
	v_cndmask_b32_e32 v18, v18, v19, vcc
	v_lshlrev_b32_e32 v19, 24, v9
	v_mov_b32_e32 v20, 0x3b800000
	v_lshlrev_b32_e32 v12, 20, v12
	v_and_b32_e32 v19, 0x80000000, v19
	v_lshl_add_u32 v18, v18, 23, v20
	v_or3_b32 v12, v19, v18, v12
.LBB29_1832:
	s_or_b64 exec, exec, s[6:7]
	s_nop 0
	v_mfma_f32_16x16x4f32 a[0:3], v8, v12, a[0:3]
	v_lshrrev_b32_e32 v12, 8, v13
	s_movk_i32 s4, 0x7f
	v_cmp_gt_i16_sdwa s[6:7], v12, s4 src0_sel:BYTE_0 src1_sel:DWORD
	s_mov_b64 s[4:5], 0
                                        ; implicit-def: $sgpr10
	s_and_saveexec_b64 s[8:9], s[6:7]
	s_xor_b64 s[6:7], exec, s[8:9]
	s_cbranch_execnz .LBB29_3881
; %bb.1833:
	s_or_saveexec_b64 s[6:7], s[6:7]
	v_mov_b32_e32 v8, s10
	s_xor_b64 exec, exec, s[6:7]
	s_cbranch_execnz .LBB29_3884
.LBB29_1834:
	s_or_b64 exec, exec, s[6:7]
	s_and_saveexec_b64 s[6:7], s[4:5]
	s_cbranch_execz .LBB29_1836
.LBB29_1835:
	v_bfe_u32 v8, v13, 8, 3
	v_ffbh_u32_e32 v19, v8
	v_min_u32_e32 v19, 32, v19
	v_lshrrev_b16_e32 v18, 3, v12
	v_subrev_u32_e32 v20, 28, v19
	v_and_b32_e32 v18, 15, v18
	v_lshlrev_b32_e32 v12, v20, v12
	v_sub_u32_e32 v19, 29, v19
	v_and_b32_e32 v12, 7, v12
	v_cmp_eq_u16_e32 vcc, 0, v18
	v_cndmask_b32_e32 v8, v8, v12, vcc
	v_cndmask_b32_e32 v12, v18, v19, vcc
	v_lshlrev_b32_e32 v18, 16, v13
	v_mov_b32_e32 v19, 0x3b800000
	v_lshlrev_b32_e32 v8, 20, v8
	v_and_b32_e32 v18, 0x80000000, v18
	v_lshl_add_u32 v12, v12, 23, v19
	v_or3_b32 v8, v18, v12, v8
.LBB29_1836:
	s_or_b64 exec, exec, s[6:7]
	v_lshrrev_b32_e32 v12, 8, v9
	s_movk_i32 s4, 0x7f
	v_cmp_gt_i16_sdwa s[6:7], v12, s4 src0_sel:BYTE_0 src1_sel:DWORD
	s_mov_b64 s[4:5], 0
                                        ; implicit-def: $sgpr10
	s_and_saveexec_b64 s[8:9], s[6:7]
	s_xor_b64 s[6:7], exec, s[8:9]
	s_cbranch_execnz .LBB29_3885
; %bb.1837:
	s_or_saveexec_b64 s[6:7], s[6:7]
	v_mov_b32_e32 v18, s10
	s_xor_b64 exec, exec, s[6:7]
	s_cbranch_execnz .LBB29_3888
.LBB29_1838:
	s_or_b64 exec, exec, s[6:7]
	s_and_saveexec_b64 s[6:7], s[4:5]
	s_cbranch_execz .LBB29_1840
.LBB29_1839:
	v_bfe_u32 v18, v9, 8, 3
	v_ffbh_u32_e32 v20, v18
	v_min_u32_e32 v20, 32, v20
	v_lshrrev_b16_e32 v19, 3, v12
	v_subrev_u32_e32 v21, 28, v20
	v_and_b32_e32 v19, 15, v19
	v_lshlrev_b32_e32 v12, v21, v12
	v_sub_u32_e32 v20, 29, v20
	v_and_b32_e32 v12, 7, v12
	v_cmp_eq_u16_e32 vcc, 0, v19
	v_cndmask_b32_e32 v12, v18, v12, vcc
	v_cndmask_b32_e32 v18, v19, v20, vcc
	v_lshlrev_b32_e32 v19, 16, v9
	v_mov_b32_e32 v20, 0x3b800000
	v_lshlrev_b32_e32 v12, 20, v12
	v_and_b32_e32 v19, 0x80000000, v19
	v_lshl_add_u32 v18, v18, 23, v20
	v_or3_b32 v18, v19, v18, v12
.LBB29_1840:
	s_or_b64 exec, exec, s[6:7]
	s_nop 0
	v_mfma_f32_16x16x4f32 a[0:3], v8, v18, a[0:3]
	s_movk_i32 s4, 0xff
	v_and_b32_sdwa v12, v13, s4 dst_sel:DWORD dst_unused:UNUSED_PAD src0_sel:WORD_1 src1_sel:DWORD
	s_movk_i32 s4, 0x7f
	v_cmp_lt_i16_e32 vcc, s4, v12
	s_mov_b64 s[4:5], 0
                                        ; implicit-def: $sgpr10
	s_and_saveexec_b64 s[6:7], vcc
	s_xor_b64 s[6:7], exec, s[6:7]
	s_cbranch_execnz .LBB29_3889
; %bb.1841:
	s_or_saveexec_b64 s[6:7], s[6:7]
	v_mov_b32_e32 v8, s10
	s_xor_b64 exec, exec, s[6:7]
	s_cbranch_execnz .LBB29_3892
.LBB29_1842:
	s_or_b64 exec, exec, s[6:7]
	s_and_saveexec_b64 s[6:7], s[4:5]
	s_cbranch_execz .LBB29_1844
.LBB29_1843:
	v_bfe_u32 v8, v13, 16, 3
	v_ffbh_u32_e32 v19, v8
	v_min_u32_e32 v19, 32, v19
	v_lshrrev_b32_e32 v12, 19, v13
	v_subrev_u32_e32 v20, 28, v19
	v_and_b32_e32 v12, 15, v12
	v_lshlrev_b32_sdwa v20, v20, v13 dst_sel:DWORD dst_unused:UNUSED_PAD src0_sel:DWORD src1_sel:WORD_1
	v_bfe_u32 v18, v13, 19, 4
	v_sub_u32_e32 v19, 29, v19
	v_and_b32_e32 v20, 7, v20
	v_cmp_eq_u16_e32 vcc, 0, v12
	v_cndmask_b32_e32 v8, v8, v20, vcc
	v_cndmask_b32_e32 v12, v18, v19, vcc
	v_lshlrev_b32_e32 v18, 8, v13
	v_mov_b32_e32 v19, 0x3b800000
	v_lshlrev_b32_e32 v8, 20, v8
	v_and_b32_e32 v18, 0x80000000, v18
	v_lshl_add_u32 v12, v12, 23, v19
	v_or3_b32 v8, v18, v12, v8
.LBB29_1844:
	s_or_b64 exec, exec, s[6:7]
	s_movk_i32 s4, 0xff
	v_and_b32_sdwa v12, v9, s4 dst_sel:DWORD dst_unused:UNUSED_PAD src0_sel:WORD_1 src1_sel:DWORD
	s_movk_i32 s4, 0x7f
	v_cmp_lt_i16_e32 vcc, s4, v12
	s_mov_b64 s[4:5], 0
                                        ; implicit-def: $sgpr10
	s_and_saveexec_b64 s[6:7], vcc
	s_xor_b64 s[6:7], exec, s[6:7]
	s_cbranch_execnz .LBB29_3893
; %bb.1845:
	s_or_saveexec_b64 s[6:7], s[6:7]
	v_mov_b32_e32 v18, s10
	s_xor_b64 exec, exec, s[6:7]
	s_cbranch_execnz .LBB29_3896
.LBB29_1846:
	s_or_b64 exec, exec, s[6:7]
	s_and_saveexec_b64 s[6:7], s[4:5]
	s_cbranch_execz .LBB29_1848
.LBB29_1847:
	v_bfe_u32 v12, v9, 16, 3
	v_ffbh_u32_e32 v20, v12
	v_min_u32_e32 v20, 32, v20
	v_lshrrev_b32_e32 v18, 19, v9
	v_subrev_u32_e32 v21, 28, v20
	v_and_b32_e32 v18, 15, v18
	v_lshlrev_b32_sdwa v21, v21, v9 dst_sel:DWORD dst_unused:UNUSED_PAD src0_sel:DWORD src1_sel:WORD_1
	v_bfe_u32 v19, v9, 19, 4
	v_sub_u32_e32 v20, 29, v20
	v_and_b32_e32 v21, 7, v21
	v_cmp_eq_u16_e32 vcc, 0, v18
	v_cndmask_b32_e32 v12, v12, v21, vcc
	v_cndmask_b32_e32 v18, v19, v20, vcc
	v_lshlrev_b32_e32 v19, 8, v9
	v_mov_b32_e32 v20, 0x3b800000
	v_lshlrev_b32_e32 v12, 20, v12
	v_and_b32_e32 v19, 0x80000000, v19
	v_lshl_add_u32 v18, v18, 23, v20
	v_or3_b32 v18, v19, v18, v12
.LBB29_1848:
	s_or_b64 exec, exec, s[6:7]
	s_nop 0
	v_mfma_f32_16x16x4f32 a[0:3], v8, v18, a[0:3]
	s_movk_i32 s4, 0x7f
	v_cmp_gt_i16_sdwa s[6:7], v13, s4 src0_sel:BYTE_3 src1_sel:DWORD
	s_mov_b64 s[4:5], 0
                                        ; implicit-def: $sgpr10
	s_and_saveexec_b64 s[8:9], s[6:7]
	s_xor_b64 s[6:7], exec, s[8:9]
	s_cbranch_execnz .LBB29_3897
; %bb.1849:
	s_or_saveexec_b64 s[6:7], s[6:7]
	v_mov_b32_e32 v8, s10
	s_xor_b64 exec, exec, s[6:7]
	s_cbranch_execnz .LBB29_3900
.LBB29_1850:
	s_or_b64 exec, exec, s[6:7]
	s_and_saveexec_b64 s[6:7], s[4:5]
	s_cbranch_execz .LBB29_1852
.LBB29_1851:
	v_bfe_u32 v8, v13, 24, 3
	v_ffbh_u32_e32 v20, v8
	v_min_u32_e32 v20, 32, v20
	v_lshrrev_b32_e32 v18, 27, v13
	v_subrev_u32_e32 v21, 28, v20
	v_and_b32_e32 v12, 0x80000000, v13
	v_and_b32_e32 v18, 15, v18
	v_bfe_u32 v19, v13, 27, 4
	v_lshlrev_b32_sdwa v13, v21, v13 dst_sel:DWORD dst_unused:UNUSED_PAD src0_sel:DWORD src1_sel:BYTE_3
	v_sub_u32_e32 v20, 29, v20
	v_and_b32_e32 v13, 7, v13
	v_cmp_eq_u16_e32 vcc, 0, v18
	v_cndmask_b32_e32 v8, v8, v13, vcc
	v_cndmask_b32_e32 v13, v19, v20, vcc
	v_mov_b32_e32 v18, 0x3b800000
	v_lshlrev_b32_e32 v8, 20, v8
	v_lshl_add_u32 v13, v13, 23, v18
	v_or3_b32 v8, v12, v13, v8
.LBB29_1852:
	s_or_b64 exec, exec, s[6:7]
	s_movk_i32 s4, 0x7f
	v_cmp_gt_i16_sdwa s[6:7], v9, s4 src0_sel:BYTE_3 src1_sel:DWORD
	s_mov_b64 s[4:5], 0
                                        ; implicit-def: $sgpr10
	s_and_saveexec_b64 s[8:9], s[6:7]
	s_xor_b64 s[6:7], exec, s[8:9]
	s_cbranch_execnz .LBB29_3901
; %bb.1853:
	s_or_saveexec_b64 s[6:7], s[6:7]
	v_mov_b32_e32 v12, s10
	s_xor_b64 exec, exec, s[6:7]
	s_cbranch_execnz .LBB29_3904
.LBB29_1854:
	s_or_b64 exec, exec, s[6:7]
	s_and_saveexec_b64 s[6:7], s[4:5]
	s_cbranch_execz .LBB29_1856
.LBB29_1855:
	v_bfe_u32 v12, v9, 24, 3
	v_ffbh_u32_e32 v20, v12
	v_min_u32_e32 v20, 32, v20
	v_lshrrev_b32_e32 v18, 27, v9
	v_subrev_u32_e32 v21, 28, v20
	v_and_b32_e32 v13, 0x80000000, v9
	v_and_b32_e32 v18, 15, v18
	v_bfe_u32 v19, v9, 27, 4
	v_lshlrev_b32_sdwa v9, v21, v9 dst_sel:DWORD dst_unused:UNUSED_PAD src0_sel:DWORD src1_sel:BYTE_3
	v_sub_u32_e32 v20, 29, v20
	v_and_b32_e32 v9, 7, v9
	v_cmp_eq_u16_e32 vcc, 0, v18
	v_cndmask_b32_e32 v9, v12, v9, vcc
	v_cndmask_b32_e32 v12, v19, v20, vcc
	v_mov_b32_e32 v18, 0x3b800000
	v_lshlrev_b32_e32 v9, 20, v9
	v_lshl_add_u32 v12, v12, 23, v18
	v_or3_b32 v12, v13, v12, v9
.LBB29_1856:
	s_or_b64 exec, exec, s[6:7]
	s_nop 0
	v_mfma_f32_16x16x4f32 a[0:3], v8, v12, a[0:3]
	s_movk_i32 s4, 0x7f
	v_cmp_gt_i16_sdwa s[6:7], v14, s4 src0_sel:BYTE_0 src1_sel:DWORD
	s_mov_b64 s[4:5], 0
                                        ; implicit-def: $sgpr10
	s_and_saveexec_b64 s[8:9], s[6:7]
	s_xor_b64 s[6:7], exec, s[8:9]
	s_cbranch_execnz .LBB29_3905
; %bb.1857:
	s_or_saveexec_b64 s[6:7], s[6:7]
	v_mov_b32_e32 v8, s10
	s_xor_b64 exec, exec, s[6:7]
	s_cbranch_execnz .LBB29_3908
.LBB29_1858:
	s_or_b64 exec, exec, s[6:7]
	s_and_saveexec_b64 s[6:7], s[4:5]
	s_cbranch_execz .LBB29_1860
.LBB29_1859:
	v_and_b32_e32 v8, 7, v14
	v_ffbh_u32_e32 v12, v8
	v_min_u32_e32 v12, 32, v12
	v_lshrrev_b16_e32 v9, 3, v14
	v_subrev_u32_e32 v13, 28, v12
	v_and_b32_e32 v9, 15, v9
	v_lshlrev_b32_e32 v13, v13, v14
	v_sub_u32_e32 v12, 29, v12
	v_and_b32_e32 v13, 7, v13
	v_cmp_eq_u16_e32 vcc, 0, v9
	v_cndmask_b32_e32 v8, v8, v13, vcc
	v_cndmask_b32_e32 v9, v9, v12, vcc
	v_lshlrev_b32_e32 v12, 24, v14
	v_mov_b32_e32 v13, 0x3b800000
	v_lshlrev_b32_e32 v8, 20, v8
	v_and_b32_e32 v12, 0x80000000, v12
	v_lshl_add_u32 v9, v9, 23, v13
	v_or3_b32 v8, v12, v9, v8
.LBB29_1860:
	s_or_b64 exec, exec, s[6:7]
	s_movk_i32 s4, 0x7f
	v_cmp_gt_i16_sdwa s[6:7], v10, s4 src0_sel:BYTE_0 src1_sel:DWORD
	s_mov_b64 s[4:5], 0
                                        ; implicit-def: $sgpr10
	s_and_saveexec_b64 s[8:9], s[6:7]
	s_xor_b64 s[6:7], exec, s[8:9]
	s_cbranch_execnz .LBB29_3909
; %bb.1861:
	s_or_saveexec_b64 s[6:7], s[6:7]
	v_mov_b32_e32 v9, s10
	s_xor_b64 exec, exec, s[6:7]
	s_cbranch_execnz .LBB29_3912
.LBB29_1862:
	s_or_b64 exec, exec, s[6:7]
	s_and_saveexec_b64 s[6:7], s[4:5]
	s_cbranch_execz .LBB29_1864
.LBB29_1863:
	v_and_b32_e32 v9, 7, v10
	v_ffbh_u32_e32 v13, v9
	v_min_u32_e32 v13, 32, v13
	v_lshrrev_b16_e32 v12, 3, v10
	v_subrev_u32_e32 v18, 28, v13
	v_and_b32_e32 v12, 15, v12
	v_lshlrev_b32_e32 v18, v18, v10
	v_sub_u32_e32 v13, 29, v13
	v_and_b32_e32 v18, 7, v18
	v_cmp_eq_u16_e32 vcc, 0, v12
	v_cndmask_b32_e32 v9, v9, v18, vcc
	v_cndmask_b32_e32 v12, v12, v13, vcc
	v_lshlrev_b32_e32 v13, 24, v10
	v_mov_b32_e32 v18, 0x3b800000
	v_lshlrev_b32_e32 v9, 20, v9
	v_and_b32_e32 v13, 0x80000000, v13
	v_lshl_add_u32 v12, v12, 23, v18
	v_or3_b32 v9, v13, v12, v9
.LBB29_1864:
	s_or_b64 exec, exec, s[6:7]
	s_nop 0
	v_mfma_f32_16x16x4f32 a[0:3], v8, v9, a[0:3]
	v_lshrrev_b32_e32 v9, 8, v14
	s_movk_i32 s4, 0x7f
	v_cmp_gt_i16_sdwa s[6:7], v9, s4 src0_sel:BYTE_0 src1_sel:DWORD
	s_mov_b64 s[4:5], 0
                                        ; implicit-def: $sgpr10
	s_and_saveexec_b64 s[8:9], s[6:7]
	s_xor_b64 s[6:7], exec, s[8:9]
	s_cbranch_execnz .LBB29_3913
; %bb.1865:
	s_or_saveexec_b64 s[6:7], s[6:7]
	v_mov_b32_e32 v8, s10
	s_xor_b64 exec, exec, s[6:7]
	s_cbranch_execnz .LBB29_3916
.LBB29_1866:
	s_or_b64 exec, exec, s[6:7]
	s_and_saveexec_b64 s[6:7], s[4:5]
	s_cbranch_execz .LBB29_1868
.LBB29_1867:
	v_bfe_u32 v8, v14, 8, 3
	v_ffbh_u32_e32 v13, v8
	v_min_u32_e32 v13, 32, v13
	v_lshrrev_b16_e32 v12, 3, v9
	v_subrev_u32_e32 v18, 28, v13
	v_and_b32_e32 v12, 15, v12
	v_lshlrev_b32_e32 v9, v18, v9
	v_sub_u32_e32 v13, 29, v13
	v_and_b32_e32 v9, 7, v9
	v_cmp_eq_u16_e32 vcc, 0, v12
	v_cndmask_b32_e32 v8, v8, v9, vcc
	v_cndmask_b32_e32 v9, v12, v13, vcc
	v_lshlrev_b32_e32 v12, 16, v14
	v_mov_b32_e32 v13, 0x3b800000
	v_lshlrev_b32_e32 v8, 20, v8
	v_and_b32_e32 v12, 0x80000000, v12
	v_lshl_add_u32 v9, v9, 23, v13
	v_or3_b32 v8, v12, v9, v8
.LBB29_1868:
	s_or_b64 exec, exec, s[6:7]
	v_lshrrev_b32_e32 v9, 8, v10
	s_movk_i32 s4, 0x7f
	v_cmp_gt_i16_sdwa s[6:7], v9, s4 src0_sel:BYTE_0 src1_sel:DWORD
	s_mov_b64 s[4:5], 0
                                        ; implicit-def: $sgpr10
	s_and_saveexec_b64 s[8:9], s[6:7]
	s_xor_b64 s[6:7], exec, s[8:9]
	s_cbranch_execnz .LBB29_3917
; %bb.1869:
	s_or_saveexec_b64 s[6:7], s[6:7]
	v_mov_b32_e32 v12, s10
	s_xor_b64 exec, exec, s[6:7]
	s_cbranch_execnz .LBB29_3920
.LBB29_1870:
	s_or_b64 exec, exec, s[6:7]
	s_and_saveexec_b64 s[6:7], s[4:5]
	s_cbranch_execz .LBB29_1872
.LBB29_1871:
	v_bfe_u32 v12, v10, 8, 3
	v_ffbh_u32_e32 v18, v12
	v_min_u32_e32 v18, 32, v18
	v_lshrrev_b16_e32 v13, 3, v9
	v_subrev_u32_e32 v19, 28, v18
	v_and_b32_e32 v13, 15, v13
	v_lshlrev_b32_e32 v9, v19, v9
	v_sub_u32_e32 v18, 29, v18
	v_and_b32_e32 v9, 7, v9
	v_cmp_eq_u16_e32 vcc, 0, v13
	v_cndmask_b32_e32 v9, v12, v9, vcc
	v_cndmask_b32_e32 v12, v13, v18, vcc
	v_lshlrev_b32_e32 v13, 16, v10
	v_mov_b32_e32 v18, 0x3b800000
	v_lshlrev_b32_e32 v9, 20, v9
	v_and_b32_e32 v13, 0x80000000, v13
	v_lshl_add_u32 v12, v12, 23, v18
	v_or3_b32 v12, v13, v12, v9
.LBB29_1872:
	s_or_b64 exec, exec, s[6:7]
	s_nop 0
	v_mfma_f32_16x16x4f32 a[0:3], v8, v12, a[0:3]
	s_movk_i32 s4, 0xff
	v_and_b32_sdwa v9, v14, s4 dst_sel:DWORD dst_unused:UNUSED_PAD src0_sel:WORD_1 src1_sel:DWORD
	s_movk_i32 s4, 0x7f
	v_cmp_lt_i16_e32 vcc, s4, v9
	s_mov_b64 s[4:5], 0
                                        ; implicit-def: $sgpr10
	s_and_saveexec_b64 s[6:7], vcc
	s_xor_b64 s[6:7], exec, s[6:7]
	s_cbranch_execnz .LBB29_3921
; %bb.1873:
	s_or_saveexec_b64 s[6:7], s[6:7]
	v_mov_b32_e32 v8, s10
	s_xor_b64 exec, exec, s[6:7]
	s_cbranch_execnz .LBB29_3924
.LBB29_1874:
	s_or_b64 exec, exec, s[6:7]
	s_and_saveexec_b64 s[6:7], s[4:5]
	s_cbranch_execz .LBB29_1876
.LBB29_1875:
	v_bfe_u32 v8, v14, 16, 3
	v_ffbh_u32_e32 v13, v8
	v_min_u32_e32 v13, 32, v13
	v_lshrrev_b32_e32 v9, 19, v14
	v_subrev_u32_e32 v18, 28, v13
	v_and_b32_e32 v9, 15, v9
	v_lshlrev_b32_sdwa v18, v18, v14 dst_sel:DWORD dst_unused:UNUSED_PAD src0_sel:DWORD src1_sel:WORD_1
	v_bfe_u32 v12, v14, 19, 4
	v_sub_u32_e32 v13, 29, v13
	v_and_b32_e32 v18, 7, v18
	v_cmp_eq_u16_e32 vcc, 0, v9
	v_cndmask_b32_e32 v8, v8, v18, vcc
	v_cndmask_b32_e32 v9, v12, v13, vcc
	v_lshlrev_b32_e32 v12, 8, v14
	v_mov_b32_e32 v13, 0x3b800000
	v_lshlrev_b32_e32 v8, 20, v8
	v_and_b32_e32 v12, 0x80000000, v12
	v_lshl_add_u32 v9, v9, 23, v13
	v_or3_b32 v8, v12, v9, v8
.LBB29_1876:
	s_or_b64 exec, exec, s[6:7]
	s_movk_i32 s4, 0xff
	v_and_b32_sdwa v9, v10, s4 dst_sel:DWORD dst_unused:UNUSED_PAD src0_sel:WORD_1 src1_sel:DWORD
	s_movk_i32 s4, 0x7f
	v_cmp_lt_i16_e32 vcc, s4, v9
	s_mov_b64 s[4:5], 0
                                        ; implicit-def: $sgpr10
	s_and_saveexec_b64 s[6:7], vcc
	s_xor_b64 s[6:7], exec, s[6:7]
	s_cbranch_execnz .LBB29_3925
; %bb.1877:
	s_or_saveexec_b64 s[6:7], s[6:7]
	v_mov_b32_e32 v12, s10
	s_xor_b64 exec, exec, s[6:7]
	s_cbranch_execnz .LBB29_3928
.LBB29_1878:
	s_or_b64 exec, exec, s[6:7]
	s_and_saveexec_b64 s[6:7], s[4:5]
	s_cbranch_execz .LBB29_1880
.LBB29_1879:
	v_bfe_u32 v9, v10, 16, 3
	v_ffbh_u32_e32 v18, v9
	v_min_u32_e32 v18, 32, v18
	v_lshrrev_b32_e32 v12, 19, v10
	v_subrev_u32_e32 v19, 28, v18
	v_and_b32_e32 v12, 15, v12
	v_lshlrev_b32_sdwa v19, v19, v10 dst_sel:DWORD dst_unused:UNUSED_PAD src0_sel:DWORD src1_sel:WORD_1
	v_bfe_u32 v13, v10, 19, 4
	v_sub_u32_e32 v18, 29, v18
	v_and_b32_e32 v19, 7, v19
	v_cmp_eq_u16_e32 vcc, 0, v12
	v_cndmask_b32_e32 v9, v9, v19, vcc
	v_cndmask_b32_e32 v12, v13, v18, vcc
	v_lshlrev_b32_e32 v13, 8, v10
	v_mov_b32_e32 v18, 0x3b800000
	v_lshlrev_b32_e32 v9, 20, v9
	v_and_b32_e32 v13, 0x80000000, v13
	v_lshl_add_u32 v12, v12, 23, v18
	v_or3_b32 v12, v13, v12, v9
.LBB29_1880:
	s_or_b64 exec, exec, s[6:7]
	s_nop 0
	v_mfma_f32_16x16x4f32 a[0:3], v8, v12, a[0:3]
	s_movk_i32 s4, 0x7f
	v_cmp_gt_i16_sdwa s[6:7], v14, s4 src0_sel:BYTE_3 src1_sel:DWORD
	s_mov_b64 s[4:5], 0
                                        ; implicit-def: $sgpr10
	s_and_saveexec_b64 s[8:9], s[6:7]
	s_xor_b64 s[6:7], exec, s[8:9]
	s_cbranch_execnz .LBB29_3929
; %bb.1881:
	s_or_saveexec_b64 s[6:7], s[6:7]
	v_mov_b32_e32 v8, s10
	s_xor_b64 exec, exec, s[6:7]
	s_cbranch_execnz .LBB29_3932
.LBB29_1882:
	s_or_b64 exec, exec, s[6:7]
	s_and_saveexec_b64 s[6:7], s[4:5]
	s_cbranch_execz .LBB29_1884
.LBB29_1883:
	v_bfe_u32 v8, v14, 24, 3
	v_ffbh_u32_e32 v18, v8
	v_min_u32_e32 v18, 32, v18
	v_lshrrev_b32_e32 v12, 27, v14
	v_subrev_u32_e32 v19, 28, v18
	v_and_b32_e32 v9, 0x80000000, v14
	v_and_b32_e32 v12, 15, v12
	v_bfe_u32 v13, v14, 27, 4
	v_lshlrev_b32_sdwa v14, v19, v14 dst_sel:DWORD dst_unused:UNUSED_PAD src0_sel:DWORD src1_sel:BYTE_3
	v_sub_u32_e32 v18, 29, v18
	v_and_b32_e32 v14, 7, v14
	v_cmp_eq_u16_e32 vcc, 0, v12
	v_cndmask_b32_e32 v8, v8, v14, vcc
	v_cndmask_b32_e32 v12, v13, v18, vcc
	v_mov_b32_e32 v13, 0x3b800000
	v_lshlrev_b32_e32 v8, 20, v8
	v_lshl_add_u32 v12, v12, 23, v13
	v_or3_b32 v8, v9, v12, v8
.LBB29_1884:
	s_or_b64 exec, exec, s[6:7]
	s_movk_i32 s4, 0x7f
	v_cmp_gt_i16_sdwa s[6:7], v10, s4 src0_sel:BYTE_3 src1_sel:DWORD
	s_mov_b64 s[4:5], 0
                                        ; implicit-def: $sgpr10
	s_and_saveexec_b64 s[8:9], s[6:7]
	s_xor_b64 s[6:7], exec, s[8:9]
	s_cbranch_execnz .LBB29_3933
; %bb.1885:
	s_or_saveexec_b64 s[6:7], s[6:7]
	v_mov_b32_e32 v9, s10
	s_xor_b64 exec, exec, s[6:7]
	s_cbranch_execnz .LBB29_3936
.LBB29_1886:
	s_or_b64 exec, exec, s[6:7]
	s_and_saveexec_b64 s[6:7], s[4:5]
	s_cbranch_execz .LBB29_1888
.LBB29_1887:
	v_bfe_u32 v9, v10, 24, 3
	v_ffbh_u32_e32 v18, v9
	v_min_u32_e32 v18, 32, v18
	v_lshrrev_b32_e32 v13, 27, v10
	v_subrev_u32_e32 v19, 28, v18
	v_and_b32_e32 v12, 0x80000000, v10
	v_and_b32_e32 v13, 15, v13
	v_bfe_u32 v14, v10, 27, 4
	v_lshlrev_b32_sdwa v10, v19, v10 dst_sel:DWORD dst_unused:UNUSED_PAD src0_sel:DWORD src1_sel:BYTE_3
	v_sub_u32_e32 v18, 29, v18
	v_and_b32_e32 v10, 7, v10
	v_cmp_eq_u16_e32 vcc, 0, v13
	v_cndmask_b32_e32 v9, v9, v10, vcc
	v_cndmask_b32_e32 v10, v14, v18, vcc
	v_mov_b32_e32 v13, 0x3b800000
	v_lshlrev_b32_e32 v9, 20, v9
	v_lshl_add_u32 v10, v10, 23, v13
	v_or3_b32 v9, v12, v10, v9
.LBB29_1888:
	s_or_b64 exec, exec, s[6:7]
	s_nop 0
	v_mfma_f32_16x16x4f32 a[0:3], v8, v9, a[0:3]
	s_movk_i32 s4, 0x7f
	v_cmp_gt_i16_sdwa s[6:7], v15, s4 src0_sel:BYTE_0 src1_sel:DWORD
	s_mov_b64 s[4:5], 0
                                        ; implicit-def: $sgpr10
	s_and_saveexec_b64 s[8:9], s[6:7]
	s_xor_b64 s[6:7], exec, s[8:9]
	s_cbranch_execnz .LBB29_3937
; %bb.1889:
	s_or_saveexec_b64 s[6:7], s[6:7]
	v_mov_b32_e32 v8, s10
	s_xor_b64 exec, exec, s[6:7]
	s_cbranch_execnz .LBB29_3940
.LBB29_1890:
	s_or_b64 exec, exec, s[6:7]
	s_and_saveexec_b64 s[6:7], s[4:5]
	s_cbranch_execz .LBB29_1892
.LBB29_1891:
	v_and_b32_e32 v8, 7, v15
	v_ffbh_u32_e32 v10, v8
	v_min_u32_e32 v10, 32, v10
	v_lshrrev_b16_e32 v9, 3, v15
	v_subrev_u32_e32 v12, 28, v10
	v_and_b32_e32 v9, 15, v9
	v_lshlrev_b32_e32 v12, v12, v15
	v_sub_u32_e32 v10, 29, v10
	v_and_b32_e32 v12, 7, v12
	v_cmp_eq_u16_e32 vcc, 0, v9
	v_cndmask_b32_e32 v8, v8, v12, vcc
	v_cndmask_b32_e32 v9, v9, v10, vcc
	v_lshlrev_b32_e32 v10, 24, v15
	v_mov_b32_e32 v12, 0x3b800000
	v_lshlrev_b32_e32 v8, 20, v8
	v_and_b32_e32 v10, 0x80000000, v10
	v_lshl_add_u32 v9, v9, 23, v12
	v_or3_b32 v8, v10, v9, v8
.LBB29_1892:
	s_or_b64 exec, exec, s[6:7]
	s_movk_i32 s4, 0x7f
	v_cmp_gt_i16_sdwa s[6:7], v11, s4 src0_sel:BYTE_0 src1_sel:DWORD
	s_mov_b64 s[4:5], 0
                                        ; implicit-def: $sgpr10
	s_and_saveexec_b64 s[8:9], s[6:7]
	s_xor_b64 s[6:7], exec, s[8:9]
	s_cbranch_execnz .LBB29_3941
; %bb.1893:
	s_or_saveexec_b64 s[6:7], s[6:7]
	v_mov_b32_e32 v9, s10
	s_xor_b64 exec, exec, s[6:7]
	s_cbranch_execnz .LBB29_3944
.LBB29_1894:
	s_or_b64 exec, exec, s[6:7]
	s_and_saveexec_b64 s[6:7], s[4:5]
	s_cbranch_execz .LBB29_1896
.LBB29_1895:
	v_and_b32_e32 v9, 7, v11
	v_ffbh_u32_e32 v12, v9
	v_min_u32_e32 v12, 32, v12
	v_lshrrev_b16_e32 v10, 3, v11
	v_subrev_u32_e32 v13, 28, v12
	v_and_b32_e32 v10, 15, v10
	v_lshlrev_b32_e32 v13, v13, v11
	v_sub_u32_e32 v12, 29, v12
	v_and_b32_e32 v13, 7, v13
	v_cmp_eq_u16_e32 vcc, 0, v10
	v_cndmask_b32_e32 v9, v9, v13, vcc
	v_cndmask_b32_e32 v10, v10, v12, vcc
	v_lshlrev_b32_e32 v12, 24, v11
	v_mov_b32_e32 v13, 0x3b800000
	v_lshlrev_b32_e32 v9, 20, v9
	v_and_b32_e32 v12, 0x80000000, v12
	v_lshl_add_u32 v10, v10, 23, v13
	v_or3_b32 v9, v12, v10, v9
.LBB29_1896:
	s_or_b64 exec, exec, s[6:7]
	s_nop 0
	v_mfma_f32_16x16x4f32 a[0:3], v8, v9, a[0:3]
	v_lshrrev_b32_e32 v9, 8, v15
	s_movk_i32 s4, 0x7f
	v_cmp_gt_i16_sdwa s[6:7], v9, s4 src0_sel:BYTE_0 src1_sel:DWORD
	s_mov_b64 s[4:5], 0
                                        ; implicit-def: $sgpr10
	s_and_saveexec_b64 s[8:9], s[6:7]
	s_xor_b64 s[6:7], exec, s[8:9]
	s_cbranch_execnz .LBB29_3945
; %bb.1897:
	s_or_saveexec_b64 s[6:7], s[6:7]
	v_mov_b32_e32 v8, s10
	s_xor_b64 exec, exec, s[6:7]
	s_cbranch_execnz .LBB29_3948
.LBB29_1898:
	s_or_b64 exec, exec, s[6:7]
	s_and_saveexec_b64 s[6:7], s[4:5]
	s_cbranch_execz .LBB29_1900
.LBB29_1899:
	v_bfe_u32 v8, v15, 8, 3
	v_ffbh_u32_e32 v12, v8
	v_min_u32_e32 v12, 32, v12
	v_lshrrev_b16_e32 v10, 3, v9
	v_subrev_u32_e32 v13, 28, v12
	v_and_b32_e32 v10, 15, v10
	v_lshlrev_b32_e32 v9, v13, v9
	v_sub_u32_e32 v12, 29, v12
	v_and_b32_e32 v9, 7, v9
	v_cmp_eq_u16_e32 vcc, 0, v10
	v_cndmask_b32_e32 v8, v8, v9, vcc
	v_cndmask_b32_e32 v9, v10, v12, vcc
	v_lshlrev_b32_e32 v10, 16, v15
	v_mov_b32_e32 v12, 0x3b800000
	v_lshlrev_b32_e32 v8, 20, v8
	v_and_b32_e32 v10, 0x80000000, v10
	v_lshl_add_u32 v9, v9, 23, v12
	v_or3_b32 v8, v10, v9, v8
.LBB29_1900:
	s_or_b64 exec, exec, s[6:7]
	v_lshrrev_b32_e32 v9, 8, v11
	s_movk_i32 s4, 0x7f
	v_cmp_gt_i16_sdwa s[6:7], v9, s4 src0_sel:BYTE_0 src1_sel:DWORD
	s_mov_b64 s[4:5], 0
                                        ; implicit-def: $sgpr10
	s_and_saveexec_b64 s[8:9], s[6:7]
	s_xor_b64 s[6:7], exec, s[8:9]
	s_cbranch_execnz .LBB29_3949
; %bb.1901:
	s_or_saveexec_b64 s[6:7], s[6:7]
	v_mov_b32_e32 v10, s10
	s_xor_b64 exec, exec, s[6:7]
	s_cbranch_execnz .LBB29_3952
.LBB29_1902:
	s_or_b64 exec, exec, s[6:7]
	s_and_saveexec_b64 s[6:7], s[4:5]
	s_cbranch_execz .LBB29_1904
.LBB29_1903:
	v_bfe_u32 v10, v11, 8, 3
	v_ffbh_u32_e32 v13, v10
	v_min_u32_e32 v13, 32, v13
	v_lshrrev_b16_e32 v12, 3, v9
	v_subrev_u32_e32 v14, 28, v13
	v_and_b32_e32 v12, 15, v12
	v_lshlrev_b32_e32 v9, v14, v9
	v_sub_u32_e32 v13, 29, v13
	v_and_b32_e32 v9, 7, v9
	v_cmp_eq_u16_e32 vcc, 0, v12
	v_cndmask_b32_e32 v9, v10, v9, vcc
	v_cndmask_b32_e32 v10, v12, v13, vcc
	v_lshlrev_b32_e32 v12, 16, v11
	v_mov_b32_e32 v13, 0x3b800000
	v_lshlrev_b32_e32 v9, 20, v9
	v_and_b32_e32 v12, 0x80000000, v12
	v_lshl_add_u32 v10, v10, 23, v13
	v_or3_b32 v10, v12, v10, v9
.LBB29_1904:
	s_or_b64 exec, exec, s[6:7]
	s_nop 0
	v_mfma_f32_16x16x4f32 a[0:3], v8, v10, a[0:3]
	s_movk_i32 s4, 0xff
	v_and_b32_sdwa v9, v15, s4 dst_sel:DWORD dst_unused:UNUSED_PAD src0_sel:WORD_1 src1_sel:DWORD
	s_movk_i32 s4, 0x7f
	v_cmp_lt_i16_e32 vcc, s4, v9
	s_mov_b64 s[4:5], 0
                                        ; implicit-def: $sgpr10
	s_and_saveexec_b64 s[6:7], vcc
	s_xor_b64 s[6:7], exec, s[6:7]
	s_cbranch_execnz .LBB29_3953
; %bb.1905:
	s_or_saveexec_b64 s[6:7], s[6:7]
	v_mov_b32_e32 v8, s10
	s_xor_b64 exec, exec, s[6:7]
	s_cbranch_execnz .LBB29_3956
.LBB29_1906:
	s_or_b64 exec, exec, s[6:7]
	s_and_saveexec_b64 s[6:7], s[4:5]
	s_cbranch_execz .LBB29_1908
.LBB29_1907:
	v_bfe_u32 v8, v15, 16, 3
	v_ffbh_u32_e32 v12, v8
	v_min_u32_e32 v12, 32, v12
	v_lshrrev_b32_e32 v9, 19, v15
	v_subrev_u32_e32 v13, 28, v12
	v_and_b32_e32 v9, 15, v9
	v_lshlrev_b32_sdwa v13, v13, v15 dst_sel:DWORD dst_unused:UNUSED_PAD src0_sel:DWORD src1_sel:WORD_1
	v_bfe_u32 v10, v15, 19, 4
	v_sub_u32_e32 v12, 29, v12
	v_and_b32_e32 v13, 7, v13
	v_cmp_eq_u16_e32 vcc, 0, v9
	v_cndmask_b32_e32 v8, v8, v13, vcc
	v_cndmask_b32_e32 v9, v10, v12, vcc
	v_lshlrev_b32_e32 v10, 8, v15
	v_mov_b32_e32 v12, 0x3b800000
	v_lshlrev_b32_e32 v8, 20, v8
	v_and_b32_e32 v10, 0x80000000, v10
	v_lshl_add_u32 v9, v9, 23, v12
	v_or3_b32 v8, v10, v9, v8
.LBB29_1908:
	s_or_b64 exec, exec, s[6:7]
	s_movk_i32 s4, 0xff
	v_and_b32_sdwa v9, v11, s4 dst_sel:DWORD dst_unused:UNUSED_PAD src0_sel:WORD_1 src1_sel:DWORD
	s_movk_i32 s4, 0x7f
	v_cmp_lt_i16_e32 vcc, s4, v9
	s_mov_b64 s[4:5], 0
                                        ; implicit-def: $sgpr10
	s_and_saveexec_b64 s[6:7], vcc
	s_xor_b64 s[6:7], exec, s[6:7]
	s_cbranch_execnz .LBB29_3957
; %bb.1909:
	s_or_saveexec_b64 s[6:7], s[6:7]
	v_mov_b32_e32 v10, s10
	s_xor_b64 exec, exec, s[6:7]
	s_cbranch_execnz .LBB29_3960
.LBB29_1910:
	s_or_b64 exec, exec, s[6:7]
	s_and_saveexec_b64 s[6:7], s[4:5]
	s_cbranch_execz .LBB29_1912
.LBB29_1911:
	v_bfe_u32 v9, v11, 16, 3
	v_ffbh_u32_e32 v13, v9
	v_min_u32_e32 v13, 32, v13
	v_lshrrev_b32_e32 v10, 19, v11
	v_subrev_u32_e32 v14, 28, v13
	v_and_b32_e32 v10, 15, v10
	v_lshlrev_b32_sdwa v14, v14, v11 dst_sel:DWORD dst_unused:UNUSED_PAD src0_sel:DWORD src1_sel:WORD_1
	v_bfe_u32 v12, v11, 19, 4
	v_sub_u32_e32 v13, 29, v13
	v_and_b32_e32 v14, 7, v14
	v_cmp_eq_u16_e32 vcc, 0, v10
	v_cndmask_b32_e32 v9, v9, v14, vcc
	v_cndmask_b32_e32 v10, v12, v13, vcc
	v_lshlrev_b32_e32 v12, 8, v11
	v_mov_b32_e32 v13, 0x3b800000
	v_lshlrev_b32_e32 v9, 20, v9
	v_and_b32_e32 v12, 0x80000000, v12
	v_lshl_add_u32 v10, v10, 23, v13
	v_or3_b32 v10, v12, v10, v9
.LBB29_1912:
	s_or_b64 exec, exec, s[6:7]
	s_nop 0
	v_mfma_f32_16x16x4f32 a[0:3], v8, v10, a[0:3]
	s_movk_i32 s4, 0x7f
	v_cmp_gt_i16_sdwa s[6:7], v15, s4 src0_sel:BYTE_3 src1_sel:DWORD
	s_mov_b64 s[4:5], 0
                                        ; implicit-def: $sgpr10
	s_and_saveexec_b64 s[8:9], s[6:7]
	s_xor_b64 s[6:7], exec, s[8:9]
	s_cbranch_execnz .LBB29_3961
; %bb.1913:
	s_or_saveexec_b64 s[6:7], s[6:7]
	v_mov_b32_e32 v8, s10
	s_xor_b64 exec, exec, s[6:7]
	s_cbranch_execnz .LBB29_3964
.LBB29_1914:
	s_or_b64 exec, exec, s[6:7]
	s_and_saveexec_b64 s[6:7], s[4:5]
	s_cbranch_execz .LBB29_1916
.LBB29_1915:
	v_bfe_u32 v8, v15, 24, 3
	v_ffbh_u32_e32 v13, v8
	v_min_u32_e32 v13, 32, v13
	v_lshrrev_b32_e32 v10, 27, v15
	v_subrev_u32_e32 v14, 28, v13
	v_and_b32_e32 v10, 15, v10
	v_lshlrev_b32_sdwa v14, v14, v15 dst_sel:DWORD dst_unused:UNUSED_PAD src0_sel:DWORD src1_sel:BYTE_3
	v_bfe_u32 v12, v15, 27, 4
	v_sub_u32_e32 v13, 29, v13
	v_and_b32_e32 v14, 7, v14
	v_cmp_eq_u16_e32 vcc, 0, v10
	v_cndmask_b32_e32 v8, v8, v14, vcc
	v_cndmask_b32_e32 v10, v12, v13, vcc
	v_mov_b32_e32 v12, 0x3b800000
	v_and_b32_e32 v9, 0x80000000, v15
	v_lshlrev_b32_e32 v8, 20, v8
	v_lshl_add_u32 v10, v10, 23, v12
	v_or3_b32 v8, v9, v10, v8
.LBB29_1916:
	s_or_b64 exec, exec, s[6:7]
	s_movk_i32 s4, 0x7f
	v_cmp_gt_i16_sdwa s[6:7], v11, s4 src0_sel:BYTE_3 src1_sel:DWORD
	s_mov_b64 s[4:5], 0
                                        ; implicit-def: $sgpr10
	s_and_saveexec_b64 s[8:9], s[6:7]
	s_xor_b64 s[6:7], exec, s[8:9]
	s_cbranch_execnz .LBB29_3965
; %bb.1917:
	s_or_saveexec_b64 s[6:7], s[6:7]
	v_mov_b32_e32 v9, s10
	s_xor_b64 exec, exec, s[6:7]
	s_cbranch_execnz .LBB29_3968
.LBB29_1918:
	s_or_b64 exec, exec, s[6:7]
	s_and_saveexec_b64 s[6:7], s[4:5]
	s_cbranch_execz .LBB29_1920
.LBB29_1919:
	v_bfe_u32 v9, v11, 24, 3
	v_ffbh_u32_e32 v14, v9
	v_min_u32_e32 v14, 32, v14
	v_lshrrev_b32_e32 v12, 27, v11
	v_subrev_u32_e32 v15, 28, v14
	v_and_b32_e32 v10, 0x80000000, v11
	v_and_b32_e32 v12, 15, v12
	v_bfe_u32 v13, v11, 27, 4
	v_lshlrev_b32_sdwa v11, v15, v11 dst_sel:DWORD dst_unused:UNUSED_PAD src0_sel:DWORD src1_sel:BYTE_3
	v_sub_u32_e32 v14, 29, v14
	v_and_b32_e32 v11, 7, v11
	v_cmp_eq_u16_e32 vcc, 0, v12
	v_cndmask_b32_e32 v9, v9, v11, vcc
	v_cndmask_b32_e32 v11, v13, v14, vcc
	v_mov_b32_e32 v12, 0x3b800000
	v_lshlrev_b32_e32 v9, 20, v9
	v_lshl_add_u32 v11, v11, 23, v12
	v_or3_b32 v9, v10, v11, v9
.LBB29_1920:
	s_or_b64 exec, exec, s[6:7]
	s_nop 0
	v_mfma_f32_16x16x4f32 a[0:3], v8, v9, a[0:3]
	s_movk_i32 s4, 0x7f
	v_cmp_gt_i16_sdwa s[6:7], v4, s4 src0_sel:BYTE_0 src1_sel:DWORD
	s_mov_b64 s[4:5], 0
                                        ; implicit-def: $sgpr10
	s_and_saveexec_b64 s[8:9], s[6:7]
	s_xor_b64 s[6:7], exec, s[8:9]
	s_cbranch_execnz .LBB29_3969
; %bb.1921:
	s_or_saveexec_b64 s[6:7], s[6:7]
	v_mov_b32_e32 v8, s10
	s_xor_b64 exec, exec, s[6:7]
	s_cbranch_execnz .LBB29_3972
.LBB29_1922:
	s_or_b64 exec, exec, s[6:7]
	s_and_saveexec_b64 s[6:7], s[4:5]
	s_cbranch_execz .LBB29_1924
.LBB29_1923:
	v_and_b32_e32 v8, 7, v4
	v_ffbh_u32_e32 v10, v8
	v_min_u32_e32 v10, 32, v10
	v_lshrrev_b16_e32 v9, 3, v4
	v_subrev_u32_e32 v11, 28, v10
	v_and_b32_e32 v9, 15, v9
	v_lshlrev_b32_e32 v11, v11, v4
	v_sub_u32_e32 v10, 29, v10
	v_and_b32_e32 v11, 7, v11
	v_cmp_eq_u16_e32 vcc, 0, v9
	v_cndmask_b32_e32 v8, v8, v11, vcc
	v_cndmask_b32_e32 v9, v9, v10, vcc
	v_lshlrev_b32_e32 v10, 24, v4
	v_mov_b32_e32 v11, 0x3b800000
	v_lshlrev_b32_e32 v8, 20, v8
	v_and_b32_e32 v10, 0x80000000, v10
	v_lshl_add_u32 v9, v9, 23, v11
	v_or3_b32 v8, v10, v9, v8
.LBB29_1924:
	s_or_b64 exec, exec, s[6:7]
	s_movk_i32 s4, 0x7f
	v_cmp_gt_i16_sdwa s[6:7], v0, s4 src0_sel:BYTE_0 src1_sel:DWORD
	s_mov_b64 s[4:5], 0
                                        ; implicit-def: $sgpr10
	s_and_saveexec_b64 s[8:9], s[6:7]
	s_xor_b64 s[6:7], exec, s[8:9]
	s_cbranch_execnz .LBB29_3973
; %bb.1925:
	s_or_saveexec_b64 s[6:7], s[6:7]
	v_mov_b32_e32 v9, s10
	s_xor_b64 exec, exec, s[6:7]
	s_cbranch_execnz .LBB29_3976
.LBB29_1926:
	s_or_b64 exec, exec, s[6:7]
	s_and_saveexec_b64 s[6:7], s[4:5]
	s_cbranch_execz .LBB29_1928
.LBB29_1927:
	v_and_b32_e32 v9, 7, v0
	v_ffbh_u32_e32 v11, v9
	v_min_u32_e32 v11, 32, v11
	v_lshrrev_b16_e32 v10, 3, v0
	v_subrev_u32_e32 v12, 28, v11
	v_and_b32_e32 v10, 15, v10
	v_lshlrev_b32_e32 v12, v12, v0
	v_sub_u32_e32 v11, 29, v11
	v_and_b32_e32 v12, 7, v12
	v_cmp_eq_u16_e32 vcc, 0, v10
	v_cndmask_b32_e32 v9, v9, v12, vcc
	v_cndmask_b32_e32 v10, v10, v11, vcc
	v_lshlrev_b32_e32 v11, 24, v0
	v_mov_b32_e32 v12, 0x3b800000
	v_lshlrev_b32_e32 v9, 20, v9
	v_and_b32_e32 v11, 0x80000000, v11
	v_lshl_add_u32 v10, v10, 23, v12
	v_or3_b32 v9, v11, v10, v9
.LBB29_1928:
	s_or_b64 exec, exec, s[6:7]
	s_nop 0
	v_mfma_f32_16x16x4f32 a[0:3], v8, v9, a[0:3]
	v_lshrrev_b32_e32 v9, 8, v4
	s_movk_i32 s4, 0x7f
	v_cmp_gt_i16_sdwa s[6:7], v9, s4 src0_sel:BYTE_0 src1_sel:DWORD
	s_mov_b64 s[4:5], 0
                                        ; implicit-def: $sgpr10
	s_and_saveexec_b64 s[8:9], s[6:7]
	s_xor_b64 s[6:7], exec, s[8:9]
	s_cbranch_execnz .LBB29_3977
; %bb.1929:
	s_or_saveexec_b64 s[6:7], s[6:7]
	v_mov_b32_e32 v8, s10
	s_xor_b64 exec, exec, s[6:7]
	s_cbranch_execnz .LBB29_3980
.LBB29_1930:
	s_or_b64 exec, exec, s[6:7]
	s_and_saveexec_b64 s[6:7], s[4:5]
	s_cbranch_execz .LBB29_1932
.LBB29_1931:
	v_bfe_u32 v8, v4, 8, 3
	v_ffbh_u32_e32 v11, v8
	v_min_u32_e32 v11, 32, v11
	v_lshrrev_b16_e32 v10, 3, v9
	v_subrev_u32_e32 v12, 28, v11
	v_and_b32_e32 v10, 15, v10
	v_lshlrev_b32_e32 v9, v12, v9
	v_sub_u32_e32 v11, 29, v11
	v_and_b32_e32 v9, 7, v9
	v_cmp_eq_u16_e32 vcc, 0, v10
	v_cndmask_b32_e32 v8, v8, v9, vcc
	v_cndmask_b32_e32 v9, v10, v11, vcc
	v_lshlrev_b32_e32 v10, 16, v4
	v_mov_b32_e32 v11, 0x3b800000
	v_lshlrev_b32_e32 v8, 20, v8
	v_and_b32_e32 v10, 0x80000000, v10
	v_lshl_add_u32 v9, v9, 23, v11
	v_or3_b32 v8, v10, v9, v8
.LBB29_1932:
	s_or_b64 exec, exec, s[6:7]
	v_lshrrev_b32_e32 v9, 8, v0
	s_movk_i32 s4, 0x7f
	v_cmp_gt_i16_sdwa s[6:7], v9, s4 src0_sel:BYTE_0 src1_sel:DWORD
	s_mov_b64 s[4:5], 0
                                        ; implicit-def: $sgpr10
	s_and_saveexec_b64 s[8:9], s[6:7]
	s_xor_b64 s[6:7], exec, s[8:9]
	s_cbranch_execnz .LBB29_3981
; %bb.1933:
	s_or_saveexec_b64 s[6:7], s[6:7]
	v_mov_b32_e32 v10, s10
	s_xor_b64 exec, exec, s[6:7]
	s_cbranch_execnz .LBB29_3984
.LBB29_1934:
	s_or_b64 exec, exec, s[6:7]
	s_and_saveexec_b64 s[6:7], s[4:5]
	s_cbranch_execz .LBB29_1936
.LBB29_1935:
	v_bfe_u32 v10, v0, 8, 3
	v_ffbh_u32_e32 v12, v10
	v_min_u32_e32 v12, 32, v12
	v_lshrrev_b16_e32 v11, 3, v9
	v_subrev_u32_e32 v13, 28, v12
	v_and_b32_e32 v11, 15, v11
	v_lshlrev_b32_e32 v9, v13, v9
	v_sub_u32_e32 v12, 29, v12
	v_and_b32_e32 v9, 7, v9
	v_cmp_eq_u16_e32 vcc, 0, v11
	v_cndmask_b32_e32 v9, v10, v9, vcc
	v_cndmask_b32_e32 v10, v11, v12, vcc
	v_lshlrev_b32_e32 v11, 16, v0
	v_mov_b32_e32 v12, 0x3b800000
	v_lshlrev_b32_e32 v9, 20, v9
	v_and_b32_e32 v11, 0x80000000, v11
	v_lshl_add_u32 v10, v10, 23, v12
	v_or3_b32 v10, v11, v10, v9
.LBB29_1936:
	s_or_b64 exec, exec, s[6:7]
	s_nop 0
	v_mfma_f32_16x16x4f32 a[0:3], v8, v10, a[0:3]
	s_movk_i32 s4, 0xff
	v_and_b32_sdwa v9, v4, s4 dst_sel:DWORD dst_unused:UNUSED_PAD src0_sel:WORD_1 src1_sel:DWORD
	s_movk_i32 s4, 0x7f
	v_cmp_lt_i16_e32 vcc, s4, v9
	s_mov_b64 s[4:5], 0
                                        ; implicit-def: $sgpr10
	s_and_saveexec_b64 s[6:7], vcc
	s_xor_b64 s[6:7], exec, s[6:7]
	s_cbranch_execnz .LBB29_3985
; %bb.1937:
	s_or_saveexec_b64 s[6:7], s[6:7]
	v_mov_b32_e32 v8, s10
	s_xor_b64 exec, exec, s[6:7]
	s_cbranch_execnz .LBB29_3988
.LBB29_1938:
	s_or_b64 exec, exec, s[6:7]
	s_and_saveexec_b64 s[6:7], s[4:5]
	s_cbranch_execz .LBB29_1940
.LBB29_1939:
	v_bfe_u32 v8, v4, 16, 3
	v_ffbh_u32_e32 v11, v8
	v_min_u32_e32 v11, 32, v11
	v_lshrrev_b32_e32 v9, 19, v4
	v_subrev_u32_e32 v12, 28, v11
	v_and_b32_e32 v9, 15, v9
	v_lshlrev_b32_sdwa v12, v12, v4 dst_sel:DWORD dst_unused:UNUSED_PAD src0_sel:DWORD src1_sel:WORD_1
	v_bfe_u32 v10, v4, 19, 4
	v_sub_u32_e32 v11, 29, v11
	v_and_b32_e32 v12, 7, v12
	v_cmp_eq_u16_e32 vcc, 0, v9
	v_cndmask_b32_e32 v8, v8, v12, vcc
	v_cndmask_b32_e32 v9, v10, v11, vcc
	v_lshlrev_b32_e32 v10, 8, v4
	v_mov_b32_e32 v11, 0x3b800000
	v_lshlrev_b32_e32 v8, 20, v8
	v_and_b32_e32 v10, 0x80000000, v10
	v_lshl_add_u32 v9, v9, 23, v11
	v_or3_b32 v8, v10, v9, v8
.LBB29_1940:
	s_or_b64 exec, exec, s[6:7]
	s_movk_i32 s4, 0xff
	v_and_b32_sdwa v9, v0, s4 dst_sel:DWORD dst_unused:UNUSED_PAD src0_sel:WORD_1 src1_sel:DWORD
	s_movk_i32 s4, 0x7f
	v_cmp_lt_i16_e32 vcc, s4, v9
	s_mov_b64 s[4:5], 0
                                        ; implicit-def: $sgpr10
	s_and_saveexec_b64 s[6:7], vcc
	s_xor_b64 s[6:7], exec, s[6:7]
	s_cbranch_execnz .LBB29_3989
; %bb.1941:
	s_or_saveexec_b64 s[6:7], s[6:7]
	v_mov_b32_e32 v10, s10
	s_xor_b64 exec, exec, s[6:7]
	s_cbranch_execnz .LBB29_3992
.LBB29_1942:
	s_or_b64 exec, exec, s[6:7]
	s_and_saveexec_b64 s[6:7], s[4:5]
	s_cbranch_execz .LBB29_1944
.LBB29_1943:
	v_bfe_u32 v9, v0, 16, 3
	v_ffbh_u32_e32 v12, v9
	v_min_u32_e32 v12, 32, v12
	v_lshrrev_b32_e32 v10, 19, v0
	v_subrev_u32_e32 v13, 28, v12
	v_and_b32_e32 v10, 15, v10
	v_lshlrev_b32_sdwa v13, v13, v0 dst_sel:DWORD dst_unused:UNUSED_PAD src0_sel:DWORD src1_sel:WORD_1
	v_bfe_u32 v11, v0, 19, 4
	v_sub_u32_e32 v12, 29, v12
	v_and_b32_e32 v13, 7, v13
	v_cmp_eq_u16_e32 vcc, 0, v10
	v_cndmask_b32_e32 v9, v9, v13, vcc
	v_cndmask_b32_e32 v10, v11, v12, vcc
	v_lshlrev_b32_e32 v11, 8, v0
	v_mov_b32_e32 v12, 0x3b800000
	v_lshlrev_b32_e32 v9, 20, v9
	v_and_b32_e32 v11, 0x80000000, v11
	v_lshl_add_u32 v10, v10, 23, v12
	v_or3_b32 v10, v11, v10, v9
.LBB29_1944:
	s_or_b64 exec, exec, s[6:7]
	s_nop 0
	v_mfma_f32_16x16x4f32 a[0:3], v8, v10, a[0:3]
	s_movk_i32 s4, 0x7f
	v_cmp_gt_i16_sdwa s[6:7], v4, s4 src0_sel:BYTE_3 src1_sel:DWORD
	s_mov_b64 s[4:5], 0
                                        ; implicit-def: $sgpr10
	s_and_saveexec_b64 s[8:9], s[6:7]
	s_xor_b64 s[6:7], exec, s[8:9]
	s_cbranch_execnz .LBB29_3993
; %bb.1945:
	s_or_saveexec_b64 s[6:7], s[6:7]
	v_mov_b32_e32 v8, s10
	s_xor_b64 exec, exec, s[6:7]
	s_cbranch_execnz .LBB29_3996
.LBB29_1946:
	s_or_b64 exec, exec, s[6:7]
	s_and_saveexec_b64 s[6:7], s[4:5]
	s_cbranch_execz .LBB29_1948
.LBB29_1947:
	v_bfe_u32 v8, v4, 24, 3
	v_ffbh_u32_e32 v12, v8
	v_min_u32_e32 v12, 32, v12
	v_lshrrev_b32_e32 v10, 27, v4
	v_subrev_u32_e32 v13, 28, v12
	v_and_b32_e32 v9, 0x80000000, v4
	v_and_b32_e32 v10, 15, v10
	v_bfe_u32 v11, v4, 27, 4
	v_lshlrev_b32_sdwa v4, v13, v4 dst_sel:DWORD dst_unused:UNUSED_PAD src0_sel:DWORD src1_sel:BYTE_3
	v_sub_u32_e32 v12, 29, v12
	v_and_b32_e32 v4, 7, v4
	v_cmp_eq_u16_e32 vcc, 0, v10
	v_cndmask_b32_e32 v4, v8, v4, vcc
	v_cndmask_b32_e32 v8, v11, v12, vcc
	v_mov_b32_e32 v10, 0x3b800000
	v_lshlrev_b32_e32 v4, 20, v4
	v_lshl_add_u32 v8, v8, 23, v10
	v_or3_b32 v8, v9, v8, v4
.LBB29_1948:
	s_or_b64 exec, exec, s[6:7]
	s_movk_i32 s4, 0x7f
	v_cmp_gt_i16_sdwa s[6:7], v0, s4 src0_sel:BYTE_3 src1_sel:DWORD
	s_mov_b64 s[4:5], 0
                                        ; implicit-def: $sgpr10
	s_and_saveexec_b64 s[8:9], s[6:7]
	s_xor_b64 s[6:7], exec, s[8:9]
	s_cbranch_execnz .LBB29_3997
; %bb.1949:
	s_or_saveexec_b64 s[6:7], s[6:7]
	v_mov_b32_e32 v4, s10
	s_xor_b64 exec, exec, s[6:7]
	s_cbranch_execnz .LBB29_4000
.LBB29_1950:
	s_or_b64 exec, exec, s[6:7]
	s_and_saveexec_b64 s[6:7], s[4:5]
	s_cbranch_execz .LBB29_1952
.LBB29_1951:
	v_bfe_u32 v4, v0, 24, 3
	v_ffbh_u32_e32 v12, v4
	v_min_u32_e32 v12, 32, v12
	v_lshrrev_b32_e32 v10, 27, v0
	v_subrev_u32_e32 v13, 28, v12
	v_and_b32_e32 v9, 0x80000000, v0
	v_and_b32_e32 v10, 15, v10
	v_bfe_u32 v11, v0, 27, 4
	v_lshlrev_b32_sdwa v0, v13, v0 dst_sel:DWORD dst_unused:UNUSED_PAD src0_sel:DWORD src1_sel:BYTE_3
	v_sub_u32_e32 v12, 29, v12
	v_and_b32_e32 v0, 7, v0
	v_cmp_eq_u16_e32 vcc, 0, v10
	v_cndmask_b32_e32 v0, v4, v0, vcc
	v_cndmask_b32_e32 v4, v11, v12, vcc
	v_mov_b32_e32 v10, 0x3b800000
	v_lshlrev_b32_e32 v0, 20, v0
	v_lshl_add_u32 v4, v4, 23, v10
	v_or3_b32 v4, v9, v4, v0
.LBB29_1952:
	s_or_b64 exec, exec, s[6:7]
	s_nop 0
	v_mfma_f32_16x16x4f32 a[0:3], v8, v4, a[0:3]
	s_movk_i32 s4, 0x7f
	v_cmp_gt_i16_sdwa s[6:7], v5, s4 src0_sel:BYTE_0 src1_sel:DWORD
	s_mov_b64 s[4:5], 0
                                        ; implicit-def: $sgpr10
	s_and_saveexec_b64 s[8:9], s[6:7]
	s_xor_b64 s[6:7], exec, s[8:9]
	s_cbranch_execnz .LBB29_4001
; %bb.1953:
	s_or_saveexec_b64 s[6:7], s[6:7]
	v_mov_b32_e32 v0, s10
	s_xor_b64 exec, exec, s[6:7]
	s_cbranch_execnz .LBB29_4004
.LBB29_1954:
	s_or_b64 exec, exec, s[6:7]
	s_and_saveexec_b64 s[6:7], s[4:5]
	s_cbranch_execz .LBB29_1956
.LBB29_1955:
	v_and_b32_e32 v0, 7, v5
	v_ffbh_u32_e32 v8, v0
	v_min_u32_e32 v8, 32, v8
	v_lshrrev_b16_e32 v4, 3, v5
	v_subrev_u32_e32 v9, 28, v8
	v_and_b32_e32 v4, 15, v4
	v_lshlrev_b32_e32 v9, v9, v5
	v_sub_u32_e32 v8, 29, v8
	v_and_b32_e32 v9, 7, v9
	v_cmp_eq_u16_e32 vcc, 0, v4
	v_cndmask_b32_e32 v0, v0, v9, vcc
	v_cndmask_b32_e32 v4, v4, v8, vcc
	v_lshlrev_b32_e32 v8, 24, v5
	v_mov_b32_e32 v9, 0x3b800000
	v_lshlrev_b32_e32 v0, 20, v0
	v_and_b32_e32 v8, 0x80000000, v8
	v_lshl_add_u32 v4, v4, 23, v9
	v_or3_b32 v0, v8, v4, v0
.LBB29_1956:
	s_or_b64 exec, exec, s[6:7]
	s_movk_i32 s4, 0x7f
	v_cmp_gt_i16_sdwa s[6:7], v1, s4 src0_sel:BYTE_0 src1_sel:DWORD
	s_mov_b64 s[4:5], 0
                                        ; implicit-def: $sgpr10
	s_and_saveexec_b64 s[8:9], s[6:7]
	s_xor_b64 s[6:7], exec, s[8:9]
	s_cbranch_execnz .LBB29_4005
; %bb.1957:
	s_or_saveexec_b64 s[6:7], s[6:7]
	v_mov_b32_e32 v4, s10
	s_xor_b64 exec, exec, s[6:7]
	s_cbranch_execnz .LBB29_4008
.LBB29_1958:
	s_or_b64 exec, exec, s[6:7]
	s_and_saveexec_b64 s[6:7], s[4:5]
	s_cbranch_execz .LBB29_1960
.LBB29_1959:
	v_and_b32_e32 v4, 7, v1
	v_ffbh_u32_e32 v9, v4
	v_min_u32_e32 v9, 32, v9
	v_lshrrev_b16_e32 v8, 3, v1
	v_subrev_u32_e32 v10, 28, v9
	v_and_b32_e32 v8, 15, v8
	v_lshlrev_b32_e32 v10, v10, v1
	v_sub_u32_e32 v9, 29, v9
	v_and_b32_e32 v10, 7, v10
	v_cmp_eq_u16_e32 vcc, 0, v8
	v_cndmask_b32_e32 v4, v4, v10, vcc
	v_cndmask_b32_e32 v8, v8, v9, vcc
	v_lshlrev_b32_e32 v9, 24, v1
	v_mov_b32_e32 v10, 0x3b800000
	v_lshlrev_b32_e32 v4, 20, v4
	v_and_b32_e32 v9, 0x80000000, v9
	v_lshl_add_u32 v8, v8, 23, v10
	v_or3_b32 v4, v9, v8, v4
.LBB29_1960:
	s_or_b64 exec, exec, s[6:7]
	s_nop 0
	v_mfma_f32_16x16x4f32 a[0:3], v0, v4, a[0:3]
	v_lshrrev_b32_e32 v4, 8, v5
	s_movk_i32 s4, 0x7f
	v_cmp_gt_i16_sdwa s[6:7], v4, s4 src0_sel:BYTE_0 src1_sel:DWORD
	s_mov_b64 s[4:5], 0
                                        ; implicit-def: $sgpr10
	s_and_saveexec_b64 s[8:9], s[6:7]
	s_xor_b64 s[6:7], exec, s[8:9]
	s_cbranch_execnz .LBB29_4009
; %bb.1961:
	s_or_saveexec_b64 s[6:7], s[6:7]
	v_mov_b32_e32 v0, s10
	s_xor_b64 exec, exec, s[6:7]
	s_cbranch_execnz .LBB29_4012
.LBB29_1962:
	s_or_b64 exec, exec, s[6:7]
	s_and_saveexec_b64 s[6:7], s[4:5]
	s_cbranch_execz .LBB29_1964
.LBB29_1963:
	v_bfe_u32 v0, v5, 8, 3
	v_ffbh_u32_e32 v9, v0
	v_min_u32_e32 v9, 32, v9
	v_lshrrev_b16_e32 v8, 3, v4
	v_subrev_u32_e32 v10, 28, v9
	v_and_b32_e32 v8, 15, v8
	v_lshlrev_b32_e32 v4, v10, v4
	v_sub_u32_e32 v9, 29, v9
	v_and_b32_e32 v4, 7, v4
	v_cmp_eq_u16_e32 vcc, 0, v8
	v_cndmask_b32_e32 v0, v0, v4, vcc
	v_cndmask_b32_e32 v4, v8, v9, vcc
	v_lshlrev_b32_e32 v8, 16, v5
	v_mov_b32_e32 v9, 0x3b800000
	v_lshlrev_b32_e32 v0, 20, v0
	v_and_b32_e32 v8, 0x80000000, v8
	v_lshl_add_u32 v4, v4, 23, v9
	v_or3_b32 v0, v8, v4, v0
.LBB29_1964:
	s_or_b64 exec, exec, s[6:7]
	v_lshrrev_b32_e32 v4, 8, v1
	s_movk_i32 s4, 0x7f
	v_cmp_gt_i16_sdwa s[6:7], v4, s4 src0_sel:BYTE_0 src1_sel:DWORD
	s_mov_b64 s[4:5], 0
                                        ; implicit-def: $sgpr10
	s_and_saveexec_b64 s[8:9], s[6:7]
	s_xor_b64 s[6:7], exec, s[8:9]
	s_cbranch_execnz .LBB29_4013
; %bb.1965:
	s_or_saveexec_b64 s[6:7], s[6:7]
	v_mov_b32_e32 v8, s10
	s_xor_b64 exec, exec, s[6:7]
	s_cbranch_execnz .LBB29_4016
.LBB29_1966:
	s_or_b64 exec, exec, s[6:7]
	s_and_saveexec_b64 s[6:7], s[4:5]
	s_cbranch_execz .LBB29_1968
.LBB29_1967:
	v_bfe_u32 v8, v1, 8, 3
	v_ffbh_u32_e32 v10, v8
	v_min_u32_e32 v10, 32, v10
	v_lshrrev_b16_e32 v9, 3, v4
	v_subrev_u32_e32 v11, 28, v10
	v_and_b32_e32 v9, 15, v9
	v_lshlrev_b32_e32 v4, v11, v4
	v_sub_u32_e32 v10, 29, v10
	v_and_b32_e32 v4, 7, v4
	v_cmp_eq_u16_e32 vcc, 0, v9
	v_cndmask_b32_e32 v4, v8, v4, vcc
	v_cndmask_b32_e32 v8, v9, v10, vcc
	v_lshlrev_b32_e32 v9, 16, v1
	v_mov_b32_e32 v10, 0x3b800000
	v_lshlrev_b32_e32 v4, 20, v4
	v_and_b32_e32 v9, 0x80000000, v9
	v_lshl_add_u32 v8, v8, 23, v10
	v_or3_b32 v8, v9, v8, v4
.LBB29_1968:
	s_or_b64 exec, exec, s[6:7]
	s_nop 0
	v_mfma_f32_16x16x4f32 a[0:3], v0, v8, a[0:3]
	s_movk_i32 s4, 0xff
	v_and_b32_sdwa v4, v5, s4 dst_sel:DWORD dst_unused:UNUSED_PAD src0_sel:WORD_1 src1_sel:DWORD
	s_movk_i32 s4, 0x7f
	v_cmp_lt_i16_e32 vcc, s4, v4
	s_mov_b64 s[4:5], 0
                                        ; implicit-def: $sgpr10
	s_and_saveexec_b64 s[6:7], vcc
	s_xor_b64 s[6:7], exec, s[6:7]
	s_cbranch_execnz .LBB29_4017
; %bb.1969:
	s_or_saveexec_b64 s[6:7], s[6:7]
	v_mov_b32_e32 v0, s10
	s_xor_b64 exec, exec, s[6:7]
	s_cbranch_execnz .LBB29_4020
.LBB29_1970:
	s_or_b64 exec, exec, s[6:7]
	s_and_saveexec_b64 s[6:7], s[4:5]
	s_cbranch_execz .LBB29_1972
.LBB29_1971:
	v_bfe_u32 v0, v5, 16, 3
	v_ffbh_u32_e32 v9, v0
	v_min_u32_e32 v9, 32, v9
	v_lshrrev_b32_e32 v4, 19, v5
	v_subrev_u32_e32 v10, 28, v9
	v_and_b32_e32 v4, 15, v4
	v_lshlrev_b32_sdwa v10, v10, v5 dst_sel:DWORD dst_unused:UNUSED_PAD src0_sel:DWORD src1_sel:WORD_1
	v_bfe_u32 v8, v5, 19, 4
	v_sub_u32_e32 v9, 29, v9
	v_and_b32_e32 v10, 7, v10
	v_cmp_eq_u16_e32 vcc, 0, v4
	v_cndmask_b32_e32 v0, v0, v10, vcc
	v_cndmask_b32_e32 v4, v8, v9, vcc
	v_lshlrev_b32_e32 v8, 8, v5
	v_mov_b32_e32 v9, 0x3b800000
	v_lshlrev_b32_e32 v0, 20, v0
	v_and_b32_e32 v8, 0x80000000, v8
	v_lshl_add_u32 v4, v4, 23, v9
	v_or3_b32 v0, v8, v4, v0
.LBB29_1972:
	s_or_b64 exec, exec, s[6:7]
	s_movk_i32 s4, 0xff
	v_and_b32_sdwa v4, v1, s4 dst_sel:DWORD dst_unused:UNUSED_PAD src0_sel:WORD_1 src1_sel:DWORD
	s_movk_i32 s4, 0x7f
	v_cmp_lt_i16_e32 vcc, s4, v4
	s_mov_b64 s[4:5], 0
                                        ; implicit-def: $sgpr10
	s_and_saveexec_b64 s[6:7], vcc
	s_xor_b64 s[6:7], exec, s[6:7]
	s_cbranch_execnz .LBB29_4021
; %bb.1973:
	s_or_saveexec_b64 s[6:7], s[6:7]
	v_mov_b32_e32 v8, s10
	s_xor_b64 exec, exec, s[6:7]
	s_cbranch_execnz .LBB29_4024
.LBB29_1974:
	s_or_b64 exec, exec, s[6:7]
	s_and_saveexec_b64 s[6:7], s[4:5]
	s_cbranch_execz .LBB29_1976
.LBB29_1975:
	v_bfe_u32 v4, v1, 16, 3
	v_ffbh_u32_e32 v10, v4
	v_min_u32_e32 v10, 32, v10
	v_lshrrev_b32_e32 v8, 19, v1
	v_subrev_u32_e32 v11, 28, v10
	v_and_b32_e32 v8, 15, v8
	v_lshlrev_b32_sdwa v11, v11, v1 dst_sel:DWORD dst_unused:UNUSED_PAD src0_sel:DWORD src1_sel:WORD_1
	v_bfe_u32 v9, v1, 19, 4
	v_sub_u32_e32 v10, 29, v10
	v_and_b32_e32 v11, 7, v11
	v_cmp_eq_u16_e32 vcc, 0, v8
	v_cndmask_b32_e32 v4, v4, v11, vcc
	v_cndmask_b32_e32 v8, v9, v10, vcc
	v_lshlrev_b32_e32 v9, 8, v1
	v_mov_b32_e32 v10, 0x3b800000
	v_lshlrev_b32_e32 v4, 20, v4
	v_and_b32_e32 v9, 0x80000000, v9
	v_lshl_add_u32 v8, v8, 23, v10
	v_or3_b32 v8, v9, v8, v4
.LBB29_1976:
	s_or_b64 exec, exec, s[6:7]
	s_nop 0
	v_mfma_f32_16x16x4f32 a[0:3], v0, v8, a[0:3]
	s_movk_i32 s4, 0x7f
	v_cmp_gt_i16_sdwa s[6:7], v5, s4 src0_sel:BYTE_3 src1_sel:DWORD
	s_mov_b64 s[4:5], 0
                                        ; implicit-def: $sgpr10
	s_and_saveexec_b64 s[8:9], s[6:7]
	s_xor_b64 s[6:7], exec, s[8:9]
	s_cbranch_execnz .LBB29_4025
; %bb.1977:
	s_or_saveexec_b64 s[6:7], s[6:7]
	v_mov_b32_e32 v0, s10
	s_xor_b64 exec, exec, s[6:7]
	s_cbranch_execnz .LBB29_4028
.LBB29_1978:
	s_or_b64 exec, exec, s[6:7]
	s_and_saveexec_b64 s[6:7], s[4:5]
	s_cbranch_execz .LBB29_1980
.LBB29_1979:
	v_bfe_u32 v0, v5, 24, 3
	v_ffbh_u32_e32 v10, v0
	v_min_u32_e32 v10, 32, v10
	v_lshrrev_b32_e32 v8, 27, v5
	v_subrev_u32_e32 v11, 28, v10
	v_and_b32_e32 v4, 0x80000000, v5
	v_and_b32_e32 v8, 15, v8
	v_bfe_u32 v9, v5, 27, 4
	v_lshlrev_b32_sdwa v5, v11, v5 dst_sel:DWORD dst_unused:UNUSED_PAD src0_sel:DWORD src1_sel:BYTE_3
	v_sub_u32_e32 v10, 29, v10
	v_and_b32_e32 v5, 7, v5
	v_cmp_eq_u16_e32 vcc, 0, v8
	v_cndmask_b32_e32 v0, v0, v5, vcc
	v_cndmask_b32_e32 v5, v9, v10, vcc
	v_mov_b32_e32 v8, 0x3b800000
	v_lshlrev_b32_e32 v0, 20, v0
	v_lshl_add_u32 v5, v5, 23, v8
	v_or3_b32 v0, v4, v5, v0
.LBB29_1980:
	s_or_b64 exec, exec, s[6:7]
	s_movk_i32 s4, 0x7f
	v_cmp_gt_i16_sdwa s[6:7], v1, s4 src0_sel:BYTE_3 src1_sel:DWORD
	s_mov_b64 s[4:5], 0
                                        ; implicit-def: $sgpr10
	s_and_saveexec_b64 s[8:9], s[6:7]
	s_xor_b64 s[6:7], exec, s[8:9]
	s_cbranch_execnz .LBB29_4029
; %bb.1981:
	s_or_saveexec_b64 s[6:7], s[6:7]
	v_mov_b32_e32 v4, s10
	s_xor_b64 exec, exec, s[6:7]
	s_cbranch_execnz .LBB29_4032
.LBB29_1982:
	s_or_b64 exec, exec, s[6:7]
	s_and_saveexec_b64 s[6:7], s[4:5]
	s_cbranch_execz .LBB29_1984
.LBB29_1983:
	v_bfe_u32 v4, v1, 24, 3
	v_ffbh_u32_e32 v10, v4
	v_min_u32_e32 v10, 32, v10
	v_lshrrev_b32_e32 v8, 27, v1
	v_subrev_u32_e32 v11, 28, v10
	v_and_b32_e32 v5, 0x80000000, v1
	v_and_b32_e32 v8, 15, v8
	v_bfe_u32 v9, v1, 27, 4
	v_lshlrev_b32_sdwa v1, v11, v1 dst_sel:DWORD dst_unused:UNUSED_PAD src0_sel:DWORD src1_sel:BYTE_3
	v_sub_u32_e32 v10, 29, v10
	v_and_b32_e32 v1, 7, v1
	v_cmp_eq_u16_e32 vcc, 0, v8
	v_cndmask_b32_e32 v1, v4, v1, vcc
	v_cndmask_b32_e32 v4, v9, v10, vcc
	v_mov_b32_e32 v8, 0x3b800000
	v_lshlrev_b32_e32 v1, 20, v1
	v_lshl_add_u32 v4, v4, 23, v8
	v_or3_b32 v4, v5, v4, v1
.LBB29_1984:
	s_or_b64 exec, exec, s[6:7]
	s_nop 0
	v_mfma_f32_16x16x4f32 a[0:3], v0, v4, a[0:3]
	s_movk_i32 s4, 0x7f
	v_cmp_gt_i16_sdwa s[6:7], v6, s4 src0_sel:BYTE_0 src1_sel:DWORD
	s_mov_b64 s[4:5], 0
                                        ; implicit-def: $sgpr10
	s_and_saveexec_b64 s[8:9], s[6:7]
	s_xor_b64 s[6:7], exec, s[8:9]
	s_cbranch_execnz .LBB29_4033
; %bb.1985:
	s_or_saveexec_b64 s[6:7], s[6:7]
	v_mov_b32_e32 v0, s10
	s_xor_b64 exec, exec, s[6:7]
	s_cbranch_execnz .LBB29_4036
.LBB29_1986:
	s_or_b64 exec, exec, s[6:7]
	s_and_saveexec_b64 s[6:7], s[4:5]
	s_cbranch_execz .LBB29_1988
.LBB29_1987:
	v_and_b32_e32 v0, 7, v6
	v_ffbh_u32_e32 v4, v0
	v_min_u32_e32 v4, 32, v4
	v_lshrrev_b16_e32 v1, 3, v6
	v_subrev_u32_e32 v5, 28, v4
	v_and_b32_e32 v1, 15, v1
	v_lshlrev_b32_e32 v5, v5, v6
	v_sub_u32_e32 v4, 29, v4
	v_and_b32_e32 v5, 7, v5
	v_cmp_eq_u16_e32 vcc, 0, v1
	v_cndmask_b32_e32 v0, v0, v5, vcc
	v_cndmask_b32_e32 v1, v1, v4, vcc
	v_lshlrev_b32_e32 v4, 24, v6
	v_mov_b32_e32 v5, 0x3b800000
	v_lshlrev_b32_e32 v0, 20, v0
	v_and_b32_e32 v4, 0x80000000, v4
	v_lshl_add_u32 v1, v1, 23, v5
	v_or3_b32 v0, v4, v1, v0
.LBB29_1988:
	s_or_b64 exec, exec, s[6:7]
	s_movk_i32 s4, 0x7f
	v_cmp_gt_i16_sdwa s[6:7], v2, s4 src0_sel:BYTE_0 src1_sel:DWORD
	s_mov_b64 s[4:5], 0
                                        ; implicit-def: $sgpr10
	s_and_saveexec_b64 s[8:9], s[6:7]
	s_xor_b64 s[6:7], exec, s[8:9]
	s_cbranch_execnz .LBB29_4037
; %bb.1989:
	s_or_saveexec_b64 s[6:7], s[6:7]
	v_mov_b32_e32 v1, s10
	s_xor_b64 exec, exec, s[6:7]
	s_cbranch_execnz .LBB29_4040
.LBB29_1990:
	s_or_b64 exec, exec, s[6:7]
	s_and_saveexec_b64 s[6:7], s[4:5]
	s_cbranch_execz .LBB29_1992
.LBB29_1991:
	v_and_b32_e32 v1, 7, v2
	v_ffbh_u32_e32 v5, v1
	v_min_u32_e32 v5, 32, v5
	v_lshrrev_b16_e32 v4, 3, v2
	v_subrev_u32_e32 v8, 28, v5
	v_and_b32_e32 v4, 15, v4
	v_lshlrev_b32_e32 v8, v8, v2
	v_sub_u32_e32 v5, 29, v5
	v_and_b32_e32 v8, 7, v8
	v_cmp_eq_u16_e32 vcc, 0, v4
	v_cndmask_b32_e32 v1, v1, v8, vcc
	v_cndmask_b32_e32 v4, v4, v5, vcc
	v_lshlrev_b32_e32 v5, 24, v2
	v_mov_b32_e32 v8, 0x3b800000
	v_lshlrev_b32_e32 v1, 20, v1
	v_and_b32_e32 v5, 0x80000000, v5
	v_lshl_add_u32 v4, v4, 23, v8
	v_or3_b32 v1, v5, v4, v1
.LBB29_1992:
	s_or_b64 exec, exec, s[6:7]
	s_nop 0
	v_mfma_f32_16x16x4f32 a[0:3], v0, v1, a[0:3]
	v_lshrrev_b32_e32 v1, 8, v6
	s_movk_i32 s4, 0x7f
	v_cmp_gt_i16_sdwa s[6:7], v1, s4 src0_sel:BYTE_0 src1_sel:DWORD
	s_mov_b64 s[4:5], 0
                                        ; implicit-def: $sgpr10
	s_and_saveexec_b64 s[8:9], s[6:7]
	s_xor_b64 s[6:7], exec, s[8:9]
	s_cbranch_execnz .LBB29_4041
; %bb.1993:
	s_or_saveexec_b64 s[6:7], s[6:7]
	v_mov_b32_e32 v0, s10
	s_xor_b64 exec, exec, s[6:7]
	s_cbranch_execnz .LBB29_4044
.LBB29_1994:
	s_or_b64 exec, exec, s[6:7]
	s_and_saveexec_b64 s[6:7], s[4:5]
	s_cbranch_execz .LBB29_1996
.LBB29_1995:
	v_bfe_u32 v0, v6, 8, 3
	v_ffbh_u32_e32 v5, v0
	v_min_u32_e32 v5, 32, v5
	v_lshrrev_b16_e32 v4, 3, v1
	v_subrev_u32_e32 v8, 28, v5
	v_and_b32_e32 v4, 15, v4
	v_lshlrev_b32_e32 v1, v8, v1
	v_sub_u32_e32 v5, 29, v5
	v_and_b32_e32 v1, 7, v1
	v_cmp_eq_u16_e32 vcc, 0, v4
	v_cndmask_b32_e32 v0, v0, v1, vcc
	v_cndmask_b32_e32 v1, v4, v5, vcc
	v_lshlrev_b32_e32 v4, 16, v6
	v_mov_b32_e32 v5, 0x3b800000
	v_lshlrev_b32_e32 v0, 20, v0
	v_and_b32_e32 v4, 0x80000000, v4
	v_lshl_add_u32 v1, v1, 23, v5
	v_or3_b32 v0, v4, v1, v0
.LBB29_1996:
	s_or_b64 exec, exec, s[6:7]
	v_lshrrev_b32_e32 v1, 8, v2
	s_movk_i32 s4, 0x7f
	v_cmp_gt_i16_sdwa s[6:7], v1, s4 src0_sel:BYTE_0 src1_sel:DWORD
	s_mov_b64 s[4:5], 0
                                        ; implicit-def: $sgpr10
	s_and_saveexec_b64 s[8:9], s[6:7]
	s_xor_b64 s[6:7], exec, s[8:9]
	s_cbranch_execnz .LBB29_4045
; %bb.1997:
	s_or_saveexec_b64 s[6:7], s[6:7]
	v_mov_b32_e32 v4, s10
	s_xor_b64 exec, exec, s[6:7]
	s_cbranch_execnz .LBB29_4048
.LBB29_1998:
	s_or_b64 exec, exec, s[6:7]
	s_and_saveexec_b64 s[6:7], s[4:5]
	s_cbranch_execz .LBB29_2000
.LBB29_1999:
	v_bfe_u32 v4, v2, 8, 3
	v_ffbh_u32_e32 v8, v4
	v_min_u32_e32 v8, 32, v8
	v_lshrrev_b16_e32 v5, 3, v1
	v_subrev_u32_e32 v9, 28, v8
	v_and_b32_e32 v5, 15, v5
	v_lshlrev_b32_e32 v1, v9, v1
	v_sub_u32_e32 v8, 29, v8
	v_and_b32_e32 v1, 7, v1
	v_cmp_eq_u16_e32 vcc, 0, v5
	v_cndmask_b32_e32 v1, v4, v1, vcc
	v_cndmask_b32_e32 v4, v5, v8, vcc
	v_lshlrev_b32_e32 v5, 16, v2
	v_mov_b32_e32 v8, 0x3b800000
	v_lshlrev_b32_e32 v1, 20, v1
	v_and_b32_e32 v5, 0x80000000, v5
	v_lshl_add_u32 v4, v4, 23, v8
	v_or3_b32 v4, v5, v4, v1
.LBB29_2000:
	s_or_b64 exec, exec, s[6:7]
	s_nop 0
	v_mfma_f32_16x16x4f32 a[0:3], v0, v4, a[0:3]
	s_movk_i32 s4, 0xff
	v_and_b32_sdwa v1, v6, s4 dst_sel:DWORD dst_unused:UNUSED_PAD src0_sel:WORD_1 src1_sel:DWORD
	s_movk_i32 s4, 0x7f
	v_cmp_lt_i16_e32 vcc, s4, v1
	s_mov_b64 s[4:5], 0
                                        ; implicit-def: $sgpr10
	s_and_saveexec_b64 s[6:7], vcc
	s_xor_b64 s[6:7], exec, s[6:7]
	s_cbranch_execnz .LBB29_4049
; %bb.2001:
	s_or_saveexec_b64 s[6:7], s[6:7]
	v_mov_b32_e32 v0, s10
	s_xor_b64 exec, exec, s[6:7]
	s_cbranch_execnz .LBB29_4052
.LBB29_2002:
	s_or_b64 exec, exec, s[6:7]
	s_and_saveexec_b64 s[6:7], s[4:5]
	s_cbranch_execz .LBB29_2004
.LBB29_2003:
	v_bfe_u32 v0, v6, 16, 3
	v_ffbh_u32_e32 v5, v0
	v_min_u32_e32 v5, 32, v5
	v_lshrrev_b32_e32 v1, 19, v6
	v_subrev_u32_e32 v8, 28, v5
	v_and_b32_e32 v1, 15, v1
	v_lshlrev_b32_sdwa v8, v8, v6 dst_sel:DWORD dst_unused:UNUSED_PAD src0_sel:DWORD src1_sel:WORD_1
	v_bfe_u32 v4, v6, 19, 4
	v_sub_u32_e32 v5, 29, v5
	v_and_b32_e32 v8, 7, v8
	v_cmp_eq_u16_e32 vcc, 0, v1
	v_cndmask_b32_e32 v0, v0, v8, vcc
	v_cndmask_b32_e32 v1, v4, v5, vcc
	v_lshlrev_b32_e32 v4, 8, v6
	v_mov_b32_e32 v5, 0x3b800000
	v_lshlrev_b32_e32 v0, 20, v0
	v_and_b32_e32 v4, 0x80000000, v4
	v_lshl_add_u32 v1, v1, 23, v5
	v_or3_b32 v0, v4, v1, v0
.LBB29_2004:
	s_or_b64 exec, exec, s[6:7]
	s_movk_i32 s4, 0xff
	v_and_b32_sdwa v1, v2, s4 dst_sel:DWORD dst_unused:UNUSED_PAD src0_sel:WORD_1 src1_sel:DWORD
	s_movk_i32 s4, 0x7f
	v_cmp_lt_i16_e32 vcc, s4, v1
	s_mov_b64 s[4:5], 0
                                        ; implicit-def: $sgpr10
	s_and_saveexec_b64 s[6:7], vcc
	s_xor_b64 s[6:7], exec, s[6:7]
	s_cbranch_execnz .LBB29_4053
; %bb.2005:
	s_or_saveexec_b64 s[6:7], s[6:7]
	v_mov_b32_e32 v4, s10
	s_xor_b64 exec, exec, s[6:7]
	s_cbranch_execnz .LBB29_4056
.LBB29_2006:
	s_or_b64 exec, exec, s[6:7]
	s_and_saveexec_b64 s[6:7], s[4:5]
	s_cbranch_execz .LBB29_2008
.LBB29_2007:
	v_bfe_u32 v1, v2, 16, 3
	v_ffbh_u32_e32 v8, v1
	v_min_u32_e32 v8, 32, v8
	v_lshrrev_b32_e32 v4, 19, v2
	v_subrev_u32_e32 v9, 28, v8
	v_and_b32_e32 v4, 15, v4
	v_lshlrev_b32_sdwa v9, v9, v2 dst_sel:DWORD dst_unused:UNUSED_PAD src0_sel:DWORD src1_sel:WORD_1
	v_bfe_u32 v5, v2, 19, 4
	v_sub_u32_e32 v8, 29, v8
	v_and_b32_e32 v9, 7, v9
	v_cmp_eq_u16_e32 vcc, 0, v4
	v_cndmask_b32_e32 v1, v1, v9, vcc
	v_cndmask_b32_e32 v4, v5, v8, vcc
	v_lshlrev_b32_e32 v5, 8, v2
	v_mov_b32_e32 v8, 0x3b800000
	v_lshlrev_b32_e32 v1, 20, v1
	v_and_b32_e32 v5, 0x80000000, v5
	v_lshl_add_u32 v4, v4, 23, v8
	v_or3_b32 v4, v5, v4, v1
.LBB29_2008:
	s_or_b64 exec, exec, s[6:7]
	s_nop 0
	v_mfma_f32_16x16x4f32 a[0:3], v0, v4, a[0:3]
	s_movk_i32 s4, 0x7f
	v_cmp_gt_i16_sdwa s[6:7], v6, s4 src0_sel:BYTE_3 src1_sel:DWORD
	s_mov_b64 s[4:5], 0
                                        ; implicit-def: $sgpr10
	s_and_saveexec_b64 s[8:9], s[6:7]
	s_xor_b64 s[6:7], exec, s[8:9]
	s_cbranch_execnz .LBB29_4057
; %bb.2009:
	s_or_saveexec_b64 s[6:7], s[6:7]
	v_mov_b32_e32 v0, s10
	s_xor_b64 exec, exec, s[6:7]
	s_cbranch_execnz .LBB29_4060
.LBB29_2010:
	s_or_b64 exec, exec, s[6:7]
	s_and_saveexec_b64 s[6:7], s[4:5]
	s_cbranch_execz .LBB29_2012
.LBB29_2011:
	v_bfe_u32 v0, v6, 24, 3
	v_ffbh_u32_e32 v8, v0
	v_min_u32_e32 v8, 32, v8
	v_lshrrev_b32_e32 v4, 27, v6
	v_subrev_u32_e32 v9, 28, v8
	v_and_b32_e32 v1, 0x80000000, v6
	v_and_b32_e32 v4, 15, v4
	v_bfe_u32 v5, v6, 27, 4
	v_lshlrev_b32_sdwa v6, v9, v6 dst_sel:DWORD dst_unused:UNUSED_PAD src0_sel:DWORD src1_sel:BYTE_3
	v_sub_u32_e32 v8, 29, v8
	v_and_b32_e32 v6, 7, v6
	v_cmp_eq_u16_e32 vcc, 0, v4
	v_cndmask_b32_e32 v0, v0, v6, vcc
	v_cndmask_b32_e32 v4, v5, v8, vcc
	v_mov_b32_e32 v5, 0x3b800000
	v_lshlrev_b32_e32 v0, 20, v0
	v_lshl_add_u32 v4, v4, 23, v5
	v_or3_b32 v0, v1, v4, v0
.LBB29_2012:
	s_or_b64 exec, exec, s[6:7]
	s_movk_i32 s4, 0x7f
	v_cmp_gt_i16_sdwa s[6:7], v2, s4 src0_sel:BYTE_3 src1_sel:DWORD
	s_mov_b64 s[4:5], 0
                                        ; implicit-def: $sgpr10
	s_and_saveexec_b64 s[8:9], s[6:7]
	s_xor_b64 s[6:7], exec, s[8:9]
	s_cbranch_execnz .LBB29_4061
; %bb.2013:
	s_or_saveexec_b64 s[6:7], s[6:7]
	v_mov_b32_e32 v1, s10
	s_xor_b64 exec, exec, s[6:7]
	s_cbranch_execnz .LBB29_4064
.LBB29_2014:
	s_or_b64 exec, exec, s[6:7]
	s_and_saveexec_b64 s[6:7], s[4:5]
	s_cbranch_execz .LBB29_2016
.LBB29_2015:
	v_bfe_u32 v1, v2, 24, 3
	v_ffbh_u32_e32 v8, v1
	v_min_u32_e32 v8, 32, v8
	v_lshrrev_b32_e32 v5, 27, v2
	v_subrev_u32_e32 v9, 28, v8
	v_and_b32_e32 v4, 0x80000000, v2
	v_and_b32_e32 v5, 15, v5
	v_bfe_u32 v6, v2, 27, 4
	v_lshlrev_b32_sdwa v2, v9, v2 dst_sel:DWORD dst_unused:UNUSED_PAD src0_sel:DWORD src1_sel:BYTE_3
	v_sub_u32_e32 v8, 29, v8
	v_and_b32_e32 v2, 7, v2
	v_cmp_eq_u16_e32 vcc, 0, v5
	v_cndmask_b32_e32 v1, v1, v2, vcc
	v_cndmask_b32_e32 v2, v6, v8, vcc
	v_mov_b32_e32 v5, 0x3b800000
	v_lshlrev_b32_e32 v1, 20, v1
	v_lshl_add_u32 v2, v2, 23, v5
	v_or3_b32 v1, v4, v2, v1
.LBB29_2016:
	s_or_b64 exec, exec, s[6:7]
	s_nop 0
	v_mfma_f32_16x16x4f32 a[0:3], v0, v1, a[0:3]
	s_movk_i32 s4, 0x7f
	v_cmp_gt_i16_sdwa s[6:7], v7, s4 src0_sel:BYTE_0 src1_sel:DWORD
	s_mov_b64 s[4:5], 0
                                        ; implicit-def: $sgpr10
	s_and_saveexec_b64 s[8:9], s[6:7]
	s_xor_b64 s[6:7], exec, s[8:9]
	s_cbranch_execnz .LBB29_4065
; %bb.2017:
	s_or_saveexec_b64 s[6:7], s[6:7]
	v_mov_b32_e32 v0, s10
	s_xor_b64 exec, exec, s[6:7]
	s_cbranch_execnz .LBB29_4068
.LBB29_2018:
	s_or_b64 exec, exec, s[6:7]
	s_and_saveexec_b64 s[6:7], s[4:5]
	s_cbranch_execz .LBB29_2020
.LBB29_2019:
	v_mov_b32_e32 v0, 8
	v_and_b32_e32 v1, 7, v7
	v_lshrrev_b32_sdwa v0, v0, v7 dst_sel:BYTE_1 dst_unused:UNUSED_PAD src0_sel:DWORD src1_sel:DWORD
	v_ffbh_u32_e32 v2, v1
	v_or_b32_sdwa v0, v7, v0 dst_sel:DWORD dst_unused:UNUSED_PAD src0_sel:BYTE_0 src1_sel:DWORD
	v_min_u32_e32 v2, 32, v2
	v_lshrrev_b16_e32 v0, 3, v0
	v_subrev_u32_e32 v4, 28, v2
	v_and_b32_e32 v0, 15, v0
	v_lshlrev_b32_e32 v4, v4, v7
	v_sub_u32_e32 v2, 29, v2
	v_and_b32_e32 v4, 7, v4
	v_cmp_eq_u16_e32 vcc, 0, v0
	v_cndmask_b32_e32 v1, v1, v4, vcc
	v_cndmask_b32_e32 v0, v0, v2, vcc
	v_lshlrev_b32_e32 v2, 24, v7
	v_mov_b32_e32 v4, 0x3b800000
	v_lshlrev_b32_e32 v1, 20, v1
	v_and_b32_e32 v2, 0x80000000, v2
	v_lshl_add_u32 v0, v0, 23, v4
	v_or3_b32 v0, v2, v0, v1
.LBB29_2020:
	s_or_b64 exec, exec, s[6:7]
	s_movk_i32 s4, 0x7f
	v_cmp_gt_i16_sdwa s[6:7], v3, s4 src0_sel:BYTE_0 src1_sel:DWORD
	s_mov_b64 s[4:5], 0
                                        ; implicit-def: $sgpr10
	s_and_saveexec_b64 s[8:9], s[6:7]
	s_xor_b64 s[6:7], exec, s[8:9]
	s_cbranch_execnz .LBB29_4069
; %bb.2021:
	s_or_saveexec_b64 s[6:7], s[6:7]
	v_mov_b32_e32 v1, s10
	s_xor_b64 exec, exec, s[6:7]
	s_cbranch_execnz .LBB29_4072
.LBB29_2022:
	s_or_b64 exec, exec, s[6:7]
	s_and_saveexec_b64 s[6:7], s[4:5]
	s_cbranch_execz .LBB29_2024
.LBB29_2023:
	v_mov_b32_e32 v1, 8
	v_and_b32_e32 v2, 7, v3
	v_lshrrev_b32_sdwa v1, v1, v3 dst_sel:BYTE_1 dst_unused:UNUSED_PAD src0_sel:DWORD src1_sel:DWORD
	v_ffbh_u32_e32 v4, v2
	v_or_b32_sdwa v1, v3, v1 dst_sel:DWORD dst_unused:UNUSED_PAD src0_sel:BYTE_0 src1_sel:DWORD
	v_min_u32_e32 v4, 32, v4
	v_lshrrev_b16_e32 v1, 3, v1
	v_subrev_u32_e32 v5, 28, v4
	v_and_b32_e32 v1, 15, v1
	v_lshlrev_b32_e32 v5, v5, v3
	v_sub_u32_e32 v4, 29, v4
	v_and_b32_e32 v5, 7, v5
	v_cmp_eq_u16_e32 vcc, 0, v1
	v_cndmask_b32_e32 v2, v2, v5, vcc
	v_cndmask_b32_e32 v1, v1, v4, vcc
	v_lshlrev_b32_e32 v4, 24, v3
	v_mov_b32_e32 v5, 0x3b800000
	v_lshlrev_b32_e32 v2, 20, v2
	v_and_b32_e32 v4, 0x80000000, v4
	v_lshl_add_u32 v1, v1, 23, v5
	v_or3_b32 v1, v4, v1, v2
.LBB29_2024:
	s_or_b64 exec, exec, s[6:7]
	s_nop 0
	v_mfma_f32_16x16x4f32 a[0:3], v0, v1, a[0:3]
	v_lshrrev_b32_e32 v1, 8, v7
	s_movk_i32 s4, 0x7f
	v_cmp_gt_i16_sdwa s[6:7], v1, s4 src0_sel:BYTE_0 src1_sel:DWORD
	s_mov_b64 s[4:5], 0
                                        ; implicit-def: $sgpr10
	s_and_saveexec_b64 s[8:9], s[6:7]
	s_xor_b64 s[6:7], exec, s[8:9]
	s_cbranch_execnz .LBB29_4073
; %bb.2025:
	s_or_saveexec_b64 s[6:7], s[6:7]
	v_mov_b32_e32 v0, s10
	s_xor_b64 exec, exec, s[6:7]
	s_cbranch_execnz .LBB29_4076
.LBB29_2026:
	s_or_b64 exec, exec, s[6:7]
	s_and_saveexec_b64 s[6:7], s[4:5]
	s_cbranch_execz .LBB29_2028
.LBB29_2027:
	v_bfe_u32 v0, v7, 8, 3
	v_ffbh_u32_e32 v4, v0
	v_min_u32_e32 v4, 32, v4
	v_lshrrev_b16_e32 v2, 3, v1
	v_subrev_u32_e32 v5, 28, v4
	v_and_b32_e32 v2, 15, v2
	v_lshlrev_b32_e32 v1, v5, v1
	v_sub_u32_e32 v4, 29, v4
	v_and_b32_e32 v1, 7, v1
	v_cmp_eq_u16_e32 vcc, 0, v2
	v_cndmask_b32_e32 v0, v0, v1, vcc
	v_cndmask_b32_e32 v1, v2, v4, vcc
	v_lshlrev_b32_e32 v2, 16, v7
	v_mov_b32_e32 v4, 0x3b800000
	v_lshlrev_b32_e32 v0, 20, v0
	v_and_b32_e32 v2, 0x80000000, v2
	v_lshl_add_u32 v1, v1, 23, v4
	v_or3_b32 v0, v2, v1, v0
.LBB29_2028:
	s_or_b64 exec, exec, s[6:7]
	v_lshrrev_b32_e32 v1, 8, v3
	s_movk_i32 s4, 0x7f
	v_cmp_gt_i16_sdwa s[6:7], v1, s4 src0_sel:BYTE_0 src1_sel:DWORD
	s_mov_b64 s[4:5], 0
                                        ; implicit-def: $sgpr10
	s_and_saveexec_b64 s[8:9], s[6:7]
	s_xor_b64 s[6:7], exec, s[8:9]
	s_cbranch_execnz .LBB29_4077
; %bb.2029:
	s_or_saveexec_b64 s[6:7], s[6:7]
	v_mov_b32_e32 v2, s10
	s_xor_b64 exec, exec, s[6:7]
	s_cbranch_execnz .LBB29_4080
.LBB29_2030:
	s_or_b64 exec, exec, s[6:7]
	s_and_saveexec_b64 s[6:7], s[4:5]
	s_cbranch_execz .LBB29_2032
.LBB29_2031:
	v_bfe_u32 v2, v3, 8, 3
	v_ffbh_u32_e32 v5, v2
	v_min_u32_e32 v5, 32, v5
	v_lshrrev_b16_e32 v4, 3, v1
	v_subrev_u32_e32 v6, 28, v5
	v_and_b32_e32 v4, 15, v4
	v_lshlrev_b32_e32 v1, v6, v1
	v_sub_u32_e32 v5, 29, v5
	v_and_b32_e32 v1, 7, v1
	v_cmp_eq_u16_e32 vcc, 0, v4
	v_cndmask_b32_e32 v1, v2, v1, vcc
	v_cndmask_b32_e32 v2, v4, v5, vcc
	v_lshlrev_b32_e32 v4, 16, v3
	v_mov_b32_e32 v5, 0x3b800000
	v_lshlrev_b32_e32 v1, 20, v1
	v_and_b32_e32 v4, 0x80000000, v4
	v_lshl_add_u32 v2, v2, 23, v5
	v_or3_b32 v2, v4, v2, v1
.LBB29_2032:
	s_or_b64 exec, exec, s[6:7]
	s_nop 0
	v_mfma_f32_16x16x4f32 a[0:3], v0, v2, a[0:3]
	s_movk_i32 s4, 0xff
	v_and_b32_sdwa v1, v7, s4 dst_sel:DWORD dst_unused:UNUSED_PAD src0_sel:WORD_1 src1_sel:DWORD
	s_movk_i32 s4, 0x7f
	v_cmp_lt_i16_e32 vcc, s4, v1
	s_mov_b64 s[4:5], 0
                                        ; implicit-def: $sgpr10
	s_and_saveexec_b64 s[6:7], vcc
	s_xor_b64 s[6:7], exec, s[6:7]
	s_cbranch_execnz .LBB29_4081
; %bb.2033:
	s_or_saveexec_b64 s[6:7], s[6:7]
	v_mov_b32_e32 v0, s10
	s_xor_b64 exec, exec, s[6:7]
	s_cbranch_execnz .LBB29_4084
.LBB29_2034:
	s_or_b64 exec, exec, s[6:7]
	s_and_saveexec_b64 s[6:7], s[4:5]
	s_cbranch_execz .LBB29_2036
.LBB29_2035:
	v_bfe_u32 v0, v7, 16, 3
	v_ffbh_u32_e32 v4, v0
	v_min_u32_e32 v4, 32, v4
	v_lshrrev_b32_e32 v1, 19, v7
	v_subrev_u32_e32 v5, 28, v4
	v_and_b32_e32 v1, 15, v1
	v_lshlrev_b32_sdwa v5, v5, v7 dst_sel:DWORD dst_unused:UNUSED_PAD src0_sel:DWORD src1_sel:WORD_1
	v_bfe_u32 v2, v7, 19, 4
	v_sub_u32_e32 v4, 29, v4
	v_and_b32_e32 v5, 7, v5
	v_cmp_eq_u16_e32 vcc, 0, v1
	v_cndmask_b32_e32 v0, v0, v5, vcc
	v_cndmask_b32_e32 v1, v2, v4, vcc
	v_lshlrev_b32_e32 v2, 8, v7
	v_mov_b32_e32 v4, 0x3b800000
	v_lshlrev_b32_e32 v0, 20, v0
	v_and_b32_e32 v2, 0x80000000, v2
	v_lshl_add_u32 v1, v1, 23, v4
	v_or3_b32 v0, v2, v1, v0
.LBB29_2036:
	s_or_b64 exec, exec, s[6:7]
	s_movk_i32 s4, 0xff
	v_and_b32_sdwa v1, v3, s4 dst_sel:DWORD dst_unused:UNUSED_PAD src0_sel:WORD_1 src1_sel:DWORD
	s_movk_i32 s4, 0x7f
	v_cmp_lt_i16_e32 vcc, s4, v1
	s_mov_b64 s[4:5], 0
                                        ; implicit-def: $sgpr10
	s_and_saveexec_b64 s[6:7], vcc
	s_xor_b64 s[6:7], exec, s[6:7]
	s_cbranch_execnz .LBB29_4085
; %bb.2037:
	s_or_saveexec_b64 s[6:7], s[6:7]
	v_mov_b32_e32 v2, s10
	s_xor_b64 exec, exec, s[6:7]
	s_cbranch_execnz .LBB29_4088
.LBB29_2038:
	s_or_b64 exec, exec, s[6:7]
	s_and_saveexec_b64 s[6:7], s[4:5]
	s_cbranch_execz .LBB29_2040
.LBB29_2039:
	v_bfe_u32 v1, v3, 16, 3
	v_ffbh_u32_e32 v5, v1
	v_min_u32_e32 v5, 32, v5
	v_lshrrev_b32_e32 v2, 19, v3
	v_subrev_u32_e32 v6, 28, v5
	v_and_b32_e32 v2, 15, v2
	v_lshlrev_b32_sdwa v6, v6, v3 dst_sel:DWORD dst_unused:UNUSED_PAD src0_sel:DWORD src1_sel:WORD_1
	v_bfe_u32 v4, v3, 19, 4
	v_sub_u32_e32 v5, 29, v5
	v_and_b32_e32 v6, 7, v6
	v_cmp_eq_u16_e32 vcc, 0, v2
	v_cndmask_b32_e32 v1, v1, v6, vcc
	v_cndmask_b32_e32 v2, v4, v5, vcc
	v_lshlrev_b32_e32 v4, 8, v3
	v_mov_b32_e32 v5, 0x3b800000
	v_lshlrev_b32_e32 v1, 20, v1
	v_and_b32_e32 v4, 0x80000000, v4
	v_lshl_add_u32 v2, v2, 23, v5
	v_or3_b32 v2, v4, v2, v1
.LBB29_2040:
	s_or_b64 exec, exec, s[6:7]
	s_nop 0
	v_mfma_f32_16x16x4f32 a[0:3], v0, v2, a[0:3]
	s_movk_i32 s4, 0x7f
	v_cmp_gt_i16_sdwa s[6:7], v7, s4 src0_sel:BYTE_3 src1_sel:DWORD
	s_mov_b64 s[4:5], 0
                                        ; implicit-def: $sgpr10
	s_and_saveexec_b64 s[8:9], s[6:7]
	s_xor_b64 s[6:7], exec, s[8:9]
	s_cbranch_execnz .LBB29_4089
; %bb.2041:
	s_or_saveexec_b64 s[6:7], s[6:7]
	v_mov_b32_e32 v0, s10
	s_xor_b64 exec, exec, s[6:7]
	s_cbranch_execnz .LBB29_4092
.LBB29_2042:
	s_or_b64 exec, exec, s[6:7]
	s_and_saveexec_b64 s[6:7], s[4:5]
	s_cbranch_execz .LBB29_2044
.LBB29_2043:
	v_bfe_u32 v0, v7, 24, 3
	v_ffbh_u32_e32 v5, v0
	v_min_u32_e32 v5, 32, v5
	v_lshrrev_b32_e32 v2, 27, v7
	v_subrev_u32_e32 v6, 28, v5
	v_and_b32_e32 v2, 15, v2
	v_lshlrev_b32_sdwa v6, v6, v7 dst_sel:DWORD dst_unused:UNUSED_PAD src0_sel:DWORD src1_sel:BYTE_3
	v_bfe_u32 v4, v7, 27, 4
	v_sub_u32_e32 v5, 29, v5
	v_and_b32_e32 v6, 7, v6
	v_cmp_eq_u16_e32 vcc, 0, v2
	v_cndmask_b32_e32 v0, v0, v6, vcc
	v_cndmask_b32_e32 v2, v4, v5, vcc
	v_mov_b32_e32 v4, 0x3b800000
	v_and_b32_e32 v1, 0x80000000, v7
	v_lshlrev_b32_e32 v0, 20, v0
	v_lshl_add_u32 v2, v2, 23, v4
	v_or3_b32 v0, v1, v2, v0
.LBB29_2044:
	s_or_b64 exec, exec, s[6:7]
	s_movk_i32 s4, 0x7f
	v_cmp_gt_i16_sdwa s[6:7], v3, s4 src0_sel:BYTE_3 src1_sel:DWORD
	s_mov_b64 s[4:5], 0
                                        ; implicit-def: $sgpr10
	s_and_saveexec_b64 s[8:9], s[6:7]
	s_xor_b64 s[6:7], exec, s[8:9]
	s_cbranch_execnz .LBB29_4093
; %bb.2045:
	s_or_saveexec_b64 s[6:7], s[6:7]
	v_mov_b32_e32 v1, s10
	s_xor_b64 exec, exec, s[6:7]
	s_cbranch_execnz .LBB29_4096
.LBB29_2046:
	s_or_b64 exec, exec, s[6:7]
	s_and_saveexec_b64 s[6:7], s[4:5]
	s_cbranch_execz .LBB29_2048
.LBB29_2047:
	v_bfe_u32 v1, v3, 24, 3
	v_ffbh_u32_e32 v6, v1
	v_min_u32_e32 v6, 32, v6
	v_lshrrev_b32_e32 v4, 27, v3
	v_subrev_u32_e32 v7, 28, v6
	v_and_b32_e32 v2, 0x80000000, v3
	v_and_b32_e32 v4, 15, v4
	v_bfe_u32 v5, v3, 27, 4
	v_lshlrev_b32_sdwa v3, v7, v3 dst_sel:DWORD dst_unused:UNUSED_PAD src0_sel:DWORD src1_sel:BYTE_3
	v_sub_u32_e32 v6, 29, v6
	v_and_b32_e32 v3, 7, v3
	v_cmp_eq_u16_e32 vcc, 0, v4
	v_cndmask_b32_e32 v1, v1, v3, vcc
	v_cndmask_b32_e32 v3, v5, v6, vcc
	v_mov_b32_e32 v4, 0x3b800000
	v_lshlrev_b32_e32 v1, 20, v1
	v_lshl_add_u32 v3, v3, 23, v4
	v_or3_b32 v1, v2, v3, v1
.LBB29_2048:
	s_or_b64 exec, exec, s[6:7]
	s_nop 0
	v_mfma_f32_16x16x4f32 a[0:3], v0, v1, a[0:3]
	s_nop 7
	s_nop 2
	flat_store_dwordx4 v[16:17], a[0:3] offset:240
	s_waitcnt vmcnt(0) lgkmcnt(0)
	s_setpc_b64 s[30:31]
.LBB29_2049:
	s_movk_i32 s4, 0x80
	v_cmp_eq_u16_sdwa s[12:13], v14, s4 src0_sel:BYTE_0 src1_sel:DWORD
	s_mov_b64 s[4:5], -1
                                        ; implicit-def: $sgpr10
	s_and_saveexec_b64 s[8:9], s[12:13]
; %bb.2050:
	s_mov_b32 s10, 0x7f800001
	s_xor_b64 s[4:5], exec, -1
; %bb.2051:
	s_or_b64 exec, exec, s[8:9]
	s_and_b64 s[4:5], s[4:5], exec
	s_or_saveexec_b64 s[6:7], s[6:7]
	v_mov_b32_e32 v20, s10
	s_xor_b64 exec, exec, s[6:7]
	s_cbranch_execz .LBB29_2
.LBB29_2052:
	v_mov_b32_e32 v20, 0
	v_cmp_ne_u16_sdwa s[8:9], v14, v20 src0_sel:BYTE_0 src1_sel:DWORD
	s_andn2_b64 s[4:5], s[4:5], exec
	s_and_b64 s[8:9], s[8:9], exec
	s_or_b64 s[4:5], s[4:5], s[8:9]
	s_or_b64 exec, exec, s[6:7]
	s_and_saveexec_b64 s[6:7], s[4:5]
	s_cbranch_execnz .LBB29_3
	s_branch .LBB29_4
.LBB29_2053:
	s_movk_i32 s4, 0x80
	v_cmp_eq_u16_sdwa s[12:13], v10, s4 src0_sel:BYTE_0 src1_sel:DWORD
	s_mov_b64 s[4:5], -1
                                        ; implicit-def: $sgpr10
	s_and_saveexec_b64 s[8:9], s[12:13]
; %bb.2054:
	s_mov_b32 s10, 0x7f800001
	s_xor_b64 s[4:5], exec, -1
; %bb.2055:
	s_or_b64 exec, exec, s[8:9]
	s_and_b64 s[4:5], s[4:5], exec
	s_or_saveexec_b64 s[6:7], s[6:7]
	v_mov_b32_e32 v21, s10
	s_xor_b64 exec, exec, s[6:7]
	s_cbranch_execz .LBB29_6
.LBB29_2056:
	v_mov_b32_e32 v21, 0
	v_cmp_ne_u16_sdwa s[8:9], v10, v21 src0_sel:BYTE_0 src1_sel:DWORD
	s_andn2_b64 s[4:5], s[4:5], exec
	s_and_b64 s[8:9], s[8:9], exec
	s_or_b64 s[4:5], s[4:5], s[8:9]
	s_or_b64 exec, exec, s[6:7]
	s_and_saveexec_b64 s[6:7], s[4:5]
	s_cbranch_execnz .LBB29_7
	s_branch .LBB29_8
.LBB29_2057:
	s_movk_i32 s4, 0x80
	v_cmp_eq_u16_sdwa s[12:13], v21, s4 src0_sel:BYTE_0 src1_sel:DWORD
	s_mov_b64 s[4:5], -1
                                        ; implicit-def: $sgpr10
	s_and_saveexec_b64 s[8:9], s[12:13]
; %bb.2058:
	s_mov_b32 s10, 0x7f800001
	s_xor_b64 s[4:5], exec, -1
; %bb.2059:
	s_or_b64 exec, exec, s[8:9]
	s_and_b64 s[4:5], s[4:5], exec
	s_or_saveexec_b64 s[6:7], s[6:7]
	v_mov_b32_e32 v20, s10
	s_xor_b64 exec, exec, s[6:7]
	s_cbranch_execz .LBB29_10
.LBB29_2060:
	v_mov_b32_e32 v20, 0
	v_cmp_ne_u16_sdwa s[8:9], v21, v20 src0_sel:BYTE_0 src1_sel:DWORD
	s_andn2_b64 s[4:5], s[4:5], exec
	s_and_b64 s[8:9], s[8:9], exec
	s_or_b64 s[4:5], s[4:5], s[8:9]
	s_or_b64 exec, exec, s[6:7]
	s_and_saveexec_b64 s[6:7], s[4:5]
	s_cbranch_execnz .LBB29_11
	s_branch .LBB29_12
.LBB29_2061:
	s_movk_i32 s4, 0x80
	v_cmp_eq_u16_sdwa s[12:13], v21, s4 src0_sel:BYTE_0 src1_sel:DWORD
	s_mov_b64 s[4:5], -1
                                        ; implicit-def: $sgpr10
	s_and_saveexec_b64 s[8:9], s[12:13]
; %bb.2062:
	s_mov_b32 s10, 0x7f800001
	s_xor_b64 s[4:5], exec, -1
; %bb.2063:
	s_or_b64 exec, exec, s[8:9]
	s_and_b64 s[4:5], s[4:5], exec
	s_or_saveexec_b64 s[6:7], s[6:7]
	v_mov_b32_e32 v22, s10
	s_xor_b64 exec, exec, s[6:7]
	s_cbranch_execz .LBB29_14
.LBB29_2064:
	v_mov_b32_e32 v22, 0
	v_cmp_ne_u16_sdwa s[8:9], v21, v22 src0_sel:BYTE_0 src1_sel:DWORD
	s_andn2_b64 s[4:5], s[4:5], exec
	s_and_b64 s[8:9], s[8:9], exec
	s_or_b64 s[4:5], s[4:5], s[8:9]
	s_or_b64 exec, exec, s[6:7]
	s_and_saveexec_b64 s[6:7], s[4:5]
	s_cbranch_execnz .LBB29_15
	s_branch .LBB29_16
.LBB29_2065:
	s_movk_i32 s4, 0x80
	v_cmp_eq_u16_e32 vcc, s4, v21
	s_mov_b64 s[4:5], -1
                                        ; implicit-def: $sgpr10
	s_and_saveexec_b64 s[8:9], vcc
; %bb.2066:
	s_mov_b32 s10, 0x7f800001
	s_xor_b64 s[4:5], exec, -1
; %bb.2067:
	s_or_b64 exec, exec, s[8:9]
	s_and_b64 s[4:5], s[4:5], exec
                                        ; implicit-def: $vgpr21
	s_or_saveexec_b64 s[6:7], s[6:7]
	v_mov_b32_e32 v20, s10
	s_xor_b64 exec, exec, s[6:7]
	s_cbranch_execz .LBB29_18
.LBB29_2068:
	v_cmp_ne_u16_e32 vcc, 0, v21
	s_andn2_b64 s[4:5], s[4:5], exec
	s_and_b64 s[8:9], vcc, exec
	v_mov_b32_e32 v20, 0
	s_or_b64 s[4:5], s[4:5], s[8:9]
	s_or_b64 exec, exec, s[6:7]
	s_and_saveexec_b64 s[6:7], s[4:5]
	s_cbranch_execnz .LBB29_19
	s_branch .LBB29_20
.LBB29_2069:
	s_movk_i32 s4, 0x80
	v_cmp_eq_u16_e32 vcc, s4, v21
	s_mov_b64 s[4:5], -1
                                        ; implicit-def: $sgpr10
	s_and_saveexec_b64 s[8:9], vcc
; %bb.2070:
	s_mov_b32 s10, 0x7f800001
	s_xor_b64 s[4:5], exec, -1
; %bb.2071:
	s_or_b64 exec, exec, s[8:9]
	s_and_b64 s[4:5], s[4:5], exec
                                        ; implicit-def: $vgpr21
	s_or_saveexec_b64 s[6:7], s[6:7]
	v_mov_b32_e32 v22, s10
	s_xor_b64 exec, exec, s[6:7]
	s_cbranch_execz .LBB29_22
.LBB29_2072:
	v_cmp_ne_u16_e32 vcc, 0, v21
	s_andn2_b64 s[4:5], s[4:5], exec
	s_and_b64 s[8:9], vcc, exec
	v_mov_b32_e32 v22, 0
	s_or_b64 s[4:5], s[4:5], s[8:9]
	s_or_b64 exec, exec, s[6:7]
	s_and_saveexec_b64 s[6:7], s[4:5]
	s_cbranch_execnz .LBB29_23
	s_branch .LBB29_24
.LBB29_2073:
	s_movk_i32 s4, 0x80
	v_cmp_eq_u16_sdwa s[12:13], v14, s4 src0_sel:BYTE_3 src1_sel:DWORD
	s_mov_b64 s[4:5], -1
                                        ; implicit-def: $sgpr10
	s_and_saveexec_b64 s[8:9], s[12:13]
; %bb.2074:
	s_mov_b32 s10, 0x7f800001
	s_xor_b64 s[4:5], exec, -1
; %bb.2075:
	s_or_b64 exec, exec, s[8:9]
	s_and_b64 s[4:5], s[4:5], exec
	s_or_saveexec_b64 s[6:7], s[6:7]
	v_mov_b32_e32 v20, s10
	s_xor_b64 exec, exec, s[6:7]
	s_cbranch_execz .LBB29_26
.LBB29_2076:
	v_mov_b32_e32 v20, 0
	v_cmp_ne_u16_sdwa s[8:9], v14, v20 src0_sel:BYTE_3 src1_sel:DWORD
	s_andn2_b64 s[4:5], s[4:5], exec
	s_and_b64 s[8:9], s[8:9], exec
	s_or_b64 s[4:5], s[4:5], s[8:9]
	s_or_b64 exec, exec, s[6:7]
	s_and_saveexec_b64 s[6:7], s[4:5]
	s_cbranch_execnz .LBB29_27
	s_branch .LBB29_28
.LBB29_2077:
	s_movk_i32 s4, 0x80
	v_cmp_eq_u16_sdwa s[12:13], v10, s4 src0_sel:BYTE_3 src1_sel:DWORD
	s_mov_b64 s[4:5], -1
                                        ; implicit-def: $sgpr10
	s_and_saveexec_b64 s[8:9], s[12:13]
; %bb.2078:
	s_mov_b32 s10, 0x7f800001
	s_xor_b64 s[4:5], exec, -1
; %bb.2079:
	s_or_b64 exec, exec, s[8:9]
	s_and_b64 s[4:5], s[4:5], exec
	s_or_saveexec_b64 s[6:7], s[6:7]
	v_mov_b32_e32 v14, s10
	s_xor_b64 exec, exec, s[6:7]
	s_cbranch_execz .LBB29_30
.LBB29_2080:
	v_mov_b32_e32 v14, 0
	v_cmp_ne_u16_sdwa s[8:9], v10, v14 src0_sel:BYTE_3 src1_sel:DWORD
	s_andn2_b64 s[4:5], s[4:5], exec
	s_and_b64 s[8:9], s[8:9], exec
	s_or_b64 s[4:5], s[4:5], s[8:9]
	s_or_b64 exec, exec, s[6:7]
	s_and_saveexec_b64 s[6:7], s[4:5]
	s_cbranch_execnz .LBB29_31
	s_branch .LBB29_32
.LBB29_2081:
	s_movk_i32 s4, 0x80
	v_cmp_eq_u16_sdwa s[12:13], v15, s4 src0_sel:BYTE_0 src1_sel:DWORD
	s_mov_b64 s[4:5], -1
                                        ; implicit-def: $sgpr10
	s_and_saveexec_b64 s[8:9], s[12:13]
; %bb.2082:
	s_mov_b32 s10, 0x7f800001
	s_xor_b64 s[4:5], exec, -1
; %bb.2083:
	s_or_b64 exec, exec, s[8:9]
	s_and_b64 s[4:5], s[4:5], exec
	s_or_saveexec_b64 s[6:7], s[6:7]
	v_mov_b32_e32 v10, s10
	s_xor_b64 exec, exec, s[6:7]
	s_cbranch_execz .LBB29_34
.LBB29_2084:
	v_mov_b32_e32 v10, 0
	v_cmp_ne_u16_sdwa s[8:9], v15, v10 src0_sel:BYTE_0 src1_sel:DWORD
	s_andn2_b64 s[4:5], s[4:5], exec
	s_and_b64 s[8:9], s[8:9], exec
	s_or_b64 s[4:5], s[4:5], s[8:9]
	s_or_b64 exec, exec, s[6:7]
	s_and_saveexec_b64 s[6:7], s[4:5]
	s_cbranch_execnz .LBB29_35
	s_branch .LBB29_36
.LBB29_2085:
	s_movk_i32 s4, 0x80
	v_cmp_eq_u16_sdwa s[12:13], v11, s4 src0_sel:BYTE_0 src1_sel:DWORD
	s_mov_b64 s[4:5], -1
                                        ; implicit-def: $sgpr10
	s_and_saveexec_b64 s[8:9], s[12:13]
; %bb.2086:
	s_mov_b32 s10, 0x7f800001
	s_xor_b64 s[4:5], exec, -1
; %bb.2087:
	s_or_b64 exec, exec, s[8:9]
	s_and_b64 s[4:5], s[4:5], exec
	s_or_saveexec_b64 s[6:7], s[6:7]
	v_mov_b32_e32 v14, s10
	s_xor_b64 exec, exec, s[6:7]
	s_cbranch_execz .LBB29_38
.LBB29_2088:
	v_mov_b32_e32 v14, 0
	v_cmp_ne_u16_sdwa s[8:9], v11, v14 src0_sel:BYTE_0 src1_sel:DWORD
	s_andn2_b64 s[4:5], s[4:5], exec
	s_and_b64 s[8:9], s[8:9], exec
	s_or_b64 s[4:5], s[4:5], s[8:9]
	s_or_b64 exec, exec, s[6:7]
	s_and_saveexec_b64 s[6:7], s[4:5]
	s_cbranch_execnz .LBB29_39
	s_branch .LBB29_40
.LBB29_2089:
	s_movk_i32 s4, 0x80
	v_cmp_eq_u16_sdwa s[12:13], v14, s4 src0_sel:BYTE_0 src1_sel:DWORD
	s_mov_b64 s[4:5], -1
                                        ; implicit-def: $sgpr10
	s_and_saveexec_b64 s[8:9], s[12:13]
; %bb.2090:
	s_mov_b32 s10, 0x7f800001
	s_xor_b64 s[4:5], exec, -1
; %bb.2091:
	s_or_b64 exec, exec, s[8:9]
	s_and_b64 s[4:5], s[4:5], exec
	s_or_saveexec_b64 s[6:7], s[6:7]
	v_mov_b32_e32 v10, s10
	s_xor_b64 exec, exec, s[6:7]
	s_cbranch_execz .LBB29_42
.LBB29_2092:
	v_mov_b32_e32 v10, 0
	v_cmp_ne_u16_sdwa s[8:9], v14, v10 src0_sel:BYTE_0 src1_sel:DWORD
	s_andn2_b64 s[4:5], s[4:5], exec
	s_and_b64 s[8:9], s[8:9], exec
	s_or_b64 s[4:5], s[4:5], s[8:9]
	s_or_b64 exec, exec, s[6:7]
	s_and_saveexec_b64 s[6:7], s[4:5]
	s_cbranch_execnz .LBB29_43
	s_branch .LBB29_44
.LBB29_2093:
	s_movk_i32 s4, 0x80
	v_cmp_eq_u16_sdwa s[12:13], v14, s4 src0_sel:BYTE_0 src1_sel:DWORD
	s_mov_b64 s[4:5], -1
                                        ; implicit-def: $sgpr10
	s_and_saveexec_b64 s[8:9], s[12:13]
; %bb.2094:
	s_mov_b32 s10, 0x7f800001
	s_xor_b64 s[4:5], exec, -1
; %bb.2095:
	s_or_b64 exec, exec, s[8:9]
	s_and_b64 s[4:5], s[4:5], exec
	s_or_saveexec_b64 s[6:7], s[6:7]
	v_mov_b32_e32 v20, s10
	s_xor_b64 exec, exec, s[6:7]
	s_cbranch_execz .LBB29_46
.LBB29_2096:
	v_mov_b32_e32 v20, 0
	v_cmp_ne_u16_sdwa s[8:9], v14, v20 src0_sel:BYTE_0 src1_sel:DWORD
	s_andn2_b64 s[4:5], s[4:5], exec
	s_and_b64 s[8:9], s[8:9], exec
	s_or_b64 s[4:5], s[4:5], s[8:9]
	s_or_b64 exec, exec, s[6:7]
	s_and_saveexec_b64 s[6:7], s[4:5]
	s_cbranch_execnz .LBB29_47
	s_branch .LBB29_48
.LBB29_2097:
	s_movk_i32 s4, 0x80
	v_cmp_eq_u16_e32 vcc, s4, v14
	s_mov_b64 s[4:5], -1
                                        ; implicit-def: $sgpr10
	s_and_saveexec_b64 s[8:9], vcc
; %bb.2098:
	s_mov_b32 s10, 0x7f800001
	s_xor_b64 s[4:5], exec, -1
; %bb.2099:
	s_or_b64 exec, exec, s[8:9]
	s_and_b64 s[4:5], s[4:5], exec
                                        ; implicit-def: $vgpr14
	s_or_saveexec_b64 s[6:7], s[6:7]
	v_mov_b32_e32 v10, s10
	s_xor_b64 exec, exec, s[6:7]
	s_cbranch_execz .LBB29_50
.LBB29_2100:
	v_cmp_ne_u16_e32 vcc, 0, v14
	s_andn2_b64 s[4:5], s[4:5], exec
	s_and_b64 s[8:9], vcc, exec
	v_mov_b32_e32 v10, 0
	s_or_b64 s[4:5], s[4:5], s[8:9]
	s_or_b64 exec, exec, s[6:7]
	s_and_saveexec_b64 s[6:7], s[4:5]
	s_cbranch_execnz .LBB29_51
	s_branch .LBB29_52
.LBB29_2101:
	s_movk_i32 s4, 0x80
	v_cmp_eq_u16_e32 vcc, s4, v14
	s_mov_b64 s[4:5], -1
                                        ; implicit-def: $sgpr10
	s_and_saveexec_b64 s[8:9], vcc
; %bb.2102:
	s_mov_b32 s10, 0x7f800001
	s_xor_b64 s[4:5], exec, -1
; %bb.2103:
	s_or_b64 exec, exec, s[8:9]
	s_and_b64 s[4:5], s[4:5], exec
                                        ; implicit-def: $vgpr14
	s_or_saveexec_b64 s[6:7], s[6:7]
	v_mov_b32_e32 v20, s10
	s_xor_b64 exec, exec, s[6:7]
	s_cbranch_execz .LBB29_54
.LBB29_2104:
	v_cmp_ne_u16_e32 vcc, 0, v14
	s_andn2_b64 s[4:5], s[4:5], exec
	s_and_b64 s[8:9], vcc, exec
	v_mov_b32_e32 v20, 0
	s_or_b64 s[4:5], s[4:5], s[8:9]
	s_or_b64 exec, exec, s[6:7]
	s_and_saveexec_b64 s[6:7], s[4:5]
	s_cbranch_execnz .LBB29_55
	s_branch .LBB29_56
.LBB29_2105:
	s_movk_i32 s4, 0x80
	v_cmp_eq_u16_sdwa s[12:13], v15, s4 src0_sel:BYTE_3 src1_sel:DWORD
	s_mov_b64 s[4:5], -1
                                        ; implicit-def: $sgpr10
	s_and_saveexec_b64 s[8:9], s[12:13]
; %bb.2106:
	s_mov_b32 s10, 0x7f800001
	s_xor_b64 s[4:5], exec, -1
; %bb.2107:
	s_or_b64 exec, exec, s[8:9]
	s_and_b64 s[4:5], s[4:5], exec
	s_or_saveexec_b64 s[6:7], s[6:7]
	v_mov_b32_e32 v10, s10
	s_xor_b64 exec, exec, s[6:7]
	s_cbranch_execz .LBB29_58
.LBB29_2108:
	v_mov_b32_e32 v10, 0
	v_cmp_ne_u16_sdwa s[8:9], v15, v10 src0_sel:BYTE_3 src1_sel:DWORD
	s_andn2_b64 s[4:5], s[4:5], exec
	s_and_b64 s[8:9], s[8:9], exec
	s_or_b64 s[4:5], s[4:5], s[8:9]
	s_or_b64 exec, exec, s[6:7]
	s_and_saveexec_b64 s[6:7], s[4:5]
	s_cbranch_execnz .LBB29_59
	s_branch .LBB29_60
.LBB29_2109:
	s_movk_i32 s4, 0x80
	v_cmp_eq_u16_sdwa s[12:13], v11, s4 src0_sel:BYTE_3 src1_sel:DWORD
	s_mov_b64 s[4:5], -1
                                        ; implicit-def: $sgpr10
	s_and_saveexec_b64 s[8:9], s[12:13]
; %bb.2110:
	s_mov_b32 s10, 0x7f800001
	s_xor_b64 s[4:5], exec, -1
; %bb.2111:
	s_or_b64 exec, exec, s[8:9]
	s_and_b64 s[4:5], s[4:5], exec
	s_or_saveexec_b64 s[6:7], s[6:7]
	v_mov_b32_e32 v14, s10
	s_xor_b64 exec, exec, s[6:7]
	s_cbranch_execz .LBB29_62
.LBB29_2112:
	v_mov_b32_e32 v14, 0
	v_cmp_ne_u16_sdwa s[8:9], v11, v14 src0_sel:BYTE_3 src1_sel:DWORD
	s_andn2_b64 s[4:5], s[4:5], exec
	s_and_b64 s[8:9], s[8:9], exec
	s_or_b64 s[4:5], s[4:5], s[8:9]
	s_or_b64 exec, exec, s[6:7]
	s_and_saveexec_b64 s[6:7], s[4:5]
	s_cbranch_execnz .LBB29_63
	s_branch .LBB29_64
.LBB29_2113:
	s_movk_i32 s4, 0x80
	v_cmp_eq_u16_sdwa s[12:13], v16, s4 src0_sel:BYTE_0 src1_sel:DWORD
	s_mov_b64 s[4:5], -1
                                        ; implicit-def: $sgpr10
	s_and_saveexec_b64 s[8:9], s[12:13]
; %bb.2114:
	s_mov_b32 s10, 0x7f800001
	s_xor_b64 s[4:5], exec, -1
; %bb.2115:
	s_or_b64 exec, exec, s[8:9]
	s_and_b64 s[4:5], s[4:5], exec
	s_or_saveexec_b64 s[6:7], s[6:7]
	v_mov_b32_e32 v10, s10
	s_xor_b64 exec, exec, s[6:7]
	s_cbranch_execz .LBB29_66
.LBB29_2116:
	v_mov_b32_e32 v10, 0
	v_cmp_ne_u16_sdwa s[8:9], v16, v10 src0_sel:BYTE_0 src1_sel:DWORD
	s_andn2_b64 s[4:5], s[4:5], exec
	s_and_b64 s[8:9], s[8:9], exec
	s_or_b64 s[4:5], s[4:5], s[8:9]
	s_or_b64 exec, exec, s[6:7]
	s_and_saveexec_b64 s[6:7], s[4:5]
	s_cbranch_execnz .LBB29_67
	s_branch .LBB29_68
.LBB29_2117:
	s_movk_i32 s4, 0x80
	v_cmp_eq_u16_sdwa s[12:13], v12, s4 src0_sel:BYTE_0 src1_sel:DWORD
	s_mov_b64 s[4:5], -1
                                        ; implicit-def: $sgpr10
	s_and_saveexec_b64 s[8:9], s[12:13]
; %bb.2118:
	s_mov_b32 s10, 0x7f800001
	s_xor_b64 s[4:5], exec, -1
; %bb.2119:
	s_or_b64 exec, exec, s[8:9]
	s_and_b64 s[4:5], s[4:5], exec
	s_or_saveexec_b64 s[6:7], s[6:7]
	v_mov_b32_e32 v11, s10
	s_xor_b64 exec, exec, s[6:7]
	s_cbranch_execz .LBB29_70
.LBB29_2120:
	v_mov_b32_e32 v11, 0
	v_cmp_ne_u16_sdwa s[8:9], v12, v11 src0_sel:BYTE_0 src1_sel:DWORD
	s_andn2_b64 s[4:5], s[4:5], exec
	s_and_b64 s[8:9], s[8:9], exec
	s_or_b64 s[4:5], s[4:5], s[8:9]
	s_or_b64 exec, exec, s[6:7]
	s_and_saveexec_b64 s[6:7], s[4:5]
	s_cbranch_execnz .LBB29_71
	s_branch .LBB29_72
.LBB29_2121:
	s_movk_i32 s4, 0x80
	v_cmp_eq_u16_sdwa s[12:13], v11, s4 src0_sel:BYTE_0 src1_sel:DWORD
	s_mov_b64 s[4:5], -1
                                        ; implicit-def: $sgpr10
	s_and_saveexec_b64 s[8:9], s[12:13]
; %bb.2122:
	s_mov_b32 s10, 0x7f800001
	s_xor_b64 s[4:5], exec, -1
; %bb.2123:
	s_or_b64 exec, exec, s[8:9]
	s_and_b64 s[4:5], s[4:5], exec
	s_or_saveexec_b64 s[6:7], s[6:7]
	v_mov_b32_e32 v10, s10
	s_xor_b64 exec, exec, s[6:7]
	s_cbranch_execz .LBB29_74
.LBB29_2124:
	v_mov_b32_e32 v10, 0
	v_cmp_ne_u16_sdwa s[8:9], v11, v10 src0_sel:BYTE_0 src1_sel:DWORD
	s_andn2_b64 s[4:5], s[4:5], exec
	s_and_b64 s[8:9], s[8:9], exec
	s_or_b64 s[4:5], s[4:5], s[8:9]
	s_or_b64 exec, exec, s[6:7]
	s_and_saveexec_b64 s[6:7], s[4:5]
	s_cbranch_execnz .LBB29_75
	s_branch .LBB29_76
.LBB29_2125:
	s_movk_i32 s4, 0x80
	v_cmp_eq_u16_sdwa s[12:13], v11, s4 src0_sel:BYTE_0 src1_sel:DWORD
	s_mov_b64 s[4:5], -1
                                        ; implicit-def: $sgpr10
	s_and_saveexec_b64 s[8:9], s[12:13]
; %bb.2126:
	s_mov_b32 s10, 0x7f800001
	s_xor_b64 s[4:5], exec, -1
; %bb.2127:
	s_or_b64 exec, exec, s[8:9]
	s_and_b64 s[4:5], s[4:5], exec
	s_or_saveexec_b64 s[6:7], s[6:7]
	v_mov_b32_e32 v14, s10
	s_xor_b64 exec, exec, s[6:7]
	s_cbranch_execz .LBB29_78
.LBB29_2128:
	v_mov_b32_e32 v14, 0
	v_cmp_ne_u16_sdwa s[8:9], v11, v14 src0_sel:BYTE_0 src1_sel:DWORD
	s_andn2_b64 s[4:5], s[4:5], exec
	s_and_b64 s[8:9], s[8:9], exec
	s_or_b64 s[4:5], s[4:5], s[8:9]
	s_or_b64 exec, exec, s[6:7]
	s_and_saveexec_b64 s[6:7], s[4:5]
	s_cbranch_execnz .LBB29_79
	s_branch .LBB29_80
.LBB29_2129:
	s_movk_i32 s4, 0x80
	v_cmp_eq_u16_e32 vcc, s4, v11
	s_mov_b64 s[4:5], -1
                                        ; implicit-def: $sgpr10
	s_and_saveexec_b64 s[8:9], vcc
; %bb.2130:
	s_mov_b32 s10, 0x7f800001
	s_xor_b64 s[4:5], exec, -1
; %bb.2131:
	s_or_b64 exec, exec, s[8:9]
	s_and_b64 s[4:5], s[4:5], exec
                                        ; implicit-def: $vgpr11
	s_or_saveexec_b64 s[6:7], s[6:7]
	v_mov_b32_e32 v10, s10
	s_xor_b64 exec, exec, s[6:7]
	s_cbranch_execz .LBB29_82
.LBB29_2132:
	v_cmp_ne_u16_e32 vcc, 0, v11
	s_andn2_b64 s[4:5], s[4:5], exec
	s_and_b64 s[8:9], vcc, exec
	v_mov_b32_e32 v10, 0
	s_or_b64 s[4:5], s[4:5], s[8:9]
	s_or_b64 exec, exec, s[6:7]
	s_and_saveexec_b64 s[6:7], s[4:5]
	s_cbranch_execnz .LBB29_83
	s_branch .LBB29_84
.LBB29_2133:
	s_movk_i32 s4, 0x80
	v_cmp_eq_u16_e32 vcc, s4, v11
	s_mov_b64 s[4:5], -1
                                        ; implicit-def: $sgpr10
	s_and_saveexec_b64 s[8:9], vcc
; %bb.2134:
	s_mov_b32 s10, 0x7f800001
	s_xor_b64 s[4:5], exec, -1
; %bb.2135:
	s_or_b64 exec, exec, s[8:9]
	s_and_b64 s[4:5], s[4:5], exec
                                        ; implicit-def: $vgpr11
	s_or_saveexec_b64 s[6:7], s[6:7]
	v_mov_b32_e32 v14, s10
	s_xor_b64 exec, exec, s[6:7]
	s_cbranch_execz .LBB29_86
.LBB29_2136:
	v_cmp_ne_u16_e32 vcc, 0, v11
	s_andn2_b64 s[4:5], s[4:5], exec
	s_and_b64 s[8:9], vcc, exec
	v_mov_b32_e32 v14, 0
	s_or_b64 s[4:5], s[4:5], s[8:9]
	s_or_b64 exec, exec, s[6:7]
	s_and_saveexec_b64 s[6:7], s[4:5]
	s_cbranch_execnz .LBB29_87
	s_branch .LBB29_88
.LBB29_2137:
	s_movk_i32 s4, 0x80
	v_cmp_eq_u16_sdwa s[12:13], v16, s4 src0_sel:BYTE_3 src1_sel:DWORD
	s_mov_b64 s[4:5], -1
                                        ; implicit-def: $sgpr10
	s_and_saveexec_b64 s[8:9], s[12:13]
; %bb.2138:
	s_mov_b32 s10, 0x7f800001
	s_xor_b64 s[4:5], exec, -1
; %bb.2139:
	s_or_b64 exec, exec, s[8:9]
	s_and_b64 s[4:5], s[4:5], exec
	s_or_saveexec_b64 s[6:7], s[6:7]
	v_mov_b32_e32 v10, s10
	s_xor_b64 exec, exec, s[6:7]
	s_cbranch_execz .LBB29_90
.LBB29_2140:
	v_mov_b32_e32 v10, 0
	v_cmp_ne_u16_sdwa s[8:9], v16, v10 src0_sel:BYTE_3 src1_sel:DWORD
	s_andn2_b64 s[4:5], s[4:5], exec
	s_and_b64 s[8:9], s[8:9], exec
	s_or_b64 s[4:5], s[4:5], s[8:9]
	s_or_b64 exec, exec, s[6:7]
	s_and_saveexec_b64 s[6:7], s[4:5]
	s_cbranch_execnz .LBB29_91
	s_branch .LBB29_92
.LBB29_2141:
	s_movk_i32 s4, 0x80
	v_cmp_eq_u16_sdwa s[12:13], v12, s4 src0_sel:BYTE_3 src1_sel:DWORD
	s_mov_b64 s[4:5], -1
                                        ; implicit-def: $sgpr10
	s_and_saveexec_b64 s[8:9], s[12:13]
; %bb.2142:
	s_mov_b32 s10, 0x7f800001
	s_xor_b64 s[4:5], exec, -1
; %bb.2143:
	s_or_b64 exec, exec, s[8:9]
	s_and_b64 s[4:5], s[4:5], exec
	s_or_saveexec_b64 s[6:7], s[6:7]
	v_mov_b32_e32 v11, s10
	s_xor_b64 exec, exec, s[6:7]
	s_cbranch_execz .LBB29_94
.LBB29_2144:
	v_mov_b32_e32 v11, 0
	v_cmp_ne_u16_sdwa s[8:9], v12, v11 src0_sel:BYTE_3 src1_sel:DWORD
	s_andn2_b64 s[4:5], s[4:5], exec
	s_and_b64 s[8:9], s[8:9], exec
	s_or_b64 s[4:5], s[4:5], s[8:9]
	s_or_b64 exec, exec, s[6:7]
	s_and_saveexec_b64 s[6:7], s[4:5]
	s_cbranch_execnz .LBB29_95
	s_branch .LBB29_96
.LBB29_2145:
	s_movk_i32 s4, 0x80
	v_cmp_eq_u16_sdwa s[12:13], v17, s4 src0_sel:BYTE_0 src1_sel:DWORD
	s_mov_b64 s[4:5], -1
                                        ; implicit-def: $sgpr10
	s_and_saveexec_b64 s[8:9], s[12:13]
; %bb.2146:
	s_mov_b32 s10, 0x7f800001
	s_xor_b64 s[4:5], exec, -1
; %bb.2147:
	s_or_b64 exec, exec, s[8:9]
	s_and_b64 s[4:5], s[4:5], exec
	s_or_saveexec_b64 s[6:7], s[6:7]
	v_mov_b32_e32 v10, s10
	s_xor_b64 exec, exec, s[6:7]
	s_cbranch_execz .LBB29_98
.LBB29_2148:
	v_mov_b32_e32 v10, 0
	v_cmp_ne_u16_sdwa s[8:9], v17, v10 src0_sel:BYTE_0 src1_sel:DWORD
	s_andn2_b64 s[4:5], s[4:5], exec
	s_and_b64 s[8:9], s[8:9], exec
	s_or_b64 s[4:5], s[4:5], s[8:9]
	s_or_b64 exec, exec, s[6:7]
	s_and_saveexec_b64 s[6:7], s[4:5]
	s_cbranch_execnz .LBB29_99
	s_branch .LBB29_100
.LBB29_2149:
	s_movk_i32 s4, 0x80
	v_cmp_eq_u16_sdwa s[12:13], v13, s4 src0_sel:BYTE_0 src1_sel:DWORD
	s_mov_b64 s[4:5], -1
                                        ; implicit-def: $sgpr10
	s_and_saveexec_b64 s[8:9], s[12:13]
; %bb.2150:
	s_mov_b32 s10, 0x7f800001
	s_xor_b64 s[4:5], exec, -1
; %bb.2151:
	s_or_b64 exec, exec, s[8:9]
	s_and_b64 s[4:5], s[4:5], exec
	s_or_saveexec_b64 s[6:7], s[6:7]
	v_mov_b32_e32 v11, s10
	s_xor_b64 exec, exec, s[6:7]
	s_cbranch_execz .LBB29_102
.LBB29_2152:
	v_mov_b32_e32 v11, 0
	v_cmp_ne_u16_sdwa s[8:9], v13, v11 src0_sel:BYTE_0 src1_sel:DWORD
	s_andn2_b64 s[4:5], s[4:5], exec
	s_and_b64 s[8:9], s[8:9], exec
	s_or_b64 s[4:5], s[4:5], s[8:9]
	s_or_b64 exec, exec, s[6:7]
	s_and_saveexec_b64 s[6:7], s[4:5]
	s_cbranch_execnz .LBB29_103
	s_branch .LBB29_104
.LBB29_2153:
	s_movk_i32 s4, 0x80
	v_cmp_eq_u16_sdwa s[12:13], v11, s4 src0_sel:BYTE_0 src1_sel:DWORD
	s_mov_b64 s[4:5], -1
                                        ; implicit-def: $sgpr10
	s_and_saveexec_b64 s[8:9], s[12:13]
; %bb.2154:
	s_mov_b32 s10, 0x7f800001
	s_xor_b64 s[4:5], exec, -1
; %bb.2155:
	s_or_b64 exec, exec, s[8:9]
	s_and_b64 s[4:5], s[4:5], exec
	s_or_saveexec_b64 s[6:7], s[6:7]
	v_mov_b32_e32 v10, s10
	s_xor_b64 exec, exec, s[6:7]
	s_cbranch_execz .LBB29_106
.LBB29_2156:
	v_mov_b32_e32 v10, 0
	v_cmp_ne_u16_sdwa s[8:9], v11, v10 src0_sel:BYTE_0 src1_sel:DWORD
	s_andn2_b64 s[4:5], s[4:5], exec
	s_and_b64 s[8:9], s[8:9], exec
	s_or_b64 s[4:5], s[4:5], s[8:9]
	s_or_b64 exec, exec, s[6:7]
	s_and_saveexec_b64 s[6:7], s[4:5]
	s_cbranch_execnz .LBB29_107
	s_branch .LBB29_108
.LBB29_2157:
	s_movk_i32 s4, 0x80
	v_cmp_eq_u16_sdwa s[12:13], v11, s4 src0_sel:BYTE_0 src1_sel:DWORD
	s_mov_b64 s[4:5], -1
                                        ; implicit-def: $sgpr10
	s_and_saveexec_b64 s[8:9], s[12:13]
; %bb.2158:
	s_mov_b32 s10, 0x7f800001
	s_xor_b64 s[4:5], exec, -1
; %bb.2159:
	s_or_b64 exec, exec, s[8:9]
	s_and_b64 s[4:5], s[4:5], exec
	s_or_saveexec_b64 s[6:7], s[6:7]
	v_mov_b32_e32 v12, s10
	s_xor_b64 exec, exec, s[6:7]
	s_cbranch_execz .LBB29_110
.LBB29_2160:
	v_mov_b32_e32 v12, 0
	v_cmp_ne_u16_sdwa s[8:9], v11, v12 src0_sel:BYTE_0 src1_sel:DWORD
	s_andn2_b64 s[4:5], s[4:5], exec
	s_and_b64 s[8:9], s[8:9], exec
	s_or_b64 s[4:5], s[4:5], s[8:9]
	s_or_b64 exec, exec, s[6:7]
	s_and_saveexec_b64 s[6:7], s[4:5]
	s_cbranch_execnz .LBB29_111
	s_branch .LBB29_112
.LBB29_2161:
	s_movk_i32 s4, 0x80
	v_cmp_eq_u16_e32 vcc, s4, v11
	s_mov_b64 s[4:5], -1
                                        ; implicit-def: $sgpr10
	s_and_saveexec_b64 s[8:9], vcc
; %bb.2162:
	s_mov_b32 s10, 0x7f800001
	s_xor_b64 s[4:5], exec, -1
; %bb.2163:
	s_or_b64 exec, exec, s[8:9]
	s_and_b64 s[4:5], s[4:5], exec
                                        ; implicit-def: $vgpr11
	s_or_saveexec_b64 s[6:7], s[6:7]
	v_mov_b32_e32 v10, s10
	s_xor_b64 exec, exec, s[6:7]
	s_cbranch_execz .LBB29_114
.LBB29_2164:
	v_cmp_ne_u16_e32 vcc, 0, v11
	s_andn2_b64 s[4:5], s[4:5], exec
	s_and_b64 s[8:9], vcc, exec
	v_mov_b32_e32 v10, 0
	s_or_b64 s[4:5], s[4:5], s[8:9]
	s_or_b64 exec, exec, s[6:7]
	s_and_saveexec_b64 s[6:7], s[4:5]
	s_cbranch_execnz .LBB29_115
	s_branch .LBB29_116
.LBB29_2165:
	s_movk_i32 s4, 0x80
	v_cmp_eq_u16_e32 vcc, s4, v11
	s_mov_b64 s[4:5], -1
                                        ; implicit-def: $sgpr10
	s_and_saveexec_b64 s[8:9], vcc
; %bb.2166:
	s_mov_b32 s10, 0x7f800001
	s_xor_b64 s[4:5], exec, -1
; %bb.2167:
	s_or_b64 exec, exec, s[8:9]
	s_and_b64 s[4:5], s[4:5], exec
                                        ; implicit-def: $vgpr11
	s_or_saveexec_b64 s[6:7], s[6:7]
	v_mov_b32_e32 v12, s10
	s_xor_b64 exec, exec, s[6:7]
	s_cbranch_execz .LBB29_118
.LBB29_2168:
	v_cmp_ne_u16_e32 vcc, 0, v11
	s_andn2_b64 s[4:5], s[4:5], exec
	s_and_b64 s[8:9], vcc, exec
	v_mov_b32_e32 v12, 0
	s_or_b64 s[4:5], s[4:5], s[8:9]
	s_or_b64 exec, exec, s[6:7]
	s_and_saveexec_b64 s[6:7], s[4:5]
	s_cbranch_execnz .LBB29_119
	s_branch .LBB29_120
.LBB29_2169:
	s_movk_i32 s4, 0x80
	v_cmp_eq_u16_sdwa s[12:13], v17, s4 src0_sel:BYTE_3 src1_sel:DWORD
	s_mov_b64 s[4:5], -1
                                        ; implicit-def: $sgpr10
	s_and_saveexec_b64 s[8:9], s[12:13]
; %bb.2170:
	s_mov_b32 s10, 0x7f800001
	s_xor_b64 s[4:5], exec, -1
; %bb.2171:
	s_or_b64 exec, exec, s[8:9]
	s_and_b64 s[4:5], s[4:5], exec
	s_or_saveexec_b64 s[6:7], s[6:7]
	v_mov_b32_e32 v10, s10
	s_xor_b64 exec, exec, s[6:7]
	s_cbranch_execz .LBB29_122
.LBB29_2172:
	v_mov_b32_e32 v10, 0
	v_cmp_ne_u16_sdwa s[8:9], v17, v10 src0_sel:BYTE_3 src1_sel:DWORD
	s_andn2_b64 s[4:5], s[4:5], exec
	s_and_b64 s[8:9], s[8:9], exec
	s_or_b64 s[4:5], s[4:5], s[8:9]
	s_or_b64 exec, exec, s[6:7]
	s_and_saveexec_b64 s[6:7], s[4:5]
	s_cbranch_execnz .LBB29_123
	s_branch .LBB29_124
.LBB29_2173:
	s_movk_i32 s4, 0x80
	v_cmp_eq_u16_sdwa s[12:13], v13, s4 src0_sel:BYTE_3 src1_sel:DWORD
	s_mov_b64 s[4:5], -1
                                        ; implicit-def: $sgpr10
	s_and_saveexec_b64 s[8:9], s[12:13]
; %bb.2174:
	s_mov_b32 s10, 0x7f800001
	s_xor_b64 s[4:5], exec, -1
; %bb.2175:
	s_or_b64 exec, exec, s[8:9]
	s_and_b64 s[4:5], s[4:5], exec
	s_or_saveexec_b64 s[6:7], s[6:7]
	v_mov_b32_e32 v11, s10
	s_xor_b64 exec, exec, s[6:7]
	s_cbranch_execz .LBB29_126
.LBB29_2176:
	v_mov_b32_e32 v11, 0
	v_cmp_ne_u16_sdwa s[8:9], v13, v11 src0_sel:BYTE_3 src1_sel:DWORD
	s_andn2_b64 s[4:5], s[4:5], exec
	s_and_b64 s[8:9], s[8:9], exec
	s_or_b64 s[4:5], s[4:5], s[8:9]
	s_or_b64 exec, exec, s[6:7]
	s_and_saveexec_b64 s[6:7], s[4:5]
	s_cbranch_execnz .LBB29_127
	s_branch .LBB29_128
.LBB29_2177:
	s_movk_i32 s4, 0x80
	v_cmp_eq_u16_sdwa s[12:13], v6, s4 src0_sel:BYTE_0 src1_sel:DWORD
	s_mov_b64 s[4:5], -1
                                        ; implicit-def: $sgpr10
	s_and_saveexec_b64 s[8:9], s[12:13]
; %bb.2178:
	s_mov_b32 s10, 0x7f800001
	s_xor_b64 s[4:5], exec, -1
; %bb.2179:
	s_or_b64 exec, exec, s[8:9]
	s_and_b64 s[4:5], s[4:5], exec
	s_or_saveexec_b64 s[6:7], s[6:7]
	v_mov_b32_e32 v10, s10
	s_xor_b64 exec, exec, s[6:7]
	s_cbranch_execz .LBB29_130
.LBB29_2180:
	v_mov_b32_e32 v10, 0
	v_cmp_ne_u16_sdwa s[8:9], v6, v10 src0_sel:BYTE_0 src1_sel:DWORD
	s_andn2_b64 s[4:5], s[4:5], exec
	s_and_b64 s[8:9], s[8:9], exec
	s_or_b64 s[4:5], s[4:5], s[8:9]
	s_or_b64 exec, exec, s[6:7]
	s_and_saveexec_b64 s[6:7], s[4:5]
	s_cbranch_execnz .LBB29_131
	s_branch .LBB29_132
.LBB29_2181:
	s_movk_i32 s4, 0x80
	v_cmp_eq_u16_sdwa s[12:13], v2, s4 src0_sel:BYTE_0 src1_sel:DWORD
	s_mov_b64 s[4:5], -1
                                        ; implicit-def: $sgpr10
	s_and_saveexec_b64 s[8:9], s[12:13]
; %bb.2182:
	s_mov_b32 s10, 0x7f800001
	s_xor_b64 s[4:5], exec, -1
; %bb.2183:
	s_or_b64 exec, exec, s[8:9]
	s_and_b64 s[4:5], s[4:5], exec
	s_or_saveexec_b64 s[6:7], s[6:7]
	v_mov_b32_e32 v11, s10
	s_xor_b64 exec, exec, s[6:7]
	s_cbranch_execz .LBB29_134
.LBB29_2184:
	v_mov_b32_e32 v11, 0
	v_cmp_ne_u16_sdwa s[8:9], v2, v11 src0_sel:BYTE_0 src1_sel:DWORD
	s_andn2_b64 s[4:5], s[4:5], exec
	s_and_b64 s[8:9], s[8:9], exec
	s_or_b64 s[4:5], s[4:5], s[8:9]
	s_or_b64 exec, exec, s[6:7]
	s_and_saveexec_b64 s[6:7], s[4:5]
	s_cbranch_execnz .LBB29_135
	s_branch .LBB29_136
.LBB29_2185:
	s_movk_i32 s4, 0x80
	v_cmp_eq_u16_sdwa s[12:13], v11, s4 src0_sel:BYTE_0 src1_sel:DWORD
	s_mov_b64 s[4:5], -1
                                        ; implicit-def: $sgpr10
	s_and_saveexec_b64 s[8:9], s[12:13]
; %bb.2186:
	s_mov_b32 s10, 0x7f800001
	s_xor_b64 s[4:5], exec, -1
; %bb.2187:
	s_or_b64 exec, exec, s[8:9]
	s_and_b64 s[4:5], s[4:5], exec
	s_or_saveexec_b64 s[6:7], s[6:7]
	v_mov_b32_e32 v10, s10
	s_xor_b64 exec, exec, s[6:7]
	s_cbranch_execz .LBB29_138
.LBB29_2188:
	v_mov_b32_e32 v10, 0
	v_cmp_ne_u16_sdwa s[8:9], v11, v10 src0_sel:BYTE_0 src1_sel:DWORD
	s_andn2_b64 s[4:5], s[4:5], exec
	s_and_b64 s[8:9], s[8:9], exec
	s_or_b64 s[4:5], s[4:5], s[8:9]
	s_or_b64 exec, exec, s[6:7]
	s_and_saveexec_b64 s[6:7], s[4:5]
	s_cbranch_execnz .LBB29_139
	s_branch .LBB29_140
.LBB29_2189:
	s_movk_i32 s4, 0x80
	v_cmp_eq_u16_sdwa s[12:13], v11, s4 src0_sel:BYTE_0 src1_sel:DWORD
	s_mov_b64 s[4:5], -1
                                        ; implicit-def: $sgpr10
	s_and_saveexec_b64 s[8:9], s[12:13]
; %bb.2190:
	s_mov_b32 s10, 0x7f800001
	s_xor_b64 s[4:5], exec, -1
; %bb.2191:
	s_or_b64 exec, exec, s[8:9]
	s_and_b64 s[4:5], s[4:5], exec
	s_or_saveexec_b64 s[6:7], s[6:7]
	v_mov_b32_e32 v12, s10
	s_xor_b64 exec, exec, s[6:7]
	s_cbranch_execz .LBB29_142
.LBB29_2192:
	v_mov_b32_e32 v12, 0
	v_cmp_ne_u16_sdwa s[8:9], v11, v12 src0_sel:BYTE_0 src1_sel:DWORD
	s_andn2_b64 s[4:5], s[4:5], exec
	s_and_b64 s[8:9], s[8:9], exec
	s_or_b64 s[4:5], s[4:5], s[8:9]
	s_or_b64 exec, exec, s[6:7]
	s_and_saveexec_b64 s[6:7], s[4:5]
	s_cbranch_execnz .LBB29_143
	s_branch .LBB29_144
.LBB29_2193:
	s_movk_i32 s4, 0x80
	v_cmp_eq_u16_e32 vcc, s4, v11
	s_mov_b64 s[4:5], -1
                                        ; implicit-def: $sgpr10
	s_and_saveexec_b64 s[8:9], vcc
; %bb.2194:
	s_mov_b32 s10, 0x7f800001
	s_xor_b64 s[4:5], exec, -1
; %bb.2195:
	s_or_b64 exec, exec, s[8:9]
	s_and_b64 s[4:5], s[4:5], exec
                                        ; implicit-def: $vgpr11
	s_or_saveexec_b64 s[6:7], s[6:7]
	v_mov_b32_e32 v10, s10
	s_xor_b64 exec, exec, s[6:7]
	s_cbranch_execz .LBB29_146
.LBB29_2196:
	v_cmp_ne_u16_e32 vcc, 0, v11
	s_andn2_b64 s[4:5], s[4:5], exec
	s_and_b64 s[8:9], vcc, exec
	v_mov_b32_e32 v10, 0
	s_or_b64 s[4:5], s[4:5], s[8:9]
	s_or_b64 exec, exec, s[6:7]
	s_and_saveexec_b64 s[6:7], s[4:5]
	s_cbranch_execnz .LBB29_147
	s_branch .LBB29_148
.LBB29_2197:
	s_movk_i32 s4, 0x80
	v_cmp_eq_u16_e32 vcc, s4, v11
	s_mov_b64 s[4:5], -1
                                        ; implicit-def: $sgpr10
	s_and_saveexec_b64 s[8:9], vcc
; %bb.2198:
	s_mov_b32 s10, 0x7f800001
	s_xor_b64 s[4:5], exec, -1
; %bb.2199:
	s_or_b64 exec, exec, s[8:9]
	s_and_b64 s[4:5], s[4:5], exec
                                        ; implicit-def: $vgpr11
	s_or_saveexec_b64 s[6:7], s[6:7]
	v_mov_b32_e32 v12, s10
	s_xor_b64 exec, exec, s[6:7]
	s_cbranch_execz .LBB29_150
.LBB29_2200:
	v_cmp_ne_u16_e32 vcc, 0, v11
	s_andn2_b64 s[4:5], s[4:5], exec
	s_and_b64 s[8:9], vcc, exec
	v_mov_b32_e32 v12, 0
	s_or_b64 s[4:5], s[4:5], s[8:9]
	s_or_b64 exec, exec, s[6:7]
	s_and_saveexec_b64 s[6:7], s[4:5]
	s_cbranch_execnz .LBB29_151
	s_branch .LBB29_152
.LBB29_2201:
	s_movk_i32 s4, 0x80
	v_cmp_eq_u16_sdwa s[12:13], v6, s4 src0_sel:BYTE_3 src1_sel:DWORD
	s_mov_b64 s[4:5], -1
                                        ; implicit-def: $sgpr10
	s_and_saveexec_b64 s[8:9], s[12:13]
; %bb.2202:
	s_mov_b32 s10, 0x7f800001
	s_xor_b64 s[4:5], exec, -1
; %bb.2203:
	s_or_b64 exec, exec, s[8:9]
	s_and_b64 s[4:5], s[4:5], exec
	s_or_saveexec_b64 s[6:7], s[6:7]
	v_mov_b32_e32 v10, s10
	s_xor_b64 exec, exec, s[6:7]
	s_cbranch_execz .LBB29_154
.LBB29_2204:
	v_mov_b32_e32 v10, 0
	v_cmp_ne_u16_sdwa s[8:9], v6, v10 src0_sel:BYTE_3 src1_sel:DWORD
	s_andn2_b64 s[4:5], s[4:5], exec
	s_and_b64 s[8:9], s[8:9], exec
	s_or_b64 s[4:5], s[4:5], s[8:9]
	s_or_b64 exec, exec, s[6:7]
	s_and_saveexec_b64 s[6:7], s[4:5]
	s_cbranch_execnz .LBB29_155
	s_branch .LBB29_156
.LBB29_2205:
	s_movk_i32 s4, 0x80
	v_cmp_eq_u16_sdwa s[12:13], v2, s4 src0_sel:BYTE_3 src1_sel:DWORD
	s_mov_b64 s[4:5], -1
                                        ; implicit-def: $sgpr10
	s_and_saveexec_b64 s[8:9], s[12:13]
; %bb.2206:
	s_mov_b32 s10, 0x7f800001
	s_xor_b64 s[4:5], exec, -1
; %bb.2207:
	s_or_b64 exec, exec, s[8:9]
	s_and_b64 s[4:5], s[4:5], exec
	s_or_saveexec_b64 s[6:7], s[6:7]
	v_mov_b32_e32 v6, s10
	s_xor_b64 exec, exec, s[6:7]
	s_cbranch_execz .LBB29_158
.LBB29_2208:
	v_mov_b32_e32 v6, 0
	v_cmp_ne_u16_sdwa s[8:9], v2, v6 src0_sel:BYTE_3 src1_sel:DWORD
	s_andn2_b64 s[4:5], s[4:5], exec
	s_and_b64 s[8:9], s[8:9], exec
	s_or_b64 s[4:5], s[4:5], s[8:9]
	s_or_b64 exec, exec, s[6:7]
	s_and_saveexec_b64 s[6:7], s[4:5]
	s_cbranch_execnz .LBB29_159
	s_branch .LBB29_160
.LBB29_2209:
	s_movk_i32 s4, 0x80
	v_cmp_eq_u16_sdwa s[12:13], v7, s4 src0_sel:BYTE_0 src1_sel:DWORD
	s_mov_b64 s[4:5], -1
                                        ; implicit-def: $sgpr10
	s_and_saveexec_b64 s[8:9], s[12:13]
; %bb.2210:
	s_mov_b32 s10, 0x7f800001
	s_xor_b64 s[4:5], exec, -1
; %bb.2211:
	s_or_b64 exec, exec, s[8:9]
	s_and_b64 s[4:5], s[4:5], exec
	s_or_saveexec_b64 s[6:7], s[6:7]
	v_mov_b32_e32 v2, s10
	s_xor_b64 exec, exec, s[6:7]
	s_cbranch_execz .LBB29_162
.LBB29_2212:
	v_mov_b32_e32 v2, 0
	v_cmp_ne_u16_sdwa s[8:9], v7, v2 src0_sel:BYTE_0 src1_sel:DWORD
	s_andn2_b64 s[4:5], s[4:5], exec
	s_and_b64 s[8:9], s[8:9], exec
	s_or_b64 s[4:5], s[4:5], s[8:9]
	s_or_b64 exec, exec, s[6:7]
	s_and_saveexec_b64 s[6:7], s[4:5]
	s_cbranch_execnz .LBB29_163
	s_branch .LBB29_164
.LBB29_2213:
	s_movk_i32 s4, 0x80
	v_cmp_eq_u16_sdwa s[12:13], v3, s4 src0_sel:BYTE_0 src1_sel:DWORD
	s_mov_b64 s[4:5], -1
                                        ; implicit-def: $sgpr10
	s_and_saveexec_b64 s[8:9], s[12:13]
; %bb.2214:
	s_mov_b32 s10, 0x7f800001
	s_xor_b64 s[4:5], exec, -1
; %bb.2215:
	s_or_b64 exec, exec, s[8:9]
	s_and_b64 s[4:5], s[4:5], exec
	s_or_saveexec_b64 s[6:7], s[6:7]
	v_mov_b32_e32 v6, s10
	s_xor_b64 exec, exec, s[6:7]
	s_cbranch_execz .LBB29_166
.LBB29_2216:
	v_mov_b32_e32 v6, 0
	v_cmp_ne_u16_sdwa s[8:9], v3, v6 src0_sel:BYTE_0 src1_sel:DWORD
	s_andn2_b64 s[4:5], s[4:5], exec
	s_and_b64 s[8:9], s[8:9], exec
	s_or_b64 s[4:5], s[4:5], s[8:9]
	s_or_b64 exec, exec, s[6:7]
	s_and_saveexec_b64 s[6:7], s[4:5]
	s_cbranch_execnz .LBB29_167
	s_branch .LBB29_168
.LBB29_2217:
	s_movk_i32 s4, 0x80
	v_cmp_eq_u16_sdwa s[12:13], v6, s4 src0_sel:BYTE_0 src1_sel:DWORD
	s_mov_b64 s[4:5], -1
                                        ; implicit-def: $sgpr10
	s_and_saveexec_b64 s[8:9], s[12:13]
; %bb.2218:
	s_mov_b32 s10, 0x7f800001
	s_xor_b64 s[4:5], exec, -1
; %bb.2219:
	s_or_b64 exec, exec, s[8:9]
	s_and_b64 s[4:5], s[4:5], exec
	s_or_saveexec_b64 s[6:7], s[6:7]
	v_mov_b32_e32 v2, s10
	s_xor_b64 exec, exec, s[6:7]
	s_cbranch_execz .LBB29_170
.LBB29_2220:
	v_mov_b32_e32 v2, 0
	v_cmp_ne_u16_sdwa s[8:9], v6, v2 src0_sel:BYTE_0 src1_sel:DWORD
	s_andn2_b64 s[4:5], s[4:5], exec
	s_and_b64 s[8:9], s[8:9], exec
	s_or_b64 s[4:5], s[4:5], s[8:9]
	s_or_b64 exec, exec, s[6:7]
	s_and_saveexec_b64 s[6:7], s[4:5]
	s_cbranch_execnz .LBB29_171
	s_branch .LBB29_172
.LBB29_2221:
	s_movk_i32 s4, 0x80
	v_cmp_eq_u16_sdwa s[12:13], v6, s4 src0_sel:BYTE_0 src1_sel:DWORD
	s_mov_b64 s[4:5], -1
                                        ; implicit-def: $sgpr10
	s_and_saveexec_b64 s[8:9], s[12:13]
; %bb.2222:
	s_mov_b32 s10, 0x7f800001
	s_xor_b64 s[4:5], exec, -1
; %bb.2223:
	s_or_b64 exec, exec, s[8:9]
	s_and_b64 s[4:5], s[4:5], exec
	s_or_saveexec_b64 s[6:7], s[6:7]
	v_mov_b32_e32 v10, s10
	s_xor_b64 exec, exec, s[6:7]
	s_cbranch_execz .LBB29_174
.LBB29_2224:
	v_mov_b32_e32 v10, 0
	v_cmp_ne_u16_sdwa s[8:9], v6, v10 src0_sel:BYTE_0 src1_sel:DWORD
	s_andn2_b64 s[4:5], s[4:5], exec
	s_and_b64 s[8:9], s[8:9], exec
	s_or_b64 s[4:5], s[4:5], s[8:9]
	s_or_b64 exec, exec, s[6:7]
	s_and_saveexec_b64 s[6:7], s[4:5]
	s_cbranch_execnz .LBB29_175
	s_branch .LBB29_176
.LBB29_2225:
	s_movk_i32 s4, 0x80
	v_cmp_eq_u16_e32 vcc, s4, v6
	s_mov_b64 s[4:5], -1
                                        ; implicit-def: $sgpr10
	s_and_saveexec_b64 s[8:9], vcc
; %bb.2226:
	s_mov_b32 s10, 0x7f800001
	s_xor_b64 s[4:5], exec, -1
; %bb.2227:
	s_or_b64 exec, exec, s[8:9]
	s_and_b64 s[4:5], s[4:5], exec
                                        ; implicit-def: $vgpr6
	s_or_saveexec_b64 s[6:7], s[6:7]
	v_mov_b32_e32 v2, s10
	s_xor_b64 exec, exec, s[6:7]
	s_cbranch_execz .LBB29_178
.LBB29_2228:
	v_cmp_ne_u16_e32 vcc, 0, v6
	s_andn2_b64 s[4:5], s[4:5], exec
	s_and_b64 s[8:9], vcc, exec
	v_mov_b32_e32 v2, 0
	s_or_b64 s[4:5], s[4:5], s[8:9]
	s_or_b64 exec, exec, s[6:7]
	s_and_saveexec_b64 s[6:7], s[4:5]
	s_cbranch_execnz .LBB29_179
	s_branch .LBB29_180
.LBB29_2229:
	s_movk_i32 s4, 0x80
	v_cmp_eq_u16_e32 vcc, s4, v6
	s_mov_b64 s[4:5], -1
                                        ; implicit-def: $sgpr10
	s_and_saveexec_b64 s[8:9], vcc
; %bb.2230:
	s_mov_b32 s10, 0x7f800001
	s_xor_b64 s[4:5], exec, -1
; %bb.2231:
	s_or_b64 exec, exec, s[8:9]
	s_and_b64 s[4:5], s[4:5], exec
                                        ; implicit-def: $vgpr6
	s_or_saveexec_b64 s[6:7], s[6:7]
	v_mov_b32_e32 v10, s10
	s_xor_b64 exec, exec, s[6:7]
	s_cbranch_execz .LBB29_182
.LBB29_2232:
	v_cmp_ne_u16_e32 vcc, 0, v6
	s_andn2_b64 s[4:5], s[4:5], exec
	s_and_b64 s[8:9], vcc, exec
	v_mov_b32_e32 v10, 0
	s_or_b64 s[4:5], s[4:5], s[8:9]
	s_or_b64 exec, exec, s[6:7]
	s_and_saveexec_b64 s[6:7], s[4:5]
	s_cbranch_execnz .LBB29_183
	s_branch .LBB29_184
.LBB29_2233:
	s_movk_i32 s4, 0x80
	v_cmp_eq_u16_sdwa s[12:13], v7, s4 src0_sel:BYTE_3 src1_sel:DWORD
	s_mov_b64 s[4:5], -1
                                        ; implicit-def: $sgpr10
	s_and_saveexec_b64 s[8:9], s[12:13]
; %bb.2234:
	s_mov_b32 s10, 0x7f800001
	s_xor_b64 s[4:5], exec, -1
; %bb.2235:
	s_or_b64 exec, exec, s[8:9]
	s_and_b64 s[4:5], s[4:5], exec
	s_or_saveexec_b64 s[6:7], s[6:7]
	v_mov_b32_e32 v2, s10
	s_xor_b64 exec, exec, s[6:7]
	s_cbranch_execz .LBB29_186
.LBB29_2236:
	v_mov_b32_e32 v2, 0
	v_cmp_ne_u16_sdwa s[8:9], v7, v2 src0_sel:BYTE_3 src1_sel:DWORD
	s_andn2_b64 s[4:5], s[4:5], exec
	s_and_b64 s[8:9], s[8:9], exec
	s_or_b64 s[4:5], s[4:5], s[8:9]
	s_or_b64 exec, exec, s[6:7]
	s_and_saveexec_b64 s[6:7], s[4:5]
	s_cbranch_execnz .LBB29_187
	s_branch .LBB29_188
.LBB29_2237:
	s_movk_i32 s4, 0x80
	v_cmp_eq_u16_sdwa s[12:13], v3, s4 src0_sel:BYTE_3 src1_sel:DWORD
	s_mov_b64 s[4:5], -1
                                        ; implicit-def: $sgpr10
	s_and_saveexec_b64 s[8:9], s[12:13]
; %bb.2238:
	s_mov_b32 s10, 0x7f800001
	s_xor_b64 s[4:5], exec, -1
; %bb.2239:
	s_or_b64 exec, exec, s[8:9]
	s_and_b64 s[4:5], s[4:5], exec
	s_or_saveexec_b64 s[6:7], s[6:7]
	v_mov_b32_e32 v6, s10
	s_xor_b64 exec, exec, s[6:7]
	s_cbranch_execz .LBB29_190
.LBB29_2240:
	v_mov_b32_e32 v6, 0
	v_cmp_ne_u16_sdwa s[8:9], v3, v6 src0_sel:BYTE_3 src1_sel:DWORD
	s_andn2_b64 s[4:5], s[4:5], exec
	s_and_b64 s[8:9], s[8:9], exec
	s_or_b64 s[4:5], s[4:5], s[8:9]
	s_or_b64 exec, exec, s[6:7]
	s_and_saveexec_b64 s[6:7], s[4:5]
	s_cbranch_execnz .LBB29_191
	s_branch .LBB29_192
.LBB29_2241:
	s_movk_i32 s4, 0x80
	v_cmp_eq_u16_sdwa s[12:13], v8, s4 src0_sel:BYTE_0 src1_sel:DWORD
	s_mov_b64 s[4:5], -1
                                        ; implicit-def: $sgpr10
	s_and_saveexec_b64 s[8:9], s[12:13]
; %bb.2242:
	s_mov_b32 s10, 0x7f800001
	s_xor_b64 s[4:5], exec, -1
; %bb.2243:
	s_or_b64 exec, exec, s[8:9]
	s_and_b64 s[4:5], s[4:5], exec
	s_or_saveexec_b64 s[6:7], s[6:7]
	v_mov_b32_e32 v2, s10
	s_xor_b64 exec, exec, s[6:7]
	s_cbranch_execz .LBB29_194
.LBB29_2244:
	v_mov_b32_e32 v2, 0
	v_cmp_ne_u16_sdwa s[8:9], v8, v2 src0_sel:BYTE_0 src1_sel:DWORD
	s_andn2_b64 s[4:5], s[4:5], exec
	s_and_b64 s[8:9], s[8:9], exec
	s_or_b64 s[4:5], s[4:5], s[8:9]
	s_or_b64 exec, exec, s[6:7]
	s_and_saveexec_b64 s[6:7], s[4:5]
	s_cbranch_execnz .LBB29_195
	s_branch .LBB29_196
.LBB29_2245:
	s_movk_i32 s4, 0x80
	v_cmp_eq_u16_sdwa s[12:13], v4, s4 src0_sel:BYTE_0 src1_sel:DWORD
	s_mov_b64 s[4:5], -1
                                        ; implicit-def: $sgpr10
	s_and_saveexec_b64 s[8:9], s[12:13]
; %bb.2246:
	s_mov_b32 s10, 0x7f800001
	s_xor_b64 s[4:5], exec, -1
; %bb.2247:
	s_or_b64 exec, exec, s[8:9]
	s_and_b64 s[4:5], s[4:5], exec
	s_or_saveexec_b64 s[6:7], s[6:7]
	v_mov_b32_e32 v3, s10
	s_xor_b64 exec, exec, s[6:7]
	s_cbranch_execz .LBB29_198
.LBB29_2248:
	v_mov_b32_e32 v3, 0
	v_cmp_ne_u16_sdwa s[8:9], v4, v3 src0_sel:BYTE_0 src1_sel:DWORD
	s_andn2_b64 s[4:5], s[4:5], exec
	s_and_b64 s[8:9], s[8:9], exec
	s_or_b64 s[4:5], s[4:5], s[8:9]
	s_or_b64 exec, exec, s[6:7]
	s_and_saveexec_b64 s[6:7], s[4:5]
	s_cbranch_execnz .LBB29_199
	s_branch .LBB29_200
.LBB29_2249:
	s_movk_i32 s4, 0x80
	v_cmp_eq_u16_sdwa s[12:13], v3, s4 src0_sel:BYTE_0 src1_sel:DWORD
	s_mov_b64 s[4:5], -1
                                        ; implicit-def: $sgpr10
	s_and_saveexec_b64 s[8:9], s[12:13]
; %bb.2250:
	s_mov_b32 s10, 0x7f800001
	s_xor_b64 s[4:5], exec, -1
; %bb.2251:
	s_or_b64 exec, exec, s[8:9]
	s_and_b64 s[4:5], s[4:5], exec
	s_or_saveexec_b64 s[6:7], s[6:7]
	v_mov_b32_e32 v2, s10
	s_xor_b64 exec, exec, s[6:7]
	s_cbranch_execz .LBB29_202
.LBB29_2252:
	v_mov_b32_e32 v2, 0
	v_cmp_ne_u16_sdwa s[8:9], v3, v2 src0_sel:BYTE_0 src1_sel:DWORD
	s_andn2_b64 s[4:5], s[4:5], exec
	s_and_b64 s[8:9], s[8:9], exec
	s_or_b64 s[4:5], s[4:5], s[8:9]
	s_or_b64 exec, exec, s[6:7]
	s_and_saveexec_b64 s[6:7], s[4:5]
	s_cbranch_execnz .LBB29_203
	s_branch .LBB29_204
.LBB29_2253:
	s_movk_i32 s4, 0x80
	v_cmp_eq_u16_sdwa s[12:13], v3, s4 src0_sel:BYTE_0 src1_sel:DWORD
	s_mov_b64 s[4:5], -1
                                        ; implicit-def: $sgpr10
	s_and_saveexec_b64 s[8:9], s[12:13]
; %bb.2254:
	s_mov_b32 s10, 0x7f800001
	s_xor_b64 s[4:5], exec, -1
; %bb.2255:
	s_or_b64 exec, exec, s[8:9]
	s_and_b64 s[4:5], s[4:5], exec
	s_or_saveexec_b64 s[6:7], s[6:7]
	v_mov_b32_e32 v6, s10
	s_xor_b64 exec, exec, s[6:7]
	s_cbranch_execz .LBB29_206
.LBB29_2256:
	v_mov_b32_e32 v6, 0
	v_cmp_ne_u16_sdwa s[8:9], v3, v6 src0_sel:BYTE_0 src1_sel:DWORD
	s_andn2_b64 s[4:5], s[4:5], exec
	s_and_b64 s[8:9], s[8:9], exec
	s_or_b64 s[4:5], s[4:5], s[8:9]
	s_or_b64 exec, exec, s[6:7]
	s_and_saveexec_b64 s[6:7], s[4:5]
	s_cbranch_execnz .LBB29_207
	s_branch .LBB29_208
.LBB29_2257:
	s_movk_i32 s4, 0x80
	v_cmp_eq_u16_e32 vcc, s4, v3
	s_mov_b64 s[4:5], -1
                                        ; implicit-def: $sgpr10
	s_and_saveexec_b64 s[8:9], vcc
; %bb.2258:
	s_mov_b32 s10, 0x7f800001
	s_xor_b64 s[4:5], exec, -1
; %bb.2259:
	s_or_b64 exec, exec, s[8:9]
	s_and_b64 s[4:5], s[4:5], exec
                                        ; implicit-def: $vgpr3
	s_or_saveexec_b64 s[6:7], s[6:7]
	v_mov_b32_e32 v2, s10
	s_xor_b64 exec, exec, s[6:7]
	s_cbranch_execz .LBB29_210
.LBB29_2260:
	v_cmp_ne_u16_e32 vcc, 0, v3
	s_andn2_b64 s[4:5], s[4:5], exec
	s_and_b64 s[8:9], vcc, exec
	v_mov_b32_e32 v2, 0
	s_or_b64 s[4:5], s[4:5], s[8:9]
	s_or_b64 exec, exec, s[6:7]
	s_and_saveexec_b64 s[6:7], s[4:5]
	s_cbranch_execnz .LBB29_211
	s_branch .LBB29_212
.LBB29_2261:
	s_movk_i32 s4, 0x80
	v_cmp_eq_u16_e32 vcc, s4, v3
	s_mov_b64 s[4:5], -1
                                        ; implicit-def: $sgpr10
	s_and_saveexec_b64 s[8:9], vcc
; %bb.2262:
	s_mov_b32 s10, 0x7f800001
	s_xor_b64 s[4:5], exec, -1
; %bb.2263:
	s_or_b64 exec, exec, s[8:9]
	s_and_b64 s[4:5], s[4:5], exec
                                        ; implicit-def: $vgpr3
	s_or_saveexec_b64 s[6:7], s[6:7]
	v_mov_b32_e32 v6, s10
	s_xor_b64 exec, exec, s[6:7]
	s_cbranch_execz .LBB29_214
.LBB29_2264:
	v_cmp_ne_u16_e32 vcc, 0, v3
	s_andn2_b64 s[4:5], s[4:5], exec
	s_and_b64 s[8:9], vcc, exec
	v_mov_b32_e32 v6, 0
	s_or_b64 s[4:5], s[4:5], s[8:9]
	s_or_b64 exec, exec, s[6:7]
	s_and_saveexec_b64 s[6:7], s[4:5]
	s_cbranch_execnz .LBB29_215
	s_branch .LBB29_216
.LBB29_2265:
	s_movk_i32 s4, 0x80
	v_cmp_eq_u16_sdwa s[12:13], v8, s4 src0_sel:BYTE_3 src1_sel:DWORD
	s_mov_b64 s[4:5], -1
                                        ; implicit-def: $sgpr10
	s_and_saveexec_b64 s[8:9], s[12:13]
; %bb.2266:
	s_mov_b32 s10, 0x7f800001
	s_xor_b64 s[4:5], exec, -1
; %bb.2267:
	s_or_b64 exec, exec, s[8:9]
	s_and_b64 s[4:5], s[4:5], exec
	s_or_saveexec_b64 s[6:7], s[6:7]
	v_mov_b32_e32 v2, s10
	s_xor_b64 exec, exec, s[6:7]
	s_cbranch_execz .LBB29_218
.LBB29_2268:
	v_mov_b32_e32 v2, 0
	v_cmp_ne_u16_sdwa s[8:9], v8, v2 src0_sel:BYTE_3 src1_sel:DWORD
	s_andn2_b64 s[4:5], s[4:5], exec
	s_and_b64 s[8:9], s[8:9], exec
	s_or_b64 s[4:5], s[4:5], s[8:9]
	s_or_b64 exec, exec, s[6:7]
	s_and_saveexec_b64 s[6:7], s[4:5]
	s_cbranch_execnz .LBB29_219
	s_branch .LBB29_220
.LBB29_2269:
	s_movk_i32 s4, 0x80
	v_cmp_eq_u16_sdwa s[12:13], v4, s4 src0_sel:BYTE_3 src1_sel:DWORD
	s_mov_b64 s[4:5], -1
                                        ; implicit-def: $sgpr10
	s_and_saveexec_b64 s[8:9], s[12:13]
; %bb.2270:
	s_mov_b32 s10, 0x7f800001
	s_xor_b64 s[4:5], exec, -1
; %bb.2271:
	s_or_b64 exec, exec, s[8:9]
	s_and_b64 s[4:5], s[4:5], exec
	s_or_saveexec_b64 s[6:7], s[6:7]
	v_mov_b32_e32 v3, s10
	s_xor_b64 exec, exec, s[6:7]
	s_cbranch_execz .LBB29_222
.LBB29_2272:
	v_mov_b32_e32 v3, 0
	v_cmp_ne_u16_sdwa s[8:9], v4, v3 src0_sel:BYTE_3 src1_sel:DWORD
	s_andn2_b64 s[4:5], s[4:5], exec
	s_and_b64 s[8:9], s[8:9], exec
	s_or_b64 s[4:5], s[4:5], s[8:9]
	s_or_b64 exec, exec, s[6:7]
	s_and_saveexec_b64 s[6:7], s[4:5]
	s_cbranch_execnz .LBB29_223
	s_branch .LBB29_224
.LBB29_2273:
	s_movk_i32 s4, 0x80
	v_cmp_eq_u16_sdwa s[12:13], v9, s4 src0_sel:BYTE_0 src1_sel:DWORD
	s_mov_b64 s[4:5], -1
                                        ; implicit-def: $sgpr10
	s_and_saveexec_b64 s[8:9], s[12:13]
; %bb.2274:
	s_mov_b32 s10, 0x7f800001
	s_xor_b64 s[4:5], exec, -1
; %bb.2275:
	s_or_b64 exec, exec, s[8:9]
	s_and_b64 s[4:5], s[4:5], exec
	s_or_saveexec_b64 s[6:7], s[6:7]
	v_mov_b32_e32 v2, s10
	s_xor_b64 exec, exec, s[6:7]
	s_cbranch_execz .LBB29_226
.LBB29_2276:
	v_mov_b32_e32 v2, 0
	v_cmp_ne_u16_sdwa s[8:9], v9, v2 src0_sel:BYTE_0 src1_sel:DWORD
	s_andn2_b64 s[4:5], s[4:5], exec
	s_and_b64 s[8:9], s[8:9], exec
	s_or_b64 s[4:5], s[4:5], s[8:9]
	s_or_b64 exec, exec, s[6:7]
	s_and_saveexec_b64 s[6:7], s[4:5]
	s_cbranch_execnz .LBB29_227
	s_branch .LBB29_228
.LBB29_2277:
	s_movk_i32 s4, 0x80
	v_cmp_eq_u16_sdwa s[12:13], v5, s4 src0_sel:BYTE_0 src1_sel:DWORD
	s_mov_b64 s[4:5], -1
                                        ; implicit-def: $sgpr10
	s_and_saveexec_b64 s[8:9], s[12:13]
; %bb.2278:
	s_mov_b32 s10, 0x7f800001
	s_xor_b64 s[4:5], exec, -1
; %bb.2279:
	s_or_b64 exec, exec, s[8:9]
	s_and_b64 s[4:5], s[4:5], exec
	s_or_saveexec_b64 s[6:7], s[6:7]
	v_mov_b32_e32 v3, s10
	s_xor_b64 exec, exec, s[6:7]
	s_cbranch_execz .LBB29_230
.LBB29_2280:
	v_mov_b32_e32 v3, 0
	v_cmp_ne_u16_sdwa s[8:9], v5, v3 src0_sel:BYTE_0 src1_sel:DWORD
	s_andn2_b64 s[4:5], s[4:5], exec
	s_and_b64 s[8:9], s[8:9], exec
	s_or_b64 s[4:5], s[4:5], s[8:9]
	s_or_b64 exec, exec, s[6:7]
	s_and_saveexec_b64 s[6:7], s[4:5]
	s_cbranch_execnz .LBB29_231
	s_branch .LBB29_232
.LBB29_2281:
	s_movk_i32 s4, 0x80
	v_cmp_eq_u16_sdwa s[12:13], v3, s4 src0_sel:BYTE_0 src1_sel:DWORD
	s_mov_b64 s[4:5], -1
                                        ; implicit-def: $sgpr10
	s_and_saveexec_b64 s[8:9], s[12:13]
; %bb.2282:
	s_mov_b32 s10, 0x7f800001
	s_xor_b64 s[4:5], exec, -1
; %bb.2283:
	s_or_b64 exec, exec, s[8:9]
	s_and_b64 s[4:5], s[4:5], exec
	s_or_saveexec_b64 s[6:7], s[6:7]
	v_mov_b32_e32 v2, s10
	s_xor_b64 exec, exec, s[6:7]
	s_cbranch_execz .LBB29_234
.LBB29_2284:
	v_mov_b32_e32 v2, 0
	v_cmp_ne_u16_sdwa s[8:9], v3, v2 src0_sel:BYTE_0 src1_sel:DWORD
	s_andn2_b64 s[4:5], s[4:5], exec
	s_and_b64 s[8:9], s[8:9], exec
	s_or_b64 s[4:5], s[4:5], s[8:9]
	s_or_b64 exec, exec, s[6:7]
	s_and_saveexec_b64 s[6:7], s[4:5]
	s_cbranch_execnz .LBB29_235
	s_branch .LBB29_236
.LBB29_2285:
	s_movk_i32 s4, 0x80
	v_cmp_eq_u16_sdwa s[12:13], v3, s4 src0_sel:BYTE_0 src1_sel:DWORD
	s_mov_b64 s[4:5], -1
                                        ; implicit-def: $sgpr10
	s_and_saveexec_b64 s[8:9], s[12:13]
; %bb.2286:
	s_mov_b32 s10, 0x7f800001
	s_xor_b64 s[4:5], exec, -1
; %bb.2287:
	s_or_b64 exec, exec, s[8:9]
	s_and_b64 s[4:5], s[4:5], exec
	s_or_saveexec_b64 s[6:7], s[6:7]
	v_mov_b32_e32 v4, s10
	s_xor_b64 exec, exec, s[6:7]
	s_cbranch_execz .LBB29_238
.LBB29_2288:
	v_mov_b32_e32 v4, 0
	v_cmp_ne_u16_sdwa s[8:9], v3, v4 src0_sel:BYTE_0 src1_sel:DWORD
	s_andn2_b64 s[4:5], s[4:5], exec
	s_and_b64 s[8:9], s[8:9], exec
	s_or_b64 s[4:5], s[4:5], s[8:9]
	s_or_b64 exec, exec, s[6:7]
	s_and_saveexec_b64 s[6:7], s[4:5]
	s_cbranch_execnz .LBB29_239
	s_branch .LBB29_240
.LBB29_2289:
	s_movk_i32 s4, 0x80
	v_cmp_eq_u16_e32 vcc, s4, v3
	s_mov_b64 s[4:5], -1
                                        ; implicit-def: $sgpr10
	s_and_saveexec_b64 s[8:9], vcc
; %bb.2290:
	s_mov_b32 s10, 0x7f800001
	s_xor_b64 s[4:5], exec, -1
; %bb.2291:
	s_or_b64 exec, exec, s[8:9]
	s_and_b64 s[4:5], s[4:5], exec
                                        ; implicit-def: $vgpr3
	s_or_saveexec_b64 s[6:7], s[6:7]
	v_mov_b32_e32 v2, s10
	s_xor_b64 exec, exec, s[6:7]
	s_cbranch_execz .LBB29_242
.LBB29_2292:
	v_cmp_ne_u16_e32 vcc, 0, v3
	s_andn2_b64 s[4:5], s[4:5], exec
	s_and_b64 s[8:9], vcc, exec
	v_mov_b32_e32 v2, 0
	s_or_b64 s[4:5], s[4:5], s[8:9]
	s_or_b64 exec, exec, s[6:7]
	s_and_saveexec_b64 s[6:7], s[4:5]
	s_cbranch_execnz .LBB29_243
	s_branch .LBB29_244
.LBB29_2293:
	s_movk_i32 s4, 0x80
	v_cmp_eq_u16_e32 vcc, s4, v3
	s_mov_b64 s[4:5], -1
                                        ; implicit-def: $sgpr10
	s_and_saveexec_b64 s[8:9], vcc
; %bb.2294:
	s_mov_b32 s10, 0x7f800001
	s_xor_b64 s[4:5], exec, -1
; %bb.2295:
	s_or_b64 exec, exec, s[8:9]
	s_and_b64 s[4:5], s[4:5], exec
                                        ; implicit-def: $vgpr3
	s_or_saveexec_b64 s[6:7], s[6:7]
	v_mov_b32_e32 v4, s10
	s_xor_b64 exec, exec, s[6:7]
	s_cbranch_execz .LBB29_246
.LBB29_2296:
	v_cmp_ne_u16_e32 vcc, 0, v3
	s_andn2_b64 s[4:5], s[4:5], exec
	s_and_b64 s[8:9], vcc, exec
	v_mov_b32_e32 v4, 0
	s_or_b64 s[4:5], s[4:5], s[8:9]
	s_or_b64 exec, exec, s[6:7]
	s_and_saveexec_b64 s[6:7], s[4:5]
	s_cbranch_execnz .LBB29_247
	s_branch .LBB29_248
.LBB29_2297:
	s_movk_i32 s4, 0x80
	v_cmp_eq_u16_sdwa s[12:13], v9, s4 src0_sel:BYTE_3 src1_sel:DWORD
	s_mov_b64 s[4:5], -1
                                        ; implicit-def: $sgpr10
	s_and_saveexec_b64 s[8:9], s[12:13]
; %bb.2298:
	s_mov_b32 s10, 0x7f800001
	s_xor_b64 s[4:5], exec, -1
; %bb.2299:
	s_or_b64 exec, exec, s[8:9]
	s_and_b64 s[4:5], s[4:5], exec
	s_or_saveexec_b64 s[6:7], s[6:7]
	v_mov_b32_e32 v2, s10
	s_xor_b64 exec, exec, s[6:7]
	s_cbranch_execz .LBB29_250
.LBB29_2300:
	v_mov_b32_e32 v2, 0
	v_cmp_ne_u16_sdwa s[8:9], v9, v2 src0_sel:BYTE_3 src1_sel:DWORD
	s_andn2_b64 s[4:5], s[4:5], exec
	s_and_b64 s[8:9], s[8:9], exec
	s_or_b64 s[4:5], s[4:5], s[8:9]
	s_or_b64 exec, exec, s[6:7]
	s_and_saveexec_b64 s[6:7], s[4:5]
	s_cbranch_execnz .LBB29_251
	s_branch .LBB29_252
.LBB29_2301:
	s_movk_i32 s4, 0x80
	v_cmp_eq_u16_sdwa s[12:13], v5, s4 src0_sel:BYTE_3 src1_sel:DWORD
	s_mov_b64 s[4:5], -1
                                        ; implicit-def: $sgpr10
	s_and_saveexec_b64 s[8:9], s[12:13]
; %bb.2302:
	s_mov_b32 s10, 0x7f800001
	s_xor_b64 s[4:5], exec, -1
; %bb.2303:
	s_or_b64 exec, exec, s[8:9]
	s_and_b64 s[4:5], s[4:5], exec
	s_or_saveexec_b64 s[6:7], s[6:7]
	v_mov_b32_e32 v3, s10
	s_xor_b64 exec, exec, s[6:7]
	s_cbranch_execz .LBB29_254
.LBB29_2304:
	v_mov_b32_e32 v3, 0
	v_cmp_ne_u16_sdwa s[8:9], v5, v3 src0_sel:BYTE_3 src1_sel:DWORD
	s_andn2_b64 s[4:5], s[4:5], exec
	s_and_b64 s[8:9], s[8:9], exec
	s_or_b64 s[4:5], s[4:5], s[8:9]
	s_or_b64 exec, exec, s[6:7]
	s_and_saveexec_b64 s[6:7], s[4:5]
	s_cbranch_execnz .LBB29_255
	s_branch .LBB29_256
.LBB29_2305:
	s_movk_i32 s4, 0x80
	v_cmp_eq_u16_sdwa s[12:13], v14, s4 src0_sel:BYTE_0 src1_sel:DWORD
	s_mov_b64 s[4:5], -1
                                        ; implicit-def: $sgpr10
	s_and_saveexec_b64 s[8:9], s[12:13]
; %bb.2306:
	s_mov_b32 s10, 0x7f800001
	s_xor_b64 s[4:5], exec, -1
; %bb.2307:
	s_or_b64 exec, exec, s[8:9]
	s_and_b64 s[4:5], s[4:5], exec
	s_or_saveexec_b64 s[6:7], s[6:7]
	v_mov_b32_e32 v20, s10
	s_xor_b64 exec, exec, s[6:7]
	s_cbranch_execz .LBB29_258
.LBB29_2308:
	v_mov_b32_e32 v20, 0
	v_cmp_ne_u16_sdwa s[8:9], v14, v20 src0_sel:BYTE_0 src1_sel:DWORD
	s_andn2_b64 s[4:5], s[4:5], exec
	s_and_b64 s[8:9], s[8:9], exec
	s_or_b64 s[4:5], s[4:5], s[8:9]
	s_or_b64 exec, exec, s[6:7]
	s_and_saveexec_b64 s[6:7], s[4:5]
	s_cbranch_execnz .LBB29_259
	s_branch .LBB29_260
.LBB29_2309:
	s_movk_i32 s4, 0x80
	v_cmp_eq_u16_sdwa s[12:13], v10, s4 src0_sel:BYTE_0 src1_sel:DWORD
	s_mov_b64 s[4:5], -1
                                        ; implicit-def: $sgpr10
	s_and_saveexec_b64 s[8:9], s[12:13]
; %bb.2310:
	s_mov_b32 s10, 0x7f800001
	s_xor_b64 s[4:5], exec, -1
; %bb.2311:
	s_or_b64 exec, exec, s[8:9]
	s_and_b64 s[4:5], s[4:5], exec
	s_or_saveexec_b64 s[6:7], s[6:7]
	v_mov_b32_e32 v21, s10
	s_xor_b64 exec, exec, s[6:7]
	s_cbranch_execz .LBB29_262
.LBB29_2312:
	v_mov_b32_e32 v21, 0
	v_cmp_ne_u16_sdwa s[8:9], v10, v21 src0_sel:BYTE_0 src1_sel:DWORD
	s_andn2_b64 s[4:5], s[4:5], exec
	s_and_b64 s[8:9], s[8:9], exec
	s_or_b64 s[4:5], s[4:5], s[8:9]
	s_or_b64 exec, exec, s[6:7]
	s_and_saveexec_b64 s[6:7], s[4:5]
	s_cbranch_execnz .LBB29_263
	s_branch .LBB29_264
.LBB29_2313:
	s_movk_i32 s4, 0x80
	v_cmp_eq_u16_sdwa s[12:13], v21, s4 src0_sel:BYTE_0 src1_sel:DWORD
	s_mov_b64 s[4:5], -1
                                        ; implicit-def: $sgpr10
	s_and_saveexec_b64 s[8:9], s[12:13]
; %bb.2314:
	s_mov_b32 s10, 0x7f800001
	s_xor_b64 s[4:5], exec, -1
; %bb.2315:
	s_or_b64 exec, exec, s[8:9]
	s_and_b64 s[4:5], s[4:5], exec
	s_or_saveexec_b64 s[6:7], s[6:7]
	v_mov_b32_e32 v20, s10
	s_xor_b64 exec, exec, s[6:7]
	s_cbranch_execz .LBB29_266
.LBB29_2316:
	v_mov_b32_e32 v20, 0
	v_cmp_ne_u16_sdwa s[8:9], v21, v20 src0_sel:BYTE_0 src1_sel:DWORD
	s_andn2_b64 s[4:5], s[4:5], exec
	s_and_b64 s[8:9], s[8:9], exec
	s_or_b64 s[4:5], s[4:5], s[8:9]
	s_or_b64 exec, exec, s[6:7]
	s_and_saveexec_b64 s[6:7], s[4:5]
	s_cbranch_execnz .LBB29_267
	s_branch .LBB29_268
.LBB29_2317:
	s_movk_i32 s4, 0x80
	v_cmp_eq_u16_sdwa s[12:13], v21, s4 src0_sel:BYTE_0 src1_sel:DWORD
	s_mov_b64 s[4:5], -1
                                        ; implicit-def: $sgpr10
	s_and_saveexec_b64 s[8:9], s[12:13]
; %bb.2318:
	s_mov_b32 s10, 0x7f800001
	s_xor_b64 s[4:5], exec, -1
; %bb.2319:
	s_or_b64 exec, exec, s[8:9]
	s_and_b64 s[4:5], s[4:5], exec
	s_or_saveexec_b64 s[6:7], s[6:7]
	v_mov_b32_e32 v22, s10
	s_xor_b64 exec, exec, s[6:7]
	s_cbranch_execz .LBB29_270
.LBB29_2320:
	v_mov_b32_e32 v22, 0
	v_cmp_ne_u16_sdwa s[8:9], v21, v22 src0_sel:BYTE_0 src1_sel:DWORD
	s_andn2_b64 s[4:5], s[4:5], exec
	s_and_b64 s[8:9], s[8:9], exec
	s_or_b64 s[4:5], s[4:5], s[8:9]
	s_or_b64 exec, exec, s[6:7]
	s_and_saveexec_b64 s[6:7], s[4:5]
	s_cbranch_execnz .LBB29_271
	s_branch .LBB29_272
.LBB29_2321:
	s_movk_i32 s4, 0x80
	v_cmp_eq_u16_e32 vcc, s4, v21
	s_mov_b64 s[4:5], -1
                                        ; implicit-def: $sgpr10
	s_and_saveexec_b64 s[8:9], vcc
; %bb.2322:
	s_mov_b32 s10, 0x7f800001
	s_xor_b64 s[4:5], exec, -1
; %bb.2323:
	s_or_b64 exec, exec, s[8:9]
	s_and_b64 s[4:5], s[4:5], exec
                                        ; implicit-def: $vgpr21
	s_or_saveexec_b64 s[6:7], s[6:7]
	v_mov_b32_e32 v20, s10
	s_xor_b64 exec, exec, s[6:7]
	s_cbranch_execz .LBB29_274
.LBB29_2324:
	v_cmp_ne_u16_e32 vcc, 0, v21
	s_andn2_b64 s[4:5], s[4:5], exec
	s_and_b64 s[8:9], vcc, exec
	v_mov_b32_e32 v20, 0
	s_or_b64 s[4:5], s[4:5], s[8:9]
	s_or_b64 exec, exec, s[6:7]
	s_and_saveexec_b64 s[6:7], s[4:5]
	s_cbranch_execnz .LBB29_275
	s_branch .LBB29_276
.LBB29_2325:
	s_movk_i32 s4, 0x80
	v_cmp_eq_u16_e32 vcc, s4, v21
	s_mov_b64 s[4:5], -1
                                        ; implicit-def: $sgpr10
	s_and_saveexec_b64 s[8:9], vcc
; %bb.2326:
	s_mov_b32 s10, 0x7f800001
	s_xor_b64 s[4:5], exec, -1
; %bb.2327:
	s_or_b64 exec, exec, s[8:9]
	s_and_b64 s[4:5], s[4:5], exec
                                        ; implicit-def: $vgpr21
	s_or_saveexec_b64 s[6:7], s[6:7]
	v_mov_b32_e32 v22, s10
	s_xor_b64 exec, exec, s[6:7]
	s_cbranch_execz .LBB29_278
.LBB29_2328:
	v_cmp_ne_u16_e32 vcc, 0, v21
	s_andn2_b64 s[4:5], s[4:5], exec
	s_and_b64 s[8:9], vcc, exec
	v_mov_b32_e32 v22, 0
	s_or_b64 s[4:5], s[4:5], s[8:9]
	s_or_b64 exec, exec, s[6:7]
	s_and_saveexec_b64 s[6:7], s[4:5]
	s_cbranch_execnz .LBB29_279
	s_branch .LBB29_280
.LBB29_2329:
	s_movk_i32 s4, 0x80
	v_cmp_eq_u16_sdwa s[12:13], v14, s4 src0_sel:BYTE_3 src1_sel:DWORD
	s_mov_b64 s[4:5], -1
                                        ; implicit-def: $sgpr10
	s_and_saveexec_b64 s[8:9], s[12:13]
; %bb.2330:
	s_mov_b32 s10, 0x7f800001
	s_xor_b64 s[4:5], exec, -1
; %bb.2331:
	s_or_b64 exec, exec, s[8:9]
	s_and_b64 s[4:5], s[4:5], exec
	s_or_saveexec_b64 s[6:7], s[6:7]
	v_mov_b32_e32 v20, s10
	s_xor_b64 exec, exec, s[6:7]
	s_cbranch_execz .LBB29_282
.LBB29_2332:
	v_mov_b32_e32 v20, 0
	v_cmp_ne_u16_sdwa s[8:9], v14, v20 src0_sel:BYTE_3 src1_sel:DWORD
	s_andn2_b64 s[4:5], s[4:5], exec
	s_and_b64 s[8:9], s[8:9], exec
	s_or_b64 s[4:5], s[4:5], s[8:9]
	s_or_b64 exec, exec, s[6:7]
	s_and_saveexec_b64 s[6:7], s[4:5]
	s_cbranch_execnz .LBB29_283
	s_branch .LBB29_284
.LBB29_2333:
	s_movk_i32 s4, 0x80
	v_cmp_eq_u16_sdwa s[12:13], v10, s4 src0_sel:BYTE_3 src1_sel:DWORD
	s_mov_b64 s[4:5], -1
                                        ; implicit-def: $sgpr10
	s_and_saveexec_b64 s[8:9], s[12:13]
; %bb.2334:
	s_mov_b32 s10, 0x7f800001
	s_xor_b64 s[4:5], exec, -1
; %bb.2335:
	s_or_b64 exec, exec, s[8:9]
	s_and_b64 s[4:5], s[4:5], exec
	s_or_saveexec_b64 s[6:7], s[6:7]
	v_mov_b32_e32 v14, s10
	s_xor_b64 exec, exec, s[6:7]
	s_cbranch_execz .LBB29_286
.LBB29_2336:
	v_mov_b32_e32 v14, 0
	v_cmp_ne_u16_sdwa s[8:9], v10, v14 src0_sel:BYTE_3 src1_sel:DWORD
	s_andn2_b64 s[4:5], s[4:5], exec
	s_and_b64 s[8:9], s[8:9], exec
	s_or_b64 s[4:5], s[4:5], s[8:9]
	s_or_b64 exec, exec, s[6:7]
	s_and_saveexec_b64 s[6:7], s[4:5]
	s_cbranch_execnz .LBB29_287
	s_branch .LBB29_288
.LBB29_2337:
	s_movk_i32 s4, 0x80
	v_cmp_eq_u16_sdwa s[12:13], v15, s4 src0_sel:BYTE_0 src1_sel:DWORD
	s_mov_b64 s[4:5], -1
                                        ; implicit-def: $sgpr10
	s_and_saveexec_b64 s[8:9], s[12:13]
; %bb.2338:
	s_mov_b32 s10, 0x7f800001
	s_xor_b64 s[4:5], exec, -1
; %bb.2339:
	s_or_b64 exec, exec, s[8:9]
	s_and_b64 s[4:5], s[4:5], exec
	s_or_saveexec_b64 s[6:7], s[6:7]
	v_mov_b32_e32 v10, s10
	s_xor_b64 exec, exec, s[6:7]
	s_cbranch_execz .LBB29_290
.LBB29_2340:
	v_mov_b32_e32 v10, 0
	v_cmp_ne_u16_sdwa s[8:9], v15, v10 src0_sel:BYTE_0 src1_sel:DWORD
	s_andn2_b64 s[4:5], s[4:5], exec
	s_and_b64 s[8:9], s[8:9], exec
	s_or_b64 s[4:5], s[4:5], s[8:9]
	s_or_b64 exec, exec, s[6:7]
	s_and_saveexec_b64 s[6:7], s[4:5]
	s_cbranch_execnz .LBB29_291
	s_branch .LBB29_292
.LBB29_2341:
	s_movk_i32 s4, 0x80
	v_cmp_eq_u16_sdwa s[12:13], v11, s4 src0_sel:BYTE_0 src1_sel:DWORD
	s_mov_b64 s[4:5], -1
                                        ; implicit-def: $sgpr10
	s_and_saveexec_b64 s[8:9], s[12:13]
; %bb.2342:
	s_mov_b32 s10, 0x7f800001
	s_xor_b64 s[4:5], exec, -1
; %bb.2343:
	s_or_b64 exec, exec, s[8:9]
	s_and_b64 s[4:5], s[4:5], exec
	s_or_saveexec_b64 s[6:7], s[6:7]
	v_mov_b32_e32 v14, s10
	s_xor_b64 exec, exec, s[6:7]
	s_cbranch_execz .LBB29_294
.LBB29_2344:
	v_mov_b32_e32 v14, 0
	v_cmp_ne_u16_sdwa s[8:9], v11, v14 src0_sel:BYTE_0 src1_sel:DWORD
	s_andn2_b64 s[4:5], s[4:5], exec
	s_and_b64 s[8:9], s[8:9], exec
	s_or_b64 s[4:5], s[4:5], s[8:9]
	s_or_b64 exec, exec, s[6:7]
	s_and_saveexec_b64 s[6:7], s[4:5]
	s_cbranch_execnz .LBB29_295
	s_branch .LBB29_296
.LBB29_2345:
	s_movk_i32 s4, 0x80
	v_cmp_eq_u16_sdwa s[12:13], v14, s4 src0_sel:BYTE_0 src1_sel:DWORD
	s_mov_b64 s[4:5], -1
                                        ; implicit-def: $sgpr10
	s_and_saveexec_b64 s[8:9], s[12:13]
; %bb.2346:
	s_mov_b32 s10, 0x7f800001
	s_xor_b64 s[4:5], exec, -1
; %bb.2347:
	s_or_b64 exec, exec, s[8:9]
	s_and_b64 s[4:5], s[4:5], exec
	s_or_saveexec_b64 s[6:7], s[6:7]
	v_mov_b32_e32 v10, s10
	s_xor_b64 exec, exec, s[6:7]
	s_cbranch_execz .LBB29_298
.LBB29_2348:
	v_mov_b32_e32 v10, 0
	v_cmp_ne_u16_sdwa s[8:9], v14, v10 src0_sel:BYTE_0 src1_sel:DWORD
	s_andn2_b64 s[4:5], s[4:5], exec
	s_and_b64 s[8:9], s[8:9], exec
	s_or_b64 s[4:5], s[4:5], s[8:9]
	s_or_b64 exec, exec, s[6:7]
	s_and_saveexec_b64 s[6:7], s[4:5]
	s_cbranch_execnz .LBB29_299
	s_branch .LBB29_300
.LBB29_2349:
	s_movk_i32 s4, 0x80
	v_cmp_eq_u16_sdwa s[12:13], v14, s4 src0_sel:BYTE_0 src1_sel:DWORD
	s_mov_b64 s[4:5], -1
                                        ; implicit-def: $sgpr10
	s_and_saveexec_b64 s[8:9], s[12:13]
; %bb.2350:
	s_mov_b32 s10, 0x7f800001
	s_xor_b64 s[4:5], exec, -1
; %bb.2351:
	s_or_b64 exec, exec, s[8:9]
	s_and_b64 s[4:5], s[4:5], exec
	s_or_saveexec_b64 s[6:7], s[6:7]
	v_mov_b32_e32 v20, s10
	s_xor_b64 exec, exec, s[6:7]
	s_cbranch_execz .LBB29_302
.LBB29_2352:
	v_mov_b32_e32 v20, 0
	v_cmp_ne_u16_sdwa s[8:9], v14, v20 src0_sel:BYTE_0 src1_sel:DWORD
	s_andn2_b64 s[4:5], s[4:5], exec
	s_and_b64 s[8:9], s[8:9], exec
	s_or_b64 s[4:5], s[4:5], s[8:9]
	s_or_b64 exec, exec, s[6:7]
	s_and_saveexec_b64 s[6:7], s[4:5]
	s_cbranch_execnz .LBB29_303
	s_branch .LBB29_304
.LBB29_2353:
	s_movk_i32 s4, 0x80
	v_cmp_eq_u16_e32 vcc, s4, v14
	s_mov_b64 s[4:5], -1
                                        ; implicit-def: $sgpr10
	s_and_saveexec_b64 s[8:9], vcc
; %bb.2354:
	s_mov_b32 s10, 0x7f800001
	s_xor_b64 s[4:5], exec, -1
; %bb.2355:
	s_or_b64 exec, exec, s[8:9]
	s_and_b64 s[4:5], s[4:5], exec
                                        ; implicit-def: $vgpr14
	s_or_saveexec_b64 s[6:7], s[6:7]
	v_mov_b32_e32 v10, s10
	s_xor_b64 exec, exec, s[6:7]
	s_cbranch_execz .LBB29_306
.LBB29_2356:
	v_cmp_ne_u16_e32 vcc, 0, v14
	s_andn2_b64 s[4:5], s[4:5], exec
	s_and_b64 s[8:9], vcc, exec
	v_mov_b32_e32 v10, 0
	s_or_b64 s[4:5], s[4:5], s[8:9]
	s_or_b64 exec, exec, s[6:7]
	s_and_saveexec_b64 s[6:7], s[4:5]
	s_cbranch_execnz .LBB29_307
	s_branch .LBB29_308
.LBB29_2357:
	s_movk_i32 s4, 0x80
	v_cmp_eq_u16_e32 vcc, s4, v14
	s_mov_b64 s[4:5], -1
                                        ; implicit-def: $sgpr10
	s_and_saveexec_b64 s[8:9], vcc
; %bb.2358:
	s_mov_b32 s10, 0x7f800001
	s_xor_b64 s[4:5], exec, -1
; %bb.2359:
	s_or_b64 exec, exec, s[8:9]
	s_and_b64 s[4:5], s[4:5], exec
                                        ; implicit-def: $vgpr14
	s_or_saveexec_b64 s[6:7], s[6:7]
	v_mov_b32_e32 v20, s10
	s_xor_b64 exec, exec, s[6:7]
	s_cbranch_execz .LBB29_310
.LBB29_2360:
	v_cmp_ne_u16_e32 vcc, 0, v14
	s_andn2_b64 s[4:5], s[4:5], exec
	s_and_b64 s[8:9], vcc, exec
	v_mov_b32_e32 v20, 0
	s_or_b64 s[4:5], s[4:5], s[8:9]
	s_or_b64 exec, exec, s[6:7]
	s_and_saveexec_b64 s[6:7], s[4:5]
	s_cbranch_execnz .LBB29_311
	s_branch .LBB29_312
.LBB29_2361:
	s_movk_i32 s4, 0x80
	v_cmp_eq_u16_sdwa s[12:13], v15, s4 src0_sel:BYTE_3 src1_sel:DWORD
	s_mov_b64 s[4:5], -1
                                        ; implicit-def: $sgpr10
	s_and_saveexec_b64 s[8:9], s[12:13]
; %bb.2362:
	s_mov_b32 s10, 0x7f800001
	s_xor_b64 s[4:5], exec, -1
; %bb.2363:
	s_or_b64 exec, exec, s[8:9]
	s_and_b64 s[4:5], s[4:5], exec
	s_or_saveexec_b64 s[6:7], s[6:7]
	v_mov_b32_e32 v10, s10
	s_xor_b64 exec, exec, s[6:7]
	s_cbranch_execz .LBB29_314
.LBB29_2364:
	v_mov_b32_e32 v10, 0
	v_cmp_ne_u16_sdwa s[8:9], v15, v10 src0_sel:BYTE_3 src1_sel:DWORD
	s_andn2_b64 s[4:5], s[4:5], exec
	s_and_b64 s[8:9], s[8:9], exec
	s_or_b64 s[4:5], s[4:5], s[8:9]
	s_or_b64 exec, exec, s[6:7]
	s_and_saveexec_b64 s[6:7], s[4:5]
	s_cbranch_execnz .LBB29_315
	s_branch .LBB29_316
.LBB29_2365:
	s_movk_i32 s4, 0x80
	v_cmp_eq_u16_sdwa s[12:13], v11, s4 src0_sel:BYTE_3 src1_sel:DWORD
	s_mov_b64 s[4:5], -1
                                        ; implicit-def: $sgpr10
	s_and_saveexec_b64 s[8:9], s[12:13]
; %bb.2366:
	s_mov_b32 s10, 0x7f800001
	s_xor_b64 s[4:5], exec, -1
; %bb.2367:
	s_or_b64 exec, exec, s[8:9]
	s_and_b64 s[4:5], s[4:5], exec
	s_or_saveexec_b64 s[6:7], s[6:7]
	v_mov_b32_e32 v14, s10
	s_xor_b64 exec, exec, s[6:7]
	s_cbranch_execz .LBB29_318
.LBB29_2368:
	v_mov_b32_e32 v14, 0
	v_cmp_ne_u16_sdwa s[8:9], v11, v14 src0_sel:BYTE_3 src1_sel:DWORD
	s_andn2_b64 s[4:5], s[4:5], exec
	s_and_b64 s[8:9], s[8:9], exec
	s_or_b64 s[4:5], s[4:5], s[8:9]
	s_or_b64 exec, exec, s[6:7]
	s_and_saveexec_b64 s[6:7], s[4:5]
	s_cbranch_execnz .LBB29_319
	s_branch .LBB29_320
.LBB29_2369:
	s_movk_i32 s4, 0x80
	v_cmp_eq_u16_sdwa s[12:13], v16, s4 src0_sel:BYTE_0 src1_sel:DWORD
	s_mov_b64 s[4:5], -1
                                        ; implicit-def: $sgpr10
	s_and_saveexec_b64 s[8:9], s[12:13]
; %bb.2370:
	s_mov_b32 s10, 0x7f800001
	s_xor_b64 s[4:5], exec, -1
; %bb.2371:
	s_or_b64 exec, exec, s[8:9]
	s_and_b64 s[4:5], s[4:5], exec
	s_or_saveexec_b64 s[6:7], s[6:7]
	v_mov_b32_e32 v10, s10
	s_xor_b64 exec, exec, s[6:7]
	s_cbranch_execz .LBB29_322
.LBB29_2372:
	v_mov_b32_e32 v10, 0
	v_cmp_ne_u16_sdwa s[8:9], v16, v10 src0_sel:BYTE_0 src1_sel:DWORD
	s_andn2_b64 s[4:5], s[4:5], exec
	s_and_b64 s[8:9], s[8:9], exec
	s_or_b64 s[4:5], s[4:5], s[8:9]
	s_or_b64 exec, exec, s[6:7]
	s_and_saveexec_b64 s[6:7], s[4:5]
	s_cbranch_execnz .LBB29_323
	s_branch .LBB29_324
.LBB29_2373:
	s_movk_i32 s4, 0x80
	v_cmp_eq_u16_sdwa s[12:13], v12, s4 src0_sel:BYTE_0 src1_sel:DWORD
	s_mov_b64 s[4:5], -1
                                        ; implicit-def: $sgpr10
	s_and_saveexec_b64 s[8:9], s[12:13]
; %bb.2374:
	s_mov_b32 s10, 0x7f800001
	s_xor_b64 s[4:5], exec, -1
; %bb.2375:
	s_or_b64 exec, exec, s[8:9]
	s_and_b64 s[4:5], s[4:5], exec
	s_or_saveexec_b64 s[6:7], s[6:7]
	v_mov_b32_e32 v11, s10
	s_xor_b64 exec, exec, s[6:7]
	s_cbranch_execz .LBB29_326
.LBB29_2376:
	v_mov_b32_e32 v11, 0
	v_cmp_ne_u16_sdwa s[8:9], v12, v11 src0_sel:BYTE_0 src1_sel:DWORD
	s_andn2_b64 s[4:5], s[4:5], exec
	s_and_b64 s[8:9], s[8:9], exec
	s_or_b64 s[4:5], s[4:5], s[8:9]
	s_or_b64 exec, exec, s[6:7]
	s_and_saveexec_b64 s[6:7], s[4:5]
	s_cbranch_execnz .LBB29_327
	s_branch .LBB29_328
.LBB29_2377:
	s_movk_i32 s4, 0x80
	v_cmp_eq_u16_sdwa s[12:13], v11, s4 src0_sel:BYTE_0 src1_sel:DWORD
	s_mov_b64 s[4:5], -1
                                        ; implicit-def: $sgpr10
	s_and_saveexec_b64 s[8:9], s[12:13]
; %bb.2378:
	s_mov_b32 s10, 0x7f800001
	s_xor_b64 s[4:5], exec, -1
; %bb.2379:
	s_or_b64 exec, exec, s[8:9]
	s_and_b64 s[4:5], s[4:5], exec
	s_or_saveexec_b64 s[6:7], s[6:7]
	v_mov_b32_e32 v10, s10
	s_xor_b64 exec, exec, s[6:7]
	s_cbranch_execz .LBB29_330
.LBB29_2380:
	v_mov_b32_e32 v10, 0
	v_cmp_ne_u16_sdwa s[8:9], v11, v10 src0_sel:BYTE_0 src1_sel:DWORD
	s_andn2_b64 s[4:5], s[4:5], exec
	s_and_b64 s[8:9], s[8:9], exec
	s_or_b64 s[4:5], s[4:5], s[8:9]
	s_or_b64 exec, exec, s[6:7]
	s_and_saveexec_b64 s[6:7], s[4:5]
	s_cbranch_execnz .LBB29_331
	s_branch .LBB29_332
.LBB29_2381:
	s_movk_i32 s4, 0x80
	v_cmp_eq_u16_sdwa s[12:13], v11, s4 src0_sel:BYTE_0 src1_sel:DWORD
	s_mov_b64 s[4:5], -1
                                        ; implicit-def: $sgpr10
	s_and_saveexec_b64 s[8:9], s[12:13]
; %bb.2382:
	s_mov_b32 s10, 0x7f800001
	s_xor_b64 s[4:5], exec, -1
; %bb.2383:
	s_or_b64 exec, exec, s[8:9]
	s_and_b64 s[4:5], s[4:5], exec
	s_or_saveexec_b64 s[6:7], s[6:7]
	v_mov_b32_e32 v14, s10
	s_xor_b64 exec, exec, s[6:7]
	s_cbranch_execz .LBB29_334
.LBB29_2384:
	v_mov_b32_e32 v14, 0
	v_cmp_ne_u16_sdwa s[8:9], v11, v14 src0_sel:BYTE_0 src1_sel:DWORD
	s_andn2_b64 s[4:5], s[4:5], exec
	s_and_b64 s[8:9], s[8:9], exec
	s_or_b64 s[4:5], s[4:5], s[8:9]
	s_or_b64 exec, exec, s[6:7]
	s_and_saveexec_b64 s[6:7], s[4:5]
	s_cbranch_execnz .LBB29_335
	s_branch .LBB29_336
.LBB29_2385:
	s_movk_i32 s4, 0x80
	v_cmp_eq_u16_e32 vcc, s4, v11
	s_mov_b64 s[4:5], -1
                                        ; implicit-def: $sgpr10
	s_and_saveexec_b64 s[8:9], vcc
; %bb.2386:
	s_mov_b32 s10, 0x7f800001
	s_xor_b64 s[4:5], exec, -1
; %bb.2387:
	s_or_b64 exec, exec, s[8:9]
	s_and_b64 s[4:5], s[4:5], exec
                                        ; implicit-def: $vgpr11
	s_or_saveexec_b64 s[6:7], s[6:7]
	v_mov_b32_e32 v10, s10
	s_xor_b64 exec, exec, s[6:7]
	s_cbranch_execz .LBB29_338
.LBB29_2388:
	v_cmp_ne_u16_e32 vcc, 0, v11
	s_andn2_b64 s[4:5], s[4:5], exec
	s_and_b64 s[8:9], vcc, exec
	v_mov_b32_e32 v10, 0
	s_or_b64 s[4:5], s[4:5], s[8:9]
	s_or_b64 exec, exec, s[6:7]
	s_and_saveexec_b64 s[6:7], s[4:5]
	s_cbranch_execnz .LBB29_339
	s_branch .LBB29_340
.LBB29_2389:
	s_movk_i32 s4, 0x80
	v_cmp_eq_u16_e32 vcc, s4, v11
	s_mov_b64 s[4:5], -1
                                        ; implicit-def: $sgpr10
	s_and_saveexec_b64 s[8:9], vcc
; %bb.2390:
	s_mov_b32 s10, 0x7f800001
	s_xor_b64 s[4:5], exec, -1
; %bb.2391:
	s_or_b64 exec, exec, s[8:9]
	s_and_b64 s[4:5], s[4:5], exec
                                        ; implicit-def: $vgpr11
	s_or_saveexec_b64 s[6:7], s[6:7]
	v_mov_b32_e32 v14, s10
	s_xor_b64 exec, exec, s[6:7]
	s_cbranch_execz .LBB29_342
.LBB29_2392:
	v_cmp_ne_u16_e32 vcc, 0, v11
	s_andn2_b64 s[4:5], s[4:5], exec
	s_and_b64 s[8:9], vcc, exec
	v_mov_b32_e32 v14, 0
	s_or_b64 s[4:5], s[4:5], s[8:9]
	s_or_b64 exec, exec, s[6:7]
	s_and_saveexec_b64 s[6:7], s[4:5]
	s_cbranch_execnz .LBB29_343
	s_branch .LBB29_344
.LBB29_2393:
	s_movk_i32 s4, 0x80
	v_cmp_eq_u16_sdwa s[12:13], v16, s4 src0_sel:BYTE_3 src1_sel:DWORD
	s_mov_b64 s[4:5], -1
                                        ; implicit-def: $sgpr10
	s_and_saveexec_b64 s[8:9], s[12:13]
; %bb.2394:
	s_mov_b32 s10, 0x7f800001
	s_xor_b64 s[4:5], exec, -1
; %bb.2395:
	s_or_b64 exec, exec, s[8:9]
	s_and_b64 s[4:5], s[4:5], exec
	s_or_saveexec_b64 s[6:7], s[6:7]
	v_mov_b32_e32 v10, s10
	s_xor_b64 exec, exec, s[6:7]
	s_cbranch_execz .LBB29_346
.LBB29_2396:
	v_mov_b32_e32 v10, 0
	v_cmp_ne_u16_sdwa s[8:9], v16, v10 src0_sel:BYTE_3 src1_sel:DWORD
	s_andn2_b64 s[4:5], s[4:5], exec
	s_and_b64 s[8:9], s[8:9], exec
	s_or_b64 s[4:5], s[4:5], s[8:9]
	s_or_b64 exec, exec, s[6:7]
	s_and_saveexec_b64 s[6:7], s[4:5]
	s_cbranch_execnz .LBB29_347
	s_branch .LBB29_348
.LBB29_2397:
	s_movk_i32 s4, 0x80
	v_cmp_eq_u16_sdwa s[12:13], v12, s4 src0_sel:BYTE_3 src1_sel:DWORD
	s_mov_b64 s[4:5], -1
                                        ; implicit-def: $sgpr10
	s_and_saveexec_b64 s[8:9], s[12:13]
; %bb.2398:
	s_mov_b32 s10, 0x7f800001
	s_xor_b64 s[4:5], exec, -1
; %bb.2399:
	s_or_b64 exec, exec, s[8:9]
	s_and_b64 s[4:5], s[4:5], exec
	s_or_saveexec_b64 s[6:7], s[6:7]
	v_mov_b32_e32 v11, s10
	s_xor_b64 exec, exec, s[6:7]
	s_cbranch_execz .LBB29_350
.LBB29_2400:
	v_mov_b32_e32 v11, 0
	v_cmp_ne_u16_sdwa s[8:9], v12, v11 src0_sel:BYTE_3 src1_sel:DWORD
	s_andn2_b64 s[4:5], s[4:5], exec
	s_and_b64 s[8:9], s[8:9], exec
	s_or_b64 s[4:5], s[4:5], s[8:9]
	s_or_b64 exec, exec, s[6:7]
	s_and_saveexec_b64 s[6:7], s[4:5]
	s_cbranch_execnz .LBB29_351
	s_branch .LBB29_352
.LBB29_2401:
	s_movk_i32 s4, 0x80
	v_cmp_eq_u16_sdwa s[12:13], v17, s4 src0_sel:BYTE_0 src1_sel:DWORD
	s_mov_b64 s[4:5], -1
                                        ; implicit-def: $sgpr10
	s_and_saveexec_b64 s[8:9], s[12:13]
; %bb.2402:
	s_mov_b32 s10, 0x7f800001
	s_xor_b64 s[4:5], exec, -1
; %bb.2403:
	s_or_b64 exec, exec, s[8:9]
	s_and_b64 s[4:5], s[4:5], exec
	s_or_saveexec_b64 s[6:7], s[6:7]
	v_mov_b32_e32 v10, s10
	s_xor_b64 exec, exec, s[6:7]
	s_cbranch_execz .LBB29_354
.LBB29_2404:
	v_mov_b32_e32 v10, 0
	v_cmp_ne_u16_sdwa s[8:9], v17, v10 src0_sel:BYTE_0 src1_sel:DWORD
	s_andn2_b64 s[4:5], s[4:5], exec
	s_and_b64 s[8:9], s[8:9], exec
	s_or_b64 s[4:5], s[4:5], s[8:9]
	s_or_b64 exec, exec, s[6:7]
	s_and_saveexec_b64 s[6:7], s[4:5]
	s_cbranch_execnz .LBB29_355
	s_branch .LBB29_356
.LBB29_2405:
	s_movk_i32 s4, 0x80
	v_cmp_eq_u16_sdwa s[12:13], v13, s4 src0_sel:BYTE_0 src1_sel:DWORD
	s_mov_b64 s[4:5], -1
                                        ; implicit-def: $sgpr10
	s_and_saveexec_b64 s[8:9], s[12:13]
; %bb.2406:
	s_mov_b32 s10, 0x7f800001
	s_xor_b64 s[4:5], exec, -1
; %bb.2407:
	s_or_b64 exec, exec, s[8:9]
	s_and_b64 s[4:5], s[4:5], exec
	s_or_saveexec_b64 s[6:7], s[6:7]
	v_mov_b32_e32 v11, s10
	s_xor_b64 exec, exec, s[6:7]
	s_cbranch_execz .LBB29_358
.LBB29_2408:
	v_mov_b32_e32 v11, 0
	v_cmp_ne_u16_sdwa s[8:9], v13, v11 src0_sel:BYTE_0 src1_sel:DWORD
	s_andn2_b64 s[4:5], s[4:5], exec
	s_and_b64 s[8:9], s[8:9], exec
	s_or_b64 s[4:5], s[4:5], s[8:9]
	s_or_b64 exec, exec, s[6:7]
	s_and_saveexec_b64 s[6:7], s[4:5]
	s_cbranch_execnz .LBB29_359
	s_branch .LBB29_360
.LBB29_2409:
	s_movk_i32 s4, 0x80
	v_cmp_eq_u16_sdwa s[12:13], v11, s4 src0_sel:BYTE_0 src1_sel:DWORD
	s_mov_b64 s[4:5], -1
                                        ; implicit-def: $sgpr10
	s_and_saveexec_b64 s[8:9], s[12:13]
; %bb.2410:
	s_mov_b32 s10, 0x7f800001
	s_xor_b64 s[4:5], exec, -1
; %bb.2411:
	s_or_b64 exec, exec, s[8:9]
	s_and_b64 s[4:5], s[4:5], exec
	s_or_saveexec_b64 s[6:7], s[6:7]
	v_mov_b32_e32 v10, s10
	s_xor_b64 exec, exec, s[6:7]
	s_cbranch_execz .LBB29_362
.LBB29_2412:
	v_mov_b32_e32 v10, 0
	v_cmp_ne_u16_sdwa s[8:9], v11, v10 src0_sel:BYTE_0 src1_sel:DWORD
	s_andn2_b64 s[4:5], s[4:5], exec
	s_and_b64 s[8:9], s[8:9], exec
	s_or_b64 s[4:5], s[4:5], s[8:9]
	s_or_b64 exec, exec, s[6:7]
	s_and_saveexec_b64 s[6:7], s[4:5]
	s_cbranch_execnz .LBB29_363
	s_branch .LBB29_364
.LBB29_2413:
	s_movk_i32 s4, 0x80
	v_cmp_eq_u16_sdwa s[12:13], v11, s4 src0_sel:BYTE_0 src1_sel:DWORD
	s_mov_b64 s[4:5], -1
                                        ; implicit-def: $sgpr10
	s_and_saveexec_b64 s[8:9], s[12:13]
; %bb.2414:
	s_mov_b32 s10, 0x7f800001
	s_xor_b64 s[4:5], exec, -1
; %bb.2415:
	s_or_b64 exec, exec, s[8:9]
	s_and_b64 s[4:5], s[4:5], exec
	s_or_saveexec_b64 s[6:7], s[6:7]
	v_mov_b32_e32 v12, s10
	s_xor_b64 exec, exec, s[6:7]
	s_cbranch_execz .LBB29_366
.LBB29_2416:
	v_mov_b32_e32 v12, 0
	v_cmp_ne_u16_sdwa s[8:9], v11, v12 src0_sel:BYTE_0 src1_sel:DWORD
	s_andn2_b64 s[4:5], s[4:5], exec
	s_and_b64 s[8:9], s[8:9], exec
	s_or_b64 s[4:5], s[4:5], s[8:9]
	s_or_b64 exec, exec, s[6:7]
	s_and_saveexec_b64 s[6:7], s[4:5]
	s_cbranch_execnz .LBB29_367
	s_branch .LBB29_368
.LBB29_2417:
	s_movk_i32 s4, 0x80
	v_cmp_eq_u16_e32 vcc, s4, v11
	s_mov_b64 s[4:5], -1
                                        ; implicit-def: $sgpr10
	s_and_saveexec_b64 s[8:9], vcc
; %bb.2418:
	s_mov_b32 s10, 0x7f800001
	s_xor_b64 s[4:5], exec, -1
; %bb.2419:
	s_or_b64 exec, exec, s[8:9]
	s_and_b64 s[4:5], s[4:5], exec
                                        ; implicit-def: $vgpr11
	s_or_saveexec_b64 s[6:7], s[6:7]
	v_mov_b32_e32 v10, s10
	s_xor_b64 exec, exec, s[6:7]
	s_cbranch_execz .LBB29_370
.LBB29_2420:
	v_cmp_ne_u16_e32 vcc, 0, v11
	s_andn2_b64 s[4:5], s[4:5], exec
	s_and_b64 s[8:9], vcc, exec
	v_mov_b32_e32 v10, 0
	s_or_b64 s[4:5], s[4:5], s[8:9]
	s_or_b64 exec, exec, s[6:7]
	s_and_saveexec_b64 s[6:7], s[4:5]
	s_cbranch_execnz .LBB29_371
	s_branch .LBB29_372
.LBB29_2421:
	s_movk_i32 s4, 0x80
	v_cmp_eq_u16_e32 vcc, s4, v11
	s_mov_b64 s[4:5], -1
                                        ; implicit-def: $sgpr10
	s_and_saveexec_b64 s[8:9], vcc
; %bb.2422:
	s_mov_b32 s10, 0x7f800001
	s_xor_b64 s[4:5], exec, -1
; %bb.2423:
	s_or_b64 exec, exec, s[8:9]
	s_and_b64 s[4:5], s[4:5], exec
                                        ; implicit-def: $vgpr11
	s_or_saveexec_b64 s[6:7], s[6:7]
	v_mov_b32_e32 v12, s10
	s_xor_b64 exec, exec, s[6:7]
	s_cbranch_execz .LBB29_374
.LBB29_2424:
	v_cmp_ne_u16_e32 vcc, 0, v11
	s_andn2_b64 s[4:5], s[4:5], exec
	s_and_b64 s[8:9], vcc, exec
	v_mov_b32_e32 v12, 0
	s_or_b64 s[4:5], s[4:5], s[8:9]
	s_or_b64 exec, exec, s[6:7]
	s_and_saveexec_b64 s[6:7], s[4:5]
	s_cbranch_execnz .LBB29_375
	s_branch .LBB29_376
.LBB29_2425:
	s_movk_i32 s4, 0x80
	v_cmp_eq_u16_sdwa s[12:13], v17, s4 src0_sel:BYTE_3 src1_sel:DWORD
	s_mov_b64 s[4:5], -1
                                        ; implicit-def: $sgpr10
	s_and_saveexec_b64 s[8:9], s[12:13]
; %bb.2426:
	s_mov_b32 s10, 0x7f800001
	s_xor_b64 s[4:5], exec, -1
; %bb.2427:
	s_or_b64 exec, exec, s[8:9]
	s_and_b64 s[4:5], s[4:5], exec
	s_or_saveexec_b64 s[6:7], s[6:7]
	v_mov_b32_e32 v10, s10
	s_xor_b64 exec, exec, s[6:7]
	s_cbranch_execz .LBB29_378
.LBB29_2428:
	v_mov_b32_e32 v10, 0
	v_cmp_ne_u16_sdwa s[8:9], v17, v10 src0_sel:BYTE_3 src1_sel:DWORD
	s_andn2_b64 s[4:5], s[4:5], exec
	s_and_b64 s[8:9], s[8:9], exec
	s_or_b64 s[4:5], s[4:5], s[8:9]
	s_or_b64 exec, exec, s[6:7]
	s_and_saveexec_b64 s[6:7], s[4:5]
	s_cbranch_execnz .LBB29_379
	s_branch .LBB29_380
.LBB29_2429:
	s_movk_i32 s4, 0x80
	v_cmp_eq_u16_sdwa s[12:13], v13, s4 src0_sel:BYTE_3 src1_sel:DWORD
	s_mov_b64 s[4:5], -1
                                        ; implicit-def: $sgpr10
	s_and_saveexec_b64 s[8:9], s[12:13]
; %bb.2430:
	s_mov_b32 s10, 0x7f800001
	s_xor_b64 s[4:5], exec, -1
; %bb.2431:
	s_or_b64 exec, exec, s[8:9]
	s_and_b64 s[4:5], s[4:5], exec
	s_or_saveexec_b64 s[6:7], s[6:7]
	v_mov_b32_e32 v11, s10
	s_xor_b64 exec, exec, s[6:7]
	s_cbranch_execz .LBB29_382
.LBB29_2432:
	v_mov_b32_e32 v11, 0
	v_cmp_ne_u16_sdwa s[8:9], v13, v11 src0_sel:BYTE_3 src1_sel:DWORD
	s_andn2_b64 s[4:5], s[4:5], exec
	s_and_b64 s[8:9], s[8:9], exec
	s_or_b64 s[4:5], s[4:5], s[8:9]
	s_or_b64 exec, exec, s[6:7]
	s_and_saveexec_b64 s[6:7], s[4:5]
	s_cbranch_execnz .LBB29_383
	s_branch .LBB29_384
.LBB29_2433:
	s_movk_i32 s4, 0x80
	v_cmp_eq_u16_sdwa s[12:13], v6, s4 src0_sel:BYTE_0 src1_sel:DWORD
	s_mov_b64 s[4:5], -1
                                        ; implicit-def: $sgpr10
	s_and_saveexec_b64 s[8:9], s[12:13]
; %bb.2434:
	s_mov_b32 s10, 0x7f800001
	s_xor_b64 s[4:5], exec, -1
; %bb.2435:
	s_or_b64 exec, exec, s[8:9]
	s_and_b64 s[4:5], s[4:5], exec
	s_or_saveexec_b64 s[6:7], s[6:7]
	v_mov_b32_e32 v10, s10
	s_xor_b64 exec, exec, s[6:7]
	s_cbranch_execz .LBB29_386
.LBB29_2436:
	v_mov_b32_e32 v10, 0
	v_cmp_ne_u16_sdwa s[8:9], v6, v10 src0_sel:BYTE_0 src1_sel:DWORD
	s_andn2_b64 s[4:5], s[4:5], exec
	s_and_b64 s[8:9], s[8:9], exec
	s_or_b64 s[4:5], s[4:5], s[8:9]
	s_or_b64 exec, exec, s[6:7]
	s_and_saveexec_b64 s[6:7], s[4:5]
	s_cbranch_execnz .LBB29_387
	s_branch .LBB29_388
.LBB29_2437:
	s_movk_i32 s4, 0x80
	v_cmp_eq_u16_sdwa s[12:13], v2, s4 src0_sel:BYTE_0 src1_sel:DWORD
	s_mov_b64 s[4:5], -1
                                        ; implicit-def: $sgpr10
	s_and_saveexec_b64 s[8:9], s[12:13]
; %bb.2438:
	s_mov_b32 s10, 0x7f800001
	s_xor_b64 s[4:5], exec, -1
; %bb.2439:
	s_or_b64 exec, exec, s[8:9]
	s_and_b64 s[4:5], s[4:5], exec
	s_or_saveexec_b64 s[6:7], s[6:7]
	v_mov_b32_e32 v11, s10
	s_xor_b64 exec, exec, s[6:7]
	s_cbranch_execz .LBB29_390
.LBB29_2440:
	v_mov_b32_e32 v11, 0
	v_cmp_ne_u16_sdwa s[8:9], v2, v11 src0_sel:BYTE_0 src1_sel:DWORD
	s_andn2_b64 s[4:5], s[4:5], exec
	s_and_b64 s[8:9], s[8:9], exec
	s_or_b64 s[4:5], s[4:5], s[8:9]
	s_or_b64 exec, exec, s[6:7]
	s_and_saveexec_b64 s[6:7], s[4:5]
	s_cbranch_execnz .LBB29_391
	s_branch .LBB29_392
.LBB29_2441:
	s_movk_i32 s4, 0x80
	v_cmp_eq_u16_sdwa s[12:13], v11, s4 src0_sel:BYTE_0 src1_sel:DWORD
	s_mov_b64 s[4:5], -1
                                        ; implicit-def: $sgpr10
	s_and_saveexec_b64 s[8:9], s[12:13]
; %bb.2442:
	s_mov_b32 s10, 0x7f800001
	s_xor_b64 s[4:5], exec, -1
; %bb.2443:
	s_or_b64 exec, exec, s[8:9]
	s_and_b64 s[4:5], s[4:5], exec
	s_or_saveexec_b64 s[6:7], s[6:7]
	v_mov_b32_e32 v10, s10
	s_xor_b64 exec, exec, s[6:7]
	s_cbranch_execz .LBB29_394
.LBB29_2444:
	v_mov_b32_e32 v10, 0
	v_cmp_ne_u16_sdwa s[8:9], v11, v10 src0_sel:BYTE_0 src1_sel:DWORD
	s_andn2_b64 s[4:5], s[4:5], exec
	s_and_b64 s[8:9], s[8:9], exec
	s_or_b64 s[4:5], s[4:5], s[8:9]
	s_or_b64 exec, exec, s[6:7]
	s_and_saveexec_b64 s[6:7], s[4:5]
	s_cbranch_execnz .LBB29_395
	s_branch .LBB29_396
.LBB29_2445:
	s_movk_i32 s4, 0x80
	v_cmp_eq_u16_sdwa s[12:13], v11, s4 src0_sel:BYTE_0 src1_sel:DWORD
	s_mov_b64 s[4:5], -1
                                        ; implicit-def: $sgpr10
	s_and_saveexec_b64 s[8:9], s[12:13]
; %bb.2446:
	s_mov_b32 s10, 0x7f800001
	s_xor_b64 s[4:5], exec, -1
; %bb.2447:
	s_or_b64 exec, exec, s[8:9]
	s_and_b64 s[4:5], s[4:5], exec
	s_or_saveexec_b64 s[6:7], s[6:7]
	v_mov_b32_e32 v12, s10
	s_xor_b64 exec, exec, s[6:7]
	s_cbranch_execz .LBB29_398
.LBB29_2448:
	v_mov_b32_e32 v12, 0
	v_cmp_ne_u16_sdwa s[8:9], v11, v12 src0_sel:BYTE_0 src1_sel:DWORD
	s_andn2_b64 s[4:5], s[4:5], exec
	s_and_b64 s[8:9], s[8:9], exec
	s_or_b64 s[4:5], s[4:5], s[8:9]
	s_or_b64 exec, exec, s[6:7]
	s_and_saveexec_b64 s[6:7], s[4:5]
	s_cbranch_execnz .LBB29_399
	s_branch .LBB29_400
.LBB29_2449:
	s_movk_i32 s4, 0x80
	v_cmp_eq_u16_e32 vcc, s4, v11
	s_mov_b64 s[4:5], -1
                                        ; implicit-def: $sgpr10
	s_and_saveexec_b64 s[8:9], vcc
; %bb.2450:
	s_mov_b32 s10, 0x7f800001
	s_xor_b64 s[4:5], exec, -1
; %bb.2451:
	s_or_b64 exec, exec, s[8:9]
	s_and_b64 s[4:5], s[4:5], exec
                                        ; implicit-def: $vgpr11
	s_or_saveexec_b64 s[6:7], s[6:7]
	v_mov_b32_e32 v10, s10
	s_xor_b64 exec, exec, s[6:7]
	s_cbranch_execz .LBB29_402
.LBB29_2452:
	v_cmp_ne_u16_e32 vcc, 0, v11
	s_andn2_b64 s[4:5], s[4:5], exec
	s_and_b64 s[8:9], vcc, exec
	v_mov_b32_e32 v10, 0
	s_or_b64 s[4:5], s[4:5], s[8:9]
	s_or_b64 exec, exec, s[6:7]
	s_and_saveexec_b64 s[6:7], s[4:5]
	s_cbranch_execnz .LBB29_403
	s_branch .LBB29_404
.LBB29_2453:
	s_movk_i32 s4, 0x80
	v_cmp_eq_u16_e32 vcc, s4, v11
	s_mov_b64 s[4:5], -1
                                        ; implicit-def: $sgpr10
	s_and_saveexec_b64 s[8:9], vcc
; %bb.2454:
	s_mov_b32 s10, 0x7f800001
	s_xor_b64 s[4:5], exec, -1
; %bb.2455:
	s_or_b64 exec, exec, s[8:9]
	s_and_b64 s[4:5], s[4:5], exec
                                        ; implicit-def: $vgpr11
	s_or_saveexec_b64 s[6:7], s[6:7]
	v_mov_b32_e32 v12, s10
	s_xor_b64 exec, exec, s[6:7]
	s_cbranch_execz .LBB29_406
.LBB29_2456:
	v_cmp_ne_u16_e32 vcc, 0, v11
	s_andn2_b64 s[4:5], s[4:5], exec
	s_and_b64 s[8:9], vcc, exec
	v_mov_b32_e32 v12, 0
	s_or_b64 s[4:5], s[4:5], s[8:9]
	s_or_b64 exec, exec, s[6:7]
	s_and_saveexec_b64 s[6:7], s[4:5]
	s_cbranch_execnz .LBB29_407
	s_branch .LBB29_408
.LBB29_2457:
	s_movk_i32 s4, 0x80
	v_cmp_eq_u16_sdwa s[12:13], v6, s4 src0_sel:BYTE_3 src1_sel:DWORD
	s_mov_b64 s[4:5], -1
                                        ; implicit-def: $sgpr10
	s_and_saveexec_b64 s[8:9], s[12:13]
; %bb.2458:
	s_mov_b32 s10, 0x7f800001
	s_xor_b64 s[4:5], exec, -1
; %bb.2459:
	s_or_b64 exec, exec, s[8:9]
	s_and_b64 s[4:5], s[4:5], exec
	s_or_saveexec_b64 s[6:7], s[6:7]
	v_mov_b32_e32 v10, s10
	s_xor_b64 exec, exec, s[6:7]
	s_cbranch_execz .LBB29_410
.LBB29_2460:
	v_mov_b32_e32 v10, 0
	v_cmp_ne_u16_sdwa s[8:9], v6, v10 src0_sel:BYTE_3 src1_sel:DWORD
	s_andn2_b64 s[4:5], s[4:5], exec
	s_and_b64 s[8:9], s[8:9], exec
	s_or_b64 s[4:5], s[4:5], s[8:9]
	s_or_b64 exec, exec, s[6:7]
	s_and_saveexec_b64 s[6:7], s[4:5]
	s_cbranch_execnz .LBB29_411
	s_branch .LBB29_412
.LBB29_2461:
	s_movk_i32 s4, 0x80
	v_cmp_eq_u16_sdwa s[12:13], v2, s4 src0_sel:BYTE_3 src1_sel:DWORD
	s_mov_b64 s[4:5], -1
                                        ; implicit-def: $sgpr10
	s_and_saveexec_b64 s[8:9], s[12:13]
; %bb.2462:
	s_mov_b32 s10, 0x7f800001
	s_xor_b64 s[4:5], exec, -1
; %bb.2463:
	s_or_b64 exec, exec, s[8:9]
	s_and_b64 s[4:5], s[4:5], exec
	s_or_saveexec_b64 s[6:7], s[6:7]
	v_mov_b32_e32 v6, s10
	s_xor_b64 exec, exec, s[6:7]
	s_cbranch_execz .LBB29_414
.LBB29_2464:
	v_mov_b32_e32 v6, 0
	v_cmp_ne_u16_sdwa s[8:9], v2, v6 src0_sel:BYTE_3 src1_sel:DWORD
	s_andn2_b64 s[4:5], s[4:5], exec
	s_and_b64 s[8:9], s[8:9], exec
	s_or_b64 s[4:5], s[4:5], s[8:9]
	s_or_b64 exec, exec, s[6:7]
	s_and_saveexec_b64 s[6:7], s[4:5]
	s_cbranch_execnz .LBB29_415
	s_branch .LBB29_416
.LBB29_2465:
	s_movk_i32 s4, 0x80
	v_cmp_eq_u16_sdwa s[12:13], v7, s4 src0_sel:BYTE_0 src1_sel:DWORD
	s_mov_b64 s[4:5], -1
                                        ; implicit-def: $sgpr10
	s_and_saveexec_b64 s[8:9], s[12:13]
; %bb.2466:
	s_mov_b32 s10, 0x7f800001
	s_xor_b64 s[4:5], exec, -1
; %bb.2467:
	s_or_b64 exec, exec, s[8:9]
	s_and_b64 s[4:5], s[4:5], exec
	s_or_saveexec_b64 s[6:7], s[6:7]
	v_mov_b32_e32 v2, s10
	s_xor_b64 exec, exec, s[6:7]
	s_cbranch_execz .LBB29_418
.LBB29_2468:
	v_mov_b32_e32 v2, 0
	v_cmp_ne_u16_sdwa s[8:9], v7, v2 src0_sel:BYTE_0 src1_sel:DWORD
	s_andn2_b64 s[4:5], s[4:5], exec
	s_and_b64 s[8:9], s[8:9], exec
	s_or_b64 s[4:5], s[4:5], s[8:9]
	s_or_b64 exec, exec, s[6:7]
	s_and_saveexec_b64 s[6:7], s[4:5]
	s_cbranch_execnz .LBB29_419
	s_branch .LBB29_420
.LBB29_2469:
	s_movk_i32 s4, 0x80
	v_cmp_eq_u16_sdwa s[12:13], v3, s4 src0_sel:BYTE_0 src1_sel:DWORD
	s_mov_b64 s[4:5], -1
                                        ; implicit-def: $sgpr10
	s_and_saveexec_b64 s[8:9], s[12:13]
; %bb.2470:
	s_mov_b32 s10, 0x7f800001
	s_xor_b64 s[4:5], exec, -1
; %bb.2471:
	s_or_b64 exec, exec, s[8:9]
	s_and_b64 s[4:5], s[4:5], exec
	s_or_saveexec_b64 s[6:7], s[6:7]
	v_mov_b32_e32 v6, s10
	s_xor_b64 exec, exec, s[6:7]
	s_cbranch_execz .LBB29_422
.LBB29_2472:
	v_mov_b32_e32 v6, 0
	v_cmp_ne_u16_sdwa s[8:9], v3, v6 src0_sel:BYTE_0 src1_sel:DWORD
	s_andn2_b64 s[4:5], s[4:5], exec
	s_and_b64 s[8:9], s[8:9], exec
	s_or_b64 s[4:5], s[4:5], s[8:9]
	s_or_b64 exec, exec, s[6:7]
	s_and_saveexec_b64 s[6:7], s[4:5]
	s_cbranch_execnz .LBB29_423
	s_branch .LBB29_424
.LBB29_2473:
	s_movk_i32 s4, 0x80
	v_cmp_eq_u16_sdwa s[12:13], v6, s4 src0_sel:BYTE_0 src1_sel:DWORD
	s_mov_b64 s[4:5], -1
                                        ; implicit-def: $sgpr10
	s_and_saveexec_b64 s[8:9], s[12:13]
; %bb.2474:
	s_mov_b32 s10, 0x7f800001
	s_xor_b64 s[4:5], exec, -1
; %bb.2475:
	s_or_b64 exec, exec, s[8:9]
	s_and_b64 s[4:5], s[4:5], exec
	s_or_saveexec_b64 s[6:7], s[6:7]
	v_mov_b32_e32 v2, s10
	s_xor_b64 exec, exec, s[6:7]
	s_cbranch_execz .LBB29_426
.LBB29_2476:
	v_mov_b32_e32 v2, 0
	v_cmp_ne_u16_sdwa s[8:9], v6, v2 src0_sel:BYTE_0 src1_sel:DWORD
	s_andn2_b64 s[4:5], s[4:5], exec
	s_and_b64 s[8:9], s[8:9], exec
	s_or_b64 s[4:5], s[4:5], s[8:9]
	s_or_b64 exec, exec, s[6:7]
	s_and_saveexec_b64 s[6:7], s[4:5]
	s_cbranch_execnz .LBB29_427
	s_branch .LBB29_428
.LBB29_2477:
	s_movk_i32 s4, 0x80
	v_cmp_eq_u16_sdwa s[12:13], v6, s4 src0_sel:BYTE_0 src1_sel:DWORD
	s_mov_b64 s[4:5], -1
                                        ; implicit-def: $sgpr10
	s_and_saveexec_b64 s[8:9], s[12:13]
; %bb.2478:
	s_mov_b32 s10, 0x7f800001
	s_xor_b64 s[4:5], exec, -1
; %bb.2479:
	s_or_b64 exec, exec, s[8:9]
	s_and_b64 s[4:5], s[4:5], exec
	s_or_saveexec_b64 s[6:7], s[6:7]
	v_mov_b32_e32 v10, s10
	s_xor_b64 exec, exec, s[6:7]
	s_cbranch_execz .LBB29_430
.LBB29_2480:
	v_mov_b32_e32 v10, 0
	v_cmp_ne_u16_sdwa s[8:9], v6, v10 src0_sel:BYTE_0 src1_sel:DWORD
	s_andn2_b64 s[4:5], s[4:5], exec
	s_and_b64 s[8:9], s[8:9], exec
	s_or_b64 s[4:5], s[4:5], s[8:9]
	s_or_b64 exec, exec, s[6:7]
	s_and_saveexec_b64 s[6:7], s[4:5]
	s_cbranch_execnz .LBB29_431
	s_branch .LBB29_432
.LBB29_2481:
	s_movk_i32 s4, 0x80
	v_cmp_eq_u16_e32 vcc, s4, v6
	s_mov_b64 s[4:5], -1
                                        ; implicit-def: $sgpr10
	s_and_saveexec_b64 s[8:9], vcc
; %bb.2482:
	s_mov_b32 s10, 0x7f800001
	s_xor_b64 s[4:5], exec, -1
; %bb.2483:
	s_or_b64 exec, exec, s[8:9]
	s_and_b64 s[4:5], s[4:5], exec
                                        ; implicit-def: $vgpr6
	s_or_saveexec_b64 s[6:7], s[6:7]
	v_mov_b32_e32 v2, s10
	s_xor_b64 exec, exec, s[6:7]
	s_cbranch_execz .LBB29_434
.LBB29_2484:
	v_cmp_ne_u16_e32 vcc, 0, v6
	s_andn2_b64 s[4:5], s[4:5], exec
	s_and_b64 s[8:9], vcc, exec
	v_mov_b32_e32 v2, 0
	s_or_b64 s[4:5], s[4:5], s[8:9]
	s_or_b64 exec, exec, s[6:7]
	s_and_saveexec_b64 s[6:7], s[4:5]
	s_cbranch_execnz .LBB29_435
	s_branch .LBB29_436
.LBB29_2485:
	s_movk_i32 s4, 0x80
	v_cmp_eq_u16_e32 vcc, s4, v6
	s_mov_b64 s[4:5], -1
                                        ; implicit-def: $sgpr10
	s_and_saveexec_b64 s[8:9], vcc
; %bb.2486:
	s_mov_b32 s10, 0x7f800001
	s_xor_b64 s[4:5], exec, -1
; %bb.2487:
	s_or_b64 exec, exec, s[8:9]
	s_and_b64 s[4:5], s[4:5], exec
                                        ; implicit-def: $vgpr6
	s_or_saveexec_b64 s[6:7], s[6:7]
	v_mov_b32_e32 v10, s10
	s_xor_b64 exec, exec, s[6:7]
	s_cbranch_execz .LBB29_438
.LBB29_2488:
	v_cmp_ne_u16_e32 vcc, 0, v6
	s_andn2_b64 s[4:5], s[4:5], exec
	s_and_b64 s[8:9], vcc, exec
	v_mov_b32_e32 v10, 0
	s_or_b64 s[4:5], s[4:5], s[8:9]
	s_or_b64 exec, exec, s[6:7]
	s_and_saveexec_b64 s[6:7], s[4:5]
	s_cbranch_execnz .LBB29_439
	s_branch .LBB29_440
.LBB29_2489:
	s_movk_i32 s4, 0x80
	v_cmp_eq_u16_sdwa s[12:13], v7, s4 src0_sel:BYTE_3 src1_sel:DWORD
	s_mov_b64 s[4:5], -1
                                        ; implicit-def: $sgpr10
	s_and_saveexec_b64 s[8:9], s[12:13]
; %bb.2490:
	s_mov_b32 s10, 0x7f800001
	s_xor_b64 s[4:5], exec, -1
; %bb.2491:
	s_or_b64 exec, exec, s[8:9]
	s_and_b64 s[4:5], s[4:5], exec
	s_or_saveexec_b64 s[6:7], s[6:7]
	v_mov_b32_e32 v2, s10
	s_xor_b64 exec, exec, s[6:7]
	s_cbranch_execz .LBB29_442
.LBB29_2492:
	v_mov_b32_e32 v2, 0
	v_cmp_ne_u16_sdwa s[8:9], v7, v2 src0_sel:BYTE_3 src1_sel:DWORD
	s_andn2_b64 s[4:5], s[4:5], exec
	s_and_b64 s[8:9], s[8:9], exec
	s_or_b64 s[4:5], s[4:5], s[8:9]
	s_or_b64 exec, exec, s[6:7]
	s_and_saveexec_b64 s[6:7], s[4:5]
	s_cbranch_execnz .LBB29_443
	s_branch .LBB29_444
.LBB29_2493:
	s_movk_i32 s4, 0x80
	v_cmp_eq_u16_sdwa s[12:13], v3, s4 src0_sel:BYTE_3 src1_sel:DWORD
	s_mov_b64 s[4:5], -1
                                        ; implicit-def: $sgpr10
	s_and_saveexec_b64 s[8:9], s[12:13]
; %bb.2494:
	s_mov_b32 s10, 0x7f800001
	s_xor_b64 s[4:5], exec, -1
; %bb.2495:
	s_or_b64 exec, exec, s[8:9]
	s_and_b64 s[4:5], s[4:5], exec
	s_or_saveexec_b64 s[6:7], s[6:7]
	v_mov_b32_e32 v6, s10
	s_xor_b64 exec, exec, s[6:7]
	s_cbranch_execz .LBB29_446
.LBB29_2496:
	v_mov_b32_e32 v6, 0
	v_cmp_ne_u16_sdwa s[8:9], v3, v6 src0_sel:BYTE_3 src1_sel:DWORD
	s_andn2_b64 s[4:5], s[4:5], exec
	s_and_b64 s[8:9], s[8:9], exec
	s_or_b64 s[4:5], s[4:5], s[8:9]
	s_or_b64 exec, exec, s[6:7]
	s_and_saveexec_b64 s[6:7], s[4:5]
	s_cbranch_execnz .LBB29_447
	s_branch .LBB29_448
.LBB29_2497:
	s_movk_i32 s4, 0x80
	v_cmp_eq_u16_sdwa s[12:13], v8, s4 src0_sel:BYTE_0 src1_sel:DWORD
	s_mov_b64 s[4:5], -1
                                        ; implicit-def: $sgpr10
	s_and_saveexec_b64 s[8:9], s[12:13]
; %bb.2498:
	s_mov_b32 s10, 0x7f800001
	s_xor_b64 s[4:5], exec, -1
; %bb.2499:
	s_or_b64 exec, exec, s[8:9]
	s_and_b64 s[4:5], s[4:5], exec
	s_or_saveexec_b64 s[6:7], s[6:7]
	v_mov_b32_e32 v2, s10
	s_xor_b64 exec, exec, s[6:7]
	s_cbranch_execz .LBB29_450
.LBB29_2500:
	v_mov_b32_e32 v2, 0
	v_cmp_ne_u16_sdwa s[8:9], v8, v2 src0_sel:BYTE_0 src1_sel:DWORD
	s_andn2_b64 s[4:5], s[4:5], exec
	s_and_b64 s[8:9], s[8:9], exec
	s_or_b64 s[4:5], s[4:5], s[8:9]
	s_or_b64 exec, exec, s[6:7]
	s_and_saveexec_b64 s[6:7], s[4:5]
	s_cbranch_execnz .LBB29_451
	s_branch .LBB29_452
.LBB29_2501:
	s_movk_i32 s4, 0x80
	v_cmp_eq_u16_sdwa s[12:13], v4, s4 src0_sel:BYTE_0 src1_sel:DWORD
	s_mov_b64 s[4:5], -1
                                        ; implicit-def: $sgpr10
	s_and_saveexec_b64 s[8:9], s[12:13]
; %bb.2502:
	s_mov_b32 s10, 0x7f800001
	s_xor_b64 s[4:5], exec, -1
; %bb.2503:
	s_or_b64 exec, exec, s[8:9]
	s_and_b64 s[4:5], s[4:5], exec
	s_or_saveexec_b64 s[6:7], s[6:7]
	v_mov_b32_e32 v3, s10
	s_xor_b64 exec, exec, s[6:7]
	s_cbranch_execz .LBB29_454
.LBB29_2504:
	v_mov_b32_e32 v3, 0
	v_cmp_ne_u16_sdwa s[8:9], v4, v3 src0_sel:BYTE_0 src1_sel:DWORD
	s_andn2_b64 s[4:5], s[4:5], exec
	s_and_b64 s[8:9], s[8:9], exec
	s_or_b64 s[4:5], s[4:5], s[8:9]
	s_or_b64 exec, exec, s[6:7]
	s_and_saveexec_b64 s[6:7], s[4:5]
	s_cbranch_execnz .LBB29_455
	s_branch .LBB29_456
.LBB29_2505:
	s_movk_i32 s4, 0x80
	v_cmp_eq_u16_sdwa s[12:13], v3, s4 src0_sel:BYTE_0 src1_sel:DWORD
	s_mov_b64 s[4:5], -1
                                        ; implicit-def: $sgpr10
	s_and_saveexec_b64 s[8:9], s[12:13]
; %bb.2506:
	s_mov_b32 s10, 0x7f800001
	s_xor_b64 s[4:5], exec, -1
; %bb.2507:
	s_or_b64 exec, exec, s[8:9]
	s_and_b64 s[4:5], s[4:5], exec
	s_or_saveexec_b64 s[6:7], s[6:7]
	v_mov_b32_e32 v2, s10
	s_xor_b64 exec, exec, s[6:7]
	s_cbranch_execz .LBB29_458
.LBB29_2508:
	v_mov_b32_e32 v2, 0
	v_cmp_ne_u16_sdwa s[8:9], v3, v2 src0_sel:BYTE_0 src1_sel:DWORD
	s_andn2_b64 s[4:5], s[4:5], exec
	s_and_b64 s[8:9], s[8:9], exec
	s_or_b64 s[4:5], s[4:5], s[8:9]
	s_or_b64 exec, exec, s[6:7]
	s_and_saveexec_b64 s[6:7], s[4:5]
	s_cbranch_execnz .LBB29_459
	s_branch .LBB29_460
.LBB29_2509:
	s_movk_i32 s4, 0x80
	v_cmp_eq_u16_sdwa s[12:13], v3, s4 src0_sel:BYTE_0 src1_sel:DWORD
	s_mov_b64 s[4:5], -1
                                        ; implicit-def: $sgpr10
	s_and_saveexec_b64 s[8:9], s[12:13]
; %bb.2510:
	s_mov_b32 s10, 0x7f800001
	s_xor_b64 s[4:5], exec, -1
; %bb.2511:
	s_or_b64 exec, exec, s[8:9]
	s_and_b64 s[4:5], s[4:5], exec
	s_or_saveexec_b64 s[6:7], s[6:7]
	v_mov_b32_e32 v6, s10
	s_xor_b64 exec, exec, s[6:7]
	s_cbranch_execz .LBB29_462
.LBB29_2512:
	v_mov_b32_e32 v6, 0
	v_cmp_ne_u16_sdwa s[8:9], v3, v6 src0_sel:BYTE_0 src1_sel:DWORD
	s_andn2_b64 s[4:5], s[4:5], exec
	s_and_b64 s[8:9], s[8:9], exec
	s_or_b64 s[4:5], s[4:5], s[8:9]
	s_or_b64 exec, exec, s[6:7]
	s_and_saveexec_b64 s[6:7], s[4:5]
	s_cbranch_execnz .LBB29_463
	s_branch .LBB29_464
.LBB29_2513:
	s_movk_i32 s4, 0x80
	v_cmp_eq_u16_e32 vcc, s4, v3
	s_mov_b64 s[4:5], -1
                                        ; implicit-def: $sgpr10
	s_and_saveexec_b64 s[8:9], vcc
; %bb.2514:
	s_mov_b32 s10, 0x7f800001
	s_xor_b64 s[4:5], exec, -1
; %bb.2515:
	s_or_b64 exec, exec, s[8:9]
	s_and_b64 s[4:5], s[4:5], exec
                                        ; implicit-def: $vgpr3
	s_or_saveexec_b64 s[6:7], s[6:7]
	v_mov_b32_e32 v2, s10
	s_xor_b64 exec, exec, s[6:7]
	s_cbranch_execz .LBB29_466
.LBB29_2516:
	v_cmp_ne_u16_e32 vcc, 0, v3
	s_andn2_b64 s[4:5], s[4:5], exec
	s_and_b64 s[8:9], vcc, exec
	v_mov_b32_e32 v2, 0
	s_or_b64 s[4:5], s[4:5], s[8:9]
	s_or_b64 exec, exec, s[6:7]
	s_and_saveexec_b64 s[6:7], s[4:5]
	s_cbranch_execnz .LBB29_467
	s_branch .LBB29_468
.LBB29_2517:
	s_movk_i32 s4, 0x80
	v_cmp_eq_u16_e32 vcc, s4, v3
	s_mov_b64 s[4:5], -1
                                        ; implicit-def: $sgpr10
	s_and_saveexec_b64 s[8:9], vcc
; %bb.2518:
	s_mov_b32 s10, 0x7f800001
	s_xor_b64 s[4:5], exec, -1
; %bb.2519:
	s_or_b64 exec, exec, s[8:9]
	s_and_b64 s[4:5], s[4:5], exec
                                        ; implicit-def: $vgpr3
	s_or_saveexec_b64 s[6:7], s[6:7]
	v_mov_b32_e32 v6, s10
	s_xor_b64 exec, exec, s[6:7]
	s_cbranch_execz .LBB29_470
.LBB29_2520:
	v_cmp_ne_u16_e32 vcc, 0, v3
	s_andn2_b64 s[4:5], s[4:5], exec
	s_and_b64 s[8:9], vcc, exec
	v_mov_b32_e32 v6, 0
	s_or_b64 s[4:5], s[4:5], s[8:9]
	s_or_b64 exec, exec, s[6:7]
	s_and_saveexec_b64 s[6:7], s[4:5]
	s_cbranch_execnz .LBB29_471
	s_branch .LBB29_472
.LBB29_2521:
	s_movk_i32 s4, 0x80
	v_cmp_eq_u16_sdwa s[12:13], v8, s4 src0_sel:BYTE_3 src1_sel:DWORD
	s_mov_b64 s[4:5], -1
                                        ; implicit-def: $sgpr10
	s_and_saveexec_b64 s[8:9], s[12:13]
; %bb.2522:
	s_mov_b32 s10, 0x7f800001
	s_xor_b64 s[4:5], exec, -1
; %bb.2523:
	s_or_b64 exec, exec, s[8:9]
	s_and_b64 s[4:5], s[4:5], exec
	s_or_saveexec_b64 s[6:7], s[6:7]
	v_mov_b32_e32 v2, s10
	s_xor_b64 exec, exec, s[6:7]
	s_cbranch_execz .LBB29_474
.LBB29_2524:
	v_mov_b32_e32 v2, 0
	v_cmp_ne_u16_sdwa s[8:9], v8, v2 src0_sel:BYTE_3 src1_sel:DWORD
	s_andn2_b64 s[4:5], s[4:5], exec
	s_and_b64 s[8:9], s[8:9], exec
	s_or_b64 s[4:5], s[4:5], s[8:9]
	s_or_b64 exec, exec, s[6:7]
	s_and_saveexec_b64 s[6:7], s[4:5]
	s_cbranch_execnz .LBB29_475
	s_branch .LBB29_476
.LBB29_2525:
	s_movk_i32 s4, 0x80
	v_cmp_eq_u16_sdwa s[12:13], v4, s4 src0_sel:BYTE_3 src1_sel:DWORD
	s_mov_b64 s[4:5], -1
                                        ; implicit-def: $sgpr10
	s_and_saveexec_b64 s[8:9], s[12:13]
; %bb.2526:
	s_mov_b32 s10, 0x7f800001
	s_xor_b64 s[4:5], exec, -1
; %bb.2527:
	s_or_b64 exec, exec, s[8:9]
	s_and_b64 s[4:5], s[4:5], exec
	s_or_saveexec_b64 s[6:7], s[6:7]
	v_mov_b32_e32 v3, s10
	s_xor_b64 exec, exec, s[6:7]
	s_cbranch_execz .LBB29_478
.LBB29_2528:
	v_mov_b32_e32 v3, 0
	v_cmp_ne_u16_sdwa s[8:9], v4, v3 src0_sel:BYTE_3 src1_sel:DWORD
	s_andn2_b64 s[4:5], s[4:5], exec
	s_and_b64 s[8:9], s[8:9], exec
	s_or_b64 s[4:5], s[4:5], s[8:9]
	s_or_b64 exec, exec, s[6:7]
	s_and_saveexec_b64 s[6:7], s[4:5]
	s_cbranch_execnz .LBB29_479
	s_branch .LBB29_480
.LBB29_2529:
	s_movk_i32 s4, 0x80
	v_cmp_eq_u16_sdwa s[12:13], v9, s4 src0_sel:BYTE_0 src1_sel:DWORD
	s_mov_b64 s[4:5], -1
                                        ; implicit-def: $sgpr10
	s_and_saveexec_b64 s[8:9], s[12:13]
; %bb.2530:
	s_mov_b32 s10, 0x7f800001
	s_xor_b64 s[4:5], exec, -1
; %bb.2531:
	s_or_b64 exec, exec, s[8:9]
	s_and_b64 s[4:5], s[4:5], exec
	s_or_saveexec_b64 s[6:7], s[6:7]
	v_mov_b32_e32 v2, s10
	s_xor_b64 exec, exec, s[6:7]
	s_cbranch_execz .LBB29_482
.LBB29_2532:
	v_mov_b32_e32 v2, 0
	v_cmp_ne_u16_sdwa s[8:9], v9, v2 src0_sel:BYTE_0 src1_sel:DWORD
	s_andn2_b64 s[4:5], s[4:5], exec
	s_and_b64 s[8:9], s[8:9], exec
	s_or_b64 s[4:5], s[4:5], s[8:9]
	s_or_b64 exec, exec, s[6:7]
	s_and_saveexec_b64 s[6:7], s[4:5]
	s_cbranch_execnz .LBB29_483
	s_branch .LBB29_484
.LBB29_2533:
	s_movk_i32 s4, 0x80
	v_cmp_eq_u16_sdwa s[12:13], v5, s4 src0_sel:BYTE_0 src1_sel:DWORD
	s_mov_b64 s[4:5], -1
                                        ; implicit-def: $sgpr10
	s_and_saveexec_b64 s[8:9], s[12:13]
; %bb.2534:
	s_mov_b32 s10, 0x7f800001
	s_xor_b64 s[4:5], exec, -1
; %bb.2535:
	s_or_b64 exec, exec, s[8:9]
	s_and_b64 s[4:5], s[4:5], exec
	s_or_saveexec_b64 s[6:7], s[6:7]
	v_mov_b32_e32 v3, s10
	s_xor_b64 exec, exec, s[6:7]
	s_cbranch_execz .LBB29_486
.LBB29_2536:
	v_mov_b32_e32 v3, 0
	v_cmp_ne_u16_sdwa s[8:9], v5, v3 src0_sel:BYTE_0 src1_sel:DWORD
	s_andn2_b64 s[4:5], s[4:5], exec
	s_and_b64 s[8:9], s[8:9], exec
	s_or_b64 s[4:5], s[4:5], s[8:9]
	s_or_b64 exec, exec, s[6:7]
	s_and_saveexec_b64 s[6:7], s[4:5]
	s_cbranch_execnz .LBB29_487
	s_branch .LBB29_488
.LBB29_2537:
	s_movk_i32 s4, 0x80
	v_cmp_eq_u16_sdwa s[12:13], v3, s4 src0_sel:BYTE_0 src1_sel:DWORD
	s_mov_b64 s[4:5], -1
                                        ; implicit-def: $sgpr10
	s_and_saveexec_b64 s[8:9], s[12:13]
; %bb.2538:
	s_mov_b32 s10, 0x7f800001
	s_xor_b64 s[4:5], exec, -1
; %bb.2539:
	s_or_b64 exec, exec, s[8:9]
	s_and_b64 s[4:5], s[4:5], exec
	s_or_saveexec_b64 s[6:7], s[6:7]
	v_mov_b32_e32 v2, s10
	s_xor_b64 exec, exec, s[6:7]
	s_cbranch_execz .LBB29_490
.LBB29_2540:
	v_mov_b32_e32 v2, 0
	v_cmp_ne_u16_sdwa s[8:9], v3, v2 src0_sel:BYTE_0 src1_sel:DWORD
	s_andn2_b64 s[4:5], s[4:5], exec
	s_and_b64 s[8:9], s[8:9], exec
	s_or_b64 s[4:5], s[4:5], s[8:9]
	s_or_b64 exec, exec, s[6:7]
	s_and_saveexec_b64 s[6:7], s[4:5]
	s_cbranch_execnz .LBB29_491
	s_branch .LBB29_492
.LBB29_2541:
	s_movk_i32 s4, 0x80
	v_cmp_eq_u16_sdwa s[12:13], v3, s4 src0_sel:BYTE_0 src1_sel:DWORD
	s_mov_b64 s[4:5], -1
                                        ; implicit-def: $sgpr10
	s_and_saveexec_b64 s[8:9], s[12:13]
; %bb.2542:
	s_mov_b32 s10, 0x7f800001
	s_xor_b64 s[4:5], exec, -1
; %bb.2543:
	s_or_b64 exec, exec, s[8:9]
	s_and_b64 s[4:5], s[4:5], exec
	s_or_saveexec_b64 s[6:7], s[6:7]
	v_mov_b32_e32 v4, s10
	s_xor_b64 exec, exec, s[6:7]
	s_cbranch_execz .LBB29_494
.LBB29_2544:
	v_mov_b32_e32 v4, 0
	v_cmp_ne_u16_sdwa s[8:9], v3, v4 src0_sel:BYTE_0 src1_sel:DWORD
	s_andn2_b64 s[4:5], s[4:5], exec
	s_and_b64 s[8:9], s[8:9], exec
	s_or_b64 s[4:5], s[4:5], s[8:9]
	s_or_b64 exec, exec, s[6:7]
	s_and_saveexec_b64 s[6:7], s[4:5]
	s_cbranch_execnz .LBB29_495
	s_branch .LBB29_496
.LBB29_2545:
	s_movk_i32 s4, 0x80
	v_cmp_eq_u16_e32 vcc, s4, v3
	s_mov_b64 s[4:5], -1
                                        ; implicit-def: $sgpr10
	s_and_saveexec_b64 s[8:9], vcc
; %bb.2546:
	s_mov_b32 s10, 0x7f800001
	s_xor_b64 s[4:5], exec, -1
; %bb.2547:
	s_or_b64 exec, exec, s[8:9]
	s_and_b64 s[4:5], s[4:5], exec
                                        ; implicit-def: $vgpr3
	s_or_saveexec_b64 s[6:7], s[6:7]
	v_mov_b32_e32 v2, s10
	s_xor_b64 exec, exec, s[6:7]
	s_cbranch_execz .LBB29_498
.LBB29_2548:
	v_cmp_ne_u16_e32 vcc, 0, v3
	s_andn2_b64 s[4:5], s[4:5], exec
	s_and_b64 s[8:9], vcc, exec
	v_mov_b32_e32 v2, 0
	s_or_b64 s[4:5], s[4:5], s[8:9]
	s_or_b64 exec, exec, s[6:7]
	s_and_saveexec_b64 s[6:7], s[4:5]
	s_cbranch_execnz .LBB29_499
	s_branch .LBB29_500
.LBB29_2549:
	s_movk_i32 s4, 0x80
	v_cmp_eq_u16_e32 vcc, s4, v3
	s_mov_b64 s[4:5], -1
                                        ; implicit-def: $sgpr10
	s_and_saveexec_b64 s[8:9], vcc
; %bb.2550:
	s_mov_b32 s10, 0x7f800001
	s_xor_b64 s[4:5], exec, -1
; %bb.2551:
	s_or_b64 exec, exec, s[8:9]
	s_and_b64 s[4:5], s[4:5], exec
                                        ; implicit-def: $vgpr3
	s_or_saveexec_b64 s[6:7], s[6:7]
	v_mov_b32_e32 v4, s10
	s_xor_b64 exec, exec, s[6:7]
	s_cbranch_execz .LBB29_502
.LBB29_2552:
	v_cmp_ne_u16_e32 vcc, 0, v3
	s_andn2_b64 s[4:5], s[4:5], exec
	s_and_b64 s[8:9], vcc, exec
	v_mov_b32_e32 v4, 0
	s_or_b64 s[4:5], s[4:5], s[8:9]
	s_or_b64 exec, exec, s[6:7]
	s_and_saveexec_b64 s[6:7], s[4:5]
	s_cbranch_execnz .LBB29_503
	s_branch .LBB29_504
.LBB29_2553:
	s_movk_i32 s4, 0x80
	v_cmp_eq_u16_sdwa s[12:13], v9, s4 src0_sel:BYTE_3 src1_sel:DWORD
	s_mov_b64 s[4:5], -1
                                        ; implicit-def: $sgpr10
	s_and_saveexec_b64 s[8:9], s[12:13]
; %bb.2554:
	s_mov_b32 s10, 0x7f800001
	s_xor_b64 s[4:5], exec, -1
; %bb.2555:
	s_or_b64 exec, exec, s[8:9]
	s_and_b64 s[4:5], s[4:5], exec
	s_or_saveexec_b64 s[6:7], s[6:7]
	v_mov_b32_e32 v2, s10
	s_xor_b64 exec, exec, s[6:7]
	s_cbranch_execz .LBB29_506
.LBB29_2556:
	v_mov_b32_e32 v2, 0
	v_cmp_ne_u16_sdwa s[8:9], v9, v2 src0_sel:BYTE_3 src1_sel:DWORD
	s_andn2_b64 s[4:5], s[4:5], exec
	s_and_b64 s[8:9], s[8:9], exec
	s_or_b64 s[4:5], s[4:5], s[8:9]
	s_or_b64 exec, exec, s[6:7]
	s_and_saveexec_b64 s[6:7], s[4:5]
	s_cbranch_execnz .LBB29_507
	s_branch .LBB29_508
.LBB29_2557:
	s_movk_i32 s4, 0x80
	v_cmp_eq_u16_sdwa s[12:13], v5, s4 src0_sel:BYTE_3 src1_sel:DWORD
	s_mov_b64 s[4:5], -1
                                        ; implicit-def: $sgpr10
	s_and_saveexec_b64 s[8:9], s[12:13]
; %bb.2558:
	s_mov_b32 s10, 0x7f800001
	s_xor_b64 s[4:5], exec, -1
; %bb.2559:
	s_or_b64 exec, exec, s[8:9]
	s_and_b64 s[4:5], s[4:5], exec
	s_or_saveexec_b64 s[6:7], s[6:7]
	v_mov_b32_e32 v3, s10
	s_xor_b64 exec, exec, s[6:7]
	s_cbranch_execz .LBB29_510
.LBB29_2560:
	v_mov_b32_e32 v3, 0
	v_cmp_ne_u16_sdwa s[8:9], v5, v3 src0_sel:BYTE_3 src1_sel:DWORD
	s_andn2_b64 s[4:5], s[4:5], exec
	s_and_b64 s[8:9], s[8:9], exec
	s_or_b64 s[4:5], s[4:5], s[8:9]
	s_or_b64 exec, exec, s[6:7]
	s_and_saveexec_b64 s[6:7], s[4:5]
	s_cbranch_execnz .LBB29_511
	s_branch .LBB29_512
.LBB29_2561:
	s_movk_i32 s4, 0x80
	v_cmp_eq_u16_sdwa s[12:13], v14, s4 src0_sel:BYTE_0 src1_sel:DWORD
	s_mov_b64 s[4:5], -1
                                        ; implicit-def: $sgpr10
	s_and_saveexec_b64 s[8:9], s[12:13]
; %bb.2562:
	s_mov_b32 s10, 0x7f800001
	s_xor_b64 s[4:5], exec, -1
; %bb.2563:
	s_or_b64 exec, exec, s[8:9]
	s_and_b64 s[4:5], s[4:5], exec
	s_or_saveexec_b64 s[6:7], s[6:7]
	v_mov_b32_e32 v20, s10
	s_xor_b64 exec, exec, s[6:7]
	s_cbranch_execz .LBB29_514
.LBB29_2564:
	v_mov_b32_e32 v20, 0
	v_cmp_ne_u16_sdwa s[8:9], v14, v20 src0_sel:BYTE_0 src1_sel:DWORD
	s_andn2_b64 s[4:5], s[4:5], exec
	s_and_b64 s[8:9], s[8:9], exec
	s_or_b64 s[4:5], s[4:5], s[8:9]
	s_or_b64 exec, exec, s[6:7]
	s_and_saveexec_b64 s[6:7], s[4:5]
	s_cbranch_execnz .LBB29_515
	s_branch .LBB29_516
.LBB29_2565:
	s_movk_i32 s4, 0x80
	v_cmp_eq_u16_sdwa s[12:13], v10, s4 src0_sel:BYTE_0 src1_sel:DWORD
	s_mov_b64 s[4:5], -1
                                        ; implicit-def: $sgpr10
	s_and_saveexec_b64 s[8:9], s[12:13]
; %bb.2566:
	s_mov_b32 s10, 0x7f800001
	s_xor_b64 s[4:5], exec, -1
; %bb.2567:
	s_or_b64 exec, exec, s[8:9]
	s_and_b64 s[4:5], s[4:5], exec
	s_or_saveexec_b64 s[6:7], s[6:7]
	v_mov_b32_e32 v21, s10
	s_xor_b64 exec, exec, s[6:7]
	s_cbranch_execz .LBB29_518
.LBB29_2568:
	v_mov_b32_e32 v21, 0
	v_cmp_ne_u16_sdwa s[8:9], v10, v21 src0_sel:BYTE_0 src1_sel:DWORD
	s_andn2_b64 s[4:5], s[4:5], exec
	s_and_b64 s[8:9], s[8:9], exec
	s_or_b64 s[4:5], s[4:5], s[8:9]
	s_or_b64 exec, exec, s[6:7]
	s_and_saveexec_b64 s[6:7], s[4:5]
	s_cbranch_execnz .LBB29_519
	s_branch .LBB29_520
.LBB29_2569:
	s_movk_i32 s4, 0x80
	v_cmp_eq_u16_sdwa s[12:13], v21, s4 src0_sel:BYTE_0 src1_sel:DWORD
	s_mov_b64 s[4:5], -1
                                        ; implicit-def: $sgpr10
	s_and_saveexec_b64 s[8:9], s[12:13]
; %bb.2570:
	s_mov_b32 s10, 0x7f800001
	s_xor_b64 s[4:5], exec, -1
; %bb.2571:
	s_or_b64 exec, exec, s[8:9]
	s_and_b64 s[4:5], s[4:5], exec
	s_or_saveexec_b64 s[6:7], s[6:7]
	v_mov_b32_e32 v20, s10
	s_xor_b64 exec, exec, s[6:7]
	s_cbranch_execz .LBB29_522
.LBB29_2572:
	v_mov_b32_e32 v20, 0
	v_cmp_ne_u16_sdwa s[8:9], v21, v20 src0_sel:BYTE_0 src1_sel:DWORD
	s_andn2_b64 s[4:5], s[4:5], exec
	s_and_b64 s[8:9], s[8:9], exec
	s_or_b64 s[4:5], s[4:5], s[8:9]
	s_or_b64 exec, exec, s[6:7]
	s_and_saveexec_b64 s[6:7], s[4:5]
	s_cbranch_execnz .LBB29_523
	s_branch .LBB29_524
.LBB29_2573:
	s_movk_i32 s4, 0x80
	v_cmp_eq_u16_sdwa s[12:13], v21, s4 src0_sel:BYTE_0 src1_sel:DWORD
	s_mov_b64 s[4:5], -1
                                        ; implicit-def: $sgpr10
	s_and_saveexec_b64 s[8:9], s[12:13]
; %bb.2574:
	s_mov_b32 s10, 0x7f800001
	s_xor_b64 s[4:5], exec, -1
; %bb.2575:
	s_or_b64 exec, exec, s[8:9]
	s_and_b64 s[4:5], s[4:5], exec
	s_or_saveexec_b64 s[6:7], s[6:7]
	v_mov_b32_e32 v22, s10
	s_xor_b64 exec, exec, s[6:7]
	s_cbranch_execz .LBB29_526
.LBB29_2576:
	v_mov_b32_e32 v22, 0
	v_cmp_ne_u16_sdwa s[8:9], v21, v22 src0_sel:BYTE_0 src1_sel:DWORD
	s_andn2_b64 s[4:5], s[4:5], exec
	s_and_b64 s[8:9], s[8:9], exec
	s_or_b64 s[4:5], s[4:5], s[8:9]
	s_or_b64 exec, exec, s[6:7]
	s_and_saveexec_b64 s[6:7], s[4:5]
	s_cbranch_execnz .LBB29_527
	s_branch .LBB29_528
.LBB29_2577:
	s_movk_i32 s4, 0x80
	v_cmp_eq_u16_e32 vcc, s4, v21
	s_mov_b64 s[4:5], -1
                                        ; implicit-def: $sgpr10
	s_and_saveexec_b64 s[8:9], vcc
; %bb.2578:
	s_mov_b32 s10, 0x7f800001
	s_xor_b64 s[4:5], exec, -1
; %bb.2579:
	s_or_b64 exec, exec, s[8:9]
	s_and_b64 s[4:5], s[4:5], exec
                                        ; implicit-def: $vgpr21
	s_or_saveexec_b64 s[6:7], s[6:7]
	v_mov_b32_e32 v20, s10
	s_xor_b64 exec, exec, s[6:7]
	s_cbranch_execz .LBB29_530
.LBB29_2580:
	v_cmp_ne_u16_e32 vcc, 0, v21
	s_andn2_b64 s[4:5], s[4:5], exec
	s_and_b64 s[8:9], vcc, exec
	v_mov_b32_e32 v20, 0
	s_or_b64 s[4:5], s[4:5], s[8:9]
	s_or_b64 exec, exec, s[6:7]
	s_and_saveexec_b64 s[6:7], s[4:5]
	s_cbranch_execnz .LBB29_531
	s_branch .LBB29_532
.LBB29_2581:
	s_movk_i32 s4, 0x80
	v_cmp_eq_u16_e32 vcc, s4, v21
	s_mov_b64 s[4:5], -1
                                        ; implicit-def: $sgpr10
	s_and_saveexec_b64 s[8:9], vcc
; %bb.2582:
	s_mov_b32 s10, 0x7f800001
	s_xor_b64 s[4:5], exec, -1
; %bb.2583:
	s_or_b64 exec, exec, s[8:9]
	s_and_b64 s[4:5], s[4:5], exec
                                        ; implicit-def: $vgpr21
	s_or_saveexec_b64 s[6:7], s[6:7]
	v_mov_b32_e32 v22, s10
	s_xor_b64 exec, exec, s[6:7]
	s_cbranch_execz .LBB29_534
.LBB29_2584:
	v_cmp_ne_u16_e32 vcc, 0, v21
	s_andn2_b64 s[4:5], s[4:5], exec
	s_and_b64 s[8:9], vcc, exec
	v_mov_b32_e32 v22, 0
	s_or_b64 s[4:5], s[4:5], s[8:9]
	s_or_b64 exec, exec, s[6:7]
	s_and_saveexec_b64 s[6:7], s[4:5]
	s_cbranch_execnz .LBB29_535
	s_branch .LBB29_536
.LBB29_2585:
	s_movk_i32 s4, 0x80
	v_cmp_eq_u16_sdwa s[12:13], v14, s4 src0_sel:BYTE_3 src1_sel:DWORD
	s_mov_b64 s[4:5], -1
                                        ; implicit-def: $sgpr10
	s_and_saveexec_b64 s[8:9], s[12:13]
; %bb.2586:
	s_mov_b32 s10, 0x7f800001
	s_xor_b64 s[4:5], exec, -1
; %bb.2587:
	s_or_b64 exec, exec, s[8:9]
	s_and_b64 s[4:5], s[4:5], exec
	s_or_saveexec_b64 s[6:7], s[6:7]
	v_mov_b32_e32 v20, s10
	s_xor_b64 exec, exec, s[6:7]
	s_cbranch_execz .LBB29_538
.LBB29_2588:
	v_mov_b32_e32 v20, 0
	v_cmp_ne_u16_sdwa s[8:9], v14, v20 src0_sel:BYTE_3 src1_sel:DWORD
	s_andn2_b64 s[4:5], s[4:5], exec
	s_and_b64 s[8:9], s[8:9], exec
	s_or_b64 s[4:5], s[4:5], s[8:9]
	s_or_b64 exec, exec, s[6:7]
	s_and_saveexec_b64 s[6:7], s[4:5]
	s_cbranch_execnz .LBB29_539
	s_branch .LBB29_540
.LBB29_2589:
	s_movk_i32 s4, 0x80
	v_cmp_eq_u16_sdwa s[12:13], v10, s4 src0_sel:BYTE_3 src1_sel:DWORD
	s_mov_b64 s[4:5], -1
                                        ; implicit-def: $sgpr10
	s_and_saveexec_b64 s[8:9], s[12:13]
; %bb.2590:
	s_mov_b32 s10, 0x7f800001
	s_xor_b64 s[4:5], exec, -1
; %bb.2591:
	s_or_b64 exec, exec, s[8:9]
	s_and_b64 s[4:5], s[4:5], exec
	s_or_saveexec_b64 s[6:7], s[6:7]
	v_mov_b32_e32 v14, s10
	s_xor_b64 exec, exec, s[6:7]
	s_cbranch_execz .LBB29_542
.LBB29_2592:
	v_mov_b32_e32 v14, 0
	v_cmp_ne_u16_sdwa s[8:9], v10, v14 src0_sel:BYTE_3 src1_sel:DWORD
	s_andn2_b64 s[4:5], s[4:5], exec
	s_and_b64 s[8:9], s[8:9], exec
	s_or_b64 s[4:5], s[4:5], s[8:9]
	s_or_b64 exec, exec, s[6:7]
	s_and_saveexec_b64 s[6:7], s[4:5]
	s_cbranch_execnz .LBB29_543
	s_branch .LBB29_544
.LBB29_2593:
	s_movk_i32 s4, 0x80
	v_cmp_eq_u16_sdwa s[12:13], v15, s4 src0_sel:BYTE_0 src1_sel:DWORD
	s_mov_b64 s[4:5], -1
                                        ; implicit-def: $sgpr10
	s_and_saveexec_b64 s[8:9], s[12:13]
; %bb.2594:
	s_mov_b32 s10, 0x7f800001
	s_xor_b64 s[4:5], exec, -1
; %bb.2595:
	s_or_b64 exec, exec, s[8:9]
	s_and_b64 s[4:5], s[4:5], exec
	s_or_saveexec_b64 s[6:7], s[6:7]
	v_mov_b32_e32 v10, s10
	s_xor_b64 exec, exec, s[6:7]
	s_cbranch_execz .LBB29_546
.LBB29_2596:
	v_mov_b32_e32 v10, 0
	v_cmp_ne_u16_sdwa s[8:9], v15, v10 src0_sel:BYTE_0 src1_sel:DWORD
	s_andn2_b64 s[4:5], s[4:5], exec
	s_and_b64 s[8:9], s[8:9], exec
	s_or_b64 s[4:5], s[4:5], s[8:9]
	s_or_b64 exec, exec, s[6:7]
	s_and_saveexec_b64 s[6:7], s[4:5]
	s_cbranch_execnz .LBB29_547
	s_branch .LBB29_548
.LBB29_2597:
	s_movk_i32 s4, 0x80
	v_cmp_eq_u16_sdwa s[12:13], v11, s4 src0_sel:BYTE_0 src1_sel:DWORD
	s_mov_b64 s[4:5], -1
                                        ; implicit-def: $sgpr10
	s_and_saveexec_b64 s[8:9], s[12:13]
; %bb.2598:
	s_mov_b32 s10, 0x7f800001
	s_xor_b64 s[4:5], exec, -1
; %bb.2599:
	s_or_b64 exec, exec, s[8:9]
	s_and_b64 s[4:5], s[4:5], exec
	s_or_saveexec_b64 s[6:7], s[6:7]
	v_mov_b32_e32 v14, s10
	s_xor_b64 exec, exec, s[6:7]
	s_cbranch_execz .LBB29_550
.LBB29_2600:
	v_mov_b32_e32 v14, 0
	v_cmp_ne_u16_sdwa s[8:9], v11, v14 src0_sel:BYTE_0 src1_sel:DWORD
	s_andn2_b64 s[4:5], s[4:5], exec
	s_and_b64 s[8:9], s[8:9], exec
	s_or_b64 s[4:5], s[4:5], s[8:9]
	s_or_b64 exec, exec, s[6:7]
	s_and_saveexec_b64 s[6:7], s[4:5]
	s_cbranch_execnz .LBB29_551
	s_branch .LBB29_552
.LBB29_2601:
	s_movk_i32 s4, 0x80
	v_cmp_eq_u16_sdwa s[12:13], v14, s4 src0_sel:BYTE_0 src1_sel:DWORD
	s_mov_b64 s[4:5], -1
                                        ; implicit-def: $sgpr10
	s_and_saveexec_b64 s[8:9], s[12:13]
; %bb.2602:
	s_mov_b32 s10, 0x7f800001
	s_xor_b64 s[4:5], exec, -1
; %bb.2603:
	s_or_b64 exec, exec, s[8:9]
	s_and_b64 s[4:5], s[4:5], exec
	s_or_saveexec_b64 s[6:7], s[6:7]
	v_mov_b32_e32 v10, s10
	s_xor_b64 exec, exec, s[6:7]
	s_cbranch_execz .LBB29_554
.LBB29_2604:
	v_mov_b32_e32 v10, 0
	v_cmp_ne_u16_sdwa s[8:9], v14, v10 src0_sel:BYTE_0 src1_sel:DWORD
	s_andn2_b64 s[4:5], s[4:5], exec
	s_and_b64 s[8:9], s[8:9], exec
	s_or_b64 s[4:5], s[4:5], s[8:9]
	s_or_b64 exec, exec, s[6:7]
	s_and_saveexec_b64 s[6:7], s[4:5]
	s_cbranch_execnz .LBB29_555
	s_branch .LBB29_556
.LBB29_2605:
	s_movk_i32 s4, 0x80
	v_cmp_eq_u16_sdwa s[12:13], v14, s4 src0_sel:BYTE_0 src1_sel:DWORD
	s_mov_b64 s[4:5], -1
                                        ; implicit-def: $sgpr10
	s_and_saveexec_b64 s[8:9], s[12:13]
; %bb.2606:
	s_mov_b32 s10, 0x7f800001
	s_xor_b64 s[4:5], exec, -1
; %bb.2607:
	s_or_b64 exec, exec, s[8:9]
	s_and_b64 s[4:5], s[4:5], exec
	s_or_saveexec_b64 s[6:7], s[6:7]
	v_mov_b32_e32 v20, s10
	s_xor_b64 exec, exec, s[6:7]
	s_cbranch_execz .LBB29_558
.LBB29_2608:
	v_mov_b32_e32 v20, 0
	v_cmp_ne_u16_sdwa s[8:9], v14, v20 src0_sel:BYTE_0 src1_sel:DWORD
	s_andn2_b64 s[4:5], s[4:5], exec
	s_and_b64 s[8:9], s[8:9], exec
	s_or_b64 s[4:5], s[4:5], s[8:9]
	s_or_b64 exec, exec, s[6:7]
	s_and_saveexec_b64 s[6:7], s[4:5]
	s_cbranch_execnz .LBB29_559
	s_branch .LBB29_560
.LBB29_2609:
	s_movk_i32 s4, 0x80
	v_cmp_eq_u16_e32 vcc, s4, v14
	s_mov_b64 s[4:5], -1
                                        ; implicit-def: $sgpr10
	s_and_saveexec_b64 s[8:9], vcc
; %bb.2610:
	s_mov_b32 s10, 0x7f800001
	s_xor_b64 s[4:5], exec, -1
; %bb.2611:
	s_or_b64 exec, exec, s[8:9]
	s_and_b64 s[4:5], s[4:5], exec
                                        ; implicit-def: $vgpr14
	s_or_saveexec_b64 s[6:7], s[6:7]
	v_mov_b32_e32 v10, s10
	s_xor_b64 exec, exec, s[6:7]
	s_cbranch_execz .LBB29_562
.LBB29_2612:
	v_cmp_ne_u16_e32 vcc, 0, v14
	s_andn2_b64 s[4:5], s[4:5], exec
	s_and_b64 s[8:9], vcc, exec
	v_mov_b32_e32 v10, 0
	s_or_b64 s[4:5], s[4:5], s[8:9]
	s_or_b64 exec, exec, s[6:7]
	s_and_saveexec_b64 s[6:7], s[4:5]
	s_cbranch_execnz .LBB29_563
	s_branch .LBB29_564
.LBB29_2613:
	s_movk_i32 s4, 0x80
	v_cmp_eq_u16_e32 vcc, s4, v14
	s_mov_b64 s[4:5], -1
                                        ; implicit-def: $sgpr10
	s_and_saveexec_b64 s[8:9], vcc
; %bb.2614:
	s_mov_b32 s10, 0x7f800001
	s_xor_b64 s[4:5], exec, -1
; %bb.2615:
	s_or_b64 exec, exec, s[8:9]
	s_and_b64 s[4:5], s[4:5], exec
                                        ; implicit-def: $vgpr14
	s_or_saveexec_b64 s[6:7], s[6:7]
	v_mov_b32_e32 v20, s10
	s_xor_b64 exec, exec, s[6:7]
	s_cbranch_execz .LBB29_566
.LBB29_2616:
	v_cmp_ne_u16_e32 vcc, 0, v14
	s_andn2_b64 s[4:5], s[4:5], exec
	s_and_b64 s[8:9], vcc, exec
	v_mov_b32_e32 v20, 0
	s_or_b64 s[4:5], s[4:5], s[8:9]
	s_or_b64 exec, exec, s[6:7]
	s_and_saveexec_b64 s[6:7], s[4:5]
	s_cbranch_execnz .LBB29_567
	s_branch .LBB29_568
.LBB29_2617:
	s_movk_i32 s4, 0x80
	v_cmp_eq_u16_sdwa s[12:13], v15, s4 src0_sel:BYTE_3 src1_sel:DWORD
	s_mov_b64 s[4:5], -1
                                        ; implicit-def: $sgpr10
	s_and_saveexec_b64 s[8:9], s[12:13]
; %bb.2618:
	s_mov_b32 s10, 0x7f800001
	s_xor_b64 s[4:5], exec, -1
; %bb.2619:
	s_or_b64 exec, exec, s[8:9]
	s_and_b64 s[4:5], s[4:5], exec
	s_or_saveexec_b64 s[6:7], s[6:7]
	v_mov_b32_e32 v10, s10
	s_xor_b64 exec, exec, s[6:7]
	s_cbranch_execz .LBB29_570
.LBB29_2620:
	v_mov_b32_e32 v10, 0
	v_cmp_ne_u16_sdwa s[8:9], v15, v10 src0_sel:BYTE_3 src1_sel:DWORD
	s_andn2_b64 s[4:5], s[4:5], exec
	s_and_b64 s[8:9], s[8:9], exec
	s_or_b64 s[4:5], s[4:5], s[8:9]
	s_or_b64 exec, exec, s[6:7]
	s_and_saveexec_b64 s[6:7], s[4:5]
	s_cbranch_execnz .LBB29_571
	s_branch .LBB29_572
.LBB29_2621:
	s_movk_i32 s4, 0x80
	v_cmp_eq_u16_sdwa s[12:13], v11, s4 src0_sel:BYTE_3 src1_sel:DWORD
	s_mov_b64 s[4:5], -1
                                        ; implicit-def: $sgpr10
	s_and_saveexec_b64 s[8:9], s[12:13]
; %bb.2622:
	s_mov_b32 s10, 0x7f800001
	s_xor_b64 s[4:5], exec, -1
; %bb.2623:
	s_or_b64 exec, exec, s[8:9]
	s_and_b64 s[4:5], s[4:5], exec
	s_or_saveexec_b64 s[6:7], s[6:7]
	v_mov_b32_e32 v14, s10
	s_xor_b64 exec, exec, s[6:7]
	s_cbranch_execz .LBB29_574
.LBB29_2624:
	v_mov_b32_e32 v14, 0
	v_cmp_ne_u16_sdwa s[8:9], v11, v14 src0_sel:BYTE_3 src1_sel:DWORD
	s_andn2_b64 s[4:5], s[4:5], exec
	s_and_b64 s[8:9], s[8:9], exec
	s_or_b64 s[4:5], s[4:5], s[8:9]
	s_or_b64 exec, exec, s[6:7]
	s_and_saveexec_b64 s[6:7], s[4:5]
	s_cbranch_execnz .LBB29_575
	s_branch .LBB29_576
.LBB29_2625:
	s_movk_i32 s4, 0x80
	v_cmp_eq_u16_sdwa s[12:13], v16, s4 src0_sel:BYTE_0 src1_sel:DWORD
	s_mov_b64 s[4:5], -1
                                        ; implicit-def: $sgpr10
	s_and_saveexec_b64 s[8:9], s[12:13]
; %bb.2626:
	s_mov_b32 s10, 0x7f800001
	s_xor_b64 s[4:5], exec, -1
; %bb.2627:
	s_or_b64 exec, exec, s[8:9]
	s_and_b64 s[4:5], s[4:5], exec
	s_or_saveexec_b64 s[6:7], s[6:7]
	v_mov_b32_e32 v10, s10
	s_xor_b64 exec, exec, s[6:7]
	s_cbranch_execz .LBB29_578
.LBB29_2628:
	v_mov_b32_e32 v10, 0
	v_cmp_ne_u16_sdwa s[8:9], v16, v10 src0_sel:BYTE_0 src1_sel:DWORD
	s_andn2_b64 s[4:5], s[4:5], exec
	s_and_b64 s[8:9], s[8:9], exec
	s_or_b64 s[4:5], s[4:5], s[8:9]
	s_or_b64 exec, exec, s[6:7]
	s_and_saveexec_b64 s[6:7], s[4:5]
	s_cbranch_execnz .LBB29_579
	s_branch .LBB29_580
.LBB29_2629:
	s_movk_i32 s4, 0x80
	v_cmp_eq_u16_sdwa s[12:13], v12, s4 src0_sel:BYTE_0 src1_sel:DWORD
	s_mov_b64 s[4:5], -1
                                        ; implicit-def: $sgpr10
	s_and_saveexec_b64 s[8:9], s[12:13]
; %bb.2630:
	s_mov_b32 s10, 0x7f800001
	s_xor_b64 s[4:5], exec, -1
; %bb.2631:
	s_or_b64 exec, exec, s[8:9]
	s_and_b64 s[4:5], s[4:5], exec
	s_or_saveexec_b64 s[6:7], s[6:7]
	v_mov_b32_e32 v11, s10
	s_xor_b64 exec, exec, s[6:7]
	s_cbranch_execz .LBB29_582
.LBB29_2632:
	v_mov_b32_e32 v11, 0
	v_cmp_ne_u16_sdwa s[8:9], v12, v11 src0_sel:BYTE_0 src1_sel:DWORD
	s_andn2_b64 s[4:5], s[4:5], exec
	s_and_b64 s[8:9], s[8:9], exec
	s_or_b64 s[4:5], s[4:5], s[8:9]
	s_or_b64 exec, exec, s[6:7]
	s_and_saveexec_b64 s[6:7], s[4:5]
	s_cbranch_execnz .LBB29_583
	s_branch .LBB29_584
.LBB29_2633:
	s_movk_i32 s4, 0x80
	v_cmp_eq_u16_sdwa s[12:13], v11, s4 src0_sel:BYTE_0 src1_sel:DWORD
	s_mov_b64 s[4:5], -1
                                        ; implicit-def: $sgpr10
	s_and_saveexec_b64 s[8:9], s[12:13]
; %bb.2634:
	s_mov_b32 s10, 0x7f800001
	s_xor_b64 s[4:5], exec, -1
; %bb.2635:
	s_or_b64 exec, exec, s[8:9]
	s_and_b64 s[4:5], s[4:5], exec
	s_or_saveexec_b64 s[6:7], s[6:7]
	v_mov_b32_e32 v10, s10
	s_xor_b64 exec, exec, s[6:7]
	s_cbranch_execz .LBB29_586
.LBB29_2636:
	v_mov_b32_e32 v10, 0
	v_cmp_ne_u16_sdwa s[8:9], v11, v10 src0_sel:BYTE_0 src1_sel:DWORD
	s_andn2_b64 s[4:5], s[4:5], exec
	s_and_b64 s[8:9], s[8:9], exec
	s_or_b64 s[4:5], s[4:5], s[8:9]
	s_or_b64 exec, exec, s[6:7]
	s_and_saveexec_b64 s[6:7], s[4:5]
	s_cbranch_execnz .LBB29_587
	s_branch .LBB29_588
.LBB29_2637:
	s_movk_i32 s4, 0x80
	v_cmp_eq_u16_sdwa s[12:13], v11, s4 src0_sel:BYTE_0 src1_sel:DWORD
	s_mov_b64 s[4:5], -1
                                        ; implicit-def: $sgpr10
	s_and_saveexec_b64 s[8:9], s[12:13]
; %bb.2638:
	s_mov_b32 s10, 0x7f800001
	s_xor_b64 s[4:5], exec, -1
; %bb.2639:
	s_or_b64 exec, exec, s[8:9]
	s_and_b64 s[4:5], s[4:5], exec
	s_or_saveexec_b64 s[6:7], s[6:7]
	v_mov_b32_e32 v14, s10
	s_xor_b64 exec, exec, s[6:7]
	s_cbranch_execz .LBB29_590
.LBB29_2640:
	v_mov_b32_e32 v14, 0
	v_cmp_ne_u16_sdwa s[8:9], v11, v14 src0_sel:BYTE_0 src1_sel:DWORD
	s_andn2_b64 s[4:5], s[4:5], exec
	s_and_b64 s[8:9], s[8:9], exec
	s_or_b64 s[4:5], s[4:5], s[8:9]
	s_or_b64 exec, exec, s[6:7]
	s_and_saveexec_b64 s[6:7], s[4:5]
	s_cbranch_execnz .LBB29_591
	s_branch .LBB29_592
.LBB29_2641:
	s_movk_i32 s4, 0x80
	v_cmp_eq_u16_e32 vcc, s4, v11
	s_mov_b64 s[4:5], -1
                                        ; implicit-def: $sgpr10
	s_and_saveexec_b64 s[8:9], vcc
; %bb.2642:
	s_mov_b32 s10, 0x7f800001
	s_xor_b64 s[4:5], exec, -1
; %bb.2643:
	s_or_b64 exec, exec, s[8:9]
	s_and_b64 s[4:5], s[4:5], exec
                                        ; implicit-def: $vgpr11
	s_or_saveexec_b64 s[6:7], s[6:7]
	v_mov_b32_e32 v10, s10
	s_xor_b64 exec, exec, s[6:7]
	s_cbranch_execz .LBB29_594
.LBB29_2644:
	v_cmp_ne_u16_e32 vcc, 0, v11
	s_andn2_b64 s[4:5], s[4:5], exec
	s_and_b64 s[8:9], vcc, exec
	v_mov_b32_e32 v10, 0
	s_or_b64 s[4:5], s[4:5], s[8:9]
	s_or_b64 exec, exec, s[6:7]
	s_and_saveexec_b64 s[6:7], s[4:5]
	s_cbranch_execnz .LBB29_595
	s_branch .LBB29_596
.LBB29_2645:
	s_movk_i32 s4, 0x80
	v_cmp_eq_u16_e32 vcc, s4, v11
	s_mov_b64 s[4:5], -1
                                        ; implicit-def: $sgpr10
	s_and_saveexec_b64 s[8:9], vcc
; %bb.2646:
	s_mov_b32 s10, 0x7f800001
	s_xor_b64 s[4:5], exec, -1
; %bb.2647:
	s_or_b64 exec, exec, s[8:9]
	s_and_b64 s[4:5], s[4:5], exec
                                        ; implicit-def: $vgpr11
	s_or_saveexec_b64 s[6:7], s[6:7]
	v_mov_b32_e32 v14, s10
	s_xor_b64 exec, exec, s[6:7]
	s_cbranch_execz .LBB29_598
.LBB29_2648:
	v_cmp_ne_u16_e32 vcc, 0, v11
	s_andn2_b64 s[4:5], s[4:5], exec
	s_and_b64 s[8:9], vcc, exec
	v_mov_b32_e32 v14, 0
	s_or_b64 s[4:5], s[4:5], s[8:9]
	s_or_b64 exec, exec, s[6:7]
	s_and_saveexec_b64 s[6:7], s[4:5]
	s_cbranch_execnz .LBB29_599
	s_branch .LBB29_600
.LBB29_2649:
	s_movk_i32 s4, 0x80
	v_cmp_eq_u16_sdwa s[12:13], v16, s4 src0_sel:BYTE_3 src1_sel:DWORD
	s_mov_b64 s[4:5], -1
                                        ; implicit-def: $sgpr10
	s_and_saveexec_b64 s[8:9], s[12:13]
; %bb.2650:
	s_mov_b32 s10, 0x7f800001
	s_xor_b64 s[4:5], exec, -1
; %bb.2651:
	s_or_b64 exec, exec, s[8:9]
	s_and_b64 s[4:5], s[4:5], exec
	s_or_saveexec_b64 s[6:7], s[6:7]
	v_mov_b32_e32 v10, s10
	s_xor_b64 exec, exec, s[6:7]
	s_cbranch_execz .LBB29_602
.LBB29_2652:
	v_mov_b32_e32 v10, 0
	v_cmp_ne_u16_sdwa s[8:9], v16, v10 src0_sel:BYTE_3 src1_sel:DWORD
	s_andn2_b64 s[4:5], s[4:5], exec
	s_and_b64 s[8:9], s[8:9], exec
	s_or_b64 s[4:5], s[4:5], s[8:9]
	s_or_b64 exec, exec, s[6:7]
	s_and_saveexec_b64 s[6:7], s[4:5]
	s_cbranch_execnz .LBB29_603
	s_branch .LBB29_604
.LBB29_2653:
	s_movk_i32 s4, 0x80
	v_cmp_eq_u16_sdwa s[12:13], v12, s4 src0_sel:BYTE_3 src1_sel:DWORD
	s_mov_b64 s[4:5], -1
                                        ; implicit-def: $sgpr10
	s_and_saveexec_b64 s[8:9], s[12:13]
; %bb.2654:
	s_mov_b32 s10, 0x7f800001
	s_xor_b64 s[4:5], exec, -1
; %bb.2655:
	s_or_b64 exec, exec, s[8:9]
	s_and_b64 s[4:5], s[4:5], exec
	s_or_saveexec_b64 s[6:7], s[6:7]
	v_mov_b32_e32 v11, s10
	s_xor_b64 exec, exec, s[6:7]
	s_cbranch_execz .LBB29_606
.LBB29_2656:
	v_mov_b32_e32 v11, 0
	v_cmp_ne_u16_sdwa s[8:9], v12, v11 src0_sel:BYTE_3 src1_sel:DWORD
	s_andn2_b64 s[4:5], s[4:5], exec
	s_and_b64 s[8:9], s[8:9], exec
	s_or_b64 s[4:5], s[4:5], s[8:9]
	s_or_b64 exec, exec, s[6:7]
	s_and_saveexec_b64 s[6:7], s[4:5]
	s_cbranch_execnz .LBB29_607
	s_branch .LBB29_608
.LBB29_2657:
	s_movk_i32 s4, 0x80
	v_cmp_eq_u16_sdwa s[12:13], v17, s4 src0_sel:BYTE_0 src1_sel:DWORD
	s_mov_b64 s[4:5], -1
                                        ; implicit-def: $sgpr10
	s_and_saveexec_b64 s[8:9], s[12:13]
; %bb.2658:
	s_mov_b32 s10, 0x7f800001
	s_xor_b64 s[4:5], exec, -1
; %bb.2659:
	s_or_b64 exec, exec, s[8:9]
	s_and_b64 s[4:5], s[4:5], exec
	s_or_saveexec_b64 s[6:7], s[6:7]
	v_mov_b32_e32 v10, s10
	s_xor_b64 exec, exec, s[6:7]
	s_cbranch_execz .LBB29_610
.LBB29_2660:
	v_mov_b32_e32 v10, 0
	v_cmp_ne_u16_sdwa s[8:9], v17, v10 src0_sel:BYTE_0 src1_sel:DWORD
	s_andn2_b64 s[4:5], s[4:5], exec
	s_and_b64 s[8:9], s[8:9], exec
	s_or_b64 s[4:5], s[4:5], s[8:9]
	s_or_b64 exec, exec, s[6:7]
	s_and_saveexec_b64 s[6:7], s[4:5]
	s_cbranch_execnz .LBB29_611
	s_branch .LBB29_612
.LBB29_2661:
	s_movk_i32 s4, 0x80
	v_cmp_eq_u16_sdwa s[12:13], v13, s4 src0_sel:BYTE_0 src1_sel:DWORD
	s_mov_b64 s[4:5], -1
                                        ; implicit-def: $sgpr10
	s_and_saveexec_b64 s[8:9], s[12:13]
; %bb.2662:
	s_mov_b32 s10, 0x7f800001
	s_xor_b64 s[4:5], exec, -1
; %bb.2663:
	s_or_b64 exec, exec, s[8:9]
	s_and_b64 s[4:5], s[4:5], exec
	s_or_saveexec_b64 s[6:7], s[6:7]
	v_mov_b32_e32 v11, s10
	s_xor_b64 exec, exec, s[6:7]
	s_cbranch_execz .LBB29_614
.LBB29_2664:
	v_mov_b32_e32 v11, 0
	v_cmp_ne_u16_sdwa s[8:9], v13, v11 src0_sel:BYTE_0 src1_sel:DWORD
	s_andn2_b64 s[4:5], s[4:5], exec
	s_and_b64 s[8:9], s[8:9], exec
	s_or_b64 s[4:5], s[4:5], s[8:9]
	s_or_b64 exec, exec, s[6:7]
	s_and_saveexec_b64 s[6:7], s[4:5]
	s_cbranch_execnz .LBB29_615
	s_branch .LBB29_616
.LBB29_2665:
	s_movk_i32 s4, 0x80
	v_cmp_eq_u16_sdwa s[12:13], v11, s4 src0_sel:BYTE_0 src1_sel:DWORD
	s_mov_b64 s[4:5], -1
                                        ; implicit-def: $sgpr10
	s_and_saveexec_b64 s[8:9], s[12:13]
; %bb.2666:
	s_mov_b32 s10, 0x7f800001
	s_xor_b64 s[4:5], exec, -1
; %bb.2667:
	s_or_b64 exec, exec, s[8:9]
	s_and_b64 s[4:5], s[4:5], exec
	s_or_saveexec_b64 s[6:7], s[6:7]
	v_mov_b32_e32 v10, s10
	s_xor_b64 exec, exec, s[6:7]
	s_cbranch_execz .LBB29_618
.LBB29_2668:
	v_mov_b32_e32 v10, 0
	v_cmp_ne_u16_sdwa s[8:9], v11, v10 src0_sel:BYTE_0 src1_sel:DWORD
	s_andn2_b64 s[4:5], s[4:5], exec
	s_and_b64 s[8:9], s[8:9], exec
	s_or_b64 s[4:5], s[4:5], s[8:9]
	s_or_b64 exec, exec, s[6:7]
	s_and_saveexec_b64 s[6:7], s[4:5]
	s_cbranch_execnz .LBB29_619
	s_branch .LBB29_620
.LBB29_2669:
	s_movk_i32 s4, 0x80
	v_cmp_eq_u16_sdwa s[12:13], v11, s4 src0_sel:BYTE_0 src1_sel:DWORD
	s_mov_b64 s[4:5], -1
                                        ; implicit-def: $sgpr10
	s_and_saveexec_b64 s[8:9], s[12:13]
; %bb.2670:
	s_mov_b32 s10, 0x7f800001
	s_xor_b64 s[4:5], exec, -1
; %bb.2671:
	s_or_b64 exec, exec, s[8:9]
	s_and_b64 s[4:5], s[4:5], exec
	s_or_saveexec_b64 s[6:7], s[6:7]
	v_mov_b32_e32 v12, s10
	s_xor_b64 exec, exec, s[6:7]
	s_cbranch_execz .LBB29_622
.LBB29_2672:
	v_mov_b32_e32 v12, 0
	v_cmp_ne_u16_sdwa s[8:9], v11, v12 src0_sel:BYTE_0 src1_sel:DWORD
	s_andn2_b64 s[4:5], s[4:5], exec
	s_and_b64 s[8:9], s[8:9], exec
	s_or_b64 s[4:5], s[4:5], s[8:9]
	s_or_b64 exec, exec, s[6:7]
	s_and_saveexec_b64 s[6:7], s[4:5]
	s_cbranch_execnz .LBB29_623
	s_branch .LBB29_624
.LBB29_2673:
	s_movk_i32 s4, 0x80
	v_cmp_eq_u16_e32 vcc, s4, v11
	s_mov_b64 s[4:5], -1
                                        ; implicit-def: $sgpr10
	s_and_saveexec_b64 s[8:9], vcc
; %bb.2674:
	s_mov_b32 s10, 0x7f800001
	s_xor_b64 s[4:5], exec, -1
; %bb.2675:
	s_or_b64 exec, exec, s[8:9]
	s_and_b64 s[4:5], s[4:5], exec
                                        ; implicit-def: $vgpr11
	s_or_saveexec_b64 s[6:7], s[6:7]
	v_mov_b32_e32 v10, s10
	s_xor_b64 exec, exec, s[6:7]
	s_cbranch_execz .LBB29_626
.LBB29_2676:
	v_cmp_ne_u16_e32 vcc, 0, v11
	s_andn2_b64 s[4:5], s[4:5], exec
	s_and_b64 s[8:9], vcc, exec
	v_mov_b32_e32 v10, 0
	s_or_b64 s[4:5], s[4:5], s[8:9]
	s_or_b64 exec, exec, s[6:7]
	s_and_saveexec_b64 s[6:7], s[4:5]
	s_cbranch_execnz .LBB29_627
	s_branch .LBB29_628
.LBB29_2677:
	s_movk_i32 s4, 0x80
	v_cmp_eq_u16_e32 vcc, s4, v11
	s_mov_b64 s[4:5], -1
                                        ; implicit-def: $sgpr10
	s_and_saveexec_b64 s[8:9], vcc
; %bb.2678:
	s_mov_b32 s10, 0x7f800001
	s_xor_b64 s[4:5], exec, -1
; %bb.2679:
	s_or_b64 exec, exec, s[8:9]
	s_and_b64 s[4:5], s[4:5], exec
                                        ; implicit-def: $vgpr11
	s_or_saveexec_b64 s[6:7], s[6:7]
	v_mov_b32_e32 v12, s10
	s_xor_b64 exec, exec, s[6:7]
	s_cbranch_execz .LBB29_630
.LBB29_2680:
	v_cmp_ne_u16_e32 vcc, 0, v11
	s_andn2_b64 s[4:5], s[4:5], exec
	s_and_b64 s[8:9], vcc, exec
	v_mov_b32_e32 v12, 0
	s_or_b64 s[4:5], s[4:5], s[8:9]
	s_or_b64 exec, exec, s[6:7]
	s_and_saveexec_b64 s[6:7], s[4:5]
	s_cbranch_execnz .LBB29_631
	s_branch .LBB29_632
.LBB29_2681:
	s_movk_i32 s4, 0x80
	v_cmp_eq_u16_sdwa s[12:13], v17, s4 src0_sel:BYTE_3 src1_sel:DWORD
	s_mov_b64 s[4:5], -1
                                        ; implicit-def: $sgpr10
	s_and_saveexec_b64 s[8:9], s[12:13]
; %bb.2682:
	s_mov_b32 s10, 0x7f800001
	s_xor_b64 s[4:5], exec, -1
; %bb.2683:
	s_or_b64 exec, exec, s[8:9]
	s_and_b64 s[4:5], s[4:5], exec
	s_or_saveexec_b64 s[6:7], s[6:7]
	v_mov_b32_e32 v10, s10
	s_xor_b64 exec, exec, s[6:7]
	s_cbranch_execz .LBB29_634
.LBB29_2684:
	v_mov_b32_e32 v10, 0
	v_cmp_ne_u16_sdwa s[8:9], v17, v10 src0_sel:BYTE_3 src1_sel:DWORD
	s_andn2_b64 s[4:5], s[4:5], exec
	s_and_b64 s[8:9], s[8:9], exec
	s_or_b64 s[4:5], s[4:5], s[8:9]
	s_or_b64 exec, exec, s[6:7]
	s_and_saveexec_b64 s[6:7], s[4:5]
	s_cbranch_execnz .LBB29_635
	s_branch .LBB29_636
.LBB29_2685:
	s_movk_i32 s4, 0x80
	v_cmp_eq_u16_sdwa s[12:13], v13, s4 src0_sel:BYTE_3 src1_sel:DWORD
	s_mov_b64 s[4:5], -1
                                        ; implicit-def: $sgpr10
	s_and_saveexec_b64 s[8:9], s[12:13]
; %bb.2686:
	s_mov_b32 s10, 0x7f800001
	s_xor_b64 s[4:5], exec, -1
; %bb.2687:
	s_or_b64 exec, exec, s[8:9]
	s_and_b64 s[4:5], s[4:5], exec
	s_or_saveexec_b64 s[6:7], s[6:7]
	v_mov_b32_e32 v11, s10
	s_xor_b64 exec, exec, s[6:7]
	s_cbranch_execz .LBB29_638
.LBB29_2688:
	v_mov_b32_e32 v11, 0
	v_cmp_ne_u16_sdwa s[8:9], v13, v11 src0_sel:BYTE_3 src1_sel:DWORD
	s_andn2_b64 s[4:5], s[4:5], exec
	s_and_b64 s[8:9], s[8:9], exec
	s_or_b64 s[4:5], s[4:5], s[8:9]
	s_or_b64 exec, exec, s[6:7]
	s_and_saveexec_b64 s[6:7], s[4:5]
	s_cbranch_execnz .LBB29_639
	s_branch .LBB29_640
.LBB29_2689:
	s_movk_i32 s4, 0x80
	v_cmp_eq_u16_sdwa s[12:13], v6, s4 src0_sel:BYTE_0 src1_sel:DWORD
	s_mov_b64 s[4:5], -1
                                        ; implicit-def: $sgpr10
	s_and_saveexec_b64 s[8:9], s[12:13]
; %bb.2690:
	s_mov_b32 s10, 0x7f800001
	s_xor_b64 s[4:5], exec, -1
; %bb.2691:
	s_or_b64 exec, exec, s[8:9]
	s_and_b64 s[4:5], s[4:5], exec
	s_or_saveexec_b64 s[6:7], s[6:7]
	v_mov_b32_e32 v10, s10
	s_xor_b64 exec, exec, s[6:7]
	s_cbranch_execz .LBB29_642
.LBB29_2692:
	v_mov_b32_e32 v10, 0
	v_cmp_ne_u16_sdwa s[8:9], v6, v10 src0_sel:BYTE_0 src1_sel:DWORD
	s_andn2_b64 s[4:5], s[4:5], exec
	s_and_b64 s[8:9], s[8:9], exec
	s_or_b64 s[4:5], s[4:5], s[8:9]
	s_or_b64 exec, exec, s[6:7]
	s_and_saveexec_b64 s[6:7], s[4:5]
	s_cbranch_execnz .LBB29_643
	s_branch .LBB29_644
.LBB29_2693:
	s_movk_i32 s4, 0x80
	v_cmp_eq_u16_sdwa s[12:13], v2, s4 src0_sel:BYTE_0 src1_sel:DWORD
	s_mov_b64 s[4:5], -1
                                        ; implicit-def: $sgpr10
	s_and_saveexec_b64 s[8:9], s[12:13]
; %bb.2694:
	s_mov_b32 s10, 0x7f800001
	s_xor_b64 s[4:5], exec, -1
; %bb.2695:
	s_or_b64 exec, exec, s[8:9]
	s_and_b64 s[4:5], s[4:5], exec
	s_or_saveexec_b64 s[6:7], s[6:7]
	v_mov_b32_e32 v11, s10
	s_xor_b64 exec, exec, s[6:7]
	s_cbranch_execz .LBB29_646
.LBB29_2696:
	v_mov_b32_e32 v11, 0
	v_cmp_ne_u16_sdwa s[8:9], v2, v11 src0_sel:BYTE_0 src1_sel:DWORD
	s_andn2_b64 s[4:5], s[4:5], exec
	s_and_b64 s[8:9], s[8:9], exec
	s_or_b64 s[4:5], s[4:5], s[8:9]
	s_or_b64 exec, exec, s[6:7]
	s_and_saveexec_b64 s[6:7], s[4:5]
	s_cbranch_execnz .LBB29_647
	s_branch .LBB29_648
.LBB29_2697:
	s_movk_i32 s4, 0x80
	v_cmp_eq_u16_sdwa s[12:13], v11, s4 src0_sel:BYTE_0 src1_sel:DWORD
	s_mov_b64 s[4:5], -1
                                        ; implicit-def: $sgpr10
	s_and_saveexec_b64 s[8:9], s[12:13]
; %bb.2698:
	s_mov_b32 s10, 0x7f800001
	s_xor_b64 s[4:5], exec, -1
; %bb.2699:
	s_or_b64 exec, exec, s[8:9]
	s_and_b64 s[4:5], s[4:5], exec
	s_or_saveexec_b64 s[6:7], s[6:7]
	v_mov_b32_e32 v10, s10
	s_xor_b64 exec, exec, s[6:7]
	s_cbranch_execz .LBB29_650
.LBB29_2700:
	v_mov_b32_e32 v10, 0
	v_cmp_ne_u16_sdwa s[8:9], v11, v10 src0_sel:BYTE_0 src1_sel:DWORD
	s_andn2_b64 s[4:5], s[4:5], exec
	s_and_b64 s[8:9], s[8:9], exec
	s_or_b64 s[4:5], s[4:5], s[8:9]
	s_or_b64 exec, exec, s[6:7]
	s_and_saveexec_b64 s[6:7], s[4:5]
	s_cbranch_execnz .LBB29_651
	s_branch .LBB29_652
.LBB29_2701:
	s_movk_i32 s4, 0x80
	v_cmp_eq_u16_sdwa s[12:13], v11, s4 src0_sel:BYTE_0 src1_sel:DWORD
	s_mov_b64 s[4:5], -1
                                        ; implicit-def: $sgpr10
	s_and_saveexec_b64 s[8:9], s[12:13]
; %bb.2702:
	s_mov_b32 s10, 0x7f800001
	s_xor_b64 s[4:5], exec, -1
; %bb.2703:
	s_or_b64 exec, exec, s[8:9]
	s_and_b64 s[4:5], s[4:5], exec
	s_or_saveexec_b64 s[6:7], s[6:7]
	v_mov_b32_e32 v12, s10
	s_xor_b64 exec, exec, s[6:7]
	s_cbranch_execz .LBB29_654
.LBB29_2704:
	v_mov_b32_e32 v12, 0
	v_cmp_ne_u16_sdwa s[8:9], v11, v12 src0_sel:BYTE_0 src1_sel:DWORD
	s_andn2_b64 s[4:5], s[4:5], exec
	s_and_b64 s[8:9], s[8:9], exec
	s_or_b64 s[4:5], s[4:5], s[8:9]
	s_or_b64 exec, exec, s[6:7]
	s_and_saveexec_b64 s[6:7], s[4:5]
	s_cbranch_execnz .LBB29_655
	s_branch .LBB29_656
.LBB29_2705:
	s_movk_i32 s4, 0x80
	v_cmp_eq_u16_e32 vcc, s4, v11
	s_mov_b64 s[4:5], -1
                                        ; implicit-def: $sgpr10
	s_and_saveexec_b64 s[8:9], vcc
; %bb.2706:
	s_mov_b32 s10, 0x7f800001
	s_xor_b64 s[4:5], exec, -1
; %bb.2707:
	s_or_b64 exec, exec, s[8:9]
	s_and_b64 s[4:5], s[4:5], exec
                                        ; implicit-def: $vgpr11
	s_or_saveexec_b64 s[6:7], s[6:7]
	v_mov_b32_e32 v10, s10
	s_xor_b64 exec, exec, s[6:7]
	s_cbranch_execz .LBB29_658
.LBB29_2708:
	v_cmp_ne_u16_e32 vcc, 0, v11
	s_andn2_b64 s[4:5], s[4:5], exec
	s_and_b64 s[8:9], vcc, exec
	v_mov_b32_e32 v10, 0
	s_or_b64 s[4:5], s[4:5], s[8:9]
	s_or_b64 exec, exec, s[6:7]
	s_and_saveexec_b64 s[6:7], s[4:5]
	s_cbranch_execnz .LBB29_659
	s_branch .LBB29_660
.LBB29_2709:
	s_movk_i32 s4, 0x80
	v_cmp_eq_u16_e32 vcc, s4, v11
	s_mov_b64 s[4:5], -1
                                        ; implicit-def: $sgpr10
	s_and_saveexec_b64 s[8:9], vcc
; %bb.2710:
	s_mov_b32 s10, 0x7f800001
	s_xor_b64 s[4:5], exec, -1
; %bb.2711:
	s_or_b64 exec, exec, s[8:9]
	s_and_b64 s[4:5], s[4:5], exec
                                        ; implicit-def: $vgpr11
	s_or_saveexec_b64 s[6:7], s[6:7]
	v_mov_b32_e32 v12, s10
	s_xor_b64 exec, exec, s[6:7]
	s_cbranch_execz .LBB29_662
.LBB29_2712:
	v_cmp_ne_u16_e32 vcc, 0, v11
	s_andn2_b64 s[4:5], s[4:5], exec
	s_and_b64 s[8:9], vcc, exec
	v_mov_b32_e32 v12, 0
	s_or_b64 s[4:5], s[4:5], s[8:9]
	s_or_b64 exec, exec, s[6:7]
	s_and_saveexec_b64 s[6:7], s[4:5]
	s_cbranch_execnz .LBB29_663
	s_branch .LBB29_664
.LBB29_2713:
	s_movk_i32 s4, 0x80
	v_cmp_eq_u16_sdwa s[12:13], v6, s4 src0_sel:BYTE_3 src1_sel:DWORD
	s_mov_b64 s[4:5], -1
                                        ; implicit-def: $sgpr10
	s_and_saveexec_b64 s[8:9], s[12:13]
; %bb.2714:
	s_mov_b32 s10, 0x7f800001
	s_xor_b64 s[4:5], exec, -1
; %bb.2715:
	s_or_b64 exec, exec, s[8:9]
	s_and_b64 s[4:5], s[4:5], exec
	s_or_saveexec_b64 s[6:7], s[6:7]
	v_mov_b32_e32 v10, s10
	s_xor_b64 exec, exec, s[6:7]
	s_cbranch_execz .LBB29_666
.LBB29_2716:
	v_mov_b32_e32 v10, 0
	v_cmp_ne_u16_sdwa s[8:9], v6, v10 src0_sel:BYTE_3 src1_sel:DWORD
	s_andn2_b64 s[4:5], s[4:5], exec
	s_and_b64 s[8:9], s[8:9], exec
	s_or_b64 s[4:5], s[4:5], s[8:9]
	s_or_b64 exec, exec, s[6:7]
	s_and_saveexec_b64 s[6:7], s[4:5]
	s_cbranch_execnz .LBB29_667
	s_branch .LBB29_668
.LBB29_2717:
	s_movk_i32 s4, 0x80
	v_cmp_eq_u16_sdwa s[12:13], v2, s4 src0_sel:BYTE_3 src1_sel:DWORD
	s_mov_b64 s[4:5], -1
                                        ; implicit-def: $sgpr10
	s_and_saveexec_b64 s[8:9], s[12:13]
; %bb.2718:
	s_mov_b32 s10, 0x7f800001
	s_xor_b64 s[4:5], exec, -1
; %bb.2719:
	s_or_b64 exec, exec, s[8:9]
	s_and_b64 s[4:5], s[4:5], exec
	s_or_saveexec_b64 s[6:7], s[6:7]
	v_mov_b32_e32 v6, s10
	s_xor_b64 exec, exec, s[6:7]
	s_cbranch_execz .LBB29_670
.LBB29_2720:
	v_mov_b32_e32 v6, 0
	v_cmp_ne_u16_sdwa s[8:9], v2, v6 src0_sel:BYTE_3 src1_sel:DWORD
	s_andn2_b64 s[4:5], s[4:5], exec
	s_and_b64 s[8:9], s[8:9], exec
	s_or_b64 s[4:5], s[4:5], s[8:9]
	s_or_b64 exec, exec, s[6:7]
	s_and_saveexec_b64 s[6:7], s[4:5]
	s_cbranch_execnz .LBB29_671
	s_branch .LBB29_672
.LBB29_2721:
	s_movk_i32 s4, 0x80
	v_cmp_eq_u16_sdwa s[12:13], v7, s4 src0_sel:BYTE_0 src1_sel:DWORD
	s_mov_b64 s[4:5], -1
                                        ; implicit-def: $sgpr10
	s_and_saveexec_b64 s[8:9], s[12:13]
; %bb.2722:
	s_mov_b32 s10, 0x7f800001
	s_xor_b64 s[4:5], exec, -1
; %bb.2723:
	s_or_b64 exec, exec, s[8:9]
	s_and_b64 s[4:5], s[4:5], exec
	s_or_saveexec_b64 s[6:7], s[6:7]
	v_mov_b32_e32 v2, s10
	s_xor_b64 exec, exec, s[6:7]
	s_cbranch_execz .LBB29_674
.LBB29_2724:
	v_mov_b32_e32 v2, 0
	v_cmp_ne_u16_sdwa s[8:9], v7, v2 src0_sel:BYTE_0 src1_sel:DWORD
	s_andn2_b64 s[4:5], s[4:5], exec
	s_and_b64 s[8:9], s[8:9], exec
	s_or_b64 s[4:5], s[4:5], s[8:9]
	s_or_b64 exec, exec, s[6:7]
	s_and_saveexec_b64 s[6:7], s[4:5]
	s_cbranch_execnz .LBB29_675
	s_branch .LBB29_676
.LBB29_2725:
	s_movk_i32 s4, 0x80
	v_cmp_eq_u16_sdwa s[12:13], v3, s4 src0_sel:BYTE_0 src1_sel:DWORD
	s_mov_b64 s[4:5], -1
                                        ; implicit-def: $sgpr10
	s_and_saveexec_b64 s[8:9], s[12:13]
; %bb.2726:
	s_mov_b32 s10, 0x7f800001
	s_xor_b64 s[4:5], exec, -1
; %bb.2727:
	s_or_b64 exec, exec, s[8:9]
	s_and_b64 s[4:5], s[4:5], exec
	s_or_saveexec_b64 s[6:7], s[6:7]
	v_mov_b32_e32 v6, s10
	s_xor_b64 exec, exec, s[6:7]
	s_cbranch_execz .LBB29_678
.LBB29_2728:
	v_mov_b32_e32 v6, 0
	v_cmp_ne_u16_sdwa s[8:9], v3, v6 src0_sel:BYTE_0 src1_sel:DWORD
	s_andn2_b64 s[4:5], s[4:5], exec
	s_and_b64 s[8:9], s[8:9], exec
	s_or_b64 s[4:5], s[4:5], s[8:9]
	s_or_b64 exec, exec, s[6:7]
	s_and_saveexec_b64 s[6:7], s[4:5]
	s_cbranch_execnz .LBB29_679
	s_branch .LBB29_680
.LBB29_2729:
	s_movk_i32 s4, 0x80
	v_cmp_eq_u16_sdwa s[12:13], v6, s4 src0_sel:BYTE_0 src1_sel:DWORD
	s_mov_b64 s[4:5], -1
                                        ; implicit-def: $sgpr10
	s_and_saveexec_b64 s[8:9], s[12:13]
; %bb.2730:
	s_mov_b32 s10, 0x7f800001
	s_xor_b64 s[4:5], exec, -1
; %bb.2731:
	s_or_b64 exec, exec, s[8:9]
	s_and_b64 s[4:5], s[4:5], exec
	s_or_saveexec_b64 s[6:7], s[6:7]
	v_mov_b32_e32 v2, s10
	s_xor_b64 exec, exec, s[6:7]
	s_cbranch_execz .LBB29_682
.LBB29_2732:
	v_mov_b32_e32 v2, 0
	v_cmp_ne_u16_sdwa s[8:9], v6, v2 src0_sel:BYTE_0 src1_sel:DWORD
	s_andn2_b64 s[4:5], s[4:5], exec
	s_and_b64 s[8:9], s[8:9], exec
	s_or_b64 s[4:5], s[4:5], s[8:9]
	s_or_b64 exec, exec, s[6:7]
	s_and_saveexec_b64 s[6:7], s[4:5]
	s_cbranch_execnz .LBB29_683
	s_branch .LBB29_684
.LBB29_2733:
	s_movk_i32 s4, 0x80
	v_cmp_eq_u16_sdwa s[12:13], v6, s4 src0_sel:BYTE_0 src1_sel:DWORD
	s_mov_b64 s[4:5], -1
                                        ; implicit-def: $sgpr10
	s_and_saveexec_b64 s[8:9], s[12:13]
; %bb.2734:
	s_mov_b32 s10, 0x7f800001
	s_xor_b64 s[4:5], exec, -1
; %bb.2735:
	s_or_b64 exec, exec, s[8:9]
	s_and_b64 s[4:5], s[4:5], exec
	s_or_saveexec_b64 s[6:7], s[6:7]
	v_mov_b32_e32 v10, s10
	s_xor_b64 exec, exec, s[6:7]
	s_cbranch_execz .LBB29_686
.LBB29_2736:
	v_mov_b32_e32 v10, 0
	v_cmp_ne_u16_sdwa s[8:9], v6, v10 src0_sel:BYTE_0 src1_sel:DWORD
	s_andn2_b64 s[4:5], s[4:5], exec
	s_and_b64 s[8:9], s[8:9], exec
	s_or_b64 s[4:5], s[4:5], s[8:9]
	s_or_b64 exec, exec, s[6:7]
	s_and_saveexec_b64 s[6:7], s[4:5]
	s_cbranch_execnz .LBB29_687
	s_branch .LBB29_688
.LBB29_2737:
	s_movk_i32 s4, 0x80
	v_cmp_eq_u16_e32 vcc, s4, v6
	s_mov_b64 s[4:5], -1
                                        ; implicit-def: $sgpr10
	s_and_saveexec_b64 s[8:9], vcc
; %bb.2738:
	s_mov_b32 s10, 0x7f800001
	s_xor_b64 s[4:5], exec, -1
; %bb.2739:
	s_or_b64 exec, exec, s[8:9]
	s_and_b64 s[4:5], s[4:5], exec
                                        ; implicit-def: $vgpr6
	s_or_saveexec_b64 s[6:7], s[6:7]
	v_mov_b32_e32 v2, s10
	s_xor_b64 exec, exec, s[6:7]
	s_cbranch_execz .LBB29_690
.LBB29_2740:
	v_cmp_ne_u16_e32 vcc, 0, v6
	s_andn2_b64 s[4:5], s[4:5], exec
	s_and_b64 s[8:9], vcc, exec
	v_mov_b32_e32 v2, 0
	s_or_b64 s[4:5], s[4:5], s[8:9]
	s_or_b64 exec, exec, s[6:7]
	s_and_saveexec_b64 s[6:7], s[4:5]
	s_cbranch_execnz .LBB29_691
	s_branch .LBB29_692
.LBB29_2741:
	s_movk_i32 s4, 0x80
	v_cmp_eq_u16_e32 vcc, s4, v6
	s_mov_b64 s[4:5], -1
                                        ; implicit-def: $sgpr10
	s_and_saveexec_b64 s[8:9], vcc
; %bb.2742:
	s_mov_b32 s10, 0x7f800001
	s_xor_b64 s[4:5], exec, -1
; %bb.2743:
	s_or_b64 exec, exec, s[8:9]
	s_and_b64 s[4:5], s[4:5], exec
                                        ; implicit-def: $vgpr6
	s_or_saveexec_b64 s[6:7], s[6:7]
	v_mov_b32_e32 v10, s10
	s_xor_b64 exec, exec, s[6:7]
	s_cbranch_execz .LBB29_694
.LBB29_2744:
	v_cmp_ne_u16_e32 vcc, 0, v6
	s_andn2_b64 s[4:5], s[4:5], exec
	s_and_b64 s[8:9], vcc, exec
	v_mov_b32_e32 v10, 0
	s_or_b64 s[4:5], s[4:5], s[8:9]
	s_or_b64 exec, exec, s[6:7]
	s_and_saveexec_b64 s[6:7], s[4:5]
	s_cbranch_execnz .LBB29_695
	s_branch .LBB29_696
.LBB29_2745:
	s_movk_i32 s4, 0x80
	v_cmp_eq_u16_sdwa s[12:13], v7, s4 src0_sel:BYTE_3 src1_sel:DWORD
	s_mov_b64 s[4:5], -1
                                        ; implicit-def: $sgpr10
	s_and_saveexec_b64 s[8:9], s[12:13]
; %bb.2746:
	s_mov_b32 s10, 0x7f800001
	s_xor_b64 s[4:5], exec, -1
; %bb.2747:
	s_or_b64 exec, exec, s[8:9]
	s_and_b64 s[4:5], s[4:5], exec
	s_or_saveexec_b64 s[6:7], s[6:7]
	v_mov_b32_e32 v2, s10
	s_xor_b64 exec, exec, s[6:7]
	s_cbranch_execz .LBB29_698
.LBB29_2748:
	v_mov_b32_e32 v2, 0
	v_cmp_ne_u16_sdwa s[8:9], v7, v2 src0_sel:BYTE_3 src1_sel:DWORD
	s_andn2_b64 s[4:5], s[4:5], exec
	s_and_b64 s[8:9], s[8:9], exec
	s_or_b64 s[4:5], s[4:5], s[8:9]
	s_or_b64 exec, exec, s[6:7]
	s_and_saveexec_b64 s[6:7], s[4:5]
	s_cbranch_execnz .LBB29_699
	s_branch .LBB29_700
.LBB29_2749:
	s_movk_i32 s4, 0x80
	v_cmp_eq_u16_sdwa s[12:13], v3, s4 src0_sel:BYTE_3 src1_sel:DWORD
	s_mov_b64 s[4:5], -1
                                        ; implicit-def: $sgpr10
	s_and_saveexec_b64 s[8:9], s[12:13]
; %bb.2750:
	s_mov_b32 s10, 0x7f800001
	s_xor_b64 s[4:5], exec, -1
; %bb.2751:
	s_or_b64 exec, exec, s[8:9]
	s_and_b64 s[4:5], s[4:5], exec
	s_or_saveexec_b64 s[6:7], s[6:7]
	v_mov_b32_e32 v6, s10
	s_xor_b64 exec, exec, s[6:7]
	s_cbranch_execz .LBB29_702
.LBB29_2752:
	v_mov_b32_e32 v6, 0
	v_cmp_ne_u16_sdwa s[8:9], v3, v6 src0_sel:BYTE_3 src1_sel:DWORD
	s_andn2_b64 s[4:5], s[4:5], exec
	s_and_b64 s[8:9], s[8:9], exec
	s_or_b64 s[4:5], s[4:5], s[8:9]
	s_or_b64 exec, exec, s[6:7]
	s_and_saveexec_b64 s[6:7], s[4:5]
	s_cbranch_execnz .LBB29_703
	s_branch .LBB29_704
.LBB29_2753:
	s_movk_i32 s4, 0x80
	v_cmp_eq_u16_sdwa s[12:13], v8, s4 src0_sel:BYTE_0 src1_sel:DWORD
	s_mov_b64 s[4:5], -1
                                        ; implicit-def: $sgpr10
	s_and_saveexec_b64 s[8:9], s[12:13]
; %bb.2754:
	s_mov_b32 s10, 0x7f800001
	s_xor_b64 s[4:5], exec, -1
; %bb.2755:
	s_or_b64 exec, exec, s[8:9]
	s_and_b64 s[4:5], s[4:5], exec
	s_or_saveexec_b64 s[6:7], s[6:7]
	v_mov_b32_e32 v2, s10
	s_xor_b64 exec, exec, s[6:7]
	s_cbranch_execz .LBB29_706
.LBB29_2756:
	v_mov_b32_e32 v2, 0
	v_cmp_ne_u16_sdwa s[8:9], v8, v2 src0_sel:BYTE_0 src1_sel:DWORD
	s_andn2_b64 s[4:5], s[4:5], exec
	s_and_b64 s[8:9], s[8:9], exec
	s_or_b64 s[4:5], s[4:5], s[8:9]
	s_or_b64 exec, exec, s[6:7]
	s_and_saveexec_b64 s[6:7], s[4:5]
	s_cbranch_execnz .LBB29_707
	s_branch .LBB29_708
.LBB29_2757:
	s_movk_i32 s4, 0x80
	v_cmp_eq_u16_sdwa s[12:13], v4, s4 src0_sel:BYTE_0 src1_sel:DWORD
	s_mov_b64 s[4:5], -1
                                        ; implicit-def: $sgpr10
	s_and_saveexec_b64 s[8:9], s[12:13]
; %bb.2758:
	s_mov_b32 s10, 0x7f800001
	s_xor_b64 s[4:5], exec, -1
; %bb.2759:
	s_or_b64 exec, exec, s[8:9]
	s_and_b64 s[4:5], s[4:5], exec
	s_or_saveexec_b64 s[6:7], s[6:7]
	v_mov_b32_e32 v3, s10
	s_xor_b64 exec, exec, s[6:7]
	s_cbranch_execz .LBB29_710
.LBB29_2760:
	v_mov_b32_e32 v3, 0
	v_cmp_ne_u16_sdwa s[8:9], v4, v3 src0_sel:BYTE_0 src1_sel:DWORD
	s_andn2_b64 s[4:5], s[4:5], exec
	s_and_b64 s[8:9], s[8:9], exec
	s_or_b64 s[4:5], s[4:5], s[8:9]
	s_or_b64 exec, exec, s[6:7]
	s_and_saveexec_b64 s[6:7], s[4:5]
	s_cbranch_execnz .LBB29_711
	s_branch .LBB29_712
.LBB29_2761:
	s_movk_i32 s4, 0x80
	v_cmp_eq_u16_sdwa s[12:13], v3, s4 src0_sel:BYTE_0 src1_sel:DWORD
	s_mov_b64 s[4:5], -1
                                        ; implicit-def: $sgpr10
	s_and_saveexec_b64 s[8:9], s[12:13]
; %bb.2762:
	s_mov_b32 s10, 0x7f800001
	s_xor_b64 s[4:5], exec, -1
; %bb.2763:
	s_or_b64 exec, exec, s[8:9]
	s_and_b64 s[4:5], s[4:5], exec
	s_or_saveexec_b64 s[6:7], s[6:7]
	v_mov_b32_e32 v2, s10
	s_xor_b64 exec, exec, s[6:7]
	s_cbranch_execz .LBB29_714
.LBB29_2764:
	v_mov_b32_e32 v2, 0
	v_cmp_ne_u16_sdwa s[8:9], v3, v2 src0_sel:BYTE_0 src1_sel:DWORD
	s_andn2_b64 s[4:5], s[4:5], exec
	s_and_b64 s[8:9], s[8:9], exec
	s_or_b64 s[4:5], s[4:5], s[8:9]
	s_or_b64 exec, exec, s[6:7]
	s_and_saveexec_b64 s[6:7], s[4:5]
	s_cbranch_execnz .LBB29_715
	s_branch .LBB29_716
.LBB29_2765:
	s_movk_i32 s4, 0x80
	v_cmp_eq_u16_sdwa s[12:13], v3, s4 src0_sel:BYTE_0 src1_sel:DWORD
	s_mov_b64 s[4:5], -1
                                        ; implicit-def: $sgpr10
	s_and_saveexec_b64 s[8:9], s[12:13]
; %bb.2766:
	s_mov_b32 s10, 0x7f800001
	s_xor_b64 s[4:5], exec, -1
; %bb.2767:
	s_or_b64 exec, exec, s[8:9]
	s_and_b64 s[4:5], s[4:5], exec
	s_or_saveexec_b64 s[6:7], s[6:7]
	v_mov_b32_e32 v6, s10
	s_xor_b64 exec, exec, s[6:7]
	s_cbranch_execz .LBB29_718
.LBB29_2768:
	v_mov_b32_e32 v6, 0
	v_cmp_ne_u16_sdwa s[8:9], v3, v6 src0_sel:BYTE_0 src1_sel:DWORD
	s_andn2_b64 s[4:5], s[4:5], exec
	s_and_b64 s[8:9], s[8:9], exec
	s_or_b64 s[4:5], s[4:5], s[8:9]
	s_or_b64 exec, exec, s[6:7]
	s_and_saveexec_b64 s[6:7], s[4:5]
	s_cbranch_execnz .LBB29_719
	s_branch .LBB29_720
.LBB29_2769:
	s_movk_i32 s4, 0x80
	v_cmp_eq_u16_e32 vcc, s4, v3
	s_mov_b64 s[4:5], -1
                                        ; implicit-def: $sgpr10
	s_and_saveexec_b64 s[8:9], vcc
; %bb.2770:
	s_mov_b32 s10, 0x7f800001
	s_xor_b64 s[4:5], exec, -1
; %bb.2771:
	s_or_b64 exec, exec, s[8:9]
	s_and_b64 s[4:5], s[4:5], exec
                                        ; implicit-def: $vgpr3
	s_or_saveexec_b64 s[6:7], s[6:7]
	v_mov_b32_e32 v2, s10
	s_xor_b64 exec, exec, s[6:7]
	s_cbranch_execz .LBB29_722
.LBB29_2772:
	v_cmp_ne_u16_e32 vcc, 0, v3
	s_andn2_b64 s[4:5], s[4:5], exec
	s_and_b64 s[8:9], vcc, exec
	v_mov_b32_e32 v2, 0
	s_or_b64 s[4:5], s[4:5], s[8:9]
	s_or_b64 exec, exec, s[6:7]
	s_and_saveexec_b64 s[6:7], s[4:5]
	s_cbranch_execnz .LBB29_723
	s_branch .LBB29_724
.LBB29_2773:
	s_movk_i32 s4, 0x80
	v_cmp_eq_u16_e32 vcc, s4, v3
	s_mov_b64 s[4:5], -1
                                        ; implicit-def: $sgpr10
	s_and_saveexec_b64 s[8:9], vcc
; %bb.2774:
	s_mov_b32 s10, 0x7f800001
	s_xor_b64 s[4:5], exec, -1
; %bb.2775:
	s_or_b64 exec, exec, s[8:9]
	s_and_b64 s[4:5], s[4:5], exec
                                        ; implicit-def: $vgpr3
	s_or_saveexec_b64 s[6:7], s[6:7]
	v_mov_b32_e32 v6, s10
	s_xor_b64 exec, exec, s[6:7]
	s_cbranch_execz .LBB29_726
.LBB29_2776:
	v_cmp_ne_u16_e32 vcc, 0, v3
	s_andn2_b64 s[4:5], s[4:5], exec
	s_and_b64 s[8:9], vcc, exec
	v_mov_b32_e32 v6, 0
	s_or_b64 s[4:5], s[4:5], s[8:9]
	s_or_b64 exec, exec, s[6:7]
	s_and_saveexec_b64 s[6:7], s[4:5]
	s_cbranch_execnz .LBB29_727
	s_branch .LBB29_728
.LBB29_2777:
	s_movk_i32 s4, 0x80
	v_cmp_eq_u16_sdwa s[12:13], v8, s4 src0_sel:BYTE_3 src1_sel:DWORD
	s_mov_b64 s[4:5], -1
                                        ; implicit-def: $sgpr10
	s_and_saveexec_b64 s[8:9], s[12:13]
; %bb.2778:
	s_mov_b32 s10, 0x7f800001
	s_xor_b64 s[4:5], exec, -1
; %bb.2779:
	s_or_b64 exec, exec, s[8:9]
	s_and_b64 s[4:5], s[4:5], exec
	s_or_saveexec_b64 s[6:7], s[6:7]
	v_mov_b32_e32 v2, s10
	s_xor_b64 exec, exec, s[6:7]
	s_cbranch_execz .LBB29_730
.LBB29_2780:
	v_mov_b32_e32 v2, 0
	v_cmp_ne_u16_sdwa s[8:9], v8, v2 src0_sel:BYTE_3 src1_sel:DWORD
	s_andn2_b64 s[4:5], s[4:5], exec
	s_and_b64 s[8:9], s[8:9], exec
	s_or_b64 s[4:5], s[4:5], s[8:9]
	s_or_b64 exec, exec, s[6:7]
	s_and_saveexec_b64 s[6:7], s[4:5]
	s_cbranch_execnz .LBB29_731
	s_branch .LBB29_732
.LBB29_2781:
	s_movk_i32 s4, 0x80
	v_cmp_eq_u16_sdwa s[12:13], v4, s4 src0_sel:BYTE_3 src1_sel:DWORD
	s_mov_b64 s[4:5], -1
                                        ; implicit-def: $sgpr10
	s_and_saveexec_b64 s[8:9], s[12:13]
; %bb.2782:
	s_mov_b32 s10, 0x7f800001
	s_xor_b64 s[4:5], exec, -1
; %bb.2783:
	s_or_b64 exec, exec, s[8:9]
	s_and_b64 s[4:5], s[4:5], exec
	s_or_saveexec_b64 s[6:7], s[6:7]
	v_mov_b32_e32 v3, s10
	s_xor_b64 exec, exec, s[6:7]
	s_cbranch_execz .LBB29_734
.LBB29_2784:
	v_mov_b32_e32 v3, 0
	v_cmp_ne_u16_sdwa s[8:9], v4, v3 src0_sel:BYTE_3 src1_sel:DWORD
	s_andn2_b64 s[4:5], s[4:5], exec
	s_and_b64 s[8:9], s[8:9], exec
	s_or_b64 s[4:5], s[4:5], s[8:9]
	s_or_b64 exec, exec, s[6:7]
	s_and_saveexec_b64 s[6:7], s[4:5]
	s_cbranch_execnz .LBB29_735
	s_branch .LBB29_736
.LBB29_2785:
	s_movk_i32 s4, 0x80
	v_cmp_eq_u16_sdwa s[12:13], v9, s4 src0_sel:BYTE_0 src1_sel:DWORD
	s_mov_b64 s[4:5], -1
                                        ; implicit-def: $sgpr10
	s_and_saveexec_b64 s[8:9], s[12:13]
; %bb.2786:
	s_mov_b32 s10, 0x7f800001
	s_xor_b64 s[4:5], exec, -1
; %bb.2787:
	s_or_b64 exec, exec, s[8:9]
	s_and_b64 s[4:5], s[4:5], exec
	s_or_saveexec_b64 s[6:7], s[6:7]
	v_mov_b32_e32 v2, s10
	s_xor_b64 exec, exec, s[6:7]
	s_cbranch_execz .LBB29_738
.LBB29_2788:
	v_mov_b32_e32 v2, 0
	v_cmp_ne_u16_sdwa s[8:9], v9, v2 src0_sel:BYTE_0 src1_sel:DWORD
	s_andn2_b64 s[4:5], s[4:5], exec
	s_and_b64 s[8:9], s[8:9], exec
	s_or_b64 s[4:5], s[4:5], s[8:9]
	s_or_b64 exec, exec, s[6:7]
	s_and_saveexec_b64 s[6:7], s[4:5]
	s_cbranch_execnz .LBB29_739
	s_branch .LBB29_740
.LBB29_2789:
	s_movk_i32 s4, 0x80
	v_cmp_eq_u16_sdwa s[12:13], v5, s4 src0_sel:BYTE_0 src1_sel:DWORD
	s_mov_b64 s[4:5], -1
                                        ; implicit-def: $sgpr10
	s_and_saveexec_b64 s[8:9], s[12:13]
; %bb.2790:
	s_mov_b32 s10, 0x7f800001
	s_xor_b64 s[4:5], exec, -1
; %bb.2791:
	s_or_b64 exec, exec, s[8:9]
	s_and_b64 s[4:5], s[4:5], exec
	s_or_saveexec_b64 s[6:7], s[6:7]
	v_mov_b32_e32 v3, s10
	s_xor_b64 exec, exec, s[6:7]
	s_cbranch_execz .LBB29_742
.LBB29_2792:
	v_mov_b32_e32 v3, 0
	v_cmp_ne_u16_sdwa s[8:9], v5, v3 src0_sel:BYTE_0 src1_sel:DWORD
	s_andn2_b64 s[4:5], s[4:5], exec
	s_and_b64 s[8:9], s[8:9], exec
	s_or_b64 s[4:5], s[4:5], s[8:9]
	s_or_b64 exec, exec, s[6:7]
	s_and_saveexec_b64 s[6:7], s[4:5]
	s_cbranch_execnz .LBB29_743
	s_branch .LBB29_744
.LBB29_2793:
	s_movk_i32 s4, 0x80
	v_cmp_eq_u16_sdwa s[12:13], v3, s4 src0_sel:BYTE_0 src1_sel:DWORD
	s_mov_b64 s[4:5], -1
                                        ; implicit-def: $sgpr10
	s_and_saveexec_b64 s[8:9], s[12:13]
; %bb.2794:
	s_mov_b32 s10, 0x7f800001
	s_xor_b64 s[4:5], exec, -1
; %bb.2795:
	s_or_b64 exec, exec, s[8:9]
	s_and_b64 s[4:5], s[4:5], exec
	s_or_saveexec_b64 s[6:7], s[6:7]
	v_mov_b32_e32 v2, s10
	s_xor_b64 exec, exec, s[6:7]
	s_cbranch_execz .LBB29_746
.LBB29_2796:
	v_mov_b32_e32 v2, 0
	v_cmp_ne_u16_sdwa s[8:9], v3, v2 src0_sel:BYTE_0 src1_sel:DWORD
	s_andn2_b64 s[4:5], s[4:5], exec
	s_and_b64 s[8:9], s[8:9], exec
	s_or_b64 s[4:5], s[4:5], s[8:9]
	s_or_b64 exec, exec, s[6:7]
	s_and_saveexec_b64 s[6:7], s[4:5]
	s_cbranch_execnz .LBB29_747
	s_branch .LBB29_748
.LBB29_2797:
	s_movk_i32 s4, 0x80
	v_cmp_eq_u16_sdwa s[12:13], v3, s4 src0_sel:BYTE_0 src1_sel:DWORD
	s_mov_b64 s[4:5], -1
                                        ; implicit-def: $sgpr10
	s_and_saveexec_b64 s[8:9], s[12:13]
; %bb.2798:
	s_mov_b32 s10, 0x7f800001
	s_xor_b64 s[4:5], exec, -1
; %bb.2799:
	s_or_b64 exec, exec, s[8:9]
	s_and_b64 s[4:5], s[4:5], exec
	s_or_saveexec_b64 s[6:7], s[6:7]
	v_mov_b32_e32 v4, s10
	s_xor_b64 exec, exec, s[6:7]
	s_cbranch_execz .LBB29_750
.LBB29_2800:
	v_mov_b32_e32 v4, 0
	v_cmp_ne_u16_sdwa s[8:9], v3, v4 src0_sel:BYTE_0 src1_sel:DWORD
	s_andn2_b64 s[4:5], s[4:5], exec
	s_and_b64 s[8:9], s[8:9], exec
	s_or_b64 s[4:5], s[4:5], s[8:9]
	s_or_b64 exec, exec, s[6:7]
	s_and_saveexec_b64 s[6:7], s[4:5]
	s_cbranch_execnz .LBB29_751
	s_branch .LBB29_752
.LBB29_2801:
	s_movk_i32 s4, 0x80
	v_cmp_eq_u16_e32 vcc, s4, v3
	s_mov_b64 s[4:5], -1
                                        ; implicit-def: $sgpr10
	s_and_saveexec_b64 s[8:9], vcc
; %bb.2802:
	s_mov_b32 s10, 0x7f800001
	s_xor_b64 s[4:5], exec, -1
; %bb.2803:
	s_or_b64 exec, exec, s[8:9]
	s_and_b64 s[4:5], s[4:5], exec
                                        ; implicit-def: $vgpr3
	s_or_saveexec_b64 s[6:7], s[6:7]
	v_mov_b32_e32 v2, s10
	s_xor_b64 exec, exec, s[6:7]
	s_cbranch_execz .LBB29_754
.LBB29_2804:
	v_cmp_ne_u16_e32 vcc, 0, v3
	s_andn2_b64 s[4:5], s[4:5], exec
	s_and_b64 s[8:9], vcc, exec
	v_mov_b32_e32 v2, 0
	s_or_b64 s[4:5], s[4:5], s[8:9]
	s_or_b64 exec, exec, s[6:7]
	s_and_saveexec_b64 s[6:7], s[4:5]
	s_cbranch_execnz .LBB29_755
	s_branch .LBB29_756
.LBB29_2805:
	s_movk_i32 s4, 0x80
	v_cmp_eq_u16_e32 vcc, s4, v3
	s_mov_b64 s[4:5], -1
                                        ; implicit-def: $sgpr10
	s_and_saveexec_b64 s[8:9], vcc
; %bb.2806:
	s_mov_b32 s10, 0x7f800001
	s_xor_b64 s[4:5], exec, -1
; %bb.2807:
	s_or_b64 exec, exec, s[8:9]
	s_and_b64 s[4:5], s[4:5], exec
                                        ; implicit-def: $vgpr3
	s_or_saveexec_b64 s[6:7], s[6:7]
	v_mov_b32_e32 v4, s10
	s_xor_b64 exec, exec, s[6:7]
	s_cbranch_execz .LBB29_758
.LBB29_2808:
	v_cmp_ne_u16_e32 vcc, 0, v3
	s_andn2_b64 s[4:5], s[4:5], exec
	s_and_b64 s[8:9], vcc, exec
	v_mov_b32_e32 v4, 0
	s_or_b64 s[4:5], s[4:5], s[8:9]
	s_or_b64 exec, exec, s[6:7]
	s_and_saveexec_b64 s[6:7], s[4:5]
	s_cbranch_execnz .LBB29_759
	s_branch .LBB29_760
.LBB29_2809:
	s_movk_i32 s4, 0x80
	v_cmp_eq_u16_sdwa s[12:13], v9, s4 src0_sel:BYTE_3 src1_sel:DWORD
	s_mov_b64 s[4:5], -1
                                        ; implicit-def: $sgpr10
	s_and_saveexec_b64 s[8:9], s[12:13]
; %bb.2810:
	s_mov_b32 s10, 0x7f800001
	s_xor_b64 s[4:5], exec, -1
; %bb.2811:
	s_or_b64 exec, exec, s[8:9]
	s_and_b64 s[4:5], s[4:5], exec
	s_or_saveexec_b64 s[6:7], s[6:7]
	v_mov_b32_e32 v2, s10
	s_xor_b64 exec, exec, s[6:7]
	s_cbranch_execz .LBB29_762
.LBB29_2812:
	v_mov_b32_e32 v2, 0
	v_cmp_ne_u16_sdwa s[8:9], v9, v2 src0_sel:BYTE_3 src1_sel:DWORD
	s_andn2_b64 s[4:5], s[4:5], exec
	s_and_b64 s[8:9], s[8:9], exec
	s_or_b64 s[4:5], s[4:5], s[8:9]
	s_or_b64 exec, exec, s[6:7]
	s_and_saveexec_b64 s[6:7], s[4:5]
	s_cbranch_execnz .LBB29_763
	s_branch .LBB29_764
.LBB29_2813:
	s_movk_i32 s4, 0x80
	v_cmp_eq_u16_sdwa s[12:13], v5, s4 src0_sel:BYTE_3 src1_sel:DWORD
	s_mov_b64 s[4:5], -1
                                        ; implicit-def: $sgpr10
	s_and_saveexec_b64 s[8:9], s[12:13]
; %bb.2814:
	s_mov_b32 s10, 0x7f800001
	s_xor_b64 s[4:5], exec, -1
; %bb.2815:
	s_or_b64 exec, exec, s[8:9]
	s_and_b64 s[4:5], s[4:5], exec
	s_or_saveexec_b64 s[6:7], s[6:7]
	v_mov_b32_e32 v3, s10
	s_xor_b64 exec, exec, s[6:7]
	s_cbranch_execz .LBB29_766
.LBB29_2816:
	v_mov_b32_e32 v3, 0
	v_cmp_ne_u16_sdwa s[8:9], v5, v3 src0_sel:BYTE_3 src1_sel:DWORD
	s_andn2_b64 s[4:5], s[4:5], exec
	s_and_b64 s[8:9], s[8:9], exec
	s_or_b64 s[4:5], s[4:5], s[8:9]
	s_or_b64 exec, exec, s[6:7]
	s_and_saveexec_b64 s[6:7], s[4:5]
	s_cbranch_execnz .LBB29_767
	s_branch .LBB29_768
.LBB29_2817:
	s_movk_i32 s4, 0x80
	v_cmp_eq_u16_sdwa s[12:13], v14, s4 src0_sel:BYTE_0 src1_sel:DWORD
	s_mov_b64 s[4:5], -1
                                        ; implicit-def: $sgpr10
	s_and_saveexec_b64 s[8:9], s[12:13]
; %bb.2818:
	s_mov_b32 s10, 0x7f800001
	s_xor_b64 s[4:5], exec, -1
; %bb.2819:
	s_or_b64 exec, exec, s[8:9]
	s_and_b64 s[4:5], s[4:5], exec
	s_or_saveexec_b64 s[6:7], s[6:7]
	v_mov_b32_e32 v20, s10
	s_xor_b64 exec, exec, s[6:7]
	s_cbranch_execz .LBB29_770
.LBB29_2820:
	v_mov_b32_e32 v20, 0
	v_cmp_ne_u16_sdwa s[8:9], v14, v20 src0_sel:BYTE_0 src1_sel:DWORD
	s_andn2_b64 s[4:5], s[4:5], exec
	s_and_b64 s[8:9], s[8:9], exec
	s_or_b64 s[4:5], s[4:5], s[8:9]
	s_or_b64 exec, exec, s[6:7]
	s_and_saveexec_b64 s[6:7], s[4:5]
	s_cbranch_execnz .LBB29_771
	s_branch .LBB29_772
.LBB29_2821:
	s_movk_i32 s4, 0x80
	v_cmp_eq_u16_sdwa s[12:13], v10, s4 src0_sel:BYTE_0 src1_sel:DWORD
	s_mov_b64 s[4:5], -1
                                        ; implicit-def: $sgpr10
	s_and_saveexec_b64 s[8:9], s[12:13]
; %bb.2822:
	s_mov_b32 s10, 0x7f800001
	s_xor_b64 s[4:5], exec, -1
; %bb.2823:
	s_or_b64 exec, exec, s[8:9]
	s_and_b64 s[4:5], s[4:5], exec
	s_or_saveexec_b64 s[6:7], s[6:7]
	v_mov_b32_e32 v21, s10
	s_xor_b64 exec, exec, s[6:7]
	s_cbranch_execz .LBB29_774
.LBB29_2824:
	v_mov_b32_e32 v21, 0
	v_cmp_ne_u16_sdwa s[8:9], v10, v21 src0_sel:BYTE_0 src1_sel:DWORD
	s_andn2_b64 s[4:5], s[4:5], exec
	s_and_b64 s[8:9], s[8:9], exec
	s_or_b64 s[4:5], s[4:5], s[8:9]
	s_or_b64 exec, exec, s[6:7]
	s_and_saveexec_b64 s[6:7], s[4:5]
	s_cbranch_execnz .LBB29_775
	s_branch .LBB29_776
.LBB29_2825:
	s_movk_i32 s4, 0x80
	v_cmp_eq_u16_sdwa s[12:13], v21, s4 src0_sel:BYTE_0 src1_sel:DWORD
	s_mov_b64 s[4:5], -1
                                        ; implicit-def: $sgpr10
	s_and_saveexec_b64 s[8:9], s[12:13]
; %bb.2826:
	s_mov_b32 s10, 0x7f800001
	s_xor_b64 s[4:5], exec, -1
; %bb.2827:
	s_or_b64 exec, exec, s[8:9]
	s_and_b64 s[4:5], s[4:5], exec
	s_or_saveexec_b64 s[6:7], s[6:7]
	v_mov_b32_e32 v20, s10
	s_xor_b64 exec, exec, s[6:7]
	s_cbranch_execz .LBB29_778
.LBB29_2828:
	v_mov_b32_e32 v20, 0
	v_cmp_ne_u16_sdwa s[8:9], v21, v20 src0_sel:BYTE_0 src1_sel:DWORD
	s_andn2_b64 s[4:5], s[4:5], exec
	s_and_b64 s[8:9], s[8:9], exec
	s_or_b64 s[4:5], s[4:5], s[8:9]
	s_or_b64 exec, exec, s[6:7]
	s_and_saveexec_b64 s[6:7], s[4:5]
	s_cbranch_execnz .LBB29_779
	s_branch .LBB29_780
.LBB29_2829:
	s_movk_i32 s4, 0x80
	v_cmp_eq_u16_sdwa s[12:13], v21, s4 src0_sel:BYTE_0 src1_sel:DWORD
	s_mov_b64 s[4:5], -1
                                        ; implicit-def: $sgpr10
	s_and_saveexec_b64 s[8:9], s[12:13]
; %bb.2830:
	s_mov_b32 s10, 0x7f800001
	s_xor_b64 s[4:5], exec, -1
; %bb.2831:
	s_or_b64 exec, exec, s[8:9]
	s_and_b64 s[4:5], s[4:5], exec
	s_or_saveexec_b64 s[6:7], s[6:7]
	v_mov_b32_e32 v22, s10
	s_xor_b64 exec, exec, s[6:7]
	s_cbranch_execz .LBB29_782
.LBB29_2832:
	v_mov_b32_e32 v22, 0
	v_cmp_ne_u16_sdwa s[8:9], v21, v22 src0_sel:BYTE_0 src1_sel:DWORD
	s_andn2_b64 s[4:5], s[4:5], exec
	s_and_b64 s[8:9], s[8:9], exec
	s_or_b64 s[4:5], s[4:5], s[8:9]
	s_or_b64 exec, exec, s[6:7]
	s_and_saveexec_b64 s[6:7], s[4:5]
	s_cbranch_execnz .LBB29_783
	s_branch .LBB29_784
.LBB29_2833:
	s_movk_i32 s4, 0x80
	v_cmp_eq_u16_e32 vcc, s4, v21
	s_mov_b64 s[4:5], -1
                                        ; implicit-def: $sgpr10
	s_and_saveexec_b64 s[8:9], vcc
; %bb.2834:
	s_mov_b32 s10, 0x7f800001
	s_xor_b64 s[4:5], exec, -1
; %bb.2835:
	s_or_b64 exec, exec, s[8:9]
	s_and_b64 s[4:5], s[4:5], exec
                                        ; implicit-def: $vgpr21
	s_or_saveexec_b64 s[6:7], s[6:7]
	v_mov_b32_e32 v20, s10
	s_xor_b64 exec, exec, s[6:7]
	s_cbranch_execz .LBB29_786
.LBB29_2836:
	v_cmp_ne_u16_e32 vcc, 0, v21
	s_andn2_b64 s[4:5], s[4:5], exec
	s_and_b64 s[8:9], vcc, exec
	v_mov_b32_e32 v20, 0
	s_or_b64 s[4:5], s[4:5], s[8:9]
	s_or_b64 exec, exec, s[6:7]
	s_and_saveexec_b64 s[6:7], s[4:5]
	s_cbranch_execnz .LBB29_787
	s_branch .LBB29_788
.LBB29_2837:
	s_movk_i32 s4, 0x80
	v_cmp_eq_u16_e32 vcc, s4, v21
	s_mov_b64 s[4:5], -1
                                        ; implicit-def: $sgpr10
	s_and_saveexec_b64 s[8:9], vcc
; %bb.2838:
	s_mov_b32 s10, 0x7f800001
	s_xor_b64 s[4:5], exec, -1
; %bb.2839:
	s_or_b64 exec, exec, s[8:9]
	s_and_b64 s[4:5], s[4:5], exec
                                        ; implicit-def: $vgpr21
	s_or_saveexec_b64 s[6:7], s[6:7]
	v_mov_b32_e32 v22, s10
	s_xor_b64 exec, exec, s[6:7]
	s_cbranch_execz .LBB29_790
.LBB29_2840:
	v_cmp_ne_u16_e32 vcc, 0, v21
	s_andn2_b64 s[4:5], s[4:5], exec
	s_and_b64 s[8:9], vcc, exec
	v_mov_b32_e32 v22, 0
	s_or_b64 s[4:5], s[4:5], s[8:9]
	s_or_b64 exec, exec, s[6:7]
	s_and_saveexec_b64 s[6:7], s[4:5]
	s_cbranch_execnz .LBB29_791
	s_branch .LBB29_792
.LBB29_2841:
	s_movk_i32 s4, 0x80
	v_cmp_eq_u16_sdwa s[12:13], v14, s4 src0_sel:BYTE_3 src1_sel:DWORD
	s_mov_b64 s[4:5], -1
                                        ; implicit-def: $sgpr10
	s_and_saveexec_b64 s[8:9], s[12:13]
; %bb.2842:
	s_mov_b32 s10, 0x7f800001
	s_xor_b64 s[4:5], exec, -1
; %bb.2843:
	s_or_b64 exec, exec, s[8:9]
	s_and_b64 s[4:5], s[4:5], exec
	s_or_saveexec_b64 s[6:7], s[6:7]
	v_mov_b32_e32 v20, s10
	s_xor_b64 exec, exec, s[6:7]
	s_cbranch_execz .LBB29_794
.LBB29_2844:
	v_mov_b32_e32 v20, 0
	v_cmp_ne_u16_sdwa s[8:9], v14, v20 src0_sel:BYTE_3 src1_sel:DWORD
	s_andn2_b64 s[4:5], s[4:5], exec
	s_and_b64 s[8:9], s[8:9], exec
	s_or_b64 s[4:5], s[4:5], s[8:9]
	s_or_b64 exec, exec, s[6:7]
	s_and_saveexec_b64 s[6:7], s[4:5]
	s_cbranch_execnz .LBB29_795
	s_branch .LBB29_796
.LBB29_2845:
	s_movk_i32 s4, 0x80
	v_cmp_eq_u16_sdwa s[12:13], v10, s4 src0_sel:BYTE_3 src1_sel:DWORD
	s_mov_b64 s[4:5], -1
                                        ; implicit-def: $sgpr10
	s_and_saveexec_b64 s[8:9], s[12:13]
; %bb.2846:
	s_mov_b32 s10, 0x7f800001
	s_xor_b64 s[4:5], exec, -1
; %bb.2847:
	s_or_b64 exec, exec, s[8:9]
	s_and_b64 s[4:5], s[4:5], exec
	s_or_saveexec_b64 s[6:7], s[6:7]
	v_mov_b32_e32 v14, s10
	s_xor_b64 exec, exec, s[6:7]
	s_cbranch_execz .LBB29_798
.LBB29_2848:
	v_mov_b32_e32 v14, 0
	v_cmp_ne_u16_sdwa s[8:9], v10, v14 src0_sel:BYTE_3 src1_sel:DWORD
	s_andn2_b64 s[4:5], s[4:5], exec
	s_and_b64 s[8:9], s[8:9], exec
	s_or_b64 s[4:5], s[4:5], s[8:9]
	s_or_b64 exec, exec, s[6:7]
	s_and_saveexec_b64 s[6:7], s[4:5]
	s_cbranch_execnz .LBB29_799
	s_branch .LBB29_800
.LBB29_2849:
	s_movk_i32 s4, 0x80
	v_cmp_eq_u16_sdwa s[12:13], v15, s4 src0_sel:BYTE_0 src1_sel:DWORD
	s_mov_b64 s[4:5], -1
                                        ; implicit-def: $sgpr10
	s_and_saveexec_b64 s[8:9], s[12:13]
; %bb.2850:
	s_mov_b32 s10, 0x7f800001
	s_xor_b64 s[4:5], exec, -1
; %bb.2851:
	s_or_b64 exec, exec, s[8:9]
	s_and_b64 s[4:5], s[4:5], exec
	s_or_saveexec_b64 s[6:7], s[6:7]
	v_mov_b32_e32 v10, s10
	s_xor_b64 exec, exec, s[6:7]
	s_cbranch_execz .LBB29_802
.LBB29_2852:
	v_mov_b32_e32 v10, 0
	v_cmp_ne_u16_sdwa s[8:9], v15, v10 src0_sel:BYTE_0 src1_sel:DWORD
	s_andn2_b64 s[4:5], s[4:5], exec
	s_and_b64 s[8:9], s[8:9], exec
	s_or_b64 s[4:5], s[4:5], s[8:9]
	s_or_b64 exec, exec, s[6:7]
	s_and_saveexec_b64 s[6:7], s[4:5]
	s_cbranch_execnz .LBB29_803
	s_branch .LBB29_804
.LBB29_2853:
	s_movk_i32 s4, 0x80
	v_cmp_eq_u16_sdwa s[12:13], v11, s4 src0_sel:BYTE_0 src1_sel:DWORD
	s_mov_b64 s[4:5], -1
                                        ; implicit-def: $sgpr10
	s_and_saveexec_b64 s[8:9], s[12:13]
; %bb.2854:
	s_mov_b32 s10, 0x7f800001
	s_xor_b64 s[4:5], exec, -1
; %bb.2855:
	s_or_b64 exec, exec, s[8:9]
	s_and_b64 s[4:5], s[4:5], exec
	s_or_saveexec_b64 s[6:7], s[6:7]
	v_mov_b32_e32 v14, s10
	s_xor_b64 exec, exec, s[6:7]
	s_cbranch_execz .LBB29_806
.LBB29_2856:
	v_mov_b32_e32 v14, 0
	v_cmp_ne_u16_sdwa s[8:9], v11, v14 src0_sel:BYTE_0 src1_sel:DWORD
	s_andn2_b64 s[4:5], s[4:5], exec
	s_and_b64 s[8:9], s[8:9], exec
	s_or_b64 s[4:5], s[4:5], s[8:9]
	s_or_b64 exec, exec, s[6:7]
	s_and_saveexec_b64 s[6:7], s[4:5]
	s_cbranch_execnz .LBB29_807
	s_branch .LBB29_808
.LBB29_2857:
	s_movk_i32 s4, 0x80
	v_cmp_eq_u16_sdwa s[12:13], v14, s4 src0_sel:BYTE_0 src1_sel:DWORD
	s_mov_b64 s[4:5], -1
                                        ; implicit-def: $sgpr10
	s_and_saveexec_b64 s[8:9], s[12:13]
; %bb.2858:
	s_mov_b32 s10, 0x7f800001
	s_xor_b64 s[4:5], exec, -1
; %bb.2859:
	s_or_b64 exec, exec, s[8:9]
	s_and_b64 s[4:5], s[4:5], exec
	s_or_saveexec_b64 s[6:7], s[6:7]
	v_mov_b32_e32 v10, s10
	s_xor_b64 exec, exec, s[6:7]
	s_cbranch_execz .LBB29_810
.LBB29_2860:
	v_mov_b32_e32 v10, 0
	v_cmp_ne_u16_sdwa s[8:9], v14, v10 src0_sel:BYTE_0 src1_sel:DWORD
	s_andn2_b64 s[4:5], s[4:5], exec
	s_and_b64 s[8:9], s[8:9], exec
	s_or_b64 s[4:5], s[4:5], s[8:9]
	s_or_b64 exec, exec, s[6:7]
	s_and_saveexec_b64 s[6:7], s[4:5]
	s_cbranch_execnz .LBB29_811
	s_branch .LBB29_812
.LBB29_2861:
	s_movk_i32 s4, 0x80
	v_cmp_eq_u16_sdwa s[12:13], v14, s4 src0_sel:BYTE_0 src1_sel:DWORD
	s_mov_b64 s[4:5], -1
                                        ; implicit-def: $sgpr10
	s_and_saveexec_b64 s[8:9], s[12:13]
; %bb.2862:
	s_mov_b32 s10, 0x7f800001
	s_xor_b64 s[4:5], exec, -1
; %bb.2863:
	s_or_b64 exec, exec, s[8:9]
	s_and_b64 s[4:5], s[4:5], exec
	s_or_saveexec_b64 s[6:7], s[6:7]
	v_mov_b32_e32 v20, s10
	s_xor_b64 exec, exec, s[6:7]
	s_cbranch_execz .LBB29_814
.LBB29_2864:
	v_mov_b32_e32 v20, 0
	v_cmp_ne_u16_sdwa s[8:9], v14, v20 src0_sel:BYTE_0 src1_sel:DWORD
	s_andn2_b64 s[4:5], s[4:5], exec
	s_and_b64 s[8:9], s[8:9], exec
	s_or_b64 s[4:5], s[4:5], s[8:9]
	s_or_b64 exec, exec, s[6:7]
	s_and_saveexec_b64 s[6:7], s[4:5]
	s_cbranch_execnz .LBB29_815
	s_branch .LBB29_816
.LBB29_2865:
	s_movk_i32 s4, 0x80
	v_cmp_eq_u16_e32 vcc, s4, v14
	s_mov_b64 s[4:5], -1
                                        ; implicit-def: $sgpr10
	s_and_saveexec_b64 s[8:9], vcc
; %bb.2866:
	s_mov_b32 s10, 0x7f800001
	s_xor_b64 s[4:5], exec, -1
; %bb.2867:
	s_or_b64 exec, exec, s[8:9]
	s_and_b64 s[4:5], s[4:5], exec
                                        ; implicit-def: $vgpr14
	s_or_saveexec_b64 s[6:7], s[6:7]
	v_mov_b32_e32 v10, s10
	s_xor_b64 exec, exec, s[6:7]
	s_cbranch_execz .LBB29_818
.LBB29_2868:
	v_cmp_ne_u16_e32 vcc, 0, v14
	s_andn2_b64 s[4:5], s[4:5], exec
	s_and_b64 s[8:9], vcc, exec
	v_mov_b32_e32 v10, 0
	s_or_b64 s[4:5], s[4:5], s[8:9]
	s_or_b64 exec, exec, s[6:7]
	s_and_saveexec_b64 s[6:7], s[4:5]
	s_cbranch_execnz .LBB29_819
	s_branch .LBB29_820
.LBB29_2869:
	s_movk_i32 s4, 0x80
	v_cmp_eq_u16_e32 vcc, s4, v14
	s_mov_b64 s[4:5], -1
                                        ; implicit-def: $sgpr10
	s_and_saveexec_b64 s[8:9], vcc
; %bb.2870:
	s_mov_b32 s10, 0x7f800001
	s_xor_b64 s[4:5], exec, -1
; %bb.2871:
	s_or_b64 exec, exec, s[8:9]
	s_and_b64 s[4:5], s[4:5], exec
                                        ; implicit-def: $vgpr14
	s_or_saveexec_b64 s[6:7], s[6:7]
	v_mov_b32_e32 v20, s10
	s_xor_b64 exec, exec, s[6:7]
	s_cbranch_execz .LBB29_822
.LBB29_2872:
	v_cmp_ne_u16_e32 vcc, 0, v14
	s_andn2_b64 s[4:5], s[4:5], exec
	s_and_b64 s[8:9], vcc, exec
	v_mov_b32_e32 v20, 0
	s_or_b64 s[4:5], s[4:5], s[8:9]
	s_or_b64 exec, exec, s[6:7]
	s_and_saveexec_b64 s[6:7], s[4:5]
	s_cbranch_execnz .LBB29_823
	s_branch .LBB29_824
.LBB29_2873:
	s_movk_i32 s4, 0x80
	v_cmp_eq_u16_sdwa s[12:13], v15, s4 src0_sel:BYTE_3 src1_sel:DWORD
	s_mov_b64 s[4:5], -1
                                        ; implicit-def: $sgpr10
	s_and_saveexec_b64 s[8:9], s[12:13]
; %bb.2874:
	s_mov_b32 s10, 0x7f800001
	s_xor_b64 s[4:5], exec, -1
; %bb.2875:
	s_or_b64 exec, exec, s[8:9]
	s_and_b64 s[4:5], s[4:5], exec
	s_or_saveexec_b64 s[6:7], s[6:7]
	v_mov_b32_e32 v10, s10
	s_xor_b64 exec, exec, s[6:7]
	s_cbranch_execz .LBB29_826
.LBB29_2876:
	v_mov_b32_e32 v10, 0
	v_cmp_ne_u16_sdwa s[8:9], v15, v10 src0_sel:BYTE_3 src1_sel:DWORD
	s_andn2_b64 s[4:5], s[4:5], exec
	s_and_b64 s[8:9], s[8:9], exec
	s_or_b64 s[4:5], s[4:5], s[8:9]
	s_or_b64 exec, exec, s[6:7]
	s_and_saveexec_b64 s[6:7], s[4:5]
	s_cbranch_execnz .LBB29_827
	s_branch .LBB29_828
.LBB29_2877:
	s_movk_i32 s4, 0x80
	v_cmp_eq_u16_sdwa s[12:13], v11, s4 src0_sel:BYTE_3 src1_sel:DWORD
	s_mov_b64 s[4:5], -1
                                        ; implicit-def: $sgpr10
	s_and_saveexec_b64 s[8:9], s[12:13]
; %bb.2878:
	s_mov_b32 s10, 0x7f800001
	s_xor_b64 s[4:5], exec, -1
; %bb.2879:
	s_or_b64 exec, exec, s[8:9]
	s_and_b64 s[4:5], s[4:5], exec
	s_or_saveexec_b64 s[6:7], s[6:7]
	v_mov_b32_e32 v14, s10
	s_xor_b64 exec, exec, s[6:7]
	s_cbranch_execz .LBB29_830
.LBB29_2880:
	v_mov_b32_e32 v14, 0
	v_cmp_ne_u16_sdwa s[8:9], v11, v14 src0_sel:BYTE_3 src1_sel:DWORD
	s_andn2_b64 s[4:5], s[4:5], exec
	s_and_b64 s[8:9], s[8:9], exec
	s_or_b64 s[4:5], s[4:5], s[8:9]
	s_or_b64 exec, exec, s[6:7]
	s_and_saveexec_b64 s[6:7], s[4:5]
	s_cbranch_execnz .LBB29_831
	s_branch .LBB29_832
.LBB29_2881:
	s_movk_i32 s4, 0x80
	v_cmp_eq_u16_sdwa s[12:13], v16, s4 src0_sel:BYTE_0 src1_sel:DWORD
	s_mov_b64 s[4:5], -1
                                        ; implicit-def: $sgpr10
	s_and_saveexec_b64 s[8:9], s[12:13]
; %bb.2882:
	s_mov_b32 s10, 0x7f800001
	s_xor_b64 s[4:5], exec, -1
; %bb.2883:
	s_or_b64 exec, exec, s[8:9]
	s_and_b64 s[4:5], s[4:5], exec
	s_or_saveexec_b64 s[6:7], s[6:7]
	v_mov_b32_e32 v10, s10
	s_xor_b64 exec, exec, s[6:7]
	s_cbranch_execz .LBB29_834
.LBB29_2884:
	v_mov_b32_e32 v10, 0
	v_cmp_ne_u16_sdwa s[8:9], v16, v10 src0_sel:BYTE_0 src1_sel:DWORD
	s_andn2_b64 s[4:5], s[4:5], exec
	s_and_b64 s[8:9], s[8:9], exec
	s_or_b64 s[4:5], s[4:5], s[8:9]
	s_or_b64 exec, exec, s[6:7]
	s_and_saveexec_b64 s[6:7], s[4:5]
	s_cbranch_execnz .LBB29_835
	s_branch .LBB29_836
.LBB29_2885:
	s_movk_i32 s4, 0x80
	v_cmp_eq_u16_sdwa s[12:13], v12, s4 src0_sel:BYTE_0 src1_sel:DWORD
	s_mov_b64 s[4:5], -1
                                        ; implicit-def: $sgpr10
	s_and_saveexec_b64 s[8:9], s[12:13]
; %bb.2886:
	s_mov_b32 s10, 0x7f800001
	s_xor_b64 s[4:5], exec, -1
; %bb.2887:
	s_or_b64 exec, exec, s[8:9]
	s_and_b64 s[4:5], s[4:5], exec
	s_or_saveexec_b64 s[6:7], s[6:7]
	v_mov_b32_e32 v11, s10
	s_xor_b64 exec, exec, s[6:7]
	s_cbranch_execz .LBB29_838
.LBB29_2888:
	v_mov_b32_e32 v11, 0
	v_cmp_ne_u16_sdwa s[8:9], v12, v11 src0_sel:BYTE_0 src1_sel:DWORD
	s_andn2_b64 s[4:5], s[4:5], exec
	s_and_b64 s[8:9], s[8:9], exec
	s_or_b64 s[4:5], s[4:5], s[8:9]
	s_or_b64 exec, exec, s[6:7]
	s_and_saveexec_b64 s[6:7], s[4:5]
	s_cbranch_execnz .LBB29_839
	s_branch .LBB29_840
.LBB29_2889:
	s_movk_i32 s4, 0x80
	v_cmp_eq_u16_sdwa s[12:13], v11, s4 src0_sel:BYTE_0 src1_sel:DWORD
	s_mov_b64 s[4:5], -1
                                        ; implicit-def: $sgpr10
	s_and_saveexec_b64 s[8:9], s[12:13]
; %bb.2890:
	s_mov_b32 s10, 0x7f800001
	s_xor_b64 s[4:5], exec, -1
; %bb.2891:
	s_or_b64 exec, exec, s[8:9]
	s_and_b64 s[4:5], s[4:5], exec
	s_or_saveexec_b64 s[6:7], s[6:7]
	v_mov_b32_e32 v10, s10
	s_xor_b64 exec, exec, s[6:7]
	s_cbranch_execz .LBB29_842
.LBB29_2892:
	v_mov_b32_e32 v10, 0
	v_cmp_ne_u16_sdwa s[8:9], v11, v10 src0_sel:BYTE_0 src1_sel:DWORD
	s_andn2_b64 s[4:5], s[4:5], exec
	s_and_b64 s[8:9], s[8:9], exec
	s_or_b64 s[4:5], s[4:5], s[8:9]
	s_or_b64 exec, exec, s[6:7]
	s_and_saveexec_b64 s[6:7], s[4:5]
	s_cbranch_execnz .LBB29_843
	s_branch .LBB29_844
.LBB29_2893:
	s_movk_i32 s4, 0x80
	v_cmp_eq_u16_sdwa s[12:13], v11, s4 src0_sel:BYTE_0 src1_sel:DWORD
	s_mov_b64 s[4:5], -1
                                        ; implicit-def: $sgpr10
	s_and_saveexec_b64 s[8:9], s[12:13]
; %bb.2894:
	s_mov_b32 s10, 0x7f800001
	s_xor_b64 s[4:5], exec, -1
; %bb.2895:
	s_or_b64 exec, exec, s[8:9]
	s_and_b64 s[4:5], s[4:5], exec
	s_or_saveexec_b64 s[6:7], s[6:7]
	v_mov_b32_e32 v14, s10
	s_xor_b64 exec, exec, s[6:7]
	s_cbranch_execz .LBB29_846
.LBB29_2896:
	v_mov_b32_e32 v14, 0
	v_cmp_ne_u16_sdwa s[8:9], v11, v14 src0_sel:BYTE_0 src1_sel:DWORD
	s_andn2_b64 s[4:5], s[4:5], exec
	s_and_b64 s[8:9], s[8:9], exec
	s_or_b64 s[4:5], s[4:5], s[8:9]
	s_or_b64 exec, exec, s[6:7]
	s_and_saveexec_b64 s[6:7], s[4:5]
	s_cbranch_execnz .LBB29_847
	s_branch .LBB29_848
.LBB29_2897:
	s_movk_i32 s4, 0x80
	v_cmp_eq_u16_e32 vcc, s4, v11
	s_mov_b64 s[4:5], -1
                                        ; implicit-def: $sgpr10
	s_and_saveexec_b64 s[8:9], vcc
; %bb.2898:
	s_mov_b32 s10, 0x7f800001
	s_xor_b64 s[4:5], exec, -1
; %bb.2899:
	s_or_b64 exec, exec, s[8:9]
	s_and_b64 s[4:5], s[4:5], exec
                                        ; implicit-def: $vgpr11
	s_or_saveexec_b64 s[6:7], s[6:7]
	v_mov_b32_e32 v10, s10
	s_xor_b64 exec, exec, s[6:7]
	s_cbranch_execz .LBB29_850
.LBB29_2900:
	v_cmp_ne_u16_e32 vcc, 0, v11
	s_andn2_b64 s[4:5], s[4:5], exec
	s_and_b64 s[8:9], vcc, exec
	v_mov_b32_e32 v10, 0
	s_or_b64 s[4:5], s[4:5], s[8:9]
	s_or_b64 exec, exec, s[6:7]
	s_and_saveexec_b64 s[6:7], s[4:5]
	s_cbranch_execnz .LBB29_851
	s_branch .LBB29_852
.LBB29_2901:
	s_movk_i32 s4, 0x80
	v_cmp_eq_u16_e32 vcc, s4, v11
	s_mov_b64 s[4:5], -1
                                        ; implicit-def: $sgpr10
	s_and_saveexec_b64 s[8:9], vcc
; %bb.2902:
	s_mov_b32 s10, 0x7f800001
	s_xor_b64 s[4:5], exec, -1
; %bb.2903:
	s_or_b64 exec, exec, s[8:9]
	s_and_b64 s[4:5], s[4:5], exec
                                        ; implicit-def: $vgpr11
	s_or_saveexec_b64 s[6:7], s[6:7]
	v_mov_b32_e32 v14, s10
	s_xor_b64 exec, exec, s[6:7]
	s_cbranch_execz .LBB29_854
.LBB29_2904:
	v_cmp_ne_u16_e32 vcc, 0, v11
	s_andn2_b64 s[4:5], s[4:5], exec
	s_and_b64 s[8:9], vcc, exec
	v_mov_b32_e32 v14, 0
	s_or_b64 s[4:5], s[4:5], s[8:9]
	s_or_b64 exec, exec, s[6:7]
	s_and_saveexec_b64 s[6:7], s[4:5]
	s_cbranch_execnz .LBB29_855
	s_branch .LBB29_856
.LBB29_2905:
	s_movk_i32 s4, 0x80
	v_cmp_eq_u16_sdwa s[12:13], v16, s4 src0_sel:BYTE_3 src1_sel:DWORD
	s_mov_b64 s[4:5], -1
                                        ; implicit-def: $sgpr10
	s_and_saveexec_b64 s[8:9], s[12:13]
; %bb.2906:
	s_mov_b32 s10, 0x7f800001
	s_xor_b64 s[4:5], exec, -1
; %bb.2907:
	s_or_b64 exec, exec, s[8:9]
	s_and_b64 s[4:5], s[4:5], exec
	s_or_saveexec_b64 s[6:7], s[6:7]
	v_mov_b32_e32 v10, s10
	s_xor_b64 exec, exec, s[6:7]
	s_cbranch_execz .LBB29_858
.LBB29_2908:
	v_mov_b32_e32 v10, 0
	v_cmp_ne_u16_sdwa s[8:9], v16, v10 src0_sel:BYTE_3 src1_sel:DWORD
	s_andn2_b64 s[4:5], s[4:5], exec
	s_and_b64 s[8:9], s[8:9], exec
	s_or_b64 s[4:5], s[4:5], s[8:9]
	s_or_b64 exec, exec, s[6:7]
	s_and_saveexec_b64 s[6:7], s[4:5]
	s_cbranch_execnz .LBB29_859
	s_branch .LBB29_860
.LBB29_2909:
	s_movk_i32 s4, 0x80
	v_cmp_eq_u16_sdwa s[12:13], v12, s4 src0_sel:BYTE_3 src1_sel:DWORD
	s_mov_b64 s[4:5], -1
                                        ; implicit-def: $sgpr10
	s_and_saveexec_b64 s[8:9], s[12:13]
; %bb.2910:
	s_mov_b32 s10, 0x7f800001
	s_xor_b64 s[4:5], exec, -1
; %bb.2911:
	s_or_b64 exec, exec, s[8:9]
	s_and_b64 s[4:5], s[4:5], exec
	s_or_saveexec_b64 s[6:7], s[6:7]
	v_mov_b32_e32 v11, s10
	s_xor_b64 exec, exec, s[6:7]
	s_cbranch_execz .LBB29_862
.LBB29_2912:
	v_mov_b32_e32 v11, 0
	v_cmp_ne_u16_sdwa s[8:9], v12, v11 src0_sel:BYTE_3 src1_sel:DWORD
	s_andn2_b64 s[4:5], s[4:5], exec
	s_and_b64 s[8:9], s[8:9], exec
	s_or_b64 s[4:5], s[4:5], s[8:9]
	s_or_b64 exec, exec, s[6:7]
	s_and_saveexec_b64 s[6:7], s[4:5]
	s_cbranch_execnz .LBB29_863
	s_branch .LBB29_864
.LBB29_2913:
	s_movk_i32 s4, 0x80
	v_cmp_eq_u16_sdwa s[12:13], v17, s4 src0_sel:BYTE_0 src1_sel:DWORD
	s_mov_b64 s[4:5], -1
                                        ; implicit-def: $sgpr10
	s_and_saveexec_b64 s[8:9], s[12:13]
; %bb.2914:
	s_mov_b32 s10, 0x7f800001
	s_xor_b64 s[4:5], exec, -1
; %bb.2915:
	s_or_b64 exec, exec, s[8:9]
	s_and_b64 s[4:5], s[4:5], exec
	s_or_saveexec_b64 s[6:7], s[6:7]
	v_mov_b32_e32 v10, s10
	s_xor_b64 exec, exec, s[6:7]
	s_cbranch_execz .LBB29_866
.LBB29_2916:
	v_mov_b32_e32 v10, 0
	v_cmp_ne_u16_sdwa s[8:9], v17, v10 src0_sel:BYTE_0 src1_sel:DWORD
	s_andn2_b64 s[4:5], s[4:5], exec
	s_and_b64 s[8:9], s[8:9], exec
	s_or_b64 s[4:5], s[4:5], s[8:9]
	s_or_b64 exec, exec, s[6:7]
	s_and_saveexec_b64 s[6:7], s[4:5]
	s_cbranch_execnz .LBB29_867
	s_branch .LBB29_868
.LBB29_2917:
	s_movk_i32 s4, 0x80
	v_cmp_eq_u16_sdwa s[12:13], v13, s4 src0_sel:BYTE_0 src1_sel:DWORD
	s_mov_b64 s[4:5], -1
                                        ; implicit-def: $sgpr10
	s_and_saveexec_b64 s[8:9], s[12:13]
; %bb.2918:
	s_mov_b32 s10, 0x7f800001
	s_xor_b64 s[4:5], exec, -1
; %bb.2919:
	s_or_b64 exec, exec, s[8:9]
	s_and_b64 s[4:5], s[4:5], exec
	s_or_saveexec_b64 s[6:7], s[6:7]
	v_mov_b32_e32 v11, s10
	s_xor_b64 exec, exec, s[6:7]
	s_cbranch_execz .LBB29_870
.LBB29_2920:
	v_mov_b32_e32 v11, 0
	v_cmp_ne_u16_sdwa s[8:9], v13, v11 src0_sel:BYTE_0 src1_sel:DWORD
	s_andn2_b64 s[4:5], s[4:5], exec
	s_and_b64 s[8:9], s[8:9], exec
	s_or_b64 s[4:5], s[4:5], s[8:9]
	s_or_b64 exec, exec, s[6:7]
	s_and_saveexec_b64 s[6:7], s[4:5]
	s_cbranch_execnz .LBB29_871
	s_branch .LBB29_872
.LBB29_2921:
	s_movk_i32 s4, 0x80
	v_cmp_eq_u16_sdwa s[12:13], v11, s4 src0_sel:BYTE_0 src1_sel:DWORD
	s_mov_b64 s[4:5], -1
                                        ; implicit-def: $sgpr10
	s_and_saveexec_b64 s[8:9], s[12:13]
; %bb.2922:
	s_mov_b32 s10, 0x7f800001
	s_xor_b64 s[4:5], exec, -1
; %bb.2923:
	s_or_b64 exec, exec, s[8:9]
	s_and_b64 s[4:5], s[4:5], exec
	s_or_saveexec_b64 s[6:7], s[6:7]
	v_mov_b32_e32 v10, s10
	s_xor_b64 exec, exec, s[6:7]
	s_cbranch_execz .LBB29_874
.LBB29_2924:
	v_mov_b32_e32 v10, 0
	v_cmp_ne_u16_sdwa s[8:9], v11, v10 src0_sel:BYTE_0 src1_sel:DWORD
	s_andn2_b64 s[4:5], s[4:5], exec
	s_and_b64 s[8:9], s[8:9], exec
	s_or_b64 s[4:5], s[4:5], s[8:9]
	s_or_b64 exec, exec, s[6:7]
	s_and_saveexec_b64 s[6:7], s[4:5]
	s_cbranch_execnz .LBB29_875
	s_branch .LBB29_876
.LBB29_2925:
	s_movk_i32 s4, 0x80
	v_cmp_eq_u16_sdwa s[12:13], v11, s4 src0_sel:BYTE_0 src1_sel:DWORD
	s_mov_b64 s[4:5], -1
                                        ; implicit-def: $sgpr10
	s_and_saveexec_b64 s[8:9], s[12:13]
; %bb.2926:
	s_mov_b32 s10, 0x7f800001
	s_xor_b64 s[4:5], exec, -1
; %bb.2927:
	s_or_b64 exec, exec, s[8:9]
	s_and_b64 s[4:5], s[4:5], exec
	s_or_saveexec_b64 s[6:7], s[6:7]
	v_mov_b32_e32 v12, s10
	s_xor_b64 exec, exec, s[6:7]
	s_cbranch_execz .LBB29_878
.LBB29_2928:
	v_mov_b32_e32 v12, 0
	v_cmp_ne_u16_sdwa s[8:9], v11, v12 src0_sel:BYTE_0 src1_sel:DWORD
	s_andn2_b64 s[4:5], s[4:5], exec
	s_and_b64 s[8:9], s[8:9], exec
	s_or_b64 s[4:5], s[4:5], s[8:9]
	s_or_b64 exec, exec, s[6:7]
	s_and_saveexec_b64 s[6:7], s[4:5]
	s_cbranch_execnz .LBB29_879
	s_branch .LBB29_880
.LBB29_2929:
	s_movk_i32 s4, 0x80
	v_cmp_eq_u16_e32 vcc, s4, v11
	s_mov_b64 s[4:5], -1
                                        ; implicit-def: $sgpr10
	s_and_saveexec_b64 s[8:9], vcc
; %bb.2930:
	s_mov_b32 s10, 0x7f800001
	s_xor_b64 s[4:5], exec, -1
; %bb.2931:
	s_or_b64 exec, exec, s[8:9]
	s_and_b64 s[4:5], s[4:5], exec
                                        ; implicit-def: $vgpr11
	s_or_saveexec_b64 s[6:7], s[6:7]
	v_mov_b32_e32 v10, s10
	s_xor_b64 exec, exec, s[6:7]
	s_cbranch_execz .LBB29_882
.LBB29_2932:
	v_cmp_ne_u16_e32 vcc, 0, v11
	s_andn2_b64 s[4:5], s[4:5], exec
	s_and_b64 s[8:9], vcc, exec
	v_mov_b32_e32 v10, 0
	s_or_b64 s[4:5], s[4:5], s[8:9]
	s_or_b64 exec, exec, s[6:7]
	s_and_saveexec_b64 s[6:7], s[4:5]
	s_cbranch_execnz .LBB29_883
	s_branch .LBB29_884
.LBB29_2933:
	s_movk_i32 s4, 0x80
	v_cmp_eq_u16_e32 vcc, s4, v11
	s_mov_b64 s[4:5], -1
                                        ; implicit-def: $sgpr10
	s_and_saveexec_b64 s[8:9], vcc
; %bb.2934:
	s_mov_b32 s10, 0x7f800001
	s_xor_b64 s[4:5], exec, -1
; %bb.2935:
	s_or_b64 exec, exec, s[8:9]
	s_and_b64 s[4:5], s[4:5], exec
                                        ; implicit-def: $vgpr11
	s_or_saveexec_b64 s[6:7], s[6:7]
	v_mov_b32_e32 v12, s10
	s_xor_b64 exec, exec, s[6:7]
	s_cbranch_execz .LBB29_886
.LBB29_2936:
	v_cmp_ne_u16_e32 vcc, 0, v11
	s_andn2_b64 s[4:5], s[4:5], exec
	s_and_b64 s[8:9], vcc, exec
	v_mov_b32_e32 v12, 0
	s_or_b64 s[4:5], s[4:5], s[8:9]
	s_or_b64 exec, exec, s[6:7]
	s_and_saveexec_b64 s[6:7], s[4:5]
	s_cbranch_execnz .LBB29_887
	s_branch .LBB29_888
.LBB29_2937:
	s_movk_i32 s4, 0x80
	v_cmp_eq_u16_sdwa s[12:13], v17, s4 src0_sel:BYTE_3 src1_sel:DWORD
	s_mov_b64 s[4:5], -1
                                        ; implicit-def: $sgpr10
	s_and_saveexec_b64 s[8:9], s[12:13]
; %bb.2938:
	s_mov_b32 s10, 0x7f800001
	s_xor_b64 s[4:5], exec, -1
; %bb.2939:
	s_or_b64 exec, exec, s[8:9]
	s_and_b64 s[4:5], s[4:5], exec
	s_or_saveexec_b64 s[6:7], s[6:7]
	v_mov_b32_e32 v10, s10
	s_xor_b64 exec, exec, s[6:7]
	s_cbranch_execz .LBB29_890
.LBB29_2940:
	v_mov_b32_e32 v10, 0
	v_cmp_ne_u16_sdwa s[8:9], v17, v10 src0_sel:BYTE_3 src1_sel:DWORD
	s_andn2_b64 s[4:5], s[4:5], exec
	s_and_b64 s[8:9], s[8:9], exec
	s_or_b64 s[4:5], s[4:5], s[8:9]
	s_or_b64 exec, exec, s[6:7]
	s_and_saveexec_b64 s[6:7], s[4:5]
	s_cbranch_execnz .LBB29_891
	s_branch .LBB29_892
.LBB29_2941:
	s_movk_i32 s4, 0x80
	v_cmp_eq_u16_sdwa s[12:13], v13, s4 src0_sel:BYTE_3 src1_sel:DWORD
	s_mov_b64 s[4:5], -1
                                        ; implicit-def: $sgpr10
	s_and_saveexec_b64 s[8:9], s[12:13]
; %bb.2942:
	s_mov_b32 s10, 0x7f800001
	s_xor_b64 s[4:5], exec, -1
; %bb.2943:
	s_or_b64 exec, exec, s[8:9]
	s_and_b64 s[4:5], s[4:5], exec
	s_or_saveexec_b64 s[6:7], s[6:7]
	v_mov_b32_e32 v11, s10
	s_xor_b64 exec, exec, s[6:7]
	s_cbranch_execz .LBB29_894
.LBB29_2944:
	v_mov_b32_e32 v11, 0
	v_cmp_ne_u16_sdwa s[8:9], v13, v11 src0_sel:BYTE_3 src1_sel:DWORD
	s_andn2_b64 s[4:5], s[4:5], exec
	s_and_b64 s[8:9], s[8:9], exec
	s_or_b64 s[4:5], s[4:5], s[8:9]
	s_or_b64 exec, exec, s[6:7]
	s_and_saveexec_b64 s[6:7], s[4:5]
	s_cbranch_execnz .LBB29_895
	s_branch .LBB29_896
.LBB29_2945:
	s_movk_i32 s4, 0x80
	v_cmp_eq_u16_sdwa s[12:13], v6, s4 src0_sel:BYTE_0 src1_sel:DWORD
	s_mov_b64 s[4:5], -1
                                        ; implicit-def: $sgpr10
	s_and_saveexec_b64 s[8:9], s[12:13]
; %bb.2946:
	s_mov_b32 s10, 0x7f800001
	s_xor_b64 s[4:5], exec, -1
; %bb.2947:
	s_or_b64 exec, exec, s[8:9]
	s_and_b64 s[4:5], s[4:5], exec
	s_or_saveexec_b64 s[6:7], s[6:7]
	v_mov_b32_e32 v10, s10
	s_xor_b64 exec, exec, s[6:7]
	s_cbranch_execz .LBB29_898
.LBB29_2948:
	v_mov_b32_e32 v10, 0
	v_cmp_ne_u16_sdwa s[8:9], v6, v10 src0_sel:BYTE_0 src1_sel:DWORD
	s_andn2_b64 s[4:5], s[4:5], exec
	s_and_b64 s[8:9], s[8:9], exec
	s_or_b64 s[4:5], s[4:5], s[8:9]
	s_or_b64 exec, exec, s[6:7]
	s_and_saveexec_b64 s[6:7], s[4:5]
	s_cbranch_execnz .LBB29_899
	s_branch .LBB29_900
.LBB29_2949:
	s_movk_i32 s4, 0x80
	v_cmp_eq_u16_sdwa s[12:13], v2, s4 src0_sel:BYTE_0 src1_sel:DWORD
	s_mov_b64 s[4:5], -1
                                        ; implicit-def: $sgpr10
	s_and_saveexec_b64 s[8:9], s[12:13]
; %bb.2950:
	s_mov_b32 s10, 0x7f800001
	s_xor_b64 s[4:5], exec, -1
; %bb.2951:
	s_or_b64 exec, exec, s[8:9]
	s_and_b64 s[4:5], s[4:5], exec
	s_or_saveexec_b64 s[6:7], s[6:7]
	v_mov_b32_e32 v11, s10
	s_xor_b64 exec, exec, s[6:7]
	s_cbranch_execz .LBB29_902
.LBB29_2952:
	v_mov_b32_e32 v11, 0
	v_cmp_ne_u16_sdwa s[8:9], v2, v11 src0_sel:BYTE_0 src1_sel:DWORD
	s_andn2_b64 s[4:5], s[4:5], exec
	s_and_b64 s[8:9], s[8:9], exec
	s_or_b64 s[4:5], s[4:5], s[8:9]
	s_or_b64 exec, exec, s[6:7]
	s_and_saveexec_b64 s[6:7], s[4:5]
	s_cbranch_execnz .LBB29_903
	s_branch .LBB29_904
.LBB29_2953:
	s_movk_i32 s4, 0x80
	v_cmp_eq_u16_sdwa s[12:13], v11, s4 src0_sel:BYTE_0 src1_sel:DWORD
	s_mov_b64 s[4:5], -1
                                        ; implicit-def: $sgpr10
	s_and_saveexec_b64 s[8:9], s[12:13]
; %bb.2954:
	s_mov_b32 s10, 0x7f800001
	s_xor_b64 s[4:5], exec, -1
; %bb.2955:
	s_or_b64 exec, exec, s[8:9]
	s_and_b64 s[4:5], s[4:5], exec
	s_or_saveexec_b64 s[6:7], s[6:7]
	v_mov_b32_e32 v10, s10
	s_xor_b64 exec, exec, s[6:7]
	s_cbranch_execz .LBB29_906
.LBB29_2956:
	v_mov_b32_e32 v10, 0
	v_cmp_ne_u16_sdwa s[8:9], v11, v10 src0_sel:BYTE_0 src1_sel:DWORD
	s_andn2_b64 s[4:5], s[4:5], exec
	s_and_b64 s[8:9], s[8:9], exec
	s_or_b64 s[4:5], s[4:5], s[8:9]
	s_or_b64 exec, exec, s[6:7]
	s_and_saveexec_b64 s[6:7], s[4:5]
	s_cbranch_execnz .LBB29_907
	s_branch .LBB29_908
.LBB29_2957:
	s_movk_i32 s4, 0x80
	v_cmp_eq_u16_sdwa s[12:13], v11, s4 src0_sel:BYTE_0 src1_sel:DWORD
	s_mov_b64 s[4:5], -1
                                        ; implicit-def: $sgpr10
	s_and_saveexec_b64 s[8:9], s[12:13]
; %bb.2958:
	s_mov_b32 s10, 0x7f800001
	s_xor_b64 s[4:5], exec, -1
; %bb.2959:
	s_or_b64 exec, exec, s[8:9]
	s_and_b64 s[4:5], s[4:5], exec
	s_or_saveexec_b64 s[6:7], s[6:7]
	v_mov_b32_e32 v12, s10
	s_xor_b64 exec, exec, s[6:7]
	s_cbranch_execz .LBB29_910
.LBB29_2960:
	v_mov_b32_e32 v12, 0
	v_cmp_ne_u16_sdwa s[8:9], v11, v12 src0_sel:BYTE_0 src1_sel:DWORD
	s_andn2_b64 s[4:5], s[4:5], exec
	s_and_b64 s[8:9], s[8:9], exec
	s_or_b64 s[4:5], s[4:5], s[8:9]
	s_or_b64 exec, exec, s[6:7]
	s_and_saveexec_b64 s[6:7], s[4:5]
	s_cbranch_execnz .LBB29_911
	s_branch .LBB29_912
.LBB29_2961:
	s_movk_i32 s4, 0x80
	v_cmp_eq_u16_e32 vcc, s4, v11
	s_mov_b64 s[4:5], -1
                                        ; implicit-def: $sgpr10
	s_and_saveexec_b64 s[8:9], vcc
; %bb.2962:
	s_mov_b32 s10, 0x7f800001
	s_xor_b64 s[4:5], exec, -1
; %bb.2963:
	s_or_b64 exec, exec, s[8:9]
	s_and_b64 s[4:5], s[4:5], exec
                                        ; implicit-def: $vgpr11
	s_or_saveexec_b64 s[6:7], s[6:7]
	v_mov_b32_e32 v10, s10
	s_xor_b64 exec, exec, s[6:7]
	s_cbranch_execz .LBB29_914
.LBB29_2964:
	v_cmp_ne_u16_e32 vcc, 0, v11
	s_andn2_b64 s[4:5], s[4:5], exec
	s_and_b64 s[8:9], vcc, exec
	v_mov_b32_e32 v10, 0
	s_or_b64 s[4:5], s[4:5], s[8:9]
	s_or_b64 exec, exec, s[6:7]
	s_and_saveexec_b64 s[6:7], s[4:5]
	s_cbranch_execnz .LBB29_915
	s_branch .LBB29_916
.LBB29_2965:
	s_movk_i32 s4, 0x80
	v_cmp_eq_u16_e32 vcc, s4, v11
	s_mov_b64 s[4:5], -1
                                        ; implicit-def: $sgpr10
	s_and_saveexec_b64 s[8:9], vcc
; %bb.2966:
	s_mov_b32 s10, 0x7f800001
	s_xor_b64 s[4:5], exec, -1
; %bb.2967:
	s_or_b64 exec, exec, s[8:9]
	s_and_b64 s[4:5], s[4:5], exec
                                        ; implicit-def: $vgpr11
	s_or_saveexec_b64 s[6:7], s[6:7]
	v_mov_b32_e32 v12, s10
	s_xor_b64 exec, exec, s[6:7]
	s_cbranch_execz .LBB29_918
.LBB29_2968:
	v_cmp_ne_u16_e32 vcc, 0, v11
	s_andn2_b64 s[4:5], s[4:5], exec
	s_and_b64 s[8:9], vcc, exec
	v_mov_b32_e32 v12, 0
	s_or_b64 s[4:5], s[4:5], s[8:9]
	s_or_b64 exec, exec, s[6:7]
	s_and_saveexec_b64 s[6:7], s[4:5]
	s_cbranch_execnz .LBB29_919
	s_branch .LBB29_920
.LBB29_2969:
	s_movk_i32 s4, 0x80
	v_cmp_eq_u16_sdwa s[12:13], v6, s4 src0_sel:BYTE_3 src1_sel:DWORD
	s_mov_b64 s[4:5], -1
                                        ; implicit-def: $sgpr10
	s_and_saveexec_b64 s[8:9], s[12:13]
; %bb.2970:
	s_mov_b32 s10, 0x7f800001
	s_xor_b64 s[4:5], exec, -1
; %bb.2971:
	s_or_b64 exec, exec, s[8:9]
	s_and_b64 s[4:5], s[4:5], exec
	s_or_saveexec_b64 s[6:7], s[6:7]
	v_mov_b32_e32 v10, s10
	s_xor_b64 exec, exec, s[6:7]
	s_cbranch_execz .LBB29_922
.LBB29_2972:
	v_mov_b32_e32 v10, 0
	v_cmp_ne_u16_sdwa s[8:9], v6, v10 src0_sel:BYTE_3 src1_sel:DWORD
	s_andn2_b64 s[4:5], s[4:5], exec
	s_and_b64 s[8:9], s[8:9], exec
	s_or_b64 s[4:5], s[4:5], s[8:9]
	s_or_b64 exec, exec, s[6:7]
	s_and_saveexec_b64 s[6:7], s[4:5]
	s_cbranch_execnz .LBB29_923
	s_branch .LBB29_924
.LBB29_2973:
	s_movk_i32 s4, 0x80
	v_cmp_eq_u16_sdwa s[12:13], v2, s4 src0_sel:BYTE_3 src1_sel:DWORD
	s_mov_b64 s[4:5], -1
                                        ; implicit-def: $sgpr10
	s_and_saveexec_b64 s[8:9], s[12:13]
; %bb.2974:
	s_mov_b32 s10, 0x7f800001
	s_xor_b64 s[4:5], exec, -1
; %bb.2975:
	s_or_b64 exec, exec, s[8:9]
	s_and_b64 s[4:5], s[4:5], exec
	s_or_saveexec_b64 s[6:7], s[6:7]
	v_mov_b32_e32 v6, s10
	s_xor_b64 exec, exec, s[6:7]
	s_cbranch_execz .LBB29_926
.LBB29_2976:
	v_mov_b32_e32 v6, 0
	v_cmp_ne_u16_sdwa s[8:9], v2, v6 src0_sel:BYTE_3 src1_sel:DWORD
	s_andn2_b64 s[4:5], s[4:5], exec
	s_and_b64 s[8:9], s[8:9], exec
	s_or_b64 s[4:5], s[4:5], s[8:9]
	s_or_b64 exec, exec, s[6:7]
	s_and_saveexec_b64 s[6:7], s[4:5]
	s_cbranch_execnz .LBB29_927
	s_branch .LBB29_928
.LBB29_2977:
	s_movk_i32 s4, 0x80
	v_cmp_eq_u16_sdwa s[12:13], v7, s4 src0_sel:BYTE_0 src1_sel:DWORD
	s_mov_b64 s[4:5], -1
                                        ; implicit-def: $sgpr10
	s_and_saveexec_b64 s[8:9], s[12:13]
; %bb.2978:
	s_mov_b32 s10, 0x7f800001
	s_xor_b64 s[4:5], exec, -1
; %bb.2979:
	s_or_b64 exec, exec, s[8:9]
	s_and_b64 s[4:5], s[4:5], exec
	s_or_saveexec_b64 s[6:7], s[6:7]
	v_mov_b32_e32 v2, s10
	s_xor_b64 exec, exec, s[6:7]
	s_cbranch_execz .LBB29_930
.LBB29_2980:
	v_mov_b32_e32 v2, 0
	v_cmp_ne_u16_sdwa s[8:9], v7, v2 src0_sel:BYTE_0 src1_sel:DWORD
	s_andn2_b64 s[4:5], s[4:5], exec
	s_and_b64 s[8:9], s[8:9], exec
	s_or_b64 s[4:5], s[4:5], s[8:9]
	s_or_b64 exec, exec, s[6:7]
	s_and_saveexec_b64 s[6:7], s[4:5]
	s_cbranch_execnz .LBB29_931
	s_branch .LBB29_932
.LBB29_2981:
	s_movk_i32 s4, 0x80
	v_cmp_eq_u16_sdwa s[12:13], v3, s4 src0_sel:BYTE_0 src1_sel:DWORD
	s_mov_b64 s[4:5], -1
                                        ; implicit-def: $sgpr10
	s_and_saveexec_b64 s[8:9], s[12:13]
; %bb.2982:
	s_mov_b32 s10, 0x7f800001
	s_xor_b64 s[4:5], exec, -1
; %bb.2983:
	s_or_b64 exec, exec, s[8:9]
	s_and_b64 s[4:5], s[4:5], exec
	s_or_saveexec_b64 s[6:7], s[6:7]
	v_mov_b32_e32 v6, s10
	s_xor_b64 exec, exec, s[6:7]
	s_cbranch_execz .LBB29_934
.LBB29_2984:
	v_mov_b32_e32 v6, 0
	v_cmp_ne_u16_sdwa s[8:9], v3, v6 src0_sel:BYTE_0 src1_sel:DWORD
	s_andn2_b64 s[4:5], s[4:5], exec
	s_and_b64 s[8:9], s[8:9], exec
	s_or_b64 s[4:5], s[4:5], s[8:9]
	s_or_b64 exec, exec, s[6:7]
	s_and_saveexec_b64 s[6:7], s[4:5]
	s_cbranch_execnz .LBB29_935
	s_branch .LBB29_936
.LBB29_2985:
	s_movk_i32 s4, 0x80
	v_cmp_eq_u16_sdwa s[12:13], v6, s4 src0_sel:BYTE_0 src1_sel:DWORD
	s_mov_b64 s[4:5], -1
                                        ; implicit-def: $sgpr10
	s_and_saveexec_b64 s[8:9], s[12:13]
; %bb.2986:
	s_mov_b32 s10, 0x7f800001
	s_xor_b64 s[4:5], exec, -1
; %bb.2987:
	s_or_b64 exec, exec, s[8:9]
	s_and_b64 s[4:5], s[4:5], exec
	s_or_saveexec_b64 s[6:7], s[6:7]
	v_mov_b32_e32 v2, s10
	s_xor_b64 exec, exec, s[6:7]
	s_cbranch_execz .LBB29_938
.LBB29_2988:
	v_mov_b32_e32 v2, 0
	v_cmp_ne_u16_sdwa s[8:9], v6, v2 src0_sel:BYTE_0 src1_sel:DWORD
	s_andn2_b64 s[4:5], s[4:5], exec
	s_and_b64 s[8:9], s[8:9], exec
	s_or_b64 s[4:5], s[4:5], s[8:9]
	s_or_b64 exec, exec, s[6:7]
	s_and_saveexec_b64 s[6:7], s[4:5]
	s_cbranch_execnz .LBB29_939
	s_branch .LBB29_940
.LBB29_2989:
	s_movk_i32 s4, 0x80
	v_cmp_eq_u16_sdwa s[12:13], v6, s4 src0_sel:BYTE_0 src1_sel:DWORD
	s_mov_b64 s[4:5], -1
                                        ; implicit-def: $sgpr10
	s_and_saveexec_b64 s[8:9], s[12:13]
; %bb.2990:
	s_mov_b32 s10, 0x7f800001
	s_xor_b64 s[4:5], exec, -1
; %bb.2991:
	s_or_b64 exec, exec, s[8:9]
	s_and_b64 s[4:5], s[4:5], exec
	s_or_saveexec_b64 s[6:7], s[6:7]
	v_mov_b32_e32 v10, s10
	s_xor_b64 exec, exec, s[6:7]
	s_cbranch_execz .LBB29_942
.LBB29_2992:
	v_mov_b32_e32 v10, 0
	v_cmp_ne_u16_sdwa s[8:9], v6, v10 src0_sel:BYTE_0 src1_sel:DWORD
	s_andn2_b64 s[4:5], s[4:5], exec
	s_and_b64 s[8:9], s[8:9], exec
	s_or_b64 s[4:5], s[4:5], s[8:9]
	s_or_b64 exec, exec, s[6:7]
	s_and_saveexec_b64 s[6:7], s[4:5]
	s_cbranch_execnz .LBB29_943
	s_branch .LBB29_944
.LBB29_2993:
	s_movk_i32 s4, 0x80
	v_cmp_eq_u16_e32 vcc, s4, v6
	s_mov_b64 s[4:5], -1
                                        ; implicit-def: $sgpr10
	s_and_saveexec_b64 s[8:9], vcc
; %bb.2994:
	s_mov_b32 s10, 0x7f800001
	s_xor_b64 s[4:5], exec, -1
; %bb.2995:
	s_or_b64 exec, exec, s[8:9]
	s_and_b64 s[4:5], s[4:5], exec
                                        ; implicit-def: $vgpr6
	s_or_saveexec_b64 s[6:7], s[6:7]
	v_mov_b32_e32 v2, s10
	s_xor_b64 exec, exec, s[6:7]
	s_cbranch_execz .LBB29_946
.LBB29_2996:
	v_cmp_ne_u16_e32 vcc, 0, v6
	s_andn2_b64 s[4:5], s[4:5], exec
	s_and_b64 s[8:9], vcc, exec
	v_mov_b32_e32 v2, 0
	s_or_b64 s[4:5], s[4:5], s[8:9]
	s_or_b64 exec, exec, s[6:7]
	s_and_saveexec_b64 s[6:7], s[4:5]
	s_cbranch_execnz .LBB29_947
	s_branch .LBB29_948
.LBB29_2997:
	s_movk_i32 s4, 0x80
	v_cmp_eq_u16_e32 vcc, s4, v6
	s_mov_b64 s[4:5], -1
                                        ; implicit-def: $sgpr10
	s_and_saveexec_b64 s[8:9], vcc
; %bb.2998:
	s_mov_b32 s10, 0x7f800001
	s_xor_b64 s[4:5], exec, -1
; %bb.2999:
	s_or_b64 exec, exec, s[8:9]
	s_and_b64 s[4:5], s[4:5], exec
                                        ; implicit-def: $vgpr6
	s_or_saveexec_b64 s[6:7], s[6:7]
	v_mov_b32_e32 v10, s10
	s_xor_b64 exec, exec, s[6:7]
	s_cbranch_execz .LBB29_950
.LBB29_3000:
	v_cmp_ne_u16_e32 vcc, 0, v6
	s_andn2_b64 s[4:5], s[4:5], exec
	s_and_b64 s[8:9], vcc, exec
	v_mov_b32_e32 v10, 0
	s_or_b64 s[4:5], s[4:5], s[8:9]
	s_or_b64 exec, exec, s[6:7]
	s_and_saveexec_b64 s[6:7], s[4:5]
	s_cbranch_execnz .LBB29_951
	s_branch .LBB29_952
.LBB29_3001:
	s_movk_i32 s4, 0x80
	v_cmp_eq_u16_sdwa s[12:13], v7, s4 src0_sel:BYTE_3 src1_sel:DWORD
	s_mov_b64 s[4:5], -1
                                        ; implicit-def: $sgpr10
	s_and_saveexec_b64 s[8:9], s[12:13]
; %bb.3002:
	s_mov_b32 s10, 0x7f800001
	s_xor_b64 s[4:5], exec, -1
; %bb.3003:
	s_or_b64 exec, exec, s[8:9]
	s_and_b64 s[4:5], s[4:5], exec
	s_or_saveexec_b64 s[6:7], s[6:7]
	v_mov_b32_e32 v2, s10
	s_xor_b64 exec, exec, s[6:7]
	s_cbranch_execz .LBB29_954
.LBB29_3004:
	v_mov_b32_e32 v2, 0
	v_cmp_ne_u16_sdwa s[8:9], v7, v2 src0_sel:BYTE_3 src1_sel:DWORD
	s_andn2_b64 s[4:5], s[4:5], exec
	s_and_b64 s[8:9], s[8:9], exec
	s_or_b64 s[4:5], s[4:5], s[8:9]
	s_or_b64 exec, exec, s[6:7]
	s_and_saveexec_b64 s[6:7], s[4:5]
	s_cbranch_execnz .LBB29_955
	s_branch .LBB29_956
.LBB29_3005:
	s_movk_i32 s4, 0x80
	v_cmp_eq_u16_sdwa s[12:13], v3, s4 src0_sel:BYTE_3 src1_sel:DWORD
	s_mov_b64 s[4:5], -1
                                        ; implicit-def: $sgpr10
	s_and_saveexec_b64 s[8:9], s[12:13]
; %bb.3006:
	s_mov_b32 s10, 0x7f800001
	s_xor_b64 s[4:5], exec, -1
; %bb.3007:
	s_or_b64 exec, exec, s[8:9]
	s_and_b64 s[4:5], s[4:5], exec
	s_or_saveexec_b64 s[6:7], s[6:7]
	v_mov_b32_e32 v6, s10
	s_xor_b64 exec, exec, s[6:7]
	s_cbranch_execz .LBB29_958
.LBB29_3008:
	v_mov_b32_e32 v6, 0
	v_cmp_ne_u16_sdwa s[8:9], v3, v6 src0_sel:BYTE_3 src1_sel:DWORD
	s_andn2_b64 s[4:5], s[4:5], exec
	s_and_b64 s[8:9], s[8:9], exec
	s_or_b64 s[4:5], s[4:5], s[8:9]
	s_or_b64 exec, exec, s[6:7]
	s_and_saveexec_b64 s[6:7], s[4:5]
	s_cbranch_execnz .LBB29_959
	s_branch .LBB29_960
.LBB29_3009:
	s_movk_i32 s4, 0x80
	v_cmp_eq_u16_sdwa s[12:13], v8, s4 src0_sel:BYTE_0 src1_sel:DWORD
	s_mov_b64 s[4:5], -1
                                        ; implicit-def: $sgpr10
	s_and_saveexec_b64 s[8:9], s[12:13]
; %bb.3010:
	s_mov_b32 s10, 0x7f800001
	s_xor_b64 s[4:5], exec, -1
; %bb.3011:
	s_or_b64 exec, exec, s[8:9]
	s_and_b64 s[4:5], s[4:5], exec
	s_or_saveexec_b64 s[6:7], s[6:7]
	v_mov_b32_e32 v2, s10
	s_xor_b64 exec, exec, s[6:7]
	s_cbranch_execz .LBB29_962
.LBB29_3012:
	v_mov_b32_e32 v2, 0
	v_cmp_ne_u16_sdwa s[8:9], v8, v2 src0_sel:BYTE_0 src1_sel:DWORD
	s_andn2_b64 s[4:5], s[4:5], exec
	s_and_b64 s[8:9], s[8:9], exec
	s_or_b64 s[4:5], s[4:5], s[8:9]
	s_or_b64 exec, exec, s[6:7]
	s_and_saveexec_b64 s[6:7], s[4:5]
	s_cbranch_execnz .LBB29_963
	s_branch .LBB29_964
.LBB29_3013:
	s_movk_i32 s4, 0x80
	v_cmp_eq_u16_sdwa s[12:13], v4, s4 src0_sel:BYTE_0 src1_sel:DWORD
	s_mov_b64 s[4:5], -1
                                        ; implicit-def: $sgpr10
	s_and_saveexec_b64 s[8:9], s[12:13]
; %bb.3014:
	s_mov_b32 s10, 0x7f800001
	s_xor_b64 s[4:5], exec, -1
; %bb.3015:
	s_or_b64 exec, exec, s[8:9]
	s_and_b64 s[4:5], s[4:5], exec
	s_or_saveexec_b64 s[6:7], s[6:7]
	v_mov_b32_e32 v3, s10
	s_xor_b64 exec, exec, s[6:7]
	s_cbranch_execz .LBB29_966
.LBB29_3016:
	v_mov_b32_e32 v3, 0
	v_cmp_ne_u16_sdwa s[8:9], v4, v3 src0_sel:BYTE_0 src1_sel:DWORD
	s_andn2_b64 s[4:5], s[4:5], exec
	s_and_b64 s[8:9], s[8:9], exec
	s_or_b64 s[4:5], s[4:5], s[8:9]
	s_or_b64 exec, exec, s[6:7]
	s_and_saveexec_b64 s[6:7], s[4:5]
	s_cbranch_execnz .LBB29_967
	s_branch .LBB29_968
.LBB29_3017:
	s_movk_i32 s4, 0x80
	v_cmp_eq_u16_sdwa s[12:13], v3, s4 src0_sel:BYTE_0 src1_sel:DWORD
	s_mov_b64 s[4:5], -1
                                        ; implicit-def: $sgpr10
	s_and_saveexec_b64 s[8:9], s[12:13]
; %bb.3018:
	s_mov_b32 s10, 0x7f800001
	s_xor_b64 s[4:5], exec, -1
; %bb.3019:
	s_or_b64 exec, exec, s[8:9]
	s_and_b64 s[4:5], s[4:5], exec
	s_or_saveexec_b64 s[6:7], s[6:7]
	v_mov_b32_e32 v2, s10
	s_xor_b64 exec, exec, s[6:7]
	s_cbranch_execz .LBB29_970
.LBB29_3020:
	v_mov_b32_e32 v2, 0
	v_cmp_ne_u16_sdwa s[8:9], v3, v2 src0_sel:BYTE_0 src1_sel:DWORD
	s_andn2_b64 s[4:5], s[4:5], exec
	s_and_b64 s[8:9], s[8:9], exec
	s_or_b64 s[4:5], s[4:5], s[8:9]
	s_or_b64 exec, exec, s[6:7]
	s_and_saveexec_b64 s[6:7], s[4:5]
	s_cbranch_execnz .LBB29_971
	s_branch .LBB29_972
.LBB29_3021:
	s_movk_i32 s4, 0x80
	v_cmp_eq_u16_sdwa s[12:13], v3, s4 src0_sel:BYTE_0 src1_sel:DWORD
	s_mov_b64 s[4:5], -1
                                        ; implicit-def: $sgpr10
	s_and_saveexec_b64 s[8:9], s[12:13]
; %bb.3022:
	s_mov_b32 s10, 0x7f800001
	s_xor_b64 s[4:5], exec, -1
; %bb.3023:
	s_or_b64 exec, exec, s[8:9]
	s_and_b64 s[4:5], s[4:5], exec
	s_or_saveexec_b64 s[6:7], s[6:7]
	v_mov_b32_e32 v6, s10
	s_xor_b64 exec, exec, s[6:7]
	s_cbranch_execz .LBB29_974
.LBB29_3024:
	v_mov_b32_e32 v6, 0
	v_cmp_ne_u16_sdwa s[8:9], v3, v6 src0_sel:BYTE_0 src1_sel:DWORD
	s_andn2_b64 s[4:5], s[4:5], exec
	s_and_b64 s[8:9], s[8:9], exec
	s_or_b64 s[4:5], s[4:5], s[8:9]
	s_or_b64 exec, exec, s[6:7]
	s_and_saveexec_b64 s[6:7], s[4:5]
	s_cbranch_execnz .LBB29_975
	s_branch .LBB29_976
.LBB29_3025:
	s_movk_i32 s4, 0x80
	v_cmp_eq_u16_e32 vcc, s4, v3
	s_mov_b64 s[4:5], -1
                                        ; implicit-def: $sgpr10
	s_and_saveexec_b64 s[8:9], vcc
; %bb.3026:
	s_mov_b32 s10, 0x7f800001
	s_xor_b64 s[4:5], exec, -1
; %bb.3027:
	s_or_b64 exec, exec, s[8:9]
	s_and_b64 s[4:5], s[4:5], exec
                                        ; implicit-def: $vgpr3
	s_or_saveexec_b64 s[6:7], s[6:7]
	v_mov_b32_e32 v2, s10
	s_xor_b64 exec, exec, s[6:7]
	s_cbranch_execz .LBB29_978
.LBB29_3028:
	v_cmp_ne_u16_e32 vcc, 0, v3
	s_andn2_b64 s[4:5], s[4:5], exec
	s_and_b64 s[8:9], vcc, exec
	v_mov_b32_e32 v2, 0
	s_or_b64 s[4:5], s[4:5], s[8:9]
	s_or_b64 exec, exec, s[6:7]
	s_and_saveexec_b64 s[6:7], s[4:5]
	s_cbranch_execnz .LBB29_979
	s_branch .LBB29_980
.LBB29_3029:
	s_movk_i32 s4, 0x80
	v_cmp_eq_u16_e32 vcc, s4, v3
	s_mov_b64 s[4:5], -1
                                        ; implicit-def: $sgpr10
	s_and_saveexec_b64 s[8:9], vcc
; %bb.3030:
	s_mov_b32 s10, 0x7f800001
	s_xor_b64 s[4:5], exec, -1
; %bb.3031:
	s_or_b64 exec, exec, s[8:9]
	s_and_b64 s[4:5], s[4:5], exec
                                        ; implicit-def: $vgpr3
	s_or_saveexec_b64 s[6:7], s[6:7]
	v_mov_b32_e32 v6, s10
	s_xor_b64 exec, exec, s[6:7]
	s_cbranch_execz .LBB29_982
.LBB29_3032:
	v_cmp_ne_u16_e32 vcc, 0, v3
	s_andn2_b64 s[4:5], s[4:5], exec
	s_and_b64 s[8:9], vcc, exec
	v_mov_b32_e32 v6, 0
	s_or_b64 s[4:5], s[4:5], s[8:9]
	s_or_b64 exec, exec, s[6:7]
	s_and_saveexec_b64 s[6:7], s[4:5]
	s_cbranch_execnz .LBB29_983
	s_branch .LBB29_984
.LBB29_3033:
	s_movk_i32 s4, 0x80
	v_cmp_eq_u16_sdwa s[12:13], v8, s4 src0_sel:BYTE_3 src1_sel:DWORD
	s_mov_b64 s[4:5], -1
                                        ; implicit-def: $sgpr10
	s_and_saveexec_b64 s[8:9], s[12:13]
; %bb.3034:
	s_mov_b32 s10, 0x7f800001
	s_xor_b64 s[4:5], exec, -1
; %bb.3035:
	s_or_b64 exec, exec, s[8:9]
	s_and_b64 s[4:5], s[4:5], exec
	s_or_saveexec_b64 s[6:7], s[6:7]
	v_mov_b32_e32 v2, s10
	s_xor_b64 exec, exec, s[6:7]
	s_cbranch_execz .LBB29_986
.LBB29_3036:
	v_mov_b32_e32 v2, 0
	v_cmp_ne_u16_sdwa s[8:9], v8, v2 src0_sel:BYTE_3 src1_sel:DWORD
	s_andn2_b64 s[4:5], s[4:5], exec
	s_and_b64 s[8:9], s[8:9], exec
	s_or_b64 s[4:5], s[4:5], s[8:9]
	s_or_b64 exec, exec, s[6:7]
	s_and_saveexec_b64 s[6:7], s[4:5]
	s_cbranch_execnz .LBB29_987
	s_branch .LBB29_988
.LBB29_3037:
	s_movk_i32 s4, 0x80
	v_cmp_eq_u16_sdwa s[12:13], v4, s4 src0_sel:BYTE_3 src1_sel:DWORD
	s_mov_b64 s[4:5], -1
                                        ; implicit-def: $sgpr10
	s_and_saveexec_b64 s[8:9], s[12:13]
; %bb.3038:
	s_mov_b32 s10, 0x7f800001
	s_xor_b64 s[4:5], exec, -1
; %bb.3039:
	s_or_b64 exec, exec, s[8:9]
	s_and_b64 s[4:5], s[4:5], exec
	s_or_saveexec_b64 s[6:7], s[6:7]
	v_mov_b32_e32 v3, s10
	s_xor_b64 exec, exec, s[6:7]
	s_cbranch_execz .LBB29_990
.LBB29_3040:
	v_mov_b32_e32 v3, 0
	v_cmp_ne_u16_sdwa s[8:9], v4, v3 src0_sel:BYTE_3 src1_sel:DWORD
	s_andn2_b64 s[4:5], s[4:5], exec
	s_and_b64 s[8:9], s[8:9], exec
	s_or_b64 s[4:5], s[4:5], s[8:9]
	s_or_b64 exec, exec, s[6:7]
	s_and_saveexec_b64 s[6:7], s[4:5]
	s_cbranch_execnz .LBB29_991
	s_branch .LBB29_992
.LBB29_3041:
	s_movk_i32 s4, 0x80
	v_cmp_eq_u16_sdwa s[12:13], v9, s4 src0_sel:BYTE_0 src1_sel:DWORD
	s_mov_b64 s[4:5], -1
                                        ; implicit-def: $sgpr10
	s_and_saveexec_b64 s[8:9], s[12:13]
; %bb.3042:
	s_mov_b32 s10, 0x7f800001
	s_xor_b64 s[4:5], exec, -1
; %bb.3043:
	s_or_b64 exec, exec, s[8:9]
	s_and_b64 s[4:5], s[4:5], exec
	s_or_saveexec_b64 s[6:7], s[6:7]
	v_mov_b32_e32 v2, s10
	s_xor_b64 exec, exec, s[6:7]
	s_cbranch_execz .LBB29_994
.LBB29_3044:
	v_mov_b32_e32 v2, 0
	v_cmp_ne_u16_sdwa s[8:9], v9, v2 src0_sel:BYTE_0 src1_sel:DWORD
	s_andn2_b64 s[4:5], s[4:5], exec
	s_and_b64 s[8:9], s[8:9], exec
	s_or_b64 s[4:5], s[4:5], s[8:9]
	s_or_b64 exec, exec, s[6:7]
	s_and_saveexec_b64 s[6:7], s[4:5]
	s_cbranch_execnz .LBB29_995
	s_branch .LBB29_996
.LBB29_3045:
	s_movk_i32 s4, 0x80
	v_cmp_eq_u16_sdwa s[12:13], v5, s4 src0_sel:BYTE_0 src1_sel:DWORD
	s_mov_b64 s[4:5], -1
                                        ; implicit-def: $sgpr10
	s_and_saveexec_b64 s[8:9], s[12:13]
; %bb.3046:
	s_mov_b32 s10, 0x7f800001
	s_xor_b64 s[4:5], exec, -1
; %bb.3047:
	s_or_b64 exec, exec, s[8:9]
	s_and_b64 s[4:5], s[4:5], exec
	s_or_saveexec_b64 s[6:7], s[6:7]
	v_mov_b32_e32 v3, s10
	s_xor_b64 exec, exec, s[6:7]
	s_cbranch_execz .LBB29_998
.LBB29_3048:
	v_mov_b32_e32 v3, 0
	v_cmp_ne_u16_sdwa s[8:9], v5, v3 src0_sel:BYTE_0 src1_sel:DWORD
	s_andn2_b64 s[4:5], s[4:5], exec
	s_and_b64 s[8:9], s[8:9], exec
	s_or_b64 s[4:5], s[4:5], s[8:9]
	s_or_b64 exec, exec, s[6:7]
	s_and_saveexec_b64 s[6:7], s[4:5]
	s_cbranch_execnz .LBB29_999
	s_branch .LBB29_1000
.LBB29_3049:
	s_movk_i32 s4, 0x80
	v_cmp_eq_u16_sdwa s[12:13], v3, s4 src0_sel:BYTE_0 src1_sel:DWORD
	s_mov_b64 s[4:5], -1
                                        ; implicit-def: $sgpr10
	s_and_saveexec_b64 s[8:9], s[12:13]
; %bb.3050:
	s_mov_b32 s10, 0x7f800001
	s_xor_b64 s[4:5], exec, -1
; %bb.3051:
	s_or_b64 exec, exec, s[8:9]
	s_and_b64 s[4:5], s[4:5], exec
	s_or_saveexec_b64 s[6:7], s[6:7]
	v_mov_b32_e32 v2, s10
	s_xor_b64 exec, exec, s[6:7]
	s_cbranch_execz .LBB29_1002
.LBB29_3052:
	v_mov_b32_e32 v2, 0
	v_cmp_ne_u16_sdwa s[8:9], v3, v2 src0_sel:BYTE_0 src1_sel:DWORD
	s_andn2_b64 s[4:5], s[4:5], exec
	s_and_b64 s[8:9], s[8:9], exec
	s_or_b64 s[4:5], s[4:5], s[8:9]
	s_or_b64 exec, exec, s[6:7]
	s_and_saveexec_b64 s[6:7], s[4:5]
	s_cbranch_execnz .LBB29_1003
	s_branch .LBB29_1004
.LBB29_3053:
	s_movk_i32 s4, 0x80
	v_cmp_eq_u16_sdwa s[12:13], v3, s4 src0_sel:BYTE_0 src1_sel:DWORD
	s_mov_b64 s[4:5], -1
                                        ; implicit-def: $sgpr10
	s_and_saveexec_b64 s[8:9], s[12:13]
; %bb.3054:
	s_mov_b32 s10, 0x7f800001
	s_xor_b64 s[4:5], exec, -1
; %bb.3055:
	s_or_b64 exec, exec, s[8:9]
	s_and_b64 s[4:5], s[4:5], exec
	s_or_saveexec_b64 s[6:7], s[6:7]
	v_mov_b32_e32 v4, s10
	s_xor_b64 exec, exec, s[6:7]
	s_cbranch_execz .LBB29_1006
.LBB29_3056:
	v_mov_b32_e32 v4, 0
	v_cmp_ne_u16_sdwa s[8:9], v3, v4 src0_sel:BYTE_0 src1_sel:DWORD
	s_andn2_b64 s[4:5], s[4:5], exec
	s_and_b64 s[8:9], s[8:9], exec
	s_or_b64 s[4:5], s[4:5], s[8:9]
	s_or_b64 exec, exec, s[6:7]
	s_and_saveexec_b64 s[6:7], s[4:5]
	s_cbranch_execnz .LBB29_1007
	s_branch .LBB29_1008
.LBB29_3057:
	s_movk_i32 s4, 0x80
	v_cmp_eq_u16_e32 vcc, s4, v3
	s_mov_b64 s[4:5], -1
                                        ; implicit-def: $sgpr10
	s_and_saveexec_b64 s[8:9], vcc
; %bb.3058:
	s_mov_b32 s10, 0x7f800001
	s_xor_b64 s[4:5], exec, -1
; %bb.3059:
	s_or_b64 exec, exec, s[8:9]
	s_and_b64 s[4:5], s[4:5], exec
                                        ; implicit-def: $vgpr3
	s_or_saveexec_b64 s[6:7], s[6:7]
	v_mov_b32_e32 v2, s10
	s_xor_b64 exec, exec, s[6:7]
	s_cbranch_execz .LBB29_1010
.LBB29_3060:
	v_cmp_ne_u16_e32 vcc, 0, v3
	s_andn2_b64 s[4:5], s[4:5], exec
	s_and_b64 s[8:9], vcc, exec
	v_mov_b32_e32 v2, 0
	s_or_b64 s[4:5], s[4:5], s[8:9]
	s_or_b64 exec, exec, s[6:7]
	s_and_saveexec_b64 s[6:7], s[4:5]
	s_cbranch_execnz .LBB29_1011
	s_branch .LBB29_1012
.LBB29_3061:
	s_movk_i32 s4, 0x80
	v_cmp_eq_u16_e32 vcc, s4, v3
	s_mov_b64 s[4:5], -1
                                        ; implicit-def: $sgpr10
	s_and_saveexec_b64 s[8:9], vcc
; %bb.3062:
	s_mov_b32 s10, 0x7f800001
	s_xor_b64 s[4:5], exec, -1
; %bb.3063:
	s_or_b64 exec, exec, s[8:9]
	s_and_b64 s[4:5], s[4:5], exec
                                        ; implicit-def: $vgpr3
	s_or_saveexec_b64 s[6:7], s[6:7]
	v_mov_b32_e32 v4, s10
	s_xor_b64 exec, exec, s[6:7]
	s_cbranch_execz .LBB29_1014
.LBB29_3064:
	v_cmp_ne_u16_e32 vcc, 0, v3
	s_andn2_b64 s[4:5], s[4:5], exec
	s_and_b64 s[8:9], vcc, exec
	v_mov_b32_e32 v4, 0
	s_or_b64 s[4:5], s[4:5], s[8:9]
	s_or_b64 exec, exec, s[6:7]
	s_and_saveexec_b64 s[6:7], s[4:5]
	s_cbranch_execnz .LBB29_1015
	s_branch .LBB29_1016
.LBB29_3065:
	s_movk_i32 s4, 0x80
	v_cmp_eq_u16_sdwa s[12:13], v9, s4 src0_sel:BYTE_3 src1_sel:DWORD
	s_mov_b64 s[4:5], -1
                                        ; implicit-def: $sgpr10
	s_and_saveexec_b64 s[8:9], s[12:13]
; %bb.3066:
	s_mov_b32 s10, 0x7f800001
	s_xor_b64 s[4:5], exec, -1
; %bb.3067:
	s_or_b64 exec, exec, s[8:9]
	s_and_b64 s[4:5], s[4:5], exec
	s_or_saveexec_b64 s[6:7], s[6:7]
	v_mov_b32_e32 v2, s10
	s_xor_b64 exec, exec, s[6:7]
	s_cbranch_execz .LBB29_1018
.LBB29_3068:
	v_mov_b32_e32 v2, 0
	v_cmp_ne_u16_sdwa s[8:9], v9, v2 src0_sel:BYTE_3 src1_sel:DWORD
	s_andn2_b64 s[4:5], s[4:5], exec
	s_and_b64 s[8:9], s[8:9], exec
	s_or_b64 s[4:5], s[4:5], s[8:9]
	s_or_b64 exec, exec, s[6:7]
	s_and_saveexec_b64 s[6:7], s[4:5]
	s_cbranch_execnz .LBB29_1019
	s_branch .LBB29_1020
.LBB29_3069:
	s_movk_i32 s4, 0x80
	v_cmp_eq_u16_sdwa s[12:13], v5, s4 src0_sel:BYTE_3 src1_sel:DWORD
	s_mov_b64 s[4:5], -1
                                        ; implicit-def: $sgpr10
	s_and_saveexec_b64 s[8:9], s[12:13]
; %bb.3070:
	s_mov_b32 s10, 0x7f800001
	s_xor_b64 s[4:5], exec, -1
; %bb.3071:
	s_or_b64 exec, exec, s[8:9]
	s_and_b64 s[4:5], s[4:5], exec
	s_or_saveexec_b64 s[6:7], s[6:7]
	v_mov_b32_e32 v3, s10
	s_xor_b64 exec, exec, s[6:7]
	s_cbranch_execz .LBB29_1022
.LBB29_3072:
	v_mov_b32_e32 v3, 0
	v_cmp_ne_u16_sdwa s[8:9], v5, v3 src0_sel:BYTE_3 src1_sel:DWORD
	s_andn2_b64 s[4:5], s[4:5], exec
	s_and_b64 s[8:9], s[8:9], exec
	s_or_b64 s[4:5], s[4:5], s[8:9]
	s_or_b64 exec, exec, s[6:7]
	s_and_saveexec_b64 s[6:7], s[4:5]
	s_cbranch_execnz .LBB29_1023
	s_branch .LBB29_1024
.LBB29_3073:
	s_movk_i32 s4, 0x80
	v_cmp_eq_u16_sdwa s[12:13], v14, s4 src0_sel:BYTE_0 src1_sel:DWORD
	s_mov_b64 s[4:5], -1
                                        ; implicit-def: $sgpr10
	s_and_saveexec_b64 s[8:9], s[12:13]
; %bb.3074:
	s_mov_b32 s10, 0x7f800001
	s_xor_b64 s[4:5], exec, -1
; %bb.3075:
	s_or_b64 exec, exec, s[8:9]
	s_and_b64 s[4:5], s[4:5], exec
	s_or_saveexec_b64 s[6:7], s[6:7]
	v_mov_b32_e32 v20, s10
	s_xor_b64 exec, exec, s[6:7]
	s_cbranch_execz .LBB29_1026
.LBB29_3076:
	v_mov_b32_e32 v20, 0
	v_cmp_ne_u16_sdwa s[8:9], v14, v20 src0_sel:BYTE_0 src1_sel:DWORD
	s_andn2_b64 s[4:5], s[4:5], exec
	s_and_b64 s[8:9], s[8:9], exec
	s_or_b64 s[4:5], s[4:5], s[8:9]
	s_or_b64 exec, exec, s[6:7]
	s_and_saveexec_b64 s[6:7], s[4:5]
	s_cbranch_execnz .LBB29_1027
	s_branch .LBB29_1028
.LBB29_3077:
	s_movk_i32 s4, 0x80
	v_cmp_eq_u16_sdwa s[12:13], v10, s4 src0_sel:BYTE_0 src1_sel:DWORD
	s_mov_b64 s[4:5], -1
                                        ; implicit-def: $sgpr10
	s_and_saveexec_b64 s[8:9], s[12:13]
; %bb.3078:
	s_mov_b32 s10, 0x7f800001
	s_xor_b64 s[4:5], exec, -1
; %bb.3079:
	s_or_b64 exec, exec, s[8:9]
	s_and_b64 s[4:5], s[4:5], exec
	s_or_saveexec_b64 s[6:7], s[6:7]
	v_mov_b32_e32 v21, s10
	s_xor_b64 exec, exec, s[6:7]
	s_cbranch_execz .LBB29_1030
.LBB29_3080:
	v_mov_b32_e32 v21, 0
	v_cmp_ne_u16_sdwa s[8:9], v10, v21 src0_sel:BYTE_0 src1_sel:DWORD
	s_andn2_b64 s[4:5], s[4:5], exec
	s_and_b64 s[8:9], s[8:9], exec
	s_or_b64 s[4:5], s[4:5], s[8:9]
	s_or_b64 exec, exec, s[6:7]
	s_and_saveexec_b64 s[6:7], s[4:5]
	s_cbranch_execnz .LBB29_1031
	s_branch .LBB29_1032
.LBB29_3081:
	s_movk_i32 s4, 0x80
	v_cmp_eq_u16_sdwa s[12:13], v21, s4 src0_sel:BYTE_0 src1_sel:DWORD
	s_mov_b64 s[4:5], -1
                                        ; implicit-def: $sgpr10
	s_and_saveexec_b64 s[8:9], s[12:13]
; %bb.3082:
	s_mov_b32 s10, 0x7f800001
	s_xor_b64 s[4:5], exec, -1
; %bb.3083:
	s_or_b64 exec, exec, s[8:9]
	s_and_b64 s[4:5], s[4:5], exec
	s_or_saveexec_b64 s[6:7], s[6:7]
	v_mov_b32_e32 v20, s10
	s_xor_b64 exec, exec, s[6:7]
	s_cbranch_execz .LBB29_1034
.LBB29_3084:
	v_mov_b32_e32 v20, 0
	v_cmp_ne_u16_sdwa s[8:9], v21, v20 src0_sel:BYTE_0 src1_sel:DWORD
	s_andn2_b64 s[4:5], s[4:5], exec
	s_and_b64 s[8:9], s[8:9], exec
	s_or_b64 s[4:5], s[4:5], s[8:9]
	s_or_b64 exec, exec, s[6:7]
	s_and_saveexec_b64 s[6:7], s[4:5]
	s_cbranch_execnz .LBB29_1035
	s_branch .LBB29_1036
.LBB29_3085:
	s_movk_i32 s4, 0x80
	v_cmp_eq_u16_sdwa s[12:13], v21, s4 src0_sel:BYTE_0 src1_sel:DWORD
	s_mov_b64 s[4:5], -1
                                        ; implicit-def: $sgpr10
	s_and_saveexec_b64 s[8:9], s[12:13]
; %bb.3086:
	s_mov_b32 s10, 0x7f800001
	s_xor_b64 s[4:5], exec, -1
; %bb.3087:
	s_or_b64 exec, exec, s[8:9]
	s_and_b64 s[4:5], s[4:5], exec
	s_or_saveexec_b64 s[6:7], s[6:7]
	v_mov_b32_e32 v22, s10
	s_xor_b64 exec, exec, s[6:7]
	s_cbranch_execz .LBB29_1038
.LBB29_3088:
	v_mov_b32_e32 v22, 0
	v_cmp_ne_u16_sdwa s[8:9], v21, v22 src0_sel:BYTE_0 src1_sel:DWORD
	s_andn2_b64 s[4:5], s[4:5], exec
	s_and_b64 s[8:9], s[8:9], exec
	s_or_b64 s[4:5], s[4:5], s[8:9]
	s_or_b64 exec, exec, s[6:7]
	s_and_saveexec_b64 s[6:7], s[4:5]
	s_cbranch_execnz .LBB29_1039
	s_branch .LBB29_1040
.LBB29_3089:
	s_movk_i32 s4, 0x80
	v_cmp_eq_u16_e32 vcc, s4, v21
	s_mov_b64 s[4:5], -1
                                        ; implicit-def: $sgpr10
	s_and_saveexec_b64 s[8:9], vcc
; %bb.3090:
	s_mov_b32 s10, 0x7f800001
	s_xor_b64 s[4:5], exec, -1
; %bb.3091:
	s_or_b64 exec, exec, s[8:9]
	s_and_b64 s[4:5], s[4:5], exec
                                        ; implicit-def: $vgpr21
	s_or_saveexec_b64 s[6:7], s[6:7]
	v_mov_b32_e32 v20, s10
	s_xor_b64 exec, exec, s[6:7]
	s_cbranch_execz .LBB29_1042
.LBB29_3092:
	v_cmp_ne_u16_e32 vcc, 0, v21
	s_andn2_b64 s[4:5], s[4:5], exec
	s_and_b64 s[8:9], vcc, exec
	v_mov_b32_e32 v20, 0
	s_or_b64 s[4:5], s[4:5], s[8:9]
	s_or_b64 exec, exec, s[6:7]
	s_and_saveexec_b64 s[6:7], s[4:5]
	s_cbranch_execnz .LBB29_1043
	s_branch .LBB29_1044
.LBB29_3093:
	s_movk_i32 s4, 0x80
	v_cmp_eq_u16_e32 vcc, s4, v21
	s_mov_b64 s[4:5], -1
                                        ; implicit-def: $sgpr10
	s_and_saveexec_b64 s[8:9], vcc
; %bb.3094:
	s_mov_b32 s10, 0x7f800001
	s_xor_b64 s[4:5], exec, -1
; %bb.3095:
	s_or_b64 exec, exec, s[8:9]
	s_and_b64 s[4:5], s[4:5], exec
                                        ; implicit-def: $vgpr21
	s_or_saveexec_b64 s[6:7], s[6:7]
	v_mov_b32_e32 v22, s10
	s_xor_b64 exec, exec, s[6:7]
	s_cbranch_execz .LBB29_1046
.LBB29_3096:
	v_cmp_ne_u16_e32 vcc, 0, v21
	s_andn2_b64 s[4:5], s[4:5], exec
	s_and_b64 s[8:9], vcc, exec
	v_mov_b32_e32 v22, 0
	s_or_b64 s[4:5], s[4:5], s[8:9]
	s_or_b64 exec, exec, s[6:7]
	s_and_saveexec_b64 s[6:7], s[4:5]
	s_cbranch_execnz .LBB29_1047
	s_branch .LBB29_1048
.LBB29_3097:
	s_movk_i32 s4, 0x80
	v_cmp_eq_u16_sdwa s[12:13], v14, s4 src0_sel:BYTE_3 src1_sel:DWORD
	s_mov_b64 s[4:5], -1
                                        ; implicit-def: $sgpr10
	s_and_saveexec_b64 s[8:9], s[12:13]
; %bb.3098:
	s_mov_b32 s10, 0x7f800001
	s_xor_b64 s[4:5], exec, -1
; %bb.3099:
	s_or_b64 exec, exec, s[8:9]
	s_and_b64 s[4:5], s[4:5], exec
	s_or_saveexec_b64 s[6:7], s[6:7]
	v_mov_b32_e32 v20, s10
	s_xor_b64 exec, exec, s[6:7]
	s_cbranch_execz .LBB29_1050
.LBB29_3100:
	v_mov_b32_e32 v20, 0
	v_cmp_ne_u16_sdwa s[8:9], v14, v20 src0_sel:BYTE_3 src1_sel:DWORD
	s_andn2_b64 s[4:5], s[4:5], exec
	s_and_b64 s[8:9], s[8:9], exec
	s_or_b64 s[4:5], s[4:5], s[8:9]
	s_or_b64 exec, exec, s[6:7]
	s_and_saveexec_b64 s[6:7], s[4:5]
	s_cbranch_execnz .LBB29_1051
	s_branch .LBB29_1052
.LBB29_3101:
	s_movk_i32 s4, 0x80
	v_cmp_eq_u16_sdwa s[12:13], v10, s4 src0_sel:BYTE_3 src1_sel:DWORD
	s_mov_b64 s[4:5], -1
                                        ; implicit-def: $sgpr10
	s_and_saveexec_b64 s[8:9], s[12:13]
; %bb.3102:
	s_mov_b32 s10, 0x7f800001
	s_xor_b64 s[4:5], exec, -1
; %bb.3103:
	s_or_b64 exec, exec, s[8:9]
	s_and_b64 s[4:5], s[4:5], exec
	s_or_saveexec_b64 s[6:7], s[6:7]
	v_mov_b32_e32 v14, s10
	s_xor_b64 exec, exec, s[6:7]
	s_cbranch_execz .LBB29_1054
.LBB29_3104:
	v_mov_b32_e32 v14, 0
	v_cmp_ne_u16_sdwa s[8:9], v10, v14 src0_sel:BYTE_3 src1_sel:DWORD
	s_andn2_b64 s[4:5], s[4:5], exec
	s_and_b64 s[8:9], s[8:9], exec
	s_or_b64 s[4:5], s[4:5], s[8:9]
	s_or_b64 exec, exec, s[6:7]
	s_and_saveexec_b64 s[6:7], s[4:5]
	s_cbranch_execnz .LBB29_1055
	s_branch .LBB29_1056
.LBB29_3105:
	s_movk_i32 s4, 0x80
	v_cmp_eq_u16_sdwa s[12:13], v15, s4 src0_sel:BYTE_0 src1_sel:DWORD
	s_mov_b64 s[4:5], -1
                                        ; implicit-def: $sgpr10
	s_and_saveexec_b64 s[8:9], s[12:13]
; %bb.3106:
	s_mov_b32 s10, 0x7f800001
	s_xor_b64 s[4:5], exec, -1
; %bb.3107:
	s_or_b64 exec, exec, s[8:9]
	s_and_b64 s[4:5], s[4:5], exec
	s_or_saveexec_b64 s[6:7], s[6:7]
	v_mov_b32_e32 v10, s10
	s_xor_b64 exec, exec, s[6:7]
	s_cbranch_execz .LBB29_1058
.LBB29_3108:
	v_mov_b32_e32 v10, 0
	v_cmp_ne_u16_sdwa s[8:9], v15, v10 src0_sel:BYTE_0 src1_sel:DWORD
	s_andn2_b64 s[4:5], s[4:5], exec
	s_and_b64 s[8:9], s[8:9], exec
	s_or_b64 s[4:5], s[4:5], s[8:9]
	s_or_b64 exec, exec, s[6:7]
	s_and_saveexec_b64 s[6:7], s[4:5]
	s_cbranch_execnz .LBB29_1059
	s_branch .LBB29_1060
.LBB29_3109:
	s_movk_i32 s4, 0x80
	v_cmp_eq_u16_sdwa s[12:13], v11, s4 src0_sel:BYTE_0 src1_sel:DWORD
	s_mov_b64 s[4:5], -1
                                        ; implicit-def: $sgpr10
	s_and_saveexec_b64 s[8:9], s[12:13]
; %bb.3110:
	s_mov_b32 s10, 0x7f800001
	s_xor_b64 s[4:5], exec, -1
; %bb.3111:
	s_or_b64 exec, exec, s[8:9]
	s_and_b64 s[4:5], s[4:5], exec
	s_or_saveexec_b64 s[6:7], s[6:7]
	v_mov_b32_e32 v14, s10
	s_xor_b64 exec, exec, s[6:7]
	s_cbranch_execz .LBB29_1062
.LBB29_3112:
	v_mov_b32_e32 v14, 0
	v_cmp_ne_u16_sdwa s[8:9], v11, v14 src0_sel:BYTE_0 src1_sel:DWORD
	s_andn2_b64 s[4:5], s[4:5], exec
	s_and_b64 s[8:9], s[8:9], exec
	s_or_b64 s[4:5], s[4:5], s[8:9]
	s_or_b64 exec, exec, s[6:7]
	s_and_saveexec_b64 s[6:7], s[4:5]
	s_cbranch_execnz .LBB29_1063
	s_branch .LBB29_1064
.LBB29_3113:
	s_movk_i32 s4, 0x80
	v_cmp_eq_u16_sdwa s[12:13], v14, s4 src0_sel:BYTE_0 src1_sel:DWORD
	s_mov_b64 s[4:5], -1
                                        ; implicit-def: $sgpr10
	s_and_saveexec_b64 s[8:9], s[12:13]
; %bb.3114:
	s_mov_b32 s10, 0x7f800001
	s_xor_b64 s[4:5], exec, -1
; %bb.3115:
	s_or_b64 exec, exec, s[8:9]
	s_and_b64 s[4:5], s[4:5], exec
	s_or_saveexec_b64 s[6:7], s[6:7]
	v_mov_b32_e32 v10, s10
	s_xor_b64 exec, exec, s[6:7]
	s_cbranch_execz .LBB29_1066
.LBB29_3116:
	v_mov_b32_e32 v10, 0
	v_cmp_ne_u16_sdwa s[8:9], v14, v10 src0_sel:BYTE_0 src1_sel:DWORD
	s_andn2_b64 s[4:5], s[4:5], exec
	s_and_b64 s[8:9], s[8:9], exec
	s_or_b64 s[4:5], s[4:5], s[8:9]
	s_or_b64 exec, exec, s[6:7]
	s_and_saveexec_b64 s[6:7], s[4:5]
	s_cbranch_execnz .LBB29_1067
	s_branch .LBB29_1068
.LBB29_3117:
	s_movk_i32 s4, 0x80
	v_cmp_eq_u16_sdwa s[12:13], v14, s4 src0_sel:BYTE_0 src1_sel:DWORD
	s_mov_b64 s[4:5], -1
                                        ; implicit-def: $sgpr10
	s_and_saveexec_b64 s[8:9], s[12:13]
; %bb.3118:
	s_mov_b32 s10, 0x7f800001
	s_xor_b64 s[4:5], exec, -1
; %bb.3119:
	s_or_b64 exec, exec, s[8:9]
	s_and_b64 s[4:5], s[4:5], exec
	s_or_saveexec_b64 s[6:7], s[6:7]
	v_mov_b32_e32 v20, s10
	s_xor_b64 exec, exec, s[6:7]
	s_cbranch_execz .LBB29_1070
.LBB29_3120:
	v_mov_b32_e32 v20, 0
	v_cmp_ne_u16_sdwa s[8:9], v14, v20 src0_sel:BYTE_0 src1_sel:DWORD
	s_andn2_b64 s[4:5], s[4:5], exec
	s_and_b64 s[8:9], s[8:9], exec
	s_or_b64 s[4:5], s[4:5], s[8:9]
	s_or_b64 exec, exec, s[6:7]
	s_and_saveexec_b64 s[6:7], s[4:5]
	s_cbranch_execnz .LBB29_1071
	s_branch .LBB29_1072
.LBB29_3121:
	s_movk_i32 s4, 0x80
	v_cmp_eq_u16_e32 vcc, s4, v14
	s_mov_b64 s[4:5], -1
                                        ; implicit-def: $sgpr10
	s_and_saveexec_b64 s[8:9], vcc
; %bb.3122:
	s_mov_b32 s10, 0x7f800001
	s_xor_b64 s[4:5], exec, -1
; %bb.3123:
	s_or_b64 exec, exec, s[8:9]
	s_and_b64 s[4:5], s[4:5], exec
                                        ; implicit-def: $vgpr14
	s_or_saveexec_b64 s[6:7], s[6:7]
	v_mov_b32_e32 v10, s10
	s_xor_b64 exec, exec, s[6:7]
	s_cbranch_execz .LBB29_1074
.LBB29_3124:
	v_cmp_ne_u16_e32 vcc, 0, v14
	s_andn2_b64 s[4:5], s[4:5], exec
	s_and_b64 s[8:9], vcc, exec
	v_mov_b32_e32 v10, 0
	s_or_b64 s[4:5], s[4:5], s[8:9]
	s_or_b64 exec, exec, s[6:7]
	s_and_saveexec_b64 s[6:7], s[4:5]
	s_cbranch_execnz .LBB29_1075
	s_branch .LBB29_1076
.LBB29_3125:
	s_movk_i32 s4, 0x80
	v_cmp_eq_u16_e32 vcc, s4, v14
	s_mov_b64 s[4:5], -1
                                        ; implicit-def: $sgpr10
	s_and_saveexec_b64 s[8:9], vcc
; %bb.3126:
	s_mov_b32 s10, 0x7f800001
	s_xor_b64 s[4:5], exec, -1
; %bb.3127:
	s_or_b64 exec, exec, s[8:9]
	s_and_b64 s[4:5], s[4:5], exec
                                        ; implicit-def: $vgpr14
	s_or_saveexec_b64 s[6:7], s[6:7]
	v_mov_b32_e32 v20, s10
	s_xor_b64 exec, exec, s[6:7]
	s_cbranch_execz .LBB29_1078
.LBB29_3128:
	v_cmp_ne_u16_e32 vcc, 0, v14
	s_andn2_b64 s[4:5], s[4:5], exec
	s_and_b64 s[8:9], vcc, exec
	v_mov_b32_e32 v20, 0
	s_or_b64 s[4:5], s[4:5], s[8:9]
	s_or_b64 exec, exec, s[6:7]
	s_and_saveexec_b64 s[6:7], s[4:5]
	s_cbranch_execnz .LBB29_1079
	s_branch .LBB29_1080
.LBB29_3129:
	s_movk_i32 s4, 0x80
	v_cmp_eq_u16_sdwa s[12:13], v15, s4 src0_sel:BYTE_3 src1_sel:DWORD
	s_mov_b64 s[4:5], -1
                                        ; implicit-def: $sgpr10
	s_and_saveexec_b64 s[8:9], s[12:13]
; %bb.3130:
	s_mov_b32 s10, 0x7f800001
	s_xor_b64 s[4:5], exec, -1
; %bb.3131:
	s_or_b64 exec, exec, s[8:9]
	s_and_b64 s[4:5], s[4:5], exec
	s_or_saveexec_b64 s[6:7], s[6:7]
	v_mov_b32_e32 v10, s10
	s_xor_b64 exec, exec, s[6:7]
	s_cbranch_execz .LBB29_1082
.LBB29_3132:
	v_mov_b32_e32 v10, 0
	v_cmp_ne_u16_sdwa s[8:9], v15, v10 src0_sel:BYTE_3 src1_sel:DWORD
	s_andn2_b64 s[4:5], s[4:5], exec
	s_and_b64 s[8:9], s[8:9], exec
	s_or_b64 s[4:5], s[4:5], s[8:9]
	s_or_b64 exec, exec, s[6:7]
	s_and_saveexec_b64 s[6:7], s[4:5]
	s_cbranch_execnz .LBB29_1083
	s_branch .LBB29_1084
.LBB29_3133:
	s_movk_i32 s4, 0x80
	v_cmp_eq_u16_sdwa s[12:13], v11, s4 src0_sel:BYTE_3 src1_sel:DWORD
	s_mov_b64 s[4:5], -1
                                        ; implicit-def: $sgpr10
	s_and_saveexec_b64 s[8:9], s[12:13]
; %bb.3134:
	s_mov_b32 s10, 0x7f800001
	s_xor_b64 s[4:5], exec, -1
; %bb.3135:
	s_or_b64 exec, exec, s[8:9]
	s_and_b64 s[4:5], s[4:5], exec
	s_or_saveexec_b64 s[6:7], s[6:7]
	v_mov_b32_e32 v14, s10
	s_xor_b64 exec, exec, s[6:7]
	s_cbranch_execz .LBB29_1086
.LBB29_3136:
	v_mov_b32_e32 v14, 0
	v_cmp_ne_u16_sdwa s[8:9], v11, v14 src0_sel:BYTE_3 src1_sel:DWORD
	s_andn2_b64 s[4:5], s[4:5], exec
	s_and_b64 s[8:9], s[8:9], exec
	s_or_b64 s[4:5], s[4:5], s[8:9]
	s_or_b64 exec, exec, s[6:7]
	s_and_saveexec_b64 s[6:7], s[4:5]
	s_cbranch_execnz .LBB29_1087
	s_branch .LBB29_1088
.LBB29_3137:
	s_movk_i32 s4, 0x80
	v_cmp_eq_u16_sdwa s[12:13], v16, s4 src0_sel:BYTE_0 src1_sel:DWORD
	s_mov_b64 s[4:5], -1
                                        ; implicit-def: $sgpr10
	s_and_saveexec_b64 s[8:9], s[12:13]
; %bb.3138:
	s_mov_b32 s10, 0x7f800001
	s_xor_b64 s[4:5], exec, -1
; %bb.3139:
	s_or_b64 exec, exec, s[8:9]
	s_and_b64 s[4:5], s[4:5], exec
	s_or_saveexec_b64 s[6:7], s[6:7]
	v_mov_b32_e32 v10, s10
	s_xor_b64 exec, exec, s[6:7]
	s_cbranch_execz .LBB29_1090
.LBB29_3140:
	v_mov_b32_e32 v10, 0
	v_cmp_ne_u16_sdwa s[8:9], v16, v10 src0_sel:BYTE_0 src1_sel:DWORD
	s_andn2_b64 s[4:5], s[4:5], exec
	s_and_b64 s[8:9], s[8:9], exec
	s_or_b64 s[4:5], s[4:5], s[8:9]
	s_or_b64 exec, exec, s[6:7]
	s_and_saveexec_b64 s[6:7], s[4:5]
	s_cbranch_execnz .LBB29_1091
	s_branch .LBB29_1092
.LBB29_3141:
	s_movk_i32 s4, 0x80
	v_cmp_eq_u16_sdwa s[12:13], v12, s4 src0_sel:BYTE_0 src1_sel:DWORD
	s_mov_b64 s[4:5], -1
                                        ; implicit-def: $sgpr10
	s_and_saveexec_b64 s[8:9], s[12:13]
; %bb.3142:
	s_mov_b32 s10, 0x7f800001
	s_xor_b64 s[4:5], exec, -1
; %bb.3143:
	s_or_b64 exec, exec, s[8:9]
	s_and_b64 s[4:5], s[4:5], exec
	s_or_saveexec_b64 s[6:7], s[6:7]
	v_mov_b32_e32 v11, s10
	s_xor_b64 exec, exec, s[6:7]
	s_cbranch_execz .LBB29_1094
.LBB29_3144:
	v_mov_b32_e32 v11, 0
	v_cmp_ne_u16_sdwa s[8:9], v12, v11 src0_sel:BYTE_0 src1_sel:DWORD
	s_andn2_b64 s[4:5], s[4:5], exec
	s_and_b64 s[8:9], s[8:9], exec
	s_or_b64 s[4:5], s[4:5], s[8:9]
	s_or_b64 exec, exec, s[6:7]
	s_and_saveexec_b64 s[6:7], s[4:5]
	s_cbranch_execnz .LBB29_1095
	s_branch .LBB29_1096
.LBB29_3145:
	s_movk_i32 s4, 0x80
	v_cmp_eq_u16_sdwa s[12:13], v11, s4 src0_sel:BYTE_0 src1_sel:DWORD
	s_mov_b64 s[4:5], -1
                                        ; implicit-def: $sgpr10
	s_and_saveexec_b64 s[8:9], s[12:13]
; %bb.3146:
	s_mov_b32 s10, 0x7f800001
	s_xor_b64 s[4:5], exec, -1
; %bb.3147:
	s_or_b64 exec, exec, s[8:9]
	s_and_b64 s[4:5], s[4:5], exec
	s_or_saveexec_b64 s[6:7], s[6:7]
	v_mov_b32_e32 v10, s10
	s_xor_b64 exec, exec, s[6:7]
	s_cbranch_execz .LBB29_1098
.LBB29_3148:
	v_mov_b32_e32 v10, 0
	v_cmp_ne_u16_sdwa s[8:9], v11, v10 src0_sel:BYTE_0 src1_sel:DWORD
	s_andn2_b64 s[4:5], s[4:5], exec
	s_and_b64 s[8:9], s[8:9], exec
	s_or_b64 s[4:5], s[4:5], s[8:9]
	s_or_b64 exec, exec, s[6:7]
	s_and_saveexec_b64 s[6:7], s[4:5]
	s_cbranch_execnz .LBB29_1099
	s_branch .LBB29_1100
.LBB29_3149:
	s_movk_i32 s4, 0x80
	v_cmp_eq_u16_sdwa s[12:13], v11, s4 src0_sel:BYTE_0 src1_sel:DWORD
	s_mov_b64 s[4:5], -1
                                        ; implicit-def: $sgpr10
	s_and_saveexec_b64 s[8:9], s[12:13]
; %bb.3150:
	s_mov_b32 s10, 0x7f800001
	s_xor_b64 s[4:5], exec, -1
; %bb.3151:
	s_or_b64 exec, exec, s[8:9]
	s_and_b64 s[4:5], s[4:5], exec
	s_or_saveexec_b64 s[6:7], s[6:7]
	v_mov_b32_e32 v14, s10
	s_xor_b64 exec, exec, s[6:7]
	s_cbranch_execz .LBB29_1102
.LBB29_3152:
	v_mov_b32_e32 v14, 0
	v_cmp_ne_u16_sdwa s[8:9], v11, v14 src0_sel:BYTE_0 src1_sel:DWORD
	s_andn2_b64 s[4:5], s[4:5], exec
	s_and_b64 s[8:9], s[8:9], exec
	s_or_b64 s[4:5], s[4:5], s[8:9]
	s_or_b64 exec, exec, s[6:7]
	s_and_saveexec_b64 s[6:7], s[4:5]
	s_cbranch_execnz .LBB29_1103
	s_branch .LBB29_1104
.LBB29_3153:
	s_movk_i32 s4, 0x80
	v_cmp_eq_u16_e32 vcc, s4, v11
	s_mov_b64 s[4:5], -1
                                        ; implicit-def: $sgpr10
	s_and_saveexec_b64 s[8:9], vcc
; %bb.3154:
	s_mov_b32 s10, 0x7f800001
	s_xor_b64 s[4:5], exec, -1
; %bb.3155:
	s_or_b64 exec, exec, s[8:9]
	s_and_b64 s[4:5], s[4:5], exec
                                        ; implicit-def: $vgpr11
	s_or_saveexec_b64 s[6:7], s[6:7]
	v_mov_b32_e32 v10, s10
	s_xor_b64 exec, exec, s[6:7]
	s_cbranch_execz .LBB29_1106
.LBB29_3156:
	v_cmp_ne_u16_e32 vcc, 0, v11
	s_andn2_b64 s[4:5], s[4:5], exec
	s_and_b64 s[8:9], vcc, exec
	v_mov_b32_e32 v10, 0
	s_or_b64 s[4:5], s[4:5], s[8:9]
	s_or_b64 exec, exec, s[6:7]
	s_and_saveexec_b64 s[6:7], s[4:5]
	s_cbranch_execnz .LBB29_1107
	s_branch .LBB29_1108
.LBB29_3157:
	s_movk_i32 s4, 0x80
	v_cmp_eq_u16_e32 vcc, s4, v11
	s_mov_b64 s[4:5], -1
                                        ; implicit-def: $sgpr10
	s_and_saveexec_b64 s[8:9], vcc
; %bb.3158:
	s_mov_b32 s10, 0x7f800001
	s_xor_b64 s[4:5], exec, -1
; %bb.3159:
	s_or_b64 exec, exec, s[8:9]
	s_and_b64 s[4:5], s[4:5], exec
                                        ; implicit-def: $vgpr11
	s_or_saveexec_b64 s[6:7], s[6:7]
	v_mov_b32_e32 v14, s10
	s_xor_b64 exec, exec, s[6:7]
	s_cbranch_execz .LBB29_1110
.LBB29_3160:
	v_cmp_ne_u16_e32 vcc, 0, v11
	s_andn2_b64 s[4:5], s[4:5], exec
	s_and_b64 s[8:9], vcc, exec
	v_mov_b32_e32 v14, 0
	s_or_b64 s[4:5], s[4:5], s[8:9]
	s_or_b64 exec, exec, s[6:7]
	s_and_saveexec_b64 s[6:7], s[4:5]
	s_cbranch_execnz .LBB29_1111
	s_branch .LBB29_1112
.LBB29_3161:
	s_movk_i32 s4, 0x80
	v_cmp_eq_u16_sdwa s[12:13], v16, s4 src0_sel:BYTE_3 src1_sel:DWORD
	s_mov_b64 s[4:5], -1
                                        ; implicit-def: $sgpr10
	s_and_saveexec_b64 s[8:9], s[12:13]
; %bb.3162:
	s_mov_b32 s10, 0x7f800001
	s_xor_b64 s[4:5], exec, -1
; %bb.3163:
	s_or_b64 exec, exec, s[8:9]
	s_and_b64 s[4:5], s[4:5], exec
	s_or_saveexec_b64 s[6:7], s[6:7]
	v_mov_b32_e32 v10, s10
	s_xor_b64 exec, exec, s[6:7]
	s_cbranch_execz .LBB29_1114
.LBB29_3164:
	v_mov_b32_e32 v10, 0
	v_cmp_ne_u16_sdwa s[8:9], v16, v10 src0_sel:BYTE_3 src1_sel:DWORD
	s_andn2_b64 s[4:5], s[4:5], exec
	s_and_b64 s[8:9], s[8:9], exec
	s_or_b64 s[4:5], s[4:5], s[8:9]
	s_or_b64 exec, exec, s[6:7]
	s_and_saveexec_b64 s[6:7], s[4:5]
	s_cbranch_execnz .LBB29_1115
	s_branch .LBB29_1116
.LBB29_3165:
	s_movk_i32 s4, 0x80
	v_cmp_eq_u16_sdwa s[12:13], v12, s4 src0_sel:BYTE_3 src1_sel:DWORD
	s_mov_b64 s[4:5], -1
                                        ; implicit-def: $sgpr10
	s_and_saveexec_b64 s[8:9], s[12:13]
; %bb.3166:
	s_mov_b32 s10, 0x7f800001
	s_xor_b64 s[4:5], exec, -1
; %bb.3167:
	s_or_b64 exec, exec, s[8:9]
	s_and_b64 s[4:5], s[4:5], exec
	s_or_saveexec_b64 s[6:7], s[6:7]
	v_mov_b32_e32 v11, s10
	s_xor_b64 exec, exec, s[6:7]
	s_cbranch_execz .LBB29_1118
.LBB29_3168:
	v_mov_b32_e32 v11, 0
	v_cmp_ne_u16_sdwa s[8:9], v12, v11 src0_sel:BYTE_3 src1_sel:DWORD
	s_andn2_b64 s[4:5], s[4:5], exec
	s_and_b64 s[8:9], s[8:9], exec
	s_or_b64 s[4:5], s[4:5], s[8:9]
	s_or_b64 exec, exec, s[6:7]
	s_and_saveexec_b64 s[6:7], s[4:5]
	s_cbranch_execnz .LBB29_1119
	s_branch .LBB29_1120
.LBB29_3169:
	s_movk_i32 s4, 0x80
	v_cmp_eq_u16_sdwa s[12:13], v17, s4 src0_sel:BYTE_0 src1_sel:DWORD
	s_mov_b64 s[4:5], -1
                                        ; implicit-def: $sgpr10
	s_and_saveexec_b64 s[8:9], s[12:13]
; %bb.3170:
	s_mov_b32 s10, 0x7f800001
	s_xor_b64 s[4:5], exec, -1
; %bb.3171:
	s_or_b64 exec, exec, s[8:9]
	s_and_b64 s[4:5], s[4:5], exec
	s_or_saveexec_b64 s[6:7], s[6:7]
	v_mov_b32_e32 v10, s10
	s_xor_b64 exec, exec, s[6:7]
	s_cbranch_execz .LBB29_1122
.LBB29_3172:
	v_mov_b32_e32 v10, 0
	v_cmp_ne_u16_sdwa s[8:9], v17, v10 src0_sel:BYTE_0 src1_sel:DWORD
	s_andn2_b64 s[4:5], s[4:5], exec
	s_and_b64 s[8:9], s[8:9], exec
	s_or_b64 s[4:5], s[4:5], s[8:9]
	s_or_b64 exec, exec, s[6:7]
	s_and_saveexec_b64 s[6:7], s[4:5]
	s_cbranch_execnz .LBB29_1123
	s_branch .LBB29_1124
.LBB29_3173:
	s_movk_i32 s4, 0x80
	v_cmp_eq_u16_sdwa s[12:13], v13, s4 src0_sel:BYTE_0 src1_sel:DWORD
	s_mov_b64 s[4:5], -1
                                        ; implicit-def: $sgpr10
	s_and_saveexec_b64 s[8:9], s[12:13]
; %bb.3174:
	s_mov_b32 s10, 0x7f800001
	s_xor_b64 s[4:5], exec, -1
; %bb.3175:
	s_or_b64 exec, exec, s[8:9]
	s_and_b64 s[4:5], s[4:5], exec
	s_or_saveexec_b64 s[6:7], s[6:7]
	v_mov_b32_e32 v11, s10
	s_xor_b64 exec, exec, s[6:7]
	s_cbranch_execz .LBB29_1126
.LBB29_3176:
	v_mov_b32_e32 v11, 0
	v_cmp_ne_u16_sdwa s[8:9], v13, v11 src0_sel:BYTE_0 src1_sel:DWORD
	s_andn2_b64 s[4:5], s[4:5], exec
	s_and_b64 s[8:9], s[8:9], exec
	s_or_b64 s[4:5], s[4:5], s[8:9]
	s_or_b64 exec, exec, s[6:7]
	s_and_saveexec_b64 s[6:7], s[4:5]
	s_cbranch_execnz .LBB29_1127
	s_branch .LBB29_1128
.LBB29_3177:
	s_movk_i32 s4, 0x80
	v_cmp_eq_u16_sdwa s[12:13], v11, s4 src0_sel:BYTE_0 src1_sel:DWORD
	s_mov_b64 s[4:5], -1
                                        ; implicit-def: $sgpr10
	s_and_saveexec_b64 s[8:9], s[12:13]
; %bb.3178:
	s_mov_b32 s10, 0x7f800001
	s_xor_b64 s[4:5], exec, -1
; %bb.3179:
	s_or_b64 exec, exec, s[8:9]
	s_and_b64 s[4:5], s[4:5], exec
	s_or_saveexec_b64 s[6:7], s[6:7]
	v_mov_b32_e32 v10, s10
	s_xor_b64 exec, exec, s[6:7]
	s_cbranch_execz .LBB29_1130
.LBB29_3180:
	v_mov_b32_e32 v10, 0
	v_cmp_ne_u16_sdwa s[8:9], v11, v10 src0_sel:BYTE_0 src1_sel:DWORD
	s_andn2_b64 s[4:5], s[4:5], exec
	s_and_b64 s[8:9], s[8:9], exec
	s_or_b64 s[4:5], s[4:5], s[8:9]
	s_or_b64 exec, exec, s[6:7]
	s_and_saveexec_b64 s[6:7], s[4:5]
	s_cbranch_execnz .LBB29_1131
	s_branch .LBB29_1132
.LBB29_3181:
	s_movk_i32 s4, 0x80
	v_cmp_eq_u16_sdwa s[12:13], v11, s4 src0_sel:BYTE_0 src1_sel:DWORD
	s_mov_b64 s[4:5], -1
                                        ; implicit-def: $sgpr10
	s_and_saveexec_b64 s[8:9], s[12:13]
; %bb.3182:
	s_mov_b32 s10, 0x7f800001
	s_xor_b64 s[4:5], exec, -1
; %bb.3183:
	s_or_b64 exec, exec, s[8:9]
	s_and_b64 s[4:5], s[4:5], exec
	s_or_saveexec_b64 s[6:7], s[6:7]
	v_mov_b32_e32 v12, s10
	s_xor_b64 exec, exec, s[6:7]
	s_cbranch_execz .LBB29_1134
.LBB29_3184:
	v_mov_b32_e32 v12, 0
	v_cmp_ne_u16_sdwa s[8:9], v11, v12 src0_sel:BYTE_0 src1_sel:DWORD
	s_andn2_b64 s[4:5], s[4:5], exec
	s_and_b64 s[8:9], s[8:9], exec
	s_or_b64 s[4:5], s[4:5], s[8:9]
	s_or_b64 exec, exec, s[6:7]
	s_and_saveexec_b64 s[6:7], s[4:5]
	s_cbranch_execnz .LBB29_1135
	s_branch .LBB29_1136
.LBB29_3185:
	s_movk_i32 s4, 0x80
	v_cmp_eq_u16_e32 vcc, s4, v11
	s_mov_b64 s[4:5], -1
                                        ; implicit-def: $sgpr10
	s_and_saveexec_b64 s[8:9], vcc
; %bb.3186:
	s_mov_b32 s10, 0x7f800001
	s_xor_b64 s[4:5], exec, -1
; %bb.3187:
	s_or_b64 exec, exec, s[8:9]
	s_and_b64 s[4:5], s[4:5], exec
                                        ; implicit-def: $vgpr11
	s_or_saveexec_b64 s[6:7], s[6:7]
	v_mov_b32_e32 v10, s10
	s_xor_b64 exec, exec, s[6:7]
	s_cbranch_execz .LBB29_1138
.LBB29_3188:
	v_cmp_ne_u16_e32 vcc, 0, v11
	s_andn2_b64 s[4:5], s[4:5], exec
	s_and_b64 s[8:9], vcc, exec
	v_mov_b32_e32 v10, 0
	s_or_b64 s[4:5], s[4:5], s[8:9]
	s_or_b64 exec, exec, s[6:7]
	s_and_saveexec_b64 s[6:7], s[4:5]
	s_cbranch_execnz .LBB29_1139
	s_branch .LBB29_1140
.LBB29_3189:
	s_movk_i32 s4, 0x80
	v_cmp_eq_u16_e32 vcc, s4, v11
	s_mov_b64 s[4:5], -1
                                        ; implicit-def: $sgpr10
	s_and_saveexec_b64 s[8:9], vcc
; %bb.3190:
	s_mov_b32 s10, 0x7f800001
	s_xor_b64 s[4:5], exec, -1
; %bb.3191:
	s_or_b64 exec, exec, s[8:9]
	s_and_b64 s[4:5], s[4:5], exec
                                        ; implicit-def: $vgpr11
	s_or_saveexec_b64 s[6:7], s[6:7]
	v_mov_b32_e32 v12, s10
	s_xor_b64 exec, exec, s[6:7]
	s_cbranch_execz .LBB29_1142
.LBB29_3192:
	v_cmp_ne_u16_e32 vcc, 0, v11
	s_andn2_b64 s[4:5], s[4:5], exec
	s_and_b64 s[8:9], vcc, exec
	v_mov_b32_e32 v12, 0
	s_or_b64 s[4:5], s[4:5], s[8:9]
	s_or_b64 exec, exec, s[6:7]
	s_and_saveexec_b64 s[6:7], s[4:5]
	s_cbranch_execnz .LBB29_1143
	s_branch .LBB29_1144
.LBB29_3193:
	s_movk_i32 s4, 0x80
	v_cmp_eq_u16_sdwa s[12:13], v17, s4 src0_sel:BYTE_3 src1_sel:DWORD
	s_mov_b64 s[4:5], -1
                                        ; implicit-def: $sgpr10
	s_and_saveexec_b64 s[8:9], s[12:13]
; %bb.3194:
	s_mov_b32 s10, 0x7f800001
	s_xor_b64 s[4:5], exec, -1
; %bb.3195:
	s_or_b64 exec, exec, s[8:9]
	s_and_b64 s[4:5], s[4:5], exec
	s_or_saveexec_b64 s[6:7], s[6:7]
	v_mov_b32_e32 v10, s10
	s_xor_b64 exec, exec, s[6:7]
	s_cbranch_execz .LBB29_1146
.LBB29_3196:
	v_mov_b32_e32 v10, 0
	v_cmp_ne_u16_sdwa s[8:9], v17, v10 src0_sel:BYTE_3 src1_sel:DWORD
	s_andn2_b64 s[4:5], s[4:5], exec
	s_and_b64 s[8:9], s[8:9], exec
	s_or_b64 s[4:5], s[4:5], s[8:9]
	s_or_b64 exec, exec, s[6:7]
	s_and_saveexec_b64 s[6:7], s[4:5]
	s_cbranch_execnz .LBB29_1147
	s_branch .LBB29_1148
.LBB29_3197:
	s_movk_i32 s4, 0x80
	v_cmp_eq_u16_sdwa s[12:13], v13, s4 src0_sel:BYTE_3 src1_sel:DWORD
	s_mov_b64 s[4:5], -1
                                        ; implicit-def: $sgpr10
	s_and_saveexec_b64 s[8:9], s[12:13]
; %bb.3198:
	s_mov_b32 s10, 0x7f800001
	s_xor_b64 s[4:5], exec, -1
; %bb.3199:
	s_or_b64 exec, exec, s[8:9]
	s_and_b64 s[4:5], s[4:5], exec
	s_or_saveexec_b64 s[6:7], s[6:7]
	v_mov_b32_e32 v11, s10
	s_xor_b64 exec, exec, s[6:7]
	s_cbranch_execz .LBB29_1150
.LBB29_3200:
	v_mov_b32_e32 v11, 0
	v_cmp_ne_u16_sdwa s[8:9], v13, v11 src0_sel:BYTE_3 src1_sel:DWORD
	s_andn2_b64 s[4:5], s[4:5], exec
	s_and_b64 s[8:9], s[8:9], exec
	s_or_b64 s[4:5], s[4:5], s[8:9]
	s_or_b64 exec, exec, s[6:7]
	s_and_saveexec_b64 s[6:7], s[4:5]
	s_cbranch_execnz .LBB29_1151
	s_branch .LBB29_1152
.LBB29_3201:
	s_movk_i32 s4, 0x80
	v_cmp_eq_u16_sdwa s[12:13], v6, s4 src0_sel:BYTE_0 src1_sel:DWORD
	s_mov_b64 s[4:5], -1
                                        ; implicit-def: $sgpr10
	s_and_saveexec_b64 s[8:9], s[12:13]
; %bb.3202:
	s_mov_b32 s10, 0x7f800001
	s_xor_b64 s[4:5], exec, -1
; %bb.3203:
	s_or_b64 exec, exec, s[8:9]
	s_and_b64 s[4:5], s[4:5], exec
	s_or_saveexec_b64 s[6:7], s[6:7]
	v_mov_b32_e32 v10, s10
	s_xor_b64 exec, exec, s[6:7]
	s_cbranch_execz .LBB29_1154
.LBB29_3204:
	v_mov_b32_e32 v10, 0
	v_cmp_ne_u16_sdwa s[8:9], v6, v10 src0_sel:BYTE_0 src1_sel:DWORD
	s_andn2_b64 s[4:5], s[4:5], exec
	s_and_b64 s[8:9], s[8:9], exec
	s_or_b64 s[4:5], s[4:5], s[8:9]
	s_or_b64 exec, exec, s[6:7]
	s_and_saveexec_b64 s[6:7], s[4:5]
	s_cbranch_execnz .LBB29_1155
	s_branch .LBB29_1156
.LBB29_3205:
	s_movk_i32 s4, 0x80
	v_cmp_eq_u16_sdwa s[12:13], v2, s4 src0_sel:BYTE_0 src1_sel:DWORD
	s_mov_b64 s[4:5], -1
                                        ; implicit-def: $sgpr10
	s_and_saveexec_b64 s[8:9], s[12:13]
; %bb.3206:
	s_mov_b32 s10, 0x7f800001
	s_xor_b64 s[4:5], exec, -1
; %bb.3207:
	s_or_b64 exec, exec, s[8:9]
	s_and_b64 s[4:5], s[4:5], exec
	s_or_saveexec_b64 s[6:7], s[6:7]
	v_mov_b32_e32 v11, s10
	s_xor_b64 exec, exec, s[6:7]
	s_cbranch_execz .LBB29_1158
.LBB29_3208:
	v_mov_b32_e32 v11, 0
	v_cmp_ne_u16_sdwa s[8:9], v2, v11 src0_sel:BYTE_0 src1_sel:DWORD
	s_andn2_b64 s[4:5], s[4:5], exec
	s_and_b64 s[8:9], s[8:9], exec
	s_or_b64 s[4:5], s[4:5], s[8:9]
	s_or_b64 exec, exec, s[6:7]
	s_and_saveexec_b64 s[6:7], s[4:5]
	s_cbranch_execnz .LBB29_1159
	s_branch .LBB29_1160
.LBB29_3209:
	s_movk_i32 s4, 0x80
	v_cmp_eq_u16_sdwa s[12:13], v11, s4 src0_sel:BYTE_0 src1_sel:DWORD
	s_mov_b64 s[4:5], -1
                                        ; implicit-def: $sgpr10
	s_and_saveexec_b64 s[8:9], s[12:13]
; %bb.3210:
	s_mov_b32 s10, 0x7f800001
	s_xor_b64 s[4:5], exec, -1
; %bb.3211:
	s_or_b64 exec, exec, s[8:9]
	s_and_b64 s[4:5], s[4:5], exec
	s_or_saveexec_b64 s[6:7], s[6:7]
	v_mov_b32_e32 v10, s10
	s_xor_b64 exec, exec, s[6:7]
	s_cbranch_execz .LBB29_1162
.LBB29_3212:
	v_mov_b32_e32 v10, 0
	v_cmp_ne_u16_sdwa s[8:9], v11, v10 src0_sel:BYTE_0 src1_sel:DWORD
	s_andn2_b64 s[4:5], s[4:5], exec
	s_and_b64 s[8:9], s[8:9], exec
	s_or_b64 s[4:5], s[4:5], s[8:9]
	s_or_b64 exec, exec, s[6:7]
	s_and_saveexec_b64 s[6:7], s[4:5]
	s_cbranch_execnz .LBB29_1163
	s_branch .LBB29_1164
.LBB29_3213:
	s_movk_i32 s4, 0x80
	v_cmp_eq_u16_sdwa s[12:13], v11, s4 src0_sel:BYTE_0 src1_sel:DWORD
	s_mov_b64 s[4:5], -1
                                        ; implicit-def: $sgpr10
	s_and_saveexec_b64 s[8:9], s[12:13]
; %bb.3214:
	s_mov_b32 s10, 0x7f800001
	s_xor_b64 s[4:5], exec, -1
; %bb.3215:
	s_or_b64 exec, exec, s[8:9]
	s_and_b64 s[4:5], s[4:5], exec
	s_or_saveexec_b64 s[6:7], s[6:7]
	v_mov_b32_e32 v12, s10
	s_xor_b64 exec, exec, s[6:7]
	s_cbranch_execz .LBB29_1166
.LBB29_3216:
	v_mov_b32_e32 v12, 0
	v_cmp_ne_u16_sdwa s[8:9], v11, v12 src0_sel:BYTE_0 src1_sel:DWORD
	s_andn2_b64 s[4:5], s[4:5], exec
	s_and_b64 s[8:9], s[8:9], exec
	s_or_b64 s[4:5], s[4:5], s[8:9]
	s_or_b64 exec, exec, s[6:7]
	s_and_saveexec_b64 s[6:7], s[4:5]
	s_cbranch_execnz .LBB29_1167
	s_branch .LBB29_1168
.LBB29_3217:
	s_movk_i32 s4, 0x80
	v_cmp_eq_u16_e32 vcc, s4, v11
	s_mov_b64 s[4:5], -1
                                        ; implicit-def: $sgpr10
	s_and_saveexec_b64 s[8:9], vcc
; %bb.3218:
	s_mov_b32 s10, 0x7f800001
	s_xor_b64 s[4:5], exec, -1
; %bb.3219:
	s_or_b64 exec, exec, s[8:9]
	s_and_b64 s[4:5], s[4:5], exec
                                        ; implicit-def: $vgpr11
	s_or_saveexec_b64 s[6:7], s[6:7]
	v_mov_b32_e32 v10, s10
	s_xor_b64 exec, exec, s[6:7]
	s_cbranch_execz .LBB29_1170
.LBB29_3220:
	v_cmp_ne_u16_e32 vcc, 0, v11
	s_andn2_b64 s[4:5], s[4:5], exec
	s_and_b64 s[8:9], vcc, exec
	v_mov_b32_e32 v10, 0
	s_or_b64 s[4:5], s[4:5], s[8:9]
	s_or_b64 exec, exec, s[6:7]
	s_and_saveexec_b64 s[6:7], s[4:5]
	s_cbranch_execnz .LBB29_1171
	s_branch .LBB29_1172
.LBB29_3221:
	s_movk_i32 s4, 0x80
	v_cmp_eq_u16_e32 vcc, s4, v11
	s_mov_b64 s[4:5], -1
                                        ; implicit-def: $sgpr10
	s_and_saveexec_b64 s[8:9], vcc
; %bb.3222:
	s_mov_b32 s10, 0x7f800001
	s_xor_b64 s[4:5], exec, -1
; %bb.3223:
	s_or_b64 exec, exec, s[8:9]
	s_and_b64 s[4:5], s[4:5], exec
                                        ; implicit-def: $vgpr11
	s_or_saveexec_b64 s[6:7], s[6:7]
	v_mov_b32_e32 v12, s10
	s_xor_b64 exec, exec, s[6:7]
	s_cbranch_execz .LBB29_1174
.LBB29_3224:
	v_cmp_ne_u16_e32 vcc, 0, v11
	s_andn2_b64 s[4:5], s[4:5], exec
	s_and_b64 s[8:9], vcc, exec
	v_mov_b32_e32 v12, 0
	s_or_b64 s[4:5], s[4:5], s[8:9]
	s_or_b64 exec, exec, s[6:7]
	s_and_saveexec_b64 s[6:7], s[4:5]
	s_cbranch_execnz .LBB29_1175
	s_branch .LBB29_1176
.LBB29_3225:
	s_movk_i32 s4, 0x80
	v_cmp_eq_u16_sdwa s[12:13], v6, s4 src0_sel:BYTE_3 src1_sel:DWORD
	s_mov_b64 s[4:5], -1
                                        ; implicit-def: $sgpr10
	s_and_saveexec_b64 s[8:9], s[12:13]
; %bb.3226:
	s_mov_b32 s10, 0x7f800001
	s_xor_b64 s[4:5], exec, -1
; %bb.3227:
	s_or_b64 exec, exec, s[8:9]
	s_and_b64 s[4:5], s[4:5], exec
	s_or_saveexec_b64 s[6:7], s[6:7]
	v_mov_b32_e32 v10, s10
	s_xor_b64 exec, exec, s[6:7]
	s_cbranch_execz .LBB29_1178
.LBB29_3228:
	v_mov_b32_e32 v10, 0
	v_cmp_ne_u16_sdwa s[8:9], v6, v10 src0_sel:BYTE_3 src1_sel:DWORD
	s_andn2_b64 s[4:5], s[4:5], exec
	s_and_b64 s[8:9], s[8:9], exec
	s_or_b64 s[4:5], s[4:5], s[8:9]
	s_or_b64 exec, exec, s[6:7]
	s_and_saveexec_b64 s[6:7], s[4:5]
	s_cbranch_execnz .LBB29_1179
	s_branch .LBB29_1180
.LBB29_3229:
	s_movk_i32 s4, 0x80
	v_cmp_eq_u16_sdwa s[12:13], v2, s4 src0_sel:BYTE_3 src1_sel:DWORD
	s_mov_b64 s[4:5], -1
                                        ; implicit-def: $sgpr10
	s_and_saveexec_b64 s[8:9], s[12:13]
; %bb.3230:
	s_mov_b32 s10, 0x7f800001
	s_xor_b64 s[4:5], exec, -1
; %bb.3231:
	s_or_b64 exec, exec, s[8:9]
	s_and_b64 s[4:5], s[4:5], exec
	s_or_saveexec_b64 s[6:7], s[6:7]
	v_mov_b32_e32 v6, s10
	s_xor_b64 exec, exec, s[6:7]
	s_cbranch_execz .LBB29_1182
.LBB29_3232:
	v_mov_b32_e32 v6, 0
	v_cmp_ne_u16_sdwa s[8:9], v2, v6 src0_sel:BYTE_3 src1_sel:DWORD
	s_andn2_b64 s[4:5], s[4:5], exec
	s_and_b64 s[8:9], s[8:9], exec
	s_or_b64 s[4:5], s[4:5], s[8:9]
	s_or_b64 exec, exec, s[6:7]
	s_and_saveexec_b64 s[6:7], s[4:5]
	s_cbranch_execnz .LBB29_1183
	s_branch .LBB29_1184
.LBB29_3233:
	s_movk_i32 s4, 0x80
	v_cmp_eq_u16_sdwa s[12:13], v7, s4 src0_sel:BYTE_0 src1_sel:DWORD
	s_mov_b64 s[4:5], -1
                                        ; implicit-def: $sgpr10
	s_and_saveexec_b64 s[8:9], s[12:13]
; %bb.3234:
	s_mov_b32 s10, 0x7f800001
	s_xor_b64 s[4:5], exec, -1
; %bb.3235:
	s_or_b64 exec, exec, s[8:9]
	s_and_b64 s[4:5], s[4:5], exec
	s_or_saveexec_b64 s[6:7], s[6:7]
	v_mov_b32_e32 v2, s10
	s_xor_b64 exec, exec, s[6:7]
	s_cbranch_execz .LBB29_1186
.LBB29_3236:
	v_mov_b32_e32 v2, 0
	v_cmp_ne_u16_sdwa s[8:9], v7, v2 src0_sel:BYTE_0 src1_sel:DWORD
	s_andn2_b64 s[4:5], s[4:5], exec
	s_and_b64 s[8:9], s[8:9], exec
	s_or_b64 s[4:5], s[4:5], s[8:9]
	s_or_b64 exec, exec, s[6:7]
	s_and_saveexec_b64 s[6:7], s[4:5]
	s_cbranch_execnz .LBB29_1187
	s_branch .LBB29_1188
.LBB29_3237:
	s_movk_i32 s4, 0x80
	v_cmp_eq_u16_sdwa s[12:13], v3, s4 src0_sel:BYTE_0 src1_sel:DWORD
	s_mov_b64 s[4:5], -1
                                        ; implicit-def: $sgpr10
	s_and_saveexec_b64 s[8:9], s[12:13]
; %bb.3238:
	s_mov_b32 s10, 0x7f800001
	s_xor_b64 s[4:5], exec, -1
; %bb.3239:
	s_or_b64 exec, exec, s[8:9]
	s_and_b64 s[4:5], s[4:5], exec
	s_or_saveexec_b64 s[6:7], s[6:7]
	v_mov_b32_e32 v6, s10
	s_xor_b64 exec, exec, s[6:7]
	s_cbranch_execz .LBB29_1190
.LBB29_3240:
	v_mov_b32_e32 v6, 0
	v_cmp_ne_u16_sdwa s[8:9], v3, v6 src0_sel:BYTE_0 src1_sel:DWORD
	s_andn2_b64 s[4:5], s[4:5], exec
	s_and_b64 s[8:9], s[8:9], exec
	s_or_b64 s[4:5], s[4:5], s[8:9]
	s_or_b64 exec, exec, s[6:7]
	s_and_saveexec_b64 s[6:7], s[4:5]
	s_cbranch_execnz .LBB29_1191
	s_branch .LBB29_1192
.LBB29_3241:
	s_movk_i32 s4, 0x80
	v_cmp_eq_u16_sdwa s[12:13], v6, s4 src0_sel:BYTE_0 src1_sel:DWORD
	s_mov_b64 s[4:5], -1
                                        ; implicit-def: $sgpr10
	s_and_saveexec_b64 s[8:9], s[12:13]
; %bb.3242:
	s_mov_b32 s10, 0x7f800001
	s_xor_b64 s[4:5], exec, -1
; %bb.3243:
	s_or_b64 exec, exec, s[8:9]
	s_and_b64 s[4:5], s[4:5], exec
	s_or_saveexec_b64 s[6:7], s[6:7]
	v_mov_b32_e32 v2, s10
	s_xor_b64 exec, exec, s[6:7]
	s_cbranch_execz .LBB29_1194
.LBB29_3244:
	v_mov_b32_e32 v2, 0
	v_cmp_ne_u16_sdwa s[8:9], v6, v2 src0_sel:BYTE_0 src1_sel:DWORD
	s_andn2_b64 s[4:5], s[4:5], exec
	s_and_b64 s[8:9], s[8:9], exec
	s_or_b64 s[4:5], s[4:5], s[8:9]
	s_or_b64 exec, exec, s[6:7]
	s_and_saveexec_b64 s[6:7], s[4:5]
	s_cbranch_execnz .LBB29_1195
	s_branch .LBB29_1196
.LBB29_3245:
	s_movk_i32 s4, 0x80
	v_cmp_eq_u16_sdwa s[12:13], v6, s4 src0_sel:BYTE_0 src1_sel:DWORD
	s_mov_b64 s[4:5], -1
                                        ; implicit-def: $sgpr10
	s_and_saveexec_b64 s[8:9], s[12:13]
; %bb.3246:
	s_mov_b32 s10, 0x7f800001
	s_xor_b64 s[4:5], exec, -1
; %bb.3247:
	s_or_b64 exec, exec, s[8:9]
	s_and_b64 s[4:5], s[4:5], exec
	s_or_saveexec_b64 s[6:7], s[6:7]
	v_mov_b32_e32 v10, s10
	s_xor_b64 exec, exec, s[6:7]
	s_cbranch_execz .LBB29_1198
.LBB29_3248:
	v_mov_b32_e32 v10, 0
	v_cmp_ne_u16_sdwa s[8:9], v6, v10 src0_sel:BYTE_0 src1_sel:DWORD
	s_andn2_b64 s[4:5], s[4:5], exec
	s_and_b64 s[8:9], s[8:9], exec
	s_or_b64 s[4:5], s[4:5], s[8:9]
	s_or_b64 exec, exec, s[6:7]
	s_and_saveexec_b64 s[6:7], s[4:5]
	s_cbranch_execnz .LBB29_1199
	s_branch .LBB29_1200
.LBB29_3249:
	s_movk_i32 s4, 0x80
	v_cmp_eq_u16_e32 vcc, s4, v6
	s_mov_b64 s[4:5], -1
                                        ; implicit-def: $sgpr10
	s_and_saveexec_b64 s[8:9], vcc
; %bb.3250:
	s_mov_b32 s10, 0x7f800001
	s_xor_b64 s[4:5], exec, -1
; %bb.3251:
	s_or_b64 exec, exec, s[8:9]
	s_and_b64 s[4:5], s[4:5], exec
                                        ; implicit-def: $vgpr6
	s_or_saveexec_b64 s[6:7], s[6:7]
	v_mov_b32_e32 v2, s10
	s_xor_b64 exec, exec, s[6:7]
	s_cbranch_execz .LBB29_1202
.LBB29_3252:
	v_cmp_ne_u16_e32 vcc, 0, v6
	s_andn2_b64 s[4:5], s[4:5], exec
	s_and_b64 s[8:9], vcc, exec
	v_mov_b32_e32 v2, 0
	s_or_b64 s[4:5], s[4:5], s[8:9]
	s_or_b64 exec, exec, s[6:7]
	s_and_saveexec_b64 s[6:7], s[4:5]
	s_cbranch_execnz .LBB29_1203
	s_branch .LBB29_1204
.LBB29_3253:
	s_movk_i32 s4, 0x80
	v_cmp_eq_u16_e32 vcc, s4, v6
	s_mov_b64 s[4:5], -1
                                        ; implicit-def: $sgpr10
	s_and_saveexec_b64 s[8:9], vcc
; %bb.3254:
	s_mov_b32 s10, 0x7f800001
	s_xor_b64 s[4:5], exec, -1
; %bb.3255:
	s_or_b64 exec, exec, s[8:9]
	s_and_b64 s[4:5], s[4:5], exec
                                        ; implicit-def: $vgpr6
	s_or_saveexec_b64 s[6:7], s[6:7]
	v_mov_b32_e32 v10, s10
	s_xor_b64 exec, exec, s[6:7]
	s_cbranch_execz .LBB29_1206
.LBB29_3256:
	v_cmp_ne_u16_e32 vcc, 0, v6
	s_andn2_b64 s[4:5], s[4:5], exec
	s_and_b64 s[8:9], vcc, exec
	v_mov_b32_e32 v10, 0
	s_or_b64 s[4:5], s[4:5], s[8:9]
	s_or_b64 exec, exec, s[6:7]
	s_and_saveexec_b64 s[6:7], s[4:5]
	s_cbranch_execnz .LBB29_1207
	s_branch .LBB29_1208
.LBB29_3257:
	s_movk_i32 s4, 0x80
	v_cmp_eq_u16_sdwa s[12:13], v7, s4 src0_sel:BYTE_3 src1_sel:DWORD
	s_mov_b64 s[4:5], -1
                                        ; implicit-def: $sgpr10
	s_and_saveexec_b64 s[8:9], s[12:13]
; %bb.3258:
	s_mov_b32 s10, 0x7f800001
	s_xor_b64 s[4:5], exec, -1
; %bb.3259:
	s_or_b64 exec, exec, s[8:9]
	s_and_b64 s[4:5], s[4:5], exec
	s_or_saveexec_b64 s[6:7], s[6:7]
	v_mov_b32_e32 v2, s10
	s_xor_b64 exec, exec, s[6:7]
	s_cbranch_execz .LBB29_1210
.LBB29_3260:
	v_mov_b32_e32 v2, 0
	v_cmp_ne_u16_sdwa s[8:9], v7, v2 src0_sel:BYTE_3 src1_sel:DWORD
	s_andn2_b64 s[4:5], s[4:5], exec
	s_and_b64 s[8:9], s[8:9], exec
	s_or_b64 s[4:5], s[4:5], s[8:9]
	s_or_b64 exec, exec, s[6:7]
	s_and_saveexec_b64 s[6:7], s[4:5]
	s_cbranch_execnz .LBB29_1211
	s_branch .LBB29_1212
.LBB29_3261:
	s_movk_i32 s4, 0x80
	v_cmp_eq_u16_sdwa s[12:13], v3, s4 src0_sel:BYTE_3 src1_sel:DWORD
	s_mov_b64 s[4:5], -1
                                        ; implicit-def: $sgpr10
	s_and_saveexec_b64 s[8:9], s[12:13]
; %bb.3262:
	s_mov_b32 s10, 0x7f800001
	s_xor_b64 s[4:5], exec, -1
; %bb.3263:
	s_or_b64 exec, exec, s[8:9]
	s_and_b64 s[4:5], s[4:5], exec
	s_or_saveexec_b64 s[6:7], s[6:7]
	v_mov_b32_e32 v6, s10
	s_xor_b64 exec, exec, s[6:7]
	s_cbranch_execz .LBB29_1214
.LBB29_3264:
	v_mov_b32_e32 v6, 0
	v_cmp_ne_u16_sdwa s[8:9], v3, v6 src0_sel:BYTE_3 src1_sel:DWORD
	s_andn2_b64 s[4:5], s[4:5], exec
	s_and_b64 s[8:9], s[8:9], exec
	s_or_b64 s[4:5], s[4:5], s[8:9]
	s_or_b64 exec, exec, s[6:7]
	s_and_saveexec_b64 s[6:7], s[4:5]
	s_cbranch_execnz .LBB29_1215
	s_branch .LBB29_1216
.LBB29_3265:
	s_movk_i32 s4, 0x80
	v_cmp_eq_u16_sdwa s[12:13], v8, s4 src0_sel:BYTE_0 src1_sel:DWORD
	s_mov_b64 s[4:5], -1
                                        ; implicit-def: $sgpr10
	s_and_saveexec_b64 s[8:9], s[12:13]
; %bb.3266:
	s_mov_b32 s10, 0x7f800001
	s_xor_b64 s[4:5], exec, -1
; %bb.3267:
	s_or_b64 exec, exec, s[8:9]
	s_and_b64 s[4:5], s[4:5], exec
	s_or_saveexec_b64 s[6:7], s[6:7]
	v_mov_b32_e32 v2, s10
	s_xor_b64 exec, exec, s[6:7]
	s_cbranch_execz .LBB29_1218
.LBB29_3268:
	v_mov_b32_e32 v2, 0
	v_cmp_ne_u16_sdwa s[8:9], v8, v2 src0_sel:BYTE_0 src1_sel:DWORD
	s_andn2_b64 s[4:5], s[4:5], exec
	s_and_b64 s[8:9], s[8:9], exec
	s_or_b64 s[4:5], s[4:5], s[8:9]
	s_or_b64 exec, exec, s[6:7]
	s_and_saveexec_b64 s[6:7], s[4:5]
	s_cbranch_execnz .LBB29_1219
	s_branch .LBB29_1220
.LBB29_3269:
	s_movk_i32 s4, 0x80
	v_cmp_eq_u16_sdwa s[12:13], v4, s4 src0_sel:BYTE_0 src1_sel:DWORD
	s_mov_b64 s[4:5], -1
                                        ; implicit-def: $sgpr10
	s_and_saveexec_b64 s[8:9], s[12:13]
; %bb.3270:
	s_mov_b32 s10, 0x7f800001
	s_xor_b64 s[4:5], exec, -1
; %bb.3271:
	s_or_b64 exec, exec, s[8:9]
	s_and_b64 s[4:5], s[4:5], exec
	s_or_saveexec_b64 s[6:7], s[6:7]
	v_mov_b32_e32 v3, s10
	s_xor_b64 exec, exec, s[6:7]
	s_cbranch_execz .LBB29_1222
.LBB29_3272:
	v_mov_b32_e32 v3, 0
	v_cmp_ne_u16_sdwa s[8:9], v4, v3 src0_sel:BYTE_0 src1_sel:DWORD
	s_andn2_b64 s[4:5], s[4:5], exec
	s_and_b64 s[8:9], s[8:9], exec
	s_or_b64 s[4:5], s[4:5], s[8:9]
	s_or_b64 exec, exec, s[6:7]
	s_and_saveexec_b64 s[6:7], s[4:5]
	s_cbranch_execnz .LBB29_1223
	s_branch .LBB29_1224
.LBB29_3273:
	s_movk_i32 s4, 0x80
	v_cmp_eq_u16_sdwa s[12:13], v3, s4 src0_sel:BYTE_0 src1_sel:DWORD
	s_mov_b64 s[4:5], -1
                                        ; implicit-def: $sgpr10
	s_and_saveexec_b64 s[8:9], s[12:13]
; %bb.3274:
	s_mov_b32 s10, 0x7f800001
	s_xor_b64 s[4:5], exec, -1
; %bb.3275:
	s_or_b64 exec, exec, s[8:9]
	s_and_b64 s[4:5], s[4:5], exec
	s_or_saveexec_b64 s[6:7], s[6:7]
	v_mov_b32_e32 v2, s10
	s_xor_b64 exec, exec, s[6:7]
	s_cbranch_execz .LBB29_1226
.LBB29_3276:
	v_mov_b32_e32 v2, 0
	v_cmp_ne_u16_sdwa s[8:9], v3, v2 src0_sel:BYTE_0 src1_sel:DWORD
	s_andn2_b64 s[4:5], s[4:5], exec
	s_and_b64 s[8:9], s[8:9], exec
	s_or_b64 s[4:5], s[4:5], s[8:9]
	s_or_b64 exec, exec, s[6:7]
	s_and_saveexec_b64 s[6:7], s[4:5]
	s_cbranch_execnz .LBB29_1227
	s_branch .LBB29_1228
.LBB29_3277:
	s_movk_i32 s4, 0x80
	v_cmp_eq_u16_sdwa s[12:13], v3, s4 src0_sel:BYTE_0 src1_sel:DWORD
	s_mov_b64 s[4:5], -1
                                        ; implicit-def: $sgpr10
	s_and_saveexec_b64 s[8:9], s[12:13]
; %bb.3278:
	s_mov_b32 s10, 0x7f800001
	s_xor_b64 s[4:5], exec, -1
; %bb.3279:
	s_or_b64 exec, exec, s[8:9]
	s_and_b64 s[4:5], s[4:5], exec
	s_or_saveexec_b64 s[6:7], s[6:7]
	v_mov_b32_e32 v6, s10
	s_xor_b64 exec, exec, s[6:7]
	s_cbranch_execz .LBB29_1230
.LBB29_3280:
	v_mov_b32_e32 v6, 0
	v_cmp_ne_u16_sdwa s[8:9], v3, v6 src0_sel:BYTE_0 src1_sel:DWORD
	s_andn2_b64 s[4:5], s[4:5], exec
	s_and_b64 s[8:9], s[8:9], exec
	s_or_b64 s[4:5], s[4:5], s[8:9]
	s_or_b64 exec, exec, s[6:7]
	s_and_saveexec_b64 s[6:7], s[4:5]
	s_cbranch_execnz .LBB29_1231
	s_branch .LBB29_1232
.LBB29_3281:
	s_movk_i32 s4, 0x80
	v_cmp_eq_u16_e32 vcc, s4, v3
	s_mov_b64 s[4:5], -1
                                        ; implicit-def: $sgpr10
	s_and_saveexec_b64 s[8:9], vcc
; %bb.3282:
	s_mov_b32 s10, 0x7f800001
	s_xor_b64 s[4:5], exec, -1
; %bb.3283:
	s_or_b64 exec, exec, s[8:9]
	s_and_b64 s[4:5], s[4:5], exec
                                        ; implicit-def: $vgpr3
	s_or_saveexec_b64 s[6:7], s[6:7]
	v_mov_b32_e32 v2, s10
	s_xor_b64 exec, exec, s[6:7]
	s_cbranch_execz .LBB29_1234
.LBB29_3284:
	v_cmp_ne_u16_e32 vcc, 0, v3
	s_andn2_b64 s[4:5], s[4:5], exec
	s_and_b64 s[8:9], vcc, exec
	v_mov_b32_e32 v2, 0
	s_or_b64 s[4:5], s[4:5], s[8:9]
	s_or_b64 exec, exec, s[6:7]
	s_and_saveexec_b64 s[6:7], s[4:5]
	s_cbranch_execnz .LBB29_1235
	s_branch .LBB29_1236
.LBB29_3285:
	s_movk_i32 s4, 0x80
	v_cmp_eq_u16_e32 vcc, s4, v3
	s_mov_b64 s[4:5], -1
                                        ; implicit-def: $sgpr10
	s_and_saveexec_b64 s[8:9], vcc
; %bb.3286:
	s_mov_b32 s10, 0x7f800001
	s_xor_b64 s[4:5], exec, -1
; %bb.3287:
	s_or_b64 exec, exec, s[8:9]
	s_and_b64 s[4:5], s[4:5], exec
                                        ; implicit-def: $vgpr3
	s_or_saveexec_b64 s[6:7], s[6:7]
	v_mov_b32_e32 v6, s10
	s_xor_b64 exec, exec, s[6:7]
	s_cbranch_execz .LBB29_1238
.LBB29_3288:
	v_cmp_ne_u16_e32 vcc, 0, v3
	s_andn2_b64 s[4:5], s[4:5], exec
	s_and_b64 s[8:9], vcc, exec
	v_mov_b32_e32 v6, 0
	s_or_b64 s[4:5], s[4:5], s[8:9]
	s_or_b64 exec, exec, s[6:7]
	s_and_saveexec_b64 s[6:7], s[4:5]
	s_cbranch_execnz .LBB29_1239
	s_branch .LBB29_1240
.LBB29_3289:
	s_movk_i32 s4, 0x80
	v_cmp_eq_u16_sdwa s[12:13], v8, s4 src0_sel:BYTE_3 src1_sel:DWORD
	s_mov_b64 s[4:5], -1
                                        ; implicit-def: $sgpr10
	s_and_saveexec_b64 s[8:9], s[12:13]
; %bb.3290:
	s_mov_b32 s10, 0x7f800001
	s_xor_b64 s[4:5], exec, -1
; %bb.3291:
	s_or_b64 exec, exec, s[8:9]
	s_and_b64 s[4:5], s[4:5], exec
	s_or_saveexec_b64 s[6:7], s[6:7]
	v_mov_b32_e32 v2, s10
	s_xor_b64 exec, exec, s[6:7]
	s_cbranch_execz .LBB29_1242
.LBB29_3292:
	v_mov_b32_e32 v2, 0
	v_cmp_ne_u16_sdwa s[8:9], v8, v2 src0_sel:BYTE_3 src1_sel:DWORD
	s_andn2_b64 s[4:5], s[4:5], exec
	s_and_b64 s[8:9], s[8:9], exec
	s_or_b64 s[4:5], s[4:5], s[8:9]
	s_or_b64 exec, exec, s[6:7]
	s_and_saveexec_b64 s[6:7], s[4:5]
	s_cbranch_execnz .LBB29_1243
	s_branch .LBB29_1244
.LBB29_3293:
	s_movk_i32 s4, 0x80
	v_cmp_eq_u16_sdwa s[12:13], v4, s4 src0_sel:BYTE_3 src1_sel:DWORD
	s_mov_b64 s[4:5], -1
                                        ; implicit-def: $sgpr10
	s_and_saveexec_b64 s[8:9], s[12:13]
; %bb.3294:
	s_mov_b32 s10, 0x7f800001
	s_xor_b64 s[4:5], exec, -1
; %bb.3295:
	s_or_b64 exec, exec, s[8:9]
	s_and_b64 s[4:5], s[4:5], exec
	s_or_saveexec_b64 s[6:7], s[6:7]
	v_mov_b32_e32 v3, s10
	s_xor_b64 exec, exec, s[6:7]
	s_cbranch_execz .LBB29_1246
.LBB29_3296:
	v_mov_b32_e32 v3, 0
	v_cmp_ne_u16_sdwa s[8:9], v4, v3 src0_sel:BYTE_3 src1_sel:DWORD
	s_andn2_b64 s[4:5], s[4:5], exec
	s_and_b64 s[8:9], s[8:9], exec
	s_or_b64 s[4:5], s[4:5], s[8:9]
	s_or_b64 exec, exec, s[6:7]
	s_and_saveexec_b64 s[6:7], s[4:5]
	s_cbranch_execnz .LBB29_1247
	s_branch .LBB29_1248
.LBB29_3297:
	s_movk_i32 s4, 0x80
	v_cmp_eq_u16_sdwa s[12:13], v9, s4 src0_sel:BYTE_0 src1_sel:DWORD
	s_mov_b64 s[4:5], -1
                                        ; implicit-def: $sgpr10
	s_and_saveexec_b64 s[8:9], s[12:13]
; %bb.3298:
	s_mov_b32 s10, 0x7f800001
	s_xor_b64 s[4:5], exec, -1
; %bb.3299:
	s_or_b64 exec, exec, s[8:9]
	s_and_b64 s[4:5], s[4:5], exec
	s_or_saveexec_b64 s[6:7], s[6:7]
	v_mov_b32_e32 v2, s10
	s_xor_b64 exec, exec, s[6:7]
	s_cbranch_execz .LBB29_1250
.LBB29_3300:
	v_mov_b32_e32 v2, 0
	v_cmp_ne_u16_sdwa s[8:9], v9, v2 src0_sel:BYTE_0 src1_sel:DWORD
	s_andn2_b64 s[4:5], s[4:5], exec
	s_and_b64 s[8:9], s[8:9], exec
	s_or_b64 s[4:5], s[4:5], s[8:9]
	s_or_b64 exec, exec, s[6:7]
	s_and_saveexec_b64 s[6:7], s[4:5]
	s_cbranch_execnz .LBB29_1251
	s_branch .LBB29_1252
.LBB29_3301:
	s_movk_i32 s4, 0x80
	v_cmp_eq_u16_sdwa s[12:13], v5, s4 src0_sel:BYTE_0 src1_sel:DWORD
	s_mov_b64 s[4:5], -1
                                        ; implicit-def: $sgpr10
	s_and_saveexec_b64 s[8:9], s[12:13]
; %bb.3302:
	s_mov_b32 s10, 0x7f800001
	s_xor_b64 s[4:5], exec, -1
; %bb.3303:
	s_or_b64 exec, exec, s[8:9]
	s_and_b64 s[4:5], s[4:5], exec
	s_or_saveexec_b64 s[6:7], s[6:7]
	v_mov_b32_e32 v3, s10
	s_xor_b64 exec, exec, s[6:7]
	s_cbranch_execz .LBB29_1254
.LBB29_3304:
	v_mov_b32_e32 v3, 0
	v_cmp_ne_u16_sdwa s[8:9], v5, v3 src0_sel:BYTE_0 src1_sel:DWORD
	s_andn2_b64 s[4:5], s[4:5], exec
	s_and_b64 s[8:9], s[8:9], exec
	s_or_b64 s[4:5], s[4:5], s[8:9]
	s_or_b64 exec, exec, s[6:7]
	s_and_saveexec_b64 s[6:7], s[4:5]
	s_cbranch_execnz .LBB29_1255
	s_branch .LBB29_1256
.LBB29_3305:
	s_movk_i32 s4, 0x80
	v_cmp_eq_u16_sdwa s[12:13], v3, s4 src0_sel:BYTE_0 src1_sel:DWORD
	s_mov_b64 s[4:5], -1
                                        ; implicit-def: $sgpr10
	s_and_saveexec_b64 s[8:9], s[12:13]
; %bb.3306:
	s_mov_b32 s10, 0x7f800001
	s_xor_b64 s[4:5], exec, -1
; %bb.3307:
	s_or_b64 exec, exec, s[8:9]
	s_and_b64 s[4:5], s[4:5], exec
	s_or_saveexec_b64 s[6:7], s[6:7]
	v_mov_b32_e32 v2, s10
	s_xor_b64 exec, exec, s[6:7]
	s_cbranch_execz .LBB29_1258
.LBB29_3308:
	v_mov_b32_e32 v2, 0
	v_cmp_ne_u16_sdwa s[8:9], v3, v2 src0_sel:BYTE_0 src1_sel:DWORD
	s_andn2_b64 s[4:5], s[4:5], exec
	s_and_b64 s[8:9], s[8:9], exec
	s_or_b64 s[4:5], s[4:5], s[8:9]
	s_or_b64 exec, exec, s[6:7]
	s_and_saveexec_b64 s[6:7], s[4:5]
	s_cbranch_execnz .LBB29_1259
	s_branch .LBB29_1260
.LBB29_3309:
	s_movk_i32 s4, 0x80
	v_cmp_eq_u16_sdwa s[12:13], v3, s4 src0_sel:BYTE_0 src1_sel:DWORD
	s_mov_b64 s[4:5], -1
                                        ; implicit-def: $sgpr10
	s_and_saveexec_b64 s[8:9], s[12:13]
; %bb.3310:
	s_mov_b32 s10, 0x7f800001
	s_xor_b64 s[4:5], exec, -1
; %bb.3311:
	s_or_b64 exec, exec, s[8:9]
	s_and_b64 s[4:5], s[4:5], exec
	s_or_saveexec_b64 s[6:7], s[6:7]
	v_mov_b32_e32 v4, s10
	s_xor_b64 exec, exec, s[6:7]
	s_cbranch_execz .LBB29_1262
.LBB29_3312:
	v_mov_b32_e32 v4, 0
	v_cmp_ne_u16_sdwa s[8:9], v3, v4 src0_sel:BYTE_0 src1_sel:DWORD
	s_andn2_b64 s[4:5], s[4:5], exec
	s_and_b64 s[8:9], s[8:9], exec
	s_or_b64 s[4:5], s[4:5], s[8:9]
	s_or_b64 exec, exec, s[6:7]
	s_and_saveexec_b64 s[6:7], s[4:5]
	s_cbranch_execnz .LBB29_1263
	s_branch .LBB29_1264
.LBB29_3313:
	s_movk_i32 s4, 0x80
	v_cmp_eq_u16_e32 vcc, s4, v3
	s_mov_b64 s[4:5], -1
                                        ; implicit-def: $sgpr10
	s_and_saveexec_b64 s[8:9], vcc
; %bb.3314:
	s_mov_b32 s10, 0x7f800001
	s_xor_b64 s[4:5], exec, -1
; %bb.3315:
	s_or_b64 exec, exec, s[8:9]
	s_and_b64 s[4:5], s[4:5], exec
                                        ; implicit-def: $vgpr3
	s_or_saveexec_b64 s[6:7], s[6:7]
	v_mov_b32_e32 v2, s10
	s_xor_b64 exec, exec, s[6:7]
	s_cbranch_execz .LBB29_1266
.LBB29_3316:
	v_cmp_ne_u16_e32 vcc, 0, v3
	s_andn2_b64 s[4:5], s[4:5], exec
	s_and_b64 s[8:9], vcc, exec
	v_mov_b32_e32 v2, 0
	s_or_b64 s[4:5], s[4:5], s[8:9]
	s_or_b64 exec, exec, s[6:7]
	s_and_saveexec_b64 s[6:7], s[4:5]
	s_cbranch_execnz .LBB29_1267
	s_branch .LBB29_1268
.LBB29_3317:
	s_movk_i32 s4, 0x80
	v_cmp_eq_u16_e32 vcc, s4, v3
	s_mov_b64 s[4:5], -1
                                        ; implicit-def: $sgpr10
	s_and_saveexec_b64 s[8:9], vcc
; %bb.3318:
	s_mov_b32 s10, 0x7f800001
	s_xor_b64 s[4:5], exec, -1
; %bb.3319:
	s_or_b64 exec, exec, s[8:9]
	s_and_b64 s[4:5], s[4:5], exec
                                        ; implicit-def: $vgpr3
	s_or_saveexec_b64 s[6:7], s[6:7]
	v_mov_b32_e32 v4, s10
	s_xor_b64 exec, exec, s[6:7]
	s_cbranch_execz .LBB29_1270
.LBB29_3320:
	v_cmp_ne_u16_e32 vcc, 0, v3
	s_andn2_b64 s[4:5], s[4:5], exec
	s_and_b64 s[8:9], vcc, exec
	v_mov_b32_e32 v4, 0
	s_or_b64 s[4:5], s[4:5], s[8:9]
	s_or_b64 exec, exec, s[6:7]
	s_and_saveexec_b64 s[6:7], s[4:5]
	s_cbranch_execnz .LBB29_1271
	s_branch .LBB29_1272
.LBB29_3321:
	s_movk_i32 s4, 0x80
	v_cmp_eq_u16_sdwa s[12:13], v9, s4 src0_sel:BYTE_3 src1_sel:DWORD
	s_mov_b64 s[4:5], -1
                                        ; implicit-def: $sgpr10
	s_and_saveexec_b64 s[8:9], s[12:13]
; %bb.3322:
	s_mov_b32 s10, 0x7f800001
	s_xor_b64 s[4:5], exec, -1
; %bb.3323:
	s_or_b64 exec, exec, s[8:9]
	s_and_b64 s[4:5], s[4:5], exec
	s_or_saveexec_b64 s[6:7], s[6:7]
	v_mov_b32_e32 v2, s10
	s_xor_b64 exec, exec, s[6:7]
	s_cbranch_execz .LBB29_1274
.LBB29_3324:
	v_mov_b32_e32 v2, 0
	v_cmp_ne_u16_sdwa s[8:9], v9, v2 src0_sel:BYTE_3 src1_sel:DWORD
	s_andn2_b64 s[4:5], s[4:5], exec
	s_and_b64 s[8:9], s[8:9], exec
	s_or_b64 s[4:5], s[4:5], s[8:9]
	s_or_b64 exec, exec, s[6:7]
	s_and_saveexec_b64 s[6:7], s[4:5]
	s_cbranch_execnz .LBB29_1275
	s_branch .LBB29_1276
.LBB29_3325:
	s_movk_i32 s4, 0x80
	v_cmp_eq_u16_sdwa s[12:13], v5, s4 src0_sel:BYTE_3 src1_sel:DWORD
	s_mov_b64 s[4:5], -1
                                        ; implicit-def: $sgpr10
	s_and_saveexec_b64 s[8:9], s[12:13]
; %bb.3326:
	s_mov_b32 s10, 0x7f800001
	s_xor_b64 s[4:5], exec, -1
; %bb.3327:
	s_or_b64 exec, exec, s[8:9]
	s_and_b64 s[4:5], s[4:5], exec
	s_or_saveexec_b64 s[6:7], s[6:7]
	v_mov_b32_e32 v3, s10
	s_xor_b64 exec, exec, s[6:7]
	s_cbranch_execz .LBB29_1278
.LBB29_3328:
	v_mov_b32_e32 v3, 0
	v_cmp_ne_u16_sdwa s[8:9], v5, v3 src0_sel:BYTE_3 src1_sel:DWORD
	s_andn2_b64 s[4:5], s[4:5], exec
	s_and_b64 s[8:9], s[8:9], exec
	s_or_b64 s[4:5], s[4:5], s[8:9]
	s_or_b64 exec, exec, s[6:7]
	s_and_saveexec_b64 s[6:7], s[4:5]
	s_cbranch_execnz .LBB29_1279
	s_branch .LBB29_1280
.LBB29_3329:
	s_movk_i32 s4, 0x80
	v_cmp_eq_u16_sdwa s[12:13], v14, s4 src0_sel:BYTE_0 src1_sel:DWORD
	s_mov_b64 s[4:5], -1
                                        ; implicit-def: $sgpr10
	s_and_saveexec_b64 s[8:9], s[12:13]
; %bb.3330:
	s_mov_b32 s10, 0x7f800001
	s_xor_b64 s[4:5], exec, -1
; %bb.3331:
	s_or_b64 exec, exec, s[8:9]
	s_and_b64 s[4:5], s[4:5], exec
	s_or_saveexec_b64 s[6:7], s[6:7]
	v_mov_b32_e32 v20, s10
	s_xor_b64 exec, exec, s[6:7]
	s_cbranch_execz .LBB29_1282
.LBB29_3332:
	v_mov_b32_e32 v20, 0
	v_cmp_ne_u16_sdwa s[8:9], v14, v20 src0_sel:BYTE_0 src1_sel:DWORD
	s_andn2_b64 s[4:5], s[4:5], exec
	s_and_b64 s[8:9], s[8:9], exec
	s_or_b64 s[4:5], s[4:5], s[8:9]
	s_or_b64 exec, exec, s[6:7]
	s_and_saveexec_b64 s[6:7], s[4:5]
	s_cbranch_execnz .LBB29_1283
	s_branch .LBB29_1284
.LBB29_3333:
	s_movk_i32 s4, 0x80
	v_cmp_eq_u16_sdwa s[12:13], v10, s4 src0_sel:BYTE_0 src1_sel:DWORD
	s_mov_b64 s[4:5], -1
                                        ; implicit-def: $sgpr10
	s_and_saveexec_b64 s[8:9], s[12:13]
; %bb.3334:
	s_mov_b32 s10, 0x7f800001
	s_xor_b64 s[4:5], exec, -1
; %bb.3335:
	s_or_b64 exec, exec, s[8:9]
	s_and_b64 s[4:5], s[4:5], exec
	s_or_saveexec_b64 s[6:7], s[6:7]
	v_mov_b32_e32 v21, s10
	s_xor_b64 exec, exec, s[6:7]
	s_cbranch_execz .LBB29_1286
.LBB29_3336:
	v_mov_b32_e32 v21, 0
	v_cmp_ne_u16_sdwa s[8:9], v10, v21 src0_sel:BYTE_0 src1_sel:DWORD
	s_andn2_b64 s[4:5], s[4:5], exec
	s_and_b64 s[8:9], s[8:9], exec
	s_or_b64 s[4:5], s[4:5], s[8:9]
	s_or_b64 exec, exec, s[6:7]
	s_and_saveexec_b64 s[6:7], s[4:5]
	s_cbranch_execnz .LBB29_1287
	s_branch .LBB29_1288
.LBB29_3337:
	s_movk_i32 s4, 0x80
	v_cmp_eq_u16_sdwa s[12:13], v21, s4 src0_sel:BYTE_0 src1_sel:DWORD
	s_mov_b64 s[4:5], -1
                                        ; implicit-def: $sgpr10
	s_and_saveexec_b64 s[8:9], s[12:13]
; %bb.3338:
	s_mov_b32 s10, 0x7f800001
	s_xor_b64 s[4:5], exec, -1
; %bb.3339:
	s_or_b64 exec, exec, s[8:9]
	s_and_b64 s[4:5], s[4:5], exec
	s_or_saveexec_b64 s[6:7], s[6:7]
	v_mov_b32_e32 v20, s10
	s_xor_b64 exec, exec, s[6:7]
	s_cbranch_execz .LBB29_1290
.LBB29_3340:
	v_mov_b32_e32 v20, 0
	v_cmp_ne_u16_sdwa s[8:9], v21, v20 src0_sel:BYTE_0 src1_sel:DWORD
	s_andn2_b64 s[4:5], s[4:5], exec
	s_and_b64 s[8:9], s[8:9], exec
	s_or_b64 s[4:5], s[4:5], s[8:9]
	s_or_b64 exec, exec, s[6:7]
	s_and_saveexec_b64 s[6:7], s[4:5]
	s_cbranch_execnz .LBB29_1291
	s_branch .LBB29_1292
.LBB29_3341:
	s_movk_i32 s4, 0x80
	v_cmp_eq_u16_sdwa s[12:13], v21, s4 src0_sel:BYTE_0 src1_sel:DWORD
	s_mov_b64 s[4:5], -1
                                        ; implicit-def: $sgpr10
	s_and_saveexec_b64 s[8:9], s[12:13]
; %bb.3342:
	s_mov_b32 s10, 0x7f800001
	s_xor_b64 s[4:5], exec, -1
; %bb.3343:
	s_or_b64 exec, exec, s[8:9]
	s_and_b64 s[4:5], s[4:5], exec
	s_or_saveexec_b64 s[6:7], s[6:7]
	v_mov_b32_e32 v22, s10
	s_xor_b64 exec, exec, s[6:7]
	s_cbranch_execz .LBB29_1294
.LBB29_3344:
	v_mov_b32_e32 v22, 0
	v_cmp_ne_u16_sdwa s[8:9], v21, v22 src0_sel:BYTE_0 src1_sel:DWORD
	s_andn2_b64 s[4:5], s[4:5], exec
	s_and_b64 s[8:9], s[8:9], exec
	s_or_b64 s[4:5], s[4:5], s[8:9]
	s_or_b64 exec, exec, s[6:7]
	s_and_saveexec_b64 s[6:7], s[4:5]
	s_cbranch_execnz .LBB29_1295
	s_branch .LBB29_1296
.LBB29_3345:
	s_movk_i32 s4, 0x80
	v_cmp_eq_u16_e32 vcc, s4, v21
	s_mov_b64 s[4:5], -1
                                        ; implicit-def: $sgpr10
	s_and_saveexec_b64 s[8:9], vcc
; %bb.3346:
	s_mov_b32 s10, 0x7f800001
	s_xor_b64 s[4:5], exec, -1
; %bb.3347:
	s_or_b64 exec, exec, s[8:9]
	s_and_b64 s[4:5], s[4:5], exec
                                        ; implicit-def: $vgpr21
	s_or_saveexec_b64 s[6:7], s[6:7]
	v_mov_b32_e32 v20, s10
	s_xor_b64 exec, exec, s[6:7]
	s_cbranch_execz .LBB29_1298
.LBB29_3348:
	v_cmp_ne_u16_e32 vcc, 0, v21
	s_andn2_b64 s[4:5], s[4:5], exec
	s_and_b64 s[8:9], vcc, exec
	v_mov_b32_e32 v20, 0
	s_or_b64 s[4:5], s[4:5], s[8:9]
	s_or_b64 exec, exec, s[6:7]
	s_and_saveexec_b64 s[6:7], s[4:5]
	s_cbranch_execnz .LBB29_1299
	s_branch .LBB29_1300
.LBB29_3349:
	s_movk_i32 s4, 0x80
	v_cmp_eq_u16_e32 vcc, s4, v21
	s_mov_b64 s[4:5], -1
                                        ; implicit-def: $sgpr10
	s_and_saveexec_b64 s[8:9], vcc
; %bb.3350:
	s_mov_b32 s10, 0x7f800001
	s_xor_b64 s[4:5], exec, -1
; %bb.3351:
	s_or_b64 exec, exec, s[8:9]
	s_and_b64 s[4:5], s[4:5], exec
                                        ; implicit-def: $vgpr21
	s_or_saveexec_b64 s[6:7], s[6:7]
	v_mov_b32_e32 v22, s10
	s_xor_b64 exec, exec, s[6:7]
	s_cbranch_execz .LBB29_1302
.LBB29_3352:
	v_cmp_ne_u16_e32 vcc, 0, v21
	s_andn2_b64 s[4:5], s[4:5], exec
	s_and_b64 s[8:9], vcc, exec
	v_mov_b32_e32 v22, 0
	s_or_b64 s[4:5], s[4:5], s[8:9]
	s_or_b64 exec, exec, s[6:7]
	s_and_saveexec_b64 s[6:7], s[4:5]
	s_cbranch_execnz .LBB29_1303
	s_branch .LBB29_1304
.LBB29_3353:
	s_movk_i32 s4, 0x80
	v_cmp_eq_u16_sdwa s[12:13], v14, s4 src0_sel:BYTE_3 src1_sel:DWORD
	s_mov_b64 s[4:5], -1
                                        ; implicit-def: $sgpr10
	s_and_saveexec_b64 s[8:9], s[12:13]
; %bb.3354:
	s_mov_b32 s10, 0x7f800001
	s_xor_b64 s[4:5], exec, -1
; %bb.3355:
	s_or_b64 exec, exec, s[8:9]
	s_and_b64 s[4:5], s[4:5], exec
	s_or_saveexec_b64 s[6:7], s[6:7]
	v_mov_b32_e32 v20, s10
	s_xor_b64 exec, exec, s[6:7]
	s_cbranch_execz .LBB29_1306
.LBB29_3356:
	v_mov_b32_e32 v20, 0
	v_cmp_ne_u16_sdwa s[8:9], v14, v20 src0_sel:BYTE_3 src1_sel:DWORD
	s_andn2_b64 s[4:5], s[4:5], exec
	s_and_b64 s[8:9], s[8:9], exec
	s_or_b64 s[4:5], s[4:5], s[8:9]
	s_or_b64 exec, exec, s[6:7]
	s_and_saveexec_b64 s[6:7], s[4:5]
	s_cbranch_execnz .LBB29_1307
	s_branch .LBB29_1308
.LBB29_3357:
	s_movk_i32 s4, 0x80
	v_cmp_eq_u16_sdwa s[12:13], v10, s4 src0_sel:BYTE_3 src1_sel:DWORD
	s_mov_b64 s[4:5], -1
                                        ; implicit-def: $sgpr10
	s_and_saveexec_b64 s[8:9], s[12:13]
; %bb.3358:
	s_mov_b32 s10, 0x7f800001
	s_xor_b64 s[4:5], exec, -1
; %bb.3359:
	s_or_b64 exec, exec, s[8:9]
	s_and_b64 s[4:5], s[4:5], exec
	s_or_saveexec_b64 s[6:7], s[6:7]
	v_mov_b32_e32 v14, s10
	s_xor_b64 exec, exec, s[6:7]
	s_cbranch_execz .LBB29_1310
.LBB29_3360:
	v_mov_b32_e32 v14, 0
	v_cmp_ne_u16_sdwa s[8:9], v10, v14 src0_sel:BYTE_3 src1_sel:DWORD
	s_andn2_b64 s[4:5], s[4:5], exec
	s_and_b64 s[8:9], s[8:9], exec
	s_or_b64 s[4:5], s[4:5], s[8:9]
	s_or_b64 exec, exec, s[6:7]
	s_and_saveexec_b64 s[6:7], s[4:5]
	s_cbranch_execnz .LBB29_1311
	s_branch .LBB29_1312
.LBB29_3361:
	s_movk_i32 s4, 0x80
	v_cmp_eq_u16_sdwa s[12:13], v15, s4 src0_sel:BYTE_0 src1_sel:DWORD
	s_mov_b64 s[4:5], -1
                                        ; implicit-def: $sgpr10
	s_and_saveexec_b64 s[8:9], s[12:13]
; %bb.3362:
	s_mov_b32 s10, 0x7f800001
	s_xor_b64 s[4:5], exec, -1
; %bb.3363:
	s_or_b64 exec, exec, s[8:9]
	s_and_b64 s[4:5], s[4:5], exec
	s_or_saveexec_b64 s[6:7], s[6:7]
	v_mov_b32_e32 v10, s10
	s_xor_b64 exec, exec, s[6:7]
	s_cbranch_execz .LBB29_1314
.LBB29_3364:
	v_mov_b32_e32 v10, 0
	v_cmp_ne_u16_sdwa s[8:9], v15, v10 src0_sel:BYTE_0 src1_sel:DWORD
	s_andn2_b64 s[4:5], s[4:5], exec
	s_and_b64 s[8:9], s[8:9], exec
	s_or_b64 s[4:5], s[4:5], s[8:9]
	s_or_b64 exec, exec, s[6:7]
	s_and_saveexec_b64 s[6:7], s[4:5]
	s_cbranch_execnz .LBB29_1315
	s_branch .LBB29_1316
.LBB29_3365:
	s_movk_i32 s4, 0x80
	v_cmp_eq_u16_sdwa s[12:13], v11, s4 src0_sel:BYTE_0 src1_sel:DWORD
	s_mov_b64 s[4:5], -1
                                        ; implicit-def: $sgpr10
	s_and_saveexec_b64 s[8:9], s[12:13]
; %bb.3366:
	s_mov_b32 s10, 0x7f800001
	s_xor_b64 s[4:5], exec, -1
; %bb.3367:
	s_or_b64 exec, exec, s[8:9]
	s_and_b64 s[4:5], s[4:5], exec
	s_or_saveexec_b64 s[6:7], s[6:7]
	v_mov_b32_e32 v14, s10
	s_xor_b64 exec, exec, s[6:7]
	s_cbranch_execz .LBB29_1318
.LBB29_3368:
	v_mov_b32_e32 v14, 0
	v_cmp_ne_u16_sdwa s[8:9], v11, v14 src0_sel:BYTE_0 src1_sel:DWORD
	s_andn2_b64 s[4:5], s[4:5], exec
	s_and_b64 s[8:9], s[8:9], exec
	s_or_b64 s[4:5], s[4:5], s[8:9]
	s_or_b64 exec, exec, s[6:7]
	s_and_saveexec_b64 s[6:7], s[4:5]
	s_cbranch_execnz .LBB29_1319
	s_branch .LBB29_1320
.LBB29_3369:
	s_movk_i32 s4, 0x80
	v_cmp_eq_u16_sdwa s[12:13], v14, s4 src0_sel:BYTE_0 src1_sel:DWORD
	s_mov_b64 s[4:5], -1
                                        ; implicit-def: $sgpr10
	s_and_saveexec_b64 s[8:9], s[12:13]
; %bb.3370:
	s_mov_b32 s10, 0x7f800001
	s_xor_b64 s[4:5], exec, -1
; %bb.3371:
	s_or_b64 exec, exec, s[8:9]
	s_and_b64 s[4:5], s[4:5], exec
	s_or_saveexec_b64 s[6:7], s[6:7]
	v_mov_b32_e32 v10, s10
	s_xor_b64 exec, exec, s[6:7]
	s_cbranch_execz .LBB29_1322
.LBB29_3372:
	v_mov_b32_e32 v10, 0
	v_cmp_ne_u16_sdwa s[8:9], v14, v10 src0_sel:BYTE_0 src1_sel:DWORD
	s_andn2_b64 s[4:5], s[4:5], exec
	s_and_b64 s[8:9], s[8:9], exec
	s_or_b64 s[4:5], s[4:5], s[8:9]
	s_or_b64 exec, exec, s[6:7]
	s_and_saveexec_b64 s[6:7], s[4:5]
	s_cbranch_execnz .LBB29_1323
	s_branch .LBB29_1324
.LBB29_3373:
	s_movk_i32 s4, 0x80
	v_cmp_eq_u16_sdwa s[12:13], v14, s4 src0_sel:BYTE_0 src1_sel:DWORD
	s_mov_b64 s[4:5], -1
                                        ; implicit-def: $sgpr10
	s_and_saveexec_b64 s[8:9], s[12:13]
; %bb.3374:
	s_mov_b32 s10, 0x7f800001
	s_xor_b64 s[4:5], exec, -1
; %bb.3375:
	s_or_b64 exec, exec, s[8:9]
	s_and_b64 s[4:5], s[4:5], exec
	s_or_saveexec_b64 s[6:7], s[6:7]
	v_mov_b32_e32 v20, s10
	s_xor_b64 exec, exec, s[6:7]
	s_cbranch_execz .LBB29_1326
.LBB29_3376:
	v_mov_b32_e32 v20, 0
	v_cmp_ne_u16_sdwa s[8:9], v14, v20 src0_sel:BYTE_0 src1_sel:DWORD
	s_andn2_b64 s[4:5], s[4:5], exec
	s_and_b64 s[8:9], s[8:9], exec
	s_or_b64 s[4:5], s[4:5], s[8:9]
	s_or_b64 exec, exec, s[6:7]
	s_and_saveexec_b64 s[6:7], s[4:5]
	s_cbranch_execnz .LBB29_1327
	s_branch .LBB29_1328
.LBB29_3377:
	s_movk_i32 s4, 0x80
	v_cmp_eq_u16_e32 vcc, s4, v14
	s_mov_b64 s[4:5], -1
                                        ; implicit-def: $sgpr10
	s_and_saveexec_b64 s[8:9], vcc
; %bb.3378:
	s_mov_b32 s10, 0x7f800001
	s_xor_b64 s[4:5], exec, -1
; %bb.3379:
	s_or_b64 exec, exec, s[8:9]
	s_and_b64 s[4:5], s[4:5], exec
                                        ; implicit-def: $vgpr14
	s_or_saveexec_b64 s[6:7], s[6:7]
	v_mov_b32_e32 v10, s10
	s_xor_b64 exec, exec, s[6:7]
	s_cbranch_execz .LBB29_1330
.LBB29_3380:
	v_cmp_ne_u16_e32 vcc, 0, v14
	s_andn2_b64 s[4:5], s[4:5], exec
	s_and_b64 s[8:9], vcc, exec
	v_mov_b32_e32 v10, 0
	s_or_b64 s[4:5], s[4:5], s[8:9]
	s_or_b64 exec, exec, s[6:7]
	s_and_saveexec_b64 s[6:7], s[4:5]
	s_cbranch_execnz .LBB29_1331
	s_branch .LBB29_1332
.LBB29_3381:
	s_movk_i32 s4, 0x80
	v_cmp_eq_u16_e32 vcc, s4, v14
	s_mov_b64 s[4:5], -1
                                        ; implicit-def: $sgpr10
	s_and_saveexec_b64 s[8:9], vcc
; %bb.3382:
	s_mov_b32 s10, 0x7f800001
	s_xor_b64 s[4:5], exec, -1
; %bb.3383:
	s_or_b64 exec, exec, s[8:9]
	s_and_b64 s[4:5], s[4:5], exec
                                        ; implicit-def: $vgpr14
	s_or_saveexec_b64 s[6:7], s[6:7]
	v_mov_b32_e32 v20, s10
	s_xor_b64 exec, exec, s[6:7]
	s_cbranch_execz .LBB29_1334
.LBB29_3384:
	v_cmp_ne_u16_e32 vcc, 0, v14
	s_andn2_b64 s[4:5], s[4:5], exec
	s_and_b64 s[8:9], vcc, exec
	v_mov_b32_e32 v20, 0
	s_or_b64 s[4:5], s[4:5], s[8:9]
	s_or_b64 exec, exec, s[6:7]
	s_and_saveexec_b64 s[6:7], s[4:5]
	s_cbranch_execnz .LBB29_1335
	s_branch .LBB29_1336
.LBB29_3385:
	s_movk_i32 s4, 0x80
	v_cmp_eq_u16_sdwa s[12:13], v15, s4 src0_sel:BYTE_3 src1_sel:DWORD
	s_mov_b64 s[4:5], -1
                                        ; implicit-def: $sgpr10
	s_and_saveexec_b64 s[8:9], s[12:13]
; %bb.3386:
	s_mov_b32 s10, 0x7f800001
	s_xor_b64 s[4:5], exec, -1
; %bb.3387:
	s_or_b64 exec, exec, s[8:9]
	s_and_b64 s[4:5], s[4:5], exec
	s_or_saveexec_b64 s[6:7], s[6:7]
	v_mov_b32_e32 v10, s10
	s_xor_b64 exec, exec, s[6:7]
	s_cbranch_execz .LBB29_1338
.LBB29_3388:
	v_mov_b32_e32 v10, 0
	v_cmp_ne_u16_sdwa s[8:9], v15, v10 src0_sel:BYTE_3 src1_sel:DWORD
	s_andn2_b64 s[4:5], s[4:5], exec
	s_and_b64 s[8:9], s[8:9], exec
	s_or_b64 s[4:5], s[4:5], s[8:9]
	s_or_b64 exec, exec, s[6:7]
	s_and_saveexec_b64 s[6:7], s[4:5]
	s_cbranch_execnz .LBB29_1339
	s_branch .LBB29_1340
.LBB29_3389:
	s_movk_i32 s4, 0x80
	v_cmp_eq_u16_sdwa s[12:13], v11, s4 src0_sel:BYTE_3 src1_sel:DWORD
	s_mov_b64 s[4:5], -1
                                        ; implicit-def: $sgpr10
	s_and_saveexec_b64 s[8:9], s[12:13]
; %bb.3390:
	s_mov_b32 s10, 0x7f800001
	s_xor_b64 s[4:5], exec, -1
; %bb.3391:
	s_or_b64 exec, exec, s[8:9]
	s_and_b64 s[4:5], s[4:5], exec
	s_or_saveexec_b64 s[6:7], s[6:7]
	v_mov_b32_e32 v14, s10
	s_xor_b64 exec, exec, s[6:7]
	s_cbranch_execz .LBB29_1342
.LBB29_3392:
	v_mov_b32_e32 v14, 0
	v_cmp_ne_u16_sdwa s[8:9], v11, v14 src0_sel:BYTE_3 src1_sel:DWORD
	s_andn2_b64 s[4:5], s[4:5], exec
	s_and_b64 s[8:9], s[8:9], exec
	s_or_b64 s[4:5], s[4:5], s[8:9]
	s_or_b64 exec, exec, s[6:7]
	s_and_saveexec_b64 s[6:7], s[4:5]
	s_cbranch_execnz .LBB29_1343
	s_branch .LBB29_1344
.LBB29_3393:
	s_movk_i32 s4, 0x80
	v_cmp_eq_u16_sdwa s[12:13], v16, s4 src0_sel:BYTE_0 src1_sel:DWORD
	s_mov_b64 s[4:5], -1
                                        ; implicit-def: $sgpr10
	s_and_saveexec_b64 s[8:9], s[12:13]
; %bb.3394:
	s_mov_b32 s10, 0x7f800001
	s_xor_b64 s[4:5], exec, -1
; %bb.3395:
	s_or_b64 exec, exec, s[8:9]
	s_and_b64 s[4:5], s[4:5], exec
	s_or_saveexec_b64 s[6:7], s[6:7]
	v_mov_b32_e32 v10, s10
	s_xor_b64 exec, exec, s[6:7]
	s_cbranch_execz .LBB29_1346
.LBB29_3396:
	v_mov_b32_e32 v10, 0
	v_cmp_ne_u16_sdwa s[8:9], v16, v10 src0_sel:BYTE_0 src1_sel:DWORD
	s_andn2_b64 s[4:5], s[4:5], exec
	s_and_b64 s[8:9], s[8:9], exec
	s_or_b64 s[4:5], s[4:5], s[8:9]
	s_or_b64 exec, exec, s[6:7]
	s_and_saveexec_b64 s[6:7], s[4:5]
	s_cbranch_execnz .LBB29_1347
	s_branch .LBB29_1348
.LBB29_3397:
	s_movk_i32 s4, 0x80
	v_cmp_eq_u16_sdwa s[12:13], v12, s4 src0_sel:BYTE_0 src1_sel:DWORD
	s_mov_b64 s[4:5], -1
                                        ; implicit-def: $sgpr10
	s_and_saveexec_b64 s[8:9], s[12:13]
; %bb.3398:
	s_mov_b32 s10, 0x7f800001
	s_xor_b64 s[4:5], exec, -1
; %bb.3399:
	s_or_b64 exec, exec, s[8:9]
	s_and_b64 s[4:5], s[4:5], exec
	s_or_saveexec_b64 s[6:7], s[6:7]
	v_mov_b32_e32 v11, s10
	s_xor_b64 exec, exec, s[6:7]
	s_cbranch_execz .LBB29_1350
.LBB29_3400:
	v_mov_b32_e32 v11, 0
	v_cmp_ne_u16_sdwa s[8:9], v12, v11 src0_sel:BYTE_0 src1_sel:DWORD
	s_andn2_b64 s[4:5], s[4:5], exec
	s_and_b64 s[8:9], s[8:9], exec
	s_or_b64 s[4:5], s[4:5], s[8:9]
	s_or_b64 exec, exec, s[6:7]
	s_and_saveexec_b64 s[6:7], s[4:5]
	s_cbranch_execnz .LBB29_1351
	s_branch .LBB29_1352
.LBB29_3401:
	s_movk_i32 s4, 0x80
	v_cmp_eq_u16_sdwa s[12:13], v11, s4 src0_sel:BYTE_0 src1_sel:DWORD
	s_mov_b64 s[4:5], -1
                                        ; implicit-def: $sgpr10
	s_and_saveexec_b64 s[8:9], s[12:13]
; %bb.3402:
	s_mov_b32 s10, 0x7f800001
	s_xor_b64 s[4:5], exec, -1
; %bb.3403:
	s_or_b64 exec, exec, s[8:9]
	s_and_b64 s[4:5], s[4:5], exec
	s_or_saveexec_b64 s[6:7], s[6:7]
	v_mov_b32_e32 v10, s10
	s_xor_b64 exec, exec, s[6:7]
	s_cbranch_execz .LBB29_1354
.LBB29_3404:
	v_mov_b32_e32 v10, 0
	v_cmp_ne_u16_sdwa s[8:9], v11, v10 src0_sel:BYTE_0 src1_sel:DWORD
	s_andn2_b64 s[4:5], s[4:5], exec
	s_and_b64 s[8:9], s[8:9], exec
	s_or_b64 s[4:5], s[4:5], s[8:9]
	s_or_b64 exec, exec, s[6:7]
	s_and_saveexec_b64 s[6:7], s[4:5]
	s_cbranch_execnz .LBB29_1355
	s_branch .LBB29_1356
.LBB29_3405:
	s_movk_i32 s4, 0x80
	v_cmp_eq_u16_sdwa s[12:13], v11, s4 src0_sel:BYTE_0 src1_sel:DWORD
	s_mov_b64 s[4:5], -1
                                        ; implicit-def: $sgpr10
	s_and_saveexec_b64 s[8:9], s[12:13]
; %bb.3406:
	s_mov_b32 s10, 0x7f800001
	s_xor_b64 s[4:5], exec, -1
; %bb.3407:
	s_or_b64 exec, exec, s[8:9]
	s_and_b64 s[4:5], s[4:5], exec
	s_or_saveexec_b64 s[6:7], s[6:7]
	v_mov_b32_e32 v14, s10
	s_xor_b64 exec, exec, s[6:7]
	s_cbranch_execz .LBB29_1358
.LBB29_3408:
	v_mov_b32_e32 v14, 0
	v_cmp_ne_u16_sdwa s[8:9], v11, v14 src0_sel:BYTE_0 src1_sel:DWORD
	s_andn2_b64 s[4:5], s[4:5], exec
	s_and_b64 s[8:9], s[8:9], exec
	s_or_b64 s[4:5], s[4:5], s[8:9]
	s_or_b64 exec, exec, s[6:7]
	s_and_saveexec_b64 s[6:7], s[4:5]
	s_cbranch_execnz .LBB29_1359
	s_branch .LBB29_1360
.LBB29_3409:
	s_movk_i32 s4, 0x80
	v_cmp_eq_u16_e32 vcc, s4, v11
	s_mov_b64 s[4:5], -1
                                        ; implicit-def: $sgpr10
	s_and_saveexec_b64 s[8:9], vcc
; %bb.3410:
	s_mov_b32 s10, 0x7f800001
	s_xor_b64 s[4:5], exec, -1
; %bb.3411:
	s_or_b64 exec, exec, s[8:9]
	s_and_b64 s[4:5], s[4:5], exec
                                        ; implicit-def: $vgpr11
	s_or_saveexec_b64 s[6:7], s[6:7]
	v_mov_b32_e32 v10, s10
	s_xor_b64 exec, exec, s[6:7]
	s_cbranch_execz .LBB29_1362
.LBB29_3412:
	v_cmp_ne_u16_e32 vcc, 0, v11
	s_andn2_b64 s[4:5], s[4:5], exec
	s_and_b64 s[8:9], vcc, exec
	v_mov_b32_e32 v10, 0
	s_or_b64 s[4:5], s[4:5], s[8:9]
	s_or_b64 exec, exec, s[6:7]
	s_and_saveexec_b64 s[6:7], s[4:5]
	s_cbranch_execnz .LBB29_1363
	s_branch .LBB29_1364
.LBB29_3413:
	s_movk_i32 s4, 0x80
	v_cmp_eq_u16_e32 vcc, s4, v11
	s_mov_b64 s[4:5], -1
                                        ; implicit-def: $sgpr10
	s_and_saveexec_b64 s[8:9], vcc
; %bb.3414:
	s_mov_b32 s10, 0x7f800001
	s_xor_b64 s[4:5], exec, -1
; %bb.3415:
	s_or_b64 exec, exec, s[8:9]
	s_and_b64 s[4:5], s[4:5], exec
                                        ; implicit-def: $vgpr11
	s_or_saveexec_b64 s[6:7], s[6:7]
	v_mov_b32_e32 v14, s10
	s_xor_b64 exec, exec, s[6:7]
	s_cbranch_execz .LBB29_1366
.LBB29_3416:
	v_cmp_ne_u16_e32 vcc, 0, v11
	s_andn2_b64 s[4:5], s[4:5], exec
	s_and_b64 s[8:9], vcc, exec
	v_mov_b32_e32 v14, 0
	s_or_b64 s[4:5], s[4:5], s[8:9]
	s_or_b64 exec, exec, s[6:7]
	s_and_saveexec_b64 s[6:7], s[4:5]
	s_cbranch_execnz .LBB29_1367
	s_branch .LBB29_1368
.LBB29_3417:
	s_movk_i32 s4, 0x80
	v_cmp_eq_u16_sdwa s[12:13], v16, s4 src0_sel:BYTE_3 src1_sel:DWORD
	s_mov_b64 s[4:5], -1
                                        ; implicit-def: $sgpr10
	s_and_saveexec_b64 s[8:9], s[12:13]
; %bb.3418:
	s_mov_b32 s10, 0x7f800001
	s_xor_b64 s[4:5], exec, -1
; %bb.3419:
	s_or_b64 exec, exec, s[8:9]
	s_and_b64 s[4:5], s[4:5], exec
	s_or_saveexec_b64 s[6:7], s[6:7]
	v_mov_b32_e32 v10, s10
	s_xor_b64 exec, exec, s[6:7]
	s_cbranch_execz .LBB29_1370
.LBB29_3420:
	v_mov_b32_e32 v10, 0
	v_cmp_ne_u16_sdwa s[8:9], v16, v10 src0_sel:BYTE_3 src1_sel:DWORD
	s_andn2_b64 s[4:5], s[4:5], exec
	s_and_b64 s[8:9], s[8:9], exec
	s_or_b64 s[4:5], s[4:5], s[8:9]
	s_or_b64 exec, exec, s[6:7]
	s_and_saveexec_b64 s[6:7], s[4:5]
	s_cbranch_execnz .LBB29_1371
	s_branch .LBB29_1372
.LBB29_3421:
	s_movk_i32 s4, 0x80
	v_cmp_eq_u16_sdwa s[12:13], v12, s4 src0_sel:BYTE_3 src1_sel:DWORD
	s_mov_b64 s[4:5], -1
                                        ; implicit-def: $sgpr10
	s_and_saveexec_b64 s[8:9], s[12:13]
; %bb.3422:
	s_mov_b32 s10, 0x7f800001
	s_xor_b64 s[4:5], exec, -1
; %bb.3423:
	s_or_b64 exec, exec, s[8:9]
	s_and_b64 s[4:5], s[4:5], exec
	s_or_saveexec_b64 s[6:7], s[6:7]
	v_mov_b32_e32 v11, s10
	s_xor_b64 exec, exec, s[6:7]
	s_cbranch_execz .LBB29_1374
.LBB29_3424:
	v_mov_b32_e32 v11, 0
	v_cmp_ne_u16_sdwa s[8:9], v12, v11 src0_sel:BYTE_3 src1_sel:DWORD
	s_andn2_b64 s[4:5], s[4:5], exec
	s_and_b64 s[8:9], s[8:9], exec
	s_or_b64 s[4:5], s[4:5], s[8:9]
	s_or_b64 exec, exec, s[6:7]
	s_and_saveexec_b64 s[6:7], s[4:5]
	s_cbranch_execnz .LBB29_1375
	s_branch .LBB29_1376
.LBB29_3425:
	s_movk_i32 s4, 0x80
	v_cmp_eq_u16_sdwa s[12:13], v17, s4 src0_sel:BYTE_0 src1_sel:DWORD
	s_mov_b64 s[4:5], -1
                                        ; implicit-def: $sgpr10
	s_and_saveexec_b64 s[8:9], s[12:13]
; %bb.3426:
	s_mov_b32 s10, 0x7f800001
	s_xor_b64 s[4:5], exec, -1
; %bb.3427:
	s_or_b64 exec, exec, s[8:9]
	s_and_b64 s[4:5], s[4:5], exec
	s_or_saveexec_b64 s[6:7], s[6:7]
	v_mov_b32_e32 v10, s10
	s_xor_b64 exec, exec, s[6:7]
	s_cbranch_execz .LBB29_1378
.LBB29_3428:
	v_mov_b32_e32 v10, 0
	v_cmp_ne_u16_sdwa s[8:9], v17, v10 src0_sel:BYTE_0 src1_sel:DWORD
	s_andn2_b64 s[4:5], s[4:5], exec
	s_and_b64 s[8:9], s[8:9], exec
	s_or_b64 s[4:5], s[4:5], s[8:9]
	s_or_b64 exec, exec, s[6:7]
	s_and_saveexec_b64 s[6:7], s[4:5]
	s_cbranch_execnz .LBB29_1379
	s_branch .LBB29_1380
.LBB29_3429:
	s_movk_i32 s4, 0x80
	v_cmp_eq_u16_sdwa s[12:13], v13, s4 src0_sel:BYTE_0 src1_sel:DWORD
	s_mov_b64 s[4:5], -1
                                        ; implicit-def: $sgpr10
	s_and_saveexec_b64 s[8:9], s[12:13]
; %bb.3430:
	s_mov_b32 s10, 0x7f800001
	s_xor_b64 s[4:5], exec, -1
; %bb.3431:
	s_or_b64 exec, exec, s[8:9]
	s_and_b64 s[4:5], s[4:5], exec
	s_or_saveexec_b64 s[6:7], s[6:7]
	v_mov_b32_e32 v11, s10
	s_xor_b64 exec, exec, s[6:7]
	s_cbranch_execz .LBB29_1382
.LBB29_3432:
	v_mov_b32_e32 v11, 0
	v_cmp_ne_u16_sdwa s[8:9], v13, v11 src0_sel:BYTE_0 src1_sel:DWORD
	s_andn2_b64 s[4:5], s[4:5], exec
	s_and_b64 s[8:9], s[8:9], exec
	s_or_b64 s[4:5], s[4:5], s[8:9]
	s_or_b64 exec, exec, s[6:7]
	s_and_saveexec_b64 s[6:7], s[4:5]
	s_cbranch_execnz .LBB29_1383
	s_branch .LBB29_1384
.LBB29_3433:
	s_movk_i32 s4, 0x80
	v_cmp_eq_u16_sdwa s[12:13], v11, s4 src0_sel:BYTE_0 src1_sel:DWORD
	s_mov_b64 s[4:5], -1
                                        ; implicit-def: $sgpr10
	s_and_saveexec_b64 s[8:9], s[12:13]
; %bb.3434:
	s_mov_b32 s10, 0x7f800001
	s_xor_b64 s[4:5], exec, -1
; %bb.3435:
	s_or_b64 exec, exec, s[8:9]
	s_and_b64 s[4:5], s[4:5], exec
	s_or_saveexec_b64 s[6:7], s[6:7]
	v_mov_b32_e32 v10, s10
	s_xor_b64 exec, exec, s[6:7]
	s_cbranch_execz .LBB29_1386
.LBB29_3436:
	v_mov_b32_e32 v10, 0
	v_cmp_ne_u16_sdwa s[8:9], v11, v10 src0_sel:BYTE_0 src1_sel:DWORD
	s_andn2_b64 s[4:5], s[4:5], exec
	s_and_b64 s[8:9], s[8:9], exec
	s_or_b64 s[4:5], s[4:5], s[8:9]
	s_or_b64 exec, exec, s[6:7]
	s_and_saveexec_b64 s[6:7], s[4:5]
	s_cbranch_execnz .LBB29_1387
	s_branch .LBB29_1388
.LBB29_3437:
	s_movk_i32 s4, 0x80
	v_cmp_eq_u16_sdwa s[12:13], v11, s4 src0_sel:BYTE_0 src1_sel:DWORD
	s_mov_b64 s[4:5], -1
                                        ; implicit-def: $sgpr10
	s_and_saveexec_b64 s[8:9], s[12:13]
; %bb.3438:
	s_mov_b32 s10, 0x7f800001
	s_xor_b64 s[4:5], exec, -1
; %bb.3439:
	s_or_b64 exec, exec, s[8:9]
	s_and_b64 s[4:5], s[4:5], exec
	s_or_saveexec_b64 s[6:7], s[6:7]
	v_mov_b32_e32 v12, s10
	s_xor_b64 exec, exec, s[6:7]
	s_cbranch_execz .LBB29_1390
.LBB29_3440:
	v_mov_b32_e32 v12, 0
	v_cmp_ne_u16_sdwa s[8:9], v11, v12 src0_sel:BYTE_0 src1_sel:DWORD
	s_andn2_b64 s[4:5], s[4:5], exec
	s_and_b64 s[8:9], s[8:9], exec
	s_or_b64 s[4:5], s[4:5], s[8:9]
	s_or_b64 exec, exec, s[6:7]
	s_and_saveexec_b64 s[6:7], s[4:5]
	s_cbranch_execnz .LBB29_1391
	s_branch .LBB29_1392
.LBB29_3441:
	s_movk_i32 s4, 0x80
	v_cmp_eq_u16_e32 vcc, s4, v11
	s_mov_b64 s[4:5], -1
                                        ; implicit-def: $sgpr10
	s_and_saveexec_b64 s[8:9], vcc
; %bb.3442:
	s_mov_b32 s10, 0x7f800001
	s_xor_b64 s[4:5], exec, -1
; %bb.3443:
	s_or_b64 exec, exec, s[8:9]
	s_and_b64 s[4:5], s[4:5], exec
                                        ; implicit-def: $vgpr11
	s_or_saveexec_b64 s[6:7], s[6:7]
	v_mov_b32_e32 v10, s10
	s_xor_b64 exec, exec, s[6:7]
	s_cbranch_execz .LBB29_1394
.LBB29_3444:
	v_cmp_ne_u16_e32 vcc, 0, v11
	s_andn2_b64 s[4:5], s[4:5], exec
	s_and_b64 s[8:9], vcc, exec
	v_mov_b32_e32 v10, 0
	s_or_b64 s[4:5], s[4:5], s[8:9]
	s_or_b64 exec, exec, s[6:7]
	s_and_saveexec_b64 s[6:7], s[4:5]
	s_cbranch_execnz .LBB29_1395
	s_branch .LBB29_1396
.LBB29_3445:
	s_movk_i32 s4, 0x80
	v_cmp_eq_u16_e32 vcc, s4, v11
	s_mov_b64 s[4:5], -1
                                        ; implicit-def: $sgpr10
	s_and_saveexec_b64 s[8:9], vcc
; %bb.3446:
	s_mov_b32 s10, 0x7f800001
	s_xor_b64 s[4:5], exec, -1
; %bb.3447:
	s_or_b64 exec, exec, s[8:9]
	s_and_b64 s[4:5], s[4:5], exec
                                        ; implicit-def: $vgpr11
	s_or_saveexec_b64 s[6:7], s[6:7]
	v_mov_b32_e32 v12, s10
	s_xor_b64 exec, exec, s[6:7]
	s_cbranch_execz .LBB29_1398
.LBB29_3448:
	v_cmp_ne_u16_e32 vcc, 0, v11
	s_andn2_b64 s[4:5], s[4:5], exec
	s_and_b64 s[8:9], vcc, exec
	v_mov_b32_e32 v12, 0
	s_or_b64 s[4:5], s[4:5], s[8:9]
	s_or_b64 exec, exec, s[6:7]
	s_and_saveexec_b64 s[6:7], s[4:5]
	s_cbranch_execnz .LBB29_1399
	s_branch .LBB29_1400
.LBB29_3449:
	s_movk_i32 s4, 0x80
	v_cmp_eq_u16_sdwa s[12:13], v17, s4 src0_sel:BYTE_3 src1_sel:DWORD
	s_mov_b64 s[4:5], -1
                                        ; implicit-def: $sgpr10
	s_and_saveexec_b64 s[8:9], s[12:13]
; %bb.3450:
	s_mov_b32 s10, 0x7f800001
	s_xor_b64 s[4:5], exec, -1
; %bb.3451:
	s_or_b64 exec, exec, s[8:9]
	s_and_b64 s[4:5], s[4:5], exec
	s_or_saveexec_b64 s[6:7], s[6:7]
	v_mov_b32_e32 v10, s10
	s_xor_b64 exec, exec, s[6:7]
	s_cbranch_execz .LBB29_1402
.LBB29_3452:
	v_mov_b32_e32 v10, 0
	v_cmp_ne_u16_sdwa s[8:9], v17, v10 src0_sel:BYTE_3 src1_sel:DWORD
	s_andn2_b64 s[4:5], s[4:5], exec
	s_and_b64 s[8:9], s[8:9], exec
	s_or_b64 s[4:5], s[4:5], s[8:9]
	s_or_b64 exec, exec, s[6:7]
	s_and_saveexec_b64 s[6:7], s[4:5]
	s_cbranch_execnz .LBB29_1403
	s_branch .LBB29_1404
.LBB29_3453:
	s_movk_i32 s4, 0x80
	v_cmp_eq_u16_sdwa s[12:13], v13, s4 src0_sel:BYTE_3 src1_sel:DWORD
	s_mov_b64 s[4:5], -1
                                        ; implicit-def: $sgpr10
	s_and_saveexec_b64 s[8:9], s[12:13]
; %bb.3454:
	s_mov_b32 s10, 0x7f800001
	s_xor_b64 s[4:5], exec, -1
; %bb.3455:
	s_or_b64 exec, exec, s[8:9]
	s_and_b64 s[4:5], s[4:5], exec
	s_or_saveexec_b64 s[6:7], s[6:7]
	v_mov_b32_e32 v11, s10
	s_xor_b64 exec, exec, s[6:7]
	s_cbranch_execz .LBB29_1406
.LBB29_3456:
	v_mov_b32_e32 v11, 0
	v_cmp_ne_u16_sdwa s[8:9], v13, v11 src0_sel:BYTE_3 src1_sel:DWORD
	s_andn2_b64 s[4:5], s[4:5], exec
	s_and_b64 s[8:9], s[8:9], exec
	s_or_b64 s[4:5], s[4:5], s[8:9]
	s_or_b64 exec, exec, s[6:7]
	s_and_saveexec_b64 s[6:7], s[4:5]
	s_cbranch_execnz .LBB29_1407
	s_branch .LBB29_1408
.LBB29_3457:
	s_movk_i32 s4, 0x80
	v_cmp_eq_u16_sdwa s[12:13], v6, s4 src0_sel:BYTE_0 src1_sel:DWORD
	s_mov_b64 s[4:5], -1
                                        ; implicit-def: $sgpr10
	s_and_saveexec_b64 s[8:9], s[12:13]
; %bb.3458:
	s_mov_b32 s10, 0x7f800001
	s_xor_b64 s[4:5], exec, -1
; %bb.3459:
	s_or_b64 exec, exec, s[8:9]
	s_and_b64 s[4:5], s[4:5], exec
	s_or_saveexec_b64 s[6:7], s[6:7]
	v_mov_b32_e32 v10, s10
	s_xor_b64 exec, exec, s[6:7]
	s_cbranch_execz .LBB29_1410
.LBB29_3460:
	v_mov_b32_e32 v10, 0
	v_cmp_ne_u16_sdwa s[8:9], v6, v10 src0_sel:BYTE_0 src1_sel:DWORD
	s_andn2_b64 s[4:5], s[4:5], exec
	s_and_b64 s[8:9], s[8:9], exec
	s_or_b64 s[4:5], s[4:5], s[8:9]
	s_or_b64 exec, exec, s[6:7]
	s_and_saveexec_b64 s[6:7], s[4:5]
	s_cbranch_execnz .LBB29_1411
	s_branch .LBB29_1412
.LBB29_3461:
	s_movk_i32 s4, 0x80
	v_cmp_eq_u16_sdwa s[12:13], v2, s4 src0_sel:BYTE_0 src1_sel:DWORD
	s_mov_b64 s[4:5], -1
                                        ; implicit-def: $sgpr10
	s_and_saveexec_b64 s[8:9], s[12:13]
; %bb.3462:
	s_mov_b32 s10, 0x7f800001
	s_xor_b64 s[4:5], exec, -1
; %bb.3463:
	s_or_b64 exec, exec, s[8:9]
	s_and_b64 s[4:5], s[4:5], exec
	s_or_saveexec_b64 s[6:7], s[6:7]
	v_mov_b32_e32 v11, s10
	s_xor_b64 exec, exec, s[6:7]
	s_cbranch_execz .LBB29_1414
.LBB29_3464:
	v_mov_b32_e32 v11, 0
	v_cmp_ne_u16_sdwa s[8:9], v2, v11 src0_sel:BYTE_0 src1_sel:DWORD
	s_andn2_b64 s[4:5], s[4:5], exec
	s_and_b64 s[8:9], s[8:9], exec
	s_or_b64 s[4:5], s[4:5], s[8:9]
	s_or_b64 exec, exec, s[6:7]
	s_and_saveexec_b64 s[6:7], s[4:5]
	s_cbranch_execnz .LBB29_1415
	s_branch .LBB29_1416
.LBB29_3465:
	s_movk_i32 s4, 0x80
	v_cmp_eq_u16_sdwa s[12:13], v11, s4 src0_sel:BYTE_0 src1_sel:DWORD
	s_mov_b64 s[4:5], -1
                                        ; implicit-def: $sgpr10
	s_and_saveexec_b64 s[8:9], s[12:13]
; %bb.3466:
	s_mov_b32 s10, 0x7f800001
	s_xor_b64 s[4:5], exec, -1
; %bb.3467:
	s_or_b64 exec, exec, s[8:9]
	s_and_b64 s[4:5], s[4:5], exec
	s_or_saveexec_b64 s[6:7], s[6:7]
	v_mov_b32_e32 v10, s10
	s_xor_b64 exec, exec, s[6:7]
	s_cbranch_execz .LBB29_1418
.LBB29_3468:
	v_mov_b32_e32 v10, 0
	v_cmp_ne_u16_sdwa s[8:9], v11, v10 src0_sel:BYTE_0 src1_sel:DWORD
	s_andn2_b64 s[4:5], s[4:5], exec
	s_and_b64 s[8:9], s[8:9], exec
	s_or_b64 s[4:5], s[4:5], s[8:9]
	s_or_b64 exec, exec, s[6:7]
	s_and_saveexec_b64 s[6:7], s[4:5]
	s_cbranch_execnz .LBB29_1419
	s_branch .LBB29_1420
.LBB29_3469:
	s_movk_i32 s4, 0x80
	v_cmp_eq_u16_sdwa s[12:13], v11, s4 src0_sel:BYTE_0 src1_sel:DWORD
	s_mov_b64 s[4:5], -1
                                        ; implicit-def: $sgpr10
	s_and_saveexec_b64 s[8:9], s[12:13]
; %bb.3470:
	s_mov_b32 s10, 0x7f800001
	s_xor_b64 s[4:5], exec, -1
; %bb.3471:
	s_or_b64 exec, exec, s[8:9]
	s_and_b64 s[4:5], s[4:5], exec
	s_or_saveexec_b64 s[6:7], s[6:7]
	v_mov_b32_e32 v12, s10
	s_xor_b64 exec, exec, s[6:7]
	s_cbranch_execz .LBB29_1422
.LBB29_3472:
	v_mov_b32_e32 v12, 0
	v_cmp_ne_u16_sdwa s[8:9], v11, v12 src0_sel:BYTE_0 src1_sel:DWORD
	s_andn2_b64 s[4:5], s[4:5], exec
	s_and_b64 s[8:9], s[8:9], exec
	s_or_b64 s[4:5], s[4:5], s[8:9]
	s_or_b64 exec, exec, s[6:7]
	s_and_saveexec_b64 s[6:7], s[4:5]
	s_cbranch_execnz .LBB29_1423
	s_branch .LBB29_1424
.LBB29_3473:
	s_movk_i32 s4, 0x80
	v_cmp_eq_u16_e32 vcc, s4, v11
	s_mov_b64 s[4:5], -1
                                        ; implicit-def: $sgpr10
	s_and_saveexec_b64 s[8:9], vcc
; %bb.3474:
	s_mov_b32 s10, 0x7f800001
	s_xor_b64 s[4:5], exec, -1
; %bb.3475:
	s_or_b64 exec, exec, s[8:9]
	s_and_b64 s[4:5], s[4:5], exec
                                        ; implicit-def: $vgpr11
	s_or_saveexec_b64 s[6:7], s[6:7]
	v_mov_b32_e32 v10, s10
	s_xor_b64 exec, exec, s[6:7]
	s_cbranch_execz .LBB29_1426
.LBB29_3476:
	v_cmp_ne_u16_e32 vcc, 0, v11
	s_andn2_b64 s[4:5], s[4:5], exec
	s_and_b64 s[8:9], vcc, exec
	v_mov_b32_e32 v10, 0
	s_or_b64 s[4:5], s[4:5], s[8:9]
	s_or_b64 exec, exec, s[6:7]
	s_and_saveexec_b64 s[6:7], s[4:5]
	s_cbranch_execnz .LBB29_1427
	s_branch .LBB29_1428
.LBB29_3477:
	s_movk_i32 s4, 0x80
	v_cmp_eq_u16_e32 vcc, s4, v11
	s_mov_b64 s[4:5], -1
                                        ; implicit-def: $sgpr10
	s_and_saveexec_b64 s[8:9], vcc
; %bb.3478:
	s_mov_b32 s10, 0x7f800001
	s_xor_b64 s[4:5], exec, -1
; %bb.3479:
	s_or_b64 exec, exec, s[8:9]
	s_and_b64 s[4:5], s[4:5], exec
                                        ; implicit-def: $vgpr11
	s_or_saveexec_b64 s[6:7], s[6:7]
	v_mov_b32_e32 v12, s10
	s_xor_b64 exec, exec, s[6:7]
	s_cbranch_execz .LBB29_1430
.LBB29_3480:
	v_cmp_ne_u16_e32 vcc, 0, v11
	s_andn2_b64 s[4:5], s[4:5], exec
	s_and_b64 s[8:9], vcc, exec
	v_mov_b32_e32 v12, 0
	s_or_b64 s[4:5], s[4:5], s[8:9]
	s_or_b64 exec, exec, s[6:7]
	s_and_saveexec_b64 s[6:7], s[4:5]
	s_cbranch_execnz .LBB29_1431
	s_branch .LBB29_1432
.LBB29_3481:
	s_movk_i32 s4, 0x80
	v_cmp_eq_u16_sdwa s[12:13], v6, s4 src0_sel:BYTE_3 src1_sel:DWORD
	s_mov_b64 s[4:5], -1
                                        ; implicit-def: $sgpr10
	s_and_saveexec_b64 s[8:9], s[12:13]
; %bb.3482:
	s_mov_b32 s10, 0x7f800001
	s_xor_b64 s[4:5], exec, -1
; %bb.3483:
	s_or_b64 exec, exec, s[8:9]
	s_and_b64 s[4:5], s[4:5], exec
	s_or_saveexec_b64 s[6:7], s[6:7]
	v_mov_b32_e32 v10, s10
	s_xor_b64 exec, exec, s[6:7]
	s_cbranch_execz .LBB29_1434
.LBB29_3484:
	v_mov_b32_e32 v10, 0
	v_cmp_ne_u16_sdwa s[8:9], v6, v10 src0_sel:BYTE_3 src1_sel:DWORD
	s_andn2_b64 s[4:5], s[4:5], exec
	s_and_b64 s[8:9], s[8:9], exec
	s_or_b64 s[4:5], s[4:5], s[8:9]
	s_or_b64 exec, exec, s[6:7]
	s_and_saveexec_b64 s[6:7], s[4:5]
	s_cbranch_execnz .LBB29_1435
	s_branch .LBB29_1436
.LBB29_3485:
	s_movk_i32 s4, 0x80
	v_cmp_eq_u16_sdwa s[12:13], v2, s4 src0_sel:BYTE_3 src1_sel:DWORD
	s_mov_b64 s[4:5], -1
                                        ; implicit-def: $sgpr10
	s_and_saveexec_b64 s[8:9], s[12:13]
; %bb.3486:
	s_mov_b32 s10, 0x7f800001
	s_xor_b64 s[4:5], exec, -1
; %bb.3487:
	s_or_b64 exec, exec, s[8:9]
	s_and_b64 s[4:5], s[4:5], exec
	s_or_saveexec_b64 s[6:7], s[6:7]
	v_mov_b32_e32 v6, s10
	s_xor_b64 exec, exec, s[6:7]
	s_cbranch_execz .LBB29_1438
.LBB29_3488:
	v_mov_b32_e32 v6, 0
	v_cmp_ne_u16_sdwa s[8:9], v2, v6 src0_sel:BYTE_3 src1_sel:DWORD
	s_andn2_b64 s[4:5], s[4:5], exec
	s_and_b64 s[8:9], s[8:9], exec
	s_or_b64 s[4:5], s[4:5], s[8:9]
	s_or_b64 exec, exec, s[6:7]
	s_and_saveexec_b64 s[6:7], s[4:5]
	s_cbranch_execnz .LBB29_1439
	s_branch .LBB29_1440
.LBB29_3489:
	s_movk_i32 s4, 0x80
	v_cmp_eq_u16_sdwa s[12:13], v7, s4 src0_sel:BYTE_0 src1_sel:DWORD
	s_mov_b64 s[4:5], -1
                                        ; implicit-def: $sgpr10
	s_and_saveexec_b64 s[8:9], s[12:13]
; %bb.3490:
	s_mov_b32 s10, 0x7f800001
	s_xor_b64 s[4:5], exec, -1
; %bb.3491:
	s_or_b64 exec, exec, s[8:9]
	s_and_b64 s[4:5], s[4:5], exec
	s_or_saveexec_b64 s[6:7], s[6:7]
	v_mov_b32_e32 v2, s10
	s_xor_b64 exec, exec, s[6:7]
	s_cbranch_execz .LBB29_1442
.LBB29_3492:
	v_mov_b32_e32 v2, 0
	v_cmp_ne_u16_sdwa s[8:9], v7, v2 src0_sel:BYTE_0 src1_sel:DWORD
	s_andn2_b64 s[4:5], s[4:5], exec
	s_and_b64 s[8:9], s[8:9], exec
	s_or_b64 s[4:5], s[4:5], s[8:9]
	s_or_b64 exec, exec, s[6:7]
	s_and_saveexec_b64 s[6:7], s[4:5]
	s_cbranch_execnz .LBB29_1443
	s_branch .LBB29_1444
.LBB29_3493:
	s_movk_i32 s4, 0x80
	v_cmp_eq_u16_sdwa s[12:13], v3, s4 src0_sel:BYTE_0 src1_sel:DWORD
	s_mov_b64 s[4:5], -1
                                        ; implicit-def: $sgpr10
	s_and_saveexec_b64 s[8:9], s[12:13]
; %bb.3494:
	s_mov_b32 s10, 0x7f800001
	s_xor_b64 s[4:5], exec, -1
; %bb.3495:
	s_or_b64 exec, exec, s[8:9]
	s_and_b64 s[4:5], s[4:5], exec
	s_or_saveexec_b64 s[6:7], s[6:7]
	v_mov_b32_e32 v6, s10
	s_xor_b64 exec, exec, s[6:7]
	s_cbranch_execz .LBB29_1446
.LBB29_3496:
	v_mov_b32_e32 v6, 0
	v_cmp_ne_u16_sdwa s[8:9], v3, v6 src0_sel:BYTE_0 src1_sel:DWORD
	s_andn2_b64 s[4:5], s[4:5], exec
	s_and_b64 s[8:9], s[8:9], exec
	s_or_b64 s[4:5], s[4:5], s[8:9]
	s_or_b64 exec, exec, s[6:7]
	s_and_saveexec_b64 s[6:7], s[4:5]
	s_cbranch_execnz .LBB29_1447
	s_branch .LBB29_1448
.LBB29_3497:
	s_movk_i32 s4, 0x80
	v_cmp_eq_u16_sdwa s[12:13], v6, s4 src0_sel:BYTE_0 src1_sel:DWORD
	s_mov_b64 s[4:5], -1
                                        ; implicit-def: $sgpr10
	s_and_saveexec_b64 s[8:9], s[12:13]
; %bb.3498:
	s_mov_b32 s10, 0x7f800001
	s_xor_b64 s[4:5], exec, -1
; %bb.3499:
	s_or_b64 exec, exec, s[8:9]
	s_and_b64 s[4:5], s[4:5], exec
	s_or_saveexec_b64 s[6:7], s[6:7]
	v_mov_b32_e32 v2, s10
	s_xor_b64 exec, exec, s[6:7]
	s_cbranch_execz .LBB29_1450
.LBB29_3500:
	v_mov_b32_e32 v2, 0
	v_cmp_ne_u16_sdwa s[8:9], v6, v2 src0_sel:BYTE_0 src1_sel:DWORD
	s_andn2_b64 s[4:5], s[4:5], exec
	s_and_b64 s[8:9], s[8:9], exec
	s_or_b64 s[4:5], s[4:5], s[8:9]
	s_or_b64 exec, exec, s[6:7]
	s_and_saveexec_b64 s[6:7], s[4:5]
	s_cbranch_execnz .LBB29_1451
	s_branch .LBB29_1452
.LBB29_3501:
	s_movk_i32 s4, 0x80
	v_cmp_eq_u16_sdwa s[12:13], v6, s4 src0_sel:BYTE_0 src1_sel:DWORD
	s_mov_b64 s[4:5], -1
                                        ; implicit-def: $sgpr10
	s_and_saveexec_b64 s[8:9], s[12:13]
; %bb.3502:
	s_mov_b32 s10, 0x7f800001
	s_xor_b64 s[4:5], exec, -1
; %bb.3503:
	s_or_b64 exec, exec, s[8:9]
	s_and_b64 s[4:5], s[4:5], exec
	s_or_saveexec_b64 s[6:7], s[6:7]
	v_mov_b32_e32 v10, s10
	s_xor_b64 exec, exec, s[6:7]
	s_cbranch_execz .LBB29_1454
.LBB29_3504:
	v_mov_b32_e32 v10, 0
	v_cmp_ne_u16_sdwa s[8:9], v6, v10 src0_sel:BYTE_0 src1_sel:DWORD
	s_andn2_b64 s[4:5], s[4:5], exec
	s_and_b64 s[8:9], s[8:9], exec
	s_or_b64 s[4:5], s[4:5], s[8:9]
	s_or_b64 exec, exec, s[6:7]
	s_and_saveexec_b64 s[6:7], s[4:5]
	s_cbranch_execnz .LBB29_1455
	s_branch .LBB29_1456
.LBB29_3505:
	s_movk_i32 s4, 0x80
	v_cmp_eq_u16_e32 vcc, s4, v6
	s_mov_b64 s[4:5], -1
                                        ; implicit-def: $sgpr10
	s_and_saveexec_b64 s[8:9], vcc
; %bb.3506:
	s_mov_b32 s10, 0x7f800001
	s_xor_b64 s[4:5], exec, -1
; %bb.3507:
	s_or_b64 exec, exec, s[8:9]
	s_and_b64 s[4:5], s[4:5], exec
                                        ; implicit-def: $vgpr6
	s_or_saveexec_b64 s[6:7], s[6:7]
	v_mov_b32_e32 v2, s10
	s_xor_b64 exec, exec, s[6:7]
	s_cbranch_execz .LBB29_1458
.LBB29_3508:
	v_cmp_ne_u16_e32 vcc, 0, v6
	s_andn2_b64 s[4:5], s[4:5], exec
	s_and_b64 s[8:9], vcc, exec
	v_mov_b32_e32 v2, 0
	s_or_b64 s[4:5], s[4:5], s[8:9]
	s_or_b64 exec, exec, s[6:7]
	s_and_saveexec_b64 s[6:7], s[4:5]
	s_cbranch_execnz .LBB29_1459
	s_branch .LBB29_1460
.LBB29_3509:
	s_movk_i32 s4, 0x80
	v_cmp_eq_u16_e32 vcc, s4, v6
	s_mov_b64 s[4:5], -1
                                        ; implicit-def: $sgpr10
	s_and_saveexec_b64 s[8:9], vcc
; %bb.3510:
	s_mov_b32 s10, 0x7f800001
	s_xor_b64 s[4:5], exec, -1
; %bb.3511:
	s_or_b64 exec, exec, s[8:9]
	s_and_b64 s[4:5], s[4:5], exec
                                        ; implicit-def: $vgpr6
	s_or_saveexec_b64 s[6:7], s[6:7]
	v_mov_b32_e32 v10, s10
	s_xor_b64 exec, exec, s[6:7]
	s_cbranch_execz .LBB29_1462
.LBB29_3512:
	v_cmp_ne_u16_e32 vcc, 0, v6
	s_andn2_b64 s[4:5], s[4:5], exec
	s_and_b64 s[8:9], vcc, exec
	v_mov_b32_e32 v10, 0
	s_or_b64 s[4:5], s[4:5], s[8:9]
	s_or_b64 exec, exec, s[6:7]
	s_and_saveexec_b64 s[6:7], s[4:5]
	s_cbranch_execnz .LBB29_1463
	s_branch .LBB29_1464
.LBB29_3513:
	s_movk_i32 s4, 0x80
	v_cmp_eq_u16_sdwa s[12:13], v7, s4 src0_sel:BYTE_3 src1_sel:DWORD
	s_mov_b64 s[4:5], -1
                                        ; implicit-def: $sgpr10
	s_and_saveexec_b64 s[8:9], s[12:13]
; %bb.3514:
	s_mov_b32 s10, 0x7f800001
	s_xor_b64 s[4:5], exec, -1
; %bb.3515:
	s_or_b64 exec, exec, s[8:9]
	s_and_b64 s[4:5], s[4:5], exec
	s_or_saveexec_b64 s[6:7], s[6:7]
	v_mov_b32_e32 v2, s10
	s_xor_b64 exec, exec, s[6:7]
	s_cbranch_execz .LBB29_1466
.LBB29_3516:
	v_mov_b32_e32 v2, 0
	v_cmp_ne_u16_sdwa s[8:9], v7, v2 src0_sel:BYTE_3 src1_sel:DWORD
	s_andn2_b64 s[4:5], s[4:5], exec
	s_and_b64 s[8:9], s[8:9], exec
	s_or_b64 s[4:5], s[4:5], s[8:9]
	s_or_b64 exec, exec, s[6:7]
	s_and_saveexec_b64 s[6:7], s[4:5]
	s_cbranch_execnz .LBB29_1467
	s_branch .LBB29_1468
.LBB29_3517:
	s_movk_i32 s4, 0x80
	v_cmp_eq_u16_sdwa s[12:13], v3, s4 src0_sel:BYTE_3 src1_sel:DWORD
	s_mov_b64 s[4:5], -1
                                        ; implicit-def: $sgpr10
	s_and_saveexec_b64 s[8:9], s[12:13]
; %bb.3518:
	s_mov_b32 s10, 0x7f800001
	s_xor_b64 s[4:5], exec, -1
; %bb.3519:
	s_or_b64 exec, exec, s[8:9]
	s_and_b64 s[4:5], s[4:5], exec
	s_or_saveexec_b64 s[6:7], s[6:7]
	v_mov_b32_e32 v6, s10
	s_xor_b64 exec, exec, s[6:7]
	s_cbranch_execz .LBB29_1470
.LBB29_3520:
	v_mov_b32_e32 v6, 0
	v_cmp_ne_u16_sdwa s[8:9], v3, v6 src0_sel:BYTE_3 src1_sel:DWORD
	s_andn2_b64 s[4:5], s[4:5], exec
	s_and_b64 s[8:9], s[8:9], exec
	s_or_b64 s[4:5], s[4:5], s[8:9]
	s_or_b64 exec, exec, s[6:7]
	s_and_saveexec_b64 s[6:7], s[4:5]
	s_cbranch_execnz .LBB29_1471
	s_branch .LBB29_1472
.LBB29_3521:
	s_movk_i32 s4, 0x80
	v_cmp_eq_u16_sdwa s[12:13], v8, s4 src0_sel:BYTE_0 src1_sel:DWORD
	s_mov_b64 s[4:5], -1
                                        ; implicit-def: $sgpr10
	s_and_saveexec_b64 s[8:9], s[12:13]
; %bb.3522:
	s_mov_b32 s10, 0x7f800001
	s_xor_b64 s[4:5], exec, -1
; %bb.3523:
	s_or_b64 exec, exec, s[8:9]
	s_and_b64 s[4:5], s[4:5], exec
	s_or_saveexec_b64 s[6:7], s[6:7]
	v_mov_b32_e32 v2, s10
	s_xor_b64 exec, exec, s[6:7]
	s_cbranch_execz .LBB29_1474
.LBB29_3524:
	v_mov_b32_e32 v2, 0
	v_cmp_ne_u16_sdwa s[8:9], v8, v2 src0_sel:BYTE_0 src1_sel:DWORD
	s_andn2_b64 s[4:5], s[4:5], exec
	s_and_b64 s[8:9], s[8:9], exec
	s_or_b64 s[4:5], s[4:5], s[8:9]
	s_or_b64 exec, exec, s[6:7]
	s_and_saveexec_b64 s[6:7], s[4:5]
	s_cbranch_execnz .LBB29_1475
	s_branch .LBB29_1476
.LBB29_3525:
	s_movk_i32 s4, 0x80
	v_cmp_eq_u16_sdwa s[12:13], v4, s4 src0_sel:BYTE_0 src1_sel:DWORD
	s_mov_b64 s[4:5], -1
                                        ; implicit-def: $sgpr10
	s_and_saveexec_b64 s[8:9], s[12:13]
; %bb.3526:
	s_mov_b32 s10, 0x7f800001
	s_xor_b64 s[4:5], exec, -1
; %bb.3527:
	s_or_b64 exec, exec, s[8:9]
	s_and_b64 s[4:5], s[4:5], exec
	s_or_saveexec_b64 s[6:7], s[6:7]
	v_mov_b32_e32 v3, s10
	s_xor_b64 exec, exec, s[6:7]
	s_cbranch_execz .LBB29_1478
.LBB29_3528:
	v_mov_b32_e32 v3, 0
	v_cmp_ne_u16_sdwa s[8:9], v4, v3 src0_sel:BYTE_0 src1_sel:DWORD
	s_andn2_b64 s[4:5], s[4:5], exec
	s_and_b64 s[8:9], s[8:9], exec
	s_or_b64 s[4:5], s[4:5], s[8:9]
	s_or_b64 exec, exec, s[6:7]
	s_and_saveexec_b64 s[6:7], s[4:5]
	s_cbranch_execnz .LBB29_1479
	s_branch .LBB29_1480
.LBB29_3529:
	s_movk_i32 s4, 0x80
	v_cmp_eq_u16_sdwa s[12:13], v3, s4 src0_sel:BYTE_0 src1_sel:DWORD
	s_mov_b64 s[4:5], -1
                                        ; implicit-def: $sgpr10
	s_and_saveexec_b64 s[8:9], s[12:13]
; %bb.3530:
	s_mov_b32 s10, 0x7f800001
	s_xor_b64 s[4:5], exec, -1
; %bb.3531:
	s_or_b64 exec, exec, s[8:9]
	s_and_b64 s[4:5], s[4:5], exec
	s_or_saveexec_b64 s[6:7], s[6:7]
	v_mov_b32_e32 v2, s10
	s_xor_b64 exec, exec, s[6:7]
	s_cbranch_execz .LBB29_1482
.LBB29_3532:
	v_mov_b32_e32 v2, 0
	v_cmp_ne_u16_sdwa s[8:9], v3, v2 src0_sel:BYTE_0 src1_sel:DWORD
	s_andn2_b64 s[4:5], s[4:5], exec
	s_and_b64 s[8:9], s[8:9], exec
	s_or_b64 s[4:5], s[4:5], s[8:9]
	s_or_b64 exec, exec, s[6:7]
	s_and_saveexec_b64 s[6:7], s[4:5]
	s_cbranch_execnz .LBB29_1483
	s_branch .LBB29_1484
.LBB29_3533:
	s_movk_i32 s4, 0x80
	v_cmp_eq_u16_sdwa s[12:13], v3, s4 src0_sel:BYTE_0 src1_sel:DWORD
	s_mov_b64 s[4:5], -1
                                        ; implicit-def: $sgpr10
	s_and_saveexec_b64 s[8:9], s[12:13]
; %bb.3534:
	s_mov_b32 s10, 0x7f800001
	s_xor_b64 s[4:5], exec, -1
; %bb.3535:
	s_or_b64 exec, exec, s[8:9]
	s_and_b64 s[4:5], s[4:5], exec
	s_or_saveexec_b64 s[6:7], s[6:7]
	v_mov_b32_e32 v6, s10
	s_xor_b64 exec, exec, s[6:7]
	s_cbranch_execz .LBB29_1486
.LBB29_3536:
	v_mov_b32_e32 v6, 0
	v_cmp_ne_u16_sdwa s[8:9], v3, v6 src0_sel:BYTE_0 src1_sel:DWORD
	s_andn2_b64 s[4:5], s[4:5], exec
	s_and_b64 s[8:9], s[8:9], exec
	s_or_b64 s[4:5], s[4:5], s[8:9]
	s_or_b64 exec, exec, s[6:7]
	s_and_saveexec_b64 s[6:7], s[4:5]
	s_cbranch_execnz .LBB29_1487
	s_branch .LBB29_1488
.LBB29_3537:
	s_movk_i32 s4, 0x80
	v_cmp_eq_u16_e32 vcc, s4, v3
	s_mov_b64 s[4:5], -1
                                        ; implicit-def: $sgpr10
	s_and_saveexec_b64 s[8:9], vcc
; %bb.3538:
	s_mov_b32 s10, 0x7f800001
	s_xor_b64 s[4:5], exec, -1
; %bb.3539:
	s_or_b64 exec, exec, s[8:9]
	s_and_b64 s[4:5], s[4:5], exec
                                        ; implicit-def: $vgpr3
	s_or_saveexec_b64 s[6:7], s[6:7]
	v_mov_b32_e32 v2, s10
	s_xor_b64 exec, exec, s[6:7]
	s_cbranch_execz .LBB29_1490
.LBB29_3540:
	v_cmp_ne_u16_e32 vcc, 0, v3
	s_andn2_b64 s[4:5], s[4:5], exec
	s_and_b64 s[8:9], vcc, exec
	v_mov_b32_e32 v2, 0
	s_or_b64 s[4:5], s[4:5], s[8:9]
	s_or_b64 exec, exec, s[6:7]
	s_and_saveexec_b64 s[6:7], s[4:5]
	s_cbranch_execnz .LBB29_1491
	s_branch .LBB29_1492
.LBB29_3541:
	s_movk_i32 s4, 0x80
	v_cmp_eq_u16_e32 vcc, s4, v3
	s_mov_b64 s[4:5], -1
                                        ; implicit-def: $sgpr10
	s_and_saveexec_b64 s[8:9], vcc
; %bb.3542:
	s_mov_b32 s10, 0x7f800001
	s_xor_b64 s[4:5], exec, -1
; %bb.3543:
	s_or_b64 exec, exec, s[8:9]
	s_and_b64 s[4:5], s[4:5], exec
                                        ; implicit-def: $vgpr3
	s_or_saveexec_b64 s[6:7], s[6:7]
	v_mov_b32_e32 v6, s10
	s_xor_b64 exec, exec, s[6:7]
	s_cbranch_execz .LBB29_1494
.LBB29_3544:
	v_cmp_ne_u16_e32 vcc, 0, v3
	s_andn2_b64 s[4:5], s[4:5], exec
	s_and_b64 s[8:9], vcc, exec
	v_mov_b32_e32 v6, 0
	s_or_b64 s[4:5], s[4:5], s[8:9]
	s_or_b64 exec, exec, s[6:7]
	s_and_saveexec_b64 s[6:7], s[4:5]
	s_cbranch_execnz .LBB29_1495
	s_branch .LBB29_1496
.LBB29_3545:
	s_movk_i32 s4, 0x80
	v_cmp_eq_u16_sdwa s[12:13], v8, s4 src0_sel:BYTE_3 src1_sel:DWORD
	s_mov_b64 s[4:5], -1
                                        ; implicit-def: $sgpr10
	s_and_saveexec_b64 s[8:9], s[12:13]
; %bb.3546:
	s_mov_b32 s10, 0x7f800001
	s_xor_b64 s[4:5], exec, -1
; %bb.3547:
	s_or_b64 exec, exec, s[8:9]
	s_and_b64 s[4:5], s[4:5], exec
	s_or_saveexec_b64 s[6:7], s[6:7]
	v_mov_b32_e32 v2, s10
	s_xor_b64 exec, exec, s[6:7]
	s_cbranch_execz .LBB29_1498
.LBB29_3548:
	v_mov_b32_e32 v2, 0
	v_cmp_ne_u16_sdwa s[8:9], v8, v2 src0_sel:BYTE_3 src1_sel:DWORD
	s_andn2_b64 s[4:5], s[4:5], exec
	s_and_b64 s[8:9], s[8:9], exec
	s_or_b64 s[4:5], s[4:5], s[8:9]
	s_or_b64 exec, exec, s[6:7]
	s_and_saveexec_b64 s[6:7], s[4:5]
	s_cbranch_execnz .LBB29_1499
	s_branch .LBB29_1500
.LBB29_3549:
	s_movk_i32 s4, 0x80
	v_cmp_eq_u16_sdwa s[12:13], v4, s4 src0_sel:BYTE_3 src1_sel:DWORD
	s_mov_b64 s[4:5], -1
                                        ; implicit-def: $sgpr10
	s_and_saveexec_b64 s[8:9], s[12:13]
; %bb.3550:
	s_mov_b32 s10, 0x7f800001
	s_xor_b64 s[4:5], exec, -1
; %bb.3551:
	s_or_b64 exec, exec, s[8:9]
	s_and_b64 s[4:5], s[4:5], exec
	s_or_saveexec_b64 s[6:7], s[6:7]
	v_mov_b32_e32 v3, s10
	s_xor_b64 exec, exec, s[6:7]
	s_cbranch_execz .LBB29_1502
.LBB29_3552:
	v_mov_b32_e32 v3, 0
	v_cmp_ne_u16_sdwa s[8:9], v4, v3 src0_sel:BYTE_3 src1_sel:DWORD
	s_andn2_b64 s[4:5], s[4:5], exec
	s_and_b64 s[8:9], s[8:9], exec
	s_or_b64 s[4:5], s[4:5], s[8:9]
	s_or_b64 exec, exec, s[6:7]
	s_and_saveexec_b64 s[6:7], s[4:5]
	s_cbranch_execnz .LBB29_1503
	s_branch .LBB29_1504
.LBB29_3553:
	s_movk_i32 s4, 0x80
	v_cmp_eq_u16_sdwa s[12:13], v9, s4 src0_sel:BYTE_0 src1_sel:DWORD
	s_mov_b64 s[4:5], -1
                                        ; implicit-def: $sgpr10
	s_and_saveexec_b64 s[8:9], s[12:13]
; %bb.3554:
	s_mov_b32 s10, 0x7f800001
	s_xor_b64 s[4:5], exec, -1
; %bb.3555:
	s_or_b64 exec, exec, s[8:9]
	s_and_b64 s[4:5], s[4:5], exec
	s_or_saveexec_b64 s[6:7], s[6:7]
	v_mov_b32_e32 v2, s10
	s_xor_b64 exec, exec, s[6:7]
	s_cbranch_execz .LBB29_1506
.LBB29_3556:
	v_mov_b32_e32 v2, 0
	v_cmp_ne_u16_sdwa s[8:9], v9, v2 src0_sel:BYTE_0 src1_sel:DWORD
	s_andn2_b64 s[4:5], s[4:5], exec
	s_and_b64 s[8:9], s[8:9], exec
	s_or_b64 s[4:5], s[4:5], s[8:9]
	s_or_b64 exec, exec, s[6:7]
	s_and_saveexec_b64 s[6:7], s[4:5]
	s_cbranch_execnz .LBB29_1507
	s_branch .LBB29_1508
.LBB29_3557:
	s_movk_i32 s4, 0x80
	v_cmp_eq_u16_sdwa s[12:13], v5, s4 src0_sel:BYTE_0 src1_sel:DWORD
	s_mov_b64 s[4:5], -1
                                        ; implicit-def: $sgpr10
	s_and_saveexec_b64 s[8:9], s[12:13]
; %bb.3558:
	s_mov_b32 s10, 0x7f800001
	s_xor_b64 s[4:5], exec, -1
; %bb.3559:
	s_or_b64 exec, exec, s[8:9]
	s_and_b64 s[4:5], s[4:5], exec
	s_or_saveexec_b64 s[6:7], s[6:7]
	v_mov_b32_e32 v3, s10
	s_xor_b64 exec, exec, s[6:7]
	s_cbranch_execz .LBB29_1510
.LBB29_3560:
	v_mov_b32_e32 v3, 0
	v_cmp_ne_u16_sdwa s[8:9], v5, v3 src0_sel:BYTE_0 src1_sel:DWORD
	s_andn2_b64 s[4:5], s[4:5], exec
	s_and_b64 s[8:9], s[8:9], exec
	s_or_b64 s[4:5], s[4:5], s[8:9]
	s_or_b64 exec, exec, s[6:7]
	s_and_saveexec_b64 s[6:7], s[4:5]
	s_cbranch_execnz .LBB29_1511
	s_branch .LBB29_1512
.LBB29_3561:
	s_movk_i32 s4, 0x80
	v_cmp_eq_u16_sdwa s[12:13], v3, s4 src0_sel:BYTE_0 src1_sel:DWORD
	s_mov_b64 s[4:5], -1
                                        ; implicit-def: $sgpr10
	s_and_saveexec_b64 s[8:9], s[12:13]
; %bb.3562:
	s_mov_b32 s10, 0x7f800001
	s_xor_b64 s[4:5], exec, -1
; %bb.3563:
	s_or_b64 exec, exec, s[8:9]
	s_and_b64 s[4:5], s[4:5], exec
	s_or_saveexec_b64 s[6:7], s[6:7]
	v_mov_b32_e32 v2, s10
	s_xor_b64 exec, exec, s[6:7]
	s_cbranch_execz .LBB29_1514
.LBB29_3564:
	v_mov_b32_e32 v2, 0
	v_cmp_ne_u16_sdwa s[8:9], v3, v2 src0_sel:BYTE_0 src1_sel:DWORD
	s_andn2_b64 s[4:5], s[4:5], exec
	s_and_b64 s[8:9], s[8:9], exec
	s_or_b64 s[4:5], s[4:5], s[8:9]
	s_or_b64 exec, exec, s[6:7]
	s_and_saveexec_b64 s[6:7], s[4:5]
	s_cbranch_execnz .LBB29_1515
	s_branch .LBB29_1516
.LBB29_3565:
	s_movk_i32 s4, 0x80
	v_cmp_eq_u16_sdwa s[12:13], v3, s4 src0_sel:BYTE_0 src1_sel:DWORD
	s_mov_b64 s[4:5], -1
                                        ; implicit-def: $sgpr10
	s_and_saveexec_b64 s[8:9], s[12:13]
; %bb.3566:
	s_mov_b32 s10, 0x7f800001
	s_xor_b64 s[4:5], exec, -1
; %bb.3567:
	s_or_b64 exec, exec, s[8:9]
	s_and_b64 s[4:5], s[4:5], exec
	s_or_saveexec_b64 s[6:7], s[6:7]
	v_mov_b32_e32 v4, s10
	s_xor_b64 exec, exec, s[6:7]
	s_cbranch_execz .LBB29_1518
.LBB29_3568:
	v_mov_b32_e32 v4, 0
	v_cmp_ne_u16_sdwa s[8:9], v3, v4 src0_sel:BYTE_0 src1_sel:DWORD
	s_andn2_b64 s[4:5], s[4:5], exec
	s_and_b64 s[8:9], s[8:9], exec
	s_or_b64 s[4:5], s[4:5], s[8:9]
	s_or_b64 exec, exec, s[6:7]
	s_and_saveexec_b64 s[6:7], s[4:5]
	s_cbranch_execnz .LBB29_1519
	s_branch .LBB29_1520
.LBB29_3569:
	s_movk_i32 s4, 0x80
	v_cmp_eq_u16_e32 vcc, s4, v3
	s_mov_b64 s[4:5], -1
                                        ; implicit-def: $sgpr10
	s_and_saveexec_b64 s[8:9], vcc
; %bb.3570:
	s_mov_b32 s10, 0x7f800001
	s_xor_b64 s[4:5], exec, -1
; %bb.3571:
	s_or_b64 exec, exec, s[8:9]
	s_and_b64 s[4:5], s[4:5], exec
                                        ; implicit-def: $vgpr3
	s_or_saveexec_b64 s[6:7], s[6:7]
	v_mov_b32_e32 v2, s10
	s_xor_b64 exec, exec, s[6:7]
	s_cbranch_execz .LBB29_1522
.LBB29_3572:
	v_cmp_ne_u16_e32 vcc, 0, v3
	s_andn2_b64 s[4:5], s[4:5], exec
	s_and_b64 s[8:9], vcc, exec
	v_mov_b32_e32 v2, 0
	s_or_b64 s[4:5], s[4:5], s[8:9]
	s_or_b64 exec, exec, s[6:7]
	s_and_saveexec_b64 s[6:7], s[4:5]
	s_cbranch_execnz .LBB29_1523
	s_branch .LBB29_1524
.LBB29_3573:
	s_movk_i32 s4, 0x80
	v_cmp_eq_u16_e32 vcc, s4, v3
	s_mov_b64 s[4:5], -1
                                        ; implicit-def: $sgpr10
	s_and_saveexec_b64 s[8:9], vcc
; %bb.3574:
	s_mov_b32 s10, 0x7f800001
	s_xor_b64 s[4:5], exec, -1
; %bb.3575:
	s_or_b64 exec, exec, s[8:9]
	s_and_b64 s[4:5], s[4:5], exec
                                        ; implicit-def: $vgpr3
	s_or_saveexec_b64 s[6:7], s[6:7]
	v_mov_b32_e32 v4, s10
	s_xor_b64 exec, exec, s[6:7]
	s_cbranch_execz .LBB29_1526
.LBB29_3576:
	v_cmp_ne_u16_e32 vcc, 0, v3
	s_andn2_b64 s[4:5], s[4:5], exec
	s_and_b64 s[8:9], vcc, exec
	v_mov_b32_e32 v4, 0
	s_or_b64 s[4:5], s[4:5], s[8:9]
	s_or_b64 exec, exec, s[6:7]
	s_and_saveexec_b64 s[6:7], s[4:5]
	s_cbranch_execnz .LBB29_1527
	s_branch .LBB29_1528
.LBB29_3577:
	s_movk_i32 s4, 0x80
	v_cmp_eq_u16_sdwa s[12:13], v9, s4 src0_sel:BYTE_3 src1_sel:DWORD
	s_mov_b64 s[4:5], -1
                                        ; implicit-def: $sgpr10
	s_and_saveexec_b64 s[8:9], s[12:13]
; %bb.3578:
	s_mov_b32 s10, 0x7f800001
	s_xor_b64 s[4:5], exec, -1
; %bb.3579:
	s_or_b64 exec, exec, s[8:9]
	s_and_b64 s[4:5], s[4:5], exec
	s_or_saveexec_b64 s[6:7], s[6:7]
	v_mov_b32_e32 v2, s10
	s_xor_b64 exec, exec, s[6:7]
	s_cbranch_execz .LBB29_1530
.LBB29_3580:
	v_mov_b32_e32 v2, 0
	v_cmp_ne_u16_sdwa s[8:9], v9, v2 src0_sel:BYTE_3 src1_sel:DWORD
	s_andn2_b64 s[4:5], s[4:5], exec
	s_and_b64 s[8:9], s[8:9], exec
	s_or_b64 s[4:5], s[4:5], s[8:9]
	s_or_b64 exec, exec, s[6:7]
	s_and_saveexec_b64 s[6:7], s[4:5]
	s_cbranch_execnz .LBB29_1531
	s_branch .LBB29_1532
.LBB29_3581:
	s_movk_i32 s4, 0x80
	v_cmp_eq_u16_sdwa s[12:13], v5, s4 src0_sel:BYTE_3 src1_sel:DWORD
	s_mov_b64 s[4:5], -1
                                        ; implicit-def: $sgpr10
	s_and_saveexec_b64 s[8:9], s[12:13]
; %bb.3582:
	s_mov_b32 s10, 0x7f800001
	s_xor_b64 s[4:5], exec, -1
; %bb.3583:
	s_or_b64 exec, exec, s[8:9]
	s_and_b64 s[4:5], s[4:5], exec
	s_or_saveexec_b64 s[6:7], s[6:7]
	v_mov_b32_e32 v3, s10
	s_xor_b64 exec, exec, s[6:7]
	s_cbranch_execz .LBB29_1534
.LBB29_3584:
	v_mov_b32_e32 v3, 0
	v_cmp_ne_u16_sdwa s[8:9], v5, v3 src0_sel:BYTE_3 src1_sel:DWORD
	s_andn2_b64 s[4:5], s[4:5], exec
	s_and_b64 s[8:9], s[8:9], exec
	s_or_b64 s[4:5], s[4:5], s[8:9]
	s_or_b64 exec, exec, s[6:7]
	s_and_saveexec_b64 s[6:7], s[4:5]
	s_cbranch_execnz .LBB29_1535
	s_branch .LBB29_1536
.LBB29_3585:
	s_movk_i32 s4, 0x80
	v_cmp_eq_u16_sdwa s[12:13], v14, s4 src0_sel:BYTE_0 src1_sel:DWORD
	s_mov_b64 s[4:5], -1
                                        ; implicit-def: $sgpr10
	s_and_saveexec_b64 s[8:9], s[12:13]
; %bb.3586:
	s_mov_b32 s10, 0x7f800001
	s_xor_b64 s[4:5], exec, -1
; %bb.3587:
	s_or_b64 exec, exec, s[8:9]
	s_and_b64 s[4:5], s[4:5], exec
	s_or_saveexec_b64 s[6:7], s[6:7]
	v_mov_b32_e32 v20, s10
	s_xor_b64 exec, exec, s[6:7]
	s_cbranch_execz .LBB29_1538
.LBB29_3588:
	v_mov_b32_e32 v20, 0
	v_cmp_ne_u16_sdwa s[8:9], v14, v20 src0_sel:BYTE_0 src1_sel:DWORD
	s_andn2_b64 s[4:5], s[4:5], exec
	s_and_b64 s[8:9], s[8:9], exec
	s_or_b64 s[4:5], s[4:5], s[8:9]
	s_or_b64 exec, exec, s[6:7]
	s_and_saveexec_b64 s[6:7], s[4:5]
	s_cbranch_execnz .LBB29_1539
	s_branch .LBB29_1540
.LBB29_3589:
	s_movk_i32 s4, 0x80
	v_cmp_eq_u16_sdwa s[12:13], v10, s4 src0_sel:BYTE_0 src1_sel:DWORD
	s_mov_b64 s[4:5], -1
                                        ; implicit-def: $sgpr10
	s_and_saveexec_b64 s[8:9], s[12:13]
; %bb.3590:
	s_mov_b32 s10, 0x7f800001
	s_xor_b64 s[4:5], exec, -1
; %bb.3591:
	s_or_b64 exec, exec, s[8:9]
	s_and_b64 s[4:5], s[4:5], exec
	s_or_saveexec_b64 s[6:7], s[6:7]
	v_mov_b32_e32 v21, s10
	s_xor_b64 exec, exec, s[6:7]
	s_cbranch_execz .LBB29_1542
.LBB29_3592:
	v_mov_b32_e32 v21, 0
	v_cmp_ne_u16_sdwa s[8:9], v10, v21 src0_sel:BYTE_0 src1_sel:DWORD
	s_andn2_b64 s[4:5], s[4:5], exec
	s_and_b64 s[8:9], s[8:9], exec
	s_or_b64 s[4:5], s[4:5], s[8:9]
	s_or_b64 exec, exec, s[6:7]
	s_and_saveexec_b64 s[6:7], s[4:5]
	s_cbranch_execnz .LBB29_1543
	s_branch .LBB29_1544
.LBB29_3593:
	s_movk_i32 s4, 0x80
	v_cmp_eq_u16_sdwa s[12:13], v21, s4 src0_sel:BYTE_0 src1_sel:DWORD
	s_mov_b64 s[4:5], -1
                                        ; implicit-def: $sgpr10
	s_and_saveexec_b64 s[8:9], s[12:13]
; %bb.3594:
	s_mov_b32 s10, 0x7f800001
	s_xor_b64 s[4:5], exec, -1
; %bb.3595:
	s_or_b64 exec, exec, s[8:9]
	s_and_b64 s[4:5], s[4:5], exec
	s_or_saveexec_b64 s[6:7], s[6:7]
	v_mov_b32_e32 v20, s10
	s_xor_b64 exec, exec, s[6:7]
	s_cbranch_execz .LBB29_1546
.LBB29_3596:
	v_mov_b32_e32 v20, 0
	v_cmp_ne_u16_sdwa s[8:9], v21, v20 src0_sel:BYTE_0 src1_sel:DWORD
	s_andn2_b64 s[4:5], s[4:5], exec
	s_and_b64 s[8:9], s[8:9], exec
	s_or_b64 s[4:5], s[4:5], s[8:9]
	s_or_b64 exec, exec, s[6:7]
	s_and_saveexec_b64 s[6:7], s[4:5]
	s_cbranch_execnz .LBB29_1547
	s_branch .LBB29_1548
.LBB29_3597:
	s_movk_i32 s4, 0x80
	v_cmp_eq_u16_sdwa s[12:13], v21, s4 src0_sel:BYTE_0 src1_sel:DWORD
	s_mov_b64 s[4:5], -1
                                        ; implicit-def: $sgpr10
	s_and_saveexec_b64 s[8:9], s[12:13]
; %bb.3598:
	s_mov_b32 s10, 0x7f800001
	s_xor_b64 s[4:5], exec, -1
; %bb.3599:
	s_or_b64 exec, exec, s[8:9]
	s_and_b64 s[4:5], s[4:5], exec
	s_or_saveexec_b64 s[6:7], s[6:7]
	v_mov_b32_e32 v22, s10
	s_xor_b64 exec, exec, s[6:7]
	s_cbranch_execz .LBB29_1550
.LBB29_3600:
	v_mov_b32_e32 v22, 0
	v_cmp_ne_u16_sdwa s[8:9], v21, v22 src0_sel:BYTE_0 src1_sel:DWORD
	s_andn2_b64 s[4:5], s[4:5], exec
	s_and_b64 s[8:9], s[8:9], exec
	s_or_b64 s[4:5], s[4:5], s[8:9]
	s_or_b64 exec, exec, s[6:7]
	s_and_saveexec_b64 s[6:7], s[4:5]
	s_cbranch_execnz .LBB29_1551
	s_branch .LBB29_1552
.LBB29_3601:
	s_movk_i32 s4, 0x80
	v_cmp_eq_u16_e32 vcc, s4, v21
	s_mov_b64 s[4:5], -1
                                        ; implicit-def: $sgpr10
	s_and_saveexec_b64 s[8:9], vcc
; %bb.3602:
	s_mov_b32 s10, 0x7f800001
	s_xor_b64 s[4:5], exec, -1
; %bb.3603:
	s_or_b64 exec, exec, s[8:9]
	s_and_b64 s[4:5], s[4:5], exec
                                        ; implicit-def: $vgpr21
	s_or_saveexec_b64 s[6:7], s[6:7]
	v_mov_b32_e32 v20, s10
	s_xor_b64 exec, exec, s[6:7]
	s_cbranch_execz .LBB29_1554
.LBB29_3604:
	v_cmp_ne_u16_e32 vcc, 0, v21
	s_andn2_b64 s[4:5], s[4:5], exec
	s_and_b64 s[8:9], vcc, exec
	v_mov_b32_e32 v20, 0
	s_or_b64 s[4:5], s[4:5], s[8:9]
	s_or_b64 exec, exec, s[6:7]
	s_and_saveexec_b64 s[6:7], s[4:5]
	s_cbranch_execnz .LBB29_1555
	s_branch .LBB29_1556
.LBB29_3605:
	s_movk_i32 s4, 0x80
	v_cmp_eq_u16_e32 vcc, s4, v21
	s_mov_b64 s[4:5], -1
                                        ; implicit-def: $sgpr10
	s_and_saveexec_b64 s[8:9], vcc
; %bb.3606:
	s_mov_b32 s10, 0x7f800001
	s_xor_b64 s[4:5], exec, -1
; %bb.3607:
	s_or_b64 exec, exec, s[8:9]
	s_and_b64 s[4:5], s[4:5], exec
                                        ; implicit-def: $vgpr21
	s_or_saveexec_b64 s[6:7], s[6:7]
	v_mov_b32_e32 v22, s10
	s_xor_b64 exec, exec, s[6:7]
	s_cbranch_execz .LBB29_1558
.LBB29_3608:
	v_cmp_ne_u16_e32 vcc, 0, v21
	s_andn2_b64 s[4:5], s[4:5], exec
	s_and_b64 s[8:9], vcc, exec
	v_mov_b32_e32 v22, 0
	s_or_b64 s[4:5], s[4:5], s[8:9]
	s_or_b64 exec, exec, s[6:7]
	s_and_saveexec_b64 s[6:7], s[4:5]
	s_cbranch_execnz .LBB29_1559
	s_branch .LBB29_1560
.LBB29_3609:
	s_movk_i32 s4, 0x80
	v_cmp_eq_u16_sdwa s[12:13], v14, s4 src0_sel:BYTE_3 src1_sel:DWORD
	s_mov_b64 s[4:5], -1
                                        ; implicit-def: $sgpr10
	s_and_saveexec_b64 s[8:9], s[12:13]
; %bb.3610:
	s_mov_b32 s10, 0x7f800001
	s_xor_b64 s[4:5], exec, -1
; %bb.3611:
	s_or_b64 exec, exec, s[8:9]
	s_and_b64 s[4:5], s[4:5], exec
	s_or_saveexec_b64 s[6:7], s[6:7]
	v_mov_b32_e32 v20, s10
	s_xor_b64 exec, exec, s[6:7]
	s_cbranch_execz .LBB29_1562
.LBB29_3612:
	v_mov_b32_e32 v20, 0
	v_cmp_ne_u16_sdwa s[8:9], v14, v20 src0_sel:BYTE_3 src1_sel:DWORD
	s_andn2_b64 s[4:5], s[4:5], exec
	s_and_b64 s[8:9], s[8:9], exec
	s_or_b64 s[4:5], s[4:5], s[8:9]
	s_or_b64 exec, exec, s[6:7]
	s_and_saveexec_b64 s[6:7], s[4:5]
	s_cbranch_execnz .LBB29_1563
	s_branch .LBB29_1564
.LBB29_3613:
	s_movk_i32 s4, 0x80
	v_cmp_eq_u16_sdwa s[12:13], v10, s4 src0_sel:BYTE_3 src1_sel:DWORD
	s_mov_b64 s[4:5], -1
                                        ; implicit-def: $sgpr10
	s_and_saveexec_b64 s[8:9], s[12:13]
; %bb.3614:
	s_mov_b32 s10, 0x7f800001
	s_xor_b64 s[4:5], exec, -1
; %bb.3615:
	s_or_b64 exec, exec, s[8:9]
	s_and_b64 s[4:5], s[4:5], exec
	s_or_saveexec_b64 s[6:7], s[6:7]
	v_mov_b32_e32 v14, s10
	s_xor_b64 exec, exec, s[6:7]
	s_cbranch_execz .LBB29_1566
.LBB29_3616:
	v_mov_b32_e32 v14, 0
	v_cmp_ne_u16_sdwa s[8:9], v10, v14 src0_sel:BYTE_3 src1_sel:DWORD
	s_andn2_b64 s[4:5], s[4:5], exec
	s_and_b64 s[8:9], s[8:9], exec
	s_or_b64 s[4:5], s[4:5], s[8:9]
	s_or_b64 exec, exec, s[6:7]
	s_and_saveexec_b64 s[6:7], s[4:5]
	s_cbranch_execnz .LBB29_1567
	s_branch .LBB29_1568
.LBB29_3617:
	s_movk_i32 s4, 0x80
	v_cmp_eq_u16_sdwa s[12:13], v15, s4 src0_sel:BYTE_0 src1_sel:DWORD
	s_mov_b64 s[4:5], -1
                                        ; implicit-def: $sgpr10
	s_and_saveexec_b64 s[8:9], s[12:13]
; %bb.3618:
	s_mov_b32 s10, 0x7f800001
	s_xor_b64 s[4:5], exec, -1
; %bb.3619:
	s_or_b64 exec, exec, s[8:9]
	s_and_b64 s[4:5], s[4:5], exec
	s_or_saveexec_b64 s[6:7], s[6:7]
	v_mov_b32_e32 v10, s10
	s_xor_b64 exec, exec, s[6:7]
	s_cbranch_execz .LBB29_1570
.LBB29_3620:
	v_mov_b32_e32 v10, 0
	v_cmp_ne_u16_sdwa s[8:9], v15, v10 src0_sel:BYTE_0 src1_sel:DWORD
	s_andn2_b64 s[4:5], s[4:5], exec
	s_and_b64 s[8:9], s[8:9], exec
	s_or_b64 s[4:5], s[4:5], s[8:9]
	s_or_b64 exec, exec, s[6:7]
	s_and_saveexec_b64 s[6:7], s[4:5]
	s_cbranch_execnz .LBB29_1571
	s_branch .LBB29_1572
.LBB29_3621:
	s_movk_i32 s4, 0x80
	v_cmp_eq_u16_sdwa s[12:13], v11, s4 src0_sel:BYTE_0 src1_sel:DWORD
	s_mov_b64 s[4:5], -1
                                        ; implicit-def: $sgpr10
	s_and_saveexec_b64 s[8:9], s[12:13]
; %bb.3622:
	s_mov_b32 s10, 0x7f800001
	s_xor_b64 s[4:5], exec, -1
; %bb.3623:
	s_or_b64 exec, exec, s[8:9]
	s_and_b64 s[4:5], s[4:5], exec
	s_or_saveexec_b64 s[6:7], s[6:7]
	v_mov_b32_e32 v14, s10
	s_xor_b64 exec, exec, s[6:7]
	s_cbranch_execz .LBB29_1574
.LBB29_3624:
	v_mov_b32_e32 v14, 0
	v_cmp_ne_u16_sdwa s[8:9], v11, v14 src0_sel:BYTE_0 src1_sel:DWORD
	s_andn2_b64 s[4:5], s[4:5], exec
	s_and_b64 s[8:9], s[8:9], exec
	s_or_b64 s[4:5], s[4:5], s[8:9]
	s_or_b64 exec, exec, s[6:7]
	s_and_saveexec_b64 s[6:7], s[4:5]
	s_cbranch_execnz .LBB29_1575
	s_branch .LBB29_1576
.LBB29_3625:
	s_movk_i32 s4, 0x80
	v_cmp_eq_u16_sdwa s[12:13], v14, s4 src0_sel:BYTE_0 src1_sel:DWORD
	s_mov_b64 s[4:5], -1
                                        ; implicit-def: $sgpr10
	s_and_saveexec_b64 s[8:9], s[12:13]
; %bb.3626:
	s_mov_b32 s10, 0x7f800001
	s_xor_b64 s[4:5], exec, -1
; %bb.3627:
	s_or_b64 exec, exec, s[8:9]
	s_and_b64 s[4:5], s[4:5], exec
	s_or_saveexec_b64 s[6:7], s[6:7]
	v_mov_b32_e32 v10, s10
	s_xor_b64 exec, exec, s[6:7]
	s_cbranch_execz .LBB29_1578
.LBB29_3628:
	v_mov_b32_e32 v10, 0
	v_cmp_ne_u16_sdwa s[8:9], v14, v10 src0_sel:BYTE_0 src1_sel:DWORD
	s_andn2_b64 s[4:5], s[4:5], exec
	s_and_b64 s[8:9], s[8:9], exec
	s_or_b64 s[4:5], s[4:5], s[8:9]
	s_or_b64 exec, exec, s[6:7]
	s_and_saveexec_b64 s[6:7], s[4:5]
	s_cbranch_execnz .LBB29_1579
	s_branch .LBB29_1580
.LBB29_3629:
	s_movk_i32 s4, 0x80
	v_cmp_eq_u16_sdwa s[12:13], v14, s4 src0_sel:BYTE_0 src1_sel:DWORD
	s_mov_b64 s[4:5], -1
                                        ; implicit-def: $sgpr10
	s_and_saveexec_b64 s[8:9], s[12:13]
; %bb.3630:
	s_mov_b32 s10, 0x7f800001
	s_xor_b64 s[4:5], exec, -1
; %bb.3631:
	s_or_b64 exec, exec, s[8:9]
	s_and_b64 s[4:5], s[4:5], exec
	s_or_saveexec_b64 s[6:7], s[6:7]
	v_mov_b32_e32 v20, s10
	s_xor_b64 exec, exec, s[6:7]
	s_cbranch_execz .LBB29_1582
.LBB29_3632:
	v_mov_b32_e32 v20, 0
	v_cmp_ne_u16_sdwa s[8:9], v14, v20 src0_sel:BYTE_0 src1_sel:DWORD
	s_andn2_b64 s[4:5], s[4:5], exec
	s_and_b64 s[8:9], s[8:9], exec
	s_or_b64 s[4:5], s[4:5], s[8:9]
	s_or_b64 exec, exec, s[6:7]
	s_and_saveexec_b64 s[6:7], s[4:5]
	s_cbranch_execnz .LBB29_1583
	s_branch .LBB29_1584
.LBB29_3633:
	s_movk_i32 s4, 0x80
	v_cmp_eq_u16_e32 vcc, s4, v14
	s_mov_b64 s[4:5], -1
                                        ; implicit-def: $sgpr10
	s_and_saveexec_b64 s[8:9], vcc
; %bb.3634:
	s_mov_b32 s10, 0x7f800001
	s_xor_b64 s[4:5], exec, -1
; %bb.3635:
	s_or_b64 exec, exec, s[8:9]
	s_and_b64 s[4:5], s[4:5], exec
                                        ; implicit-def: $vgpr14
	s_or_saveexec_b64 s[6:7], s[6:7]
	v_mov_b32_e32 v10, s10
	s_xor_b64 exec, exec, s[6:7]
	s_cbranch_execz .LBB29_1586
.LBB29_3636:
	v_cmp_ne_u16_e32 vcc, 0, v14
	s_andn2_b64 s[4:5], s[4:5], exec
	s_and_b64 s[8:9], vcc, exec
	v_mov_b32_e32 v10, 0
	s_or_b64 s[4:5], s[4:5], s[8:9]
	s_or_b64 exec, exec, s[6:7]
	s_and_saveexec_b64 s[6:7], s[4:5]
	s_cbranch_execnz .LBB29_1587
	s_branch .LBB29_1588
.LBB29_3637:
	s_movk_i32 s4, 0x80
	v_cmp_eq_u16_e32 vcc, s4, v14
	s_mov_b64 s[4:5], -1
                                        ; implicit-def: $sgpr10
	s_and_saveexec_b64 s[8:9], vcc
; %bb.3638:
	s_mov_b32 s10, 0x7f800001
	s_xor_b64 s[4:5], exec, -1
; %bb.3639:
	s_or_b64 exec, exec, s[8:9]
	s_and_b64 s[4:5], s[4:5], exec
                                        ; implicit-def: $vgpr14
	s_or_saveexec_b64 s[6:7], s[6:7]
	v_mov_b32_e32 v20, s10
	s_xor_b64 exec, exec, s[6:7]
	s_cbranch_execz .LBB29_1590
.LBB29_3640:
	v_cmp_ne_u16_e32 vcc, 0, v14
	s_andn2_b64 s[4:5], s[4:5], exec
	s_and_b64 s[8:9], vcc, exec
	v_mov_b32_e32 v20, 0
	s_or_b64 s[4:5], s[4:5], s[8:9]
	s_or_b64 exec, exec, s[6:7]
	s_and_saveexec_b64 s[6:7], s[4:5]
	s_cbranch_execnz .LBB29_1591
	s_branch .LBB29_1592
.LBB29_3641:
	s_movk_i32 s4, 0x80
	v_cmp_eq_u16_sdwa s[12:13], v15, s4 src0_sel:BYTE_3 src1_sel:DWORD
	s_mov_b64 s[4:5], -1
                                        ; implicit-def: $sgpr10
	s_and_saveexec_b64 s[8:9], s[12:13]
; %bb.3642:
	s_mov_b32 s10, 0x7f800001
	s_xor_b64 s[4:5], exec, -1
; %bb.3643:
	s_or_b64 exec, exec, s[8:9]
	s_and_b64 s[4:5], s[4:5], exec
	s_or_saveexec_b64 s[6:7], s[6:7]
	v_mov_b32_e32 v10, s10
	s_xor_b64 exec, exec, s[6:7]
	s_cbranch_execz .LBB29_1594
.LBB29_3644:
	v_mov_b32_e32 v10, 0
	v_cmp_ne_u16_sdwa s[8:9], v15, v10 src0_sel:BYTE_3 src1_sel:DWORD
	s_andn2_b64 s[4:5], s[4:5], exec
	s_and_b64 s[8:9], s[8:9], exec
	s_or_b64 s[4:5], s[4:5], s[8:9]
	s_or_b64 exec, exec, s[6:7]
	s_and_saveexec_b64 s[6:7], s[4:5]
	s_cbranch_execnz .LBB29_1595
	s_branch .LBB29_1596
.LBB29_3645:
	s_movk_i32 s4, 0x80
	v_cmp_eq_u16_sdwa s[12:13], v11, s4 src0_sel:BYTE_3 src1_sel:DWORD
	s_mov_b64 s[4:5], -1
                                        ; implicit-def: $sgpr10
	s_and_saveexec_b64 s[8:9], s[12:13]
; %bb.3646:
	s_mov_b32 s10, 0x7f800001
	s_xor_b64 s[4:5], exec, -1
; %bb.3647:
	s_or_b64 exec, exec, s[8:9]
	s_and_b64 s[4:5], s[4:5], exec
	s_or_saveexec_b64 s[6:7], s[6:7]
	v_mov_b32_e32 v14, s10
	s_xor_b64 exec, exec, s[6:7]
	s_cbranch_execz .LBB29_1598
.LBB29_3648:
	v_mov_b32_e32 v14, 0
	v_cmp_ne_u16_sdwa s[8:9], v11, v14 src0_sel:BYTE_3 src1_sel:DWORD
	s_andn2_b64 s[4:5], s[4:5], exec
	s_and_b64 s[8:9], s[8:9], exec
	s_or_b64 s[4:5], s[4:5], s[8:9]
	s_or_b64 exec, exec, s[6:7]
	s_and_saveexec_b64 s[6:7], s[4:5]
	s_cbranch_execnz .LBB29_1599
	s_branch .LBB29_1600
.LBB29_3649:
	s_movk_i32 s4, 0x80
	v_cmp_eq_u16_sdwa s[12:13], v16, s4 src0_sel:BYTE_0 src1_sel:DWORD
	s_mov_b64 s[4:5], -1
                                        ; implicit-def: $sgpr10
	s_and_saveexec_b64 s[8:9], s[12:13]
; %bb.3650:
	s_mov_b32 s10, 0x7f800001
	s_xor_b64 s[4:5], exec, -1
; %bb.3651:
	s_or_b64 exec, exec, s[8:9]
	s_and_b64 s[4:5], s[4:5], exec
	s_or_saveexec_b64 s[6:7], s[6:7]
	v_mov_b32_e32 v10, s10
	s_xor_b64 exec, exec, s[6:7]
	s_cbranch_execz .LBB29_1602
.LBB29_3652:
	v_mov_b32_e32 v10, 0
	v_cmp_ne_u16_sdwa s[8:9], v16, v10 src0_sel:BYTE_0 src1_sel:DWORD
	s_andn2_b64 s[4:5], s[4:5], exec
	s_and_b64 s[8:9], s[8:9], exec
	s_or_b64 s[4:5], s[4:5], s[8:9]
	s_or_b64 exec, exec, s[6:7]
	s_and_saveexec_b64 s[6:7], s[4:5]
	s_cbranch_execnz .LBB29_1603
	s_branch .LBB29_1604
.LBB29_3653:
	s_movk_i32 s4, 0x80
	v_cmp_eq_u16_sdwa s[12:13], v12, s4 src0_sel:BYTE_0 src1_sel:DWORD
	s_mov_b64 s[4:5], -1
                                        ; implicit-def: $sgpr10
	s_and_saveexec_b64 s[8:9], s[12:13]
; %bb.3654:
	s_mov_b32 s10, 0x7f800001
	s_xor_b64 s[4:5], exec, -1
; %bb.3655:
	s_or_b64 exec, exec, s[8:9]
	s_and_b64 s[4:5], s[4:5], exec
	s_or_saveexec_b64 s[6:7], s[6:7]
	v_mov_b32_e32 v11, s10
	s_xor_b64 exec, exec, s[6:7]
	s_cbranch_execz .LBB29_1606
.LBB29_3656:
	v_mov_b32_e32 v11, 0
	v_cmp_ne_u16_sdwa s[8:9], v12, v11 src0_sel:BYTE_0 src1_sel:DWORD
	s_andn2_b64 s[4:5], s[4:5], exec
	s_and_b64 s[8:9], s[8:9], exec
	s_or_b64 s[4:5], s[4:5], s[8:9]
	s_or_b64 exec, exec, s[6:7]
	s_and_saveexec_b64 s[6:7], s[4:5]
	s_cbranch_execnz .LBB29_1607
	s_branch .LBB29_1608
.LBB29_3657:
	s_movk_i32 s4, 0x80
	v_cmp_eq_u16_sdwa s[12:13], v11, s4 src0_sel:BYTE_0 src1_sel:DWORD
	s_mov_b64 s[4:5], -1
                                        ; implicit-def: $sgpr10
	s_and_saveexec_b64 s[8:9], s[12:13]
; %bb.3658:
	s_mov_b32 s10, 0x7f800001
	s_xor_b64 s[4:5], exec, -1
; %bb.3659:
	s_or_b64 exec, exec, s[8:9]
	s_and_b64 s[4:5], s[4:5], exec
	s_or_saveexec_b64 s[6:7], s[6:7]
	v_mov_b32_e32 v10, s10
	s_xor_b64 exec, exec, s[6:7]
	s_cbranch_execz .LBB29_1610
.LBB29_3660:
	v_mov_b32_e32 v10, 0
	v_cmp_ne_u16_sdwa s[8:9], v11, v10 src0_sel:BYTE_0 src1_sel:DWORD
	s_andn2_b64 s[4:5], s[4:5], exec
	s_and_b64 s[8:9], s[8:9], exec
	s_or_b64 s[4:5], s[4:5], s[8:9]
	s_or_b64 exec, exec, s[6:7]
	s_and_saveexec_b64 s[6:7], s[4:5]
	s_cbranch_execnz .LBB29_1611
	s_branch .LBB29_1612
.LBB29_3661:
	s_movk_i32 s4, 0x80
	v_cmp_eq_u16_sdwa s[12:13], v11, s4 src0_sel:BYTE_0 src1_sel:DWORD
	s_mov_b64 s[4:5], -1
                                        ; implicit-def: $sgpr10
	s_and_saveexec_b64 s[8:9], s[12:13]
; %bb.3662:
	s_mov_b32 s10, 0x7f800001
	s_xor_b64 s[4:5], exec, -1
; %bb.3663:
	s_or_b64 exec, exec, s[8:9]
	s_and_b64 s[4:5], s[4:5], exec
	s_or_saveexec_b64 s[6:7], s[6:7]
	v_mov_b32_e32 v14, s10
	s_xor_b64 exec, exec, s[6:7]
	s_cbranch_execz .LBB29_1614
.LBB29_3664:
	v_mov_b32_e32 v14, 0
	v_cmp_ne_u16_sdwa s[8:9], v11, v14 src0_sel:BYTE_0 src1_sel:DWORD
	s_andn2_b64 s[4:5], s[4:5], exec
	s_and_b64 s[8:9], s[8:9], exec
	s_or_b64 s[4:5], s[4:5], s[8:9]
	s_or_b64 exec, exec, s[6:7]
	s_and_saveexec_b64 s[6:7], s[4:5]
	s_cbranch_execnz .LBB29_1615
	s_branch .LBB29_1616
.LBB29_3665:
	s_movk_i32 s4, 0x80
	v_cmp_eq_u16_e32 vcc, s4, v11
	s_mov_b64 s[4:5], -1
                                        ; implicit-def: $sgpr10
	s_and_saveexec_b64 s[8:9], vcc
; %bb.3666:
	s_mov_b32 s10, 0x7f800001
	s_xor_b64 s[4:5], exec, -1
; %bb.3667:
	s_or_b64 exec, exec, s[8:9]
	s_and_b64 s[4:5], s[4:5], exec
                                        ; implicit-def: $vgpr11
	s_or_saveexec_b64 s[6:7], s[6:7]
	v_mov_b32_e32 v10, s10
	s_xor_b64 exec, exec, s[6:7]
	s_cbranch_execz .LBB29_1618
.LBB29_3668:
	v_cmp_ne_u16_e32 vcc, 0, v11
	s_andn2_b64 s[4:5], s[4:5], exec
	s_and_b64 s[8:9], vcc, exec
	v_mov_b32_e32 v10, 0
	s_or_b64 s[4:5], s[4:5], s[8:9]
	s_or_b64 exec, exec, s[6:7]
	s_and_saveexec_b64 s[6:7], s[4:5]
	s_cbranch_execnz .LBB29_1619
	s_branch .LBB29_1620
.LBB29_3669:
	s_movk_i32 s4, 0x80
	v_cmp_eq_u16_e32 vcc, s4, v11
	s_mov_b64 s[4:5], -1
                                        ; implicit-def: $sgpr10
	s_and_saveexec_b64 s[8:9], vcc
; %bb.3670:
	s_mov_b32 s10, 0x7f800001
	s_xor_b64 s[4:5], exec, -1
; %bb.3671:
	s_or_b64 exec, exec, s[8:9]
	s_and_b64 s[4:5], s[4:5], exec
                                        ; implicit-def: $vgpr11
	s_or_saveexec_b64 s[6:7], s[6:7]
	v_mov_b32_e32 v14, s10
	s_xor_b64 exec, exec, s[6:7]
	s_cbranch_execz .LBB29_1622
.LBB29_3672:
	v_cmp_ne_u16_e32 vcc, 0, v11
	s_andn2_b64 s[4:5], s[4:5], exec
	s_and_b64 s[8:9], vcc, exec
	v_mov_b32_e32 v14, 0
	s_or_b64 s[4:5], s[4:5], s[8:9]
	s_or_b64 exec, exec, s[6:7]
	s_and_saveexec_b64 s[6:7], s[4:5]
	s_cbranch_execnz .LBB29_1623
	s_branch .LBB29_1624
.LBB29_3673:
	s_movk_i32 s4, 0x80
	v_cmp_eq_u16_sdwa s[12:13], v16, s4 src0_sel:BYTE_3 src1_sel:DWORD
	s_mov_b64 s[4:5], -1
                                        ; implicit-def: $sgpr10
	s_and_saveexec_b64 s[8:9], s[12:13]
; %bb.3674:
	s_mov_b32 s10, 0x7f800001
	s_xor_b64 s[4:5], exec, -1
; %bb.3675:
	s_or_b64 exec, exec, s[8:9]
	s_and_b64 s[4:5], s[4:5], exec
	s_or_saveexec_b64 s[6:7], s[6:7]
	v_mov_b32_e32 v10, s10
	s_xor_b64 exec, exec, s[6:7]
	s_cbranch_execz .LBB29_1626
.LBB29_3676:
	v_mov_b32_e32 v10, 0
	v_cmp_ne_u16_sdwa s[8:9], v16, v10 src0_sel:BYTE_3 src1_sel:DWORD
	s_andn2_b64 s[4:5], s[4:5], exec
	s_and_b64 s[8:9], s[8:9], exec
	s_or_b64 s[4:5], s[4:5], s[8:9]
	s_or_b64 exec, exec, s[6:7]
	s_and_saveexec_b64 s[6:7], s[4:5]
	s_cbranch_execnz .LBB29_1627
	s_branch .LBB29_1628
.LBB29_3677:
	s_movk_i32 s4, 0x80
	v_cmp_eq_u16_sdwa s[12:13], v12, s4 src0_sel:BYTE_3 src1_sel:DWORD
	s_mov_b64 s[4:5], -1
                                        ; implicit-def: $sgpr10
	s_and_saveexec_b64 s[8:9], s[12:13]
; %bb.3678:
	s_mov_b32 s10, 0x7f800001
	s_xor_b64 s[4:5], exec, -1
; %bb.3679:
	s_or_b64 exec, exec, s[8:9]
	s_and_b64 s[4:5], s[4:5], exec
	s_or_saveexec_b64 s[6:7], s[6:7]
	v_mov_b32_e32 v11, s10
	s_xor_b64 exec, exec, s[6:7]
	s_cbranch_execz .LBB29_1630
.LBB29_3680:
	v_mov_b32_e32 v11, 0
	v_cmp_ne_u16_sdwa s[8:9], v12, v11 src0_sel:BYTE_3 src1_sel:DWORD
	s_andn2_b64 s[4:5], s[4:5], exec
	s_and_b64 s[8:9], s[8:9], exec
	s_or_b64 s[4:5], s[4:5], s[8:9]
	s_or_b64 exec, exec, s[6:7]
	s_and_saveexec_b64 s[6:7], s[4:5]
	s_cbranch_execnz .LBB29_1631
	s_branch .LBB29_1632
.LBB29_3681:
	s_movk_i32 s4, 0x80
	v_cmp_eq_u16_sdwa s[12:13], v17, s4 src0_sel:BYTE_0 src1_sel:DWORD
	s_mov_b64 s[4:5], -1
                                        ; implicit-def: $sgpr10
	s_and_saveexec_b64 s[8:9], s[12:13]
; %bb.3682:
	s_mov_b32 s10, 0x7f800001
	s_xor_b64 s[4:5], exec, -1
; %bb.3683:
	s_or_b64 exec, exec, s[8:9]
	s_and_b64 s[4:5], s[4:5], exec
	s_or_saveexec_b64 s[6:7], s[6:7]
	v_mov_b32_e32 v10, s10
	s_xor_b64 exec, exec, s[6:7]
	s_cbranch_execz .LBB29_1634
.LBB29_3684:
	v_mov_b32_e32 v10, 0
	v_cmp_ne_u16_sdwa s[8:9], v17, v10 src0_sel:BYTE_0 src1_sel:DWORD
	s_andn2_b64 s[4:5], s[4:5], exec
	s_and_b64 s[8:9], s[8:9], exec
	s_or_b64 s[4:5], s[4:5], s[8:9]
	s_or_b64 exec, exec, s[6:7]
	s_and_saveexec_b64 s[6:7], s[4:5]
	s_cbranch_execnz .LBB29_1635
	s_branch .LBB29_1636
.LBB29_3685:
	s_movk_i32 s4, 0x80
	v_cmp_eq_u16_sdwa s[12:13], v13, s4 src0_sel:BYTE_0 src1_sel:DWORD
	s_mov_b64 s[4:5], -1
                                        ; implicit-def: $sgpr10
	s_and_saveexec_b64 s[8:9], s[12:13]
; %bb.3686:
	s_mov_b32 s10, 0x7f800001
	s_xor_b64 s[4:5], exec, -1
; %bb.3687:
	s_or_b64 exec, exec, s[8:9]
	s_and_b64 s[4:5], s[4:5], exec
	s_or_saveexec_b64 s[6:7], s[6:7]
	v_mov_b32_e32 v11, s10
	s_xor_b64 exec, exec, s[6:7]
	s_cbranch_execz .LBB29_1638
.LBB29_3688:
	v_mov_b32_e32 v11, 0
	v_cmp_ne_u16_sdwa s[8:9], v13, v11 src0_sel:BYTE_0 src1_sel:DWORD
	s_andn2_b64 s[4:5], s[4:5], exec
	s_and_b64 s[8:9], s[8:9], exec
	s_or_b64 s[4:5], s[4:5], s[8:9]
	s_or_b64 exec, exec, s[6:7]
	s_and_saveexec_b64 s[6:7], s[4:5]
	s_cbranch_execnz .LBB29_1639
	s_branch .LBB29_1640
.LBB29_3689:
	s_movk_i32 s4, 0x80
	v_cmp_eq_u16_sdwa s[12:13], v11, s4 src0_sel:BYTE_0 src1_sel:DWORD
	s_mov_b64 s[4:5], -1
                                        ; implicit-def: $sgpr10
	s_and_saveexec_b64 s[8:9], s[12:13]
; %bb.3690:
	s_mov_b32 s10, 0x7f800001
	s_xor_b64 s[4:5], exec, -1
; %bb.3691:
	s_or_b64 exec, exec, s[8:9]
	s_and_b64 s[4:5], s[4:5], exec
	s_or_saveexec_b64 s[6:7], s[6:7]
	v_mov_b32_e32 v10, s10
	s_xor_b64 exec, exec, s[6:7]
	s_cbranch_execz .LBB29_1642
.LBB29_3692:
	v_mov_b32_e32 v10, 0
	v_cmp_ne_u16_sdwa s[8:9], v11, v10 src0_sel:BYTE_0 src1_sel:DWORD
	s_andn2_b64 s[4:5], s[4:5], exec
	s_and_b64 s[8:9], s[8:9], exec
	s_or_b64 s[4:5], s[4:5], s[8:9]
	s_or_b64 exec, exec, s[6:7]
	s_and_saveexec_b64 s[6:7], s[4:5]
	s_cbranch_execnz .LBB29_1643
	s_branch .LBB29_1644
.LBB29_3693:
	s_movk_i32 s4, 0x80
	v_cmp_eq_u16_sdwa s[12:13], v11, s4 src0_sel:BYTE_0 src1_sel:DWORD
	s_mov_b64 s[4:5], -1
                                        ; implicit-def: $sgpr10
	s_and_saveexec_b64 s[8:9], s[12:13]
; %bb.3694:
	s_mov_b32 s10, 0x7f800001
	s_xor_b64 s[4:5], exec, -1
; %bb.3695:
	s_or_b64 exec, exec, s[8:9]
	s_and_b64 s[4:5], s[4:5], exec
	s_or_saveexec_b64 s[6:7], s[6:7]
	v_mov_b32_e32 v12, s10
	s_xor_b64 exec, exec, s[6:7]
	s_cbranch_execz .LBB29_1646
.LBB29_3696:
	v_mov_b32_e32 v12, 0
	v_cmp_ne_u16_sdwa s[8:9], v11, v12 src0_sel:BYTE_0 src1_sel:DWORD
	s_andn2_b64 s[4:5], s[4:5], exec
	s_and_b64 s[8:9], s[8:9], exec
	s_or_b64 s[4:5], s[4:5], s[8:9]
	s_or_b64 exec, exec, s[6:7]
	s_and_saveexec_b64 s[6:7], s[4:5]
	s_cbranch_execnz .LBB29_1647
	s_branch .LBB29_1648
.LBB29_3697:
	s_movk_i32 s4, 0x80
	v_cmp_eq_u16_e32 vcc, s4, v11
	s_mov_b64 s[4:5], -1
                                        ; implicit-def: $sgpr10
	s_and_saveexec_b64 s[8:9], vcc
; %bb.3698:
	s_mov_b32 s10, 0x7f800001
	s_xor_b64 s[4:5], exec, -1
; %bb.3699:
	s_or_b64 exec, exec, s[8:9]
	s_and_b64 s[4:5], s[4:5], exec
                                        ; implicit-def: $vgpr11
	s_or_saveexec_b64 s[6:7], s[6:7]
	v_mov_b32_e32 v10, s10
	s_xor_b64 exec, exec, s[6:7]
	s_cbranch_execz .LBB29_1650
.LBB29_3700:
	v_cmp_ne_u16_e32 vcc, 0, v11
	s_andn2_b64 s[4:5], s[4:5], exec
	s_and_b64 s[8:9], vcc, exec
	v_mov_b32_e32 v10, 0
	s_or_b64 s[4:5], s[4:5], s[8:9]
	s_or_b64 exec, exec, s[6:7]
	s_and_saveexec_b64 s[6:7], s[4:5]
	s_cbranch_execnz .LBB29_1651
	s_branch .LBB29_1652
.LBB29_3701:
	s_movk_i32 s4, 0x80
	v_cmp_eq_u16_e32 vcc, s4, v11
	s_mov_b64 s[4:5], -1
                                        ; implicit-def: $sgpr10
	s_and_saveexec_b64 s[8:9], vcc
; %bb.3702:
	s_mov_b32 s10, 0x7f800001
	s_xor_b64 s[4:5], exec, -1
; %bb.3703:
	s_or_b64 exec, exec, s[8:9]
	s_and_b64 s[4:5], s[4:5], exec
                                        ; implicit-def: $vgpr11
	s_or_saveexec_b64 s[6:7], s[6:7]
	v_mov_b32_e32 v12, s10
	s_xor_b64 exec, exec, s[6:7]
	s_cbranch_execz .LBB29_1654
.LBB29_3704:
	v_cmp_ne_u16_e32 vcc, 0, v11
	s_andn2_b64 s[4:5], s[4:5], exec
	s_and_b64 s[8:9], vcc, exec
	v_mov_b32_e32 v12, 0
	s_or_b64 s[4:5], s[4:5], s[8:9]
	s_or_b64 exec, exec, s[6:7]
	s_and_saveexec_b64 s[6:7], s[4:5]
	s_cbranch_execnz .LBB29_1655
	s_branch .LBB29_1656
.LBB29_3705:
	s_movk_i32 s4, 0x80
	v_cmp_eq_u16_sdwa s[12:13], v17, s4 src0_sel:BYTE_3 src1_sel:DWORD
	s_mov_b64 s[4:5], -1
                                        ; implicit-def: $sgpr10
	s_and_saveexec_b64 s[8:9], s[12:13]
; %bb.3706:
	s_mov_b32 s10, 0x7f800001
	s_xor_b64 s[4:5], exec, -1
; %bb.3707:
	s_or_b64 exec, exec, s[8:9]
	s_and_b64 s[4:5], s[4:5], exec
	s_or_saveexec_b64 s[6:7], s[6:7]
	v_mov_b32_e32 v10, s10
	s_xor_b64 exec, exec, s[6:7]
	s_cbranch_execz .LBB29_1658
.LBB29_3708:
	v_mov_b32_e32 v10, 0
	v_cmp_ne_u16_sdwa s[8:9], v17, v10 src0_sel:BYTE_3 src1_sel:DWORD
	s_andn2_b64 s[4:5], s[4:5], exec
	s_and_b64 s[8:9], s[8:9], exec
	s_or_b64 s[4:5], s[4:5], s[8:9]
	s_or_b64 exec, exec, s[6:7]
	s_and_saveexec_b64 s[6:7], s[4:5]
	s_cbranch_execnz .LBB29_1659
	s_branch .LBB29_1660
.LBB29_3709:
	s_movk_i32 s4, 0x80
	v_cmp_eq_u16_sdwa s[12:13], v13, s4 src0_sel:BYTE_3 src1_sel:DWORD
	s_mov_b64 s[4:5], -1
                                        ; implicit-def: $sgpr10
	s_and_saveexec_b64 s[8:9], s[12:13]
; %bb.3710:
	s_mov_b32 s10, 0x7f800001
	s_xor_b64 s[4:5], exec, -1
; %bb.3711:
	s_or_b64 exec, exec, s[8:9]
	s_and_b64 s[4:5], s[4:5], exec
	s_or_saveexec_b64 s[6:7], s[6:7]
	v_mov_b32_e32 v11, s10
	s_xor_b64 exec, exec, s[6:7]
	s_cbranch_execz .LBB29_1662
.LBB29_3712:
	v_mov_b32_e32 v11, 0
	v_cmp_ne_u16_sdwa s[8:9], v13, v11 src0_sel:BYTE_3 src1_sel:DWORD
	s_andn2_b64 s[4:5], s[4:5], exec
	s_and_b64 s[8:9], s[8:9], exec
	s_or_b64 s[4:5], s[4:5], s[8:9]
	s_or_b64 exec, exec, s[6:7]
	s_and_saveexec_b64 s[6:7], s[4:5]
	s_cbranch_execnz .LBB29_1663
	s_branch .LBB29_1664
.LBB29_3713:
	s_movk_i32 s4, 0x80
	v_cmp_eq_u16_sdwa s[12:13], v6, s4 src0_sel:BYTE_0 src1_sel:DWORD
	s_mov_b64 s[4:5], -1
                                        ; implicit-def: $sgpr10
	s_and_saveexec_b64 s[8:9], s[12:13]
; %bb.3714:
	s_mov_b32 s10, 0x7f800001
	s_xor_b64 s[4:5], exec, -1
; %bb.3715:
	s_or_b64 exec, exec, s[8:9]
	s_and_b64 s[4:5], s[4:5], exec
	s_or_saveexec_b64 s[6:7], s[6:7]
	v_mov_b32_e32 v10, s10
	s_xor_b64 exec, exec, s[6:7]
	s_cbranch_execz .LBB29_1666
.LBB29_3716:
	v_mov_b32_e32 v10, 0
	v_cmp_ne_u16_sdwa s[8:9], v6, v10 src0_sel:BYTE_0 src1_sel:DWORD
	s_andn2_b64 s[4:5], s[4:5], exec
	s_and_b64 s[8:9], s[8:9], exec
	s_or_b64 s[4:5], s[4:5], s[8:9]
	s_or_b64 exec, exec, s[6:7]
	s_and_saveexec_b64 s[6:7], s[4:5]
	s_cbranch_execnz .LBB29_1667
	s_branch .LBB29_1668
.LBB29_3717:
	s_movk_i32 s4, 0x80
	v_cmp_eq_u16_sdwa s[12:13], v2, s4 src0_sel:BYTE_0 src1_sel:DWORD
	s_mov_b64 s[4:5], -1
                                        ; implicit-def: $sgpr10
	s_and_saveexec_b64 s[8:9], s[12:13]
; %bb.3718:
	s_mov_b32 s10, 0x7f800001
	s_xor_b64 s[4:5], exec, -1
; %bb.3719:
	s_or_b64 exec, exec, s[8:9]
	s_and_b64 s[4:5], s[4:5], exec
	s_or_saveexec_b64 s[6:7], s[6:7]
	v_mov_b32_e32 v11, s10
	s_xor_b64 exec, exec, s[6:7]
	s_cbranch_execz .LBB29_1670
.LBB29_3720:
	v_mov_b32_e32 v11, 0
	v_cmp_ne_u16_sdwa s[8:9], v2, v11 src0_sel:BYTE_0 src1_sel:DWORD
	s_andn2_b64 s[4:5], s[4:5], exec
	s_and_b64 s[8:9], s[8:9], exec
	s_or_b64 s[4:5], s[4:5], s[8:9]
	s_or_b64 exec, exec, s[6:7]
	s_and_saveexec_b64 s[6:7], s[4:5]
	s_cbranch_execnz .LBB29_1671
	s_branch .LBB29_1672
.LBB29_3721:
	s_movk_i32 s4, 0x80
	v_cmp_eq_u16_sdwa s[12:13], v11, s4 src0_sel:BYTE_0 src1_sel:DWORD
	s_mov_b64 s[4:5], -1
                                        ; implicit-def: $sgpr10
	s_and_saveexec_b64 s[8:9], s[12:13]
; %bb.3722:
	s_mov_b32 s10, 0x7f800001
	s_xor_b64 s[4:5], exec, -1
; %bb.3723:
	s_or_b64 exec, exec, s[8:9]
	s_and_b64 s[4:5], s[4:5], exec
	s_or_saveexec_b64 s[6:7], s[6:7]
	v_mov_b32_e32 v10, s10
	s_xor_b64 exec, exec, s[6:7]
	s_cbranch_execz .LBB29_1674
.LBB29_3724:
	v_mov_b32_e32 v10, 0
	v_cmp_ne_u16_sdwa s[8:9], v11, v10 src0_sel:BYTE_0 src1_sel:DWORD
	s_andn2_b64 s[4:5], s[4:5], exec
	s_and_b64 s[8:9], s[8:9], exec
	s_or_b64 s[4:5], s[4:5], s[8:9]
	s_or_b64 exec, exec, s[6:7]
	s_and_saveexec_b64 s[6:7], s[4:5]
	s_cbranch_execnz .LBB29_1675
	s_branch .LBB29_1676
.LBB29_3725:
	s_movk_i32 s4, 0x80
	v_cmp_eq_u16_sdwa s[12:13], v11, s4 src0_sel:BYTE_0 src1_sel:DWORD
	s_mov_b64 s[4:5], -1
                                        ; implicit-def: $sgpr10
	s_and_saveexec_b64 s[8:9], s[12:13]
; %bb.3726:
	s_mov_b32 s10, 0x7f800001
	s_xor_b64 s[4:5], exec, -1
; %bb.3727:
	s_or_b64 exec, exec, s[8:9]
	s_and_b64 s[4:5], s[4:5], exec
	s_or_saveexec_b64 s[6:7], s[6:7]
	v_mov_b32_e32 v12, s10
	s_xor_b64 exec, exec, s[6:7]
	s_cbranch_execz .LBB29_1678
.LBB29_3728:
	v_mov_b32_e32 v12, 0
	v_cmp_ne_u16_sdwa s[8:9], v11, v12 src0_sel:BYTE_0 src1_sel:DWORD
	s_andn2_b64 s[4:5], s[4:5], exec
	s_and_b64 s[8:9], s[8:9], exec
	s_or_b64 s[4:5], s[4:5], s[8:9]
	s_or_b64 exec, exec, s[6:7]
	s_and_saveexec_b64 s[6:7], s[4:5]
	s_cbranch_execnz .LBB29_1679
	s_branch .LBB29_1680
.LBB29_3729:
	s_movk_i32 s4, 0x80
	v_cmp_eq_u16_e32 vcc, s4, v11
	s_mov_b64 s[4:5], -1
                                        ; implicit-def: $sgpr10
	s_and_saveexec_b64 s[8:9], vcc
; %bb.3730:
	s_mov_b32 s10, 0x7f800001
	s_xor_b64 s[4:5], exec, -1
; %bb.3731:
	s_or_b64 exec, exec, s[8:9]
	s_and_b64 s[4:5], s[4:5], exec
                                        ; implicit-def: $vgpr11
	s_or_saveexec_b64 s[6:7], s[6:7]
	v_mov_b32_e32 v10, s10
	s_xor_b64 exec, exec, s[6:7]
	s_cbranch_execz .LBB29_1682
.LBB29_3732:
	v_cmp_ne_u16_e32 vcc, 0, v11
	s_andn2_b64 s[4:5], s[4:5], exec
	s_and_b64 s[8:9], vcc, exec
	v_mov_b32_e32 v10, 0
	s_or_b64 s[4:5], s[4:5], s[8:9]
	s_or_b64 exec, exec, s[6:7]
	s_and_saveexec_b64 s[6:7], s[4:5]
	s_cbranch_execnz .LBB29_1683
	s_branch .LBB29_1684
.LBB29_3733:
	s_movk_i32 s4, 0x80
	v_cmp_eq_u16_e32 vcc, s4, v11
	s_mov_b64 s[4:5], -1
                                        ; implicit-def: $sgpr10
	s_and_saveexec_b64 s[8:9], vcc
; %bb.3734:
	s_mov_b32 s10, 0x7f800001
	s_xor_b64 s[4:5], exec, -1
; %bb.3735:
	s_or_b64 exec, exec, s[8:9]
	s_and_b64 s[4:5], s[4:5], exec
                                        ; implicit-def: $vgpr11
	s_or_saveexec_b64 s[6:7], s[6:7]
	v_mov_b32_e32 v12, s10
	s_xor_b64 exec, exec, s[6:7]
	s_cbranch_execz .LBB29_1686
.LBB29_3736:
	v_cmp_ne_u16_e32 vcc, 0, v11
	s_andn2_b64 s[4:5], s[4:5], exec
	s_and_b64 s[8:9], vcc, exec
	v_mov_b32_e32 v12, 0
	s_or_b64 s[4:5], s[4:5], s[8:9]
	s_or_b64 exec, exec, s[6:7]
	s_and_saveexec_b64 s[6:7], s[4:5]
	s_cbranch_execnz .LBB29_1687
	s_branch .LBB29_1688
.LBB29_3737:
	s_movk_i32 s4, 0x80
	v_cmp_eq_u16_sdwa s[12:13], v6, s4 src0_sel:BYTE_3 src1_sel:DWORD
	s_mov_b64 s[4:5], -1
                                        ; implicit-def: $sgpr10
	s_and_saveexec_b64 s[8:9], s[12:13]
; %bb.3738:
	s_mov_b32 s10, 0x7f800001
	s_xor_b64 s[4:5], exec, -1
; %bb.3739:
	s_or_b64 exec, exec, s[8:9]
	s_and_b64 s[4:5], s[4:5], exec
	s_or_saveexec_b64 s[6:7], s[6:7]
	v_mov_b32_e32 v10, s10
	s_xor_b64 exec, exec, s[6:7]
	s_cbranch_execz .LBB29_1690
.LBB29_3740:
	v_mov_b32_e32 v10, 0
	v_cmp_ne_u16_sdwa s[8:9], v6, v10 src0_sel:BYTE_3 src1_sel:DWORD
	s_andn2_b64 s[4:5], s[4:5], exec
	s_and_b64 s[8:9], s[8:9], exec
	s_or_b64 s[4:5], s[4:5], s[8:9]
	s_or_b64 exec, exec, s[6:7]
	s_and_saveexec_b64 s[6:7], s[4:5]
	s_cbranch_execnz .LBB29_1691
	s_branch .LBB29_1692
.LBB29_3741:
	s_movk_i32 s4, 0x80
	v_cmp_eq_u16_sdwa s[12:13], v2, s4 src0_sel:BYTE_3 src1_sel:DWORD
	s_mov_b64 s[4:5], -1
                                        ; implicit-def: $sgpr10
	s_and_saveexec_b64 s[8:9], s[12:13]
; %bb.3742:
	s_mov_b32 s10, 0x7f800001
	s_xor_b64 s[4:5], exec, -1
; %bb.3743:
	s_or_b64 exec, exec, s[8:9]
	s_and_b64 s[4:5], s[4:5], exec
	s_or_saveexec_b64 s[6:7], s[6:7]
	v_mov_b32_e32 v6, s10
	s_xor_b64 exec, exec, s[6:7]
	s_cbranch_execz .LBB29_1694
.LBB29_3744:
	v_mov_b32_e32 v6, 0
	v_cmp_ne_u16_sdwa s[8:9], v2, v6 src0_sel:BYTE_3 src1_sel:DWORD
	s_andn2_b64 s[4:5], s[4:5], exec
	s_and_b64 s[8:9], s[8:9], exec
	s_or_b64 s[4:5], s[4:5], s[8:9]
	s_or_b64 exec, exec, s[6:7]
	s_and_saveexec_b64 s[6:7], s[4:5]
	s_cbranch_execnz .LBB29_1695
	s_branch .LBB29_1696
.LBB29_3745:
	s_movk_i32 s4, 0x80
	v_cmp_eq_u16_sdwa s[12:13], v7, s4 src0_sel:BYTE_0 src1_sel:DWORD
	s_mov_b64 s[4:5], -1
                                        ; implicit-def: $sgpr10
	s_and_saveexec_b64 s[8:9], s[12:13]
; %bb.3746:
	s_mov_b32 s10, 0x7f800001
	s_xor_b64 s[4:5], exec, -1
; %bb.3747:
	s_or_b64 exec, exec, s[8:9]
	s_and_b64 s[4:5], s[4:5], exec
	s_or_saveexec_b64 s[6:7], s[6:7]
	v_mov_b32_e32 v2, s10
	s_xor_b64 exec, exec, s[6:7]
	s_cbranch_execz .LBB29_1698
.LBB29_3748:
	v_mov_b32_e32 v2, 0
	v_cmp_ne_u16_sdwa s[8:9], v7, v2 src0_sel:BYTE_0 src1_sel:DWORD
	s_andn2_b64 s[4:5], s[4:5], exec
	s_and_b64 s[8:9], s[8:9], exec
	s_or_b64 s[4:5], s[4:5], s[8:9]
	s_or_b64 exec, exec, s[6:7]
	s_and_saveexec_b64 s[6:7], s[4:5]
	s_cbranch_execnz .LBB29_1699
	s_branch .LBB29_1700
.LBB29_3749:
	s_movk_i32 s4, 0x80
	v_cmp_eq_u16_sdwa s[12:13], v3, s4 src0_sel:BYTE_0 src1_sel:DWORD
	s_mov_b64 s[4:5], -1
                                        ; implicit-def: $sgpr10
	s_and_saveexec_b64 s[8:9], s[12:13]
; %bb.3750:
	s_mov_b32 s10, 0x7f800001
	s_xor_b64 s[4:5], exec, -1
; %bb.3751:
	s_or_b64 exec, exec, s[8:9]
	s_and_b64 s[4:5], s[4:5], exec
	s_or_saveexec_b64 s[6:7], s[6:7]
	v_mov_b32_e32 v6, s10
	s_xor_b64 exec, exec, s[6:7]
	s_cbranch_execz .LBB29_1702
.LBB29_3752:
	v_mov_b32_e32 v6, 0
	v_cmp_ne_u16_sdwa s[8:9], v3, v6 src0_sel:BYTE_0 src1_sel:DWORD
	s_andn2_b64 s[4:5], s[4:5], exec
	s_and_b64 s[8:9], s[8:9], exec
	s_or_b64 s[4:5], s[4:5], s[8:9]
	s_or_b64 exec, exec, s[6:7]
	s_and_saveexec_b64 s[6:7], s[4:5]
	s_cbranch_execnz .LBB29_1703
	s_branch .LBB29_1704
.LBB29_3753:
	s_movk_i32 s4, 0x80
	v_cmp_eq_u16_sdwa s[12:13], v6, s4 src0_sel:BYTE_0 src1_sel:DWORD
	s_mov_b64 s[4:5], -1
                                        ; implicit-def: $sgpr10
	s_and_saveexec_b64 s[8:9], s[12:13]
; %bb.3754:
	s_mov_b32 s10, 0x7f800001
	s_xor_b64 s[4:5], exec, -1
; %bb.3755:
	s_or_b64 exec, exec, s[8:9]
	s_and_b64 s[4:5], s[4:5], exec
	s_or_saveexec_b64 s[6:7], s[6:7]
	v_mov_b32_e32 v2, s10
	s_xor_b64 exec, exec, s[6:7]
	s_cbranch_execz .LBB29_1706
.LBB29_3756:
	v_mov_b32_e32 v2, 0
	v_cmp_ne_u16_sdwa s[8:9], v6, v2 src0_sel:BYTE_0 src1_sel:DWORD
	s_andn2_b64 s[4:5], s[4:5], exec
	s_and_b64 s[8:9], s[8:9], exec
	s_or_b64 s[4:5], s[4:5], s[8:9]
	s_or_b64 exec, exec, s[6:7]
	s_and_saveexec_b64 s[6:7], s[4:5]
	s_cbranch_execnz .LBB29_1707
	s_branch .LBB29_1708
.LBB29_3757:
	s_movk_i32 s4, 0x80
	v_cmp_eq_u16_sdwa s[12:13], v6, s4 src0_sel:BYTE_0 src1_sel:DWORD
	s_mov_b64 s[4:5], -1
                                        ; implicit-def: $sgpr10
	s_and_saveexec_b64 s[8:9], s[12:13]
; %bb.3758:
	s_mov_b32 s10, 0x7f800001
	s_xor_b64 s[4:5], exec, -1
; %bb.3759:
	s_or_b64 exec, exec, s[8:9]
	s_and_b64 s[4:5], s[4:5], exec
	s_or_saveexec_b64 s[6:7], s[6:7]
	v_mov_b32_e32 v10, s10
	s_xor_b64 exec, exec, s[6:7]
	s_cbranch_execz .LBB29_1710
.LBB29_3760:
	v_mov_b32_e32 v10, 0
	v_cmp_ne_u16_sdwa s[8:9], v6, v10 src0_sel:BYTE_0 src1_sel:DWORD
	s_andn2_b64 s[4:5], s[4:5], exec
	s_and_b64 s[8:9], s[8:9], exec
	s_or_b64 s[4:5], s[4:5], s[8:9]
	s_or_b64 exec, exec, s[6:7]
	s_and_saveexec_b64 s[6:7], s[4:5]
	s_cbranch_execnz .LBB29_1711
	s_branch .LBB29_1712
.LBB29_3761:
	s_movk_i32 s4, 0x80
	v_cmp_eq_u16_e32 vcc, s4, v6
	s_mov_b64 s[4:5], -1
                                        ; implicit-def: $sgpr10
	s_and_saveexec_b64 s[8:9], vcc
; %bb.3762:
	s_mov_b32 s10, 0x7f800001
	s_xor_b64 s[4:5], exec, -1
; %bb.3763:
	s_or_b64 exec, exec, s[8:9]
	s_and_b64 s[4:5], s[4:5], exec
                                        ; implicit-def: $vgpr6
	s_or_saveexec_b64 s[6:7], s[6:7]
	v_mov_b32_e32 v2, s10
	s_xor_b64 exec, exec, s[6:7]
	s_cbranch_execz .LBB29_1714
.LBB29_3764:
	v_cmp_ne_u16_e32 vcc, 0, v6
	s_andn2_b64 s[4:5], s[4:5], exec
	s_and_b64 s[8:9], vcc, exec
	v_mov_b32_e32 v2, 0
	s_or_b64 s[4:5], s[4:5], s[8:9]
	s_or_b64 exec, exec, s[6:7]
	s_and_saveexec_b64 s[6:7], s[4:5]
	s_cbranch_execnz .LBB29_1715
	s_branch .LBB29_1716
.LBB29_3765:
	s_movk_i32 s4, 0x80
	v_cmp_eq_u16_e32 vcc, s4, v6
	s_mov_b64 s[4:5], -1
                                        ; implicit-def: $sgpr10
	s_and_saveexec_b64 s[8:9], vcc
; %bb.3766:
	s_mov_b32 s10, 0x7f800001
	s_xor_b64 s[4:5], exec, -1
; %bb.3767:
	s_or_b64 exec, exec, s[8:9]
	s_and_b64 s[4:5], s[4:5], exec
                                        ; implicit-def: $vgpr6
	s_or_saveexec_b64 s[6:7], s[6:7]
	v_mov_b32_e32 v10, s10
	s_xor_b64 exec, exec, s[6:7]
	s_cbranch_execz .LBB29_1718
.LBB29_3768:
	v_cmp_ne_u16_e32 vcc, 0, v6
	s_andn2_b64 s[4:5], s[4:5], exec
	s_and_b64 s[8:9], vcc, exec
	v_mov_b32_e32 v10, 0
	s_or_b64 s[4:5], s[4:5], s[8:9]
	s_or_b64 exec, exec, s[6:7]
	s_and_saveexec_b64 s[6:7], s[4:5]
	s_cbranch_execnz .LBB29_1719
	s_branch .LBB29_1720
.LBB29_3769:
	s_movk_i32 s4, 0x80
	v_cmp_eq_u16_sdwa s[12:13], v7, s4 src0_sel:BYTE_3 src1_sel:DWORD
	s_mov_b64 s[4:5], -1
                                        ; implicit-def: $sgpr10
	s_and_saveexec_b64 s[8:9], s[12:13]
; %bb.3770:
	s_mov_b32 s10, 0x7f800001
	s_xor_b64 s[4:5], exec, -1
; %bb.3771:
	s_or_b64 exec, exec, s[8:9]
	s_and_b64 s[4:5], s[4:5], exec
	s_or_saveexec_b64 s[6:7], s[6:7]
	v_mov_b32_e32 v2, s10
	s_xor_b64 exec, exec, s[6:7]
	s_cbranch_execz .LBB29_1722
.LBB29_3772:
	v_mov_b32_e32 v2, 0
	v_cmp_ne_u16_sdwa s[8:9], v7, v2 src0_sel:BYTE_3 src1_sel:DWORD
	s_andn2_b64 s[4:5], s[4:5], exec
	s_and_b64 s[8:9], s[8:9], exec
	s_or_b64 s[4:5], s[4:5], s[8:9]
	s_or_b64 exec, exec, s[6:7]
	s_and_saveexec_b64 s[6:7], s[4:5]
	s_cbranch_execnz .LBB29_1723
	s_branch .LBB29_1724
.LBB29_3773:
	s_movk_i32 s4, 0x80
	v_cmp_eq_u16_sdwa s[12:13], v3, s4 src0_sel:BYTE_3 src1_sel:DWORD
	s_mov_b64 s[4:5], -1
                                        ; implicit-def: $sgpr10
	s_and_saveexec_b64 s[8:9], s[12:13]
; %bb.3774:
	s_mov_b32 s10, 0x7f800001
	s_xor_b64 s[4:5], exec, -1
; %bb.3775:
	s_or_b64 exec, exec, s[8:9]
	s_and_b64 s[4:5], s[4:5], exec
	s_or_saveexec_b64 s[6:7], s[6:7]
	v_mov_b32_e32 v6, s10
	s_xor_b64 exec, exec, s[6:7]
	s_cbranch_execz .LBB29_1726
.LBB29_3776:
	v_mov_b32_e32 v6, 0
	v_cmp_ne_u16_sdwa s[8:9], v3, v6 src0_sel:BYTE_3 src1_sel:DWORD
	s_andn2_b64 s[4:5], s[4:5], exec
	s_and_b64 s[8:9], s[8:9], exec
	s_or_b64 s[4:5], s[4:5], s[8:9]
	s_or_b64 exec, exec, s[6:7]
	s_and_saveexec_b64 s[6:7], s[4:5]
	s_cbranch_execnz .LBB29_1727
	s_branch .LBB29_1728
.LBB29_3777:
	s_movk_i32 s4, 0x80
	v_cmp_eq_u16_sdwa s[12:13], v8, s4 src0_sel:BYTE_0 src1_sel:DWORD
	s_mov_b64 s[4:5], -1
                                        ; implicit-def: $sgpr10
	s_and_saveexec_b64 s[8:9], s[12:13]
; %bb.3778:
	s_mov_b32 s10, 0x7f800001
	s_xor_b64 s[4:5], exec, -1
; %bb.3779:
	s_or_b64 exec, exec, s[8:9]
	s_and_b64 s[4:5], s[4:5], exec
	s_or_saveexec_b64 s[6:7], s[6:7]
	v_mov_b32_e32 v2, s10
	s_xor_b64 exec, exec, s[6:7]
	s_cbranch_execz .LBB29_1730
.LBB29_3780:
	v_mov_b32_e32 v2, 0
	v_cmp_ne_u16_sdwa s[8:9], v8, v2 src0_sel:BYTE_0 src1_sel:DWORD
	s_andn2_b64 s[4:5], s[4:5], exec
	s_and_b64 s[8:9], s[8:9], exec
	s_or_b64 s[4:5], s[4:5], s[8:9]
	s_or_b64 exec, exec, s[6:7]
	s_and_saveexec_b64 s[6:7], s[4:5]
	s_cbranch_execnz .LBB29_1731
	s_branch .LBB29_1732
.LBB29_3781:
	s_movk_i32 s4, 0x80
	v_cmp_eq_u16_sdwa s[12:13], v4, s4 src0_sel:BYTE_0 src1_sel:DWORD
	s_mov_b64 s[4:5], -1
                                        ; implicit-def: $sgpr10
	s_and_saveexec_b64 s[8:9], s[12:13]
; %bb.3782:
	s_mov_b32 s10, 0x7f800001
	s_xor_b64 s[4:5], exec, -1
; %bb.3783:
	s_or_b64 exec, exec, s[8:9]
	s_and_b64 s[4:5], s[4:5], exec
	s_or_saveexec_b64 s[6:7], s[6:7]
	v_mov_b32_e32 v3, s10
	s_xor_b64 exec, exec, s[6:7]
	s_cbranch_execz .LBB29_1734
.LBB29_3784:
	v_mov_b32_e32 v3, 0
	v_cmp_ne_u16_sdwa s[8:9], v4, v3 src0_sel:BYTE_0 src1_sel:DWORD
	s_andn2_b64 s[4:5], s[4:5], exec
	s_and_b64 s[8:9], s[8:9], exec
	s_or_b64 s[4:5], s[4:5], s[8:9]
	s_or_b64 exec, exec, s[6:7]
	s_and_saveexec_b64 s[6:7], s[4:5]
	s_cbranch_execnz .LBB29_1735
	s_branch .LBB29_1736
.LBB29_3785:
	s_movk_i32 s4, 0x80
	v_cmp_eq_u16_sdwa s[12:13], v3, s4 src0_sel:BYTE_0 src1_sel:DWORD
	s_mov_b64 s[4:5], -1
                                        ; implicit-def: $sgpr10
	s_and_saveexec_b64 s[8:9], s[12:13]
; %bb.3786:
	s_mov_b32 s10, 0x7f800001
	s_xor_b64 s[4:5], exec, -1
; %bb.3787:
	s_or_b64 exec, exec, s[8:9]
	s_and_b64 s[4:5], s[4:5], exec
	s_or_saveexec_b64 s[6:7], s[6:7]
	v_mov_b32_e32 v2, s10
	s_xor_b64 exec, exec, s[6:7]
	s_cbranch_execz .LBB29_1738
.LBB29_3788:
	v_mov_b32_e32 v2, 0
	v_cmp_ne_u16_sdwa s[8:9], v3, v2 src0_sel:BYTE_0 src1_sel:DWORD
	s_andn2_b64 s[4:5], s[4:5], exec
	s_and_b64 s[8:9], s[8:9], exec
	s_or_b64 s[4:5], s[4:5], s[8:9]
	s_or_b64 exec, exec, s[6:7]
	s_and_saveexec_b64 s[6:7], s[4:5]
	s_cbranch_execnz .LBB29_1739
	s_branch .LBB29_1740
.LBB29_3789:
	s_movk_i32 s4, 0x80
	v_cmp_eq_u16_sdwa s[12:13], v3, s4 src0_sel:BYTE_0 src1_sel:DWORD
	s_mov_b64 s[4:5], -1
                                        ; implicit-def: $sgpr10
	s_and_saveexec_b64 s[8:9], s[12:13]
; %bb.3790:
	s_mov_b32 s10, 0x7f800001
	s_xor_b64 s[4:5], exec, -1
; %bb.3791:
	s_or_b64 exec, exec, s[8:9]
	s_and_b64 s[4:5], s[4:5], exec
	s_or_saveexec_b64 s[6:7], s[6:7]
	v_mov_b32_e32 v6, s10
	s_xor_b64 exec, exec, s[6:7]
	s_cbranch_execz .LBB29_1742
.LBB29_3792:
	v_mov_b32_e32 v6, 0
	v_cmp_ne_u16_sdwa s[8:9], v3, v6 src0_sel:BYTE_0 src1_sel:DWORD
	s_andn2_b64 s[4:5], s[4:5], exec
	s_and_b64 s[8:9], s[8:9], exec
	s_or_b64 s[4:5], s[4:5], s[8:9]
	s_or_b64 exec, exec, s[6:7]
	s_and_saveexec_b64 s[6:7], s[4:5]
	s_cbranch_execnz .LBB29_1743
	s_branch .LBB29_1744
.LBB29_3793:
	s_movk_i32 s4, 0x80
	v_cmp_eq_u16_e32 vcc, s4, v3
	s_mov_b64 s[4:5], -1
                                        ; implicit-def: $sgpr10
	s_and_saveexec_b64 s[8:9], vcc
; %bb.3794:
	s_mov_b32 s10, 0x7f800001
	s_xor_b64 s[4:5], exec, -1
; %bb.3795:
	s_or_b64 exec, exec, s[8:9]
	s_and_b64 s[4:5], s[4:5], exec
                                        ; implicit-def: $vgpr3
	s_or_saveexec_b64 s[6:7], s[6:7]
	v_mov_b32_e32 v2, s10
	s_xor_b64 exec, exec, s[6:7]
	s_cbranch_execz .LBB29_1746
.LBB29_3796:
	v_cmp_ne_u16_e32 vcc, 0, v3
	s_andn2_b64 s[4:5], s[4:5], exec
	s_and_b64 s[8:9], vcc, exec
	v_mov_b32_e32 v2, 0
	s_or_b64 s[4:5], s[4:5], s[8:9]
	s_or_b64 exec, exec, s[6:7]
	s_and_saveexec_b64 s[6:7], s[4:5]
	s_cbranch_execnz .LBB29_1747
	s_branch .LBB29_1748
.LBB29_3797:
	s_movk_i32 s4, 0x80
	v_cmp_eq_u16_e32 vcc, s4, v3
	s_mov_b64 s[4:5], -1
                                        ; implicit-def: $sgpr10
	s_and_saveexec_b64 s[8:9], vcc
; %bb.3798:
	s_mov_b32 s10, 0x7f800001
	s_xor_b64 s[4:5], exec, -1
; %bb.3799:
	s_or_b64 exec, exec, s[8:9]
	s_and_b64 s[4:5], s[4:5], exec
                                        ; implicit-def: $vgpr3
	s_or_saveexec_b64 s[6:7], s[6:7]
	v_mov_b32_e32 v6, s10
	s_xor_b64 exec, exec, s[6:7]
	s_cbranch_execz .LBB29_1750
.LBB29_3800:
	v_cmp_ne_u16_e32 vcc, 0, v3
	s_andn2_b64 s[4:5], s[4:5], exec
	s_and_b64 s[8:9], vcc, exec
	v_mov_b32_e32 v6, 0
	s_or_b64 s[4:5], s[4:5], s[8:9]
	s_or_b64 exec, exec, s[6:7]
	s_and_saveexec_b64 s[6:7], s[4:5]
	s_cbranch_execnz .LBB29_1751
	s_branch .LBB29_1752
.LBB29_3801:
	s_movk_i32 s4, 0x80
	v_cmp_eq_u16_sdwa s[12:13], v8, s4 src0_sel:BYTE_3 src1_sel:DWORD
	s_mov_b64 s[4:5], -1
                                        ; implicit-def: $sgpr10
	s_and_saveexec_b64 s[8:9], s[12:13]
; %bb.3802:
	s_mov_b32 s10, 0x7f800001
	s_xor_b64 s[4:5], exec, -1
; %bb.3803:
	s_or_b64 exec, exec, s[8:9]
	s_and_b64 s[4:5], s[4:5], exec
	s_or_saveexec_b64 s[6:7], s[6:7]
	v_mov_b32_e32 v2, s10
	s_xor_b64 exec, exec, s[6:7]
	s_cbranch_execz .LBB29_1754
.LBB29_3804:
	v_mov_b32_e32 v2, 0
	v_cmp_ne_u16_sdwa s[8:9], v8, v2 src0_sel:BYTE_3 src1_sel:DWORD
	s_andn2_b64 s[4:5], s[4:5], exec
	s_and_b64 s[8:9], s[8:9], exec
	s_or_b64 s[4:5], s[4:5], s[8:9]
	s_or_b64 exec, exec, s[6:7]
	s_and_saveexec_b64 s[6:7], s[4:5]
	s_cbranch_execnz .LBB29_1755
	s_branch .LBB29_1756
.LBB29_3805:
	s_movk_i32 s4, 0x80
	v_cmp_eq_u16_sdwa s[12:13], v4, s4 src0_sel:BYTE_3 src1_sel:DWORD
	s_mov_b64 s[4:5], -1
                                        ; implicit-def: $sgpr10
	s_and_saveexec_b64 s[8:9], s[12:13]
; %bb.3806:
	s_mov_b32 s10, 0x7f800001
	s_xor_b64 s[4:5], exec, -1
; %bb.3807:
	s_or_b64 exec, exec, s[8:9]
	s_and_b64 s[4:5], s[4:5], exec
	s_or_saveexec_b64 s[6:7], s[6:7]
	v_mov_b32_e32 v3, s10
	s_xor_b64 exec, exec, s[6:7]
	s_cbranch_execz .LBB29_1758
.LBB29_3808:
	v_mov_b32_e32 v3, 0
	v_cmp_ne_u16_sdwa s[8:9], v4, v3 src0_sel:BYTE_3 src1_sel:DWORD
	s_andn2_b64 s[4:5], s[4:5], exec
	s_and_b64 s[8:9], s[8:9], exec
	s_or_b64 s[4:5], s[4:5], s[8:9]
	s_or_b64 exec, exec, s[6:7]
	s_and_saveexec_b64 s[6:7], s[4:5]
	s_cbranch_execnz .LBB29_1759
	s_branch .LBB29_1760
.LBB29_3809:
	s_movk_i32 s4, 0x80
	v_cmp_eq_u16_sdwa s[12:13], v9, s4 src0_sel:BYTE_0 src1_sel:DWORD
	s_mov_b64 s[4:5], -1
                                        ; implicit-def: $sgpr10
	s_and_saveexec_b64 s[8:9], s[12:13]
; %bb.3810:
	s_mov_b32 s10, 0x7f800001
	s_xor_b64 s[4:5], exec, -1
; %bb.3811:
	s_or_b64 exec, exec, s[8:9]
	s_and_b64 s[4:5], s[4:5], exec
	s_or_saveexec_b64 s[6:7], s[6:7]
	v_mov_b32_e32 v2, s10
	s_xor_b64 exec, exec, s[6:7]
	s_cbranch_execz .LBB29_1762
.LBB29_3812:
	v_mov_b32_e32 v2, 0
	v_cmp_ne_u16_sdwa s[8:9], v9, v2 src0_sel:BYTE_0 src1_sel:DWORD
	s_andn2_b64 s[4:5], s[4:5], exec
	s_and_b64 s[8:9], s[8:9], exec
	s_or_b64 s[4:5], s[4:5], s[8:9]
	s_or_b64 exec, exec, s[6:7]
	s_and_saveexec_b64 s[6:7], s[4:5]
	s_cbranch_execnz .LBB29_1763
	s_branch .LBB29_1764
.LBB29_3813:
	s_movk_i32 s4, 0x80
	v_cmp_eq_u16_sdwa s[12:13], v5, s4 src0_sel:BYTE_0 src1_sel:DWORD
	s_mov_b64 s[4:5], -1
                                        ; implicit-def: $sgpr10
	s_and_saveexec_b64 s[8:9], s[12:13]
; %bb.3814:
	s_mov_b32 s10, 0x7f800001
	s_xor_b64 s[4:5], exec, -1
; %bb.3815:
	s_or_b64 exec, exec, s[8:9]
	s_and_b64 s[4:5], s[4:5], exec
	s_or_saveexec_b64 s[6:7], s[6:7]
	v_mov_b32_e32 v3, s10
	s_xor_b64 exec, exec, s[6:7]
	s_cbranch_execz .LBB29_1766
.LBB29_3816:
	v_mov_b32_e32 v3, 0
	v_cmp_ne_u16_sdwa s[8:9], v5, v3 src0_sel:BYTE_0 src1_sel:DWORD
	s_andn2_b64 s[4:5], s[4:5], exec
	s_and_b64 s[8:9], s[8:9], exec
	s_or_b64 s[4:5], s[4:5], s[8:9]
	s_or_b64 exec, exec, s[6:7]
	s_and_saveexec_b64 s[6:7], s[4:5]
	s_cbranch_execnz .LBB29_1767
	s_branch .LBB29_1768
.LBB29_3817:
	s_movk_i32 s4, 0x80
	v_cmp_eq_u16_sdwa s[12:13], v3, s4 src0_sel:BYTE_0 src1_sel:DWORD
	s_mov_b64 s[4:5], -1
                                        ; implicit-def: $sgpr10
	s_and_saveexec_b64 s[8:9], s[12:13]
; %bb.3818:
	s_mov_b32 s10, 0x7f800001
	s_xor_b64 s[4:5], exec, -1
; %bb.3819:
	s_or_b64 exec, exec, s[8:9]
	s_and_b64 s[4:5], s[4:5], exec
	s_or_saveexec_b64 s[6:7], s[6:7]
	v_mov_b32_e32 v2, s10
	s_xor_b64 exec, exec, s[6:7]
	s_cbranch_execz .LBB29_1770
.LBB29_3820:
	v_mov_b32_e32 v2, 0
	v_cmp_ne_u16_sdwa s[8:9], v3, v2 src0_sel:BYTE_0 src1_sel:DWORD
	s_andn2_b64 s[4:5], s[4:5], exec
	s_and_b64 s[8:9], s[8:9], exec
	s_or_b64 s[4:5], s[4:5], s[8:9]
	s_or_b64 exec, exec, s[6:7]
	s_and_saveexec_b64 s[6:7], s[4:5]
	s_cbranch_execnz .LBB29_1771
	s_branch .LBB29_1772
.LBB29_3821:
	s_movk_i32 s4, 0x80
	v_cmp_eq_u16_sdwa s[12:13], v3, s4 src0_sel:BYTE_0 src1_sel:DWORD
	s_mov_b64 s[4:5], -1
                                        ; implicit-def: $sgpr10
	s_and_saveexec_b64 s[8:9], s[12:13]
; %bb.3822:
	s_mov_b32 s10, 0x7f800001
	s_xor_b64 s[4:5], exec, -1
; %bb.3823:
	s_or_b64 exec, exec, s[8:9]
	s_and_b64 s[4:5], s[4:5], exec
	s_or_saveexec_b64 s[6:7], s[6:7]
	v_mov_b32_e32 v4, s10
	s_xor_b64 exec, exec, s[6:7]
	s_cbranch_execz .LBB29_1774
.LBB29_3824:
	v_mov_b32_e32 v4, 0
	v_cmp_ne_u16_sdwa s[8:9], v3, v4 src0_sel:BYTE_0 src1_sel:DWORD
	s_andn2_b64 s[4:5], s[4:5], exec
	s_and_b64 s[8:9], s[8:9], exec
	s_or_b64 s[4:5], s[4:5], s[8:9]
	s_or_b64 exec, exec, s[6:7]
	s_and_saveexec_b64 s[6:7], s[4:5]
	s_cbranch_execnz .LBB29_1775
	s_branch .LBB29_1776
.LBB29_3825:
	s_movk_i32 s4, 0x80
	v_cmp_eq_u16_e32 vcc, s4, v3
	s_mov_b64 s[4:5], -1
                                        ; implicit-def: $sgpr10
	s_and_saveexec_b64 s[8:9], vcc
; %bb.3826:
	s_mov_b32 s10, 0x7f800001
	s_xor_b64 s[4:5], exec, -1
; %bb.3827:
	s_or_b64 exec, exec, s[8:9]
	s_and_b64 s[4:5], s[4:5], exec
                                        ; implicit-def: $vgpr3
	s_or_saveexec_b64 s[6:7], s[6:7]
	v_mov_b32_e32 v2, s10
	s_xor_b64 exec, exec, s[6:7]
	s_cbranch_execz .LBB29_1778
.LBB29_3828:
	v_cmp_ne_u16_e32 vcc, 0, v3
	s_andn2_b64 s[4:5], s[4:5], exec
	s_and_b64 s[8:9], vcc, exec
	v_mov_b32_e32 v2, 0
	s_or_b64 s[4:5], s[4:5], s[8:9]
	s_or_b64 exec, exec, s[6:7]
	s_and_saveexec_b64 s[6:7], s[4:5]
	s_cbranch_execnz .LBB29_1779
	s_branch .LBB29_1780
.LBB29_3829:
	s_movk_i32 s4, 0x80
	v_cmp_eq_u16_e32 vcc, s4, v3
	s_mov_b64 s[4:5], -1
                                        ; implicit-def: $sgpr10
	s_and_saveexec_b64 s[8:9], vcc
; %bb.3830:
	s_mov_b32 s10, 0x7f800001
	s_xor_b64 s[4:5], exec, -1
; %bb.3831:
	s_or_b64 exec, exec, s[8:9]
	s_and_b64 s[4:5], s[4:5], exec
                                        ; implicit-def: $vgpr3
	s_or_saveexec_b64 s[6:7], s[6:7]
	v_mov_b32_e32 v4, s10
	s_xor_b64 exec, exec, s[6:7]
	s_cbranch_execz .LBB29_1782
.LBB29_3832:
	v_cmp_ne_u16_e32 vcc, 0, v3
	s_andn2_b64 s[4:5], s[4:5], exec
	s_and_b64 s[8:9], vcc, exec
	v_mov_b32_e32 v4, 0
	s_or_b64 s[4:5], s[4:5], s[8:9]
	s_or_b64 exec, exec, s[6:7]
	s_and_saveexec_b64 s[6:7], s[4:5]
	s_cbranch_execnz .LBB29_1783
	s_branch .LBB29_1784
.LBB29_3833:
	s_movk_i32 s4, 0x80
	v_cmp_eq_u16_sdwa s[12:13], v9, s4 src0_sel:BYTE_3 src1_sel:DWORD
	s_mov_b64 s[4:5], -1
                                        ; implicit-def: $sgpr10
	s_and_saveexec_b64 s[8:9], s[12:13]
; %bb.3834:
	s_mov_b32 s10, 0x7f800001
	s_xor_b64 s[4:5], exec, -1
; %bb.3835:
	s_or_b64 exec, exec, s[8:9]
	s_and_b64 s[4:5], s[4:5], exec
	s_or_saveexec_b64 s[6:7], s[6:7]
	v_mov_b32_e32 v2, s10
	s_xor_b64 exec, exec, s[6:7]
	s_cbranch_execz .LBB29_1786
.LBB29_3836:
	v_mov_b32_e32 v2, 0
	v_cmp_ne_u16_sdwa s[8:9], v9, v2 src0_sel:BYTE_3 src1_sel:DWORD
	s_andn2_b64 s[4:5], s[4:5], exec
	s_and_b64 s[8:9], s[8:9], exec
	s_or_b64 s[4:5], s[4:5], s[8:9]
	s_or_b64 exec, exec, s[6:7]
	s_and_saveexec_b64 s[6:7], s[4:5]
	s_cbranch_execnz .LBB29_1787
	s_branch .LBB29_1788
.LBB29_3837:
	s_movk_i32 s4, 0x80
	v_cmp_eq_u16_sdwa s[12:13], v5, s4 src0_sel:BYTE_3 src1_sel:DWORD
	s_mov_b64 s[4:5], -1
                                        ; implicit-def: $sgpr10
	s_and_saveexec_b64 s[8:9], s[12:13]
; %bb.3838:
	s_mov_b32 s10, 0x7f800001
	s_xor_b64 s[4:5], exec, -1
; %bb.3839:
	s_or_b64 exec, exec, s[8:9]
	s_and_b64 s[4:5], s[4:5], exec
	s_or_saveexec_b64 s[6:7], s[6:7]
	v_mov_b32_e32 v3, s10
	s_xor_b64 exec, exec, s[6:7]
	s_cbranch_execz .LBB29_1790
.LBB29_3840:
	v_mov_b32_e32 v3, 0
	v_cmp_ne_u16_sdwa s[8:9], v5, v3 src0_sel:BYTE_3 src1_sel:DWORD
	s_andn2_b64 s[4:5], s[4:5], exec
	s_and_b64 s[8:9], s[8:9], exec
	s_or_b64 s[4:5], s[4:5], s[8:9]
	s_or_b64 exec, exec, s[6:7]
	s_and_saveexec_b64 s[6:7], s[4:5]
	s_cbranch_execnz .LBB29_1791
	s_branch .LBB29_1792
.LBB29_3841:
	s_movk_i32 s4, 0x80
	v_cmp_eq_u16_sdwa s[12:13], v12, s4 src0_sel:BYTE_0 src1_sel:DWORD
	s_mov_b64 s[4:5], -1
                                        ; implicit-def: $sgpr10
	s_and_saveexec_b64 s[8:9], s[12:13]
; %bb.3842:
	s_mov_b32 s10, 0x7f800001
	s_xor_b64 s[4:5], exec, -1
; %bb.3843:
	s_or_b64 exec, exec, s[8:9]
	s_and_b64 s[4:5], s[4:5], exec
	s_or_saveexec_b64 s[6:7], s[6:7]
	v_mov_b32_e32 v18, s10
	s_xor_b64 exec, exec, s[6:7]
	s_cbranch_execz .LBB29_1794
.LBB29_3844:
	v_mov_b32_e32 v18, 0
	v_cmp_ne_u16_sdwa s[8:9], v12, v18 src0_sel:BYTE_0 src1_sel:DWORD
	s_andn2_b64 s[4:5], s[4:5], exec
	s_and_b64 s[8:9], s[8:9], exec
	s_or_b64 s[4:5], s[4:5], s[8:9]
	s_or_b64 exec, exec, s[6:7]
	s_and_saveexec_b64 s[6:7], s[4:5]
	s_cbranch_execnz .LBB29_1795
	s_branch .LBB29_1796
.LBB29_3845:
	s_movk_i32 s4, 0x80
	v_cmp_eq_u16_sdwa s[12:13], v8, s4 src0_sel:BYTE_0 src1_sel:DWORD
	s_mov_b64 s[4:5], -1
                                        ; implicit-def: $sgpr10
	s_and_saveexec_b64 s[8:9], s[12:13]
; %bb.3846:
	s_mov_b32 s10, 0x7f800001
	s_xor_b64 s[4:5], exec, -1
; %bb.3847:
	s_or_b64 exec, exec, s[8:9]
	s_and_b64 s[4:5], s[4:5], exec
	s_or_saveexec_b64 s[6:7], s[6:7]
	v_mov_b32_e32 v19, s10
	s_xor_b64 exec, exec, s[6:7]
	s_cbranch_execz .LBB29_1798
.LBB29_3848:
	v_mov_b32_e32 v19, 0
	v_cmp_ne_u16_sdwa s[8:9], v8, v19 src0_sel:BYTE_0 src1_sel:DWORD
	s_andn2_b64 s[4:5], s[4:5], exec
	s_and_b64 s[8:9], s[8:9], exec
	s_or_b64 s[4:5], s[4:5], s[8:9]
	s_or_b64 exec, exec, s[6:7]
	s_and_saveexec_b64 s[6:7], s[4:5]
	s_cbranch_execnz .LBB29_1799
	s_branch .LBB29_1800
.LBB29_3849:
	s_movk_i32 s4, 0x80
	v_cmp_eq_u16_sdwa s[12:13], v19, s4 src0_sel:BYTE_0 src1_sel:DWORD
	s_mov_b64 s[4:5], -1
                                        ; implicit-def: $sgpr10
	s_and_saveexec_b64 s[8:9], s[12:13]
; %bb.3850:
	s_mov_b32 s10, 0x7f800001
	s_xor_b64 s[4:5], exec, -1
; %bb.3851:
	s_or_b64 exec, exec, s[8:9]
	s_and_b64 s[4:5], s[4:5], exec
	s_or_saveexec_b64 s[6:7], s[6:7]
	v_mov_b32_e32 v18, s10
	s_xor_b64 exec, exec, s[6:7]
	s_cbranch_execz .LBB29_1802
.LBB29_3852:
	v_mov_b32_e32 v18, 0
	v_cmp_ne_u16_sdwa s[8:9], v19, v18 src0_sel:BYTE_0 src1_sel:DWORD
	s_andn2_b64 s[4:5], s[4:5], exec
	s_and_b64 s[8:9], s[8:9], exec
	s_or_b64 s[4:5], s[4:5], s[8:9]
	s_or_b64 exec, exec, s[6:7]
	s_and_saveexec_b64 s[6:7], s[4:5]
	s_cbranch_execnz .LBB29_1803
	s_branch .LBB29_1804
.LBB29_3853:
	s_movk_i32 s4, 0x80
	v_cmp_eq_u16_sdwa s[12:13], v19, s4 src0_sel:BYTE_0 src1_sel:DWORD
	s_mov_b64 s[4:5], -1
                                        ; implicit-def: $sgpr10
	s_and_saveexec_b64 s[8:9], s[12:13]
; %bb.3854:
	s_mov_b32 s10, 0x7f800001
	s_xor_b64 s[4:5], exec, -1
; %bb.3855:
	s_or_b64 exec, exec, s[8:9]
	s_and_b64 s[4:5], s[4:5], exec
	s_or_saveexec_b64 s[6:7], s[6:7]
	v_mov_b32_e32 v20, s10
	s_xor_b64 exec, exec, s[6:7]
	s_cbranch_execz .LBB29_1806
.LBB29_3856:
	v_mov_b32_e32 v20, 0
	v_cmp_ne_u16_sdwa s[8:9], v19, v20 src0_sel:BYTE_0 src1_sel:DWORD
	s_andn2_b64 s[4:5], s[4:5], exec
	s_and_b64 s[8:9], s[8:9], exec
	s_or_b64 s[4:5], s[4:5], s[8:9]
	s_or_b64 exec, exec, s[6:7]
	s_and_saveexec_b64 s[6:7], s[4:5]
	s_cbranch_execnz .LBB29_1807
	s_branch .LBB29_1808
.LBB29_3857:
	s_movk_i32 s4, 0x80
	v_cmp_eq_u16_e32 vcc, s4, v19
	s_mov_b64 s[4:5], -1
                                        ; implicit-def: $sgpr10
	s_and_saveexec_b64 s[8:9], vcc
; %bb.3858:
	s_mov_b32 s10, 0x7f800001
	s_xor_b64 s[4:5], exec, -1
; %bb.3859:
	s_or_b64 exec, exec, s[8:9]
	s_and_b64 s[4:5], s[4:5], exec
                                        ; implicit-def: $vgpr19
	s_or_saveexec_b64 s[6:7], s[6:7]
	v_mov_b32_e32 v18, s10
	s_xor_b64 exec, exec, s[6:7]
	s_cbranch_execz .LBB29_1810
.LBB29_3860:
	v_cmp_ne_u16_e32 vcc, 0, v19
	s_andn2_b64 s[4:5], s[4:5], exec
	s_and_b64 s[8:9], vcc, exec
	v_mov_b32_e32 v18, 0
	s_or_b64 s[4:5], s[4:5], s[8:9]
	s_or_b64 exec, exec, s[6:7]
	s_and_saveexec_b64 s[6:7], s[4:5]
	s_cbranch_execnz .LBB29_1811
	s_branch .LBB29_1812
.LBB29_3861:
	s_movk_i32 s4, 0x80
	v_cmp_eq_u16_e32 vcc, s4, v19
	s_mov_b64 s[4:5], -1
                                        ; implicit-def: $sgpr10
	s_and_saveexec_b64 s[8:9], vcc
; %bb.3862:
	s_mov_b32 s10, 0x7f800001
	s_xor_b64 s[4:5], exec, -1
; %bb.3863:
	s_or_b64 exec, exec, s[8:9]
	s_and_b64 s[4:5], s[4:5], exec
                                        ; implicit-def: $vgpr19
	s_or_saveexec_b64 s[6:7], s[6:7]
	v_mov_b32_e32 v20, s10
	s_xor_b64 exec, exec, s[6:7]
	s_cbranch_execz .LBB29_1814
.LBB29_3864:
	v_cmp_ne_u16_e32 vcc, 0, v19
	s_andn2_b64 s[4:5], s[4:5], exec
	s_and_b64 s[8:9], vcc, exec
	v_mov_b32_e32 v20, 0
	s_or_b64 s[4:5], s[4:5], s[8:9]
	s_or_b64 exec, exec, s[6:7]
	s_and_saveexec_b64 s[6:7], s[4:5]
	s_cbranch_execnz .LBB29_1815
	s_branch .LBB29_1816
.LBB29_3865:
	s_movk_i32 s4, 0x80
	v_cmp_eq_u16_sdwa s[12:13], v12, s4 src0_sel:BYTE_3 src1_sel:DWORD
	s_mov_b64 s[4:5], -1
                                        ; implicit-def: $sgpr10
	s_and_saveexec_b64 s[8:9], s[12:13]
; %bb.3866:
	s_mov_b32 s10, 0x7f800001
	s_xor_b64 s[4:5], exec, -1
; %bb.3867:
	s_or_b64 exec, exec, s[8:9]
	s_and_b64 s[4:5], s[4:5], exec
	s_or_saveexec_b64 s[6:7], s[6:7]
	v_mov_b32_e32 v18, s10
	s_xor_b64 exec, exec, s[6:7]
	s_cbranch_execz .LBB29_1818
.LBB29_3868:
	v_mov_b32_e32 v18, 0
	v_cmp_ne_u16_sdwa s[8:9], v12, v18 src0_sel:BYTE_3 src1_sel:DWORD
	s_andn2_b64 s[4:5], s[4:5], exec
	s_and_b64 s[8:9], s[8:9], exec
	s_or_b64 s[4:5], s[4:5], s[8:9]
	s_or_b64 exec, exec, s[6:7]
	s_and_saveexec_b64 s[6:7], s[4:5]
	s_cbranch_execnz .LBB29_1819
	s_branch .LBB29_1820
.LBB29_3869:
	s_movk_i32 s4, 0x80
	v_cmp_eq_u16_sdwa s[12:13], v8, s4 src0_sel:BYTE_3 src1_sel:DWORD
	s_mov_b64 s[4:5], -1
                                        ; implicit-def: $sgpr10
	s_and_saveexec_b64 s[8:9], s[12:13]
; %bb.3870:
	s_mov_b32 s10, 0x7f800001
	s_xor_b64 s[4:5], exec, -1
; %bb.3871:
	s_or_b64 exec, exec, s[8:9]
	s_and_b64 s[4:5], s[4:5], exec
	s_or_saveexec_b64 s[6:7], s[6:7]
	v_mov_b32_e32 v12, s10
	s_xor_b64 exec, exec, s[6:7]
	s_cbranch_execz .LBB29_1822
.LBB29_3872:
	v_mov_b32_e32 v12, 0
	v_cmp_ne_u16_sdwa s[8:9], v8, v12 src0_sel:BYTE_3 src1_sel:DWORD
	s_andn2_b64 s[4:5], s[4:5], exec
	s_and_b64 s[8:9], s[8:9], exec
	s_or_b64 s[4:5], s[4:5], s[8:9]
	s_or_b64 exec, exec, s[6:7]
	s_and_saveexec_b64 s[6:7], s[4:5]
	s_cbranch_execnz .LBB29_1823
	s_branch .LBB29_1824
.LBB29_3873:
	s_movk_i32 s4, 0x80
	v_cmp_eq_u16_sdwa s[12:13], v13, s4 src0_sel:BYTE_0 src1_sel:DWORD
	s_mov_b64 s[4:5], -1
                                        ; implicit-def: $sgpr10
	s_and_saveexec_b64 s[8:9], s[12:13]
; %bb.3874:
	s_mov_b32 s10, 0x7f800001
	s_xor_b64 s[4:5], exec, -1
; %bb.3875:
	s_or_b64 exec, exec, s[8:9]
	s_and_b64 s[4:5], s[4:5], exec
	s_or_saveexec_b64 s[6:7], s[6:7]
	v_mov_b32_e32 v8, s10
	s_xor_b64 exec, exec, s[6:7]
	s_cbranch_execz .LBB29_1826
.LBB29_3876:
	v_mov_b32_e32 v8, 0
	v_cmp_ne_u16_sdwa s[8:9], v13, v8 src0_sel:BYTE_0 src1_sel:DWORD
	s_andn2_b64 s[4:5], s[4:5], exec
	s_and_b64 s[8:9], s[8:9], exec
	s_or_b64 s[4:5], s[4:5], s[8:9]
	s_or_b64 exec, exec, s[6:7]
	s_and_saveexec_b64 s[6:7], s[4:5]
	s_cbranch_execnz .LBB29_1827
	s_branch .LBB29_1828
.LBB29_3877:
	s_movk_i32 s4, 0x80
	v_cmp_eq_u16_sdwa s[12:13], v9, s4 src0_sel:BYTE_0 src1_sel:DWORD
	s_mov_b64 s[4:5], -1
                                        ; implicit-def: $sgpr10
	s_and_saveexec_b64 s[8:9], s[12:13]
; %bb.3878:
	s_mov_b32 s10, 0x7f800001
	s_xor_b64 s[4:5], exec, -1
; %bb.3879:
	s_or_b64 exec, exec, s[8:9]
	s_and_b64 s[4:5], s[4:5], exec
	s_or_saveexec_b64 s[6:7], s[6:7]
	v_mov_b32_e32 v12, s10
	s_xor_b64 exec, exec, s[6:7]
	s_cbranch_execz .LBB29_1830
.LBB29_3880:
	v_mov_b32_e32 v12, 0
	v_cmp_ne_u16_sdwa s[8:9], v9, v12 src0_sel:BYTE_0 src1_sel:DWORD
	s_andn2_b64 s[4:5], s[4:5], exec
	s_and_b64 s[8:9], s[8:9], exec
	s_or_b64 s[4:5], s[4:5], s[8:9]
	s_or_b64 exec, exec, s[6:7]
	s_and_saveexec_b64 s[6:7], s[4:5]
	s_cbranch_execnz .LBB29_1831
	s_branch .LBB29_1832
.LBB29_3881:
	s_movk_i32 s4, 0x80
	v_cmp_eq_u16_sdwa s[12:13], v12, s4 src0_sel:BYTE_0 src1_sel:DWORD
	s_mov_b64 s[4:5], -1
                                        ; implicit-def: $sgpr10
	s_and_saveexec_b64 s[8:9], s[12:13]
; %bb.3882:
	s_mov_b32 s10, 0x7f800001
	s_xor_b64 s[4:5], exec, -1
; %bb.3883:
	s_or_b64 exec, exec, s[8:9]
	s_and_b64 s[4:5], s[4:5], exec
	s_or_saveexec_b64 s[6:7], s[6:7]
	v_mov_b32_e32 v8, s10
	s_xor_b64 exec, exec, s[6:7]
	s_cbranch_execz .LBB29_1834
.LBB29_3884:
	v_mov_b32_e32 v8, 0
	v_cmp_ne_u16_sdwa s[8:9], v12, v8 src0_sel:BYTE_0 src1_sel:DWORD
	s_andn2_b64 s[4:5], s[4:5], exec
	s_and_b64 s[8:9], s[8:9], exec
	s_or_b64 s[4:5], s[4:5], s[8:9]
	s_or_b64 exec, exec, s[6:7]
	s_and_saveexec_b64 s[6:7], s[4:5]
	s_cbranch_execnz .LBB29_1835
	s_branch .LBB29_1836
.LBB29_3885:
	s_movk_i32 s4, 0x80
	v_cmp_eq_u16_sdwa s[12:13], v12, s4 src0_sel:BYTE_0 src1_sel:DWORD
	s_mov_b64 s[4:5], -1
                                        ; implicit-def: $sgpr10
	s_and_saveexec_b64 s[8:9], s[12:13]
; %bb.3886:
	s_mov_b32 s10, 0x7f800001
	s_xor_b64 s[4:5], exec, -1
; %bb.3887:
	s_or_b64 exec, exec, s[8:9]
	s_and_b64 s[4:5], s[4:5], exec
	s_or_saveexec_b64 s[6:7], s[6:7]
	v_mov_b32_e32 v18, s10
	s_xor_b64 exec, exec, s[6:7]
	s_cbranch_execz .LBB29_1838
.LBB29_3888:
	v_mov_b32_e32 v18, 0
	v_cmp_ne_u16_sdwa s[8:9], v12, v18 src0_sel:BYTE_0 src1_sel:DWORD
	s_andn2_b64 s[4:5], s[4:5], exec
	s_and_b64 s[8:9], s[8:9], exec
	s_or_b64 s[4:5], s[4:5], s[8:9]
	s_or_b64 exec, exec, s[6:7]
	s_and_saveexec_b64 s[6:7], s[4:5]
	s_cbranch_execnz .LBB29_1839
	s_branch .LBB29_1840
.LBB29_3889:
	s_movk_i32 s4, 0x80
	v_cmp_eq_u16_e32 vcc, s4, v12
	s_mov_b64 s[4:5], -1
                                        ; implicit-def: $sgpr10
	s_and_saveexec_b64 s[8:9], vcc
; %bb.3890:
	s_mov_b32 s10, 0x7f800001
	s_xor_b64 s[4:5], exec, -1
; %bb.3891:
	s_or_b64 exec, exec, s[8:9]
	s_and_b64 s[4:5], s[4:5], exec
                                        ; implicit-def: $vgpr12
	s_or_saveexec_b64 s[6:7], s[6:7]
	v_mov_b32_e32 v8, s10
	s_xor_b64 exec, exec, s[6:7]
	s_cbranch_execz .LBB29_1842
.LBB29_3892:
	v_cmp_ne_u16_e32 vcc, 0, v12
	s_andn2_b64 s[4:5], s[4:5], exec
	s_and_b64 s[8:9], vcc, exec
	v_mov_b32_e32 v8, 0
	s_or_b64 s[4:5], s[4:5], s[8:9]
	s_or_b64 exec, exec, s[6:7]
	s_and_saveexec_b64 s[6:7], s[4:5]
	s_cbranch_execnz .LBB29_1843
	s_branch .LBB29_1844
.LBB29_3893:
	s_movk_i32 s4, 0x80
	v_cmp_eq_u16_e32 vcc, s4, v12
	s_mov_b64 s[4:5], -1
                                        ; implicit-def: $sgpr10
	s_and_saveexec_b64 s[8:9], vcc
; %bb.3894:
	s_mov_b32 s10, 0x7f800001
	s_xor_b64 s[4:5], exec, -1
; %bb.3895:
	s_or_b64 exec, exec, s[8:9]
	s_and_b64 s[4:5], s[4:5], exec
                                        ; implicit-def: $vgpr12
	s_or_saveexec_b64 s[6:7], s[6:7]
	v_mov_b32_e32 v18, s10
	s_xor_b64 exec, exec, s[6:7]
	s_cbranch_execz .LBB29_1846
.LBB29_3896:
	v_cmp_ne_u16_e32 vcc, 0, v12
	s_andn2_b64 s[4:5], s[4:5], exec
	s_and_b64 s[8:9], vcc, exec
	v_mov_b32_e32 v18, 0
	s_or_b64 s[4:5], s[4:5], s[8:9]
	s_or_b64 exec, exec, s[6:7]
	s_and_saveexec_b64 s[6:7], s[4:5]
	s_cbranch_execnz .LBB29_1847
	s_branch .LBB29_1848
.LBB29_3897:
	s_movk_i32 s4, 0x80
	v_cmp_eq_u16_sdwa s[12:13], v13, s4 src0_sel:BYTE_3 src1_sel:DWORD
	s_mov_b64 s[4:5], -1
                                        ; implicit-def: $sgpr10
	s_and_saveexec_b64 s[8:9], s[12:13]
; %bb.3898:
	s_mov_b32 s10, 0x7f800001
	s_xor_b64 s[4:5], exec, -1
; %bb.3899:
	s_or_b64 exec, exec, s[8:9]
	s_and_b64 s[4:5], s[4:5], exec
	s_or_saveexec_b64 s[6:7], s[6:7]
	v_mov_b32_e32 v8, s10
	s_xor_b64 exec, exec, s[6:7]
	s_cbranch_execz .LBB29_1850
.LBB29_3900:
	v_mov_b32_e32 v8, 0
	v_cmp_ne_u16_sdwa s[8:9], v13, v8 src0_sel:BYTE_3 src1_sel:DWORD
	s_andn2_b64 s[4:5], s[4:5], exec
	s_and_b64 s[8:9], s[8:9], exec
	s_or_b64 s[4:5], s[4:5], s[8:9]
	s_or_b64 exec, exec, s[6:7]
	s_and_saveexec_b64 s[6:7], s[4:5]
	s_cbranch_execnz .LBB29_1851
	s_branch .LBB29_1852
.LBB29_3901:
	s_movk_i32 s4, 0x80
	v_cmp_eq_u16_sdwa s[12:13], v9, s4 src0_sel:BYTE_3 src1_sel:DWORD
	s_mov_b64 s[4:5], -1
                                        ; implicit-def: $sgpr10
	s_and_saveexec_b64 s[8:9], s[12:13]
; %bb.3902:
	s_mov_b32 s10, 0x7f800001
	s_xor_b64 s[4:5], exec, -1
; %bb.3903:
	s_or_b64 exec, exec, s[8:9]
	s_and_b64 s[4:5], s[4:5], exec
	s_or_saveexec_b64 s[6:7], s[6:7]
	v_mov_b32_e32 v12, s10
	s_xor_b64 exec, exec, s[6:7]
	s_cbranch_execz .LBB29_1854
.LBB29_3904:
	v_mov_b32_e32 v12, 0
	v_cmp_ne_u16_sdwa s[8:9], v9, v12 src0_sel:BYTE_3 src1_sel:DWORD
	s_andn2_b64 s[4:5], s[4:5], exec
	s_and_b64 s[8:9], s[8:9], exec
	s_or_b64 s[4:5], s[4:5], s[8:9]
	s_or_b64 exec, exec, s[6:7]
	s_and_saveexec_b64 s[6:7], s[4:5]
	s_cbranch_execnz .LBB29_1855
	s_branch .LBB29_1856
.LBB29_3905:
	s_movk_i32 s4, 0x80
	v_cmp_eq_u16_sdwa s[12:13], v14, s4 src0_sel:BYTE_0 src1_sel:DWORD
	s_mov_b64 s[4:5], -1
                                        ; implicit-def: $sgpr10
	s_and_saveexec_b64 s[8:9], s[12:13]
; %bb.3906:
	s_mov_b32 s10, 0x7f800001
	s_xor_b64 s[4:5], exec, -1
; %bb.3907:
	s_or_b64 exec, exec, s[8:9]
	s_and_b64 s[4:5], s[4:5], exec
	s_or_saveexec_b64 s[6:7], s[6:7]
	v_mov_b32_e32 v8, s10
	s_xor_b64 exec, exec, s[6:7]
	s_cbranch_execz .LBB29_1858
.LBB29_3908:
	v_mov_b32_e32 v8, 0
	v_cmp_ne_u16_sdwa s[8:9], v14, v8 src0_sel:BYTE_0 src1_sel:DWORD
	s_andn2_b64 s[4:5], s[4:5], exec
	s_and_b64 s[8:9], s[8:9], exec
	s_or_b64 s[4:5], s[4:5], s[8:9]
	s_or_b64 exec, exec, s[6:7]
	s_and_saveexec_b64 s[6:7], s[4:5]
	s_cbranch_execnz .LBB29_1859
	s_branch .LBB29_1860
.LBB29_3909:
	s_movk_i32 s4, 0x80
	v_cmp_eq_u16_sdwa s[12:13], v10, s4 src0_sel:BYTE_0 src1_sel:DWORD
	s_mov_b64 s[4:5], -1
                                        ; implicit-def: $sgpr10
	s_and_saveexec_b64 s[8:9], s[12:13]
; %bb.3910:
	s_mov_b32 s10, 0x7f800001
	s_xor_b64 s[4:5], exec, -1
; %bb.3911:
	s_or_b64 exec, exec, s[8:9]
	s_and_b64 s[4:5], s[4:5], exec
	s_or_saveexec_b64 s[6:7], s[6:7]
	v_mov_b32_e32 v9, s10
	s_xor_b64 exec, exec, s[6:7]
	s_cbranch_execz .LBB29_1862
.LBB29_3912:
	v_mov_b32_e32 v9, 0
	v_cmp_ne_u16_sdwa s[8:9], v10, v9 src0_sel:BYTE_0 src1_sel:DWORD
	s_andn2_b64 s[4:5], s[4:5], exec
	s_and_b64 s[8:9], s[8:9], exec
	s_or_b64 s[4:5], s[4:5], s[8:9]
	s_or_b64 exec, exec, s[6:7]
	s_and_saveexec_b64 s[6:7], s[4:5]
	s_cbranch_execnz .LBB29_1863
	s_branch .LBB29_1864
.LBB29_3913:
	s_movk_i32 s4, 0x80
	v_cmp_eq_u16_sdwa s[12:13], v9, s4 src0_sel:BYTE_0 src1_sel:DWORD
	s_mov_b64 s[4:5], -1
                                        ; implicit-def: $sgpr10
	s_and_saveexec_b64 s[8:9], s[12:13]
; %bb.3914:
	s_mov_b32 s10, 0x7f800001
	s_xor_b64 s[4:5], exec, -1
; %bb.3915:
	s_or_b64 exec, exec, s[8:9]
	s_and_b64 s[4:5], s[4:5], exec
	s_or_saveexec_b64 s[6:7], s[6:7]
	v_mov_b32_e32 v8, s10
	s_xor_b64 exec, exec, s[6:7]
	s_cbranch_execz .LBB29_1866
.LBB29_3916:
	v_mov_b32_e32 v8, 0
	v_cmp_ne_u16_sdwa s[8:9], v9, v8 src0_sel:BYTE_0 src1_sel:DWORD
	s_andn2_b64 s[4:5], s[4:5], exec
	s_and_b64 s[8:9], s[8:9], exec
	s_or_b64 s[4:5], s[4:5], s[8:9]
	s_or_b64 exec, exec, s[6:7]
	s_and_saveexec_b64 s[6:7], s[4:5]
	s_cbranch_execnz .LBB29_1867
	s_branch .LBB29_1868
.LBB29_3917:
	s_movk_i32 s4, 0x80
	v_cmp_eq_u16_sdwa s[12:13], v9, s4 src0_sel:BYTE_0 src1_sel:DWORD
	s_mov_b64 s[4:5], -1
                                        ; implicit-def: $sgpr10
	s_and_saveexec_b64 s[8:9], s[12:13]
; %bb.3918:
	s_mov_b32 s10, 0x7f800001
	s_xor_b64 s[4:5], exec, -1
; %bb.3919:
	s_or_b64 exec, exec, s[8:9]
	s_and_b64 s[4:5], s[4:5], exec
	s_or_saveexec_b64 s[6:7], s[6:7]
	v_mov_b32_e32 v12, s10
	s_xor_b64 exec, exec, s[6:7]
	s_cbranch_execz .LBB29_1870
.LBB29_3920:
	v_mov_b32_e32 v12, 0
	v_cmp_ne_u16_sdwa s[8:9], v9, v12 src0_sel:BYTE_0 src1_sel:DWORD
	s_andn2_b64 s[4:5], s[4:5], exec
	s_and_b64 s[8:9], s[8:9], exec
	s_or_b64 s[4:5], s[4:5], s[8:9]
	s_or_b64 exec, exec, s[6:7]
	s_and_saveexec_b64 s[6:7], s[4:5]
	s_cbranch_execnz .LBB29_1871
	s_branch .LBB29_1872
.LBB29_3921:
	s_movk_i32 s4, 0x80
	v_cmp_eq_u16_e32 vcc, s4, v9
	s_mov_b64 s[4:5], -1
                                        ; implicit-def: $sgpr10
	s_and_saveexec_b64 s[8:9], vcc
; %bb.3922:
	s_mov_b32 s10, 0x7f800001
	s_xor_b64 s[4:5], exec, -1
; %bb.3923:
	s_or_b64 exec, exec, s[8:9]
	s_and_b64 s[4:5], s[4:5], exec
                                        ; implicit-def: $vgpr9
	s_or_saveexec_b64 s[6:7], s[6:7]
	v_mov_b32_e32 v8, s10
	s_xor_b64 exec, exec, s[6:7]
	s_cbranch_execz .LBB29_1874
.LBB29_3924:
	v_cmp_ne_u16_e32 vcc, 0, v9
	s_andn2_b64 s[4:5], s[4:5], exec
	s_and_b64 s[8:9], vcc, exec
	v_mov_b32_e32 v8, 0
	s_or_b64 s[4:5], s[4:5], s[8:9]
	s_or_b64 exec, exec, s[6:7]
	s_and_saveexec_b64 s[6:7], s[4:5]
	s_cbranch_execnz .LBB29_1875
	s_branch .LBB29_1876
.LBB29_3925:
	s_movk_i32 s4, 0x80
	v_cmp_eq_u16_e32 vcc, s4, v9
	s_mov_b64 s[4:5], -1
                                        ; implicit-def: $sgpr10
	s_and_saveexec_b64 s[8:9], vcc
; %bb.3926:
	s_mov_b32 s10, 0x7f800001
	s_xor_b64 s[4:5], exec, -1
; %bb.3927:
	s_or_b64 exec, exec, s[8:9]
	s_and_b64 s[4:5], s[4:5], exec
                                        ; implicit-def: $vgpr9
	s_or_saveexec_b64 s[6:7], s[6:7]
	v_mov_b32_e32 v12, s10
	s_xor_b64 exec, exec, s[6:7]
	s_cbranch_execz .LBB29_1878
.LBB29_3928:
	v_cmp_ne_u16_e32 vcc, 0, v9
	s_andn2_b64 s[4:5], s[4:5], exec
	s_and_b64 s[8:9], vcc, exec
	v_mov_b32_e32 v12, 0
	s_or_b64 s[4:5], s[4:5], s[8:9]
	s_or_b64 exec, exec, s[6:7]
	s_and_saveexec_b64 s[6:7], s[4:5]
	s_cbranch_execnz .LBB29_1879
	s_branch .LBB29_1880
.LBB29_3929:
	s_movk_i32 s4, 0x80
	v_cmp_eq_u16_sdwa s[12:13], v14, s4 src0_sel:BYTE_3 src1_sel:DWORD
	s_mov_b64 s[4:5], -1
                                        ; implicit-def: $sgpr10
	s_and_saveexec_b64 s[8:9], s[12:13]
; %bb.3930:
	s_mov_b32 s10, 0x7f800001
	s_xor_b64 s[4:5], exec, -1
; %bb.3931:
	s_or_b64 exec, exec, s[8:9]
	s_and_b64 s[4:5], s[4:5], exec
	s_or_saveexec_b64 s[6:7], s[6:7]
	v_mov_b32_e32 v8, s10
	s_xor_b64 exec, exec, s[6:7]
	s_cbranch_execz .LBB29_1882
.LBB29_3932:
	v_mov_b32_e32 v8, 0
	v_cmp_ne_u16_sdwa s[8:9], v14, v8 src0_sel:BYTE_3 src1_sel:DWORD
	s_andn2_b64 s[4:5], s[4:5], exec
	s_and_b64 s[8:9], s[8:9], exec
	s_or_b64 s[4:5], s[4:5], s[8:9]
	s_or_b64 exec, exec, s[6:7]
	s_and_saveexec_b64 s[6:7], s[4:5]
	s_cbranch_execnz .LBB29_1883
	s_branch .LBB29_1884
.LBB29_3933:
	s_movk_i32 s4, 0x80
	v_cmp_eq_u16_sdwa s[12:13], v10, s4 src0_sel:BYTE_3 src1_sel:DWORD
	s_mov_b64 s[4:5], -1
                                        ; implicit-def: $sgpr10
	s_and_saveexec_b64 s[8:9], s[12:13]
; %bb.3934:
	s_mov_b32 s10, 0x7f800001
	s_xor_b64 s[4:5], exec, -1
; %bb.3935:
	s_or_b64 exec, exec, s[8:9]
	s_and_b64 s[4:5], s[4:5], exec
	s_or_saveexec_b64 s[6:7], s[6:7]
	v_mov_b32_e32 v9, s10
	s_xor_b64 exec, exec, s[6:7]
	s_cbranch_execz .LBB29_1886
.LBB29_3936:
	v_mov_b32_e32 v9, 0
	v_cmp_ne_u16_sdwa s[8:9], v10, v9 src0_sel:BYTE_3 src1_sel:DWORD
	s_andn2_b64 s[4:5], s[4:5], exec
	s_and_b64 s[8:9], s[8:9], exec
	s_or_b64 s[4:5], s[4:5], s[8:9]
	s_or_b64 exec, exec, s[6:7]
	s_and_saveexec_b64 s[6:7], s[4:5]
	s_cbranch_execnz .LBB29_1887
	s_branch .LBB29_1888
.LBB29_3937:
	s_movk_i32 s4, 0x80
	v_cmp_eq_u16_sdwa s[12:13], v15, s4 src0_sel:BYTE_0 src1_sel:DWORD
	s_mov_b64 s[4:5], -1
                                        ; implicit-def: $sgpr10
	s_and_saveexec_b64 s[8:9], s[12:13]
; %bb.3938:
	s_mov_b32 s10, 0x7f800001
	s_xor_b64 s[4:5], exec, -1
; %bb.3939:
	s_or_b64 exec, exec, s[8:9]
	s_and_b64 s[4:5], s[4:5], exec
	s_or_saveexec_b64 s[6:7], s[6:7]
	v_mov_b32_e32 v8, s10
	s_xor_b64 exec, exec, s[6:7]
	s_cbranch_execz .LBB29_1890
.LBB29_3940:
	v_mov_b32_e32 v8, 0
	v_cmp_ne_u16_sdwa s[8:9], v15, v8 src0_sel:BYTE_0 src1_sel:DWORD
	s_andn2_b64 s[4:5], s[4:5], exec
	s_and_b64 s[8:9], s[8:9], exec
	s_or_b64 s[4:5], s[4:5], s[8:9]
	s_or_b64 exec, exec, s[6:7]
	s_and_saveexec_b64 s[6:7], s[4:5]
	s_cbranch_execnz .LBB29_1891
	s_branch .LBB29_1892
.LBB29_3941:
	s_movk_i32 s4, 0x80
	v_cmp_eq_u16_sdwa s[12:13], v11, s4 src0_sel:BYTE_0 src1_sel:DWORD
	s_mov_b64 s[4:5], -1
                                        ; implicit-def: $sgpr10
	s_and_saveexec_b64 s[8:9], s[12:13]
; %bb.3942:
	s_mov_b32 s10, 0x7f800001
	s_xor_b64 s[4:5], exec, -1
; %bb.3943:
	s_or_b64 exec, exec, s[8:9]
	s_and_b64 s[4:5], s[4:5], exec
	s_or_saveexec_b64 s[6:7], s[6:7]
	v_mov_b32_e32 v9, s10
	s_xor_b64 exec, exec, s[6:7]
	s_cbranch_execz .LBB29_1894
.LBB29_3944:
	v_mov_b32_e32 v9, 0
	v_cmp_ne_u16_sdwa s[8:9], v11, v9 src0_sel:BYTE_0 src1_sel:DWORD
	s_andn2_b64 s[4:5], s[4:5], exec
	s_and_b64 s[8:9], s[8:9], exec
	s_or_b64 s[4:5], s[4:5], s[8:9]
	s_or_b64 exec, exec, s[6:7]
	s_and_saveexec_b64 s[6:7], s[4:5]
	s_cbranch_execnz .LBB29_1895
	s_branch .LBB29_1896
.LBB29_3945:
	s_movk_i32 s4, 0x80
	v_cmp_eq_u16_sdwa s[12:13], v9, s4 src0_sel:BYTE_0 src1_sel:DWORD
	s_mov_b64 s[4:5], -1
                                        ; implicit-def: $sgpr10
	s_and_saveexec_b64 s[8:9], s[12:13]
; %bb.3946:
	s_mov_b32 s10, 0x7f800001
	s_xor_b64 s[4:5], exec, -1
; %bb.3947:
	s_or_b64 exec, exec, s[8:9]
	s_and_b64 s[4:5], s[4:5], exec
	s_or_saveexec_b64 s[6:7], s[6:7]
	v_mov_b32_e32 v8, s10
	s_xor_b64 exec, exec, s[6:7]
	s_cbranch_execz .LBB29_1898
.LBB29_3948:
	v_mov_b32_e32 v8, 0
	v_cmp_ne_u16_sdwa s[8:9], v9, v8 src0_sel:BYTE_0 src1_sel:DWORD
	s_andn2_b64 s[4:5], s[4:5], exec
	s_and_b64 s[8:9], s[8:9], exec
	s_or_b64 s[4:5], s[4:5], s[8:9]
	s_or_b64 exec, exec, s[6:7]
	s_and_saveexec_b64 s[6:7], s[4:5]
	s_cbranch_execnz .LBB29_1899
	s_branch .LBB29_1900
.LBB29_3949:
	s_movk_i32 s4, 0x80
	v_cmp_eq_u16_sdwa s[12:13], v9, s4 src0_sel:BYTE_0 src1_sel:DWORD
	s_mov_b64 s[4:5], -1
                                        ; implicit-def: $sgpr10
	s_and_saveexec_b64 s[8:9], s[12:13]
; %bb.3950:
	s_mov_b32 s10, 0x7f800001
	s_xor_b64 s[4:5], exec, -1
; %bb.3951:
	s_or_b64 exec, exec, s[8:9]
	s_and_b64 s[4:5], s[4:5], exec
	s_or_saveexec_b64 s[6:7], s[6:7]
	v_mov_b32_e32 v10, s10
	s_xor_b64 exec, exec, s[6:7]
	s_cbranch_execz .LBB29_1902
.LBB29_3952:
	v_mov_b32_e32 v10, 0
	v_cmp_ne_u16_sdwa s[8:9], v9, v10 src0_sel:BYTE_0 src1_sel:DWORD
	s_andn2_b64 s[4:5], s[4:5], exec
	s_and_b64 s[8:9], s[8:9], exec
	s_or_b64 s[4:5], s[4:5], s[8:9]
	s_or_b64 exec, exec, s[6:7]
	s_and_saveexec_b64 s[6:7], s[4:5]
	s_cbranch_execnz .LBB29_1903
	s_branch .LBB29_1904
.LBB29_3953:
	s_movk_i32 s4, 0x80
	v_cmp_eq_u16_e32 vcc, s4, v9
	s_mov_b64 s[4:5], -1
                                        ; implicit-def: $sgpr10
	s_and_saveexec_b64 s[8:9], vcc
; %bb.3954:
	s_mov_b32 s10, 0x7f800001
	s_xor_b64 s[4:5], exec, -1
; %bb.3955:
	s_or_b64 exec, exec, s[8:9]
	s_and_b64 s[4:5], s[4:5], exec
                                        ; implicit-def: $vgpr9
	s_or_saveexec_b64 s[6:7], s[6:7]
	v_mov_b32_e32 v8, s10
	s_xor_b64 exec, exec, s[6:7]
	s_cbranch_execz .LBB29_1906
.LBB29_3956:
	v_cmp_ne_u16_e32 vcc, 0, v9
	s_andn2_b64 s[4:5], s[4:5], exec
	s_and_b64 s[8:9], vcc, exec
	v_mov_b32_e32 v8, 0
	s_or_b64 s[4:5], s[4:5], s[8:9]
	s_or_b64 exec, exec, s[6:7]
	s_and_saveexec_b64 s[6:7], s[4:5]
	s_cbranch_execnz .LBB29_1907
	s_branch .LBB29_1908
.LBB29_3957:
	s_movk_i32 s4, 0x80
	v_cmp_eq_u16_e32 vcc, s4, v9
	s_mov_b64 s[4:5], -1
                                        ; implicit-def: $sgpr10
	s_and_saveexec_b64 s[8:9], vcc
; %bb.3958:
	s_mov_b32 s10, 0x7f800001
	s_xor_b64 s[4:5], exec, -1
; %bb.3959:
	s_or_b64 exec, exec, s[8:9]
	s_and_b64 s[4:5], s[4:5], exec
                                        ; implicit-def: $vgpr9
	s_or_saveexec_b64 s[6:7], s[6:7]
	v_mov_b32_e32 v10, s10
	s_xor_b64 exec, exec, s[6:7]
	s_cbranch_execz .LBB29_1910
.LBB29_3960:
	v_cmp_ne_u16_e32 vcc, 0, v9
	s_andn2_b64 s[4:5], s[4:5], exec
	s_and_b64 s[8:9], vcc, exec
	v_mov_b32_e32 v10, 0
	s_or_b64 s[4:5], s[4:5], s[8:9]
	s_or_b64 exec, exec, s[6:7]
	s_and_saveexec_b64 s[6:7], s[4:5]
	s_cbranch_execnz .LBB29_1911
	s_branch .LBB29_1912
.LBB29_3961:
	s_movk_i32 s4, 0x80
	v_cmp_eq_u16_sdwa s[12:13], v15, s4 src0_sel:BYTE_3 src1_sel:DWORD
	s_mov_b64 s[4:5], -1
                                        ; implicit-def: $sgpr10
	s_and_saveexec_b64 s[8:9], s[12:13]
; %bb.3962:
	s_mov_b32 s10, 0x7f800001
	s_xor_b64 s[4:5], exec, -1
; %bb.3963:
	s_or_b64 exec, exec, s[8:9]
	s_and_b64 s[4:5], s[4:5], exec
	s_or_saveexec_b64 s[6:7], s[6:7]
	v_mov_b32_e32 v8, s10
	s_xor_b64 exec, exec, s[6:7]
	s_cbranch_execz .LBB29_1914
.LBB29_3964:
	v_mov_b32_e32 v8, 0
	v_cmp_ne_u16_sdwa s[8:9], v15, v8 src0_sel:BYTE_3 src1_sel:DWORD
	s_andn2_b64 s[4:5], s[4:5], exec
	s_and_b64 s[8:9], s[8:9], exec
	s_or_b64 s[4:5], s[4:5], s[8:9]
	s_or_b64 exec, exec, s[6:7]
	s_and_saveexec_b64 s[6:7], s[4:5]
	s_cbranch_execnz .LBB29_1915
	s_branch .LBB29_1916
.LBB29_3965:
	s_movk_i32 s4, 0x80
	v_cmp_eq_u16_sdwa s[12:13], v11, s4 src0_sel:BYTE_3 src1_sel:DWORD
	s_mov_b64 s[4:5], -1
                                        ; implicit-def: $sgpr10
	s_and_saveexec_b64 s[8:9], s[12:13]
; %bb.3966:
	s_mov_b32 s10, 0x7f800001
	s_xor_b64 s[4:5], exec, -1
; %bb.3967:
	s_or_b64 exec, exec, s[8:9]
	s_and_b64 s[4:5], s[4:5], exec
	s_or_saveexec_b64 s[6:7], s[6:7]
	v_mov_b32_e32 v9, s10
	s_xor_b64 exec, exec, s[6:7]
	s_cbranch_execz .LBB29_1918
.LBB29_3968:
	v_mov_b32_e32 v9, 0
	v_cmp_ne_u16_sdwa s[8:9], v11, v9 src0_sel:BYTE_3 src1_sel:DWORD
	s_andn2_b64 s[4:5], s[4:5], exec
	s_and_b64 s[8:9], s[8:9], exec
	s_or_b64 s[4:5], s[4:5], s[8:9]
	s_or_b64 exec, exec, s[6:7]
	s_and_saveexec_b64 s[6:7], s[4:5]
	s_cbranch_execnz .LBB29_1919
	s_branch .LBB29_1920
.LBB29_3969:
	s_movk_i32 s4, 0x80
	v_cmp_eq_u16_sdwa s[12:13], v4, s4 src0_sel:BYTE_0 src1_sel:DWORD
	s_mov_b64 s[4:5], -1
                                        ; implicit-def: $sgpr10
	s_and_saveexec_b64 s[8:9], s[12:13]
; %bb.3970:
	s_mov_b32 s10, 0x7f800001
	s_xor_b64 s[4:5], exec, -1
; %bb.3971:
	s_or_b64 exec, exec, s[8:9]
	s_and_b64 s[4:5], s[4:5], exec
	s_or_saveexec_b64 s[6:7], s[6:7]
	v_mov_b32_e32 v8, s10
	s_xor_b64 exec, exec, s[6:7]
	s_cbranch_execz .LBB29_1922
.LBB29_3972:
	v_mov_b32_e32 v8, 0
	v_cmp_ne_u16_sdwa s[8:9], v4, v8 src0_sel:BYTE_0 src1_sel:DWORD
	s_andn2_b64 s[4:5], s[4:5], exec
	s_and_b64 s[8:9], s[8:9], exec
	s_or_b64 s[4:5], s[4:5], s[8:9]
	s_or_b64 exec, exec, s[6:7]
	s_and_saveexec_b64 s[6:7], s[4:5]
	s_cbranch_execnz .LBB29_1923
	s_branch .LBB29_1924
.LBB29_3973:
	s_movk_i32 s4, 0x80
	v_cmp_eq_u16_sdwa s[12:13], v0, s4 src0_sel:BYTE_0 src1_sel:DWORD
	s_mov_b64 s[4:5], -1
                                        ; implicit-def: $sgpr10
	s_and_saveexec_b64 s[8:9], s[12:13]
; %bb.3974:
	s_mov_b32 s10, 0x7f800001
	s_xor_b64 s[4:5], exec, -1
; %bb.3975:
	s_or_b64 exec, exec, s[8:9]
	s_and_b64 s[4:5], s[4:5], exec
	s_or_saveexec_b64 s[6:7], s[6:7]
	v_mov_b32_e32 v9, s10
	s_xor_b64 exec, exec, s[6:7]
	s_cbranch_execz .LBB29_1926
.LBB29_3976:
	v_mov_b32_e32 v9, 0
	v_cmp_ne_u16_sdwa s[8:9], v0, v9 src0_sel:BYTE_0 src1_sel:DWORD
	s_andn2_b64 s[4:5], s[4:5], exec
	s_and_b64 s[8:9], s[8:9], exec
	s_or_b64 s[4:5], s[4:5], s[8:9]
	s_or_b64 exec, exec, s[6:7]
	s_and_saveexec_b64 s[6:7], s[4:5]
	s_cbranch_execnz .LBB29_1927
	s_branch .LBB29_1928
.LBB29_3977:
	s_movk_i32 s4, 0x80
	v_cmp_eq_u16_sdwa s[12:13], v9, s4 src0_sel:BYTE_0 src1_sel:DWORD
	s_mov_b64 s[4:5], -1
                                        ; implicit-def: $sgpr10
	s_and_saveexec_b64 s[8:9], s[12:13]
; %bb.3978:
	s_mov_b32 s10, 0x7f800001
	s_xor_b64 s[4:5], exec, -1
; %bb.3979:
	s_or_b64 exec, exec, s[8:9]
	s_and_b64 s[4:5], s[4:5], exec
	s_or_saveexec_b64 s[6:7], s[6:7]
	v_mov_b32_e32 v8, s10
	s_xor_b64 exec, exec, s[6:7]
	s_cbranch_execz .LBB29_1930
.LBB29_3980:
	v_mov_b32_e32 v8, 0
	v_cmp_ne_u16_sdwa s[8:9], v9, v8 src0_sel:BYTE_0 src1_sel:DWORD
	s_andn2_b64 s[4:5], s[4:5], exec
	s_and_b64 s[8:9], s[8:9], exec
	s_or_b64 s[4:5], s[4:5], s[8:9]
	s_or_b64 exec, exec, s[6:7]
	s_and_saveexec_b64 s[6:7], s[4:5]
	s_cbranch_execnz .LBB29_1931
	s_branch .LBB29_1932
.LBB29_3981:
	s_movk_i32 s4, 0x80
	v_cmp_eq_u16_sdwa s[12:13], v9, s4 src0_sel:BYTE_0 src1_sel:DWORD
	s_mov_b64 s[4:5], -1
                                        ; implicit-def: $sgpr10
	s_and_saveexec_b64 s[8:9], s[12:13]
; %bb.3982:
	s_mov_b32 s10, 0x7f800001
	s_xor_b64 s[4:5], exec, -1
; %bb.3983:
	s_or_b64 exec, exec, s[8:9]
	s_and_b64 s[4:5], s[4:5], exec
	s_or_saveexec_b64 s[6:7], s[6:7]
	v_mov_b32_e32 v10, s10
	s_xor_b64 exec, exec, s[6:7]
	s_cbranch_execz .LBB29_1934
.LBB29_3984:
	v_mov_b32_e32 v10, 0
	v_cmp_ne_u16_sdwa s[8:9], v9, v10 src0_sel:BYTE_0 src1_sel:DWORD
	s_andn2_b64 s[4:5], s[4:5], exec
	s_and_b64 s[8:9], s[8:9], exec
	s_or_b64 s[4:5], s[4:5], s[8:9]
	s_or_b64 exec, exec, s[6:7]
	s_and_saveexec_b64 s[6:7], s[4:5]
	s_cbranch_execnz .LBB29_1935
	s_branch .LBB29_1936
.LBB29_3985:
	s_movk_i32 s4, 0x80
	v_cmp_eq_u16_e32 vcc, s4, v9
	s_mov_b64 s[4:5], -1
                                        ; implicit-def: $sgpr10
	s_and_saveexec_b64 s[8:9], vcc
; %bb.3986:
	s_mov_b32 s10, 0x7f800001
	s_xor_b64 s[4:5], exec, -1
; %bb.3987:
	s_or_b64 exec, exec, s[8:9]
	s_and_b64 s[4:5], s[4:5], exec
                                        ; implicit-def: $vgpr9
	s_or_saveexec_b64 s[6:7], s[6:7]
	v_mov_b32_e32 v8, s10
	s_xor_b64 exec, exec, s[6:7]
	s_cbranch_execz .LBB29_1938
.LBB29_3988:
	v_cmp_ne_u16_e32 vcc, 0, v9
	s_andn2_b64 s[4:5], s[4:5], exec
	s_and_b64 s[8:9], vcc, exec
	v_mov_b32_e32 v8, 0
	s_or_b64 s[4:5], s[4:5], s[8:9]
	s_or_b64 exec, exec, s[6:7]
	s_and_saveexec_b64 s[6:7], s[4:5]
	s_cbranch_execnz .LBB29_1939
	s_branch .LBB29_1940
.LBB29_3989:
	s_movk_i32 s4, 0x80
	v_cmp_eq_u16_e32 vcc, s4, v9
	s_mov_b64 s[4:5], -1
                                        ; implicit-def: $sgpr10
	s_and_saveexec_b64 s[8:9], vcc
; %bb.3990:
	s_mov_b32 s10, 0x7f800001
	s_xor_b64 s[4:5], exec, -1
; %bb.3991:
	s_or_b64 exec, exec, s[8:9]
	s_and_b64 s[4:5], s[4:5], exec
                                        ; implicit-def: $vgpr9
	s_or_saveexec_b64 s[6:7], s[6:7]
	v_mov_b32_e32 v10, s10
	s_xor_b64 exec, exec, s[6:7]
	s_cbranch_execz .LBB29_1942
.LBB29_3992:
	v_cmp_ne_u16_e32 vcc, 0, v9
	s_andn2_b64 s[4:5], s[4:5], exec
	s_and_b64 s[8:9], vcc, exec
	v_mov_b32_e32 v10, 0
	s_or_b64 s[4:5], s[4:5], s[8:9]
	s_or_b64 exec, exec, s[6:7]
	s_and_saveexec_b64 s[6:7], s[4:5]
	s_cbranch_execnz .LBB29_1943
	s_branch .LBB29_1944
.LBB29_3993:
	s_movk_i32 s4, 0x80
	v_cmp_eq_u16_sdwa s[12:13], v4, s4 src0_sel:BYTE_3 src1_sel:DWORD
	s_mov_b64 s[4:5], -1
                                        ; implicit-def: $sgpr10
	s_and_saveexec_b64 s[8:9], s[12:13]
; %bb.3994:
	s_mov_b32 s10, 0x7f800001
	s_xor_b64 s[4:5], exec, -1
; %bb.3995:
	s_or_b64 exec, exec, s[8:9]
	s_and_b64 s[4:5], s[4:5], exec
	s_or_saveexec_b64 s[6:7], s[6:7]
	v_mov_b32_e32 v8, s10
	s_xor_b64 exec, exec, s[6:7]
	s_cbranch_execz .LBB29_1946
.LBB29_3996:
	v_mov_b32_e32 v8, 0
	v_cmp_ne_u16_sdwa s[8:9], v4, v8 src0_sel:BYTE_3 src1_sel:DWORD
	s_andn2_b64 s[4:5], s[4:5], exec
	s_and_b64 s[8:9], s[8:9], exec
	s_or_b64 s[4:5], s[4:5], s[8:9]
	s_or_b64 exec, exec, s[6:7]
	s_and_saveexec_b64 s[6:7], s[4:5]
	s_cbranch_execnz .LBB29_1947
	s_branch .LBB29_1948
.LBB29_3997:
	s_movk_i32 s4, 0x80
	v_cmp_eq_u16_sdwa s[12:13], v0, s4 src0_sel:BYTE_3 src1_sel:DWORD
	s_mov_b64 s[4:5], -1
                                        ; implicit-def: $sgpr10
	s_and_saveexec_b64 s[8:9], s[12:13]
; %bb.3998:
	s_mov_b32 s10, 0x7f800001
	s_xor_b64 s[4:5], exec, -1
; %bb.3999:
	s_or_b64 exec, exec, s[8:9]
	s_and_b64 s[4:5], s[4:5], exec
	s_or_saveexec_b64 s[6:7], s[6:7]
	v_mov_b32_e32 v4, s10
	s_xor_b64 exec, exec, s[6:7]
	s_cbranch_execz .LBB29_1950
.LBB29_4000:
	v_mov_b32_e32 v4, 0
	v_cmp_ne_u16_sdwa s[8:9], v0, v4 src0_sel:BYTE_3 src1_sel:DWORD
	s_andn2_b64 s[4:5], s[4:5], exec
	s_and_b64 s[8:9], s[8:9], exec
	s_or_b64 s[4:5], s[4:5], s[8:9]
	s_or_b64 exec, exec, s[6:7]
	s_and_saveexec_b64 s[6:7], s[4:5]
	s_cbranch_execnz .LBB29_1951
	s_branch .LBB29_1952
.LBB29_4001:
	s_movk_i32 s4, 0x80
	v_cmp_eq_u16_sdwa s[12:13], v5, s4 src0_sel:BYTE_0 src1_sel:DWORD
	s_mov_b64 s[4:5], -1
                                        ; implicit-def: $sgpr10
	s_and_saveexec_b64 s[8:9], s[12:13]
; %bb.4002:
	s_mov_b32 s10, 0x7f800001
	s_xor_b64 s[4:5], exec, -1
; %bb.4003:
	s_or_b64 exec, exec, s[8:9]
	s_and_b64 s[4:5], s[4:5], exec
	s_or_saveexec_b64 s[6:7], s[6:7]
	v_mov_b32_e32 v0, s10
	s_xor_b64 exec, exec, s[6:7]
	s_cbranch_execz .LBB29_1954
.LBB29_4004:
	v_mov_b32_e32 v0, 0
	v_cmp_ne_u16_sdwa s[8:9], v5, v0 src0_sel:BYTE_0 src1_sel:DWORD
	s_andn2_b64 s[4:5], s[4:5], exec
	s_and_b64 s[8:9], s[8:9], exec
	s_or_b64 s[4:5], s[4:5], s[8:9]
	s_or_b64 exec, exec, s[6:7]
	s_and_saveexec_b64 s[6:7], s[4:5]
	s_cbranch_execnz .LBB29_1955
	s_branch .LBB29_1956
.LBB29_4005:
	s_movk_i32 s4, 0x80
	v_cmp_eq_u16_sdwa s[12:13], v1, s4 src0_sel:BYTE_0 src1_sel:DWORD
	s_mov_b64 s[4:5], -1
                                        ; implicit-def: $sgpr10
	s_and_saveexec_b64 s[8:9], s[12:13]
; %bb.4006:
	s_mov_b32 s10, 0x7f800001
	s_xor_b64 s[4:5], exec, -1
; %bb.4007:
	s_or_b64 exec, exec, s[8:9]
	s_and_b64 s[4:5], s[4:5], exec
	s_or_saveexec_b64 s[6:7], s[6:7]
	v_mov_b32_e32 v4, s10
	s_xor_b64 exec, exec, s[6:7]
	s_cbranch_execz .LBB29_1958
.LBB29_4008:
	v_mov_b32_e32 v4, 0
	v_cmp_ne_u16_sdwa s[8:9], v1, v4 src0_sel:BYTE_0 src1_sel:DWORD
	s_andn2_b64 s[4:5], s[4:5], exec
	s_and_b64 s[8:9], s[8:9], exec
	s_or_b64 s[4:5], s[4:5], s[8:9]
	s_or_b64 exec, exec, s[6:7]
	s_and_saveexec_b64 s[6:7], s[4:5]
	s_cbranch_execnz .LBB29_1959
	s_branch .LBB29_1960
.LBB29_4009:
	s_movk_i32 s4, 0x80
	v_cmp_eq_u16_sdwa s[12:13], v4, s4 src0_sel:BYTE_0 src1_sel:DWORD
	s_mov_b64 s[4:5], -1
                                        ; implicit-def: $sgpr10
	s_and_saveexec_b64 s[8:9], s[12:13]
; %bb.4010:
	s_mov_b32 s10, 0x7f800001
	s_xor_b64 s[4:5], exec, -1
; %bb.4011:
	s_or_b64 exec, exec, s[8:9]
	s_and_b64 s[4:5], s[4:5], exec
	s_or_saveexec_b64 s[6:7], s[6:7]
	v_mov_b32_e32 v0, s10
	s_xor_b64 exec, exec, s[6:7]
	s_cbranch_execz .LBB29_1962
.LBB29_4012:
	v_mov_b32_e32 v0, 0
	v_cmp_ne_u16_sdwa s[8:9], v4, v0 src0_sel:BYTE_0 src1_sel:DWORD
	s_andn2_b64 s[4:5], s[4:5], exec
	s_and_b64 s[8:9], s[8:9], exec
	s_or_b64 s[4:5], s[4:5], s[8:9]
	s_or_b64 exec, exec, s[6:7]
	s_and_saveexec_b64 s[6:7], s[4:5]
	s_cbranch_execnz .LBB29_1963
	s_branch .LBB29_1964
.LBB29_4013:
	s_movk_i32 s4, 0x80
	v_cmp_eq_u16_sdwa s[12:13], v4, s4 src0_sel:BYTE_0 src1_sel:DWORD
	s_mov_b64 s[4:5], -1
                                        ; implicit-def: $sgpr10
	s_and_saveexec_b64 s[8:9], s[12:13]
; %bb.4014:
	s_mov_b32 s10, 0x7f800001
	s_xor_b64 s[4:5], exec, -1
; %bb.4015:
	s_or_b64 exec, exec, s[8:9]
	s_and_b64 s[4:5], s[4:5], exec
	s_or_saveexec_b64 s[6:7], s[6:7]
	v_mov_b32_e32 v8, s10
	s_xor_b64 exec, exec, s[6:7]
	s_cbranch_execz .LBB29_1966
.LBB29_4016:
	v_mov_b32_e32 v8, 0
	v_cmp_ne_u16_sdwa s[8:9], v4, v8 src0_sel:BYTE_0 src1_sel:DWORD
	s_andn2_b64 s[4:5], s[4:5], exec
	s_and_b64 s[8:9], s[8:9], exec
	s_or_b64 s[4:5], s[4:5], s[8:9]
	s_or_b64 exec, exec, s[6:7]
	s_and_saveexec_b64 s[6:7], s[4:5]
	s_cbranch_execnz .LBB29_1967
	s_branch .LBB29_1968
.LBB29_4017:
	s_movk_i32 s4, 0x80
	v_cmp_eq_u16_e32 vcc, s4, v4
	s_mov_b64 s[4:5], -1
                                        ; implicit-def: $sgpr10
	s_and_saveexec_b64 s[8:9], vcc
; %bb.4018:
	s_mov_b32 s10, 0x7f800001
	s_xor_b64 s[4:5], exec, -1
; %bb.4019:
	s_or_b64 exec, exec, s[8:9]
	s_and_b64 s[4:5], s[4:5], exec
                                        ; implicit-def: $vgpr4
	s_or_saveexec_b64 s[6:7], s[6:7]
	v_mov_b32_e32 v0, s10
	s_xor_b64 exec, exec, s[6:7]
	s_cbranch_execz .LBB29_1970
.LBB29_4020:
	v_cmp_ne_u16_e32 vcc, 0, v4
	s_andn2_b64 s[4:5], s[4:5], exec
	s_and_b64 s[8:9], vcc, exec
	v_mov_b32_e32 v0, 0
	s_or_b64 s[4:5], s[4:5], s[8:9]
	s_or_b64 exec, exec, s[6:7]
	s_and_saveexec_b64 s[6:7], s[4:5]
	s_cbranch_execnz .LBB29_1971
	s_branch .LBB29_1972
.LBB29_4021:
	s_movk_i32 s4, 0x80
	v_cmp_eq_u16_e32 vcc, s4, v4
	s_mov_b64 s[4:5], -1
                                        ; implicit-def: $sgpr10
	s_and_saveexec_b64 s[8:9], vcc
; %bb.4022:
	s_mov_b32 s10, 0x7f800001
	s_xor_b64 s[4:5], exec, -1
; %bb.4023:
	s_or_b64 exec, exec, s[8:9]
	s_and_b64 s[4:5], s[4:5], exec
                                        ; implicit-def: $vgpr4
	s_or_saveexec_b64 s[6:7], s[6:7]
	v_mov_b32_e32 v8, s10
	s_xor_b64 exec, exec, s[6:7]
	s_cbranch_execz .LBB29_1974
.LBB29_4024:
	v_cmp_ne_u16_e32 vcc, 0, v4
	s_andn2_b64 s[4:5], s[4:5], exec
	s_and_b64 s[8:9], vcc, exec
	v_mov_b32_e32 v8, 0
	s_or_b64 s[4:5], s[4:5], s[8:9]
	s_or_b64 exec, exec, s[6:7]
	s_and_saveexec_b64 s[6:7], s[4:5]
	s_cbranch_execnz .LBB29_1975
	s_branch .LBB29_1976
.LBB29_4025:
	s_movk_i32 s4, 0x80
	v_cmp_eq_u16_sdwa s[12:13], v5, s4 src0_sel:BYTE_3 src1_sel:DWORD
	s_mov_b64 s[4:5], -1
                                        ; implicit-def: $sgpr10
	s_and_saveexec_b64 s[8:9], s[12:13]
; %bb.4026:
	s_mov_b32 s10, 0x7f800001
	s_xor_b64 s[4:5], exec, -1
; %bb.4027:
	s_or_b64 exec, exec, s[8:9]
	s_and_b64 s[4:5], s[4:5], exec
	s_or_saveexec_b64 s[6:7], s[6:7]
	v_mov_b32_e32 v0, s10
	s_xor_b64 exec, exec, s[6:7]
	s_cbranch_execz .LBB29_1978
.LBB29_4028:
	v_mov_b32_e32 v0, 0
	v_cmp_ne_u16_sdwa s[8:9], v5, v0 src0_sel:BYTE_3 src1_sel:DWORD
	s_andn2_b64 s[4:5], s[4:5], exec
	s_and_b64 s[8:9], s[8:9], exec
	s_or_b64 s[4:5], s[4:5], s[8:9]
	s_or_b64 exec, exec, s[6:7]
	s_and_saveexec_b64 s[6:7], s[4:5]
	s_cbranch_execnz .LBB29_1979
	s_branch .LBB29_1980
.LBB29_4029:
	s_movk_i32 s4, 0x80
	v_cmp_eq_u16_sdwa s[12:13], v1, s4 src0_sel:BYTE_3 src1_sel:DWORD
	s_mov_b64 s[4:5], -1
                                        ; implicit-def: $sgpr10
	s_and_saveexec_b64 s[8:9], s[12:13]
; %bb.4030:
	s_mov_b32 s10, 0x7f800001
	s_xor_b64 s[4:5], exec, -1
; %bb.4031:
	s_or_b64 exec, exec, s[8:9]
	s_and_b64 s[4:5], s[4:5], exec
	s_or_saveexec_b64 s[6:7], s[6:7]
	v_mov_b32_e32 v4, s10
	s_xor_b64 exec, exec, s[6:7]
	s_cbranch_execz .LBB29_1982
.LBB29_4032:
	v_mov_b32_e32 v4, 0
	v_cmp_ne_u16_sdwa s[8:9], v1, v4 src0_sel:BYTE_3 src1_sel:DWORD
	s_andn2_b64 s[4:5], s[4:5], exec
	s_and_b64 s[8:9], s[8:9], exec
	s_or_b64 s[4:5], s[4:5], s[8:9]
	s_or_b64 exec, exec, s[6:7]
	s_and_saveexec_b64 s[6:7], s[4:5]
	s_cbranch_execnz .LBB29_1983
	s_branch .LBB29_1984
.LBB29_4033:
	s_movk_i32 s4, 0x80
	v_cmp_eq_u16_sdwa s[12:13], v6, s4 src0_sel:BYTE_0 src1_sel:DWORD
	s_mov_b64 s[4:5], -1
                                        ; implicit-def: $sgpr10
	s_and_saveexec_b64 s[8:9], s[12:13]
; %bb.4034:
	s_mov_b32 s10, 0x7f800001
	s_xor_b64 s[4:5], exec, -1
; %bb.4035:
	s_or_b64 exec, exec, s[8:9]
	s_and_b64 s[4:5], s[4:5], exec
	s_or_saveexec_b64 s[6:7], s[6:7]
	v_mov_b32_e32 v0, s10
	s_xor_b64 exec, exec, s[6:7]
	s_cbranch_execz .LBB29_1986
.LBB29_4036:
	v_mov_b32_e32 v0, 0
	v_cmp_ne_u16_sdwa s[8:9], v6, v0 src0_sel:BYTE_0 src1_sel:DWORD
	s_andn2_b64 s[4:5], s[4:5], exec
	s_and_b64 s[8:9], s[8:9], exec
	s_or_b64 s[4:5], s[4:5], s[8:9]
	s_or_b64 exec, exec, s[6:7]
	s_and_saveexec_b64 s[6:7], s[4:5]
	s_cbranch_execnz .LBB29_1987
	s_branch .LBB29_1988
.LBB29_4037:
	s_movk_i32 s4, 0x80
	v_cmp_eq_u16_sdwa s[12:13], v2, s4 src0_sel:BYTE_0 src1_sel:DWORD
	s_mov_b64 s[4:5], -1
                                        ; implicit-def: $sgpr10
	s_and_saveexec_b64 s[8:9], s[12:13]
; %bb.4038:
	s_mov_b32 s10, 0x7f800001
	s_xor_b64 s[4:5], exec, -1
; %bb.4039:
	s_or_b64 exec, exec, s[8:9]
	s_and_b64 s[4:5], s[4:5], exec
	s_or_saveexec_b64 s[6:7], s[6:7]
	v_mov_b32_e32 v1, s10
	s_xor_b64 exec, exec, s[6:7]
	s_cbranch_execz .LBB29_1990
.LBB29_4040:
	v_mov_b32_e32 v1, 0
	v_cmp_ne_u16_sdwa s[8:9], v2, v1 src0_sel:BYTE_0 src1_sel:DWORD
	s_andn2_b64 s[4:5], s[4:5], exec
	s_and_b64 s[8:9], s[8:9], exec
	s_or_b64 s[4:5], s[4:5], s[8:9]
	s_or_b64 exec, exec, s[6:7]
	s_and_saveexec_b64 s[6:7], s[4:5]
	s_cbranch_execnz .LBB29_1991
	s_branch .LBB29_1992
.LBB29_4041:
	s_movk_i32 s4, 0x80
	v_cmp_eq_u16_sdwa s[12:13], v1, s4 src0_sel:BYTE_0 src1_sel:DWORD
	s_mov_b64 s[4:5], -1
                                        ; implicit-def: $sgpr10
	s_and_saveexec_b64 s[8:9], s[12:13]
; %bb.4042:
	s_mov_b32 s10, 0x7f800001
	s_xor_b64 s[4:5], exec, -1
; %bb.4043:
	s_or_b64 exec, exec, s[8:9]
	s_and_b64 s[4:5], s[4:5], exec
	s_or_saveexec_b64 s[6:7], s[6:7]
	v_mov_b32_e32 v0, s10
	s_xor_b64 exec, exec, s[6:7]
	s_cbranch_execz .LBB29_1994
.LBB29_4044:
	v_mov_b32_e32 v0, 0
	v_cmp_ne_u16_sdwa s[8:9], v1, v0 src0_sel:BYTE_0 src1_sel:DWORD
	s_andn2_b64 s[4:5], s[4:5], exec
	s_and_b64 s[8:9], s[8:9], exec
	s_or_b64 s[4:5], s[4:5], s[8:9]
	s_or_b64 exec, exec, s[6:7]
	s_and_saveexec_b64 s[6:7], s[4:5]
	s_cbranch_execnz .LBB29_1995
	s_branch .LBB29_1996
.LBB29_4045:
	s_movk_i32 s4, 0x80
	v_cmp_eq_u16_sdwa s[12:13], v1, s4 src0_sel:BYTE_0 src1_sel:DWORD
	s_mov_b64 s[4:5], -1
                                        ; implicit-def: $sgpr10
	s_and_saveexec_b64 s[8:9], s[12:13]
; %bb.4046:
	s_mov_b32 s10, 0x7f800001
	s_xor_b64 s[4:5], exec, -1
; %bb.4047:
	s_or_b64 exec, exec, s[8:9]
	s_and_b64 s[4:5], s[4:5], exec
	s_or_saveexec_b64 s[6:7], s[6:7]
	v_mov_b32_e32 v4, s10
	s_xor_b64 exec, exec, s[6:7]
	s_cbranch_execz .LBB29_1998
.LBB29_4048:
	v_mov_b32_e32 v4, 0
	v_cmp_ne_u16_sdwa s[8:9], v1, v4 src0_sel:BYTE_0 src1_sel:DWORD
	s_andn2_b64 s[4:5], s[4:5], exec
	s_and_b64 s[8:9], s[8:9], exec
	s_or_b64 s[4:5], s[4:5], s[8:9]
	s_or_b64 exec, exec, s[6:7]
	s_and_saveexec_b64 s[6:7], s[4:5]
	s_cbranch_execnz .LBB29_1999
	s_branch .LBB29_2000
.LBB29_4049:
	s_movk_i32 s4, 0x80
	v_cmp_eq_u16_e32 vcc, s4, v1
	s_mov_b64 s[4:5], -1
                                        ; implicit-def: $sgpr10
	s_and_saveexec_b64 s[8:9], vcc
; %bb.4050:
	s_mov_b32 s10, 0x7f800001
	s_xor_b64 s[4:5], exec, -1
; %bb.4051:
	s_or_b64 exec, exec, s[8:9]
	s_and_b64 s[4:5], s[4:5], exec
                                        ; implicit-def: $vgpr1
	s_or_saveexec_b64 s[6:7], s[6:7]
	v_mov_b32_e32 v0, s10
	s_xor_b64 exec, exec, s[6:7]
	s_cbranch_execz .LBB29_2002
.LBB29_4052:
	v_cmp_ne_u16_e32 vcc, 0, v1
	s_andn2_b64 s[4:5], s[4:5], exec
	s_and_b64 s[8:9], vcc, exec
	v_mov_b32_e32 v0, 0
	s_or_b64 s[4:5], s[4:5], s[8:9]
	s_or_b64 exec, exec, s[6:7]
	s_and_saveexec_b64 s[6:7], s[4:5]
	s_cbranch_execnz .LBB29_2003
	s_branch .LBB29_2004
.LBB29_4053:
	s_movk_i32 s4, 0x80
	v_cmp_eq_u16_e32 vcc, s4, v1
	s_mov_b64 s[4:5], -1
                                        ; implicit-def: $sgpr10
	s_and_saveexec_b64 s[8:9], vcc
; %bb.4054:
	s_mov_b32 s10, 0x7f800001
	s_xor_b64 s[4:5], exec, -1
; %bb.4055:
	s_or_b64 exec, exec, s[8:9]
	s_and_b64 s[4:5], s[4:5], exec
                                        ; implicit-def: $vgpr1
	s_or_saveexec_b64 s[6:7], s[6:7]
	v_mov_b32_e32 v4, s10
	s_xor_b64 exec, exec, s[6:7]
	s_cbranch_execz .LBB29_2006
.LBB29_4056:
	v_cmp_ne_u16_e32 vcc, 0, v1
	s_andn2_b64 s[4:5], s[4:5], exec
	s_and_b64 s[8:9], vcc, exec
	v_mov_b32_e32 v4, 0
	s_or_b64 s[4:5], s[4:5], s[8:9]
	s_or_b64 exec, exec, s[6:7]
	s_and_saveexec_b64 s[6:7], s[4:5]
	s_cbranch_execnz .LBB29_2007
	s_branch .LBB29_2008
.LBB29_4057:
	s_movk_i32 s4, 0x80
	v_cmp_eq_u16_sdwa s[12:13], v6, s4 src0_sel:BYTE_3 src1_sel:DWORD
	s_mov_b64 s[4:5], -1
                                        ; implicit-def: $sgpr10
	s_and_saveexec_b64 s[8:9], s[12:13]
; %bb.4058:
	s_mov_b32 s10, 0x7f800001
	s_xor_b64 s[4:5], exec, -1
; %bb.4059:
	s_or_b64 exec, exec, s[8:9]
	s_and_b64 s[4:5], s[4:5], exec
	s_or_saveexec_b64 s[6:7], s[6:7]
	v_mov_b32_e32 v0, s10
	s_xor_b64 exec, exec, s[6:7]
	s_cbranch_execz .LBB29_2010
.LBB29_4060:
	v_mov_b32_e32 v0, 0
	v_cmp_ne_u16_sdwa s[8:9], v6, v0 src0_sel:BYTE_3 src1_sel:DWORD
	s_andn2_b64 s[4:5], s[4:5], exec
	s_and_b64 s[8:9], s[8:9], exec
	s_or_b64 s[4:5], s[4:5], s[8:9]
	s_or_b64 exec, exec, s[6:7]
	s_and_saveexec_b64 s[6:7], s[4:5]
	s_cbranch_execnz .LBB29_2011
	s_branch .LBB29_2012
.LBB29_4061:
	s_movk_i32 s4, 0x80
	v_cmp_eq_u16_sdwa s[12:13], v2, s4 src0_sel:BYTE_3 src1_sel:DWORD
	s_mov_b64 s[4:5], -1
                                        ; implicit-def: $sgpr10
	s_and_saveexec_b64 s[8:9], s[12:13]
; %bb.4062:
	s_mov_b32 s10, 0x7f800001
	s_xor_b64 s[4:5], exec, -1
; %bb.4063:
	s_or_b64 exec, exec, s[8:9]
	s_and_b64 s[4:5], s[4:5], exec
	s_or_saveexec_b64 s[6:7], s[6:7]
	v_mov_b32_e32 v1, s10
	s_xor_b64 exec, exec, s[6:7]
	s_cbranch_execz .LBB29_2014
.LBB29_4064:
	v_mov_b32_e32 v1, 0
	v_cmp_ne_u16_sdwa s[8:9], v2, v1 src0_sel:BYTE_3 src1_sel:DWORD
	s_andn2_b64 s[4:5], s[4:5], exec
	s_and_b64 s[8:9], s[8:9], exec
	s_or_b64 s[4:5], s[4:5], s[8:9]
	s_or_b64 exec, exec, s[6:7]
	s_and_saveexec_b64 s[6:7], s[4:5]
	s_cbranch_execnz .LBB29_2015
	s_branch .LBB29_2016
.LBB29_4065:
	s_movk_i32 s4, 0x80
	v_cmp_eq_u16_sdwa s[12:13], v7, s4 src0_sel:BYTE_0 src1_sel:DWORD
	s_mov_b64 s[4:5], -1
                                        ; implicit-def: $sgpr10
	s_and_saveexec_b64 s[8:9], s[12:13]
; %bb.4066:
	s_mov_b32 s10, 0x7f800001
	s_xor_b64 s[4:5], exec, -1
; %bb.4067:
	s_or_b64 exec, exec, s[8:9]
	s_and_b64 s[4:5], s[4:5], exec
	s_or_saveexec_b64 s[6:7], s[6:7]
	v_mov_b32_e32 v0, s10
	s_xor_b64 exec, exec, s[6:7]
	s_cbranch_execz .LBB29_2018
.LBB29_4068:
	v_mov_b32_e32 v0, 0
	v_cmp_ne_u16_sdwa s[8:9], v7, v0 src0_sel:BYTE_0 src1_sel:DWORD
	s_andn2_b64 s[4:5], s[4:5], exec
	s_and_b64 s[8:9], s[8:9], exec
	s_or_b64 s[4:5], s[4:5], s[8:9]
	s_or_b64 exec, exec, s[6:7]
	s_and_saveexec_b64 s[6:7], s[4:5]
	s_cbranch_execnz .LBB29_2019
	s_branch .LBB29_2020
.LBB29_4069:
	s_movk_i32 s4, 0x80
	v_cmp_eq_u16_sdwa s[12:13], v3, s4 src0_sel:BYTE_0 src1_sel:DWORD
	s_mov_b64 s[4:5], -1
                                        ; implicit-def: $sgpr10
	s_and_saveexec_b64 s[8:9], s[12:13]
; %bb.4070:
	s_mov_b32 s10, 0x7f800001
	s_xor_b64 s[4:5], exec, -1
; %bb.4071:
	s_or_b64 exec, exec, s[8:9]
	s_and_b64 s[4:5], s[4:5], exec
	s_or_saveexec_b64 s[6:7], s[6:7]
	v_mov_b32_e32 v1, s10
	s_xor_b64 exec, exec, s[6:7]
	s_cbranch_execz .LBB29_2022
.LBB29_4072:
	v_mov_b32_e32 v1, 0
	v_cmp_ne_u16_sdwa s[8:9], v3, v1 src0_sel:BYTE_0 src1_sel:DWORD
	s_andn2_b64 s[4:5], s[4:5], exec
	s_and_b64 s[8:9], s[8:9], exec
	s_or_b64 s[4:5], s[4:5], s[8:9]
	s_or_b64 exec, exec, s[6:7]
	s_and_saveexec_b64 s[6:7], s[4:5]
	s_cbranch_execnz .LBB29_2023
	s_branch .LBB29_2024
.LBB29_4073:
	s_movk_i32 s4, 0x80
	v_cmp_eq_u16_sdwa s[12:13], v1, s4 src0_sel:BYTE_0 src1_sel:DWORD
	s_mov_b64 s[4:5], -1
                                        ; implicit-def: $sgpr10
	s_and_saveexec_b64 s[8:9], s[12:13]
; %bb.4074:
	s_mov_b32 s10, 0x7f800001
	s_xor_b64 s[4:5], exec, -1
; %bb.4075:
	s_or_b64 exec, exec, s[8:9]
	s_and_b64 s[4:5], s[4:5], exec
	s_or_saveexec_b64 s[6:7], s[6:7]
	v_mov_b32_e32 v0, s10
	s_xor_b64 exec, exec, s[6:7]
	s_cbranch_execz .LBB29_2026
.LBB29_4076:
	v_mov_b32_e32 v0, 0
	v_cmp_ne_u16_sdwa s[8:9], v1, v0 src0_sel:BYTE_0 src1_sel:DWORD
	s_andn2_b64 s[4:5], s[4:5], exec
	s_and_b64 s[8:9], s[8:9], exec
	s_or_b64 s[4:5], s[4:5], s[8:9]
	s_or_b64 exec, exec, s[6:7]
	s_and_saveexec_b64 s[6:7], s[4:5]
	s_cbranch_execnz .LBB29_2027
	s_branch .LBB29_2028
.LBB29_4077:
	s_movk_i32 s4, 0x80
	v_cmp_eq_u16_sdwa s[12:13], v1, s4 src0_sel:BYTE_0 src1_sel:DWORD
	s_mov_b64 s[4:5], -1
                                        ; implicit-def: $sgpr10
	s_and_saveexec_b64 s[8:9], s[12:13]
; %bb.4078:
	s_mov_b32 s10, 0x7f800001
	s_xor_b64 s[4:5], exec, -1
; %bb.4079:
	s_or_b64 exec, exec, s[8:9]
	s_and_b64 s[4:5], s[4:5], exec
	s_or_saveexec_b64 s[6:7], s[6:7]
	v_mov_b32_e32 v2, s10
	s_xor_b64 exec, exec, s[6:7]
	s_cbranch_execz .LBB29_2030
.LBB29_4080:
	v_mov_b32_e32 v2, 0
	v_cmp_ne_u16_sdwa s[8:9], v1, v2 src0_sel:BYTE_0 src1_sel:DWORD
	s_andn2_b64 s[4:5], s[4:5], exec
	s_and_b64 s[8:9], s[8:9], exec
	s_or_b64 s[4:5], s[4:5], s[8:9]
	s_or_b64 exec, exec, s[6:7]
	s_and_saveexec_b64 s[6:7], s[4:5]
	s_cbranch_execnz .LBB29_2031
	s_branch .LBB29_2032
.LBB29_4081:
	s_movk_i32 s4, 0x80
	v_cmp_eq_u16_e32 vcc, s4, v1
	s_mov_b64 s[4:5], -1
                                        ; implicit-def: $sgpr10
	s_and_saveexec_b64 s[8:9], vcc
; %bb.4082:
	s_mov_b32 s10, 0x7f800001
	s_xor_b64 s[4:5], exec, -1
; %bb.4083:
	s_or_b64 exec, exec, s[8:9]
	s_and_b64 s[4:5], s[4:5], exec
                                        ; implicit-def: $vgpr1
	s_or_saveexec_b64 s[6:7], s[6:7]
	v_mov_b32_e32 v0, s10
	s_xor_b64 exec, exec, s[6:7]
	s_cbranch_execz .LBB29_2034
.LBB29_4084:
	v_cmp_ne_u16_e32 vcc, 0, v1
	s_andn2_b64 s[4:5], s[4:5], exec
	s_and_b64 s[8:9], vcc, exec
	v_mov_b32_e32 v0, 0
	s_or_b64 s[4:5], s[4:5], s[8:9]
	s_or_b64 exec, exec, s[6:7]
	s_and_saveexec_b64 s[6:7], s[4:5]
	s_cbranch_execnz .LBB29_2035
	s_branch .LBB29_2036
.LBB29_4085:
	s_movk_i32 s4, 0x80
	v_cmp_eq_u16_e32 vcc, s4, v1
	s_mov_b64 s[4:5], -1
                                        ; implicit-def: $sgpr10
	s_and_saveexec_b64 s[8:9], vcc
; %bb.4086:
	s_mov_b32 s10, 0x7f800001
	s_xor_b64 s[4:5], exec, -1
; %bb.4087:
	s_or_b64 exec, exec, s[8:9]
	s_and_b64 s[4:5], s[4:5], exec
                                        ; implicit-def: $vgpr1
	s_or_saveexec_b64 s[6:7], s[6:7]
	v_mov_b32_e32 v2, s10
	s_xor_b64 exec, exec, s[6:7]
	s_cbranch_execz .LBB29_2038
.LBB29_4088:
	v_cmp_ne_u16_e32 vcc, 0, v1
	s_andn2_b64 s[4:5], s[4:5], exec
	s_and_b64 s[8:9], vcc, exec
	v_mov_b32_e32 v2, 0
	s_or_b64 s[4:5], s[4:5], s[8:9]
	s_or_b64 exec, exec, s[6:7]
	s_and_saveexec_b64 s[6:7], s[4:5]
	s_cbranch_execnz .LBB29_2039
	s_branch .LBB29_2040
.LBB29_4089:
	s_movk_i32 s4, 0x80
	v_cmp_eq_u16_sdwa s[12:13], v7, s4 src0_sel:BYTE_3 src1_sel:DWORD
	s_mov_b64 s[4:5], -1
                                        ; implicit-def: $sgpr10
	s_and_saveexec_b64 s[8:9], s[12:13]
; %bb.4090:
	s_mov_b32 s10, 0x7f800001
	s_xor_b64 s[4:5], exec, -1
; %bb.4091:
	s_or_b64 exec, exec, s[8:9]
	s_and_b64 s[4:5], s[4:5], exec
	s_or_saveexec_b64 s[6:7], s[6:7]
	v_mov_b32_e32 v0, s10
	s_xor_b64 exec, exec, s[6:7]
	s_cbranch_execz .LBB29_2042
.LBB29_4092:
	v_mov_b32_e32 v0, 0
	v_cmp_ne_u16_sdwa s[8:9], v7, v0 src0_sel:BYTE_3 src1_sel:DWORD
	s_andn2_b64 s[4:5], s[4:5], exec
	s_and_b64 s[8:9], s[8:9], exec
	s_or_b64 s[4:5], s[4:5], s[8:9]
	s_or_b64 exec, exec, s[6:7]
	s_and_saveexec_b64 s[6:7], s[4:5]
	s_cbranch_execnz .LBB29_2043
	s_branch .LBB29_2044
.LBB29_4093:
	s_movk_i32 s4, 0x80
	v_cmp_eq_u16_sdwa s[12:13], v3, s4 src0_sel:BYTE_3 src1_sel:DWORD
	s_mov_b64 s[4:5], -1
                                        ; implicit-def: $sgpr10
	s_and_saveexec_b64 s[8:9], s[12:13]
; %bb.4094:
	s_mov_b32 s10, 0x7f800001
	s_xor_b64 s[4:5], exec, -1
; %bb.4095:
	s_or_b64 exec, exec, s[8:9]
	s_and_b64 s[4:5], s[4:5], exec
	s_or_saveexec_b64 s[6:7], s[6:7]
	v_mov_b32_e32 v1, s10
	s_xor_b64 exec, exec, s[6:7]
	s_cbranch_execz .LBB29_2046
.LBB29_4096:
	v_mov_b32_e32 v1, 0
	v_cmp_ne_u16_sdwa s[8:9], v3, v1 src0_sel:BYTE_3 src1_sel:DWORD
	s_andn2_b64 s[4:5], s[4:5], exec
	s_and_b64 s[8:9], s[8:9], exec
	s_or_b64 s[4:5], s[4:5], s[8:9]
	s_or_b64 exec, exec, s[6:7]
	s_and_saveexec_b64 s[6:7], s[4:5]
	s_cbranch_execnz .LBB29_2047
	s_branch .LBB29_2048
.Lfunc_end29:
	.size	_ZNK2ck6detail7applierIiJLi0ELi1ELi2ELi3ELi4ELi5ELi6ELi7EEEclIZNKS_11static_fordINS_8SequenceIJLi1ELi8EEEENS5_IJLi0ELi1EEEEEclIZZZNKS_52BlockwiseGemmXdlops_pipeline_bpreshuffle_bdequant_v3ILNS_26BlockGemmPipelineSchedulerE0ELi256ENS_9f8_fnuz_tENS_7pk_i4_tESC_fNS_16TensorDescriptorINS_5TupleIJNS_5EmbedINSF_IJNS_17integral_constantIiLi8EEENSH_IiLi256EEENSH_IiLi16EEEEEENSF_IJSK_NSH_IiLi128EEENSH_IiLi1EEEEEELb0EEENS_3XorINSF_IJSJ_SI_EEELb1EEENS_11PassThroughISK_EENS_7UnMergeINSF_IJSI_SN_EEELb0EEENST_ISJ_EESU_NST_ISI_EENS_21Merge_v3_division_modINSF_IJSJ_SN_EEEEESU_EEENSF_IJNS5_IJLi0EEEENS5_IJLi2ELi1EEEENS5_IJLi3EEEENS5_IJLi5EEEENS5_IJLi4EEEENS5_IJLi6EEEENS5_IJLi7EEEENS5_IJLi9ELi8EEEENS5_IJLi10EEEEEEENSF_IJNS5_IJLi1ELi2ELi3EEEENS5_IJLi4ELi5EEEES19_NS5_IJLi7ELi8EEEENS5_IJLi9EEEES1C_NS5_IJLi11EEEENS5_IJLi12EEEENS5_IJLi13EEEEEEENS5_IJLi11ELi12ELi13EEEENSH_IlLl32768EEEEENSE_INSF_IJNSV_INSF_IJSI_SN_SN_NSH_IiLi32EEEEEELb0EEEEEENSF_IJS14_EEENSF_IJNS5_IJLi1ELi2ELi3ELi4EEEEEEES1U_NSH_IlLl256EEEEENSE_INSF_IJSP_SS_SU_SX_SY_SU_SZ_S12_SU_NS10_INSF_IJSI_SK_EEEEENSV_INSF_IJSI_NSH_IiLi2EEESK_EEELb0EEEEEENSF_IJS14_S15_S16_S17_S18_S19_S1A_S1B_S1C_NS5_IJLi11ELi13EEEES1J_EEENSF_IJS1E_S1F_S19_S1G_S1H_S1C_S1I_S1J_S1K_NS5_IJLi14EEEENS5_IJLi15ELi16ELi17EEEEEEENS5_IJLi15ELi16ELi17ELi14EEEES1N_EENSE_INSF_IJS1R_NS10_ISW_EES22_EEENSF_IJS14_NS5_IJLi1ELi3EEEENS5_IJLi2EEEEEEENSF_IJS1U_S17_NS5_IJLi6ELi7ELi8EEEEEEENS5_IJLi6ELi7ELi8ELi5EEEES1W_EELi16ELi32ELi256ELi256ELi128ELi16ELi16ELi8ELi8ELi32ELb0EE3RunILb1ELNS_10TailNumberE1ENSE_INSF_IJNSG_INSF_IJiiEEENSF_IJiSN_EEELb0EEENSV_IS2N_Lb0EEENST_IiEEEEENSF_IJS14_S2E_NS5_IJLi1EEEEEEENSF_IJNS5_IJLi1ELi2EEEENS5_IJLi3ELi4EEEES17_EEENS5_IJLi3ELi5ELi4EEEElEES1O_NS_35ThreadGroupTensorSliceTransfer_v4r1INS_15ThisThreadBlockILi256EEENS_16tensor_operation12element_wise11PassThroughES35_LNS_25InMemoryDataOperationEnumE0ENS5_IJLi8ELi256ELi16EEEENS5_IJLi8ELi32ELi1EEEENS5_IJLi1ELi0ELi2EEEESC_SC_RKS2Z_KS1O_S39_NS5_IJLi0ELi1ELi2EEEELi2ELi2ELi16ELi16ELi1ELi1ELb0ELb1ELi2EiEENS_13DynamicBufferILNS_16AddressSpaceEnumE1EKSC_lLb1ELNS_22AmdBufferCoherenceEnumE0EiEENSF_IJNS3F_ILS3G_2ESC_S1N_Lb1ELS3I_0EiEES3K_EEENSF_IJiiiEEENSE_INSF_IJNSG_INSF_IJiiiiEEENSF_IJiiiSN_EEELb0EEEEEES1T_S1V_S1U_lEENS_32ThreadwiseTensorSliceTransfer_v2ISD_SD_RKS3R_KS1X_NS5_IJLi8ELi1ELi1ELi32EEEENS5_IJLi1ELi2ELi0ELi3EEEELi3ELi32ELi0ELb1ELb0ELb0EEENS3F_ILS3G_1EKSD_lLb1ELS3I_0EiEENSF_IJNS_12StaticBufferILS3G_4ESD_Li256ELb1EEES42_EEES3N_NS_25StaticBufferTupleOfVectorILS3G_4EfLi64ELi4ELb1ELb0EEEEEvRKT1_RKT2_RT3_RKT4_RT5_RKT6_RKT7_RT8_RKT9_RT10_RKT11_RT12_iENKUlT_T0_E_clINSH_IiLi0EEESN_EEDaS51_S52_ENKUlS51_E_clISN_EEDaS51_EUlS51_E_EEvS51_EUlS51_E_EEvS51_, .Lfunc_end29-_ZNK2ck6detail7applierIiJLi0ELi1ELi2ELi3ELi4ELi5ELi6ELi7EEEclIZNKS_11static_fordINS_8SequenceIJLi1ELi8EEEENS5_IJLi0ELi1EEEEEclIZZZNKS_52BlockwiseGemmXdlops_pipeline_bpreshuffle_bdequant_v3ILNS_26BlockGemmPipelineSchedulerE0ELi256ENS_9f8_fnuz_tENS_7pk_i4_tESC_fNS_16TensorDescriptorINS_5TupleIJNS_5EmbedINSF_IJNS_17integral_constantIiLi8EEENSH_IiLi256EEENSH_IiLi16EEEEEENSF_IJSK_NSH_IiLi128EEENSH_IiLi1EEEEEELb0EEENS_3XorINSF_IJSJ_SI_EEELb1EEENS_11PassThroughISK_EENS_7UnMergeINSF_IJSI_SN_EEELb0EEENST_ISJ_EESU_NST_ISI_EENS_21Merge_v3_division_modINSF_IJSJ_SN_EEEEESU_EEENSF_IJNS5_IJLi0EEEENS5_IJLi2ELi1EEEENS5_IJLi3EEEENS5_IJLi5EEEENS5_IJLi4EEEENS5_IJLi6EEEENS5_IJLi7EEEENS5_IJLi9ELi8EEEENS5_IJLi10EEEEEEENSF_IJNS5_IJLi1ELi2ELi3EEEENS5_IJLi4ELi5EEEES19_NS5_IJLi7ELi8EEEENS5_IJLi9EEEES1C_NS5_IJLi11EEEENS5_IJLi12EEEENS5_IJLi13EEEEEEENS5_IJLi11ELi12ELi13EEEENSH_IlLl32768EEEEENSE_INSF_IJNSV_INSF_IJSI_SN_SN_NSH_IiLi32EEEEEELb0EEEEEENSF_IJS14_EEENSF_IJNS5_IJLi1ELi2ELi3ELi4EEEEEEES1U_NSH_IlLl256EEEEENSE_INSF_IJSP_SS_SU_SX_SY_SU_SZ_S12_SU_NS10_INSF_IJSI_SK_EEEEENSV_INSF_IJSI_NSH_IiLi2EEESK_EEELb0EEEEEENSF_IJS14_S15_S16_S17_S18_S19_S1A_S1B_S1C_NS5_IJLi11ELi13EEEES1J_EEENSF_IJS1E_S1F_S19_S1G_S1H_S1C_S1I_S1J_S1K_NS5_IJLi14EEEENS5_IJLi15ELi16ELi17EEEEEEENS5_IJLi15ELi16ELi17ELi14EEEES1N_EENSE_INSF_IJS1R_NS10_ISW_EES22_EEENSF_IJS14_NS5_IJLi1ELi3EEEENS5_IJLi2EEEEEEENSF_IJS1U_S17_NS5_IJLi6ELi7ELi8EEEEEEENS5_IJLi6ELi7ELi8ELi5EEEES1W_EELi16ELi32ELi256ELi256ELi128ELi16ELi16ELi8ELi8ELi32ELb0EE3RunILb1ELNS_10TailNumberE1ENSE_INSF_IJNSG_INSF_IJiiEEENSF_IJiSN_EEELb0EEENSV_IS2N_Lb0EEENST_IiEEEEENSF_IJS14_S2E_NS5_IJLi1EEEEEEENSF_IJNS5_IJLi1ELi2EEEENS5_IJLi3ELi4EEEES17_EEENS5_IJLi3ELi5ELi4EEEElEES1O_NS_35ThreadGroupTensorSliceTransfer_v4r1INS_15ThisThreadBlockILi256EEENS_16tensor_operation12element_wise11PassThroughES35_LNS_25InMemoryDataOperationEnumE0ENS5_IJLi8ELi256ELi16EEEENS5_IJLi8ELi32ELi1EEEENS5_IJLi1ELi0ELi2EEEESC_SC_RKS2Z_KS1O_S39_NS5_IJLi0ELi1ELi2EEEELi2ELi2ELi16ELi16ELi1ELi1ELb0ELb1ELi2EiEENS_13DynamicBufferILNS_16AddressSpaceEnumE1EKSC_lLb1ELNS_22AmdBufferCoherenceEnumE0EiEENSF_IJNS3F_ILS3G_2ESC_S1N_Lb1ELS3I_0EiEES3K_EEENSF_IJiiiEEENSE_INSF_IJNSG_INSF_IJiiiiEEENSF_IJiiiSN_EEELb0EEEEEES1T_S1V_S1U_lEENS_32ThreadwiseTensorSliceTransfer_v2ISD_SD_RKS3R_KS1X_NS5_IJLi8ELi1ELi1ELi32EEEENS5_IJLi1ELi2ELi0ELi3EEEELi3ELi32ELi0ELb1ELb0ELb0EEENS3F_ILS3G_1EKSD_lLb1ELS3I_0EiEENSF_IJNS_12StaticBufferILS3G_4ESD_Li256ELb1EEES42_EEES3N_NS_25StaticBufferTupleOfVectorILS3G_4EfLi64ELi4ELb1ELb0EEEEEvRKT1_RKT2_RT3_RKT4_RT5_RKT6_RKT7_RT8_RKT9_RT10_RKT11_RT12_iENKUlT_T0_E_clINSH_IiLi0EEESN_EEDaS51_S52_ENKUlS51_E_clISN_EEDaS51_EUlS51_E_EEvS51_EUlS51_E_EEvS51_
                                        ; -- End function
	.section	.AMDGPU.csdata,"",@progbits
; Function info:
; codeLenInByte = 133608
; NumSgprs: 36
; NumVgprs: 26
; NumAgprs: 4
; TotalNumVgprs: 32
; ScratchSize: 0
; MemoryBound: 1
	.text
	.p2align	2                               ; -- Begin function _ZNK2ck6detail7applierIiJLi0ELi1ELi2ELi3ELi4ELi5ELi6ELi7EEEclIZNKS_11static_fordINS_8SequenceIJLi1ELi8EEEENS5_IJLi0ELi1EEEEEclIZZZNKS_52BlockwiseGemmXdlops_pipeline_bpreshuffle_bdequant_v3ILNS_26BlockGemmPipelineSchedulerE0ELi256ENS_9f8_fnuz_tENS_7pk_i4_tESC_fNS_16TensorDescriptorINS_5TupleIJNS_5EmbedINSF_IJNS_17integral_constantIiLi8EEENSH_IiLi256EEENSH_IiLi16EEEEEENSF_IJSK_NSH_IiLi128EEENSH_IiLi1EEEEEELb0EEENS_3XorINSF_IJSJ_SI_EEELb1EEENS_11PassThroughISK_EENS_7UnMergeINSF_IJSI_SN_EEELb0EEENST_ISJ_EESU_NST_ISI_EENS_21Merge_v3_division_modINSF_IJSJ_SN_EEEEESU_EEENSF_IJNS5_IJLi0EEEENS5_IJLi2ELi1EEEENS5_IJLi3EEEENS5_IJLi5EEEENS5_IJLi4EEEENS5_IJLi6EEEENS5_IJLi7EEEENS5_IJLi9ELi8EEEENS5_IJLi10EEEEEEENSF_IJNS5_IJLi1ELi2ELi3EEEENS5_IJLi4ELi5EEEES19_NS5_IJLi7ELi8EEEENS5_IJLi9EEEES1C_NS5_IJLi11EEEENS5_IJLi12EEEENS5_IJLi13EEEEEEENS5_IJLi11ELi12ELi13EEEENSH_IlLl32768EEEEENSE_INSF_IJNSV_INSF_IJSI_SN_SN_NSH_IiLi32EEEEEELb0EEEEEENSF_IJS14_EEENSF_IJNS5_IJLi1ELi2ELi3ELi4EEEEEEES1U_NSH_IlLl256EEEEENSE_INSF_IJSP_SS_SU_SX_SY_SU_SZ_S12_SU_NS10_INSF_IJSI_SK_EEEEENSV_INSF_IJSI_NSH_IiLi2EEESK_EEELb0EEEEEENSF_IJS14_S15_S16_S17_S18_S19_S1A_S1B_S1C_NS5_IJLi11ELi13EEEES1J_EEENSF_IJS1E_S1F_S19_S1G_S1H_S1C_S1I_S1J_S1K_NS5_IJLi14EEEENS5_IJLi15ELi16ELi17EEEEEEENS5_IJLi15ELi16ELi17ELi14EEEES1N_EENSE_INSF_IJS1R_NS10_ISW_EES22_EEENSF_IJS14_NS5_IJLi1ELi3EEEENS5_IJLi2EEEEEEENSF_IJS1U_S17_NS5_IJLi6ELi7ELi8EEEEEEENS5_IJLi6ELi7ELi8ELi5EEEES1W_EELi16ELi32ELi256ELi256ELi128ELi16ELi16ELi8ELi8ELi32ELb0EE3RunILb1ELNS_10TailNumberE1ENSE_INSF_IJNSG_INSF_IJiiEEENSF_IJiSN_EEELb0EEENSV_IS2N_Lb0EEENST_IiEEEEENSF_IJS14_S2E_NS5_IJLi1EEEEEEENSF_IJNS5_IJLi1ELi2EEEENS5_IJLi3ELi4EEEES17_EEENS5_IJLi3ELi5ELi4EEEElEES1O_NS_35ThreadGroupTensorSliceTransfer_v4r1INS_15ThisThreadBlockILi256EEENS_16tensor_operation12element_wise11PassThroughES35_LNS_25InMemoryDataOperationEnumE0ENS5_IJLi8ELi256ELi16EEEENS5_IJLi8ELi32ELi1EEEENS5_IJLi1ELi0ELi2EEEESC_SC_RKS2Z_KS1O_S39_NS5_IJLi0ELi1ELi2EEEELi2ELi2ELi16ELi16ELi1ELi1ELb0ELb1ELi2EiEENS_13DynamicBufferILNS_16AddressSpaceEnumE1EKSC_lLb1ELNS_22AmdBufferCoherenceEnumE0EiEENSF_IJNS3F_ILS3G_2ESC_S1N_Lb1ELS3I_0EiEES3K_EEENSF_IJiiiEEENSE_INSF_IJNSG_INSF_IJiiiiEEENSF_IJiiiSN_EEELb0EEEEEES1T_S1V_S1U_lEENS_32ThreadwiseTensorSliceTransfer_v2ISD_SD_RKS3R_KS1X_NS5_IJLi8ELi1ELi1ELi32EEEENS5_IJLi1ELi2ELi0ELi3EEEELi3ELi32ELi0ELb1ELb0ELb0EEENS3F_ILS3G_1EKSD_lLb1ELS3I_0EiEENSF_IJNS_12StaticBufferILS3G_4ESD_Li256ELb1EEES42_EEES3N_NS_25StaticBufferTupleOfVectorILS3G_4EfLi64ELi4ELb1ELb0EEEEEvRKT1_RKT2_RT3_RKT4_RT5_RKT6_RKT7_RT8_RKT9_RT10_RKT11_RT12_iENKUlT_T0_E_clINSH_IiLi0EEESN_EEDaS51_S52_ENKUlS51_E_clIS20_EEDaS51_EUlS51_E_EEvS51_EUlS51_E_EEvS51_
	.type	_ZNK2ck6detail7applierIiJLi0ELi1ELi2ELi3ELi4ELi5ELi6ELi7EEEclIZNKS_11static_fordINS_8SequenceIJLi1ELi8EEEENS5_IJLi0ELi1EEEEEclIZZZNKS_52BlockwiseGemmXdlops_pipeline_bpreshuffle_bdequant_v3ILNS_26BlockGemmPipelineSchedulerE0ELi256ENS_9f8_fnuz_tENS_7pk_i4_tESC_fNS_16TensorDescriptorINS_5TupleIJNS_5EmbedINSF_IJNS_17integral_constantIiLi8EEENSH_IiLi256EEENSH_IiLi16EEEEEENSF_IJSK_NSH_IiLi128EEENSH_IiLi1EEEEEELb0EEENS_3XorINSF_IJSJ_SI_EEELb1EEENS_11PassThroughISK_EENS_7UnMergeINSF_IJSI_SN_EEELb0EEENST_ISJ_EESU_NST_ISI_EENS_21Merge_v3_division_modINSF_IJSJ_SN_EEEEESU_EEENSF_IJNS5_IJLi0EEEENS5_IJLi2ELi1EEEENS5_IJLi3EEEENS5_IJLi5EEEENS5_IJLi4EEEENS5_IJLi6EEEENS5_IJLi7EEEENS5_IJLi9ELi8EEEENS5_IJLi10EEEEEEENSF_IJNS5_IJLi1ELi2ELi3EEEENS5_IJLi4ELi5EEEES19_NS5_IJLi7ELi8EEEENS5_IJLi9EEEES1C_NS5_IJLi11EEEENS5_IJLi12EEEENS5_IJLi13EEEEEEENS5_IJLi11ELi12ELi13EEEENSH_IlLl32768EEEEENSE_INSF_IJNSV_INSF_IJSI_SN_SN_NSH_IiLi32EEEEEELb0EEEEEENSF_IJS14_EEENSF_IJNS5_IJLi1ELi2ELi3ELi4EEEEEEES1U_NSH_IlLl256EEEEENSE_INSF_IJSP_SS_SU_SX_SY_SU_SZ_S12_SU_NS10_INSF_IJSI_SK_EEEEENSV_INSF_IJSI_NSH_IiLi2EEESK_EEELb0EEEEEENSF_IJS14_S15_S16_S17_S18_S19_S1A_S1B_S1C_NS5_IJLi11ELi13EEEES1J_EEENSF_IJS1E_S1F_S19_S1G_S1H_S1C_S1I_S1J_S1K_NS5_IJLi14EEEENS5_IJLi15ELi16ELi17EEEEEEENS5_IJLi15ELi16ELi17ELi14EEEES1N_EENSE_INSF_IJS1R_NS10_ISW_EES22_EEENSF_IJS14_NS5_IJLi1ELi3EEEENS5_IJLi2EEEEEEENSF_IJS1U_S17_NS5_IJLi6ELi7ELi8EEEEEEENS5_IJLi6ELi7ELi8ELi5EEEES1W_EELi16ELi32ELi256ELi256ELi128ELi16ELi16ELi8ELi8ELi32ELb0EE3RunILb1ELNS_10TailNumberE1ENSE_INSF_IJNSG_INSF_IJiiEEENSF_IJiSN_EEELb0EEENSV_IS2N_Lb0EEENST_IiEEEEENSF_IJS14_S2E_NS5_IJLi1EEEEEEENSF_IJNS5_IJLi1ELi2EEEENS5_IJLi3ELi4EEEES17_EEENS5_IJLi3ELi5ELi4EEEElEES1O_NS_35ThreadGroupTensorSliceTransfer_v4r1INS_15ThisThreadBlockILi256EEENS_16tensor_operation12element_wise11PassThroughES35_LNS_25InMemoryDataOperationEnumE0ENS5_IJLi8ELi256ELi16EEEENS5_IJLi8ELi32ELi1EEEENS5_IJLi1ELi0ELi2EEEESC_SC_RKS2Z_KS1O_S39_NS5_IJLi0ELi1ELi2EEEELi2ELi2ELi16ELi16ELi1ELi1ELb0ELb1ELi2EiEENS_13DynamicBufferILNS_16AddressSpaceEnumE1EKSC_lLb1ELNS_22AmdBufferCoherenceEnumE0EiEENSF_IJNS3F_ILS3G_2ESC_S1N_Lb1ELS3I_0EiEES3K_EEENSF_IJiiiEEENSE_INSF_IJNSG_INSF_IJiiiiEEENSF_IJiiiSN_EEELb0EEEEEES1T_S1V_S1U_lEENS_32ThreadwiseTensorSliceTransfer_v2ISD_SD_RKS3R_KS1X_NS5_IJLi8ELi1ELi1ELi32EEEENS5_IJLi1ELi2ELi0ELi3EEEELi3ELi32ELi0ELb1ELb0ELb0EEENS3F_ILS3G_1EKSD_lLb1ELS3I_0EiEENSF_IJNS_12StaticBufferILS3G_4ESD_Li256ELb1EEES42_EEES3N_NS_25StaticBufferTupleOfVectorILS3G_4EfLi64ELi4ELb1ELb0EEEEEvRKT1_RKT2_RT3_RKT4_RT5_RKT6_RKT7_RT8_RKT9_RT10_RKT11_RT12_iENKUlT_T0_E_clINSH_IiLi0EEESN_EEDaS51_S52_ENKUlS51_E_clIS20_EEDaS51_EUlS51_E_EEvS51_EUlS51_E_EEvS51_,@function
_ZNK2ck6detail7applierIiJLi0ELi1ELi2ELi3ELi4ELi5ELi6ELi7EEEclIZNKS_11static_fordINS_8SequenceIJLi1ELi8EEEENS5_IJLi0ELi1EEEEEclIZZZNKS_52BlockwiseGemmXdlops_pipeline_bpreshuffle_bdequant_v3ILNS_26BlockGemmPipelineSchedulerE0ELi256ENS_9f8_fnuz_tENS_7pk_i4_tESC_fNS_16TensorDescriptorINS_5TupleIJNS_5EmbedINSF_IJNS_17integral_constantIiLi8EEENSH_IiLi256EEENSH_IiLi16EEEEEENSF_IJSK_NSH_IiLi128EEENSH_IiLi1EEEEEELb0EEENS_3XorINSF_IJSJ_SI_EEELb1EEENS_11PassThroughISK_EENS_7UnMergeINSF_IJSI_SN_EEELb0EEENST_ISJ_EESU_NST_ISI_EENS_21Merge_v3_division_modINSF_IJSJ_SN_EEEEESU_EEENSF_IJNS5_IJLi0EEEENS5_IJLi2ELi1EEEENS5_IJLi3EEEENS5_IJLi5EEEENS5_IJLi4EEEENS5_IJLi6EEEENS5_IJLi7EEEENS5_IJLi9ELi8EEEENS5_IJLi10EEEEEEENSF_IJNS5_IJLi1ELi2ELi3EEEENS5_IJLi4ELi5EEEES19_NS5_IJLi7ELi8EEEENS5_IJLi9EEEES1C_NS5_IJLi11EEEENS5_IJLi12EEEENS5_IJLi13EEEEEEENS5_IJLi11ELi12ELi13EEEENSH_IlLl32768EEEEENSE_INSF_IJNSV_INSF_IJSI_SN_SN_NSH_IiLi32EEEEEELb0EEEEEENSF_IJS14_EEENSF_IJNS5_IJLi1ELi2ELi3ELi4EEEEEEES1U_NSH_IlLl256EEEEENSE_INSF_IJSP_SS_SU_SX_SY_SU_SZ_S12_SU_NS10_INSF_IJSI_SK_EEEEENSV_INSF_IJSI_NSH_IiLi2EEESK_EEELb0EEEEEENSF_IJS14_S15_S16_S17_S18_S19_S1A_S1B_S1C_NS5_IJLi11ELi13EEEES1J_EEENSF_IJS1E_S1F_S19_S1G_S1H_S1C_S1I_S1J_S1K_NS5_IJLi14EEEENS5_IJLi15ELi16ELi17EEEEEEENS5_IJLi15ELi16ELi17ELi14EEEES1N_EENSE_INSF_IJS1R_NS10_ISW_EES22_EEENSF_IJS14_NS5_IJLi1ELi3EEEENS5_IJLi2EEEEEEENSF_IJS1U_S17_NS5_IJLi6ELi7ELi8EEEEEEENS5_IJLi6ELi7ELi8ELi5EEEES1W_EELi16ELi32ELi256ELi256ELi128ELi16ELi16ELi8ELi8ELi32ELb0EE3RunILb1ELNS_10TailNumberE1ENSE_INSF_IJNSG_INSF_IJiiEEENSF_IJiSN_EEELb0EEENSV_IS2N_Lb0EEENST_IiEEEEENSF_IJS14_S2E_NS5_IJLi1EEEEEEENSF_IJNS5_IJLi1ELi2EEEENS5_IJLi3ELi4EEEES17_EEENS5_IJLi3ELi5ELi4EEEElEES1O_NS_35ThreadGroupTensorSliceTransfer_v4r1INS_15ThisThreadBlockILi256EEENS_16tensor_operation12element_wise11PassThroughES35_LNS_25InMemoryDataOperationEnumE0ENS5_IJLi8ELi256ELi16EEEENS5_IJLi8ELi32ELi1EEEENS5_IJLi1ELi0ELi2EEEESC_SC_RKS2Z_KS1O_S39_NS5_IJLi0ELi1ELi2EEEELi2ELi2ELi16ELi16ELi1ELi1ELb0ELb1ELi2EiEENS_13DynamicBufferILNS_16AddressSpaceEnumE1EKSC_lLb1ELNS_22AmdBufferCoherenceEnumE0EiEENSF_IJNS3F_ILS3G_2ESC_S1N_Lb1ELS3I_0EiEES3K_EEENSF_IJiiiEEENSE_INSF_IJNSG_INSF_IJiiiiEEENSF_IJiiiSN_EEELb0EEEEEES1T_S1V_S1U_lEENS_32ThreadwiseTensorSliceTransfer_v2ISD_SD_RKS3R_KS1X_NS5_IJLi8ELi1ELi1ELi32EEEENS5_IJLi1ELi2ELi0ELi3EEEELi3ELi32ELi0ELb1ELb0ELb0EEENS3F_ILS3G_1EKSD_lLb1ELS3I_0EiEENSF_IJNS_12StaticBufferILS3G_4ESD_Li256ELb1EEES42_EEES3N_NS_25StaticBufferTupleOfVectorILS3G_4EfLi64ELi4ELb1ELb0EEEEEvRKT1_RKT2_RT3_RKT4_RT5_RKT6_RKT7_RT8_RKT9_RT10_RKT11_RT12_iENKUlT_T0_E_clINSH_IiLi0EEESN_EEDaS51_S52_ENKUlS51_E_clIS20_EEDaS51_EUlS51_E_EEvS51_EUlS51_E_EEvS51_: ; @_ZNK2ck6detail7applierIiJLi0ELi1ELi2ELi3ELi4ELi5ELi6ELi7EEEclIZNKS_11static_fordINS_8SequenceIJLi1ELi8EEEENS5_IJLi0ELi1EEEEEclIZZZNKS_52BlockwiseGemmXdlops_pipeline_bpreshuffle_bdequant_v3ILNS_26BlockGemmPipelineSchedulerE0ELi256ENS_9f8_fnuz_tENS_7pk_i4_tESC_fNS_16TensorDescriptorINS_5TupleIJNS_5EmbedINSF_IJNS_17integral_constantIiLi8EEENSH_IiLi256EEENSH_IiLi16EEEEEENSF_IJSK_NSH_IiLi128EEENSH_IiLi1EEEEEELb0EEENS_3XorINSF_IJSJ_SI_EEELb1EEENS_11PassThroughISK_EENS_7UnMergeINSF_IJSI_SN_EEELb0EEENST_ISJ_EESU_NST_ISI_EENS_21Merge_v3_division_modINSF_IJSJ_SN_EEEEESU_EEENSF_IJNS5_IJLi0EEEENS5_IJLi2ELi1EEEENS5_IJLi3EEEENS5_IJLi5EEEENS5_IJLi4EEEENS5_IJLi6EEEENS5_IJLi7EEEENS5_IJLi9ELi8EEEENS5_IJLi10EEEEEEENSF_IJNS5_IJLi1ELi2ELi3EEEENS5_IJLi4ELi5EEEES19_NS5_IJLi7ELi8EEEENS5_IJLi9EEEES1C_NS5_IJLi11EEEENS5_IJLi12EEEENS5_IJLi13EEEEEEENS5_IJLi11ELi12ELi13EEEENSH_IlLl32768EEEEENSE_INSF_IJNSV_INSF_IJSI_SN_SN_NSH_IiLi32EEEEEELb0EEEEEENSF_IJS14_EEENSF_IJNS5_IJLi1ELi2ELi3ELi4EEEEEEES1U_NSH_IlLl256EEEEENSE_INSF_IJSP_SS_SU_SX_SY_SU_SZ_S12_SU_NS10_INSF_IJSI_SK_EEEEENSV_INSF_IJSI_NSH_IiLi2EEESK_EEELb0EEEEEENSF_IJS14_S15_S16_S17_S18_S19_S1A_S1B_S1C_NS5_IJLi11ELi13EEEES1J_EEENSF_IJS1E_S1F_S19_S1G_S1H_S1C_S1I_S1J_S1K_NS5_IJLi14EEEENS5_IJLi15ELi16ELi17EEEEEEENS5_IJLi15ELi16ELi17ELi14EEEES1N_EENSE_INSF_IJS1R_NS10_ISW_EES22_EEENSF_IJS14_NS5_IJLi1ELi3EEEENS5_IJLi2EEEEEEENSF_IJS1U_S17_NS5_IJLi6ELi7ELi8EEEEEEENS5_IJLi6ELi7ELi8ELi5EEEES1W_EELi16ELi32ELi256ELi256ELi128ELi16ELi16ELi8ELi8ELi32ELb0EE3RunILb1ELNS_10TailNumberE1ENSE_INSF_IJNSG_INSF_IJiiEEENSF_IJiSN_EEELb0EEENSV_IS2N_Lb0EEENST_IiEEEEENSF_IJS14_S2E_NS5_IJLi1EEEEEEENSF_IJNS5_IJLi1ELi2EEEENS5_IJLi3ELi4EEEES17_EEENS5_IJLi3ELi5ELi4EEEElEES1O_NS_35ThreadGroupTensorSliceTransfer_v4r1INS_15ThisThreadBlockILi256EEENS_16tensor_operation12element_wise11PassThroughES35_LNS_25InMemoryDataOperationEnumE0ENS5_IJLi8ELi256ELi16EEEENS5_IJLi8ELi32ELi1EEEENS5_IJLi1ELi0ELi2EEEESC_SC_RKS2Z_KS1O_S39_NS5_IJLi0ELi1ELi2EEEELi2ELi2ELi16ELi16ELi1ELi1ELb0ELb1ELi2EiEENS_13DynamicBufferILNS_16AddressSpaceEnumE1EKSC_lLb1ELNS_22AmdBufferCoherenceEnumE0EiEENSF_IJNS3F_ILS3G_2ESC_S1N_Lb1ELS3I_0EiEES3K_EEENSF_IJiiiEEENSE_INSF_IJNSG_INSF_IJiiiiEEENSF_IJiiiSN_EEELb0EEEEEES1T_S1V_S1U_lEENS_32ThreadwiseTensorSliceTransfer_v2ISD_SD_RKS3R_KS1X_NS5_IJLi8ELi1ELi1ELi32EEEENS5_IJLi1ELi2ELi0ELi3EEEELi3ELi32ELi0ELb1ELb0ELb0EEENS3F_ILS3G_1EKSD_lLb1ELS3I_0EiEENSF_IJNS_12StaticBufferILS3G_4ESD_Li256ELb1EEES42_EEES3N_NS_25StaticBufferTupleOfVectorILS3G_4EfLi64ELi4ELb1ELb0EEEEEvRKT1_RKT2_RT3_RKT4_RT5_RKT6_RKT7_RT8_RKT9_RT10_RKT11_RT12_iENKUlT_T0_E_clINSH_IiLi0EEESN_EEDaS51_S52_ENKUlS51_E_clIS20_EEDaS51_EUlS51_E_EEvS51_EUlS51_E_EEvS51_
; %bb.0:
	s_waitcnt vmcnt(0) expcnt(0) lgkmcnt(0)
	flat_load_dwordx4 v[20:23], v[0:1] offset:16
	flat_load_dwordx2 v[18:19], v[0:1] offset:32
	s_movk_i32 s4, 0x7f
                                        ; implicit-def: $sgpr10
	s_waitcnt vmcnt(0) lgkmcnt(0)
	flat_load_dwordx4 v[14:17], v[20:21]
	flat_load_dwordx4 v[10:13], v[22:23]
	flat_load_dwordx4 v[6:9], v[20:21] offset:16
	flat_load_dwordx4 v[2:5], v[22:23] offset:16
	s_waitcnt vmcnt(0) lgkmcnt(0)
	v_cmp_gt_i16_sdwa s[6:7], v14, s4 src0_sel:BYTE_0 src1_sel:DWORD
	s_mov_b64 s[4:5], 0
	s_and_saveexec_b64 s[8:9], s[6:7]
	s_xor_b64 s[6:7], exec, s[8:9]
	s_cbranch_execnz .LBB30_2049
; %bb.1:
	s_or_saveexec_b64 s[6:7], s[6:7]
	v_mov_b32_e32 v20, s10
	s_xor_b64 exec, exec, s[6:7]
	s_cbranch_execnz .LBB30_2052
.LBB30_2:
	s_or_b64 exec, exec, s[6:7]
	s_and_saveexec_b64 s[6:7], s[4:5]
	s_cbranch_execz .LBB30_4
.LBB30_3:
	v_and_b32_e32 v20, 7, v14
	v_ffbh_u32_e32 v22, v20
	v_min_u32_e32 v22, 32, v22
	v_lshrrev_b16_e32 v21, 3, v14
	v_subrev_u32_e32 v23, 28, v22
	v_and_b32_e32 v21, 15, v21
	v_lshlrev_b32_e32 v23, v23, v14
	v_sub_u32_e32 v22, 29, v22
	v_and_b32_e32 v23, 7, v23
	v_cmp_eq_u16_e32 vcc, 0, v21
	v_cndmask_b32_e32 v20, v20, v23, vcc
	v_cndmask_b32_e32 v21, v21, v22, vcc
	v_lshlrev_b32_e32 v22, 24, v14
	v_mov_b32_e32 v23, 0x3b800000
	v_lshlrev_b32_e32 v20, 20, v20
	v_and_b32_e32 v22, 0x80000000, v22
	v_lshl_add_u32 v21, v21, 23, v23
	v_or3_b32 v20, v22, v21, v20
.LBB30_4:
	s_or_b64 exec, exec, s[6:7]
	s_movk_i32 s4, 0x7f
	v_cmp_gt_i16_sdwa s[6:7], v10, s4 src0_sel:BYTE_0 src1_sel:DWORD
	s_mov_b64 s[4:5], 0
                                        ; implicit-def: $sgpr10
	s_and_saveexec_b64 s[8:9], s[6:7]
	s_xor_b64 s[6:7], exec, s[8:9]
	s_cbranch_execnz .LBB30_2053
; %bb.5:
	s_or_saveexec_b64 s[6:7], s[6:7]
	v_mov_b32_e32 v21, s10
	s_xor_b64 exec, exec, s[6:7]
	s_cbranch_execnz .LBB30_2056
.LBB30_6:
	s_or_b64 exec, exec, s[6:7]
	s_and_saveexec_b64 s[6:7], s[4:5]
	s_cbranch_execz .LBB30_8
.LBB30_7:
	v_and_b32_e32 v21, 7, v10
	v_ffbh_u32_e32 v23, v21
	v_min_u32_e32 v23, 32, v23
	v_lshrrev_b16_e32 v22, 3, v10
	v_subrev_u32_e32 v24, 28, v23
	v_and_b32_e32 v22, 15, v22
	v_lshlrev_b32_e32 v24, v24, v10
	v_sub_u32_e32 v23, 29, v23
	v_and_b32_e32 v24, 7, v24
	v_cmp_eq_u16_e32 vcc, 0, v22
	v_cndmask_b32_e32 v21, v21, v24, vcc
	v_cndmask_b32_e32 v22, v22, v23, vcc
	v_lshlrev_b32_e32 v23, 24, v10
	v_mov_b32_e32 v24, 0x3b800000
	v_lshlrev_b32_e32 v21, 20, v21
	v_and_b32_e32 v23, 0x80000000, v23
	v_lshl_add_u32 v22, v22, 23, v24
	v_or3_b32 v21, v23, v22, v21
.LBB30_8:
	s_or_b64 exec, exec, s[6:7]
	flat_load_dwordx4 a[0:3], v[18:19] offset:256
	s_movk_i32 s4, 0x7f
                                        ; implicit-def: $sgpr10
	s_waitcnt vmcnt(0) lgkmcnt(0)
	v_mfma_f32_16x16x4f32 a[0:3], v20, v21, a[0:3]
	v_lshrrev_b32_e32 v21, 8, v14
	v_cmp_gt_i16_sdwa s[6:7], v21, s4 src0_sel:BYTE_0 src1_sel:DWORD
	s_mov_b64 s[4:5], 0
	s_and_saveexec_b64 s[8:9], s[6:7]
	s_xor_b64 s[6:7], exec, s[8:9]
	s_cbranch_execnz .LBB30_2057
; %bb.9:
	s_or_saveexec_b64 s[6:7], s[6:7]
	v_mov_b32_e32 v20, s10
	s_xor_b64 exec, exec, s[6:7]
	s_cbranch_execnz .LBB30_2060
.LBB30_10:
	s_or_b64 exec, exec, s[6:7]
	s_and_saveexec_b64 s[6:7], s[4:5]
	s_cbranch_execz .LBB30_12
.LBB30_11:
	v_bfe_u32 v20, v14, 8, 3
	v_ffbh_u32_e32 v23, v20
	v_min_u32_e32 v23, 32, v23
	v_lshrrev_b16_e32 v22, 3, v21
	v_subrev_u32_e32 v24, 28, v23
	v_and_b32_e32 v22, 15, v22
	v_lshlrev_b32_e32 v21, v24, v21
	v_sub_u32_e32 v23, 29, v23
	v_and_b32_e32 v21, 7, v21
	v_cmp_eq_u16_e32 vcc, 0, v22
	v_cndmask_b32_e32 v20, v20, v21, vcc
	v_cndmask_b32_e32 v21, v22, v23, vcc
	v_lshlrev_b32_e32 v22, 16, v14
	v_mov_b32_e32 v23, 0x3b800000
	v_lshlrev_b32_e32 v20, 20, v20
	v_and_b32_e32 v22, 0x80000000, v22
	v_lshl_add_u32 v21, v21, 23, v23
	v_or3_b32 v20, v22, v21, v20
.LBB30_12:
	s_or_b64 exec, exec, s[6:7]
	v_lshrrev_b32_e32 v21, 8, v10
	s_movk_i32 s4, 0x7f
	v_cmp_gt_i16_sdwa s[6:7], v21, s4 src0_sel:BYTE_0 src1_sel:DWORD
	s_mov_b64 s[4:5], 0
                                        ; implicit-def: $sgpr10
	s_and_saveexec_b64 s[8:9], s[6:7]
	s_xor_b64 s[6:7], exec, s[8:9]
	s_cbranch_execnz .LBB30_2061
; %bb.13:
	s_or_saveexec_b64 s[6:7], s[6:7]
	v_mov_b32_e32 v22, s10
	s_xor_b64 exec, exec, s[6:7]
	s_cbranch_execnz .LBB30_2064
.LBB30_14:
	s_or_b64 exec, exec, s[6:7]
	s_and_saveexec_b64 s[6:7], s[4:5]
	s_cbranch_execz .LBB30_16
.LBB30_15:
	v_bfe_u32 v22, v10, 8, 3
	v_ffbh_u32_e32 v24, v22
	v_min_u32_e32 v24, 32, v24
	v_lshrrev_b16_e32 v23, 3, v21
	v_subrev_u32_e32 v25, 28, v24
	v_and_b32_e32 v23, 15, v23
	v_lshlrev_b32_e32 v21, v25, v21
	v_sub_u32_e32 v24, 29, v24
	v_and_b32_e32 v21, 7, v21
	v_cmp_eq_u16_e32 vcc, 0, v23
	v_cndmask_b32_e32 v21, v22, v21, vcc
	v_cndmask_b32_e32 v22, v23, v24, vcc
	v_lshlrev_b32_e32 v23, 16, v10
	v_mov_b32_e32 v24, 0x3b800000
	v_lshlrev_b32_e32 v21, 20, v21
	v_and_b32_e32 v23, 0x80000000, v23
	v_lshl_add_u32 v22, v22, 23, v24
	v_or3_b32 v22, v23, v22, v21
.LBB30_16:
	s_or_b64 exec, exec, s[6:7]
	s_nop 0
	v_mfma_f32_16x16x4f32 a[0:3], v20, v22, a[0:3]
	s_movk_i32 s4, 0xff
	v_and_b32_sdwa v21, v14, s4 dst_sel:DWORD dst_unused:UNUSED_PAD src0_sel:WORD_1 src1_sel:DWORD
	s_movk_i32 s4, 0x7f
	v_cmp_lt_i16_e32 vcc, s4, v21
	s_mov_b64 s[4:5], 0
                                        ; implicit-def: $sgpr10
	s_and_saveexec_b64 s[6:7], vcc
	s_xor_b64 s[6:7], exec, s[6:7]
	s_cbranch_execnz .LBB30_2065
; %bb.17:
	s_or_saveexec_b64 s[6:7], s[6:7]
	v_mov_b32_e32 v20, s10
	s_xor_b64 exec, exec, s[6:7]
	s_cbranch_execnz .LBB30_2068
.LBB30_18:
	s_or_b64 exec, exec, s[6:7]
	s_and_saveexec_b64 s[6:7], s[4:5]
	s_cbranch_execz .LBB30_20
.LBB30_19:
	v_bfe_u32 v20, v14, 16, 3
	v_ffbh_u32_e32 v23, v20
	v_min_u32_e32 v23, 32, v23
	v_lshrrev_b32_e32 v21, 19, v14
	v_subrev_u32_e32 v24, 28, v23
	v_and_b32_e32 v21, 15, v21
	v_lshlrev_b32_sdwa v24, v24, v14 dst_sel:DWORD dst_unused:UNUSED_PAD src0_sel:DWORD src1_sel:WORD_1
	v_bfe_u32 v22, v14, 19, 4
	v_sub_u32_e32 v23, 29, v23
	v_and_b32_e32 v24, 7, v24
	v_cmp_eq_u16_e32 vcc, 0, v21
	v_cndmask_b32_e32 v20, v20, v24, vcc
	v_cndmask_b32_e32 v21, v22, v23, vcc
	v_lshlrev_b32_e32 v22, 8, v14
	v_mov_b32_e32 v23, 0x3b800000
	v_lshlrev_b32_e32 v20, 20, v20
	v_and_b32_e32 v22, 0x80000000, v22
	v_lshl_add_u32 v21, v21, 23, v23
	v_or3_b32 v20, v22, v21, v20
.LBB30_20:
	s_or_b64 exec, exec, s[6:7]
	s_movk_i32 s4, 0xff
	v_and_b32_sdwa v21, v10, s4 dst_sel:DWORD dst_unused:UNUSED_PAD src0_sel:WORD_1 src1_sel:DWORD
	s_movk_i32 s4, 0x7f
	v_cmp_lt_i16_e32 vcc, s4, v21
	s_mov_b64 s[4:5], 0
                                        ; implicit-def: $sgpr10
	s_and_saveexec_b64 s[6:7], vcc
	s_xor_b64 s[6:7], exec, s[6:7]
	s_cbranch_execnz .LBB30_2069
; %bb.21:
	s_or_saveexec_b64 s[6:7], s[6:7]
	v_mov_b32_e32 v22, s10
	s_xor_b64 exec, exec, s[6:7]
	s_cbranch_execnz .LBB30_2072
.LBB30_22:
	s_or_b64 exec, exec, s[6:7]
	s_and_saveexec_b64 s[6:7], s[4:5]
	s_cbranch_execz .LBB30_24
.LBB30_23:
	v_bfe_u32 v21, v10, 16, 3
	v_ffbh_u32_e32 v24, v21
	v_min_u32_e32 v24, 32, v24
	v_lshrrev_b32_e32 v22, 19, v10
	v_subrev_u32_e32 v25, 28, v24
	v_and_b32_e32 v22, 15, v22
	v_lshlrev_b32_sdwa v25, v25, v10 dst_sel:DWORD dst_unused:UNUSED_PAD src0_sel:DWORD src1_sel:WORD_1
	v_bfe_u32 v23, v10, 19, 4
	v_sub_u32_e32 v24, 29, v24
	v_and_b32_e32 v25, 7, v25
	v_cmp_eq_u16_e32 vcc, 0, v22
	v_cndmask_b32_e32 v21, v21, v25, vcc
	v_cndmask_b32_e32 v22, v23, v24, vcc
	v_lshlrev_b32_e32 v23, 8, v10
	v_mov_b32_e32 v24, 0x3b800000
	v_lshlrev_b32_e32 v21, 20, v21
	v_and_b32_e32 v23, 0x80000000, v23
	v_lshl_add_u32 v22, v22, 23, v24
	v_or3_b32 v22, v23, v22, v21
.LBB30_24:
	s_or_b64 exec, exec, s[6:7]
	s_nop 0
	v_mfma_f32_16x16x4f32 a[0:3], v20, v22, a[0:3]
	s_movk_i32 s4, 0x7f
	v_cmp_gt_i16_sdwa s[6:7], v14, s4 src0_sel:BYTE_3 src1_sel:DWORD
	s_mov_b64 s[4:5], 0
                                        ; implicit-def: $sgpr10
	s_and_saveexec_b64 s[8:9], s[6:7]
	s_xor_b64 s[6:7], exec, s[8:9]
	s_cbranch_execnz .LBB30_2073
; %bb.25:
	s_or_saveexec_b64 s[6:7], s[6:7]
	v_mov_b32_e32 v20, s10
	s_xor_b64 exec, exec, s[6:7]
	s_cbranch_execnz .LBB30_2076
.LBB30_26:
	s_or_b64 exec, exec, s[6:7]
	s_and_saveexec_b64 s[6:7], s[4:5]
	s_cbranch_execz .LBB30_28
.LBB30_27:
	v_bfe_u32 v20, v14, 24, 3
	v_ffbh_u32_e32 v24, v20
	v_min_u32_e32 v24, 32, v24
	v_lshrrev_b32_e32 v22, 27, v14
	v_subrev_u32_e32 v25, 28, v24
	v_and_b32_e32 v21, 0x80000000, v14
	v_and_b32_e32 v22, 15, v22
	v_bfe_u32 v23, v14, 27, 4
	v_lshlrev_b32_sdwa v14, v25, v14 dst_sel:DWORD dst_unused:UNUSED_PAD src0_sel:DWORD src1_sel:BYTE_3
	v_sub_u32_e32 v24, 29, v24
	v_and_b32_e32 v14, 7, v14
	v_cmp_eq_u16_e32 vcc, 0, v22
	v_cndmask_b32_e32 v14, v20, v14, vcc
	v_cndmask_b32_e32 v20, v23, v24, vcc
	v_mov_b32_e32 v22, 0x3b800000
	v_lshlrev_b32_e32 v14, 20, v14
	v_lshl_add_u32 v20, v20, 23, v22
	v_or3_b32 v20, v21, v20, v14
.LBB30_28:
	s_or_b64 exec, exec, s[6:7]
	s_movk_i32 s4, 0x7f
	v_cmp_gt_i16_sdwa s[6:7], v10, s4 src0_sel:BYTE_3 src1_sel:DWORD
	s_mov_b64 s[4:5], 0
                                        ; implicit-def: $sgpr10
	s_and_saveexec_b64 s[8:9], s[6:7]
	s_xor_b64 s[6:7], exec, s[8:9]
	s_cbranch_execnz .LBB30_2077
; %bb.29:
	s_or_saveexec_b64 s[6:7], s[6:7]
	v_mov_b32_e32 v14, s10
	s_xor_b64 exec, exec, s[6:7]
	s_cbranch_execnz .LBB30_2080
.LBB30_30:
	s_or_b64 exec, exec, s[6:7]
	s_and_saveexec_b64 s[6:7], s[4:5]
	s_cbranch_execz .LBB30_32
.LBB30_31:
	v_bfe_u32 v14, v10, 24, 3
	v_ffbh_u32_e32 v24, v14
	v_min_u32_e32 v24, 32, v24
	v_lshrrev_b32_e32 v22, 27, v10
	v_subrev_u32_e32 v25, 28, v24
	v_and_b32_e32 v21, 0x80000000, v10
	v_and_b32_e32 v22, 15, v22
	v_bfe_u32 v23, v10, 27, 4
	v_lshlrev_b32_sdwa v10, v25, v10 dst_sel:DWORD dst_unused:UNUSED_PAD src0_sel:DWORD src1_sel:BYTE_3
	v_sub_u32_e32 v24, 29, v24
	v_and_b32_e32 v10, 7, v10
	v_cmp_eq_u16_e32 vcc, 0, v22
	v_cndmask_b32_e32 v10, v14, v10, vcc
	v_cndmask_b32_e32 v14, v23, v24, vcc
	v_mov_b32_e32 v22, 0x3b800000
	v_lshlrev_b32_e32 v10, 20, v10
	v_lshl_add_u32 v14, v14, 23, v22
	v_or3_b32 v14, v21, v14, v10
.LBB30_32:
	s_or_b64 exec, exec, s[6:7]
	s_nop 0
	v_mfma_f32_16x16x4f32 a[0:3], v20, v14, a[0:3]
	s_movk_i32 s4, 0x7f
	v_cmp_gt_i16_sdwa s[6:7], v15, s4 src0_sel:BYTE_0 src1_sel:DWORD
	s_mov_b64 s[4:5], 0
                                        ; implicit-def: $sgpr10
	s_and_saveexec_b64 s[8:9], s[6:7]
	s_xor_b64 s[6:7], exec, s[8:9]
	s_cbranch_execnz .LBB30_2081
; %bb.33:
	s_or_saveexec_b64 s[6:7], s[6:7]
	v_mov_b32_e32 v10, s10
	s_xor_b64 exec, exec, s[6:7]
	s_cbranch_execnz .LBB30_2084
.LBB30_34:
	s_or_b64 exec, exec, s[6:7]
	s_and_saveexec_b64 s[6:7], s[4:5]
	s_cbranch_execz .LBB30_36
.LBB30_35:
	v_and_b32_e32 v10, 7, v15
	v_ffbh_u32_e32 v20, v10
	v_min_u32_e32 v20, 32, v20
	v_lshrrev_b16_e32 v14, 3, v15
	v_subrev_u32_e32 v21, 28, v20
	v_and_b32_e32 v14, 15, v14
	v_lshlrev_b32_e32 v21, v21, v15
	v_sub_u32_e32 v20, 29, v20
	v_and_b32_e32 v21, 7, v21
	v_cmp_eq_u16_e32 vcc, 0, v14
	v_cndmask_b32_e32 v10, v10, v21, vcc
	v_cndmask_b32_e32 v14, v14, v20, vcc
	v_lshlrev_b32_e32 v20, 24, v15
	v_mov_b32_e32 v21, 0x3b800000
	v_lshlrev_b32_e32 v10, 20, v10
	v_and_b32_e32 v20, 0x80000000, v20
	v_lshl_add_u32 v14, v14, 23, v21
	v_or3_b32 v10, v20, v14, v10
.LBB30_36:
	s_or_b64 exec, exec, s[6:7]
	s_movk_i32 s4, 0x7f
	v_cmp_gt_i16_sdwa s[6:7], v11, s4 src0_sel:BYTE_0 src1_sel:DWORD
	s_mov_b64 s[4:5], 0
                                        ; implicit-def: $sgpr10
	s_and_saveexec_b64 s[8:9], s[6:7]
	s_xor_b64 s[6:7], exec, s[8:9]
	s_cbranch_execnz .LBB30_2085
; %bb.37:
	s_or_saveexec_b64 s[6:7], s[6:7]
	v_mov_b32_e32 v14, s10
	s_xor_b64 exec, exec, s[6:7]
	s_cbranch_execnz .LBB30_2088
.LBB30_38:
	s_or_b64 exec, exec, s[6:7]
	s_and_saveexec_b64 s[6:7], s[4:5]
	s_cbranch_execz .LBB30_40
.LBB30_39:
	v_and_b32_e32 v14, 7, v11
	v_ffbh_u32_e32 v21, v14
	v_min_u32_e32 v21, 32, v21
	v_lshrrev_b16_e32 v20, 3, v11
	v_subrev_u32_e32 v22, 28, v21
	v_and_b32_e32 v20, 15, v20
	v_lshlrev_b32_e32 v22, v22, v11
	v_sub_u32_e32 v21, 29, v21
	v_and_b32_e32 v22, 7, v22
	v_cmp_eq_u16_e32 vcc, 0, v20
	v_cndmask_b32_e32 v14, v14, v22, vcc
	v_cndmask_b32_e32 v20, v20, v21, vcc
	v_lshlrev_b32_e32 v21, 24, v11
	v_mov_b32_e32 v22, 0x3b800000
	v_lshlrev_b32_e32 v14, 20, v14
	v_and_b32_e32 v21, 0x80000000, v21
	v_lshl_add_u32 v20, v20, 23, v22
	v_or3_b32 v14, v21, v20, v14
.LBB30_40:
	s_or_b64 exec, exec, s[6:7]
	s_nop 0
	v_mfma_f32_16x16x4f32 a[0:3], v10, v14, a[0:3]
	v_lshrrev_b32_e32 v14, 8, v15
	s_movk_i32 s4, 0x7f
	v_cmp_gt_i16_sdwa s[6:7], v14, s4 src0_sel:BYTE_0 src1_sel:DWORD
	s_mov_b64 s[4:5], 0
                                        ; implicit-def: $sgpr10
	s_and_saveexec_b64 s[8:9], s[6:7]
	s_xor_b64 s[6:7], exec, s[8:9]
	s_cbranch_execnz .LBB30_2089
; %bb.41:
	s_or_saveexec_b64 s[6:7], s[6:7]
	v_mov_b32_e32 v10, s10
	s_xor_b64 exec, exec, s[6:7]
	s_cbranch_execnz .LBB30_2092
.LBB30_42:
	s_or_b64 exec, exec, s[6:7]
	s_and_saveexec_b64 s[6:7], s[4:5]
	s_cbranch_execz .LBB30_44
.LBB30_43:
	v_bfe_u32 v10, v15, 8, 3
	v_ffbh_u32_e32 v21, v10
	v_min_u32_e32 v21, 32, v21
	v_lshrrev_b16_e32 v20, 3, v14
	v_subrev_u32_e32 v22, 28, v21
	v_and_b32_e32 v20, 15, v20
	v_lshlrev_b32_e32 v14, v22, v14
	v_sub_u32_e32 v21, 29, v21
	v_and_b32_e32 v14, 7, v14
	v_cmp_eq_u16_e32 vcc, 0, v20
	v_cndmask_b32_e32 v10, v10, v14, vcc
	v_cndmask_b32_e32 v14, v20, v21, vcc
	v_lshlrev_b32_e32 v20, 16, v15
	v_mov_b32_e32 v21, 0x3b800000
	v_lshlrev_b32_e32 v10, 20, v10
	v_and_b32_e32 v20, 0x80000000, v20
	v_lshl_add_u32 v14, v14, 23, v21
	v_or3_b32 v10, v20, v14, v10
.LBB30_44:
	s_or_b64 exec, exec, s[6:7]
	v_lshrrev_b32_e32 v14, 8, v11
	s_movk_i32 s4, 0x7f
	v_cmp_gt_i16_sdwa s[6:7], v14, s4 src0_sel:BYTE_0 src1_sel:DWORD
	s_mov_b64 s[4:5], 0
                                        ; implicit-def: $sgpr10
	s_and_saveexec_b64 s[8:9], s[6:7]
	s_xor_b64 s[6:7], exec, s[8:9]
	s_cbranch_execnz .LBB30_2093
; %bb.45:
	s_or_saveexec_b64 s[6:7], s[6:7]
	v_mov_b32_e32 v20, s10
	s_xor_b64 exec, exec, s[6:7]
	s_cbranch_execnz .LBB30_2096
.LBB30_46:
	s_or_b64 exec, exec, s[6:7]
	s_and_saveexec_b64 s[6:7], s[4:5]
	s_cbranch_execz .LBB30_48
.LBB30_47:
	v_bfe_u32 v20, v11, 8, 3
	v_ffbh_u32_e32 v22, v20
	v_min_u32_e32 v22, 32, v22
	v_lshrrev_b16_e32 v21, 3, v14
	v_subrev_u32_e32 v23, 28, v22
	v_and_b32_e32 v21, 15, v21
	v_lshlrev_b32_e32 v14, v23, v14
	v_sub_u32_e32 v22, 29, v22
	v_and_b32_e32 v14, 7, v14
	v_cmp_eq_u16_e32 vcc, 0, v21
	v_cndmask_b32_e32 v14, v20, v14, vcc
	v_cndmask_b32_e32 v20, v21, v22, vcc
	v_lshlrev_b32_e32 v21, 16, v11
	v_mov_b32_e32 v22, 0x3b800000
	v_lshlrev_b32_e32 v14, 20, v14
	v_and_b32_e32 v21, 0x80000000, v21
	v_lshl_add_u32 v20, v20, 23, v22
	v_or3_b32 v20, v21, v20, v14
.LBB30_48:
	s_or_b64 exec, exec, s[6:7]
	s_nop 0
	v_mfma_f32_16x16x4f32 a[0:3], v10, v20, a[0:3]
	s_movk_i32 s4, 0xff
	v_and_b32_sdwa v14, v15, s4 dst_sel:DWORD dst_unused:UNUSED_PAD src0_sel:WORD_1 src1_sel:DWORD
	s_movk_i32 s4, 0x7f
	v_cmp_lt_i16_e32 vcc, s4, v14
	s_mov_b64 s[4:5], 0
                                        ; implicit-def: $sgpr10
	s_and_saveexec_b64 s[6:7], vcc
	s_xor_b64 s[6:7], exec, s[6:7]
	s_cbranch_execnz .LBB30_2097
; %bb.49:
	s_or_saveexec_b64 s[6:7], s[6:7]
	v_mov_b32_e32 v10, s10
	s_xor_b64 exec, exec, s[6:7]
	s_cbranch_execnz .LBB30_2100
.LBB30_50:
	s_or_b64 exec, exec, s[6:7]
	s_and_saveexec_b64 s[6:7], s[4:5]
	s_cbranch_execz .LBB30_52
.LBB30_51:
	v_bfe_u32 v10, v15, 16, 3
	v_ffbh_u32_e32 v21, v10
	v_min_u32_e32 v21, 32, v21
	v_lshrrev_b32_e32 v14, 19, v15
	v_subrev_u32_e32 v22, 28, v21
	v_and_b32_e32 v14, 15, v14
	v_lshlrev_b32_sdwa v22, v22, v15 dst_sel:DWORD dst_unused:UNUSED_PAD src0_sel:DWORD src1_sel:WORD_1
	v_bfe_u32 v20, v15, 19, 4
	v_sub_u32_e32 v21, 29, v21
	v_and_b32_e32 v22, 7, v22
	v_cmp_eq_u16_e32 vcc, 0, v14
	v_cndmask_b32_e32 v10, v10, v22, vcc
	v_cndmask_b32_e32 v14, v20, v21, vcc
	v_lshlrev_b32_e32 v20, 8, v15
	v_mov_b32_e32 v21, 0x3b800000
	v_lshlrev_b32_e32 v10, 20, v10
	v_and_b32_e32 v20, 0x80000000, v20
	v_lshl_add_u32 v14, v14, 23, v21
	v_or3_b32 v10, v20, v14, v10
.LBB30_52:
	s_or_b64 exec, exec, s[6:7]
	s_movk_i32 s4, 0xff
	v_and_b32_sdwa v14, v11, s4 dst_sel:DWORD dst_unused:UNUSED_PAD src0_sel:WORD_1 src1_sel:DWORD
	s_movk_i32 s4, 0x7f
	v_cmp_lt_i16_e32 vcc, s4, v14
	s_mov_b64 s[4:5], 0
                                        ; implicit-def: $sgpr10
	s_and_saveexec_b64 s[6:7], vcc
	s_xor_b64 s[6:7], exec, s[6:7]
	s_cbranch_execnz .LBB30_2101
; %bb.53:
	s_or_saveexec_b64 s[6:7], s[6:7]
	v_mov_b32_e32 v20, s10
	s_xor_b64 exec, exec, s[6:7]
	s_cbranch_execnz .LBB30_2104
.LBB30_54:
	s_or_b64 exec, exec, s[6:7]
	s_and_saveexec_b64 s[6:7], s[4:5]
	s_cbranch_execz .LBB30_56
.LBB30_55:
	v_bfe_u32 v14, v11, 16, 3
	v_ffbh_u32_e32 v22, v14
	v_min_u32_e32 v22, 32, v22
	v_lshrrev_b32_e32 v20, 19, v11
	v_subrev_u32_e32 v23, 28, v22
	v_and_b32_e32 v20, 15, v20
	v_lshlrev_b32_sdwa v23, v23, v11 dst_sel:DWORD dst_unused:UNUSED_PAD src0_sel:DWORD src1_sel:WORD_1
	v_bfe_u32 v21, v11, 19, 4
	v_sub_u32_e32 v22, 29, v22
	v_and_b32_e32 v23, 7, v23
	v_cmp_eq_u16_e32 vcc, 0, v20
	v_cndmask_b32_e32 v14, v14, v23, vcc
	v_cndmask_b32_e32 v20, v21, v22, vcc
	v_lshlrev_b32_e32 v21, 8, v11
	v_mov_b32_e32 v22, 0x3b800000
	v_lshlrev_b32_e32 v14, 20, v14
	v_and_b32_e32 v21, 0x80000000, v21
	v_lshl_add_u32 v20, v20, 23, v22
	v_or3_b32 v20, v21, v20, v14
.LBB30_56:
	s_or_b64 exec, exec, s[6:7]
	s_nop 0
	v_mfma_f32_16x16x4f32 a[0:3], v10, v20, a[0:3]
	s_movk_i32 s4, 0x7f
	v_cmp_gt_i16_sdwa s[6:7], v15, s4 src0_sel:BYTE_3 src1_sel:DWORD
	s_mov_b64 s[4:5], 0
                                        ; implicit-def: $sgpr10
	s_and_saveexec_b64 s[8:9], s[6:7]
	s_xor_b64 s[6:7], exec, s[8:9]
	s_cbranch_execnz .LBB30_2105
; %bb.57:
	s_or_saveexec_b64 s[6:7], s[6:7]
	v_mov_b32_e32 v10, s10
	s_xor_b64 exec, exec, s[6:7]
	s_cbranch_execnz .LBB30_2108
.LBB30_58:
	s_or_b64 exec, exec, s[6:7]
	s_and_saveexec_b64 s[6:7], s[4:5]
	s_cbranch_execz .LBB30_60
.LBB30_59:
	v_bfe_u32 v10, v15, 24, 3
	v_ffbh_u32_e32 v22, v10
	v_min_u32_e32 v22, 32, v22
	v_lshrrev_b32_e32 v20, 27, v15
	v_subrev_u32_e32 v23, 28, v22
	v_and_b32_e32 v14, 0x80000000, v15
	v_and_b32_e32 v20, 15, v20
	v_bfe_u32 v21, v15, 27, 4
	v_lshlrev_b32_sdwa v15, v23, v15 dst_sel:DWORD dst_unused:UNUSED_PAD src0_sel:DWORD src1_sel:BYTE_3
	v_sub_u32_e32 v22, 29, v22
	v_and_b32_e32 v15, 7, v15
	v_cmp_eq_u16_e32 vcc, 0, v20
	v_cndmask_b32_e32 v10, v10, v15, vcc
	v_cndmask_b32_e32 v15, v21, v22, vcc
	v_mov_b32_e32 v20, 0x3b800000
	v_lshlrev_b32_e32 v10, 20, v10
	v_lshl_add_u32 v15, v15, 23, v20
	v_or3_b32 v10, v14, v15, v10
.LBB30_60:
	s_or_b64 exec, exec, s[6:7]
	s_movk_i32 s4, 0x7f
	v_cmp_gt_i16_sdwa s[6:7], v11, s4 src0_sel:BYTE_3 src1_sel:DWORD
	s_mov_b64 s[4:5], 0
                                        ; implicit-def: $sgpr10
	s_and_saveexec_b64 s[8:9], s[6:7]
	s_xor_b64 s[6:7], exec, s[8:9]
	s_cbranch_execnz .LBB30_2109
; %bb.61:
	s_or_saveexec_b64 s[6:7], s[6:7]
	v_mov_b32_e32 v14, s10
	s_xor_b64 exec, exec, s[6:7]
	s_cbranch_execnz .LBB30_2112
.LBB30_62:
	s_or_b64 exec, exec, s[6:7]
	s_and_saveexec_b64 s[6:7], s[4:5]
	s_cbranch_execz .LBB30_64
.LBB30_63:
	v_bfe_u32 v14, v11, 24, 3
	v_ffbh_u32_e32 v22, v14
	v_min_u32_e32 v22, 32, v22
	v_lshrrev_b32_e32 v20, 27, v11
	v_subrev_u32_e32 v23, 28, v22
	v_and_b32_e32 v15, 0x80000000, v11
	v_and_b32_e32 v20, 15, v20
	v_bfe_u32 v21, v11, 27, 4
	v_lshlrev_b32_sdwa v11, v23, v11 dst_sel:DWORD dst_unused:UNUSED_PAD src0_sel:DWORD src1_sel:BYTE_3
	v_sub_u32_e32 v22, 29, v22
	v_and_b32_e32 v11, 7, v11
	v_cmp_eq_u16_e32 vcc, 0, v20
	v_cndmask_b32_e32 v11, v14, v11, vcc
	v_cndmask_b32_e32 v14, v21, v22, vcc
	v_mov_b32_e32 v20, 0x3b800000
	v_lshlrev_b32_e32 v11, 20, v11
	v_lshl_add_u32 v14, v14, 23, v20
	v_or3_b32 v14, v15, v14, v11
.LBB30_64:
	s_or_b64 exec, exec, s[6:7]
	s_nop 0
	v_mfma_f32_16x16x4f32 a[0:3], v10, v14, a[0:3]
	s_movk_i32 s4, 0x7f
	v_cmp_gt_i16_sdwa s[6:7], v16, s4 src0_sel:BYTE_0 src1_sel:DWORD
	s_mov_b64 s[4:5], 0
                                        ; implicit-def: $sgpr10
	s_and_saveexec_b64 s[8:9], s[6:7]
	s_xor_b64 s[6:7], exec, s[8:9]
	s_cbranch_execnz .LBB30_2113
; %bb.65:
	s_or_saveexec_b64 s[6:7], s[6:7]
	v_mov_b32_e32 v10, s10
	s_xor_b64 exec, exec, s[6:7]
	s_cbranch_execnz .LBB30_2116
.LBB30_66:
	s_or_b64 exec, exec, s[6:7]
	s_and_saveexec_b64 s[6:7], s[4:5]
	s_cbranch_execz .LBB30_68
.LBB30_67:
	v_and_b32_e32 v10, 7, v16
	v_ffbh_u32_e32 v14, v10
	v_min_u32_e32 v14, 32, v14
	v_lshrrev_b16_e32 v11, 3, v16
	v_subrev_u32_e32 v15, 28, v14
	v_and_b32_e32 v11, 15, v11
	v_lshlrev_b32_e32 v15, v15, v16
	v_sub_u32_e32 v14, 29, v14
	v_and_b32_e32 v15, 7, v15
	v_cmp_eq_u16_e32 vcc, 0, v11
	v_cndmask_b32_e32 v10, v10, v15, vcc
	v_cndmask_b32_e32 v11, v11, v14, vcc
	v_lshlrev_b32_e32 v14, 24, v16
	v_mov_b32_e32 v15, 0x3b800000
	v_lshlrev_b32_e32 v10, 20, v10
	v_and_b32_e32 v14, 0x80000000, v14
	v_lshl_add_u32 v11, v11, 23, v15
	v_or3_b32 v10, v14, v11, v10
.LBB30_68:
	s_or_b64 exec, exec, s[6:7]
	s_movk_i32 s4, 0x7f
	v_cmp_gt_i16_sdwa s[6:7], v12, s4 src0_sel:BYTE_0 src1_sel:DWORD
	s_mov_b64 s[4:5], 0
                                        ; implicit-def: $sgpr10
	s_and_saveexec_b64 s[8:9], s[6:7]
	s_xor_b64 s[6:7], exec, s[8:9]
	s_cbranch_execnz .LBB30_2117
; %bb.69:
	s_or_saveexec_b64 s[6:7], s[6:7]
	v_mov_b32_e32 v11, s10
	s_xor_b64 exec, exec, s[6:7]
	s_cbranch_execnz .LBB30_2120
.LBB30_70:
	s_or_b64 exec, exec, s[6:7]
	s_and_saveexec_b64 s[6:7], s[4:5]
	s_cbranch_execz .LBB30_72
.LBB30_71:
	v_and_b32_e32 v11, 7, v12
	v_ffbh_u32_e32 v15, v11
	v_min_u32_e32 v15, 32, v15
	v_lshrrev_b16_e32 v14, 3, v12
	v_subrev_u32_e32 v20, 28, v15
	v_and_b32_e32 v14, 15, v14
	v_lshlrev_b32_e32 v20, v20, v12
	v_sub_u32_e32 v15, 29, v15
	v_and_b32_e32 v20, 7, v20
	v_cmp_eq_u16_e32 vcc, 0, v14
	v_cndmask_b32_e32 v11, v11, v20, vcc
	v_cndmask_b32_e32 v14, v14, v15, vcc
	v_lshlrev_b32_e32 v15, 24, v12
	v_mov_b32_e32 v20, 0x3b800000
	v_lshlrev_b32_e32 v11, 20, v11
	v_and_b32_e32 v15, 0x80000000, v15
	v_lshl_add_u32 v14, v14, 23, v20
	v_or3_b32 v11, v15, v14, v11
.LBB30_72:
	s_or_b64 exec, exec, s[6:7]
	s_nop 0
	v_mfma_f32_16x16x4f32 a[0:3], v10, v11, a[0:3]
	v_lshrrev_b32_e32 v11, 8, v16
	s_movk_i32 s4, 0x7f
	v_cmp_gt_i16_sdwa s[6:7], v11, s4 src0_sel:BYTE_0 src1_sel:DWORD
	s_mov_b64 s[4:5], 0
                                        ; implicit-def: $sgpr10
	s_and_saveexec_b64 s[8:9], s[6:7]
	s_xor_b64 s[6:7], exec, s[8:9]
	s_cbranch_execnz .LBB30_2121
; %bb.73:
	s_or_saveexec_b64 s[6:7], s[6:7]
	v_mov_b32_e32 v10, s10
	s_xor_b64 exec, exec, s[6:7]
	s_cbranch_execnz .LBB30_2124
.LBB30_74:
	s_or_b64 exec, exec, s[6:7]
	s_and_saveexec_b64 s[6:7], s[4:5]
	s_cbranch_execz .LBB30_76
.LBB30_75:
	v_bfe_u32 v10, v16, 8, 3
	v_ffbh_u32_e32 v15, v10
	v_min_u32_e32 v15, 32, v15
	v_lshrrev_b16_e32 v14, 3, v11
	v_subrev_u32_e32 v20, 28, v15
	v_and_b32_e32 v14, 15, v14
	v_lshlrev_b32_e32 v11, v20, v11
	v_sub_u32_e32 v15, 29, v15
	v_and_b32_e32 v11, 7, v11
	v_cmp_eq_u16_e32 vcc, 0, v14
	v_cndmask_b32_e32 v10, v10, v11, vcc
	v_cndmask_b32_e32 v11, v14, v15, vcc
	v_lshlrev_b32_e32 v14, 16, v16
	v_mov_b32_e32 v15, 0x3b800000
	v_lshlrev_b32_e32 v10, 20, v10
	v_and_b32_e32 v14, 0x80000000, v14
	v_lshl_add_u32 v11, v11, 23, v15
	v_or3_b32 v10, v14, v11, v10
.LBB30_76:
	s_or_b64 exec, exec, s[6:7]
	v_lshrrev_b32_e32 v11, 8, v12
	s_movk_i32 s4, 0x7f
	v_cmp_gt_i16_sdwa s[6:7], v11, s4 src0_sel:BYTE_0 src1_sel:DWORD
	s_mov_b64 s[4:5], 0
                                        ; implicit-def: $sgpr10
	s_and_saveexec_b64 s[8:9], s[6:7]
	s_xor_b64 s[6:7], exec, s[8:9]
	s_cbranch_execnz .LBB30_2125
; %bb.77:
	s_or_saveexec_b64 s[6:7], s[6:7]
	v_mov_b32_e32 v14, s10
	s_xor_b64 exec, exec, s[6:7]
	s_cbranch_execnz .LBB30_2128
.LBB30_78:
	s_or_b64 exec, exec, s[6:7]
	s_and_saveexec_b64 s[6:7], s[4:5]
	s_cbranch_execz .LBB30_80
.LBB30_79:
	v_bfe_u32 v14, v12, 8, 3
	v_ffbh_u32_e32 v20, v14
	v_min_u32_e32 v20, 32, v20
	v_lshrrev_b16_e32 v15, 3, v11
	v_subrev_u32_e32 v21, 28, v20
	v_and_b32_e32 v15, 15, v15
	v_lshlrev_b32_e32 v11, v21, v11
	v_sub_u32_e32 v20, 29, v20
	v_and_b32_e32 v11, 7, v11
	v_cmp_eq_u16_e32 vcc, 0, v15
	v_cndmask_b32_e32 v11, v14, v11, vcc
	v_cndmask_b32_e32 v14, v15, v20, vcc
	v_lshlrev_b32_e32 v15, 16, v12
	v_mov_b32_e32 v20, 0x3b800000
	v_lshlrev_b32_e32 v11, 20, v11
	v_and_b32_e32 v15, 0x80000000, v15
	v_lshl_add_u32 v14, v14, 23, v20
	v_or3_b32 v14, v15, v14, v11
.LBB30_80:
	s_or_b64 exec, exec, s[6:7]
	s_nop 0
	v_mfma_f32_16x16x4f32 a[0:3], v10, v14, a[0:3]
	s_movk_i32 s4, 0xff
	v_and_b32_sdwa v11, v16, s4 dst_sel:DWORD dst_unused:UNUSED_PAD src0_sel:WORD_1 src1_sel:DWORD
	s_movk_i32 s4, 0x7f
	v_cmp_lt_i16_e32 vcc, s4, v11
	s_mov_b64 s[4:5], 0
                                        ; implicit-def: $sgpr10
	s_and_saveexec_b64 s[6:7], vcc
	s_xor_b64 s[6:7], exec, s[6:7]
	s_cbranch_execnz .LBB30_2129
; %bb.81:
	s_or_saveexec_b64 s[6:7], s[6:7]
	v_mov_b32_e32 v10, s10
	s_xor_b64 exec, exec, s[6:7]
	s_cbranch_execnz .LBB30_2132
.LBB30_82:
	s_or_b64 exec, exec, s[6:7]
	s_and_saveexec_b64 s[6:7], s[4:5]
	s_cbranch_execz .LBB30_84
.LBB30_83:
	v_bfe_u32 v10, v16, 16, 3
	v_ffbh_u32_e32 v15, v10
	v_min_u32_e32 v15, 32, v15
	v_lshrrev_b32_e32 v11, 19, v16
	v_subrev_u32_e32 v20, 28, v15
	v_and_b32_e32 v11, 15, v11
	v_lshlrev_b32_sdwa v20, v20, v16 dst_sel:DWORD dst_unused:UNUSED_PAD src0_sel:DWORD src1_sel:WORD_1
	v_bfe_u32 v14, v16, 19, 4
	v_sub_u32_e32 v15, 29, v15
	v_and_b32_e32 v20, 7, v20
	v_cmp_eq_u16_e32 vcc, 0, v11
	v_cndmask_b32_e32 v10, v10, v20, vcc
	v_cndmask_b32_e32 v11, v14, v15, vcc
	v_lshlrev_b32_e32 v14, 8, v16
	v_mov_b32_e32 v15, 0x3b800000
	v_lshlrev_b32_e32 v10, 20, v10
	v_and_b32_e32 v14, 0x80000000, v14
	v_lshl_add_u32 v11, v11, 23, v15
	v_or3_b32 v10, v14, v11, v10
.LBB30_84:
	s_or_b64 exec, exec, s[6:7]
	s_movk_i32 s4, 0xff
	v_and_b32_sdwa v11, v12, s4 dst_sel:DWORD dst_unused:UNUSED_PAD src0_sel:WORD_1 src1_sel:DWORD
	s_movk_i32 s4, 0x7f
	v_cmp_lt_i16_e32 vcc, s4, v11
	s_mov_b64 s[4:5], 0
                                        ; implicit-def: $sgpr10
	s_and_saveexec_b64 s[6:7], vcc
	s_xor_b64 s[6:7], exec, s[6:7]
	s_cbranch_execnz .LBB30_2133
; %bb.85:
	s_or_saveexec_b64 s[6:7], s[6:7]
	v_mov_b32_e32 v14, s10
	s_xor_b64 exec, exec, s[6:7]
	s_cbranch_execnz .LBB30_2136
.LBB30_86:
	s_or_b64 exec, exec, s[6:7]
	s_and_saveexec_b64 s[6:7], s[4:5]
	s_cbranch_execz .LBB30_88
.LBB30_87:
	v_bfe_u32 v11, v12, 16, 3
	v_ffbh_u32_e32 v20, v11
	v_min_u32_e32 v20, 32, v20
	v_lshrrev_b32_e32 v14, 19, v12
	v_subrev_u32_e32 v21, 28, v20
	v_and_b32_e32 v14, 15, v14
	v_lshlrev_b32_sdwa v21, v21, v12 dst_sel:DWORD dst_unused:UNUSED_PAD src0_sel:DWORD src1_sel:WORD_1
	v_bfe_u32 v15, v12, 19, 4
	v_sub_u32_e32 v20, 29, v20
	v_and_b32_e32 v21, 7, v21
	v_cmp_eq_u16_e32 vcc, 0, v14
	v_cndmask_b32_e32 v11, v11, v21, vcc
	v_cndmask_b32_e32 v14, v15, v20, vcc
	v_lshlrev_b32_e32 v15, 8, v12
	v_mov_b32_e32 v20, 0x3b800000
	v_lshlrev_b32_e32 v11, 20, v11
	v_and_b32_e32 v15, 0x80000000, v15
	v_lshl_add_u32 v14, v14, 23, v20
	v_or3_b32 v14, v15, v14, v11
.LBB30_88:
	s_or_b64 exec, exec, s[6:7]
	s_nop 0
	v_mfma_f32_16x16x4f32 a[0:3], v10, v14, a[0:3]
	s_movk_i32 s4, 0x7f
	v_cmp_gt_i16_sdwa s[6:7], v16, s4 src0_sel:BYTE_3 src1_sel:DWORD
	s_mov_b64 s[4:5], 0
                                        ; implicit-def: $sgpr10
	s_and_saveexec_b64 s[8:9], s[6:7]
	s_xor_b64 s[6:7], exec, s[8:9]
	s_cbranch_execnz .LBB30_2137
; %bb.89:
	s_or_saveexec_b64 s[6:7], s[6:7]
	v_mov_b32_e32 v10, s10
	s_xor_b64 exec, exec, s[6:7]
	s_cbranch_execnz .LBB30_2140
.LBB30_90:
	s_or_b64 exec, exec, s[6:7]
	s_and_saveexec_b64 s[6:7], s[4:5]
	s_cbranch_execz .LBB30_92
.LBB30_91:
	v_bfe_u32 v10, v16, 24, 3
	v_ffbh_u32_e32 v20, v10
	v_min_u32_e32 v20, 32, v20
	v_lshrrev_b32_e32 v14, 27, v16
	v_subrev_u32_e32 v21, 28, v20
	v_and_b32_e32 v11, 0x80000000, v16
	v_and_b32_e32 v14, 15, v14
	v_bfe_u32 v15, v16, 27, 4
	v_lshlrev_b32_sdwa v16, v21, v16 dst_sel:DWORD dst_unused:UNUSED_PAD src0_sel:DWORD src1_sel:BYTE_3
	v_sub_u32_e32 v20, 29, v20
	v_and_b32_e32 v16, 7, v16
	v_cmp_eq_u16_e32 vcc, 0, v14
	v_cndmask_b32_e32 v10, v10, v16, vcc
	v_cndmask_b32_e32 v14, v15, v20, vcc
	v_mov_b32_e32 v15, 0x3b800000
	v_lshlrev_b32_e32 v10, 20, v10
	v_lshl_add_u32 v14, v14, 23, v15
	v_or3_b32 v10, v11, v14, v10
.LBB30_92:
	s_or_b64 exec, exec, s[6:7]
	s_movk_i32 s4, 0x7f
	v_cmp_gt_i16_sdwa s[6:7], v12, s4 src0_sel:BYTE_3 src1_sel:DWORD
	s_mov_b64 s[4:5], 0
                                        ; implicit-def: $sgpr10
	s_and_saveexec_b64 s[8:9], s[6:7]
	s_xor_b64 s[6:7], exec, s[8:9]
	s_cbranch_execnz .LBB30_2141
; %bb.93:
	s_or_saveexec_b64 s[6:7], s[6:7]
	v_mov_b32_e32 v11, s10
	s_xor_b64 exec, exec, s[6:7]
	s_cbranch_execnz .LBB30_2144
.LBB30_94:
	s_or_b64 exec, exec, s[6:7]
	s_and_saveexec_b64 s[6:7], s[4:5]
	s_cbranch_execz .LBB30_96
.LBB30_95:
	v_bfe_u32 v11, v12, 24, 3
	v_ffbh_u32_e32 v20, v11
	v_min_u32_e32 v20, 32, v20
	v_lshrrev_b32_e32 v15, 27, v12
	v_subrev_u32_e32 v21, 28, v20
	v_and_b32_e32 v14, 0x80000000, v12
	v_and_b32_e32 v15, 15, v15
	v_bfe_u32 v16, v12, 27, 4
	v_lshlrev_b32_sdwa v12, v21, v12 dst_sel:DWORD dst_unused:UNUSED_PAD src0_sel:DWORD src1_sel:BYTE_3
	v_sub_u32_e32 v20, 29, v20
	v_and_b32_e32 v12, 7, v12
	v_cmp_eq_u16_e32 vcc, 0, v15
	v_cndmask_b32_e32 v11, v11, v12, vcc
	v_cndmask_b32_e32 v12, v16, v20, vcc
	v_mov_b32_e32 v15, 0x3b800000
	v_lshlrev_b32_e32 v11, 20, v11
	v_lshl_add_u32 v12, v12, 23, v15
	v_or3_b32 v11, v14, v12, v11
.LBB30_96:
	s_or_b64 exec, exec, s[6:7]
	s_nop 0
	v_mfma_f32_16x16x4f32 a[0:3], v10, v11, a[0:3]
	s_movk_i32 s4, 0x7f
	v_cmp_gt_i16_sdwa s[6:7], v17, s4 src0_sel:BYTE_0 src1_sel:DWORD
	s_mov_b64 s[4:5], 0
                                        ; implicit-def: $sgpr10
	s_and_saveexec_b64 s[8:9], s[6:7]
	s_xor_b64 s[6:7], exec, s[8:9]
	s_cbranch_execnz .LBB30_2145
; %bb.97:
	s_or_saveexec_b64 s[6:7], s[6:7]
	v_mov_b32_e32 v10, s10
	s_xor_b64 exec, exec, s[6:7]
	s_cbranch_execnz .LBB30_2148
.LBB30_98:
	s_or_b64 exec, exec, s[6:7]
	s_and_saveexec_b64 s[6:7], s[4:5]
	s_cbranch_execz .LBB30_100
.LBB30_99:
	v_and_b32_e32 v10, 7, v17
	v_ffbh_u32_e32 v12, v10
	v_min_u32_e32 v12, 32, v12
	v_lshrrev_b16_e32 v11, 3, v17
	v_subrev_u32_e32 v14, 28, v12
	v_and_b32_e32 v11, 15, v11
	v_lshlrev_b32_e32 v14, v14, v17
	v_sub_u32_e32 v12, 29, v12
	v_and_b32_e32 v14, 7, v14
	v_cmp_eq_u16_e32 vcc, 0, v11
	v_cndmask_b32_e32 v10, v10, v14, vcc
	v_cndmask_b32_e32 v11, v11, v12, vcc
	v_lshlrev_b32_e32 v12, 24, v17
	v_mov_b32_e32 v14, 0x3b800000
	v_lshlrev_b32_e32 v10, 20, v10
	v_and_b32_e32 v12, 0x80000000, v12
	v_lshl_add_u32 v11, v11, 23, v14
	v_or3_b32 v10, v12, v11, v10
.LBB30_100:
	s_or_b64 exec, exec, s[6:7]
	s_movk_i32 s4, 0x7f
	v_cmp_gt_i16_sdwa s[6:7], v13, s4 src0_sel:BYTE_0 src1_sel:DWORD
	s_mov_b64 s[4:5], 0
                                        ; implicit-def: $sgpr10
	s_and_saveexec_b64 s[8:9], s[6:7]
	s_xor_b64 s[6:7], exec, s[8:9]
	s_cbranch_execnz .LBB30_2149
; %bb.101:
	s_or_saveexec_b64 s[6:7], s[6:7]
	v_mov_b32_e32 v11, s10
	s_xor_b64 exec, exec, s[6:7]
	s_cbranch_execnz .LBB30_2152
.LBB30_102:
	s_or_b64 exec, exec, s[6:7]
	s_and_saveexec_b64 s[6:7], s[4:5]
	s_cbranch_execz .LBB30_104
.LBB30_103:
	v_and_b32_e32 v11, 7, v13
	v_ffbh_u32_e32 v14, v11
	v_min_u32_e32 v14, 32, v14
	v_lshrrev_b16_e32 v12, 3, v13
	v_subrev_u32_e32 v15, 28, v14
	v_and_b32_e32 v12, 15, v12
	v_lshlrev_b32_e32 v15, v15, v13
	v_sub_u32_e32 v14, 29, v14
	v_and_b32_e32 v15, 7, v15
	v_cmp_eq_u16_e32 vcc, 0, v12
	v_cndmask_b32_e32 v11, v11, v15, vcc
	v_cndmask_b32_e32 v12, v12, v14, vcc
	v_lshlrev_b32_e32 v14, 24, v13
	v_mov_b32_e32 v15, 0x3b800000
	v_lshlrev_b32_e32 v11, 20, v11
	v_and_b32_e32 v14, 0x80000000, v14
	v_lshl_add_u32 v12, v12, 23, v15
	v_or3_b32 v11, v14, v12, v11
.LBB30_104:
	s_or_b64 exec, exec, s[6:7]
	s_nop 0
	v_mfma_f32_16x16x4f32 a[0:3], v10, v11, a[0:3]
	v_lshrrev_b32_e32 v11, 8, v17
	s_movk_i32 s4, 0x7f
	v_cmp_gt_i16_sdwa s[6:7], v11, s4 src0_sel:BYTE_0 src1_sel:DWORD
	s_mov_b64 s[4:5], 0
                                        ; implicit-def: $sgpr10
	s_and_saveexec_b64 s[8:9], s[6:7]
	s_xor_b64 s[6:7], exec, s[8:9]
	s_cbranch_execnz .LBB30_2153
; %bb.105:
	s_or_saveexec_b64 s[6:7], s[6:7]
	v_mov_b32_e32 v10, s10
	s_xor_b64 exec, exec, s[6:7]
	s_cbranch_execnz .LBB30_2156
.LBB30_106:
	s_or_b64 exec, exec, s[6:7]
	s_and_saveexec_b64 s[6:7], s[4:5]
	s_cbranch_execz .LBB30_108
.LBB30_107:
	v_bfe_u32 v10, v17, 8, 3
	v_ffbh_u32_e32 v14, v10
	v_min_u32_e32 v14, 32, v14
	v_lshrrev_b16_e32 v12, 3, v11
	v_subrev_u32_e32 v15, 28, v14
	v_and_b32_e32 v12, 15, v12
	v_lshlrev_b32_e32 v11, v15, v11
	v_sub_u32_e32 v14, 29, v14
	v_and_b32_e32 v11, 7, v11
	v_cmp_eq_u16_e32 vcc, 0, v12
	v_cndmask_b32_e32 v10, v10, v11, vcc
	v_cndmask_b32_e32 v11, v12, v14, vcc
	v_lshlrev_b32_e32 v12, 16, v17
	v_mov_b32_e32 v14, 0x3b800000
	v_lshlrev_b32_e32 v10, 20, v10
	v_and_b32_e32 v12, 0x80000000, v12
	v_lshl_add_u32 v11, v11, 23, v14
	v_or3_b32 v10, v12, v11, v10
.LBB30_108:
	s_or_b64 exec, exec, s[6:7]
	v_lshrrev_b32_e32 v11, 8, v13
	s_movk_i32 s4, 0x7f
	v_cmp_gt_i16_sdwa s[6:7], v11, s4 src0_sel:BYTE_0 src1_sel:DWORD
	s_mov_b64 s[4:5], 0
                                        ; implicit-def: $sgpr10
	s_and_saveexec_b64 s[8:9], s[6:7]
	s_xor_b64 s[6:7], exec, s[8:9]
	s_cbranch_execnz .LBB30_2157
; %bb.109:
	s_or_saveexec_b64 s[6:7], s[6:7]
	v_mov_b32_e32 v12, s10
	s_xor_b64 exec, exec, s[6:7]
	s_cbranch_execnz .LBB30_2160
.LBB30_110:
	s_or_b64 exec, exec, s[6:7]
	s_and_saveexec_b64 s[6:7], s[4:5]
	s_cbranch_execz .LBB30_112
.LBB30_111:
	v_bfe_u32 v12, v13, 8, 3
	v_ffbh_u32_e32 v15, v12
	v_min_u32_e32 v15, 32, v15
	v_lshrrev_b16_e32 v14, 3, v11
	v_subrev_u32_e32 v16, 28, v15
	v_and_b32_e32 v14, 15, v14
	v_lshlrev_b32_e32 v11, v16, v11
	v_sub_u32_e32 v15, 29, v15
	v_and_b32_e32 v11, 7, v11
	v_cmp_eq_u16_e32 vcc, 0, v14
	v_cndmask_b32_e32 v11, v12, v11, vcc
	v_cndmask_b32_e32 v12, v14, v15, vcc
	v_lshlrev_b32_e32 v14, 16, v13
	v_mov_b32_e32 v15, 0x3b800000
	v_lshlrev_b32_e32 v11, 20, v11
	v_and_b32_e32 v14, 0x80000000, v14
	v_lshl_add_u32 v12, v12, 23, v15
	v_or3_b32 v12, v14, v12, v11
.LBB30_112:
	s_or_b64 exec, exec, s[6:7]
	s_nop 0
	v_mfma_f32_16x16x4f32 a[0:3], v10, v12, a[0:3]
	s_movk_i32 s4, 0xff
	v_and_b32_sdwa v11, v17, s4 dst_sel:DWORD dst_unused:UNUSED_PAD src0_sel:WORD_1 src1_sel:DWORD
	s_movk_i32 s4, 0x7f
	v_cmp_lt_i16_e32 vcc, s4, v11
	s_mov_b64 s[4:5], 0
                                        ; implicit-def: $sgpr10
	s_and_saveexec_b64 s[6:7], vcc
	s_xor_b64 s[6:7], exec, s[6:7]
	s_cbranch_execnz .LBB30_2161
; %bb.113:
	s_or_saveexec_b64 s[6:7], s[6:7]
	v_mov_b32_e32 v10, s10
	s_xor_b64 exec, exec, s[6:7]
	s_cbranch_execnz .LBB30_2164
.LBB30_114:
	s_or_b64 exec, exec, s[6:7]
	s_and_saveexec_b64 s[6:7], s[4:5]
	s_cbranch_execz .LBB30_116
.LBB30_115:
	v_bfe_u32 v10, v17, 16, 3
	v_ffbh_u32_e32 v14, v10
	v_min_u32_e32 v14, 32, v14
	v_lshrrev_b32_e32 v11, 19, v17
	v_subrev_u32_e32 v15, 28, v14
	v_and_b32_e32 v11, 15, v11
	v_lshlrev_b32_sdwa v15, v15, v17 dst_sel:DWORD dst_unused:UNUSED_PAD src0_sel:DWORD src1_sel:WORD_1
	v_bfe_u32 v12, v17, 19, 4
	v_sub_u32_e32 v14, 29, v14
	v_and_b32_e32 v15, 7, v15
	v_cmp_eq_u16_e32 vcc, 0, v11
	v_cndmask_b32_e32 v10, v10, v15, vcc
	v_cndmask_b32_e32 v11, v12, v14, vcc
	v_lshlrev_b32_e32 v12, 8, v17
	v_mov_b32_e32 v14, 0x3b800000
	v_lshlrev_b32_e32 v10, 20, v10
	v_and_b32_e32 v12, 0x80000000, v12
	v_lshl_add_u32 v11, v11, 23, v14
	v_or3_b32 v10, v12, v11, v10
.LBB30_116:
	s_or_b64 exec, exec, s[6:7]
	s_movk_i32 s4, 0xff
	v_and_b32_sdwa v11, v13, s4 dst_sel:DWORD dst_unused:UNUSED_PAD src0_sel:WORD_1 src1_sel:DWORD
	s_movk_i32 s4, 0x7f
	v_cmp_lt_i16_e32 vcc, s4, v11
	s_mov_b64 s[4:5], 0
                                        ; implicit-def: $sgpr10
	s_and_saveexec_b64 s[6:7], vcc
	s_xor_b64 s[6:7], exec, s[6:7]
	s_cbranch_execnz .LBB30_2165
; %bb.117:
	s_or_saveexec_b64 s[6:7], s[6:7]
	v_mov_b32_e32 v12, s10
	s_xor_b64 exec, exec, s[6:7]
	s_cbranch_execnz .LBB30_2168
.LBB30_118:
	s_or_b64 exec, exec, s[6:7]
	s_and_saveexec_b64 s[6:7], s[4:5]
	s_cbranch_execz .LBB30_120
.LBB30_119:
	v_bfe_u32 v11, v13, 16, 3
	v_ffbh_u32_e32 v15, v11
	v_min_u32_e32 v15, 32, v15
	v_lshrrev_b32_e32 v12, 19, v13
	v_subrev_u32_e32 v16, 28, v15
	v_and_b32_e32 v12, 15, v12
	v_lshlrev_b32_sdwa v16, v16, v13 dst_sel:DWORD dst_unused:UNUSED_PAD src0_sel:DWORD src1_sel:WORD_1
	v_bfe_u32 v14, v13, 19, 4
	v_sub_u32_e32 v15, 29, v15
	v_and_b32_e32 v16, 7, v16
	v_cmp_eq_u16_e32 vcc, 0, v12
	v_cndmask_b32_e32 v11, v11, v16, vcc
	v_cndmask_b32_e32 v12, v14, v15, vcc
	v_lshlrev_b32_e32 v14, 8, v13
	v_mov_b32_e32 v15, 0x3b800000
	v_lshlrev_b32_e32 v11, 20, v11
	v_and_b32_e32 v14, 0x80000000, v14
	v_lshl_add_u32 v12, v12, 23, v15
	v_or3_b32 v12, v14, v12, v11
.LBB30_120:
	s_or_b64 exec, exec, s[6:7]
	s_nop 0
	v_mfma_f32_16x16x4f32 a[0:3], v10, v12, a[0:3]
	s_movk_i32 s4, 0x7f
	v_cmp_gt_i16_sdwa s[6:7], v17, s4 src0_sel:BYTE_3 src1_sel:DWORD
	s_mov_b64 s[4:5], 0
                                        ; implicit-def: $sgpr10
	s_and_saveexec_b64 s[8:9], s[6:7]
	s_xor_b64 s[6:7], exec, s[8:9]
	s_cbranch_execnz .LBB30_2169
; %bb.121:
	s_or_saveexec_b64 s[6:7], s[6:7]
	v_mov_b32_e32 v10, s10
	s_xor_b64 exec, exec, s[6:7]
	s_cbranch_execnz .LBB30_2172
.LBB30_122:
	s_or_b64 exec, exec, s[6:7]
	s_and_saveexec_b64 s[6:7], s[4:5]
	s_cbranch_execz .LBB30_124
.LBB30_123:
	v_bfe_u32 v10, v17, 24, 3
	v_ffbh_u32_e32 v15, v10
	v_min_u32_e32 v15, 32, v15
	v_lshrrev_b32_e32 v12, 27, v17
	v_subrev_u32_e32 v16, 28, v15
	v_and_b32_e32 v12, 15, v12
	v_lshlrev_b32_sdwa v16, v16, v17 dst_sel:DWORD dst_unused:UNUSED_PAD src0_sel:DWORD src1_sel:BYTE_3
	v_bfe_u32 v14, v17, 27, 4
	v_sub_u32_e32 v15, 29, v15
	v_and_b32_e32 v16, 7, v16
	v_cmp_eq_u16_e32 vcc, 0, v12
	v_cndmask_b32_e32 v10, v10, v16, vcc
	v_cndmask_b32_e32 v12, v14, v15, vcc
	v_mov_b32_e32 v14, 0x3b800000
	v_and_b32_e32 v11, 0x80000000, v17
	v_lshlrev_b32_e32 v10, 20, v10
	v_lshl_add_u32 v12, v12, 23, v14
	v_or3_b32 v10, v11, v12, v10
.LBB30_124:
	s_or_b64 exec, exec, s[6:7]
	s_movk_i32 s4, 0x7f
	v_cmp_gt_i16_sdwa s[6:7], v13, s4 src0_sel:BYTE_3 src1_sel:DWORD
	s_mov_b64 s[4:5], 0
                                        ; implicit-def: $sgpr10
	s_and_saveexec_b64 s[8:9], s[6:7]
	s_xor_b64 s[6:7], exec, s[8:9]
	s_cbranch_execnz .LBB30_2173
; %bb.125:
	s_or_saveexec_b64 s[6:7], s[6:7]
	v_mov_b32_e32 v11, s10
	s_xor_b64 exec, exec, s[6:7]
	s_cbranch_execnz .LBB30_2176
.LBB30_126:
	s_or_b64 exec, exec, s[6:7]
	s_and_saveexec_b64 s[6:7], s[4:5]
	s_cbranch_execz .LBB30_128
.LBB30_127:
	v_bfe_u32 v11, v13, 24, 3
	v_ffbh_u32_e32 v16, v11
	v_min_u32_e32 v16, 32, v16
	v_lshrrev_b32_e32 v14, 27, v13
	v_subrev_u32_e32 v17, 28, v16
	v_and_b32_e32 v12, 0x80000000, v13
	v_and_b32_e32 v14, 15, v14
	v_bfe_u32 v15, v13, 27, 4
	v_lshlrev_b32_sdwa v13, v17, v13 dst_sel:DWORD dst_unused:UNUSED_PAD src0_sel:DWORD src1_sel:BYTE_3
	v_sub_u32_e32 v16, 29, v16
	v_and_b32_e32 v13, 7, v13
	v_cmp_eq_u16_e32 vcc, 0, v14
	v_cndmask_b32_e32 v11, v11, v13, vcc
	v_cndmask_b32_e32 v13, v15, v16, vcc
	v_mov_b32_e32 v14, 0x3b800000
	v_lshlrev_b32_e32 v11, 20, v11
	v_lshl_add_u32 v13, v13, 23, v14
	v_or3_b32 v11, v12, v13, v11
.LBB30_128:
	s_or_b64 exec, exec, s[6:7]
	s_nop 0
	v_mfma_f32_16x16x4f32 a[0:3], v10, v11, a[0:3]
	s_movk_i32 s4, 0x7f
	v_cmp_gt_i16_sdwa s[6:7], v6, s4 src0_sel:BYTE_0 src1_sel:DWORD
	s_mov_b64 s[4:5], 0
                                        ; implicit-def: $sgpr10
	s_and_saveexec_b64 s[8:9], s[6:7]
	s_xor_b64 s[6:7], exec, s[8:9]
	s_cbranch_execnz .LBB30_2177
; %bb.129:
	s_or_saveexec_b64 s[6:7], s[6:7]
	v_mov_b32_e32 v10, s10
	s_xor_b64 exec, exec, s[6:7]
	s_cbranch_execnz .LBB30_2180
.LBB30_130:
	s_or_b64 exec, exec, s[6:7]
	s_and_saveexec_b64 s[6:7], s[4:5]
	s_cbranch_execz .LBB30_132
.LBB30_131:
	v_and_b32_e32 v10, 7, v6
	v_ffbh_u32_e32 v12, v10
	v_min_u32_e32 v12, 32, v12
	v_lshrrev_b16_e32 v11, 3, v6
	v_subrev_u32_e32 v13, 28, v12
	v_and_b32_e32 v11, 15, v11
	v_lshlrev_b32_e32 v13, v13, v6
	v_sub_u32_e32 v12, 29, v12
	v_and_b32_e32 v13, 7, v13
	v_cmp_eq_u16_e32 vcc, 0, v11
	v_cndmask_b32_e32 v10, v10, v13, vcc
	v_cndmask_b32_e32 v11, v11, v12, vcc
	v_lshlrev_b32_e32 v12, 24, v6
	v_mov_b32_e32 v13, 0x3b800000
	v_lshlrev_b32_e32 v10, 20, v10
	v_and_b32_e32 v12, 0x80000000, v12
	v_lshl_add_u32 v11, v11, 23, v13
	v_or3_b32 v10, v12, v11, v10
.LBB30_132:
	s_or_b64 exec, exec, s[6:7]
	s_movk_i32 s4, 0x7f
	v_cmp_gt_i16_sdwa s[6:7], v2, s4 src0_sel:BYTE_0 src1_sel:DWORD
	s_mov_b64 s[4:5], 0
                                        ; implicit-def: $sgpr10
	s_and_saveexec_b64 s[8:9], s[6:7]
	s_xor_b64 s[6:7], exec, s[8:9]
	s_cbranch_execnz .LBB30_2181
; %bb.133:
	s_or_saveexec_b64 s[6:7], s[6:7]
	v_mov_b32_e32 v11, s10
	s_xor_b64 exec, exec, s[6:7]
	s_cbranch_execnz .LBB30_2184
.LBB30_134:
	s_or_b64 exec, exec, s[6:7]
	s_and_saveexec_b64 s[6:7], s[4:5]
	s_cbranch_execz .LBB30_136
.LBB30_135:
	v_and_b32_e32 v11, 7, v2
	v_ffbh_u32_e32 v13, v11
	v_min_u32_e32 v13, 32, v13
	v_lshrrev_b16_e32 v12, 3, v2
	v_subrev_u32_e32 v14, 28, v13
	v_and_b32_e32 v12, 15, v12
	v_lshlrev_b32_e32 v14, v14, v2
	v_sub_u32_e32 v13, 29, v13
	v_and_b32_e32 v14, 7, v14
	v_cmp_eq_u16_e32 vcc, 0, v12
	v_cndmask_b32_e32 v11, v11, v14, vcc
	v_cndmask_b32_e32 v12, v12, v13, vcc
	v_lshlrev_b32_e32 v13, 24, v2
	v_mov_b32_e32 v14, 0x3b800000
	v_lshlrev_b32_e32 v11, 20, v11
	v_and_b32_e32 v13, 0x80000000, v13
	v_lshl_add_u32 v12, v12, 23, v14
	v_or3_b32 v11, v13, v12, v11
.LBB30_136:
	s_or_b64 exec, exec, s[6:7]
	s_nop 0
	v_mfma_f32_16x16x4f32 a[0:3], v10, v11, a[0:3]
	v_lshrrev_b32_e32 v11, 8, v6
	s_movk_i32 s4, 0x7f
	v_cmp_gt_i16_sdwa s[6:7], v11, s4 src0_sel:BYTE_0 src1_sel:DWORD
	s_mov_b64 s[4:5], 0
                                        ; implicit-def: $sgpr10
	s_and_saveexec_b64 s[8:9], s[6:7]
	s_xor_b64 s[6:7], exec, s[8:9]
	s_cbranch_execnz .LBB30_2185
; %bb.137:
	s_or_saveexec_b64 s[6:7], s[6:7]
	v_mov_b32_e32 v10, s10
	s_xor_b64 exec, exec, s[6:7]
	s_cbranch_execnz .LBB30_2188
.LBB30_138:
	s_or_b64 exec, exec, s[6:7]
	s_and_saveexec_b64 s[6:7], s[4:5]
	s_cbranch_execz .LBB30_140
.LBB30_139:
	v_bfe_u32 v10, v6, 8, 3
	v_ffbh_u32_e32 v13, v10
	v_min_u32_e32 v13, 32, v13
	v_lshrrev_b16_e32 v12, 3, v11
	v_subrev_u32_e32 v14, 28, v13
	v_and_b32_e32 v12, 15, v12
	v_lshlrev_b32_e32 v11, v14, v11
	v_sub_u32_e32 v13, 29, v13
	v_and_b32_e32 v11, 7, v11
	v_cmp_eq_u16_e32 vcc, 0, v12
	v_cndmask_b32_e32 v10, v10, v11, vcc
	v_cndmask_b32_e32 v11, v12, v13, vcc
	v_lshlrev_b32_e32 v12, 16, v6
	v_mov_b32_e32 v13, 0x3b800000
	v_lshlrev_b32_e32 v10, 20, v10
	v_and_b32_e32 v12, 0x80000000, v12
	v_lshl_add_u32 v11, v11, 23, v13
	v_or3_b32 v10, v12, v11, v10
.LBB30_140:
	s_or_b64 exec, exec, s[6:7]
	v_lshrrev_b32_e32 v11, 8, v2
	s_movk_i32 s4, 0x7f
	v_cmp_gt_i16_sdwa s[6:7], v11, s4 src0_sel:BYTE_0 src1_sel:DWORD
	s_mov_b64 s[4:5], 0
                                        ; implicit-def: $sgpr10
	s_and_saveexec_b64 s[8:9], s[6:7]
	s_xor_b64 s[6:7], exec, s[8:9]
	s_cbranch_execnz .LBB30_2189
; %bb.141:
	s_or_saveexec_b64 s[6:7], s[6:7]
	v_mov_b32_e32 v12, s10
	s_xor_b64 exec, exec, s[6:7]
	s_cbranch_execnz .LBB30_2192
.LBB30_142:
	s_or_b64 exec, exec, s[6:7]
	s_and_saveexec_b64 s[6:7], s[4:5]
	s_cbranch_execz .LBB30_144
.LBB30_143:
	v_bfe_u32 v12, v2, 8, 3
	v_ffbh_u32_e32 v14, v12
	v_min_u32_e32 v14, 32, v14
	v_lshrrev_b16_e32 v13, 3, v11
	v_subrev_u32_e32 v15, 28, v14
	v_and_b32_e32 v13, 15, v13
	v_lshlrev_b32_e32 v11, v15, v11
	v_sub_u32_e32 v14, 29, v14
	v_and_b32_e32 v11, 7, v11
	v_cmp_eq_u16_e32 vcc, 0, v13
	v_cndmask_b32_e32 v11, v12, v11, vcc
	v_cndmask_b32_e32 v12, v13, v14, vcc
	v_lshlrev_b32_e32 v13, 16, v2
	v_mov_b32_e32 v14, 0x3b800000
	v_lshlrev_b32_e32 v11, 20, v11
	v_and_b32_e32 v13, 0x80000000, v13
	v_lshl_add_u32 v12, v12, 23, v14
	v_or3_b32 v12, v13, v12, v11
.LBB30_144:
	s_or_b64 exec, exec, s[6:7]
	s_nop 0
	v_mfma_f32_16x16x4f32 a[0:3], v10, v12, a[0:3]
	s_movk_i32 s4, 0xff
	v_and_b32_sdwa v11, v6, s4 dst_sel:DWORD dst_unused:UNUSED_PAD src0_sel:WORD_1 src1_sel:DWORD
	s_movk_i32 s4, 0x7f
	v_cmp_lt_i16_e32 vcc, s4, v11
	s_mov_b64 s[4:5], 0
                                        ; implicit-def: $sgpr10
	s_and_saveexec_b64 s[6:7], vcc
	s_xor_b64 s[6:7], exec, s[6:7]
	s_cbranch_execnz .LBB30_2193
; %bb.145:
	s_or_saveexec_b64 s[6:7], s[6:7]
	v_mov_b32_e32 v10, s10
	s_xor_b64 exec, exec, s[6:7]
	s_cbranch_execnz .LBB30_2196
.LBB30_146:
	s_or_b64 exec, exec, s[6:7]
	s_and_saveexec_b64 s[6:7], s[4:5]
	s_cbranch_execz .LBB30_148
.LBB30_147:
	v_bfe_u32 v10, v6, 16, 3
	v_ffbh_u32_e32 v13, v10
	v_min_u32_e32 v13, 32, v13
	v_lshrrev_b32_e32 v11, 19, v6
	v_subrev_u32_e32 v14, 28, v13
	v_and_b32_e32 v11, 15, v11
	v_lshlrev_b32_sdwa v14, v14, v6 dst_sel:DWORD dst_unused:UNUSED_PAD src0_sel:DWORD src1_sel:WORD_1
	v_bfe_u32 v12, v6, 19, 4
	v_sub_u32_e32 v13, 29, v13
	v_and_b32_e32 v14, 7, v14
	v_cmp_eq_u16_e32 vcc, 0, v11
	v_cndmask_b32_e32 v10, v10, v14, vcc
	v_cndmask_b32_e32 v11, v12, v13, vcc
	v_lshlrev_b32_e32 v12, 8, v6
	v_mov_b32_e32 v13, 0x3b800000
	v_lshlrev_b32_e32 v10, 20, v10
	v_and_b32_e32 v12, 0x80000000, v12
	v_lshl_add_u32 v11, v11, 23, v13
	v_or3_b32 v10, v12, v11, v10
.LBB30_148:
	s_or_b64 exec, exec, s[6:7]
	s_movk_i32 s4, 0xff
	v_and_b32_sdwa v11, v2, s4 dst_sel:DWORD dst_unused:UNUSED_PAD src0_sel:WORD_1 src1_sel:DWORD
	s_movk_i32 s4, 0x7f
	v_cmp_lt_i16_e32 vcc, s4, v11
	s_mov_b64 s[4:5], 0
                                        ; implicit-def: $sgpr10
	s_and_saveexec_b64 s[6:7], vcc
	s_xor_b64 s[6:7], exec, s[6:7]
	s_cbranch_execnz .LBB30_2197
; %bb.149:
	s_or_saveexec_b64 s[6:7], s[6:7]
	v_mov_b32_e32 v12, s10
	s_xor_b64 exec, exec, s[6:7]
	s_cbranch_execnz .LBB30_2200
.LBB30_150:
	s_or_b64 exec, exec, s[6:7]
	s_and_saveexec_b64 s[6:7], s[4:5]
	s_cbranch_execz .LBB30_152
.LBB30_151:
	v_bfe_u32 v11, v2, 16, 3
	v_ffbh_u32_e32 v14, v11
	v_min_u32_e32 v14, 32, v14
	v_lshrrev_b32_e32 v12, 19, v2
	v_subrev_u32_e32 v15, 28, v14
	v_and_b32_e32 v12, 15, v12
	v_lshlrev_b32_sdwa v15, v15, v2 dst_sel:DWORD dst_unused:UNUSED_PAD src0_sel:DWORD src1_sel:WORD_1
	v_bfe_u32 v13, v2, 19, 4
	v_sub_u32_e32 v14, 29, v14
	v_and_b32_e32 v15, 7, v15
	v_cmp_eq_u16_e32 vcc, 0, v12
	v_cndmask_b32_e32 v11, v11, v15, vcc
	v_cndmask_b32_e32 v12, v13, v14, vcc
	v_lshlrev_b32_e32 v13, 8, v2
	v_mov_b32_e32 v14, 0x3b800000
	v_lshlrev_b32_e32 v11, 20, v11
	v_and_b32_e32 v13, 0x80000000, v13
	v_lshl_add_u32 v12, v12, 23, v14
	v_or3_b32 v12, v13, v12, v11
.LBB30_152:
	s_or_b64 exec, exec, s[6:7]
	s_nop 0
	v_mfma_f32_16x16x4f32 a[0:3], v10, v12, a[0:3]
	s_movk_i32 s4, 0x7f
	v_cmp_gt_i16_sdwa s[6:7], v6, s4 src0_sel:BYTE_3 src1_sel:DWORD
	s_mov_b64 s[4:5], 0
                                        ; implicit-def: $sgpr10
	s_and_saveexec_b64 s[8:9], s[6:7]
	s_xor_b64 s[6:7], exec, s[8:9]
	s_cbranch_execnz .LBB30_2201
; %bb.153:
	s_or_saveexec_b64 s[6:7], s[6:7]
	v_mov_b32_e32 v10, s10
	s_xor_b64 exec, exec, s[6:7]
	s_cbranch_execnz .LBB30_2204
.LBB30_154:
	s_or_b64 exec, exec, s[6:7]
	s_and_saveexec_b64 s[6:7], s[4:5]
	s_cbranch_execz .LBB30_156
.LBB30_155:
	v_bfe_u32 v10, v6, 24, 3
	v_ffbh_u32_e32 v14, v10
	v_min_u32_e32 v14, 32, v14
	v_lshrrev_b32_e32 v12, 27, v6
	v_subrev_u32_e32 v15, 28, v14
	v_and_b32_e32 v11, 0x80000000, v6
	v_and_b32_e32 v12, 15, v12
	v_bfe_u32 v13, v6, 27, 4
	v_lshlrev_b32_sdwa v6, v15, v6 dst_sel:DWORD dst_unused:UNUSED_PAD src0_sel:DWORD src1_sel:BYTE_3
	v_sub_u32_e32 v14, 29, v14
	v_and_b32_e32 v6, 7, v6
	v_cmp_eq_u16_e32 vcc, 0, v12
	v_cndmask_b32_e32 v6, v10, v6, vcc
	v_cndmask_b32_e32 v10, v13, v14, vcc
	v_mov_b32_e32 v12, 0x3b800000
	v_lshlrev_b32_e32 v6, 20, v6
	v_lshl_add_u32 v10, v10, 23, v12
	v_or3_b32 v10, v11, v10, v6
.LBB30_156:
	s_or_b64 exec, exec, s[6:7]
	s_movk_i32 s4, 0x7f
	v_cmp_gt_i16_sdwa s[6:7], v2, s4 src0_sel:BYTE_3 src1_sel:DWORD
	s_mov_b64 s[4:5], 0
                                        ; implicit-def: $sgpr10
	s_and_saveexec_b64 s[8:9], s[6:7]
	s_xor_b64 s[6:7], exec, s[8:9]
	s_cbranch_execnz .LBB30_2205
; %bb.157:
	s_or_saveexec_b64 s[6:7], s[6:7]
	v_mov_b32_e32 v6, s10
	s_xor_b64 exec, exec, s[6:7]
	s_cbranch_execnz .LBB30_2208
.LBB30_158:
	s_or_b64 exec, exec, s[6:7]
	s_and_saveexec_b64 s[6:7], s[4:5]
	s_cbranch_execz .LBB30_160
.LBB30_159:
	v_bfe_u32 v6, v2, 24, 3
	v_ffbh_u32_e32 v14, v6
	v_min_u32_e32 v14, 32, v14
	v_lshrrev_b32_e32 v12, 27, v2
	v_subrev_u32_e32 v15, 28, v14
	v_and_b32_e32 v11, 0x80000000, v2
	v_and_b32_e32 v12, 15, v12
	v_bfe_u32 v13, v2, 27, 4
	v_lshlrev_b32_sdwa v2, v15, v2 dst_sel:DWORD dst_unused:UNUSED_PAD src0_sel:DWORD src1_sel:BYTE_3
	v_sub_u32_e32 v14, 29, v14
	v_and_b32_e32 v2, 7, v2
	v_cmp_eq_u16_e32 vcc, 0, v12
	v_cndmask_b32_e32 v2, v6, v2, vcc
	v_cndmask_b32_e32 v6, v13, v14, vcc
	v_mov_b32_e32 v12, 0x3b800000
	v_lshlrev_b32_e32 v2, 20, v2
	v_lshl_add_u32 v6, v6, 23, v12
	v_or3_b32 v6, v11, v6, v2
.LBB30_160:
	s_or_b64 exec, exec, s[6:7]
	s_nop 0
	v_mfma_f32_16x16x4f32 a[0:3], v10, v6, a[0:3]
	s_movk_i32 s4, 0x7f
	v_cmp_gt_i16_sdwa s[6:7], v7, s4 src0_sel:BYTE_0 src1_sel:DWORD
	s_mov_b64 s[4:5], 0
                                        ; implicit-def: $sgpr10
	s_and_saveexec_b64 s[8:9], s[6:7]
	s_xor_b64 s[6:7], exec, s[8:9]
	s_cbranch_execnz .LBB30_2209
; %bb.161:
	s_or_saveexec_b64 s[6:7], s[6:7]
	v_mov_b32_e32 v2, s10
	s_xor_b64 exec, exec, s[6:7]
	s_cbranch_execnz .LBB30_2212
.LBB30_162:
	s_or_b64 exec, exec, s[6:7]
	s_and_saveexec_b64 s[6:7], s[4:5]
	s_cbranch_execz .LBB30_164
.LBB30_163:
	v_and_b32_e32 v2, 7, v7
	v_ffbh_u32_e32 v10, v2
	v_min_u32_e32 v10, 32, v10
	v_lshrrev_b16_e32 v6, 3, v7
	v_subrev_u32_e32 v11, 28, v10
	v_and_b32_e32 v6, 15, v6
	v_lshlrev_b32_e32 v11, v11, v7
	v_sub_u32_e32 v10, 29, v10
	v_and_b32_e32 v11, 7, v11
	v_cmp_eq_u16_e32 vcc, 0, v6
	v_cndmask_b32_e32 v2, v2, v11, vcc
	v_cndmask_b32_e32 v6, v6, v10, vcc
	v_lshlrev_b32_e32 v10, 24, v7
	v_mov_b32_e32 v11, 0x3b800000
	v_lshlrev_b32_e32 v2, 20, v2
	v_and_b32_e32 v10, 0x80000000, v10
	v_lshl_add_u32 v6, v6, 23, v11
	v_or3_b32 v2, v10, v6, v2
.LBB30_164:
	s_or_b64 exec, exec, s[6:7]
	s_movk_i32 s4, 0x7f
	v_cmp_gt_i16_sdwa s[6:7], v3, s4 src0_sel:BYTE_0 src1_sel:DWORD
	s_mov_b64 s[4:5], 0
                                        ; implicit-def: $sgpr10
	s_and_saveexec_b64 s[8:9], s[6:7]
	s_xor_b64 s[6:7], exec, s[8:9]
	s_cbranch_execnz .LBB30_2213
; %bb.165:
	s_or_saveexec_b64 s[6:7], s[6:7]
	v_mov_b32_e32 v6, s10
	s_xor_b64 exec, exec, s[6:7]
	s_cbranch_execnz .LBB30_2216
.LBB30_166:
	s_or_b64 exec, exec, s[6:7]
	s_and_saveexec_b64 s[6:7], s[4:5]
	s_cbranch_execz .LBB30_168
.LBB30_167:
	v_and_b32_e32 v6, 7, v3
	v_ffbh_u32_e32 v11, v6
	v_min_u32_e32 v11, 32, v11
	v_lshrrev_b16_e32 v10, 3, v3
	v_subrev_u32_e32 v12, 28, v11
	v_and_b32_e32 v10, 15, v10
	v_lshlrev_b32_e32 v12, v12, v3
	v_sub_u32_e32 v11, 29, v11
	v_and_b32_e32 v12, 7, v12
	v_cmp_eq_u16_e32 vcc, 0, v10
	v_cndmask_b32_e32 v6, v6, v12, vcc
	v_cndmask_b32_e32 v10, v10, v11, vcc
	v_lshlrev_b32_e32 v11, 24, v3
	v_mov_b32_e32 v12, 0x3b800000
	v_lshlrev_b32_e32 v6, 20, v6
	v_and_b32_e32 v11, 0x80000000, v11
	v_lshl_add_u32 v10, v10, 23, v12
	v_or3_b32 v6, v11, v10, v6
.LBB30_168:
	s_or_b64 exec, exec, s[6:7]
	s_nop 0
	v_mfma_f32_16x16x4f32 a[0:3], v2, v6, a[0:3]
	v_lshrrev_b32_e32 v6, 8, v7
	s_movk_i32 s4, 0x7f
	v_cmp_gt_i16_sdwa s[6:7], v6, s4 src0_sel:BYTE_0 src1_sel:DWORD
	s_mov_b64 s[4:5], 0
                                        ; implicit-def: $sgpr10
	s_and_saveexec_b64 s[8:9], s[6:7]
	s_xor_b64 s[6:7], exec, s[8:9]
	s_cbranch_execnz .LBB30_2217
; %bb.169:
	s_or_saveexec_b64 s[6:7], s[6:7]
	v_mov_b32_e32 v2, s10
	s_xor_b64 exec, exec, s[6:7]
	s_cbranch_execnz .LBB30_2220
.LBB30_170:
	s_or_b64 exec, exec, s[6:7]
	s_and_saveexec_b64 s[6:7], s[4:5]
	s_cbranch_execz .LBB30_172
.LBB30_171:
	v_bfe_u32 v2, v7, 8, 3
	v_ffbh_u32_e32 v11, v2
	v_min_u32_e32 v11, 32, v11
	v_lshrrev_b16_e32 v10, 3, v6
	v_subrev_u32_e32 v12, 28, v11
	v_and_b32_e32 v10, 15, v10
	v_lshlrev_b32_e32 v6, v12, v6
	v_sub_u32_e32 v11, 29, v11
	v_and_b32_e32 v6, 7, v6
	v_cmp_eq_u16_e32 vcc, 0, v10
	v_cndmask_b32_e32 v2, v2, v6, vcc
	v_cndmask_b32_e32 v6, v10, v11, vcc
	v_lshlrev_b32_e32 v10, 16, v7
	v_mov_b32_e32 v11, 0x3b800000
	v_lshlrev_b32_e32 v2, 20, v2
	v_and_b32_e32 v10, 0x80000000, v10
	v_lshl_add_u32 v6, v6, 23, v11
	v_or3_b32 v2, v10, v6, v2
.LBB30_172:
	s_or_b64 exec, exec, s[6:7]
	v_lshrrev_b32_e32 v6, 8, v3
	s_movk_i32 s4, 0x7f
	v_cmp_gt_i16_sdwa s[6:7], v6, s4 src0_sel:BYTE_0 src1_sel:DWORD
	s_mov_b64 s[4:5], 0
                                        ; implicit-def: $sgpr10
	s_and_saveexec_b64 s[8:9], s[6:7]
	s_xor_b64 s[6:7], exec, s[8:9]
	s_cbranch_execnz .LBB30_2221
; %bb.173:
	s_or_saveexec_b64 s[6:7], s[6:7]
	v_mov_b32_e32 v10, s10
	s_xor_b64 exec, exec, s[6:7]
	s_cbranch_execnz .LBB30_2224
.LBB30_174:
	s_or_b64 exec, exec, s[6:7]
	s_and_saveexec_b64 s[6:7], s[4:5]
	s_cbranch_execz .LBB30_176
.LBB30_175:
	v_bfe_u32 v10, v3, 8, 3
	v_ffbh_u32_e32 v12, v10
	v_min_u32_e32 v12, 32, v12
	v_lshrrev_b16_e32 v11, 3, v6
	v_subrev_u32_e32 v13, 28, v12
	v_and_b32_e32 v11, 15, v11
	v_lshlrev_b32_e32 v6, v13, v6
	v_sub_u32_e32 v12, 29, v12
	v_and_b32_e32 v6, 7, v6
	v_cmp_eq_u16_e32 vcc, 0, v11
	v_cndmask_b32_e32 v6, v10, v6, vcc
	v_cndmask_b32_e32 v10, v11, v12, vcc
	v_lshlrev_b32_e32 v11, 16, v3
	v_mov_b32_e32 v12, 0x3b800000
	v_lshlrev_b32_e32 v6, 20, v6
	v_and_b32_e32 v11, 0x80000000, v11
	v_lshl_add_u32 v10, v10, 23, v12
	v_or3_b32 v10, v11, v10, v6
.LBB30_176:
	s_or_b64 exec, exec, s[6:7]
	s_nop 0
	v_mfma_f32_16x16x4f32 a[0:3], v2, v10, a[0:3]
	s_movk_i32 s4, 0xff
	v_and_b32_sdwa v6, v7, s4 dst_sel:DWORD dst_unused:UNUSED_PAD src0_sel:WORD_1 src1_sel:DWORD
	s_movk_i32 s4, 0x7f
	v_cmp_lt_i16_e32 vcc, s4, v6
	s_mov_b64 s[4:5], 0
                                        ; implicit-def: $sgpr10
	s_and_saveexec_b64 s[6:7], vcc
	s_xor_b64 s[6:7], exec, s[6:7]
	s_cbranch_execnz .LBB30_2225
; %bb.177:
	s_or_saveexec_b64 s[6:7], s[6:7]
	v_mov_b32_e32 v2, s10
	s_xor_b64 exec, exec, s[6:7]
	s_cbranch_execnz .LBB30_2228
.LBB30_178:
	s_or_b64 exec, exec, s[6:7]
	s_and_saveexec_b64 s[6:7], s[4:5]
	s_cbranch_execz .LBB30_180
.LBB30_179:
	v_bfe_u32 v2, v7, 16, 3
	v_ffbh_u32_e32 v11, v2
	v_min_u32_e32 v11, 32, v11
	v_lshrrev_b32_e32 v6, 19, v7
	v_subrev_u32_e32 v12, 28, v11
	v_and_b32_e32 v6, 15, v6
	v_lshlrev_b32_sdwa v12, v12, v7 dst_sel:DWORD dst_unused:UNUSED_PAD src0_sel:DWORD src1_sel:WORD_1
	v_bfe_u32 v10, v7, 19, 4
	v_sub_u32_e32 v11, 29, v11
	v_and_b32_e32 v12, 7, v12
	v_cmp_eq_u16_e32 vcc, 0, v6
	v_cndmask_b32_e32 v2, v2, v12, vcc
	v_cndmask_b32_e32 v6, v10, v11, vcc
	v_lshlrev_b32_e32 v10, 8, v7
	v_mov_b32_e32 v11, 0x3b800000
	v_lshlrev_b32_e32 v2, 20, v2
	v_and_b32_e32 v10, 0x80000000, v10
	v_lshl_add_u32 v6, v6, 23, v11
	v_or3_b32 v2, v10, v6, v2
.LBB30_180:
	s_or_b64 exec, exec, s[6:7]
	s_movk_i32 s4, 0xff
	v_and_b32_sdwa v6, v3, s4 dst_sel:DWORD dst_unused:UNUSED_PAD src0_sel:WORD_1 src1_sel:DWORD
	s_movk_i32 s4, 0x7f
	v_cmp_lt_i16_e32 vcc, s4, v6
	s_mov_b64 s[4:5], 0
                                        ; implicit-def: $sgpr10
	s_and_saveexec_b64 s[6:7], vcc
	s_xor_b64 s[6:7], exec, s[6:7]
	s_cbranch_execnz .LBB30_2229
; %bb.181:
	s_or_saveexec_b64 s[6:7], s[6:7]
	v_mov_b32_e32 v10, s10
	s_xor_b64 exec, exec, s[6:7]
	s_cbranch_execnz .LBB30_2232
.LBB30_182:
	s_or_b64 exec, exec, s[6:7]
	s_and_saveexec_b64 s[6:7], s[4:5]
	s_cbranch_execz .LBB30_184
.LBB30_183:
	v_bfe_u32 v6, v3, 16, 3
	v_ffbh_u32_e32 v12, v6
	v_min_u32_e32 v12, 32, v12
	v_lshrrev_b32_e32 v10, 19, v3
	v_subrev_u32_e32 v13, 28, v12
	v_and_b32_e32 v10, 15, v10
	v_lshlrev_b32_sdwa v13, v13, v3 dst_sel:DWORD dst_unused:UNUSED_PAD src0_sel:DWORD src1_sel:WORD_1
	v_bfe_u32 v11, v3, 19, 4
	v_sub_u32_e32 v12, 29, v12
	v_and_b32_e32 v13, 7, v13
	v_cmp_eq_u16_e32 vcc, 0, v10
	v_cndmask_b32_e32 v6, v6, v13, vcc
	v_cndmask_b32_e32 v10, v11, v12, vcc
	v_lshlrev_b32_e32 v11, 8, v3
	v_mov_b32_e32 v12, 0x3b800000
	v_lshlrev_b32_e32 v6, 20, v6
	v_and_b32_e32 v11, 0x80000000, v11
	v_lshl_add_u32 v10, v10, 23, v12
	v_or3_b32 v10, v11, v10, v6
.LBB30_184:
	s_or_b64 exec, exec, s[6:7]
	s_nop 0
	v_mfma_f32_16x16x4f32 a[0:3], v2, v10, a[0:3]
	s_movk_i32 s4, 0x7f
	v_cmp_gt_i16_sdwa s[6:7], v7, s4 src0_sel:BYTE_3 src1_sel:DWORD
	s_mov_b64 s[4:5], 0
                                        ; implicit-def: $sgpr10
	s_and_saveexec_b64 s[8:9], s[6:7]
	s_xor_b64 s[6:7], exec, s[8:9]
	s_cbranch_execnz .LBB30_2233
; %bb.185:
	s_or_saveexec_b64 s[6:7], s[6:7]
	v_mov_b32_e32 v2, s10
	s_xor_b64 exec, exec, s[6:7]
	s_cbranch_execnz .LBB30_2236
.LBB30_186:
	s_or_b64 exec, exec, s[6:7]
	s_and_saveexec_b64 s[6:7], s[4:5]
	s_cbranch_execz .LBB30_188
.LBB30_187:
	v_bfe_u32 v2, v7, 24, 3
	v_ffbh_u32_e32 v12, v2
	v_min_u32_e32 v12, 32, v12
	v_lshrrev_b32_e32 v10, 27, v7
	v_subrev_u32_e32 v13, 28, v12
	v_and_b32_e32 v6, 0x80000000, v7
	v_and_b32_e32 v10, 15, v10
	v_bfe_u32 v11, v7, 27, 4
	v_lshlrev_b32_sdwa v7, v13, v7 dst_sel:DWORD dst_unused:UNUSED_PAD src0_sel:DWORD src1_sel:BYTE_3
	v_sub_u32_e32 v12, 29, v12
	v_and_b32_e32 v7, 7, v7
	v_cmp_eq_u16_e32 vcc, 0, v10
	v_cndmask_b32_e32 v2, v2, v7, vcc
	v_cndmask_b32_e32 v7, v11, v12, vcc
	v_mov_b32_e32 v10, 0x3b800000
	v_lshlrev_b32_e32 v2, 20, v2
	v_lshl_add_u32 v7, v7, 23, v10
	v_or3_b32 v2, v6, v7, v2
.LBB30_188:
	s_or_b64 exec, exec, s[6:7]
	s_movk_i32 s4, 0x7f
	v_cmp_gt_i16_sdwa s[6:7], v3, s4 src0_sel:BYTE_3 src1_sel:DWORD
	s_mov_b64 s[4:5], 0
                                        ; implicit-def: $sgpr10
	s_and_saveexec_b64 s[8:9], s[6:7]
	s_xor_b64 s[6:7], exec, s[8:9]
	s_cbranch_execnz .LBB30_2237
; %bb.189:
	s_or_saveexec_b64 s[6:7], s[6:7]
	v_mov_b32_e32 v6, s10
	s_xor_b64 exec, exec, s[6:7]
	s_cbranch_execnz .LBB30_2240
.LBB30_190:
	s_or_b64 exec, exec, s[6:7]
	s_and_saveexec_b64 s[6:7], s[4:5]
	s_cbranch_execz .LBB30_192
.LBB30_191:
	v_bfe_u32 v6, v3, 24, 3
	v_ffbh_u32_e32 v12, v6
	v_min_u32_e32 v12, 32, v12
	v_lshrrev_b32_e32 v10, 27, v3
	v_subrev_u32_e32 v13, 28, v12
	v_and_b32_e32 v7, 0x80000000, v3
	v_and_b32_e32 v10, 15, v10
	v_bfe_u32 v11, v3, 27, 4
	v_lshlrev_b32_sdwa v3, v13, v3 dst_sel:DWORD dst_unused:UNUSED_PAD src0_sel:DWORD src1_sel:BYTE_3
	v_sub_u32_e32 v12, 29, v12
	v_and_b32_e32 v3, 7, v3
	v_cmp_eq_u16_e32 vcc, 0, v10
	v_cndmask_b32_e32 v3, v6, v3, vcc
	v_cndmask_b32_e32 v6, v11, v12, vcc
	v_mov_b32_e32 v10, 0x3b800000
	v_lshlrev_b32_e32 v3, 20, v3
	v_lshl_add_u32 v6, v6, 23, v10
	v_or3_b32 v6, v7, v6, v3
.LBB30_192:
	s_or_b64 exec, exec, s[6:7]
	s_nop 0
	v_mfma_f32_16x16x4f32 a[0:3], v2, v6, a[0:3]
	s_movk_i32 s4, 0x7f
	v_cmp_gt_i16_sdwa s[6:7], v8, s4 src0_sel:BYTE_0 src1_sel:DWORD
	s_mov_b64 s[4:5], 0
                                        ; implicit-def: $sgpr10
	s_and_saveexec_b64 s[8:9], s[6:7]
	s_xor_b64 s[6:7], exec, s[8:9]
	s_cbranch_execnz .LBB30_2241
; %bb.193:
	s_or_saveexec_b64 s[6:7], s[6:7]
	v_mov_b32_e32 v2, s10
	s_xor_b64 exec, exec, s[6:7]
	s_cbranch_execnz .LBB30_2244
.LBB30_194:
	s_or_b64 exec, exec, s[6:7]
	s_and_saveexec_b64 s[6:7], s[4:5]
	s_cbranch_execz .LBB30_196
.LBB30_195:
	v_and_b32_e32 v2, 7, v8
	v_ffbh_u32_e32 v6, v2
	v_min_u32_e32 v6, 32, v6
	v_lshrrev_b16_e32 v3, 3, v8
	v_subrev_u32_e32 v7, 28, v6
	v_and_b32_e32 v3, 15, v3
	v_lshlrev_b32_e32 v7, v7, v8
	v_sub_u32_e32 v6, 29, v6
	v_and_b32_e32 v7, 7, v7
	v_cmp_eq_u16_e32 vcc, 0, v3
	v_cndmask_b32_e32 v2, v2, v7, vcc
	v_cndmask_b32_e32 v3, v3, v6, vcc
	v_lshlrev_b32_e32 v6, 24, v8
	v_mov_b32_e32 v7, 0x3b800000
	v_lshlrev_b32_e32 v2, 20, v2
	v_and_b32_e32 v6, 0x80000000, v6
	v_lshl_add_u32 v3, v3, 23, v7
	v_or3_b32 v2, v6, v3, v2
.LBB30_196:
	s_or_b64 exec, exec, s[6:7]
	s_movk_i32 s4, 0x7f
	v_cmp_gt_i16_sdwa s[6:7], v4, s4 src0_sel:BYTE_0 src1_sel:DWORD
	s_mov_b64 s[4:5], 0
                                        ; implicit-def: $sgpr10
	s_and_saveexec_b64 s[8:9], s[6:7]
	s_xor_b64 s[6:7], exec, s[8:9]
	s_cbranch_execnz .LBB30_2245
; %bb.197:
	s_or_saveexec_b64 s[6:7], s[6:7]
	v_mov_b32_e32 v3, s10
	s_xor_b64 exec, exec, s[6:7]
	s_cbranch_execnz .LBB30_2248
.LBB30_198:
	s_or_b64 exec, exec, s[6:7]
	s_and_saveexec_b64 s[6:7], s[4:5]
	s_cbranch_execz .LBB30_200
.LBB30_199:
	v_and_b32_e32 v3, 7, v4
	v_ffbh_u32_e32 v7, v3
	v_min_u32_e32 v7, 32, v7
	v_lshrrev_b16_e32 v6, 3, v4
	v_subrev_u32_e32 v10, 28, v7
	v_and_b32_e32 v6, 15, v6
	v_lshlrev_b32_e32 v10, v10, v4
	v_sub_u32_e32 v7, 29, v7
	v_and_b32_e32 v10, 7, v10
	v_cmp_eq_u16_e32 vcc, 0, v6
	v_cndmask_b32_e32 v3, v3, v10, vcc
	v_cndmask_b32_e32 v6, v6, v7, vcc
	v_lshlrev_b32_e32 v7, 24, v4
	v_mov_b32_e32 v10, 0x3b800000
	v_lshlrev_b32_e32 v3, 20, v3
	v_and_b32_e32 v7, 0x80000000, v7
	v_lshl_add_u32 v6, v6, 23, v10
	v_or3_b32 v3, v7, v6, v3
.LBB30_200:
	s_or_b64 exec, exec, s[6:7]
	s_nop 0
	v_mfma_f32_16x16x4f32 a[0:3], v2, v3, a[0:3]
	v_lshrrev_b32_e32 v3, 8, v8
	s_movk_i32 s4, 0x7f
	v_cmp_gt_i16_sdwa s[6:7], v3, s4 src0_sel:BYTE_0 src1_sel:DWORD
	s_mov_b64 s[4:5], 0
                                        ; implicit-def: $sgpr10
	s_and_saveexec_b64 s[8:9], s[6:7]
	s_xor_b64 s[6:7], exec, s[8:9]
	s_cbranch_execnz .LBB30_2249
; %bb.201:
	s_or_saveexec_b64 s[6:7], s[6:7]
	v_mov_b32_e32 v2, s10
	s_xor_b64 exec, exec, s[6:7]
	s_cbranch_execnz .LBB30_2252
.LBB30_202:
	s_or_b64 exec, exec, s[6:7]
	s_and_saveexec_b64 s[6:7], s[4:5]
	s_cbranch_execz .LBB30_204
.LBB30_203:
	v_bfe_u32 v2, v8, 8, 3
	v_ffbh_u32_e32 v7, v2
	v_min_u32_e32 v7, 32, v7
	v_lshrrev_b16_e32 v6, 3, v3
	v_subrev_u32_e32 v10, 28, v7
	v_and_b32_e32 v6, 15, v6
	v_lshlrev_b32_e32 v3, v10, v3
	v_sub_u32_e32 v7, 29, v7
	v_and_b32_e32 v3, 7, v3
	v_cmp_eq_u16_e32 vcc, 0, v6
	v_cndmask_b32_e32 v2, v2, v3, vcc
	v_cndmask_b32_e32 v3, v6, v7, vcc
	v_lshlrev_b32_e32 v6, 16, v8
	v_mov_b32_e32 v7, 0x3b800000
	v_lshlrev_b32_e32 v2, 20, v2
	v_and_b32_e32 v6, 0x80000000, v6
	v_lshl_add_u32 v3, v3, 23, v7
	v_or3_b32 v2, v6, v3, v2
.LBB30_204:
	s_or_b64 exec, exec, s[6:7]
	v_lshrrev_b32_e32 v3, 8, v4
	s_movk_i32 s4, 0x7f
	v_cmp_gt_i16_sdwa s[6:7], v3, s4 src0_sel:BYTE_0 src1_sel:DWORD
	s_mov_b64 s[4:5], 0
                                        ; implicit-def: $sgpr10
	s_and_saveexec_b64 s[8:9], s[6:7]
	s_xor_b64 s[6:7], exec, s[8:9]
	s_cbranch_execnz .LBB30_2253
; %bb.205:
	s_or_saveexec_b64 s[6:7], s[6:7]
	v_mov_b32_e32 v6, s10
	s_xor_b64 exec, exec, s[6:7]
	s_cbranch_execnz .LBB30_2256
.LBB30_206:
	s_or_b64 exec, exec, s[6:7]
	s_and_saveexec_b64 s[6:7], s[4:5]
	s_cbranch_execz .LBB30_208
.LBB30_207:
	v_bfe_u32 v6, v4, 8, 3
	v_ffbh_u32_e32 v10, v6
	v_min_u32_e32 v10, 32, v10
	v_lshrrev_b16_e32 v7, 3, v3
	v_subrev_u32_e32 v11, 28, v10
	v_and_b32_e32 v7, 15, v7
	v_lshlrev_b32_e32 v3, v11, v3
	v_sub_u32_e32 v10, 29, v10
	v_and_b32_e32 v3, 7, v3
	v_cmp_eq_u16_e32 vcc, 0, v7
	v_cndmask_b32_e32 v3, v6, v3, vcc
	v_cndmask_b32_e32 v6, v7, v10, vcc
	v_lshlrev_b32_e32 v7, 16, v4
	v_mov_b32_e32 v10, 0x3b800000
	v_lshlrev_b32_e32 v3, 20, v3
	v_and_b32_e32 v7, 0x80000000, v7
	v_lshl_add_u32 v6, v6, 23, v10
	v_or3_b32 v6, v7, v6, v3
.LBB30_208:
	s_or_b64 exec, exec, s[6:7]
	s_nop 0
	v_mfma_f32_16x16x4f32 a[0:3], v2, v6, a[0:3]
	s_movk_i32 s4, 0xff
	v_and_b32_sdwa v3, v8, s4 dst_sel:DWORD dst_unused:UNUSED_PAD src0_sel:WORD_1 src1_sel:DWORD
	s_movk_i32 s4, 0x7f
	v_cmp_lt_i16_e32 vcc, s4, v3
	s_mov_b64 s[4:5], 0
                                        ; implicit-def: $sgpr10
	s_and_saveexec_b64 s[6:7], vcc
	s_xor_b64 s[6:7], exec, s[6:7]
	s_cbranch_execnz .LBB30_2257
; %bb.209:
	s_or_saveexec_b64 s[6:7], s[6:7]
	v_mov_b32_e32 v2, s10
	s_xor_b64 exec, exec, s[6:7]
	s_cbranch_execnz .LBB30_2260
.LBB30_210:
	s_or_b64 exec, exec, s[6:7]
	s_and_saveexec_b64 s[6:7], s[4:5]
	s_cbranch_execz .LBB30_212
.LBB30_211:
	v_bfe_u32 v2, v8, 16, 3
	v_ffbh_u32_e32 v7, v2
	v_min_u32_e32 v7, 32, v7
	v_lshrrev_b32_e32 v3, 19, v8
	v_subrev_u32_e32 v10, 28, v7
	v_and_b32_e32 v3, 15, v3
	v_lshlrev_b32_sdwa v10, v10, v8 dst_sel:DWORD dst_unused:UNUSED_PAD src0_sel:DWORD src1_sel:WORD_1
	v_bfe_u32 v6, v8, 19, 4
	v_sub_u32_e32 v7, 29, v7
	v_and_b32_e32 v10, 7, v10
	v_cmp_eq_u16_e32 vcc, 0, v3
	v_cndmask_b32_e32 v2, v2, v10, vcc
	v_cndmask_b32_e32 v3, v6, v7, vcc
	v_lshlrev_b32_e32 v6, 8, v8
	v_mov_b32_e32 v7, 0x3b800000
	v_lshlrev_b32_e32 v2, 20, v2
	v_and_b32_e32 v6, 0x80000000, v6
	v_lshl_add_u32 v3, v3, 23, v7
	v_or3_b32 v2, v6, v3, v2
.LBB30_212:
	s_or_b64 exec, exec, s[6:7]
	s_movk_i32 s4, 0xff
	v_and_b32_sdwa v3, v4, s4 dst_sel:DWORD dst_unused:UNUSED_PAD src0_sel:WORD_1 src1_sel:DWORD
	s_movk_i32 s4, 0x7f
	v_cmp_lt_i16_e32 vcc, s4, v3
	s_mov_b64 s[4:5], 0
                                        ; implicit-def: $sgpr10
	s_and_saveexec_b64 s[6:7], vcc
	s_xor_b64 s[6:7], exec, s[6:7]
	s_cbranch_execnz .LBB30_2261
; %bb.213:
	s_or_saveexec_b64 s[6:7], s[6:7]
	v_mov_b32_e32 v6, s10
	s_xor_b64 exec, exec, s[6:7]
	s_cbranch_execnz .LBB30_2264
.LBB30_214:
	s_or_b64 exec, exec, s[6:7]
	s_and_saveexec_b64 s[6:7], s[4:5]
	s_cbranch_execz .LBB30_216
.LBB30_215:
	v_bfe_u32 v3, v4, 16, 3
	v_ffbh_u32_e32 v10, v3
	v_min_u32_e32 v10, 32, v10
	v_lshrrev_b32_e32 v6, 19, v4
	v_subrev_u32_e32 v11, 28, v10
	v_and_b32_e32 v6, 15, v6
	v_lshlrev_b32_sdwa v11, v11, v4 dst_sel:DWORD dst_unused:UNUSED_PAD src0_sel:DWORD src1_sel:WORD_1
	v_bfe_u32 v7, v4, 19, 4
	v_sub_u32_e32 v10, 29, v10
	v_and_b32_e32 v11, 7, v11
	v_cmp_eq_u16_e32 vcc, 0, v6
	v_cndmask_b32_e32 v3, v3, v11, vcc
	v_cndmask_b32_e32 v6, v7, v10, vcc
	v_lshlrev_b32_e32 v7, 8, v4
	v_mov_b32_e32 v10, 0x3b800000
	v_lshlrev_b32_e32 v3, 20, v3
	v_and_b32_e32 v7, 0x80000000, v7
	v_lshl_add_u32 v6, v6, 23, v10
	v_or3_b32 v6, v7, v6, v3
.LBB30_216:
	s_or_b64 exec, exec, s[6:7]
	s_nop 0
	v_mfma_f32_16x16x4f32 a[0:3], v2, v6, a[0:3]
	s_movk_i32 s4, 0x7f
	v_cmp_gt_i16_sdwa s[6:7], v8, s4 src0_sel:BYTE_3 src1_sel:DWORD
	s_mov_b64 s[4:5], 0
                                        ; implicit-def: $sgpr10
	s_and_saveexec_b64 s[8:9], s[6:7]
	s_xor_b64 s[6:7], exec, s[8:9]
	s_cbranch_execnz .LBB30_2265
; %bb.217:
	s_or_saveexec_b64 s[6:7], s[6:7]
	v_mov_b32_e32 v2, s10
	s_xor_b64 exec, exec, s[6:7]
	s_cbranch_execnz .LBB30_2268
.LBB30_218:
	s_or_b64 exec, exec, s[6:7]
	s_and_saveexec_b64 s[6:7], s[4:5]
	s_cbranch_execz .LBB30_220
.LBB30_219:
	v_bfe_u32 v2, v8, 24, 3
	v_ffbh_u32_e32 v10, v2
	v_min_u32_e32 v10, 32, v10
	v_lshrrev_b32_e32 v6, 27, v8
	v_subrev_u32_e32 v11, 28, v10
	v_and_b32_e32 v3, 0x80000000, v8
	v_and_b32_e32 v6, 15, v6
	v_bfe_u32 v7, v8, 27, 4
	v_lshlrev_b32_sdwa v8, v11, v8 dst_sel:DWORD dst_unused:UNUSED_PAD src0_sel:DWORD src1_sel:BYTE_3
	v_sub_u32_e32 v10, 29, v10
	v_and_b32_e32 v8, 7, v8
	v_cmp_eq_u16_e32 vcc, 0, v6
	v_cndmask_b32_e32 v2, v2, v8, vcc
	v_cndmask_b32_e32 v6, v7, v10, vcc
	v_mov_b32_e32 v7, 0x3b800000
	v_lshlrev_b32_e32 v2, 20, v2
	v_lshl_add_u32 v6, v6, 23, v7
	v_or3_b32 v2, v3, v6, v2
.LBB30_220:
	s_or_b64 exec, exec, s[6:7]
	s_movk_i32 s4, 0x7f
	v_cmp_gt_i16_sdwa s[6:7], v4, s4 src0_sel:BYTE_3 src1_sel:DWORD
	s_mov_b64 s[4:5], 0
                                        ; implicit-def: $sgpr10
	s_and_saveexec_b64 s[8:9], s[6:7]
	s_xor_b64 s[6:7], exec, s[8:9]
	s_cbranch_execnz .LBB30_2269
; %bb.221:
	s_or_saveexec_b64 s[6:7], s[6:7]
	v_mov_b32_e32 v3, s10
	s_xor_b64 exec, exec, s[6:7]
	s_cbranch_execnz .LBB30_2272
.LBB30_222:
	s_or_b64 exec, exec, s[6:7]
	s_and_saveexec_b64 s[6:7], s[4:5]
	s_cbranch_execz .LBB30_224
.LBB30_223:
	v_bfe_u32 v3, v4, 24, 3
	v_ffbh_u32_e32 v10, v3
	v_min_u32_e32 v10, 32, v10
	v_lshrrev_b32_e32 v7, 27, v4
	v_subrev_u32_e32 v11, 28, v10
	v_and_b32_e32 v6, 0x80000000, v4
	v_and_b32_e32 v7, 15, v7
	v_bfe_u32 v8, v4, 27, 4
	v_lshlrev_b32_sdwa v4, v11, v4 dst_sel:DWORD dst_unused:UNUSED_PAD src0_sel:DWORD src1_sel:BYTE_3
	v_sub_u32_e32 v10, 29, v10
	v_and_b32_e32 v4, 7, v4
	v_cmp_eq_u16_e32 vcc, 0, v7
	v_cndmask_b32_e32 v3, v3, v4, vcc
	v_cndmask_b32_e32 v4, v8, v10, vcc
	v_mov_b32_e32 v7, 0x3b800000
	v_lshlrev_b32_e32 v3, 20, v3
	v_lshl_add_u32 v4, v4, 23, v7
	v_or3_b32 v3, v6, v4, v3
.LBB30_224:
	s_or_b64 exec, exec, s[6:7]
	s_nop 0
	v_mfma_f32_16x16x4f32 a[0:3], v2, v3, a[0:3]
	s_movk_i32 s4, 0x7f
	v_cmp_gt_i16_sdwa s[6:7], v9, s4 src0_sel:BYTE_0 src1_sel:DWORD
	s_mov_b64 s[4:5], 0
                                        ; implicit-def: $sgpr10
	s_and_saveexec_b64 s[8:9], s[6:7]
	s_xor_b64 s[6:7], exec, s[8:9]
	s_cbranch_execnz .LBB30_2273
; %bb.225:
	s_or_saveexec_b64 s[6:7], s[6:7]
	v_mov_b32_e32 v2, s10
	s_xor_b64 exec, exec, s[6:7]
	s_cbranch_execnz .LBB30_2276
.LBB30_226:
	s_or_b64 exec, exec, s[6:7]
	s_and_saveexec_b64 s[6:7], s[4:5]
	s_cbranch_execz .LBB30_228
.LBB30_227:
	v_mov_b32_e32 v2, 8
	v_and_b32_e32 v3, 7, v9
	v_lshrrev_b32_sdwa v2, v2, v9 dst_sel:BYTE_1 dst_unused:UNUSED_PAD src0_sel:DWORD src1_sel:DWORD
	v_ffbh_u32_e32 v4, v3
	v_or_b32_sdwa v2, v9, v2 dst_sel:DWORD dst_unused:UNUSED_PAD src0_sel:BYTE_0 src1_sel:DWORD
	v_min_u32_e32 v4, 32, v4
	v_lshrrev_b16_e32 v2, 3, v2
	v_subrev_u32_e32 v6, 28, v4
	v_and_b32_e32 v2, 15, v2
	v_lshlrev_b32_e32 v6, v6, v9
	v_sub_u32_e32 v4, 29, v4
	v_and_b32_e32 v6, 7, v6
	v_cmp_eq_u16_e32 vcc, 0, v2
	v_cndmask_b32_e32 v3, v3, v6, vcc
	v_cndmask_b32_e32 v2, v2, v4, vcc
	v_lshlrev_b32_e32 v4, 24, v9
	v_mov_b32_e32 v6, 0x3b800000
	v_lshlrev_b32_e32 v3, 20, v3
	v_and_b32_e32 v4, 0x80000000, v4
	v_lshl_add_u32 v2, v2, 23, v6
	v_or3_b32 v2, v4, v2, v3
.LBB30_228:
	s_or_b64 exec, exec, s[6:7]
	s_movk_i32 s4, 0x7f
	v_cmp_gt_i16_sdwa s[6:7], v5, s4 src0_sel:BYTE_0 src1_sel:DWORD
	s_mov_b64 s[4:5], 0
                                        ; implicit-def: $sgpr10
	s_and_saveexec_b64 s[8:9], s[6:7]
	s_xor_b64 s[6:7], exec, s[8:9]
	s_cbranch_execnz .LBB30_2277
; %bb.229:
	s_or_saveexec_b64 s[6:7], s[6:7]
	v_mov_b32_e32 v3, s10
	s_xor_b64 exec, exec, s[6:7]
	s_cbranch_execnz .LBB30_2280
.LBB30_230:
	s_or_b64 exec, exec, s[6:7]
	s_and_saveexec_b64 s[6:7], s[4:5]
	s_cbranch_execz .LBB30_232
.LBB30_231:
	v_mov_b32_e32 v3, 8
	v_and_b32_e32 v4, 7, v5
	v_lshrrev_b32_sdwa v3, v3, v5 dst_sel:BYTE_1 dst_unused:UNUSED_PAD src0_sel:DWORD src1_sel:DWORD
	v_ffbh_u32_e32 v6, v4
	v_or_b32_sdwa v3, v5, v3 dst_sel:DWORD dst_unused:UNUSED_PAD src0_sel:BYTE_0 src1_sel:DWORD
	v_min_u32_e32 v6, 32, v6
	v_lshrrev_b16_e32 v3, 3, v3
	v_subrev_u32_e32 v7, 28, v6
	v_and_b32_e32 v3, 15, v3
	v_lshlrev_b32_e32 v7, v7, v5
	v_sub_u32_e32 v6, 29, v6
	v_and_b32_e32 v7, 7, v7
	v_cmp_eq_u16_e32 vcc, 0, v3
	v_cndmask_b32_e32 v4, v4, v7, vcc
	v_cndmask_b32_e32 v3, v3, v6, vcc
	v_lshlrev_b32_e32 v6, 24, v5
	v_mov_b32_e32 v7, 0x3b800000
	v_lshlrev_b32_e32 v4, 20, v4
	v_and_b32_e32 v6, 0x80000000, v6
	v_lshl_add_u32 v3, v3, 23, v7
	v_or3_b32 v3, v6, v3, v4
.LBB30_232:
	s_or_b64 exec, exec, s[6:7]
	s_nop 0
	v_mfma_f32_16x16x4f32 a[0:3], v2, v3, a[0:3]
	v_lshrrev_b32_e32 v3, 8, v9
	s_movk_i32 s4, 0x7f
	v_cmp_gt_i16_sdwa s[6:7], v3, s4 src0_sel:BYTE_0 src1_sel:DWORD
	s_mov_b64 s[4:5], 0
                                        ; implicit-def: $sgpr10
	s_and_saveexec_b64 s[8:9], s[6:7]
	s_xor_b64 s[6:7], exec, s[8:9]
	s_cbranch_execnz .LBB30_2281
; %bb.233:
	s_or_saveexec_b64 s[6:7], s[6:7]
	v_mov_b32_e32 v2, s10
	s_xor_b64 exec, exec, s[6:7]
	s_cbranch_execnz .LBB30_2284
.LBB30_234:
	s_or_b64 exec, exec, s[6:7]
	s_and_saveexec_b64 s[6:7], s[4:5]
	s_cbranch_execz .LBB30_236
.LBB30_235:
	v_bfe_u32 v2, v9, 8, 3
	v_ffbh_u32_e32 v6, v2
	v_min_u32_e32 v6, 32, v6
	v_lshrrev_b16_e32 v4, 3, v3
	v_subrev_u32_e32 v7, 28, v6
	v_and_b32_e32 v4, 15, v4
	v_lshlrev_b32_e32 v3, v7, v3
	v_sub_u32_e32 v6, 29, v6
	v_and_b32_e32 v3, 7, v3
	v_cmp_eq_u16_e32 vcc, 0, v4
	v_cndmask_b32_e32 v2, v2, v3, vcc
	v_cndmask_b32_e32 v3, v4, v6, vcc
	v_lshlrev_b32_e32 v4, 16, v9
	v_mov_b32_e32 v6, 0x3b800000
	v_lshlrev_b32_e32 v2, 20, v2
	v_and_b32_e32 v4, 0x80000000, v4
	v_lshl_add_u32 v3, v3, 23, v6
	v_or3_b32 v2, v4, v3, v2
.LBB30_236:
	s_or_b64 exec, exec, s[6:7]
	v_lshrrev_b32_e32 v3, 8, v5
	s_movk_i32 s4, 0x7f
	v_cmp_gt_i16_sdwa s[6:7], v3, s4 src0_sel:BYTE_0 src1_sel:DWORD
	s_mov_b64 s[4:5], 0
                                        ; implicit-def: $sgpr10
	s_and_saveexec_b64 s[8:9], s[6:7]
	s_xor_b64 s[6:7], exec, s[8:9]
	s_cbranch_execnz .LBB30_2285
; %bb.237:
	s_or_saveexec_b64 s[6:7], s[6:7]
	v_mov_b32_e32 v4, s10
	s_xor_b64 exec, exec, s[6:7]
	s_cbranch_execnz .LBB30_2288
.LBB30_238:
	s_or_b64 exec, exec, s[6:7]
	s_and_saveexec_b64 s[6:7], s[4:5]
	s_cbranch_execz .LBB30_240
.LBB30_239:
	v_bfe_u32 v4, v5, 8, 3
	v_ffbh_u32_e32 v7, v4
	v_min_u32_e32 v7, 32, v7
	v_lshrrev_b16_e32 v6, 3, v3
	v_subrev_u32_e32 v8, 28, v7
	v_and_b32_e32 v6, 15, v6
	v_lshlrev_b32_e32 v3, v8, v3
	v_sub_u32_e32 v7, 29, v7
	v_and_b32_e32 v3, 7, v3
	v_cmp_eq_u16_e32 vcc, 0, v6
	v_cndmask_b32_e32 v3, v4, v3, vcc
	v_cndmask_b32_e32 v4, v6, v7, vcc
	v_lshlrev_b32_e32 v6, 16, v5
	v_mov_b32_e32 v7, 0x3b800000
	v_lshlrev_b32_e32 v3, 20, v3
	v_and_b32_e32 v6, 0x80000000, v6
	v_lshl_add_u32 v4, v4, 23, v7
	v_or3_b32 v4, v6, v4, v3
.LBB30_240:
	s_or_b64 exec, exec, s[6:7]
	s_nop 0
	v_mfma_f32_16x16x4f32 a[0:3], v2, v4, a[0:3]
	s_movk_i32 s4, 0xff
	v_and_b32_sdwa v3, v9, s4 dst_sel:DWORD dst_unused:UNUSED_PAD src0_sel:WORD_1 src1_sel:DWORD
	s_movk_i32 s4, 0x7f
	v_cmp_lt_i16_e32 vcc, s4, v3
	s_mov_b64 s[4:5], 0
                                        ; implicit-def: $sgpr10
	s_and_saveexec_b64 s[6:7], vcc
	s_xor_b64 s[6:7], exec, s[6:7]
	s_cbranch_execnz .LBB30_2289
; %bb.241:
	s_or_saveexec_b64 s[6:7], s[6:7]
	v_mov_b32_e32 v2, s10
	s_xor_b64 exec, exec, s[6:7]
	s_cbranch_execnz .LBB30_2292
.LBB30_242:
	s_or_b64 exec, exec, s[6:7]
	s_and_saveexec_b64 s[6:7], s[4:5]
	s_cbranch_execz .LBB30_244
.LBB30_243:
	v_bfe_u32 v2, v9, 16, 3
	v_ffbh_u32_e32 v6, v2
	v_min_u32_e32 v6, 32, v6
	v_lshrrev_b32_e32 v3, 19, v9
	v_subrev_u32_e32 v7, 28, v6
	v_and_b32_e32 v3, 15, v3
	v_lshlrev_b32_sdwa v7, v7, v9 dst_sel:DWORD dst_unused:UNUSED_PAD src0_sel:DWORD src1_sel:WORD_1
	v_bfe_u32 v4, v9, 19, 4
	v_sub_u32_e32 v6, 29, v6
	v_and_b32_e32 v7, 7, v7
	v_cmp_eq_u16_e32 vcc, 0, v3
	v_cndmask_b32_e32 v2, v2, v7, vcc
	v_cndmask_b32_e32 v3, v4, v6, vcc
	v_lshlrev_b32_e32 v4, 8, v9
	v_mov_b32_e32 v6, 0x3b800000
	v_lshlrev_b32_e32 v2, 20, v2
	v_and_b32_e32 v4, 0x80000000, v4
	v_lshl_add_u32 v3, v3, 23, v6
	v_or3_b32 v2, v4, v3, v2
.LBB30_244:
	s_or_b64 exec, exec, s[6:7]
	s_movk_i32 s4, 0xff
	v_and_b32_sdwa v3, v5, s4 dst_sel:DWORD dst_unused:UNUSED_PAD src0_sel:WORD_1 src1_sel:DWORD
	s_movk_i32 s4, 0x7f
	v_cmp_lt_i16_e32 vcc, s4, v3
	s_mov_b64 s[4:5], 0
                                        ; implicit-def: $sgpr10
	s_and_saveexec_b64 s[6:7], vcc
	s_xor_b64 s[6:7], exec, s[6:7]
	s_cbranch_execnz .LBB30_2293
; %bb.245:
	s_or_saveexec_b64 s[6:7], s[6:7]
	v_mov_b32_e32 v4, s10
	s_xor_b64 exec, exec, s[6:7]
	s_cbranch_execnz .LBB30_2296
.LBB30_246:
	s_or_b64 exec, exec, s[6:7]
	s_and_saveexec_b64 s[6:7], s[4:5]
	s_cbranch_execz .LBB30_248
.LBB30_247:
	v_bfe_u32 v3, v5, 16, 3
	v_ffbh_u32_e32 v7, v3
	v_min_u32_e32 v7, 32, v7
	v_lshrrev_b32_e32 v4, 19, v5
	v_subrev_u32_e32 v8, 28, v7
	v_and_b32_e32 v4, 15, v4
	v_lshlrev_b32_sdwa v8, v8, v5 dst_sel:DWORD dst_unused:UNUSED_PAD src0_sel:DWORD src1_sel:WORD_1
	v_bfe_u32 v6, v5, 19, 4
	v_sub_u32_e32 v7, 29, v7
	v_and_b32_e32 v8, 7, v8
	v_cmp_eq_u16_e32 vcc, 0, v4
	v_cndmask_b32_e32 v3, v3, v8, vcc
	v_cndmask_b32_e32 v4, v6, v7, vcc
	v_lshlrev_b32_e32 v6, 8, v5
	v_mov_b32_e32 v7, 0x3b800000
	v_lshlrev_b32_e32 v3, 20, v3
	v_and_b32_e32 v6, 0x80000000, v6
	v_lshl_add_u32 v4, v4, 23, v7
	v_or3_b32 v4, v6, v4, v3
.LBB30_248:
	s_or_b64 exec, exec, s[6:7]
	s_nop 0
	v_mfma_f32_16x16x4f32 a[0:3], v2, v4, a[0:3]
	s_movk_i32 s4, 0x7f
	v_cmp_gt_i16_sdwa s[6:7], v9, s4 src0_sel:BYTE_3 src1_sel:DWORD
	s_mov_b64 s[4:5], 0
                                        ; implicit-def: $sgpr10
	s_and_saveexec_b64 s[8:9], s[6:7]
	s_xor_b64 s[6:7], exec, s[8:9]
	s_cbranch_execnz .LBB30_2297
; %bb.249:
	s_or_saveexec_b64 s[6:7], s[6:7]
	v_mov_b32_e32 v2, s10
	s_xor_b64 exec, exec, s[6:7]
	s_cbranch_execnz .LBB30_2300
.LBB30_250:
	s_or_b64 exec, exec, s[6:7]
	s_and_saveexec_b64 s[6:7], s[4:5]
	s_cbranch_execz .LBB30_252
.LBB30_251:
	v_bfe_u32 v2, v9, 24, 3
	v_ffbh_u32_e32 v7, v2
	v_min_u32_e32 v7, 32, v7
	v_lshrrev_b32_e32 v4, 27, v9
	v_subrev_u32_e32 v8, 28, v7
	v_and_b32_e32 v4, 15, v4
	v_lshlrev_b32_sdwa v8, v8, v9 dst_sel:DWORD dst_unused:UNUSED_PAD src0_sel:DWORD src1_sel:BYTE_3
	v_bfe_u32 v6, v9, 27, 4
	v_sub_u32_e32 v7, 29, v7
	v_and_b32_e32 v8, 7, v8
	v_cmp_eq_u16_e32 vcc, 0, v4
	v_cndmask_b32_e32 v2, v2, v8, vcc
	v_cndmask_b32_e32 v4, v6, v7, vcc
	v_mov_b32_e32 v6, 0x3b800000
	v_and_b32_e32 v3, 0x80000000, v9
	v_lshlrev_b32_e32 v2, 20, v2
	v_lshl_add_u32 v4, v4, 23, v6
	v_or3_b32 v2, v3, v4, v2
.LBB30_252:
	s_or_b64 exec, exec, s[6:7]
	s_movk_i32 s4, 0x7f
	v_cmp_gt_i16_sdwa s[6:7], v5, s4 src0_sel:BYTE_3 src1_sel:DWORD
	s_mov_b64 s[4:5], 0
                                        ; implicit-def: $sgpr10
	s_and_saveexec_b64 s[8:9], s[6:7]
	s_xor_b64 s[6:7], exec, s[8:9]
	s_cbranch_execnz .LBB30_2301
; %bb.253:
	s_or_saveexec_b64 s[6:7], s[6:7]
	v_mov_b32_e32 v3, s10
	s_xor_b64 exec, exec, s[6:7]
	s_cbranch_execnz .LBB30_2304
.LBB30_254:
	s_or_b64 exec, exec, s[6:7]
	s_and_saveexec_b64 s[6:7], s[4:5]
	s_cbranch_execz .LBB30_256
.LBB30_255:
	v_bfe_u32 v3, v5, 24, 3
	v_ffbh_u32_e32 v8, v3
	v_min_u32_e32 v8, 32, v8
	v_lshrrev_b32_e32 v6, 27, v5
	v_subrev_u32_e32 v9, 28, v8
	v_and_b32_e32 v4, 0x80000000, v5
	v_and_b32_e32 v6, 15, v6
	v_bfe_u32 v7, v5, 27, 4
	v_lshlrev_b32_sdwa v5, v9, v5 dst_sel:DWORD dst_unused:UNUSED_PAD src0_sel:DWORD src1_sel:BYTE_3
	v_sub_u32_e32 v8, 29, v8
	v_and_b32_e32 v5, 7, v5
	v_cmp_eq_u16_e32 vcc, 0, v6
	v_cndmask_b32_e32 v3, v3, v5, vcc
	v_cndmask_b32_e32 v5, v7, v8, vcc
	v_mov_b32_e32 v6, 0x3b800000
	v_lshlrev_b32_e32 v3, 20, v3
	v_lshl_add_u32 v5, v5, 23, v6
	v_or3_b32 v3, v4, v5, v3
.LBB30_256:
	s_or_b64 exec, exec, s[6:7]
	s_nop 0
	v_mfma_f32_16x16x4f32 a[0:3], v2, v3, a[0:3]
	s_movk_i32 s4, 0x7f
                                        ; implicit-def: $sgpr10
	s_nop 7
	s_nop 1
	flat_store_dwordx4 v[18:19], a[0:3] offset:256
	flat_load_dwordx4 v[20:23], v[0:1] offset:16
	s_nop 0
	flat_load_dwordx2 v[18:19], v[0:1] offset:32
	s_waitcnt vmcnt(0) lgkmcnt(0)
	flat_load_dwordx4 v[14:17], v[20:21]
	flat_load_dwordx4 v[6:9], v[20:21] offset:16
	flat_load_dwordx4 v[10:13], v[22:23] offset:32
	;; [unrolled: 1-line block ×3, first 2 shown]
	s_waitcnt vmcnt(0) lgkmcnt(0)
	v_cmp_gt_i16_sdwa s[6:7], v14, s4 src0_sel:BYTE_0 src1_sel:DWORD
	s_mov_b64 s[4:5], 0
	s_and_saveexec_b64 s[8:9], s[6:7]
	s_xor_b64 s[6:7], exec, s[8:9]
	s_cbranch_execnz .LBB30_2305
; %bb.257:
	s_or_saveexec_b64 s[6:7], s[6:7]
	v_mov_b32_e32 v20, s10
	s_xor_b64 exec, exec, s[6:7]
	s_cbranch_execnz .LBB30_2308
.LBB30_258:
	s_or_b64 exec, exec, s[6:7]
	s_and_saveexec_b64 s[6:7], s[4:5]
	s_cbranch_execz .LBB30_260
.LBB30_259:
	v_and_b32_e32 v20, 7, v14
	v_ffbh_u32_e32 v22, v20
	v_min_u32_e32 v22, 32, v22
	v_lshrrev_b16_e32 v21, 3, v14
	v_subrev_u32_e32 v23, 28, v22
	v_and_b32_e32 v21, 15, v21
	v_lshlrev_b32_e32 v23, v23, v14
	v_sub_u32_e32 v22, 29, v22
	v_and_b32_e32 v23, 7, v23
	v_cmp_eq_u16_e32 vcc, 0, v21
	v_cndmask_b32_e32 v20, v20, v23, vcc
	v_cndmask_b32_e32 v21, v21, v22, vcc
	v_lshlrev_b32_e32 v22, 24, v14
	v_mov_b32_e32 v23, 0x3b800000
	v_lshlrev_b32_e32 v20, 20, v20
	v_and_b32_e32 v22, 0x80000000, v22
	v_lshl_add_u32 v21, v21, 23, v23
	v_or3_b32 v20, v22, v21, v20
.LBB30_260:
	s_or_b64 exec, exec, s[6:7]
	s_movk_i32 s4, 0x7f
	v_cmp_gt_i16_sdwa s[6:7], v10, s4 src0_sel:BYTE_0 src1_sel:DWORD
	s_mov_b64 s[4:5], 0
                                        ; implicit-def: $sgpr10
	s_and_saveexec_b64 s[8:9], s[6:7]
	s_xor_b64 s[6:7], exec, s[8:9]
	s_cbranch_execnz .LBB30_2309
; %bb.261:
	s_or_saveexec_b64 s[6:7], s[6:7]
	v_mov_b32_e32 v21, s10
	s_xor_b64 exec, exec, s[6:7]
	s_cbranch_execnz .LBB30_2312
.LBB30_262:
	s_or_b64 exec, exec, s[6:7]
	s_and_saveexec_b64 s[6:7], s[4:5]
	s_cbranch_execz .LBB30_264
.LBB30_263:
	v_and_b32_e32 v21, 7, v10
	v_ffbh_u32_e32 v23, v21
	v_min_u32_e32 v23, 32, v23
	v_lshrrev_b16_e32 v22, 3, v10
	v_subrev_u32_e32 v24, 28, v23
	v_and_b32_e32 v22, 15, v22
	v_lshlrev_b32_e32 v24, v24, v10
	v_sub_u32_e32 v23, 29, v23
	v_and_b32_e32 v24, 7, v24
	v_cmp_eq_u16_e32 vcc, 0, v22
	v_cndmask_b32_e32 v21, v21, v24, vcc
	v_cndmask_b32_e32 v22, v22, v23, vcc
	v_lshlrev_b32_e32 v23, 24, v10
	v_mov_b32_e32 v24, 0x3b800000
	v_lshlrev_b32_e32 v21, 20, v21
	v_and_b32_e32 v23, 0x80000000, v23
	v_lshl_add_u32 v22, v22, 23, v24
	v_or3_b32 v21, v23, v22, v21
.LBB30_264:
	s_or_b64 exec, exec, s[6:7]
	flat_load_dwordx4 a[0:3], v[18:19] offset:272
	s_movk_i32 s4, 0x7f
                                        ; implicit-def: $sgpr10
	s_waitcnt vmcnt(0) lgkmcnt(0)
	v_mfma_f32_16x16x4f32 a[0:3], v20, v21, a[0:3]
	v_lshrrev_b32_e32 v21, 8, v14
	v_cmp_gt_i16_sdwa s[6:7], v21, s4 src0_sel:BYTE_0 src1_sel:DWORD
	s_mov_b64 s[4:5], 0
	s_and_saveexec_b64 s[8:9], s[6:7]
	s_xor_b64 s[6:7], exec, s[8:9]
	s_cbranch_execnz .LBB30_2313
; %bb.265:
	s_or_saveexec_b64 s[6:7], s[6:7]
	v_mov_b32_e32 v20, s10
	s_xor_b64 exec, exec, s[6:7]
	s_cbranch_execnz .LBB30_2316
.LBB30_266:
	s_or_b64 exec, exec, s[6:7]
	s_and_saveexec_b64 s[6:7], s[4:5]
	s_cbranch_execz .LBB30_268
.LBB30_267:
	v_bfe_u32 v20, v14, 8, 3
	v_ffbh_u32_e32 v23, v20
	v_min_u32_e32 v23, 32, v23
	v_lshrrev_b16_e32 v22, 3, v21
	v_subrev_u32_e32 v24, 28, v23
	v_and_b32_e32 v22, 15, v22
	v_lshlrev_b32_e32 v21, v24, v21
	v_sub_u32_e32 v23, 29, v23
	v_and_b32_e32 v21, 7, v21
	v_cmp_eq_u16_e32 vcc, 0, v22
	v_cndmask_b32_e32 v20, v20, v21, vcc
	v_cndmask_b32_e32 v21, v22, v23, vcc
	v_lshlrev_b32_e32 v22, 16, v14
	v_mov_b32_e32 v23, 0x3b800000
	v_lshlrev_b32_e32 v20, 20, v20
	v_and_b32_e32 v22, 0x80000000, v22
	v_lshl_add_u32 v21, v21, 23, v23
	v_or3_b32 v20, v22, v21, v20
.LBB30_268:
	s_or_b64 exec, exec, s[6:7]
	v_lshrrev_b32_e32 v21, 8, v10
	s_movk_i32 s4, 0x7f
	v_cmp_gt_i16_sdwa s[6:7], v21, s4 src0_sel:BYTE_0 src1_sel:DWORD
	s_mov_b64 s[4:5], 0
                                        ; implicit-def: $sgpr10
	s_and_saveexec_b64 s[8:9], s[6:7]
	s_xor_b64 s[6:7], exec, s[8:9]
	s_cbranch_execnz .LBB30_2317
; %bb.269:
	s_or_saveexec_b64 s[6:7], s[6:7]
	v_mov_b32_e32 v22, s10
	s_xor_b64 exec, exec, s[6:7]
	s_cbranch_execnz .LBB30_2320
.LBB30_270:
	s_or_b64 exec, exec, s[6:7]
	s_and_saveexec_b64 s[6:7], s[4:5]
	s_cbranch_execz .LBB30_272
.LBB30_271:
	v_bfe_u32 v22, v10, 8, 3
	v_ffbh_u32_e32 v24, v22
	v_min_u32_e32 v24, 32, v24
	v_lshrrev_b16_e32 v23, 3, v21
	v_subrev_u32_e32 v25, 28, v24
	v_and_b32_e32 v23, 15, v23
	v_lshlrev_b32_e32 v21, v25, v21
	v_sub_u32_e32 v24, 29, v24
	v_and_b32_e32 v21, 7, v21
	v_cmp_eq_u16_e32 vcc, 0, v23
	v_cndmask_b32_e32 v21, v22, v21, vcc
	v_cndmask_b32_e32 v22, v23, v24, vcc
	v_lshlrev_b32_e32 v23, 16, v10
	v_mov_b32_e32 v24, 0x3b800000
	v_lshlrev_b32_e32 v21, 20, v21
	v_and_b32_e32 v23, 0x80000000, v23
	v_lshl_add_u32 v22, v22, 23, v24
	v_or3_b32 v22, v23, v22, v21
.LBB30_272:
	s_or_b64 exec, exec, s[6:7]
	s_nop 0
	v_mfma_f32_16x16x4f32 a[0:3], v20, v22, a[0:3]
	s_movk_i32 s4, 0xff
	v_and_b32_sdwa v21, v14, s4 dst_sel:DWORD dst_unused:UNUSED_PAD src0_sel:WORD_1 src1_sel:DWORD
	s_movk_i32 s4, 0x7f
	v_cmp_lt_i16_e32 vcc, s4, v21
	s_mov_b64 s[4:5], 0
                                        ; implicit-def: $sgpr10
	s_and_saveexec_b64 s[6:7], vcc
	s_xor_b64 s[6:7], exec, s[6:7]
	s_cbranch_execnz .LBB30_2321
; %bb.273:
	s_or_saveexec_b64 s[6:7], s[6:7]
	v_mov_b32_e32 v20, s10
	s_xor_b64 exec, exec, s[6:7]
	s_cbranch_execnz .LBB30_2324
.LBB30_274:
	s_or_b64 exec, exec, s[6:7]
	s_and_saveexec_b64 s[6:7], s[4:5]
	s_cbranch_execz .LBB30_276
.LBB30_275:
	v_bfe_u32 v20, v14, 16, 3
	v_ffbh_u32_e32 v23, v20
	v_min_u32_e32 v23, 32, v23
	v_lshrrev_b32_e32 v21, 19, v14
	v_subrev_u32_e32 v24, 28, v23
	v_and_b32_e32 v21, 15, v21
	v_lshlrev_b32_sdwa v24, v24, v14 dst_sel:DWORD dst_unused:UNUSED_PAD src0_sel:DWORD src1_sel:WORD_1
	v_bfe_u32 v22, v14, 19, 4
	v_sub_u32_e32 v23, 29, v23
	v_and_b32_e32 v24, 7, v24
	v_cmp_eq_u16_e32 vcc, 0, v21
	v_cndmask_b32_e32 v20, v20, v24, vcc
	v_cndmask_b32_e32 v21, v22, v23, vcc
	v_lshlrev_b32_e32 v22, 8, v14
	v_mov_b32_e32 v23, 0x3b800000
	v_lshlrev_b32_e32 v20, 20, v20
	v_and_b32_e32 v22, 0x80000000, v22
	v_lshl_add_u32 v21, v21, 23, v23
	v_or3_b32 v20, v22, v21, v20
.LBB30_276:
	s_or_b64 exec, exec, s[6:7]
	s_movk_i32 s4, 0xff
	v_and_b32_sdwa v21, v10, s4 dst_sel:DWORD dst_unused:UNUSED_PAD src0_sel:WORD_1 src1_sel:DWORD
	s_movk_i32 s4, 0x7f
	v_cmp_lt_i16_e32 vcc, s4, v21
	s_mov_b64 s[4:5], 0
                                        ; implicit-def: $sgpr10
	s_and_saveexec_b64 s[6:7], vcc
	s_xor_b64 s[6:7], exec, s[6:7]
	s_cbranch_execnz .LBB30_2325
; %bb.277:
	s_or_saveexec_b64 s[6:7], s[6:7]
	v_mov_b32_e32 v22, s10
	s_xor_b64 exec, exec, s[6:7]
	s_cbranch_execnz .LBB30_2328
.LBB30_278:
	s_or_b64 exec, exec, s[6:7]
	s_and_saveexec_b64 s[6:7], s[4:5]
	s_cbranch_execz .LBB30_280
.LBB30_279:
	v_bfe_u32 v21, v10, 16, 3
	v_ffbh_u32_e32 v24, v21
	v_min_u32_e32 v24, 32, v24
	v_lshrrev_b32_e32 v22, 19, v10
	v_subrev_u32_e32 v25, 28, v24
	v_and_b32_e32 v22, 15, v22
	v_lshlrev_b32_sdwa v25, v25, v10 dst_sel:DWORD dst_unused:UNUSED_PAD src0_sel:DWORD src1_sel:WORD_1
	v_bfe_u32 v23, v10, 19, 4
	v_sub_u32_e32 v24, 29, v24
	v_and_b32_e32 v25, 7, v25
	v_cmp_eq_u16_e32 vcc, 0, v22
	v_cndmask_b32_e32 v21, v21, v25, vcc
	v_cndmask_b32_e32 v22, v23, v24, vcc
	v_lshlrev_b32_e32 v23, 8, v10
	v_mov_b32_e32 v24, 0x3b800000
	v_lshlrev_b32_e32 v21, 20, v21
	v_and_b32_e32 v23, 0x80000000, v23
	v_lshl_add_u32 v22, v22, 23, v24
	v_or3_b32 v22, v23, v22, v21
.LBB30_280:
	s_or_b64 exec, exec, s[6:7]
	s_nop 0
	v_mfma_f32_16x16x4f32 a[0:3], v20, v22, a[0:3]
	s_movk_i32 s4, 0x7f
	v_cmp_gt_i16_sdwa s[6:7], v14, s4 src0_sel:BYTE_3 src1_sel:DWORD
	s_mov_b64 s[4:5], 0
                                        ; implicit-def: $sgpr10
	s_and_saveexec_b64 s[8:9], s[6:7]
	s_xor_b64 s[6:7], exec, s[8:9]
	s_cbranch_execnz .LBB30_2329
; %bb.281:
	s_or_saveexec_b64 s[6:7], s[6:7]
	v_mov_b32_e32 v20, s10
	s_xor_b64 exec, exec, s[6:7]
	s_cbranch_execnz .LBB30_2332
.LBB30_282:
	s_or_b64 exec, exec, s[6:7]
	s_and_saveexec_b64 s[6:7], s[4:5]
	s_cbranch_execz .LBB30_284
.LBB30_283:
	v_bfe_u32 v20, v14, 24, 3
	v_ffbh_u32_e32 v24, v20
	v_min_u32_e32 v24, 32, v24
	v_lshrrev_b32_e32 v22, 27, v14
	v_subrev_u32_e32 v25, 28, v24
	v_and_b32_e32 v21, 0x80000000, v14
	v_and_b32_e32 v22, 15, v22
	v_bfe_u32 v23, v14, 27, 4
	v_lshlrev_b32_sdwa v14, v25, v14 dst_sel:DWORD dst_unused:UNUSED_PAD src0_sel:DWORD src1_sel:BYTE_3
	v_sub_u32_e32 v24, 29, v24
	v_and_b32_e32 v14, 7, v14
	v_cmp_eq_u16_e32 vcc, 0, v22
	v_cndmask_b32_e32 v14, v20, v14, vcc
	v_cndmask_b32_e32 v20, v23, v24, vcc
	v_mov_b32_e32 v22, 0x3b800000
	v_lshlrev_b32_e32 v14, 20, v14
	v_lshl_add_u32 v20, v20, 23, v22
	v_or3_b32 v20, v21, v20, v14
.LBB30_284:
	s_or_b64 exec, exec, s[6:7]
	s_movk_i32 s4, 0x7f
	v_cmp_gt_i16_sdwa s[6:7], v10, s4 src0_sel:BYTE_3 src1_sel:DWORD
	s_mov_b64 s[4:5], 0
                                        ; implicit-def: $sgpr10
	s_and_saveexec_b64 s[8:9], s[6:7]
	s_xor_b64 s[6:7], exec, s[8:9]
	s_cbranch_execnz .LBB30_2333
; %bb.285:
	s_or_saveexec_b64 s[6:7], s[6:7]
	v_mov_b32_e32 v14, s10
	s_xor_b64 exec, exec, s[6:7]
	s_cbranch_execnz .LBB30_2336
.LBB30_286:
	s_or_b64 exec, exec, s[6:7]
	s_and_saveexec_b64 s[6:7], s[4:5]
	s_cbranch_execz .LBB30_288
.LBB30_287:
	v_bfe_u32 v14, v10, 24, 3
	v_ffbh_u32_e32 v24, v14
	v_min_u32_e32 v24, 32, v24
	v_lshrrev_b32_e32 v22, 27, v10
	v_subrev_u32_e32 v25, 28, v24
	v_and_b32_e32 v21, 0x80000000, v10
	v_and_b32_e32 v22, 15, v22
	v_bfe_u32 v23, v10, 27, 4
	v_lshlrev_b32_sdwa v10, v25, v10 dst_sel:DWORD dst_unused:UNUSED_PAD src0_sel:DWORD src1_sel:BYTE_3
	v_sub_u32_e32 v24, 29, v24
	v_and_b32_e32 v10, 7, v10
	v_cmp_eq_u16_e32 vcc, 0, v22
	v_cndmask_b32_e32 v10, v14, v10, vcc
	v_cndmask_b32_e32 v14, v23, v24, vcc
	v_mov_b32_e32 v22, 0x3b800000
	v_lshlrev_b32_e32 v10, 20, v10
	v_lshl_add_u32 v14, v14, 23, v22
	v_or3_b32 v14, v21, v14, v10
.LBB30_288:
	s_or_b64 exec, exec, s[6:7]
	s_nop 0
	v_mfma_f32_16x16x4f32 a[0:3], v20, v14, a[0:3]
	s_movk_i32 s4, 0x7f
	v_cmp_gt_i16_sdwa s[6:7], v15, s4 src0_sel:BYTE_0 src1_sel:DWORD
	s_mov_b64 s[4:5], 0
                                        ; implicit-def: $sgpr10
	s_and_saveexec_b64 s[8:9], s[6:7]
	s_xor_b64 s[6:7], exec, s[8:9]
	s_cbranch_execnz .LBB30_2337
; %bb.289:
	s_or_saveexec_b64 s[6:7], s[6:7]
	v_mov_b32_e32 v10, s10
	s_xor_b64 exec, exec, s[6:7]
	s_cbranch_execnz .LBB30_2340
.LBB30_290:
	s_or_b64 exec, exec, s[6:7]
	s_and_saveexec_b64 s[6:7], s[4:5]
	s_cbranch_execz .LBB30_292
.LBB30_291:
	v_and_b32_e32 v10, 7, v15
	v_ffbh_u32_e32 v20, v10
	v_min_u32_e32 v20, 32, v20
	v_lshrrev_b16_e32 v14, 3, v15
	v_subrev_u32_e32 v21, 28, v20
	v_and_b32_e32 v14, 15, v14
	v_lshlrev_b32_e32 v21, v21, v15
	v_sub_u32_e32 v20, 29, v20
	v_and_b32_e32 v21, 7, v21
	v_cmp_eq_u16_e32 vcc, 0, v14
	v_cndmask_b32_e32 v10, v10, v21, vcc
	v_cndmask_b32_e32 v14, v14, v20, vcc
	v_lshlrev_b32_e32 v20, 24, v15
	v_mov_b32_e32 v21, 0x3b800000
	v_lshlrev_b32_e32 v10, 20, v10
	v_and_b32_e32 v20, 0x80000000, v20
	v_lshl_add_u32 v14, v14, 23, v21
	v_or3_b32 v10, v20, v14, v10
.LBB30_292:
	s_or_b64 exec, exec, s[6:7]
	s_movk_i32 s4, 0x7f
	v_cmp_gt_i16_sdwa s[6:7], v11, s4 src0_sel:BYTE_0 src1_sel:DWORD
	s_mov_b64 s[4:5], 0
                                        ; implicit-def: $sgpr10
	s_and_saveexec_b64 s[8:9], s[6:7]
	s_xor_b64 s[6:7], exec, s[8:9]
	s_cbranch_execnz .LBB30_2341
; %bb.293:
	s_or_saveexec_b64 s[6:7], s[6:7]
	v_mov_b32_e32 v14, s10
	s_xor_b64 exec, exec, s[6:7]
	s_cbranch_execnz .LBB30_2344
.LBB30_294:
	s_or_b64 exec, exec, s[6:7]
	s_and_saveexec_b64 s[6:7], s[4:5]
	s_cbranch_execz .LBB30_296
.LBB30_295:
	v_and_b32_e32 v14, 7, v11
	v_ffbh_u32_e32 v21, v14
	v_min_u32_e32 v21, 32, v21
	v_lshrrev_b16_e32 v20, 3, v11
	v_subrev_u32_e32 v22, 28, v21
	v_and_b32_e32 v20, 15, v20
	v_lshlrev_b32_e32 v22, v22, v11
	v_sub_u32_e32 v21, 29, v21
	v_and_b32_e32 v22, 7, v22
	v_cmp_eq_u16_e32 vcc, 0, v20
	v_cndmask_b32_e32 v14, v14, v22, vcc
	v_cndmask_b32_e32 v20, v20, v21, vcc
	v_lshlrev_b32_e32 v21, 24, v11
	v_mov_b32_e32 v22, 0x3b800000
	v_lshlrev_b32_e32 v14, 20, v14
	v_and_b32_e32 v21, 0x80000000, v21
	v_lshl_add_u32 v20, v20, 23, v22
	v_or3_b32 v14, v21, v20, v14
.LBB30_296:
	s_or_b64 exec, exec, s[6:7]
	s_nop 0
	v_mfma_f32_16x16x4f32 a[0:3], v10, v14, a[0:3]
	v_lshrrev_b32_e32 v14, 8, v15
	s_movk_i32 s4, 0x7f
	v_cmp_gt_i16_sdwa s[6:7], v14, s4 src0_sel:BYTE_0 src1_sel:DWORD
	s_mov_b64 s[4:5], 0
                                        ; implicit-def: $sgpr10
	s_and_saveexec_b64 s[8:9], s[6:7]
	s_xor_b64 s[6:7], exec, s[8:9]
	s_cbranch_execnz .LBB30_2345
; %bb.297:
	s_or_saveexec_b64 s[6:7], s[6:7]
	v_mov_b32_e32 v10, s10
	s_xor_b64 exec, exec, s[6:7]
	s_cbranch_execnz .LBB30_2348
.LBB30_298:
	s_or_b64 exec, exec, s[6:7]
	s_and_saveexec_b64 s[6:7], s[4:5]
	s_cbranch_execz .LBB30_300
.LBB30_299:
	v_bfe_u32 v10, v15, 8, 3
	v_ffbh_u32_e32 v21, v10
	v_min_u32_e32 v21, 32, v21
	v_lshrrev_b16_e32 v20, 3, v14
	v_subrev_u32_e32 v22, 28, v21
	v_and_b32_e32 v20, 15, v20
	v_lshlrev_b32_e32 v14, v22, v14
	v_sub_u32_e32 v21, 29, v21
	v_and_b32_e32 v14, 7, v14
	v_cmp_eq_u16_e32 vcc, 0, v20
	v_cndmask_b32_e32 v10, v10, v14, vcc
	v_cndmask_b32_e32 v14, v20, v21, vcc
	v_lshlrev_b32_e32 v20, 16, v15
	v_mov_b32_e32 v21, 0x3b800000
	v_lshlrev_b32_e32 v10, 20, v10
	v_and_b32_e32 v20, 0x80000000, v20
	v_lshl_add_u32 v14, v14, 23, v21
	v_or3_b32 v10, v20, v14, v10
.LBB30_300:
	s_or_b64 exec, exec, s[6:7]
	v_lshrrev_b32_e32 v14, 8, v11
	s_movk_i32 s4, 0x7f
	v_cmp_gt_i16_sdwa s[6:7], v14, s4 src0_sel:BYTE_0 src1_sel:DWORD
	s_mov_b64 s[4:5], 0
                                        ; implicit-def: $sgpr10
	s_and_saveexec_b64 s[8:9], s[6:7]
	s_xor_b64 s[6:7], exec, s[8:9]
	s_cbranch_execnz .LBB30_2349
; %bb.301:
	s_or_saveexec_b64 s[6:7], s[6:7]
	v_mov_b32_e32 v20, s10
	s_xor_b64 exec, exec, s[6:7]
	s_cbranch_execnz .LBB30_2352
.LBB30_302:
	s_or_b64 exec, exec, s[6:7]
	s_and_saveexec_b64 s[6:7], s[4:5]
	s_cbranch_execz .LBB30_304
.LBB30_303:
	v_bfe_u32 v20, v11, 8, 3
	v_ffbh_u32_e32 v22, v20
	v_min_u32_e32 v22, 32, v22
	v_lshrrev_b16_e32 v21, 3, v14
	v_subrev_u32_e32 v23, 28, v22
	v_and_b32_e32 v21, 15, v21
	v_lshlrev_b32_e32 v14, v23, v14
	v_sub_u32_e32 v22, 29, v22
	v_and_b32_e32 v14, 7, v14
	v_cmp_eq_u16_e32 vcc, 0, v21
	v_cndmask_b32_e32 v14, v20, v14, vcc
	v_cndmask_b32_e32 v20, v21, v22, vcc
	v_lshlrev_b32_e32 v21, 16, v11
	v_mov_b32_e32 v22, 0x3b800000
	v_lshlrev_b32_e32 v14, 20, v14
	v_and_b32_e32 v21, 0x80000000, v21
	v_lshl_add_u32 v20, v20, 23, v22
	v_or3_b32 v20, v21, v20, v14
.LBB30_304:
	s_or_b64 exec, exec, s[6:7]
	s_nop 0
	v_mfma_f32_16x16x4f32 a[0:3], v10, v20, a[0:3]
	s_movk_i32 s4, 0xff
	v_and_b32_sdwa v14, v15, s4 dst_sel:DWORD dst_unused:UNUSED_PAD src0_sel:WORD_1 src1_sel:DWORD
	s_movk_i32 s4, 0x7f
	v_cmp_lt_i16_e32 vcc, s4, v14
	s_mov_b64 s[4:5], 0
                                        ; implicit-def: $sgpr10
	s_and_saveexec_b64 s[6:7], vcc
	s_xor_b64 s[6:7], exec, s[6:7]
	s_cbranch_execnz .LBB30_2353
; %bb.305:
	s_or_saveexec_b64 s[6:7], s[6:7]
	v_mov_b32_e32 v10, s10
	s_xor_b64 exec, exec, s[6:7]
	s_cbranch_execnz .LBB30_2356
.LBB30_306:
	s_or_b64 exec, exec, s[6:7]
	s_and_saveexec_b64 s[6:7], s[4:5]
	s_cbranch_execz .LBB30_308
.LBB30_307:
	v_bfe_u32 v10, v15, 16, 3
	v_ffbh_u32_e32 v21, v10
	v_min_u32_e32 v21, 32, v21
	v_lshrrev_b32_e32 v14, 19, v15
	v_subrev_u32_e32 v22, 28, v21
	v_and_b32_e32 v14, 15, v14
	v_lshlrev_b32_sdwa v22, v22, v15 dst_sel:DWORD dst_unused:UNUSED_PAD src0_sel:DWORD src1_sel:WORD_1
	v_bfe_u32 v20, v15, 19, 4
	v_sub_u32_e32 v21, 29, v21
	v_and_b32_e32 v22, 7, v22
	v_cmp_eq_u16_e32 vcc, 0, v14
	v_cndmask_b32_e32 v10, v10, v22, vcc
	v_cndmask_b32_e32 v14, v20, v21, vcc
	v_lshlrev_b32_e32 v20, 8, v15
	v_mov_b32_e32 v21, 0x3b800000
	v_lshlrev_b32_e32 v10, 20, v10
	v_and_b32_e32 v20, 0x80000000, v20
	v_lshl_add_u32 v14, v14, 23, v21
	v_or3_b32 v10, v20, v14, v10
.LBB30_308:
	s_or_b64 exec, exec, s[6:7]
	s_movk_i32 s4, 0xff
	v_and_b32_sdwa v14, v11, s4 dst_sel:DWORD dst_unused:UNUSED_PAD src0_sel:WORD_1 src1_sel:DWORD
	s_movk_i32 s4, 0x7f
	v_cmp_lt_i16_e32 vcc, s4, v14
	s_mov_b64 s[4:5], 0
                                        ; implicit-def: $sgpr10
	s_and_saveexec_b64 s[6:7], vcc
	s_xor_b64 s[6:7], exec, s[6:7]
	s_cbranch_execnz .LBB30_2357
; %bb.309:
	s_or_saveexec_b64 s[6:7], s[6:7]
	v_mov_b32_e32 v20, s10
	s_xor_b64 exec, exec, s[6:7]
	s_cbranch_execnz .LBB30_2360
.LBB30_310:
	s_or_b64 exec, exec, s[6:7]
	s_and_saveexec_b64 s[6:7], s[4:5]
	s_cbranch_execz .LBB30_312
.LBB30_311:
	v_bfe_u32 v14, v11, 16, 3
	v_ffbh_u32_e32 v22, v14
	v_min_u32_e32 v22, 32, v22
	v_lshrrev_b32_e32 v20, 19, v11
	v_subrev_u32_e32 v23, 28, v22
	v_and_b32_e32 v20, 15, v20
	v_lshlrev_b32_sdwa v23, v23, v11 dst_sel:DWORD dst_unused:UNUSED_PAD src0_sel:DWORD src1_sel:WORD_1
	v_bfe_u32 v21, v11, 19, 4
	v_sub_u32_e32 v22, 29, v22
	v_and_b32_e32 v23, 7, v23
	v_cmp_eq_u16_e32 vcc, 0, v20
	v_cndmask_b32_e32 v14, v14, v23, vcc
	v_cndmask_b32_e32 v20, v21, v22, vcc
	v_lshlrev_b32_e32 v21, 8, v11
	v_mov_b32_e32 v22, 0x3b800000
	v_lshlrev_b32_e32 v14, 20, v14
	v_and_b32_e32 v21, 0x80000000, v21
	v_lshl_add_u32 v20, v20, 23, v22
	v_or3_b32 v20, v21, v20, v14
.LBB30_312:
	s_or_b64 exec, exec, s[6:7]
	s_nop 0
	v_mfma_f32_16x16x4f32 a[0:3], v10, v20, a[0:3]
	s_movk_i32 s4, 0x7f
	v_cmp_gt_i16_sdwa s[6:7], v15, s4 src0_sel:BYTE_3 src1_sel:DWORD
	s_mov_b64 s[4:5], 0
                                        ; implicit-def: $sgpr10
	s_and_saveexec_b64 s[8:9], s[6:7]
	s_xor_b64 s[6:7], exec, s[8:9]
	s_cbranch_execnz .LBB30_2361
; %bb.313:
	s_or_saveexec_b64 s[6:7], s[6:7]
	v_mov_b32_e32 v10, s10
	s_xor_b64 exec, exec, s[6:7]
	s_cbranch_execnz .LBB30_2364
.LBB30_314:
	s_or_b64 exec, exec, s[6:7]
	s_and_saveexec_b64 s[6:7], s[4:5]
	s_cbranch_execz .LBB30_316
.LBB30_315:
	v_bfe_u32 v10, v15, 24, 3
	v_ffbh_u32_e32 v22, v10
	v_min_u32_e32 v22, 32, v22
	v_lshrrev_b32_e32 v20, 27, v15
	v_subrev_u32_e32 v23, 28, v22
	v_and_b32_e32 v14, 0x80000000, v15
	v_and_b32_e32 v20, 15, v20
	v_bfe_u32 v21, v15, 27, 4
	v_lshlrev_b32_sdwa v15, v23, v15 dst_sel:DWORD dst_unused:UNUSED_PAD src0_sel:DWORD src1_sel:BYTE_3
	v_sub_u32_e32 v22, 29, v22
	v_and_b32_e32 v15, 7, v15
	v_cmp_eq_u16_e32 vcc, 0, v20
	v_cndmask_b32_e32 v10, v10, v15, vcc
	v_cndmask_b32_e32 v15, v21, v22, vcc
	v_mov_b32_e32 v20, 0x3b800000
	v_lshlrev_b32_e32 v10, 20, v10
	v_lshl_add_u32 v15, v15, 23, v20
	v_or3_b32 v10, v14, v15, v10
.LBB30_316:
	s_or_b64 exec, exec, s[6:7]
	s_movk_i32 s4, 0x7f
	v_cmp_gt_i16_sdwa s[6:7], v11, s4 src0_sel:BYTE_3 src1_sel:DWORD
	s_mov_b64 s[4:5], 0
                                        ; implicit-def: $sgpr10
	s_and_saveexec_b64 s[8:9], s[6:7]
	s_xor_b64 s[6:7], exec, s[8:9]
	s_cbranch_execnz .LBB30_2365
; %bb.317:
	s_or_saveexec_b64 s[6:7], s[6:7]
	v_mov_b32_e32 v14, s10
	s_xor_b64 exec, exec, s[6:7]
	s_cbranch_execnz .LBB30_2368
.LBB30_318:
	s_or_b64 exec, exec, s[6:7]
	s_and_saveexec_b64 s[6:7], s[4:5]
	s_cbranch_execz .LBB30_320
.LBB30_319:
	v_bfe_u32 v14, v11, 24, 3
	v_ffbh_u32_e32 v22, v14
	v_min_u32_e32 v22, 32, v22
	v_lshrrev_b32_e32 v20, 27, v11
	v_subrev_u32_e32 v23, 28, v22
	v_and_b32_e32 v15, 0x80000000, v11
	v_and_b32_e32 v20, 15, v20
	v_bfe_u32 v21, v11, 27, 4
	v_lshlrev_b32_sdwa v11, v23, v11 dst_sel:DWORD dst_unused:UNUSED_PAD src0_sel:DWORD src1_sel:BYTE_3
	v_sub_u32_e32 v22, 29, v22
	v_and_b32_e32 v11, 7, v11
	v_cmp_eq_u16_e32 vcc, 0, v20
	v_cndmask_b32_e32 v11, v14, v11, vcc
	v_cndmask_b32_e32 v14, v21, v22, vcc
	v_mov_b32_e32 v20, 0x3b800000
	v_lshlrev_b32_e32 v11, 20, v11
	v_lshl_add_u32 v14, v14, 23, v20
	v_or3_b32 v14, v15, v14, v11
.LBB30_320:
	s_or_b64 exec, exec, s[6:7]
	s_nop 0
	v_mfma_f32_16x16x4f32 a[0:3], v10, v14, a[0:3]
	s_movk_i32 s4, 0x7f
	v_cmp_gt_i16_sdwa s[6:7], v16, s4 src0_sel:BYTE_0 src1_sel:DWORD
	s_mov_b64 s[4:5], 0
                                        ; implicit-def: $sgpr10
	s_and_saveexec_b64 s[8:9], s[6:7]
	s_xor_b64 s[6:7], exec, s[8:9]
	s_cbranch_execnz .LBB30_2369
; %bb.321:
	s_or_saveexec_b64 s[6:7], s[6:7]
	v_mov_b32_e32 v10, s10
	s_xor_b64 exec, exec, s[6:7]
	s_cbranch_execnz .LBB30_2372
.LBB30_322:
	s_or_b64 exec, exec, s[6:7]
	s_and_saveexec_b64 s[6:7], s[4:5]
	s_cbranch_execz .LBB30_324
.LBB30_323:
	v_and_b32_e32 v10, 7, v16
	v_ffbh_u32_e32 v14, v10
	v_min_u32_e32 v14, 32, v14
	v_lshrrev_b16_e32 v11, 3, v16
	v_subrev_u32_e32 v15, 28, v14
	v_and_b32_e32 v11, 15, v11
	v_lshlrev_b32_e32 v15, v15, v16
	v_sub_u32_e32 v14, 29, v14
	v_and_b32_e32 v15, 7, v15
	v_cmp_eq_u16_e32 vcc, 0, v11
	v_cndmask_b32_e32 v10, v10, v15, vcc
	v_cndmask_b32_e32 v11, v11, v14, vcc
	v_lshlrev_b32_e32 v14, 24, v16
	v_mov_b32_e32 v15, 0x3b800000
	v_lshlrev_b32_e32 v10, 20, v10
	v_and_b32_e32 v14, 0x80000000, v14
	v_lshl_add_u32 v11, v11, 23, v15
	v_or3_b32 v10, v14, v11, v10
.LBB30_324:
	s_or_b64 exec, exec, s[6:7]
	s_movk_i32 s4, 0x7f
	v_cmp_gt_i16_sdwa s[6:7], v12, s4 src0_sel:BYTE_0 src1_sel:DWORD
	s_mov_b64 s[4:5], 0
                                        ; implicit-def: $sgpr10
	s_and_saveexec_b64 s[8:9], s[6:7]
	s_xor_b64 s[6:7], exec, s[8:9]
	s_cbranch_execnz .LBB30_2373
; %bb.325:
	s_or_saveexec_b64 s[6:7], s[6:7]
	v_mov_b32_e32 v11, s10
	s_xor_b64 exec, exec, s[6:7]
	s_cbranch_execnz .LBB30_2376
.LBB30_326:
	s_or_b64 exec, exec, s[6:7]
	s_and_saveexec_b64 s[6:7], s[4:5]
	s_cbranch_execz .LBB30_328
.LBB30_327:
	v_and_b32_e32 v11, 7, v12
	v_ffbh_u32_e32 v15, v11
	v_min_u32_e32 v15, 32, v15
	v_lshrrev_b16_e32 v14, 3, v12
	v_subrev_u32_e32 v20, 28, v15
	v_and_b32_e32 v14, 15, v14
	v_lshlrev_b32_e32 v20, v20, v12
	v_sub_u32_e32 v15, 29, v15
	v_and_b32_e32 v20, 7, v20
	v_cmp_eq_u16_e32 vcc, 0, v14
	v_cndmask_b32_e32 v11, v11, v20, vcc
	v_cndmask_b32_e32 v14, v14, v15, vcc
	v_lshlrev_b32_e32 v15, 24, v12
	v_mov_b32_e32 v20, 0x3b800000
	v_lshlrev_b32_e32 v11, 20, v11
	v_and_b32_e32 v15, 0x80000000, v15
	v_lshl_add_u32 v14, v14, 23, v20
	v_or3_b32 v11, v15, v14, v11
.LBB30_328:
	s_or_b64 exec, exec, s[6:7]
	s_nop 0
	v_mfma_f32_16x16x4f32 a[0:3], v10, v11, a[0:3]
	v_lshrrev_b32_e32 v11, 8, v16
	s_movk_i32 s4, 0x7f
	v_cmp_gt_i16_sdwa s[6:7], v11, s4 src0_sel:BYTE_0 src1_sel:DWORD
	s_mov_b64 s[4:5], 0
                                        ; implicit-def: $sgpr10
	s_and_saveexec_b64 s[8:9], s[6:7]
	s_xor_b64 s[6:7], exec, s[8:9]
	s_cbranch_execnz .LBB30_2377
; %bb.329:
	s_or_saveexec_b64 s[6:7], s[6:7]
	v_mov_b32_e32 v10, s10
	s_xor_b64 exec, exec, s[6:7]
	s_cbranch_execnz .LBB30_2380
.LBB30_330:
	s_or_b64 exec, exec, s[6:7]
	s_and_saveexec_b64 s[6:7], s[4:5]
	s_cbranch_execz .LBB30_332
.LBB30_331:
	v_bfe_u32 v10, v16, 8, 3
	v_ffbh_u32_e32 v15, v10
	v_min_u32_e32 v15, 32, v15
	v_lshrrev_b16_e32 v14, 3, v11
	v_subrev_u32_e32 v20, 28, v15
	v_and_b32_e32 v14, 15, v14
	v_lshlrev_b32_e32 v11, v20, v11
	v_sub_u32_e32 v15, 29, v15
	v_and_b32_e32 v11, 7, v11
	v_cmp_eq_u16_e32 vcc, 0, v14
	v_cndmask_b32_e32 v10, v10, v11, vcc
	v_cndmask_b32_e32 v11, v14, v15, vcc
	v_lshlrev_b32_e32 v14, 16, v16
	v_mov_b32_e32 v15, 0x3b800000
	v_lshlrev_b32_e32 v10, 20, v10
	v_and_b32_e32 v14, 0x80000000, v14
	v_lshl_add_u32 v11, v11, 23, v15
	v_or3_b32 v10, v14, v11, v10
.LBB30_332:
	s_or_b64 exec, exec, s[6:7]
	v_lshrrev_b32_e32 v11, 8, v12
	s_movk_i32 s4, 0x7f
	v_cmp_gt_i16_sdwa s[6:7], v11, s4 src0_sel:BYTE_0 src1_sel:DWORD
	s_mov_b64 s[4:5], 0
                                        ; implicit-def: $sgpr10
	s_and_saveexec_b64 s[8:9], s[6:7]
	s_xor_b64 s[6:7], exec, s[8:9]
	s_cbranch_execnz .LBB30_2381
; %bb.333:
	s_or_saveexec_b64 s[6:7], s[6:7]
	v_mov_b32_e32 v14, s10
	s_xor_b64 exec, exec, s[6:7]
	s_cbranch_execnz .LBB30_2384
.LBB30_334:
	s_or_b64 exec, exec, s[6:7]
	s_and_saveexec_b64 s[6:7], s[4:5]
	s_cbranch_execz .LBB30_336
.LBB30_335:
	v_bfe_u32 v14, v12, 8, 3
	v_ffbh_u32_e32 v20, v14
	v_min_u32_e32 v20, 32, v20
	v_lshrrev_b16_e32 v15, 3, v11
	v_subrev_u32_e32 v21, 28, v20
	v_and_b32_e32 v15, 15, v15
	v_lshlrev_b32_e32 v11, v21, v11
	v_sub_u32_e32 v20, 29, v20
	v_and_b32_e32 v11, 7, v11
	v_cmp_eq_u16_e32 vcc, 0, v15
	v_cndmask_b32_e32 v11, v14, v11, vcc
	v_cndmask_b32_e32 v14, v15, v20, vcc
	v_lshlrev_b32_e32 v15, 16, v12
	v_mov_b32_e32 v20, 0x3b800000
	v_lshlrev_b32_e32 v11, 20, v11
	v_and_b32_e32 v15, 0x80000000, v15
	v_lshl_add_u32 v14, v14, 23, v20
	v_or3_b32 v14, v15, v14, v11
.LBB30_336:
	s_or_b64 exec, exec, s[6:7]
	s_nop 0
	v_mfma_f32_16x16x4f32 a[0:3], v10, v14, a[0:3]
	s_movk_i32 s4, 0xff
	v_and_b32_sdwa v11, v16, s4 dst_sel:DWORD dst_unused:UNUSED_PAD src0_sel:WORD_1 src1_sel:DWORD
	s_movk_i32 s4, 0x7f
	v_cmp_lt_i16_e32 vcc, s4, v11
	s_mov_b64 s[4:5], 0
                                        ; implicit-def: $sgpr10
	s_and_saveexec_b64 s[6:7], vcc
	s_xor_b64 s[6:7], exec, s[6:7]
	s_cbranch_execnz .LBB30_2385
; %bb.337:
	s_or_saveexec_b64 s[6:7], s[6:7]
	v_mov_b32_e32 v10, s10
	s_xor_b64 exec, exec, s[6:7]
	s_cbranch_execnz .LBB30_2388
.LBB30_338:
	s_or_b64 exec, exec, s[6:7]
	s_and_saveexec_b64 s[6:7], s[4:5]
	s_cbranch_execz .LBB30_340
.LBB30_339:
	v_bfe_u32 v10, v16, 16, 3
	v_ffbh_u32_e32 v15, v10
	v_min_u32_e32 v15, 32, v15
	v_lshrrev_b32_e32 v11, 19, v16
	v_subrev_u32_e32 v20, 28, v15
	v_and_b32_e32 v11, 15, v11
	v_lshlrev_b32_sdwa v20, v20, v16 dst_sel:DWORD dst_unused:UNUSED_PAD src0_sel:DWORD src1_sel:WORD_1
	v_bfe_u32 v14, v16, 19, 4
	v_sub_u32_e32 v15, 29, v15
	v_and_b32_e32 v20, 7, v20
	v_cmp_eq_u16_e32 vcc, 0, v11
	v_cndmask_b32_e32 v10, v10, v20, vcc
	v_cndmask_b32_e32 v11, v14, v15, vcc
	v_lshlrev_b32_e32 v14, 8, v16
	v_mov_b32_e32 v15, 0x3b800000
	v_lshlrev_b32_e32 v10, 20, v10
	v_and_b32_e32 v14, 0x80000000, v14
	v_lshl_add_u32 v11, v11, 23, v15
	v_or3_b32 v10, v14, v11, v10
.LBB30_340:
	s_or_b64 exec, exec, s[6:7]
	s_movk_i32 s4, 0xff
	v_and_b32_sdwa v11, v12, s4 dst_sel:DWORD dst_unused:UNUSED_PAD src0_sel:WORD_1 src1_sel:DWORD
	s_movk_i32 s4, 0x7f
	v_cmp_lt_i16_e32 vcc, s4, v11
	s_mov_b64 s[4:5], 0
                                        ; implicit-def: $sgpr10
	s_and_saveexec_b64 s[6:7], vcc
	s_xor_b64 s[6:7], exec, s[6:7]
	s_cbranch_execnz .LBB30_2389
; %bb.341:
	s_or_saveexec_b64 s[6:7], s[6:7]
	v_mov_b32_e32 v14, s10
	s_xor_b64 exec, exec, s[6:7]
	s_cbranch_execnz .LBB30_2392
.LBB30_342:
	s_or_b64 exec, exec, s[6:7]
	s_and_saveexec_b64 s[6:7], s[4:5]
	s_cbranch_execz .LBB30_344
.LBB30_343:
	v_bfe_u32 v11, v12, 16, 3
	v_ffbh_u32_e32 v20, v11
	v_min_u32_e32 v20, 32, v20
	v_lshrrev_b32_e32 v14, 19, v12
	v_subrev_u32_e32 v21, 28, v20
	v_and_b32_e32 v14, 15, v14
	v_lshlrev_b32_sdwa v21, v21, v12 dst_sel:DWORD dst_unused:UNUSED_PAD src0_sel:DWORD src1_sel:WORD_1
	v_bfe_u32 v15, v12, 19, 4
	v_sub_u32_e32 v20, 29, v20
	v_and_b32_e32 v21, 7, v21
	v_cmp_eq_u16_e32 vcc, 0, v14
	v_cndmask_b32_e32 v11, v11, v21, vcc
	v_cndmask_b32_e32 v14, v15, v20, vcc
	v_lshlrev_b32_e32 v15, 8, v12
	v_mov_b32_e32 v20, 0x3b800000
	v_lshlrev_b32_e32 v11, 20, v11
	v_and_b32_e32 v15, 0x80000000, v15
	v_lshl_add_u32 v14, v14, 23, v20
	v_or3_b32 v14, v15, v14, v11
.LBB30_344:
	s_or_b64 exec, exec, s[6:7]
	s_nop 0
	v_mfma_f32_16x16x4f32 a[0:3], v10, v14, a[0:3]
	s_movk_i32 s4, 0x7f
	v_cmp_gt_i16_sdwa s[6:7], v16, s4 src0_sel:BYTE_3 src1_sel:DWORD
	s_mov_b64 s[4:5], 0
                                        ; implicit-def: $sgpr10
	s_and_saveexec_b64 s[8:9], s[6:7]
	s_xor_b64 s[6:7], exec, s[8:9]
	s_cbranch_execnz .LBB30_2393
; %bb.345:
	s_or_saveexec_b64 s[6:7], s[6:7]
	v_mov_b32_e32 v10, s10
	s_xor_b64 exec, exec, s[6:7]
	s_cbranch_execnz .LBB30_2396
.LBB30_346:
	s_or_b64 exec, exec, s[6:7]
	s_and_saveexec_b64 s[6:7], s[4:5]
	s_cbranch_execz .LBB30_348
.LBB30_347:
	v_bfe_u32 v10, v16, 24, 3
	v_ffbh_u32_e32 v20, v10
	v_min_u32_e32 v20, 32, v20
	v_lshrrev_b32_e32 v14, 27, v16
	v_subrev_u32_e32 v21, 28, v20
	v_and_b32_e32 v11, 0x80000000, v16
	v_and_b32_e32 v14, 15, v14
	v_bfe_u32 v15, v16, 27, 4
	v_lshlrev_b32_sdwa v16, v21, v16 dst_sel:DWORD dst_unused:UNUSED_PAD src0_sel:DWORD src1_sel:BYTE_3
	v_sub_u32_e32 v20, 29, v20
	v_and_b32_e32 v16, 7, v16
	v_cmp_eq_u16_e32 vcc, 0, v14
	v_cndmask_b32_e32 v10, v10, v16, vcc
	v_cndmask_b32_e32 v14, v15, v20, vcc
	v_mov_b32_e32 v15, 0x3b800000
	v_lshlrev_b32_e32 v10, 20, v10
	v_lshl_add_u32 v14, v14, 23, v15
	v_or3_b32 v10, v11, v14, v10
.LBB30_348:
	s_or_b64 exec, exec, s[6:7]
	s_movk_i32 s4, 0x7f
	v_cmp_gt_i16_sdwa s[6:7], v12, s4 src0_sel:BYTE_3 src1_sel:DWORD
	s_mov_b64 s[4:5], 0
                                        ; implicit-def: $sgpr10
	s_and_saveexec_b64 s[8:9], s[6:7]
	s_xor_b64 s[6:7], exec, s[8:9]
	s_cbranch_execnz .LBB30_2397
; %bb.349:
	s_or_saveexec_b64 s[6:7], s[6:7]
	v_mov_b32_e32 v11, s10
	s_xor_b64 exec, exec, s[6:7]
	s_cbranch_execnz .LBB30_2400
.LBB30_350:
	s_or_b64 exec, exec, s[6:7]
	s_and_saveexec_b64 s[6:7], s[4:5]
	s_cbranch_execz .LBB30_352
.LBB30_351:
	v_bfe_u32 v11, v12, 24, 3
	v_ffbh_u32_e32 v20, v11
	v_min_u32_e32 v20, 32, v20
	v_lshrrev_b32_e32 v15, 27, v12
	v_subrev_u32_e32 v21, 28, v20
	v_and_b32_e32 v14, 0x80000000, v12
	v_and_b32_e32 v15, 15, v15
	v_bfe_u32 v16, v12, 27, 4
	v_lshlrev_b32_sdwa v12, v21, v12 dst_sel:DWORD dst_unused:UNUSED_PAD src0_sel:DWORD src1_sel:BYTE_3
	v_sub_u32_e32 v20, 29, v20
	v_and_b32_e32 v12, 7, v12
	v_cmp_eq_u16_e32 vcc, 0, v15
	v_cndmask_b32_e32 v11, v11, v12, vcc
	v_cndmask_b32_e32 v12, v16, v20, vcc
	v_mov_b32_e32 v15, 0x3b800000
	v_lshlrev_b32_e32 v11, 20, v11
	v_lshl_add_u32 v12, v12, 23, v15
	v_or3_b32 v11, v14, v12, v11
.LBB30_352:
	s_or_b64 exec, exec, s[6:7]
	s_nop 0
	v_mfma_f32_16x16x4f32 a[0:3], v10, v11, a[0:3]
	s_movk_i32 s4, 0x7f
	v_cmp_gt_i16_sdwa s[6:7], v17, s4 src0_sel:BYTE_0 src1_sel:DWORD
	s_mov_b64 s[4:5], 0
                                        ; implicit-def: $sgpr10
	s_and_saveexec_b64 s[8:9], s[6:7]
	s_xor_b64 s[6:7], exec, s[8:9]
	s_cbranch_execnz .LBB30_2401
; %bb.353:
	s_or_saveexec_b64 s[6:7], s[6:7]
	v_mov_b32_e32 v10, s10
	s_xor_b64 exec, exec, s[6:7]
	s_cbranch_execnz .LBB30_2404
.LBB30_354:
	s_or_b64 exec, exec, s[6:7]
	s_and_saveexec_b64 s[6:7], s[4:5]
	s_cbranch_execz .LBB30_356
.LBB30_355:
	v_and_b32_e32 v10, 7, v17
	v_ffbh_u32_e32 v12, v10
	v_min_u32_e32 v12, 32, v12
	v_lshrrev_b16_e32 v11, 3, v17
	v_subrev_u32_e32 v14, 28, v12
	v_and_b32_e32 v11, 15, v11
	v_lshlrev_b32_e32 v14, v14, v17
	v_sub_u32_e32 v12, 29, v12
	v_and_b32_e32 v14, 7, v14
	v_cmp_eq_u16_e32 vcc, 0, v11
	v_cndmask_b32_e32 v10, v10, v14, vcc
	v_cndmask_b32_e32 v11, v11, v12, vcc
	v_lshlrev_b32_e32 v12, 24, v17
	v_mov_b32_e32 v14, 0x3b800000
	v_lshlrev_b32_e32 v10, 20, v10
	v_and_b32_e32 v12, 0x80000000, v12
	v_lshl_add_u32 v11, v11, 23, v14
	v_or3_b32 v10, v12, v11, v10
.LBB30_356:
	s_or_b64 exec, exec, s[6:7]
	s_movk_i32 s4, 0x7f
	v_cmp_gt_i16_sdwa s[6:7], v13, s4 src0_sel:BYTE_0 src1_sel:DWORD
	s_mov_b64 s[4:5], 0
                                        ; implicit-def: $sgpr10
	s_and_saveexec_b64 s[8:9], s[6:7]
	s_xor_b64 s[6:7], exec, s[8:9]
	s_cbranch_execnz .LBB30_2405
; %bb.357:
	s_or_saveexec_b64 s[6:7], s[6:7]
	v_mov_b32_e32 v11, s10
	s_xor_b64 exec, exec, s[6:7]
	s_cbranch_execnz .LBB30_2408
.LBB30_358:
	s_or_b64 exec, exec, s[6:7]
	s_and_saveexec_b64 s[6:7], s[4:5]
	s_cbranch_execz .LBB30_360
.LBB30_359:
	v_and_b32_e32 v11, 7, v13
	v_ffbh_u32_e32 v14, v11
	v_min_u32_e32 v14, 32, v14
	v_lshrrev_b16_e32 v12, 3, v13
	v_subrev_u32_e32 v15, 28, v14
	v_and_b32_e32 v12, 15, v12
	v_lshlrev_b32_e32 v15, v15, v13
	v_sub_u32_e32 v14, 29, v14
	v_and_b32_e32 v15, 7, v15
	v_cmp_eq_u16_e32 vcc, 0, v12
	v_cndmask_b32_e32 v11, v11, v15, vcc
	v_cndmask_b32_e32 v12, v12, v14, vcc
	v_lshlrev_b32_e32 v14, 24, v13
	v_mov_b32_e32 v15, 0x3b800000
	v_lshlrev_b32_e32 v11, 20, v11
	v_and_b32_e32 v14, 0x80000000, v14
	v_lshl_add_u32 v12, v12, 23, v15
	v_or3_b32 v11, v14, v12, v11
.LBB30_360:
	s_or_b64 exec, exec, s[6:7]
	s_nop 0
	v_mfma_f32_16x16x4f32 a[0:3], v10, v11, a[0:3]
	v_lshrrev_b32_e32 v11, 8, v17
	s_movk_i32 s4, 0x7f
	v_cmp_gt_i16_sdwa s[6:7], v11, s4 src0_sel:BYTE_0 src1_sel:DWORD
	s_mov_b64 s[4:5], 0
                                        ; implicit-def: $sgpr10
	s_and_saveexec_b64 s[8:9], s[6:7]
	s_xor_b64 s[6:7], exec, s[8:9]
	s_cbranch_execnz .LBB30_2409
; %bb.361:
	s_or_saveexec_b64 s[6:7], s[6:7]
	v_mov_b32_e32 v10, s10
	s_xor_b64 exec, exec, s[6:7]
	s_cbranch_execnz .LBB30_2412
.LBB30_362:
	s_or_b64 exec, exec, s[6:7]
	s_and_saveexec_b64 s[6:7], s[4:5]
	s_cbranch_execz .LBB30_364
.LBB30_363:
	v_bfe_u32 v10, v17, 8, 3
	v_ffbh_u32_e32 v14, v10
	v_min_u32_e32 v14, 32, v14
	v_lshrrev_b16_e32 v12, 3, v11
	v_subrev_u32_e32 v15, 28, v14
	v_and_b32_e32 v12, 15, v12
	v_lshlrev_b32_e32 v11, v15, v11
	v_sub_u32_e32 v14, 29, v14
	v_and_b32_e32 v11, 7, v11
	v_cmp_eq_u16_e32 vcc, 0, v12
	v_cndmask_b32_e32 v10, v10, v11, vcc
	v_cndmask_b32_e32 v11, v12, v14, vcc
	v_lshlrev_b32_e32 v12, 16, v17
	v_mov_b32_e32 v14, 0x3b800000
	v_lshlrev_b32_e32 v10, 20, v10
	v_and_b32_e32 v12, 0x80000000, v12
	v_lshl_add_u32 v11, v11, 23, v14
	v_or3_b32 v10, v12, v11, v10
.LBB30_364:
	s_or_b64 exec, exec, s[6:7]
	v_lshrrev_b32_e32 v11, 8, v13
	s_movk_i32 s4, 0x7f
	v_cmp_gt_i16_sdwa s[6:7], v11, s4 src0_sel:BYTE_0 src1_sel:DWORD
	s_mov_b64 s[4:5], 0
                                        ; implicit-def: $sgpr10
	s_and_saveexec_b64 s[8:9], s[6:7]
	s_xor_b64 s[6:7], exec, s[8:9]
	s_cbranch_execnz .LBB30_2413
; %bb.365:
	s_or_saveexec_b64 s[6:7], s[6:7]
	v_mov_b32_e32 v12, s10
	s_xor_b64 exec, exec, s[6:7]
	s_cbranch_execnz .LBB30_2416
.LBB30_366:
	s_or_b64 exec, exec, s[6:7]
	s_and_saveexec_b64 s[6:7], s[4:5]
	s_cbranch_execz .LBB30_368
.LBB30_367:
	v_bfe_u32 v12, v13, 8, 3
	v_ffbh_u32_e32 v15, v12
	v_min_u32_e32 v15, 32, v15
	v_lshrrev_b16_e32 v14, 3, v11
	v_subrev_u32_e32 v16, 28, v15
	v_and_b32_e32 v14, 15, v14
	v_lshlrev_b32_e32 v11, v16, v11
	v_sub_u32_e32 v15, 29, v15
	v_and_b32_e32 v11, 7, v11
	v_cmp_eq_u16_e32 vcc, 0, v14
	v_cndmask_b32_e32 v11, v12, v11, vcc
	v_cndmask_b32_e32 v12, v14, v15, vcc
	v_lshlrev_b32_e32 v14, 16, v13
	v_mov_b32_e32 v15, 0x3b800000
	v_lshlrev_b32_e32 v11, 20, v11
	v_and_b32_e32 v14, 0x80000000, v14
	v_lshl_add_u32 v12, v12, 23, v15
	v_or3_b32 v12, v14, v12, v11
.LBB30_368:
	s_or_b64 exec, exec, s[6:7]
	s_nop 0
	v_mfma_f32_16x16x4f32 a[0:3], v10, v12, a[0:3]
	s_movk_i32 s4, 0xff
	v_and_b32_sdwa v11, v17, s4 dst_sel:DWORD dst_unused:UNUSED_PAD src0_sel:WORD_1 src1_sel:DWORD
	s_movk_i32 s4, 0x7f
	v_cmp_lt_i16_e32 vcc, s4, v11
	s_mov_b64 s[4:5], 0
                                        ; implicit-def: $sgpr10
	s_and_saveexec_b64 s[6:7], vcc
	s_xor_b64 s[6:7], exec, s[6:7]
	s_cbranch_execnz .LBB30_2417
; %bb.369:
	s_or_saveexec_b64 s[6:7], s[6:7]
	v_mov_b32_e32 v10, s10
	s_xor_b64 exec, exec, s[6:7]
	s_cbranch_execnz .LBB30_2420
.LBB30_370:
	s_or_b64 exec, exec, s[6:7]
	s_and_saveexec_b64 s[6:7], s[4:5]
	s_cbranch_execz .LBB30_372
.LBB30_371:
	v_bfe_u32 v10, v17, 16, 3
	v_ffbh_u32_e32 v14, v10
	v_min_u32_e32 v14, 32, v14
	v_lshrrev_b32_e32 v11, 19, v17
	v_subrev_u32_e32 v15, 28, v14
	v_and_b32_e32 v11, 15, v11
	v_lshlrev_b32_sdwa v15, v15, v17 dst_sel:DWORD dst_unused:UNUSED_PAD src0_sel:DWORD src1_sel:WORD_1
	v_bfe_u32 v12, v17, 19, 4
	v_sub_u32_e32 v14, 29, v14
	v_and_b32_e32 v15, 7, v15
	v_cmp_eq_u16_e32 vcc, 0, v11
	v_cndmask_b32_e32 v10, v10, v15, vcc
	v_cndmask_b32_e32 v11, v12, v14, vcc
	v_lshlrev_b32_e32 v12, 8, v17
	v_mov_b32_e32 v14, 0x3b800000
	v_lshlrev_b32_e32 v10, 20, v10
	v_and_b32_e32 v12, 0x80000000, v12
	v_lshl_add_u32 v11, v11, 23, v14
	v_or3_b32 v10, v12, v11, v10
.LBB30_372:
	s_or_b64 exec, exec, s[6:7]
	s_movk_i32 s4, 0xff
	v_and_b32_sdwa v11, v13, s4 dst_sel:DWORD dst_unused:UNUSED_PAD src0_sel:WORD_1 src1_sel:DWORD
	s_movk_i32 s4, 0x7f
	v_cmp_lt_i16_e32 vcc, s4, v11
	s_mov_b64 s[4:5], 0
                                        ; implicit-def: $sgpr10
	s_and_saveexec_b64 s[6:7], vcc
	s_xor_b64 s[6:7], exec, s[6:7]
	s_cbranch_execnz .LBB30_2421
; %bb.373:
	s_or_saveexec_b64 s[6:7], s[6:7]
	v_mov_b32_e32 v12, s10
	s_xor_b64 exec, exec, s[6:7]
	s_cbranch_execnz .LBB30_2424
.LBB30_374:
	s_or_b64 exec, exec, s[6:7]
	s_and_saveexec_b64 s[6:7], s[4:5]
	s_cbranch_execz .LBB30_376
.LBB30_375:
	v_bfe_u32 v11, v13, 16, 3
	v_ffbh_u32_e32 v15, v11
	v_min_u32_e32 v15, 32, v15
	v_lshrrev_b32_e32 v12, 19, v13
	v_subrev_u32_e32 v16, 28, v15
	v_and_b32_e32 v12, 15, v12
	v_lshlrev_b32_sdwa v16, v16, v13 dst_sel:DWORD dst_unused:UNUSED_PAD src0_sel:DWORD src1_sel:WORD_1
	v_bfe_u32 v14, v13, 19, 4
	v_sub_u32_e32 v15, 29, v15
	v_and_b32_e32 v16, 7, v16
	v_cmp_eq_u16_e32 vcc, 0, v12
	v_cndmask_b32_e32 v11, v11, v16, vcc
	v_cndmask_b32_e32 v12, v14, v15, vcc
	v_lshlrev_b32_e32 v14, 8, v13
	v_mov_b32_e32 v15, 0x3b800000
	v_lshlrev_b32_e32 v11, 20, v11
	v_and_b32_e32 v14, 0x80000000, v14
	v_lshl_add_u32 v12, v12, 23, v15
	v_or3_b32 v12, v14, v12, v11
.LBB30_376:
	s_or_b64 exec, exec, s[6:7]
	s_nop 0
	v_mfma_f32_16x16x4f32 a[0:3], v10, v12, a[0:3]
	s_movk_i32 s4, 0x7f
	v_cmp_gt_i16_sdwa s[6:7], v17, s4 src0_sel:BYTE_3 src1_sel:DWORD
	s_mov_b64 s[4:5], 0
                                        ; implicit-def: $sgpr10
	s_and_saveexec_b64 s[8:9], s[6:7]
	s_xor_b64 s[6:7], exec, s[8:9]
	s_cbranch_execnz .LBB30_2425
; %bb.377:
	s_or_saveexec_b64 s[6:7], s[6:7]
	v_mov_b32_e32 v10, s10
	s_xor_b64 exec, exec, s[6:7]
	s_cbranch_execnz .LBB30_2428
.LBB30_378:
	s_or_b64 exec, exec, s[6:7]
	s_and_saveexec_b64 s[6:7], s[4:5]
	s_cbranch_execz .LBB30_380
.LBB30_379:
	v_bfe_u32 v10, v17, 24, 3
	v_ffbh_u32_e32 v15, v10
	v_min_u32_e32 v15, 32, v15
	v_lshrrev_b32_e32 v12, 27, v17
	v_subrev_u32_e32 v16, 28, v15
	v_and_b32_e32 v12, 15, v12
	v_lshlrev_b32_sdwa v16, v16, v17 dst_sel:DWORD dst_unused:UNUSED_PAD src0_sel:DWORD src1_sel:BYTE_3
	v_bfe_u32 v14, v17, 27, 4
	v_sub_u32_e32 v15, 29, v15
	v_and_b32_e32 v16, 7, v16
	v_cmp_eq_u16_e32 vcc, 0, v12
	v_cndmask_b32_e32 v10, v10, v16, vcc
	v_cndmask_b32_e32 v12, v14, v15, vcc
	v_mov_b32_e32 v14, 0x3b800000
	v_and_b32_e32 v11, 0x80000000, v17
	v_lshlrev_b32_e32 v10, 20, v10
	v_lshl_add_u32 v12, v12, 23, v14
	v_or3_b32 v10, v11, v12, v10
.LBB30_380:
	s_or_b64 exec, exec, s[6:7]
	s_movk_i32 s4, 0x7f
	v_cmp_gt_i16_sdwa s[6:7], v13, s4 src0_sel:BYTE_3 src1_sel:DWORD
	s_mov_b64 s[4:5], 0
                                        ; implicit-def: $sgpr10
	s_and_saveexec_b64 s[8:9], s[6:7]
	s_xor_b64 s[6:7], exec, s[8:9]
	s_cbranch_execnz .LBB30_2429
; %bb.381:
	s_or_saveexec_b64 s[6:7], s[6:7]
	v_mov_b32_e32 v11, s10
	s_xor_b64 exec, exec, s[6:7]
	s_cbranch_execnz .LBB30_2432
.LBB30_382:
	s_or_b64 exec, exec, s[6:7]
	s_and_saveexec_b64 s[6:7], s[4:5]
	s_cbranch_execz .LBB30_384
.LBB30_383:
	v_bfe_u32 v11, v13, 24, 3
	v_ffbh_u32_e32 v16, v11
	v_min_u32_e32 v16, 32, v16
	v_lshrrev_b32_e32 v14, 27, v13
	v_subrev_u32_e32 v17, 28, v16
	v_and_b32_e32 v12, 0x80000000, v13
	v_and_b32_e32 v14, 15, v14
	v_bfe_u32 v15, v13, 27, 4
	v_lshlrev_b32_sdwa v13, v17, v13 dst_sel:DWORD dst_unused:UNUSED_PAD src0_sel:DWORD src1_sel:BYTE_3
	v_sub_u32_e32 v16, 29, v16
	v_and_b32_e32 v13, 7, v13
	v_cmp_eq_u16_e32 vcc, 0, v14
	v_cndmask_b32_e32 v11, v11, v13, vcc
	v_cndmask_b32_e32 v13, v15, v16, vcc
	v_mov_b32_e32 v14, 0x3b800000
	v_lshlrev_b32_e32 v11, 20, v11
	v_lshl_add_u32 v13, v13, 23, v14
	v_or3_b32 v11, v12, v13, v11
.LBB30_384:
	s_or_b64 exec, exec, s[6:7]
	s_nop 0
	v_mfma_f32_16x16x4f32 a[0:3], v10, v11, a[0:3]
	s_movk_i32 s4, 0x7f
	v_cmp_gt_i16_sdwa s[6:7], v6, s4 src0_sel:BYTE_0 src1_sel:DWORD
	s_mov_b64 s[4:5], 0
                                        ; implicit-def: $sgpr10
	s_and_saveexec_b64 s[8:9], s[6:7]
	s_xor_b64 s[6:7], exec, s[8:9]
	s_cbranch_execnz .LBB30_2433
; %bb.385:
	s_or_saveexec_b64 s[6:7], s[6:7]
	v_mov_b32_e32 v10, s10
	s_xor_b64 exec, exec, s[6:7]
	s_cbranch_execnz .LBB30_2436
.LBB30_386:
	s_or_b64 exec, exec, s[6:7]
	s_and_saveexec_b64 s[6:7], s[4:5]
	s_cbranch_execz .LBB30_388
.LBB30_387:
	v_and_b32_e32 v10, 7, v6
	v_ffbh_u32_e32 v12, v10
	v_min_u32_e32 v12, 32, v12
	v_lshrrev_b16_e32 v11, 3, v6
	v_subrev_u32_e32 v13, 28, v12
	v_and_b32_e32 v11, 15, v11
	v_lshlrev_b32_e32 v13, v13, v6
	v_sub_u32_e32 v12, 29, v12
	v_and_b32_e32 v13, 7, v13
	v_cmp_eq_u16_e32 vcc, 0, v11
	v_cndmask_b32_e32 v10, v10, v13, vcc
	v_cndmask_b32_e32 v11, v11, v12, vcc
	v_lshlrev_b32_e32 v12, 24, v6
	v_mov_b32_e32 v13, 0x3b800000
	v_lshlrev_b32_e32 v10, 20, v10
	v_and_b32_e32 v12, 0x80000000, v12
	v_lshl_add_u32 v11, v11, 23, v13
	v_or3_b32 v10, v12, v11, v10
.LBB30_388:
	s_or_b64 exec, exec, s[6:7]
	s_movk_i32 s4, 0x7f
	v_cmp_gt_i16_sdwa s[6:7], v2, s4 src0_sel:BYTE_0 src1_sel:DWORD
	s_mov_b64 s[4:5], 0
                                        ; implicit-def: $sgpr10
	s_and_saveexec_b64 s[8:9], s[6:7]
	s_xor_b64 s[6:7], exec, s[8:9]
	s_cbranch_execnz .LBB30_2437
; %bb.389:
	s_or_saveexec_b64 s[6:7], s[6:7]
	v_mov_b32_e32 v11, s10
	s_xor_b64 exec, exec, s[6:7]
	s_cbranch_execnz .LBB30_2440
.LBB30_390:
	s_or_b64 exec, exec, s[6:7]
	s_and_saveexec_b64 s[6:7], s[4:5]
	s_cbranch_execz .LBB30_392
.LBB30_391:
	v_and_b32_e32 v11, 7, v2
	v_ffbh_u32_e32 v13, v11
	v_min_u32_e32 v13, 32, v13
	v_lshrrev_b16_e32 v12, 3, v2
	v_subrev_u32_e32 v14, 28, v13
	v_and_b32_e32 v12, 15, v12
	v_lshlrev_b32_e32 v14, v14, v2
	v_sub_u32_e32 v13, 29, v13
	v_and_b32_e32 v14, 7, v14
	v_cmp_eq_u16_e32 vcc, 0, v12
	v_cndmask_b32_e32 v11, v11, v14, vcc
	v_cndmask_b32_e32 v12, v12, v13, vcc
	v_lshlrev_b32_e32 v13, 24, v2
	v_mov_b32_e32 v14, 0x3b800000
	v_lshlrev_b32_e32 v11, 20, v11
	v_and_b32_e32 v13, 0x80000000, v13
	v_lshl_add_u32 v12, v12, 23, v14
	v_or3_b32 v11, v13, v12, v11
.LBB30_392:
	s_or_b64 exec, exec, s[6:7]
	s_nop 0
	v_mfma_f32_16x16x4f32 a[0:3], v10, v11, a[0:3]
	v_lshrrev_b32_e32 v11, 8, v6
	s_movk_i32 s4, 0x7f
	v_cmp_gt_i16_sdwa s[6:7], v11, s4 src0_sel:BYTE_0 src1_sel:DWORD
	s_mov_b64 s[4:5], 0
                                        ; implicit-def: $sgpr10
	s_and_saveexec_b64 s[8:9], s[6:7]
	s_xor_b64 s[6:7], exec, s[8:9]
	s_cbranch_execnz .LBB30_2441
; %bb.393:
	s_or_saveexec_b64 s[6:7], s[6:7]
	v_mov_b32_e32 v10, s10
	s_xor_b64 exec, exec, s[6:7]
	s_cbranch_execnz .LBB30_2444
.LBB30_394:
	s_or_b64 exec, exec, s[6:7]
	s_and_saveexec_b64 s[6:7], s[4:5]
	s_cbranch_execz .LBB30_396
.LBB30_395:
	v_bfe_u32 v10, v6, 8, 3
	v_ffbh_u32_e32 v13, v10
	v_min_u32_e32 v13, 32, v13
	v_lshrrev_b16_e32 v12, 3, v11
	v_subrev_u32_e32 v14, 28, v13
	v_and_b32_e32 v12, 15, v12
	v_lshlrev_b32_e32 v11, v14, v11
	v_sub_u32_e32 v13, 29, v13
	v_and_b32_e32 v11, 7, v11
	v_cmp_eq_u16_e32 vcc, 0, v12
	v_cndmask_b32_e32 v10, v10, v11, vcc
	v_cndmask_b32_e32 v11, v12, v13, vcc
	v_lshlrev_b32_e32 v12, 16, v6
	v_mov_b32_e32 v13, 0x3b800000
	v_lshlrev_b32_e32 v10, 20, v10
	v_and_b32_e32 v12, 0x80000000, v12
	v_lshl_add_u32 v11, v11, 23, v13
	v_or3_b32 v10, v12, v11, v10
.LBB30_396:
	s_or_b64 exec, exec, s[6:7]
	v_lshrrev_b32_e32 v11, 8, v2
	s_movk_i32 s4, 0x7f
	v_cmp_gt_i16_sdwa s[6:7], v11, s4 src0_sel:BYTE_0 src1_sel:DWORD
	s_mov_b64 s[4:5], 0
                                        ; implicit-def: $sgpr10
	s_and_saveexec_b64 s[8:9], s[6:7]
	s_xor_b64 s[6:7], exec, s[8:9]
	s_cbranch_execnz .LBB30_2445
; %bb.397:
	s_or_saveexec_b64 s[6:7], s[6:7]
	v_mov_b32_e32 v12, s10
	s_xor_b64 exec, exec, s[6:7]
	s_cbranch_execnz .LBB30_2448
.LBB30_398:
	s_or_b64 exec, exec, s[6:7]
	s_and_saveexec_b64 s[6:7], s[4:5]
	s_cbranch_execz .LBB30_400
.LBB30_399:
	v_bfe_u32 v12, v2, 8, 3
	v_ffbh_u32_e32 v14, v12
	v_min_u32_e32 v14, 32, v14
	v_lshrrev_b16_e32 v13, 3, v11
	v_subrev_u32_e32 v15, 28, v14
	v_and_b32_e32 v13, 15, v13
	v_lshlrev_b32_e32 v11, v15, v11
	v_sub_u32_e32 v14, 29, v14
	v_and_b32_e32 v11, 7, v11
	v_cmp_eq_u16_e32 vcc, 0, v13
	v_cndmask_b32_e32 v11, v12, v11, vcc
	v_cndmask_b32_e32 v12, v13, v14, vcc
	v_lshlrev_b32_e32 v13, 16, v2
	v_mov_b32_e32 v14, 0x3b800000
	v_lshlrev_b32_e32 v11, 20, v11
	v_and_b32_e32 v13, 0x80000000, v13
	v_lshl_add_u32 v12, v12, 23, v14
	v_or3_b32 v12, v13, v12, v11
.LBB30_400:
	s_or_b64 exec, exec, s[6:7]
	s_nop 0
	v_mfma_f32_16x16x4f32 a[0:3], v10, v12, a[0:3]
	s_movk_i32 s4, 0xff
	v_and_b32_sdwa v11, v6, s4 dst_sel:DWORD dst_unused:UNUSED_PAD src0_sel:WORD_1 src1_sel:DWORD
	s_movk_i32 s4, 0x7f
	v_cmp_lt_i16_e32 vcc, s4, v11
	s_mov_b64 s[4:5], 0
                                        ; implicit-def: $sgpr10
	s_and_saveexec_b64 s[6:7], vcc
	s_xor_b64 s[6:7], exec, s[6:7]
	s_cbranch_execnz .LBB30_2449
; %bb.401:
	s_or_saveexec_b64 s[6:7], s[6:7]
	v_mov_b32_e32 v10, s10
	s_xor_b64 exec, exec, s[6:7]
	s_cbranch_execnz .LBB30_2452
.LBB30_402:
	s_or_b64 exec, exec, s[6:7]
	s_and_saveexec_b64 s[6:7], s[4:5]
	s_cbranch_execz .LBB30_404
.LBB30_403:
	v_bfe_u32 v10, v6, 16, 3
	v_ffbh_u32_e32 v13, v10
	v_min_u32_e32 v13, 32, v13
	v_lshrrev_b32_e32 v11, 19, v6
	v_subrev_u32_e32 v14, 28, v13
	v_and_b32_e32 v11, 15, v11
	v_lshlrev_b32_sdwa v14, v14, v6 dst_sel:DWORD dst_unused:UNUSED_PAD src0_sel:DWORD src1_sel:WORD_1
	v_bfe_u32 v12, v6, 19, 4
	v_sub_u32_e32 v13, 29, v13
	v_and_b32_e32 v14, 7, v14
	v_cmp_eq_u16_e32 vcc, 0, v11
	v_cndmask_b32_e32 v10, v10, v14, vcc
	v_cndmask_b32_e32 v11, v12, v13, vcc
	v_lshlrev_b32_e32 v12, 8, v6
	v_mov_b32_e32 v13, 0x3b800000
	v_lshlrev_b32_e32 v10, 20, v10
	v_and_b32_e32 v12, 0x80000000, v12
	v_lshl_add_u32 v11, v11, 23, v13
	v_or3_b32 v10, v12, v11, v10
.LBB30_404:
	s_or_b64 exec, exec, s[6:7]
	s_movk_i32 s4, 0xff
	v_and_b32_sdwa v11, v2, s4 dst_sel:DWORD dst_unused:UNUSED_PAD src0_sel:WORD_1 src1_sel:DWORD
	s_movk_i32 s4, 0x7f
	v_cmp_lt_i16_e32 vcc, s4, v11
	s_mov_b64 s[4:5], 0
                                        ; implicit-def: $sgpr10
	s_and_saveexec_b64 s[6:7], vcc
	s_xor_b64 s[6:7], exec, s[6:7]
	s_cbranch_execnz .LBB30_2453
; %bb.405:
	s_or_saveexec_b64 s[6:7], s[6:7]
	v_mov_b32_e32 v12, s10
	s_xor_b64 exec, exec, s[6:7]
	s_cbranch_execnz .LBB30_2456
.LBB30_406:
	s_or_b64 exec, exec, s[6:7]
	s_and_saveexec_b64 s[6:7], s[4:5]
	s_cbranch_execz .LBB30_408
.LBB30_407:
	v_bfe_u32 v11, v2, 16, 3
	v_ffbh_u32_e32 v14, v11
	v_min_u32_e32 v14, 32, v14
	v_lshrrev_b32_e32 v12, 19, v2
	v_subrev_u32_e32 v15, 28, v14
	v_and_b32_e32 v12, 15, v12
	v_lshlrev_b32_sdwa v15, v15, v2 dst_sel:DWORD dst_unused:UNUSED_PAD src0_sel:DWORD src1_sel:WORD_1
	v_bfe_u32 v13, v2, 19, 4
	v_sub_u32_e32 v14, 29, v14
	v_and_b32_e32 v15, 7, v15
	v_cmp_eq_u16_e32 vcc, 0, v12
	v_cndmask_b32_e32 v11, v11, v15, vcc
	v_cndmask_b32_e32 v12, v13, v14, vcc
	v_lshlrev_b32_e32 v13, 8, v2
	v_mov_b32_e32 v14, 0x3b800000
	v_lshlrev_b32_e32 v11, 20, v11
	v_and_b32_e32 v13, 0x80000000, v13
	v_lshl_add_u32 v12, v12, 23, v14
	v_or3_b32 v12, v13, v12, v11
.LBB30_408:
	s_or_b64 exec, exec, s[6:7]
	s_nop 0
	v_mfma_f32_16x16x4f32 a[0:3], v10, v12, a[0:3]
	s_movk_i32 s4, 0x7f
	v_cmp_gt_i16_sdwa s[6:7], v6, s4 src0_sel:BYTE_3 src1_sel:DWORD
	s_mov_b64 s[4:5], 0
                                        ; implicit-def: $sgpr10
	s_and_saveexec_b64 s[8:9], s[6:7]
	s_xor_b64 s[6:7], exec, s[8:9]
	s_cbranch_execnz .LBB30_2457
; %bb.409:
	s_or_saveexec_b64 s[6:7], s[6:7]
	v_mov_b32_e32 v10, s10
	s_xor_b64 exec, exec, s[6:7]
	s_cbranch_execnz .LBB30_2460
.LBB30_410:
	s_or_b64 exec, exec, s[6:7]
	s_and_saveexec_b64 s[6:7], s[4:5]
	s_cbranch_execz .LBB30_412
.LBB30_411:
	v_bfe_u32 v10, v6, 24, 3
	v_ffbh_u32_e32 v14, v10
	v_min_u32_e32 v14, 32, v14
	v_lshrrev_b32_e32 v12, 27, v6
	v_subrev_u32_e32 v15, 28, v14
	v_and_b32_e32 v11, 0x80000000, v6
	v_and_b32_e32 v12, 15, v12
	v_bfe_u32 v13, v6, 27, 4
	v_lshlrev_b32_sdwa v6, v15, v6 dst_sel:DWORD dst_unused:UNUSED_PAD src0_sel:DWORD src1_sel:BYTE_3
	v_sub_u32_e32 v14, 29, v14
	v_and_b32_e32 v6, 7, v6
	v_cmp_eq_u16_e32 vcc, 0, v12
	v_cndmask_b32_e32 v6, v10, v6, vcc
	v_cndmask_b32_e32 v10, v13, v14, vcc
	v_mov_b32_e32 v12, 0x3b800000
	v_lshlrev_b32_e32 v6, 20, v6
	v_lshl_add_u32 v10, v10, 23, v12
	v_or3_b32 v10, v11, v10, v6
.LBB30_412:
	s_or_b64 exec, exec, s[6:7]
	s_movk_i32 s4, 0x7f
	v_cmp_gt_i16_sdwa s[6:7], v2, s4 src0_sel:BYTE_3 src1_sel:DWORD
	s_mov_b64 s[4:5], 0
                                        ; implicit-def: $sgpr10
	s_and_saveexec_b64 s[8:9], s[6:7]
	s_xor_b64 s[6:7], exec, s[8:9]
	s_cbranch_execnz .LBB30_2461
; %bb.413:
	s_or_saveexec_b64 s[6:7], s[6:7]
	v_mov_b32_e32 v6, s10
	s_xor_b64 exec, exec, s[6:7]
	s_cbranch_execnz .LBB30_2464
.LBB30_414:
	s_or_b64 exec, exec, s[6:7]
	s_and_saveexec_b64 s[6:7], s[4:5]
	s_cbranch_execz .LBB30_416
.LBB30_415:
	v_bfe_u32 v6, v2, 24, 3
	v_ffbh_u32_e32 v14, v6
	v_min_u32_e32 v14, 32, v14
	v_lshrrev_b32_e32 v12, 27, v2
	v_subrev_u32_e32 v15, 28, v14
	v_and_b32_e32 v11, 0x80000000, v2
	v_and_b32_e32 v12, 15, v12
	v_bfe_u32 v13, v2, 27, 4
	v_lshlrev_b32_sdwa v2, v15, v2 dst_sel:DWORD dst_unused:UNUSED_PAD src0_sel:DWORD src1_sel:BYTE_3
	v_sub_u32_e32 v14, 29, v14
	v_and_b32_e32 v2, 7, v2
	v_cmp_eq_u16_e32 vcc, 0, v12
	v_cndmask_b32_e32 v2, v6, v2, vcc
	v_cndmask_b32_e32 v6, v13, v14, vcc
	v_mov_b32_e32 v12, 0x3b800000
	v_lshlrev_b32_e32 v2, 20, v2
	v_lshl_add_u32 v6, v6, 23, v12
	v_or3_b32 v6, v11, v6, v2
.LBB30_416:
	s_or_b64 exec, exec, s[6:7]
	s_nop 0
	v_mfma_f32_16x16x4f32 a[0:3], v10, v6, a[0:3]
	s_movk_i32 s4, 0x7f
	v_cmp_gt_i16_sdwa s[6:7], v7, s4 src0_sel:BYTE_0 src1_sel:DWORD
	s_mov_b64 s[4:5], 0
                                        ; implicit-def: $sgpr10
	s_and_saveexec_b64 s[8:9], s[6:7]
	s_xor_b64 s[6:7], exec, s[8:9]
	s_cbranch_execnz .LBB30_2465
; %bb.417:
	s_or_saveexec_b64 s[6:7], s[6:7]
	v_mov_b32_e32 v2, s10
	s_xor_b64 exec, exec, s[6:7]
	s_cbranch_execnz .LBB30_2468
.LBB30_418:
	s_or_b64 exec, exec, s[6:7]
	s_and_saveexec_b64 s[6:7], s[4:5]
	s_cbranch_execz .LBB30_420
.LBB30_419:
	v_and_b32_e32 v2, 7, v7
	v_ffbh_u32_e32 v10, v2
	v_min_u32_e32 v10, 32, v10
	v_lshrrev_b16_e32 v6, 3, v7
	v_subrev_u32_e32 v11, 28, v10
	v_and_b32_e32 v6, 15, v6
	v_lshlrev_b32_e32 v11, v11, v7
	v_sub_u32_e32 v10, 29, v10
	v_and_b32_e32 v11, 7, v11
	v_cmp_eq_u16_e32 vcc, 0, v6
	v_cndmask_b32_e32 v2, v2, v11, vcc
	v_cndmask_b32_e32 v6, v6, v10, vcc
	v_lshlrev_b32_e32 v10, 24, v7
	v_mov_b32_e32 v11, 0x3b800000
	v_lshlrev_b32_e32 v2, 20, v2
	v_and_b32_e32 v10, 0x80000000, v10
	v_lshl_add_u32 v6, v6, 23, v11
	v_or3_b32 v2, v10, v6, v2
.LBB30_420:
	s_or_b64 exec, exec, s[6:7]
	s_movk_i32 s4, 0x7f
	v_cmp_gt_i16_sdwa s[6:7], v3, s4 src0_sel:BYTE_0 src1_sel:DWORD
	s_mov_b64 s[4:5], 0
                                        ; implicit-def: $sgpr10
	s_and_saveexec_b64 s[8:9], s[6:7]
	s_xor_b64 s[6:7], exec, s[8:9]
	s_cbranch_execnz .LBB30_2469
; %bb.421:
	s_or_saveexec_b64 s[6:7], s[6:7]
	v_mov_b32_e32 v6, s10
	s_xor_b64 exec, exec, s[6:7]
	s_cbranch_execnz .LBB30_2472
.LBB30_422:
	s_or_b64 exec, exec, s[6:7]
	s_and_saveexec_b64 s[6:7], s[4:5]
	s_cbranch_execz .LBB30_424
.LBB30_423:
	v_and_b32_e32 v6, 7, v3
	v_ffbh_u32_e32 v11, v6
	v_min_u32_e32 v11, 32, v11
	v_lshrrev_b16_e32 v10, 3, v3
	v_subrev_u32_e32 v12, 28, v11
	v_and_b32_e32 v10, 15, v10
	v_lshlrev_b32_e32 v12, v12, v3
	v_sub_u32_e32 v11, 29, v11
	v_and_b32_e32 v12, 7, v12
	v_cmp_eq_u16_e32 vcc, 0, v10
	v_cndmask_b32_e32 v6, v6, v12, vcc
	v_cndmask_b32_e32 v10, v10, v11, vcc
	v_lshlrev_b32_e32 v11, 24, v3
	v_mov_b32_e32 v12, 0x3b800000
	v_lshlrev_b32_e32 v6, 20, v6
	v_and_b32_e32 v11, 0x80000000, v11
	v_lshl_add_u32 v10, v10, 23, v12
	v_or3_b32 v6, v11, v10, v6
.LBB30_424:
	s_or_b64 exec, exec, s[6:7]
	s_nop 0
	v_mfma_f32_16x16x4f32 a[0:3], v2, v6, a[0:3]
	v_lshrrev_b32_e32 v6, 8, v7
	s_movk_i32 s4, 0x7f
	v_cmp_gt_i16_sdwa s[6:7], v6, s4 src0_sel:BYTE_0 src1_sel:DWORD
	s_mov_b64 s[4:5], 0
                                        ; implicit-def: $sgpr10
	s_and_saveexec_b64 s[8:9], s[6:7]
	s_xor_b64 s[6:7], exec, s[8:9]
	s_cbranch_execnz .LBB30_2473
; %bb.425:
	s_or_saveexec_b64 s[6:7], s[6:7]
	v_mov_b32_e32 v2, s10
	s_xor_b64 exec, exec, s[6:7]
	s_cbranch_execnz .LBB30_2476
.LBB30_426:
	s_or_b64 exec, exec, s[6:7]
	s_and_saveexec_b64 s[6:7], s[4:5]
	s_cbranch_execz .LBB30_428
.LBB30_427:
	v_bfe_u32 v2, v7, 8, 3
	v_ffbh_u32_e32 v11, v2
	v_min_u32_e32 v11, 32, v11
	v_lshrrev_b16_e32 v10, 3, v6
	v_subrev_u32_e32 v12, 28, v11
	v_and_b32_e32 v10, 15, v10
	v_lshlrev_b32_e32 v6, v12, v6
	v_sub_u32_e32 v11, 29, v11
	v_and_b32_e32 v6, 7, v6
	v_cmp_eq_u16_e32 vcc, 0, v10
	v_cndmask_b32_e32 v2, v2, v6, vcc
	v_cndmask_b32_e32 v6, v10, v11, vcc
	v_lshlrev_b32_e32 v10, 16, v7
	v_mov_b32_e32 v11, 0x3b800000
	v_lshlrev_b32_e32 v2, 20, v2
	v_and_b32_e32 v10, 0x80000000, v10
	v_lshl_add_u32 v6, v6, 23, v11
	v_or3_b32 v2, v10, v6, v2
.LBB30_428:
	s_or_b64 exec, exec, s[6:7]
	v_lshrrev_b32_e32 v6, 8, v3
	s_movk_i32 s4, 0x7f
	v_cmp_gt_i16_sdwa s[6:7], v6, s4 src0_sel:BYTE_0 src1_sel:DWORD
	s_mov_b64 s[4:5], 0
                                        ; implicit-def: $sgpr10
	s_and_saveexec_b64 s[8:9], s[6:7]
	s_xor_b64 s[6:7], exec, s[8:9]
	s_cbranch_execnz .LBB30_2477
; %bb.429:
	s_or_saveexec_b64 s[6:7], s[6:7]
	v_mov_b32_e32 v10, s10
	s_xor_b64 exec, exec, s[6:7]
	s_cbranch_execnz .LBB30_2480
.LBB30_430:
	s_or_b64 exec, exec, s[6:7]
	s_and_saveexec_b64 s[6:7], s[4:5]
	s_cbranch_execz .LBB30_432
.LBB30_431:
	v_bfe_u32 v10, v3, 8, 3
	v_ffbh_u32_e32 v12, v10
	v_min_u32_e32 v12, 32, v12
	v_lshrrev_b16_e32 v11, 3, v6
	v_subrev_u32_e32 v13, 28, v12
	v_and_b32_e32 v11, 15, v11
	v_lshlrev_b32_e32 v6, v13, v6
	v_sub_u32_e32 v12, 29, v12
	v_and_b32_e32 v6, 7, v6
	v_cmp_eq_u16_e32 vcc, 0, v11
	v_cndmask_b32_e32 v6, v10, v6, vcc
	v_cndmask_b32_e32 v10, v11, v12, vcc
	v_lshlrev_b32_e32 v11, 16, v3
	v_mov_b32_e32 v12, 0x3b800000
	v_lshlrev_b32_e32 v6, 20, v6
	v_and_b32_e32 v11, 0x80000000, v11
	v_lshl_add_u32 v10, v10, 23, v12
	v_or3_b32 v10, v11, v10, v6
.LBB30_432:
	s_or_b64 exec, exec, s[6:7]
	s_nop 0
	v_mfma_f32_16x16x4f32 a[0:3], v2, v10, a[0:3]
	s_movk_i32 s4, 0xff
	v_and_b32_sdwa v6, v7, s4 dst_sel:DWORD dst_unused:UNUSED_PAD src0_sel:WORD_1 src1_sel:DWORD
	s_movk_i32 s4, 0x7f
	v_cmp_lt_i16_e32 vcc, s4, v6
	s_mov_b64 s[4:5], 0
                                        ; implicit-def: $sgpr10
	s_and_saveexec_b64 s[6:7], vcc
	s_xor_b64 s[6:7], exec, s[6:7]
	s_cbranch_execnz .LBB30_2481
; %bb.433:
	s_or_saveexec_b64 s[6:7], s[6:7]
	v_mov_b32_e32 v2, s10
	s_xor_b64 exec, exec, s[6:7]
	s_cbranch_execnz .LBB30_2484
.LBB30_434:
	s_or_b64 exec, exec, s[6:7]
	s_and_saveexec_b64 s[6:7], s[4:5]
	s_cbranch_execz .LBB30_436
.LBB30_435:
	v_bfe_u32 v2, v7, 16, 3
	v_ffbh_u32_e32 v11, v2
	v_min_u32_e32 v11, 32, v11
	v_lshrrev_b32_e32 v6, 19, v7
	v_subrev_u32_e32 v12, 28, v11
	v_and_b32_e32 v6, 15, v6
	v_lshlrev_b32_sdwa v12, v12, v7 dst_sel:DWORD dst_unused:UNUSED_PAD src0_sel:DWORD src1_sel:WORD_1
	v_bfe_u32 v10, v7, 19, 4
	v_sub_u32_e32 v11, 29, v11
	v_and_b32_e32 v12, 7, v12
	v_cmp_eq_u16_e32 vcc, 0, v6
	v_cndmask_b32_e32 v2, v2, v12, vcc
	v_cndmask_b32_e32 v6, v10, v11, vcc
	v_lshlrev_b32_e32 v10, 8, v7
	v_mov_b32_e32 v11, 0x3b800000
	v_lshlrev_b32_e32 v2, 20, v2
	v_and_b32_e32 v10, 0x80000000, v10
	v_lshl_add_u32 v6, v6, 23, v11
	v_or3_b32 v2, v10, v6, v2
.LBB30_436:
	s_or_b64 exec, exec, s[6:7]
	s_movk_i32 s4, 0xff
	v_and_b32_sdwa v6, v3, s4 dst_sel:DWORD dst_unused:UNUSED_PAD src0_sel:WORD_1 src1_sel:DWORD
	s_movk_i32 s4, 0x7f
	v_cmp_lt_i16_e32 vcc, s4, v6
	s_mov_b64 s[4:5], 0
                                        ; implicit-def: $sgpr10
	s_and_saveexec_b64 s[6:7], vcc
	s_xor_b64 s[6:7], exec, s[6:7]
	s_cbranch_execnz .LBB30_2485
; %bb.437:
	s_or_saveexec_b64 s[6:7], s[6:7]
	v_mov_b32_e32 v10, s10
	s_xor_b64 exec, exec, s[6:7]
	s_cbranch_execnz .LBB30_2488
.LBB30_438:
	s_or_b64 exec, exec, s[6:7]
	s_and_saveexec_b64 s[6:7], s[4:5]
	s_cbranch_execz .LBB30_440
.LBB30_439:
	v_bfe_u32 v6, v3, 16, 3
	v_ffbh_u32_e32 v12, v6
	v_min_u32_e32 v12, 32, v12
	v_lshrrev_b32_e32 v10, 19, v3
	v_subrev_u32_e32 v13, 28, v12
	v_and_b32_e32 v10, 15, v10
	v_lshlrev_b32_sdwa v13, v13, v3 dst_sel:DWORD dst_unused:UNUSED_PAD src0_sel:DWORD src1_sel:WORD_1
	v_bfe_u32 v11, v3, 19, 4
	v_sub_u32_e32 v12, 29, v12
	v_and_b32_e32 v13, 7, v13
	v_cmp_eq_u16_e32 vcc, 0, v10
	v_cndmask_b32_e32 v6, v6, v13, vcc
	v_cndmask_b32_e32 v10, v11, v12, vcc
	v_lshlrev_b32_e32 v11, 8, v3
	v_mov_b32_e32 v12, 0x3b800000
	v_lshlrev_b32_e32 v6, 20, v6
	v_and_b32_e32 v11, 0x80000000, v11
	v_lshl_add_u32 v10, v10, 23, v12
	v_or3_b32 v10, v11, v10, v6
.LBB30_440:
	s_or_b64 exec, exec, s[6:7]
	s_nop 0
	v_mfma_f32_16x16x4f32 a[0:3], v2, v10, a[0:3]
	s_movk_i32 s4, 0x7f
	v_cmp_gt_i16_sdwa s[6:7], v7, s4 src0_sel:BYTE_3 src1_sel:DWORD
	s_mov_b64 s[4:5], 0
                                        ; implicit-def: $sgpr10
	s_and_saveexec_b64 s[8:9], s[6:7]
	s_xor_b64 s[6:7], exec, s[8:9]
	s_cbranch_execnz .LBB30_2489
; %bb.441:
	s_or_saveexec_b64 s[6:7], s[6:7]
	v_mov_b32_e32 v2, s10
	s_xor_b64 exec, exec, s[6:7]
	s_cbranch_execnz .LBB30_2492
.LBB30_442:
	s_or_b64 exec, exec, s[6:7]
	s_and_saveexec_b64 s[6:7], s[4:5]
	s_cbranch_execz .LBB30_444
.LBB30_443:
	v_bfe_u32 v2, v7, 24, 3
	v_ffbh_u32_e32 v12, v2
	v_min_u32_e32 v12, 32, v12
	v_lshrrev_b32_e32 v10, 27, v7
	v_subrev_u32_e32 v13, 28, v12
	v_and_b32_e32 v6, 0x80000000, v7
	v_and_b32_e32 v10, 15, v10
	v_bfe_u32 v11, v7, 27, 4
	v_lshlrev_b32_sdwa v7, v13, v7 dst_sel:DWORD dst_unused:UNUSED_PAD src0_sel:DWORD src1_sel:BYTE_3
	v_sub_u32_e32 v12, 29, v12
	v_and_b32_e32 v7, 7, v7
	v_cmp_eq_u16_e32 vcc, 0, v10
	v_cndmask_b32_e32 v2, v2, v7, vcc
	v_cndmask_b32_e32 v7, v11, v12, vcc
	v_mov_b32_e32 v10, 0x3b800000
	v_lshlrev_b32_e32 v2, 20, v2
	v_lshl_add_u32 v7, v7, 23, v10
	v_or3_b32 v2, v6, v7, v2
.LBB30_444:
	s_or_b64 exec, exec, s[6:7]
	s_movk_i32 s4, 0x7f
	v_cmp_gt_i16_sdwa s[6:7], v3, s4 src0_sel:BYTE_3 src1_sel:DWORD
	s_mov_b64 s[4:5], 0
                                        ; implicit-def: $sgpr10
	s_and_saveexec_b64 s[8:9], s[6:7]
	s_xor_b64 s[6:7], exec, s[8:9]
	s_cbranch_execnz .LBB30_2493
; %bb.445:
	s_or_saveexec_b64 s[6:7], s[6:7]
	v_mov_b32_e32 v6, s10
	s_xor_b64 exec, exec, s[6:7]
	s_cbranch_execnz .LBB30_2496
.LBB30_446:
	s_or_b64 exec, exec, s[6:7]
	s_and_saveexec_b64 s[6:7], s[4:5]
	s_cbranch_execz .LBB30_448
.LBB30_447:
	v_bfe_u32 v6, v3, 24, 3
	v_ffbh_u32_e32 v12, v6
	v_min_u32_e32 v12, 32, v12
	v_lshrrev_b32_e32 v10, 27, v3
	v_subrev_u32_e32 v13, 28, v12
	v_and_b32_e32 v7, 0x80000000, v3
	v_and_b32_e32 v10, 15, v10
	v_bfe_u32 v11, v3, 27, 4
	v_lshlrev_b32_sdwa v3, v13, v3 dst_sel:DWORD dst_unused:UNUSED_PAD src0_sel:DWORD src1_sel:BYTE_3
	v_sub_u32_e32 v12, 29, v12
	v_and_b32_e32 v3, 7, v3
	v_cmp_eq_u16_e32 vcc, 0, v10
	v_cndmask_b32_e32 v3, v6, v3, vcc
	v_cndmask_b32_e32 v6, v11, v12, vcc
	v_mov_b32_e32 v10, 0x3b800000
	v_lshlrev_b32_e32 v3, 20, v3
	v_lshl_add_u32 v6, v6, 23, v10
	v_or3_b32 v6, v7, v6, v3
.LBB30_448:
	s_or_b64 exec, exec, s[6:7]
	s_nop 0
	v_mfma_f32_16x16x4f32 a[0:3], v2, v6, a[0:3]
	s_movk_i32 s4, 0x7f
	v_cmp_gt_i16_sdwa s[6:7], v8, s4 src0_sel:BYTE_0 src1_sel:DWORD
	s_mov_b64 s[4:5], 0
                                        ; implicit-def: $sgpr10
	s_and_saveexec_b64 s[8:9], s[6:7]
	s_xor_b64 s[6:7], exec, s[8:9]
	s_cbranch_execnz .LBB30_2497
; %bb.449:
	s_or_saveexec_b64 s[6:7], s[6:7]
	v_mov_b32_e32 v2, s10
	s_xor_b64 exec, exec, s[6:7]
	s_cbranch_execnz .LBB30_2500
.LBB30_450:
	s_or_b64 exec, exec, s[6:7]
	s_and_saveexec_b64 s[6:7], s[4:5]
	s_cbranch_execz .LBB30_452
.LBB30_451:
	v_and_b32_e32 v2, 7, v8
	v_ffbh_u32_e32 v6, v2
	v_min_u32_e32 v6, 32, v6
	v_lshrrev_b16_e32 v3, 3, v8
	v_subrev_u32_e32 v7, 28, v6
	v_and_b32_e32 v3, 15, v3
	v_lshlrev_b32_e32 v7, v7, v8
	v_sub_u32_e32 v6, 29, v6
	v_and_b32_e32 v7, 7, v7
	v_cmp_eq_u16_e32 vcc, 0, v3
	v_cndmask_b32_e32 v2, v2, v7, vcc
	v_cndmask_b32_e32 v3, v3, v6, vcc
	v_lshlrev_b32_e32 v6, 24, v8
	v_mov_b32_e32 v7, 0x3b800000
	v_lshlrev_b32_e32 v2, 20, v2
	v_and_b32_e32 v6, 0x80000000, v6
	v_lshl_add_u32 v3, v3, 23, v7
	v_or3_b32 v2, v6, v3, v2
.LBB30_452:
	s_or_b64 exec, exec, s[6:7]
	s_movk_i32 s4, 0x7f
	v_cmp_gt_i16_sdwa s[6:7], v4, s4 src0_sel:BYTE_0 src1_sel:DWORD
	s_mov_b64 s[4:5], 0
                                        ; implicit-def: $sgpr10
	s_and_saveexec_b64 s[8:9], s[6:7]
	s_xor_b64 s[6:7], exec, s[8:9]
	s_cbranch_execnz .LBB30_2501
; %bb.453:
	s_or_saveexec_b64 s[6:7], s[6:7]
	v_mov_b32_e32 v3, s10
	s_xor_b64 exec, exec, s[6:7]
	s_cbranch_execnz .LBB30_2504
.LBB30_454:
	s_or_b64 exec, exec, s[6:7]
	s_and_saveexec_b64 s[6:7], s[4:5]
	s_cbranch_execz .LBB30_456
.LBB30_455:
	v_and_b32_e32 v3, 7, v4
	v_ffbh_u32_e32 v7, v3
	v_min_u32_e32 v7, 32, v7
	v_lshrrev_b16_e32 v6, 3, v4
	v_subrev_u32_e32 v10, 28, v7
	v_and_b32_e32 v6, 15, v6
	v_lshlrev_b32_e32 v10, v10, v4
	v_sub_u32_e32 v7, 29, v7
	v_and_b32_e32 v10, 7, v10
	v_cmp_eq_u16_e32 vcc, 0, v6
	v_cndmask_b32_e32 v3, v3, v10, vcc
	v_cndmask_b32_e32 v6, v6, v7, vcc
	v_lshlrev_b32_e32 v7, 24, v4
	v_mov_b32_e32 v10, 0x3b800000
	v_lshlrev_b32_e32 v3, 20, v3
	v_and_b32_e32 v7, 0x80000000, v7
	v_lshl_add_u32 v6, v6, 23, v10
	v_or3_b32 v3, v7, v6, v3
.LBB30_456:
	s_or_b64 exec, exec, s[6:7]
	s_nop 0
	v_mfma_f32_16x16x4f32 a[0:3], v2, v3, a[0:3]
	v_lshrrev_b32_e32 v3, 8, v8
	s_movk_i32 s4, 0x7f
	v_cmp_gt_i16_sdwa s[6:7], v3, s4 src0_sel:BYTE_0 src1_sel:DWORD
	s_mov_b64 s[4:5], 0
                                        ; implicit-def: $sgpr10
	s_and_saveexec_b64 s[8:9], s[6:7]
	s_xor_b64 s[6:7], exec, s[8:9]
	s_cbranch_execnz .LBB30_2505
; %bb.457:
	s_or_saveexec_b64 s[6:7], s[6:7]
	v_mov_b32_e32 v2, s10
	s_xor_b64 exec, exec, s[6:7]
	s_cbranch_execnz .LBB30_2508
.LBB30_458:
	s_or_b64 exec, exec, s[6:7]
	s_and_saveexec_b64 s[6:7], s[4:5]
	s_cbranch_execz .LBB30_460
.LBB30_459:
	v_bfe_u32 v2, v8, 8, 3
	v_ffbh_u32_e32 v7, v2
	v_min_u32_e32 v7, 32, v7
	v_lshrrev_b16_e32 v6, 3, v3
	v_subrev_u32_e32 v10, 28, v7
	v_and_b32_e32 v6, 15, v6
	v_lshlrev_b32_e32 v3, v10, v3
	v_sub_u32_e32 v7, 29, v7
	v_and_b32_e32 v3, 7, v3
	v_cmp_eq_u16_e32 vcc, 0, v6
	v_cndmask_b32_e32 v2, v2, v3, vcc
	v_cndmask_b32_e32 v3, v6, v7, vcc
	v_lshlrev_b32_e32 v6, 16, v8
	v_mov_b32_e32 v7, 0x3b800000
	v_lshlrev_b32_e32 v2, 20, v2
	v_and_b32_e32 v6, 0x80000000, v6
	v_lshl_add_u32 v3, v3, 23, v7
	v_or3_b32 v2, v6, v3, v2
.LBB30_460:
	s_or_b64 exec, exec, s[6:7]
	v_lshrrev_b32_e32 v3, 8, v4
	s_movk_i32 s4, 0x7f
	v_cmp_gt_i16_sdwa s[6:7], v3, s4 src0_sel:BYTE_0 src1_sel:DWORD
	s_mov_b64 s[4:5], 0
                                        ; implicit-def: $sgpr10
	s_and_saveexec_b64 s[8:9], s[6:7]
	s_xor_b64 s[6:7], exec, s[8:9]
	s_cbranch_execnz .LBB30_2509
; %bb.461:
	s_or_saveexec_b64 s[6:7], s[6:7]
	v_mov_b32_e32 v6, s10
	s_xor_b64 exec, exec, s[6:7]
	s_cbranch_execnz .LBB30_2512
.LBB30_462:
	s_or_b64 exec, exec, s[6:7]
	s_and_saveexec_b64 s[6:7], s[4:5]
	s_cbranch_execz .LBB30_464
.LBB30_463:
	v_bfe_u32 v6, v4, 8, 3
	v_ffbh_u32_e32 v10, v6
	v_min_u32_e32 v10, 32, v10
	v_lshrrev_b16_e32 v7, 3, v3
	v_subrev_u32_e32 v11, 28, v10
	v_and_b32_e32 v7, 15, v7
	v_lshlrev_b32_e32 v3, v11, v3
	v_sub_u32_e32 v10, 29, v10
	v_and_b32_e32 v3, 7, v3
	v_cmp_eq_u16_e32 vcc, 0, v7
	v_cndmask_b32_e32 v3, v6, v3, vcc
	v_cndmask_b32_e32 v6, v7, v10, vcc
	v_lshlrev_b32_e32 v7, 16, v4
	v_mov_b32_e32 v10, 0x3b800000
	v_lshlrev_b32_e32 v3, 20, v3
	v_and_b32_e32 v7, 0x80000000, v7
	v_lshl_add_u32 v6, v6, 23, v10
	v_or3_b32 v6, v7, v6, v3
.LBB30_464:
	s_or_b64 exec, exec, s[6:7]
	s_nop 0
	v_mfma_f32_16x16x4f32 a[0:3], v2, v6, a[0:3]
	s_movk_i32 s4, 0xff
	v_and_b32_sdwa v3, v8, s4 dst_sel:DWORD dst_unused:UNUSED_PAD src0_sel:WORD_1 src1_sel:DWORD
	s_movk_i32 s4, 0x7f
	v_cmp_lt_i16_e32 vcc, s4, v3
	s_mov_b64 s[4:5], 0
                                        ; implicit-def: $sgpr10
	s_and_saveexec_b64 s[6:7], vcc
	s_xor_b64 s[6:7], exec, s[6:7]
	s_cbranch_execnz .LBB30_2513
; %bb.465:
	s_or_saveexec_b64 s[6:7], s[6:7]
	v_mov_b32_e32 v2, s10
	s_xor_b64 exec, exec, s[6:7]
	s_cbranch_execnz .LBB30_2516
.LBB30_466:
	s_or_b64 exec, exec, s[6:7]
	s_and_saveexec_b64 s[6:7], s[4:5]
	s_cbranch_execz .LBB30_468
.LBB30_467:
	v_bfe_u32 v2, v8, 16, 3
	v_ffbh_u32_e32 v7, v2
	v_min_u32_e32 v7, 32, v7
	v_lshrrev_b32_e32 v3, 19, v8
	v_subrev_u32_e32 v10, 28, v7
	v_and_b32_e32 v3, 15, v3
	v_lshlrev_b32_sdwa v10, v10, v8 dst_sel:DWORD dst_unused:UNUSED_PAD src0_sel:DWORD src1_sel:WORD_1
	v_bfe_u32 v6, v8, 19, 4
	v_sub_u32_e32 v7, 29, v7
	v_and_b32_e32 v10, 7, v10
	v_cmp_eq_u16_e32 vcc, 0, v3
	v_cndmask_b32_e32 v2, v2, v10, vcc
	v_cndmask_b32_e32 v3, v6, v7, vcc
	v_lshlrev_b32_e32 v6, 8, v8
	v_mov_b32_e32 v7, 0x3b800000
	v_lshlrev_b32_e32 v2, 20, v2
	v_and_b32_e32 v6, 0x80000000, v6
	v_lshl_add_u32 v3, v3, 23, v7
	v_or3_b32 v2, v6, v3, v2
.LBB30_468:
	s_or_b64 exec, exec, s[6:7]
	s_movk_i32 s4, 0xff
	v_and_b32_sdwa v3, v4, s4 dst_sel:DWORD dst_unused:UNUSED_PAD src0_sel:WORD_1 src1_sel:DWORD
	s_movk_i32 s4, 0x7f
	v_cmp_lt_i16_e32 vcc, s4, v3
	s_mov_b64 s[4:5], 0
                                        ; implicit-def: $sgpr10
	s_and_saveexec_b64 s[6:7], vcc
	s_xor_b64 s[6:7], exec, s[6:7]
	s_cbranch_execnz .LBB30_2517
; %bb.469:
	s_or_saveexec_b64 s[6:7], s[6:7]
	v_mov_b32_e32 v6, s10
	s_xor_b64 exec, exec, s[6:7]
	s_cbranch_execnz .LBB30_2520
.LBB30_470:
	s_or_b64 exec, exec, s[6:7]
	s_and_saveexec_b64 s[6:7], s[4:5]
	s_cbranch_execz .LBB30_472
.LBB30_471:
	v_bfe_u32 v3, v4, 16, 3
	v_ffbh_u32_e32 v10, v3
	v_min_u32_e32 v10, 32, v10
	v_lshrrev_b32_e32 v6, 19, v4
	v_subrev_u32_e32 v11, 28, v10
	v_and_b32_e32 v6, 15, v6
	v_lshlrev_b32_sdwa v11, v11, v4 dst_sel:DWORD dst_unused:UNUSED_PAD src0_sel:DWORD src1_sel:WORD_1
	v_bfe_u32 v7, v4, 19, 4
	v_sub_u32_e32 v10, 29, v10
	v_and_b32_e32 v11, 7, v11
	v_cmp_eq_u16_e32 vcc, 0, v6
	v_cndmask_b32_e32 v3, v3, v11, vcc
	v_cndmask_b32_e32 v6, v7, v10, vcc
	v_lshlrev_b32_e32 v7, 8, v4
	v_mov_b32_e32 v10, 0x3b800000
	v_lshlrev_b32_e32 v3, 20, v3
	v_and_b32_e32 v7, 0x80000000, v7
	v_lshl_add_u32 v6, v6, 23, v10
	v_or3_b32 v6, v7, v6, v3
.LBB30_472:
	s_or_b64 exec, exec, s[6:7]
	s_nop 0
	v_mfma_f32_16x16x4f32 a[0:3], v2, v6, a[0:3]
	s_movk_i32 s4, 0x7f
	v_cmp_gt_i16_sdwa s[6:7], v8, s4 src0_sel:BYTE_3 src1_sel:DWORD
	s_mov_b64 s[4:5], 0
                                        ; implicit-def: $sgpr10
	s_and_saveexec_b64 s[8:9], s[6:7]
	s_xor_b64 s[6:7], exec, s[8:9]
	s_cbranch_execnz .LBB30_2521
; %bb.473:
	s_or_saveexec_b64 s[6:7], s[6:7]
	v_mov_b32_e32 v2, s10
	s_xor_b64 exec, exec, s[6:7]
	s_cbranch_execnz .LBB30_2524
.LBB30_474:
	s_or_b64 exec, exec, s[6:7]
	s_and_saveexec_b64 s[6:7], s[4:5]
	s_cbranch_execz .LBB30_476
.LBB30_475:
	v_bfe_u32 v2, v8, 24, 3
	v_ffbh_u32_e32 v10, v2
	v_min_u32_e32 v10, 32, v10
	v_lshrrev_b32_e32 v6, 27, v8
	v_subrev_u32_e32 v11, 28, v10
	v_and_b32_e32 v3, 0x80000000, v8
	v_and_b32_e32 v6, 15, v6
	v_bfe_u32 v7, v8, 27, 4
	v_lshlrev_b32_sdwa v8, v11, v8 dst_sel:DWORD dst_unused:UNUSED_PAD src0_sel:DWORD src1_sel:BYTE_3
	v_sub_u32_e32 v10, 29, v10
	v_and_b32_e32 v8, 7, v8
	v_cmp_eq_u16_e32 vcc, 0, v6
	v_cndmask_b32_e32 v2, v2, v8, vcc
	v_cndmask_b32_e32 v6, v7, v10, vcc
	v_mov_b32_e32 v7, 0x3b800000
	v_lshlrev_b32_e32 v2, 20, v2
	v_lshl_add_u32 v6, v6, 23, v7
	v_or3_b32 v2, v3, v6, v2
.LBB30_476:
	s_or_b64 exec, exec, s[6:7]
	s_movk_i32 s4, 0x7f
	v_cmp_gt_i16_sdwa s[6:7], v4, s4 src0_sel:BYTE_3 src1_sel:DWORD
	s_mov_b64 s[4:5], 0
                                        ; implicit-def: $sgpr10
	s_and_saveexec_b64 s[8:9], s[6:7]
	s_xor_b64 s[6:7], exec, s[8:9]
	s_cbranch_execnz .LBB30_2525
; %bb.477:
	s_or_saveexec_b64 s[6:7], s[6:7]
	v_mov_b32_e32 v3, s10
	s_xor_b64 exec, exec, s[6:7]
	s_cbranch_execnz .LBB30_2528
.LBB30_478:
	s_or_b64 exec, exec, s[6:7]
	s_and_saveexec_b64 s[6:7], s[4:5]
	s_cbranch_execz .LBB30_480
.LBB30_479:
	v_bfe_u32 v3, v4, 24, 3
	v_ffbh_u32_e32 v10, v3
	v_min_u32_e32 v10, 32, v10
	v_lshrrev_b32_e32 v7, 27, v4
	v_subrev_u32_e32 v11, 28, v10
	v_and_b32_e32 v6, 0x80000000, v4
	v_and_b32_e32 v7, 15, v7
	v_bfe_u32 v8, v4, 27, 4
	v_lshlrev_b32_sdwa v4, v11, v4 dst_sel:DWORD dst_unused:UNUSED_PAD src0_sel:DWORD src1_sel:BYTE_3
	v_sub_u32_e32 v10, 29, v10
	v_and_b32_e32 v4, 7, v4
	v_cmp_eq_u16_e32 vcc, 0, v7
	v_cndmask_b32_e32 v3, v3, v4, vcc
	v_cndmask_b32_e32 v4, v8, v10, vcc
	v_mov_b32_e32 v7, 0x3b800000
	v_lshlrev_b32_e32 v3, 20, v3
	v_lshl_add_u32 v4, v4, 23, v7
	v_or3_b32 v3, v6, v4, v3
.LBB30_480:
	s_or_b64 exec, exec, s[6:7]
	s_nop 0
	v_mfma_f32_16x16x4f32 a[0:3], v2, v3, a[0:3]
	s_movk_i32 s4, 0x7f
	v_cmp_gt_i16_sdwa s[6:7], v9, s4 src0_sel:BYTE_0 src1_sel:DWORD
	s_mov_b64 s[4:5], 0
                                        ; implicit-def: $sgpr10
	s_and_saveexec_b64 s[8:9], s[6:7]
	s_xor_b64 s[6:7], exec, s[8:9]
	s_cbranch_execnz .LBB30_2529
; %bb.481:
	s_or_saveexec_b64 s[6:7], s[6:7]
	v_mov_b32_e32 v2, s10
	s_xor_b64 exec, exec, s[6:7]
	s_cbranch_execnz .LBB30_2532
.LBB30_482:
	s_or_b64 exec, exec, s[6:7]
	s_and_saveexec_b64 s[6:7], s[4:5]
	s_cbranch_execz .LBB30_484
.LBB30_483:
	v_mov_b32_e32 v2, 8
	v_and_b32_e32 v3, 7, v9
	v_lshrrev_b32_sdwa v2, v2, v9 dst_sel:BYTE_1 dst_unused:UNUSED_PAD src0_sel:DWORD src1_sel:DWORD
	v_ffbh_u32_e32 v4, v3
	v_or_b32_sdwa v2, v9, v2 dst_sel:DWORD dst_unused:UNUSED_PAD src0_sel:BYTE_0 src1_sel:DWORD
	v_min_u32_e32 v4, 32, v4
	v_lshrrev_b16_e32 v2, 3, v2
	v_subrev_u32_e32 v6, 28, v4
	v_and_b32_e32 v2, 15, v2
	v_lshlrev_b32_e32 v6, v6, v9
	v_sub_u32_e32 v4, 29, v4
	v_and_b32_e32 v6, 7, v6
	v_cmp_eq_u16_e32 vcc, 0, v2
	v_cndmask_b32_e32 v3, v3, v6, vcc
	v_cndmask_b32_e32 v2, v2, v4, vcc
	v_lshlrev_b32_e32 v4, 24, v9
	v_mov_b32_e32 v6, 0x3b800000
	v_lshlrev_b32_e32 v3, 20, v3
	v_and_b32_e32 v4, 0x80000000, v4
	v_lshl_add_u32 v2, v2, 23, v6
	v_or3_b32 v2, v4, v2, v3
.LBB30_484:
	s_or_b64 exec, exec, s[6:7]
	s_movk_i32 s4, 0x7f
	v_cmp_gt_i16_sdwa s[6:7], v5, s4 src0_sel:BYTE_0 src1_sel:DWORD
	s_mov_b64 s[4:5], 0
                                        ; implicit-def: $sgpr10
	s_and_saveexec_b64 s[8:9], s[6:7]
	s_xor_b64 s[6:7], exec, s[8:9]
	s_cbranch_execnz .LBB30_2533
; %bb.485:
	s_or_saveexec_b64 s[6:7], s[6:7]
	v_mov_b32_e32 v3, s10
	s_xor_b64 exec, exec, s[6:7]
	s_cbranch_execnz .LBB30_2536
.LBB30_486:
	s_or_b64 exec, exec, s[6:7]
	s_and_saveexec_b64 s[6:7], s[4:5]
	s_cbranch_execz .LBB30_488
.LBB30_487:
	v_mov_b32_e32 v3, 8
	v_and_b32_e32 v4, 7, v5
	v_lshrrev_b32_sdwa v3, v3, v5 dst_sel:BYTE_1 dst_unused:UNUSED_PAD src0_sel:DWORD src1_sel:DWORD
	v_ffbh_u32_e32 v6, v4
	v_or_b32_sdwa v3, v5, v3 dst_sel:DWORD dst_unused:UNUSED_PAD src0_sel:BYTE_0 src1_sel:DWORD
	v_min_u32_e32 v6, 32, v6
	v_lshrrev_b16_e32 v3, 3, v3
	v_subrev_u32_e32 v7, 28, v6
	v_and_b32_e32 v3, 15, v3
	v_lshlrev_b32_e32 v7, v7, v5
	v_sub_u32_e32 v6, 29, v6
	v_and_b32_e32 v7, 7, v7
	v_cmp_eq_u16_e32 vcc, 0, v3
	v_cndmask_b32_e32 v4, v4, v7, vcc
	v_cndmask_b32_e32 v3, v3, v6, vcc
	v_lshlrev_b32_e32 v6, 24, v5
	v_mov_b32_e32 v7, 0x3b800000
	v_lshlrev_b32_e32 v4, 20, v4
	v_and_b32_e32 v6, 0x80000000, v6
	v_lshl_add_u32 v3, v3, 23, v7
	v_or3_b32 v3, v6, v3, v4
.LBB30_488:
	s_or_b64 exec, exec, s[6:7]
	s_nop 0
	v_mfma_f32_16x16x4f32 a[0:3], v2, v3, a[0:3]
	v_lshrrev_b32_e32 v3, 8, v9
	s_movk_i32 s4, 0x7f
	v_cmp_gt_i16_sdwa s[6:7], v3, s4 src0_sel:BYTE_0 src1_sel:DWORD
	s_mov_b64 s[4:5], 0
                                        ; implicit-def: $sgpr10
	s_and_saveexec_b64 s[8:9], s[6:7]
	s_xor_b64 s[6:7], exec, s[8:9]
	s_cbranch_execnz .LBB30_2537
; %bb.489:
	s_or_saveexec_b64 s[6:7], s[6:7]
	v_mov_b32_e32 v2, s10
	s_xor_b64 exec, exec, s[6:7]
	s_cbranch_execnz .LBB30_2540
.LBB30_490:
	s_or_b64 exec, exec, s[6:7]
	s_and_saveexec_b64 s[6:7], s[4:5]
	s_cbranch_execz .LBB30_492
.LBB30_491:
	v_bfe_u32 v2, v9, 8, 3
	v_ffbh_u32_e32 v6, v2
	v_min_u32_e32 v6, 32, v6
	v_lshrrev_b16_e32 v4, 3, v3
	v_subrev_u32_e32 v7, 28, v6
	v_and_b32_e32 v4, 15, v4
	v_lshlrev_b32_e32 v3, v7, v3
	v_sub_u32_e32 v6, 29, v6
	v_and_b32_e32 v3, 7, v3
	v_cmp_eq_u16_e32 vcc, 0, v4
	v_cndmask_b32_e32 v2, v2, v3, vcc
	v_cndmask_b32_e32 v3, v4, v6, vcc
	v_lshlrev_b32_e32 v4, 16, v9
	v_mov_b32_e32 v6, 0x3b800000
	v_lshlrev_b32_e32 v2, 20, v2
	v_and_b32_e32 v4, 0x80000000, v4
	v_lshl_add_u32 v3, v3, 23, v6
	v_or3_b32 v2, v4, v3, v2
.LBB30_492:
	s_or_b64 exec, exec, s[6:7]
	v_lshrrev_b32_e32 v3, 8, v5
	s_movk_i32 s4, 0x7f
	v_cmp_gt_i16_sdwa s[6:7], v3, s4 src0_sel:BYTE_0 src1_sel:DWORD
	s_mov_b64 s[4:5], 0
                                        ; implicit-def: $sgpr10
	s_and_saveexec_b64 s[8:9], s[6:7]
	s_xor_b64 s[6:7], exec, s[8:9]
	s_cbranch_execnz .LBB30_2541
; %bb.493:
	s_or_saveexec_b64 s[6:7], s[6:7]
	v_mov_b32_e32 v4, s10
	s_xor_b64 exec, exec, s[6:7]
	s_cbranch_execnz .LBB30_2544
.LBB30_494:
	s_or_b64 exec, exec, s[6:7]
	s_and_saveexec_b64 s[6:7], s[4:5]
	s_cbranch_execz .LBB30_496
.LBB30_495:
	v_bfe_u32 v4, v5, 8, 3
	v_ffbh_u32_e32 v7, v4
	v_min_u32_e32 v7, 32, v7
	v_lshrrev_b16_e32 v6, 3, v3
	v_subrev_u32_e32 v8, 28, v7
	v_and_b32_e32 v6, 15, v6
	v_lshlrev_b32_e32 v3, v8, v3
	v_sub_u32_e32 v7, 29, v7
	v_and_b32_e32 v3, 7, v3
	v_cmp_eq_u16_e32 vcc, 0, v6
	v_cndmask_b32_e32 v3, v4, v3, vcc
	v_cndmask_b32_e32 v4, v6, v7, vcc
	v_lshlrev_b32_e32 v6, 16, v5
	v_mov_b32_e32 v7, 0x3b800000
	v_lshlrev_b32_e32 v3, 20, v3
	v_and_b32_e32 v6, 0x80000000, v6
	v_lshl_add_u32 v4, v4, 23, v7
	v_or3_b32 v4, v6, v4, v3
.LBB30_496:
	s_or_b64 exec, exec, s[6:7]
	s_nop 0
	v_mfma_f32_16x16x4f32 a[0:3], v2, v4, a[0:3]
	s_movk_i32 s4, 0xff
	v_and_b32_sdwa v3, v9, s4 dst_sel:DWORD dst_unused:UNUSED_PAD src0_sel:WORD_1 src1_sel:DWORD
	s_movk_i32 s4, 0x7f
	v_cmp_lt_i16_e32 vcc, s4, v3
	s_mov_b64 s[4:5], 0
                                        ; implicit-def: $sgpr10
	s_and_saveexec_b64 s[6:7], vcc
	s_xor_b64 s[6:7], exec, s[6:7]
	s_cbranch_execnz .LBB30_2545
; %bb.497:
	s_or_saveexec_b64 s[6:7], s[6:7]
	v_mov_b32_e32 v2, s10
	s_xor_b64 exec, exec, s[6:7]
	s_cbranch_execnz .LBB30_2548
.LBB30_498:
	s_or_b64 exec, exec, s[6:7]
	s_and_saveexec_b64 s[6:7], s[4:5]
	s_cbranch_execz .LBB30_500
.LBB30_499:
	v_bfe_u32 v2, v9, 16, 3
	v_ffbh_u32_e32 v6, v2
	v_min_u32_e32 v6, 32, v6
	v_lshrrev_b32_e32 v3, 19, v9
	v_subrev_u32_e32 v7, 28, v6
	v_and_b32_e32 v3, 15, v3
	v_lshlrev_b32_sdwa v7, v7, v9 dst_sel:DWORD dst_unused:UNUSED_PAD src0_sel:DWORD src1_sel:WORD_1
	v_bfe_u32 v4, v9, 19, 4
	v_sub_u32_e32 v6, 29, v6
	v_and_b32_e32 v7, 7, v7
	v_cmp_eq_u16_e32 vcc, 0, v3
	v_cndmask_b32_e32 v2, v2, v7, vcc
	v_cndmask_b32_e32 v3, v4, v6, vcc
	v_lshlrev_b32_e32 v4, 8, v9
	v_mov_b32_e32 v6, 0x3b800000
	v_lshlrev_b32_e32 v2, 20, v2
	v_and_b32_e32 v4, 0x80000000, v4
	v_lshl_add_u32 v3, v3, 23, v6
	v_or3_b32 v2, v4, v3, v2
.LBB30_500:
	s_or_b64 exec, exec, s[6:7]
	s_movk_i32 s4, 0xff
	v_and_b32_sdwa v3, v5, s4 dst_sel:DWORD dst_unused:UNUSED_PAD src0_sel:WORD_1 src1_sel:DWORD
	s_movk_i32 s4, 0x7f
	v_cmp_lt_i16_e32 vcc, s4, v3
	s_mov_b64 s[4:5], 0
                                        ; implicit-def: $sgpr10
	s_and_saveexec_b64 s[6:7], vcc
	s_xor_b64 s[6:7], exec, s[6:7]
	s_cbranch_execnz .LBB30_2549
; %bb.501:
	s_or_saveexec_b64 s[6:7], s[6:7]
	v_mov_b32_e32 v4, s10
	s_xor_b64 exec, exec, s[6:7]
	s_cbranch_execnz .LBB30_2552
.LBB30_502:
	s_or_b64 exec, exec, s[6:7]
	s_and_saveexec_b64 s[6:7], s[4:5]
	s_cbranch_execz .LBB30_504
.LBB30_503:
	v_bfe_u32 v3, v5, 16, 3
	v_ffbh_u32_e32 v7, v3
	v_min_u32_e32 v7, 32, v7
	v_lshrrev_b32_e32 v4, 19, v5
	v_subrev_u32_e32 v8, 28, v7
	v_and_b32_e32 v4, 15, v4
	v_lshlrev_b32_sdwa v8, v8, v5 dst_sel:DWORD dst_unused:UNUSED_PAD src0_sel:DWORD src1_sel:WORD_1
	v_bfe_u32 v6, v5, 19, 4
	v_sub_u32_e32 v7, 29, v7
	v_and_b32_e32 v8, 7, v8
	v_cmp_eq_u16_e32 vcc, 0, v4
	v_cndmask_b32_e32 v3, v3, v8, vcc
	v_cndmask_b32_e32 v4, v6, v7, vcc
	v_lshlrev_b32_e32 v6, 8, v5
	v_mov_b32_e32 v7, 0x3b800000
	v_lshlrev_b32_e32 v3, 20, v3
	v_and_b32_e32 v6, 0x80000000, v6
	v_lshl_add_u32 v4, v4, 23, v7
	v_or3_b32 v4, v6, v4, v3
.LBB30_504:
	s_or_b64 exec, exec, s[6:7]
	s_nop 0
	v_mfma_f32_16x16x4f32 a[0:3], v2, v4, a[0:3]
	s_movk_i32 s4, 0x7f
	v_cmp_gt_i16_sdwa s[6:7], v9, s4 src0_sel:BYTE_3 src1_sel:DWORD
	s_mov_b64 s[4:5], 0
                                        ; implicit-def: $sgpr10
	s_and_saveexec_b64 s[8:9], s[6:7]
	s_xor_b64 s[6:7], exec, s[8:9]
	s_cbranch_execnz .LBB30_2553
; %bb.505:
	s_or_saveexec_b64 s[6:7], s[6:7]
	v_mov_b32_e32 v2, s10
	s_xor_b64 exec, exec, s[6:7]
	s_cbranch_execnz .LBB30_2556
.LBB30_506:
	s_or_b64 exec, exec, s[6:7]
	s_and_saveexec_b64 s[6:7], s[4:5]
	s_cbranch_execz .LBB30_508
.LBB30_507:
	v_bfe_u32 v2, v9, 24, 3
	v_ffbh_u32_e32 v7, v2
	v_min_u32_e32 v7, 32, v7
	v_lshrrev_b32_e32 v4, 27, v9
	v_subrev_u32_e32 v8, 28, v7
	v_and_b32_e32 v4, 15, v4
	v_lshlrev_b32_sdwa v8, v8, v9 dst_sel:DWORD dst_unused:UNUSED_PAD src0_sel:DWORD src1_sel:BYTE_3
	v_bfe_u32 v6, v9, 27, 4
	v_sub_u32_e32 v7, 29, v7
	v_and_b32_e32 v8, 7, v8
	v_cmp_eq_u16_e32 vcc, 0, v4
	v_cndmask_b32_e32 v2, v2, v8, vcc
	v_cndmask_b32_e32 v4, v6, v7, vcc
	v_mov_b32_e32 v6, 0x3b800000
	v_and_b32_e32 v3, 0x80000000, v9
	v_lshlrev_b32_e32 v2, 20, v2
	v_lshl_add_u32 v4, v4, 23, v6
	v_or3_b32 v2, v3, v4, v2
.LBB30_508:
	s_or_b64 exec, exec, s[6:7]
	s_movk_i32 s4, 0x7f
	v_cmp_gt_i16_sdwa s[6:7], v5, s4 src0_sel:BYTE_3 src1_sel:DWORD
	s_mov_b64 s[4:5], 0
                                        ; implicit-def: $sgpr10
	s_and_saveexec_b64 s[8:9], s[6:7]
	s_xor_b64 s[6:7], exec, s[8:9]
	s_cbranch_execnz .LBB30_2557
; %bb.509:
	s_or_saveexec_b64 s[6:7], s[6:7]
	v_mov_b32_e32 v3, s10
	s_xor_b64 exec, exec, s[6:7]
	s_cbranch_execnz .LBB30_2560
.LBB30_510:
	s_or_b64 exec, exec, s[6:7]
	s_and_saveexec_b64 s[6:7], s[4:5]
	s_cbranch_execz .LBB30_512
.LBB30_511:
	v_bfe_u32 v3, v5, 24, 3
	v_ffbh_u32_e32 v8, v3
	v_min_u32_e32 v8, 32, v8
	v_lshrrev_b32_e32 v6, 27, v5
	v_subrev_u32_e32 v9, 28, v8
	v_and_b32_e32 v4, 0x80000000, v5
	v_and_b32_e32 v6, 15, v6
	v_bfe_u32 v7, v5, 27, 4
	v_lshlrev_b32_sdwa v5, v9, v5 dst_sel:DWORD dst_unused:UNUSED_PAD src0_sel:DWORD src1_sel:BYTE_3
	v_sub_u32_e32 v8, 29, v8
	v_and_b32_e32 v5, 7, v5
	v_cmp_eq_u16_e32 vcc, 0, v6
	v_cndmask_b32_e32 v3, v3, v5, vcc
	v_cndmask_b32_e32 v5, v7, v8, vcc
	v_mov_b32_e32 v6, 0x3b800000
	v_lshlrev_b32_e32 v3, 20, v3
	v_lshl_add_u32 v5, v5, 23, v6
	v_or3_b32 v3, v4, v5, v3
.LBB30_512:
	s_or_b64 exec, exec, s[6:7]
	s_nop 0
	v_mfma_f32_16x16x4f32 a[0:3], v2, v3, a[0:3]
	s_movk_i32 s4, 0x7f
                                        ; implicit-def: $sgpr10
	s_nop 7
	s_nop 1
	flat_store_dwordx4 v[18:19], a[0:3] offset:272
	flat_load_dwordx4 v[20:23], v[0:1] offset:16
	s_nop 0
	flat_load_dwordx2 v[18:19], v[0:1] offset:32
	s_waitcnt vmcnt(0) lgkmcnt(0)
	flat_load_dwordx4 v[14:17], v[20:21]
	flat_load_dwordx4 v[6:9], v[20:21] offset:16
	flat_load_dwordx4 v[10:13], v[22:23] offset:64
	;; [unrolled: 1-line block ×3, first 2 shown]
	s_waitcnt vmcnt(0) lgkmcnt(0)
	v_cmp_gt_i16_sdwa s[6:7], v14, s4 src0_sel:BYTE_0 src1_sel:DWORD
	s_mov_b64 s[4:5], 0
	s_and_saveexec_b64 s[8:9], s[6:7]
	s_xor_b64 s[6:7], exec, s[8:9]
	s_cbranch_execnz .LBB30_2561
; %bb.513:
	s_or_saveexec_b64 s[6:7], s[6:7]
	v_mov_b32_e32 v20, s10
	s_xor_b64 exec, exec, s[6:7]
	s_cbranch_execnz .LBB30_2564
.LBB30_514:
	s_or_b64 exec, exec, s[6:7]
	s_and_saveexec_b64 s[6:7], s[4:5]
	s_cbranch_execz .LBB30_516
.LBB30_515:
	v_and_b32_e32 v20, 7, v14
	v_ffbh_u32_e32 v22, v20
	v_min_u32_e32 v22, 32, v22
	v_lshrrev_b16_e32 v21, 3, v14
	v_subrev_u32_e32 v23, 28, v22
	v_and_b32_e32 v21, 15, v21
	v_lshlrev_b32_e32 v23, v23, v14
	v_sub_u32_e32 v22, 29, v22
	v_and_b32_e32 v23, 7, v23
	v_cmp_eq_u16_e32 vcc, 0, v21
	v_cndmask_b32_e32 v20, v20, v23, vcc
	v_cndmask_b32_e32 v21, v21, v22, vcc
	v_lshlrev_b32_e32 v22, 24, v14
	v_mov_b32_e32 v23, 0x3b800000
	v_lshlrev_b32_e32 v20, 20, v20
	v_and_b32_e32 v22, 0x80000000, v22
	v_lshl_add_u32 v21, v21, 23, v23
	v_or3_b32 v20, v22, v21, v20
.LBB30_516:
	s_or_b64 exec, exec, s[6:7]
	s_movk_i32 s4, 0x7f
	v_cmp_gt_i16_sdwa s[6:7], v10, s4 src0_sel:BYTE_0 src1_sel:DWORD
	s_mov_b64 s[4:5], 0
                                        ; implicit-def: $sgpr10
	s_and_saveexec_b64 s[8:9], s[6:7]
	s_xor_b64 s[6:7], exec, s[8:9]
	s_cbranch_execnz .LBB30_2565
; %bb.517:
	s_or_saveexec_b64 s[6:7], s[6:7]
	v_mov_b32_e32 v21, s10
	s_xor_b64 exec, exec, s[6:7]
	s_cbranch_execnz .LBB30_2568
.LBB30_518:
	s_or_b64 exec, exec, s[6:7]
	s_and_saveexec_b64 s[6:7], s[4:5]
	s_cbranch_execz .LBB30_520
.LBB30_519:
	v_and_b32_e32 v21, 7, v10
	v_ffbh_u32_e32 v23, v21
	v_min_u32_e32 v23, 32, v23
	v_lshrrev_b16_e32 v22, 3, v10
	v_subrev_u32_e32 v24, 28, v23
	v_and_b32_e32 v22, 15, v22
	v_lshlrev_b32_e32 v24, v24, v10
	v_sub_u32_e32 v23, 29, v23
	v_and_b32_e32 v24, 7, v24
	v_cmp_eq_u16_e32 vcc, 0, v22
	v_cndmask_b32_e32 v21, v21, v24, vcc
	v_cndmask_b32_e32 v22, v22, v23, vcc
	v_lshlrev_b32_e32 v23, 24, v10
	v_mov_b32_e32 v24, 0x3b800000
	v_lshlrev_b32_e32 v21, 20, v21
	v_and_b32_e32 v23, 0x80000000, v23
	v_lshl_add_u32 v22, v22, 23, v24
	v_or3_b32 v21, v23, v22, v21
.LBB30_520:
	s_or_b64 exec, exec, s[6:7]
	flat_load_dwordx4 a[0:3], v[18:19] offset:288
	s_movk_i32 s4, 0x7f
                                        ; implicit-def: $sgpr10
	s_waitcnt vmcnt(0) lgkmcnt(0)
	v_mfma_f32_16x16x4f32 a[0:3], v20, v21, a[0:3]
	v_lshrrev_b32_e32 v21, 8, v14
	v_cmp_gt_i16_sdwa s[6:7], v21, s4 src0_sel:BYTE_0 src1_sel:DWORD
	s_mov_b64 s[4:5], 0
	s_and_saveexec_b64 s[8:9], s[6:7]
	s_xor_b64 s[6:7], exec, s[8:9]
	s_cbranch_execnz .LBB30_2569
; %bb.521:
	s_or_saveexec_b64 s[6:7], s[6:7]
	v_mov_b32_e32 v20, s10
	s_xor_b64 exec, exec, s[6:7]
	s_cbranch_execnz .LBB30_2572
.LBB30_522:
	s_or_b64 exec, exec, s[6:7]
	s_and_saveexec_b64 s[6:7], s[4:5]
	s_cbranch_execz .LBB30_524
.LBB30_523:
	v_bfe_u32 v20, v14, 8, 3
	v_ffbh_u32_e32 v23, v20
	v_min_u32_e32 v23, 32, v23
	v_lshrrev_b16_e32 v22, 3, v21
	v_subrev_u32_e32 v24, 28, v23
	v_and_b32_e32 v22, 15, v22
	v_lshlrev_b32_e32 v21, v24, v21
	v_sub_u32_e32 v23, 29, v23
	v_and_b32_e32 v21, 7, v21
	v_cmp_eq_u16_e32 vcc, 0, v22
	v_cndmask_b32_e32 v20, v20, v21, vcc
	v_cndmask_b32_e32 v21, v22, v23, vcc
	v_lshlrev_b32_e32 v22, 16, v14
	v_mov_b32_e32 v23, 0x3b800000
	v_lshlrev_b32_e32 v20, 20, v20
	v_and_b32_e32 v22, 0x80000000, v22
	v_lshl_add_u32 v21, v21, 23, v23
	v_or3_b32 v20, v22, v21, v20
.LBB30_524:
	s_or_b64 exec, exec, s[6:7]
	v_lshrrev_b32_e32 v21, 8, v10
	s_movk_i32 s4, 0x7f
	v_cmp_gt_i16_sdwa s[6:7], v21, s4 src0_sel:BYTE_0 src1_sel:DWORD
	s_mov_b64 s[4:5], 0
                                        ; implicit-def: $sgpr10
	s_and_saveexec_b64 s[8:9], s[6:7]
	s_xor_b64 s[6:7], exec, s[8:9]
	s_cbranch_execnz .LBB30_2573
; %bb.525:
	s_or_saveexec_b64 s[6:7], s[6:7]
	v_mov_b32_e32 v22, s10
	s_xor_b64 exec, exec, s[6:7]
	s_cbranch_execnz .LBB30_2576
.LBB30_526:
	s_or_b64 exec, exec, s[6:7]
	s_and_saveexec_b64 s[6:7], s[4:5]
	s_cbranch_execz .LBB30_528
.LBB30_527:
	v_bfe_u32 v22, v10, 8, 3
	v_ffbh_u32_e32 v24, v22
	v_min_u32_e32 v24, 32, v24
	v_lshrrev_b16_e32 v23, 3, v21
	v_subrev_u32_e32 v25, 28, v24
	v_and_b32_e32 v23, 15, v23
	v_lshlrev_b32_e32 v21, v25, v21
	v_sub_u32_e32 v24, 29, v24
	v_and_b32_e32 v21, 7, v21
	v_cmp_eq_u16_e32 vcc, 0, v23
	v_cndmask_b32_e32 v21, v22, v21, vcc
	v_cndmask_b32_e32 v22, v23, v24, vcc
	v_lshlrev_b32_e32 v23, 16, v10
	v_mov_b32_e32 v24, 0x3b800000
	v_lshlrev_b32_e32 v21, 20, v21
	v_and_b32_e32 v23, 0x80000000, v23
	v_lshl_add_u32 v22, v22, 23, v24
	v_or3_b32 v22, v23, v22, v21
.LBB30_528:
	s_or_b64 exec, exec, s[6:7]
	s_nop 0
	v_mfma_f32_16x16x4f32 a[0:3], v20, v22, a[0:3]
	s_movk_i32 s4, 0xff
	v_and_b32_sdwa v21, v14, s4 dst_sel:DWORD dst_unused:UNUSED_PAD src0_sel:WORD_1 src1_sel:DWORD
	s_movk_i32 s4, 0x7f
	v_cmp_lt_i16_e32 vcc, s4, v21
	s_mov_b64 s[4:5], 0
                                        ; implicit-def: $sgpr10
	s_and_saveexec_b64 s[6:7], vcc
	s_xor_b64 s[6:7], exec, s[6:7]
	s_cbranch_execnz .LBB30_2577
; %bb.529:
	s_or_saveexec_b64 s[6:7], s[6:7]
	v_mov_b32_e32 v20, s10
	s_xor_b64 exec, exec, s[6:7]
	s_cbranch_execnz .LBB30_2580
.LBB30_530:
	s_or_b64 exec, exec, s[6:7]
	s_and_saveexec_b64 s[6:7], s[4:5]
	s_cbranch_execz .LBB30_532
.LBB30_531:
	v_bfe_u32 v20, v14, 16, 3
	v_ffbh_u32_e32 v23, v20
	v_min_u32_e32 v23, 32, v23
	v_lshrrev_b32_e32 v21, 19, v14
	v_subrev_u32_e32 v24, 28, v23
	v_and_b32_e32 v21, 15, v21
	v_lshlrev_b32_sdwa v24, v24, v14 dst_sel:DWORD dst_unused:UNUSED_PAD src0_sel:DWORD src1_sel:WORD_1
	v_bfe_u32 v22, v14, 19, 4
	v_sub_u32_e32 v23, 29, v23
	v_and_b32_e32 v24, 7, v24
	v_cmp_eq_u16_e32 vcc, 0, v21
	v_cndmask_b32_e32 v20, v20, v24, vcc
	v_cndmask_b32_e32 v21, v22, v23, vcc
	v_lshlrev_b32_e32 v22, 8, v14
	v_mov_b32_e32 v23, 0x3b800000
	v_lshlrev_b32_e32 v20, 20, v20
	v_and_b32_e32 v22, 0x80000000, v22
	v_lshl_add_u32 v21, v21, 23, v23
	v_or3_b32 v20, v22, v21, v20
.LBB30_532:
	s_or_b64 exec, exec, s[6:7]
	s_movk_i32 s4, 0xff
	v_and_b32_sdwa v21, v10, s4 dst_sel:DWORD dst_unused:UNUSED_PAD src0_sel:WORD_1 src1_sel:DWORD
	s_movk_i32 s4, 0x7f
	v_cmp_lt_i16_e32 vcc, s4, v21
	s_mov_b64 s[4:5], 0
                                        ; implicit-def: $sgpr10
	s_and_saveexec_b64 s[6:7], vcc
	s_xor_b64 s[6:7], exec, s[6:7]
	s_cbranch_execnz .LBB30_2581
; %bb.533:
	s_or_saveexec_b64 s[6:7], s[6:7]
	v_mov_b32_e32 v22, s10
	s_xor_b64 exec, exec, s[6:7]
	s_cbranch_execnz .LBB30_2584
.LBB30_534:
	s_or_b64 exec, exec, s[6:7]
	s_and_saveexec_b64 s[6:7], s[4:5]
	s_cbranch_execz .LBB30_536
.LBB30_535:
	v_bfe_u32 v21, v10, 16, 3
	v_ffbh_u32_e32 v24, v21
	v_min_u32_e32 v24, 32, v24
	v_lshrrev_b32_e32 v22, 19, v10
	v_subrev_u32_e32 v25, 28, v24
	v_and_b32_e32 v22, 15, v22
	v_lshlrev_b32_sdwa v25, v25, v10 dst_sel:DWORD dst_unused:UNUSED_PAD src0_sel:DWORD src1_sel:WORD_1
	v_bfe_u32 v23, v10, 19, 4
	v_sub_u32_e32 v24, 29, v24
	v_and_b32_e32 v25, 7, v25
	v_cmp_eq_u16_e32 vcc, 0, v22
	v_cndmask_b32_e32 v21, v21, v25, vcc
	v_cndmask_b32_e32 v22, v23, v24, vcc
	v_lshlrev_b32_e32 v23, 8, v10
	v_mov_b32_e32 v24, 0x3b800000
	v_lshlrev_b32_e32 v21, 20, v21
	v_and_b32_e32 v23, 0x80000000, v23
	v_lshl_add_u32 v22, v22, 23, v24
	v_or3_b32 v22, v23, v22, v21
.LBB30_536:
	s_or_b64 exec, exec, s[6:7]
	s_nop 0
	v_mfma_f32_16x16x4f32 a[0:3], v20, v22, a[0:3]
	s_movk_i32 s4, 0x7f
	v_cmp_gt_i16_sdwa s[6:7], v14, s4 src0_sel:BYTE_3 src1_sel:DWORD
	s_mov_b64 s[4:5], 0
                                        ; implicit-def: $sgpr10
	s_and_saveexec_b64 s[8:9], s[6:7]
	s_xor_b64 s[6:7], exec, s[8:9]
	s_cbranch_execnz .LBB30_2585
; %bb.537:
	s_or_saveexec_b64 s[6:7], s[6:7]
	v_mov_b32_e32 v20, s10
	s_xor_b64 exec, exec, s[6:7]
	s_cbranch_execnz .LBB30_2588
.LBB30_538:
	s_or_b64 exec, exec, s[6:7]
	s_and_saveexec_b64 s[6:7], s[4:5]
	s_cbranch_execz .LBB30_540
.LBB30_539:
	v_bfe_u32 v20, v14, 24, 3
	v_ffbh_u32_e32 v24, v20
	v_min_u32_e32 v24, 32, v24
	v_lshrrev_b32_e32 v22, 27, v14
	v_subrev_u32_e32 v25, 28, v24
	v_and_b32_e32 v21, 0x80000000, v14
	v_and_b32_e32 v22, 15, v22
	v_bfe_u32 v23, v14, 27, 4
	v_lshlrev_b32_sdwa v14, v25, v14 dst_sel:DWORD dst_unused:UNUSED_PAD src0_sel:DWORD src1_sel:BYTE_3
	v_sub_u32_e32 v24, 29, v24
	v_and_b32_e32 v14, 7, v14
	v_cmp_eq_u16_e32 vcc, 0, v22
	v_cndmask_b32_e32 v14, v20, v14, vcc
	v_cndmask_b32_e32 v20, v23, v24, vcc
	v_mov_b32_e32 v22, 0x3b800000
	v_lshlrev_b32_e32 v14, 20, v14
	v_lshl_add_u32 v20, v20, 23, v22
	v_or3_b32 v20, v21, v20, v14
.LBB30_540:
	s_or_b64 exec, exec, s[6:7]
	s_movk_i32 s4, 0x7f
	v_cmp_gt_i16_sdwa s[6:7], v10, s4 src0_sel:BYTE_3 src1_sel:DWORD
	s_mov_b64 s[4:5], 0
                                        ; implicit-def: $sgpr10
	s_and_saveexec_b64 s[8:9], s[6:7]
	s_xor_b64 s[6:7], exec, s[8:9]
	s_cbranch_execnz .LBB30_2589
; %bb.541:
	s_or_saveexec_b64 s[6:7], s[6:7]
	v_mov_b32_e32 v14, s10
	s_xor_b64 exec, exec, s[6:7]
	s_cbranch_execnz .LBB30_2592
.LBB30_542:
	s_or_b64 exec, exec, s[6:7]
	s_and_saveexec_b64 s[6:7], s[4:5]
	s_cbranch_execz .LBB30_544
.LBB30_543:
	v_bfe_u32 v14, v10, 24, 3
	v_ffbh_u32_e32 v24, v14
	v_min_u32_e32 v24, 32, v24
	v_lshrrev_b32_e32 v22, 27, v10
	v_subrev_u32_e32 v25, 28, v24
	v_and_b32_e32 v21, 0x80000000, v10
	v_and_b32_e32 v22, 15, v22
	v_bfe_u32 v23, v10, 27, 4
	v_lshlrev_b32_sdwa v10, v25, v10 dst_sel:DWORD dst_unused:UNUSED_PAD src0_sel:DWORD src1_sel:BYTE_3
	v_sub_u32_e32 v24, 29, v24
	v_and_b32_e32 v10, 7, v10
	v_cmp_eq_u16_e32 vcc, 0, v22
	v_cndmask_b32_e32 v10, v14, v10, vcc
	v_cndmask_b32_e32 v14, v23, v24, vcc
	v_mov_b32_e32 v22, 0x3b800000
	v_lshlrev_b32_e32 v10, 20, v10
	v_lshl_add_u32 v14, v14, 23, v22
	v_or3_b32 v14, v21, v14, v10
.LBB30_544:
	s_or_b64 exec, exec, s[6:7]
	s_nop 0
	v_mfma_f32_16x16x4f32 a[0:3], v20, v14, a[0:3]
	s_movk_i32 s4, 0x7f
	v_cmp_gt_i16_sdwa s[6:7], v15, s4 src0_sel:BYTE_0 src1_sel:DWORD
	s_mov_b64 s[4:5], 0
                                        ; implicit-def: $sgpr10
	s_and_saveexec_b64 s[8:9], s[6:7]
	s_xor_b64 s[6:7], exec, s[8:9]
	s_cbranch_execnz .LBB30_2593
; %bb.545:
	s_or_saveexec_b64 s[6:7], s[6:7]
	v_mov_b32_e32 v10, s10
	s_xor_b64 exec, exec, s[6:7]
	s_cbranch_execnz .LBB30_2596
.LBB30_546:
	s_or_b64 exec, exec, s[6:7]
	s_and_saveexec_b64 s[6:7], s[4:5]
	s_cbranch_execz .LBB30_548
.LBB30_547:
	v_and_b32_e32 v10, 7, v15
	v_ffbh_u32_e32 v20, v10
	v_min_u32_e32 v20, 32, v20
	v_lshrrev_b16_e32 v14, 3, v15
	v_subrev_u32_e32 v21, 28, v20
	v_and_b32_e32 v14, 15, v14
	v_lshlrev_b32_e32 v21, v21, v15
	v_sub_u32_e32 v20, 29, v20
	v_and_b32_e32 v21, 7, v21
	v_cmp_eq_u16_e32 vcc, 0, v14
	v_cndmask_b32_e32 v10, v10, v21, vcc
	v_cndmask_b32_e32 v14, v14, v20, vcc
	v_lshlrev_b32_e32 v20, 24, v15
	v_mov_b32_e32 v21, 0x3b800000
	v_lshlrev_b32_e32 v10, 20, v10
	v_and_b32_e32 v20, 0x80000000, v20
	v_lshl_add_u32 v14, v14, 23, v21
	v_or3_b32 v10, v20, v14, v10
.LBB30_548:
	s_or_b64 exec, exec, s[6:7]
	s_movk_i32 s4, 0x7f
	v_cmp_gt_i16_sdwa s[6:7], v11, s4 src0_sel:BYTE_0 src1_sel:DWORD
	s_mov_b64 s[4:5], 0
                                        ; implicit-def: $sgpr10
	s_and_saveexec_b64 s[8:9], s[6:7]
	s_xor_b64 s[6:7], exec, s[8:9]
	s_cbranch_execnz .LBB30_2597
; %bb.549:
	s_or_saveexec_b64 s[6:7], s[6:7]
	v_mov_b32_e32 v14, s10
	s_xor_b64 exec, exec, s[6:7]
	s_cbranch_execnz .LBB30_2600
.LBB30_550:
	s_or_b64 exec, exec, s[6:7]
	s_and_saveexec_b64 s[6:7], s[4:5]
	s_cbranch_execz .LBB30_552
.LBB30_551:
	v_and_b32_e32 v14, 7, v11
	v_ffbh_u32_e32 v21, v14
	v_min_u32_e32 v21, 32, v21
	v_lshrrev_b16_e32 v20, 3, v11
	v_subrev_u32_e32 v22, 28, v21
	v_and_b32_e32 v20, 15, v20
	v_lshlrev_b32_e32 v22, v22, v11
	v_sub_u32_e32 v21, 29, v21
	v_and_b32_e32 v22, 7, v22
	v_cmp_eq_u16_e32 vcc, 0, v20
	v_cndmask_b32_e32 v14, v14, v22, vcc
	v_cndmask_b32_e32 v20, v20, v21, vcc
	v_lshlrev_b32_e32 v21, 24, v11
	v_mov_b32_e32 v22, 0x3b800000
	v_lshlrev_b32_e32 v14, 20, v14
	v_and_b32_e32 v21, 0x80000000, v21
	v_lshl_add_u32 v20, v20, 23, v22
	v_or3_b32 v14, v21, v20, v14
.LBB30_552:
	s_or_b64 exec, exec, s[6:7]
	s_nop 0
	v_mfma_f32_16x16x4f32 a[0:3], v10, v14, a[0:3]
	v_lshrrev_b32_e32 v14, 8, v15
	s_movk_i32 s4, 0x7f
	v_cmp_gt_i16_sdwa s[6:7], v14, s4 src0_sel:BYTE_0 src1_sel:DWORD
	s_mov_b64 s[4:5], 0
                                        ; implicit-def: $sgpr10
	s_and_saveexec_b64 s[8:9], s[6:7]
	s_xor_b64 s[6:7], exec, s[8:9]
	s_cbranch_execnz .LBB30_2601
; %bb.553:
	s_or_saveexec_b64 s[6:7], s[6:7]
	v_mov_b32_e32 v10, s10
	s_xor_b64 exec, exec, s[6:7]
	s_cbranch_execnz .LBB30_2604
.LBB30_554:
	s_or_b64 exec, exec, s[6:7]
	s_and_saveexec_b64 s[6:7], s[4:5]
	s_cbranch_execz .LBB30_556
.LBB30_555:
	v_bfe_u32 v10, v15, 8, 3
	v_ffbh_u32_e32 v21, v10
	v_min_u32_e32 v21, 32, v21
	v_lshrrev_b16_e32 v20, 3, v14
	v_subrev_u32_e32 v22, 28, v21
	v_and_b32_e32 v20, 15, v20
	v_lshlrev_b32_e32 v14, v22, v14
	v_sub_u32_e32 v21, 29, v21
	v_and_b32_e32 v14, 7, v14
	v_cmp_eq_u16_e32 vcc, 0, v20
	v_cndmask_b32_e32 v10, v10, v14, vcc
	v_cndmask_b32_e32 v14, v20, v21, vcc
	v_lshlrev_b32_e32 v20, 16, v15
	v_mov_b32_e32 v21, 0x3b800000
	v_lshlrev_b32_e32 v10, 20, v10
	v_and_b32_e32 v20, 0x80000000, v20
	v_lshl_add_u32 v14, v14, 23, v21
	v_or3_b32 v10, v20, v14, v10
.LBB30_556:
	s_or_b64 exec, exec, s[6:7]
	v_lshrrev_b32_e32 v14, 8, v11
	s_movk_i32 s4, 0x7f
	v_cmp_gt_i16_sdwa s[6:7], v14, s4 src0_sel:BYTE_0 src1_sel:DWORD
	s_mov_b64 s[4:5], 0
                                        ; implicit-def: $sgpr10
	s_and_saveexec_b64 s[8:9], s[6:7]
	s_xor_b64 s[6:7], exec, s[8:9]
	s_cbranch_execnz .LBB30_2605
; %bb.557:
	s_or_saveexec_b64 s[6:7], s[6:7]
	v_mov_b32_e32 v20, s10
	s_xor_b64 exec, exec, s[6:7]
	s_cbranch_execnz .LBB30_2608
.LBB30_558:
	s_or_b64 exec, exec, s[6:7]
	s_and_saveexec_b64 s[6:7], s[4:5]
	s_cbranch_execz .LBB30_560
.LBB30_559:
	v_bfe_u32 v20, v11, 8, 3
	v_ffbh_u32_e32 v22, v20
	v_min_u32_e32 v22, 32, v22
	v_lshrrev_b16_e32 v21, 3, v14
	v_subrev_u32_e32 v23, 28, v22
	v_and_b32_e32 v21, 15, v21
	v_lshlrev_b32_e32 v14, v23, v14
	v_sub_u32_e32 v22, 29, v22
	v_and_b32_e32 v14, 7, v14
	v_cmp_eq_u16_e32 vcc, 0, v21
	v_cndmask_b32_e32 v14, v20, v14, vcc
	v_cndmask_b32_e32 v20, v21, v22, vcc
	v_lshlrev_b32_e32 v21, 16, v11
	v_mov_b32_e32 v22, 0x3b800000
	v_lshlrev_b32_e32 v14, 20, v14
	v_and_b32_e32 v21, 0x80000000, v21
	v_lshl_add_u32 v20, v20, 23, v22
	v_or3_b32 v20, v21, v20, v14
.LBB30_560:
	s_or_b64 exec, exec, s[6:7]
	s_nop 0
	v_mfma_f32_16x16x4f32 a[0:3], v10, v20, a[0:3]
	s_movk_i32 s4, 0xff
	v_and_b32_sdwa v14, v15, s4 dst_sel:DWORD dst_unused:UNUSED_PAD src0_sel:WORD_1 src1_sel:DWORD
	s_movk_i32 s4, 0x7f
	v_cmp_lt_i16_e32 vcc, s4, v14
	s_mov_b64 s[4:5], 0
                                        ; implicit-def: $sgpr10
	s_and_saveexec_b64 s[6:7], vcc
	s_xor_b64 s[6:7], exec, s[6:7]
	s_cbranch_execnz .LBB30_2609
; %bb.561:
	s_or_saveexec_b64 s[6:7], s[6:7]
	v_mov_b32_e32 v10, s10
	s_xor_b64 exec, exec, s[6:7]
	s_cbranch_execnz .LBB30_2612
.LBB30_562:
	s_or_b64 exec, exec, s[6:7]
	s_and_saveexec_b64 s[6:7], s[4:5]
	s_cbranch_execz .LBB30_564
.LBB30_563:
	v_bfe_u32 v10, v15, 16, 3
	v_ffbh_u32_e32 v21, v10
	v_min_u32_e32 v21, 32, v21
	v_lshrrev_b32_e32 v14, 19, v15
	v_subrev_u32_e32 v22, 28, v21
	v_and_b32_e32 v14, 15, v14
	v_lshlrev_b32_sdwa v22, v22, v15 dst_sel:DWORD dst_unused:UNUSED_PAD src0_sel:DWORD src1_sel:WORD_1
	v_bfe_u32 v20, v15, 19, 4
	v_sub_u32_e32 v21, 29, v21
	v_and_b32_e32 v22, 7, v22
	v_cmp_eq_u16_e32 vcc, 0, v14
	v_cndmask_b32_e32 v10, v10, v22, vcc
	v_cndmask_b32_e32 v14, v20, v21, vcc
	v_lshlrev_b32_e32 v20, 8, v15
	v_mov_b32_e32 v21, 0x3b800000
	v_lshlrev_b32_e32 v10, 20, v10
	v_and_b32_e32 v20, 0x80000000, v20
	v_lshl_add_u32 v14, v14, 23, v21
	v_or3_b32 v10, v20, v14, v10
.LBB30_564:
	s_or_b64 exec, exec, s[6:7]
	s_movk_i32 s4, 0xff
	v_and_b32_sdwa v14, v11, s4 dst_sel:DWORD dst_unused:UNUSED_PAD src0_sel:WORD_1 src1_sel:DWORD
	s_movk_i32 s4, 0x7f
	v_cmp_lt_i16_e32 vcc, s4, v14
	s_mov_b64 s[4:5], 0
                                        ; implicit-def: $sgpr10
	s_and_saveexec_b64 s[6:7], vcc
	s_xor_b64 s[6:7], exec, s[6:7]
	s_cbranch_execnz .LBB30_2613
; %bb.565:
	s_or_saveexec_b64 s[6:7], s[6:7]
	v_mov_b32_e32 v20, s10
	s_xor_b64 exec, exec, s[6:7]
	s_cbranch_execnz .LBB30_2616
.LBB30_566:
	s_or_b64 exec, exec, s[6:7]
	s_and_saveexec_b64 s[6:7], s[4:5]
	s_cbranch_execz .LBB30_568
.LBB30_567:
	v_bfe_u32 v14, v11, 16, 3
	v_ffbh_u32_e32 v22, v14
	v_min_u32_e32 v22, 32, v22
	v_lshrrev_b32_e32 v20, 19, v11
	v_subrev_u32_e32 v23, 28, v22
	v_and_b32_e32 v20, 15, v20
	v_lshlrev_b32_sdwa v23, v23, v11 dst_sel:DWORD dst_unused:UNUSED_PAD src0_sel:DWORD src1_sel:WORD_1
	v_bfe_u32 v21, v11, 19, 4
	v_sub_u32_e32 v22, 29, v22
	v_and_b32_e32 v23, 7, v23
	v_cmp_eq_u16_e32 vcc, 0, v20
	v_cndmask_b32_e32 v14, v14, v23, vcc
	v_cndmask_b32_e32 v20, v21, v22, vcc
	v_lshlrev_b32_e32 v21, 8, v11
	v_mov_b32_e32 v22, 0x3b800000
	v_lshlrev_b32_e32 v14, 20, v14
	v_and_b32_e32 v21, 0x80000000, v21
	v_lshl_add_u32 v20, v20, 23, v22
	v_or3_b32 v20, v21, v20, v14
.LBB30_568:
	s_or_b64 exec, exec, s[6:7]
	s_nop 0
	v_mfma_f32_16x16x4f32 a[0:3], v10, v20, a[0:3]
	s_movk_i32 s4, 0x7f
	v_cmp_gt_i16_sdwa s[6:7], v15, s4 src0_sel:BYTE_3 src1_sel:DWORD
	s_mov_b64 s[4:5], 0
                                        ; implicit-def: $sgpr10
	s_and_saveexec_b64 s[8:9], s[6:7]
	s_xor_b64 s[6:7], exec, s[8:9]
	s_cbranch_execnz .LBB30_2617
; %bb.569:
	s_or_saveexec_b64 s[6:7], s[6:7]
	v_mov_b32_e32 v10, s10
	s_xor_b64 exec, exec, s[6:7]
	s_cbranch_execnz .LBB30_2620
.LBB30_570:
	s_or_b64 exec, exec, s[6:7]
	s_and_saveexec_b64 s[6:7], s[4:5]
	s_cbranch_execz .LBB30_572
.LBB30_571:
	v_bfe_u32 v10, v15, 24, 3
	v_ffbh_u32_e32 v22, v10
	v_min_u32_e32 v22, 32, v22
	v_lshrrev_b32_e32 v20, 27, v15
	v_subrev_u32_e32 v23, 28, v22
	v_and_b32_e32 v14, 0x80000000, v15
	v_and_b32_e32 v20, 15, v20
	v_bfe_u32 v21, v15, 27, 4
	v_lshlrev_b32_sdwa v15, v23, v15 dst_sel:DWORD dst_unused:UNUSED_PAD src0_sel:DWORD src1_sel:BYTE_3
	v_sub_u32_e32 v22, 29, v22
	v_and_b32_e32 v15, 7, v15
	v_cmp_eq_u16_e32 vcc, 0, v20
	v_cndmask_b32_e32 v10, v10, v15, vcc
	v_cndmask_b32_e32 v15, v21, v22, vcc
	v_mov_b32_e32 v20, 0x3b800000
	v_lshlrev_b32_e32 v10, 20, v10
	v_lshl_add_u32 v15, v15, 23, v20
	v_or3_b32 v10, v14, v15, v10
.LBB30_572:
	s_or_b64 exec, exec, s[6:7]
	s_movk_i32 s4, 0x7f
	v_cmp_gt_i16_sdwa s[6:7], v11, s4 src0_sel:BYTE_3 src1_sel:DWORD
	s_mov_b64 s[4:5], 0
                                        ; implicit-def: $sgpr10
	s_and_saveexec_b64 s[8:9], s[6:7]
	s_xor_b64 s[6:7], exec, s[8:9]
	s_cbranch_execnz .LBB30_2621
; %bb.573:
	s_or_saveexec_b64 s[6:7], s[6:7]
	v_mov_b32_e32 v14, s10
	s_xor_b64 exec, exec, s[6:7]
	s_cbranch_execnz .LBB30_2624
.LBB30_574:
	s_or_b64 exec, exec, s[6:7]
	s_and_saveexec_b64 s[6:7], s[4:5]
	s_cbranch_execz .LBB30_576
.LBB30_575:
	v_bfe_u32 v14, v11, 24, 3
	v_ffbh_u32_e32 v22, v14
	v_min_u32_e32 v22, 32, v22
	v_lshrrev_b32_e32 v20, 27, v11
	v_subrev_u32_e32 v23, 28, v22
	v_and_b32_e32 v15, 0x80000000, v11
	v_and_b32_e32 v20, 15, v20
	v_bfe_u32 v21, v11, 27, 4
	v_lshlrev_b32_sdwa v11, v23, v11 dst_sel:DWORD dst_unused:UNUSED_PAD src0_sel:DWORD src1_sel:BYTE_3
	v_sub_u32_e32 v22, 29, v22
	v_and_b32_e32 v11, 7, v11
	v_cmp_eq_u16_e32 vcc, 0, v20
	v_cndmask_b32_e32 v11, v14, v11, vcc
	v_cndmask_b32_e32 v14, v21, v22, vcc
	v_mov_b32_e32 v20, 0x3b800000
	v_lshlrev_b32_e32 v11, 20, v11
	v_lshl_add_u32 v14, v14, 23, v20
	v_or3_b32 v14, v15, v14, v11
.LBB30_576:
	s_or_b64 exec, exec, s[6:7]
	s_nop 0
	v_mfma_f32_16x16x4f32 a[0:3], v10, v14, a[0:3]
	s_movk_i32 s4, 0x7f
	v_cmp_gt_i16_sdwa s[6:7], v16, s4 src0_sel:BYTE_0 src1_sel:DWORD
	s_mov_b64 s[4:5], 0
                                        ; implicit-def: $sgpr10
	s_and_saveexec_b64 s[8:9], s[6:7]
	s_xor_b64 s[6:7], exec, s[8:9]
	s_cbranch_execnz .LBB30_2625
; %bb.577:
	s_or_saveexec_b64 s[6:7], s[6:7]
	v_mov_b32_e32 v10, s10
	s_xor_b64 exec, exec, s[6:7]
	s_cbranch_execnz .LBB30_2628
.LBB30_578:
	s_or_b64 exec, exec, s[6:7]
	s_and_saveexec_b64 s[6:7], s[4:5]
	s_cbranch_execz .LBB30_580
.LBB30_579:
	v_and_b32_e32 v10, 7, v16
	v_ffbh_u32_e32 v14, v10
	v_min_u32_e32 v14, 32, v14
	v_lshrrev_b16_e32 v11, 3, v16
	v_subrev_u32_e32 v15, 28, v14
	v_and_b32_e32 v11, 15, v11
	v_lshlrev_b32_e32 v15, v15, v16
	v_sub_u32_e32 v14, 29, v14
	v_and_b32_e32 v15, 7, v15
	v_cmp_eq_u16_e32 vcc, 0, v11
	v_cndmask_b32_e32 v10, v10, v15, vcc
	v_cndmask_b32_e32 v11, v11, v14, vcc
	v_lshlrev_b32_e32 v14, 24, v16
	v_mov_b32_e32 v15, 0x3b800000
	v_lshlrev_b32_e32 v10, 20, v10
	v_and_b32_e32 v14, 0x80000000, v14
	v_lshl_add_u32 v11, v11, 23, v15
	v_or3_b32 v10, v14, v11, v10
.LBB30_580:
	s_or_b64 exec, exec, s[6:7]
	s_movk_i32 s4, 0x7f
	v_cmp_gt_i16_sdwa s[6:7], v12, s4 src0_sel:BYTE_0 src1_sel:DWORD
	s_mov_b64 s[4:5], 0
                                        ; implicit-def: $sgpr10
	s_and_saveexec_b64 s[8:9], s[6:7]
	s_xor_b64 s[6:7], exec, s[8:9]
	s_cbranch_execnz .LBB30_2629
; %bb.581:
	s_or_saveexec_b64 s[6:7], s[6:7]
	v_mov_b32_e32 v11, s10
	s_xor_b64 exec, exec, s[6:7]
	s_cbranch_execnz .LBB30_2632
.LBB30_582:
	s_or_b64 exec, exec, s[6:7]
	s_and_saveexec_b64 s[6:7], s[4:5]
	s_cbranch_execz .LBB30_584
.LBB30_583:
	v_and_b32_e32 v11, 7, v12
	v_ffbh_u32_e32 v15, v11
	v_min_u32_e32 v15, 32, v15
	v_lshrrev_b16_e32 v14, 3, v12
	v_subrev_u32_e32 v20, 28, v15
	v_and_b32_e32 v14, 15, v14
	v_lshlrev_b32_e32 v20, v20, v12
	v_sub_u32_e32 v15, 29, v15
	v_and_b32_e32 v20, 7, v20
	v_cmp_eq_u16_e32 vcc, 0, v14
	v_cndmask_b32_e32 v11, v11, v20, vcc
	v_cndmask_b32_e32 v14, v14, v15, vcc
	v_lshlrev_b32_e32 v15, 24, v12
	v_mov_b32_e32 v20, 0x3b800000
	v_lshlrev_b32_e32 v11, 20, v11
	v_and_b32_e32 v15, 0x80000000, v15
	v_lshl_add_u32 v14, v14, 23, v20
	v_or3_b32 v11, v15, v14, v11
.LBB30_584:
	s_or_b64 exec, exec, s[6:7]
	s_nop 0
	v_mfma_f32_16x16x4f32 a[0:3], v10, v11, a[0:3]
	v_lshrrev_b32_e32 v11, 8, v16
	s_movk_i32 s4, 0x7f
	v_cmp_gt_i16_sdwa s[6:7], v11, s4 src0_sel:BYTE_0 src1_sel:DWORD
	s_mov_b64 s[4:5], 0
                                        ; implicit-def: $sgpr10
	s_and_saveexec_b64 s[8:9], s[6:7]
	s_xor_b64 s[6:7], exec, s[8:9]
	s_cbranch_execnz .LBB30_2633
; %bb.585:
	s_or_saveexec_b64 s[6:7], s[6:7]
	v_mov_b32_e32 v10, s10
	s_xor_b64 exec, exec, s[6:7]
	s_cbranch_execnz .LBB30_2636
.LBB30_586:
	s_or_b64 exec, exec, s[6:7]
	s_and_saveexec_b64 s[6:7], s[4:5]
	s_cbranch_execz .LBB30_588
.LBB30_587:
	v_bfe_u32 v10, v16, 8, 3
	v_ffbh_u32_e32 v15, v10
	v_min_u32_e32 v15, 32, v15
	v_lshrrev_b16_e32 v14, 3, v11
	v_subrev_u32_e32 v20, 28, v15
	v_and_b32_e32 v14, 15, v14
	v_lshlrev_b32_e32 v11, v20, v11
	v_sub_u32_e32 v15, 29, v15
	v_and_b32_e32 v11, 7, v11
	v_cmp_eq_u16_e32 vcc, 0, v14
	v_cndmask_b32_e32 v10, v10, v11, vcc
	v_cndmask_b32_e32 v11, v14, v15, vcc
	v_lshlrev_b32_e32 v14, 16, v16
	v_mov_b32_e32 v15, 0x3b800000
	v_lshlrev_b32_e32 v10, 20, v10
	v_and_b32_e32 v14, 0x80000000, v14
	v_lshl_add_u32 v11, v11, 23, v15
	v_or3_b32 v10, v14, v11, v10
.LBB30_588:
	s_or_b64 exec, exec, s[6:7]
	v_lshrrev_b32_e32 v11, 8, v12
	s_movk_i32 s4, 0x7f
	v_cmp_gt_i16_sdwa s[6:7], v11, s4 src0_sel:BYTE_0 src1_sel:DWORD
	s_mov_b64 s[4:5], 0
                                        ; implicit-def: $sgpr10
	s_and_saveexec_b64 s[8:9], s[6:7]
	s_xor_b64 s[6:7], exec, s[8:9]
	s_cbranch_execnz .LBB30_2637
; %bb.589:
	s_or_saveexec_b64 s[6:7], s[6:7]
	v_mov_b32_e32 v14, s10
	s_xor_b64 exec, exec, s[6:7]
	s_cbranch_execnz .LBB30_2640
.LBB30_590:
	s_or_b64 exec, exec, s[6:7]
	s_and_saveexec_b64 s[6:7], s[4:5]
	s_cbranch_execz .LBB30_592
.LBB30_591:
	v_bfe_u32 v14, v12, 8, 3
	v_ffbh_u32_e32 v20, v14
	v_min_u32_e32 v20, 32, v20
	v_lshrrev_b16_e32 v15, 3, v11
	v_subrev_u32_e32 v21, 28, v20
	v_and_b32_e32 v15, 15, v15
	v_lshlrev_b32_e32 v11, v21, v11
	v_sub_u32_e32 v20, 29, v20
	v_and_b32_e32 v11, 7, v11
	v_cmp_eq_u16_e32 vcc, 0, v15
	v_cndmask_b32_e32 v11, v14, v11, vcc
	v_cndmask_b32_e32 v14, v15, v20, vcc
	v_lshlrev_b32_e32 v15, 16, v12
	v_mov_b32_e32 v20, 0x3b800000
	v_lshlrev_b32_e32 v11, 20, v11
	v_and_b32_e32 v15, 0x80000000, v15
	v_lshl_add_u32 v14, v14, 23, v20
	v_or3_b32 v14, v15, v14, v11
.LBB30_592:
	s_or_b64 exec, exec, s[6:7]
	s_nop 0
	v_mfma_f32_16x16x4f32 a[0:3], v10, v14, a[0:3]
	s_movk_i32 s4, 0xff
	v_and_b32_sdwa v11, v16, s4 dst_sel:DWORD dst_unused:UNUSED_PAD src0_sel:WORD_1 src1_sel:DWORD
	s_movk_i32 s4, 0x7f
	v_cmp_lt_i16_e32 vcc, s4, v11
	s_mov_b64 s[4:5], 0
                                        ; implicit-def: $sgpr10
	s_and_saveexec_b64 s[6:7], vcc
	s_xor_b64 s[6:7], exec, s[6:7]
	s_cbranch_execnz .LBB30_2641
; %bb.593:
	s_or_saveexec_b64 s[6:7], s[6:7]
	v_mov_b32_e32 v10, s10
	s_xor_b64 exec, exec, s[6:7]
	s_cbranch_execnz .LBB30_2644
.LBB30_594:
	s_or_b64 exec, exec, s[6:7]
	s_and_saveexec_b64 s[6:7], s[4:5]
	s_cbranch_execz .LBB30_596
.LBB30_595:
	v_bfe_u32 v10, v16, 16, 3
	v_ffbh_u32_e32 v15, v10
	v_min_u32_e32 v15, 32, v15
	v_lshrrev_b32_e32 v11, 19, v16
	v_subrev_u32_e32 v20, 28, v15
	v_and_b32_e32 v11, 15, v11
	v_lshlrev_b32_sdwa v20, v20, v16 dst_sel:DWORD dst_unused:UNUSED_PAD src0_sel:DWORD src1_sel:WORD_1
	v_bfe_u32 v14, v16, 19, 4
	v_sub_u32_e32 v15, 29, v15
	v_and_b32_e32 v20, 7, v20
	v_cmp_eq_u16_e32 vcc, 0, v11
	v_cndmask_b32_e32 v10, v10, v20, vcc
	v_cndmask_b32_e32 v11, v14, v15, vcc
	v_lshlrev_b32_e32 v14, 8, v16
	v_mov_b32_e32 v15, 0x3b800000
	v_lshlrev_b32_e32 v10, 20, v10
	v_and_b32_e32 v14, 0x80000000, v14
	v_lshl_add_u32 v11, v11, 23, v15
	v_or3_b32 v10, v14, v11, v10
.LBB30_596:
	s_or_b64 exec, exec, s[6:7]
	s_movk_i32 s4, 0xff
	v_and_b32_sdwa v11, v12, s4 dst_sel:DWORD dst_unused:UNUSED_PAD src0_sel:WORD_1 src1_sel:DWORD
	s_movk_i32 s4, 0x7f
	v_cmp_lt_i16_e32 vcc, s4, v11
	s_mov_b64 s[4:5], 0
                                        ; implicit-def: $sgpr10
	s_and_saveexec_b64 s[6:7], vcc
	s_xor_b64 s[6:7], exec, s[6:7]
	s_cbranch_execnz .LBB30_2645
; %bb.597:
	s_or_saveexec_b64 s[6:7], s[6:7]
	v_mov_b32_e32 v14, s10
	s_xor_b64 exec, exec, s[6:7]
	s_cbranch_execnz .LBB30_2648
.LBB30_598:
	s_or_b64 exec, exec, s[6:7]
	s_and_saveexec_b64 s[6:7], s[4:5]
	s_cbranch_execz .LBB30_600
.LBB30_599:
	v_bfe_u32 v11, v12, 16, 3
	v_ffbh_u32_e32 v20, v11
	v_min_u32_e32 v20, 32, v20
	v_lshrrev_b32_e32 v14, 19, v12
	v_subrev_u32_e32 v21, 28, v20
	v_and_b32_e32 v14, 15, v14
	v_lshlrev_b32_sdwa v21, v21, v12 dst_sel:DWORD dst_unused:UNUSED_PAD src0_sel:DWORD src1_sel:WORD_1
	v_bfe_u32 v15, v12, 19, 4
	v_sub_u32_e32 v20, 29, v20
	v_and_b32_e32 v21, 7, v21
	v_cmp_eq_u16_e32 vcc, 0, v14
	v_cndmask_b32_e32 v11, v11, v21, vcc
	v_cndmask_b32_e32 v14, v15, v20, vcc
	v_lshlrev_b32_e32 v15, 8, v12
	v_mov_b32_e32 v20, 0x3b800000
	v_lshlrev_b32_e32 v11, 20, v11
	v_and_b32_e32 v15, 0x80000000, v15
	v_lshl_add_u32 v14, v14, 23, v20
	v_or3_b32 v14, v15, v14, v11
.LBB30_600:
	s_or_b64 exec, exec, s[6:7]
	s_nop 0
	v_mfma_f32_16x16x4f32 a[0:3], v10, v14, a[0:3]
	s_movk_i32 s4, 0x7f
	v_cmp_gt_i16_sdwa s[6:7], v16, s4 src0_sel:BYTE_3 src1_sel:DWORD
	s_mov_b64 s[4:5], 0
                                        ; implicit-def: $sgpr10
	s_and_saveexec_b64 s[8:9], s[6:7]
	s_xor_b64 s[6:7], exec, s[8:9]
	s_cbranch_execnz .LBB30_2649
; %bb.601:
	s_or_saveexec_b64 s[6:7], s[6:7]
	v_mov_b32_e32 v10, s10
	s_xor_b64 exec, exec, s[6:7]
	s_cbranch_execnz .LBB30_2652
.LBB30_602:
	s_or_b64 exec, exec, s[6:7]
	s_and_saveexec_b64 s[6:7], s[4:5]
	s_cbranch_execz .LBB30_604
.LBB30_603:
	v_bfe_u32 v10, v16, 24, 3
	v_ffbh_u32_e32 v20, v10
	v_min_u32_e32 v20, 32, v20
	v_lshrrev_b32_e32 v14, 27, v16
	v_subrev_u32_e32 v21, 28, v20
	v_and_b32_e32 v11, 0x80000000, v16
	v_and_b32_e32 v14, 15, v14
	v_bfe_u32 v15, v16, 27, 4
	v_lshlrev_b32_sdwa v16, v21, v16 dst_sel:DWORD dst_unused:UNUSED_PAD src0_sel:DWORD src1_sel:BYTE_3
	v_sub_u32_e32 v20, 29, v20
	v_and_b32_e32 v16, 7, v16
	v_cmp_eq_u16_e32 vcc, 0, v14
	v_cndmask_b32_e32 v10, v10, v16, vcc
	v_cndmask_b32_e32 v14, v15, v20, vcc
	v_mov_b32_e32 v15, 0x3b800000
	v_lshlrev_b32_e32 v10, 20, v10
	v_lshl_add_u32 v14, v14, 23, v15
	v_or3_b32 v10, v11, v14, v10
.LBB30_604:
	s_or_b64 exec, exec, s[6:7]
	s_movk_i32 s4, 0x7f
	v_cmp_gt_i16_sdwa s[6:7], v12, s4 src0_sel:BYTE_3 src1_sel:DWORD
	s_mov_b64 s[4:5], 0
                                        ; implicit-def: $sgpr10
	s_and_saveexec_b64 s[8:9], s[6:7]
	s_xor_b64 s[6:7], exec, s[8:9]
	s_cbranch_execnz .LBB30_2653
; %bb.605:
	s_or_saveexec_b64 s[6:7], s[6:7]
	v_mov_b32_e32 v11, s10
	s_xor_b64 exec, exec, s[6:7]
	s_cbranch_execnz .LBB30_2656
.LBB30_606:
	s_or_b64 exec, exec, s[6:7]
	s_and_saveexec_b64 s[6:7], s[4:5]
	s_cbranch_execz .LBB30_608
.LBB30_607:
	v_bfe_u32 v11, v12, 24, 3
	v_ffbh_u32_e32 v20, v11
	v_min_u32_e32 v20, 32, v20
	v_lshrrev_b32_e32 v15, 27, v12
	v_subrev_u32_e32 v21, 28, v20
	v_and_b32_e32 v14, 0x80000000, v12
	v_and_b32_e32 v15, 15, v15
	v_bfe_u32 v16, v12, 27, 4
	v_lshlrev_b32_sdwa v12, v21, v12 dst_sel:DWORD dst_unused:UNUSED_PAD src0_sel:DWORD src1_sel:BYTE_3
	v_sub_u32_e32 v20, 29, v20
	v_and_b32_e32 v12, 7, v12
	v_cmp_eq_u16_e32 vcc, 0, v15
	v_cndmask_b32_e32 v11, v11, v12, vcc
	v_cndmask_b32_e32 v12, v16, v20, vcc
	v_mov_b32_e32 v15, 0x3b800000
	v_lshlrev_b32_e32 v11, 20, v11
	v_lshl_add_u32 v12, v12, 23, v15
	v_or3_b32 v11, v14, v12, v11
.LBB30_608:
	s_or_b64 exec, exec, s[6:7]
	s_nop 0
	v_mfma_f32_16x16x4f32 a[0:3], v10, v11, a[0:3]
	s_movk_i32 s4, 0x7f
	v_cmp_gt_i16_sdwa s[6:7], v17, s4 src0_sel:BYTE_0 src1_sel:DWORD
	s_mov_b64 s[4:5], 0
                                        ; implicit-def: $sgpr10
	s_and_saveexec_b64 s[8:9], s[6:7]
	s_xor_b64 s[6:7], exec, s[8:9]
	s_cbranch_execnz .LBB30_2657
; %bb.609:
	s_or_saveexec_b64 s[6:7], s[6:7]
	v_mov_b32_e32 v10, s10
	s_xor_b64 exec, exec, s[6:7]
	s_cbranch_execnz .LBB30_2660
.LBB30_610:
	s_or_b64 exec, exec, s[6:7]
	s_and_saveexec_b64 s[6:7], s[4:5]
	s_cbranch_execz .LBB30_612
.LBB30_611:
	v_and_b32_e32 v10, 7, v17
	v_ffbh_u32_e32 v12, v10
	v_min_u32_e32 v12, 32, v12
	v_lshrrev_b16_e32 v11, 3, v17
	v_subrev_u32_e32 v14, 28, v12
	v_and_b32_e32 v11, 15, v11
	v_lshlrev_b32_e32 v14, v14, v17
	v_sub_u32_e32 v12, 29, v12
	v_and_b32_e32 v14, 7, v14
	v_cmp_eq_u16_e32 vcc, 0, v11
	v_cndmask_b32_e32 v10, v10, v14, vcc
	v_cndmask_b32_e32 v11, v11, v12, vcc
	v_lshlrev_b32_e32 v12, 24, v17
	v_mov_b32_e32 v14, 0x3b800000
	v_lshlrev_b32_e32 v10, 20, v10
	v_and_b32_e32 v12, 0x80000000, v12
	v_lshl_add_u32 v11, v11, 23, v14
	v_or3_b32 v10, v12, v11, v10
.LBB30_612:
	s_or_b64 exec, exec, s[6:7]
	s_movk_i32 s4, 0x7f
	v_cmp_gt_i16_sdwa s[6:7], v13, s4 src0_sel:BYTE_0 src1_sel:DWORD
	s_mov_b64 s[4:5], 0
                                        ; implicit-def: $sgpr10
	s_and_saveexec_b64 s[8:9], s[6:7]
	s_xor_b64 s[6:7], exec, s[8:9]
	s_cbranch_execnz .LBB30_2661
; %bb.613:
	s_or_saveexec_b64 s[6:7], s[6:7]
	v_mov_b32_e32 v11, s10
	s_xor_b64 exec, exec, s[6:7]
	s_cbranch_execnz .LBB30_2664
.LBB30_614:
	s_or_b64 exec, exec, s[6:7]
	s_and_saveexec_b64 s[6:7], s[4:5]
	s_cbranch_execz .LBB30_616
.LBB30_615:
	v_and_b32_e32 v11, 7, v13
	v_ffbh_u32_e32 v14, v11
	v_min_u32_e32 v14, 32, v14
	v_lshrrev_b16_e32 v12, 3, v13
	v_subrev_u32_e32 v15, 28, v14
	v_and_b32_e32 v12, 15, v12
	v_lshlrev_b32_e32 v15, v15, v13
	v_sub_u32_e32 v14, 29, v14
	v_and_b32_e32 v15, 7, v15
	v_cmp_eq_u16_e32 vcc, 0, v12
	v_cndmask_b32_e32 v11, v11, v15, vcc
	v_cndmask_b32_e32 v12, v12, v14, vcc
	v_lshlrev_b32_e32 v14, 24, v13
	v_mov_b32_e32 v15, 0x3b800000
	v_lshlrev_b32_e32 v11, 20, v11
	v_and_b32_e32 v14, 0x80000000, v14
	v_lshl_add_u32 v12, v12, 23, v15
	v_or3_b32 v11, v14, v12, v11
.LBB30_616:
	s_or_b64 exec, exec, s[6:7]
	s_nop 0
	v_mfma_f32_16x16x4f32 a[0:3], v10, v11, a[0:3]
	v_lshrrev_b32_e32 v11, 8, v17
	s_movk_i32 s4, 0x7f
	v_cmp_gt_i16_sdwa s[6:7], v11, s4 src0_sel:BYTE_0 src1_sel:DWORD
	s_mov_b64 s[4:5], 0
                                        ; implicit-def: $sgpr10
	s_and_saveexec_b64 s[8:9], s[6:7]
	s_xor_b64 s[6:7], exec, s[8:9]
	s_cbranch_execnz .LBB30_2665
; %bb.617:
	s_or_saveexec_b64 s[6:7], s[6:7]
	v_mov_b32_e32 v10, s10
	s_xor_b64 exec, exec, s[6:7]
	s_cbranch_execnz .LBB30_2668
.LBB30_618:
	s_or_b64 exec, exec, s[6:7]
	s_and_saveexec_b64 s[6:7], s[4:5]
	s_cbranch_execz .LBB30_620
.LBB30_619:
	v_bfe_u32 v10, v17, 8, 3
	v_ffbh_u32_e32 v14, v10
	v_min_u32_e32 v14, 32, v14
	v_lshrrev_b16_e32 v12, 3, v11
	v_subrev_u32_e32 v15, 28, v14
	v_and_b32_e32 v12, 15, v12
	v_lshlrev_b32_e32 v11, v15, v11
	v_sub_u32_e32 v14, 29, v14
	v_and_b32_e32 v11, 7, v11
	v_cmp_eq_u16_e32 vcc, 0, v12
	v_cndmask_b32_e32 v10, v10, v11, vcc
	v_cndmask_b32_e32 v11, v12, v14, vcc
	v_lshlrev_b32_e32 v12, 16, v17
	v_mov_b32_e32 v14, 0x3b800000
	v_lshlrev_b32_e32 v10, 20, v10
	v_and_b32_e32 v12, 0x80000000, v12
	v_lshl_add_u32 v11, v11, 23, v14
	v_or3_b32 v10, v12, v11, v10
.LBB30_620:
	s_or_b64 exec, exec, s[6:7]
	v_lshrrev_b32_e32 v11, 8, v13
	s_movk_i32 s4, 0x7f
	v_cmp_gt_i16_sdwa s[6:7], v11, s4 src0_sel:BYTE_0 src1_sel:DWORD
	s_mov_b64 s[4:5], 0
                                        ; implicit-def: $sgpr10
	s_and_saveexec_b64 s[8:9], s[6:7]
	s_xor_b64 s[6:7], exec, s[8:9]
	s_cbranch_execnz .LBB30_2669
; %bb.621:
	s_or_saveexec_b64 s[6:7], s[6:7]
	v_mov_b32_e32 v12, s10
	s_xor_b64 exec, exec, s[6:7]
	s_cbranch_execnz .LBB30_2672
.LBB30_622:
	s_or_b64 exec, exec, s[6:7]
	s_and_saveexec_b64 s[6:7], s[4:5]
	s_cbranch_execz .LBB30_624
.LBB30_623:
	v_bfe_u32 v12, v13, 8, 3
	v_ffbh_u32_e32 v15, v12
	v_min_u32_e32 v15, 32, v15
	v_lshrrev_b16_e32 v14, 3, v11
	v_subrev_u32_e32 v16, 28, v15
	v_and_b32_e32 v14, 15, v14
	v_lshlrev_b32_e32 v11, v16, v11
	v_sub_u32_e32 v15, 29, v15
	v_and_b32_e32 v11, 7, v11
	v_cmp_eq_u16_e32 vcc, 0, v14
	v_cndmask_b32_e32 v11, v12, v11, vcc
	v_cndmask_b32_e32 v12, v14, v15, vcc
	v_lshlrev_b32_e32 v14, 16, v13
	v_mov_b32_e32 v15, 0x3b800000
	v_lshlrev_b32_e32 v11, 20, v11
	v_and_b32_e32 v14, 0x80000000, v14
	v_lshl_add_u32 v12, v12, 23, v15
	v_or3_b32 v12, v14, v12, v11
.LBB30_624:
	s_or_b64 exec, exec, s[6:7]
	s_nop 0
	v_mfma_f32_16x16x4f32 a[0:3], v10, v12, a[0:3]
	s_movk_i32 s4, 0xff
	v_and_b32_sdwa v11, v17, s4 dst_sel:DWORD dst_unused:UNUSED_PAD src0_sel:WORD_1 src1_sel:DWORD
	s_movk_i32 s4, 0x7f
	v_cmp_lt_i16_e32 vcc, s4, v11
	s_mov_b64 s[4:5], 0
                                        ; implicit-def: $sgpr10
	s_and_saveexec_b64 s[6:7], vcc
	s_xor_b64 s[6:7], exec, s[6:7]
	s_cbranch_execnz .LBB30_2673
; %bb.625:
	s_or_saveexec_b64 s[6:7], s[6:7]
	v_mov_b32_e32 v10, s10
	s_xor_b64 exec, exec, s[6:7]
	s_cbranch_execnz .LBB30_2676
.LBB30_626:
	s_or_b64 exec, exec, s[6:7]
	s_and_saveexec_b64 s[6:7], s[4:5]
	s_cbranch_execz .LBB30_628
.LBB30_627:
	v_bfe_u32 v10, v17, 16, 3
	v_ffbh_u32_e32 v14, v10
	v_min_u32_e32 v14, 32, v14
	v_lshrrev_b32_e32 v11, 19, v17
	v_subrev_u32_e32 v15, 28, v14
	v_and_b32_e32 v11, 15, v11
	v_lshlrev_b32_sdwa v15, v15, v17 dst_sel:DWORD dst_unused:UNUSED_PAD src0_sel:DWORD src1_sel:WORD_1
	v_bfe_u32 v12, v17, 19, 4
	v_sub_u32_e32 v14, 29, v14
	v_and_b32_e32 v15, 7, v15
	v_cmp_eq_u16_e32 vcc, 0, v11
	v_cndmask_b32_e32 v10, v10, v15, vcc
	v_cndmask_b32_e32 v11, v12, v14, vcc
	v_lshlrev_b32_e32 v12, 8, v17
	v_mov_b32_e32 v14, 0x3b800000
	v_lshlrev_b32_e32 v10, 20, v10
	v_and_b32_e32 v12, 0x80000000, v12
	v_lshl_add_u32 v11, v11, 23, v14
	v_or3_b32 v10, v12, v11, v10
.LBB30_628:
	s_or_b64 exec, exec, s[6:7]
	s_movk_i32 s4, 0xff
	v_and_b32_sdwa v11, v13, s4 dst_sel:DWORD dst_unused:UNUSED_PAD src0_sel:WORD_1 src1_sel:DWORD
	s_movk_i32 s4, 0x7f
	v_cmp_lt_i16_e32 vcc, s4, v11
	s_mov_b64 s[4:5], 0
                                        ; implicit-def: $sgpr10
	s_and_saveexec_b64 s[6:7], vcc
	s_xor_b64 s[6:7], exec, s[6:7]
	s_cbranch_execnz .LBB30_2677
; %bb.629:
	s_or_saveexec_b64 s[6:7], s[6:7]
	v_mov_b32_e32 v12, s10
	s_xor_b64 exec, exec, s[6:7]
	s_cbranch_execnz .LBB30_2680
.LBB30_630:
	s_or_b64 exec, exec, s[6:7]
	s_and_saveexec_b64 s[6:7], s[4:5]
	s_cbranch_execz .LBB30_632
.LBB30_631:
	v_bfe_u32 v11, v13, 16, 3
	v_ffbh_u32_e32 v15, v11
	v_min_u32_e32 v15, 32, v15
	v_lshrrev_b32_e32 v12, 19, v13
	v_subrev_u32_e32 v16, 28, v15
	v_and_b32_e32 v12, 15, v12
	v_lshlrev_b32_sdwa v16, v16, v13 dst_sel:DWORD dst_unused:UNUSED_PAD src0_sel:DWORD src1_sel:WORD_1
	v_bfe_u32 v14, v13, 19, 4
	v_sub_u32_e32 v15, 29, v15
	v_and_b32_e32 v16, 7, v16
	v_cmp_eq_u16_e32 vcc, 0, v12
	v_cndmask_b32_e32 v11, v11, v16, vcc
	v_cndmask_b32_e32 v12, v14, v15, vcc
	v_lshlrev_b32_e32 v14, 8, v13
	v_mov_b32_e32 v15, 0x3b800000
	v_lshlrev_b32_e32 v11, 20, v11
	v_and_b32_e32 v14, 0x80000000, v14
	v_lshl_add_u32 v12, v12, 23, v15
	v_or3_b32 v12, v14, v12, v11
.LBB30_632:
	s_or_b64 exec, exec, s[6:7]
	s_nop 0
	v_mfma_f32_16x16x4f32 a[0:3], v10, v12, a[0:3]
	s_movk_i32 s4, 0x7f
	v_cmp_gt_i16_sdwa s[6:7], v17, s4 src0_sel:BYTE_3 src1_sel:DWORD
	s_mov_b64 s[4:5], 0
                                        ; implicit-def: $sgpr10
	s_and_saveexec_b64 s[8:9], s[6:7]
	s_xor_b64 s[6:7], exec, s[8:9]
	s_cbranch_execnz .LBB30_2681
; %bb.633:
	s_or_saveexec_b64 s[6:7], s[6:7]
	v_mov_b32_e32 v10, s10
	s_xor_b64 exec, exec, s[6:7]
	s_cbranch_execnz .LBB30_2684
.LBB30_634:
	s_or_b64 exec, exec, s[6:7]
	s_and_saveexec_b64 s[6:7], s[4:5]
	s_cbranch_execz .LBB30_636
.LBB30_635:
	v_bfe_u32 v10, v17, 24, 3
	v_ffbh_u32_e32 v15, v10
	v_min_u32_e32 v15, 32, v15
	v_lshrrev_b32_e32 v12, 27, v17
	v_subrev_u32_e32 v16, 28, v15
	v_and_b32_e32 v12, 15, v12
	v_lshlrev_b32_sdwa v16, v16, v17 dst_sel:DWORD dst_unused:UNUSED_PAD src0_sel:DWORD src1_sel:BYTE_3
	v_bfe_u32 v14, v17, 27, 4
	v_sub_u32_e32 v15, 29, v15
	v_and_b32_e32 v16, 7, v16
	v_cmp_eq_u16_e32 vcc, 0, v12
	v_cndmask_b32_e32 v10, v10, v16, vcc
	v_cndmask_b32_e32 v12, v14, v15, vcc
	v_mov_b32_e32 v14, 0x3b800000
	v_and_b32_e32 v11, 0x80000000, v17
	v_lshlrev_b32_e32 v10, 20, v10
	v_lshl_add_u32 v12, v12, 23, v14
	v_or3_b32 v10, v11, v12, v10
.LBB30_636:
	s_or_b64 exec, exec, s[6:7]
	s_movk_i32 s4, 0x7f
	v_cmp_gt_i16_sdwa s[6:7], v13, s4 src0_sel:BYTE_3 src1_sel:DWORD
	s_mov_b64 s[4:5], 0
                                        ; implicit-def: $sgpr10
	s_and_saveexec_b64 s[8:9], s[6:7]
	s_xor_b64 s[6:7], exec, s[8:9]
	s_cbranch_execnz .LBB30_2685
; %bb.637:
	s_or_saveexec_b64 s[6:7], s[6:7]
	v_mov_b32_e32 v11, s10
	s_xor_b64 exec, exec, s[6:7]
	s_cbranch_execnz .LBB30_2688
.LBB30_638:
	s_or_b64 exec, exec, s[6:7]
	s_and_saveexec_b64 s[6:7], s[4:5]
	s_cbranch_execz .LBB30_640
.LBB30_639:
	v_bfe_u32 v11, v13, 24, 3
	v_ffbh_u32_e32 v16, v11
	v_min_u32_e32 v16, 32, v16
	v_lshrrev_b32_e32 v14, 27, v13
	v_subrev_u32_e32 v17, 28, v16
	v_and_b32_e32 v12, 0x80000000, v13
	v_and_b32_e32 v14, 15, v14
	v_bfe_u32 v15, v13, 27, 4
	v_lshlrev_b32_sdwa v13, v17, v13 dst_sel:DWORD dst_unused:UNUSED_PAD src0_sel:DWORD src1_sel:BYTE_3
	v_sub_u32_e32 v16, 29, v16
	v_and_b32_e32 v13, 7, v13
	v_cmp_eq_u16_e32 vcc, 0, v14
	v_cndmask_b32_e32 v11, v11, v13, vcc
	v_cndmask_b32_e32 v13, v15, v16, vcc
	v_mov_b32_e32 v14, 0x3b800000
	v_lshlrev_b32_e32 v11, 20, v11
	v_lshl_add_u32 v13, v13, 23, v14
	v_or3_b32 v11, v12, v13, v11
.LBB30_640:
	s_or_b64 exec, exec, s[6:7]
	s_nop 0
	v_mfma_f32_16x16x4f32 a[0:3], v10, v11, a[0:3]
	s_movk_i32 s4, 0x7f
	v_cmp_gt_i16_sdwa s[6:7], v6, s4 src0_sel:BYTE_0 src1_sel:DWORD
	s_mov_b64 s[4:5], 0
                                        ; implicit-def: $sgpr10
	s_and_saveexec_b64 s[8:9], s[6:7]
	s_xor_b64 s[6:7], exec, s[8:9]
	s_cbranch_execnz .LBB30_2689
; %bb.641:
	s_or_saveexec_b64 s[6:7], s[6:7]
	v_mov_b32_e32 v10, s10
	s_xor_b64 exec, exec, s[6:7]
	s_cbranch_execnz .LBB30_2692
.LBB30_642:
	s_or_b64 exec, exec, s[6:7]
	s_and_saveexec_b64 s[6:7], s[4:5]
	s_cbranch_execz .LBB30_644
.LBB30_643:
	v_and_b32_e32 v10, 7, v6
	v_ffbh_u32_e32 v12, v10
	v_min_u32_e32 v12, 32, v12
	v_lshrrev_b16_e32 v11, 3, v6
	v_subrev_u32_e32 v13, 28, v12
	v_and_b32_e32 v11, 15, v11
	v_lshlrev_b32_e32 v13, v13, v6
	v_sub_u32_e32 v12, 29, v12
	v_and_b32_e32 v13, 7, v13
	v_cmp_eq_u16_e32 vcc, 0, v11
	v_cndmask_b32_e32 v10, v10, v13, vcc
	v_cndmask_b32_e32 v11, v11, v12, vcc
	v_lshlrev_b32_e32 v12, 24, v6
	v_mov_b32_e32 v13, 0x3b800000
	v_lshlrev_b32_e32 v10, 20, v10
	v_and_b32_e32 v12, 0x80000000, v12
	v_lshl_add_u32 v11, v11, 23, v13
	v_or3_b32 v10, v12, v11, v10
.LBB30_644:
	s_or_b64 exec, exec, s[6:7]
	s_movk_i32 s4, 0x7f
	v_cmp_gt_i16_sdwa s[6:7], v2, s4 src0_sel:BYTE_0 src1_sel:DWORD
	s_mov_b64 s[4:5], 0
                                        ; implicit-def: $sgpr10
	s_and_saveexec_b64 s[8:9], s[6:7]
	s_xor_b64 s[6:7], exec, s[8:9]
	s_cbranch_execnz .LBB30_2693
; %bb.645:
	s_or_saveexec_b64 s[6:7], s[6:7]
	v_mov_b32_e32 v11, s10
	s_xor_b64 exec, exec, s[6:7]
	s_cbranch_execnz .LBB30_2696
.LBB30_646:
	s_or_b64 exec, exec, s[6:7]
	s_and_saveexec_b64 s[6:7], s[4:5]
	s_cbranch_execz .LBB30_648
.LBB30_647:
	v_and_b32_e32 v11, 7, v2
	v_ffbh_u32_e32 v13, v11
	v_min_u32_e32 v13, 32, v13
	v_lshrrev_b16_e32 v12, 3, v2
	v_subrev_u32_e32 v14, 28, v13
	v_and_b32_e32 v12, 15, v12
	v_lshlrev_b32_e32 v14, v14, v2
	v_sub_u32_e32 v13, 29, v13
	v_and_b32_e32 v14, 7, v14
	v_cmp_eq_u16_e32 vcc, 0, v12
	v_cndmask_b32_e32 v11, v11, v14, vcc
	v_cndmask_b32_e32 v12, v12, v13, vcc
	v_lshlrev_b32_e32 v13, 24, v2
	v_mov_b32_e32 v14, 0x3b800000
	v_lshlrev_b32_e32 v11, 20, v11
	v_and_b32_e32 v13, 0x80000000, v13
	v_lshl_add_u32 v12, v12, 23, v14
	v_or3_b32 v11, v13, v12, v11
.LBB30_648:
	s_or_b64 exec, exec, s[6:7]
	s_nop 0
	v_mfma_f32_16x16x4f32 a[0:3], v10, v11, a[0:3]
	v_lshrrev_b32_e32 v11, 8, v6
	s_movk_i32 s4, 0x7f
	v_cmp_gt_i16_sdwa s[6:7], v11, s4 src0_sel:BYTE_0 src1_sel:DWORD
	s_mov_b64 s[4:5], 0
                                        ; implicit-def: $sgpr10
	s_and_saveexec_b64 s[8:9], s[6:7]
	s_xor_b64 s[6:7], exec, s[8:9]
	s_cbranch_execnz .LBB30_2697
; %bb.649:
	s_or_saveexec_b64 s[6:7], s[6:7]
	v_mov_b32_e32 v10, s10
	s_xor_b64 exec, exec, s[6:7]
	s_cbranch_execnz .LBB30_2700
.LBB30_650:
	s_or_b64 exec, exec, s[6:7]
	s_and_saveexec_b64 s[6:7], s[4:5]
	s_cbranch_execz .LBB30_652
.LBB30_651:
	v_bfe_u32 v10, v6, 8, 3
	v_ffbh_u32_e32 v13, v10
	v_min_u32_e32 v13, 32, v13
	v_lshrrev_b16_e32 v12, 3, v11
	v_subrev_u32_e32 v14, 28, v13
	v_and_b32_e32 v12, 15, v12
	v_lshlrev_b32_e32 v11, v14, v11
	v_sub_u32_e32 v13, 29, v13
	v_and_b32_e32 v11, 7, v11
	v_cmp_eq_u16_e32 vcc, 0, v12
	v_cndmask_b32_e32 v10, v10, v11, vcc
	v_cndmask_b32_e32 v11, v12, v13, vcc
	v_lshlrev_b32_e32 v12, 16, v6
	v_mov_b32_e32 v13, 0x3b800000
	v_lshlrev_b32_e32 v10, 20, v10
	v_and_b32_e32 v12, 0x80000000, v12
	v_lshl_add_u32 v11, v11, 23, v13
	v_or3_b32 v10, v12, v11, v10
.LBB30_652:
	s_or_b64 exec, exec, s[6:7]
	v_lshrrev_b32_e32 v11, 8, v2
	s_movk_i32 s4, 0x7f
	v_cmp_gt_i16_sdwa s[6:7], v11, s4 src0_sel:BYTE_0 src1_sel:DWORD
	s_mov_b64 s[4:5], 0
                                        ; implicit-def: $sgpr10
	s_and_saveexec_b64 s[8:9], s[6:7]
	s_xor_b64 s[6:7], exec, s[8:9]
	s_cbranch_execnz .LBB30_2701
; %bb.653:
	s_or_saveexec_b64 s[6:7], s[6:7]
	v_mov_b32_e32 v12, s10
	s_xor_b64 exec, exec, s[6:7]
	s_cbranch_execnz .LBB30_2704
.LBB30_654:
	s_or_b64 exec, exec, s[6:7]
	s_and_saveexec_b64 s[6:7], s[4:5]
	s_cbranch_execz .LBB30_656
.LBB30_655:
	v_bfe_u32 v12, v2, 8, 3
	v_ffbh_u32_e32 v14, v12
	v_min_u32_e32 v14, 32, v14
	v_lshrrev_b16_e32 v13, 3, v11
	v_subrev_u32_e32 v15, 28, v14
	v_and_b32_e32 v13, 15, v13
	v_lshlrev_b32_e32 v11, v15, v11
	v_sub_u32_e32 v14, 29, v14
	v_and_b32_e32 v11, 7, v11
	v_cmp_eq_u16_e32 vcc, 0, v13
	v_cndmask_b32_e32 v11, v12, v11, vcc
	v_cndmask_b32_e32 v12, v13, v14, vcc
	v_lshlrev_b32_e32 v13, 16, v2
	v_mov_b32_e32 v14, 0x3b800000
	v_lshlrev_b32_e32 v11, 20, v11
	v_and_b32_e32 v13, 0x80000000, v13
	v_lshl_add_u32 v12, v12, 23, v14
	v_or3_b32 v12, v13, v12, v11
.LBB30_656:
	s_or_b64 exec, exec, s[6:7]
	s_nop 0
	v_mfma_f32_16x16x4f32 a[0:3], v10, v12, a[0:3]
	s_movk_i32 s4, 0xff
	v_and_b32_sdwa v11, v6, s4 dst_sel:DWORD dst_unused:UNUSED_PAD src0_sel:WORD_1 src1_sel:DWORD
	s_movk_i32 s4, 0x7f
	v_cmp_lt_i16_e32 vcc, s4, v11
	s_mov_b64 s[4:5], 0
                                        ; implicit-def: $sgpr10
	s_and_saveexec_b64 s[6:7], vcc
	s_xor_b64 s[6:7], exec, s[6:7]
	s_cbranch_execnz .LBB30_2705
; %bb.657:
	s_or_saveexec_b64 s[6:7], s[6:7]
	v_mov_b32_e32 v10, s10
	s_xor_b64 exec, exec, s[6:7]
	s_cbranch_execnz .LBB30_2708
.LBB30_658:
	s_or_b64 exec, exec, s[6:7]
	s_and_saveexec_b64 s[6:7], s[4:5]
	s_cbranch_execz .LBB30_660
.LBB30_659:
	v_bfe_u32 v10, v6, 16, 3
	v_ffbh_u32_e32 v13, v10
	v_min_u32_e32 v13, 32, v13
	v_lshrrev_b32_e32 v11, 19, v6
	v_subrev_u32_e32 v14, 28, v13
	v_and_b32_e32 v11, 15, v11
	v_lshlrev_b32_sdwa v14, v14, v6 dst_sel:DWORD dst_unused:UNUSED_PAD src0_sel:DWORD src1_sel:WORD_1
	v_bfe_u32 v12, v6, 19, 4
	v_sub_u32_e32 v13, 29, v13
	v_and_b32_e32 v14, 7, v14
	v_cmp_eq_u16_e32 vcc, 0, v11
	v_cndmask_b32_e32 v10, v10, v14, vcc
	v_cndmask_b32_e32 v11, v12, v13, vcc
	v_lshlrev_b32_e32 v12, 8, v6
	v_mov_b32_e32 v13, 0x3b800000
	v_lshlrev_b32_e32 v10, 20, v10
	v_and_b32_e32 v12, 0x80000000, v12
	v_lshl_add_u32 v11, v11, 23, v13
	v_or3_b32 v10, v12, v11, v10
.LBB30_660:
	s_or_b64 exec, exec, s[6:7]
	s_movk_i32 s4, 0xff
	v_and_b32_sdwa v11, v2, s4 dst_sel:DWORD dst_unused:UNUSED_PAD src0_sel:WORD_1 src1_sel:DWORD
	s_movk_i32 s4, 0x7f
	v_cmp_lt_i16_e32 vcc, s4, v11
	s_mov_b64 s[4:5], 0
                                        ; implicit-def: $sgpr10
	s_and_saveexec_b64 s[6:7], vcc
	s_xor_b64 s[6:7], exec, s[6:7]
	s_cbranch_execnz .LBB30_2709
; %bb.661:
	s_or_saveexec_b64 s[6:7], s[6:7]
	v_mov_b32_e32 v12, s10
	s_xor_b64 exec, exec, s[6:7]
	s_cbranch_execnz .LBB30_2712
.LBB30_662:
	s_or_b64 exec, exec, s[6:7]
	s_and_saveexec_b64 s[6:7], s[4:5]
	s_cbranch_execz .LBB30_664
.LBB30_663:
	v_bfe_u32 v11, v2, 16, 3
	v_ffbh_u32_e32 v14, v11
	v_min_u32_e32 v14, 32, v14
	v_lshrrev_b32_e32 v12, 19, v2
	v_subrev_u32_e32 v15, 28, v14
	v_and_b32_e32 v12, 15, v12
	v_lshlrev_b32_sdwa v15, v15, v2 dst_sel:DWORD dst_unused:UNUSED_PAD src0_sel:DWORD src1_sel:WORD_1
	v_bfe_u32 v13, v2, 19, 4
	v_sub_u32_e32 v14, 29, v14
	v_and_b32_e32 v15, 7, v15
	v_cmp_eq_u16_e32 vcc, 0, v12
	v_cndmask_b32_e32 v11, v11, v15, vcc
	v_cndmask_b32_e32 v12, v13, v14, vcc
	v_lshlrev_b32_e32 v13, 8, v2
	v_mov_b32_e32 v14, 0x3b800000
	v_lshlrev_b32_e32 v11, 20, v11
	v_and_b32_e32 v13, 0x80000000, v13
	v_lshl_add_u32 v12, v12, 23, v14
	v_or3_b32 v12, v13, v12, v11
.LBB30_664:
	s_or_b64 exec, exec, s[6:7]
	s_nop 0
	v_mfma_f32_16x16x4f32 a[0:3], v10, v12, a[0:3]
	s_movk_i32 s4, 0x7f
	v_cmp_gt_i16_sdwa s[6:7], v6, s4 src0_sel:BYTE_3 src1_sel:DWORD
	s_mov_b64 s[4:5], 0
                                        ; implicit-def: $sgpr10
	s_and_saveexec_b64 s[8:9], s[6:7]
	s_xor_b64 s[6:7], exec, s[8:9]
	s_cbranch_execnz .LBB30_2713
; %bb.665:
	s_or_saveexec_b64 s[6:7], s[6:7]
	v_mov_b32_e32 v10, s10
	s_xor_b64 exec, exec, s[6:7]
	s_cbranch_execnz .LBB30_2716
.LBB30_666:
	s_or_b64 exec, exec, s[6:7]
	s_and_saveexec_b64 s[6:7], s[4:5]
	s_cbranch_execz .LBB30_668
.LBB30_667:
	v_bfe_u32 v10, v6, 24, 3
	v_ffbh_u32_e32 v14, v10
	v_min_u32_e32 v14, 32, v14
	v_lshrrev_b32_e32 v12, 27, v6
	v_subrev_u32_e32 v15, 28, v14
	v_and_b32_e32 v11, 0x80000000, v6
	v_and_b32_e32 v12, 15, v12
	v_bfe_u32 v13, v6, 27, 4
	v_lshlrev_b32_sdwa v6, v15, v6 dst_sel:DWORD dst_unused:UNUSED_PAD src0_sel:DWORD src1_sel:BYTE_3
	v_sub_u32_e32 v14, 29, v14
	v_and_b32_e32 v6, 7, v6
	v_cmp_eq_u16_e32 vcc, 0, v12
	v_cndmask_b32_e32 v6, v10, v6, vcc
	v_cndmask_b32_e32 v10, v13, v14, vcc
	v_mov_b32_e32 v12, 0x3b800000
	v_lshlrev_b32_e32 v6, 20, v6
	v_lshl_add_u32 v10, v10, 23, v12
	v_or3_b32 v10, v11, v10, v6
.LBB30_668:
	s_or_b64 exec, exec, s[6:7]
	s_movk_i32 s4, 0x7f
	v_cmp_gt_i16_sdwa s[6:7], v2, s4 src0_sel:BYTE_3 src1_sel:DWORD
	s_mov_b64 s[4:5], 0
                                        ; implicit-def: $sgpr10
	s_and_saveexec_b64 s[8:9], s[6:7]
	s_xor_b64 s[6:7], exec, s[8:9]
	s_cbranch_execnz .LBB30_2717
; %bb.669:
	s_or_saveexec_b64 s[6:7], s[6:7]
	v_mov_b32_e32 v6, s10
	s_xor_b64 exec, exec, s[6:7]
	s_cbranch_execnz .LBB30_2720
.LBB30_670:
	s_or_b64 exec, exec, s[6:7]
	s_and_saveexec_b64 s[6:7], s[4:5]
	s_cbranch_execz .LBB30_672
.LBB30_671:
	v_bfe_u32 v6, v2, 24, 3
	v_ffbh_u32_e32 v14, v6
	v_min_u32_e32 v14, 32, v14
	v_lshrrev_b32_e32 v12, 27, v2
	v_subrev_u32_e32 v15, 28, v14
	v_and_b32_e32 v11, 0x80000000, v2
	v_and_b32_e32 v12, 15, v12
	v_bfe_u32 v13, v2, 27, 4
	v_lshlrev_b32_sdwa v2, v15, v2 dst_sel:DWORD dst_unused:UNUSED_PAD src0_sel:DWORD src1_sel:BYTE_3
	v_sub_u32_e32 v14, 29, v14
	v_and_b32_e32 v2, 7, v2
	v_cmp_eq_u16_e32 vcc, 0, v12
	v_cndmask_b32_e32 v2, v6, v2, vcc
	v_cndmask_b32_e32 v6, v13, v14, vcc
	v_mov_b32_e32 v12, 0x3b800000
	v_lshlrev_b32_e32 v2, 20, v2
	v_lshl_add_u32 v6, v6, 23, v12
	v_or3_b32 v6, v11, v6, v2
.LBB30_672:
	s_or_b64 exec, exec, s[6:7]
	s_nop 0
	v_mfma_f32_16x16x4f32 a[0:3], v10, v6, a[0:3]
	s_movk_i32 s4, 0x7f
	v_cmp_gt_i16_sdwa s[6:7], v7, s4 src0_sel:BYTE_0 src1_sel:DWORD
	s_mov_b64 s[4:5], 0
                                        ; implicit-def: $sgpr10
	s_and_saveexec_b64 s[8:9], s[6:7]
	s_xor_b64 s[6:7], exec, s[8:9]
	s_cbranch_execnz .LBB30_2721
; %bb.673:
	s_or_saveexec_b64 s[6:7], s[6:7]
	v_mov_b32_e32 v2, s10
	s_xor_b64 exec, exec, s[6:7]
	s_cbranch_execnz .LBB30_2724
.LBB30_674:
	s_or_b64 exec, exec, s[6:7]
	s_and_saveexec_b64 s[6:7], s[4:5]
	s_cbranch_execz .LBB30_676
.LBB30_675:
	v_and_b32_e32 v2, 7, v7
	v_ffbh_u32_e32 v10, v2
	v_min_u32_e32 v10, 32, v10
	v_lshrrev_b16_e32 v6, 3, v7
	v_subrev_u32_e32 v11, 28, v10
	v_and_b32_e32 v6, 15, v6
	v_lshlrev_b32_e32 v11, v11, v7
	v_sub_u32_e32 v10, 29, v10
	v_and_b32_e32 v11, 7, v11
	v_cmp_eq_u16_e32 vcc, 0, v6
	v_cndmask_b32_e32 v2, v2, v11, vcc
	v_cndmask_b32_e32 v6, v6, v10, vcc
	v_lshlrev_b32_e32 v10, 24, v7
	v_mov_b32_e32 v11, 0x3b800000
	v_lshlrev_b32_e32 v2, 20, v2
	v_and_b32_e32 v10, 0x80000000, v10
	v_lshl_add_u32 v6, v6, 23, v11
	v_or3_b32 v2, v10, v6, v2
.LBB30_676:
	s_or_b64 exec, exec, s[6:7]
	s_movk_i32 s4, 0x7f
	v_cmp_gt_i16_sdwa s[6:7], v3, s4 src0_sel:BYTE_0 src1_sel:DWORD
	s_mov_b64 s[4:5], 0
                                        ; implicit-def: $sgpr10
	s_and_saveexec_b64 s[8:9], s[6:7]
	s_xor_b64 s[6:7], exec, s[8:9]
	s_cbranch_execnz .LBB30_2725
; %bb.677:
	s_or_saveexec_b64 s[6:7], s[6:7]
	v_mov_b32_e32 v6, s10
	s_xor_b64 exec, exec, s[6:7]
	s_cbranch_execnz .LBB30_2728
.LBB30_678:
	s_or_b64 exec, exec, s[6:7]
	s_and_saveexec_b64 s[6:7], s[4:5]
	s_cbranch_execz .LBB30_680
.LBB30_679:
	v_and_b32_e32 v6, 7, v3
	v_ffbh_u32_e32 v11, v6
	v_min_u32_e32 v11, 32, v11
	v_lshrrev_b16_e32 v10, 3, v3
	v_subrev_u32_e32 v12, 28, v11
	v_and_b32_e32 v10, 15, v10
	v_lshlrev_b32_e32 v12, v12, v3
	v_sub_u32_e32 v11, 29, v11
	v_and_b32_e32 v12, 7, v12
	v_cmp_eq_u16_e32 vcc, 0, v10
	v_cndmask_b32_e32 v6, v6, v12, vcc
	v_cndmask_b32_e32 v10, v10, v11, vcc
	v_lshlrev_b32_e32 v11, 24, v3
	v_mov_b32_e32 v12, 0x3b800000
	v_lshlrev_b32_e32 v6, 20, v6
	v_and_b32_e32 v11, 0x80000000, v11
	v_lshl_add_u32 v10, v10, 23, v12
	v_or3_b32 v6, v11, v10, v6
.LBB30_680:
	s_or_b64 exec, exec, s[6:7]
	s_nop 0
	v_mfma_f32_16x16x4f32 a[0:3], v2, v6, a[0:3]
	v_lshrrev_b32_e32 v6, 8, v7
	s_movk_i32 s4, 0x7f
	v_cmp_gt_i16_sdwa s[6:7], v6, s4 src0_sel:BYTE_0 src1_sel:DWORD
	s_mov_b64 s[4:5], 0
                                        ; implicit-def: $sgpr10
	s_and_saveexec_b64 s[8:9], s[6:7]
	s_xor_b64 s[6:7], exec, s[8:9]
	s_cbranch_execnz .LBB30_2729
; %bb.681:
	s_or_saveexec_b64 s[6:7], s[6:7]
	v_mov_b32_e32 v2, s10
	s_xor_b64 exec, exec, s[6:7]
	s_cbranch_execnz .LBB30_2732
.LBB30_682:
	s_or_b64 exec, exec, s[6:7]
	s_and_saveexec_b64 s[6:7], s[4:5]
	s_cbranch_execz .LBB30_684
.LBB30_683:
	v_bfe_u32 v2, v7, 8, 3
	v_ffbh_u32_e32 v11, v2
	v_min_u32_e32 v11, 32, v11
	v_lshrrev_b16_e32 v10, 3, v6
	v_subrev_u32_e32 v12, 28, v11
	v_and_b32_e32 v10, 15, v10
	v_lshlrev_b32_e32 v6, v12, v6
	v_sub_u32_e32 v11, 29, v11
	v_and_b32_e32 v6, 7, v6
	v_cmp_eq_u16_e32 vcc, 0, v10
	v_cndmask_b32_e32 v2, v2, v6, vcc
	v_cndmask_b32_e32 v6, v10, v11, vcc
	v_lshlrev_b32_e32 v10, 16, v7
	v_mov_b32_e32 v11, 0x3b800000
	v_lshlrev_b32_e32 v2, 20, v2
	v_and_b32_e32 v10, 0x80000000, v10
	v_lshl_add_u32 v6, v6, 23, v11
	v_or3_b32 v2, v10, v6, v2
.LBB30_684:
	s_or_b64 exec, exec, s[6:7]
	v_lshrrev_b32_e32 v6, 8, v3
	s_movk_i32 s4, 0x7f
	v_cmp_gt_i16_sdwa s[6:7], v6, s4 src0_sel:BYTE_0 src1_sel:DWORD
	s_mov_b64 s[4:5], 0
                                        ; implicit-def: $sgpr10
	s_and_saveexec_b64 s[8:9], s[6:7]
	s_xor_b64 s[6:7], exec, s[8:9]
	s_cbranch_execnz .LBB30_2733
; %bb.685:
	s_or_saveexec_b64 s[6:7], s[6:7]
	v_mov_b32_e32 v10, s10
	s_xor_b64 exec, exec, s[6:7]
	s_cbranch_execnz .LBB30_2736
.LBB30_686:
	s_or_b64 exec, exec, s[6:7]
	s_and_saveexec_b64 s[6:7], s[4:5]
	s_cbranch_execz .LBB30_688
.LBB30_687:
	v_bfe_u32 v10, v3, 8, 3
	v_ffbh_u32_e32 v12, v10
	v_min_u32_e32 v12, 32, v12
	v_lshrrev_b16_e32 v11, 3, v6
	v_subrev_u32_e32 v13, 28, v12
	v_and_b32_e32 v11, 15, v11
	v_lshlrev_b32_e32 v6, v13, v6
	v_sub_u32_e32 v12, 29, v12
	v_and_b32_e32 v6, 7, v6
	v_cmp_eq_u16_e32 vcc, 0, v11
	v_cndmask_b32_e32 v6, v10, v6, vcc
	v_cndmask_b32_e32 v10, v11, v12, vcc
	v_lshlrev_b32_e32 v11, 16, v3
	v_mov_b32_e32 v12, 0x3b800000
	v_lshlrev_b32_e32 v6, 20, v6
	v_and_b32_e32 v11, 0x80000000, v11
	v_lshl_add_u32 v10, v10, 23, v12
	v_or3_b32 v10, v11, v10, v6
.LBB30_688:
	s_or_b64 exec, exec, s[6:7]
	s_nop 0
	v_mfma_f32_16x16x4f32 a[0:3], v2, v10, a[0:3]
	s_movk_i32 s4, 0xff
	v_and_b32_sdwa v6, v7, s4 dst_sel:DWORD dst_unused:UNUSED_PAD src0_sel:WORD_1 src1_sel:DWORD
	s_movk_i32 s4, 0x7f
	v_cmp_lt_i16_e32 vcc, s4, v6
	s_mov_b64 s[4:5], 0
                                        ; implicit-def: $sgpr10
	s_and_saveexec_b64 s[6:7], vcc
	s_xor_b64 s[6:7], exec, s[6:7]
	s_cbranch_execnz .LBB30_2737
; %bb.689:
	s_or_saveexec_b64 s[6:7], s[6:7]
	v_mov_b32_e32 v2, s10
	s_xor_b64 exec, exec, s[6:7]
	s_cbranch_execnz .LBB30_2740
.LBB30_690:
	s_or_b64 exec, exec, s[6:7]
	s_and_saveexec_b64 s[6:7], s[4:5]
	s_cbranch_execz .LBB30_692
.LBB30_691:
	v_bfe_u32 v2, v7, 16, 3
	v_ffbh_u32_e32 v11, v2
	v_min_u32_e32 v11, 32, v11
	v_lshrrev_b32_e32 v6, 19, v7
	v_subrev_u32_e32 v12, 28, v11
	v_and_b32_e32 v6, 15, v6
	v_lshlrev_b32_sdwa v12, v12, v7 dst_sel:DWORD dst_unused:UNUSED_PAD src0_sel:DWORD src1_sel:WORD_1
	v_bfe_u32 v10, v7, 19, 4
	v_sub_u32_e32 v11, 29, v11
	v_and_b32_e32 v12, 7, v12
	v_cmp_eq_u16_e32 vcc, 0, v6
	v_cndmask_b32_e32 v2, v2, v12, vcc
	v_cndmask_b32_e32 v6, v10, v11, vcc
	v_lshlrev_b32_e32 v10, 8, v7
	v_mov_b32_e32 v11, 0x3b800000
	v_lshlrev_b32_e32 v2, 20, v2
	v_and_b32_e32 v10, 0x80000000, v10
	v_lshl_add_u32 v6, v6, 23, v11
	v_or3_b32 v2, v10, v6, v2
.LBB30_692:
	s_or_b64 exec, exec, s[6:7]
	s_movk_i32 s4, 0xff
	v_and_b32_sdwa v6, v3, s4 dst_sel:DWORD dst_unused:UNUSED_PAD src0_sel:WORD_1 src1_sel:DWORD
	s_movk_i32 s4, 0x7f
	v_cmp_lt_i16_e32 vcc, s4, v6
	s_mov_b64 s[4:5], 0
                                        ; implicit-def: $sgpr10
	s_and_saveexec_b64 s[6:7], vcc
	s_xor_b64 s[6:7], exec, s[6:7]
	s_cbranch_execnz .LBB30_2741
; %bb.693:
	s_or_saveexec_b64 s[6:7], s[6:7]
	v_mov_b32_e32 v10, s10
	s_xor_b64 exec, exec, s[6:7]
	s_cbranch_execnz .LBB30_2744
.LBB30_694:
	s_or_b64 exec, exec, s[6:7]
	s_and_saveexec_b64 s[6:7], s[4:5]
	s_cbranch_execz .LBB30_696
.LBB30_695:
	v_bfe_u32 v6, v3, 16, 3
	v_ffbh_u32_e32 v12, v6
	v_min_u32_e32 v12, 32, v12
	v_lshrrev_b32_e32 v10, 19, v3
	v_subrev_u32_e32 v13, 28, v12
	v_and_b32_e32 v10, 15, v10
	v_lshlrev_b32_sdwa v13, v13, v3 dst_sel:DWORD dst_unused:UNUSED_PAD src0_sel:DWORD src1_sel:WORD_1
	v_bfe_u32 v11, v3, 19, 4
	v_sub_u32_e32 v12, 29, v12
	v_and_b32_e32 v13, 7, v13
	v_cmp_eq_u16_e32 vcc, 0, v10
	v_cndmask_b32_e32 v6, v6, v13, vcc
	v_cndmask_b32_e32 v10, v11, v12, vcc
	v_lshlrev_b32_e32 v11, 8, v3
	v_mov_b32_e32 v12, 0x3b800000
	v_lshlrev_b32_e32 v6, 20, v6
	v_and_b32_e32 v11, 0x80000000, v11
	v_lshl_add_u32 v10, v10, 23, v12
	v_or3_b32 v10, v11, v10, v6
.LBB30_696:
	s_or_b64 exec, exec, s[6:7]
	s_nop 0
	v_mfma_f32_16x16x4f32 a[0:3], v2, v10, a[0:3]
	s_movk_i32 s4, 0x7f
	v_cmp_gt_i16_sdwa s[6:7], v7, s4 src0_sel:BYTE_3 src1_sel:DWORD
	s_mov_b64 s[4:5], 0
                                        ; implicit-def: $sgpr10
	s_and_saveexec_b64 s[8:9], s[6:7]
	s_xor_b64 s[6:7], exec, s[8:9]
	s_cbranch_execnz .LBB30_2745
; %bb.697:
	s_or_saveexec_b64 s[6:7], s[6:7]
	v_mov_b32_e32 v2, s10
	s_xor_b64 exec, exec, s[6:7]
	s_cbranch_execnz .LBB30_2748
.LBB30_698:
	s_or_b64 exec, exec, s[6:7]
	s_and_saveexec_b64 s[6:7], s[4:5]
	s_cbranch_execz .LBB30_700
.LBB30_699:
	v_bfe_u32 v2, v7, 24, 3
	v_ffbh_u32_e32 v12, v2
	v_min_u32_e32 v12, 32, v12
	v_lshrrev_b32_e32 v10, 27, v7
	v_subrev_u32_e32 v13, 28, v12
	v_and_b32_e32 v6, 0x80000000, v7
	v_and_b32_e32 v10, 15, v10
	v_bfe_u32 v11, v7, 27, 4
	v_lshlrev_b32_sdwa v7, v13, v7 dst_sel:DWORD dst_unused:UNUSED_PAD src0_sel:DWORD src1_sel:BYTE_3
	v_sub_u32_e32 v12, 29, v12
	v_and_b32_e32 v7, 7, v7
	v_cmp_eq_u16_e32 vcc, 0, v10
	v_cndmask_b32_e32 v2, v2, v7, vcc
	v_cndmask_b32_e32 v7, v11, v12, vcc
	v_mov_b32_e32 v10, 0x3b800000
	v_lshlrev_b32_e32 v2, 20, v2
	v_lshl_add_u32 v7, v7, 23, v10
	v_or3_b32 v2, v6, v7, v2
.LBB30_700:
	s_or_b64 exec, exec, s[6:7]
	s_movk_i32 s4, 0x7f
	v_cmp_gt_i16_sdwa s[6:7], v3, s4 src0_sel:BYTE_3 src1_sel:DWORD
	s_mov_b64 s[4:5], 0
                                        ; implicit-def: $sgpr10
	s_and_saveexec_b64 s[8:9], s[6:7]
	s_xor_b64 s[6:7], exec, s[8:9]
	s_cbranch_execnz .LBB30_2749
; %bb.701:
	s_or_saveexec_b64 s[6:7], s[6:7]
	v_mov_b32_e32 v6, s10
	s_xor_b64 exec, exec, s[6:7]
	s_cbranch_execnz .LBB30_2752
.LBB30_702:
	s_or_b64 exec, exec, s[6:7]
	s_and_saveexec_b64 s[6:7], s[4:5]
	s_cbranch_execz .LBB30_704
.LBB30_703:
	v_bfe_u32 v6, v3, 24, 3
	v_ffbh_u32_e32 v12, v6
	v_min_u32_e32 v12, 32, v12
	v_lshrrev_b32_e32 v10, 27, v3
	v_subrev_u32_e32 v13, 28, v12
	v_and_b32_e32 v7, 0x80000000, v3
	v_and_b32_e32 v10, 15, v10
	v_bfe_u32 v11, v3, 27, 4
	v_lshlrev_b32_sdwa v3, v13, v3 dst_sel:DWORD dst_unused:UNUSED_PAD src0_sel:DWORD src1_sel:BYTE_3
	v_sub_u32_e32 v12, 29, v12
	v_and_b32_e32 v3, 7, v3
	v_cmp_eq_u16_e32 vcc, 0, v10
	v_cndmask_b32_e32 v3, v6, v3, vcc
	v_cndmask_b32_e32 v6, v11, v12, vcc
	v_mov_b32_e32 v10, 0x3b800000
	v_lshlrev_b32_e32 v3, 20, v3
	v_lshl_add_u32 v6, v6, 23, v10
	v_or3_b32 v6, v7, v6, v3
.LBB30_704:
	s_or_b64 exec, exec, s[6:7]
	s_nop 0
	v_mfma_f32_16x16x4f32 a[0:3], v2, v6, a[0:3]
	s_movk_i32 s4, 0x7f
	v_cmp_gt_i16_sdwa s[6:7], v8, s4 src0_sel:BYTE_0 src1_sel:DWORD
	s_mov_b64 s[4:5], 0
                                        ; implicit-def: $sgpr10
	s_and_saveexec_b64 s[8:9], s[6:7]
	s_xor_b64 s[6:7], exec, s[8:9]
	s_cbranch_execnz .LBB30_2753
; %bb.705:
	s_or_saveexec_b64 s[6:7], s[6:7]
	v_mov_b32_e32 v2, s10
	s_xor_b64 exec, exec, s[6:7]
	s_cbranch_execnz .LBB30_2756
.LBB30_706:
	s_or_b64 exec, exec, s[6:7]
	s_and_saveexec_b64 s[6:7], s[4:5]
	s_cbranch_execz .LBB30_708
.LBB30_707:
	v_and_b32_e32 v2, 7, v8
	v_ffbh_u32_e32 v6, v2
	v_min_u32_e32 v6, 32, v6
	v_lshrrev_b16_e32 v3, 3, v8
	v_subrev_u32_e32 v7, 28, v6
	v_and_b32_e32 v3, 15, v3
	v_lshlrev_b32_e32 v7, v7, v8
	v_sub_u32_e32 v6, 29, v6
	v_and_b32_e32 v7, 7, v7
	v_cmp_eq_u16_e32 vcc, 0, v3
	v_cndmask_b32_e32 v2, v2, v7, vcc
	v_cndmask_b32_e32 v3, v3, v6, vcc
	v_lshlrev_b32_e32 v6, 24, v8
	v_mov_b32_e32 v7, 0x3b800000
	v_lshlrev_b32_e32 v2, 20, v2
	v_and_b32_e32 v6, 0x80000000, v6
	v_lshl_add_u32 v3, v3, 23, v7
	v_or3_b32 v2, v6, v3, v2
.LBB30_708:
	s_or_b64 exec, exec, s[6:7]
	s_movk_i32 s4, 0x7f
	v_cmp_gt_i16_sdwa s[6:7], v4, s4 src0_sel:BYTE_0 src1_sel:DWORD
	s_mov_b64 s[4:5], 0
                                        ; implicit-def: $sgpr10
	s_and_saveexec_b64 s[8:9], s[6:7]
	s_xor_b64 s[6:7], exec, s[8:9]
	s_cbranch_execnz .LBB30_2757
; %bb.709:
	s_or_saveexec_b64 s[6:7], s[6:7]
	v_mov_b32_e32 v3, s10
	s_xor_b64 exec, exec, s[6:7]
	s_cbranch_execnz .LBB30_2760
.LBB30_710:
	s_or_b64 exec, exec, s[6:7]
	s_and_saveexec_b64 s[6:7], s[4:5]
	s_cbranch_execz .LBB30_712
.LBB30_711:
	v_and_b32_e32 v3, 7, v4
	v_ffbh_u32_e32 v7, v3
	v_min_u32_e32 v7, 32, v7
	v_lshrrev_b16_e32 v6, 3, v4
	v_subrev_u32_e32 v10, 28, v7
	v_and_b32_e32 v6, 15, v6
	v_lshlrev_b32_e32 v10, v10, v4
	v_sub_u32_e32 v7, 29, v7
	v_and_b32_e32 v10, 7, v10
	v_cmp_eq_u16_e32 vcc, 0, v6
	v_cndmask_b32_e32 v3, v3, v10, vcc
	v_cndmask_b32_e32 v6, v6, v7, vcc
	v_lshlrev_b32_e32 v7, 24, v4
	v_mov_b32_e32 v10, 0x3b800000
	v_lshlrev_b32_e32 v3, 20, v3
	v_and_b32_e32 v7, 0x80000000, v7
	v_lshl_add_u32 v6, v6, 23, v10
	v_or3_b32 v3, v7, v6, v3
.LBB30_712:
	s_or_b64 exec, exec, s[6:7]
	s_nop 0
	v_mfma_f32_16x16x4f32 a[0:3], v2, v3, a[0:3]
	v_lshrrev_b32_e32 v3, 8, v8
	s_movk_i32 s4, 0x7f
	v_cmp_gt_i16_sdwa s[6:7], v3, s4 src0_sel:BYTE_0 src1_sel:DWORD
	s_mov_b64 s[4:5], 0
                                        ; implicit-def: $sgpr10
	s_and_saveexec_b64 s[8:9], s[6:7]
	s_xor_b64 s[6:7], exec, s[8:9]
	s_cbranch_execnz .LBB30_2761
; %bb.713:
	s_or_saveexec_b64 s[6:7], s[6:7]
	v_mov_b32_e32 v2, s10
	s_xor_b64 exec, exec, s[6:7]
	s_cbranch_execnz .LBB30_2764
.LBB30_714:
	s_or_b64 exec, exec, s[6:7]
	s_and_saveexec_b64 s[6:7], s[4:5]
	s_cbranch_execz .LBB30_716
.LBB30_715:
	v_bfe_u32 v2, v8, 8, 3
	v_ffbh_u32_e32 v7, v2
	v_min_u32_e32 v7, 32, v7
	v_lshrrev_b16_e32 v6, 3, v3
	v_subrev_u32_e32 v10, 28, v7
	v_and_b32_e32 v6, 15, v6
	v_lshlrev_b32_e32 v3, v10, v3
	v_sub_u32_e32 v7, 29, v7
	v_and_b32_e32 v3, 7, v3
	v_cmp_eq_u16_e32 vcc, 0, v6
	v_cndmask_b32_e32 v2, v2, v3, vcc
	v_cndmask_b32_e32 v3, v6, v7, vcc
	v_lshlrev_b32_e32 v6, 16, v8
	v_mov_b32_e32 v7, 0x3b800000
	v_lshlrev_b32_e32 v2, 20, v2
	v_and_b32_e32 v6, 0x80000000, v6
	v_lshl_add_u32 v3, v3, 23, v7
	v_or3_b32 v2, v6, v3, v2
.LBB30_716:
	s_or_b64 exec, exec, s[6:7]
	v_lshrrev_b32_e32 v3, 8, v4
	s_movk_i32 s4, 0x7f
	v_cmp_gt_i16_sdwa s[6:7], v3, s4 src0_sel:BYTE_0 src1_sel:DWORD
	s_mov_b64 s[4:5], 0
                                        ; implicit-def: $sgpr10
	s_and_saveexec_b64 s[8:9], s[6:7]
	s_xor_b64 s[6:7], exec, s[8:9]
	s_cbranch_execnz .LBB30_2765
; %bb.717:
	s_or_saveexec_b64 s[6:7], s[6:7]
	v_mov_b32_e32 v6, s10
	s_xor_b64 exec, exec, s[6:7]
	s_cbranch_execnz .LBB30_2768
.LBB30_718:
	s_or_b64 exec, exec, s[6:7]
	s_and_saveexec_b64 s[6:7], s[4:5]
	s_cbranch_execz .LBB30_720
.LBB30_719:
	v_bfe_u32 v6, v4, 8, 3
	v_ffbh_u32_e32 v10, v6
	v_min_u32_e32 v10, 32, v10
	v_lshrrev_b16_e32 v7, 3, v3
	v_subrev_u32_e32 v11, 28, v10
	v_and_b32_e32 v7, 15, v7
	v_lshlrev_b32_e32 v3, v11, v3
	v_sub_u32_e32 v10, 29, v10
	v_and_b32_e32 v3, 7, v3
	v_cmp_eq_u16_e32 vcc, 0, v7
	v_cndmask_b32_e32 v3, v6, v3, vcc
	v_cndmask_b32_e32 v6, v7, v10, vcc
	v_lshlrev_b32_e32 v7, 16, v4
	v_mov_b32_e32 v10, 0x3b800000
	v_lshlrev_b32_e32 v3, 20, v3
	v_and_b32_e32 v7, 0x80000000, v7
	v_lshl_add_u32 v6, v6, 23, v10
	v_or3_b32 v6, v7, v6, v3
.LBB30_720:
	s_or_b64 exec, exec, s[6:7]
	s_nop 0
	v_mfma_f32_16x16x4f32 a[0:3], v2, v6, a[0:3]
	s_movk_i32 s4, 0xff
	v_and_b32_sdwa v3, v8, s4 dst_sel:DWORD dst_unused:UNUSED_PAD src0_sel:WORD_1 src1_sel:DWORD
	s_movk_i32 s4, 0x7f
	v_cmp_lt_i16_e32 vcc, s4, v3
	s_mov_b64 s[4:5], 0
                                        ; implicit-def: $sgpr10
	s_and_saveexec_b64 s[6:7], vcc
	s_xor_b64 s[6:7], exec, s[6:7]
	s_cbranch_execnz .LBB30_2769
; %bb.721:
	s_or_saveexec_b64 s[6:7], s[6:7]
	v_mov_b32_e32 v2, s10
	s_xor_b64 exec, exec, s[6:7]
	s_cbranch_execnz .LBB30_2772
.LBB30_722:
	s_or_b64 exec, exec, s[6:7]
	s_and_saveexec_b64 s[6:7], s[4:5]
	s_cbranch_execz .LBB30_724
.LBB30_723:
	v_bfe_u32 v2, v8, 16, 3
	v_ffbh_u32_e32 v7, v2
	v_min_u32_e32 v7, 32, v7
	v_lshrrev_b32_e32 v3, 19, v8
	v_subrev_u32_e32 v10, 28, v7
	v_and_b32_e32 v3, 15, v3
	v_lshlrev_b32_sdwa v10, v10, v8 dst_sel:DWORD dst_unused:UNUSED_PAD src0_sel:DWORD src1_sel:WORD_1
	v_bfe_u32 v6, v8, 19, 4
	v_sub_u32_e32 v7, 29, v7
	v_and_b32_e32 v10, 7, v10
	v_cmp_eq_u16_e32 vcc, 0, v3
	v_cndmask_b32_e32 v2, v2, v10, vcc
	v_cndmask_b32_e32 v3, v6, v7, vcc
	v_lshlrev_b32_e32 v6, 8, v8
	v_mov_b32_e32 v7, 0x3b800000
	v_lshlrev_b32_e32 v2, 20, v2
	v_and_b32_e32 v6, 0x80000000, v6
	v_lshl_add_u32 v3, v3, 23, v7
	v_or3_b32 v2, v6, v3, v2
.LBB30_724:
	s_or_b64 exec, exec, s[6:7]
	s_movk_i32 s4, 0xff
	v_and_b32_sdwa v3, v4, s4 dst_sel:DWORD dst_unused:UNUSED_PAD src0_sel:WORD_1 src1_sel:DWORD
	s_movk_i32 s4, 0x7f
	v_cmp_lt_i16_e32 vcc, s4, v3
	s_mov_b64 s[4:5], 0
                                        ; implicit-def: $sgpr10
	s_and_saveexec_b64 s[6:7], vcc
	s_xor_b64 s[6:7], exec, s[6:7]
	s_cbranch_execnz .LBB30_2773
; %bb.725:
	s_or_saveexec_b64 s[6:7], s[6:7]
	v_mov_b32_e32 v6, s10
	s_xor_b64 exec, exec, s[6:7]
	s_cbranch_execnz .LBB30_2776
.LBB30_726:
	s_or_b64 exec, exec, s[6:7]
	s_and_saveexec_b64 s[6:7], s[4:5]
	s_cbranch_execz .LBB30_728
.LBB30_727:
	v_bfe_u32 v3, v4, 16, 3
	v_ffbh_u32_e32 v10, v3
	v_min_u32_e32 v10, 32, v10
	v_lshrrev_b32_e32 v6, 19, v4
	v_subrev_u32_e32 v11, 28, v10
	v_and_b32_e32 v6, 15, v6
	v_lshlrev_b32_sdwa v11, v11, v4 dst_sel:DWORD dst_unused:UNUSED_PAD src0_sel:DWORD src1_sel:WORD_1
	v_bfe_u32 v7, v4, 19, 4
	v_sub_u32_e32 v10, 29, v10
	v_and_b32_e32 v11, 7, v11
	v_cmp_eq_u16_e32 vcc, 0, v6
	v_cndmask_b32_e32 v3, v3, v11, vcc
	v_cndmask_b32_e32 v6, v7, v10, vcc
	v_lshlrev_b32_e32 v7, 8, v4
	v_mov_b32_e32 v10, 0x3b800000
	v_lshlrev_b32_e32 v3, 20, v3
	v_and_b32_e32 v7, 0x80000000, v7
	v_lshl_add_u32 v6, v6, 23, v10
	v_or3_b32 v6, v7, v6, v3
.LBB30_728:
	s_or_b64 exec, exec, s[6:7]
	s_nop 0
	v_mfma_f32_16x16x4f32 a[0:3], v2, v6, a[0:3]
	s_movk_i32 s4, 0x7f
	v_cmp_gt_i16_sdwa s[6:7], v8, s4 src0_sel:BYTE_3 src1_sel:DWORD
	s_mov_b64 s[4:5], 0
                                        ; implicit-def: $sgpr10
	s_and_saveexec_b64 s[8:9], s[6:7]
	s_xor_b64 s[6:7], exec, s[8:9]
	s_cbranch_execnz .LBB30_2777
; %bb.729:
	s_or_saveexec_b64 s[6:7], s[6:7]
	v_mov_b32_e32 v2, s10
	s_xor_b64 exec, exec, s[6:7]
	s_cbranch_execnz .LBB30_2780
.LBB30_730:
	s_or_b64 exec, exec, s[6:7]
	s_and_saveexec_b64 s[6:7], s[4:5]
	s_cbranch_execz .LBB30_732
.LBB30_731:
	v_bfe_u32 v2, v8, 24, 3
	v_ffbh_u32_e32 v10, v2
	v_min_u32_e32 v10, 32, v10
	v_lshrrev_b32_e32 v6, 27, v8
	v_subrev_u32_e32 v11, 28, v10
	v_and_b32_e32 v3, 0x80000000, v8
	v_and_b32_e32 v6, 15, v6
	v_bfe_u32 v7, v8, 27, 4
	v_lshlrev_b32_sdwa v8, v11, v8 dst_sel:DWORD dst_unused:UNUSED_PAD src0_sel:DWORD src1_sel:BYTE_3
	v_sub_u32_e32 v10, 29, v10
	v_and_b32_e32 v8, 7, v8
	v_cmp_eq_u16_e32 vcc, 0, v6
	v_cndmask_b32_e32 v2, v2, v8, vcc
	v_cndmask_b32_e32 v6, v7, v10, vcc
	v_mov_b32_e32 v7, 0x3b800000
	v_lshlrev_b32_e32 v2, 20, v2
	v_lshl_add_u32 v6, v6, 23, v7
	v_or3_b32 v2, v3, v6, v2
.LBB30_732:
	s_or_b64 exec, exec, s[6:7]
	s_movk_i32 s4, 0x7f
	v_cmp_gt_i16_sdwa s[6:7], v4, s4 src0_sel:BYTE_3 src1_sel:DWORD
	s_mov_b64 s[4:5], 0
                                        ; implicit-def: $sgpr10
	s_and_saveexec_b64 s[8:9], s[6:7]
	s_xor_b64 s[6:7], exec, s[8:9]
	s_cbranch_execnz .LBB30_2781
; %bb.733:
	s_or_saveexec_b64 s[6:7], s[6:7]
	v_mov_b32_e32 v3, s10
	s_xor_b64 exec, exec, s[6:7]
	s_cbranch_execnz .LBB30_2784
.LBB30_734:
	s_or_b64 exec, exec, s[6:7]
	s_and_saveexec_b64 s[6:7], s[4:5]
	s_cbranch_execz .LBB30_736
.LBB30_735:
	v_bfe_u32 v3, v4, 24, 3
	v_ffbh_u32_e32 v10, v3
	v_min_u32_e32 v10, 32, v10
	v_lshrrev_b32_e32 v7, 27, v4
	v_subrev_u32_e32 v11, 28, v10
	v_and_b32_e32 v6, 0x80000000, v4
	v_and_b32_e32 v7, 15, v7
	v_bfe_u32 v8, v4, 27, 4
	v_lshlrev_b32_sdwa v4, v11, v4 dst_sel:DWORD dst_unused:UNUSED_PAD src0_sel:DWORD src1_sel:BYTE_3
	v_sub_u32_e32 v10, 29, v10
	v_and_b32_e32 v4, 7, v4
	v_cmp_eq_u16_e32 vcc, 0, v7
	v_cndmask_b32_e32 v3, v3, v4, vcc
	v_cndmask_b32_e32 v4, v8, v10, vcc
	v_mov_b32_e32 v7, 0x3b800000
	v_lshlrev_b32_e32 v3, 20, v3
	v_lshl_add_u32 v4, v4, 23, v7
	v_or3_b32 v3, v6, v4, v3
.LBB30_736:
	s_or_b64 exec, exec, s[6:7]
	s_nop 0
	v_mfma_f32_16x16x4f32 a[0:3], v2, v3, a[0:3]
	s_movk_i32 s4, 0x7f
	v_cmp_gt_i16_sdwa s[6:7], v9, s4 src0_sel:BYTE_0 src1_sel:DWORD
	s_mov_b64 s[4:5], 0
                                        ; implicit-def: $sgpr10
	s_and_saveexec_b64 s[8:9], s[6:7]
	s_xor_b64 s[6:7], exec, s[8:9]
	s_cbranch_execnz .LBB30_2785
; %bb.737:
	s_or_saveexec_b64 s[6:7], s[6:7]
	v_mov_b32_e32 v2, s10
	s_xor_b64 exec, exec, s[6:7]
	s_cbranch_execnz .LBB30_2788
.LBB30_738:
	s_or_b64 exec, exec, s[6:7]
	s_and_saveexec_b64 s[6:7], s[4:5]
	s_cbranch_execz .LBB30_740
.LBB30_739:
	v_mov_b32_e32 v2, 8
	v_and_b32_e32 v3, 7, v9
	v_lshrrev_b32_sdwa v2, v2, v9 dst_sel:BYTE_1 dst_unused:UNUSED_PAD src0_sel:DWORD src1_sel:DWORD
	v_ffbh_u32_e32 v4, v3
	v_or_b32_sdwa v2, v9, v2 dst_sel:DWORD dst_unused:UNUSED_PAD src0_sel:BYTE_0 src1_sel:DWORD
	v_min_u32_e32 v4, 32, v4
	v_lshrrev_b16_e32 v2, 3, v2
	v_subrev_u32_e32 v6, 28, v4
	v_and_b32_e32 v2, 15, v2
	v_lshlrev_b32_e32 v6, v6, v9
	v_sub_u32_e32 v4, 29, v4
	v_and_b32_e32 v6, 7, v6
	v_cmp_eq_u16_e32 vcc, 0, v2
	v_cndmask_b32_e32 v3, v3, v6, vcc
	v_cndmask_b32_e32 v2, v2, v4, vcc
	v_lshlrev_b32_e32 v4, 24, v9
	v_mov_b32_e32 v6, 0x3b800000
	v_lshlrev_b32_e32 v3, 20, v3
	v_and_b32_e32 v4, 0x80000000, v4
	v_lshl_add_u32 v2, v2, 23, v6
	v_or3_b32 v2, v4, v2, v3
.LBB30_740:
	s_or_b64 exec, exec, s[6:7]
	s_movk_i32 s4, 0x7f
	v_cmp_gt_i16_sdwa s[6:7], v5, s4 src0_sel:BYTE_0 src1_sel:DWORD
	s_mov_b64 s[4:5], 0
                                        ; implicit-def: $sgpr10
	s_and_saveexec_b64 s[8:9], s[6:7]
	s_xor_b64 s[6:7], exec, s[8:9]
	s_cbranch_execnz .LBB30_2789
; %bb.741:
	s_or_saveexec_b64 s[6:7], s[6:7]
	v_mov_b32_e32 v3, s10
	s_xor_b64 exec, exec, s[6:7]
	s_cbranch_execnz .LBB30_2792
.LBB30_742:
	s_or_b64 exec, exec, s[6:7]
	s_and_saveexec_b64 s[6:7], s[4:5]
	s_cbranch_execz .LBB30_744
.LBB30_743:
	v_mov_b32_e32 v3, 8
	v_and_b32_e32 v4, 7, v5
	v_lshrrev_b32_sdwa v3, v3, v5 dst_sel:BYTE_1 dst_unused:UNUSED_PAD src0_sel:DWORD src1_sel:DWORD
	v_ffbh_u32_e32 v6, v4
	v_or_b32_sdwa v3, v5, v3 dst_sel:DWORD dst_unused:UNUSED_PAD src0_sel:BYTE_0 src1_sel:DWORD
	v_min_u32_e32 v6, 32, v6
	v_lshrrev_b16_e32 v3, 3, v3
	v_subrev_u32_e32 v7, 28, v6
	v_and_b32_e32 v3, 15, v3
	v_lshlrev_b32_e32 v7, v7, v5
	v_sub_u32_e32 v6, 29, v6
	v_and_b32_e32 v7, 7, v7
	v_cmp_eq_u16_e32 vcc, 0, v3
	v_cndmask_b32_e32 v4, v4, v7, vcc
	v_cndmask_b32_e32 v3, v3, v6, vcc
	v_lshlrev_b32_e32 v6, 24, v5
	v_mov_b32_e32 v7, 0x3b800000
	v_lshlrev_b32_e32 v4, 20, v4
	v_and_b32_e32 v6, 0x80000000, v6
	v_lshl_add_u32 v3, v3, 23, v7
	v_or3_b32 v3, v6, v3, v4
.LBB30_744:
	s_or_b64 exec, exec, s[6:7]
	s_nop 0
	v_mfma_f32_16x16x4f32 a[0:3], v2, v3, a[0:3]
	v_lshrrev_b32_e32 v3, 8, v9
	s_movk_i32 s4, 0x7f
	v_cmp_gt_i16_sdwa s[6:7], v3, s4 src0_sel:BYTE_0 src1_sel:DWORD
	s_mov_b64 s[4:5], 0
                                        ; implicit-def: $sgpr10
	s_and_saveexec_b64 s[8:9], s[6:7]
	s_xor_b64 s[6:7], exec, s[8:9]
	s_cbranch_execnz .LBB30_2793
; %bb.745:
	s_or_saveexec_b64 s[6:7], s[6:7]
	v_mov_b32_e32 v2, s10
	s_xor_b64 exec, exec, s[6:7]
	s_cbranch_execnz .LBB30_2796
.LBB30_746:
	s_or_b64 exec, exec, s[6:7]
	s_and_saveexec_b64 s[6:7], s[4:5]
	s_cbranch_execz .LBB30_748
.LBB30_747:
	v_bfe_u32 v2, v9, 8, 3
	v_ffbh_u32_e32 v6, v2
	v_min_u32_e32 v6, 32, v6
	v_lshrrev_b16_e32 v4, 3, v3
	v_subrev_u32_e32 v7, 28, v6
	v_and_b32_e32 v4, 15, v4
	v_lshlrev_b32_e32 v3, v7, v3
	v_sub_u32_e32 v6, 29, v6
	v_and_b32_e32 v3, 7, v3
	v_cmp_eq_u16_e32 vcc, 0, v4
	v_cndmask_b32_e32 v2, v2, v3, vcc
	v_cndmask_b32_e32 v3, v4, v6, vcc
	v_lshlrev_b32_e32 v4, 16, v9
	v_mov_b32_e32 v6, 0x3b800000
	v_lshlrev_b32_e32 v2, 20, v2
	v_and_b32_e32 v4, 0x80000000, v4
	v_lshl_add_u32 v3, v3, 23, v6
	v_or3_b32 v2, v4, v3, v2
.LBB30_748:
	s_or_b64 exec, exec, s[6:7]
	v_lshrrev_b32_e32 v3, 8, v5
	s_movk_i32 s4, 0x7f
	v_cmp_gt_i16_sdwa s[6:7], v3, s4 src0_sel:BYTE_0 src1_sel:DWORD
	s_mov_b64 s[4:5], 0
                                        ; implicit-def: $sgpr10
	s_and_saveexec_b64 s[8:9], s[6:7]
	s_xor_b64 s[6:7], exec, s[8:9]
	s_cbranch_execnz .LBB30_2797
; %bb.749:
	s_or_saveexec_b64 s[6:7], s[6:7]
	v_mov_b32_e32 v4, s10
	s_xor_b64 exec, exec, s[6:7]
	s_cbranch_execnz .LBB30_2800
.LBB30_750:
	s_or_b64 exec, exec, s[6:7]
	s_and_saveexec_b64 s[6:7], s[4:5]
	s_cbranch_execz .LBB30_752
.LBB30_751:
	v_bfe_u32 v4, v5, 8, 3
	v_ffbh_u32_e32 v7, v4
	v_min_u32_e32 v7, 32, v7
	v_lshrrev_b16_e32 v6, 3, v3
	v_subrev_u32_e32 v8, 28, v7
	v_and_b32_e32 v6, 15, v6
	v_lshlrev_b32_e32 v3, v8, v3
	v_sub_u32_e32 v7, 29, v7
	v_and_b32_e32 v3, 7, v3
	v_cmp_eq_u16_e32 vcc, 0, v6
	v_cndmask_b32_e32 v3, v4, v3, vcc
	v_cndmask_b32_e32 v4, v6, v7, vcc
	v_lshlrev_b32_e32 v6, 16, v5
	v_mov_b32_e32 v7, 0x3b800000
	v_lshlrev_b32_e32 v3, 20, v3
	v_and_b32_e32 v6, 0x80000000, v6
	v_lshl_add_u32 v4, v4, 23, v7
	v_or3_b32 v4, v6, v4, v3
.LBB30_752:
	s_or_b64 exec, exec, s[6:7]
	s_nop 0
	v_mfma_f32_16x16x4f32 a[0:3], v2, v4, a[0:3]
	s_movk_i32 s4, 0xff
	v_and_b32_sdwa v3, v9, s4 dst_sel:DWORD dst_unused:UNUSED_PAD src0_sel:WORD_1 src1_sel:DWORD
	s_movk_i32 s4, 0x7f
	v_cmp_lt_i16_e32 vcc, s4, v3
	s_mov_b64 s[4:5], 0
                                        ; implicit-def: $sgpr10
	s_and_saveexec_b64 s[6:7], vcc
	s_xor_b64 s[6:7], exec, s[6:7]
	s_cbranch_execnz .LBB30_2801
; %bb.753:
	s_or_saveexec_b64 s[6:7], s[6:7]
	v_mov_b32_e32 v2, s10
	s_xor_b64 exec, exec, s[6:7]
	s_cbranch_execnz .LBB30_2804
.LBB30_754:
	s_or_b64 exec, exec, s[6:7]
	s_and_saveexec_b64 s[6:7], s[4:5]
	s_cbranch_execz .LBB30_756
.LBB30_755:
	v_bfe_u32 v2, v9, 16, 3
	v_ffbh_u32_e32 v6, v2
	v_min_u32_e32 v6, 32, v6
	v_lshrrev_b32_e32 v3, 19, v9
	v_subrev_u32_e32 v7, 28, v6
	v_and_b32_e32 v3, 15, v3
	v_lshlrev_b32_sdwa v7, v7, v9 dst_sel:DWORD dst_unused:UNUSED_PAD src0_sel:DWORD src1_sel:WORD_1
	v_bfe_u32 v4, v9, 19, 4
	v_sub_u32_e32 v6, 29, v6
	v_and_b32_e32 v7, 7, v7
	v_cmp_eq_u16_e32 vcc, 0, v3
	v_cndmask_b32_e32 v2, v2, v7, vcc
	v_cndmask_b32_e32 v3, v4, v6, vcc
	v_lshlrev_b32_e32 v4, 8, v9
	v_mov_b32_e32 v6, 0x3b800000
	v_lshlrev_b32_e32 v2, 20, v2
	v_and_b32_e32 v4, 0x80000000, v4
	v_lshl_add_u32 v3, v3, 23, v6
	v_or3_b32 v2, v4, v3, v2
.LBB30_756:
	s_or_b64 exec, exec, s[6:7]
	s_movk_i32 s4, 0xff
	v_and_b32_sdwa v3, v5, s4 dst_sel:DWORD dst_unused:UNUSED_PAD src0_sel:WORD_1 src1_sel:DWORD
	s_movk_i32 s4, 0x7f
	v_cmp_lt_i16_e32 vcc, s4, v3
	s_mov_b64 s[4:5], 0
                                        ; implicit-def: $sgpr10
	s_and_saveexec_b64 s[6:7], vcc
	s_xor_b64 s[6:7], exec, s[6:7]
	s_cbranch_execnz .LBB30_2805
; %bb.757:
	s_or_saveexec_b64 s[6:7], s[6:7]
	v_mov_b32_e32 v4, s10
	s_xor_b64 exec, exec, s[6:7]
	s_cbranch_execnz .LBB30_2808
.LBB30_758:
	s_or_b64 exec, exec, s[6:7]
	s_and_saveexec_b64 s[6:7], s[4:5]
	s_cbranch_execz .LBB30_760
.LBB30_759:
	v_bfe_u32 v3, v5, 16, 3
	v_ffbh_u32_e32 v7, v3
	v_min_u32_e32 v7, 32, v7
	v_lshrrev_b32_e32 v4, 19, v5
	v_subrev_u32_e32 v8, 28, v7
	v_and_b32_e32 v4, 15, v4
	v_lshlrev_b32_sdwa v8, v8, v5 dst_sel:DWORD dst_unused:UNUSED_PAD src0_sel:DWORD src1_sel:WORD_1
	v_bfe_u32 v6, v5, 19, 4
	v_sub_u32_e32 v7, 29, v7
	v_and_b32_e32 v8, 7, v8
	v_cmp_eq_u16_e32 vcc, 0, v4
	v_cndmask_b32_e32 v3, v3, v8, vcc
	v_cndmask_b32_e32 v4, v6, v7, vcc
	v_lshlrev_b32_e32 v6, 8, v5
	v_mov_b32_e32 v7, 0x3b800000
	v_lshlrev_b32_e32 v3, 20, v3
	v_and_b32_e32 v6, 0x80000000, v6
	v_lshl_add_u32 v4, v4, 23, v7
	v_or3_b32 v4, v6, v4, v3
.LBB30_760:
	s_or_b64 exec, exec, s[6:7]
	s_nop 0
	v_mfma_f32_16x16x4f32 a[0:3], v2, v4, a[0:3]
	s_movk_i32 s4, 0x7f
	v_cmp_gt_i16_sdwa s[6:7], v9, s4 src0_sel:BYTE_3 src1_sel:DWORD
	s_mov_b64 s[4:5], 0
                                        ; implicit-def: $sgpr10
	s_and_saveexec_b64 s[8:9], s[6:7]
	s_xor_b64 s[6:7], exec, s[8:9]
	s_cbranch_execnz .LBB30_2809
; %bb.761:
	s_or_saveexec_b64 s[6:7], s[6:7]
	v_mov_b32_e32 v2, s10
	s_xor_b64 exec, exec, s[6:7]
	s_cbranch_execnz .LBB30_2812
.LBB30_762:
	s_or_b64 exec, exec, s[6:7]
	s_and_saveexec_b64 s[6:7], s[4:5]
	s_cbranch_execz .LBB30_764
.LBB30_763:
	v_bfe_u32 v2, v9, 24, 3
	v_ffbh_u32_e32 v7, v2
	v_min_u32_e32 v7, 32, v7
	v_lshrrev_b32_e32 v4, 27, v9
	v_subrev_u32_e32 v8, 28, v7
	v_and_b32_e32 v4, 15, v4
	v_lshlrev_b32_sdwa v8, v8, v9 dst_sel:DWORD dst_unused:UNUSED_PAD src0_sel:DWORD src1_sel:BYTE_3
	v_bfe_u32 v6, v9, 27, 4
	v_sub_u32_e32 v7, 29, v7
	v_and_b32_e32 v8, 7, v8
	v_cmp_eq_u16_e32 vcc, 0, v4
	v_cndmask_b32_e32 v2, v2, v8, vcc
	v_cndmask_b32_e32 v4, v6, v7, vcc
	v_mov_b32_e32 v6, 0x3b800000
	v_and_b32_e32 v3, 0x80000000, v9
	v_lshlrev_b32_e32 v2, 20, v2
	v_lshl_add_u32 v4, v4, 23, v6
	v_or3_b32 v2, v3, v4, v2
.LBB30_764:
	s_or_b64 exec, exec, s[6:7]
	s_movk_i32 s4, 0x7f
	v_cmp_gt_i16_sdwa s[6:7], v5, s4 src0_sel:BYTE_3 src1_sel:DWORD
	s_mov_b64 s[4:5], 0
                                        ; implicit-def: $sgpr10
	s_and_saveexec_b64 s[8:9], s[6:7]
	s_xor_b64 s[6:7], exec, s[8:9]
	s_cbranch_execnz .LBB30_2813
; %bb.765:
	s_or_saveexec_b64 s[6:7], s[6:7]
	v_mov_b32_e32 v3, s10
	s_xor_b64 exec, exec, s[6:7]
	s_cbranch_execnz .LBB30_2816
.LBB30_766:
	s_or_b64 exec, exec, s[6:7]
	s_and_saveexec_b64 s[6:7], s[4:5]
	s_cbranch_execz .LBB30_768
.LBB30_767:
	v_bfe_u32 v3, v5, 24, 3
	v_ffbh_u32_e32 v8, v3
	v_min_u32_e32 v8, 32, v8
	v_lshrrev_b32_e32 v6, 27, v5
	v_subrev_u32_e32 v9, 28, v8
	v_and_b32_e32 v4, 0x80000000, v5
	v_and_b32_e32 v6, 15, v6
	v_bfe_u32 v7, v5, 27, 4
	v_lshlrev_b32_sdwa v5, v9, v5 dst_sel:DWORD dst_unused:UNUSED_PAD src0_sel:DWORD src1_sel:BYTE_3
	v_sub_u32_e32 v8, 29, v8
	v_and_b32_e32 v5, 7, v5
	v_cmp_eq_u16_e32 vcc, 0, v6
	v_cndmask_b32_e32 v3, v3, v5, vcc
	v_cndmask_b32_e32 v5, v7, v8, vcc
	v_mov_b32_e32 v6, 0x3b800000
	v_lshlrev_b32_e32 v3, 20, v3
	v_lshl_add_u32 v5, v5, 23, v6
	v_or3_b32 v3, v4, v5, v3
.LBB30_768:
	s_or_b64 exec, exec, s[6:7]
	s_nop 0
	v_mfma_f32_16x16x4f32 a[0:3], v2, v3, a[0:3]
	s_movk_i32 s4, 0x7f
                                        ; implicit-def: $sgpr10
	s_nop 7
	s_nop 1
	flat_store_dwordx4 v[18:19], a[0:3] offset:288
	flat_load_dwordx4 v[20:23], v[0:1] offset:16
	s_nop 0
	flat_load_dwordx2 v[18:19], v[0:1] offset:32
	s_waitcnt vmcnt(0) lgkmcnt(0)
	flat_load_dwordx4 v[14:17], v[20:21]
	flat_load_dwordx4 v[6:9], v[20:21] offset:16
	flat_load_dwordx4 v[10:13], v[22:23] offset:96
	;; [unrolled: 1-line block ×3, first 2 shown]
	s_waitcnt vmcnt(0) lgkmcnt(0)
	v_cmp_gt_i16_sdwa s[6:7], v14, s4 src0_sel:BYTE_0 src1_sel:DWORD
	s_mov_b64 s[4:5], 0
	s_and_saveexec_b64 s[8:9], s[6:7]
	s_xor_b64 s[6:7], exec, s[8:9]
	s_cbranch_execnz .LBB30_2817
; %bb.769:
	s_or_saveexec_b64 s[6:7], s[6:7]
	v_mov_b32_e32 v20, s10
	s_xor_b64 exec, exec, s[6:7]
	s_cbranch_execnz .LBB30_2820
.LBB30_770:
	s_or_b64 exec, exec, s[6:7]
	s_and_saveexec_b64 s[6:7], s[4:5]
	s_cbranch_execz .LBB30_772
.LBB30_771:
	v_and_b32_e32 v20, 7, v14
	v_ffbh_u32_e32 v22, v20
	v_min_u32_e32 v22, 32, v22
	v_lshrrev_b16_e32 v21, 3, v14
	v_subrev_u32_e32 v23, 28, v22
	v_and_b32_e32 v21, 15, v21
	v_lshlrev_b32_e32 v23, v23, v14
	v_sub_u32_e32 v22, 29, v22
	v_and_b32_e32 v23, 7, v23
	v_cmp_eq_u16_e32 vcc, 0, v21
	v_cndmask_b32_e32 v20, v20, v23, vcc
	v_cndmask_b32_e32 v21, v21, v22, vcc
	v_lshlrev_b32_e32 v22, 24, v14
	v_mov_b32_e32 v23, 0x3b800000
	v_lshlrev_b32_e32 v20, 20, v20
	v_and_b32_e32 v22, 0x80000000, v22
	v_lshl_add_u32 v21, v21, 23, v23
	v_or3_b32 v20, v22, v21, v20
.LBB30_772:
	s_or_b64 exec, exec, s[6:7]
	s_movk_i32 s4, 0x7f
	v_cmp_gt_i16_sdwa s[6:7], v10, s4 src0_sel:BYTE_0 src1_sel:DWORD
	s_mov_b64 s[4:5], 0
                                        ; implicit-def: $sgpr10
	s_and_saveexec_b64 s[8:9], s[6:7]
	s_xor_b64 s[6:7], exec, s[8:9]
	s_cbranch_execnz .LBB30_2821
; %bb.773:
	s_or_saveexec_b64 s[6:7], s[6:7]
	v_mov_b32_e32 v21, s10
	s_xor_b64 exec, exec, s[6:7]
	s_cbranch_execnz .LBB30_2824
.LBB30_774:
	s_or_b64 exec, exec, s[6:7]
	s_and_saveexec_b64 s[6:7], s[4:5]
	s_cbranch_execz .LBB30_776
.LBB30_775:
	v_and_b32_e32 v21, 7, v10
	v_ffbh_u32_e32 v23, v21
	v_min_u32_e32 v23, 32, v23
	v_lshrrev_b16_e32 v22, 3, v10
	v_subrev_u32_e32 v24, 28, v23
	v_and_b32_e32 v22, 15, v22
	v_lshlrev_b32_e32 v24, v24, v10
	v_sub_u32_e32 v23, 29, v23
	v_and_b32_e32 v24, 7, v24
	v_cmp_eq_u16_e32 vcc, 0, v22
	v_cndmask_b32_e32 v21, v21, v24, vcc
	v_cndmask_b32_e32 v22, v22, v23, vcc
	v_lshlrev_b32_e32 v23, 24, v10
	v_mov_b32_e32 v24, 0x3b800000
	v_lshlrev_b32_e32 v21, 20, v21
	v_and_b32_e32 v23, 0x80000000, v23
	v_lshl_add_u32 v22, v22, 23, v24
	v_or3_b32 v21, v23, v22, v21
.LBB30_776:
	s_or_b64 exec, exec, s[6:7]
	flat_load_dwordx4 a[0:3], v[18:19] offset:304
	s_movk_i32 s4, 0x7f
                                        ; implicit-def: $sgpr10
	s_waitcnt vmcnt(0) lgkmcnt(0)
	v_mfma_f32_16x16x4f32 a[0:3], v20, v21, a[0:3]
	v_lshrrev_b32_e32 v21, 8, v14
	v_cmp_gt_i16_sdwa s[6:7], v21, s4 src0_sel:BYTE_0 src1_sel:DWORD
	s_mov_b64 s[4:5], 0
	s_and_saveexec_b64 s[8:9], s[6:7]
	s_xor_b64 s[6:7], exec, s[8:9]
	s_cbranch_execnz .LBB30_2825
; %bb.777:
	s_or_saveexec_b64 s[6:7], s[6:7]
	v_mov_b32_e32 v20, s10
	s_xor_b64 exec, exec, s[6:7]
	s_cbranch_execnz .LBB30_2828
.LBB30_778:
	s_or_b64 exec, exec, s[6:7]
	s_and_saveexec_b64 s[6:7], s[4:5]
	s_cbranch_execz .LBB30_780
.LBB30_779:
	v_bfe_u32 v20, v14, 8, 3
	v_ffbh_u32_e32 v23, v20
	v_min_u32_e32 v23, 32, v23
	v_lshrrev_b16_e32 v22, 3, v21
	v_subrev_u32_e32 v24, 28, v23
	v_and_b32_e32 v22, 15, v22
	v_lshlrev_b32_e32 v21, v24, v21
	v_sub_u32_e32 v23, 29, v23
	v_and_b32_e32 v21, 7, v21
	v_cmp_eq_u16_e32 vcc, 0, v22
	v_cndmask_b32_e32 v20, v20, v21, vcc
	v_cndmask_b32_e32 v21, v22, v23, vcc
	v_lshlrev_b32_e32 v22, 16, v14
	v_mov_b32_e32 v23, 0x3b800000
	v_lshlrev_b32_e32 v20, 20, v20
	v_and_b32_e32 v22, 0x80000000, v22
	v_lshl_add_u32 v21, v21, 23, v23
	v_or3_b32 v20, v22, v21, v20
.LBB30_780:
	s_or_b64 exec, exec, s[6:7]
	v_lshrrev_b32_e32 v21, 8, v10
	s_movk_i32 s4, 0x7f
	v_cmp_gt_i16_sdwa s[6:7], v21, s4 src0_sel:BYTE_0 src1_sel:DWORD
	s_mov_b64 s[4:5], 0
                                        ; implicit-def: $sgpr10
	s_and_saveexec_b64 s[8:9], s[6:7]
	s_xor_b64 s[6:7], exec, s[8:9]
	s_cbranch_execnz .LBB30_2829
; %bb.781:
	s_or_saveexec_b64 s[6:7], s[6:7]
	v_mov_b32_e32 v22, s10
	s_xor_b64 exec, exec, s[6:7]
	s_cbranch_execnz .LBB30_2832
.LBB30_782:
	s_or_b64 exec, exec, s[6:7]
	s_and_saveexec_b64 s[6:7], s[4:5]
	s_cbranch_execz .LBB30_784
.LBB30_783:
	v_bfe_u32 v22, v10, 8, 3
	v_ffbh_u32_e32 v24, v22
	v_min_u32_e32 v24, 32, v24
	v_lshrrev_b16_e32 v23, 3, v21
	v_subrev_u32_e32 v25, 28, v24
	v_and_b32_e32 v23, 15, v23
	v_lshlrev_b32_e32 v21, v25, v21
	v_sub_u32_e32 v24, 29, v24
	v_and_b32_e32 v21, 7, v21
	v_cmp_eq_u16_e32 vcc, 0, v23
	v_cndmask_b32_e32 v21, v22, v21, vcc
	v_cndmask_b32_e32 v22, v23, v24, vcc
	v_lshlrev_b32_e32 v23, 16, v10
	v_mov_b32_e32 v24, 0x3b800000
	v_lshlrev_b32_e32 v21, 20, v21
	v_and_b32_e32 v23, 0x80000000, v23
	v_lshl_add_u32 v22, v22, 23, v24
	v_or3_b32 v22, v23, v22, v21
.LBB30_784:
	s_or_b64 exec, exec, s[6:7]
	s_nop 0
	v_mfma_f32_16x16x4f32 a[0:3], v20, v22, a[0:3]
	s_movk_i32 s4, 0xff
	v_and_b32_sdwa v21, v14, s4 dst_sel:DWORD dst_unused:UNUSED_PAD src0_sel:WORD_1 src1_sel:DWORD
	s_movk_i32 s4, 0x7f
	v_cmp_lt_i16_e32 vcc, s4, v21
	s_mov_b64 s[4:5], 0
                                        ; implicit-def: $sgpr10
	s_and_saveexec_b64 s[6:7], vcc
	s_xor_b64 s[6:7], exec, s[6:7]
	s_cbranch_execnz .LBB30_2833
; %bb.785:
	s_or_saveexec_b64 s[6:7], s[6:7]
	v_mov_b32_e32 v20, s10
	s_xor_b64 exec, exec, s[6:7]
	s_cbranch_execnz .LBB30_2836
.LBB30_786:
	s_or_b64 exec, exec, s[6:7]
	s_and_saveexec_b64 s[6:7], s[4:5]
	s_cbranch_execz .LBB30_788
.LBB30_787:
	v_bfe_u32 v20, v14, 16, 3
	v_ffbh_u32_e32 v23, v20
	v_min_u32_e32 v23, 32, v23
	v_lshrrev_b32_e32 v21, 19, v14
	v_subrev_u32_e32 v24, 28, v23
	v_and_b32_e32 v21, 15, v21
	v_lshlrev_b32_sdwa v24, v24, v14 dst_sel:DWORD dst_unused:UNUSED_PAD src0_sel:DWORD src1_sel:WORD_1
	v_bfe_u32 v22, v14, 19, 4
	v_sub_u32_e32 v23, 29, v23
	v_and_b32_e32 v24, 7, v24
	v_cmp_eq_u16_e32 vcc, 0, v21
	v_cndmask_b32_e32 v20, v20, v24, vcc
	v_cndmask_b32_e32 v21, v22, v23, vcc
	v_lshlrev_b32_e32 v22, 8, v14
	v_mov_b32_e32 v23, 0x3b800000
	v_lshlrev_b32_e32 v20, 20, v20
	v_and_b32_e32 v22, 0x80000000, v22
	v_lshl_add_u32 v21, v21, 23, v23
	v_or3_b32 v20, v22, v21, v20
.LBB30_788:
	s_or_b64 exec, exec, s[6:7]
	s_movk_i32 s4, 0xff
	v_and_b32_sdwa v21, v10, s4 dst_sel:DWORD dst_unused:UNUSED_PAD src0_sel:WORD_1 src1_sel:DWORD
	s_movk_i32 s4, 0x7f
	v_cmp_lt_i16_e32 vcc, s4, v21
	s_mov_b64 s[4:5], 0
                                        ; implicit-def: $sgpr10
	s_and_saveexec_b64 s[6:7], vcc
	s_xor_b64 s[6:7], exec, s[6:7]
	s_cbranch_execnz .LBB30_2837
; %bb.789:
	s_or_saveexec_b64 s[6:7], s[6:7]
	v_mov_b32_e32 v22, s10
	s_xor_b64 exec, exec, s[6:7]
	s_cbranch_execnz .LBB30_2840
.LBB30_790:
	s_or_b64 exec, exec, s[6:7]
	s_and_saveexec_b64 s[6:7], s[4:5]
	s_cbranch_execz .LBB30_792
.LBB30_791:
	v_bfe_u32 v21, v10, 16, 3
	v_ffbh_u32_e32 v24, v21
	v_min_u32_e32 v24, 32, v24
	v_lshrrev_b32_e32 v22, 19, v10
	v_subrev_u32_e32 v25, 28, v24
	v_and_b32_e32 v22, 15, v22
	v_lshlrev_b32_sdwa v25, v25, v10 dst_sel:DWORD dst_unused:UNUSED_PAD src0_sel:DWORD src1_sel:WORD_1
	v_bfe_u32 v23, v10, 19, 4
	v_sub_u32_e32 v24, 29, v24
	v_and_b32_e32 v25, 7, v25
	v_cmp_eq_u16_e32 vcc, 0, v22
	v_cndmask_b32_e32 v21, v21, v25, vcc
	v_cndmask_b32_e32 v22, v23, v24, vcc
	v_lshlrev_b32_e32 v23, 8, v10
	v_mov_b32_e32 v24, 0x3b800000
	v_lshlrev_b32_e32 v21, 20, v21
	v_and_b32_e32 v23, 0x80000000, v23
	v_lshl_add_u32 v22, v22, 23, v24
	v_or3_b32 v22, v23, v22, v21
.LBB30_792:
	s_or_b64 exec, exec, s[6:7]
	s_nop 0
	v_mfma_f32_16x16x4f32 a[0:3], v20, v22, a[0:3]
	s_movk_i32 s4, 0x7f
	v_cmp_gt_i16_sdwa s[6:7], v14, s4 src0_sel:BYTE_3 src1_sel:DWORD
	s_mov_b64 s[4:5], 0
                                        ; implicit-def: $sgpr10
	s_and_saveexec_b64 s[8:9], s[6:7]
	s_xor_b64 s[6:7], exec, s[8:9]
	s_cbranch_execnz .LBB30_2841
; %bb.793:
	s_or_saveexec_b64 s[6:7], s[6:7]
	v_mov_b32_e32 v20, s10
	s_xor_b64 exec, exec, s[6:7]
	s_cbranch_execnz .LBB30_2844
.LBB30_794:
	s_or_b64 exec, exec, s[6:7]
	s_and_saveexec_b64 s[6:7], s[4:5]
	s_cbranch_execz .LBB30_796
.LBB30_795:
	v_bfe_u32 v20, v14, 24, 3
	v_ffbh_u32_e32 v24, v20
	v_min_u32_e32 v24, 32, v24
	v_lshrrev_b32_e32 v22, 27, v14
	v_subrev_u32_e32 v25, 28, v24
	v_and_b32_e32 v21, 0x80000000, v14
	v_and_b32_e32 v22, 15, v22
	v_bfe_u32 v23, v14, 27, 4
	v_lshlrev_b32_sdwa v14, v25, v14 dst_sel:DWORD dst_unused:UNUSED_PAD src0_sel:DWORD src1_sel:BYTE_3
	v_sub_u32_e32 v24, 29, v24
	v_and_b32_e32 v14, 7, v14
	v_cmp_eq_u16_e32 vcc, 0, v22
	v_cndmask_b32_e32 v14, v20, v14, vcc
	v_cndmask_b32_e32 v20, v23, v24, vcc
	v_mov_b32_e32 v22, 0x3b800000
	v_lshlrev_b32_e32 v14, 20, v14
	v_lshl_add_u32 v20, v20, 23, v22
	v_or3_b32 v20, v21, v20, v14
.LBB30_796:
	s_or_b64 exec, exec, s[6:7]
	s_movk_i32 s4, 0x7f
	v_cmp_gt_i16_sdwa s[6:7], v10, s4 src0_sel:BYTE_3 src1_sel:DWORD
	s_mov_b64 s[4:5], 0
                                        ; implicit-def: $sgpr10
	s_and_saveexec_b64 s[8:9], s[6:7]
	s_xor_b64 s[6:7], exec, s[8:9]
	s_cbranch_execnz .LBB30_2845
; %bb.797:
	s_or_saveexec_b64 s[6:7], s[6:7]
	v_mov_b32_e32 v14, s10
	s_xor_b64 exec, exec, s[6:7]
	s_cbranch_execnz .LBB30_2848
.LBB30_798:
	s_or_b64 exec, exec, s[6:7]
	s_and_saveexec_b64 s[6:7], s[4:5]
	s_cbranch_execz .LBB30_800
.LBB30_799:
	v_bfe_u32 v14, v10, 24, 3
	v_ffbh_u32_e32 v24, v14
	v_min_u32_e32 v24, 32, v24
	v_lshrrev_b32_e32 v22, 27, v10
	v_subrev_u32_e32 v25, 28, v24
	v_and_b32_e32 v21, 0x80000000, v10
	v_and_b32_e32 v22, 15, v22
	v_bfe_u32 v23, v10, 27, 4
	v_lshlrev_b32_sdwa v10, v25, v10 dst_sel:DWORD dst_unused:UNUSED_PAD src0_sel:DWORD src1_sel:BYTE_3
	v_sub_u32_e32 v24, 29, v24
	v_and_b32_e32 v10, 7, v10
	v_cmp_eq_u16_e32 vcc, 0, v22
	v_cndmask_b32_e32 v10, v14, v10, vcc
	v_cndmask_b32_e32 v14, v23, v24, vcc
	v_mov_b32_e32 v22, 0x3b800000
	v_lshlrev_b32_e32 v10, 20, v10
	v_lshl_add_u32 v14, v14, 23, v22
	v_or3_b32 v14, v21, v14, v10
.LBB30_800:
	s_or_b64 exec, exec, s[6:7]
	s_nop 0
	v_mfma_f32_16x16x4f32 a[0:3], v20, v14, a[0:3]
	s_movk_i32 s4, 0x7f
	v_cmp_gt_i16_sdwa s[6:7], v15, s4 src0_sel:BYTE_0 src1_sel:DWORD
	s_mov_b64 s[4:5], 0
                                        ; implicit-def: $sgpr10
	s_and_saveexec_b64 s[8:9], s[6:7]
	s_xor_b64 s[6:7], exec, s[8:9]
	s_cbranch_execnz .LBB30_2849
; %bb.801:
	s_or_saveexec_b64 s[6:7], s[6:7]
	v_mov_b32_e32 v10, s10
	s_xor_b64 exec, exec, s[6:7]
	s_cbranch_execnz .LBB30_2852
.LBB30_802:
	s_or_b64 exec, exec, s[6:7]
	s_and_saveexec_b64 s[6:7], s[4:5]
	s_cbranch_execz .LBB30_804
.LBB30_803:
	v_and_b32_e32 v10, 7, v15
	v_ffbh_u32_e32 v20, v10
	v_min_u32_e32 v20, 32, v20
	v_lshrrev_b16_e32 v14, 3, v15
	v_subrev_u32_e32 v21, 28, v20
	v_and_b32_e32 v14, 15, v14
	v_lshlrev_b32_e32 v21, v21, v15
	v_sub_u32_e32 v20, 29, v20
	v_and_b32_e32 v21, 7, v21
	v_cmp_eq_u16_e32 vcc, 0, v14
	v_cndmask_b32_e32 v10, v10, v21, vcc
	v_cndmask_b32_e32 v14, v14, v20, vcc
	v_lshlrev_b32_e32 v20, 24, v15
	v_mov_b32_e32 v21, 0x3b800000
	v_lshlrev_b32_e32 v10, 20, v10
	v_and_b32_e32 v20, 0x80000000, v20
	v_lshl_add_u32 v14, v14, 23, v21
	v_or3_b32 v10, v20, v14, v10
.LBB30_804:
	s_or_b64 exec, exec, s[6:7]
	s_movk_i32 s4, 0x7f
	v_cmp_gt_i16_sdwa s[6:7], v11, s4 src0_sel:BYTE_0 src1_sel:DWORD
	s_mov_b64 s[4:5], 0
                                        ; implicit-def: $sgpr10
	s_and_saveexec_b64 s[8:9], s[6:7]
	s_xor_b64 s[6:7], exec, s[8:9]
	s_cbranch_execnz .LBB30_2853
; %bb.805:
	s_or_saveexec_b64 s[6:7], s[6:7]
	v_mov_b32_e32 v14, s10
	s_xor_b64 exec, exec, s[6:7]
	s_cbranch_execnz .LBB30_2856
.LBB30_806:
	s_or_b64 exec, exec, s[6:7]
	s_and_saveexec_b64 s[6:7], s[4:5]
	s_cbranch_execz .LBB30_808
.LBB30_807:
	v_and_b32_e32 v14, 7, v11
	v_ffbh_u32_e32 v21, v14
	v_min_u32_e32 v21, 32, v21
	v_lshrrev_b16_e32 v20, 3, v11
	v_subrev_u32_e32 v22, 28, v21
	v_and_b32_e32 v20, 15, v20
	v_lshlrev_b32_e32 v22, v22, v11
	v_sub_u32_e32 v21, 29, v21
	v_and_b32_e32 v22, 7, v22
	v_cmp_eq_u16_e32 vcc, 0, v20
	v_cndmask_b32_e32 v14, v14, v22, vcc
	v_cndmask_b32_e32 v20, v20, v21, vcc
	v_lshlrev_b32_e32 v21, 24, v11
	v_mov_b32_e32 v22, 0x3b800000
	v_lshlrev_b32_e32 v14, 20, v14
	v_and_b32_e32 v21, 0x80000000, v21
	v_lshl_add_u32 v20, v20, 23, v22
	v_or3_b32 v14, v21, v20, v14
.LBB30_808:
	s_or_b64 exec, exec, s[6:7]
	s_nop 0
	v_mfma_f32_16x16x4f32 a[0:3], v10, v14, a[0:3]
	v_lshrrev_b32_e32 v14, 8, v15
	s_movk_i32 s4, 0x7f
	v_cmp_gt_i16_sdwa s[6:7], v14, s4 src0_sel:BYTE_0 src1_sel:DWORD
	s_mov_b64 s[4:5], 0
                                        ; implicit-def: $sgpr10
	s_and_saveexec_b64 s[8:9], s[6:7]
	s_xor_b64 s[6:7], exec, s[8:9]
	s_cbranch_execnz .LBB30_2857
; %bb.809:
	s_or_saveexec_b64 s[6:7], s[6:7]
	v_mov_b32_e32 v10, s10
	s_xor_b64 exec, exec, s[6:7]
	s_cbranch_execnz .LBB30_2860
.LBB30_810:
	s_or_b64 exec, exec, s[6:7]
	s_and_saveexec_b64 s[6:7], s[4:5]
	s_cbranch_execz .LBB30_812
.LBB30_811:
	v_bfe_u32 v10, v15, 8, 3
	v_ffbh_u32_e32 v21, v10
	v_min_u32_e32 v21, 32, v21
	v_lshrrev_b16_e32 v20, 3, v14
	v_subrev_u32_e32 v22, 28, v21
	v_and_b32_e32 v20, 15, v20
	v_lshlrev_b32_e32 v14, v22, v14
	v_sub_u32_e32 v21, 29, v21
	v_and_b32_e32 v14, 7, v14
	v_cmp_eq_u16_e32 vcc, 0, v20
	v_cndmask_b32_e32 v10, v10, v14, vcc
	v_cndmask_b32_e32 v14, v20, v21, vcc
	v_lshlrev_b32_e32 v20, 16, v15
	v_mov_b32_e32 v21, 0x3b800000
	v_lshlrev_b32_e32 v10, 20, v10
	v_and_b32_e32 v20, 0x80000000, v20
	v_lshl_add_u32 v14, v14, 23, v21
	v_or3_b32 v10, v20, v14, v10
.LBB30_812:
	s_or_b64 exec, exec, s[6:7]
	v_lshrrev_b32_e32 v14, 8, v11
	s_movk_i32 s4, 0x7f
	v_cmp_gt_i16_sdwa s[6:7], v14, s4 src0_sel:BYTE_0 src1_sel:DWORD
	s_mov_b64 s[4:5], 0
                                        ; implicit-def: $sgpr10
	s_and_saveexec_b64 s[8:9], s[6:7]
	s_xor_b64 s[6:7], exec, s[8:9]
	s_cbranch_execnz .LBB30_2861
; %bb.813:
	s_or_saveexec_b64 s[6:7], s[6:7]
	v_mov_b32_e32 v20, s10
	s_xor_b64 exec, exec, s[6:7]
	s_cbranch_execnz .LBB30_2864
.LBB30_814:
	s_or_b64 exec, exec, s[6:7]
	s_and_saveexec_b64 s[6:7], s[4:5]
	s_cbranch_execz .LBB30_816
.LBB30_815:
	v_bfe_u32 v20, v11, 8, 3
	v_ffbh_u32_e32 v22, v20
	v_min_u32_e32 v22, 32, v22
	v_lshrrev_b16_e32 v21, 3, v14
	v_subrev_u32_e32 v23, 28, v22
	v_and_b32_e32 v21, 15, v21
	v_lshlrev_b32_e32 v14, v23, v14
	v_sub_u32_e32 v22, 29, v22
	v_and_b32_e32 v14, 7, v14
	v_cmp_eq_u16_e32 vcc, 0, v21
	v_cndmask_b32_e32 v14, v20, v14, vcc
	v_cndmask_b32_e32 v20, v21, v22, vcc
	v_lshlrev_b32_e32 v21, 16, v11
	v_mov_b32_e32 v22, 0x3b800000
	v_lshlrev_b32_e32 v14, 20, v14
	v_and_b32_e32 v21, 0x80000000, v21
	v_lshl_add_u32 v20, v20, 23, v22
	v_or3_b32 v20, v21, v20, v14
.LBB30_816:
	s_or_b64 exec, exec, s[6:7]
	s_nop 0
	v_mfma_f32_16x16x4f32 a[0:3], v10, v20, a[0:3]
	s_movk_i32 s4, 0xff
	v_and_b32_sdwa v14, v15, s4 dst_sel:DWORD dst_unused:UNUSED_PAD src0_sel:WORD_1 src1_sel:DWORD
	s_movk_i32 s4, 0x7f
	v_cmp_lt_i16_e32 vcc, s4, v14
	s_mov_b64 s[4:5], 0
                                        ; implicit-def: $sgpr10
	s_and_saveexec_b64 s[6:7], vcc
	s_xor_b64 s[6:7], exec, s[6:7]
	s_cbranch_execnz .LBB30_2865
; %bb.817:
	s_or_saveexec_b64 s[6:7], s[6:7]
	v_mov_b32_e32 v10, s10
	s_xor_b64 exec, exec, s[6:7]
	s_cbranch_execnz .LBB30_2868
.LBB30_818:
	s_or_b64 exec, exec, s[6:7]
	s_and_saveexec_b64 s[6:7], s[4:5]
	s_cbranch_execz .LBB30_820
.LBB30_819:
	v_bfe_u32 v10, v15, 16, 3
	v_ffbh_u32_e32 v21, v10
	v_min_u32_e32 v21, 32, v21
	v_lshrrev_b32_e32 v14, 19, v15
	v_subrev_u32_e32 v22, 28, v21
	v_and_b32_e32 v14, 15, v14
	v_lshlrev_b32_sdwa v22, v22, v15 dst_sel:DWORD dst_unused:UNUSED_PAD src0_sel:DWORD src1_sel:WORD_1
	v_bfe_u32 v20, v15, 19, 4
	v_sub_u32_e32 v21, 29, v21
	v_and_b32_e32 v22, 7, v22
	v_cmp_eq_u16_e32 vcc, 0, v14
	v_cndmask_b32_e32 v10, v10, v22, vcc
	v_cndmask_b32_e32 v14, v20, v21, vcc
	v_lshlrev_b32_e32 v20, 8, v15
	v_mov_b32_e32 v21, 0x3b800000
	v_lshlrev_b32_e32 v10, 20, v10
	v_and_b32_e32 v20, 0x80000000, v20
	v_lshl_add_u32 v14, v14, 23, v21
	v_or3_b32 v10, v20, v14, v10
.LBB30_820:
	s_or_b64 exec, exec, s[6:7]
	s_movk_i32 s4, 0xff
	v_and_b32_sdwa v14, v11, s4 dst_sel:DWORD dst_unused:UNUSED_PAD src0_sel:WORD_1 src1_sel:DWORD
	s_movk_i32 s4, 0x7f
	v_cmp_lt_i16_e32 vcc, s4, v14
	s_mov_b64 s[4:5], 0
                                        ; implicit-def: $sgpr10
	s_and_saveexec_b64 s[6:7], vcc
	s_xor_b64 s[6:7], exec, s[6:7]
	s_cbranch_execnz .LBB30_2869
; %bb.821:
	s_or_saveexec_b64 s[6:7], s[6:7]
	v_mov_b32_e32 v20, s10
	s_xor_b64 exec, exec, s[6:7]
	s_cbranch_execnz .LBB30_2872
.LBB30_822:
	s_or_b64 exec, exec, s[6:7]
	s_and_saveexec_b64 s[6:7], s[4:5]
	s_cbranch_execz .LBB30_824
.LBB30_823:
	v_bfe_u32 v14, v11, 16, 3
	v_ffbh_u32_e32 v22, v14
	v_min_u32_e32 v22, 32, v22
	v_lshrrev_b32_e32 v20, 19, v11
	v_subrev_u32_e32 v23, 28, v22
	v_and_b32_e32 v20, 15, v20
	v_lshlrev_b32_sdwa v23, v23, v11 dst_sel:DWORD dst_unused:UNUSED_PAD src0_sel:DWORD src1_sel:WORD_1
	v_bfe_u32 v21, v11, 19, 4
	v_sub_u32_e32 v22, 29, v22
	v_and_b32_e32 v23, 7, v23
	v_cmp_eq_u16_e32 vcc, 0, v20
	v_cndmask_b32_e32 v14, v14, v23, vcc
	v_cndmask_b32_e32 v20, v21, v22, vcc
	v_lshlrev_b32_e32 v21, 8, v11
	v_mov_b32_e32 v22, 0x3b800000
	v_lshlrev_b32_e32 v14, 20, v14
	v_and_b32_e32 v21, 0x80000000, v21
	v_lshl_add_u32 v20, v20, 23, v22
	v_or3_b32 v20, v21, v20, v14
.LBB30_824:
	s_or_b64 exec, exec, s[6:7]
	s_nop 0
	v_mfma_f32_16x16x4f32 a[0:3], v10, v20, a[0:3]
	s_movk_i32 s4, 0x7f
	v_cmp_gt_i16_sdwa s[6:7], v15, s4 src0_sel:BYTE_3 src1_sel:DWORD
	s_mov_b64 s[4:5], 0
                                        ; implicit-def: $sgpr10
	s_and_saveexec_b64 s[8:9], s[6:7]
	s_xor_b64 s[6:7], exec, s[8:9]
	s_cbranch_execnz .LBB30_2873
; %bb.825:
	s_or_saveexec_b64 s[6:7], s[6:7]
	v_mov_b32_e32 v10, s10
	s_xor_b64 exec, exec, s[6:7]
	s_cbranch_execnz .LBB30_2876
.LBB30_826:
	s_or_b64 exec, exec, s[6:7]
	s_and_saveexec_b64 s[6:7], s[4:5]
	s_cbranch_execz .LBB30_828
.LBB30_827:
	v_bfe_u32 v10, v15, 24, 3
	v_ffbh_u32_e32 v22, v10
	v_min_u32_e32 v22, 32, v22
	v_lshrrev_b32_e32 v20, 27, v15
	v_subrev_u32_e32 v23, 28, v22
	v_and_b32_e32 v14, 0x80000000, v15
	v_and_b32_e32 v20, 15, v20
	v_bfe_u32 v21, v15, 27, 4
	v_lshlrev_b32_sdwa v15, v23, v15 dst_sel:DWORD dst_unused:UNUSED_PAD src0_sel:DWORD src1_sel:BYTE_3
	v_sub_u32_e32 v22, 29, v22
	v_and_b32_e32 v15, 7, v15
	v_cmp_eq_u16_e32 vcc, 0, v20
	v_cndmask_b32_e32 v10, v10, v15, vcc
	v_cndmask_b32_e32 v15, v21, v22, vcc
	v_mov_b32_e32 v20, 0x3b800000
	v_lshlrev_b32_e32 v10, 20, v10
	v_lshl_add_u32 v15, v15, 23, v20
	v_or3_b32 v10, v14, v15, v10
.LBB30_828:
	s_or_b64 exec, exec, s[6:7]
	s_movk_i32 s4, 0x7f
	v_cmp_gt_i16_sdwa s[6:7], v11, s4 src0_sel:BYTE_3 src1_sel:DWORD
	s_mov_b64 s[4:5], 0
                                        ; implicit-def: $sgpr10
	s_and_saveexec_b64 s[8:9], s[6:7]
	s_xor_b64 s[6:7], exec, s[8:9]
	s_cbranch_execnz .LBB30_2877
; %bb.829:
	s_or_saveexec_b64 s[6:7], s[6:7]
	v_mov_b32_e32 v14, s10
	s_xor_b64 exec, exec, s[6:7]
	s_cbranch_execnz .LBB30_2880
.LBB30_830:
	s_or_b64 exec, exec, s[6:7]
	s_and_saveexec_b64 s[6:7], s[4:5]
	s_cbranch_execz .LBB30_832
.LBB30_831:
	v_bfe_u32 v14, v11, 24, 3
	v_ffbh_u32_e32 v22, v14
	v_min_u32_e32 v22, 32, v22
	v_lshrrev_b32_e32 v20, 27, v11
	v_subrev_u32_e32 v23, 28, v22
	v_and_b32_e32 v15, 0x80000000, v11
	v_and_b32_e32 v20, 15, v20
	v_bfe_u32 v21, v11, 27, 4
	v_lshlrev_b32_sdwa v11, v23, v11 dst_sel:DWORD dst_unused:UNUSED_PAD src0_sel:DWORD src1_sel:BYTE_3
	v_sub_u32_e32 v22, 29, v22
	v_and_b32_e32 v11, 7, v11
	v_cmp_eq_u16_e32 vcc, 0, v20
	v_cndmask_b32_e32 v11, v14, v11, vcc
	v_cndmask_b32_e32 v14, v21, v22, vcc
	v_mov_b32_e32 v20, 0x3b800000
	v_lshlrev_b32_e32 v11, 20, v11
	v_lshl_add_u32 v14, v14, 23, v20
	v_or3_b32 v14, v15, v14, v11
.LBB30_832:
	s_or_b64 exec, exec, s[6:7]
	s_nop 0
	v_mfma_f32_16x16x4f32 a[0:3], v10, v14, a[0:3]
	s_movk_i32 s4, 0x7f
	v_cmp_gt_i16_sdwa s[6:7], v16, s4 src0_sel:BYTE_0 src1_sel:DWORD
	s_mov_b64 s[4:5], 0
                                        ; implicit-def: $sgpr10
	s_and_saveexec_b64 s[8:9], s[6:7]
	s_xor_b64 s[6:7], exec, s[8:9]
	s_cbranch_execnz .LBB30_2881
; %bb.833:
	s_or_saveexec_b64 s[6:7], s[6:7]
	v_mov_b32_e32 v10, s10
	s_xor_b64 exec, exec, s[6:7]
	s_cbranch_execnz .LBB30_2884
.LBB30_834:
	s_or_b64 exec, exec, s[6:7]
	s_and_saveexec_b64 s[6:7], s[4:5]
	s_cbranch_execz .LBB30_836
.LBB30_835:
	v_and_b32_e32 v10, 7, v16
	v_ffbh_u32_e32 v14, v10
	v_min_u32_e32 v14, 32, v14
	v_lshrrev_b16_e32 v11, 3, v16
	v_subrev_u32_e32 v15, 28, v14
	v_and_b32_e32 v11, 15, v11
	v_lshlrev_b32_e32 v15, v15, v16
	v_sub_u32_e32 v14, 29, v14
	v_and_b32_e32 v15, 7, v15
	v_cmp_eq_u16_e32 vcc, 0, v11
	v_cndmask_b32_e32 v10, v10, v15, vcc
	v_cndmask_b32_e32 v11, v11, v14, vcc
	v_lshlrev_b32_e32 v14, 24, v16
	v_mov_b32_e32 v15, 0x3b800000
	v_lshlrev_b32_e32 v10, 20, v10
	v_and_b32_e32 v14, 0x80000000, v14
	v_lshl_add_u32 v11, v11, 23, v15
	v_or3_b32 v10, v14, v11, v10
.LBB30_836:
	s_or_b64 exec, exec, s[6:7]
	s_movk_i32 s4, 0x7f
	v_cmp_gt_i16_sdwa s[6:7], v12, s4 src0_sel:BYTE_0 src1_sel:DWORD
	s_mov_b64 s[4:5], 0
                                        ; implicit-def: $sgpr10
	s_and_saveexec_b64 s[8:9], s[6:7]
	s_xor_b64 s[6:7], exec, s[8:9]
	s_cbranch_execnz .LBB30_2885
; %bb.837:
	s_or_saveexec_b64 s[6:7], s[6:7]
	v_mov_b32_e32 v11, s10
	s_xor_b64 exec, exec, s[6:7]
	s_cbranch_execnz .LBB30_2888
.LBB30_838:
	s_or_b64 exec, exec, s[6:7]
	s_and_saveexec_b64 s[6:7], s[4:5]
	s_cbranch_execz .LBB30_840
.LBB30_839:
	v_and_b32_e32 v11, 7, v12
	v_ffbh_u32_e32 v15, v11
	v_min_u32_e32 v15, 32, v15
	v_lshrrev_b16_e32 v14, 3, v12
	v_subrev_u32_e32 v20, 28, v15
	v_and_b32_e32 v14, 15, v14
	v_lshlrev_b32_e32 v20, v20, v12
	v_sub_u32_e32 v15, 29, v15
	v_and_b32_e32 v20, 7, v20
	v_cmp_eq_u16_e32 vcc, 0, v14
	v_cndmask_b32_e32 v11, v11, v20, vcc
	v_cndmask_b32_e32 v14, v14, v15, vcc
	v_lshlrev_b32_e32 v15, 24, v12
	v_mov_b32_e32 v20, 0x3b800000
	v_lshlrev_b32_e32 v11, 20, v11
	v_and_b32_e32 v15, 0x80000000, v15
	v_lshl_add_u32 v14, v14, 23, v20
	v_or3_b32 v11, v15, v14, v11
.LBB30_840:
	s_or_b64 exec, exec, s[6:7]
	s_nop 0
	v_mfma_f32_16x16x4f32 a[0:3], v10, v11, a[0:3]
	v_lshrrev_b32_e32 v11, 8, v16
	s_movk_i32 s4, 0x7f
	v_cmp_gt_i16_sdwa s[6:7], v11, s4 src0_sel:BYTE_0 src1_sel:DWORD
	s_mov_b64 s[4:5], 0
                                        ; implicit-def: $sgpr10
	s_and_saveexec_b64 s[8:9], s[6:7]
	s_xor_b64 s[6:7], exec, s[8:9]
	s_cbranch_execnz .LBB30_2889
; %bb.841:
	s_or_saveexec_b64 s[6:7], s[6:7]
	v_mov_b32_e32 v10, s10
	s_xor_b64 exec, exec, s[6:7]
	s_cbranch_execnz .LBB30_2892
.LBB30_842:
	s_or_b64 exec, exec, s[6:7]
	s_and_saveexec_b64 s[6:7], s[4:5]
	s_cbranch_execz .LBB30_844
.LBB30_843:
	v_bfe_u32 v10, v16, 8, 3
	v_ffbh_u32_e32 v15, v10
	v_min_u32_e32 v15, 32, v15
	v_lshrrev_b16_e32 v14, 3, v11
	v_subrev_u32_e32 v20, 28, v15
	v_and_b32_e32 v14, 15, v14
	v_lshlrev_b32_e32 v11, v20, v11
	v_sub_u32_e32 v15, 29, v15
	v_and_b32_e32 v11, 7, v11
	v_cmp_eq_u16_e32 vcc, 0, v14
	v_cndmask_b32_e32 v10, v10, v11, vcc
	v_cndmask_b32_e32 v11, v14, v15, vcc
	v_lshlrev_b32_e32 v14, 16, v16
	v_mov_b32_e32 v15, 0x3b800000
	v_lshlrev_b32_e32 v10, 20, v10
	v_and_b32_e32 v14, 0x80000000, v14
	v_lshl_add_u32 v11, v11, 23, v15
	v_or3_b32 v10, v14, v11, v10
.LBB30_844:
	s_or_b64 exec, exec, s[6:7]
	v_lshrrev_b32_e32 v11, 8, v12
	s_movk_i32 s4, 0x7f
	v_cmp_gt_i16_sdwa s[6:7], v11, s4 src0_sel:BYTE_0 src1_sel:DWORD
	s_mov_b64 s[4:5], 0
                                        ; implicit-def: $sgpr10
	s_and_saveexec_b64 s[8:9], s[6:7]
	s_xor_b64 s[6:7], exec, s[8:9]
	s_cbranch_execnz .LBB30_2893
; %bb.845:
	s_or_saveexec_b64 s[6:7], s[6:7]
	v_mov_b32_e32 v14, s10
	s_xor_b64 exec, exec, s[6:7]
	s_cbranch_execnz .LBB30_2896
.LBB30_846:
	s_or_b64 exec, exec, s[6:7]
	s_and_saveexec_b64 s[6:7], s[4:5]
	s_cbranch_execz .LBB30_848
.LBB30_847:
	v_bfe_u32 v14, v12, 8, 3
	v_ffbh_u32_e32 v20, v14
	v_min_u32_e32 v20, 32, v20
	v_lshrrev_b16_e32 v15, 3, v11
	v_subrev_u32_e32 v21, 28, v20
	v_and_b32_e32 v15, 15, v15
	v_lshlrev_b32_e32 v11, v21, v11
	v_sub_u32_e32 v20, 29, v20
	v_and_b32_e32 v11, 7, v11
	v_cmp_eq_u16_e32 vcc, 0, v15
	v_cndmask_b32_e32 v11, v14, v11, vcc
	v_cndmask_b32_e32 v14, v15, v20, vcc
	v_lshlrev_b32_e32 v15, 16, v12
	v_mov_b32_e32 v20, 0x3b800000
	v_lshlrev_b32_e32 v11, 20, v11
	v_and_b32_e32 v15, 0x80000000, v15
	v_lshl_add_u32 v14, v14, 23, v20
	v_or3_b32 v14, v15, v14, v11
.LBB30_848:
	s_or_b64 exec, exec, s[6:7]
	s_nop 0
	v_mfma_f32_16x16x4f32 a[0:3], v10, v14, a[0:3]
	s_movk_i32 s4, 0xff
	v_and_b32_sdwa v11, v16, s4 dst_sel:DWORD dst_unused:UNUSED_PAD src0_sel:WORD_1 src1_sel:DWORD
	s_movk_i32 s4, 0x7f
	v_cmp_lt_i16_e32 vcc, s4, v11
	s_mov_b64 s[4:5], 0
                                        ; implicit-def: $sgpr10
	s_and_saveexec_b64 s[6:7], vcc
	s_xor_b64 s[6:7], exec, s[6:7]
	s_cbranch_execnz .LBB30_2897
; %bb.849:
	s_or_saveexec_b64 s[6:7], s[6:7]
	v_mov_b32_e32 v10, s10
	s_xor_b64 exec, exec, s[6:7]
	s_cbranch_execnz .LBB30_2900
.LBB30_850:
	s_or_b64 exec, exec, s[6:7]
	s_and_saveexec_b64 s[6:7], s[4:5]
	s_cbranch_execz .LBB30_852
.LBB30_851:
	v_bfe_u32 v10, v16, 16, 3
	v_ffbh_u32_e32 v15, v10
	v_min_u32_e32 v15, 32, v15
	v_lshrrev_b32_e32 v11, 19, v16
	v_subrev_u32_e32 v20, 28, v15
	v_and_b32_e32 v11, 15, v11
	v_lshlrev_b32_sdwa v20, v20, v16 dst_sel:DWORD dst_unused:UNUSED_PAD src0_sel:DWORD src1_sel:WORD_1
	v_bfe_u32 v14, v16, 19, 4
	v_sub_u32_e32 v15, 29, v15
	v_and_b32_e32 v20, 7, v20
	v_cmp_eq_u16_e32 vcc, 0, v11
	v_cndmask_b32_e32 v10, v10, v20, vcc
	v_cndmask_b32_e32 v11, v14, v15, vcc
	v_lshlrev_b32_e32 v14, 8, v16
	v_mov_b32_e32 v15, 0x3b800000
	v_lshlrev_b32_e32 v10, 20, v10
	v_and_b32_e32 v14, 0x80000000, v14
	v_lshl_add_u32 v11, v11, 23, v15
	v_or3_b32 v10, v14, v11, v10
.LBB30_852:
	s_or_b64 exec, exec, s[6:7]
	s_movk_i32 s4, 0xff
	v_and_b32_sdwa v11, v12, s4 dst_sel:DWORD dst_unused:UNUSED_PAD src0_sel:WORD_1 src1_sel:DWORD
	s_movk_i32 s4, 0x7f
	v_cmp_lt_i16_e32 vcc, s4, v11
	s_mov_b64 s[4:5], 0
                                        ; implicit-def: $sgpr10
	s_and_saveexec_b64 s[6:7], vcc
	s_xor_b64 s[6:7], exec, s[6:7]
	s_cbranch_execnz .LBB30_2901
; %bb.853:
	s_or_saveexec_b64 s[6:7], s[6:7]
	v_mov_b32_e32 v14, s10
	s_xor_b64 exec, exec, s[6:7]
	s_cbranch_execnz .LBB30_2904
.LBB30_854:
	s_or_b64 exec, exec, s[6:7]
	s_and_saveexec_b64 s[6:7], s[4:5]
	s_cbranch_execz .LBB30_856
.LBB30_855:
	v_bfe_u32 v11, v12, 16, 3
	v_ffbh_u32_e32 v20, v11
	v_min_u32_e32 v20, 32, v20
	v_lshrrev_b32_e32 v14, 19, v12
	v_subrev_u32_e32 v21, 28, v20
	v_and_b32_e32 v14, 15, v14
	v_lshlrev_b32_sdwa v21, v21, v12 dst_sel:DWORD dst_unused:UNUSED_PAD src0_sel:DWORD src1_sel:WORD_1
	v_bfe_u32 v15, v12, 19, 4
	v_sub_u32_e32 v20, 29, v20
	v_and_b32_e32 v21, 7, v21
	v_cmp_eq_u16_e32 vcc, 0, v14
	v_cndmask_b32_e32 v11, v11, v21, vcc
	v_cndmask_b32_e32 v14, v15, v20, vcc
	v_lshlrev_b32_e32 v15, 8, v12
	v_mov_b32_e32 v20, 0x3b800000
	v_lshlrev_b32_e32 v11, 20, v11
	v_and_b32_e32 v15, 0x80000000, v15
	v_lshl_add_u32 v14, v14, 23, v20
	v_or3_b32 v14, v15, v14, v11
.LBB30_856:
	s_or_b64 exec, exec, s[6:7]
	s_nop 0
	v_mfma_f32_16x16x4f32 a[0:3], v10, v14, a[0:3]
	s_movk_i32 s4, 0x7f
	v_cmp_gt_i16_sdwa s[6:7], v16, s4 src0_sel:BYTE_3 src1_sel:DWORD
	s_mov_b64 s[4:5], 0
                                        ; implicit-def: $sgpr10
	s_and_saveexec_b64 s[8:9], s[6:7]
	s_xor_b64 s[6:7], exec, s[8:9]
	s_cbranch_execnz .LBB30_2905
; %bb.857:
	s_or_saveexec_b64 s[6:7], s[6:7]
	v_mov_b32_e32 v10, s10
	s_xor_b64 exec, exec, s[6:7]
	s_cbranch_execnz .LBB30_2908
.LBB30_858:
	s_or_b64 exec, exec, s[6:7]
	s_and_saveexec_b64 s[6:7], s[4:5]
	s_cbranch_execz .LBB30_860
.LBB30_859:
	v_bfe_u32 v10, v16, 24, 3
	v_ffbh_u32_e32 v20, v10
	v_min_u32_e32 v20, 32, v20
	v_lshrrev_b32_e32 v14, 27, v16
	v_subrev_u32_e32 v21, 28, v20
	v_and_b32_e32 v11, 0x80000000, v16
	v_and_b32_e32 v14, 15, v14
	v_bfe_u32 v15, v16, 27, 4
	v_lshlrev_b32_sdwa v16, v21, v16 dst_sel:DWORD dst_unused:UNUSED_PAD src0_sel:DWORD src1_sel:BYTE_3
	v_sub_u32_e32 v20, 29, v20
	v_and_b32_e32 v16, 7, v16
	v_cmp_eq_u16_e32 vcc, 0, v14
	v_cndmask_b32_e32 v10, v10, v16, vcc
	v_cndmask_b32_e32 v14, v15, v20, vcc
	v_mov_b32_e32 v15, 0x3b800000
	v_lshlrev_b32_e32 v10, 20, v10
	v_lshl_add_u32 v14, v14, 23, v15
	v_or3_b32 v10, v11, v14, v10
.LBB30_860:
	s_or_b64 exec, exec, s[6:7]
	s_movk_i32 s4, 0x7f
	v_cmp_gt_i16_sdwa s[6:7], v12, s4 src0_sel:BYTE_3 src1_sel:DWORD
	s_mov_b64 s[4:5], 0
                                        ; implicit-def: $sgpr10
	s_and_saveexec_b64 s[8:9], s[6:7]
	s_xor_b64 s[6:7], exec, s[8:9]
	s_cbranch_execnz .LBB30_2909
; %bb.861:
	s_or_saveexec_b64 s[6:7], s[6:7]
	v_mov_b32_e32 v11, s10
	s_xor_b64 exec, exec, s[6:7]
	s_cbranch_execnz .LBB30_2912
.LBB30_862:
	s_or_b64 exec, exec, s[6:7]
	s_and_saveexec_b64 s[6:7], s[4:5]
	s_cbranch_execz .LBB30_864
.LBB30_863:
	v_bfe_u32 v11, v12, 24, 3
	v_ffbh_u32_e32 v20, v11
	v_min_u32_e32 v20, 32, v20
	v_lshrrev_b32_e32 v15, 27, v12
	v_subrev_u32_e32 v21, 28, v20
	v_and_b32_e32 v14, 0x80000000, v12
	v_and_b32_e32 v15, 15, v15
	v_bfe_u32 v16, v12, 27, 4
	v_lshlrev_b32_sdwa v12, v21, v12 dst_sel:DWORD dst_unused:UNUSED_PAD src0_sel:DWORD src1_sel:BYTE_3
	v_sub_u32_e32 v20, 29, v20
	v_and_b32_e32 v12, 7, v12
	v_cmp_eq_u16_e32 vcc, 0, v15
	v_cndmask_b32_e32 v11, v11, v12, vcc
	v_cndmask_b32_e32 v12, v16, v20, vcc
	v_mov_b32_e32 v15, 0x3b800000
	v_lshlrev_b32_e32 v11, 20, v11
	v_lshl_add_u32 v12, v12, 23, v15
	v_or3_b32 v11, v14, v12, v11
.LBB30_864:
	s_or_b64 exec, exec, s[6:7]
	s_nop 0
	v_mfma_f32_16x16x4f32 a[0:3], v10, v11, a[0:3]
	s_movk_i32 s4, 0x7f
	v_cmp_gt_i16_sdwa s[6:7], v17, s4 src0_sel:BYTE_0 src1_sel:DWORD
	s_mov_b64 s[4:5], 0
                                        ; implicit-def: $sgpr10
	s_and_saveexec_b64 s[8:9], s[6:7]
	s_xor_b64 s[6:7], exec, s[8:9]
	s_cbranch_execnz .LBB30_2913
; %bb.865:
	s_or_saveexec_b64 s[6:7], s[6:7]
	v_mov_b32_e32 v10, s10
	s_xor_b64 exec, exec, s[6:7]
	s_cbranch_execnz .LBB30_2916
.LBB30_866:
	s_or_b64 exec, exec, s[6:7]
	s_and_saveexec_b64 s[6:7], s[4:5]
	s_cbranch_execz .LBB30_868
.LBB30_867:
	v_and_b32_e32 v10, 7, v17
	v_ffbh_u32_e32 v12, v10
	v_min_u32_e32 v12, 32, v12
	v_lshrrev_b16_e32 v11, 3, v17
	v_subrev_u32_e32 v14, 28, v12
	v_and_b32_e32 v11, 15, v11
	v_lshlrev_b32_e32 v14, v14, v17
	v_sub_u32_e32 v12, 29, v12
	v_and_b32_e32 v14, 7, v14
	v_cmp_eq_u16_e32 vcc, 0, v11
	v_cndmask_b32_e32 v10, v10, v14, vcc
	v_cndmask_b32_e32 v11, v11, v12, vcc
	v_lshlrev_b32_e32 v12, 24, v17
	v_mov_b32_e32 v14, 0x3b800000
	v_lshlrev_b32_e32 v10, 20, v10
	v_and_b32_e32 v12, 0x80000000, v12
	v_lshl_add_u32 v11, v11, 23, v14
	v_or3_b32 v10, v12, v11, v10
.LBB30_868:
	s_or_b64 exec, exec, s[6:7]
	s_movk_i32 s4, 0x7f
	v_cmp_gt_i16_sdwa s[6:7], v13, s4 src0_sel:BYTE_0 src1_sel:DWORD
	s_mov_b64 s[4:5], 0
                                        ; implicit-def: $sgpr10
	s_and_saveexec_b64 s[8:9], s[6:7]
	s_xor_b64 s[6:7], exec, s[8:9]
	s_cbranch_execnz .LBB30_2917
; %bb.869:
	s_or_saveexec_b64 s[6:7], s[6:7]
	v_mov_b32_e32 v11, s10
	s_xor_b64 exec, exec, s[6:7]
	s_cbranch_execnz .LBB30_2920
.LBB30_870:
	s_or_b64 exec, exec, s[6:7]
	s_and_saveexec_b64 s[6:7], s[4:5]
	s_cbranch_execz .LBB30_872
.LBB30_871:
	v_and_b32_e32 v11, 7, v13
	v_ffbh_u32_e32 v14, v11
	v_min_u32_e32 v14, 32, v14
	v_lshrrev_b16_e32 v12, 3, v13
	v_subrev_u32_e32 v15, 28, v14
	v_and_b32_e32 v12, 15, v12
	v_lshlrev_b32_e32 v15, v15, v13
	v_sub_u32_e32 v14, 29, v14
	v_and_b32_e32 v15, 7, v15
	v_cmp_eq_u16_e32 vcc, 0, v12
	v_cndmask_b32_e32 v11, v11, v15, vcc
	v_cndmask_b32_e32 v12, v12, v14, vcc
	v_lshlrev_b32_e32 v14, 24, v13
	v_mov_b32_e32 v15, 0x3b800000
	v_lshlrev_b32_e32 v11, 20, v11
	v_and_b32_e32 v14, 0x80000000, v14
	v_lshl_add_u32 v12, v12, 23, v15
	v_or3_b32 v11, v14, v12, v11
.LBB30_872:
	s_or_b64 exec, exec, s[6:7]
	s_nop 0
	v_mfma_f32_16x16x4f32 a[0:3], v10, v11, a[0:3]
	v_lshrrev_b32_e32 v11, 8, v17
	s_movk_i32 s4, 0x7f
	v_cmp_gt_i16_sdwa s[6:7], v11, s4 src0_sel:BYTE_0 src1_sel:DWORD
	s_mov_b64 s[4:5], 0
                                        ; implicit-def: $sgpr10
	s_and_saveexec_b64 s[8:9], s[6:7]
	s_xor_b64 s[6:7], exec, s[8:9]
	s_cbranch_execnz .LBB30_2921
; %bb.873:
	s_or_saveexec_b64 s[6:7], s[6:7]
	v_mov_b32_e32 v10, s10
	s_xor_b64 exec, exec, s[6:7]
	s_cbranch_execnz .LBB30_2924
.LBB30_874:
	s_or_b64 exec, exec, s[6:7]
	s_and_saveexec_b64 s[6:7], s[4:5]
	s_cbranch_execz .LBB30_876
.LBB30_875:
	v_bfe_u32 v10, v17, 8, 3
	v_ffbh_u32_e32 v14, v10
	v_min_u32_e32 v14, 32, v14
	v_lshrrev_b16_e32 v12, 3, v11
	v_subrev_u32_e32 v15, 28, v14
	v_and_b32_e32 v12, 15, v12
	v_lshlrev_b32_e32 v11, v15, v11
	v_sub_u32_e32 v14, 29, v14
	v_and_b32_e32 v11, 7, v11
	v_cmp_eq_u16_e32 vcc, 0, v12
	v_cndmask_b32_e32 v10, v10, v11, vcc
	v_cndmask_b32_e32 v11, v12, v14, vcc
	v_lshlrev_b32_e32 v12, 16, v17
	v_mov_b32_e32 v14, 0x3b800000
	v_lshlrev_b32_e32 v10, 20, v10
	v_and_b32_e32 v12, 0x80000000, v12
	v_lshl_add_u32 v11, v11, 23, v14
	v_or3_b32 v10, v12, v11, v10
.LBB30_876:
	s_or_b64 exec, exec, s[6:7]
	v_lshrrev_b32_e32 v11, 8, v13
	s_movk_i32 s4, 0x7f
	v_cmp_gt_i16_sdwa s[6:7], v11, s4 src0_sel:BYTE_0 src1_sel:DWORD
	s_mov_b64 s[4:5], 0
                                        ; implicit-def: $sgpr10
	s_and_saveexec_b64 s[8:9], s[6:7]
	s_xor_b64 s[6:7], exec, s[8:9]
	s_cbranch_execnz .LBB30_2925
; %bb.877:
	s_or_saveexec_b64 s[6:7], s[6:7]
	v_mov_b32_e32 v12, s10
	s_xor_b64 exec, exec, s[6:7]
	s_cbranch_execnz .LBB30_2928
.LBB30_878:
	s_or_b64 exec, exec, s[6:7]
	s_and_saveexec_b64 s[6:7], s[4:5]
	s_cbranch_execz .LBB30_880
.LBB30_879:
	v_bfe_u32 v12, v13, 8, 3
	v_ffbh_u32_e32 v15, v12
	v_min_u32_e32 v15, 32, v15
	v_lshrrev_b16_e32 v14, 3, v11
	v_subrev_u32_e32 v16, 28, v15
	v_and_b32_e32 v14, 15, v14
	v_lshlrev_b32_e32 v11, v16, v11
	v_sub_u32_e32 v15, 29, v15
	v_and_b32_e32 v11, 7, v11
	v_cmp_eq_u16_e32 vcc, 0, v14
	v_cndmask_b32_e32 v11, v12, v11, vcc
	v_cndmask_b32_e32 v12, v14, v15, vcc
	v_lshlrev_b32_e32 v14, 16, v13
	v_mov_b32_e32 v15, 0x3b800000
	v_lshlrev_b32_e32 v11, 20, v11
	v_and_b32_e32 v14, 0x80000000, v14
	v_lshl_add_u32 v12, v12, 23, v15
	v_or3_b32 v12, v14, v12, v11
.LBB30_880:
	s_or_b64 exec, exec, s[6:7]
	s_nop 0
	v_mfma_f32_16x16x4f32 a[0:3], v10, v12, a[0:3]
	s_movk_i32 s4, 0xff
	v_and_b32_sdwa v11, v17, s4 dst_sel:DWORD dst_unused:UNUSED_PAD src0_sel:WORD_1 src1_sel:DWORD
	s_movk_i32 s4, 0x7f
	v_cmp_lt_i16_e32 vcc, s4, v11
	s_mov_b64 s[4:5], 0
                                        ; implicit-def: $sgpr10
	s_and_saveexec_b64 s[6:7], vcc
	s_xor_b64 s[6:7], exec, s[6:7]
	s_cbranch_execnz .LBB30_2929
; %bb.881:
	s_or_saveexec_b64 s[6:7], s[6:7]
	v_mov_b32_e32 v10, s10
	s_xor_b64 exec, exec, s[6:7]
	s_cbranch_execnz .LBB30_2932
.LBB30_882:
	s_or_b64 exec, exec, s[6:7]
	s_and_saveexec_b64 s[6:7], s[4:5]
	s_cbranch_execz .LBB30_884
.LBB30_883:
	v_bfe_u32 v10, v17, 16, 3
	v_ffbh_u32_e32 v14, v10
	v_min_u32_e32 v14, 32, v14
	v_lshrrev_b32_e32 v11, 19, v17
	v_subrev_u32_e32 v15, 28, v14
	v_and_b32_e32 v11, 15, v11
	v_lshlrev_b32_sdwa v15, v15, v17 dst_sel:DWORD dst_unused:UNUSED_PAD src0_sel:DWORD src1_sel:WORD_1
	v_bfe_u32 v12, v17, 19, 4
	v_sub_u32_e32 v14, 29, v14
	v_and_b32_e32 v15, 7, v15
	v_cmp_eq_u16_e32 vcc, 0, v11
	v_cndmask_b32_e32 v10, v10, v15, vcc
	v_cndmask_b32_e32 v11, v12, v14, vcc
	v_lshlrev_b32_e32 v12, 8, v17
	v_mov_b32_e32 v14, 0x3b800000
	v_lshlrev_b32_e32 v10, 20, v10
	v_and_b32_e32 v12, 0x80000000, v12
	v_lshl_add_u32 v11, v11, 23, v14
	v_or3_b32 v10, v12, v11, v10
.LBB30_884:
	s_or_b64 exec, exec, s[6:7]
	s_movk_i32 s4, 0xff
	v_and_b32_sdwa v11, v13, s4 dst_sel:DWORD dst_unused:UNUSED_PAD src0_sel:WORD_1 src1_sel:DWORD
	s_movk_i32 s4, 0x7f
	v_cmp_lt_i16_e32 vcc, s4, v11
	s_mov_b64 s[4:5], 0
                                        ; implicit-def: $sgpr10
	s_and_saveexec_b64 s[6:7], vcc
	s_xor_b64 s[6:7], exec, s[6:7]
	s_cbranch_execnz .LBB30_2933
; %bb.885:
	s_or_saveexec_b64 s[6:7], s[6:7]
	v_mov_b32_e32 v12, s10
	s_xor_b64 exec, exec, s[6:7]
	s_cbranch_execnz .LBB30_2936
.LBB30_886:
	s_or_b64 exec, exec, s[6:7]
	s_and_saveexec_b64 s[6:7], s[4:5]
	s_cbranch_execz .LBB30_888
.LBB30_887:
	v_bfe_u32 v11, v13, 16, 3
	v_ffbh_u32_e32 v15, v11
	v_min_u32_e32 v15, 32, v15
	v_lshrrev_b32_e32 v12, 19, v13
	v_subrev_u32_e32 v16, 28, v15
	v_and_b32_e32 v12, 15, v12
	v_lshlrev_b32_sdwa v16, v16, v13 dst_sel:DWORD dst_unused:UNUSED_PAD src0_sel:DWORD src1_sel:WORD_1
	v_bfe_u32 v14, v13, 19, 4
	v_sub_u32_e32 v15, 29, v15
	v_and_b32_e32 v16, 7, v16
	v_cmp_eq_u16_e32 vcc, 0, v12
	v_cndmask_b32_e32 v11, v11, v16, vcc
	v_cndmask_b32_e32 v12, v14, v15, vcc
	v_lshlrev_b32_e32 v14, 8, v13
	v_mov_b32_e32 v15, 0x3b800000
	v_lshlrev_b32_e32 v11, 20, v11
	v_and_b32_e32 v14, 0x80000000, v14
	v_lshl_add_u32 v12, v12, 23, v15
	v_or3_b32 v12, v14, v12, v11
.LBB30_888:
	s_or_b64 exec, exec, s[6:7]
	s_nop 0
	v_mfma_f32_16x16x4f32 a[0:3], v10, v12, a[0:3]
	s_movk_i32 s4, 0x7f
	v_cmp_gt_i16_sdwa s[6:7], v17, s4 src0_sel:BYTE_3 src1_sel:DWORD
	s_mov_b64 s[4:5], 0
                                        ; implicit-def: $sgpr10
	s_and_saveexec_b64 s[8:9], s[6:7]
	s_xor_b64 s[6:7], exec, s[8:9]
	s_cbranch_execnz .LBB30_2937
; %bb.889:
	s_or_saveexec_b64 s[6:7], s[6:7]
	v_mov_b32_e32 v10, s10
	s_xor_b64 exec, exec, s[6:7]
	s_cbranch_execnz .LBB30_2940
.LBB30_890:
	s_or_b64 exec, exec, s[6:7]
	s_and_saveexec_b64 s[6:7], s[4:5]
	s_cbranch_execz .LBB30_892
.LBB30_891:
	v_bfe_u32 v10, v17, 24, 3
	v_ffbh_u32_e32 v15, v10
	v_min_u32_e32 v15, 32, v15
	v_lshrrev_b32_e32 v12, 27, v17
	v_subrev_u32_e32 v16, 28, v15
	v_and_b32_e32 v12, 15, v12
	v_lshlrev_b32_sdwa v16, v16, v17 dst_sel:DWORD dst_unused:UNUSED_PAD src0_sel:DWORD src1_sel:BYTE_3
	v_bfe_u32 v14, v17, 27, 4
	v_sub_u32_e32 v15, 29, v15
	v_and_b32_e32 v16, 7, v16
	v_cmp_eq_u16_e32 vcc, 0, v12
	v_cndmask_b32_e32 v10, v10, v16, vcc
	v_cndmask_b32_e32 v12, v14, v15, vcc
	v_mov_b32_e32 v14, 0x3b800000
	v_and_b32_e32 v11, 0x80000000, v17
	v_lshlrev_b32_e32 v10, 20, v10
	v_lshl_add_u32 v12, v12, 23, v14
	v_or3_b32 v10, v11, v12, v10
.LBB30_892:
	s_or_b64 exec, exec, s[6:7]
	s_movk_i32 s4, 0x7f
	v_cmp_gt_i16_sdwa s[6:7], v13, s4 src0_sel:BYTE_3 src1_sel:DWORD
	s_mov_b64 s[4:5], 0
                                        ; implicit-def: $sgpr10
	s_and_saveexec_b64 s[8:9], s[6:7]
	s_xor_b64 s[6:7], exec, s[8:9]
	s_cbranch_execnz .LBB30_2941
; %bb.893:
	s_or_saveexec_b64 s[6:7], s[6:7]
	v_mov_b32_e32 v11, s10
	s_xor_b64 exec, exec, s[6:7]
	s_cbranch_execnz .LBB30_2944
.LBB30_894:
	s_or_b64 exec, exec, s[6:7]
	s_and_saveexec_b64 s[6:7], s[4:5]
	s_cbranch_execz .LBB30_896
.LBB30_895:
	v_bfe_u32 v11, v13, 24, 3
	v_ffbh_u32_e32 v16, v11
	v_min_u32_e32 v16, 32, v16
	v_lshrrev_b32_e32 v14, 27, v13
	v_subrev_u32_e32 v17, 28, v16
	v_and_b32_e32 v12, 0x80000000, v13
	v_and_b32_e32 v14, 15, v14
	v_bfe_u32 v15, v13, 27, 4
	v_lshlrev_b32_sdwa v13, v17, v13 dst_sel:DWORD dst_unused:UNUSED_PAD src0_sel:DWORD src1_sel:BYTE_3
	v_sub_u32_e32 v16, 29, v16
	v_and_b32_e32 v13, 7, v13
	v_cmp_eq_u16_e32 vcc, 0, v14
	v_cndmask_b32_e32 v11, v11, v13, vcc
	v_cndmask_b32_e32 v13, v15, v16, vcc
	v_mov_b32_e32 v14, 0x3b800000
	v_lshlrev_b32_e32 v11, 20, v11
	v_lshl_add_u32 v13, v13, 23, v14
	v_or3_b32 v11, v12, v13, v11
.LBB30_896:
	s_or_b64 exec, exec, s[6:7]
	s_nop 0
	v_mfma_f32_16x16x4f32 a[0:3], v10, v11, a[0:3]
	s_movk_i32 s4, 0x7f
	v_cmp_gt_i16_sdwa s[6:7], v6, s4 src0_sel:BYTE_0 src1_sel:DWORD
	s_mov_b64 s[4:5], 0
                                        ; implicit-def: $sgpr10
	s_and_saveexec_b64 s[8:9], s[6:7]
	s_xor_b64 s[6:7], exec, s[8:9]
	s_cbranch_execnz .LBB30_2945
; %bb.897:
	s_or_saveexec_b64 s[6:7], s[6:7]
	v_mov_b32_e32 v10, s10
	s_xor_b64 exec, exec, s[6:7]
	s_cbranch_execnz .LBB30_2948
.LBB30_898:
	s_or_b64 exec, exec, s[6:7]
	s_and_saveexec_b64 s[6:7], s[4:5]
	s_cbranch_execz .LBB30_900
.LBB30_899:
	v_and_b32_e32 v10, 7, v6
	v_ffbh_u32_e32 v12, v10
	v_min_u32_e32 v12, 32, v12
	v_lshrrev_b16_e32 v11, 3, v6
	v_subrev_u32_e32 v13, 28, v12
	v_and_b32_e32 v11, 15, v11
	v_lshlrev_b32_e32 v13, v13, v6
	v_sub_u32_e32 v12, 29, v12
	v_and_b32_e32 v13, 7, v13
	v_cmp_eq_u16_e32 vcc, 0, v11
	v_cndmask_b32_e32 v10, v10, v13, vcc
	v_cndmask_b32_e32 v11, v11, v12, vcc
	v_lshlrev_b32_e32 v12, 24, v6
	v_mov_b32_e32 v13, 0x3b800000
	v_lshlrev_b32_e32 v10, 20, v10
	v_and_b32_e32 v12, 0x80000000, v12
	v_lshl_add_u32 v11, v11, 23, v13
	v_or3_b32 v10, v12, v11, v10
.LBB30_900:
	s_or_b64 exec, exec, s[6:7]
	s_movk_i32 s4, 0x7f
	v_cmp_gt_i16_sdwa s[6:7], v2, s4 src0_sel:BYTE_0 src1_sel:DWORD
	s_mov_b64 s[4:5], 0
                                        ; implicit-def: $sgpr10
	s_and_saveexec_b64 s[8:9], s[6:7]
	s_xor_b64 s[6:7], exec, s[8:9]
	s_cbranch_execnz .LBB30_2949
; %bb.901:
	s_or_saveexec_b64 s[6:7], s[6:7]
	v_mov_b32_e32 v11, s10
	s_xor_b64 exec, exec, s[6:7]
	s_cbranch_execnz .LBB30_2952
.LBB30_902:
	s_or_b64 exec, exec, s[6:7]
	s_and_saveexec_b64 s[6:7], s[4:5]
	s_cbranch_execz .LBB30_904
.LBB30_903:
	v_and_b32_e32 v11, 7, v2
	v_ffbh_u32_e32 v13, v11
	v_min_u32_e32 v13, 32, v13
	v_lshrrev_b16_e32 v12, 3, v2
	v_subrev_u32_e32 v14, 28, v13
	v_and_b32_e32 v12, 15, v12
	v_lshlrev_b32_e32 v14, v14, v2
	v_sub_u32_e32 v13, 29, v13
	v_and_b32_e32 v14, 7, v14
	v_cmp_eq_u16_e32 vcc, 0, v12
	v_cndmask_b32_e32 v11, v11, v14, vcc
	v_cndmask_b32_e32 v12, v12, v13, vcc
	v_lshlrev_b32_e32 v13, 24, v2
	v_mov_b32_e32 v14, 0x3b800000
	v_lshlrev_b32_e32 v11, 20, v11
	v_and_b32_e32 v13, 0x80000000, v13
	v_lshl_add_u32 v12, v12, 23, v14
	v_or3_b32 v11, v13, v12, v11
.LBB30_904:
	s_or_b64 exec, exec, s[6:7]
	s_nop 0
	v_mfma_f32_16x16x4f32 a[0:3], v10, v11, a[0:3]
	v_lshrrev_b32_e32 v11, 8, v6
	s_movk_i32 s4, 0x7f
	v_cmp_gt_i16_sdwa s[6:7], v11, s4 src0_sel:BYTE_0 src1_sel:DWORD
	s_mov_b64 s[4:5], 0
                                        ; implicit-def: $sgpr10
	s_and_saveexec_b64 s[8:9], s[6:7]
	s_xor_b64 s[6:7], exec, s[8:9]
	s_cbranch_execnz .LBB30_2953
; %bb.905:
	s_or_saveexec_b64 s[6:7], s[6:7]
	v_mov_b32_e32 v10, s10
	s_xor_b64 exec, exec, s[6:7]
	s_cbranch_execnz .LBB30_2956
.LBB30_906:
	s_or_b64 exec, exec, s[6:7]
	s_and_saveexec_b64 s[6:7], s[4:5]
	s_cbranch_execz .LBB30_908
.LBB30_907:
	v_bfe_u32 v10, v6, 8, 3
	v_ffbh_u32_e32 v13, v10
	v_min_u32_e32 v13, 32, v13
	v_lshrrev_b16_e32 v12, 3, v11
	v_subrev_u32_e32 v14, 28, v13
	v_and_b32_e32 v12, 15, v12
	v_lshlrev_b32_e32 v11, v14, v11
	v_sub_u32_e32 v13, 29, v13
	v_and_b32_e32 v11, 7, v11
	v_cmp_eq_u16_e32 vcc, 0, v12
	v_cndmask_b32_e32 v10, v10, v11, vcc
	v_cndmask_b32_e32 v11, v12, v13, vcc
	v_lshlrev_b32_e32 v12, 16, v6
	v_mov_b32_e32 v13, 0x3b800000
	v_lshlrev_b32_e32 v10, 20, v10
	v_and_b32_e32 v12, 0x80000000, v12
	v_lshl_add_u32 v11, v11, 23, v13
	v_or3_b32 v10, v12, v11, v10
.LBB30_908:
	s_or_b64 exec, exec, s[6:7]
	v_lshrrev_b32_e32 v11, 8, v2
	s_movk_i32 s4, 0x7f
	v_cmp_gt_i16_sdwa s[6:7], v11, s4 src0_sel:BYTE_0 src1_sel:DWORD
	s_mov_b64 s[4:5], 0
                                        ; implicit-def: $sgpr10
	s_and_saveexec_b64 s[8:9], s[6:7]
	s_xor_b64 s[6:7], exec, s[8:9]
	s_cbranch_execnz .LBB30_2957
; %bb.909:
	s_or_saveexec_b64 s[6:7], s[6:7]
	v_mov_b32_e32 v12, s10
	s_xor_b64 exec, exec, s[6:7]
	s_cbranch_execnz .LBB30_2960
.LBB30_910:
	s_or_b64 exec, exec, s[6:7]
	s_and_saveexec_b64 s[6:7], s[4:5]
	s_cbranch_execz .LBB30_912
.LBB30_911:
	v_bfe_u32 v12, v2, 8, 3
	v_ffbh_u32_e32 v14, v12
	v_min_u32_e32 v14, 32, v14
	v_lshrrev_b16_e32 v13, 3, v11
	v_subrev_u32_e32 v15, 28, v14
	v_and_b32_e32 v13, 15, v13
	v_lshlrev_b32_e32 v11, v15, v11
	v_sub_u32_e32 v14, 29, v14
	v_and_b32_e32 v11, 7, v11
	v_cmp_eq_u16_e32 vcc, 0, v13
	v_cndmask_b32_e32 v11, v12, v11, vcc
	v_cndmask_b32_e32 v12, v13, v14, vcc
	v_lshlrev_b32_e32 v13, 16, v2
	v_mov_b32_e32 v14, 0x3b800000
	v_lshlrev_b32_e32 v11, 20, v11
	v_and_b32_e32 v13, 0x80000000, v13
	v_lshl_add_u32 v12, v12, 23, v14
	v_or3_b32 v12, v13, v12, v11
.LBB30_912:
	s_or_b64 exec, exec, s[6:7]
	s_nop 0
	v_mfma_f32_16x16x4f32 a[0:3], v10, v12, a[0:3]
	s_movk_i32 s4, 0xff
	v_and_b32_sdwa v11, v6, s4 dst_sel:DWORD dst_unused:UNUSED_PAD src0_sel:WORD_1 src1_sel:DWORD
	s_movk_i32 s4, 0x7f
	v_cmp_lt_i16_e32 vcc, s4, v11
	s_mov_b64 s[4:5], 0
                                        ; implicit-def: $sgpr10
	s_and_saveexec_b64 s[6:7], vcc
	s_xor_b64 s[6:7], exec, s[6:7]
	s_cbranch_execnz .LBB30_2961
; %bb.913:
	s_or_saveexec_b64 s[6:7], s[6:7]
	v_mov_b32_e32 v10, s10
	s_xor_b64 exec, exec, s[6:7]
	s_cbranch_execnz .LBB30_2964
.LBB30_914:
	s_or_b64 exec, exec, s[6:7]
	s_and_saveexec_b64 s[6:7], s[4:5]
	s_cbranch_execz .LBB30_916
.LBB30_915:
	v_bfe_u32 v10, v6, 16, 3
	v_ffbh_u32_e32 v13, v10
	v_min_u32_e32 v13, 32, v13
	v_lshrrev_b32_e32 v11, 19, v6
	v_subrev_u32_e32 v14, 28, v13
	v_and_b32_e32 v11, 15, v11
	v_lshlrev_b32_sdwa v14, v14, v6 dst_sel:DWORD dst_unused:UNUSED_PAD src0_sel:DWORD src1_sel:WORD_1
	v_bfe_u32 v12, v6, 19, 4
	v_sub_u32_e32 v13, 29, v13
	v_and_b32_e32 v14, 7, v14
	v_cmp_eq_u16_e32 vcc, 0, v11
	v_cndmask_b32_e32 v10, v10, v14, vcc
	v_cndmask_b32_e32 v11, v12, v13, vcc
	v_lshlrev_b32_e32 v12, 8, v6
	v_mov_b32_e32 v13, 0x3b800000
	v_lshlrev_b32_e32 v10, 20, v10
	v_and_b32_e32 v12, 0x80000000, v12
	v_lshl_add_u32 v11, v11, 23, v13
	v_or3_b32 v10, v12, v11, v10
.LBB30_916:
	s_or_b64 exec, exec, s[6:7]
	s_movk_i32 s4, 0xff
	v_and_b32_sdwa v11, v2, s4 dst_sel:DWORD dst_unused:UNUSED_PAD src0_sel:WORD_1 src1_sel:DWORD
	s_movk_i32 s4, 0x7f
	v_cmp_lt_i16_e32 vcc, s4, v11
	s_mov_b64 s[4:5], 0
                                        ; implicit-def: $sgpr10
	s_and_saveexec_b64 s[6:7], vcc
	s_xor_b64 s[6:7], exec, s[6:7]
	s_cbranch_execnz .LBB30_2965
; %bb.917:
	s_or_saveexec_b64 s[6:7], s[6:7]
	v_mov_b32_e32 v12, s10
	s_xor_b64 exec, exec, s[6:7]
	s_cbranch_execnz .LBB30_2968
.LBB30_918:
	s_or_b64 exec, exec, s[6:7]
	s_and_saveexec_b64 s[6:7], s[4:5]
	s_cbranch_execz .LBB30_920
.LBB30_919:
	v_bfe_u32 v11, v2, 16, 3
	v_ffbh_u32_e32 v14, v11
	v_min_u32_e32 v14, 32, v14
	v_lshrrev_b32_e32 v12, 19, v2
	v_subrev_u32_e32 v15, 28, v14
	v_and_b32_e32 v12, 15, v12
	v_lshlrev_b32_sdwa v15, v15, v2 dst_sel:DWORD dst_unused:UNUSED_PAD src0_sel:DWORD src1_sel:WORD_1
	v_bfe_u32 v13, v2, 19, 4
	v_sub_u32_e32 v14, 29, v14
	v_and_b32_e32 v15, 7, v15
	v_cmp_eq_u16_e32 vcc, 0, v12
	v_cndmask_b32_e32 v11, v11, v15, vcc
	v_cndmask_b32_e32 v12, v13, v14, vcc
	v_lshlrev_b32_e32 v13, 8, v2
	v_mov_b32_e32 v14, 0x3b800000
	v_lshlrev_b32_e32 v11, 20, v11
	v_and_b32_e32 v13, 0x80000000, v13
	v_lshl_add_u32 v12, v12, 23, v14
	v_or3_b32 v12, v13, v12, v11
.LBB30_920:
	s_or_b64 exec, exec, s[6:7]
	s_nop 0
	v_mfma_f32_16x16x4f32 a[0:3], v10, v12, a[0:3]
	s_movk_i32 s4, 0x7f
	v_cmp_gt_i16_sdwa s[6:7], v6, s4 src0_sel:BYTE_3 src1_sel:DWORD
	s_mov_b64 s[4:5], 0
                                        ; implicit-def: $sgpr10
	s_and_saveexec_b64 s[8:9], s[6:7]
	s_xor_b64 s[6:7], exec, s[8:9]
	s_cbranch_execnz .LBB30_2969
; %bb.921:
	s_or_saveexec_b64 s[6:7], s[6:7]
	v_mov_b32_e32 v10, s10
	s_xor_b64 exec, exec, s[6:7]
	s_cbranch_execnz .LBB30_2972
.LBB30_922:
	s_or_b64 exec, exec, s[6:7]
	s_and_saveexec_b64 s[6:7], s[4:5]
	s_cbranch_execz .LBB30_924
.LBB30_923:
	v_bfe_u32 v10, v6, 24, 3
	v_ffbh_u32_e32 v14, v10
	v_min_u32_e32 v14, 32, v14
	v_lshrrev_b32_e32 v12, 27, v6
	v_subrev_u32_e32 v15, 28, v14
	v_and_b32_e32 v11, 0x80000000, v6
	v_and_b32_e32 v12, 15, v12
	v_bfe_u32 v13, v6, 27, 4
	v_lshlrev_b32_sdwa v6, v15, v6 dst_sel:DWORD dst_unused:UNUSED_PAD src0_sel:DWORD src1_sel:BYTE_3
	v_sub_u32_e32 v14, 29, v14
	v_and_b32_e32 v6, 7, v6
	v_cmp_eq_u16_e32 vcc, 0, v12
	v_cndmask_b32_e32 v6, v10, v6, vcc
	v_cndmask_b32_e32 v10, v13, v14, vcc
	v_mov_b32_e32 v12, 0x3b800000
	v_lshlrev_b32_e32 v6, 20, v6
	v_lshl_add_u32 v10, v10, 23, v12
	v_or3_b32 v10, v11, v10, v6
.LBB30_924:
	s_or_b64 exec, exec, s[6:7]
	s_movk_i32 s4, 0x7f
	v_cmp_gt_i16_sdwa s[6:7], v2, s4 src0_sel:BYTE_3 src1_sel:DWORD
	s_mov_b64 s[4:5], 0
                                        ; implicit-def: $sgpr10
	s_and_saveexec_b64 s[8:9], s[6:7]
	s_xor_b64 s[6:7], exec, s[8:9]
	s_cbranch_execnz .LBB30_2973
; %bb.925:
	s_or_saveexec_b64 s[6:7], s[6:7]
	v_mov_b32_e32 v6, s10
	s_xor_b64 exec, exec, s[6:7]
	s_cbranch_execnz .LBB30_2976
.LBB30_926:
	s_or_b64 exec, exec, s[6:7]
	s_and_saveexec_b64 s[6:7], s[4:5]
	s_cbranch_execz .LBB30_928
.LBB30_927:
	v_bfe_u32 v6, v2, 24, 3
	v_ffbh_u32_e32 v14, v6
	v_min_u32_e32 v14, 32, v14
	v_lshrrev_b32_e32 v12, 27, v2
	v_subrev_u32_e32 v15, 28, v14
	v_and_b32_e32 v11, 0x80000000, v2
	v_and_b32_e32 v12, 15, v12
	v_bfe_u32 v13, v2, 27, 4
	v_lshlrev_b32_sdwa v2, v15, v2 dst_sel:DWORD dst_unused:UNUSED_PAD src0_sel:DWORD src1_sel:BYTE_3
	v_sub_u32_e32 v14, 29, v14
	v_and_b32_e32 v2, 7, v2
	v_cmp_eq_u16_e32 vcc, 0, v12
	v_cndmask_b32_e32 v2, v6, v2, vcc
	v_cndmask_b32_e32 v6, v13, v14, vcc
	v_mov_b32_e32 v12, 0x3b800000
	v_lshlrev_b32_e32 v2, 20, v2
	v_lshl_add_u32 v6, v6, 23, v12
	v_or3_b32 v6, v11, v6, v2
.LBB30_928:
	s_or_b64 exec, exec, s[6:7]
	s_nop 0
	v_mfma_f32_16x16x4f32 a[0:3], v10, v6, a[0:3]
	s_movk_i32 s4, 0x7f
	v_cmp_gt_i16_sdwa s[6:7], v7, s4 src0_sel:BYTE_0 src1_sel:DWORD
	s_mov_b64 s[4:5], 0
                                        ; implicit-def: $sgpr10
	s_and_saveexec_b64 s[8:9], s[6:7]
	s_xor_b64 s[6:7], exec, s[8:9]
	s_cbranch_execnz .LBB30_2977
; %bb.929:
	s_or_saveexec_b64 s[6:7], s[6:7]
	v_mov_b32_e32 v2, s10
	s_xor_b64 exec, exec, s[6:7]
	s_cbranch_execnz .LBB30_2980
.LBB30_930:
	s_or_b64 exec, exec, s[6:7]
	s_and_saveexec_b64 s[6:7], s[4:5]
	s_cbranch_execz .LBB30_932
.LBB30_931:
	v_and_b32_e32 v2, 7, v7
	v_ffbh_u32_e32 v10, v2
	v_min_u32_e32 v10, 32, v10
	v_lshrrev_b16_e32 v6, 3, v7
	v_subrev_u32_e32 v11, 28, v10
	v_and_b32_e32 v6, 15, v6
	v_lshlrev_b32_e32 v11, v11, v7
	v_sub_u32_e32 v10, 29, v10
	v_and_b32_e32 v11, 7, v11
	v_cmp_eq_u16_e32 vcc, 0, v6
	v_cndmask_b32_e32 v2, v2, v11, vcc
	v_cndmask_b32_e32 v6, v6, v10, vcc
	v_lshlrev_b32_e32 v10, 24, v7
	v_mov_b32_e32 v11, 0x3b800000
	v_lshlrev_b32_e32 v2, 20, v2
	v_and_b32_e32 v10, 0x80000000, v10
	v_lshl_add_u32 v6, v6, 23, v11
	v_or3_b32 v2, v10, v6, v2
.LBB30_932:
	s_or_b64 exec, exec, s[6:7]
	s_movk_i32 s4, 0x7f
	v_cmp_gt_i16_sdwa s[6:7], v3, s4 src0_sel:BYTE_0 src1_sel:DWORD
	s_mov_b64 s[4:5], 0
                                        ; implicit-def: $sgpr10
	s_and_saveexec_b64 s[8:9], s[6:7]
	s_xor_b64 s[6:7], exec, s[8:9]
	s_cbranch_execnz .LBB30_2981
; %bb.933:
	s_or_saveexec_b64 s[6:7], s[6:7]
	v_mov_b32_e32 v6, s10
	s_xor_b64 exec, exec, s[6:7]
	s_cbranch_execnz .LBB30_2984
.LBB30_934:
	s_or_b64 exec, exec, s[6:7]
	s_and_saveexec_b64 s[6:7], s[4:5]
	s_cbranch_execz .LBB30_936
.LBB30_935:
	v_and_b32_e32 v6, 7, v3
	v_ffbh_u32_e32 v11, v6
	v_min_u32_e32 v11, 32, v11
	v_lshrrev_b16_e32 v10, 3, v3
	v_subrev_u32_e32 v12, 28, v11
	v_and_b32_e32 v10, 15, v10
	v_lshlrev_b32_e32 v12, v12, v3
	v_sub_u32_e32 v11, 29, v11
	v_and_b32_e32 v12, 7, v12
	v_cmp_eq_u16_e32 vcc, 0, v10
	v_cndmask_b32_e32 v6, v6, v12, vcc
	v_cndmask_b32_e32 v10, v10, v11, vcc
	v_lshlrev_b32_e32 v11, 24, v3
	v_mov_b32_e32 v12, 0x3b800000
	v_lshlrev_b32_e32 v6, 20, v6
	v_and_b32_e32 v11, 0x80000000, v11
	v_lshl_add_u32 v10, v10, 23, v12
	v_or3_b32 v6, v11, v10, v6
.LBB30_936:
	s_or_b64 exec, exec, s[6:7]
	s_nop 0
	v_mfma_f32_16x16x4f32 a[0:3], v2, v6, a[0:3]
	v_lshrrev_b32_e32 v6, 8, v7
	s_movk_i32 s4, 0x7f
	v_cmp_gt_i16_sdwa s[6:7], v6, s4 src0_sel:BYTE_0 src1_sel:DWORD
	s_mov_b64 s[4:5], 0
                                        ; implicit-def: $sgpr10
	s_and_saveexec_b64 s[8:9], s[6:7]
	s_xor_b64 s[6:7], exec, s[8:9]
	s_cbranch_execnz .LBB30_2985
; %bb.937:
	s_or_saveexec_b64 s[6:7], s[6:7]
	v_mov_b32_e32 v2, s10
	s_xor_b64 exec, exec, s[6:7]
	s_cbranch_execnz .LBB30_2988
.LBB30_938:
	s_or_b64 exec, exec, s[6:7]
	s_and_saveexec_b64 s[6:7], s[4:5]
	s_cbranch_execz .LBB30_940
.LBB30_939:
	v_bfe_u32 v2, v7, 8, 3
	v_ffbh_u32_e32 v11, v2
	v_min_u32_e32 v11, 32, v11
	v_lshrrev_b16_e32 v10, 3, v6
	v_subrev_u32_e32 v12, 28, v11
	v_and_b32_e32 v10, 15, v10
	v_lshlrev_b32_e32 v6, v12, v6
	v_sub_u32_e32 v11, 29, v11
	v_and_b32_e32 v6, 7, v6
	v_cmp_eq_u16_e32 vcc, 0, v10
	v_cndmask_b32_e32 v2, v2, v6, vcc
	v_cndmask_b32_e32 v6, v10, v11, vcc
	v_lshlrev_b32_e32 v10, 16, v7
	v_mov_b32_e32 v11, 0x3b800000
	v_lshlrev_b32_e32 v2, 20, v2
	v_and_b32_e32 v10, 0x80000000, v10
	v_lshl_add_u32 v6, v6, 23, v11
	v_or3_b32 v2, v10, v6, v2
.LBB30_940:
	s_or_b64 exec, exec, s[6:7]
	v_lshrrev_b32_e32 v6, 8, v3
	s_movk_i32 s4, 0x7f
	v_cmp_gt_i16_sdwa s[6:7], v6, s4 src0_sel:BYTE_0 src1_sel:DWORD
	s_mov_b64 s[4:5], 0
                                        ; implicit-def: $sgpr10
	s_and_saveexec_b64 s[8:9], s[6:7]
	s_xor_b64 s[6:7], exec, s[8:9]
	s_cbranch_execnz .LBB30_2989
; %bb.941:
	s_or_saveexec_b64 s[6:7], s[6:7]
	v_mov_b32_e32 v10, s10
	s_xor_b64 exec, exec, s[6:7]
	s_cbranch_execnz .LBB30_2992
.LBB30_942:
	s_or_b64 exec, exec, s[6:7]
	s_and_saveexec_b64 s[6:7], s[4:5]
	s_cbranch_execz .LBB30_944
.LBB30_943:
	v_bfe_u32 v10, v3, 8, 3
	v_ffbh_u32_e32 v12, v10
	v_min_u32_e32 v12, 32, v12
	v_lshrrev_b16_e32 v11, 3, v6
	v_subrev_u32_e32 v13, 28, v12
	v_and_b32_e32 v11, 15, v11
	v_lshlrev_b32_e32 v6, v13, v6
	v_sub_u32_e32 v12, 29, v12
	v_and_b32_e32 v6, 7, v6
	v_cmp_eq_u16_e32 vcc, 0, v11
	v_cndmask_b32_e32 v6, v10, v6, vcc
	v_cndmask_b32_e32 v10, v11, v12, vcc
	v_lshlrev_b32_e32 v11, 16, v3
	v_mov_b32_e32 v12, 0x3b800000
	v_lshlrev_b32_e32 v6, 20, v6
	v_and_b32_e32 v11, 0x80000000, v11
	v_lshl_add_u32 v10, v10, 23, v12
	v_or3_b32 v10, v11, v10, v6
.LBB30_944:
	s_or_b64 exec, exec, s[6:7]
	s_nop 0
	v_mfma_f32_16x16x4f32 a[0:3], v2, v10, a[0:3]
	s_movk_i32 s4, 0xff
	v_and_b32_sdwa v6, v7, s4 dst_sel:DWORD dst_unused:UNUSED_PAD src0_sel:WORD_1 src1_sel:DWORD
	s_movk_i32 s4, 0x7f
	v_cmp_lt_i16_e32 vcc, s4, v6
	s_mov_b64 s[4:5], 0
                                        ; implicit-def: $sgpr10
	s_and_saveexec_b64 s[6:7], vcc
	s_xor_b64 s[6:7], exec, s[6:7]
	s_cbranch_execnz .LBB30_2993
; %bb.945:
	s_or_saveexec_b64 s[6:7], s[6:7]
	v_mov_b32_e32 v2, s10
	s_xor_b64 exec, exec, s[6:7]
	s_cbranch_execnz .LBB30_2996
.LBB30_946:
	s_or_b64 exec, exec, s[6:7]
	s_and_saveexec_b64 s[6:7], s[4:5]
	s_cbranch_execz .LBB30_948
.LBB30_947:
	v_bfe_u32 v2, v7, 16, 3
	v_ffbh_u32_e32 v11, v2
	v_min_u32_e32 v11, 32, v11
	v_lshrrev_b32_e32 v6, 19, v7
	v_subrev_u32_e32 v12, 28, v11
	v_and_b32_e32 v6, 15, v6
	v_lshlrev_b32_sdwa v12, v12, v7 dst_sel:DWORD dst_unused:UNUSED_PAD src0_sel:DWORD src1_sel:WORD_1
	v_bfe_u32 v10, v7, 19, 4
	v_sub_u32_e32 v11, 29, v11
	v_and_b32_e32 v12, 7, v12
	v_cmp_eq_u16_e32 vcc, 0, v6
	v_cndmask_b32_e32 v2, v2, v12, vcc
	v_cndmask_b32_e32 v6, v10, v11, vcc
	v_lshlrev_b32_e32 v10, 8, v7
	v_mov_b32_e32 v11, 0x3b800000
	v_lshlrev_b32_e32 v2, 20, v2
	v_and_b32_e32 v10, 0x80000000, v10
	v_lshl_add_u32 v6, v6, 23, v11
	v_or3_b32 v2, v10, v6, v2
.LBB30_948:
	s_or_b64 exec, exec, s[6:7]
	s_movk_i32 s4, 0xff
	v_and_b32_sdwa v6, v3, s4 dst_sel:DWORD dst_unused:UNUSED_PAD src0_sel:WORD_1 src1_sel:DWORD
	s_movk_i32 s4, 0x7f
	v_cmp_lt_i16_e32 vcc, s4, v6
	s_mov_b64 s[4:5], 0
                                        ; implicit-def: $sgpr10
	s_and_saveexec_b64 s[6:7], vcc
	s_xor_b64 s[6:7], exec, s[6:7]
	s_cbranch_execnz .LBB30_2997
; %bb.949:
	s_or_saveexec_b64 s[6:7], s[6:7]
	v_mov_b32_e32 v10, s10
	s_xor_b64 exec, exec, s[6:7]
	s_cbranch_execnz .LBB30_3000
.LBB30_950:
	s_or_b64 exec, exec, s[6:7]
	s_and_saveexec_b64 s[6:7], s[4:5]
	s_cbranch_execz .LBB30_952
.LBB30_951:
	v_bfe_u32 v6, v3, 16, 3
	v_ffbh_u32_e32 v12, v6
	v_min_u32_e32 v12, 32, v12
	v_lshrrev_b32_e32 v10, 19, v3
	v_subrev_u32_e32 v13, 28, v12
	v_and_b32_e32 v10, 15, v10
	v_lshlrev_b32_sdwa v13, v13, v3 dst_sel:DWORD dst_unused:UNUSED_PAD src0_sel:DWORD src1_sel:WORD_1
	v_bfe_u32 v11, v3, 19, 4
	v_sub_u32_e32 v12, 29, v12
	v_and_b32_e32 v13, 7, v13
	v_cmp_eq_u16_e32 vcc, 0, v10
	v_cndmask_b32_e32 v6, v6, v13, vcc
	v_cndmask_b32_e32 v10, v11, v12, vcc
	v_lshlrev_b32_e32 v11, 8, v3
	v_mov_b32_e32 v12, 0x3b800000
	v_lshlrev_b32_e32 v6, 20, v6
	v_and_b32_e32 v11, 0x80000000, v11
	v_lshl_add_u32 v10, v10, 23, v12
	v_or3_b32 v10, v11, v10, v6
.LBB30_952:
	s_or_b64 exec, exec, s[6:7]
	s_nop 0
	v_mfma_f32_16x16x4f32 a[0:3], v2, v10, a[0:3]
	s_movk_i32 s4, 0x7f
	v_cmp_gt_i16_sdwa s[6:7], v7, s4 src0_sel:BYTE_3 src1_sel:DWORD
	s_mov_b64 s[4:5], 0
                                        ; implicit-def: $sgpr10
	s_and_saveexec_b64 s[8:9], s[6:7]
	s_xor_b64 s[6:7], exec, s[8:9]
	s_cbranch_execnz .LBB30_3001
; %bb.953:
	s_or_saveexec_b64 s[6:7], s[6:7]
	v_mov_b32_e32 v2, s10
	s_xor_b64 exec, exec, s[6:7]
	s_cbranch_execnz .LBB30_3004
.LBB30_954:
	s_or_b64 exec, exec, s[6:7]
	s_and_saveexec_b64 s[6:7], s[4:5]
	s_cbranch_execz .LBB30_956
.LBB30_955:
	v_bfe_u32 v2, v7, 24, 3
	v_ffbh_u32_e32 v12, v2
	v_min_u32_e32 v12, 32, v12
	v_lshrrev_b32_e32 v10, 27, v7
	v_subrev_u32_e32 v13, 28, v12
	v_and_b32_e32 v6, 0x80000000, v7
	v_and_b32_e32 v10, 15, v10
	v_bfe_u32 v11, v7, 27, 4
	v_lshlrev_b32_sdwa v7, v13, v7 dst_sel:DWORD dst_unused:UNUSED_PAD src0_sel:DWORD src1_sel:BYTE_3
	v_sub_u32_e32 v12, 29, v12
	v_and_b32_e32 v7, 7, v7
	v_cmp_eq_u16_e32 vcc, 0, v10
	v_cndmask_b32_e32 v2, v2, v7, vcc
	v_cndmask_b32_e32 v7, v11, v12, vcc
	v_mov_b32_e32 v10, 0x3b800000
	v_lshlrev_b32_e32 v2, 20, v2
	v_lshl_add_u32 v7, v7, 23, v10
	v_or3_b32 v2, v6, v7, v2
.LBB30_956:
	s_or_b64 exec, exec, s[6:7]
	s_movk_i32 s4, 0x7f
	v_cmp_gt_i16_sdwa s[6:7], v3, s4 src0_sel:BYTE_3 src1_sel:DWORD
	s_mov_b64 s[4:5], 0
                                        ; implicit-def: $sgpr10
	s_and_saveexec_b64 s[8:9], s[6:7]
	s_xor_b64 s[6:7], exec, s[8:9]
	s_cbranch_execnz .LBB30_3005
; %bb.957:
	s_or_saveexec_b64 s[6:7], s[6:7]
	v_mov_b32_e32 v6, s10
	s_xor_b64 exec, exec, s[6:7]
	s_cbranch_execnz .LBB30_3008
.LBB30_958:
	s_or_b64 exec, exec, s[6:7]
	s_and_saveexec_b64 s[6:7], s[4:5]
	s_cbranch_execz .LBB30_960
.LBB30_959:
	v_bfe_u32 v6, v3, 24, 3
	v_ffbh_u32_e32 v12, v6
	v_min_u32_e32 v12, 32, v12
	v_lshrrev_b32_e32 v10, 27, v3
	v_subrev_u32_e32 v13, 28, v12
	v_and_b32_e32 v7, 0x80000000, v3
	v_and_b32_e32 v10, 15, v10
	v_bfe_u32 v11, v3, 27, 4
	v_lshlrev_b32_sdwa v3, v13, v3 dst_sel:DWORD dst_unused:UNUSED_PAD src0_sel:DWORD src1_sel:BYTE_3
	v_sub_u32_e32 v12, 29, v12
	v_and_b32_e32 v3, 7, v3
	v_cmp_eq_u16_e32 vcc, 0, v10
	v_cndmask_b32_e32 v3, v6, v3, vcc
	v_cndmask_b32_e32 v6, v11, v12, vcc
	v_mov_b32_e32 v10, 0x3b800000
	v_lshlrev_b32_e32 v3, 20, v3
	v_lshl_add_u32 v6, v6, 23, v10
	v_or3_b32 v6, v7, v6, v3
.LBB30_960:
	s_or_b64 exec, exec, s[6:7]
	s_nop 0
	v_mfma_f32_16x16x4f32 a[0:3], v2, v6, a[0:3]
	s_movk_i32 s4, 0x7f
	v_cmp_gt_i16_sdwa s[6:7], v8, s4 src0_sel:BYTE_0 src1_sel:DWORD
	s_mov_b64 s[4:5], 0
                                        ; implicit-def: $sgpr10
	s_and_saveexec_b64 s[8:9], s[6:7]
	s_xor_b64 s[6:7], exec, s[8:9]
	s_cbranch_execnz .LBB30_3009
; %bb.961:
	s_or_saveexec_b64 s[6:7], s[6:7]
	v_mov_b32_e32 v2, s10
	s_xor_b64 exec, exec, s[6:7]
	s_cbranch_execnz .LBB30_3012
.LBB30_962:
	s_or_b64 exec, exec, s[6:7]
	s_and_saveexec_b64 s[6:7], s[4:5]
	s_cbranch_execz .LBB30_964
.LBB30_963:
	v_and_b32_e32 v2, 7, v8
	v_ffbh_u32_e32 v6, v2
	v_min_u32_e32 v6, 32, v6
	v_lshrrev_b16_e32 v3, 3, v8
	v_subrev_u32_e32 v7, 28, v6
	v_and_b32_e32 v3, 15, v3
	v_lshlrev_b32_e32 v7, v7, v8
	v_sub_u32_e32 v6, 29, v6
	v_and_b32_e32 v7, 7, v7
	v_cmp_eq_u16_e32 vcc, 0, v3
	v_cndmask_b32_e32 v2, v2, v7, vcc
	v_cndmask_b32_e32 v3, v3, v6, vcc
	v_lshlrev_b32_e32 v6, 24, v8
	v_mov_b32_e32 v7, 0x3b800000
	v_lshlrev_b32_e32 v2, 20, v2
	v_and_b32_e32 v6, 0x80000000, v6
	v_lshl_add_u32 v3, v3, 23, v7
	v_or3_b32 v2, v6, v3, v2
.LBB30_964:
	s_or_b64 exec, exec, s[6:7]
	s_movk_i32 s4, 0x7f
	v_cmp_gt_i16_sdwa s[6:7], v4, s4 src0_sel:BYTE_0 src1_sel:DWORD
	s_mov_b64 s[4:5], 0
                                        ; implicit-def: $sgpr10
	s_and_saveexec_b64 s[8:9], s[6:7]
	s_xor_b64 s[6:7], exec, s[8:9]
	s_cbranch_execnz .LBB30_3013
; %bb.965:
	s_or_saveexec_b64 s[6:7], s[6:7]
	v_mov_b32_e32 v3, s10
	s_xor_b64 exec, exec, s[6:7]
	s_cbranch_execnz .LBB30_3016
.LBB30_966:
	s_or_b64 exec, exec, s[6:7]
	s_and_saveexec_b64 s[6:7], s[4:5]
	s_cbranch_execz .LBB30_968
.LBB30_967:
	v_and_b32_e32 v3, 7, v4
	v_ffbh_u32_e32 v7, v3
	v_min_u32_e32 v7, 32, v7
	v_lshrrev_b16_e32 v6, 3, v4
	v_subrev_u32_e32 v10, 28, v7
	v_and_b32_e32 v6, 15, v6
	v_lshlrev_b32_e32 v10, v10, v4
	v_sub_u32_e32 v7, 29, v7
	v_and_b32_e32 v10, 7, v10
	v_cmp_eq_u16_e32 vcc, 0, v6
	v_cndmask_b32_e32 v3, v3, v10, vcc
	v_cndmask_b32_e32 v6, v6, v7, vcc
	v_lshlrev_b32_e32 v7, 24, v4
	v_mov_b32_e32 v10, 0x3b800000
	v_lshlrev_b32_e32 v3, 20, v3
	v_and_b32_e32 v7, 0x80000000, v7
	v_lshl_add_u32 v6, v6, 23, v10
	v_or3_b32 v3, v7, v6, v3
.LBB30_968:
	s_or_b64 exec, exec, s[6:7]
	s_nop 0
	v_mfma_f32_16x16x4f32 a[0:3], v2, v3, a[0:3]
	v_lshrrev_b32_e32 v3, 8, v8
	s_movk_i32 s4, 0x7f
	v_cmp_gt_i16_sdwa s[6:7], v3, s4 src0_sel:BYTE_0 src1_sel:DWORD
	s_mov_b64 s[4:5], 0
                                        ; implicit-def: $sgpr10
	s_and_saveexec_b64 s[8:9], s[6:7]
	s_xor_b64 s[6:7], exec, s[8:9]
	s_cbranch_execnz .LBB30_3017
; %bb.969:
	s_or_saveexec_b64 s[6:7], s[6:7]
	v_mov_b32_e32 v2, s10
	s_xor_b64 exec, exec, s[6:7]
	s_cbranch_execnz .LBB30_3020
.LBB30_970:
	s_or_b64 exec, exec, s[6:7]
	s_and_saveexec_b64 s[6:7], s[4:5]
	s_cbranch_execz .LBB30_972
.LBB30_971:
	v_bfe_u32 v2, v8, 8, 3
	v_ffbh_u32_e32 v7, v2
	v_min_u32_e32 v7, 32, v7
	v_lshrrev_b16_e32 v6, 3, v3
	v_subrev_u32_e32 v10, 28, v7
	v_and_b32_e32 v6, 15, v6
	v_lshlrev_b32_e32 v3, v10, v3
	v_sub_u32_e32 v7, 29, v7
	v_and_b32_e32 v3, 7, v3
	v_cmp_eq_u16_e32 vcc, 0, v6
	v_cndmask_b32_e32 v2, v2, v3, vcc
	v_cndmask_b32_e32 v3, v6, v7, vcc
	v_lshlrev_b32_e32 v6, 16, v8
	v_mov_b32_e32 v7, 0x3b800000
	v_lshlrev_b32_e32 v2, 20, v2
	v_and_b32_e32 v6, 0x80000000, v6
	v_lshl_add_u32 v3, v3, 23, v7
	v_or3_b32 v2, v6, v3, v2
.LBB30_972:
	s_or_b64 exec, exec, s[6:7]
	v_lshrrev_b32_e32 v3, 8, v4
	s_movk_i32 s4, 0x7f
	v_cmp_gt_i16_sdwa s[6:7], v3, s4 src0_sel:BYTE_0 src1_sel:DWORD
	s_mov_b64 s[4:5], 0
                                        ; implicit-def: $sgpr10
	s_and_saveexec_b64 s[8:9], s[6:7]
	s_xor_b64 s[6:7], exec, s[8:9]
	s_cbranch_execnz .LBB30_3021
; %bb.973:
	s_or_saveexec_b64 s[6:7], s[6:7]
	v_mov_b32_e32 v6, s10
	s_xor_b64 exec, exec, s[6:7]
	s_cbranch_execnz .LBB30_3024
.LBB30_974:
	s_or_b64 exec, exec, s[6:7]
	s_and_saveexec_b64 s[6:7], s[4:5]
	s_cbranch_execz .LBB30_976
.LBB30_975:
	v_bfe_u32 v6, v4, 8, 3
	v_ffbh_u32_e32 v10, v6
	v_min_u32_e32 v10, 32, v10
	v_lshrrev_b16_e32 v7, 3, v3
	v_subrev_u32_e32 v11, 28, v10
	v_and_b32_e32 v7, 15, v7
	v_lshlrev_b32_e32 v3, v11, v3
	v_sub_u32_e32 v10, 29, v10
	v_and_b32_e32 v3, 7, v3
	v_cmp_eq_u16_e32 vcc, 0, v7
	v_cndmask_b32_e32 v3, v6, v3, vcc
	v_cndmask_b32_e32 v6, v7, v10, vcc
	v_lshlrev_b32_e32 v7, 16, v4
	v_mov_b32_e32 v10, 0x3b800000
	v_lshlrev_b32_e32 v3, 20, v3
	v_and_b32_e32 v7, 0x80000000, v7
	v_lshl_add_u32 v6, v6, 23, v10
	v_or3_b32 v6, v7, v6, v3
.LBB30_976:
	s_or_b64 exec, exec, s[6:7]
	s_nop 0
	v_mfma_f32_16x16x4f32 a[0:3], v2, v6, a[0:3]
	s_movk_i32 s4, 0xff
	v_and_b32_sdwa v3, v8, s4 dst_sel:DWORD dst_unused:UNUSED_PAD src0_sel:WORD_1 src1_sel:DWORD
	s_movk_i32 s4, 0x7f
	v_cmp_lt_i16_e32 vcc, s4, v3
	s_mov_b64 s[4:5], 0
                                        ; implicit-def: $sgpr10
	s_and_saveexec_b64 s[6:7], vcc
	s_xor_b64 s[6:7], exec, s[6:7]
	s_cbranch_execnz .LBB30_3025
; %bb.977:
	s_or_saveexec_b64 s[6:7], s[6:7]
	v_mov_b32_e32 v2, s10
	s_xor_b64 exec, exec, s[6:7]
	s_cbranch_execnz .LBB30_3028
.LBB30_978:
	s_or_b64 exec, exec, s[6:7]
	s_and_saveexec_b64 s[6:7], s[4:5]
	s_cbranch_execz .LBB30_980
.LBB30_979:
	v_bfe_u32 v2, v8, 16, 3
	v_ffbh_u32_e32 v7, v2
	v_min_u32_e32 v7, 32, v7
	v_lshrrev_b32_e32 v3, 19, v8
	v_subrev_u32_e32 v10, 28, v7
	v_and_b32_e32 v3, 15, v3
	v_lshlrev_b32_sdwa v10, v10, v8 dst_sel:DWORD dst_unused:UNUSED_PAD src0_sel:DWORD src1_sel:WORD_1
	v_bfe_u32 v6, v8, 19, 4
	v_sub_u32_e32 v7, 29, v7
	v_and_b32_e32 v10, 7, v10
	v_cmp_eq_u16_e32 vcc, 0, v3
	v_cndmask_b32_e32 v2, v2, v10, vcc
	v_cndmask_b32_e32 v3, v6, v7, vcc
	v_lshlrev_b32_e32 v6, 8, v8
	v_mov_b32_e32 v7, 0x3b800000
	v_lshlrev_b32_e32 v2, 20, v2
	v_and_b32_e32 v6, 0x80000000, v6
	v_lshl_add_u32 v3, v3, 23, v7
	v_or3_b32 v2, v6, v3, v2
.LBB30_980:
	s_or_b64 exec, exec, s[6:7]
	s_movk_i32 s4, 0xff
	v_and_b32_sdwa v3, v4, s4 dst_sel:DWORD dst_unused:UNUSED_PAD src0_sel:WORD_1 src1_sel:DWORD
	s_movk_i32 s4, 0x7f
	v_cmp_lt_i16_e32 vcc, s4, v3
	s_mov_b64 s[4:5], 0
                                        ; implicit-def: $sgpr10
	s_and_saveexec_b64 s[6:7], vcc
	s_xor_b64 s[6:7], exec, s[6:7]
	s_cbranch_execnz .LBB30_3029
; %bb.981:
	s_or_saveexec_b64 s[6:7], s[6:7]
	v_mov_b32_e32 v6, s10
	s_xor_b64 exec, exec, s[6:7]
	s_cbranch_execnz .LBB30_3032
.LBB30_982:
	s_or_b64 exec, exec, s[6:7]
	s_and_saveexec_b64 s[6:7], s[4:5]
	s_cbranch_execz .LBB30_984
.LBB30_983:
	v_bfe_u32 v3, v4, 16, 3
	v_ffbh_u32_e32 v10, v3
	v_min_u32_e32 v10, 32, v10
	v_lshrrev_b32_e32 v6, 19, v4
	v_subrev_u32_e32 v11, 28, v10
	v_and_b32_e32 v6, 15, v6
	v_lshlrev_b32_sdwa v11, v11, v4 dst_sel:DWORD dst_unused:UNUSED_PAD src0_sel:DWORD src1_sel:WORD_1
	v_bfe_u32 v7, v4, 19, 4
	v_sub_u32_e32 v10, 29, v10
	v_and_b32_e32 v11, 7, v11
	v_cmp_eq_u16_e32 vcc, 0, v6
	v_cndmask_b32_e32 v3, v3, v11, vcc
	v_cndmask_b32_e32 v6, v7, v10, vcc
	v_lshlrev_b32_e32 v7, 8, v4
	v_mov_b32_e32 v10, 0x3b800000
	v_lshlrev_b32_e32 v3, 20, v3
	v_and_b32_e32 v7, 0x80000000, v7
	v_lshl_add_u32 v6, v6, 23, v10
	v_or3_b32 v6, v7, v6, v3
.LBB30_984:
	s_or_b64 exec, exec, s[6:7]
	s_nop 0
	v_mfma_f32_16x16x4f32 a[0:3], v2, v6, a[0:3]
	s_movk_i32 s4, 0x7f
	v_cmp_gt_i16_sdwa s[6:7], v8, s4 src0_sel:BYTE_3 src1_sel:DWORD
	s_mov_b64 s[4:5], 0
                                        ; implicit-def: $sgpr10
	s_and_saveexec_b64 s[8:9], s[6:7]
	s_xor_b64 s[6:7], exec, s[8:9]
	s_cbranch_execnz .LBB30_3033
; %bb.985:
	s_or_saveexec_b64 s[6:7], s[6:7]
	v_mov_b32_e32 v2, s10
	s_xor_b64 exec, exec, s[6:7]
	s_cbranch_execnz .LBB30_3036
.LBB30_986:
	s_or_b64 exec, exec, s[6:7]
	s_and_saveexec_b64 s[6:7], s[4:5]
	s_cbranch_execz .LBB30_988
.LBB30_987:
	v_bfe_u32 v2, v8, 24, 3
	v_ffbh_u32_e32 v10, v2
	v_min_u32_e32 v10, 32, v10
	v_lshrrev_b32_e32 v6, 27, v8
	v_subrev_u32_e32 v11, 28, v10
	v_and_b32_e32 v3, 0x80000000, v8
	v_and_b32_e32 v6, 15, v6
	v_bfe_u32 v7, v8, 27, 4
	v_lshlrev_b32_sdwa v8, v11, v8 dst_sel:DWORD dst_unused:UNUSED_PAD src0_sel:DWORD src1_sel:BYTE_3
	v_sub_u32_e32 v10, 29, v10
	v_and_b32_e32 v8, 7, v8
	v_cmp_eq_u16_e32 vcc, 0, v6
	v_cndmask_b32_e32 v2, v2, v8, vcc
	v_cndmask_b32_e32 v6, v7, v10, vcc
	v_mov_b32_e32 v7, 0x3b800000
	v_lshlrev_b32_e32 v2, 20, v2
	v_lshl_add_u32 v6, v6, 23, v7
	v_or3_b32 v2, v3, v6, v2
.LBB30_988:
	s_or_b64 exec, exec, s[6:7]
	s_movk_i32 s4, 0x7f
	v_cmp_gt_i16_sdwa s[6:7], v4, s4 src0_sel:BYTE_3 src1_sel:DWORD
	s_mov_b64 s[4:5], 0
                                        ; implicit-def: $sgpr10
	s_and_saveexec_b64 s[8:9], s[6:7]
	s_xor_b64 s[6:7], exec, s[8:9]
	s_cbranch_execnz .LBB30_3037
; %bb.989:
	s_or_saveexec_b64 s[6:7], s[6:7]
	v_mov_b32_e32 v3, s10
	s_xor_b64 exec, exec, s[6:7]
	s_cbranch_execnz .LBB30_3040
.LBB30_990:
	s_or_b64 exec, exec, s[6:7]
	s_and_saveexec_b64 s[6:7], s[4:5]
	s_cbranch_execz .LBB30_992
.LBB30_991:
	v_bfe_u32 v3, v4, 24, 3
	v_ffbh_u32_e32 v10, v3
	v_min_u32_e32 v10, 32, v10
	v_lshrrev_b32_e32 v7, 27, v4
	v_subrev_u32_e32 v11, 28, v10
	v_and_b32_e32 v6, 0x80000000, v4
	v_and_b32_e32 v7, 15, v7
	v_bfe_u32 v8, v4, 27, 4
	v_lshlrev_b32_sdwa v4, v11, v4 dst_sel:DWORD dst_unused:UNUSED_PAD src0_sel:DWORD src1_sel:BYTE_3
	v_sub_u32_e32 v10, 29, v10
	v_and_b32_e32 v4, 7, v4
	v_cmp_eq_u16_e32 vcc, 0, v7
	v_cndmask_b32_e32 v3, v3, v4, vcc
	v_cndmask_b32_e32 v4, v8, v10, vcc
	v_mov_b32_e32 v7, 0x3b800000
	v_lshlrev_b32_e32 v3, 20, v3
	v_lshl_add_u32 v4, v4, 23, v7
	v_or3_b32 v3, v6, v4, v3
.LBB30_992:
	s_or_b64 exec, exec, s[6:7]
	s_nop 0
	v_mfma_f32_16x16x4f32 a[0:3], v2, v3, a[0:3]
	s_movk_i32 s4, 0x7f
	v_cmp_gt_i16_sdwa s[6:7], v9, s4 src0_sel:BYTE_0 src1_sel:DWORD
	s_mov_b64 s[4:5], 0
                                        ; implicit-def: $sgpr10
	s_and_saveexec_b64 s[8:9], s[6:7]
	s_xor_b64 s[6:7], exec, s[8:9]
	s_cbranch_execnz .LBB30_3041
; %bb.993:
	s_or_saveexec_b64 s[6:7], s[6:7]
	v_mov_b32_e32 v2, s10
	s_xor_b64 exec, exec, s[6:7]
	s_cbranch_execnz .LBB30_3044
.LBB30_994:
	s_or_b64 exec, exec, s[6:7]
	s_and_saveexec_b64 s[6:7], s[4:5]
	s_cbranch_execz .LBB30_996
.LBB30_995:
	v_mov_b32_e32 v2, 8
	v_and_b32_e32 v3, 7, v9
	v_lshrrev_b32_sdwa v2, v2, v9 dst_sel:BYTE_1 dst_unused:UNUSED_PAD src0_sel:DWORD src1_sel:DWORD
	v_ffbh_u32_e32 v4, v3
	v_or_b32_sdwa v2, v9, v2 dst_sel:DWORD dst_unused:UNUSED_PAD src0_sel:BYTE_0 src1_sel:DWORD
	v_min_u32_e32 v4, 32, v4
	v_lshrrev_b16_e32 v2, 3, v2
	v_subrev_u32_e32 v6, 28, v4
	v_and_b32_e32 v2, 15, v2
	v_lshlrev_b32_e32 v6, v6, v9
	v_sub_u32_e32 v4, 29, v4
	v_and_b32_e32 v6, 7, v6
	v_cmp_eq_u16_e32 vcc, 0, v2
	v_cndmask_b32_e32 v3, v3, v6, vcc
	v_cndmask_b32_e32 v2, v2, v4, vcc
	v_lshlrev_b32_e32 v4, 24, v9
	v_mov_b32_e32 v6, 0x3b800000
	v_lshlrev_b32_e32 v3, 20, v3
	v_and_b32_e32 v4, 0x80000000, v4
	v_lshl_add_u32 v2, v2, 23, v6
	v_or3_b32 v2, v4, v2, v3
.LBB30_996:
	s_or_b64 exec, exec, s[6:7]
	s_movk_i32 s4, 0x7f
	v_cmp_gt_i16_sdwa s[6:7], v5, s4 src0_sel:BYTE_0 src1_sel:DWORD
	s_mov_b64 s[4:5], 0
                                        ; implicit-def: $sgpr10
	s_and_saveexec_b64 s[8:9], s[6:7]
	s_xor_b64 s[6:7], exec, s[8:9]
	s_cbranch_execnz .LBB30_3045
; %bb.997:
	s_or_saveexec_b64 s[6:7], s[6:7]
	v_mov_b32_e32 v3, s10
	s_xor_b64 exec, exec, s[6:7]
	s_cbranch_execnz .LBB30_3048
.LBB30_998:
	s_or_b64 exec, exec, s[6:7]
	s_and_saveexec_b64 s[6:7], s[4:5]
	s_cbranch_execz .LBB30_1000
.LBB30_999:
	v_mov_b32_e32 v3, 8
	v_and_b32_e32 v4, 7, v5
	v_lshrrev_b32_sdwa v3, v3, v5 dst_sel:BYTE_1 dst_unused:UNUSED_PAD src0_sel:DWORD src1_sel:DWORD
	v_ffbh_u32_e32 v6, v4
	v_or_b32_sdwa v3, v5, v3 dst_sel:DWORD dst_unused:UNUSED_PAD src0_sel:BYTE_0 src1_sel:DWORD
	v_min_u32_e32 v6, 32, v6
	v_lshrrev_b16_e32 v3, 3, v3
	v_subrev_u32_e32 v7, 28, v6
	v_and_b32_e32 v3, 15, v3
	v_lshlrev_b32_e32 v7, v7, v5
	v_sub_u32_e32 v6, 29, v6
	v_and_b32_e32 v7, 7, v7
	v_cmp_eq_u16_e32 vcc, 0, v3
	v_cndmask_b32_e32 v4, v4, v7, vcc
	v_cndmask_b32_e32 v3, v3, v6, vcc
	v_lshlrev_b32_e32 v6, 24, v5
	v_mov_b32_e32 v7, 0x3b800000
	v_lshlrev_b32_e32 v4, 20, v4
	v_and_b32_e32 v6, 0x80000000, v6
	v_lshl_add_u32 v3, v3, 23, v7
	v_or3_b32 v3, v6, v3, v4
.LBB30_1000:
	s_or_b64 exec, exec, s[6:7]
	s_nop 0
	v_mfma_f32_16x16x4f32 a[0:3], v2, v3, a[0:3]
	v_lshrrev_b32_e32 v3, 8, v9
	s_movk_i32 s4, 0x7f
	v_cmp_gt_i16_sdwa s[6:7], v3, s4 src0_sel:BYTE_0 src1_sel:DWORD
	s_mov_b64 s[4:5], 0
                                        ; implicit-def: $sgpr10
	s_and_saveexec_b64 s[8:9], s[6:7]
	s_xor_b64 s[6:7], exec, s[8:9]
	s_cbranch_execnz .LBB30_3049
; %bb.1001:
	s_or_saveexec_b64 s[6:7], s[6:7]
	v_mov_b32_e32 v2, s10
	s_xor_b64 exec, exec, s[6:7]
	s_cbranch_execnz .LBB30_3052
.LBB30_1002:
	s_or_b64 exec, exec, s[6:7]
	s_and_saveexec_b64 s[6:7], s[4:5]
	s_cbranch_execz .LBB30_1004
.LBB30_1003:
	v_bfe_u32 v2, v9, 8, 3
	v_ffbh_u32_e32 v6, v2
	v_min_u32_e32 v6, 32, v6
	v_lshrrev_b16_e32 v4, 3, v3
	v_subrev_u32_e32 v7, 28, v6
	v_and_b32_e32 v4, 15, v4
	v_lshlrev_b32_e32 v3, v7, v3
	v_sub_u32_e32 v6, 29, v6
	v_and_b32_e32 v3, 7, v3
	v_cmp_eq_u16_e32 vcc, 0, v4
	v_cndmask_b32_e32 v2, v2, v3, vcc
	v_cndmask_b32_e32 v3, v4, v6, vcc
	v_lshlrev_b32_e32 v4, 16, v9
	v_mov_b32_e32 v6, 0x3b800000
	v_lshlrev_b32_e32 v2, 20, v2
	v_and_b32_e32 v4, 0x80000000, v4
	v_lshl_add_u32 v3, v3, 23, v6
	v_or3_b32 v2, v4, v3, v2
.LBB30_1004:
	s_or_b64 exec, exec, s[6:7]
	v_lshrrev_b32_e32 v3, 8, v5
	s_movk_i32 s4, 0x7f
	v_cmp_gt_i16_sdwa s[6:7], v3, s4 src0_sel:BYTE_0 src1_sel:DWORD
	s_mov_b64 s[4:5], 0
                                        ; implicit-def: $sgpr10
	s_and_saveexec_b64 s[8:9], s[6:7]
	s_xor_b64 s[6:7], exec, s[8:9]
	s_cbranch_execnz .LBB30_3053
; %bb.1005:
	s_or_saveexec_b64 s[6:7], s[6:7]
	v_mov_b32_e32 v4, s10
	s_xor_b64 exec, exec, s[6:7]
	s_cbranch_execnz .LBB30_3056
.LBB30_1006:
	s_or_b64 exec, exec, s[6:7]
	s_and_saveexec_b64 s[6:7], s[4:5]
	s_cbranch_execz .LBB30_1008
.LBB30_1007:
	v_bfe_u32 v4, v5, 8, 3
	v_ffbh_u32_e32 v7, v4
	v_min_u32_e32 v7, 32, v7
	v_lshrrev_b16_e32 v6, 3, v3
	v_subrev_u32_e32 v8, 28, v7
	v_and_b32_e32 v6, 15, v6
	v_lshlrev_b32_e32 v3, v8, v3
	v_sub_u32_e32 v7, 29, v7
	v_and_b32_e32 v3, 7, v3
	v_cmp_eq_u16_e32 vcc, 0, v6
	v_cndmask_b32_e32 v3, v4, v3, vcc
	v_cndmask_b32_e32 v4, v6, v7, vcc
	v_lshlrev_b32_e32 v6, 16, v5
	v_mov_b32_e32 v7, 0x3b800000
	v_lshlrev_b32_e32 v3, 20, v3
	v_and_b32_e32 v6, 0x80000000, v6
	v_lshl_add_u32 v4, v4, 23, v7
	v_or3_b32 v4, v6, v4, v3
.LBB30_1008:
	s_or_b64 exec, exec, s[6:7]
	s_nop 0
	v_mfma_f32_16x16x4f32 a[0:3], v2, v4, a[0:3]
	s_movk_i32 s4, 0xff
	v_and_b32_sdwa v3, v9, s4 dst_sel:DWORD dst_unused:UNUSED_PAD src0_sel:WORD_1 src1_sel:DWORD
	s_movk_i32 s4, 0x7f
	v_cmp_lt_i16_e32 vcc, s4, v3
	s_mov_b64 s[4:5], 0
                                        ; implicit-def: $sgpr10
	s_and_saveexec_b64 s[6:7], vcc
	s_xor_b64 s[6:7], exec, s[6:7]
	s_cbranch_execnz .LBB30_3057
; %bb.1009:
	s_or_saveexec_b64 s[6:7], s[6:7]
	v_mov_b32_e32 v2, s10
	s_xor_b64 exec, exec, s[6:7]
	s_cbranch_execnz .LBB30_3060
.LBB30_1010:
	s_or_b64 exec, exec, s[6:7]
	s_and_saveexec_b64 s[6:7], s[4:5]
	s_cbranch_execz .LBB30_1012
.LBB30_1011:
	v_bfe_u32 v2, v9, 16, 3
	v_ffbh_u32_e32 v6, v2
	v_min_u32_e32 v6, 32, v6
	v_lshrrev_b32_e32 v3, 19, v9
	v_subrev_u32_e32 v7, 28, v6
	v_and_b32_e32 v3, 15, v3
	v_lshlrev_b32_sdwa v7, v7, v9 dst_sel:DWORD dst_unused:UNUSED_PAD src0_sel:DWORD src1_sel:WORD_1
	v_bfe_u32 v4, v9, 19, 4
	v_sub_u32_e32 v6, 29, v6
	v_and_b32_e32 v7, 7, v7
	v_cmp_eq_u16_e32 vcc, 0, v3
	v_cndmask_b32_e32 v2, v2, v7, vcc
	v_cndmask_b32_e32 v3, v4, v6, vcc
	v_lshlrev_b32_e32 v4, 8, v9
	v_mov_b32_e32 v6, 0x3b800000
	v_lshlrev_b32_e32 v2, 20, v2
	v_and_b32_e32 v4, 0x80000000, v4
	v_lshl_add_u32 v3, v3, 23, v6
	v_or3_b32 v2, v4, v3, v2
.LBB30_1012:
	s_or_b64 exec, exec, s[6:7]
	s_movk_i32 s4, 0xff
	v_and_b32_sdwa v3, v5, s4 dst_sel:DWORD dst_unused:UNUSED_PAD src0_sel:WORD_1 src1_sel:DWORD
	s_movk_i32 s4, 0x7f
	v_cmp_lt_i16_e32 vcc, s4, v3
	s_mov_b64 s[4:5], 0
                                        ; implicit-def: $sgpr10
	s_and_saveexec_b64 s[6:7], vcc
	s_xor_b64 s[6:7], exec, s[6:7]
	s_cbranch_execnz .LBB30_3061
; %bb.1013:
	s_or_saveexec_b64 s[6:7], s[6:7]
	v_mov_b32_e32 v4, s10
	s_xor_b64 exec, exec, s[6:7]
	s_cbranch_execnz .LBB30_3064
.LBB30_1014:
	s_or_b64 exec, exec, s[6:7]
	s_and_saveexec_b64 s[6:7], s[4:5]
	s_cbranch_execz .LBB30_1016
.LBB30_1015:
	v_bfe_u32 v3, v5, 16, 3
	v_ffbh_u32_e32 v7, v3
	v_min_u32_e32 v7, 32, v7
	v_lshrrev_b32_e32 v4, 19, v5
	v_subrev_u32_e32 v8, 28, v7
	v_and_b32_e32 v4, 15, v4
	v_lshlrev_b32_sdwa v8, v8, v5 dst_sel:DWORD dst_unused:UNUSED_PAD src0_sel:DWORD src1_sel:WORD_1
	v_bfe_u32 v6, v5, 19, 4
	v_sub_u32_e32 v7, 29, v7
	v_and_b32_e32 v8, 7, v8
	v_cmp_eq_u16_e32 vcc, 0, v4
	v_cndmask_b32_e32 v3, v3, v8, vcc
	v_cndmask_b32_e32 v4, v6, v7, vcc
	v_lshlrev_b32_e32 v6, 8, v5
	v_mov_b32_e32 v7, 0x3b800000
	v_lshlrev_b32_e32 v3, 20, v3
	v_and_b32_e32 v6, 0x80000000, v6
	v_lshl_add_u32 v4, v4, 23, v7
	v_or3_b32 v4, v6, v4, v3
.LBB30_1016:
	s_or_b64 exec, exec, s[6:7]
	s_nop 0
	v_mfma_f32_16x16x4f32 a[0:3], v2, v4, a[0:3]
	s_movk_i32 s4, 0x7f
	v_cmp_gt_i16_sdwa s[6:7], v9, s4 src0_sel:BYTE_3 src1_sel:DWORD
	s_mov_b64 s[4:5], 0
                                        ; implicit-def: $sgpr10
	s_and_saveexec_b64 s[8:9], s[6:7]
	s_xor_b64 s[6:7], exec, s[8:9]
	s_cbranch_execnz .LBB30_3065
; %bb.1017:
	s_or_saveexec_b64 s[6:7], s[6:7]
	v_mov_b32_e32 v2, s10
	s_xor_b64 exec, exec, s[6:7]
	s_cbranch_execnz .LBB30_3068
.LBB30_1018:
	s_or_b64 exec, exec, s[6:7]
	s_and_saveexec_b64 s[6:7], s[4:5]
	s_cbranch_execz .LBB30_1020
.LBB30_1019:
	v_bfe_u32 v2, v9, 24, 3
	v_ffbh_u32_e32 v7, v2
	v_min_u32_e32 v7, 32, v7
	v_lshrrev_b32_e32 v4, 27, v9
	v_subrev_u32_e32 v8, 28, v7
	v_and_b32_e32 v4, 15, v4
	v_lshlrev_b32_sdwa v8, v8, v9 dst_sel:DWORD dst_unused:UNUSED_PAD src0_sel:DWORD src1_sel:BYTE_3
	v_bfe_u32 v6, v9, 27, 4
	v_sub_u32_e32 v7, 29, v7
	v_and_b32_e32 v8, 7, v8
	v_cmp_eq_u16_e32 vcc, 0, v4
	v_cndmask_b32_e32 v2, v2, v8, vcc
	v_cndmask_b32_e32 v4, v6, v7, vcc
	v_mov_b32_e32 v6, 0x3b800000
	v_and_b32_e32 v3, 0x80000000, v9
	v_lshlrev_b32_e32 v2, 20, v2
	v_lshl_add_u32 v4, v4, 23, v6
	v_or3_b32 v2, v3, v4, v2
.LBB30_1020:
	s_or_b64 exec, exec, s[6:7]
	s_movk_i32 s4, 0x7f
	v_cmp_gt_i16_sdwa s[6:7], v5, s4 src0_sel:BYTE_3 src1_sel:DWORD
	s_mov_b64 s[4:5], 0
                                        ; implicit-def: $sgpr10
	s_and_saveexec_b64 s[8:9], s[6:7]
	s_xor_b64 s[6:7], exec, s[8:9]
	s_cbranch_execnz .LBB30_3069
; %bb.1021:
	s_or_saveexec_b64 s[6:7], s[6:7]
	v_mov_b32_e32 v3, s10
	s_xor_b64 exec, exec, s[6:7]
	s_cbranch_execnz .LBB30_3072
.LBB30_1022:
	s_or_b64 exec, exec, s[6:7]
	s_and_saveexec_b64 s[6:7], s[4:5]
	s_cbranch_execz .LBB30_1024
.LBB30_1023:
	v_bfe_u32 v3, v5, 24, 3
	v_ffbh_u32_e32 v8, v3
	v_min_u32_e32 v8, 32, v8
	v_lshrrev_b32_e32 v6, 27, v5
	v_subrev_u32_e32 v9, 28, v8
	v_and_b32_e32 v4, 0x80000000, v5
	v_and_b32_e32 v6, 15, v6
	v_bfe_u32 v7, v5, 27, 4
	v_lshlrev_b32_sdwa v5, v9, v5 dst_sel:DWORD dst_unused:UNUSED_PAD src0_sel:DWORD src1_sel:BYTE_3
	v_sub_u32_e32 v8, 29, v8
	v_and_b32_e32 v5, 7, v5
	v_cmp_eq_u16_e32 vcc, 0, v6
	v_cndmask_b32_e32 v3, v3, v5, vcc
	v_cndmask_b32_e32 v5, v7, v8, vcc
	v_mov_b32_e32 v6, 0x3b800000
	v_lshlrev_b32_e32 v3, 20, v3
	v_lshl_add_u32 v5, v5, 23, v6
	v_or3_b32 v3, v4, v5, v3
.LBB30_1024:
	s_or_b64 exec, exec, s[6:7]
	s_nop 0
	v_mfma_f32_16x16x4f32 a[0:3], v2, v3, a[0:3]
	s_movk_i32 s4, 0x7f
                                        ; implicit-def: $sgpr10
	s_nop 7
	s_nop 1
	flat_store_dwordx4 v[18:19], a[0:3] offset:304
	flat_load_dwordx4 v[20:23], v[0:1] offset:16
	s_nop 0
	flat_load_dwordx2 v[18:19], v[0:1] offset:32
	s_waitcnt vmcnt(0) lgkmcnt(0)
	flat_load_dwordx4 v[14:17], v[20:21]
	flat_load_dwordx4 v[6:9], v[20:21] offset:16
	flat_load_dwordx4 v[10:13], v[22:23] offset:128
	;; [unrolled: 1-line block ×3, first 2 shown]
	s_waitcnt vmcnt(0) lgkmcnt(0)
	v_cmp_gt_i16_sdwa s[6:7], v14, s4 src0_sel:BYTE_0 src1_sel:DWORD
	s_mov_b64 s[4:5], 0
	s_and_saveexec_b64 s[8:9], s[6:7]
	s_xor_b64 s[6:7], exec, s[8:9]
	s_cbranch_execnz .LBB30_3073
; %bb.1025:
	s_or_saveexec_b64 s[6:7], s[6:7]
	v_mov_b32_e32 v20, s10
	s_xor_b64 exec, exec, s[6:7]
	s_cbranch_execnz .LBB30_3076
.LBB30_1026:
	s_or_b64 exec, exec, s[6:7]
	s_and_saveexec_b64 s[6:7], s[4:5]
	s_cbranch_execz .LBB30_1028
.LBB30_1027:
	v_and_b32_e32 v20, 7, v14
	v_ffbh_u32_e32 v22, v20
	v_min_u32_e32 v22, 32, v22
	v_lshrrev_b16_e32 v21, 3, v14
	v_subrev_u32_e32 v23, 28, v22
	v_and_b32_e32 v21, 15, v21
	v_lshlrev_b32_e32 v23, v23, v14
	v_sub_u32_e32 v22, 29, v22
	v_and_b32_e32 v23, 7, v23
	v_cmp_eq_u16_e32 vcc, 0, v21
	v_cndmask_b32_e32 v20, v20, v23, vcc
	v_cndmask_b32_e32 v21, v21, v22, vcc
	v_lshlrev_b32_e32 v22, 24, v14
	v_mov_b32_e32 v23, 0x3b800000
	v_lshlrev_b32_e32 v20, 20, v20
	v_and_b32_e32 v22, 0x80000000, v22
	v_lshl_add_u32 v21, v21, 23, v23
	v_or3_b32 v20, v22, v21, v20
.LBB30_1028:
	s_or_b64 exec, exec, s[6:7]
	s_movk_i32 s4, 0x7f
	v_cmp_gt_i16_sdwa s[6:7], v10, s4 src0_sel:BYTE_0 src1_sel:DWORD
	s_mov_b64 s[4:5], 0
                                        ; implicit-def: $sgpr10
	s_and_saveexec_b64 s[8:9], s[6:7]
	s_xor_b64 s[6:7], exec, s[8:9]
	s_cbranch_execnz .LBB30_3077
; %bb.1029:
	s_or_saveexec_b64 s[6:7], s[6:7]
	v_mov_b32_e32 v21, s10
	s_xor_b64 exec, exec, s[6:7]
	s_cbranch_execnz .LBB30_3080
.LBB30_1030:
	s_or_b64 exec, exec, s[6:7]
	s_and_saveexec_b64 s[6:7], s[4:5]
	s_cbranch_execz .LBB30_1032
.LBB30_1031:
	v_and_b32_e32 v21, 7, v10
	v_ffbh_u32_e32 v23, v21
	v_min_u32_e32 v23, 32, v23
	v_lshrrev_b16_e32 v22, 3, v10
	v_subrev_u32_e32 v24, 28, v23
	v_and_b32_e32 v22, 15, v22
	v_lshlrev_b32_e32 v24, v24, v10
	v_sub_u32_e32 v23, 29, v23
	v_and_b32_e32 v24, 7, v24
	v_cmp_eq_u16_e32 vcc, 0, v22
	v_cndmask_b32_e32 v21, v21, v24, vcc
	v_cndmask_b32_e32 v22, v22, v23, vcc
	v_lshlrev_b32_e32 v23, 24, v10
	v_mov_b32_e32 v24, 0x3b800000
	v_lshlrev_b32_e32 v21, 20, v21
	v_and_b32_e32 v23, 0x80000000, v23
	v_lshl_add_u32 v22, v22, 23, v24
	v_or3_b32 v21, v23, v22, v21
.LBB30_1032:
	s_or_b64 exec, exec, s[6:7]
	flat_load_dwordx4 a[0:3], v[18:19] offset:320
	s_movk_i32 s4, 0x7f
                                        ; implicit-def: $sgpr10
	s_waitcnt vmcnt(0) lgkmcnt(0)
	v_mfma_f32_16x16x4f32 a[0:3], v20, v21, a[0:3]
	v_lshrrev_b32_e32 v21, 8, v14
	v_cmp_gt_i16_sdwa s[6:7], v21, s4 src0_sel:BYTE_0 src1_sel:DWORD
	s_mov_b64 s[4:5], 0
	s_and_saveexec_b64 s[8:9], s[6:7]
	s_xor_b64 s[6:7], exec, s[8:9]
	s_cbranch_execnz .LBB30_3081
; %bb.1033:
	s_or_saveexec_b64 s[6:7], s[6:7]
	v_mov_b32_e32 v20, s10
	s_xor_b64 exec, exec, s[6:7]
	s_cbranch_execnz .LBB30_3084
.LBB30_1034:
	s_or_b64 exec, exec, s[6:7]
	s_and_saveexec_b64 s[6:7], s[4:5]
	s_cbranch_execz .LBB30_1036
.LBB30_1035:
	v_bfe_u32 v20, v14, 8, 3
	v_ffbh_u32_e32 v23, v20
	v_min_u32_e32 v23, 32, v23
	v_lshrrev_b16_e32 v22, 3, v21
	v_subrev_u32_e32 v24, 28, v23
	v_and_b32_e32 v22, 15, v22
	v_lshlrev_b32_e32 v21, v24, v21
	v_sub_u32_e32 v23, 29, v23
	v_and_b32_e32 v21, 7, v21
	v_cmp_eq_u16_e32 vcc, 0, v22
	v_cndmask_b32_e32 v20, v20, v21, vcc
	v_cndmask_b32_e32 v21, v22, v23, vcc
	v_lshlrev_b32_e32 v22, 16, v14
	v_mov_b32_e32 v23, 0x3b800000
	v_lshlrev_b32_e32 v20, 20, v20
	v_and_b32_e32 v22, 0x80000000, v22
	v_lshl_add_u32 v21, v21, 23, v23
	v_or3_b32 v20, v22, v21, v20
.LBB30_1036:
	s_or_b64 exec, exec, s[6:7]
	v_lshrrev_b32_e32 v21, 8, v10
	s_movk_i32 s4, 0x7f
	v_cmp_gt_i16_sdwa s[6:7], v21, s4 src0_sel:BYTE_0 src1_sel:DWORD
	s_mov_b64 s[4:5], 0
                                        ; implicit-def: $sgpr10
	s_and_saveexec_b64 s[8:9], s[6:7]
	s_xor_b64 s[6:7], exec, s[8:9]
	s_cbranch_execnz .LBB30_3085
; %bb.1037:
	s_or_saveexec_b64 s[6:7], s[6:7]
	v_mov_b32_e32 v22, s10
	s_xor_b64 exec, exec, s[6:7]
	s_cbranch_execnz .LBB30_3088
.LBB30_1038:
	s_or_b64 exec, exec, s[6:7]
	s_and_saveexec_b64 s[6:7], s[4:5]
	s_cbranch_execz .LBB30_1040
.LBB30_1039:
	v_bfe_u32 v22, v10, 8, 3
	v_ffbh_u32_e32 v24, v22
	v_min_u32_e32 v24, 32, v24
	v_lshrrev_b16_e32 v23, 3, v21
	v_subrev_u32_e32 v25, 28, v24
	v_and_b32_e32 v23, 15, v23
	v_lshlrev_b32_e32 v21, v25, v21
	v_sub_u32_e32 v24, 29, v24
	v_and_b32_e32 v21, 7, v21
	v_cmp_eq_u16_e32 vcc, 0, v23
	v_cndmask_b32_e32 v21, v22, v21, vcc
	v_cndmask_b32_e32 v22, v23, v24, vcc
	v_lshlrev_b32_e32 v23, 16, v10
	v_mov_b32_e32 v24, 0x3b800000
	v_lshlrev_b32_e32 v21, 20, v21
	v_and_b32_e32 v23, 0x80000000, v23
	v_lshl_add_u32 v22, v22, 23, v24
	v_or3_b32 v22, v23, v22, v21
.LBB30_1040:
	s_or_b64 exec, exec, s[6:7]
	s_nop 0
	v_mfma_f32_16x16x4f32 a[0:3], v20, v22, a[0:3]
	s_movk_i32 s4, 0xff
	v_and_b32_sdwa v21, v14, s4 dst_sel:DWORD dst_unused:UNUSED_PAD src0_sel:WORD_1 src1_sel:DWORD
	s_movk_i32 s4, 0x7f
	v_cmp_lt_i16_e32 vcc, s4, v21
	s_mov_b64 s[4:5], 0
                                        ; implicit-def: $sgpr10
	s_and_saveexec_b64 s[6:7], vcc
	s_xor_b64 s[6:7], exec, s[6:7]
	s_cbranch_execnz .LBB30_3089
; %bb.1041:
	s_or_saveexec_b64 s[6:7], s[6:7]
	v_mov_b32_e32 v20, s10
	s_xor_b64 exec, exec, s[6:7]
	s_cbranch_execnz .LBB30_3092
.LBB30_1042:
	s_or_b64 exec, exec, s[6:7]
	s_and_saveexec_b64 s[6:7], s[4:5]
	s_cbranch_execz .LBB30_1044
.LBB30_1043:
	v_bfe_u32 v20, v14, 16, 3
	v_ffbh_u32_e32 v23, v20
	v_min_u32_e32 v23, 32, v23
	v_lshrrev_b32_e32 v21, 19, v14
	v_subrev_u32_e32 v24, 28, v23
	v_and_b32_e32 v21, 15, v21
	v_lshlrev_b32_sdwa v24, v24, v14 dst_sel:DWORD dst_unused:UNUSED_PAD src0_sel:DWORD src1_sel:WORD_1
	v_bfe_u32 v22, v14, 19, 4
	v_sub_u32_e32 v23, 29, v23
	v_and_b32_e32 v24, 7, v24
	v_cmp_eq_u16_e32 vcc, 0, v21
	v_cndmask_b32_e32 v20, v20, v24, vcc
	v_cndmask_b32_e32 v21, v22, v23, vcc
	v_lshlrev_b32_e32 v22, 8, v14
	v_mov_b32_e32 v23, 0x3b800000
	v_lshlrev_b32_e32 v20, 20, v20
	v_and_b32_e32 v22, 0x80000000, v22
	v_lshl_add_u32 v21, v21, 23, v23
	v_or3_b32 v20, v22, v21, v20
.LBB30_1044:
	s_or_b64 exec, exec, s[6:7]
	s_movk_i32 s4, 0xff
	v_and_b32_sdwa v21, v10, s4 dst_sel:DWORD dst_unused:UNUSED_PAD src0_sel:WORD_1 src1_sel:DWORD
	s_movk_i32 s4, 0x7f
	v_cmp_lt_i16_e32 vcc, s4, v21
	s_mov_b64 s[4:5], 0
                                        ; implicit-def: $sgpr10
	s_and_saveexec_b64 s[6:7], vcc
	s_xor_b64 s[6:7], exec, s[6:7]
	s_cbranch_execnz .LBB30_3093
; %bb.1045:
	s_or_saveexec_b64 s[6:7], s[6:7]
	v_mov_b32_e32 v22, s10
	s_xor_b64 exec, exec, s[6:7]
	s_cbranch_execnz .LBB30_3096
.LBB30_1046:
	s_or_b64 exec, exec, s[6:7]
	s_and_saveexec_b64 s[6:7], s[4:5]
	s_cbranch_execz .LBB30_1048
.LBB30_1047:
	v_bfe_u32 v21, v10, 16, 3
	v_ffbh_u32_e32 v24, v21
	v_min_u32_e32 v24, 32, v24
	v_lshrrev_b32_e32 v22, 19, v10
	v_subrev_u32_e32 v25, 28, v24
	v_and_b32_e32 v22, 15, v22
	v_lshlrev_b32_sdwa v25, v25, v10 dst_sel:DWORD dst_unused:UNUSED_PAD src0_sel:DWORD src1_sel:WORD_1
	v_bfe_u32 v23, v10, 19, 4
	v_sub_u32_e32 v24, 29, v24
	v_and_b32_e32 v25, 7, v25
	v_cmp_eq_u16_e32 vcc, 0, v22
	v_cndmask_b32_e32 v21, v21, v25, vcc
	v_cndmask_b32_e32 v22, v23, v24, vcc
	v_lshlrev_b32_e32 v23, 8, v10
	v_mov_b32_e32 v24, 0x3b800000
	v_lshlrev_b32_e32 v21, 20, v21
	v_and_b32_e32 v23, 0x80000000, v23
	v_lshl_add_u32 v22, v22, 23, v24
	v_or3_b32 v22, v23, v22, v21
.LBB30_1048:
	s_or_b64 exec, exec, s[6:7]
	s_nop 0
	v_mfma_f32_16x16x4f32 a[0:3], v20, v22, a[0:3]
	s_movk_i32 s4, 0x7f
	v_cmp_gt_i16_sdwa s[6:7], v14, s4 src0_sel:BYTE_3 src1_sel:DWORD
	s_mov_b64 s[4:5], 0
                                        ; implicit-def: $sgpr10
	s_and_saveexec_b64 s[8:9], s[6:7]
	s_xor_b64 s[6:7], exec, s[8:9]
	s_cbranch_execnz .LBB30_3097
; %bb.1049:
	s_or_saveexec_b64 s[6:7], s[6:7]
	v_mov_b32_e32 v20, s10
	s_xor_b64 exec, exec, s[6:7]
	s_cbranch_execnz .LBB30_3100
.LBB30_1050:
	s_or_b64 exec, exec, s[6:7]
	s_and_saveexec_b64 s[6:7], s[4:5]
	s_cbranch_execz .LBB30_1052
.LBB30_1051:
	v_bfe_u32 v20, v14, 24, 3
	v_ffbh_u32_e32 v24, v20
	v_min_u32_e32 v24, 32, v24
	v_lshrrev_b32_e32 v22, 27, v14
	v_subrev_u32_e32 v25, 28, v24
	v_and_b32_e32 v21, 0x80000000, v14
	v_and_b32_e32 v22, 15, v22
	v_bfe_u32 v23, v14, 27, 4
	v_lshlrev_b32_sdwa v14, v25, v14 dst_sel:DWORD dst_unused:UNUSED_PAD src0_sel:DWORD src1_sel:BYTE_3
	v_sub_u32_e32 v24, 29, v24
	v_and_b32_e32 v14, 7, v14
	v_cmp_eq_u16_e32 vcc, 0, v22
	v_cndmask_b32_e32 v14, v20, v14, vcc
	v_cndmask_b32_e32 v20, v23, v24, vcc
	v_mov_b32_e32 v22, 0x3b800000
	v_lshlrev_b32_e32 v14, 20, v14
	v_lshl_add_u32 v20, v20, 23, v22
	v_or3_b32 v20, v21, v20, v14
.LBB30_1052:
	s_or_b64 exec, exec, s[6:7]
	s_movk_i32 s4, 0x7f
	v_cmp_gt_i16_sdwa s[6:7], v10, s4 src0_sel:BYTE_3 src1_sel:DWORD
	s_mov_b64 s[4:5], 0
                                        ; implicit-def: $sgpr10
	s_and_saveexec_b64 s[8:9], s[6:7]
	s_xor_b64 s[6:7], exec, s[8:9]
	s_cbranch_execnz .LBB30_3101
; %bb.1053:
	s_or_saveexec_b64 s[6:7], s[6:7]
	v_mov_b32_e32 v14, s10
	s_xor_b64 exec, exec, s[6:7]
	s_cbranch_execnz .LBB30_3104
.LBB30_1054:
	s_or_b64 exec, exec, s[6:7]
	s_and_saveexec_b64 s[6:7], s[4:5]
	s_cbranch_execz .LBB30_1056
.LBB30_1055:
	v_bfe_u32 v14, v10, 24, 3
	v_ffbh_u32_e32 v24, v14
	v_min_u32_e32 v24, 32, v24
	v_lshrrev_b32_e32 v22, 27, v10
	v_subrev_u32_e32 v25, 28, v24
	v_and_b32_e32 v21, 0x80000000, v10
	v_and_b32_e32 v22, 15, v22
	v_bfe_u32 v23, v10, 27, 4
	v_lshlrev_b32_sdwa v10, v25, v10 dst_sel:DWORD dst_unused:UNUSED_PAD src0_sel:DWORD src1_sel:BYTE_3
	v_sub_u32_e32 v24, 29, v24
	v_and_b32_e32 v10, 7, v10
	v_cmp_eq_u16_e32 vcc, 0, v22
	v_cndmask_b32_e32 v10, v14, v10, vcc
	v_cndmask_b32_e32 v14, v23, v24, vcc
	v_mov_b32_e32 v22, 0x3b800000
	v_lshlrev_b32_e32 v10, 20, v10
	v_lshl_add_u32 v14, v14, 23, v22
	v_or3_b32 v14, v21, v14, v10
.LBB30_1056:
	s_or_b64 exec, exec, s[6:7]
	s_nop 0
	v_mfma_f32_16x16x4f32 a[0:3], v20, v14, a[0:3]
	s_movk_i32 s4, 0x7f
	v_cmp_gt_i16_sdwa s[6:7], v15, s4 src0_sel:BYTE_0 src1_sel:DWORD
	s_mov_b64 s[4:5], 0
                                        ; implicit-def: $sgpr10
	s_and_saveexec_b64 s[8:9], s[6:7]
	s_xor_b64 s[6:7], exec, s[8:9]
	s_cbranch_execnz .LBB30_3105
; %bb.1057:
	s_or_saveexec_b64 s[6:7], s[6:7]
	v_mov_b32_e32 v10, s10
	s_xor_b64 exec, exec, s[6:7]
	s_cbranch_execnz .LBB30_3108
.LBB30_1058:
	s_or_b64 exec, exec, s[6:7]
	s_and_saveexec_b64 s[6:7], s[4:5]
	s_cbranch_execz .LBB30_1060
.LBB30_1059:
	v_and_b32_e32 v10, 7, v15
	v_ffbh_u32_e32 v20, v10
	v_min_u32_e32 v20, 32, v20
	v_lshrrev_b16_e32 v14, 3, v15
	v_subrev_u32_e32 v21, 28, v20
	v_and_b32_e32 v14, 15, v14
	v_lshlrev_b32_e32 v21, v21, v15
	v_sub_u32_e32 v20, 29, v20
	v_and_b32_e32 v21, 7, v21
	v_cmp_eq_u16_e32 vcc, 0, v14
	v_cndmask_b32_e32 v10, v10, v21, vcc
	v_cndmask_b32_e32 v14, v14, v20, vcc
	v_lshlrev_b32_e32 v20, 24, v15
	v_mov_b32_e32 v21, 0x3b800000
	v_lshlrev_b32_e32 v10, 20, v10
	v_and_b32_e32 v20, 0x80000000, v20
	v_lshl_add_u32 v14, v14, 23, v21
	v_or3_b32 v10, v20, v14, v10
.LBB30_1060:
	s_or_b64 exec, exec, s[6:7]
	s_movk_i32 s4, 0x7f
	v_cmp_gt_i16_sdwa s[6:7], v11, s4 src0_sel:BYTE_0 src1_sel:DWORD
	s_mov_b64 s[4:5], 0
                                        ; implicit-def: $sgpr10
	s_and_saveexec_b64 s[8:9], s[6:7]
	s_xor_b64 s[6:7], exec, s[8:9]
	s_cbranch_execnz .LBB30_3109
; %bb.1061:
	s_or_saveexec_b64 s[6:7], s[6:7]
	v_mov_b32_e32 v14, s10
	s_xor_b64 exec, exec, s[6:7]
	s_cbranch_execnz .LBB30_3112
.LBB30_1062:
	s_or_b64 exec, exec, s[6:7]
	s_and_saveexec_b64 s[6:7], s[4:5]
	s_cbranch_execz .LBB30_1064
.LBB30_1063:
	v_and_b32_e32 v14, 7, v11
	v_ffbh_u32_e32 v21, v14
	v_min_u32_e32 v21, 32, v21
	v_lshrrev_b16_e32 v20, 3, v11
	v_subrev_u32_e32 v22, 28, v21
	v_and_b32_e32 v20, 15, v20
	v_lshlrev_b32_e32 v22, v22, v11
	v_sub_u32_e32 v21, 29, v21
	v_and_b32_e32 v22, 7, v22
	v_cmp_eq_u16_e32 vcc, 0, v20
	v_cndmask_b32_e32 v14, v14, v22, vcc
	v_cndmask_b32_e32 v20, v20, v21, vcc
	v_lshlrev_b32_e32 v21, 24, v11
	v_mov_b32_e32 v22, 0x3b800000
	v_lshlrev_b32_e32 v14, 20, v14
	v_and_b32_e32 v21, 0x80000000, v21
	v_lshl_add_u32 v20, v20, 23, v22
	v_or3_b32 v14, v21, v20, v14
.LBB30_1064:
	s_or_b64 exec, exec, s[6:7]
	s_nop 0
	v_mfma_f32_16x16x4f32 a[0:3], v10, v14, a[0:3]
	v_lshrrev_b32_e32 v14, 8, v15
	s_movk_i32 s4, 0x7f
	v_cmp_gt_i16_sdwa s[6:7], v14, s4 src0_sel:BYTE_0 src1_sel:DWORD
	s_mov_b64 s[4:5], 0
                                        ; implicit-def: $sgpr10
	s_and_saveexec_b64 s[8:9], s[6:7]
	s_xor_b64 s[6:7], exec, s[8:9]
	s_cbranch_execnz .LBB30_3113
; %bb.1065:
	s_or_saveexec_b64 s[6:7], s[6:7]
	v_mov_b32_e32 v10, s10
	s_xor_b64 exec, exec, s[6:7]
	s_cbranch_execnz .LBB30_3116
.LBB30_1066:
	s_or_b64 exec, exec, s[6:7]
	s_and_saveexec_b64 s[6:7], s[4:5]
	s_cbranch_execz .LBB30_1068
.LBB30_1067:
	v_bfe_u32 v10, v15, 8, 3
	v_ffbh_u32_e32 v21, v10
	v_min_u32_e32 v21, 32, v21
	v_lshrrev_b16_e32 v20, 3, v14
	v_subrev_u32_e32 v22, 28, v21
	v_and_b32_e32 v20, 15, v20
	v_lshlrev_b32_e32 v14, v22, v14
	v_sub_u32_e32 v21, 29, v21
	v_and_b32_e32 v14, 7, v14
	v_cmp_eq_u16_e32 vcc, 0, v20
	v_cndmask_b32_e32 v10, v10, v14, vcc
	v_cndmask_b32_e32 v14, v20, v21, vcc
	v_lshlrev_b32_e32 v20, 16, v15
	v_mov_b32_e32 v21, 0x3b800000
	v_lshlrev_b32_e32 v10, 20, v10
	v_and_b32_e32 v20, 0x80000000, v20
	v_lshl_add_u32 v14, v14, 23, v21
	v_or3_b32 v10, v20, v14, v10
.LBB30_1068:
	s_or_b64 exec, exec, s[6:7]
	v_lshrrev_b32_e32 v14, 8, v11
	s_movk_i32 s4, 0x7f
	v_cmp_gt_i16_sdwa s[6:7], v14, s4 src0_sel:BYTE_0 src1_sel:DWORD
	s_mov_b64 s[4:5], 0
                                        ; implicit-def: $sgpr10
	s_and_saveexec_b64 s[8:9], s[6:7]
	s_xor_b64 s[6:7], exec, s[8:9]
	s_cbranch_execnz .LBB30_3117
; %bb.1069:
	s_or_saveexec_b64 s[6:7], s[6:7]
	v_mov_b32_e32 v20, s10
	s_xor_b64 exec, exec, s[6:7]
	s_cbranch_execnz .LBB30_3120
.LBB30_1070:
	s_or_b64 exec, exec, s[6:7]
	s_and_saveexec_b64 s[6:7], s[4:5]
	s_cbranch_execz .LBB30_1072
.LBB30_1071:
	v_bfe_u32 v20, v11, 8, 3
	v_ffbh_u32_e32 v22, v20
	v_min_u32_e32 v22, 32, v22
	v_lshrrev_b16_e32 v21, 3, v14
	v_subrev_u32_e32 v23, 28, v22
	v_and_b32_e32 v21, 15, v21
	v_lshlrev_b32_e32 v14, v23, v14
	v_sub_u32_e32 v22, 29, v22
	v_and_b32_e32 v14, 7, v14
	v_cmp_eq_u16_e32 vcc, 0, v21
	v_cndmask_b32_e32 v14, v20, v14, vcc
	v_cndmask_b32_e32 v20, v21, v22, vcc
	v_lshlrev_b32_e32 v21, 16, v11
	v_mov_b32_e32 v22, 0x3b800000
	v_lshlrev_b32_e32 v14, 20, v14
	v_and_b32_e32 v21, 0x80000000, v21
	v_lshl_add_u32 v20, v20, 23, v22
	v_or3_b32 v20, v21, v20, v14
.LBB30_1072:
	s_or_b64 exec, exec, s[6:7]
	s_nop 0
	v_mfma_f32_16x16x4f32 a[0:3], v10, v20, a[0:3]
	s_movk_i32 s4, 0xff
	v_and_b32_sdwa v14, v15, s4 dst_sel:DWORD dst_unused:UNUSED_PAD src0_sel:WORD_1 src1_sel:DWORD
	s_movk_i32 s4, 0x7f
	v_cmp_lt_i16_e32 vcc, s4, v14
	s_mov_b64 s[4:5], 0
                                        ; implicit-def: $sgpr10
	s_and_saveexec_b64 s[6:7], vcc
	s_xor_b64 s[6:7], exec, s[6:7]
	s_cbranch_execnz .LBB30_3121
; %bb.1073:
	s_or_saveexec_b64 s[6:7], s[6:7]
	v_mov_b32_e32 v10, s10
	s_xor_b64 exec, exec, s[6:7]
	s_cbranch_execnz .LBB30_3124
.LBB30_1074:
	s_or_b64 exec, exec, s[6:7]
	s_and_saveexec_b64 s[6:7], s[4:5]
	s_cbranch_execz .LBB30_1076
.LBB30_1075:
	v_bfe_u32 v10, v15, 16, 3
	v_ffbh_u32_e32 v21, v10
	v_min_u32_e32 v21, 32, v21
	v_lshrrev_b32_e32 v14, 19, v15
	v_subrev_u32_e32 v22, 28, v21
	v_and_b32_e32 v14, 15, v14
	v_lshlrev_b32_sdwa v22, v22, v15 dst_sel:DWORD dst_unused:UNUSED_PAD src0_sel:DWORD src1_sel:WORD_1
	v_bfe_u32 v20, v15, 19, 4
	v_sub_u32_e32 v21, 29, v21
	v_and_b32_e32 v22, 7, v22
	v_cmp_eq_u16_e32 vcc, 0, v14
	v_cndmask_b32_e32 v10, v10, v22, vcc
	v_cndmask_b32_e32 v14, v20, v21, vcc
	v_lshlrev_b32_e32 v20, 8, v15
	v_mov_b32_e32 v21, 0x3b800000
	v_lshlrev_b32_e32 v10, 20, v10
	v_and_b32_e32 v20, 0x80000000, v20
	v_lshl_add_u32 v14, v14, 23, v21
	v_or3_b32 v10, v20, v14, v10
.LBB30_1076:
	s_or_b64 exec, exec, s[6:7]
	s_movk_i32 s4, 0xff
	v_and_b32_sdwa v14, v11, s4 dst_sel:DWORD dst_unused:UNUSED_PAD src0_sel:WORD_1 src1_sel:DWORD
	s_movk_i32 s4, 0x7f
	v_cmp_lt_i16_e32 vcc, s4, v14
	s_mov_b64 s[4:5], 0
                                        ; implicit-def: $sgpr10
	s_and_saveexec_b64 s[6:7], vcc
	s_xor_b64 s[6:7], exec, s[6:7]
	s_cbranch_execnz .LBB30_3125
; %bb.1077:
	s_or_saveexec_b64 s[6:7], s[6:7]
	v_mov_b32_e32 v20, s10
	s_xor_b64 exec, exec, s[6:7]
	s_cbranch_execnz .LBB30_3128
.LBB30_1078:
	s_or_b64 exec, exec, s[6:7]
	s_and_saveexec_b64 s[6:7], s[4:5]
	s_cbranch_execz .LBB30_1080
.LBB30_1079:
	v_bfe_u32 v14, v11, 16, 3
	v_ffbh_u32_e32 v22, v14
	v_min_u32_e32 v22, 32, v22
	v_lshrrev_b32_e32 v20, 19, v11
	v_subrev_u32_e32 v23, 28, v22
	v_and_b32_e32 v20, 15, v20
	v_lshlrev_b32_sdwa v23, v23, v11 dst_sel:DWORD dst_unused:UNUSED_PAD src0_sel:DWORD src1_sel:WORD_1
	v_bfe_u32 v21, v11, 19, 4
	v_sub_u32_e32 v22, 29, v22
	v_and_b32_e32 v23, 7, v23
	v_cmp_eq_u16_e32 vcc, 0, v20
	v_cndmask_b32_e32 v14, v14, v23, vcc
	v_cndmask_b32_e32 v20, v21, v22, vcc
	v_lshlrev_b32_e32 v21, 8, v11
	v_mov_b32_e32 v22, 0x3b800000
	v_lshlrev_b32_e32 v14, 20, v14
	v_and_b32_e32 v21, 0x80000000, v21
	v_lshl_add_u32 v20, v20, 23, v22
	v_or3_b32 v20, v21, v20, v14
.LBB30_1080:
	s_or_b64 exec, exec, s[6:7]
	s_nop 0
	v_mfma_f32_16x16x4f32 a[0:3], v10, v20, a[0:3]
	s_movk_i32 s4, 0x7f
	v_cmp_gt_i16_sdwa s[6:7], v15, s4 src0_sel:BYTE_3 src1_sel:DWORD
	s_mov_b64 s[4:5], 0
                                        ; implicit-def: $sgpr10
	s_and_saveexec_b64 s[8:9], s[6:7]
	s_xor_b64 s[6:7], exec, s[8:9]
	s_cbranch_execnz .LBB30_3129
; %bb.1081:
	s_or_saveexec_b64 s[6:7], s[6:7]
	v_mov_b32_e32 v10, s10
	s_xor_b64 exec, exec, s[6:7]
	s_cbranch_execnz .LBB30_3132
.LBB30_1082:
	s_or_b64 exec, exec, s[6:7]
	s_and_saveexec_b64 s[6:7], s[4:5]
	s_cbranch_execz .LBB30_1084
.LBB30_1083:
	v_bfe_u32 v10, v15, 24, 3
	v_ffbh_u32_e32 v22, v10
	v_min_u32_e32 v22, 32, v22
	v_lshrrev_b32_e32 v20, 27, v15
	v_subrev_u32_e32 v23, 28, v22
	v_and_b32_e32 v14, 0x80000000, v15
	v_and_b32_e32 v20, 15, v20
	v_bfe_u32 v21, v15, 27, 4
	v_lshlrev_b32_sdwa v15, v23, v15 dst_sel:DWORD dst_unused:UNUSED_PAD src0_sel:DWORD src1_sel:BYTE_3
	v_sub_u32_e32 v22, 29, v22
	v_and_b32_e32 v15, 7, v15
	v_cmp_eq_u16_e32 vcc, 0, v20
	v_cndmask_b32_e32 v10, v10, v15, vcc
	v_cndmask_b32_e32 v15, v21, v22, vcc
	v_mov_b32_e32 v20, 0x3b800000
	v_lshlrev_b32_e32 v10, 20, v10
	v_lshl_add_u32 v15, v15, 23, v20
	v_or3_b32 v10, v14, v15, v10
.LBB30_1084:
	s_or_b64 exec, exec, s[6:7]
	s_movk_i32 s4, 0x7f
	v_cmp_gt_i16_sdwa s[6:7], v11, s4 src0_sel:BYTE_3 src1_sel:DWORD
	s_mov_b64 s[4:5], 0
                                        ; implicit-def: $sgpr10
	s_and_saveexec_b64 s[8:9], s[6:7]
	s_xor_b64 s[6:7], exec, s[8:9]
	s_cbranch_execnz .LBB30_3133
; %bb.1085:
	s_or_saveexec_b64 s[6:7], s[6:7]
	v_mov_b32_e32 v14, s10
	s_xor_b64 exec, exec, s[6:7]
	s_cbranch_execnz .LBB30_3136
.LBB30_1086:
	s_or_b64 exec, exec, s[6:7]
	s_and_saveexec_b64 s[6:7], s[4:5]
	s_cbranch_execz .LBB30_1088
.LBB30_1087:
	v_bfe_u32 v14, v11, 24, 3
	v_ffbh_u32_e32 v22, v14
	v_min_u32_e32 v22, 32, v22
	v_lshrrev_b32_e32 v20, 27, v11
	v_subrev_u32_e32 v23, 28, v22
	v_and_b32_e32 v15, 0x80000000, v11
	v_and_b32_e32 v20, 15, v20
	v_bfe_u32 v21, v11, 27, 4
	v_lshlrev_b32_sdwa v11, v23, v11 dst_sel:DWORD dst_unused:UNUSED_PAD src0_sel:DWORD src1_sel:BYTE_3
	v_sub_u32_e32 v22, 29, v22
	v_and_b32_e32 v11, 7, v11
	v_cmp_eq_u16_e32 vcc, 0, v20
	v_cndmask_b32_e32 v11, v14, v11, vcc
	v_cndmask_b32_e32 v14, v21, v22, vcc
	v_mov_b32_e32 v20, 0x3b800000
	v_lshlrev_b32_e32 v11, 20, v11
	v_lshl_add_u32 v14, v14, 23, v20
	v_or3_b32 v14, v15, v14, v11
.LBB30_1088:
	s_or_b64 exec, exec, s[6:7]
	s_nop 0
	v_mfma_f32_16x16x4f32 a[0:3], v10, v14, a[0:3]
	s_movk_i32 s4, 0x7f
	v_cmp_gt_i16_sdwa s[6:7], v16, s4 src0_sel:BYTE_0 src1_sel:DWORD
	s_mov_b64 s[4:5], 0
                                        ; implicit-def: $sgpr10
	s_and_saveexec_b64 s[8:9], s[6:7]
	s_xor_b64 s[6:7], exec, s[8:9]
	s_cbranch_execnz .LBB30_3137
; %bb.1089:
	s_or_saveexec_b64 s[6:7], s[6:7]
	v_mov_b32_e32 v10, s10
	s_xor_b64 exec, exec, s[6:7]
	s_cbranch_execnz .LBB30_3140
.LBB30_1090:
	s_or_b64 exec, exec, s[6:7]
	s_and_saveexec_b64 s[6:7], s[4:5]
	s_cbranch_execz .LBB30_1092
.LBB30_1091:
	v_and_b32_e32 v10, 7, v16
	v_ffbh_u32_e32 v14, v10
	v_min_u32_e32 v14, 32, v14
	v_lshrrev_b16_e32 v11, 3, v16
	v_subrev_u32_e32 v15, 28, v14
	v_and_b32_e32 v11, 15, v11
	v_lshlrev_b32_e32 v15, v15, v16
	v_sub_u32_e32 v14, 29, v14
	v_and_b32_e32 v15, 7, v15
	v_cmp_eq_u16_e32 vcc, 0, v11
	v_cndmask_b32_e32 v10, v10, v15, vcc
	v_cndmask_b32_e32 v11, v11, v14, vcc
	v_lshlrev_b32_e32 v14, 24, v16
	v_mov_b32_e32 v15, 0x3b800000
	v_lshlrev_b32_e32 v10, 20, v10
	v_and_b32_e32 v14, 0x80000000, v14
	v_lshl_add_u32 v11, v11, 23, v15
	v_or3_b32 v10, v14, v11, v10
.LBB30_1092:
	s_or_b64 exec, exec, s[6:7]
	s_movk_i32 s4, 0x7f
	v_cmp_gt_i16_sdwa s[6:7], v12, s4 src0_sel:BYTE_0 src1_sel:DWORD
	s_mov_b64 s[4:5], 0
                                        ; implicit-def: $sgpr10
	s_and_saveexec_b64 s[8:9], s[6:7]
	s_xor_b64 s[6:7], exec, s[8:9]
	s_cbranch_execnz .LBB30_3141
; %bb.1093:
	s_or_saveexec_b64 s[6:7], s[6:7]
	v_mov_b32_e32 v11, s10
	s_xor_b64 exec, exec, s[6:7]
	s_cbranch_execnz .LBB30_3144
.LBB30_1094:
	s_or_b64 exec, exec, s[6:7]
	s_and_saveexec_b64 s[6:7], s[4:5]
	s_cbranch_execz .LBB30_1096
.LBB30_1095:
	v_and_b32_e32 v11, 7, v12
	v_ffbh_u32_e32 v15, v11
	v_min_u32_e32 v15, 32, v15
	v_lshrrev_b16_e32 v14, 3, v12
	v_subrev_u32_e32 v20, 28, v15
	v_and_b32_e32 v14, 15, v14
	v_lshlrev_b32_e32 v20, v20, v12
	v_sub_u32_e32 v15, 29, v15
	v_and_b32_e32 v20, 7, v20
	v_cmp_eq_u16_e32 vcc, 0, v14
	v_cndmask_b32_e32 v11, v11, v20, vcc
	v_cndmask_b32_e32 v14, v14, v15, vcc
	v_lshlrev_b32_e32 v15, 24, v12
	v_mov_b32_e32 v20, 0x3b800000
	v_lshlrev_b32_e32 v11, 20, v11
	v_and_b32_e32 v15, 0x80000000, v15
	v_lshl_add_u32 v14, v14, 23, v20
	v_or3_b32 v11, v15, v14, v11
.LBB30_1096:
	s_or_b64 exec, exec, s[6:7]
	s_nop 0
	v_mfma_f32_16x16x4f32 a[0:3], v10, v11, a[0:3]
	v_lshrrev_b32_e32 v11, 8, v16
	s_movk_i32 s4, 0x7f
	v_cmp_gt_i16_sdwa s[6:7], v11, s4 src0_sel:BYTE_0 src1_sel:DWORD
	s_mov_b64 s[4:5], 0
                                        ; implicit-def: $sgpr10
	s_and_saveexec_b64 s[8:9], s[6:7]
	s_xor_b64 s[6:7], exec, s[8:9]
	s_cbranch_execnz .LBB30_3145
; %bb.1097:
	s_or_saveexec_b64 s[6:7], s[6:7]
	v_mov_b32_e32 v10, s10
	s_xor_b64 exec, exec, s[6:7]
	s_cbranch_execnz .LBB30_3148
.LBB30_1098:
	s_or_b64 exec, exec, s[6:7]
	s_and_saveexec_b64 s[6:7], s[4:5]
	s_cbranch_execz .LBB30_1100
.LBB30_1099:
	v_bfe_u32 v10, v16, 8, 3
	v_ffbh_u32_e32 v15, v10
	v_min_u32_e32 v15, 32, v15
	v_lshrrev_b16_e32 v14, 3, v11
	v_subrev_u32_e32 v20, 28, v15
	v_and_b32_e32 v14, 15, v14
	v_lshlrev_b32_e32 v11, v20, v11
	v_sub_u32_e32 v15, 29, v15
	v_and_b32_e32 v11, 7, v11
	v_cmp_eq_u16_e32 vcc, 0, v14
	v_cndmask_b32_e32 v10, v10, v11, vcc
	v_cndmask_b32_e32 v11, v14, v15, vcc
	v_lshlrev_b32_e32 v14, 16, v16
	v_mov_b32_e32 v15, 0x3b800000
	v_lshlrev_b32_e32 v10, 20, v10
	v_and_b32_e32 v14, 0x80000000, v14
	v_lshl_add_u32 v11, v11, 23, v15
	v_or3_b32 v10, v14, v11, v10
.LBB30_1100:
	s_or_b64 exec, exec, s[6:7]
	v_lshrrev_b32_e32 v11, 8, v12
	s_movk_i32 s4, 0x7f
	v_cmp_gt_i16_sdwa s[6:7], v11, s4 src0_sel:BYTE_0 src1_sel:DWORD
	s_mov_b64 s[4:5], 0
                                        ; implicit-def: $sgpr10
	s_and_saveexec_b64 s[8:9], s[6:7]
	s_xor_b64 s[6:7], exec, s[8:9]
	s_cbranch_execnz .LBB30_3149
; %bb.1101:
	s_or_saveexec_b64 s[6:7], s[6:7]
	v_mov_b32_e32 v14, s10
	s_xor_b64 exec, exec, s[6:7]
	s_cbranch_execnz .LBB30_3152
.LBB30_1102:
	s_or_b64 exec, exec, s[6:7]
	s_and_saveexec_b64 s[6:7], s[4:5]
	s_cbranch_execz .LBB30_1104
.LBB30_1103:
	v_bfe_u32 v14, v12, 8, 3
	v_ffbh_u32_e32 v20, v14
	v_min_u32_e32 v20, 32, v20
	v_lshrrev_b16_e32 v15, 3, v11
	v_subrev_u32_e32 v21, 28, v20
	v_and_b32_e32 v15, 15, v15
	v_lshlrev_b32_e32 v11, v21, v11
	v_sub_u32_e32 v20, 29, v20
	v_and_b32_e32 v11, 7, v11
	v_cmp_eq_u16_e32 vcc, 0, v15
	v_cndmask_b32_e32 v11, v14, v11, vcc
	v_cndmask_b32_e32 v14, v15, v20, vcc
	v_lshlrev_b32_e32 v15, 16, v12
	v_mov_b32_e32 v20, 0x3b800000
	v_lshlrev_b32_e32 v11, 20, v11
	v_and_b32_e32 v15, 0x80000000, v15
	v_lshl_add_u32 v14, v14, 23, v20
	v_or3_b32 v14, v15, v14, v11
.LBB30_1104:
	s_or_b64 exec, exec, s[6:7]
	s_nop 0
	v_mfma_f32_16x16x4f32 a[0:3], v10, v14, a[0:3]
	s_movk_i32 s4, 0xff
	v_and_b32_sdwa v11, v16, s4 dst_sel:DWORD dst_unused:UNUSED_PAD src0_sel:WORD_1 src1_sel:DWORD
	s_movk_i32 s4, 0x7f
	v_cmp_lt_i16_e32 vcc, s4, v11
	s_mov_b64 s[4:5], 0
                                        ; implicit-def: $sgpr10
	s_and_saveexec_b64 s[6:7], vcc
	s_xor_b64 s[6:7], exec, s[6:7]
	s_cbranch_execnz .LBB30_3153
; %bb.1105:
	s_or_saveexec_b64 s[6:7], s[6:7]
	v_mov_b32_e32 v10, s10
	s_xor_b64 exec, exec, s[6:7]
	s_cbranch_execnz .LBB30_3156
.LBB30_1106:
	s_or_b64 exec, exec, s[6:7]
	s_and_saveexec_b64 s[6:7], s[4:5]
	s_cbranch_execz .LBB30_1108
.LBB30_1107:
	v_bfe_u32 v10, v16, 16, 3
	v_ffbh_u32_e32 v15, v10
	v_min_u32_e32 v15, 32, v15
	v_lshrrev_b32_e32 v11, 19, v16
	v_subrev_u32_e32 v20, 28, v15
	v_and_b32_e32 v11, 15, v11
	v_lshlrev_b32_sdwa v20, v20, v16 dst_sel:DWORD dst_unused:UNUSED_PAD src0_sel:DWORD src1_sel:WORD_1
	v_bfe_u32 v14, v16, 19, 4
	v_sub_u32_e32 v15, 29, v15
	v_and_b32_e32 v20, 7, v20
	v_cmp_eq_u16_e32 vcc, 0, v11
	v_cndmask_b32_e32 v10, v10, v20, vcc
	v_cndmask_b32_e32 v11, v14, v15, vcc
	v_lshlrev_b32_e32 v14, 8, v16
	v_mov_b32_e32 v15, 0x3b800000
	v_lshlrev_b32_e32 v10, 20, v10
	v_and_b32_e32 v14, 0x80000000, v14
	v_lshl_add_u32 v11, v11, 23, v15
	v_or3_b32 v10, v14, v11, v10
.LBB30_1108:
	s_or_b64 exec, exec, s[6:7]
	s_movk_i32 s4, 0xff
	v_and_b32_sdwa v11, v12, s4 dst_sel:DWORD dst_unused:UNUSED_PAD src0_sel:WORD_1 src1_sel:DWORD
	s_movk_i32 s4, 0x7f
	v_cmp_lt_i16_e32 vcc, s4, v11
	s_mov_b64 s[4:5], 0
                                        ; implicit-def: $sgpr10
	s_and_saveexec_b64 s[6:7], vcc
	s_xor_b64 s[6:7], exec, s[6:7]
	s_cbranch_execnz .LBB30_3157
; %bb.1109:
	s_or_saveexec_b64 s[6:7], s[6:7]
	v_mov_b32_e32 v14, s10
	s_xor_b64 exec, exec, s[6:7]
	s_cbranch_execnz .LBB30_3160
.LBB30_1110:
	s_or_b64 exec, exec, s[6:7]
	s_and_saveexec_b64 s[6:7], s[4:5]
	s_cbranch_execz .LBB30_1112
.LBB30_1111:
	v_bfe_u32 v11, v12, 16, 3
	v_ffbh_u32_e32 v20, v11
	v_min_u32_e32 v20, 32, v20
	v_lshrrev_b32_e32 v14, 19, v12
	v_subrev_u32_e32 v21, 28, v20
	v_and_b32_e32 v14, 15, v14
	v_lshlrev_b32_sdwa v21, v21, v12 dst_sel:DWORD dst_unused:UNUSED_PAD src0_sel:DWORD src1_sel:WORD_1
	v_bfe_u32 v15, v12, 19, 4
	v_sub_u32_e32 v20, 29, v20
	v_and_b32_e32 v21, 7, v21
	v_cmp_eq_u16_e32 vcc, 0, v14
	v_cndmask_b32_e32 v11, v11, v21, vcc
	v_cndmask_b32_e32 v14, v15, v20, vcc
	v_lshlrev_b32_e32 v15, 8, v12
	v_mov_b32_e32 v20, 0x3b800000
	v_lshlrev_b32_e32 v11, 20, v11
	v_and_b32_e32 v15, 0x80000000, v15
	v_lshl_add_u32 v14, v14, 23, v20
	v_or3_b32 v14, v15, v14, v11
.LBB30_1112:
	s_or_b64 exec, exec, s[6:7]
	s_nop 0
	v_mfma_f32_16x16x4f32 a[0:3], v10, v14, a[0:3]
	s_movk_i32 s4, 0x7f
	v_cmp_gt_i16_sdwa s[6:7], v16, s4 src0_sel:BYTE_3 src1_sel:DWORD
	s_mov_b64 s[4:5], 0
                                        ; implicit-def: $sgpr10
	s_and_saveexec_b64 s[8:9], s[6:7]
	s_xor_b64 s[6:7], exec, s[8:9]
	s_cbranch_execnz .LBB30_3161
; %bb.1113:
	s_or_saveexec_b64 s[6:7], s[6:7]
	v_mov_b32_e32 v10, s10
	s_xor_b64 exec, exec, s[6:7]
	s_cbranch_execnz .LBB30_3164
.LBB30_1114:
	s_or_b64 exec, exec, s[6:7]
	s_and_saveexec_b64 s[6:7], s[4:5]
	s_cbranch_execz .LBB30_1116
.LBB30_1115:
	v_bfe_u32 v10, v16, 24, 3
	v_ffbh_u32_e32 v20, v10
	v_min_u32_e32 v20, 32, v20
	v_lshrrev_b32_e32 v14, 27, v16
	v_subrev_u32_e32 v21, 28, v20
	v_and_b32_e32 v11, 0x80000000, v16
	v_and_b32_e32 v14, 15, v14
	v_bfe_u32 v15, v16, 27, 4
	v_lshlrev_b32_sdwa v16, v21, v16 dst_sel:DWORD dst_unused:UNUSED_PAD src0_sel:DWORD src1_sel:BYTE_3
	v_sub_u32_e32 v20, 29, v20
	v_and_b32_e32 v16, 7, v16
	v_cmp_eq_u16_e32 vcc, 0, v14
	v_cndmask_b32_e32 v10, v10, v16, vcc
	v_cndmask_b32_e32 v14, v15, v20, vcc
	v_mov_b32_e32 v15, 0x3b800000
	v_lshlrev_b32_e32 v10, 20, v10
	v_lshl_add_u32 v14, v14, 23, v15
	v_or3_b32 v10, v11, v14, v10
.LBB30_1116:
	s_or_b64 exec, exec, s[6:7]
	s_movk_i32 s4, 0x7f
	v_cmp_gt_i16_sdwa s[6:7], v12, s4 src0_sel:BYTE_3 src1_sel:DWORD
	s_mov_b64 s[4:5], 0
                                        ; implicit-def: $sgpr10
	s_and_saveexec_b64 s[8:9], s[6:7]
	s_xor_b64 s[6:7], exec, s[8:9]
	s_cbranch_execnz .LBB30_3165
; %bb.1117:
	s_or_saveexec_b64 s[6:7], s[6:7]
	v_mov_b32_e32 v11, s10
	s_xor_b64 exec, exec, s[6:7]
	s_cbranch_execnz .LBB30_3168
.LBB30_1118:
	s_or_b64 exec, exec, s[6:7]
	s_and_saveexec_b64 s[6:7], s[4:5]
	s_cbranch_execz .LBB30_1120
.LBB30_1119:
	v_bfe_u32 v11, v12, 24, 3
	v_ffbh_u32_e32 v20, v11
	v_min_u32_e32 v20, 32, v20
	v_lshrrev_b32_e32 v15, 27, v12
	v_subrev_u32_e32 v21, 28, v20
	v_and_b32_e32 v14, 0x80000000, v12
	v_and_b32_e32 v15, 15, v15
	v_bfe_u32 v16, v12, 27, 4
	v_lshlrev_b32_sdwa v12, v21, v12 dst_sel:DWORD dst_unused:UNUSED_PAD src0_sel:DWORD src1_sel:BYTE_3
	v_sub_u32_e32 v20, 29, v20
	v_and_b32_e32 v12, 7, v12
	v_cmp_eq_u16_e32 vcc, 0, v15
	v_cndmask_b32_e32 v11, v11, v12, vcc
	v_cndmask_b32_e32 v12, v16, v20, vcc
	v_mov_b32_e32 v15, 0x3b800000
	v_lshlrev_b32_e32 v11, 20, v11
	v_lshl_add_u32 v12, v12, 23, v15
	v_or3_b32 v11, v14, v12, v11
.LBB30_1120:
	s_or_b64 exec, exec, s[6:7]
	s_nop 0
	v_mfma_f32_16x16x4f32 a[0:3], v10, v11, a[0:3]
	s_movk_i32 s4, 0x7f
	v_cmp_gt_i16_sdwa s[6:7], v17, s4 src0_sel:BYTE_0 src1_sel:DWORD
	s_mov_b64 s[4:5], 0
                                        ; implicit-def: $sgpr10
	s_and_saveexec_b64 s[8:9], s[6:7]
	s_xor_b64 s[6:7], exec, s[8:9]
	s_cbranch_execnz .LBB30_3169
; %bb.1121:
	s_or_saveexec_b64 s[6:7], s[6:7]
	v_mov_b32_e32 v10, s10
	s_xor_b64 exec, exec, s[6:7]
	s_cbranch_execnz .LBB30_3172
.LBB30_1122:
	s_or_b64 exec, exec, s[6:7]
	s_and_saveexec_b64 s[6:7], s[4:5]
	s_cbranch_execz .LBB30_1124
.LBB30_1123:
	v_and_b32_e32 v10, 7, v17
	v_ffbh_u32_e32 v12, v10
	v_min_u32_e32 v12, 32, v12
	v_lshrrev_b16_e32 v11, 3, v17
	v_subrev_u32_e32 v14, 28, v12
	v_and_b32_e32 v11, 15, v11
	v_lshlrev_b32_e32 v14, v14, v17
	v_sub_u32_e32 v12, 29, v12
	v_and_b32_e32 v14, 7, v14
	v_cmp_eq_u16_e32 vcc, 0, v11
	v_cndmask_b32_e32 v10, v10, v14, vcc
	v_cndmask_b32_e32 v11, v11, v12, vcc
	v_lshlrev_b32_e32 v12, 24, v17
	v_mov_b32_e32 v14, 0x3b800000
	v_lshlrev_b32_e32 v10, 20, v10
	v_and_b32_e32 v12, 0x80000000, v12
	v_lshl_add_u32 v11, v11, 23, v14
	v_or3_b32 v10, v12, v11, v10
.LBB30_1124:
	s_or_b64 exec, exec, s[6:7]
	s_movk_i32 s4, 0x7f
	v_cmp_gt_i16_sdwa s[6:7], v13, s4 src0_sel:BYTE_0 src1_sel:DWORD
	s_mov_b64 s[4:5], 0
                                        ; implicit-def: $sgpr10
	s_and_saveexec_b64 s[8:9], s[6:7]
	s_xor_b64 s[6:7], exec, s[8:9]
	s_cbranch_execnz .LBB30_3173
; %bb.1125:
	s_or_saveexec_b64 s[6:7], s[6:7]
	v_mov_b32_e32 v11, s10
	s_xor_b64 exec, exec, s[6:7]
	s_cbranch_execnz .LBB30_3176
.LBB30_1126:
	s_or_b64 exec, exec, s[6:7]
	s_and_saveexec_b64 s[6:7], s[4:5]
	s_cbranch_execz .LBB30_1128
.LBB30_1127:
	v_and_b32_e32 v11, 7, v13
	v_ffbh_u32_e32 v14, v11
	v_min_u32_e32 v14, 32, v14
	v_lshrrev_b16_e32 v12, 3, v13
	v_subrev_u32_e32 v15, 28, v14
	v_and_b32_e32 v12, 15, v12
	v_lshlrev_b32_e32 v15, v15, v13
	v_sub_u32_e32 v14, 29, v14
	v_and_b32_e32 v15, 7, v15
	v_cmp_eq_u16_e32 vcc, 0, v12
	v_cndmask_b32_e32 v11, v11, v15, vcc
	v_cndmask_b32_e32 v12, v12, v14, vcc
	v_lshlrev_b32_e32 v14, 24, v13
	v_mov_b32_e32 v15, 0x3b800000
	v_lshlrev_b32_e32 v11, 20, v11
	v_and_b32_e32 v14, 0x80000000, v14
	v_lshl_add_u32 v12, v12, 23, v15
	v_or3_b32 v11, v14, v12, v11
.LBB30_1128:
	s_or_b64 exec, exec, s[6:7]
	s_nop 0
	v_mfma_f32_16x16x4f32 a[0:3], v10, v11, a[0:3]
	v_lshrrev_b32_e32 v11, 8, v17
	s_movk_i32 s4, 0x7f
	v_cmp_gt_i16_sdwa s[6:7], v11, s4 src0_sel:BYTE_0 src1_sel:DWORD
	s_mov_b64 s[4:5], 0
                                        ; implicit-def: $sgpr10
	s_and_saveexec_b64 s[8:9], s[6:7]
	s_xor_b64 s[6:7], exec, s[8:9]
	s_cbranch_execnz .LBB30_3177
; %bb.1129:
	s_or_saveexec_b64 s[6:7], s[6:7]
	v_mov_b32_e32 v10, s10
	s_xor_b64 exec, exec, s[6:7]
	s_cbranch_execnz .LBB30_3180
.LBB30_1130:
	s_or_b64 exec, exec, s[6:7]
	s_and_saveexec_b64 s[6:7], s[4:5]
	s_cbranch_execz .LBB30_1132
.LBB30_1131:
	v_bfe_u32 v10, v17, 8, 3
	v_ffbh_u32_e32 v14, v10
	v_min_u32_e32 v14, 32, v14
	v_lshrrev_b16_e32 v12, 3, v11
	v_subrev_u32_e32 v15, 28, v14
	v_and_b32_e32 v12, 15, v12
	v_lshlrev_b32_e32 v11, v15, v11
	v_sub_u32_e32 v14, 29, v14
	v_and_b32_e32 v11, 7, v11
	v_cmp_eq_u16_e32 vcc, 0, v12
	v_cndmask_b32_e32 v10, v10, v11, vcc
	v_cndmask_b32_e32 v11, v12, v14, vcc
	v_lshlrev_b32_e32 v12, 16, v17
	v_mov_b32_e32 v14, 0x3b800000
	v_lshlrev_b32_e32 v10, 20, v10
	v_and_b32_e32 v12, 0x80000000, v12
	v_lshl_add_u32 v11, v11, 23, v14
	v_or3_b32 v10, v12, v11, v10
.LBB30_1132:
	s_or_b64 exec, exec, s[6:7]
	v_lshrrev_b32_e32 v11, 8, v13
	s_movk_i32 s4, 0x7f
	v_cmp_gt_i16_sdwa s[6:7], v11, s4 src0_sel:BYTE_0 src1_sel:DWORD
	s_mov_b64 s[4:5], 0
                                        ; implicit-def: $sgpr10
	s_and_saveexec_b64 s[8:9], s[6:7]
	s_xor_b64 s[6:7], exec, s[8:9]
	s_cbranch_execnz .LBB30_3181
; %bb.1133:
	s_or_saveexec_b64 s[6:7], s[6:7]
	v_mov_b32_e32 v12, s10
	s_xor_b64 exec, exec, s[6:7]
	s_cbranch_execnz .LBB30_3184
.LBB30_1134:
	s_or_b64 exec, exec, s[6:7]
	s_and_saveexec_b64 s[6:7], s[4:5]
	s_cbranch_execz .LBB30_1136
.LBB30_1135:
	v_bfe_u32 v12, v13, 8, 3
	v_ffbh_u32_e32 v15, v12
	v_min_u32_e32 v15, 32, v15
	v_lshrrev_b16_e32 v14, 3, v11
	v_subrev_u32_e32 v16, 28, v15
	v_and_b32_e32 v14, 15, v14
	v_lshlrev_b32_e32 v11, v16, v11
	v_sub_u32_e32 v15, 29, v15
	v_and_b32_e32 v11, 7, v11
	v_cmp_eq_u16_e32 vcc, 0, v14
	v_cndmask_b32_e32 v11, v12, v11, vcc
	v_cndmask_b32_e32 v12, v14, v15, vcc
	v_lshlrev_b32_e32 v14, 16, v13
	v_mov_b32_e32 v15, 0x3b800000
	v_lshlrev_b32_e32 v11, 20, v11
	v_and_b32_e32 v14, 0x80000000, v14
	v_lshl_add_u32 v12, v12, 23, v15
	v_or3_b32 v12, v14, v12, v11
.LBB30_1136:
	s_or_b64 exec, exec, s[6:7]
	s_nop 0
	v_mfma_f32_16x16x4f32 a[0:3], v10, v12, a[0:3]
	s_movk_i32 s4, 0xff
	v_and_b32_sdwa v11, v17, s4 dst_sel:DWORD dst_unused:UNUSED_PAD src0_sel:WORD_1 src1_sel:DWORD
	s_movk_i32 s4, 0x7f
	v_cmp_lt_i16_e32 vcc, s4, v11
	s_mov_b64 s[4:5], 0
                                        ; implicit-def: $sgpr10
	s_and_saveexec_b64 s[6:7], vcc
	s_xor_b64 s[6:7], exec, s[6:7]
	s_cbranch_execnz .LBB30_3185
; %bb.1137:
	s_or_saveexec_b64 s[6:7], s[6:7]
	v_mov_b32_e32 v10, s10
	s_xor_b64 exec, exec, s[6:7]
	s_cbranch_execnz .LBB30_3188
.LBB30_1138:
	s_or_b64 exec, exec, s[6:7]
	s_and_saveexec_b64 s[6:7], s[4:5]
	s_cbranch_execz .LBB30_1140
.LBB30_1139:
	v_bfe_u32 v10, v17, 16, 3
	v_ffbh_u32_e32 v14, v10
	v_min_u32_e32 v14, 32, v14
	v_lshrrev_b32_e32 v11, 19, v17
	v_subrev_u32_e32 v15, 28, v14
	v_and_b32_e32 v11, 15, v11
	v_lshlrev_b32_sdwa v15, v15, v17 dst_sel:DWORD dst_unused:UNUSED_PAD src0_sel:DWORD src1_sel:WORD_1
	v_bfe_u32 v12, v17, 19, 4
	v_sub_u32_e32 v14, 29, v14
	v_and_b32_e32 v15, 7, v15
	v_cmp_eq_u16_e32 vcc, 0, v11
	v_cndmask_b32_e32 v10, v10, v15, vcc
	v_cndmask_b32_e32 v11, v12, v14, vcc
	v_lshlrev_b32_e32 v12, 8, v17
	v_mov_b32_e32 v14, 0x3b800000
	v_lshlrev_b32_e32 v10, 20, v10
	v_and_b32_e32 v12, 0x80000000, v12
	v_lshl_add_u32 v11, v11, 23, v14
	v_or3_b32 v10, v12, v11, v10
.LBB30_1140:
	s_or_b64 exec, exec, s[6:7]
	s_movk_i32 s4, 0xff
	v_and_b32_sdwa v11, v13, s4 dst_sel:DWORD dst_unused:UNUSED_PAD src0_sel:WORD_1 src1_sel:DWORD
	s_movk_i32 s4, 0x7f
	v_cmp_lt_i16_e32 vcc, s4, v11
	s_mov_b64 s[4:5], 0
                                        ; implicit-def: $sgpr10
	s_and_saveexec_b64 s[6:7], vcc
	s_xor_b64 s[6:7], exec, s[6:7]
	s_cbranch_execnz .LBB30_3189
; %bb.1141:
	s_or_saveexec_b64 s[6:7], s[6:7]
	v_mov_b32_e32 v12, s10
	s_xor_b64 exec, exec, s[6:7]
	s_cbranch_execnz .LBB30_3192
.LBB30_1142:
	s_or_b64 exec, exec, s[6:7]
	s_and_saveexec_b64 s[6:7], s[4:5]
	s_cbranch_execz .LBB30_1144
.LBB30_1143:
	v_bfe_u32 v11, v13, 16, 3
	v_ffbh_u32_e32 v15, v11
	v_min_u32_e32 v15, 32, v15
	v_lshrrev_b32_e32 v12, 19, v13
	v_subrev_u32_e32 v16, 28, v15
	v_and_b32_e32 v12, 15, v12
	v_lshlrev_b32_sdwa v16, v16, v13 dst_sel:DWORD dst_unused:UNUSED_PAD src0_sel:DWORD src1_sel:WORD_1
	v_bfe_u32 v14, v13, 19, 4
	v_sub_u32_e32 v15, 29, v15
	v_and_b32_e32 v16, 7, v16
	v_cmp_eq_u16_e32 vcc, 0, v12
	v_cndmask_b32_e32 v11, v11, v16, vcc
	v_cndmask_b32_e32 v12, v14, v15, vcc
	v_lshlrev_b32_e32 v14, 8, v13
	v_mov_b32_e32 v15, 0x3b800000
	v_lshlrev_b32_e32 v11, 20, v11
	v_and_b32_e32 v14, 0x80000000, v14
	v_lshl_add_u32 v12, v12, 23, v15
	v_or3_b32 v12, v14, v12, v11
.LBB30_1144:
	s_or_b64 exec, exec, s[6:7]
	s_nop 0
	v_mfma_f32_16x16x4f32 a[0:3], v10, v12, a[0:3]
	s_movk_i32 s4, 0x7f
	v_cmp_gt_i16_sdwa s[6:7], v17, s4 src0_sel:BYTE_3 src1_sel:DWORD
	s_mov_b64 s[4:5], 0
                                        ; implicit-def: $sgpr10
	s_and_saveexec_b64 s[8:9], s[6:7]
	s_xor_b64 s[6:7], exec, s[8:9]
	s_cbranch_execnz .LBB30_3193
; %bb.1145:
	s_or_saveexec_b64 s[6:7], s[6:7]
	v_mov_b32_e32 v10, s10
	s_xor_b64 exec, exec, s[6:7]
	s_cbranch_execnz .LBB30_3196
.LBB30_1146:
	s_or_b64 exec, exec, s[6:7]
	s_and_saveexec_b64 s[6:7], s[4:5]
	s_cbranch_execz .LBB30_1148
.LBB30_1147:
	v_bfe_u32 v10, v17, 24, 3
	v_ffbh_u32_e32 v15, v10
	v_min_u32_e32 v15, 32, v15
	v_lshrrev_b32_e32 v12, 27, v17
	v_subrev_u32_e32 v16, 28, v15
	v_and_b32_e32 v12, 15, v12
	v_lshlrev_b32_sdwa v16, v16, v17 dst_sel:DWORD dst_unused:UNUSED_PAD src0_sel:DWORD src1_sel:BYTE_3
	v_bfe_u32 v14, v17, 27, 4
	v_sub_u32_e32 v15, 29, v15
	v_and_b32_e32 v16, 7, v16
	v_cmp_eq_u16_e32 vcc, 0, v12
	v_cndmask_b32_e32 v10, v10, v16, vcc
	v_cndmask_b32_e32 v12, v14, v15, vcc
	v_mov_b32_e32 v14, 0x3b800000
	v_and_b32_e32 v11, 0x80000000, v17
	v_lshlrev_b32_e32 v10, 20, v10
	v_lshl_add_u32 v12, v12, 23, v14
	v_or3_b32 v10, v11, v12, v10
.LBB30_1148:
	s_or_b64 exec, exec, s[6:7]
	s_movk_i32 s4, 0x7f
	v_cmp_gt_i16_sdwa s[6:7], v13, s4 src0_sel:BYTE_3 src1_sel:DWORD
	s_mov_b64 s[4:5], 0
                                        ; implicit-def: $sgpr10
	s_and_saveexec_b64 s[8:9], s[6:7]
	s_xor_b64 s[6:7], exec, s[8:9]
	s_cbranch_execnz .LBB30_3197
; %bb.1149:
	s_or_saveexec_b64 s[6:7], s[6:7]
	v_mov_b32_e32 v11, s10
	s_xor_b64 exec, exec, s[6:7]
	s_cbranch_execnz .LBB30_3200
.LBB30_1150:
	s_or_b64 exec, exec, s[6:7]
	s_and_saveexec_b64 s[6:7], s[4:5]
	s_cbranch_execz .LBB30_1152
.LBB30_1151:
	v_bfe_u32 v11, v13, 24, 3
	v_ffbh_u32_e32 v16, v11
	v_min_u32_e32 v16, 32, v16
	v_lshrrev_b32_e32 v14, 27, v13
	v_subrev_u32_e32 v17, 28, v16
	v_and_b32_e32 v12, 0x80000000, v13
	v_and_b32_e32 v14, 15, v14
	v_bfe_u32 v15, v13, 27, 4
	v_lshlrev_b32_sdwa v13, v17, v13 dst_sel:DWORD dst_unused:UNUSED_PAD src0_sel:DWORD src1_sel:BYTE_3
	v_sub_u32_e32 v16, 29, v16
	v_and_b32_e32 v13, 7, v13
	v_cmp_eq_u16_e32 vcc, 0, v14
	v_cndmask_b32_e32 v11, v11, v13, vcc
	v_cndmask_b32_e32 v13, v15, v16, vcc
	v_mov_b32_e32 v14, 0x3b800000
	v_lshlrev_b32_e32 v11, 20, v11
	v_lshl_add_u32 v13, v13, 23, v14
	v_or3_b32 v11, v12, v13, v11
.LBB30_1152:
	s_or_b64 exec, exec, s[6:7]
	s_nop 0
	v_mfma_f32_16x16x4f32 a[0:3], v10, v11, a[0:3]
	s_movk_i32 s4, 0x7f
	v_cmp_gt_i16_sdwa s[6:7], v6, s4 src0_sel:BYTE_0 src1_sel:DWORD
	s_mov_b64 s[4:5], 0
                                        ; implicit-def: $sgpr10
	s_and_saveexec_b64 s[8:9], s[6:7]
	s_xor_b64 s[6:7], exec, s[8:9]
	s_cbranch_execnz .LBB30_3201
; %bb.1153:
	s_or_saveexec_b64 s[6:7], s[6:7]
	v_mov_b32_e32 v10, s10
	s_xor_b64 exec, exec, s[6:7]
	s_cbranch_execnz .LBB30_3204
.LBB30_1154:
	s_or_b64 exec, exec, s[6:7]
	s_and_saveexec_b64 s[6:7], s[4:5]
	s_cbranch_execz .LBB30_1156
.LBB30_1155:
	v_and_b32_e32 v10, 7, v6
	v_ffbh_u32_e32 v12, v10
	v_min_u32_e32 v12, 32, v12
	v_lshrrev_b16_e32 v11, 3, v6
	v_subrev_u32_e32 v13, 28, v12
	v_and_b32_e32 v11, 15, v11
	v_lshlrev_b32_e32 v13, v13, v6
	v_sub_u32_e32 v12, 29, v12
	v_and_b32_e32 v13, 7, v13
	v_cmp_eq_u16_e32 vcc, 0, v11
	v_cndmask_b32_e32 v10, v10, v13, vcc
	v_cndmask_b32_e32 v11, v11, v12, vcc
	v_lshlrev_b32_e32 v12, 24, v6
	v_mov_b32_e32 v13, 0x3b800000
	v_lshlrev_b32_e32 v10, 20, v10
	v_and_b32_e32 v12, 0x80000000, v12
	v_lshl_add_u32 v11, v11, 23, v13
	v_or3_b32 v10, v12, v11, v10
.LBB30_1156:
	s_or_b64 exec, exec, s[6:7]
	s_movk_i32 s4, 0x7f
	v_cmp_gt_i16_sdwa s[6:7], v2, s4 src0_sel:BYTE_0 src1_sel:DWORD
	s_mov_b64 s[4:5], 0
                                        ; implicit-def: $sgpr10
	s_and_saveexec_b64 s[8:9], s[6:7]
	s_xor_b64 s[6:7], exec, s[8:9]
	s_cbranch_execnz .LBB30_3205
; %bb.1157:
	s_or_saveexec_b64 s[6:7], s[6:7]
	v_mov_b32_e32 v11, s10
	s_xor_b64 exec, exec, s[6:7]
	s_cbranch_execnz .LBB30_3208
.LBB30_1158:
	s_or_b64 exec, exec, s[6:7]
	s_and_saveexec_b64 s[6:7], s[4:5]
	s_cbranch_execz .LBB30_1160
.LBB30_1159:
	v_and_b32_e32 v11, 7, v2
	v_ffbh_u32_e32 v13, v11
	v_min_u32_e32 v13, 32, v13
	v_lshrrev_b16_e32 v12, 3, v2
	v_subrev_u32_e32 v14, 28, v13
	v_and_b32_e32 v12, 15, v12
	v_lshlrev_b32_e32 v14, v14, v2
	v_sub_u32_e32 v13, 29, v13
	v_and_b32_e32 v14, 7, v14
	v_cmp_eq_u16_e32 vcc, 0, v12
	v_cndmask_b32_e32 v11, v11, v14, vcc
	v_cndmask_b32_e32 v12, v12, v13, vcc
	v_lshlrev_b32_e32 v13, 24, v2
	v_mov_b32_e32 v14, 0x3b800000
	v_lshlrev_b32_e32 v11, 20, v11
	v_and_b32_e32 v13, 0x80000000, v13
	v_lshl_add_u32 v12, v12, 23, v14
	v_or3_b32 v11, v13, v12, v11
.LBB30_1160:
	s_or_b64 exec, exec, s[6:7]
	s_nop 0
	v_mfma_f32_16x16x4f32 a[0:3], v10, v11, a[0:3]
	v_lshrrev_b32_e32 v11, 8, v6
	s_movk_i32 s4, 0x7f
	v_cmp_gt_i16_sdwa s[6:7], v11, s4 src0_sel:BYTE_0 src1_sel:DWORD
	s_mov_b64 s[4:5], 0
                                        ; implicit-def: $sgpr10
	s_and_saveexec_b64 s[8:9], s[6:7]
	s_xor_b64 s[6:7], exec, s[8:9]
	s_cbranch_execnz .LBB30_3209
; %bb.1161:
	s_or_saveexec_b64 s[6:7], s[6:7]
	v_mov_b32_e32 v10, s10
	s_xor_b64 exec, exec, s[6:7]
	s_cbranch_execnz .LBB30_3212
.LBB30_1162:
	s_or_b64 exec, exec, s[6:7]
	s_and_saveexec_b64 s[6:7], s[4:5]
	s_cbranch_execz .LBB30_1164
.LBB30_1163:
	v_bfe_u32 v10, v6, 8, 3
	v_ffbh_u32_e32 v13, v10
	v_min_u32_e32 v13, 32, v13
	v_lshrrev_b16_e32 v12, 3, v11
	v_subrev_u32_e32 v14, 28, v13
	v_and_b32_e32 v12, 15, v12
	v_lshlrev_b32_e32 v11, v14, v11
	v_sub_u32_e32 v13, 29, v13
	v_and_b32_e32 v11, 7, v11
	v_cmp_eq_u16_e32 vcc, 0, v12
	v_cndmask_b32_e32 v10, v10, v11, vcc
	v_cndmask_b32_e32 v11, v12, v13, vcc
	v_lshlrev_b32_e32 v12, 16, v6
	v_mov_b32_e32 v13, 0x3b800000
	v_lshlrev_b32_e32 v10, 20, v10
	v_and_b32_e32 v12, 0x80000000, v12
	v_lshl_add_u32 v11, v11, 23, v13
	v_or3_b32 v10, v12, v11, v10
.LBB30_1164:
	s_or_b64 exec, exec, s[6:7]
	v_lshrrev_b32_e32 v11, 8, v2
	s_movk_i32 s4, 0x7f
	v_cmp_gt_i16_sdwa s[6:7], v11, s4 src0_sel:BYTE_0 src1_sel:DWORD
	s_mov_b64 s[4:5], 0
                                        ; implicit-def: $sgpr10
	s_and_saveexec_b64 s[8:9], s[6:7]
	s_xor_b64 s[6:7], exec, s[8:9]
	s_cbranch_execnz .LBB30_3213
; %bb.1165:
	s_or_saveexec_b64 s[6:7], s[6:7]
	v_mov_b32_e32 v12, s10
	s_xor_b64 exec, exec, s[6:7]
	s_cbranch_execnz .LBB30_3216
.LBB30_1166:
	s_or_b64 exec, exec, s[6:7]
	s_and_saveexec_b64 s[6:7], s[4:5]
	s_cbranch_execz .LBB30_1168
.LBB30_1167:
	v_bfe_u32 v12, v2, 8, 3
	v_ffbh_u32_e32 v14, v12
	v_min_u32_e32 v14, 32, v14
	v_lshrrev_b16_e32 v13, 3, v11
	v_subrev_u32_e32 v15, 28, v14
	v_and_b32_e32 v13, 15, v13
	v_lshlrev_b32_e32 v11, v15, v11
	v_sub_u32_e32 v14, 29, v14
	v_and_b32_e32 v11, 7, v11
	v_cmp_eq_u16_e32 vcc, 0, v13
	v_cndmask_b32_e32 v11, v12, v11, vcc
	v_cndmask_b32_e32 v12, v13, v14, vcc
	v_lshlrev_b32_e32 v13, 16, v2
	v_mov_b32_e32 v14, 0x3b800000
	v_lshlrev_b32_e32 v11, 20, v11
	v_and_b32_e32 v13, 0x80000000, v13
	v_lshl_add_u32 v12, v12, 23, v14
	v_or3_b32 v12, v13, v12, v11
.LBB30_1168:
	s_or_b64 exec, exec, s[6:7]
	s_nop 0
	v_mfma_f32_16x16x4f32 a[0:3], v10, v12, a[0:3]
	s_movk_i32 s4, 0xff
	v_and_b32_sdwa v11, v6, s4 dst_sel:DWORD dst_unused:UNUSED_PAD src0_sel:WORD_1 src1_sel:DWORD
	s_movk_i32 s4, 0x7f
	v_cmp_lt_i16_e32 vcc, s4, v11
	s_mov_b64 s[4:5], 0
                                        ; implicit-def: $sgpr10
	s_and_saveexec_b64 s[6:7], vcc
	s_xor_b64 s[6:7], exec, s[6:7]
	s_cbranch_execnz .LBB30_3217
; %bb.1169:
	s_or_saveexec_b64 s[6:7], s[6:7]
	v_mov_b32_e32 v10, s10
	s_xor_b64 exec, exec, s[6:7]
	s_cbranch_execnz .LBB30_3220
.LBB30_1170:
	s_or_b64 exec, exec, s[6:7]
	s_and_saveexec_b64 s[6:7], s[4:5]
	s_cbranch_execz .LBB30_1172
.LBB30_1171:
	v_bfe_u32 v10, v6, 16, 3
	v_ffbh_u32_e32 v13, v10
	v_min_u32_e32 v13, 32, v13
	v_lshrrev_b32_e32 v11, 19, v6
	v_subrev_u32_e32 v14, 28, v13
	v_and_b32_e32 v11, 15, v11
	v_lshlrev_b32_sdwa v14, v14, v6 dst_sel:DWORD dst_unused:UNUSED_PAD src0_sel:DWORD src1_sel:WORD_1
	v_bfe_u32 v12, v6, 19, 4
	v_sub_u32_e32 v13, 29, v13
	v_and_b32_e32 v14, 7, v14
	v_cmp_eq_u16_e32 vcc, 0, v11
	v_cndmask_b32_e32 v10, v10, v14, vcc
	v_cndmask_b32_e32 v11, v12, v13, vcc
	v_lshlrev_b32_e32 v12, 8, v6
	v_mov_b32_e32 v13, 0x3b800000
	v_lshlrev_b32_e32 v10, 20, v10
	v_and_b32_e32 v12, 0x80000000, v12
	v_lshl_add_u32 v11, v11, 23, v13
	v_or3_b32 v10, v12, v11, v10
.LBB30_1172:
	s_or_b64 exec, exec, s[6:7]
	s_movk_i32 s4, 0xff
	v_and_b32_sdwa v11, v2, s4 dst_sel:DWORD dst_unused:UNUSED_PAD src0_sel:WORD_1 src1_sel:DWORD
	s_movk_i32 s4, 0x7f
	v_cmp_lt_i16_e32 vcc, s4, v11
	s_mov_b64 s[4:5], 0
                                        ; implicit-def: $sgpr10
	s_and_saveexec_b64 s[6:7], vcc
	s_xor_b64 s[6:7], exec, s[6:7]
	s_cbranch_execnz .LBB30_3221
; %bb.1173:
	s_or_saveexec_b64 s[6:7], s[6:7]
	v_mov_b32_e32 v12, s10
	s_xor_b64 exec, exec, s[6:7]
	s_cbranch_execnz .LBB30_3224
.LBB30_1174:
	s_or_b64 exec, exec, s[6:7]
	s_and_saveexec_b64 s[6:7], s[4:5]
	s_cbranch_execz .LBB30_1176
.LBB30_1175:
	v_bfe_u32 v11, v2, 16, 3
	v_ffbh_u32_e32 v14, v11
	v_min_u32_e32 v14, 32, v14
	v_lshrrev_b32_e32 v12, 19, v2
	v_subrev_u32_e32 v15, 28, v14
	v_and_b32_e32 v12, 15, v12
	v_lshlrev_b32_sdwa v15, v15, v2 dst_sel:DWORD dst_unused:UNUSED_PAD src0_sel:DWORD src1_sel:WORD_1
	v_bfe_u32 v13, v2, 19, 4
	v_sub_u32_e32 v14, 29, v14
	v_and_b32_e32 v15, 7, v15
	v_cmp_eq_u16_e32 vcc, 0, v12
	v_cndmask_b32_e32 v11, v11, v15, vcc
	v_cndmask_b32_e32 v12, v13, v14, vcc
	v_lshlrev_b32_e32 v13, 8, v2
	v_mov_b32_e32 v14, 0x3b800000
	v_lshlrev_b32_e32 v11, 20, v11
	v_and_b32_e32 v13, 0x80000000, v13
	v_lshl_add_u32 v12, v12, 23, v14
	v_or3_b32 v12, v13, v12, v11
.LBB30_1176:
	s_or_b64 exec, exec, s[6:7]
	s_nop 0
	v_mfma_f32_16x16x4f32 a[0:3], v10, v12, a[0:3]
	s_movk_i32 s4, 0x7f
	v_cmp_gt_i16_sdwa s[6:7], v6, s4 src0_sel:BYTE_3 src1_sel:DWORD
	s_mov_b64 s[4:5], 0
                                        ; implicit-def: $sgpr10
	s_and_saveexec_b64 s[8:9], s[6:7]
	s_xor_b64 s[6:7], exec, s[8:9]
	s_cbranch_execnz .LBB30_3225
; %bb.1177:
	s_or_saveexec_b64 s[6:7], s[6:7]
	v_mov_b32_e32 v10, s10
	s_xor_b64 exec, exec, s[6:7]
	s_cbranch_execnz .LBB30_3228
.LBB30_1178:
	s_or_b64 exec, exec, s[6:7]
	s_and_saveexec_b64 s[6:7], s[4:5]
	s_cbranch_execz .LBB30_1180
.LBB30_1179:
	v_bfe_u32 v10, v6, 24, 3
	v_ffbh_u32_e32 v14, v10
	v_min_u32_e32 v14, 32, v14
	v_lshrrev_b32_e32 v12, 27, v6
	v_subrev_u32_e32 v15, 28, v14
	v_and_b32_e32 v11, 0x80000000, v6
	v_and_b32_e32 v12, 15, v12
	v_bfe_u32 v13, v6, 27, 4
	v_lshlrev_b32_sdwa v6, v15, v6 dst_sel:DWORD dst_unused:UNUSED_PAD src0_sel:DWORD src1_sel:BYTE_3
	v_sub_u32_e32 v14, 29, v14
	v_and_b32_e32 v6, 7, v6
	v_cmp_eq_u16_e32 vcc, 0, v12
	v_cndmask_b32_e32 v6, v10, v6, vcc
	v_cndmask_b32_e32 v10, v13, v14, vcc
	v_mov_b32_e32 v12, 0x3b800000
	v_lshlrev_b32_e32 v6, 20, v6
	v_lshl_add_u32 v10, v10, 23, v12
	v_or3_b32 v10, v11, v10, v6
.LBB30_1180:
	s_or_b64 exec, exec, s[6:7]
	s_movk_i32 s4, 0x7f
	v_cmp_gt_i16_sdwa s[6:7], v2, s4 src0_sel:BYTE_3 src1_sel:DWORD
	s_mov_b64 s[4:5], 0
                                        ; implicit-def: $sgpr10
	s_and_saveexec_b64 s[8:9], s[6:7]
	s_xor_b64 s[6:7], exec, s[8:9]
	s_cbranch_execnz .LBB30_3229
; %bb.1181:
	s_or_saveexec_b64 s[6:7], s[6:7]
	v_mov_b32_e32 v6, s10
	s_xor_b64 exec, exec, s[6:7]
	s_cbranch_execnz .LBB30_3232
.LBB30_1182:
	s_or_b64 exec, exec, s[6:7]
	s_and_saveexec_b64 s[6:7], s[4:5]
	s_cbranch_execz .LBB30_1184
.LBB30_1183:
	v_bfe_u32 v6, v2, 24, 3
	v_ffbh_u32_e32 v14, v6
	v_min_u32_e32 v14, 32, v14
	v_lshrrev_b32_e32 v12, 27, v2
	v_subrev_u32_e32 v15, 28, v14
	v_and_b32_e32 v11, 0x80000000, v2
	v_and_b32_e32 v12, 15, v12
	v_bfe_u32 v13, v2, 27, 4
	v_lshlrev_b32_sdwa v2, v15, v2 dst_sel:DWORD dst_unused:UNUSED_PAD src0_sel:DWORD src1_sel:BYTE_3
	v_sub_u32_e32 v14, 29, v14
	v_and_b32_e32 v2, 7, v2
	v_cmp_eq_u16_e32 vcc, 0, v12
	v_cndmask_b32_e32 v2, v6, v2, vcc
	v_cndmask_b32_e32 v6, v13, v14, vcc
	v_mov_b32_e32 v12, 0x3b800000
	v_lshlrev_b32_e32 v2, 20, v2
	v_lshl_add_u32 v6, v6, 23, v12
	v_or3_b32 v6, v11, v6, v2
.LBB30_1184:
	s_or_b64 exec, exec, s[6:7]
	s_nop 0
	v_mfma_f32_16x16x4f32 a[0:3], v10, v6, a[0:3]
	s_movk_i32 s4, 0x7f
	v_cmp_gt_i16_sdwa s[6:7], v7, s4 src0_sel:BYTE_0 src1_sel:DWORD
	s_mov_b64 s[4:5], 0
                                        ; implicit-def: $sgpr10
	s_and_saveexec_b64 s[8:9], s[6:7]
	s_xor_b64 s[6:7], exec, s[8:9]
	s_cbranch_execnz .LBB30_3233
; %bb.1185:
	s_or_saveexec_b64 s[6:7], s[6:7]
	v_mov_b32_e32 v2, s10
	s_xor_b64 exec, exec, s[6:7]
	s_cbranch_execnz .LBB30_3236
.LBB30_1186:
	s_or_b64 exec, exec, s[6:7]
	s_and_saveexec_b64 s[6:7], s[4:5]
	s_cbranch_execz .LBB30_1188
.LBB30_1187:
	v_and_b32_e32 v2, 7, v7
	v_ffbh_u32_e32 v10, v2
	v_min_u32_e32 v10, 32, v10
	v_lshrrev_b16_e32 v6, 3, v7
	v_subrev_u32_e32 v11, 28, v10
	v_and_b32_e32 v6, 15, v6
	v_lshlrev_b32_e32 v11, v11, v7
	v_sub_u32_e32 v10, 29, v10
	v_and_b32_e32 v11, 7, v11
	v_cmp_eq_u16_e32 vcc, 0, v6
	v_cndmask_b32_e32 v2, v2, v11, vcc
	v_cndmask_b32_e32 v6, v6, v10, vcc
	v_lshlrev_b32_e32 v10, 24, v7
	v_mov_b32_e32 v11, 0x3b800000
	v_lshlrev_b32_e32 v2, 20, v2
	v_and_b32_e32 v10, 0x80000000, v10
	v_lshl_add_u32 v6, v6, 23, v11
	v_or3_b32 v2, v10, v6, v2
.LBB30_1188:
	s_or_b64 exec, exec, s[6:7]
	s_movk_i32 s4, 0x7f
	v_cmp_gt_i16_sdwa s[6:7], v3, s4 src0_sel:BYTE_0 src1_sel:DWORD
	s_mov_b64 s[4:5], 0
                                        ; implicit-def: $sgpr10
	s_and_saveexec_b64 s[8:9], s[6:7]
	s_xor_b64 s[6:7], exec, s[8:9]
	s_cbranch_execnz .LBB30_3237
; %bb.1189:
	s_or_saveexec_b64 s[6:7], s[6:7]
	v_mov_b32_e32 v6, s10
	s_xor_b64 exec, exec, s[6:7]
	s_cbranch_execnz .LBB30_3240
.LBB30_1190:
	s_or_b64 exec, exec, s[6:7]
	s_and_saveexec_b64 s[6:7], s[4:5]
	s_cbranch_execz .LBB30_1192
.LBB30_1191:
	v_and_b32_e32 v6, 7, v3
	v_ffbh_u32_e32 v11, v6
	v_min_u32_e32 v11, 32, v11
	v_lshrrev_b16_e32 v10, 3, v3
	v_subrev_u32_e32 v12, 28, v11
	v_and_b32_e32 v10, 15, v10
	v_lshlrev_b32_e32 v12, v12, v3
	v_sub_u32_e32 v11, 29, v11
	v_and_b32_e32 v12, 7, v12
	v_cmp_eq_u16_e32 vcc, 0, v10
	v_cndmask_b32_e32 v6, v6, v12, vcc
	v_cndmask_b32_e32 v10, v10, v11, vcc
	v_lshlrev_b32_e32 v11, 24, v3
	v_mov_b32_e32 v12, 0x3b800000
	v_lshlrev_b32_e32 v6, 20, v6
	v_and_b32_e32 v11, 0x80000000, v11
	v_lshl_add_u32 v10, v10, 23, v12
	v_or3_b32 v6, v11, v10, v6
.LBB30_1192:
	s_or_b64 exec, exec, s[6:7]
	s_nop 0
	v_mfma_f32_16x16x4f32 a[0:3], v2, v6, a[0:3]
	v_lshrrev_b32_e32 v6, 8, v7
	s_movk_i32 s4, 0x7f
	v_cmp_gt_i16_sdwa s[6:7], v6, s4 src0_sel:BYTE_0 src1_sel:DWORD
	s_mov_b64 s[4:5], 0
                                        ; implicit-def: $sgpr10
	s_and_saveexec_b64 s[8:9], s[6:7]
	s_xor_b64 s[6:7], exec, s[8:9]
	s_cbranch_execnz .LBB30_3241
; %bb.1193:
	s_or_saveexec_b64 s[6:7], s[6:7]
	v_mov_b32_e32 v2, s10
	s_xor_b64 exec, exec, s[6:7]
	s_cbranch_execnz .LBB30_3244
.LBB30_1194:
	s_or_b64 exec, exec, s[6:7]
	s_and_saveexec_b64 s[6:7], s[4:5]
	s_cbranch_execz .LBB30_1196
.LBB30_1195:
	v_bfe_u32 v2, v7, 8, 3
	v_ffbh_u32_e32 v11, v2
	v_min_u32_e32 v11, 32, v11
	v_lshrrev_b16_e32 v10, 3, v6
	v_subrev_u32_e32 v12, 28, v11
	v_and_b32_e32 v10, 15, v10
	v_lshlrev_b32_e32 v6, v12, v6
	v_sub_u32_e32 v11, 29, v11
	v_and_b32_e32 v6, 7, v6
	v_cmp_eq_u16_e32 vcc, 0, v10
	v_cndmask_b32_e32 v2, v2, v6, vcc
	v_cndmask_b32_e32 v6, v10, v11, vcc
	v_lshlrev_b32_e32 v10, 16, v7
	v_mov_b32_e32 v11, 0x3b800000
	v_lshlrev_b32_e32 v2, 20, v2
	v_and_b32_e32 v10, 0x80000000, v10
	v_lshl_add_u32 v6, v6, 23, v11
	v_or3_b32 v2, v10, v6, v2
.LBB30_1196:
	s_or_b64 exec, exec, s[6:7]
	v_lshrrev_b32_e32 v6, 8, v3
	s_movk_i32 s4, 0x7f
	v_cmp_gt_i16_sdwa s[6:7], v6, s4 src0_sel:BYTE_0 src1_sel:DWORD
	s_mov_b64 s[4:5], 0
                                        ; implicit-def: $sgpr10
	s_and_saveexec_b64 s[8:9], s[6:7]
	s_xor_b64 s[6:7], exec, s[8:9]
	s_cbranch_execnz .LBB30_3245
; %bb.1197:
	s_or_saveexec_b64 s[6:7], s[6:7]
	v_mov_b32_e32 v10, s10
	s_xor_b64 exec, exec, s[6:7]
	s_cbranch_execnz .LBB30_3248
.LBB30_1198:
	s_or_b64 exec, exec, s[6:7]
	s_and_saveexec_b64 s[6:7], s[4:5]
	s_cbranch_execz .LBB30_1200
.LBB30_1199:
	v_bfe_u32 v10, v3, 8, 3
	v_ffbh_u32_e32 v12, v10
	v_min_u32_e32 v12, 32, v12
	v_lshrrev_b16_e32 v11, 3, v6
	v_subrev_u32_e32 v13, 28, v12
	v_and_b32_e32 v11, 15, v11
	v_lshlrev_b32_e32 v6, v13, v6
	v_sub_u32_e32 v12, 29, v12
	v_and_b32_e32 v6, 7, v6
	v_cmp_eq_u16_e32 vcc, 0, v11
	v_cndmask_b32_e32 v6, v10, v6, vcc
	v_cndmask_b32_e32 v10, v11, v12, vcc
	v_lshlrev_b32_e32 v11, 16, v3
	v_mov_b32_e32 v12, 0x3b800000
	v_lshlrev_b32_e32 v6, 20, v6
	v_and_b32_e32 v11, 0x80000000, v11
	v_lshl_add_u32 v10, v10, 23, v12
	v_or3_b32 v10, v11, v10, v6
.LBB30_1200:
	s_or_b64 exec, exec, s[6:7]
	s_nop 0
	v_mfma_f32_16x16x4f32 a[0:3], v2, v10, a[0:3]
	s_movk_i32 s4, 0xff
	v_and_b32_sdwa v6, v7, s4 dst_sel:DWORD dst_unused:UNUSED_PAD src0_sel:WORD_1 src1_sel:DWORD
	s_movk_i32 s4, 0x7f
	v_cmp_lt_i16_e32 vcc, s4, v6
	s_mov_b64 s[4:5], 0
                                        ; implicit-def: $sgpr10
	s_and_saveexec_b64 s[6:7], vcc
	s_xor_b64 s[6:7], exec, s[6:7]
	s_cbranch_execnz .LBB30_3249
; %bb.1201:
	s_or_saveexec_b64 s[6:7], s[6:7]
	v_mov_b32_e32 v2, s10
	s_xor_b64 exec, exec, s[6:7]
	s_cbranch_execnz .LBB30_3252
.LBB30_1202:
	s_or_b64 exec, exec, s[6:7]
	s_and_saveexec_b64 s[6:7], s[4:5]
	s_cbranch_execz .LBB30_1204
.LBB30_1203:
	v_bfe_u32 v2, v7, 16, 3
	v_ffbh_u32_e32 v11, v2
	v_min_u32_e32 v11, 32, v11
	v_lshrrev_b32_e32 v6, 19, v7
	v_subrev_u32_e32 v12, 28, v11
	v_and_b32_e32 v6, 15, v6
	v_lshlrev_b32_sdwa v12, v12, v7 dst_sel:DWORD dst_unused:UNUSED_PAD src0_sel:DWORD src1_sel:WORD_1
	v_bfe_u32 v10, v7, 19, 4
	v_sub_u32_e32 v11, 29, v11
	v_and_b32_e32 v12, 7, v12
	v_cmp_eq_u16_e32 vcc, 0, v6
	v_cndmask_b32_e32 v2, v2, v12, vcc
	v_cndmask_b32_e32 v6, v10, v11, vcc
	v_lshlrev_b32_e32 v10, 8, v7
	v_mov_b32_e32 v11, 0x3b800000
	v_lshlrev_b32_e32 v2, 20, v2
	v_and_b32_e32 v10, 0x80000000, v10
	v_lshl_add_u32 v6, v6, 23, v11
	v_or3_b32 v2, v10, v6, v2
.LBB30_1204:
	s_or_b64 exec, exec, s[6:7]
	s_movk_i32 s4, 0xff
	v_and_b32_sdwa v6, v3, s4 dst_sel:DWORD dst_unused:UNUSED_PAD src0_sel:WORD_1 src1_sel:DWORD
	s_movk_i32 s4, 0x7f
	v_cmp_lt_i16_e32 vcc, s4, v6
	s_mov_b64 s[4:5], 0
                                        ; implicit-def: $sgpr10
	s_and_saveexec_b64 s[6:7], vcc
	s_xor_b64 s[6:7], exec, s[6:7]
	s_cbranch_execnz .LBB30_3253
; %bb.1205:
	s_or_saveexec_b64 s[6:7], s[6:7]
	v_mov_b32_e32 v10, s10
	s_xor_b64 exec, exec, s[6:7]
	s_cbranch_execnz .LBB30_3256
.LBB30_1206:
	s_or_b64 exec, exec, s[6:7]
	s_and_saveexec_b64 s[6:7], s[4:5]
	s_cbranch_execz .LBB30_1208
.LBB30_1207:
	v_bfe_u32 v6, v3, 16, 3
	v_ffbh_u32_e32 v12, v6
	v_min_u32_e32 v12, 32, v12
	v_lshrrev_b32_e32 v10, 19, v3
	v_subrev_u32_e32 v13, 28, v12
	v_and_b32_e32 v10, 15, v10
	v_lshlrev_b32_sdwa v13, v13, v3 dst_sel:DWORD dst_unused:UNUSED_PAD src0_sel:DWORD src1_sel:WORD_1
	v_bfe_u32 v11, v3, 19, 4
	v_sub_u32_e32 v12, 29, v12
	v_and_b32_e32 v13, 7, v13
	v_cmp_eq_u16_e32 vcc, 0, v10
	v_cndmask_b32_e32 v6, v6, v13, vcc
	v_cndmask_b32_e32 v10, v11, v12, vcc
	v_lshlrev_b32_e32 v11, 8, v3
	v_mov_b32_e32 v12, 0x3b800000
	v_lshlrev_b32_e32 v6, 20, v6
	v_and_b32_e32 v11, 0x80000000, v11
	v_lshl_add_u32 v10, v10, 23, v12
	v_or3_b32 v10, v11, v10, v6
.LBB30_1208:
	s_or_b64 exec, exec, s[6:7]
	s_nop 0
	v_mfma_f32_16x16x4f32 a[0:3], v2, v10, a[0:3]
	s_movk_i32 s4, 0x7f
	v_cmp_gt_i16_sdwa s[6:7], v7, s4 src0_sel:BYTE_3 src1_sel:DWORD
	s_mov_b64 s[4:5], 0
                                        ; implicit-def: $sgpr10
	s_and_saveexec_b64 s[8:9], s[6:7]
	s_xor_b64 s[6:7], exec, s[8:9]
	s_cbranch_execnz .LBB30_3257
; %bb.1209:
	s_or_saveexec_b64 s[6:7], s[6:7]
	v_mov_b32_e32 v2, s10
	s_xor_b64 exec, exec, s[6:7]
	s_cbranch_execnz .LBB30_3260
.LBB30_1210:
	s_or_b64 exec, exec, s[6:7]
	s_and_saveexec_b64 s[6:7], s[4:5]
	s_cbranch_execz .LBB30_1212
.LBB30_1211:
	v_bfe_u32 v2, v7, 24, 3
	v_ffbh_u32_e32 v12, v2
	v_min_u32_e32 v12, 32, v12
	v_lshrrev_b32_e32 v10, 27, v7
	v_subrev_u32_e32 v13, 28, v12
	v_and_b32_e32 v6, 0x80000000, v7
	v_and_b32_e32 v10, 15, v10
	v_bfe_u32 v11, v7, 27, 4
	v_lshlrev_b32_sdwa v7, v13, v7 dst_sel:DWORD dst_unused:UNUSED_PAD src0_sel:DWORD src1_sel:BYTE_3
	v_sub_u32_e32 v12, 29, v12
	v_and_b32_e32 v7, 7, v7
	v_cmp_eq_u16_e32 vcc, 0, v10
	v_cndmask_b32_e32 v2, v2, v7, vcc
	v_cndmask_b32_e32 v7, v11, v12, vcc
	v_mov_b32_e32 v10, 0x3b800000
	v_lshlrev_b32_e32 v2, 20, v2
	v_lshl_add_u32 v7, v7, 23, v10
	v_or3_b32 v2, v6, v7, v2
.LBB30_1212:
	s_or_b64 exec, exec, s[6:7]
	s_movk_i32 s4, 0x7f
	v_cmp_gt_i16_sdwa s[6:7], v3, s4 src0_sel:BYTE_3 src1_sel:DWORD
	s_mov_b64 s[4:5], 0
                                        ; implicit-def: $sgpr10
	s_and_saveexec_b64 s[8:9], s[6:7]
	s_xor_b64 s[6:7], exec, s[8:9]
	s_cbranch_execnz .LBB30_3261
; %bb.1213:
	s_or_saveexec_b64 s[6:7], s[6:7]
	v_mov_b32_e32 v6, s10
	s_xor_b64 exec, exec, s[6:7]
	s_cbranch_execnz .LBB30_3264
.LBB30_1214:
	s_or_b64 exec, exec, s[6:7]
	s_and_saveexec_b64 s[6:7], s[4:5]
	s_cbranch_execz .LBB30_1216
.LBB30_1215:
	v_bfe_u32 v6, v3, 24, 3
	v_ffbh_u32_e32 v12, v6
	v_min_u32_e32 v12, 32, v12
	v_lshrrev_b32_e32 v10, 27, v3
	v_subrev_u32_e32 v13, 28, v12
	v_and_b32_e32 v7, 0x80000000, v3
	v_and_b32_e32 v10, 15, v10
	v_bfe_u32 v11, v3, 27, 4
	v_lshlrev_b32_sdwa v3, v13, v3 dst_sel:DWORD dst_unused:UNUSED_PAD src0_sel:DWORD src1_sel:BYTE_3
	v_sub_u32_e32 v12, 29, v12
	v_and_b32_e32 v3, 7, v3
	v_cmp_eq_u16_e32 vcc, 0, v10
	v_cndmask_b32_e32 v3, v6, v3, vcc
	v_cndmask_b32_e32 v6, v11, v12, vcc
	v_mov_b32_e32 v10, 0x3b800000
	v_lshlrev_b32_e32 v3, 20, v3
	v_lshl_add_u32 v6, v6, 23, v10
	v_or3_b32 v6, v7, v6, v3
.LBB30_1216:
	s_or_b64 exec, exec, s[6:7]
	s_nop 0
	v_mfma_f32_16x16x4f32 a[0:3], v2, v6, a[0:3]
	s_movk_i32 s4, 0x7f
	v_cmp_gt_i16_sdwa s[6:7], v8, s4 src0_sel:BYTE_0 src1_sel:DWORD
	s_mov_b64 s[4:5], 0
                                        ; implicit-def: $sgpr10
	s_and_saveexec_b64 s[8:9], s[6:7]
	s_xor_b64 s[6:7], exec, s[8:9]
	s_cbranch_execnz .LBB30_3265
; %bb.1217:
	s_or_saveexec_b64 s[6:7], s[6:7]
	v_mov_b32_e32 v2, s10
	s_xor_b64 exec, exec, s[6:7]
	s_cbranch_execnz .LBB30_3268
.LBB30_1218:
	s_or_b64 exec, exec, s[6:7]
	s_and_saveexec_b64 s[6:7], s[4:5]
	s_cbranch_execz .LBB30_1220
.LBB30_1219:
	v_and_b32_e32 v2, 7, v8
	v_ffbh_u32_e32 v6, v2
	v_min_u32_e32 v6, 32, v6
	v_lshrrev_b16_e32 v3, 3, v8
	v_subrev_u32_e32 v7, 28, v6
	v_and_b32_e32 v3, 15, v3
	v_lshlrev_b32_e32 v7, v7, v8
	v_sub_u32_e32 v6, 29, v6
	v_and_b32_e32 v7, 7, v7
	v_cmp_eq_u16_e32 vcc, 0, v3
	v_cndmask_b32_e32 v2, v2, v7, vcc
	v_cndmask_b32_e32 v3, v3, v6, vcc
	v_lshlrev_b32_e32 v6, 24, v8
	v_mov_b32_e32 v7, 0x3b800000
	v_lshlrev_b32_e32 v2, 20, v2
	v_and_b32_e32 v6, 0x80000000, v6
	v_lshl_add_u32 v3, v3, 23, v7
	v_or3_b32 v2, v6, v3, v2
.LBB30_1220:
	s_or_b64 exec, exec, s[6:7]
	s_movk_i32 s4, 0x7f
	v_cmp_gt_i16_sdwa s[6:7], v4, s4 src0_sel:BYTE_0 src1_sel:DWORD
	s_mov_b64 s[4:5], 0
                                        ; implicit-def: $sgpr10
	s_and_saveexec_b64 s[8:9], s[6:7]
	s_xor_b64 s[6:7], exec, s[8:9]
	s_cbranch_execnz .LBB30_3269
; %bb.1221:
	s_or_saveexec_b64 s[6:7], s[6:7]
	v_mov_b32_e32 v3, s10
	s_xor_b64 exec, exec, s[6:7]
	s_cbranch_execnz .LBB30_3272
.LBB30_1222:
	s_or_b64 exec, exec, s[6:7]
	s_and_saveexec_b64 s[6:7], s[4:5]
	s_cbranch_execz .LBB30_1224
.LBB30_1223:
	v_and_b32_e32 v3, 7, v4
	v_ffbh_u32_e32 v7, v3
	v_min_u32_e32 v7, 32, v7
	v_lshrrev_b16_e32 v6, 3, v4
	v_subrev_u32_e32 v10, 28, v7
	v_and_b32_e32 v6, 15, v6
	v_lshlrev_b32_e32 v10, v10, v4
	v_sub_u32_e32 v7, 29, v7
	v_and_b32_e32 v10, 7, v10
	v_cmp_eq_u16_e32 vcc, 0, v6
	v_cndmask_b32_e32 v3, v3, v10, vcc
	v_cndmask_b32_e32 v6, v6, v7, vcc
	v_lshlrev_b32_e32 v7, 24, v4
	v_mov_b32_e32 v10, 0x3b800000
	v_lshlrev_b32_e32 v3, 20, v3
	v_and_b32_e32 v7, 0x80000000, v7
	v_lshl_add_u32 v6, v6, 23, v10
	v_or3_b32 v3, v7, v6, v3
.LBB30_1224:
	s_or_b64 exec, exec, s[6:7]
	s_nop 0
	v_mfma_f32_16x16x4f32 a[0:3], v2, v3, a[0:3]
	v_lshrrev_b32_e32 v3, 8, v8
	s_movk_i32 s4, 0x7f
	v_cmp_gt_i16_sdwa s[6:7], v3, s4 src0_sel:BYTE_0 src1_sel:DWORD
	s_mov_b64 s[4:5], 0
                                        ; implicit-def: $sgpr10
	s_and_saveexec_b64 s[8:9], s[6:7]
	s_xor_b64 s[6:7], exec, s[8:9]
	s_cbranch_execnz .LBB30_3273
; %bb.1225:
	s_or_saveexec_b64 s[6:7], s[6:7]
	v_mov_b32_e32 v2, s10
	s_xor_b64 exec, exec, s[6:7]
	s_cbranch_execnz .LBB30_3276
.LBB30_1226:
	s_or_b64 exec, exec, s[6:7]
	s_and_saveexec_b64 s[6:7], s[4:5]
	s_cbranch_execz .LBB30_1228
.LBB30_1227:
	v_bfe_u32 v2, v8, 8, 3
	v_ffbh_u32_e32 v7, v2
	v_min_u32_e32 v7, 32, v7
	v_lshrrev_b16_e32 v6, 3, v3
	v_subrev_u32_e32 v10, 28, v7
	v_and_b32_e32 v6, 15, v6
	v_lshlrev_b32_e32 v3, v10, v3
	v_sub_u32_e32 v7, 29, v7
	v_and_b32_e32 v3, 7, v3
	v_cmp_eq_u16_e32 vcc, 0, v6
	v_cndmask_b32_e32 v2, v2, v3, vcc
	v_cndmask_b32_e32 v3, v6, v7, vcc
	v_lshlrev_b32_e32 v6, 16, v8
	v_mov_b32_e32 v7, 0x3b800000
	v_lshlrev_b32_e32 v2, 20, v2
	v_and_b32_e32 v6, 0x80000000, v6
	v_lshl_add_u32 v3, v3, 23, v7
	v_or3_b32 v2, v6, v3, v2
.LBB30_1228:
	s_or_b64 exec, exec, s[6:7]
	v_lshrrev_b32_e32 v3, 8, v4
	s_movk_i32 s4, 0x7f
	v_cmp_gt_i16_sdwa s[6:7], v3, s4 src0_sel:BYTE_0 src1_sel:DWORD
	s_mov_b64 s[4:5], 0
                                        ; implicit-def: $sgpr10
	s_and_saveexec_b64 s[8:9], s[6:7]
	s_xor_b64 s[6:7], exec, s[8:9]
	s_cbranch_execnz .LBB30_3277
; %bb.1229:
	s_or_saveexec_b64 s[6:7], s[6:7]
	v_mov_b32_e32 v6, s10
	s_xor_b64 exec, exec, s[6:7]
	s_cbranch_execnz .LBB30_3280
.LBB30_1230:
	s_or_b64 exec, exec, s[6:7]
	s_and_saveexec_b64 s[6:7], s[4:5]
	s_cbranch_execz .LBB30_1232
.LBB30_1231:
	v_bfe_u32 v6, v4, 8, 3
	v_ffbh_u32_e32 v10, v6
	v_min_u32_e32 v10, 32, v10
	v_lshrrev_b16_e32 v7, 3, v3
	v_subrev_u32_e32 v11, 28, v10
	v_and_b32_e32 v7, 15, v7
	v_lshlrev_b32_e32 v3, v11, v3
	v_sub_u32_e32 v10, 29, v10
	v_and_b32_e32 v3, 7, v3
	v_cmp_eq_u16_e32 vcc, 0, v7
	v_cndmask_b32_e32 v3, v6, v3, vcc
	v_cndmask_b32_e32 v6, v7, v10, vcc
	v_lshlrev_b32_e32 v7, 16, v4
	v_mov_b32_e32 v10, 0x3b800000
	v_lshlrev_b32_e32 v3, 20, v3
	v_and_b32_e32 v7, 0x80000000, v7
	v_lshl_add_u32 v6, v6, 23, v10
	v_or3_b32 v6, v7, v6, v3
.LBB30_1232:
	s_or_b64 exec, exec, s[6:7]
	s_nop 0
	v_mfma_f32_16x16x4f32 a[0:3], v2, v6, a[0:3]
	s_movk_i32 s4, 0xff
	v_and_b32_sdwa v3, v8, s4 dst_sel:DWORD dst_unused:UNUSED_PAD src0_sel:WORD_1 src1_sel:DWORD
	s_movk_i32 s4, 0x7f
	v_cmp_lt_i16_e32 vcc, s4, v3
	s_mov_b64 s[4:5], 0
                                        ; implicit-def: $sgpr10
	s_and_saveexec_b64 s[6:7], vcc
	s_xor_b64 s[6:7], exec, s[6:7]
	s_cbranch_execnz .LBB30_3281
; %bb.1233:
	s_or_saveexec_b64 s[6:7], s[6:7]
	v_mov_b32_e32 v2, s10
	s_xor_b64 exec, exec, s[6:7]
	s_cbranch_execnz .LBB30_3284
.LBB30_1234:
	s_or_b64 exec, exec, s[6:7]
	s_and_saveexec_b64 s[6:7], s[4:5]
	s_cbranch_execz .LBB30_1236
.LBB30_1235:
	v_bfe_u32 v2, v8, 16, 3
	v_ffbh_u32_e32 v7, v2
	v_min_u32_e32 v7, 32, v7
	v_lshrrev_b32_e32 v3, 19, v8
	v_subrev_u32_e32 v10, 28, v7
	v_and_b32_e32 v3, 15, v3
	v_lshlrev_b32_sdwa v10, v10, v8 dst_sel:DWORD dst_unused:UNUSED_PAD src0_sel:DWORD src1_sel:WORD_1
	v_bfe_u32 v6, v8, 19, 4
	v_sub_u32_e32 v7, 29, v7
	v_and_b32_e32 v10, 7, v10
	v_cmp_eq_u16_e32 vcc, 0, v3
	v_cndmask_b32_e32 v2, v2, v10, vcc
	v_cndmask_b32_e32 v3, v6, v7, vcc
	v_lshlrev_b32_e32 v6, 8, v8
	v_mov_b32_e32 v7, 0x3b800000
	v_lshlrev_b32_e32 v2, 20, v2
	v_and_b32_e32 v6, 0x80000000, v6
	v_lshl_add_u32 v3, v3, 23, v7
	v_or3_b32 v2, v6, v3, v2
.LBB30_1236:
	s_or_b64 exec, exec, s[6:7]
	s_movk_i32 s4, 0xff
	v_and_b32_sdwa v3, v4, s4 dst_sel:DWORD dst_unused:UNUSED_PAD src0_sel:WORD_1 src1_sel:DWORD
	s_movk_i32 s4, 0x7f
	v_cmp_lt_i16_e32 vcc, s4, v3
	s_mov_b64 s[4:5], 0
                                        ; implicit-def: $sgpr10
	s_and_saveexec_b64 s[6:7], vcc
	s_xor_b64 s[6:7], exec, s[6:7]
	s_cbranch_execnz .LBB30_3285
; %bb.1237:
	s_or_saveexec_b64 s[6:7], s[6:7]
	v_mov_b32_e32 v6, s10
	s_xor_b64 exec, exec, s[6:7]
	s_cbranch_execnz .LBB30_3288
.LBB30_1238:
	s_or_b64 exec, exec, s[6:7]
	s_and_saveexec_b64 s[6:7], s[4:5]
	s_cbranch_execz .LBB30_1240
.LBB30_1239:
	v_bfe_u32 v3, v4, 16, 3
	v_ffbh_u32_e32 v10, v3
	v_min_u32_e32 v10, 32, v10
	v_lshrrev_b32_e32 v6, 19, v4
	v_subrev_u32_e32 v11, 28, v10
	v_and_b32_e32 v6, 15, v6
	v_lshlrev_b32_sdwa v11, v11, v4 dst_sel:DWORD dst_unused:UNUSED_PAD src0_sel:DWORD src1_sel:WORD_1
	v_bfe_u32 v7, v4, 19, 4
	v_sub_u32_e32 v10, 29, v10
	v_and_b32_e32 v11, 7, v11
	v_cmp_eq_u16_e32 vcc, 0, v6
	v_cndmask_b32_e32 v3, v3, v11, vcc
	v_cndmask_b32_e32 v6, v7, v10, vcc
	v_lshlrev_b32_e32 v7, 8, v4
	v_mov_b32_e32 v10, 0x3b800000
	v_lshlrev_b32_e32 v3, 20, v3
	v_and_b32_e32 v7, 0x80000000, v7
	v_lshl_add_u32 v6, v6, 23, v10
	v_or3_b32 v6, v7, v6, v3
.LBB30_1240:
	s_or_b64 exec, exec, s[6:7]
	s_nop 0
	v_mfma_f32_16x16x4f32 a[0:3], v2, v6, a[0:3]
	s_movk_i32 s4, 0x7f
	v_cmp_gt_i16_sdwa s[6:7], v8, s4 src0_sel:BYTE_3 src1_sel:DWORD
	s_mov_b64 s[4:5], 0
                                        ; implicit-def: $sgpr10
	s_and_saveexec_b64 s[8:9], s[6:7]
	s_xor_b64 s[6:7], exec, s[8:9]
	s_cbranch_execnz .LBB30_3289
; %bb.1241:
	s_or_saveexec_b64 s[6:7], s[6:7]
	v_mov_b32_e32 v2, s10
	s_xor_b64 exec, exec, s[6:7]
	s_cbranch_execnz .LBB30_3292
.LBB30_1242:
	s_or_b64 exec, exec, s[6:7]
	s_and_saveexec_b64 s[6:7], s[4:5]
	s_cbranch_execz .LBB30_1244
.LBB30_1243:
	v_bfe_u32 v2, v8, 24, 3
	v_ffbh_u32_e32 v10, v2
	v_min_u32_e32 v10, 32, v10
	v_lshrrev_b32_e32 v6, 27, v8
	v_subrev_u32_e32 v11, 28, v10
	v_and_b32_e32 v3, 0x80000000, v8
	v_and_b32_e32 v6, 15, v6
	v_bfe_u32 v7, v8, 27, 4
	v_lshlrev_b32_sdwa v8, v11, v8 dst_sel:DWORD dst_unused:UNUSED_PAD src0_sel:DWORD src1_sel:BYTE_3
	v_sub_u32_e32 v10, 29, v10
	v_and_b32_e32 v8, 7, v8
	v_cmp_eq_u16_e32 vcc, 0, v6
	v_cndmask_b32_e32 v2, v2, v8, vcc
	v_cndmask_b32_e32 v6, v7, v10, vcc
	v_mov_b32_e32 v7, 0x3b800000
	v_lshlrev_b32_e32 v2, 20, v2
	v_lshl_add_u32 v6, v6, 23, v7
	v_or3_b32 v2, v3, v6, v2
.LBB30_1244:
	s_or_b64 exec, exec, s[6:7]
	s_movk_i32 s4, 0x7f
	v_cmp_gt_i16_sdwa s[6:7], v4, s4 src0_sel:BYTE_3 src1_sel:DWORD
	s_mov_b64 s[4:5], 0
                                        ; implicit-def: $sgpr10
	s_and_saveexec_b64 s[8:9], s[6:7]
	s_xor_b64 s[6:7], exec, s[8:9]
	s_cbranch_execnz .LBB30_3293
; %bb.1245:
	s_or_saveexec_b64 s[6:7], s[6:7]
	v_mov_b32_e32 v3, s10
	s_xor_b64 exec, exec, s[6:7]
	s_cbranch_execnz .LBB30_3296
.LBB30_1246:
	s_or_b64 exec, exec, s[6:7]
	s_and_saveexec_b64 s[6:7], s[4:5]
	s_cbranch_execz .LBB30_1248
.LBB30_1247:
	v_bfe_u32 v3, v4, 24, 3
	v_ffbh_u32_e32 v10, v3
	v_min_u32_e32 v10, 32, v10
	v_lshrrev_b32_e32 v7, 27, v4
	v_subrev_u32_e32 v11, 28, v10
	v_and_b32_e32 v6, 0x80000000, v4
	v_and_b32_e32 v7, 15, v7
	v_bfe_u32 v8, v4, 27, 4
	v_lshlrev_b32_sdwa v4, v11, v4 dst_sel:DWORD dst_unused:UNUSED_PAD src0_sel:DWORD src1_sel:BYTE_3
	v_sub_u32_e32 v10, 29, v10
	v_and_b32_e32 v4, 7, v4
	v_cmp_eq_u16_e32 vcc, 0, v7
	v_cndmask_b32_e32 v3, v3, v4, vcc
	v_cndmask_b32_e32 v4, v8, v10, vcc
	v_mov_b32_e32 v7, 0x3b800000
	v_lshlrev_b32_e32 v3, 20, v3
	v_lshl_add_u32 v4, v4, 23, v7
	v_or3_b32 v3, v6, v4, v3
.LBB30_1248:
	s_or_b64 exec, exec, s[6:7]
	s_nop 0
	v_mfma_f32_16x16x4f32 a[0:3], v2, v3, a[0:3]
	s_movk_i32 s4, 0x7f
	v_cmp_gt_i16_sdwa s[6:7], v9, s4 src0_sel:BYTE_0 src1_sel:DWORD
	s_mov_b64 s[4:5], 0
                                        ; implicit-def: $sgpr10
	s_and_saveexec_b64 s[8:9], s[6:7]
	s_xor_b64 s[6:7], exec, s[8:9]
	s_cbranch_execnz .LBB30_3297
; %bb.1249:
	s_or_saveexec_b64 s[6:7], s[6:7]
	v_mov_b32_e32 v2, s10
	s_xor_b64 exec, exec, s[6:7]
	s_cbranch_execnz .LBB30_3300
.LBB30_1250:
	s_or_b64 exec, exec, s[6:7]
	s_and_saveexec_b64 s[6:7], s[4:5]
	s_cbranch_execz .LBB30_1252
.LBB30_1251:
	v_mov_b32_e32 v2, 8
	v_and_b32_e32 v3, 7, v9
	v_lshrrev_b32_sdwa v2, v2, v9 dst_sel:BYTE_1 dst_unused:UNUSED_PAD src0_sel:DWORD src1_sel:DWORD
	v_ffbh_u32_e32 v4, v3
	v_or_b32_sdwa v2, v9, v2 dst_sel:DWORD dst_unused:UNUSED_PAD src0_sel:BYTE_0 src1_sel:DWORD
	v_min_u32_e32 v4, 32, v4
	v_lshrrev_b16_e32 v2, 3, v2
	v_subrev_u32_e32 v6, 28, v4
	v_and_b32_e32 v2, 15, v2
	v_lshlrev_b32_e32 v6, v6, v9
	v_sub_u32_e32 v4, 29, v4
	v_and_b32_e32 v6, 7, v6
	v_cmp_eq_u16_e32 vcc, 0, v2
	v_cndmask_b32_e32 v3, v3, v6, vcc
	v_cndmask_b32_e32 v2, v2, v4, vcc
	v_lshlrev_b32_e32 v4, 24, v9
	v_mov_b32_e32 v6, 0x3b800000
	v_lshlrev_b32_e32 v3, 20, v3
	v_and_b32_e32 v4, 0x80000000, v4
	v_lshl_add_u32 v2, v2, 23, v6
	v_or3_b32 v2, v4, v2, v3
.LBB30_1252:
	s_or_b64 exec, exec, s[6:7]
	s_movk_i32 s4, 0x7f
	v_cmp_gt_i16_sdwa s[6:7], v5, s4 src0_sel:BYTE_0 src1_sel:DWORD
	s_mov_b64 s[4:5], 0
                                        ; implicit-def: $sgpr10
	s_and_saveexec_b64 s[8:9], s[6:7]
	s_xor_b64 s[6:7], exec, s[8:9]
	s_cbranch_execnz .LBB30_3301
; %bb.1253:
	s_or_saveexec_b64 s[6:7], s[6:7]
	v_mov_b32_e32 v3, s10
	s_xor_b64 exec, exec, s[6:7]
	s_cbranch_execnz .LBB30_3304
.LBB30_1254:
	s_or_b64 exec, exec, s[6:7]
	s_and_saveexec_b64 s[6:7], s[4:5]
	s_cbranch_execz .LBB30_1256
.LBB30_1255:
	v_mov_b32_e32 v3, 8
	v_and_b32_e32 v4, 7, v5
	v_lshrrev_b32_sdwa v3, v3, v5 dst_sel:BYTE_1 dst_unused:UNUSED_PAD src0_sel:DWORD src1_sel:DWORD
	v_ffbh_u32_e32 v6, v4
	v_or_b32_sdwa v3, v5, v3 dst_sel:DWORD dst_unused:UNUSED_PAD src0_sel:BYTE_0 src1_sel:DWORD
	v_min_u32_e32 v6, 32, v6
	v_lshrrev_b16_e32 v3, 3, v3
	v_subrev_u32_e32 v7, 28, v6
	v_and_b32_e32 v3, 15, v3
	v_lshlrev_b32_e32 v7, v7, v5
	v_sub_u32_e32 v6, 29, v6
	v_and_b32_e32 v7, 7, v7
	v_cmp_eq_u16_e32 vcc, 0, v3
	v_cndmask_b32_e32 v4, v4, v7, vcc
	v_cndmask_b32_e32 v3, v3, v6, vcc
	v_lshlrev_b32_e32 v6, 24, v5
	v_mov_b32_e32 v7, 0x3b800000
	v_lshlrev_b32_e32 v4, 20, v4
	v_and_b32_e32 v6, 0x80000000, v6
	v_lshl_add_u32 v3, v3, 23, v7
	v_or3_b32 v3, v6, v3, v4
.LBB30_1256:
	s_or_b64 exec, exec, s[6:7]
	s_nop 0
	v_mfma_f32_16x16x4f32 a[0:3], v2, v3, a[0:3]
	v_lshrrev_b32_e32 v3, 8, v9
	s_movk_i32 s4, 0x7f
	v_cmp_gt_i16_sdwa s[6:7], v3, s4 src0_sel:BYTE_0 src1_sel:DWORD
	s_mov_b64 s[4:5], 0
                                        ; implicit-def: $sgpr10
	s_and_saveexec_b64 s[8:9], s[6:7]
	s_xor_b64 s[6:7], exec, s[8:9]
	s_cbranch_execnz .LBB30_3305
; %bb.1257:
	s_or_saveexec_b64 s[6:7], s[6:7]
	v_mov_b32_e32 v2, s10
	s_xor_b64 exec, exec, s[6:7]
	s_cbranch_execnz .LBB30_3308
.LBB30_1258:
	s_or_b64 exec, exec, s[6:7]
	s_and_saveexec_b64 s[6:7], s[4:5]
	s_cbranch_execz .LBB30_1260
.LBB30_1259:
	v_bfe_u32 v2, v9, 8, 3
	v_ffbh_u32_e32 v6, v2
	v_min_u32_e32 v6, 32, v6
	v_lshrrev_b16_e32 v4, 3, v3
	v_subrev_u32_e32 v7, 28, v6
	v_and_b32_e32 v4, 15, v4
	v_lshlrev_b32_e32 v3, v7, v3
	v_sub_u32_e32 v6, 29, v6
	v_and_b32_e32 v3, 7, v3
	v_cmp_eq_u16_e32 vcc, 0, v4
	v_cndmask_b32_e32 v2, v2, v3, vcc
	v_cndmask_b32_e32 v3, v4, v6, vcc
	v_lshlrev_b32_e32 v4, 16, v9
	v_mov_b32_e32 v6, 0x3b800000
	v_lshlrev_b32_e32 v2, 20, v2
	v_and_b32_e32 v4, 0x80000000, v4
	v_lshl_add_u32 v3, v3, 23, v6
	v_or3_b32 v2, v4, v3, v2
.LBB30_1260:
	s_or_b64 exec, exec, s[6:7]
	v_lshrrev_b32_e32 v3, 8, v5
	s_movk_i32 s4, 0x7f
	v_cmp_gt_i16_sdwa s[6:7], v3, s4 src0_sel:BYTE_0 src1_sel:DWORD
	s_mov_b64 s[4:5], 0
                                        ; implicit-def: $sgpr10
	s_and_saveexec_b64 s[8:9], s[6:7]
	s_xor_b64 s[6:7], exec, s[8:9]
	s_cbranch_execnz .LBB30_3309
; %bb.1261:
	s_or_saveexec_b64 s[6:7], s[6:7]
	v_mov_b32_e32 v4, s10
	s_xor_b64 exec, exec, s[6:7]
	s_cbranch_execnz .LBB30_3312
.LBB30_1262:
	s_or_b64 exec, exec, s[6:7]
	s_and_saveexec_b64 s[6:7], s[4:5]
	s_cbranch_execz .LBB30_1264
.LBB30_1263:
	v_bfe_u32 v4, v5, 8, 3
	v_ffbh_u32_e32 v7, v4
	v_min_u32_e32 v7, 32, v7
	v_lshrrev_b16_e32 v6, 3, v3
	v_subrev_u32_e32 v8, 28, v7
	v_and_b32_e32 v6, 15, v6
	v_lshlrev_b32_e32 v3, v8, v3
	v_sub_u32_e32 v7, 29, v7
	v_and_b32_e32 v3, 7, v3
	v_cmp_eq_u16_e32 vcc, 0, v6
	v_cndmask_b32_e32 v3, v4, v3, vcc
	v_cndmask_b32_e32 v4, v6, v7, vcc
	v_lshlrev_b32_e32 v6, 16, v5
	v_mov_b32_e32 v7, 0x3b800000
	v_lshlrev_b32_e32 v3, 20, v3
	v_and_b32_e32 v6, 0x80000000, v6
	v_lshl_add_u32 v4, v4, 23, v7
	v_or3_b32 v4, v6, v4, v3
.LBB30_1264:
	s_or_b64 exec, exec, s[6:7]
	s_nop 0
	v_mfma_f32_16x16x4f32 a[0:3], v2, v4, a[0:3]
	s_movk_i32 s4, 0xff
	v_and_b32_sdwa v3, v9, s4 dst_sel:DWORD dst_unused:UNUSED_PAD src0_sel:WORD_1 src1_sel:DWORD
	s_movk_i32 s4, 0x7f
	v_cmp_lt_i16_e32 vcc, s4, v3
	s_mov_b64 s[4:5], 0
                                        ; implicit-def: $sgpr10
	s_and_saveexec_b64 s[6:7], vcc
	s_xor_b64 s[6:7], exec, s[6:7]
	s_cbranch_execnz .LBB30_3313
; %bb.1265:
	s_or_saveexec_b64 s[6:7], s[6:7]
	v_mov_b32_e32 v2, s10
	s_xor_b64 exec, exec, s[6:7]
	s_cbranch_execnz .LBB30_3316
.LBB30_1266:
	s_or_b64 exec, exec, s[6:7]
	s_and_saveexec_b64 s[6:7], s[4:5]
	s_cbranch_execz .LBB30_1268
.LBB30_1267:
	v_bfe_u32 v2, v9, 16, 3
	v_ffbh_u32_e32 v6, v2
	v_min_u32_e32 v6, 32, v6
	v_lshrrev_b32_e32 v3, 19, v9
	v_subrev_u32_e32 v7, 28, v6
	v_and_b32_e32 v3, 15, v3
	v_lshlrev_b32_sdwa v7, v7, v9 dst_sel:DWORD dst_unused:UNUSED_PAD src0_sel:DWORD src1_sel:WORD_1
	v_bfe_u32 v4, v9, 19, 4
	v_sub_u32_e32 v6, 29, v6
	v_and_b32_e32 v7, 7, v7
	v_cmp_eq_u16_e32 vcc, 0, v3
	v_cndmask_b32_e32 v2, v2, v7, vcc
	v_cndmask_b32_e32 v3, v4, v6, vcc
	v_lshlrev_b32_e32 v4, 8, v9
	v_mov_b32_e32 v6, 0x3b800000
	v_lshlrev_b32_e32 v2, 20, v2
	v_and_b32_e32 v4, 0x80000000, v4
	v_lshl_add_u32 v3, v3, 23, v6
	v_or3_b32 v2, v4, v3, v2
.LBB30_1268:
	s_or_b64 exec, exec, s[6:7]
	s_movk_i32 s4, 0xff
	v_and_b32_sdwa v3, v5, s4 dst_sel:DWORD dst_unused:UNUSED_PAD src0_sel:WORD_1 src1_sel:DWORD
	s_movk_i32 s4, 0x7f
	v_cmp_lt_i16_e32 vcc, s4, v3
	s_mov_b64 s[4:5], 0
                                        ; implicit-def: $sgpr10
	s_and_saveexec_b64 s[6:7], vcc
	s_xor_b64 s[6:7], exec, s[6:7]
	s_cbranch_execnz .LBB30_3317
; %bb.1269:
	s_or_saveexec_b64 s[6:7], s[6:7]
	v_mov_b32_e32 v4, s10
	s_xor_b64 exec, exec, s[6:7]
	s_cbranch_execnz .LBB30_3320
.LBB30_1270:
	s_or_b64 exec, exec, s[6:7]
	s_and_saveexec_b64 s[6:7], s[4:5]
	s_cbranch_execz .LBB30_1272
.LBB30_1271:
	v_bfe_u32 v3, v5, 16, 3
	v_ffbh_u32_e32 v7, v3
	v_min_u32_e32 v7, 32, v7
	v_lshrrev_b32_e32 v4, 19, v5
	v_subrev_u32_e32 v8, 28, v7
	v_and_b32_e32 v4, 15, v4
	v_lshlrev_b32_sdwa v8, v8, v5 dst_sel:DWORD dst_unused:UNUSED_PAD src0_sel:DWORD src1_sel:WORD_1
	v_bfe_u32 v6, v5, 19, 4
	v_sub_u32_e32 v7, 29, v7
	v_and_b32_e32 v8, 7, v8
	v_cmp_eq_u16_e32 vcc, 0, v4
	v_cndmask_b32_e32 v3, v3, v8, vcc
	v_cndmask_b32_e32 v4, v6, v7, vcc
	v_lshlrev_b32_e32 v6, 8, v5
	v_mov_b32_e32 v7, 0x3b800000
	v_lshlrev_b32_e32 v3, 20, v3
	v_and_b32_e32 v6, 0x80000000, v6
	v_lshl_add_u32 v4, v4, 23, v7
	v_or3_b32 v4, v6, v4, v3
.LBB30_1272:
	s_or_b64 exec, exec, s[6:7]
	s_nop 0
	v_mfma_f32_16x16x4f32 a[0:3], v2, v4, a[0:3]
	s_movk_i32 s4, 0x7f
	v_cmp_gt_i16_sdwa s[6:7], v9, s4 src0_sel:BYTE_3 src1_sel:DWORD
	s_mov_b64 s[4:5], 0
                                        ; implicit-def: $sgpr10
	s_and_saveexec_b64 s[8:9], s[6:7]
	s_xor_b64 s[6:7], exec, s[8:9]
	s_cbranch_execnz .LBB30_3321
; %bb.1273:
	s_or_saveexec_b64 s[6:7], s[6:7]
	v_mov_b32_e32 v2, s10
	s_xor_b64 exec, exec, s[6:7]
	s_cbranch_execnz .LBB30_3324
.LBB30_1274:
	s_or_b64 exec, exec, s[6:7]
	s_and_saveexec_b64 s[6:7], s[4:5]
	s_cbranch_execz .LBB30_1276
.LBB30_1275:
	v_bfe_u32 v2, v9, 24, 3
	v_ffbh_u32_e32 v7, v2
	v_min_u32_e32 v7, 32, v7
	v_lshrrev_b32_e32 v4, 27, v9
	v_subrev_u32_e32 v8, 28, v7
	v_and_b32_e32 v4, 15, v4
	v_lshlrev_b32_sdwa v8, v8, v9 dst_sel:DWORD dst_unused:UNUSED_PAD src0_sel:DWORD src1_sel:BYTE_3
	v_bfe_u32 v6, v9, 27, 4
	v_sub_u32_e32 v7, 29, v7
	v_and_b32_e32 v8, 7, v8
	v_cmp_eq_u16_e32 vcc, 0, v4
	v_cndmask_b32_e32 v2, v2, v8, vcc
	v_cndmask_b32_e32 v4, v6, v7, vcc
	v_mov_b32_e32 v6, 0x3b800000
	v_and_b32_e32 v3, 0x80000000, v9
	v_lshlrev_b32_e32 v2, 20, v2
	v_lshl_add_u32 v4, v4, 23, v6
	v_or3_b32 v2, v3, v4, v2
.LBB30_1276:
	s_or_b64 exec, exec, s[6:7]
	s_movk_i32 s4, 0x7f
	v_cmp_gt_i16_sdwa s[6:7], v5, s4 src0_sel:BYTE_3 src1_sel:DWORD
	s_mov_b64 s[4:5], 0
                                        ; implicit-def: $sgpr10
	s_and_saveexec_b64 s[8:9], s[6:7]
	s_xor_b64 s[6:7], exec, s[8:9]
	s_cbranch_execnz .LBB30_3325
; %bb.1277:
	s_or_saveexec_b64 s[6:7], s[6:7]
	v_mov_b32_e32 v3, s10
	s_xor_b64 exec, exec, s[6:7]
	s_cbranch_execnz .LBB30_3328
.LBB30_1278:
	s_or_b64 exec, exec, s[6:7]
	s_and_saveexec_b64 s[6:7], s[4:5]
	s_cbranch_execz .LBB30_1280
.LBB30_1279:
	v_bfe_u32 v3, v5, 24, 3
	v_ffbh_u32_e32 v8, v3
	v_min_u32_e32 v8, 32, v8
	v_lshrrev_b32_e32 v6, 27, v5
	v_subrev_u32_e32 v9, 28, v8
	v_and_b32_e32 v4, 0x80000000, v5
	v_and_b32_e32 v6, 15, v6
	v_bfe_u32 v7, v5, 27, 4
	v_lshlrev_b32_sdwa v5, v9, v5 dst_sel:DWORD dst_unused:UNUSED_PAD src0_sel:DWORD src1_sel:BYTE_3
	v_sub_u32_e32 v8, 29, v8
	v_and_b32_e32 v5, 7, v5
	v_cmp_eq_u16_e32 vcc, 0, v6
	v_cndmask_b32_e32 v3, v3, v5, vcc
	v_cndmask_b32_e32 v5, v7, v8, vcc
	v_mov_b32_e32 v6, 0x3b800000
	v_lshlrev_b32_e32 v3, 20, v3
	v_lshl_add_u32 v5, v5, 23, v6
	v_or3_b32 v3, v4, v5, v3
.LBB30_1280:
	s_or_b64 exec, exec, s[6:7]
	s_nop 0
	v_mfma_f32_16x16x4f32 a[0:3], v2, v3, a[0:3]
	s_movk_i32 s4, 0x7f
                                        ; implicit-def: $sgpr10
	s_nop 7
	s_nop 1
	flat_store_dwordx4 v[18:19], a[0:3] offset:320
	flat_load_dwordx4 v[20:23], v[0:1] offset:16
	s_nop 0
	flat_load_dwordx2 v[18:19], v[0:1] offset:32
	s_waitcnt vmcnt(0) lgkmcnt(0)
	flat_load_dwordx4 v[14:17], v[20:21]
	flat_load_dwordx4 v[6:9], v[20:21] offset:16
	flat_load_dwordx4 v[10:13], v[22:23] offset:160
	;; [unrolled: 1-line block ×3, first 2 shown]
	s_waitcnt vmcnt(0) lgkmcnt(0)
	v_cmp_gt_i16_sdwa s[6:7], v14, s4 src0_sel:BYTE_0 src1_sel:DWORD
	s_mov_b64 s[4:5], 0
	s_and_saveexec_b64 s[8:9], s[6:7]
	s_xor_b64 s[6:7], exec, s[8:9]
	s_cbranch_execnz .LBB30_3329
; %bb.1281:
	s_or_saveexec_b64 s[6:7], s[6:7]
	v_mov_b32_e32 v20, s10
	s_xor_b64 exec, exec, s[6:7]
	s_cbranch_execnz .LBB30_3332
.LBB30_1282:
	s_or_b64 exec, exec, s[6:7]
	s_and_saveexec_b64 s[6:7], s[4:5]
	s_cbranch_execz .LBB30_1284
.LBB30_1283:
	v_and_b32_e32 v20, 7, v14
	v_ffbh_u32_e32 v22, v20
	v_min_u32_e32 v22, 32, v22
	v_lshrrev_b16_e32 v21, 3, v14
	v_subrev_u32_e32 v23, 28, v22
	v_and_b32_e32 v21, 15, v21
	v_lshlrev_b32_e32 v23, v23, v14
	v_sub_u32_e32 v22, 29, v22
	v_and_b32_e32 v23, 7, v23
	v_cmp_eq_u16_e32 vcc, 0, v21
	v_cndmask_b32_e32 v20, v20, v23, vcc
	v_cndmask_b32_e32 v21, v21, v22, vcc
	v_lshlrev_b32_e32 v22, 24, v14
	v_mov_b32_e32 v23, 0x3b800000
	v_lshlrev_b32_e32 v20, 20, v20
	v_and_b32_e32 v22, 0x80000000, v22
	v_lshl_add_u32 v21, v21, 23, v23
	v_or3_b32 v20, v22, v21, v20
.LBB30_1284:
	s_or_b64 exec, exec, s[6:7]
	s_movk_i32 s4, 0x7f
	v_cmp_gt_i16_sdwa s[6:7], v10, s4 src0_sel:BYTE_0 src1_sel:DWORD
	s_mov_b64 s[4:5], 0
                                        ; implicit-def: $sgpr10
	s_and_saveexec_b64 s[8:9], s[6:7]
	s_xor_b64 s[6:7], exec, s[8:9]
	s_cbranch_execnz .LBB30_3333
; %bb.1285:
	s_or_saveexec_b64 s[6:7], s[6:7]
	v_mov_b32_e32 v21, s10
	s_xor_b64 exec, exec, s[6:7]
	s_cbranch_execnz .LBB30_3336
.LBB30_1286:
	s_or_b64 exec, exec, s[6:7]
	s_and_saveexec_b64 s[6:7], s[4:5]
	s_cbranch_execz .LBB30_1288
.LBB30_1287:
	v_and_b32_e32 v21, 7, v10
	v_ffbh_u32_e32 v23, v21
	v_min_u32_e32 v23, 32, v23
	v_lshrrev_b16_e32 v22, 3, v10
	v_subrev_u32_e32 v24, 28, v23
	v_and_b32_e32 v22, 15, v22
	v_lshlrev_b32_e32 v24, v24, v10
	v_sub_u32_e32 v23, 29, v23
	v_and_b32_e32 v24, 7, v24
	v_cmp_eq_u16_e32 vcc, 0, v22
	v_cndmask_b32_e32 v21, v21, v24, vcc
	v_cndmask_b32_e32 v22, v22, v23, vcc
	v_lshlrev_b32_e32 v23, 24, v10
	v_mov_b32_e32 v24, 0x3b800000
	v_lshlrev_b32_e32 v21, 20, v21
	v_and_b32_e32 v23, 0x80000000, v23
	v_lshl_add_u32 v22, v22, 23, v24
	v_or3_b32 v21, v23, v22, v21
.LBB30_1288:
	s_or_b64 exec, exec, s[6:7]
	flat_load_dwordx4 a[0:3], v[18:19] offset:336
	s_movk_i32 s4, 0x7f
                                        ; implicit-def: $sgpr10
	s_waitcnt vmcnt(0) lgkmcnt(0)
	v_mfma_f32_16x16x4f32 a[0:3], v20, v21, a[0:3]
	v_lshrrev_b32_e32 v21, 8, v14
	v_cmp_gt_i16_sdwa s[6:7], v21, s4 src0_sel:BYTE_0 src1_sel:DWORD
	s_mov_b64 s[4:5], 0
	s_and_saveexec_b64 s[8:9], s[6:7]
	s_xor_b64 s[6:7], exec, s[8:9]
	s_cbranch_execnz .LBB30_3337
; %bb.1289:
	s_or_saveexec_b64 s[6:7], s[6:7]
	v_mov_b32_e32 v20, s10
	s_xor_b64 exec, exec, s[6:7]
	s_cbranch_execnz .LBB30_3340
.LBB30_1290:
	s_or_b64 exec, exec, s[6:7]
	s_and_saveexec_b64 s[6:7], s[4:5]
	s_cbranch_execz .LBB30_1292
.LBB30_1291:
	v_bfe_u32 v20, v14, 8, 3
	v_ffbh_u32_e32 v23, v20
	v_min_u32_e32 v23, 32, v23
	v_lshrrev_b16_e32 v22, 3, v21
	v_subrev_u32_e32 v24, 28, v23
	v_and_b32_e32 v22, 15, v22
	v_lshlrev_b32_e32 v21, v24, v21
	v_sub_u32_e32 v23, 29, v23
	v_and_b32_e32 v21, 7, v21
	v_cmp_eq_u16_e32 vcc, 0, v22
	v_cndmask_b32_e32 v20, v20, v21, vcc
	v_cndmask_b32_e32 v21, v22, v23, vcc
	v_lshlrev_b32_e32 v22, 16, v14
	v_mov_b32_e32 v23, 0x3b800000
	v_lshlrev_b32_e32 v20, 20, v20
	v_and_b32_e32 v22, 0x80000000, v22
	v_lshl_add_u32 v21, v21, 23, v23
	v_or3_b32 v20, v22, v21, v20
.LBB30_1292:
	s_or_b64 exec, exec, s[6:7]
	v_lshrrev_b32_e32 v21, 8, v10
	s_movk_i32 s4, 0x7f
	v_cmp_gt_i16_sdwa s[6:7], v21, s4 src0_sel:BYTE_0 src1_sel:DWORD
	s_mov_b64 s[4:5], 0
                                        ; implicit-def: $sgpr10
	s_and_saveexec_b64 s[8:9], s[6:7]
	s_xor_b64 s[6:7], exec, s[8:9]
	s_cbranch_execnz .LBB30_3341
; %bb.1293:
	s_or_saveexec_b64 s[6:7], s[6:7]
	v_mov_b32_e32 v22, s10
	s_xor_b64 exec, exec, s[6:7]
	s_cbranch_execnz .LBB30_3344
.LBB30_1294:
	s_or_b64 exec, exec, s[6:7]
	s_and_saveexec_b64 s[6:7], s[4:5]
	s_cbranch_execz .LBB30_1296
.LBB30_1295:
	v_bfe_u32 v22, v10, 8, 3
	v_ffbh_u32_e32 v24, v22
	v_min_u32_e32 v24, 32, v24
	v_lshrrev_b16_e32 v23, 3, v21
	v_subrev_u32_e32 v25, 28, v24
	v_and_b32_e32 v23, 15, v23
	v_lshlrev_b32_e32 v21, v25, v21
	v_sub_u32_e32 v24, 29, v24
	v_and_b32_e32 v21, 7, v21
	v_cmp_eq_u16_e32 vcc, 0, v23
	v_cndmask_b32_e32 v21, v22, v21, vcc
	v_cndmask_b32_e32 v22, v23, v24, vcc
	v_lshlrev_b32_e32 v23, 16, v10
	v_mov_b32_e32 v24, 0x3b800000
	v_lshlrev_b32_e32 v21, 20, v21
	v_and_b32_e32 v23, 0x80000000, v23
	v_lshl_add_u32 v22, v22, 23, v24
	v_or3_b32 v22, v23, v22, v21
.LBB30_1296:
	s_or_b64 exec, exec, s[6:7]
	s_nop 0
	v_mfma_f32_16x16x4f32 a[0:3], v20, v22, a[0:3]
	s_movk_i32 s4, 0xff
	v_and_b32_sdwa v21, v14, s4 dst_sel:DWORD dst_unused:UNUSED_PAD src0_sel:WORD_1 src1_sel:DWORD
	s_movk_i32 s4, 0x7f
	v_cmp_lt_i16_e32 vcc, s4, v21
	s_mov_b64 s[4:5], 0
                                        ; implicit-def: $sgpr10
	s_and_saveexec_b64 s[6:7], vcc
	s_xor_b64 s[6:7], exec, s[6:7]
	s_cbranch_execnz .LBB30_3345
; %bb.1297:
	s_or_saveexec_b64 s[6:7], s[6:7]
	v_mov_b32_e32 v20, s10
	s_xor_b64 exec, exec, s[6:7]
	s_cbranch_execnz .LBB30_3348
.LBB30_1298:
	s_or_b64 exec, exec, s[6:7]
	s_and_saveexec_b64 s[6:7], s[4:5]
	s_cbranch_execz .LBB30_1300
.LBB30_1299:
	v_bfe_u32 v20, v14, 16, 3
	v_ffbh_u32_e32 v23, v20
	v_min_u32_e32 v23, 32, v23
	v_lshrrev_b32_e32 v21, 19, v14
	v_subrev_u32_e32 v24, 28, v23
	v_and_b32_e32 v21, 15, v21
	v_lshlrev_b32_sdwa v24, v24, v14 dst_sel:DWORD dst_unused:UNUSED_PAD src0_sel:DWORD src1_sel:WORD_1
	v_bfe_u32 v22, v14, 19, 4
	v_sub_u32_e32 v23, 29, v23
	v_and_b32_e32 v24, 7, v24
	v_cmp_eq_u16_e32 vcc, 0, v21
	v_cndmask_b32_e32 v20, v20, v24, vcc
	v_cndmask_b32_e32 v21, v22, v23, vcc
	v_lshlrev_b32_e32 v22, 8, v14
	v_mov_b32_e32 v23, 0x3b800000
	v_lshlrev_b32_e32 v20, 20, v20
	v_and_b32_e32 v22, 0x80000000, v22
	v_lshl_add_u32 v21, v21, 23, v23
	v_or3_b32 v20, v22, v21, v20
.LBB30_1300:
	s_or_b64 exec, exec, s[6:7]
	s_movk_i32 s4, 0xff
	v_and_b32_sdwa v21, v10, s4 dst_sel:DWORD dst_unused:UNUSED_PAD src0_sel:WORD_1 src1_sel:DWORD
	s_movk_i32 s4, 0x7f
	v_cmp_lt_i16_e32 vcc, s4, v21
	s_mov_b64 s[4:5], 0
                                        ; implicit-def: $sgpr10
	s_and_saveexec_b64 s[6:7], vcc
	s_xor_b64 s[6:7], exec, s[6:7]
	s_cbranch_execnz .LBB30_3349
; %bb.1301:
	s_or_saveexec_b64 s[6:7], s[6:7]
	v_mov_b32_e32 v22, s10
	s_xor_b64 exec, exec, s[6:7]
	s_cbranch_execnz .LBB30_3352
.LBB30_1302:
	s_or_b64 exec, exec, s[6:7]
	s_and_saveexec_b64 s[6:7], s[4:5]
	s_cbranch_execz .LBB30_1304
.LBB30_1303:
	v_bfe_u32 v21, v10, 16, 3
	v_ffbh_u32_e32 v24, v21
	v_min_u32_e32 v24, 32, v24
	v_lshrrev_b32_e32 v22, 19, v10
	v_subrev_u32_e32 v25, 28, v24
	v_and_b32_e32 v22, 15, v22
	v_lshlrev_b32_sdwa v25, v25, v10 dst_sel:DWORD dst_unused:UNUSED_PAD src0_sel:DWORD src1_sel:WORD_1
	v_bfe_u32 v23, v10, 19, 4
	v_sub_u32_e32 v24, 29, v24
	v_and_b32_e32 v25, 7, v25
	v_cmp_eq_u16_e32 vcc, 0, v22
	v_cndmask_b32_e32 v21, v21, v25, vcc
	v_cndmask_b32_e32 v22, v23, v24, vcc
	v_lshlrev_b32_e32 v23, 8, v10
	v_mov_b32_e32 v24, 0x3b800000
	v_lshlrev_b32_e32 v21, 20, v21
	v_and_b32_e32 v23, 0x80000000, v23
	v_lshl_add_u32 v22, v22, 23, v24
	v_or3_b32 v22, v23, v22, v21
.LBB30_1304:
	s_or_b64 exec, exec, s[6:7]
	s_nop 0
	v_mfma_f32_16x16x4f32 a[0:3], v20, v22, a[0:3]
	s_movk_i32 s4, 0x7f
	v_cmp_gt_i16_sdwa s[6:7], v14, s4 src0_sel:BYTE_3 src1_sel:DWORD
	s_mov_b64 s[4:5], 0
                                        ; implicit-def: $sgpr10
	s_and_saveexec_b64 s[8:9], s[6:7]
	s_xor_b64 s[6:7], exec, s[8:9]
	s_cbranch_execnz .LBB30_3353
; %bb.1305:
	s_or_saveexec_b64 s[6:7], s[6:7]
	v_mov_b32_e32 v20, s10
	s_xor_b64 exec, exec, s[6:7]
	s_cbranch_execnz .LBB30_3356
.LBB30_1306:
	s_or_b64 exec, exec, s[6:7]
	s_and_saveexec_b64 s[6:7], s[4:5]
	s_cbranch_execz .LBB30_1308
.LBB30_1307:
	v_bfe_u32 v20, v14, 24, 3
	v_ffbh_u32_e32 v24, v20
	v_min_u32_e32 v24, 32, v24
	v_lshrrev_b32_e32 v22, 27, v14
	v_subrev_u32_e32 v25, 28, v24
	v_and_b32_e32 v21, 0x80000000, v14
	v_and_b32_e32 v22, 15, v22
	v_bfe_u32 v23, v14, 27, 4
	v_lshlrev_b32_sdwa v14, v25, v14 dst_sel:DWORD dst_unused:UNUSED_PAD src0_sel:DWORD src1_sel:BYTE_3
	v_sub_u32_e32 v24, 29, v24
	v_and_b32_e32 v14, 7, v14
	v_cmp_eq_u16_e32 vcc, 0, v22
	v_cndmask_b32_e32 v14, v20, v14, vcc
	v_cndmask_b32_e32 v20, v23, v24, vcc
	v_mov_b32_e32 v22, 0x3b800000
	v_lshlrev_b32_e32 v14, 20, v14
	v_lshl_add_u32 v20, v20, 23, v22
	v_or3_b32 v20, v21, v20, v14
.LBB30_1308:
	s_or_b64 exec, exec, s[6:7]
	s_movk_i32 s4, 0x7f
	v_cmp_gt_i16_sdwa s[6:7], v10, s4 src0_sel:BYTE_3 src1_sel:DWORD
	s_mov_b64 s[4:5], 0
                                        ; implicit-def: $sgpr10
	s_and_saveexec_b64 s[8:9], s[6:7]
	s_xor_b64 s[6:7], exec, s[8:9]
	s_cbranch_execnz .LBB30_3357
; %bb.1309:
	s_or_saveexec_b64 s[6:7], s[6:7]
	v_mov_b32_e32 v14, s10
	s_xor_b64 exec, exec, s[6:7]
	s_cbranch_execnz .LBB30_3360
.LBB30_1310:
	s_or_b64 exec, exec, s[6:7]
	s_and_saveexec_b64 s[6:7], s[4:5]
	s_cbranch_execz .LBB30_1312
.LBB30_1311:
	v_bfe_u32 v14, v10, 24, 3
	v_ffbh_u32_e32 v24, v14
	v_min_u32_e32 v24, 32, v24
	v_lshrrev_b32_e32 v22, 27, v10
	v_subrev_u32_e32 v25, 28, v24
	v_and_b32_e32 v21, 0x80000000, v10
	v_and_b32_e32 v22, 15, v22
	v_bfe_u32 v23, v10, 27, 4
	v_lshlrev_b32_sdwa v10, v25, v10 dst_sel:DWORD dst_unused:UNUSED_PAD src0_sel:DWORD src1_sel:BYTE_3
	v_sub_u32_e32 v24, 29, v24
	v_and_b32_e32 v10, 7, v10
	v_cmp_eq_u16_e32 vcc, 0, v22
	v_cndmask_b32_e32 v10, v14, v10, vcc
	v_cndmask_b32_e32 v14, v23, v24, vcc
	v_mov_b32_e32 v22, 0x3b800000
	v_lshlrev_b32_e32 v10, 20, v10
	v_lshl_add_u32 v14, v14, 23, v22
	v_or3_b32 v14, v21, v14, v10
.LBB30_1312:
	s_or_b64 exec, exec, s[6:7]
	s_nop 0
	v_mfma_f32_16x16x4f32 a[0:3], v20, v14, a[0:3]
	s_movk_i32 s4, 0x7f
	v_cmp_gt_i16_sdwa s[6:7], v15, s4 src0_sel:BYTE_0 src1_sel:DWORD
	s_mov_b64 s[4:5], 0
                                        ; implicit-def: $sgpr10
	s_and_saveexec_b64 s[8:9], s[6:7]
	s_xor_b64 s[6:7], exec, s[8:9]
	s_cbranch_execnz .LBB30_3361
; %bb.1313:
	s_or_saveexec_b64 s[6:7], s[6:7]
	v_mov_b32_e32 v10, s10
	s_xor_b64 exec, exec, s[6:7]
	s_cbranch_execnz .LBB30_3364
.LBB30_1314:
	s_or_b64 exec, exec, s[6:7]
	s_and_saveexec_b64 s[6:7], s[4:5]
	s_cbranch_execz .LBB30_1316
.LBB30_1315:
	v_and_b32_e32 v10, 7, v15
	v_ffbh_u32_e32 v20, v10
	v_min_u32_e32 v20, 32, v20
	v_lshrrev_b16_e32 v14, 3, v15
	v_subrev_u32_e32 v21, 28, v20
	v_and_b32_e32 v14, 15, v14
	v_lshlrev_b32_e32 v21, v21, v15
	v_sub_u32_e32 v20, 29, v20
	v_and_b32_e32 v21, 7, v21
	v_cmp_eq_u16_e32 vcc, 0, v14
	v_cndmask_b32_e32 v10, v10, v21, vcc
	v_cndmask_b32_e32 v14, v14, v20, vcc
	v_lshlrev_b32_e32 v20, 24, v15
	v_mov_b32_e32 v21, 0x3b800000
	v_lshlrev_b32_e32 v10, 20, v10
	v_and_b32_e32 v20, 0x80000000, v20
	v_lshl_add_u32 v14, v14, 23, v21
	v_or3_b32 v10, v20, v14, v10
.LBB30_1316:
	s_or_b64 exec, exec, s[6:7]
	s_movk_i32 s4, 0x7f
	v_cmp_gt_i16_sdwa s[6:7], v11, s4 src0_sel:BYTE_0 src1_sel:DWORD
	s_mov_b64 s[4:5], 0
                                        ; implicit-def: $sgpr10
	s_and_saveexec_b64 s[8:9], s[6:7]
	s_xor_b64 s[6:7], exec, s[8:9]
	s_cbranch_execnz .LBB30_3365
; %bb.1317:
	s_or_saveexec_b64 s[6:7], s[6:7]
	v_mov_b32_e32 v14, s10
	s_xor_b64 exec, exec, s[6:7]
	s_cbranch_execnz .LBB30_3368
.LBB30_1318:
	s_or_b64 exec, exec, s[6:7]
	s_and_saveexec_b64 s[6:7], s[4:5]
	s_cbranch_execz .LBB30_1320
.LBB30_1319:
	v_and_b32_e32 v14, 7, v11
	v_ffbh_u32_e32 v21, v14
	v_min_u32_e32 v21, 32, v21
	v_lshrrev_b16_e32 v20, 3, v11
	v_subrev_u32_e32 v22, 28, v21
	v_and_b32_e32 v20, 15, v20
	v_lshlrev_b32_e32 v22, v22, v11
	v_sub_u32_e32 v21, 29, v21
	v_and_b32_e32 v22, 7, v22
	v_cmp_eq_u16_e32 vcc, 0, v20
	v_cndmask_b32_e32 v14, v14, v22, vcc
	v_cndmask_b32_e32 v20, v20, v21, vcc
	v_lshlrev_b32_e32 v21, 24, v11
	v_mov_b32_e32 v22, 0x3b800000
	v_lshlrev_b32_e32 v14, 20, v14
	v_and_b32_e32 v21, 0x80000000, v21
	v_lshl_add_u32 v20, v20, 23, v22
	v_or3_b32 v14, v21, v20, v14
.LBB30_1320:
	s_or_b64 exec, exec, s[6:7]
	s_nop 0
	v_mfma_f32_16x16x4f32 a[0:3], v10, v14, a[0:3]
	v_lshrrev_b32_e32 v14, 8, v15
	s_movk_i32 s4, 0x7f
	v_cmp_gt_i16_sdwa s[6:7], v14, s4 src0_sel:BYTE_0 src1_sel:DWORD
	s_mov_b64 s[4:5], 0
                                        ; implicit-def: $sgpr10
	s_and_saveexec_b64 s[8:9], s[6:7]
	s_xor_b64 s[6:7], exec, s[8:9]
	s_cbranch_execnz .LBB30_3369
; %bb.1321:
	s_or_saveexec_b64 s[6:7], s[6:7]
	v_mov_b32_e32 v10, s10
	s_xor_b64 exec, exec, s[6:7]
	s_cbranch_execnz .LBB30_3372
.LBB30_1322:
	s_or_b64 exec, exec, s[6:7]
	s_and_saveexec_b64 s[6:7], s[4:5]
	s_cbranch_execz .LBB30_1324
.LBB30_1323:
	v_bfe_u32 v10, v15, 8, 3
	v_ffbh_u32_e32 v21, v10
	v_min_u32_e32 v21, 32, v21
	v_lshrrev_b16_e32 v20, 3, v14
	v_subrev_u32_e32 v22, 28, v21
	v_and_b32_e32 v20, 15, v20
	v_lshlrev_b32_e32 v14, v22, v14
	v_sub_u32_e32 v21, 29, v21
	v_and_b32_e32 v14, 7, v14
	v_cmp_eq_u16_e32 vcc, 0, v20
	v_cndmask_b32_e32 v10, v10, v14, vcc
	v_cndmask_b32_e32 v14, v20, v21, vcc
	v_lshlrev_b32_e32 v20, 16, v15
	v_mov_b32_e32 v21, 0x3b800000
	v_lshlrev_b32_e32 v10, 20, v10
	v_and_b32_e32 v20, 0x80000000, v20
	v_lshl_add_u32 v14, v14, 23, v21
	v_or3_b32 v10, v20, v14, v10
.LBB30_1324:
	s_or_b64 exec, exec, s[6:7]
	v_lshrrev_b32_e32 v14, 8, v11
	s_movk_i32 s4, 0x7f
	v_cmp_gt_i16_sdwa s[6:7], v14, s4 src0_sel:BYTE_0 src1_sel:DWORD
	s_mov_b64 s[4:5], 0
                                        ; implicit-def: $sgpr10
	s_and_saveexec_b64 s[8:9], s[6:7]
	s_xor_b64 s[6:7], exec, s[8:9]
	s_cbranch_execnz .LBB30_3373
; %bb.1325:
	s_or_saveexec_b64 s[6:7], s[6:7]
	v_mov_b32_e32 v20, s10
	s_xor_b64 exec, exec, s[6:7]
	s_cbranch_execnz .LBB30_3376
.LBB30_1326:
	s_or_b64 exec, exec, s[6:7]
	s_and_saveexec_b64 s[6:7], s[4:5]
	s_cbranch_execz .LBB30_1328
.LBB30_1327:
	v_bfe_u32 v20, v11, 8, 3
	v_ffbh_u32_e32 v22, v20
	v_min_u32_e32 v22, 32, v22
	v_lshrrev_b16_e32 v21, 3, v14
	v_subrev_u32_e32 v23, 28, v22
	v_and_b32_e32 v21, 15, v21
	v_lshlrev_b32_e32 v14, v23, v14
	v_sub_u32_e32 v22, 29, v22
	v_and_b32_e32 v14, 7, v14
	v_cmp_eq_u16_e32 vcc, 0, v21
	v_cndmask_b32_e32 v14, v20, v14, vcc
	v_cndmask_b32_e32 v20, v21, v22, vcc
	v_lshlrev_b32_e32 v21, 16, v11
	v_mov_b32_e32 v22, 0x3b800000
	v_lshlrev_b32_e32 v14, 20, v14
	v_and_b32_e32 v21, 0x80000000, v21
	v_lshl_add_u32 v20, v20, 23, v22
	v_or3_b32 v20, v21, v20, v14
.LBB30_1328:
	s_or_b64 exec, exec, s[6:7]
	s_nop 0
	v_mfma_f32_16x16x4f32 a[0:3], v10, v20, a[0:3]
	s_movk_i32 s4, 0xff
	v_and_b32_sdwa v14, v15, s4 dst_sel:DWORD dst_unused:UNUSED_PAD src0_sel:WORD_1 src1_sel:DWORD
	s_movk_i32 s4, 0x7f
	v_cmp_lt_i16_e32 vcc, s4, v14
	s_mov_b64 s[4:5], 0
                                        ; implicit-def: $sgpr10
	s_and_saveexec_b64 s[6:7], vcc
	s_xor_b64 s[6:7], exec, s[6:7]
	s_cbranch_execnz .LBB30_3377
; %bb.1329:
	s_or_saveexec_b64 s[6:7], s[6:7]
	v_mov_b32_e32 v10, s10
	s_xor_b64 exec, exec, s[6:7]
	s_cbranch_execnz .LBB30_3380
.LBB30_1330:
	s_or_b64 exec, exec, s[6:7]
	s_and_saveexec_b64 s[6:7], s[4:5]
	s_cbranch_execz .LBB30_1332
.LBB30_1331:
	v_bfe_u32 v10, v15, 16, 3
	v_ffbh_u32_e32 v21, v10
	v_min_u32_e32 v21, 32, v21
	v_lshrrev_b32_e32 v14, 19, v15
	v_subrev_u32_e32 v22, 28, v21
	v_and_b32_e32 v14, 15, v14
	v_lshlrev_b32_sdwa v22, v22, v15 dst_sel:DWORD dst_unused:UNUSED_PAD src0_sel:DWORD src1_sel:WORD_1
	v_bfe_u32 v20, v15, 19, 4
	v_sub_u32_e32 v21, 29, v21
	v_and_b32_e32 v22, 7, v22
	v_cmp_eq_u16_e32 vcc, 0, v14
	v_cndmask_b32_e32 v10, v10, v22, vcc
	v_cndmask_b32_e32 v14, v20, v21, vcc
	v_lshlrev_b32_e32 v20, 8, v15
	v_mov_b32_e32 v21, 0x3b800000
	v_lshlrev_b32_e32 v10, 20, v10
	v_and_b32_e32 v20, 0x80000000, v20
	v_lshl_add_u32 v14, v14, 23, v21
	v_or3_b32 v10, v20, v14, v10
.LBB30_1332:
	s_or_b64 exec, exec, s[6:7]
	s_movk_i32 s4, 0xff
	v_and_b32_sdwa v14, v11, s4 dst_sel:DWORD dst_unused:UNUSED_PAD src0_sel:WORD_1 src1_sel:DWORD
	s_movk_i32 s4, 0x7f
	v_cmp_lt_i16_e32 vcc, s4, v14
	s_mov_b64 s[4:5], 0
                                        ; implicit-def: $sgpr10
	s_and_saveexec_b64 s[6:7], vcc
	s_xor_b64 s[6:7], exec, s[6:7]
	s_cbranch_execnz .LBB30_3381
; %bb.1333:
	s_or_saveexec_b64 s[6:7], s[6:7]
	v_mov_b32_e32 v20, s10
	s_xor_b64 exec, exec, s[6:7]
	s_cbranch_execnz .LBB30_3384
.LBB30_1334:
	s_or_b64 exec, exec, s[6:7]
	s_and_saveexec_b64 s[6:7], s[4:5]
	s_cbranch_execz .LBB30_1336
.LBB30_1335:
	v_bfe_u32 v14, v11, 16, 3
	v_ffbh_u32_e32 v22, v14
	v_min_u32_e32 v22, 32, v22
	v_lshrrev_b32_e32 v20, 19, v11
	v_subrev_u32_e32 v23, 28, v22
	v_and_b32_e32 v20, 15, v20
	v_lshlrev_b32_sdwa v23, v23, v11 dst_sel:DWORD dst_unused:UNUSED_PAD src0_sel:DWORD src1_sel:WORD_1
	v_bfe_u32 v21, v11, 19, 4
	v_sub_u32_e32 v22, 29, v22
	v_and_b32_e32 v23, 7, v23
	v_cmp_eq_u16_e32 vcc, 0, v20
	v_cndmask_b32_e32 v14, v14, v23, vcc
	v_cndmask_b32_e32 v20, v21, v22, vcc
	v_lshlrev_b32_e32 v21, 8, v11
	v_mov_b32_e32 v22, 0x3b800000
	v_lshlrev_b32_e32 v14, 20, v14
	v_and_b32_e32 v21, 0x80000000, v21
	v_lshl_add_u32 v20, v20, 23, v22
	v_or3_b32 v20, v21, v20, v14
.LBB30_1336:
	s_or_b64 exec, exec, s[6:7]
	s_nop 0
	v_mfma_f32_16x16x4f32 a[0:3], v10, v20, a[0:3]
	s_movk_i32 s4, 0x7f
	v_cmp_gt_i16_sdwa s[6:7], v15, s4 src0_sel:BYTE_3 src1_sel:DWORD
	s_mov_b64 s[4:5], 0
                                        ; implicit-def: $sgpr10
	s_and_saveexec_b64 s[8:9], s[6:7]
	s_xor_b64 s[6:7], exec, s[8:9]
	s_cbranch_execnz .LBB30_3385
; %bb.1337:
	s_or_saveexec_b64 s[6:7], s[6:7]
	v_mov_b32_e32 v10, s10
	s_xor_b64 exec, exec, s[6:7]
	s_cbranch_execnz .LBB30_3388
.LBB30_1338:
	s_or_b64 exec, exec, s[6:7]
	s_and_saveexec_b64 s[6:7], s[4:5]
	s_cbranch_execz .LBB30_1340
.LBB30_1339:
	v_bfe_u32 v10, v15, 24, 3
	v_ffbh_u32_e32 v22, v10
	v_min_u32_e32 v22, 32, v22
	v_lshrrev_b32_e32 v20, 27, v15
	v_subrev_u32_e32 v23, 28, v22
	v_and_b32_e32 v14, 0x80000000, v15
	v_and_b32_e32 v20, 15, v20
	v_bfe_u32 v21, v15, 27, 4
	v_lshlrev_b32_sdwa v15, v23, v15 dst_sel:DWORD dst_unused:UNUSED_PAD src0_sel:DWORD src1_sel:BYTE_3
	v_sub_u32_e32 v22, 29, v22
	v_and_b32_e32 v15, 7, v15
	v_cmp_eq_u16_e32 vcc, 0, v20
	v_cndmask_b32_e32 v10, v10, v15, vcc
	v_cndmask_b32_e32 v15, v21, v22, vcc
	v_mov_b32_e32 v20, 0x3b800000
	v_lshlrev_b32_e32 v10, 20, v10
	v_lshl_add_u32 v15, v15, 23, v20
	v_or3_b32 v10, v14, v15, v10
.LBB30_1340:
	s_or_b64 exec, exec, s[6:7]
	s_movk_i32 s4, 0x7f
	v_cmp_gt_i16_sdwa s[6:7], v11, s4 src0_sel:BYTE_3 src1_sel:DWORD
	s_mov_b64 s[4:5], 0
                                        ; implicit-def: $sgpr10
	s_and_saveexec_b64 s[8:9], s[6:7]
	s_xor_b64 s[6:7], exec, s[8:9]
	s_cbranch_execnz .LBB30_3389
; %bb.1341:
	s_or_saveexec_b64 s[6:7], s[6:7]
	v_mov_b32_e32 v14, s10
	s_xor_b64 exec, exec, s[6:7]
	s_cbranch_execnz .LBB30_3392
.LBB30_1342:
	s_or_b64 exec, exec, s[6:7]
	s_and_saveexec_b64 s[6:7], s[4:5]
	s_cbranch_execz .LBB30_1344
.LBB30_1343:
	v_bfe_u32 v14, v11, 24, 3
	v_ffbh_u32_e32 v22, v14
	v_min_u32_e32 v22, 32, v22
	v_lshrrev_b32_e32 v20, 27, v11
	v_subrev_u32_e32 v23, 28, v22
	v_and_b32_e32 v15, 0x80000000, v11
	v_and_b32_e32 v20, 15, v20
	v_bfe_u32 v21, v11, 27, 4
	v_lshlrev_b32_sdwa v11, v23, v11 dst_sel:DWORD dst_unused:UNUSED_PAD src0_sel:DWORD src1_sel:BYTE_3
	v_sub_u32_e32 v22, 29, v22
	v_and_b32_e32 v11, 7, v11
	v_cmp_eq_u16_e32 vcc, 0, v20
	v_cndmask_b32_e32 v11, v14, v11, vcc
	v_cndmask_b32_e32 v14, v21, v22, vcc
	v_mov_b32_e32 v20, 0x3b800000
	v_lshlrev_b32_e32 v11, 20, v11
	v_lshl_add_u32 v14, v14, 23, v20
	v_or3_b32 v14, v15, v14, v11
.LBB30_1344:
	s_or_b64 exec, exec, s[6:7]
	s_nop 0
	v_mfma_f32_16x16x4f32 a[0:3], v10, v14, a[0:3]
	s_movk_i32 s4, 0x7f
	v_cmp_gt_i16_sdwa s[6:7], v16, s4 src0_sel:BYTE_0 src1_sel:DWORD
	s_mov_b64 s[4:5], 0
                                        ; implicit-def: $sgpr10
	s_and_saveexec_b64 s[8:9], s[6:7]
	s_xor_b64 s[6:7], exec, s[8:9]
	s_cbranch_execnz .LBB30_3393
; %bb.1345:
	s_or_saveexec_b64 s[6:7], s[6:7]
	v_mov_b32_e32 v10, s10
	s_xor_b64 exec, exec, s[6:7]
	s_cbranch_execnz .LBB30_3396
.LBB30_1346:
	s_or_b64 exec, exec, s[6:7]
	s_and_saveexec_b64 s[6:7], s[4:5]
	s_cbranch_execz .LBB30_1348
.LBB30_1347:
	v_and_b32_e32 v10, 7, v16
	v_ffbh_u32_e32 v14, v10
	v_min_u32_e32 v14, 32, v14
	v_lshrrev_b16_e32 v11, 3, v16
	v_subrev_u32_e32 v15, 28, v14
	v_and_b32_e32 v11, 15, v11
	v_lshlrev_b32_e32 v15, v15, v16
	v_sub_u32_e32 v14, 29, v14
	v_and_b32_e32 v15, 7, v15
	v_cmp_eq_u16_e32 vcc, 0, v11
	v_cndmask_b32_e32 v10, v10, v15, vcc
	v_cndmask_b32_e32 v11, v11, v14, vcc
	v_lshlrev_b32_e32 v14, 24, v16
	v_mov_b32_e32 v15, 0x3b800000
	v_lshlrev_b32_e32 v10, 20, v10
	v_and_b32_e32 v14, 0x80000000, v14
	v_lshl_add_u32 v11, v11, 23, v15
	v_or3_b32 v10, v14, v11, v10
.LBB30_1348:
	s_or_b64 exec, exec, s[6:7]
	s_movk_i32 s4, 0x7f
	v_cmp_gt_i16_sdwa s[6:7], v12, s4 src0_sel:BYTE_0 src1_sel:DWORD
	s_mov_b64 s[4:5], 0
                                        ; implicit-def: $sgpr10
	s_and_saveexec_b64 s[8:9], s[6:7]
	s_xor_b64 s[6:7], exec, s[8:9]
	s_cbranch_execnz .LBB30_3397
; %bb.1349:
	s_or_saveexec_b64 s[6:7], s[6:7]
	v_mov_b32_e32 v11, s10
	s_xor_b64 exec, exec, s[6:7]
	s_cbranch_execnz .LBB30_3400
.LBB30_1350:
	s_or_b64 exec, exec, s[6:7]
	s_and_saveexec_b64 s[6:7], s[4:5]
	s_cbranch_execz .LBB30_1352
.LBB30_1351:
	v_and_b32_e32 v11, 7, v12
	v_ffbh_u32_e32 v15, v11
	v_min_u32_e32 v15, 32, v15
	v_lshrrev_b16_e32 v14, 3, v12
	v_subrev_u32_e32 v20, 28, v15
	v_and_b32_e32 v14, 15, v14
	v_lshlrev_b32_e32 v20, v20, v12
	v_sub_u32_e32 v15, 29, v15
	v_and_b32_e32 v20, 7, v20
	v_cmp_eq_u16_e32 vcc, 0, v14
	v_cndmask_b32_e32 v11, v11, v20, vcc
	v_cndmask_b32_e32 v14, v14, v15, vcc
	v_lshlrev_b32_e32 v15, 24, v12
	v_mov_b32_e32 v20, 0x3b800000
	v_lshlrev_b32_e32 v11, 20, v11
	v_and_b32_e32 v15, 0x80000000, v15
	v_lshl_add_u32 v14, v14, 23, v20
	v_or3_b32 v11, v15, v14, v11
.LBB30_1352:
	s_or_b64 exec, exec, s[6:7]
	s_nop 0
	v_mfma_f32_16x16x4f32 a[0:3], v10, v11, a[0:3]
	v_lshrrev_b32_e32 v11, 8, v16
	s_movk_i32 s4, 0x7f
	v_cmp_gt_i16_sdwa s[6:7], v11, s4 src0_sel:BYTE_0 src1_sel:DWORD
	s_mov_b64 s[4:5], 0
                                        ; implicit-def: $sgpr10
	s_and_saveexec_b64 s[8:9], s[6:7]
	s_xor_b64 s[6:7], exec, s[8:9]
	s_cbranch_execnz .LBB30_3401
; %bb.1353:
	s_or_saveexec_b64 s[6:7], s[6:7]
	v_mov_b32_e32 v10, s10
	s_xor_b64 exec, exec, s[6:7]
	s_cbranch_execnz .LBB30_3404
.LBB30_1354:
	s_or_b64 exec, exec, s[6:7]
	s_and_saveexec_b64 s[6:7], s[4:5]
	s_cbranch_execz .LBB30_1356
.LBB30_1355:
	v_bfe_u32 v10, v16, 8, 3
	v_ffbh_u32_e32 v15, v10
	v_min_u32_e32 v15, 32, v15
	v_lshrrev_b16_e32 v14, 3, v11
	v_subrev_u32_e32 v20, 28, v15
	v_and_b32_e32 v14, 15, v14
	v_lshlrev_b32_e32 v11, v20, v11
	v_sub_u32_e32 v15, 29, v15
	v_and_b32_e32 v11, 7, v11
	v_cmp_eq_u16_e32 vcc, 0, v14
	v_cndmask_b32_e32 v10, v10, v11, vcc
	v_cndmask_b32_e32 v11, v14, v15, vcc
	v_lshlrev_b32_e32 v14, 16, v16
	v_mov_b32_e32 v15, 0x3b800000
	v_lshlrev_b32_e32 v10, 20, v10
	v_and_b32_e32 v14, 0x80000000, v14
	v_lshl_add_u32 v11, v11, 23, v15
	v_or3_b32 v10, v14, v11, v10
.LBB30_1356:
	s_or_b64 exec, exec, s[6:7]
	v_lshrrev_b32_e32 v11, 8, v12
	s_movk_i32 s4, 0x7f
	v_cmp_gt_i16_sdwa s[6:7], v11, s4 src0_sel:BYTE_0 src1_sel:DWORD
	s_mov_b64 s[4:5], 0
                                        ; implicit-def: $sgpr10
	s_and_saveexec_b64 s[8:9], s[6:7]
	s_xor_b64 s[6:7], exec, s[8:9]
	s_cbranch_execnz .LBB30_3405
; %bb.1357:
	s_or_saveexec_b64 s[6:7], s[6:7]
	v_mov_b32_e32 v14, s10
	s_xor_b64 exec, exec, s[6:7]
	s_cbranch_execnz .LBB30_3408
.LBB30_1358:
	s_or_b64 exec, exec, s[6:7]
	s_and_saveexec_b64 s[6:7], s[4:5]
	s_cbranch_execz .LBB30_1360
.LBB30_1359:
	v_bfe_u32 v14, v12, 8, 3
	v_ffbh_u32_e32 v20, v14
	v_min_u32_e32 v20, 32, v20
	v_lshrrev_b16_e32 v15, 3, v11
	v_subrev_u32_e32 v21, 28, v20
	v_and_b32_e32 v15, 15, v15
	v_lshlrev_b32_e32 v11, v21, v11
	v_sub_u32_e32 v20, 29, v20
	v_and_b32_e32 v11, 7, v11
	v_cmp_eq_u16_e32 vcc, 0, v15
	v_cndmask_b32_e32 v11, v14, v11, vcc
	v_cndmask_b32_e32 v14, v15, v20, vcc
	v_lshlrev_b32_e32 v15, 16, v12
	v_mov_b32_e32 v20, 0x3b800000
	v_lshlrev_b32_e32 v11, 20, v11
	v_and_b32_e32 v15, 0x80000000, v15
	v_lshl_add_u32 v14, v14, 23, v20
	v_or3_b32 v14, v15, v14, v11
.LBB30_1360:
	s_or_b64 exec, exec, s[6:7]
	s_nop 0
	v_mfma_f32_16x16x4f32 a[0:3], v10, v14, a[0:3]
	s_movk_i32 s4, 0xff
	v_and_b32_sdwa v11, v16, s4 dst_sel:DWORD dst_unused:UNUSED_PAD src0_sel:WORD_1 src1_sel:DWORD
	s_movk_i32 s4, 0x7f
	v_cmp_lt_i16_e32 vcc, s4, v11
	s_mov_b64 s[4:5], 0
                                        ; implicit-def: $sgpr10
	s_and_saveexec_b64 s[6:7], vcc
	s_xor_b64 s[6:7], exec, s[6:7]
	s_cbranch_execnz .LBB30_3409
; %bb.1361:
	s_or_saveexec_b64 s[6:7], s[6:7]
	v_mov_b32_e32 v10, s10
	s_xor_b64 exec, exec, s[6:7]
	s_cbranch_execnz .LBB30_3412
.LBB30_1362:
	s_or_b64 exec, exec, s[6:7]
	s_and_saveexec_b64 s[6:7], s[4:5]
	s_cbranch_execz .LBB30_1364
.LBB30_1363:
	v_bfe_u32 v10, v16, 16, 3
	v_ffbh_u32_e32 v15, v10
	v_min_u32_e32 v15, 32, v15
	v_lshrrev_b32_e32 v11, 19, v16
	v_subrev_u32_e32 v20, 28, v15
	v_and_b32_e32 v11, 15, v11
	v_lshlrev_b32_sdwa v20, v20, v16 dst_sel:DWORD dst_unused:UNUSED_PAD src0_sel:DWORD src1_sel:WORD_1
	v_bfe_u32 v14, v16, 19, 4
	v_sub_u32_e32 v15, 29, v15
	v_and_b32_e32 v20, 7, v20
	v_cmp_eq_u16_e32 vcc, 0, v11
	v_cndmask_b32_e32 v10, v10, v20, vcc
	v_cndmask_b32_e32 v11, v14, v15, vcc
	v_lshlrev_b32_e32 v14, 8, v16
	v_mov_b32_e32 v15, 0x3b800000
	v_lshlrev_b32_e32 v10, 20, v10
	v_and_b32_e32 v14, 0x80000000, v14
	v_lshl_add_u32 v11, v11, 23, v15
	v_or3_b32 v10, v14, v11, v10
.LBB30_1364:
	s_or_b64 exec, exec, s[6:7]
	s_movk_i32 s4, 0xff
	v_and_b32_sdwa v11, v12, s4 dst_sel:DWORD dst_unused:UNUSED_PAD src0_sel:WORD_1 src1_sel:DWORD
	s_movk_i32 s4, 0x7f
	v_cmp_lt_i16_e32 vcc, s4, v11
	s_mov_b64 s[4:5], 0
                                        ; implicit-def: $sgpr10
	s_and_saveexec_b64 s[6:7], vcc
	s_xor_b64 s[6:7], exec, s[6:7]
	s_cbranch_execnz .LBB30_3413
; %bb.1365:
	s_or_saveexec_b64 s[6:7], s[6:7]
	v_mov_b32_e32 v14, s10
	s_xor_b64 exec, exec, s[6:7]
	s_cbranch_execnz .LBB30_3416
.LBB30_1366:
	s_or_b64 exec, exec, s[6:7]
	s_and_saveexec_b64 s[6:7], s[4:5]
	s_cbranch_execz .LBB30_1368
.LBB30_1367:
	v_bfe_u32 v11, v12, 16, 3
	v_ffbh_u32_e32 v20, v11
	v_min_u32_e32 v20, 32, v20
	v_lshrrev_b32_e32 v14, 19, v12
	v_subrev_u32_e32 v21, 28, v20
	v_and_b32_e32 v14, 15, v14
	v_lshlrev_b32_sdwa v21, v21, v12 dst_sel:DWORD dst_unused:UNUSED_PAD src0_sel:DWORD src1_sel:WORD_1
	v_bfe_u32 v15, v12, 19, 4
	v_sub_u32_e32 v20, 29, v20
	v_and_b32_e32 v21, 7, v21
	v_cmp_eq_u16_e32 vcc, 0, v14
	v_cndmask_b32_e32 v11, v11, v21, vcc
	v_cndmask_b32_e32 v14, v15, v20, vcc
	v_lshlrev_b32_e32 v15, 8, v12
	v_mov_b32_e32 v20, 0x3b800000
	v_lshlrev_b32_e32 v11, 20, v11
	v_and_b32_e32 v15, 0x80000000, v15
	v_lshl_add_u32 v14, v14, 23, v20
	v_or3_b32 v14, v15, v14, v11
.LBB30_1368:
	s_or_b64 exec, exec, s[6:7]
	s_nop 0
	v_mfma_f32_16x16x4f32 a[0:3], v10, v14, a[0:3]
	s_movk_i32 s4, 0x7f
	v_cmp_gt_i16_sdwa s[6:7], v16, s4 src0_sel:BYTE_3 src1_sel:DWORD
	s_mov_b64 s[4:5], 0
                                        ; implicit-def: $sgpr10
	s_and_saveexec_b64 s[8:9], s[6:7]
	s_xor_b64 s[6:7], exec, s[8:9]
	s_cbranch_execnz .LBB30_3417
; %bb.1369:
	s_or_saveexec_b64 s[6:7], s[6:7]
	v_mov_b32_e32 v10, s10
	s_xor_b64 exec, exec, s[6:7]
	s_cbranch_execnz .LBB30_3420
.LBB30_1370:
	s_or_b64 exec, exec, s[6:7]
	s_and_saveexec_b64 s[6:7], s[4:5]
	s_cbranch_execz .LBB30_1372
.LBB30_1371:
	v_bfe_u32 v10, v16, 24, 3
	v_ffbh_u32_e32 v20, v10
	v_min_u32_e32 v20, 32, v20
	v_lshrrev_b32_e32 v14, 27, v16
	v_subrev_u32_e32 v21, 28, v20
	v_and_b32_e32 v11, 0x80000000, v16
	v_and_b32_e32 v14, 15, v14
	v_bfe_u32 v15, v16, 27, 4
	v_lshlrev_b32_sdwa v16, v21, v16 dst_sel:DWORD dst_unused:UNUSED_PAD src0_sel:DWORD src1_sel:BYTE_3
	v_sub_u32_e32 v20, 29, v20
	v_and_b32_e32 v16, 7, v16
	v_cmp_eq_u16_e32 vcc, 0, v14
	v_cndmask_b32_e32 v10, v10, v16, vcc
	v_cndmask_b32_e32 v14, v15, v20, vcc
	v_mov_b32_e32 v15, 0x3b800000
	v_lshlrev_b32_e32 v10, 20, v10
	v_lshl_add_u32 v14, v14, 23, v15
	v_or3_b32 v10, v11, v14, v10
.LBB30_1372:
	s_or_b64 exec, exec, s[6:7]
	s_movk_i32 s4, 0x7f
	v_cmp_gt_i16_sdwa s[6:7], v12, s4 src0_sel:BYTE_3 src1_sel:DWORD
	s_mov_b64 s[4:5], 0
                                        ; implicit-def: $sgpr10
	s_and_saveexec_b64 s[8:9], s[6:7]
	s_xor_b64 s[6:7], exec, s[8:9]
	s_cbranch_execnz .LBB30_3421
; %bb.1373:
	s_or_saveexec_b64 s[6:7], s[6:7]
	v_mov_b32_e32 v11, s10
	s_xor_b64 exec, exec, s[6:7]
	s_cbranch_execnz .LBB30_3424
.LBB30_1374:
	s_or_b64 exec, exec, s[6:7]
	s_and_saveexec_b64 s[6:7], s[4:5]
	s_cbranch_execz .LBB30_1376
.LBB30_1375:
	v_bfe_u32 v11, v12, 24, 3
	v_ffbh_u32_e32 v20, v11
	v_min_u32_e32 v20, 32, v20
	v_lshrrev_b32_e32 v15, 27, v12
	v_subrev_u32_e32 v21, 28, v20
	v_and_b32_e32 v14, 0x80000000, v12
	v_and_b32_e32 v15, 15, v15
	v_bfe_u32 v16, v12, 27, 4
	v_lshlrev_b32_sdwa v12, v21, v12 dst_sel:DWORD dst_unused:UNUSED_PAD src0_sel:DWORD src1_sel:BYTE_3
	v_sub_u32_e32 v20, 29, v20
	v_and_b32_e32 v12, 7, v12
	v_cmp_eq_u16_e32 vcc, 0, v15
	v_cndmask_b32_e32 v11, v11, v12, vcc
	v_cndmask_b32_e32 v12, v16, v20, vcc
	v_mov_b32_e32 v15, 0x3b800000
	v_lshlrev_b32_e32 v11, 20, v11
	v_lshl_add_u32 v12, v12, 23, v15
	v_or3_b32 v11, v14, v12, v11
.LBB30_1376:
	s_or_b64 exec, exec, s[6:7]
	s_nop 0
	v_mfma_f32_16x16x4f32 a[0:3], v10, v11, a[0:3]
	s_movk_i32 s4, 0x7f
	v_cmp_gt_i16_sdwa s[6:7], v17, s4 src0_sel:BYTE_0 src1_sel:DWORD
	s_mov_b64 s[4:5], 0
                                        ; implicit-def: $sgpr10
	s_and_saveexec_b64 s[8:9], s[6:7]
	s_xor_b64 s[6:7], exec, s[8:9]
	s_cbranch_execnz .LBB30_3425
; %bb.1377:
	s_or_saveexec_b64 s[6:7], s[6:7]
	v_mov_b32_e32 v10, s10
	s_xor_b64 exec, exec, s[6:7]
	s_cbranch_execnz .LBB30_3428
.LBB30_1378:
	s_or_b64 exec, exec, s[6:7]
	s_and_saveexec_b64 s[6:7], s[4:5]
	s_cbranch_execz .LBB30_1380
.LBB30_1379:
	v_and_b32_e32 v10, 7, v17
	v_ffbh_u32_e32 v12, v10
	v_min_u32_e32 v12, 32, v12
	v_lshrrev_b16_e32 v11, 3, v17
	v_subrev_u32_e32 v14, 28, v12
	v_and_b32_e32 v11, 15, v11
	v_lshlrev_b32_e32 v14, v14, v17
	v_sub_u32_e32 v12, 29, v12
	v_and_b32_e32 v14, 7, v14
	v_cmp_eq_u16_e32 vcc, 0, v11
	v_cndmask_b32_e32 v10, v10, v14, vcc
	v_cndmask_b32_e32 v11, v11, v12, vcc
	v_lshlrev_b32_e32 v12, 24, v17
	v_mov_b32_e32 v14, 0x3b800000
	v_lshlrev_b32_e32 v10, 20, v10
	v_and_b32_e32 v12, 0x80000000, v12
	v_lshl_add_u32 v11, v11, 23, v14
	v_or3_b32 v10, v12, v11, v10
.LBB30_1380:
	s_or_b64 exec, exec, s[6:7]
	s_movk_i32 s4, 0x7f
	v_cmp_gt_i16_sdwa s[6:7], v13, s4 src0_sel:BYTE_0 src1_sel:DWORD
	s_mov_b64 s[4:5], 0
                                        ; implicit-def: $sgpr10
	s_and_saveexec_b64 s[8:9], s[6:7]
	s_xor_b64 s[6:7], exec, s[8:9]
	s_cbranch_execnz .LBB30_3429
; %bb.1381:
	s_or_saveexec_b64 s[6:7], s[6:7]
	v_mov_b32_e32 v11, s10
	s_xor_b64 exec, exec, s[6:7]
	s_cbranch_execnz .LBB30_3432
.LBB30_1382:
	s_or_b64 exec, exec, s[6:7]
	s_and_saveexec_b64 s[6:7], s[4:5]
	s_cbranch_execz .LBB30_1384
.LBB30_1383:
	v_and_b32_e32 v11, 7, v13
	v_ffbh_u32_e32 v14, v11
	v_min_u32_e32 v14, 32, v14
	v_lshrrev_b16_e32 v12, 3, v13
	v_subrev_u32_e32 v15, 28, v14
	v_and_b32_e32 v12, 15, v12
	v_lshlrev_b32_e32 v15, v15, v13
	v_sub_u32_e32 v14, 29, v14
	v_and_b32_e32 v15, 7, v15
	v_cmp_eq_u16_e32 vcc, 0, v12
	v_cndmask_b32_e32 v11, v11, v15, vcc
	v_cndmask_b32_e32 v12, v12, v14, vcc
	v_lshlrev_b32_e32 v14, 24, v13
	v_mov_b32_e32 v15, 0x3b800000
	v_lshlrev_b32_e32 v11, 20, v11
	v_and_b32_e32 v14, 0x80000000, v14
	v_lshl_add_u32 v12, v12, 23, v15
	v_or3_b32 v11, v14, v12, v11
.LBB30_1384:
	s_or_b64 exec, exec, s[6:7]
	s_nop 0
	v_mfma_f32_16x16x4f32 a[0:3], v10, v11, a[0:3]
	v_lshrrev_b32_e32 v11, 8, v17
	s_movk_i32 s4, 0x7f
	v_cmp_gt_i16_sdwa s[6:7], v11, s4 src0_sel:BYTE_0 src1_sel:DWORD
	s_mov_b64 s[4:5], 0
                                        ; implicit-def: $sgpr10
	s_and_saveexec_b64 s[8:9], s[6:7]
	s_xor_b64 s[6:7], exec, s[8:9]
	s_cbranch_execnz .LBB30_3433
; %bb.1385:
	s_or_saveexec_b64 s[6:7], s[6:7]
	v_mov_b32_e32 v10, s10
	s_xor_b64 exec, exec, s[6:7]
	s_cbranch_execnz .LBB30_3436
.LBB30_1386:
	s_or_b64 exec, exec, s[6:7]
	s_and_saveexec_b64 s[6:7], s[4:5]
	s_cbranch_execz .LBB30_1388
.LBB30_1387:
	v_bfe_u32 v10, v17, 8, 3
	v_ffbh_u32_e32 v14, v10
	v_min_u32_e32 v14, 32, v14
	v_lshrrev_b16_e32 v12, 3, v11
	v_subrev_u32_e32 v15, 28, v14
	v_and_b32_e32 v12, 15, v12
	v_lshlrev_b32_e32 v11, v15, v11
	v_sub_u32_e32 v14, 29, v14
	v_and_b32_e32 v11, 7, v11
	v_cmp_eq_u16_e32 vcc, 0, v12
	v_cndmask_b32_e32 v10, v10, v11, vcc
	v_cndmask_b32_e32 v11, v12, v14, vcc
	v_lshlrev_b32_e32 v12, 16, v17
	v_mov_b32_e32 v14, 0x3b800000
	v_lshlrev_b32_e32 v10, 20, v10
	v_and_b32_e32 v12, 0x80000000, v12
	v_lshl_add_u32 v11, v11, 23, v14
	v_or3_b32 v10, v12, v11, v10
.LBB30_1388:
	s_or_b64 exec, exec, s[6:7]
	v_lshrrev_b32_e32 v11, 8, v13
	s_movk_i32 s4, 0x7f
	v_cmp_gt_i16_sdwa s[6:7], v11, s4 src0_sel:BYTE_0 src1_sel:DWORD
	s_mov_b64 s[4:5], 0
                                        ; implicit-def: $sgpr10
	s_and_saveexec_b64 s[8:9], s[6:7]
	s_xor_b64 s[6:7], exec, s[8:9]
	s_cbranch_execnz .LBB30_3437
; %bb.1389:
	s_or_saveexec_b64 s[6:7], s[6:7]
	v_mov_b32_e32 v12, s10
	s_xor_b64 exec, exec, s[6:7]
	s_cbranch_execnz .LBB30_3440
.LBB30_1390:
	s_or_b64 exec, exec, s[6:7]
	s_and_saveexec_b64 s[6:7], s[4:5]
	s_cbranch_execz .LBB30_1392
.LBB30_1391:
	v_bfe_u32 v12, v13, 8, 3
	v_ffbh_u32_e32 v15, v12
	v_min_u32_e32 v15, 32, v15
	v_lshrrev_b16_e32 v14, 3, v11
	v_subrev_u32_e32 v16, 28, v15
	v_and_b32_e32 v14, 15, v14
	v_lshlrev_b32_e32 v11, v16, v11
	v_sub_u32_e32 v15, 29, v15
	v_and_b32_e32 v11, 7, v11
	v_cmp_eq_u16_e32 vcc, 0, v14
	v_cndmask_b32_e32 v11, v12, v11, vcc
	v_cndmask_b32_e32 v12, v14, v15, vcc
	v_lshlrev_b32_e32 v14, 16, v13
	v_mov_b32_e32 v15, 0x3b800000
	v_lshlrev_b32_e32 v11, 20, v11
	v_and_b32_e32 v14, 0x80000000, v14
	v_lshl_add_u32 v12, v12, 23, v15
	v_or3_b32 v12, v14, v12, v11
.LBB30_1392:
	s_or_b64 exec, exec, s[6:7]
	s_nop 0
	v_mfma_f32_16x16x4f32 a[0:3], v10, v12, a[0:3]
	s_movk_i32 s4, 0xff
	v_and_b32_sdwa v11, v17, s4 dst_sel:DWORD dst_unused:UNUSED_PAD src0_sel:WORD_1 src1_sel:DWORD
	s_movk_i32 s4, 0x7f
	v_cmp_lt_i16_e32 vcc, s4, v11
	s_mov_b64 s[4:5], 0
                                        ; implicit-def: $sgpr10
	s_and_saveexec_b64 s[6:7], vcc
	s_xor_b64 s[6:7], exec, s[6:7]
	s_cbranch_execnz .LBB30_3441
; %bb.1393:
	s_or_saveexec_b64 s[6:7], s[6:7]
	v_mov_b32_e32 v10, s10
	s_xor_b64 exec, exec, s[6:7]
	s_cbranch_execnz .LBB30_3444
.LBB30_1394:
	s_or_b64 exec, exec, s[6:7]
	s_and_saveexec_b64 s[6:7], s[4:5]
	s_cbranch_execz .LBB30_1396
.LBB30_1395:
	v_bfe_u32 v10, v17, 16, 3
	v_ffbh_u32_e32 v14, v10
	v_min_u32_e32 v14, 32, v14
	v_lshrrev_b32_e32 v11, 19, v17
	v_subrev_u32_e32 v15, 28, v14
	v_and_b32_e32 v11, 15, v11
	v_lshlrev_b32_sdwa v15, v15, v17 dst_sel:DWORD dst_unused:UNUSED_PAD src0_sel:DWORD src1_sel:WORD_1
	v_bfe_u32 v12, v17, 19, 4
	v_sub_u32_e32 v14, 29, v14
	v_and_b32_e32 v15, 7, v15
	v_cmp_eq_u16_e32 vcc, 0, v11
	v_cndmask_b32_e32 v10, v10, v15, vcc
	v_cndmask_b32_e32 v11, v12, v14, vcc
	v_lshlrev_b32_e32 v12, 8, v17
	v_mov_b32_e32 v14, 0x3b800000
	v_lshlrev_b32_e32 v10, 20, v10
	v_and_b32_e32 v12, 0x80000000, v12
	v_lshl_add_u32 v11, v11, 23, v14
	v_or3_b32 v10, v12, v11, v10
.LBB30_1396:
	s_or_b64 exec, exec, s[6:7]
	s_movk_i32 s4, 0xff
	v_and_b32_sdwa v11, v13, s4 dst_sel:DWORD dst_unused:UNUSED_PAD src0_sel:WORD_1 src1_sel:DWORD
	s_movk_i32 s4, 0x7f
	v_cmp_lt_i16_e32 vcc, s4, v11
	s_mov_b64 s[4:5], 0
                                        ; implicit-def: $sgpr10
	s_and_saveexec_b64 s[6:7], vcc
	s_xor_b64 s[6:7], exec, s[6:7]
	s_cbranch_execnz .LBB30_3445
; %bb.1397:
	s_or_saveexec_b64 s[6:7], s[6:7]
	v_mov_b32_e32 v12, s10
	s_xor_b64 exec, exec, s[6:7]
	s_cbranch_execnz .LBB30_3448
.LBB30_1398:
	s_or_b64 exec, exec, s[6:7]
	s_and_saveexec_b64 s[6:7], s[4:5]
	s_cbranch_execz .LBB30_1400
.LBB30_1399:
	v_bfe_u32 v11, v13, 16, 3
	v_ffbh_u32_e32 v15, v11
	v_min_u32_e32 v15, 32, v15
	v_lshrrev_b32_e32 v12, 19, v13
	v_subrev_u32_e32 v16, 28, v15
	v_and_b32_e32 v12, 15, v12
	v_lshlrev_b32_sdwa v16, v16, v13 dst_sel:DWORD dst_unused:UNUSED_PAD src0_sel:DWORD src1_sel:WORD_1
	v_bfe_u32 v14, v13, 19, 4
	v_sub_u32_e32 v15, 29, v15
	v_and_b32_e32 v16, 7, v16
	v_cmp_eq_u16_e32 vcc, 0, v12
	v_cndmask_b32_e32 v11, v11, v16, vcc
	v_cndmask_b32_e32 v12, v14, v15, vcc
	v_lshlrev_b32_e32 v14, 8, v13
	v_mov_b32_e32 v15, 0x3b800000
	v_lshlrev_b32_e32 v11, 20, v11
	v_and_b32_e32 v14, 0x80000000, v14
	v_lshl_add_u32 v12, v12, 23, v15
	v_or3_b32 v12, v14, v12, v11
.LBB30_1400:
	s_or_b64 exec, exec, s[6:7]
	s_nop 0
	v_mfma_f32_16x16x4f32 a[0:3], v10, v12, a[0:3]
	s_movk_i32 s4, 0x7f
	v_cmp_gt_i16_sdwa s[6:7], v17, s4 src0_sel:BYTE_3 src1_sel:DWORD
	s_mov_b64 s[4:5], 0
                                        ; implicit-def: $sgpr10
	s_and_saveexec_b64 s[8:9], s[6:7]
	s_xor_b64 s[6:7], exec, s[8:9]
	s_cbranch_execnz .LBB30_3449
; %bb.1401:
	s_or_saveexec_b64 s[6:7], s[6:7]
	v_mov_b32_e32 v10, s10
	s_xor_b64 exec, exec, s[6:7]
	s_cbranch_execnz .LBB30_3452
.LBB30_1402:
	s_or_b64 exec, exec, s[6:7]
	s_and_saveexec_b64 s[6:7], s[4:5]
	s_cbranch_execz .LBB30_1404
.LBB30_1403:
	v_bfe_u32 v10, v17, 24, 3
	v_ffbh_u32_e32 v15, v10
	v_min_u32_e32 v15, 32, v15
	v_lshrrev_b32_e32 v12, 27, v17
	v_subrev_u32_e32 v16, 28, v15
	v_and_b32_e32 v12, 15, v12
	v_lshlrev_b32_sdwa v16, v16, v17 dst_sel:DWORD dst_unused:UNUSED_PAD src0_sel:DWORD src1_sel:BYTE_3
	v_bfe_u32 v14, v17, 27, 4
	v_sub_u32_e32 v15, 29, v15
	v_and_b32_e32 v16, 7, v16
	v_cmp_eq_u16_e32 vcc, 0, v12
	v_cndmask_b32_e32 v10, v10, v16, vcc
	v_cndmask_b32_e32 v12, v14, v15, vcc
	v_mov_b32_e32 v14, 0x3b800000
	v_and_b32_e32 v11, 0x80000000, v17
	v_lshlrev_b32_e32 v10, 20, v10
	v_lshl_add_u32 v12, v12, 23, v14
	v_or3_b32 v10, v11, v12, v10
.LBB30_1404:
	s_or_b64 exec, exec, s[6:7]
	s_movk_i32 s4, 0x7f
	v_cmp_gt_i16_sdwa s[6:7], v13, s4 src0_sel:BYTE_3 src1_sel:DWORD
	s_mov_b64 s[4:5], 0
                                        ; implicit-def: $sgpr10
	s_and_saveexec_b64 s[8:9], s[6:7]
	s_xor_b64 s[6:7], exec, s[8:9]
	s_cbranch_execnz .LBB30_3453
; %bb.1405:
	s_or_saveexec_b64 s[6:7], s[6:7]
	v_mov_b32_e32 v11, s10
	s_xor_b64 exec, exec, s[6:7]
	s_cbranch_execnz .LBB30_3456
.LBB30_1406:
	s_or_b64 exec, exec, s[6:7]
	s_and_saveexec_b64 s[6:7], s[4:5]
	s_cbranch_execz .LBB30_1408
.LBB30_1407:
	v_bfe_u32 v11, v13, 24, 3
	v_ffbh_u32_e32 v16, v11
	v_min_u32_e32 v16, 32, v16
	v_lshrrev_b32_e32 v14, 27, v13
	v_subrev_u32_e32 v17, 28, v16
	v_and_b32_e32 v12, 0x80000000, v13
	v_and_b32_e32 v14, 15, v14
	v_bfe_u32 v15, v13, 27, 4
	v_lshlrev_b32_sdwa v13, v17, v13 dst_sel:DWORD dst_unused:UNUSED_PAD src0_sel:DWORD src1_sel:BYTE_3
	v_sub_u32_e32 v16, 29, v16
	v_and_b32_e32 v13, 7, v13
	v_cmp_eq_u16_e32 vcc, 0, v14
	v_cndmask_b32_e32 v11, v11, v13, vcc
	v_cndmask_b32_e32 v13, v15, v16, vcc
	v_mov_b32_e32 v14, 0x3b800000
	v_lshlrev_b32_e32 v11, 20, v11
	v_lshl_add_u32 v13, v13, 23, v14
	v_or3_b32 v11, v12, v13, v11
.LBB30_1408:
	s_or_b64 exec, exec, s[6:7]
	s_nop 0
	v_mfma_f32_16x16x4f32 a[0:3], v10, v11, a[0:3]
	s_movk_i32 s4, 0x7f
	v_cmp_gt_i16_sdwa s[6:7], v6, s4 src0_sel:BYTE_0 src1_sel:DWORD
	s_mov_b64 s[4:5], 0
                                        ; implicit-def: $sgpr10
	s_and_saveexec_b64 s[8:9], s[6:7]
	s_xor_b64 s[6:7], exec, s[8:9]
	s_cbranch_execnz .LBB30_3457
; %bb.1409:
	s_or_saveexec_b64 s[6:7], s[6:7]
	v_mov_b32_e32 v10, s10
	s_xor_b64 exec, exec, s[6:7]
	s_cbranch_execnz .LBB30_3460
.LBB30_1410:
	s_or_b64 exec, exec, s[6:7]
	s_and_saveexec_b64 s[6:7], s[4:5]
	s_cbranch_execz .LBB30_1412
.LBB30_1411:
	v_and_b32_e32 v10, 7, v6
	v_ffbh_u32_e32 v12, v10
	v_min_u32_e32 v12, 32, v12
	v_lshrrev_b16_e32 v11, 3, v6
	v_subrev_u32_e32 v13, 28, v12
	v_and_b32_e32 v11, 15, v11
	v_lshlrev_b32_e32 v13, v13, v6
	v_sub_u32_e32 v12, 29, v12
	v_and_b32_e32 v13, 7, v13
	v_cmp_eq_u16_e32 vcc, 0, v11
	v_cndmask_b32_e32 v10, v10, v13, vcc
	v_cndmask_b32_e32 v11, v11, v12, vcc
	v_lshlrev_b32_e32 v12, 24, v6
	v_mov_b32_e32 v13, 0x3b800000
	v_lshlrev_b32_e32 v10, 20, v10
	v_and_b32_e32 v12, 0x80000000, v12
	v_lshl_add_u32 v11, v11, 23, v13
	v_or3_b32 v10, v12, v11, v10
.LBB30_1412:
	s_or_b64 exec, exec, s[6:7]
	s_movk_i32 s4, 0x7f
	v_cmp_gt_i16_sdwa s[6:7], v2, s4 src0_sel:BYTE_0 src1_sel:DWORD
	s_mov_b64 s[4:5], 0
                                        ; implicit-def: $sgpr10
	s_and_saveexec_b64 s[8:9], s[6:7]
	s_xor_b64 s[6:7], exec, s[8:9]
	s_cbranch_execnz .LBB30_3461
; %bb.1413:
	s_or_saveexec_b64 s[6:7], s[6:7]
	v_mov_b32_e32 v11, s10
	s_xor_b64 exec, exec, s[6:7]
	s_cbranch_execnz .LBB30_3464
.LBB30_1414:
	s_or_b64 exec, exec, s[6:7]
	s_and_saveexec_b64 s[6:7], s[4:5]
	s_cbranch_execz .LBB30_1416
.LBB30_1415:
	v_and_b32_e32 v11, 7, v2
	v_ffbh_u32_e32 v13, v11
	v_min_u32_e32 v13, 32, v13
	v_lshrrev_b16_e32 v12, 3, v2
	v_subrev_u32_e32 v14, 28, v13
	v_and_b32_e32 v12, 15, v12
	v_lshlrev_b32_e32 v14, v14, v2
	v_sub_u32_e32 v13, 29, v13
	v_and_b32_e32 v14, 7, v14
	v_cmp_eq_u16_e32 vcc, 0, v12
	v_cndmask_b32_e32 v11, v11, v14, vcc
	v_cndmask_b32_e32 v12, v12, v13, vcc
	v_lshlrev_b32_e32 v13, 24, v2
	v_mov_b32_e32 v14, 0x3b800000
	v_lshlrev_b32_e32 v11, 20, v11
	v_and_b32_e32 v13, 0x80000000, v13
	v_lshl_add_u32 v12, v12, 23, v14
	v_or3_b32 v11, v13, v12, v11
.LBB30_1416:
	s_or_b64 exec, exec, s[6:7]
	s_nop 0
	v_mfma_f32_16x16x4f32 a[0:3], v10, v11, a[0:3]
	v_lshrrev_b32_e32 v11, 8, v6
	s_movk_i32 s4, 0x7f
	v_cmp_gt_i16_sdwa s[6:7], v11, s4 src0_sel:BYTE_0 src1_sel:DWORD
	s_mov_b64 s[4:5], 0
                                        ; implicit-def: $sgpr10
	s_and_saveexec_b64 s[8:9], s[6:7]
	s_xor_b64 s[6:7], exec, s[8:9]
	s_cbranch_execnz .LBB30_3465
; %bb.1417:
	s_or_saveexec_b64 s[6:7], s[6:7]
	v_mov_b32_e32 v10, s10
	s_xor_b64 exec, exec, s[6:7]
	s_cbranch_execnz .LBB30_3468
.LBB30_1418:
	s_or_b64 exec, exec, s[6:7]
	s_and_saveexec_b64 s[6:7], s[4:5]
	s_cbranch_execz .LBB30_1420
.LBB30_1419:
	v_bfe_u32 v10, v6, 8, 3
	v_ffbh_u32_e32 v13, v10
	v_min_u32_e32 v13, 32, v13
	v_lshrrev_b16_e32 v12, 3, v11
	v_subrev_u32_e32 v14, 28, v13
	v_and_b32_e32 v12, 15, v12
	v_lshlrev_b32_e32 v11, v14, v11
	v_sub_u32_e32 v13, 29, v13
	v_and_b32_e32 v11, 7, v11
	v_cmp_eq_u16_e32 vcc, 0, v12
	v_cndmask_b32_e32 v10, v10, v11, vcc
	v_cndmask_b32_e32 v11, v12, v13, vcc
	v_lshlrev_b32_e32 v12, 16, v6
	v_mov_b32_e32 v13, 0x3b800000
	v_lshlrev_b32_e32 v10, 20, v10
	v_and_b32_e32 v12, 0x80000000, v12
	v_lshl_add_u32 v11, v11, 23, v13
	v_or3_b32 v10, v12, v11, v10
.LBB30_1420:
	s_or_b64 exec, exec, s[6:7]
	v_lshrrev_b32_e32 v11, 8, v2
	s_movk_i32 s4, 0x7f
	v_cmp_gt_i16_sdwa s[6:7], v11, s4 src0_sel:BYTE_0 src1_sel:DWORD
	s_mov_b64 s[4:5], 0
                                        ; implicit-def: $sgpr10
	s_and_saveexec_b64 s[8:9], s[6:7]
	s_xor_b64 s[6:7], exec, s[8:9]
	s_cbranch_execnz .LBB30_3469
; %bb.1421:
	s_or_saveexec_b64 s[6:7], s[6:7]
	v_mov_b32_e32 v12, s10
	s_xor_b64 exec, exec, s[6:7]
	s_cbranch_execnz .LBB30_3472
.LBB30_1422:
	s_or_b64 exec, exec, s[6:7]
	s_and_saveexec_b64 s[6:7], s[4:5]
	s_cbranch_execz .LBB30_1424
.LBB30_1423:
	v_bfe_u32 v12, v2, 8, 3
	v_ffbh_u32_e32 v14, v12
	v_min_u32_e32 v14, 32, v14
	v_lshrrev_b16_e32 v13, 3, v11
	v_subrev_u32_e32 v15, 28, v14
	v_and_b32_e32 v13, 15, v13
	v_lshlrev_b32_e32 v11, v15, v11
	v_sub_u32_e32 v14, 29, v14
	v_and_b32_e32 v11, 7, v11
	v_cmp_eq_u16_e32 vcc, 0, v13
	v_cndmask_b32_e32 v11, v12, v11, vcc
	v_cndmask_b32_e32 v12, v13, v14, vcc
	v_lshlrev_b32_e32 v13, 16, v2
	v_mov_b32_e32 v14, 0x3b800000
	v_lshlrev_b32_e32 v11, 20, v11
	v_and_b32_e32 v13, 0x80000000, v13
	v_lshl_add_u32 v12, v12, 23, v14
	v_or3_b32 v12, v13, v12, v11
.LBB30_1424:
	s_or_b64 exec, exec, s[6:7]
	s_nop 0
	v_mfma_f32_16x16x4f32 a[0:3], v10, v12, a[0:3]
	s_movk_i32 s4, 0xff
	v_and_b32_sdwa v11, v6, s4 dst_sel:DWORD dst_unused:UNUSED_PAD src0_sel:WORD_1 src1_sel:DWORD
	s_movk_i32 s4, 0x7f
	v_cmp_lt_i16_e32 vcc, s4, v11
	s_mov_b64 s[4:5], 0
                                        ; implicit-def: $sgpr10
	s_and_saveexec_b64 s[6:7], vcc
	s_xor_b64 s[6:7], exec, s[6:7]
	s_cbranch_execnz .LBB30_3473
; %bb.1425:
	s_or_saveexec_b64 s[6:7], s[6:7]
	v_mov_b32_e32 v10, s10
	s_xor_b64 exec, exec, s[6:7]
	s_cbranch_execnz .LBB30_3476
.LBB30_1426:
	s_or_b64 exec, exec, s[6:7]
	s_and_saveexec_b64 s[6:7], s[4:5]
	s_cbranch_execz .LBB30_1428
.LBB30_1427:
	v_bfe_u32 v10, v6, 16, 3
	v_ffbh_u32_e32 v13, v10
	v_min_u32_e32 v13, 32, v13
	v_lshrrev_b32_e32 v11, 19, v6
	v_subrev_u32_e32 v14, 28, v13
	v_and_b32_e32 v11, 15, v11
	v_lshlrev_b32_sdwa v14, v14, v6 dst_sel:DWORD dst_unused:UNUSED_PAD src0_sel:DWORD src1_sel:WORD_1
	v_bfe_u32 v12, v6, 19, 4
	v_sub_u32_e32 v13, 29, v13
	v_and_b32_e32 v14, 7, v14
	v_cmp_eq_u16_e32 vcc, 0, v11
	v_cndmask_b32_e32 v10, v10, v14, vcc
	v_cndmask_b32_e32 v11, v12, v13, vcc
	v_lshlrev_b32_e32 v12, 8, v6
	v_mov_b32_e32 v13, 0x3b800000
	v_lshlrev_b32_e32 v10, 20, v10
	v_and_b32_e32 v12, 0x80000000, v12
	v_lshl_add_u32 v11, v11, 23, v13
	v_or3_b32 v10, v12, v11, v10
.LBB30_1428:
	s_or_b64 exec, exec, s[6:7]
	s_movk_i32 s4, 0xff
	v_and_b32_sdwa v11, v2, s4 dst_sel:DWORD dst_unused:UNUSED_PAD src0_sel:WORD_1 src1_sel:DWORD
	s_movk_i32 s4, 0x7f
	v_cmp_lt_i16_e32 vcc, s4, v11
	s_mov_b64 s[4:5], 0
                                        ; implicit-def: $sgpr10
	s_and_saveexec_b64 s[6:7], vcc
	s_xor_b64 s[6:7], exec, s[6:7]
	s_cbranch_execnz .LBB30_3477
; %bb.1429:
	s_or_saveexec_b64 s[6:7], s[6:7]
	v_mov_b32_e32 v12, s10
	s_xor_b64 exec, exec, s[6:7]
	s_cbranch_execnz .LBB30_3480
.LBB30_1430:
	s_or_b64 exec, exec, s[6:7]
	s_and_saveexec_b64 s[6:7], s[4:5]
	s_cbranch_execz .LBB30_1432
.LBB30_1431:
	v_bfe_u32 v11, v2, 16, 3
	v_ffbh_u32_e32 v14, v11
	v_min_u32_e32 v14, 32, v14
	v_lshrrev_b32_e32 v12, 19, v2
	v_subrev_u32_e32 v15, 28, v14
	v_and_b32_e32 v12, 15, v12
	v_lshlrev_b32_sdwa v15, v15, v2 dst_sel:DWORD dst_unused:UNUSED_PAD src0_sel:DWORD src1_sel:WORD_1
	v_bfe_u32 v13, v2, 19, 4
	v_sub_u32_e32 v14, 29, v14
	v_and_b32_e32 v15, 7, v15
	v_cmp_eq_u16_e32 vcc, 0, v12
	v_cndmask_b32_e32 v11, v11, v15, vcc
	v_cndmask_b32_e32 v12, v13, v14, vcc
	v_lshlrev_b32_e32 v13, 8, v2
	v_mov_b32_e32 v14, 0x3b800000
	v_lshlrev_b32_e32 v11, 20, v11
	v_and_b32_e32 v13, 0x80000000, v13
	v_lshl_add_u32 v12, v12, 23, v14
	v_or3_b32 v12, v13, v12, v11
.LBB30_1432:
	s_or_b64 exec, exec, s[6:7]
	s_nop 0
	v_mfma_f32_16x16x4f32 a[0:3], v10, v12, a[0:3]
	s_movk_i32 s4, 0x7f
	v_cmp_gt_i16_sdwa s[6:7], v6, s4 src0_sel:BYTE_3 src1_sel:DWORD
	s_mov_b64 s[4:5], 0
                                        ; implicit-def: $sgpr10
	s_and_saveexec_b64 s[8:9], s[6:7]
	s_xor_b64 s[6:7], exec, s[8:9]
	s_cbranch_execnz .LBB30_3481
; %bb.1433:
	s_or_saveexec_b64 s[6:7], s[6:7]
	v_mov_b32_e32 v10, s10
	s_xor_b64 exec, exec, s[6:7]
	s_cbranch_execnz .LBB30_3484
.LBB30_1434:
	s_or_b64 exec, exec, s[6:7]
	s_and_saveexec_b64 s[6:7], s[4:5]
	s_cbranch_execz .LBB30_1436
.LBB30_1435:
	v_bfe_u32 v10, v6, 24, 3
	v_ffbh_u32_e32 v14, v10
	v_min_u32_e32 v14, 32, v14
	v_lshrrev_b32_e32 v12, 27, v6
	v_subrev_u32_e32 v15, 28, v14
	v_and_b32_e32 v11, 0x80000000, v6
	v_and_b32_e32 v12, 15, v12
	v_bfe_u32 v13, v6, 27, 4
	v_lshlrev_b32_sdwa v6, v15, v6 dst_sel:DWORD dst_unused:UNUSED_PAD src0_sel:DWORD src1_sel:BYTE_3
	v_sub_u32_e32 v14, 29, v14
	v_and_b32_e32 v6, 7, v6
	v_cmp_eq_u16_e32 vcc, 0, v12
	v_cndmask_b32_e32 v6, v10, v6, vcc
	v_cndmask_b32_e32 v10, v13, v14, vcc
	v_mov_b32_e32 v12, 0x3b800000
	v_lshlrev_b32_e32 v6, 20, v6
	v_lshl_add_u32 v10, v10, 23, v12
	v_or3_b32 v10, v11, v10, v6
.LBB30_1436:
	s_or_b64 exec, exec, s[6:7]
	s_movk_i32 s4, 0x7f
	v_cmp_gt_i16_sdwa s[6:7], v2, s4 src0_sel:BYTE_3 src1_sel:DWORD
	s_mov_b64 s[4:5], 0
                                        ; implicit-def: $sgpr10
	s_and_saveexec_b64 s[8:9], s[6:7]
	s_xor_b64 s[6:7], exec, s[8:9]
	s_cbranch_execnz .LBB30_3485
; %bb.1437:
	s_or_saveexec_b64 s[6:7], s[6:7]
	v_mov_b32_e32 v6, s10
	s_xor_b64 exec, exec, s[6:7]
	s_cbranch_execnz .LBB30_3488
.LBB30_1438:
	s_or_b64 exec, exec, s[6:7]
	s_and_saveexec_b64 s[6:7], s[4:5]
	s_cbranch_execz .LBB30_1440
.LBB30_1439:
	v_bfe_u32 v6, v2, 24, 3
	v_ffbh_u32_e32 v14, v6
	v_min_u32_e32 v14, 32, v14
	v_lshrrev_b32_e32 v12, 27, v2
	v_subrev_u32_e32 v15, 28, v14
	v_and_b32_e32 v11, 0x80000000, v2
	v_and_b32_e32 v12, 15, v12
	v_bfe_u32 v13, v2, 27, 4
	v_lshlrev_b32_sdwa v2, v15, v2 dst_sel:DWORD dst_unused:UNUSED_PAD src0_sel:DWORD src1_sel:BYTE_3
	v_sub_u32_e32 v14, 29, v14
	v_and_b32_e32 v2, 7, v2
	v_cmp_eq_u16_e32 vcc, 0, v12
	v_cndmask_b32_e32 v2, v6, v2, vcc
	v_cndmask_b32_e32 v6, v13, v14, vcc
	v_mov_b32_e32 v12, 0x3b800000
	v_lshlrev_b32_e32 v2, 20, v2
	v_lshl_add_u32 v6, v6, 23, v12
	v_or3_b32 v6, v11, v6, v2
.LBB30_1440:
	s_or_b64 exec, exec, s[6:7]
	s_nop 0
	v_mfma_f32_16x16x4f32 a[0:3], v10, v6, a[0:3]
	s_movk_i32 s4, 0x7f
	v_cmp_gt_i16_sdwa s[6:7], v7, s4 src0_sel:BYTE_0 src1_sel:DWORD
	s_mov_b64 s[4:5], 0
                                        ; implicit-def: $sgpr10
	s_and_saveexec_b64 s[8:9], s[6:7]
	s_xor_b64 s[6:7], exec, s[8:9]
	s_cbranch_execnz .LBB30_3489
; %bb.1441:
	s_or_saveexec_b64 s[6:7], s[6:7]
	v_mov_b32_e32 v2, s10
	s_xor_b64 exec, exec, s[6:7]
	s_cbranch_execnz .LBB30_3492
.LBB30_1442:
	s_or_b64 exec, exec, s[6:7]
	s_and_saveexec_b64 s[6:7], s[4:5]
	s_cbranch_execz .LBB30_1444
.LBB30_1443:
	v_and_b32_e32 v2, 7, v7
	v_ffbh_u32_e32 v10, v2
	v_min_u32_e32 v10, 32, v10
	v_lshrrev_b16_e32 v6, 3, v7
	v_subrev_u32_e32 v11, 28, v10
	v_and_b32_e32 v6, 15, v6
	v_lshlrev_b32_e32 v11, v11, v7
	v_sub_u32_e32 v10, 29, v10
	v_and_b32_e32 v11, 7, v11
	v_cmp_eq_u16_e32 vcc, 0, v6
	v_cndmask_b32_e32 v2, v2, v11, vcc
	v_cndmask_b32_e32 v6, v6, v10, vcc
	v_lshlrev_b32_e32 v10, 24, v7
	v_mov_b32_e32 v11, 0x3b800000
	v_lshlrev_b32_e32 v2, 20, v2
	v_and_b32_e32 v10, 0x80000000, v10
	v_lshl_add_u32 v6, v6, 23, v11
	v_or3_b32 v2, v10, v6, v2
.LBB30_1444:
	s_or_b64 exec, exec, s[6:7]
	s_movk_i32 s4, 0x7f
	v_cmp_gt_i16_sdwa s[6:7], v3, s4 src0_sel:BYTE_0 src1_sel:DWORD
	s_mov_b64 s[4:5], 0
                                        ; implicit-def: $sgpr10
	s_and_saveexec_b64 s[8:9], s[6:7]
	s_xor_b64 s[6:7], exec, s[8:9]
	s_cbranch_execnz .LBB30_3493
; %bb.1445:
	s_or_saveexec_b64 s[6:7], s[6:7]
	v_mov_b32_e32 v6, s10
	s_xor_b64 exec, exec, s[6:7]
	s_cbranch_execnz .LBB30_3496
.LBB30_1446:
	s_or_b64 exec, exec, s[6:7]
	s_and_saveexec_b64 s[6:7], s[4:5]
	s_cbranch_execz .LBB30_1448
.LBB30_1447:
	v_and_b32_e32 v6, 7, v3
	v_ffbh_u32_e32 v11, v6
	v_min_u32_e32 v11, 32, v11
	v_lshrrev_b16_e32 v10, 3, v3
	v_subrev_u32_e32 v12, 28, v11
	v_and_b32_e32 v10, 15, v10
	v_lshlrev_b32_e32 v12, v12, v3
	v_sub_u32_e32 v11, 29, v11
	v_and_b32_e32 v12, 7, v12
	v_cmp_eq_u16_e32 vcc, 0, v10
	v_cndmask_b32_e32 v6, v6, v12, vcc
	v_cndmask_b32_e32 v10, v10, v11, vcc
	v_lshlrev_b32_e32 v11, 24, v3
	v_mov_b32_e32 v12, 0x3b800000
	v_lshlrev_b32_e32 v6, 20, v6
	v_and_b32_e32 v11, 0x80000000, v11
	v_lshl_add_u32 v10, v10, 23, v12
	v_or3_b32 v6, v11, v10, v6
.LBB30_1448:
	s_or_b64 exec, exec, s[6:7]
	s_nop 0
	v_mfma_f32_16x16x4f32 a[0:3], v2, v6, a[0:3]
	v_lshrrev_b32_e32 v6, 8, v7
	s_movk_i32 s4, 0x7f
	v_cmp_gt_i16_sdwa s[6:7], v6, s4 src0_sel:BYTE_0 src1_sel:DWORD
	s_mov_b64 s[4:5], 0
                                        ; implicit-def: $sgpr10
	s_and_saveexec_b64 s[8:9], s[6:7]
	s_xor_b64 s[6:7], exec, s[8:9]
	s_cbranch_execnz .LBB30_3497
; %bb.1449:
	s_or_saveexec_b64 s[6:7], s[6:7]
	v_mov_b32_e32 v2, s10
	s_xor_b64 exec, exec, s[6:7]
	s_cbranch_execnz .LBB30_3500
.LBB30_1450:
	s_or_b64 exec, exec, s[6:7]
	s_and_saveexec_b64 s[6:7], s[4:5]
	s_cbranch_execz .LBB30_1452
.LBB30_1451:
	v_bfe_u32 v2, v7, 8, 3
	v_ffbh_u32_e32 v11, v2
	v_min_u32_e32 v11, 32, v11
	v_lshrrev_b16_e32 v10, 3, v6
	v_subrev_u32_e32 v12, 28, v11
	v_and_b32_e32 v10, 15, v10
	v_lshlrev_b32_e32 v6, v12, v6
	v_sub_u32_e32 v11, 29, v11
	v_and_b32_e32 v6, 7, v6
	v_cmp_eq_u16_e32 vcc, 0, v10
	v_cndmask_b32_e32 v2, v2, v6, vcc
	v_cndmask_b32_e32 v6, v10, v11, vcc
	v_lshlrev_b32_e32 v10, 16, v7
	v_mov_b32_e32 v11, 0x3b800000
	v_lshlrev_b32_e32 v2, 20, v2
	v_and_b32_e32 v10, 0x80000000, v10
	v_lshl_add_u32 v6, v6, 23, v11
	v_or3_b32 v2, v10, v6, v2
.LBB30_1452:
	s_or_b64 exec, exec, s[6:7]
	v_lshrrev_b32_e32 v6, 8, v3
	s_movk_i32 s4, 0x7f
	v_cmp_gt_i16_sdwa s[6:7], v6, s4 src0_sel:BYTE_0 src1_sel:DWORD
	s_mov_b64 s[4:5], 0
                                        ; implicit-def: $sgpr10
	s_and_saveexec_b64 s[8:9], s[6:7]
	s_xor_b64 s[6:7], exec, s[8:9]
	s_cbranch_execnz .LBB30_3501
; %bb.1453:
	s_or_saveexec_b64 s[6:7], s[6:7]
	v_mov_b32_e32 v10, s10
	s_xor_b64 exec, exec, s[6:7]
	s_cbranch_execnz .LBB30_3504
.LBB30_1454:
	s_or_b64 exec, exec, s[6:7]
	s_and_saveexec_b64 s[6:7], s[4:5]
	s_cbranch_execz .LBB30_1456
.LBB30_1455:
	v_bfe_u32 v10, v3, 8, 3
	v_ffbh_u32_e32 v12, v10
	v_min_u32_e32 v12, 32, v12
	v_lshrrev_b16_e32 v11, 3, v6
	v_subrev_u32_e32 v13, 28, v12
	v_and_b32_e32 v11, 15, v11
	v_lshlrev_b32_e32 v6, v13, v6
	v_sub_u32_e32 v12, 29, v12
	v_and_b32_e32 v6, 7, v6
	v_cmp_eq_u16_e32 vcc, 0, v11
	v_cndmask_b32_e32 v6, v10, v6, vcc
	v_cndmask_b32_e32 v10, v11, v12, vcc
	v_lshlrev_b32_e32 v11, 16, v3
	v_mov_b32_e32 v12, 0x3b800000
	v_lshlrev_b32_e32 v6, 20, v6
	v_and_b32_e32 v11, 0x80000000, v11
	v_lshl_add_u32 v10, v10, 23, v12
	v_or3_b32 v10, v11, v10, v6
.LBB30_1456:
	s_or_b64 exec, exec, s[6:7]
	s_nop 0
	v_mfma_f32_16x16x4f32 a[0:3], v2, v10, a[0:3]
	s_movk_i32 s4, 0xff
	v_and_b32_sdwa v6, v7, s4 dst_sel:DWORD dst_unused:UNUSED_PAD src0_sel:WORD_1 src1_sel:DWORD
	s_movk_i32 s4, 0x7f
	v_cmp_lt_i16_e32 vcc, s4, v6
	s_mov_b64 s[4:5], 0
                                        ; implicit-def: $sgpr10
	s_and_saveexec_b64 s[6:7], vcc
	s_xor_b64 s[6:7], exec, s[6:7]
	s_cbranch_execnz .LBB30_3505
; %bb.1457:
	s_or_saveexec_b64 s[6:7], s[6:7]
	v_mov_b32_e32 v2, s10
	s_xor_b64 exec, exec, s[6:7]
	s_cbranch_execnz .LBB30_3508
.LBB30_1458:
	s_or_b64 exec, exec, s[6:7]
	s_and_saveexec_b64 s[6:7], s[4:5]
	s_cbranch_execz .LBB30_1460
.LBB30_1459:
	v_bfe_u32 v2, v7, 16, 3
	v_ffbh_u32_e32 v11, v2
	v_min_u32_e32 v11, 32, v11
	v_lshrrev_b32_e32 v6, 19, v7
	v_subrev_u32_e32 v12, 28, v11
	v_and_b32_e32 v6, 15, v6
	v_lshlrev_b32_sdwa v12, v12, v7 dst_sel:DWORD dst_unused:UNUSED_PAD src0_sel:DWORD src1_sel:WORD_1
	v_bfe_u32 v10, v7, 19, 4
	v_sub_u32_e32 v11, 29, v11
	v_and_b32_e32 v12, 7, v12
	v_cmp_eq_u16_e32 vcc, 0, v6
	v_cndmask_b32_e32 v2, v2, v12, vcc
	v_cndmask_b32_e32 v6, v10, v11, vcc
	v_lshlrev_b32_e32 v10, 8, v7
	v_mov_b32_e32 v11, 0x3b800000
	v_lshlrev_b32_e32 v2, 20, v2
	v_and_b32_e32 v10, 0x80000000, v10
	v_lshl_add_u32 v6, v6, 23, v11
	v_or3_b32 v2, v10, v6, v2
.LBB30_1460:
	s_or_b64 exec, exec, s[6:7]
	s_movk_i32 s4, 0xff
	v_and_b32_sdwa v6, v3, s4 dst_sel:DWORD dst_unused:UNUSED_PAD src0_sel:WORD_1 src1_sel:DWORD
	s_movk_i32 s4, 0x7f
	v_cmp_lt_i16_e32 vcc, s4, v6
	s_mov_b64 s[4:5], 0
                                        ; implicit-def: $sgpr10
	s_and_saveexec_b64 s[6:7], vcc
	s_xor_b64 s[6:7], exec, s[6:7]
	s_cbranch_execnz .LBB30_3509
; %bb.1461:
	s_or_saveexec_b64 s[6:7], s[6:7]
	v_mov_b32_e32 v10, s10
	s_xor_b64 exec, exec, s[6:7]
	s_cbranch_execnz .LBB30_3512
.LBB30_1462:
	s_or_b64 exec, exec, s[6:7]
	s_and_saveexec_b64 s[6:7], s[4:5]
	s_cbranch_execz .LBB30_1464
.LBB30_1463:
	v_bfe_u32 v6, v3, 16, 3
	v_ffbh_u32_e32 v12, v6
	v_min_u32_e32 v12, 32, v12
	v_lshrrev_b32_e32 v10, 19, v3
	v_subrev_u32_e32 v13, 28, v12
	v_and_b32_e32 v10, 15, v10
	v_lshlrev_b32_sdwa v13, v13, v3 dst_sel:DWORD dst_unused:UNUSED_PAD src0_sel:DWORD src1_sel:WORD_1
	v_bfe_u32 v11, v3, 19, 4
	v_sub_u32_e32 v12, 29, v12
	v_and_b32_e32 v13, 7, v13
	v_cmp_eq_u16_e32 vcc, 0, v10
	v_cndmask_b32_e32 v6, v6, v13, vcc
	v_cndmask_b32_e32 v10, v11, v12, vcc
	v_lshlrev_b32_e32 v11, 8, v3
	v_mov_b32_e32 v12, 0x3b800000
	v_lshlrev_b32_e32 v6, 20, v6
	v_and_b32_e32 v11, 0x80000000, v11
	v_lshl_add_u32 v10, v10, 23, v12
	v_or3_b32 v10, v11, v10, v6
.LBB30_1464:
	s_or_b64 exec, exec, s[6:7]
	s_nop 0
	v_mfma_f32_16x16x4f32 a[0:3], v2, v10, a[0:3]
	s_movk_i32 s4, 0x7f
	v_cmp_gt_i16_sdwa s[6:7], v7, s4 src0_sel:BYTE_3 src1_sel:DWORD
	s_mov_b64 s[4:5], 0
                                        ; implicit-def: $sgpr10
	s_and_saveexec_b64 s[8:9], s[6:7]
	s_xor_b64 s[6:7], exec, s[8:9]
	s_cbranch_execnz .LBB30_3513
; %bb.1465:
	s_or_saveexec_b64 s[6:7], s[6:7]
	v_mov_b32_e32 v2, s10
	s_xor_b64 exec, exec, s[6:7]
	s_cbranch_execnz .LBB30_3516
.LBB30_1466:
	s_or_b64 exec, exec, s[6:7]
	s_and_saveexec_b64 s[6:7], s[4:5]
	s_cbranch_execz .LBB30_1468
.LBB30_1467:
	v_bfe_u32 v2, v7, 24, 3
	v_ffbh_u32_e32 v12, v2
	v_min_u32_e32 v12, 32, v12
	v_lshrrev_b32_e32 v10, 27, v7
	v_subrev_u32_e32 v13, 28, v12
	v_and_b32_e32 v6, 0x80000000, v7
	v_and_b32_e32 v10, 15, v10
	v_bfe_u32 v11, v7, 27, 4
	v_lshlrev_b32_sdwa v7, v13, v7 dst_sel:DWORD dst_unused:UNUSED_PAD src0_sel:DWORD src1_sel:BYTE_3
	v_sub_u32_e32 v12, 29, v12
	v_and_b32_e32 v7, 7, v7
	v_cmp_eq_u16_e32 vcc, 0, v10
	v_cndmask_b32_e32 v2, v2, v7, vcc
	v_cndmask_b32_e32 v7, v11, v12, vcc
	v_mov_b32_e32 v10, 0x3b800000
	v_lshlrev_b32_e32 v2, 20, v2
	v_lshl_add_u32 v7, v7, 23, v10
	v_or3_b32 v2, v6, v7, v2
.LBB30_1468:
	s_or_b64 exec, exec, s[6:7]
	s_movk_i32 s4, 0x7f
	v_cmp_gt_i16_sdwa s[6:7], v3, s4 src0_sel:BYTE_3 src1_sel:DWORD
	s_mov_b64 s[4:5], 0
                                        ; implicit-def: $sgpr10
	s_and_saveexec_b64 s[8:9], s[6:7]
	s_xor_b64 s[6:7], exec, s[8:9]
	s_cbranch_execnz .LBB30_3517
; %bb.1469:
	s_or_saveexec_b64 s[6:7], s[6:7]
	v_mov_b32_e32 v6, s10
	s_xor_b64 exec, exec, s[6:7]
	s_cbranch_execnz .LBB30_3520
.LBB30_1470:
	s_or_b64 exec, exec, s[6:7]
	s_and_saveexec_b64 s[6:7], s[4:5]
	s_cbranch_execz .LBB30_1472
.LBB30_1471:
	v_bfe_u32 v6, v3, 24, 3
	v_ffbh_u32_e32 v12, v6
	v_min_u32_e32 v12, 32, v12
	v_lshrrev_b32_e32 v10, 27, v3
	v_subrev_u32_e32 v13, 28, v12
	v_and_b32_e32 v7, 0x80000000, v3
	v_and_b32_e32 v10, 15, v10
	v_bfe_u32 v11, v3, 27, 4
	v_lshlrev_b32_sdwa v3, v13, v3 dst_sel:DWORD dst_unused:UNUSED_PAD src0_sel:DWORD src1_sel:BYTE_3
	v_sub_u32_e32 v12, 29, v12
	v_and_b32_e32 v3, 7, v3
	v_cmp_eq_u16_e32 vcc, 0, v10
	v_cndmask_b32_e32 v3, v6, v3, vcc
	v_cndmask_b32_e32 v6, v11, v12, vcc
	v_mov_b32_e32 v10, 0x3b800000
	v_lshlrev_b32_e32 v3, 20, v3
	v_lshl_add_u32 v6, v6, 23, v10
	v_or3_b32 v6, v7, v6, v3
.LBB30_1472:
	s_or_b64 exec, exec, s[6:7]
	s_nop 0
	v_mfma_f32_16x16x4f32 a[0:3], v2, v6, a[0:3]
	s_movk_i32 s4, 0x7f
	v_cmp_gt_i16_sdwa s[6:7], v8, s4 src0_sel:BYTE_0 src1_sel:DWORD
	s_mov_b64 s[4:5], 0
                                        ; implicit-def: $sgpr10
	s_and_saveexec_b64 s[8:9], s[6:7]
	s_xor_b64 s[6:7], exec, s[8:9]
	s_cbranch_execnz .LBB30_3521
; %bb.1473:
	s_or_saveexec_b64 s[6:7], s[6:7]
	v_mov_b32_e32 v2, s10
	s_xor_b64 exec, exec, s[6:7]
	s_cbranch_execnz .LBB30_3524
.LBB30_1474:
	s_or_b64 exec, exec, s[6:7]
	s_and_saveexec_b64 s[6:7], s[4:5]
	s_cbranch_execz .LBB30_1476
.LBB30_1475:
	v_and_b32_e32 v2, 7, v8
	v_ffbh_u32_e32 v6, v2
	v_min_u32_e32 v6, 32, v6
	v_lshrrev_b16_e32 v3, 3, v8
	v_subrev_u32_e32 v7, 28, v6
	v_and_b32_e32 v3, 15, v3
	v_lshlrev_b32_e32 v7, v7, v8
	v_sub_u32_e32 v6, 29, v6
	v_and_b32_e32 v7, 7, v7
	v_cmp_eq_u16_e32 vcc, 0, v3
	v_cndmask_b32_e32 v2, v2, v7, vcc
	v_cndmask_b32_e32 v3, v3, v6, vcc
	v_lshlrev_b32_e32 v6, 24, v8
	v_mov_b32_e32 v7, 0x3b800000
	v_lshlrev_b32_e32 v2, 20, v2
	v_and_b32_e32 v6, 0x80000000, v6
	v_lshl_add_u32 v3, v3, 23, v7
	v_or3_b32 v2, v6, v3, v2
.LBB30_1476:
	s_or_b64 exec, exec, s[6:7]
	s_movk_i32 s4, 0x7f
	v_cmp_gt_i16_sdwa s[6:7], v4, s4 src0_sel:BYTE_0 src1_sel:DWORD
	s_mov_b64 s[4:5], 0
                                        ; implicit-def: $sgpr10
	s_and_saveexec_b64 s[8:9], s[6:7]
	s_xor_b64 s[6:7], exec, s[8:9]
	s_cbranch_execnz .LBB30_3525
; %bb.1477:
	s_or_saveexec_b64 s[6:7], s[6:7]
	v_mov_b32_e32 v3, s10
	s_xor_b64 exec, exec, s[6:7]
	s_cbranch_execnz .LBB30_3528
.LBB30_1478:
	s_or_b64 exec, exec, s[6:7]
	s_and_saveexec_b64 s[6:7], s[4:5]
	s_cbranch_execz .LBB30_1480
.LBB30_1479:
	v_and_b32_e32 v3, 7, v4
	v_ffbh_u32_e32 v7, v3
	v_min_u32_e32 v7, 32, v7
	v_lshrrev_b16_e32 v6, 3, v4
	v_subrev_u32_e32 v10, 28, v7
	v_and_b32_e32 v6, 15, v6
	v_lshlrev_b32_e32 v10, v10, v4
	v_sub_u32_e32 v7, 29, v7
	v_and_b32_e32 v10, 7, v10
	v_cmp_eq_u16_e32 vcc, 0, v6
	v_cndmask_b32_e32 v3, v3, v10, vcc
	v_cndmask_b32_e32 v6, v6, v7, vcc
	v_lshlrev_b32_e32 v7, 24, v4
	v_mov_b32_e32 v10, 0x3b800000
	v_lshlrev_b32_e32 v3, 20, v3
	v_and_b32_e32 v7, 0x80000000, v7
	v_lshl_add_u32 v6, v6, 23, v10
	v_or3_b32 v3, v7, v6, v3
.LBB30_1480:
	s_or_b64 exec, exec, s[6:7]
	s_nop 0
	v_mfma_f32_16x16x4f32 a[0:3], v2, v3, a[0:3]
	v_lshrrev_b32_e32 v3, 8, v8
	s_movk_i32 s4, 0x7f
	v_cmp_gt_i16_sdwa s[6:7], v3, s4 src0_sel:BYTE_0 src1_sel:DWORD
	s_mov_b64 s[4:5], 0
                                        ; implicit-def: $sgpr10
	s_and_saveexec_b64 s[8:9], s[6:7]
	s_xor_b64 s[6:7], exec, s[8:9]
	s_cbranch_execnz .LBB30_3529
; %bb.1481:
	s_or_saveexec_b64 s[6:7], s[6:7]
	v_mov_b32_e32 v2, s10
	s_xor_b64 exec, exec, s[6:7]
	s_cbranch_execnz .LBB30_3532
.LBB30_1482:
	s_or_b64 exec, exec, s[6:7]
	s_and_saveexec_b64 s[6:7], s[4:5]
	s_cbranch_execz .LBB30_1484
.LBB30_1483:
	v_bfe_u32 v2, v8, 8, 3
	v_ffbh_u32_e32 v7, v2
	v_min_u32_e32 v7, 32, v7
	v_lshrrev_b16_e32 v6, 3, v3
	v_subrev_u32_e32 v10, 28, v7
	v_and_b32_e32 v6, 15, v6
	v_lshlrev_b32_e32 v3, v10, v3
	v_sub_u32_e32 v7, 29, v7
	v_and_b32_e32 v3, 7, v3
	v_cmp_eq_u16_e32 vcc, 0, v6
	v_cndmask_b32_e32 v2, v2, v3, vcc
	v_cndmask_b32_e32 v3, v6, v7, vcc
	v_lshlrev_b32_e32 v6, 16, v8
	v_mov_b32_e32 v7, 0x3b800000
	v_lshlrev_b32_e32 v2, 20, v2
	v_and_b32_e32 v6, 0x80000000, v6
	v_lshl_add_u32 v3, v3, 23, v7
	v_or3_b32 v2, v6, v3, v2
.LBB30_1484:
	s_or_b64 exec, exec, s[6:7]
	v_lshrrev_b32_e32 v3, 8, v4
	s_movk_i32 s4, 0x7f
	v_cmp_gt_i16_sdwa s[6:7], v3, s4 src0_sel:BYTE_0 src1_sel:DWORD
	s_mov_b64 s[4:5], 0
                                        ; implicit-def: $sgpr10
	s_and_saveexec_b64 s[8:9], s[6:7]
	s_xor_b64 s[6:7], exec, s[8:9]
	s_cbranch_execnz .LBB30_3533
; %bb.1485:
	s_or_saveexec_b64 s[6:7], s[6:7]
	v_mov_b32_e32 v6, s10
	s_xor_b64 exec, exec, s[6:7]
	s_cbranch_execnz .LBB30_3536
.LBB30_1486:
	s_or_b64 exec, exec, s[6:7]
	s_and_saveexec_b64 s[6:7], s[4:5]
	s_cbranch_execz .LBB30_1488
.LBB30_1487:
	v_bfe_u32 v6, v4, 8, 3
	v_ffbh_u32_e32 v10, v6
	v_min_u32_e32 v10, 32, v10
	v_lshrrev_b16_e32 v7, 3, v3
	v_subrev_u32_e32 v11, 28, v10
	v_and_b32_e32 v7, 15, v7
	v_lshlrev_b32_e32 v3, v11, v3
	v_sub_u32_e32 v10, 29, v10
	v_and_b32_e32 v3, 7, v3
	v_cmp_eq_u16_e32 vcc, 0, v7
	v_cndmask_b32_e32 v3, v6, v3, vcc
	v_cndmask_b32_e32 v6, v7, v10, vcc
	v_lshlrev_b32_e32 v7, 16, v4
	v_mov_b32_e32 v10, 0x3b800000
	v_lshlrev_b32_e32 v3, 20, v3
	v_and_b32_e32 v7, 0x80000000, v7
	v_lshl_add_u32 v6, v6, 23, v10
	v_or3_b32 v6, v7, v6, v3
.LBB30_1488:
	s_or_b64 exec, exec, s[6:7]
	s_nop 0
	v_mfma_f32_16x16x4f32 a[0:3], v2, v6, a[0:3]
	s_movk_i32 s4, 0xff
	v_and_b32_sdwa v3, v8, s4 dst_sel:DWORD dst_unused:UNUSED_PAD src0_sel:WORD_1 src1_sel:DWORD
	s_movk_i32 s4, 0x7f
	v_cmp_lt_i16_e32 vcc, s4, v3
	s_mov_b64 s[4:5], 0
                                        ; implicit-def: $sgpr10
	s_and_saveexec_b64 s[6:7], vcc
	s_xor_b64 s[6:7], exec, s[6:7]
	s_cbranch_execnz .LBB30_3537
; %bb.1489:
	s_or_saveexec_b64 s[6:7], s[6:7]
	v_mov_b32_e32 v2, s10
	s_xor_b64 exec, exec, s[6:7]
	s_cbranch_execnz .LBB30_3540
.LBB30_1490:
	s_or_b64 exec, exec, s[6:7]
	s_and_saveexec_b64 s[6:7], s[4:5]
	s_cbranch_execz .LBB30_1492
.LBB30_1491:
	v_bfe_u32 v2, v8, 16, 3
	v_ffbh_u32_e32 v7, v2
	v_min_u32_e32 v7, 32, v7
	v_lshrrev_b32_e32 v3, 19, v8
	v_subrev_u32_e32 v10, 28, v7
	v_and_b32_e32 v3, 15, v3
	v_lshlrev_b32_sdwa v10, v10, v8 dst_sel:DWORD dst_unused:UNUSED_PAD src0_sel:DWORD src1_sel:WORD_1
	v_bfe_u32 v6, v8, 19, 4
	v_sub_u32_e32 v7, 29, v7
	v_and_b32_e32 v10, 7, v10
	v_cmp_eq_u16_e32 vcc, 0, v3
	v_cndmask_b32_e32 v2, v2, v10, vcc
	v_cndmask_b32_e32 v3, v6, v7, vcc
	v_lshlrev_b32_e32 v6, 8, v8
	v_mov_b32_e32 v7, 0x3b800000
	v_lshlrev_b32_e32 v2, 20, v2
	v_and_b32_e32 v6, 0x80000000, v6
	v_lshl_add_u32 v3, v3, 23, v7
	v_or3_b32 v2, v6, v3, v2
.LBB30_1492:
	s_or_b64 exec, exec, s[6:7]
	s_movk_i32 s4, 0xff
	v_and_b32_sdwa v3, v4, s4 dst_sel:DWORD dst_unused:UNUSED_PAD src0_sel:WORD_1 src1_sel:DWORD
	s_movk_i32 s4, 0x7f
	v_cmp_lt_i16_e32 vcc, s4, v3
	s_mov_b64 s[4:5], 0
                                        ; implicit-def: $sgpr10
	s_and_saveexec_b64 s[6:7], vcc
	s_xor_b64 s[6:7], exec, s[6:7]
	s_cbranch_execnz .LBB30_3541
; %bb.1493:
	s_or_saveexec_b64 s[6:7], s[6:7]
	v_mov_b32_e32 v6, s10
	s_xor_b64 exec, exec, s[6:7]
	s_cbranch_execnz .LBB30_3544
.LBB30_1494:
	s_or_b64 exec, exec, s[6:7]
	s_and_saveexec_b64 s[6:7], s[4:5]
	s_cbranch_execz .LBB30_1496
.LBB30_1495:
	v_bfe_u32 v3, v4, 16, 3
	v_ffbh_u32_e32 v10, v3
	v_min_u32_e32 v10, 32, v10
	v_lshrrev_b32_e32 v6, 19, v4
	v_subrev_u32_e32 v11, 28, v10
	v_and_b32_e32 v6, 15, v6
	v_lshlrev_b32_sdwa v11, v11, v4 dst_sel:DWORD dst_unused:UNUSED_PAD src0_sel:DWORD src1_sel:WORD_1
	v_bfe_u32 v7, v4, 19, 4
	v_sub_u32_e32 v10, 29, v10
	v_and_b32_e32 v11, 7, v11
	v_cmp_eq_u16_e32 vcc, 0, v6
	v_cndmask_b32_e32 v3, v3, v11, vcc
	v_cndmask_b32_e32 v6, v7, v10, vcc
	v_lshlrev_b32_e32 v7, 8, v4
	v_mov_b32_e32 v10, 0x3b800000
	v_lshlrev_b32_e32 v3, 20, v3
	v_and_b32_e32 v7, 0x80000000, v7
	v_lshl_add_u32 v6, v6, 23, v10
	v_or3_b32 v6, v7, v6, v3
.LBB30_1496:
	s_or_b64 exec, exec, s[6:7]
	s_nop 0
	v_mfma_f32_16x16x4f32 a[0:3], v2, v6, a[0:3]
	s_movk_i32 s4, 0x7f
	v_cmp_gt_i16_sdwa s[6:7], v8, s4 src0_sel:BYTE_3 src1_sel:DWORD
	s_mov_b64 s[4:5], 0
                                        ; implicit-def: $sgpr10
	s_and_saveexec_b64 s[8:9], s[6:7]
	s_xor_b64 s[6:7], exec, s[8:9]
	s_cbranch_execnz .LBB30_3545
; %bb.1497:
	s_or_saveexec_b64 s[6:7], s[6:7]
	v_mov_b32_e32 v2, s10
	s_xor_b64 exec, exec, s[6:7]
	s_cbranch_execnz .LBB30_3548
.LBB30_1498:
	s_or_b64 exec, exec, s[6:7]
	s_and_saveexec_b64 s[6:7], s[4:5]
	s_cbranch_execz .LBB30_1500
.LBB30_1499:
	v_bfe_u32 v2, v8, 24, 3
	v_ffbh_u32_e32 v10, v2
	v_min_u32_e32 v10, 32, v10
	v_lshrrev_b32_e32 v6, 27, v8
	v_subrev_u32_e32 v11, 28, v10
	v_and_b32_e32 v3, 0x80000000, v8
	v_and_b32_e32 v6, 15, v6
	v_bfe_u32 v7, v8, 27, 4
	v_lshlrev_b32_sdwa v8, v11, v8 dst_sel:DWORD dst_unused:UNUSED_PAD src0_sel:DWORD src1_sel:BYTE_3
	v_sub_u32_e32 v10, 29, v10
	v_and_b32_e32 v8, 7, v8
	v_cmp_eq_u16_e32 vcc, 0, v6
	v_cndmask_b32_e32 v2, v2, v8, vcc
	v_cndmask_b32_e32 v6, v7, v10, vcc
	v_mov_b32_e32 v7, 0x3b800000
	v_lshlrev_b32_e32 v2, 20, v2
	v_lshl_add_u32 v6, v6, 23, v7
	v_or3_b32 v2, v3, v6, v2
.LBB30_1500:
	s_or_b64 exec, exec, s[6:7]
	s_movk_i32 s4, 0x7f
	v_cmp_gt_i16_sdwa s[6:7], v4, s4 src0_sel:BYTE_3 src1_sel:DWORD
	s_mov_b64 s[4:5], 0
                                        ; implicit-def: $sgpr10
	s_and_saveexec_b64 s[8:9], s[6:7]
	s_xor_b64 s[6:7], exec, s[8:9]
	s_cbranch_execnz .LBB30_3549
; %bb.1501:
	s_or_saveexec_b64 s[6:7], s[6:7]
	v_mov_b32_e32 v3, s10
	s_xor_b64 exec, exec, s[6:7]
	s_cbranch_execnz .LBB30_3552
.LBB30_1502:
	s_or_b64 exec, exec, s[6:7]
	s_and_saveexec_b64 s[6:7], s[4:5]
	s_cbranch_execz .LBB30_1504
.LBB30_1503:
	v_bfe_u32 v3, v4, 24, 3
	v_ffbh_u32_e32 v10, v3
	v_min_u32_e32 v10, 32, v10
	v_lshrrev_b32_e32 v7, 27, v4
	v_subrev_u32_e32 v11, 28, v10
	v_and_b32_e32 v6, 0x80000000, v4
	v_and_b32_e32 v7, 15, v7
	v_bfe_u32 v8, v4, 27, 4
	v_lshlrev_b32_sdwa v4, v11, v4 dst_sel:DWORD dst_unused:UNUSED_PAD src0_sel:DWORD src1_sel:BYTE_3
	v_sub_u32_e32 v10, 29, v10
	v_and_b32_e32 v4, 7, v4
	v_cmp_eq_u16_e32 vcc, 0, v7
	v_cndmask_b32_e32 v3, v3, v4, vcc
	v_cndmask_b32_e32 v4, v8, v10, vcc
	v_mov_b32_e32 v7, 0x3b800000
	v_lshlrev_b32_e32 v3, 20, v3
	v_lshl_add_u32 v4, v4, 23, v7
	v_or3_b32 v3, v6, v4, v3
.LBB30_1504:
	s_or_b64 exec, exec, s[6:7]
	s_nop 0
	v_mfma_f32_16x16x4f32 a[0:3], v2, v3, a[0:3]
	s_movk_i32 s4, 0x7f
	v_cmp_gt_i16_sdwa s[6:7], v9, s4 src0_sel:BYTE_0 src1_sel:DWORD
	s_mov_b64 s[4:5], 0
                                        ; implicit-def: $sgpr10
	s_and_saveexec_b64 s[8:9], s[6:7]
	s_xor_b64 s[6:7], exec, s[8:9]
	s_cbranch_execnz .LBB30_3553
; %bb.1505:
	s_or_saveexec_b64 s[6:7], s[6:7]
	v_mov_b32_e32 v2, s10
	s_xor_b64 exec, exec, s[6:7]
	s_cbranch_execnz .LBB30_3556
.LBB30_1506:
	s_or_b64 exec, exec, s[6:7]
	s_and_saveexec_b64 s[6:7], s[4:5]
	s_cbranch_execz .LBB30_1508
.LBB30_1507:
	v_mov_b32_e32 v2, 8
	v_and_b32_e32 v3, 7, v9
	v_lshrrev_b32_sdwa v2, v2, v9 dst_sel:BYTE_1 dst_unused:UNUSED_PAD src0_sel:DWORD src1_sel:DWORD
	v_ffbh_u32_e32 v4, v3
	v_or_b32_sdwa v2, v9, v2 dst_sel:DWORD dst_unused:UNUSED_PAD src0_sel:BYTE_0 src1_sel:DWORD
	v_min_u32_e32 v4, 32, v4
	v_lshrrev_b16_e32 v2, 3, v2
	v_subrev_u32_e32 v6, 28, v4
	v_and_b32_e32 v2, 15, v2
	v_lshlrev_b32_e32 v6, v6, v9
	v_sub_u32_e32 v4, 29, v4
	v_and_b32_e32 v6, 7, v6
	v_cmp_eq_u16_e32 vcc, 0, v2
	v_cndmask_b32_e32 v3, v3, v6, vcc
	v_cndmask_b32_e32 v2, v2, v4, vcc
	v_lshlrev_b32_e32 v4, 24, v9
	v_mov_b32_e32 v6, 0x3b800000
	v_lshlrev_b32_e32 v3, 20, v3
	v_and_b32_e32 v4, 0x80000000, v4
	v_lshl_add_u32 v2, v2, 23, v6
	v_or3_b32 v2, v4, v2, v3
.LBB30_1508:
	s_or_b64 exec, exec, s[6:7]
	s_movk_i32 s4, 0x7f
	v_cmp_gt_i16_sdwa s[6:7], v5, s4 src0_sel:BYTE_0 src1_sel:DWORD
	s_mov_b64 s[4:5], 0
                                        ; implicit-def: $sgpr10
	s_and_saveexec_b64 s[8:9], s[6:7]
	s_xor_b64 s[6:7], exec, s[8:9]
	s_cbranch_execnz .LBB30_3557
; %bb.1509:
	s_or_saveexec_b64 s[6:7], s[6:7]
	v_mov_b32_e32 v3, s10
	s_xor_b64 exec, exec, s[6:7]
	s_cbranch_execnz .LBB30_3560
.LBB30_1510:
	s_or_b64 exec, exec, s[6:7]
	s_and_saveexec_b64 s[6:7], s[4:5]
	s_cbranch_execz .LBB30_1512
.LBB30_1511:
	v_mov_b32_e32 v3, 8
	v_and_b32_e32 v4, 7, v5
	v_lshrrev_b32_sdwa v3, v3, v5 dst_sel:BYTE_1 dst_unused:UNUSED_PAD src0_sel:DWORD src1_sel:DWORD
	v_ffbh_u32_e32 v6, v4
	v_or_b32_sdwa v3, v5, v3 dst_sel:DWORD dst_unused:UNUSED_PAD src0_sel:BYTE_0 src1_sel:DWORD
	v_min_u32_e32 v6, 32, v6
	v_lshrrev_b16_e32 v3, 3, v3
	v_subrev_u32_e32 v7, 28, v6
	v_and_b32_e32 v3, 15, v3
	v_lshlrev_b32_e32 v7, v7, v5
	v_sub_u32_e32 v6, 29, v6
	v_and_b32_e32 v7, 7, v7
	v_cmp_eq_u16_e32 vcc, 0, v3
	v_cndmask_b32_e32 v4, v4, v7, vcc
	v_cndmask_b32_e32 v3, v3, v6, vcc
	v_lshlrev_b32_e32 v6, 24, v5
	v_mov_b32_e32 v7, 0x3b800000
	v_lshlrev_b32_e32 v4, 20, v4
	v_and_b32_e32 v6, 0x80000000, v6
	v_lshl_add_u32 v3, v3, 23, v7
	v_or3_b32 v3, v6, v3, v4
.LBB30_1512:
	s_or_b64 exec, exec, s[6:7]
	s_nop 0
	v_mfma_f32_16x16x4f32 a[0:3], v2, v3, a[0:3]
	v_lshrrev_b32_e32 v3, 8, v9
	s_movk_i32 s4, 0x7f
	v_cmp_gt_i16_sdwa s[6:7], v3, s4 src0_sel:BYTE_0 src1_sel:DWORD
	s_mov_b64 s[4:5], 0
                                        ; implicit-def: $sgpr10
	s_and_saveexec_b64 s[8:9], s[6:7]
	s_xor_b64 s[6:7], exec, s[8:9]
	s_cbranch_execnz .LBB30_3561
; %bb.1513:
	s_or_saveexec_b64 s[6:7], s[6:7]
	v_mov_b32_e32 v2, s10
	s_xor_b64 exec, exec, s[6:7]
	s_cbranch_execnz .LBB30_3564
.LBB30_1514:
	s_or_b64 exec, exec, s[6:7]
	s_and_saveexec_b64 s[6:7], s[4:5]
	s_cbranch_execz .LBB30_1516
.LBB30_1515:
	v_bfe_u32 v2, v9, 8, 3
	v_ffbh_u32_e32 v6, v2
	v_min_u32_e32 v6, 32, v6
	v_lshrrev_b16_e32 v4, 3, v3
	v_subrev_u32_e32 v7, 28, v6
	v_and_b32_e32 v4, 15, v4
	v_lshlrev_b32_e32 v3, v7, v3
	v_sub_u32_e32 v6, 29, v6
	v_and_b32_e32 v3, 7, v3
	v_cmp_eq_u16_e32 vcc, 0, v4
	v_cndmask_b32_e32 v2, v2, v3, vcc
	v_cndmask_b32_e32 v3, v4, v6, vcc
	v_lshlrev_b32_e32 v4, 16, v9
	v_mov_b32_e32 v6, 0x3b800000
	v_lshlrev_b32_e32 v2, 20, v2
	v_and_b32_e32 v4, 0x80000000, v4
	v_lshl_add_u32 v3, v3, 23, v6
	v_or3_b32 v2, v4, v3, v2
.LBB30_1516:
	s_or_b64 exec, exec, s[6:7]
	v_lshrrev_b32_e32 v3, 8, v5
	s_movk_i32 s4, 0x7f
	v_cmp_gt_i16_sdwa s[6:7], v3, s4 src0_sel:BYTE_0 src1_sel:DWORD
	s_mov_b64 s[4:5], 0
                                        ; implicit-def: $sgpr10
	s_and_saveexec_b64 s[8:9], s[6:7]
	s_xor_b64 s[6:7], exec, s[8:9]
	s_cbranch_execnz .LBB30_3565
; %bb.1517:
	s_or_saveexec_b64 s[6:7], s[6:7]
	v_mov_b32_e32 v4, s10
	s_xor_b64 exec, exec, s[6:7]
	s_cbranch_execnz .LBB30_3568
.LBB30_1518:
	s_or_b64 exec, exec, s[6:7]
	s_and_saveexec_b64 s[6:7], s[4:5]
	s_cbranch_execz .LBB30_1520
.LBB30_1519:
	v_bfe_u32 v4, v5, 8, 3
	v_ffbh_u32_e32 v7, v4
	v_min_u32_e32 v7, 32, v7
	v_lshrrev_b16_e32 v6, 3, v3
	v_subrev_u32_e32 v8, 28, v7
	v_and_b32_e32 v6, 15, v6
	v_lshlrev_b32_e32 v3, v8, v3
	v_sub_u32_e32 v7, 29, v7
	v_and_b32_e32 v3, 7, v3
	v_cmp_eq_u16_e32 vcc, 0, v6
	v_cndmask_b32_e32 v3, v4, v3, vcc
	v_cndmask_b32_e32 v4, v6, v7, vcc
	v_lshlrev_b32_e32 v6, 16, v5
	v_mov_b32_e32 v7, 0x3b800000
	v_lshlrev_b32_e32 v3, 20, v3
	v_and_b32_e32 v6, 0x80000000, v6
	v_lshl_add_u32 v4, v4, 23, v7
	v_or3_b32 v4, v6, v4, v3
.LBB30_1520:
	s_or_b64 exec, exec, s[6:7]
	s_nop 0
	v_mfma_f32_16x16x4f32 a[0:3], v2, v4, a[0:3]
	s_movk_i32 s4, 0xff
	v_and_b32_sdwa v3, v9, s4 dst_sel:DWORD dst_unused:UNUSED_PAD src0_sel:WORD_1 src1_sel:DWORD
	s_movk_i32 s4, 0x7f
	v_cmp_lt_i16_e32 vcc, s4, v3
	s_mov_b64 s[4:5], 0
                                        ; implicit-def: $sgpr10
	s_and_saveexec_b64 s[6:7], vcc
	s_xor_b64 s[6:7], exec, s[6:7]
	s_cbranch_execnz .LBB30_3569
; %bb.1521:
	s_or_saveexec_b64 s[6:7], s[6:7]
	v_mov_b32_e32 v2, s10
	s_xor_b64 exec, exec, s[6:7]
	s_cbranch_execnz .LBB30_3572
.LBB30_1522:
	s_or_b64 exec, exec, s[6:7]
	s_and_saveexec_b64 s[6:7], s[4:5]
	s_cbranch_execz .LBB30_1524
.LBB30_1523:
	v_bfe_u32 v2, v9, 16, 3
	v_ffbh_u32_e32 v6, v2
	v_min_u32_e32 v6, 32, v6
	v_lshrrev_b32_e32 v3, 19, v9
	v_subrev_u32_e32 v7, 28, v6
	v_and_b32_e32 v3, 15, v3
	v_lshlrev_b32_sdwa v7, v7, v9 dst_sel:DWORD dst_unused:UNUSED_PAD src0_sel:DWORD src1_sel:WORD_1
	v_bfe_u32 v4, v9, 19, 4
	v_sub_u32_e32 v6, 29, v6
	v_and_b32_e32 v7, 7, v7
	v_cmp_eq_u16_e32 vcc, 0, v3
	v_cndmask_b32_e32 v2, v2, v7, vcc
	v_cndmask_b32_e32 v3, v4, v6, vcc
	v_lshlrev_b32_e32 v4, 8, v9
	v_mov_b32_e32 v6, 0x3b800000
	v_lshlrev_b32_e32 v2, 20, v2
	v_and_b32_e32 v4, 0x80000000, v4
	v_lshl_add_u32 v3, v3, 23, v6
	v_or3_b32 v2, v4, v3, v2
.LBB30_1524:
	s_or_b64 exec, exec, s[6:7]
	s_movk_i32 s4, 0xff
	v_and_b32_sdwa v3, v5, s4 dst_sel:DWORD dst_unused:UNUSED_PAD src0_sel:WORD_1 src1_sel:DWORD
	s_movk_i32 s4, 0x7f
	v_cmp_lt_i16_e32 vcc, s4, v3
	s_mov_b64 s[4:5], 0
                                        ; implicit-def: $sgpr10
	s_and_saveexec_b64 s[6:7], vcc
	s_xor_b64 s[6:7], exec, s[6:7]
	s_cbranch_execnz .LBB30_3573
; %bb.1525:
	s_or_saveexec_b64 s[6:7], s[6:7]
	v_mov_b32_e32 v4, s10
	s_xor_b64 exec, exec, s[6:7]
	s_cbranch_execnz .LBB30_3576
.LBB30_1526:
	s_or_b64 exec, exec, s[6:7]
	s_and_saveexec_b64 s[6:7], s[4:5]
	s_cbranch_execz .LBB30_1528
.LBB30_1527:
	v_bfe_u32 v3, v5, 16, 3
	v_ffbh_u32_e32 v7, v3
	v_min_u32_e32 v7, 32, v7
	v_lshrrev_b32_e32 v4, 19, v5
	v_subrev_u32_e32 v8, 28, v7
	v_and_b32_e32 v4, 15, v4
	v_lshlrev_b32_sdwa v8, v8, v5 dst_sel:DWORD dst_unused:UNUSED_PAD src0_sel:DWORD src1_sel:WORD_1
	v_bfe_u32 v6, v5, 19, 4
	v_sub_u32_e32 v7, 29, v7
	v_and_b32_e32 v8, 7, v8
	v_cmp_eq_u16_e32 vcc, 0, v4
	v_cndmask_b32_e32 v3, v3, v8, vcc
	v_cndmask_b32_e32 v4, v6, v7, vcc
	v_lshlrev_b32_e32 v6, 8, v5
	v_mov_b32_e32 v7, 0x3b800000
	v_lshlrev_b32_e32 v3, 20, v3
	v_and_b32_e32 v6, 0x80000000, v6
	v_lshl_add_u32 v4, v4, 23, v7
	v_or3_b32 v4, v6, v4, v3
.LBB30_1528:
	s_or_b64 exec, exec, s[6:7]
	s_nop 0
	v_mfma_f32_16x16x4f32 a[0:3], v2, v4, a[0:3]
	s_movk_i32 s4, 0x7f
	v_cmp_gt_i16_sdwa s[6:7], v9, s4 src0_sel:BYTE_3 src1_sel:DWORD
	s_mov_b64 s[4:5], 0
                                        ; implicit-def: $sgpr10
	s_and_saveexec_b64 s[8:9], s[6:7]
	s_xor_b64 s[6:7], exec, s[8:9]
	s_cbranch_execnz .LBB30_3577
; %bb.1529:
	s_or_saveexec_b64 s[6:7], s[6:7]
	v_mov_b32_e32 v2, s10
	s_xor_b64 exec, exec, s[6:7]
	s_cbranch_execnz .LBB30_3580
.LBB30_1530:
	s_or_b64 exec, exec, s[6:7]
	s_and_saveexec_b64 s[6:7], s[4:5]
	s_cbranch_execz .LBB30_1532
.LBB30_1531:
	v_bfe_u32 v2, v9, 24, 3
	v_ffbh_u32_e32 v7, v2
	v_min_u32_e32 v7, 32, v7
	v_lshrrev_b32_e32 v4, 27, v9
	v_subrev_u32_e32 v8, 28, v7
	v_and_b32_e32 v4, 15, v4
	v_lshlrev_b32_sdwa v8, v8, v9 dst_sel:DWORD dst_unused:UNUSED_PAD src0_sel:DWORD src1_sel:BYTE_3
	v_bfe_u32 v6, v9, 27, 4
	v_sub_u32_e32 v7, 29, v7
	v_and_b32_e32 v8, 7, v8
	v_cmp_eq_u16_e32 vcc, 0, v4
	v_cndmask_b32_e32 v2, v2, v8, vcc
	v_cndmask_b32_e32 v4, v6, v7, vcc
	v_mov_b32_e32 v6, 0x3b800000
	v_and_b32_e32 v3, 0x80000000, v9
	v_lshlrev_b32_e32 v2, 20, v2
	v_lshl_add_u32 v4, v4, 23, v6
	v_or3_b32 v2, v3, v4, v2
.LBB30_1532:
	s_or_b64 exec, exec, s[6:7]
	s_movk_i32 s4, 0x7f
	v_cmp_gt_i16_sdwa s[6:7], v5, s4 src0_sel:BYTE_3 src1_sel:DWORD
	s_mov_b64 s[4:5], 0
                                        ; implicit-def: $sgpr10
	s_and_saveexec_b64 s[8:9], s[6:7]
	s_xor_b64 s[6:7], exec, s[8:9]
	s_cbranch_execnz .LBB30_3581
; %bb.1533:
	s_or_saveexec_b64 s[6:7], s[6:7]
	v_mov_b32_e32 v3, s10
	s_xor_b64 exec, exec, s[6:7]
	s_cbranch_execnz .LBB30_3584
.LBB30_1534:
	s_or_b64 exec, exec, s[6:7]
	s_and_saveexec_b64 s[6:7], s[4:5]
	s_cbranch_execz .LBB30_1536
.LBB30_1535:
	v_bfe_u32 v3, v5, 24, 3
	v_ffbh_u32_e32 v8, v3
	v_min_u32_e32 v8, 32, v8
	v_lshrrev_b32_e32 v6, 27, v5
	v_subrev_u32_e32 v9, 28, v8
	v_and_b32_e32 v4, 0x80000000, v5
	v_and_b32_e32 v6, 15, v6
	v_bfe_u32 v7, v5, 27, 4
	v_lshlrev_b32_sdwa v5, v9, v5 dst_sel:DWORD dst_unused:UNUSED_PAD src0_sel:DWORD src1_sel:BYTE_3
	v_sub_u32_e32 v8, 29, v8
	v_and_b32_e32 v5, 7, v5
	v_cmp_eq_u16_e32 vcc, 0, v6
	v_cndmask_b32_e32 v3, v3, v5, vcc
	v_cndmask_b32_e32 v5, v7, v8, vcc
	v_mov_b32_e32 v6, 0x3b800000
	v_lshlrev_b32_e32 v3, 20, v3
	v_lshl_add_u32 v5, v5, 23, v6
	v_or3_b32 v3, v4, v5, v3
.LBB30_1536:
	s_or_b64 exec, exec, s[6:7]
	s_nop 0
	v_mfma_f32_16x16x4f32 a[0:3], v2, v3, a[0:3]
	s_movk_i32 s4, 0x7f
                                        ; implicit-def: $sgpr10
	s_nop 7
	s_nop 1
	flat_store_dwordx4 v[18:19], a[0:3] offset:336
	flat_load_dwordx4 v[20:23], v[0:1] offset:16
	s_nop 0
	flat_load_dwordx2 v[18:19], v[0:1] offset:32
	s_waitcnt vmcnt(0) lgkmcnt(0)
	flat_load_dwordx4 v[14:17], v[20:21]
	flat_load_dwordx4 v[6:9], v[20:21] offset:16
	flat_load_dwordx4 v[10:13], v[22:23] offset:192
	flat_load_dwordx4 v[2:5], v[22:23] offset:208
	s_waitcnt vmcnt(0) lgkmcnt(0)
	v_cmp_gt_i16_sdwa s[6:7], v14, s4 src0_sel:BYTE_0 src1_sel:DWORD
	s_mov_b64 s[4:5], 0
	s_and_saveexec_b64 s[8:9], s[6:7]
	s_xor_b64 s[6:7], exec, s[8:9]
	s_cbranch_execnz .LBB30_3585
; %bb.1537:
	s_or_saveexec_b64 s[6:7], s[6:7]
	v_mov_b32_e32 v20, s10
	s_xor_b64 exec, exec, s[6:7]
	s_cbranch_execnz .LBB30_3588
.LBB30_1538:
	s_or_b64 exec, exec, s[6:7]
	s_and_saveexec_b64 s[6:7], s[4:5]
	s_cbranch_execz .LBB30_1540
.LBB30_1539:
	v_and_b32_e32 v20, 7, v14
	v_ffbh_u32_e32 v22, v20
	v_min_u32_e32 v22, 32, v22
	v_lshrrev_b16_e32 v21, 3, v14
	v_subrev_u32_e32 v23, 28, v22
	v_and_b32_e32 v21, 15, v21
	v_lshlrev_b32_e32 v23, v23, v14
	v_sub_u32_e32 v22, 29, v22
	v_and_b32_e32 v23, 7, v23
	v_cmp_eq_u16_e32 vcc, 0, v21
	v_cndmask_b32_e32 v20, v20, v23, vcc
	v_cndmask_b32_e32 v21, v21, v22, vcc
	v_lshlrev_b32_e32 v22, 24, v14
	v_mov_b32_e32 v23, 0x3b800000
	v_lshlrev_b32_e32 v20, 20, v20
	v_and_b32_e32 v22, 0x80000000, v22
	v_lshl_add_u32 v21, v21, 23, v23
	v_or3_b32 v20, v22, v21, v20
.LBB30_1540:
	s_or_b64 exec, exec, s[6:7]
	s_movk_i32 s4, 0x7f
	v_cmp_gt_i16_sdwa s[6:7], v10, s4 src0_sel:BYTE_0 src1_sel:DWORD
	s_mov_b64 s[4:5], 0
                                        ; implicit-def: $sgpr10
	s_and_saveexec_b64 s[8:9], s[6:7]
	s_xor_b64 s[6:7], exec, s[8:9]
	s_cbranch_execnz .LBB30_3589
; %bb.1541:
	s_or_saveexec_b64 s[6:7], s[6:7]
	v_mov_b32_e32 v21, s10
	s_xor_b64 exec, exec, s[6:7]
	s_cbranch_execnz .LBB30_3592
.LBB30_1542:
	s_or_b64 exec, exec, s[6:7]
	s_and_saveexec_b64 s[6:7], s[4:5]
	s_cbranch_execz .LBB30_1544
.LBB30_1543:
	v_and_b32_e32 v21, 7, v10
	v_ffbh_u32_e32 v23, v21
	v_min_u32_e32 v23, 32, v23
	v_lshrrev_b16_e32 v22, 3, v10
	v_subrev_u32_e32 v24, 28, v23
	v_and_b32_e32 v22, 15, v22
	v_lshlrev_b32_e32 v24, v24, v10
	v_sub_u32_e32 v23, 29, v23
	v_and_b32_e32 v24, 7, v24
	v_cmp_eq_u16_e32 vcc, 0, v22
	v_cndmask_b32_e32 v21, v21, v24, vcc
	v_cndmask_b32_e32 v22, v22, v23, vcc
	v_lshlrev_b32_e32 v23, 24, v10
	v_mov_b32_e32 v24, 0x3b800000
	v_lshlrev_b32_e32 v21, 20, v21
	v_and_b32_e32 v23, 0x80000000, v23
	v_lshl_add_u32 v22, v22, 23, v24
	v_or3_b32 v21, v23, v22, v21
.LBB30_1544:
	s_or_b64 exec, exec, s[6:7]
	flat_load_dwordx4 a[0:3], v[18:19] offset:352
	s_movk_i32 s4, 0x7f
                                        ; implicit-def: $sgpr10
	s_waitcnt vmcnt(0) lgkmcnt(0)
	v_mfma_f32_16x16x4f32 a[0:3], v20, v21, a[0:3]
	v_lshrrev_b32_e32 v21, 8, v14
	v_cmp_gt_i16_sdwa s[6:7], v21, s4 src0_sel:BYTE_0 src1_sel:DWORD
	s_mov_b64 s[4:5], 0
	s_and_saveexec_b64 s[8:9], s[6:7]
	s_xor_b64 s[6:7], exec, s[8:9]
	s_cbranch_execnz .LBB30_3593
; %bb.1545:
	s_or_saveexec_b64 s[6:7], s[6:7]
	v_mov_b32_e32 v20, s10
	s_xor_b64 exec, exec, s[6:7]
	s_cbranch_execnz .LBB30_3596
.LBB30_1546:
	s_or_b64 exec, exec, s[6:7]
	s_and_saveexec_b64 s[6:7], s[4:5]
	s_cbranch_execz .LBB30_1548
.LBB30_1547:
	v_bfe_u32 v20, v14, 8, 3
	v_ffbh_u32_e32 v23, v20
	v_min_u32_e32 v23, 32, v23
	v_lshrrev_b16_e32 v22, 3, v21
	v_subrev_u32_e32 v24, 28, v23
	v_and_b32_e32 v22, 15, v22
	v_lshlrev_b32_e32 v21, v24, v21
	v_sub_u32_e32 v23, 29, v23
	v_and_b32_e32 v21, 7, v21
	v_cmp_eq_u16_e32 vcc, 0, v22
	v_cndmask_b32_e32 v20, v20, v21, vcc
	v_cndmask_b32_e32 v21, v22, v23, vcc
	v_lshlrev_b32_e32 v22, 16, v14
	v_mov_b32_e32 v23, 0x3b800000
	v_lshlrev_b32_e32 v20, 20, v20
	v_and_b32_e32 v22, 0x80000000, v22
	v_lshl_add_u32 v21, v21, 23, v23
	v_or3_b32 v20, v22, v21, v20
.LBB30_1548:
	s_or_b64 exec, exec, s[6:7]
	v_lshrrev_b32_e32 v21, 8, v10
	s_movk_i32 s4, 0x7f
	v_cmp_gt_i16_sdwa s[6:7], v21, s4 src0_sel:BYTE_0 src1_sel:DWORD
	s_mov_b64 s[4:5], 0
                                        ; implicit-def: $sgpr10
	s_and_saveexec_b64 s[8:9], s[6:7]
	s_xor_b64 s[6:7], exec, s[8:9]
	s_cbranch_execnz .LBB30_3597
; %bb.1549:
	s_or_saveexec_b64 s[6:7], s[6:7]
	v_mov_b32_e32 v22, s10
	s_xor_b64 exec, exec, s[6:7]
	s_cbranch_execnz .LBB30_3600
.LBB30_1550:
	s_or_b64 exec, exec, s[6:7]
	s_and_saveexec_b64 s[6:7], s[4:5]
	s_cbranch_execz .LBB30_1552
.LBB30_1551:
	v_bfe_u32 v22, v10, 8, 3
	v_ffbh_u32_e32 v24, v22
	v_min_u32_e32 v24, 32, v24
	v_lshrrev_b16_e32 v23, 3, v21
	v_subrev_u32_e32 v25, 28, v24
	v_and_b32_e32 v23, 15, v23
	v_lshlrev_b32_e32 v21, v25, v21
	v_sub_u32_e32 v24, 29, v24
	v_and_b32_e32 v21, 7, v21
	v_cmp_eq_u16_e32 vcc, 0, v23
	v_cndmask_b32_e32 v21, v22, v21, vcc
	v_cndmask_b32_e32 v22, v23, v24, vcc
	v_lshlrev_b32_e32 v23, 16, v10
	v_mov_b32_e32 v24, 0x3b800000
	v_lshlrev_b32_e32 v21, 20, v21
	v_and_b32_e32 v23, 0x80000000, v23
	v_lshl_add_u32 v22, v22, 23, v24
	v_or3_b32 v22, v23, v22, v21
.LBB30_1552:
	s_or_b64 exec, exec, s[6:7]
	s_nop 0
	v_mfma_f32_16x16x4f32 a[0:3], v20, v22, a[0:3]
	s_movk_i32 s4, 0xff
	v_and_b32_sdwa v21, v14, s4 dst_sel:DWORD dst_unused:UNUSED_PAD src0_sel:WORD_1 src1_sel:DWORD
	s_movk_i32 s4, 0x7f
	v_cmp_lt_i16_e32 vcc, s4, v21
	s_mov_b64 s[4:5], 0
                                        ; implicit-def: $sgpr10
	s_and_saveexec_b64 s[6:7], vcc
	s_xor_b64 s[6:7], exec, s[6:7]
	s_cbranch_execnz .LBB30_3601
; %bb.1553:
	s_or_saveexec_b64 s[6:7], s[6:7]
	v_mov_b32_e32 v20, s10
	s_xor_b64 exec, exec, s[6:7]
	s_cbranch_execnz .LBB30_3604
.LBB30_1554:
	s_or_b64 exec, exec, s[6:7]
	s_and_saveexec_b64 s[6:7], s[4:5]
	s_cbranch_execz .LBB30_1556
.LBB30_1555:
	v_bfe_u32 v20, v14, 16, 3
	v_ffbh_u32_e32 v23, v20
	v_min_u32_e32 v23, 32, v23
	v_lshrrev_b32_e32 v21, 19, v14
	v_subrev_u32_e32 v24, 28, v23
	v_and_b32_e32 v21, 15, v21
	v_lshlrev_b32_sdwa v24, v24, v14 dst_sel:DWORD dst_unused:UNUSED_PAD src0_sel:DWORD src1_sel:WORD_1
	v_bfe_u32 v22, v14, 19, 4
	v_sub_u32_e32 v23, 29, v23
	v_and_b32_e32 v24, 7, v24
	v_cmp_eq_u16_e32 vcc, 0, v21
	v_cndmask_b32_e32 v20, v20, v24, vcc
	v_cndmask_b32_e32 v21, v22, v23, vcc
	v_lshlrev_b32_e32 v22, 8, v14
	v_mov_b32_e32 v23, 0x3b800000
	v_lshlrev_b32_e32 v20, 20, v20
	v_and_b32_e32 v22, 0x80000000, v22
	v_lshl_add_u32 v21, v21, 23, v23
	v_or3_b32 v20, v22, v21, v20
.LBB30_1556:
	s_or_b64 exec, exec, s[6:7]
	s_movk_i32 s4, 0xff
	v_and_b32_sdwa v21, v10, s4 dst_sel:DWORD dst_unused:UNUSED_PAD src0_sel:WORD_1 src1_sel:DWORD
	s_movk_i32 s4, 0x7f
	v_cmp_lt_i16_e32 vcc, s4, v21
	s_mov_b64 s[4:5], 0
                                        ; implicit-def: $sgpr10
	s_and_saveexec_b64 s[6:7], vcc
	s_xor_b64 s[6:7], exec, s[6:7]
	s_cbranch_execnz .LBB30_3605
; %bb.1557:
	s_or_saveexec_b64 s[6:7], s[6:7]
	v_mov_b32_e32 v22, s10
	s_xor_b64 exec, exec, s[6:7]
	s_cbranch_execnz .LBB30_3608
.LBB30_1558:
	s_or_b64 exec, exec, s[6:7]
	s_and_saveexec_b64 s[6:7], s[4:5]
	s_cbranch_execz .LBB30_1560
.LBB30_1559:
	v_bfe_u32 v21, v10, 16, 3
	v_ffbh_u32_e32 v24, v21
	v_min_u32_e32 v24, 32, v24
	v_lshrrev_b32_e32 v22, 19, v10
	v_subrev_u32_e32 v25, 28, v24
	v_and_b32_e32 v22, 15, v22
	v_lshlrev_b32_sdwa v25, v25, v10 dst_sel:DWORD dst_unused:UNUSED_PAD src0_sel:DWORD src1_sel:WORD_1
	v_bfe_u32 v23, v10, 19, 4
	v_sub_u32_e32 v24, 29, v24
	v_and_b32_e32 v25, 7, v25
	v_cmp_eq_u16_e32 vcc, 0, v22
	v_cndmask_b32_e32 v21, v21, v25, vcc
	v_cndmask_b32_e32 v22, v23, v24, vcc
	v_lshlrev_b32_e32 v23, 8, v10
	v_mov_b32_e32 v24, 0x3b800000
	v_lshlrev_b32_e32 v21, 20, v21
	v_and_b32_e32 v23, 0x80000000, v23
	v_lshl_add_u32 v22, v22, 23, v24
	v_or3_b32 v22, v23, v22, v21
.LBB30_1560:
	s_or_b64 exec, exec, s[6:7]
	s_nop 0
	v_mfma_f32_16x16x4f32 a[0:3], v20, v22, a[0:3]
	s_movk_i32 s4, 0x7f
	v_cmp_gt_i16_sdwa s[6:7], v14, s4 src0_sel:BYTE_3 src1_sel:DWORD
	s_mov_b64 s[4:5], 0
                                        ; implicit-def: $sgpr10
	s_and_saveexec_b64 s[8:9], s[6:7]
	s_xor_b64 s[6:7], exec, s[8:9]
	s_cbranch_execnz .LBB30_3609
; %bb.1561:
	s_or_saveexec_b64 s[6:7], s[6:7]
	v_mov_b32_e32 v20, s10
	s_xor_b64 exec, exec, s[6:7]
	s_cbranch_execnz .LBB30_3612
.LBB30_1562:
	s_or_b64 exec, exec, s[6:7]
	s_and_saveexec_b64 s[6:7], s[4:5]
	s_cbranch_execz .LBB30_1564
.LBB30_1563:
	v_bfe_u32 v20, v14, 24, 3
	v_ffbh_u32_e32 v24, v20
	v_min_u32_e32 v24, 32, v24
	v_lshrrev_b32_e32 v22, 27, v14
	v_subrev_u32_e32 v25, 28, v24
	v_and_b32_e32 v21, 0x80000000, v14
	v_and_b32_e32 v22, 15, v22
	v_bfe_u32 v23, v14, 27, 4
	v_lshlrev_b32_sdwa v14, v25, v14 dst_sel:DWORD dst_unused:UNUSED_PAD src0_sel:DWORD src1_sel:BYTE_3
	v_sub_u32_e32 v24, 29, v24
	v_and_b32_e32 v14, 7, v14
	v_cmp_eq_u16_e32 vcc, 0, v22
	v_cndmask_b32_e32 v14, v20, v14, vcc
	v_cndmask_b32_e32 v20, v23, v24, vcc
	v_mov_b32_e32 v22, 0x3b800000
	v_lshlrev_b32_e32 v14, 20, v14
	v_lshl_add_u32 v20, v20, 23, v22
	v_or3_b32 v20, v21, v20, v14
.LBB30_1564:
	s_or_b64 exec, exec, s[6:7]
	s_movk_i32 s4, 0x7f
	v_cmp_gt_i16_sdwa s[6:7], v10, s4 src0_sel:BYTE_3 src1_sel:DWORD
	s_mov_b64 s[4:5], 0
                                        ; implicit-def: $sgpr10
	s_and_saveexec_b64 s[8:9], s[6:7]
	s_xor_b64 s[6:7], exec, s[8:9]
	s_cbranch_execnz .LBB30_3613
; %bb.1565:
	s_or_saveexec_b64 s[6:7], s[6:7]
	v_mov_b32_e32 v14, s10
	s_xor_b64 exec, exec, s[6:7]
	s_cbranch_execnz .LBB30_3616
.LBB30_1566:
	s_or_b64 exec, exec, s[6:7]
	s_and_saveexec_b64 s[6:7], s[4:5]
	s_cbranch_execz .LBB30_1568
.LBB30_1567:
	v_bfe_u32 v14, v10, 24, 3
	v_ffbh_u32_e32 v24, v14
	v_min_u32_e32 v24, 32, v24
	v_lshrrev_b32_e32 v22, 27, v10
	v_subrev_u32_e32 v25, 28, v24
	v_and_b32_e32 v21, 0x80000000, v10
	v_and_b32_e32 v22, 15, v22
	v_bfe_u32 v23, v10, 27, 4
	v_lshlrev_b32_sdwa v10, v25, v10 dst_sel:DWORD dst_unused:UNUSED_PAD src0_sel:DWORD src1_sel:BYTE_3
	v_sub_u32_e32 v24, 29, v24
	v_and_b32_e32 v10, 7, v10
	v_cmp_eq_u16_e32 vcc, 0, v22
	v_cndmask_b32_e32 v10, v14, v10, vcc
	v_cndmask_b32_e32 v14, v23, v24, vcc
	v_mov_b32_e32 v22, 0x3b800000
	v_lshlrev_b32_e32 v10, 20, v10
	v_lshl_add_u32 v14, v14, 23, v22
	v_or3_b32 v14, v21, v14, v10
.LBB30_1568:
	s_or_b64 exec, exec, s[6:7]
	s_nop 0
	v_mfma_f32_16x16x4f32 a[0:3], v20, v14, a[0:3]
	s_movk_i32 s4, 0x7f
	v_cmp_gt_i16_sdwa s[6:7], v15, s4 src0_sel:BYTE_0 src1_sel:DWORD
	s_mov_b64 s[4:5], 0
                                        ; implicit-def: $sgpr10
	s_and_saveexec_b64 s[8:9], s[6:7]
	s_xor_b64 s[6:7], exec, s[8:9]
	s_cbranch_execnz .LBB30_3617
; %bb.1569:
	s_or_saveexec_b64 s[6:7], s[6:7]
	v_mov_b32_e32 v10, s10
	s_xor_b64 exec, exec, s[6:7]
	s_cbranch_execnz .LBB30_3620
.LBB30_1570:
	s_or_b64 exec, exec, s[6:7]
	s_and_saveexec_b64 s[6:7], s[4:5]
	s_cbranch_execz .LBB30_1572
.LBB30_1571:
	v_and_b32_e32 v10, 7, v15
	v_ffbh_u32_e32 v20, v10
	v_min_u32_e32 v20, 32, v20
	v_lshrrev_b16_e32 v14, 3, v15
	v_subrev_u32_e32 v21, 28, v20
	v_and_b32_e32 v14, 15, v14
	v_lshlrev_b32_e32 v21, v21, v15
	v_sub_u32_e32 v20, 29, v20
	v_and_b32_e32 v21, 7, v21
	v_cmp_eq_u16_e32 vcc, 0, v14
	v_cndmask_b32_e32 v10, v10, v21, vcc
	v_cndmask_b32_e32 v14, v14, v20, vcc
	v_lshlrev_b32_e32 v20, 24, v15
	v_mov_b32_e32 v21, 0x3b800000
	v_lshlrev_b32_e32 v10, 20, v10
	v_and_b32_e32 v20, 0x80000000, v20
	v_lshl_add_u32 v14, v14, 23, v21
	v_or3_b32 v10, v20, v14, v10
.LBB30_1572:
	s_or_b64 exec, exec, s[6:7]
	s_movk_i32 s4, 0x7f
	v_cmp_gt_i16_sdwa s[6:7], v11, s4 src0_sel:BYTE_0 src1_sel:DWORD
	s_mov_b64 s[4:5], 0
                                        ; implicit-def: $sgpr10
	s_and_saveexec_b64 s[8:9], s[6:7]
	s_xor_b64 s[6:7], exec, s[8:9]
	s_cbranch_execnz .LBB30_3621
; %bb.1573:
	s_or_saveexec_b64 s[6:7], s[6:7]
	v_mov_b32_e32 v14, s10
	s_xor_b64 exec, exec, s[6:7]
	s_cbranch_execnz .LBB30_3624
.LBB30_1574:
	s_or_b64 exec, exec, s[6:7]
	s_and_saveexec_b64 s[6:7], s[4:5]
	s_cbranch_execz .LBB30_1576
.LBB30_1575:
	v_and_b32_e32 v14, 7, v11
	v_ffbh_u32_e32 v21, v14
	v_min_u32_e32 v21, 32, v21
	v_lshrrev_b16_e32 v20, 3, v11
	v_subrev_u32_e32 v22, 28, v21
	v_and_b32_e32 v20, 15, v20
	v_lshlrev_b32_e32 v22, v22, v11
	v_sub_u32_e32 v21, 29, v21
	v_and_b32_e32 v22, 7, v22
	v_cmp_eq_u16_e32 vcc, 0, v20
	v_cndmask_b32_e32 v14, v14, v22, vcc
	v_cndmask_b32_e32 v20, v20, v21, vcc
	v_lshlrev_b32_e32 v21, 24, v11
	v_mov_b32_e32 v22, 0x3b800000
	v_lshlrev_b32_e32 v14, 20, v14
	v_and_b32_e32 v21, 0x80000000, v21
	v_lshl_add_u32 v20, v20, 23, v22
	v_or3_b32 v14, v21, v20, v14
.LBB30_1576:
	s_or_b64 exec, exec, s[6:7]
	s_nop 0
	v_mfma_f32_16x16x4f32 a[0:3], v10, v14, a[0:3]
	v_lshrrev_b32_e32 v14, 8, v15
	s_movk_i32 s4, 0x7f
	v_cmp_gt_i16_sdwa s[6:7], v14, s4 src0_sel:BYTE_0 src1_sel:DWORD
	s_mov_b64 s[4:5], 0
                                        ; implicit-def: $sgpr10
	s_and_saveexec_b64 s[8:9], s[6:7]
	s_xor_b64 s[6:7], exec, s[8:9]
	s_cbranch_execnz .LBB30_3625
; %bb.1577:
	s_or_saveexec_b64 s[6:7], s[6:7]
	v_mov_b32_e32 v10, s10
	s_xor_b64 exec, exec, s[6:7]
	s_cbranch_execnz .LBB30_3628
.LBB30_1578:
	s_or_b64 exec, exec, s[6:7]
	s_and_saveexec_b64 s[6:7], s[4:5]
	s_cbranch_execz .LBB30_1580
.LBB30_1579:
	v_bfe_u32 v10, v15, 8, 3
	v_ffbh_u32_e32 v21, v10
	v_min_u32_e32 v21, 32, v21
	v_lshrrev_b16_e32 v20, 3, v14
	v_subrev_u32_e32 v22, 28, v21
	v_and_b32_e32 v20, 15, v20
	v_lshlrev_b32_e32 v14, v22, v14
	v_sub_u32_e32 v21, 29, v21
	v_and_b32_e32 v14, 7, v14
	v_cmp_eq_u16_e32 vcc, 0, v20
	v_cndmask_b32_e32 v10, v10, v14, vcc
	v_cndmask_b32_e32 v14, v20, v21, vcc
	v_lshlrev_b32_e32 v20, 16, v15
	v_mov_b32_e32 v21, 0x3b800000
	v_lshlrev_b32_e32 v10, 20, v10
	v_and_b32_e32 v20, 0x80000000, v20
	v_lshl_add_u32 v14, v14, 23, v21
	v_or3_b32 v10, v20, v14, v10
.LBB30_1580:
	s_or_b64 exec, exec, s[6:7]
	v_lshrrev_b32_e32 v14, 8, v11
	s_movk_i32 s4, 0x7f
	v_cmp_gt_i16_sdwa s[6:7], v14, s4 src0_sel:BYTE_0 src1_sel:DWORD
	s_mov_b64 s[4:5], 0
                                        ; implicit-def: $sgpr10
	s_and_saveexec_b64 s[8:9], s[6:7]
	s_xor_b64 s[6:7], exec, s[8:9]
	s_cbranch_execnz .LBB30_3629
; %bb.1581:
	s_or_saveexec_b64 s[6:7], s[6:7]
	v_mov_b32_e32 v20, s10
	s_xor_b64 exec, exec, s[6:7]
	s_cbranch_execnz .LBB30_3632
.LBB30_1582:
	s_or_b64 exec, exec, s[6:7]
	s_and_saveexec_b64 s[6:7], s[4:5]
	s_cbranch_execz .LBB30_1584
.LBB30_1583:
	v_bfe_u32 v20, v11, 8, 3
	v_ffbh_u32_e32 v22, v20
	v_min_u32_e32 v22, 32, v22
	v_lshrrev_b16_e32 v21, 3, v14
	v_subrev_u32_e32 v23, 28, v22
	v_and_b32_e32 v21, 15, v21
	v_lshlrev_b32_e32 v14, v23, v14
	v_sub_u32_e32 v22, 29, v22
	v_and_b32_e32 v14, 7, v14
	v_cmp_eq_u16_e32 vcc, 0, v21
	v_cndmask_b32_e32 v14, v20, v14, vcc
	v_cndmask_b32_e32 v20, v21, v22, vcc
	v_lshlrev_b32_e32 v21, 16, v11
	v_mov_b32_e32 v22, 0x3b800000
	v_lshlrev_b32_e32 v14, 20, v14
	v_and_b32_e32 v21, 0x80000000, v21
	v_lshl_add_u32 v20, v20, 23, v22
	v_or3_b32 v20, v21, v20, v14
.LBB30_1584:
	s_or_b64 exec, exec, s[6:7]
	s_nop 0
	v_mfma_f32_16x16x4f32 a[0:3], v10, v20, a[0:3]
	s_movk_i32 s4, 0xff
	v_and_b32_sdwa v14, v15, s4 dst_sel:DWORD dst_unused:UNUSED_PAD src0_sel:WORD_1 src1_sel:DWORD
	s_movk_i32 s4, 0x7f
	v_cmp_lt_i16_e32 vcc, s4, v14
	s_mov_b64 s[4:5], 0
                                        ; implicit-def: $sgpr10
	s_and_saveexec_b64 s[6:7], vcc
	s_xor_b64 s[6:7], exec, s[6:7]
	s_cbranch_execnz .LBB30_3633
; %bb.1585:
	s_or_saveexec_b64 s[6:7], s[6:7]
	v_mov_b32_e32 v10, s10
	s_xor_b64 exec, exec, s[6:7]
	s_cbranch_execnz .LBB30_3636
.LBB30_1586:
	s_or_b64 exec, exec, s[6:7]
	s_and_saveexec_b64 s[6:7], s[4:5]
	s_cbranch_execz .LBB30_1588
.LBB30_1587:
	v_bfe_u32 v10, v15, 16, 3
	v_ffbh_u32_e32 v21, v10
	v_min_u32_e32 v21, 32, v21
	v_lshrrev_b32_e32 v14, 19, v15
	v_subrev_u32_e32 v22, 28, v21
	v_and_b32_e32 v14, 15, v14
	v_lshlrev_b32_sdwa v22, v22, v15 dst_sel:DWORD dst_unused:UNUSED_PAD src0_sel:DWORD src1_sel:WORD_1
	v_bfe_u32 v20, v15, 19, 4
	v_sub_u32_e32 v21, 29, v21
	v_and_b32_e32 v22, 7, v22
	v_cmp_eq_u16_e32 vcc, 0, v14
	v_cndmask_b32_e32 v10, v10, v22, vcc
	v_cndmask_b32_e32 v14, v20, v21, vcc
	v_lshlrev_b32_e32 v20, 8, v15
	v_mov_b32_e32 v21, 0x3b800000
	v_lshlrev_b32_e32 v10, 20, v10
	v_and_b32_e32 v20, 0x80000000, v20
	v_lshl_add_u32 v14, v14, 23, v21
	v_or3_b32 v10, v20, v14, v10
.LBB30_1588:
	s_or_b64 exec, exec, s[6:7]
	s_movk_i32 s4, 0xff
	v_and_b32_sdwa v14, v11, s4 dst_sel:DWORD dst_unused:UNUSED_PAD src0_sel:WORD_1 src1_sel:DWORD
	s_movk_i32 s4, 0x7f
	v_cmp_lt_i16_e32 vcc, s4, v14
	s_mov_b64 s[4:5], 0
                                        ; implicit-def: $sgpr10
	s_and_saveexec_b64 s[6:7], vcc
	s_xor_b64 s[6:7], exec, s[6:7]
	s_cbranch_execnz .LBB30_3637
; %bb.1589:
	s_or_saveexec_b64 s[6:7], s[6:7]
	v_mov_b32_e32 v20, s10
	s_xor_b64 exec, exec, s[6:7]
	s_cbranch_execnz .LBB30_3640
.LBB30_1590:
	s_or_b64 exec, exec, s[6:7]
	s_and_saveexec_b64 s[6:7], s[4:5]
	s_cbranch_execz .LBB30_1592
.LBB30_1591:
	v_bfe_u32 v14, v11, 16, 3
	v_ffbh_u32_e32 v22, v14
	v_min_u32_e32 v22, 32, v22
	v_lshrrev_b32_e32 v20, 19, v11
	v_subrev_u32_e32 v23, 28, v22
	v_and_b32_e32 v20, 15, v20
	v_lshlrev_b32_sdwa v23, v23, v11 dst_sel:DWORD dst_unused:UNUSED_PAD src0_sel:DWORD src1_sel:WORD_1
	v_bfe_u32 v21, v11, 19, 4
	v_sub_u32_e32 v22, 29, v22
	v_and_b32_e32 v23, 7, v23
	v_cmp_eq_u16_e32 vcc, 0, v20
	v_cndmask_b32_e32 v14, v14, v23, vcc
	v_cndmask_b32_e32 v20, v21, v22, vcc
	v_lshlrev_b32_e32 v21, 8, v11
	v_mov_b32_e32 v22, 0x3b800000
	v_lshlrev_b32_e32 v14, 20, v14
	v_and_b32_e32 v21, 0x80000000, v21
	v_lshl_add_u32 v20, v20, 23, v22
	v_or3_b32 v20, v21, v20, v14
.LBB30_1592:
	s_or_b64 exec, exec, s[6:7]
	s_nop 0
	v_mfma_f32_16x16x4f32 a[0:3], v10, v20, a[0:3]
	s_movk_i32 s4, 0x7f
	v_cmp_gt_i16_sdwa s[6:7], v15, s4 src0_sel:BYTE_3 src1_sel:DWORD
	s_mov_b64 s[4:5], 0
                                        ; implicit-def: $sgpr10
	s_and_saveexec_b64 s[8:9], s[6:7]
	s_xor_b64 s[6:7], exec, s[8:9]
	s_cbranch_execnz .LBB30_3641
; %bb.1593:
	s_or_saveexec_b64 s[6:7], s[6:7]
	v_mov_b32_e32 v10, s10
	s_xor_b64 exec, exec, s[6:7]
	s_cbranch_execnz .LBB30_3644
.LBB30_1594:
	s_or_b64 exec, exec, s[6:7]
	s_and_saveexec_b64 s[6:7], s[4:5]
	s_cbranch_execz .LBB30_1596
.LBB30_1595:
	v_bfe_u32 v10, v15, 24, 3
	v_ffbh_u32_e32 v22, v10
	v_min_u32_e32 v22, 32, v22
	v_lshrrev_b32_e32 v20, 27, v15
	v_subrev_u32_e32 v23, 28, v22
	v_and_b32_e32 v14, 0x80000000, v15
	v_and_b32_e32 v20, 15, v20
	v_bfe_u32 v21, v15, 27, 4
	v_lshlrev_b32_sdwa v15, v23, v15 dst_sel:DWORD dst_unused:UNUSED_PAD src0_sel:DWORD src1_sel:BYTE_3
	v_sub_u32_e32 v22, 29, v22
	v_and_b32_e32 v15, 7, v15
	v_cmp_eq_u16_e32 vcc, 0, v20
	v_cndmask_b32_e32 v10, v10, v15, vcc
	v_cndmask_b32_e32 v15, v21, v22, vcc
	v_mov_b32_e32 v20, 0x3b800000
	v_lshlrev_b32_e32 v10, 20, v10
	v_lshl_add_u32 v15, v15, 23, v20
	v_or3_b32 v10, v14, v15, v10
.LBB30_1596:
	s_or_b64 exec, exec, s[6:7]
	s_movk_i32 s4, 0x7f
	v_cmp_gt_i16_sdwa s[6:7], v11, s4 src0_sel:BYTE_3 src1_sel:DWORD
	s_mov_b64 s[4:5], 0
                                        ; implicit-def: $sgpr10
	s_and_saveexec_b64 s[8:9], s[6:7]
	s_xor_b64 s[6:7], exec, s[8:9]
	s_cbranch_execnz .LBB30_3645
; %bb.1597:
	s_or_saveexec_b64 s[6:7], s[6:7]
	v_mov_b32_e32 v14, s10
	s_xor_b64 exec, exec, s[6:7]
	s_cbranch_execnz .LBB30_3648
.LBB30_1598:
	s_or_b64 exec, exec, s[6:7]
	s_and_saveexec_b64 s[6:7], s[4:5]
	s_cbranch_execz .LBB30_1600
.LBB30_1599:
	v_bfe_u32 v14, v11, 24, 3
	v_ffbh_u32_e32 v22, v14
	v_min_u32_e32 v22, 32, v22
	v_lshrrev_b32_e32 v20, 27, v11
	v_subrev_u32_e32 v23, 28, v22
	v_and_b32_e32 v15, 0x80000000, v11
	v_and_b32_e32 v20, 15, v20
	v_bfe_u32 v21, v11, 27, 4
	v_lshlrev_b32_sdwa v11, v23, v11 dst_sel:DWORD dst_unused:UNUSED_PAD src0_sel:DWORD src1_sel:BYTE_3
	v_sub_u32_e32 v22, 29, v22
	v_and_b32_e32 v11, 7, v11
	v_cmp_eq_u16_e32 vcc, 0, v20
	v_cndmask_b32_e32 v11, v14, v11, vcc
	v_cndmask_b32_e32 v14, v21, v22, vcc
	v_mov_b32_e32 v20, 0x3b800000
	v_lshlrev_b32_e32 v11, 20, v11
	v_lshl_add_u32 v14, v14, 23, v20
	v_or3_b32 v14, v15, v14, v11
.LBB30_1600:
	s_or_b64 exec, exec, s[6:7]
	s_nop 0
	v_mfma_f32_16x16x4f32 a[0:3], v10, v14, a[0:3]
	s_movk_i32 s4, 0x7f
	v_cmp_gt_i16_sdwa s[6:7], v16, s4 src0_sel:BYTE_0 src1_sel:DWORD
	s_mov_b64 s[4:5], 0
                                        ; implicit-def: $sgpr10
	s_and_saveexec_b64 s[8:9], s[6:7]
	s_xor_b64 s[6:7], exec, s[8:9]
	s_cbranch_execnz .LBB30_3649
; %bb.1601:
	s_or_saveexec_b64 s[6:7], s[6:7]
	v_mov_b32_e32 v10, s10
	s_xor_b64 exec, exec, s[6:7]
	s_cbranch_execnz .LBB30_3652
.LBB30_1602:
	s_or_b64 exec, exec, s[6:7]
	s_and_saveexec_b64 s[6:7], s[4:5]
	s_cbranch_execz .LBB30_1604
.LBB30_1603:
	v_and_b32_e32 v10, 7, v16
	v_ffbh_u32_e32 v14, v10
	v_min_u32_e32 v14, 32, v14
	v_lshrrev_b16_e32 v11, 3, v16
	v_subrev_u32_e32 v15, 28, v14
	v_and_b32_e32 v11, 15, v11
	v_lshlrev_b32_e32 v15, v15, v16
	v_sub_u32_e32 v14, 29, v14
	v_and_b32_e32 v15, 7, v15
	v_cmp_eq_u16_e32 vcc, 0, v11
	v_cndmask_b32_e32 v10, v10, v15, vcc
	v_cndmask_b32_e32 v11, v11, v14, vcc
	v_lshlrev_b32_e32 v14, 24, v16
	v_mov_b32_e32 v15, 0x3b800000
	v_lshlrev_b32_e32 v10, 20, v10
	v_and_b32_e32 v14, 0x80000000, v14
	v_lshl_add_u32 v11, v11, 23, v15
	v_or3_b32 v10, v14, v11, v10
.LBB30_1604:
	s_or_b64 exec, exec, s[6:7]
	s_movk_i32 s4, 0x7f
	v_cmp_gt_i16_sdwa s[6:7], v12, s4 src0_sel:BYTE_0 src1_sel:DWORD
	s_mov_b64 s[4:5], 0
                                        ; implicit-def: $sgpr10
	s_and_saveexec_b64 s[8:9], s[6:7]
	s_xor_b64 s[6:7], exec, s[8:9]
	s_cbranch_execnz .LBB30_3653
; %bb.1605:
	s_or_saveexec_b64 s[6:7], s[6:7]
	v_mov_b32_e32 v11, s10
	s_xor_b64 exec, exec, s[6:7]
	s_cbranch_execnz .LBB30_3656
.LBB30_1606:
	s_or_b64 exec, exec, s[6:7]
	s_and_saveexec_b64 s[6:7], s[4:5]
	s_cbranch_execz .LBB30_1608
.LBB30_1607:
	v_and_b32_e32 v11, 7, v12
	v_ffbh_u32_e32 v15, v11
	v_min_u32_e32 v15, 32, v15
	v_lshrrev_b16_e32 v14, 3, v12
	v_subrev_u32_e32 v20, 28, v15
	v_and_b32_e32 v14, 15, v14
	v_lshlrev_b32_e32 v20, v20, v12
	v_sub_u32_e32 v15, 29, v15
	v_and_b32_e32 v20, 7, v20
	v_cmp_eq_u16_e32 vcc, 0, v14
	v_cndmask_b32_e32 v11, v11, v20, vcc
	v_cndmask_b32_e32 v14, v14, v15, vcc
	v_lshlrev_b32_e32 v15, 24, v12
	v_mov_b32_e32 v20, 0x3b800000
	v_lshlrev_b32_e32 v11, 20, v11
	v_and_b32_e32 v15, 0x80000000, v15
	v_lshl_add_u32 v14, v14, 23, v20
	v_or3_b32 v11, v15, v14, v11
.LBB30_1608:
	s_or_b64 exec, exec, s[6:7]
	s_nop 0
	v_mfma_f32_16x16x4f32 a[0:3], v10, v11, a[0:3]
	v_lshrrev_b32_e32 v11, 8, v16
	s_movk_i32 s4, 0x7f
	v_cmp_gt_i16_sdwa s[6:7], v11, s4 src0_sel:BYTE_0 src1_sel:DWORD
	s_mov_b64 s[4:5], 0
                                        ; implicit-def: $sgpr10
	s_and_saveexec_b64 s[8:9], s[6:7]
	s_xor_b64 s[6:7], exec, s[8:9]
	s_cbranch_execnz .LBB30_3657
; %bb.1609:
	s_or_saveexec_b64 s[6:7], s[6:7]
	v_mov_b32_e32 v10, s10
	s_xor_b64 exec, exec, s[6:7]
	s_cbranch_execnz .LBB30_3660
.LBB30_1610:
	s_or_b64 exec, exec, s[6:7]
	s_and_saveexec_b64 s[6:7], s[4:5]
	s_cbranch_execz .LBB30_1612
.LBB30_1611:
	v_bfe_u32 v10, v16, 8, 3
	v_ffbh_u32_e32 v15, v10
	v_min_u32_e32 v15, 32, v15
	v_lshrrev_b16_e32 v14, 3, v11
	v_subrev_u32_e32 v20, 28, v15
	v_and_b32_e32 v14, 15, v14
	v_lshlrev_b32_e32 v11, v20, v11
	v_sub_u32_e32 v15, 29, v15
	v_and_b32_e32 v11, 7, v11
	v_cmp_eq_u16_e32 vcc, 0, v14
	v_cndmask_b32_e32 v10, v10, v11, vcc
	v_cndmask_b32_e32 v11, v14, v15, vcc
	v_lshlrev_b32_e32 v14, 16, v16
	v_mov_b32_e32 v15, 0x3b800000
	v_lshlrev_b32_e32 v10, 20, v10
	v_and_b32_e32 v14, 0x80000000, v14
	v_lshl_add_u32 v11, v11, 23, v15
	v_or3_b32 v10, v14, v11, v10
.LBB30_1612:
	s_or_b64 exec, exec, s[6:7]
	v_lshrrev_b32_e32 v11, 8, v12
	s_movk_i32 s4, 0x7f
	v_cmp_gt_i16_sdwa s[6:7], v11, s4 src0_sel:BYTE_0 src1_sel:DWORD
	s_mov_b64 s[4:5], 0
                                        ; implicit-def: $sgpr10
	s_and_saveexec_b64 s[8:9], s[6:7]
	s_xor_b64 s[6:7], exec, s[8:9]
	s_cbranch_execnz .LBB30_3661
; %bb.1613:
	s_or_saveexec_b64 s[6:7], s[6:7]
	v_mov_b32_e32 v14, s10
	s_xor_b64 exec, exec, s[6:7]
	s_cbranch_execnz .LBB30_3664
.LBB30_1614:
	s_or_b64 exec, exec, s[6:7]
	s_and_saveexec_b64 s[6:7], s[4:5]
	s_cbranch_execz .LBB30_1616
.LBB30_1615:
	v_bfe_u32 v14, v12, 8, 3
	v_ffbh_u32_e32 v20, v14
	v_min_u32_e32 v20, 32, v20
	v_lshrrev_b16_e32 v15, 3, v11
	v_subrev_u32_e32 v21, 28, v20
	v_and_b32_e32 v15, 15, v15
	v_lshlrev_b32_e32 v11, v21, v11
	v_sub_u32_e32 v20, 29, v20
	v_and_b32_e32 v11, 7, v11
	v_cmp_eq_u16_e32 vcc, 0, v15
	v_cndmask_b32_e32 v11, v14, v11, vcc
	v_cndmask_b32_e32 v14, v15, v20, vcc
	v_lshlrev_b32_e32 v15, 16, v12
	v_mov_b32_e32 v20, 0x3b800000
	v_lshlrev_b32_e32 v11, 20, v11
	v_and_b32_e32 v15, 0x80000000, v15
	v_lshl_add_u32 v14, v14, 23, v20
	v_or3_b32 v14, v15, v14, v11
.LBB30_1616:
	s_or_b64 exec, exec, s[6:7]
	s_nop 0
	v_mfma_f32_16x16x4f32 a[0:3], v10, v14, a[0:3]
	s_movk_i32 s4, 0xff
	v_and_b32_sdwa v11, v16, s4 dst_sel:DWORD dst_unused:UNUSED_PAD src0_sel:WORD_1 src1_sel:DWORD
	s_movk_i32 s4, 0x7f
	v_cmp_lt_i16_e32 vcc, s4, v11
	s_mov_b64 s[4:5], 0
                                        ; implicit-def: $sgpr10
	s_and_saveexec_b64 s[6:7], vcc
	s_xor_b64 s[6:7], exec, s[6:7]
	s_cbranch_execnz .LBB30_3665
; %bb.1617:
	s_or_saveexec_b64 s[6:7], s[6:7]
	v_mov_b32_e32 v10, s10
	s_xor_b64 exec, exec, s[6:7]
	s_cbranch_execnz .LBB30_3668
.LBB30_1618:
	s_or_b64 exec, exec, s[6:7]
	s_and_saveexec_b64 s[6:7], s[4:5]
	s_cbranch_execz .LBB30_1620
.LBB30_1619:
	v_bfe_u32 v10, v16, 16, 3
	v_ffbh_u32_e32 v15, v10
	v_min_u32_e32 v15, 32, v15
	v_lshrrev_b32_e32 v11, 19, v16
	v_subrev_u32_e32 v20, 28, v15
	v_and_b32_e32 v11, 15, v11
	v_lshlrev_b32_sdwa v20, v20, v16 dst_sel:DWORD dst_unused:UNUSED_PAD src0_sel:DWORD src1_sel:WORD_1
	v_bfe_u32 v14, v16, 19, 4
	v_sub_u32_e32 v15, 29, v15
	v_and_b32_e32 v20, 7, v20
	v_cmp_eq_u16_e32 vcc, 0, v11
	v_cndmask_b32_e32 v10, v10, v20, vcc
	v_cndmask_b32_e32 v11, v14, v15, vcc
	v_lshlrev_b32_e32 v14, 8, v16
	v_mov_b32_e32 v15, 0x3b800000
	v_lshlrev_b32_e32 v10, 20, v10
	v_and_b32_e32 v14, 0x80000000, v14
	v_lshl_add_u32 v11, v11, 23, v15
	v_or3_b32 v10, v14, v11, v10
.LBB30_1620:
	s_or_b64 exec, exec, s[6:7]
	s_movk_i32 s4, 0xff
	v_and_b32_sdwa v11, v12, s4 dst_sel:DWORD dst_unused:UNUSED_PAD src0_sel:WORD_1 src1_sel:DWORD
	s_movk_i32 s4, 0x7f
	v_cmp_lt_i16_e32 vcc, s4, v11
	s_mov_b64 s[4:5], 0
                                        ; implicit-def: $sgpr10
	s_and_saveexec_b64 s[6:7], vcc
	s_xor_b64 s[6:7], exec, s[6:7]
	s_cbranch_execnz .LBB30_3669
; %bb.1621:
	s_or_saveexec_b64 s[6:7], s[6:7]
	v_mov_b32_e32 v14, s10
	s_xor_b64 exec, exec, s[6:7]
	s_cbranch_execnz .LBB30_3672
.LBB30_1622:
	s_or_b64 exec, exec, s[6:7]
	s_and_saveexec_b64 s[6:7], s[4:5]
	s_cbranch_execz .LBB30_1624
.LBB30_1623:
	v_bfe_u32 v11, v12, 16, 3
	v_ffbh_u32_e32 v20, v11
	v_min_u32_e32 v20, 32, v20
	v_lshrrev_b32_e32 v14, 19, v12
	v_subrev_u32_e32 v21, 28, v20
	v_and_b32_e32 v14, 15, v14
	v_lshlrev_b32_sdwa v21, v21, v12 dst_sel:DWORD dst_unused:UNUSED_PAD src0_sel:DWORD src1_sel:WORD_1
	v_bfe_u32 v15, v12, 19, 4
	v_sub_u32_e32 v20, 29, v20
	v_and_b32_e32 v21, 7, v21
	v_cmp_eq_u16_e32 vcc, 0, v14
	v_cndmask_b32_e32 v11, v11, v21, vcc
	v_cndmask_b32_e32 v14, v15, v20, vcc
	v_lshlrev_b32_e32 v15, 8, v12
	v_mov_b32_e32 v20, 0x3b800000
	v_lshlrev_b32_e32 v11, 20, v11
	v_and_b32_e32 v15, 0x80000000, v15
	v_lshl_add_u32 v14, v14, 23, v20
	v_or3_b32 v14, v15, v14, v11
.LBB30_1624:
	s_or_b64 exec, exec, s[6:7]
	s_nop 0
	v_mfma_f32_16x16x4f32 a[0:3], v10, v14, a[0:3]
	s_movk_i32 s4, 0x7f
	v_cmp_gt_i16_sdwa s[6:7], v16, s4 src0_sel:BYTE_3 src1_sel:DWORD
	s_mov_b64 s[4:5], 0
                                        ; implicit-def: $sgpr10
	s_and_saveexec_b64 s[8:9], s[6:7]
	s_xor_b64 s[6:7], exec, s[8:9]
	s_cbranch_execnz .LBB30_3673
; %bb.1625:
	s_or_saveexec_b64 s[6:7], s[6:7]
	v_mov_b32_e32 v10, s10
	s_xor_b64 exec, exec, s[6:7]
	s_cbranch_execnz .LBB30_3676
.LBB30_1626:
	s_or_b64 exec, exec, s[6:7]
	s_and_saveexec_b64 s[6:7], s[4:5]
	s_cbranch_execz .LBB30_1628
.LBB30_1627:
	v_bfe_u32 v10, v16, 24, 3
	v_ffbh_u32_e32 v20, v10
	v_min_u32_e32 v20, 32, v20
	v_lshrrev_b32_e32 v14, 27, v16
	v_subrev_u32_e32 v21, 28, v20
	v_and_b32_e32 v11, 0x80000000, v16
	v_and_b32_e32 v14, 15, v14
	v_bfe_u32 v15, v16, 27, 4
	v_lshlrev_b32_sdwa v16, v21, v16 dst_sel:DWORD dst_unused:UNUSED_PAD src0_sel:DWORD src1_sel:BYTE_3
	v_sub_u32_e32 v20, 29, v20
	v_and_b32_e32 v16, 7, v16
	v_cmp_eq_u16_e32 vcc, 0, v14
	v_cndmask_b32_e32 v10, v10, v16, vcc
	v_cndmask_b32_e32 v14, v15, v20, vcc
	v_mov_b32_e32 v15, 0x3b800000
	v_lshlrev_b32_e32 v10, 20, v10
	v_lshl_add_u32 v14, v14, 23, v15
	v_or3_b32 v10, v11, v14, v10
.LBB30_1628:
	s_or_b64 exec, exec, s[6:7]
	s_movk_i32 s4, 0x7f
	v_cmp_gt_i16_sdwa s[6:7], v12, s4 src0_sel:BYTE_3 src1_sel:DWORD
	s_mov_b64 s[4:5], 0
                                        ; implicit-def: $sgpr10
	s_and_saveexec_b64 s[8:9], s[6:7]
	s_xor_b64 s[6:7], exec, s[8:9]
	s_cbranch_execnz .LBB30_3677
; %bb.1629:
	s_or_saveexec_b64 s[6:7], s[6:7]
	v_mov_b32_e32 v11, s10
	s_xor_b64 exec, exec, s[6:7]
	s_cbranch_execnz .LBB30_3680
.LBB30_1630:
	s_or_b64 exec, exec, s[6:7]
	s_and_saveexec_b64 s[6:7], s[4:5]
	s_cbranch_execz .LBB30_1632
.LBB30_1631:
	v_bfe_u32 v11, v12, 24, 3
	v_ffbh_u32_e32 v20, v11
	v_min_u32_e32 v20, 32, v20
	v_lshrrev_b32_e32 v15, 27, v12
	v_subrev_u32_e32 v21, 28, v20
	v_and_b32_e32 v14, 0x80000000, v12
	v_and_b32_e32 v15, 15, v15
	v_bfe_u32 v16, v12, 27, 4
	v_lshlrev_b32_sdwa v12, v21, v12 dst_sel:DWORD dst_unused:UNUSED_PAD src0_sel:DWORD src1_sel:BYTE_3
	v_sub_u32_e32 v20, 29, v20
	v_and_b32_e32 v12, 7, v12
	v_cmp_eq_u16_e32 vcc, 0, v15
	v_cndmask_b32_e32 v11, v11, v12, vcc
	v_cndmask_b32_e32 v12, v16, v20, vcc
	v_mov_b32_e32 v15, 0x3b800000
	v_lshlrev_b32_e32 v11, 20, v11
	v_lshl_add_u32 v12, v12, 23, v15
	v_or3_b32 v11, v14, v12, v11
.LBB30_1632:
	s_or_b64 exec, exec, s[6:7]
	s_nop 0
	v_mfma_f32_16x16x4f32 a[0:3], v10, v11, a[0:3]
	s_movk_i32 s4, 0x7f
	v_cmp_gt_i16_sdwa s[6:7], v17, s4 src0_sel:BYTE_0 src1_sel:DWORD
	s_mov_b64 s[4:5], 0
                                        ; implicit-def: $sgpr10
	s_and_saveexec_b64 s[8:9], s[6:7]
	s_xor_b64 s[6:7], exec, s[8:9]
	s_cbranch_execnz .LBB30_3681
; %bb.1633:
	s_or_saveexec_b64 s[6:7], s[6:7]
	v_mov_b32_e32 v10, s10
	s_xor_b64 exec, exec, s[6:7]
	s_cbranch_execnz .LBB30_3684
.LBB30_1634:
	s_or_b64 exec, exec, s[6:7]
	s_and_saveexec_b64 s[6:7], s[4:5]
	s_cbranch_execz .LBB30_1636
.LBB30_1635:
	v_and_b32_e32 v10, 7, v17
	v_ffbh_u32_e32 v12, v10
	v_min_u32_e32 v12, 32, v12
	v_lshrrev_b16_e32 v11, 3, v17
	v_subrev_u32_e32 v14, 28, v12
	v_and_b32_e32 v11, 15, v11
	v_lshlrev_b32_e32 v14, v14, v17
	v_sub_u32_e32 v12, 29, v12
	v_and_b32_e32 v14, 7, v14
	v_cmp_eq_u16_e32 vcc, 0, v11
	v_cndmask_b32_e32 v10, v10, v14, vcc
	v_cndmask_b32_e32 v11, v11, v12, vcc
	v_lshlrev_b32_e32 v12, 24, v17
	v_mov_b32_e32 v14, 0x3b800000
	v_lshlrev_b32_e32 v10, 20, v10
	v_and_b32_e32 v12, 0x80000000, v12
	v_lshl_add_u32 v11, v11, 23, v14
	v_or3_b32 v10, v12, v11, v10
.LBB30_1636:
	s_or_b64 exec, exec, s[6:7]
	s_movk_i32 s4, 0x7f
	v_cmp_gt_i16_sdwa s[6:7], v13, s4 src0_sel:BYTE_0 src1_sel:DWORD
	s_mov_b64 s[4:5], 0
                                        ; implicit-def: $sgpr10
	s_and_saveexec_b64 s[8:9], s[6:7]
	s_xor_b64 s[6:7], exec, s[8:9]
	s_cbranch_execnz .LBB30_3685
; %bb.1637:
	s_or_saveexec_b64 s[6:7], s[6:7]
	v_mov_b32_e32 v11, s10
	s_xor_b64 exec, exec, s[6:7]
	s_cbranch_execnz .LBB30_3688
.LBB30_1638:
	s_or_b64 exec, exec, s[6:7]
	s_and_saveexec_b64 s[6:7], s[4:5]
	s_cbranch_execz .LBB30_1640
.LBB30_1639:
	v_and_b32_e32 v11, 7, v13
	v_ffbh_u32_e32 v14, v11
	v_min_u32_e32 v14, 32, v14
	v_lshrrev_b16_e32 v12, 3, v13
	v_subrev_u32_e32 v15, 28, v14
	v_and_b32_e32 v12, 15, v12
	v_lshlrev_b32_e32 v15, v15, v13
	v_sub_u32_e32 v14, 29, v14
	v_and_b32_e32 v15, 7, v15
	v_cmp_eq_u16_e32 vcc, 0, v12
	v_cndmask_b32_e32 v11, v11, v15, vcc
	v_cndmask_b32_e32 v12, v12, v14, vcc
	v_lshlrev_b32_e32 v14, 24, v13
	v_mov_b32_e32 v15, 0x3b800000
	v_lshlrev_b32_e32 v11, 20, v11
	v_and_b32_e32 v14, 0x80000000, v14
	v_lshl_add_u32 v12, v12, 23, v15
	v_or3_b32 v11, v14, v12, v11
.LBB30_1640:
	s_or_b64 exec, exec, s[6:7]
	s_nop 0
	v_mfma_f32_16x16x4f32 a[0:3], v10, v11, a[0:3]
	v_lshrrev_b32_e32 v11, 8, v17
	s_movk_i32 s4, 0x7f
	v_cmp_gt_i16_sdwa s[6:7], v11, s4 src0_sel:BYTE_0 src1_sel:DWORD
	s_mov_b64 s[4:5], 0
                                        ; implicit-def: $sgpr10
	s_and_saveexec_b64 s[8:9], s[6:7]
	s_xor_b64 s[6:7], exec, s[8:9]
	s_cbranch_execnz .LBB30_3689
; %bb.1641:
	s_or_saveexec_b64 s[6:7], s[6:7]
	v_mov_b32_e32 v10, s10
	s_xor_b64 exec, exec, s[6:7]
	s_cbranch_execnz .LBB30_3692
.LBB30_1642:
	s_or_b64 exec, exec, s[6:7]
	s_and_saveexec_b64 s[6:7], s[4:5]
	s_cbranch_execz .LBB30_1644
.LBB30_1643:
	v_bfe_u32 v10, v17, 8, 3
	v_ffbh_u32_e32 v14, v10
	v_min_u32_e32 v14, 32, v14
	v_lshrrev_b16_e32 v12, 3, v11
	v_subrev_u32_e32 v15, 28, v14
	v_and_b32_e32 v12, 15, v12
	v_lshlrev_b32_e32 v11, v15, v11
	v_sub_u32_e32 v14, 29, v14
	v_and_b32_e32 v11, 7, v11
	v_cmp_eq_u16_e32 vcc, 0, v12
	v_cndmask_b32_e32 v10, v10, v11, vcc
	v_cndmask_b32_e32 v11, v12, v14, vcc
	v_lshlrev_b32_e32 v12, 16, v17
	v_mov_b32_e32 v14, 0x3b800000
	v_lshlrev_b32_e32 v10, 20, v10
	v_and_b32_e32 v12, 0x80000000, v12
	v_lshl_add_u32 v11, v11, 23, v14
	v_or3_b32 v10, v12, v11, v10
.LBB30_1644:
	s_or_b64 exec, exec, s[6:7]
	v_lshrrev_b32_e32 v11, 8, v13
	s_movk_i32 s4, 0x7f
	v_cmp_gt_i16_sdwa s[6:7], v11, s4 src0_sel:BYTE_0 src1_sel:DWORD
	s_mov_b64 s[4:5], 0
                                        ; implicit-def: $sgpr10
	s_and_saveexec_b64 s[8:9], s[6:7]
	s_xor_b64 s[6:7], exec, s[8:9]
	s_cbranch_execnz .LBB30_3693
; %bb.1645:
	s_or_saveexec_b64 s[6:7], s[6:7]
	v_mov_b32_e32 v12, s10
	s_xor_b64 exec, exec, s[6:7]
	s_cbranch_execnz .LBB30_3696
.LBB30_1646:
	s_or_b64 exec, exec, s[6:7]
	s_and_saveexec_b64 s[6:7], s[4:5]
	s_cbranch_execz .LBB30_1648
.LBB30_1647:
	v_bfe_u32 v12, v13, 8, 3
	v_ffbh_u32_e32 v15, v12
	v_min_u32_e32 v15, 32, v15
	v_lshrrev_b16_e32 v14, 3, v11
	v_subrev_u32_e32 v16, 28, v15
	v_and_b32_e32 v14, 15, v14
	v_lshlrev_b32_e32 v11, v16, v11
	v_sub_u32_e32 v15, 29, v15
	v_and_b32_e32 v11, 7, v11
	v_cmp_eq_u16_e32 vcc, 0, v14
	v_cndmask_b32_e32 v11, v12, v11, vcc
	v_cndmask_b32_e32 v12, v14, v15, vcc
	v_lshlrev_b32_e32 v14, 16, v13
	v_mov_b32_e32 v15, 0x3b800000
	v_lshlrev_b32_e32 v11, 20, v11
	v_and_b32_e32 v14, 0x80000000, v14
	v_lshl_add_u32 v12, v12, 23, v15
	v_or3_b32 v12, v14, v12, v11
.LBB30_1648:
	s_or_b64 exec, exec, s[6:7]
	s_nop 0
	v_mfma_f32_16x16x4f32 a[0:3], v10, v12, a[0:3]
	s_movk_i32 s4, 0xff
	v_and_b32_sdwa v11, v17, s4 dst_sel:DWORD dst_unused:UNUSED_PAD src0_sel:WORD_1 src1_sel:DWORD
	s_movk_i32 s4, 0x7f
	v_cmp_lt_i16_e32 vcc, s4, v11
	s_mov_b64 s[4:5], 0
                                        ; implicit-def: $sgpr10
	s_and_saveexec_b64 s[6:7], vcc
	s_xor_b64 s[6:7], exec, s[6:7]
	s_cbranch_execnz .LBB30_3697
; %bb.1649:
	s_or_saveexec_b64 s[6:7], s[6:7]
	v_mov_b32_e32 v10, s10
	s_xor_b64 exec, exec, s[6:7]
	s_cbranch_execnz .LBB30_3700
.LBB30_1650:
	s_or_b64 exec, exec, s[6:7]
	s_and_saveexec_b64 s[6:7], s[4:5]
	s_cbranch_execz .LBB30_1652
.LBB30_1651:
	v_bfe_u32 v10, v17, 16, 3
	v_ffbh_u32_e32 v14, v10
	v_min_u32_e32 v14, 32, v14
	v_lshrrev_b32_e32 v11, 19, v17
	v_subrev_u32_e32 v15, 28, v14
	v_and_b32_e32 v11, 15, v11
	v_lshlrev_b32_sdwa v15, v15, v17 dst_sel:DWORD dst_unused:UNUSED_PAD src0_sel:DWORD src1_sel:WORD_1
	v_bfe_u32 v12, v17, 19, 4
	v_sub_u32_e32 v14, 29, v14
	v_and_b32_e32 v15, 7, v15
	v_cmp_eq_u16_e32 vcc, 0, v11
	v_cndmask_b32_e32 v10, v10, v15, vcc
	v_cndmask_b32_e32 v11, v12, v14, vcc
	v_lshlrev_b32_e32 v12, 8, v17
	v_mov_b32_e32 v14, 0x3b800000
	v_lshlrev_b32_e32 v10, 20, v10
	v_and_b32_e32 v12, 0x80000000, v12
	v_lshl_add_u32 v11, v11, 23, v14
	v_or3_b32 v10, v12, v11, v10
.LBB30_1652:
	s_or_b64 exec, exec, s[6:7]
	s_movk_i32 s4, 0xff
	v_and_b32_sdwa v11, v13, s4 dst_sel:DWORD dst_unused:UNUSED_PAD src0_sel:WORD_1 src1_sel:DWORD
	s_movk_i32 s4, 0x7f
	v_cmp_lt_i16_e32 vcc, s4, v11
	s_mov_b64 s[4:5], 0
                                        ; implicit-def: $sgpr10
	s_and_saveexec_b64 s[6:7], vcc
	s_xor_b64 s[6:7], exec, s[6:7]
	s_cbranch_execnz .LBB30_3701
; %bb.1653:
	s_or_saveexec_b64 s[6:7], s[6:7]
	v_mov_b32_e32 v12, s10
	s_xor_b64 exec, exec, s[6:7]
	s_cbranch_execnz .LBB30_3704
.LBB30_1654:
	s_or_b64 exec, exec, s[6:7]
	s_and_saveexec_b64 s[6:7], s[4:5]
	s_cbranch_execz .LBB30_1656
.LBB30_1655:
	v_bfe_u32 v11, v13, 16, 3
	v_ffbh_u32_e32 v15, v11
	v_min_u32_e32 v15, 32, v15
	v_lshrrev_b32_e32 v12, 19, v13
	v_subrev_u32_e32 v16, 28, v15
	v_and_b32_e32 v12, 15, v12
	v_lshlrev_b32_sdwa v16, v16, v13 dst_sel:DWORD dst_unused:UNUSED_PAD src0_sel:DWORD src1_sel:WORD_1
	v_bfe_u32 v14, v13, 19, 4
	v_sub_u32_e32 v15, 29, v15
	v_and_b32_e32 v16, 7, v16
	v_cmp_eq_u16_e32 vcc, 0, v12
	v_cndmask_b32_e32 v11, v11, v16, vcc
	v_cndmask_b32_e32 v12, v14, v15, vcc
	v_lshlrev_b32_e32 v14, 8, v13
	v_mov_b32_e32 v15, 0x3b800000
	v_lshlrev_b32_e32 v11, 20, v11
	v_and_b32_e32 v14, 0x80000000, v14
	v_lshl_add_u32 v12, v12, 23, v15
	v_or3_b32 v12, v14, v12, v11
.LBB30_1656:
	s_or_b64 exec, exec, s[6:7]
	s_nop 0
	v_mfma_f32_16x16x4f32 a[0:3], v10, v12, a[0:3]
	s_movk_i32 s4, 0x7f
	v_cmp_gt_i16_sdwa s[6:7], v17, s4 src0_sel:BYTE_3 src1_sel:DWORD
	s_mov_b64 s[4:5], 0
                                        ; implicit-def: $sgpr10
	s_and_saveexec_b64 s[8:9], s[6:7]
	s_xor_b64 s[6:7], exec, s[8:9]
	s_cbranch_execnz .LBB30_3705
; %bb.1657:
	s_or_saveexec_b64 s[6:7], s[6:7]
	v_mov_b32_e32 v10, s10
	s_xor_b64 exec, exec, s[6:7]
	s_cbranch_execnz .LBB30_3708
.LBB30_1658:
	s_or_b64 exec, exec, s[6:7]
	s_and_saveexec_b64 s[6:7], s[4:5]
	s_cbranch_execz .LBB30_1660
.LBB30_1659:
	v_bfe_u32 v10, v17, 24, 3
	v_ffbh_u32_e32 v15, v10
	v_min_u32_e32 v15, 32, v15
	v_lshrrev_b32_e32 v12, 27, v17
	v_subrev_u32_e32 v16, 28, v15
	v_and_b32_e32 v12, 15, v12
	v_lshlrev_b32_sdwa v16, v16, v17 dst_sel:DWORD dst_unused:UNUSED_PAD src0_sel:DWORD src1_sel:BYTE_3
	v_bfe_u32 v14, v17, 27, 4
	v_sub_u32_e32 v15, 29, v15
	v_and_b32_e32 v16, 7, v16
	v_cmp_eq_u16_e32 vcc, 0, v12
	v_cndmask_b32_e32 v10, v10, v16, vcc
	v_cndmask_b32_e32 v12, v14, v15, vcc
	v_mov_b32_e32 v14, 0x3b800000
	v_and_b32_e32 v11, 0x80000000, v17
	v_lshlrev_b32_e32 v10, 20, v10
	v_lshl_add_u32 v12, v12, 23, v14
	v_or3_b32 v10, v11, v12, v10
.LBB30_1660:
	s_or_b64 exec, exec, s[6:7]
	s_movk_i32 s4, 0x7f
	v_cmp_gt_i16_sdwa s[6:7], v13, s4 src0_sel:BYTE_3 src1_sel:DWORD
	s_mov_b64 s[4:5], 0
                                        ; implicit-def: $sgpr10
	s_and_saveexec_b64 s[8:9], s[6:7]
	s_xor_b64 s[6:7], exec, s[8:9]
	s_cbranch_execnz .LBB30_3709
; %bb.1661:
	s_or_saveexec_b64 s[6:7], s[6:7]
	v_mov_b32_e32 v11, s10
	s_xor_b64 exec, exec, s[6:7]
	s_cbranch_execnz .LBB30_3712
.LBB30_1662:
	s_or_b64 exec, exec, s[6:7]
	s_and_saveexec_b64 s[6:7], s[4:5]
	s_cbranch_execz .LBB30_1664
.LBB30_1663:
	v_bfe_u32 v11, v13, 24, 3
	v_ffbh_u32_e32 v16, v11
	v_min_u32_e32 v16, 32, v16
	v_lshrrev_b32_e32 v14, 27, v13
	v_subrev_u32_e32 v17, 28, v16
	v_and_b32_e32 v12, 0x80000000, v13
	v_and_b32_e32 v14, 15, v14
	v_bfe_u32 v15, v13, 27, 4
	v_lshlrev_b32_sdwa v13, v17, v13 dst_sel:DWORD dst_unused:UNUSED_PAD src0_sel:DWORD src1_sel:BYTE_3
	v_sub_u32_e32 v16, 29, v16
	v_and_b32_e32 v13, 7, v13
	v_cmp_eq_u16_e32 vcc, 0, v14
	v_cndmask_b32_e32 v11, v11, v13, vcc
	v_cndmask_b32_e32 v13, v15, v16, vcc
	v_mov_b32_e32 v14, 0x3b800000
	v_lshlrev_b32_e32 v11, 20, v11
	v_lshl_add_u32 v13, v13, 23, v14
	v_or3_b32 v11, v12, v13, v11
.LBB30_1664:
	s_or_b64 exec, exec, s[6:7]
	s_nop 0
	v_mfma_f32_16x16x4f32 a[0:3], v10, v11, a[0:3]
	s_movk_i32 s4, 0x7f
	v_cmp_gt_i16_sdwa s[6:7], v6, s4 src0_sel:BYTE_0 src1_sel:DWORD
	s_mov_b64 s[4:5], 0
                                        ; implicit-def: $sgpr10
	s_and_saveexec_b64 s[8:9], s[6:7]
	s_xor_b64 s[6:7], exec, s[8:9]
	s_cbranch_execnz .LBB30_3713
; %bb.1665:
	s_or_saveexec_b64 s[6:7], s[6:7]
	v_mov_b32_e32 v10, s10
	s_xor_b64 exec, exec, s[6:7]
	s_cbranch_execnz .LBB30_3716
.LBB30_1666:
	s_or_b64 exec, exec, s[6:7]
	s_and_saveexec_b64 s[6:7], s[4:5]
	s_cbranch_execz .LBB30_1668
.LBB30_1667:
	v_and_b32_e32 v10, 7, v6
	v_ffbh_u32_e32 v12, v10
	v_min_u32_e32 v12, 32, v12
	v_lshrrev_b16_e32 v11, 3, v6
	v_subrev_u32_e32 v13, 28, v12
	v_and_b32_e32 v11, 15, v11
	v_lshlrev_b32_e32 v13, v13, v6
	v_sub_u32_e32 v12, 29, v12
	v_and_b32_e32 v13, 7, v13
	v_cmp_eq_u16_e32 vcc, 0, v11
	v_cndmask_b32_e32 v10, v10, v13, vcc
	v_cndmask_b32_e32 v11, v11, v12, vcc
	v_lshlrev_b32_e32 v12, 24, v6
	v_mov_b32_e32 v13, 0x3b800000
	v_lshlrev_b32_e32 v10, 20, v10
	v_and_b32_e32 v12, 0x80000000, v12
	v_lshl_add_u32 v11, v11, 23, v13
	v_or3_b32 v10, v12, v11, v10
.LBB30_1668:
	s_or_b64 exec, exec, s[6:7]
	s_movk_i32 s4, 0x7f
	v_cmp_gt_i16_sdwa s[6:7], v2, s4 src0_sel:BYTE_0 src1_sel:DWORD
	s_mov_b64 s[4:5], 0
                                        ; implicit-def: $sgpr10
	s_and_saveexec_b64 s[8:9], s[6:7]
	s_xor_b64 s[6:7], exec, s[8:9]
	s_cbranch_execnz .LBB30_3717
; %bb.1669:
	s_or_saveexec_b64 s[6:7], s[6:7]
	v_mov_b32_e32 v11, s10
	s_xor_b64 exec, exec, s[6:7]
	s_cbranch_execnz .LBB30_3720
.LBB30_1670:
	s_or_b64 exec, exec, s[6:7]
	s_and_saveexec_b64 s[6:7], s[4:5]
	s_cbranch_execz .LBB30_1672
.LBB30_1671:
	v_and_b32_e32 v11, 7, v2
	v_ffbh_u32_e32 v13, v11
	v_min_u32_e32 v13, 32, v13
	v_lshrrev_b16_e32 v12, 3, v2
	v_subrev_u32_e32 v14, 28, v13
	v_and_b32_e32 v12, 15, v12
	v_lshlrev_b32_e32 v14, v14, v2
	v_sub_u32_e32 v13, 29, v13
	v_and_b32_e32 v14, 7, v14
	v_cmp_eq_u16_e32 vcc, 0, v12
	v_cndmask_b32_e32 v11, v11, v14, vcc
	v_cndmask_b32_e32 v12, v12, v13, vcc
	v_lshlrev_b32_e32 v13, 24, v2
	v_mov_b32_e32 v14, 0x3b800000
	v_lshlrev_b32_e32 v11, 20, v11
	v_and_b32_e32 v13, 0x80000000, v13
	v_lshl_add_u32 v12, v12, 23, v14
	v_or3_b32 v11, v13, v12, v11
.LBB30_1672:
	s_or_b64 exec, exec, s[6:7]
	s_nop 0
	v_mfma_f32_16x16x4f32 a[0:3], v10, v11, a[0:3]
	v_lshrrev_b32_e32 v11, 8, v6
	s_movk_i32 s4, 0x7f
	v_cmp_gt_i16_sdwa s[6:7], v11, s4 src0_sel:BYTE_0 src1_sel:DWORD
	s_mov_b64 s[4:5], 0
                                        ; implicit-def: $sgpr10
	s_and_saveexec_b64 s[8:9], s[6:7]
	s_xor_b64 s[6:7], exec, s[8:9]
	s_cbranch_execnz .LBB30_3721
; %bb.1673:
	s_or_saveexec_b64 s[6:7], s[6:7]
	v_mov_b32_e32 v10, s10
	s_xor_b64 exec, exec, s[6:7]
	s_cbranch_execnz .LBB30_3724
.LBB30_1674:
	s_or_b64 exec, exec, s[6:7]
	s_and_saveexec_b64 s[6:7], s[4:5]
	s_cbranch_execz .LBB30_1676
.LBB30_1675:
	v_bfe_u32 v10, v6, 8, 3
	v_ffbh_u32_e32 v13, v10
	v_min_u32_e32 v13, 32, v13
	v_lshrrev_b16_e32 v12, 3, v11
	v_subrev_u32_e32 v14, 28, v13
	v_and_b32_e32 v12, 15, v12
	v_lshlrev_b32_e32 v11, v14, v11
	v_sub_u32_e32 v13, 29, v13
	v_and_b32_e32 v11, 7, v11
	v_cmp_eq_u16_e32 vcc, 0, v12
	v_cndmask_b32_e32 v10, v10, v11, vcc
	v_cndmask_b32_e32 v11, v12, v13, vcc
	v_lshlrev_b32_e32 v12, 16, v6
	v_mov_b32_e32 v13, 0x3b800000
	v_lshlrev_b32_e32 v10, 20, v10
	v_and_b32_e32 v12, 0x80000000, v12
	v_lshl_add_u32 v11, v11, 23, v13
	v_or3_b32 v10, v12, v11, v10
.LBB30_1676:
	s_or_b64 exec, exec, s[6:7]
	v_lshrrev_b32_e32 v11, 8, v2
	s_movk_i32 s4, 0x7f
	v_cmp_gt_i16_sdwa s[6:7], v11, s4 src0_sel:BYTE_0 src1_sel:DWORD
	s_mov_b64 s[4:5], 0
                                        ; implicit-def: $sgpr10
	s_and_saveexec_b64 s[8:9], s[6:7]
	s_xor_b64 s[6:7], exec, s[8:9]
	s_cbranch_execnz .LBB30_3725
; %bb.1677:
	s_or_saveexec_b64 s[6:7], s[6:7]
	v_mov_b32_e32 v12, s10
	s_xor_b64 exec, exec, s[6:7]
	s_cbranch_execnz .LBB30_3728
.LBB30_1678:
	s_or_b64 exec, exec, s[6:7]
	s_and_saveexec_b64 s[6:7], s[4:5]
	s_cbranch_execz .LBB30_1680
.LBB30_1679:
	v_bfe_u32 v12, v2, 8, 3
	v_ffbh_u32_e32 v14, v12
	v_min_u32_e32 v14, 32, v14
	v_lshrrev_b16_e32 v13, 3, v11
	v_subrev_u32_e32 v15, 28, v14
	v_and_b32_e32 v13, 15, v13
	v_lshlrev_b32_e32 v11, v15, v11
	v_sub_u32_e32 v14, 29, v14
	v_and_b32_e32 v11, 7, v11
	v_cmp_eq_u16_e32 vcc, 0, v13
	v_cndmask_b32_e32 v11, v12, v11, vcc
	v_cndmask_b32_e32 v12, v13, v14, vcc
	v_lshlrev_b32_e32 v13, 16, v2
	v_mov_b32_e32 v14, 0x3b800000
	v_lshlrev_b32_e32 v11, 20, v11
	v_and_b32_e32 v13, 0x80000000, v13
	v_lshl_add_u32 v12, v12, 23, v14
	v_or3_b32 v12, v13, v12, v11
.LBB30_1680:
	s_or_b64 exec, exec, s[6:7]
	s_nop 0
	v_mfma_f32_16x16x4f32 a[0:3], v10, v12, a[0:3]
	s_movk_i32 s4, 0xff
	v_and_b32_sdwa v11, v6, s4 dst_sel:DWORD dst_unused:UNUSED_PAD src0_sel:WORD_1 src1_sel:DWORD
	s_movk_i32 s4, 0x7f
	v_cmp_lt_i16_e32 vcc, s4, v11
	s_mov_b64 s[4:5], 0
                                        ; implicit-def: $sgpr10
	s_and_saveexec_b64 s[6:7], vcc
	s_xor_b64 s[6:7], exec, s[6:7]
	s_cbranch_execnz .LBB30_3729
; %bb.1681:
	s_or_saveexec_b64 s[6:7], s[6:7]
	v_mov_b32_e32 v10, s10
	s_xor_b64 exec, exec, s[6:7]
	s_cbranch_execnz .LBB30_3732
.LBB30_1682:
	s_or_b64 exec, exec, s[6:7]
	s_and_saveexec_b64 s[6:7], s[4:5]
	s_cbranch_execz .LBB30_1684
.LBB30_1683:
	v_bfe_u32 v10, v6, 16, 3
	v_ffbh_u32_e32 v13, v10
	v_min_u32_e32 v13, 32, v13
	v_lshrrev_b32_e32 v11, 19, v6
	v_subrev_u32_e32 v14, 28, v13
	v_and_b32_e32 v11, 15, v11
	v_lshlrev_b32_sdwa v14, v14, v6 dst_sel:DWORD dst_unused:UNUSED_PAD src0_sel:DWORD src1_sel:WORD_1
	v_bfe_u32 v12, v6, 19, 4
	v_sub_u32_e32 v13, 29, v13
	v_and_b32_e32 v14, 7, v14
	v_cmp_eq_u16_e32 vcc, 0, v11
	v_cndmask_b32_e32 v10, v10, v14, vcc
	v_cndmask_b32_e32 v11, v12, v13, vcc
	v_lshlrev_b32_e32 v12, 8, v6
	v_mov_b32_e32 v13, 0x3b800000
	v_lshlrev_b32_e32 v10, 20, v10
	v_and_b32_e32 v12, 0x80000000, v12
	v_lshl_add_u32 v11, v11, 23, v13
	v_or3_b32 v10, v12, v11, v10
.LBB30_1684:
	s_or_b64 exec, exec, s[6:7]
	s_movk_i32 s4, 0xff
	v_and_b32_sdwa v11, v2, s4 dst_sel:DWORD dst_unused:UNUSED_PAD src0_sel:WORD_1 src1_sel:DWORD
	s_movk_i32 s4, 0x7f
	v_cmp_lt_i16_e32 vcc, s4, v11
	s_mov_b64 s[4:5], 0
                                        ; implicit-def: $sgpr10
	s_and_saveexec_b64 s[6:7], vcc
	s_xor_b64 s[6:7], exec, s[6:7]
	s_cbranch_execnz .LBB30_3733
; %bb.1685:
	s_or_saveexec_b64 s[6:7], s[6:7]
	v_mov_b32_e32 v12, s10
	s_xor_b64 exec, exec, s[6:7]
	s_cbranch_execnz .LBB30_3736
.LBB30_1686:
	s_or_b64 exec, exec, s[6:7]
	s_and_saveexec_b64 s[6:7], s[4:5]
	s_cbranch_execz .LBB30_1688
.LBB30_1687:
	v_bfe_u32 v11, v2, 16, 3
	v_ffbh_u32_e32 v14, v11
	v_min_u32_e32 v14, 32, v14
	v_lshrrev_b32_e32 v12, 19, v2
	v_subrev_u32_e32 v15, 28, v14
	v_and_b32_e32 v12, 15, v12
	v_lshlrev_b32_sdwa v15, v15, v2 dst_sel:DWORD dst_unused:UNUSED_PAD src0_sel:DWORD src1_sel:WORD_1
	v_bfe_u32 v13, v2, 19, 4
	v_sub_u32_e32 v14, 29, v14
	v_and_b32_e32 v15, 7, v15
	v_cmp_eq_u16_e32 vcc, 0, v12
	v_cndmask_b32_e32 v11, v11, v15, vcc
	v_cndmask_b32_e32 v12, v13, v14, vcc
	v_lshlrev_b32_e32 v13, 8, v2
	v_mov_b32_e32 v14, 0x3b800000
	v_lshlrev_b32_e32 v11, 20, v11
	v_and_b32_e32 v13, 0x80000000, v13
	v_lshl_add_u32 v12, v12, 23, v14
	v_or3_b32 v12, v13, v12, v11
.LBB30_1688:
	s_or_b64 exec, exec, s[6:7]
	s_nop 0
	v_mfma_f32_16x16x4f32 a[0:3], v10, v12, a[0:3]
	s_movk_i32 s4, 0x7f
	v_cmp_gt_i16_sdwa s[6:7], v6, s4 src0_sel:BYTE_3 src1_sel:DWORD
	s_mov_b64 s[4:5], 0
                                        ; implicit-def: $sgpr10
	s_and_saveexec_b64 s[8:9], s[6:7]
	s_xor_b64 s[6:7], exec, s[8:9]
	s_cbranch_execnz .LBB30_3737
; %bb.1689:
	s_or_saveexec_b64 s[6:7], s[6:7]
	v_mov_b32_e32 v10, s10
	s_xor_b64 exec, exec, s[6:7]
	s_cbranch_execnz .LBB30_3740
.LBB30_1690:
	s_or_b64 exec, exec, s[6:7]
	s_and_saveexec_b64 s[6:7], s[4:5]
	s_cbranch_execz .LBB30_1692
.LBB30_1691:
	v_bfe_u32 v10, v6, 24, 3
	v_ffbh_u32_e32 v14, v10
	v_min_u32_e32 v14, 32, v14
	v_lshrrev_b32_e32 v12, 27, v6
	v_subrev_u32_e32 v15, 28, v14
	v_and_b32_e32 v11, 0x80000000, v6
	v_and_b32_e32 v12, 15, v12
	v_bfe_u32 v13, v6, 27, 4
	v_lshlrev_b32_sdwa v6, v15, v6 dst_sel:DWORD dst_unused:UNUSED_PAD src0_sel:DWORD src1_sel:BYTE_3
	v_sub_u32_e32 v14, 29, v14
	v_and_b32_e32 v6, 7, v6
	v_cmp_eq_u16_e32 vcc, 0, v12
	v_cndmask_b32_e32 v6, v10, v6, vcc
	v_cndmask_b32_e32 v10, v13, v14, vcc
	v_mov_b32_e32 v12, 0x3b800000
	v_lshlrev_b32_e32 v6, 20, v6
	v_lshl_add_u32 v10, v10, 23, v12
	v_or3_b32 v10, v11, v10, v6
.LBB30_1692:
	s_or_b64 exec, exec, s[6:7]
	s_movk_i32 s4, 0x7f
	v_cmp_gt_i16_sdwa s[6:7], v2, s4 src0_sel:BYTE_3 src1_sel:DWORD
	s_mov_b64 s[4:5], 0
                                        ; implicit-def: $sgpr10
	s_and_saveexec_b64 s[8:9], s[6:7]
	s_xor_b64 s[6:7], exec, s[8:9]
	s_cbranch_execnz .LBB30_3741
; %bb.1693:
	s_or_saveexec_b64 s[6:7], s[6:7]
	v_mov_b32_e32 v6, s10
	s_xor_b64 exec, exec, s[6:7]
	s_cbranch_execnz .LBB30_3744
.LBB30_1694:
	s_or_b64 exec, exec, s[6:7]
	s_and_saveexec_b64 s[6:7], s[4:5]
	s_cbranch_execz .LBB30_1696
.LBB30_1695:
	v_bfe_u32 v6, v2, 24, 3
	v_ffbh_u32_e32 v14, v6
	v_min_u32_e32 v14, 32, v14
	v_lshrrev_b32_e32 v12, 27, v2
	v_subrev_u32_e32 v15, 28, v14
	v_and_b32_e32 v11, 0x80000000, v2
	v_and_b32_e32 v12, 15, v12
	v_bfe_u32 v13, v2, 27, 4
	v_lshlrev_b32_sdwa v2, v15, v2 dst_sel:DWORD dst_unused:UNUSED_PAD src0_sel:DWORD src1_sel:BYTE_3
	v_sub_u32_e32 v14, 29, v14
	v_and_b32_e32 v2, 7, v2
	v_cmp_eq_u16_e32 vcc, 0, v12
	v_cndmask_b32_e32 v2, v6, v2, vcc
	v_cndmask_b32_e32 v6, v13, v14, vcc
	v_mov_b32_e32 v12, 0x3b800000
	v_lshlrev_b32_e32 v2, 20, v2
	v_lshl_add_u32 v6, v6, 23, v12
	v_or3_b32 v6, v11, v6, v2
.LBB30_1696:
	s_or_b64 exec, exec, s[6:7]
	s_nop 0
	v_mfma_f32_16x16x4f32 a[0:3], v10, v6, a[0:3]
	s_movk_i32 s4, 0x7f
	v_cmp_gt_i16_sdwa s[6:7], v7, s4 src0_sel:BYTE_0 src1_sel:DWORD
	s_mov_b64 s[4:5], 0
                                        ; implicit-def: $sgpr10
	s_and_saveexec_b64 s[8:9], s[6:7]
	s_xor_b64 s[6:7], exec, s[8:9]
	s_cbranch_execnz .LBB30_3745
; %bb.1697:
	s_or_saveexec_b64 s[6:7], s[6:7]
	v_mov_b32_e32 v2, s10
	s_xor_b64 exec, exec, s[6:7]
	s_cbranch_execnz .LBB30_3748
.LBB30_1698:
	s_or_b64 exec, exec, s[6:7]
	s_and_saveexec_b64 s[6:7], s[4:5]
	s_cbranch_execz .LBB30_1700
.LBB30_1699:
	v_and_b32_e32 v2, 7, v7
	v_ffbh_u32_e32 v10, v2
	v_min_u32_e32 v10, 32, v10
	v_lshrrev_b16_e32 v6, 3, v7
	v_subrev_u32_e32 v11, 28, v10
	v_and_b32_e32 v6, 15, v6
	v_lshlrev_b32_e32 v11, v11, v7
	v_sub_u32_e32 v10, 29, v10
	v_and_b32_e32 v11, 7, v11
	v_cmp_eq_u16_e32 vcc, 0, v6
	v_cndmask_b32_e32 v2, v2, v11, vcc
	v_cndmask_b32_e32 v6, v6, v10, vcc
	v_lshlrev_b32_e32 v10, 24, v7
	v_mov_b32_e32 v11, 0x3b800000
	v_lshlrev_b32_e32 v2, 20, v2
	v_and_b32_e32 v10, 0x80000000, v10
	v_lshl_add_u32 v6, v6, 23, v11
	v_or3_b32 v2, v10, v6, v2
.LBB30_1700:
	s_or_b64 exec, exec, s[6:7]
	s_movk_i32 s4, 0x7f
	v_cmp_gt_i16_sdwa s[6:7], v3, s4 src0_sel:BYTE_0 src1_sel:DWORD
	s_mov_b64 s[4:5], 0
                                        ; implicit-def: $sgpr10
	s_and_saveexec_b64 s[8:9], s[6:7]
	s_xor_b64 s[6:7], exec, s[8:9]
	s_cbranch_execnz .LBB30_3749
; %bb.1701:
	s_or_saveexec_b64 s[6:7], s[6:7]
	v_mov_b32_e32 v6, s10
	s_xor_b64 exec, exec, s[6:7]
	s_cbranch_execnz .LBB30_3752
.LBB30_1702:
	s_or_b64 exec, exec, s[6:7]
	s_and_saveexec_b64 s[6:7], s[4:5]
	s_cbranch_execz .LBB30_1704
.LBB30_1703:
	v_and_b32_e32 v6, 7, v3
	v_ffbh_u32_e32 v11, v6
	v_min_u32_e32 v11, 32, v11
	v_lshrrev_b16_e32 v10, 3, v3
	v_subrev_u32_e32 v12, 28, v11
	v_and_b32_e32 v10, 15, v10
	v_lshlrev_b32_e32 v12, v12, v3
	v_sub_u32_e32 v11, 29, v11
	v_and_b32_e32 v12, 7, v12
	v_cmp_eq_u16_e32 vcc, 0, v10
	v_cndmask_b32_e32 v6, v6, v12, vcc
	v_cndmask_b32_e32 v10, v10, v11, vcc
	v_lshlrev_b32_e32 v11, 24, v3
	v_mov_b32_e32 v12, 0x3b800000
	v_lshlrev_b32_e32 v6, 20, v6
	v_and_b32_e32 v11, 0x80000000, v11
	v_lshl_add_u32 v10, v10, 23, v12
	v_or3_b32 v6, v11, v10, v6
.LBB30_1704:
	s_or_b64 exec, exec, s[6:7]
	s_nop 0
	v_mfma_f32_16x16x4f32 a[0:3], v2, v6, a[0:3]
	v_lshrrev_b32_e32 v6, 8, v7
	s_movk_i32 s4, 0x7f
	v_cmp_gt_i16_sdwa s[6:7], v6, s4 src0_sel:BYTE_0 src1_sel:DWORD
	s_mov_b64 s[4:5], 0
                                        ; implicit-def: $sgpr10
	s_and_saveexec_b64 s[8:9], s[6:7]
	s_xor_b64 s[6:7], exec, s[8:9]
	s_cbranch_execnz .LBB30_3753
; %bb.1705:
	s_or_saveexec_b64 s[6:7], s[6:7]
	v_mov_b32_e32 v2, s10
	s_xor_b64 exec, exec, s[6:7]
	s_cbranch_execnz .LBB30_3756
.LBB30_1706:
	s_or_b64 exec, exec, s[6:7]
	s_and_saveexec_b64 s[6:7], s[4:5]
	s_cbranch_execz .LBB30_1708
.LBB30_1707:
	v_bfe_u32 v2, v7, 8, 3
	v_ffbh_u32_e32 v11, v2
	v_min_u32_e32 v11, 32, v11
	v_lshrrev_b16_e32 v10, 3, v6
	v_subrev_u32_e32 v12, 28, v11
	v_and_b32_e32 v10, 15, v10
	v_lshlrev_b32_e32 v6, v12, v6
	v_sub_u32_e32 v11, 29, v11
	v_and_b32_e32 v6, 7, v6
	v_cmp_eq_u16_e32 vcc, 0, v10
	v_cndmask_b32_e32 v2, v2, v6, vcc
	v_cndmask_b32_e32 v6, v10, v11, vcc
	v_lshlrev_b32_e32 v10, 16, v7
	v_mov_b32_e32 v11, 0x3b800000
	v_lshlrev_b32_e32 v2, 20, v2
	v_and_b32_e32 v10, 0x80000000, v10
	v_lshl_add_u32 v6, v6, 23, v11
	v_or3_b32 v2, v10, v6, v2
.LBB30_1708:
	s_or_b64 exec, exec, s[6:7]
	v_lshrrev_b32_e32 v6, 8, v3
	s_movk_i32 s4, 0x7f
	v_cmp_gt_i16_sdwa s[6:7], v6, s4 src0_sel:BYTE_0 src1_sel:DWORD
	s_mov_b64 s[4:5], 0
                                        ; implicit-def: $sgpr10
	s_and_saveexec_b64 s[8:9], s[6:7]
	s_xor_b64 s[6:7], exec, s[8:9]
	s_cbranch_execnz .LBB30_3757
; %bb.1709:
	s_or_saveexec_b64 s[6:7], s[6:7]
	v_mov_b32_e32 v10, s10
	s_xor_b64 exec, exec, s[6:7]
	s_cbranch_execnz .LBB30_3760
.LBB30_1710:
	s_or_b64 exec, exec, s[6:7]
	s_and_saveexec_b64 s[6:7], s[4:5]
	s_cbranch_execz .LBB30_1712
.LBB30_1711:
	v_bfe_u32 v10, v3, 8, 3
	v_ffbh_u32_e32 v12, v10
	v_min_u32_e32 v12, 32, v12
	v_lshrrev_b16_e32 v11, 3, v6
	v_subrev_u32_e32 v13, 28, v12
	v_and_b32_e32 v11, 15, v11
	v_lshlrev_b32_e32 v6, v13, v6
	v_sub_u32_e32 v12, 29, v12
	v_and_b32_e32 v6, 7, v6
	v_cmp_eq_u16_e32 vcc, 0, v11
	v_cndmask_b32_e32 v6, v10, v6, vcc
	v_cndmask_b32_e32 v10, v11, v12, vcc
	v_lshlrev_b32_e32 v11, 16, v3
	v_mov_b32_e32 v12, 0x3b800000
	v_lshlrev_b32_e32 v6, 20, v6
	v_and_b32_e32 v11, 0x80000000, v11
	v_lshl_add_u32 v10, v10, 23, v12
	v_or3_b32 v10, v11, v10, v6
.LBB30_1712:
	s_or_b64 exec, exec, s[6:7]
	s_nop 0
	v_mfma_f32_16x16x4f32 a[0:3], v2, v10, a[0:3]
	s_movk_i32 s4, 0xff
	v_and_b32_sdwa v6, v7, s4 dst_sel:DWORD dst_unused:UNUSED_PAD src0_sel:WORD_1 src1_sel:DWORD
	s_movk_i32 s4, 0x7f
	v_cmp_lt_i16_e32 vcc, s4, v6
	s_mov_b64 s[4:5], 0
                                        ; implicit-def: $sgpr10
	s_and_saveexec_b64 s[6:7], vcc
	s_xor_b64 s[6:7], exec, s[6:7]
	s_cbranch_execnz .LBB30_3761
; %bb.1713:
	s_or_saveexec_b64 s[6:7], s[6:7]
	v_mov_b32_e32 v2, s10
	s_xor_b64 exec, exec, s[6:7]
	s_cbranch_execnz .LBB30_3764
.LBB30_1714:
	s_or_b64 exec, exec, s[6:7]
	s_and_saveexec_b64 s[6:7], s[4:5]
	s_cbranch_execz .LBB30_1716
.LBB30_1715:
	v_bfe_u32 v2, v7, 16, 3
	v_ffbh_u32_e32 v11, v2
	v_min_u32_e32 v11, 32, v11
	v_lshrrev_b32_e32 v6, 19, v7
	v_subrev_u32_e32 v12, 28, v11
	v_and_b32_e32 v6, 15, v6
	v_lshlrev_b32_sdwa v12, v12, v7 dst_sel:DWORD dst_unused:UNUSED_PAD src0_sel:DWORD src1_sel:WORD_1
	v_bfe_u32 v10, v7, 19, 4
	v_sub_u32_e32 v11, 29, v11
	v_and_b32_e32 v12, 7, v12
	v_cmp_eq_u16_e32 vcc, 0, v6
	v_cndmask_b32_e32 v2, v2, v12, vcc
	v_cndmask_b32_e32 v6, v10, v11, vcc
	v_lshlrev_b32_e32 v10, 8, v7
	v_mov_b32_e32 v11, 0x3b800000
	v_lshlrev_b32_e32 v2, 20, v2
	v_and_b32_e32 v10, 0x80000000, v10
	v_lshl_add_u32 v6, v6, 23, v11
	v_or3_b32 v2, v10, v6, v2
.LBB30_1716:
	s_or_b64 exec, exec, s[6:7]
	s_movk_i32 s4, 0xff
	v_and_b32_sdwa v6, v3, s4 dst_sel:DWORD dst_unused:UNUSED_PAD src0_sel:WORD_1 src1_sel:DWORD
	s_movk_i32 s4, 0x7f
	v_cmp_lt_i16_e32 vcc, s4, v6
	s_mov_b64 s[4:5], 0
                                        ; implicit-def: $sgpr10
	s_and_saveexec_b64 s[6:7], vcc
	s_xor_b64 s[6:7], exec, s[6:7]
	s_cbranch_execnz .LBB30_3765
; %bb.1717:
	s_or_saveexec_b64 s[6:7], s[6:7]
	v_mov_b32_e32 v10, s10
	s_xor_b64 exec, exec, s[6:7]
	s_cbranch_execnz .LBB30_3768
.LBB30_1718:
	s_or_b64 exec, exec, s[6:7]
	s_and_saveexec_b64 s[6:7], s[4:5]
	s_cbranch_execz .LBB30_1720
.LBB30_1719:
	v_bfe_u32 v6, v3, 16, 3
	v_ffbh_u32_e32 v12, v6
	v_min_u32_e32 v12, 32, v12
	v_lshrrev_b32_e32 v10, 19, v3
	v_subrev_u32_e32 v13, 28, v12
	v_and_b32_e32 v10, 15, v10
	v_lshlrev_b32_sdwa v13, v13, v3 dst_sel:DWORD dst_unused:UNUSED_PAD src0_sel:DWORD src1_sel:WORD_1
	v_bfe_u32 v11, v3, 19, 4
	v_sub_u32_e32 v12, 29, v12
	v_and_b32_e32 v13, 7, v13
	v_cmp_eq_u16_e32 vcc, 0, v10
	v_cndmask_b32_e32 v6, v6, v13, vcc
	v_cndmask_b32_e32 v10, v11, v12, vcc
	v_lshlrev_b32_e32 v11, 8, v3
	v_mov_b32_e32 v12, 0x3b800000
	v_lshlrev_b32_e32 v6, 20, v6
	v_and_b32_e32 v11, 0x80000000, v11
	v_lshl_add_u32 v10, v10, 23, v12
	v_or3_b32 v10, v11, v10, v6
.LBB30_1720:
	s_or_b64 exec, exec, s[6:7]
	s_nop 0
	v_mfma_f32_16x16x4f32 a[0:3], v2, v10, a[0:3]
	s_movk_i32 s4, 0x7f
	v_cmp_gt_i16_sdwa s[6:7], v7, s4 src0_sel:BYTE_3 src1_sel:DWORD
	s_mov_b64 s[4:5], 0
                                        ; implicit-def: $sgpr10
	s_and_saveexec_b64 s[8:9], s[6:7]
	s_xor_b64 s[6:7], exec, s[8:9]
	s_cbranch_execnz .LBB30_3769
; %bb.1721:
	s_or_saveexec_b64 s[6:7], s[6:7]
	v_mov_b32_e32 v2, s10
	s_xor_b64 exec, exec, s[6:7]
	s_cbranch_execnz .LBB30_3772
.LBB30_1722:
	s_or_b64 exec, exec, s[6:7]
	s_and_saveexec_b64 s[6:7], s[4:5]
	s_cbranch_execz .LBB30_1724
.LBB30_1723:
	v_bfe_u32 v2, v7, 24, 3
	v_ffbh_u32_e32 v12, v2
	v_min_u32_e32 v12, 32, v12
	v_lshrrev_b32_e32 v10, 27, v7
	v_subrev_u32_e32 v13, 28, v12
	v_and_b32_e32 v6, 0x80000000, v7
	v_and_b32_e32 v10, 15, v10
	v_bfe_u32 v11, v7, 27, 4
	v_lshlrev_b32_sdwa v7, v13, v7 dst_sel:DWORD dst_unused:UNUSED_PAD src0_sel:DWORD src1_sel:BYTE_3
	v_sub_u32_e32 v12, 29, v12
	v_and_b32_e32 v7, 7, v7
	v_cmp_eq_u16_e32 vcc, 0, v10
	v_cndmask_b32_e32 v2, v2, v7, vcc
	v_cndmask_b32_e32 v7, v11, v12, vcc
	v_mov_b32_e32 v10, 0x3b800000
	v_lshlrev_b32_e32 v2, 20, v2
	v_lshl_add_u32 v7, v7, 23, v10
	v_or3_b32 v2, v6, v7, v2
.LBB30_1724:
	s_or_b64 exec, exec, s[6:7]
	s_movk_i32 s4, 0x7f
	v_cmp_gt_i16_sdwa s[6:7], v3, s4 src0_sel:BYTE_3 src1_sel:DWORD
	s_mov_b64 s[4:5], 0
                                        ; implicit-def: $sgpr10
	s_and_saveexec_b64 s[8:9], s[6:7]
	s_xor_b64 s[6:7], exec, s[8:9]
	s_cbranch_execnz .LBB30_3773
; %bb.1725:
	s_or_saveexec_b64 s[6:7], s[6:7]
	v_mov_b32_e32 v6, s10
	s_xor_b64 exec, exec, s[6:7]
	s_cbranch_execnz .LBB30_3776
.LBB30_1726:
	s_or_b64 exec, exec, s[6:7]
	s_and_saveexec_b64 s[6:7], s[4:5]
	s_cbranch_execz .LBB30_1728
.LBB30_1727:
	v_bfe_u32 v6, v3, 24, 3
	v_ffbh_u32_e32 v12, v6
	v_min_u32_e32 v12, 32, v12
	v_lshrrev_b32_e32 v10, 27, v3
	v_subrev_u32_e32 v13, 28, v12
	v_and_b32_e32 v7, 0x80000000, v3
	v_and_b32_e32 v10, 15, v10
	v_bfe_u32 v11, v3, 27, 4
	v_lshlrev_b32_sdwa v3, v13, v3 dst_sel:DWORD dst_unused:UNUSED_PAD src0_sel:DWORD src1_sel:BYTE_3
	v_sub_u32_e32 v12, 29, v12
	v_and_b32_e32 v3, 7, v3
	v_cmp_eq_u16_e32 vcc, 0, v10
	v_cndmask_b32_e32 v3, v6, v3, vcc
	v_cndmask_b32_e32 v6, v11, v12, vcc
	v_mov_b32_e32 v10, 0x3b800000
	v_lshlrev_b32_e32 v3, 20, v3
	v_lshl_add_u32 v6, v6, 23, v10
	v_or3_b32 v6, v7, v6, v3
.LBB30_1728:
	s_or_b64 exec, exec, s[6:7]
	s_nop 0
	v_mfma_f32_16x16x4f32 a[0:3], v2, v6, a[0:3]
	s_movk_i32 s4, 0x7f
	v_cmp_gt_i16_sdwa s[6:7], v8, s4 src0_sel:BYTE_0 src1_sel:DWORD
	s_mov_b64 s[4:5], 0
                                        ; implicit-def: $sgpr10
	s_and_saveexec_b64 s[8:9], s[6:7]
	s_xor_b64 s[6:7], exec, s[8:9]
	s_cbranch_execnz .LBB30_3777
; %bb.1729:
	s_or_saveexec_b64 s[6:7], s[6:7]
	v_mov_b32_e32 v2, s10
	s_xor_b64 exec, exec, s[6:7]
	s_cbranch_execnz .LBB30_3780
.LBB30_1730:
	s_or_b64 exec, exec, s[6:7]
	s_and_saveexec_b64 s[6:7], s[4:5]
	s_cbranch_execz .LBB30_1732
.LBB30_1731:
	v_and_b32_e32 v2, 7, v8
	v_ffbh_u32_e32 v6, v2
	v_min_u32_e32 v6, 32, v6
	v_lshrrev_b16_e32 v3, 3, v8
	v_subrev_u32_e32 v7, 28, v6
	v_and_b32_e32 v3, 15, v3
	v_lshlrev_b32_e32 v7, v7, v8
	v_sub_u32_e32 v6, 29, v6
	v_and_b32_e32 v7, 7, v7
	v_cmp_eq_u16_e32 vcc, 0, v3
	v_cndmask_b32_e32 v2, v2, v7, vcc
	v_cndmask_b32_e32 v3, v3, v6, vcc
	v_lshlrev_b32_e32 v6, 24, v8
	v_mov_b32_e32 v7, 0x3b800000
	v_lshlrev_b32_e32 v2, 20, v2
	v_and_b32_e32 v6, 0x80000000, v6
	v_lshl_add_u32 v3, v3, 23, v7
	v_or3_b32 v2, v6, v3, v2
.LBB30_1732:
	s_or_b64 exec, exec, s[6:7]
	s_movk_i32 s4, 0x7f
	v_cmp_gt_i16_sdwa s[6:7], v4, s4 src0_sel:BYTE_0 src1_sel:DWORD
	s_mov_b64 s[4:5], 0
                                        ; implicit-def: $sgpr10
	s_and_saveexec_b64 s[8:9], s[6:7]
	s_xor_b64 s[6:7], exec, s[8:9]
	s_cbranch_execnz .LBB30_3781
; %bb.1733:
	s_or_saveexec_b64 s[6:7], s[6:7]
	v_mov_b32_e32 v3, s10
	s_xor_b64 exec, exec, s[6:7]
	s_cbranch_execnz .LBB30_3784
.LBB30_1734:
	s_or_b64 exec, exec, s[6:7]
	s_and_saveexec_b64 s[6:7], s[4:5]
	s_cbranch_execz .LBB30_1736
.LBB30_1735:
	v_and_b32_e32 v3, 7, v4
	v_ffbh_u32_e32 v7, v3
	v_min_u32_e32 v7, 32, v7
	v_lshrrev_b16_e32 v6, 3, v4
	v_subrev_u32_e32 v10, 28, v7
	v_and_b32_e32 v6, 15, v6
	v_lshlrev_b32_e32 v10, v10, v4
	v_sub_u32_e32 v7, 29, v7
	v_and_b32_e32 v10, 7, v10
	v_cmp_eq_u16_e32 vcc, 0, v6
	v_cndmask_b32_e32 v3, v3, v10, vcc
	v_cndmask_b32_e32 v6, v6, v7, vcc
	v_lshlrev_b32_e32 v7, 24, v4
	v_mov_b32_e32 v10, 0x3b800000
	v_lshlrev_b32_e32 v3, 20, v3
	v_and_b32_e32 v7, 0x80000000, v7
	v_lshl_add_u32 v6, v6, 23, v10
	v_or3_b32 v3, v7, v6, v3
.LBB30_1736:
	s_or_b64 exec, exec, s[6:7]
	s_nop 0
	v_mfma_f32_16x16x4f32 a[0:3], v2, v3, a[0:3]
	v_lshrrev_b32_e32 v3, 8, v8
	s_movk_i32 s4, 0x7f
	v_cmp_gt_i16_sdwa s[6:7], v3, s4 src0_sel:BYTE_0 src1_sel:DWORD
	s_mov_b64 s[4:5], 0
                                        ; implicit-def: $sgpr10
	s_and_saveexec_b64 s[8:9], s[6:7]
	s_xor_b64 s[6:7], exec, s[8:9]
	s_cbranch_execnz .LBB30_3785
; %bb.1737:
	s_or_saveexec_b64 s[6:7], s[6:7]
	v_mov_b32_e32 v2, s10
	s_xor_b64 exec, exec, s[6:7]
	s_cbranch_execnz .LBB30_3788
.LBB30_1738:
	s_or_b64 exec, exec, s[6:7]
	s_and_saveexec_b64 s[6:7], s[4:5]
	s_cbranch_execz .LBB30_1740
.LBB30_1739:
	v_bfe_u32 v2, v8, 8, 3
	v_ffbh_u32_e32 v7, v2
	v_min_u32_e32 v7, 32, v7
	v_lshrrev_b16_e32 v6, 3, v3
	v_subrev_u32_e32 v10, 28, v7
	v_and_b32_e32 v6, 15, v6
	v_lshlrev_b32_e32 v3, v10, v3
	v_sub_u32_e32 v7, 29, v7
	v_and_b32_e32 v3, 7, v3
	v_cmp_eq_u16_e32 vcc, 0, v6
	v_cndmask_b32_e32 v2, v2, v3, vcc
	v_cndmask_b32_e32 v3, v6, v7, vcc
	v_lshlrev_b32_e32 v6, 16, v8
	v_mov_b32_e32 v7, 0x3b800000
	v_lshlrev_b32_e32 v2, 20, v2
	v_and_b32_e32 v6, 0x80000000, v6
	v_lshl_add_u32 v3, v3, 23, v7
	v_or3_b32 v2, v6, v3, v2
.LBB30_1740:
	s_or_b64 exec, exec, s[6:7]
	v_lshrrev_b32_e32 v3, 8, v4
	s_movk_i32 s4, 0x7f
	v_cmp_gt_i16_sdwa s[6:7], v3, s4 src0_sel:BYTE_0 src1_sel:DWORD
	s_mov_b64 s[4:5], 0
                                        ; implicit-def: $sgpr10
	s_and_saveexec_b64 s[8:9], s[6:7]
	s_xor_b64 s[6:7], exec, s[8:9]
	s_cbranch_execnz .LBB30_3789
; %bb.1741:
	s_or_saveexec_b64 s[6:7], s[6:7]
	v_mov_b32_e32 v6, s10
	s_xor_b64 exec, exec, s[6:7]
	s_cbranch_execnz .LBB30_3792
.LBB30_1742:
	s_or_b64 exec, exec, s[6:7]
	s_and_saveexec_b64 s[6:7], s[4:5]
	s_cbranch_execz .LBB30_1744
.LBB30_1743:
	v_bfe_u32 v6, v4, 8, 3
	v_ffbh_u32_e32 v10, v6
	v_min_u32_e32 v10, 32, v10
	v_lshrrev_b16_e32 v7, 3, v3
	v_subrev_u32_e32 v11, 28, v10
	v_and_b32_e32 v7, 15, v7
	v_lshlrev_b32_e32 v3, v11, v3
	v_sub_u32_e32 v10, 29, v10
	v_and_b32_e32 v3, 7, v3
	v_cmp_eq_u16_e32 vcc, 0, v7
	v_cndmask_b32_e32 v3, v6, v3, vcc
	v_cndmask_b32_e32 v6, v7, v10, vcc
	v_lshlrev_b32_e32 v7, 16, v4
	v_mov_b32_e32 v10, 0x3b800000
	v_lshlrev_b32_e32 v3, 20, v3
	v_and_b32_e32 v7, 0x80000000, v7
	v_lshl_add_u32 v6, v6, 23, v10
	v_or3_b32 v6, v7, v6, v3
.LBB30_1744:
	s_or_b64 exec, exec, s[6:7]
	s_nop 0
	v_mfma_f32_16x16x4f32 a[0:3], v2, v6, a[0:3]
	s_movk_i32 s4, 0xff
	v_and_b32_sdwa v3, v8, s4 dst_sel:DWORD dst_unused:UNUSED_PAD src0_sel:WORD_1 src1_sel:DWORD
	s_movk_i32 s4, 0x7f
	v_cmp_lt_i16_e32 vcc, s4, v3
	s_mov_b64 s[4:5], 0
                                        ; implicit-def: $sgpr10
	s_and_saveexec_b64 s[6:7], vcc
	s_xor_b64 s[6:7], exec, s[6:7]
	s_cbranch_execnz .LBB30_3793
; %bb.1745:
	s_or_saveexec_b64 s[6:7], s[6:7]
	v_mov_b32_e32 v2, s10
	s_xor_b64 exec, exec, s[6:7]
	s_cbranch_execnz .LBB30_3796
.LBB30_1746:
	s_or_b64 exec, exec, s[6:7]
	s_and_saveexec_b64 s[6:7], s[4:5]
	s_cbranch_execz .LBB30_1748
.LBB30_1747:
	v_bfe_u32 v2, v8, 16, 3
	v_ffbh_u32_e32 v7, v2
	v_min_u32_e32 v7, 32, v7
	v_lshrrev_b32_e32 v3, 19, v8
	v_subrev_u32_e32 v10, 28, v7
	v_and_b32_e32 v3, 15, v3
	v_lshlrev_b32_sdwa v10, v10, v8 dst_sel:DWORD dst_unused:UNUSED_PAD src0_sel:DWORD src1_sel:WORD_1
	v_bfe_u32 v6, v8, 19, 4
	v_sub_u32_e32 v7, 29, v7
	v_and_b32_e32 v10, 7, v10
	v_cmp_eq_u16_e32 vcc, 0, v3
	v_cndmask_b32_e32 v2, v2, v10, vcc
	v_cndmask_b32_e32 v3, v6, v7, vcc
	v_lshlrev_b32_e32 v6, 8, v8
	v_mov_b32_e32 v7, 0x3b800000
	v_lshlrev_b32_e32 v2, 20, v2
	v_and_b32_e32 v6, 0x80000000, v6
	v_lshl_add_u32 v3, v3, 23, v7
	v_or3_b32 v2, v6, v3, v2
.LBB30_1748:
	s_or_b64 exec, exec, s[6:7]
	s_movk_i32 s4, 0xff
	v_and_b32_sdwa v3, v4, s4 dst_sel:DWORD dst_unused:UNUSED_PAD src0_sel:WORD_1 src1_sel:DWORD
	s_movk_i32 s4, 0x7f
	v_cmp_lt_i16_e32 vcc, s4, v3
	s_mov_b64 s[4:5], 0
                                        ; implicit-def: $sgpr10
	s_and_saveexec_b64 s[6:7], vcc
	s_xor_b64 s[6:7], exec, s[6:7]
	s_cbranch_execnz .LBB30_3797
; %bb.1749:
	s_or_saveexec_b64 s[6:7], s[6:7]
	v_mov_b32_e32 v6, s10
	s_xor_b64 exec, exec, s[6:7]
	s_cbranch_execnz .LBB30_3800
.LBB30_1750:
	s_or_b64 exec, exec, s[6:7]
	s_and_saveexec_b64 s[6:7], s[4:5]
	s_cbranch_execz .LBB30_1752
.LBB30_1751:
	v_bfe_u32 v3, v4, 16, 3
	v_ffbh_u32_e32 v10, v3
	v_min_u32_e32 v10, 32, v10
	v_lshrrev_b32_e32 v6, 19, v4
	v_subrev_u32_e32 v11, 28, v10
	v_and_b32_e32 v6, 15, v6
	v_lshlrev_b32_sdwa v11, v11, v4 dst_sel:DWORD dst_unused:UNUSED_PAD src0_sel:DWORD src1_sel:WORD_1
	v_bfe_u32 v7, v4, 19, 4
	v_sub_u32_e32 v10, 29, v10
	v_and_b32_e32 v11, 7, v11
	v_cmp_eq_u16_e32 vcc, 0, v6
	v_cndmask_b32_e32 v3, v3, v11, vcc
	v_cndmask_b32_e32 v6, v7, v10, vcc
	v_lshlrev_b32_e32 v7, 8, v4
	v_mov_b32_e32 v10, 0x3b800000
	v_lshlrev_b32_e32 v3, 20, v3
	v_and_b32_e32 v7, 0x80000000, v7
	v_lshl_add_u32 v6, v6, 23, v10
	v_or3_b32 v6, v7, v6, v3
.LBB30_1752:
	s_or_b64 exec, exec, s[6:7]
	s_nop 0
	v_mfma_f32_16x16x4f32 a[0:3], v2, v6, a[0:3]
	s_movk_i32 s4, 0x7f
	v_cmp_gt_i16_sdwa s[6:7], v8, s4 src0_sel:BYTE_3 src1_sel:DWORD
	s_mov_b64 s[4:5], 0
                                        ; implicit-def: $sgpr10
	s_and_saveexec_b64 s[8:9], s[6:7]
	s_xor_b64 s[6:7], exec, s[8:9]
	s_cbranch_execnz .LBB30_3801
; %bb.1753:
	s_or_saveexec_b64 s[6:7], s[6:7]
	v_mov_b32_e32 v2, s10
	s_xor_b64 exec, exec, s[6:7]
	s_cbranch_execnz .LBB30_3804
.LBB30_1754:
	s_or_b64 exec, exec, s[6:7]
	s_and_saveexec_b64 s[6:7], s[4:5]
	s_cbranch_execz .LBB30_1756
.LBB30_1755:
	v_bfe_u32 v2, v8, 24, 3
	v_ffbh_u32_e32 v10, v2
	v_min_u32_e32 v10, 32, v10
	v_lshrrev_b32_e32 v6, 27, v8
	v_subrev_u32_e32 v11, 28, v10
	v_and_b32_e32 v3, 0x80000000, v8
	v_and_b32_e32 v6, 15, v6
	v_bfe_u32 v7, v8, 27, 4
	v_lshlrev_b32_sdwa v8, v11, v8 dst_sel:DWORD dst_unused:UNUSED_PAD src0_sel:DWORD src1_sel:BYTE_3
	v_sub_u32_e32 v10, 29, v10
	v_and_b32_e32 v8, 7, v8
	v_cmp_eq_u16_e32 vcc, 0, v6
	v_cndmask_b32_e32 v2, v2, v8, vcc
	v_cndmask_b32_e32 v6, v7, v10, vcc
	v_mov_b32_e32 v7, 0x3b800000
	v_lshlrev_b32_e32 v2, 20, v2
	v_lshl_add_u32 v6, v6, 23, v7
	v_or3_b32 v2, v3, v6, v2
.LBB30_1756:
	s_or_b64 exec, exec, s[6:7]
	s_movk_i32 s4, 0x7f
	v_cmp_gt_i16_sdwa s[6:7], v4, s4 src0_sel:BYTE_3 src1_sel:DWORD
	s_mov_b64 s[4:5], 0
                                        ; implicit-def: $sgpr10
	s_and_saveexec_b64 s[8:9], s[6:7]
	s_xor_b64 s[6:7], exec, s[8:9]
	s_cbranch_execnz .LBB30_3805
; %bb.1757:
	s_or_saveexec_b64 s[6:7], s[6:7]
	v_mov_b32_e32 v3, s10
	s_xor_b64 exec, exec, s[6:7]
	s_cbranch_execnz .LBB30_3808
.LBB30_1758:
	s_or_b64 exec, exec, s[6:7]
	s_and_saveexec_b64 s[6:7], s[4:5]
	s_cbranch_execz .LBB30_1760
.LBB30_1759:
	v_bfe_u32 v3, v4, 24, 3
	v_ffbh_u32_e32 v10, v3
	v_min_u32_e32 v10, 32, v10
	v_lshrrev_b32_e32 v7, 27, v4
	v_subrev_u32_e32 v11, 28, v10
	v_and_b32_e32 v6, 0x80000000, v4
	v_and_b32_e32 v7, 15, v7
	v_bfe_u32 v8, v4, 27, 4
	v_lshlrev_b32_sdwa v4, v11, v4 dst_sel:DWORD dst_unused:UNUSED_PAD src0_sel:DWORD src1_sel:BYTE_3
	v_sub_u32_e32 v10, 29, v10
	v_and_b32_e32 v4, 7, v4
	v_cmp_eq_u16_e32 vcc, 0, v7
	v_cndmask_b32_e32 v3, v3, v4, vcc
	v_cndmask_b32_e32 v4, v8, v10, vcc
	v_mov_b32_e32 v7, 0x3b800000
	v_lshlrev_b32_e32 v3, 20, v3
	v_lshl_add_u32 v4, v4, 23, v7
	v_or3_b32 v3, v6, v4, v3
.LBB30_1760:
	s_or_b64 exec, exec, s[6:7]
	s_nop 0
	v_mfma_f32_16x16x4f32 a[0:3], v2, v3, a[0:3]
	s_movk_i32 s4, 0x7f
	v_cmp_gt_i16_sdwa s[6:7], v9, s4 src0_sel:BYTE_0 src1_sel:DWORD
	s_mov_b64 s[4:5], 0
                                        ; implicit-def: $sgpr10
	s_and_saveexec_b64 s[8:9], s[6:7]
	s_xor_b64 s[6:7], exec, s[8:9]
	s_cbranch_execnz .LBB30_3809
; %bb.1761:
	s_or_saveexec_b64 s[6:7], s[6:7]
	v_mov_b32_e32 v2, s10
	s_xor_b64 exec, exec, s[6:7]
	s_cbranch_execnz .LBB30_3812
.LBB30_1762:
	s_or_b64 exec, exec, s[6:7]
	s_and_saveexec_b64 s[6:7], s[4:5]
	s_cbranch_execz .LBB30_1764
.LBB30_1763:
	v_mov_b32_e32 v2, 8
	v_and_b32_e32 v3, 7, v9
	v_lshrrev_b32_sdwa v2, v2, v9 dst_sel:BYTE_1 dst_unused:UNUSED_PAD src0_sel:DWORD src1_sel:DWORD
	v_ffbh_u32_e32 v4, v3
	v_or_b32_sdwa v2, v9, v2 dst_sel:DWORD dst_unused:UNUSED_PAD src0_sel:BYTE_0 src1_sel:DWORD
	v_min_u32_e32 v4, 32, v4
	v_lshrrev_b16_e32 v2, 3, v2
	v_subrev_u32_e32 v6, 28, v4
	v_and_b32_e32 v2, 15, v2
	v_lshlrev_b32_e32 v6, v6, v9
	v_sub_u32_e32 v4, 29, v4
	v_and_b32_e32 v6, 7, v6
	v_cmp_eq_u16_e32 vcc, 0, v2
	v_cndmask_b32_e32 v3, v3, v6, vcc
	v_cndmask_b32_e32 v2, v2, v4, vcc
	v_lshlrev_b32_e32 v4, 24, v9
	v_mov_b32_e32 v6, 0x3b800000
	v_lshlrev_b32_e32 v3, 20, v3
	v_and_b32_e32 v4, 0x80000000, v4
	v_lshl_add_u32 v2, v2, 23, v6
	v_or3_b32 v2, v4, v2, v3
.LBB30_1764:
	s_or_b64 exec, exec, s[6:7]
	s_movk_i32 s4, 0x7f
	v_cmp_gt_i16_sdwa s[6:7], v5, s4 src0_sel:BYTE_0 src1_sel:DWORD
	s_mov_b64 s[4:5], 0
                                        ; implicit-def: $sgpr10
	s_and_saveexec_b64 s[8:9], s[6:7]
	s_xor_b64 s[6:7], exec, s[8:9]
	s_cbranch_execnz .LBB30_3813
; %bb.1765:
	s_or_saveexec_b64 s[6:7], s[6:7]
	v_mov_b32_e32 v3, s10
	s_xor_b64 exec, exec, s[6:7]
	s_cbranch_execnz .LBB30_3816
.LBB30_1766:
	s_or_b64 exec, exec, s[6:7]
	s_and_saveexec_b64 s[6:7], s[4:5]
	s_cbranch_execz .LBB30_1768
.LBB30_1767:
	v_mov_b32_e32 v3, 8
	v_and_b32_e32 v4, 7, v5
	v_lshrrev_b32_sdwa v3, v3, v5 dst_sel:BYTE_1 dst_unused:UNUSED_PAD src0_sel:DWORD src1_sel:DWORD
	v_ffbh_u32_e32 v6, v4
	v_or_b32_sdwa v3, v5, v3 dst_sel:DWORD dst_unused:UNUSED_PAD src0_sel:BYTE_0 src1_sel:DWORD
	v_min_u32_e32 v6, 32, v6
	v_lshrrev_b16_e32 v3, 3, v3
	v_subrev_u32_e32 v7, 28, v6
	v_and_b32_e32 v3, 15, v3
	v_lshlrev_b32_e32 v7, v7, v5
	v_sub_u32_e32 v6, 29, v6
	v_and_b32_e32 v7, 7, v7
	v_cmp_eq_u16_e32 vcc, 0, v3
	v_cndmask_b32_e32 v4, v4, v7, vcc
	v_cndmask_b32_e32 v3, v3, v6, vcc
	v_lshlrev_b32_e32 v6, 24, v5
	v_mov_b32_e32 v7, 0x3b800000
	v_lshlrev_b32_e32 v4, 20, v4
	v_and_b32_e32 v6, 0x80000000, v6
	v_lshl_add_u32 v3, v3, 23, v7
	v_or3_b32 v3, v6, v3, v4
.LBB30_1768:
	s_or_b64 exec, exec, s[6:7]
	s_nop 0
	v_mfma_f32_16x16x4f32 a[0:3], v2, v3, a[0:3]
	v_lshrrev_b32_e32 v3, 8, v9
	s_movk_i32 s4, 0x7f
	v_cmp_gt_i16_sdwa s[6:7], v3, s4 src0_sel:BYTE_0 src1_sel:DWORD
	s_mov_b64 s[4:5], 0
                                        ; implicit-def: $sgpr10
	s_and_saveexec_b64 s[8:9], s[6:7]
	s_xor_b64 s[6:7], exec, s[8:9]
	s_cbranch_execnz .LBB30_3817
; %bb.1769:
	s_or_saveexec_b64 s[6:7], s[6:7]
	v_mov_b32_e32 v2, s10
	s_xor_b64 exec, exec, s[6:7]
	s_cbranch_execnz .LBB30_3820
.LBB30_1770:
	s_or_b64 exec, exec, s[6:7]
	s_and_saveexec_b64 s[6:7], s[4:5]
	s_cbranch_execz .LBB30_1772
.LBB30_1771:
	v_bfe_u32 v2, v9, 8, 3
	v_ffbh_u32_e32 v6, v2
	v_min_u32_e32 v6, 32, v6
	v_lshrrev_b16_e32 v4, 3, v3
	v_subrev_u32_e32 v7, 28, v6
	v_and_b32_e32 v4, 15, v4
	v_lshlrev_b32_e32 v3, v7, v3
	v_sub_u32_e32 v6, 29, v6
	v_and_b32_e32 v3, 7, v3
	v_cmp_eq_u16_e32 vcc, 0, v4
	v_cndmask_b32_e32 v2, v2, v3, vcc
	v_cndmask_b32_e32 v3, v4, v6, vcc
	v_lshlrev_b32_e32 v4, 16, v9
	v_mov_b32_e32 v6, 0x3b800000
	v_lshlrev_b32_e32 v2, 20, v2
	v_and_b32_e32 v4, 0x80000000, v4
	v_lshl_add_u32 v3, v3, 23, v6
	v_or3_b32 v2, v4, v3, v2
.LBB30_1772:
	s_or_b64 exec, exec, s[6:7]
	v_lshrrev_b32_e32 v3, 8, v5
	s_movk_i32 s4, 0x7f
	v_cmp_gt_i16_sdwa s[6:7], v3, s4 src0_sel:BYTE_0 src1_sel:DWORD
	s_mov_b64 s[4:5], 0
                                        ; implicit-def: $sgpr10
	s_and_saveexec_b64 s[8:9], s[6:7]
	s_xor_b64 s[6:7], exec, s[8:9]
	s_cbranch_execnz .LBB30_3821
; %bb.1773:
	s_or_saveexec_b64 s[6:7], s[6:7]
	v_mov_b32_e32 v4, s10
	s_xor_b64 exec, exec, s[6:7]
	s_cbranch_execnz .LBB30_3824
.LBB30_1774:
	s_or_b64 exec, exec, s[6:7]
	s_and_saveexec_b64 s[6:7], s[4:5]
	s_cbranch_execz .LBB30_1776
.LBB30_1775:
	v_bfe_u32 v4, v5, 8, 3
	v_ffbh_u32_e32 v7, v4
	v_min_u32_e32 v7, 32, v7
	v_lshrrev_b16_e32 v6, 3, v3
	v_subrev_u32_e32 v8, 28, v7
	v_and_b32_e32 v6, 15, v6
	v_lshlrev_b32_e32 v3, v8, v3
	v_sub_u32_e32 v7, 29, v7
	v_and_b32_e32 v3, 7, v3
	v_cmp_eq_u16_e32 vcc, 0, v6
	v_cndmask_b32_e32 v3, v4, v3, vcc
	v_cndmask_b32_e32 v4, v6, v7, vcc
	v_lshlrev_b32_e32 v6, 16, v5
	v_mov_b32_e32 v7, 0x3b800000
	v_lshlrev_b32_e32 v3, 20, v3
	v_and_b32_e32 v6, 0x80000000, v6
	v_lshl_add_u32 v4, v4, 23, v7
	v_or3_b32 v4, v6, v4, v3
.LBB30_1776:
	s_or_b64 exec, exec, s[6:7]
	s_nop 0
	v_mfma_f32_16x16x4f32 a[0:3], v2, v4, a[0:3]
	s_movk_i32 s4, 0xff
	v_and_b32_sdwa v3, v9, s4 dst_sel:DWORD dst_unused:UNUSED_PAD src0_sel:WORD_1 src1_sel:DWORD
	s_movk_i32 s4, 0x7f
	v_cmp_lt_i16_e32 vcc, s4, v3
	s_mov_b64 s[4:5], 0
                                        ; implicit-def: $sgpr10
	s_and_saveexec_b64 s[6:7], vcc
	s_xor_b64 s[6:7], exec, s[6:7]
	s_cbranch_execnz .LBB30_3825
; %bb.1777:
	s_or_saveexec_b64 s[6:7], s[6:7]
	v_mov_b32_e32 v2, s10
	s_xor_b64 exec, exec, s[6:7]
	s_cbranch_execnz .LBB30_3828
.LBB30_1778:
	s_or_b64 exec, exec, s[6:7]
	s_and_saveexec_b64 s[6:7], s[4:5]
	s_cbranch_execz .LBB30_1780
.LBB30_1779:
	v_bfe_u32 v2, v9, 16, 3
	v_ffbh_u32_e32 v6, v2
	v_min_u32_e32 v6, 32, v6
	v_lshrrev_b32_e32 v3, 19, v9
	v_subrev_u32_e32 v7, 28, v6
	v_and_b32_e32 v3, 15, v3
	v_lshlrev_b32_sdwa v7, v7, v9 dst_sel:DWORD dst_unused:UNUSED_PAD src0_sel:DWORD src1_sel:WORD_1
	v_bfe_u32 v4, v9, 19, 4
	v_sub_u32_e32 v6, 29, v6
	v_and_b32_e32 v7, 7, v7
	v_cmp_eq_u16_e32 vcc, 0, v3
	v_cndmask_b32_e32 v2, v2, v7, vcc
	v_cndmask_b32_e32 v3, v4, v6, vcc
	v_lshlrev_b32_e32 v4, 8, v9
	v_mov_b32_e32 v6, 0x3b800000
	v_lshlrev_b32_e32 v2, 20, v2
	v_and_b32_e32 v4, 0x80000000, v4
	v_lshl_add_u32 v3, v3, 23, v6
	v_or3_b32 v2, v4, v3, v2
.LBB30_1780:
	s_or_b64 exec, exec, s[6:7]
	s_movk_i32 s4, 0xff
	v_and_b32_sdwa v3, v5, s4 dst_sel:DWORD dst_unused:UNUSED_PAD src0_sel:WORD_1 src1_sel:DWORD
	s_movk_i32 s4, 0x7f
	v_cmp_lt_i16_e32 vcc, s4, v3
	s_mov_b64 s[4:5], 0
                                        ; implicit-def: $sgpr10
	s_and_saveexec_b64 s[6:7], vcc
	s_xor_b64 s[6:7], exec, s[6:7]
	s_cbranch_execnz .LBB30_3829
; %bb.1781:
	s_or_saveexec_b64 s[6:7], s[6:7]
	v_mov_b32_e32 v4, s10
	s_xor_b64 exec, exec, s[6:7]
	s_cbranch_execnz .LBB30_3832
.LBB30_1782:
	s_or_b64 exec, exec, s[6:7]
	s_and_saveexec_b64 s[6:7], s[4:5]
	s_cbranch_execz .LBB30_1784
.LBB30_1783:
	v_bfe_u32 v3, v5, 16, 3
	v_ffbh_u32_e32 v7, v3
	v_min_u32_e32 v7, 32, v7
	v_lshrrev_b32_e32 v4, 19, v5
	v_subrev_u32_e32 v8, 28, v7
	v_and_b32_e32 v4, 15, v4
	v_lshlrev_b32_sdwa v8, v8, v5 dst_sel:DWORD dst_unused:UNUSED_PAD src0_sel:DWORD src1_sel:WORD_1
	v_bfe_u32 v6, v5, 19, 4
	v_sub_u32_e32 v7, 29, v7
	v_and_b32_e32 v8, 7, v8
	v_cmp_eq_u16_e32 vcc, 0, v4
	v_cndmask_b32_e32 v3, v3, v8, vcc
	v_cndmask_b32_e32 v4, v6, v7, vcc
	v_lshlrev_b32_e32 v6, 8, v5
	v_mov_b32_e32 v7, 0x3b800000
	v_lshlrev_b32_e32 v3, 20, v3
	v_and_b32_e32 v6, 0x80000000, v6
	v_lshl_add_u32 v4, v4, 23, v7
	v_or3_b32 v4, v6, v4, v3
.LBB30_1784:
	s_or_b64 exec, exec, s[6:7]
	s_nop 0
	v_mfma_f32_16x16x4f32 a[0:3], v2, v4, a[0:3]
	s_movk_i32 s4, 0x7f
	v_cmp_gt_i16_sdwa s[6:7], v9, s4 src0_sel:BYTE_3 src1_sel:DWORD
	s_mov_b64 s[4:5], 0
                                        ; implicit-def: $sgpr10
	s_and_saveexec_b64 s[8:9], s[6:7]
	s_xor_b64 s[6:7], exec, s[8:9]
	s_cbranch_execnz .LBB30_3833
; %bb.1785:
	s_or_saveexec_b64 s[6:7], s[6:7]
	v_mov_b32_e32 v2, s10
	s_xor_b64 exec, exec, s[6:7]
	s_cbranch_execnz .LBB30_3836
.LBB30_1786:
	s_or_b64 exec, exec, s[6:7]
	s_and_saveexec_b64 s[6:7], s[4:5]
	s_cbranch_execz .LBB30_1788
.LBB30_1787:
	v_bfe_u32 v2, v9, 24, 3
	v_ffbh_u32_e32 v7, v2
	v_min_u32_e32 v7, 32, v7
	v_lshrrev_b32_e32 v4, 27, v9
	v_subrev_u32_e32 v8, 28, v7
	v_and_b32_e32 v4, 15, v4
	v_lshlrev_b32_sdwa v8, v8, v9 dst_sel:DWORD dst_unused:UNUSED_PAD src0_sel:DWORD src1_sel:BYTE_3
	v_bfe_u32 v6, v9, 27, 4
	v_sub_u32_e32 v7, 29, v7
	v_and_b32_e32 v8, 7, v8
	v_cmp_eq_u16_e32 vcc, 0, v4
	v_cndmask_b32_e32 v2, v2, v8, vcc
	v_cndmask_b32_e32 v4, v6, v7, vcc
	v_mov_b32_e32 v6, 0x3b800000
	v_and_b32_e32 v3, 0x80000000, v9
	v_lshlrev_b32_e32 v2, 20, v2
	v_lshl_add_u32 v4, v4, 23, v6
	v_or3_b32 v2, v3, v4, v2
.LBB30_1788:
	s_or_b64 exec, exec, s[6:7]
	s_movk_i32 s4, 0x7f
	v_cmp_gt_i16_sdwa s[6:7], v5, s4 src0_sel:BYTE_3 src1_sel:DWORD
	s_mov_b64 s[4:5], 0
                                        ; implicit-def: $sgpr10
	s_and_saveexec_b64 s[8:9], s[6:7]
	s_xor_b64 s[6:7], exec, s[8:9]
	s_cbranch_execnz .LBB30_3837
; %bb.1789:
	s_or_saveexec_b64 s[6:7], s[6:7]
	v_mov_b32_e32 v3, s10
	s_xor_b64 exec, exec, s[6:7]
	s_cbranch_execnz .LBB30_3840
.LBB30_1790:
	s_or_b64 exec, exec, s[6:7]
	s_and_saveexec_b64 s[6:7], s[4:5]
	s_cbranch_execz .LBB30_1792
.LBB30_1791:
	v_bfe_u32 v3, v5, 24, 3
	v_ffbh_u32_e32 v8, v3
	v_min_u32_e32 v8, 32, v8
	v_lshrrev_b32_e32 v6, 27, v5
	v_subrev_u32_e32 v9, 28, v8
	v_and_b32_e32 v4, 0x80000000, v5
	v_and_b32_e32 v6, 15, v6
	v_bfe_u32 v7, v5, 27, 4
	v_lshlrev_b32_sdwa v5, v9, v5 dst_sel:DWORD dst_unused:UNUSED_PAD src0_sel:DWORD src1_sel:BYTE_3
	v_sub_u32_e32 v8, 29, v8
	v_and_b32_e32 v5, 7, v5
	v_cmp_eq_u16_e32 vcc, 0, v6
	v_cndmask_b32_e32 v3, v3, v5, vcc
	v_cndmask_b32_e32 v5, v7, v8, vcc
	v_mov_b32_e32 v6, 0x3b800000
	v_lshlrev_b32_e32 v3, 20, v3
	v_lshl_add_u32 v5, v5, 23, v6
	v_or3_b32 v3, v4, v5, v3
.LBB30_1792:
	s_or_b64 exec, exec, s[6:7]
	s_nop 0
	v_mfma_f32_16x16x4f32 a[0:3], v2, v3, a[0:3]
	s_movk_i32 s4, 0x7f
                                        ; implicit-def: $sgpr10
	s_nop 7
	s_nop 1
	flat_store_dwordx4 v[18:19], a[0:3] offset:352
	flat_load_dwordx4 v[18:21], v[0:1] offset:16
	s_nop 0
	flat_load_dwordx2 v[16:17], v[0:1] offset:32
	s_waitcnt vmcnt(0) lgkmcnt(0)
	flat_load_dwordx4 v[12:15], v[18:19]
	flat_load_dwordx4 v[4:7], v[18:19] offset:16
	flat_load_dwordx4 v[8:11], v[20:21] offset:224
	;; [unrolled: 1-line block ×3, first 2 shown]
	s_waitcnt vmcnt(0) lgkmcnt(0)
	v_cmp_gt_i16_sdwa s[6:7], v12, s4 src0_sel:BYTE_0 src1_sel:DWORD
	s_mov_b64 s[4:5], 0
	s_and_saveexec_b64 s[8:9], s[6:7]
	s_xor_b64 s[6:7], exec, s[8:9]
	s_cbranch_execnz .LBB30_3841
; %bb.1793:
	s_or_saveexec_b64 s[6:7], s[6:7]
	v_mov_b32_e32 v18, s10
	s_xor_b64 exec, exec, s[6:7]
	s_cbranch_execnz .LBB30_3844
.LBB30_1794:
	s_or_b64 exec, exec, s[6:7]
	s_and_saveexec_b64 s[6:7], s[4:5]
	s_cbranch_execz .LBB30_1796
.LBB30_1795:
	v_and_b32_e32 v18, 7, v12
	v_ffbh_u32_e32 v20, v18
	v_min_u32_e32 v20, 32, v20
	v_lshrrev_b16_e32 v19, 3, v12
	v_subrev_u32_e32 v21, 28, v20
	v_and_b32_e32 v19, 15, v19
	v_lshlrev_b32_e32 v21, v21, v12
	v_sub_u32_e32 v20, 29, v20
	v_and_b32_e32 v21, 7, v21
	v_cmp_eq_u16_e32 vcc, 0, v19
	v_cndmask_b32_e32 v18, v18, v21, vcc
	v_cndmask_b32_e32 v19, v19, v20, vcc
	v_lshlrev_b32_e32 v20, 24, v12
	v_mov_b32_e32 v21, 0x3b800000
	v_lshlrev_b32_e32 v18, 20, v18
	v_and_b32_e32 v20, 0x80000000, v20
	v_lshl_add_u32 v19, v19, 23, v21
	v_or3_b32 v18, v20, v19, v18
.LBB30_1796:
	s_or_b64 exec, exec, s[6:7]
	s_movk_i32 s4, 0x7f
	v_cmp_gt_i16_sdwa s[6:7], v8, s4 src0_sel:BYTE_0 src1_sel:DWORD
	s_mov_b64 s[4:5], 0
                                        ; implicit-def: $sgpr10
	s_and_saveexec_b64 s[8:9], s[6:7]
	s_xor_b64 s[6:7], exec, s[8:9]
	s_cbranch_execnz .LBB30_3845
; %bb.1797:
	s_or_saveexec_b64 s[6:7], s[6:7]
	v_mov_b32_e32 v19, s10
	s_xor_b64 exec, exec, s[6:7]
	s_cbranch_execnz .LBB30_3848
.LBB30_1798:
	s_or_b64 exec, exec, s[6:7]
	s_and_saveexec_b64 s[6:7], s[4:5]
	s_cbranch_execz .LBB30_1800
.LBB30_1799:
	v_and_b32_e32 v19, 7, v8
	v_ffbh_u32_e32 v21, v19
	v_min_u32_e32 v21, 32, v21
	v_lshrrev_b16_e32 v20, 3, v8
	v_subrev_u32_e32 v22, 28, v21
	v_and_b32_e32 v20, 15, v20
	v_lshlrev_b32_e32 v22, v22, v8
	v_sub_u32_e32 v21, 29, v21
	v_and_b32_e32 v22, 7, v22
	v_cmp_eq_u16_e32 vcc, 0, v20
	v_cndmask_b32_e32 v19, v19, v22, vcc
	v_cndmask_b32_e32 v20, v20, v21, vcc
	v_lshlrev_b32_e32 v21, 24, v8
	v_mov_b32_e32 v22, 0x3b800000
	v_lshlrev_b32_e32 v19, 20, v19
	v_and_b32_e32 v21, 0x80000000, v21
	v_lshl_add_u32 v20, v20, 23, v22
	v_or3_b32 v19, v21, v20, v19
.LBB30_1800:
	s_or_b64 exec, exec, s[6:7]
	flat_load_dwordx4 a[0:3], v[16:17] offset:368
	s_movk_i32 s4, 0x7f
                                        ; implicit-def: $sgpr10
	s_waitcnt vmcnt(0) lgkmcnt(0)
	v_mfma_f32_16x16x4f32 a[0:3], v18, v19, a[0:3]
	v_lshrrev_b32_e32 v19, 8, v12
	v_cmp_gt_i16_sdwa s[6:7], v19, s4 src0_sel:BYTE_0 src1_sel:DWORD
	s_mov_b64 s[4:5], 0
	s_and_saveexec_b64 s[8:9], s[6:7]
	s_xor_b64 s[6:7], exec, s[8:9]
	s_cbranch_execnz .LBB30_3849
; %bb.1801:
	s_or_saveexec_b64 s[6:7], s[6:7]
	v_mov_b32_e32 v18, s10
	s_xor_b64 exec, exec, s[6:7]
	s_cbranch_execnz .LBB30_3852
.LBB30_1802:
	s_or_b64 exec, exec, s[6:7]
	s_and_saveexec_b64 s[6:7], s[4:5]
	s_cbranch_execz .LBB30_1804
.LBB30_1803:
	v_bfe_u32 v18, v12, 8, 3
	v_ffbh_u32_e32 v21, v18
	v_min_u32_e32 v21, 32, v21
	v_lshrrev_b16_e32 v20, 3, v19
	v_subrev_u32_e32 v22, 28, v21
	v_and_b32_e32 v20, 15, v20
	v_lshlrev_b32_e32 v19, v22, v19
	v_sub_u32_e32 v21, 29, v21
	v_and_b32_e32 v19, 7, v19
	v_cmp_eq_u16_e32 vcc, 0, v20
	v_cndmask_b32_e32 v18, v18, v19, vcc
	v_cndmask_b32_e32 v19, v20, v21, vcc
	v_lshlrev_b32_e32 v20, 16, v12
	v_mov_b32_e32 v21, 0x3b800000
	v_lshlrev_b32_e32 v18, 20, v18
	v_and_b32_e32 v20, 0x80000000, v20
	v_lshl_add_u32 v19, v19, 23, v21
	v_or3_b32 v18, v20, v19, v18
.LBB30_1804:
	s_or_b64 exec, exec, s[6:7]
	v_lshrrev_b32_e32 v19, 8, v8
	s_movk_i32 s4, 0x7f
	v_cmp_gt_i16_sdwa s[6:7], v19, s4 src0_sel:BYTE_0 src1_sel:DWORD
	s_mov_b64 s[4:5], 0
                                        ; implicit-def: $sgpr10
	s_and_saveexec_b64 s[8:9], s[6:7]
	s_xor_b64 s[6:7], exec, s[8:9]
	s_cbranch_execnz .LBB30_3853
; %bb.1805:
	s_or_saveexec_b64 s[6:7], s[6:7]
	v_mov_b32_e32 v20, s10
	s_xor_b64 exec, exec, s[6:7]
	s_cbranch_execnz .LBB30_3856
.LBB30_1806:
	s_or_b64 exec, exec, s[6:7]
	s_and_saveexec_b64 s[6:7], s[4:5]
	s_cbranch_execz .LBB30_1808
.LBB30_1807:
	v_bfe_u32 v20, v8, 8, 3
	v_ffbh_u32_e32 v22, v20
	v_min_u32_e32 v22, 32, v22
	v_lshrrev_b16_e32 v21, 3, v19
	v_subrev_u32_e32 v23, 28, v22
	v_and_b32_e32 v21, 15, v21
	v_lshlrev_b32_e32 v19, v23, v19
	v_sub_u32_e32 v22, 29, v22
	v_and_b32_e32 v19, 7, v19
	v_cmp_eq_u16_e32 vcc, 0, v21
	v_cndmask_b32_e32 v19, v20, v19, vcc
	v_cndmask_b32_e32 v20, v21, v22, vcc
	v_lshlrev_b32_e32 v21, 16, v8
	v_mov_b32_e32 v22, 0x3b800000
	v_lshlrev_b32_e32 v19, 20, v19
	v_and_b32_e32 v21, 0x80000000, v21
	v_lshl_add_u32 v20, v20, 23, v22
	v_or3_b32 v20, v21, v20, v19
.LBB30_1808:
	s_or_b64 exec, exec, s[6:7]
	s_nop 0
	v_mfma_f32_16x16x4f32 a[0:3], v18, v20, a[0:3]
	s_movk_i32 s4, 0xff
	v_and_b32_sdwa v19, v12, s4 dst_sel:DWORD dst_unused:UNUSED_PAD src0_sel:WORD_1 src1_sel:DWORD
	s_movk_i32 s4, 0x7f
	v_cmp_lt_i16_e32 vcc, s4, v19
	s_mov_b64 s[4:5], 0
                                        ; implicit-def: $sgpr10
	s_and_saveexec_b64 s[6:7], vcc
	s_xor_b64 s[6:7], exec, s[6:7]
	s_cbranch_execnz .LBB30_3857
; %bb.1809:
	s_or_saveexec_b64 s[6:7], s[6:7]
	v_mov_b32_e32 v18, s10
	s_xor_b64 exec, exec, s[6:7]
	s_cbranch_execnz .LBB30_3860
.LBB30_1810:
	s_or_b64 exec, exec, s[6:7]
	s_and_saveexec_b64 s[6:7], s[4:5]
	s_cbranch_execz .LBB30_1812
.LBB30_1811:
	v_bfe_u32 v18, v12, 16, 3
	v_ffbh_u32_e32 v21, v18
	v_min_u32_e32 v21, 32, v21
	v_lshrrev_b32_e32 v19, 19, v12
	v_subrev_u32_e32 v22, 28, v21
	v_and_b32_e32 v19, 15, v19
	v_lshlrev_b32_sdwa v22, v22, v12 dst_sel:DWORD dst_unused:UNUSED_PAD src0_sel:DWORD src1_sel:WORD_1
	v_bfe_u32 v20, v12, 19, 4
	v_sub_u32_e32 v21, 29, v21
	v_and_b32_e32 v22, 7, v22
	v_cmp_eq_u16_e32 vcc, 0, v19
	v_cndmask_b32_e32 v18, v18, v22, vcc
	v_cndmask_b32_e32 v19, v20, v21, vcc
	v_lshlrev_b32_e32 v20, 8, v12
	v_mov_b32_e32 v21, 0x3b800000
	v_lshlrev_b32_e32 v18, 20, v18
	v_and_b32_e32 v20, 0x80000000, v20
	v_lshl_add_u32 v19, v19, 23, v21
	v_or3_b32 v18, v20, v19, v18
.LBB30_1812:
	s_or_b64 exec, exec, s[6:7]
	s_movk_i32 s4, 0xff
	v_and_b32_sdwa v19, v8, s4 dst_sel:DWORD dst_unused:UNUSED_PAD src0_sel:WORD_1 src1_sel:DWORD
	s_movk_i32 s4, 0x7f
	v_cmp_lt_i16_e32 vcc, s4, v19
	s_mov_b64 s[4:5], 0
                                        ; implicit-def: $sgpr10
	s_and_saveexec_b64 s[6:7], vcc
	s_xor_b64 s[6:7], exec, s[6:7]
	s_cbranch_execnz .LBB30_3861
; %bb.1813:
	s_or_saveexec_b64 s[6:7], s[6:7]
	v_mov_b32_e32 v20, s10
	s_xor_b64 exec, exec, s[6:7]
	s_cbranch_execnz .LBB30_3864
.LBB30_1814:
	s_or_b64 exec, exec, s[6:7]
	s_and_saveexec_b64 s[6:7], s[4:5]
	s_cbranch_execz .LBB30_1816
.LBB30_1815:
	v_bfe_u32 v19, v8, 16, 3
	v_ffbh_u32_e32 v22, v19
	v_min_u32_e32 v22, 32, v22
	v_lshrrev_b32_e32 v20, 19, v8
	v_subrev_u32_e32 v23, 28, v22
	v_and_b32_e32 v20, 15, v20
	v_lshlrev_b32_sdwa v23, v23, v8 dst_sel:DWORD dst_unused:UNUSED_PAD src0_sel:DWORD src1_sel:WORD_1
	v_bfe_u32 v21, v8, 19, 4
	v_sub_u32_e32 v22, 29, v22
	v_and_b32_e32 v23, 7, v23
	v_cmp_eq_u16_e32 vcc, 0, v20
	v_cndmask_b32_e32 v19, v19, v23, vcc
	v_cndmask_b32_e32 v20, v21, v22, vcc
	v_lshlrev_b32_e32 v21, 8, v8
	v_mov_b32_e32 v22, 0x3b800000
	v_lshlrev_b32_e32 v19, 20, v19
	v_and_b32_e32 v21, 0x80000000, v21
	v_lshl_add_u32 v20, v20, 23, v22
	v_or3_b32 v20, v21, v20, v19
.LBB30_1816:
	s_or_b64 exec, exec, s[6:7]
	s_nop 0
	v_mfma_f32_16x16x4f32 a[0:3], v18, v20, a[0:3]
	s_movk_i32 s4, 0x7f
	v_cmp_gt_i16_sdwa s[6:7], v12, s4 src0_sel:BYTE_3 src1_sel:DWORD
	s_mov_b64 s[4:5], 0
                                        ; implicit-def: $sgpr10
	s_and_saveexec_b64 s[8:9], s[6:7]
	s_xor_b64 s[6:7], exec, s[8:9]
	s_cbranch_execnz .LBB30_3865
; %bb.1817:
	s_or_saveexec_b64 s[6:7], s[6:7]
	v_mov_b32_e32 v18, s10
	s_xor_b64 exec, exec, s[6:7]
	s_cbranch_execnz .LBB30_3868
.LBB30_1818:
	s_or_b64 exec, exec, s[6:7]
	s_and_saveexec_b64 s[6:7], s[4:5]
	s_cbranch_execz .LBB30_1820
.LBB30_1819:
	v_bfe_u32 v18, v12, 24, 3
	v_ffbh_u32_e32 v22, v18
	v_min_u32_e32 v22, 32, v22
	v_lshrrev_b32_e32 v20, 27, v12
	v_subrev_u32_e32 v23, 28, v22
	v_and_b32_e32 v19, 0x80000000, v12
	v_and_b32_e32 v20, 15, v20
	v_bfe_u32 v21, v12, 27, 4
	v_lshlrev_b32_sdwa v12, v23, v12 dst_sel:DWORD dst_unused:UNUSED_PAD src0_sel:DWORD src1_sel:BYTE_3
	v_sub_u32_e32 v22, 29, v22
	v_and_b32_e32 v12, 7, v12
	v_cmp_eq_u16_e32 vcc, 0, v20
	v_cndmask_b32_e32 v12, v18, v12, vcc
	v_cndmask_b32_e32 v18, v21, v22, vcc
	v_mov_b32_e32 v20, 0x3b800000
	v_lshlrev_b32_e32 v12, 20, v12
	v_lshl_add_u32 v18, v18, 23, v20
	v_or3_b32 v18, v19, v18, v12
.LBB30_1820:
	s_or_b64 exec, exec, s[6:7]
	s_movk_i32 s4, 0x7f
	v_cmp_gt_i16_sdwa s[6:7], v8, s4 src0_sel:BYTE_3 src1_sel:DWORD
	s_mov_b64 s[4:5], 0
                                        ; implicit-def: $sgpr10
	s_and_saveexec_b64 s[8:9], s[6:7]
	s_xor_b64 s[6:7], exec, s[8:9]
	s_cbranch_execnz .LBB30_3869
; %bb.1821:
	s_or_saveexec_b64 s[6:7], s[6:7]
	v_mov_b32_e32 v12, s10
	s_xor_b64 exec, exec, s[6:7]
	s_cbranch_execnz .LBB30_3872
.LBB30_1822:
	s_or_b64 exec, exec, s[6:7]
	s_and_saveexec_b64 s[6:7], s[4:5]
	s_cbranch_execz .LBB30_1824
.LBB30_1823:
	v_bfe_u32 v12, v8, 24, 3
	v_ffbh_u32_e32 v22, v12
	v_min_u32_e32 v22, 32, v22
	v_lshrrev_b32_e32 v20, 27, v8
	v_subrev_u32_e32 v23, 28, v22
	v_and_b32_e32 v19, 0x80000000, v8
	v_and_b32_e32 v20, 15, v20
	v_bfe_u32 v21, v8, 27, 4
	v_lshlrev_b32_sdwa v8, v23, v8 dst_sel:DWORD dst_unused:UNUSED_PAD src0_sel:DWORD src1_sel:BYTE_3
	v_sub_u32_e32 v22, 29, v22
	v_and_b32_e32 v8, 7, v8
	v_cmp_eq_u16_e32 vcc, 0, v20
	v_cndmask_b32_e32 v8, v12, v8, vcc
	v_cndmask_b32_e32 v12, v21, v22, vcc
	v_mov_b32_e32 v20, 0x3b800000
	v_lshlrev_b32_e32 v8, 20, v8
	v_lshl_add_u32 v12, v12, 23, v20
	v_or3_b32 v12, v19, v12, v8
.LBB30_1824:
	s_or_b64 exec, exec, s[6:7]
	s_nop 0
	v_mfma_f32_16x16x4f32 a[0:3], v18, v12, a[0:3]
	s_movk_i32 s4, 0x7f
	v_cmp_gt_i16_sdwa s[6:7], v13, s4 src0_sel:BYTE_0 src1_sel:DWORD
	s_mov_b64 s[4:5], 0
                                        ; implicit-def: $sgpr10
	s_and_saveexec_b64 s[8:9], s[6:7]
	s_xor_b64 s[6:7], exec, s[8:9]
	s_cbranch_execnz .LBB30_3873
; %bb.1825:
	s_or_saveexec_b64 s[6:7], s[6:7]
	v_mov_b32_e32 v8, s10
	s_xor_b64 exec, exec, s[6:7]
	s_cbranch_execnz .LBB30_3876
.LBB30_1826:
	s_or_b64 exec, exec, s[6:7]
	s_and_saveexec_b64 s[6:7], s[4:5]
	s_cbranch_execz .LBB30_1828
.LBB30_1827:
	v_and_b32_e32 v8, 7, v13
	v_ffbh_u32_e32 v18, v8
	v_min_u32_e32 v18, 32, v18
	v_lshrrev_b16_e32 v12, 3, v13
	v_subrev_u32_e32 v19, 28, v18
	v_and_b32_e32 v12, 15, v12
	v_lshlrev_b32_e32 v19, v19, v13
	v_sub_u32_e32 v18, 29, v18
	v_and_b32_e32 v19, 7, v19
	v_cmp_eq_u16_e32 vcc, 0, v12
	v_cndmask_b32_e32 v8, v8, v19, vcc
	v_cndmask_b32_e32 v12, v12, v18, vcc
	v_lshlrev_b32_e32 v18, 24, v13
	v_mov_b32_e32 v19, 0x3b800000
	v_lshlrev_b32_e32 v8, 20, v8
	v_and_b32_e32 v18, 0x80000000, v18
	v_lshl_add_u32 v12, v12, 23, v19
	v_or3_b32 v8, v18, v12, v8
.LBB30_1828:
	s_or_b64 exec, exec, s[6:7]
	s_movk_i32 s4, 0x7f
	v_cmp_gt_i16_sdwa s[6:7], v9, s4 src0_sel:BYTE_0 src1_sel:DWORD
	s_mov_b64 s[4:5], 0
                                        ; implicit-def: $sgpr10
	s_and_saveexec_b64 s[8:9], s[6:7]
	s_xor_b64 s[6:7], exec, s[8:9]
	s_cbranch_execnz .LBB30_3877
; %bb.1829:
	s_or_saveexec_b64 s[6:7], s[6:7]
	v_mov_b32_e32 v12, s10
	s_xor_b64 exec, exec, s[6:7]
	s_cbranch_execnz .LBB30_3880
.LBB30_1830:
	s_or_b64 exec, exec, s[6:7]
	s_and_saveexec_b64 s[6:7], s[4:5]
	s_cbranch_execz .LBB30_1832
.LBB30_1831:
	v_and_b32_e32 v12, 7, v9
	v_ffbh_u32_e32 v19, v12
	v_min_u32_e32 v19, 32, v19
	v_lshrrev_b16_e32 v18, 3, v9
	v_subrev_u32_e32 v20, 28, v19
	v_and_b32_e32 v18, 15, v18
	v_lshlrev_b32_e32 v20, v20, v9
	v_sub_u32_e32 v19, 29, v19
	v_and_b32_e32 v20, 7, v20
	v_cmp_eq_u16_e32 vcc, 0, v18
	v_cndmask_b32_e32 v12, v12, v20, vcc
	v_cndmask_b32_e32 v18, v18, v19, vcc
	v_lshlrev_b32_e32 v19, 24, v9
	v_mov_b32_e32 v20, 0x3b800000
	v_lshlrev_b32_e32 v12, 20, v12
	v_and_b32_e32 v19, 0x80000000, v19
	v_lshl_add_u32 v18, v18, 23, v20
	v_or3_b32 v12, v19, v18, v12
.LBB30_1832:
	s_or_b64 exec, exec, s[6:7]
	s_nop 0
	v_mfma_f32_16x16x4f32 a[0:3], v8, v12, a[0:3]
	v_lshrrev_b32_e32 v12, 8, v13
	s_movk_i32 s4, 0x7f
	v_cmp_gt_i16_sdwa s[6:7], v12, s4 src0_sel:BYTE_0 src1_sel:DWORD
	s_mov_b64 s[4:5], 0
                                        ; implicit-def: $sgpr10
	s_and_saveexec_b64 s[8:9], s[6:7]
	s_xor_b64 s[6:7], exec, s[8:9]
	s_cbranch_execnz .LBB30_3881
; %bb.1833:
	s_or_saveexec_b64 s[6:7], s[6:7]
	v_mov_b32_e32 v8, s10
	s_xor_b64 exec, exec, s[6:7]
	s_cbranch_execnz .LBB30_3884
.LBB30_1834:
	s_or_b64 exec, exec, s[6:7]
	s_and_saveexec_b64 s[6:7], s[4:5]
	s_cbranch_execz .LBB30_1836
.LBB30_1835:
	v_bfe_u32 v8, v13, 8, 3
	v_ffbh_u32_e32 v19, v8
	v_min_u32_e32 v19, 32, v19
	v_lshrrev_b16_e32 v18, 3, v12
	v_subrev_u32_e32 v20, 28, v19
	v_and_b32_e32 v18, 15, v18
	v_lshlrev_b32_e32 v12, v20, v12
	v_sub_u32_e32 v19, 29, v19
	v_and_b32_e32 v12, 7, v12
	v_cmp_eq_u16_e32 vcc, 0, v18
	v_cndmask_b32_e32 v8, v8, v12, vcc
	v_cndmask_b32_e32 v12, v18, v19, vcc
	v_lshlrev_b32_e32 v18, 16, v13
	v_mov_b32_e32 v19, 0x3b800000
	v_lshlrev_b32_e32 v8, 20, v8
	v_and_b32_e32 v18, 0x80000000, v18
	v_lshl_add_u32 v12, v12, 23, v19
	v_or3_b32 v8, v18, v12, v8
.LBB30_1836:
	s_or_b64 exec, exec, s[6:7]
	v_lshrrev_b32_e32 v12, 8, v9
	s_movk_i32 s4, 0x7f
	v_cmp_gt_i16_sdwa s[6:7], v12, s4 src0_sel:BYTE_0 src1_sel:DWORD
	s_mov_b64 s[4:5], 0
                                        ; implicit-def: $sgpr10
	s_and_saveexec_b64 s[8:9], s[6:7]
	s_xor_b64 s[6:7], exec, s[8:9]
	s_cbranch_execnz .LBB30_3885
; %bb.1837:
	s_or_saveexec_b64 s[6:7], s[6:7]
	v_mov_b32_e32 v18, s10
	s_xor_b64 exec, exec, s[6:7]
	s_cbranch_execnz .LBB30_3888
.LBB30_1838:
	s_or_b64 exec, exec, s[6:7]
	s_and_saveexec_b64 s[6:7], s[4:5]
	s_cbranch_execz .LBB30_1840
.LBB30_1839:
	v_bfe_u32 v18, v9, 8, 3
	v_ffbh_u32_e32 v20, v18
	v_min_u32_e32 v20, 32, v20
	v_lshrrev_b16_e32 v19, 3, v12
	v_subrev_u32_e32 v21, 28, v20
	v_and_b32_e32 v19, 15, v19
	v_lshlrev_b32_e32 v12, v21, v12
	v_sub_u32_e32 v20, 29, v20
	v_and_b32_e32 v12, 7, v12
	v_cmp_eq_u16_e32 vcc, 0, v19
	v_cndmask_b32_e32 v12, v18, v12, vcc
	v_cndmask_b32_e32 v18, v19, v20, vcc
	v_lshlrev_b32_e32 v19, 16, v9
	v_mov_b32_e32 v20, 0x3b800000
	v_lshlrev_b32_e32 v12, 20, v12
	v_and_b32_e32 v19, 0x80000000, v19
	v_lshl_add_u32 v18, v18, 23, v20
	v_or3_b32 v18, v19, v18, v12
.LBB30_1840:
	s_or_b64 exec, exec, s[6:7]
	s_nop 0
	v_mfma_f32_16x16x4f32 a[0:3], v8, v18, a[0:3]
	s_movk_i32 s4, 0xff
	v_and_b32_sdwa v12, v13, s4 dst_sel:DWORD dst_unused:UNUSED_PAD src0_sel:WORD_1 src1_sel:DWORD
	s_movk_i32 s4, 0x7f
	v_cmp_lt_i16_e32 vcc, s4, v12
	s_mov_b64 s[4:5], 0
                                        ; implicit-def: $sgpr10
	s_and_saveexec_b64 s[6:7], vcc
	s_xor_b64 s[6:7], exec, s[6:7]
	s_cbranch_execnz .LBB30_3889
; %bb.1841:
	s_or_saveexec_b64 s[6:7], s[6:7]
	v_mov_b32_e32 v8, s10
	s_xor_b64 exec, exec, s[6:7]
	s_cbranch_execnz .LBB30_3892
.LBB30_1842:
	s_or_b64 exec, exec, s[6:7]
	s_and_saveexec_b64 s[6:7], s[4:5]
	s_cbranch_execz .LBB30_1844
.LBB30_1843:
	v_bfe_u32 v8, v13, 16, 3
	v_ffbh_u32_e32 v19, v8
	v_min_u32_e32 v19, 32, v19
	v_lshrrev_b32_e32 v12, 19, v13
	v_subrev_u32_e32 v20, 28, v19
	v_and_b32_e32 v12, 15, v12
	v_lshlrev_b32_sdwa v20, v20, v13 dst_sel:DWORD dst_unused:UNUSED_PAD src0_sel:DWORD src1_sel:WORD_1
	v_bfe_u32 v18, v13, 19, 4
	v_sub_u32_e32 v19, 29, v19
	v_and_b32_e32 v20, 7, v20
	v_cmp_eq_u16_e32 vcc, 0, v12
	v_cndmask_b32_e32 v8, v8, v20, vcc
	v_cndmask_b32_e32 v12, v18, v19, vcc
	v_lshlrev_b32_e32 v18, 8, v13
	v_mov_b32_e32 v19, 0x3b800000
	v_lshlrev_b32_e32 v8, 20, v8
	v_and_b32_e32 v18, 0x80000000, v18
	v_lshl_add_u32 v12, v12, 23, v19
	v_or3_b32 v8, v18, v12, v8
.LBB30_1844:
	s_or_b64 exec, exec, s[6:7]
	s_movk_i32 s4, 0xff
	v_and_b32_sdwa v12, v9, s4 dst_sel:DWORD dst_unused:UNUSED_PAD src0_sel:WORD_1 src1_sel:DWORD
	s_movk_i32 s4, 0x7f
	v_cmp_lt_i16_e32 vcc, s4, v12
	s_mov_b64 s[4:5], 0
                                        ; implicit-def: $sgpr10
	s_and_saveexec_b64 s[6:7], vcc
	s_xor_b64 s[6:7], exec, s[6:7]
	s_cbranch_execnz .LBB30_3893
; %bb.1845:
	s_or_saveexec_b64 s[6:7], s[6:7]
	v_mov_b32_e32 v18, s10
	s_xor_b64 exec, exec, s[6:7]
	s_cbranch_execnz .LBB30_3896
.LBB30_1846:
	s_or_b64 exec, exec, s[6:7]
	s_and_saveexec_b64 s[6:7], s[4:5]
	s_cbranch_execz .LBB30_1848
.LBB30_1847:
	v_bfe_u32 v12, v9, 16, 3
	v_ffbh_u32_e32 v20, v12
	v_min_u32_e32 v20, 32, v20
	v_lshrrev_b32_e32 v18, 19, v9
	v_subrev_u32_e32 v21, 28, v20
	v_and_b32_e32 v18, 15, v18
	v_lshlrev_b32_sdwa v21, v21, v9 dst_sel:DWORD dst_unused:UNUSED_PAD src0_sel:DWORD src1_sel:WORD_1
	v_bfe_u32 v19, v9, 19, 4
	v_sub_u32_e32 v20, 29, v20
	v_and_b32_e32 v21, 7, v21
	v_cmp_eq_u16_e32 vcc, 0, v18
	v_cndmask_b32_e32 v12, v12, v21, vcc
	v_cndmask_b32_e32 v18, v19, v20, vcc
	v_lshlrev_b32_e32 v19, 8, v9
	v_mov_b32_e32 v20, 0x3b800000
	v_lshlrev_b32_e32 v12, 20, v12
	v_and_b32_e32 v19, 0x80000000, v19
	v_lshl_add_u32 v18, v18, 23, v20
	v_or3_b32 v18, v19, v18, v12
.LBB30_1848:
	s_or_b64 exec, exec, s[6:7]
	s_nop 0
	v_mfma_f32_16x16x4f32 a[0:3], v8, v18, a[0:3]
	s_movk_i32 s4, 0x7f
	v_cmp_gt_i16_sdwa s[6:7], v13, s4 src0_sel:BYTE_3 src1_sel:DWORD
	s_mov_b64 s[4:5], 0
                                        ; implicit-def: $sgpr10
	s_and_saveexec_b64 s[8:9], s[6:7]
	s_xor_b64 s[6:7], exec, s[8:9]
	s_cbranch_execnz .LBB30_3897
; %bb.1849:
	s_or_saveexec_b64 s[6:7], s[6:7]
	v_mov_b32_e32 v8, s10
	s_xor_b64 exec, exec, s[6:7]
	s_cbranch_execnz .LBB30_3900
.LBB30_1850:
	s_or_b64 exec, exec, s[6:7]
	s_and_saveexec_b64 s[6:7], s[4:5]
	s_cbranch_execz .LBB30_1852
.LBB30_1851:
	v_bfe_u32 v8, v13, 24, 3
	v_ffbh_u32_e32 v20, v8
	v_min_u32_e32 v20, 32, v20
	v_lshrrev_b32_e32 v18, 27, v13
	v_subrev_u32_e32 v21, 28, v20
	v_and_b32_e32 v12, 0x80000000, v13
	v_and_b32_e32 v18, 15, v18
	v_bfe_u32 v19, v13, 27, 4
	v_lshlrev_b32_sdwa v13, v21, v13 dst_sel:DWORD dst_unused:UNUSED_PAD src0_sel:DWORD src1_sel:BYTE_3
	v_sub_u32_e32 v20, 29, v20
	v_and_b32_e32 v13, 7, v13
	v_cmp_eq_u16_e32 vcc, 0, v18
	v_cndmask_b32_e32 v8, v8, v13, vcc
	v_cndmask_b32_e32 v13, v19, v20, vcc
	v_mov_b32_e32 v18, 0x3b800000
	v_lshlrev_b32_e32 v8, 20, v8
	v_lshl_add_u32 v13, v13, 23, v18
	v_or3_b32 v8, v12, v13, v8
.LBB30_1852:
	s_or_b64 exec, exec, s[6:7]
	s_movk_i32 s4, 0x7f
	v_cmp_gt_i16_sdwa s[6:7], v9, s4 src0_sel:BYTE_3 src1_sel:DWORD
	s_mov_b64 s[4:5], 0
                                        ; implicit-def: $sgpr10
	s_and_saveexec_b64 s[8:9], s[6:7]
	s_xor_b64 s[6:7], exec, s[8:9]
	s_cbranch_execnz .LBB30_3901
; %bb.1853:
	s_or_saveexec_b64 s[6:7], s[6:7]
	v_mov_b32_e32 v12, s10
	s_xor_b64 exec, exec, s[6:7]
	s_cbranch_execnz .LBB30_3904
.LBB30_1854:
	s_or_b64 exec, exec, s[6:7]
	s_and_saveexec_b64 s[6:7], s[4:5]
	s_cbranch_execz .LBB30_1856
.LBB30_1855:
	v_bfe_u32 v12, v9, 24, 3
	v_ffbh_u32_e32 v20, v12
	v_min_u32_e32 v20, 32, v20
	v_lshrrev_b32_e32 v18, 27, v9
	v_subrev_u32_e32 v21, 28, v20
	v_and_b32_e32 v13, 0x80000000, v9
	v_and_b32_e32 v18, 15, v18
	v_bfe_u32 v19, v9, 27, 4
	v_lshlrev_b32_sdwa v9, v21, v9 dst_sel:DWORD dst_unused:UNUSED_PAD src0_sel:DWORD src1_sel:BYTE_3
	v_sub_u32_e32 v20, 29, v20
	v_and_b32_e32 v9, 7, v9
	v_cmp_eq_u16_e32 vcc, 0, v18
	v_cndmask_b32_e32 v9, v12, v9, vcc
	v_cndmask_b32_e32 v12, v19, v20, vcc
	v_mov_b32_e32 v18, 0x3b800000
	v_lshlrev_b32_e32 v9, 20, v9
	v_lshl_add_u32 v12, v12, 23, v18
	v_or3_b32 v12, v13, v12, v9
.LBB30_1856:
	s_or_b64 exec, exec, s[6:7]
	s_nop 0
	v_mfma_f32_16x16x4f32 a[0:3], v8, v12, a[0:3]
	s_movk_i32 s4, 0x7f
	v_cmp_gt_i16_sdwa s[6:7], v14, s4 src0_sel:BYTE_0 src1_sel:DWORD
	s_mov_b64 s[4:5], 0
                                        ; implicit-def: $sgpr10
	s_and_saveexec_b64 s[8:9], s[6:7]
	s_xor_b64 s[6:7], exec, s[8:9]
	s_cbranch_execnz .LBB30_3905
; %bb.1857:
	s_or_saveexec_b64 s[6:7], s[6:7]
	v_mov_b32_e32 v8, s10
	s_xor_b64 exec, exec, s[6:7]
	s_cbranch_execnz .LBB30_3908
.LBB30_1858:
	s_or_b64 exec, exec, s[6:7]
	s_and_saveexec_b64 s[6:7], s[4:5]
	s_cbranch_execz .LBB30_1860
.LBB30_1859:
	v_and_b32_e32 v8, 7, v14
	v_ffbh_u32_e32 v12, v8
	v_min_u32_e32 v12, 32, v12
	v_lshrrev_b16_e32 v9, 3, v14
	v_subrev_u32_e32 v13, 28, v12
	v_and_b32_e32 v9, 15, v9
	v_lshlrev_b32_e32 v13, v13, v14
	v_sub_u32_e32 v12, 29, v12
	v_and_b32_e32 v13, 7, v13
	v_cmp_eq_u16_e32 vcc, 0, v9
	v_cndmask_b32_e32 v8, v8, v13, vcc
	v_cndmask_b32_e32 v9, v9, v12, vcc
	v_lshlrev_b32_e32 v12, 24, v14
	v_mov_b32_e32 v13, 0x3b800000
	v_lshlrev_b32_e32 v8, 20, v8
	v_and_b32_e32 v12, 0x80000000, v12
	v_lshl_add_u32 v9, v9, 23, v13
	v_or3_b32 v8, v12, v9, v8
.LBB30_1860:
	s_or_b64 exec, exec, s[6:7]
	s_movk_i32 s4, 0x7f
	v_cmp_gt_i16_sdwa s[6:7], v10, s4 src0_sel:BYTE_0 src1_sel:DWORD
	s_mov_b64 s[4:5], 0
                                        ; implicit-def: $sgpr10
	s_and_saveexec_b64 s[8:9], s[6:7]
	s_xor_b64 s[6:7], exec, s[8:9]
	s_cbranch_execnz .LBB30_3909
; %bb.1861:
	s_or_saveexec_b64 s[6:7], s[6:7]
	v_mov_b32_e32 v9, s10
	s_xor_b64 exec, exec, s[6:7]
	s_cbranch_execnz .LBB30_3912
.LBB30_1862:
	s_or_b64 exec, exec, s[6:7]
	s_and_saveexec_b64 s[6:7], s[4:5]
	s_cbranch_execz .LBB30_1864
.LBB30_1863:
	v_and_b32_e32 v9, 7, v10
	v_ffbh_u32_e32 v13, v9
	v_min_u32_e32 v13, 32, v13
	v_lshrrev_b16_e32 v12, 3, v10
	v_subrev_u32_e32 v18, 28, v13
	v_and_b32_e32 v12, 15, v12
	v_lshlrev_b32_e32 v18, v18, v10
	v_sub_u32_e32 v13, 29, v13
	v_and_b32_e32 v18, 7, v18
	v_cmp_eq_u16_e32 vcc, 0, v12
	v_cndmask_b32_e32 v9, v9, v18, vcc
	v_cndmask_b32_e32 v12, v12, v13, vcc
	v_lshlrev_b32_e32 v13, 24, v10
	v_mov_b32_e32 v18, 0x3b800000
	v_lshlrev_b32_e32 v9, 20, v9
	v_and_b32_e32 v13, 0x80000000, v13
	v_lshl_add_u32 v12, v12, 23, v18
	v_or3_b32 v9, v13, v12, v9
.LBB30_1864:
	s_or_b64 exec, exec, s[6:7]
	s_nop 0
	v_mfma_f32_16x16x4f32 a[0:3], v8, v9, a[0:3]
	v_lshrrev_b32_e32 v9, 8, v14
	s_movk_i32 s4, 0x7f
	v_cmp_gt_i16_sdwa s[6:7], v9, s4 src0_sel:BYTE_0 src1_sel:DWORD
	s_mov_b64 s[4:5], 0
                                        ; implicit-def: $sgpr10
	s_and_saveexec_b64 s[8:9], s[6:7]
	s_xor_b64 s[6:7], exec, s[8:9]
	s_cbranch_execnz .LBB30_3913
; %bb.1865:
	s_or_saveexec_b64 s[6:7], s[6:7]
	v_mov_b32_e32 v8, s10
	s_xor_b64 exec, exec, s[6:7]
	s_cbranch_execnz .LBB30_3916
.LBB30_1866:
	s_or_b64 exec, exec, s[6:7]
	s_and_saveexec_b64 s[6:7], s[4:5]
	s_cbranch_execz .LBB30_1868
.LBB30_1867:
	v_bfe_u32 v8, v14, 8, 3
	v_ffbh_u32_e32 v13, v8
	v_min_u32_e32 v13, 32, v13
	v_lshrrev_b16_e32 v12, 3, v9
	v_subrev_u32_e32 v18, 28, v13
	v_and_b32_e32 v12, 15, v12
	v_lshlrev_b32_e32 v9, v18, v9
	v_sub_u32_e32 v13, 29, v13
	v_and_b32_e32 v9, 7, v9
	v_cmp_eq_u16_e32 vcc, 0, v12
	v_cndmask_b32_e32 v8, v8, v9, vcc
	v_cndmask_b32_e32 v9, v12, v13, vcc
	v_lshlrev_b32_e32 v12, 16, v14
	v_mov_b32_e32 v13, 0x3b800000
	v_lshlrev_b32_e32 v8, 20, v8
	v_and_b32_e32 v12, 0x80000000, v12
	v_lshl_add_u32 v9, v9, 23, v13
	v_or3_b32 v8, v12, v9, v8
.LBB30_1868:
	s_or_b64 exec, exec, s[6:7]
	v_lshrrev_b32_e32 v9, 8, v10
	s_movk_i32 s4, 0x7f
	v_cmp_gt_i16_sdwa s[6:7], v9, s4 src0_sel:BYTE_0 src1_sel:DWORD
	s_mov_b64 s[4:5], 0
                                        ; implicit-def: $sgpr10
	s_and_saveexec_b64 s[8:9], s[6:7]
	s_xor_b64 s[6:7], exec, s[8:9]
	s_cbranch_execnz .LBB30_3917
; %bb.1869:
	s_or_saveexec_b64 s[6:7], s[6:7]
	v_mov_b32_e32 v12, s10
	s_xor_b64 exec, exec, s[6:7]
	s_cbranch_execnz .LBB30_3920
.LBB30_1870:
	s_or_b64 exec, exec, s[6:7]
	s_and_saveexec_b64 s[6:7], s[4:5]
	s_cbranch_execz .LBB30_1872
.LBB30_1871:
	v_bfe_u32 v12, v10, 8, 3
	v_ffbh_u32_e32 v18, v12
	v_min_u32_e32 v18, 32, v18
	v_lshrrev_b16_e32 v13, 3, v9
	v_subrev_u32_e32 v19, 28, v18
	v_and_b32_e32 v13, 15, v13
	v_lshlrev_b32_e32 v9, v19, v9
	v_sub_u32_e32 v18, 29, v18
	v_and_b32_e32 v9, 7, v9
	v_cmp_eq_u16_e32 vcc, 0, v13
	v_cndmask_b32_e32 v9, v12, v9, vcc
	v_cndmask_b32_e32 v12, v13, v18, vcc
	v_lshlrev_b32_e32 v13, 16, v10
	v_mov_b32_e32 v18, 0x3b800000
	v_lshlrev_b32_e32 v9, 20, v9
	v_and_b32_e32 v13, 0x80000000, v13
	v_lshl_add_u32 v12, v12, 23, v18
	v_or3_b32 v12, v13, v12, v9
.LBB30_1872:
	s_or_b64 exec, exec, s[6:7]
	s_nop 0
	v_mfma_f32_16x16x4f32 a[0:3], v8, v12, a[0:3]
	s_movk_i32 s4, 0xff
	v_and_b32_sdwa v9, v14, s4 dst_sel:DWORD dst_unused:UNUSED_PAD src0_sel:WORD_1 src1_sel:DWORD
	s_movk_i32 s4, 0x7f
	v_cmp_lt_i16_e32 vcc, s4, v9
	s_mov_b64 s[4:5], 0
                                        ; implicit-def: $sgpr10
	s_and_saveexec_b64 s[6:7], vcc
	s_xor_b64 s[6:7], exec, s[6:7]
	s_cbranch_execnz .LBB30_3921
; %bb.1873:
	s_or_saveexec_b64 s[6:7], s[6:7]
	v_mov_b32_e32 v8, s10
	s_xor_b64 exec, exec, s[6:7]
	s_cbranch_execnz .LBB30_3924
.LBB30_1874:
	s_or_b64 exec, exec, s[6:7]
	s_and_saveexec_b64 s[6:7], s[4:5]
	s_cbranch_execz .LBB30_1876
.LBB30_1875:
	v_bfe_u32 v8, v14, 16, 3
	v_ffbh_u32_e32 v13, v8
	v_min_u32_e32 v13, 32, v13
	v_lshrrev_b32_e32 v9, 19, v14
	v_subrev_u32_e32 v18, 28, v13
	v_and_b32_e32 v9, 15, v9
	v_lshlrev_b32_sdwa v18, v18, v14 dst_sel:DWORD dst_unused:UNUSED_PAD src0_sel:DWORD src1_sel:WORD_1
	v_bfe_u32 v12, v14, 19, 4
	v_sub_u32_e32 v13, 29, v13
	v_and_b32_e32 v18, 7, v18
	v_cmp_eq_u16_e32 vcc, 0, v9
	v_cndmask_b32_e32 v8, v8, v18, vcc
	v_cndmask_b32_e32 v9, v12, v13, vcc
	v_lshlrev_b32_e32 v12, 8, v14
	v_mov_b32_e32 v13, 0x3b800000
	v_lshlrev_b32_e32 v8, 20, v8
	v_and_b32_e32 v12, 0x80000000, v12
	v_lshl_add_u32 v9, v9, 23, v13
	v_or3_b32 v8, v12, v9, v8
.LBB30_1876:
	s_or_b64 exec, exec, s[6:7]
	s_movk_i32 s4, 0xff
	v_and_b32_sdwa v9, v10, s4 dst_sel:DWORD dst_unused:UNUSED_PAD src0_sel:WORD_1 src1_sel:DWORD
	s_movk_i32 s4, 0x7f
	v_cmp_lt_i16_e32 vcc, s4, v9
	s_mov_b64 s[4:5], 0
                                        ; implicit-def: $sgpr10
	s_and_saveexec_b64 s[6:7], vcc
	s_xor_b64 s[6:7], exec, s[6:7]
	s_cbranch_execnz .LBB30_3925
; %bb.1877:
	s_or_saveexec_b64 s[6:7], s[6:7]
	v_mov_b32_e32 v12, s10
	s_xor_b64 exec, exec, s[6:7]
	s_cbranch_execnz .LBB30_3928
.LBB30_1878:
	s_or_b64 exec, exec, s[6:7]
	s_and_saveexec_b64 s[6:7], s[4:5]
	s_cbranch_execz .LBB30_1880
.LBB30_1879:
	v_bfe_u32 v9, v10, 16, 3
	v_ffbh_u32_e32 v18, v9
	v_min_u32_e32 v18, 32, v18
	v_lshrrev_b32_e32 v12, 19, v10
	v_subrev_u32_e32 v19, 28, v18
	v_and_b32_e32 v12, 15, v12
	v_lshlrev_b32_sdwa v19, v19, v10 dst_sel:DWORD dst_unused:UNUSED_PAD src0_sel:DWORD src1_sel:WORD_1
	v_bfe_u32 v13, v10, 19, 4
	v_sub_u32_e32 v18, 29, v18
	v_and_b32_e32 v19, 7, v19
	v_cmp_eq_u16_e32 vcc, 0, v12
	v_cndmask_b32_e32 v9, v9, v19, vcc
	v_cndmask_b32_e32 v12, v13, v18, vcc
	v_lshlrev_b32_e32 v13, 8, v10
	v_mov_b32_e32 v18, 0x3b800000
	v_lshlrev_b32_e32 v9, 20, v9
	v_and_b32_e32 v13, 0x80000000, v13
	v_lshl_add_u32 v12, v12, 23, v18
	v_or3_b32 v12, v13, v12, v9
.LBB30_1880:
	s_or_b64 exec, exec, s[6:7]
	s_nop 0
	v_mfma_f32_16x16x4f32 a[0:3], v8, v12, a[0:3]
	s_movk_i32 s4, 0x7f
	v_cmp_gt_i16_sdwa s[6:7], v14, s4 src0_sel:BYTE_3 src1_sel:DWORD
	s_mov_b64 s[4:5], 0
                                        ; implicit-def: $sgpr10
	s_and_saveexec_b64 s[8:9], s[6:7]
	s_xor_b64 s[6:7], exec, s[8:9]
	s_cbranch_execnz .LBB30_3929
; %bb.1881:
	s_or_saveexec_b64 s[6:7], s[6:7]
	v_mov_b32_e32 v8, s10
	s_xor_b64 exec, exec, s[6:7]
	s_cbranch_execnz .LBB30_3932
.LBB30_1882:
	s_or_b64 exec, exec, s[6:7]
	s_and_saveexec_b64 s[6:7], s[4:5]
	s_cbranch_execz .LBB30_1884
.LBB30_1883:
	v_bfe_u32 v8, v14, 24, 3
	v_ffbh_u32_e32 v18, v8
	v_min_u32_e32 v18, 32, v18
	v_lshrrev_b32_e32 v12, 27, v14
	v_subrev_u32_e32 v19, 28, v18
	v_and_b32_e32 v9, 0x80000000, v14
	v_and_b32_e32 v12, 15, v12
	v_bfe_u32 v13, v14, 27, 4
	v_lshlrev_b32_sdwa v14, v19, v14 dst_sel:DWORD dst_unused:UNUSED_PAD src0_sel:DWORD src1_sel:BYTE_3
	v_sub_u32_e32 v18, 29, v18
	v_and_b32_e32 v14, 7, v14
	v_cmp_eq_u16_e32 vcc, 0, v12
	v_cndmask_b32_e32 v8, v8, v14, vcc
	v_cndmask_b32_e32 v12, v13, v18, vcc
	v_mov_b32_e32 v13, 0x3b800000
	v_lshlrev_b32_e32 v8, 20, v8
	v_lshl_add_u32 v12, v12, 23, v13
	v_or3_b32 v8, v9, v12, v8
.LBB30_1884:
	s_or_b64 exec, exec, s[6:7]
	s_movk_i32 s4, 0x7f
	v_cmp_gt_i16_sdwa s[6:7], v10, s4 src0_sel:BYTE_3 src1_sel:DWORD
	s_mov_b64 s[4:5], 0
                                        ; implicit-def: $sgpr10
	s_and_saveexec_b64 s[8:9], s[6:7]
	s_xor_b64 s[6:7], exec, s[8:9]
	s_cbranch_execnz .LBB30_3933
; %bb.1885:
	s_or_saveexec_b64 s[6:7], s[6:7]
	v_mov_b32_e32 v9, s10
	s_xor_b64 exec, exec, s[6:7]
	s_cbranch_execnz .LBB30_3936
.LBB30_1886:
	s_or_b64 exec, exec, s[6:7]
	s_and_saveexec_b64 s[6:7], s[4:5]
	s_cbranch_execz .LBB30_1888
.LBB30_1887:
	v_bfe_u32 v9, v10, 24, 3
	v_ffbh_u32_e32 v18, v9
	v_min_u32_e32 v18, 32, v18
	v_lshrrev_b32_e32 v13, 27, v10
	v_subrev_u32_e32 v19, 28, v18
	v_and_b32_e32 v12, 0x80000000, v10
	v_and_b32_e32 v13, 15, v13
	v_bfe_u32 v14, v10, 27, 4
	v_lshlrev_b32_sdwa v10, v19, v10 dst_sel:DWORD dst_unused:UNUSED_PAD src0_sel:DWORD src1_sel:BYTE_3
	v_sub_u32_e32 v18, 29, v18
	v_and_b32_e32 v10, 7, v10
	v_cmp_eq_u16_e32 vcc, 0, v13
	v_cndmask_b32_e32 v9, v9, v10, vcc
	v_cndmask_b32_e32 v10, v14, v18, vcc
	v_mov_b32_e32 v13, 0x3b800000
	v_lshlrev_b32_e32 v9, 20, v9
	v_lshl_add_u32 v10, v10, 23, v13
	v_or3_b32 v9, v12, v10, v9
.LBB30_1888:
	s_or_b64 exec, exec, s[6:7]
	s_nop 0
	v_mfma_f32_16x16x4f32 a[0:3], v8, v9, a[0:3]
	s_movk_i32 s4, 0x7f
	v_cmp_gt_i16_sdwa s[6:7], v15, s4 src0_sel:BYTE_0 src1_sel:DWORD
	s_mov_b64 s[4:5], 0
                                        ; implicit-def: $sgpr10
	s_and_saveexec_b64 s[8:9], s[6:7]
	s_xor_b64 s[6:7], exec, s[8:9]
	s_cbranch_execnz .LBB30_3937
; %bb.1889:
	s_or_saveexec_b64 s[6:7], s[6:7]
	v_mov_b32_e32 v8, s10
	s_xor_b64 exec, exec, s[6:7]
	s_cbranch_execnz .LBB30_3940
.LBB30_1890:
	s_or_b64 exec, exec, s[6:7]
	s_and_saveexec_b64 s[6:7], s[4:5]
	s_cbranch_execz .LBB30_1892
.LBB30_1891:
	v_and_b32_e32 v8, 7, v15
	v_ffbh_u32_e32 v10, v8
	v_min_u32_e32 v10, 32, v10
	v_lshrrev_b16_e32 v9, 3, v15
	v_subrev_u32_e32 v12, 28, v10
	v_and_b32_e32 v9, 15, v9
	v_lshlrev_b32_e32 v12, v12, v15
	v_sub_u32_e32 v10, 29, v10
	v_and_b32_e32 v12, 7, v12
	v_cmp_eq_u16_e32 vcc, 0, v9
	v_cndmask_b32_e32 v8, v8, v12, vcc
	v_cndmask_b32_e32 v9, v9, v10, vcc
	v_lshlrev_b32_e32 v10, 24, v15
	v_mov_b32_e32 v12, 0x3b800000
	v_lshlrev_b32_e32 v8, 20, v8
	v_and_b32_e32 v10, 0x80000000, v10
	v_lshl_add_u32 v9, v9, 23, v12
	v_or3_b32 v8, v10, v9, v8
.LBB30_1892:
	s_or_b64 exec, exec, s[6:7]
	s_movk_i32 s4, 0x7f
	v_cmp_gt_i16_sdwa s[6:7], v11, s4 src0_sel:BYTE_0 src1_sel:DWORD
	s_mov_b64 s[4:5], 0
                                        ; implicit-def: $sgpr10
	s_and_saveexec_b64 s[8:9], s[6:7]
	s_xor_b64 s[6:7], exec, s[8:9]
	s_cbranch_execnz .LBB30_3941
; %bb.1893:
	s_or_saveexec_b64 s[6:7], s[6:7]
	v_mov_b32_e32 v9, s10
	s_xor_b64 exec, exec, s[6:7]
	s_cbranch_execnz .LBB30_3944
.LBB30_1894:
	s_or_b64 exec, exec, s[6:7]
	s_and_saveexec_b64 s[6:7], s[4:5]
	s_cbranch_execz .LBB30_1896
.LBB30_1895:
	v_and_b32_e32 v9, 7, v11
	v_ffbh_u32_e32 v12, v9
	v_min_u32_e32 v12, 32, v12
	v_lshrrev_b16_e32 v10, 3, v11
	v_subrev_u32_e32 v13, 28, v12
	v_and_b32_e32 v10, 15, v10
	v_lshlrev_b32_e32 v13, v13, v11
	v_sub_u32_e32 v12, 29, v12
	v_and_b32_e32 v13, 7, v13
	v_cmp_eq_u16_e32 vcc, 0, v10
	v_cndmask_b32_e32 v9, v9, v13, vcc
	v_cndmask_b32_e32 v10, v10, v12, vcc
	v_lshlrev_b32_e32 v12, 24, v11
	v_mov_b32_e32 v13, 0x3b800000
	v_lshlrev_b32_e32 v9, 20, v9
	v_and_b32_e32 v12, 0x80000000, v12
	v_lshl_add_u32 v10, v10, 23, v13
	v_or3_b32 v9, v12, v10, v9
.LBB30_1896:
	s_or_b64 exec, exec, s[6:7]
	s_nop 0
	v_mfma_f32_16x16x4f32 a[0:3], v8, v9, a[0:3]
	v_lshrrev_b32_e32 v9, 8, v15
	s_movk_i32 s4, 0x7f
	v_cmp_gt_i16_sdwa s[6:7], v9, s4 src0_sel:BYTE_0 src1_sel:DWORD
	s_mov_b64 s[4:5], 0
                                        ; implicit-def: $sgpr10
	s_and_saveexec_b64 s[8:9], s[6:7]
	s_xor_b64 s[6:7], exec, s[8:9]
	s_cbranch_execnz .LBB30_3945
; %bb.1897:
	s_or_saveexec_b64 s[6:7], s[6:7]
	v_mov_b32_e32 v8, s10
	s_xor_b64 exec, exec, s[6:7]
	s_cbranch_execnz .LBB30_3948
.LBB30_1898:
	s_or_b64 exec, exec, s[6:7]
	s_and_saveexec_b64 s[6:7], s[4:5]
	s_cbranch_execz .LBB30_1900
.LBB30_1899:
	v_bfe_u32 v8, v15, 8, 3
	v_ffbh_u32_e32 v12, v8
	v_min_u32_e32 v12, 32, v12
	v_lshrrev_b16_e32 v10, 3, v9
	v_subrev_u32_e32 v13, 28, v12
	v_and_b32_e32 v10, 15, v10
	v_lshlrev_b32_e32 v9, v13, v9
	v_sub_u32_e32 v12, 29, v12
	v_and_b32_e32 v9, 7, v9
	v_cmp_eq_u16_e32 vcc, 0, v10
	v_cndmask_b32_e32 v8, v8, v9, vcc
	v_cndmask_b32_e32 v9, v10, v12, vcc
	v_lshlrev_b32_e32 v10, 16, v15
	v_mov_b32_e32 v12, 0x3b800000
	v_lshlrev_b32_e32 v8, 20, v8
	v_and_b32_e32 v10, 0x80000000, v10
	v_lshl_add_u32 v9, v9, 23, v12
	v_or3_b32 v8, v10, v9, v8
.LBB30_1900:
	s_or_b64 exec, exec, s[6:7]
	v_lshrrev_b32_e32 v9, 8, v11
	s_movk_i32 s4, 0x7f
	v_cmp_gt_i16_sdwa s[6:7], v9, s4 src0_sel:BYTE_0 src1_sel:DWORD
	s_mov_b64 s[4:5], 0
                                        ; implicit-def: $sgpr10
	s_and_saveexec_b64 s[8:9], s[6:7]
	s_xor_b64 s[6:7], exec, s[8:9]
	s_cbranch_execnz .LBB30_3949
; %bb.1901:
	s_or_saveexec_b64 s[6:7], s[6:7]
	v_mov_b32_e32 v10, s10
	s_xor_b64 exec, exec, s[6:7]
	s_cbranch_execnz .LBB30_3952
.LBB30_1902:
	s_or_b64 exec, exec, s[6:7]
	s_and_saveexec_b64 s[6:7], s[4:5]
	s_cbranch_execz .LBB30_1904
.LBB30_1903:
	v_bfe_u32 v10, v11, 8, 3
	v_ffbh_u32_e32 v13, v10
	v_min_u32_e32 v13, 32, v13
	v_lshrrev_b16_e32 v12, 3, v9
	v_subrev_u32_e32 v14, 28, v13
	v_and_b32_e32 v12, 15, v12
	v_lshlrev_b32_e32 v9, v14, v9
	v_sub_u32_e32 v13, 29, v13
	v_and_b32_e32 v9, 7, v9
	v_cmp_eq_u16_e32 vcc, 0, v12
	v_cndmask_b32_e32 v9, v10, v9, vcc
	v_cndmask_b32_e32 v10, v12, v13, vcc
	v_lshlrev_b32_e32 v12, 16, v11
	v_mov_b32_e32 v13, 0x3b800000
	v_lshlrev_b32_e32 v9, 20, v9
	v_and_b32_e32 v12, 0x80000000, v12
	v_lshl_add_u32 v10, v10, 23, v13
	v_or3_b32 v10, v12, v10, v9
.LBB30_1904:
	s_or_b64 exec, exec, s[6:7]
	s_nop 0
	v_mfma_f32_16x16x4f32 a[0:3], v8, v10, a[0:3]
	s_movk_i32 s4, 0xff
	v_and_b32_sdwa v9, v15, s4 dst_sel:DWORD dst_unused:UNUSED_PAD src0_sel:WORD_1 src1_sel:DWORD
	s_movk_i32 s4, 0x7f
	v_cmp_lt_i16_e32 vcc, s4, v9
	s_mov_b64 s[4:5], 0
                                        ; implicit-def: $sgpr10
	s_and_saveexec_b64 s[6:7], vcc
	s_xor_b64 s[6:7], exec, s[6:7]
	s_cbranch_execnz .LBB30_3953
; %bb.1905:
	s_or_saveexec_b64 s[6:7], s[6:7]
	v_mov_b32_e32 v8, s10
	s_xor_b64 exec, exec, s[6:7]
	s_cbranch_execnz .LBB30_3956
.LBB30_1906:
	s_or_b64 exec, exec, s[6:7]
	s_and_saveexec_b64 s[6:7], s[4:5]
	s_cbranch_execz .LBB30_1908
.LBB30_1907:
	v_bfe_u32 v8, v15, 16, 3
	v_ffbh_u32_e32 v12, v8
	v_min_u32_e32 v12, 32, v12
	v_lshrrev_b32_e32 v9, 19, v15
	v_subrev_u32_e32 v13, 28, v12
	v_and_b32_e32 v9, 15, v9
	v_lshlrev_b32_sdwa v13, v13, v15 dst_sel:DWORD dst_unused:UNUSED_PAD src0_sel:DWORD src1_sel:WORD_1
	v_bfe_u32 v10, v15, 19, 4
	v_sub_u32_e32 v12, 29, v12
	v_and_b32_e32 v13, 7, v13
	v_cmp_eq_u16_e32 vcc, 0, v9
	v_cndmask_b32_e32 v8, v8, v13, vcc
	v_cndmask_b32_e32 v9, v10, v12, vcc
	v_lshlrev_b32_e32 v10, 8, v15
	v_mov_b32_e32 v12, 0x3b800000
	v_lshlrev_b32_e32 v8, 20, v8
	v_and_b32_e32 v10, 0x80000000, v10
	v_lshl_add_u32 v9, v9, 23, v12
	v_or3_b32 v8, v10, v9, v8
.LBB30_1908:
	s_or_b64 exec, exec, s[6:7]
	s_movk_i32 s4, 0xff
	v_and_b32_sdwa v9, v11, s4 dst_sel:DWORD dst_unused:UNUSED_PAD src0_sel:WORD_1 src1_sel:DWORD
	s_movk_i32 s4, 0x7f
	v_cmp_lt_i16_e32 vcc, s4, v9
	s_mov_b64 s[4:5], 0
                                        ; implicit-def: $sgpr10
	s_and_saveexec_b64 s[6:7], vcc
	s_xor_b64 s[6:7], exec, s[6:7]
	s_cbranch_execnz .LBB30_3957
; %bb.1909:
	s_or_saveexec_b64 s[6:7], s[6:7]
	v_mov_b32_e32 v10, s10
	s_xor_b64 exec, exec, s[6:7]
	s_cbranch_execnz .LBB30_3960
.LBB30_1910:
	s_or_b64 exec, exec, s[6:7]
	s_and_saveexec_b64 s[6:7], s[4:5]
	s_cbranch_execz .LBB30_1912
.LBB30_1911:
	v_bfe_u32 v9, v11, 16, 3
	v_ffbh_u32_e32 v13, v9
	v_min_u32_e32 v13, 32, v13
	v_lshrrev_b32_e32 v10, 19, v11
	v_subrev_u32_e32 v14, 28, v13
	v_and_b32_e32 v10, 15, v10
	v_lshlrev_b32_sdwa v14, v14, v11 dst_sel:DWORD dst_unused:UNUSED_PAD src0_sel:DWORD src1_sel:WORD_1
	v_bfe_u32 v12, v11, 19, 4
	v_sub_u32_e32 v13, 29, v13
	v_and_b32_e32 v14, 7, v14
	v_cmp_eq_u16_e32 vcc, 0, v10
	v_cndmask_b32_e32 v9, v9, v14, vcc
	v_cndmask_b32_e32 v10, v12, v13, vcc
	v_lshlrev_b32_e32 v12, 8, v11
	v_mov_b32_e32 v13, 0x3b800000
	v_lshlrev_b32_e32 v9, 20, v9
	v_and_b32_e32 v12, 0x80000000, v12
	v_lshl_add_u32 v10, v10, 23, v13
	v_or3_b32 v10, v12, v10, v9
.LBB30_1912:
	s_or_b64 exec, exec, s[6:7]
	s_nop 0
	v_mfma_f32_16x16x4f32 a[0:3], v8, v10, a[0:3]
	s_movk_i32 s4, 0x7f
	v_cmp_gt_i16_sdwa s[6:7], v15, s4 src0_sel:BYTE_3 src1_sel:DWORD
	s_mov_b64 s[4:5], 0
                                        ; implicit-def: $sgpr10
	s_and_saveexec_b64 s[8:9], s[6:7]
	s_xor_b64 s[6:7], exec, s[8:9]
	s_cbranch_execnz .LBB30_3961
; %bb.1913:
	s_or_saveexec_b64 s[6:7], s[6:7]
	v_mov_b32_e32 v8, s10
	s_xor_b64 exec, exec, s[6:7]
	s_cbranch_execnz .LBB30_3964
.LBB30_1914:
	s_or_b64 exec, exec, s[6:7]
	s_and_saveexec_b64 s[6:7], s[4:5]
	s_cbranch_execz .LBB30_1916
.LBB30_1915:
	v_bfe_u32 v8, v15, 24, 3
	v_ffbh_u32_e32 v13, v8
	v_min_u32_e32 v13, 32, v13
	v_lshrrev_b32_e32 v10, 27, v15
	v_subrev_u32_e32 v14, 28, v13
	v_and_b32_e32 v10, 15, v10
	v_lshlrev_b32_sdwa v14, v14, v15 dst_sel:DWORD dst_unused:UNUSED_PAD src0_sel:DWORD src1_sel:BYTE_3
	v_bfe_u32 v12, v15, 27, 4
	v_sub_u32_e32 v13, 29, v13
	v_and_b32_e32 v14, 7, v14
	v_cmp_eq_u16_e32 vcc, 0, v10
	v_cndmask_b32_e32 v8, v8, v14, vcc
	v_cndmask_b32_e32 v10, v12, v13, vcc
	v_mov_b32_e32 v12, 0x3b800000
	v_and_b32_e32 v9, 0x80000000, v15
	v_lshlrev_b32_e32 v8, 20, v8
	v_lshl_add_u32 v10, v10, 23, v12
	v_or3_b32 v8, v9, v10, v8
.LBB30_1916:
	s_or_b64 exec, exec, s[6:7]
	s_movk_i32 s4, 0x7f
	v_cmp_gt_i16_sdwa s[6:7], v11, s4 src0_sel:BYTE_3 src1_sel:DWORD
	s_mov_b64 s[4:5], 0
                                        ; implicit-def: $sgpr10
	s_and_saveexec_b64 s[8:9], s[6:7]
	s_xor_b64 s[6:7], exec, s[8:9]
	s_cbranch_execnz .LBB30_3965
; %bb.1917:
	s_or_saveexec_b64 s[6:7], s[6:7]
	v_mov_b32_e32 v9, s10
	s_xor_b64 exec, exec, s[6:7]
	s_cbranch_execnz .LBB30_3968
.LBB30_1918:
	s_or_b64 exec, exec, s[6:7]
	s_and_saveexec_b64 s[6:7], s[4:5]
	s_cbranch_execz .LBB30_1920
.LBB30_1919:
	v_bfe_u32 v9, v11, 24, 3
	v_ffbh_u32_e32 v14, v9
	v_min_u32_e32 v14, 32, v14
	v_lshrrev_b32_e32 v12, 27, v11
	v_subrev_u32_e32 v15, 28, v14
	v_and_b32_e32 v10, 0x80000000, v11
	v_and_b32_e32 v12, 15, v12
	v_bfe_u32 v13, v11, 27, 4
	v_lshlrev_b32_sdwa v11, v15, v11 dst_sel:DWORD dst_unused:UNUSED_PAD src0_sel:DWORD src1_sel:BYTE_3
	v_sub_u32_e32 v14, 29, v14
	v_and_b32_e32 v11, 7, v11
	v_cmp_eq_u16_e32 vcc, 0, v12
	v_cndmask_b32_e32 v9, v9, v11, vcc
	v_cndmask_b32_e32 v11, v13, v14, vcc
	v_mov_b32_e32 v12, 0x3b800000
	v_lshlrev_b32_e32 v9, 20, v9
	v_lshl_add_u32 v11, v11, 23, v12
	v_or3_b32 v9, v10, v11, v9
.LBB30_1920:
	s_or_b64 exec, exec, s[6:7]
	s_nop 0
	v_mfma_f32_16x16x4f32 a[0:3], v8, v9, a[0:3]
	s_movk_i32 s4, 0x7f
	v_cmp_gt_i16_sdwa s[6:7], v4, s4 src0_sel:BYTE_0 src1_sel:DWORD
	s_mov_b64 s[4:5], 0
                                        ; implicit-def: $sgpr10
	s_and_saveexec_b64 s[8:9], s[6:7]
	s_xor_b64 s[6:7], exec, s[8:9]
	s_cbranch_execnz .LBB30_3969
; %bb.1921:
	s_or_saveexec_b64 s[6:7], s[6:7]
	v_mov_b32_e32 v8, s10
	s_xor_b64 exec, exec, s[6:7]
	s_cbranch_execnz .LBB30_3972
.LBB30_1922:
	s_or_b64 exec, exec, s[6:7]
	s_and_saveexec_b64 s[6:7], s[4:5]
	s_cbranch_execz .LBB30_1924
.LBB30_1923:
	v_and_b32_e32 v8, 7, v4
	v_ffbh_u32_e32 v10, v8
	v_min_u32_e32 v10, 32, v10
	v_lshrrev_b16_e32 v9, 3, v4
	v_subrev_u32_e32 v11, 28, v10
	v_and_b32_e32 v9, 15, v9
	v_lshlrev_b32_e32 v11, v11, v4
	v_sub_u32_e32 v10, 29, v10
	v_and_b32_e32 v11, 7, v11
	v_cmp_eq_u16_e32 vcc, 0, v9
	v_cndmask_b32_e32 v8, v8, v11, vcc
	v_cndmask_b32_e32 v9, v9, v10, vcc
	v_lshlrev_b32_e32 v10, 24, v4
	v_mov_b32_e32 v11, 0x3b800000
	v_lshlrev_b32_e32 v8, 20, v8
	v_and_b32_e32 v10, 0x80000000, v10
	v_lshl_add_u32 v9, v9, 23, v11
	v_or3_b32 v8, v10, v9, v8
.LBB30_1924:
	s_or_b64 exec, exec, s[6:7]
	s_movk_i32 s4, 0x7f
	v_cmp_gt_i16_sdwa s[6:7], v0, s4 src0_sel:BYTE_0 src1_sel:DWORD
	s_mov_b64 s[4:5], 0
                                        ; implicit-def: $sgpr10
	s_and_saveexec_b64 s[8:9], s[6:7]
	s_xor_b64 s[6:7], exec, s[8:9]
	s_cbranch_execnz .LBB30_3973
; %bb.1925:
	s_or_saveexec_b64 s[6:7], s[6:7]
	v_mov_b32_e32 v9, s10
	s_xor_b64 exec, exec, s[6:7]
	s_cbranch_execnz .LBB30_3976
.LBB30_1926:
	s_or_b64 exec, exec, s[6:7]
	s_and_saveexec_b64 s[6:7], s[4:5]
	s_cbranch_execz .LBB30_1928
.LBB30_1927:
	v_and_b32_e32 v9, 7, v0
	v_ffbh_u32_e32 v11, v9
	v_min_u32_e32 v11, 32, v11
	v_lshrrev_b16_e32 v10, 3, v0
	v_subrev_u32_e32 v12, 28, v11
	v_and_b32_e32 v10, 15, v10
	v_lshlrev_b32_e32 v12, v12, v0
	v_sub_u32_e32 v11, 29, v11
	v_and_b32_e32 v12, 7, v12
	v_cmp_eq_u16_e32 vcc, 0, v10
	v_cndmask_b32_e32 v9, v9, v12, vcc
	v_cndmask_b32_e32 v10, v10, v11, vcc
	v_lshlrev_b32_e32 v11, 24, v0
	v_mov_b32_e32 v12, 0x3b800000
	v_lshlrev_b32_e32 v9, 20, v9
	v_and_b32_e32 v11, 0x80000000, v11
	v_lshl_add_u32 v10, v10, 23, v12
	v_or3_b32 v9, v11, v10, v9
.LBB30_1928:
	s_or_b64 exec, exec, s[6:7]
	s_nop 0
	v_mfma_f32_16x16x4f32 a[0:3], v8, v9, a[0:3]
	v_lshrrev_b32_e32 v9, 8, v4
	s_movk_i32 s4, 0x7f
	v_cmp_gt_i16_sdwa s[6:7], v9, s4 src0_sel:BYTE_0 src1_sel:DWORD
	s_mov_b64 s[4:5], 0
                                        ; implicit-def: $sgpr10
	s_and_saveexec_b64 s[8:9], s[6:7]
	s_xor_b64 s[6:7], exec, s[8:9]
	s_cbranch_execnz .LBB30_3977
; %bb.1929:
	s_or_saveexec_b64 s[6:7], s[6:7]
	v_mov_b32_e32 v8, s10
	s_xor_b64 exec, exec, s[6:7]
	s_cbranch_execnz .LBB30_3980
.LBB30_1930:
	s_or_b64 exec, exec, s[6:7]
	s_and_saveexec_b64 s[6:7], s[4:5]
	s_cbranch_execz .LBB30_1932
.LBB30_1931:
	v_bfe_u32 v8, v4, 8, 3
	v_ffbh_u32_e32 v11, v8
	v_min_u32_e32 v11, 32, v11
	v_lshrrev_b16_e32 v10, 3, v9
	v_subrev_u32_e32 v12, 28, v11
	v_and_b32_e32 v10, 15, v10
	v_lshlrev_b32_e32 v9, v12, v9
	v_sub_u32_e32 v11, 29, v11
	v_and_b32_e32 v9, 7, v9
	v_cmp_eq_u16_e32 vcc, 0, v10
	v_cndmask_b32_e32 v8, v8, v9, vcc
	v_cndmask_b32_e32 v9, v10, v11, vcc
	v_lshlrev_b32_e32 v10, 16, v4
	v_mov_b32_e32 v11, 0x3b800000
	v_lshlrev_b32_e32 v8, 20, v8
	v_and_b32_e32 v10, 0x80000000, v10
	v_lshl_add_u32 v9, v9, 23, v11
	v_or3_b32 v8, v10, v9, v8
.LBB30_1932:
	s_or_b64 exec, exec, s[6:7]
	v_lshrrev_b32_e32 v9, 8, v0
	s_movk_i32 s4, 0x7f
	v_cmp_gt_i16_sdwa s[6:7], v9, s4 src0_sel:BYTE_0 src1_sel:DWORD
	s_mov_b64 s[4:5], 0
                                        ; implicit-def: $sgpr10
	s_and_saveexec_b64 s[8:9], s[6:7]
	s_xor_b64 s[6:7], exec, s[8:9]
	s_cbranch_execnz .LBB30_3981
; %bb.1933:
	s_or_saveexec_b64 s[6:7], s[6:7]
	v_mov_b32_e32 v10, s10
	s_xor_b64 exec, exec, s[6:7]
	s_cbranch_execnz .LBB30_3984
.LBB30_1934:
	s_or_b64 exec, exec, s[6:7]
	s_and_saveexec_b64 s[6:7], s[4:5]
	s_cbranch_execz .LBB30_1936
.LBB30_1935:
	v_bfe_u32 v10, v0, 8, 3
	v_ffbh_u32_e32 v12, v10
	v_min_u32_e32 v12, 32, v12
	v_lshrrev_b16_e32 v11, 3, v9
	v_subrev_u32_e32 v13, 28, v12
	v_and_b32_e32 v11, 15, v11
	v_lshlrev_b32_e32 v9, v13, v9
	v_sub_u32_e32 v12, 29, v12
	v_and_b32_e32 v9, 7, v9
	v_cmp_eq_u16_e32 vcc, 0, v11
	v_cndmask_b32_e32 v9, v10, v9, vcc
	v_cndmask_b32_e32 v10, v11, v12, vcc
	v_lshlrev_b32_e32 v11, 16, v0
	v_mov_b32_e32 v12, 0x3b800000
	v_lshlrev_b32_e32 v9, 20, v9
	v_and_b32_e32 v11, 0x80000000, v11
	v_lshl_add_u32 v10, v10, 23, v12
	v_or3_b32 v10, v11, v10, v9
.LBB30_1936:
	s_or_b64 exec, exec, s[6:7]
	s_nop 0
	v_mfma_f32_16x16x4f32 a[0:3], v8, v10, a[0:3]
	s_movk_i32 s4, 0xff
	v_and_b32_sdwa v9, v4, s4 dst_sel:DWORD dst_unused:UNUSED_PAD src0_sel:WORD_1 src1_sel:DWORD
	s_movk_i32 s4, 0x7f
	v_cmp_lt_i16_e32 vcc, s4, v9
	s_mov_b64 s[4:5], 0
                                        ; implicit-def: $sgpr10
	s_and_saveexec_b64 s[6:7], vcc
	s_xor_b64 s[6:7], exec, s[6:7]
	s_cbranch_execnz .LBB30_3985
; %bb.1937:
	s_or_saveexec_b64 s[6:7], s[6:7]
	v_mov_b32_e32 v8, s10
	s_xor_b64 exec, exec, s[6:7]
	s_cbranch_execnz .LBB30_3988
.LBB30_1938:
	s_or_b64 exec, exec, s[6:7]
	s_and_saveexec_b64 s[6:7], s[4:5]
	s_cbranch_execz .LBB30_1940
.LBB30_1939:
	v_bfe_u32 v8, v4, 16, 3
	v_ffbh_u32_e32 v11, v8
	v_min_u32_e32 v11, 32, v11
	v_lshrrev_b32_e32 v9, 19, v4
	v_subrev_u32_e32 v12, 28, v11
	v_and_b32_e32 v9, 15, v9
	v_lshlrev_b32_sdwa v12, v12, v4 dst_sel:DWORD dst_unused:UNUSED_PAD src0_sel:DWORD src1_sel:WORD_1
	v_bfe_u32 v10, v4, 19, 4
	v_sub_u32_e32 v11, 29, v11
	v_and_b32_e32 v12, 7, v12
	v_cmp_eq_u16_e32 vcc, 0, v9
	v_cndmask_b32_e32 v8, v8, v12, vcc
	v_cndmask_b32_e32 v9, v10, v11, vcc
	v_lshlrev_b32_e32 v10, 8, v4
	v_mov_b32_e32 v11, 0x3b800000
	v_lshlrev_b32_e32 v8, 20, v8
	v_and_b32_e32 v10, 0x80000000, v10
	v_lshl_add_u32 v9, v9, 23, v11
	v_or3_b32 v8, v10, v9, v8
.LBB30_1940:
	s_or_b64 exec, exec, s[6:7]
	s_movk_i32 s4, 0xff
	v_and_b32_sdwa v9, v0, s4 dst_sel:DWORD dst_unused:UNUSED_PAD src0_sel:WORD_1 src1_sel:DWORD
	s_movk_i32 s4, 0x7f
	v_cmp_lt_i16_e32 vcc, s4, v9
	s_mov_b64 s[4:5], 0
                                        ; implicit-def: $sgpr10
	s_and_saveexec_b64 s[6:7], vcc
	s_xor_b64 s[6:7], exec, s[6:7]
	s_cbranch_execnz .LBB30_3989
; %bb.1941:
	s_or_saveexec_b64 s[6:7], s[6:7]
	v_mov_b32_e32 v10, s10
	s_xor_b64 exec, exec, s[6:7]
	s_cbranch_execnz .LBB30_3992
.LBB30_1942:
	s_or_b64 exec, exec, s[6:7]
	s_and_saveexec_b64 s[6:7], s[4:5]
	s_cbranch_execz .LBB30_1944
.LBB30_1943:
	v_bfe_u32 v9, v0, 16, 3
	v_ffbh_u32_e32 v12, v9
	v_min_u32_e32 v12, 32, v12
	v_lshrrev_b32_e32 v10, 19, v0
	v_subrev_u32_e32 v13, 28, v12
	v_and_b32_e32 v10, 15, v10
	v_lshlrev_b32_sdwa v13, v13, v0 dst_sel:DWORD dst_unused:UNUSED_PAD src0_sel:DWORD src1_sel:WORD_1
	v_bfe_u32 v11, v0, 19, 4
	v_sub_u32_e32 v12, 29, v12
	v_and_b32_e32 v13, 7, v13
	v_cmp_eq_u16_e32 vcc, 0, v10
	v_cndmask_b32_e32 v9, v9, v13, vcc
	v_cndmask_b32_e32 v10, v11, v12, vcc
	v_lshlrev_b32_e32 v11, 8, v0
	v_mov_b32_e32 v12, 0x3b800000
	v_lshlrev_b32_e32 v9, 20, v9
	v_and_b32_e32 v11, 0x80000000, v11
	v_lshl_add_u32 v10, v10, 23, v12
	v_or3_b32 v10, v11, v10, v9
.LBB30_1944:
	s_or_b64 exec, exec, s[6:7]
	s_nop 0
	v_mfma_f32_16x16x4f32 a[0:3], v8, v10, a[0:3]
	s_movk_i32 s4, 0x7f
	v_cmp_gt_i16_sdwa s[6:7], v4, s4 src0_sel:BYTE_3 src1_sel:DWORD
	s_mov_b64 s[4:5], 0
                                        ; implicit-def: $sgpr10
	s_and_saveexec_b64 s[8:9], s[6:7]
	s_xor_b64 s[6:7], exec, s[8:9]
	s_cbranch_execnz .LBB30_3993
; %bb.1945:
	s_or_saveexec_b64 s[6:7], s[6:7]
	v_mov_b32_e32 v8, s10
	s_xor_b64 exec, exec, s[6:7]
	s_cbranch_execnz .LBB30_3996
.LBB30_1946:
	s_or_b64 exec, exec, s[6:7]
	s_and_saveexec_b64 s[6:7], s[4:5]
	s_cbranch_execz .LBB30_1948
.LBB30_1947:
	v_bfe_u32 v8, v4, 24, 3
	v_ffbh_u32_e32 v12, v8
	v_min_u32_e32 v12, 32, v12
	v_lshrrev_b32_e32 v10, 27, v4
	v_subrev_u32_e32 v13, 28, v12
	v_and_b32_e32 v9, 0x80000000, v4
	v_and_b32_e32 v10, 15, v10
	v_bfe_u32 v11, v4, 27, 4
	v_lshlrev_b32_sdwa v4, v13, v4 dst_sel:DWORD dst_unused:UNUSED_PAD src0_sel:DWORD src1_sel:BYTE_3
	v_sub_u32_e32 v12, 29, v12
	v_and_b32_e32 v4, 7, v4
	v_cmp_eq_u16_e32 vcc, 0, v10
	v_cndmask_b32_e32 v4, v8, v4, vcc
	v_cndmask_b32_e32 v8, v11, v12, vcc
	v_mov_b32_e32 v10, 0x3b800000
	v_lshlrev_b32_e32 v4, 20, v4
	v_lshl_add_u32 v8, v8, 23, v10
	v_or3_b32 v8, v9, v8, v4
.LBB30_1948:
	s_or_b64 exec, exec, s[6:7]
	s_movk_i32 s4, 0x7f
	v_cmp_gt_i16_sdwa s[6:7], v0, s4 src0_sel:BYTE_3 src1_sel:DWORD
	s_mov_b64 s[4:5], 0
                                        ; implicit-def: $sgpr10
	s_and_saveexec_b64 s[8:9], s[6:7]
	s_xor_b64 s[6:7], exec, s[8:9]
	s_cbranch_execnz .LBB30_3997
; %bb.1949:
	s_or_saveexec_b64 s[6:7], s[6:7]
	v_mov_b32_e32 v4, s10
	s_xor_b64 exec, exec, s[6:7]
	s_cbranch_execnz .LBB30_4000
.LBB30_1950:
	s_or_b64 exec, exec, s[6:7]
	s_and_saveexec_b64 s[6:7], s[4:5]
	s_cbranch_execz .LBB30_1952
.LBB30_1951:
	v_bfe_u32 v4, v0, 24, 3
	v_ffbh_u32_e32 v12, v4
	v_min_u32_e32 v12, 32, v12
	v_lshrrev_b32_e32 v10, 27, v0
	v_subrev_u32_e32 v13, 28, v12
	v_and_b32_e32 v9, 0x80000000, v0
	v_and_b32_e32 v10, 15, v10
	v_bfe_u32 v11, v0, 27, 4
	v_lshlrev_b32_sdwa v0, v13, v0 dst_sel:DWORD dst_unused:UNUSED_PAD src0_sel:DWORD src1_sel:BYTE_3
	v_sub_u32_e32 v12, 29, v12
	v_and_b32_e32 v0, 7, v0
	v_cmp_eq_u16_e32 vcc, 0, v10
	v_cndmask_b32_e32 v0, v4, v0, vcc
	v_cndmask_b32_e32 v4, v11, v12, vcc
	v_mov_b32_e32 v10, 0x3b800000
	v_lshlrev_b32_e32 v0, 20, v0
	v_lshl_add_u32 v4, v4, 23, v10
	v_or3_b32 v4, v9, v4, v0
.LBB30_1952:
	s_or_b64 exec, exec, s[6:7]
	s_nop 0
	v_mfma_f32_16x16x4f32 a[0:3], v8, v4, a[0:3]
	s_movk_i32 s4, 0x7f
	v_cmp_gt_i16_sdwa s[6:7], v5, s4 src0_sel:BYTE_0 src1_sel:DWORD
	s_mov_b64 s[4:5], 0
                                        ; implicit-def: $sgpr10
	s_and_saveexec_b64 s[8:9], s[6:7]
	s_xor_b64 s[6:7], exec, s[8:9]
	s_cbranch_execnz .LBB30_4001
; %bb.1953:
	s_or_saveexec_b64 s[6:7], s[6:7]
	v_mov_b32_e32 v0, s10
	s_xor_b64 exec, exec, s[6:7]
	s_cbranch_execnz .LBB30_4004
.LBB30_1954:
	s_or_b64 exec, exec, s[6:7]
	s_and_saveexec_b64 s[6:7], s[4:5]
	s_cbranch_execz .LBB30_1956
.LBB30_1955:
	v_and_b32_e32 v0, 7, v5
	v_ffbh_u32_e32 v8, v0
	v_min_u32_e32 v8, 32, v8
	v_lshrrev_b16_e32 v4, 3, v5
	v_subrev_u32_e32 v9, 28, v8
	v_and_b32_e32 v4, 15, v4
	v_lshlrev_b32_e32 v9, v9, v5
	v_sub_u32_e32 v8, 29, v8
	v_and_b32_e32 v9, 7, v9
	v_cmp_eq_u16_e32 vcc, 0, v4
	v_cndmask_b32_e32 v0, v0, v9, vcc
	v_cndmask_b32_e32 v4, v4, v8, vcc
	v_lshlrev_b32_e32 v8, 24, v5
	v_mov_b32_e32 v9, 0x3b800000
	v_lshlrev_b32_e32 v0, 20, v0
	v_and_b32_e32 v8, 0x80000000, v8
	v_lshl_add_u32 v4, v4, 23, v9
	v_or3_b32 v0, v8, v4, v0
.LBB30_1956:
	s_or_b64 exec, exec, s[6:7]
	s_movk_i32 s4, 0x7f
	v_cmp_gt_i16_sdwa s[6:7], v1, s4 src0_sel:BYTE_0 src1_sel:DWORD
	s_mov_b64 s[4:5], 0
                                        ; implicit-def: $sgpr10
	s_and_saveexec_b64 s[8:9], s[6:7]
	s_xor_b64 s[6:7], exec, s[8:9]
	s_cbranch_execnz .LBB30_4005
; %bb.1957:
	s_or_saveexec_b64 s[6:7], s[6:7]
	v_mov_b32_e32 v4, s10
	s_xor_b64 exec, exec, s[6:7]
	s_cbranch_execnz .LBB30_4008
.LBB30_1958:
	s_or_b64 exec, exec, s[6:7]
	s_and_saveexec_b64 s[6:7], s[4:5]
	s_cbranch_execz .LBB30_1960
.LBB30_1959:
	v_and_b32_e32 v4, 7, v1
	v_ffbh_u32_e32 v9, v4
	v_min_u32_e32 v9, 32, v9
	v_lshrrev_b16_e32 v8, 3, v1
	v_subrev_u32_e32 v10, 28, v9
	v_and_b32_e32 v8, 15, v8
	v_lshlrev_b32_e32 v10, v10, v1
	v_sub_u32_e32 v9, 29, v9
	v_and_b32_e32 v10, 7, v10
	v_cmp_eq_u16_e32 vcc, 0, v8
	v_cndmask_b32_e32 v4, v4, v10, vcc
	v_cndmask_b32_e32 v8, v8, v9, vcc
	v_lshlrev_b32_e32 v9, 24, v1
	v_mov_b32_e32 v10, 0x3b800000
	v_lshlrev_b32_e32 v4, 20, v4
	v_and_b32_e32 v9, 0x80000000, v9
	v_lshl_add_u32 v8, v8, 23, v10
	v_or3_b32 v4, v9, v8, v4
.LBB30_1960:
	s_or_b64 exec, exec, s[6:7]
	s_nop 0
	v_mfma_f32_16x16x4f32 a[0:3], v0, v4, a[0:3]
	v_lshrrev_b32_e32 v4, 8, v5
	s_movk_i32 s4, 0x7f
	v_cmp_gt_i16_sdwa s[6:7], v4, s4 src0_sel:BYTE_0 src1_sel:DWORD
	s_mov_b64 s[4:5], 0
                                        ; implicit-def: $sgpr10
	s_and_saveexec_b64 s[8:9], s[6:7]
	s_xor_b64 s[6:7], exec, s[8:9]
	s_cbranch_execnz .LBB30_4009
; %bb.1961:
	s_or_saveexec_b64 s[6:7], s[6:7]
	v_mov_b32_e32 v0, s10
	s_xor_b64 exec, exec, s[6:7]
	s_cbranch_execnz .LBB30_4012
.LBB30_1962:
	s_or_b64 exec, exec, s[6:7]
	s_and_saveexec_b64 s[6:7], s[4:5]
	s_cbranch_execz .LBB30_1964
.LBB30_1963:
	v_bfe_u32 v0, v5, 8, 3
	v_ffbh_u32_e32 v9, v0
	v_min_u32_e32 v9, 32, v9
	v_lshrrev_b16_e32 v8, 3, v4
	v_subrev_u32_e32 v10, 28, v9
	v_and_b32_e32 v8, 15, v8
	v_lshlrev_b32_e32 v4, v10, v4
	v_sub_u32_e32 v9, 29, v9
	v_and_b32_e32 v4, 7, v4
	v_cmp_eq_u16_e32 vcc, 0, v8
	v_cndmask_b32_e32 v0, v0, v4, vcc
	v_cndmask_b32_e32 v4, v8, v9, vcc
	v_lshlrev_b32_e32 v8, 16, v5
	v_mov_b32_e32 v9, 0x3b800000
	v_lshlrev_b32_e32 v0, 20, v0
	v_and_b32_e32 v8, 0x80000000, v8
	v_lshl_add_u32 v4, v4, 23, v9
	v_or3_b32 v0, v8, v4, v0
.LBB30_1964:
	s_or_b64 exec, exec, s[6:7]
	v_lshrrev_b32_e32 v4, 8, v1
	s_movk_i32 s4, 0x7f
	v_cmp_gt_i16_sdwa s[6:7], v4, s4 src0_sel:BYTE_0 src1_sel:DWORD
	s_mov_b64 s[4:5], 0
                                        ; implicit-def: $sgpr10
	s_and_saveexec_b64 s[8:9], s[6:7]
	s_xor_b64 s[6:7], exec, s[8:9]
	s_cbranch_execnz .LBB30_4013
; %bb.1965:
	s_or_saveexec_b64 s[6:7], s[6:7]
	v_mov_b32_e32 v8, s10
	s_xor_b64 exec, exec, s[6:7]
	s_cbranch_execnz .LBB30_4016
.LBB30_1966:
	s_or_b64 exec, exec, s[6:7]
	s_and_saveexec_b64 s[6:7], s[4:5]
	s_cbranch_execz .LBB30_1968
.LBB30_1967:
	v_bfe_u32 v8, v1, 8, 3
	v_ffbh_u32_e32 v10, v8
	v_min_u32_e32 v10, 32, v10
	v_lshrrev_b16_e32 v9, 3, v4
	v_subrev_u32_e32 v11, 28, v10
	v_and_b32_e32 v9, 15, v9
	v_lshlrev_b32_e32 v4, v11, v4
	v_sub_u32_e32 v10, 29, v10
	v_and_b32_e32 v4, 7, v4
	v_cmp_eq_u16_e32 vcc, 0, v9
	v_cndmask_b32_e32 v4, v8, v4, vcc
	v_cndmask_b32_e32 v8, v9, v10, vcc
	v_lshlrev_b32_e32 v9, 16, v1
	v_mov_b32_e32 v10, 0x3b800000
	v_lshlrev_b32_e32 v4, 20, v4
	v_and_b32_e32 v9, 0x80000000, v9
	v_lshl_add_u32 v8, v8, 23, v10
	v_or3_b32 v8, v9, v8, v4
.LBB30_1968:
	s_or_b64 exec, exec, s[6:7]
	s_nop 0
	v_mfma_f32_16x16x4f32 a[0:3], v0, v8, a[0:3]
	s_movk_i32 s4, 0xff
	v_and_b32_sdwa v4, v5, s4 dst_sel:DWORD dst_unused:UNUSED_PAD src0_sel:WORD_1 src1_sel:DWORD
	s_movk_i32 s4, 0x7f
	v_cmp_lt_i16_e32 vcc, s4, v4
	s_mov_b64 s[4:5], 0
                                        ; implicit-def: $sgpr10
	s_and_saveexec_b64 s[6:7], vcc
	s_xor_b64 s[6:7], exec, s[6:7]
	s_cbranch_execnz .LBB30_4017
; %bb.1969:
	s_or_saveexec_b64 s[6:7], s[6:7]
	v_mov_b32_e32 v0, s10
	s_xor_b64 exec, exec, s[6:7]
	s_cbranch_execnz .LBB30_4020
.LBB30_1970:
	s_or_b64 exec, exec, s[6:7]
	s_and_saveexec_b64 s[6:7], s[4:5]
	s_cbranch_execz .LBB30_1972
.LBB30_1971:
	v_bfe_u32 v0, v5, 16, 3
	v_ffbh_u32_e32 v9, v0
	v_min_u32_e32 v9, 32, v9
	v_lshrrev_b32_e32 v4, 19, v5
	v_subrev_u32_e32 v10, 28, v9
	v_and_b32_e32 v4, 15, v4
	v_lshlrev_b32_sdwa v10, v10, v5 dst_sel:DWORD dst_unused:UNUSED_PAD src0_sel:DWORD src1_sel:WORD_1
	v_bfe_u32 v8, v5, 19, 4
	v_sub_u32_e32 v9, 29, v9
	v_and_b32_e32 v10, 7, v10
	v_cmp_eq_u16_e32 vcc, 0, v4
	v_cndmask_b32_e32 v0, v0, v10, vcc
	v_cndmask_b32_e32 v4, v8, v9, vcc
	v_lshlrev_b32_e32 v8, 8, v5
	v_mov_b32_e32 v9, 0x3b800000
	v_lshlrev_b32_e32 v0, 20, v0
	v_and_b32_e32 v8, 0x80000000, v8
	v_lshl_add_u32 v4, v4, 23, v9
	v_or3_b32 v0, v8, v4, v0
.LBB30_1972:
	s_or_b64 exec, exec, s[6:7]
	s_movk_i32 s4, 0xff
	v_and_b32_sdwa v4, v1, s4 dst_sel:DWORD dst_unused:UNUSED_PAD src0_sel:WORD_1 src1_sel:DWORD
	s_movk_i32 s4, 0x7f
	v_cmp_lt_i16_e32 vcc, s4, v4
	s_mov_b64 s[4:5], 0
                                        ; implicit-def: $sgpr10
	s_and_saveexec_b64 s[6:7], vcc
	s_xor_b64 s[6:7], exec, s[6:7]
	s_cbranch_execnz .LBB30_4021
; %bb.1973:
	s_or_saveexec_b64 s[6:7], s[6:7]
	v_mov_b32_e32 v8, s10
	s_xor_b64 exec, exec, s[6:7]
	s_cbranch_execnz .LBB30_4024
.LBB30_1974:
	s_or_b64 exec, exec, s[6:7]
	s_and_saveexec_b64 s[6:7], s[4:5]
	s_cbranch_execz .LBB30_1976
.LBB30_1975:
	v_bfe_u32 v4, v1, 16, 3
	v_ffbh_u32_e32 v10, v4
	v_min_u32_e32 v10, 32, v10
	v_lshrrev_b32_e32 v8, 19, v1
	v_subrev_u32_e32 v11, 28, v10
	v_and_b32_e32 v8, 15, v8
	v_lshlrev_b32_sdwa v11, v11, v1 dst_sel:DWORD dst_unused:UNUSED_PAD src0_sel:DWORD src1_sel:WORD_1
	v_bfe_u32 v9, v1, 19, 4
	v_sub_u32_e32 v10, 29, v10
	v_and_b32_e32 v11, 7, v11
	v_cmp_eq_u16_e32 vcc, 0, v8
	v_cndmask_b32_e32 v4, v4, v11, vcc
	v_cndmask_b32_e32 v8, v9, v10, vcc
	v_lshlrev_b32_e32 v9, 8, v1
	v_mov_b32_e32 v10, 0x3b800000
	v_lshlrev_b32_e32 v4, 20, v4
	v_and_b32_e32 v9, 0x80000000, v9
	v_lshl_add_u32 v8, v8, 23, v10
	v_or3_b32 v8, v9, v8, v4
.LBB30_1976:
	s_or_b64 exec, exec, s[6:7]
	s_nop 0
	v_mfma_f32_16x16x4f32 a[0:3], v0, v8, a[0:3]
	s_movk_i32 s4, 0x7f
	v_cmp_gt_i16_sdwa s[6:7], v5, s4 src0_sel:BYTE_3 src1_sel:DWORD
	s_mov_b64 s[4:5], 0
                                        ; implicit-def: $sgpr10
	s_and_saveexec_b64 s[8:9], s[6:7]
	s_xor_b64 s[6:7], exec, s[8:9]
	s_cbranch_execnz .LBB30_4025
; %bb.1977:
	s_or_saveexec_b64 s[6:7], s[6:7]
	v_mov_b32_e32 v0, s10
	s_xor_b64 exec, exec, s[6:7]
	s_cbranch_execnz .LBB30_4028
.LBB30_1978:
	s_or_b64 exec, exec, s[6:7]
	s_and_saveexec_b64 s[6:7], s[4:5]
	s_cbranch_execz .LBB30_1980
.LBB30_1979:
	v_bfe_u32 v0, v5, 24, 3
	v_ffbh_u32_e32 v10, v0
	v_min_u32_e32 v10, 32, v10
	v_lshrrev_b32_e32 v8, 27, v5
	v_subrev_u32_e32 v11, 28, v10
	v_and_b32_e32 v4, 0x80000000, v5
	v_and_b32_e32 v8, 15, v8
	v_bfe_u32 v9, v5, 27, 4
	v_lshlrev_b32_sdwa v5, v11, v5 dst_sel:DWORD dst_unused:UNUSED_PAD src0_sel:DWORD src1_sel:BYTE_3
	v_sub_u32_e32 v10, 29, v10
	v_and_b32_e32 v5, 7, v5
	v_cmp_eq_u16_e32 vcc, 0, v8
	v_cndmask_b32_e32 v0, v0, v5, vcc
	v_cndmask_b32_e32 v5, v9, v10, vcc
	v_mov_b32_e32 v8, 0x3b800000
	v_lshlrev_b32_e32 v0, 20, v0
	v_lshl_add_u32 v5, v5, 23, v8
	v_or3_b32 v0, v4, v5, v0
.LBB30_1980:
	s_or_b64 exec, exec, s[6:7]
	s_movk_i32 s4, 0x7f
	v_cmp_gt_i16_sdwa s[6:7], v1, s4 src0_sel:BYTE_3 src1_sel:DWORD
	s_mov_b64 s[4:5], 0
                                        ; implicit-def: $sgpr10
	s_and_saveexec_b64 s[8:9], s[6:7]
	s_xor_b64 s[6:7], exec, s[8:9]
	s_cbranch_execnz .LBB30_4029
; %bb.1981:
	s_or_saveexec_b64 s[6:7], s[6:7]
	v_mov_b32_e32 v4, s10
	s_xor_b64 exec, exec, s[6:7]
	s_cbranch_execnz .LBB30_4032
.LBB30_1982:
	s_or_b64 exec, exec, s[6:7]
	s_and_saveexec_b64 s[6:7], s[4:5]
	s_cbranch_execz .LBB30_1984
.LBB30_1983:
	v_bfe_u32 v4, v1, 24, 3
	v_ffbh_u32_e32 v10, v4
	v_min_u32_e32 v10, 32, v10
	v_lshrrev_b32_e32 v8, 27, v1
	v_subrev_u32_e32 v11, 28, v10
	v_and_b32_e32 v5, 0x80000000, v1
	v_and_b32_e32 v8, 15, v8
	v_bfe_u32 v9, v1, 27, 4
	v_lshlrev_b32_sdwa v1, v11, v1 dst_sel:DWORD dst_unused:UNUSED_PAD src0_sel:DWORD src1_sel:BYTE_3
	v_sub_u32_e32 v10, 29, v10
	v_and_b32_e32 v1, 7, v1
	v_cmp_eq_u16_e32 vcc, 0, v8
	v_cndmask_b32_e32 v1, v4, v1, vcc
	v_cndmask_b32_e32 v4, v9, v10, vcc
	v_mov_b32_e32 v8, 0x3b800000
	v_lshlrev_b32_e32 v1, 20, v1
	v_lshl_add_u32 v4, v4, 23, v8
	v_or3_b32 v4, v5, v4, v1
.LBB30_1984:
	s_or_b64 exec, exec, s[6:7]
	s_nop 0
	v_mfma_f32_16x16x4f32 a[0:3], v0, v4, a[0:3]
	s_movk_i32 s4, 0x7f
	v_cmp_gt_i16_sdwa s[6:7], v6, s4 src0_sel:BYTE_0 src1_sel:DWORD
	s_mov_b64 s[4:5], 0
                                        ; implicit-def: $sgpr10
	s_and_saveexec_b64 s[8:9], s[6:7]
	s_xor_b64 s[6:7], exec, s[8:9]
	s_cbranch_execnz .LBB30_4033
; %bb.1985:
	s_or_saveexec_b64 s[6:7], s[6:7]
	v_mov_b32_e32 v0, s10
	s_xor_b64 exec, exec, s[6:7]
	s_cbranch_execnz .LBB30_4036
.LBB30_1986:
	s_or_b64 exec, exec, s[6:7]
	s_and_saveexec_b64 s[6:7], s[4:5]
	s_cbranch_execz .LBB30_1988
.LBB30_1987:
	v_and_b32_e32 v0, 7, v6
	v_ffbh_u32_e32 v4, v0
	v_min_u32_e32 v4, 32, v4
	v_lshrrev_b16_e32 v1, 3, v6
	v_subrev_u32_e32 v5, 28, v4
	v_and_b32_e32 v1, 15, v1
	v_lshlrev_b32_e32 v5, v5, v6
	v_sub_u32_e32 v4, 29, v4
	v_and_b32_e32 v5, 7, v5
	v_cmp_eq_u16_e32 vcc, 0, v1
	v_cndmask_b32_e32 v0, v0, v5, vcc
	v_cndmask_b32_e32 v1, v1, v4, vcc
	v_lshlrev_b32_e32 v4, 24, v6
	v_mov_b32_e32 v5, 0x3b800000
	v_lshlrev_b32_e32 v0, 20, v0
	v_and_b32_e32 v4, 0x80000000, v4
	v_lshl_add_u32 v1, v1, 23, v5
	v_or3_b32 v0, v4, v1, v0
.LBB30_1988:
	s_or_b64 exec, exec, s[6:7]
	s_movk_i32 s4, 0x7f
	v_cmp_gt_i16_sdwa s[6:7], v2, s4 src0_sel:BYTE_0 src1_sel:DWORD
	s_mov_b64 s[4:5], 0
                                        ; implicit-def: $sgpr10
	s_and_saveexec_b64 s[8:9], s[6:7]
	s_xor_b64 s[6:7], exec, s[8:9]
	s_cbranch_execnz .LBB30_4037
; %bb.1989:
	s_or_saveexec_b64 s[6:7], s[6:7]
	v_mov_b32_e32 v1, s10
	s_xor_b64 exec, exec, s[6:7]
	s_cbranch_execnz .LBB30_4040
.LBB30_1990:
	s_or_b64 exec, exec, s[6:7]
	s_and_saveexec_b64 s[6:7], s[4:5]
	s_cbranch_execz .LBB30_1992
.LBB30_1991:
	v_and_b32_e32 v1, 7, v2
	v_ffbh_u32_e32 v5, v1
	v_min_u32_e32 v5, 32, v5
	v_lshrrev_b16_e32 v4, 3, v2
	v_subrev_u32_e32 v8, 28, v5
	v_and_b32_e32 v4, 15, v4
	v_lshlrev_b32_e32 v8, v8, v2
	v_sub_u32_e32 v5, 29, v5
	v_and_b32_e32 v8, 7, v8
	v_cmp_eq_u16_e32 vcc, 0, v4
	v_cndmask_b32_e32 v1, v1, v8, vcc
	v_cndmask_b32_e32 v4, v4, v5, vcc
	v_lshlrev_b32_e32 v5, 24, v2
	v_mov_b32_e32 v8, 0x3b800000
	v_lshlrev_b32_e32 v1, 20, v1
	v_and_b32_e32 v5, 0x80000000, v5
	v_lshl_add_u32 v4, v4, 23, v8
	v_or3_b32 v1, v5, v4, v1
.LBB30_1992:
	s_or_b64 exec, exec, s[6:7]
	s_nop 0
	v_mfma_f32_16x16x4f32 a[0:3], v0, v1, a[0:3]
	v_lshrrev_b32_e32 v1, 8, v6
	s_movk_i32 s4, 0x7f
	v_cmp_gt_i16_sdwa s[6:7], v1, s4 src0_sel:BYTE_0 src1_sel:DWORD
	s_mov_b64 s[4:5], 0
                                        ; implicit-def: $sgpr10
	s_and_saveexec_b64 s[8:9], s[6:7]
	s_xor_b64 s[6:7], exec, s[8:9]
	s_cbranch_execnz .LBB30_4041
; %bb.1993:
	s_or_saveexec_b64 s[6:7], s[6:7]
	v_mov_b32_e32 v0, s10
	s_xor_b64 exec, exec, s[6:7]
	s_cbranch_execnz .LBB30_4044
.LBB30_1994:
	s_or_b64 exec, exec, s[6:7]
	s_and_saveexec_b64 s[6:7], s[4:5]
	s_cbranch_execz .LBB30_1996
.LBB30_1995:
	v_bfe_u32 v0, v6, 8, 3
	v_ffbh_u32_e32 v5, v0
	v_min_u32_e32 v5, 32, v5
	v_lshrrev_b16_e32 v4, 3, v1
	v_subrev_u32_e32 v8, 28, v5
	v_and_b32_e32 v4, 15, v4
	v_lshlrev_b32_e32 v1, v8, v1
	v_sub_u32_e32 v5, 29, v5
	v_and_b32_e32 v1, 7, v1
	v_cmp_eq_u16_e32 vcc, 0, v4
	v_cndmask_b32_e32 v0, v0, v1, vcc
	v_cndmask_b32_e32 v1, v4, v5, vcc
	v_lshlrev_b32_e32 v4, 16, v6
	v_mov_b32_e32 v5, 0x3b800000
	v_lshlrev_b32_e32 v0, 20, v0
	v_and_b32_e32 v4, 0x80000000, v4
	v_lshl_add_u32 v1, v1, 23, v5
	v_or3_b32 v0, v4, v1, v0
.LBB30_1996:
	s_or_b64 exec, exec, s[6:7]
	v_lshrrev_b32_e32 v1, 8, v2
	s_movk_i32 s4, 0x7f
	v_cmp_gt_i16_sdwa s[6:7], v1, s4 src0_sel:BYTE_0 src1_sel:DWORD
	s_mov_b64 s[4:5], 0
                                        ; implicit-def: $sgpr10
	s_and_saveexec_b64 s[8:9], s[6:7]
	s_xor_b64 s[6:7], exec, s[8:9]
	s_cbranch_execnz .LBB30_4045
; %bb.1997:
	s_or_saveexec_b64 s[6:7], s[6:7]
	v_mov_b32_e32 v4, s10
	s_xor_b64 exec, exec, s[6:7]
	s_cbranch_execnz .LBB30_4048
.LBB30_1998:
	s_or_b64 exec, exec, s[6:7]
	s_and_saveexec_b64 s[6:7], s[4:5]
	s_cbranch_execz .LBB30_2000
.LBB30_1999:
	v_bfe_u32 v4, v2, 8, 3
	v_ffbh_u32_e32 v8, v4
	v_min_u32_e32 v8, 32, v8
	v_lshrrev_b16_e32 v5, 3, v1
	v_subrev_u32_e32 v9, 28, v8
	v_and_b32_e32 v5, 15, v5
	v_lshlrev_b32_e32 v1, v9, v1
	v_sub_u32_e32 v8, 29, v8
	v_and_b32_e32 v1, 7, v1
	v_cmp_eq_u16_e32 vcc, 0, v5
	v_cndmask_b32_e32 v1, v4, v1, vcc
	v_cndmask_b32_e32 v4, v5, v8, vcc
	v_lshlrev_b32_e32 v5, 16, v2
	v_mov_b32_e32 v8, 0x3b800000
	v_lshlrev_b32_e32 v1, 20, v1
	v_and_b32_e32 v5, 0x80000000, v5
	v_lshl_add_u32 v4, v4, 23, v8
	v_or3_b32 v4, v5, v4, v1
.LBB30_2000:
	s_or_b64 exec, exec, s[6:7]
	s_nop 0
	v_mfma_f32_16x16x4f32 a[0:3], v0, v4, a[0:3]
	s_movk_i32 s4, 0xff
	v_and_b32_sdwa v1, v6, s4 dst_sel:DWORD dst_unused:UNUSED_PAD src0_sel:WORD_1 src1_sel:DWORD
	s_movk_i32 s4, 0x7f
	v_cmp_lt_i16_e32 vcc, s4, v1
	s_mov_b64 s[4:5], 0
                                        ; implicit-def: $sgpr10
	s_and_saveexec_b64 s[6:7], vcc
	s_xor_b64 s[6:7], exec, s[6:7]
	s_cbranch_execnz .LBB30_4049
; %bb.2001:
	s_or_saveexec_b64 s[6:7], s[6:7]
	v_mov_b32_e32 v0, s10
	s_xor_b64 exec, exec, s[6:7]
	s_cbranch_execnz .LBB30_4052
.LBB30_2002:
	s_or_b64 exec, exec, s[6:7]
	s_and_saveexec_b64 s[6:7], s[4:5]
	s_cbranch_execz .LBB30_2004
.LBB30_2003:
	v_bfe_u32 v0, v6, 16, 3
	v_ffbh_u32_e32 v5, v0
	v_min_u32_e32 v5, 32, v5
	v_lshrrev_b32_e32 v1, 19, v6
	v_subrev_u32_e32 v8, 28, v5
	v_and_b32_e32 v1, 15, v1
	v_lshlrev_b32_sdwa v8, v8, v6 dst_sel:DWORD dst_unused:UNUSED_PAD src0_sel:DWORD src1_sel:WORD_1
	v_bfe_u32 v4, v6, 19, 4
	v_sub_u32_e32 v5, 29, v5
	v_and_b32_e32 v8, 7, v8
	v_cmp_eq_u16_e32 vcc, 0, v1
	v_cndmask_b32_e32 v0, v0, v8, vcc
	v_cndmask_b32_e32 v1, v4, v5, vcc
	v_lshlrev_b32_e32 v4, 8, v6
	v_mov_b32_e32 v5, 0x3b800000
	v_lshlrev_b32_e32 v0, 20, v0
	v_and_b32_e32 v4, 0x80000000, v4
	v_lshl_add_u32 v1, v1, 23, v5
	v_or3_b32 v0, v4, v1, v0
.LBB30_2004:
	s_or_b64 exec, exec, s[6:7]
	s_movk_i32 s4, 0xff
	v_and_b32_sdwa v1, v2, s4 dst_sel:DWORD dst_unused:UNUSED_PAD src0_sel:WORD_1 src1_sel:DWORD
	s_movk_i32 s4, 0x7f
	v_cmp_lt_i16_e32 vcc, s4, v1
	s_mov_b64 s[4:5], 0
                                        ; implicit-def: $sgpr10
	s_and_saveexec_b64 s[6:7], vcc
	s_xor_b64 s[6:7], exec, s[6:7]
	s_cbranch_execnz .LBB30_4053
; %bb.2005:
	s_or_saveexec_b64 s[6:7], s[6:7]
	v_mov_b32_e32 v4, s10
	s_xor_b64 exec, exec, s[6:7]
	s_cbranch_execnz .LBB30_4056
.LBB30_2006:
	s_or_b64 exec, exec, s[6:7]
	s_and_saveexec_b64 s[6:7], s[4:5]
	s_cbranch_execz .LBB30_2008
.LBB30_2007:
	v_bfe_u32 v1, v2, 16, 3
	v_ffbh_u32_e32 v8, v1
	v_min_u32_e32 v8, 32, v8
	v_lshrrev_b32_e32 v4, 19, v2
	v_subrev_u32_e32 v9, 28, v8
	v_and_b32_e32 v4, 15, v4
	v_lshlrev_b32_sdwa v9, v9, v2 dst_sel:DWORD dst_unused:UNUSED_PAD src0_sel:DWORD src1_sel:WORD_1
	v_bfe_u32 v5, v2, 19, 4
	v_sub_u32_e32 v8, 29, v8
	v_and_b32_e32 v9, 7, v9
	v_cmp_eq_u16_e32 vcc, 0, v4
	v_cndmask_b32_e32 v1, v1, v9, vcc
	v_cndmask_b32_e32 v4, v5, v8, vcc
	v_lshlrev_b32_e32 v5, 8, v2
	v_mov_b32_e32 v8, 0x3b800000
	v_lshlrev_b32_e32 v1, 20, v1
	v_and_b32_e32 v5, 0x80000000, v5
	v_lshl_add_u32 v4, v4, 23, v8
	v_or3_b32 v4, v5, v4, v1
.LBB30_2008:
	s_or_b64 exec, exec, s[6:7]
	s_nop 0
	v_mfma_f32_16x16x4f32 a[0:3], v0, v4, a[0:3]
	s_movk_i32 s4, 0x7f
	v_cmp_gt_i16_sdwa s[6:7], v6, s4 src0_sel:BYTE_3 src1_sel:DWORD
	s_mov_b64 s[4:5], 0
                                        ; implicit-def: $sgpr10
	s_and_saveexec_b64 s[8:9], s[6:7]
	s_xor_b64 s[6:7], exec, s[8:9]
	s_cbranch_execnz .LBB30_4057
; %bb.2009:
	s_or_saveexec_b64 s[6:7], s[6:7]
	v_mov_b32_e32 v0, s10
	s_xor_b64 exec, exec, s[6:7]
	s_cbranch_execnz .LBB30_4060
.LBB30_2010:
	s_or_b64 exec, exec, s[6:7]
	s_and_saveexec_b64 s[6:7], s[4:5]
	s_cbranch_execz .LBB30_2012
.LBB30_2011:
	v_bfe_u32 v0, v6, 24, 3
	v_ffbh_u32_e32 v8, v0
	v_min_u32_e32 v8, 32, v8
	v_lshrrev_b32_e32 v4, 27, v6
	v_subrev_u32_e32 v9, 28, v8
	v_and_b32_e32 v1, 0x80000000, v6
	v_and_b32_e32 v4, 15, v4
	v_bfe_u32 v5, v6, 27, 4
	v_lshlrev_b32_sdwa v6, v9, v6 dst_sel:DWORD dst_unused:UNUSED_PAD src0_sel:DWORD src1_sel:BYTE_3
	v_sub_u32_e32 v8, 29, v8
	v_and_b32_e32 v6, 7, v6
	v_cmp_eq_u16_e32 vcc, 0, v4
	v_cndmask_b32_e32 v0, v0, v6, vcc
	v_cndmask_b32_e32 v4, v5, v8, vcc
	v_mov_b32_e32 v5, 0x3b800000
	v_lshlrev_b32_e32 v0, 20, v0
	v_lshl_add_u32 v4, v4, 23, v5
	v_or3_b32 v0, v1, v4, v0
.LBB30_2012:
	s_or_b64 exec, exec, s[6:7]
	s_movk_i32 s4, 0x7f
	v_cmp_gt_i16_sdwa s[6:7], v2, s4 src0_sel:BYTE_3 src1_sel:DWORD
	s_mov_b64 s[4:5], 0
                                        ; implicit-def: $sgpr10
	s_and_saveexec_b64 s[8:9], s[6:7]
	s_xor_b64 s[6:7], exec, s[8:9]
	s_cbranch_execnz .LBB30_4061
; %bb.2013:
	s_or_saveexec_b64 s[6:7], s[6:7]
	v_mov_b32_e32 v1, s10
	s_xor_b64 exec, exec, s[6:7]
	s_cbranch_execnz .LBB30_4064
.LBB30_2014:
	s_or_b64 exec, exec, s[6:7]
	s_and_saveexec_b64 s[6:7], s[4:5]
	s_cbranch_execz .LBB30_2016
.LBB30_2015:
	v_bfe_u32 v1, v2, 24, 3
	v_ffbh_u32_e32 v8, v1
	v_min_u32_e32 v8, 32, v8
	v_lshrrev_b32_e32 v5, 27, v2
	v_subrev_u32_e32 v9, 28, v8
	v_and_b32_e32 v4, 0x80000000, v2
	v_and_b32_e32 v5, 15, v5
	v_bfe_u32 v6, v2, 27, 4
	v_lshlrev_b32_sdwa v2, v9, v2 dst_sel:DWORD dst_unused:UNUSED_PAD src0_sel:DWORD src1_sel:BYTE_3
	v_sub_u32_e32 v8, 29, v8
	v_and_b32_e32 v2, 7, v2
	v_cmp_eq_u16_e32 vcc, 0, v5
	v_cndmask_b32_e32 v1, v1, v2, vcc
	v_cndmask_b32_e32 v2, v6, v8, vcc
	v_mov_b32_e32 v5, 0x3b800000
	v_lshlrev_b32_e32 v1, 20, v1
	v_lshl_add_u32 v2, v2, 23, v5
	v_or3_b32 v1, v4, v2, v1
.LBB30_2016:
	s_or_b64 exec, exec, s[6:7]
	s_nop 0
	v_mfma_f32_16x16x4f32 a[0:3], v0, v1, a[0:3]
	s_movk_i32 s4, 0x7f
	v_cmp_gt_i16_sdwa s[6:7], v7, s4 src0_sel:BYTE_0 src1_sel:DWORD
	s_mov_b64 s[4:5], 0
                                        ; implicit-def: $sgpr10
	s_and_saveexec_b64 s[8:9], s[6:7]
	s_xor_b64 s[6:7], exec, s[8:9]
	s_cbranch_execnz .LBB30_4065
; %bb.2017:
	s_or_saveexec_b64 s[6:7], s[6:7]
	v_mov_b32_e32 v0, s10
	s_xor_b64 exec, exec, s[6:7]
	s_cbranch_execnz .LBB30_4068
.LBB30_2018:
	s_or_b64 exec, exec, s[6:7]
	s_and_saveexec_b64 s[6:7], s[4:5]
	s_cbranch_execz .LBB30_2020
.LBB30_2019:
	v_mov_b32_e32 v0, 8
	v_and_b32_e32 v1, 7, v7
	v_lshrrev_b32_sdwa v0, v0, v7 dst_sel:BYTE_1 dst_unused:UNUSED_PAD src0_sel:DWORD src1_sel:DWORD
	v_ffbh_u32_e32 v2, v1
	v_or_b32_sdwa v0, v7, v0 dst_sel:DWORD dst_unused:UNUSED_PAD src0_sel:BYTE_0 src1_sel:DWORD
	v_min_u32_e32 v2, 32, v2
	v_lshrrev_b16_e32 v0, 3, v0
	v_subrev_u32_e32 v4, 28, v2
	v_and_b32_e32 v0, 15, v0
	v_lshlrev_b32_e32 v4, v4, v7
	v_sub_u32_e32 v2, 29, v2
	v_and_b32_e32 v4, 7, v4
	v_cmp_eq_u16_e32 vcc, 0, v0
	v_cndmask_b32_e32 v1, v1, v4, vcc
	v_cndmask_b32_e32 v0, v0, v2, vcc
	v_lshlrev_b32_e32 v2, 24, v7
	v_mov_b32_e32 v4, 0x3b800000
	v_lshlrev_b32_e32 v1, 20, v1
	v_and_b32_e32 v2, 0x80000000, v2
	v_lshl_add_u32 v0, v0, 23, v4
	v_or3_b32 v0, v2, v0, v1
.LBB30_2020:
	s_or_b64 exec, exec, s[6:7]
	s_movk_i32 s4, 0x7f
	v_cmp_gt_i16_sdwa s[6:7], v3, s4 src0_sel:BYTE_0 src1_sel:DWORD
	s_mov_b64 s[4:5], 0
                                        ; implicit-def: $sgpr10
	s_and_saveexec_b64 s[8:9], s[6:7]
	s_xor_b64 s[6:7], exec, s[8:9]
	s_cbranch_execnz .LBB30_4069
; %bb.2021:
	s_or_saveexec_b64 s[6:7], s[6:7]
	v_mov_b32_e32 v1, s10
	s_xor_b64 exec, exec, s[6:7]
	s_cbranch_execnz .LBB30_4072
.LBB30_2022:
	s_or_b64 exec, exec, s[6:7]
	s_and_saveexec_b64 s[6:7], s[4:5]
	s_cbranch_execz .LBB30_2024
.LBB30_2023:
	v_mov_b32_e32 v1, 8
	v_and_b32_e32 v2, 7, v3
	v_lshrrev_b32_sdwa v1, v1, v3 dst_sel:BYTE_1 dst_unused:UNUSED_PAD src0_sel:DWORD src1_sel:DWORD
	v_ffbh_u32_e32 v4, v2
	v_or_b32_sdwa v1, v3, v1 dst_sel:DWORD dst_unused:UNUSED_PAD src0_sel:BYTE_0 src1_sel:DWORD
	v_min_u32_e32 v4, 32, v4
	v_lshrrev_b16_e32 v1, 3, v1
	v_subrev_u32_e32 v5, 28, v4
	v_and_b32_e32 v1, 15, v1
	v_lshlrev_b32_e32 v5, v5, v3
	v_sub_u32_e32 v4, 29, v4
	v_and_b32_e32 v5, 7, v5
	v_cmp_eq_u16_e32 vcc, 0, v1
	v_cndmask_b32_e32 v2, v2, v5, vcc
	v_cndmask_b32_e32 v1, v1, v4, vcc
	v_lshlrev_b32_e32 v4, 24, v3
	v_mov_b32_e32 v5, 0x3b800000
	v_lshlrev_b32_e32 v2, 20, v2
	v_and_b32_e32 v4, 0x80000000, v4
	v_lshl_add_u32 v1, v1, 23, v5
	v_or3_b32 v1, v4, v1, v2
.LBB30_2024:
	s_or_b64 exec, exec, s[6:7]
	s_nop 0
	v_mfma_f32_16x16x4f32 a[0:3], v0, v1, a[0:3]
	v_lshrrev_b32_e32 v1, 8, v7
	s_movk_i32 s4, 0x7f
	v_cmp_gt_i16_sdwa s[6:7], v1, s4 src0_sel:BYTE_0 src1_sel:DWORD
	s_mov_b64 s[4:5], 0
                                        ; implicit-def: $sgpr10
	s_and_saveexec_b64 s[8:9], s[6:7]
	s_xor_b64 s[6:7], exec, s[8:9]
	s_cbranch_execnz .LBB30_4073
; %bb.2025:
	s_or_saveexec_b64 s[6:7], s[6:7]
	v_mov_b32_e32 v0, s10
	s_xor_b64 exec, exec, s[6:7]
	s_cbranch_execnz .LBB30_4076
.LBB30_2026:
	s_or_b64 exec, exec, s[6:7]
	s_and_saveexec_b64 s[6:7], s[4:5]
	s_cbranch_execz .LBB30_2028
.LBB30_2027:
	v_bfe_u32 v0, v7, 8, 3
	v_ffbh_u32_e32 v4, v0
	v_min_u32_e32 v4, 32, v4
	v_lshrrev_b16_e32 v2, 3, v1
	v_subrev_u32_e32 v5, 28, v4
	v_and_b32_e32 v2, 15, v2
	v_lshlrev_b32_e32 v1, v5, v1
	v_sub_u32_e32 v4, 29, v4
	v_and_b32_e32 v1, 7, v1
	v_cmp_eq_u16_e32 vcc, 0, v2
	v_cndmask_b32_e32 v0, v0, v1, vcc
	v_cndmask_b32_e32 v1, v2, v4, vcc
	v_lshlrev_b32_e32 v2, 16, v7
	v_mov_b32_e32 v4, 0x3b800000
	v_lshlrev_b32_e32 v0, 20, v0
	v_and_b32_e32 v2, 0x80000000, v2
	v_lshl_add_u32 v1, v1, 23, v4
	v_or3_b32 v0, v2, v1, v0
.LBB30_2028:
	s_or_b64 exec, exec, s[6:7]
	v_lshrrev_b32_e32 v1, 8, v3
	s_movk_i32 s4, 0x7f
	v_cmp_gt_i16_sdwa s[6:7], v1, s4 src0_sel:BYTE_0 src1_sel:DWORD
	s_mov_b64 s[4:5], 0
                                        ; implicit-def: $sgpr10
	s_and_saveexec_b64 s[8:9], s[6:7]
	s_xor_b64 s[6:7], exec, s[8:9]
	s_cbranch_execnz .LBB30_4077
; %bb.2029:
	s_or_saveexec_b64 s[6:7], s[6:7]
	v_mov_b32_e32 v2, s10
	s_xor_b64 exec, exec, s[6:7]
	s_cbranch_execnz .LBB30_4080
.LBB30_2030:
	s_or_b64 exec, exec, s[6:7]
	s_and_saveexec_b64 s[6:7], s[4:5]
	s_cbranch_execz .LBB30_2032
.LBB30_2031:
	v_bfe_u32 v2, v3, 8, 3
	v_ffbh_u32_e32 v5, v2
	v_min_u32_e32 v5, 32, v5
	v_lshrrev_b16_e32 v4, 3, v1
	v_subrev_u32_e32 v6, 28, v5
	v_and_b32_e32 v4, 15, v4
	v_lshlrev_b32_e32 v1, v6, v1
	v_sub_u32_e32 v5, 29, v5
	v_and_b32_e32 v1, 7, v1
	v_cmp_eq_u16_e32 vcc, 0, v4
	v_cndmask_b32_e32 v1, v2, v1, vcc
	v_cndmask_b32_e32 v2, v4, v5, vcc
	v_lshlrev_b32_e32 v4, 16, v3
	v_mov_b32_e32 v5, 0x3b800000
	v_lshlrev_b32_e32 v1, 20, v1
	v_and_b32_e32 v4, 0x80000000, v4
	v_lshl_add_u32 v2, v2, 23, v5
	v_or3_b32 v2, v4, v2, v1
.LBB30_2032:
	s_or_b64 exec, exec, s[6:7]
	s_nop 0
	v_mfma_f32_16x16x4f32 a[0:3], v0, v2, a[0:3]
	s_movk_i32 s4, 0xff
	v_and_b32_sdwa v1, v7, s4 dst_sel:DWORD dst_unused:UNUSED_PAD src0_sel:WORD_1 src1_sel:DWORD
	s_movk_i32 s4, 0x7f
	v_cmp_lt_i16_e32 vcc, s4, v1
	s_mov_b64 s[4:5], 0
                                        ; implicit-def: $sgpr10
	s_and_saveexec_b64 s[6:7], vcc
	s_xor_b64 s[6:7], exec, s[6:7]
	s_cbranch_execnz .LBB30_4081
; %bb.2033:
	s_or_saveexec_b64 s[6:7], s[6:7]
	v_mov_b32_e32 v0, s10
	s_xor_b64 exec, exec, s[6:7]
	s_cbranch_execnz .LBB30_4084
.LBB30_2034:
	s_or_b64 exec, exec, s[6:7]
	s_and_saveexec_b64 s[6:7], s[4:5]
	s_cbranch_execz .LBB30_2036
.LBB30_2035:
	v_bfe_u32 v0, v7, 16, 3
	v_ffbh_u32_e32 v4, v0
	v_min_u32_e32 v4, 32, v4
	v_lshrrev_b32_e32 v1, 19, v7
	v_subrev_u32_e32 v5, 28, v4
	v_and_b32_e32 v1, 15, v1
	v_lshlrev_b32_sdwa v5, v5, v7 dst_sel:DWORD dst_unused:UNUSED_PAD src0_sel:DWORD src1_sel:WORD_1
	v_bfe_u32 v2, v7, 19, 4
	v_sub_u32_e32 v4, 29, v4
	v_and_b32_e32 v5, 7, v5
	v_cmp_eq_u16_e32 vcc, 0, v1
	v_cndmask_b32_e32 v0, v0, v5, vcc
	v_cndmask_b32_e32 v1, v2, v4, vcc
	v_lshlrev_b32_e32 v2, 8, v7
	v_mov_b32_e32 v4, 0x3b800000
	v_lshlrev_b32_e32 v0, 20, v0
	v_and_b32_e32 v2, 0x80000000, v2
	v_lshl_add_u32 v1, v1, 23, v4
	v_or3_b32 v0, v2, v1, v0
.LBB30_2036:
	s_or_b64 exec, exec, s[6:7]
	s_movk_i32 s4, 0xff
	v_and_b32_sdwa v1, v3, s4 dst_sel:DWORD dst_unused:UNUSED_PAD src0_sel:WORD_1 src1_sel:DWORD
	s_movk_i32 s4, 0x7f
	v_cmp_lt_i16_e32 vcc, s4, v1
	s_mov_b64 s[4:5], 0
                                        ; implicit-def: $sgpr10
	s_and_saveexec_b64 s[6:7], vcc
	s_xor_b64 s[6:7], exec, s[6:7]
	s_cbranch_execnz .LBB30_4085
; %bb.2037:
	s_or_saveexec_b64 s[6:7], s[6:7]
	v_mov_b32_e32 v2, s10
	s_xor_b64 exec, exec, s[6:7]
	s_cbranch_execnz .LBB30_4088
.LBB30_2038:
	s_or_b64 exec, exec, s[6:7]
	s_and_saveexec_b64 s[6:7], s[4:5]
	s_cbranch_execz .LBB30_2040
.LBB30_2039:
	v_bfe_u32 v1, v3, 16, 3
	v_ffbh_u32_e32 v5, v1
	v_min_u32_e32 v5, 32, v5
	v_lshrrev_b32_e32 v2, 19, v3
	v_subrev_u32_e32 v6, 28, v5
	v_and_b32_e32 v2, 15, v2
	v_lshlrev_b32_sdwa v6, v6, v3 dst_sel:DWORD dst_unused:UNUSED_PAD src0_sel:DWORD src1_sel:WORD_1
	v_bfe_u32 v4, v3, 19, 4
	v_sub_u32_e32 v5, 29, v5
	v_and_b32_e32 v6, 7, v6
	v_cmp_eq_u16_e32 vcc, 0, v2
	v_cndmask_b32_e32 v1, v1, v6, vcc
	v_cndmask_b32_e32 v2, v4, v5, vcc
	v_lshlrev_b32_e32 v4, 8, v3
	v_mov_b32_e32 v5, 0x3b800000
	v_lshlrev_b32_e32 v1, 20, v1
	v_and_b32_e32 v4, 0x80000000, v4
	v_lshl_add_u32 v2, v2, 23, v5
	v_or3_b32 v2, v4, v2, v1
.LBB30_2040:
	s_or_b64 exec, exec, s[6:7]
	s_nop 0
	v_mfma_f32_16x16x4f32 a[0:3], v0, v2, a[0:3]
	s_movk_i32 s4, 0x7f
	v_cmp_gt_i16_sdwa s[6:7], v7, s4 src0_sel:BYTE_3 src1_sel:DWORD
	s_mov_b64 s[4:5], 0
                                        ; implicit-def: $sgpr10
	s_and_saveexec_b64 s[8:9], s[6:7]
	s_xor_b64 s[6:7], exec, s[8:9]
	s_cbranch_execnz .LBB30_4089
; %bb.2041:
	s_or_saveexec_b64 s[6:7], s[6:7]
	v_mov_b32_e32 v0, s10
	s_xor_b64 exec, exec, s[6:7]
	s_cbranch_execnz .LBB30_4092
.LBB30_2042:
	s_or_b64 exec, exec, s[6:7]
	s_and_saveexec_b64 s[6:7], s[4:5]
	s_cbranch_execz .LBB30_2044
.LBB30_2043:
	v_bfe_u32 v0, v7, 24, 3
	v_ffbh_u32_e32 v5, v0
	v_min_u32_e32 v5, 32, v5
	v_lshrrev_b32_e32 v2, 27, v7
	v_subrev_u32_e32 v6, 28, v5
	v_and_b32_e32 v2, 15, v2
	v_lshlrev_b32_sdwa v6, v6, v7 dst_sel:DWORD dst_unused:UNUSED_PAD src0_sel:DWORD src1_sel:BYTE_3
	v_bfe_u32 v4, v7, 27, 4
	v_sub_u32_e32 v5, 29, v5
	v_and_b32_e32 v6, 7, v6
	v_cmp_eq_u16_e32 vcc, 0, v2
	v_cndmask_b32_e32 v0, v0, v6, vcc
	v_cndmask_b32_e32 v2, v4, v5, vcc
	v_mov_b32_e32 v4, 0x3b800000
	v_and_b32_e32 v1, 0x80000000, v7
	v_lshlrev_b32_e32 v0, 20, v0
	v_lshl_add_u32 v2, v2, 23, v4
	v_or3_b32 v0, v1, v2, v0
.LBB30_2044:
	s_or_b64 exec, exec, s[6:7]
	s_movk_i32 s4, 0x7f
	v_cmp_gt_i16_sdwa s[6:7], v3, s4 src0_sel:BYTE_3 src1_sel:DWORD
	s_mov_b64 s[4:5], 0
                                        ; implicit-def: $sgpr10
	s_and_saveexec_b64 s[8:9], s[6:7]
	s_xor_b64 s[6:7], exec, s[8:9]
	s_cbranch_execnz .LBB30_4093
; %bb.2045:
	s_or_saveexec_b64 s[6:7], s[6:7]
	v_mov_b32_e32 v1, s10
	s_xor_b64 exec, exec, s[6:7]
	s_cbranch_execnz .LBB30_4096
.LBB30_2046:
	s_or_b64 exec, exec, s[6:7]
	s_and_saveexec_b64 s[6:7], s[4:5]
	s_cbranch_execz .LBB30_2048
.LBB30_2047:
	v_bfe_u32 v1, v3, 24, 3
	v_ffbh_u32_e32 v6, v1
	v_min_u32_e32 v6, 32, v6
	v_lshrrev_b32_e32 v4, 27, v3
	v_subrev_u32_e32 v7, 28, v6
	v_and_b32_e32 v2, 0x80000000, v3
	v_and_b32_e32 v4, 15, v4
	v_bfe_u32 v5, v3, 27, 4
	v_lshlrev_b32_sdwa v3, v7, v3 dst_sel:DWORD dst_unused:UNUSED_PAD src0_sel:DWORD src1_sel:BYTE_3
	v_sub_u32_e32 v6, 29, v6
	v_and_b32_e32 v3, 7, v3
	v_cmp_eq_u16_e32 vcc, 0, v4
	v_cndmask_b32_e32 v1, v1, v3, vcc
	v_cndmask_b32_e32 v3, v5, v6, vcc
	v_mov_b32_e32 v4, 0x3b800000
	v_lshlrev_b32_e32 v1, 20, v1
	v_lshl_add_u32 v3, v3, 23, v4
	v_or3_b32 v1, v2, v3, v1
.LBB30_2048:
	s_or_b64 exec, exec, s[6:7]
	s_nop 0
	v_mfma_f32_16x16x4f32 a[0:3], v0, v1, a[0:3]
	s_nop 7
	s_nop 2
	flat_store_dwordx4 v[16:17], a[0:3] offset:368
	s_waitcnt vmcnt(0) lgkmcnt(0)
	s_setpc_b64 s[30:31]
.LBB30_2049:
	s_movk_i32 s4, 0x80
	v_cmp_eq_u16_sdwa s[12:13], v14, s4 src0_sel:BYTE_0 src1_sel:DWORD
	s_mov_b64 s[4:5], -1
                                        ; implicit-def: $sgpr10
	s_and_saveexec_b64 s[8:9], s[12:13]
; %bb.2050:
	s_mov_b32 s10, 0x7f800001
	s_xor_b64 s[4:5], exec, -1
; %bb.2051:
	s_or_b64 exec, exec, s[8:9]
	s_and_b64 s[4:5], s[4:5], exec
	s_or_saveexec_b64 s[6:7], s[6:7]
	v_mov_b32_e32 v20, s10
	s_xor_b64 exec, exec, s[6:7]
	s_cbranch_execz .LBB30_2
.LBB30_2052:
	v_mov_b32_e32 v20, 0
	v_cmp_ne_u16_sdwa s[8:9], v14, v20 src0_sel:BYTE_0 src1_sel:DWORD
	s_andn2_b64 s[4:5], s[4:5], exec
	s_and_b64 s[8:9], s[8:9], exec
	s_or_b64 s[4:5], s[4:5], s[8:9]
	s_or_b64 exec, exec, s[6:7]
	s_and_saveexec_b64 s[6:7], s[4:5]
	s_cbranch_execnz .LBB30_3
	s_branch .LBB30_4
.LBB30_2053:
	s_movk_i32 s4, 0x80
	v_cmp_eq_u16_sdwa s[12:13], v10, s4 src0_sel:BYTE_0 src1_sel:DWORD
	s_mov_b64 s[4:5], -1
                                        ; implicit-def: $sgpr10
	s_and_saveexec_b64 s[8:9], s[12:13]
; %bb.2054:
	s_mov_b32 s10, 0x7f800001
	s_xor_b64 s[4:5], exec, -1
; %bb.2055:
	s_or_b64 exec, exec, s[8:9]
	s_and_b64 s[4:5], s[4:5], exec
	s_or_saveexec_b64 s[6:7], s[6:7]
	v_mov_b32_e32 v21, s10
	s_xor_b64 exec, exec, s[6:7]
	s_cbranch_execz .LBB30_6
.LBB30_2056:
	v_mov_b32_e32 v21, 0
	v_cmp_ne_u16_sdwa s[8:9], v10, v21 src0_sel:BYTE_0 src1_sel:DWORD
	s_andn2_b64 s[4:5], s[4:5], exec
	s_and_b64 s[8:9], s[8:9], exec
	s_or_b64 s[4:5], s[4:5], s[8:9]
	s_or_b64 exec, exec, s[6:7]
	s_and_saveexec_b64 s[6:7], s[4:5]
	s_cbranch_execnz .LBB30_7
	s_branch .LBB30_8
.LBB30_2057:
	s_movk_i32 s4, 0x80
	v_cmp_eq_u16_sdwa s[12:13], v21, s4 src0_sel:BYTE_0 src1_sel:DWORD
	s_mov_b64 s[4:5], -1
                                        ; implicit-def: $sgpr10
	s_and_saveexec_b64 s[8:9], s[12:13]
; %bb.2058:
	s_mov_b32 s10, 0x7f800001
	s_xor_b64 s[4:5], exec, -1
; %bb.2059:
	s_or_b64 exec, exec, s[8:9]
	s_and_b64 s[4:5], s[4:5], exec
	s_or_saveexec_b64 s[6:7], s[6:7]
	v_mov_b32_e32 v20, s10
	s_xor_b64 exec, exec, s[6:7]
	s_cbranch_execz .LBB30_10
.LBB30_2060:
	v_mov_b32_e32 v20, 0
	v_cmp_ne_u16_sdwa s[8:9], v21, v20 src0_sel:BYTE_0 src1_sel:DWORD
	s_andn2_b64 s[4:5], s[4:5], exec
	s_and_b64 s[8:9], s[8:9], exec
	s_or_b64 s[4:5], s[4:5], s[8:9]
	s_or_b64 exec, exec, s[6:7]
	s_and_saveexec_b64 s[6:7], s[4:5]
	s_cbranch_execnz .LBB30_11
	s_branch .LBB30_12
.LBB30_2061:
	s_movk_i32 s4, 0x80
	v_cmp_eq_u16_sdwa s[12:13], v21, s4 src0_sel:BYTE_0 src1_sel:DWORD
	s_mov_b64 s[4:5], -1
                                        ; implicit-def: $sgpr10
	s_and_saveexec_b64 s[8:9], s[12:13]
; %bb.2062:
	s_mov_b32 s10, 0x7f800001
	s_xor_b64 s[4:5], exec, -1
; %bb.2063:
	s_or_b64 exec, exec, s[8:9]
	s_and_b64 s[4:5], s[4:5], exec
	s_or_saveexec_b64 s[6:7], s[6:7]
	v_mov_b32_e32 v22, s10
	s_xor_b64 exec, exec, s[6:7]
	s_cbranch_execz .LBB30_14
.LBB30_2064:
	v_mov_b32_e32 v22, 0
	v_cmp_ne_u16_sdwa s[8:9], v21, v22 src0_sel:BYTE_0 src1_sel:DWORD
	s_andn2_b64 s[4:5], s[4:5], exec
	s_and_b64 s[8:9], s[8:9], exec
	s_or_b64 s[4:5], s[4:5], s[8:9]
	s_or_b64 exec, exec, s[6:7]
	s_and_saveexec_b64 s[6:7], s[4:5]
	s_cbranch_execnz .LBB30_15
	s_branch .LBB30_16
.LBB30_2065:
	s_movk_i32 s4, 0x80
	v_cmp_eq_u16_e32 vcc, s4, v21
	s_mov_b64 s[4:5], -1
                                        ; implicit-def: $sgpr10
	s_and_saveexec_b64 s[8:9], vcc
; %bb.2066:
	s_mov_b32 s10, 0x7f800001
	s_xor_b64 s[4:5], exec, -1
; %bb.2067:
	s_or_b64 exec, exec, s[8:9]
	s_and_b64 s[4:5], s[4:5], exec
                                        ; implicit-def: $vgpr21
	s_or_saveexec_b64 s[6:7], s[6:7]
	v_mov_b32_e32 v20, s10
	s_xor_b64 exec, exec, s[6:7]
	s_cbranch_execz .LBB30_18
.LBB30_2068:
	v_cmp_ne_u16_e32 vcc, 0, v21
	s_andn2_b64 s[4:5], s[4:5], exec
	s_and_b64 s[8:9], vcc, exec
	v_mov_b32_e32 v20, 0
	s_or_b64 s[4:5], s[4:5], s[8:9]
	s_or_b64 exec, exec, s[6:7]
	s_and_saveexec_b64 s[6:7], s[4:5]
	s_cbranch_execnz .LBB30_19
	s_branch .LBB30_20
.LBB30_2069:
	s_movk_i32 s4, 0x80
	v_cmp_eq_u16_e32 vcc, s4, v21
	s_mov_b64 s[4:5], -1
                                        ; implicit-def: $sgpr10
	s_and_saveexec_b64 s[8:9], vcc
; %bb.2070:
	s_mov_b32 s10, 0x7f800001
	s_xor_b64 s[4:5], exec, -1
; %bb.2071:
	s_or_b64 exec, exec, s[8:9]
	s_and_b64 s[4:5], s[4:5], exec
                                        ; implicit-def: $vgpr21
	s_or_saveexec_b64 s[6:7], s[6:7]
	v_mov_b32_e32 v22, s10
	s_xor_b64 exec, exec, s[6:7]
	s_cbranch_execz .LBB30_22
.LBB30_2072:
	v_cmp_ne_u16_e32 vcc, 0, v21
	s_andn2_b64 s[4:5], s[4:5], exec
	s_and_b64 s[8:9], vcc, exec
	v_mov_b32_e32 v22, 0
	s_or_b64 s[4:5], s[4:5], s[8:9]
	s_or_b64 exec, exec, s[6:7]
	s_and_saveexec_b64 s[6:7], s[4:5]
	s_cbranch_execnz .LBB30_23
	s_branch .LBB30_24
.LBB30_2073:
	s_movk_i32 s4, 0x80
	v_cmp_eq_u16_sdwa s[12:13], v14, s4 src0_sel:BYTE_3 src1_sel:DWORD
	s_mov_b64 s[4:5], -1
                                        ; implicit-def: $sgpr10
	s_and_saveexec_b64 s[8:9], s[12:13]
; %bb.2074:
	s_mov_b32 s10, 0x7f800001
	s_xor_b64 s[4:5], exec, -1
; %bb.2075:
	s_or_b64 exec, exec, s[8:9]
	s_and_b64 s[4:5], s[4:5], exec
	s_or_saveexec_b64 s[6:7], s[6:7]
	v_mov_b32_e32 v20, s10
	s_xor_b64 exec, exec, s[6:7]
	s_cbranch_execz .LBB30_26
.LBB30_2076:
	v_mov_b32_e32 v20, 0
	v_cmp_ne_u16_sdwa s[8:9], v14, v20 src0_sel:BYTE_3 src1_sel:DWORD
	s_andn2_b64 s[4:5], s[4:5], exec
	s_and_b64 s[8:9], s[8:9], exec
	s_or_b64 s[4:5], s[4:5], s[8:9]
	s_or_b64 exec, exec, s[6:7]
	s_and_saveexec_b64 s[6:7], s[4:5]
	s_cbranch_execnz .LBB30_27
	s_branch .LBB30_28
.LBB30_2077:
	s_movk_i32 s4, 0x80
	v_cmp_eq_u16_sdwa s[12:13], v10, s4 src0_sel:BYTE_3 src1_sel:DWORD
	s_mov_b64 s[4:5], -1
                                        ; implicit-def: $sgpr10
	s_and_saveexec_b64 s[8:9], s[12:13]
; %bb.2078:
	s_mov_b32 s10, 0x7f800001
	s_xor_b64 s[4:5], exec, -1
; %bb.2079:
	s_or_b64 exec, exec, s[8:9]
	s_and_b64 s[4:5], s[4:5], exec
	s_or_saveexec_b64 s[6:7], s[6:7]
	v_mov_b32_e32 v14, s10
	s_xor_b64 exec, exec, s[6:7]
	s_cbranch_execz .LBB30_30
.LBB30_2080:
	v_mov_b32_e32 v14, 0
	v_cmp_ne_u16_sdwa s[8:9], v10, v14 src0_sel:BYTE_3 src1_sel:DWORD
	s_andn2_b64 s[4:5], s[4:5], exec
	s_and_b64 s[8:9], s[8:9], exec
	s_or_b64 s[4:5], s[4:5], s[8:9]
	s_or_b64 exec, exec, s[6:7]
	s_and_saveexec_b64 s[6:7], s[4:5]
	s_cbranch_execnz .LBB30_31
	s_branch .LBB30_32
.LBB30_2081:
	s_movk_i32 s4, 0x80
	v_cmp_eq_u16_sdwa s[12:13], v15, s4 src0_sel:BYTE_0 src1_sel:DWORD
	s_mov_b64 s[4:5], -1
                                        ; implicit-def: $sgpr10
	s_and_saveexec_b64 s[8:9], s[12:13]
; %bb.2082:
	s_mov_b32 s10, 0x7f800001
	s_xor_b64 s[4:5], exec, -1
; %bb.2083:
	s_or_b64 exec, exec, s[8:9]
	s_and_b64 s[4:5], s[4:5], exec
	s_or_saveexec_b64 s[6:7], s[6:7]
	v_mov_b32_e32 v10, s10
	s_xor_b64 exec, exec, s[6:7]
	s_cbranch_execz .LBB30_34
.LBB30_2084:
	v_mov_b32_e32 v10, 0
	v_cmp_ne_u16_sdwa s[8:9], v15, v10 src0_sel:BYTE_0 src1_sel:DWORD
	s_andn2_b64 s[4:5], s[4:5], exec
	s_and_b64 s[8:9], s[8:9], exec
	s_or_b64 s[4:5], s[4:5], s[8:9]
	s_or_b64 exec, exec, s[6:7]
	s_and_saveexec_b64 s[6:7], s[4:5]
	s_cbranch_execnz .LBB30_35
	s_branch .LBB30_36
.LBB30_2085:
	s_movk_i32 s4, 0x80
	v_cmp_eq_u16_sdwa s[12:13], v11, s4 src0_sel:BYTE_0 src1_sel:DWORD
	s_mov_b64 s[4:5], -1
                                        ; implicit-def: $sgpr10
	s_and_saveexec_b64 s[8:9], s[12:13]
; %bb.2086:
	s_mov_b32 s10, 0x7f800001
	s_xor_b64 s[4:5], exec, -1
; %bb.2087:
	s_or_b64 exec, exec, s[8:9]
	s_and_b64 s[4:5], s[4:5], exec
	s_or_saveexec_b64 s[6:7], s[6:7]
	v_mov_b32_e32 v14, s10
	s_xor_b64 exec, exec, s[6:7]
	s_cbranch_execz .LBB30_38
.LBB30_2088:
	v_mov_b32_e32 v14, 0
	v_cmp_ne_u16_sdwa s[8:9], v11, v14 src0_sel:BYTE_0 src1_sel:DWORD
	s_andn2_b64 s[4:5], s[4:5], exec
	s_and_b64 s[8:9], s[8:9], exec
	s_or_b64 s[4:5], s[4:5], s[8:9]
	s_or_b64 exec, exec, s[6:7]
	s_and_saveexec_b64 s[6:7], s[4:5]
	s_cbranch_execnz .LBB30_39
	s_branch .LBB30_40
.LBB30_2089:
	s_movk_i32 s4, 0x80
	v_cmp_eq_u16_sdwa s[12:13], v14, s4 src0_sel:BYTE_0 src1_sel:DWORD
	s_mov_b64 s[4:5], -1
                                        ; implicit-def: $sgpr10
	s_and_saveexec_b64 s[8:9], s[12:13]
; %bb.2090:
	s_mov_b32 s10, 0x7f800001
	s_xor_b64 s[4:5], exec, -1
; %bb.2091:
	s_or_b64 exec, exec, s[8:9]
	s_and_b64 s[4:5], s[4:5], exec
	s_or_saveexec_b64 s[6:7], s[6:7]
	v_mov_b32_e32 v10, s10
	s_xor_b64 exec, exec, s[6:7]
	s_cbranch_execz .LBB30_42
.LBB30_2092:
	v_mov_b32_e32 v10, 0
	v_cmp_ne_u16_sdwa s[8:9], v14, v10 src0_sel:BYTE_0 src1_sel:DWORD
	s_andn2_b64 s[4:5], s[4:5], exec
	s_and_b64 s[8:9], s[8:9], exec
	s_or_b64 s[4:5], s[4:5], s[8:9]
	s_or_b64 exec, exec, s[6:7]
	s_and_saveexec_b64 s[6:7], s[4:5]
	s_cbranch_execnz .LBB30_43
	s_branch .LBB30_44
.LBB30_2093:
	s_movk_i32 s4, 0x80
	v_cmp_eq_u16_sdwa s[12:13], v14, s4 src0_sel:BYTE_0 src1_sel:DWORD
	s_mov_b64 s[4:5], -1
                                        ; implicit-def: $sgpr10
	s_and_saveexec_b64 s[8:9], s[12:13]
; %bb.2094:
	s_mov_b32 s10, 0x7f800001
	s_xor_b64 s[4:5], exec, -1
; %bb.2095:
	s_or_b64 exec, exec, s[8:9]
	s_and_b64 s[4:5], s[4:5], exec
	s_or_saveexec_b64 s[6:7], s[6:7]
	v_mov_b32_e32 v20, s10
	s_xor_b64 exec, exec, s[6:7]
	s_cbranch_execz .LBB30_46
.LBB30_2096:
	v_mov_b32_e32 v20, 0
	v_cmp_ne_u16_sdwa s[8:9], v14, v20 src0_sel:BYTE_0 src1_sel:DWORD
	s_andn2_b64 s[4:5], s[4:5], exec
	s_and_b64 s[8:9], s[8:9], exec
	s_or_b64 s[4:5], s[4:5], s[8:9]
	s_or_b64 exec, exec, s[6:7]
	s_and_saveexec_b64 s[6:7], s[4:5]
	s_cbranch_execnz .LBB30_47
	s_branch .LBB30_48
.LBB30_2097:
	s_movk_i32 s4, 0x80
	v_cmp_eq_u16_e32 vcc, s4, v14
	s_mov_b64 s[4:5], -1
                                        ; implicit-def: $sgpr10
	s_and_saveexec_b64 s[8:9], vcc
; %bb.2098:
	s_mov_b32 s10, 0x7f800001
	s_xor_b64 s[4:5], exec, -1
; %bb.2099:
	s_or_b64 exec, exec, s[8:9]
	s_and_b64 s[4:5], s[4:5], exec
                                        ; implicit-def: $vgpr14
	s_or_saveexec_b64 s[6:7], s[6:7]
	v_mov_b32_e32 v10, s10
	s_xor_b64 exec, exec, s[6:7]
	s_cbranch_execz .LBB30_50
.LBB30_2100:
	v_cmp_ne_u16_e32 vcc, 0, v14
	s_andn2_b64 s[4:5], s[4:5], exec
	s_and_b64 s[8:9], vcc, exec
	v_mov_b32_e32 v10, 0
	s_or_b64 s[4:5], s[4:5], s[8:9]
	s_or_b64 exec, exec, s[6:7]
	s_and_saveexec_b64 s[6:7], s[4:5]
	s_cbranch_execnz .LBB30_51
	s_branch .LBB30_52
.LBB30_2101:
	s_movk_i32 s4, 0x80
	v_cmp_eq_u16_e32 vcc, s4, v14
	s_mov_b64 s[4:5], -1
                                        ; implicit-def: $sgpr10
	s_and_saveexec_b64 s[8:9], vcc
; %bb.2102:
	s_mov_b32 s10, 0x7f800001
	s_xor_b64 s[4:5], exec, -1
; %bb.2103:
	s_or_b64 exec, exec, s[8:9]
	s_and_b64 s[4:5], s[4:5], exec
                                        ; implicit-def: $vgpr14
	s_or_saveexec_b64 s[6:7], s[6:7]
	v_mov_b32_e32 v20, s10
	s_xor_b64 exec, exec, s[6:7]
	s_cbranch_execz .LBB30_54
.LBB30_2104:
	v_cmp_ne_u16_e32 vcc, 0, v14
	s_andn2_b64 s[4:5], s[4:5], exec
	s_and_b64 s[8:9], vcc, exec
	v_mov_b32_e32 v20, 0
	s_or_b64 s[4:5], s[4:5], s[8:9]
	s_or_b64 exec, exec, s[6:7]
	s_and_saveexec_b64 s[6:7], s[4:5]
	s_cbranch_execnz .LBB30_55
	s_branch .LBB30_56
.LBB30_2105:
	s_movk_i32 s4, 0x80
	v_cmp_eq_u16_sdwa s[12:13], v15, s4 src0_sel:BYTE_3 src1_sel:DWORD
	s_mov_b64 s[4:5], -1
                                        ; implicit-def: $sgpr10
	s_and_saveexec_b64 s[8:9], s[12:13]
; %bb.2106:
	s_mov_b32 s10, 0x7f800001
	s_xor_b64 s[4:5], exec, -1
; %bb.2107:
	s_or_b64 exec, exec, s[8:9]
	s_and_b64 s[4:5], s[4:5], exec
	s_or_saveexec_b64 s[6:7], s[6:7]
	v_mov_b32_e32 v10, s10
	s_xor_b64 exec, exec, s[6:7]
	s_cbranch_execz .LBB30_58
.LBB30_2108:
	v_mov_b32_e32 v10, 0
	v_cmp_ne_u16_sdwa s[8:9], v15, v10 src0_sel:BYTE_3 src1_sel:DWORD
	s_andn2_b64 s[4:5], s[4:5], exec
	s_and_b64 s[8:9], s[8:9], exec
	s_or_b64 s[4:5], s[4:5], s[8:9]
	s_or_b64 exec, exec, s[6:7]
	s_and_saveexec_b64 s[6:7], s[4:5]
	s_cbranch_execnz .LBB30_59
	s_branch .LBB30_60
.LBB30_2109:
	s_movk_i32 s4, 0x80
	v_cmp_eq_u16_sdwa s[12:13], v11, s4 src0_sel:BYTE_3 src1_sel:DWORD
	s_mov_b64 s[4:5], -1
                                        ; implicit-def: $sgpr10
	s_and_saveexec_b64 s[8:9], s[12:13]
; %bb.2110:
	s_mov_b32 s10, 0x7f800001
	s_xor_b64 s[4:5], exec, -1
; %bb.2111:
	s_or_b64 exec, exec, s[8:9]
	s_and_b64 s[4:5], s[4:5], exec
	s_or_saveexec_b64 s[6:7], s[6:7]
	v_mov_b32_e32 v14, s10
	s_xor_b64 exec, exec, s[6:7]
	s_cbranch_execz .LBB30_62
.LBB30_2112:
	v_mov_b32_e32 v14, 0
	v_cmp_ne_u16_sdwa s[8:9], v11, v14 src0_sel:BYTE_3 src1_sel:DWORD
	s_andn2_b64 s[4:5], s[4:5], exec
	s_and_b64 s[8:9], s[8:9], exec
	s_or_b64 s[4:5], s[4:5], s[8:9]
	s_or_b64 exec, exec, s[6:7]
	s_and_saveexec_b64 s[6:7], s[4:5]
	s_cbranch_execnz .LBB30_63
	s_branch .LBB30_64
.LBB30_2113:
	s_movk_i32 s4, 0x80
	v_cmp_eq_u16_sdwa s[12:13], v16, s4 src0_sel:BYTE_0 src1_sel:DWORD
	s_mov_b64 s[4:5], -1
                                        ; implicit-def: $sgpr10
	s_and_saveexec_b64 s[8:9], s[12:13]
; %bb.2114:
	s_mov_b32 s10, 0x7f800001
	s_xor_b64 s[4:5], exec, -1
; %bb.2115:
	s_or_b64 exec, exec, s[8:9]
	s_and_b64 s[4:5], s[4:5], exec
	s_or_saveexec_b64 s[6:7], s[6:7]
	v_mov_b32_e32 v10, s10
	s_xor_b64 exec, exec, s[6:7]
	s_cbranch_execz .LBB30_66
.LBB30_2116:
	v_mov_b32_e32 v10, 0
	v_cmp_ne_u16_sdwa s[8:9], v16, v10 src0_sel:BYTE_0 src1_sel:DWORD
	s_andn2_b64 s[4:5], s[4:5], exec
	s_and_b64 s[8:9], s[8:9], exec
	s_or_b64 s[4:5], s[4:5], s[8:9]
	s_or_b64 exec, exec, s[6:7]
	s_and_saveexec_b64 s[6:7], s[4:5]
	s_cbranch_execnz .LBB30_67
	s_branch .LBB30_68
.LBB30_2117:
	s_movk_i32 s4, 0x80
	v_cmp_eq_u16_sdwa s[12:13], v12, s4 src0_sel:BYTE_0 src1_sel:DWORD
	s_mov_b64 s[4:5], -1
                                        ; implicit-def: $sgpr10
	s_and_saveexec_b64 s[8:9], s[12:13]
; %bb.2118:
	s_mov_b32 s10, 0x7f800001
	s_xor_b64 s[4:5], exec, -1
; %bb.2119:
	s_or_b64 exec, exec, s[8:9]
	s_and_b64 s[4:5], s[4:5], exec
	s_or_saveexec_b64 s[6:7], s[6:7]
	v_mov_b32_e32 v11, s10
	s_xor_b64 exec, exec, s[6:7]
	s_cbranch_execz .LBB30_70
.LBB30_2120:
	v_mov_b32_e32 v11, 0
	v_cmp_ne_u16_sdwa s[8:9], v12, v11 src0_sel:BYTE_0 src1_sel:DWORD
	s_andn2_b64 s[4:5], s[4:5], exec
	s_and_b64 s[8:9], s[8:9], exec
	s_or_b64 s[4:5], s[4:5], s[8:9]
	s_or_b64 exec, exec, s[6:7]
	s_and_saveexec_b64 s[6:7], s[4:5]
	s_cbranch_execnz .LBB30_71
	s_branch .LBB30_72
.LBB30_2121:
	s_movk_i32 s4, 0x80
	v_cmp_eq_u16_sdwa s[12:13], v11, s4 src0_sel:BYTE_0 src1_sel:DWORD
	s_mov_b64 s[4:5], -1
                                        ; implicit-def: $sgpr10
	s_and_saveexec_b64 s[8:9], s[12:13]
; %bb.2122:
	s_mov_b32 s10, 0x7f800001
	s_xor_b64 s[4:5], exec, -1
; %bb.2123:
	s_or_b64 exec, exec, s[8:9]
	s_and_b64 s[4:5], s[4:5], exec
	s_or_saveexec_b64 s[6:7], s[6:7]
	v_mov_b32_e32 v10, s10
	s_xor_b64 exec, exec, s[6:7]
	s_cbranch_execz .LBB30_74
.LBB30_2124:
	v_mov_b32_e32 v10, 0
	v_cmp_ne_u16_sdwa s[8:9], v11, v10 src0_sel:BYTE_0 src1_sel:DWORD
	s_andn2_b64 s[4:5], s[4:5], exec
	s_and_b64 s[8:9], s[8:9], exec
	s_or_b64 s[4:5], s[4:5], s[8:9]
	s_or_b64 exec, exec, s[6:7]
	s_and_saveexec_b64 s[6:7], s[4:5]
	s_cbranch_execnz .LBB30_75
	s_branch .LBB30_76
.LBB30_2125:
	s_movk_i32 s4, 0x80
	v_cmp_eq_u16_sdwa s[12:13], v11, s4 src0_sel:BYTE_0 src1_sel:DWORD
	s_mov_b64 s[4:5], -1
                                        ; implicit-def: $sgpr10
	s_and_saveexec_b64 s[8:9], s[12:13]
; %bb.2126:
	s_mov_b32 s10, 0x7f800001
	s_xor_b64 s[4:5], exec, -1
; %bb.2127:
	s_or_b64 exec, exec, s[8:9]
	s_and_b64 s[4:5], s[4:5], exec
	s_or_saveexec_b64 s[6:7], s[6:7]
	v_mov_b32_e32 v14, s10
	s_xor_b64 exec, exec, s[6:7]
	s_cbranch_execz .LBB30_78
.LBB30_2128:
	v_mov_b32_e32 v14, 0
	v_cmp_ne_u16_sdwa s[8:9], v11, v14 src0_sel:BYTE_0 src1_sel:DWORD
	s_andn2_b64 s[4:5], s[4:5], exec
	s_and_b64 s[8:9], s[8:9], exec
	s_or_b64 s[4:5], s[4:5], s[8:9]
	s_or_b64 exec, exec, s[6:7]
	s_and_saveexec_b64 s[6:7], s[4:5]
	s_cbranch_execnz .LBB30_79
	s_branch .LBB30_80
.LBB30_2129:
	s_movk_i32 s4, 0x80
	v_cmp_eq_u16_e32 vcc, s4, v11
	s_mov_b64 s[4:5], -1
                                        ; implicit-def: $sgpr10
	s_and_saveexec_b64 s[8:9], vcc
; %bb.2130:
	s_mov_b32 s10, 0x7f800001
	s_xor_b64 s[4:5], exec, -1
; %bb.2131:
	s_or_b64 exec, exec, s[8:9]
	s_and_b64 s[4:5], s[4:5], exec
                                        ; implicit-def: $vgpr11
	s_or_saveexec_b64 s[6:7], s[6:7]
	v_mov_b32_e32 v10, s10
	s_xor_b64 exec, exec, s[6:7]
	s_cbranch_execz .LBB30_82
.LBB30_2132:
	v_cmp_ne_u16_e32 vcc, 0, v11
	s_andn2_b64 s[4:5], s[4:5], exec
	s_and_b64 s[8:9], vcc, exec
	v_mov_b32_e32 v10, 0
	s_or_b64 s[4:5], s[4:5], s[8:9]
	s_or_b64 exec, exec, s[6:7]
	s_and_saveexec_b64 s[6:7], s[4:5]
	s_cbranch_execnz .LBB30_83
	s_branch .LBB30_84
.LBB30_2133:
	s_movk_i32 s4, 0x80
	v_cmp_eq_u16_e32 vcc, s4, v11
	s_mov_b64 s[4:5], -1
                                        ; implicit-def: $sgpr10
	s_and_saveexec_b64 s[8:9], vcc
; %bb.2134:
	s_mov_b32 s10, 0x7f800001
	s_xor_b64 s[4:5], exec, -1
; %bb.2135:
	s_or_b64 exec, exec, s[8:9]
	s_and_b64 s[4:5], s[4:5], exec
                                        ; implicit-def: $vgpr11
	s_or_saveexec_b64 s[6:7], s[6:7]
	v_mov_b32_e32 v14, s10
	s_xor_b64 exec, exec, s[6:7]
	s_cbranch_execz .LBB30_86
.LBB30_2136:
	v_cmp_ne_u16_e32 vcc, 0, v11
	s_andn2_b64 s[4:5], s[4:5], exec
	s_and_b64 s[8:9], vcc, exec
	v_mov_b32_e32 v14, 0
	s_or_b64 s[4:5], s[4:5], s[8:9]
	s_or_b64 exec, exec, s[6:7]
	s_and_saveexec_b64 s[6:7], s[4:5]
	s_cbranch_execnz .LBB30_87
	s_branch .LBB30_88
.LBB30_2137:
	s_movk_i32 s4, 0x80
	v_cmp_eq_u16_sdwa s[12:13], v16, s4 src0_sel:BYTE_3 src1_sel:DWORD
	s_mov_b64 s[4:5], -1
                                        ; implicit-def: $sgpr10
	s_and_saveexec_b64 s[8:9], s[12:13]
; %bb.2138:
	s_mov_b32 s10, 0x7f800001
	s_xor_b64 s[4:5], exec, -1
; %bb.2139:
	s_or_b64 exec, exec, s[8:9]
	s_and_b64 s[4:5], s[4:5], exec
	s_or_saveexec_b64 s[6:7], s[6:7]
	v_mov_b32_e32 v10, s10
	s_xor_b64 exec, exec, s[6:7]
	s_cbranch_execz .LBB30_90
.LBB30_2140:
	v_mov_b32_e32 v10, 0
	v_cmp_ne_u16_sdwa s[8:9], v16, v10 src0_sel:BYTE_3 src1_sel:DWORD
	s_andn2_b64 s[4:5], s[4:5], exec
	s_and_b64 s[8:9], s[8:9], exec
	s_or_b64 s[4:5], s[4:5], s[8:9]
	s_or_b64 exec, exec, s[6:7]
	s_and_saveexec_b64 s[6:7], s[4:5]
	s_cbranch_execnz .LBB30_91
	s_branch .LBB30_92
.LBB30_2141:
	s_movk_i32 s4, 0x80
	v_cmp_eq_u16_sdwa s[12:13], v12, s4 src0_sel:BYTE_3 src1_sel:DWORD
	s_mov_b64 s[4:5], -1
                                        ; implicit-def: $sgpr10
	s_and_saveexec_b64 s[8:9], s[12:13]
; %bb.2142:
	s_mov_b32 s10, 0x7f800001
	s_xor_b64 s[4:5], exec, -1
; %bb.2143:
	s_or_b64 exec, exec, s[8:9]
	s_and_b64 s[4:5], s[4:5], exec
	s_or_saveexec_b64 s[6:7], s[6:7]
	v_mov_b32_e32 v11, s10
	s_xor_b64 exec, exec, s[6:7]
	s_cbranch_execz .LBB30_94
.LBB30_2144:
	v_mov_b32_e32 v11, 0
	v_cmp_ne_u16_sdwa s[8:9], v12, v11 src0_sel:BYTE_3 src1_sel:DWORD
	s_andn2_b64 s[4:5], s[4:5], exec
	s_and_b64 s[8:9], s[8:9], exec
	s_or_b64 s[4:5], s[4:5], s[8:9]
	s_or_b64 exec, exec, s[6:7]
	s_and_saveexec_b64 s[6:7], s[4:5]
	s_cbranch_execnz .LBB30_95
	s_branch .LBB30_96
.LBB30_2145:
	s_movk_i32 s4, 0x80
	v_cmp_eq_u16_sdwa s[12:13], v17, s4 src0_sel:BYTE_0 src1_sel:DWORD
	s_mov_b64 s[4:5], -1
                                        ; implicit-def: $sgpr10
	s_and_saveexec_b64 s[8:9], s[12:13]
; %bb.2146:
	s_mov_b32 s10, 0x7f800001
	s_xor_b64 s[4:5], exec, -1
; %bb.2147:
	s_or_b64 exec, exec, s[8:9]
	s_and_b64 s[4:5], s[4:5], exec
	s_or_saveexec_b64 s[6:7], s[6:7]
	v_mov_b32_e32 v10, s10
	s_xor_b64 exec, exec, s[6:7]
	s_cbranch_execz .LBB30_98
.LBB30_2148:
	v_mov_b32_e32 v10, 0
	v_cmp_ne_u16_sdwa s[8:9], v17, v10 src0_sel:BYTE_0 src1_sel:DWORD
	s_andn2_b64 s[4:5], s[4:5], exec
	s_and_b64 s[8:9], s[8:9], exec
	s_or_b64 s[4:5], s[4:5], s[8:9]
	s_or_b64 exec, exec, s[6:7]
	s_and_saveexec_b64 s[6:7], s[4:5]
	s_cbranch_execnz .LBB30_99
	s_branch .LBB30_100
.LBB30_2149:
	s_movk_i32 s4, 0x80
	v_cmp_eq_u16_sdwa s[12:13], v13, s4 src0_sel:BYTE_0 src1_sel:DWORD
	s_mov_b64 s[4:5], -1
                                        ; implicit-def: $sgpr10
	s_and_saveexec_b64 s[8:9], s[12:13]
; %bb.2150:
	s_mov_b32 s10, 0x7f800001
	s_xor_b64 s[4:5], exec, -1
; %bb.2151:
	s_or_b64 exec, exec, s[8:9]
	s_and_b64 s[4:5], s[4:5], exec
	s_or_saveexec_b64 s[6:7], s[6:7]
	v_mov_b32_e32 v11, s10
	s_xor_b64 exec, exec, s[6:7]
	s_cbranch_execz .LBB30_102
.LBB30_2152:
	v_mov_b32_e32 v11, 0
	v_cmp_ne_u16_sdwa s[8:9], v13, v11 src0_sel:BYTE_0 src1_sel:DWORD
	s_andn2_b64 s[4:5], s[4:5], exec
	s_and_b64 s[8:9], s[8:9], exec
	s_or_b64 s[4:5], s[4:5], s[8:9]
	s_or_b64 exec, exec, s[6:7]
	s_and_saveexec_b64 s[6:7], s[4:5]
	s_cbranch_execnz .LBB30_103
	s_branch .LBB30_104
.LBB30_2153:
	s_movk_i32 s4, 0x80
	v_cmp_eq_u16_sdwa s[12:13], v11, s4 src0_sel:BYTE_0 src1_sel:DWORD
	s_mov_b64 s[4:5], -1
                                        ; implicit-def: $sgpr10
	s_and_saveexec_b64 s[8:9], s[12:13]
; %bb.2154:
	s_mov_b32 s10, 0x7f800001
	s_xor_b64 s[4:5], exec, -1
; %bb.2155:
	s_or_b64 exec, exec, s[8:9]
	s_and_b64 s[4:5], s[4:5], exec
	s_or_saveexec_b64 s[6:7], s[6:7]
	v_mov_b32_e32 v10, s10
	s_xor_b64 exec, exec, s[6:7]
	s_cbranch_execz .LBB30_106
.LBB30_2156:
	v_mov_b32_e32 v10, 0
	v_cmp_ne_u16_sdwa s[8:9], v11, v10 src0_sel:BYTE_0 src1_sel:DWORD
	s_andn2_b64 s[4:5], s[4:5], exec
	s_and_b64 s[8:9], s[8:9], exec
	s_or_b64 s[4:5], s[4:5], s[8:9]
	s_or_b64 exec, exec, s[6:7]
	s_and_saveexec_b64 s[6:7], s[4:5]
	s_cbranch_execnz .LBB30_107
	s_branch .LBB30_108
.LBB30_2157:
	s_movk_i32 s4, 0x80
	v_cmp_eq_u16_sdwa s[12:13], v11, s4 src0_sel:BYTE_0 src1_sel:DWORD
	s_mov_b64 s[4:5], -1
                                        ; implicit-def: $sgpr10
	s_and_saveexec_b64 s[8:9], s[12:13]
; %bb.2158:
	s_mov_b32 s10, 0x7f800001
	s_xor_b64 s[4:5], exec, -1
; %bb.2159:
	s_or_b64 exec, exec, s[8:9]
	s_and_b64 s[4:5], s[4:5], exec
	s_or_saveexec_b64 s[6:7], s[6:7]
	v_mov_b32_e32 v12, s10
	s_xor_b64 exec, exec, s[6:7]
	s_cbranch_execz .LBB30_110
.LBB30_2160:
	v_mov_b32_e32 v12, 0
	v_cmp_ne_u16_sdwa s[8:9], v11, v12 src0_sel:BYTE_0 src1_sel:DWORD
	s_andn2_b64 s[4:5], s[4:5], exec
	s_and_b64 s[8:9], s[8:9], exec
	s_or_b64 s[4:5], s[4:5], s[8:9]
	s_or_b64 exec, exec, s[6:7]
	s_and_saveexec_b64 s[6:7], s[4:5]
	s_cbranch_execnz .LBB30_111
	s_branch .LBB30_112
.LBB30_2161:
	s_movk_i32 s4, 0x80
	v_cmp_eq_u16_e32 vcc, s4, v11
	s_mov_b64 s[4:5], -1
                                        ; implicit-def: $sgpr10
	s_and_saveexec_b64 s[8:9], vcc
; %bb.2162:
	s_mov_b32 s10, 0x7f800001
	s_xor_b64 s[4:5], exec, -1
; %bb.2163:
	s_or_b64 exec, exec, s[8:9]
	s_and_b64 s[4:5], s[4:5], exec
                                        ; implicit-def: $vgpr11
	s_or_saveexec_b64 s[6:7], s[6:7]
	v_mov_b32_e32 v10, s10
	s_xor_b64 exec, exec, s[6:7]
	s_cbranch_execz .LBB30_114
.LBB30_2164:
	v_cmp_ne_u16_e32 vcc, 0, v11
	s_andn2_b64 s[4:5], s[4:5], exec
	s_and_b64 s[8:9], vcc, exec
	v_mov_b32_e32 v10, 0
	s_or_b64 s[4:5], s[4:5], s[8:9]
	s_or_b64 exec, exec, s[6:7]
	s_and_saveexec_b64 s[6:7], s[4:5]
	s_cbranch_execnz .LBB30_115
	s_branch .LBB30_116
.LBB30_2165:
	s_movk_i32 s4, 0x80
	v_cmp_eq_u16_e32 vcc, s4, v11
	s_mov_b64 s[4:5], -1
                                        ; implicit-def: $sgpr10
	s_and_saveexec_b64 s[8:9], vcc
; %bb.2166:
	s_mov_b32 s10, 0x7f800001
	s_xor_b64 s[4:5], exec, -1
; %bb.2167:
	s_or_b64 exec, exec, s[8:9]
	s_and_b64 s[4:5], s[4:5], exec
                                        ; implicit-def: $vgpr11
	s_or_saveexec_b64 s[6:7], s[6:7]
	v_mov_b32_e32 v12, s10
	s_xor_b64 exec, exec, s[6:7]
	s_cbranch_execz .LBB30_118
.LBB30_2168:
	v_cmp_ne_u16_e32 vcc, 0, v11
	s_andn2_b64 s[4:5], s[4:5], exec
	s_and_b64 s[8:9], vcc, exec
	v_mov_b32_e32 v12, 0
	s_or_b64 s[4:5], s[4:5], s[8:9]
	s_or_b64 exec, exec, s[6:7]
	s_and_saveexec_b64 s[6:7], s[4:5]
	s_cbranch_execnz .LBB30_119
	s_branch .LBB30_120
.LBB30_2169:
	s_movk_i32 s4, 0x80
	v_cmp_eq_u16_sdwa s[12:13], v17, s4 src0_sel:BYTE_3 src1_sel:DWORD
	s_mov_b64 s[4:5], -1
                                        ; implicit-def: $sgpr10
	s_and_saveexec_b64 s[8:9], s[12:13]
; %bb.2170:
	s_mov_b32 s10, 0x7f800001
	s_xor_b64 s[4:5], exec, -1
; %bb.2171:
	s_or_b64 exec, exec, s[8:9]
	s_and_b64 s[4:5], s[4:5], exec
	s_or_saveexec_b64 s[6:7], s[6:7]
	v_mov_b32_e32 v10, s10
	s_xor_b64 exec, exec, s[6:7]
	s_cbranch_execz .LBB30_122
.LBB30_2172:
	v_mov_b32_e32 v10, 0
	v_cmp_ne_u16_sdwa s[8:9], v17, v10 src0_sel:BYTE_3 src1_sel:DWORD
	s_andn2_b64 s[4:5], s[4:5], exec
	s_and_b64 s[8:9], s[8:9], exec
	s_or_b64 s[4:5], s[4:5], s[8:9]
	s_or_b64 exec, exec, s[6:7]
	s_and_saveexec_b64 s[6:7], s[4:5]
	s_cbranch_execnz .LBB30_123
	s_branch .LBB30_124
.LBB30_2173:
	s_movk_i32 s4, 0x80
	v_cmp_eq_u16_sdwa s[12:13], v13, s4 src0_sel:BYTE_3 src1_sel:DWORD
	s_mov_b64 s[4:5], -1
                                        ; implicit-def: $sgpr10
	s_and_saveexec_b64 s[8:9], s[12:13]
; %bb.2174:
	s_mov_b32 s10, 0x7f800001
	s_xor_b64 s[4:5], exec, -1
; %bb.2175:
	s_or_b64 exec, exec, s[8:9]
	s_and_b64 s[4:5], s[4:5], exec
	s_or_saveexec_b64 s[6:7], s[6:7]
	v_mov_b32_e32 v11, s10
	s_xor_b64 exec, exec, s[6:7]
	s_cbranch_execz .LBB30_126
.LBB30_2176:
	v_mov_b32_e32 v11, 0
	v_cmp_ne_u16_sdwa s[8:9], v13, v11 src0_sel:BYTE_3 src1_sel:DWORD
	s_andn2_b64 s[4:5], s[4:5], exec
	s_and_b64 s[8:9], s[8:9], exec
	s_or_b64 s[4:5], s[4:5], s[8:9]
	s_or_b64 exec, exec, s[6:7]
	s_and_saveexec_b64 s[6:7], s[4:5]
	s_cbranch_execnz .LBB30_127
	s_branch .LBB30_128
.LBB30_2177:
	s_movk_i32 s4, 0x80
	v_cmp_eq_u16_sdwa s[12:13], v6, s4 src0_sel:BYTE_0 src1_sel:DWORD
	s_mov_b64 s[4:5], -1
                                        ; implicit-def: $sgpr10
	s_and_saveexec_b64 s[8:9], s[12:13]
; %bb.2178:
	s_mov_b32 s10, 0x7f800001
	s_xor_b64 s[4:5], exec, -1
; %bb.2179:
	s_or_b64 exec, exec, s[8:9]
	s_and_b64 s[4:5], s[4:5], exec
	s_or_saveexec_b64 s[6:7], s[6:7]
	v_mov_b32_e32 v10, s10
	s_xor_b64 exec, exec, s[6:7]
	s_cbranch_execz .LBB30_130
.LBB30_2180:
	v_mov_b32_e32 v10, 0
	v_cmp_ne_u16_sdwa s[8:9], v6, v10 src0_sel:BYTE_0 src1_sel:DWORD
	s_andn2_b64 s[4:5], s[4:5], exec
	s_and_b64 s[8:9], s[8:9], exec
	s_or_b64 s[4:5], s[4:5], s[8:9]
	s_or_b64 exec, exec, s[6:7]
	s_and_saveexec_b64 s[6:7], s[4:5]
	s_cbranch_execnz .LBB30_131
	s_branch .LBB30_132
.LBB30_2181:
	s_movk_i32 s4, 0x80
	v_cmp_eq_u16_sdwa s[12:13], v2, s4 src0_sel:BYTE_0 src1_sel:DWORD
	s_mov_b64 s[4:5], -1
                                        ; implicit-def: $sgpr10
	s_and_saveexec_b64 s[8:9], s[12:13]
; %bb.2182:
	s_mov_b32 s10, 0x7f800001
	s_xor_b64 s[4:5], exec, -1
; %bb.2183:
	s_or_b64 exec, exec, s[8:9]
	s_and_b64 s[4:5], s[4:5], exec
	s_or_saveexec_b64 s[6:7], s[6:7]
	v_mov_b32_e32 v11, s10
	s_xor_b64 exec, exec, s[6:7]
	s_cbranch_execz .LBB30_134
.LBB30_2184:
	v_mov_b32_e32 v11, 0
	v_cmp_ne_u16_sdwa s[8:9], v2, v11 src0_sel:BYTE_0 src1_sel:DWORD
	s_andn2_b64 s[4:5], s[4:5], exec
	s_and_b64 s[8:9], s[8:9], exec
	s_or_b64 s[4:5], s[4:5], s[8:9]
	s_or_b64 exec, exec, s[6:7]
	s_and_saveexec_b64 s[6:7], s[4:5]
	s_cbranch_execnz .LBB30_135
	s_branch .LBB30_136
.LBB30_2185:
	s_movk_i32 s4, 0x80
	v_cmp_eq_u16_sdwa s[12:13], v11, s4 src0_sel:BYTE_0 src1_sel:DWORD
	s_mov_b64 s[4:5], -1
                                        ; implicit-def: $sgpr10
	s_and_saveexec_b64 s[8:9], s[12:13]
; %bb.2186:
	s_mov_b32 s10, 0x7f800001
	s_xor_b64 s[4:5], exec, -1
; %bb.2187:
	s_or_b64 exec, exec, s[8:9]
	s_and_b64 s[4:5], s[4:5], exec
	s_or_saveexec_b64 s[6:7], s[6:7]
	v_mov_b32_e32 v10, s10
	s_xor_b64 exec, exec, s[6:7]
	s_cbranch_execz .LBB30_138
.LBB30_2188:
	v_mov_b32_e32 v10, 0
	v_cmp_ne_u16_sdwa s[8:9], v11, v10 src0_sel:BYTE_0 src1_sel:DWORD
	s_andn2_b64 s[4:5], s[4:5], exec
	s_and_b64 s[8:9], s[8:9], exec
	s_or_b64 s[4:5], s[4:5], s[8:9]
	s_or_b64 exec, exec, s[6:7]
	s_and_saveexec_b64 s[6:7], s[4:5]
	s_cbranch_execnz .LBB30_139
	s_branch .LBB30_140
.LBB30_2189:
	s_movk_i32 s4, 0x80
	v_cmp_eq_u16_sdwa s[12:13], v11, s4 src0_sel:BYTE_0 src1_sel:DWORD
	s_mov_b64 s[4:5], -1
                                        ; implicit-def: $sgpr10
	s_and_saveexec_b64 s[8:9], s[12:13]
; %bb.2190:
	s_mov_b32 s10, 0x7f800001
	s_xor_b64 s[4:5], exec, -1
; %bb.2191:
	s_or_b64 exec, exec, s[8:9]
	s_and_b64 s[4:5], s[4:5], exec
	s_or_saveexec_b64 s[6:7], s[6:7]
	v_mov_b32_e32 v12, s10
	s_xor_b64 exec, exec, s[6:7]
	s_cbranch_execz .LBB30_142
.LBB30_2192:
	v_mov_b32_e32 v12, 0
	v_cmp_ne_u16_sdwa s[8:9], v11, v12 src0_sel:BYTE_0 src1_sel:DWORD
	s_andn2_b64 s[4:5], s[4:5], exec
	s_and_b64 s[8:9], s[8:9], exec
	s_or_b64 s[4:5], s[4:5], s[8:9]
	s_or_b64 exec, exec, s[6:7]
	s_and_saveexec_b64 s[6:7], s[4:5]
	s_cbranch_execnz .LBB30_143
	s_branch .LBB30_144
.LBB30_2193:
	s_movk_i32 s4, 0x80
	v_cmp_eq_u16_e32 vcc, s4, v11
	s_mov_b64 s[4:5], -1
                                        ; implicit-def: $sgpr10
	s_and_saveexec_b64 s[8:9], vcc
; %bb.2194:
	s_mov_b32 s10, 0x7f800001
	s_xor_b64 s[4:5], exec, -1
; %bb.2195:
	s_or_b64 exec, exec, s[8:9]
	s_and_b64 s[4:5], s[4:5], exec
                                        ; implicit-def: $vgpr11
	s_or_saveexec_b64 s[6:7], s[6:7]
	v_mov_b32_e32 v10, s10
	s_xor_b64 exec, exec, s[6:7]
	s_cbranch_execz .LBB30_146
.LBB30_2196:
	v_cmp_ne_u16_e32 vcc, 0, v11
	s_andn2_b64 s[4:5], s[4:5], exec
	s_and_b64 s[8:9], vcc, exec
	v_mov_b32_e32 v10, 0
	s_or_b64 s[4:5], s[4:5], s[8:9]
	s_or_b64 exec, exec, s[6:7]
	s_and_saveexec_b64 s[6:7], s[4:5]
	s_cbranch_execnz .LBB30_147
	s_branch .LBB30_148
.LBB30_2197:
	s_movk_i32 s4, 0x80
	v_cmp_eq_u16_e32 vcc, s4, v11
	s_mov_b64 s[4:5], -1
                                        ; implicit-def: $sgpr10
	s_and_saveexec_b64 s[8:9], vcc
; %bb.2198:
	s_mov_b32 s10, 0x7f800001
	s_xor_b64 s[4:5], exec, -1
; %bb.2199:
	s_or_b64 exec, exec, s[8:9]
	s_and_b64 s[4:5], s[4:5], exec
                                        ; implicit-def: $vgpr11
	s_or_saveexec_b64 s[6:7], s[6:7]
	v_mov_b32_e32 v12, s10
	s_xor_b64 exec, exec, s[6:7]
	s_cbranch_execz .LBB30_150
.LBB30_2200:
	v_cmp_ne_u16_e32 vcc, 0, v11
	s_andn2_b64 s[4:5], s[4:5], exec
	s_and_b64 s[8:9], vcc, exec
	v_mov_b32_e32 v12, 0
	s_or_b64 s[4:5], s[4:5], s[8:9]
	s_or_b64 exec, exec, s[6:7]
	s_and_saveexec_b64 s[6:7], s[4:5]
	s_cbranch_execnz .LBB30_151
	s_branch .LBB30_152
.LBB30_2201:
	s_movk_i32 s4, 0x80
	v_cmp_eq_u16_sdwa s[12:13], v6, s4 src0_sel:BYTE_3 src1_sel:DWORD
	s_mov_b64 s[4:5], -1
                                        ; implicit-def: $sgpr10
	s_and_saveexec_b64 s[8:9], s[12:13]
; %bb.2202:
	s_mov_b32 s10, 0x7f800001
	s_xor_b64 s[4:5], exec, -1
; %bb.2203:
	s_or_b64 exec, exec, s[8:9]
	s_and_b64 s[4:5], s[4:5], exec
	s_or_saveexec_b64 s[6:7], s[6:7]
	v_mov_b32_e32 v10, s10
	s_xor_b64 exec, exec, s[6:7]
	s_cbranch_execz .LBB30_154
.LBB30_2204:
	v_mov_b32_e32 v10, 0
	v_cmp_ne_u16_sdwa s[8:9], v6, v10 src0_sel:BYTE_3 src1_sel:DWORD
	s_andn2_b64 s[4:5], s[4:5], exec
	s_and_b64 s[8:9], s[8:9], exec
	s_or_b64 s[4:5], s[4:5], s[8:9]
	s_or_b64 exec, exec, s[6:7]
	s_and_saveexec_b64 s[6:7], s[4:5]
	s_cbranch_execnz .LBB30_155
	s_branch .LBB30_156
.LBB30_2205:
	s_movk_i32 s4, 0x80
	v_cmp_eq_u16_sdwa s[12:13], v2, s4 src0_sel:BYTE_3 src1_sel:DWORD
	s_mov_b64 s[4:5], -1
                                        ; implicit-def: $sgpr10
	s_and_saveexec_b64 s[8:9], s[12:13]
; %bb.2206:
	s_mov_b32 s10, 0x7f800001
	s_xor_b64 s[4:5], exec, -1
; %bb.2207:
	s_or_b64 exec, exec, s[8:9]
	s_and_b64 s[4:5], s[4:5], exec
	s_or_saveexec_b64 s[6:7], s[6:7]
	v_mov_b32_e32 v6, s10
	s_xor_b64 exec, exec, s[6:7]
	s_cbranch_execz .LBB30_158
.LBB30_2208:
	v_mov_b32_e32 v6, 0
	v_cmp_ne_u16_sdwa s[8:9], v2, v6 src0_sel:BYTE_3 src1_sel:DWORD
	s_andn2_b64 s[4:5], s[4:5], exec
	s_and_b64 s[8:9], s[8:9], exec
	s_or_b64 s[4:5], s[4:5], s[8:9]
	s_or_b64 exec, exec, s[6:7]
	s_and_saveexec_b64 s[6:7], s[4:5]
	s_cbranch_execnz .LBB30_159
	s_branch .LBB30_160
.LBB30_2209:
	s_movk_i32 s4, 0x80
	v_cmp_eq_u16_sdwa s[12:13], v7, s4 src0_sel:BYTE_0 src1_sel:DWORD
	s_mov_b64 s[4:5], -1
                                        ; implicit-def: $sgpr10
	s_and_saveexec_b64 s[8:9], s[12:13]
; %bb.2210:
	s_mov_b32 s10, 0x7f800001
	s_xor_b64 s[4:5], exec, -1
; %bb.2211:
	s_or_b64 exec, exec, s[8:9]
	s_and_b64 s[4:5], s[4:5], exec
	s_or_saveexec_b64 s[6:7], s[6:7]
	v_mov_b32_e32 v2, s10
	s_xor_b64 exec, exec, s[6:7]
	s_cbranch_execz .LBB30_162
.LBB30_2212:
	v_mov_b32_e32 v2, 0
	v_cmp_ne_u16_sdwa s[8:9], v7, v2 src0_sel:BYTE_0 src1_sel:DWORD
	s_andn2_b64 s[4:5], s[4:5], exec
	s_and_b64 s[8:9], s[8:9], exec
	s_or_b64 s[4:5], s[4:5], s[8:9]
	s_or_b64 exec, exec, s[6:7]
	s_and_saveexec_b64 s[6:7], s[4:5]
	s_cbranch_execnz .LBB30_163
	s_branch .LBB30_164
.LBB30_2213:
	s_movk_i32 s4, 0x80
	v_cmp_eq_u16_sdwa s[12:13], v3, s4 src0_sel:BYTE_0 src1_sel:DWORD
	s_mov_b64 s[4:5], -1
                                        ; implicit-def: $sgpr10
	s_and_saveexec_b64 s[8:9], s[12:13]
; %bb.2214:
	s_mov_b32 s10, 0x7f800001
	s_xor_b64 s[4:5], exec, -1
; %bb.2215:
	s_or_b64 exec, exec, s[8:9]
	s_and_b64 s[4:5], s[4:5], exec
	s_or_saveexec_b64 s[6:7], s[6:7]
	v_mov_b32_e32 v6, s10
	s_xor_b64 exec, exec, s[6:7]
	s_cbranch_execz .LBB30_166
.LBB30_2216:
	v_mov_b32_e32 v6, 0
	v_cmp_ne_u16_sdwa s[8:9], v3, v6 src0_sel:BYTE_0 src1_sel:DWORD
	s_andn2_b64 s[4:5], s[4:5], exec
	s_and_b64 s[8:9], s[8:9], exec
	s_or_b64 s[4:5], s[4:5], s[8:9]
	s_or_b64 exec, exec, s[6:7]
	s_and_saveexec_b64 s[6:7], s[4:5]
	s_cbranch_execnz .LBB30_167
	s_branch .LBB30_168
.LBB30_2217:
	s_movk_i32 s4, 0x80
	v_cmp_eq_u16_sdwa s[12:13], v6, s4 src0_sel:BYTE_0 src1_sel:DWORD
	s_mov_b64 s[4:5], -1
                                        ; implicit-def: $sgpr10
	s_and_saveexec_b64 s[8:9], s[12:13]
; %bb.2218:
	s_mov_b32 s10, 0x7f800001
	s_xor_b64 s[4:5], exec, -1
; %bb.2219:
	s_or_b64 exec, exec, s[8:9]
	s_and_b64 s[4:5], s[4:5], exec
	s_or_saveexec_b64 s[6:7], s[6:7]
	v_mov_b32_e32 v2, s10
	s_xor_b64 exec, exec, s[6:7]
	s_cbranch_execz .LBB30_170
.LBB30_2220:
	v_mov_b32_e32 v2, 0
	v_cmp_ne_u16_sdwa s[8:9], v6, v2 src0_sel:BYTE_0 src1_sel:DWORD
	s_andn2_b64 s[4:5], s[4:5], exec
	s_and_b64 s[8:9], s[8:9], exec
	s_or_b64 s[4:5], s[4:5], s[8:9]
	s_or_b64 exec, exec, s[6:7]
	s_and_saveexec_b64 s[6:7], s[4:5]
	s_cbranch_execnz .LBB30_171
	s_branch .LBB30_172
.LBB30_2221:
	s_movk_i32 s4, 0x80
	v_cmp_eq_u16_sdwa s[12:13], v6, s4 src0_sel:BYTE_0 src1_sel:DWORD
	s_mov_b64 s[4:5], -1
                                        ; implicit-def: $sgpr10
	s_and_saveexec_b64 s[8:9], s[12:13]
; %bb.2222:
	s_mov_b32 s10, 0x7f800001
	s_xor_b64 s[4:5], exec, -1
; %bb.2223:
	s_or_b64 exec, exec, s[8:9]
	s_and_b64 s[4:5], s[4:5], exec
	s_or_saveexec_b64 s[6:7], s[6:7]
	v_mov_b32_e32 v10, s10
	s_xor_b64 exec, exec, s[6:7]
	s_cbranch_execz .LBB30_174
.LBB30_2224:
	v_mov_b32_e32 v10, 0
	v_cmp_ne_u16_sdwa s[8:9], v6, v10 src0_sel:BYTE_0 src1_sel:DWORD
	s_andn2_b64 s[4:5], s[4:5], exec
	s_and_b64 s[8:9], s[8:9], exec
	s_or_b64 s[4:5], s[4:5], s[8:9]
	s_or_b64 exec, exec, s[6:7]
	s_and_saveexec_b64 s[6:7], s[4:5]
	s_cbranch_execnz .LBB30_175
	s_branch .LBB30_176
.LBB30_2225:
	s_movk_i32 s4, 0x80
	v_cmp_eq_u16_e32 vcc, s4, v6
	s_mov_b64 s[4:5], -1
                                        ; implicit-def: $sgpr10
	s_and_saveexec_b64 s[8:9], vcc
; %bb.2226:
	s_mov_b32 s10, 0x7f800001
	s_xor_b64 s[4:5], exec, -1
; %bb.2227:
	s_or_b64 exec, exec, s[8:9]
	s_and_b64 s[4:5], s[4:5], exec
                                        ; implicit-def: $vgpr6
	s_or_saveexec_b64 s[6:7], s[6:7]
	v_mov_b32_e32 v2, s10
	s_xor_b64 exec, exec, s[6:7]
	s_cbranch_execz .LBB30_178
.LBB30_2228:
	v_cmp_ne_u16_e32 vcc, 0, v6
	s_andn2_b64 s[4:5], s[4:5], exec
	s_and_b64 s[8:9], vcc, exec
	v_mov_b32_e32 v2, 0
	s_or_b64 s[4:5], s[4:5], s[8:9]
	s_or_b64 exec, exec, s[6:7]
	s_and_saveexec_b64 s[6:7], s[4:5]
	s_cbranch_execnz .LBB30_179
	s_branch .LBB30_180
.LBB30_2229:
	s_movk_i32 s4, 0x80
	v_cmp_eq_u16_e32 vcc, s4, v6
	s_mov_b64 s[4:5], -1
                                        ; implicit-def: $sgpr10
	s_and_saveexec_b64 s[8:9], vcc
; %bb.2230:
	s_mov_b32 s10, 0x7f800001
	s_xor_b64 s[4:5], exec, -1
; %bb.2231:
	s_or_b64 exec, exec, s[8:9]
	s_and_b64 s[4:5], s[4:5], exec
                                        ; implicit-def: $vgpr6
	s_or_saveexec_b64 s[6:7], s[6:7]
	v_mov_b32_e32 v10, s10
	s_xor_b64 exec, exec, s[6:7]
	s_cbranch_execz .LBB30_182
.LBB30_2232:
	v_cmp_ne_u16_e32 vcc, 0, v6
	s_andn2_b64 s[4:5], s[4:5], exec
	s_and_b64 s[8:9], vcc, exec
	v_mov_b32_e32 v10, 0
	s_or_b64 s[4:5], s[4:5], s[8:9]
	s_or_b64 exec, exec, s[6:7]
	s_and_saveexec_b64 s[6:7], s[4:5]
	s_cbranch_execnz .LBB30_183
	s_branch .LBB30_184
.LBB30_2233:
	s_movk_i32 s4, 0x80
	v_cmp_eq_u16_sdwa s[12:13], v7, s4 src0_sel:BYTE_3 src1_sel:DWORD
	s_mov_b64 s[4:5], -1
                                        ; implicit-def: $sgpr10
	s_and_saveexec_b64 s[8:9], s[12:13]
; %bb.2234:
	s_mov_b32 s10, 0x7f800001
	s_xor_b64 s[4:5], exec, -1
; %bb.2235:
	s_or_b64 exec, exec, s[8:9]
	s_and_b64 s[4:5], s[4:5], exec
	s_or_saveexec_b64 s[6:7], s[6:7]
	v_mov_b32_e32 v2, s10
	s_xor_b64 exec, exec, s[6:7]
	s_cbranch_execz .LBB30_186
.LBB30_2236:
	v_mov_b32_e32 v2, 0
	v_cmp_ne_u16_sdwa s[8:9], v7, v2 src0_sel:BYTE_3 src1_sel:DWORD
	s_andn2_b64 s[4:5], s[4:5], exec
	s_and_b64 s[8:9], s[8:9], exec
	s_or_b64 s[4:5], s[4:5], s[8:9]
	s_or_b64 exec, exec, s[6:7]
	s_and_saveexec_b64 s[6:7], s[4:5]
	s_cbranch_execnz .LBB30_187
	s_branch .LBB30_188
.LBB30_2237:
	s_movk_i32 s4, 0x80
	v_cmp_eq_u16_sdwa s[12:13], v3, s4 src0_sel:BYTE_3 src1_sel:DWORD
	s_mov_b64 s[4:5], -1
                                        ; implicit-def: $sgpr10
	s_and_saveexec_b64 s[8:9], s[12:13]
; %bb.2238:
	s_mov_b32 s10, 0x7f800001
	s_xor_b64 s[4:5], exec, -1
; %bb.2239:
	s_or_b64 exec, exec, s[8:9]
	s_and_b64 s[4:5], s[4:5], exec
	s_or_saveexec_b64 s[6:7], s[6:7]
	v_mov_b32_e32 v6, s10
	s_xor_b64 exec, exec, s[6:7]
	s_cbranch_execz .LBB30_190
.LBB30_2240:
	v_mov_b32_e32 v6, 0
	v_cmp_ne_u16_sdwa s[8:9], v3, v6 src0_sel:BYTE_3 src1_sel:DWORD
	s_andn2_b64 s[4:5], s[4:5], exec
	s_and_b64 s[8:9], s[8:9], exec
	s_or_b64 s[4:5], s[4:5], s[8:9]
	s_or_b64 exec, exec, s[6:7]
	s_and_saveexec_b64 s[6:7], s[4:5]
	s_cbranch_execnz .LBB30_191
	s_branch .LBB30_192
.LBB30_2241:
	s_movk_i32 s4, 0x80
	v_cmp_eq_u16_sdwa s[12:13], v8, s4 src0_sel:BYTE_0 src1_sel:DWORD
	s_mov_b64 s[4:5], -1
                                        ; implicit-def: $sgpr10
	s_and_saveexec_b64 s[8:9], s[12:13]
; %bb.2242:
	s_mov_b32 s10, 0x7f800001
	s_xor_b64 s[4:5], exec, -1
; %bb.2243:
	s_or_b64 exec, exec, s[8:9]
	s_and_b64 s[4:5], s[4:5], exec
	s_or_saveexec_b64 s[6:7], s[6:7]
	v_mov_b32_e32 v2, s10
	s_xor_b64 exec, exec, s[6:7]
	s_cbranch_execz .LBB30_194
.LBB30_2244:
	v_mov_b32_e32 v2, 0
	v_cmp_ne_u16_sdwa s[8:9], v8, v2 src0_sel:BYTE_0 src1_sel:DWORD
	s_andn2_b64 s[4:5], s[4:5], exec
	s_and_b64 s[8:9], s[8:9], exec
	s_or_b64 s[4:5], s[4:5], s[8:9]
	s_or_b64 exec, exec, s[6:7]
	s_and_saveexec_b64 s[6:7], s[4:5]
	s_cbranch_execnz .LBB30_195
	s_branch .LBB30_196
.LBB30_2245:
	s_movk_i32 s4, 0x80
	v_cmp_eq_u16_sdwa s[12:13], v4, s4 src0_sel:BYTE_0 src1_sel:DWORD
	s_mov_b64 s[4:5], -1
                                        ; implicit-def: $sgpr10
	s_and_saveexec_b64 s[8:9], s[12:13]
; %bb.2246:
	s_mov_b32 s10, 0x7f800001
	s_xor_b64 s[4:5], exec, -1
; %bb.2247:
	s_or_b64 exec, exec, s[8:9]
	s_and_b64 s[4:5], s[4:5], exec
	s_or_saveexec_b64 s[6:7], s[6:7]
	v_mov_b32_e32 v3, s10
	s_xor_b64 exec, exec, s[6:7]
	s_cbranch_execz .LBB30_198
.LBB30_2248:
	v_mov_b32_e32 v3, 0
	v_cmp_ne_u16_sdwa s[8:9], v4, v3 src0_sel:BYTE_0 src1_sel:DWORD
	s_andn2_b64 s[4:5], s[4:5], exec
	s_and_b64 s[8:9], s[8:9], exec
	s_or_b64 s[4:5], s[4:5], s[8:9]
	s_or_b64 exec, exec, s[6:7]
	s_and_saveexec_b64 s[6:7], s[4:5]
	s_cbranch_execnz .LBB30_199
	s_branch .LBB30_200
.LBB30_2249:
	s_movk_i32 s4, 0x80
	v_cmp_eq_u16_sdwa s[12:13], v3, s4 src0_sel:BYTE_0 src1_sel:DWORD
	s_mov_b64 s[4:5], -1
                                        ; implicit-def: $sgpr10
	s_and_saveexec_b64 s[8:9], s[12:13]
; %bb.2250:
	s_mov_b32 s10, 0x7f800001
	s_xor_b64 s[4:5], exec, -1
; %bb.2251:
	s_or_b64 exec, exec, s[8:9]
	s_and_b64 s[4:5], s[4:5], exec
	s_or_saveexec_b64 s[6:7], s[6:7]
	v_mov_b32_e32 v2, s10
	s_xor_b64 exec, exec, s[6:7]
	s_cbranch_execz .LBB30_202
.LBB30_2252:
	v_mov_b32_e32 v2, 0
	v_cmp_ne_u16_sdwa s[8:9], v3, v2 src0_sel:BYTE_0 src1_sel:DWORD
	s_andn2_b64 s[4:5], s[4:5], exec
	s_and_b64 s[8:9], s[8:9], exec
	s_or_b64 s[4:5], s[4:5], s[8:9]
	s_or_b64 exec, exec, s[6:7]
	s_and_saveexec_b64 s[6:7], s[4:5]
	s_cbranch_execnz .LBB30_203
	s_branch .LBB30_204
.LBB30_2253:
	s_movk_i32 s4, 0x80
	v_cmp_eq_u16_sdwa s[12:13], v3, s4 src0_sel:BYTE_0 src1_sel:DWORD
	s_mov_b64 s[4:5], -1
                                        ; implicit-def: $sgpr10
	s_and_saveexec_b64 s[8:9], s[12:13]
; %bb.2254:
	s_mov_b32 s10, 0x7f800001
	s_xor_b64 s[4:5], exec, -1
; %bb.2255:
	s_or_b64 exec, exec, s[8:9]
	s_and_b64 s[4:5], s[4:5], exec
	s_or_saveexec_b64 s[6:7], s[6:7]
	v_mov_b32_e32 v6, s10
	s_xor_b64 exec, exec, s[6:7]
	s_cbranch_execz .LBB30_206
.LBB30_2256:
	v_mov_b32_e32 v6, 0
	v_cmp_ne_u16_sdwa s[8:9], v3, v6 src0_sel:BYTE_0 src1_sel:DWORD
	s_andn2_b64 s[4:5], s[4:5], exec
	s_and_b64 s[8:9], s[8:9], exec
	s_or_b64 s[4:5], s[4:5], s[8:9]
	s_or_b64 exec, exec, s[6:7]
	s_and_saveexec_b64 s[6:7], s[4:5]
	s_cbranch_execnz .LBB30_207
	s_branch .LBB30_208
.LBB30_2257:
	s_movk_i32 s4, 0x80
	v_cmp_eq_u16_e32 vcc, s4, v3
	s_mov_b64 s[4:5], -1
                                        ; implicit-def: $sgpr10
	s_and_saveexec_b64 s[8:9], vcc
; %bb.2258:
	s_mov_b32 s10, 0x7f800001
	s_xor_b64 s[4:5], exec, -1
; %bb.2259:
	s_or_b64 exec, exec, s[8:9]
	s_and_b64 s[4:5], s[4:5], exec
                                        ; implicit-def: $vgpr3
	s_or_saveexec_b64 s[6:7], s[6:7]
	v_mov_b32_e32 v2, s10
	s_xor_b64 exec, exec, s[6:7]
	s_cbranch_execz .LBB30_210
.LBB30_2260:
	v_cmp_ne_u16_e32 vcc, 0, v3
	s_andn2_b64 s[4:5], s[4:5], exec
	s_and_b64 s[8:9], vcc, exec
	v_mov_b32_e32 v2, 0
	s_or_b64 s[4:5], s[4:5], s[8:9]
	s_or_b64 exec, exec, s[6:7]
	s_and_saveexec_b64 s[6:7], s[4:5]
	s_cbranch_execnz .LBB30_211
	s_branch .LBB30_212
.LBB30_2261:
	s_movk_i32 s4, 0x80
	v_cmp_eq_u16_e32 vcc, s4, v3
	s_mov_b64 s[4:5], -1
                                        ; implicit-def: $sgpr10
	s_and_saveexec_b64 s[8:9], vcc
; %bb.2262:
	s_mov_b32 s10, 0x7f800001
	s_xor_b64 s[4:5], exec, -1
; %bb.2263:
	s_or_b64 exec, exec, s[8:9]
	s_and_b64 s[4:5], s[4:5], exec
                                        ; implicit-def: $vgpr3
	s_or_saveexec_b64 s[6:7], s[6:7]
	v_mov_b32_e32 v6, s10
	s_xor_b64 exec, exec, s[6:7]
	s_cbranch_execz .LBB30_214
.LBB30_2264:
	v_cmp_ne_u16_e32 vcc, 0, v3
	s_andn2_b64 s[4:5], s[4:5], exec
	s_and_b64 s[8:9], vcc, exec
	v_mov_b32_e32 v6, 0
	s_or_b64 s[4:5], s[4:5], s[8:9]
	s_or_b64 exec, exec, s[6:7]
	s_and_saveexec_b64 s[6:7], s[4:5]
	s_cbranch_execnz .LBB30_215
	s_branch .LBB30_216
.LBB30_2265:
	s_movk_i32 s4, 0x80
	v_cmp_eq_u16_sdwa s[12:13], v8, s4 src0_sel:BYTE_3 src1_sel:DWORD
	s_mov_b64 s[4:5], -1
                                        ; implicit-def: $sgpr10
	s_and_saveexec_b64 s[8:9], s[12:13]
; %bb.2266:
	s_mov_b32 s10, 0x7f800001
	s_xor_b64 s[4:5], exec, -1
; %bb.2267:
	s_or_b64 exec, exec, s[8:9]
	s_and_b64 s[4:5], s[4:5], exec
	s_or_saveexec_b64 s[6:7], s[6:7]
	v_mov_b32_e32 v2, s10
	s_xor_b64 exec, exec, s[6:7]
	s_cbranch_execz .LBB30_218
.LBB30_2268:
	v_mov_b32_e32 v2, 0
	v_cmp_ne_u16_sdwa s[8:9], v8, v2 src0_sel:BYTE_3 src1_sel:DWORD
	s_andn2_b64 s[4:5], s[4:5], exec
	s_and_b64 s[8:9], s[8:9], exec
	s_or_b64 s[4:5], s[4:5], s[8:9]
	s_or_b64 exec, exec, s[6:7]
	s_and_saveexec_b64 s[6:7], s[4:5]
	s_cbranch_execnz .LBB30_219
	s_branch .LBB30_220
.LBB30_2269:
	s_movk_i32 s4, 0x80
	v_cmp_eq_u16_sdwa s[12:13], v4, s4 src0_sel:BYTE_3 src1_sel:DWORD
	s_mov_b64 s[4:5], -1
                                        ; implicit-def: $sgpr10
	s_and_saveexec_b64 s[8:9], s[12:13]
; %bb.2270:
	s_mov_b32 s10, 0x7f800001
	s_xor_b64 s[4:5], exec, -1
; %bb.2271:
	s_or_b64 exec, exec, s[8:9]
	s_and_b64 s[4:5], s[4:5], exec
	s_or_saveexec_b64 s[6:7], s[6:7]
	v_mov_b32_e32 v3, s10
	s_xor_b64 exec, exec, s[6:7]
	s_cbranch_execz .LBB30_222
.LBB30_2272:
	v_mov_b32_e32 v3, 0
	v_cmp_ne_u16_sdwa s[8:9], v4, v3 src0_sel:BYTE_3 src1_sel:DWORD
	s_andn2_b64 s[4:5], s[4:5], exec
	s_and_b64 s[8:9], s[8:9], exec
	s_or_b64 s[4:5], s[4:5], s[8:9]
	s_or_b64 exec, exec, s[6:7]
	s_and_saveexec_b64 s[6:7], s[4:5]
	s_cbranch_execnz .LBB30_223
	s_branch .LBB30_224
.LBB30_2273:
	s_movk_i32 s4, 0x80
	v_cmp_eq_u16_sdwa s[12:13], v9, s4 src0_sel:BYTE_0 src1_sel:DWORD
	s_mov_b64 s[4:5], -1
                                        ; implicit-def: $sgpr10
	s_and_saveexec_b64 s[8:9], s[12:13]
; %bb.2274:
	s_mov_b32 s10, 0x7f800001
	s_xor_b64 s[4:5], exec, -1
; %bb.2275:
	s_or_b64 exec, exec, s[8:9]
	s_and_b64 s[4:5], s[4:5], exec
	s_or_saveexec_b64 s[6:7], s[6:7]
	v_mov_b32_e32 v2, s10
	s_xor_b64 exec, exec, s[6:7]
	s_cbranch_execz .LBB30_226
.LBB30_2276:
	v_mov_b32_e32 v2, 0
	v_cmp_ne_u16_sdwa s[8:9], v9, v2 src0_sel:BYTE_0 src1_sel:DWORD
	s_andn2_b64 s[4:5], s[4:5], exec
	s_and_b64 s[8:9], s[8:9], exec
	s_or_b64 s[4:5], s[4:5], s[8:9]
	s_or_b64 exec, exec, s[6:7]
	s_and_saveexec_b64 s[6:7], s[4:5]
	s_cbranch_execnz .LBB30_227
	s_branch .LBB30_228
.LBB30_2277:
	s_movk_i32 s4, 0x80
	v_cmp_eq_u16_sdwa s[12:13], v5, s4 src0_sel:BYTE_0 src1_sel:DWORD
	s_mov_b64 s[4:5], -1
                                        ; implicit-def: $sgpr10
	s_and_saveexec_b64 s[8:9], s[12:13]
; %bb.2278:
	s_mov_b32 s10, 0x7f800001
	s_xor_b64 s[4:5], exec, -1
; %bb.2279:
	s_or_b64 exec, exec, s[8:9]
	s_and_b64 s[4:5], s[4:5], exec
	s_or_saveexec_b64 s[6:7], s[6:7]
	v_mov_b32_e32 v3, s10
	s_xor_b64 exec, exec, s[6:7]
	s_cbranch_execz .LBB30_230
.LBB30_2280:
	v_mov_b32_e32 v3, 0
	v_cmp_ne_u16_sdwa s[8:9], v5, v3 src0_sel:BYTE_0 src1_sel:DWORD
	s_andn2_b64 s[4:5], s[4:5], exec
	s_and_b64 s[8:9], s[8:9], exec
	s_or_b64 s[4:5], s[4:5], s[8:9]
	s_or_b64 exec, exec, s[6:7]
	s_and_saveexec_b64 s[6:7], s[4:5]
	s_cbranch_execnz .LBB30_231
	s_branch .LBB30_232
.LBB30_2281:
	s_movk_i32 s4, 0x80
	v_cmp_eq_u16_sdwa s[12:13], v3, s4 src0_sel:BYTE_0 src1_sel:DWORD
	s_mov_b64 s[4:5], -1
                                        ; implicit-def: $sgpr10
	s_and_saveexec_b64 s[8:9], s[12:13]
; %bb.2282:
	s_mov_b32 s10, 0x7f800001
	s_xor_b64 s[4:5], exec, -1
; %bb.2283:
	s_or_b64 exec, exec, s[8:9]
	s_and_b64 s[4:5], s[4:5], exec
	s_or_saveexec_b64 s[6:7], s[6:7]
	v_mov_b32_e32 v2, s10
	s_xor_b64 exec, exec, s[6:7]
	s_cbranch_execz .LBB30_234
.LBB30_2284:
	v_mov_b32_e32 v2, 0
	v_cmp_ne_u16_sdwa s[8:9], v3, v2 src0_sel:BYTE_0 src1_sel:DWORD
	s_andn2_b64 s[4:5], s[4:5], exec
	s_and_b64 s[8:9], s[8:9], exec
	s_or_b64 s[4:5], s[4:5], s[8:9]
	s_or_b64 exec, exec, s[6:7]
	s_and_saveexec_b64 s[6:7], s[4:5]
	s_cbranch_execnz .LBB30_235
	s_branch .LBB30_236
.LBB30_2285:
	s_movk_i32 s4, 0x80
	v_cmp_eq_u16_sdwa s[12:13], v3, s4 src0_sel:BYTE_0 src1_sel:DWORD
	s_mov_b64 s[4:5], -1
                                        ; implicit-def: $sgpr10
	s_and_saveexec_b64 s[8:9], s[12:13]
; %bb.2286:
	s_mov_b32 s10, 0x7f800001
	s_xor_b64 s[4:5], exec, -1
; %bb.2287:
	s_or_b64 exec, exec, s[8:9]
	s_and_b64 s[4:5], s[4:5], exec
	s_or_saveexec_b64 s[6:7], s[6:7]
	v_mov_b32_e32 v4, s10
	s_xor_b64 exec, exec, s[6:7]
	s_cbranch_execz .LBB30_238
.LBB30_2288:
	v_mov_b32_e32 v4, 0
	v_cmp_ne_u16_sdwa s[8:9], v3, v4 src0_sel:BYTE_0 src1_sel:DWORD
	s_andn2_b64 s[4:5], s[4:5], exec
	s_and_b64 s[8:9], s[8:9], exec
	s_or_b64 s[4:5], s[4:5], s[8:9]
	s_or_b64 exec, exec, s[6:7]
	s_and_saveexec_b64 s[6:7], s[4:5]
	s_cbranch_execnz .LBB30_239
	s_branch .LBB30_240
.LBB30_2289:
	s_movk_i32 s4, 0x80
	v_cmp_eq_u16_e32 vcc, s4, v3
	s_mov_b64 s[4:5], -1
                                        ; implicit-def: $sgpr10
	s_and_saveexec_b64 s[8:9], vcc
; %bb.2290:
	s_mov_b32 s10, 0x7f800001
	s_xor_b64 s[4:5], exec, -1
; %bb.2291:
	s_or_b64 exec, exec, s[8:9]
	s_and_b64 s[4:5], s[4:5], exec
                                        ; implicit-def: $vgpr3
	s_or_saveexec_b64 s[6:7], s[6:7]
	v_mov_b32_e32 v2, s10
	s_xor_b64 exec, exec, s[6:7]
	s_cbranch_execz .LBB30_242
.LBB30_2292:
	v_cmp_ne_u16_e32 vcc, 0, v3
	s_andn2_b64 s[4:5], s[4:5], exec
	s_and_b64 s[8:9], vcc, exec
	v_mov_b32_e32 v2, 0
	s_or_b64 s[4:5], s[4:5], s[8:9]
	s_or_b64 exec, exec, s[6:7]
	s_and_saveexec_b64 s[6:7], s[4:5]
	s_cbranch_execnz .LBB30_243
	s_branch .LBB30_244
.LBB30_2293:
	s_movk_i32 s4, 0x80
	v_cmp_eq_u16_e32 vcc, s4, v3
	s_mov_b64 s[4:5], -1
                                        ; implicit-def: $sgpr10
	s_and_saveexec_b64 s[8:9], vcc
; %bb.2294:
	s_mov_b32 s10, 0x7f800001
	s_xor_b64 s[4:5], exec, -1
; %bb.2295:
	s_or_b64 exec, exec, s[8:9]
	s_and_b64 s[4:5], s[4:5], exec
                                        ; implicit-def: $vgpr3
	s_or_saveexec_b64 s[6:7], s[6:7]
	v_mov_b32_e32 v4, s10
	s_xor_b64 exec, exec, s[6:7]
	s_cbranch_execz .LBB30_246
.LBB30_2296:
	v_cmp_ne_u16_e32 vcc, 0, v3
	s_andn2_b64 s[4:5], s[4:5], exec
	s_and_b64 s[8:9], vcc, exec
	v_mov_b32_e32 v4, 0
	s_or_b64 s[4:5], s[4:5], s[8:9]
	s_or_b64 exec, exec, s[6:7]
	s_and_saveexec_b64 s[6:7], s[4:5]
	s_cbranch_execnz .LBB30_247
	s_branch .LBB30_248
.LBB30_2297:
	s_movk_i32 s4, 0x80
	v_cmp_eq_u16_sdwa s[12:13], v9, s4 src0_sel:BYTE_3 src1_sel:DWORD
	s_mov_b64 s[4:5], -1
                                        ; implicit-def: $sgpr10
	s_and_saveexec_b64 s[8:9], s[12:13]
; %bb.2298:
	s_mov_b32 s10, 0x7f800001
	s_xor_b64 s[4:5], exec, -1
; %bb.2299:
	s_or_b64 exec, exec, s[8:9]
	s_and_b64 s[4:5], s[4:5], exec
	s_or_saveexec_b64 s[6:7], s[6:7]
	v_mov_b32_e32 v2, s10
	s_xor_b64 exec, exec, s[6:7]
	s_cbranch_execz .LBB30_250
.LBB30_2300:
	v_mov_b32_e32 v2, 0
	v_cmp_ne_u16_sdwa s[8:9], v9, v2 src0_sel:BYTE_3 src1_sel:DWORD
	s_andn2_b64 s[4:5], s[4:5], exec
	s_and_b64 s[8:9], s[8:9], exec
	s_or_b64 s[4:5], s[4:5], s[8:9]
	s_or_b64 exec, exec, s[6:7]
	s_and_saveexec_b64 s[6:7], s[4:5]
	s_cbranch_execnz .LBB30_251
	s_branch .LBB30_252
.LBB30_2301:
	s_movk_i32 s4, 0x80
	v_cmp_eq_u16_sdwa s[12:13], v5, s4 src0_sel:BYTE_3 src1_sel:DWORD
	s_mov_b64 s[4:5], -1
                                        ; implicit-def: $sgpr10
	s_and_saveexec_b64 s[8:9], s[12:13]
; %bb.2302:
	s_mov_b32 s10, 0x7f800001
	s_xor_b64 s[4:5], exec, -1
; %bb.2303:
	s_or_b64 exec, exec, s[8:9]
	s_and_b64 s[4:5], s[4:5], exec
	s_or_saveexec_b64 s[6:7], s[6:7]
	v_mov_b32_e32 v3, s10
	s_xor_b64 exec, exec, s[6:7]
	s_cbranch_execz .LBB30_254
.LBB30_2304:
	v_mov_b32_e32 v3, 0
	v_cmp_ne_u16_sdwa s[8:9], v5, v3 src0_sel:BYTE_3 src1_sel:DWORD
	s_andn2_b64 s[4:5], s[4:5], exec
	s_and_b64 s[8:9], s[8:9], exec
	s_or_b64 s[4:5], s[4:5], s[8:9]
	s_or_b64 exec, exec, s[6:7]
	s_and_saveexec_b64 s[6:7], s[4:5]
	s_cbranch_execnz .LBB30_255
	s_branch .LBB30_256
.LBB30_2305:
	s_movk_i32 s4, 0x80
	v_cmp_eq_u16_sdwa s[12:13], v14, s4 src0_sel:BYTE_0 src1_sel:DWORD
	s_mov_b64 s[4:5], -1
                                        ; implicit-def: $sgpr10
	s_and_saveexec_b64 s[8:9], s[12:13]
; %bb.2306:
	s_mov_b32 s10, 0x7f800001
	s_xor_b64 s[4:5], exec, -1
; %bb.2307:
	s_or_b64 exec, exec, s[8:9]
	s_and_b64 s[4:5], s[4:5], exec
	s_or_saveexec_b64 s[6:7], s[6:7]
	v_mov_b32_e32 v20, s10
	s_xor_b64 exec, exec, s[6:7]
	s_cbranch_execz .LBB30_258
.LBB30_2308:
	v_mov_b32_e32 v20, 0
	v_cmp_ne_u16_sdwa s[8:9], v14, v20 src0_sel:BYTE_0 src1_sel:DWORD
	s_andn2_b64 s[4:5], s[4:5], exec
	s_and_b64 s[8:9], s[8:9], exec
	s_or_b64 s[4:5], s[4:5], s[8:9]
	s_or_b64 exec, exec, s[6:7]
	s_and_saveexec_b64 s[6:7], s[4:5]
	s_cbranch_execnz .LBB30_259
	s_branch .LBB30_260
.LBB30_2309:
	s_movk_i32 s4, 0x80
	v_cmp_eq_u16_sdwa s[12:13], v10, s4 src0_sel:BYTE_0 src1_sel:DWORD
	s_mov_b64 s[4:5], -1
                                        ; implicit-def: $sgpr10
	s_and_saveexec_b64 s[8:9], s[12:13]
; %bb.2310:
	s_mov_b32 s10, 0x7f800001
	s_xor_b64 s[4:5], exec, -1
; %bb.2311:
	s_or_b64 exec, exec, s[8:9]
	s_and_b64 s[4:5], s[4:5], exec
	s_or_saveexec_b64 s[6:7], s[6:7]
	v_mov_b32_e32 v21, s10
	s_xor_b64 exec, exec, s[6:7]
	s_cbranch_execz .LBB30_262
.LBB30_2312:
	v_mov_b32_e32 v21, 0
	v_cmp_ne_u16_sdwa s[8:9], v10, v21 src0_sel:BYTE_0 src1_sel:DWORD
	s_andn2_b64 s[4:5], s[4:5], exec
	s_and_b64 s[8:9], s[8:9], exec
	s_or_b64 s[4:5], s[4:5], s[8:9]
	s_or_b64 exec, exec, s[6:7]
	s_and_saveexec_b64 s[6:7], s[4:5]
	s_cbranch_execnz .LBB30_263
	s_branch .LBB30_264
.LBB30_2313:
	s_movk_i32 s4, 0x80
	v_cmp_eq_u16_sdwa s[12:13], v21, s4 src0_sel:BYTE_0 src1_sel:DWORD
	s_mov_b64 s[4:5], -1
                                        ; implicit-def: $sgpr10
	s_and_saveexec_b64 s[8:9], s[12:13]
; %bb.2314:
	s_mov_b32 s10, 0x7f800001
	s_xor_b64 s[4:5], exec, -1
; %bb.2315:
	s_or_b64 exec, exec, s[8:9]
	s_and_b64 s[4:5], s[4:5], exec
	s_or_saveexec_b64 s[6:7], s[6:7]
	v_mov_b32_e32 v20, s10
	s_xor_b64 exec, exec, s[6:7]
	s_cbranch_execz .LBB30_266
.LBB30_2316:
	v_mov_b32_e32 v20, 0
	v_cmp_ne_u16_sdwa s[8:9], v21, v20 src0_sel:BYTE_0 src1_sel:DWORD
	s_andn2_b64 s[4:5], s[4:5], exec
	s_and_b64 s[8:9], s[8:9], exec
	s_or_b64 s[4:5], s[4:5], s[8:9]
	s_or_b64 exec, exec, s[6:7]
	s_and_saveexec_b64 s[6:7], s[4:5]
	s_cbranch_execnz .LBB30_267
	s_branch .LBB30_268
.LBB30_2317:
	s_movk_i32 s4, 0x80
	v_cmp_eq_u16_sdwa s[12:13], v21, s4 src0_sel:BYTE_0 src1_sel:DWORD
	s_mov_b64 s[4:5], -1
                                        ; implicit-def: $sgpr10
	s_and_saveexec_b64 s[8:9], s[12:13]
; %bb.2318:
	s_mov_b32 s10, 0x7f800001
	s_xor_b64 s[4:5], exec, -1
; %bb.2319:
	s_or_b64 exec, exec, s[8:9]
	s_and_b64 s[4:5], s[4:5], exec
	s_or_saveexec_b64 s[6:7], s[6:7]
	v_mov_b32_e32 v22, s10
	s_xor_b64 exec, exec, s[6:7]
	s_cbranch_execz .LBB30_270
.LBB30_2320:
	v_mov_b32_e32 v22, 0
	v_cmp_ne_u16_sdwa s[8:9], v21, v22 src0_sel:BYTE_0 src1_sel:DWORD
	s_andn2_b64 s[4:5], s[4:5], exec
	s_and_b64 s[8:9], s[8:9], exec
	s_or_b64 s[4:5], s[4:5], s[8:9]
	s_or_b64 exec, exec, s[6:7]
	s_and_saveexec_b64 s[6:7], s[4:5]
	s_cbranch_execnz .LBB30_271
	s_branch .LBB30_272
.LBB30_2321:
	s_movk_i32 s4, 0x80
	v_cmp_eq_u16_e32 vcc, s4, v21
	s_mov_b64 s[4:5], -1
                                        ; implicit-def: $sgpr10
	s_and_saveexec_b64 s[8:9], vcc
; %bb.2322:
	s_mov_b32 s10, 0x7f800001
	s_xor_b64 s[4:5], exec, -1
; %bb.2323:
	s_or_b64 exec, exec, s[8:9]
	s_and_b64 s[4:5], s[4:5], exec
                                        ; implicit-def: $vgpr21
	s_or_saveexec_b64 s[6:7], s[6:7]
	v_mov_b32_e32 v20, s10
	s_xor_b64 exec, exec, s[6:7]
	s_cbranch_execz .LBB30_274
.LBB30_2324:
	v_cmp_ne_u16_e32 vcc, 0, v21
	s_andn2_b64 s[4:5], s[4:5], exec
	s_and_b64 s[8:9], vcc, exec
	v_mov_b32_e32 v20, 0
	s_or_b64 s[4:5], s[4:5], s[8:9]
	s_or_b64 exec, exec, s[6:7]
	s_and_saveexec_b64 s[6:7], s[4:5]
	s_cbranch_execnz .LBB30_275
	s_branch .LBB30_276
.LBB30_2325:
	s_movk_i32 s4, 0x80
	v_cmp_eq_u16_e32 vcc, s4, v21
	s_mov_b64 s[4:5], -1
                                        ; implicit-def: $sgpr10
	s_and_saveexec_b64 s[8:9], vcc
; %bb.2326:
	s_mov_b32 s10, 0x7f800001
	s_xor_b64 s[4:5], exec, -1
; %bb.2327:
	s_or_b64 exec, exec, s[8:9]
	s_and_b64 s[4:5], s[4:5], exec
                                        ; implicit-def: $vgpr21
	s_or_saveexec_b64 s[6:7], s[6:7]
	v_mov_b32_e32 v22, s10
	s_xor_b64 exec, exec, s[6:7]
	s_cbranch_execz .LBB30_278
.LBB30_2328:
	v_cmp_ne_u16_e32 vcc, 0, v21
	s_andn2_b64 s[4:5], s[4:5], exec
	s_and_b64 s[8:9], vcc, exec
	v_mov_b32_e32 v22, 0
	s_or_b64 s[4:5], s[4:5], s[8:9]
	s_or_b64 exec, exec, s[6:7]
	s_and_saveexec_b64 s[6:7], s[4:5]
	s_cbranch_execnz .LBB30_279
	s_branch .LBB30_280
.LBB30_2329:
	s_movk_i32 s4, 0x80
	v_cmp_eq_u16_sdwa s[12:13], v14, s4 src0_sel:BYTE_3 src1_sel:DWORD
	s_mov_b64 s[4:5], -1
                                        ; implicit-def: $sgpr10
	s_and_saveexec_b64 s[8:9], s[12:13]
; %bb.2330:
	s_mov_b32 s10, 0x7f800001
	s_xor_b64 s[4:5], exec, -1
; %bb.2331:
	s_or_b64 exec, exec, s[8:9]
	s_and_b64 s[4:5], s[4:5], exec
	s_or_saveexec_b64 s[6:7], s[6:7]
	v_mov_b32_e32 v20, s10
	s_xor_b64 exec, exec, s[6:7]
	s_cbranch_execz .LBB30_282
.LBB30_2332:
	v_mov_b32_e32 v20, 0
	v_cmp_ne_u16_sdwa s[8:9], v14, v20 src0_sel:BYTE_3 src1_sel:DWORD
	s_andn2_b64 s[4:5], s[4:5], exec
	s_and_b64 s[8:9], s[8:9], exec
	s_or_b64 s[4:5], s[4:5], s[8:9]
	s_or_b64 exec, exec, s[6:7]
	s_and_saveexec_b64 s[6:7], s[4:5]
	s_cbranch_execnz .LBB30_283
	s_branch .LBB30_284
.LBB30_2333:
	s_movk_i32 s4, 0x80
	v_cmp_eq_u16_sdwa s[12:13], v10, s4 src0_sel:BYTE_3 src1_sel:DWORD
	s_mov_b64 s[4:5], -1
                                        ; implicit-def: $sgpr10
	s_and_saveexec_b64 s[8:9], s[12:13]
; %bb.2334:
	s_mov_b32 s10, 0x7f800001
	s_xor_b64 s[4:5], exec, -1
; %bb.2335:
	s_or_b64 exec, exec, s[8:9]
	s_and_b64 s[4:5], s[4:5], exec
	s_or_saveexec_b64 s[6:7], s[6:7]
	v_mov_b32_e32 v14, s10
	s_xor_b64 exec, exec, s[6:7]
	s_cbranch_execz .LBB30_286
.LBB30_2336:
	v_mov_b32_e32 v14, 0
	v_cmp_ne_u16_sdwa s[8:9], v10, v14 src0_sel:BYTE_3 src1_sel:DWORD
	s_andn2_b64 s[4:5], s[4:5], exec
	s_and_b64 s[8:9], s[8:9], exec
	s_or_b64 s[4:5], s[4:5], s[8:9]
	s_or_b64 exec, exec, s[6:7]
	s_and_saveexec_b64 s[6:7], s[4:5]
	s_cbranch_execnz .LBB30_287
	s_branch .LBB30_288
.LBB30_2337:
	s_movk_i32 s4, 0x80
	v_cmp_eq_u16_sdwa s[12:13], v15, s4 src0_sel:BYTE_0 src1_sel:DWORD
	s_mov_b64 s[4:5], -1
                                        ; implicit-def: $sgpr10
	s_and_saveexec_b64 s[8:9], s[12:13]
; %bb.2338:
	s_mov_b32 s10, 0x7f800001
	s_xor_b64 s[4:5], exec, -1
; %bb.2339:
	s_or_b64 exec, exec, s[8:9]
	s_and_b64 s[4:5], s[4:5], exec
	s_or_saveexec_b64 s[6:7], s[6:7]
	v_mov_b32_e32 v10, s10
	s_xor_b64 exec, exec, s[6:7]
	s_cbranch_execz .LBB30_290
.LBB30_2340:
	v_mov_b32_e32 v10, 0
	v_cmp_ne_u16_sdwa s[8:9], v15, v10 src0_sel:BYTE_0 src1_sel:DWORD
	s_andn2_b64 s[4:5], s[4:5], exec
	s_and_b64 s[8:9], s[8:9], exec
	s_or_b64 s[4:5], s[4:5], s[8:9]
	s_or_b64 exec, exec, s[6:7]
	s_and_saveexec_b64 s[6:7], s[4:5]
	s_cbranch_execnz .LBB30_291
	s_branch .LBB30_292
.LBB30_2341:
	s_movk_i32 s4, 0x80
	v_cmp_eq_u16_sdwa s[12:13], v11, s4 src0_sel:BYTE_0 src1_sel:DWORD
	s_mov_b64 s[4:5], -1
                                        ; implicit-def: $sgpr10
	s_and_saveexec_b64 s[8:9], s[12:13]
; %bb.2342:
	s_mov_b32 s10, 0x7f800001
	s_xor_b64 s[4:5], exec, -1
; %bb.2343:
	s_or_b64 exec, exec, s[8:9]
	s_and_b64 s[4:5], s[4:5], exec
	s_or_saveexec_b64 s[6:7], s[6:7]
	v_mov_b32_e32 v14, s10
	s_xor_b64 exec, exec, s[6:7]
	s_cbranch_execz .LBB30_294
.LBB30_2344:
	v_mov_b32_e32 v14, 0
	v_cmp_ne_u16_sdwa s[8:9], v11, v14 src0_sel:BYTE_0 src1_sel:DWORD
	s_andn2_b64 s[4:5], s[4:5], exec
	s_and_b64 s[8:9], s[8:9], exec
	s_or_b64 s[4:5], s[4:5], s[8:9]
	s_or_b64 exec, exec, s[6:7]
	s_and_saveexec_b64 s[6:7], s[4:5]
	s_cbranch_execnz .LBB30_295
	s_branch .LBB30_296
.LBB30_2345:
	s_movk_i32 s4, 0x80
	v_cmp_eq_u16_sdwa s[12:13], v14, s4 src0_sel:BYTE_0 src1_sel:DWORD
	s_mov_b64 s[4:5], -1
                                        ; implicit-def: $sgpr10
	s_and_saveexec_b64 s[8:9], s[12:13]
; %bb.2346:
	s_mov_b32 s10, 0x7f800001
	s_xor_b64 s[4:5], exec, -1
; %bb.2347:
	s_or_b64 exec, exec, s[8:9]
	s_and_b64 s[4:5], s[4:5], exec
	s_or_saveexec_b64 s[6:7], s[6:7]
	v_mov_b32_e32 v10, s10
	s_xor_b64 exec, exec, s[6:7]
	s_cbranch_execz .LBB30_298
.LBB30_2348:
	v_mov_b32_e32 v10, 0
	v_cmp_ne_u16_sdwa s[8:9], v14, v10 src0_sel:BYTE_0 src1_sel:DWORD
	s_andn2_b64 s[4:5], s[4:5], exec
	s_and_b64 s[8:9], s[8:9], exec
	s_or_b64 s[4:5], s[4:5], s[8:9]
	s_or_b64 exec, exec, s[6:7]
	s_and_saveexec_b64 s[6:7], s[4:5]
	s_cbranch_execnz .LBB30_299
	s_branch .LBB30_300
.LBB30_2349:
	s_movk_i32 s4, 0x80
	v_cmp_eq_u16_sdwa s[12:13], v14, s4 src0_sel:BYTE_0 src1_sel:DWORD
	s_mov_b64 s[4:5], -1
                                        ; implicit-def: $sgpr10
	s_and_saveexec_b64 s[8:9], s[12:13]
; %bb.2350:
	s_mov_b32 s10, 0x7f800001
	s_xor_b64 s[4:5], exec, -1
; %bb.2351:
	s_or_b64 exec, exec, s[8:9]
	s_and_b64 s[4:5], s[4:5], exec
	s_or_saveexec_b64 s[6:7], s[6:7]
	v_mov_b32_e32 v20, s10
	s_xor_b64 exec, exec, s[6:7]
	s_cbranch_execz .LBB30_302
.LBB30_2352:
	v_mov_b32_e32 v20, 0
	v_cmp_ne_u16_sdwa s[8:9], v14, v20 src0_sel:BYTE_0 src1_sel:DWORD
	s_andn2_b64 s[4:5], s[4:5], exec
	s_and_b64 s[8:9], s[8:9], exec
	s_or_b64 s[4:5], s[4:5], s[8:9]
	s_or_b64 exec, exec, s[6:7]
	s_and_saveexec_b64 s[6:7], s[4:5]
	s_cbranch_execnz .LBB30_303
	s_branch .LBB30_304
.LBB30_2353:
	s_movk_i32 s4, 0x80
	v_cmp_eq_u16_e32 vcc, s4, v14
	s_mov_b64 s[4:5], -1
                                        ; implicit-def: $sgpr10
	s_and_saveexec_b64 s[8:9], vcc
; %bb.2354:
	s_mov_b32 s10, 0x7f800001
	s_xor_b64 s[4:5], exec, -1
; %bb.2355:
	s_or_b64 exec, exec, s[8:9]
	s_and_b64 s[4:5], s[4:5], exec
                                        ; implicit-def: $vgpr14
	s_or_saveexec_b64 s[6:7], s[6:7]
	v_mov_b32_e32 v10, s10
	s_xor_b64 exec, exec, s[6:7]
	s_cbranch_execz .LBB30_306
.LBB30_2356:
	v_cmp_ne_u16_e32 vcc, 0, v14
	s_andn2_b64 s[4:5], s[4:5], exec
	s_and_b64 s[8:9], vcc, exec
	v_mov_b32_e32 v10, 0
	s_or_b64 s[4:5], s[4:5], s[8:9]
	s_or_b64 exec, exec, s[6:7]
	s_and_saveexec_b64 s[6:7], s[4:5]
	s_cbranch_execnz .LBB30_307
	s_branch .LBB30_308
.LBB30_2357:
	s_movk_i32 s4, 0x80
	v_cmp_eq_u16_e32 vcc, s4, v14
	s_mov_b64 s[4:5], -1
                                        ; implicit-def: $sgpr10
	s_and_saveexec_b64 s[8:9], vcc
; %bb.2358:
	s_mov_b32 s10, 0x7f800001
	s_xor_b64 s[4:5], exec, -1
; %bb.2359:
	s_or_b64 exec, exec, s[8:9]
	s_and_b64 s[4:5], s[4:5], exec
                                        ; implicit-def: $vgpr14
	s_or_saveexec_b64 s[6:7], s[6:7]
	v_mov_b32_e32 v20, s10
	s_xor_b64 exec, exec, s[6:7]
	s_cbranch_execz .LBB30_310
.LBB30_2360:
	v_cmp_ne_u16_e32 vcc, 0, v14
	s_andn2_b64 s[4:5], s[4:5], exec
	s_and_b64 s[8:9], vcc, exec
	v_mov_b32_e32 v20, 0
	s_or_b64 s[4:5], s[4:5], s[8:9]
	s_or_b64 exec, exec, s[6:7]
	s_and_saveexec_b64 s[6:7], s[4:5]
	s_cbranch_execnz .LBB30_311
	s_branch .LBB30_312
.LBB30_2361:
	s_movk_i32 s4, 0x80
	v_cmp_eq_u16_sdwa s[12:13], v15, s4 src0_sel:BYTE_3 src1_sel:DWORD
	s_mov_b64 s[4:5], -1
                                        ; implicit-def: $sgpr10
	s_and_saveexec_b64 s[8:9], s[12:13]
; %bb.2362:
	s_mov_b32 s10, 0x7f800001
	s_xor_b64 s[4:5], exec, -1
; %bb.2363:
	s_or_b64 exec, exec, s[8:9]
	s_and_b64 s[4:5], s[4:5], exec
	s_or_saveexec_b64 s[6:7], s[6:7]
	v_mov_b32_e32 v10, s10
	s_xor_b64 exec, exec, s[6:7]
	s_cbranch_execz .LBB30_314
.LBB30_2364:
	v_mov_b32_e32 v10, 0
	v_cmp_ne_u16_sdwa s[8:9], v15, v10 src0_sel:BYTE_3 src1_sel:DWORD
	s_andn2_b64 s[4:5], s[4:5], exec
	s_and_b64 s[8:9], s[8:9], exec
	s_or_b64 s[4:5], s[4:5], s[8:9]
	s_or_b64 exec, exec, s[6:7]
	s_and_saveexec_b64 s[6:7], s[4:5]
	s_cbranch_execnz .LBB30_315
	s_branch .LBB30_316
.LBB30_2365:
	s_movk_i32 s4, 0x80
	v_cmp_eq_u16_sdwa s[12:13], v11, s4 src0_sel:BYTE_3 src1_sel:DWORD
	s_mov_b64 s[4:5], -1
                                        ; implicit-def: $sgpr10
	s_and_saveexec_b64 s[8:9], s[12:13]
; %bb.2366:
	s_mov_b32 s10, 0x7f800001
	s_xor_b64 s[4:5], exec, -1
; %bb.2367:
	s_or_b64 exec, exec, s[8:9]
	s_and_b64 s[4:5], s[4:5], exec
	s_or_saveexec_b64 s[6:7], s[6:7]
	v_mov_b32_e32 v14, s10
	s_xor_b64 exec, exec, s[6:7]
	s_cbranch_execz .LBB30_318
.LBB30_2368:
	v_mov_b32_e32 v14, 0
	v_cmp_ne_u16_sdwa s[8:9], v11, v14 src0_sel:BYTE_3 src1_sel:DWORD
	s_andn2_b64 s[4:5], s[4:5], exec
	s_and_b64 s[8:9], s[8:9], exec
	s_or_b64 s[4:5], s[4:5], s[8:9]
	s_or_b64 exec, exec, s[6:7]
	s_and_saveexec_b64 s[6:7], s[4:5]
	s_cbranch_execnz .LBB30_319
	s_branch .LBB30_320
.LBB30_2369:
	s_movk_i32 s4, 0x80
	v_cmp_eq_u16_sdwa s[12:13], v16, s4 src0_sel:BYTE_0 src1_sel:DWORD
	s_mov_b64 s[4:5], -1
                                        ; implicit-def: $sgpr10
	s_and_saveexec_b64 s[8:9], s[12:13]
; %bb.2370:
	s_mov_b32 s10, 0x7f800001
	s_xor_b64 s[4:5], exec, -1
; %bb.2371:
	s_or_b64 exec, exec, s[8:9]
	s_and_b64 s[4:5], s[4:5], exec
	s_or_saveexec_b64 s[6:7], s[6:7]
	v_mov_b32_e32 v10, s10
	s_xor_b64 exec, exec, s[6:7]
	s_cbranch_execz .LBB30_322
.LBB30_2372:
	v_mov_b32_e32 v10, 0
	v_cmp_ne_u16_sdwa s[8:9], v16, v10 src0_sel:BYTE_0 src1_sel:DWORD
	s_andn2_b64 s[4:5], s[4:5], exec
	s_and_b64 s[8:9], s[8:9], exec
	s_or_b64 s[4:5], s[4:5], s[8:9]
	s_or_b64 exec, exec, s[6:7]
	s_and_saveexec_b64 s[6:7], s[4:5]
	s_cbranch_execnz .LBB30_323
	s_branch .LBB30_324
.LBB30_2373:
	s_movk_i32 s4, 0x80
	v_cmp_eq_u16_sdwa s[12:13], v12, s4 src0_sel:BYTE_0 src1_sel:DWORD
	s_mov_b64 s[4:5], -1
                                        ; implicit-def: $sgpr10
	s_and_saveexec_b64 s[8:9], s[12:13]
; %bb.2374:
	s_mov_b32 s10, 0x7f800001
	s_xor_b64 s[4:5], exec, -1
; %bb.2375:
	s_or_b64 exec, exec, s[8:9]
	s_and_b64 s[4:5], s[4:5], exec
	s_or_saveexec_b64 s[6:7], s[6:7]
	v_mov_b32_e32 v11, s10
	s_xor_b64 exec, exec, s[6:7]
	s_cbranch_execz .LBB30_326
.LBB30_2376:
	v_mov_b32_e32 v11, 0
	v_cmp_ne_u16_sdwa s[8:9], v12, v11 src0_sel:BYTE_0 src1_sel:DWORD
	s_andn2_b64 s[4:5], s[4:5], exec
	s_and_b64 s[8:9], s[8:9], exec
	s_or_b64 s[4:5], s[4:5], s[8:9]
	s_or_b64 exec, exec, s[6:7]
	s_and_saveexec_b64 s[6:7], s[4:5]
	s_cbranch_execnz .LBB30_327
	s_branch .LBB30_328
.LBB30_2377:
	s_movk_i32 s4, 0x80
	v_cmp_eq_u16_sdwa s[12:13], v11, s4 src0_sel:BYTE_0 src1_sel:DWORD
	s_mov_b64 s[4:5], -1
                                        ; implicit-def: $sgpr10
	s_and_saveexec_b64 s[8:9], s[12:13]
; %bb.2378:
	s_mov_b32 s10, 0x7f800001
	s_xor_b64 s[4:5], exec, -1
; %bb.2379:
	s_or_b64 exec, exec, s[8:9]
	s_and_b64 s[4:5], s[4:5], exec
	s_or_saveexec_b64 s[6:7], s[6:7]
	v_mov_b32_e32 v10, s10
	s_xor_b64 exec, exec, s[6:7]
	s_cbranch_execz .LBB30_330
.LBB30_2380:
	v_mov_b32_e32 v10, 0
	v_cmp_ne_u16_sdwa s[8:9], v11, v10 src0_sel:BYTE_0 src1_sel:DWORD
	s_andn2_b64 s[4:5], s[4:5], exec
	s_and_b64 s[8:9], s[8:9], exec
	s_or_b64 s[4:5], s[4:5], s[8:9]
	s_or_b64 exec, exec, s[6:7]
	s_and_saveexec_b64 s[6:7], s[4:5]
	s_cbranch_execnz .LBB30_331
	s_branch .LBB30_332
.LBB30_2381:
	s_movk_i32 s4, 0x80
	v_cmp_eq_u16_sdwa s[12:13], v11, s4 src0_sel:BYTE_0 src1_sel:DWORD
	s_mov_b64 s[4:5], -1
                                        ; implicit-def: $sgpr10
	s_and_saveexec_b64 s[8:9], s[12:13]
; %bb.2382:
	s_mov_b32 s10, 0x7f800001
	s_xor_b64 s[4:5], exec, -1
; %bb.2383:
	s_or_b64 exec, exec, s[8:9]
	s_and_b64 s[4:5], s[4:5], exec
	s_or_saveexec_b64 s[6:7], s[6:7]
	v_mov_b32_e32 v14, s10
	s_xor_b64 exec, exec, s[6:7]
	s_cbranch_execz .LBB30_334
.LBB30_2384:
	v_mov_b32_e32 v14, 0
	v_cmp_ne_u16_sdwa s[8:9], v11, v14 src0_sel:BYTE_0 src1_sel:DWORD
	s_andn2_b64 s[4:5], s[4:5], exec
	s_and_b64 s[8:9], s[8:9], exec
	s_or_b64 s[4:5], s[4:5], s[8:9]
	s_or_b64 exec, exec, s[6:7]
	s_and_saveexec_b64 s[6:7], s[4:5]
	s_cbranch_execnz .LBB30_335
	s_branch .LBB30_336
.LBB30_2385:
	s_movk_i32 s4, 0x80
	v_cmp_eq_u16_e32 vcc, s4, v11
	s_mov_b64 s[4:5], -1
                                        ; implicit-def: $sgpr10
	s_and_saveexec_b64 s[8:9], vcc
; %bb.2386:
	s_mov_b32 s10, 0x7f800001
	s_xor_b64 s[4:5], exec, -1
; %bb.2387:
	s_or_b64 exec, exec, s[8:9]
	s_and_b64 s[4:5], s[4:5], exec
                                        ; implicit-def: $vgpr11
	s_or_saveexec_b64 s[6:7], s[6:7]
	v_mov_b32_e32 v10, s10
	s_xor_b64 exec, exec, s[6:7]
	s_cbranch_execz .LBB30_338
.LBB30_2388:
	v_cmp_ne_u16_e32 vcc, 0, v11
	s_andn2_b64 s[4:5], s[4:5], exec
	s_and_b64 s[8:9], vcc, exec
	v_mov_b32_e32 v10, 0
	s_or_b64 s[4:5], s[4:5], s[8:9]
	s_or_b64 exec, exec, s[6:7]
	s_and_saveexec_b64 s[6:7], s[4:5]
	s_cbranch_execnz .LBB30_339
	s_branch .LBB30_340
.LBB30_2389:
	s_movk_i32 s4, 0x80
	v_cmp_eq_u16_e32 vcc, s4, v11
	s_mov_b64 s[4:5], -1
                                        ; implicit-def: $sgpr10
	s_and_saveexec_b64 s[8:9], vcc
; %bb.2390:
	s_mov_b32 s10, 0x7f800001
	s_xor_b64 s[4:5], exec, -1
; %bb.2391:
	s_or_b64 exec, exec, s[8:9]
	s_and_b64 s[4:5], s[4:5], exec
                                        ; implicit-def: $vgpr11
	s_or_saveexec_b64 s[6:7], s[6:7]
	v_mov_b32_e32 v14, s10
	s_xor_b64 exec, exec, s[6:7]
	s_cbranch_execz .LBB30_342
.LBB30_2392:
	v_cmp_ne_u16_e32 vcc, 0, v11
	s_andn2_b64 s[4:5], s[4:5], exec
	s_and_b64 s[8:9], vcc, exec
	v_mov_b32_e32 v14, 0
	s_or_b64 s[4:5], s[4:5], s[8:9]
	s_or_b64 exec, exec, s[6:7]
	s_and_saveexec_b64 s[6:7], s[4:5]
	s_cbranch_execnz .LBB30_343
	s_branch .LBB30_344
.LBB30_2393:
	s_movk_i32 s4, 0x80
	v_cmp_eq_u16_sdwa s[12:13], v16, s4 src0_sel:BYTE_3 src1_sel:DWORD
	s_mov_b64 s[4:5], -1
                                        ; implicit-def: $sgpr10
	s_and_saveexec_b64 s[8:9], s[12:13]
; %bb.2394:
	s_mov_b32 s10, 0x7f800001
	s_xor_b64 s[4:5], exec, -1
; %bb.2395:
	s_or_b64 exec, exec, s[8:9]
	s_and_b64 s[4:5], s[4:5], exec
	s_or_saveexec_b64 s[6:7], s[6:7]
	v_mov_b32_e32 v10, s10
	s_xor_b64 exec, exec, s[6:7]
	s_cbranch_execz .LBB30_346
.LBB30_2396:
	v_mov_b32_e32 v10, 0
	v_cmp_ne_u16_sdwa s[8:9], v16, v10 src0_sel:BYTE_3 src1_sel:DWORD
	s_andn2_b64 s[4:5], s[4:5], exec
	s_and_b64 s[8:9], s[8:9], exec
	s_or_b64 s[4:5], s[4:5], s[8:9]
	s_or_b64 exec, exec, s[6:7]
	s_and_saveexec_b64 s[6:7], s[4:5]
	s_cbranch_execnz .LBB30_347
	s_branch .LBB30_348
.LBB30_2397:
	s_movk_i32 s4, 0x80
	v_cmp_eq_u16_sdwa s[12:13], v12, s4 src0_sel:BYTE_3 src1_sel:DWORD
	s_mov_b64 s[4:5], -1
                                        ; implicit-def: $sgpr10
	s_and_saveexec_b64 s[8:9], s[12:13]
; %bb.2398:
	s_mov_b32 s10, 0x7f800001
	s_xor_b64 s[4:5], exec, -1
; %bb.2399:
	s_or_b64 exec, exec, s[8:9]
	s_and_b64 s[4:5], s[4:5], exec
	s_or_saveexec_b64 s[6:7], s[6:7]
	v_mov_b32_e32 v11, s10
	s_xor_b64 exec, exec, s[6:7]
	s_cbranch_execz .LBB30_350
.LBB30_2400:
	v_mov_b32_e32 v11, 0
	v_cmp_ne_u16_sdwa s[8:9], v12, v11 src0_sel:BYTE_3 src1_sel:DWORD
	s_andn2_b64 s[4:5], s[4:5], exec
	s_and_b64 s[8:9], s[8:9], exec
	s_or_b64 s[4:5], s[4:5], s[8:9]
	s_or_b64 exec, exec, s[6:7]
	s_and_saveexec_b64 s[6:7], s[4:5]
	s_cbranch_execnz .LBB30_351
	s_branch .LBB30_352
.LBB30_2401:
	s_movk_i32 s4, 0x80
	v_cmp_eq_u16_sdwa s[12:13], v17, s4 src0_sel:BYTE_0 src1_sel:DWORD
	s_mov_b64 s[4:5], -1
                                        ; implicit-def: $sgpr10
	s_and_saveexec_b64 s[8:9], s[12:13]
; %bb.2402:
	s_mov_b32 s10, 0x7f800001
	s_xor_b64 s[4:5], exec, -1
; %bb.2403:
	s_or_b64 exec, exec, s[8:9]
	s_and_b64 s[4:5], s[4:5], exec
	s_or_saveexec_b64 s[6:7], s[6:7]
	v_mov_b32_e32 v10, s10
	s_xor_b64 exec, exec, s[6:7]
	s_cbranch_execz .LBB30_354
.LBB30_2404:
	v_mov_b32_e32 v10, 0
	v_cmp_ne_u16_sdwa s[8:9], v17, v10 src0_sel:BYTE_0 src1_sel:DWORD
	s_andn2_b64 s[4:5], s[4:5], exec
	s_and_b64 s[8:9], s[8:9], exec
	s_or_b64 s[4:5], s[4:5], s[8:9]
	s_or_b64 exec, exec, s[6:7]
	s_and_saveexec_b64 s[6:7], s[4:5]
	s_cbranch_execnz .LBB30_355
	s_branch .LBB30_356
.LBB30_2405:
	s_movk_i32 s4, 0x80
	v_cmp_eq_u16_sdwa s[12:13], v13, s4 src0_sel:BYTE_0 src1_sel:DWORD
	s_mov_b64 s[4:5], -1
                                        ; implicit-def: $sgpr10
	s_and_saveexec_b64 s[8:9], s[12:13]
; %bb.2406:
	s_mov_b32 s10, 0x7f800001
	s_xor_b64 s[4:5], exec, -1
; %bb.2407:
	s_or_b64 exec, exec, s[8:9]
	s_and_b64 s[4:5], s[4:5], exec
	s_or_saveexec_b64 s[6:7], s[6:7]
	v_mov_b32_e32 v11, s10
	s_xor_b64 exec, exec, s[6:7]
	s_cbranch_execz .LBB30_358
.LBB30_2408:
	v_mov_b32_e32 v11, 0
	v_cmp_ne_u16_sdwa s[8:9], v13, v11 src0_sel:BYTE_0 src1_sel:DWORD
	s_andn2_b64 s[4:5], s[4:5], exec
	s_and_b64 s[8:9], s[8:9], exec
	s_or_b64 s[4:5], s[4:5], s[8:9]
	s_or_b64 exec, exec, s[6:7]
	s_and_saveexec_b64 s[6:7], s[4:5]
	s_cbranch_execnz .LBB30_359
	s_branch .LBB30_360
.LBB30_2409:
	s_movk_i32 s4, 0x80
	v_cmp_eq_u16_sdwa s[12:13], v11, s4 src0_sel:BYTE_0 src1_sel:DWORD
	s_mov_b64 s[4:5], -1
                                        ; implicit-def: $sgpr10
	s_and_saveexec_b64 s[8:9], s[12:13]
; %bb.2410:
	s_mov_b32 s10, 0x7f800001
	s_xor_b64 s[4:5], exec, -1
; %bb.2411:
	s_or_b64 exec, exec, s[8:9]
	s_and_b64 s[4:5], s[4:5], exec
	s_or_saveexec_b64 s[6:7], s[6:7]
	v_mov_b32_e32 v10, s10
	s_xor_b64 exec, exec, s[6:7]
	s_cbranch_execz .LBB30_362
.LBB30_2412:
	v_mov_b32_e32 v10, 0
	v_cmp_ne_u16_sdwa s[8:9], v11, v10 src0_sel:BYTE_0 src1_sel:DWORD
	s_andn2_b64 s[4:5], s[4:5], exec
	s_and_b64 s[8:9], s[8:9], exec
	s_or_b64 s[4:5], s[4:5], s[8:9]
	s_or_b64 exec, exec, s[6:7]
	s_and_saveexec_b64 s[6:7], s[4:5]
	s_cbranch_execnz .LBB30_363
	s_branch .LBB30_364
.LBB30_2413:
	s_movk_i32 s4, 0x80
	v_cmp_eq_u16_sdwa s[12:13], v11, s4 src0_sel:BYTE_0 src1_sel:DWORD
	s_mov_b64 s[4:5], -1
                                        ; implicit-def: $sgpr10
	s_and_saveexec_b64 s[8:9], s[12:13]
; %bb.2414:
	s_mov_b32 s10, 0x7f800001
	s_xor_b64 s[4:5], exec, -1
; %bb.2415:
	s_or_b64 exec, exec, s[8:9]
	s_and_b64 s[4:5], s[4:5], exec
	s_or_saveexec_b64 s[6:7], s[6:7]
	v_mov_b32_e32 v12, s10
	s_xor_b64 exec, exec, s[6:7]
	s_cbranch_execz .LBB30_366
.LBB30_2416:
	v_mov_b32_e32 v12, 0
	v_cmp_ne_u16_sdwa s[8:9], v11, v12 src0_sel:BYTE_0 src1_sel:DWORD
	s_andn2_b64 s[4:5], s[4:5], exec
	s_and_b64 s[8:9], s[8:9], exec
	s_or_b64 s[4:5], s[4:5], s[8:9]
	s_or_b64 exec, exec, s[6:7]
	s_and_saveexec_b64 s[6:7], s[4:5]
	s_cbranch_execnz .LBB30_367
	s_branch .LBB30_368
.LBB30_2417:
	s_movk_i32 s4, 0x80
	v_cmp_eq_u16_e32 vcc, s4, v11
	s_mov_b64 s[4:5], -1
                                        ; implicit-def: $sgpr10
	s_and_saveexec_b64 s[8:9], vcc
; %bb.2418:
	s_mov_b32 s10, 0x7f800001
	s_xor_b64 s[4:5], exec, -1
; %bb.2419:
	s_or_b64 exec, exec, s[8:9]
	s_and_b64 s[4:5], s[4:5], exec
                                        ; implicit-def: $vgpr11
	s_or_saveexec_b64 s[6:7], s[6:7]
	v_mov_b32_e32 v10, s10
	s_xor_b64 exec, exec, s[6:7]
	s_cbranch_execz .LBB30_370
.LBB30_2420:
	v_cmp_ne_u16_e32 vcc, 0, v11
	s_andn2_b64 s[4:5], s[4:5], exec
	s_and_b64 s[8:9], vcc, exec
	v_mov_b32_e32 v10, 0
	s_or_b64 s[4:5], s[4:5], s[8:9]
	s_or_b64 exec, exec, s[6:7]
	s_and_saveexec_b64 s[6:7], s[4:5]
	s_cbranch_execnz .LBB30_371
	s_branch .LBB30_372
.LBB30_2421:
	s_movk_i32 s4, 0x80
	v_cmp_eq_u16_e32 vcc, s4, v11
	s_mov_b64 s[4:5], -1
                                        ; implicit-def: $sgpr10
	s_and_saveexec_b64 s[8:9], vcc
; %bb.2422:
	s_mov_b32 s10, 0x7f800001
	s_xor_b64 s[4:5], exec, -1
; %bb.2423:
	s_or_b64 exec, exec, s[8:9]
	s_and_b64 s[4:5], s[4:5], exec
                                        ; implicit-def: $vgpr11
	s_or_saveexec_b64 s[6:7], s[6:7]
	v_mov_b32_e32 v12, s10
	s_xor_b64 exec, exec, s[6:7]
	s_cbranch_execz .LBB30_374
.LBB30_2424:
	v_cmp_ne_u16_e32 vcc, 0, v11
	s_andn2_b64 s[4:5], s[4:5], exec
	s_and_b64 s[8:9], vcc, exec
	v_mov_b32_e32 v12, 0
	s_or_b64 s[4:5], s[4:5], s[8:9]
	s_or_b64 exec, exec, s[6:7]
	s_and_saveexec_b64 s[6:7], s[4:5]
	s_cbranch_execnz .LBB30_375
	s_branch .LBB30_376
.LBB30_2425:
	s_movk_i32 s4, 0x80
	v_cmp_eq_u16_sdwa s[12:13], v17, s4 src0_sel:BYTE_3 src1_sel:DWORD
	s_mov_b64 s[4:5], -1
                                        ; implicit-def: $sgpr10
	s_and_saveexec_b64 s[8:9], s[12:13]
; %bb.2426:
	s_mov_b32 s10, 0x7f800001
	s_xor_b64 s[4:5], exec, -1
; %bb.2427:
	s_or_b64 exec, exec, s[8:9]
	s_and_b64 s[4:5], s[4:5], exec
	s_or_saveexec_b64 s[6:7], s[6:7]
	v_mov_b32_e32 v10, s10
	s_xor_b64 exec, exec, s[6:7]
	s_cbranch_execz .LBB30_378
.LBB30_2428:
	v_mov_b32_e32 v10, 0
	v_cmp_ne_u16_sdwa s[8:9], v17, v10 src0_sel:BYTE_3 src1_sel:DWORD
	s_andn2_b64 s[4:5], s[4:5], exec
	s_and_b64 s[8:9], s[8:9], exec
	s_or_b64 s[4:5], s[4:5], s[8:9]
	s_or_b64 exec, exec, s[6:7]
	s_and_saveexec_b64 s[6:7], s[4:5]
	s_cbranch_execnz .LBB30_379
	s_branch .LBB30_380
.LBB30_2429:
	s_movk_i32 s4, 0x80
	v_cmp_eq_u16_sdwa s[12:13], v13, s4 src0_sel:BYTE_3 src1_sel:DWORD
	s_mov_b64 s[4:5], -1
                                        ; implicit-def: $sgpr10
	s_and_saveexec_b64 s[8:9], s[12:13]
; %bb.2430:
	s_mov_b32 s10, 0x7f800001
	s_xor_b64 s[4:5], exec, -1
; %bb.2431:
	s_or_b64 exec, exec, s[8:9]
	s_and_b64 s[4:5], s[4:5], exec
	s_or_saveexec_b64 s[6:7], s[6:7]
	v_mov_b32_e32 v11, s10
	s_xor_b64 exec, exec, s[6:7]
	s_cbranch_execz .LBB30_382
.LBB30_2432:
	v_mov_b32_e32 v11, 0
	v_cmp_ne_u16_sdwa s[8:9], v13, v11 src0_sel:BYTE_3 src1_sel:DWORD
	s_andn2_b64 s[4:5], s[4:5], exec
	s_and_b64 s[8:9], s[8:9], exec
	s_or_b64 s[4:5], s[4:5], s[8:9]
	s_or_b64 exec, exec, s[6:7]
	s_and_saveexec_b64 s[6:7], s[4:5]
	s_cbranch_execnz .LBB30_383
	s_branch .LBB30_384
.LBB30_2433:
	s_movk_i32 s4, 0x80
	v_cmp_eq_u16_sdwa s[12:13], v6, s4 src0_sel:BYTE_0 src1_sel:DWORD
	s_mov_b64 s[4:5], -1
                                        ; implicit-def: $sgpr10
	s_and_saveexec_b64 s[8:9], s[12:13]
; %bb.2434:
	s_mov_b32 s10, 0x7f800001
	s_xor_b64 s[4:5], exec, -1
; %bb.2435:
	s_or_b64 exec, exec, s[8:9]
	s_and_b64 s[4:5], s[4:5], exec
	s_or_saveexec_b64 s[6:7], s[6:7]
	v_mov_b32_e32 v10, s10
	s_xor_b64 exec, exec, s[6:7]
	s_cbranch_execz .LBB30_386
.LBB30_2436:
	v_mov_b32_e32 v10, 0
	v_cmp_ne_u16_sdwa s[8:9], v6, v10 src0_sel:BYTE_0 src1_sel:DWORD
	s_andn2_b64 s[4:5], s[4:5], exec
	s_and_b64 s[8:9], s[8:9], exec
	s_or_b64 s[4:5], s[4:5], s[8:9]
	s_or_b64 exec, exec, s[6:7]
	s_and_saveexec_b64 s[6:7], s[4:5]
	s_cbranch_execnz .LBB30_387
	s_branch .LBB30_388
.LBB30_2437:
	s_movk_i32 s4, 0x80
	v_cmp_eq_u16_sdwa s[12:13], v2, s4 src0_sel:BYTE_0 src1_sel:DWORD
	s_mov_b64 s[4:5], -1
                                        ; implicit-def: $sgpr10
	s_and_saveexec_b64 s[8:9], s[12:13]
; %bb.2438:
	s_mov_b32 s10, 0x7f800001
	s_xor_b64 s[4:5], exec, -1
; %bb.2439:
	s_or_b64 exec, exec, s[8:9]
	s_and_b64 s[4:5], s[4:5], exec
	s_or_saveexec_b64 s[6:7], s[6:7]
	v_mov_b32_e32 v11, s10
	s_xor_b64 exec, exec, s[6:7]
	s_cbranch_execz .LBB30_390
.LBB30_2440:
	v_mov_b32_e32 v11, 0
	v_cmp_ne_u16_sdwa s[8:9], v2, v11 src0_sel:BYTE_0 src1_sel:DWORD
	s_andn2_b64 s[4:5], s[4:5], exec
	s_and_b64 s[8:9], s[8:9], exec
	s_or_b64 s[4:5], s[4:5], s[8:9]
	s_or_b64 exec, exec, s[6:7]
	s_and_saveexec_b64 s[6:7], s[4:5]
	s_cbranch_execnz .LBB30_391
	s_branch .LBB30_392
.LBB30_2441:
	s_movk_i32 s4, 0x80
	v_cmp_eq_u16_sdwa s[12:13], v11, s4 src0_sel:BYTE_0 src1_sel:DWORD
	s_mov_b64 s[4:5], -1
                                        ; implicit-def: $sgpr10
	s_and_saveexec_b64 s[8:9], s[12:13]
; %bb.2442:
	s_mov_b32 s10, 0x7f800001
	s_xor_b64 s[4:5], exec, -1
; %bb.2443:
	s_or_b64 exec, exec, s[8:9]
	s_and_b64 s[4:5], s[4:5], exec
	s_or_saveexec_b64 s[6:7], s[6:7]
	v_mov_b32_e32 v10, s10
	s_xor_b64 exec, exec, s[6:7]
	s_cbranch_execz .LBB30_394
.LBB30_2444:
	v_mov_b32_e32 v10, 0
	v_cmp_ne_u16_sdwa s[8:9], v11, v10 src0_sel:BYTE_0 src1_sel:DWORD
	s_andn2_b64 s[4:5], s[4:5], exec
	s_and_b64 s[8:9], s[8:9], exec
	s_or_b64 s[4:5], s[4:5], s[8:9]
	s_or_b64 exec, exec, s[6:7]
	s_and_saveexec_b64 s[6:7], s[4:5]
	s_cbranch_execnz .LBB30_395
	s_branch .LBB30_396
.LBB30_2445:
	s_movk_i32 s4, 0x80
	v_cmp_eq_u16_sdwa s[12:13], v11, s4 src0_sel:BYTE_0 src1_sel:DWORD
	s_mov_b64 s[4:5], -1
                                        ; implicit-def: $sgpr10
	s_and_saveexec_b64 s[8:9], s[12:13]
; %bb.2446:
	s_mov_b32 s10, 0x7f800001
	s_xor_b64 s[4:5], exec, -1
; %bb.2447:
	s_or_b64 exec, exec, s[8:9]
	s_and_b64 s[4:5], s[4:5], exec
	s_or_saveexec_b64 s[6:7], s[6:7]
	v_mov_b32_e32 v12, s10
	s_xor_b64 exec, exec, s[6:7]
	s_cbranch_execz .LBB30_398
.LBB30_2448:
	v_mov_b32_e32 v12, 0
	v_cmp_ne_u16_sdwa s[8:9], v11, v12 src0_sel:BYTE_0 src1_sel:DWORD
	s_andn2_b64 s[4:5], s[4:5], exec
	s_and_b64 s[8:9], s[8:9], exec
	s_or_b64 s[4:5], s[4:5], s[8:9]
	s_or_b64 exec, exec, s[6:7]
	s_and_saveexec_b64 s[6:7], s[4:5]
	s_cbranch_execnz .LBB30_399
	s_branch .LBB30_400
.LBB30_2449:
	s_movk_i32 s4, 0x80
	v_cmp_eq_u16_e32 vcc, s4, v11
	s_mov_b64 s[4:5], -1
                                        ; implicit-def: $sgpr10
	s_and_saveexec_b64 s[8:9], vcc
; %bb.2450:
	s_mov_b32 s10, 0x7f800001
	s_xor_b64 s[4:5], exec, -1
; %bb.2451:
	s_or_b64 exec, exec, s[8:9]
	s_and_b64 s[4:5], s[4:5], exec
                                        ; implicit-def: $vgpr11
	s_or_saveexec_b64 s[6:7], s[6:7]
	v_mov_b32_e32 v10, s10
	s_xor_b64 exec, exec, s[6:7]
	s_cbranch_execz .LBB30_402
.LBB30_2452:
	v_cmp_ne_u16_e32 vcc, 0, v11
	s_andn2_b64 s[4:5], s[4:5], exec
	s_and_b64 s[8:9], vcc, exec
	v_mov_b32_e32 v10, 0
	s_or_b64 s[4:5], s[4:5], s[8:9]
	s_or_b64 exec, exec, s[6:7]
	s_and_saveexec_b64 s[6:7], s[4:5]
	s_cbranch_execnz .LBB30_403
	s_branch .LBB30_404
.LBB30_2453:
	s_movk_i32 s4, 0x80
	v_cmp_eq_u16_e32 vcc, s4, v11
	s_mov_b64 s[4:5], -1
                                        ; implicit-def: $sgpr10
	s_and_saveexec_b64 s[8:9], vcc
; %bb.2454:
	s_mov_b32 s10, 0x7f800001
	s_xor_b64 s[4:5], exec, -1
; %bb.2455:
	s_or_b64 exec, exec, s[8:9]
	s_and_b64 s[4:5], s[4:5], exec
                                        ; implicit-def: $vgpr11
	s_or_saveexec_b64 s[6:7], s[6:7]
	v_mov_b32_e32 v12, s10
	s_xor_b64 exec, exec, s[6:7]
	s_cbranch_execz .LBB30_406
.LBB30_2456:
	v_cmp_ne_u16_e32 vcc, 0, v11
	s_andn2_b64 s[4:5], s[4:5], exec
	s_and_b64 s[8:9], vcc, exec
	v_mov_b32_e32 v12, 0
	s_or_b64 s[4:5], s[4:5], s[8:9]
	s_or_b64 exec, exec, s[6:7]
	s_and_saveexec_b64 s[6:7], s[4:5]
	s_cbranch_execnz .LBB30_407
	s_branch .LBB30_408
.LBB30_2457:
	s_movk_i32 s4, 0x80
	v_cmp_eq_u16_sdwa s[12:13], v6, s4 src0_sel:BYTE_3 src1_sel:DWORD
	s_mov_b64 s[4:5], -1
                                        ; implicit-def: $sgpr10
	s_and_saveexec_b64 s[8:9], s[12:13]
; %bb.2458:
	s_mov_b32 s10, 0x7f800001
	s_xor_b64 s[4:5], exec, -1
; %bb.2459:
	s_or_b64 exec, exec, s[8:9]
	s_and_b64 s[4:5], s[4:5], exec
	s_or_saveexec_b64 s[6:7], s[6:7]
	v_mov_b32_e32 v10, s10
	s_xor_b64 exec, exec, s[6:7]
	s_cbranch_execz .LBB30_410
.LBB30_2460:
	v_mov_b32_e32 v10, 0
	v_cmp_ne_u16_sdwa s[8:9], v6, v10 src0_sel:BYTE_3 src1_sel:DWORD
	s_andn2_b64 s[4:5], s[4:5], exec
	s_and_b64 s[8:9], s[8:9], exec
	s_or_b64 s[4:5], s[4:5], s[8:9]
	s_or_b64 exec, exec, s[6:7]
	s_and_saveexec_b64 s[6:7], s[4:5]
	s_cbranch_execnz .LBB30_411
	s_branch .LBB30_412
.LBB30_2461:
	s_movk_i32 s4, 0x80
	v_cmp_eq_u16_sdwa s[12:13], v2, s4 src0_sel:BYTE_3 src1_sel:DWORD
	s_mov_b64 s[4:5], -1
                                        ; implicit-def: $sgpr10
	s_and_saveexec_b64 s[8:9], s[12:13]
; %bb.2462:
	s_mov_b32 s10, 0x7f800001
	s_xor_b64 s[4:5], exec, -1
; %bb.2463:
	s_or_b64 exec, exec, s[8:9]
	s_and_b64 s[4:5], s[4:5], exec
	s_or_saveexec_b64 s[6:7], s[6:7]
	v_mov_b32_e32 v6, s10
	s_xor_b64 exec, exec, s[6:7]
	s_cbranch_execz .LBB30_414
.LBB30_2464:
	v_mov_b32_e32 v6, 0
	v_cmp_ne_u16_sdwa s[8:9], v2, v6 src0_sel:BYTE_3 src1_sel:DWORD
	s_andn2_b64 s[4:5], s[4:5], exec
	s_and_b64 s[8:9], s[8:9], exec
	s_or_b64 s[4:5], s[4:5], s[8:9]
	s_or_b64 exec, exec, s[6:7]
	s_and_saveexec_b64 s[6:7], s[4:5]
	s_cbranch_execnz .LBB30_415
	s_branch .LBB30_416
.LBB30_2465:
	s_movk_i32 s4, 0x80
	v_cmp_eq_u16_sdwa s[12:13], v7, s4 src0_sel:BYTE_0 src1_sel:DWORD
	s_mov_b64 s[4:5], -1
                                        ; implicit-def: $sgpr10
	s_and_saveexec_b64 s[8:9], s[12:13]
; %bb.2466:
	s_mov_b32 s10, 0x7f800001
	s_xor_b64 s[4:5], exec, -1
; %bb.2467:
	s_or_b64 exec, exec, s[8:9]
	s_and_b64 s[4:5], s[4:5], exec
	s_or_saveexec_b64 s[6:7], s[6:7]
	v_mov_b32_e32 v2, s10
	s_xor_b64 exec, exec, s[6:7]
	s_cbranch_execz .LBB30_418
.LBB30_2468:
	v_mov_b32_e32 v2, 0
	v_cmp_ne_u16_sdwa s[8:9], v7, v2 src0_sel:BYTE_0 src1_sel:DWORD
	s_andn2_b64 s[4:5], s[4:5], exec
	s_and_b64 s[8:9], s[8:9], exec
	s_or_b64 s[4:5], s[4:5], s[8:9]
	s_or_b64 exec, exec, s[6:7]
	s_and_saveexec_b64 s[6:7], s[4:5]
	s_cbranch_execnz .LBB30_419
	s_branch .LBB30_420
.LBB30_2469:
	s_movk_i32 s4, 0x80
	v_cmp_eq_u16_sdwa s[12:13], v3, s4 src0_sel:BYTE_0 src1_sel:DWORD
	s_mov_b64 s[4:5], -1
                                        ; implicit-def: $sgpr10
	s_and_saveexec_b64 s[8:9], s[12:13]
; %bb.2470:
	s_mov_b32 s10, 0x7f800001
	s_xor_b64 s[4:5], exec, -1
; %bb.2471:
	s_or_b64 exec, exec, s[8:9]
	s_and_b64 s[4:5], s[4:5], exec
	s_or_saveexec_b64 s[6:7], s[6:7]
	v_mov_b32_e32 v6, s10
	s_xor_b64 exec, exec, s[6:7]
	s_cbranch_execz .LBB30_422
.LBB30_2472:
	v_mov_b32_e32 v6, 0
	v_cmp_ne_u16_sdwa s[8:9], v3, v6 src0_sel:BYTE_0 src1_sel:DWORD
	s_andn2_b64 s[4:5], s[4:5], exec
	s_and_b64 s[8:9], s[8:9], exec
	s_or_b64 s[4:5], s[4:5], s[8:9]
	s_or_b64 exec, exec, s[6:7]
	s_and_saveexec_b64 s[6:7], s[4:5]
	s_cbranch_execnz .LBB30_423
	s_branch .LBB30_424
.LBB30_2473:
	s_movk_i32 s4, 0x80
	v_cmp_eq_u16_sdwa s[12:13], v6, s4 src0_sel:BYTE_0 src1_sel:DWORD
	s_mov_b64 s[4:5], -1
                                        ; implicit-def: $sgpr10
	s_and_saveexec_b64 s[8:9], s[12:13]
; %bb.2474:
	s_mov_b32 s10, 0x7f800001
	s_xor_b64 s[4:5], exec, -1
; %bb.2475:
	s_or_b64 exec, exec, s[8:9]
	s_and_b64 s[4:5], s[4:5], exec
	s_or_saveexec_b64 s[6:7], s[6:7]
	v_mov_b32_e32 v2, s10
	s_xor_b64 exec, exec, s[6:7]
	s_cbranch_execz .LBB30_426
.LBB30_2476:
	v_mov_b32_e32 v2, 0
	v_cmp_ne_u16_sdwa s[8:9], v6, v2 src0_sel:BYTE_0 src1_sel:DWORD
	s_andn2_b64 s[4:5], s[4:5], exec
	s_and_b64 s[8:9], s[8:9], exec
	s_or_b64 s[4:5], s[4:5], s[8:9]
	s_or_b64 exec, exec, s[6:7]
	s_and_saveexec_b64 s[6:7], s[4:5]
	s_cbranch_execnz .LBB30_427
	s_branch .LBB30_428
.LBB30_2477:
	s_movk_i32 s4, 0x80
	v_cmp_eq_u16_sdwa s[12:13], v6, s4 src0_sel:BYTE_0 src1_sel:DWORD
	s_mov_b64 s[4:5], -1
                                        ; implicit-def: $sgpr10
	s_and_saveexec_b64 s[8:9], s[12:13]
; %bb.2478:
	s_mov_b32 s10, 0x7f800001
	s_xor_b64 s[4:5], exec, -1
; %bb.2479:
	s_or_b64 exec, exec, s[8:9]
	s_and_b64 s[4:5], s[4:5], exec
	s_or_saveexec_b64 s[6:7], s[6:7]
	v_mov_b32_e32 v10, s10
	s_xor_b64 exec, exec, s[6:7]
	s_cbranch_execz .LBB30_430
.LBB30_2480:
	v_mov_b32_e32 v10, 0
	v_cmp_ne_u16_sdwa s[8:9], v6, v10 src0_sel:BYTE_0 src1_sel:DWORD
	s_andn2_b64 s[4:5], s[4:5], exec
	s_and_b64 s[8:9], s[8:9], exec
	s_or_b64 s[4:5], s[4:5], s[8:9]
	s_or_b64 exec, exec, s[6:7]
	s_and_saveexec_b64 s[6:7], s[4:5]
	s_cbranch_execnz .LBB30_431
	s_branch .LBB30_432
.LBB30_2481:
	s_movk_i32 s4, 0x80
	v_cmp_eq_u16_e32 vcc, s4, v6
	s_mov_b64 s[4:5], -1
                                        ; implicit-def: $sgpr10
	s_and_saveexec_b64 s[8:9], vcc
; %bb.2482:
	s_mov_b32 s10, 0x7f800001
	s_xor_b64 s[4:5], exec, -1
; %bb.2483:
	s_or_b64 exec, exec, s[8:9]
	s_and_b64 s[4:5], s[4:5], exec
                                        ; implicit-def: $vgpr6
	s_or_saveexec_b64 s[6:7], s[6:7]
	v_mov_b32_e32 v2, s10
	s_xor_b64 exec, exec, s[6:7]
	s_cbranch_execz .LBB30_434
.LBB30_2484:
	v_cmp_ne_u16_e32 vcc, 0, v6
	s_andn2_b64 s[4:5], s[4:5], exec
	s_and_b64 s[8:9], vcc, exec
	v_mov_b32_e32 v2, 0
	s_or_b64 s[4:5], s[4:5], s[8:9]
	s_or_b64 exec, exec, s[6:7]
	s_and_saveexec_b64 s[6:7], s[4:5]
	s_cbranch_execnz .LBB30_435
	s_branch .LBB30_436
.LBB30_2485:
	s_movk_i32 s4, 0x80
	v_cmp_eq_u16_e32 vcc, s4, v6
	s_mov_b64 s[4:5], -1
                                        ; implicit-def: $sgpr10
	s_and_saveexec_b64 s[8:9], vcc
; %bb.2486:
	s_mov_b32 s10, 0x7f800001
	s_xor_b64 s[4:5], exec, -1
; %bb.2487:
	s_or_b64 exec, exec, s[8:9]
	s_and_b64 s[4:5], s[4:5], exec
                                        ; implicit-def: $vgpr6
	s_or_saveexec_b64 s[6:7], s[6:7]
	v_mov_b32_e32 v10, s10
	s_xor_b64 exec, exec, s[6:7]
	s_cbranch_execz .LBB30_438
.LBB30_2488:
	v_cmp_ne_u16_e32 vcc, 0, v6
	s_andn2_b64 s[4:5], s[4:5], exec
	s_and_b64 s[8:9], vcc, exec
	v_mov_b32_e32 v10, 0
	s_or_b64 s[4:5], s[4:5], s[8:9]
	s_or_b64 exec, exec, s[6:7]
	s_and_saveexec_b64 s[6:7], s[4:5]
	s_cbranch_execnz .LBB30_439
	s_branch .LBB30_440
.LBB30_2489:
	s_movk_i32 s4, 0x80
	v_cmp_eq_u16_sdwa s[12:13], v7, s4 src0_sel:BYTE_3 src1_sel:DWORD
	s_mov_b64 s[4:5], -1
                                        ; implicit-def: $sgpr10
	s_and_saveexec_b64 s[8:9], s[12:13]
; %bb.2490:
	s_mov_b32 s10, 0x7f800001
	s_xor_b64 s[4:5], exec, -1
; %bb.2491:
	s_or_b64 exec, exec, s[8:9]
	s_and_b64 s[4:5], s[4:5], exec
	s_or_saveexec_b64 s[6:7], s[6:7]
	v_mov_b32_e32 v2, s10
	s_xor_b64 exec, exec, s[6:7]
	s_cbranch_execz .LBB30_442
.LBB30_2492:
	v_mov_b32_e32 v2, 0
	v_cmp_ne_u16_sdwa s[8:9], v7, v2 src0_sel:BYTE_3 src1_sel:DWORD
	s_andn2_b64 s[4:5], s[4:5], exec
	s_and_b64 s[8:9], s[8:9], exec
	s_or_b64 s[4:5], s[4:5], s[8:9]
	s_or_b64 exec, exec, s[6:7]
	s_and_saveexec_b64 s[6:7], s[4:5]
	s_cbranch_execnz .LBB30_443
	s_branch .LBB30_444
.LBB30_2493:
	s_movk_i32 s4, 0x80
	v_cmp_eq_u16_sdwa s[12:13], v3, s4 src0_sel:BYTE_3 src1_sel:DWORD
	s_mov_b64 s[4:5], -1
                                        ; implicit-def: $sgpr10
	s_and_saveexec_b64 s[8:9], s[12:13]
; %bb.2494:
	s_mov_b32 s10, 0x7f800001
	s_xor_b64 s[4:5], exec, -1
; %bb.2495:
	s_or_b64 exec, exec, s[8:9]
	s_and_b64 s[4:5], s[4:5], exec
	s_or_saveexec_b64 s[6:7], s[6:7]
	v_mov_b32_e32 v6, s10
	s_xor_b64 exec, exec, s[6:7]
	s_cbranch_execz .LBB30_446
.LBB30_2496:
	v_mov_b32_e32 v6, 0
	v_cmp_ne_u16_sdwa s[8:9], v3, v6 src0_sel:BYTE_3 src1_sel:DWORD
	s_andn2_b64 s[4:5], s[4:5], exec
	s_and_b64 s[8:9], s[8:9], exec
	s_or_b64 s[4:5], s[4:5], s[8:9]
	s_or_b64 exec, exec, s[6:7]
	s_and_saveexec_b64 s[6:7], s[4:5]
	s_cbranch_execnz .LBB30_447
	s_branch .LBB30_448
.LBB30_2497:
	s_movk_i32 s4, 0x80
	v_cmp_eq_u16_sdwa s[12:13], v8, s4 src0_sel:BYTE_0 src1_sel:DWORD
	s_mov_b64 s[4:5], -1
                                        ; implicit-def: $sgpr10
	s_and_saveexec_b64 s[8:9], s[12:13]
; %bb.2498:
	s_mov_b32 s10, 0x7f800001
	s_xor_b64 s[4:5], exec, -1
; %bb.2499:
	s_or_b64 exec, exec, s[8:9]
	s_and_b64 s[4:5], s[4:5], exec
	s_or_saveexec_b64 s[6:7], s[6:7]
	v_mov_b32_e32 v2, s10
	s_xor_b64 exec, exec, s[6:7]
	s_cbranch_execz .LBB30_450
.LBB30_2500:
	v_mov_b32_e32 v2, 0
	v_cmp_ne_u16_sdwa s[8:9], v8, v2 src0_sel:BYTE_0 src1_sel:DWORD
	s_andn2_b64 s[4:5], s[4:5], exec
	s_and_b64 s[8:9], s[8:9], exec
	s_or_b64 s[4:5], s[4:5], s[8:9]
	s_or_b64 exec, exec, s[6:7]
	s_and_saveexec_b64 s[6:7], s[4:5]
	s_cbranch_execnz .LBB30_451
	s_branch .LBB30_452
.LBB30_2501:
	s_movk_i32 s4, 0x80
	v_cmp_eq_u16_sdwa s[12:13], v4, s4 src0_sel:BYTE_0 src1_sel:DWORD
	s_mov_b64 s[4:5], -1
                                        ; implicit-def: $sgpr10
	s_and_saveexec_b64 s[8:9], s[12:13]
; %bb.2502:
	s_mov_b32 s10, 0x7f800001
	s_xor_b64 s[4:5], exec, -1
; %bb.2503:
	s_or_b64 exec, exec, s[8:9]
	s_and_b64 s[4:5], s[4:5], exec
	s_or_saveexec_b64 s[6:7], s[6:7]
	v_mov_b32_e32 v3, s10
	s_xor_b64 exec, exec, s[6:7]
	s_cbranch_execz .LBB30_454
.LBB30_2504:
	v_mov_b32_e32 v3, 0
	v_cmp_ne_u16_sdwa s[8:9], v4, v3 src0_sel:BYTE_0 src1_sel:DWORD
	s_andn2_b64 s[4:5], s[4:5], exec
	s_and_b64 s[8:9], s[8:9], exec
	s_or_b64 s[4:5], s[4:5], s[8:9]
	s_or_b64 exec, exec, s[6:7]
	s_and_saveexec_b64 s[6:7], s[4:5]
	s_cbranch_execnz .LBB30_455
	s_branch .LBB30_456
.LBB30_2505:
	s_movk_i32 s4, 0x80
	v_cmp_eq_u16_sdwa s[12:13], v3, s4 src0_sel:BYTE_0 src1_sel:DWORD
	s_mov_b64 s[4:5], -1
                                        ; implicit-def: $sgpr10
	s_and_saveexec_b64 s[8:9], s[12:13]
; %bb.2506:
	s_mov_b32 s10, 0x7f800001
	s_xor_b64 s[4:5], exec, -1
; %bb.2507:
	s_or_b64 exec, exec, s[8:9]
	s_and_b64 s[4:5], s[4:5], exec
	s_or_saveexec_b64 s[6:7], s[6:7]
	v_mov_b32_e32 v2, s10
	s_xor_b64 exec, exec, s[6:7]
	s_cbranch_execz .LBB30_458
.LBB30_2508:
	v_mov_b32_e32 v2, 0
	v_cmp_ne_u16_sdwa s[8:9], v3, v2 src0_sel:BYTE_0 src1_sel:DWORD
	s_andn2_b64 s[4:5], s[4:5], exec
	s_and_b64 s[8:9], s[8:9], exec
	s_or_b64 s[4:5], s[4:5], s[8:9]
	s_or_b64 exec, exec, s[6:7]
	s_and_saveexec_b64 s[6:7], s[4:5]
	s_cbranch_execnz .LBB30_459
	s_branch .LBB30_460
.LBB30_2509:
	s_movk_i32 s4, 0x80
	v_cmp_eq_u16_sdwa s[12:13], v3, s4 src0_sel:BYTE_0 src1_sel:DWORD
	s_mov_b64 s[4:5], -1
                                        ; implicit-def: $sgpr10
	s_and_saveexec_b64 s[8:9], s[12:13]
; %bb.2510:
	s_mov_b32 s10, 0x7f800001
	s_xor_b64 s[4:5], exec, -1
; %bb.2511:
	s_or_b64 exec, exec, s[8:9]
	s_and_b64 s[4:5], s[4:5], exec
	s_or_saveexec_b64 s[6:7], s[6:7]
	v_mov_b32_e32 v6, s10
	s_xor_b64 exec, exec, s[6:7]
	s_cbranch_execz .LBB30_462
.LBB30_2512:
	v_mov_b32_e32 v6, 0
	v_cmp_ne_u16_sdwa s[8:9], v3, v6 src0_sel:BYTE_0 src1_sel:DWORD
	s_andn2_b64 s[4:5], s[4:5], exec
	s_and_b64 s[8:9], s[8:9], exec
	s_or_b64 s[4:5], s[4:5], s[8:9]
	s_or_b64 exec, exec, s[6:7]
	s_and_saveexec_b64 s[6:7], s[4:5]
	s_cbranch_execnz .LBB30_463
	s_branch .LBB30_464
.LBB30_2513:
	s_movk_i32 s4, 0x80
	v_cmp_eq_u16_e32 vcc, s4, v3
	s_mov_b64 s[4:5], -1
                                        ; implicit-def: $sgpr10
	s_and_saveexec_b64 s[8:9], vcc
; %bb.2514:
	s_mov_b32 s10, 0x7f800001
	s_xor_b64 s[4:5], exec, -1
; %bb.2515:
	s_or_b64 exec, exec, s[8:9]
	s_and_b64 s[4:5], s[4:5], exec
                                        ; implicit-def: $vgpr3
	s_or_saveexec_b64 s[6:7], s[6:7]
	v_mov_b32_e32 v2, s10
	s_xor_b64 exec, exec, s[6:7]
	s_cbranch_execz .LBB30_466
.LBB30_2516:
	v_cmp_ne_u16_e32 vcc, 0, v3
	s_andn2_b64 s[4:5], s[4:5], exec
	s_and_b64 s[8:9], vcc, exec
	v_mov_b32_e32 v2, 0
	s_or_b64 s[4:5], s[4:5], s[8:9]
	s_or_b64 exec, exec, s[6:7]
	s_and_saveexec_b64 s[6:7], s[4:5]
	s_cbranch_execnz .LBB30_467
	s_branch .LBB30_468
.LBB30_2517:
	s_movk_i32 s4, 0x80
	v_cmp_eq_u16_e32 vcc, s4, v3
	s_mov_b64 s[4:5], -1
                                        ; implicit-def: $sgpr10
	s_and_saveexec_b64 s[8:9], vcc
; %bb.2518:
	s_mov_b32 s10, 0x7f800001
	s_xor_b64 s[4:5], exec, -1
; %bb.2519:
	s_or_b64 exec, exec, s[8:9]
	s_and_b64 s[4:5], s[4:5], exec
                                        ; implicit-def: $vgpr3
	s_or_saveexec_b64 s[6:7], s[6:7]
	v_mov_b32_e32 v6, s10
	s_xor_b64 exec, exec, s[6:7]
	s_cbranch_execz .LBB30_470
.LBB30_2520:
	v_cmp_ne_u16_e32 vcc, 0, v3
	s_andn2_b64 s[4:5], s[4:5], exec
	s_and_b64 s[8:9], vcc, exec
	v_mov_b32_e32 v6, 0
	s_or_b64 s[4:5], s[4:5], s[8:9]
	s_or_b64 exec, exec, s[6:7]
	s_and_saveexec_b64 s[6:7], s[4:5]
	s_cbranch_execnz .LBB30_471
	s_branch .LBB30_472
.LBB30_2521:
	s_movk_i32 s4, 0x80
	v_cmp_eq_u16_sdwa s[12:13], v8, s4 src0_sel:BYTE_3 src1_sel:DWORD
	s_mov_b64 s[4:5], -1
                                        ; implicit-def: $sgpr10
	s_and_saveexec_b64 s[8:9], s[12:13]
; %bb.2522:
	s_mov_b32 s10, 0x7f800001
	s_xor_b64 s[4:5], exec, -1
; %bb.2523:
	s_or_b64 exec, exec, s[8:9]
	s_and_b64 s[4:5], s[4:5], exec
	s_or_saveexec_b64 s[6:7], s[6:7]
	v_mov_b32_e32 v2, s10
	s_xor_b64 exec, exec, s[6:7]
	s_cbranch_execz .LBB30_474
.LBB30_2524:
	v_mov_b32_e32 v2, 0
	v_cmp_ne_u16_sdwa s[8:9], v8, v2 src0_sel:BYTE_3 src1_sel:DWORD
	s_andn2_b64 s[4:5], s[4:5], exec
	s_and_b64 s[8:9], s[8:9], exec
	s_or_b64 s[4:5], s[4:5], s[8:9]
	s_or_b64 exec, exec, s[6:7]
	s_and_saveexec_b64 s[6:7], s[4:5]
	s_cbranch_execnz .LBB30_475
	s_branch .LBB30_476
.LBB30_2525:
	s_movk_i32 s4, 0x80
	v_cmp_eq_u16_sdwa s[12:13], v4, s4 src0_sel:BYTE_3 src1_sel:DWORD
	s_mov_b64 s[4:5], -1
                                        ; implicit-def: $sgpr10
	s_and_saveexec_b64 s[8:9], s[12:13]
; %bb.2526:
	s_mov_b32 s10, 0x7f800001
	s_xor_b64 s[4:5], exec, -1
; %bb.2527:
	s_or_b64 exec, exec, s[8:9]
	s_and_b64 s[4:5], s[4:5], exec
	s_or_saveexec_b64 s[6:7], s[6:7]
	v_mov_b32_e32 v3, s10
	s_xor_b64 exec, exec, s[6:7]
	s_cbranch_execz .LBB30_478
.LBB30_2528:
	v_mov_b32_e32 v3, 0
	v_cmp_ne_u16_sdwa s[8:9], v4, v3 src0_sel:BYTE_3 src1_sel:DWORD
	s_andn2_b64 s[4:5], s[4:5], exec
	s_and_b64 s[8:9], s[8:9], exec
	s_or_b64 s[4:5], s[4:5], s[8:9]
	s_or_b64 exec, exec, s[6:7]
	s_and_saveexec_b64 s[6:7], s[4:5]
	s_cbranch_execnz .LBB30_479
	s_branch .LBB30_480
.LBB30_2529:
	s_movk_i32 s4, 0x80
	v_cmp_eq_u16_sdwa s[12:13], v9, s4 src0_sel:BYTE_0 src1_sel:DWORD
	s_mov_b64 s[4:5], -1
                                        ; implicit-def: $sgpr10
	s_and_saveexec_b64 s[8:9], s[12:13]
; %bb.2530:
	s_mov_b32 s10, 0x7f800001
	s_xor_b64 s[4:5], exec, -1
; %bb.2531:
	s_or_b64 exec, exec, s[8:9]
	s_and_b64 s[4:5], s[4:5], exec
	s_or_saveexec_b64 s[6:7], s[6:7]
	v_mov_b32_e32 v2, s10
	s_xor_b64 exec, exec, s[6:7]
	s_cbranch_execz .LBB30_482
.LBB30_2532:
	v_mov_b32_e32 v2, 0
	v_cmp_ne_u16_sdwa s[8:9], v9, v2 src0_sel:BYTE_0 src1_sel:DWORD
	s_andn2_b64 s[4:5], s[4:5], exec
	s_and_b64 s[8:9], s[8:9], exec
	s_or_b64 s[4:5], s[4:5], s[8:9]
	s_or_b64 exec, exec, s[6:7]
	s_and_saveexec_b64 s[6:7], s[4:5]
	s_cbranch_execnz .LBB30_483
	s_branch .LBB30_484
.LBB30_2533:
	s_movk_i32 s4, 0x80
	v_cmp_eq_u16_sdwa s[12:13], v5, s4 src0_sel:BYTE_0 src1_sel:DWORD
	s_mov_b64 s[4:5], -1
                                        ; implicit-def: $sgpr10
	s_and_saveexec_b64 s[8:9], s[12:13]
; %bb.2534:
	s_mov_b32 s10, 0x7f800001
	s_xor_b64 s[4:5], exec, -1
; %bb.2535:
	s_or_b64 exec, exec, s[8:9]
	s_and_b64 s[4:5], s[4:5], exec
	s_or_saveexec_b64 s[6:7], s[6:7]
	v_mov_b32_e32 v3, s10
	s_xor_b64 exec, exec, s[6:7]
	s_cbranch_execz .LBB30_486
.LBB30_2536:
	v_mov_b32_e32 v3, 0
	v_cmp_ne_u16_sdwa s[8:9], v5, v3 src0_sel:BYTE_0 src1_sel:DWORD
	s_andn2_b64 s[4:5], s[4:5], exec
	s_and_b64 s[8:9], s[8:9], exec
	s_or_b64 s[4:5], s[4:5], s[8:9]
	s_or_b64 exec, exec, s[6:7]
	s_and_saveexec_b64 s[6:7], s[4:5]
	s_cbranch_execnz .LBB30_487
	s_branch .LBB30_488
.LBB30_2537:
	s_movk_i32 s4, 0x80
	v_cmp_eq_u16_sdwa s[12:13], v3, s4 src0_sel:BYTE_0 src1_sel:DWORD
	s_mov_b64 s[4:5], -1
                                        ; implicit-def: $sgpr10
	s_and_saveexec_b64 s[8:9], s[12:13]
; %bb.2538:
	s_mov_b32 s10, 0x7f800001
	s_xor_b64 s[4:5], exec, -1
; %bb.2539:
	s_or_b64 exec, exec, s[8:9]
	s_and_b64 s[4:5], s[4:5], exec
	s_or_saveexec_b64 s[6:7], s[6:7]
	v_mov_b32_e32 v2, s10
	s_xor_b64 exec, exec, s[6:7]
	s_cbranch_execz .LBB30_490
.LBB30_2540:
	v_mov_b32_e32 v2, 0
	v_cmp_ne_u16_sdwa s[8:9], v3, v2 src0_sel:BYTE_0 src1_sel:DWORD
	s_andn2_b64 s[4:5], s[4:5], exec
	s_and_b64 s[8:9], s[8:9], exec
	s_or_b64 s[4:5], s[4:5], s[8:9]
	s_or_b64 exec, exec, s[6:7]
	s_and_saveexec_b64 s[6:7], s[4:5]
	s_cbranch_execnz .LBB30_491
	s_branch .LBB30_492
.LBB30_2541:
	s_movk_i32 s4, 0x80
	v_cmp_eq_u16_sdwa s[12:13], v3, s4 src0_sel:BYTE_0 src1_sel:DWORD
	s_mov_b64 s[4:5], -1
                                        ; implicit-def: $sgpr10
	s_and_saveexec_b64 s[8:9], s[12:13]
; %bb.2542:
	s_mov_b32 s10, 0x7f800001
	s_xor_b64 s[4:5], exec, -1
; %bb.2543:
	s_or_b64 exec, exec, s[8:9]
	s_and_b64 s[4:5], s[4:5], exec
	s_or_saveexec_b64 s[6:7], s[6:7]
	v_mov_b32_e32 v4, s10
	s_xor_b64 exec, exec, s[6:7]
	s_cbranch_execz .LBB30_494
.LBB30_2544:
	v_mov_b32_e32 v4, 0
	v_cmp_ne_u16_sdwa s[8:9], v3, v4 src0_sel:BYTE_0 src1_sel:DWORD
	s_andn2_b64 s[4:5], s[4:5], exec
	s_and_b64 s[8:9], s[8:9], exec
	s_or_b64 s[4:5], s[4:5], s[8:9]
	s_or_b64 exec, exec, s[6:7]
	s_and_saveexec_b64 s[6:7], s[4:5]
	s_cbranch_execnz .LBB30_495
	s_branch .LBB30_496
.LBB30_2545:
	s_movk_i32 s4, 0x80
	v_cmp_eq_u16_e32 vcc, s4, v3
	s_mov_b64 s[4:5], -1
                                        ; implicit-def: $sgpr10
	s_and_saveexec_b64 s[8:9], vcc
; %bb.2546:
	s_mov_b32 s10, 0x7f800001
	s_xor_b64 s[4:5], exec, -1
; %bb.2547:
	s_or_b64 exec, exec, s[8:9]
	s_and_b64 s[4:5], s[4:5], exec
                                        ; implicit-def: $vgpr3
	s_or_saveexec_b64 s[6:7], s[6:7]
	v_mov_b32_e32 v2, s10
	s_xor_b64 exec, exec, s[6:7]
	s_cbranch_execz .LBB30_498
.LBB30_2548:
	v_cmp_ne_u16_e32 vcc, 0, v3
	s_andn2_b64 s[4:5], s[4:5], exec
	s_and_b64 s[8:9], vcc, exec
	v_mov_b32_e32 v2, 0
	s_or_b64 s[4:5], s[4:5], s[8:9]
	s_or_b64 exec, exec, s[6:7]
	s_and_saveexec_b64 s[6:7], s[4:5]
	s_cbranch_execnz .LBB30_499
	s_branch .LBB30_500
.LBB30_2549:
	s_movk_i32 s4, 0x80
	v_cmp_eq_u16_e32 vcc, s4, v3
	s_mov_b64 s[4:5], -1
                                        ; implicit-def: $sgpr10
	s_and_saveexec_b64 s[8:9], vcc
; %bb.2550:
	s_mov_b32 s10, 0x7f800001
	s_xor_b64 s[4:5], exec, -1
; %bb.2551:
	s_or_b64 exec, exec, s[8:9]
	s_and_b64 s[4:5], s[4:5], exec
                                        ; implicit-def: $vgpr3
	s_or_saveexec_b64 s[6:7], s[6:7]
	v_mov_b32_e32 v4, s10
	s_xor_b64 exec, exec, s[6:7]
	s_cbranch_execz .LBB30_502
.LBB30_2552:
	v_cmp_ne_u16_e32 vcc, 0, v3
	s_andn2_b64 s[4:5], s[4:5], exec
	s_and_b64 s[8:9], vcc, exec
	v_mov_b32_e32 v4, 0
	s_or_b64 s[4:5], s[4:5], s[8:9]
	s_or_b64 exec, exec, s[6:7]
	s_and_saveexec_b64 s[6:7], s[4:5]
	s_cbranch_execnz .LBB30_503
	s_branch .LBB30_504
.LBB30_2553:
	s_movk_i32 s4, 0x80
	v_cmp_eq_u16_sdwa s[12:13], v9, s4 src0_sel:BYTE_3 src1_sel:DWORD
	s_mov_b64 s[4:5], -1
                                        ; implicit-def: $sgpr10
	s_and_saveexec_b64 s[8:9], s[12:13]
; %bb.2554:
	s_mov_b32 s10, 0x7f800001
	s_xor_b64 s[4:5], exec, -1
; %bb.2555:
	s_or_b64 exec, exec, s[8:9]
	s_and_b64 s[4:5], s[4:5], exec
	s_or_saveexec_b64 s[6:7], s[6:7]
	v_mov_b32_e32 v2, s10
	s_xor_b64 exec, exec, s[6:7]
	s_cbranch_execz .LBB30_506
.LBB30_2556:
	v_mov_b32_e32 v2, 0
	v_cmp_ne_u16_sdwa s[8:9], v9, v2 src0_sel:BYTE_3 src1_sel:DWORD
	s_andn2_b64 s[4:5], s[4:5], exec
	s_and_b64 s[8:9], s[8:9], exec
	s_or_b64 s[4:5], s[4:5], s[8:9]
	s_or_b64 exec, exec, s[6:7]
	s_and_saveexec_b64 s[6:7], s[4:5]
	s_cbranch_execnz .LBB30_507
	s_branch .LBB30_508
.LBB30_2557:
	s_movk_i32 s4, 0x80
	v_cmp_eq_u16_sdwa s[12:13], v5, s4 src0_sel:BYTE_3 src1_sel:DWORD
	s_mov_b64 s[4:5], -1
                                        ; implicit-def: $sgpr10
	s_and_saveexec_b64 s[8:9], s[12:13]
; %bb.2558:
	s_mov_b32 s10, 0x7f800001
	s_xor_b64 s[4:5], exec, -1
; %bb.2559:
	s_or_b64 exec, exec, s[8:9]
	s_and_b64 s[4:5], s[4:5], exec
	s_or_saveexec_b64 s[6:7], s[6:7]
	v_mov_b32_e32 v3, s10
	s_xor_b64 exec, exec, s[6:7]
	s_cbranch_execz .LBB30_510
.LBB30_2560:
	v_mov_b32_e32 v3, 0
	v_cmp_ne_u16_sdwa s[8:9], v5, v3 src0_sel:BYTE_3 src1_sel:DWORD
	s_andn2_b64 s[4:5], s[4:5], exec
	s_and_b64 s[8:9], s[8:9], exec
	s_or_b64 s[4:5], s[4:5], s[8:9]
	s_or_b64 exec, exec, s[6:7]
	s_and_saveexec_b64 s[6:7], s[4:5]
	s_cbranch_execnz .LBB30_511
	s_branch .LBB30_512
.LBB30_2561:
	s_movk_i32 s4, 0x80
	v_cmp_eq_u16_sdwa s[12:13], v14, s4 src0_sel:BYTE_0 src1_sel:DWORD
	s_mov_b64 s[4:5], -1
                                        ; implicit-def: $sgpr10
	s_and_saveexec_b64 s[8:9], s[12:13]
; %bb.2562:
	s_mov_b32 s10, 0x7f800001
	s_xor_b64 s[4:5], exec, -1
; %bb.2563:
	s_or_b64 exec, exec, s[8:9]
	s_and_b64 s[4:5], s[4:5], exec
	s_or_saveexec_b64 s[6:7], s[6:7]
	v_mov_b32_e32 v20, s10
	s_xor_b64 exec, exec, s[6:7]
	s_cbranch_execz .LBB30_514
.LBB30_2564:
	v_mov_b32_e32 v20, 0
	v_cmp_ne_u16_sdwa s[8:9], v14, v20 src0_sel:BYTE_0 src1_sel:DWORD
	s_andn2_b64 s[4:5], s[4:5], exec
	s_and_b64 s[8:9], s[8:9], exec
	s_or_b64 s[4:5], s[4:5], s[8:9]
	s_or_b64 exec, exec, s[6:7]
	s_and_saveexec_b64 s[6:7], s[4:5]
	s_cbranch_execnz .LBB30_515
	s_branch .LBB30_516
.LBB30_2565:
	s_movk_i32 s4, 0x80
	v_cmp_eq_u16_sdwa s[12:13], v10, s4 src0_sel:BYTE_0 src1_sel:DWORD
	s_mov_b64 s[4:5], -1
                                        ; implicit-def: $sgpr10
	s_and_saveexec_b64 s[8:9], s[12:13]
; %bb.2566:
	s_mov_b32 s10, 0x7f800001
	s_xor_b64 s[4:5], exec, -1
; %bb.2567:
	s_or_b64 exec, exec, s[8:9]
	s_and_b64 s[4:5], s[4:5], exec
	s_or_saveexec_b64 s[6:7], s[6:7]
	v_mov_b32_e32 v21, s10
	s_xor_b64 exec, exec, s[6:7]
	s_cbranch_execz .LBB30_518
.LBB30_2568:
	v_mov_b32_e32 v21, 0
	v_cmp_ne_u16_sdwa s[8:9], v10, v21 src0_sel:BYTE_0 src1_sel:DWORD
	s_andn2_b64 s[4:5], s[4:5], exec
	s_and_b64 s[8:9], s[8:9], exec
	s_or_b64 s[4:5], s[4:5], s[8:9]
	s_or_b64 exec, exec, s[6:7]
	s_and_saveexec_b64 s[6:7], s[4:5]
	s_cbranch_execnz .LBB30_519
	s_branch .LBB30_520
.LBB30_2569:
	s_movk_i32 s4, 0x80
	v_cmp_eq_u16_sdwa s[12:13], v21, s4 src0_sel:BYTE_0 src1_sel:DWORD
	s_mov_b64 s[4:5], -1
                                        ; implicit-def: $sgpr10
	s_and_saveexec_b64 s[8:9], s[12:13]
; %bb.2570:
	s_mov_b32 s10, 0x7f800001
	s_xor_b64 s[4:5], exec, -1
; %bb.2571:
	s_or_b64 exec, exec, s[8:9]
	s_and_b64 s[4:5], s[4:5], exec
	s_or_saveexec_b64 s[6:7], s[6:7]
	v_mov_b32_e32 v20, s10
	s_xor_b64 exec, exec, s[6:7]
	s_cbranch_execz .LBB30_522
.LBB30_2572:
	v_mov_b32_e32 v20, 0
	v_cmp_ne_u16_sdwa s[8:9], v21, v20 src0_sel:BYTE_0 src1_sel:DWORD
	s_andn2_b64 s[4:5], s[4:5], exec
	s_and_b64 s[8:9], s[8:9], exec
	s_or_b64 s[4:5], s[4:5], s[8:9]
	s_or_b64 exec, exec, s[6:7]
	s_and_saveexec_b64 s[6:7], s[4:5]
	s_cbranch_execnz .LBB30_523
	s_branch .LBB30_524
.LBB30_2573:
	s_movk_i32 s4, 0x80
	v_cmp_eq_u16_sdwa s[12:13], v21, s4 src0_sel:BYTE_0 src1_sel:DWORD
	s_mov_b64 s[4:5], -1
                                        ; implicit-def: $sgpr10
	s_and_saveexec_b64 s[8:9], s[12:13]
; %bb.2574:
	s_mov_b32 s10, 0x7f800001
	s_xor_b64 s[4:5], exec, -1
; %bb.2575:
	s_or_b64 exec, exec, s[8:9]
	s_and_b64 s[4:5], s[4:5], exec
	s_or_saveexec_b64 s[6:7], s[6:7]
	v_mov_b32_e32 v22, s10
	s_xor_b64 exec, exec, s[6:7]
	s_cbranch_execz .LBB30_526
.LBB30_2576:
	v_mov_b32_e32 v22, 0
	v_cmp_ne_u16_sdwa s[8:9], v21, v22 src0_sel:BYTE_0 src1_sel:DWORD
	s_andn2_b64 s[4:5], s[4:5], exec
	s_and_b64 s[8:9], s[8:9], exec
	s_or_b64 s[4:5], s[4:5], s[8:9]
	s_or_b64 exec, exec, s[6:7]
	s_and_saveexec_b64 s[6:7], s[4:5]
	s_cbranch_execnz .LBB30_527
	s_branch .LBB30_528
.LBB30_2577:
	s_movk_i32 s4, 0x80
	v_cmp_eq_u16_e32 vcc, s4, v21
	s_mov_b64 s[4:5], -1
                                        ; implicit-def: $sgpr10
	s_and_saveexec_b64 s[8:9], vcc
; %bb.2578:
	s_mov_b32 s10, 0x7f800001
	s_xor_b64 s[4:5], exec, -1
; %bb.2579:
	s_or_b64 exec, exec, s[8:9]
	s_and_b64 s[4:5], s[4:5], exec
                                        ; implicit-def: $vgpr21
	s_or_saveexec_b64 s[6:7], s[6:7]
	v_mov_b32_e32 v20, s10
	s_xor_b64 exec, exec, s[6:7]
	s_cbranch_execz .LBB30_530
.LBB30_2580:
	v_cmp_ne_u16_e32 vcc, 0, v21
	s_andn2_b64 s[4:5], s[4:5], exec
	s_and_b64 s[8:9], vcc, exec
	v_mov_b32_e32 v20, 0
	s_or_b64 s[4:5], s[4:5], s[8:9]
	s_or_b64 exec, exec, s[6:7]
	s_and_saveexec_b64 s[6:7], s[4:5]
	s_cbranch_execnz .LBB30_531
	s_branch .LBB30_532
.LBB30_2581:
	s_movk_i32 s4, 0x80
	v_cmp_eq_u16_e32 vcc, s4, v21
	s_mov_b64 s[4:5], -1
                                        ; implicit-def: $sgpr10
	s_and_saveexec_b64 s[8:9], vcc
; %bb.2582:
	s_mov_b32 s10, 0x7f800001
	s_xor_b64 s[4:5], exec, -1
; %bb.2583:
	s_or_b64 exec, exec, s[8:9]
	s_and_b64 s[4:5], s[4:5], exec
                                        ; implicit-def: $vgpr21
	s_or_saveexec_b64 s[6:7], s[6:7]
	v_mov_b32_e32 v22, s10
	s_xor_b64 exec, exec, s[6:7]
	s_cbranch_execz .LBB30_534
.LBB30_2584:
	v_cmp_ne_u16_e32 vcc, 0, v21
	s_andn2_b64 s[4:5], s[4:5], exec
	s_and_b64 s[8:9], vcc, exec
	v_mov_b32_e32 v22, 0
	s_or_b64 s[4:5], s[4:5], s[8:9]
	s_or_b64 exec, exec, s[6:7]
	s_and_saveexec_b64 s[6:7], s[4:5]
	s_cbranch_execnz .LBB30_535
	s_branch .LBB30_536
.LBB30_2585:
	s_movk_i32 s4, 0x80
	v_cmp_eq_u16_sdwa s[12:13], v14, s4 src0_sel:BYTE_3 src1_sel:DWORD
	s_mov_b64 s[4:5], -1
                                        ; implicit-def: $sgpr10
	s_and_saveexec_b64 s[8:9], s[12:13]
; %bb.2586:
	s_mov_b32 s10, 0x7f800001
	s_xor_b64 s[4:5], exec, -1
; %bb.2587:
	s_or_b64 exec, exec, s[8:9]
	s_and_b64 s[4:5], s[4:5], exec
	s_or_saveexec_b64 s[6:7], s[6:7]
	v_mov_b32_e32 v20, s10
	s_xor_b64 exec, exec, s[6:7]
	s_cbranch_execz .LBB30_538
.LBB30_2588:
	v_mov_b32_e32 v20, 0
	v_cmp_ne_u16_sdwa s[8:9], v14, v20 src0_sel:BYTE_3 src1_sel:DWORD
	s_andn2_b64 s[4:5], s[4:5], exec
	s_and_b64 s[8:9], s[8:9], exec
	s_or_b64 s[4:5], s[4:5], s[8:9]
	s_or_b64 exec, exec, s[6:7]
	s_and_saveexec_b64 s[6:7], s[4:5]
	s_cbranch_execnz .LBB30_539
	s_branch .LBB30_540
.LBB30_2589:
	s_movk_i32 s4, 0x80
	v_cmp_eq_u16_sdwa s[12:13], v10, s4 src0_sel:BYTE_3 src1_sel:DWORD
	s_mov_b64 s[4:5], -1
                                        ; implicit-def: $sgpr10
	s_and_saveexec_b64 s[8:9], s[12:13]
; %bb.2590:
	s_mov_b32 s10, 0x7f800001
	s_xor_b64 s[4:5], exec, -1
; %bb.2591:
	s_or_b64 exec, exec, s[8:9]
	s_and_b64 s[4:5], s[4:5], exec
	s_or_saveexec_b64 s[6:7], s[6:7]
	v_mov_b32_e32 v14, s10
	s_xor_b64 exec, exec, s[6:7]
	s_cbranch_execz .LBB30_542
.LBB30_2592:
	v_mov_b32_e32 v14, 0
	v_cmp_ne_u16_sdwa s[8:9], v10, v14 src0_sel:BYTE_3 src1_sel:DWORD
	s_andn2_b64 s[4:5], s[4:5], exec
	s_and_b64 s[8:9], s[8:9], exec
	s_or_b64 s[4:5], s[4:5], s[8:9]
	s_or_b64 exec, exec, s[6:7]
	s_and_saveexec_b64 s[6:7], s[4:5]
	s_cbranch_execnz .LBB30_543
	s_branch .LBB30_544
.LBB30_2593:
	s_movk_i32 s4, 0x80
	v_cmp_eq_u16_sdwa s[12:13], v15, s4 src0_sel:BYTE_0 src1_sel:DWORD
	s_mov_b64 s[4:5], -1
                                        ; implicit-def: $sgpr10
	s_and_saveexec_b64 s[8:9], s[12:13]
; %bb.2594:
	s_mov_b32 s10, 0x7f800001
	s_xor_b64 s[4:5], exec, -1
; %bb.2595:
	s_or_b64 exec, exec, s[8:9]
	s_and_b64 s[4:5], s[4:5], exec
	s_or_saveexec_b64 s[6:7], s[6:7]
	v_mov_b32_e32 v10, s10
	s_xor_b64 exec, exec, s[6:7]
	s_cbranch_execz .LBB30_546
.LBB30_2596:
	v_mov_b32_e32 v10, 0
	v_cmp_ne_u16_sdwa s[8:9], v15, v10 src0_sel:BYTE_0 src1_sel:DWORD
	s_andn2_b64 s[4:5], s[4:5], exec
	s_and_b64 s[8:9], s[8:9], exec
	s_or_b64 s[4:5], s[4:5], s[8:9]
	s_or_b64 exec, exec, s[6:7]
	s_and_saveexec_b64 s[6:7], s[4:5]
	s_cbranch_execnz .LBB30_547
	s_branch .LBB30_548
.LBB30_2597:
	s_movk_i32 s4, 0x80
	v_cmp_eq_u16_sdwa s[12:13], v11, s4 src0_sel:BYTE_0 src1_sel:DWORD
	s_mov_b64 s[4:5], -1
                                        ; implicit-def: $sgpr10
	s_and_saveexec_b64 s[8:9], s[12:13]
; %bb.2598:
	s_mov_b32 s10, 0x7f800001
	s_xor_b64 s[4:5], exec, -1
; %bb.2599:
	s_or_b64 exec, exec, s[8:9]
	s_and_b64 s[4:5], s[4:5], exec
	s_or_saveexec_b64 s[6:7], s[6:7]
	v_mov_b32_e32 v14, s10
	s_xor_b64 exec, exec, s[6:7]
	s_cbranch_execz .LBB30_550
.LBB30_2600:
	v_mov_b32_e32 v14, 0
	v_cmp_ne_u16_sdwa s[8:9], v11, v14 src0_sel:BYTE_0 src1_sel:DWORD
	s_andn2_b64 s[4:5], s[4:5], exec
	s_and_b64 s[8:9], s[8:9], exec
	s_or_b64 s[4:5], s[4:5], s[8:9]
	s_or_b64 exec, exec, s[6:7]
	s_and_saveexec_b64 s[6:7], s[4:5]
	s_cbranch_execnz .LBB30_551
	s_branch .LBB30_552
.LBB30_2601:
	s_movk_i32 s4, 0x80
	v_cmp_eq_u16_sdwa s[12:13], v14, s4 src0_sel:BYTE_0 src1_sel:DWORD
	s_mov_b64 s[4:5], -1
                                        ; implicit-def: $sgpr10
	s_and_saveexec_b64 s[8:9], s[12:13]
; %bb.2602:
	s_mov_b32 s10, 0x7f800001
	s_xor_b64 s[4:5], exec, -1
; %bb.2603:
	s_or_b64 exec, exec, s[8:9]
	s_and_b64 s[4:5], s[4:5], exec
	s_or_saveexec_b64 s[6:7], s[6:7]
	v_mov_b32_e32 v10, s10
	s_xor_b64 exec, exec, s[6:7]
	s_cbranch_execz .LBB30_554
.LBB30_2604:
	v_mov_b32_e32 v10, 0
	v_cmp_ne_u16_sdwa s[8:9], v14, v10 src0_sel:BYTE_0 src1_sel:DWORD
	s_andn2_b64 s[4:5], s[4:5], exec
	s_and_b64 s[8:9], s[8:9], exec
	s_or_b64 s[4:5], s[4:5], s[8:9]
	s_or_b64 exec, exec, s[6:7]
	s_and_saveexec_b64 s[6:7], s[4:5]
	s_cbranch_execnz .LBB30_555
	s_branch .LBB30_556
.LBB30_2605:
	s_movk_i32 s4, 0x80
	v_cmp_eq_u16_sdwa s[12:13], v14, s4 src0_sel:BYTE_0 src1_sel:DWORD
	s_mov_b64 s[4:5], -1
                                        ; implicit-def: $sgpr10
	s_and_saveexec_b64 s[8:9], s[12:13]
; %bb.2606:
	s_mov_b32 s10, 0x7f800001
	s_xor_b64 s[4:5], exec, -1
; %bb.2607:
	s_or_b64 exec, exec, s[8:9]
	s_and_b64 s[4:5], s[4:5], exec
	s_or_saveexec_b64 s[6:7], s[6:7]
	v_mov_b32_e32 v20, s10
	s_xor_b64 exec, exec, s[6:7]
	s_cbranch_execz .LBB30_558
.LBB30_2608:
	v_mov_b32_e32 v20, 0
	v_cmp_ne_u16_sdwa s[8:9], v14, v20 src0_sel:BYTE_0 src1_sel:DWORD
	s_andn2_b64 s[4:5], s[4:5], exec
	s_and_b64 s[8:9], s[8:9], exec
	s_or_b64 s[4:5], s[4:5], s[8:9]
	s_or_b64 exec, exec, s[6:7]
	s_and_saveexec_b64 s[6:7], s[4:5]
	s_cbranch_execnz .LBB30_559
	s_branch .LBB30_560
.LBB30_2609:
	s_movk_i32 s4, 0x80
	v_cmp_eq_u16_e32 vcc, s4, v14
	s_mov_b64 s[4:5], -1
                                        ; implicit-def: $sgpr10
	s_and_saveexec_b64 s[8:9], vcc
; %bb.2610:
	s_mov_b32 s10, 0x7f800001
	s_xor_b64 s[4:5], exec, -1
; %bb.2611:
	s_or_b64 exec, exec, s[8:9]
	s_and_b64 s[4:5], s[4:5], exec
                                        ; implicit-def: $vgpr14
	s_or_saveexec_b64 s[6:7], s[6:7]
	v_mov_b32_e32 v10, s10
	s_xor_b64 exec, exec, s[6:7]
	s_cbranch_execz .LBB30_562
.LBB30_2612:
	v_cmp_ne_u16_e32 vcc, 0, v14
	s_andn2_b64 s[4:5], s[4:5], exec
	s_and_b64 s[8:9], vcc, exec
	v_mov_b32_e32 v10, 0
	s_or_b64 s[4:5], s[4:5], s[8:9]
	s_or_b64 exec, exec, s[6:7]
	s_and_saveexec_b64 s[6:7], s[4:5]
	s_cbranch_execnz .LBB30_563
	s_branch .LBB30_564
.LBB30_2613:
	s_movk_i32 s4, 0x80
	v_cmp_eq_u16_e32 vcc, s4, v14
	s_mov_b64 s[4:5], -1
                                        ; implicit-def: $sgpr10
	s_and_saveexec_b64 s[8:9], vcc
; %bb.2614:
	s_mov_b32 s10, 0x7f800001
	s_xor_b64 s[4:5], exec, -1
; %bb.2615:
	s_or_b64 exec, exec, s[8:9]
	s_and_b64 s[4:5], s[4:5], exec
                                        ; implicit-def: $vgpr14
	s_or_saveexec_b64 s[6:7], s[6:7]
	v_mov_b32_e32 v20, s10
	s_xor_b64 exec, exec, s[6:7]
	s_cbranch_execz .LBB30_566
.LBB30_2616:
	v_cmp_ne_u16_e32 vcc, 0, v14
	s_andn2_b64 s[4:5], s[4:5], exec
	s_and_b64 s[8:9], vcc, exec
	v_mov_b32_e32 v20, 0
	s_or_b64 s[4:5], s[4:5], s[8:9]
	s_or_b64 exec, exec, s[6:7]
	s_and_saveexec_b64 s[6:7], s[4:5]
	s_cbranch_execnz .LBB30_567
	s_branch .LBB30_568
.LBB30_2617:
	s_movk_i32 s4, 0x80
	v_cmp_eq_u16_sdwa s[12:13], v15, s4 src0_sel:BYTE_3 src1_sel:DWORD
	s_mov_b64 s[4:5], -1
                                        ; implicit-def: $sgpr10
	s_and_saveexec_b64 s[8:9], s[12:13]
; %bb.2618:
	s_mov_b32 s10, 0x7f800001
	s_xor_b64 s[4:5], exec, -1
; %bb.2619:
	s_or_b64 exec, exec, s[8:9]
	s_and_b64 s[4:5], s[4:5], exec
	s_or_saveexec_b64 s[6:7], s[6:7]
	v_mov_b32_e32 v10, s10
	s_xor_b64 exec, exec, s[6:7]
	s_cbranch_execz .LBB30_570
.LBB30_2620:
	v_mov_b32_e32 v10, 0
	v_cmp_ne_u16_sdwa s[8:9], v15, v10 src0_sel:BYTE_3 src1_sel:DWORD
	s_andn2_b64 s[4:5], s[4:5], exec
	s_and_b64 s[8:9], s[8:9], exec
	s_or_b64 s[4:5], s[4:5], s[8:9]
	s_or_b64 exec, exec, s[6:7]
	s_and_saveexec_b64 s[6:7], s[4:5]
	s_cbranch_execnz .LBB30_571
	s_branch .LBB30_572
.LBB30_2621:
	s_movk_i32 s4, 0x80
	v_cmp_eq_u16_sdwa s[12:13], v11, s4 src0_sel:BYTE_3 src1_sel:DWORD
	s_mov_b64 s[4:5], -1
                                        ; implicit-def: $sgpr10
	s_and_saveexec_b64 s[8:9], s[12:13]
; %bb.2622:
	s_mov_b32 s10, 0x7f800001
	s_xor_b64 s[4:5], exec, -1
; %bb.2623:
	s_or_b64 exec, exec, s[8:9]
	s_and_b64 s[4:5], s[4:5], exec
	s_or_saveexec_b64 s[6:7], s[6:7]
	v_mov_b32_e32 v14, s10
	s_xor_b64 exec, exec, s[6:7]
	s_cbranch_execz .LBB30_574
.LBB30_2624:
	v_mov_b32_e32 v14, 0
	v_cmp_ne_u16_sdwa s[8:9], v11, v14 src0_sel:BYTE_3 src1_sel:DWORD
	s_andn2_b64 s[4:5], s[4:5], exec
	s_and_b64 s[8:9], s[8:9], exec
	s_or_b64 s[4:5], s[4:5], s[8:9]
	s_or_b64 exec, exec, s[6:7]
	s_and_saveexec_b64 s[6:7], s[4:5]
	s_cbranch_execnz .LBB30_575
	s_branch .LBB30_576
.LBB30_2625:
	s_movk_i32 s4, 0x80
	v_cmp_eq_u16_sdwa s[12:13], v16, s4 src0_sel:BYTE_0 src1_sel:DWORD
	s_mov_b64 s[4:5], -1
                                        ; implicit-def: $sgpr10
	s_and_saveexec_b64 s[8:9], s[12:13]
; %bb.2626:
	s_mov_b32 s10, 0x7f800001
	s_xor_b64 s[4:5], exec, -1
; %bb.2627:
	s_or_b64 exec, exec, s[8:9]
	s_and_b64 s[4:5], s[4:5], exec
	s_or_saveexec_b64 s[6:7], s[6:7]
	v_mov_b32_e32 v10, s10
	s_xor_b64 exec, exec, s[6:7]
	s_cbranch_execz .LBB30_578
.LBB30_2628:
	v_mov_b32_e32 v10, 0
	v_cmp_ne_u16_sdwa s[8:9], v16, v10 src0_sel:BYTE_0 src1_sel:DWORD
	s_andn2_b64 s[4:5], s[4:5], exec
	s_and_b64 s[8:9], s[8:9], exec
	s_or_b64 s[4:5], s[4:5], s[8:9]
	s_or_b64 exec, exec, s[6:7]
	s_and_saveexec_b64 s[6:7], s[4:5]
	s_cbranch_execnz .LBB30_579
	s_branch .LBB30_580
.LBB30_2629:
	s_movk_i32 s4, 0x80
	v_cmp_eq_u16_sdwa s[12:13], v12, s4 src0_sel:BYTE_0 src1_sel:DWORD
	s_mov_b64 s[4:5], -1
                                        ; implicit-def: $sgpr10
	s_and_saveexec_b64 s[8:9], s[12:13]
; %bb.2630:
	s_mov_b32 s10, 0x7f800001
	s_xor_b64 s[4:5], exec, -1
; %bb.2631:
	s_or_b64 exec, exec, s[8:9]
	s_and_b64 s[4:5], s[4:5], exec
	s_or_saveexec_b64 s[6:7], s[6:7]
	v_mov_b32_e32 v11, s10
	s_xor_b64 exec, exec, s[6:7]
	s_cbranch_execz .LBB30_582
.LBB30_2632:
	v_mov_b32_e32 v11, 0
	v_cmp_ne_u16_sdwa s[8:9], v12, v11 src0_sel:BYTE_0 src1_sel:DWORD
	s_andn2_b64 s[4:5], s[4:5], exec
	s_and_b64 s[8:9], s[8:9], exec
	s_or_b64 s[4:5], s[4:5], s[8:9]
	s_or_b64 exec, exec, s[6:7]
	s_and_saveexec_b64 s[6:7], s[4:5]
	s_cbranch_execnz .LBB30_583
	s_branch .LBB30_584
.LBB30_2633:
	s_movk_i32 s4, 0x80
	v_cmp_eq_u16_sdwa s[12:13], v11, s4 src0_sel:BYTE_0 src1_sel:DWORD
	s_mov_b64 s[4:5], -1
                                        ; implicit-def: $sgpr10
	s_and_saveexec_b64 s[8:9], s[12:13]
; %bb.2634:
	s_mov_b32 s10, 0x7f800001
	s_xor_b64 s[4:5], exec, -1
; %bb.2635:
	s_or_b64 exec, exec, s[8:9]
	s_and_b64 s[4:5], s[4:5], exec
	s_or_saveexec_b64 s[6:7], s[6:7]
	v_mov_b32_e32 v10, s10
	s_xor_b64 exec, exec, s[6:7]
	s_cbranch_execz .LBB30_586
.LBB30_2636:
	v_mov_b32_e32 v10, 0
	v_cmp_ne_u16_sdwa s[8:9], v11, v10 src0_sel:BYTE_0 src1_sel:DWORD
	s_andn2_b64 s[4:5], s[4:5], exec
	s_and_b64 s[8:9], s[8:9], exec
	s_or_b64 s[4:5], s[4:5], s[8:9]
	s_or_b64 exec, exec, s[6:7]
	s_and_saveexec_b64 s[6:7], s[4:5]
	s_cbranch_execnz .LBB30_587
	s_branch .LBB30_588
.LBB30_2637:
	s_movk_i32 s4, 0x80
	v_cmp_eq_u16_sdwa s[12:13], v11, s4 src0_sel:BYTE_0 src1_sel:DWORD
	s_mov_b64 s[4:5], -1
                                        ; implicit-def: $sgpr10
	s_and_saveexec_b64 s[8:9], s[12:13]
; %bb.2638:
	s_mov_b32 s10, 0x7f800001
	s_xor_b64 s[4:5], exec, -1
; %bb.2639:
	s_or_b64 exec, exec, s[8:9]
	s_and_b64 s[4:5], s[4:5], exec
	s_or_saveexec_b64 s[6:7], s[6:7]
	v_mov_b32_e32 v14, s10
	s_xor_b64 exec, exec, s[6:7]
	s_cbranch_execz .LBB30_590
.LBB30_2640:
	v_mov_b32_e32 v14, 0
	v_cmp_ne_u16_sdwa s[8:9], v11, v14 src0_sel:BYTE_0 src1_sel:DWORD
	s_andn2_b64 s[4:5], s[4:5], exec
	s_and_b64 s[8:9], s[8:9], exec
	s_or_b64 s[4:5], s[4:5], s[8:9]
	s_or_b64 exec, exec, s[6:7]
	s_and_saveexec_b64 s[6:7], s[4:5]
	s_cbranch_execnz .LBB30_591
	s_branch .LBB30_592
.LBB30_2641:
	s_movk_i32 s4, 0x80
	v_cmp_eq_u16_e32 vcc, s4, v11
	s_mov_b64 s[4:5], -1
                                        ; implicit-def: $sgpr10
	s_and_saveexec_b64 s[8:9], vcc
; %bb.2642:
	s_mov_b32 s10, 0x7f800001
	s_xor_b64 s[4:5], exec, -1
; %bb.2643:
	s_or_b64 exec, exec, s[8:9]
	s_and_b64 s[4:5], s[4:5], exec
                                        ; implicit-def: $vgpr11
	s_or_saveexec_b64 s[6:7], s[6:7]
	v_mov_b32_e32 v10, s10
	s_xor_b64 exec, exec, s[6:7]
	s_cbranch_execz .LBB30_594
.LBB30_2644:
	v_cmp_ne_u16_e32 vcc, 0, v11
	s_andn2_b64 s[4:5], s[4:5], exec
	s_and_b64 s[8:9], vcc, exec
	v_mov_b32_e32 v10, 0
	s_or_b64 s[4:5], s[4:5], s[8:9]
	s_or_b64 exec, exec, s[6:7]
	s_and_saveexec_b64 s[6:7], s[4:5]
	s_cbranch_execnz .LBB30_595
	s_branch .LBB30_596
.LBB30_2645:
	s_movk_i32 s4, 0x80
	v_cmp_eq_u16_e32 vcc, s4, v11
	s_mov_b64 s[4:5], -1
                                        ; implicit-def: $sgpr10
	s_and_saveexec_b64 s[8:9], vcc
; %bb.2646:
	s_mov_b32 s10, 0x7f800001
	s_xor_b64 s[4:5], exec, -1
; %bb.2647:
	s_or_b64 exec, exec, s[8:9]
	s_and_b64 s[4:5], s[4:5], exec
                                        ; implicit-def: $vgpr11
	s_or_saveexec_b64 s[6:7], s[6:7]
	v_mov_b32_e32 v14, s10
	s_xor_b64 exec, exec, s[6:7]
	s_cbranch_execz .LBB30_598
.LBB30_2648:
	v_cmp_ne_u16_e32 vcc, 0, v11
	s_andn2_b64 s[4:5], s[4:5], exec
	s_and_b64 s[8:9], vcc, exec
	v_mov_b32_e32 v14, 0
	s_or_b64 s[4:5], s[4:5], s[8:9]
	s_or_b64 exec, exec, s[6:7]
	s_and_saveexec_b64 s[6:7], s[4:5]
	s_cbranch_execnz .LBB30_599
	s_branch .LBB30_600
.LBB30_2649:
	s_movk_i32 s4, 0x80
	v_cmp_eq_u16_sdwa s[12:13], v16, s4 src0_sel:BYTE_3 src1_sel:DWORD
	s_mov_b64 s[4:5], -1
                                        ; implicit-def: $sgpr10
	s_and_saveexec_b64 s[8:9], s[12:13]
; %bb.2650:
	s_mov_b32 s10, 0x7f800001
	s_xor_b64 s[4:5], exec, -1
; %bb.2651:
	s_or_b64 exec, exec, s[8:9]
	s_and_b64 s[4:5], s[4:5], exec
	s_or_saveexec_b64 s[6:7], s[6:7]
	v_mov_b32_e32 v10, s10
	s_xor_b64 exec, exec, s[6:7]
	s_cbranch_execz .LBB30_602
.LBB30_2652:
	v_mov_b32_e32 v10, 0
	v_cmp_ne_u16_sdwa s[8:9], v16, v10 src0_sel:BYTE_3 src1_sel:DWORD
	s_andn2_b64 s[4:5], s[4:5], exec
	s_and_b64 s[8:9], s[8:9], exec
	s_or_b64 s[4:5], s[4:5], s[8:9]
	s_or_b64 exec, exec, s[6:7]
	s_and_saveexec_b64 s[6:7], s[4:5]
	s_cbranch_execnz .LBB30_603
	s_branch .LBB30_604
.LBB30_2653:
	s_movk_i32 s4, 0x80
	v_cmp_eq_u16_sdwa s[12:13], v12, s4 src0_sel:BYTE_3 src1_sel:DWORD
	s_mov_b64 s[4:5], -1
                                        ; implicit-def: $sgpr10
	s_and_saveexec_b64 s[8:9], s[12:13]
; %bb.2654:
	s_mov_b32 s10, 0x7f800001
	s_xor_b64 s[4:5], exec, -1
; %bb.2655:
	s_or_b64 exec, exec, s[8:9]
	s_and_b64 s[4:5], s[4:5], exec
	s_or_saveexec_b64 s[6:7], s[6:7]
	v_mov_b32_e32 v11, s10
	s_xor_b64 exec, exec, s[6:7]
	s_cbranch_execz .LBB30_606
.LBB30_2656:
	v_mov_b32_e32 v11, 0
	v_cmp_ne_u16_sdwa s[8:9], v12, v11 src0_sel:BYTE_3 src1_sel:DWORD
	s_andn2_b64 s[4:5], s[4:5], exec
	s_and_b64 s[8:9], s[8:9], exec
	s_or_b64 s[4:5], s[4:5], s[8:9]
	s_or_b64 exec, exec, s[6:7]
	s_and_saveexec_b64 s[6:7], s[4:5]
	s_cbranch_execnz .LBB30_607
	s_branch .LBB30_608
.LBB30_2657:
	s_movk_i32 s4, 0x80
	v_cmp_eq_u16_sdwa s[12:13], v17, s4 src0_sel:BYTE_0 src1_sel:DWORD
	s_mov_b64 s[4:5], -1
                                        ; implicit-def: $sgpr10
	s_and_saveexec_b64 s[8:9], s[12:13]
; %bb.2658:
	s_mov_b32 s10, 0x7f800001
	s_xor_b64 s[4:5], exec, -1
; %bb.2659:
	s_or_b64 exec, exec, s[8:9]
	s_and_b64 s[4:5], s[4:5], exec
	s_or_saveexec_b64 s[6:7], s[6:7]
	v_mov_b32_e32 v10, s10
	s_xor_b64 exec, exec, s[6:7]
	s_cbranch_execz .LBB30_610
.LBB30_2660:
	v_mov_b32_e32 v10, 0
	v_cmp_ne_u16_sdwa s[8:9], v17, v10 src0_sel:BYTE_0 src1_sel:DWORD
	s_andn2_b64 s[4:5], s[4:5], exec
	s_and_b64 s[8:9], s[8:9], exec
	s_or_b64 s[4:5], s[4:5], s[8:9]
	s_or_b64 exec, exec, s[6:7]
	s_and_saveexec_b64 s[6:7], s[4:5]
	s_cbranch_execnz .LBB30_611
	s_branch .LBB30_612
.LBB30_2661:
	s_movk_i32 s4, 0x80
	v_cmp_eq_u16_sdwa s[12:13], v13, s4 src0_sel:BYTE_0 src1_sel:DWORD
	s_mov_b64 s[4:5], -1
                                        ; implicit-def: $sgpr10
	s_and_saveexec_b64 s[8:9], s[12:13]
; %bb.2662:
	s_mov_b32 s10, 0x7f800001
	s_xor_b64 s[4:5], exec, -1
; %bb.2663:
	s_or_b64 exec, exec, s[8:9]
	s_and_b64 s[4:5], s[4:5], exec
	s_or_saveexec_b64 s[6:7], s[6:7]
	v_mov_b32_e32 v11, s10
	s_xor_b64 exec, exec, s[6:7]
	s_cbranch_execz .LBB30_614
.LBB30_2664:
	v_mov_b32_e32 v11, 0
	v_cmp_ne_u16_sdwa s[8:9], v13, v11 src0_sel:BYTE_0 src1_sel:DWORD
	s_andn2_b64 s[4:5], s[4:5], exec
	s_and_b64 s[8:9], s[8:9], exec
	s_or_b64 s[4:5], s[4:5], s[8:9]
	s_or_b64 exec, exec, s[6:7]
	s_and_saveexec_b64 s[6:7], s[4:5]
	s_cbranch_execnz .LBB30_615
	s_branch .LBB30_616
.LBB30_2665:
	s_movk_i32 s4, 0x80
	v_cmp_eq_u16_sdwa s[12:13], v11, s4 src0_sel:BYTE_0 src1_sel:DWORD
	s_mov_b64 s[4:5], -1
                                        ; implicit-def: $sgpr10
	s_and_saveexec_b64 s[8:9], s[12:13]
; %bb.2666:
	s_mov_b32 s10, 0x7f800001
	s_xor_b64 s[4:5], exec, -1
; %bb.2667:
	s_or_b64 exec, exec, s[8:9]
	s_and_b64 s[4:5], s[4:5], exec
	s_or_saveexec_b64 s[6:7], s[6:7]
	v_mov_b32_e32 v10, s10
	s_xor_b64 exec, exec, s[6:7]
	s_cbranch_execz .LBB30_618
.LBB30_2668:
	v_mov_b32_e32 v10, 0
	v_cmp_ne_u16_sdwa s[8:9], v11, v10 src0_sel:BYTE_0 src1_sel:DWORD
	s_andn2_b64 s[4:5], s[4:5], exec
	s_and_b64 s[8:9], s[8:9], exec
	s_or_b64 s[4:5], s[4:5], s[8:9]
	s_or_b64 exec, exec, s[6:7]
	s_and_saveexec_b64 s[6:7], s[4:5]
	s_cbranch_execnz .LBB30_619
	s_branch .LBB30_620
.LBB30_2669:
	s_movk_i32 s4, 0x80
	v_cmp_eq_u16_sdwa s[12:13], v11, s4 src0_sel:BYTE_0 src1_sel:DWORD
	s_mov_b64 s[4:5], -1
                                        ; implicit-def: $sgpr10
	s_and_saveexec_b64 s[8:9], s[12:13]
; %bb.2670:
	s_mov_b32 s10, 0x7f800001
	s_xor_b64 s[4:5], exec, -1
; %bb.2671:
	s_or_b64 exec, exec, s[8:9]
	s_and_b64 s[4:5], s[4:5], exec
	s_or_saveexec_b64 s[6:7], s[6:7]
	v_mov_b32_e32 v12, s10
	s_xor_b64 exec, exec, s[6:7]
	s_cbranch_execz .LBB30_622
.LBB30_2672:
	v_mov_b32_e32 v12, 0
	v_cmp_ne_u16_sdwa s[8:9], v11, v12 src0_sel:BYTE_0 src1_sel:DWORD
	s_andn2_b64 s[4:5], s[4:5], exec
	s_and_b64 s[8:9], s[8:9], exec
	s_or_b64 s[4:5], s[4:5], s[8:9]
	s_or_b64 exec, exec, s[6:7]
	s_and_saveexec_b64 s[6:7], s[4:5]
	s_cbranch_execnz .LBB30_623
	s_branch .LBB30_624
.LBB30_2673:
	s_movk_i32 s4, 0x80
	v_cmp_eq_u16_e32 vcc, s4, v11
	s_mov_b64 s[4:5], -1
                                        ; implicit-def: $sgpr10
	s_and_saveexec_b64 s[8:9], vcc
; %bb.2674:
	s_mov_b32 s10, 0x7f800001
	s_xor_b64 s[4:5], exec, -1
; %bb.2675:
	s_or_b64 exec, exec, s[8:9]
	s_and_b64 s[4:5], s[4:5], exec
                                        ; implicit-def: $vgpr11
	s_or_saveexec_b64 s[6:7], s[6:7]
	v_mov_b32_e32 v10, s10
	s_xor_b64 exec, exec, s[6:7]
	s_cbranch_execz .LBB30_626
.LBB30_2676:
	v_cmp_ne_u16_e32 vcc, 0, v11
	s_andn2_b64 s[4:5], s[4:5], exec
	s_and_b64 s[8:9], vcc, exec
	v_mov_b32_e32 v10, 0
	s_or_b64 s[4:5], s[4:5], s[8:9]
	s_or_b64 exec, exec, s[6:7]
	s_and_saveexec_b64 s[6:7], s[4:5]
	s_cbranch_execnz .LBB30_627
	s_branch .LBB30_628
.LBB30_2677:
	s_movk_i32 s4, 0x80
	v_cmp_eq_u16_e32 vcc, s4, v11
	s_mov_b64 s[4:5], -1
                                        ; implicit-def: $sgpr10
	s_and_saveexec_b64 s[8:9], vcc
; %bb.2678:
	s_mov_b32 s10, 0x7f800001
	s_xor_b64 s[4:5], exec, -1
; %bb.2679:
	s_or_b64 exec, exec, s[8:9]
	s_and_b64 s[4:5], s[4:5], exec
                                        ; implicit-def: $vgpr11
	s_or_saveexec_b64 s[6:7], s[6:7]
	v_mov_b32_e32 v12, s10
	s_xor_b64 exec, exec, s[6:7]
	s_cbranch_execz .LBB30_630
.LBB30_2680:
	v_cmp_ne_u16_e32 vcc, 0, v11
	s_andn2_b64 s[4:5], s[4:5], exec
	s_and_b64 s[8:9], vcc, exec
	v_mov_b32_e32 v12, 0
	s_or_b64 s[4:5], s[4:5], s[8:9]
	s_or_b64 exec, exec, s[6:7]
	s_and_saveexec_b64 s[6:7], s[4:5]
	s_cbranch_execnz .LBB30_631
	s_branch .LBB30_632
.LBB30_2681:
	s_movk_i32 s4, 0x80
	v_cmp_eq_u16_sdwa s[12:13], v17, s4 src0_sel:BYTE_3 src1_sel:DWORD
	s_mov_b64 s[4:5], -1
                                        ; implicit-def: $sgpr10
	s_and_saveexec_b64 s[8:9], s[12:13]
; %bb.2682:
	s_mov_b32 s10, 0x7f800001
	s_xor_b64 s[4:5], exec, -1
; %bb.2683:
	s_or_b64 exec, exec, s[8:9]
	s_and_b64 s[4:5], s[4:5], exec
	s_or_saveexec_b64 s[6:7], s[6:7]
	v_mov_b32_e32 v10, s10
	s_xor_b64 exec, exec, s[6:7]
	s_cbranch_execz .LBB30_634
.LBB30_2684:
	v_mov_b32_e32 v10, 0
	v_cmp_ne_u16_sdwa s[8:9], v17, v10 src0_sel:BYTE_3 src1_sel:DWORD
	s_andn2_b64 s[4:5], s[4:5], exec
	s_and_b64 s[8:9], s[8:9], exec
	s_or_b64 s[4:5], s[4:5], s[8:9]
	s_or_b64 exec, exec, s[6:7]
	s_and_saveexec_b64 s[6:7], s[4:5]
	s_cbranch_execnz .LBB30_635
	s_branch .LBB30_636
.LBB30_2685:
	s_movk_i32 s4, 0x80
	v_cmp_eq_u16_sdwa s[12:13], v13, s4 src0_sel:BYTE_3 src1_sel:DWORD
	s_mov_b64 s[4:5], -1
                                        ; implicit-def: $sgpr10
	s_and_saveexec_b64 s[8:9], s[12:13]
; %bb.2686:
	s_mov_b32 s10, 0x7f800001
	s_xor_b64 s[4:5], exec, -1
; %bb.2687:
	s_or_b64 exec, exec, s[8:9]
	s_and_b64 s[4:5], s[4:5], exec
	s_or_saveexec_b64 s[6:7], s[6:7]
	v_mov_b32_e32 v11, s10
	s_xor_b64 exec, exec, s[6:7]
	s_cbranch_execz .LBB30_638
.LBB30_2688:
	v_mov_b32_e32 v11, 0
	v_cmp_ne_u16_sdwa s[8:9], v13, v11 src0_sel:BYTE_3 src1_sel:DWORD
	s_andn2_b64 s[4:5], s[4:5], exec
	s_and_b64 s[8:9], s[8:9], exec
	s_or_b64 s[4:5], s[4:5], s[8:9]
	s_or_b64 exec, exec, s[6:7]
	s_and_saveexec_b64 s[6:7], s[4:5]
	s_cbranch_execnz .LBB30_639
	s_branch .LBB30_640
.LBB30_2689:
	s_movk_i32 s4, 0x80
	v_cmp_eq_u16_sdwa s[12:13], v6, s4 src0_sel:BYTE_0 src1_sel:DWORD
	s_mov_b64 s[4:5], -1
                                        ; implicit-def: $sgpr10
	s_and_saveexec_b64 s[8:9], s[12:13]
; %bb.2690:
	s_mov_b32 s10, 0x7f800001
	s_xor_b64 s[4:5], exec, -1
; %bb.2691:
	s_or_b64 exec, exec, s[8:9]
	s_and_b64 s[4:5], s[4:5], exec
	s_or_saveexec_b64 s[6:7], s[6:7]
	v_mov_b32_e32 v10, s10
	s_xor_b64 exec, exec, s[6:7]
	s_cbranch_execz .LBB30_642
.LBB30_2692:
	v_mov_b32_e32 v10, 0
	v_cmp_ne_u16_sdwa s[8:9], v6, v10 src0_sel:BYTE_0 src1_sel:DWORD
	s_andn2_b64 s[4:5], s[4:5], exec
	s_and_b64 s[8:9], s[8:9], exec
	s_or_b64 s[4:5], s[4:5], s[8:9]
	s_or_b64 exec, exec, s[6:7]
	s_and_saveexec_b64 s[6:7], s[4:5]
	s_cbranch_execnz .LBB30_643
	s_branch .LBB30_644
.LBB30_2693:
	s_movk_i32 s4, 0x80
	v_cmp_eq_u16_sdwa s[12:13], v2, s4 src0_sel:BYTE_0 src1_sel:DWORD
	s_mov_b64 s[4:5], -1
                                        ; implicit-def: $sgpr10
	s_and_saveexec_b64 s[8:9], s[12:13]
; %bb.2694:
	s_mov_b32 s10, 0x7f800001
	s_xor_b64 s[4:5], exec, -1
; %bb.2695:
	s_or_b64 exec, exec, s[8:9]
	s_and_b64 s[4:5], s[4:5], exec
	s_or_saveexec_b64 s[6:7], s[6:7]
	v_mov_b32_e32 v11, s10
	s_xor_b64 exec, exec, s[6:7]
	s_cbranch_execz .LBB30_646
.LBB30_2696:
	v_mov_b32_e32 v11, 0
	v_cmp_ne_u16_sdwa s[8:9], v2, v11 src0_sel:BYTE_0 src1_sel:DWORD
	s_andn2_b64 s[4:5], s[4:5], exec
	s_and_b64 s[8:9], s[8:9], exec
	s_or_b64 s[4:5], s[4:5], s[8:9]
	s_or_b64 exec, exec, s[6:7]
	s_and_saveexec_b64 s[6:7], s[4:5]
	s_cbranch_execnz .LBB30_647
	s_branch .LBB30_648
.LBB30_2697:
	s_movk_i32 s4, 0x80
	v_cmp_eq_u16_sdwa s[12:13], v11, s4 src0_sel:BYTE_0 src1_sel:DWORD
	s_mov_b64 s[4:5], -1
                                        ; implicit-def: $sgpr10
	s_and_saveexec_b64 s[8:9], s[12:13]
; %bb.2698:
	s_mov_b32 s10, 0x7f800001
	s_xor_b64 s[4:5], exec, -1
; %bb.2699:
	s_or_b64 exec, exec, s[8:9]
	s_and_b64 s[4:5], s[4:5], exec
	s_or_saveexec_b64 s[6:7], s[6:7]
	v_mov_b32_e32 v10, s10
	s_xor_b64 exec, exec, s[6:7]
	s_cbranch_execz .LBB30_650
.LBB30_2700:
	v_mov_b32_e32 v10, 0
	v_cmp_ne_u16_sdwa s[8:9], v11, v10 src0_sel:BYTE_0 src1_sel:DWORD
	s_andn2_b64 s[4:5], s[4:5], exec
	s_and_b64 s[8:9], s[8:9], exec
	s_or_b64 s[4:5], s[4:5], s[8:9]
	s_or_b64 exec, exec, s[6:7]
	s_and_saveexec_b64 s[6:7], s[4:5]
	s_cbranch_execnz .LBB30_651
	s_branch .LBB30_652
.LBB30_2701:
	s_movk_i32 s4, 0x80
	v_cmp_eq_u16_sdwa s[12:13], v11, s4 src0_sel:BYTE_0 src1_sel:DWORD
	s_mov_b64 s[4:5], -1
                                        ; implicit-def: $sgpr10
	s_and_saveexec_b64 s[8:9], s[12:13]
; %bb.2702:
	s_mov_b32 s10, 0x7f800001
	s_xor_b64 s[4:5], exec, -1
; %bb.2703:
	s_or_b64 exec, exec, s[8:9]
	s_and_b64 s[4:5], s[4:5], exec
	s_or_saveexec_b64 s[6:7], s[6:7]
	v_mov_b32_e32 v12, s10
	s_xor_b64 exec, exec, s[6:7]
	s_cbranch_execz .LBB30_654
.LBB30_2704:
	v_mov_b32_e32 v12, 0
	v_cmp_ne_u16_sdwa s[8:9], v11, v12 src0_sel:BYTE_0 src1_sel:DWORD
	s_andn2_b64 s[4:5], s[4:5], exec
	s_and_b64 s[8:9], s[8:9], exec
	s_or_b64 s[4:5], s[4:5], s[8:9]
	s_or_b64 exec, exec, s[6:7]
	s_and_saveexec_b64 s[6:7], s[4:5]
	s_cbranch_execnz .LBB30_655
	s_branch .LBB30_656
.LBB30_2705:
	s_movk_i32 s4, 0x80
	v_cmp_eq_u16_e32 vcc, s4, v11
	s_mov_b64 s[4:5], -1
                                        ; implicit-def: $sgpr10
	s_and_saveexec_b64 s[8:9], vcc
; %bb.2706:
	s_mov_b32 s10, 0x7f800001
	s_xor_b64 s[4:5], exec, -1
; %bb.2707:
	s_or_b64 exec, exec, s[8:9]
	s_and_b64 s[4:5], s[4:5], exec
                                        ; implicit-def: $vgpr11
	s_or_saveexec_b64 s[6:7], s[6:7]
	v_mov_b32_e32 v10, s10
	s_xor_b64 exec, exec, s[6:7]
	s_cbranch_execz .LBB30_658
.LBB30_2708:
	v_cmp_ne_u16_e32 vcc, 0, v11
	s_andn2_b64 s[4:5], s[4:5], exec
	s_and_b64 s[8:9], vcc, exec
	v_mov_b32_e32 v10, 0
	s_or_b64 s[4:5], s[4:5], s[8:9]
	s_or_b64 exec, exec, s[6:7]
	s_and_saveexec_b64 s[6:7], s[4:5]
	s_cbranch_execnz .LBB30_659
	s_branch .LBB30_660
.LBB30_2709:
	s_movk_i32 s4, 0x80
	v_cmp_eq_u16_e32 vcc, s4, v11
	s_mov_b64 s[4:5], -1
                                        ; implicit-def: $sgpr10
	s_and_saveexec_b64 s[8:9], vcc
; %bb.2710:
	s_mov_b32 s10, 0x7f800001
	s_xor_b64 s[4:5], exec, -1
; %bb.2711:
	s_or_b64 exec, exec, s[8:9]
	s_and_b64 s[4:5], s[4:5], exec
                                        ; implicit-def: $vgpr11
	s_or_saveexec_b64 s[6:7], s[6:7]
	v_mov_b32_e32 v12, s10
	s_xor_b64 exec, exec, s[6:7]
	s_cbranch_execz .LBB30_662
.LBB30_2712:
	v_cmp_ne_u16_e32 vcc, 0, v11
	s_andn2_b64 s[4:5], s[4:5], exec
	s_and_b64 s[8:9], vcc, exec
	v_mov_b32_e32 v12, 0
	s_or_b64 s[4:5], s[4:5], s[8:9]
	s_or_b64 exec, exec, s[6:7]
	s_and_saveexec_b64 s[6:7], s[4:5]
	s_cbranch_execnz .LBB30_663
	s_branch .LBB30_664
.LBB30_2713:
	s_movk_i32 s4, 0x80
	v_cmp_eq_u16_sdwa s[12:13], v6, s4 src0_sel:BYTE_3 src1_sel:DWORD
	s_mov_b64 s[4:5], -1
                                        ; implicit-def: $sgpr10
	s_and_saveexec_b64 s[8:9], s[12:13]
; %bb.2714:
	s_mov_b32 s10, 0x7f800001
	s_xor_b64 s[4:5], exec, -1
; %bb.2715:
	s_or_b64 exec, exec, s[8:9]
	s_and_b64 s[4:5], s[4:5], exec
	s_or_saveexec_b64 s[6:7], s[6:7]
	v_mov_b32_e32 v10, s10
	s_xor_b64 exec, exec, s[6:7]
	s_cbranch_execz .LBB30_666
.LBB30_2716:
	v_mov_b32_e32 v10, 0
	v_cmp_ne_u16_sdwa s[8:9], v6, v10 src0_sel:BYTE_3 src1_sel:DWORD
	s_andn2_b64 s[4:5], s[4:5], exec
	s_and_b64 s[8:9], s[8:9], exec
	s_or_b64 s[4:5], s[4:5], s[8:9]
	s_or_b64 exec, exec, s[6:7]
	s_and_saveexec_b64 s[6:7], s[4:5]
	s_cbranch_execnz .LBB30_667
	s_branch .LBB30_668
.LBB30_2717:
	s_movk_i32 s4, 0x80
	v_cmp_eq_u16_sdwa s[12:13], v2, s4 src0_sel:BYTE_3 src1_sel:DWORD
	s_mov_b64 s[4:5], -1
                                        ; implicit-def: $sgpr10
	s_and_saveexec_b64 s[8:9], s[12:13]
; %bb.2718:
	s_mov_b32 s10, 0x7f800001
	s_xor_b64 s[4:5], exec, -1
; %bb.2719:
	s_or_b64 exec, exec, s[8:9]
	s_and_b64 s[4:5], s[4:5], exec
	s_or_saveexec_b64 s[6:7], s[6:7]
	v_mov_b32_e32 v6, s10
	s_xor_b64 exec, exec, s[6:7]
	s_cbranch_execz .LBB30_670
.LBB30_2720:
	v_mov_b32_e32 v6, 0
	v_cmp_ne_u16_sdwa s[8:9], v2, v6 src0_sel:BYTE_3 src1_sel:DWORD
	s_andn2_b64 s[4:5], s[4:5], exec
	s_and_b64 s[8:9], s[8:9], exec
	s_or_b64 s[4:5], s[4:5], s[8:9]
	s_or_b64 exec, exec, s[6:7]
	s_and_saveexec_b64 s[6:7], s[4:5]
	s_cbranch_execnz .LBB30_671
	s_branch .LBB30_672
.LBB30_2721:
	s_movk_i32 s4, 0x80
	v_cmp_eq_u16_sdwa s[12:13], v7, s4 src0_sel:BYTE_0 src1_sel:DWORD
	s_mov_b64 s[4:5], -1
                                        ; implicit-def: $sgpr10
	s_and_saveexec_b64 s[8:9], s[12:13]
; %bb.2722:
	s_mov_b32 s10, 0x7f800001
	s_xor_b64 s[4:5], exec, -1
; %bb.2723:
	s_or_b64 exec, exec, s[8:9]
	s_and_b64 s[4:5], s[4:5], exec
	s_or_saveexec_b64 s[6:7], s[6:7]
	v_mov_b32_e32 v2, s10
	s_xor_b64 exec, exec, s[6:7]
	s_cbranch_execz .LBB30_674
.LBB30_2724:
	v_mov_b32_e32 v2, 0
	v_cmp_ne_u16_sdwa s[8:9], v7, v2 src0_sel:BYTE_0 src1_sel:DWORD
	s_andn2_b64 s[4:5], s[4:5], exec
	s_and_b64 s[8:9], s[8:9], exec
	s_or_b64 s[4:5], s[4:5], s[8:9]
	s_or_b64 exec, exec, s[6:7]
	s_and_saveexec_b64 s[6:7], s[4:5]
	s_cbranch_execnz .LBB30_675
	s_branch .LBB30_676
.LBB30_2725:
	s_movk_i32 s4, 0x80
	v_cmp_eq_u16_sdwa s[12:13], v3, s4 src0_sel:BYTE_0 src1_sel:DWORD
	s_mov_b64 s[4:5], -1
                                        ; implicit-def: $sgpr10
	s_and_saveexec_b64 s[8:9], s[12:13]
; %bb.2726:
	s_mov_b32 s10, 0x7f800001
	s_xor_b64 s[4:5], exec, -1
; %bb.2727:
	s_or_b64 exec, exec, s[8:9]
	s_and_b64 s[4:5], s[4:5], exec
	s_or_saveexec_b64 s[6:7], s[6:7]
	v_mov_b32_e32 v6, s10
	s_xor_b64 exec, exec, s[6:7]
	s_cbranch_execz .LBB30_678
.LBB30_2728:
	v_mov_b32_e32 v6, 0
	v_cmp_ne_u16_sdwa s[8:9], v3, v6 src0_sel:BYTE_0 src1_sel:DWORD
	s_andn2_b64 s[4:5], s[4:5], exec
	s_and_b64 s[8:9], s[8:9], exec
	s_or_b64 s[4:5], s[4:5], s[8:9]
	s_or_b64 exec, exec, s[6:7]
	s_and_saveexec_b64 s[6:7], s[4:5]
	s_cbranch_execnz .LBB30_679
	s_branch .LBB30_680
.LBB30_2729:
	s_movk_i32 s4, 0x80
	v_cmp_eq_u16_sdwa s[12:13], v6, s4 src0_sel:BYTE_0 src1_sel:DWORD
	s_mov_b64 s[4:5], -1
                                        ; implicit-def: $sgpr10
	s_and_saveexec_b64 s[8:9], s[12:13]
; %bb.2730:
	s_mov_b32 s10, 0x7f800001
	s_xor_b64 s[4:5], exec, -1
; %bb.2731:
	s_or_b64 exec, exec, s[8:9]
	s_and_b64 s[4:5], s[4:5], exec
	s_or_saveexec_b64 s[6:7], s[6:7]
	v_mov_b32_e32 v2, s10
	s_xor_b64 exec, exec, s[6:7]
	s_cbranch_execz .LBB30_682
.LBB30_2732:
	v_mov_b32_e32 v2, 0
	v_cmp_ne_u16_sdwa s[8:9], v6, v2 src0_sel:BYTE_0 src1_sel:DWORD
	s_andn2_b64 s[4:5], s[4:5], exec
	s_and_b64 s[8:9], s[8:9], exec
	s_or_b64 s[4:5], s[4:5], s[8:9]
	s_or_b64 exec, exec, s[6:7]
	s_and_saveexec_b64 s[6:7], s[4:5]
	s_cbranch_execnz .LBB30_683
	s_branch .LBB30_684
.LBB30_2733:
	s_movk_i32 s4, 0x80
	v_cmp_eq_u16_sdwa s[12:13], v6, s4 src0_sel:BYTE_0 src1_sel:DWORD
	s_mov_b64 s[4:5], -1
                                        ; implicit-def: $sgpr10
	s_and_saveexec_b64 s[8:9], s[12:13]
; %bb.2734:
	s_mov_b32 s10, 0x7f800001
	s_xor_b64 s[4:5], exec, -1
; %bb.2735:
	s_or_b64 exec, exec, s[8:9]
	s_and_b64 s[4:5], s[4:5], exec
	s_or_saveexec_b64 s[6:7], s[6:7]
	v_mov_b32_e32 v10, s10
	s_xor_b64 exec, exec, s[6:7]
	s_cbranch_execz .LBB30_686
.LBB30_2736:
	v_mov_b32_e32 v10, 0
	v_cmp_ne_u16_sdwa s[8:9], v6, v10 src0_sel:BYTE_0 src1_sel:DWORD
	s_andn2_b64 s[4:5], s[4:5], exec
	s_and_b64 s[8:9], s[8:9], exec
	s_or_b64 s[4:5], s[4:5], s[8:9]
	s_or_b64 exec, exec, s[6:7]
	s_and_saveexec_b64 s[6:7], s[4:5]
	s_cbranch_execnz .LBB30_687
	s_branch .LBB30_688
.LBB30_2737:
	s_movk_i32 s4, 0x80
	v_cmp_eq_u16_e32 vcc, s4, v6
	s_mov_b64 s[4:5], -1
                                        ; implicit-def: $sgpr10
	s_and_saveexec_b64 s[8:9], vcc
; %bb.2738:
	s_mov_b32 s10, 0x7f800001
	s_xor_b64 s[4:5], exec, -1
; %bb.2739:
	s_or_b64 exec, exec, s[8:9]
	s_and_b64 s[4:5], s[4:5], exec
                                        ; implicit-def: $vgpr6
	s_or_saveexec_b64 s[6:7], s[6:7]
	v_mov_b32_e32 v2, s10
	s_xor_b64 exec, exec, s[6:7]
	s_cbranch_execz .LBB30_690
.LBB30_2740:
	v_cmp_ne_u16_e32 vcc, 0, v6
	s_andn2_b64 s[4:5], s[4:5], exec
	s_and_b64 s[8:9], vcc, exec
	v_mov_b32_e32 v2, 0
	s_or_b64 s[4:5], s[4:5], s[8:9]
	s_or_b64 exec, exec, s[6:7]
	s_and_saveexec_b64 s[6:7], s[4:5]
	s_cbranch_execnz .LBB30_691
	s_branch .LBB30_692
.LBB30_2741:
	s_movk_i32 s4, 0x80
	v_cmp_eq_u16_e32 vcc, s4, v6
	s_mov_b64 s[4:5], -1
                                        ; implicit-def: $sgpr10
	s_and_saveexec_b64 s[8:9], vcc
; %bb.2742:
	s_mov_b32 s10, 0x7f800001
	s_xor_b64 s[4:5], exec, -1
; %bb.2743:
	s_or_b64 exec, exec, s[8:9]
	s_and_b64 s[4:5], s[4:5], exec
                                        ; implicit-def: $vgpr6
	s_or_saveexec_b64 s[6:7], s[6:7]
	v_mov_b32_e32 v10, s10
	s_xor_b64 exec, exec, s[6:7]
	s_cbranch_execz .LBB30_694
.LBB30_2744:
	v_cmp_ne_u16_e32 vcc, 0, v6
	s_andn2_b64 s[4:5], s[4:5], exec
	s_and_b64 s[8:9], vcc, exec
	v_mov_b32_e32 v10, 0
	s_or_b64 s[4:5], s[4:5], s[8:9]
	s_or_b64 exec, exec, s[6:7]
	s_and_saveexec_b64 s[6:7], s[4:5]
	s_cbranch_execnz .LBB30_695
	s_branch .LBB30_696
.LBB30_2745:
	s_movk_i32 s4, 0x80
	v_cmp_eq_u16_sdwa s[12:13], v7, s4 src0_sel:BYTE_3 src1_sel:DWORD
	s_mov_b64 s[4:5], -1
                                        ; implicit-def: $sgpr10
	s_and_saveexec_b64 s[8:9], s[12:13]
; %bb.2746:
	s_mov_b32 s10, 0x7f800001
	s_xor_b64 s[4:5], exec, -1
; %bb.2747:
	s_or_b64 exec, exec, s[8:9]
	s_and_b64 s[4:5], s[4:5], exec
	s_or_saveexec_b64 s[6:7], s[6:7]
	v_mov_b32_e32 v2, s10
	s_xor_b64 exec, exec, s[6:7]
	s_cbranch_execz .LBB30_698
.LBB30_2748:
	v_mov_b32_e32 v2, 0
	v_cmp_ne_u16_sdwa s[8:9], v7, v2 src0_sel:BYTE_3 src1_sel:DWORD
	s_andn2_b64 s[4:5], s[4:5], exec
	s_and_b64 s[8:9], s[8:9], exec
	s_or_b64 s[4:5], s[4:5], s[8:9]
	s_or_b64 exec, exec, s[6:7]
	s_and_saveexec_b64 s[6:7], s[4:5]
	s_cbranch_execnz .LBB30_699
	s_branch .LBB30_700
.LBB30_2749:
	s_movk_i32 s4, 0x80
	v_cmp_eq_u16_sdwa s[12:13], v3, s4 src0_sel:BYTE_3 src1_sel:DWORD
	s_mov_b64 s[4:5], -1
                                        ; implicit-def: $sgpr10
	s_and_saveexec_b64 s[8:9], s[12:13]
; %bb.2750:
	s_mov_b32 s10, 0x7f800001
	s_xor_b64 s[4:5], exec, -1
; %bb.2751:
	s_or_b64 exec, exec, s[8:9]
	s_and_b64 s[4:5], s[4:5], exec
	s_or_saveexec_b64 s[6:7], s[6:7]
	v_mov_b32_e32 v6, s10
	s_xor_b64 exec, exec, s[6:7]
	s_cbranch_execz .LBB30_702
.LBB30_2752:
	v_mov_b32_e32 v6, 0
	v_cmp_ne_u16_sdwa s[8:9], v3, v6 src0_sel:BYTE_3 src1_sel:DWORD
	s_andn2_b64 s[4:5], s[4:5], exec
	s_and_b64 s[8:9], s[8:9], exec
	s_or_b64 s[4:5], s[4:5], s[8:9]
	s_or_b64 exec, exec, s[6:7]
	s_and_saveexec_b64 s[6:7], s[4:5]
	s_cbranch_execnz .LBB30_703
	s_branch .LBB30_704
.LBB30_2753:
	s_movk_i32 s4, 0x80
	v_cmp_eq_u16_sdwa s[12:13], v8, s4 src0_sel:BYTE_0 src1_sel:DWORD
	s_mov_b64 s[4:5], -1
                                        ; implicit-def: $sgpr10
	s_and_saveexec_b64 s[8:9], s[12:13]
; %bb.2754:
	s_mov_b32 s10, 0x7f800001
	s_xor_b64 s[4:5], exec, -1
; %bb.2755:
	s_or_b64 exec, exec, s[8:9]
	s_and_b64 s[4:5], s[4:5], exec
	s_or_saveexec_b64 s[6:7], s[6:7]
	v_mov_b32_e32 v2, s10
	s_xor_b64 exec, exec, s[6:7]
	s_cbranch_execz .LBB30_706
.LBB30_2756:
	v_mov_b32_e32 v2, 0
	v_cmp_ne_u16_sdwa s[8:9], v8, v2 src0_sel:BYTE_0 src1_sel:DWORD
	s_andn2_b64 s[4:5], s[4:5], exec
	s_and_b64 s[8:9], s[8:9], exec
	s_or_b64 s[4:5], s[4:5], s[8:9]
	s_or_b64 exec, exec, s[6:7]
	s_and_saveexec_b64 s[6:7], s[4:5]
	s_cbranch_execnz .LBB30_707
	s_branch .LBB30_708
.LBB30_2757:
	s_movk_i32 s4, 0x80
	v_cmp_eq_u16_sdwa s[12:13], v4, s4 src0_sel:BYTE_0 src1_sel:DWORD
	s_mov_b64 s[4:5], -1
                                        ; implicit-def: $sgpr10
	s_and_saveexec_b64 s[8:9], s[12:13]
; %bb.2758:
	s_mov_b32 s10, 0x7f800001
	s_xor_b64 s[4:5], exec, -1
; %bb.2759:
	s_or_b64 exec, exec, s[8:9]
	s_and_b64 s[4:5], s[4:5], exec
	s_or_saveexec_b64 s[6:7], s[6:7]
	v_mov_b32_e32 v3, s10
	s_xor_b64 exec, exec, s[6:7]
	s_cbranch_execz .LBB30_710
.LBB30_2760:
	v_mov_b32_e32 v3, 0
	v_cmp_ne_u16_sdwa s[8:9], v4, v3 src0_sel:BYTE_0 src1_sel:DWORD
	s_andn2_b64 s[4:5], s[4:5], exec
	s_and_b64 s[8:9], s[8:9], exec
	s_or_b64 s[4:5], s[4:5], s[8:9]
	s_or_b64 exec, exec, s[6:7]
	s_and_saveexec_b64 s[6:7], s[4:5]
	s_cbranch_execnz .LBB30_711
	s_branch .LBB30_712
.LBB30_2761:
	s_movk_i32 s4, 0x80
	v_cmp_eq_u16_sdwa s[12:13], v3, s4 src0_sel:BYTE_0 src1_sel:DWORD
	s_mov_b64 s[4:5], -1
                                        ; implicit-def: $sgpr10
	s_and_saveexec_b64 s[8:9], s[12:13]
; %bb.2762:
	s_mov_b32 s10, 0x7f800001
	s_xor_b64 s[4:5], exec, -1
; %bb.2763:
	s_or_b64 exec, exec, s[8:9]
	s_and_b64 s[4:5], s[4:5], exec
	s_or_saveexec_b64 s[6:7], s[6:7]
	v_mov_b32_e32 v2, s10
	s_xor_b64 exec, exec, s[6:7]
	s_cbranch_execz .LBB30_714
.LBB30_2764:
	v_mov_b32_e32 v2, 0
	v_cmp_ne_u16_sdwa s[8:9], v3, v2 src0_sel:BYTE_0 src1_sel:DWORD
	s_andn2_b64 s[4:5], s[4:5], exec
	s_and_b64 s[8:9], s[8:9], exec
	s_or_b64 s[4:5], s[4:5], s[8:9]
	s_or_b64 exec, exec, s[6:7]
	s_and_saveexec_b64 s[6:7], s[4:5]
	s_cbranch_execnz .LBB30_715
	s_branch .LBB30_716
.LBB30_2765:
	s_movk_i32 s4, 0x80
	v_cmp_eq_u16_sdwa s[12:13], v3, s4 src0_sel:BYTE_0 src1_sel:DWORD
	s_mov_b64 s[4:5], -1
                                        ; implicit-def: $sgpr10
	s_and_saveexec_b64 s[8:9], s[12:13]
; %bb.2766:
	s_mov_b32 s10, 0x7f800001
	s_xor_b64 s[4:5], exec, -1
; %bb.2767:
	s_or_b64 exec, exec, s[8:9]
	s_and_b64 s[4:5], s[4:5], exec
	s_or_saveexec_b64 s[6:7], s[6:7]
	v_mov_b32_e32 v6, s10
	s_xor_b64 exec, exec, s[6:7]
	s_cbranch_execz .LBB30_718
.LBB30_2768:
	v_mov_b32_e32 v6, 0
	v_cmp_ne_u16_sdwa s[8:9], v3, v6 src0_sel:BYTE_0 src1_sel:DWORD
	s_andn2_b64 s[4:5], s[4:5], exec
	s_and_b64 s[8:9], s[8:9], exec
	s_or_b64 s[4:5], s[4:5], s[8:9]
	s_or_b64 exec, exec, s[6:7]
	s_and_saveexec_b64 s[6:7], s[4:5]
	s_cbranch_execnz .LBB30_719
	s_branch .LBB30_720
.LBB30_2769:
	s_movk_i32 s4, 0x80
	v_cmp_eq_u16_e32 vcc, s4, v3
	s_mov_b64 s[4:5], -1
                                        ; implicit-def: $sgpr10
	s_and_saveexec_b64 s[8:9], vcc
; %bb.2770:
	s_mov_b32 s10, 0x7f800001
	s_xor_b64 s[4:5], exec, -1
; %bb.2771:
	s_or_b64 exec, exec, s[8:9]
	s_and_b64 s[4:5], s[4:5], exec
                                        ; implicit-def: $vgpr3
	s_or_saveexec_b64 s[6:7], s[6:7]
	v_mov_b32_e32 v2, s10
	s_xor_b64 exec, exec, s[6:7]
	s_cbranch_execz .LBB30_722
.LBB30_2772:
	v_cmp_ne_u16_e32 vcc, 0, v3
	s_andn2_b64 s[4:5], s[4:5], exec
	s_and_b64 s[8:9], vcc, exec
	v_mov_b32_e32 v2, 0
	s_or_b64 s[4:5], s[4:5], s[8:9]
	s_or_b64 exec, exec, s[6:7]
	s_and_saveexec_b64 s[6:7], s[4:5]
	s_cbranch_execnz .LBB30_723
	s_branch .LBB30_724
.LBB30_2773:
	s_movk_i32 s4, 0x80
	v_cmp_eq_u16_e32 vcc, s4, v3
	s_mov_b64 s[4:5], -1
                                        ; implicit-def: $sgpr10
	s_and_saveexec_b64 s[8:9], vcc
; %bb.2774:
	s_mov_b32 s10, 0x7f800001
	s_xor_b64 s[4:5], exec, -1
; %bb.2775:
	s_or_b64 exec, exec, s[8:9]
	s_and_b64 s[4:5], s[4:5], exec
                                        ; implicit-def: $vgpr3
	s_or_saveexec_b64 s[6:7], s[6:7]
	v_mov_b32_e32 v6, s10
	s_xor_b64 exec, exec, s[6:7]
	s_cbranch_execz .LBB30_726
.LBB30_2776:
	v_cmp_ne_u16_e32 vcc, 0, v3
	s_andn2_b64 s[4:5], s[4:5], exec
	s_and_b64 s[8:9], vcc, exec
	v_mov_b32_e32 v6, 0
	s_or_b64 s[4:5], s[4:5], s[8:9]
	s_or_b64 exec, exec, s[6:7]
	s_and_saveexec_b64 s[6:7], s[4:5]
	s_cbranch_execnz .LBB30_727
	s_branch .LBB30_728
.LBB30_2777:
	s_movk_i32 s4, 0x80
	v_cmp_eq_u16_sdwa s[12:13], v8, s4 src0_sel:BYTE_3 src1_sel:DWORD
	s_mov_b64 s[4:5], -1
                                        ; implicit-def: $sgpr10
	s_and_saveexec_b64 s[8:9], s[12:13]
; %bb.2778:
	s_mov_b32 s10, 0x7f800001
	s_xor_b64 s[4:5], exec, -1
; %bb.2779:
	s_or_b64 exec, exec, s[8:9]
	s_and_b64 s[4:5], s[4:5], exec
	s_or_saveexec_b64 s[6:7], s[6:7]
	v_mov_b32_e32 v2, s10
	s_xor_b64 exec, exec, s[6:7]
	s_cbranch_execz .LBB30_730
.LBB30_2780:
	v_mov_b32_e32 v2, 0
	v_cmp_ne_u16_sdwa s[8:9], v8, v2 src0_sel:BYTE_3 src1_sel:DWORD
	s_andn2_b64 s[4:5], s[4:5], exec
	s_and_b64 s[8:9], s[8:9], exec
	s_or_b64 s[4:5], s[4:5], s[8:9]
	s_or_b64 exec, exec, s[6:7]
	s_and_saveexec_b64 s[6:7], s[4:5]
	s_cbranch_execnz .LBB30_731
	s_branch .LBB30_732
.LBB30_2781:
	s_movk_i32 s4, 0x80
	v_cmp_eq_u16_sdwa s[12:13], v4, s4 src0_sel:BYTE_3 src1_sel:DWORD
	s_mov_b64 s[4:5], -1
                                        ; implicit-def: $sgpr10
	s_and_saveexec_b64 s[8:9], s[12:13]
; %bb.2782:
	s_mov_b32 s10, 0x7f800001
	s_xor_b64 s[4:5], exec, -1
; %bb.2783:
	s_or_b64 exec, exec, s[8:9]
	s_and_b64 s[4:5], s[4:5], exec
	s_or_saveexec_b64 s[6:7], s[6:7]
	v_mov_b32_e32 v3, s10
	s_xor_b64 exec, exec, s[6:7]
	s_cbranch_execz .LBB30_734
.LBB30_2784:
	v_mov_b32_e32 v3, 0
	v_cmp_ne_u16_sdwa s[8:9], v4, v3 src0_sel:BYTE_3 src1_sel:DWORD
	s_andn2_b64 s[4:5], s[4:5], exec
	s_and_b64 s[8:9], s[8:9], exec
	s_or_b64 s[4:5], s[4:5], s[8:9]
	s_or_b64 exec, exec, s[6:7]
	s_and_saveexec_b64 s[6:7], s[4:5]
	s_cbranch_execnz .LBB30_735
	s_branch .LBB30_736
.LBB30_2785:
	s_movk_i32 s4, 0x80
	v_cmp_eq_u16_sdwa s[12:13], v9, s4 src0_sel:BYTE_0 src1_sel:DWORD
	s_mov_b64 s[4:5], -1
                                        ; implicit-def: $sgpr10
	s_and_saveexec_b64 s[8:9], s[12:13]
; %bb.2786:
	s_mov_b32 s10, 0x7f800001
	s_xor_b64 s[4:5], exec, -1
; %bb.2787:
	s_or_b64 exec, exec, s[8:9]
	s_and_b64 s[4:5], s[4:5], exec
	s_or_saveexec_b64 s[6:7], s[6:7]
	v_mov_b32_e32 v2, s10
	s_xor_b64 exec, exec, s[6:7]
	s_cbranch_execz .LBB30_738
.LBB30_2788:
	v_mov_b32_e32 v2, 0
	v_cmp_ne_u16_sdwa s[8:9], v9, v2 src0_sel:BYTE_0 src1_sel:DWORD
	s_andn2_b64 s[4:5], s[4:5], exec
	s_and_b64 s[8:9], s[8:9], exec
	s_or_b64 s[4:5], s[4:5], s[8:9]
	s_or_b64 exec, exec, s[6:7]
	s_and_saveexec_b64 s[6:7], s[4:5]
	s_cbranch_execnz .LBB30_739
	s_branch .LBB30_740
.LBB30_2789:
	s_movk_i32 s4, 0x80
	v_cmp_eq_u16_sdwa s[12:13], v5, s4 src0_sel:BYTE_0 src1_sel:DWORD
	s_mov_b64 s[4:5], -1
                                        ; implicit-def: $sgpr10
	s_and_saveexec_b64 s[8:9], s[12:13]
; %bb.2790:
	s_mov_b32 s10, 0x7f800001
	s_xor_b64 s[4:5], exec, -1
; %bb.2791:
	s_or_b64 exec, exec, s[8:9]
	s_and_b64 s[4:5], s[4:5], exec
	s_or_saveexec_b64 s[6:7], s[6:7]
	v_mov_b32_e32 v3, s10
	s_xor_b64 exec, exec, s[6:7]
	s_cbranch_execz .LBB30_742
.LBB30_2792:
	v_mov_b32_e32 v3, 0
	v_cmp_ne_u16_sdwa s[8:9], v5, v3 src0_sel:BYTE_0 src1_sel:DWORD
	s_andn2_b64 s[4:5], s[4:5], exec
	s_and_b64 s[8:9], s[8:9], exec
	s_or_b64 s[4:5], s[4:5], s[8:9]
	s_or_b64 exec, exec, s[6:7]
	s_and_saveexec_b64 s[6:7], s[4:5]
	s_cbranch_execnz .LBB30_743
	s_branch .LBB30_744
.LBB30_2793:
	s_movk_i32 s4, 0x80
	v_cmp_eq_u16_sdwa s[12:13], v3, s4 src0_sel:BYTE_0 src1_sel:DWORD
	s_mov_b64 s[4:5], -1
                                        ; implicit-def: $sgpr10
	s_and_saveexec_b64 s[8:9], s[12:13]
; %bb.2794:
	s_mov_b32 s10, 0x7f800001
	s_xor_b64 s[4:5], exec, -1
; %bb.2795:
	s_or_b64 exec, exec, s[8:9]
	s_and_b64 s[4:5], s[4:5], exec
	s_or_saveexec_b64 s[6:7], s[6:7]
	v_mov_b32_e32 v2, s10
	s_xor_b64 exec, exec, s[6:7]
	s_cbranch_execz .LBB30_746
.LBB30_2796:
	v_mov_b32_e32 v2, 0
	v_cmp_ne_u16_sdwa s[8:9], v3, v2 src0_sel:BYTE_0 src1_sel:DWORD
	s_andn2_b64 s[4:5], s[4:5], exec
	s_and_b64 s[8:9], s[8:9], exec
	s_or_b64 s[4:5], s[4:5], s[8:9]
	s_or_b64 exec, exec, s[6:7]
	s_and_saveexec_b64 s[6:7], s[4:5]
	s_cbranch_execnz .LBB30_747
	s_branch .LBB30_748
.LBB30_2797:
	s_movk_i32 s4, 0x80
	v_cmp_eq_u16_sdwa s[12:13], v3, s4 src0_sel:BYTE_0 src1_sel:DWORD
	s_mov_b64 s[4:5], -1
                                        ; implicit-def: $sgpr10
	s_and_saveexec_b64 s[8:9], s[12:13]
; %bb.2798:
	s_mov_b32 s10, 0x7f800001
	s_xor_b64 s[4:5], exec, -1
; %bb.2799:
	s_or_b64 exec, exec, s[8:9]
	s_and_b64 s[4:5], s[4:5], exec
	s_or_saveexec_b64 s[6:7], s[6:7]
	v_mov_b32_e32 v4, s10
	s_xor_b64 exec, exec, s[6:7]
	s_cbranch_execz .LBB30_750
.LBB30_2800:
	v_mov_b32_e32 v4, 0
	v_cmp_ne_u16_sdwa s[8:9], v3, v4 src0_sel:BYTE_0 src1_sel:DWORD
	s_andn2_b64 s[4:5], s[4:5], exec
	s_and_b64 s[8:9], s[8:9], exec
	s_or_b64 s[4:5], s[4:5], s[8:9]
	s_or_b64 exec, exec, s[6:7]
	s_and_saveexec_b64 s[6:7], s[4:5]
	s_cbranch_execnz .LBB30_751
	s_branch .LBB30_752
.LBB30_2801:
	s_movk_i32 s4, 0x80
	v_cmp_eq_u16_e32 vcc, s4, v3
	s_mov_b64 s[4:5], -1
                                        ; implicit-def: $sgpr10
	s_and_saveexec_b64 s[8:9], vcc
; %bb.2802:
	s_mov_b32 s10, 0x7f800001
	s_xor_b64 s[4:5], exec, -1
; %bb.2803:
	s_or_b64 exec, exec, s[8:9]
	s_and_b64 s[4:5], s[4:5], exec
                                        ; implicit-def: $vgpr3
	s_or_saveexec_b64 s[6:7], s[6:7]
	v_mov_b32_e32 v2, s10
	s_xor_b64 exec, exec, s[6:7]
	s_cbranch_execz .LBB30_754
.LBB30_2804:
	v_cmp_ne_u16_e32 vcc, 0, v3
	s_andn2_b64 s[4:5], s[4:5], exec
	s_and_b64 s[8:9], vcc, exec
	v_mov_b32_e32 v2, 0
	s_or_b64 s[4:5], s[4:5], s[8:9]
	s_or_b64 exec, exec, s[6:7]
	s_and_saveexec_b64 s[6:7], s[4:5]
	s_cbranch_execnz .LBB30_755
	s_branch .LBB30_756
.LBB30_2805:
	s_movk_i32 s4, 0x80
	v_cmp_eq_u16_e32 vcc, s4, v3
	s_mov_b64 s[4:5], -1
                                        ; implicit-def: $sgpr10
	s_and_saveexec_b64 s[8:9], vcc
; %bb.2806:
	s_mov_b32 s10, 0x7f800001
	s_xor_b64 s[4:5], exec, -1
; %bb.2807:
	s_or_b64 exec, exec, s[8:9]
	s_and_b64 s[4:5], s[4:5], exec
                                        ; implicit-def: $vgpr3
	s_or_saveexec_b64 s[6:7], s[6:7]
	v_mov_b32_e32 v4, s10
	s_xor_b64 exec, exec, s[6:7]
	s_cbranch_execz .LBB30_758
.LBB30_2808:
	v_cmp_ne_u16_e32 vcc, 0, v3
	s_andn2_b64 s[4:5], s[4:5], exec
	s_and_b64 s[8:9], vcc, exec
	v_mov_b32_e32 v4, 0
	s_or_b64 s[4:5], s[4:5], s[8:9]
	s_or_b64 exec, exec, s[6:7]
	s_and_saveexec_b64 s[6:7], s[4:5]
	s_cbranch_execnz .LBB30_759
	s_branch .LBB30_760
.LBB30_2809:
	s_movk_i32 s4, 0x80
	v_cmp_eq_u16_sdwa s[12:13], v9, s4 src0_sel:BYTE_3 src1_sel:DWORD
	s_mov_b64 s[4:5], -1
                                        ; implicit-def: $sgpr10
	s_and_saveexec_b64 s[8:9], s[12:13]
; %bb.2810:
	s_mov_b32 s10, 0x7f800001
	s_xor_b64 s[4:5], exec, -1
; %bb.2811:
	s_or_b64 exec, exec, s[8:9]
	s_and_b64 s[4:5], s[4:5], exec
	s_or_saveexec_b64 s[6:7], s[6:7]
	v_mov_b32_e32 v2, s10
	s_xor_b64 exec, exec, s[6:7]
	s_cbranch_execz .LBB30_762
.LBB30_2812:
	v_mov_b32_e32 v2, 0
	v_cmp_ne_u16_sdwa s[8:9], v9, v2 src0_sel:BYTE_3 src1_sel:DWORD
	s_andn2_b64 s[4:5], s[4:5], exec
	s_and_b64 s[8:9], s[8:9], exec
	s_or_b64 s[4:5], s[4:5], s[8:9]
	s_or_b64 exec, exec, s[6:7]
	s_and_saveexec_b64 s[6:7], s[4:5]
	s_cbranch_execnz .LBB30_763
	s_branch .LBB30_764
.LBB30_2813:
	s_movk_i32 s4, 0x80
	v_cmp_eq_u16_sdwa s[12:13], v5, s4 src0_sel:BYTE_3 src1_sel:DWORD
	s_mov_b64 s[4:5], -1
                                        ; implicit-def: $sgpr10
	s_and_saveexec_b64 s[8:9], s[12:13]
; %bb.2814:
	s_mov_b32 s10, 0x7f800001
	s_xor_b64 s[4:5], exec, -1
; %bb.2815:
	s_or_b64 exec, exec, s[8:9]
	s_and_b64 s[4:5], s[4:5], exec
	s_or_saveexec_b64 s[6:7], s[6:7]
	v_mov_b32_e32 v3, s10
	s_xor_b64 exec, exec, s[6:7]
	s_cbranch_execz .LBB30_766
.LBB30_2816:
	v_mov_b32_e32 v3, 0
	v_cmp_ne_u16_sdwa s[8:9], v5, v3 src0_sel:BYTE_3 src1_sel:DWORD
	s_andn2_b64 s[4:5], s[4:5], exec
	s_and_b64 s[8:9], s[8:9], exec
	s_or_b64 s[4:5], s[4:5], s[8:9]
	s_or_b64 exec, exec, s[6:7]
	s_and_saveexec_b64 s[6:7], s[4:5]
	s_cbranch_execnz .LBB30_767
	s_branch .LBB30_768
.LBB30_2817:
	s_movk_i32 s4, 0x80
	v_cmp_eq_u16_sdwa s[12:13], v14, s4 src0_sel:BYTE_0 src1_sel:DWORD
	s_mov_b64 s[4:5], -1
                                        ; implicit-def: $sgpr10
	s_and_saveexec_b64 s[8:9], s[12:13]
; %bb.2818:
	s_mov_b32 s10, 0x7f800001
	s_xor_b64 s[4:5], exec, -1
; %bb.2819:
	s_or_b64 exec, exec, s[8:9]
	s_and_b64 s[4:5], s[4:5], exec
	s_or_saveexec_b64 s[6:7], s[6:7]
	v_mov_b32_e32 v20, s10
	s_xor_b64 exec, exec, s[6:7]
	s_cbranch_execz .LBB30_770
.LBB30_2820:
	v_mov_b32_e32 v20, 0
	v_cmp_ne_u16_sdwa s[8:9], v14, v20 src0_sel:BYTE_0 src1_sel:DWORD
	s_andn2_b64 s[4:5], s[4:5], exec
	s_and_b64 s[8:9], s[8:9], exec
	s_or_b64 s[4:5], s[4:5], s[8:9]
	s_or_b64 exec, exec, s[6:7]
	s_and_saveexec_b64 s[6:7], s[4:5]
	s_cbranch_execnz .LBB30_771
	s_branch .LBB30_772
.LBB30_2821:
	s_movk_i32 s4, 0x80
	v_cmp_eq_u16_sdwa s[12:13], v10, s4 src0_sel:BYTE_0 src1_sel:DWORD
	s_mov_b64 s[4:5], -1
                                        ; implicit-def: $sgpr10
	s_and_saveexec_b64 s[8:9], s[12:13]
; %bb.2822:
	s_mov_b32 s10, 0x7f800001
	s_xor_b64 s[4:5], exec, -1
; %bb.2823:
	s_or_b64 exec, exec, s[8:9]
	s_and_b64 s[4:5], s[4:5], exec
	s_or_saveexec_b64 s[6:7], s[6:7]
	v_mov_b32_e32 v21, s10
	s_xor_b64 exec, exec, s[6:7]
	s_cbranch_execz .LBB30_774
.LBB30_2824:
	v_mov_b32_e32 v21, 0
	v_cmp_ne_u16_sdwa s[8:9], v10, v21 src0_sel:BYTE_0 src1_sel:DWORD
	s_andn2_b64 s[4:5], s[4:5], exec
	s_and_b64 s[8:9], s[8:9], exec
	s_or_b64 s[4:5], s[4:5], s[8:9]
	s_or_b64 exec, exec, s[6:7]
	s_and_saveexec_b64 s[6:7], s[4:5]
	s_cbranch_execnz .LBB30_775
	s_branch .LBB30_776
.LBB30_2825:
	s_movk_i32 s4, 0x80
	v_cmp_eq_u16_sdwa s[12:13], v21, s4 src0_sel:BYTE_0 src1_sel:DWORD
	s_mov_b64 s[4:5], -1
                                        ; implicit-def: $sgpr10
	s_and_saveexec_b64 s[8:9], s[12:13]
; %bb.2826:
	s_mov_b32 s10, 0x7f800001
	s_xor_b64 s[4:5], exec, -1
; %bb.2827:
	s_or_b64 exec, exec, s[8:9]
	s_and_b64 s[4:5], s[4:5], exec
	s_or_saveexec_b64 s[6:7], s[6:7]
	v_mov_b32_e32 v20, s10
	s_xor_b64 exec, exec, s[6:7]
	s_cbranch_execz .LBB30_778
.LBB30_2828:
	v_mov_b32_e32 v20, 0
	v_cmp_ne_u16_sdwa s[8:9], v21, v20 src0_sel:BYTE_0 src1_sel:DWORD
	s_andn2_b64 s[4:5], s[4:5], exec
	s_and_b64 s[8:9], s[8:9], exec
	s_or_b64 s[4:5], s[4:5], s[8:9]
	s_or_b64 exec, exec, s[6:7]
	s_and_saveexec_b64 s[6:7], s[4:5]
	s_cbranch_execnz .LBB30_779
	s_branch .LBB30_780
.LBB30_2829:
	s_movk_i32 s4, 0x80
	v_cmp_eq_u16_sdwa s[12:13], v21, s4 src0_sel:BYTE_0 src1_sel:DWORD
	s_mov_b64 s[4:5], -1
                                        ; implicit-def: $sgpr10
	s_and_saveexec_b64 s[8:9], s[12:13]
; %bb.2830:
	s_mov_b32 s10, 0x7f800001
	s_xor_b64 s[4:5], exec, -1
; %bb.2831:
	s_or_b64 exec, exec, s[8:9]
	s_and_b64 s[4:5], s[4:5], exec
	s_or_saveexec_b64 s[6:7], s[6:7]
	v_mov_b32_e32 v22, s10
	s_xor_b64 exec, exec, s[6:7]
	s_cbranch_execz .LBB30_782
.LBB30_2832:
	v_mov_b32_e32 v22, 0
	v_cmp_ne_u16_sdwa s[8:9], v21, v22 src0_sel:BYTE_0 src1_sel:DWORD
	s_andn2_b64 s[4:5], s[4:5], exec
	s_and_b64 s[8:9], s[8:9], exec
	s_or_b64 s[4:5], s[4:5], s[8:9]
	s_or_b64 exec, exec, s[6:7]
	s_and_saveexec_b64 s[6:7], s[4:5]
	s_cbranch_execnz .LBB30_783
	s_branch .LBB30_784
.LBB30_2833:
	s_movk_i32 s4, 0x80
	v_cmp_eq_u16_e32 vcc, s4, v21
	s_mov_b64 s[4:5], -1
                                        ; implicit-def: $sgpr10
	s_and_saveexec_b64 s[8:9], vcc
; %bb.2834:
	s_mov_b32 s10, 0x7f800001
	s_xor_b64 s[4:5], exec, -1
; %bb.2835:
	s_or_b64 exec, exec, s[8:9]
	s_and_b64 s[4:5], s[4:5], exec
                                        ; implicit-def: $vgpr21
	s_or_saveexec_b64 s[6:7], s[6:7]
	v_mov_b32_e32 v20, s10
	s_xor_b64 exec, exec, s[6:7]
	s_cbranch_execz .LBB30_786
.LBB30_2836:
	v_cmp_ne_u16_e32 vcc, 0, v21
	s_andn2_b64 s[4:5], s[4:5], exec
	s_and_b64 s[8:9], vcc, exec
	v_mov_b32_e32 v20, 0
	s_or_b64 s[4:5], s[4:5], s[8:9]
	s_or_b64 exec, exec, s[6:7]
	s_and_saveexec_b64 s[6:7], s[4:5]
	s_cbranch_execnz .LBB30_787
	s_branch .LBB30_788
.LBB30_2837:
	s_movk_i32 s4, 0x80
	v_cmp_eq_u16_e32 vcc, s4, v21
	s_mov_b64 s[4:5], -1
                                        ; implicit-def: $sgpr10
	s_and_saveexec_b64 s[8:9], vcc
; %bb.2838:
	s_mov_b32 s10, 0x7f800001
	s_xor_b64 s[4:5], exec, -1
; %bb.2839:
	s_or_b64 exec, exec, s[8:9]
	s_and_b64 s[4:5], s[4:5], exec
                                        ; implicit-def: $vgpr21
	s_or_saveexec_b64 s[6:7], s[6:7]
	v_mov_b32_e32 v22, s10
	s_xor_b64 exec, exec, s[6:7]
	s_cbranch_execz .LBB30_790
.LBB30_2840:
	v_cmp_ne_u16_e32 vcc, 0, v21
	s_andn2_b64 s[4:5], s[4:5], exec
	s_and_b64 s[8:9], vcc, exec
	v_mov_b32_e32 v22, 0
	s_or_b64 s[4:5], s[4:5], s[8:9]
	s_or_b64 exec, exec, s[6:7]
	s_and_saveexec_b64 s[6:7], s[4:5]
	s_cbranch_execnz .LBB30_791
	s_branch .LBB30_792
.LBB30_2841:
	s_movk_i32 s4, 0x80
	v_cmp_eq_u16_sdwa s[12:13], v14, s4 src0_sel:BYTE_3 src1_sel:DWORD
	s_mov_b64 s[4:5], -1
                                        ; implicit-def: $sgpr10
	s_and_saveexec_b64 s[8:9], s[12:13]
; %bb.2842:
	s_mov_b32 s10, 0x7f800001
	s_xor_b64 s[4:5], exec, -1
; %bb.2843:
	s_or_b64 exec, exec, s[8:9]
	s_and_b64 s[4:5], s[4:5], exec
	s_or_saveexec_b64 s[6:7], s[6:7]
	v_mov_b32_e32 v20, s10
	s_xor_b64 exec, exec, s[6:7]
	s_cbranch_execz .LBB30_794
.LBB30_2844:
	v_mov_b32_e32 v20, 0
	v_cmp_ne_u16_sdwa s[8:9], v14, v20 src0_sel:BYTE_3 src1_sel:DWORD
	s_andn2_b64 s[4:5], s[4:5], exec
	s_and_b64 s[8:9], s[8:9], exec
	s_or_b64 s[4:5], s[4:5], s[8:9]
	s_or_b64 exec, exec, s[6:7]
	s_and_saveexec_b64 s[6:7], s[4:5]
	s_cbranch_execnz .LBB30_795
	s_branch .LBB30_796
.LBB30_2845:
	s_movk_i32 s4, 0x80
	v_cmp_eq_u16_sdwa s[12:13], v10, s4 src0_sel:BYTE_3 src1_sel:DWORD
	s_mov_b64 s[4:5], -1
                                        ; implicit-def: $sgpr10
	s_and_saveexec_b64 s[8:9], s[12:13]
; %bb.2846:
	s_mov_b32 s10, 0x7f800001
	s_xor_b64 s[4:5], exec, -1
; %bb.2847:
	s_or_b64 exec, exec, s[8:9]
	s_and_b64 s[4:5], s[4:5], exec
	s_or_saveexec_b64 s[6:7], s[6:7]
	v_mov_b32_e32 v14, s10
	s_xor_b64 exec, exec, s[6:7]
	s_cbranch_execz .LBB30_798
.LBB30_2848:
	v_mov_b32_e32 v14, 0
	v_cmp_ne_u16_sdwa s[8:9], v10, v14 src0_sel:BYTE_3 src1_sel:DWORD
	s_andn2_b64 s[4:5], s[4:5], exec
	s_and_b64 s[8:9], s[8:9], exec
	s_or_b64 s[4:5], s[4:5], s[8:9]
	s_or_b64 exec, exec, s[6:7]
	s_and_saveexec_b64 s[6:7], s[4:5]
	s_cbranch_execnz .LBB30_799
	s_branch .LBB30_800
.LBB30_2849:
	s_movk_i32 s4, 0x80
	v_cmp_eq_u16_sdwa s[12:13], v15, s4 src0_sel:BYTE_0 src1_sel:DWORD
	s_mov_b64 s[4:5], -1
                                        ; implicit-def: $sgpr10
	s_and_saveexec_b64 s[8:9], s[12:13]
; %bb.2850:
	s_mov_b32 s10, 0x7f800001
	s_xor_b64 s[4:5], exec, -1
; %bb.2851:
	s_or_b64 exec, exec, s[8:9]
	s_and_b64 s[4:5], s[4:5], exec
	s_or_saveexec_b64 s[6:7], s[6:7]
	v_mov_b32_e32 v10, s10
	s_xor_b64 exec, exec, s[6:7]
	s_cbranch_execz .LBB30_802
.LBB30_2852:
	v_mov_b32_e32 v10, 0
	v_cmp_ne_u16_sdwa s[8:9], v15, v10 src0_sel:BYTE_0 src1_sel:DWORD
	s_andn2_b64 s[4:5], s[4:5], exec
	s_and_b64 s[8:9], s[8:9], exec
	s_or_b64 s[4:5], s[4:5], s[8:9]
	s_or_b64 exec, exec, s[6:7]
	s_and_saveexec_b64 s[6:7], s[4:5]
	s_cbranch_execnz .LBB30_803
	s_branch .LBB30_804
.LBB30_2853:
	s_movk_i32 s4, 0x80
	v_cmp_eq_u16_sdwa s[12:13], v11, s4 src0_sel:BYTE_0 src1_sel:DWORD
	s_mov_b64 s[4:5], -1
                                        ; implicit-def: $sgpr10
	s_and_saveexec_b64 s[8:9], s[12:13]
; %bb.2854:
	s_mov_b32 s10, 0x7f800001
	s_xor_b64 s[4:5], exec, -1
; %bb.2855:
	s_or_b64 exec, exec, s[8:9]
	s_and_b64 s[4:5], s[4:5], exec
	s_or_saveexec_b64 s[6:7], s[6:7]
	v_mov_b32_e32 v14, s10
	s_xor_b64 exec, exec, s[6:7]
	s_cbranch_execz .LBB30_806
.LBB30_2856:
	v_mov_b32_e32 v14, 0
	v_cmp_ne_u16_sdwa s[8:9], v11, v14 src0_sel:BYTE_0 src1_sel:DWORD
	s_andn2_b64 s[4:5], s[4:5], exec
	s_and_b64 s[8:9], s[8:9], exec
	s_or_b64 s[4:5], s[4:5], s[8:9]
	s_or_b64 exec, exec, s[6:7]
	s_and_saveexec_b64 s[6:7], s[4:5]
	s_cbranch_execnz .LBB30_807
	s_branch .LBB30_808
.LBB30_2857:
	s_movk_i32 s4, 0x80
	v_cmp_eq_u16_sdwa s[12:13], v14, s4 src0_sel:BYTE_0 src1_sel:DWORD
	s_mov_b64 s[4:5], -1
                                        ; implicit-def: $sgpr10
	s_and_saveexec_b64 s[8:9], s[12:13]
; %bb.2858:
	s_mov_b32 s10, 0x7f800001
	s_xor_b64 s[4:5], exec, -1
; %bb.2859:
	s_or_b64 exec, exec, s[8:9]
	s_and_b64 s[4:5], s[4:5], exec
	s_or_saveexec_b64 s[6:7], s[6:7]
	v_mov_b32_e32 v10, s10
	s_xor_b64 exec, exec, s[6:7]
	s_cbranch_execz .LBB30_810
.LBB30_2860:
	v_mov_b32_e32 v10, 0
	v_cmp_ne_u16_sdwa s[8:9], v14, v10 src0_sel:BYTE_0 src1_sel:DWORD
	s_andn2_b64 s[4:5], s[4:5], exec
	s_and_b64 s[8:9], s[8:9], exec
	s_or_b64 s[4:5], s[4:5], s[8:9]
	s_or_b64 exec, exec, s[6:7]
	s_and_saveexec_b64 s[6:7], s[4:5]
	s_cbranch_execnz .LBB30_811
	s_branch .LBB30_812
.LBB30_2861:
	s_movk_i32 s4, 0x80
	v_cmp_eq_u16_sdwa s[12:13], v14, s4 src0_sel:BYTE_0 src1_sel:DWORD
	s_mov_b64 s[4:5], -1
                                        ; implicit-def: $sgpr10
	s_and_saveexec_b64 s[8:9], s[12:13]
; %bb.2862:
	s_mov_b32 s10, 0x7f800001
	s_xor_b64 s[4:5], exec, -1
; %bb.2863:
	s_or_b64 exec, exec, s[8:9]
	s_and_b64 s[4:5], s[4:5], exec
	s_or_saveexec_b64 s[6:7], s[6:7]
	v_mov_b32_e32 v20, s10
	s_xor_b64 exec, exec, s[6:7]
	s_cbranch_execz .LBB30_814
.LBB30_2864:
	v_mov_b32_e32 v20, 0
	v_cmp_ne_u16_sdwa s[8:9], v14, v20 src0_sel:BYTE_0 src1_sel:DWORD
	s_andn2_b64 s[4:5], s[4:5], exec
	s_and_b64 s[8:9], s[8:9], exec
	s_or_b64 s[4:5], s[4:5], s[8:9]
	s_or_b64 exec, exec, s[6:7]
	s_and_saveexec_b64 s[6:7], s[4:5]
	s_cbranch_execnz .LBB30_815
	s_branch .LBB30_816
.LBB30_2865:
	s_movk_i32 s4, 0x80
	v_cmp_eq_u16_e32 vcc, s4, v14
	s_mov_b64 s[4:5], -1
                                        ; implicit-def: $sgpr10
	s_and_saveexec_b64 s[8:9], vcc
; %bb.2866:
	s_mov_b32 s10, 0x7f800001
	s_xor_b64 s[4:5], exec, -1
; %bb.2867:
	s_or_b64 exec, exec, s[8:9]
	s_and_b64 s[4:5], s[4:5], exec
                                        ; implicit-def: $vgpr14
	s_or_saveexec_b64 s[6:7], s[6:7]
	v_mov_b32_e32 v10, s10
	s_xor_b64 exec, exec, s[6:7]
	s_cbranch_execz .LBB30_818
.LBB30_2868:
	v_cmp_ne_u16_e32 vcc, 0, v14
	s_andn2_b64 s[4:5], s[4:5], exec
	s_and_b64 s[8:9], vcc, exec
	v_mov_b32_e32 v10, 0
	s_or_b64 s[4:5], s[4:5], s[8:9]
	s_or_b64 exec, exec, s[6:7]
	s_and_saveexec_b64 s[6:7], s[4:5]
	s_cbranch_execnz .LBB30_819
	s_branch .LBB30_820
.LBB30_2869:
	s_movk_i32 s4, 0x80
	v_cmp_eq_u16_e32 vcc, s4, v14
	s_mov_b64 s[4:5], -1
                                        ; implicit-def: $sgpr10
	s_and_saveexec_b64 s[8:9], vcc
; %bb.2870:
	s_mov_b32 s10, 0x7f800001
	s_xor_b64 s[4:5], exec, -1
; %bb.2871:
	s_or_b64 exec, exec, s[8:9]
	s_and_b64 s[4:5], s[4:5], exec
                                        ; implicit-def: $vgpr14
	s_or_saveexec_b64 s[6:7], s[6:7]
	v_mov_b32_e32 v20, s10
	s_xor_b64 exec, exec, s[6:7]
	s_cbranch_execz .LBB30_822
.LBB30_2872:
	v_cmp_ne_u16_e32 vcc, 0, v14
	s_andn2_b64 s[4:5], s[4:5], exec
	s_and_b64 s[8:9], vcc, exec
	v_mov_b32_e32 v20, 0
	s_or_b64 s[4:5], s[4:5], s[8:9]
	s_or_b64 exec, exec, s[6:7]
	s_and_saveexec_b64 s[6:7], s[4:5]
	s_cbranch_execnz .LBB30_823
	s_branch .LBB30_824
.LBB30_2873:
	s_movk_i32 s4, 0x80
	v_cmp_eq_u16_sdwa s[12:13], v15, s4 src0_sel:BYTE_3 src1_sel:DWORD
	s_mov_b64 s[4:5], -1
                                        ; implicit-def: $sgpr10
	s_and_saveexec_b64 s[8:9], s[12:13]
; %bb.2874:
	s_mov_b32 s10, 0x7f800001
	s_xor_b64 s[4:5], exec, -1
; %bb.2875:
	s_or_b64 exec, exec, s[8:9]
	s_and_b64 s[4:5], s[4:5], exec
	s_or_saveexec_b64 s[6:7], s[6:7]
	v_mov_b32_e32 v10, s10
	s_xor_b64 exec, exec, s[6:7]
	s_cbranch_execz .LBB30_826
.LBB30_2876:
	v_mov_b32_e32 v10, 0
	v_cmp_ne_u16_sdwa s[8:9], v15, v10 src0_sel:BYTE_3 src1_sel:DWORD
	s_andn2_b64 s[4:5], s[4:5], exec
	s_and_b64 s[8:9], s[8:9], exec
	s_or_b64 s[4:5], s[4:5], s[8:9]
	s_or_b64 exec, exec, s[6:7]
	s_and_saveexec_b64 s[6:7], s[4:5]
	s_cbranch_execnz .LBB30_827
	s_branch .LBB30_828
.LBB30_2877:
	s_movk_i32 s4, 0x80
	v_cmp_eq_u16_sdwa s[12:13], v11, s4 src0_sel:BYTE_3 src1_sel:DWORD
	s_mov_b64 s[4:5], -1
                                        ; implicit-def: $sgpr10
	s_and_saveexec_b64 s[8:9], s[12:13]
; %bb.2878:
	s_mov_b32 s10, 0x7f800001
	s_xor_b64 s[4:5], exec, -1
; %bb.2879:
	s_or_b64 exec, exec, s[8:9]
	s_and_b64 s[4:5], s[4:5], exec
	s_or_saveexec_b64 s[6:7], s[6:7]
	v_mov_b32_e32 v14, s10
	s_xor_b64 exec, exec, s[6:7]
	s_cbranch_execz .LBB30_830
.LBB30_2880:
	v_mov_b32_e32 v14, 0
	v_cmp_ne_u16_sdwa s[8:9], v11, v14 src0_sel:BYTE_3 src1_sel:DWORD
	s_andn2_b64 s[4:5], s[4:5], exec
	s_and_b64 s[8:9], s[8:9], exec
	s_or_b64 s[4:5], s[4:5], s[8:9]
	s_or_b64 exec, exec, s[6:7]
	s_and_saveexec_b64 s[6:7], s[4:5]
	s_cbranch_execnz .LBB30_831
	s_branch .LBB30_832
.LBB30_2881:
	s_movk_i32 s4, 0x80
	v_cmp_eq_u16_sdwa s[12:13], v16, s4 src0_sel:BYTE_0 src1_sel:DWORD
	s_mov_b64 s[4:5], -1
                                        ; implicit-def: $sgpr10
	s_and_saveexec_b64 s[8:9], s[12:13]
; %bb.2882:
	s_mov_b32 s10, 0x7f800001
	s_xor_b64 s[4:5], exec, -1
; %bb.2883:
	s_or_b64 exec, exec, s[8:9]
	s_and_b64 s[4:5], s[4:5], exec
	s_or_saveexec_b64 s[6:7], s[6:7]
	v_mov_b32_e32 v10, s10
	s_xor_b64 exec, exec, s[6:7]
	s_cbranch_execz .LBB30_834
.LBB30_2884:
	v_mov_b32_e32 v10, 0
	v_cmp_ne_u16_sdwa s[8:9], v16, v10 src0_sel:BYTE_0 src1_sel:DWORD
	s_andn2_b64 s[4:5], s[4:5], exec
	s_and_b64 s[8:9], s[8:9], exec
	s_or_b64 s[4:5], s[4:5], s[8:9]
	s_or_b64 exec, exec, s[6:7]
	s_and_saveexec_b64 s[6:7], s[4:5]
	s_cbranch_execnz .LBB30_835
	s_branch .LBB30_836
.LBB30_2885:
	s_movk_i32 s4, 0x80
	v_cmp_eq_u16_sdwa s[12:13], v12, s4 src0_sel:BYTE_0 src1_sel:DWORD
	s_mov_b64 s[4:5], -1
                                        ; implicit-def: $sgpr10
	s_and_saveexec_b64 s[8:9], s[12:13]
; %bb.2886:
	s_mov_b32 s10, 0x7f800001
	s_xor_b64 s[4:5], exec, -1
; %bb.2887:
	s_or_b64 exec, exec, s[8:9]
	s_and_b64 s[4:5], s[4:5], exec
	s_or_saveexec_b64 s[6:7], s[6:7]
	v_mov_b32_e32 v11, s10
	s_xor_b64 exec, exec, s[6:7]
	s_cbranch_execz .LBB30_838
.LBB30_2888:
	v_mov_b32_e32 v11, 0
	v_cmp_ne_u16_sdwa s[8:9], v12, v11 src0_sel:BYTE_0 src1_sel:DWORD
	s_andn2_b64 s[4:5], s[4:5], exec
	s_and_b64 s[8:9], s[8:9], exec
	s_or_b64 s[4:5], s[4:5], s[8:9]
	s_or_b64 exec, exec, s[6:7]
	s_and_saveexec_b64 s[6:7], s[4:5]
	s_cbranch_execnz .LBB30_839
	s_branch .LBB30_840
.LBB30_2889:
	s_movk_i32 s4, 0x80
	v_cmp_eq_u16_sdwa s[12:13], v11, s4 src0_sel:BYTE_0 src1_sel:DWORD
	s_mov_b64 s[4:5], -1
                                        ; implicit-def: $sgpr10
	s_and_saveexec_b64 s[8:9], s[12:13]
; %bb.2890:
	s_mov_b32 s10, 0x7f800001
	s_xor_b64 s[4:5], exec, -1
; %bb.2891:
	s_or_b64 exec, exec, s[8:9]
	s_and_b64 s[4:5], s[4:5], exec
	s_or_saveexec_b64 s[6:7], s[6:7]
	v_mov_b32_e32 v10, s10
	s_xor_b64 exec, exec, s[6:7]
	s_cbranch_execz .LBB30_842
.LBB30_2892:
	v_mov_b32_e32 v10, 0
	v_cmp_ne_u16_sdwa s[8:9], v11, v10 src0_sel:BYTE_0 src1_sel:DWORD
	s_andn2_b64 s[4:5], s[4:5], exec
	s_and_b64 s[8:9], s[8:9], exec
	s_or_b64 s[4:5], s[4:5], s[8:9]
	s_or_b64 exec, exec, s[6:7]
	s_and_saveexec_b64 s[6:7], s[4:5]
	s_cbranch_execnz .LBB30_843
	s_branch .LBB30_844
.LBB30_2893:
	s_movk_i32 s4, 0x80
	v_cmp_eq_u16_sdwa s[12:13], v11, s4 src0_sel:BYTE_0 src1_sel:DWORD
	s_mov_b64 s[4:5], -1
                                        ; implicit-def: $sgpr10
	s_and_saveexec_b64 s[8:9], s[12:13]
; %bb.2894:
	s_mov_b32 s10, 0x7f800001
	s_xor_b64 s[4:5], exec, -1
; %bb.2895:
	s_or_b64 exec, exec, s[8:9]
	s_and_b64 s[4:5], s[4:5], exec
	s_or_saveexec_b64 s[6:7], s[6:7]
	v_mov_b32_e32 v14, s10
	s_xor_b64 exec, exec, s[6:7]
	s_cbranch_execz .LBB30_846
.LBB30_2896:
	v_mov_b32_e32 v14, 0
	v_cmp_ne_u16_sdwa s[8:9], v11, v14 src0_sel:BYTE_0 src1_sel:DWORD
	s_andn2_b64 s[4:5], s[4:5], exec
	s_and_b64 s[8:9], s[8:9], exec
	s_or_b64 s[4:5], s[4:5], s[8:9]
	s_or_b64 exec, exec, s[6:7]
	s_and_saveexec_b64 s[6:7], s[4:5]
	s_cbranch_execnz .LBB30_847
	s_branch .LBB30_848
.LBB30_2897:
	s_movk_i32 s4, 0x80
	v_cmp_eq_u16_e32 vcc, s4, v11
	s_mov_b64 s[4:5], -1
                                        ; implicit-def: $sgpr10
	s_and_saveexec_b64 s[8:9], vcc
; %bb.2898:
	s_mov_b32 s10, 0x7f800001
	s_xor_b64 s[4:5], exec, -1
; %bb.2899:
	s_or_b64 exec, exec, s[8:9]
	s_and_b64 s[4:5], s[4:5], exec
                                        ; implicit-def: $vgpr11
	s_or_saveexec_b64 s[6:7], s[6:7]
	v_mov_b32_e32 v10, s10
	s_xor_b64 exec, exec, s[6:7]
	s_cbranch_execz .LBB30_850
.LBB30_2900:
	v_cmp_ne_u16_e32 vcc, 0, v11
	s_andn2_b64 s[4:5], s[4:5], exec
	s_and_b64 s[8:9], vcc, exec
	v_mov_b32_e32 v10, 0
	s_or_b64 s[4:5], s[4:5], s[8:9]
	s_or_b64 exec, exec, s[6:7]
	s_and_saveexec_b64 s[6:7], s[4:5]
	s_cbranch_execnz .LBB30_851
	s_branch .LBB30_852
.LBB30_2901:
	s_movk_i32 s4, 0x80
	v_cmp_eq_u16_e32 vcc, s4, v11
	s_mov_b64 s[4:5], -1
                                        ; implicit-def: $sgpr10
	s_and_saveexec_b64 s[8:9], vcc
; %bb.2902:
	s_mov_b32 s10, 0x7f800001
	s_xor_b64 s[4:5], exec, -1
; %bb.2903:
	s_or_b64 exec, exec, s[8:9]
	s_and_b64 s[4:5], s[4:5], exec
                                        ; implicit-def: $vgpr11
	s_or_saveexec_b64 s[6:7], s[6:7]
	v_mov_b32_e32 v14, s10
	s_xor_b64 exec, exec, s[6:7]
	s_cbranch_execz .LBB30_854
.LBB30_2904:
	v_cmp_ne_u16_e32 vcc, 0, v11
	s_andn2_b64 s[4:5], s[4:5], exec
	s_and_b64 s[8:9], vcc, exec
	v_mov_b32_e32 v14, 0
	s_or_b64 s[4:5], s[4:5], s[8:9]
	s_or_b64 exec, exec, s[6:7]
	s_and_saveexec_b64 s[6:7], s[4:5]
	s_cbranch_execnz .LBB30_855
	s_branch .LBB30_856
.LBB30_2905:
	s_movk_i32 s4, 0x80
	v_cmp_eq_u16_sdwa s[12:13], v16, s4 src0_sel:BYTE_3 src1_sel:DWORD
	s_mov_b64 s[4:5], -1
                                        ; implicit-def: $sgpr10
	s_and_saveexec_b64 s[8:9], s[12:13]
; %bb.2906:
	s_mov_b32 s10, 0x7f800001
	s_xor_b64 s[4:5], exec, -1
; %bb.2907:
	s_or_b64 exec, exec, s[8:9]
	s_and_b64 s[4:5], s[4:5], exec
	s_or_saveexec_b64 s[6:7], s[6:7]
	v_mov_b32_e32 v10, s10
	s_xor_b64 exec, exec, s[6:7]
	s_cbranch_execz .LBB30_858
.LBB30_2908:
	v_mov_b32_e32 v10, 0
	v_cmp_ne_u16_sdwa s[8:9], v16, v10 src0_sel:BYTE_3 src1_sel:DWORD
	s_andn2_b64 s[4:5], s[4:5], exec
	s_and_b64 s[8:9], s[8:9], exec
	s_or_b64 s[4:5], s[4:5], s[8:9]
	s_or_b64 exec, exec, s[6:7]
	s_and_saveexec_b64 s[6:7], s[4:5]
	s_cbranch_execnz .LBB30_859
	s_branch .LBB30_860
.LBB30_2909:
	s_movk_i32 s4, 0x80
	v_cmp_eq_u16_sdwa s[12:13], v12, s4 src0_sel:BYTE_3 src1_sel:DWORD
	s_mov_b64 s[4:5], -1
                                        ; implicit-def: $sgpr10
	s_and_saveexec_b64 s[8:9], s[12:13]
; %bb.2910:
	s_mov_b32 s10, 0x7f800001
	s_xor_b64 s[4:5], exec, -1
; %bb.2911:
	s_or_b64 exec, exec, s[8:9]
	s_and_b64 s[4:5], s[4:5], exec
	s_or_saveexec_b64 s[6:7], s[6:7]
	v_mov_b32_e32 v11, s10
	s_xor_b64 exec, exec, s[6:7]
	s_cbranch_execz .LBB30_862
.LBB30_2912:
	v_mov_b32_e32 v11, 0
	v_cmp_ne_u16_sdwa s[8:9], v12, v11 src0_sel:BYTE_3 src1_sel:DWORD
	s_andn2_b64 s[4:5], s[4:5], exec
	s_and_b64 s[8:9], s[8:9], exec
	s_or_b64 s[4:5], s[4:5], s[8:9]
	s_or_b64 exec, exec, s[6:7]
	s_and_saveexec_b64 s[6:7], s[4:5]
	s_cbranch_execnz .LBB30_863
	s_branch .LBB30_864
.LBB30_2913:
	s_movk_i32 s4, 0x80
	v_cmp_eq_u16_sdwa s[12:13], v17, s4 src0_sel:BYTE_0 src1_sel:DWORD
	s_mov_b64 s[4:5], -1
                                        ; implicit-def: $sgpr10
	s_and_saveexec_b64 s[8:9], s[12:13]
; %bb.2914:
	s_mov_b32 s10, 0x7f800001
	s_xor_b64 s[4:5], exec, -1
; %bb.2915:
	s_or_b64 exec, exec, s[8:9]
	s_and_b64 s[4:5], s[4:5], exec
	s_or_saveexec_b64 s[6:7], s[6:7]
	v_mov_b32_e32 v10, s10
	s_xor_b64 exec, exec, s[6:7]
	s_cbranch_execz .LBB30_866
.LBB30_2916:
	v_mov_b32_e32 v10, 0
	v_cmp_ne_u16_sdwa s[8:9], v17, v10 src0_sel:BYTE_0 src1_sel:DWORD
	s_andn2_b64 s[4:5], s[4:5], exec
	s_and_b64 s[8:9], s[8:9], exec
	s_or_b64 s[4:5], s[4:5], s[8:9]
	s_or_b64 exec, exec, s[6:7]
	s_and_saveexec_b64 s[6:7], s[4:5]
	s_cbranch_execnz .LBB30_867
	s_branch .LBB30_868
.LBB30_2917:
	s_movk_i32 s4, 0x80
	v_cmp_eq_u16_sdwa s[12:13], v13, s4 src0_sel:BYTE_0 src1_sel:DWORD
	s_mov_b64 s[4:5], -1
                                        ; implicit-def: $sgpr10
	s_and_saveexec_b64 s[8:9], s[12:13]
; %bb.2918:
	s_mov_b32 s10, 0x7f800001
	s_xor_b64 s[4:5], exec, -1
; %bb.2919:
	s_or_b64 exec, exec, s[8:9]
	s_and_b64 s[4:5], s[4:5], exec
	s_or_saveexec_b64 s[6:7], s[6:7]
	v_mov_b32_e32 v11, s10
	s_xor_b64 exec, exec, s[6:7]
	s_cbranch_execz .LBB30_870
.LBB30_2920:
	v_mov_b32_e32 v11, 0
	v_cmp_ne_u16_sdwa s[8:9], v13, v11 src0_sel:BYTE_0 src1_sel:DWORD
	s_andn2_b64 s[4:5], s[4:5], exec
	s_and_b64 s[8:9], s[8:9], exec
	s_or_b64 s[4:5], s[4:5], s[8:9]
	s_or_b64 exec, exec, s[6:7]
	s_and_saveexec_b64 s[6:7], s[4:5]
	s_cbranch_execnz .LBB30_871
	s_branch .LBB30_872
.LBB30_2921:
	s_movk_i32 s4, 0x80
	v_cmp_eq_u16_sdwa s[12:13], v11, s4 src0_sel:BYTE_0 src1_sel:DWORD
	s_mov_b64 s[4:5], -1
                                        ; implicit-def: $sgpr10
	s_and_saveexec_b64 s[8:9], s[12:13]
; %bb.2922:
	s_mov_b32 s10, 0x7f800001
	s_xor_b64 s[4:5], exec, -1
; %bb.2923:
	s_or_b64 exec, exec, s[8:9]
	s_and_b64 s[4:5], s[4:5], exec
	s_or_saveexec_b64 s[6:7], s[6:7]
	v_mov_b32_e32 v10, s10
	s_xor_b64 exec, exec, s[6:7]
	s_cbranch_execz .LBB30_874
.LBB30_2924:
	v_mov_b32_e32 v10, 0
	v_cmp_ne_u16_sdwa s[8:9], v11, v10 src0_sel:BYTE_0 src1_sel:DWORD
	s_andn2_b64 s[4:5], s[4:5], exec
	s_and_b64 s[8:9], s[8:9], exec
	s_or_b64 s[4:5], s[4:5], s[8:9]
	s_or_b64 exec, exec, s[6:7]
	s_and_saveexec_b64 s[6:7], s[4:5]
	s_cbranch_execnz .LBB30_875
	s_branch .LBB30_876
.LBB30_2925:
	s_movk_i32 s4, 0x80
	v_cmp_eq_u16_sdwa s[12:13], v11, s4 src0_sel:BYTE_0 src1_sel:DWORD
	s_mov_b64 s[4:5], -1
                                        ; implicit-def: $sgpr10
	s_and_saveexec_b64 s[8:9], s[12:13]
; %bb.2926:
	s_mov_b32 s10, 0x7f800001
	s_xor_b64 s[4:5], exec, -1
; %bb.2927:
	s_or_b64 exec, exec, s[8:9]
	s_and_b64 s[4:5], s[4:5], exec
	s_or_saveexec_b64 s[6:7], s[6:7]
	v_mov_b32_e32 v12, s10
	s_xor_b64 exec, exec, s[6:7]
	s_cbranch_execz .LBB30_878
.LBB30_2928:
	v_mov_b32_e32 v12, 0
	v_cmp_ne_u16_sdwa s[8:9], v11, v12 src0_sel:BYTE_0 src1_sel:DWORD
	s_andn2_b64 s[4:5], s[4:5], exec
	s_and_b64 s[8:9], s[8:9], exec
	s_or_b64 s[4:5], s[4:5], s[8:9]
	s_or_b64 exec, exec, s[6:7]
	s_and_saveexec_b64 s[6:7], s[4:5]
	s_cbranch_execnz .LBB30_879
	s_branch .LBB30_880
.LBB30_2929:
	s_movk_i32 s4, 0x80
	v_cmp_eq_u16_e32 vcc, s4, v11
	s_mov_b64 s[4:5], -1
                                        ; implicit-def: $sgpr10
	s_and_saveexec_b64 s[8:9], vcc
; %bb.2930:
	s_mov_b32 s10, 0x7f800001
	s_xor_b64 s[4:5], exec, -1
; %bb.2931:
	s_or_b64 exec, exec, s[8:9]
	s_and_b64 s[4:5], s[4:5], exec
                                        ; implicit-def: $vgpr11
	s_or_saveexec_b64 s[6:7], s[6:7]
	v_mov_b32_e32 v10, s10
	s_xor_b64 exec, exec, s[6:7]
	s_cbranch_execz .LBB30_882
.LBB30_2932:
	v_cmp_ne_u16_e32 vcc, 0, v11
	s_andn2_b64 s[4:5], s[4:5], exec
	s_and_b64 s[8:9], vcc, exec
	v_mov_b32_e32 v10, 0
	s_or_b64 s[4:5], s[4:5], s[8:9]
	s_or_b64 exec, exec, s[6:7]
	s_and_saveexec_b64 s[6:7], s[4:5]
	s_cbranch_execnz .LBB30_883
	s_branch .LBB30_884
.LBB30_2933:
	s_movk_i32 s4, 0x80
	v_cmp_eq_u16_e32 vcc, s4, v11
	s_mov_b64 s[4:5], -1
                                        ; implicit-def: $sgpr10
	s_and_saveexec_b64 s[8:9], vcc
; %bb.2934:
	s_mov_b32 s10, 0x7f800001
	s_xor_b64 s[4:5], exec, -1
; %bb.2935:
	s_or_b64 exec, exec, s[8:9]
	s_and_b64 s[4:5], s[4:5], exec
                                        ; implicit-def: $vgpr11
	s_or_saveexec_b64 s[6:7], s[6:7]
	v_mov_b32_e32 v12, s10
	s_xor_b64 exec, exec, s[6:7]
	s_cbranch_execz .LBB30_886
.LBB30_2936:
	v_cmp_ne_u16_e32 vcc, 0, v11
	s_andn2_b64 s[4:5], s[4:5], exec
	s_and_b64 s[8:9], vcc, exec
	v_mov_b32_e32 v12, 0
	s_or_b64 s[4:5], s[4:5], s[8:9]
	s_or_b64 exec, exec, s[6:7]
	s_and_saveexec_b64 s[6:7], s[4:5]
	s_cbranch_execnz .LBB30_887
	s_branch .LBB30_888
.LBB30_2937:
	s_movk_i32 s4, 0x80
	v_cmp_eq_u16_sdwa s[12:13], v17, s4 src0_sel:BYTE_3 src1_sel:DWORD
	s_mov_b64 s[4:5], -1
                                        ; implicit-def: $sgpr10
	s_and_saveexec_b64 s[8:9], s[12:13]
; %bb.2938:
	s_mov_b32 s10, 0x7f800001
	s_xor_b64 s[4:5], exec, -1
; %bb.2939:
	s_or_b64 exec, exec, s[8:9]
	s_and_b64 s[4:5], s[4:5], exec
	s_or_saveexec_b64 s[6:7], s[6:7]
	v_mov_b32_e32 v10, s10
	s_xor_b64 exec, exec, s[6:7]
	s_cbranch_execz .LBB30_890
.LBB30_2940:
	v_mov_b32_e32 v10, 0
	v_cmp_ne_u16_sdwa s[8:9], v17, v10 src0_sel:BYTE_3 src1_sel:DWORD
	s_andn2_b64 s[4:5], s[4:5], exec
	s_and_b64 s[8:9], s[8:9], exec
	s_or_b64 s[4:5], s[4:5], s[8:9]
	s_or_b64 exec, exec, s[6:7]
	s_and_saveexec_b64 s[6:7], s[4:5]
	s_cbranch_execnz .LBB30_891
	s_branch .LBB30_892
.LBB30_2941:
	s_movk_i32 s4, 0x80
	v_cmp_eq_u16_sdwa s[12:13], v13, s4 src0_sel:BYTE_3 src1_sel:DWORD
	s_mov_b64 s[4:5], -1
                                        ; implicit-def: $sgpr10
	s_and_saveexec_b64 s[8:9], s[12:13]
; %bb.2942:
	s_mov_b32 s10, 0x7f800001
	s_xor_b64 s[4:5], exec, -1
; %bb.2943:
	s_or_b64 exec, exec, s[8:9]
	s_and_b64 s[4:5], s[4:5], exec
	s_or_saveexec_b64 s[6:7], s[6:7]
	v_mov_b32_e32 v11, s10
	s_xor_b64 exec, exec, s[6:7]
	s_cbranch_execz .LBB30_894
.LBB30_2944:
	v_mov_b32_e32 v11, 0
	v_cmp_ne_u16_sdwa s[8:9], v13, v11 src0_sel:BYTE_3 src1_sel:DWORD
	s_andn2_b64 s[4:5], s[4:5], exec
	s_and_b64 s[8:9], s[8:9], exec
	s_or_b64 s[4:5], s[4:5], s[8:9]
	s_or_b64 exec, exec, s[6:7]
	s_and_saveexec_b64 s[6:7], s[4:5]
	s_cbranch_execnz .LBB30_895
	s_branch .LBB30_896
.LBB30_2945:
	s_movk_i32 s4, 0x80
	v_cmp_eq_u16_sdwa s[12:13], v6, s4 src0_sel:BYTE_0 src1_sel:DWORD
	s_mov_b64 s[4:5], -1
                                        ; implicit-def: $sgpr10
	s_and_saveexec_b64 s[8:9], s[12:13]
; %bb.2946:
	s_mov_b32 s10, 0x7f800001
	s_xor_b64 s[4:5], exec, -1
; %bb.2947:
	s_or_b64 exec, exec, s[8:9]
	s_and_b64 s[4:5], s[4:5], exec
	s_or_saveexec_b64 s[6:7], s[6:7]
	v_mov_b32_e32 v10, s10
	s_xor_b64 exec, exec, s[6:7]
	s_cbranch_execz .LBB30_898
.LBB30_2948:
	v_mov_b32_e32 v10, 0
	v_cmp_ne_u16_sdwa s[8:9], v6, v10 src0_sel:BYTE_0 src1_sel:DWORD
	s_andn2_b64 s[4:5], s[4:5], exec
	s_and_b64 s[8:9], s[8:9], exec
	s_or_b64 s[4:5], s[4:5], s[8:9]
	s_or_b64 exec, exec, s[6:7]
	s_and_saveexec_b64 s[6:7], s[4:5]
	s_cbranch_execnz .LBB30_899
	s_branch .LBB30_900
.LBB30_2949:
	s_movk_i32 s4, 0x80
	v_cmp_eq_u16_sdwa s[12:13], v2, s4 src0_sel:BYTE_0 src1_sel:DWORD
	s_mov_b64 s[4:5], -1
                                        ; implicit-def: $sgpr10
	s_and_saveexec_b64 s[8:9], s[12:13]
; %bb.2950:
	s_mov_b32 s10, 0x7f800001
	s_xor_b64 s[4:5], exec, -1
; %bb.2951:
	s_or_b64 exec, exec, s[8:9]
	s_and_b64 s[4:5], s[4:5], exec
	s_or_saveexec_b64 s[6:7], s[6:7]
	v_mov_b32_e32 v11, s10
	s_xor_b64 exec, exec, s[6:7]
	s_cbranch_execz .LBB30_902
.LBB30_2952:
	v_mov_b32_e32 v11, 0
	v_cmp_ne_u16_sdwa s[8:9], v2, v11 src0_sel:BYTE_0 src1_sel:DWORD
	s_andn2_b64 s[4:5], s[4:5], exec
	s_and_b64 s[8:9], s[8:9], exec
	s_or_b64 s[4:5], s[4:5], s[8:9]
	s_or_b64 exec, exec, s[6:7]
	s_and_saveexec_b64 s[6:7], s[4:5]
	s_cbranch_execnz .LBB30_903
	s_branch .LBB30_904
.LBB30_2953:
	s_movk_i32 s4, 0x80
	v_cmp_eq_u16_sdwa s[12:13], v11, s4 src0_sel:BYTE_0 src1_sel:DWORD
	s_mov_b64 s[4:5], -1
                                        ; implicit-def: $sgpr10
	s_and_saveexec_b64 s[8:9], s[12:13]
; %bb.2954:
	s_mov_b32 s10, 0x7f800001
	s_xor_b64 s[4:5], exec, -1
; %bb.2955:
	s_or_b64 exec, exec, s[8:9]
	s_and_b64 s[4:5], s[4:5], exec
	s_or_saveexec_b64 s[6:7], s[6:7]
	v_mov_b32_e32 v10, s10
	s_xor_b64 exec, exec, s[6:7]
	s_cbranch_execz .LBB30_906
.LBB30_2956:
	v_mov_b32_e32 v10, 0
	v_cmp_ne_u16_sdwa s[8:9], v11, v10 src0_sel:BYTE_0 src1_sel:DWORD
	s_andn2_b64 s[4:5], s[4:5], exec
	s_and_b64 s[8:9], s[8:9], exec
	s_or_b64 s[4:5], s[4:5], s[8:9]
	s_or_b64 exec, exec, s[6:7]
	s_and_saveexec_b64 s[6:7], s[4:5]
	s_cbranch_execnz .LBB30_907
	s_branch .LBB30_908
.LBB30_2957:
	s_movk_i32 s4, 0x80
	v_cmp_eq_u16_sdwa s[12:13], v11, s4 src0_sel:BYTE_0 src1_sel:DWORD
	s_mov_b64 s[4:5], -1
                                        ; implicit-def: $sgpr10
	s_and_saveexec_b64 s[8:9], s[12:13]
; %bb.2958:
	s_mov_b32 s10, 0x7f800001
	s_xor_b64 s[4:5], exec, -1
; %bb.2959:
	s_or_b64 exec, exec, s[8:9]
	s_and_b64 s[4:5], s[4:5], exec
	s_or_saveexec_b64 s[6:7], s[6:7]
	v_mov_b32_e32 v12, s10
	s_xor_b64 exec, exec, s[6:7]
	s_cbranch_execz .LBB30_910
.LBB30_2960:
	v_mov_b32_e32 v12, 0
	v_cmp_ne_u16_sdwa s[8:9], v11, v12 src0_sel:BYTE_0 src1_sel:DWORD
	s_andn2_b64 s[4:5], s[4:5], exec
	s_and_b64 s[8:9], s[8:9], exec
	s_or_b64 s[4:5], s[4:5], s[8:9]
	s_or_b64 exec, exec, s[6:7]
	s_and_saveexec_b64 s[6:7], s[4:5]
	s_cbranch_execnz .LBB30_911
	s_branch .LBB30_912
.LBB30_2961:
	s_movk_i32 s4, 0x80
	v_cmp_eq_u16_e32 vcc, s4, v11
	s_mov_b64 s[4:5], -1
                                        ; implicit-def: $sgpr10
	s_and_saveexec_b64 s[8:9], vcc
; %bb.2962:
	s_mov_b32 s10, 0x7f800001
	s_xor_b64 s[4:5], exec, -1
; %bb.2963:
	s_or_b64 exec, exec, s[8:9]
	s_and_b64 s[4:5], s[4:5], exec
                                        ; implicit-def: $vgpr11
	s_or_saveexec_b64 s[6:7], s[6:7]
	v_mov_b32_e32 v10, s10
	s_xor_b64 exec, exec, s[6:7]
	s_cbranch_execz .LBB30_914
.LBB30_2964:
	v_cmp_ne_u16_e32 vcc, 0, v11
	s_andn2_b64 s[4:5], s[4:5], exec
	s_and_b64 s[8:9], vcc, exec
	v_mov_b32_e32 v10, 0
	s_or_b64 s[4:5], s[4:5], s[8:9]
	s_or_b64 exec, exec, s[6:7]
	s_and_saveexec_b64 s[6:7], s[4:5]
	s_cbranch_execnz .LBB30_915
	s_branch .LBB30_916
.LBB30_2965:
	s_movk_i32 s4, 0x80
	v_cmp_eq_u16_e32 vcc, s4, v11
	s_mov_b64 s[4:5], -1
                                        ; implicit-def: $sgpr10
	s_and_saveexec_b64 s[8:9], vcc
; %bb.2966:
	s_mov_b32 s10, 0x7f800001
	s_xor_b64 s[4:5], exec, -1
; %bb.2967:
	s_or_b64 exec, exec, s[8:9]
	s_and_b64 s[4:5], s[4:5], exec
                                        ; implicit-def: $vgpr11
	s_or_saveexec_b64 s[6:7], s[6:7]
	v_mov_b32_e32 v12, s10
	s_xor_b64 exec, exec, s[6:7]
	s_cbranch_execz .LBB30_918
.LBB30_2968:
	v_cmp_ne_u16_e32 vcc, 0, v11
	s_andn2_b64 s[4:5], s[4:5], exec
	s_and_b64 s[8:9], vcc, exec
	v_mov_b32_e32 v12, 0
	s_or_b64 s[4:5], s[4:5], s[8:9]
	s_or_b64 exec, exec, s[6:7]
	s_and_saveexec_b64 s[6:7], s[4:5]
	s_cbranch_execnz .LBB30_919
	s_branch .LBB30_920
.LBB30_2969:
	s_movk_i32 s4, 0x80
	v_cmp_eq_u16_sdwa s[12:13], v6, s4 src0_sel:BYTE_3 src1_sel:DWORD
	s_mov_b64 s[4:5], -1
                                        ; implicit-def: $sgpr10
	s_and_saveexec_b64 s[8:9], s[12:13]
; %bb.2970:
	s_mov_b32 s10, 0x7f800001
	s_xor_b64 s[4:5], exec, -1
; %bb.2971:
	s_or_b64 exec, exec, s[8:9]
	s_and_b64 s[4:5], s[4:5], exec
	s_or_saveexec_b64 s[6:7], s[6:7]
	v_mov_b32_e32 v10, s10
	s_xor_b64 exec, exec, s[6:7]
	s_cbranch_execz .LBB30_922
.LBB30_2972:
	v_mov_b32_e32 v10, 0
	v_cmp_ne_u16_sdwa s[8:9], v6, v10 src0_sel:BYTE_3 src1_sel:DWORD
	s_andn2_b64 s[4:5], s[4:5], exec
	s_and_b64 s[8:9], s[8:9], exec
	s_or_b64 s[4:5], s[4:5], s[8:9]
	s_or_b64 exec, exec, s[6:7]
	s_and_saveexec_b64 s[6:7], s[4:5]
	s_cbranch_execnz .LBB30_923
	s_branch .LBB30_924
.LBB30_2973:
	s_movk_i32 s4, 0x80
	v_cmp_eq_u16_sdwa s[12:13], v2, s4 src0_sel:BYTE_3 src1_sel:DWORD
	s_mov_b64 s[4:5], -1
                                        ; implicit-def: $sgpr10
	s_and_saveexec_b64 s[8:9], s[12:13]
; %bb.2974:
	s_mov_b32 s10, 0x7f800001
	s_xor_b64 s[4:5], exec, -1
; %bb.2975:
	s_or_b64 exec, exec, s[8:9]
	s_and_b64 s[4:5], s[4:5], exec
	s_or_saveexec_b64 s[6:7], s[6:7]
	v_mov_b32_e32 v6, s10
	s_xor_b64 exec, exec, s[6:7]
	s_cbranch_execz .LBB30_926
.LBB30_2976:
	v_mov_b32_e32 v6, 0
	v_cmp_ne_u16_sdwa s[8:9], v2, v6 src0_sel:BYTE_3 src1_sel:DWORD
	s_andn2_b64 s[4:5], s[4:5], exec
	s_and_b64 s[8:9], s[8:9], exec
	s_or_b64 s[4:5], s[4:5], s[8:9]
	s_or_b64 exec, exec, s[6:7]
	s_and_saveexec_b64 s[6:7], s[4:5]
	s_cbranch_execnz .LBB30_927
	s_branch .LBB30_928
.LBB30_2977:
	s_movk_i32 s4, 0x80
	v_cmp_eq_u16_sdwa s[12:13], v7, s4 src0_sel:BYTE_0 src1_sel:DWORD
	s_mov_b64 s[4:5], -1
                                        ; implicit-def: $sgpr10
	s_and_saveexec_b64 s[8:9], s[12:13]
; %bb.2978:
	s_mov_b32 s10, 0x7f800001
	s_xor_b64 s[4:5], exec, -1
; %bb.2979:
	s_or_b64 exec, exec, s[8:9]
	s_and_b64 s[4:5], s[4:5], exec
	s_or_saveexec_b64 s[6:7], s[6:7]
	v_mov_b32_e32 v2, s10
	s_xor_b64 exec, exec, s[6:7]
	s_cbranch_execz .LBB30_930
.LBB30_2980:
	v_mov_b32_e32 v2, 0
	v_cmp_ne_u16_sdwa s[8:9], v7, v2 src0_sel:BYTE_0 src1_sel:DWORD
	s_andn2_b64 s[4:5], s[4:5], exec
	s_and_b64 s[8:9], s[8:9], exec
	s_or_b64 s[4:5], s[4:5], s[8:9]
	s_or_b64 exec, exec, s[6:7]
	s_and_saveexec_b64 s[6:7], s[4:5]
	s_cbranch_execnz .LBB30_931
	s_branch .LBB30_932
.LBB30_2981:
	s_movk_i32 s4, 0x80
	v_cmp_eq_u16_sdwa s[12:13], v3, s4 src0_sel:BYTE_0 src1_sel:DWORD
	s_mov_b64 s[4:5], -1
                                        ; implicit-def: $sgpr10
	s_and_saveexec_b64 s[8:9], s[12:13]
; %bb.2982:
	s_mov_b32 s10, 0x7f800001
	s_xor_b64 s[4:5], exec, -1
; %bb.2983:
	s_or_b64 exec, exec, s[8:9]
	s_and_b64 s[4:5], s[4:5], exec
	s_or_saveexec_b64 s[6:7], s[6:7]
	v_mov_b32_e32 v6, s10
	s_xor_b64 exec, exec, s[6:7]
	s_cbranch_execz .LBB30_934
.LBB30_2984:
	v_mov_b32_e32 v6, 0
	v_cmp_ne_u16_sdwa s[8:9], v3, v6 src0_sel:BYTE_0 src1_sel:DWORD
	s_andn2_b64 s[4:5], s[4:5], exec
	s_and_b64 s[8:9], s[8:9], exec
	s_or_b64 s[4:5], s[4:5], s[8:9]
	s_or_b64 exec, exec, s[6:7]
	s_and_saveexec_b64 s[6:7], s[4:5]
	s_cbranch_execnz .LBB30_935
	s_branch .LBB30_936
.LBB30_2985:
	s_movk_i32 s4, 0x80
	v_cmp_eq_u16_sdwa s[12:13], v6, s4 src0_sel:BYTE_0 src1_sel:DWORD
	s_mov_b64 s[4:5], -1
                                        ; implicit-def: $sgpr10
	s_and_saveexec_b64 s[8:9], s[12:13]
; %bb.2986:
	s_mov_b32 s10, 0x7f800001
	s_xor_b64 s[4:5], exec, -1
; %bb.2987:
	s_or_b64 exec, exec, s[8:9]
	s_and_b64 s[4:5], s[4:5], exec
	s_or_saveexec_b64 s[6:7], s[6:7]
	v_mov_b32_e32 v2, s10
	s_xor_b64 exec, exec, s[6:7]
	s_cbranch_execz .LBB30_938
.LBB30_2988:
	v_mov_b32_e32 v2, 0
	v_cmp_ne_u16_sdwa s[8:9], v6, v2 src0_sel:BYTE_0 src1_sel:DWORD
	s_andn2_b64 s[4:5], s[4:5], exec
	s_and_b64 s[8:9], s[8:9], exec
	s_or_b64 s[4:5], s[4:5], s[8:9]
	s_or_b64 exec, exec, s[6:7]
	s_and_saveexec_b64 s[6:7], s[4:5]
	s_cbranch_execnz .LBB30_939
	s_branch .LBB30_940
.LBB30_2989:
	s_movk_i32 s4, 0x80
	v_cmp_eq_u16_sdwa s[12:13], v6, s4 src0_sel:BYTE_0 src1_sel:DWORD
	s_mov_b64 s[4:5], -1
                                        ; implicit-def: $sgpr10
	s_and_saveexec_b64 s[8:9], s[12:13]
; %bb.2990:
	s_mov_b32 s10, 0x7f800001
	s_xor_b64 s[4:5], exec, -1
; %bb.2991:
	s_or_b64 exec, exec, s[8:9]
	s_and_b64 s[4:5], s[4:5], exec
	s_or_saveexec_b64 s[6:7], s[6:7]
	v_mov_b32_e32 v10, s10
	s_xor_b64 exec, exec, s[6:7]
	s_cbranch_execz .LBB30_942
.LBB30_2992:
	v_mov_b32_e32 v10, 0
	v_cmp_ne_u16_sdwa s[8:9], v6, v10 src0_sel:BYTE_0 src1_sel:DWORD
	s_andn2_b64 s[4:5], s[4:5], exec
	s_and_b64 s[8:9], s[8:9], exec
	s_or_b64 s[4:5], s[4:5], s[8:9]
	s_or_b64 exec, exec, s[6:7]
	s_and_saveexec_b64 s[6:7], s[4:5]
	s_cbranch_execnz .LBB30_943
	s_branch .LBB30_944
.LBB30_2993:
	s_movk_i32 s4, 0x80
	v_cmp_eq_u16_e32 vcc, s4, v6
	s_mov_b64 s[4:5], -1
                                        ; implicit-def: $sgpr10
	s_and_saveexec_b64 s[8:9], vcc
; %bb.2994:
	s_mov_b32 s10, 0x7f800001
	s_xor_b64 s[4:5], exec, -1
; %bb.2995:
	s_or_b64 exec, exec, s[8:9]
	s_and_b64 s[4:5], s[4:5], exec
                                        ; implicit-def: $vgpr6
	s_or_saveexec_b64 s[6:7], s[6:7]
	v_mov_b32_e32 v2, s10
	s_xor_b64 exec, exec, s[6:7]
	s_cbranch_execz .LBB30_946
.LBB30_2996:
	v_cmp_ne_u16_e32 vcc, 0, v6
	s_andn2_b64 s[4:5], s[4:5], exec
	s_and_b64 s[8:9], vcc, exec
	v_mov_b32_e32 v2, 0
	s_or_b64 s[4:5], s[4:5], s[8:9]
	s_or_b64 exec, exec, s[6:7]
	s_and_saveexec_b64 s[6:7], s[4:5]
	s_cbranch_execnz .LBB30_947
	s_branch .LBB30_948
.LBB30_2997:
	s_movk_i32 s4, 0x80
	v_cmp_eq_u16_e32 vcc, s4, v6
	s_mov_b64 s[4:5], -1
                                        ; implicit-def: $sgpr10
	s_and_saveexec_b64 s[8:9], vcc
; %bb.2998:
	s_mov_b32 s10, 0x7f800001
	s_xor_b64 s[4:5], exec, -1
; %bb.2999:
	s_or_b64 exec, exec, s[8:9]
	s_and_b64 s[4:5], s[4:5], exec
                                        ; implicit-def: $vgpr6
	s_or_saveexec_b64 s[6:7], s[6:7]
	v_mov_b32_e32 v10, s10
	s_xor_b64 exec, exec, s[6:7]
	s_cbranch_execz .LBB30_950
.LBB30_3000:
	v_cmp_ne_u16_e32 vcc, 0, v6
	s_andn2_b64 s[4:5], s[4:5], exec
	s_and_b64 s[8:9], vcc, exec
	v_mov_b32_e32 v10, 0
	s_or_b64 s[4:5], s[4:5], s[8:9]
	s_or_b64 exec, exec, s[6:7]
	s_and_saveexec_b64 s[6:7], s[4:5]
	s_cbranch_execnz .LBB30_951
	s_branch .LBB30_952
.LBB30_3001:
	s_movk_i32 s4, 0x80
	v_cmp_eq_u16_sdwa s[12:13], v7, s4 src0_sel:BYTE_3 src1_sel:DWORD
	s_mov_b64 s[4:5], -1
                                        ; implicit-def: $sgpr10
	s_and_saveexec_b64 s[8:9], s[12:13]
; %bb.3002:
	s_mov_b32 s10, 0x7f800001
	s_xor_b64 s[4:5], exec, -1
; %bb.3003:
	s_or_b64 exec, exec, s[8:9]
	s_and_b64 s[4:5], s[4:5], exec
	s_or_saveexec_b64 s[6:7], s[6:7]
	v_mov_b32_e32 v2, s10
	s_xor_b64 exec, exec, s[6:7]
	s_cbranch_execz .LBB30_954
.LBB30_3004:
	v_mov_b32_e32 v2, 0
	v_cmp_ne_u16_sdwa s[8:9], v7, v2 src0_sel:BYTE_3 src1_sel:DWORD
	s_andn2_b64 s[4:5], s[4:5], exec
	s_and_b64 s[8:9], s[8:9], exec
	s_or_b64 s[4:5], s[4:5], s[8:9]
	s_or_b64 exec, exec, s[6:7]
	s_and_saveexec_b64 s[6:7], s[4:5]
	s_cbranch_execnz .LBB30_955
	s_branch .LBB30_956
.LBB30_3005:
	s_movk_i32 s4, 0x80
	v_cmp_eq_u16_sdwa s[12:13], v3, s4 src0_sel:BYTE_3 src1_sel:DWORD
	s_mov_b64 s[4:5], -1
                                        ; implicit-def: $sgpr10
	s_and_saveexec_b64 s[8:9], s[12:13]
; %bb.3006:
	s_mov_b32 s10, 0x7f800001
	s_xor_b64 s[4:5], exec, -1
; %bb.3007:
	s_or_b64 exec, exec, s[8:9]
	s_and_b64 s[4:5], s[4:5], exec
	s_or_saveexec_b64 s[6:7], s[6:7]
	v_mov_b32_e32 v6, s10
	s_xor_b64 exec, exec, s[6:7]
	s_cbranch_execz .LBB30_958
.LBB30_3008:
	v_mov_b32_e32 v6, 0
	v_cmp_ne_u16_sdwa s[8:9], v3, v6 src0_sel:BYTE_3 src1_sel:DWORD
	s_andn2_b64 s[4:5], s[4:5], exec
	s_and_b64 s[8:9], s[8:9], exec
	s_or_b64 s[4:5], s[4:5], s[8:9]
	s_or_b64 exec, exec, s[6:7]
	s_and_saveexec_b64 s[6:7], s[4:5]
	s_cbranch_execnz .LBB30_959
	s_branch .LBB30_960
.LBB30_3009:
	s_movk_i32 s4, 0x80
	v_cmp_eq_u16_sdwa s[12:13], v8, s4 src0_sel:BYTE_0 src1_sel:DWORD
	s_mov_b64 s[4:5], -1
                                        ; implicit-def: $sgpr10
	s_and_saveexec_b64 s[8:9], s[12:13]
; %bb.3010:
	s_mov_b32 s10, 0x7f800001
	s_xor_b64 s[4:5], exec, -1
; %bb.3011:
	s_or_b64 exec, exec, s[8:9]
	s_and_b64 s[4:5], s[4:5], exec
	s_or_saveexec_b64 s[6:7], s[6:7]
	v_mov_b32_e32 v2, s10
	s_xor_b64 exec, exec, s[6:7]
	s_cbranch_execz .LBB30_962
.LBB30_3012:
	v_mov_b32_e32 v2, 0
	v_cmp_ne_u16_sdwa s[8:9], v8, v2 src0_sel:BYTE_0 src1_sel:DWORD
	s_andn2_b64 s[4:5], s[4:5], exec
	s_and_b64 s[8:9], s[8:9], exec
	s_or_b64 s[4:5], s[4:5], s[8:9]
	s_or_b64 exec, exec, s[6:7]
	s_and_saveexec_b64 s[6:7], s[4:5]
	s_cbranch_execnz .LBB30_963
	s_branch .LBB30_964
.LBB30_3013:
	s_movk_i32 s4, 0x80
	v_cmp_eq_u16_sdwa s[12:13], v4, s4 src0_sel:BYTE_0 src1_sel:DWORD
	s_mov_b64 s[4:5], -1
                                        ; implicit-def: $sgpr10
	s_and_saveexec_b64 s[8:9], s[12:13]
; %bb.3014:
	s_mov_b32 s10, 0x7f800001
	s_xor_b64 s[4:5], exec, -1
; %bb.3015:
	s_or_b64 exec, exec, s[8:9]
	s_and_b64 s[4:5], s[4:5], exec
	s_or_saveexec_b64 s[6:7], s[6:7]
	v_mov_b32_e32 v3, s10
	s_xor_b64 exec, exec, s[6:7]
	s_cbranch_execz .LBB30_966
.LBB30_3016:
	v_mov_b32_e32 v3, 0
	v_cmp_ne_u16_sdwa s[8:9], v4, v3 src0_sel:BYTE_0 src1_sel:DWORD
	s_andn2_b64 s[4:5], s[4:5], exec
	s_and_b64 s[8:9], s[8:9], exec
	s_or_b64 s[4:5], s[4:5], s[8:9]
	s_or_b64 exec, exec, s[6:7]
	s_and_saveexec_b64 s[6:7], s[4:5]
	s_cbranch_execnz .LBB30_967
	s_branch .LBB30_968
.LBB30_3017:
	s_movk_i32 s4, 0x80
	v_cmp_eq_u16_sdwa s[12:13], v3, s4 src0_sel:BYTE_0 src1_sel:DWORD
	s_mov_b64 s[4:5], -1
                                        ; implicit-def: $sgpr10
	s_and_saveexec_b64 s[8:9], s[12:13]
; %bb.3018:
	s_mov_b32 s10, 0x7f800001
	s_xor_b64 s[4:5], exec, -1
; %bb.3019:
	s_or_b64 exec, exec, s[8:9]
	s_and_b64 s[4:5], s[4:5], exec
	s_or_saveexec_b64 s[6:7], s[6:7]
	v_mov_b32_e32 v2, s10
	s_xor_b64 exec, exec, s[6:7]
	s_cbranch_execz .LBB30_970
.LBB30_3020:
	v_mov_b32_e32 v2, 0
	v_cmp_ne_u16_sdwa s[8:9], v3, v2 src0_sel:BYTE_0 src1_sel:DWORD
	s_andn2_b64 s[4:5], s[4:5], exec
	s_and_b64 s[8:9], s[8:9], exec
	s_or_b64 s[4:5], s[4:5], s[8:9]
	s_or_b64 exec, exec, s[6:7]
	s_and_saveexec_b64 s[6:7], s[4:5]
	s_cbranch_execnz .LBB30_971
	s_branch .LBB30_972
.LBB30_3021:
	s_movk_i32 s4, 0x80
	v_cmp_eq_u16_sdwa s[12:13], v3, s4 src0_sel:BYTE_0 src1_sel:DWORD
	s_mov_b64 s[4:5], -1
                                        ; implicit-def: $sgpr10
	s_and_saveexec_b64 s[8:9], s[12:13]
; %bb.3022:
	s_mov_b32 s10, 0x7f800001
	s_xor_b64 s[4:5], exec, -1
; %bb.3023:
	s_or_b64 exec, exec, s[8:9]
	s_and_b64 s[4:5], s[4:5], exec
	s_or_saveexec_b64 s[6:7], s[6:7]
	v_mov_b32_e32 v6, s10
	s_xor_b64 exec, exec, s[6:7]
	s_cbranch_execz .LBB30_974
.LBB30_3024:
	v_mov_b32_e32 v6, 0
	v_cmp_ne_u16_sdwa s[8:9], v3, v6 src0_sel:BYTE_0 src1_sel:DWORD
	s_andn2_b64 s[4:5], s[4:5], exec
	s_and_b64 s[8:9], s[8:9], exec
	s_or_b64 s[4:5], s[4:5], s[8:9]
	s_or_b64 exec, exec, s[6:7]
	s_and_saveexec_b64 s[6:7], s[4:5]
	s_cbranch_execnz .LBB30_975
	s_branch .LBB30_976
.LBB30_3025:
	s_movk_i32 s4, 0x80
	v_cmp_eq_u16_e32 vcc, s4, v3
	s_mov_b64 s[4:5], -1
                                        ; implicit-def: $sgpr10
	s_and_saveexec_b64 s[8:9], vcc
; %bb.3026:
	s_mov_b32 s10, 0x7f800001
	s_xor_b64 s[4:5], exec, -1
; %bb.3027:
	s_or_b64 exec, exec, s[8:9]
	s_and_b64 s[4:5], s[4:5], exec
                                        ; implicit-def: $vgpr3
	s_or_saveexec_b64 s[6:7], s[6:7]
	v_mov_b32_e32 v2, s10
	s_xor_b64 exec, exec, s[6:7]
	s_cbranch_execz .LBB30_978
.LBB30_3028:
	v_cmp_ne_u16_e32 vcc, 0, v3
	s_andn2_b64 s[4:5], s[4:5], exec
	s_and_b64 s[8:9], vcc, exec
	v_mov_b32_e32 v2, 0
	s_or_b64 s[4:5], s[4:5], s[8:9]
	s_or_b64 exec, exec, s[6:7]
	s_and_saveexec_b64 s[6:7], s[4:5]
	s_cbranch_execnz .LBB30_979
	s_branch .LBB30_980
.LBB30_3029:
	s_movk_i32 s4, 0x80
	v_cmp_eq_u16_e32 vcc, s4, v3
	s_mov_b64 s[4:5], -1
                                        ; implicit-def: $sgpr10
	s_and_saveexec_b64 s[8:9], vcc
; %bb.3030:
	s_mov_b32 s10, 0x7f800001
	s_xor_b64 s[4:5], exec, -1
; %bb.3031:
	s_or_b64 exec, exec, s[8:9]
	s_and_b64 s[4:5], s[4:5], exec
                                        ; implicit-def: $vgpr3
	s_or_saveexec_b64 s[6:7], s[6:7]
	v_mov_b32_e32 v6, s10
	s_xor_b64 exec, exec, s[6:7]
	s_cbranch_execz .LBB30_982
.LBB30_3032:
	v_cmp_ne_u16_e32 vcc, 0, v3
	s_andn2_b64 s[4:5], s[4:5], exec
	s_and_b64 s[8:9], vcc, exec
	v_mov_b32_e32 v6, 0
	s_or_b64 s[4:5], s[4:5], s[8:9]
	s_or_b64 exec, exec, s[6:7]
	s_and_saveexec_b64 s[6:7], s[4:5]
	s_cbranch_execnz .LBB30_983
	s_branch .LBB30_984
.LBB30_3033:
	s_movk_i32 s4, 0x80
	v_cmp_eq_u16_sdwa s[12:13], v8, s4 src0_sel:BYTE_3 src1_sel:DWORD
	s_mov_b64 s[4:5], -1
                                        ; implicit-def: $sgpr10
	s_and_saveexec_b64 s[8:9], s[12:13]
; %bb.3034:
	s_mov_b32 s10, 0x7f800001
	s_xor_b64 s[4:5], exec, -1
; %bb.3035:
	s_or_b64 exec, exec, s[8:9]
	s_and_b64 s[4:5], s[4:5], exec
	s_or_saveexec_b64 s[6:7], s[6:7]
	v_mov_b32_e32 v2, s10
	s_xor_b64 exec, exec, s[6:7]
	s_cbranch_execz .LBB30_986
.LBB30_3036:
	v_mov_b32_e32 v2, 0
	v_cmp_ne_u16_sdwa s[8:9], v8, v2 src0_sel:BYTE_3 src1_sel:DWORD
	s_andn2_b64 s[4:5], s[4:5], exec
	s_and_b64 s[8:9], s[8:9], exec
	s_or_b64 s[4:5], s[4:5], s[8:9]
	s_or_b64 exec, exec, s[6:7]
	s_and_saveexec_b64 s[6:7], s[4:5]
	s_cbranch_execnz .LBB30_987
	s_branch .LBB30_988
.LBB30_3037:
	s_movk_i32 s4, 0x80
	v_cmp_eq_u16_sdwa s[12:13], v4, s4 src0_sel:BYTE_3 src1_sel:DWORD
	s_mov_b64 s[4:5], -1
                                        ; implicit-def: $sgpr10
	s_and_saveexec_b64 s[8:9], s[12:13]
; %bb.3038:
	s_mov_b32 s10, 0x7f800001
	s_xor_b64 s[4:5], exec, -1
; %bb.3039:
	s_or_b64 exec, exec, s[8:9]
	s_and_b64 s[4:5], s[4:5], exec
	s_or_saveexec_b64 s[6:7], s[6:7]
	v_mov_b32_e32 v3, s10
	s_xor_b64 exec, exec, s[6:7]
	s_cbranch_execz .LBB30_990
.LBB30_3040:
	v_mov_b32_e32 v3, 0
	v_cmp_ne_u16_sdwa s[8:9], v4, v3 src0_sel:BYTE_3 src1_sel:DWORD
	s_andn2_b64 s[4:5], s[4:5], exec
	s_and_b64 s[8:9], s[8:9], exec
	s_or_b64 s[4:5], s[4:5], s[8:9]
	s_or_b64 exec, exec, s[6:7]
	s_and_saveexec_b64 s[6:7], s[4:5]
	s_cbranch_execnz .LBB30_991
	s_branch .LBB30_992
.LBB30_3041:
	s_movk_i32 s4, 0x80
	v_cmp_eq_u16_sdwa s[12:13], v9, s4 src0_sel:BYTE_0 src1_sel:DWORD
	s_mov_b64 s[4:5], -1
                                        ; implicit-def: $sgpr10
	s_and_saveexec_b64 s[8:9], s[12:13]
; %bb.3042:
	s_mov_b32 s10, 0x7f800001
	s_xor_b64 s[4:5], exec, -1
; %bb.3043:
	s_or_b64 exec, exec, s[8:9]
	s_and_b64 s[4:5], s[4:5], exec
	s_or_saveexec_b64 s[6:7], s[6:7]
	v_mov_b32_e32 v2, s10
	s_xor_b64 exec, exec, s[6:7]
	s_cbranch_execz .LBB30_994
.LBB30_3044:
	v_mov_b32_e32 v2, 0
	v_cmp_ne_u16_sdwa s[8:9], v9, v2 src0_sel:BYTE_0 src1_sel:DWORD
	s_andn2_b64 s[4:5], s[4:5], exec
	s_and_b64 s[8:9], s[8:9], exec
	s_or_b64 s[4:5], s[4:5], s[8:9]
	s_or_b64 exec, exec, s[6:7]
	s_and_saveexec_b64 s[6:7], s[4:5]
	s_cbranch_execnz .LBB30_995
	s_branch .LBB30_996
.LBB30_3045:
	s_movk_i32 s4, 0x80
	v_cmp_eq_u16_sdwa s[12:13], v5, s4 src0_sel:BYTE_0 src1_sel:DWORD
	s_mov_b64 s[4:5], -1
                                        ; implicit-def: $sgpr10
	s_and_saveexec_b64 s[8:9], s[12:13]
; %bb.3046:
	s_mov_b32 s10, 0x7f800001
	s_xor_b64 s[4:5], exec, -1
; %bb.3047:
	s_or_b64 exec, exec, s[8:9]
	s_and_b64 s[4:5], s[4:5], exec
	s_or_saveexec_b64 s[6:7], s[6:7]
	v_mov_b32_e32 v3, s10
	s_xor_b64 exec, exec, s[6:7]
	s_cbranch_execz .LBB30_998
.LBB30_3048:
	v_mov_b32_e32 v3, 0
	v_cmp_ne_u16_sdwa s[8:9], v5, v3 src0_sel:BYTE_0 src1_sel:DWORD
	s_andn2_b64 s[4:5], s[4:5], exec
	s_and_b64 s[8:9], s[8:9], exec
	s_or_b64 s[4:5], s[4:5], s[8:9]
	s_or_b64 exec, exec, s[6:7]
	s_and_saveexec_b64 s[6:7], s[4:5]
	s_cbranch_execnz .LBB30_999
	s_branch .LBB30_1000
.LBB30_3049:
	s_movk_i32 s4, 0x80
	v_cmp_eq_u16_sdwa s[12:13], v3, s4 src0_sel:BYTE_0 src1_sel:DWORD
	s_mov_b64 s[4:5], -1
                                        ; implicit-def: $sgpr10
	s_and_saveexec_b64 s[8:9], s[12:13]
; %bb.3050:
	s_mov_b32 s10, 0x7f800001
	s_xor_b64 s[4:5], exec, -1
; %bb.3051:
	s_or_b64 exec, exec, s[8:9]
	s_and_b64 s[4:5], s[4:5], exec
	s_or_saveexec_b64 s[6:7], s[6:7]
	v_mov_b32_e32 v2, s10
	s_xor_b64 exec, exec, s[6:7]
	s_cbranch_execz .LBB30_1002
.LBB30_3052:
	v_mov_b32_e32 v2, 0
	v_cmp_ne_u16_sdwa s[8:9], v3, v2 src0_sel:BYTE_0 src1_sel:DWORD
	s_andn2_b64 s[4:5], s[4:5], exec
	s_and_b64 s[8:9], s[8:9], exec
	s_or_b64 s[4:5], s[4:5], s[8:9]
	s_or_b64 exec, exec, s[6:7]
	s_and_saveexec_b64 s[6:7], s[4:5]
	s_cbranch_execnz .LBB30_1003
	s_branch .LBB30_1004
.LBB30_3053:
	s_movk_i32 s4, 0x80
	v_cmp_eq_u16_sdwa s[12:13], v3, s4 src0_sel:BYTE_0 src1_sel:DWORD
	s_mov_b64 s[4:5], -1
                                        ; implicit-def: $sgpr10
	s_and_saveexec_b64 s[8:9], s[12:13]
; %bb.3054:
	s_mov_b32 s10, 0x7f800001
	s_xor_b64 s[4:5], exec, -1
; %bb.3055:
	s_or_b64 exec, exec, s[8:9]
	s_and_b64 s[4:5], s[4:5], exec
	s_or_saveexec_b64 s[6:7], s[6:7]
	v_mov_b32_e32 v4, s10
	s_xor_b64 exec, exec, s[6:7]
	s_cbranch_execz .LBB30_1006
.LBB30_3056:
	v_mov_b32_e32 v4, 0
	v_cmp_ne_u16_sdwa s[8:9], v3, v4 src0_sel:BYTE_0 src1_sel:DWORD
	s_andn2_b64 s[4:5], s[4:5], exec
	s_and_b64 s[8:9], s[8:9], exec
	s_or_b64 s[4:5], s[4:5], s[8:9]
	s_or_b64 exec, exec, s[6:7]
	s_and_saveexec_b64 s[6:7], s[4:5]
	s_cbranch_execnz .LBB30_1007
	s_branch .LBB30_1008
.LBB30_3057:
	s_movk_i32 s4, 0x80
	v_cmp_eq_u16_e32 vcc, s4, v3
	s_mov_b64 s[4:5], -1
                                        ; implicit-def: $sgpr10
	s_and_saveexec_b64 s[8:9], vcc
; %bb.3058:
	s_mov_b32 s10, 0x7f800001
	s_xor_b64 s[4:5], exec, -1
; %bb.3059:
	s_or_b64 exec, exec, s[8:9]
	s_and_b64 s[4:5], s[4:5], exec
                                        ; implicit-def: $vgpr3
	s_or_saveexec_b64 s[6:7], s[6:7]
	v_mov_b32_e32 v2, s10
	s_xor_b64 exec, exec, s[6:7]
	s_cbranch_execz .LBB30_1010
.LBB30_3060:
	v_cmp_ne_u16_e32 vcc, 0, v3
	s_andn2_b64 s[4:5], s[4:5], exec
	s_and_b64 s[8:9], vcc, exec
	v_mov_b32_e32 v2, 0
	s_or_b64 s[4:5], s[4:5], s[8:9]
	s_or_b64 exec, exec, s[6:7]
	s_and_saveexec_b64 s[6:7], s[4:5]
	s_cbranch_execnz .LBB30_1011
	s_branch .LBB30_1012
.LBB30_3061:
	s_movk_i32 s4, 0x80
	v_cmp_eq_u16_e32 vcc, s4, v3
	s_mov_b64 s[4:5], -1
                                        ; implicit-def: $sgpr10
	s_and_saveexec_b64 s[8:9], vcc
; %bb.3062:
	s_mov_b32 s10, 0x7f800001
	s_xor_b64 s[4:5], exec, -1
; %bb.3063:
	s_or_b64 exec, exec, s[8:9]
	s_and_b64 s[4:5], s[4:5], exec
                                        ; implicit-def: $vgpr3
	s_or_saveexec_b64 s[6:7], s[6:7]
	v_mov_b32_e32 v4, s10
	s_xor_b64 exec, exec, s[6:7]
	s_cbranch_execz .LBB30_1014
.LBB30_3064:
	v_cmp_ne_u16_e32 vcc, 0, v3
	s_andn2_b64 s[4:5], s[4:5], exec
	s_and_b64 s[8:9], vcc, exec
	v_mov_b32_e32 v4, 0
	s_or_b64 s[4:5], s[4:5], s[8:9]
	s_or_b64 exec, exec, s[6:7]
	s_and_saveexec_b64 s[6:7], s[4:5]
	s_cbranch_execnz .LBB30_1015
	s_branch .LBB30_1016
.LBB30_3065:
	s_movk_i32 s4, 0x80
	v_cmp_eq_u16_sdwa s[12:13], v9, s4 src0_sel:BYTE_3 src1_sel:DWORD
	s_mov_b64 s[4:5], -1
                                        ; implicit-def: $sgpr10
	s_and_saveexec_b64 s[8:9], s[12:13]
; %bb.3066:
	s_mov_b32 s10, 0x7f800001
	s_xor_b64 s[4:5], exec, -1
; %bb.3067:
	s_or_b64 exec, exec, s[8:9]
	s_and_b64 s[4:5], s[4:5], exec
	s_or_saveexec_b64 s[6:7], s[6:7]
	v_mov_b32_e32 v2, s10
	s_xor_b64 exec, exec, s[6:7]
	s_cbranch_execz .LBB30_1018
.LBB30_3068:
	v_mov_b32_e32 v2, 0
	v_cmp_ne_u16_sdwa s[8:9], v9, v2 src0_sel:BYTE_3 src1_sel:DWORD
	s_andn2_b64 s[4:5], s[4:5], exec
	s_and_b64 s[8:9], s[8:9], exec
	s_or_b64 s[4:5], s[4:5], s[8:9]
	s_or_b64 exec, exec, s[6:7]
	s_and_saveexec_b64 s[6:7], s[4:5]
	s_cbranch_execnz .LBB30_1019
	s_branch .LBB30_1020
.LBB30_3069:
	s_movk_i32 s4, 0x80
	v_cmp_eq_u16_sdwa s[12:13], v5, s4 src0_sel:BYTE_3 src1_sel:DWORD
	s_mov_b64 s[4:5], -1
                                        ; implicit-def: $sgpr10
	s_and_saveexec_b64 s[8:9], s[12:13]
; %bb.3070:
	s_mov_b32 s10, 0x7f800001
	s_xor_b64 s[4:5], exec, -1
; %bb.3071:
	s_or_b64 exec, exec, s[8:9]
	s_and_b64 s[4:5], s[4:5], exec
	s_or_saveexec_b64 s[6:7], s[6:7]
	v_mov_b32_e32 v3, s10
	s_xor_b64 exec, exec, s[6:7]
	s_cbranch_execz .LBB30_1022
.LBB30_3072:
	v_mov_b32_e32 v3, 0
	v_cmp_ne_u16_sdwa s[8:9], v5, v3 src0_sel:BYTE_3 src1_sel:DWORD
	s_andn2_b64 s[4:5], s[4:5], exec
	s_and_b64 s[8:9], s[8:9], exec
	s_or_b64 s[4:5], s[4:5], s[8:9]
	s_or_b64 exec, exec, s[6:7]
	s_and_saveexec_b64 s[6:7], s[4:5]
	s_cbranch_execnz .LBB30_1023
	s_branch .LBB30_1024
.LBB30_3073:
	s_movk_i32 s4, 0x80
	v_cmp_eq_u16_sdwa s[12:13], v14, s4 src0_sel:BYTE_0 src1_sel:DWORD
	s_mov_b64 s[4:5], -1
                                        ; implicit-def: $sgpr10
	s_and_saveexec_b64 s[8:9], s[12:13]
; %bb.3074:
	s_mov_b32 s10, 0x7f800001
	s_xor_b64 s[4:5], exec, -1
; %bb.3075:
	s_or_b64 exec, exec, s[8:9]
	s_and_b64 s[4:5], s[4:5], exec
	s_or_saveexec_b64 s[6:7], s[6:7]
	v_mov_b32_e32 v20, s10
	s_xor_b64 exec, exec, s[6:7]
	s_cbranch_execz .LBB30_1026
.LBB30_3076:
	v_mov_b32_e32 v20, 0
	v_cmp_ne_u16_sdwa s[8:9], v14, v20 src0_sel:BYTE_0 src1_sel:DWORD
	s_andn2_b64 s[4:5], s[4:5], exec
	s_and_b64 s[8:9], s[8:9], exec
	s_or_b64 s[4:5], s[4:5], s[8:9]
	s_or_b64 exec, exec, s[6:7]
	s_and_saveexec_b64 s[6:7], s[4:5]
	s_cbranch_execnz .LBB30_1027
	s_branch .LBB30_1028
.LBB30_3077:
	s_movk_i32 s4, 0x80
	v_cmp_eq_u16_sdwa s[12:13], v10, s4 src0_sel:BYTE_0 src1_sel:DWORD
	s_mov_b64 s[4:5], -1
                                        ; implicit-def: $sgpr10
	s_and_saveexec_b64 s[8:9], s[12:13]
; %bb.3078:
	s_mov_b32 s10, 0x7f800001
	s_xor_b64 s[4:5], exec, -1
; %bb.3079:
	s_or_b64 exec, exec, s[8:9]
	s_and_b64 s[4:5], s[4:5], exec
	s_or_saveexec_b64 s[6:7], s[6:7]
	v_mov_b32_e32 v21, s10
	s_xor_b64 exec, exec, s[6:7]
	s_cbranch_execz .LBB30_1030
.LBB30_3080:
	v_mov_b32_e32 v21, 0
	v_cmp_ne_u16_sdwa s[8:9], v10, v21 src0_sel:BYTE_0 src1_sel:DWORD
	s_andn2_b64 s[4:5], s[4:5], exec
	s_and_b64 s[8:9], s[8:9], exec
	s_or_b64 s[4:5], s[4:5], s[8:9]
	s_or_b64 exec, exec, s[6:7]
	s_and_saveexec_b64 s[6:7], s[4:5]
	s_cbranch_execnz .LBB30_1031
	s_branch .LBB30_1032
.LBB30_3081:
	s_movk_i32 s4, 0x80
	v_cmp_eq_u16_sdwa s[12:13], v21, s4 src0_sel:BYTE_0 src1_sel:DWORD
	s_mov_b64 s[4:5], -1
                                        ; implicit-def: $sgpr10
	s_and_saveexec_b64 s[8:9], s[12:13]
; %bb.3082:
	s_mov_b32 s10, 0x7f800001
	s_xor_b64 s[4:5], exec, -1
; %bb.3083:
	s_or_b64 exec, exec, s[8:9]
	s_and_b64 s[4:5], s[4:5], exec
	s_or_saveexec_b64 s[6:7], s[6:7]
	v_mov_b32_e32 v20, s10
	s_xor_b64 exec, exec, s[6:7]
	s_cbranch_execz .LBB30_1034
.LBB30_3084:
	v_mov_b32_e32 v20, 0
	v_cmp_ne_u16_sdwa s[8:9], v21, v20 src0_sel:BYTE_0 src1_sel:DWORD
	s_andn2_b64 s[4:5], s[4:5], exec
	s_and_b64 s[8:9], s[8:9], exec
	s_or_b64 s[4:5], s[4:5], s[8:9]
	s_or_b64 exec, exec, s[6:7]
	s_and_saveexec_b64 s[6:7], s[4:5]
	s_cbranch_execnz .LBB30_1035
	s_branch .LBB30_1036
.LBB30_3085:
	s_movk_i32 s4, 0x80
	v_cmp_eq_u16_sdwa s[12:13], v21, s4 src0_sel:BYTE_0 src1_sel:DWORD
	s_mov_b64 s[4:5], -1
                                        ; implicit-def: $sgpr10
	s_and_saveexec_b64 s[8:9], s[12:13]
; %bb.3086:
	s_mov_b32 s10, 0x7f800001
	s_xor_b64 s[4:5], exec, -1
; %bb.3087:
	s_or_b64 exec, exec, s[8:9]
	s_and_b64 s[4:5], s[4:5], exec
	s_or_saveexec_b64 s[6:7], s[6:7]
	v_mov_b32_e32 v22, s10
	s_xor_b64 exec, exec, s[6:7]
	s_cbranch_execz .LBB30_1038
.LBB30_3088:
	v_mov_b32_e32 v22, 0
	v_cmp_ne_u16_sdwa s[8:9], v21, v22 src0_sel:BYTE_0 src1_sel:DWORD
	s_andn2_b64 s[4:5], s[4:5], exec
	s_and_b64 s[8:9], s[8:9], exec
	s_or_b64 s[4:5], s[4:5], s[8:9]
	s_or_b64 exec, exec, s[6:7]
	s_and_saveexec_b64 s[6:7], s[4:5]
	s_cbranch_execnz .LBB30_1039
	s_branch .LBB30_1040
.LBB30_3089:
	s_movk_i32 s4, 0x80
	v_cmp_eq_u16_e32 vcc, s4, v21
	s_mov_b64 s[4:5], -1
                                        ; implicit-def: $sgpr10
	s_and_saveexec_b64 s[8:9], vcc
; %bb.3090:
	s_mov_b32 s10, 0x7f800001
	s_xor_b64 s[4:5], exec, -1
; %bb.3091:
	s_or_b64 exec, exec, s[8:9]
	s_and_b64 s[4:5], s[4:5], exec
                                        ; implicit-def: $vgpr21
	s_or_saveexec_b64 s[6:7], s[6:7]
	v_mov_b32_e32 v20, s10
	s_xor_b64 exec, exec, s[6:7]
	s_cbranch_execz .LBB30_1042
.LBB30_3092:
	v_cmp_ne_u16_e32 vcc, 0, v21
	s_andn2_b64 s[4:5], s[4:5], exec
	s_and_b64 s[8:9], vcc, exec
	v_mov_b32_e32 v20, 0
	s_or_b64 s[4:5], s[4:5], s[8:9]
	s_or_b64 exec, exec, s[6:7]
	s_and_saveexec_b64 s[6:7], s[4:5]
	s_cbranch_execnz .LBB30_1043
	s_branch .LBB30_1044
.LBB30_3093:
	s_movk_i32 s4, 0x80
	v_cmp_eq_u16_e32 vcc, s4, v21
	s_mov_b64 s[4:5], -1
                                        ; implicit-def: $sgpr10
	s_and_saveexec_b64 s[8:9], vcc
; %bb.3094:
	s_mov_b32 s10, 0x7f800001
	s_xor_b64 s[4:5], exec, -1
; %bb.3095:
	s_or_b64 exec, exec, s[8:9]
	s_and_b64 s[4:5], s[4:5], exec
                                        ; implicit-def: $vgpr21
	s_or_saveexec_b64 s[6:7], s[6:7]
	v_mov_b32_e32 v22, s10
	s_xor_b64 exec, exec, s[6:7]
	s_cbranch_execz .LBB30_1046
.LBB30_3096:
	v_cmp_ne_u16_e32 vcc, 0, v21
	s_andn2_b64 s[4:5], s[4:5], exec
	s_and_b64 s[8:9], vcc, exec
	v_mov_b32_e32 v22, 0
	s_or_b64 s[4:5], s[4:5], s[8:9]
	s_or_b64 exec, exec, s[6:7]
	s_and_saveexec_b64 s[6:7], s[4:5]
	s_cbranch_execnz .LBB30_1047
	s_branch .LBB30_1048
.LBB30_3097:
	s_movk_i32 s4, 0x80
	v_cmp_eq_u16_sdwa s[12:13], v14, s4 src0_sel:BYTE_3 src1_sel:DWORD
	s_mov_b64 s[4:5], -1
                                        ; implicit-def: $sgpr10
	s_and_saveexec_b64 s[8:9], s[12:13]
; %bb.3098:
	s_mov_b32 s10, 0x7f800001
	s_xor_b64 s[4:5], exec, -1
; %bb.3099:
	s_or_b64 exec, exec, s[8:9]
	s_and_b64 s[4:5], s[4:5], exec
	s_or_saveexec_b64 s[6:7], s[6:7]
	v_mov_b32_e32 v20, s10
	s_xor_b64 exec, exec, s[6:7]
	s_cbranch_execz .LBB30_1050
.LBB30_3100:
	v_mov_b32_e32 v20, 0
	v_cmp_ne_u16_sdwa s[8:9], v14, v20 src0_sel:BYTE_3 src1_sel:DWORD
	s_andn2_b64 s[4:5], s[4:5], exec
	s_and_b64 s[8:9], s[8:9], exec
	s_or_b64 s[4:5], s[4:5], s[8:9]
	s_or_b64 exec, exec, s[6:7]
	s_and_saveexec_b64 s[6:7], s[4:5]
	s_cbranch_execnz .LBB30_1051
	s_branch .LBB30_1052
.LBB30_3101:
	s_movk_i32 s4, 0x80
	v_cmp_eq_u16_sdwa s[12:13], v10, s4 src0_sel:BYTE_3 src1_sel:DWORD
	s_mov_b64 s[4:5], -1
                                        ; implicit-def: $sgpr10
	s_and_saveexec_b64 s[8:9], s[12:13]
; %bb.3102:
	s_mov_b32 s10, 0x7f800001
	s_xor_b64 s[4:5], exec, -1
; %bb.3103:
	s_or_b64 exec, exec, s[8:9]
	s_and_b64 s[4:5], s[4:5], exec
	s_or_saveexec_b64 s[6:7], s[6:7]
	v_mov_b32_e32 v14, s10
	s_xor_b64 exec, exec, s[6:7]
	s_cbranch_execz .LBB30_1054
.LBB30_3104:
	v_mov_b32_e32 v14, 0
	v_cmp_ne_u16_sdwa s[8:9], v10, v14 src0_sel:BYTE_3 src1_sel:DWORD
	s_andn2_b64 s[4:5], s[4:5], exec
	s_and_b64 s[8:9], s[8:9], exec
	s_or_b64 s[4:5], s[4:5], s[8:9]
	s_or_b64 exec, exec, s[6:7]
	s_and_saveexec_b64 s[6:7], s[4:5]
	s_cbranch_execnz .LBB30_1055
	s_branch .LBB30_1056
.LBB30_3105:
	s_movk_i32 s4, 0x80
	v_cmp_eq_u16_sdwa s[12:13], v15, s4 src0_sel:BYTE_0 src1_sel:DWORD
	s_mov_b64 s[4:5], -1
                                        ; implicit-def: $sgpr10
	s_and_saveexec_b64 s[8:9], s[12:13]
; %bb.3106:
	s_mov_b32 s10, 0x7f800001
	s_xor_b64 s[4:5], exec, -1
; %bb.3107:
	s_or_b64 exec, exec, s[8:9]
	s_and_b64 s[4:5], s[4:5], exec
	s_or_saveexec_b64 s[6:7], s[6:7]
	v_mov_b32_e32 v10, s10
	s_xor_b64 exec, exec, s[6:7]
	s_cbranch_execz .LBB30_1058
.LBB30_3108:
	v_mov_b32_e32 v10, 0
	v_cmp_ne_u16_sdwa s[8:9], v15, v10 src0_sel:BYTE_0 src1_sel:DWORD
	s_andn2_b64 s[4:5], s[4:5], exec
	s_and_b64 s[8:9], s[8:9], exec
	s_or_b64 s[4:5], s[4:5], s[8:9]
	s_or_b64 exec, exec, s[6:7]
	s_and_saveexec_b64 s[6:7], s[4:5]
	s_cbranch_execnz .LBB30_1059
	s_branch .LBB30_1060
.LBB30_3109:
	s_movk_i32 s4, 0x80
	v_cmp_eq_u16_sdwa s[12:13], v11, s4 src0_sel:BYTE_0 src1_sel:DWORD
	s_mov_b64 s[4:5], -1
                                        ; implicit-def: $sgpr10
	s_and_saveexec_b64 s[8:9], s[12:13]
; %bb.3110:
	s_mov_b32 s10, 0x7f800001
	s_xor_b64 s[4:5], exec, -1
; %bb.3111:
	s_or_b64 exec, exec, s[8:9]
	s_and_b64 s[4:5], s[4:5], exec
	s_or_saveexec_b64 s[6:7], s[6:7]
	v_mov_b32_e32 v14, s10
	s_xor_b64 exec, exec, s[6:7]
	s_cbranch_execz .LBB30_1062
.LBB30_3112:
	v_mov_b32_e32 v14, 0
	v_cmp_ne_u16_sdwa s[8:9], v11, v14 src0_sel:BYTE_0 src1_sel:DWORD
	s_andn2_b64 s[4:5], s[4:5], exec
	s_and_b64 s[8:9], s[8:9], exec
	s_or_b64 s[4:5], s[4:5], s[8:9]
	s_or_b64 exec, exec, s[6:7]
	s_and_saveexec_b64 s[6:7], s[4:5]
	s_cbranch_execnz .LBB30_1063
	s_branch .LBB30_1064
.LBB30_3113:
	s_movk_i32 s4, 0x80
	v_cmp_eq_u16_sdwa s[12:13], v14, s4 src0_sel:BYTE_0 src1_sel:DWORD
	s_mov_b64 s[4:5], -1
                                        ; implicit-def: $sgpr10
	s_and_saveexec_b64 s[8:9], s[12:13]
; %bb.3114:
	s_mov_b32 s10, 0x7f800001
	s_xor_b64 s[4:5], exec, -1
; %bb.3115:
	s_or_b64 exec, exec, s[8:9]
	s_and_b64 s[4:5], s[4:5], exec
	s_or_saveexec_b64 s[6:7], s[6:7]
	v_mov_b32_e32 v10, s10
	s_xor_b64 exec, exec, s[6:7]
	s_cbranch_execz .LBB30_1066
.LBB30_3116:
	v_mov_b32_e32 v10, 0
	v_cmp_ne_u16_sdwa s[8:9], v14, v10 src0_sel:BYTE_0 src1_sel:DWORD
	s_andn2_b64 s[4:5], s[4:5], exec
	s_and_b64 s[8:9], s[8:9], exec
	s_or_b64 s[4:5], s[4:5], s[8:9]
	s_or_b64 exec, exec, s[6:7]
	s_and_saveexec_b64 s[6:7], s[4:5]
	s_cbranch_execnz .LBB30_1067
	s_branch .LBB30_1068
.LBB30_3117:
	s_movk_i32 s4, 0x80
	v_cmp_eq_u16_sdwa s[12:13], v14, s4 src0_sel:BYTE_0 src1_sel:DWORD
	s_mov_b64 s[4:5], -1
                                        ; implicit-def: $sgpr10
	s_and_saveexec_b64 s[8:9], s[12:13]
; %bb.3118:
	s_mov_b32 s10, 0x7f800001
	s_xor_b64 s[4:5], exec, -1
; %bb.3119:
	s_or_b64 exec, exec, s[8:9]
	s_and_b64 s[4:5], s[4:5], exec
	s_or_saveexec_b64 s[6:7], s[6:7]
	v_mov_b32_e32 v20, s10
	s_xor_b64 exec, exec, s[6:7]
	s_cbranch_execz .LBB30_1070
.LBB30_3120:
	v_mov_b32_e32 v20, 0
	v_cmp_ne_u16_sdwa s[8:9], v14, v20 src0_sel:BYTE_0 src1_sel:DWORD
	s_andn2_b64 s[4:5], s[4:5], exec
	s_and_b64 s[8:9], s[8:9], exec
	s_or_b64 s[4:5], s[4:5], s[8:9]
	s_or_b64 exec, exec, s[6:7]
	s_and_saveexec_b64 s[6:7], s[4:5]
	s_cbranch_execnz .LBB30_1071
	s_branch .LBB30_1072
.LBB30_3121:
	s_movk_i32 s4, 0x80
	v_cmp_eq_u16_e32 vcc, s4, v14
	s_mov_b64 s[4:5], -1
                                        ; implicit-def: $sgpr10
	s_and_saveexec_b64 s[8:9], vcc
; %bb.3122:
	s_mov_b32 s10, 0x7f800001
	s_xor_b64 s[4:5], exec, -1
; %bb.3123:
	s_or_b64 exec, exec, s[8:9]
	s_and_b64 s[4:5], s[4:5], exec
                                        ; implicit-def: $vgpr14
	s_or_saveexec_b64 s[6:7], s[6:7]
	v_mov_b32_e32 v10, s10
	s_xor_b64 exec, exec, s[6:7]
	s_cbranch_execz .LBB30_1074
.LBB30_3124:
	v_cmp_ne_u16_e32 vcc, 0, v14
	s_andn2_b64 s[4:5], s[4:5], exec
	s_and_b64 s[8:9], vcc, exec
	v_mov_b32_e32 v10, 0
	s_or_b64 s[4:5], s[4:5], s[8:9]
	s_or_b64 exec, exec, s[6:7]
	s_and_saveexec_b64 s[6:7], s[4:5]
	s_cbranch_execnz .LBB30_1075
	s_branch .LBB30_1076
.LBB30_3125:
	s_movk_i32 s4, 0x80
	v_cmp_eq_u16_e32 vcc, s4, v14
	s_mov_b64 s[4:5], -1
                                        ; implicit-def: $sgpr10
	s_and_saveexec_b64 s[8:9], vcc
; %bb.3126:
	s_mov_b32 s10, 0x7f800001
	s_xor_b64 s[4:5], exec, -1
; %bb.3127:
	s_or_b64 exec, exec, s[8:9]
	s_and_b64 s[4:5], s[4:5], exec
                                        ; implicit-def: $vgpr14
	s_or_saveexec_b64 s[6:7], s[6:7]
	v_mov_b32_e32 v20, s10
	s_xor_b64 exec, exec, s[6:7]
	s_cbranch_execz .LBB30_1078
.LBB30_3128:
	v_cmp_ne_u16_e32 vcc, 0, v14
	s_andn2_b64 s[4:5], s[4:5], exec
	s_and_b64 s[8:9], vcc, exec
	v_mov_b32_e32 v20, 0
	s_or_b64 s[4:5], s[4:5], s[8:9]
	s_or_b64 exec, exec, s[6:7]
	s_and_saveexec_b64 s[6:7], s[4:5]
	s_cbranch_execnz .LBB30_1079
	s_branch .LBB30_1080
.LBB30_3129:
	s_movk_i32 s4, 0x80
	v_cmp_eq_u16_sdwa s[12:13], v15, s4 src0_sel:BYTE_3 src1_sel:DWORD
	s_mov_b64 s[4:5], -1
                                        ; implicit-def: $sgpr10
	s_and_saveexec_b64 s[8:9], s[12:13]
; %bb.3130:
	s_mov_b32 s10, 0x7f800001
	s_xor_b64 s[4:5], exec, -1
; %bb.3131:
	s_or_b64 exec, exec, s[8:9]
	s_and_b64 s[4:5], s[4:5], exec
	s_or_saveexec_b64 s[6:7], s[6:7]
	v_mov_b32_e32 v10, s10
	s_xor_b64 exec, exec, s[6:7]
	s_cbranch_execz .LBB30_1082
.LBB30_3132:
	v_mov_b32_e32 v10, 0
	v_cmp_ne_u16_sdwa s[8:9], v15, v10 src0_sel:BYTE_3 src1_sel:DWORD
	s_andn2_b64 s[4:5], s[4:5], exec
	s_and_b64 s[8:9], s[8:9], exec
	s_or_b64 s[4:5], s[4:5], s[8:9]
	s_or_b64 exec, exec, s[6:7]
	s_and_saveexec_b64 s[6:7], s[4:5]
	s_cbranch_execnz .LBB30_1083
	s_branch .LBB30_1084
.LBB30_3133:
	s_movk_i32 s4, 0x80
	v_cmp_eq_u16_sdwa s[12:13], v11, s4 src0_sel:BYTE_3 src1_sel:DWORD
	s_mov_b64 s[4:5], -1
                                        ; implicit-def: $sgpr10
	s_and_saveexec_b64 s[8:9], s[12:13]
; %bb.3134:
	s_mov_b32 s10, 0x7f800001
	s_xor_b64 s[4:5], exec, -1
; %bb.3135:
	s_or_b64 exec, exec, s[8:9]
	s_and_b64 s[4:5], s[4:5], exec
	s_or_saveexec_b64 s[6:7], s[6:7]
	v_mov_b32_e32 v14, s10
	s_xor_b64 exec, exec, s[6:7]
	s_cbranch_execz .LBB30_1086
.LBB30_3136:
	v_mov_b32_e32 v14, 0
	v_cmp_ne_u16_sdwa s[8:9], v11, v14 src0_sel:BYTE_3 src1_sel:DWORD
	s_andn2_b64 s[4:5], s[4:5], exec
	s_and_b64 s[8:9], s[8:9], exec
	s_or_b64 s[4:5], s[4:5], s[8:9]
	s_or_b64 exec, exec, s[6:7]
	s_and_saveexec_b64 s[6:7], s[4:5]
	s_cbranch_execnz .LBB30_1087
	s_branch .LBB30_1088
.LBB30_3137:
	s_movk_i32 s4, 0x80
	v_cmp_eq_u16_sdwa s[12:13], v16, s4 src0_sel:BYTE_0 src1_sel:DWORD
	s_mov_b64 s[4:5], -1
                                        ; implicit-def: $sgpr10
	s_and_saveexec_b64 s[8:9], s[12:13]
; %bb.3138:
	s_mov_b32 s10, 0x7f800001
	s_xor_b64 s[4:5], exec, -1
; %bb.3139:
	s_or_b64 exec, exec, s[8:9]
	s_and_b64 s[4:5], s[4:5], exec
	s_or_saveexec_b64 s[6:7], s[6:7]
	v_mov_b32_e32 v10, s10
	s_xor_b64 exec, exec, s[6:7]
	s_cbranch_execz .LBB30_1090
.LBB30_3140:
	v_mov_b32_e32 v10, 0
	v_cmp_ne_u16_sdwa s[8:9], v16, v10 src0_sel:BYTE_0 src1_sel:DWORD
	s_andn2_b64 s[4:5], s[4:5], exec
	s_and_b64 s[8:9], s[8:9], exec
	s_or_b64 s[4:5], s[4:5], s[8:9]
	s_or_b64 exec, exec, s[6:7]
	s_and_saveexec_b64 s[6:7], s[4:5]
	s_cbranch_execnz .LBB30_1091
	s_branch .LBB30_1092
.LBB30_3141:
	s_movk_i32 s4, 0x80
	v_cmp_eq_u16_sdwa s[12:13], v12, s4 src0_sel:BYTE_0 src1_sel:DWORD
	s_mov_b64 s[4:5], -1
                                        ; implicit-def: $sgpr10
	s_and_saveexec_b64 s[8:9], s[12:13]
; %bb.3142:
	s_mov_b32 s10, 0x7f800001
	s_xor_b64 s[4:5], exec, -1
; %bb.3143:
	s_or_b64 exec, exec, s[8:9]
	s_and_b64 s[4:5], s[4:5], exec
	s_or_saveexec_b64 s[6:7], s[6:7]
	v_mov_b32_e32 v11, s10
	s_xor_b64 exec, exec, s[6:7]
	s_cbranch_execz .LBB30_1094
.LBB30_3144:
	v_mov_b32_e32 v11, 0
	v_cmp_ne_u16_sdwa s[8:9], v12, v11 src0_sel:BYTE_0 src1_sel:DWORD
	s_andn2_b64 s[4:5], s[4:5], exec
	s_and_b64 s[8:9], s[8:9], exec
	s_or_b64 s[4:5], s[4:5], s[8:9]
	s_or_b64 exec, exec, s[6:7]
	s_and_saveexec_b64 s[6:7], s[4:5]
	s_cbranch_execnz .LBB30_1095
	s_branch .LBB30_1096
.LBB30_3145:
	s_movk_i32 s4, 0x80
	v_cmp_eq_u16_sdwa s[12:13], v11, s4 src0_sel:BYTE_0 src1_sel:DWORD
	s_mov_b64 s[4:5], -1
                                        ; implicit-def: $sgpr10
	s_and_saveexec_b64 s[8:9], s[12:13]
; %bb.3146:
	s_mov_b32 s10, 0x7f800001
	s_xor_b64 s[4:5], exec, -1
; %bb.3147:
	s_or_b64 exec, exec, s[8:9]
	s_and_b64 s[4:5], s[4:5], exec
	s_or_saveexec_b64 s[6:7], s[6:7]
	v_mov_b32_e32 v10, s10
	s_xor_b64 exec, exec, s[6:7]
	s_cbranch_execz .LBB30_1098
.LBB30_3148:
	v_mov_b32_e32 v10, 0
	v_cmp_ne_u16_sdwa s[8:9], v11, v10 src0_sel:BYTE_0 src1_sel:DWORD
	s_andn2_b64 s[4:5], s[4:5], exec
	s_and_b64 s[8:9], s[8:9], exec
	s_or_b64 s[4:5], s[4:5], s[8:9]
	s_or_b64 exec, exec, s[6:7]
	s_and_saveexec_b64 s[6:7], s[4:5]
	s_cbranch_execnz .LBB30_1099
	s_branch .LBB30_1100
.LBB30_3149:
	s_movk_i32 s4, 0x80
	v_cmp_eq_u16_sdwa s[12:13], v11, s4 src0_sel:BYTE_0 src1_sel:DWORD
	s_mov_b64 s[4:5], -1
                                        ; implicit-def: $sgpr10
	s_and_saveexec_b64 s[8:9], s[12:13]
; %bb.3150:
	s_mov_b32 s10, 0x7f800001
	s_xor_b64 s[4:5], exec, -1
; %bb.3151:
	s_or_b64 exec, exec, s[8:9]
	s_and_b64 s[4:5], s[4:5], exec
	s_or_saveexec_b64 s[6:7], s[6:7]
	v_mov_b32_e32 v14, s10
	s_xor_b64 exec, exec, s[6:7]
	s_cbranch_execz .LBB30_1102
.LBB30_3152:
	v_mov_b32_e32 v14, 0
	v_cmp_ne_u16_sdwa s[8:9], v11, v14 src0_sel:BYTE_0 src1_sel:DWORD
	s_andn2_b64 s[4:5], s[4:5], exec
	s_and_b64 s[8:9], s[8:9], exec
	s_or_b64 s[4:5], s[4:5], s[8:9]
	s_or_b64 exec, exec, s[6:7]
	s_and_saveexec_b64 s[6:7], s[4:5]
	s_cbranch_execnz .LBB30_1103
	s_branch .LBB30_1104
.LBB30_3153:
	s_movk_i32 s4, 0x80
	v_cmp_eq_u16_e32 vcc, s4, v11
	s_mov_b64 s[4:5], -1
                                        ; implicit-def: $sgpr10
	s_and_saveexec_b64 s[8:9], vcc
; %bb.3154:
	s_mov_b32 s10, 0x7f800001
	s_xor_b64 s[4:5], exec, -1
; %bb.3155:
	s_or_b64 exec, exec, s[8:9]
	s_and_b64 s[4:5], s[4:5], exec
                                        ; implicit-def: $vgpr11
	s_or_saveexec_b64 s[6:7], s[6:7]
	v_mov_b32_e32 v10, s10
	s_xor_b64 exec, exec, s[6:7]
	s_cbranch_execz .LBB30_1106
.LBB30_3156:
	v_cmp_ne_u16_e32 vcc, 0, v11
	s_andn2_b64 s[4:5], s[4:5], exec
	s_and_b64 s[8:9], vcc, exec
	v_mov_b32_e32 v10, 0
	s_or_b64 s[4:5], s[4:5], s[8:9]
	s_or_b64 exec, exec, s[6:7]
	s_and_saveexec_b64 s[6:7], s[4:5]
	s_cbranch_execnz .LBB30_1107
	s_branch .LBB30_1108
.LBB30_3157:
	s_movk_i32 s4, 0x80
	v_cmp_eq_u16_e32 vcc, s4, v11
	s_mov_b64 s[4:5], -1
                                        ; implicit-def: $sgpr10
	s_and_saveexec_b64 s[8:9], vcc
; %bb.3158:
	s_mov_b32 s10, 0x7f800001
	s_xor_b64 s[4:5], exec, -1
; %bb.3159:
	s_or_b64 exec, exec, s[8:9]
	s_and_b64 s[4:5], s[4:5], exec
                                        ; implicit-def: $vgpr11
	s_or_saveexec_b64 s[6:7], s[6:7]
	v_mov_b32_e32 v14, s10
	s_xor_b64 exec, exec, s[6:7]
	s_cbranch_execz .LBB30_1110
.LBB30_3160:
	v_cmp_ne_u16_e32 vcc, 0, v11
	s_andn2_b64 s[4:5], s[4:5], exec
	s_and_b64 s[8:9], vcc, exec
	v_mov_b32_e32 v14, 0
	s_or_b64 s[4:5], s[4:5], s[8:9]
	s_or_b64 exec, exec, s[6:7]
	s_and_saveexec_b64 s[6:7], s[4:5]
	s_cbranch_execnz .LBB30_1111
	s_branch .LBB30_1112
.LBB30_3161:
	s_movk_i32 s4, 0x80
	v_cmp_eq_u16_sdwa s[12:13], v16, s4 src0_sel:BYTE_3 src1_sel:DWORD
	s_mov_b64 s[4:5], -1
                                        ; implicit-def: $sgpr10
	s_and_saveexec_b64 s[8:9], s[12:13]
; %bb.3162:
	s_mov_b32 s10, 0x7f800001
	s_xor_b64 s[4:5], exec, -1
; %bb.3163:
	s_or_b64 exec, exec, s[8:9]
	s_and_b64 s[4:5], s[4:5], exec
	s_or_saveexec_b64 s[6:7], s[6:7]
	v_mov_b32_e32 v10, s10
	s_xor_b64 exec, exec, s[6:7]
	s_cbranch_execz .LBB30_1114
.LBB30_3164:
	v_mov_b32_e32 v10, 0
	v_cmp_ne_u16_sdwa s[8:9], v16, v10 src0_sel:BYTE_3 src1_sel:DWORD
	s_andn2_b64 s[4:5], s[4:5], exec
	s_and_b64 s[8:9], s[8:9], exec
	s_or_b64 s[4:5], s[4:5], s[8:9]
	s_or_b64 exec, exec, s[6:7]
	s_and_saveexec_b64 s[6:7], s[4:5]
	s_cbranch_execnz .LBB30_1115
	s_branch .LBB30_1116
.LBB30_3165:
	s_movk_i32 s4, 0x80
	v_cmp_eq_u16_sdwa s[12:13], v12, s4 src0_sel:BYTE_3 src1_sel:DWORD
	s_mov_b64 s[4:5], -1
                                        ; implicit-def: $sgpr10
	s_and_saveexec_b64 s[8:9], s[12:13]
; %bb.3166:
	s_mov_b32 s10, 0x7f800001
	s_xor_b64 s[4:5], exec, -1
; %bb.3167:
	s_or_b64 exec, exec, s[8:9]
	s_and_b64 s[4:5], s[4:5], exec
	s_or_saveexec_b64 s[6:7], s[6:7]
	v_mov_b32_e32 v11, s10
	s_xor_b64 exec, exec, s[6:7]
	s_cbranch_execz .LBB30_1118
.LBB30_3168:
	v_mov_b32_e32 v11, 0
	v_cmp_ne_u16_sdwa s[8:9], v12, v11 src0_sel:BYTE_3 src1_sel:DWORD
	s_andn2_b64 s[4:5], s[4:5], exec
	s_and_b64 s[8:9], s[8:9], exec
	s_or_b64 s[4:5], s[4:5], s[8:9]
	s_or_b64 exec, exec, s[6:7]
	s_and_saveexec_b64 s[6:7], s[4:5]
	s_cbranch_execnz .LBB30_1119
	s_branch .LBB30_1120
.LBB30_3169:
	s_movk_i32 s4, 0x80
	v_cmp_eq_u16_sdwa s[12:13], v17, s4 src0_sel:BYTE_0 src1_sel:DWORD
	s_mov_b64 s[4:5], -1
                                        ; implicit-def: $sgpr10
	s_and_saveexec_b64 s[8:9], s[12:13]
; %bb.3170:
	s_mov_b32 s10, 0x7f800001
	s_xor_b64 s[4:5], exec, -1
; %bb.3171:
	s_or_b64 exec, exec, s[8:9]
	s_and_b64 s[4:5], s[4:5], exec
	s_or_saveexec_b64 s[6:7], s[6:7]
	v_mov_b32_e32 v10, s10
	s_xor_b64 exec, exec, s[6:7]
	s_cbranch_execz .LBB30_1122
.LBB30_3172:
	v_mov_b32_e32 v10, 0
	v_cmp_ne_u16_sdwa s[8:9], v17, v10 src0_sel:BYTE_0 src1_sel:DWORD
	s_andn2_b64 s[4:5], s[4:5], exec
	s_and_b64 s[8:9], s[8:9], exec
	s_or_b64 s[4:5], s[4:5], s[8:9]
	s_or_b64 exec, exec, s[6:7]
	s_and_saveexec_b64 s[6:7], s[4:5]
	s_cbranch_execnz .LBB30_1123
	s_branch .LBB30_1124
.LBB30_3173:
	s_movk_i32 s4, 0x80
	v_cmp_eq_u16_sdwa s[12:13], v13, s4 src0_sel:BYTE_0 src1_sel:DWORD
	s_mov_b64 s[4:5], -1
                                        ; implicit-def: $sgpr10
	s_and_saveexec_b64 s[8:9], s[12:13]
; %bb.3174:
	s_mov_b32 s10, 0x7f800001
	s_xor_b64 s[4:5], exec, -1
; %bb.3175:
	s_or_b64 exec, exec, s[8:9]
	s_and_b64 s[4:5], s[4:5], exec
	s_or_saveexec_b64 s[6:7], s[6:7]
	v_mov_b32_e32 v11, s10
	s_xor_b64 exec, exec, s[6:7]
	s_cbranch_execz .LBB30_1126
.LBB30_3176:
	v_mov_b32_e32 v11, 0
	v_cmp_ne_u16_sdwa s[8:9], v13, v11 src0_sel:BYTE_0 src1_sel:DWORD
	s_andn2_b64 s[4:5], s[4:5], exec
	s_and_b64 s[8:9], s[8:9], exec
	s_or_b64 s[4:5], s[4:5], s[8:9]
	s_or_b64 exec, exec, s[6:7]
	s_and_saveexec_b64 s[6:7], s[4:5]
	s_cbranch_execnz .LBB30_1127
	s_branch .LBB30_1128
.LBB30_3177:
	s_movk_i32 s4, 0x80
	v_cmp_eq_u16_sdwa s[12:13], v11, s4 src0_sel:BYTE_0 src1_sel:DWORD
	s_mov_b64 s[4:5], -1
                                        ; implicit-def: $sgpr10
	s_and_saveexec_b64 s[8:9], s[12:13]
; %bb.3178:
	s_mov_b32 s10, 0x7f800001
	s_xor_b64 s[4:5], exec, -1
; %bb.3179:
	s_or_b64 exec, exec, s[8:9]
	s_and_b64 s[4:5], s[4:5], exec
	s_or_saveexec_b64 s[6:7], s[6:7]
	v_mov_b32_e32 v10, s10
	s_xor_b64 exec, exec, s[6:7]
	s_cbranch_execz .LBB30_1130
.LBB30_3180:
	v_mov_b32_e32 v10, 0
	v_cmp_ne_u16_sdwa s[8:9], v11, v10 src0_sel:BYTE_0 src1_sel:DWORD
	s_andn2_b64 s[4:5], s[4:5], exec
	s_and_b64 s[8:9], s[8:9], exec
	s_or_b64 s[4:5], s[4:5], s[8:9]
	s_or_b64 exec, exec, s[6:7]
	s_and_saveexec_b64 s[6:7], s[4:5]
	s_cbranch_execnz .LBB30_1131
	s_branch .LBB30_1132
.LBB30_3181:
	s_movk_i32 s4, 0x80
	v_cmp_eq_u16_sdwa s[12:13], v11, s4 src0_sel:BYTE_0 src1_sel:DWORD
	s_mov_b64 s[4:5], -1
                                        ; implicit-def: $sgpr10
	s_and_saveexec_b64 s[8:9], s[12:13]
; %bb.3182:
	s_mov_b32 s10, 0x7f800001
	s_xor_b64 s[4:5], exec, -1
; %bb.3183:
	s_or_b64 exec, exec, s[8:9]
	s_and_b64 s[4:5], s[4:5], exec
	s_or_saveexec_b64 s[6:7], s[6:7]
	v_mov_b32_e32 v12, s10
	s_xor_b64 exec, exec, s[6:7]
	s_cbranch_execz .LBB30_1134
.LBB30_3184:
	v_mov_b32_e32 v12, 0
	v_cmp_ne_u16_sdwa s[8:9], v11, v12 src0_sel:BYTE_0 src1_sel:DWORD
	s_andn2_b64 s[4:5], s[4:5], exec
	s_and_b64 s[8:9], s[8:9], exec
	s_or_b64 s[4:5], s[4:5], s[8:9]
	s_or_b64 exec, exec, s[6:7]
	s_and_saveexec_b64 s[6:7], s[4:5]
	s_cbranch_execnz .LBB30_1135
	s_branch .LBB30_1136
.LBB30_3185:
	s_movk_i32 s4, 0x80
	v_cmp_eq_u16_e32 vcc, s4, v11
	s_mov_b64 s[4:5], -1
                                        ; implicit-def: $sgpr10
	s_and_saveexec_b64 s[8:9], vcc
; %bb.3186:
	s_mov_b32 s10, 0x7f800001
	s_xor_b64 s[4:5], exec, -1
; %bb.3187:
	s_or_b64 exec, exec, s[8:9]
	s_and_b64 s[4:5], s[4:5], exec
                                        ; implicit-def: $vgpr11
	s_or_saveexec_b64 s[6:7], s[6:7]
	v_mov_b32_e32 v10, s10
	s_xor_b64 exec, exec, s[6:7]
	s_cbranch_execz .LBB30_1138
.LBB30_3188:
	v_cmp_ne_u16_e32 vcc, 0, v11
	s_andn2_b64 s[4:5], s[4:5], exec
	s_and_b64 s[8:9], vcc, exec
	v_mov_b32_e32 v10, 0
	s_or_b64 s[4:5], s[4:5], s[8:9]
	s_or_b64 exec, exec, s[6:7]
	s_and_saveexec_b64 s[6:7], s[4:5]
	s_cbranch_execnz .LBB30_1139
	s_branch .LBB30_1140
.LBB30_3189:
	s_movk_i32 s4, 0x80
	v_cmp_eq_u16_e32 vcc, s4, v11
	s_mov_b64 s[4:5], -1
                                        ; implicit-def: $sgpr10
	s_and_saveexec_b64 s[8:9], vcc
; %bb.3190:
	s_mov_b32 s10, 0x7f800001
	s_xor_b64 s[4:5], exec, -1
; %bb.3191:
	s_or_b64 exec, exec, s[8:9]
	s_and_b64 s[4:5], s[4:5], exec
                                        ; implicit-def: $vgpr11
	s_or_saveexec_b64 s[6:7], s[6:7]
	v_mov_b32_e32 v12, s10
	s_xor_b64 exec, exec, s[6:7]
	s_cbranch_execz .LBB30_1142
.LBB30_3192:
	v_cmp_ne_u16_e32 vcc, 0, v11
	s_andn2_b64 s[4:5], s[4:5], exec
	s_and_b64 s[8:9], vcc, exec
	v_mov_b32_e32 v12, 0
	s_or_b64 s[4:5], s[4:5], s[8:9]
	s_or_b64 exec, exec, s[6:7]
	s_and_saveexec_b64 s[6:7], s[4:5]
	s_cbranch_execnz .LBB30_1143
	s_branch .LBB30_1144
.LBB30_3193:
	s_movk_i32 s4, 0x80
	v_cmp_eq_u16_sdwa s[12:13], v17, s4 src0_sel:BYTE_3 src1_sel:DWORD
	s_mov_b64 s[4:5], -1
                                        ; implicit-def: $sgpr10
	s_and_saveexec_b64 s[8:9], s[12:13]
; %bb.3194:
	s_mov_b32 s10, 0x7f800001
	s_xor_b64 s[4:5], exec, -1
; %bb.3195:
	s_or_b64 exec, exec, s[8:9]
	s_and_b64 s[4:5], s[4:5], exec
	s_or_saveexec_b64 s[6:7], s[6:7]
	v_mov_b32_e32 v10, s10
	s_xor_b64 exec, exec, s[6:7]
	s_cbranch_execz .LBB30_1146
.LBB30_3196:
	v_mov_b32_e32 v10, 0
	v_cmp_ne_u16_sdwa s[8:9], v17, v10 src0_sel:BYTE_3 src1_sel:DWORD
	s_andn2_b64 s[4:5], s[4:5], exec
	s_and_b64 s[8:9], s[8:9], exec
	s_or_b64 s[4:5], s[4:5], s[8:9]
	s_or_b64 exec, exec, s[6:7]
	s_and_saveexec_b64 s[6:7], s[4:5]
	s_cbranch_execnz .LBB30_1147
	s_branch .LBB30_1148
.LBB30_3197:
	s_movk_i32 s4, 0x80
	v_cmp_eq_u16_sdwa s[12:13], v13, s4 src0_sel:BYTE_3 src1_sel:DWORD
	s_mov_b64 s[4:5], -1
                                        ; implicit-def: $sgpr10
	s_and_saveexec_b64 s[8:9], s[12:13]
; %bb.3198:
	s_mov_b32 s10, 0x7f800001
	s_xor_b64 s[4:5], exec, -1
; %bb.3199:
	s_or_b64 exec, exec, s[8:9]
	s_and_b64 s[4:5], s[4:5], exec
	s_or_saveexec_b64 s[6:7], s[6:7]
	v_mov_b32_e32 v11, s10
	s_xor_b64 exec, exec, s[6:7]
	s_cbranch_execz .LBB30_1150
.LBB30_3200:
	v_mov_b32_e32 v11, 0
	v_cmp_ne_u16_sdwa s[8:9], v13, v11 src0_sel:BYTE_3 src1_sel:DWORD
	s_andn2_b64 s[4:5], s[4:5], exec
	s_and_b64 s[8:9], s[8:9], exec
	s_or_b64 s[4:5], s[4:5], s[8:9]
	s_or_b64 exec, exec, s[6:7]
	s_and_saveexec_b64 s[6:7], s[4:5]
	s_cbranch_execnz .LBB30_1151
	s_branch .LBB30_1152
.LBB30_3201:
	s_movk_i32 s4, 0x80
	v_cmp_eq_u16_sdwa s[12:13], v6, s4 src0_sel:BYTE_0 src1_sel:DWORD
	s_mov_b64 s[4:5], -1
                                        ; implicit-def: $sgpr10
	s_and_saveexec_b64 s[8:9], s[12:13]
; %bb.3202:
	s_mov_b32 s10, 0x7f800001
	s_xor_b64 s[4:5], exec, -1
; %bb.3203:
	s_or_b64 exec, exec, s[8:9]
	s_and_b64 s[4:5], s[4:5], exec
	s_or_saveexec_b64 s[6:7], s[6:7]
	v_mov_b32_e32 v10, s10
	s_xor_b64 exec, exec, s[6:7]
	s_cbranch_execz .LBB30_1154
.LBB30_3204:
	v_mov_b32_e32 v10, 0
	v_cmp_ne_u16_sdwa s[8:9], v6, v10 src0_sel:BYTE_0 src1_sel:DWORD
	s_andn2_b64 s[4:5], s[4:5], exec
	s_and_b64 s[8:9], s[8:9], exec
	s_or_b64 s[4:5], s[4:5], s[8:9]
	s_or_b64 exec, exec, s[6:7]
	s_and_saveexec_b64 s[6:7], s[4:5]
	s_cbranch_execnz .LBB30_1155
	s_branch .LBB30_1156
.LBB30_3205:
	s_movk_i32 s4, 0x80
	v_cmp_eq_u16_sdwa s[12:13], v2, s4 src0_sel:BYTE_0 src1_sel:DWORD
	s_mov_b64 s[4:5], -1
                                        ; implicit-def: $sgpr10
	s_and_saveexec_b64 s[8:9], s[12:13]
; %bb.3206:
	s_mov_b32 s10, 0x7f800001
	s_xor_b64 s[4:5], exec, -1
; %bb.3207:
	s_or_b64 exec, exec, s[8:9]
	s_and_b64 s[4:5], s[4:5], exec
	s_or_saveexec_b64 s[6:7], s[6:7]
	v_mov_b32_e32 v11, s10
	s_xor_b64 exec, exec, s[6:7]
	s_cbranch_execz .LBB30_1158
.LBB30_3208:
	v_mov_b32_e32 v11, 0
	v_cmp_ne_u16_sdwa s[8:9], v2, v11 src0_sel:BYTE_0 src1_sel:DWORD
	s_andn2_b64 s[4:5], s[4:5], exec
	s_and_b64 s[8:9], s[8:9], exec
	s_or_b64 s[4:5], s[4:5], s[8:9]
	s_or_b64 exec, exec, s[6:7]
	s_and_saveexec_b64 s[6:7], s[4:5]
	s_cbranch_execnz .LBB30_1159
	s_branch .LBB30_1160
.LBB30_3209:
	s_movk_i32 s4, 0x80
	v_cmp_eq_u16_sdwa s[12:13], v11, s4 src0_sel:BYTE_0 src1_sel:DWORD
	s_mov_b64 s[4:5], -1
                                        ; implicit-def: $sgpr10
	s_and_saveexec_b64 s[8:9], s[12:13]
; %bb.3210:
	s_mov_b32 s10, 0x7f800001
	s_xor_b64 s[4:5], exec, -1
; %bb.3211:
	s_or_b64 exec, exec, s[8:9]
	s_and_b64 s[4:5], s[4:5], exec
	s_or_saveexec_b64 s[6:7], s[6:7]
	v_mov_b32_e32 v10, s10
	s_xor_b64 exec, exec, s[6:7]
	s_cbranch_execz .LBB30_1162
.LBB30_3212:
	v_mov_b32_e32 v10, 0
	v_cmp_ne_u16_sdwa s[8:9], v11, v10 src0_sel:BYTE_0 src1_sel:DWORD
	s_andn2_b64 s[4:5], s[4:5], exec
	s_and_b64 s[8:9], s[8:9], exec
	s_or_b64 s[4:5], s[4:5], s[8:9]
	s_or_b64 exec, exec, s[6:7]
	s_and_saveexec_b64 s[6:7], s[4:5]
	s_cbranch_execnz .LBB30_1163
	s_branch .LBB30_1164
.LBB30_3213:
	s_movk_i32 s4, 0x80
	v_cmp_eq_u16_sdwa s[12:13], v11, s4 src0_sel:BYTE_0 src1_sel:DWORD
	s_mov_b64 s[4:5], -1
                                        ; implicit-def: $sgpr10
	s_and_saveexec_b64 s[8:9], s[12:13]
; %bb.3214:
	s_mov_b32 s10, 0x7f800001
	s_xor_b64 s[4:5], exec, -1
; %bb.3215:
	s_or_b64 exec, exec, s[8:9]
	s_and_b64 s[4:5], s[4:5], exec
	s_or_saveexec_b64 s[6:7], s[6:7]
	v_mov_b32_e32 v12, s10
	s_xor_b64 exec, exec, s[6:7]
	s_cbranch_execz .LBB30_1166
.LBB30_3216:
	v_mov_b32_e32 v12, 0
	v_cmp_ne_u16_sdwa s[8:9], v11, v12 src0_sel:BYTE_0 src1_sel:DWORD
	s_andn2_b64 s[4:5], s[4:5], exec
	s_and_b64 s[8:9], s[8:9], exec
	s_or_b64 s[4:5], s[4:5], s[8:9]
	s_or_b64 exec, exec, s[6:7]
	s_and_saveexec_b64 s[6:7], s[4:5]
	s_cbranch_execnz .LBB30_1167
	s_branch .LBB30_1168
.LBB30_3217:
	s_movk_i32 s4, 0x80
	v_cmp_eq_u16_e32 vcc, s4, v11
	s_mov_b64 s[4:5], -1
                                        ; implicit-def: $sgpr10
	s_and_saveexec_b64 s[8:9], vcc
; %bb.3218:
	s_mov_b32 s10, 0x7f800001
	s_xor_b64 s[4:5], exec, -1
; %bb.3219:
	s_or_b64 exec, exec, s[8:9]
	s_and_b64 s[4:5], s[4:5], exec
                                        ; implicit-def: $vgpr11
	s_or_saveexec_b64 s[6:7], s[6:7]
	v_mov_b32_e32 v10, s10
	s_xor_b64 exec, exec, s[6:7]
	s_cbranch_execz .LBB30_1170
.LBB30_3220:
	v_cmp_ne_u16_e32 vcc, 0, v11
	s_andn2_b64 s[4:5], s[4:5], exec
	s_and_b64 s[8:9], vcc, exec
	v_mov_b32_e32 v10, 0
	s_or_b64 s[4:5], s[4:5], s[8:9]
	s_or_b64 exec, exec, s[6:7]
	s_and_saveexec_b64 s[6:7], s[4:5]
	s_cbranch_execnz .LBB30_1171
	s_branch .LBB30_1172
.LBB30_3221:
	s_movk_i32 s4, 0x80
	v_cmp_eq_u16_e32 vcc, s4, v11
	s_mov_b64 s[4:5], -1
                                        ; implicit-def: $sgpr10
	s_and_saveexec_b64 s[8:9], vcc
; %bb.3222:
	s_mov_b32 s10, 0x7f800001
	s_xor_b64 s[4:5], exec, -1
; %bb.3223:
	s_or_b64 exec, exec, s[8:9]
	s_and_b64 s[4:5], s[4:5], exec
                                        ; implicit-def: $vgpr11
	s_or_saveexec_b64 s[6:7], s[6:7]
	v_mov_b32_e32 v12, s10
	s_xor_b64 exec, exec, s[6:7]
	s_cbranch_execz .LBB30_1174
.LBB30_3224:
	v_cmp_ne_u16_e32 vcc, 0, v11
	s_andn2_b64 s[4:5], s[4:5], exec
	s_and_b64 s[8:9], vcc, exec
	v_mov_b32_e32 v12, 0
	s_or_b64 s[4:5], s[4:5], s[8:9]
	s_or_b64 exec, exec, s[6:7]
	s_and_saveexec_b64 s[6:7], s[4:5]
	s_cbranch_execnz .LBB30_1175
	s_branch .LBB30_1176
.LBB30_3225:
	s_movk_i32 s4, 0x80
	v_cmp_eq_u16_sdwa s[12:13], v6, s4 src0_sel:BYTE_3 src1_sel:DWORD
	s_mov_b64 s[4:5], -1
                                        ; implicit-def: $sgpr10
	s_and_saveexec_b64 s[8:9], s[12:13]
; %bb.3226:
	s_mov_b32 s10, 0x7f800001
	s_xor_b64 s[4:5], exec, -1
; %bb.3227:
	s_or_b64 exec, exec, s[8:9]
	s_and_b64 s[4:5], s[4:5], exec
	s_or_saveexec_b64 s[6:7], s[6:7]
	v_mov_b32_e32 v10, s10
	s_xor_b64 exec, exec, s[6:7]
	s_cbranch_execz .LBB30_1178
.LBB30_3228:
	v_mov_b32_e32 v10, 0
	v_cmp_ne_u16_sdwa s[8:9], v6, v10 src0_sel:BYTE_3 src1_sel:DWORD
	s_andn2_b64 s[4:5], s[4:5], exec
	s_and_b64 s[8:9], s[8:9], exec
	s_or_b64 s[4:5], s[4:5], s[8:9]
	s_or_b64 exec, exec, s[6:7]
	s_and_saveexec_b64 s[6:7], s[4:5]
	s_cbranch_execnz .LBB30_1179
	s_branch .LBB30_1180
.LBB30_3229:
	s_movk_i32 s4, 0x80
	v_cmp_eq_u16_sdwa s[12:13], v2, s4 src0_sel:BYTE_3 src1_sel:DWORD
	s_mov_b64 s[4:5], -1
                                        ; implicit-def: $sgpr10
	s_and_saveexec_b64 s[8:9], s[12:13]
; %bb.3230:
	s_mov_b32 s10, 0x7f800001
	s_xor_b64 s[4:5], exec, -1
; %bb.3231:
	s_or_b64 exec, exec, s[8:9]
	s_and_b64 s[4:5], s[4:5], exec
	s_or_saveexec_b64 s[6:7], s[6:7]
	v_mov_b32_e32 v6, s10
	s_xor_b64 exec, exec, s[6:7]
	s_cbranch_execz .LBB30_1182
.LBB30_3232:
	v_mov_b32_e32 v6, 0
	v_cmp_ne_u16_sdwa s[8:9], v2, v6 src0_sel:BYTE_3 src1_sel:DWORD
	s_andn2_b64 s[4:5], s[4:5], exec
	s_and_b64 s[8:9], s[8:9], exec
	s_or_b64 s[4:5], s[4:5], s[8:9]
	s_or_b64 exec, exec, s[6:7]
	s_and_saveexec_b64 s[6:7], s[4:5]
	s_cbranch_execnz .LBB30_1183
	s_branch .LBB30_1184
.LBB30_3233:
	s_movk_i32 s4, 0x80
	v_cmp_eq_u16_sdwa s[12:13], v7, s4 src0_sel:BYTE_0 src1_sel:DWORD
	s_mov_b64 s[4:5], -1
                                        ; implicit-def: $sgpr10
	s_and_saveexec_b64 s[8:9], s[12:13]
; %bb.3234:
	s_mov_b32 s10, 0x7f800001
	s_xor_b64 s[4:5], exec, -1
; %bb.3235:
	s_or_b64 exec, exec, s[8:9]
	s_and_b64 s[4:5], s[4:5], exec
	s_or_saveexec_b64 s[6:7], s[6:7]
	v_mov_b32_e32 v2, s10
	s_xor_b64 exec, exec, s[6:7]
	s_cbranch_execz .LBB30_1186
.LBB30_3236:
	v_mov_b32_e32 v2, 0
	v_cmp_ne_u16_sdwa s[8:9], v7, v2 src0_sel:BYTE_0 src1_sel:DWORD
	s_andn2_b64 s[4:5], s[4:5], exec
	s_and_b64 s[8:9], s[8:9], exec
	s_or_b64 s[4:5], s[4:5], s[8:9]
	s_or_b64 exec, exec, s[6:7]
	s_and_saveexec_b64 s[6:7], s[4:5]
	s_cbranch_execnz .LBB30_1187
	s_branch .LBB30_1188
.LBB30_3237:
	s_movk_i32 s4, 0x80
	v_cmp_eq_u16_sdwa s[12:13], v3, s4 src0_sel:BYTE_0 src1_sel:DWORD
	s_mov_b64 s[4:5], -1
                                        ; implicit-def: $sgpr10
	s_and_saveexec_b64 s[8:9], s[12:13]
; %bb.3238:
	s_mov_b32 s10, 0x7f800001
	s_xor_b64 s[4:5], exec, -1
; %bb.3239:
	s_or_b64 exec, exec, s[8:9]
	s_and_b64 s[4:5], s[4:5], exec
	s_or_saveexec_b64 s[6:7], s[6:7]
	v_mov_b32_e32 v6, s10
	s_xor_b64 exec, exec, s[6:7]
	s_cbranch_execz .LBB30_1190
.LBB30_3240:
	v_mov_b32_e32 v6, 0
	v_cmp_ne_u16_sdwa s[8:9], v3, v6 src0_sel:BYTE_0 src1_sel:DWORD
	s_andn2_b64 s[4:5], s[4:5], exec
	s_and_b64 s[8:9], s[8:9], exec
	s_or_b64 s[4:5], s[4:5], s[8:9]
	s_or_b64 exec, exec, s[6:7]
	s_and_saveexec_b64 s[6:7], s[4:5]
	s_cbranch_execnz .LBB30_1191
	s_branch .LBB30_1192
.LBB30_3241:
	s_movk_i32 s4, 0x80
	v_cmp_eq_u16_sdwa s[12:13], v6, s4 src0_sel:BYTE_0 src1_sel:DWORD
	s_mov_b64 s[4:5], -1
                                        ; implicit-def: $sgpr10
	s_and_saveexec_b64 s[8:9], s[12:13]
; %bb.3242:
	s_mov_b32 s10, 0x7f800001
	s_xor_b64 s[4:5], exec, -1
; %bb.3243:
	s_or_b64 exec, exec, s[8:9]
	s_and_b64 s[4:5], s[4:5], exec
	s_or_saveexec_b64 s[6:7], s[6:7]
	v_mov_b32_e32 v2, s10
	s_xor_b64 exec, exec, s[6:7]
	s_cbranch_execz .LBB30_1194
.LBB30_3244:
	v_mov_b32_e32 v2, 0
	v_cmp_ne_u16_sdwa s[8:9], v6, v2 src0_sel:BYTE_0 src1_sel:DWORD
	s_andn2_b64 s[4:5], s[4:5], exec
	s_and_b64 s[8:9], s[8:9], exec
	s_or_b64 s[4:5], s[4:5], s[8:9]
	s_or_b64 exec, exec, s[6:7]
	s_and_saveexec_b64 s[6:7], s[4:5]
	s_cbranch_execnz .LBB30_1195
	s_branch .LBB30_1196
.LBB30_3245:
	s_movk_i32 s4, 0x80
	v_cmp_eq_u16_sdwa s[12:13], v6, s4 src0_sel:BYTE_0 src1_sel:DWORD
	s_mov_b64 s[4:5], -1
                                        ; implicit-def: $sgpr10
	s_and_saveexec_b64 s[8:9], s[12:13]
; %bb.3246:
	s_mov_b32 s10, 0x7f800001
	s_xor_b64 s[4:5], exec, -1
; %bb.3247:
	s_or_b64 exec, exec, s[8:9]
	s_and_b64 s[4:5], s[4:5], exec
	s_or_saveexec_b64 s[6:7], s[6:7]
	v_mov_b32_e32 v10, s10
	s_xor_b64 exec, exec, s[6:7]
	s_cbranch_execz .LBB30_1198
.LBB30_3248:
	v_mov_b32_e32 v10, 0
	v_cmp_ne_u16_sdwa s[8:9], v6, v10 src0_sel:BYTE_0 src1_sel:DWORD
	s_andn2_b64 s[4:5], s[4:5], exec
	s_and_b64 s[8:9], s[8:9], exec
	s_or_b64 s[4:5], s[4:5], s[8:9]
	s_or_b64 exec, exec, s[6:7]
	s_and_saveexec_b64 s[6:7], s[4:5]
	s_cbranch_execnz .LBB30_1199
	s_branch .LBB30_1200
.LBB30_3249:
	s_movk_i32 s4, 0x80
	v_cmp_eq_u16_e32 vcc, s4, v6
	s_mov_b64 s[4:5], -1
                                        ; implicit-def: $sgpr10
	s_and_saveexec_b64 s[8:9], vcc
; %bb.3250:
	s_mov_b32 s10, 0x7f800001
	s_xor_b64 s[4:5], exec, -1
; %bb.3251:
	s_or_b64 exec, exec, s[8:9]
	s_and_b64 s[4:5], s[4:5], exec
                                        ; implicit-def: $vgpr6
	s_or_saveexec_b64 s[6:7], s[6:7]
	v_mov_b32_e32 v2, s10
	s_xor_b64 exec, exec, s[6:7]
	s_cbranch_execz .LBB30_1202
.LBB30_3252:
	v_cmp_ne_u16_e32 vcc, 0, v6
	s_andn2_b64 s[4:5], s[4:5], exec
	s_and_b64 s[8:9], vcc, exec
	v_mov_b32_e32 v2, 0
	s_or_b64 s[4:5], s[4:5], s[8:9]
	s_or_b64 exec, exec, s[6:7]
	s_and_saveexec_b64 s[6:7], s[4:5]
	s_cbranch_execnz .LBB30_1203
	s_branch .LBB30_1204
.LBB30_3253:
	s_movk_i32 s4, 0x80
	v_cmp_eq_u16_e32 vcc, s4, v6
	s_mov_b64 s[4:5], -1
                                        ; implicit-def: $sgpr10
	s_and_saveexec_b64 s[8:9], vcc
; %bb.3254:
	s_mov_b32 s10, 0x7f800001
	s_xor_b64 s[4:5], exec, -1
; %bb.3255:
	s_or_b64 exec, exec, s[8:9]
	s_and_b64 s[4:5], s[4:5], exec
                                        ; implicit-def: $vgpr6
	s_or_saveexec_b64 s[6:7], s[6:7]
	v_mov_b32_e32 v10, s10
	s_xor_b64 exec, exec, s[6:7]
	s_cbranch_execz .LBB30_1206
.LBB30_3256:
	v_cmp_ne_u16_e32 vcc, 0, v6
	s_andn2_b64 s[4:5], s[4:5], exec
	s_and_b64 s[8:9], vcc, exec
	v_mov_b32_e32 v10, 0
	s_or_b64 s[4:5], s[4:5], s[8:9]
	s_or_b64 exec, exec, s[6:7]
	s_and_saveexec_b64 s[6:7], s[4:5]
	s_cbranch_execnz .LBB30_1207
	s_branch .LBB30_1208
.LBB30_3257:
	s_movk_i32 s4, 0x80
	v_cmp_eq_u16_sdwa s[12:13], v7, s4 src0_sel:BYTE_3 src1_sel:DWORD
	s_mov_b64 s[4:5], -1
                                        ; implicit-def: $sgpr10
	s_and_saveexec_b64 s[8:9], s[12:13]
; %bb.3258:
	s_mov_b32 s10, 0x7f800001
	s_xor_b64 s[4:5], exec, -1
; %bb.3259:
	s_or_b64 exec, exec, s[8:9]
	s_and_b64 s[4:5], s[4:5], exec
	s_or_saveexec_b64 s[6:7], s[6:7]
	v_mov_b32_e32 v2, s10
	s_xor_b64 exec, exec, s[6:7]
	s_cbranch_execz .LBB30_1210
.LBB30_3260:
	v_mov_b32_e32 v2, 0
	v_cmp_ne_u16_sdwa s[8:9], v7, v2 src0_sel:BYTE_3 src1_sel:DWORD
	s_andn2_b64 s[4:5], s[4:5], exec
	s_and_b64 s[8:9], s[8:9], exec
	s_or_b64 s[4:5], s[4:5], s[8:9]
	s_or_b64 exec, exec, s[6:7]
	s_and_saveexec_b64 s[6:7], s[4:5]
	s_cbranch_execnz .LBB30_1211
	s_branch .LBB30_1212
.LBB30_3261:
	s_movk_i32 s4, 0x80
	v_cmp_eq_u16_sdwa s[12:13], v3, s4 src0_sel:BYTE_3 src1_sel:DWORD
	s_mov_b64 s[4:5], -1
                                        ; implicit-def: $sgpr10
	s_and_saveexec_b64 s[8:9], s[12:13]
; %bb.3262:
	s_mov_b32 s10, 0x7f800001
	s_xor_b64 s[4:5], exec, -1
; %bb.3263:
	s_or_b64 exec, exec, s[8:9]
	s_and_b64 s[4:5], s[4:5], exec
	s_or_saveexec_b64 s[6:7], s[6:7]
	v_mov_b32_e32 v6, s10
	s_xor_b64 exec, exec, s[6:7]
	s_cbranch_execz .LBB30_1214
.LBB30_3264:
	v_mov_b32_e32 v6, 0
	v_cmp_ne_u16_sdwa s[8:9], v3, v6 src0_sel:BYTE_3 src1_sel:DWORD
	s_andn2_b64 s[4:5], s[4:5], exec
	s_and_b64 s[8:9], s[8:9], exec
	s_or_b64 s[4:5], s[4:5], s[8:9]
	s_or_b64 exec, exec, s[6:7]
	s_and_saveexec_b64 s[6:7], s[4:5]
	s_cbranch_execnz .LBB30_1215
	s_branch .LBB30_1216
.LBB30_3265:
	s_movk_i32 s4, 0x80
	v_cmp_eq_u16_sdwa s[12:13], v8, s4 src0_sel:BYTE_0 src1_sel:DWORD
	s_mov_b64 s[4:5], -1
                                        ; implicit-def: $sgpr10
	s_and_saveexec_b64 s[8:9], s[12:13]
; %bb.3266:
	s_mov_b32 s10, 0x7f800001
	s_xor_b64 s[4:5], exec, -1
; %bb.3267:
	s_or_b64 exec, exec, s[8:9]
	s_and_b64 s[4:5], s[4:5], exec
	s_or_saveexec_b64 s[6:7], s[6:7]
	v_mov_b32_e32 v2, s10
	s_xor_b64 exec, exec, s[6:7]
	s_cbranch_execz .LBB30_1218
.LBB30_3268:
	v_mov_b32_e32 v2, 0
	v_cmp_ne_u16_sdwa s[8:9], v8, v2 src0_sel:BYTE_0 src1_sel:DWORD
	s_andn2_b64 s[4:5], s[4:5], exec
	s_and_b64 s[8:9], s[8:9], exec
	s_or_b64 s[4:5], s[4:5], s[8:9]
	s_or_b64 exec, exec, s[6:7]
	s_and_saveexec_b64 s[6:7], s[4:5]
	s_cbranch_execnz .LBB30_1219
	s_branch .LBB30_1220
.LBB30_3269:
	s_movk_i32 s4, 0x80
	v_cmp_eq_u16_sdwa s[12:13], v4, s4 src0_sel:BYTE_0 src1_sel:DWORD
	s_mov_b64 s[4:5], -1
                                        ; implicit-def: $sgpr10
	s_and_saveexec_b64 s[8:9], s[12:13]
; %bb.3270:
	s_mov_b32 s10, 0x7f800001
	s_xor_b64 s[4:5], exec, -1
; %bb.3271:
	s_or_b64 exec, exec, s[8:9]
	s_and_b64 s[4:5], s[4:5], exec
	s_or_saveexec_b64 s[6:7], s[6:7]
	v_mov_b32_e32 v3, s10
	s_xor_b64 exec, exec, s[6:7]
	s_cbranch_execz .LBB30_1222
.LBB30_3272:
	v_mov_b32_e32 v3, 0
	v_cmp_ne_u16_sdwa s[8:9], v4, v3 src0_sel:BYTE_0 src1_sel:DWORD
	s_andn2_b64 s[4:5], s[4:5], exec
	s_and_b64 s[8:9], s[8:9], exec
	s_or_b64 s[4:5], s[4:5], s[8:9]
	s_or_b64 exec, exec, s[6:7]
	s_and_saveexec_b64 s[6:7], s[4:5]
	s_cbranch_execnz .LBB30_1223
	s_branch .LBB30_1224
.LBB30_3273:
	s_movk_i32 s4, 0x80
	v_cmp_eq_u16_sdwa s[12:13], v3, s4 src0_sel:BYTE_0 src1_sel:DWORD
	s_mov_b64 s[4:5], -1
                                        ; implicit-def: $sgpr10
	s_and_saveexec_b64 s[8:9], s[12:13]
; %bb.3274:
	s_mov_b32 s10, 0x7f800001
	s_xor_b64 s[4:5], exec, -1
; %bb.3275:
	s_or_b64 exec, exec, s[8:9]
	s_and_b64 s[4:5], s[4:5], exec
	s_or_saveexec_b64 s[6:7], s[6:7]
	v_mov_b32_e32 v2, s10
	s_xor_b64 exec, exec, s[6:7]
	s_cbranch_execz .LBB30_1226
.LBB30_3276:
	v_mov_b32_e32 v2, 0
	v_cmp_ne_u16_sdwa s[8:9], v3, v2 src0_sel:BYTE_0 src1_sel:DWORD
	s_andn2_b64 s[4:5], s[4:5], exec
	s_and_b64 s[8:9], s[8:9], exec
	s_or_b64 s[4:5], s[4:5], s[8:9]
	s_or_b64 exec, exec, s[6:7]
	s_and_saveexec_b64 s[6:7], s[4:5]
	s_cbranch_execnz .LBB30_1227
	s_branch .LBB30_1228
.LBB30_3277:
	s_movk_i32 s4, 0x80
	v_cmp_eq_u16_sdwa s[12:13], v3, s4 src0_sel:BYTE_0 src1_sel:DWORD
	s_mov_b64 s[4:5], -1
                                        ; implicit-def: $sgpr10
	s_and_saveexec_b64 s[8:9], s[12:13]
; %bb.3278:
	s_mov_b32 s10, 0x7f800001
	s_xor_b64 s[4:5], exec, -1
; %bb.3279:
	s_or_b64 exec, exec, s[8:9]
	s_and_b64 s[4:5], s[4:5], exec
	s_or_saveexec_b64 s[6:7], s[6:7]
	v_mov_b32_e32 v6, s10
	s_xor_b64 exec, exec, s[6:7]
	s_cbranch_execz .LBB30_1230
.LBB30_3280:
	v_mov_b32_e32 v6, 0
	v_cmp_ne_u16_sdwa s[8:9], v3, v6 src0_sel:BYTE_0 src1_sel:DWORD
	s_andn2_b64 s[4:5], s[4:5], exec
	s_and_b64 s[8:9], s[8:9], exec
	s_or_b64 s[4:5], s[4:5], s[8:9]
	s_or_b64 exec, exec, s[6:7]
	s_and_saveexec_b64 s[6:7], s[4:5]
	s_cbranch_execnz .LBB30_1231
	s_branch .LBB30_1232
.LBB30_3281:
	s_movk_i32 s4, 0x80
	v_cmp_eq_u16_e32 vcc, s4, v3
	s_mov_b64 s[4:5], -1
                                        ; implicit-def: $sgpr10
	s_and_saveexec_b64 s[8:9], vcc
; %bb.3282:
	s_mov_b32 s10, 0x7f800001
	s_xor_b64 s[4:5], exec, -1
; %bb.3283:
	s_or_b64 exec, exec, s[8:9]
	s_and_b64 s[4:5], s[4:5], exec
                                        ; implicit-def: $vgpr3
	s_or_saveexec_b64 s[6:7], s[6:7]
	v_mov_b32_e32 v2, s10
	s_xor_b64 exec, exec, s[6:7]
	s_cbranch_execz .LBB30_1234
.LBB30_3284:
	v_cmp_ne_u16_e32 vcc, 0, v3
	s_andn2_b64 s[4:5], s[4:5], exec
	s_and_b64 s[8:9], vcc, exec
	v_mov_b32_e32 v2, 0
	s_or_b64 s[4:5], s[4:5], s[8:9]
	s_or_b64 exec, exec, s[6:7]
	s_and_saveexec_b64 s[6:7], s[4:5]
	s_cbranch_execnz .LBB30_1235
	s_branch .LBB30_1236
.LBB30_3285:
	s_movk_i32 s4, 0x80
	v_cmp_eq_u16_e32 vcc, s4, v3
	s_mov_b64 s[4:5], -1
                                        ; implicit-def: $sgpr10
	s_and_saveexec_b64 s[8:9], vcc
; %bb.3286:
	s_mov_b32 s10, 0x7f800001
	s_xor_b64 s[4:5], exec, -1
; %bb.3287:
	s_or_b64 exec, exec, s[8:9]
	s_and_b64 s[4:5], s[4:5], exec
                                        ; implicit-def: $vgpr3
	s_or_saveexec_b64 s[6:7], s[6:7]
	v_mov_b32_e32 v6, s10
	s_xor_b64 exec, exec, s[6:7]
	s_cbranch_execz .LBB30_1238
.LBB30_3288:
	v_cmp_ne_u16_e32 vcc, 0, v3
	s_andn2_b64 s[4:5], s[4:5], exec
	s_and_b64 s[8:9], vcc, exec
	v_mov_b32_e32 v6, 0
	s_or_b64 s[4:5], s[4:5], s[8:9]
	s_or_b64 exec, exec, s[6:7]
	s_and_saveexec_b64 s[6:7], s[4:5]
	s_cbranch_execnz .LBB30_1239
	s_branch .LBB30_1240
.LBB30_3289:
	s_movk_i32 s4, 0x80
	v_cmp_eq_u16_sdwa s[12:13], v8, s4 src0_sel:BYTE_3 src1_sel:DWORD
	s_mov_b64 s[4:5], -1
                                        ; implicit-def: $sgpr10
	s_and_saveexec_b64 s[8:9], s[12:13]
; %bb.3290:
	s_mov_b32 s10, 0x7f800001
	s_xor_b64 s[4:5], exec, -1
; %bb.3291:
	s_or_b64 exec, exec, s[8:9]
	s_and_b64 s[4:5], s[4:5], exec
	s_or_saveexec_b64 s[6:7], s[6:7]
	v_mov_b32_e32 v2, s10
	s_xor_b64 exec, exec, s[6:7]
	s_cbranch_execz .LBB30_1242
.LBB30_3292:
	v_mov_b32_e32 v2, 0
	v_cmp_ne_u16_sdwa s[8:9], v8, v2 src0_sel:BYTE_3 src1_sel:DWORD
	s_andn2_b64 s[4:5], s[4:5], exec
	s_and_b64 s[8:9], s[8:9], exec
	s_or_b64 s[4:5], s[4:5], s[8:9]
	s_or_b64 exec, exec, s[6:7]
	s_and_saveexec_b64 s[6:7], s[4:5]
	s_cbranch_execnz .LBB30_1243
	s_branch .LBB30_1244
.LBB30_3293:
	s_movk_i32 s4, 0x80
	v_cmp_eq_u16_sdwa s[12:13], v4, s4 src0_sel:BYTE_3 src1_sel:DWORD
	s_mov_b64 s[4:5], -1
                                        ; implicit-def: $sgpr10
	s_and_saveexec_b64 s[8:9], s[12:13]
; %bb.3294:
	s_mov_b32 s10, 0x7f800001
	s_xor_b64 s[4:5], exec, -1
; %bb.3295:
	s_or_b64 exec, exec, s[8:9]
	s_and_b64 s[4:5], s[4:5], exec
	s_or_saveexec_b64 s[6:7], s[6:7]
	v_mov_b32_e32 v3, s10
	s_xor_b64 exec, exec, s[6:7]
	s_cbranch_execz .LBB30_1246
.LBB30_3296:
	v_mov_b32_e32 v3, 0
	v_cmp_ne_u16_sdwa s[8:9], v4, v3 src0_sel:BYTE_3 src1_sel:DWORD
	s_andn2_b64 s[4:5], s[4:5], exec
	s_and_b64 s[8:9], s[8:9], exec
	s_or_b64 s[4:5], s[4:5], s[8:9]
	s_or_b64 exec, exec, s[6:7]
	s_and_saveexec_b64 s[6:7], s[4:5]
	s_cbranch_execnz .LBB30_1247
	s_branch .LBB30_1248
.LBB30_3297:
	s_movk_i32 s4, 0x80
	v_cmp_eq_u16_sdwa s[12:13], v9, s4 src0_sel:BYTE_0 src1_sel:DWORD
	s_mov_b64 s[4:5], -1
                                        ; implicit-def: $sgpr10
	s_and_saveexec_b64 s[8:9], s[12:13]
; %bb.3298:
	s_mov_b32 s10, 0x7f800001
	s_xor_b64 s[4:5], exec, -1
; %bb.3299:
	s_or_b64 exec, exec, s[8:9]
	s_and_b64 s[4:5], s[4:5], exec
	s_or_saveexec_b64 s[6:7], s[6:7]
	v_mov_b32_e32 v2, s10
	s_xor_b64 exec, exec, s[6:7]
	s_cbranch_execz .LBB30_1250
.LBB30_3300:
	v_mov_b32_e32 v2, 0
	v_cmp_ne_u16_sdwa s[8:9], v9, v2 src0_sel:BYTE_0 src1_sel:DWORD
	s_andn2_b64 s[4:5], s[4:5], exec
	s_and_b64 s[8:9], s[8:9], exec
	s_or_b64 s[4:5], s[4:5], s[8:9]
	s_or_b64 exec, exec, s[6:7]
	s_and_saveexec_b64 s[6:7], s[4:5]
	s_cbranch_execnz .LBB30_1251
	s_branch .LBB30_1252
.LBB30_3301:
	s_movk_i32 s4, 0x80
	v_cmp_eq_u16_sdwa s[12:13], v5, s4 src0_sel:BYTE_0 src1_sel:DWORD
	s_mov_b64 s[4:5], -1
                                        ; implicit-def: $sgpr10
	s_and_saveexec_b64 s[8:9], s[12:13]
; %bb.3302:
	s_mov_b32 s10, 0x7f800001
	s_xor_b64 s[4:5], exec, -1
; %bb.3303:
	s_or_b64 exec, exec, s[8:9]
	s_and_b64 s[4:5], s[4:5], exec
	s_or_saveexec_b64 s[6:7], s[6:7]
	v_mov_b32_e32 v3, s10
	s_xor_b64 exec, exec, s[6:7]
	s_cbranch_execz .LBB30_1254
.LBB30_3304:
	v_mov_b32_e32 v3, 0
	v_cmp_ne_u16_sdwa s[8:9], v5, v3 src0_sel:BYTE_0 src1_sel:DWORD
	s_andn2_b64 s[4:5], s[4:5], exec
	s_and_b64 s[8:9], s[8:9], exec
	s_or_b64 s[4:5], s[4:5], s[8:9]
	s_or_b64 exec, exec, s[6:7]
	s_and_saveexec_b64 s[6:7], s[4:5]
	s_cbranch_execnz .LBB30_1255
	s_branch .LBB30_1256
.LBB30_3305:
	s_movk_i32 s4, 0x80
	v_cmp_eq_u16_sdwa s[12:13], v3, s4 src0_sel:BYTE_0 src1_sel:DWORD
	s_mov_b64 s[4:5], -1
                                        ; implicit-def: $sgpr10
	s_and_saveexec_b64 s[8:9], s[12:13]
; %bb.3306:
	s_mov_b32 s10, 0x7f800001
	s_xor_b64 s[4:5], exec, -1
; %bb.3307:
	s_or_b64 exec, exec, s[8:9]
	s_and_b64 s[4:5], s[4:5], exec
	s_or_saveexec_b64 s[6:7], s[6:7]
	v_mov_b32_e32 v2, s10
	s_xor_b64 exec, exec, s[6:7]
	s_cbranch_execz .LBB30_1258
.LBB30_3308:
	v_mov_b32_e32 v2, 0
	v_cmp_ne_u16_sdwa s[8:9], v3, v2 src0_sel:BYTE_0 src1_sel:DWORD
	s_andn2_b64 s[4:5], s[4:5], exec
	s_and_b64 s[8:9], s[8:9], exec
	s_or_b64 s[4:5], s[4:5], s[8:9]
	s_or_b64 exec, exec, s[6:7]
	s_and_saveexec_b64 s[6:7], s[4:5]
	s_cbranch_execnz .LBB30_1259
	s_branch .LBB30_1260
.LBB30_3309:
	s_movk_i32 s4, 0x80
	v_cmp_eq_u16_sdwa s[12:13], v3, s4 src0_sel:BYTE_0 src1_sel:DWORD
	s_mov_b64 s[4:5], -1
                                        ; implicit-def: $sgpr10
	s_and_saveexec_b64 s[8:9], s[12:13]
; %bb.3310:
	s_mov_b32 s10, 0x7f800001
	s_xor_b64 s[4:5], exec, -1
; %bb.3311:
	s_or_b64 exec, exec, s[8:9]
	s_and_b64 s[4:5], s[4:5], exec
	s_or_saveexec_b64 s[6:7], s[6:7]
	v_mov_b32_e32 v4, s10
	s_xor_b64 exec, exec, s[6:7]
	s_cbranch_execz .LBB30_1262
.LBB30_3312:
	v_mov_b32_e32 v4, 0
	v_cmp_ne_u16_sdwa s[8:9], v3, v4 src0_sel:BYTE_0 src1_sel:DWORD
	s_andn2_b64 s[4:5], s[4:5], exec
	s_and_b64 s[8:9], s[8:9], exec
	s_or_b64 s[4:5], s[4:5], s[8:9]
	s_or_b64 exec, exec, s[6:7]
	s_and_saveexec_b64 s[6:7], s[4:5]
	s_cbranch_execnz .LBB30_1263
	s_branch .LBB30_1264
.LBB30_3313:
	s_movk_i32 s4, 0x80
	v_cmp_eq_u16_e32 vcc, s4, v3
	s_mov_b64 s[4:5], -1
                                        ; implicit-def: $sgpr10
	s_and_saveexec_b64 s[8:9], vcc
; %bb.3314:
	s_mov_b32 s10, 0x7f800001
	s_xor_b64 s[4:5], exec, -1
; %bb.3315:
	s_or_b64 exec, exec, s[8:9]
	s_and_b64 s[4:5], s[4:5], exec
                                        ; implicit-def: $vgpr3
	s_or_saveexec_b64 s[6:7], s[6:7]
	v_mov_b32_e32 v2, s10
	s_xor_b64 exec, exec, s[6:7]
	s_cbranch_execz .LBB30_1266
.LBB30_3316:
	v_cmp_ne_u16_e32 vcc, 0, v3
	s_andn2_b64 s[4:5], s[4:5], exec
	s_and_b64 s[8:9], vcc, exec
	v_mov_b32_e32 v2, 0
	s_or_b64 s[4:5], s[4:5], s[8:9]
	s_or_b64 exec, exec, s[6:7]
	s_and_saveexec_b64 s[6:7], s[4:5]
	s_cbranch_execnz .LBB30_1267
	s_branch .LBB30_1268
.LBB30_3317:
	s_movk_i32 s4, 0x80
	v_cmp_eq_u16_e32 vcc, s4, v3
	s_mov_b64 s[4:5], -1
                                        ; implicit-def: $sgpr10
	s_and_saveexec_b64 s[8:9], vcc
; %bb.3318:
	s_mov_b32 s10, 0x7f800001
	s_xor_b64 s[4:5], exec, -1
; %bb.3319:
	s_or_b64 exec, exec, s[8:9]
	s_and_b64 s[4:5], s[4:5], exec
                                        ; implicit-def: $vgpr3
	s_or_saveexec_b64 s[6:7], s[6:7]
	v_mov_b32_e32 v4, s10
	s_xor_b64 exec, exec, s[6:7]
	s_cbranch_execz .LBB30_1270
.LBB30_3320:
	v_cmp_ne_u16_e32 vcc, 0, v3
	s_andn2_b64 s[4:5], s[4:5], exec
	s_and_b64 s[8:9], vcc, exec
	v_mov_b32_e32 v4, 0
	s_or_b64 s[4:5], s[4:5], s[8:9]
	s_or_b64 exec, exec, s[6:7]
	s_and_saveexec_b64 s[6:7], s[4:5]
	s_cbranch_execnz .LBB30_1271
	s_branch .LBB30_1272
.LBB30_3321:
	s_movk_i32 s4, 0x80
	v_cmp_eq_u16_sdwa s[12:13], v9, s4 src0_sel:BYTE_3 src1_sel:DWORD
	s_mov_b64 s[4:5], -1
                                        ; implicit-def: $sgpr10
	s_and_saveexec_b64 s[8:9], s[12:13]
; %bb.3322:
	s_mov_b32 s10, 0x7f800001
	s_xor_b64 s[4:5], exec, -1
; %bb.3323:
	s_or_b64 exec, exec, s[8:9]
	s_and_b64 s[4:5], s[4:5], exec
	s_or_saveexec_b64 s[6:7], s[6:7]
	v_mov_b32_e32 v2, s10
	s_xor_b64 exec, exec, s[6:7]
	s_cbranch_execz .LBB30_1274
.LBB30_3324:
	v_mov_b32_e32 v2, 0
	v_cmp_ne_u16_sdwa s[8:9], v9, v2 src0_sel:BYTE_3 src1_sel:DWORD
	s_andn2_b64 s[4:5], s[4:5], exec
	s_and_b64 s[8:9], s[8:9], exec
	s_or_b64 s[4:5], s[4:5], s[8:9]
	s_or_b64 exec, exec, s[6:7]
	s_and_saveexec_b64 s[6:7], s[4:5]
	s_cbranch_execnz .LBB30_1275
	s_branch .LBB30_1276
.LBB30_3325:
	s_movk_i32 s4, 0x80
	v_cmp_eq_u16_sdwa s[12:13], v5, s4 src0_sel:BYTE_3 src1_sel:DWORD
	s_mov_b64 s[4:5], -1
                                        ; implicit-def: $sgpr10
	s_and_saveexec_b64 s[8:9], s[12:13]
; %bb.3326:
	s_mov_b32 s10, 0x7f800001
	s_xor_b64 s[4:5], exec, -1
; %bb.3327:
	s_or_b64 exec, exec, s[8:9]
	s_and_b64 s[4:5], s[4:5], exec
	s_or_saveexec_b64 s[6:7], s[6:7]
	v_mov_b32_e32 v3, s10
	s_xor_b64 exec, exec, s[6:7]
	s_cbranch_execz .LBB30_1278
.LBB30_3328:
	v_mov_b32_e32 v3, 0
	v_cmp_ne_u16_sdwa s[8:9], v5, v3 src0_sel:BYTE_3 src1_sel:DWORD
	s_andn2_b64 s[4:5], s[4:5], exec
	s_and_b64 s[8:9], s[8:9], exec
	s_or_b64 s[4:5], s[4:5], s[8:9]
	s_or_b64 exec, exec, s[6:7]
	s_and_saveexec_b64 s[6:7], s[4:5]
	s_cbranch_execnz .LBB30_1279
	s_branch .LBB30_1280
.LBB30_3329:
	s_movk_i32 s4, 0x80
	v_cmp_eq_u16_sdwa s[12:13], v14, s4 src0_sel:BYTE_0 src1_sel:DWORD
	s_mov_b64 s[4:5], -1
                                        ; implicit-def: $sgpr10
	s_and_saveexec_b64 s[8:9], s[12:13]
; %bb.3330:
	s_mov_b32 s10, 0x7f800001
	s_xor_b64 s[4:5], exec, -1
; %bb.3331:
	s_or_b64 exec, exec, s[8:9]
	s_and_b64 s[4:5], s[4:5], exec
	s_or_saveexec_b64 s[6:7], s[6:7]
	v_mov_b32_e32 v20, s10
	s_xor_b64 exec, exec, s[6:7]
	s_cbranch_execz .LBB30_1282
.LBB30_3332:
	v_mov_b32_e32 v20, 0
	v_cmp_ne_u16_sdwa s[8:9], v14, v20 src0_sel:BYTE_0 src1_sel:DWORD
	s_andn2_b64 s[4:5], s[4:5], exec
	s_and_b64 s[8:9], s[8:9], exec
	s_or_b64 s[4:5], s[4:5], s[8:9]
	s_or_b64 exec, exec, s[6:7]
	s_and_saveexec_b64 s[6:7], s[4:5]
	s_cbranch_execnz .LBB30_1283
	s_branch .LBB30_1284
.LBB30_3333:
	s_movk_i32 s4, 0x80
	v_cmp_eq_u16_sdwa s[12:13], v10, s4 src0_sel:BYTE_0 src1_sel:DWORD
	s_mov_b64 s[4:5], -1
                                        ; implicit-def: $sgpr10
	s_and_saveexec_b64 s[8:9], s[12:13]
; %bb.3334:
	s_mov_b32 s10, 0x7f800001
	s_xor_b64 s[4:5], exec, -1
; %bb.3335:
	s_or_b64 exec, exec, s[8:9]
	s_and_b64 s[4:5], s[4:5], exec
	s_or_saveexec_b64 s[6:7], s[6:7]
	v_mov_b32_e32 v21, s10
	s_xor_b64 exec, exec, s[6:7]
	s_cbranch_execz .LBB30_1286
.LBB30_3336:
	v_mov_b32_e32 v21, 0
	v_cmp_ne_u16_sdwa s[8:9], v10, v21 src0_sel:BYTE_0 src1_sel:DWORD
	s_andn2_b64 s[4:5], s[4:5], exec
	s_and_b64 s[8:9], s[8:9], exec
	s_or_b64 s[4:5], s[4:5], s[8:9]
	s_or_b64 exec, exec, s[6:7]
	s_and_saveexec_b64 s[6:7], s[4:5]
	s_cbranch_execnz .LBB30_1287
	s_branch .LBB30_1288
.LBB30_3337:
	s_movk_i32 s4, 0x80
	v_cmp_eq_u16_sdwa s[12:13], v21, s4 src0_sel:BYTE_0 src1_sel:DWORD
	s_mov_b64 s[4:5], -1
                                        ; implicit-def: $sgpr10
	s_and_saveexec_b64 s[8:9], s[12:13]
; %bb.3338:
	s_mov_b32 s10, 0x7f800001
	s_xor_b64 s[4:5], exec, -1
; %bb.3339:
	s_or_b64 exec, exec, s[8:9]
	s_and_b64 s[4:5], s[4:5], exec
	s_or_saveexec_b64 s[6:7], s[6:7]
	v_mov_b32_e32 v20, s10
	s_xor_b64 exec, exec, s[6:7]
	s_cbranch_execz .LBB30_1290
.LBB30_3340:
	v_mov_b32_e32 v20, 0
	v_cmp_ne_u16_sdwa s[8:9], v21, v20 src0_sel:BYTE_0 src1_sel:DWORD
	s_andn2_b64 s[4:5], s[4:5], exec
	s_and_b64 s[8:9], s[8:9], exec
	s_or_b64 s[4:5], s[4:5], s[8:9]
	s_or_b64 exec, exec, s[6:7]
	s_and_saveexec_b64 s[6:7], s[4:5]
	s_cbranch_execnz .LBB30_1291
	s_branch .LBB30_1292
.LBB30_3341:
	s_movk_i32 s4, 0x80
	v_cmp_eq_u16_sdwa s[12:13], v21, s4 src0_sel:BYTE_0 src1_sel:DWORD
	s_mov_b64 s[4:5], -1
                                        ; implicit-def: $sgpr10
	s_and_saveexec_b64 s[8:9], s[12:13]
; %bb.3342:
	s_mov_b32 s10, 0x7f800001
	s_xor_b64 s[4:5], exec, -1
; %bb.3343:
	s_or_b64 exec, exec, s[8:9]
	s_and_b64 s[4:5], s[4:5], exec
	s_or_saveexec_b64 s[6:7], s[6:7]
	v_mov_b32_e32 v22, s10
	s_xor_b64 exec, exec, s[6:7]
	s_cbranch_execz .LBB30_1294
.LBB30_3344:
	v_mov_b32_e32 v22, 0
	v_cmp_ne_u16_sdwa s[8:9], v21, v22 src0_sel:BYTE_0 src1_sel:DWORD
	s_andn2_b64 s[4:5], s[4:5], exec
	s_and_b64 s[8:9], s[8:9], exec
	s_or_b64 s[4:5], s[4:5], s[8:9]
	s_or_b64 exec, exec, s[6:7]
	s_and_saveexec_b64 s[6:7], s[4:5]
	s_cbranch_execnz .LBB30_1295
	s_branch .LBB30_1296
.LBB30_3345:
	s_movk_i32 s4, 0x80
	v_cmp_eq_u16_e32 vcc, s4, v21
	s_mov_b64 s[4:5], -1
                                        ; implicit-def: $sgpr10
	s_and_saveexec_b64 s[8:9], vcc
; %bb.3346:
	s_mov_b32 s10, 0x7f800001
	s_xor_b64 s[4:5], exec, -1
; %bb.3347:
	s_or_b64 exec, exec, s[8:9]
	s_and_b64 s[4:5], s[4:5], exec
                                        ; implicit-def: $vgpr21
	s_or_saveexec_b64 s[6:7], s[6:7]
	v_mov_b32_e32 v20, s10
	s_xor_b64 exec, exec, s[6:7]
	s_cbranch_execz .LBB30_1298
.LBB30_3348:
	v_cmp_ne_u16_e32 vcc, 0, v21
	s_andn2_b64 s[4:5], s[4:5], exec
	s_and_b64 s[8:9], vcc, exec
	v_mov_b32_e32 v20, 0
	s_or_b64 s[4:5], s[4:5], s[8:9]
	s_or_b64 exec, exec, s[6:7]
	s_and_saveexec_b64 s[6:7], s[4:5]
	s_cbranch_execnz .LBB30_1299
	s_branch .LBB30_1300
.LBB30_3349:
	s_movk_i32 s4, 0x80
	v_cmp_eq_u16_e32 vcc, s4, v21
	s_mov_b64 s[4:5], -1
                                        ; implicit-def: $sgpr10
	s_and_saveexec_b64 s[8:9], vcc
; %bb.3350:
	s_mov_b32 s10, 0x7f800001
	s_xor_b64 s[4:5], exec, -1
; %bb.3351:
	s_or_b64 exec, exec, s[8:9]
	s_and_b64 s[4:5], s[4:5], exec
                                        ; implicit-def: $vgpr21
	s_or_saveexec_b64 s[6:7], s[6:7]
	v_mov_b32_e32 v22, s10
	s_xor_b64 exec, exec, s[6:7]
	s_cbranch_execz .LBB30_1302
.LBB30_3352:
	v_cmp_ne_u16_e32 vcc, 0, v21
	s_andn2_b64 s[4:5], s[4:5], exec
	s_and_b64 s[8:9], vcc, exec
	v_mov_b32_e32 v22, 0
	s_or_b64 s[4:5], s[4:5], s[8:9]
	s_or_b64 exec, exec, s[6:7]
	s_and_saveexec_b64 s[6:7], s[4:5]
	s_cbranch_execnz .LBB30_1303
	s_branch .LBB30_1304
.LBB30_3353:
	s_movk_i32 s4, 0x80
	v_cmp_eq_u16_sdwa s[12:13], v14, s4 src0_sel:BYTE_3 src1_sel:DWORD
	s_mov_b64 s[4:5], -1
                                        ; implicit-def: $sgpr10
	s_and_saveexec_b64 s[8:9], s[12:13]
; %bb.3354:
	s_mov_b32 s10, 0x7f800001
	s_xor_b64 s[4:5], exec, -1
; %bb.3355:
	s_or_b64 exec, exec, s[8:9]
	s_and_b64 s[4:5], s[4:5], exec
	s_or_saveexec_b64 s[6:7], s[6:7]
	v_mov_b32_e32 v20, s10
	s_xor_b64 exec, exec, s[6:7]
	s_cbranch_execz .LBB30_1306
.LBB30_3356:
	v_mov_b32_e32 v20, 0
	v_cmp_ne_u16_sdwa s[8:9], v14, v20 src0_sel:BYTE_3 src1_sel:DWORD
	s_andn2_b64 s[4:5], s[4:5], exec
	s_and_b64 s[8:9], s[8:9], exec
	s_or_b64 s[4:5], s[4:5], s[8:9]
	s_or_b64 exec, exec, s[6:7]
	s_and_saveexec_b64 s[6:7], s[4:5]
	s_cbranch_execnz .LBB30_1307
	s_branch .LBB30_1308
.LBB30_3357:
	s_movk_i32 s4, 0x80
	v_cmp_eq_u16_sdwa s[12:13], v10, s4 src0_sel:BYTE_3 src1_sel:DWORD
	s_mov_b64 s[4:5], -1
                                        ; implicit-def: $sgpr10
	s_and_saveexec_b64 s[8:9], s[12:13]
; %bb.3358:
	s_mov_b32 s10, 0x7f800001
	s_xor_b64 s[4:5], exec, -1
; %bb.3359:
	s_or_b64 exec, exec, s[8:9]
	s_and_b64 s[4:5], s[4:5], exec
	s_or_saveexec_b64 s[6:7], s[6:7]
	v_mov_b32_e32 v14, s10
	s_xor_b64 exec, exec, s[6:7]
	s_cbranch_execz .LBB30_1310
.LBB30_3360:
	v_mov_b32_e32 v14, 0
	v_cmp_ne_u16_sdwa s[8:9], v10, v14 src0_sel:BYTE_3 src1_sel:DWORD
	s_andn2_b64 s[4:5], s[4:5], exec
	s_and_b64 s[8:9], s[8:9], exec
	s_or_b64 s[4:5], s[4:5], s[8:9]
	s_or_b64 exec, exec, s[6:7]
	s_and_saveexec_b64 s[6:7], s[4:5]
	s_cbranch_execnz .LBB30_1311
	s_branch .LBB30_1312
.LBB30_3361:
	s_movk_i32 s4, 0x80
	v_cmp_eq_u16_sdwa s[12:13], v15, s4 src0_sel:BYTE_0 src1_sel:DWORD
	s_mov_b64 s[4:5], -1
                                        ; implicit-def: $sgpr10
	s_and_saveexec_b64 s[8:9], s[12:13]
; %bb.3362:
	s_mov_b32 s10, 0x7f800001
	s_xor_b64 s[4:5], exec, -1
; %bb.3363:
	s_or_b64 exec, exec, s[8:9]
	s_and_b64 s[4:5], s[4:5], exec
	s_or_saveexec_b64 s[6:7], s[6:7]
	v_mov_b32_e32 v10, s10
	s_xor_b64 exec, exec, s[6:7]
	s_cbranch_execz .LBB30_1314
.LBB30_3364:
	v_mov_b32_e32 v10, 0
	v_cmp_ne_u16_sdwa s[8:9], v15, v10 src0_sel:BYTE_0 src1_sel:DWORD
	s_andn2_b64 s[4:5], s[4:5], exec
	s_and_b64 s[8:9], s[8:9], exec
	s_or_b64 s[4:5], s[4:5], s[8:9]
	s_or_b64 exec, exec, s[6:7]
	s_and_saveexec_b64 s[6:7], s[4:5]
	s_cbranch_execnz .LBB30_1315
	s_branch .LBB30_1316
.LBB30_3365:
	s_movk_i32 s4, 0x80
	v_cmp_eq_u16_sdwa s[12:13], v11, s4 src0_sel:BYTE_0 src1_sel:DWORD
	s_mov_b64 s[4:5], -1
                                        ; implicit-def: $sgpr10
	s_and_saveexec_b64 s[8:9], s[12:13]
; %bb.3366:
	s_mov_b32 s10, 0x7f800001
	s_xor_b64 s[4:5], exec, -1
; %bb.3367:
	s_or_b64 exec, exec, s[8:9]
	s_and_b64 s[4:5], s[4:5], exec
	s_or_saveexec_b64 s[6:7], s[6:7]
	v_mov_b32_e32 v14, s10
	s_xor_b64 exec, exec, s[6:7]
	s_cbranch_execz .LBB30_1318
.LBB30_3368:
	v_mov_b32_e32 v14, 0
	v_cmp_ne_u16_sdwa s[8:9], v11, v14 src0_sel:BYTE_0 src1_sel:DWORD
	s_andn2_b64 s[4:5], s[4:5], exec
	s_and_b64 s[8:9], s[8:9], exec
	s_or_b64 s[4:5], s[4:5], s[8:9]
	s_or_b64 exec, exec, s[6:7]
	s_and_saveexec_b64 s[6:7], s[4:5]
	s_cbranch_execnz .LBB30_1319
	s_branch .LBB30_1320
.LBB30_3369:
	s_movk_i32 s4, 0x80
	v_cmp_eq_u16_sdwa s[12:13], v14, s4 src0_sel:BYTE_0 src1_sel:DWORD
	s_mov_b64 s[4:5], -1
                                        ; implicit-def: $sgpr10
	s_and_saveexec_b64 s[8:9], s[12:13]
; %bb.3370:
	s_mov_b32 s10, 0x7f800001
	s_xor_b64 s[4:5], exec, -1
; %bb.3371:
	s_or_b64 exec, exec, s[8:9]
	s_and_b64 s[4:5], s[4:5], exec
	s_or_saveexec_b64 s[6:7], s[6:7]
	v_mov_b32_e32 v10, s10
	s_xor_b64 exec, exec, s[6:7]
	s_cbranch_execz .LBB30_1322
.LBB30_3372:
	v_mov_b32_e32 v10, 0
	v_cmp_ne_u16_sdwa s[8:9], v14, v10 src0_sel:BYTE_0 src1_sel:DWORD
	s_andn2_b64 s[4:5], s[4:5], exec
	s_and_b64 s[8:9], s[8:9], exec
	s_or_b64 s[4:5], s[4:5], s[8:9]
	s_or_b64 exec, exec, s[6:7]
	s_and_saveexec_b64 s[6:7], s[4:5]
	s_cbranch_execnz .LBB30_1323
	s_branch .LBB30_1324
.LBB30_3373:
	s_movk_i32 s4, 0x80
	v_cmp_eq_u16_sdwa s[12:13], v14, s4 src0_sel:BYTE_0 src1_sel:DWORD
	s_mov_b64 s[4:5], -1
                                        ; implicit-def: $sgpr10
	s_and_saveexec_b64 s[8:9], s[12:13]
; %bb.3374:
	s_mov_b32 s10, 0x7f800001
	s_xor_b64 s[4:5], exec, -1
; %bb.3375:
	s_or_b64 exec, exec, s[8:9]
	s_and_b64 s[4:5], s[4:5], exec
	s_or_saveexec_b64 s[6:7], s[6:7]
	v_mov_b32_e32 v20, s10
	s_xor_b64 exec, exec, s[6:7]
	s_cbranch_execz .LBB30_1326
.LBB30_3376:
	v_mov_b32_e32 v20, 0
	v_cmp_ne_u16_sdwa s[8:9], v14, v20 src0_sel:BYTE_0 src1_sel:DWORD
	s_andn2_b64 s[4:5], s[4:5], exec
	s_and_b64 s[8:9], s[8:9], exec
	s_or_b64 s[4:5], s[4:5], s[8:9]
	s_or_b64 exec, exec, s[6:7]
	s_and_saveexec_b64 s[6:7], s[4:5]
	s_cbranch_execnz .LBB30_1327
	s_branch .LBB30_1328
.LBB30_3377:
	s_movk_i32 s4, 0x80
	v_cmp_eq_u16_e32 vcc, s4, v14
	s_mov_b64 s[4:5], -1
                                        ; implicit-def: $sgpr10
	s_and_saveexec_b64 s[8:9], vcc
; %bb.3378:
	s_mov_b32 s10, 0x7f800001
	s_xor_b64 s[4:5], exec, -1
; %bb.3379:
	s_or_b64 exec, exec, s[8:9]
	s_and_b64 s[4:5], s[4:5], exec
                                        ; implicit-def: $vgpr14
	s_or_saveexec_b64 s[6:7], s[6:7]
	v_mov_b32_e32 v10, s10
	s_xor_b64 exec, exec, s[6:7]
	s_cbranch_execz .LBB30_1330
.LBB30_3380:
	v_cmp_ne_u16_e32 vcc, 0, v14
	s_andn2_b64 s[4:5], s[4:5], exec
	s_and_b64 s[8:9], vcc, exec
	v_mov_b32_e32 v10, 0
	s_or_b64 s[4:5], s[4:5], s[8:9]
	s_or_b64 exec, exec, s[6:7]
	s_and_saveexec_b64 s[6:7], s[4:5]
	s_cbranch_execnz .LBB30_1331
	s_branch .LBB30_1332
.LBB30_3381:
	s_movk_i32 s4, 0x80
	v_cmp_eq_u16_e32 vcc, s4, v14
	s_mov_b64 s[4:5], -1
                                        ; implicit-def: $sgpr10
	s_and_saveexec_b64 s[8:9], vcc
; %bb.3382:
	s_mov_b32 s10, 0x7f800001
	s_xor_b64 s[4:5], exec, -1
; %bb.3383:
	s_or_b64 exec, exec, s[8:9]
	s_and_b64 s[4:5], s[4:5], exec
                                        ; implicit-def: $vgpr14
	s_or_saveexec_b64 s[6:7], s[6:7]
	v_mov_b32_e32 v20, s10
	s_xor_b64 exec, exec, s[6:7]
	s_cbranch_execz .LBB30_1334
.LBB30_3384:
	v_cmp_ne_u16_e32 vcc, 0, v14
	s_andn2_b64 s[4:5], s[4:5], exec
	s_and_b64 s[8:9], vcc, exec
	v_mov_b32_e32 v20, 0
	s_or_b64 s[4:5], s[4:5], s[8:9]
	s_or_b64 exec, exec, s[6:7]
	s_and_saveexec_b64 s[6:7], s[4:5]
	s_cbranch_execnz .LBB30_1335
	s_branch .LBB30_1336
.LBB30_3385:
	s_movk_i32 s4, 0x80
	v_cmp_eq_u16_sdwa s[12:13], v15, s4 src0_sel:BYTE_3 src1_sel:DWORD
	s_mov_b64 s[4:5], -1
                                        ; implicit-def: $sgpr10
	s_and_saveexec_b64 s[8:9], s[12:13]
; %bb.3386:
	s_mov_b32 s10, 0x7f800001
	s_xor_b64 s[4:5], exec, -1
; %bb.3387:
	s_or_b64 exec, exec, s[8:9]
	s_and_b64 s[4:5], s[4:5], exec
	s_or_saveexec_b64 s[6:7], s[6:7]
	v_mov_b32_e32 v10, s10
	s_xor_b64 exec, exec, s[6:7]
	s_cbranch_execz .LBB30_1338
.LBB30_3388:
	v_mov_b32_e32 v10, 0
	v_cmp_ne_u16_sdwa s[8:9], v15, v10 src0_sel:BYTE_3 src1_sel:DWORD
	s_andn2_b64 s[4:5], s[4:5], exec
	s_and_b64 s[8:9], s[8:9], exec
	s_or_b64 s[4:5], s[4:5], s[8:9]
	s_or_b64 exec, exec, s[6:7]
	s_and_saveexec_b64 s[6:7], s[4:5]
	s_cbranch_execnz .LBB30_1339
	s_branch .LBB30_1340
.LBB30_3389:
	s_movk_i32 s4, 0x80
	v_cmp_eq_u16_sdwa s[12:13], v11, s4 src0_sel:BYTE_3 src1_sel:DWORD
	s_mov_b64 s[4:5], -1
                                        ; implicit-def: $sgpr10
	s_and_saveexec_b64 s[8:9], s[12:13]
; %bb.3390:
	s_mov_b32 s10, 0x7f800001
	s_xor_b64 s[4:5], exec, -1
; %bb.3391:
	s_or_b64 exec, exec, s[8:9]
	s_and_b64 s[4:5], s[4:5], exec
	s_or_saveexec_b64 s[6:7], s[6:7]
	v_mov_b32_e32 v14, s10
	s_xor_b64 exec, exec, s[6:7]
	s_cbranch_execz .LBB30_1342
.LBB30_3392:
	v_mov_b32_e32 v14, 0
	v_cmp_ne_u16_sdwa s[8:9], v11, v14 src0_sel:BYTE_3 src1_sel:DWORD
	s_andn2_b64 s[4:5], s[4:5], exec
	s_and_b64 s[8:9], s[8:9], exec
	s_or_b64 s[4:5], s[4:5], s[8:9]
	s_or_b64 exec, exec, s[6:7]
	s_and_saveexec_b64 s[6:7], s[4:5]
	s_cbranch_execnz .LBB30_1343
	s_branch .LBB30_1344
.LBB30_3393:
	s_movk_i32 s4, 0x80
	v_cmp_eq_u16_sdwa s[12:13], v16, s4 src0_sel:BYTE_0 src1_sel:DWORD
	s_mov_b64 s[4:5], -1
                                        ; implicit-def: $sgpr10
	s_and_saveexec_b64 s[8:9], s[12:13]
; %bb.3394:
	s_mov_b32 s10, 0x7f800001
	s_xor_b64 s[4:5], exec, -1
; %bb.3395:
	s_or_b64 exec, exec, s[8:9]
	s_and_b64 s[4:5], s[4:5], exec
	s_or_saveexec_b64 s[6:7], s[6:7]
	v_mov_b32_e32 v10, s10
	s_xor_b64 exec, exec, s[6:7]
	s_cbranch_execz .LBB30_1346
.LBB30_3396:
	v_mov_b32_e32 v10, 0
	v_cmp_ne_u16_sdwa s[8:9], v16, v10 src0_sel:BYTE_0 src1_sel:DWORD
	s_andn2_b64 s[4:5], s[4:5], exec
	s_and_b64 s[8:9], s[8:9], exec
	s_or_b64 s[4:5], s[4:5], s[8:9]
	s_or_b64 exec, exec, s[6:7]
	s_and_saveexec_b64 s[6:7], s[4:5]
	s_cbranch_execnz .LBB30_1347
	s_branch .LBB30_1348
.LBB30_3397:
	s_movk_i32 s4, 0x80
	v_cmp_eq_u16_sdwa s[12:13], v12, s4 src0_sel:BYTE_0 src1_sel:DWORD
	s_mov_b64 s[4:5], -1
                                        ; implicit-def: $sgpr10
	s_and_saveexec_b64 s[8:9], s[12:13]
; %bb.3398:
	s_mov_b32 s10, 0x7f800001
	s_xor_b64 s[4:5], exec, -1
; %bb.3399:
	s_or_b64 exec, exec, s[8:9]
	s_and_b64 s[4:5], s[4:5], exec
	s_or_saveexec_b64 s[6:7], s[6:7]
	v_mov_b32_e32 v11, s10
	s_xor_b64 exec, exec, s[6:7]
	s_cbranch_execz .LBB30_1350
.LBB30_3400:
	v_mov_b32_e32 v11, 0
	v_cmp_ne_u16_sdwa s[8:9], v12, v11 src0_sel:BYTE_0 src1_sel:DWORD
	s_andn2_b64 s[4:5], s[4:5], exec
	s_and_b64 s[8:9], s[8:9], exec
	s_or_b64 s[4:5], s[4:5], s[8:9]
	s_or_b64 exec, exec, s[6:7]
	s_and_saveexec_b64 s[6:7], s[4:5]
	s_cbranch_execnz .LBB30_1351
	s_branch .LBB30_1352
.LBB30_3401:
	s_movk_i32 s4, 0x80
	v_cmp_eq_u16_sdwa s[12:13], v11, s4 src0_sel:BYTE_0 src1_sel:DWORD
	s_mov_b64 s[4:5], -1
                                        ; implicit-def: $sgpr10
	s_and_saveexec_b64 s[8:9], s[12:13]
; %bb.3402:
	s_mov_b32 s10, 0x7f800001
	s_xor_b64 s[4:5], exec, -1
; %bb.3403:
	s_or_b64 exec, exec, s[8:9]
	s_and_b64 s[4:5], s[4:5], exec
	s_or_saveexec_b64 s[6:7], s[6:7]
	v_mov_b32_e32 v10, s10
	s_xor_b64 exec, exec, s[6:7]
	s_cbranch_execz .LBB30_1354
.LBB30_3404:
	v_mov_b32_e32 v10, 0
	v_cmp_ne_u16_sdwa s[8:9], v11, v10 src0_sel:BYTE_0 src1_sel:DWORD
	s_andn2_b64 s[4:5], s[4:5], exec
	s_and_b64 s[8:9], s[8:9], exec
	s_or_b64 s[4:5], s[4:5], s[8:9]
	s_or_b64 exec, exec, s[6:7]
	s_and_saveexec_b64 s[6:7], s[4:5]
	s_cbranch_execnz .LBB30_1355
	s_branch .LBB30_1356
.LBB30_3405:
	s_movk_i32 s4, 0x80
	v_cmp_eq_u16_sdwa s[12:13], v11, s4 src0_sel:BYTE_0 src1_sel:DWORD
	s_mov_b64 s[4:5], -1
                                        ; implicit-def: $sgpr10
	s_and_saveexec_b64 s[8:9], s[12:13]
; %bb.3406:
	s_mov_b32 s10, 0x7f800001
	s_xor_b64 s[4:5], exec, -1
; %bb.3407:
	s_or_b64 exec, exec, s[8:9]
	s_and_b64 s[4:5], s[4:5], exec
	s_or_saveexec_b64 s[6:7], s[6:7]
	v_mov_b32_e32 v14, s10
	s_xor_b64 exec, exec, s[6:7]
	s_cbranch_execz .LBB30_1358
.LBB30_3408:
	v_mov_b32_e32 v14, 0
	v_cmp_ne_u16_sdwa s[8:9], v11, v14 src0_sel:BYTE_0 src1_sel:DWORD
	s_andn2_b64 s[4:5], s[4:5], exec
	s_and_b64 s[8:9], s[8:9], exec
	s_or_b64 s[4:5], s[4:5], s[8:9]
	s_or_b64 exec, exec, s[6:7]
	s_and_saveexec_b64 s[6:7], s[4:5]
	s_cbranch_execnz .LBB30_1359
	s_branch .LBB30_1360
.LBB30_3409:
	s_movk_i32 s4, 0x80
	v_cmp_eq_u16_e32 vcc, s4, v11
	s_mov_b64 s[4:5], -1
                                        ; implicit-def: $sgpr10
	s_and_saveexec_b64 s[8:9], vcc
; %bb.3410:
	s_mov_b32 s10, 0x7f800001
	s_xor_b64 s[4:5], exec, -1
; %bb.3411:
	s_or_b64 exec, exec, s[8:9]
	s_and_b64 s[4:5], s[4:5], exec
                                        ; implicit-def: $vgpr11
	s_or_saveexec_b64 s[6:7], s[6:7]
	v_mov_b32_e32 v10, s10
	s_xor_b64 exec, exec, s[6:7]
	s_cbranch_execz .LBB30_1362
.LBB30_3412:
	v_cmp_ne_u16_e32 vcc, 0, v11
	s_andn2_b64 s[4:5], s[4:5], exec
	s_and_b64 s[8:9], vcc, exec
	v_mov_b32_e32 v10, 0
	s_or_b64 s[4:5], s[4:5], s[8:9]
	s_or_b64 exec, exec, s[6:7]
	s_and_saveexec_b64 s[6:7], s[4:5]
	s_cbranch_execnz .LBB30_1363
	s_branch .LBB30_1364
.LBB30_3413:
	s_movk_i32 s4, 0x80
	v_cmp_eq_u16_e32 vcc, s4, v11
	s_mov_b64 s[4:5], -1
                                        ; implicit-def: $sgpr10
	s_and_saveexec_b64 s[8:9], vcc
; %bb.3414:
	s_mov_b32 s10, 0x7f800001
	s_xor_b64 s[4:5], exec, -1
; %bb.3415:
	s_or_b64 exec, exec, s[8:9]
	s_and_b64 s[4:5], s[4:5], exec
                                        ; implicit-def: $vgpr11
	s_or_saveexec_b64 s[6:7], s[6:7]
	v_mov_b32_e32 v14, s10
	s_xor_b64 exec, exec, s[6:7]
	s_cbranch_execz .LBB30_1366
.LBB30_3416:
	v_cmp_ne_u16_e32 vcc, 0, v11
	s_andn2_b64 s[4:5], s[4:5], exec
	s_and_b64 s[8:9], vcc, exec
	v_mov_b32_e32 v14, 0
	s_or_b64 s[4:5], s[4:5], s[8:9]
	s_or_b64 exec, exec, s[6:7]
	s_and_saveexec_b64 s[6:7], s[4:5]
	s_cbranch_execnz .LBB30_1367
	s_branch .LBB30_1368
.LBB30_3417:
	s_movk_i32 s4, 0x80
	v_cmp_eq_u16_sdwa s[12:13], v16, s4 src0_sel:BYTE_3 src1_sel:DWORD
	s_mov_b64 s[4:5], -1
                                        ; implicit-def: $sgpr10
	s_and_saveexec_b64 s[8:9], s[12:13]
; %bb.3418:
	s_mov_b32 s10, 0x7f800001
	s_xor_b64 s[4:5], exec, -1
; %bb.3419:
	s_or_b64 exec, exec, s[8:9]
	s_and_b64 s[4:5], s[4:5], exec
	s_or_saveexec_b64 s[6:7], s[6:7]
	v_mov_b32_e32 v10, s10
	s_xor_b64 exec, exec, s[6:7]
	s_cbranch_execz .LBB30_1370
.LBB30_3420:
	v_mov_b32_e32 v10, 0
	v_cmp_ne_u16_sdwa s[8:9], v16, v10 src0_sel:BYTE_3 src1_sel:DWORD
	s_andn2_b64 s[4:5], s[4:5], exec
	s_and_b64 s[8:9], s[8:9], exec
	s_or_b64 s[4:5], s[4:5], s[8:9]
	s_or_b64 exec, exec, s[6:7]
	s_and_saveexec_b64 s[6:7], s[4:5]
	s_cbranch_execnz .LBB30_1371
	s_branch .LBB30_1372
.LBB30_3421:
	s_movk_i32 s4, 0x80
	v_cmp_eq_u16_sdwa s[12:13], v12, s4 src0_sel:BYTE_3 src1_sel:DWORD
	s_mov_b64 s[4:5], -1
                                        ; implicit-def: $sgpr10
	s_and_saveexec_b64 s[8:9], s[12:13]
; %bb.3422:
	s_mov_b32 s10, 0x7f800001
	s_xor_b64 s[4:5], exec, -1
; %bb.3423:
	s_or_b64 exec, exec, s[8:9]
	s_and_b64 s[4:5], s[4:5], exec
	s_or_saveexec_b64 s[6:7], s[6:7]
	v_mov_b32_e32 v11, s10
	s_xor_b64 exec, exec, s[6:7]
	s_cbranch_execz .LBB30_1374
.LBB30_3424:
	v_mov_b32_e32 v11, 0
	v_cmp_ne_u16_sdwa s[8:9], v12, v11 src0_sel:BYTE_3 src1_sel:DWORD
	s_andn2_b64 s[4:5], s[4:5], exec
	s_and_b64 s[8:9], s[8:9], exec
	s_or_b64 s[4:5], s[4:5], s[8:9]
	s_or_b64 exec, exec, s[6:7]
	s_and_saveexec_b64 s[6:7], s[4:5]
	s_cbranch_execnz .LBB30_1375
	s_branch .LBB30_1376
.LBB30_3425:
	s_movk_i32 s4, 0x80
	v_cmp_eq_u16_sdwa s[12:13], v17, s4 src0_sel:BYTE_0 src1_sel:DWORD
	s_mov_b64 s[4:5], -1
                                        ; implicit-def: $sgpr10
	s_and_saveexec_b64 s[8:9], s[12:13]
; %bb.3426:
	s_mov_b32 s10, 0x7f800001
	s_xor_b64 s[4:5], exec, -1
; %bb.3427:
	s_or_b64 exec, exec, s[8:9]
	s_and_b64 s[4:5], s[4:5], exec
	s_or_saveexec_b64 s[6:7], s[6:7]
	v_mov_b32_e32 v10, s10
	s_xor_b64 exec, exec, s[6:7]
	s_cbranch_execz .LBB30_1378
.LBB30_3428:
	v_mov_b32_e32 v10, 0
	v_cmp_ne_u16_sdwa s[8:9], v17, v10 src0_sel:BYTE_0 src1_sel:DWORD
	s_andn2_b64 s[4:5], s[4:5], exec
	s_and_b64 s[8:9], s[8:9], exec
	s_or_b64 s[4:5], s[4:5], s[8:9]
	s_or_b64 exec, exec, s[6:7]
	s_and_saveexec_b64 s[6:7], s[4:5]
	s_cbranch_execnz .LBB30_1379
	s_branch .LBB30_1380
.LBB30_3429:
	s_movk_i32 s4, 0x80
	v_cmp_eq_u16_sdwa s[12:13], v13, s4 src0_sel:BYTE_0 src1_sel:DWORD
	s_mov_b64 s[4:5], -1
                                        ; implicit-def: $sgpr10
	s_and_saveexec_b64 s[8:9], s[12:13]
; %bb.3430:
	s_mov_b32 s10, 0x7f800001
	s_xor_b64 s[4:5], exec, -1
; %bb.3431:
	s_or_b64 exec, exec, s[8:9]
	s_and_b64 s[4:5], s[4:5], exec
	s_or_saveexec_b64 s[6:7], s[6:7]
	v_mov_b32_e32 v11, s10
	s_xor_b64 exec, exec, s[6:7]
	s_cbranch_execz .LBB30_1382
.LBB30_3432:
	v_mov_b32_e32 v11, 0
	v_cmp_ne_u16_sdwa s[8:9], v13, v11 src0_sel:BYTE_0 src1_sel:DWORD
	s_andn2_b64 s[4:5], s[4:5], exec
	s_and_b64 s[8:9], s[8:9], exec
	s_or_b64 s[4:5], s[4:5], s[8:9]
	s_or_b64 exec, exec, s[6:7]
	s_and_saveexec_b64 s[6:7], s[4:5]
	s_cbranch_execnz .LBB30_1383
	s_branch .LBB30_1384
.LBB30_3433:
	s_movk_i32 s4, 0x80
	v_cmp_eq_u16_sdwa s[12:13], v11, s4 src0_sel:BYTE_0 src1_sel:DWORD
	s_mov_b64 s[4:5], -1
                                        ; implicit-def: $sgpr10
	s_and_saveexec_b64 s[8:9], s[12:13]
; %bb.3434:
	s_mov_b32 s10, 0x7f800001
	s_xor_b64 s[4:5], exec, -1
; %bb.3435:
	s_or_b64 exec, exec, s[8:9]
	s_and_b64 s[4:5], s[4:5], exec
	s_or_saveexec_b64 s[6:7], s[6:7]
	v_mov_b32_e32 v10, s10
	s_xor_b64 exec, exec, s[6:7]
	s_cbranch_execz .LBB30_1386
.LBB30_3436:
	v_mov_b32_e32 v10, 0
	v_cmp_ne_u16_sdwa s[8:9], v11, v10 src0_sel:BYTE_0 src1_sel:DWORD
	s_andn2_b64 s[4:5], s[4:5], exec
	s_and_b64 s[8:9], s[8:9], exec
	s_or_b64 s[4:5], s[4:5], s[8:9]
	s_or_b64 exec, exec, s[6:7]
	s_and_saveexec_b64 s[6:7], s[4:5]
	s_cbranch_execnz .LBB30_1387
	s_branch .LBB30_1388
.LBB30_3437:
	s_movk_i32 s4, 0x80
	v_cmp_eq_u16_sdwa s[12:13], v11, s4 src0_sel:BYTE_0 src1_sel:DWORD
	s_mov_b64 s[4:5], -1
                                        ; implicit-def: $sgpr10
	s_and_saveexec_b64 s[8:9], s[12:13]
; %bb.3438:
	s_mov_b32 s10, 0x7f800001
	s_xor_b64 s[4:5], exec, -1
; %bb.3439:
	s_or_b64 exec, exec, s[8:9]
	s_and_b64 s[4:5], s[4:5], exec
	s_or_saveexec_b64 s[6:7], s[6:7]
	v_mov_b32_e32 v12, s10
	s_xor_b64 exec, exec, s[6:7]
	s_cbranch_execz .LBB30_1390
.LBB30_3440:
	v_mov_b32_e32 v12, 0
	v_cmp_ne_u16_sdwa s[8:9], v11, v12 src0_sel:BYTE_0 src1_sel:DWORD
	s_andn2_b64 s[4:5], s[4:5], exec
	s_and_b64 s[8:9], s[8:9], exec
	s_or_b64 s[4:5], s[4:5], s[8:9]
	s_or_b64 exec, exec, s[6:7]
	s_and_saveexec_b64 s[6:7], s[4:5]
	s_cbranch_execnz .LBB30_1391
	s_branch .LBB30_1392
.LBB30_3441:
	s_movk_i32 s4, 0x80
	v_cmp_eq_u16_e32 vcc, s4, v11
	s_mov_b64 s[4:5], -1
                                        ; implicit-def: $sgpr10
	s_and_saveexec_b64 s[8:9], vcc
; %bb.3442:
	s_mov_b32 s10, 0x7f800001
	s_xor_b64 s[4:5], exec, -1
; %bb.3443:
	s_or_b64 exec, exec, s[8:9]
	s_and_b64 s[4:5], s[4:5], exec
                                        ; implicit-def: $vgpr11
	s_or_saveexec_b64 s[6:7], s[6:7]
	v_mov_b32_e32 v10, s10
	s_xor_b64 exec, exec, s[6:7]
	s_cbranch_execz .LBB30_1394
.LBB30_3444:
	v_cmp_ne_u16_e32 vcc, 0, v11
	s_andn2_b64 s[4:5], s[4:5], exec
	s_and_b64 s[8:9], vcc, exec
	v_mov_b32_e32 v10, 0
	s_or_b64 s[4:5], s[4:5], s[8:9]
	s_or_b64 exec, exec, s[6:7]
	s_and_saveexec_b64 s[6:7], s[4:5]
	s_cbranch_execnz .LBB30_1395
	s_branch .LBB30_1396
.LBB30_3445:
	s_movk_i32 s4, 0x80
	v_cmp_eq_u16_e32 vcc, s4, v11
	s_mov_b64 s[4:5], -1
                                        ; implicit-def: $sgpr10
	s_and_saveexec_b64 s[8:9], vcc
; %bb.3446:
	s_mov_b32 s10, 0x7f800001
	s_xor_b64 s[4:5], exec, -1
; %bb.3447:
	s_or_b64 exec, exec, s[8:9]
	s_and_b64 s[4:5], s[4:5], exec
                                        ; implicit-def: $vgpr11
	s_or_saveexec_b64 s[6:7], s[6:7]
	v_mov_b32_e32 v12, s10
	s_xor_b64 exec, exec, s[6:7]
	s_cbranch_execz .LBB30_1398
.LBB30_3448:
	v_cmp_ne_u16_e32 vcc, 0, v11
	s_andn2_b64 s[4:5], s[4:5], exec
	s_and_b64 s[8:9], vcc, exec
	v_mov_b32_e32 v12, 0
	s_or_b64 s[4:5], s[4:5], s[8:9]
	s_or_b64 exec, exec, s[6:7]
	s_and_saveexec_b64 s[6:7], s[4:5]
	s_cbranch_execnz .LBB30_1399
	s_branch .LBB30_1400
.LBB30_3449:
	s_movk_i32 s4, 0x80
	v_cmp_eq_u16_sdwa s[12:13], v17, s4 src0_sel:BYTE_3 src1_sel:DWORD
	s_mov_b64 s[4:5], -1
                                        ; implicit-def: $sgpr10
	s_and_saveexec_b64 s[8:9], s[12:13]
; %bb.3450:
	s_mov_b32 s10, 0x7f800001
	s_xor_b64 s[4:5], exec, -1
; %bb.3451:
	s_or_b64 exec, exec, s[8:9]
	s_and_b64 s[4:5], s[4:5], exec
	s_or_saveexec_b64 s[6:7], s[6:7]
	v_mov_b32_e32 v10, s10
	s_xor_b64 exec, exec, s[6:7]
	s_cbranch_execz .LBB30_1402
.LBB30_3452:
	v_mov_b32_e32 v10, 0
	v_cmp_ne_u16_sdwa s[8:9], v17, v10 src0_sel:BYTE_3 src1_sel:DWORD
	s_andn2_b64 s[4:5], s[4:5], exec
	s_and_b64 s[8:9], s[8:9], exec
	s_or_b64 s[4:5], s[4:5], s[8:9]
	s_or_b64 exec, exec, s[6:7]
	s_and_saveexec_b64 s[6:7], s[4:5]
	s_cbranch_execnz .LBB30_1403
	s_branch .LBB30_1404
.LBB30_3453:
	s_movk_i32 s4, 0x80
	v_cmp_eq_u16_sdwa s[12:13], v13, s4 src0_sel:BYTE_3 src1_sel:DWORD
	s_mov_b64 s[4:5], -1
                                        ; implicit-def: $sgpr10
	s_and_saveexec_b64 s[8:9], s[12:13]
; %bb.3454:
	s_mov_b32 s10, 0x7f800001
	s_xor_b64 s[4:5], exec, -1
; %bb.3455:
	s_or_b64 exec, exec, s[8:9]
	s_and_b64 s[4:5], s[4:5], exec
	s_or_saveexec_b64 s[6:7], s[6:7]
	v_mov_b32_e32 v11, s10
	s_xor_b64 exec, exec, s[6:7]
	s_cbranch_execz .LBB30_1406
.LBB30_3456:
	v_mov_b32_e32 v11, 0
	v_cmp_ne_u16_sdwa s[8:9], v13, v11 src0_sel:BYTE_3 src1_sel:DWORD
	s_andn2_b64 s[4:5], s[4:5], exec
	s_and_b64 s[8:9], s[8:9], exec
	s_or_b64 s[4:5], s[4:5], s[8:9]
	s_or_b64 exec, exec, s[6:7]
	s_and_saveexec_b64 s[6:7], s[4:5]
	s_cbranch_execnz .LBB30_1407
	s_branch .LBB30_1408
.LBB30_3457:
	s_movk_i32 s4, 0x80
	v_cmp_eq_u16_sdwa s[12:13], v6, s4 src0_sel:BYTE_0 src1_sel:DWORD
	s_mov_b64 s[4:5], -1
                                        ; implicit-def: $sgpr10
	s_and_saveexec_b64 s[8:9], s[12:13]
; %bb.3458:
	s_mov_b32 s10, 0x7f800001
	s_xor_b64 s[4:5], exec, -1
; %bb.3459:
	s_or_b64 exec, exec, s[8:9]
	s_and_b64 s[4:5], s[4:5], exec
	s_or_saveexec_b64 s[6:7], s[6:7]
	v_mov_b32_e32 v10, s10
	s_xor_b64 exec, exec, s[6:7]
	s_cbranch_execz .LBB30_1410
.LBB30_3460:
	v_mov_b32_e32 v10, 0
	v_cmp_ne_u16_sdwa s[8:9], v6, v10 src0_sel:BYTE_0 src1_sel:DWORD
	s_andn2_b64 s[4:5], s[4:5], exec
	s_and_b64 s[8:9], s[8:9], exec
	s_or_b64 s[4:5], s[4:5], s[8:9]
	s_or_b64 exec, exec, s[6:7]
	s_and_saveexec_b64 s[6:7], s[4:5]
	s_cbranch_execnz .LBB30_1411
	s_branch .LBB30_1412
.LBB30_3461:
	s_movk_i32 s4, 0x80
	v_cmp_eq_u16_sdwa s[12:13], v2, s4 src0_sel:BYTE_0 src1_sel:DWORD
	s_mov_b64 s[4:5], -1
                                        ; implicit-def: $sgpr10
	s_and_saveexec_b64 s[8:9], s[12:13]
; %bb.3462:
	s_mov_b32 s10, 0x7f800001
	s_xor_b64 s[4:5], exec, -1
; %bb.3463:
	s_or_b64 exec, exec, s[8:9]
	s_and_b64 s[4:5], s[4:5], exec
	s_or_saveexec_b64 s[6:7], s[6:7]
	v_mov_b32_e32 v11, s10
	s_xor_b64 exec, exec, s[6:7]
	s_cbranch_execz .LBB30_1414
.LBB30_3464:
	v_mov_b32_e32 v11, 0
	v_cmp_ne_u16_sdwa s[8:9], v2, v11 src0_sel:BYTE_0 src1_sel:DWORD
	s_andn2_b64 s[4:5], s[4:5], exec
	s_and_b64 s[8:9], s[8:9], exec
	s_or_b64 s[4:5], s[4:5], s[8:9]
	s_or_b64 exec, exec, s[6:7]
	s_and_saveexec_b64 s[6:7], s[4:5]
	s_cbranch_execnz .LBB30_1415
	s_branch .LBB30_1416
.LBB30_3465:
	s_movk_i32 s4, 0x80
	v_cmp_eq_u16_sdwa s[12:13], v11, s4 src0_sel:BYTE_0 src1_sel:DWORD
	s_mov_b64 s[4:5], -1
                                        ; implicit-def: $sgpr10
	s_and_saveexec_b64 s[8:9], s[12:13]
; %bb.3466:
	s_mov_b32 s10, 0x7f800001
	s_xor_b64 s[4:5], exec, -1
; %bb.3467:
	s_or_b64 exec, exec, s[8:9]
	s_and_b64 s[4:5], s[4:5], exec
	s_or_saveexec_b64 s[6:7], s[6:7]
	v_mov_b32_e32 v10, s10
	s_xor_b64 exec, exec, s[6:7]
	s_cbranch_execz .LBB30_1418
.LBB30_3468:
	v_mov_b32_e32 v10, 0
	v_cmp_ne_u16_sdwa s[8:9], v11, v10 src0_sel:BYTE_0 src1_sel:DWORD
	s_andn2_b64 s[4:5], s[4:5], exec
	s_and_b64 s[8:9], s[8:9], exec
	s_or_b64 s[4:5], s[4:5], s[8:9]
	s_or_b64 exec, exec, s[6:7]
	s_and_saveexec_b64 s[6:7], s[4:5]
	s_cbranch_execnz .LBB30_1419
	s_branch .LBB30_1420
.LBB30_3469:
	s_movk_i32 s4, 0x80
	v_cmp_eq_u16_sdwa s[12:13], v11, s4 src0_sel:BYTE_0 src1_sel:DWORD
	s_mov_b64 s[4:5], -1
                                        ; implicit-def: $sgpr10
	s_and_saveexec_b64 s[8:9], s[12:13]
; %bb.3470:
	s_mov_b32 s10, 0x7f800001
	s_xor_b64 s[4:5], exec, -1
; %bb.3471:
	s_or_b64 exec, exec, s[8:9]
	s_and_b64 s[4:5], s[4:5], exec
	s_or_saveexec_b64 s[6:7], s[6:7]
	v_mov_b32_e32 v12, s10
	s_xor_b64 exec, exec, s[6:7]
	s_cbranch_execz .LBB30_1422
.LBB30_3472:
	v_mov_b32_e32 v12, 0
	v_cmp_ne_u16_sdwa s[8:9], v11, v12 src0_sel:BYTE_0 src1_sel:DWORD
	s_andn2_b64 s[4:5], s[4:5], exec
	s_and_b64 s[8:9], s[8:9], exec
	s_or_b64 s[4:5], s[4:5], s[8:9]
	s_or_b64 exec, exec, s[6:7]
	s_and_saveexec_b64 s[6:7], s[4:5]
	s_cbranch_execnz .LBB30_1423
	s_branch .LBB30_1424
.LBB30_3473:
	s_movk_i32 s4, 0x80
	v_cmp_eq_u16_e32 vcc, s4, v11
	s_mov_b64 s[4:5], -1
                                        ; implicit-def: $sgpr10
	s_and_saveexec_b64 s[8:9], vcc
; %bb.3474:
	s_mov_b32 s10, 0x7f800001
	s_xor_b64 s[4:5], exec, -1
; %bb.3475:
	s_or_b64 exec, exec, s[8:9]
	s_and_b64 s[4:5], s[4:5], exec
                                        ; implicit-def: $vgpr11
	s_or_saveexec_b64 s[6:7], s[6:7]
	v_mov_b32_e32 v10, s10
	s_xor_b64 exec, exec, s[6:7]
	s_cbranch_execz .LBB30_1426
.LBB30_3476:
	v_cmp_ne_u16_e32 vcc, 0, v11
	s_andn2_b64 s[4:5], s[4:5], exec
	s_and_b64 s[8:9], vcc, exec
	v_mov_b32_e32 v10, 0
	s_or_b64 s[4:5], s[4:5], s[8:9]
	s_or_b64 exec, exec, s[6:7]
	s_and_saveexec_b64 s[6:7], s[4:5]
	s_cbranch_execnz .LBB30_1427
	s_branch .LBB30_1428
.LBB30_3477:
	s_movk_i32 s4, 0x80
	v_cmp_eq_u16_e32 vcc, s4, v11
	s_mov_b64 s[4:5], -1
                                        ; implicit-def: $sgpr10
	s_and_saveexec_b64 s[8:9], vcc
; %bb.3478:
	s_mov_b32 s10, 0x7f800001
	s_xor_b64 s[4:5], exec, -1
; %bb.3479:
	s_or_b64 exec, exec, s[8:9]
	s_and_b64 s[4:5], s[4:5], exec
                                        ; implicit-def: $vgpr11
	s_or_saveexec_b64 s[6:7], s[6:7]
	v_mov_b32_e32 v12, s10
	s_xor_b64 exec, exec, s[6:7]
	s_cbranch_execz .LBB30_1430
.LBB30_3480:
	v_cmp_ne_u16_e32 vcc, 0, v11
	s_andn2_b64 s[4:5], s[4:5], exec
	s_and_b64 s[8:9], vcc, exec
	v_mov_b32_e32 v12, 0
	s_or_b64 s[4:5], s[4:5], s[8:9]
	s_or_b64 exec, exec, s[6:7]
	s_and_saveexec_b64 s[6:7], s[4:5]
	s_cbranch_execnz .LBB30_1431
	s_branch .LBB30_1432
.LBB30_3481:
	s_movk_i32 s4, 0x80
	v_cmp_eq_u16_sdwa s[12:13], v6, s4 src0_sel:BYTE_3 src1_sel:DWORD
	s_mov_b64 s[4:5], -1
                                        ; implicit-def: $sgpr10
	s_and_saveexec_b64 s[8:9], s[12:13]
; %bb.3482:
	s_mov_b32 s10, 0x7f800001
	s_xor_b64 s[4:5], exec, -1
; %bb.3483:
	s_or_b64 exec, exec, s[8:9]
	s_and_b64 s[4:5], s[4:5], exec
	s_or_saveexec_b64 s[6:7], s[6:7]
	v_mov_b32_e32 v10, s10
	s_xor_b64 exec, exec, s[6:7]
	s_cbranch_execz .LBB30_1434
.LBB30_3484:
	v_mov_b32_e32 v10, 0
	v_cmp_ne_u16_sdwa s[8:9], v6, v10 src0_sel:BYTE_3 src1_sel:DWORD
	s_andn2_b64 s[4:5], s[4:5], exec
	s_and_b64 s[8:9], s[8:9], exec
	s_or_b64 s[4:5], s[4:5], s[8:9]
	s_or_b64 exec, exec, s[6:7]
	s_and_saveexec_b64 s[6:7], s[4:5]
	s_cbranch_execnz .LBB30_1435
	s_branch .LBB30_1436
.LBB30_3485:
	s_movk_i32 s4, 0x80
	v_cmp_eq_u16_sdwa s[12:13], v2, s4 src0_sel:BYTE_3 src1_sel:DWORD
	s_mov_b64 s[4:5], -1
                                        ; implicit-def: $sgpr10
	s_and_saveexec_b64 s[8:9], s[12:13]
; %bb.3486:
	s_mov_b32 s10, 0x7f800001
	s_xor_b64 s[4:5], exec, -1
; %bb.3487:
	s_or_b64 exec, exec, s[8:9]
	s_and_b64 s[4:5], s[4:5], exec
	s_or_saveexec_b64 s[6:7], s[6:7]
	v_mov_b32_e32 v6, s10
	s_xor_b64 exec, exec, s[6:7]
	s_cbranch_execz .LBB30_1438
.LBB30_3488:
	v_mov_b32_e32 v6, 0
	v_cmp_ne_u16_sdwa s[8:9], v2, v6 src0_sel:BYTE_3 src1_sel:DWORD
	s_andn2_b64 s[4:5], s[4:5], exec
	s_and_b64 s[8:9], s[8:9], exec
	s_or_b64 s[4:5], s[4:5], s[8:9]
	s_or_b64 exec, exec, s[6:7]
	s_and_saveexec_b64 s[6:7], s[4:5]
	s_cbranch_execnz .LBB30_1439
	s_branch .LBB30_1440
.LBB30_3489:
	s_movk_i32 s4, 0x80
	v_cmp_eq_u16_sdwa s[12:13], v7, s4 src0_sel:BYTE_0 src1_sel:DWORD
	s_mov_b64 s[4:5], -1
                                        ; implicit-def: $sgpr10
	s_and_saveexec_b64 s[8:9], s[12:13]
; %bb.3490:
	s_mov_b32 s10, 0x7f800001
	s_xor_b64 s[4:5], exec, -1
; %bb.3491:
	s_or_b64 exec, exec, s[8:9]
	s_and_b64 s[4:5], s[4:5], exec
	s_or_saveexec_b64 s[6:7], s[6:7]
	v_mov_b32_e32 v2, s10
	s_xor_b64 exec, exec, s[6:7]
	s_cbranch_execz .LBB30_1442
.LBB30_3492:
	v_mov_b32_e32 v2, 0
	v_cmp_ne_u16_sdwa s[8:9], v7, v2 src0_sel:BYTE_0 src1_sel:DWORD
	s_andn2_b64 s[4:5], s[4:5], exec
	s_and_b64 s[8:9], s[8:9], exec
	s_or_b64 s[4:5], s[4:5], s[8:9]
	s_or_b64 exec, exec, s[6:7]
	s_and_saveexec_b64 s[6:7], s[4:5]
	s_cbranch_execnz .LBB30_1443
	s_branch .LBB30_1444
.LBB30_3493:
	s_movk_i32 s4, 0x80
	v_cmp_eq_u16_sdwa s[12:13], v3, s4 src0_sel:BYTE_0 src1_sel:DWORD
	s_mov_b64 s[4:5], -1
                                        ; implicit-def: $sgpr10
	s_and_saveexec_b64 s[8:9], s[12:13]
; %bb.3494:
	s_mov_b32 s10, 0x7f800001
	s_xor_b64 s[4:5], exec, -1
; %bb.3495:
	s_or_b64 exec, exec, s[8:9]
	s_and_b64 s[4:5], s[4:5], exec
	s_or_saveexec_b64 s[6:7], s[6:7]
	v_mov_b32_e32 v6, s10
	s_xor_b64 exec, exec, s[6:7]
	s_cbranch_execz .LBB30_1446
.LBB30_3496:
	v_mov_b32_e32 v6, 0
	v_cmp_ne_u16_sdwa s[8:9], v3, v6 src0_sel:BYTE_0 src1_sel:DWORD
	s_andn2_b64 s[4:5], s[4:5], exec
	s_and_b64 s[8:9], s[8:9], exec
	s_or_b64 s[4:5], s[4:5], s[8:9]
	s_or_b64 exec, exec, s[6:7]
	s_and_saveexec_b64 s[6:7], s[4:5]
	s_cbranch_execnz .LBB30_1447
	s_branch .LBB30_1448
.LBB30_3497:
	s_movk_i32 s4, 0x80
	v_cmp_eq_u16_sdwa s[12:13], v6, s4 src0_sel:BYTE_0 src1_sel:DWORD
	s_mov_b64 s[4:5], -1
                                        ; implicit-def: $sgpr10
	s_and_saveexec_b64 s[8:9], s[12:13]
; %bb.3498:
	s_mov_b32 s10, 0x7f800001
	s_xor_b64 s[4:5], exec, -1
; %bb.3499:
	s_or_b64 exec, exec, s[8:9]
	s_and_b64 s[4:5], s[4:5], exec
	s_or_saveexec_b64 s[6:7], s[6:7]
	v_mov_b32_e32 v2, s10
	s_xor_b64 exec, exec, s[6:7]
	s_cbranch_execz .LBB30_1450
.LBB30_3500:
	v_mov_b32_e32 v2, 0
	v_cmp_ne_u16_sdwa s[8:9], v6, v2 src0_sel:BYTE_0 src1_sel:DWORD
	s_andn2_b64 s[4:5], s[4:5], exec
	s_and_b64 s[8:9], s[8:9], exec
	s_or_b64 s[4:5], s[4:5], s[8:9]
	s_or_b64 exec, exec, s[6:7]
	s_and_saveexec_b64 s[6:7], s[4:5]
	s_cbranch_execnz .LBB30_1451
	s_branch .LBB30_1452
.LBB30_3501:
	s_movk_i32 s4, 0x80
	v_cmp_eq_u16_sdwa s[12:13], v6, s4 src0_sel:BYTE_0 src1_sel:DWORD
	s_mov_b64 s[4:5], -1
                                        ; implicit-def: $sgpr10
	s_and_saveexec_b64 s[8:9], s[12:13]
; %bb.3502:
	s_mov_b32 s10, 0x7f800001
	s_xor_b64 s[4:5], exec, -1
; %bb.3503:
	s_or_b64 exec, exec, s[8:9]
	s_and_b64 s[4:5], s[4:5], exec
	s_or_saveexec_b64 s[6:7], s[6:7]
	v_mov_b32_e32 v10, s10
	s_xor_b64 exec, exec, s[6:7]
	s_cbranch_execz .LBB30_1454
.LBB30_3504:
	v_mov_b32_e32 v10, 0
	v_cmp_ne_u16_sdwa s[8:9], v6, v10 src0_sel:BYTE_0 src1_sel:DWORD
	s_andn2_b64 s[4:5], s[4:5], exec
	s_and_b64 s[8:9], s[8:9], exec
	s_or_b64 s[4:5], s[4:5], s[8:9]
	s_or_b64 exec, exec, s[6:7]
	s_and_saveexec_b64 s[6:7], s[4:5]
	s_cbranch_execnz .LBB30_1455
	s_branch .LBB30_1456
.LBB30_3505:
	s_movk_i32 s4, 0x80
	v_cmp_eq_u16_e32 vcc, s4, v6
	s_mov_b64 s[4:5], -1
                                        ; implicit-def: $sgpr10
	s_and_saveexec_b64 s[8:9], vcc
; %bb.3506:
	s_mov_b32 s10, 0x7f800001
	s_xor_b64 s[4:5], exec, -1
; %bb.3507:
	s_or_b64 exec, exec, s[8:9]
	s_and_b64 s[4:5], s[4:5], exec
                                        ; implicit-def: $vgpr6
	s_or_saveexec_b64 s[6:7], s[6:7]
	v_mov_b32_e32 v2, s10
	s_xor_b64 exec, exec, s[6:7]
	s_cbranch_execz .LBB30_1458
.LBB30_3508:
	v_cmp_ne_u16_e32 vcc, 0, v6
	s_andn2_b64 s[4:5], s[4:5], exec
	s_and_b64 s[8:9], vcc, exec
	v_mov_b32_e32 v2, 0
	s_or_b64 s[4:5], s[4:5], s[8:9]
	s_or_b64 exec, exec, s[6:7]
	s_and_saveexec_b64 s[6:7], s[4:5]
	s_cbranch_execnz .LBB30_1459
	s_branch .LBB30_1460
.LBB30_3509:
	s_movk_i32 s4, 0x80
	v_cmp_eq_u16_e32 vcc, s4, v6
	s_mov_b64 s[4:5], -1
                                        ; implicit-def: $sgpr10
	s_and_saveexec_b64 s[8:9], vcc
; %bb.3510:
	s_mov_b32 s10, 0x7f800001
	s_xor_b64 s[4:5], exec, -1
; %bb.3511:
	s_or_b64 exec, exec, s[8:9]
	s_and_b64 s[4:5], s[4:5], exec
                                        ; implicit-def: $vgpr6
	s_or_saveexec_b64 s[6:7], s[6:7]
	v_mov_b32_e32 v10, s10
	s_xor_b64 exec, exec, s[6:7]
	s_cbranch_execz .LBB30_1462
.LBB30_3512:
	v_cmp_ne_u16_e32 vcc, 0, v6
	s_andn2_b64 s[4:5], s[4:5], exec
	s_and_b64 s[8:9], vcc, exec
	v_mov_b32_e32 v10, 0
	s_or_b64 s[4:5], s[4:5], s[8:9]
	s_or_b64 exec, exec, s[6:7]
	s_and_saveexec_b64 s[6:7], s[4:5]
	s_cbranch_execnz .LBB30_1463
	s_branch .LBB30_1464
.LBB30_3513:
	s_movk_i32 s4, 0x80
	v_cmp_eq_u16_sdwa s[12:13], v7, s4 src0_sel:BYTE_3 src1_sel:DWORD
	s_mov_b64 s[4:5], -1
                                        ; implicit-def: $sgpr10
	s_and_saveexec_b64 s[8:9], s[12:13]
; %bb.3514:
	s_mov_b32 s10, 0x7f800001
	s_xor_b64 s[4:5], exec, -1
; %bb.3515:
	s_or_b64 exec, exec, s[8:9]
	s_and_b64 s[4:5], s[4:5], exec
	s_or_saveexec_b64 s[6:7], s[6:7]
	v_mov_b32_e32 v2, s10
	s_xor_b64 exec, exec, s[6:7]
	s_cbranch_execz .LBB30_1466
.LBB30_3516:
	v_mov_b32_e32 v2, 0
	v_cmp_ne_u16_sdwa s[8:9], v7, v2 src0_sel:BYTE_3 src1_sel:DWORD
	s_andn2_b64 s[4:5], s[4:5], exec
	s_and_b64 s[8:9], s[8:9], exec
	s_or_b64 s[4:5], s[4:5], s[8:9]
	s_or_b64 exec, exec, s[6:7]
	s_and_saveexec_b64 s[6:7], s[4:5]
	s_cbranch_execnz .LBB30_1467
	s_branch .LBB30_1468
.LBB30_3517:
	s_movk_i32 s4, 0x80
	v_cmp_eq_u16_sdwa s[12:13], v3, s4 src0_sel:BYTE_3 src1_sel:DWORD
	s_mov_b64 s[4:5], -1
                                        ; implicit-def: $sgpr10
	s_and_saveexec_b64 s[8:9], s[12:13]
; %bb.3518:
	s_mov_b32 s10, 0x7f800001
	s_xor_b64 s[4:5], exec, -1
; %bb.3519:
	s_or_b64 exec, exec, s[8:9]
	s_and_b64 s[4:5], s[4:5], exec
	s_or_saveexec_b64 s[6:7], s[6:7]
	v_mov_b32_e32 v6, s10
	s_xor_b64 exec, exec, s[6:7]
	s_cbranch_execz .LBB30_1470
.LBB30_3520:
	v_mov_b32_e32 v6, 0
	v_cmp_ne_u16_sdwa s[8:9], v3, v6 src0_sel:BYTE_3 src1_sel:DWORD
	s_andn2_b64 s[4:5], s[4:5], exec
	s_and_b64 s[8:9], s[8:9], exec
	s_or_b64 s[4:5], s[4:5], s[8:9]
	s_or_b64 exec, exec, s[6:7]
	s_and_saveexec_b64 s[6:7], s[4:5]
	s_cbranch_execnz .LBB30_1471
	s_branch .LBB30_1472
.LBB30_3521:
	s_movk_i32 s4, 0x80
	v_cmp_eq_u16_sdwa s[12:13], v8, s4 src0_sel:BYTE_0 src1_sel:DWORD
	s_mov_b64 s[4:5], -1
                                        ; implicit-def: $sgpr10
	s_and_saveexec_b64 s[8:9], s[12:13]
; %bb.3522:
	s_mov_b32 s10, 0x7f800001
	s_xor_b64 s[4:5], exec, -1
; %bb.3523:
	s_or_b64 exec, exec, s[8:9]
	s_and_b64 s[4:5], s[4:5], exec
	s_or_saveexec_b64 s[6:7], s[6:7]
	v_mov_b32_e32 v2, s10
	s_xor_b64 exec, exec, s[6:7]
	s_cbranch_execz .LBB30_1474
.LBB30_3524:
	v_mov_b32_e32 v2, 0
	v_cmp_ne_u16_sdwa s[8:9], v8, v2 src0_sel:BYTE_0 src1_sel:DWORD
	s_andn2_b64 s[4:5], s[4:5], exec
	s_and_b64 s[8:9], s[8:9], exec
	s_or_b64 s[4:5], s[4:5], s[8:9]
	s_or_b64 exec, exec, s[6:7]
	s_and_saveexec_b64 s[6:7], s[4:5]
	s_cbranch_execnz .LBB30_1475
	s_branch .LBB30_1476
.LBB30_3525:
	s_movk_i32 s4, 0x80
	v_cmp_eq_u16_sdwa s[12:13], v4, s4 src0_sel:BYTE_0 src1_sel:DWORD
	s_mov_b64 s[4:5], -1
                                        ; implicit-def: $sgpr10
	s_and_saveexec_b64 s[8:9], s[12:13]
; %bb.3526:
	s_mov_b32 s10, 0x7f800001
	s_xor_b64 s[4:5], exec, -1
; %bb.3527:
	s_or_b64 exec, exec, s[8:9]
	s_and_b64 s[4:5], s[4:5], exec
	s_or_saveexec_b64 s[6:7], s[6:7]
	v_mov_b32_e32 v3, s10
	s_xor_b64 exec, exec, s[6:7]
	s_cbranch_execz .LBB30_1478
.LBB30_3528:
	v_mov_b32_e32 v3, 0
	v_cmp_ne_u16_sdwa s[8:9], v4, v3 src0_sel:BYTE_0 src1_sel:DWORD
	s_andn2_b64 s[4:5], s[4:5], exec
	s_and_b64 s[8:9], s[8:9], exec
	s_or_b64 s[4:5], s[4:5], s[8:9]
	s_or_b64 exec, exec, s[6:7]
	s_and_saveexec_b64 s[6:7], s[4:5]
	s_cbranch_execnz .LBB30_1479
	s_branch .LBB30_1480
.LBB30_3529:
	s_movk_i32 s4, 0x80
	v_cmp_eq_u16_sdwa s[12:13], v3, s4 src0_sel:BYTE_0 src1_sel:DWORD
	s_mov_b64 s[4:5], -1
                                        ; implicit-def: $sgpr10
	s_and_saveexec_b64 s[8:9], s[12:13]
; %bb.3530:
	s_mov_b32 s10, 0x7f800001
	s_xor_b64 s[4:5], exec, -1
; %bb.3531:
	s_or_b64 exec, exec, s[8:9]
	s_and_b64 s[4:5], s[4:5], exec
	s_or_saveexec_b64 s[6:7], s[6:7]
	v_mov_b32_e32 v2, s10
	s_xor_b64 exec, exec, s[6:7]
	s_cbranch_execz .LBB30_1482
.LBB30_3532:
	v_mov_b32_e32 v2, 0
	v_cmp_ne_u16_sdwa s[8:9], v3, v2 src0_sel:BYTE_0 src1_sel:DWORD
	s_andn2_b64 s[4:5], s[4:5], exec
	s_and_b64 s[8:9], s[8:9], exec
	s_or_b64 s[4:5], s[4:5], s[8:9]
	s_or_b64 exec, exec, s[6:7]
	s_and_saveexec_b64 s[6:7], s[4:5]
	s_cbranch_execnz .LBB30_1483
	s_branch .LBB30_1484
.LBB30_3533:
	s_movk_i32 s4, 0x80
	v_cmp_eq_u16_sdwa s[12:13], v3, s4 src0_sel:BYTE_0 src1_sel:DWORD
	s_mov_b64 s[4:5], -1
                                        ; implicit-def: $sgpr10
	s_and_saveexec_b64 s[8:9], s[12:13]
; %bb.3534:
	s_mov_b32 s10, 0x7f800001
	s_xor_b64 s[4:5], exec, -1
; %bb.3535:
	s_or_b64 exec, exec, s[8:9]
	s_and_b64 s[4:5], s[4:5], exec
	s_or_saveexec_b64 s[6:7], s[6:7]
	v_mov_b32_e32 v6, s10
	s_xor_b64 exec, exec, s[6:7]
	s_cbranch_execz .LBB30_1486
.LBB30_3536:
	v_mov_b32_e32 v6, 0
	v_cmp_ne_u16_sdwa s[8:9], v3, v6 src0_sel:BYTE_0 src1_sel:DWORD
	s_andn2_b64 s[4:5], s[4:5], exec
	s_and_b64 s[8:9], s[8:9], exec
	s_or_b64 s[4:5], s[4:5], s[8:9]
	s_or_b64 exec, exec, s[6:7]
	s_and_saveexec_b64 s[6:7], s[4:5]
	s_cbranch_execnz .LBB30_1487
	s_branch .LBB30_1488
.LBB30_3537:
	s_movk_i32 s4, 0x80
	v_cmp_eq_u16_e32 vcc, s4, v3
	s_mov_b64 s[4:5], -1
                                        ; implicit-def: $sgpr10
	s_and_saveexec_b64 s[8:9], vcc
; %bb.3538:
	s_mov_b32 s10, 0x7f800001
	s_xor_b64 s[4:5], exec, -1
; %bb.3539:
	s_or_b64 exec, exec, s[8:9]
	s_and_b64 s[4:5], s[4:5], exec
                                        ; implicit-def: $vgpr3
	s_or_saveexec_b64 s[6:7], s[6:7]
	v_mov_b32_e32 v2, s10
	s_xor_b64 exec, exec, s[6:7]
	s_cbranch_execz .LBB30_1490
.LBB30_3540:
	v_cmp_ne_u16_e32 vcc, 0, v3
	s_andn2_b64 s[4:5], s[4:5], exec
	s_and_b64 s[8:9], vcc, exec
	v_mov_b32_e32 v2, 0
	s_or_b64 s[4:5], s[4:5], s[8:9]
	s_or_b64 exec, exec, s[6:7]
	s_and_saveexec_b64 s[6:7], s[4:5]
	s_cbranch_execnz .LBB30_1491
	s_branch .LBB30_1492
.LBB30_3541:
	s_movk_i32 s4, 0x80
	v_cmp_eq_u16_e32 vcc, s4, v3
	s_mov_b64 s[4:5], -1
                                        ; implicit-def: $sgpr10
	s_and_saveexec_b64 s[8:9], vcc
; %bb.3542:
	s_mov_b32 s10, 0x7f800001
	s_xor_b64 s[4:5], exec, -1
; %bb.3543:
	s_or_b64 exec, exec, s[8:9]
	s_and_b64 s[4:5], s[4:5], exec
                                        ; implicit-def: $vgpr3
	s_or_saveexec_b64 s[6:7], s[6:7]
	v_mov_b32_e32 v6, s10
	s_xor_b64 exec, exec, s[6:7]
	s_cbranch_execz .LBB30_1494
.LBB30_3544:
	v_cmp_ne_u16_e32 vcc, 0, v3
	s_andn2_b64 s[4:5], s[4:5], exec
	s_and_b64 s[8:9], vcc, exec
	v_mov_b32_e32 v6, 0
	s_or_b64 s[4:5], s[4:5], s[8:9]
	s_or_b64 exec, exec, s[6:7]
	s_and_saveexec_b64 s[6:7], s[4:5]
	s_cbranch_execnz .LBB30_1495
	s_branch .LBB30_1496
.LBB30_3545:
	s_movk_i32 s4, 0x80
	v_cmp_eq_u16_sdwa s[12:13], v8, s4 src0_sel:BYTE_3 src1_sel:DWORD
	s_mov_b64 s[4:5], -1
                                        ; implicit-def: $sgpr10
	s_and_saveexec_b64 s[8:9], s[12:13]
; %bb.3546:
	s_mov_b32 s10, 0x7f800001
	s_xor_b64 s[4:5], exec, -1
; %bb.3547:
	s_or_b64 exec, exec, s[8:9]
	s_and_b64 s[4:5], s[4:5], exec
	s_or_saveexec_b64 s[6:7], s[6:7]
	v_mov_b32_e32 v2, s10
	s_xor_b64 exec, exec, s[6:7]
	s_cbranch_execz .LBB30_1498
.LBB30_3548:
	v_mov_b32_e32 v2, 0
	v_cmp_ne_u16_sdwa s[8:9], v8, v2 src0_sel:BYTE_3 src1_sel:DWORD
	s_andn2_b64 s[4:5], s[4:5], exec
	s_and_b64 s[8:9], s[8:9], exec
	s_or_b64 s[4:5], s[4:5], s[8:9]
	s_or_b64 exec, exec, s[6:7]
	s_and_saveexec_b64 s[6:7], s[4:5]
	s_cbranch_execnz .LBB30_1499
	s_branch .LBB30_1500
.LBB30_3549:
	s_movk_i32 s4, 0x80
	v_cmp_eq_u16_sdwa s[12:13], v4, s4 src0_sel:BYTE_3 src1_sel:DWORD
	s_mov_b64 s[4:5], -1
                                        ; implicit-def: $sgpr10
	s_and_saveexec_b64 s[8:9], s[12:13]
; %bb.3550:
	s_mov_b32 s10, 0x7f800001
	s_xor_b64 s[4:5], exec, -1
; %bb.3551:
	s_or_b64 exec, exec, s[8:9]
	s_and_b64 s[4:5], s[4:5], exec
	s_or_saveexec_b64 s[6:7], s[6:7]
	v_mov_b32_e32 v3, s10
	s_xor_b64 exec, exec, s[6:7]
	s_cbranch_execz .LBB30_1502
.LBB30_3552:
	v_mov_b32_e32 v3, 0
	v_cmp_ne_u16_sdwa s[8:9], v4, v3 src0_sel:BYTE_3 src1_sel:DWORD
	s_andn2_b64 s[4:5], s[4:5], exec
	s_and_b64 s[8:9], s[8:9], exec
	s_or_b64 s[4:5], s[4:5], s[8:9]
	s_or_b64 exec, exec, s[6:7]
	s_and_saveexec_b64 s[6:7], s[4:5]
	s_cbranch_execnz .LBB30_1503
	s_branch .LBB30_1504
.LBB30_3553:
	s_movk_i32 s4, 0x80
	v_cmp_eq_u16_sdwa s[12:13], v9, s4 src0_sel:BYTE_0 src1_sel:DWORD
	s_mov_b64 s[4:5], -1
                                        ; implicit-def: $sgpr10
	s_and_saveexec_b64 s[8:9], s[12:13]
; %bb.3554:
	s_mov_b32 s10, 0x7f800001
	s_xor_b64 s[4:5], exec, -1
; %bb.3555:
	s_or_b64 exec, exec, s[8:9]
	s_and_b64 s[4:5], s[4:5], exec
	s_or_saveexec_b64 s[6:7], s[6:7]
	v_mov_b32_e32 v2, s10
	s_xor_b64 exec, exec, s[6:7]
	s_cbranch_execz .LBB30_1506
.LBB30_3556:
	v_mov_b32_e32 v2, 0
	v_cmp_ne_u16_sdwa s[8:9], v9, v2 src0_sel:BYTE_0 src1_sel:DWORD
	s_andn2_b64 s[4:5], s[4:5], exec
	s_and_b64 s[8:9], s[8:9], exec
	s_or_b64 s[4:5], s[4:5], s[8:9]
	s_or_b64 exec, exec, s[6:7]
	s_and_saveexec_b64 s[6:7], s[4:5]
	s_cbranch_execnz .LBB30_1507
	s_branch .LBB30_1508
.LBB30_3557:
	s_movk_i32 s4, 0x80
	v_cmp_eq_u16_sdwa s[12:13], v5, s4 src0_sel:BYTE_0 src1_sel:DWORD
	s_mov_b64 s[4:5], -1
                                        ; implicit-def: $sgpr10
	s_and_saveexec_b64 s[8:9], s[12:13]
; %bb.3558:
	s_mov_b32 s10, 0x7f800001
	s_xor_b64 s[4:5], exec, -1
; %bb.3559:
	s_or_b64 exec, exec, s[8:9]
	s_and_b64 s[4:5], s[4:5], exec
	s_or_saveexec_b64 s[6:7], s[6:7]
	v_mov_b32_e32 v3, s10
	s_xor_b64 exec, exec, s[6:7]
	s_cbranch_execz .LBB30_1510
.LBB30_3560:
	v_mov_b32_e32 v3, 0
	v_cmp_ne_u16_sdwa s[8:9], v5, v3 src0_sel:BYTE_0 src1_sel:DWORD
	s_andn2_b64 s[4:5], s[4:5], exec
	s_and_b64 s[8:9], s[8:9], exec
	s_or_b64 s[4:5], s[4:5], s[8:9]
	s_or_b64 exec, exec, s[6:7]
	s_and_saveexec_b64 s[6:7], s[4:5]
	s_cbranch_execnz .LBB30_1511
	s_branch .LBB30_1512
.LBB30_3561:
	s_movk_i32 s4, 0x80
	v_cmp_eq_u16_sdwa s[12:13], v3, s4 src0_sel:BYTE_0 src1_sel:DWORD
	s_mov_b64 s[4:5], -1
                                        ; implicit-def: $sgpr10
	s_and_saveexec_b64 s[8:9], s[12:13]
; %bb.3562:
	s_mov_b32 s10, 0x7f800001
	s_xor_b64 s[4:5], exec, -1
; %bb.3563:
	s_or_b64 exec, exec, s[8:9]
	s_and_b64 s[4:5], s[4:5], exec
	s_or_saveexec_b64 s[6:7], s[6:7]
	v_mov_b32_e32 v2, s10
	s_xor_b64 exec, exec, s[6:7]
	s_cbranch_execz .LBB30_1514
.LBB30_3564:
	v_mov_b32_e32 v2, 0
	v_cmp_ne_u16_sdwa s[8:9], v3, v2 src0_sel:BYTE_0 src1_sel:DWORD
	s_andn2_b64 s[4:5], s[4:5], exec
	s_and_b64 s[8:9], s[8:9], exec
	s_or_b64 s[4:5], s[4:5], s[8:9]
	s_or_b64 exec, exec, s[6:7]
	s_and_saveexec_b64 s[6:7], s[4:5]
	s_cbranch_execnz .LBB30_1515
	s_branch .LBB30_1516
.LBB30_3565:
	s_movk_i32 s4, 0x80
	v_cmp_eq_u16_sdwa s[12:13], v3, s4 src0_sel:BYTE_0 src1_sel:DWORD
	s_mov_b64 s[4:5], -1
                                        ; implicit-def: $sgpr10
	s_and_saveexec_b64 s[8:9], s[12:13]
; %bb.3566:
	s_mov_b32 s10, 0x7f800001
	s_xor_b64 s[4:5], exec, -1
; %bb.3567:
	s_or_b64 exec, exec, s[8:9]
	s_and_b64 s[4:5], s[4:5], exec
	s_or_saveexec_b64 s[6:7], s[6:7]
	v_mov_b32_e32 v4, s10
	s_xor_b64 exec, exec, s[6:7]
	s_cbranch_execz .LBB30_1518
.LBB30_3568:
	v_mov_b32_e32 v4, 0
	v_cmp_ne_u16_sdwa s[8:9], v3, v4 src0_sel:BYTE_0 src1_sel:DWORD
	s_andn2_b64 s[4:5], s[4:5], exec
	s_and_b64 s[8:9], s[8:9], exec
	s_or_b64 s[4:5], s[4:5], s[8:9]
	s_or_b64 exec, exec, s[6:7]
	s_and_saveexec_b64 s[6:7], s[4:5]
	s_cbranch_execnz .LBB30_1519
	s_branch .LBB30_1520
.LBB30_3569:
	s_movk_i32 s4, 0x80
	v_cmp_eq_u16_e32 vcc, s4, v3
	s_mov_b64 s[4:5], -1
                                        ; implicit-def: $sgpr10
	s_and_saveexec_b64 s[8:9], vcc
; %bb.3570:
	s_mov_b32 s10, 0x7f800001
	s_xor_b64 s[4:5], exec, -1
; %bb.3571:
	s_or_b64 exec, exec, s[8:9]
	s_and_b64 s[4:5], s[4:5], exec
                                        ; implicit-def: $vgpr3
	s_or_saveexec_b64 s[6:7], s[6:7]
	v_mov_b32_e32 v2, s10
	s_xor_b64 exec, exec, s[6:7]
	s_cbranch_execz .LBB30_1522
.LBB30_3572:
	v_cmp_ne_u16_e32 vcc, 0, v3
	s_andn2_b64 s[4:5], s[4:5], exec
	s_and_b64 s[8:9], vcc, exec
	v_mov_b32_e32 v2, 0
	s_or_b64 s[4:5], s[4:5], s[8:9]
	s_or_b64 exec, exec, s[6:7]
	s_and_saveexec_b64 s[6:7], s[4:5]
	s_cbranch_execnz .LBB30_1523
	s_branch .LBB30_1524
.LBB30_3573:
	s_movk_i32 s4, 0x80
	v_cmp_eq_u16_e32 vcc, s4, v3
	s_mov_b64 s[4:5], -1
                                        ; implicit-def: $sgpr10
	s_and_saveexec_b64 s[8:9], vcc
; %bb.3574:
	s_mov_b32 s10, 0x7f800001
	s_xor_b64 s[4:5], exec, -1
; %bb.3575:
	s_or_b64 exec, exec, s[8:9]
	s_and_b64 s[4:5], s[4:5], exec
                                        ; implicit-def: $vgpr3
	s_or_saveexec_b64 s[6:7], s[6:7]
	v_mov_b32_e32 v4, s10
	s_xor_b64 exec, exec, s[6:7]
	s_cbranch_execz .LBB30_1526
.LBB30_3576:
	v_cmp_ne_u16_e32 vcc, 0, v3
	s_andn2_b64 s[4:5], s[4:5], exec
	s_and_b64 s[8:9], vcc, exec
	v_mov_b32_e32 v4, 0
	s_or_b64 s[4:5], s[4:5], s[8:9]
	s_or_b64 exec, exec, s[6:7]
	s_and_saveexec_b64 s[6:7], s[4:5]
	s_cbranch_execnz .LBB30_1527
	s_branch .LBB30_1528
.LBB30_3577:
	s_movk_i32 s4, 0x80
	v_cmp_eq_u16_sdwa s[12:13], v9, s4 src0_sel:BYTE_3 src1_sel:DWORD
	s_mov_b64 s[4:5], -1
                                        ; implicit-def: $sgpr10
	s_and_saveexec_b64 s[8:9], s[12:13]
; %bb.3578:
	s_mov_b32 s10, 0x7f800001
	s_xor_b64 s[4:5], exec, -1
; %bb.3579:
	s_or_b64 exec, exec, s[8:9]
	s_and_b64 s[4:5], s[4:5], exec
	s_or_saveexec_b64 s[6:7], s[6:7]
	v_mov_b32_e32 v2, s10
	s_xor_b64 exec, exec, s[6:7]
	s_cbranch_execz .LBB30_1530
.LBB30_3580:
	v_mov_b32_e32 v2, 0
	v_cmp_ne_u16_sdwa s[8:9], v9, v2 src0_sel:BYTE_3 src1_sel:DWORD
	s_andn2_b64 s[4:5], s[4:5], exec
	s_and_b64 s[8:9], s[8:9], exec
	s_or_b64 s[4:5], s[4:5], s[8:9]
	s_or_b64 exec, exec, s[6:7]
	s_and_saveexec_b64 s[6:7], s[4:5]
	s_cbranch_execnz .LBB30_1531
	s_branch .LBB30_1532
.LBB30_3581:
	s_movk_i32 s4, 0x80
	v_cmp_eq_u16_sdwa s[12:13], v5, s4 src0_sel:BYTE_3 src1_sel:DWORD
	s_mov_b64 s[4:5], -1
                                        ; implicit-def: $sgpr10
	s_and_saveexec_b64 s[8:9], s[12:13]
; %bb.3582:
	s_mov_b32 s10, 0x7f800001
	s_xor_b64 s[4:5], exec, -1
; %bb.3583:
	s_or_b64 exec, exec, s[8:9]
	s_and_b64 s[4:5], s[4:5], exec
	s_or_saveexec_b64 s[6:7], s[6:7]
	v_mov_b32_e32 v3, s10
	s_xor_b64 exec, exec, s[6:7]
	s_cbranch_execz .LBB30_1534
.LBB30_3584:
	v_mov_b32_e32 v3, 0
	v_cmp_ne_u16_sdwa s[8:9], v5, v3 src0_sel:BYTE_3 src1_sel:DWORD
	s_andn2_b64 s[4:5], s[4:5], exec
	s_and_b64 s[8:9], s[8:9], exec
	s_or_b64 s[4:5], s[4:5], s[8:9]
	s_or_b64 exec, exec, s[6:7]
	s_and_saveexec_b64 s[6:7], s[4:5]
	s_cbranch_execnz .LBB30_1535
	s_branch .LBB30_1536
.LBB30_3585:
	s_movk_i32 s4, 0x80
	v_cmp_eq_u16_sdwa s[12:13], v14, s4 src0_sel:BYTE_0 src1_sel:DWORD
	s_mov_b64 s[4:5], -1
                                        ; implicit-def: $sgpr10
	s_and_saveexec_b64 s[8:9], s[12:13]
; %bb.3586:
	s_mov_b32 s10, 0x7f800001
	s_xor_b64 s[4:5], exec, -1
; %bb.3587:
	s_or_b64 exec, exec, s[8:9]
	s_and_b64 s[4:5], s[4:5], exec
	s_or_saveexec_b64 s[6:7], s[6:7]
	v_mov_b32_e32 v20, s10
	s_xor_b64 exec, exec, s[6:7]
	s_cbranch_execz .LBB30_1538
.LBB30_3588:
	v_mov_b32_e32 v20, 0
	v_cmp_ne_u16_sdwa s[8:9], v14, v20 src0_sel:BYTE_0 src1_sel:DWORD
	s_andn2_b64 s[4:5], s[4:5], exec
	s_and_b64 s[8:9], s[8:9], exec
	s_or_b64 s[4:5], s[4:5], s[8:9]
	s_or_b64 exec, exec, s[6:7]
	s_and_saveexec_b64 s[6:7], s[4:5]
	s_cbranch_execnz .LBB30_1539
	s_branch .LBB30_1540
.LBB30_3589:
	s_movk_i32 s4, 0x80
	v_cmp_eq_u16_sdwa s[12:13], v10, s4 src0_sel:BYTE_0 src1_sel:DWORD
	s_mov_b64 s[4:5], -1
                                        ; implicit-def: $sgpr10
	s_and_saveexec_b64 s[8:9], s[12:13]
; %bb.3590:
	s_mov_b32 s10, 0x7f800001
	s_xor_b64 s[4:5], exec, -1
; %bb.3591:
	s_or_b64 exec, exec, s[8:9]
	s_and_b64 s[4:5], s[4:5], exec
	s_or_saveexec_b64 s[6:7], s[6:7]
	v_mov_b32_e32 v21, s10
	s_xor_b64 exec, exec, s[6:7]
	s_cbranch_execz .LBB30_1542
.LBB30_3592:
	v_mov_b32_e32 v21, 0
	v_cmp_ne_u16_sdwa s[8:9], v10, v21 src0_sel:BYTE_0 src1_sel:DWORD
	s_andn2_b64 s[4:5], s[4:5], exec
	s_and_b64 s[8:9], s[8:9], exec
	s_or_b64 s[4:5], s[4:5], s[8:9]
	s_or_b64 exec, exec, s[6:7]
	s_and_saveexec_b64 s[6:7], s[4:5]
	s_cbranch_execnz .LBB30_1543
	s_branch .LBB30_1544
.LBB30_3593:
	s_movk_i32 s4, 0x80
	v_cmp_eq_u16_sdwa s[12:13], v21, s4 src0_sel:BYTE_0 src1_sel:DWORD
	s_mov_b64 s[4:5], -1
                                        ; implicit-def: $sgpr10
	s_and_saveexec_b64 s[8:9], s[12:13]
; %bb.3594:
	s_mov_b32 s10, 0x7f800001
	s_xor_b64 s[4:5], exec, -1
; %bb.3595:
	s_or_b64 exec, exec, s[8:9]
	s_and_b64 s[4:5], s[4:5], exec
	s_or_saveexec_b64 s[6:7], s[6:7]
	v_mov_b32_e32 v20, s10
	s_xor_b64 exec, exec, s[6:7]
	s_cbranch_execz .LBB30_1546
.LBB30_3596:
	v_mov_b32_e32 v20, 0
	v_cmp_ne_u16_sdwa s[8:9], v21, v20 src0_sel:BYTE_0 src1_sel:DWORD
	s_andn2_b64 s[4:5], s[4:5], exec
	s_and_b64 s[8:9], s[8:9], exec
	s_or_b64 s[4:5], s[4:5], s[8:9]
	s_or_b64 exec, exec, s[6:7]
	s_and_saveexec_b64 s[6:7], s[4:5]
	s_cbranch_execnz .LBB30_1547
	s_branch .LBB30_1548
.LBB30_3597:
	s_movk_i32 s4, 0x80
	v_cmp_eq_u16_sdwa s[12:13], v21, s4 src0_sel:BYTE_0 src1_sel:DWORD
	s_mov_b64 s[4:5], -1
                                        ; implicit-def: $sgpr10
	s_and_saveexec_b64 s[8:9], s[12:13]
; %bb.3598:
	s_mov_b32 s10, 0x7f800001
	s_xor_b64 s[4:5], exec, -1
; %bb.3599:
	s_or_b64 exec, exec, s[8:9]
	s_and_b64 s[4:5], s[4:5], exec
	s_or_saveexec_b64 s[6:7], s[6:7]
	v_mov_b32_e32 v22, s10
	s_xor_b64 exec, exec, s[6:7]
	s_cbranch_execz .LBB30_1550
.LBB30_3600:
	v_mov_b32_e32 v22, 0
	v_cmp_ne_u16_sdwa s[8:9], v21, v22 src0_sel:BYTE_0 src1_sel:DWORD
	s_andn2_b64 s[4:5], s[4:5], exec
	s_and_b64 s[8:9], s[8:9], exec
	s_or_b64 s[4:5], s[4:5], s[8:9]
	s_or_b64 exec, exec, s[6:7]
	s_and_saveexec_b64 s[6:7], s[4:5]
	s_cbranch_execnz .LBB30_1551
	s_branch .LBB30_1552
.LBB30_3601:
	s_movk_i32 s4, 0x80
	v_cmp_eq_u16_e32 vcc, s4, v21
	s_mov_b64 s[4:5], -1
                                        ; implicit-def: $sgpr10
	s_and_saveexec_b64 s[8:9], vcc
; %bb.3602:
	s_mov_b32 s10, 0x7f800001
	s_xor_b64 s[4:5], exec, -1
; %bb.3603:
	s_or_b64 exec, exec, s[8:9]
	s_and_b64 s[4:5], s[4:5], exec
                                        ; implicit-def: $vgpr21
	s_or_saveexec_b64 s[6:7], s[6:7]
	v_mov_b32_e32 v20, s10
	s_xor_b64 exec, exec, s[6:7]
	s_cbranch_execz .LBB30_1554
.LBB30_3604:
	v_cmp_ne_u16_e32 vcc, 0, v21
	s_andn2_b64 s[4:5], s[4:5], exec
	s_and_b64 s[8:9], vcc, exec
	v_mov_b32_e32 v20, 0
	s_or_b64 s[4:5], s[4:5], s[8:9]
	s_or_b64 exec, exec, s[6:7]
	s_and_saveexec_b64 s[6:7], s[4:5]
	s_cbranch_execnz .LBB30_1555
	s_branch .LBB30_1556
.LBB30_3605:
	s_movk_i32 s4, 0x80
	v_cmp_eq_u16_e32 vcc, s4, v21
	s_mov_b64 s[4:5], -1
                                        ; implicit-def: $sgpr10
	s_and_saveexec_b64 s[8:9], vcc
; %bb.3606:
	s_mov_b32 s10, 0x7f800001
	s_xor_b64 s[4:5], exec, -1
; %bb.3607:
	s_or_b64 exec, exec, s[8:9]
	s_and_b64 s[4:5], s[4:5], exec
                                        ; implicit-def: $vgpr21
	s_or_saveexec_b64 s[6:7], s[6:7]
	v_mov_b32_e32 v22, s10
	s_xor_b64 exec, exec, s[6:7]
	s_cbranch_execz .LBB30_1558
.LBB30_3608:
	v_cmp_ne_u16_e32 vcc, 0, v21
	s_andn2_b64 s[4:5], s[4:5], exec
	s_and_b64 s[8:9], vcc, exec
	v_mov_b32_e32 v22, 0
	s_or_b64 s[4:5], s[4:5], s[8:9]
	s_or_b64 exec, exec, s[6:7]
	s_and_saveexec_b64 s[6:7], s[4:5]
	s_cbranch_execnz .LBB30_1559
	s_branch .LBB30_1560
.LBB30_3609:
	s_movk_i32 s4, 0x80
	v_cmp_eq_u16_sdwa s[12:13], v14, s4 src0_sel:BYTE_3 src1_sel:DWORD
	s_mov_b64 s[4:5], -1
                                        ; implicit-def: $sgpr10
	s_and_saveexec_b64 s[8:9], s[12:13]
; %bb.3610:
	s_mov_b32 s10, 0x7f800001
	s_xor_b64 s[4:5], exec, -1
; %bb.3611:
	s_or_b64 exec, exec, s[8:9]
	s_and_b64 s[4:5], s[4:5], exec
	s_or_saveexec_b64 s[6:7], s[6:7]
	v_mov_b32_e32 v20, s10
	s_xor_b64 exec, exec, s[6:7]
	s_cbranch_execz .LBB30_1562
.LBB30_3612:
	v_mov_b32_e32 v20, 0
	v_cmp_ne_u16_sdwa s[8:9], v14, v20 src0_sel:BYTE_3 src1_sel:DWORD
	s_andn2_b64 s[4:5], s[4:5], exec
	s_and_b64 s[8:9], s[8:9], exec
	s_or_b64 s[4:5], s[4:5], s[8:9]
	s_or_b64 exec, exec, s[6:7]
	s_and_saveexec_b64 s[6:7], s[4:5]
	s_cbranch_execnz .LBB30_1563
	s_branch .LBB30_1564
.LBB30_3613:
	s_movk_i32 s4, 0x80
	v_cmp_eq_u16_sdwa s[12:13], v10, s4 src0_sel:BYTE_3 src1_sel:DWORD
	s_mov_b64 s[4:5], -1
                                        ; implicit-def: $sgpr10
	s_and_saveexec_b64 s[8:9], s[12:13]
; %bb.3614:
	s_mov_b32 s10, 0x7f800001
	s_xor_b64 s[4:5], exec, -1
; %bb.3615:
	s_or_b64 exec, exec, s[8:9]
	s_and_b64 s[4:5], s[4:5], exec
	s_or_saveexec_b64 s[6:7], s[6:7]
	v_mov_b32_e32 v14, s10
	s_xor_b64 exec, exec, s[6:7]
	s_cbranch_execz .LBB30_1566
.LBB30_3616:
	v_mov_b32_e32 v14, 0
	v_cmp_ne_u16_sdwa s[8:9], v10, v14 src0_sel:BYTE_3 src1_sel:DWORD
	s_andn2_b64 s[4:5], s[4:5], exec
	s_and_b64 s[8:9], s[8:9], exec
	s_or_b64 s[4:5], s[4:5], s[8:9]
	s_or_b64 exec, exec, s[6:7]
	s_and_saveexec_b64 s[6:7], s[4:5]
	s_cbranch_execnz .LBB30_1567
	s_branch .LBB30_1568
.LBB30_3617:
	s_movk_i32 s4, 0x80
	v_cmp_eq_u16_sdwa s[12:13], v15, s4 src0_sel:BYTE_0 src1_sel:DWORD
	s_mov_b64 s[4:5], -1
                                        ; implicit-def: $sgpr10
	s_and_saveexec_b64 s[8:9], s[12:13]
; %bb.3618:
	s_mov_b32 s10, 0x7f800001
	s_xor_b64 s[4:5], exec, -1
; %bb.3619:
	s_or_b64 exec, exec, s[8:9]
	s_and_b64 s[4:5], s[4:5], exec
	s_or_saveexec_b64 s[6:7], s[6:7]
	v_mov_b32_e32 v10, s10
	s_xor_b64 exec, exec, s[6:7]
	s_cbranch_execz .LBB30_1570
.LBB30_3620:
	v_mov_b32_e32 v10, 0
	v_cmp_ne_u16_sdwa s[8:9], v15, v10 src0_sel:BYTE_0 src1_sel:DWORD
	s_andn2_b64 s[4:5], s[4:5], exec
	s_and_b64 s[8:9], s[8:9], exec
	s_or_b64 s[4:5], s[4:5], s[8:9]
	s_or_b64 exec, exec, s[6:7]
	s_and_saveexec_b64 s[6:7], s[4:5]
	s_cbranch_execnz .LBB30_1571
	s_branch .LBB30_1572
.LBB30_3621:
	s_movk_i32 s4, 0x80
	v_cmp_eq_u16_sdwa s[12:13], v11, s4 src0_sel:BYTE_0 src1_sel:DWORD
	s_mov_b64 s[4:5], -1
                                        ; implicit-def: $sgpr10
	s_and_saveexec_b64 s[8:9], s[12:13]
; %bb.3622:
	s_mov_b32 s10, 0x7f800001
	s_xor_b64 s[4:5], exec, -1
; %bb.3623:
	s_or_b64 exec, exec, s[8:9]
	s_and_b64 s[4:5], s[4:5], exec
	s_or_saveexec_b64 s[6:7], s[6:7]
	v_mov_b32_e32 v14, s10
	s_xor_b64 exec, exec, s[6:7]
	s_cbranch_execz .LBB30_1574
.LBB30_3624:
	v_mov_b32_e32 v14, 0
	v_cmp_ne_u16_sdwa s[8:9], v11, v14 src0_sel:BYTE_0 src1_sel:DWORD
	s_andn2_b64 s[4:5], s[4:5], exec
	s_and_b64 s[8:9], s[8:9], exec
	s_or_b64 s[4:5], s[4:5], s[8:9]
	s_or_b64 exec, exec, s[6:7]
	s_and_saveexec_b64 s[6:7], s[4:5]
	s_cbranch_execnz .LBB30_1575
	s_branch .LBB30_1576
.LBB30_3625:
	s_movk_i32 s4, 0x80
	v_cmp_eq_u16_sdwa s[12:13], v14, s4 src0_sel:BYTE_0 src1_sel:DWORD
	s_mov_b64 s[4:5], -1
                                        ; implicit-def: $sgpr10
	s_and_saveexec_b64 s[8:9], s[12:13]
; %bb.3626:
	s_mov_b32 s10, 0x7f800001
	s_xor_b64 s[4:5], exec, -1
; %bb.3627:
	s_or_b64 exec, exec, s[8:9]
	s_and_b64 s[4:5], s[4:5], exec
	s_or_saveexec_b64 s[6:7], s[6:7]
	v_mov_b32_e32 v10, s10
	s_xor_b64 exec, exec, s[6:7]
	s_cbranch_execz .LBB30_1578
.LBB30_3628:
	v_mov_b32_e32 v10, 0
	v_cmp_ne_u16_sdwa s[8:9], v14, v10 src0_sel:BYTE_0 src1_sel:DWORD
	s_andn2_b64 s[4:5], s[4:5], exec
	s_and_b64 s[8:9], s[8:9], exec
	s_or_b64 s[4:5], s[4:5], s[8:9]
	s_or_b64 exec, exec, s[6:7]
	s_and_saveexec_b64 s[6:7], s[4:5]
	s_cbranch_execnz .LBB30_1579
	s_branch .LBB30_1580
.LBB30_3629:
	s_movk_i32 s4, 0x80
	v_cmp_eq_u16_sdwa s[12:13], v14, s4 src0_sel:BYTE_0 src1_sel:DWORD
	s_mov_b64 s[4:5], -1
                                        ; implicit-def: $sgpr10
	s_and_saveexec_b64 s[8:9], s[12:13]
; %bb.3630:
	s_mov_b32 s10, 0x7f800001
	s_xor_b64 s[4:5], exec, -1
; %bb.3631:
	s_or_b64 exec, exec, s[8:9]
	s_and_b64 s[4:5], s[4:5], exec
	s_or_saveexec_b64 s[6:7], s[6:7]
	v_mov_b32_e32 v20, s10
	s_xor_b64 exec, exec, s[6:7]
	s_cbranch_execz .LBB30_1582
.LBB30_3632:
	v_mov_b32_e32 v20, 0
	v_cmp_ne_u16_sdwa s[8:9], v14, v20 src0_sel:BYTE_0 src1_sel:DWORD
	s_andn2_b64 s[4:5], s[4:5], exec
	s_and_b64 s[8:9], s[8:9], exec
	s_or_b64 s[4:5], s[4:5], s[8:9]
	s_or_b64 exec, exec, s[6:7]
	s_and_saveexec_b64 s[6:7], s[4:5]
	s_cbranch_execnz .LBB30_1583
	s_branch .LBB30_1584
.LBB30_3633:
	s_movk_i32 s4, 0x80
	v_cmp_eq_u16_e32 vcc, s4, v14
	s_mov_b64 s[4:5], -1
                                        ; implicit-def: $sgpr10
	s_and_saveexec_b64 s[8:9], vcc
; %bb.3634:
	s_mov_b32 s10, 0x7f800001
	s_xor_b64 s[4:5], exec, -1
; %bb.3635:
	s_or_b64 exec, exec, s[8:9]
	s_and_b64 s[4:5], s[4:5], exec
                                        ; implicit-def: $vgpr14
	s_or_saveexec_b64 s[6:7], s[6:7]
	v_mov_b32_e32 v10, s10
	s_xor_b64 exec, exec, s[6:7]
	s_cbranch_execz .LBB30_1586
.LBB30_3636:
	v_cmp_ne_u16_e32 vcc, 0, v14
	s_andn2_b64 s[4:5], s[4:5], exec
	s_and_b64 s[8:9], vcc, exec
	v_mov_b32_e32 v10, 0
	s_or_b64 s[4:5], s[4:5], s[8:9]
	s_or_b64 exec, exec, s[6:7]
	s_and_saveexec_b64 s[6:7], s[4:5]
	s_cbranch_execnz .LBB30_1587
	s_branch .LBB30_1588
.LBB30_3637:
	s_movk_i32 s4, 0x80
	v_cmp_eq_u16_e32 vcc, s4, v14
	s_mov_b64 s[4:5], -1
                                        ; implicit-def: $sgpr10
	s_and_saveexec_b64 s[8:9], vcc
; %bb.3638:
	s_mov_b32 s10, 0x7f800001
	s_xor_b64 s[4:5], exec, -1
; %bb.3639:
	s_or_b64 exec, exec, s[8:9]
	s_and_b64 s[4:5], s[4:5], exec
                                        ; implicit-def: $vgpr14
	s_or_saveexec_b64 s[6:7], s[6:7]
	v_mov_b32_e32 v20, s10
	s_xor_b64 exec, exec, s[6:7]
	s_cbranch_execz .LBB30_1590
.LBB30_3640:
	v_cmp_ne_u16_e32 vcc, 0, v14
	s_andn2_b64 s[4:5], s[4:5], exec
	s_and_b64 s[8:9], vcc, exec
	v_mov_b32_e32 v20, 0
	s_or_b64 s[4:5], s[4:5], s[8:9]
	s_or_b64 exec, exec, s[6:7]
	s_and_saveexec_b64 s[6:7], s[4:5]
	s_cbranch_execnz .LBB30_1591
	s_branch .LBB30_1592
.LBB30_3641:
	s_movk_i32 s4, 0x80
	v_cmp_eq_u16_sdwa s[12:13], v15, s4 src0_sel:BYTE_3 src1_sel:DWORD
	s_mov_b64 s[4:5], -1
                                        ; implicit-def: $sgpr10
	s_and_saveexec_b64 s[8:9], s[12:13]
; %bb.3642:
	s_mov_b32 s10, 0x7f800001
	s_xor_b64 s[4:5], exec, -1
; %bb.3643:
	s_or_b64 exec, exec, s[8:9]
	s_and_b64 s[4:5], s[4:5], exec
	s_or_saveexec_b64 s[6:7], s[6:7]
	v_mov_b32_e32 v10, s10
	s_xor_b64 exec, exec, s[6:7]
	s_cbranch_execz .LBB30_1594
.LBB30_3644:
	v_mov_b32_e32 v10, 0
	v_cmp_ne_u16_sdwa s[8:9], v15, v10 src0_sel:BYTE_3 src1_sel:DWORD
	s_andn2_b64 s[4:5], s[4:5], exec
	s_and_b64 s[8:9], s[8:9], exec
	s_or_b64 s[4:5], s[4:5], s[8:9]
	s_or_b64 exec, exec, s[6:7]
	s_and_saveexec_b64 s[6:7], s[4:5]
	s_cbranch_execnz .LBB30_1595
	s_branch .LBB30_1596
.LBB30_3645:
	s_movk_i32 s4, 0x80
	v_cmp_eq_u16_sdwa s[12:13], v11, s4 src0_sel:BYTE_3 src1_sel:DWORD
	s_mov_b64 s[4:5], -1
                                        ; implicit-def: $sgpr10
	s_and_saveexec_b64 s[8:9], s[12:13]
; %bb.3646:
	s_mov_b32 s10, 0x7f800001
	s_xor_b64 s[4:5], exec, -1
; %bb.3647:
	s_or_b64 exec, exec, s[8:9]
	s_and_b64 s[4:5], s[4:5], exec
	s_or_saveexec_b64 s[6:7], s[6:7]
	v_mov_b32_e32 v14, s10
	s_xor_b64 exec, exec, s[6:7]
	s_cbranch_execz .LBB30_1598
.LBB30_3648:
	v_mov_b32_e32 v14, 0
	v_cmp_ne_u16_sdwa s[8:9], v11, v14 src0_sel:BYTE_3 src1_sel:DWORD
	s_andn2_b64 s[4:5], s[4:5], exec
	s_and_b64 s[8:9], s[8:9], exec
	s_or_b64 s[4:5], s[4:5], s[8:9]
	s_or_b64 exec, exec, s[6:7]
	s_and_saveexec_b64 s[6:7], s[4:5]
	s_cbranch_execnz .LBB30_1599
	s_branch .LBB30_1600
.LBB30_3649:
	s_movk_i32 s4, 0x80
	v_cmp_eq_u16_sdwa s[12:13], v16, s4 src0_sel:BYTE_0 src1_sel:DWORD
	s_mov_b64 s[4:5], -1
                                        ; implicit-def: $sgpr10
	s_and_saveexec_b64 s[8:9], s[12:13]
; %bb.3650:
	s_mov_b32 s10, 0x7f800001
	s_xor_b64 s[4:5], exec, -1
; %bb.3651:
	s_or_b64 exec, exec, s[8:9]
	s_and_b64 s[4:5], s[4:5], exec
	s_or_saveexec_b64 s[6:7], s[6:7]
	v_mov_b32_e32 v10, s10
	s_xor_b64 exec, exec, s[6:7]
	s_cbranch_execz .LBB30_1602
.LBB30_3652:
	v_mov_b32_e32 v10, 0
	v_cmp_ne_u16_sdwa s[8:9], v16, v10 src0_sel:BYTE_0 src1_sel:DWORD
	s_andn2_b64 s[4:5], s[4:5], exec
	s_and_b64 s[8:9], s[8:9], exec
	s_or_b64 s[4:5], s[4:5], s[8:9]
	s_or_b64 exec, exec, s[6:7]
	s_and_saveexec_b64 s[6:7], s[4:5]
	s_cbranch_execnz .LBB30_1603
	s_branch .LBB30_1604
.LBB30_3653:
	s_movk_i32 s4, 0x80
	v_cmp_eq_u16_sdwa s[12:13], v12, s4 src0_sel:BYTE_0 src1_sel:DWORD
	s_mov_b64 s[4:5], -1
                                        ; implicit-def: $sgpr10
	s_and_saveexec_b64 s[8:9], s[12:13]
; %bb.3654:
	s_mov_b32 s10, 0x7f800001
	s_xor_b64 s[4:5], exec, -1
; %bb.3655:
	s_or_b64 exec, exec, s[8:9]
	s_and_b64 s[4:5], s[4:5], exec
	s_or_saveexec_b64 s[6:7], s[6:7]
	v_mov_b32_e32 v11, s10
	s_xor_b64 exec, exec, s[6:7]
	s_cbranch_execz .LBB30_1606
.LBB30_3656:
	v_mov_b32_e32 v11, 0
	v_cmp_ne_u16_sdwa s[8:9], v12, v11 src0_sel:BYTE_0 src1_sel:DWORD
	s_andn2_b64 s[4:5], s[4:5], exec
	s_and_b64 s[8:9], s[8:9], exec
	s_or_b64 s[4:5], s[4:5], s[8:9]
	s_or_b64 exec, exec, s[6:7]
	s_and_saveexec_b64 s[6:7], s[4:5]
	s_cbranch_execnz .LBB30_1607
	s_branch .LBB30_1608
.LBB30_3657:
	s_movk_i32 s4, 0x80
	v_cmp_eq_u16_sdwa s[12:13], v11, s4 src0_sel:BYTE_0 src1_sel:DWORD
	s_mov_b64 s[4:5], -1
                                        ; implicit-def: $sgpr10
	s_and_saveexec_b64 s[8:9], s[12:13]
; %bb.3658:
	s_mov_b32 s10, 0x7f800001
	s_xor_b64 s[4:5], exec, -1
; %bb.3659:
	s_or_b64 exec, exec, s[8:9]
	s_and_b64 s[4:5], s[4:5], exec
	s_or_saveexec_b64 s[6:7], s[6:7]
	v_mov_b32_e32 v10, s10
	s_xor_b64 exec, exec, s[6:7]
	s_cbranch_execz .LBB30_1610
.LBB30_3660:
	v_mov_b32_e32 v10, 0
	v_cmp_ne_u16_sdwa s[8:9], v11, v10 src0_sel:BYTE_0 src1_sel:DWORD
	s_andn2_b64 s[4:5], s[4:5], exec
	s_and_b64 s[8:9], s[8:9], exec
	s_or_b64 s[4:5], s[4:5], s[8:9]
	s_or_b64 exec, exec, s[6:7]
	s_and_saveexec_b64 s[6:7], s[4:5]
	s_cbranch_execnz .LBB30_1611
	s_branch .LBB30_1612
.LBB30_3661:
	s_movk_i32 s4, 0x80
	v_cmp_eq_u16_sdwa s[12:13], v11, s4 src0_sel:BYTE_0 src1_sel:DWORD
	s_mov_b64 s[4:5], -1
                                        ; implicit-def: $sgpr10
	s_and_saveexec_b64 s[8:9], s[12:13]
; %bb.3662:
	s_mov_b32 s10, 0x7f800001
	s_xor_b64 s[4:5], exec, -1
; %bb.3663:
	s_or_b64 exec, exec, s[8:9]
	s_and_b64 s[4:5], s[4:5], exec
	s_or_saveexec_b64 s[6:7], s[6:7]
	v_mov_b32_e32 v14, s10
	s_xor_b64 exec, exec, s[6:7]
	s_cbranch_execz .LBB30_1614
.LBB30_3664:
	v_mov_b32_e32 v14, 0
	v_cmp_ne_u16_sdwa s[8:9], v11, v14 src0_sel:BYTE_0 src1_sel:DWORD
	s_andn2_b64 s[4:5], s[4:5], exec
	s_and_b64 s[8:9], s[8:9], exec
	s_or_b64 s[4:5], s[4:5], s[8:9]
	s_or_b64 exec, exec, s[6:7]
	s_and_saveexec_b64 s[6:7], s[4:5]
	s_cbranch_execnz .LBB30_1615
	s_branch .LBB30_1616
.LBB30_3665:
	s_movk_i32 s4, 0x80
	v_cmp_eq_u16_e32 vcc, s4, v11
	s_mov_b64 s[4:5], -1
                                        ; implicit-def: $sgpr10
	s_and_saveexec_b64 s[8:9], vcc
; %bb.3666:
	s_mov_b32 s10, 0x7f800001
	s_xor_b64 s[4:5], exec, -1
; %bb.3667:
	s_or_b64 exec, exec, s[8:9]
	s_and_b64 s[4:5], s[4:5], exec
                                        ; implicit-def: $vgpr11
	s_or_saveexec_b64 s[6:7], s[6:7]
	v_mov_b32_e32 v10, s10
	s_xor_b64 exec, exec, s[6:7]
	s_cbranch_execz .LBB30_1618
.LBB30_3668:
	v_cmp_ne_u16_e32 vcc, 0, v11
	s_andn2_b64 s[4:5], s[4:5], exec
	s_and_b64 s[8:9], vcc, exec
	v_mov_b32_e32 v10, 0
	s_or_b64 s[4:5], s[4:5], s[8:9]
	s_or_b64 exec, exec, s[6:7]
	s_and_saveexec_b64 s[6:7], s[4:5]
	s_cbranch_execnz .LBB30_1619
	s_branch .LBB30_1620
.LBB30_3669:
	s_movk_i32 s4, 0x80
	v_cmp_eq_u16_e32 vcc, s4, v11
	s_mov_b64 s[4:5], -1
                                        ; implicit-def: $sgpr10
	s_and_saveexec_b64 s[8:9], vcc
; %bb.3670:
	s_mov_b32 s10, 0x7f800001
	s_xor_b64 s[4:5], exec, -1
; %bb.3671:
	s_or_b64 exec, exec, s[8:9]
	s_and_b64 s[4:5], s[4:5], exec
                                        ; implicit-def: $vgpr11
	s_or_saveexec_b64 s[6:7], s[6:7]
	v_mov_b32_e32 v14, s10
	s_xor_b64 exec, exec, s[6:7]
	s_cbranch_execz .LBB30_1622
.LBB30_3672:
	v_cmp_ne_u16_e32 vcc, 0, v11
	s_andn2_b64 s[4:5], s[4:5], exec
	s_and_b64 s[8:9], vcc, exec
	v_mov_b32_e32 v14, 0
	s_or_b64 s[4:5], s[4:5], s[8:9]
	s_or_b64 exec, exec, s[6:7]
	s_and_saveexec_b64 s[6:7], s[4:5]
	s_cbranch_execnz .LBB30_1623
	s_branch .LBB30_1624
.LBB30_3673:
	s_movk_i32 s4, 0x80
	v_cmp_eq_u16_sdwa s[12:13], v16, s4 src0_sel:BYTE_3 src1_sel:DWORD
	s_mov_b64 s[4:5], -1
                                        ; implicit-def: $sgpr10
	s_and_saveexec_b64 s[8:9], s[12:13]
; %bb.3674:
	s_mov_b32 s10, 0x7f800001
	s_xor_b64 s[4:5], exec, -1
; %bb.3675:
	s_or_b64 exec, exec, s[8:9]
	s_and_b64 s[4:5], s[4:5], exec
	s_or_saveexec_b64 s[6:7], s[6:7]
	v_mov_b32_e32 v10, s10
	s_xor_b64 exec, exec, s[6:7]
	s_cbranch_execz .LBB30_1626
.LBB30_3676:
	v_mov_b32_e32 v10, 0
	v_cmp_ne_u16_sdwa s[8:9], v16, v10 src0_sel:BYTE_3 src1_sel:DWORD
	s_andn2_b64 s[4:5], s[4:5], exec
	s_and_b64 s[8:9], s[8:9], exec
	s_or_b64 s[4:5], s[4:5], s[8:9]
	s_or_b64 exec, exec, s[6:7]
	s_and_saveexec_b64 s[6:7], s[4:5]
	s_cbranch_execnz .LBB30_1627
	s_branch .LBB30_1628
.LBB30_3677:
	s_movk_i32 s4, 0x80
	v_cmp_eq_u16_sdwa s[12:13], v12, s4 src0_sel:BYTE_3 src1_sel:DWORD
	s_mov_b64 s[4:5], -1
                                        ; implicit-def: $sgpr10
	s_and_saveexec_b64 s[8:9], s[12:13]
; %bb.3678:
	s_mov_b32 s10, 0x7f800001
	s_xor_b64 s[4:5], exec, -1
; %bb.3679:
	s_or_b64 exec, exec, s[8:9]
	s_and_b64 s[4:5], s[4:5], exec
	s_or_saveexec_b64 s[6:7], s[6:7]
	v_mov_b32_e32 v11, s10
	s_xor_b64 exec, exec, s[6:7]
	s_cbranch_execz .LBB30_1630
.LBB30_3680:
	v_mov_b32_e32 v11, 0
	v_cmp_ne_u16_sdwa s[8:9], v12, v11 src0_sel:BYTE_3 src1_sel:DWORD
	s_andn2_b64 s[4:5], s[4:5], exec
	s_and_b64 s[8:9], s[8:9], exec
	s_or_b64 s[4:5], s[4:5], s[8:9]
	s_or_b64 exec, exec, s[6:7]
	s_and_saveexec_b64 s[6:7], s[4:5]
	s_cbranch_execnz .LBB30_1631
	s_branch .LBB30_1632
.LBB30_3681:
	s_movk_i32 s4, 0x80
	v_cmp_eq_u16_sdwa s[12:13], v17, s4 src0_sel:BYTE_0 src1_sel:DWORD
	s_mov_b64 s[4:5], -1
                                        ; implicit-def: $sgpr10
	s_and_saveexec_b64 s[8:9], s[12:13]
; %bb.3682:
	s_mov_b32 s10, 0x7f800001
	s_xor_b64 s[4:5], exec, -1
; %bb.3683:
	s_or_b64 exec, exec, s[8:9]
	s_and_b64 s[4:5], s[4:5], exec
	s_or_saveexec_b64 s[6:7], s[6:7]
	v_mov_b32_e32 v10, s10
	s_xor_b64 exec, exec, s[6:7]
	s_cbranch_execz .LBB30_1634
.LBB30_3684:
	v_mov_b32_e32 v10, 0
	v_cmp_ne_u16_sdwa s[8:9], v17, v10 src0_sel:BYTE_0 src1_sel:DWORD
	s_andn2_b64 s[4:5], s[4:5], exec
	s_and_b64 s[8:9], s[8:9], exec
	s_or_b64 s[4:5], s[4:5], s[8:9]
	s_or_b64 exec, exec, s[6:7]
	s_and_saveexec_b64 s[6:7], s[4:5]
	s_cbranch_execnz .LBB30_1635
	s_branch .LBB30_1636
.LBB30_3685:
	s_movk_i32 s4, 0x80
	v_cmp_eq_u16_sdwa s[12:13], v13, s4 src0_sel:BYTE_0 src1_sel:DWORD
	s_mov_b64 s[4:5], -1
                                        ; implicit-def: $sgpr10
	s_and_saveexec_b64 s[8:9], s[12:13]
; %bb.3686:
	s_mov_b32 s10, 0x7f800001
	s_xor_b64 s[4:5], exec, -1
; %bb.3687:
	s_or_b64 exec, exec, s[8:9]
	s_and_b64 s[4:5], s[4:5], exec
	s_or_saveexec_b64 s[6:7], s[6:7]
	v_mov_b32_e32 v11, s10
	s_xor_b64 exec, exec, s[6:7]
	s_cbranch_execz .LBB30_1638
.LBB30_3688:
	v_mov_b32_e32 v11, 0
	v_cmp_ne_u16_sdwa s[8:9], v13, v11 src0_sel:BYTE_0 src1_sel:DWORD
	s_andn2_b64 s[4:5], s[4:5], exec
	s_and_b64 s[8:9], s[8:9], exec
	s_or_b64 s[4:5], s[4:5], s[8:9]
	s_or_b64 exec, exec, s[6:7]
	s_and_saveexec_b64 s[6:7], s[4:5]
	s_cbranch_execnz .LBB30_1639
	s_branch .LBB30_1640
.LBB30_3689:
	s_movk_i32 s4, 0x80
	v_cmp_eq_u16_sdwa s[12:13], v11, s4 src0_sel:BYTE_0 src1_sel:DWORD
	s_mov_b64 s[4:5], -1
                                        ; implicit-def: $sgpr10
	s_and_saveexec_b64 s[8:9], s[12:13]
; %bb.3690:
	s_mov_b32 s10, 0x7f800001
	s_xor_b64 s[4:5], exec, -1
; %bb.3691:
	s_or_b64 exec, exec, s[8:9]
	s_and_b64 s[4:5], s[4:5], exec
	s_or_saveexec_b64 s[6:7], s[6:7]
	v_mov_b32_e32 v10, s10
	s_xor_b64 exec, exec, s[6:7]
	s_cbranch_execz .LBB30_1642
.LBB30_3692:
	v_mov_b32_e32 v10, 0
	v_cmp_ne_u16_sdwa s[8:9], v11, v10 src0_sel:BYTE_0 src1_sel:DWORD
	s_andn2_b64 s[4:5], s[4:5], exec
	s_and_b64 s[8:9], s[8:9], exec
	s_or_b64 s[4:5], s[4:5], s[8:9]
	s_or_b64 exec, exec, s[6:7]
	s_and_saveexec_b64 s[6:7], s[4:5]
	s_cbranch_execnz .LBB30_1643
	s_branch .LBB30_1644
.LBB30_3693:
	s_movk_i32 s4, 0x80
	v_cmp_eq_u16_sdwa s[12:13], v11, s4 src0_sel:BYTE_0 src1_sel:DWORD
	s_mov_b64 s[4:5], -1
                                        ; implicit-def: $sgpr10
	s_and_saveexec_b64 s[8:9], s[12:13]
; %bb.3694:
	s_mov_b32 s10, 0x7f800001
	s_xor_b64 s[4:5], exec, -1
; %bb.3695:
	s_or_b64 exec, exec, s[8:9]
	s_and_b64 s[4:5], s[4:5], exec
	s_or_saveexec_b64 s[6:7], s[6:7]
	v_mov_b32_e32 v12, s10
	s_xor_b64 exec, exec, s[6:7]
	s_cbranch_execz .LBB30_1646
.LBB30_3696:
	v_mov_b32_e32 v12, 0
	v_cmp_ne_u16_sdwa s[8:9], v11, v12 src0_sel:BYTE_0 src1_sel:DWORD
	s_andn2_b64 s[4:5], s[4:5], exec
	s_and_b64 s[8:9], s[8:9], exec
	s_or_b64 s[4:5], s[4:5], s[8:9]
	s_or_b64 exec, exec, s[6:7]
	s_and_saveexec_b64 s[6:7], s[4:5]
	s_cbranch_execnz .LBB30_1647
	s_branch .LBB30_1648
.LBB30_3697:
	s_movk_i32 s4, 0x80
	v_cmp_eq_u16_e32 vcc, s4, v11
	s_mov_b64 s[4:5], -1
                                        ; implicit-def: $sgpr10
	s_and_saveexec_b64 s[8:9], vcc
; %bb.3698:
	s_mov_b32 s10, 0x7f800001
	s_xor_b64 s[4:5], exec, -1
; %bb.3699:
	s_or_b64 exec, exec, s[8:9]
	s_and_b64 s[4:5], s[4:5], exec
                                        ; implicit-def: $vgpr11
	s_or_saveexec_b64 s[6:7], s[6:7]
	v_mov_b32_e32 v10, s10
	s_xor_b64 exec, exec, s[6:7]
	s_cbranch_execz .LBB30_1650
.LBB30_3700:
	v_cmp_ne_u16_e32 vcc, 0, v11
	s_andn2_b64 s[4:5], s[4:5], exec
	s_and_b64 s[8:9], vcc, exec
	v_mov_b32_e32 v10, 0
	s_or_b64 s[4:5], s[4:5], s[8:9]
	s_or_b64 exec, exec, s[6:7]
	s_and_saveexec_b64 s[6:7], s[4:5]
	s_cbranch_execnz .LBB30_1651
	s_branch .LBB30_1652
.LBB30_3701:
	s_movk_i32 s4, 0x80
	v_cmp_eq_u16_e32 vcc, s4, v11
	s_mov_b64 s[4:5], -1
                                        ; implicit-def: $sgpr10
	s_and_saveexec_b64 s[8:9], vcc
; %bb.3702:
	s_mov_b32 s10, 0x7f800001
	s_xor_b64 s[4:5], exec, -1
; %bb.3703:
	s_or_b64 exec, exec, s[8:9]
	s_and_b64 s[4:5], s[4:5], exec
                                        ; implicit-def: $vgpr11
	s_or_saveexec_b64 s[6:7], s[6:7]
	v_mov_b32_e32 v12, s10
	s_xor_b64 exec, exec, s[6:7]
	s_cbranch_execz .LBB30_1654
.LBB30_3704:
	v_cmp_ne_u16_e32 vcc, 0, v11
	s_andn2_b64 s[4:5], s[4:5], exec
	s_and_b64 s[8:9], vcc, exec
	v_mov_b32_e32 v12, 0
	s_or_b64 s[4:5], s[4:5], s[8:9]
	s_or_b64 exec, exec, s[6:7]
	s_and_saveexec_b64 s[6:7], s[4:5]
	s_cbranch_execnz .LBB30_1655
	s_branch .LBB30_1656
.LBB30_3705:
	s_movk_i32 s4, 0x80
	v_cmp_eq_u16_sdwa s[12:13], v17, s4 src0_sel:BYTE_3 src1_sel:DWORD
	s_mov_b64 s[4:5], -1
                                        ; implicit-def: $sgpr10
	s_and_saveexec_b64 s[8:9], s[12:13]
; %bb.3706:
	s_mov_b32 s10, 0x7f800001
	s_xor_b64 s[4:5], exec, -1
; %bb.3707:
	s_or_b64 exec, exec, s[8:9]
	s_and_b64 s[4:5], s[4:5], exec
	s_or_saveexec_b64 s[6:7], s[6:7]
	v_mov_b32_e32 v10, s10
	s_xor_b64 exec, exec, s[6:7]
	s_cbranch_execz .LBB30_1658
.LBB30_3708:
	v_mov_b32_e32 v10, 0
	v_cmp_ne_u16_sdwa s[8:9], v17, v10 src0_sel:BYTE_3 src1_sel:DWORD
	s_andn2_b64 s[4:5], s[4:5], exec
	s_and_b64 s[8:9], s[8:9], exec
	s_or_b64 s[4:5], s[4:5], s[8:9]
	s_or_b64 exec, exec, s[6:7]
	s_and_saveexec_b64 s[6:7], s[4:5]
	s_cbranch_execnz .LBB30_1659
	s_branch .LBB30_1660
.LBB30_3709:
	s_movk_i32 s4, 0x80
	v_cmp_eq_u16_sdwa s[12:13], v13, s4 src0_sel:BYTE_3 src1_sel:DWORD
	s_mov_b64 s[4:5], -1
                                        ; implicit-def: $sgpr10
	s_and_saveexec_b64 s[8:9], s[12:13]
; %bb.3710:
	s_mov_b32 s10, 0x7f800001
	s_xor_b64 s[4:5], exec, -1
; %bb.3711:
	s_or_b64 exec, exec, s[8:9]
	s_and_b64 s[4:5], s[4:5], exec
	s_or_saveexec_b64 s[6:7], s[6:7]
	v_mov_b32_e32 v11, s10
	s_xor_b64 exec, exec, s[6:7]
	s_cbranch_execz .LBB30_1662
.LBB30_3712:
	v_mov_b32_e32 v11, 0
	v_cmp_ne_u16_sdwa s[8:9], v13, v11 src0_sel:BYTE_3 src1_sel:DWORD
	s_andn2_b64 s[4:5], s[4:5], exec
	s_and_b64 s[8:9], s[8:9], exec
	s_or_b64 s[4:5], s[4:5], s[8:9]
	s_or_b64 exec, exec, s[6:7]
	s_and_saveexec_b64 s[6:7], s[4:5]
	s_cbranch_execnz .LBB30_1663
	s_branch .LBB30_1664
.LBB30_3713:
	s_movk_i32 s4, 0x80
	v_cmp_eq_u16_sdwa s[12:13], v6, s4 src0_sel:BYTE_0 src1_sel:DWORD
	s_mov_b64 s[4:5], -1
                                        ; implicit-def: $sgpr10
	s_and_saveexec_b64 s[8:9], s[12:13]
; %bb.3714:
	s_mov_b32 s10, 0x7f800001
	s_xor_b64 s[4:5], exec, -1
; %bb.3715:
	s_or_b64 exec, exec, s[8:9]
	s_and_b64 s[4:5], s[4:5], exec
	s_or_saveexec_b64 s[6:7], s[6:7]
	v_mov_b32_e32 v10, s10
	s_xor_b64 exec, exec, s[6:7]
	s_cbranch_execz .LBB30_1666
.LBB30_3716:
	v_mov_b32_e32 v10, 0
	v_cmp_ne_u16_sdwa s[8:9], v6, v10 src0_sel:BYTE_0 src1_sel:DWORD
	s_andn2_b64 s[4:5], s[4:5], exec
	s_and_b64 s[8:9], s[8:9], exec
	s_or_b64 s[4:5], s[4:5], s[8:9]
	s_or_b64 exec, exec, s[6:7]
	s_and_saveexec_b64 s[6:7], s[4:5]
	s_cbranch_execnz .LBB30_1667
	s_branch .LBB30_1668
.LBB30_3717:
	s_movk_i32 s4, 0x80
	v_cmp_eq_u16_sdwa s[12:13], v2, s4 src0_sel:BYTE_0 src1_sel:DWORD
	s_mov_b64 s[4:5], -1
                                        ; implicit-def: $sgpr10
	s_and_saveexec_b64 s[8:9], s[12:13]
; %bb.3718:
	s_mov_b32 s10, 0x7f800001
	s_xor_b64 s[4:5], exec, -1
; %bb.3719:
	s_or_b64 exec, exec, s[8:9]
	s_and_b64 s[4:5], s[4:5], exec
	s_or_saveexec_b64 s[6:7], s[6:7]
	v_mov_b32_e32 v11, s10
	s_xor_b64 exec, exec, s[6:7]
	s_cbranch_execz .LBB30_1670
.LBB30_3720:
	v_mov_b32_e32 v11, 0
	v_cmp_ne_u16_sdwa s[8:9], v2, v11 src0_sel:BYTE_0 src1_sel:DWORD
	s_andn2_b64 s[4:5], s[4:5], exec
	s_and_b64 s[8:9], s[8:9], exec
	s_or_b64 s[4:5], s[4:5], s[8:9]
	s_or_b64 exec, exec, s[6:7]
	s_and_saveexec_b64 s[6:7], s[4:5]
	s_cbranch_execnz .LBB30_1671
	s_branch .LBB30_1672
.LBB30_3721:
	s_movk_i32 s4, 0x80
	v_cmp_eq_u16_sdwa s[12:13], v11, s4 src0_sel:BYTE_0 src1_sel:DWORD
	s_mov_b64 s[4:5], -1
                                        ; implicit-def: $sgpr10
	s_and_saveexec_b64 s[8:9], s[12:13]
; %bb.3722:
	s_mov_b32 s10, 0x7f800001
	s_xor_b64 s[4:5], exec, -1
; %bb.3723:
	s_or_b64 exec, exec, s[8:9]
	s_and_b64 s[4:5], s[4:5], exec
	s_or_saveexec_b64 s[6:7], s[6:7]
	v_mov_b32_e32 v10, s10
	s_xor_b64 exec, exec, s[6:7]
	s_cbranch_execz .LBB30_1674
.LBB30_3724:
	v_mov_b32_e32 v10, 0
	v_cmp_ne_u16_sdwa s[8:9], v11, v10 src0_sel:BYTE_0 src1_sel:DWORD
	s_andn2_b64 s[4:5], s[4:5], exec
	s_and_b64 s[8:9], s[8:9], exec
	s_or_b64 s[4:5], s[4:5], s[8:9]
	s_or_b64 exec, exec, s[6:7]
	s_and_saveexec_b64 s[6:7], s[4:5]
	s_cbranch_execnz .LBB30_1675
	s_branch .LBB30_1676
.LBB30_3725:
	s_movk_i32 s4, 0x80
	v_cmp_eq_u16_sdwa s[12:13], v11, s4 src0_sel:BYTE_0 src1_sel:DWORD
	s_mov_b64 s[4:5], -1
                                        ; implicit-def: $sgpr10
	s_and_saveexec_b64 s[8:9], s[12:13]
; %bb.3726:
	s_mov_b32 s10, 0x7f800001
	s_xor_b64 s[4:5], exec, -1
; %bb.3727:
	s_or_b64 exec, exec, s[8:9]
	s_and_b64 s[4:5], s[4:5], exec
	s_or_saveexec_b64 s[6:7], s[6:7]
	v_mov_b32_e32 v12, s10
	s_xor_b64 exec, exec, s[6:7]
	s_cbranch_execz .LBB30_1678
.LBB30_3728:
	v_mov_b32_e32 v12, 0
	v_cmp_ne_u16_sdwa s[8:9], v11, v12 src0_sel:BYTE_0 src1_sel:DWORD
	s_andn2_b64 s[4:5], s[4:5], exec
	s_and_b64 s[8:9], s[8:9], exec
	s_or_b64 s[4:5], s[4:5], s[8:9]
	s_or_b64 exec, exec, s[6:7]
	s_and_saveexec_b64 s[6:7], s[4:5]
	s_cbranch_execnz .LBB30_1679
	s_branch .LBB30_1680
.LBB30_3729:
	s_movk_i32 s4, 0x80
	v_cmp_eq_u16_e32 vcc, s4, v11
	s_mov_b64 s[4:5], -1
                                        ; implicit-def: $sgpr10
	s_and_saveexec_b64 s[8:9], vcc
; %bb.3730:
	s_mov_b32 s10, 0x7f800001
	s_xor_b64 s[4:5], exec, -1
; %bb.3731:
	s_or_b64 exec, exec, s[8:9]
	s_and_b64 s[4:5], s[4:5], exec
                                        ; implicit-def: $vgpr11
	s_or_saveexec_b64 s[6:7], s[6:7]
	v_mov_b32_e32 v10, s10
	s_xor_b64 exec, exec, s[6:7]
	s_cbranch_execz .LBB30_1682
.LBB30_3732:
	v_cmp_ne_u16_e32 vcc, 0, v11
	s_andn2_b64 s[4:5], s[4:5], exec
	s_and_b64 s[8:9], vcc, exec
	v_mov_b32_e32 v10, 0
	s_or_b64 s[4:5], s[4:5], s[8:9]
	s_or_b64 exec, exec, s[6:7]
	s_and_saveexec_b64 s[6:7], s[4:5]
	s_cbranch_execnz .LBB30_1683
	s_branch .LBB30_1684
.LBB30_3733:
	s_movk_i32 s4, 0x80
	v_cmp_eq_u16_e32 vcc, s4, v11
	s_mov_b64 s[4:5], -1
                                        ; implicit-def: $sgpr10
	s_and_saveexec_b64 s[8:9], vcc
; %bb.3734:
	s_mov_b32 s10, 0x7f800001
	s_xor_b64 s[4:5], exec, -1
; %bb.3735:
	s_or_b64 exec, exec, s[8:9]
	s_and_b64 s[4:5], s[4:5], exec
                                        ; implicit-def: $vgpr11
	s_or_saveexec_b64 s[6:7], s[6:7]
	v_mov_b32_e32 v12, s10
	s_xor_b64 exec, exec, s[6:7]
	s_cbranch_execz .LBB30_1686
.LBB30_3736:
	v_cmp_ne_u16_e32 vcc, 0, v11
	s_andn2_b64 s[4:5], s[4:5], exec
	s_and_b64 s[8:9], vcc, exec
	v_mov_b32_e32 v12, 0
	s_or_b64 s[4:5], s[4:5], s[8:9]
	s_or_b64 exec, exec, s[6:7]
	s_and_saveexec_b64 s[6:7], s[4:5]
	s_cbranch_execnz .LBB30_1687
	s_branch .LBB30_1688
.LBB30_3737:
	s_movk_i32 s4, 0x80
	v_cmp_eq_u16_sdwa s[12:13], v6, s4 src0_sel:BYTE_3 src1_sel:DWORD
	s_mov_b64 s[4:5], -1
                                        ; implicit-def: $sgpr10
	s_and_saveexec_b64 s[8:9], s[12:13]
; %bb.3738:
	s_mov_b32 s10, 0x7f800001
	s_xor_b64 s[4:5], exec, -1
; %bb.3739:
	s_or_b64 exec, exec, s[8:9]
	s_and_b64 s[4:5], s[4:5], exec
	s_or_saveexec_b64 s[6:7], s[6:7]
	v_mov_b32_e32 v10, s10
	s_xor_b64 exec, exec, s[6:7]
	s_cbranch_execz .LBB30_1690
.LBB30_3740:
	v_mov_b32_e32 v10, 0
	v_cmp_ne_u16_sdwa s[8:9], v6, v10 src0_sel:BYTE_3 src1_sel:DWORD
	s_andn2_b64 s[4:5], s[4:5], exec
	s_and_b64 s[8:9], s[8:9], exec
	s_or_b64 s[4:5], s[4:5], s[8:9]
	s_or_b64 exec, exec, s[6:7]
	s_and_saveexec_b64 s[6:7], s[4:5]
	s_cbranch_execnz .LBB30_1691
	s_branch .LBB30_1692
.LBB30_3741:
	s_movk_i32 s4, 0x80
	v_cmp_eq_u16_sdwa s[12:13], v2, s4 src0_sel:BYTE_3 src1_sel:DWORD
	s_mov_b64 s[4:5], -1
                                        ; implicit-def: $sgpr10
	s_and_saveexec_b64 s[8:9], s[12:13]
; %bb.3742:
	s_mov_b32 s10, 0x7f800001
	s_xor_b64 s[4:5], exec, -1
; %bb.3743:
	s_or_b64 exec, exec, s[8:9]
	s_and_b64 s[4:5], s[4:5], exec
	s_or_saveexec_b64 s[6:7], s[6:7]
	v_mov_b32_e32 v6, s10
	s_xor_b64 exec, exec, s[6:7]
	s_cbranch_execz .LBB30_1694
.LBB30_3744:
	v_mov_b32_e32 v6, 0
	v_cmp_ne_u16_sdwa s[8:9], v2, v6 src0_sel:BYTE_3 src1_sel:DWORD
	s_andn2_b64 s[4:5], s[4:5], exec
	s_and_b64 s[8:9], s[8:9], exec
	s_or_b64 s[4:5], s[4:5], s[8:9]
	s_or_b64 exec, exec, s[6:7]
	s_and_saveexec_b64 s[6:7], s[4:5]
	s_cbranch_execnz .LBB30_1695
	s_branch .LBB30_1696
.LBB30_3745:
	s_movk_i32 s4, 0x80
	v_cmp_eq_u16_sdwa s[12:13], v7, s4 src0_sel:BYTE_0 src1_sel:DWORD
	s_mov_b64 s[4:5], -1
                                        ; implicit-def: $sgpr10
	s_and_saveexec_b64 s[8:9], s[12:13]
; %bb.3746:
	s_mov_b32 s10, 0x7f800001
	s_xor_b64 s[4:5], exec, -1
; %bb.3747:
	s_or_b64 exec, exec, s[8:9]
	s_and_b64 s[4:5], s[4:5], exec
	s_or_saveexec_b64 s[6:7], s[6:7]
	v_mov_b32_e32 v2, s10
	s_xor_b64 exec, exec, s[6:7]
	s_cbranch_execz .LBB30_1698
.LBB30_3748:
	v_mov_b32_e32 v2, 0
	v_cmp_ne_u16_sdwa s[8:9], v7, v2 src0_sel:BYTE_0 src1_sel:DWORD
	s_andn2_b64 s[4:5], s[4:5], exec
	s_and_b64 s[8:9], s[8:9], exec
	s_or_b64 s[4:5], s[4:5], s[8:9]
	s_or_b64 exec, exec, s[6:7]
	s_and_saveexec_b64 s[6:7], s[4:5]
	s_cbranch_execnz .LBB30_1699
	s_branch .LBB30_1700
.LBB30_3749:
	s_movk_i32 s4, 0x80
	v_cmp_eq_u16_sdwa s[12:13], v3, s4 src0_sel:BYTE_0 src1_sel:DWORD
	s_mov_b64 s[4:5], -1
                                        ; implicit-def: $sgpr10
	s_and_saveexec_b64 s[8:9], s[12:13]
; %bb.3750:
	s_mov_b32 s10, 0x7f800001
	s_xor_b64 s[4:5], exec, -1
; %bb.3751:
	s_or_b64 exec, exec, s[8:9]
	s_and_b64 s[4:5], s[4:5], exec
	s_or_saveexec_b64 s[6:7], s[6:7]
	v_mov_b32_e32 v6, s10
	s_xor_b64 exec, exec, s[6:7]
	s_cbranch_execz .LBB30_1702
.LBB30_3752:
	v_mov_b32_e32 v6, 0
	v_cmp_ne_u16_sdwa s[8:9], v3, v6 src0_sel:BYTE_0 src1_sel:DWORD
	s_andn2_b64 s[4:5], s[4:5], exec
	s_and_b64 s[8:9], s[8:9], exec
	s_or_b64 s[4:5], s[4:5], s[8:9]
	s_or_b64 exec, exec, s[6:7]
	s_and_saveexec_b64 s[6:7], s[4:5]
	s_cbranch_execnz .LBB30_1703
	s_branch .LBB30_1704
.LBB30_3753:
	s_movk_i32 s4, 0x80
	v_cmp_eq_u16_sdwa s[12:13], v6, s4 src0_sel:BYTE_0 src1_sel:DWORD
	s_mov_b64 s[4:5], -1
                                        ; implicit-def: $sgpr10
	s_and_saveexec_b64 s[8:9], s[12:13]
; %bb.3754:
	s_mov_b32 s10, 0x7f800001
	s_xor_b64 s[4:5], exec, -1
; %bb.3755:
	s_or_b64 exec, exec, s[8:9]
	s_and_b64 s[4:5], s[4:5], exec
	s_or_saveexec_b64 s[6:7], s[6:7]
	v_mov_b32_e32 v2, s10
	s_xor_b64 exec, exec, s[6:7]
	s_cbranch_execz .LBB30_1706
.LBB30_3756:
	v_mov_b32_e32 v2, 0
	v_cmp_ne_u16_sdwa s[8:9], v6, v2 src0_sel:BYTE_0 src1_sel:DWORD
	s_andn2_b64 s[4:5], s[4:5], exec
	s_and_b64 s[8:9], s[8:9], exec
	s_or_b64 s[4:5], s[4:5], s[8:9]
	s_or_b64 exec, exec, s[6:7]
	s_and_saveexec_b64 s[6:7], s[4:5]
	s_cbranch_execnz .LBB30_1707
	s_branch .LBB30_1708
.LBB30_3757:
	s_movk_i32 s4, 0x80
	v_cmp_eq_u16_sdwa s[12:13], v6, s4 src0_sel:BYTE_0 src1_sel:DWORD
	s_mov_b64 s[4:5], -1
                                        ; implicit-def: $sgpr10
	s_and_saveexec_b64 s[8:9], s[12:13]
; %bb.3758:
	s_mov_b32 s10, 0x7f800001
	s_xor_b64 s[4:5], exec, -1
; %bb.3759:
	s_or_b64 exec, exec, s[8:9]
	s_and_b64 s[4:5], s[4:5], exec
	s_or_saveexec_b64 s[6:7], s[6:7]
	v_mov_b32_e32 v10, s10
	s_xor_b64 exec, exec, s[6:7]
	s_cbranch_execz .LBB30_1710
.LBB30_3760:
	v_mov_b32_e32 v10, 0
	v_cmp_ne_u16_sdwa s[8:9], v6, v10 src0_sel:BYTE_0 src1_sel:DWORD
	s_andn2_b64 s[4:5], s[4:5], exec
	s_and_b64 s[8:9], s[8:9], exec
	s_or_b64 s[4:5], s[4:5], s[8:9]
	s_or_b64 exec, exec, s[6:7]
	s_and_saveexec_b64 s[6:7], s[4:5]
	s_cbranch_execnz .LBB30_1711
	s_branch .LBB30_1712
.LBB30_3761:
	s_movk_i32 s4, 0x80
	v_cmp_eq_u16_e32 vcc, s4, v6
	s_mov_b64 s[4:5], -1
                                        ; implicit-def: $sgpr10
	s_and_saveexec_b64 s[8:9], vcc
; %bb.3762:
	s_mov_b32 s10, 0x7f800001
	s_xor_b64 s[4:5], exec, -1
; %bb.3763:
	s_or_b64 exec, exec, s[8:9]
	s_and_b64 s[4:5], s[4:5], exec
                                        ; implicit-def: $vgpr6
	s_or_saveexec_b64 s[6:7], s[6:7]
	v_mov_b32_e32 v2, s10
	s_xor_b64 exec, exec, s[6:7]
	s_cbranch_execz .LBB30_1714
.LBB30_3764:
	v_cmp_ne_u16_e32 vcc, 0, v6
	s_andn2_b64 s[4:5], s[4:5], exec
	s_and_b64 s[8:9], vcc, exec
	v_mov_b32_e32 v2, 0
	s_or_b64 s[4:5], s[4:5], s[8:9]
	s_or_b64 exec, exec, s[6:7]
	s_and_saveexec_b64 s[6:7], s[4:5]
	s_cbranch_execnz .LBB30_1715
	s_branch .LBB30_1716
.LBB30_3765:
	s_movk_i32 s4, 0x80
	v_cmp_eq_u16_e32 vcc, s4, v6
	s_mov_b64 s[4:5], -1
                                        ; implicit-def: $sgpr10
	s_and_saveexec_b64 s[8:9], vcc
; %bb.3766:
	s_mov_b32 s10, 0x7f800001
	s_xor_b64 s[4:5], exec, -1
; %bb.3767:
	s_or_b64 exec, exec, s[8:9]
	s_and_b64 s[4:5], s[4:5], exec
                                        ; implicit-def: $vgpr6
	s_or_saveexec_b64 s[6:7], s[6:7]
	v_mov_b32_e32 v10, s10
	s_xor_b64 exec, exec, s[6:7]
	s_cbranch_execz .LBB30_1718
.LBB30_3768:
	v_cmp_ne_u16_e32 vcc, 0, v6
	s_andn2_b64 s[4:5], s[4:5], exec
	s_and_b64 s[8:9], vcc, exec
	v_mov_b32_e32 v10, 0
	s_or_b64 s[4:5], s[4:5], s[8:9]
	s_or_b64 exec, exec, s[6:7]
	s_and_saveexec_b64 s[6:7], s[4:5]
	s_cbranch_execnz .LBB30_1719
	s_branch .LBB30_1720
.LBB30_3769:
	s_movk_i32 s4, 0x80
	v_cmp_eq_u16_sdwa s[12:13], v7, s4 src0_sel:BYTE_3 src1_sel:DWORD
	s_mov_b64 s[4:5], -1
                                        ; implicit-def: $sgpr10
	s_and_saveexec_b64 s[8:9], s[12:13]
; %bb.3770:
	s_mov_b32 s10, 0x7f800001
	s_xor_b64 s[4:5], exec, -1
; %bb.3771:
	s_or_b64 exec, exec, s[8:9]
	s_and_b64 s[4:5], s[4:5], exec
	s_or_saveexec_b64 s[6:7], s[6:7]
	v_mov_b32_e32 v2, s10
	s_xor_b64 exec, exec, s[6:7]
	s_cbranch_execz .LBB30_1722
.LBB30_3772:
	v_mov_b32_e32 v2, 0
	v_cmp_ne_u16_sdwa s[8:9], v7, v2 src0_sel:BYTE_3 src1_sel:DWORD
	s_andn2_b64 s[4:5], s[4:5], exec
	s_and_b64 s[8:9], s[8:9], exec
	s_or_b64 s[4:5], s[4:5], s[8:9]
	s_or_b64 exec, exec, s[6:7]
	s_and_saveexec_b64 s[6:7], s[4:5]
	s_cbranch_execnz .LBB30_1723
	s_branch .LBB30_1724
.LBB30_3773:
	s_movk_i32 s4, 0x80
	v_cmp_eq_u16_sdwa s[12:13], v3, s4 src0_sel:BYTE_3 src1_sel:DWORD
	s_mov_b64 s[4:5], -1
                                        ; implicit-def: $sgpr10
	s_and_saveexec_b64 s[8:9], s[12:13]
; %bb.3774:
	s_mov_b32 s10, 0x7f800001
	s_xor_b64 s[4:5], exec, -1
; %bb.3775:
	s_or_b64 exec, exec, s[8:9]
	s_and_b64 s[4:5], s[4:5], exec
	s_or_saveexec_b64 s[6:7], s[6:7]
	v_mov_b32_e32 v6, s10
	s_xor_b64 exec, exec, s[6:7]
	s_cbranch_execz .LBB30_1726
.LBB30_3776:
	v_mov_b32_e32 v6, 0
	v_cmp_ne_u16_sdwa s[8:9], v3, v6 src0_sel:BYTE_3 src1_sel:DWORD
	s_andn2_b64 s[4:5], s[4:5], exec
	s_and_b64 s[8:9], s[8:9], exec
	s_or_b64 s[4:5], s[4:5], s[8:9]
	s_or_b64 exec, exec, s[6:7]
	s_and_saveexec_b64 s[6:7], s[4:5]
	s_cbranch_execnz .LBB30_1727
	s_branch .LBB30_1728
.LBB30_3777:
	s_movk_i32 s4, 0x80
	v_cmp_eq_u16_sdwa s[12:13], v8, s4 src0_sel:BYTE_0 src1_sel:DWORD
	s_mov_b64 s[4:5], -1
                                        ; implicit-def: $sgpr10
	s_and_saveexec_b64 s[8:9], s[12:13]
; %bb.3778:
	s_mov_b32 s10, 0x7f800001
	s_xor_b64 s[4:5], exec, -1
; %bb.3779:
	s_or_b64 exec, exec, s[8:9]
	s_and_b64 s[4:5], s[4:5], exec
	s_or_saveexec_b64 s[6:7], s[6:7]
	v_mov_b32_e32 v2, s10
	s_xor_b64 exec, exec, s[6:7]
	s_cbranch_execz .LBB30_1730
.LBB30_3780:
	v_mov_b32_e32 v2, 0
	v_cmp_ne_u16_sdwa s[8:9], v8, v2 src0_sel:BYTE_0 src1_sel:DWORD
	s_andn2_b64 s[4:5], s[4:5], exec
	s_and_b64 s[8:9], s[8:9], exec
	s_or_b64 s[4:5], s[4:5], s[8:9]
	s_or_b64 exec, exec, s[6:7]
	s_and_saveexec_b64 s[6:7], s[4:5]
	s_cbranch_execnz .LBB30_1731
	s_branch .LBB30_1732
.LBB30_3781:
	s_movk_i32 s4, 0x80
	v_cmp_eq_u16_sdwa s[12:13], v4, s4 src0_sel:BYTE_0 src1_sel:DWORD
	s_mov_b64 s[4:5], -1
                                        ; implicit-def: $sgpr10
	s_and_saveexec_b64 s[8:9], s[12:13]
; %bb.3782:
	s_mov_b32 s10, 0x7f800001
	s_xor_b64 s[4:5], exec, -1
; %bb.3783:
	s_or_b64 exec, exec, s[8:9]
	s_and_b64 s[4:5], s[4:5], exec
	s_or_saveexec_b64 s[6:7], s[6:7]
	v_mov_b32_e32 v3, s10
	s_xor_b64 exec, exec, s[6:7]
	s_cbranch_execz .LBB30_1734
.LBB30_3784:
	v_mov_b32_e32 v3, 0
	v_cmp_ne_u16_sdwa s[8:9], v4, v3 src0_sel:BYTE_0 src1_sel:DWORD
	s_andn2_b64 s[4:5], s[4:5], exec
	s_and_b64 s[8:9], s[8:9], exec
	s_or_b64 s[4:5], s[4:5], s[8:9]
	s_or_b64 exec, exec, s[6:7]
	s_and_saveexec_b64 s[6:7], s[4:5]
	s_cbranch_execnz .LBB30_1735
	s_branch .LBB30_1736
.LBB30_3785:
	s_movk_i32 s4, 0x80
	v_cmp_eq_u16_sdwa s[12:13], v3, s4 src0_sel:BYTE_0 src1_sel:DWORD
	s_mov_b64 s[4:5], -1
                                        ; implicit-def: $sgpr10
	s_and_saveexec_b64 s[8:9], s[12:13]
; %bb.3786:
	s_mov_b32 s10, 0x7f800001
	s_xor_b64 s[4:5], exec, -1
; %bb.3787:
	s_or_b64 exec, exec, s[8:9]
	s_and_b64 s[4:5], s[4:5], exec
	s_or_saveexec_b64 s[6:7], s[6:7]
	v_mov_b32_e32 v2, s10
	s_xor_b64 exec, exec, s[6:7]
	s_cbranch_execz .LBB30_1738
.LBB30_3788:
	v_mov_b32_e32 v2, 0
	v_cmp_ne_u16_sdwa s[8:9], v3, v2 src0_sel:BYTE_0 src1_sel:DWORD
	s_andn2_b64 s[4:5], s[4:5], exec
	s_and_b64 s[8:9], s[8:9], exec
	s_or_b64 s[4:5], s[4:5], s[8:9]
	s_or_b64 exec, exec, s[6:7]
	s_and_saveexec_b64 s[6:7], s[4:5]
	s_cbranch_execnz .LBB30_1739
	s_branch .LBB30_1740
.LBB30_3789:
	s_movk_i32 s4, 0x80
	v_cmp_eq_u16_sdwa s[12:13], v3, s4 src0_sel:BYTE_0 src1_sel:DWORD
	s_mov_b64 s[4:5], -1
                                        ; implicit-def: $sgpr10
	s_and_saveexec_b64 s[8:9], s[12:13]
; %bb.3790:
	s_mov_b32 s10, 0x7f800001
	s_xor_b64 s[4:5], exec, -1
; %bb.3791:
	s_or_b64 exec, exec, s[8:9]
	s_and_b64 s[4:5], s[4:5], exec
	s_or_saveexec_b64 s[6:7], s[6:7]
	v_mov_b32_e32 v6, s10
	s_xor_b64 exec, exec, s[6:7]
	s_cbranch_execz .LBB30_1742
.LBB30_3792:
	v_mov_b32_e32 v6, 0
	v_cmp_ne_u16_sdwa s[8:9], v3, v6 src0_sel:BYTE_0 src1_sel:DWORD
	s_andn2_b64 s[4:5], s[4:5], exec
	s_and_b64 s[8:9], s[8:9], exec
	s_or_b64 s[4:5], s[4:5], s[8:9]
	s_or_b64 exec, exec, s[6:7]
	s_and_saveexec_b64 s[6:7], s[4:5]
	s_cbranch_execnz .LBB30_1743
	s_branch .LBB30_1744
.LBB30_3793:
	s_movk_i32 s4, 0x80
	v_cmp_eq_u16_e32 vcc, s4, v3
	s_mov_b64 s[4:5], -1
                                        ; implicit-def: $sgpr10
	s_and_saveexec_b64 s[8:9], vcc
; %bb.3794:
	s_mov_b32 s10, 0x7f800001
	s_xor_b64 s[4:5], exec, -1
; %bb.3795:
	s_or_b64 exec, exec, s[8:9]
	s_and_b64 s[4:5], s[4:5], exec
                                        ; implicit-def: $vgpr3
	s_or_saveexec_b64 s[6:7], s[6:7]
	v_mov_b32_e32 v2, s10
	s_xor_b64 exec, exec, s[6:7]
	s_cbranch_execz .LBB30_1746
.LBB30_3796:
	v_cmp_ne_u16_e32 vcc, 0, v3
	s_andn2_b64 s[4:5], s[4:5], exec
	s_and_b64 s[8:9], vcc, exec
	v_mov_b32_e32 v2, 0
	s_or_b64 s[4:5], s[4:5], s[8:9]
	s_or_b64 exec, exec, s[6:7]
	s_and_saveexec_b64 s[6:7], s[4:5]
	s_cbranch_execnz .LBB30_1747
	s_branch .LBB30_1748
.LBB30_3797:
	s_movk_i32 s4, 0x80
	v_cmp_eq_u16_e32 vcc, s4, v3
	s_mov_b64 s[4:5], -1
                                        ; implicit-def: $sgpr10
	s_and_saveexec_b64 s[8:9], vcc
; %bb.3798:
	s_mov_b32 s10, 0x7f800001
	s_xor_b64 s[4:5], exec, -1
; %bb.3799:
	s_or_b64 exec, exec, s[8:9]
	s_and_b64 s[4:5], s[4:5], exec
                                        ; implicit-def: $vgpr3
	s_or_saveexec_b64 s[6:7], s[6:7]
	v_mov_b32_e32 v6, s10
	s_xor_b64 exec, exec, s[6:7]
	s_cbranch_execz .LBB30_1750
.LBB30_3800:
	v_cmp_ne_u16_e32 vcc, 0, v3
	s_andn2_b64 s[4:5], s[4:5], exec
	s_and_b64 s[8:9], vcc, exec
	v_mov_b32_e32 v6, 0
	s_or_b64 s[4:5], s[4:5], s[8:9]
	s_or_b64 exec, exec, s[6:7]
	s_and_saveexec_b64 s[6:7], s[4:5]
	s_cbranch_execnz .LBB30_1751
	s_branch .LBB30_1752
.LBB30_3801:
	s_movk_i32 s4, 0x80
	v_cmp_eq_u16_sdwa s[12:13], v8, s4 src0_sel:BYTE_3 src1_sel:DWORD
	s_mov_b64 s[4:5], -1
                                        ; implicit-def: $sgpr10
	s_and_saveexec_b64 s[8:9], s[12:13]
; %bb.3802:
	s_mov_b32 s10, 0x7f800001
	s_xor_b64 s[4:5], exec, -1
; %bb.3803:
	s_or_b64 exec, exec, s[8:9]
	s_and_b64 s[4:5], s[4:5], exec
	s_or_saveexec_b64 s[6:7], s[6:7]
	v_mov_b32_e32 v2, s10
	s_xor_b64 exec, exec, s[6:7]
	s_cbranch_execz .LBB30_1754
.LBB30_3804:
	v_mov_b32_e32 v2, 0
	v_cmp_ne_u16_sdwa s[8:9], v8, v2 src0_sel:BYTE_3 src1_sel:DWORD
	s_andn2_b64 s[4:5], s[4:5], exec
	s_and_b64 s[8:9], s[8:9], exec
	s_or_b64 s[4:5], s[4:5], s[8:9]
	s_or_b64 exec, exec, s[6:7]
	s_and_saveexec_b64 s[6:7], s[4:5]
	s_cbranch_execnz .LBB30_1755
	s_branch .LBB30_1756
.LBB30_3805:
	s_movk_i32 s4, 0x80
	v_cmp_eq_u16_sdwa s[12:13], v4, s4 src0_sel:BYTE_3 src1_sel:DWORD
	s_mov_b64 s[4:5], -1
                                        ; implicit-def: $sgpr10
	s_and_saveexec_b64 s[8:9], s[12:13]
; %bb.3806:
	s_mov_b32 s10, 0x7f800001
	s_xor_b64 s[4:5], exec, -1
; %bb.3807:
	s_or_b64 exec, exec, s[8:9]
	s_and_b64 s[4:5], s[4:5], exec
	s_or_saveexec_b64 s[6:7], s[6:7]
	v_mov_b32_e32 v3, s10
	s_xor_b64 exec, exec, s[6:7]
	s_cbranch_execz .LBB30_1758
.LBB30_3808:
	v_mov_b32_e32 v3, 0
	v_cmp_ne_u16_sdwa s[8:9], v4, v3 src0_sel:BYTE_3 src1_sel:DWORD
	s_andn2_b64 s[4:5], s[4:5], exec
	s_and_b64 s[8:9], s[8:9], exec
	s_or_b64 s[4:5], s[4:5], s[8:9]
	s_or_b64 exec, exec, s[6:7]
	s_and_saveexec_b64 s[6:7], s[4:5]
	s_cbranch_execnz .LBB30_1759
	s_branch .LBB30_1760
.LBB30_3809:
	s_movk_i32 s4, 0x80
	v_cmp_eq_u16_sdwa s[12:13], v9, s4 src0_sel:BYTE_0 src1_sel:DWORD
	s_mov_b64 s[4:5], -1
                                        ; implicit-def: $sgpr10
	s_and_saveexec_b64 s[8:9], s[12:13]
; %bb.3810:
	s_mov_b32 s10, 0x7f800001
	s_xor_b64 s[4:5], exec, -1
; %bb.3811:
	s_or_b64 exec, exec, s[8:9]
	s_and_b64 s[4:5], s[4:5], exec
	s_or_saveexec_b64 s[6:7], s[6:7]
	v_mov_b32_e32 v2, s10
	s_xor_b64 exec, exec, s[6:7]
	s_cbranch_execz .LBB30_1762
.LBB30_3812:
	v_mov_b32_e32 v2, 0
	v_cmp_ne_u16_sdwa s[8:9], v9, v2 src0_sel:BYTE_0 src1_sel:DWORD
	s_andn2_b64 s[4:5], s[4:5], exec
	s_and_b64 s[8:9], s[8:9], exec
	s_or_b64 s[4:5], s[4:5], s[8:9]
	s_or_b64 exec, exec, s[6:7]
	s_and_saveexec_b64 s[6:7], s[4:5]
	s_cbranch_execnz .LBB30_1763
	s_branch .LBB30_1764
.LBB30_3813:
	s_movk_i32 s4, 0x80
	v_cmp_eq_u16_sdwa s[12:13], v5, s4 src0_sel:BYTE_0 src1_sel:DWORD
	s_mov_b64 s[4:5], -1
                                        ; implicit-def: $sgpr10
	s_and_saveexec_b64 s[8:9], s[12:13]
; %bb.3814:
	s_mov_b32 s10, 0x7f800001
	s_xor_b64 s[4:5], exec, -1
; %bb.3815:
	s_or_b64 exec, exec, s[8:9]
	s_and_b64 s[4:5], s[4:5], exec
	s_or_saveexec_b64 s[6:7], s[6:7]
	v_mov_b32_e32 v3, s10
	s_xor_b64 exec, exec, s[6:7]
	s_cbranch_execz .LBB30_1766
.LBB30_3816:
	v_mov_b32_e32 v3, 0
	v_cmp_ne_u16_sdwa s[8:9], v5, v3 src0_sel:BYTE_0 src1_sel:DWORD
	s_andn2_b64 s[4:5], s[4:5], exec
	s_and_b64 s[8:9], s[8:9], exec
	s_or_b64 s[4:5], s[4:5], s[8:9]
	s_or_b64 exec, exec, s[6:7]
	s_and_saveexec_b64 s[6:7], s[4:5]
	s_cbranch_execnz .LBB30_1767
	s_branch .LBB30_1768
.LBB30_3817:
	s_movk_i32 s4, 0x80
	v_cmp_eq_u16_sdwa s[12:13], v3, s4 src0_sel:BYTE_0 src1_sel:DWORD
	s_mov_b64 s[4:5], -1
                                        ; implicit-def: $sgpr10
	s_and_saveexec_b64 s[8:9], s[12:13]
; %bb.3818:
	s_mov_b32 s10, 0x7f800001
	s_xor_b64 s[4:5], exec, -1
; %bb.3819:
	s_or_b64 exec, exec, s[8:9]
	s_and_b64 s[4:5], s[4:5], exec
	s_or_saveexec_b64 s[6:7], s[6:7]
	v_mov_b32_e32 v2, s10
	s_xor_b64 exec, exec, s[6:7]
	s_cbranch_execz .LBB30_1770
.LBB30_3820:
	v_mov_b32_e32 v2, 0
	v_cmp_ne_u16_sdwa s[8:9], v3, v2 src0_sel:BYTE_0 src1_sel:DWORD
	s_andn2_b64 s[4:5], s[4:5], exec
	s_and_b64 s[8:9], s[8:9], exec
	s_or_b64 s[4:5], s[4:5], s[8:9]
	s_or_b64 exec, exec, s[6:7]
	s_and_saveexec_b64 s[6:7], s[4:5]
	s_cbranch_execnz .LBB30_1771
	s_branch .LBB30_1772
.LBB30_3821:
	s_movk_i32 s4, 0x80
	v_cmp_eq_u16_sdwa s[12:13], v3, s4 src0_sel:BYTE_0 src1_sel:DWORD
	s_mov_b64 s[4:5], -1
                                        ; implicit-def: $sgpr10
	s_and_saveexec_b64 s[8:9], s[12:13]
; %bb.3822:
	s_mov_b32 s10, 0x7f800001
	s_xor_b64 s[4:5], exec, -1
; %bb.3823:
	s_or_b64 exec, exec, s[8:9]
	s_and_b64 s[4:5], s[4:5], exec
	s_or_saveexec_b64 s[6:7], s[6:7]
	v_mov_b32_e32 v4, s10
	s_xor_b64 exec, exec, s[6:7]
	s_cbranch_execz .LBB30_1774
.LBB30_3824:
	v_mov_b32_e32 v4, 0
	v_cmp_ne_u16_sdwa s[8:9], v3, v4 src0_sel:BYTE_0 src1_sel:DWORD
	s_andn2_b64 s[4:5], s[4:5], exec
	s_and_b64 s[8:9], s[8:9], exec
	s_or_b64 s[4:5], s[4:5], s[8:9]
	s_or_b64 exec, exec, s[6:7]
	s_and_saveexec_b64 s[6:7], s[4:5]
	s_cbranch_execnz .LBB30_1775
	s_branch .LBB30_1776
.LBB30_3825:
	s_movk_i32 s4, 0x80
	v_cmp_eq_u16_e32 vcc, s4, v3
	s_mov_b64 s[4:5], -1
                                        ; implicit-def: $sgpr10
	s_and_saveexec_b64 s[8:9], vcc
; %bb.3826:
	s_mov_b32 s10, 0x7f800001
	s_xor_b64 s[4:5], exec, -1
; %bb.3827:
	s_or_b64 exec, exec, s[8:9]
	s_and_b64 s[4:5], s[4:5], exec
                                        ; implicit-def: $vgpr3
	s_or_saveexec_b64 s[6:7], s[6:7]
	v_mov_b32_e32 v2, s10
	s_xor_b64 exec, exec, s[6:7]
	s_cbranch_execz .LBB30_1778
.LBB30_3828:
	v_cmp_ne_u16_e32 vcc, 0, v3
	s_andn2_b64 s[4:5], s[4:5], exec
	s_and_b64 s[8:9], vcc, exec
	v_mov_b32_e32 v2, 0
	s_or_b64 s[4:5], s[4:5], s[8:9]
	s_or_b64 exec, exec, s[6:7]
	s_and_saveexec_b64 s[6:7], s[4:5]
	s_cbranch_execnz .LBB30_1779
	s_branch .LBB30_1780
.LBB30_3829:
	s_movk_i32 s4, 0x80
	v_cmp_eq_u16_e32 vcc, s4, v3
	s_mov_b64 s[4:5], -1
                                        ; implicit-def: $sgpr10
	s_and_saveexec_b64 s[8:9], vcc
; %bb.3830:
	s_mov_b32 s10, 0x7f800001
	s_xor_b64 s[4:5], exec, -1
; %bb.3831:
	s_or_b64 exec, exec, s[8:9]
	s_and_b64 s[4:5], s[4:5], exec
                                        ; implicit-def: $vgpr3
	s_or_saveexec_b64 s[6:7], s[6:7]
	v_mov_b32_e32 v4, s10
	s_xor_b64 exec, exec, s[6:7]
	s_cbranch_execz .LBB30_1782
.LBB30_3832:
	v_cmp_ne_u16_e32 vcc, 0, v3
	s_andn2_b64 s[4:5], s[4:5], exec
	s_and_b64 s[8:9], vcc, exec
	v_mov_b32_e32 v4, 0
	s_or_b64 s[4:5], s[4:5], s[8:9]
	s_or_b64 exec, exec, s[6:7]
	s_and_saveexec_b64 s[6:7], s[4:5]
	s_cbranch_execnz .LBB30_1783
	s_branch .LBB30_1784
.LBB30_3833:
	s_movk_i32 s4, 0x80
	v_cmp_eq_u16_sdwa s[12:13], v9, s4 src0_sel:BYTE_3 src1_sel:DWORD
	s_mov_b64 s[4:5], -1
                                        ; implicit-def: $sgpr10
	s_and_saveexec_b64 s[8:9], s[12:13]
; %bb.3834:
	s_mov_b32 s10, 0x7f800001
	s_xor_b64 s[4:5], exec, -1
; %bb.3835:
	s_or_b64 exec, exec, s[8:9]
	s_and_b64 s[4:5], s[4:5], exec
	s_or_saveexec_b64 s[6:7], s[6:7]
	v_mov_b32_e32 v2, s10
	s_xor_b64 exec, exec, s[6:7]
	s_cbranch_execz .LBB30_1786
.LBB30_3836:
	v_mov_b32_e32 v2, 0
	v_cmp_ne_u16_sdwa s[8:9], v9, v2 src0_sel:BYTE_3 src1_sel:DWORD
	s_andn2_b64 s[4:5], s[4:5], exec
	s_and_b64 s[8:9], s[8:9], exec
	s_or_b64 s[4:5], s[4:5], s[8:9]
	s_or_b64 exec, exec, s[6:7]
	s_and_saveexec_b64 s[6:7], s[4:5]
	s_cbranch_execnz .LBB30_1787
	s_branch .LBB30_1788
.LBB30_3837:
	s_movk_i32 s4, 0x80
	v_cmp_eq_u16_sdwa s[12:13], v5, s4 src0_sel:BYTE_3 src1_sel:DWORD
	s_mov_b64 s[4:5], -1
                                        ; implicit-def: $sgpr10
	s_and_saveexec_b64 s[8:9], s[12:13]
; %bb.3838:
	s_mov_b32 s10, 0x7f800001
	s_xor_b64 s[4:5], exec, -1
; %bb.3839:
	s_or_b64 exec, exec, s[8:9]
	s_and_b64 s[4:5], s[4:5], exec
	s_or_saveexec_b64 s[6:7], s[6:7]
	v_mov_b32_e32 v3, s10
	s_xor_b64 exec, exec, s[6:7]
	s_cbranch_execz .LBB30_1790
.LBB30_3840:
	v_mov_b32_e32 v3, 0
	v_cmp_ne_u16_sdwa s[8:9], v5, v3 src0_sel:BYTE_3 src1_sel:DWORD
	s_andn2_b64 s[4:5], s[4:5], exec
	s_and_b64 s[8:9], s[8:9], exec
	s_or_b64 s[4:5], s[4:5], s[8:9]
	s_or_b64 exec, exec, s[6:7]
	s_and_saveexec_b64 s[6:7], s[4:5]
	s_cbranch_execnz .LBB30_1791
	s_branch .LBB30_1792
.LBB30_3841:
	s_movk_i32 s4, 0x80
	v_cmp_eq_u16_sdwa s[12:13], v12, s4 src0_sel:BYTE_0 src1_sel:DWORD
	s_mov_b64 s[4:5], -1
                                        ; implicit-def: $sgpr10
	s_and_saveexec_b64 s[8:9], s[12:13]
; %bb.3842:
	s_mov_b32 s10, 0x7f800001
	s_xor_b64 s[4:5], exec, -1
; %bb.3843:
	s_or_b64 exec, exec, s[8:9]
	s_and_b64 s[4:5], s[4:5], exec
	s_or_saveexec_b64 s[6:7], s[6:7]
	v_mov_b32_e32 v18, s10
	s_xor_b64 exec, exec, s[6:7]
	s_cbranch_execz .LBB30_1794
.LBB30_3844:
	v_mov_b32_e32 v18, 0
	v_cmp_ne_u16_sdwa s[8:9], v12, v18 src0_sel:BYTE_0 src1_sel:DWORD
	s_andn2_b64 s[4:5], s[4:5], exec
	s_and_b64 s[8:9], s[8:9], exec
	s_or_b64 s[4:5], s[4:5], s[8:9]
	s_or_b64 exec, exec, s[6:7]
	s_and_saveexec_b64 s[6:7], s[4:5]
	s_cbranch_execnz .LBB30_1795
	s_branch .LBB30_1796
.LBB30_3845:
	s_movk_i32 s4, 0x80
	v_cmp_eq_u16_sdwa s[12:13], v8, s4 src0_sel:BYTE_0 src1_sel:DWORD
	s_mov_b64 s[4:5], -1
                                        ; implicit-def: $sgpr10
	s_and_saveexec_b64 s[8:9], s[12:13]
; %bb.3846:
	s_mov_b32 s10, 0x7f800001
	s_xor_b64 s[4:5], exec, -1
; %bb.3847:
	s_or_b64 exec, exec, s[8:9]
	s_and_b64 s[4:5], s[4:5], exec
	s_or_saveexec_b64 s[6:7], s[6:7]
	v_mov_b32_e32 v19, s10
	s_xor_b64 exec, exec, s[6:7]
	s_cbranch_execz .LBB30_1798
.LBB30_3848:
	v_mov_b32_e32 v19, 0
	v_cmp_ne_u16_sdwa s[8:9], v8, v19 src0_sel:BYTE_0 src1_sel:DWORD
	s_andn2_b64 s[4:5], s[4:5], exec
	s_and_b64 s[8:9], s[8:9], exec
	s_or_b64 s[4:5], s[4:5], s[8:9]
	s_or_b64 exec, exec, s[6:7]
	s_and_saveexec_b64 s[6:7], s[4:5]
	s_cbranch_execnz .LBB30_1799
	s_branch .LBB30_1800
.LBB30_3849:
	s_movk_i32 s4, 0x80
	v_cmp_eq_u16_sdwa s[12:13], v19, s4 src0_sel:BYTE_0 src1_sel:DWORD
	s_mov_b64 s[4:5], -1
                                        ; implicit-def: $sgpr10
	s_and_saveexec_b64 s[8:9], s[12:13]
; %bb.3850:
	s_mov_b32 s10, 0x7f800001
	s_xor_b64 s[4:5], exec, -1
; %bb.3851:
	s_or_b64 exec, exec, s[8:9]
	s_and_b64 s[4:5], s[4:5], exec
	s_or_saveexec_b64 s[6:7], s[6:7]
	v_mov_b32_e32 v18, s10
	s_xor_b64 exec, exec, s[6:7]
	s_cbranch_execz .LBB30_1802
.LBB30_3852:
	v_mov_b32_e32 v18, 0
	v_cmp_ne_u16_sdwa s[8:9], v19, v18 src0_sel:BYTE_0 src1_sel:DWORD
	s_andn2_b64 s[4:5], s[4:5], exec
	s_and_b64 s[8:9], s[8:9], exec
	s_or_b64 s[4:5], s[4:5], s[8:9]
	s_or_b64 exec, exec, s[6:7]
	s_and_saveexec_b64 s[6:7], s[4:5]
	s_cbranch_execnz .LBB30_1803
	s_branch .LBB30_1804
.LBB30_3853:
	s_movk_i32 s4, 0x80
	v_cmp_eq_u16_sdwa s[12:13], v19, s4 src0_sel:BYTE_0 src1_sel:DWORD
	s_mov_b64 s[4:5], -1
                                        ; implicit-def: $sgpr10
	s_and_saveexec_b64 s[8:9], s[12:13]
; %bb.3854:
	s_mov_b32 s10, 0x7f800001
	s_xor_b64 s[4:5], exec, -1
; %bb.3855:
	s_or_b64 exec, exec, s[8:9]
	s_and_b64 s[4:5], s[4:5], exec
	s_or_saveexec_b64 s[6:7], s[6:7]
	v_mov_b32_e32 v20, s10
	s_xor_b64 exec, exec, s[6:7]
	s_cbranch_execz .LBB30_1806
.LBB30_3856:
	v_mov_b32_e32 v20, 0
	v_cmp_ne_u16_sdwa s[8:9], v19, v20 src0_sel:BYTE_0 src1_sel:DWORD
	s_andn2_b64 s[4:5], s[4:5], exec
	s_and_b64 s[8:9], s[8:9], exec
	s_or_b64 s[4:5], s[4:5], s[8:9]
	s_or_b64 exec, exec, s[6:7]
	s_and_saveexec_b64 s[6:7], s[4:5]
	s_cbranch_execnz .LBB30_1807
	s_branch .LBB30_1808
.LBB30_3857:
	s_movk_i32 s4, 0x80
	v_cmp_eq_u16_e32 vcc, s4, v19
	s_mov_b64 s[4:5], -1
                                        ; implicit-def: $sgpr10
	s_and_saveexec_b64 s[8:9], vcc
; %bb.3858:
	s_mov_b32 s10, 0x7f800001
	s_xor_b64 s[4:5], exec, -1
; %bb.3859:
	s_or_b64 exec, exec, s[8:9]
	s_and_b64 s[4:5], s[4:5], exec
                                        ; implicit-def: $vgpr19
	s_or_saveexec_b64 s[6:7], s[6:7]
	v_mov_b32_e32 v18, s10
	s_xor_b64 exec, exec, s[6:7]
	s_cbranch_execz .LBB30_1810
.LBB30_3860:
	v_cmp_ne_u16_e32 vcc, 0, v19
	s_andn2_b64 s[4:5], s[4:5], exec
	s_and_b64 s[8:9], vcc, exec
	v_mov_b32_e32 v18, 0
	s_or_b64 s[4:5], s[4:5], s[8:9]
	s_or_b64 exec, exec, s[6:7]
	s_and_saveexec_b64 s[6:7], s[4:5]
	s_cbranch_execnz .LBB30_1811
	s_branch .LBB30_1812
.LBB30_3861:
	s_movk_i32 s4, 0x80
	v_cmp_eq_u16_e32 vcc, s4, v19
	s_mov_b64 s[4:5], -1
                                        ; implicit-def: $sgpr10
	s_and_saveexec_b64 s[8:9], vcc
; %bb.3862:
	s_mov_b32 s10, 0x7f800001
	s_xor_b64 s[4:5], exec, -1
; %bb.3863:
	s_or_b64 exec, exec, s[8:9]
	s_and_b64 s[4:5], s[4:5], exec
                                        ; implicit-def: $vgpr19
	s_or_saveexec_b64 s[6:7], s[6:7]
	v_mov_b32_e32 v20, s10
	s_xor_b64 exec, exec, s[6:7]
	s_cbranch_execz .LBB30_1814
.LBB30_3864:
	v_cmp_ne_u16_e32 vcc, 0, v19
	s_andn2_b64 s[4:5], s[4:5], exec
	s_and_b64 s[8:9], vcc, exec
	v_mov_b32_e32 v20, 0
	s_or_b64 s[4:5], s[4:5], s[8:9]
	s_or_b64 exec, exec, s[6:7]
	s_and_saveexec_b64 s[6:7], s[4:5]
	s_cbranch_execnz .LBB30_1815
	s_branch .LBB30_1816
.LBB30_3865:
	s_movk_i32 s4, 0x80
	v_cmp_eq_u16_sdwa s[12:13], v12, s4 src0_sel:BYTE_3 src1_sel:DWORD
	s_mov_b64 s[4:5], -1
                                        ; implicit-def: $sgpr10
	s_and_saveexec_b64 s[8:9], s[12:13]
; %bb.3866:
	s_mov_b32 s10, 0x7f800001
	s_xor_b64 s[4:5], exec, -1
; %bb.3867:
	s_or_b64 exec, exec, s[8:9]
	s_and_b64 s[4:5], s[4:5], exec
	s_or_saveexec_b64 s[6:7], s[6:7]
	v_mov_b32_e32 v18, s10
	s_xor_b64 exec, exec, s[6:7]
	s_cbranch_execz .LBB30_1818
.LBB30_3868:
	v_mov_b32_e32 v18, 0
	v_cmp_ne_u16_sdwa s[8:9], v12, v18 src0_sel:BYTE_3 src1_sel:DWORD
	s_andn2_b64 s[4:5], s[4:5], exec
	s_and_b64 s[8:9], s[8:9], exec
	s_or_b64 s[4:5], s[4:5], s[8:9]
	s_or_b64 exec, exec, s[6:7]
	s_and_saveexec_b64 s[6:7], s[4:5]
	s_cbranch_execnz .LBB30_1819
	s_branch .LBB30_1820
.LBB30_3869:
	s_movk_i32 s4, 0x80
	v_cmp_eq_u16_sdwa s[12:13], v8, s4 src0_sel:BYTE_3 src1_sel:DWORD
	s_mov_b64 s[4:5], -1
                                        ; implicit-def: $sgpr10
	s_and_saveexec_b64 s[8:9], s[12:13]
; %bb.3870:
	s_mov_b32 s10, 0x7f800001
	s_xor_b64 s[4:5], exec, -1
; %bb.3871:
	s_or_b64 exec, exec, s[8:9]
	s_and_b64 s[4:5], s[4:5], exec
	s_or_saveexec_b64 s[6:7], s[6:7]
	v_mov_b32_e32 v12, s10
	s_xor_b64 exec, exec, s[6:7]
	s_cbranch_execz .LBB30_1822
.LBB30_3872:
	v_mov_b32_e32 v12, 0
	v_cmp_ne_u16_sdwa s[8:9], v8, v12 src0_sel:BYTE_3 src1_sel:DWORD
	s_andn2_b64 s[4:5], s[4:5], exec
	s_and_b64 s[8:9], s[8:9], exec
	s_or_b64 s[4:5], s[4:5], s[8:9]
	s_or_b64 exec, exec, s[6:7]
	s_and_saveexec_b64 s[6:7], s[4:5]
	s_cbranch_execnz .LBB30_1823
	s_branch .LBB30_1824
.LBB30_3873:
	s_movk_i32 s4, 0x80
	v_cmp_eq_u16_sdwa s[12:13], v13, s4 src0_sel:BYTE_0 src1_sel:DWORD
	s_mov_b64 s[4:5], -1
                                        ; implicit-def: $sgpr10
	s_and_saveexec_b64 s[8:9], s[12:13]
; %bb.3874:
	s_mov_b32 s10, 0x7f800001
	s_xor_b64 s[4:5], exec, -1
; %bb.3875:
	s_or_b64 exec, exec, s[8:9]
	s_and_b64 s[4:5], s[4:5], exec
	s_or_saveexec_b64 s[6:7], s[6:7]
	v_mov_b32_e32 v8, s10
	s_xor_b64 exec, exec, s[6:7]
	s_cbranch_execz .LBB30_1826
.LBB30_3876:
	v_mov_b32_e32 v8, 0
	v_cmp_ne_u16_sdwa s[8:9], v13, v8 src0_sel:BYTE_0 src1_sel:DWORD
	s_andn2_b64 s[4:5], s[4:5], exec
	s_and_b64 s[8:9], s[8:9], exec
	s_or_b64 s[4:5], s[4:5], s[8:9]
	s_or_b64 exec, exec, s[6:7]
	s_and_saveexec_b64 s[6:7], s[4:5]
	s_cbranch_execnz .LBB30_1827
	s_branch .LBB30_1828
.LBB30_3877:
	s_movk_i32 s4, 0x80
	v_cmp_eq_u16_sdwa s[12:13], v9, s4 src0_sel:BYTE_0 src1_sel:DWORD
	s_mov_b64 s[4:5], -1
                                        ; implicit-def: $sgpr10
	s_and_saveexec_b64 s[8:9], s[12:13]
; %bb.3878:
	s_mov_b32 s10, 0x7f800001
	s_xor_b64 s[4:5], exec, -1
; %bb.3879:
	s_or_b64 exec, exec, s[8:9]
	s_and_b64 s[4:5], s[4:5], exec
	s_or_saveexec_b64 s[6:7], s[6:7]
	v_mov_b32_e32 v12, s10
	s_xor_b64 exec, exec, s[6:7]
	s_cbranch_execz .LBB30_1830
.LBB30_3880:
	v_mov_b32_e32 v12, 0
	v_cmp_ne_u16_sdwa s[8:9], v9, v12 src0_sel:BYTE_0 src1_sel:DWORD
	s_andn2_b64 s[4:5], s[4:5], exec
	s_and_b64 s[8:9], s[8:9], exec
	s_or_b64 s[4:5], s[4:5], s[8:9]
	s_or_b64 exec, exec, s[6:7]
	s_and_saveexec_b64 s[6:7], s[4:5]
	s_cbranch_execnz .LBB30_1831
	s_branch .LBB30_1832
.LBB30_3881:
	s_movk_i32 s4, 0x80
	v_cmp_eq_u16_sdwa s[12:13], v12, s4 src0_sel:BYTE_0 src1_sel:DWORD
	s_mov_b64 s[4:5], -1
                                        ; implicit-def: $sgpr10
	s_and_saveexec_b64 s[8:9], s[12:13]
; %bb.3882:
	s_mov_b32 s10, 0x7f800001
	s_xor_b64 s[4:5], exec, -1
; %bb.3883:
	s_or_b64 exec, exec, s[8:9]
	s_and_b64 s[4:5], s[4:5], exec
	s_or_saveexec_b64 s[6:7], s[6:7]
	v_mov_b32_e32 v8, s10
	s_xor_b64 exec, exec, s[6:7]
	s_cbranch_execz .LBB30_1834
.LBB30_3884:
	v_mov_b32_e32 v8, 0
	v_cmp_ne_u16_sdwa s[8:9], v12, v8 src0_sel:BYTE_0 src1_sel:DWORD
	s_andn2_b64 s[4:5], s[4:5], exec
	s_and_b64 s[8:9], s[8:9], exec
	s_or_b64 s[4:5], s[4:5], s[8:9]
	s_or_b64 exec, exec, s[6:7]
	s_and_saveexec_b64 s[6:7], s[4:5]
	s_cbranch_execnz .LBB30_1835
	s_branch .LBB30_1836
.LBB30_3885:
	s_movk_i32 s4, 0x80
	v_cmp_eq_u16_sdwa s[12:13], v12, s4 src0_sel:BYTE_0 src1_sel:DWORD
	s_mov_b64 s[4:5], -1
                                        ; implicit-def: $sgpr10
	s_and_saveexec_b64 s[8:9], s[12:13]
; %bb.3886:
	s_mov_b32 s10, 0x7f800001
	s_xor_b64 s[4:5], exec, -1
; %bb.3887:
	s_or_b64 exec, exec, s[8:9]
	s_and_b64 s[4:5], s[4:5], exec
	s_or_saveexec_b64 s[6:7], s[6:7]
	v_mov_b32_e32 v18, s10
	s_xor_b64 exec, exec, s[6:7]
	s_cbranch_execz .LBB30_1838
.LBB30_3888:
	v_mov_b32_e32 v18, 0
	v_cmp_ne_u16_sdwa s[8:9], v12, v18 src0_sel:BYTE_0 src1_sel:DWORD
	s_andn2_b64 s[4:5], s[4:5], exec
	s_and_b64 s[8:9], s[8:9], exec
	s_or_b64 s[4:5], s[4:5], s[8:9]
	s_or_b64 exec, exec, s[6:7]
	s_and_saveexec_b64 s[6:7], s[4:5]
	s_cbranch_execnz .LBB30_1839
	s_branch .LBB30_1840
.LBB30_3889:
	s_movk_i32 s4, 0x80
	v_cmp_eq_u16_e32 vcc, s4, v12
	s_mov_b64 s[4:5], -1
                                        ; implicit-def: $sgpr10
	s_and_saveexec_b64 s[8:9], vcc
; %bb.3890:
	s_mov_b32 s10, 0x7f800001
	s_xor_b64 s[4:5], exec, -1
; %bb.3891:
	s_or_b64 exec, exec, s[8:9]
	s_and_b64 s[4:5], s[4:5], exec
                                        ; implicit-def: $vgpr12
	s_or_saveexec_b64 s[6:7], s[6:7]
	v_mov_b32_e32 v8, s10
	s_xor_b64 exec, exec, s[6:7]
	s_cbranch_execz .LBB30_1842
.LBB30_3892:
	v_cmp_ne_u16_e32 vcc, 0, v12
	s_andn2_b64 s[4:5], s[4:5], exec
	s_and_b64 s[8:9], vcc, exec
	v_mov_b32_e32 v8, 0
	s_or_b64 s[4:5], s[4:5], s[8:9]
	s_or_b64 exec, exec, s[6:7]
	s_and_saveexec_b64 s[6:7], s[4:5]
	s_cbranch_execnz .LBB30_1843
	s_branch .LBB30_1844
.LBB30_3893:
	s_movk_i32 s4, 0x80
	v_cmp_eq_u16_e32 vcc, s4, v12
	s_mov_b64 s[4:5], -1
                                        ; implicit-def: $sgpr10
	s_and_saveexec_b64 s[8:9], vcc
; %bb.3894:
	s_mov_b32 s10, 0x7f800001
	s_xor_b64 s[4:5], exec, -1
; %bb.3895:
	s_or_b64 exec, exec, s[8:9]
	s_and_b64 s[4:5], s[4:5], exec
                                        ; implicit-def: $vgpr12
	s_or_saveexec_b64 s[6:7], s[6:7]
	v_mov_b32_e32 v18, s10
	s_xor_b64 exec, exec, s[6:7]
	s_cbranch_execz .LBB30_1846
.LBB30_3896:
	v_cmp_ne_u16_e32 vcc, 0, v12
	s_andn2_b64 s[4:5], s[4:5], exec
	s_and_b64 s[8:9], vcc, exec
	v_mov_b32_e32 v18, 0
	s_or_b64 s[4:5], s[4:5], s[8:9]
	s_or_b64 exec, exec, s[6:7]
	s_and_saveexec_b64 s[6:7], s[4:5]
	s_cbranch_execnz .LBB30_1847
	s_branch .LBB30_1848
.LBB30_3897:
	s_movk_i32 s4, 0x80
	v_cmp_eq_u16_sdwa s[12:13], v13, s4 src0_sel:BYTE_3 src1_sel:DWORD
	s_mov_b64 s[4:5], -1
                                        ; implicit-def: $sgpr10
	s_and_saveexec_b64 s[8:9], s[12:13]
; %bb.3898:
	s_mov_b32 s10, 0x7f800001
	s_xor_b64 s[4:5], exec, -1
; %bb.3899:
	s_or_b64 exec, exec, s[8:9]
	s_and_b64 s[4:5], s[4:5], exec
	s_or_saveexec_b64 s[6:7], s[6:7]
	v_mov_b32_e32 v8, s10
	s_xor_b64 exec, exec, s[6:7]
	s_cbranch_execz .LBB30_1850
.LBB30_3900:
	v_mov_b32_e32 v8, 0
	v_cmp_ne_u16_sdwa s[8:9], v13, v8 src0_sel:BYTE_3 src1_sel:DWORD
	s_andn2_b64 s[4:5], s[4:5], exec
	s_and_b64 s[8:9], s[8:9], exec
	s_or_b64 s[4:5], s[4:5], s[8:9]
	s_or_b64 exec, exec, s[6:7]
	s_and_saveexec_b64 s[6:7], s[4:5]
	s_cbranch_execnz .LBB30_1851
	s_branch .LBB30_1852
.LBB30_3901:
	s_movk_i32 s4, 0x80
	v_cmp_eq_u16_sdwa s[12:13], v9, s4 src0_sel:BYTE_3 src1_sel:DWORD
	s_mov_b64 s[4:5], -1
                                        ; implicit-def: $sgpr10
	s_and_saveexec_b64 s[8:9], s[12:13]
; %bb.3902:
	s_mov_b32 s10, 0x7f800001
	s_xor_b64 s[4:5], exec, -1
; %bb.3903:
	s_or_b64 exec, exec, s[8:9]
	s_and_b64 s[4:5], s[4:5], exec
	s_or_saveexec_b64 s[6:7], s[6:7]
	v_mov_b32_e32 v12, s10
	s_xor_b64 exec, exec, s[6:7]
	s_cbranch_execz .LBB30_1854
.LBB30_3904:
	v_mov_b32_e32 v12, 0
	v_cmp_ne_u16_sdwa s[8:9], v9, v12 src0_sel:BYTE_3 src1_sel:DWORD
	s_andn2_b64 s[4:5], s[4:5], exec
	s_and_b64 s[8:9], s[8:9], exec
	s_or_b64 s[4:5], s[4:5], s[8:9]
	s_or_b64 exec, exec, s[6:7]
	s_and_saveexec_b64 s[6:7], s[4:5]
	s_cbranch_execnz .LBB30_1855
	s_branch .LBB30_1856
.LBB30_3905:
	s_movk_i32 s4, 0x80
	v_cmp_eq_u16_sdwa s[12:13], v14, s4 src0_sel:BYTE_0 src1_sel:DWORD
	s_mov_b64 s[4:5], -1
                                        ; implicit-def: $sgpr10
	s_and_saveexec_b64 s[8:9], s[12:13]
; %bb.3906:
	s_mov_b32 s10, 0x7f800001
	s_xor_b64 s[4:5], exec, -1
; %bb.3907:
	s_or_b64 exec, exec, s[8:9]
	s_and_b64 s[4:5], s[4:5], exec
	s_or_saveexec_b64 s[6:7], s[6:7]
	v_mov_b32_e32 v8, s10
	s_xor_b64 exec, exec, s[6:7]
	s_cbranch_execz .LBB30_1858
.LBB30_3908:
	v_mov_b32_e32 v8, 0
	v_cmp_ne_u16_sdwa s[8:9], v14, v8 src0_sel:BYTE_0 src1_sel:DWORD
	s_andn2_b64 s[4:5], s[4:5], exec
	s_and_b64 s[8:9], s[8:9], exec
	s_or_b64 s[4:5], s[4:5], s[8:9]
	s_or_b64 exec, exec, s[6:7]
	s_and_saveexec_b64 s[6:7], s[4:5]
	s_cbranch_execnz .LBB30_1859
	s_branch .LBB30_1860
.LBB30_3909:
	s_movk_i32 s4, 0x80
	v_cmp_eq_u16_sdwa s[12:13], v10, s4 src0_sel:BYTE_0 src1_sel:DWORD
	s_mov_b64 s[4:5], -1
                                        ; implicit-def: $sgpr10
	s_and_saveexec_b64 s[8:9], s[12:13]
; %bb.3910:
	s_mov_b32 s10, 0x7f800001
	s_xor_b64 s[4:5], exec, -1
; %bb.3911:
	s_or_b64 exec, exec, s[8:9]
	s_and_b64 s[4:5], s[4:5], exec
	s_or_saveexec_b64 s[6:7], s[6:7]
	v_mov_b32_e32 v9, s10
	s_xor_b64 exec, exec, s[6:7]
	s_cbranch_execz .LBB30_1862
.LBB30_3912:
	v_mov_b32_e32 v9, 0
	v_cmp_ne_u16_sdwa s[8:9], v10, v9 src0_sel:BYTE_0 src1_sel:DWORD
	s_andn2_b64 s[4:5], s[4:5], exec
	s_and_b64 s[8:9], s[8:9], exec
	s_or_b64 s[4:5], s[4:5], s[8:9]
	s_or_b64 exec, exec, s[6:7]
	s_and_saveexec_b64 s[6:7], s[4:5]
	s_cbranch_execnz .LBB30_1863
	s_branch .LBB30_1864
.LBB30_3913:
	s_movk_i32 s4, 0x80
	v_cmp_eq_u16_sdwa s[12:13], v9, s4 src0_sel:BYTE_0 src1_sel:DWORD
	s_mov_b64 s[4:5], -1
                                        ; implicit-def: $sgpr10
	s_and_saveexec_b64 s[8:9], s[12:13]
; %bb.3914:
	s_mov_b32 s10, 0x7f800001
	s_xor_b64 s[4:5], exec, -1
; %bb.3915:
	s_or_b64 exec, exec, s[8:9]
	s_and_b64 s[4:5], s[4:5], exec
	s_or_saveexec_b64 s[6:7], s[6:7]
	v_mov_b32_e32 v8, s10
	s_xor_b64 exec, exec, s[6:7]
	s_cbranch_execz .LBB30_1866
.LBB30_3916:
	v_mov_b32_e32 v8, 0
	v_cmp_ne_u16_sdwa s[8:9], v9, v8 src0_sel:BYTE_0 src1_sel:DWORD
	s_andn2_b64 s[4:5], s[4:5], exec
	s_and_b64 s[8:9], s[8:9], exec
	s_or_b64 s[4:5], s[4:5], s[8:9]
	s_or_b64 exec, exec, s[6:7]
	s_and_saveexec_b64 s[6:7], s[4:5]
	s_cbranch_execnz .LBB30_1867
	s_branch .LBB30_1868
.LBB30_3917:
	s_movk_i32 s4, 0x80
	v_cmp_eq_u16_sdwa s[12:13], v9, s4 src0_sel:BYTE_0 src1_sel:DWORD
	s_mov_b64 s[4:5], -1
                                        ; implicit-def: $sgpr10
	s_and_saveexec_b64 s[8:9], s[12:13]
; %bb.3918:
	s_mov_b32 s10, 0x7f800001
	s_xor_b64 s[4:5], exec, -1
; %bb.3919:
	s_or_b64 exec, exec, s[8:9]
	s_and_b64 s[4:5], s[4:5], exec
	s_or_saveexec_b64 s[6:7], s[6:7]
	v_mov_b32_e32 v12, s10
	s_xor_b64 exec, exec, s[6:7]
	s_cbranch_execz .LBB30_1870
.LBB30_3920:
	v_mov_b32_e32 v12, 0
	v_cmp_ne_u16_sdwa s[8:9], v9, v12 src0_sel:BYTE_0 src1_sel:DWORD
	s_andn2_b64 s[4:5], s[4:5], exec
	s_and_b64 s[8:9], s[8:9], exec
	s_or_b64 s[4:5], s[4:5], s[8:9]
	s_or_b64 exec, exec, s[6:7]
	s_and_saveexec_b64 s[6:7], s[4:5]
	s_cbranch_execnz .LBB30_1871
	s_branch .LBB30_1872
.LBB30_3921:
	s_movk_i32 s4, 0x80
	v_cmp_eq_u16_e32 vcc, s4, v9
	s_mov_b64 s[4:5], -1
                                        ; implicit-def: $sgpr10
	s_and_saveexec_b64 s[8:9], vcc
; %bb.3922:
	s_mov_b32 s10, 0x7f800001
	s_xor_b64 s[4:5], exec, -1
; %bb.3923:
	s_or_b64 exec, exec, s[8:9]
	s_and_b64 s[4:5], s[4:5], exec
                                        ; implicit-def: $vgpr9
	s_or_saveexec_b64 s[6:7], s[6:7]
	v_mov_b32_e32 v8, s10
	s_xor_b64 exec, exec, s[6:7]
	s_cbranch_execz .LBB30_1874
.LBB30_3924:
	v_cmp_ne_u16_e32 vcc, 0, v9
	s_andn2_b64 s[4:5], s[4:5], exec
	s_and_b64 s[8:9], vcc, exec
	v_mov_b32_e32 v8, 0
	s_or_b64 s[4:5], s[4:5], s[8:9]
	s_or_b64 exec, exec, s[6:7]
	s_and_saveexec_b64 s[6:7], s[4:5]
	s_cbranch_execnz .LBB30_1875
	s_branch .LBB30_1876
.LBB30_3925:
	s_movk_i32 s4, 0x80
	v_cmp_eq_u16_e32 vcc, s4, v9
	s_mov_b64 s[4:5], -1
                                        ; implicit-def: $sgpr10
	s_and_saveexec_b64 s[8:9], vcc
; %bb.3926:
	s_mov_b32 s10, 0x7f800001
	s_xor_b64 s[4:5], exec, -1
; %bb.3927:
	s_or_b64 exec, exec, s[8:9]
	s_and_b64 s[4:5], s[4:5], exec
                                        ; implicit-def: $vgpr9
	s_or_saveexec_b64 s[6:7], s[6:7]
	v_mov_b32_e32 v12, s10
	s_xor_b64 exec, exec, s[6:7]
	s_cbranch_execz .LBB30_1878
.LBB30_3928:
	v_cmp_ne_u16_e32 vcc, 0, v9
	s_andn2_b64 s[4:5], s[4:5], exec
	s_and_b64 s[8:9], vcc, exec
	v_mov_b32_e32 v12, 0
	s_or_b64 s[4:5], s[4:5], s[8:9]
	s_or_b64 exec, exec, s[6:7]
	s_and_saveexec_b64 s[6:7], s[4:5]
	s_cbranch_execnz .LBB30_1879
	s_branch .LBB30_1880
.LBB30_3929:
	s_movk_i32 s4, 0x80
	v_cmp_eq_u16_sdwa s[12:13], v14, s4 src0_sel:BYTE_3 src1_sel:DWORD
	s_mov_b64 s[4:5], -1
                                        ; implicit-def: $sgpr10
	s_and_saveexec_b64 s[8:9], s[12:13]
; %bb.3930:
	s_mov_b32 s10, 0x7f800001
	s_xor_b64 s[4:5], exec, -1
; %bb.3931:
	s_or_b64 exec, exec, s[8:9]
	s_and_b64 s[4:5], s[4:5], exec
	s_or_saveexec_b64 s[6:7], s[6:7]
	v_mov_b32_e32 v8, s10
	s_xor_b64 exec, exec, s[6:7]
	s_cbranch_execz .LBB30_1882
.LBB30_3932:
	v_mov_b32_e32 v8, 0
	v_cmp_ne_u16_sdwa s[8:9], v14, v8 src0_sel:BYTE_3 src1_sel:DWORD
	s_andn2_b64 s[4:5], s[4:5], exec
	s_and_b64 s[8:9], s[8:9], exec
	s_or_b64 s[4:5], s[4:5], s[8:9]
	s_or_b64 exec, exec, s[6:7]
	s_and_saveexec_b64 s[6:7], s[4:5]
	s_cbranch_execnz .LBB30_1883
	s_branch .LBB30_1884
.LBB30_3933:
	s_movk_i32 s4, 0x80
	v_cmp_eq_u16_sdwa s[12:13], v10, s4 src0_sel:BYTE_3 src1_sel:DWORD
	s_mov_b64 s[4:5], -1
                                        ; implicit-def: $sgpr10
	s_and_saveexec_b64 s[8:9], s[12:13]
; %bb.3934:
	s_mov_b32 s10, 0x7f800001
	s_xor_b64 s[4:5], exec, -1
; %bb.3935:
	s_or_b64 exec, exec, s[8:9]
	s_and_b64 s[4:5], s[4:5], exec
	s_or_saveexec_b64 s[6:7], s[6:7]
	v_mov_b32_e32 v9, s10
	s_xor_b64 exec, exec, s[6:7]
	s_cbranch_execz .LBB30_1886
.LBB30_3936:
	v_mov_b32_e32 v9, 0
	v_cmp_ne_u16_sdwa s[8:9], v10, v9 src0_sel:BYTE_3 src1_sel:DWORD
	s_andn2_b64 s[4:5], s[4:5], exec
	s_and_b64 s[8:9], s[8:9], exec
	s_or_b64 s[4:5], s[4:5], s[8:9]
	s_or_b64 exec, exec, s[6:7]
	s_and_saveexec_b64 s[6:7], s[4:5]
	s_cbranch_execnz .LBB30_1887
	s_branch .LBB30_1888
.LBB30_3937:
	s_movk_i32 s4, 0x80
	v_cmp_eq_u16_sdwa s[12:13], v15, s4 src0_sel:BYTE_0 src1_sel:DWORD
	s_mov_b64 s[4:5], -1
                                        ; implicit-def: $sgpr10
	s_and_saveexec_b64 s[8:9], s[12:13]
; %bb.3938:
	s_mov_b32 s10, 0x7f800001
	s_xor_b64 s[4:5], exec, -1
; %bb.3939:
	s_or_b64 exec, exec, s[8:9]
	s_and_b64 s[4:5], s[4:5], exec
	s_or_saveexec_b64 s[6:7], s[6:7]
	v_mov_b32_e32 v8, s10
	s_xor_b64 exec, exec, s[6:7]
	s_cbranch_execz .LBB30_1890
.LBB30_3940:
	v_mov_b32_e32 v8, 0
	v_cmp_ne_u16_sdwa s[8:9], v15, v8 src0_sel:BYTE_0 src1_sel:DWORD
	s_andn2_b64 s[4:5], s[4:5], exec
	s_and_b64 s[8:9], s[8:9], exec
	s_or_b64 s[4:5], s[4:5], s[8:9]
	s_or_b64 exec, exec, s[6:7]
	s_and_saveexec_b64 s[6:7], s[4:5]
	s_cbranch_execnz .LBB30_1891
	s_branch .LBB30_1892
.LBB30_3941:
	s_movk_i32 s4, 0x80
	v_cmp_eq_u16_sdwa s[12:13], v11, s4 src0_sel:BYTE_0 src1_sel:DWORD
	s_mov_b64 s[4:5], -1
                                        ; implicit-def: $sgpr10
	s_and_saveexec_b64 s[8:9], s[12:13]
; %bb.3942:
	s_mov_b32 s10, 0x7f800001
	s_xor_b64 s[4:5], exec, -1
; %bb.3943:
	s_or_b64 exec, exec, s[8:9]
	s_and_b64 s[4:5], s[4:5], exec
	s_or_saveexec_b64 s[6:7], s[6:7]
	v_mov_b32_e32 v9, s10
	s_xor_b64 exec, exec, s[6:7]
	s_cbranch_execz .LBB30_1894
.LBB30_3944:
	v_mov_b32_e32 v9, 0
	v_cmp_ne_u16_sdwa s[8:9], v11, v9 src0_sel:BYTE_0 src1_sel:DWORD
	s_andn2_b64 s[4:5], s[4:5], exec
	s_and_b64 s[8:9], s[8:9], exec
	s_or_b64 s[4:5], s[4:5], s[8:9]
	s_or_b64 exec, exec, s[6:7]
	s_and_saveexec_b64 s[6:7], s[4:5]
	s_cbranch_execnz .LBB30_1895
	s_branch .LBB30_1896
.LBB30_3945:
	s_movk_i32 s4, 0x80
	v_cmp_eq_u16_sdwa s[12:13], v9, s4 src0_sel:BYTE_0 src1_sel:DWORD
	s_mov_b64 s[4:5], -1
                                        ; implicit-def: $sgpr10
	s_and_saveexec_b64 s[8:9], s[12:13]
; %bb.3946:
	s_mov_b32 s10, 0x7f800001
	s_xor_b64 s[4:5], exec, -1
; %bb.3947:
	s_or_b64 exec, exec, s[8:9]
	s_and_b64 s[4:5], s[4:5], exec
	s_or_saveexec_b64 s[6:7], s[6:7]
	v_mov_b32_e32 v8, s10
	s_xor_b64 exec, exec, s[6:7]
	s_cbranch_execz .LBB30_1898
.LBB30_3948:
	v_mov_b32_e32 v8, 0
	v_cmp_ne_u16_sdwa s[8:9], v9, v8 src0_sel:BYTE_0 src1_sel:DWORD
	s_andn2_b64 s[4:5], s[4:5], exec
	s_and_b64 s[8:9], s[8:9], exec
	s_or_b64 s[4:5], s[4:5], s[8:9]
	s_or_b64 exec, exec, s[6:7]
	s_and_saveexec_b64 s[6:7], s[4:5]
	s_cbranch_execnz .LBB30_1899
	s_branch .LBB30_1900
.LBB30_3949:
	s_movk_i32 s4, 0x80
	v_cmp_eq_u16_sdwa s[12:13], v9, s4 src0_sel:BYTE_0 src1_sel:DWORD
	s_mov_b64 s[4:5], -1
                                        ; implicit-def: $sgpr10
	s_and_saveexec_b64 s[8:9], s[12:13]
; %bb.3950:
	s_mov_b32 s10, 0x7f800001
	s_xor_b64 s[4:5], exec, -1
; %bb.3951:
	s_or_b64 exec, exec, s[8:9]
	s_and_b64 s[4:5], s[4:5], exec
	s_or_saveexec_b64 s[6:7], s[6:7]
	v_mov_b32_e32 v10, s10
	s_xor_b64 exec, exec, s[6:7]
	s_cbranch_execz .LBB30_1902
.LBB30_3952:
	v_mov_b32_e32 v10, 0
	v_cmp_ne_u16_sdwa s[8:9], v9, v10 src0_sel:BYTE_0 src1_sel:DWORD
	s_andn2_b64 s[4:5], s[4:5], exec
	s_and_b64 s[8:9], s[8:9], exec
	s_or_b64 s[4:5], s[4:5], s[8:9]
	s_or_b64 exec, exec, s[6:7]
	s_and_saveexec_b64 s[6:7], s[4:5]
	s_cbranch_execnz .LBB30_1903
	s_branch .LBB30_1904
.LBB30_3953:
	s_movk_i32 s4, 0x80
	v_cmp_eq_u16_e32 vcc, s4, v9
	s_mov_b64 s[4:5], -1
                                        ; implicit-def: $sgpr10
	s_and_saveexec_b64 s[8:9], vcc
; %bb.3954:
	s_mov_b32 s10, 0x7f800001
	s_xor_b64 s[4:5], exec, -1
; %bb.3955:
	s_or_b64 exec, exec, s[8:9]
	s_and_b64 s[4:5], s[4:5], exec
                                        ; implicit-def: $vgpr9
	s_or_saveexec_b64 s[6:7], s[6:7]
	v_mov_b32_e32 v8, s10
	s_xor_b64 exec, exec, s[6:7]
	s_cbranch_execz .LBB30_1906
.LBB30_3956:
	v_cmp_ne_u16_e32 vcc, 0, v9
	s_andn2_b64 s[4:5], s[4:5], exec
	s_and_b64 s[8:9], vcc, exec
	v_mov_b32_e32 v8, 0
	s_or_b64 s[4:5], s[4:5], s[8:9]
	s_or_b64 exec, exec, s[6:7]
	s_and_saveexec_b64 s[6:7], s[4:5]
	s_cbranch_execnz .LBB30_1907
	s_branch .LBB30_1908
.LBB30_3957:
	s_movk_i32 s4, 0x80
	v_cmp_eq_u16_e32 vcc, s4, v9
	s_mov_b64 s[4:5], -1
                                        ; implicit-def: $sgpr10
	s_and_saveexec_b64 s[8:9], vcc
; %bb.3958:
	s_mov_b32 s10, 0x7f800001
	s_xor_b64 s[4:5], exec, -1
; %bb.3959:
	s_or_b64 exec, exec, s[8:9]
	s_and_b64 s[4:5], s[4:5], exec
                                        ; implicit-def: $vgpr9
	s_or_saveexec_b64 s[6:7], s[6:7]
	v_mov_b32_e32 v10, s10
	s_xor_b64 exec, exec, s[6:7]
	s_cbranch_execz .LBB30_1910
.LBB30_3960:
	v_cmp_ne_u16_e32 vcc, 0, v9
	s_andn2_b64 s[4:5], s[4:5], exec
	s_and_b64 s[8:9], vcc, exec
	v_mov_b32_e32 v10, 0
	s_or_b64 s[4:5], s[4:5], s[8:9]
	s_or_b64 exec, exec, s[6:7]
	s_and_saveexec_b64 s[6:7], s[4:5]
	s_cbranch_execnz .LBB30_1911
	s_branch .LBB30_1912
.LBB30_3961:
	s_movk_i32 s4, 0x80
	v_cmp_eq_u16_sdwa s[12:13], v15, s4 src0_sel:BYTE_3 src1_sel:DWORD
	s_mov_b64 s[4:5], -1
                                        ; implicit-def: $sgpr10
	s_and_saveexec_b64 s[8:9], s[12:13]
; %bb.3962:
	s_mov_b32 s10, 0x7f800001
	s_xor_b64 s[4:5], exec, -1
; %bb.3963:
	s_or_b64 exec, exec, s[8:9]
	s_and_b64 s[4:5], s[4:5], exec
	s_or_saveexec_b64 s[6:7], s[6:7]
	v_mov_b32_e32 v8, s10
	s_xor_b64 exec, exec, s[6:7]
	s_cbranch_execz .LBB30_1914
.LBB30_3964:
	v_mov_b32_e32 v8, 0
	v_cmp_ne_u16_sdwa s[8:9], v15, v8 src0_sel:BYTE_3 src1_sel:DWORD
	s_andn2_b64 s[4:5], s[4:5], exec
	s_and_b64 s[8:9], s[8:9], exec
	s_or_b64 s[4:5], s[4:5], s[8:9]
	s_or_b64 exec, exec, s[6:7]
	s_and_saveexec_b64 s[6:7], s[4:5]
	s_cbranch_execnz .LBB30_1915
	s_branch .LBB30_1916
.LBB30_3965:
	s_movk_i32 s4, 0x80
	v_cmp_eq_u16_sdwa s[12:13], v11, s4 src0_sel:BYTE_3 src1_sel:DWORD
	s_mov_b64 s[4:5], -1
                                        ; implicit-def: $sgpr10
	s_and_saveexec_b64 s[8:9], s[12:13]
; %bb.3966:
	s_mov_b32 s10, 0x7f800001
	s_xor_b64 s[4:5], exec, -1
; %bb.3967:
	s_or_b64 exec, exec, s[8:9]
	s_and_b64 s[4:5], s[4:5], exec
	s_or_saveexec_b64 s[6:7], s[6:7]
	v_mov_b32_e32 v9, s10
	s_xor_b64 exec, exec, s[6:7]
	s_cbranch_execz .LBB30_1918
.LBB30_3968:
	v_mov_b32_e32 v9, 0
	v_cmp_ne_u16_sdwa s[8:9], v11, v9 src0_sel:BYTE_3 src1_sel:DWORD
	s_andn2_b64 s[4:5], s[4:5], exec
	s_and_b64 s[8:9], s[8:9], exec
	s_or_b64 s[4:5], s[4:5], s[8:9]
	s_or_b64 exec, exec, s[6:7]
	s_and_saveexec_b64 s[6:7], s[4:5]
	s_cbranch_execnz .LBB30_1919
	s_branch .LBB30_1920
.LBB30_3969:
	s_movk_i32 s4, 0x80
	v_cmp_eq_u16_sdwa s[12:13], v4, s4 src0_sel:BYTE_0 src1_sel:DWORD
	s_mov_b64 s[4:5], -1
                                        ; implicit-def: $sgpr10
	s_and_saveexec_b64 s[8:9], s[12:13]
; %bb.3970:
	s_mov_b32 s10, 0x7f800001
	s_xor_b64 s[4:5], exec, -1
; %bb.3971:
	s_or_b64 exec, exec, s[8:9]
	s_and_b64 s[4:5], s[4:5], exec
	s_or_saveexec_b64 s[6:7], s[6:7]
	v_mov_b32_e32 v8, s10
	s_xor_b64 exec, exec, s[6:7]
	s_cbranch_execz .LBB30_1922
.LBB30_3972:
	v_mov_b32_e32 v8, 0
	v_cmp_ne_u16_sdwa s[8:9], v4, v8 src0_sel:BYTE_0 src1_sel:DWORD
	s_andn2_b64 s[4:5], s[4:5], exec
	s_and_b64 s[8:9], s[8:9], exec
	s_or_b64 s[4:5], s[4:5], s[8:9]
	s_or_b64 exec, exec, s[6:7]
	s_and_saveexec_b64 s[6:7], s[4:5]
	s_cbranch_execnz .LBB30_1923
	s_branch .LBB30_1924
.LBB30_3973:
	s_movk_i32 s4, 0x80
	v_cmp_eq_u16_sdwa s[12:13], v0, s4 src0_sel:BYTE_0 src1_sel:DWORD
	s_mov_b64 s[4:5], -1
                                        ; implicit-def: $sgpr10
	s_and_saveexec_b64 s[8:9], s[12:13]
; %bb.3974:
	s_mov_b32 s10, 0x7f800001
	s_xor_b64 s[4:5], exec, -1
; %bb.3975:
	s_or_b64 exec, exec, s[8:9]
	s_and_b64 s[4:5], s[4:5], exec
	s_or_saveexec_b64 s[6:7], s[6:7]
	v_mov_b32_e32 v9, s10
	s_xor_b64 exec, exec, s[6:7]
	s_cbranch_execz .LBB30_1926
.LBB30_3976:
	v_mov_b32_e32 v9, 0
	v_cmp_ne_u16_sdwa s[8:9], v0, v9 src0_sel:BYTE_0 src1_sel:DWORD
	s_andn2_b64 s[4:5], s[4:5], exec
	s_and_b64 s[8:9], s[8:9], exec
	s_or_b64 s[4:5], s[4:5], s[8:9]
	s_or_b64 exec, exec, s[6:7]
	s_and_saveexec_b64 s[6:7], s[4:5]
	s_cbranch_execnz .LBB30_1927
	s_branch .LBB30_1928
.LBB30_3977:
	s_movk_i32 s4, 0x80
	v_cmp_eq_u16_sdwa s[12:13], v9, s4 src0_sel:BYTE_0 src1_sel:DWORD
	s_mov_b64 s[4:5], -1
                                        ; implicit-def: $sgpr10
	s_and_saveexec_b64 s[8:9], s[12:13]
; %bb.3978:
	s_mov_b32 s10, 0x7f800001
	s_xor_b64 s[4:5], exec, -1
; %bb.3979:
	s_or_b64 exec, exec, s[8:9]
	s_and_b64 s[4:5], s[4:5], exec
	s_or_saveexec_b64 s[6:7], s[6:7]
	v_mov_b32_e32 v8, s10
	s_xor_b64 exec, exec, s[6:7]
	s_cbranch_execz .LBB30_1930
.LBB30_3980:
	v_mov_b32_e32 v8, 0
	v_cmp_ne_u16_sdwa s[8:9], v9, v8 src0_sel:BYTE_0 src1_sel:DWORD
	s_andn2_b64 s[4:5], s[4:5], exec
	s_and_b64 s[8:9], s[8:9], exec
	s_or_b64 s[4:5], s[4:5], s[8:9]
	s_or_b64 exec, exec, s[6:7]
	s_and_saveexec_b64 s[6:7], s[4:5]
	s_cbranch_execnz .LBB30_1931
	s_branch .LBB30_1932
.LBB30_3981:
	s_movk_i32 s4, 0x80
	v_cmp_eq_u16_sdwa s[12:13], v9, s4 src0_sel:BYTE_0 src1_sel:DWORD
	s_mov_b64 s[4:5], -1
                                        ; implicit-def: $sgpr10
	s_and_saveexec_b64 s[8:9], s[12:13]
; %bb.3982:
	s_mov_b32 s10, 0x7f800001
	s_xor_b64 s[4:5], exec, -1
; %bb.3983:
	s_or_b64 exec, exec, s[8:9]
	s_and_b64 s[4:5], s[4:5], exec
	s_or_saveexec_b64 s[6:7], s[6:7]
	v_mov_b32_e32 v10, s10
	s_xor_b64 exec, exec, s[6:7]
	s_cbranch_execz .LBB30_1934
.LBB30_3984:
	v_mov_b32_e32 v10, 0
	v_cmp_ne_u16_sdwa s[8:9], v9, v10 src0_sel:BYTE_0 src1_sel:DWORD
	s_andn2_b64 s[4:5], s[4:5], exec
	s_and_b64 s[8:9], s[8:9], exec
	s_or_b64 s[4:5], s[4:5], s[8:9]
	s_or_b64 exec, exec, s[6:7]
	s_and_saveexec_b64 s[6:7], s[4:5]
	s_cbranch_execnz .LBB30_1935
	s_branch .LBB30_1936
.LBB30_3985:
	s_movk_i32 s4, 0x80
	v_cmp_eq_u16_e32 vcc, s4, v9
	s_mov_b64 s[4:5], -1
                                        ; implicit-def: $sgpr10
	s_and_saveexec_b64 s[8:9], vcc
; %bb.3986:
	s_mov_b32 s10, 0x7f800001
	s_xor_b64 s[4:5], exec, -1
; %bb.3987:
	s_or_b64 exec, exec, s[8:9]
	s_and_b64 s[4:5], s[4:5], exec
                                        ; implicit-def: $vgpr9
	s_or_saveexec_b64 s[6:7], s[6:7]
	v_mov_b32_e32 v8, s10
	s_xor_b64 exec, exec, s[6:7]
	s_cbranch_execz .LBB30_1938
.LBB30_3988:
	v_cmp_ne_u16_e32 vcc, 0, v9
	s_andn2_b64 s[4:5], s[4:5], exec
	s_and_b64 s[8:9], vcc, exec
	v_mov_b32_e32 v8, 0
	s_or_b64 s[4:5], s[4:5], s[8:9]
	s_or_b64 exec, exec, s[6:7]
	s_and_saveexec_b64 s[6:7], s[4:5]
	s_cbranch_execnz .LBB30_1939
	s_branch .LBB30_1940
.LBB30_3989:
	s_movk_i32 s4, 0x80
	v_cmp_eq_u16_e32 vcc, s4, v9
	s_mov_b64 s[4:5], -1
                                        ; implicit-def: $sgpr10
	s_and_saveexec_b64 s[8:9], vcc
; %bb.3990:
	s_mov_b32 s10, 0x7f800001
	s_xor_b64 s[4:5], exec, -1
; %bb.3991:
	s_or_b64 exec, exec, s[8:9]
	s_and_b64 s[4:5], s[4:5], exec
                                        ; implicit-def: $vgpr9
	s_or_saveexec_b64 s[6:7], s[6:7]
	v_mov_b32_e32 v10, s10
	s_xor_b64 exec, exec, s[6:7]
	s_cbranch_execz .LBB30_1942
.LBB30_3992:
	v_cmp_ne_u16_e32 vcc, 0, v9
	s_andn2_b64 s[4:5], s[4:5], exec
	s_and_b64 s[8:9], vcc, exec
	v_mov_b32_e32 v10, 0
	s_or_b64 s[4:5], s[4:5], s[8:9]
	s_or_b64 exec, exec, s[6:7]
	s_and_saveexec_b64 s[6:7], s[4:5]
	s_cbranch_execnz .LBB30_1943
	s_branch .LBB30_1944
.LBB30_3993:
	s_movk_i32 s4, 0x80
	v_cmp_eq_u16_sdwa s[12:13], v4, s4 src0_sel:BYTE_3 src1_sel:DWORD
	s_mov_b64 s[4:5], -1
                                        ; implicit-def: $sgpr10
	s_and_saveexec_b64 s[8:9], s[12:13]
; %bb.3994:
	s_mov_b32 s10, 0x7f800001
	s_xor_b64 s[4:5], exec, -1
; %bb.3995:
	s_or_b64 exec, exec, s[8:9]
	s_and_b64 s[4:5], s[4:5], exec
	s_or_saveexec_b64 s[6:7], s[6:7]
	v_mov_b32_e32 v8, s10
	s_xor_b64 exec, exec, s[6:7]
	s_cbranch_execz .LBB30_1946
.LBB30_3996:
	v_mov_b32_e32 v8, 0
	v_cmp_ne_u16_sdwa s[8:9], v4, v8 src0_sel:BYTE_3 src1_sel:DWORD
	s_andn2_b64 s[4:5], s[4:5], exec
	s_and_b64 s[8:9], s[8:9], exec
	s_or_b64 s[4:5], s[4:5], s[8:9]
	s_or_b64 exec, exec, s[6:7]
	s_and_saveexec_b64 s[6:7], s[4:5]
	s_cbranch_execnz .LBB30_1947
	s_branch .LBB30_1948
.LBB30_3997:
	s_movk_i32 s4, 0x80
	v_cmp_eq_u16_sdwa s[12:13], v0, s4 src0_sel:BYTE_3 src1_sel:DWORD
	s_mov_b64 s[4:5], -1
                                        ; implicit-def: $sgpr10
	s_and_saveexec_b64 s[8:9], s[12:13]
; %bb.3998:
	s_mov_b32 s10, 0x7f800001
	s_xor_b64 s[4:5], exec, -1
; %bb.3999:
	s_or_b64 exec, exec, s[8:9]
	s_and_b64 s[4:5], s[4:5], exec
	s_or_saveexec_b64 s[6:7], s[6:7]
	v_mov_b32_e32 v4, s10
	s_xor_b64 exec, exec, s[6:7]
	s_cbranch_execz .LBB30_1950
.LBB30_4000:
	v_mov_b32_e32 v4, 0
	v_cmp_ne_u16_sdwa s[8:9], v0, v4 src0_sel:BYTE_3 src1_sel:DWORD
	s_andn2_b64 s[4:5], s[4:5], exec
	s_and_b64 s[8:9], s[8:9], exec
	s_or_b64 s[4:5], s[4:5], s[8:9]
	s_or_b64 exec, exec, s[6:7]
	s_and_saveexec_b64 s[6:7], s[4:5]
	s_cbranch_execnz .LBB30_1951
	s_branch .LBB30_1952
.LBB30_4001:
	s_movk_i32 s4, 0x80
	v_cmp_eq_u16_sdwa s[12:13], v5, s4 src0_sel:BYTE_0 src1_sel:DWORD
	s_mov_b64 s[4:5], -1
                                        ; implicit-def: $sgpr10
	s_and_saveexec_b64 s[8:9], s[12:13]
; %bb.4002:
	s_mov_b32 s10, 0x7f800001
	s_xor_b64 s[4:5], exec, -1
; %bb.4003:
	s_or_b64 exec, exec, s[8:9]
	s_and_b64 s[4:5], s[4:5], exec
	s_or_saveexec_b64 s[6:7], s[6:7]
	v_mov_b32_e32 v0, s10
	s_xor_b64 exec, exec, s[6:7]
	s_cbranch_execz .LBB30_1954
.LBB30_4004:
	v_mov_b32_e32 v0, 0
	v_cmp_ne_u16_sdwa s[8:9], v5, v0 src0_sel:BYTE_0 src1_sel:DWORD
	s_andn2_b64 s[4:5], s[4:5], exec
	s_and_b64 s[8:9], s[8:9], exec
	s_or_b64 s[4:5], s[4:5], s[8:9]
	s_or_b64 exec, exec, s[6:7]
	s_and_saveexec_b64 s[6:7], s[4:5]
	s_cbranch_execnz .LBB30_1955
	s_branch .LBB30_1956
.LBB30_4005:
	s_movk_i32 s4, 0x80
	v_cmp_eq_u16_sdwa s[12:13], v1, s4 src0_sel:BYTE_0 src1_sel:DWORD
	s_mov_b64 s[4:5], -1
                                        ; implicit-def: $sgpr10
	s_and_saveexec_b64 s[8:9], s[12:13]
; %bb.4006:
	s_mov_b32 s10, 0x7f800001
	s_xor_b64 s[4:5], exec, -1
; %bb.4007:
	s_or_b64 exec, exec, s[8:9]
	s_and_b64 s[4:5], s[4:5], exec
	s_or_saveexec_b64 s[6:7], s[6:7]
	v_mov_b32_e32 v4, s10
	s_xor_b64 exec, exec, s[6:7]
	s_cbranch_execz .LBB30_1958
.LBB30_4008:
	v_mov_b32_e32 v4, 0
	v_cmp_ne_u16_sdwa s[8:9], v1, v4 src0_sel:BYTE_0 src1_sel:DWORD
	s_andn2_b64 s[4:5], s[4:5], exec
	s_and_b64 s[8:9], s[8:9], exec
	s_or_b64 s[4:5], s[4:5], s[8:9]
	s_or_b64 exec, exec, s[6:7]
	s_and_saveexec_b64 s[6:7], s[4:5]
	s_cbranch_execnz .LBB30_1959
	s_branch .LBB30_1960
.LBB30_4009:
	s_movk_i32 s4, 0x80
	v_cmp_eq_u16_sdwa s[12:13], v4, s4 src0_sel:BYTE_0 src1_sel:DWORD
	s_mov_b64 s[4:5], -1
                                        ; implicit-def: $sgpr10
	s_and_saveexec_b64 s[8:9], s[12:13]
; %bb.4010:
	s_mov_b32 s10, 0x7f800001
	s_xor_b64 s[4:5], exec, -1
; %bb.4011:
	s_or_b64 exec, exec, s[8:9]
	s_and_b64 s[4:5], s[4:5], exec
	s_or_saveexec_b64 s[6:7], s[6:7]
	v_mov_b32_e32 v0, s10
	s_xor_b64 exec, exec, s[6:7]
	s_cbranch_execz .LBB30_1962
.LBB30_4012:
	v_mov_b32_e32 v0, 0
	v_cmp_ne_u16_sdwa s[8:9], v4, v0 src0_sel:BYTE_0 src1_sel:DWORD
	s_andn2_b64 s[4:5], s[4:5], exec
	s_and_b64 s[8:9], s[8:9], exec
	s_or_b64 s[4:5], s[4:5], s[8:9]
	s_or_b64 exec, exec, s[6:7]
	s_and_saveexec_b64 s[6:7], s[4:5]
	s_cbranch_execnz .LBB30_1963
	s_branch .LBB30_1964
.LBB30_4013:
	s_movk_i32 s4, 0x80
	v_cmp_eq_u16_sdwa s[12:13], v4, s4 src0_sel:BYTE_0 src1_sel:DWORD
	s_mov_b64 s[4:5], -1
                                        ; implicit-def: $sgpr10
	s_and_saveexec_b64 s[8:9], s[12:13]
; %bb.4014:
	s_mov_b32 s10, 0x7f800001
	s_xor_b64 s[4:5], exec, -1
; %bb.4015:
	s_or_b64 exec, exec, s[8:9]
	s_and_b64 s[4:5], s[4:5], exec
	s_or_saveexec_b64 s[6:7], s[6:7]
	v_mov_b32_e32 v8, s10
	s_xor_b64 exec, exec, s[6:7]
	s_cbranch_execz .LBB30_1966
.LBB30_4016:
	v_mov_b32_e32 v8, 0
	v_cmp_ne_u16_sdwa s[8:9], v4, v8 src0_sel:BYTE_0 src1_sel:DWORD
	s_andn2_b64 s[4:5], s[4:5], exec
	s_and_b64 s[8:9], s[8:9], exec
	s_or_b64 s[4:5], s[4:5], s[8:9]
	s_or_b64 exec, exec, s[6:7]
	s_and_saveexec_b64 s[6:7], s[4:5]
	s_cbranch_execnz .LBB30_1967
	s_branch .LBB30_1968
.LBB30_4017:
	s_movk_i32 s4, 0x80
	v_cmp_eq_u16_e32 vcc, s4, v4
	s_mov_b64 s[4:5], -1
                                        ; implicit-def: $sgpr10
	s_and_saveexec_b64 s[8:9], vcc
; %bb.4018:
	s_mov_b32 s10, 0x7f800001
	s_xor_b64 s[4:5], exec, -1
; %bb.4019:
	s_or_b64 exec, exec, s[8:9]
	s_and_b64 s[4:5], s[4:5], exec
                                        ; implicit-def: $vgpr4
	s_or_saveexec_b64 s[6:7], s[6:7]
	v_mov_b32_e32 v0, s10
	s_xor_b64 exec, exec, s[6:7]
	s_cbranch_execz .LBB30_1970
.LBB30_4020:
	v_cmp_ne_u16_e32 vcc, 0, v4
	s_andn2_b64 s[4:5], s[4:5], exec
	s_and_b64 s[8:9], vcc, exec
	v_mov_b32_e32 v0, 0
	s_or_b64 s[4:5], s[4:5], s[8:9]
	s_or_b64 exec, exec, s[6:7]
	s_and_saveexec_b64 s[6:7], s[4:5]
	s_cbranch_execnz .LBB30_1971
	s_branch .LBB30_1972
.LBB30_4021:
	s_movk_i32 s4, 0x80
	v_cmp_eq_u16_e32 vcc, s4, v4
	s_mov_b64 s[4:5], -1
                                        ; implicit-def: $sgpr10
	s_and_saveexec_b64 s[8:9], vcc
; %bb.4022:
	s_mov_b32 s10, 0x7f800001
	s_xor_b64 s[4:5], exec, -1
; %bb.4023:
	s_or_b64 exec, exec, s[8:9]
	s_and_b64 s[4:5], s[4:5], exec
                                        ; implicit-def: $vgpr4
	s_or_saveexec_b64 s[6:7], s[6:7]
	v_mov_b32_e32 v8, s10
	s_xor_b64 exec, exec, s[6:7]
	s_cbranch_execz .LBB30_1974
.LBB30_4024:
	v_cmp_ne_u16_e32 vcc, 0, v4
	s_andn2_b64 s[4:5], s[4:5], exec
	s_and_b64 s[8:9], vcc, exec
	v_mov_b32_e32 v8, 0
	s_or_b64 s[4:5], s[4:5], s[8:9]
	s_or_b64 exec, exec, s[6:7]
	s_and_saveexec_b64 s[6:7], s[4:5]
	s_cbranch_execnz .LBB30_1975
	s_branch .LBB30_1976
.LBB30_4025:
	s_movk_i32 s4, 0x80
	v_cmp_eq_u16_sdwa s[12:13], v5, s4 src0_sel:BYTE_3 src1_sel:DWORD
	s_mov_b64 s[4:5], -1
                                        ; implicit-def: $sgpr10
	s_and_saveexec_b64 s[8:9], s[12:13]
; %bb.4026:
	s_mov_b32 s10, 0x7f800001
	s_xor_b64 s[4:5], exec, -1
; %bb.4027:
	s_or_b64 exec, exec, s[8:9]
	s_and_b64 s[4:5], s[4:5], exec
	s_or_saveexec_b64 s[6:7], s[6:7]
	v_mov_b32_e32 v0, s10
	s_xor_b64 exec, exec, s[6:7]
	s_cbranch_execz .LBB30_1978
.LBB30_4028:
	v_mov_b32_e32 v0, 0
	v_cmp_ne_u16_sdwa s[8:9], v5, v0 src0_sel:BYTE_3 src1_sel:DWORD
	s_andn2_b64 s[4:5], s[4:5], exec
	s_and_b64 s[8:9], s[8:9], exec
	s_or_b64 s[4:5], s[4:5], s[8:9]
	s_or_b64 exec, exec, s[6:7]
	s_and_saveexec_b64 s[6:7], s[4:5]
	s_cbranch_execnz .LBB30_1979
	s_branch .LBB30_1980
.LBB30_4029:
	s_movk_i32 s4, 0x80
	v_cmp_eq_u16_sdwa s[12:13], v1, s4 src0_sel:BYTE_3 src1_sel:DWORD
	s_mov_b64 s[4:5], -1
                                        ; implicit-def: $sgpr10
	s_and_saveexec_b64 s[8:9], s[12:13]
; %bb.4030:
	s_mov_b32 s10, 0x7f800001
	s_xor_b64 s[4:5], exec, -1
; %bb.4031:
	s_or_b64 exec, exec, s[8:9]
	s_and_b64 s[4:5], s[4:5], exec
	s_or_saveexec_b64 s[6:7], s[6:7]
	v_mov_b32_e32 v4, s10
	s_xor_b64 exec, exec, s[6:7]
	s_cbranch_execz .LBB30_1982
.LBB30_4032:
	v_mov_b32_e32 v4, 0
	v_cmp_ne_u16_sdwa s[8:9], v1, v4 src0_sel:BYTE_3 src1_sel:DWORD
	s_andn2_b64 s[4:5], s[4:5], exec
	s_and_b64 s[8:9], s[8:9], exec
	s_or_b64 s[4:5], s[4:5], s[8:9]
	s_or_b64 exec, exec, s[6:7]
	s_and_saveexec_b64 s[6:7], s[4:5]
	s_cbranch_execnz .LBB30_1983
	s_branch .LBB30_1984
.LBB30_4033:
	s_movk_i32 s4, 0x80
	v_cmp_eq_u16_sdwa s[12:13], v6, s4 src0_sel:BYTE_0 src1_sel:DWORD
	s_mov_b64 s[4:5], -1
                                        ; implicit-def: $sgpr10
	s_and_saveexec_b64 s[8:9], s[12:13]
; %bb.4034:
	s_mov_b32 s10, 0x7f800001
	s_xor_b64 s[4:5], exec, -1
; %bb.4035:
	s_or_b64 exec, exec, s[8:9]
	s_and_b64 s[4:5], s[4:5], exec
	s_or_saveexec_b64 s[6:7], s[6:7]
	v_mov_b32_e32 v0, s10
	s_xor_b64 exec, exec, s[6:7]
	s_cbranch_execz .LBB30_1986
.LBB30_4036:
	v_mov_b32_e32 v0, 0
	v_cmp_ne_u16_sdwa s[8:9], v6, v0 src0_sel:BYTE_0 src1_sel:DWORD
	s_andn2_b64 s[4:5], s[4:5], exec
	s_and_b64 s[8:9], s[8:9], exec
	s_or_b64 s[4:5], s[4:5], s[8:9]
	s_or_b64 exec, exec, s[6:7]
	s_and_saveexec_b64 s[6:7], s[4:5]
	s_cbranch_execnz .LBB30_1987
	s_branch .LBB30_1988
.LBB30_4037:
	s_movk_i32 s4, 0x80
	v_cmp_eq_u16_sdwa s[12:13], v2, s4 src0_sel:BYTE_0 src1_sel:DWORD
	s_mov_b64 s[4:5], -1
                                        ; implicit-def: $sgpr10
	s_and_saveexec_b64 s[8:9], s[12:13]
; %bb.4038:
	s_mov_b32 s10, 0x7f800001
	s_xor_b64 s[4:5], exec, -1
; %bb.4039:
	s_or_b64 exec, exec, s[8:9]
	s_and_b64 s[4:5], s[4:5], exec
	s_or_saveexec_b64 s[6:7], s[6:7]
	v_mov_b32_e32 v1, s10
	s_xor_b64 exec, exec, s[6:7]
	s_cbranch_execz .LBB30_1990
.LBB30_4040:
	v_mov_b32_e32 v1, 0
	v_cmp_ne_u16_sdwa s[8:9], v2, v1 src0_sel:BYTE_0 src1_sel:DWORD
	s_andn2_b64 s[4:5], s[4:5], exec
	s_and_b64 s[8:9], s[8:9], exec
	s_or_b64 s[4:5], s[4:5], s[8:9]
	s_or_b64 exec, exec, s[6:7]
	s_and_saveexec_b64 s[6:7], s[4:5]
	s_cbranch_execnz .LBB30_1991
	s_branch .LBB30_1992
.LBB30_4041:
	s_movk_i32 s4, 0x80
	v_cmp_eq_u16_sdwa s[12:13], v1, s4 src0_sel:BYTE_0 src1_sel:DWORD
	s_mov_b64 s[4:5], -1
                                        ; implicit-def: $sgpr10
	s_and_saveexec_b64 s[8:9], s[12:13]
; %bb.4042:
	s_mov_b32 s10, 0x7f800001
	s_xor_b64 s[4:5], exec, -1
; %bb.4043:
	s_or_b64 exec, exec, s[8:9]
	s_and_b64 s[4:5], s[4:5], exec
	s_or_saveexec_b64 s[6:7], s[6:7]
	v_mov_b32_e32 v0, s10
	s_xor_b64 exec, exec, s[6:7]
	s_cbranch_execz .LBB30_1994
.LBB30_4044:
	v_mov_b32_e32 v0, 0
	v_cmp_ne_u16_sdwa s[8:9], v1, v0 src0_sel:BYTE_0 src1_sel:DWORD
	s_andn2_b64 s[4:5], s[4:5], exec
	s_and_b64 s[8:9], s[8:9], exec
	s_or_b64 s[4:5], s[4:5], s[8:9]
	s_or_b64 exec, exec, s[6:7]
	s_and_saveexec_b64 s[6:7], s[4:5]
	s_cbranch_execnz .LBB30_1995
	s_branch .LBB30_1996
.LBB30_4045:
	s_movk_i32 s4, 0x80
	v_cmp_eq_u16_sdwa s[12:13], v1, s4 src0_sel:BYTE_0 src1_sel:DWORD
	s_mov_b64 s[4:5], -1
                                        ; implicit-def: $sgpr10
	s_and_saveexec_b64 s[8:9], s[12:13]
; %bb.4046:
	s_mov_b32 s10, 0x7f800001
	s_xor_b64 s[4:5], exec, -1
; %bb.4047:
	s_or_b64 exec, exec, s[8:9]
	s_and_b64 s[4:5], s[4:5], exec
	s_or_saveexec_b64 s[6:7], s[6:7]
	v_mov_b32_e32 v4, s10
	s_xor_b64 exec, exec, s[6:7]
	s_cbranch_execz .LBB30_1998
.LBB30_4048:
	v_mov_b32_e32 v4, 0
	v_cmp_ne_u16_sdwa s[8:9], v1, v4 src0_sel:BYTE_0 src1_sel:DWORD
	s_andn2_b64 s[4:5], s[4:5], exec
	s_and_b64 s[8:9], s[8:9], exec
	s_or_b64 s[4:5], s[4:5], s[8:9]
	s_or_b64 exec, exec, s[6:7]
	s_and_saveexec_b64 s[6:7], s[4:5]
	s_cbranch_execnz .LBB30_1999
	s_branch .LBB30_2000
.LBB30_4049:
	s_movk_i32 s4, 0x80
	v_cmp_eq_u16_e32 vcc, s4, v1
	s_mov_b64 s[4:5], -1
                                        ; implicit-def: $sgpr10
	s_and_saveexec_b64 s[8:9], vcc
; %bb.4050:
	s_mov_b32 s10, 0x7f800001
	s_xor_b64 s[4:5], exec, -1
; %bb.4051:
	s_or_b64 exec, exec, s[8:9]
	s_and_b64 s[4:5], s[4:5], exec
                                        ; implicit-def: $vgpr1
	s_or_saveexec_b64 s[6:7], s[6:7]
	v_mov_b32_e32 v0, s10
	s_xor_b64 exec, exec, s[6:7]
	s_cbranch_execz .LBB30_2002
.LBB30_4052:
	v_cmp_ne_u16_e32 vcc, 0, v1
	s_andn2_b64 s[4:5], s[4:5], exec
	s_and_b64 s[8:9], vcc, exec
	v_mov_b32_e32 v0, 0
	s_or_b64 s[4:5], s[4:5], s[8:9]
	s_or_b64 exec, exec, s[6:7]
	s_and_saveexec_b64 s[6:7], s[4:5]
	s_cbranch_execnz .LBB30_2003
	s_branch .LBB30_2004
.LBB30_4053:
	s_movk_i32 s4, 0x80
	v_cmp_eq_u16_e32 vcc, s4, v1
	s_mov_b64 s[4:5], -1
                                        ; implicit-def: $sgpr10
	s_and_saveexec_b64 s[8:9], vcc
; %bb.4054:
	s_mov_b32 s10, 0x7f800001
	s_xor_b64 s[4:5], exec, -1
; %bb.4055:
	s_or_b64 exec, exec, s[8:9]
	s_and_b64 s[4:5], s[4:5], exec
                                        ; implicit-def: $vgpr1
	s_or_saveexec_b64 s[6:7], s[6:7]
	v_mov_b32_e32 v4, s10
	s_xor_b64 exec, exec, s[6:7]
	s_cbranch_execz .LBB30_2006
.LBB30_4056:
	v_cmp_ne_u16_e32 vcc, 0, v1
	s_andn2_b64 s[4:5], s[4:5], exec
	s_and_b64 s[8:9], vcc, exec
	v_mov_b32_e32 v4, 0
	s_or_b64 s[4:5], s[4:5], s[8:9]
	s_or_b64 exec, exec, s[6:7]
	s_and_saveexec_b64 s[6:7], s[4:5]
	s_cbranch_execnz .LBB30_2007
	s_branch .LBB30_2008
.LBB30_4057:
	s_movk_i32 s4, 0x80
	v_cmp_eq_u16_sdwa s[12:13], v6, s4 src0_sel:BYTE_3 src1_sel:DWORD
	s_mov_b64 s[4:5], -1
                                        ; implicit-def: $sgpr10
	s_and_saveexec_b64 s[8:9], s[12:13]
; %bb.4058:
	s_mov_b32 s10, 0x7f800001
	s_xor_b64 s[4:5], exec, -1
; %bb.4059:
	s_or_b64 exec, exec, s[8:9]
	s_and_b64 s[4:5], s[4:5], exec
	s_or_saveexec_b64 s[6:7], s[6:7]
	v_mov_b32_e32 v0, s10
	s_xor_b64 exec, exec, s[6:7]
	s_cbranch_execz .LBB30_2010
.LBB30_4060:
	v_mov_b32_e32 v0, 0
	v_cmp_ne_u16_sdwa s[8:9], v6, v0 src0_sel:BYTE_3 src1_sel:DWORD
	s_andn2_b64 s[4:5], s[4:5], exec
	s_and_b64 s[8:9], s[8:9], exec
	s_or_b64 s[4:5], s[4:5], s[8:9]
	s_or_b64 exec, exec, s[6:7]
	s_and_saveexec_b64 s[6:7], s[4:5]
	s_cbranch_execnz .LBB30_2011
	s_branch .LBB30_2012
.LBB30_4061:
	s_movk_i32 s4, 0x80
	v_cmp_eq_u16_sdwa s[12:13], v2, s4 src0_sel:BYTE_3 src1_sel:DWORD
	s_mov_b64 s[4:5], -1
                                        ; implicit-def: $sgpr10
	s_and_saveexec_b64 s[8:9], s[12:13]
; %bb.4062:
	s_mov_b32 s10, 0x7f800001
	s_xor_b64 s[4:5], exec, -1
; %bb.4063:
	s_or_b64 exec, exec, s[8:9]
	s_and_b64 s[4:5], s[4:5], exec
	s_or_saveexec_b64 s[6:7], s[6:7]
	v_mov_b32_e32 v1, s10
	s_xor_b64 exec, exec, s[6:7]
	s_cbranch_execz .LBB30_2014
.LBB30_4064:
	v_mov_b32_e32 v1, 0
	v_cmp_ne_u16_sdwa s[8:9], v2, v1 src0_sel:BYTE_3 src1_sel:DWORD
	s_andn2_b64 s[4:5], s[4:5], exec
	s_and_b64 s[8:9], s[8:9], exec
	s_or_b64 s[4:5], s[4:5], s[8:9]
	s_or_b64 exec, exec, s[6:7]
	s_and_saveexec_b64 s[6:7], s[4:5]
	s_cbranch_execnz .LBB30_2015
	s_branch .LBB30_2016
.LBB30_4065:
	s_movk_i32 s4, 0x80
	v_cmp_eq_u16_sdwa s[12:13], v7, s4 src0_sel:BYTE_0 src1_sel:DWORD
	s_mov_b64 s[4:5], -1
                                        ; implicit-def: $sgpr10
	s_and_saveexec_b64 s[8:9], s[12:13]
; %bb.4066:
	s_mov_b32 s10, 0x7f800001
	s_xor_b64 s[4:5], exec, -1
; %bb.4067:
	s_or_b64 exec, exec, s[8:9]
	s_and_b64 s[4:5], s[4:5], exec
	s_or_saveexec_b64 s[6:7], s[6:7]
	v_mov_b32_e32 v0, s10
	s_xor_b64 exec, exec, s[6:7]
	s_cbranch_execz .LBB30_2018
.LBB30_4068:
	v_mov_b32_e32 v0, 0
	v_cmp_ne_u16_sdwa s[8:9], v7, v0 src0_sel:BYTE_0 src1_sel:DWORD
	s_andn2_b64 s[4:5], s[4:5], exec
	s_and_b64 s[8:9], s[8:9], exec
	s_or_b64 s[4:5], s[4:5], s[8:9]
	s_or_b64 exec, exec, s[6:7]
	s_and_saveexec_b64 s[6:7], s[4:5]
	s_cbranch_execnz .LBB30_2019
	s_branch .LBB30_2020
.LBB30_4069:
	s_movk_i32 s4, 0x80
	v_cmp_eq_u16_sdwa s[12:13], v3, s4 src0_sel:BYTE_0 src1_sel:DWORD
	s_mov_b64 s[4:5], -1
                                        ; implicit-def: $sgpr10
	s_and_saveexec_b64 s[8:9], s[12:13]
; %bb.4070:
	s_mov_b32 s10, 0x7f800001
	s_xor_b64 s[4:5], exec, -1
; %bb.4071:
	s_or_b64 exec, exec, s[8:9]
	s_and_b64 s[4:5], s[4:5], exec
	s_or_saveexec_b64 s[6:7], s[6:7]
	v_mov_b32_e32 v1, s10
	s_xor_b64 exec, exec, s[6:7]
	s_cbranch_execz .LBB30_2022
.LBB30_4072:
	v_mov_b32_e32 v1, 0
	v_cmp_ne_u16_sdwa s[8:9], v3, v1 src0_sel:BYTE_0 src1_sel:DWORD
	s_andn2_b64 s[4:5], s[4:5], exec
	s_and_b64 s[8:9], s[8:9], exec
	s_or_b64 s[4:5], s[4:5], s[8:9]
	s_or_b64 exec, exec, s[6:7]
	s_and_saveexec_b64 s[6:7], s[4:5]
	s_cbranch_execnz .LBB30_2023
	s_branch .LBB30_2024
.LBB30_4073:
	s_movk_i32 s4, 0x80
	v_cmp_eq_u16_sdwa s[12:13], v1, s4 src0_sel:BYTE_0 src1_sel:DWORD
	s_mov_b64 s[4:5], -1
                                        ; implicit-def: $sgpr10
	s_and_saveexec_b64 s[8:9], s[12:13]
; %bb.4074:
	s_mov_b32 s10, 0x7f800001
	s_xor_b64 s[4:5], exec, -1
; %bb.4075:
	s_or_b64 exec, exec, s[8:9]
	s_and_b64 s[4:5], s[4:5], exec
	s_or_saveexec_b64 s[6:7], s[6:7]
	v_mov_b32_e32 v0, s10
	s_xor_b64 exec, exec, s[6:7]
	s_cbranch_execz .LBB30_2026
.LBB30_4076:
	v_mov_b32_e32 v0, 0
	v_cmp_ne_u16_sdwa s[8:9], v1, v0 src0_sel:BYTE_0 src1_sel:DWORD
	s_andn2_b64 s[4:5], s[4:5], exec
	s_and_b64 s[8:9], s[8:9], exec
	s_or_b64 s[4:5], s[4:5], s[8:9]
	s_or_b64 exec, exec, s[6:7]
	s_and_saveexec_b64 s[6:7], s[4:5]
	s_cbranch_execnz .LBB30_2027
	s_branch .LBB30_2028
.LBB30_4077:
	s_movk_i32 s4, 0x80
	v_cmp_eq_u16_sdwa s[12:13], v1, s4 src0_sel:BYTE_0 src1_sel:DWORD
	s_mov_b64 s[4:5], -1
                                        ; implicit-def: $sgpr10
	s_and_saveexec_b64 s[8:9], s[12:13]
; %bb.4078:
	s_mov_b32 s10, 0x7f800001
	s_xor_b64 s[4:5], exec, -1
; %bb.4079:
	s_or_b64 exec, exec, s[8:9]
	s_and_b64 s[4:5], s[4:5], exec
	s_or_saveexec_b64 s[6:7], s[6:7]
	v_mov_b32_e32 v2, s10
	s_xor_b64 exec, exec, s[6:7]
	s_cbranch_execz .LBB30_2030
.LBB30_4080:
	v_mov_b32_e32 v2, 0
	v_cmp_ne_u16_sdwa s[8:9], v1, v2 src0_sel:BYTE_0 src1_sel:DWORD
	s_andn2_b64 s[4:5], s[4:5], exec
	s_and_b64 s[8:9], s[8:9], exec
	s_or_b64 s[4:5], s[4:5], s[8:9]
	s_or_b64 exec, exec, s[6:7]
	s_and_saveexec_b64 s[6:7], s[4:5]
	s_cbranch_execnz .LBB30_2031
	s_branch .LBB30_2032
.LBB30_4081:
	s_movk_i32 s4, 0x80
	v_cmp_eq_u16_e32 vcc, s4, v1
	s_mov_b64 s[4:5], -1
                                        ; implicit-def: $sgpr10
	s_and_saveexec_b64 s[8:9], vcc
; %bb.4082:
	s_mov_b32 s10, 0x7f800001
	s_xor_b64 s[4:5], exec, -1
; %bb.4083:
	s_or_b64 exec, exec, s[8:9]
	s_and_b64 s[4:5], s[4:5], exec
                                        ; implicit-def: $vgpr1
	s_or_saveexec_b64 s[6:7], s[6:7]
	v_mov_b32_e32 v0, s10
	s_xor_b64 exec, exec, s[6:7]
	s_cbranch_execz .LBB30_2034
.LBB30_4084:
	v_cmp_ne_u16_e32 vcc, 0, v1
	s_andn2_b64 s[4:5], s[4:5], exec
	s_and_b64 s[8:9], vcc, exec
	v_mov_b32_e32 v0, 0
	s_or_b64 s[4:5], s[4:5], s[8:9]
	s_or_b64 exec, exec, s[6:7]
	s_and_saveexec_b64 s[6:7], s[4:5]
	s_cbranch_execnz .LBB30_2035
	s_branch .LBB30_2036
.LBB30_4085:
	s_movk_i32 s4, 0x80
	v_cmp_eq_u16_e32 vcc, s4, v1
	s_mov_b64 s[4:5], -1
                                        ; implicit-def: $sgpr10
	s_and_saveexec_b64 s[8:9], vcc
; %bb.4086:
	s_mov_b32 s10, 0x7f800001
	s_xor_b64 s[4:5], exec, -1
; %bb.4087:
	s_or_b64 exec, exec, s[8:9]
	s_and_b64 s[4:5], s[4:5], exec
                                        ; implicit-def: $vgpr1
	s_or_saveexec_b64 s[6:7], s[6:7]
	v_mov_b32_e32 v2, s10
	s_xor_b64 exec, exec, s[6:7]
	s_cbranch_execz .LBB30_2038
.LBB30_4088:
	v_cmp_ne_u16_e32 vcc, 0, v1
	s_andn2_b64 s[4:5], s[4:5], exec
	s_and_b64 s[8:9], vcc, exec
	v_mov_b32_e32 v2, 0
	s_or_b64 s[4:5], s[4:5], s[8:9]
	s_or_b64 exec, exec, s[6:7]
	s_and_saveexec_b64 s[6:7], s[4:5]
	s_cbranch_execnz .LBB30_2039
	s_branch .LBB30_2040
.LBB30_4089:
	s_movk_i32 s4, 0x80
	v_cmp_eq_u16_sdwa s[12:13], v7, s4 src0_sel:BYTE_3 src1_sel:DWORD
	s_mov_b64 s[4:5], -1
                                        ; implicit-def: $sgpr10
	s_and_saveexec_b64 s[8:9], s[12:13]
; %bb.4090:
	s_mov_b32 s10, 0x7f800001
	s_xor_b64 s[4:5], exec, -1
; %bb.4091:
	s_or_b64 exec, exec, s[8:9]
	s_and_b64 s[4:5], s[4:5], exec
	s_or_saveexec_b64 s[6:7], s[6:7]
	v_mov_b32_e32 v0, s10
	s_xor_b64 exec, exec, s[6:7]
	s_cbranch_execz .LBB30_2042
.LBB30_4092:
	v_mov_b32_e32 v0, 0
	v_cmp_ne_u16_sdwa s[8:9], v7, v0 src0_sel:BYTE_3 src1_sel:DWORD
	s_andn2_b64 s[4:5], s[4:5], exec
	s_and_b64 s[8:9], s[8:9], exec
	s_or_b64 s[4:5], s[4:5], s[8:9]
	s_or_b64 exec, exec, s[6:7]
	s_and_saveexec_b64 s[6:7], s[4:5]
	s_cbranch_execnz .LBB30_2043
	s_branch .LBB30_2044
.LBB30_4093:
	s_movk_i32 s4, 0x80
	v_cmp_eq_u16_sdwa s[12:13], v3, s4 src0_sel:BYTE_3 src1_sel:DWORD
	s_mov_b64 s[4:5], -1
                                        ; implicit-def: $sgpr10
	s_and_saveexec_b64 s[8:9], s[12:13]
; %bb.4094:
	s_mov_b32 s10, 0x7f800001
	s_xor_b64 s[4:5], exec, -1
; %bb.4095:
	s_or_b64 exec, exec, s[8:9]
	s_and_b64 s[4:5], s[4:5], exec
	s_or_saveexec_b64 s[6:7], s[6:7]
	v_mov_b32_e32 v1, s10
	s_xor_b64 exec, exec, s[6:7]
	s_cbranch_execz .LBB30_2046
.LBB30_4096:
	v_mov_b32_e32 v1, 0
	v_cmp_ne_u16_sdwa s[8:9], v3, v1 src0_sel:BYTE_3 src1_sel:DWORD
	s_andn2_b64 s[4:5], s[4:5], exec
	s_and_b64 s[8:9], s[8:9], exec
	s_or_b64 s[4:5], s[4:5], s[8:9]
	s_or_b64 exec, exec, s[6:7]
	s_and_saveexec_b64 s[6:7], s[4:5]
	s_cbranch_execnz .LBB30_2047
	s_branch .LBB30_2048
.Lfunc_end30:
	.size	_ZNK2ck6detail7applierIiJLi0ELi1ELi2ELi3ELi4ELi5ELi6ELi7EEEclIZNKS_11static_fordINS_8SequenceIJLi1ELi8EEEENS5_IJLi0ELi1EEEEEclIZZZNKS_52BlockwiseGemmXdlops_pipeline_bpreshuffle_bdequant_v3ILNS_26BlockGemmPipelineSchedulerE0ELi256ENS_9f8_fnuz_tENS_7pk_i4_tESC_fNS_16TensorDescriptorINS_5TupleIJNS_5EmbedINSF_IJNS_17integral_constantIiLi8EEENSH_IiLi256EEENSH_IiLi16EEEEEENSF_IJSK_NSH_IiLi128EEENSH_IiLi1EEEEEELb0EEENS_3XorINSF_IJSJ_SI_EEELb1EEENS_11PassThroughISK_EENS_7UnMergeINSF_IJSI_SN_EEELb0EEENST_ISJ_EESU_NST_ISI_EENS_21Merge_v3_division_modINSF_IJSJ_SN_EEEEESU_EEENSF_IJNS5_IJLi0EEEENS5_IJLi2ELi1EEEENS5_IJLi3EEEENS5_IJLi5EEEENS5_IJLi4EEEENS5_IJLi6EEEENS5_IJLi7EEEENS5_IJLi9ELi8EEEENS5_IJLi10EEEEEEENSF_IJNS5_IJLi1ELi2ELi3EEEENS5_IJLi4ELi5EEEES19_NS5_IJLi7ELi8EEEENS5_IJLi9EEEES1C_NS5_IJLi11EEEENS5_IJLi12EEEENS5_IJLi13EEEEEEENS5_IJLi11ELi12ELi13EEEENSH_IlLl32768EEEEENSE_INSF_IJNSV_INSF_IJSI_SN_SN_NSH_IiLi32EEEEEELb0EEEEEENSF_IJS14_EEENSF_IJNS5_IJLi1ELi2ELi3ELi4EEEEEEES1U_NSH_IlLl256EEEEENSE_INSF_IJSP_SS_SU_SX_SY_SU_SZ_S12_SU_NS10_INSF_IJSI_SK_EEEEENSV_INSF_IJSI_NSH_IiLi2EEESK_EEELb0EEEEEENSF_IJS14_S15_S16_S17_S18_S19_S1A_S1B_S1C_NS5_IJLi11ELi13EEEES1J_EEENSF_IJS1E_S1F_S19_S1G_S1H_S1C_S1I_S1J_S1K_NS5_IJLi14EEEENS5_IJLi15ELi16ELi17EEEEEEENS5_IJLi15ELi16ELi17ELi14EEEES1N_EENSE_INSF_IJS1R_NS10_ISW_EES22_EEENSF_IJS14_NS5_IJLi1ELi3EEEENS5_IJLi2EEEEEEENSF_IJS1U_S17_NS5_IJLi6ELi7ELi8EEEEEEENS5_IJLi6ELi7ELi8ELi5EEEES1W_EELi16ELi32ELi256ELi256ELi128ELi16ELi16ELi8ELi8ELi32ELb0EE3RunILb1ELNS_10TailNumberE1ENSE_INSF_IJNSG_INSF_IJiiEEENSF_IJiSN_EEELb0EEENSV_IS2N_Lb0EEENST_IiEEEEENSF_IJS14_S2E_NS5_IJLi1EEEEEEENSF_IJNS5_IJLi1ELi2EEEENS5_IJLi3ELi4EEEES17_EEENS5_IJLi3ELi5ELi4EEEElEES1O_NS_35ThreadGroupTensorSliceTransfer_v4r1INS_15ThisThreadBlockILi256EEENS_16tensor_operation12element_wise11PassThroughES35_LNS_25InMemoryDataOperationEnumE0ENS5_IJLi8ELi256ELi16EEEENS5_IJLi8ELi32ELi1EEEENS5_IJLi1ELi0ELi2EEEESC_SC_RKS2Z_KS1O_S39_NS5_IJLi0ELi1ELi2EEEELi2ELi2ELi16ELi16ELi1ELi1ELb0ELb1ELi2EiEENS_13DynamicBufferILNS_16AddressSpaceEnumE1EKSC_lLb1ELNS_22AmdBufferCoherenceEnumE0EiEENSF_IJNS3F_ILS3G_2ESC_S1N_Lb1ELS3I_0EiEES3K_EEENSF_IJiiiEEENSE_INSF_IJNSG_INSF_IJiiiiEEENSF_IJiiiSN_EEELb0EEEEEES1T_S1V_S1U_lEENS_32ThreadwiseTensorSliceTransfer_v2ISD_SD_RKS3R_KS1X_NS5_IJLi8ELi1ELi1ELi32EEEENS5_IJLi1ELi2ELi0ELi3EEEELi3ELi32ELi0ELb1ELb0ELb0EEENS3F_ILS3G_1EKSD_lLb1ELS3I_0EiEENSF_IJNS_12StaticBufferILS3G_4ESD_Li256ELb1EEES42_EEES3N_NS_25StaticBufferTupleOfVectorILS3G_4EfLi64ELi4ELb1ELb0EEEEEvRKT1_RKT2_RT3_RKT4_RT5_RKT6_RKT7_RT8_RKT9_RT10_RKT11_RT12_iENKUlT_T0_E_clINSH_IiLi0EEESN_EEDaS51_S52_ENKUlS51_E_clIS20_EEDaS51_EUlS51_E_EEvS51_EUlS51_E_EEvS51_, .Lfunc_end30-_ZNK2ck6detail7applierIiJLi0ELi1ELi2ELi3ELi4ELi5ELi6ELi7EEEclIZNKS_11static_fordINS_8SequenceIJLi1ELi8EEEENS5_IJLi0ELi1EEEEEclIZZZNKS_52BlockwiseGemmXdlops_pipeline_bpreshuffle_bdequant_v3ILNS_26BlockGemmPipelineSchedulerE0ELi256ENS_9f8_fnuz_tENS_7pk_i4_tESC_fNS_16TensorDescriptorINS_5TupleIJNS_5EmbedINSF_IJNS_17integral_constantIiLi8EEENSH_IiLi256EEENSH_IiLi16EEEEEENSF_IJSK_NSH_IiLi128EEENSH_IiLi1EEEEEELb0EEENS_3XorINSF_IJSJ_SI_EEELb1EEENS_11PassThroughISK_EENS_7UnMergeINSF_IJSI_SN_EEELb0EEENST_ISJ_EESU_NST_ISI_EENS_21Merge_v3_division_modINSF_IJSJ_SN_EEEEESU_EEENSF_IJNS5_IJLi0EEEENS5_IJLi2ELi1EEEENS5_IJLi3EEEENS5_IJLi5EEEENS5_IJLi4EEEENS5_IJLi6EEEENS5_IJLi7EEEENS5_IJLi9ELi8EEEENS5_IJLi10EEEEEEENSF_IJNS5_IJLi1ELi2ELi3EEEENS5_IJLi4ELi5EEEES19_NS5_IJLi7ELi8EEEENS5_IJLi9EEEES1C_NS5_IJLi11EEEENS5_IJLi12EEEENS5_IJLi13EEEEEEENS5_IJLi11ELi12ELi13EEEENSH_IlLl32768EEEEENSE_INSF_IJNSV_INSF_IJSI_SN_SN_NSH_IiLi32EEEEEELb0EEEEEENSF_IJS14_EEENSF_IJNS5_IJLi1ELi2ELi3ELi4EEEEEEES1U_NSH_IlLl256EEEEENSE_INSF_IJSP_SS_SU_SX_SY_SU_SZ_S12_SU_NS10_INSF_IJSI_SK_EEEEENSV_INSF_IJSI_NSH_IiLi2EEESK_EEELb0EEEEEENSF_IJS14_S15_S16_S17_S18_S19_S1A_S1B_S1C_NS5_IJLi11ELi13EEEES1J_EEENSF_IJS1E_S1F_S19_S1G_S1H_S1C_S1I_S1J_S1K_NS5_IJLi14EEEENS5_IJLi15ELi16ELi17EEEEEEENS5_IJLi15ELi16ELi17ELi14EEEES1N_EENSE_INSF_IJS1R_NS10_ISW_EES22_EEENSF_IJS14_NS5_IJLi1ELi3EEEENS5_IJLi2EEEEEEENSF_IJS1U_S17_NS5_IJLi6ELi7ELi8EEEEEEENS5_IJLi6ELi7ELi8ELi5EEEES1W_EELi16ELi32ELi256ELi256ELi128ELi16ELi16ELi8ELi8ELi32ELb0EE3RunILb1ELNS_10TailNumberE1ENSE_INSF_IJNSG_INSF_IJiiEEENSF_IJiSN_EEELb0EEENSV_IS2N_Lb0EEENST_IiEEEEENSF_IJS14_S2E_NS5_IJLi1EEEEEEENSF_IJNS5_IJLi1ELi2EEEENS5_IJLi3ELi4EEEES17_EEENS5_IJLi3ELi5ELi4EEEElEES1O_NS_35ThreadGroupTensorSliceTransfer_v4r1INS_15ThisThreadBlockILi256EEENS_16tensor_operation12element_wise11PassThroughES35_LNS_25InMemoryDataOperationEnumE0ENS5_IJLi8ELi256ELi16EEEENS5_IJLi8ELi32ELi1EEEENS5_IJLi1ELi0ELi2EEEESC_SC_RKS2Z_KS1O_S39_NS5_IJLi0ELi1ELi2EEEELi2ELi2ELi16ELi16ELi1ELi1ELb0ELb1ELi2EiEENS_13DynamicBufferILNS_16AddressSpaceEnumE1EKSC_lLb1ELNS_22AmdBufferCoherenceEnumE0EiEENSF_IJNS3F_ILS3G_2ESC_S1N_Lb1ELS3I_0EiEES3K_EEENSF_IJiiiEEENSE_INSF_IJNSG_INSF_IJiiiiEEENSF_IJiiiSN_EEELb0EEEEEES1T_S1V_S1U_lEENS_32ThreadwiseTensorSliceTransfer_v2ISD_SD_RKS3R_KS1X_NS5_IJLi8ELi1ELi1ELi32EEEENS5_IJLi1ELi2ELi0ELi3EEEELi3ELi32ELi0ELb1ELb0ELb0EEENS3F_ILS3G_1EKSD_lLb1ELS3I_0EiEENSF_IJNS_12StaticBufferILS3G_4ESD_Li256ELb1EEES42_EEES3N_NS_25StaticBufferTupleOfVectorILS3G_4EfLi64ELi4ELb1ELb0EEEEEvRKT1_RKT2_RT3_RKT4_RT5_RKT6_RKT7_RT8_RKT9_RT10_RKT11_RT12_iENKUlT_T0_E_clINSH_IiLi0EEESN_EEDaS51_S52_ENKUlS51_E_clIS20_EEDaS51_EUlS51_E_EEvS51_EUlS51_E_EEvS51_
                                        ; -- End function
	.section	.AMDGPU.csdata,"",@progbits
; Function info:
; codeLenInByte = 133608
; NumSgprs: 36
; NumVgprs: 26
; NumAgprs: 4
; TotalNumVgprs: 32
; ScratchSize: 0
; MemoryBound: 1
	.text
	.p2align	2                               ; -- Begin function _ZNK2ck6detail7applierIiJLi0ELi1ELi2ELi3ELi4ELi5ELi6ELi7EEEclIZNKS_11static_fordINS_8SequenceIJLi1ELi8EEEENS5_IJLi0ELi1EEEEEclIZZZNKS_52BlockwiseGemmXdlops_pipeline_bpreshuffle_bdequant_v3ILNS_26BlockGemmPipelineSchedulerE0ELi256ENS_9f8_fnuz_tENS_7pk_i4_tESC_fNS_16TensorDescriptorINS_5TupleIJNS_5EmbedINSF_IJNS_17integral_constantIiLi8EEENSH_IiLi256EEENSH_IiLi16EEEEEENSF_IJSK_NSH_IiLi128EEENSH_IiLi1EEEEEELb0EEENS_3XorINSF_IJSJ_SI_EEELb1EEENS_11PassThroughISK_EENS_7UnMergeINSF_IJSI_SN_EEELb0EEENST_ISJ_EESU_NST_ISI_EENS_21Merge_v3_division_modINSF_IJSJ_SN_EEEEESU_EEENSF_IJNS5_IJLi0EEEENS5_IJLi2ELi1EEEENS5_IJLi3EEEENS5_IJLi5EEEENS5_IJLi4EEEENS5_IJLi6EEEENS5_IJLi7EEEENS5_IJLi9ELi8EEEENS5_IJLi10EEEEEEENSF_IJNS5_IJLi1ELi2ELi3EEEENS5_IJLi4ELi5EEEES19_NS5_IJLi7ELi8EEEENS5_IJLi9EEEES1C_NS5_IJLi11EEEENS5_IJLi12EEEENS5_IJLi13EEEEEEENS5_IJLi11ELi12ELi13EEEENSH_IlLl32768EEEEENSE_INSF_IJNSV_INSF_IJSI_SN_SN_NSH_IiLi32EEEEEELb0EEEEEENSF_IJS14_EEENSF_IJNS5_IJLi1ELi2ELi3ELi4EEEEEEES1U_NSH_IlLl256EEEEENSE_INSF_IJSP_SS_SU_SX_SY_SU_SZ_S12_SU_NS10_INSF_IJSI_SK_EEEEENSV_INSF_IJSI_NSH_IiLi2EEESK_EEELb0EEEEEENSF_IJS14_S15_S16_S17_S18_S19_S1A_S1B_S1C_NS5_IJLi11ELi13EEEES1J_EEENSF_IJS1E_S1F_S19_S1G_S1H_S1C_S1I_S1J_S1K_NS5_IJLi14EEEENS5_IJLi15ELi16ELi17EEEEEEENS5_IJLi15ELi16ELi17ELi14EEEES1N_EENSE_INSF_IJS1R_NS10_ISW_EES22_EEENSF_IJS14_NS5_IJLi1ELi3EEEENS5_IJLi2EEEEEEENSF_IJS1U_S17_NS5_IJLi6ELi7ELi8EEEEEEENS5_IJLi6ELi7ELi8ELi5EEEES1W_EELi16ELi32ELi256ELi256ELi128ELi16ELi16ELi8ELi8ELi32ELb0EE3RunILb1ELNS_10TailNumberE1ENSE_INSF_IJNSG_INSF_IJiiEEENSF_IJiSN_EEELb0EEENSV_IS2N_Lb0EEENST_IiEEEEENSF_IJS14_S2E_NS5_IJLi1EEEEEEENSF_IJNS5_IJLi1ELi2EEEENS5_IJLi3ELi4EEEES17_EEENS5_IJLi3ELi5ELi4EEEElEES1O_NS_35ThreadGroupTensorSliceTransfer_v4r1INS_15ThisThreadBlockILi256EEENS_16tensor_operation12element_wise11PassThroughES35_LNS_25InMemoryDataOperationEnumE0ENS5_IJLi8ELi256ELi16EEEENS5_IJLi8ELi32ELi1EEEENS5_IJLi1ELi0ELi2EEEESC_SC_RKS2Z_KS1O_S39_NS5_IJLi0ELi1ELi2EEEELi2ELi2ELi16ELi16ELi1ELi1ELb0ELb1ELi2EiEENS_13DynamicBufferILNS_16AddressSpaceEnumE1EKSC_lLb1ELNS_22AmdBufferCoherenceEnumE0EiEENSF_IJNS3F_ILS3G_2ESC_S1N_Lb1ELS3I_0EiEES3K_EEENSF_IJiiiEEENSE_INSF_IJNSG_INSF_IJiiiiEEENSF_IJiiiSN_EEELb0EEEEEES1T_S1V_S1U_lEENS_32ThreadwiseTensorSliceTransfer_v2ISD_SD_RKS3R_KS1X_NS5_IJLi8ELi1ELi1ELi32EEEENS5_IJLi1ELi2ELi0ELi3EEEELi3ELi32ELi0ELb1ELb0ELb0EEENS3F_ILS3G_1EKSD_lLb1ELS3I_0EiEENSF_IJNS_12StaticBufferILS3G_4ESD_Li256ELb1EEES42_EEES3N_NS_25StaticBufferTupleOfVectorILS3G_4EfLi64ELi4ELb1ELb0EEEEEvRKT1_RKT2_RT3_RKT4_RT5_RKT6_RKT7_RT8_RKT9_RT10_RKT11_RT12_iENKUlT_T0_E_clINSH_IiLi0EEESN_EEDaS51_S52_ENKUlS51_E_clINSH_IiLi3EEEEEDaS51_EUlS51_E_EEvS51_EUlS51_E_EEvS51_
	.type	_ZNK2ck6detail7applierIiJLi0ELi1ELi2ELi3ELi4ELi5ELi6ELi7EEEclIZNKS_11static_fordINS_8SequenceIJLi1ELi8EEEENS5_IJLi0ELi1EEEEEclIZZZNKS_52BlockwiseGemmXdlops_pipeline_bpreshuffle_bdequant_v3ILNS_26BlockGemmPipelineSchedulerE0ELi256ENS_9f8_fnuz_tENS_7pk_i4_tESC_fNS_16TensorDescriptorINS_5TupleIJNS_5EmbedINSF_IJNS_17integral_constantIiLi8EEENSH_IiLi256EEENSH_IiLi16EEEEEENSF_IJSK_NSH_IiLi128EEENSH_IiLi1EEEEEELb0EEENS_3XorINSF_IJSJ_SI_EEELb1EEENS_11PassThroughISK_EENS_7UnMergeINSF_IJSI_SN_EEELb0EEENST_ISJ_EESU_NST_ISI_EENS_21Merge_v3_division_modINSF_IJSJ_SN_EEEEESU_EEENSF_IJNS5_IJLi0EEEENS5_IJLi2ELi1EEEENS5_IJLi3EEEENS5_IJLi5EEEENS5_IJLi4EEEENS5_IJLi6EEEENS5_IJLi7EEEENS5_IJLi9ELi8EEEENS5_IJLi10EEEEEEENSF_IJNS5_IJLi1ELi2ELi3EEEENS5_IJLi4ELi5EEEES19_NS5_IJLi7ELi8EEEENS5_IJLi9EEEES1C_NS5_IJLi11EEEENS5_IJLi12EEEENS5_IJLi13EEEEEEENS5_IJLi11ELi12ELi13EEEENSH_IlLl32768EEEEENSE_INSF_IJNSV_INSF_IJSI_SN_SN_NSH_IiLi32EEEEEELb0EEEEEENSF_IJS14_EEENSF_IJNS5_IJLi1ELi2ELi3ELi4EEEEEEES1U_NSH_IlLl256EEEEENSE_INSF_IJSP_SS_SU_SX_SY_SU_SZ_S12_SU_NS10_INSF_IJSI_SK_EEEEENSV_INSF_IJSI_NSH_IiLi2EEESK_EEELb0EEEEEENSF_IJS14_S15_S16_S17_S18_S19_S1A_S1B_S1C_NS5_IJLi11ELi13EEEES1J_EEENSF_IJS1E_S1F_S19_S1G_S1H_S1C_S1I_S1J_S1K_NS5_IJLi14EEEENS5_IJLi15ELi16ELi17EEEEEEENS5_IJLi15ELi16ELi17ELi14EEEES1N_EENSE_INSF_IJS1R_NS10_ISW_EES22_EEENSF_IJS14_NS5_IJLi1ELi3EEEENS5_IJLi2EEEEEEENSF_IJS1U_S17_NS5_IJLi6ELi7ELi8EEEEEEENS5_IJLi6ELi7ELi8ELi5EEEES1W_EELi16ELi32ELi256ELi256ELi128ELi16ELi16ELi8ELi8ELi32ELb0EE3RunILb1ELNS_10TailNumberE1ENSE_INSF_IJNSG_INSF_IJiiEEENSF_IJiSN_EEELb0EEENSV_IS2N_Lb0EEENST_IiEEEEENSF_IJS14_S2E_NS5_IJLi1EEEEEEENSF_IJNS5_IJLi1ELi2EEEENS5_IJLi3ELi4EEEES17_EEENS5_IJLi3ELi5ELi4EEEElEES1O_NS_35ThreadGroupTensorSliceTransfer_v4r1INS_15ThisThreadBlockILi256EEENS_16tensor_operation12element_wise11PassThroughES35_LNS_25InMemoryDataOperationEnumE0ENS5_IJLi8ELi256ELi16EEEENS5_IJLi8ELi32ELi1EEEENS5_IJLi1ELi0ELi2EEEESC_SC_RKS2Z_KS1O_S39_NS5_IJLi0ELi1ELi2EEEELi2ELi2ELi16ELi16ELi1ELi1ELb0ELb1ELi2EiEENS_13DynamicBufferILNS_16AddressSpaceEnumE1EKSC_lLb1ELNS_22AmdBufferCoherenceEnumE0EiEENSF_IJNS3F_ILS3G_2ESC_S1N_Lb1ELS3I_0EiEES3K_EEENSF_IJiiiEEENSE_INSF_IJNSG_INSF_IJiiiiEEENSF_IJiiiSN_EEELb0EEEEEES1T_S1V_S1U_lEENS_32ThreadwiseTensorSliceTransfer_v2ISD_SD_RKS3R_KS1X_NS5_IJLi8ELi1ELi1ELi32EEEENS5_IJLi1ELi2ELi0ELi3EEEELi3ELi32ELi0ELb1ELb0ELb0EEENS3F_ILS3G_1EKSD_lLb1ELS3I_0EiEENSF_IJNS_12StaticBufferILS3G_4ESD_Li256ELb1EEES42_EEES3N_NS_25StaticBufferTupleOfVectorILS3G_4EfLi64ELi4ELb1ELb0EEEEEvRKT1_RKT2_RT3_RKT4_RT5_RKT6_RKT7_RT8_RKT9_RT10_RKT11_RT12_iENKUlT_T0_E_clINSH_IiLi0EEESN_EEDaS51_S52_ENKUlS51_E_clINSH_IiLi3EEEEEDaS51_EUlS51_E_EEvS51_EUlS51_E_EEvS51_,@function
_ZNK2ck6detail7applierIiJLi0ELi1ELi2ELi3ELi4ELi5ELi6ELi7EEEclIZNKS_11static_fordINS_8SequenceIJLi1ELi8EEEENS5_IJLi0ELi1EEEEEclIZZZNKS_52BlockwiseGemmXdlops_pipeline_bpreshuffle_bdequant_v3ILNS_26BlockGemmPipelineSchedulerE0ELi256ENS_9f8_fnuz_tENS_7pk_i4_tESC_fNS_16TensorDescriptorINS_5TupleIJNS_5EmbedINSF_IJNS_17integral_constantIiLi8EEENSH_IiLi256EEENSH_IiLi16EEEEEENSF_IJSK_NSH_IiLi128EEENSH_IiLi1EEEEEELb0EEENS_3XorINSF_IJSJ_SI_EEELb1EEENS_11PassThroughISK_EENS_7UnMergeINSF_IJSI_SN_EEELb0EEENST_ISJ_EESU_NST_ISI_EENS_21Merge_v3_division_modINSF_IJSJ_SN_EEEEESU_EEENSF_IJNS5_IJLi0EEEENS5_IJLi2ELi1EEEENS5_IJLi3EEEENS5_IJLi5EEEENS5_IJLi4EEEENS5_IJLi6EEEENS5_IJLi7EEEENS5_IJLi9ELi8EEEENS5_IJLi10EEEEEEENSF_IJNS5_IJLi1ELi2ELi3EEEENS5_IJLi4ELi5EEEES19_NS5_IJLi7ELi8EEEENS5_IJLi9EEEES1C_NS5_IJLi11EEEENS5_IJLi12EEEENS5_IJLi13EEEEEEENS5_IJLi11ELi12ELi13EEEENSH_IlLl32768EEEEENSE_INSF_IJNSV_INSF_IJSI_SN_SN_NSH_IiLi32EEEEEELb0EEEEEENSF_IJS14_EEENSF_IJNS5_IJLi1ELi2ELi3ELi4EEEEEEES1U_NSH_IlLl256EEEEENSE_INSF_IJSP_SS_SU_SX_SY_SU_SZ_S12_SU_NS10_INSF_IJSI_SK_EEEEENSV_INSF_IJSI_NSH_IiLi2EEESK_EEELb0EEEEEENSF_IJS14_S15_S16_S17_S18_S19_S1A_S1B_S1C_NS5_IJLi11ELi13EEEES1J_EEENSF_IJS1E_S1F_S19_S1G_S1H_S1C_S1I_S1J_S1K_NS5_IJLi14EEEENS5_IJLi15ELi16ELi17EEEEEEENS5_IJLi15ELi16ELi17ELi14EEEES1N_EENSE_INSF_IJS1R_NS10_ISW_EES22_EEENSF_IJS14_NS5_IJLi1ELi3EEEENS5_IJLi2EEEEEEENSF_IJS1U_S17_NS5_IJLi6ELi7ELi8EEEEEEENS5_IJLi6ELi7ELi8ELi5EEEES1W_EELi16ELi32ELi256ELi256ELi128ELi16ELi16ELi8ELi8ELi32ELb0EE3RunILb1ELNS_10TailNumberE1ENSE_INSF_IJNSG_INSF_IJiiEEENSF_IJiSN_EEELb0EEENSV_IS2N_Lb0EEENST_IiEEEEENSF_IJS14_S2E_NS5_IJLi1EEEEEEENSF_IJNS5_IJLi1ELi2EEEENS5_IJLi3ELi4EEEES17_EEENS5_IJLi3ELi5ELi4EEEElEES1O_NS_35ThreadGroupTensorSliceTransfer_v4r1INS_15ThisThreadBlockILi256EEENS_16tensor_operation12element_wise11PassThroughES35_LNS_25InMemoryDataOperationEnumE0ENS5_IJLi8ELi256ELi16EEEENS5_IJLi8ELi32ELi1EEEENS5_IJLi1ELi0ELi2EEEESC_SC_RKS2Z_KS1O_S39_NS5_IJLi0ELi1ELi2EEEELi2ELi2ELi16ELi16ELi1ELi1ELb0ELb1ELi2EiEENS_13DynamicBufferILNS_16AddressSpaceEnumE1EKSC_lLb1ELNS_22AmdBufferCoherenceEnumE0EiEENSF_IJNS3F_ILS3G_2ESC_S1N_Lb1ELS3I_0EiEES3K_EEENSF_IJiiiEEENSE_INSF_IJNSG_INSF_IJiiiiEEENSF_IJiiiSN_EEELb0EEEEEES1T_S1V_S1U_lEENS_32ThreadwiseTensorSliceTransfer_v2ISD_SD_RKS3R_KS1X_NS5_IJLi8ELi1ELi1ELi32EEEENS5_IJLi1ELi2ELi0ELi3EEEELi3ELi32ELi0ELb1ELb0ELb0EEENS3F_ILS3G_1EKSD_lLb1ELS3I_0EiEENSF_IJNS_12StaticBufferILS3G_4ESD_Li256ELb1EEES42_EEES3N_NS_25StaticBufferTupleOfVectorILS3G_4EfLi64ELi4ELb1ELb0EEEEEvRKT1_RKT2_RT3_RKT4_RT5_RKT6_RKT7_RT8_RKT9_RT10_RKT11_RT12_iENKUlT_T0_E_clINSH_IiLi0EEESN_EEDaS51_S52_ENKUlS51_E_clINSH_IiLi3EEEEEDaS51_EUlS51_E_EEvS51_EUlS51_E_EEvS51_: ; @_ZNK2ck6detail7applierIiJLi0ELi1ELi2ELi3ELi4ELi5ELi6ELi7EEEclIZNKS_11static_fordINS_8SequenceIJLi1ELi8EEEENS5_IJLi0ELi1EEEEEclIZZZNKS_52BlockwiseGemmXdlops_pipeline_bpreshuffle_bdequant_v3ILNS_26BlockGemmPipelineSchedulerE0ELi256ENS_9f8_fnuz_tENS_7pk_i4_tESC_fNS_16TensorDescriptorINS_5TupleIJNS_5EmbedINSF_IJNS_17integral_constantIiLi8EEENSH_IiLi256EEENSH_IiLi16EEEEEENSF_IJSK_NSH_IiLi128EEENSH_IiLi1EEEEEELb0EEENS_3XorINSF_IJSJ_SI_EEELb1EEENS_11PassThroughISK_EENS_7UnMergeINSF_IJSI_SN_EEELb0EEENST_ISJ_EESU_NST_ISI_EENS_21Merge_v3_division_modINSF_IJSJ_SN_EEEEESU_EEENSF_IJNS5_IJLi0EEEENS5_IJLi2ELi1EEEENS5_IJLi3EEEENS5_IJLi5EEEENS5_IJLi4EEEENS5_IJLi6EEEENS5_IJLi7EEEENS5_IJLi9ELi8EEEENS5_IJLi10EEEEEEENSF_IJNS5_IJLi1ELi2ELi3EEEENS5_IJLi4ELi5EEEES19_NS5_IJLi7ELi8EEEENS5_IJLi9EEEES1C_NS5_IJLi11EEEENS5_IJLi12EEEENS5_IJLi13EEEEEEENS5_IJLi11ELi12ELi13EEEENSH_IlLl32768EEEEENSE_INSF_IJNSV_INSF_IJSI_SN_SN_NSH_IiLi32EEEEEELb0EEEEEENSF_IJS14_EEENSF_IJNS5_IJLi1ELi2ELi3ELi4EEEEEEES1U_NSH_IlLl256EEEEENSE_INSF_IJSP_SS_SU_SX_SY_SU_SZ_S12_SU_NS10_INSF_IJSI_SK_EEEEENSV_INSF_IJSI_NSH_IiLi2EEESK_EEELb0EEEEEENSF_IJS14_S15_S16_S17_S18_S19_S1A_S1B_S1C_NS5_IJLi11ELi13EEEES1J_EEENSF_IJS1E_S1F_S19_S1G_S1H_S1C_S1I_S1J_S1K_NS5_IJLi14EEEENS5_IJLi15ELi16ELi17EEEEEEENS5_IJLi15ELi16ELi17ELi14EEEES1N_EENSE_INSF_IJS1R_NS10_ISW_EES22_EEENSF_IJS14_NS5_IJLi1ELi3EEEENS5_IJLi2EEEEEEENSF_IJS1U_S17_NS5_IJLi6ELi7ELi8EEEEEEENS5_IJLi6ELi7ELi8ELi5EEEES1W_EELi16ELi32ELi256ELi256ELi128ELi16ELi16ELi8ELi8ELi32ELb0EE3RunILb1ELNS_10TailNumberE1ENSE_INSF_IJNSG_INSF_IJiiEEENSF_IJiSN_EEELb0EEENSV_IS2N_Lb0EEENST_IiEEEEENSF_IJS14_S2E_NS5_IJLi1EEEEEEENSF_IJNS5_IJLi1ELi2EEEENS5_IJLi3ELi4EEEES17_EEENS5_IJLi3ELi5ELi4EEEElEES1O_NS_35ThreadGroupTensorSliceTransfer_v4r1INS_15ThisThreadBlockILi256EEENS_16tensor_operation12element_wise11PassThroughES35_LNS_25InMemoryDataOperationEnumE0ENS5_IJLi8ELi256ELi16EEEENS5_IJLi8ELi32ELi1EEEENS5_IJLi1ELi0ELi2EEEESC_SC_RKS2Z_KS1O_S39_NS5_IJLi0ELi1ELi2EEEELi2ELi2ELi16ELi16ELi1ELi1ELb0ELb1ELi2EiEENS_13DynamicBufferILNS_16AddressSpaceEnumE1EKSC_lLb1ELNS_22AmdBufferCoherenceEnumE0EiEENSF_IJNS3F_ILS3G_2ESC_S1N_Lb1ELS3I_0EiEES3K_EEENSF_IJiiiEEENSE_INSF_IJNSG_INSF_IJiiiiEEENSF_IJiiiSN_EEELb0EEEEEES1T_S1V_S1U_lEENS_32ThreadwiseTensorSliceTransfer_v2ISD_SD_RKS3R_KS1X_NS5_IJLi8ELi1ELi1ELi32EEEENS5_IJLi1ELi2ELi0ELi3EEEELi3ELi32ELi0ELb1ELb0ELb0EEENS3F_ILS3G_1EKSD_lLb1ELS3I_0EiEENSF_IJNS_12StaticBufferILS3G_4ESD_Li256ELb1EEES42_EEES3N_NS_25StaticBufferTupleOfVectorILS3G_4EfLi64ELi4ELb1ELb0EEEEEvRKT1_RKT2_RT3_RKT4_RT5_RKT6_RKT7_RT8_RKT9_RT10_RKT11_RT12_iENKUlT_T0_E_clINSH_IiLi0EEESN_EEDaS51_S52_ENKUlS51_E_clINSH_IiLi3EEEEEDaS51_EUlS51_E_EEvS51_EUlS51_E_EEvS51_
; %bb.0:
	s_waitcnt vmcnt(0) expcnt(0) lgkmcnt(0)
	flat_load_dwordx4 v[20:23], v[0:1] offset:16
	flat_load_dwordx2 v[18:19], v[0:1] offset:32
	s_movk_i32 s4, 0x7f
                                        ; implicit-def: $sgpr10
	s_waitcnt vmcnt(0) lgkmcnt(0)
	flat_load_dwordx4 v[14:17], v[20:21] offset:32
	flat_load_dwordx4 v[6:9], v[20:21] offset:48
	flat_load_dwordx4 v[10:13], v[22:23]
	flat_load_dwordx4 v[2:5], v[22:23] offset:16
	s_waitcnt vmcnt(0) lgkmcnt(0)
	v_cmp_gt_i16_sdwa s[6:7], v14, s4 src0_sel:BYTE_0 src1_sel:DWORD
	s_mov_b64 s[4:5], 0
	s_and_saveexec_b64 s[8:9], s[6:7]
	s_xor_b64 s[6:7], exec, s[8:9]
	s_cbranch_execnz .LBB31_2049
; %bb.1:
	s_or_saveexec_b64 s[6:7], s[6:7]
	v_mov_b32_e32 v20, s10
	s_xor_b64 exec, exec, s[6:7]
	s_cbranch_execnz .LBB31_2052
.LBB31_2:
	s_or_b64 exec, exec, s[6:7]
	s_and_saveexec_b64 s[6:7], s[4:5]
	s_cbranch_execz .LBB31_4
.LBB31_3:
	v_and_b32_e32 v20, 7, v14
	v_ffbh_u32_e32 v22, v20
	v_min_u32_e32 v22, 32, v22
	v_lshrrev_b16_e32 v21, 3, v14
	v_subrev_u32_e32 v23, 28, v22
	v_and_b32_e32 v21, 15, v21
	v_lshlrev_b32_e32 v23, v23, v14
	v_sub_u32_e32 v22, 29, v22
	v_and_b32_e32 v23, 7, v23
	v_cmp_eq_u16_e32 vcc, 0, v21
	v_cndmask_b32_e32 v20, v20, v23, vcc
	v_cndmask_b32_e32 v21, v21, v22, vcc
	v_lshlrev_b32_e32 v22, 24, v14
	v_mov_b32_e32 v23, 0x3b800000
	v_lshlrev_b32_e32 v20, 20, v20
	v_and_b32_e32 v22, 0x80000000, v22
	v_lshl_add_u32 v21, v21, 23, v23
	v_or3_b32 v20, v22, v21, v20
.LBB31_4:
	s_or_b64 exec, exec, s[6:7]
	s_movk_i32 s4, 0x7f
	v_cmp_gt_i16_sdwa s[6:7], v10, s4 src0_sel:BYTE_0 src1_sel:DWORD
	s_mov_b64 s[4:5], 0
                                        ; implicit-def: $sgpr10
	s_and_saveexec_b64 s[8:9], s[6:7]
	s_xor_b64 s[6:7], exec, s[8:9]
	s_cbranch_execnz .LBB31_2053
; %bb.5:
	s_or_saveexec_b64 s[6:7], s[6:7]
	v_mov_b32_e32 v21, s10
	s_xor_b64 exec, exec, s[6:7]
	s_cbranch_execnz .LBB31_2056
.LBB31_6:
	s_or_b64 exec, exec, s[6:7]
	s_and_saveexec_b64 s[6:7], s[4:5]
	s_cbranch_execz .LBB31_8
.LBB31_7:
	v_and_b32_e32 v21, 7, v10
	v_ffbh_u32_e32 v23, v21
	v_min_u32_e32 v23, 32, v23
	v_lshrrev_b16_e32 v22, 3, v10
	v_subrev_u32_e32 v24, 28, v23
	v_and_b32_e32 v22, 15, v22
	v_lshlrev_b32_e32 v24, v24, v10
	v_sub_u32_e32 v23, 29, v23
	v_and_b32_e32 v24, 7, v24
	v_cmp_eq_u16_e32 vcc, 0, v22
	v_cndmask_b32_e32 v21, v21, v24, vcc
	v_cndmask_b32_e32 v22, v22, v23, vcc
	v_lshlrev_b32_e32 v23, 24, v10
	v_mov_b32_e32 v24, 0x3b800000
	v_lshlrev_b32_e32 v21, 20, v21
	v_and_b32_e32 v23, 0x80000000, v23
	v_lshl_add_u32 v22, v22, 23, v24
	v_or3_b32 v21, v23, v22, v21
.LBB31_8:
	s_or_b64 exec, exec, s[6:7]
	flat_load_dwordx4 a[0:3], v[18:19] offset:384
	s_movk_i32 s4, 0x7f
                                        ; implicit-def: $sgpr10
	s_waitcnt vmcnt(0) lgkmcnt(0)
	v_mfma_f32_16x16x4f32 a[0:3], v20, v21, a[0:3]
	v_lshrrev_b32_e32 v21, 8, v14
	v_cmp_gt_i16_sdwa s[6:7], v21, s4 src0_sel:BYTE_0 src1_sel:DWORD
	s_mov_b64 s[4:5], 0
	s_and_saveexec_b64 s[8:9], s[6:7]
	s_xor_b64 s[6:7], exec, s[8:9]
	s_cbranch_execnz .LBB31_2057
; %bb.9:
	s_or_saveexec_b64 s[6:7], s[6:7]
	v_mov_b32_e32 v20, s10
	s_xor_b64 exec, exec, s[6:7]
	s_cbranch_execnz .LBB31_2060
.LBB31_10:
	s_or_b64 exec, exec, s[6:7]
	s_and_saveexec_b64 s[6:7], s[4:5]
	s_cbranch_execz .LBB31_12
.LBB31_11:
	v_bfe_u32 v20, v14, 8, 3
	v_ffbh_u32_e32 v23, v20
	v_min_u32_e32 v23, 32, v23
	v_lshrrev_b16_e32 v22, 3, v21
	v_subrev_u32_e32 v24, 28, v23
	v_and_b32_e32 v22, 15, v22
	v_lshlrev_b32_e32 v21, v24, v21
	v_sub_u32_e32 v23, 29, v23
	v_and_b32_e32 v21, 7, v21
	v_cmp_eq_u16_e32 vcc, 0, v22
	v_cndmask_b32_e32 v20, v20, v21, vcc
	v_cndmask_b32_e32 v21, v22, v23, vcc
	v_lshlrev_b32_e32 v22, 16, v14
	v_mov_b32_e32 v23, 0x3b800000
	v_lshlrev_b32_e32 v20, 20, v20
	v_and_b32_e32 v22, 0x80000000, v22
	v_lshl_add_u32 v21, v21, 23, v23
	v_or3_b32 v20, v22, v21, v20
.LBB31_12:
	s_or_b64 exec, exec, s[6:7]
	v_lshrrev_b32_e32 v21, 8, v10
	s_movk_i32 s4, 0x7f
	v_cmp_gt_i16_sdwa s[6:7], v21, s4 src0_sel:BYTE_0 src1_sel:DWORD
	s_mov_b64 s[4:5], 0
                                        ; implicit-def: $sgpr10
	s_and_saveexec_b64 s[8:9], s[6:7]
	s_xor_b64 s[6:7], exec, s[8:9]
	s_cbranch_execnz .LBB31_2061
; %bb.13:
	s_or_saveexec_b64 s[6:7], s[6:7]
	v_mov_b32_e32 v22, s10
	s_xor_b64 exec, exec, s[6:7]
	s_cbranch_execnz .LBB31_2064
.LBB31_14:
	s_or_b64 exec, exec, s[6:7]
	s_and_saveexec_b64 s[6:7], s[4:5]
	s_cbranch_execz .LBB31_16
.LBB31_15:
	v_bfe_u32 v22, v10, 8, 3
	v_ffbh_u32_e32 v24, v22
	v_min_u32_e32 v24, 32, v24
	v_lshrrev_b16_e32 v23, 3, v21
	v_subrev_u32_e32 v25, 28, v24
	v_and_b32_e32 v23, 15, v23
	v_lshlrev_b32_e32 v21, v25, v21
	v_sub_u32_e32 v24, 29, v24
	v_and_b32_e32 v21, 7, v21
	v_cmp_eq_u16_e32 vcc, 0, v23
	v_cndmask_b32_e32 v21, v22, v21, vcc
	v_cndmask_b32_e32 v22, v23, v24, vcc
	v_lshlrev_b32_e32 v23, 16, v10
	v_mov_b32_e32 v24, 0x3b800000
	v_lshlrev_b32_e32 v21, 20, v21
	v_and_b32_e32 v23, 0x80000000, v23
	v_lshl_add_u32 v22, v22, 23, v24
	v_or3_b32 v22, v23, v22, v21
.LBB31_16:
	s_or_b64 exec, exec, s[6:7]
	s_nop 0
	v_mfma_f32_16x16x4f32 a[0:3], v20, v22, a[0:3]
	s_movk_i32 s4, 0xff
	v_and_b32_sdwa v21, v14, s4 dst_sel:DWORD dst_unused:UNUSED_PAD src0_sel:WORD_1 src1_sel:DWORD
	s_movk_i32 s4, 0x7f
	v_cmp_lt_i16_e32 vcc, s4, v21
	s_mov_b64 s[4:5], 0
                                        ; implicit-def: $sgpr10
	s_and_saveexec_b64 s[6:7], vcc
	s_xor_b64 s[6:7], exec, s[6:7]
	s_cbranch_execnz .LBB31_2065
; %bb.17:
	s_or_saveexec_b64 s[6:7], s[6:7]
	v_mov_b32_e32 v20, s10
	s_xor_b64 exec, exec, s[6:7]
	s_cbranch_execnz .LBB31_2068
.LBB31_18:
	s_or_b64 exec, exec, s[6:7]
	s_and_saveexec_b64 s[6:7], s[4:5]
	s_cbranch_execz .LBB31_20
.LBB31_19:
	v_bfe_u32 v20, v14, 16, 3
	v_ffbh_u32_e32 v23, v20
	v_min_u32_e32 v23, 32, v23
	v_lshrrev_b32_e32 v21, 19, v14
	v_subrev_u32_e32 v24, 28, v23
	v_and_b32_e32 v21, 15, v21
	v_lshlrev_b32_sdwa v24, v24, v14 dst_sel:DWORD dst_unused:UNUSED_PAD src0_sel:DWORD src1_sel:WORD_1
	v_bfe_u32 v22, v14, 19, 4
	v_sub_u32_e32 v23, 29, v23
	v_and_b32_e32 v24, 7, v24
	v_cmp_eq_u16_e32 vcc, 0, v21
	v_cndmask_b32_e32 v20, v20, v24, vcc
	v_cndmask_b32_e32 v21, v22, v23, vcc
	v_lshlrev_b32_e32 v22, 8, v14
	v_mov_b32_e32 v23, 0x3b800000
	v_lshlrev_b32_e32 v20, 20, v20
	v_and_b32_e32 v22, 0x80000000, v22
	v_lshl_add_u32 v21, v21, 23, v23
	v_or3_b32 v20, v22, v21, v20
.LBB31_20:
	s_or_b64 exec, exec, s[6:7]
	s_movk_i32 s4, 0xff
	v_and_b32_sdwa v21, v10, s4 dst_sel:DWORD dst_unused:UNUSED_PAD src0_sel:WORD_1 src1_sel:DWORD
	s_movk_i32 s4, 0x7f
	v_cmp_lt_i16_e32 vcc, s4, v21
	s_mov_b64 s[4:5], 0
                                        ; implicit-def: $sgpr10
	s_and_saveexec_b64 s[6:7], vcc
	s_xor_b64 s[6:7], exec, s[6:7]
	s_cbranch_execnz .LBB31_2069
; %bb.21:
	s_or_saveexec_b64 s[6:7], s[6:7]
	v_mov_b32_e32 v22, s10
	s_xor_b64 exec, exec, s[6:7]
	s_cbranch_execnz .LBB31_2072
.LBB31_22:
	s_or_b64 exec, exec, s[6:7]
	s_and_saveexec_b64 s[6:7], s[4:5]
	s_cbranch_execz .LBB31_24
.LBB31_23:
	v_bfe_u32 v21, v10, 16, 3
	v_ffbh_u32_e32 v24, v21
	v_min_u32_e32 v24, 32, v24
	v_lshrrev_b32_e32 v22, 19, v10
	v_subrev_u32_e32 v25, 28, v24
	v_and_b32_e32 v22, 15, v22
	v_lshlrev_b32_sdwa v25, v25, v10 dst_sel:DWORD dst_unused:UNUSED_PAD src0_sel:DWORD src1_sel:WORD_1
	v_bfe_u32 v23, v10, 19, 4
	v_sub_u32_e32 v24, 29, v24
	v_and_b32_e32 v25, 7, v25
	v_cmp_eq_u16_e32 vcc, 0, v22
	v_cndmask_b32_e32 v21, v21, v25, vcc
	v_cndmask_b32_e32 v22, v23, v24, vcc
	v_lshlrev_b32_e32 v23, 8, v10
	v_mov_b32_e32 v24, 0x3b800000
	v_lshlrev_b32_e32 v21, 20, v21
	v_and_b32_e32 v23, 0x80000000, v23
	v_lshl_add_u32 v22, v22, 23, v24
	v_or3_b32 v22, v23, v22, v21
.LBB31_24:
	s_or_b64 exec, exec, s[6:7]
	s_nop 0
	v_mfma_f32_16x16x4f32 a[0:3], v20, v22, a[0:3]
	s_movk_i32 s4, 0x7f
	v_cmp_gt_i16_sdwa s[6:7], v14, s4 src0_sel:BYTE_3 src1_sel:DWORD
	s_mov_b64 s[4:5], 0
                                        ; implicit-def: $sgpr10
	s_and_saveexec_b64 s[8:9], s[6:7]
	s_xor_b64 s[6:7], exec, s[8:9]
	s_cbranch_execnz .LBB31_2073
; %bb.25:
	s_or_saveexec_b64 s[6:7], s[6:7]
	v_mov_b32_e32 v20, s10
	s_xor_b64 exec, exec, s[6:7]
	s_cbranch_execnz .LBB31_2076
.LBB31_26:
	s_or_b64 exec, exec, s[6:7]
	s_and_saveexec_b64 s[6:7], s[4:5]
	s_cbranch_execz .LBB31_28
.LBB31_27:
	v_bfe_u32 v20, v14, 24, 3
	v_ffbh_u32_e32 v24, v20
	v_min_u32_e32 v24, 32, v24
	v_lshrrev_b32_e32 v22, 27, v14
	v_subrev_u32_e32 v25, 28, v24
	v_and_b32_e32 v21, 0x80000000, v14
	v_and_b32_e32 v22, 15, v22
	v_bfe_u32 v23, v14, 27, 4
	v_lshlrev_b32_sdwa v14, v25, v14 dst_sel:DWORD dst_unused:UNUSED_PAD src0_sel:DWORD src1_sel:BYTE_3
	v_sub_u32_e32 v24, 29, v24
	v_and_b32_e32 v14, 7, v14
	v_cmp_eq_u16_e32 vcc, 0, v22
	v_cndmask_b32_e32 v14, v20, v14, vcc
	v_cndmask_b32_e32 v20, v23, v24, vcc
	v_mov_b32_e32 v22, 0x3b800000
	v_lshlrev_b32_e32 v14, 20, v14
	v_lshl_add_u32 v20, v20, 23, v22
	v_or3_b32 v20, v21, v20, v14
.LBB31_28:
	s_or_b64 exec, exec, s[6:7]
	s_movk_i32 s4, 0x7f
	v_cmp_gt_i16_sdwa s[6:7], v10, s4 src0_sel:BYTE_3 src1_sel:DWORD
	s_mov_b64 s[4:5], 0
                                        ; implicit-def: $sgpr10
	s_and_saveexec_b64 s[8:9], s[6:7]
	s_xor_b64 s[6:7], exec, s[8:9]
	s_cbranch_execnz .LBB31_2077
; %bb.29:
	s_or_saveexec_b64 s[6:7], s[6:7]
	v_mov_b32_e32 v14, s10
	s_xor_b64 exec, exec, s[6:7]
	s_cbranch_execnz .LBB31_2080
.LBB31_30:
	s_or_b64 exec, exec, s[6:7]
	s_and_saveexec_b64 s[6:7], s[4:5]
	s_cbranch_execz .LBB31_32
.LBB31_31:
	v_bfe_u32 v14, v10, 24, 3
	v_ffbh_u32_e32 v24, v14
	v_min_u32_e32 v24, 32, v24
	v_lshrrev_b32_e32 v22, 27, v10
	v_subrev_u32_e32 v25, 28, v24
	v_and_b32_e32 v21, 0x80000000, v10
	v_and_b32_e32 v22, 15, v22
	v_bfe_u32 v23, v10, 27, 4
	v_lshlrev_b32_sdwa v10, v25, v10 dst_sel:DWORD dst_unused:UNUSED_PAD src0_sel:DWORD src1_sel:BYTE_3
	v_sub_u32_e32 v24, 29, v24
	v_and_b32_e32 v10, 7, v10
	v_cmp_eq_u16_e32 vcc, 0, v22
	v_cndmask_b32_e32 v10, v14, v10, vcc
	v_cndmask_b32_e32 v14, v23, v24, vcc
	v_mov_b32_e32 v22, 0x3b800000
	v_lshlrev_b32_e32 v10, 20, v10
	v_lshl_add_u32 v14, v14, 23, v22
	v_or3_b32 v14, v21, v14, v10
.LBB31_32:
	s_or_b64 exec, exec, s[6:7]
	s_nop 0
	v_mfma_f32_16x16x4f32 a[0:3], v20, v14, a[0:3]
	s_movk_i32 s4, 0x7f
	v_cmp_gt_i16_sdwa s[6:7], v15, s4 src0_sel:BYTE_0 src1_sel:DWORD
	s_mov_b64 s[4:5], 0
                                        ; implicit-def: $sgpr10
	s_and_saveexec_b64 s[8:9], s[6:7]
	s_xor_b64 s[6:7], exec, s[8:9]
	s_cbranch_execnz .LBB31_2081
; %bb.33:
	s_or_saveexec_b64 s[6:7], s[6:7]
	v_mov_b32_e32 v10, s10
	s_xor_b64 exec, exec, s[6:7]
	s_cbranch_execnz .LBB31_2084
.LBB31_34:
	s_or_b64 exec, exec, s[6:7]
	s_and_saveexec_b64 s[6:7], s[4:5]
	s_cbranch_execz .LBB31_36
.LBB31_35:
	v_and_b32_e32 v10, 7, v15
	v_ffbh_u32_e32 v20, v10
	v_min_u32_e32 v20, 32, v20
	v_lshrrev_b16_e32 v14, 3, v15
	v_subrev_u32_e32 v21, 28, v20
	v_and_b32_e32 v14, 15, v14
	v_lshlrev_b32_e32 v21, v21, v15
	v_sub_u32_e32 v20, 29, v20
	v_and_b32_e32 v21, 7, v21
	v_cmp_eq_u16_e32 vcc, 0, v14
	v_cndmask_b32_e32 v10, v10, v21, vcc
	v_cndmask_b32_e32 v14, v14, v20, vcc
	v_lshlrev_b32_e32 v20, 24, v15
	v_mov_b32_e32 v21, 0x3b800000
	v_lshlrev_b32_e32 v10, 20, v10
	v_and_b32_e32 v20, 0x80000000, v20
	v_lshl_add_u32 v14, v14, 23, v21
	v_or3_b32 v10, v20, v14, v10
.LBB31_36:
	s_or_b64 exec, exec, s[6:7]
	s_movk_i32 s4, 0x7f
	v_cmp_gt_i16_sdwa s[6:7], v11, s4 src0_sel:BYTE_0 src1_sel:DWORD
	s_mov_b64 s[4:5], 0
                                        ; implicit-def: $sgpr10
	s_and_saveexec_b64 s[8:9], s[6:7]
	s_xor_b64 s[6:7], exec, s[8:9]
	s_cbranch_execnz .LBB31_2085
; %bb.37:
	s_or_saveexec_b64 s[6:7], s[6:7]
	v_mov_b32_e32 v14, s10
	s_xor_b64 exec, exec, s[6:7]
	s_cbranch_execnz .LBB31_2088
.LBB31_38:
	s_or_b64 exec, exec, s[6:7]
	s_and_saveexec_b64 s[6:7], s[4:5]
	s_cbranch_execz .LBB31_40
.LBB31_39:
	v_and_b32_e32 v14, 7, v11
	v_ffbh_u32_e32 v21, v14
	v_min_u32_e32 v21, 32, v21
	v_lshrrev_b16_e32 v20, 3, v11
	v_subrev_u32_e32 v22, 28, v21
	v_and_b32_e32 v20, 15, v20
	v_lshlrev_b32_e32 v22, v22, v11
	v_sub_u32_e32 v21, 29, v21
	v_and_b32_e32 v22, 7, v22
	v_cmp_eq_u16_e32 vcc, 0, v20
	v_cndmask_b32_e32 v14, v14, v22, vcc
	v_cndmask_b32_e32 v20, v20, v21, vcc
	v_lshlrev_b32_e32 v21, 24, v11
	v_mov_b32_e32 v22, 0x3b800000
	v_lshlrev_b32_e32 v14, 20, v14
	v_and_b32_e32 v21, 0x80000000, v21
	v_lshl_add_u32 v20, v20, 23, v22
	v_or3_b32 v14, v21, v20, v14
.LBB31_40:
	s_or_b64 exec, exec, s[6:7]
	s_nop 0
	v_mfma_f32_16x16x4f32 a[0:3], v10, v14, a[0:3]
	v_lshrrev_b32_e32 v14, 8, v15
	s_movk_i32 s4, 0x7f
	v_cmp_gt_i16_sdwa s[6:7], v14, s4 src0_sel:BYTE_0 src1_sel:DWORD
	s_mov_b64 s[4:5], 0
                                        ; implicit-def: $sgpr10
	s_and_saveexec_b64 s[8:9], s[6:7]
	s_xor_b64 s[6:7], exec, s[8:9]
	s_cbranch_execnz .LBB31_2089
; %bb.41:
	s_or_saveexec_b64 s[6:7], s[6:7]
	v_mov_b32_e32 v10, s10
	s_xor_b64 exec, exec, s[6:7]
	s_cbranch_execnz .LBB31_2092
.LBB31_42:
	s_or_b64 exec, exec, s[6:7]
	s_and_saveexec_b64 s[6:7], s[4:5]
	s_cbranch_execz .LBB31_44
.LBB31_43:
	v_bfe_u32 v10, v15, 8, 3
	v_ffbh_u32_e32 v21, v10
	v_min_u32_e32 v21, 32, v21
	v_lshrrev_b16_e32 v20, 3, v14
	v_subrev_u32_e32 v22, 28, v21
	v_and_b32_e32 v20, 15, v20
	v_lshlrev_b32_e32 v14, v22, v14
	v_sub_u32_e32 v21, 29, v21
	v_and_b32_e32 v14, 7, v14
	v_cmp_eq_u16_e32 vcc, 0, v20
	v_cndmask_b32_e32 v10, v10, v14, vcc
	v_cndmask_b32_e32 v14, v20, v21, vcc
	v_lshlrev_b32_e32 v20, 16, v15
	v_mov_b32_e32 v21, 0x3b800000
	v_lshlrev_b32_e32 v10, 20, v10
	v_and_b32_e32 v20, 0x80000000, v20
	v_lshl_add_u32 v14, v14, 23, v21
	v_or3_b32 v10, v20, v14, v10
.LBB31_44:
	s_or_b64 exec, exec, s[6:7]
	v_lshrrev_b32_e32 v14, 8, v11
	s_movk_i32 s4, 0x7f
	v_cmp_gt_i16_sdwa s[6:7], v14, s4 src0_sel:BYTE_0 src1_sel:DWORD
	s_mov_b64 s[4:5], 0
                                        ; implicit-def: $sgpr10
	s_and_saveexec_b64 s[8:9], s[6:7]
	s_xor_b64 s[6:7], exec, s[8:9]
	s_cbranch_execnz .LBB31_2093
; %bb.45:
	s_or_saveexec_b64 s[6:7], s[6:7]
	v_mov_b32_e32 v20, s10
	s_xor_b64 exec, exec, s[6:7]
	s_cbranch_execnz .LBB31_2096
.LBB31_46:
	s_or_b64 exec, exec, s[6:7]
	s_and_saveexec_b64 s[6:7], s[4:5]
	s_cbranch_execz .LBB31_48
.LBB31_47:
	v_bfe_u32 v20, v11, 8, 3
	v_ffbh_u32_e32 v22, v20
	v_min_u32_e32 v22, 32, v22
	v_lshrrev_b16_e32 v21, 3, v14
	v_subrev_u32_e32 v23, 28, v22
	v_and_b32_e32 v21, 15, v21
	v_lshlrev_b32_e32 v14, v23, v14
	v_sub_u32_e32 v22, 29, v22
	v_and_b32_e32 v14, 7, v14
	v_cmp_eq_u16_e32 vcc, 0, v21
	v_cndmask_b32_e32 v14, v20, v14, vcc
	v_cndmask_b32_e32 v20, v21, v22, vcc
	v_lshlrev_b32_e32 v21, 16, v11
	v_mov_b32_e32 v22, 0x3b800000
	v_lshlrev_b32_e32 v14, 20, v14
	v_and_b32_e32 v21, 0x80000000, v21
	v_lshl_add_u32 v20, v20, 23, v22
	v_or3_b32 v20, v21, v20, v14
.LBB31_48:
	s_or_b64 exec, exec, s[6:7]
	s_nop 0
	v_mfma_f32_16x16x4f32 a[0:3], v10, v20, a[0:3]
	s_movk_i32 s4, 0xff
	v_and_b32_sdwa v14, v15, s4 dst_sel:DWORD dst_unused:UNUSED_PAD src0_sel:WORD_1 src1_sel:DWORD
	s_movk_i32 s4, 0x7f
	v_cmp_lt_i16_e32 vcc, s4, v14
	s_mov_b64 s[4:5], 0
                                        ; implicit-def: $sgpr10
	s_and_saveexec_b64 s[6:7], vcc
	s_xor_b64 s[6:7], exec, s[6:7]
	s_cbranch_execnz .LBB31_2097
; %bb.49:
	s_or_saveexec_b64 s[6:7], s[6:7]
	v_mov_b32_e32 v10, s10
	s_xor_b64 exec, exec, s[6:7]
	s_cbranch_execnz .LBB31_2100
.LBB31_50:
	s_or_b64 exec, exec, s[6:7]
	s_and_saveexec_b64 s[6:7], s[4:5]
	s_cbranch_execz .LBB31_52
.LBB31_51:
	v_bfe_u32 v10, v15, 16, 3
	v_ffbh_u32_e32 v21, v10
	v_min_u32_e32 v21, 32, v21
	v_lshrrev_b32_e32 v14, 19, v15
	v_subrev_u32_e32 v22, 28, v21
	v_and_b32_e32 v14, 15, v14
	v_lshlrev_b32_sdwa v22, v22, v15 dst_sel:DWORD dst_unused:UNUSED_PAD src0_sel:DWORD src1_sel:WORD_1
	v_bfe_u32 v20, v15, 19, 4
	v_sub_u32_e32 v21, 29, v21
	v_and_b32_e32 v22, 7, v22
	v_cmp_eq_u16_e32 vcc, 0, v14
	v_cndmask_b32_e32 v10, v10, v22, vcc
	v_cndmask_b32_e32 v14, v20, v21, vcc
	v_lshlrev_b32_e32 v20, 8, v15
	v_mov_b32_e32 v21, 0x3b800000
	v_lshlrev_b32_e32 v10, 20, v10
	v_and_b32_e32 v20, 0x80000000, v20
	v_lshl_add_u32 v14, v14, 23, v21
	v_or3_b32 v10, v20, v14, v10
.LBB31_52:
	s_or_b64 exec, exec, s[6:7]
	s_movk_i32 s4, 0xff
	v_and_b32_sdwa v14, v11, s4 dst_sel:DWORD dst_unused:UNUSED_PAD src0_sel:WORD_1 src1_sel:DWORD
	s_movk_i32 s4, 0x7f
	v_cmp_lt_i16_e32 vcc, s4, v14
	s_mov_b64 s[4:5], 0
                                        ; implicit-def: $sgpr10
	s_and_saveexec_b64 s[6:7], vcc
	s_xor_b64 s[6:7], exec, s[6:7]
	s_cbranch_execnz .LBB31_2101
; %bb.53:
	s_or_saveexec_b64 s[6:7], s[6:7]
	v_mov_b32_e32 v20, s10
	s_xor_b64 exec, exec, s[6:7]
	s_cbranch_execnz .LBB31_2104
.LBB31_54:
	s_or_b64 exec, exec, s[6:7]
	s_and_saveexec_b64 s[6:7], s[4:5]
	s_cbranch_execz .LBB31_56
.LBB31_55:
	v_bfe_u32 v14, v11, 16, 3
	v_ffbh_u32_e32 v22, v14
	v_min_u32_e32 v22, 32, v22
	v_lshrrev_b32_e32 v20, 19, v11
	v_subrev_u32_e32 v23, 28, v22
	v_and_b32_e32 v20, 15, v20
	v_lshlrev_b32_sdwa v23, v23, v11 dst_sel:DWORD dst_unused:UNUSED_PAD src0_sel:DWORD src1_sel:WORD_1
	v_bfe_u32 v21, v11, 19, 4
	v_sub_u32_e32 v22, 29, v22
	v_and_b32_e32 v23, 7, v23
	v_cmp_eq_u16_e32 vcc, 0, v20
	v_cndmask_b32_e32 v14, v14, v23, vcc
	v_cndmask_b32_e32 v20, v21, v22, vcc
	v_lshlrev_b32_e32 v21, 8, v11
	v_mov_b32_e32 v22, 0x3b800000
	v_lshlrev_b32_e32 v14, 20, v14
	v_and_b32_e32 v21, 0x80000000, v21
	v_lshl_add_u32 v20, v20, 23, v22
	v_or3_b32 v20, v21, v20, v14
.LBB31_56:
	s_or_b64 exec, exec, s[6:7]
	s_nop 0
	v_mfma_f32_16x16x4f32 a[0:3], v10, v20, a[0:3]
	s_movk_i32 s4, 0x7f
	v_cmp_gt_i16_sdwa s[6:7], v15, s4 src0_sel:BYTE_3 src1_sel:DWORD
	s_mov_b64 s[4:5], 0
                                        ; implicit-def: $sgpr10
	s_and_saveexec_b64 s[8:9], s[6:7]
	s_xor_b64 s[6:7], exec, s[8:9]
	s_cbranch_execnz .LBB31_2105
; %bb.57:
	s_or_saveexec_b64 s[6:7], s[6:7]
	v_mov_b32_e32 v10, s10
	s_xor_b64 exec, exec, s[6:7]
	s_cbranch_execnz .LBB31_2108
.LBB31_58:
	s_or_b64 exec, exec, s[6:7]
	s_and_saveexec_b64 s[6:7], s[4:5]
	s_cbranch_execz .LBB31_60
.LBB31_59:
	v_bfe_u32 v10, v15, 24, 3
	v_ffbh_u32_e32 v22, v10
	v_min_u32_e32 v22, 32, v22
	v_lshrrev_b32_e32 v20, 27, v15
	v_subrev_u32_e32 v23, 28, v22
	v_and_b32_e32 v14, 0x80000000, v15
	v_and_b32_e32 v20, 15, v20
	v_bfe_u32 v21, v15, 27, 4
	v_lshlrev_b32_sdwa v15, v23, v15 dst_sel:DWORD dst_unused:UNUSED_PAD src0_sel:DWORD src1_sel:BYTE_3
	v_sub_u32_e32 v22, 29, v22
	v_and_b32_e32 v15, 7, v15
	v_cmp_eq_u16_e32 vcc, 0, v20
	v_cndmask_b32_e32 v10, v10, v15, vcc
	v_cndmask_b32_e32 v15, v21, v22, vcc
	v_mov_b32_e32 v20, 0x3b800000
	v_lshlrev_b32_e32 v10, 20, v10
	v_lshl_add_u32 v15, v15, 23, v20
	v_or3_b32 v10, v14, v15, v10
.LBB31_60:
	s_or_b64 exec, exec, s[6:7]
	s_movk_i32 s4, 0x7f
	v_cmp_gt_i16_sdwa s[6:7], v11, s4 src0_sel:BYTE_3 src1_sel:DWORD
	s_mov_b64 s[4:5], 0
                                        ; implicit-def: $sgpr10
	s_and_saveexec_b64 s[8:9], s[6:7]
	s_xor_b64 s[6:7], exec, s[8:9]
	s_cbranch_execnz .LBB31_2109
; %bb.61:
	s_or_saveexec_b64 s[6:7], s[6:7]
	v_mov_b32_e32 v14, s10
	s_xor_b64 exec, exec, s[6:7]
	s_cbranch_execnz .LBB31_2112
.LBB31_62:
	s_or_b64 exec, exec, s[6:7]
	s_and_saveexec_b64 s[6:7], s[4:5]
	s_cbranch_execz .LBB31_64
.LBB31_63:
	v_bfe_u32 v14, v11, 24, 3
	v_ffbh_u32_e32 v22, v14
	v_min_u32_e32 v22, 32, v22
	v_lshrrev_b32_e32 v20, 27, v11
	v_subrev_u32_e32 v23, 28, v22
	v_and_b32_e32 v15, 0x80000000, v11
	v_and_b32_e32 v20, 15, v20
	v_bfe_u32 v21, v11, 27, 4
	v_lshlrev_b32_sdwa v11, v23, v11 dst_sel:DWORD dst_unused:UNUSED_PAD src0_sel:DWORD src1_sel:BYTE_3
	v_sub_u32_e32 v22, 29, v22
	v_and_b32_e32 v11, 7, v11
	v_cmp_eq_u16_e32 vcc, 0, v20
	v_cndmask_b32_e32 v11, v14, v11, vcc
	v_cndmask_b32_e32 v14, v21, v22, vcc
	v_mov_b32_e32 v20, 0x3b800000
	v_lshlrev_b32_e32 v11, 20, v11
	v_lshl_add_u32 v14, v14, 23, v20
	v_or3_b32 v14, v15, v14, v11
.LBB31_64:
	s_or_b64 exec, exec, s[6:7]
	s_nop 0
	v_mfma_f32_16x16x4f32 a[0:3], v10, v14, a[0:3]
	s_movk_i32 s4, 0x7f
	v_cmp_gt_i16_sdwa s[6:7], v16, s4 src0_sel:BYTE_0 src1_sel:DWORD
	s_mov_b64 s[4:5], 0
                                        ; implicit-def: $sgpr10
	s_and_saveexec_b64 s[8:9], s[6:7]
	s_xor_b64 s[6:7], exec, s[8:9]
	s_cbranch_execnz .LBB31_2113
; %bb.65:
	s_or_saveexec_b64 s[6:7], s[6:7]
	v_mov_b32_e32 v10, s10
	s_xor_b64 exec, exec, s[6:7]
	s_cbranch_execnz .LBB31_2116
.LBB31_66:
	s_or_b64 exec, exec, s[6:7]
	s_and_saveexec_b64 s[6:7], s[4:5]
	s_cbranch_execz .LBB31_68
.LBB31_67:
	v_and_b32_e32 v10, 7, v16
	v_ffbh_u32_e32 v14, v10
	v_min_u32_e32 v14, 32, v14
	v_lshrrev_b16_e32 v11, 3, v16
	v_subrev_u32_e32 v15, 28, v14
	v_and_b32_e32 v11, 15, v11
	v_lshlrev_b32_e32 v15, v15, v16
	v_sub_u32_e32 v14, 29, v14
	v_and_b32_e32 v15, 7, v15
	v_cmp_eq_u16_e32 vcc, 0, v11
	v_cndmask_b32_e32 v10, v10, v15, vcc
	v_cndmask_b32_e32 v11, v11, v14, vcc
	v_lshlrev_b32_e32 v14, 24, v16
	v_mov_b32_e32 v15, 0x3b800000
	v_lshlrev_b32_e32 v10, 20, v10
	v_and_b32_e32 v14, 0x80000000, v14
	v_lshl_add_u32 v11, v11, 23, v15
	v_or3_b32 v10, v14, v11, v10
.LBB31_68:
	s_or_b64 exec, exec, s[6:7]
	s_movk_i32 s4, 0x7f
	v_cmp_gt_i16_sdwa s[6:7], v12, s4 src0_sel:BYTE_0 src1_sel:DWORD
	s_mov_b64 s[4:5], 0
                                        ; implicit-def: $sgpr10
	s_and_saveexec_b64 s[8:9], s[6:7]
	s_xor_b64 s[6:7], exec, s[8:9]
	s_cbranch_execnz .LBB31_2117
; %bb.69:
	s_or_saveexec_b64 s[6:7], s[6:7]
	v_mov_b32_e32 v11, s10
	s_xor_b64 exec, exec, s[6:7]
	s_cbranch_execnz .LBB31_2120
.LBB31_70:
	s_or_b64 exec, exec, s[6:7]
	s_and_saveexec_b64 s[6:7], s[4:5]
	s_cbranch_execz .LBB31_72
.LBB31_71:
	v_and_b32_e32 v11, 7, v12
	v_ffbh_u32_e32 v15, v11
	v_min_u32_e32 v15, 32, v15
	v_lshrrev_b16_e32 v14, 3, v12
	v_subrev_u32_e32 v20, 28, v15
	v_and_b32_e32 v14, 15, v14
	v_lshlrev_b32_e32 v20, v20, v12
	v_sub_u32_e32 v15, 29, v15
	v_and_b32_e32 v20, 7, v20
	v_cmp_eq_u16_e32 vcc, 0, v14
	v_cndmask_b32_e32 v11, v11, v20, vcc
	v_cndmask_b32_e32 v14, v14, v15, vcc
	v_lshlrev_b32_e32 v15, 24, v12
	v_mov_b32_e32 v20, 0x3b800000
	v_lshlrev_b32_e32 v11, 20, v11
	v_and_b32_e32 v15, 0x80000000, v15
	v_lshl_add_u32 v14, v14, 23, v20
	v_or3_b32 v11, v15, v14, v11
.LBB31_72:
	s_or_b64 exec, exec, s[6:7]
	s_nop 0
	v_mfma_f32_16x16x4f32 a[0:3], v10, v11, a[0:3]
	v_lshrrev_b32_e32 v11, 8, v16
	s_movk_i32 s4, 0x7f
	v_cmp_gt_i16_sdwa s[6:7], v11, s4 src0_sel:BYTE_0 src1_sel:DWORD
	s_mov_b64 s[4:5], 0
                                        ; implicit-def: $sgpr10
	s_and_saveexec_b64 s[8:9], s[6:7]
	s_xor_b64 s[6:7], exec, s[8:9]
	s_cbranch_execnz .LBB31_2121
; %bb.73:
	s_or_saveexec_b64 s[6:7], s[6:7]
	v_mov_b32_e32 v10, s10
	s_xor_b64 exec, exec, s[6:7]
	s_cbranch_execnz .LBB31_2124
.LBB31_74:
	s_or_b64 exec, exec, s[6:7]
	s_and_saveexec_b64 s[6:7], s[4:5]
	s_cbranch_execz .LBB31_76
.LBB31_75:
	v_bfe_u32 v10, v16, 8, 3
	v_ffbh_u32_e32 v15, v10
	v_min_u32_e32 v15, 32, v15
	v_lshrrev_b16_e32 v14, 3, v11
	v_subrev_u32_e32 v20, 28, v15
	v_and_b32_e32 v14, 15, v14
	v_lshlrev_b32_e32 v11, v20, v11
	v_sub_u32_e32 v15, 29, v15
	v_and_b32_e32 v11, 7, v11
	v_cmp_eq_u16_e32 vcc, 0, v14
	v_cndmask_b32_e32 v10, v10, v11, vcc
	v_cndmask_b32_e32 v11, v14, v15, vcc
	v_lshlrev_b32_e32 v14, 16, v16
	v_mov_b32_e32 v15, 0x3b800000
	v_lshlrev_b32_e32 v10, 20, v10
	v_and_b32_e32 v14, 0x80000000, v14
	v_lshl_add_u32 v11, v11, 23, v15
	v_or3_b32 v10, v14, v11, v10
.LBB31_76:
	s_or_b64 exec, exec, s[6:7]
	v_lshrrev_b32_e32 v11, 8, v12
	s_movk_i32 s4, 0x7f
	v_cmp_gt_i16_sdwa s[6:7], v11, s4 src0_sel:BYTE_0 src1_sel:DWORD
	s_mov_b64 s[4:5], 0
                                        ; implicit-def: $sgpr10
	s_and_saveexec_b64 s[8:9], s[6:7]
	s_xor_b64 s[6:7], exec, s[8:9]
	s_cbranch_execnz .LBB31_2125
; %bb.77:
	s_or_saveexec_b64 s[6:7], s[6:7]
	v_mov_b32_e32 v14, s10
	s_xor_b64 exec, exec, s[6:7]
	s_cbranch_execnz .LBB31_2128
.LBB31_78:
	s_or_b64 exec, exec, s[6:7]
	s_and_saveexec_b64 s[6:7], s[4:5]
	s_cbranch_execz .LBB31_80
.LBB31_79:
	v_bfe_u32 v14, v12, 8, 3
	v_ffbh_u32_e32 v20, v14
	v_min_u32_e32 v20, 32, v20
	v_lshrrev_b16_e32 v15, 3, v11
	v_subrev_u32_e32 v21, 28, v20
	v_and_b32_e32 v15, 15, v15
	v_lshlrev_b32_e32 v11, v21, v11
	v_sub_u32_e32 v20, 29, v20
	v_and_b32_e32 v11, 7, v11
	v_cmp_eq_u16_e32 vcc, 0, v15
	v_cndmask_b32_e32 v11, v14, v11, vcc
	v_cndmask_b32_e32 v14, v15, v20, vcc
	v_lshlrev_b32_e32 v15, 16, v12
	v_mov_b32_e32 v20, 0x3b800000
	v_lshlrev_b32_e32 v11, 20, v11
	v_and_b32_e32 v15, 0x80000000, v15
	v_lshl_add_u32 v14, v14, 23, v20
	v_or3_b32 v14, v15, v14, v11
.LBB31_80:
	s_or_b64 exec, exec, s[6:7]
	s_nop 0
	v_mfma_f32_16x16x4f32 a[0:3], v10, v14, a[0:3]
	s_movk_i32 s4, 0xff
	v_and_b32_sdwa v11, v16, s4 dst_sel:DWORD dst_unused:UNUSED_PAD src0_sel:WORD_1 src1_sel:DWORD
	s_movk_i32 s4, 0x7f
	v_cmp_lt_i16_e32 vcc, s4, v11
	s_mov_b64 s[4:5], 0
                                        ; implicit-def: $sgpr10
	s_and_saveexec_b64 s[6:7], vcc
	s_xor_b64 s[6:7], exec, s[6:7]
	s_cbranch_execnz .LBB31_2129
; %bb.81:
	s_or_saveexec_b64 s[6:7], s[6:7]
	v_mov_b32_e32 v10, s10
	s_xor_b64 exec, exec, s[6:7]
	s_cbranch_execnz .LBB31_2132
.LBB31_82:
	s_or_b64 exec, exec, s[6:7]
	s_and_saveexec_b64 s[6:7], s[4:5]
	s_cbranch_execz .LBB31_84
.LBB31_83:
	v_bfe_u32 v10, v16, 16, 3
	v_ffbh_u32_e32 v15, v10
	v_min_u32_e32 v15, 32, v15
	v_lshrrev_b32_e32 v11, 19, v16
	v_subrev_u32_e32 v20, 28, v15
	v_and_b32_e32 v11, 15, v11
	v_lshlrev_b32_sdwa v20, v20, v16 dst_sel:DWORD dst_unused:UNUSED_PAD src0_sel:DWORD src1_sel:WORD_1
	v_bfe_u32 v14, v16, 19, 4
	v_sub_u32_e32 v15, 29, v15
	v_and_b32_e32 v20, 7, v20
	v_cmp_eq_u16_e32 vcc, 0, v11
	v_cndmask_b32_e32 v10, v10, v20, vcc
	v_cndmask_b32_e32 v11, v14, v15, vcc
	v_lshlrev_b32_e32 v14, 8, v16
	v_mov_b32_e32 v15, 0x3b800000
	v_lshlrev_b32_e32 v10, 20, v10
	v_and_b32_e32 v14, 0x80000000, v14
	v_lshl_add_u32 v11, v11, 23, v15
	v_or3_b32 v10, v14, v11, v10
.LBB31_84:
	s_or_b64 exec, exec, s[6:7]
	s_movk_i32 s4, 0xff
	v_and_b32_sdwa v11, v12, s4 dst_sel:DWORD dst_unused:UNUSED_PAD src0_sel:WORD_1 src1_sel:DWORD
	s_movk_i32 s4, 0x7f
	v_cmp_lt_i16_e32 vcc, s4, v11
	s_mov_b64 s[4:5], 0
                                        ; implicit-def: $sgpr10
	s_and_saveexec_b64 s[6:7], vcc
	s_xor_b64 s[6:7], exec, s[6:7]
	s_cbranch_execnz .LBB31_2133
; %bb.85:
	s_or_saveexec_b64 s[6:7], s[6:7]
	v_mov_b32_e32 v14, s10
	s_xor_b64 exec, exec, s[6:7]
	s_cbranch_execnz .LBB31_2136
.LBB31_86:
	s_or_b64 exec, exec, s[6:7]
	s_and_saveexec_b64 s[6:7], s[4:5]
	s_cbranch_execz .LBB31_88
.LBB31_87:
	v_bfe_u32 v11, v12, 16, 3
	v_ffbh_u32_e32 v20, v11
	v_min_u32_e32 v20, 32, v20
	v_lshrrev_b32_e32 v14, 19, v12
	v_subrev_u32_e32 v21, 28, v20
	v_and_b32_e32 v14, 15, v14
	v_lshlrev_b32_sdwa v21, v21, v12 dst_sel:DWORD dst_unused:UNUSED_PAD src0_sel:DWORD src1_sel:WORD_1
	v_bfe_u32 v15, v12, 19, 4
	v_sub_u32_e32 v20, 29, v20
	v_and_b32_e32 v21, 7, v21
	v_cmp_eq_u16_e32 vcc, 0, v14
	v_cndmask_b32_e32 v11, v11, v21, vcc
	v_cndmask_b32_e32 v14, v15, v20, vcc
	v_lshlrev_b32_e32 v15, 8, v12
	v_mov_b32_e32 v20, 0x3b800000
	v_lshlrev_b32_e32 v11, 20, v11
	v_and_b32_e32 v15, 0x80000000, v15
	v_lshl_add_u32 v14, v14, 23, v20
	v_or3_b32 v14, v15, v14, v11
.LBB31_88:
	s_or_b64 exec, exec, s[6:7]
	s_nop 0
	v_mfma_f32_16x16x4f32 a[0:3], v10, v14, a[0:3]
	s_movk_i32 s4, 0x7f
	v_cmp_gt_i16_sdwa s[6:7], v16, s4 src0_sel:BYTE_3 src1_sel:DWORD
	s_mov_b64 s[4:5], 0
                                        ; implicit-def: $sgpr10
	s_and_saveexec_b64 s[8:9], s[6:7]
	s_xor_b64 s[6:7], exec, s[8:9]
	s_cbranch_execnz .LBB31_2137
; %bb.89:
	s_or_saveexec_b64 s[6:7], s[6:7]
	v_mov_b32_e32 v10, s10
	s_xor_b64 exec, exec, s[6:7]
	s_cbranch_execnz .LBB31_2140
.LBB31_90:
	s_or_b64 exec, exec, s[6:7]
	s_and_saveexec_b64 s[6:7], s[4:5]
	s_cbranch_execz .LBB31_92
.LBB31_91:
	v_bfe_u32 v10, v16, 24, 3
	v_ffbh_u32_e32 v20, v10
	v_min_u32_e32 v20, 32, v20
	v_lshrrev_b32_e32 v14, 27, v16
	v_subrev_u32_e32 v21, 28, v20
	v_and_b32_e32 v11, 0x80000000, v16
	v_and_b32_e32 v14, 15, v14
	v_bfe_u32 v15, v16, 27, 4
	v_lshlrev_b32_sdwa v16, v21, v16 dst_sel:DWORD dst_unused:UNUSED_PAD src0_sel:DWORD src1_sel:BYTE_3
	v_sub_u32_e32 v20, 29, v20
	v_and_b32_e32 v16, 7, v16
	v_cmp_eq_u16_e32 vcc, 0, v14
	v_cndmask_b32_e32 v10, v10, v16, vcc
	v_cndmask_b32_e32 v14, v15, v20, vcc
	v_mov_b32_e32 v15, 0x3b800000
	v_lshlrev_b32_e32 v10, 20, v10
	v_lshl_add_u32 v14, v14, 23, v15
	v_or3_b32 v10, v11, v14, v10
.LBB31_92:
	s_or_b64 exec, exec, s[6:7]
	s_movk_i32 s4, 0x7f
	v_cmp_gt_i16_sdwa s[6:7], v12, s4 src0_sel:BYTE_3 src1_sel:DWORD
	s_mov_b64 s[4:5], 0
                                        ; implicit-def: $sgpr10
	s_and_saveexec_b64 s[8:9], s[6:7]
	s_xor_b64 s[6:7], exec, s[8:9]
	s_cbranch_execnz .LBB31_2141
; %bb.93:
	s_or_saveexec_b64 s[6:7], s[6:7]
	v_mov_b32_e32 v11, s10
	s_xor_b64 exec, exec, s[6:7]
	s_cbranch_execnz .LBB31_2144
.LBB31_94:
	s_or_b64 exec, exec, s[6:7]
	s_and_saveexec_b64 s[6:7], s[4:5]
	s_cbranch_execz .LBB31_96
.LBB31_95:
	v_bfe_u32 v11, v12, 24, 3
	v_ffbh_u32_e32 v20, v11
	v_min_u32_e32 v20, 32, v20
	v_lshrrev_b32_e32 v15, 27, v12
	v_subrev_u32_e32 v21, 28, v20
	v_and_b32_e32 v14, 0x80000000, v12
	v_and_b32_e32 v15, 15, v15
	v_bfe_u32 v16, v12, 27, 4
	v_lshlrev_b32_sdwa v12, v21, v12 dst_sel:DWORD dst_unused:UNUSED_PAD src0_sel:DWORD src1_sel:BYTE_3
	v_sub_u32_e32 v20, 29, v20
	v_and_b32_e32 v12, 7, v12
	v_cmp_eq_u16_e32 vcc, 0, v15
	v_cndmask_b32_e32 v11, v11, v12, vcc
	v_cndmask_b32_e32 v12, v16, v20, vcc
	v_mov_b32_e32 v15, 0x3b800000
	v_lshlrev_b32_e32 v11, 20, v11
	v_lshl_add_u32 v12, v12, 23, v15
	v_or3_b32 v11, v14, v12, v11
.LBB31_96:
	s_or_b64 exec, exec, s[6:7]
	s_nop 0
	v_mfma_f32_16x16x4f32 a[0:3], v10, v11, a[0:3]
	s_movk_i32 s4, 0x7f
	v_cmp_gt_i16_sdwa s[6:7], v17, s4 src0_sel:BYTE_0 src1_sel:DWORD
	s_mov_b64 s[4:5], 0
                                        ; implicit-def: $sgpr10
	s_and_saveexec_b64 s[8:9], s[6:7]
	s_xor_b64 s[6:7], exec, s[8:9]
	s_cbranch_execnz .LBB31_2145
; %bb.97:
	s_or_saveexec_b64 s[6:7], s[6:7]
	v_mov_b32_e32 v10, s10
	s_xor_b64 exec, exec, s[6:7]
	s_cbranch_execnz .LBB31_2148
.LBB31_98:
	s_or_b64 exec, exec, s[6:7]
	s_and_saveexec_b64 s[6:7], s[4:5]
	s_cbranch_execz .LBB31_100
.LBB31_99:
	v_and_b32_e32 v10, 7, v17
	v_ffbh_u32_e32 v12, v10
	v_min_u32_e32 v12, 32, v12
	v_lshrrev_b16_e32 v11, 3, v17
	v_subrev_u32_e32 v14, 28, v12
	v_and_b32_e32 v11, 15, v11
	v_lshlrev_b32_e32 v14, v14, v17
	v_sub_u32_e32 v12, 29, v12
	v_and_b32_e32 v14, 7, v14
	v_cmp_eq_u16_e32 vcc, 0, v11
	v_cndmask_b32_e32 v10, v10, v14, vcc
	v_cndmask_b32_e32 v11, v11, v12, vcc
	v_lshlrev_b32_e32 v12, 24, v17
	v_mov_b32_e32 v14, 0x3b800000
	v_lshlrev_b32_e32 v10, 20, v10
	v_and_b32_e32 v12, 0x80000000, v12
	v_lshl_add_u32 v11, v11, 23, v14
	v_or3_b32 v10, v12, v11, v10
.LBB31_100:
	s_or_b64 exec, exec, s[6:7]
	s_movk_i32 s4, 0x7f
	v_cmp_gt_i16_sdwa s[6:7], v13, s4 src0_sel:BYTE_0 src1_sel:DWORD
	s_mov_b64 s[4:5], 0
                                        ; implicit-def: $sgpr10
	s_and_saveexec_b64 s[8:9], s[6:7]
	s_xor_b64 s[6:7], exec, s[8:9]
	s_cbranch_execnz .LBB31_2149
; %bb.101:
	s_or_saveexec_b64 s[6:7], s[6:7]
	v_mov_b32_e32 v11, s10
	s_xor_b64 exec, exec, s[6:7]
	s_cbranch_execnz .LBB31_2152
.LBB31_102:
	s_or_b64 exec, exec, s[6:7]
	s_and_saveexec_b64 s[6:7], s[4:5]
	s_cbranch_execz .LBB31_104
.LBB31_103:
	v_and_b32_e32 v11, 7, v13
	v_ffbh_u32_e32 v14, v11
	v_min_u32_e32 v14, 32, v14
	v_lshrrev_b16_e32 v12, 3, v13
	v_subrev_u32_e32 v15, 28, v14
	v_and_b32_e32 v12, 15, v12
	v_lshlrev_b32_e32 v15, v15, v13
	v_sub_u32_e32 v14, 29, v14
	v_and_b32_e32 v15, 7, v15
	v_cmp_eq_u16_e32 vcc, 0, v12
	v_cndmask_b32_e32 v11, v11, v15, vcc
	v_cndmask_b32_e32 v12, v12, v14, vcc
	v_lshlrev_b32_e32 v14, 24, v13
	v_mov_b32_e32 v15, 0x3b800000
	v_lshlrev_b32_e32 v11, 20, v11
	v_and_b32_e32 v14, 0x80000000, v14
	v_lshl_add_u32 v12, v12, 23, v15
	v_or3_b32 v11, v14, v12, v11
.LBB31_104:
	s_or_b64 exec, exec, s[6:7]
	s_nop 0
	v_mfma_f32_16x16x4f32 a[0:3], v10, v11, a[0:3]
	v_lshrrev_b32_e32 v11, 8, v17
	s_movk_i32 s4, 0x7f
	v_cmp_gt_i16_sdwa s[6:7], v11, s4 src0_sel:BYTE_0 src1_sel:DWORD
	s_mov_b64 s[4:5], 0
                                        ; implicit-def: $sgpr10
	s_and_saveexec_b64 s[8:9], s[6:7]
	s_xor_b64 s[6:7], exec, s[8:9]
	s_cbranch_execnz .LBB31_2153
; %bb.105:
	s_or_saveexec_b64 s[6:7], s[6:7]
	v_mov_b32_e32 v10, s10
	s_xor_b64 exec, exec, s[6:7]
	s_cbranch_execnz .LBB31_2156
.LBB31_106:
	s_or_b64 exec, exec, s[6:7]
	s_and_saveexec_b64 s[6:7], s[4:5]
	s_cbranch_execz .LBB31_108
.LBB31_107:
	v_bfe_u32 v10, v17, 8, 3
	v_ffbh_u32_e32 v14, v10
	v_min_u32_e32 v14, 32, v14
	v_lshrrev_b16_e32 v12, 3, v11
	v_subrev_u32_e32 v15, 28, v14
	v_and_b32_e32 v12, 15, v12
	v_lshlrev_b32_e32 v11, v15, v11
	v_sub_u32_e32 v14, 29, v14
	v_and_b32_e32 v11, 7, v11
	v_cmp_eq_u16_e32 vcc, 0, v12
	v_cndmask_b32_e32 v10, v10, v11, vcc
	v_cndmask_b32_e32 v11, v12, v14, vcc
	v_lshlrev_b32_e32 v12, 16, v17
	v_mov_b32_e32 v14, 0x3b800000
	v_lshlrev_b32_e32 v10, 20, v10
	v_and_b32_e32 v12, 0x80000000, v12
	v_lshl_add_u32 v11, v11, 23, v14
	v_or3_b32 v10, v12, v11, v10
.LBB31_108:
	s_or_b64 exec, exec, s[6:7]
	v_lshrrev_b32_e32 v11, 8, v13
	s_movk_i32 s4, 0x7f
	v_cmp_gt_i16_sdwa s[6:7], v11, s4 src0_sel:BYTE_0 src1_sel:DWORD
	s_mov_b64 s[4:5], 0
                                        ; implicit-def: $sgpr10
	s_and_saveexec_b64 s[8:9], s[6:7]
	s_xor_b64 s[6:7], exec, s[8:9]
	s_cbranch_execnz .LBB31_2157
; %bb.109:
	s_or_saveexec_b64 s[6:7], s[6:7]
	v_mov_b32_e32 v12, s10
	s_xor_b64 exec, exec, s[6:7]
	s_cbranch_execnz .LBB31_2160
.LBB31_110:
	s_or_b64 exec, exec, s[6:7]
	s_and_saveexec_b64 s[6:7], s[4:5]
	s_cbranch_execz .LBB31_112
.LBB31_111:
	v_bfe_u32 v12, v13, 8, 3
	v_ffbh_u32_e32 v15, v12
	v_min_u32_e32 v15, 32, v15
	v_lshrrev_b16_e32 v14, 3, v11
	v_subrev_u32_e32 v16, 28, v15
	v_and_b32_e32 v14, 15, v14
	v_lshlrev_b32_e32 v11, v16, v11
	v_sub_u32_e32 v15, 29, v15
	v_and_b32_e32 v11, 7, v11
	v_cmp_eq_u16_e32 vcc, 0, v14
	v_cndmask_b32_e32 v11, v12, v11, vcc
	v_cndmask_b32_e32 v12, v14, v15, vcc
	v_lshlrev_b32_e32 v14, 16, v13
	v_mov_b32_e32 v15, 0x3b800000
	v_lshlrev_b32_e32 v11, 20, v11
	v_and_b32_e32 v14, 0x80000000, v14
	v_lshl_add_u32 v12, v12, 23, v15
	v_or3_b32 v12, v14, v12, v11
.LBB31_112:
	s_or_b64 exec, exec, s[6:7]
	s_nop 0
	v_mfma_f32_16x16x4f32 a[0:3], v10, v12, a[0:3]
	s_movk_i32 s4, 0xff
	v_and_b32_sdwa v11, v17, s4 dst_sel:DWORD dst_unused:UNUSED_PAD src0_sel:WORD_1 src1_sel:DWORD
	s_movk_i32 s4, 0x7f
	v_cmp_lt_i16_e32 vcc, s4, v11
	s_mov_b64 s[4:5], 0
                                        ; implicit-def: $sgpr10
	s_and_saveexec_b64 s[6:7], vcc
	s_xor_b64 s[6:7], exec, s[6:7]
	s_cbranch_execnz .LBB31_2161
; %bb.113:
	s_or_saveexec_b64 s[6:7], s[6:7]
	v_mov_b32_e32 v10, s10
	s_xor_b64 exec, exec, s[6:7]
	s_cbranch_execnz .LBB31_2164
.LBB31_114:
	s_or_b64 exec, exec, s[6:7]
	s_and_saveexec_b64 s[6:7], s[4:5]
	s_cbranch_execz .LBB31_116
.LBB31_115:
	v_bfe_u32 v10, v17, 16, 3
	v_ffbh_u32_e32 v14, v10
	v_min_u32_e32 v14, 32, v14
	v_lshrrev_b32_e32 v11, 19, v17
	v_subrev_u32_e32 v15, 28, v14
	v_and_b32_e32 v11, 15, v11
	v_lshlrev_b32_sdwa v15, v15, v17 dst_sel:DWORD dst_unused:UNUSED_PAD src0_sel:DWORD src1_sel:WORD_1
	v_bfe_u32 v12, v17, 19, 4
	v_sub_u32_e32 v14, 29, v14
	v_and_b32_e32 v15, 7, v15
	v_cmp_eq_u16_e32 vcc, 0, v11
	v_cndmask_b32_e32 v10, v10, v15, vcc
	v_cndmask_b32_e32 v11, v12, v14, vcc
	v_lshlrev_b32_e32 v12, 8, v17
	v_mov_b32_e32 v14, 0x3b800000
	v_lshlrev_b32_e32 v10, 20, v10
	v_and_b32_e32 v12, 0x80000000, v12
	v_lshl_add_u32 v11, v11, 23, v14
	v_or3_b32 v10, v12, v11, v10
.LBB31_116:
	s_or_b64 exec, exec, s[6:7]
	s_movk_i32 s4, 0xff
	v_and_b32_sdwa v11, v13, s4 dst_sel:DWORD dst_unused:UNUSED_PAD src0_sel:WORD_1 src1_sel:DWORD
	s_movk_i32 s4, 0x7f
	v_cmp_lt_i16_e32 vcc, s4, v11
	s_mov_b64 s[4:5], 0
                                        ; implicit-def: $sgpr10
	s_and_saveexec_b64 s[6:7], vcc
	s_xor_b64 s[6:7], exec, s[6:7]
	s_cbranch_execnz .LBB31_2165
; %bb.117:
	s_or_saveexec_b64 s[6:7], s[6:7]
	v_mov_b32_e32 v12, s10
	s_xor_b64 exec, exec, s[6:7]
	s_cbranch_execnz .LBB31_2168
.LBB31_118:
	s_or_b64 exec, exec, s[6:7]
	s_and_saveexec_b64 s[6:7], s[4:5]
	s_cbranch_execz .LBB31_120
.LBB31_119:
	v_bfe_u32 v11, v13, 16, 3
	v_ffbh_u32_e32 v15, v11
	v_min_u32_e32 v15, 32, v15
	v_lshrrev_b32_e32 v12, 19, v13
	v_subrev_u32_e32 v16, 28, v15
	v_and_b32_e32 v12, 15, v12
	v_lshlrev_b32_sdwa v16, v16, v13 dst_sel:DWORD dst_unused:UNUSED_PAD src0_sel:DWORD src1_sel:WORD_1
	v_bfe_u32 v14, v13, 19, 4
	v_sub_u32_e32 v15, 29, v15
	v_and_b32_e32 v16, 7, v16
	v_cmp_eq_u16_e32 vcc, 0, v12
	v_cndmask_b32_e32 v11, v11, v16, vcc
	v_cndmask_b32_e32 v12, v14, v15, vcc
	v_lshlrev_b32_e32 v14, 8, v13
	v_mov_b32_e32 v15, 0x3b800000
	v_lshlrev_b32_e32 v11, 20, v11
	v_and_b32_e32 v14, 0x80000000, v14
	v_lshl_add_u32 v12, v12, 23, v15
	v_or3_b32 v12, v14, v12, v11
.LBB31_120:
	s_or_b64 exec, exec, s[6:7]
	s_nop 0
	v_mfma_f32_16x16x4f32 a[0:3], v10, v12, a[0:3]
	s_movk_i32 s4, 0x7f
	v_cmp_gt_i16_sdwa s[6:7], v17, s4 src0_sel:BYTE_3 src1_sel:DWORD
	s_mov_b64 s[4:5], 0
                                        ; implicit-def: $sgpr10
	s_and_saveexec_b64 s[8:9], s[6:7]
	s_xor_b64 s[6:7], exec, s[8:9]
	s_cbranch_execnz .LBB31_2169
; %bb.121:
	s_or_saveexec_b64 s[6:7], s[6:7]
	v_mov_b32_e32 v10, s10
	s_xor_b64 exec, exec, s[6:7]
	s_cbranch_execnz .LBB31_2172
.LBB31_122:
	s_or_b64 exec, exec, s[6:7]
	s_and_saveexec_b64 s[6:7], s[4:5]
	s_cbranch_execz .LBB31_124
.LBB31_123:
	v_bfe_u32 v10, v17, 24, 3
	v_ffbh_u32_e32 v15, v10
	v_min_u32_e32 v15, 32, v15
	v_lshrrev_b32_e32 v12, 27, v17
	v_subrev_u32_e32 v16, 28, v15
	v_and_b32_e32 v12, 15, v12
	v_lshlrev_b32_sdwa v16, v16, v17 dst_sel:DWORD dst_unused:UNUSED_PAD src0_sel:DWORD src1_sel:BYTE_3
	v_bfe_u32 v14, v17, 27, 4
	v_sub_u32_e32 v15, 29, v15
	v_and_b32_e32 v16, 7, v16
	v_cmp_eq_u16_e32 vcc, 0, v12
	v_cndmask_b32_e32 v10, v10, v16, vcc
	v_cndmask_b32_e32 v12, v14, v15, vcc
	v_mov_b32_e32 v14, 0x3b800000
	v_and_b32_e32 v11, 0x80000000, v17
	v_lshlrev_b32_e32 v10, 20, v10
	v_lshl_add_u32 v12, v12, 23, v14
	v_or3_b32 v10, v11, v12, v10
.LBB31_124:
	s_or_b64 exec, exec, s[6:7]
	s_movk_i32 s4, 0x7f
	v_cmp_gt_i16_sdwa s[6:7], v13, s4 src0_sel:BYTE_3 src1_sel:DWORD
	s_mov_b64 s[4:5], 0
                                        ; implicit-def: $sgpr10
	s_and_saveexec_b64 s[8:9], s[6:7]
	s_xor_b64 s[6:7], exec, s[8:9]
	s_cbranch_execnz .LBB31_2173
; %bb.125:
	s_or_saveexec_b64 s[6:7], s[6:7]
	v_mov_b32_e32 v11, s10
	s_xor_b64 exec, exec, s[6:7]
	s_cbranch_execnz .LBB31_2176
.LBB31_126:
	s_or_b64 exec, exec, s[6:7]
	s_and_saveexec_b64 s[6:7], s[4:5]
	s_cbranch_execz .LBB31_128
.LBB31_127:
	v_bfe_u32 v11, v13, 24, 3
	v_ffbh_u32_e32 v16, v11
	v_min_u32_e32 v16, 32, v16
	v_lshrrev_b32_e32 v14, 27, v13
	v_subrev_u32_e32 v17, 28, v16
	v_and_b32_e32 v12, 0x80000000, v13
	v_and_b32_e32 v14, 15, v14
	v_bfe_u32 v15, v13, 27, 4
	v_lshlrev_b32_sdwa v13, v17, v13 dst_sel:DWORD dst_unused:UNUSED_PAD src0_sel:DWORD src1_sel:BYTE_3
	v_sub_u32_e32 v16, 29, v16
	v_and_b32_e32 v13, 7, v13
	v_cmp_eq_u16_e32 vcc, 0, v14
	v_cndmask_b32_e32 v11, v11, v13, vcc
	v_cndmask_b32_e32 v13, v15, v16, vcc
	v_mov_b32_e32 v14, 0x3b800000
	v_lshlrev_b32_e32 v11, 20, v11
	v_lshl_add_u32 v13, v13, 23, v14
	v_or3_b32 v11, v12, v13, v11
.LBB31_128:
	s_or_b64 exec, exec, s[6:7]
	s_nop 0
	v_mfma_f32_16x16x4f32 a[0:3], v10, v11, a[0:3]
	s_movk_i32 s4, 0x7f
	v_cmp_gt_i16_sdwa s[6:7], v6, s4 src0_sel:BYTE_0 src1_sel:DWORD
	s_mov_b64 s[4:5], 0
                                        ; implicit-def: $sgpr10
	s_and_saveexec_b64 s[8:9], s[6:7]
	s_xor_b64 s[6:7], exec, s[8:9]
	s_cbranch_execnz .LBB31_2177
; %bb.129:
	s_or_saveexec_b64 s[6:7], s[6:7]
	v_mov_b32_e32 v10, s10
	s_xor_b64 exec, exec, s[6:7]
	s_cbranch_execnz .LBB31_2180
.LBB31_130:
	s_or_b64 exec, exec, s[6:7]
	s_and_saveexec_b64 s[6:7], s[4:5]
	s_cbranch_execz .LBB31_132
.LBB31_131:
	v_and_b32_e32 v10, 7, v6
	v_ffbh_u32_e32 v12, v10
	v_min_u32_e32 v12, 32, v12
	v_lshrrev_b16_e32 v11, 3, v6
	v_subrev_u32_e32 v13, 28, v12
	v_and_b32_e32 v11, 15, v11
	v_lshlrev_b32_e32 v13, v13, v6
	v_sub_u32_e32 v12, 29, v12
	v_and_b32_e32 v13, 7, v13
	v_cmp_eq_u16_e32 vcc, 0, v11
	v_cndmask_b32_e32 v10, v10, v13, vcc
	v_cndmask_b32_e32 v11, v11, v12, vcc
	v_lshlrev_b32_e32 v12, 24, v6
	v_mov_b32_e32 v13, 0x3b800000
	v_lshlrev_b32_e32 v10, 20, v10
	v_and_b32_e32 v12, 0x80000000, v12
	v_lshl_add_u32 v11, v11, 23, v13
	v_or3_b32 v10, v12, v11, v10
.LBB31_132:
	s_or_b64 exec, exec, s[6:7]
	s_movk_i32 s4, 0x7f
	v_cmp_gt_i16_sdwa s[6:7], v2, s4 src0_sel:BYTE_0 src1_sel:DWORD
	s_mov_b64 s[4:5], 0
                                        ; implicit-def: $sgpr10
	s_and_saveexec_b64 s[8:9], s[6:7]
	s_xor_b64 s[6:7], exec, s[8:9]
	s_cbranch_execnz .LBB31_2181
; %bb.133:
	s_or_saveexec_b64 s[6:7], s[6:7]
	v_mov_b32_e32 v11, s10
	s_xor_b64 exec, exec, s[6:7]
	s_cbranch_execnz .LBB31_2184
.LBB31_134:
	s_or_b64 exec, exec, s[6:7]
	s_and_saveexec_b64 s[6:7], s[4:5]
	s_cbranch_execz .LBB31_136
.LBB31_135:
	v_and_b32_e32 v11, 7, v2
	v_ffbh_u32_e32 v13, v11
	v_min_u32_e32 v13, 32, v13
	v_lshrrev_b16_e32 v12, 3, v2
	v_subrev_u32_e32 v14, 28, v13
	v_and_b32_e32 v12, 15, v12
	v_lshlrev_b32_e32 v14, v14, v2
	v_sub_u32_e32 v13, 29, v13
	v_and_b32_e32 v14, 7, v14
	v_cmp_eq_u16_e32 vcc, 0, v12
	v_cndmask_b32_e32 v11, v11, v14, vcc
	v_cndmask_b32_e32 v12, v12, v13, vcc
	v_lshlrev_b32_e32 v13, 24, v2
	v_mov_b32_e32 v14, 0x3b800000
	v_lshlrev_b32_e32 v11, 20, v11
	v_and_b32_e32 v13, 0x80000000, v13
	v_lshl_add_u32 v12, v12, 23, v14
	v_or3_b32 v11, v13, v12, v11
.LBB31_136:
	s_or_b64 exec, exec, s[6:7]
	s_nop 0
	v_mfma_f32_16x16x4f32 a[0:3], v10, v11, a[0:3]
	v_lshrrev_b32_e32 v11, 8, v6
	s_movk_i32 s4, 0x7f
	v_cmp_gt_i16_sdwa s[6:7], v11, s4 src0_sel:BYTE_0 src1_sel:DWORD
	s_mov_b64 s[4:5], 0
                                        ; implicit-def: $sgpr10
	s_and_saveexec_b64 s[8:9], s[6:7]
	s_xor_b64 s[6:7], exec, s[8:9]
	s_cbranch_execnz .LBB31_2185
; %bb.137:
	s_or_saveexec_b64 s[6:7], s[6:7]
	v_mov_b32_e32 v10, s10
	s_xor_b64 exec, exec, s[6:7]
	s_cbranch_execnz .LBB31_2188
.LBB31_138:
	s_or_b64 exec, exec, s[6:7]
	s_and_saveexec_b64 s[6:7], s[4:5]
	s_cbranch_execz .LBB31_140
.LBB31_139:
	v_bfe_u32 v10, v6, 8, 3
	v_ffbh_u32_e32 v13, v10
	v_min_u32_e32 v13, 32, v13
	v_lshrrev_b16_e32 v12, 3, v11
	v_subrev_u32_e32 v14, 28, v13
	v_and_b32_e32 v12, 15, v12
	v_lshlrev_b32_e32 v11, v14, v11
	v_sub_u32_e32 v13, 29, v13
	v_and_b32_e32 v11, 7, v11
	v_cmp_eq_u16_e32 vcc, 0, v12
	v_cndmask_b32_e32 v10, v10, v11, vcc
	v_cndmask_b32_e32 v11, v12, v13, vcc
	v_lshlrev_b32_e32 v12, 16, v6
	v_mov_b32_e32 v13, 0x3b800000
	v_lshlrev_b32_e32 v10, 20, v10
	v_and_b32_e32 v12, 0x80000000, v12
	v_lshl_add_u32 v11, v11, 23, v13
	v_or3_b32 v10, v12, v11, v10
.LBB31_140:
	s_or_b64 exec, exec, s[6:7]
	v_lshrrev_b32_e32 v11, 8, v2
	s_movk_i32 s4, 0x7f
	v_cmp_gt_i16_sdwa s[6:7], v11, s4 src0_sel:BYTE_0 src1_sel:DWORD
	s_mov_b64 s[4:5], 0
                                        ; implicit-def: $sgpr10
	s_and_saveexec_b64 s[8:9], s[6:7]
	s_xor_b64 s[6:7], exec, s[8:9]
	s_cbranch_execnz .LBB31_2189
; %bb.141:
	s_or_saveexec_b64 s[6:7], s[6:7]
	v_mov_b32_e32 v12, s10
	s_xor_b64 exec, exec, s[6:7]
	s_cbranch_execnz .LBB31_2192
.LBB31_142:
	s_or_b64 exec, exec, s[6:7]
	s_and_saveexec_b64 s[6:7], s[4:5]
	s_cbranch_execz .LBB31_144
.LBB31_143:
	v_bfe_u32 v12, v2, 8, 3
	v_ffbh_u32_e32 v14, v12
	v_min_u32_e32 v14, 32, v14
	v_lshrrev_b16_e32 v13, 3, v11
	v_subrev_u32_e32 v15, 28, v14
	v_and_b32_e32 v13, 15, v13
	v_lshlrev_b32_e32 v11, v15, v11
	v_sub_u32_e32 v14, 29, v14
	v_and_b32_e32 v11, 7, v11
	v_cmp_eq_u16_e32 vcc, 0, v13
	v_cndmask_b32_e32 v11, v12, v11, vcc
	v_cndmask_b32_e32 v12, v13, v14, vcc
	v_lshlrev_b32_e32 v13, 16, v2
	v_mov_b32_e32 v14, 0x3b800000
	v_lshlrev_b32_e32 v11, 20, v11
	v_and_b32_e32 v13, 0x80000000, v13
	v_lshl_add_u32 v12, v12, 23, v14
	v_or3_b32 v12, v13, v12, v11
.LBB31_144:
	s_or_b64 exec, exec, s[6:7]
	s_nop 0
	v_mfma_f32_16x16x4f32 a[0:3], v10, v12, a[0:3]
	s_movk_i32 s4, 0xff
	v_and_b32_sdwa v11, v6, s4 dst_sel:DWORD dst_unused:UNUSED_PAD src0_sel:WORD_1 src1_sel:DWORD
	s_movk_i32 s4, 0x7f
	v_cmp_lt_i16_e32 vcc, s4, v11
	s_mov_b64 s[4:5], 0
                                        ; implicit-def: $sgpr10
	s_and_saveexec_b64 s[6:7], vcc
	s_xor_b64 s[6:7], exec, s[6:7]
	s_cbranch_execnz .LBB31_2193
; %bb.145:
	s_or_saveexec_b64 s[6:7], s[6:7]
	v_mov_b32_e32 v10, s10
	s_xor_b64 exec, exec, s[6:7]
	s_cbranch_execnz .LBB31_2196
.LBB31_146:
	s_or_b64 exec, exec, s[6:7]
	s_and_saveexec_b64 s[6:7], s[4:5]
	s_cbranch_execz .LBB31_148
.LBB31_147:
	v_bfe_u32 v10, v6, 16, 3
	v_ffbh_u32_e32 v13, v10
	v_min_u32_e32 v13, 32, v13
	v_lshrrev_b32_e32 v11, 19, v6
	v_subrev_u32_e32 v14, 28, v13
	v_and_b32_e32 v11, 15, v11
	v_lshlrev_b32_sdwa v14, v14, v6 dst_sel:DWORD dst_unused:UNUSED_PAD src0_sel:DWORD src1_sel:WORD_1
	v_bfe_u32 v12, v6, 19, 4
	v_sub_u32_e32 v13, 29, v13
	v_and_b32_e32 v14, 7, v14
	v_cmp_eq_u16_e32 vcc, 0, v11
	v_cndmask_b32_e32 v10, v10, v14, vcc
	v_cndmask_b32_e32 v11, v12, v13, vcc
	v_lshlrev_b32_e32 v12, 8, v6
	v_mov_b32_e32 v13, 0x3b800000
	v_lshlrev_b32_e32 v10, 20, v10
	v_and_b32_e32 v12, 0x80000000, v12
	v_lshl_add_u32 v11, v11, 23, v13
	v_or3_b32 v10, v12, v11, v10
.LBB31_148:
	s_or_b64 exec, exec, s[6:7]
	s_movk_i32 s4, 0xff
	v_and_b32_sdwa v11, v2, s4 dst_sel:DWORD dst_unused:UNUSED_PAD src0_sel:WORD_1 src1_sel:DWORD
	s_movk_i32 s4, 0x7f
	v_cmp_lt_i16_e32 vcc, s4, v11
	s_mov_b64 s[4:5], 0
                                        ; implicit-def: $sgpr10
	s_and_saveexec_b64 s[6:7], vcc
	s_xor_b64 s[6:7], exec, s[6:7]
	s_cbranch_execnz .LBB31_2197
; %bb.149:
	s_or_saveexec_b64 s[6:7], s[6:7]
	v_mov_b32_e32 v12, s10
	s_xor_b64 exec, exec, s[6:7]
	s_cbranch_execnz .LBB31_2200
.LBB31_150:
	s_or_b64 exec, exec, s[6:7]
	s_and_saveexec_b64 s[6:7], s[4:5]
	s_cbranch_execz .LBB31_152
.LBB31_151:
	v_bfe_u32 v11, v2, 16, 3
	v_ffbh_u32_e32 v14, v11
	v_min_u32_e32 v14, 32, v14
	v_lshrrev_b32_e32 v12, 19, v2
	v_subrev_u32_e32 v15, 28, v14
	v_and_b32_e32 v12, 15, v12
	v_lshlrev_b32_sdwa v15, v15, v2 dst_sel:DWORD dst_unused:UNUSED_PAD src0_sel:DWORD src1_sel:WORD_1
	v_bfe_u32 v13, v2, 19, 4
	v_sub_u32_e32 v14, 29, v14
	v_and_b32_e32 v15, 7, v15
	v_cmp_eq_u16_e32 vcc, 0, v12
	v_cndmask_b32_e32 v11, v11, v15, vcc
	v_cndmask_b32_e32 v12, v13, v14, vcc
	v_lshlrev_b32_e32 v13, 8, v2
	v_mov_b32_e32 v14, 0x3b800000
	v_lshlrev_b32_e32 v11, 20, v11
	v_and_b32_e32 v13, 0x80000000, v13
	v_lshl_add_u32 v12, v12, 23, v14
	v_or3_b32 v12, v13, v12, v11
.LBB31_152:
	s_or_b64 exec, exec, s[6:7]
	s_nop 0
	v_mfma_f32_16x16x4f32 a[0:3], v10, v12, a[0:3]
	s_movk_i32 s4, 0x7f
	v_cmp_gt_i16_sdwa s[6:7], v6, s4 src0_sel:BYTE_3 src1_sel:DWORD
	s_mov_b64 s[4:5], 0
                                        ; implicit-def: $sgpr10
	s_and_saveexec_b64 s[8:9], s[6:7]
	s_xor_b64 s[6:7], exec, s[8:9]
	s_cbranch_execnz .LBB31_2201
; %bb.153:
	s_or_saveexec_b64 s[6:7], s[6:7]
	v_mov_b32_e32 v10, s10
	s_xor_b64 exec, exec, s[6:7]
	s_cbranch_execnz .LBB31_2204
.LBB31_154:
	s_or_b64 exec, exec, s[6:7]
	s_and_saveexec_b64 s[6:7], s[4:5]
	s_cbranch_execz .LBB31_156
.LBB31_155:
	v_bfe_u32 v10, v6, 24, 3
	v_ffbh_u32_e32 v14, v10
	v_min_u32_e32 v14, 32, v14
	v_lshrrev_b32_e32 v12, 27, v6
	v_subrev_u32_e32 v15, 28, v14
	v_and_b32_e32 v11, 0x80000000, v6
	v_and_b32_e32 v12, 15, v12
	v_bfe_u32 v13, v6, 27, 4
	v_lshlrev_b32_sdwa v6, v15, v6 dst_sel:DWORD dst_unused:UNUSED_PAD src0_sel:DWORD src1_sel:BYTE_3
	v_sub_u32_e32 v14, 29, v14
	v_and_b32_e32 v6, 7, v6
	v_cmp_eq_u16_e32 vcc, 0, v12
	v_cndmask_b32_e32 v6, v10, v6, vcc
	v_cndmask_b32_e32 v10, v13, v14, vcc
	v_mov_b32_e32 v12, 0x3b800000
	v_lshlrev_b32_e32 v6, 20, v6
	v_lshl_add_u32 v10, v10, 23, v12
	v_or3_b32 v10, v11, v10, v6
.LBB31_156:
	s_or_b64 exec, exec, s[6:7]
	s_movk_i32 s4, 0x7f
	v_cmp_gt_i16_sdwa s[6:7], v2, s4 src0_sel:BYTE_3 src1_sel:DWORD
	s_mov_b64 s[4:5], 0
                                        ; implicit-def: $sgpr10
	s_and_saveexec_b64 s[8:9], s[6:7]
	s_xor_b64 s[6:7], exec, s[8:9]
	s_cbranch_execnz .LBB31_2205
; %bb.157:
	s_or_saveexec_b64 s[6:7], s[6:7]
	v_mov_b32_e32 v6, s10
	s_xor_b64 exec, exec, s[6:7]
	s_cbranch_execnz .LBB31_2208
.LBB31_158:
	s_or_b64 exec, exec, s[6:7]
	s_and_saveexec_b64 s[6:7], s[4:5]
	s_cbranch_execz .LBB31_160
.LBB31_159:
	v_bfe_u32 v6, v2, 24, 3
	v_ffbh_u32_e32 v14, v6
	v_min_u32_e32 v14, 32, v14
	v_lshrrev_b32_e32 v12, 27, v2
	v_subrev_u32_e32 v15, 28, v14
	v_and_b32_e32 v11, 0x80000000, v2
	v_and_b32_e32 v12, 15, v12
	v_bfe_u32 v13, v2, 27, 4
	v_lshlrev_b32_sdwa v2, v15, v2 dst_sel:DWORD dst_unused:UNUSED_PAD src0_sel:DWORD src1_sel:BYTE_3
	v_sub_u32_e32 v14, 29, v14
	v_and_b32_e32 v2, 7, v2
	v_cmp_eq_u16_e32 vcc, 0, v12
	v_cndmask_b32_e32 v2, v6, v2, vcc
	v_cndmask_b32_e32 v6, v13, v14, vcc
	v_mov_b32_e32 v12, 0x3b800000
	v_lshlrev_b32_e32 v2, 20, v2
	v_lshl_add_u32 v6, v6, 23, v12
	v_or3_b32 v6, v11, v6, v2
.LBB31_160:
	s_or_b64 exec, exec, s[6:7]
	s_nop 0
	v_mfma_f32_16x16x4f32 a[0:3], v10, v6, a[0:3]
	s_movk_i32 s4, 0x7f
	v_cmp_gt_i16_sdwa s[6:7], v7, s4 src0_sel:BYTE_0 src1_sel:DWORD
	s_mov_b64 s[4:5], 0
                                        ; implicit-def: $sgpr10
	s_and_saveexec_b64 s[8:9], s[6:7]
	s_xor_b64 s[6:7], exec, s[8:9]
	s_cbranch_execnz .LBB31_2209
; %bb.161:
	s_or_saveexec_b64 s[6:7], s[6:7]
	v_mov_b32_e32 v2, s10
	s_xor_b64 exec, exec, s[6:7]
	s_cbranch_execnz .LBB31_2212
.LBB31_162:
	s_or_b64 exec, exec, s[6:7]
	s_and_saveexec_b64 s[6:7], s[4:5]
	s_cbranch_execz .LBB31_164
.LBB31_163:
	v_and_b32_e32 v2, 7, v7
	v_ffbh_u32_e32 v10, v2
	v_min_u32_e32 v10, 32, v10
	v_lshrrev_b16_e32 v6, 3, v7
	v_subrev_u32_e32 v11, 28, v10
	v_and_b32_e32 v6, 15, v6
	v_lshlrev_b32_e32 v11, v11, v7
	v_sub_u32_e32 v10, 29, v10
	v_and_b32_e32 v11, 7, v11
	v_cmp_eq_u16_e32 vcc, 0, v6
	v_cndmask_b32_e32 v2, v2, v11, vcc
	v_cndmask_b32_e32 v6, v6, v10, vcc
	v_lshlrev_b32_e32 v10, 24, v7
	v_mov_b32_e32 v11, 0x3b800000
	v_lshlrev_b32_e32 v2, 20, v2
	v_and_b32_e32 v10, 0x80000000, v10
	v_lshl_add_u32 v6, v6, 23, v11
	v_or3_b32 v2, v10, v6, v2
.LBB31_164:
	s_or_b64 exec, exec, s[6:7]
	s_movk_i32 s4, 0x7f
	v_cmp_gt_i16_sdwa s[6:7], v3, s4 src0_sel:BYTE_0 src1_sel:DWORD
	s_mov_b64 s[4:5], 0
                                        ; implicit-def: $sgpr10
	s_and_saveexec_b64 s[8:9], s[6:7]
	s_xor_b64 s[6:7], exec, s[8:9]
	s_cbranch_execnz .LBB31_2213
; %bb.165:
	s_or_saveexec_b64 s[6:7], s[6:7]
	v_mov_b32_e32 v6, s10
	s_xor_b64 exec, exec, s[6:7]
	s_cbranch_execnz .LBB31_2216
.LBB31_166:
	s_or_b64 exec, exec, s[6:7]
	s_and_saveexec_b64 s[6:7], s[4:5]
	s_cbranch_execz .LBB31_168
.LBB31_167:
	v_and_b32_e32 v6, 7, v3
	v_ffbh_u32_e32 v11, v6
	v_min_u32_e32 v11, 32, v11
	v_lshrrev_b16_e32 v10, 3, v3
	v_subrev_u32_e32 v12, 28, v11
	v_and_b32_e32 v10, 15, v10
	v_lshlrev_b32_e32 v12, v12, v3
	v_sub_u32_e32 v11, 29, v11
	v_and_b32_e32 v12, 7, v12
	v_cmp_eq_u16_e32 vcc, 0, v10
	v_cndmask_b32_e32 v6, v6, v12, vcc
	v_cndmask_b32_e32 v10, v10, v11, vcc
	v_lshlrev_b32_e32 v11, 24, v3
	v_mov_b32_e32 v12, 0x3b800000
	v_lshlrev_b32_e32 v6, 20, v6
	v_and_b32_e32 v11, 0x80000000, v11
	v_lshl_add_u32 v10, v10, 23, v12
	v_or3_b32 v6, v11, v10, v6
.LBB31_168:
	s_or_b64 exec, exec, s[6:7]
	s_nop 0
	v_mfma_f32_16x16x4f32 a[0:3], v2, v6, a[0:3]
	v_lshrrev_b32_e32 v6, 8, v7
	s_movk_i32 s4, 0x7f
	v_cmp_gt_i16_sdwa s[6:7], v6, s4 src0_sel:BYTE_0 src1_sel:DWORD
	s_mov_b64 s[4:5], 0
                                        ; implicit-def: $sgpr10
	s_and_saveexec_b64 s[8:9], s[6:7]
	s_xor_b64 s[6:7], exec, s[8:9]
	s_cbranch_execnz .LBB31_2217
; %bb.169:
	s_or_saveexec_b64 s[6:7], s[6:7]
	v_mov_b32_e32 v2, s10
	s_xor_b64 exec, exec, s[6:7]
	s_cbranch_execnz .LBB31_2220
.LBB31_170:
	s_or_b64 exec, exec, s[6:7]
	s_and_saveexec_b64 s[6:7], s[4:5]
	s_cbranch_execz .LBB31_172
.LBB31_171:
	v_bfe_u32 v2, v7, 8, 3
	v_ffbh_u32_e32 v11, v2
	v_min_u32_e32 v11, 32, v11
	v_lshrrev_b16_e32 v10, 3, v6
	v_subrev_u32_e32 v12, 28, v11
	v_and_b32_e32 v10, 15, v10
	v_lshlrev_b32_e32 v6, v12, v6
	v_sub_u32_e32 v11, 29, v11
	v_and_b32_e32 v6, 7, v6
	v_cmp_eq_u16_e32 vcc, 0, v10
	v_cndmask_b32_e32 v2, v2, v6, vcc
	v_cndmask_b32_e32 v6, v10, v11, vcc
	v_lshlrev_b32_e32 v10, 16, v7
	v_mov_b32_e32 v11, 0x3b800000
	v_lshlrev_b32_e32 v2, 20, v2
	v_and_b32_e32 v10, 0x80000000, v10
	v_lshl_add_u32 v6, v6, 23, v11
	v_or3_b32 v2, v10, v6, v2
.LBB31_172:
	s_or_b64 exec, exec, s[6:7]
	v_lshrrev_b32_e32 v6, 8, v3
	s_movk_i32 s4, 0x7f
	v_cmp_gt_i16_sdwa s[6:7], v6, s4 src0_sel:BYTE_0 src1_sel:DWORD
	s_mov_b64 s[4:5], 0
                                        ; implicit-def: $sgpr10
	s_and_saveexec_b64 s[8:9], s[6:7]
	s_xor_b64 s[6:7], exec, s[8:9]
	s_cbranch_execnz .LBB31_2221
; %bb.173:
	s_or_saveexec_b64 s[6:7], s[6:7]
	v_mov_b32_e32 v10, s10
	s_xor_b64 exec, exec, s[6:7]
	s_cbranch_execnz .LBB31_2224
.LBB31_174:
	s_or_b64 exec, exec, s[6:7]
	s_and_saveexec_b64 s[6:7], s[4:5]
	s_cbranch_execz .LBB31_176
.LBB31_175:
	v_bfe_u32 v10, v3, 8, 3
	v_ffbh_u32_e32 v12, v10
	v_min_u32_e32 v12, 32, v12
	v_lshrrev_b16_e32 v11, 3, v6
	v_subrev_u32_e32 v13, 28, v12
	v_and_b32_e32 v11, 15, v11
	v_lshlrev_b32_e32 v6, v13, v6
	v_sub_u32_e32 v12, 29, v12
	v_and_b32_e32 v6, 7, v6
	v_cmp_eq_u16_e32 vcc, 0, v11
	v_cndmask_b32_e32 v6, v10, v6, vcc
	v_cndmask_b32_e32 v10, v11, v12, vcc
	v_lshlrev_b32_e32 v11, 16, v3
	v_mov_b32_e32 v12, 0x3b800000
	v_lshlrev_b32_e32 v6, 20, v6
	v_and_b32_e32 v11, 0x80000000, v11
	v_lshl_add_u32 v10, v10, 23, v12
	v_or3_b32 v10, v11, v10, v6
.LBB31_176:
	s_or_b64 exec, exec, s[6:7]
	s_nop 0
	v_mfma_f32_16x16x4f32 a[0:3], v2, v10, a[0:3]
	s_movk_i32 s4, 0xff
	v_and_b32_sdwa v6, v7, s4 dst_sel:DWORD dst_unused:UNUSED_PAD src0_sel:WORD_1 src1_sel:DWORD
	s_movk_i32 s4, 0x7f
	v_cmp_lt_i16_e32 vcc, s4, v6
	s_mov_b64 s[4:5], 0
                                        ; implicit-def: $sgpr10
	s_and_saveexec_b64 s[6:7], vcc
	s_xor_b64 s[6:7], exec, s[6:7]
	s_cbranch_execnz .LBB31_2225
; %bb.177:
	s_or_saveexec_b64 s[6:7], s[6:7]
	v_mov_b32_e32 v2, s10
	s_xor_b64 exec, exec, s[6:7]
	s_cbranch_execnz .LBB31_2228
.LBB31_178:
	s_or_b64 exec, exec, s[6:7]
	s_and_saveexec_b64 s[6:7], s[4:5]
	s_cbranch_execz .LBB31_180
.LBB31_179:
	v_bfe_u32 v2, v7, 16, 3
	v_ffbh_u32_e32 v11, v2
	v_min_u32_e32 v11, 32, v11
	v_lshrrev_b32_e32 v6, 19, v7
	v_subrev_u32_e32 v12, 28, v11
	v_and_b32_e32 v6, 15, v6
	v_lshlrev_b32_sdwa v12, v12, v7 dst_sel:DWORD dst_unused:UNUSED_PAD src0_sel:DWORD src1_sel:WORD_1
	v_bfe_u32 v10, v7, 19, 4
	v_sub_u32_e32 v11, 29, v11
	v_and_b32_e32 v12, 7, v12
	v_cmp_eq_u16_e32 vcc, 0, v6
	v_cndmask_b32_e32 v2, v2, v12, vcc
	v_cndmask_b32_e32 v6, v10, v11, vcc
	v_lshlrev_b32_e32 v10, 8, v7
	v_mov_b32_e32 v11, 0x3b800000
	v_lshlrev_b32_e32 v2, 20, v2
	v_and_b32_e32 v10, 0x80000000, v10
	v_lshl_add_u32 v6, v6, 23, v11
	v_or3_b32 v2, v10, v6, v2
.LBB31_180:
	s_or_b64 exec, exec, s[6:7]
	s_movk_i32 s4, 0xff
	v_and_b32_sdwa v6, v3, s4 dst_sel:DWORD dst_unused:UNUSED_PAD src0_sel:WORD_1 src1_sel:DWORD
	s_movk_i32 s4, 0x7f
	v_cmp_lt_i16_e32 vcc, s4, v6
	s_mov_b64 s[4:5], 0
                                        ; implicit-def: $sgpr10
	s_and_saveexec_b64 s[6:7], vcc
	s_xor_b64 s[6:7], exec, s[6:7]
	s_cbranch_execnz .LBB31_2229
; %bb.181:
	s_or_saveexec_b64 s[6:7], s[6:7]
	v_mov_b32_e32 v10, s10
	s_xor_b64 exec, exec, s[6:7]
	s_cbranch_execnz .LBB31_2232
.LBB31_182:
	s_or_b64 exec, exec, s[6:7]
	s_and_saveexec_b64 s[6:7], s[4:5]
	s_cbranch_execz .LBB31_184
.LBB31_183:
	v_bfe_u32 v6, v3, 16, 3
	v_ffbh_u32_e32 v12, v6
	v_min_u32_e32 v12, 32, v12
	v_lshrrev_b32_e32 v10, 19, v3
	v_subrev_u32_e32 v13, 28, v12
	v_and_b32_e32 v10, 15, v10
	v_lshlrev_b32_sdwa v13, v13, v3 dst_sel:DWORD dst_unused:UNUSED_PAD src0_sel:DWORD src1_sel:WORD_1
	v_bfe_u32 v11, v3, 19, 4
	v_sub_u32_e32 v12, 29, v12
	v_and_b32_e32 v13, 7, v13
	v_cmp_eq_u16_e32 vcc, 0, v10
	v_cndmask_b32_e32 v6, v6, v13, vcc
	v_cndmask_b32_e32 v10, v11, v12, vcc
	v_lshlrev_b32_e32 v11, 8, v3
	v_mov_b32_e32 v12, 0x3b800000
	v_lshlrev_b32_e32 v6, 20, v6
	v_and_b32_e32 v11, 0x80000000, v11
	v_lshl_add_u32 v10, v10, 23, v12
	v_or3_b32 v10, v11, v10, v6
.LBB31_184:
	s_or_b64 exec, exec, s[6:7]
	s_nop 0
	v_mfma_f32_16x16x4f32 a[0:3], v2, v10, a[0:3]
	s_movk_i32 s4, 0x7f
	v_cmp_gt_i16_sdwa s[6:7], v7, s4 src0_sel:BYTE_3 src1_sel:DWORD
	s_mov_b64 s[4:5], 0
                                        ; implicit-def: $sgpr10
	s_and_saveexec_b64 s[8:9], s[6:7]
	s_xor_b64 s[6:7], exec, s[8:9]
	s_cbranch_execnz .LBB31_2233
; %bb.185:
	s_or_saveexec_b64 s[6:7], s[6:7]
	v_mov_b32_e32 v2, s10
	s_xor_b64 exec, exec, s[6:7]
	s_cbranch_execnz .LBB31_2236
.LBB31_186:
	s_or_b64 exec, exec, s[6:7]
	s_and_saveexec_b64 s[6:7], s[4:5]
	s_cbranch_execz .LBB31_188
.LBB31_187:
	v_bfe_u32 v2, v7, 24, 3
	v_ffbh_u32_e32 v12, v2
	v_min_u32_e32 v12, 32, v12
	v_lshrrev_b32_e32 v10, 27, v7
	v_subrev_u32_e32 v13, 28, v12
	v_and_b32_e32 v6, 0x80000000, v7
	v_and_b32_e32 v10, 15, v10
	v_bfe_u32 v11, v7, 27, 4
	v_lshlrev_b32_sdwa v7, v13, v7 dst_sel:DWORD dst_unused:UNUSED_PAD src0_sel:DWORD src1_sel:BYTE_3
	v_sub_u32_e32 v12, 29, v12
	v_and_b32_e32 v7, 7, v7
	v_cmp_eq_u16_e32 vcc, 0, v10
	v_cndmask_b32_e32 v2, v2, v7, vcc
	v_cndmask_b32_e32 v7, v11, v12, vcc
	v_mov_b32_e32 v10, 0x3b800000
	v_lshlrev_b32_e32 v2, 20, v2
	v_lshl_add_u32 v7, v7, 23, v10
	v_or3_b32 v2, v6, v7, v2
.LBB31_188:
	s_or_b64 exec, exec, s[6:7]
	s_movk_i32 s4, 0x7f
	v_cmp_gt_i16_sdwa s[6:7], v3, s4 src0_sel:BYTE_3 src1_sel:DWORD
	s_mov_b64 s[4:5], 0
                                        ; implicit-def: $sgpr10
	s_and_saveexec_b64 s[8:9], s[6:7]
	s_xor_b64 s[6:7], exec, s[8:9]
	s_cbranch_execnz .LBB31_2237
; %bb.189:
	s_or_saveexec_b64 s[6:7], s[6:7]
	v_mov_b32_e32 v6, s10
	s_xor_b64 exec, exec, s[6:7]
	s_cbranch_execnz .LBB31_2240
.LBB31_190:
	s_or_b64 exec, exec, s[6:7]
	s_and_saveexec_b64 s[6:7], s[4:5]
	s_cbranch_execz .LBB31_192
.LBB31_191:
	v_bfe_u32 v6, v3, 24, 3
	v_ffbh_u32_e32 v12, v6
	v_min_u32_e32 v12, 32, v12
	v_lshrrev_b32_e32 v10, 27, v3
	v_subrev_u32_e32 v13, 28, v12
	v_and_b32_e32 v7, 0x80000000, v3
	v_and_b32_e32 v10, 15, v10
	v_bfe_u32 v11, v3, 27, 4
	v_lshlrev_b32_sdwa v3, v13, v3 dst_sel:DWORD dst_unused:UNUSED_PAD src0_sel:DWORD src1_sel:BYTE_3
	v_sub_u32_e32 v12, 29, v12
	v_and_b32_e32 v3, 7, v3
	v_cmp_eq_u16_e32 vcc, 0, v10
	v_cndmask_b32_e32 v3, v6, v3, vcc
	v_cndmask_b32_e32 v6, v11, v12, vcc
	v_mov_b32_e32 v10, 0x3b800000
	v_lshlrev_b32_e32 v3, 20, v3
	v_lshl_add_u32 v6, v6, 23, v10
	v_or3_b32 v6, v7, v6, v3
.LBB31_192:
	s_or_b64 exec, exec, s[6:7]
	s_nop 0
	v_mfma_f32_16x16x4f32 a[0:3], v2, v6, a[0:3]
	s_movk_i32 s4, 0x7f
	v_cmp_gt_i16_sdwa s[6:7], v8, s4 src0_sel:BYTE_0 src1_sel:DWORD
	s_mov_b64 s[4:5], 0
                                        ; implicit-def: $sgpr10
	s_and_saveexec_b64 s[8:9], s[6:7]
	s_xor_b64 s[6:7], exec, s[8:9]
	s_cbranch_execnz .LBB31_2241
; %bb.193:
	s_or_saveexec_b64 s[6:7], s[6:7]
	v_mov_b32_e32 v2, s10
	s_xor_b64 exec, exec, s[6:7]
	s_cbranch_execnz .LBB31_2244
.LBB31_194:
	s_or_b64 exec, exec, s[6:7]
	s_and_saveexec_b64 s[6:7], s[4:5]
	s_cbranch_execz .LBB31_196
.LBB31_195:
	v_and_b32_e32 v2, 7, v8
	v_ffbh_u32_e32 v6, v2
	v_min_u32_e32 v6, 32, v6
	v_lshrrev_b16_e32 v3, 3, v8
	v_subrev_u32_e32 v7, 28, v6
	v_and_b32_e32 v3, 15, v3
	v_lshlrev_b32_e32 v7, v7, v8
	v_sub_u32_e32 v6, 29, v6
	v_and_b32_e32 v7, 7, v7
	v_cmp_eq_u16_e32 vcc, 0, v3
	v_cndmask_b32_e32 v2, v2, v7, vcc
	v_cndmask_b32_e32 v3, v3, v6, vcc
	v_lshlrev_b32_e32 v6, 24, v8
	v_mov_b32_e32 v7, 0x3b800000
	v_lshlrev_b32_e32 v2, 20, v2
	v_and_b32_e32 v6, 0x80000000, v6
	v_lshl_add_u32 v3, v3, 23, v7
	v_or3_b32 v2, v6, v3, v2
.LBB31_196:
	s_or_b64 exec, exec, s[6:7]
	s_movk_i32 s4, 0x7f
	v_cmp_gt_i16_sdwa s[6:7], v4, s4 src0_sel:BYTE_0 src1_sel:DWORD
	s_mov_b64 s[4:5], 0
                                        ; implicit-def: $sgpr10
	s_and_saveexec_b64 s[8:9], s[6:7]
	s_xor_b64 s[6:7], exec, s[8:9]
	s_cbranch_execnz .LBB31_2245
; %bb.197:
	s_or_saveexec_b64 s[6:7], s[6:7]
	v_mov_b32_e32 v3, s10
	s_xor_b64 exec, exec, s[6:7]
	s_cbranch_execnz .LBB31_2248
.LBB31_198:
	s_or_b64 exec, exec, s[6:7]
	s_and_saveexec_b64 s[6:7], s[4:5]
	s_cbranch_execz .LBB31_200
.LBB31_199:
	v_and_b32_e32 v3, 7, v4
	v_ffbh_u32_e32 v7, v3
	v_min_u32_e32 v7, 32, v7
	v_lshrrev_b16_e32 v6, 3, v4
	v_subrev_u32_e32 v10, 28, v7
	v_and_b32_e32 v6, 15, v6
	v_lshlrev_b32_e32 v10, v10, v4
	v_sub_u32_e32 v7, 29, v7
	v_and_b32_e32 v10, 7, v10
	v_cmp_eq_u16_e32 vcc, 0, v6
	v_cndmask_b32_e32 v3, v3, v10, vcc
	v_cndmask_b32_e32 v6, v6, v7, vcc
	v_lshlrev_b32_e32 v7, 24, v4
	v_mov_b32_e32 v10, 0x3b800000
	v_lshlrev_b32_e32 v3, 20, v3
	v_and_b32_e32 v7, 0x80000000, v7
	v_lshl_add_u32 v6, v6, 23, v10
	v_or3_b32 v3, v7, v6, v3
.LBB31_200:
	s_or_b64 exec, exec, s[6:7]
	s_nop 0
	v_mfma_f32_16x16x4f32 a[0:3], v2, v3, a[0:3]
	v_lshrrev_b32_e32 v3, 8, v8
	s_movk_i32 s4, 0x7f
	v_cmp_gt_i16_sdwa s[6:7], v3, s4 src0_sel:BYTE_0 src1_sel:DWORD
	s_mov_b64 s[4:5], 0
                                        ; implicit-def: $sgpr10
	s_and_saveexec_b64 s[8:9], s[6:7]
	s_xor_b64 s[6:7], exec, s[8:9]
	s_cbranch_execnz .LBB31_2249
; %bb.201:
	s_or_saveexec_b64 s[6:7], s[6:7]
	v_mov_b32_e32 v2, s10
	s_xor_b64 exec, exec, s[6:7]
	s_cbranch_execnz .LBB31_2252
.LBB31_202:
	s_or_b64 exec, exec, s[6:7]
	s_and_saveexec_b64 s[6:7], s[4:5]
	s_cbranch_execz .LBB31_204
.LBB31_203:
	v_bfe_u32 v2, v8, 8, 3
	v_ffbh_u32_e32 v7, v2
	v_min_u32_e32 v7, 32, v7
	v_lshrrev_b16_e32 v6, 3, v3
	v_subrev_u32_e32 v10, 28, v7
	v_and_b32_e32 v6, 15, v6
	v_lshlrev_b32_e32 v3, v10, v3
	v_sub_u32_e32 v7, 29, v7
	v_and_b32_e32 v3, 7, v3
	v_cmp_eq_u16_e32 vcc, 0, v6
	v_cndmask_b32_e32 v2, v2, v3, vcc
	v_cndmask_b32_e32 v3, v6, v7, vcc
	v_lshlrev_b32_e32 v6, 16, v8
	v_mov_b32_e32 v7, 0x3b800000
	v_lshlrev_b32_e32 v2, 20, v2
	v_and_b32_e32 v6, 0x80000000, v6
	v_lshl_add_u32 v3, v3, 23, v7
	v_or3_b32 v2, v6, v3, v2
.LBB31_204:
	s_or_b64 exec, exec, s[6:7]
	v_lshrrev_b32_e32 v3, 8, v4
	s_movk_i32 s4, 0x7f
	v_cmp_gt_i16_sdwa s[6:7], v3, s4 src0_sel:BYTE_0 src1_sel:DWORD
	s_mov_b64 s[4:5], 0
                                        ; implicit-def: $sgpr10
	s_and_saveexec_b64 s[8:9], s[6:7]
	s_xor_b64 s[6:7], exec, s[8:9]
	s_cbranch_execnz .LBB31_2253
; %bb.205:
	s_or_saveexec_b64 s[6:7], s[6:7]
	v_mov_b32_e32 v6, s10
	s_xor_b64 exec, exec, s[6:7]
	s_cbranch_execnz .LBB31_2256
.LBB31_206:
	s_or_b64 exec, exec, s[6:7]
	s_and_saveexec_b64 s[6:7], s[4:5]
	s_cbranch_execz .LBB31_208
.LBB31_207:
	v_bfe_u32 v6, v4, 8, 3
	v_ffbh_u32_e32 v10, v6
	v_min_u32_e32 v10, 32, v10
	v_lshrrev_b16_e32 v7, 3, v3
	v_subrev_u32_e32 v11, 28, v10
	v_and_b32_e32 v7, 15, v7
	v_lshlrev_b32_e32 v3, v11, v3
	v_sub_u32_e32 v10, 29, v10
	v_and_b32_e32 v3, 7, v3
	v_cmp_eq_u16_e32 vcc, 0, v7
	v_cndmask_b32_e32 v3, v6, v3, vcc
	v_cndmask_b32_e32 v6, v7, v10, vcc
	v_lshlrev_b32_e32 v7, 16, v4
	v_mov_b32_e32 v10, 0x3b800000
	v_lshlrev_b32_e32 v3, 20, v3
	v_and_b32_e32 v7, 0x80000000, v7
	v_lshl_add_u32 v6, v6, 23, v10
	v_or3_b32 v6, v7, v6, v3
.LBB31_208:
	s_or_b64 exec, exec, s[6:7]
	s_nop 0
	v_mfma_f32_16x16x4f32 a[0:3], v2, v6, a[0:3]
	s_movk_i32 s4, 0xff
	v_and_b32_sdwa v3, v8, s4 dst_sel:DWORD dst_unused:UNUSED_PAD src0_sel:WORD_1 src1_sel:DWORD
	s_movk_i32 s4, 0x7f
	v_cmp_lt_i16_e32 vcc, s4, v3
	s_mov_b64 s[4:5], 0
                                        ; implicit-def: $sgpr10
	s_and_saveexec_b64 s[6:7], vcc
	s_xor_b64 s[6:7], exec, s[6:7]
	s_cbranch_execnz .LBB31_2257
; %bb.209:
	s_or_saveexec_b64 s[6:7], s[6:7]
	v_mov_b32_e32 v2, s10
	s_xor_b64 exec, exec, s[6:7]
	s_cbranch_execnz .LBB31_2260
.LBB31_210:
	s_or_b64 exec, exec, s[6:7]
	s_and_saveexec_b64 s[6:7], s[4:5]
	s_cbranch_execz .LBB31_212
.LBB31_211:
	v_bfe_u32 v2, v8, 16, 3
	v_ffbh_u32_e32 v7, v2
	v_min_u32_e32 v7, 32, v7
	v_lshrrev_b32_e32 v3, 19, v8
	v_subrev_u32_e32 v10, 28, v7
	v_and_b32_e32 v3, 15, v3
	v_lshlrev_b32_sdwa v10, v10, v8 dst_sel:DWORD dst_unused:UNUSED_PAD src0_sel:DWORD src1_sel:WORD_1
	v_bfe_u32 v6, v8, 19, 4
	v_sub_u32_e32 v7, 29, v7
	v_and_b32_e32 v10, 7, v10
	v_cmp_eq_u16_e32 vcc, 0, v3
	v_cndmask_b32_e32 v2, v2, v10, vcc
	v_cndmask_b32_e32 v3, v6, v7, vcc
	v_lshlrev_b32_e32 v6, 8, v8
	v_mov_b32_e32 v7, 0x3b800000
	v_lshlrev_b32_e32 v2, 20, v2
	v_and_b32_e32 v6, 0x80000000, v6
	v_lshl_add_u32 v3, v3, 23, v7
	v_or3_b32 v2, v6, v3, v2
.LBB31_212:
	s_or_b64 exec, exec, s[6:7]
	s_movk_i32 s4, 0xff
	v_and_b32_sdwa v3, v4, s4 dst_sel:DWORD dst_unused:UNUSED_PAD src0_sel:WORD_1 src1_sel:DWORD
	s_movk_i32 s4, 0x7f
	v_cmp_lt_i16_e32 vcc, s4, v3
	s_mov_b64 s[4:5], 0
                                        ; implicit-def: $sgpr10
	s_and_saveexec_b64 s[6:7], vcc
	s_xor_b64 s[6:7], exec, s[6:7]
	s_cbranch_execnz .LBB31_2261
; %bb.213:
	s_or_saveexec_b64 s[6:7], s[6:7]
	v_mov_b32_e32 v6, s10
	s_xor_b64 exec, exec, s[6:7]
	s_cbranch_execnz .LBB31_2264
.LBB31_214:
	s_or_b64 exec, exec, s[6:7]
	s_and_saveexec_b64 s[6:7], s[4:5]
	s_cbranch_execz .LBB31_216
.LBB31_215:
	v_bfe_u32 v3, v4, 16, 3
	v_ffbh_u32_e32 v10, v3
	v_min_u32_e32 v10, 32, v10
	v_lshrrev_b32_e32 v6, 19, v4
	v_subrev_u32_e32 v11, 28, v10
	v_and_b32_e32 v6, 15, v6
	v_lshlrev_b32_sdwa v11, v11, v4 dst_sel:DWORD dst_unused:UNUSED_PAD src0_sel:DWORD src1_sel:WORD_1
	v_bfe_u32 v7, v4, 19, 4
	v_sub_u32_e32 v10, 29, v10
	v_and_b32_e32 v11, 7, v11
	v_cmp_eq_u16_e32 vcc, 0, v6
	v_cndmask_b32_e32 v3, v3, v11, vcc
	v_cndmask_b32_e32 v6, v7, v10, vcc
	v_lshlrev_b32_e32 v7, 8, v4
	v_mov_b32_e32 v10, 0x3b800000
	v_lshlrev_b32_e32 v3, 20, v3
	v_and_b32_e32 v7, 0x80000000, v7
	v_lshl_add_u32 v6, v6, 23, v10
	v_or3_b32 v6, v7, v6, v3
.LBB31_216:
	s_or_b64 exec, exec, s[6:7]
	s_nop 0
	v_mfma_f32_16x16x4f32 a[0:3], v2, v6, a[0:3]
	s_movk_i32 s4, 0x7f
	v_cmp_gt_i16_sdwa s[6:7], v8, s4 src0_sel:BYTE_3 src1_sel:DWORD
	s_mov_b64 s[4:5], 0
                                        ; implicit-def: $sgpr10
	s_and_saveexec_b64 s[8:9], s[6:7]
	s_xor_b64 s[6:7], exec, s[8:9]
	s_cbranch_execnz .LBB31_2265
; %bb.217:
	s_or_saveexec_b64 s[6:7], s[6:7]
	v_mov_b32_e32 v2, s10
	s_xor_b64 exec, exec, s[6:7]
	s_cbranch_execnz .LBB31_2268
.LBB31_218:
	s_or_b64 exec, exec, s[6:7]
	s_and_saveexec_b64 s[6:7], s[4:5]
	s_cbranch_execz .LBB31_220
.LBB31_219:
	v_bfe_u32 v2, v8, 24, 3
	v_ffbh_u32_e32 v10, v2
	v_min_u32_e32 v10, 32, v10
	v_lshrrev_b32_e32 v6, 27, v8
	v_subrev_u32_e32 v11, 28, v10
	v_and_b32_e32 v3, 0x80000000, v8
	v_and_b32_e32 v6, 15, v6
	v_bfe_u32 v7, v8, 27, 4
	v_lshlrev_b32_sdwa v8, v11, v8 dst_sel:DWORD dst_unused:UNUSED_PAD src0_sel:DWORD src1_sel:BYTE_3
	v_sub_u32_e32 v10, 29, v10
	v_and_b32_e32 v8, 7, v8
	v_cmp_eq_u16_e32 vcc, 0, v6
	v_cndmask_b32_e32 v2, v2, v8, vcc
	v_cndmask_b32_e32 v6, v7, v10, vcc
	v_mov_b32_e32 v7, 0x3b800000
	v_lshlrev_b32_e32 v2, 20, v2
	v_lshl_add_u32 v6, v6, 23, v7
	v_or3_b32 v2, v3, v6, v2
.LBB31_220:
	s_or_b64 exec, exec, s[6:7]
	s_movk_i32 s4, 0x7f
	v_cmp_gt_i16_sdwa s[6:7], v4, s4 src0_sel:BYTE_3 src1_sel:DWORD
	s_mov_b64 s[4:5], 0
                                        ; implicit-def: $sgpr10
	s_and_saveexec_b64 s[8:9], s[6:7]
	s_xor_b64 s[6:7], exec, s[8:9]
	s_cbranch_execnz .LBB31_2269
; %bb.221:
	s_or_saveexec_b64 s[6:7], s[6:7]
	v_mov_b32_e32 v3, s10
	s_xor_b64 exec, exec, s[6:7]
	s_cbranch_execnz .LBB31_2272
.LBB31_222:
	s_or_b64 exec, exec, s[6:7]
	s_and_saveexec_b64 s[6:7], s[4:5]
	s_cbranch_execz .LBB31_224
.LBB31_223:
	v_bfe_u32 v3, v4, 24, 3
	v_ffbh_u32_e32 v10, v3
	v_min_u32_e32 v10, 32, v10
	v_lshrrev_b32_e32 v7, 27, v4
	v_subrev_u32_e32 v11, 28, v10
	v_and_b32_e32 v6, 0x80000000, v4
	v_and_b32_e32 v7, 15, v7
	v_bfe_u32 v8, v4, 27, 4
	v_lshlrev_b32_sdwa v4, v11, v4 dst_sel:DWORD dst_unused:UNUSED_PAD src0_sel:DWORD src1_sel:BYTE_3
	v_sub_u32_e32 v10, 29, v10
	v_and_b32_e32 v4, 7, v4
	v_cmp_eq_u16_e32 vcc, 0, v7
	v_cndmask_b32_e32 v3, v3, v4, vcc
	v_cndmask_b32_e32 v4, v8, v10, vcc
	v_mov_b32_e32 v7, 0x3b800000
	v_lshlrev_b32_e32 v3, 20, v3
	v_lshl_add_u32 v4, v4, 23, v7
	v_or3_b32 v3, v6, v4, v3
.LBB31_224:
	s_or_b64 exec, exec, s[6:7]
	s_nop 0
	v_mfma_f32_16x16x4f32 a[0:3], v2, v3, a[0:3]
	s_movk_i32 s4, 0x7f
	v_cmp_gt_i16_sdwa s[6:7], v9, s4 src0_sel:BYTE_0 src1_sel:DWORD
	s_mov_b64 s[4:5], 0
                                        ; implicit-def: $sgpr10
	s_and_saveexec_b64 s[8:9], s[6:7]
	s_xor_b64 s[6:7], exec, s[8:9]
	s_cbranch_execnz .LBB31_2273
; %bb.225:
	s_or_saveexec_b64 s[6:7], s[6:7]
	v_mov_b32_e32 v2, s10
	s_xor_b64 exec, exec, s[6:7]
	s_cbranch_execnz .LBB31_2276
.LBB31_226:
	s_or_b64 exec, exec, s[6:7]
	s_and_saveexec_b64 s[6:7], s[4:5]
	s_cbranch_execz .LBB31_228
.LBB31_227:
	v_mov_b32_e32 v2, 8
	v_and_b32_e32 v3, 7, v9
	v_lshrrev_b32_sdwa v2, v2, v9 dst_sel:BYTE_1 dst_unused:UNUSED_PAD src0_sel:DWORD src1_sel:DWORD
	v_ffbh_u32_e32 v4, v3
	v_or_b32_sdwa v2, v9, v2 dst_sel:DWORD dst_unused:UNUSED_PAD src0_sel:BYTE_0 src1_sel:DWORD
	v_min_u32_e32 v4, 32, v4
	v_lshrrev_b16_e32 v2, 3, v2
	v_subrev_u32_e32 v6, 28, v4
	v_and_b32_e32 v2, 15, v2
	v_lshlrev_b32_e32 v6, v6, v9
	v_sub_u32_e32 v4, 29, v4
	v_and_b32_e32 v6, 7, v6
	v_cmp_eq_u16_e32 vcc, 0, v2
	v_cndmask_b32_e32 v3, v3, v6, vcc
	v_cndmask_b32_e32 v2, v2, v4, vcc
	v_lshlrev_b32_e32 v4, 24, v9
	v_mov_b32_e32 v6, 0x3b800000
	v_lshlrev_b32_e32 v3, 20, v3
	v_and_b32_e32 v4, 0x80000000, v4
	v_lshl_add_u32 v2, v2, 23, v6
	v_or3_b32 v2, v4, v2, v3
.LBB31_228:
	s_or_b64 exec, exec, s[6:7]
	s_movk_i32 s4, 0x7f
	v_cmp_gt_i16_sdwa s[6:7], v5, s4 src0_sel:BYTE_0 src1_sel:DWORD
	s_mov_b64 s[4:5], 0
                                        ; implicit-def: $sgpr10
	s_and_saveexec_b64 s[8:9], s[6:7]
	s_xor_b64 s[6:7], exec, s[8:9]
	s_cbranch_execnz .LBB31_2277
; %bb.229:
	s_or_saveexec_b64 s[6:7], s[6:7]
	v_mov_b32_e32 v3, s10
	s_xor_b64 exec, exec, s[6:7]
	s_cbranch_execnz .LBB31_2280
.LBB31_230:
	s_or_b64 exec, exec, s[6:7]
	s_and_saveexec_b64 s[6:7], s[4:5]
	s_cbranch_execz .LBB31_232
.LBB31_231:
	v_mov_b32_e32 v3, 8
	v_and_b32_e32 v4, 7, v5
	v_lshrrev_b32_sdwa v3, v3, v5 dst_sel:BYTE_1 dst_unused:UNUSED_PAD src0_sel:DWORD src1_sel:DWORD
	v_ffbh_u32_e32 v6, v4
	v_or_b32_sdwa v3, v5, v3 dst_sel:DWORD dst_unused:UNUSED_PAD src0_sel:BYTE_0 src1_sel:DWORD
	v_min_u32_e32 v6, 32, v6
	v_lshrrev_b16_e32 v3, 3, v3
	v_subrev_u32_e32 v7, 28, v6
	v_and_b32_e32 v3, 15, v3
	v_lshlrev_b32_e32 v7, v7, v5
	v_sub_u32_e32 v6, 29, v6
	v_and_b32_e32 v7, 7, v7
	v_cmp_eq_u16_e32 vcc, 0, v3
	v_cndmask_b32_e32 v4, v4, v7, vcc
	v_cndmask_b32_e32 v3, v3, v6, vcc
	v_lshlrev_b32_e32 v6, 24, v5
	v_mov_b32_e32 v7, 0x3b800000
	v_lshlrev_b32_e32 v4, 20, v4
	v_and_b32_e32 v6, 0x80000000, v6
	v_lshl_add_u32 v3, v3, 23, v7
	v_or3_b32 v3, v6, v3, v4
.LBB31_232:
	s_or_b64 exec, exec, s[6:7]
	s_nop 0
	v_mfma_f32_16x16x4f32 a[0:3], v2, v3, a[0:3]
	v_lshrrev_b32_e32 v3, 8, v9
	s_movk_i32 s4, 0x7f
	v_cmp_gt_i16_sdwa s[6:7], v3, s4 src0_sel:BYTE_0 src1_sel:DWORD
	s_mov_b64 s[4:5], 0
                                        ; implicit-def: $sgpr10
	s_and_saveexec_b64 s[8:9], s[6:7]
	s_xor_b64 s[6:7], exec, s[8:9]
	s_cbranch_execnz .LBB31_2281
; %bb.233:
	s_or_saveexec_b64 s[6:7], s[6:7]
	v_mov_b32_e32 v2, s10
	s_xor_b64 exec, exec, s[6:7]
	s_cbranch_execnz .LBB31_2284
.LBB31_234:
	s_or_b64 exec, exec, s[6:7]
	s_and_saveexec_b64 s[6:7], s[4:5]
	s_cbranch_execz .LBB31_236
.LBB31_235:
	v_bfe_u32 v2, v9, 8, 3
	v_ffbh_u32_e32 v6, v2
	v_min_u32_e32 v6, 32, v6
	v_lshrrev_b16_e32 v4, 3, v3
	v_subrev_u32_e32 v7, 28, v6
	v_and_b32_e32 v4, 15, v4
	v_lshlrev_b32_e32 v3, v7, v3
	v_sub_u32_e32 v6, 29, v6
	v_and_b32_e32 v3, 7, v3
	v_cmp_eq_u16_e32 vcc, 0, v4
	v_cndmask_b32_e32 v2, v2, v3, vcc
	v_cndmask_b32_e32 v3, v4, v6, vcc
	v_lshlrev_b32_e32 v4, 16, v9
	v_mov_b32_e32 v6, 0x3b800000
	v_lshlrev_b32_e32 v2, 20, v2
	v_and_b32_e32 v4, 0x80000000, v4
	v_lshl_add_u32 v3, v3, 23, v6
	v_or3_b32 v2, v4, v3, v2
.LBB31_236:
	s_or_b64 exec, exec, s[6:7]
	v_lshrrev_b32_e32 v3, 8, v5
	s_movk_i32 s4, 0x7f
	v_cmp_gt_i16_sdwa s[6:7], v3, s4 src0_sel:BYTE_0 src1_sel:DWORD
	s_mov_b64 s[4:5], 0
                                        ; implicit-def: $sgpr10
	s_and_saveexec_b64 s[8:9], s[6:7]
	s_xor_b64 s[6:7], exec, s[8:9]
	s_cbranch_execnz .LBB31_2285
; %bb.237:
	s_or_saveexec_b64 s[6:7], s[6:7]
	v_mov_b32_e32 v4, s10
	s_xor_b64 exec, exec, s[6:7]
	s_cbranch_execnz .LBB31_2288
.LBB31_238:
	s_or_b64 exec, exec, s[6:7]
	s_and_saveexec_b64 s[6:7], s[4:5]
	s_cbranch_execz .LBB31_240
.LBB31_239:
	v_bfe_u32 v4, v5, 8, 3
	v_ffbh_u32_e32 v7, v4
	v_min_u32_e32 v7, 32, v7
	v_lshrrev_b16_e32 v6, 3, v3
	v_subrev_u32_e32 v8, 28, v7
	v_and_b32_e32 v6, 15, v6
	v_lshlrev_b32_e32 v3, v8, v3
	v_sub_u32_e32 v7, 29, v7
	v_and_b32_e32 v3, 7, v3
	v_cmp_eq_u16_e32 vcc, 0, v6
	v_cndmask_b32_e32 v3, v4, v3, vcc
	v_cndmask_b32_e32 v4, v6, v7, vcc
	v_lshlrev_b32_e32 v6, 16, v5
	v_mov_b32_e32 v7, 0x3b800000
	v_lshlrev_b32_e32 v3, 20, v3
	v_and_b32_e32 v6, 0x80000000, v6
	v_lshl_add_u32 v4, v4, 23, v7
	v_or3_b32 v4, v6, v4, v3
.LBB31_240:
	s_or_b64 exec, exec, s[6:7]
	s_nop 0
	v_mfma_f32_16x16x4f32 a[0:3], v2, v4, a[0:3]
	s_movk_i32 s4, 0xff
	v_and_b32_sdwa v3, v9, s4 dst_sel:DWORD dst_unused:UNUSED_PAD src0_sel:WORD_1 src1_sel:DWORD
	s_movk_i32 s4, 0x7f
	v_cmp_lt_i16_e32 vcc, s4, v3
	s_mov_b64 s[4:5], 0
                                        ; implicit-def: $sgpr10
	s_and_saveexec_b64 s[6:7], vcc
	s_xor_b64 s[6:7], exec, s[6:7]
	s_cbranch_execnz .LBB31_2289
; %bb.241:
	s_or_saveexec_b64 s[6:7], s[6:7]
	v_mov_b32_e32 v2, s10
	s_xor_b64 exec, exec, s[6:7]
	s_cbranch_execnz .LBB31_2292
.LBB31_242:
	s_or_b64 exec, exec, s[6:7]
	s_and_saveexec_b64 s[6:7], s[4:5]
	s_cbranch_execz .LBB31_244
.LBB31_243:
	v_bfe_u32 v2, v9, 16, 3
	v_ffbh_u32_e32 v6, v2
	v_min_u32_e32 v6, 32, v6
	v_lshrrev_b32_e32 v3, 19, v9
	v_subrev_u32_e32 v7, 28, v6
	v_and_b32_e32 v3, 15, v3
	v_lshlrev_b32_sdwa v7, v7, v9 dst_sel:DWORD dst_unused:UNUSED_PAD src0_sel:DWORD src1_sel:WORD_1
	v_bfe_u32 v4, v9, 19, 4
	v_sub_u32_e32 v6, 29, v6
	v_and_b32_e32 v7, 7, v7
	v_cmp_eq_u16_e32 vcc, 0, v3
	v_cndmask_b32_e32 v2, v2, v7, vcc
	v_cndmask_b32_e32 v3, v4, v6, vcc
	v_lshlrev_b32_e32 v4, 8, v9
	v_mov_b32_e32 v6, 0x3b800000
	v_lshlrev_b32_e32 v2, 20, v2
	v_and_b32_e32 v4, 0x80000000, v4
	v_lshl_add_u32 v3, v3, 23, v6
	v_or3_b32 v2, v4, v3, v2
.LBB31_244:
	s_or_b64 exec, exec, s[6:7]
	s_movk_i32 s4, 0xff
	v_and_b32_sdwa v3, v5, s4 dst_sel:DWORD dst_unused:UNUSED_PAD src0_sel:WORD_1 src1_sel:DWORD
	s_movk_i32 s4, 0x7f
	v_cmp_lt_i16_e32 vcc, s4, v3
	s_mov_b64 s[4:5], 0
                                        ; implicit-def: $sgpr10
	s_and_saveexec_b64 s[6:7], vcc
	s_xor_b64 s[6:7], exec, s[6:7]
	s_cbranch_execnz .LBB31_2293
; %bb.245:
	s_or_saveexec_b64 s[6:7], s[6:7]
	v_mov_b32_e32 v4, s10
	s_xor_b64 exec, exec, s[6:7]
	s_cbranch_execnz .LBB31_2296
.LBB31_246:
	s_or_b64 exec, exec, s[6:7]
	s_and_saveexec_b64 s[6:7], s[4:5]
	s_cbranch_execz .LBB31_248
.LBB31_247:
	v_bfe_u32 v3, v5, 16, 3
	v_ffbh_u32_e32 v7, v3
	v_min_u32_e32 v7, 32, v7
	v_lshrrev_b32_e32 v4, 19, v5
	v_subrev_u32_e32 v8, 28, v7
	v_and_b32_e32 v4, 15, v4
	v_lshlrev_b32_sdwa v8, v8, v5 dst_sel:DWORD dst_unused:UNUSED_PAD src0_sel:DWORD src1_sel:WORD_1
	v_bfe_u32 v6, v5, 19, 4
	v_sub_u32_e32 v7, 29, v7
	v_and_b32_e32 v8, 7, v8
	v_cmp_eq_u16_e32 vcc, 0, v4
	v_cndmask_b32_e32 v3, v3, v8, vcc
	v_cndmask_b32_e32 v4, v6, v7, vcc
	v_lshlrev_b32_e32 v6, 8, v5
	v_mov_b32_e32 v7, 0x3b800000
	v_lshlrev_b32_e32 v3, 20, v3
	v_and_b32_e32 v6, 0x80000000, v6
	v_lshl_add_u32 v4, v4, 23, v7
	v_or3_b32 v4, v6, v4, v3
.LBB31_248:
	s_or_b64 exec, exec, s[6:7]
	s_nop 0
	v_mfma_f32_16x16x4f32 a[0:3], v2, v4, a[0:3]
	s_movk_i32 s4, 0x7f
	v_cmp_gt_i16_sdwa s[6:7], v9, s4 src0_sel:BYTE_3 src1_sel:DWORD
	s_mov_b64 s[4:5], 0
                                        ; implicit-def: $sgpr10
	s_and_saveexec_b64 s[8:9], s[6:7]
	s_xor_b64 s[6:7], exec, s[8:9]
	s_cbranch_execnz .LBB31_2297
; %bb.249:
	s_or_saveexec_b64 s[6:7], s[6:7]
	v_mov_b32_e32 v2, s10
	s_xor_b64 exec, exec, s[6:7]
	s_cbranch_execnz .LBB31_2300
.LBB31_250:
	s_or_b64 exec, exec, s[6:7]
	s_and_saveexec_b64 s[6:7], s[4:5]
	s_cbranch_execz .LBB31_252
.LBB31_251:
	v_bfe_u32 v2, v9, 24, 3
	v_ffbh_u32_e32 v7, v2
	v_min_u32_e32 v7, 32, v7
	v_lshrrev_b32_e32 v4, 27, v9
	v_subrev_u32_e32 v8, 28, v7
	v_and_b32_e32 v4, 15, v4
	v_lshlrev_b32_sdwa v8, v8, v9 dst_sel:DWORD dst_unused:UNUSED_PAD src0_sel:DWORD src1_sel:BYTE_3
	v_bfe_u32 v6, v9, 27, 4
	v_sub_u32_e32 v7, 29, v7
	v_and_b32_e32 v8, 7, v8
	v_cmp_eq_u16_e32 vcc, 0, v4
	v_cndmask_b32_e32 v2, v2, v8, vcc
	v_cndmask_b32_e32 v4, v6, v7, vcc
	v_mov_b32_e32 v6, 0x3b800000
	v_and_b32_e32 v3, 0x80000000, v9
	v_lshlrev_b32_e32 v2, 20, v2
	v_lshl_add_u32 v4, v4, 23, v6
	v_or3_b32 v2, v3, v4, v2
.LBB31_252:
	s_or_b64 exec, exec, s[6:7]
	s_movk_i32 s4, 0x7f
	v_cmp_gt_i16_sdwa s[6:7], v5, s4 src0_sel:BYTE_3 src1_sel:DWORD
	s_mov_b64 s[4:5], 0
                                        ; implicit-def: $sgpr10
	s_and_saveexec_b64 s[8:9], s[6:7]
	s_xor_b64 s[6:7], exec, s[8:9]
	s_cbranch_execnz .LBB31_2301
; %bb.253:
	s_or_saveexec_b64 s[6:7], s[6:7]
	v_mov_b32_e32 v3, s10
	s_xor_b64 exec, exec, s[6:7]
	s_cbranch_execnz .LBB31_2304
.LBB31_254:
	s_or_b64 exec, exec, s[6:7]
	s_and_saveexec_b64 s[6:7], s[4:5]
	s_cbranch_execz .LBB31_256
.LBB31_255:
	v_bfe_u32 v3, v5, 24, 3
	v_ffbh_u32_e32 v8, v3
	v_min_u32_e32 v8, 32, v8
	v_lshrrev_b32_e32 v6, 27, v5
	v_subrev_u32_e32 v9, 28, v8
	v_and_b32_e32 v4, 0x80000000, v5
	v_and_b32_e32 v6, 15, v6
	v_bfe_u32 v7, v5, 27, 4
	v_lshlrev_b32_sdwa v5, v9, v5 dst_sel:DWORD dst_unused:UNUSED_PAD src0_sel:DWORD src1_sel:BYTE_3
	v_sub_u32_e32 v8, 29, v8
	v_and_b32_e32 v5, 7, v5
	v_cmp_eq_u16_e32 vcc, 0, v6
	v_cndmask_b32_e32 v3, v3, v5, vcc
	v_cndmask_b32_e32 v5, v7, v8, vcc
	v_mov_b32_e32 v6, 0x3b800000
	v_lshlrev_b32_e32 v3, 20, v3
	v_lshl_add_u32 v5, v5, 23, v6
	v_or3_b32 v3, v4, v5, v3
.LBB31_256:
	s_or_b64 exec, exec, s[6:7]
	s_nop 0
	v_mfma_f32_16x16x4f32 a[0:3], v2, v3, a[0:3]
	s_movk_i32 s4, 0x7f
                                        ; implicit-def: $sgpr10
	s_nop 7
	s_nop 1
	flat_store_dwordx4 v[18:19], a[0:3] offset:384
	flat_load_dwordx4 v[20:23], v[0:1] offset:16
	s_nop 0
	flat_load_dwordx2 v[18:19], v[0:1] offset:32
	s_waitcnt vmcnt(0) lgkmcnt(0)
	flat_load_dwordx4 v[14:17], v[20:21] offset:32
	flat_load_dwordx4 v[10:13], v[22:23] offset:32
	;; [unrolled: 1-line block ×4, first 2 shown]
	s_waitcnt vmcnt(0) lgkmcnt(0)
	v_cmp_gt_i16_sdwa s[6:7], v14, s4 src0_sel:BYTE_0 src1_sel:DWORD
	s_mov_b64 s[4:5], 0
	s_and_saveexec_b64 s[8:9], s[6:7]
	s_xor_b64 s[6:7], exec, s[8:9]
	s_cbranch_execnz .LBB31_2305
; %bb.257:
	s_or_saveexec_b64 s[6:7], s[6:7]
	v_mov_b32_e32 v20, s10
	s_xor_b64 exec, exec, s[6:7]
	s_cbranch_execnz .LBB31_2308
.LBB31_258:
	s_or_b64 exec, exec, s[6:7]
	s_and_saveexec_b64 s[6:7], s[4:5]
	s_cbranch_execz .LBB31_260
.LBB31_259:
	v_and_b32_e32 v20, 7, v14
	v_ffbh_u32_e32 v22, v20
	v_min_u32_e32 v22, 32, v22
	v_lshrrev_b16_e32 v21, 3, v14
	v_subrev_u32_e32 v23, 28, v22
	v_and_b32_e32 v21, 15, v21
	v_lshlrev_b32_e32 v23, v23, v14
	v_sub_u32_e32 v22, 29, v22
	v_and_b32_e32 v23, 7, v23
	v_cmp_eq_u16_e32 vcc, 0, v21
	v_cndmask_b32_e32 v20, v20, v23, vcc
	v_cndmask_b32_e32 v21, v21, v22, vcc
	v_lshlrev_b32_e32 v22, 24, v14
	v_mov_b32_e32 v23, 0x3b800000
	v_lshlrev_b32_e32 v20, 20, v20
	v_and_b32_e32 v22, 0x80000000, v22
	v_lshl_add_u32 v21, v21, 23, v23
	v_or3_b32 v20, v22, v21, v20
.LBB31_260:
	s_or_b64 exec, exec, s[6:7]
	s_movk_i32 s4, 0x7f
	v_cmp_gt_i16_sdwa s[6:7], v10, s4 src0_sel:BYTE_0 src1_sel:DWORD
	s_mov_b64 s[4:5], 0
                                        ; implicit-def: $sgpr10
	s_and_saveexec_b64 s[8:9], s[6:7]
	s_xor_b64 s[6:7], exec, s[8:9]
	s_cbranch_execnz .LBB31_2309
; %bb.261:
	s_or_saveexec_b64 s[6:7], s[6:7]
	v_mov_b32_e32 v21, s10
	s_xor_b64 exec, exec, s[6:7]
	s_cbranch_execnz .LBB31_2312
.LBB31_262:
	s_or_b64 exec, exec, s[6:7]
	s_and_saveexec_b64 s[6:7], s[4:5]
	s_cbranch_execz .LBB31_264
.LBB31_263:
	v_and_b32_e32 v21, 7, v10
	v_ffbh_u32_e32 v23, v21
	v_min_u32_e32 v23, 32, v23
	v_lshrrev_b16_e32 v22, 3, v10
	v_subrev_u32_e32 v24, 28, v23
	v_and_b32_e32 v22, 15, v22
	v_lshlrev_b32_e32 v24, v24, v10
	v_sub_u32_e32 v23, 29, v23
	v_and_b32_e32 v24, 7, v24
	v_cmp_eq_u16_e32 vcc, 0, v22
	v_cndmask_b32_e32 v21, v21, v24, vcc
	v_cndmask_b32_e32 v22, v22, v23, vcc
	v_lshlrev_b32_e32 v23, 24, v10
	v_mov_b32_e32 v24, 0x3b800000
	v_lshlrev_b32_e32 v21, 20, v21
	v_and_b32_e32 v23, 0x80000000, v23
	v_lshl_add_u32 v22, v22, 23, v24
	v_or3_b32 v21, v23, v22, v21
.LBB31_264:
	s_or_b64 exec, exec, s[6:7]
	flat_load_dwordx4 a[0:3], v[18:19] offset:400
	s_movk_i32 s4, 0x7f
                                        ; implicit-def: $sgpr10
	s_waitcnt vmcnt(0) lgkmcnt(0)
	v_mfma_f32_16x16x4f32 a[0:3], v20, v21, a[0:3]
	v_lshrrev_b32_e32 v21, 8, v14
	v_cmp_gt_i16_sdwa s[6:7], v21, s4 src0_sel:BYTE_0 src1_sel:DWORD
	s_mov_b64 s[4:5], 0
	s_and_saveexec_b64 s[8:9], s[6:7]
	s_xor_b64 s[6:7], exec, s[8:9]
	s_cbranch_execnz .LBB31_2313
; %bb.265:
	s_or_saveexec_b64 s[6:7], s[6:7]
	v_mov_b32_e32 v20, s10
	s_xor_b64 exec, exec, s[6:7]
	s_cbranch_execnz .LBB31_2316
.LBB31_266:
	s_or_b64 exec, exec, s[6:7]
	s_and_saveexec_b64 s[6:7], s[4:5]
	s_cbranch_execz .LBB31_268
.LBB31_267:
	v_bfe_u32 v20, v14, 8, 3
	v_ffbh_u32_e32 v23, v20
	v_min_u32_e32 v23, 32, v23
	v_lshrrev_b16_e32 v22, 3, v21
	v_subrev_u32_e32 v24, 28, v23
	v_and_b32_e32 v22, 15, v22
	v_lshlrev_b32_e32 v21, v24, v21
	v_sub_u32_e32 v23, 29, v23
	v_and_b32_e32 v21, 7, v21
	v_cmp_eq_u16_e32 vcc, 0, v22
	v_cndmask_b32_e32 v20, v20, v21, vcc
	v_cndmask_b32_e32 v21, v22, v23, vcc
	v_lshlrev_b32_e32 v22, 16, v14
	v_mov_b32_e32 v23, 0x3b800000
	v_lshlrev_b32_e32 v20, 20, v20
	v_and_b32_e32 v22, 0x80000000, v22
	v_lshl_add_u32 v21, v21, 23, v23
	v_or3_b32 v20, v22, v21, v20
.LBB31_268:
	s_or_b64 exec, exec, s[6:7]
	v_lshrrev_b32_e32 v21, 8, v10
	s_movk_i32 s4, 0x7f
	v_cmp_gt_i16_sdwa s[6:7], v21, s4 src0_sel:BYTE_0 src1_sel:DWORD
	s_mov_b64 s[4:5], 0
                                        ; implicit-def: $sgpr10
	s_and_saveexec_b64 s[8:9], s[6:7]
	s_xor_b64 s[6:7], exec, s[8:9]
	s_cbranch_execnz .LBB31_2317
; %bb.269:
	s_or_saveexec_b64 s[6:7], s[6:7]
	v_mov_b32_e32 v22, s10
	s_xor_b64 exec, exec, s[6:7]
	s_cbranch_execnz .LBB31_2320
.LBB31_270:
	s_or_b64 exec, exec, s[6:7]
	s_and_saveexec_b64 s[6:7], s[4:5]
	s_cbranch_execz .LBB31_272
.LBB31_271:
	v_bfe_u32 v22, v10, 8, 3
	v_ffbh_u32_e32 v24, v22
	v_min_u32_e32 v24, 32, v24
	v_lshrrev_b16_e32 v23, 3, v21
	v_subrev_u32_e32 v25, 28, v24
	v_and_b32_e32 v23, 15, v23
	v_lshlrev_b32_e32 v21, v25, v21
	v_sub_u32_e32 v24, 29, v24
	v_and_b32_e32 v21, 7, v21
	v_cmp_eq_u16_e32 vcc, 0, v23
	v_cndmask_b32_e32 v21, v22, v21, vcc
	v_cndmask_b32_e32 v22, v23, v24, vcc
	v_lshlrev_b32_e32 v23, 16, v10
	v_mov_b32_e32 v24, 0x3b800000
	v_lshlrev_b32_e32 v21, 20, v21
	v_and_b32_e32 v23, 0x80000000, v23
	v_lshl_add_u32 v22, v22, 23, v24
	v_or3_b32 v22, v23, v22, v21
.LBB31_272:
	s_or_b64 exec, exec, s[6:7]
	s_nop 0
	v_mfma_f32_16x16x4f32 a[0:3], v20, v22, a[0:3]
	s_movk_i32 s4, 0xff
	v_and_b32_sdwa v21, v14, s4 dst_sel:DWORD dst_unused:UNUSED_PAD src0_sel:WORD_1 src1_sel:DWORD
	s_movk_i32 s4, 0x7f
	v_cmp_lt_i16_e32 vcc, s4, v21
	s_mov_b64 s[4:5], 0
                                        ; implicit-def: $sgpr10
	s_and_saveexec_b64 s[6:7], vcc
	s_xor_b64 s[6:7], exec, s[6:7]
	s_cbranch_execnz .LBB31_2321
; %bb.273:
	s_or_saveexec_b64 s[6:7], s[6:7]
	v_mov_b32_e32 v20, s10
	s_xor_b64 exec, exec, s[6:7]
	s_cbranch_execnz .LBB31_2324
.LBB31_274:
	s_or_b64 exec, exec, s[6:7]
	s_and_saveexec_b64 s[6:7], s[4:5]
	s_cbranch_execz .LBB31_276
.LBB31_275:
	v_bfe_u32 v20, v14, 16, 3
	v_ffbh_u32_e32 v23, v20
	v_min_u32_e32 v23, 32, v23
	v_lshrrev_b32_e32 v21, 19, v14
	v_subrev_u32_e32 v24, 28, v23
	v_and_b32_e32 v21, 15, v21
	v_lshlrev_b32_sdwa v24, v24, v14 dst_sel:DWORD dst_unused:UNUSED_PAD src0_sel:DWORD src1_sel:WORD_1
	v_bfe_u32 v22, v14, 19, 4
	v_sub_u32_e32 v23, 29, v23
	v_and_b32_e32 v24, 7, v24
	v_cmp_eq_u16_e32 vcc, 0, v21
	v_cndmask_b32_e32 v20, v20, v24, vcc
	v_cndmask_b32_e32 v21, v22, v23, vcc
	v_lshlrev_b32_e32 v22, 8, v14
	v_mov_b32_e32 v23, 0x3b800000
	v_lshlrev_b32_e32 v20, 20, v20
	v_and_b32_e32 v22, 0x80000000, v22
	v_lshl_add_u32 v21, v21, 23, v23
	v_or3_b32 v20, v22, v21, v20
.LBB31_276:
	s_or_b64 exec, exec, s[6:7]
	s_movk_i32 s4, 0xff
	v_and_b32_sdwa v21, v10, s4 dst_sel:DWORD dst_unused:UNUSED_PAD src0_sel:WORD_1 src1_sel:DWORD
	s_movk_i32 s4, 0x7f
	v_cmp_lt_i16_e32 vcc, s4, v21
	s_mov_b64 s[4:5], 0
                                        ; implicit-def: $sgpr10
	s_and_saveexec_b64 s[6:7], vcc
	s_xor_b64 s[6:7], exec, s[6:7]
	s_cbranch_execnz .LBB31_2325
; %bb.277:
	s_or_saveexec_b64 s[6:7], s[6:7]
	v_mov_b32_e32 v22, s10
	s_xor_b64 exec, exec, s[6:7]
	s_cbranch_execnz .LBB31_2328
.LBB31_278:
	s_or_b64 exec, exec, s[6:7]
	s_and_saveexec_b64 s[6:7], s[4:5]
	s_cbranch_execz .LBB31_280
.LBB31_279:
	v_bfe_u32 v21, v10, 16, 3
	v_ffbh_u32_e32 v24, v21
	v_min_u32_e32 v24, 32, v24
	v_lshrrev_b32_e32 v22, 19, v10
	v_subrev_u32_e32 v25, 28, v24
	v_and_b32_e32 v22, 15, v22
	v_lshlrev_b32_sdwa v25, v25, v10 dst_sel:DWORD dst_unused:UNUSED_PAD src0_sel:DWORD src1_sel:WORD_1
	v_bfe_u32 v23, v10, 19, 4
	v_sub_u32_e32 v24, 29, v24
	v_and_b32_e32 v25, 7, v25
	v_cmp_eq_u16_e32 vcc, 0, v22
	v_cndmask_b32_e32 v21, v21, v25, vcc
	v_cndmask_b32_e32 v22, v23, v24, vcc
	v_lshlrev_b32_e32 v23, 8, v10
	v_mov_b32_e32 v24, 0x3b800000
	v_lshlrev_b32_e32 v21, 20, v21
	v_and_b32_e32 v23, 0x80000000, v23
	v_lshl_add_u32 v22, v22, 23, v24
	v_or3_b32 v22, v23, v22, v21
.LBB31_280:
	s_or_b64 exec, exec, s[6:7]
	s_nop 0
	v_mfma_f32_16x16x4f32 a[0:3], v20, v22, a[0:3]
	s_movk_i32 s4, 0x7f
	v_cmp_gt_i16_sdwa s[6:7], v14, s4 src0_sel:BYTE_3 src1_sel:DWORD
	s_mov_b64 s[4:5], 0
                                        ; implicit-def: $sgpr10
	s_and_saveexec_b64 s[8:9], s[6:7]
	s_xor_b64 s[6:7], exec, s[8:9]
	s_cbranch_execnz .LBB31_2329
; %bb.281:
	s_or_saveexec_b64 s[6:7], s[6:7]
	v_mov_b32_e32 v20, s10
	s_xor_b64 exec, exec, s[6:7]
	s_cbranch_execnz .LBB31_2332
.LBB31_282:
	s_or_b64 exec, exec, s[6:7]
	s_and_saveexec_b64 s[6:7], s[4:5]
	s_cbranch_execz .LBB31_284
.LBB31_283:
	v_bfe_u32 v20, v14, 24, 3
	v_ffbh_u32_e32 v24, v20
	v_min_u32_e32 v24, 32, v24
	v_lshrrev_b32_e32 v22, 27, v14
	v_subrev_u32_e32 v25, 28, v24
	v_and_b32_e32 v21, 0x80000000, v14
	v_and_b32_e32 v22, 15, v22
	v_bfe_u32 v23, v14, 27, 4
	v_lshlrev_b32_sdwa v14, v25, v14 dst_sel:DWORD dst_unused:UNUSED_PAD src0_sel:DWORD src1_sel:BYTE_3
	v_sub_u32_e32 v24, 29, v24
	v_and_b32_e32 v14, 7, v14
	v_cmp_eq_u16_e32 vcc, 0, v22
	v_cndmask_b32_e32 v14, v20, v14, vcc
	v_cndmask_b32_e32 v20, v23, v24, vcc
	v_mov_b32_e32 v22, 0x3b800000
	v_lshlrev_b32_e32 v14, 20, v14
	v_lshl_add_u32 v20, v20, 23, v22
	v_or3_b32 v20, v21, v20, v14
.LBB31_284:
	s_or_b64 exec, exec, s[6:7]
	s_movk_i32 s4, 0x7f
	v_cmp_gt_i16_sdwa s[6:7], v10, s4 src0_sel:BYTE_3 src1_sel:DWORD
	s_mov_b64 s[4:5], 0
                                        ; implicit-def: $sgpr10
	s_and_saveexec_b64 s[8:9], s[6:7]
	s_xor_b64 s[6:7], exec, s[8:9]
	s_cbranch_execnz .LBB31_2333
; %bb.285:
	s_or_saveexec_b64 s[6:7], s[6:7]
	v_mov_b32_e32 v14, s10
	s_xor_b64 exec, exec, s[6:7]
	s_cbranch_execnz .LBB31_2336
.LBB31_286:
	s_or_b64 exec, exec, s[6:7]
	s_and_saveexec_b64 s[6:7], s[4:5]
	s_cbranch_execz .LBB31_288
.LBB31_287:
	v_bfe_u32 v14, v10, 24, 3
	v_ffbh_u32_e32 v24, v14
	v_min_u32_e32 v24, 32, v24
	v_lshrrev_b32_e32 v22, 27, v10
	v_subrev_u32_e32 v25, 28, v24
	v_and_b32_e32 v21, 0x80000000, v10
	v_and_b32_e32 v22, 15, v22
	v_bfe_u32 v23, v10, 27, 4
	v_lshlrev_b32_sdwa v10, v25, v10 dst_sel:DWORD dst_unused:UNUSED_PAD src0_sel:DWORD src1_sel:BYTE_3
	v_sub_u32_e32 v24, 29, v24
	v_and_b32_e32 v10, 7, v10
	v_cmp_eq_u16_e32 vcc, 0, v22
	v_cndmask_b32_e32 v10, v14, v10, vcc
	v_cndmask_b32_e32 v14, v23, v24, vcc
	v_mov_b32_e32 v22, 0x3b800000
	v_lshlrev_b32_e32 v10, 20, v10
	v_lshl_add_u32 v14, v14, 23, v22
	v_or3_b32 v14, v21, v14, v10
.LBB31_288:
	s_or_b64 exec, exec, s[6:7]
	s_nop 0
	v_mfma_f32_16x16x4f32 a[0:3], v20, v14, a[0:3]
	s_movk_i32 s4, 0x7f
	v_cmp_gt_i16_sdwa s[6:7], v15, s4 src0_sel:BYTE_0 src1_sel:DWORD
	s_mov_b64 s[4:5], 0
                                        ; implicit-def: $sgpr10
	s_and_saveexec_b64 s[8:9], s[6:7]
	s_xor_b64 s[6:7], exec, s[8:9]
	s_cbranch_execnz .LBB31_2337
; %bb.289:
	s_or_saveexec_b64 s[6:7], s[6:7]
	v_mov_b32_e32 v10, s10
	s_xor_b64 exec, exec, s[6:7]
	s_cbranch_execnz .LBB31_2340
.LBB31_290:
	s_or_b64 exec, exec, s[6:7]
	s_and_saveexec_b64 s[6:7], s[4:5]
	s_cbranch_execz .LBB31_292
.LBB31_291:
	v_and_b32_e32 v10, 7, v15
	v_ffbh_u32_e32 v20, v10
	v_min_u32_e32 v20, 32, v20
	v_lshrrev_b16_e32 v14, 3, v15
	v_subrev_u32_e32 v21, 28, v20
	v_and_b32_e32 v14, 15, v14
	v_lshlrev_b32_e32 v21, v21, v15
	v_sub_u32_e32 v20, 29, v20
	v_and_b32_e32 v21, 7, v21
	v_cmp_eq_u16_e32 vcc, 0, v14
	v_cndmask_b32_e32 v10, v10, v21, vcc
	v_cndmask_b32_e32 v14, v14, v20, vcc
	v_lshlrev_b32_e32 v20, 24, v15
	v_mov_b32_e32 v21, 0x3b800000
	v_lshlrev_b32_e32 v10, 20, v10
	v_and_b32_e32 v20, 0x80000000, v20
	v_lshl_add_u32 v14, v14, 23, v21
	v_or3_b32 v10, v20, v14, v10
.LBB31_292:
	s_or_b64 exec, exec, s[6:7]
	s_movk_i32 s4, 0x7f
	v_cmp_gt_i16_sdwa s[6:7], v11, s4 src0_sel:BYTE_0 src1_sel:DWORD
	s_mov_b64 s[4:5], 0
                                        ; implicit-def: $sgpr10
	s_and_saveexec_b64 s[8:9], s[6:7]
	s_xor_b64 s[6:7], exec, s[8:9]
	s_cbranch_execnz .LBB31_2341
; %bb.293:
	s_or_saveexec_b64 s[6:7], s[6:7]
	v_mov_b32_e32 v14, s10
	s_xor_b64 exec, exec, s[6:7]
	s_cbranch_execnz .LBB31_2344
.LBB31_294:
	s_or_b64 exec, exec, s[6:7]
	s_and_saveexec_b64 s[6:7], s[4:5]
	s_cbranch_execz .LBB31_296
.LBB31_295:
	v_and_b32_e32 v14, 7, v11
	v_ffbh_u32_e32 v21, v14
	v_min_u32_e32 v21, 32, v21
	v_lshrrev_b16_e32 v20, 3, v11
	v_subrev_u32_e32 v22, 28, v21
	v_and_b32_e32 v20, 15, v20
	v_lshlrev_b32_e32 v22, v22, v11
	v_sub_u32_e32 v21, 29, v21
	v_and_b32_e32 v22, 7, v22
	v_cmp_eq_u16_e32 vcc, 0, v20
	v_cndmask_b32_e32 v14, v14, v22, vcc
	v_cndmask_b32_e32 v20, v20, v21, vcc
	v_lshlrev_b32_e32 v21, 24, v11
	v_mov_b32_e32 v22, 0x3b800000
	v_lshlrev_b32_e32 v14, 20, v14
	v_and_b32_e32 v21, 0x80000000, v21
	v_lshl_add_u32 v20, v20, 23, v22
	v_or3_b32 v14, v21, v20, v14
.LBB31_296:
	s_or_b64 exec, exec, s[6:7]
	s_nop 0
	v_mfma_f32_16x16x4f32 a[0:3], v10, v14, a[0:3]
	v_lshrrev_b32_e32 v14, 8, v15
	s_movk_i32 s4, 0x7f
	v_cmp_gt_i16_sdwa s[6:7], v14, s4 src0_sel:BYTE_0 src1_sel:DWORD
	s_mov_b64 s[4:5], 0
                                        ; implicit-def: $sgpr10
	s_and_saveexec_b64 s[8:9], s[6:7]
	s_xor_b64 s[6:7], exec, s[8:9]
	s_cbranch_execnz .LBB31_2345
; %bb.297:
	s_or_saveexec_b64 s[6:7], s[6:7]
	v_mov_b32_e32 v10, s10
	s_xor_b64 exec, exec, s[6:7]
	s_cbranch_execnz .LBB31_2348
.LBB31_298:
	s_or_b64 exec, exec, s[6:7]
	s_and_saveexec_b64 s[6:7], s[4:5]
	s_cbranch_execz .LBB31_300
.LBB31_299:
	v_bfe_u32 v10, v15, 8, 3
	v_ffbh_u32_e32 v21, v10
	v_min_u32_e32 v21, 32, v21
	v_lshrrev_b16_e32 v20, 3, v14
	v_subrev_u32_e32 v22, 28, v21
	v_and_b32_e32 v20, 15, v20
	v_lshlrev_b32_e32 v14, v22, v14
	v_sub_u32_e32 v21, 29, v21
	v_and_b32_e32 v14, 7, v14
	v_cmp_eq_u16_e32 vcc, 0, v20
	v_cndmask_b32_e32 v10, v10, v14, vcc
	v_cndmask_b32_e32 v14, v20, v21, vcc
	v_lshlrev_b32_e32 v20, 16, v15
	v_mov_b32_e32 v21, 0x3b800000
	v_lshlrev_b32_e32 v10, 20, v10
	v_and_b32_e32 v20, 0x80000000, v20
	v_lshl_add_u32 v14, v14, 23, v21
	v_or3_b32 v10, v20, v14, v10
.LBB31_300:
	s_or_b64 exec, exec, s[6:7]
	v_lshrrev_b32_e32 v14, 8, v11
	s_movk_i32 s4, 0x7f
	v_cmp_gt_i16_sdwa s[6:7], v14, s4 src0_sel:BYTE_0 src1_sel:DWORD
	s_mov_b64 s[4:5], 0
                                        ; implicit-def: $sgpr10
	s_and_saveexec_b64 s[8:9], s[6:7]
	s_xor_b64 s[6:7], exec, s[8:9]
	s_cbranch_execnz .LBB31_2349
; %bb.301:
	s_or_saveexec_b64 s[6:7], s[6:7]
	v_mov_b32_e32 v20, s10
	s_xor_b64 exec, exec, s[6:7]
	s_cbranch_execnz .LBB31_2352
.LBB31_302:
	s_or_b64 exec, exec, s[6:7]
	s_and_saveexec_b64 s[6:7], s[4:5]
	s_cbranch_execz .LBB31_304
.LBB31_303:
	v_bfe_u32 v20, v11, 8, 3
	v_ffbh_u32_e32 v22, v20
	v_min_u32_e32 v22, 32, v22
	v_lshrrev_b16_e32 v21, 3, v14
	v_subrev_u32_e32 v23, 28, v22
	v_and_b32_e32 v21, 15, v21
	v_lshlrev_b32_e32 v14, v23, v14
	v_sub_u32_e32 v22, 29, v22
	v_and_b32_e32 v14, 7, v14
	v_cmp_eq_u16_e32 vcc, 0, v21
	v_cndmask_b32_e32 v14, v20, v14, vcc
	v_cndmask_b32_e32 v20, v21, v22, vcc
	v_lshlrev_b32_e32 v21, 16, v11
	v_mov_b32_e32 v22, 0x3b800000
	v_lshlrev_b32_e32 v14, 20, v14
	v_and_b32_e32 v21, 0x80000000, v21
	v_lshl_add_u32 v20, v20, 23, v22
	v_or3_b32 v20, v21, v20, v14
.LBB31_304:
	s_or_b64 exec, exec, s[6:7]
	s_nop 0
	v_mfma_f32_16x16x4f32 a[0:3], v10, v20, a[0:3]
	s_movk_i32 s4, 0xff
	v_and_b32_sdwa v14, v15, s4 dst_sel:DWORD dst_unused:UNUSED_PAD src0_sel:WORD_1 src1_sel:DWORD
	s_movk_i32 s4, 0x7f
	v_cmp_lt_i16_e32 vcc, s4, v14
	s_mov_b64 s[4:5], 0
                                        ; implicit-def: $sgpr10
	s_and_saveexec_b64 s[6:7], vcc
	s_xor_b64 s[6:7], exec, s[6:7]
	s_cbranch_execnz .LBB31_2353
; %bb.305:
	s_or_saveexec_b64 s[6:7], s[6:7]
	v_mov_b32_e32 v10, s10
	s_xor_b64 exec, exec, s[6:7]
	s_cbranch_execnz .LBB31_2356
.LBB31_306:
	s_or_b64 exec, exec, s[6:7]
	s_and_saveexec_b64 s[6:7], s[4:5]
	s_cbranch_execz .LBB31_308
.LBB31_307:
	v_bfe_u32 v10, v15, 16, 3
	v_ffbh_u32_e32 v21, v10
	v_min_u32_e32 v21, 32, v21
	v_lshrrev_b32_e32 v14, 19, v15
	v_subrev_u32_e32 v22, 28, v21
	v_and_b32_e32 v14, 15, v14
	v_lshlrev_b32_sdwa v22, v22, v15 dst_sel:DWORD dst_unused:UNUSED_PAD src0_sel:DWORD src1_sel:WORD_1
	v_bfe_u32 v20, v15, 19, 4
	v_sub_u32_e32 v21, 29, v21
	v_and_b32_e32 v22, 7, v22
	v_cmp_eq_u16_e32 vcc, 0, v14
	v_cndmask_b32_e32 v10, v10, v22, vcc
	v_cndmask_b32_e32 v14, v20, v21, vcc
	v_lshlrev_b32_e32 v20, 8, v15
	v_mov_b32_e32 v21, 0x3b800000
	v_lshlrev_b32_e32 v10, 20, v10
	v_and_b32_e32 v20, 0x80000000, v20
	v_lshl_add_u32 v14, v14, 23, v21
	v_or3_b32 v10, v20, v14, v10
.LBB31_308:
	s_or_b64 exec, exec, s[6:7]
	s_movk_i32 s4, 0xff
	v_and_b32_sdwa v14, v11, s4 dst_sel:DWORD dst_unused:UNUSED_PAD src0_sel:WORD_1 src1_sel:DWORD
	s_movk_i32 s4, 0x7f
	v_cmp_lt_i16_e32 vcc, s4, v14
	s_mov_b64 s[4:5], 0
                                        ; implicit-def: $sgpr10
	s_and_saveexec_b64 s[6:7], vcc
	s_xor_b64 s[6:7], exec, s[6:7]
	s_cbranch_execnz .LBB31_2357
; %bb.309:
	s_or_saveexec_b64 s[6:7], s[6:7]
	v_mov_b32_e32 v20, s10
	s_xor_b64 exec, exec, s[6:7]
	s_cbranch_execnz .LBB31_2360
.LBB31_310:
	s_or_b64 exec, exec, s[6:7]
	s_and_saveexec_b64 s[6:7], s[4:5]
	s_cbranch_execz .LBB31_312
.LBB31_311:
	v_bfe_u32 v14, v11, 16, 3
	v_ffbh_u32_e32 v22, v14
	v_min_u32_e32 v22, 32, v22
	v_lshrrev_b32_e32 v20, 19, v11
	v_subrev_u32_e32 v23, 28, v22
	v_and_b32_e32 v20, 15, v20
	v_lshlrev_b32_sdwa v23, v23, v11 dst_sel:DWORD dst_unused:UNUSED_PAD src0_sel:DWORD src1_sel:WORD_1
	v_bfe_u32 v21, v11, 19, 4
	v_sub_u32_e32 v22, 29, v22
	v_and_b32_e32 v23, 7, v23
	v_cmp_eq_u16_e32 vcc, 0, v20
	v_cndmask_b32_e32 v14, v14, v23, vcc
	v_cndmask_b32_e32 v20, v21, v22, vcc
	v_lshlrev_b32_e32 v21, 8, v11
	v_mov_b32_e32 v22, 0x3b800000
	v_lshlrev_b32_e32 v14, 20, v14
	v_and_b32_e32 v21, 0x80000000, v21
	v_lshl_add_u32 v20, v20, 23, v22
	v_or3_b32 v20, v21, v20, v14
.LBB31_312:
	s_or_b64 exec, exec, s[6:7]
	s_nop 0
	v_mfma_f32_16x16x4f32 a[0:3], v10, v20, a[0:3]
	s_movk_i32 s4, 0x7f
	v_cmp_gt_i16_sdwa s[6:7], v15, s4 src0_sel:BYTE_3 src1_sel:DWORD
	s_mov_b64 s[4:5], 0
                                        ; implicit-def: $sgpr10
	s_and_saveexec_b64 s[8:9], s[6:7]
	s_xor_b64 s[6:7], exec, s[8:9]
	s_cbranch_execnz .LBB31_2361
; %bb.313:
	s_or_saveexec_b64 s[6:7], s[6:7]
	v_mov_b32_e32 v10, s10
	s_xor_b64 exec, exec, s[6:7]
	s_cbranch_execnz .LBB31_2364
.LBB31_314:
	s_or_b64 exec, exec, s[6:7]
	s_and_saveexec_b64 s[6:7], s[4:5]
	s_cbranch_execz .LBB31_316
.LBB31_315:
	v_bfe_u32 v10, v15, 24, 3
	v_ffbh_u32_e32 v22, v10
	v_min_u32_e32 v22, 32, v22
	v_lshrrev_b32_e32 v20, 27, v15
	v_subrev_u32_e32 v23, 28, v22
	v_and_b32_e32 v14, 0x80000000, v15
	v_and_b32_e32 v20, 15, v20
	v_bfe_u32 v21, v15, 27, 4
	v_lshlrev_b32_sdwa v15, v23, v15 dst_sel:DWORD dst_unused:UNUSED_PAD src0_sel:DWORD src1_sel:BYTE_3
	v_sub_u32_e32 v22, 29, v22
	v_and_b32_e32 v15, 7, v15
	v_cmp_eq_u16_e32 vcc, 0, v20
	v_cndmask_b32_e32 v10, v10, v15, vcc
	v_cndmask_b32_e32 v15, v21, v22, vcc
	v_mov_b32_e32 v20, 0x3b800000
	v_lshlrev_b32_e32 v10, 20, v10
	v_lshl_add_u32 v15, v15, 23, v20
	v_or3_b32 v10, v14, v15, v10
.LBB31_316:
	s_or_b64 exec, exec, s[6:7]
	s_movk_i32 s4, 0x7f
	v_cmp_gt_i16_sdwa s[6:7], v11, s4 src0_sel:BYTE_3 src1_sel:DWORD
	s_mov_b64 s[4:5], 0
                                        ; implicit-def: $sgpr10
	s_and_saveexec_b64 s[8:9], s[6:7]
	s_xor_b64 s[6:7], exec, s[8:9]
	s_cbranch_execnz .LBB31_2365
; %bb.317:
	s_or_saveexec_b64 s[6:7], s[6:7]
	v_mov_b32_e32 v14, s10
	s_xor_b64 exec, exec, s[6:7]
	s_cbranch_execnz .LBB31_2368
.LBB31_318:
	s_or_b64 exec, exec, s[6:7]
	s_and_saveexec_b64 s[6:7], s[4:5]
	s_cbranch_execz .LBB31_320
.LBB31_319:
	v_bfe_u32 v14, v11, 24, 3
	v_ffbh_u32_e32 v22, v14
	v_min_u32_e32 v22, 32, v22
	v_lshrrev_b32_e32 v20, 27, v11
	v_subrev_u32_e32 v23, 28, v22
	v_and_b32_e32 v15, 0x80000000, v11
	v_and_b32_e32 v20, 15, v20
	v_bfe_u32 v21, v11, 27, 4
	v_lshlrev_b32_sdwa v11, v23, v11 dst_sel:DWORD dst_unused:UNUSED_PAD src0_sel:DWORD src1_sel:BYTE_3
	v_sub_u32_e32 v22, 29, v22
	v_and_b32_e32 v11, 7, v11
	v_cmp_eq_u16_e32 vcc, 0, v20
	v_cndmask_b32_e32 v11, v14, v11, vcc
	v_cndmask_b32_e32 v14, v21, v22, vcc
	v_mov_b32_e32 v20, 0x3b800000
	v_lshlrev_b32_e32 v11, 20, v11
	v_lshl_add_u32 v14, v14, 23, v20
	v_or3_b32 v14, v15, v14, v11
.LBB31_320:
	s_or_b64 exec, exec, s[6:7]
	s_nop 0
	v_mfma_f32_16x16x4f32 a[0:3], v10, v14, a[0:3]
	s_movk_i32 s4, 0x7f
	v_cmp_gt_i16_sdwa s[6:7], v16, s4 src0_sel:BYTE_0 src1_sel:DWORD
	s_mov_b64 s[4:5], 0
                                        ; implicit-def: $sgpr10
	s_and_saveexec_b64 s[8:9], s[6:7]
	s_xor_b64 s[6:7], exec, s[8:9]
	s_cbranch_execnz .LBB31_2369
; %bb.321:
	s_or_saveexec_b64 s[6:7], s[6:7]
	v_mov_b32_e32 v10, s10
	s_xor_b64 exec, exec, s[6:7]
	s_cbranch_execnz .LBB31_2372
.LBB31_322:
	s_or_b64 exec, exec, s[6:7]
	s_and_saveexec_b64 s[6:7], s[4:5]
	s_cbranch_execz .LBB31_324
.LBB31_323:
	v_and_b32_e32 v10, 7, v16
	v_ffbh_u32_e32 v14, v10
	v_min_u32_e32 v14, 32, v14
	v_lshrrev_b16_e32 v11, 3, v16
	v_subrev_u32_e32 v15, 28, v14
	v_and_b32_e32 v11, 15, v11
	v_lshlrev_b32_e32 v15, v15, v16
	v_sub_u32_e32 v14, 29, v14
	v_and_b32_e32 v15, 7, v15
	v_cmp_eq_u16_e32 vcc, 0, v11
	v_cndmask_b32_e32 v10, v10, v15, vcc
	v_cndmask_b32_e32 v11, v11, v14, vcc
	v_lshlrev_b32_e32 v14, 24, v16
	v_mov_b32_e32 v15, 0x3b800000
	v_lshlrev_b32_e32 v10, 20, v10
	v_and_b32_e32 v14, 0x80000000, v14
	v_lshl_add_u32 v11, v11, 23, v15
	v_or3_b32 v10, v14, v11, v10
.LBB31_324:
	s_or_b64 exec, exec, s[6:7]
	s_movk_i32 s4, 0x7f
	v_cmp_gt_i16_sdwa s[6:7], v12, s4 src0_sel:BYTE_0 src1_sel:DWORD
	s_mov_b64 s[4:5], 0
                                        ; implicit-def: $sgpr10
	s_and_saveexec_b64 s[8:9], s[6:7]
	s_xor_b64 s[6:7], exec, s[8:9]
	s_cbranch_execnz .LBB31_2373
; %bb.325:
	s_or_saveexec_b64 s[6:7], s[6:7]
	v_mov_b32_e32 v11, s10
	s_xor_b64 exec, exec, s[6:7]
	s_cbranch_execnz .LBB31_2376
.LBB31_326:
	s_or_b64 exec, exec, s[6:7]
	s_and_saveexec_b64 s[6:7], s[4:5]
	s_cbranch_execz .LBB31_328
.LBB31_327:
	v_and_b32_e32 v11, 7, v12
	v_ffbh_u32_e32 v15, v11
	v_min_u32_e32 v15, 32, v15
	v_lshrrev_b16_e32 v14, 3, v12
	v_subrev_u32_e32 v20, 28, v15
	v_and_b32_e32 v14, 15, v14
	v_lshlrev_b32_e32 v20, v20, v12
	v_sub_u32_e32 v15, 29, v15
	v_and_b32_e32 v20, 7, v20
	v_cmp_eq_u16_e32 vcc, 0, v14
	v_cndmask_b32_e32 v11, v11, v20, vcc
	v_cndmask_b32_e32 v14, v14, v15, vcc
	v_lshlrev_b32_e32 v15, 24, v12
	v_mov_b32_e32 v20, 0x3b800000
	v_lshlrev_b32_e32 v11, 20, v11
	v_and_b32_e32 v15, 0x80000000, v15
	v_lshl_add_u32 v14, v14, 23, v20
	v_or3_b32 v11, v15, v14, v11
.LBB31_328:
	s_or_b64 exec, exec, s[6:7]
	s_nop 0
	v_mfma_f32_16x16x4f32 a[0:3], v10, v11, a[0:3]
	v_lshrrev_b32_e32 v11, 8, v16
	s_movk_i32 s4, 0x7f
	v_cmp_gt_i16_sdwa s[6:7], v11, s4 src0_sel:BYTE_0 src1_sel:DWORD
	s_mov_b64 s[4:5], 0
                                        ; implicit-def: $sgpr10
	s_and_saveexec_b64 s[8:9], s[6:7]
	s_xor_b64 s[6:7], exec, s[8:9]
	s_cbranch_execnz .LBB31_2377
; %bb.329:
	s_or_saveexec_b64 s[6:7], s[6:7]
	v_mov_b32_e32 v10, s10
	s_xor_b64 exec, exec, s[6:7]
	s_cbranch_execnz .LBB31_2380
.LBB31_330:
	s_or_b64 exec, exec, s[6:7]
	s_and_saveexec_b64 s[6:7], s[4:5]
	s_cbranch_execz .LBB31_332
.LBB31_331:
	v_bfe_u32 v10, v16, 8, 3
	v_ffbh_u32_e32 v15, v10
	v_min_u32_e32 v15, 32, v15
	v_lshrrev_b16_e32 v14, 3, v11
	v_subrev_u32_e32 v20, 28, v15
	v_and_b32_e32 v14, 15, v14
	v_lshlrev_b32_e32 v11, v20, v11
	v_sub_u32_e32 v15, 29, v15
	v_and_b32_e32 v11, 7, v11
	v_cmp_eq_u16_e32 vcc, 0, v14
	v_cndmask_b32_e32 v10, v10, v11, vcc
	v_cndmask_b32_e32 v11, v14, v15, vcc
	v_lshlrev_b32_e32 v14, 16, v16
	v_mov_b32_e32 v15, 0x3b800000
	v_lshlrev_b32_e32 v10, 20, v10
	v_and_b32_e32 v14, 0x80000000, v14
	v_lshl_add_u32 v11, v11, 23, v15
	v_or3_b32 v10, v14, v11, v10
.LBB31_332:
	s_or_b64 exec, exec, s[6:7]
	v_lshrrev_b32_e32 v11, 8, v12
	s_movk_i32 s4, 0x7f
	v_cmp_gt_i16_sdwa s[6:7], v11, s4 src0_sel:BYTE_0 src1_sel:DWORD
	s_mov_b64 s[4:5], 0
                                        ; implicit-def: $sgpr10
	s_and_saveexec_b64 s[8:9], s[6:7]
	s_xor_b64 s[6:7], exec, s[8:9]
	s_cbranch_execnz .LBB31_2381
; %bb.333:
	s_or_saveexec_b64 s[6:7], s[6:7]
	v_mov_b32_e32 v14, s10
	s_xor_b64 exec, exec, s[6:7]
	s_cbranch_execnz .LBB31_2384
.LBB31_334:
	s_or_b64 exec, exec, s[6:7]
	s_and_saveexec_b64 s[6:7], s[4:5]
	s_cbranch_execz .LBB31_336
.LBB31_335:
	v_bfe_u32 v14, v12, 8, 3
	v_ffbh_u32_e32 v20, v14
	v_min_u32_e32 v20, 32, v20
	v_lshrrev_b16_e32 v15, 3, v11
	v_subrev_u32_e32 v21, 28, v20
	v_and_b32_e32 v15, 15, v15
	v_lshlrev_b32_e32 v11, v21, v11
	v_sub_u32_e32 v20, 29, v20
	v_and_b32_e32 v11, 7, v11
	v_cmp_eq_u16_e32 vcc, 0, v15
	v_cndmask_b32_e32 v11, v14, v11, vcc
	v_cndmask_b32_e32 v14, v15, v20, vcc
	v_lshlrev_b32_e32 v15, 16, v12
	v_mov_b32_e32 v20, 0x3b800000
	v_lshlrev_b32_e32 v11, 20, v11
	v_and_b32_e32 v15, 0x80000000, v15
	v_lshl_add_u32 v14, v14, 23, v20
	v_or3_b32 v14, v15, v14, v11
.LBB31_336:
	s_or_b64 exec, exec, s[6:7]
	s_nop 0
	v_mfma_f32_16x16x4f32 a[0:3], v10, v14, a[0:3]
	s_movk_i32 s4, 0xff
	v_and_b32_sdwa v11, v16, s4 dst_sel:DWORD dst_unused:UNUSED_PAD src0_sel:WORD_1 src1_sel:DWORD
	s_movk_i32 s4, 0x7f
	v_cmp_lt_i16_e32 vcc, s4, v11
	s_mov_b64 s[4:5], 0
                                        ; implicit-def: $sgpr10
	s_and_saveexec_b64 s[6:7], vcc
	s_xor_b64 s[6:7], exec, s[6:7]
	s_cbranch_execnz .LBB31_2385
; %bb.337:
	s_or_saveexec_b64 s[6:7], s[6:7]
	v_mov_b32_e32 v10, s10
	s_xor_b64 exec, exec, s[6:7]
	s_cbranch_execnz .LBB31_2388
.LBB31_338:
	s_or_b64 exec, exec, s[6:7]
	s_and_saveexec_b64 s[6:7], s[4:5]
	s_cbranch_execz .LBB31_340
.LBB31_339:
	v_bfe_u32 v10, v16, 16, 3
	v_ffbh_u32_e32 v15, v10
	v_min_u32_e32 v15, 32, v15
	v_lshrrev_b32_e32 v11, 19, v16
	v_subrev_u32_e32 v20, 28, v15
	v_and_b32_e32 v11, 15, v11
	v_lshlrev_b32_sdwa v20, v20, v16 dst_sel:DWORD dst_unused:UNUSED_PAD src0_sel:DWORD src1_sel:WORD_1
	v_bfe_u32 v14, v16, 19, 4
	v_sub_u32_e32 v15, 29, v15
	v_and_b32_e32 v20, 7, v20
	v_cmp_eq_u16_e32 vcc, 0, v11
	v_cndmask_b32_e32 v10, v10, v20, vcc
	v_cndmask_b32_e32 v11, v14, v15, vcc
	v_lshlrev_b32_e32 v14, 8, v16
	v_mov_b32_e32 v15, 0x3b800000
	v_lshlrev_b32_e32 v10, 20, v10
	v_and_b32_e32 v14, 0x80000000, v14
	v_lshl_add_u32 v11, v11, 23, v15
	v_or3_b32 v10, v14, v11, v10
.LBB31_340:
	s_or_b64 exec, exec, s[6:7]
	s_movk_i32 s4, 0xff
	v_and_b32_sdwa v11, v12, s4 dst_sel:DWORD dst_unused:UNUSED_PAD src0_sel:WORD_1 src1_sel:DWORD
	s_movk_i32 s4, 0x7f
	v_cmp_lt_i16_e32 vcc, s4, v11
	s_mov_b64 s[4:5], 0
                                        ; implicit-def: $sgpr10
	s_and_saveexec_b64 s[6:7], vcc
	s_xor_b64 s[6:7], exec, s[6:7]
	s_cbranch_execnz .LBB31_2389
; %bb.341:
	s_or_saveexec_b64 s[6:7], s[6:7]
	v_mov_b32_e32 v14, s10
	s_xor_b64 exec, exec, s[6:7]
	s_cbranch_execnz .LBB31_2392
.LBB31_342:
	s_or_b64 exec, exec, s[6:7]
	s_and_saveexec_b64 s[6:7], s[4:5]
	s_cbranch_execz .LBB31_344
.LBB31_343:
	v_bfe_u32 v11, v12, 16, 3
	v_ffbh_u32_e32 v20, v11
	v_min_u32_e32 v20, 32, v20
	v_lshrrev_b32_e32 v14, 19, v12
	v_subrev_u32_e32 v21, 28, v20
	v_and_b32_e32 v14, 15, v14
	v_lshlrev_b32_sdwa v21, v21, v12 dst_sel:DWORD dst_unused:UNUSED_PAD src0_sel:DWORD src1_sel:WORD_1
	v_bfe_u32 v15, v12, 19, 4
	v_sub_u32_e32 v20, 29, v20
	v_and_b32_e32 v21, 7, v21
	v_cmp_eq_u16_e32 vcc, 0, v14
	v_cndmask_b32_e32 v11, v11, v21, vcc
	v_cndmask_b32_e32 v14, v15, v20, vcc
	v_lshlrev_b32_e32 v15, 8, v12
	v_mov_b32_e32 v20, 0x3b800000
	v_lshlrev_b32_e32 v11, 20, v11
	v_and_b32_e32 v15, 0x80000000, v15
	v_lshl_add_u32 v14, v14, 23, v20
	v_or3_b32 v14, v15, v14, v11
.LBB31_344:
	s_or_b64 exec, exec, s[6:7]
	s_nop 0
	v_mfma_f32_16x16x4f32 a[0:3], v10, v14, a[0:3]
	s_movk_i32 s4, 0x7f
	v_cmp_gt_i16_sdwa s[6:7], v16, s4 src0_sel:BYTE_3 src1_sel:DWORD
	s_mov_b64 s[4:5], 0
                                        ; implicit-def: $sgpr10
	s_and_saveexec_b64 s[8:9], s[6:7]
	s_xor_b64 s[6:7], exec, s[8:9]
	s_cbranch_execnz .LBB31_2393
; %bb.345:
	s_or_saveexec_b64 s[6:7], s[6:7]
	v_mov_b32_e32 v10, s10
	s_xor_b64 exec, exec, s[6:7]
	s_cbranch_execnz .LBB31_2396
.LBB31_346:
	s_or_b64 exec, exec, s[6:7]
	s_and_saveexec_b64 s[6:7], s[4:5]
	s_cbranch_execz .LBB31_348
.LBB31_347:
	v_bfe_u32 v10, v16, 24, 3
	v_ffbh_u32_e32 v20, v10
	v_min_u32_e32 v20, 32, v20
	v_lshrrev_b32_e32 v14, 27, v16
	v_subrev_u32_e32 v21, 28, v20
	v_and_b32_e32 v11, 0x80000000, v16
	v_and_b32_e32 v14, 15, v14
	v_bfe_u32 v15, v16, 27, 4
	v_lshlrev_b32_sdwa v16, v21, v16 dst_sel:DWORD dst_unused:UNUSED_PAD src0_sel:DWORD src1_sel:BYTE_3
	v_sub_u32_e32 v20, 29, v20
	v_and_b32_e32 v16, 7, v16
	v_cmp_eq_u16_e32 vcc, 0, v14
	v_cndmask_b32_e32 v10, v10, v16, vcc
	v_cndmask_b32_e32 v14, v15, v20, vcc
	v_mov_b32_e32 v15, 0x3b800000
	v_lshlrev_b32_e32 v10, 20, v10
	v_lshl_add_u32 v14, v14, 23, v15
	v_or3_b32 v10, v11, v14, v10
.LBB31_348:
	s_or_b64 exec, exec, s[6:7]
	s_movk_i32 s4, 0x7f
	v_cmp_gt_i16_sdwa s[6:7], v12, s4 src0_sel:BYTE_3 src1_sel:DWORD
	s_mov_b64 s[4:5], 0
                                        ; implicit-def: $sgpr10
	s_and_saveexec_b64 s[8:9], s[6:7]
	s_xor_b64 s[6:7], exec, s[8:9]
	s_cbranch_execnz .LBB31_2397
; %bb.349:
	s_or_saveexec_b64 s[6:7], s[6:7]
	v_mov_b32_e32 v11, s10
	s_xor_b64 exec, exec, s[6:7]
	s_cbranch_execnz .LBB31_2400
.LBB31_350:
	s_or_b64 exec, exec, s[6:7]
	s_and_saveexec_b64 s[6:7], s[4:5]
	s_cbranch_execz .LBB31_352
.LBB31_351:
	v_bfe_u32 v11, v12, 24, 3
	v_ffbh_u32_e32 v20, v11
	v_min_u32_e32 v20, 32, v20
	v_lshrrev_b32_e32 v15, 27, v12
	v_subrev_u32_e32 v21, 28, v20
	v_and_b32_e32 v14, 0x80000000, v12
	v_and_b32_e32 v15, 15, v15
	v_bfe_u32 v16, v12, 27, 4
	v_lshlrev_b32_sdwa v12, v21, v12 dst_sel:DWORD dst_unused:UNUSED_PAD src0_sel:DWORD src1_sel:BYTE_3
	v_sub_u32_e32 v20, 29, v20
	v_and_b32_e32 v12, 7, v12
	v_cmp_eq_u16_e32 vcc, 0, v15
	v_cndmask_b32_e32 v11, v11, v12, vcc
	v_cndmask_b32_e32 v12, v16, v20, vcc
	v_mov_b32_e32 v15, 0x3b800000
	v_lshlrev_b32_e32 v11, 20, v11
	v_lshl_add_u32 v12, v12, 23, v15
	v_or3_b32 v11, v14, v12, v11
.LBB31_352:
	s_or_b64 exec, exec, s[6:7]
	s_nop 0
	v_mfma_f32_16x16x4f32 a[0:3], v10, v11, a[0:3]
	s_movk_i32 s4, 0x7f
	v_cmp_gt_i16_sdwa s[6:7], v17, s4 src0_sel:BYTE_0 src1_sel:DWORD
	s_mov_b64 s[4:5], 0
                                        ; implicit-def: $sgpr10
	s_and_saveexec_b64 s[8:9], s[6:7]
	s_xor_b64 s[6:7], exec, s[8:9]
	s_cbranch_execnz .LBB31_2401
; %bb.353:
	s_or_saveexec_b64 s[6:7], s[6:7]
	v_mov_b32_e32 v10, s10
	s_xor_b64 exec, exec, s[6:7]
	s_cbranch_execnz .LBB31_2404
.LBB31_354:
	s_or_b64 exec, exec, s[6:7]
	s_and_saveexec_b64 s[6:7], s[4:5]
	s_cbranch_execz .LBB31_356
.LBB31_355:
	v_and_b32_e32 v10, 7, v17
	v_ffbh_u32_e32 v12, v10
	v_min_u32_e32 v12, 32, v12
	v_lshrrev_b16_e32 v11, 3, v17
	v_subrev_u32_e32 v14, 28, v12
	v_and_b32_e32 v11, 15, v11
	v_lshlrev_b32_e32 v14, v14, v17
	v_sub_u32_e32 v12, 29, v12
	v_and_b32_e32 v14, 7, v14
	v_cmp_eq_u16_e32 vcc, 0, v11
	v_cndmask_b32_e32 v10, v10, v14, vcc
	v_cndmask_b32_e32 v11, v11, v12, vcc
	v_lshlrev_b32_e32 v12, 24, v17
	v_mov_b32_e32 v14, 0x3b800000
	v_lshlrev_b32_e32 v10, 20, v10
	v_and_b32_e32 v12, 0x80000000, v12
	v_lshl_add_u32 v11, v11, 23, v14
	v_or3_b32 v10, v12, v11, v10
.LBB31_356:
	s_or_b64 exec, exec, s[6:7]
	s_movk_i32 s4, 0x7f
	v_cmp_gt_i16_sdwa s[6:7], v13, s4 src0_sel:BYTE_0 src1_sel:DWORD
	s_mov_b64 s[4:5], 0
                                        ; implicit-def: $sgpr10
	s_and_saveexec_b64 s[8:9], s[6:7]
	s_xor_b64 s[6:7], exec, s[8:9]
	s_cbranch_execnz .LBB31_2405
; %bb.357:
	s_or_saveexec_b64 s[6:7], s[6:7]
	v_mov_b32_e32 v11, s10
	s_xor_b64 exec, exec, s[6:7]
	s_cbranch_execnz .LBB31_2408
.LBB31_358:
	s_or_b64 exec, exec, s[6:7]
	s_and_saveexec_b64 s[6:7], s[4:5]
	s_cbranch_execz .LBB31_360
.LBB31_359:
	v_and_b32_e32 v11, 7, v13
	v_ffbh_u32_e32 v14, v11
	v_min_u32_e32 v14, 32, v14
	v_lshrrev_b16_e32 v12, 3, v13
	v_subrev_u32_e32 v15, 28, v14
	v_and_b32_e32 v12, 15, v12
	v_lshlrev_b32_e32 v15, v15, v13
	v_sub_u32_e32 v14, 29, v14
	v_and_b32_e32 v15, 7, v15
	v_cmp_eq_u16_e32 vcc, 0, v12
	v_cndmask_b32_e32 v11, v11, v15, vcc
	v_cndmask_b32_e32 v12, v12, v14, vcc
	v_lshlrev_b32_e32 v14, 24, v13
	v_mov_b32_e32 v15, 0x3b800000
	v_lshlrev_b32_e32 v11, 20, v11
	v_and_b32_e32 v14, 0x80000000, v14
	v_lshl_add_u32 v12, v12, 23, v15
	v_or3_b32 v11, v14, v12, v11
.LBB31_360:
	s_or_b64 exec, exec, s[6:7]
	s_nop 0
	v_mfma_f32_16x16x4f32 a[0:3], v10, v11, a[0:3]
	v_lshrrev_b32_e32 v11, 8, v17
	s_movk_i32 s4, 0x7f
	v_cmp_gt_i16_sdwa s[6:7], v11, s4 src0_sel:BYTE_0 src1_sel:DWORD
	s_mov_b64 s[4:5], 0
                                        ; implicit-def: $sgpr10
	s_and_saveexec_b64 s[8:9], s[6:7]
	s_xor_b64 s[6:7], exec, s[8:9]
	s_cbranch_execnz .LBB31_2409
; %bb.361:
	s_or_saveexec_b64 s[6:7], s[6:7]
	v_mov_b32_e32 v10, s10
	s_xor_b64 exec, exec, s[6:7]
	s_cbranch_execnz .LBB31_2412
.LBB31_362:
	s_or_b64 exec, exec, s[6:7]
	s_and_saveexec_b64 s[6:7], s[4:5]
	s_cbranch_execz .LBB31_364
.LBB31_363:
	v_bfe_u32 v10, v17, 8, 3
	v_ffbh_u32_e32 v14, v10
	v_min_u32_e32 v14, 32, v14
	v_lshrrev_b16_e32 v12, 3, v11
	v_subrev_u32_e32 v15, 28, v14
	v_and_b32_e32 v12, 15, v12
	v_lshlrev_b32_e32 v11, v15, v11
	v_sub_u32_e32 v14, 29, v14
	v_and_b32_e32 v11, 7, v11
	v_cmp_eq_u16_e32 vcc, 0, v12
	v_cndmask_b32_e32 v10, v10, v11, vcc
	v_cndmask_b32_e32 v11, v12, v14, vcc
	v_lshlrev_b32_e32 v12, 16, v17
	v_mov_b32_e32 v14, 0x3b800000
	v_lshlrev_b32_e32 v10, 20, v10
	v_and_b32_e32 v12, 0x80000000, v12
	v_lshl_add_u32 v11, v11, 23, v14
	v_or3_b32 v10, v12, v11, v10
.LBB31_364:
	s_or_b64 exec, exec, s[6:7]
	v_lshrrev_b32_e32 v11, 8, v13
	s_movk_i32 s4, 0x7f
	v_cmp_gt_i16_sdwa s[6:7], v11, s4 src0_sel:BYTE_0 src1_sel:DWORD
	s_mov_b64 s[4:5], 0
                                        ; implicit-def: $sgpr10
	s_and_saveexec_b64 s[8:9], s[6:7]
	s_xor_b64 s[6:7], exec, s[8:9]
	s_cbranch_execnz .LBB31_2413
; %bb.365:
	s_or_saveexec_b64 s[6:7], s[6:7]
	v_mov_b32_e32 v12, s10
	s_xor_b64 exec, exec, s[6:7]
	s_cbranch_execnz .LBB31_2416
.LBB31_366:
	s_or_b64 exec, exec, s[6:7]
	s_and_saveexec_b64 s[6:7], s[4:5]
	s_cbranch_execz .LBB31_368
.LBB31_367:
	v_bfe_u32 v12, v13, 8, 3
	v_ffbh_u32_e32 v15, v12
	v_min_u32_e32 v15, 32, v15
	v_lshrrev_b16_e32 v14, 3, v11
	v_subrev_u32_e32 v16, 28, v15
	v_and_b32_e32 v14, 15, v14
	v_lshlrev_b32_e32 v11, v16, v11
	v_sub_u32_e32 v15, 29, v15
	v_and_b32_e32 v11, 7, v11
	v_cmp_eq_u16_e32 vcc, 0, v14
	v_cndmask_b32_e32 v11, v12, v11, vcc
	v_cndmask_b32_e32 v12, v14, v15, vcc
	v_lshlrev_b32_e32 v14, 16, v13
	v_mov_b32_e32 v15, 0x3b800000
	v_lshlrev_b32_e32 v11, 20, v11
	v_and_b32_e32 v14, 0x80000000, v14
	v_lshl_add_u32 v12, v12, 23, v15
	v_or3_b32 v12, v14, v12, v11
.LBB31_368:
	s_or_b64 exec, exec, s[6:7]
	s_nop 0
	v_mfma_f32_16x16x4f32 a[0:3], v10, v12, a[0:3]
	s_movk_i32 s4, 0xff
	v_and_b32_sdwa v11, v17, s4 dst_sel:DWORD dst_unused:UNUSED_PAD src0_sel:WORD_1 src1_sel:DWORD
	s_movk_i32 s4, 0x7f
	v_cmp_lt_i16_e32 vcc, s4, v11
	s_mov_b64 s[4:5], 0
                                        ; implicit-def: $sgpr10
	s_and_saveexec_b64 s[6:7], vcc
	s_xor_b64 s[6:7], exec, s[6:7]
	s_cbranch_execnz .LBB31_2417
; %bb.369:
	s_or_saveexec_b64 s[6:7], s[6:7]
	v_mov_b32_e32 v10, s10
	s_xor_b64 exec, exec, s[6:7]
	s_cbranch_execnz .LBB31_2420
.LBB31_370:
	s_or_b64 exec, exec, s[6:7]
	s_and_saveexec_b64 s[6:7], s[4:5]
	s_cbranch_execz .LBB31_372
.LBB31_371:
	v_bfe_u32 v10, v17, 16, 3
	v_ffbh_u32_e32 v14, v10
	v_min_u32_e32 v14, 32, v14
	v_lshrrev_b32_e32 v11, 19, v17
	v_subrev_u32_e32 v15, 28, v14
	v_and_b32_e32 v11, 15, v11
	v_lshlrev_b32_sdwa v15, v15, v17 dst_sel:DWORD dst_unused:UNUSED_PAD src0_sel:DWORD src1_sel:WORD_1
	v_bfe_u32 v12, v17, 19, 4
	v_sub_u32_e32 v14, 29, v14
	v_and_b32_e32 v15, 7, v15
	v_cmp_eq_u16_e32 vcc, 0, v11
	v_cndmask_b32_e32 v10, v10, v15, vcc
	v_cndmask_b32_e32 v11, v12, v14, vcc
	v_lshlrev_b32_e32 v12, 8, v17
	v_mov_b32_e32 v14, 0x3b800000
	v_lshlrev_b32_e32 v10, 20, v10
	v_and_b32_e32 v12, 0x80000000, v12
	v_lshl_add_u32 v11, v11, 23, v14
	v_or3_b32 v10, v12, v11, v10
.LBB31_372:
	s_or_b64 exec, exec, s[6:7]
	s_movk_i32 s4, 0xff
	v_and_b32_sdwa v11, v13, s4 dst_sel:DWORD dst_unused:UNUSED_PAD src0_sel:WORD_1 src1_sel:DWORD
	s_movk_i32 s4, 0x7f
	v_cmp_lt_i16_e32 vcc, s4, v11
	s_mov_b64 s[4:5], 0
                                        ; implicit-def: $sgpr10
	s_and_saveexec_b64 s[6:7], vcc
	s_xor_b64 s[6:7], exec, s[6:7]
	s_cbranch_execnz .LBB31_2421
; %bb.373:
	s_or_saveexec_b64 s[6:7], s[6:7]
	v_mov_b32_e32 v12, s10
	s_xor_b64 exec, exec, s[6:7]
	s_cbranch_execnz .LBB31_2424
.LBB31_374:
	s_or_b64 exec, exec, s[6:7]
	s_and_saveexec_b64 s[6:7], s[4:5]
	s_cbranch_execz .LBB31_376
.LBB31_375:
	v_bfe_u32 v11, v13, 16, 3
	v_ffbh_u32_e32 v15, v11
	v_min_u32_e32 v15, 32, v15
	v_lshrrev_b32_e32 v12, 19, v13
	v_subrev_u32_e32 v16, 28, v15
	v_and_b32_e32 v12, 15, v12
	v_lshlrev_b32_sdwa v16, v16, v13 dst_sel:DWORD dst_unused:UNUSED_PAD src0_sel:DWORD src1_sel:WORD_1
	v_bfe_u32 v14, v13, 19, 4
	v_sub_u32_e32 v15, 29, v15
	v_and_b32_e32 v16, 7, v16
	v_cmp_eq_u16_e32 vcc, 0, v12
	v_cndmask_b32_e32 v11, v11, v16, vcc
	v_cndmask_b32_e32 v12, v14, v15, vcc
	v_lshlrev_b32_e32 v14, 8, v13
	v_mov_b32_e32 v15, 0x3b800000
	v_lshlrev_b32_e32 v11, 20, v11
	v_and_b32_e32 v14, 0x80000000, v14
	v_lshl_add_u32 v12, v12, 23, v15
	v_or3_b32 v12, v14, v12, v11
.LBB31_376:
	s_or_b64 exec, exec, s[6:7]
	s_nop 0
	v_mfma_f32_16x16x4f32 a[0:3], v10, v12, a[0:3]
	s_movk_i32 s4, 0x7f
	v_cmp_gt_i16_sdwa s[6:7], v17, s4 src0_sel:BYTE_3 src1_sel:DWORD
	s_mov_b64 s[4:5], 0
                                        ; implicit-def: $sgpr10
	s_and_saveexec_b64 s[8:9], s[6:7]
	s_xor_b64 s[6:7], exec, s[8:9]
	s_cbranch_execnz .LBB31_2425
; %bb.377:
	s_or_saveexec_b64 s[6:7], s[6:7]
	v_mov_b32_e32 v10, s10
	s_xor_b64 exec, exec, s[6:7]
	s_cbranch_execnz .LBB31_2428
.LBB31_378:
	s_or_b64 exec, exec, s[6:7]
	s_and_saveexec_b64 s[6:7], s[4:5]
	s_cbranch_execz .LBB31_380
.LBB31_379:
	v_bfe_u32 v10, v17, 24, 3
	v_ffbh_u32_e32 v15, v10
	v_min_u32_e32 v15, 32, v15
	v_lshrrev_b32_e32 v12, 27, v17
	v_subrev_u32_e32 v16, 28, v15
	v_and_b32_e32 v12, 15, v12
	v_lshlrev_b32_sdwa v16, v16, v17 dst_sel:DWORD dst_unused:UNUSED_PAD src0_sel:DWORD src1_sel:BYTE_3
	v_bfe_u32 v14, v17, 27, 4
	v_sub_u32_e32 v15, 29, v15
	v_and_b32_e32 v16, 7, v16
	v_cmp_eq_u16_e32 vcc, 0, v12
	v_cndmask_b32_e32 v10, v10, v16, vcc
	v_cndmask_b32_e32 v12, v14, v15, vcc
	v_mov_b32_e32 v14, 0x3b800000
	v_and_b32_e32 v11, 0x80000000, v17
	v_lshlrev_b32_e32 v10, 20, v10
	v_lshl_add_u32 v12, v12, 23, v14
	v_or3_b32 v10, v11, v12, v10
.LBB31_380:
	s_or_b64 exec, exec, s[6:7]
	s_movk_i32 s4, 0x7f
	v_cmp_gt_i16_sdwa s[6:7], v13, s4 src0_sel:BYTE_3 src1_sel:DWORD
	s_mov_b64 s[4:5], 0
                                        ; implicit-def: $sgpr10
	s_and_saveexec_b64 s[8:9], s[6:7]
	s_xor_b64 s[6:7], exec, s[8:9]
	s_cbranch_execnz .LBB31_2429
; %bb.381:
	s_or_saveexec_b64 s[6:7], s[6:7]
	v_mov_b32_e32 v11, s10
	s_xor_b64 exec, exec, s[6:7]
	s_cbranch_execnz .LBB31_2432
.LBB31_382:
	s_or_b64 exec, exec, s[6:7]
	s_and_saveexec_b64 s[6:7], s[4:5]
	s_cbranch_execz .LBB31_384
.LBB31_383:
	v_bfe_u32 v11, v13, 24, 3
	v_ffbh_u32_e32 v16, v11
	v_min_u32_e32 v16, 32, v16
	v_lshrrev_b32_e32 v14, 27, v13
	v_subrev_u32_e32 v17, 28, v16
	v_and_b32_e32 v12, 0x80000000, v13
	v_and_b32_e32 v14, 15, v14
	v_bfe_u32 v15, v13, 27, 4
	v_lshlrev_b32_sdwa v13, v17, v13 dst_sel:DWORD dst_unused:UNUSED_PAD src0_sel:DWORD src1_sel:BYTE_3
	v_sub_u32_e32 v16, 29, v16
	v_and_b32_e32 v13, 7, v13
	v_cmp_eq_u16_e32 vcc, 0, v14
	v_cndmask_b32_e32 v11, v11, v13, vcc
	v_cndmask_b32_e32 v13, v15, v16, vcc
	v_mov_b32_e32 v14, 0x3b800000
	v_lshlrev_b32_e32 v11, 20, v11
	v_lshl_add_u32 v13, v13, 23, v14
	v_or3_b32 v11, v12, v13, v11
.LBB31_384:
	s_or_b64 exec, exec, s[6:7]
	s_nop 0
	v_mfma_f32_16x16x4f32 a[0:3], v10, v11, a[0:3]
	s_movk_i32 s4, 0x7f
	v_cmp_gt_i16_sdwa s[6:7], v6, s4 src0_sel:BYTE_0 src1_sel:DWORD
	s_mov_b64 s[4:5], 0
                                        ; implicit-def: $sgpr10
	s_and_saveexec_b64 s[8:9], s[6:7]
	s_xor_b64 s[6:7], exec, s[8:9]
	s_cbranch_execnz .LBB31_2433
; %bb.385:
	s_or_saveexec_b64 s[6:7], s[6:7]
	v_mov_b32_e32 v10, s10
	s_xor_b64 exec, exec, s[6:7]
	s_cbranch_execnz .LBB31_2436
.LBB31_386:
	s_or_b64 exec, exec, s[6:7]
	s_and_saveexec_b64 s[6:7], s[4:5]
	s_cbranch_execz .LBB31_388
.LBB31_387:
	v_and_b32_e32 v10, 7, v6
	v_ffbh_u32_e32 v12, v10
	v_min_u32_e32 v12, 32, v12
	v_lshrrev_b16_e32 v11, 3, v6
	v_subrev_u32_e32 v13, 28, v12
	v_and_b32_e32 v11, 15, v11
	v_lshlrev_b32_e32 v13, v13, v6
	v_sub_u32_e32 v12, 29, v12
	v_and_b32_e32 v13, 7, v13
	v_cmp_eq_u16_e32 vcc, 0, v11
	v_cndmask_b32_e32 v10, v10, v13, vcc
	v_cndmask_b32_e32 v11, v11, v12, vcc
	v_lshlrev_b32_e32 v12, 24, v6
	v_mov_b32_e32 v13, 0x3b800000
	v_lshlrev_b32_e32 v10, 20, v10
	v_and_b32_e32 v12, 0x80000000, v12
	v_lshl_add_u32 v11, v11, 23, v13
	v_or3_b32 v10, v12, v11, v10
.LBB31_388:
	s_or_b64 exec, exec, s[6:7]
	s_movk_i32 s4, 0x7f
	v_cmp_gt_i16_sdwa s[6:7], v2, s4 src0_sel:BYTE_0 src1_sel:DWORD
	s_mov_b64 s[4:5], 0
                                        ; implicit-def: $sgpr10
	s_and_saveexec_b64 s[8:9], s[6:7]
	s_xor_b64 s[6:7], exec, s[8:9]
	s_cbranch_execnz .LBB31_2437
; %bb.389:
	s_or_saveexec_b64 s[6:7], s[6:7]
	v_mov_b32_e32 v11, s10
	s_xor_b64 exec, exec, s[6:7]
	s_cbranch_execnz .LBB31_2440
.LBB31_390:
	s_or_b64 exec, exec, s[6:7]
	s_and_saveexec_b64 s[6:7], s[4:5]
	s_cbranch_execz .LBB31_392
.LBB31_391:
	v_and_b32_e32 v11, 7, v2
	v_ffbh_u32_e32 v13, v11
	v_min_u32_e32 v13, 32, v13
	v_lshrrev_b16_e32 v12, 3, v2
	v_subrev_u32_e32 v14, 28, v13
	v_and_b32_e32 v12, 15, v12
	v_lshlrev_b32_e32 v14, v14, v2
	v_sub_u32_e32 v13, 29, v13
	v_and_b32_e32 v14, 7, v14
	v_cmp_eq_u16_e32 vcc, 0, v12
	v_cndmask_b32_e32 v11, v11, v14, vcc
	v_cndmask_b32_e32 v12, v12, v13, vcc
	v_lshlrev_b32_e32 v13, 24, v2
	v_mov_b32_e32 v14, 0x3b800000
	v_lshlrev_b32_e32 v11, 20, v11
	v_and_b32_e32 v13, 0x80000000, v13
	v_lshl_add_u32 v12, v12, 23, v14
	v_or3_b32 v11, v13, v12, v11
.LBB31_392:
	s_or_b64 exec, exec, s[6:7]
	s_nop 0
	v_mfma_f32_16x16x4f32 a[0:3], v10, v11, a[0:3]
	v_lshrrev_b32_e32 v11, 8, v6
	s_movk_i32 s4, 0x7f
	v_cmp_gt_i16_sdwa s[6:7], v11, s4 src0_sel:BYTE_0 src1_sel:DWORD
	s_mov_b64 s[4:5], 0
                                        ; implicit-def: $sgpr10
	s_and_saveexec_b64 s[8:9], s[6:7]
	s_xor_b64 s[6:7], exec, s[8:9]
	s_cbranch_execnz .LBB31_2441
; %bb.393:
	s_or_saveexec_b64 s[6:7], s[6:7]
	v_mov_b32_e32 v10, s10
	s_xor_b64 exec, exec, s[6:7]
	s_cbranch_execnz .LBB31_2444
.LBB31_394:
	s_or_b64 exec, exec, s[6:7]
	s_and_saveexec_b64 s[6:7], s[4:5]
	s_cbranch_execz .LBB31_396
.LBB31_395:
	v_bfe_u32 v10, v6, 8, 3
	v_ffbh_u32_e32 v13, v10
	v_min_u32_e32 v13, 32, v13
	v_lshrrev_b16_e32 v12, 3, v11
	v_subrev_u32_e32 v14, 28, v13
	v_and_b32_e32 v12, 15, v12
	v_lshlrev_b32_e32 v11, v14, v11
	v_sub_u32_e32 v13, 29, v13
	v_and_b32_e32 v11, 7, v11
	v_cmp_eq_u16_e32 vcc, 0, v12
	v_cndmask_b32_e32 v10, v10, v11, vcc
	v_cndmask_b32_e32 v11, v12, v13, vcc
	v_lshlrev_b32_e32 v12, 16, v6
	v_mov_b32_e32 v13, 0x3b800000
	v_lshlrev_b32_e32 v10, 20, v10
	v_and_b32_e32 v12, 0x80000000, v12
	v_lshl_add_u32 v11, v11, 23, v13
	v_or3_b32 v10, v12, v11, v10
.LBB31_396:
	s_or_b64 exec, exec, s[6:7]
	v_lshrrev_b32_e32 v11, 8, v2
	s_movk_i32 s4, 0x7f
	v_cmp_gt_i16_sdwa s[6:7], v11, s4 src0_sel:BYTE_0 src1_sel:DWORD
	s_mov_b64 s[4:5], 0
                                        ; implicit-def: $sgpr10
	s_and_saveexec_b64 s[8:9], s[6:7]
	s_xor_b64 s[6:7], exec, s[8:9]
	s_cbranch_execnz .LBB31_2445
; %bb.397:
	s_or_saveexec_b64 s[6:7], s[6:7]
	v_mov_b32_e32 v12, s10
	s_xor_b64 exec, exec, s[6:7]
	s_cbranch_execnz .LBB31_2448
.LBB31_398:
	s_or_b64 exec, exec, s[6:7]
	s_and_saveexec_b64 s[6:7], s[4:5]
	s_cbranch_execz .LBB31_400
.LBB31_399:
	v_bfe_u32 v12, v2, 8, 3
	v_ffbh_u32_e32 v14, v12
	v_min_u32_e32 v14, 32, v14
	v_lshrrev_b16_e32 v13, 3, v11
	v_subrev_u32_e32 v15, 28, v14
	v_and_b32_e32 v13, 15, v13
	v_lshlrev_b32_e32 v11, v15, v11
	v_sub_u32_e32 v14, 29, v14
	v_and_b32_e32 v11, 7, v11
	v_cmp_eq_u16_e32 vcc, 0, v13
	v_cndmask_b32_e32 v11, v12, v11, vcc
	v_cndmask_b32_e32 v12, v13, v14, vcc
	v_lshlrev_b32_e32 v13, 16, v2
	v_mov_b32_e32 v14, 0x3b800000
	v_lshlrev_b32_e32 v11, 20, v11
	v_and_b32_e32 v13, 0x80000000, v13
	v_lshl_add_u32 v12, v12, 23, v14
	v_or3_b32 v12, v13, v12, v11
.LBB31_400:
	s_or_b64 exec, exec, s[6:7]
	s_nop 0
	v_mfma_f32_16x16x4f32 a[0:3], v10, v12, a[0:3]
	s_movk_i32 s4, 0xff
	v_and_b32_sdwa v11, v6, s4 dst_sel:DWORD dst_unused:UNUSED_PAD src0_sel:WORD_1 src1_sel:DWORD
	s_movk_i32 s4, 0x7f
	v_cmp_lt_i16_e32 vcc, s4, v11
	s_mov_b64 s[4:5], 0
                                        ; implicit-def: $sgpr10
	s_and_saveexec_b64 s[6:7], vcc
	s_xor_b64 s[6:7], exec, s[6:7]
	s_cbranch_execnz .LBB31_2449
; %bb.401:
	s_or_saveexec_b64 s[6:7], s[6:7]
	v_mov_b32_e32 v10, s10
	s_xor_b64 exec, exec, s[6:7]
	s_cbranch_execnz .LBB31_2452
.LBB31_402:
	s_or_b64 exec, exec, s[6:7]
	s_and_saveexec_b64 s[6:7], s[4:5]
	s_cbranch_execz .LBB31_404
.LBB31_403:
	v_bfe_u32 v10, v6, 16, 3
	v_ffbh_u32_e32 v13, v10
	v_min_u32_e32 v13, 32, v13
	v_lshrrev_b32_e32 v11, 19, v6
	v_subrev_u32_e32 v14, 28, v13
	v_and_b32_e32 v11, 15, v11
	v_lshlrev_b32_sdwa v14, v14, v6 dst_sel:DWORD dst_unused:UNUSED_PAD src0_sel:DWORD src1_sel:WORD_1
	v_bfe_u32 v12, v6, 19, 4
	v_sub_u32_e32 v13, 29, v13
	v_and_b32_e32 v14, 7, v14
	v_cmp_eq_u16_e32 vcc, 0, v11
	v_cndmask_b32_e32 v10, v10, v14, vcc
	v_cndmask_b32_e32 v11, v12, v13, vcc
	v_lshlrev_b32_e32 v12, 8, v6
	v_mov_b32_e32 v13, 0x3b800000
	v_lshlrev_b32_e32 v10, 20, v10
	v_and_b32_e32 v12, 0x80000000, v12
	v_lshl_add_u32 v11, v11, 23, v13
	v_or3_b32 v10, v12, v11, v10
.LBB31_404:
	s_or_b64 exec, exec, s[6:7]
	s_movk_i32 s4, 0xff
	v_and_b32_sdwa v11, v2, s4 dst_sel:DWORD dst_unused:UNUSED_PAD src0_sel:WORD_1 src1_sel:DWORD
	s_movk_i32 s4, 0x7f
	v_cmp_lt_i16_e32 vcc, s4, v11
	s_mov_b64 s[4:5], 0
                                        ; implicit-def: $sgpr10
	s_and_saveexec_b64 s[6:7], vcc
	s_xor_b64 s[6:7], exec, s[6:7]
	s_cbranch_execnz .LBB31_2453
; %bb.405:
	s_or_saveexec_b64 s[6:7], s[6:7]
	v_mov_b32_e32 v12, s10
	s_xor_b64 exec, exec, s[6:7]
	s_cbranch_execnz .LBB31_2456
.LBB31_406:
	s_or_b64 exec, exec, s[6:7]
	s_and_saveexec_b64 s[6:7], s[4:5]
	s_cbranch_execz .LBB31_408
.LBB31_407:
	v_bfe_u32 v11, v2, 16, 3
	v_ffbh_u32_e32 v14, v11
	v_min_u32_e32 v14, 32, v14
	v_lshrrev_b32_e32 v12, 19, v2
	v_subrev_u32_e32 v15, 28, v14
	v_and_b32_e32 v12, 15, v12
	v_lshlrev_b32_sdwa v15, v15, v2 dst_sel:DWORD dst_unused:UNUSED_PAD src0_sel:DWORD src1_sel:WORD_1
	v_bfe_u32 v13, v2, 19, 4
	v_sub_u32_e32 v14, 29, v14
	v_and_b32_e32 v15, 7, v15
	v_cmp_eq_u16_e32 vcc, 0, v12
	v_cndmask_b32_e32 v11, v11, v15, vcc
	v_cndmask_b32_e32 v12, v13, v14, vcc
	v_lshlrev_b32_e32 v13, 8, v2
	v_mov_b32_e32 v14, 0x3b800000
	v_lshlrev_b32_e32 v11, 20, v11
	v_and_b32_e32 v13, 0x80000000, v13
	v_lshl_add_u32 v12, v12, 23, v14
	v_or3_b32 v12, v13, v12, v11
.LBB31_408:
	s_or_b64 exec, exec, s[6:7]
	s_nop 0
	v_mfma_f32_16x16x4f32 a[0:3], v10, v12, a[0:3]
	s_movk_i32 s4, 0x7f
	v_cmp_gt_i16_sdwa s[6:7], v6, s4 src0_sel:BYTE_3 src1_sel:DWORD
	s_mov_b64 s[4:5], 0
                                        ; implicit-def: $sgpr10
	s_and_saveexec_b64 s[8:9], s[6:7]
	s_xor_b64 s[6:7], exec, s[8:9]
	s_cbranch_execnz .LBB31_2457
; %bb.409:
	s_or_saveexec_b64 s[6:7], s[6:7]
	v_mov_b32_e32 v10, s10
	s_xor_b64 exec, exec, s[6:7]
	s_cbranch_execnz .LBB31_2460
.LBB31_410:
	s_or_b64 exec, exec, s[6:7]
	s_and_saveexec_b64 s[6:7], s[4:5]
	s_cbranch_execz .LBB31_412
.LBB31_411:
	v_bfe_u32 v10, v6, 24, 3
	v_ffbh_u32_e32 v14, v10
	v_min_u32_e32 v14, 32, v14
	v_lshrrev_b32_e32 v12, 27, v6
	v_subrev_u32_e32 v15, 28, v14
	v_and_b32_e32 v11, 0x80000000, v6
	v_and_b32_e32 v12, 15, v12
	v_bfe_u32 v13, v6, 27, 4
	v_lshlrev_b32_sdwa v6, v15, v6 dst_sel:DWORD dst_unused:UNUSED_PAD src0_sel:DWORD src1_sel:BYTE_3
	v_sub_u32_e32 v14, 29, v14
	v_and_b32_e32 v6, 7, v6
	v_cmp_eq_u16_e32 vcc, 0, v12
	v_cndmask_b32_e32 v6, v10, v6, vcc
	v_cndmask_b32_e32 v10, v13, v14, vcc
	v_mov_b32_e32 v12, 0x3b800000
	v_lshlrev_b32_e32 v6, 20, v6
	v_lshl_add_u32 v10, v10, 23, v12
	v_or3_b32 v10, v11, v10, v6
.LBB31_412:
	s_or_b64 exec, exec, s[6:7]
	s_movk_i32 s4, 0x7f
	v_cmp_gt_i16_sdwa s[6:7], v2, s4 src0_sel:BYTE_3 src1_sel:DWORD
	s_mov_b64 s[4:5], 0
                                        ; implicit-def: $sgpr10
	s_and_saveexec_b64 s[8:9], s[6:7]
	s_xor_b64 s[6:7], exec, s[8:9]
	s_cbranch_execnz .LBB31_2461
; %bb.413:
	s_or_saveexec_b64 s[6:7], s[6:7]
	v_mov_b32_e32 v6, s10
	s_xor_b64 exec, exec, s[6:7]
	s_cbranch_execnz .LBB31_2464
.LBB31_414:
	s_or_b64 exec, exec, s[6:7]
	s_and_saveexec_b64 s[6:7], s[4:5]
	s_cbranch_execz .LBB31_416
.LBB31_415:
	v_bfe_u32 v6, v2, 24, 3
	v_ffbh_u32_e32 v14, v6
	v_min_u32_e32 v14, 32, v14
	v_lshrrev_b32_e32 v12, 27, v2
	v_subrev_u32_e32 v15, 28, v14
	v_and_b32_e32 v11, 0x80000000, v2
	v_and_b32_e32 v12, 15, v12
	v_bfe_u32 v13, v2, 27, 4
	v_lshlrev_b32_sdwa v2, v15, v2 dst_sel:DWORD dst_unused:UNUSED_PAD src0_sel:DWORD src1_sel:BYTE_3
	v_sub_u32_e32 v14, 29, v14
	v_and_b32_e32 v2, 7, v2
	v_cmp_eq_u16_e32 vcc, 0, v12
	v_cndmask_b32_e32 v2, v6, v2, vcc
	v_cndmask_b32_e32 v6, v13, v14, vcc
	v_mov_b32_e32 v12, 0x3b800000
	v_lshlrev_b32_e32 v2, 20, v2
	v_lshl_add_u32 v6, v6, 23, v12
	v_or3_b32 v6, v11, v6, v2
.LBB31_416:
	s_or_b64 exec, exec, s[6:7]
	s_nop 0
	v_mfma_f32_16x16x4f32 a[0:3], v10, v6, a[0:3]
	s_movk_i32 s4, 0x7f
	v_cmp_gt_i16_sdwa s[6:7], v7, s4 src0_sel:BYTE_0 src1_sel:DWORD
	s_mov_b64 s[4:5], 0
                                        ; implicit-def: $sgpr10
	s_and_saveexec_b64 s[8:9], s[6:7]
	s_xor_b64 s[6:7], exec, s[8:9]
	s_cbranch_execnz .LBB31_2465
; %bb.417:
	s_or_saveexec_b64 s[6:7], s[6:7]
	v_mov_b32_e32 v2, s10
	s_xor_b64 exec, exec, s[6:7]
	s_cbranch_execnz .LBB31_2468
.LBB31_418:
	s_or_b64 exec, exec, s[6:7]
	s_and_saveexec_b64 s[6:7], s[4:5]
	s_cbranch_execz .LBB31_420
.LBB31_419:
	v_and_b32_e32 v2, 7, v7
	v_ffbh_u32_e32 v10, v2
	v_min_u32_e32 v10, 32, v10
	v_lshrrev_b16_e32 v6, 3, v7
	v_subrev_u32_e32 v11, 28, v10
	v_and_b32_e32 v6, 15, v6
	v_lshlrev_b32_e32 v11, v11, v7
	v_sub_u32_e32 v10, 29, v10
	v_and_b32_e32 v11, 7, v11
	v_cmp_eq_u16_e32 vcc, 0, v6
	v_cndmask_b32_e32 v2, v2, v11, vcc
	v_cndmask_b32_e32 v6, v6, v10, vcc
	v_lshlrev_b32_e32 v10, 24, v7
	v_mov_b32_e32 v11, 0x3b800000
	v_lshlrev_b32_e32 v2, 20, v2
	v_and_b32_e32 v10, 0x80000000, v10
	v_lshl_add_u32 v6, v6, 23, v11
	v_or3_b32 v2, v10, v6, v2
.LBB31_420:
	s_or_b64 exec, exec, s[6:7]
	s_movk_i32 s4, 0x7f
	v_cmp_gt_i16_sdwa s[6:7], v3, s4 src0_sel:BYTE_0 src1_sel:DWORD
	s_mov_b64 s[4:5], 0
                                        ; implicit-def: $sgpr10
	s_and_saveexec_b64 s[8:9], s[6:7]
	s_xor_b64 s[6:7], exec, s[8:9]
	s_cbranch_execnz .LBB31_2469
; %bb.421:
	s_or_saveexec_b64 s[6:7], s[6:7]
	v_mov_b32_e32 v6, s10
	s_xor_b64 exec, exec, s[6:7]
	s_cbranch_execnz .LBB31_2472
.LBB31_422:
	s_or_b64 exec, exec, s[6:7]
	s_and_saveexec_b64 s[6:7], s[4:5]
	s_cbranch_execz .LBB31_424
.LBB31_423:
	v_and_b32_e32 v6, 7, v3
	v_ffbh_u32_e32 v11, v6
	v_min_u32_e32 v11, 32, v11
	v_lshrrev_b16_e32 v10, 3, v3
	v_subrev_u32_e32 v12, 28, v11
	v_and_b32_e32 v10, 15, v10
	v_lshlrev_b32_e32 v12, v12, v3
	v_sub_u32_e32 v11, 29, v11
	v_and_b32_e32 v12, 7, v12
	v_cmp_eq_u16_e32 vcc, 0, v10
	v_cndmask_b32_e32 v6, v6, v12, vcc
	v_cndmask_b32_e32 v10, v10, v11, vcc
	v_lshlrev_b32_e32 v11, 24, v3
	v_mov_b32_e32 v12, 0x3b800000
	v_lshlrev_b32_e32 v6, 20, v6
	v_and_b32_e32 v11, 0x80000000, v11
	v_lshl_add_u32 v10, v10, 23, v12
	v_or3_b32 v6, v11, v10, v6
.LBB31_424:
	s_or_b64 exec, exec, s[6:7]
	s_nop 0
	v_mfma_f32_16x16x4f32 a[0:3], v2, v6, a[0:3]
	v_lshrrev_b32_e32 v6, 8, v7
	s_movk_i32 s4, 0x7f
	v_cmp_gt_i16_sdwa s[6:7], v6, s4 src0_sel:BYTE_0 src1_sel:DWORD
	s_mov_b64 s[4:5], 0
                                        ; implicit-def: $sgpr10
	s_and_saveexec_b64 s[8:9], s[6:7]
	s_xor_b64 s[6:7], exec, s[8:9]
	s_cbranch_execnz .LBB31_2473
; %bb.425:
	s_or_saveexec_b64 s[6:7], s[6:7]
	v_mov_b32_e32 v2, s10
	s_xor_b64 exec, exec, s[6:7]
	s_cbranch_execnz .LBB31_2476
.LBB31_426:
	s_or_b64 exec, exec, s[6:7]
	s_and_saveexec_b64 s[6:7], s[4:5]
	s_cbranch_execz .LBB31_428
.LBB31_427:
	v_bfe_u32 v2, v7, 8, 3
	v_ffbh_u32_e32 v11, v2
	v_min_u32_e32 v11, 32, v11
	v_lshrrev_b16_e32 v10, 3, v6
	v_subrev_u32_e32 v12, 28, v11
	v_and_b32_e32 v10, 15, v10
	v_lshlrev_b32_e32 v6, v12, v6
	v_sub_u32_e32 v11, 29, v11
	v_and_b32_e32 v6, 7, v6
	v_cmp_eq_u16_e32 vcc, 0, v10
	v_cndmask_b32_e32 v2, v2, v6, vcc
	v_cndmask_b32_e32 v6, v10, v11, vcc
	v_lshlrev_b32_e32 v10, 16, v7
	v_mov_b32_e32 v11, 0x3b800000
	v_lshlrev_b32_e32 v2, 20, v2
	v_and_b32_e32 v10, 0x80000000, v10
	v_lshl_add_u32 v6, v6, 23, v11
	v_or3_b32 v2, v10, v6, v2
.LBB31_428:
	s_or_b64 exec, exec, s[6:7]
	v_lshrrev_b32_e32 v6, 8, v3
	s_movk_i32 s4, 0x7f
	v_cmp_gt_i16_sdwa s[6:7], v6, s4 src0_sel:BYTE_0 src1_sel:DWORD
	s_mov_b64 s[4:5], 0
                                        ; implicit-def: $sgpr10
	s_and_saveexec_b64 s[8:9], s[6:7]
	s_xor_b64 s[6:7], exec, s[8:9]
	s_cbranch_execnz .LBB31_2477
; %bb.429:
	s_or_saveexec_b64 s[6:7], s[6:7]
	v_mov_b32_e32 v10, s10
	s_xor_b64 exec, exec, s[6:7]
	s_cbranch_execnz .LBB31_2480
.LBB31_430:
	s_or_b64 exec, exec, s[6:7]
	s_and_saveexec_b64 s[6:7], s[4:5]
	s_cbranch_execz .LBB31_432
.LBB31_431:
	v_bfe_u32 v10, v3, 8, 3
	v_ffbh_u32_e32 v12, v10
	v_min_u32_e32 v12, 32, v12
	v_lshrrev_b16_e32 v11, 3, v6
	v_subrev_u32_e32 v13, 28, v12
	v_and_b32_e32 v11, 15, v11
	v_lshlrev_b32_e32 v6, v13, v6
	v_sub_u32_e32 v12, 29, v12
	v_and_b32_e32 v6, 7, v6
	v_cmp_eq_u16_e32 vcc, 0, v11
	v_cndmask_b32_e32 v6, v10, v6, vcc
	v_cndmask_b32_e32 v10, v11, v12, vcc
	v_lshlrev_b32_e32 v11, 16, v3
	v_mov_b32_e32 v12, 0x3b800000
	v_lshlrev_b32_e32 v6, 20, v6
	v_and_b32_e32 v11, 0x80000000, v11
	v_lshl_add_u32 v10, v10, 23, v12
	v_or3_b32 v10, v11, v10, v6
.LBB31_432:
	s_or_b64 exec, exec, s[6:7]
	s_nop 0
	v_mfma_f32_16x16x4f32 a[0:3], v2, v10, a[0:3]
	s_movk_i32 s4, 0xff
	v_and_b32_sdwa v6, v7, s4 dst_sel:DWORD dst_unused:UNUSED_PAD src0_sel:WORD_1 src1_sel:DWORD
	s_movk_i32 s4, 0x7f
	v_cmp_lt_i16_e32 vcc, s4, v6
	s_mov_b64 s[4:5], 0
                                        ; implicit-def: $sgpr10
	s_and_saveexec_b64 s[6:7], vcc
	s_xor_b64 s[6:7], exec, s[6:7]
	s_cbranch_execnz .LBB31_2481
; %bb.433:
	s_or_saveexec_b64 s[6:7], s[6:7]
	v_mov_b32_e32 v2, s10
	s_xor_b64 exec, exec, s[6:7]
	s_cbranch_execnz .LBB31_2484
.LBB31_434:
	s_or_b64 exec, exec, s[6:7]
	s_and_saveexec_b64 s[6:7], s[4:5]
	s_cbranch_execz .LBB31_436
.LBB31_435:
	v_bfe_u32 v2, v7, 16, 3
	v_ffbh_u32_e32 v11, v2
	v_min_u32_e32 v11, 32, v11
	v_lshrrev_b32_e32 v6, 19, v7
	v_subrev_u32_e32 v12, 28, v11
	v_and_b32_e32 v6, 15, v6
	v_lshlrev_b32_sdwa v12, v12, v7 dst_sel:DWORD dst_unused:UNUSED_PAD src0_sel:DWORD src1_sel:WORD_1
	v_bfe_u32 v10, v7, 19, 4
	v_sub_u32_e32 v11, 29, v11
	v_and_b32_e32 v12, 7, v12
	v_cmp_eq_u16_e32 vcc, 0, v6
	v_cndmask_b32_e32 v2, v2, v12, vcc
	v_cndmask_b32_e32 v6, v10, v11, vcc
	v_lshlrev_b32_e32 v10, 8, v7
	v_mov_b32_e32 v11, 0x3b800000
	v_lshlrev_b32_e32 v2, 20, v2
	v_and_b32_e32 v10, 0x80000000, v10
	v_lshl_add_u32 v6, v6, 23, v11
	v_or3_b32 v2, v10, v6, v2
.LBB31_436:
	s_or_b64 exec, exec, s[6:7]
	s_movk_i32 s4, 0xff
	v_and_b32_sdwa v6, v3, s4 dst_sel:DWORD dst_unused:UNUSED_PAD src0_sel:WORD_1 src1_sel:DWORD
	s_movk_i32 s4, 0x7f
	v_cmp_lt_i16_e32 vcc, s4, v6
	s_mov_b64 s[4:5], 0
                                        ; implicit-def: $sgpr10
	s_and_saveexec_b64 s[6:7], vcc
	s_xor_b64 s[6:7], exec, s[6:7]
	s_cbranch_execnz .LBB31_2485
; %bb.437:
	s_or_saveexec_b64 s[6:7], s[6:7]
	v_mov_b32_e32 v10, s10
	s_xor_b64 exec, exec, s[6:7]
	s_cbranch_execnz .LBB31_2488
.LBB31_438:
	s_or_b64 exec, exec, s[6:7]
	s_and_saveexec_b64 s[6:7], s[4:5]
	s_cbranch_execz .LBB31_440
.LBB31_439:
	v_bfe_u32 v6, v3, 16, 3
	v_ffbh_u32_e32 v12, v6
	v_min_u32_e32 v12, 32, v12
	v_lshrrev_b32_e32 v10, 19, v3
	v_subrev_u32_e32 v13, 28, v12
	v_and_b32_e32 v10, 15, v10
	v_lshlrev_b32_sdwa v13, v13, v3 dst_sel:DWORD dst_unused:UNUSED_PAD src0_sel:DWORD src1_sel:WORD_1
	v_bfe_u32 v11, v3, 19, 4
	v_sub_u32_e32 v12, 29, v12
	v_and_b32_e32 v13, 7, v13
	v_cmp_eq_u16_e32 vcc, 0, v10
	v_cndmask_b32_e32 v6, v6, v13, vcc
	v_cndmask_b32_e32 v10, v11, v12, vcc
	v_lshlrev_b32_e32 v11, 8, v3
	v_mov_b32_e32 v12, 0x3b800000
	v_lshlrev_b32_e32 v6, 20, v6
	v_and_b32_e32 v11, 0x80000000, v11
	v_lshl_add_u32 v10, v10, 23, v12
	v_or3_b32 v10, v11, v10, v6
.LBB31_440:
	s_or_b64 exec, exec, s[6:7]
	s_nop 0
	v_mfma_f32_16x16x4f32 a[0:3], v2, v10, a[0:3]
	s_movk_i32 s4, 0x7f
	v_cmp_gt_i16_sdwa s[6:7], v7, s4 src0_sel:BYTE_3 src1_sel:DWORD
	s_mov_b64 s[4:5], 0
                                        ; implicit-def: $sgpr10
	s_and_saveexec_b64 s[8:9], s[6:7]
	s_xor_b64 s[6:7], exec, s[8:9]
	s_cbranch_execnz .LBB31_2489
; %bb.441:
	s_or_saveexec_b64 s[6:7], s[6:7]
	v_mov_b32_e32 v2, s10
	s_xor_b64 exec, exec, s[6:7]
	s_cbranch_execnz .LBB31_2492
.LBB31_442:
	s_or_b64 exec, exec, s[6:7]
	s_and_saveexec_b64 s[6:7], s[4:5]
	s_cbranch_execz .LBB31_444
.LBB31_443:
	v_bfe_u32 v2, v7, 24, 3
	v_ffbh_u32_e32 v12, v2
	v_min_u32_e32 v12, 32, v12
	v_lshrrev_b32_e32 v10, 27, v7
	v_subrev_u32_e32 v13, 28, v12
	v_and_b32_e32 v6, 0x80000000, v7
	v_and_b32_e32 v10, 15, v10
	v_bfe_u32 v11, v7, 27, 4
	v_lshlrev_b32_sdwa v7, v13, v7 dst_sel:DWORD dst_unused:UNUSED_PAD src0_sel:DWORD src1_sel:BYTE_3
	v_sub_u32_e32 v12, 29, v12
	v_and_b32_e32 v7, 7, v7
	v_cmp_eq_u16_e32 vcc, 0, v10
	v_cndmask_b32_e32 v2, v2, v7, vcc
	v_cndmask_b32_e32 v7, v11, v12, vcc
	v_mov_b32_e32 v10, 0x3b800000
	v_lshlrev_b32_e32 v2, 20, v2
	v_lshl_add_u32 v7, v7, 23, v10
	v_or3_b32 v2, v6, v7, v2
.LBB31_444:
	s_or_b64 exec, exec, s[6:7]
	s_movk_i32 s4, 0x7f
	v_cmp_gt_i16_sdwa s[6:7], v3, s4 src0_sel:BYTE_3 src1_sel:DWORD
	s_mov_b64 s[4:5], 0
                                        ; implicit-def: $sgpr10
	s_and_saveexec_b64 s[8:9], s[6:7]
	s_xor_b64 s[6:7], exec, s[8:9]
	s_cbranch_execnz .LBB31_2493
; %bb.445:
	s_or_saveexec_b64 s[6:7], s[6:7]
	v_mov_b32_e32 v6, s10
	s_xor_b64 exec, exec, s[6:7]
	s_cbranch_execnz .LBB31_2496
.LBB31_446:
	s_or_b64 exec, exec, s[6:7]
	s_and_saveexec_b64 s[6:7], s[4:5]
	s_cbranch_execz .LBB31_448
.LBB31_447:
	v_bfe_u32 v6, v3, 24, 3
	v_ffbh_u32_e32 v12, v6
	v_min_u32_e32 v12, 32, v12
	v_lshrrev_b32_e32 v10, 27, v3
	v_subrev_u32_e32 v13, 28, v12
	v_and_b32_e32 v7, 0x80000000, v3
	v_and_b32_e32 v10, 15, v10
	v_bfe_u32 v11, v3, 27, 4
	v_lshlrev_b32_sdwa v3, v13, v3 dst_sel:DWORD dst_unused:UNUSED_PAD src0_sel:DWORD src1_sel:BYTE_3
	v_sub_u32_e32 v12, 29, v12
	v_and_b32_e32 v3, 7, v3
	v_cmp_eq_u16_e32 vcc, 0, v10
	v_cndmask_b32_e32 v3, v6, v3, vcc
	v_cndmask_b32_e32 v6, v11, v12, vcc
	v_mov_b32_e32 v10, 0x3b800000
	v_lshlrev_b32_e32 v3, 20, v3
	v_lshl_add_u32 v6, v6, 23, v10
	v_or3_b32 v6, v7, v6, v3
.LBB31_448:
	s_or_b64 exec, exec, s[6:7]
	s_nop 0
	v_mfma_f32_16x16x4f32 a[0:3], v2, v6, a[0:3]
	s_movk_i32 s4, 0x7f
	v_cmp_gt_i16_sdwa s[6:7], v8, s4 src0_sel:BYTE_0 src1_sel:DWORD
	s_mov_b64 s[4:5], 0
                                        ; implicit-def: $sgpr10
	s_and_saveexec_b64 s[8:9], s[6:7]
	s_xor_b64 s[6:7], exec, s[8:9]
	s_cbranch_execnz .LBB31_2497
; %bb.449:
	s_or_saveexec_b64 s[6:7], s[6:7]
	v_mov_b32_e32 v2, s10
	s_xor_b64 exec, exec, s[6:7]
	s_cbranch_execnz .LBB31_2500
.LBB31_450:
	s_or_b64 exec, exec, s[6:7]
	s_and_saveexec_b64 s[6:7], s[4:5]
	s_cbranch_execz .LBB31_452
.LBB31_451:
	v_and_b32_e32 v2, 7, v8
	v_ffbh_u32_e32 v6, v2
	v_min_u32_e32 v6, 32, v6
	v_lshrrev_b16_e32 v3, 3, v8
	v_subrev_u32_e32 v7, 28, v6
	v_and_b32_e32 v3, 15, v3
	v_lshlrev_b32_e32 v7, v7, v8
	v_sub_u32_e32 v6, 29, v6
	v_and_b32_e32 v7, 7, v7
	v_cmp_eq_u16_e32 vcc, 0, v3
	v_cndmask_b32_e32 v2, v2, v7, vcc
	v_cndmask_b32_e32 v3, v3, v6, vcc
	v_lshlrev_b32_e32 v6, 24, v8
	v_mov_b32_e32 v7, 0x3b800000
	v_lshlrev_b32_e32 v2, 20, v2
	v_and_b32_e32 v6, 0x80000000, v6
	v_lshl_add_u32 v3, v3, 23, v7
	v_or3_b32 v2, v6, v3, v2
.LBB31_452:
	s_or_b64 exec, exec, s[6:7]
	s_movk_i32 s4, 0x7f
	v_cmp_gt_i16_sdwa s[6:7], v4, s4 src0_sel:BYTE_0 src1_sel:DWORD
	s_mov_b64 s[4:5], 0
                                        ; implicit-def: $sgpr10
	s_and_saveexec_b64 s[8:9], s[6:7]
	s_xor_b64 s[6:7], exec, s[8:9]
	s_cbranch_execnz .LBB31_2501
; %bb.453:
	s_or_saveexec_b64 s[6:7], s[6:7]
	v_mov_b32_e32 v3, s10
	s_xor_b64 exec, exec, s[6:7]
	s_cbranch_execnz .LBB31_2504
.LBB31_454:
	s_or_b64 exec, exec, s[6:7]
	s_and_saveexec_b64 s[6:7], s[4:5]
	s_cbranch_execz .LBB31_456
.LBB31_455:
	v_and_b32_e32 v3, 7, v4
	v_ffbh_u32_e32 v7, v3
	v_min_u32_e32 v7, 32, v7
	v_lshrrev_b16_e32 v6, 3, v4
	v_subrev_u32_e32 v10, 28, v7
	v_and_b32_e32 v6, 15, v6
	v_lshlrev_b32_e32 v10, v10, v4
	v_sub_u32_e32 v7, 29, v7
	v_and_b32_e32 v10, 7, v10
	v_cmp_eq_u16_e32 vcc, 0, v6
	v_cndmask_b32_e32 v3, v3, v10, vcc
	v_cndmask_b32_e32 v6, v6, v7, vcc
	v_lshlrev_b32_e32 v7, 24, v4
	v_mov_b32_e32 v10, 0x3b800000
	v_lshlrev_b32_e32 v3, 20, v3
	v_and_b32_e32 v7, 0x80000000, v7
	v_lshl_add_u32 v6, v6, 23, v10
	v_or3_b32 v3, v7, v6, v3
.LBB31_456:
	s_or_b64 exec, exec, s[6:7]
	s_nop 0
	v_mfma_f32_16x16x4f32 a[0:3], v2, v3, a[0:3]
	v_lshrrev_b32_e32 v3, 8, v8
	s_movk_i32 s4, 0x7f
	v_cmp_gt_i16_sdwa s[6:7], v3, s4 src0_sel:BYTE_0 src1_sel:DWORD
	s_mov_b64 s[4:5], 0
                                        ; implicit-def: $sgpr10
	s_and_saveexec_b64 s[8:9], s[6:7]
	s_xor_b64 s[6:7], exec, s[8:9]
	s_cbranch_execnz .LBB31_2505
; %bb.457:
	s_or_saveexec_b64 s[6:7], s[6:7]
	v_mov_b32_e32 v2, s10
	s_xor_b64 exec, exec, s[6:7]
	s_cbranch_execnz .LBB31_2508
.LBB31_458:
	s_or_b64 exec, exec, s[6:7]
	s_and_saveexec_b64 s[6:7], s[4:5]
	s_cbranch_execz .LBB31_460
.LBB31_459:
	v_bfe_u32 v2, v8, 8, 3
	v_ffbh_u32_e32 v7, v2
	v_min_u32_e32 v7, 32, v7
	v_lshrrev_b16_e32 v6, 3, v3
	v_subrev_u32_e32 v10, 28, v7
	v_and_b32_e32 v6, 15, v6
	v_lshlrev_b32_e32 v3, v10, v3
	v_sub_u32_e32 v7, 29, v7
	v_and_b32_e32 v3, 7, v3
	v_cmp_eq_u16_e32 vcc, 0, v6
	v_cndmask_b32_e32 v2, v2, v3, vcc
	v_cndmask_b32_e32 v3, v6, v7, vcc
	v_lshlrev_b32_e32 v6, 16, v8
	v_mov_b32_e32 v7, 0x3b800000
	v_lshlrev_b32_e32 v2, 20, v2
	v_and_b32_e32 v6, 0x80000000, v6
	v_lshl_add_u32 v3, v3, 23, v7
	v_or3_b32 v2, v6, v3, v2
.LBB31_460:
	s_or_b64 exec, exec, s[6:7]
	v_lshrrev_b32_e32 v3, 8, v4
	s_movk_i32 s4, 0x7f
	v_cmp_gt_i16_sdwa s[6:7], v3, s4 src0_sel:BYTE_0 src1_sel:DWORD
	s_mov_b64 s[4:5], 0
                                        ; implicit-def: $sgpr10
	s_and_saveexec_b64 s[8:9], s[6:7]
	s_xor_b64 s[6:7], exec, s[8:9]
	s_cbranch_execnz .LBB31_2509
; %bb.461:
	s_or_saveexec_b64 s[6:7], s[6:7]
	v_mov_b32_e32 v6, s10
	s_xor_b64 exec, exec, s[6:7]
	s_cbranch_execnz .LBB31_2512
.LBB31_462:
	s_or_b64 exec, exec, s[6:7]
	s_and_saveexec_b64 s[6:7], s[4:5]
	s_cbranch_execz .LBB31_464
.LBB31_463:
	v_bfe_u32 v6, v4, 8, 3
	v_ffbh_u32_e32 v10, v6
	v_min_u32_e32 v10, 32, v10
	v_lshrrev_b16_e32 v7, 3, v3
	v_subrev_u32_e32 v11, 28, v10
	v_and_b32_e32 v7, 15, v7
	v_lshlrev_b32_e32 v3, v11, v3
	v_sub_u32_e32 v10, 29, v10
	v_and_b32_e32 v3, 7, v3
	v_cmp_eq_u16_e32 vcc, 0, v7
	v_cndmask_b32_e32 v3, v6, v3, vcc
	v_cndmask_b32_e32 v6, v7, v10, vcc
	v_lshlrev_b32_e32 v7, 16, v4
	v_mov_b32_e32 v10, 0x3b800000
	v_lshlrev_b32_e32 v3, 20, v3
	v_and_b32_e32 v7, 0x80000000, v7
	v_lshl_add_u32 v6, v6, 23, v10
	v_or3_b32 v6, v7, v6, v3
.LBB31_464:
	s_or_b64 exec, exec, s[6:7]
	s_nop 0
	v_mfma_f32_16x16x4f32 a[0:3], v2, v6, a[0:3]
	s_movk_i32 s4, 0xff
	v_and_b32_sdwa v3, v8, s4 dst_sel:DWORD dst_unused:UNUSED_PAD src0_sel:WORD_1 src1_sel:DWORD
	s_movk_i32 s4, 0x7f
	v_cmp_lt_i16_e32 vcc, s4, v3
	s_mov_b64 s[4:5], 0
                                        ; implicit-def: $sgpr10
	s_and_saveexec_b64 s[6:7], vcc
	s_xor_b64 s[6:7], exec, s[6:7]
	s_cbranch_execnz .LBB31_2513
; %bb.465:
	s_or_saveexec_b64 s[6:7], s[6:7]
	v_mov_b32_e32 v2, s10
	s_xor_b64 exec, exec, s[6:7]
	s_cbranch_execnz .LBB31_2516
.LBB31_466:
	s_or_b64 exec, exec, s[6:7]
	s_and_saveexec_b64 s[6:7], s[4:5]
	s_cbranch_execz .LBB31_468
.LBB31_467:
	v_bfe_u32 v2, v8, 16, 3
	v_ffbh_u32_e32 v7, v2
	v_min_u32_e32 v7, 32, v7
	v_lshrrev_b32_e32 v3, 19, v8
	v_subrev_u32_e32 v10, 28, v7
	v_and_b32_e32 v3, 15, v3
	v_lshlrev_b32_sdwa v10, v10, v8 dst_sel:DWORD dst_unused:UNUSED_PAD src0_sel:DWORD src1_sel:WORD_1
	v_bfe_u32 v6, v8, 19, 4
	v_sub_u32_e32 v7, 29, v7
	v_and_b32_e32 v10, 7, v10
	v_cmp_eq_u16_e32 vcc, 0, v3
	v_cndmask_b32_e32 v2, v2, v10, vcc
	v_cndmask_b32_e32 v3, v6, v7, vcc
	v_lshlrev_b32_e32 v6, 8, v8
	v_mov_b32_e32 v7, 0x3b800000
	v_lshlrev_b32_e32 v2, 20, v2
	v_and_b32_e32 v6, 0x80000000, v6
	v_lshl_add_u32 v3, v3, 23, v7
	v_or3_b32 v2, v6, v3, v2
.LBB31_468:
	s_or_b64 exec, exec, s[6:7]
	s_movk_i32 s4, 0xff
	v_and_b32_sdwa v3, v4, s4 dst_sel:DWORD dst_unused:UNUSED_PAD src0_sel:WORD_1 src1_sel:DWORD
	s_movk_i32 s4, 0x7f
	v_cmp_lt_i16_e32 vcc, s4, v3
	s_mov_b64 s[4:5], 0
                                        ; implicit-def: $sgpr10
	s_and_saveexec_b64 s[6:7], vcc
	s_xor_b64 s[6:7], exec, s[6:7]
	s_cbranch_execnz .LBB31_2517
; %bb.469:
	s_or_saveexec_b64 s[6:7], s[6:7]
	v_mov_b32_e32 v6, s10
	s_xor_b64 exec, exec, s[6:7]
	s_cbranch_execnz .LBB31_2520
.LBB31_470:
	s_or_b64 exec, exec, s[6:7]
	s_and_saveexec_b64 s[6:7], s[4:5]
	s_cbranch_execz .LBB31_472
.LBB31_471:
	v_bfe_u32 v3, v4, 16, 3
	v_ffbh_u32_e32 v10, v3
	v_min_u32_e32 v10, 32, v10
	v_lshrrev_b32_e32 v6, 19, v4
	v_subrev_u32_e32 v11, 28, v10
	v_and_b32_e32 v6, 15, v6
	v_lshlrev_b32_sdwa v11, v11, v4 dst_sel:DWORD dst_unused:UNUSED_PAD src0_sel:DWORD src1_sel:WORD_1
	v_bfe_u32 v7, v4, 19, 4
	v_sub_u32_e32 v10, 29, v10
	v_and_b32_e32 v11, 7, v11
	v_cmp_eq_u16_e32 vcc, 0, v6
	v_cndmask_b32_e32 v3, v3, v11, vcc
	v_cndmask_b32_e32 v6, v7, v10, vcc
	v_lshlrev_b32_e32 v7, 8, v4
	v_mov_b32_e32 v10, 0x3b800000
	v_lshlrev_b32_e32 v3, 20, v3
	v_and_b32_e32 v7, 0x80000000, v7
	v_lshl_add_u32 v6, v6, 23, v10
	v_or3_b32 v6, v7, v6, v3
.LBB31_472:
	s_or_b64 exec, exec, s[6:7]
	s_nop 0
	v_mfma_f32_16x16x4f32 a[0:3], v2, v6, a[0:3]
	s_movk_i32 s4, 0x7f
	v_cmp_gt_i16_sdwa s[6:7], v8, s4 src0_sel:BYTE_3 src1_sel:DWORD
	s_mov_b64 s[4:5], 0
                                        ; implicit-def: $sgpr10
	s_and_saveexec_b64 s[8:9], s[6:7]
	s_xor_b64 s[6:7], exec, s[8:9]
	s_cbranch_execnz .LBB31_2521
; %bb.473:
	s_or_saveexec_b64 s[6:7], s[6:7]
	v_mov_b32_e32 v2, s10
	s_xor_b64 exec, exec, s[6:7]
	s_cbranch_execnz .LBB31_2524
.LBB31_474:
	s_or_b64 exec, exec, s[6:7]
	s_and_saveexec_b64 s[6:7], s[4:5]
	s_cbranch_execz .LBB31_476
.LBB31_475:
	v_bfe_u32 v2, v8, 24, 3
	v_ffbh_u32_e32 v10, v2
	v_min_u32_e32 v10, 32, v10
	v_lshrrev_b32_e32 v6, 27, v8
	v_subrev_u32_e32 v11, 28, v10
	v_and_b32_e32 v3, 0x80000000, v8
	v_and_b32_e32 v6, 15, v6
	v_bfe_u32 v7, v8, 27, 4
	v_lshlrev_b32_sdwa v8, v11, v8 dst_sel:DWORD dst_unused:UNUSED_PAD src0_sel:DWORD src1_sel:BYTE_3
	v_sub_u32_e32 v10, 29, v10
	v_and_b32_e32 v8, 7, v8
	v_cmp_eq_u16_e32 vcc, 0, v6
	v_cndmask_b32_e32 v2, v2, v8, vcc
	v_cndmask_b32_e32 v6, v7, v10, vcc
	v_mov_b32_e32 v7, 0x3b800000
	v_lshlrev_b32_e32 v2, 20, v2
	v_lshl_add_u32 v6, v6, 23, v7
	v_or3_b32 v2, v3, v6, v2
.LBB31_476:
	s_or_b64 exec, exec, s[6:7]
	s_movk_i32 s4, 0x7f
	v_cmp_gt_i16_sdwa s[6:7], v4, s4 src0_sel:BYTE_3 src1_sel:DWORD
	s_mov_b64 s[4:5], 0
                                        ; implicit-def: $sgpr10
	s_and_saveexec_b64 s[8:9], s[6:7]
	s_xor_b64 s[6:7], exec, s[8:9]
	s_cbranch_execnz .LBB31_2525
; %bb.477:
	s_or_saveexec_b64 s[6:7], s[6:7]
	v_mov_b32_e32 v3, s10
	s_xor_b64 exec, exec, s[6:7]
	s_cbranch_execnz .LBB31_2528
.LBB31_478:
	s_or_b64 exec, exec, s[6:7]
	s_and_saveexec_b64 s[6:7], s[4:5]
	s_cbranch_execz .LBB31_480
.LBB31_479:
	v_bfe_u32 v3, v4, 24, 3
	v_ffbh_u32_e32 v10, v3
	v_min_u32_e32 v10, 32, v10
	v_lshrrev_b32_e32 v7, 27, v4
	v_subrev_u32_e32 v11, 28, v10
	v_and_b32_e32 v6, 0x80000000, v4
	v_and_b32_e32 v7, 15, v7
	v_bfe_u32 v8, v4, 27, 4
	v_lshlrev_b32_sdwa v4, v11, v4 dst_sel:DWORD dst_unused:UNUSED_PAD src0_sel:DWORD src1_sel:BYTE_3
	v_sub_u32_e32 v10, 29, v10
	v_and_b32_e32 v4, 7, v4
	v_cmp_eq_u16_e32 vcc, 0, v7
	v_cndmask_b32_e32 v3, v3, v4, vcc
	v_cndmask_b32_e32 v4, v8, v10, vcc
	v_mov_b32_e32 v7, 0x3b800000
	v_lshlrev_b32_e32 v3, 20, v3
	v_lshl_add_u32 v4, v4, 23, v7
	v_or3_b32 v3, v6, v4, v3
.LBB31_480:
	s_or_b64 exec, exec, s[6:7]
	s_nop 0
	v_mfma_f32_16x16x4f32 a[0:3], v2, v3, a[0:3]
	s_movk_i32 s4, 0x7f
	v_cmp_gt_i16_sdwa s[6:7], v9, s4 src0_sel:BYTE_0 src1_sel:DWORD
	s_mov_b64 s[4:5], 0
                                        ; implicit-def: $sgpr10
	s_and_saveexec_b64 s[8:9], s[6:7]
	s_xor_b64 s[6:7], exec, s[8:9]
	s_cbranch_execnz .LBB31_2529
; %bb.481:
	s_or_saveexec_b64 s[6:7], s[6:7]
	v_mov_b32_e32 v2, s10
	s_xor_b64 exec, exec, s[6:7]
	s_cbranch_execnz .LBB31_2532
.LBB31_482:
	s_or_b64 exec, exec, s[6:7]
	s_and_saveexec_b64 s[6:7], s[4:5]
	s_cbranch_execz .LBB31_484
.LBB31_483:
	v_mov_b32_e32 v2, 8
	v_and_b32_e32 v3, 7, v9
	v_lshrrev_b32_sdwa v2, v2, v9 dst_sel:BYTE_1 dst_unused:UNUSED_PAD src0_sel:DWORD src1_sel:DWORD
	v_ffbh_u32_e32 v4, v3
	v_or_b32_sdwa v2, v9, v2 dst_sel:DWORD dst_unused:UNUSED_PAD src0_sel:BYTE_0 src1_sel:DWORD
	v_min_u32_e32 v4, 32, v4
	v_lshrrev_b16_e32 v2, 3, v2
	v_subrev_u32_e32 v6, 28, v4
	v_and_b32_e32 v2, 15, v2
	v_lshlrev_b32_e32 v6, v6, v9
	v_sub_u32_e32 v4, 29, v4
	v_and_b32_e32 v6, 7, v6
	v_cmp_eq_u16_e32 vcc, 0, v2
	v_cndmask_b32_e32 v3, v3, v6, vcc
	v_cndmask_b32_e32 v2, v2, v4, vcc
	v_lshlrev_b32_e32 v4, 24, v9
	v_mov_b32_e32 v6, 0x3b800000
	v_lshlrev_b32_e32 v3, 20, v3
	v_and_b32_e32 v4, 0x80000000, v4
	v_lshl_add_u32 v2, v2, 23, v6
	v_or3_b32 v2, v4, v2, v3
.LBB31_484:
	s_or_b64 exec, exec, s[6:7]
	s_movk_i32 s4, 0x7f
	v_cmp_gt_i16_sdwa s[6:7], v5, s4 src0_sel:BYTE_0 src1_sel:DWORD
	s_mov_b64 s[4:5], 0
                                        ; implicit-def: $sgpr10
	s_and_saveexec_b64 s[8:9], s[6:7]
	s_xor_b64 s[6:7], exec, s[8:9]
	s_cbranch_execnz .LBB31_2533
; %bb.485:
	s_or_saveexec_b64 s[6:7], s[6:7]
	v_mov_b32_e32 v3, s10
	s_xor_b64 exec, exec, s[6:7]
	s_cbranch_execnz .LBB31_2536
.LBB31_486:
	s_or_b64 exec, exec, s[6:7]
	s_and_saveexec_b64 s[6:7], s[4:5]
	s_cbranch_execz .LBB31_488
.LBB31_487:
	v_mov_b32_e32 v3, 8
	v_and_b32_e32 v4, 7, v5
	v_lshrrev_b32_sdwa v3, v3, v5 dst_sel:BYTE_1 dst_unused:UNUSED_PAD src0_sel:DWORD src1_sel:DWORD
	v_ffbh_u32_e32 v6, v4
	v_or_b32_sdwa v3, v5, v3 dst_sel:DWORD dst_unused:UNUSED_PAD src0_sel:BYTE_0 src1_sel:DWORD
	v_min_u32_e32 v6, 32, v6
	v_lshrrev_b16_e32 v3, 3, v3
	v_subrev_u32_e32 v7, 28, v6
	v_and_b32_e32 v3, 15, v3
	v_lshlrev_b32_e32 v7, v7, v5
	v_sub_u32_e32 v6, 29, v6
	v_and_b32_e32 v7, 7, v7
	v_cmp_eq_u16_e32 vcc, 0, v3
	v_cndmask_b32_e32 v4, v4, v7, vcc
	v_cndmask_b32_e32 v3, v3, v6, vcc
	v_lshlrev_b32_e32 v6, 24, v5
	v_mov_b32_e32 v7, 0x3b800000
	v_lshlrev_b32_e32 v4, 20, v4
	v_and_b32_e32 v6, 0x80000000, v6
	v_lshl_add_u32 v3, v3, 23, v7
	v_or3_b32 v3, v6, v3, v4
.LBB31_488:
	s_or_b64 exec, exec, s[6:7]
	s_nop 0
	v_mfma_f32_16x16x4f32 a[0:3], v2, v3, a[0:3]
	v_lshrrev_b32_e32 v3, 8, v9
	s_movk_i32 s4, 0x7f
	v_cmp_gt_i16_sdwa s[6:7], v3, s4 src0_sel:BYTE_0 src1_sel:DWORD
	s_mov_b64 s[4:5], 0
                                        ; implicit-def: $sgpr10
	s_and_saveexec_b64 s[8:9], s[6:7]
	s_xor_b64 s[6:7], exec, s[8:9]
	s_cbranch_execnz .LBB31_2537
; %bb.489:
	s_or_saveexec_b64 s[6:7], s[6:7]
	v_mov_b32_e32 v2, s10
	s_xor_b64 exec, exec, s[6:7]
	s_cbranch_execnz .LBB31_2540
.LBB31_490:
	s_or_b64 exec, exec, s[6:7]
	s_and_saveexec_b64 s[6:7], s[4:5]
	s_cbranch_execz .LBB31_492
.LBB31_491:
	v_bfe_u32 v2, v9, 8, 3
	v_ffbh_u32_e32 v6, v2
	v_min_u32_e32 v6, 32, v6
	v_lshrrev_b16_e32 v4, 3, v3
	v_subrev_u32_e32 v7, 28, v6
	v_and_b32_e32 v4, 15, v4
	v_lshlrev_b32_e32 v3, v7, v3
	v_sub_u32_e32 v6, 29, v6
	v_and_b32_e32 v3, 7, v3
	v_cmp_eq_u16_e32 vcc, 0, v4
	v_cndmask_b32_e32 v2, v2, v3, vcc
	v_cndmask_b32_e32 v3, v4, v6, vcc
	v_lshlrev_b32_e32 v4, 16, v9
	v_mov_b32_e32 v6, 0x3b800000
	v_lshlrev_b32_e32 v2, 20, v2
	v_and_b32_e32 v4, 0x80000000, v4
	v_lshl_add_u32 v3, v3, 23, v6
	v_or3_b32 v2, v4, v3, v2
.LBB31_492:
	s_or_b64 exec, exec, s[6:7]
	v_lshrrev_b32_e32 v3, 8, v5
	s_movk_i32 s4, 0x7f
	v_cmp_gt_i16_sdwa s[6:7], v3, s4 src0_sel:BYTE_0 src1_sel:DWORD
	s_mov_b64 s[4:5], 0
                                        ; implicit-def: $sgpr10
	s_and_saveexec_b64 s[8:9], s[6:7]
	s_xor_b64 s[6:7], exec, s[8:9]
	s_cbranch_execnz .LBB31_2541
; %bb.493:
	s_or_saveexec_b64 s[6:7], s[6:7]
	v_mov_b32_e32 v4, s10
	s_xor_b64 exec, exec, s[6:7]
	s_cbranch_execnz .LBB31_2544
.LBB31_494:
	s_or_b64 exec, exec, s[6:7]
	s_and_saveexec_b64 s[6:7], s[4:5]
	s_cbranch_execz .LBB31_496
.LBB31_495:
	v_bfe_u32 v4, v5, 8, 3
	v_ffbh_u32_e32 v7, v4
	v_min_u32_e32 v7, 32, v7
	v_lshrrev_b16_e32 v6, 3, v3
	v_subrev_u32_e32 v8, 28, v7
	v_and_b32_e32 v6, 15, v6
	v_lshlrev_b32_e32 v3, v8, v3
	v_sub_u32_e32 v7, 29, v7
	v_and_b32_e32 v3, 7, v3
	v_cmp_eq_u16_e32 vcc, 0, v6
	v_cndmask_b32_e32 v3, v4, v3, vcc
	v_cndmask_b32_e32 v4, v6, v7, vcc
	v_lshlrev_b32_e32 v6, 16, v5
	v_mov_b32_e32 v7, 0x3b800000
	v_lshlrev_b32_e32 v3, 20, v3
	v_and_b32_e32 v6, 0x80000000, v6
	v_lshl_add_u32 v4, v4, 23, v7
	v_or3_b32 v4, v6, v4, v3
.LBB31_496:
	s_or_b64 exec, exec, s[6:7]
	s_nop 0
	v_mfma_f32_16x16x4f32 a[0:3], v2, v4, a[0:3]
	s_movk_i32 s4, 0xff
	v_and_b32_sdwa v3, v9, s4 dst_sel:DWORD dst_unused:UNUSED_PAD src0_sel:WORD_1 src1_sel:DWORD
	s_movk_i32 s4, 0x7f
	v_cmp_lt_i16_e32 vcc, s4, v3
	s_mov_b64 s[4:5], 0
                                        ; implicit-def: $sgpr10
	s_and_saveexec_b64 s[6:7], vcc
	s_xor_b64 s[6:7], exec, s[6:7]
	s_cbranch_execnz .LBB31_2545
; %bb.497:
	s_or_saveexec_b64 s[6:7], s[6:7]
	v_mov_b32_e32 v2, s10
	s_xor_b64 exec, exec, s[6:7]
	s_cbranch_execnz .LBB31_2548
.LBB31_498:
	s_or_b64 exec, exec, s[6:7]
	s_and_saveexec_b64 s[6:7], s[4:5]
	s_cbranch_execz .LBB31_500
.LBB31_499:
	v_bfe_u32 v2, v9, 16, 3
	v_ffbh_u32_e32 v6, v2
	v_min_u32_e32 v6, 32, v6
	v_lshrrev_b32_e32 v3, 19, v9
	v_subrev_u32_e32 v7, 28, v6
	v_and_b32_e32 v3, 15, v3
	v_lshlrev_b32_sdwa v7, v7, v9 dst_sel:DWORD dst_unused:UNUSED_PAD src0_sel:DWORD src1_sel:WORD_1
	v_bfe_u32 v4, v9, 19, 4
	v_sub_u32_e32 v6, 29, v6
	v_and_b32_e32 v7, 7, v7
	v_cmp_eq_u16_e32 vcc, 0, v3
	v_cndmask_b32_e32 v2, v2, v7, vcc
	v_cndmask_b32_e32 v3, v4, v6, vcc
	v_lshlrev_b32_e32 v4, 8, v9
	v_mov_b32_e32 v6, 0x3b800000
	v_lshlrev_b32_e32 v2, 20, v2
	v_and_b32_e32 v4, 0x80000000, v4
	v_lshl_add_u32 v3, v3, 23, v6
	v_or3_b32 v2, v4, v3, v2
.LBB31_500:
	s_or_b64 exec, exec, s[6:7]
	s_movk_i32 s4, 0xff
	v_and_b32_sdwa v3, v5, s4 dst_sel:DWORD dst_unused:UNUSED_PAD src0_sel:WORD_1 src1_sel:DWORD
	s_movk_i32 s4, 0x7f
	v_cmp_lt_i16_e32 vcc, s4, v3
	s_mov_b64 s[4:5], 0
                                        ; implicit-def: $sgpr10
	s_and_saveexec_b64 s[6:7], vcc
	s_xor_b64 s[6:7], exec, s[6:7]
	s_cbranch_execnz .LBB31_2549
; %bb.501:
	s_or_saveexec_b64 s[6:7], s[6:7]
	v_mov_b32_e32 v4, s10
	s_xor_b64 exec, exec, s[6:7]
	s_cbranch_execnz .LBB31_2552
.LBB31_502:
	s_or_b64 exec, exec, s[6:7]
	s_and_saveexec_b64 s[6:7], s[4:5]
	s_cbranch_execz .LBB31_504
.LBB31_503:
	v_bfe_u32 v3, v5, 16, 3
	v_ffbh_u32_e32 v7, v3
	v_min_u32_e32 v7, 32, v7
	v_lshrrev_b32_e32 v4, 19, v5
	v_subrev_u32_e32 v8, 28, v7
	v_and_b32_e32 v4, 15, v4
	v_lshlrev_b32_sdwa v8, v8, v5 dst_sel:DWORD dst_unused:UNUSED_PAD src0_sel:DWORD src1_sel:WORD_1
	v_bfe_u32 v6, v5, 19, 4
	v_sub_u32_e32 v7, 29, v7
	v_and_b32_e32 v8, 7, v8
	v_cmp_eq_u16_e32 vcc, 0, v4
	v_cndmask_b32_e32 v3, v3, v8, vcc
	v_cndmask_b32_e32 v4, v6, v7, vcc
	v_lshlrev_b32_e32 v6, 8, v5
	v_mov_b32_e32 v7, 0x3b800000
	v_lshlrev_b32_e32 v3, 20, v3
	v_and_b32_e32 v6, 0x80000000, v6
	v_lshl_add_u32 v4, v4, 23, v7
	v_or3_b32 v4, v6, v4, v3
.LBB31_504:
	s_or_b64 exec, exec, s[6:7]
	s_nop 0
	v_mfma_f32_16x16x4f32 a[0:3], v2, v4, a[0:3]
	s_movk_i32 s4, 0x7f
	v_cmp_gt_i16_sdwa s[6:7], v9, s4 src0_sel:BYTE_3 src1_sel:DWORD
	s_mov_b64 s[4:5], 0
                                        ; implicit-def: $sgpr10
	s_and_saveexec_b64 s[8:9], s[6:7]
	s_xor_b64 s[6:7], exec, s[8:9]
	s_cbranch_execnz .LBB31_2553
; %bb.505:
	s_or_saveexec_b64 s[6:7], s[6:7]
	v_mov_b32_e32 v2, s10
	s_xor_b64 exec, exec, s[6:7]
	s_cbranch_execnz .LBB31_2556
.LBB31_506:
	s_or_b64 exec, exec, s[6:7]
	s_and_saveexec_b64 s[6:7], s[4:5]
	s_cbranch_execz .LBB31_508
.LBB31_507:
	v_bfe_u32 v2, v9, 24, 3
	v_ffbh_u32_e32 v7, v2
	v_min_u32_e32 v7, 32, v7
	v_lshrrev_b32_e32 v4, 27, v9
	v_subrev_u32_e32 v8, 28, v7
	v_and_b32_e32 v4, 15, v4
	v_lshlrev_b32_sdwa v8, v8, v9 dst_sel:DWORD dst_unused:UNUSED_PAD src0_sel:DWORD src1_sel:BYTE_3
	v_bfe_u32 v6, v9, 27, 4
	v_sub_u32_e32 v7, 29, v7
	v_and_b32_e32 v8, 7, v8
	v_cmp_eq_u16_e32 vcc, 0, v4
	v_cndmask_b32_e32 v2, v2, v8, vcc
	v_cndmask_b32_e32 v4, v6, v7, vcc
	v_mov_b32_e32 v6, 0x3b800000
	v_and_b32_e32 v3, 0x80000000, v9
	v_lshlrev_b32_e32 v2, 20, v2
	v_lshl_add_u32 v4, v4, 23, v6
	v_or3_b32 v2, v3, v4, v2
.LBB31_508:
	s_or_b64 exec, exec, s[6:7]
	s_movk_i32 s4, 0x7f
	v_cmp_gt_i16_sdwa s[6:7], v5, s4 src0_sel:BYTE_3 src1_sel:DWORD
	s_mov_b64 s[4:5], 0
                                        ; implicit-def: $sgpr10
	s_and_saveexec_b64 s[8:9], s[6:7]
	s_xor_b64 s[6:7], exec, s[8:9]
	s_cbranch_execnz .LBB31_2557
; %bb.509:
	s_or_saveexec_b64 s[6:7], s[6:7]
	v_mov_b32_e32 v3, s10
	s_xor_b64 exec, exec, s[6:7]
	s_cbranch_execnz .LBB31_2560
.LBB31_510:
	s_or_b64 exec, exec, s[6:7]
	s_and_saveexec_b64 s[6:7], s[4:5]
	s_cbranch_execz .LBB31_512
.LBB31_511:
	v_bfe_u32 v3, v5, 24, 3
	v_ffbh_u32_e32 v8, v3
	v_min_u32_e32 v8, 32, v8
	v_lshrrev_b32_e32 v6, 27, v5
	v_subrev_u32_e32 v9, 28, v8
	v_and_b32_e32 v4, 0x80000000, v5
	v_and_b32_e32 v6, 15, v6
	v_bfe_u32 v7, v5, 27, 4
	v_lshlrev_b32_sdwa v5, v9, v5 dst_sel:DWORD dst_unused:UNUSED_PAD src0_sel:DWORD src1_sel:BYTE_3
	v_sub_u32_e32 v8, 29, v8
	v_and_b32_e32 v5, 7, v5
	v_cmp_eq_u16_e32 vcc, 0, v6
	v_cndmask_b32_e32 v3, v3, v5, vcc
	v_cndmask_b32_e32 v5, v7, v8, vcc
	v_mov_b32_e32 v6, 0x3b800000
	v_lshlrev_b32_e32 v3, 20, v3
	v_lshl_add_u32 v5, v5, 23, v6
	v_or3_b32 v3, v4, v5, v3
.LBB31_512:
	s_or_b64 exec, exec, s[6:7]
	s_nop 0
	v_mfma_f32_16x16x4f32 a[0:3], v2, v3, a[0:3]
	s_movk_i32 s4, 0x7f
                                        ; implicit-def: $sgpr10
	s_nop 7
	s_nop 1
	flat_store_dwordx4 v[18:19], a[0:3] offset:400
	flat_load_dwordx4 v[20:23], v[0:1] offset:16
	s_nop 0
	flat_load_dwordx2 v[18:19], v[0:1] offset:32
	s_waitcnt vmcnt(0) lgkmcnt(0)
	flat_load_dwordx4 v[14:17], v[20:21] offset:32
	flat_load_dwordx4 v[6:9], v[20:21] offset:48
	;; [unrolled: 1-line block ×4, first 2 shown]
	s_waitcnt vmcnt(0) lgkmcnt(0)
	v_cmp_gt_i16_sdwa s[6:7], v14, s4 src0_sel:BYTE_0 src1_sel:DWORD
	s_mov_b64 s[4:5], 0
	s_and_saveexec_b64 s[8:9], s[6:7]
	s_xor_b64 s[6:7], exec, s[8:9]
	s_cbranch_execnz .LBB31_2561
; %bb.513:
	s_or_saveexec_b64 s[6:7], s[6:7]
	v_mov_b32_e32 v20, s10
	s_xor_b64 exec, exec, s[6:7]
	s_cbranch_execnz .LBB31_2564
.LBB31_514:
	s_or_b64 exec, exec, s[6:7]
	s_and_saveexec_b64 s[6:7], s[4:5]
	s_cbranch_execz .LBB31_516
.LBB31_515:
	v_and_b32_e32 v20, 7, v14
	v_ffbh_u32_e32 v22, v20
	v_min_u32_e32 v22, 32, v22
	v_lshrrev_b16_e32 v21, 3, v14
	v_subrev_u32_e32 v23, 28, v22
	v_and_b32_e32 v21, 15, v21
	v_lshlrev_b32_e32 v23, v23, v14
	v_sub_u32_e32 v22, 29, v22
	v_and_b32_e32 v23, 7, v23
	v_cmp_eq_u16_e32 vcc, 0, v21
	v_cndmask_b32_e32 v20, v20, v23, vcc
	v_cndmask_b32_e32 v21, v21, v22, vcc
	v_lshlrev_b32_e32 v22, 24, v14
	v_mov_b32_e32 v23, 0x3b800000
	v_lshlrev_b32_e32 v20, 20, v20
	v_and_b32_e32 v22, 0x80000000, v22
	v_lshl_add_u32 v21, v21, 23, v23
	v_or3_b32 v20, v22, v21, v20
.LBB31_516:
	s_or_b64 exec, exec, s[6:7]
	s_movk_i32 s4, 0x7f
	v_cmp_gt_i16_sdwa s[6:7], v10, s4 src0_sel:BYTE_0 src1_sel:DWORD
	s_mov_b64 s[4:5], 0
                                        ; implicit-def: $sgpr10
	s_and_saveexec_b64 s[8:9], s[6:7]
	s_xor_b64 s[6:7], exec, s[8:9]
	s_cbranch_execnz .LBB31_2565
; %bb.517:
	s_or_saveexec_b64 s[6:7], s[6:7]
	v_mov_b32_e32 v21, s10
	s_xor_b64 exec, exec, s[6:7]
	s_cbranch_execnz .LBB31_2568
.LBB31_518:
	s_or_b64 exec, exec, s[6:7]
	s_and_saveexec_b64 s[6:7], s[4:5]
	s_cbranch_execz .LBB31_520
.LBB31_519:
	v_and_b32_e32 v21, 7, v10
	v_ffbh_u32_e32 v23, v21
	v_min_u32_e32 v23, 32, v23
	v_lshrrev_b16_e32 v22, 3, v10
	v_subrev_u32_e32 v24, 28, v23
	v_and_b32_e32 v22, 15, v22
	v_lshlrev_b32_e32 v24, v24, v10
	v_sub_u32_e32 v23, 29, v23
	v_and_b32_e32 v24, 7, v24
	v_cmp_eq_u16_e32 vcc, 0, v22
	v_cndmask_b32_e32 v21, v21, v24, vcc
	v_cndmask_b32_e32 v22, v22, v23, vcc
	v_lshlrev_b32_e32 v23, 24, v10
	v_mov_b32_e32 v24, 0x3b800000
	v_lshlrev_b32_e32 v21, 20, v21
	v_and_b32_e32 v23, 0x80000000, v23
	v_lshl_add_u32 v22, v22, 23, v24
	v_or3_b32 v21, v23, v22, v21
.LBB31_520:
	s_or_b64 exec, exec, s[6:7]
	flat_load_dwordx4 a[0:3], v[18:19] offset:416
	s_movk_i32 s4, 0x7f
                                        ; implicit-def: $sgpr10
	s_waitcnt vmcnt(0) lgkmcnt(0)
	v_mfma_f32_16x16x4f32 a[0:3], v20, v21, a[0:3]
	v_lshrrev_b32_e32 v21, 8, v14
	v_cmp_gt_i16_sdwa s[6:7], v21, s4 src0_sel:BYTE_0 src1_sel:DWORD
	s_mov_b64 s[4:5], 0
	s_and_saveexec_b64 s[8:9], s[6:7]
	s_xor_b64 s[6:7], exec, s[8:9]
	s_cbranch_execnz .LBB31_2569
; %bb.521:
	s_or_saveexec_b64 s[6:7], s[6:7]
	v_mov_b32_e32 v20, s10
	s_xor_b64 exec, exec, s[6:7]
	s_cbranch_execnz .LBB31_2572
.LBB31_522:
	s_or_b64 exec, exec, s[6:7]
	s_and_saveexec_b64 s[6:7], s[4:5]
	s_cbranch_execz .LBB31_524
.LBB31_523:
	v_bfe_u32 v20, v14, 8, 3
	v_ffbh_u32_e32 v23, v20
	v_min_u32_e32 v23, 32, v23
	v_lshrrev_b16_e32 v22, 3, v21
	v_subrev_u32_e32 v24, 28, v23
	v_and_b32_e32 v22, 15, v22
	v_lshlrev_b32_e32 v21, v24, v21
	v_sub_u32_e32 v23, 29, v23
	v_and_b32_e32 v21, 7, v21
	v_cmp_eq_u16_e32 vcc, 0, v22
	v_cndmask_b32_e32 v20, v20, v21, vcc
	v_cndmask_b32_e32 v21, v22, v23, vcc
	v_lshlrev_b32_e32 v22, 16, v14
	v_mov_b32_e32 v23, 0x3b800000
	v_lshlrev_b32_e32 v20, 20, v20
	v_and_b32_e32 v22, 0x80000000, v22
	v_lshl_add_u32 v21, v21, 23, v23
	v_or3_b32 v20, v22, v21, v20
.LBB31_524:
	s_or_b64 exec, exec, s[6:7]
	v_lshrrev_b32_e32 v21, 8, v10
	s_movk_i32 s4, 0x7f
	v_cmp_gt_i16_sdwa s[6:7], v21, s4 src0_sel:BYTE_0 src1_sel:DWORD
	s_mov_b64 s[4:5], 0
                                        ; implicit-def: $sgpr10
	s_and_saveexec_b64 s[8:9], s[6:7]
	s_xor_b64 s[6:7], exec, s[8:9]
	s_cbranch_execnz .LBB31_2573
; %bb.525:
	s_or_saveexec_b64 s[6:7], s[6:7]
	v_mov_b32_e32 v22, s10
	s_xor_b64 exec, exec, s[6:7]
	s_cbranch_execnz .LBB31_2576
.LBB31_526:
	s_or_b64 exec, exec, s[6:7]
	s_and_saveexec_b64 s[6:7], s[4:5]
	s_cbranch_execz .LBB31_528
.LBB31_527:
	v_bfe_u32 v22, v10, 8, 3
	v_ffbh_u32_e32 v24, v22
	v_min_u32_e32 v24, 32, v24
	v_lshrrev_b16_e32 v23, 3, v21
	v_subrev_u32_e32 v25, 28, v24
	v_and_b32_e32 v23, 15, v23
	v_lshlrev_b32_e32 v21, v25, v21
	v_sub_u32_e32 v24, 29, v24
	v_and_b32_e32 v21, 7, v21
	v_cmp_eq_u16_e32 vcc, 0, v23
	v_cndmask_b32_e32 v21, v22, v21, vcc
	v_cndmask_b32_e32 v22, v23, v24, vcc
	v_lshlrev_b32_e32 v23, 16, v10
	v_mov_b32_e32 v24, 0x3b800000
	v_lshlrev_b32_e32 v21, 20, v21
	v_and_b32_e32 v23, 0x80000000, v23
	v_lshl_add_u32 v22, v22, 23, v24
	v_or3_b32 v22, v23, v22, v21
.LBB31_528:
	s_or_b64 exec, exec, s[6:7]
	s_nop 0
	v_mfma_f32_16x16x4f32 a[0:3], v20, v22, a[0:3]
	s_movk_i32 s4, 0xff
	v_and_b32_sdwa v21, v14, s4 dst_sel:DWORD dst_unused:UNUSED_PAD src0_sel:WORD_1 src1_sel:DWORD
	s_movk_i32 s4, 0x7f
	v_cmp_lt_i16_e32 vcc, s4, v21
	s_mov_b64 s[4:5], 0
                                        ; implicit-def: $sgpr10
	s_and_saveexec_b64 s[6:7], vcc
	s_xor_b64 s[6:7], exec, s[6:7]
	s_cbranch_execnz .LBB31_2577
; %bb.529:
	s_or_saveexec_b64 s[6:7], s[6:7]
	v_mov_b32_e32 v20, s10
	s_xor_b64 exec, exec, s[6:7]
	s_cbranch_execnz .LBB31_2580
.LBB31_530:
	s_or_b64 exec, exec, s[6:7]
	s_and_saveexec_b64 s[6:7], s[4:5]
	s_cbranch_execz .LBB31_532
.LBB31_531:
	v_bfe_u32 v20, v14, 16, 3
	v_ffbh_u32_e32 v23, v20
	v_min_u32_e32 v23, 32, v23
	v_lshrrev_b32_e32 v21, 19, v14
	v_subrev_u32_e32 v24, 28, v23
	v_and_b32_e32 v21, 15, v21
	v_lshlrev_b32_sdwa v24, v24, v14 dst_sel:DWORD dst_unused:UNUSED_PAD src0_sel:DWORD src1_sel:WORD_1
	v_bfe_u32 v22, v14, 19, 4
	v_sub_u32_e32 v23, 29, v23
	v_and_b32_e32 v24, 7, v24
	v_cmp_eq_u16_e32 vcc, 0, v21
	v_cndmask_b32_e32 v20, v20, v24, vcc
	v_cndmask_b32_e32 v21, v22, v23, vcc
	v_lshlrev_b32_e32 v22, 8, v14
	v_mov_b32_e32 v23, 0x3b800000
	v_lshlrev_b32_e32 v20, 20, v20
	v_and_b32_e32 v22, 0x80000000, v22
	v_lshl_add_u32 v21, v21, 23, v23
	v_or3_b32 v20, v22, v21, v20
.LBB31_532:
	s_or_b64 exec, exec, s[6:7]
	s_movk_i32 s4, 0xff
	v_and_b32_sdwa v21, v10, s4 dst_sel:DWORD dst_unused:UNUSED_PAD src0_sel:WORD_1 src1_sel:DWORD
	s_movk_i32 s4, 0x7f
	v_cmp_lt_i16_e32 vcc, s4, v21
	s_mov_b64 s[4:5], 0
                                        ; implicit-def: $sgpr10
	s_and_saveexec_b64 s[6:7], vcc
	s_xor_b64 s[6:7], exec, s[6:7]
	s_cbranch_execnz .LBB31_2581
; %bb.533:
	s_or_saveexec_b64 s[6:7], s[6:7]
	v_mov_b32_e32 v22, s10
	s_xor_b64 exec, exec, s[6:7]
	s_cbranch_execnz .LBB31_2584
.LBB31_534:
	s_or_b64 exec, exec, s[6:7]
	s_and_saveexec_b64 s[6:7], s[4:5]
	s_cbranch_execz .LBB31_536
.LBB31_535:
	v_bfe_u32 v21, v10, 16, 3
	v_ffbh_u32_e32 v24, v21
	v_min_u32_e32 v24, 32, v24
	v_lshrrev_b32_e32 v22, 19, v10
	v_subrev_u32_e32 v25, 28, v24
	v_and_b32_e32 v22, 15, v22
	v_lshlrev_b32_sdwa v25, v25, v10 dst_sel:DWORD dst_unused:UNUSED_PAD src0_sel:DWORD src1_sel:WORD_1
	v_bfe_u32 v23, v10, 19, 4
	v_sub_u32_e32 v24, 29, v24
	v_and_b32_e32 v25, 7, v25
	v_cmp_eq_u16_e32 vcc, 0, v22
	v_cndmask_b32_e32 v21, v21, v25, vcc
	v_cndmask_b32_e32 v22, v23, v24, vcc
	v_lshlrev_b32_e32 v23, 8, v10
	v_mov_b32_e32 v24, 0x3b800000
	v_lshlrev_b32_e32 v21, 20, v21
	v_and_b32_e32 v23, 0x80000000, v23
	v_lshl_add_u32 v22, v22, 23, v24
	v_or3_b32 v22, v23, v22, v21
.LBB31_536:
	s_or_b64 exec, exec, s[6:7]
	s_nop 0
	v_mfma_f32_16x16x4f32 a[0:3], v20, v22, a[0:3]
	s_movk_i32 s4, 0x7f
	v_cmp_gt_i16_sdwa s[6:7], v14, s4 src0_sel:BYTE_3 src1_sel:DWORD
	s_mov_b64 s[4:5], 0
                                        ; implicit-def: $sgpr10
	s_and_saveexec_b64 s[8:9], s[6:7]
	s_xor_b64 s[6:7], exec, s[8:9]
	s_cbranch_execnz .LBB31_2585
; %bb.537:
	s_or_saveexec_b64 s[6:7], s[6:7]
	v_mov_b32_e32 v20, s10
	s_xor_b64 exec, exec, s[6:7]
	s_cbranch_execnz .LBB31_2588
.LBB31_538:
	s_or_b64 exec, exec, s[6:7]
	s_and_saveexec_b64 s[6:7], s[4:5]
	s_cbranch_execz .LBB31_540
.LBB31_539:
	v_bfe_u32 v20, v14, 24, 3
	v_ffbh_u32_e32 v24, v20
	v_min_u32_e32 v24, 32, v24
	v_lshrrev_b32_e32 v22, 27, v14
	v_subrev_u32_e32 v25, 28, v24
	v_and_b32_e32 v21, 0x80000000, v14
	v_and_b32_e32 v22, 15, v22
	v_bfe_u32 v23, v14, 27, 4
	v_lshlrev_b32_sdwa v14, v25, v14 dst_sel:DWORD dst_unused:UNUSED_PAD src0_sel:DWORD src1_sel:BYTE_3
	v_sub_u32_e32 v24, 29, v24
	v_and_b32_e32 v14, 7, v14
	v_cmp_eq_u16_e32 vcc, 0, v22
	v_cndmask_b32_e32 v14, v20, v14, vcc
	v_cndmask_b32_e32 v20, v23, v24, vcc
	v_mov_b32_e32 v22, 0x3b800000
	v_lshlrev_b32_e32 v14, 20, v14
	v_lshl_add_u32 v20, v20, 23, v22
	v_or3_b32 v20, v21, v20, v14
.LBB31_540:
	s_or_b64 exec, exec, s[6:7]
	s_movk_i32 s4, 0x7f
	v_cmp_gt_i16_sdwa s[6:7], v10, s4 src0_sel:BYTE_3 src1_sel:DWORD
	s_mov_b64 s[4:5], 0
                                        ; implicit-def: $sgpr10
	s_and_saveexec_b64 s[8:9], s[6:7]
	s_xor_b64 s[6:7], exec, s[8:9]
	s_cbranch_execnz .LBB31_2589
; %bb.541:
	s_or_saveexec_b64 s[6:7], s[6:7]
	v_mov_b32_e32 v14, s10
	s_xor_b64 exec, exec, s[6:7]
	s_cbranch_execnz .LBB31_2592
.LBB31_542:
	s_or_b64 exec, exec, s[6:7]
	s_and_saveexec_b64 s[6:7], s[4:5]
	s_cbranch_execz .LBB31_544
.LBB31_543:
	v_bfe_u32 v14, v10, 24, 3
	v_ffbh_u32_e32 v24, v14
	v_min_u32_e32 v24, 32, v24
	v_lshrrev_b32_e32 v22, 27, v10
	v_subrev_u32_e32 v25, 28, v24
	v_and_b32_e32 v21, 0x80000000, v10
	v_and_b32_e32 v22, 15, v22
	v_bfe_u32 v23, v10, 27, 4
	v_lshlrev_b32_sdwa v10, v25, v10 dst_sel:DWORD dst_unused:UNUSED_PAD src0_sel:DWORD src1_sel:BYTE_3
	v_sub_u32_e32 v24, 29, v24
	v_and_b32_e32 v10, 7, v10
	v_cmp_eq_u16_e32 vcc, 0, v22
	v_cndmask_b32_e32 v10, v14, v10, vcc
	v_cndmask_b32_e32 v14, v23, v24, vcc
	v_mov_b32_e32 v22, 0x3b800000
	v_lshlrev_b32_e32 v10, 20, v10
	v_lshl_add_u32 v14, v14, 23, v22
	v_or3_b32 v14, v21, v14, v10
.LBB31_544:
	s_or_b64 exec, exec, s[6:7]
	s_nop 0
	v_mfma_f32_16x16x4f32 a[0:3], v20, v14, a[0:3]
	s_movk_i32 s4, 0x7f
	v_cmp_gt_i16_sdwa s[6:7], v15, s4 src0_sel:BYTE_0 src1_sel:DWORD
	s_mov_b64 s[4:5], 0
                                        ; implicit-def: $sgpr10
	s_and_saveexec_b64 s[8:9], s[6:7]
	s_xor_b64 s[6:7], exec, s[8:9]
	s_cbranch_execnz .LBB31_2593
; %bb.545:
	s_or_saveexec_b64 s[6:7], s[6:7]
	v_mov_b32_e32 v10, s10
	s_xor_b64 exec, exec, s[6:7]
	s_cbranch_execnz .LBB31_2596
.LBB31_546:
	s_or_b64 exec, exec, s[6:7]
	s_and_saveexec_b64 s[6:7], s[4:5]
	s_cbranch_execz .LBB31_548
.LBB31_547:
	v_and_b32_e32 v10, 7, v15
	v_ffbh_u32_e32 v20, v10
	v_min_u32_e32 v20, 32, v20
	v_lshrrev_b16_e32 v14, 3, v15
	v_subrev_u32_e32 v21, 28, v20
	v_and_b32_e32 v14, 15, v14
	v_lshlrev_b32_e32 v21, v21, v15
	v_sub_u32_e32 v20, 29, v20
	v_and_b32_e32 v21, 7, v21
	v_cmp_eq_u16_e32 vcc, 0, v14
	v_cndmask_b32_e32 v10, v10, v21, vcc
	v_cndmask_b32_e32 v14, v14, v20, vcc
	v_lshlrev_b32_e32 v20, 24, v15
	v_mov_b32_e32 v21, 0x3b800000
	v_lshlrev_b32_e32 v10, 20, v10
	v_and_b32_e32 v20, 0x80000000, v20
	v_lshl_add_u32 v14, v14, 23, v21
	v_or3_b32 v10, v20, v14, v10
.LBB31_548:
	s_or_b64 exec, exec, s[6:7]
	s_movk_i32 s4, 0x7f
	v_cmp_gt_i16_sdwa s[6:7], v11, s4 src0_sel:BYTE_0 src1_sel:DWORD
	s_mov_b64 s[4:5], 0
                                        ; implicit-def: $sgpr10
	s_and_saveexec_b64 s[8:9], s[6:7]
	s_xor_b64 s[6:7], exec, s[8:9]
	s_cbranch_execnz .LBB31_2597
; %bb.549:
	s_or_saveexec_b64 s[6:7], s[6:7]
	v_mov_b32_e32 v14, s10
	s_xor_b64 exec, exec, s[6:7]
	s_cbranch_execnz .LBB31_2600
.LBB31_550:
	s_or_b64 exec, exec, s[6:7]
	s_and_saveexec_b64 s[6:7], s[4:5]
	s_cbranch_execz .LBB31_552
.LBB31_551:
	v_and_b32_e32 v14, 7, v11
	v_ffbh_u32_e32 v21, v14
	v_min_u32_e32 v21, 32, v21
	v_lshrrev_b16_e32 v20, 3, v11
	v_subrev_u32_e32 v22, 28, v21
	v_and_b32_e32 v20, 15, v20
	v_lshlrev_b32_e32 v22, v22, v11
	v_sub_u32_e32 v21, 29, v21
	v_and_b32_e32 v22, 7, v22
	v_cmp_eq_u16_e32 vcc, 0, v20
	v_cndmask_b32_e32 v14, v14, v22, vcc
	v_cndmask_b32_e32 v20, v20, v21, vcc
	v_lshlrev_b32_e32 v21, 24, v11
	v_mov_b32_e32 v22, 0x3b800000
	v_lshlrev_b32_e32 v14, 20, v14
	v_and_b32_e32 v21, 0x80000000, v21
	v_lshl_add_u32 v20, v20, 23, v22
	v_or3_b32 v14, v21, v20, v14
.LBB31_552:
	s_or_b64 exec, exec, s[6:7]
	s_nop 0
	v_mfma_f32_16x16x4f32 a[0:3], v10, v14, a[0:3]
	v_lshrrev_b32_e32 v14, 8, v15
	s_movk_i32 s4, 0x7f
	v_cmp_gt_i16_sdwa s[6:7], v14, s4 src0_sel:BYTE_0 src1_sel:DWORD
	s_mov_b64 s[4:5], 0
                                        ; implicit-def: $sgpr10
	s_and_saveexec_b64 s[8:9], s[6:7]
	s_xor_b64 s[6:7], exec, s[8:9]
	s_cbranch_execnz .LBB31_2601
; %bb.553:
	s_or_saveexec_b64 s[6:7], s[6:7]
	v_mov_b32_e32 v10, s10
	s_xor_b64 exec, exec, s[6:7]
	s_cbranch_execnz .LBB31_2604
.LBB31_554:
	s_or_b64 exec, exec, s[6:7]
	s_and_saveexec_b64 s[6:7], s[4:5]
	s_cbranch_execz .LBB31_556
.LBB31_555:
	v_bfe_u32 v10, v15, 8, 3
	v_ffbh_u32_e32 v21, v10
	v_min_u32_e32 v21, 32, v21
	v_lshrrev_b16_e32 v20, 3, v14
	v_subrev_u32_e32 v22, 28, v21
	v_and_b32_e32 v20, 15, v20
	v_lshlrev_b32_e32 v14, v22, v14
	v_sub_u32_e32 v21, 29, v21
	v_and_b32_e32 v14, 7, v14
	v_cmp_eq_u16_e32 vcc, 0, v20
	v_cndmask_b32_e32 v10, v10, v14, vcc
	v_cndmask_b32_e32 v14, v20, v21, vcc
	v_lshlrev_b32_e32 v20, 16, v15
	v_mov_b32_e32 v21, 0x3b800000
	v_lshlrev_b32_e32 v10, 20, v10
	v_and_b32_e32 v20, 0x80000000, v20
	v_lshl_add_u32 v14, v14, 23, v21
	v_or3_b32 v10, v20, v14, v10
.LBB31_556:
	s_or_b64 exec, exec, s[6:7]
	v_lshrrev_b32_e32 v14, 8, v11
	s_movk_i32 s4, 0x7f
	v_cmp_gt_i16_sdwa s[6:7], v14, s4 src0_sel:BYTE_0 src1_sel:DWORD
	s_mov_b64 s[4:5], 0
                                        ; implicit-def: $sgpr10
	s_and_saveexec_b64 s[8:9], s[6:7]
	s_xor_b64 s[6:7], exec, s[8:9]
	s_cbranch_execnz .LBB31_2605
; %bb.557:
	s_or_saveexec_b64 s[6:7], s[6:7]
	v_mov_b32_e32 v20, s10
	s_xor_b64 exec, exec, s[6:7]
	s_cbranch_execnz .LBB31_2608
.LBB31_558:
	s_or_b64 exec, exec, s[6:7]
	s_and_saveexec_b64 s[6:7], s[4:5]
	s_cbranch_execz .LBB31_560
.LBB31_559:
	v_bfe_u32 v20, v11, 8, 3
	v_ffbh_u32_e32 v22, v20
	v_min_u32_e32 v22, 32, v22
	v_lshrrev_b16_e32 v21, 3, v14
	v_subrev_u32_e32 v23, 28, v22
	v_and_b32_e32 v21, 15, v21
	v_lshlrev_b32_e32 v14, v23, v14
	v_sub_u32_e32 v22, 29, v22
	v_and_b32_e32 v14, 7, v14
	v_cmp_eq_u16_e32 vcc, 0, v21
	v_cndmask_b32_e32 v14, v20, v14, vcc
	v_cndmask_b32_e32 v20, v21, v22, vcc
	v_lshlrev_b32_e32 v21, 16, v11
	v_mov_b32_e32 v22, 0x3b800000
	v_lshlrev_b32_e32 v14, 20, v14
	v_and_b32_e32 v21, 0x80000000, v21
	v_lshl_add_u32 v20, v20, 23, v22
	v_or3_b32 v20, v21, v20, v14
.LBB31_560:
	s_or_b64 exec, exec, s[6:7]
	s_nop 0
	v_mfma_f32_16x16x4f32 a[0:3], v10, v20, a[0:3]
	s_movk_i32 s4, 0xff
	v_and_b32_sdwa v14, v15, s4 dst_sel:DWORD dst_unused:UNUSED_PAD src0_sel:WORD_1 src1_sel:DWORD
	s_movk_i32 s4, 0x7f
	v_cmp_lt_i16_e32 vcc, s4, v14
	s_mov_b64 s[4:5], 0
                                        ; implicit-def: $sgpr10
	s_and_saveexec_b64 s[6:7], vcc
	s_xor_b64 s[6:7], exec, s[6:7]
	s_cbranch_execnz .LBB31_2609
; %bb.561:
	s_or_saveexec_b64 s[6:7], s[6:7]
	v_mov_b32_e32 v10, s10
	s_xor_b64 exec, exec, s[6:7]
	s_cbranch_execnz .LBB31_2612
.LBB31_562:
	s_or_b64 exec, exec, s[6:7]
	s_and_saveexec_b64 s[6:7], s[4:5]
	s_cbranch_execz .LBB31_564
.LBB31_563:
	v_bfe_u32 v10, v15, 16, 3
	v_ffbh_u32_e32 v21, v10
	v_min_u32_e32 v21, 32, v21
	v_lshrrev_b32_e32 v14, 19, v15
	v_subrev_u32_e32 v22, 28, v21
	v_and_b32_e32 v14, 15, v14
	v_lshlrev_b32_sdwa v22, v22, v15 dst_sel:DWORD dst_unused:UNUSED_PAD src0_sel:DWORD src1_sel:WORD_1
	v_bfe_u32 v20, v15, 19, 4
	v_sub_u32_e32 v21, 29, v21
	v_and_b32_e32 v22, 7, v22
	v_cmp_eq_u16_e32 vcc, 0, v14
	v_cndmask_b32_e32 v10, v10, v22, vcc
	v_cndmask_b32_e32 v14, v20, v21, vcc
	v_lshlrev_b32_e32 v20, 8, v15
	v_mov_b32_e32 v21, 0x3b800000
	v_lshlrev_b32_e32 v10, 20, v10
	v_and_b32_e32 v20, 0x80000000, v20
	v_lshl_add_u32 v14, v14, 23, v21
	v_or3_b32 v10, v20, v14, v10
.LBB31_564:
	s_or_b64 exec, exec, s[6:7]
	s_movk_i32 s4, 0xff
	v_and_b32_sdwa v14, v11, s4 dst_sel:DWORD dst_unused:UNUSED_PAD src0_sel:WORD_1 src1_sel:DWORD
	s_movk_i32 s4, 0x7f
	v_cmp_lt_i16_e32 vcc, s4, v14
	s_mov_b64 s[4:5], 0
                                        ; implicit-def: $sgpr10
	s_and_saveexec_b64 s[6:7], vcc
	s_xor_b64 s[6:7], exec, s[6:7]
	s_cbranch_execnz .LBB31_2613
; %bb.565:
	s_or_saveexec_b64 s[6:7], s[6:7]
	v_mov_b32_e32 v20, s10
	s_xor_b64 exec, exec, s[6:7]
	s_cbranch_execnz .LBB31_2616
.LBB31_566:
	s_or_b64 exec, exec, s[6:7]
	s_and_saveexec_b64 s[6:7], s[4:5]
	s_cbranch_execz .LBB31_568
.LBB31_567:
	v_bfe_u32 v14, v11, 16, 3
	v_ffbh_u32_e32 v22, v14
	v_min_u32_e32 v22, 32, v22
	v_lshrrev_b32_e32 v20, 19, v11
	v_subrev_u32_e32 v23, 28, v22
	v_and_b32_e32 v20, 15, v20
	v_lshlrev_b32_sdwa v23, v23, v11 dst_sel:DWORD dst_unused:UNUSED_PAD src0_sel:DWORD src1_sel:WORD_1
	v_bfe_u32 v21, v11, 19, 4
	v_sub_u32_e32 v22, 29, v22
	v_and_b32_e32 v23, 7, v23
	v_cmp_eq_u16_e32 vcc, 0, v20
	v_cndmask_b32_e32 v14, v14, v23, vcc
	v_cndmask_b32_e32 v20, v21, v22, vcc
	v_lshlrev_b32_e32 v21, 8, v11
	v_mov_b32_e32 v22, 0x3b800000
	v_lshlrev_b32_e32 v14, 20, v14
	v_and_b32_e32 v21, 0x80000000, v21
	v_lshl_add_u32 v20, v20, 23, v22
	v_or3_b32 v20, v21, v20, v14
.LBB31_568:
	s_or_b64 exec, exec, s[6:7]
	s_nop 0
	v_mfma_f32_16x16x4f32 a[0:3], v10, v20, a[0:3]
	s_movk_i32 s4, 0x7f
	v_cmp_gt_i16_sdwa s[6:7], v15, s4 src0_sel:BYTE_3 src1_sel:DWORD
	s_mov_b64 s[4:5], 0
                                        ; implicit-def: $sgpr10
	s_and_saveexec_b64 s[8:9], s[6:7]
	s_xor_b64 s[6:7], exec, s[8:9]
	s_cbranch_execnz .LBB31_2617
; %bb.569:
	s_or_saveexec_b64 s[6:7], s[6:7]
	v_mov_b32_e32 v10, s10
	s_xor_b64 exec, exec, s[6:7]
	s_cbranch_execnz .LBB31_2620
.LBB31_570:
	s_or_b64 exec, exec, s[6:7]
	s_and_saveexec_b64 s[6:7], s[4:5]
	s_cbranch_execz .LBB31_572
.LBB31_571:
	v_bfe_u32 v10, v15, 24, 3
	v_ffbh_u32_e32 v22, v10
	v_min_u32_e32 v22, 32, v22
	v_lshrrev_b32_e32 v20, 27, v15
	v_subrev_u32_e32 v23, 28, v22
	v_and_b32_e32 v14, 0x80000000, v15
	v_and_b32_e32 v20, 15, v20
	v_bfe_u32 v21, v15, 27, 4
	v_lshlrev_b32_sdwa v15, v23, v15 dst_sel:DWORD dst_unused:UNUSED_PAD src0_sel:DWORD src1_sel:BYTE_3
	v_sub_u32_e32 v22, 29, v22
	v_and_b32_e32 v15, 7, v15
	v_cmp_eq_u16_e32 vcc, 0, v20
	v_cndmask_b32_e32 v10, v10, v15, vcc
	v_cndmask_b32_e32 v15, v21, v22, vcc
	v_mov_b32_e32 v20, 0x3b800000
	v_lshlrev_b32_e32 v10, 20, v10
	v_lshl_add_u32 v15, v15, 23, v20
	v_or3_b32 v10, v14, v15, v10
.LBB31_572:
	s_or_b64 exec, exec, s[6:7]
	s_movk_i32 s4, 0x7f
	v_cmp_gt_i16_sdwa s[6:7], v11, s4 src0_sel:BYTE_3 src1_sel:DWORD
	s_mov_b64 s[4:5], 0
                                        ; implicit-def: $sgpr10
	s_and_saveexec_b64 s[8:9], s[6:7]
	s_xor_b64 s[6:7], exec, s[8:9]
	s_cbranch_execnz .LBB31_2621
; %bb.573:
	s_or_saveexec_b64 s[6:7], s[6:7]
	v_mov_b32_e32 v14, s10
	s_xor_b64 exec, exec, s[6:7]
	s_cbranch_execnz .LBB31_2624
.LBB31_574:
	s_or_b64 exec, exec, s[6:7]
	s_and_saveexec_b64 s[6:7], s[4:5]
	s_cbranch_execz .LBB31_576
.LBB31_575:
	v_bfe_u32 v14, v11, 24, 3
	v_ffbh_u32_e32 v22, v14
	v_min_u32_e32 v22, 32, v22
	v_lshrrev_b32_e32 v20, 27, v11
	v_subrev_u32_e32 v23, 28, v22
	v_and_b32_e32 v15, 0x80000000, v11
	v_and_b32_e32 v20, 15, v20
	v_bfe_u32 v21, v11, 27, 4
	v_lshlrev_b32_sdwa v11, v23, v11 dst_sel:DWORD dst_unused:UNUSED_PAD src0_sel:DWORD src1_sel:BYTE_3
	v_sub_u32_e32 v22, 29, v22
	v_and_b32_e32 v11, 7, v11
	v_cmp_eq_u16_e32 vcc, 0, v20
	v_cndmask_b32_e32 v11, v14, v11, vcc
	v_cndmask_b32_e32 v14, v21, v22, vcc
	v_mov_b32_e32 v20, 0x3b800000
	v_lshlrev_b32_e32 v11, 20, v11
	v_lshl_add_u32 v14, v14, 23, v20
	v_or3_b32 v14, v15, v14, v11
.LBB31_576:
	s_or_b64 exec, exec, s[6:7]
	s_nop 0
	v_mfma_f32_16x16x4f32 a[0:3], v10, v14, a[0:3]
	s_movk_i32 s4, 0x7f
	v_cmp_gt_i16_sdwa s[6:7], v16, s4 src0_sel:BYTE_0 src1_sel:DWORD
	s_mov_b64 s[4:5], 0
                                        ; implicit-def: $sgpr10
	s_and_saveexec_b64 s[8:9], s[6:7]
	s_xor_b64 s[6:7], exec, s[8:9]
	s_cbranch_execnz .LBB31_2625
; %bb.577:
	s_or_saveexec_b64 s[6:7], s[6:7]
	v_mov_b32_e32 v10, s10
	s_xor_b64 exec, exec, s[6:7]
	s_cbranch_execnz .LBB31_2628
.LBB31_578:
	s_or_b64 exec, exec, s[6:7]
	s_and_saveexec_b64 s[6:7], s[4:5]
	s_cbranch_execz .LBB31_580
.LBB31_579:
	v_and_b32_e32 v10, 7, v16
	v_ffbh_u32_e32 v14, v10
	v_min_u32_e32 v14, 32, v14
	v_lshrrev_b16_e32 v11, 3, v16
	v_subrev_u32_e32 v15, 28, v14
	v_and_b32_e32 v11, 15, v11
	v_lshlrev_b32_e32 v15, v15, v16
	v_sub_u32_e32 v14, 29, v14
	v_and_b32_e32 v15, 7, v15
	v_cmp_eq_u16_e32 vcc, 0, v11
	v_cndmask_b32_e32 v10, v10, v15, vcc
	v_cndmask_b32_e32 v11, v11, v14, vcc
	v_lshlrev_b32_e32 v14, 24, v16
	v_mov_b32_e32 v15, 0x3b800000
	v_lshlrev_b32_e32 v10, 20, v10
	v_and_b32_e32 v14, 0x80000000, v14
	v_lshl_add_u32 v11, v11, 23, v15
	v_or3_b32 v10, v14, v11, v10
.LBB31_580:
	s_or_b64 exec, exec, s[6:7]
	s_movk_i32 s4, 0x7f
	v_cmp_gt_i16_sdwa s[6:7], v12, s4 src0_sel:BYTE_0 src1_sel:DWORD
	s_mov_b64 s[4:5], 0
                                        ; implicit-def: $sgpr10
	s_and_saveexec_b64 s[8:9], s[6:7]
	s_xor_b64 s[6:7], exec, s[8:9]
	s_cbranch_execnz .LBB31_2629
; %bb.581:
	s_or_saveexec_b64 s[6:7], s[6:7]
	v_mov_b32_e32 v11, s10
	s_xor_b64 exec, exec, s[6:7]
	s_cbranch_execnz .LBB31_2632
.LBB31_582:
	s_or_b64 exec, exec, s[6:7]
	s_and_saveexec_b64 s[6:7], s[4:5]
	s_cbranch_execz .LBB31_584
.LBB31_583:
	v_and_b32_e32 v11, 7, v12
	v_ffbh_u32_e32 v15, v11
	v_min_u32_e32 v15, 32, v15
	v_lshrrev_b16_e32 v14, 3, v12
	v_subrev_u32_e32 v20, 28, v15
	v_and_b32_e32 v14, 15, v14
	v_lshlrev_b32_e32 v20, v20, v12
	v_sub_u32_e32 v15, 29, v15
	v_and_b32_e32 v20, 7, v20
	v_cmp_eq_u16_e32 vcc, 0, v14
	v_cndmask_b32_e32 v11, v11, v20, vcc
	v_cndmask_b32_e32 v14, v14, v15, vcc
	v_lshlrev_b32_e32 v15, 24, v12
	v_mov_b32_e32 v20, 0x3b800000
	v_lshlrev_b32_e32 v11, 20, v11
	v_and_b32_e32 v15, 0x80000000, v15
	v_lshl_add_u32 v14, v14, 23, v20
	v_or3_b32 v11, v15, v14, v11
.LBB31_584:
	s_or_b64 exec, exec, s[6:7]
	s_nop 0
	v_mfma_f32_16x16x4f32 a[0:3], v10, v11, a[0:3]
	v_lshrrev_b32_e32 v11, 8, v16
	s_movk_i32 s4, 0x7f
	v_cmp_gt_i16_sdwa s[6:7], v11, s4 src0_sel:BYTE_0 src1_sel:DWORD
	s_mov_b64 s[4:5], 0
                                        ; implicit-def: $sgpr10
	s_and_saveexec_b64 s[8:9], s[6:7]
	s_xor_b64 s[6:7], exec, s[8:9]
	s_cbranch_execnz .LBB31_2633
; %bb.585:
	s_or_saveexec_b64 s[6:7], s[6:7]
	v_mov_b32_e32 v10, s10
	s_xor_b64 exec, exec, s[6:7]
	s_cbranch_execnz .LBB31_2636
.LBB31_586:
	s_or_b64 exec, exec, s[6:7]
	s_and_saveexec_b64 s[6:7], s[4:5]
	s_cbranch_execz .LBB31_588
.LBB31_587:
	v_bfe_u32 v10, v16, 8, 3
	v_ffbh_u32_e32 v15, v10
	v_min_u32_e32 v15, 32, v15
	v_lshrrev_b16_e32 v14, 3, v11
	v_subrev_u32_e32 v20, 28, v15
	v_and_b32_e32 v14, 15, v14
	v_lshlrev_b32_e32 v11, v20, v11
	v_sub_u32_e32 v15, 29, v15
	v_and_b32_e32 v11, 7, v11
	v_cmp_eq_u16_e32 vcc, 0, v14
	v_cndmask_b32_e32 v10, v10, v11, vcc
	v_cndmask_b32_e32 v11, v14, v15, vcc
	v_lshlrev_b32_e32 v14, 16, v16
	v_mov_b32_e32 v15, 0x3b800000
	v_lshlrev_b32_e32 v10, 20, v10
	v_and_b32_e32 v14, 0x80000000, v14
	v_lshl_add_u32 v11, v11, 23, v15
	v_or3_b32 v10, v14, v11, v10
.LBB31_588:
	s_or_b64 exec, exec, s[6:7]
	v_lshrrev_b32_e32 v11, 8, v12
	s_movk_i32 s4, 0x7f
	v_cmp_gt_i16_sdwa s[6:7], v11, s4 src0_sel:BYTE_0 src1_sel:DWORD
	s_mov_b64 s[4:5], 0
                                        ; implicit-def: $sgpr10
	s_and_saveexec_b64 s[8:9], s[6:7]
	s_xor_b64 s[6:7], exec, s[8:9]
	s_cbranch_execnz .LBB31_2637
; %bb.589:
	s_or_saveexec_b64 s[6:7], s[6:7]
	v_mov_b32_e32 v14, s10
	s_xor_b64 exec, exec, s[6:7]
	s_cbranch_execnz .LBB31_2640
.LBB31_590:
	s_or_b64 exec, exec, s[6:7]
	s_and_saveexec_b64 s[6:7], s[4:5]
	s_cbranch_execz .LBB31_592
.LBB31_591:
	v_bfe_u32 v14, v12, 8, 3
	v_ffbh_u32_e32 v20, v14
	v_min_u32_e32 v20, 32, v20
	v_lshrrev_b16_e32 v15, 3, v11
	v_subrev_u32_e32 v21, 28, v20
	v_and_b32_e32 v15, 15, v15
	v_lshlrev_b32_e32 v11, v21, v11
	v_sub_u32_e32 v20, 29, v20
	v_and_b32_e32 v11, 7, v11
	v_cmp_eq_u16_e32 vcc, 0, v15
	v_cndmask_b32_e32 v11, v14, v11, vcc
	v_cndmask_b32_e32 v14, v15, v20, vcc
	v_lshlrev_b32_e32 v15, 16, v12
	v_mov_b32_e32 v20, 0x3b800000
	v_lshlrev_b32_e32 v11, 20, v11
	v_and_b32_e32 v15, 0x80000000, v15
	v_lshl_add_u32 v14, v14, 23, v20
	v_or3_b32 v14, v15, v14, v11
.LBB31_592:
	s_or_b64 exec, exec, s[6:7]
	s_nop 0
	v_mfma_f32_16x16x4f32 a[0:3], v10, v14, a[0:3]
	s_movk_i32 s4, 0xff
	v_and_b32_sdwa v11, v16, s4 dst_sel:DWORD dst_unused:UNUSED_PAD src0_sel:WORD_1 src1_sel:DWORD
	s_movk_i32 s4, 0x7f
	v_cmp_lt_i16_e32 vcc, s4, v11
	s_mov_b64 s[4:5], 0
                                        ; implicit-def: $sgpr10
	s_and_saveexec_b64 s[6:7], vcc
	s_xor_b64 s[6:7], exec, s[6:7]
	s_cbranch_execnz .LBB31_2641
; %bb.593:
	s_or_saveexec_b64 s[6:7], s[6:7]
	v_mov_b32_e32 v10, s10
	s_xor_b64 exec, exec, s[6:7]
	s_cbranch_execnz .LBB31_2644
.LBB31_594:
	s_or_b64 exec, exec, s[6:7]
	s_and_saveexec_b64 s[6:7], s[4:5]
	s_cbranch_execz .LBB31_596
.LBB31_595:
	v_bfe_u32 v10, v16, 16, 3
	v_ffbh_u32_e32 v15, v10
	v_min_u32_e32 v15, 32, v15
	v_lshrrev_b32_e32 v11, 19, v16
	v_subrev_u32_e32 v20, 28, v15
	v_and_b32_e32 v11, 15, v11
	v_lshlrev_b32_sdwa v20, v20, v16 dst_sel:DWORD dst_unused:UNUSED_PAD src0_sel:DWORD src1_sel:WORD_1
	v_bfe_u32 v14, v16, 19, 4
	v_sub_u32_e32 v15, 29, v15
	v_and_b32_e32 v20, 7, v20
	v_cmp_eq_u16_e32 vcc, 0, v11
	v_cndmask_b32_e32 v10, v10, v20, vcc
	v_cndmask_b32_e32 v11, v14, v15, vcc
	v_lshlrev_b32_e32 v14, 8, v16
	v_mov_b32_e32 v15, 0x3b800000
	v_lshlrev_b32_e32 v10, 20, v10
	v_and_b32_e32 v14, 0x80000000, v14
	v_lshl_add_u32 v11, v11, 23, v15
	v_or3_b32 v10, v14, v11, v10
.LBB31_596:
	s_or_b64 exec, exec, s[6:7]
	s_movk_i32 s4, 0xff
	v_and_b32_sdwa v11, v12, s4 dst_sel:DWORD dst_unused:UNUSED_PAD src0_sel:WORD_1 src1_sel:DWORD
	s_movk_i32 s4, 0x7f
	v_cmp_lt_i16_e32 vcc, s4, v11
	s_mov_b64 s[4:5], 0
                                        ; implicit-def: $sgpr10
	s_and_saveexec_b64 s[6:7], vcc
	s_xor_b64 s[6:7], exec, s[6:7]
	s_cbranch_execnz .LBB31_2645
; %bb.597:
	s_or_saveexec_b64 s[6:7], s[6:7]
	v_mov_b32_e32 v14, s10
	s_xor_b64 exec, exec, s[6:7]
	s_cbranch_execnz .LBB31_2648
.LBB31_598:
	s_or_b64 exec, exec, s[6:7]
	s_and_saveexec_b64 s[6:7], s[4:5]
	s_cbranch_execz .LBB31_600
.LBB31_599:
	v_bfe_u32 v11, v12, 16, 3
	v_ffbh_u32_e32 v20, v11
	v_min_u32_e32 v20, 32, v20
	v_lshrrev_b32_e32 v14, 19, v12
	v_subrev_u32_e32 v21, 28, v20
	v_and_b32_e32 v14, 15, v14
	v_lshlrev_b32_sdwa v21, v21, v12 dst_sel:DWORD dst_unused:UNUSED_PAD src0_sel:DWORD src1_sel:WORD_1
	v_bfe_u32 v15, v12, 19, 4
	v_sub_u32_e32 v20, 29, v20
	v_and_b32_e32 v21, 7, v21
	v_cmp_eq_u16_e32 vcc, 0, v14
	v_cndmask_b32_e32 v11, v11, v21, vcc
	v_cndmask_b32_e32 v14, v15, v20, vcc
	v_lshlrev_b32_e32 v15, 8, v12
	v_mov_b32_e32 v20, 0x3b800000
	v_lshlrev_b32_e32 v11, 20, v11
	v_and_b32_e32 v15, 0x80000000, v15
	v_lshl_add_u32 v14, v14, 23, v20
	v_or3_b32 v14, v15, v14, v11
.LBB31_600:
	s_or_b64 exec, exec, s[6:7]
	s_nop 0
	v_mfma_f32_16x16x4f32 a[0:3], v10, v14, a[0:3]
	s_movk_i32 s4, 0x7f
	v_cmp_gt_i16_sdwa s[6:7], v16, s4 src0_sel:BYTE_3 src1_sel:DWORD
	s_mov_b64 s[4:5], 0
                                        ; implicit-def: $sgpr10
	s_and_saveexec_b64 s[8:9], s[6:7]
	s_xor_b64 s[6:7], exec, s[8:9]
	s_cbranch_execnz .LBB31_2649
; %bb.601:
	s_or_saveexec_b64 s[6:7], s[6:7]
	v_mov_b32_e32 v10, s10
	s_xor_b64 exec, exec, s[6:7]
	s_cbranch_execnz .LBB31_2652
.LBB31_602:
	s_or_b64 exec, exec, s[6:7]
	s_and_saveexec_b64 s[6:7], s[4:5]
	s_cbranch_execz .LBB31_604
.LBB31_603:
	v_bfe_u32 v10, v16, 24, 3
	v_ffbh_u32_e32 v20, v10
	v_min_u32_e32 v20, 32, v20
	v_lshrrev_b32_e32 v14, 27, v16
	v_subrev_u32_e32 v21, 28, v20
	v_and_b32_e32 v11, 0x80000000, v16
	v_and_b32_e32 v14, 15, v14
	v_bfe_u32 v15, v16, 27, 4
	v_lshlrev_b32_sdwa v16, v21, v16 dst_sel:DWORD dst_unused:UNUSED_PAD src0_sel:DWORD src1_sel:BYTE_3
	v_sub_u32_e32 v20, 29, v20
	v_and_b32_e32 v16, 7, v16
	v_cmp_eq_u16_e32 vcc, 0, v14
	v_cndmask_b32_e32 v10, v10, v16, vcc
	v_cndmask_b32_e32 v14, v15, v20, vcc
	v_mov_b32_e32 v15, 0x3b800000
	v_lshlrev_b32_e32 v10, 20, v10
	v_lshl_add_u32 v14, v14, 23, v15
	v_or3_b32 v10, v11, v14, v10
.LBB31_604:
	s_or_b64 exec, exec, s[6:7]
	s_movk_i32 s4, 0x7f
	v_cmp_gt_i16_sdwa s[6:7], v12, s4 src0_sel:BYTE_3 src1_sel:DWORD
	s_mov_b64 s[4:5], 0
                                        ; implicit-def: $sgpr10
	s_and_saveexec_b64 s[8:9], s[6:7]
	s_xor_b64 s[6:7], exec, s[8:9]
	s_cbranch_execnz .LBB31_2653
; %bb.605:
	s_or_saveexec_b64 s[6:7], s[6:7]
	v_mov_b32_e32 v11, s10
	s_xor_b64 exec, exec, s[6:7]
	s_cbranch_execnz .LBB31_2656
.LBB31_606:
	s_or_b64 exec, exec, s[6:7]
	s_and_saveexec_b64 s[6:7], s[4:5]
	s_cbranch_execz .LBB31_608
.LBB31_607:
	v_bfe_u32 v11, v12, 24, 3
	v_ffbh_u32_e32 v20, v11
	v_min_u32_e32 v20, 32, v20
	v_lshrrev_b32_e32 v15, 27, v12
	v_subrev_u32_e32 v21, 28, v20
	v_and_b32_e32 v14, 0x80000000, v12
	v_and_b32_e32 v15, 15, v15
	v_bfe_u32 v16, v12, 27, 4
	v_lshlrev_b32_sdwa v12, v21, v12 dst_sel:DWORD dst_unused:UNUSED_PAD src0_sel:DWORD src1_sel:BYTE_3
	v_sub_u32_e32 v20, 29, v20
	v_and_b32_e32 v12, 7, v12
	v_cmp_eq_u16_e32 vcc, 0, v15
	v_cndmask_b32_e32 v11, v11, v12, vcc
	v_cndmask_b32_e32 v12, v16, v20, vcc
	v_mov_b32_e32 v15, 0x3b800000
	v_lshlrev_b32_e32 v11, 20, v11
	v_lshl_add_u32 v12, v12, 23, v15
	v_or3_b32 v11, v14, v12, v11
.LBB31_608:
	s_or_b64 exec, exec, s[6:7]
	s_nop 0
	v_mfma_f32_16x16x4f32 a[0:3], v10, v11, a[0:3]
	s_movk_i32 s4, 0x7f
	v_cmp_gt_i16_sdwa s[6:7], v17, s4 src0_sel:BYTE_0 src1_sel:DWORD
	s_mov_b64 s[4:5], 0
                                        ; implicit-def: $sgpr10
	s_and_saveexec_b64 s[8:9], s[6:7]
	s_xor_b64 s[6:7], exec, s[8:9]
	s_cbranch_execnz .LBB31_2657
; %bb.609:
	s_or_saveexec_b64 s[6:7], s[6:7]
	v_mov_b32_e32 v10, s10
	s_xor_b64 exec, exec, s[6:7]
	s_cbranch_execnz .LBB31_2660
.LBB31_610:
	s_or_b64 exec, exec, s[6:7]
	s_and_saveexec_b64 s[6:7], s[4:5]
	s_cbranch_execz .LBB31_612
.LBB31_611:
	v_and_b32_e32 v10, 7, v17
	v_ffbh_u32_e32 v12, v10
	v_min_u32_e32 v12, 32, v12
	v_lshrrev_b16_e32 v11, 3, v17
	v_subrev_u32_e32 v14, 28, v12
	v_and_b32_e32 v11, 15, v11
	v_lshlrev_b32_e32 v14, v14, v17
	v_sub_u32_e32 v12, 29, v12
	v_and_b32_e32 v14, 7, v14
	v_cmp_eq_u16_e32 vcc, 0, v11
	v_cndmask_b32_e32 v10, v10, v14, vcc
	v_cndmask_b32_e32 v11, v11, v12, vcc
	v_lshlrev_b32_e32 v12, 24, v17
	v_mov_b32_e32 v14, 0x3b800000
	v_lshlrev_b32_e32 v10, 20, v10
	v_and_b32_e32 v12, 0x80000000, v12
	v_lshl_add_u32 v11, v11, 23, v14
	v_or3_b32 v10, v12, v11, v10
.LBB31_612:
	s_or_b64 exec, exec, s[6:7]
	s_movk_i32 s4, 0x7f
	v_cmp_gt_i16_sdwa s[6:7], v13, s4 src0_sel:BYTE_0 src1_sel:DWORD
	s_mov_b64 s[4:5], 0
                                        ; implicit-def: $sgpr10
	s_and_saveexec_b64 s[8:9], s[6:7]
	s_xor_b64 s[6:7], exec, s[8:9]
	s_cbranch_execnz .LBB31_2661
; %bb.613:
	s_or_saveexec_b64 s[6:7], s[6:7]
	v_mov_b32_e32 v11, s10
	s_xor_b64 exec, exec, s[6:7]
	s_cbranch_execnz .LBB31_2664
.LBB31_614:
	s_or_b64 exec, exec, s[6:7]
	s_and_saveexec_b64 s[6:7], s[4:5]
	s_cbranch_execz .LBB31_616
.LBB31_615:
	v_and_b32_e32 v11, 7, v13
	v_ffbh_u32_e32 v14, v11
	v_min_u32_e32 v14, 32, v14
	v_lshrrev_b16_e32 v12, 3, v13
	v_subrev_u32_e32 v15, 28, v14
	v_and_b32_e32 v12, 15, v12
	v_lshlrev_b32_e32 v15, v15, v13
	v_sub_u32_e32 v14, 29, v14
	v_and_b32_e32 v15, 7, v15
	v_cmp_eq_u16_e32 vcc, 0, v12
	v_cndmask_b32_e32 v11, v11, v15, vcc
	v_cndmask_b32_e32 v12, v12, v14, vcc
	v_lshlrev_b32_e32 v14, 24, v13
	v_mov_b32_e32 v15, 0x3b800000
	v_lshlrev_b32_e32 v11, 20, v11
	v_and_b32_e32 v14, 0x80000000, v14
	v_lshl_add_u32 v12, v12, 23, v15
	v_or3_b32 v11, v14, v12, v11
.LBB31_616:
	s_or_b64 exec, exec, s[6:7]
	s_nop 0
	v_mfma_f32_16x16x4f32 a[0:3], v10, v11, a[0:3]
	v_lshrrev_b32_e32 v11, 8, v17
	s_movk_i32 s4, 0x7f
	v_cmp_gt_i16_sdwa s[6:7], v11, s4 src0_sel:BYTE_0 src1_sel:DWORD
	s_mov_b64 s[4:5], 0
                                        ; implicit-def: $sgpr10
	s_and_saveexec_b64 s[8:9], s[6:7]
	s_xor_b64 s[6:7], exec, s[8:9]
	s_cbranch_execnz .LBB31_2665
; %bb.617:
	s_or_saveexec_b64 s[6:7], s[6:7]
	v_mov_b32_e32 v10, s10
	s_xor_b64 exec, exec, s[6:7]
	s_cbranch_execnz .LBB31_2668
.LBB31_618:
	s_or_b64 exec, exec, s[6:7]
	s_and_saveexec_b64 s[6:7], s[4:5]
	s_cbranch_execz .LBB31_620
.LBB31_619:
	v_bfe_u32 v10, v17, 8, 3
	v_ffbh_u32_e32 v14, v10
	v_min_u32_e32 v14, 32, v14
	v_lshrrev_b16_e32 v12, 3, v11
	v_subrev_u32_e32 v15, 28, v14
	v_and_b32_e32 v12, 15, v12
	v_lshlrev_b32_e32 v11, v15, v11
	v_sub_u32_e32 v14, 29, v14
	v_and_b32_e32 v11, 7, v11
	v_cmp_eq_u16_e32 vcc, 0, v12
	v_cndmask_b32_e32 v10, v10, v11, vcc
	v_cndmask_b32_e32 v11, v12, v14, vcc
	v_lshlrev_b32_e32 v12, 16, v17
	v_mov_b32_e32 v14, 0x3b800000
	v_lshlrev_b32_e32 v10, 20, v10
	v_and_b32_e32 v12, 0x80000000, v12
	v_lshl_add_u32 v11, v11, 23, v14
	v_or3_b32 v10, v12, v11, v10
.LBB31_620:
	s_or_b64 exec, exec, s[6:7]
	v_lshrrev_b32_e32 v11, 8, v13
	s_movk_i32 s4, 0x7f
	v_cmp_gt_i16_sdwa s[6:7], v11, s4 src0_sel:BYTE_0 src1_sel:DWORD
	s_mov_b64 s[4:5], 0
                                        ; implicit-def: $sgpr10
	s_and_saveexec_b64 s[8:9], s[6:7]
	s_xor_b64 s[6:7], exec, s[8:9]
	s_cbranch_execnz .LBB31_2669
; %bb.621:
	s_or_saveexec_b64 s[6:7], s[6:7]
	v_mov_b32_e32 v12, s10
	s_xor_b64 exec, exec, s[6:7]
	s_cbranch_execnz .LBB31_2672
.LBB31_622:
	s_or_b64 exec, exec, s[6:7]
	s_and_saveexec_b64 s[6:7], s[4:5]
	s_cbranch_execz .LBB31_624
.LBB31_623:
	v_bfe_u32 v12, v13, 8, 3
	v_ffbh_u32_e32 v15, v12
	v_min_u32_e32 v15, 32, v15
	v_lshrrev_b16_e32 v14, 3, v11
	v_subrev_u32_e32 v16, 28, v15
	v_and_b32_e32 v14, 15, v14
	v_lshlrev_b32_e32 v11, v16, v11
	v_sub_u32_e32 v15, 29, v15
	v_and_b32_e32 v11, 7, v11
	v_cmp_eq_u16_e32 vcc, 0, v14
	v_cndmask_b32_e32 v11, v12, v11, vcc
	v_cndmask_b32_e32 v12, v14, v15, vcc
	v_lshlrev_b32_e32 v14, 16, v13
	v_mov_b32_e32 v15, 0x3b800000
	v_lshlrev_b32_e32 v11, 20, v11
	v_and_b32_e32 v14, 0x80000000, v14
	v_lshl_add_u32 v12, v12, 23, v15
	v_or3_b32 v12, v14, v12, v11
.LBB31_624:
	s_or_b64 exec, exec, s[6:7]
	s_nop 0
	v_mfma_f32_16x16x4f32 a[0:3], v10, v12, a[0:3]
	s_movk_i32 s4, 0xff
	v_and_b32_sdwa v11, v17, s4 dst_sel:DWORD dst_unused:UNUSED_PAD src0_sel:WORD_1 src1_sel:DWORD
	s_movk_i32 s4, 0x7f
	v_cmp_lt_i16_e32 vcc, s4, v11
	s_mov_b64 s[4:5], 0
                                        ; implicit-def: $sgpr10
	s_and_saveexec_b64 s[6:7], vcc
	s_xor_b64 s[6:7], exec, s[6:7]
	s_cbranch_execnz .LBB31_2673
; %bb.625:
	s_or_saveexec_b64 s[6:7], s[6:7]
	v_mov_b32_e32 v10, s10
	s_xor_b64 exec, exec, s[6:7]
	s_cbranch_execnz .LBB31_2676
.LBB31_626:
	s_or_b64 exec, exec, s[6:7]
	s_and_saveexec_b64 s[6:7], s[4:5]
	s_cbranch_execz .LBB31_628
.LBB31_627:
	v_bfe_u32 v10, v17, 16, 3
	v_ffbh_u32_e32 v14, v10
	v_min_u32_e32 v14, 32, v14
	v_lshrrev_b32_e32 v11, 19, v17
	v_subrev_u32_e32 v15, 28, v14
	v_and_b32_e32 v11, 15, v11
	v_lshlrev_b32_sdwa v15, v15, v17 dst_sel:DWORD dst_unused:UNUSED_PAD src0_sel:DWORD src1_sel:WORD_1
	v_bfe_u32 v12, v17, 19, 4
	v_sub_u32_e32 v14, 29, v14
	v_and_b32_e32 v15, 7, v15
	v_cmp_eq_u16_e32 vcc, 0, v11
	v_cndmask_b32_e32 v10, v10, v15, vcc
	v_cndmask_b32_e32 v11, v12, v14, vcc
	v_lshlrev_b32_e32 v12, 8, v17
	v_mov_b32_e32 v14, 0x3b800000
	v_lshlrev_b32_e32 v10, 20, v10
	v_and_b32_e32 v12, 0x80000000, v12
	v_lshl_add_u32 v11, v11, 23, v14
	v_or3_b32 v10, v12, v11, v10
.LBB31_628:
	s_or_b64 exec, exec, s[6:7]
	s_movk_i32 s4, 0xff
	v_and_b32_sdwa v11, v13, s4 dst_sel:DWORD dst_unused:UNUSED_PAD src0_sel:WORD_1 src1_sel:DWORD
	s_movk_i32 s4, 0x7f
	v_cmp_lt_i16_e32 vcc, s4, v11
	s_mov_b64 s[4:5], 0
                                        ; implicit-def: $sgpr10
	s_and_saveexec_b64 s[6:7], vcc
	s_xor_b64 s[6:7], exec, s[6:7]
	s_cbranch_execnz .LBB31_2677
; %bb.629:
	s_or_saveexec_b64 s[6:7], s[6:7]
	v_mov_b32_e32 v12, s10
	s_xor_b64 exec, exec, s[6:7]
	s_cbranch_execnz .LBB31_2680
.LBB31_630:
	s_or_b64 exec, exec, s[6:7]
	s_and_saveexec_b64 s[6:7], s[4:5]
	s_cbranch_execz .LBB31_632
.LBB31_631:
	v_bfe_u32 v11, v13, 16, 3
	v_ffbh_u32_e32 v15, v11
	v_min_u32_e32 v15, 32, v15
	v_lshrrev_b32_e32 v12, 19, v13
	v_subrev_u32_e32 v16, 28, v15
	v_and_b32_e32 v12, 15, v12
	v_lshlrev_b32_sdwa v16, v16, v13 dst_sel:DWORD dst_unused:UNUSED_PAD src0_sel:DWORD src1_sel:WORD_1
	v_bfe_u32 v14, v13, 19, 4
	v_sub_u32_e32 v15, 29, v15
	v_and_b32_e32 v16, 7, v16
	v_cmp_eq_u16_e32 vcc, 0, v12
	v_cndmask_b32_e32 v11, v11, v16, vcc
	v_cndmask_b32_e32 v12, v14, v15, vcc
	v_lshlrev_b32_e32 v14, 8, v13
	v_mov_b32_e32 v15, 0x3b800000
	v_lshlrev_b32_e32 v11, 20, v11
	v_and_b32_e32 v14, 0x80000000, v14
	v_lshl_add_u32 v12, v12, 23, v15
	v_or3_b32 v12, v14, v12, v11
.LBB31_632:
	s_or_b64 exec, exec, s[6:7]
	s_nop 0
	v_mfma_f32_16x16x4f32 a[0:3], v10, v12, a[0:3]
	s_movk_i32 s4, 0x7f
	v_cmp_gt_i16_sdwa s[6:7], v17, s4 src0_sel:BYTE_3 src1_sel:DWORD
	s_mov_b64 s[4:5], 0
                                        ; implicit-def: $sgpr10
	s_and_saveexec_b64 s[8:9], s[6:7]
	s_xor_b64 s[6:7], exec, s[8:9]
	s_cbranch_execnz .LBB31_2681
; %bb.633:
	s_or_saveexec_b64 s[6:7], s[6:7]
	v_mov_b32_e32 v10, s10
	s_xor_b64 exec, exec, s[6:7]
	s_cbranch_execnz .LBB31_2684
.LBB31_634:
	s_or_b64 exec, exec, s[6:7]
	s_and_saveexec_b64 s[6:7], s[4:5]
	s_cbranch_execz .LBB31_636
.LBB31_635:
	v_bfe_u32 v10, v17, 24, 3
	v_ffbh_u32_e32 v15, v10
	v_min_u32_e32 v15, 32, v15
	v_lshrrev_b32_e32 v12, 27, v17
	v_subrev_u32_e32 v16, 28, v15
	v_and_b32_e32 v12, 15, v12
	v_lshlrev_b32_sdwa v16, v16, v17 dst_sel:DWORD dst_unused:UNUSED_PAD src0_sel:DWORD src1_sel:BYTE_3
	v_bfe_u32 v14, v17, 27, 4
	v_sub_u32_e32 v15, 29, v15
	v_and_b32_e32 v16, 7, v16
	v_cmp_eq_u16_e32 vcc, 0, v12
	v_cndmask_b32_e32 v10, v10, v16, vcc
	v_cndmask_b32_e32 v12, v14, v15, vcc
	v_mov_b32_e32 v14, 0x3b800000
	v_and_b32_e32 v11, 0x80000000, v17
	v_lshlrev_b32_e32 v10, 20, v10
	v_lshl_add_u32 v12, v12, 23, v14
	v_or3_b32 v10, v11, v12, v10
.LBB31_636:
	s_or_b64 exec, exec, s[6:7]
	s_movk_i32 s4, 0x7f
	v_cmp_gt_i16_sdwa s[6:7], v13, s4 src0_sel:BYTE_3 src1_sel:DWORD
	s_mov_b64 s[4:5], 0
                                        ; implicit-def: $sgpr10
	s_and_saveexec_b64 s[8:9], s[6:7]
	s_xor_b64 s[6:7], exec, s[8:9]
	s_cbranch_execnz .LBB31_2685
; %bb.637:
	s_or_saveexec_b64 s[6:7], s[6:7]
	v_mov_b32_e32 v11, s10
	s_xor_b64 exec, exec, s[6:7]
	s_cbranch_execnz .LBB31_2688
.LBB31_638:
	s_or_b64 exec, exec, s[6:7]
	s_and_saveexec_b64 s[6:7], s[4:5]
	s_cbranch_execz .LBB31_640
.LBB31_639:
	v_bfe_u32 v11, v13, 24, 3
	v_ffbh_u32_e32 v16, v11
	v_min_u32_e32 v16, 32, v16
	v_lshrrev_b32_e32 v14, 27, v13
	v_subrev_u32_e32 v17, 28, v16
	v_and_b32_e32 v12, 0x80000000, v13
	v_and_b32_e32 v14, 15, v14
	v_bfe_u32 v15, v13, 27, 4
	v_lshlrev_b32_sdwa v13, v17, v13 dst_sel:DWORD dst_unused:UNUSED_PAD src0_sel:DWORD src1_sel:BYTE_3
	v_sub_u32_e32 v16, 29, v16
	v_and_b32_e32 v13, 7, v13
	v_cmp_eq_u16_e32 vcc, 0, v14
	v_cndmask_b32_e32 v11, v11, v13, vcc
	v_cndmask_b32_e32 v13, v15, v16, vcc
	v_mov_b32_e32 v14, 0x3b800000
	v_lshlrev_b32_e32 v11, 20, v11
	v_lshl_add_u32 v13, v13, 23, v14
	v_or3_b32 v11, v12, v13, v11
.LBB31_640:
	s_or_b64 exec, exec, s[6:7]
	s_nop 0
	v_mfma_f32_16x16x4f32 a[0:3], v10, v11, a[0:3]
	s_movk_i32 s4, 0x7f
	v_cmp_gt_i16_sdwa s[6:7], v6, s4 src0_sel:BYTE_0 src1_sel:DWORD
	s_mov_b64 s[4:5], 0
                                        ; implicit-def: $sgpr10
	s_and_saveexec_b64 s[8:9], s[6:7]
	s_xor_b64 s[6:7], exec, s[8:9]
	s_cbranch_execnz .LBB31_2689
; %bb.641:
	s_or_saveexec_b64 s[6:7], s[6:7]
	v_mov_b32_e32 v10, s10
	s_xor_b64 exec, exec, s[6:7]
	s_cbranch_execnz .LBB31_2692
.LBB31_642:
	s_or_b64 exec, exec, s[6:7]
	s_and_saveexec_b64 s[6:7], s[4:5]
	s_cbranch_execz .LBB31_644
.LBB31_643:
	v_and_b32_e32 v10, 7, v6
	v_ffbh_u32_e32 v12, v10
	v_min_u32_e32 v12, 32, v12
	v_lshrrev_b16_e32 v11, 3, v6
	v_subrev_u32_e32 v13, 28, v12
	v_and_b32_e32 v11, 15, v11
	v_lshlrev_b32_e32 v13, v13, v6
	v_sub_u32_e32 v12, 29, v12
	v_and_b32_e32 v13, 7, v13
	v_cmp_eq_u16_e32 vcc, 0, v11
	v_cndmask_b32_e32 v10, v10, v13, vcc
	v_cndmask_b32_e32 v11, v11, v12, vcc
	v_lshlrev_b32_e32 v12, 24, v6
	v_mov_b32_e32 v13, 0x3b800000
	v_lshlrev_b32_e32 v10, 20, v10
	v_and_b32_e32 v12, 0x80000000, v12
	v_lshl_add_u32 v11, v11, 23, v13
	v_or3_b32 v10, v12, v11, v10
.LBB31_644:
	s_or_b64 exec, exec, s[6:7]
	s_movk_i32 s4, 0x7f
	v_cmp_gt_i16_sdwa s[6:7], v2, s4 src0_sel:BYTE_0 src1_sel:DWORD
	s_mov_b64 s[4:5], 0
                                        ; implicit-def: $sgpr10
	s_and_saveexec_b64 s[8:9], s[6:7]
	s_xor_b64 s[6:7], exec, s[8:9]
	s_cbranch_execnz .LBB31_2693
; %bb.645:
	s_or_saveexec_b64 s[6:7], s[6:7]
	v_mov_b32_e32 v11, s10
	s_xor_b64 exec, exec, s[6:7]
	s_cbranch_execnz .LBB31_2696
.LBB31_646:
	s_or_b64 exec, exec, s[6:7]
	s_and_saveexec_b64 s[6:7], s[4:5]
	s_cbranch_execz .LBB31_648
.LBB31_647:
	v_and_b32_e32 v11, 7, v2
	v_ffbh_u32_e32 v13, v11
	v_min_u32_e32 v13, 32, v13
	v_lshrrev_b16_e32 v12, 3, v2
	v_subrev_u32_e32 v14, 28, v13
	v_and_b32_e32 v12, 15, v12
	v_lshlrev_b32_e32 v14, v14, v2
	v_sub_u32_e32 v13, 29, v13
	v_and_b32_e32 v14, 7, v14
	v_cmp_eq_u16_e32 vcc, 0, v12
	v_cndmask_b32_e32 v11, v11, v14, vcc
	v_cndmask_b32_e32 v12, v12, v13, vcc
	v_lshlrev_b32_e32 v13, 24, v2
	v_mov_b32_e32 v14, 0x3b800000
	v_lshlrev_b32_e32 v11, 20, v11
	v_and_b32_e32 v13, 0x80000000, v13
	v_lshl_add_u32 v12, v12, 23, v14
	v_or3_b32 v11, v13, v12, v11
.LBB31_648:
	s_or_b64 exec, exec, s[6:7]
	s_nop 0
	v_mfma_f32_16x16x4f32 a[0:3], v10, v11, a[0:3]
	v_lshrrev_b32_e32 v11, 8, v6
	s_movk_i32 s4, 0x7f
	v_cmp_gt_i16_sdwa s[6:7], v11, s4 src0_sel:BYTE_0 src1_sel:DWORD
	s_mov_b64 s[4:5], 0
                                        ; implicit-def: $sgpr10
	s_and_saveexec_b64 s[8:9], s[6:7]
	s_xor_b64 s[6:7], exec, s[8:9]
	s_cbranch_execnz .LBB31_2697
; %bb.649:
	s_or_saveexec_b64 s[6:7], s[6:7]
	v_mov_b32_e32 v10, s10
	s_xor_b64 exec, exec, s[6:7]
	s_cbranch_execnz .LBB31_2700
.LBB31_650:
	s_or_b64 exec, exec, s[6:7]
	s_and_saveexec_b64 s[6:7], s[4:5]
	s_cbranch_execz .LBB31_652
.LBB31_651:
	v_bfe_u32 v10, v6, 8, 3
	v_ffbh_u32_e32 v13, v10
	v_min_u32_e32 v13, 32, v13
	v_lshrrev_b16_e32 v12, 3, v11
	v_subrev_u32_e32 v14, 28, v13
	v_and_b32_e32 v12, 15, v12
	v_lshlrev_b32_e32 v11, v14, v11
	v_sub_u32_e32 v13, 29, v13
	v_and_b32_e32 v11, 7, v11
	v_cmp_eq_u16_e32 vcc, 0, v12
	v_cndmask_b32_e32 v10, v10, v11, vcc
	v_cndmask_b32_e32 v11, v12, v13, vcc
	v_lshlrev_b32_e32 v12, 16, v6
	v_mov_b32_e32 v13, 0x3b800000
	v_lshlrev_b32_e32 v10, 20, v10
	v_and_b32_e32 v12, 0x80000000, v12
	v_lshl_add_u32 v11, v11, 23, v13
	v_or3_b32 v10, v12, v11, v10
.LBB31_652:
	s_or_b64 exec, exec, s[6:7]
	v_lshrrev_b32_e32 v11, 8, v2
	s_movk_i32 s4, 0x7f
	v_cmp_gt_i16_sdwa s[6:7], v11, s4 src0_sel:BYTE_0 src1_sel:DWORD
	s_mov_b64 s[4:5], 0
                                        ; implicit-def: $sgpr10
	s_and_saveexec_b64 s[8:9], s[6:7]
	s_xor_b64 s[6:7], exec, s[8:9]
	s_cbranch_execnz .LBB31_2701
; %bb.653:
	s_or_saveexec_b64 s[6:7], s[6:7]
	v_mov_b32_e32 v12, s10
	s_xor_b64 exec, exec, s[6:7]
	s_cbranch_execnz .LBB31_2704
.LBB31_654:
	s_or_b64 exec, exec, s[6:7]
	s_and_saveexec_b64 s[6:7], s[4:5]
	s_cbranch_execz .LBB31_656
.LBB31_655:
	v_bfe_u32 v12, v2, 8, 3
	v_ffbh_u32_e32 v14, v12
	v_min_u32_e32 v14, 32, v14
	v_lshrrev_b16_e32 v13, 3, v11
	v_subrev_u32_e32 v15, 28, v14
	v_and_b32_e32 v13, 15, v13
	v_lshlrev_b32_e32 v11, v15, v11
	v_sub_u32_e32 v14, 29, v14
	v_and_b32_e32 v11, 7, v11
	v_cmp_eq_u16_e32 vcc, 0, v13
	v_cndmask_b32_e32 v11, v12, v11, vcc
	v_cndmask_b32_e32 v12, v13, v14, vcc
	v_lshlrev_b32_e32 v13, 16, v2
	v_mov_b32_e32 v14, 0x3b800000
	v_lshlrev_b32_e32 v11, 20, v11
	v_and_b32_e32 v13, 0x80000000, v13
	v_lshl_add_u32 v12, v12, 23, v14
	v_or3_b32 v12, v13, v12, v11
.LBB31_656:
	s_or_b64 exec, exec, s[6:7]
	s_nop 0
	v_mfma_f32_16x16x4f32 a[0:3], v10, v12, a[0:3]
	s_movk_i32 s4, 0xff
	v_and_b32_sdwa v11, v6, s4 dst_sel:DWORD dst_unused:UNUSED_PAD src0_sel:WORD_1 src1_sel:DWORD
	s_movk_i32 s4, 0x7f
	v_cmp_lt_i16_e32 vcc, s4, v11
	s_mov_b64 s[4:5], 0
                                        ; implicit-def: $sgpr10
	s_and_saveexec_b64 s[6:7], vcc
	s_xor_b64 s[6:7], exec, s[6:7]
	s_cbranch_execnz .LBB31_2705
; %bb.657:
	s_or_saveexec_b64 s[6:7], s[6:7]
	v_mov_b32_e32 v10, s10
	s_xor_b64 exec, exec, s[6:7]
	s_cbranch_execnz .LBB31_2708
.LBB31_658:
	s_or_b64 exec, exec, s[6:7]
	s_and_saveexec_b64 s[6:7], s[4:5]
	s_cbranch_execz .LBB31_660
.LBB31_659:
	v_bfe_u32 v10, v6, 16, 3
	v_ffbh_u32_e32 v13, v10
	v_min_u32_e32 v13, 32, v13
	v_lshrrev_b32_e32 v11, 19, v6
	v_subrev_u32_e32 v14, 28, v13
	v_and_b32_e32 v11, 15, v11
	v_lshlrev_b32_sdwa v14, v14, v6 dst_sel:DWORD dst_unused:UNUSED_PAD src0_sel:DWORD src1_sel:WORD_1
	v_bfe_u32 v12, v6, 19, 4
	v_sub_u32_e32 v13, 29, v13
	v_and_b32_e32 v14, 7, v14
	v_cmp_eq_u16_e32 vcc, 0, v11
	v_cndmask_b32_e32 v10, v10, v14, vcc
	v_cndmask_b32_e32 v11, v12, v13, vcc
	v_lshlrev_b32_e32 v12, 8, v6
	v_mov_b32_e32 v13, 0x3b800000
	v_lshlrev_b32_e32 v10, 20, v10
	v_and_b32_e32 v12, 0x80000000, v12
	v_lshl_add_u32 v11, v11, 23, v13
	v_or3_b32 v10, v12, v11, v10
.LBB31_660:
	s_or_b64 exec, exec, s[6:7]
	s_movk_i32 s4, 0xff
	v_and_b32_sdwa v11, v2, s4 dst_sel:DWORD dst_unused:UNUSED_PAD src0_sel:WORD_1 src1_sel:DWORD
	s_movk_i32 s4, 0x7f
	v_cmp_lt_i16_e32 vcc, s4, v11
	s_mov_b64 s[4:5], 0
                                        ; implicit-def: $sgpr10
	s_and_saveexec_b64 s[6:7], vcc
	s_xor_b64 s[6:7], exec, s[6:7]
	s_cbranch_execnz .LBB31_2709
; %bb.661:
	s_or_saveexec_b64 s[6:7], s[6:7]
	v_mov_b32_e32 v12, s10
	s_xor_b64 exec, exec, s[6:7]
	s_cbranch_execnz .LBB31_2712
.LBB31_662:
	s_or_b64 exec, exec, s[6:7]
	s_and_saveexec_b64 s[6:7], s[4:5]
	s_cbranch_execz .LBB31_664
.LBB31_663:
	v_bfe_u32 v11, v2, 16, 3
	v_ffbh_u32_e32 v14, v11
	v_min_u32_e32 v14, 32, v14
	v_lshrrev_b32_e32 v12, 19, v2
	v_subrev_u32_e32 v15, 28, v14
	v_and_b32_e32 v12, 15, v12
	v_lshlrev_b32_sdwa v15, v15, v2 dst_sel:DWORD dst_unused:UNUSED_PAD src0_sel:DWORD src1_sel:WORD_1
	v_bfe_u32 v13, v2, 19, 4
	v_sub_u32_e32 v14, 29, v14
	v_and_b32_e32 v15, 7, v15
	v_cmp_eq_u16_e32 vcc, 0, v12
	v_cndmask_b32_e32 v11, v11, v15, vcc
	v_cndmask_b32_e32 v12, v13, v14, vcc
	v_lshlrev_b32_e32 v13, 8, v2
	v_mov_b32_e32 v14, 0x3b800000
	v_lshlrev_b32_e32 v11, 20, v11
	v_and_b32_e32 v13, 0x80000000, v13
	v_lshl_add_u32 v12, v12, 23, v14
	v_or3_b32 v12, v13, v12, v11
.LBB31_664:
	s_or_b64 exec, exec, s[6:7]
	s_nop 0
	v_mfma_f32_16x16x4f32 a[0:3], v10, v12, a[0:3]
	s_movk_i32 s4, 0x7f
	v_cmp_gt_i16_sdwa s[6:7], v6, s4 src0_sel:BYTE_3 src1_sel:DWORD
	s_mov_b64 s[4:5], 0
                                        ; implicit-def: $sgpr10
	s_and_saveexec_b64 s[8:9], s[6:7]
	s_xor_b64 s[6:7], exec, s[8:9]
	s_cbranch_execnz .LBB31_2713
; %bb.665:
	s_or_saveexec_b64 s[6:7], s[6:7]
	v_mov_b32_e32 v10, s10
	s_xor_b64 exec, exec, s[6:7]
	s_cbranch_execnz .LBB31_2716
.LBB31_666:
	s_or_b64 exec, exec, s[6:7]
	s_and_saveexec_b64 s[6:7], s[4:5]
	s_cbranch_execz .LBB31_668
.LBB31_667:
	v_bfe_u32 v10, v6, 24, 3
	v_ffbh_u32_e32 v14, v10
	v_min_u32_e32 v14, 32, v14
	v_lshrrev_b32_e32 v12, 27, v6
	v_subrev_u32_e32 v15, 28, v14
	v_and_b32_e32 v11, 0x80000000, v6
	v_and_b32_e32 v12, 15, v12
	v_bfe_u32 v13, v6, 27, 4
	v_lshlrev_b32_sdwa v6, v15, v6 dst_sel:DWORD dst_unused:UNUSED_PAD src0_sel:DWORD src1_sel:BYTE_3
	v_sub_u32_e32 v14, 29, v14
	v_and_b32_e32 v6, 7, v6
	v_cmp_eq_u16_e32 vcc, 0, v12
	v_cndmask_b32_e32 v6, v10, v6, vcc
	v_cndmask_b32_e32 v10, v13, v14, vcc
	v_mov_b32_e32 v12, 0x3b800000
	v_lshlrev_b32_e32 v6, 20, v6
	v_lshl_add_u32 v10, v10, 23, v12
	v_or3_b32 v10, v11, v10, v6
.LBB31_668:
	s_or_b64 exec, exec, s[6:7]
	s_movk_i32 s4, 0x7f
	v_cmp_gt_i16_sdwa s[6:7], v2, s4 src0_sel:BYTE_3 src1_sel:DWORD
	s_mov_b64 s[4:5], 0
                                        ; implicit-def: $sgpr10
	s_and_saveexec_b64 s[8:9], s[6:7]
	s_xor_b64 s[6:7], exec, s[8:9]
	s_cbranch_execnz .LBB31_2717
; %bb.669:
	s_or_saveexec_b64 s[6:7], s[6:7]
	v_mov_b32_e32 v6, s10
	s_xor_b64 exec, exec, s[6:7]
	s_cbranch_execnz .LBB31_2720
.LBB31_670:
	s_or_b64 exec, exec, s[6:7]
	s_and_saveexec_b64 s[6:7], s[4:5]
	s_cbranch_execz .LBB31_672
.LBB31_671:
	v_bfe_u32 v6, v2, 24, 3
	v_ffbh_u32_e32 v14, v6
	v_min_u32_e32 v14, 32, v14
	v_lshrrev_b32_e32 v12, 27, v2
	v_subrev_u32_e32 v15, 28, v14
	v_and_b32_e32 v11, 0x80000000, v2
	v_and_b32_e32 v12, 15, v12
	v_bfe_u32 v13, v2, 27, 4
	v_lshlrev_b32_sdwa v2, v15, v2 dst_sel:DWORD dst_unused:UNUSED_PAD src0_sel:DWORD src1_sel:BYTE_3
	v_sub_u32_e32 v14, 29, v14
	v_and_b32_e32 v2, 7, v2
	v_cmp_eq_u16_e32 vcc, 0, v12
	v_cndmask_b32_e32 v2, v6, v2, vcc
	v_cndmask_b32_e32 v6, v13, v14, vcc
	v_mov_b32_e32 v12, 0x3b800000
	v_lshlrev_b32_e32 v2, 20, v2
	v_lshl_add_u32 v6, v6, 23, v12
	v_or3_b32 v6, v11, v6, v2
.LBB31_672:
	s_or_b64 exec, exec, s[6:7]
	s_nop 0
	v_mfma_f32_16x16x4f32 a[0:3], v10, v6, a[0:3]
	s_movk_i32 s4, 0x7f
	v_cmp_gt_i16_sdwa s[6:7], v7, s4 src0_sel:BYTE_0 src1_sel:DWORD
	s_mov_b64 s[4:5], 0
                                        ; implicit-def: $sgpr10
	s_and_saveexec_b64 s[8:9], s[6:7]
	s_xor_b64 s[6:7], exec, s[8:9]
	s_cbranch_execnz .LBB31_2721
; %bb.673:
	s_or_saveexec_b64 s[6:7], s[6:7]
	v_mov_b32_e32 v2, s10
	s_xor_b64 exec, exec, s[6:7]
	s_cbranch_execnz .LBB31_2724
.LBB31_674:
	s_or_b64 exec, exec, s[6:7]
	s_and_saveexec_b64 s[6:7], s[4:5]
	s_cbranch_execz .LBB31_676
.LBB31_675:
	v_and_b32_e32 v2, 7, v7
	v_ffbh_u32_e32 v10, v2
	v_min_u32_e32 v10, 32, v10
	v_lshrrev_b16_e32 v6, 3, v7
	v_subrev_u32_e32 v11, 28, v10
	v_and_b32_e32 v6, 15, v6
	v_lshlrev_b32_e32 v11, v11, v7
	v_sub_u32_e32 v10, 29, v10
	v_and_b32_e32 v11, 7, v11
	v_cmp_eq_u16_e32 vcc, 0, v6
	v_cndmask_b32_e32 v2, v2, v11, vcc
	v_cndmask_b32_e32 v6, v6, v10, vcc
	v_lshlrev_b32_e32 v10, 24, v7
	v_mov_b32_e32 v11, 0x3b800000
	v_lshlrev_b32_e32 v2, 20, v2
	v_and_b32_e32 v10, 0x80000000, v10
	v_lshl_add_u32 v6, v6, 23, v11
	v_or3_b32 v2, v10, v6, v2
.LBB31_676:
	s_or_b64 exec, exec, s[6:7]
	s_movk_i32 s4, 0x7f
	v_cmp_gt_i16_sdwa s[6:7], v3, s4 src0_sel:BYTE_0 src1_sel:DWORD
	s_mov_b64 s[4:5], 0
                                        ; implicit-def: $sgpr10
	s_and_saveexec_b64 s[8:9], s[6:7]
	s_xor_b64 s[6:7], exec, s[8:9]
	s_cbranch_execnz .LBB31_2725
; %bb.677:
	s_or_saveexec_b64 s[6:7], s[6:7]
	v_mov_b32_e32 v6, s10
	s_xor_b64 exec, exec, s[6:7]
	s_cbranch_execnz .LBB31_2728
.LBB31_678:
	s_or_b64 exec, exec, s[6:7]
	s_and_saveexec_b64 s[6:7], s[4:5]
	s_cbranch_execz .LBB31_680
.LBB31_679:
	v_and_b32_e32 v6, 7, v3
	v_ffbh_u32_e32 v11, v6
	v_min_u32_e32 v11, 32, v11
	v_lshrrev_b16_e32 v10, 3, v3
	v_subrev_u32_e32 v12, 28, v11
	v_and_b32_e32 v10, 15, v10
	v_lshlrev_b32_e32 v12, v12, v3
	v_sub_u32_e32 v11, 29, v11
	v_and_b32_e32 v12, 7, v12
	v_cmp_eq_u16_e32 vcc, 0, v10
	v_cndmask_b32_e32 v6, v6, v12, vcc
	v_cndmask_b32_e32 v10, v10, v11, vcc
	v_lshlrev_b32_e32 v11, 24, v3
	v_mov_b32_e32 v12, 0x3b800000
	v_lshlrev_b32_e32 v6, 20, v6
	v_and_b32_e32 v11, 0x80000000, v11
	v_lshl_add_u32 v10, v10, 23, v12
	v_or3_b32 v6, v11, v10, v6
.LBB31_680:
	s_or_b64 exec, exec, s[6:7]
	s_nop 0
	v_mfma_f32_16x16x4f32 a[0:3], v2, v6, a[0:3]
	v_lshrrev_b32_e32 v6, 8, v7
	s_movk_i32 s4, 0x7f
	v_cmp_gt_i16_sdwa s[6:7], v6, s4 src0_sel:BYTE_0 src1_sel:DWORD
	s_mov_b64 s[4:5], 0
                                        ; implicit-def: $sgpr10
	s_and_saveexec_b64 s[8:9], s[6:7]
	s_xor_b64 s[6:7], exec, s[8:9]
	s_cbranch_execnz .LBB31_2729
; %bb.681:
	s_or_saveexec_b64 s[6:7], s[6:7]
	v_mov_b32_e32 v2, s10
	s_xor_b64 exec, exec, s[6:7]
	s_cbranch_execnz .LBB31_2732
.LBB31_682:
	s_or_b64 exec, exec, s[6:7]
	s_and_saveexec_b64 s[6:7], s[4:5]
	s_cbranch_execz .LBB31_684
.LBB31_683:
	v_bfe_u32 v2, v7, 8, 3
	v_ffbh_u32_e32 v11, v2
	v_min_u32_e32 v11, 32, v11
	v_lshrrev_b16_e32 v10, 3, v6
	v_subrev_u32_e32 v12, 28, v11
	v_and_b32_e32 v10, 15, v10
	v_lshlrev_b32_e32 v6, v12, v6
	v_sub_u32_e32 v11, 29, v11
	v_and_b32_e32 v6, 7, v6
	v_cmp_eq_u16_e32 vcc, 0, v10
	v_cndmask_b32_e32 v2, v2, v6, vcc
	v_cndmask_b32_e32 v6, v10, v11, vcc
	v_lshlrev_b32_e32 v10, 16, v7
	v_mov_b32_e32 v11, 0x3b800000
	v_lshlrev_b32_e32 v2, 20, v2
	v_and_b32_e32 v10, 0x80000000, v10
	v_lshl_add_u32 v6, v6, 23, v11
	v_or3_b32 v2, v10, v6, v2
.LBB31_684:
	s_or_b64 exec, exec, s[6:7]
	v_lshrrev_b32_e32 v6, 8, v3
	s_movk_i32 s4, 0x7f
	v_cmp_gt_i16_sdwa s[6:7], v6, s4 src0_sel:BYTE_0 src1_sel:DWORD
	s_mov_b64 s[4:5], 0
                                        ; implicit-def: $sgpr10
	s_and_saveexec_b64 s[8:9], s[6:7]
	s_xor_b64 s[6:7], exec, s[8:9]
	s_cbranch_execnz .LBB31_2733
; %bb.685:
	s_or_saveexec_b64 s[6:7], s[6:7]
	v_mov_b32_e32 v10, s10
	s_xor_b64 exec, exec, s[6:7]
	s_cbranch_execnz .LBB31_2736
.LBB31_686:
	s_or_b64 exec, exec, s[6:7]
	s_and_saveexec_b64 s[6:7], s[4:5]
	s_cbranch_execz .LBB31_688
.LBB31_687:
	v_bfe_u32 v10, v3, 8, 3
	v_ffbh_u32_e32 v12, v10
	v_min_u32_e32 v12, 32, v12
	v_lshrrev_b16_e32 v11, 3, v6
	v_subrev_u32_e32 v13, 28, v12
	v_and_b32_e32 v11, 15, v11
	v_lshlrev_b32_e32 v6, v13, v6
	v_sub_u32_e32 v12, 29, v12
	v_and_b32_e32 v6, 7, v6
	v_cmp_eq_u16_e32 vcc, 0, v11
	v_cndmask_b32_e32 v6, v10, v6, vcc
	v_cndmask_b32_e32 v10, v11, v12, vcc
	v_lshlrev_b32_e32 v11, 16, v3
	v_mov_b32_e32 v12, 0x3b800000
	v_lshlrev_b32_e32 v6, 20, v6
	v_and_b32_e32 v11, 0x80000000, v11
	v_lshl_add_u32 v10, v10, 23, v12
	v_or3_b32 v10, v11, v10, v6
.LBB31_688:
	s_or_b64 exec, exec, s[6:7]
	s_nop 0
	v_mfma_f32_16x16x4f32 a[0:3], v2, v10, a[0:3]
	s_movk_i32 s4, 0xff
	v_and_b32_sdwa v6, v7, s4 dst_sel:DWORD dst_unused:UNUSED_PAD src0_sel:WORD_1 src1_sel:DWORD
	s_movk_i32 s4, 0x7f
	v_cmp_lt_i16_e32 vcc, s4, v6
	s_mov_b64 s[4:5], 0
                                        ; implicit-def: $sgpr10
	s_and_saveexec_b64 s[6:7], vcc
	s_xor_b64 s[6:7], exec, s[6:7]
	s_cbranch_execnz .LBB31_2737
; %bb.689:
	s_or_saveexec_b64 s[6:7], s[6:7]
	v_mov_b32_e32 v2, s10
	s_xor_b64 exec, exec, s[6:7]
	s_cbranch_execnz .LBB31_2740
.LBB31_690:
	s_or_b64 exec, exec, s[6:7]
	s_and_saveexec_b64 s[6:7], s[4:5]
	s_cbranch_execz .LBB31_692
.LBB31_691:
	v_bfe_u32 v2, v7, 16, 3
	v_ffbh_u32_e32 v11, v2
	v_min_u32_e32 v11, 32, v11
	v_lshrrev_b32_e32 v6, 19, v7
	v_subrev_u32_e32 v12, 28, v11
	v_and_b32_e32 v6, 15, v6
	v_lshlrev_b32_sdwa v12, v12, v7 dst_sel:DWORD dst_unused:UNUSED_PAD src0_sel:DWORD src1_sel:WORD_1
	v_bfe_u32 v10, v7, 19, 4
	v_sub_u32_e32 v11, 29, v11
	v_and_b32_e32 v12, 7, v12
	v_cmp_eq_u16_e32 vcc, 0, v6
	v_cndmask_b32_e32 v2, v2, v12, vcc
	v_cndmask_b32_e32 v6, v10, v11, vcc
	v_lshlrev_b32_e32 v10, 8, v7
	v_mov_b32_e32 v11, 0x3b800000
	v_lshlrev_b32_e32 v2, 20, v2
	v_and_b32_e32 v10, 0x80000000, v10
	v_lshl_add_u32 v6, v6, 23, v11
	v_or3_b32 v2, v10, v6, v2
.LBB31_692:
	s_or_b64 exec, exec, s[6:7]
	s_movk_i32 s4, 0xff
	v_and_b32_sdwa v6, v3, s4 dst_sel:DWORD dst_unused:UNUSED_PAD src0_sel:WORD_1 src1_sel:DWORD
	s_movk_i32 s4, 0x7f
	v_cmp_lt_i16_e32 vcc, s4, v6
	s_mov_b64 s[4:5], 0
                                        ; implicit-def: $sgpr10
	s_and_saveexec_b64 s[6:7], vcc
	s_xor_b64 s[6:7], exec, s[6:7]
	s_cbranch_execnz .LBB31_2741
; %bb.693:
	s_or_saveexec_b64 s[6:7], s[6:7]
	v_mov_b32_e32 v10, s10
	s_xor_b64 exec, exec, s[6:7]
	s_cbranch_execnz .LBB31_2744
.LBB31_694:
	s_or_b64 exec, exec, s[6:7]
	s_and_saveexec_b64 s[6:7], s[4:5]
	s_cbranch_execz .LBB31_696
.LBB31_695:
	v_bfe_u32 v6, v3, 16, 3
	v_ffbh_u32_e32 v12, v6
	v_min_u32_e32 v12, 32, v12
	v_lshrrev_b32_e32 v10, 19, v3
	v_subrev_u32_e32 v13, 28, v12
	v_and_b32_e32 v10, 15, v10
	v_lshlrev_b32_sdwa v13, v13, v3 dst_sel:DWORD dst_unused:UNUSED_PAD src0_sel:DWORD src1_sel:WORD_1
	v_bfe_u32 v11, v3, 19, 4
	v_sub_u32_e32 v12, 29, v12
	v_and_b32_e32 v13, 7, v13
	v_cmp_eq_u16_e32 vcc, 0, v10
	v_cndmask_b32_e32 v6, v6, v13, vcc
	v_cndmask_b32_e32 v10, v11, v12, vcc
	v_lshlrev_b32_e32 v11, 8, v3
	v_mov_b32_e32 v12, 0x3b800000
	v_lshlrev_b32_e32 v6, 20, v6
	v_and_b32_e32 v11, 0x80000000, v11
	v_lshl_add_u32 v10, v10, 23, v12
	v_or3_b32 v10, v11, v10, v6
.LBB31_696:
	s_or_b64 exec, exec, s[6:7]
	s_nop 0
	v_mfma_f32_16x16x4f32 a[0:3], v2, v10, a[0:3]
	s_movk_i32 s4, 0x7f
	v_cmp_gt_i16_sdwa s[6:7], v7, s4 src0_sel:BYTE_3 src1_sel:DWORD
	s_mov_b64 s[4:5], 0
                                        ; implicit-def: $sgpr10
	s_and_saveexec_b64 s[8:9], s[6:7]
	s_xor_b64 s[6:7], exec, s[8:9]
	s_cbranch_execnz .LBB31_2745
; %bb.697:
	s_or_saveexec_b64 s[6:7], s[6:7]
	v_mov_b32_e32 v2, s10
	s_xor_b64 exec, exec, s[6:7]
	s_cbranch_execnz .LBB31_2748
.LBB31_698:
	s_or_b64 exec, exec, s[6:7]
	s_and_saveexec_b64 s[6:7], s[4:5]
	s_cbranch_execz .LBB31_700
.LBB31_699:
	v_bfe_u32 v2, v7, 24, 3
	v_ffbh_u32_e32 v12, v2
	v_min_u32_e32 v12, 32, v12
	v_lshrrev_b32_e32 v10, 27, v7
	v_subrev_u32_e32 v13, 28, v12
	v_and_b32_e32 v6, 0x80000000, v7
	v_and_b32_e32 v10, 15, v10
	v_bfe_u32 v11, v7, 27, 4
	v_lshlrev_b32_sdwa v7, v13, v7 dst_sel:DWORD dst_unused:UNUSED_PAD src0_sel:DWORD src1_sel:BYTE_3
	v_sub_u32_e32 v12, 29, v12
	v_and_b32_e32 v7, 7, v7
	v_cmp_eq_u16_e32 vcc, 0, v10
	v_cndmask_b32_e32 v2, v2, v7, vcc
	v_cndmask_b32_e32 v7, v11, v12, vcc
	v_mov_b32_e32 v10, 0x3b800000
	v_lshlrev_b32_e32 v2, 20, v2
	v_lshl_add_u32 v7, v7, 23, v10
	v_or3_b32 v2, v6, v7, v2
.LBB31_700:
	s_or_b64 exec, exec, s[6:7]
	s_movk_i32 s4, 0x7f
	v_cmp_gt_i16_sdwa s[6:7], v3, s4 src0_sel:BYTE_3 src1_sel:DWORD
	s_mov_b64 s[4:5], 0
                                        ; implicit-def: $sgpr10
	s_and_saveexec_b64 s[8:9], s[6:7]
	s_xor_b64 s[6:7], exec, s[8:9]
	s_cbranch_execnz .LBB31_2749
; %bb.701:
	s_or_saveexec_b64 s[6:7], s[6:7]
	v_mov_b32_e32 v6, s10
	s_xor_b64 exec, exec, s[6:7]
	s_cbranch_execnz .LBB31_2752
.LBB31_702:
	s_or_b64 exec, exec, s[6:7]
	s_and_saveexec_b64 s[6:7], s[4:5]
	s_cbranch_execz .LBB31_704
.LBB31_703:
	v_bfe_u32 v6, v3, 24, 3
	v_ffbh_u32_e32 v12, v6
	v_min_u32_e32 v12, 32, v12
	v_lshrrev_b32_e32 v10, 27, v3
	v_subrev_u32_e32 v13, 28, v12
	v_and_b32_e32 v7, 0x80000000, v3
	v_and_b32_e32 v10, 15, v10
	v_bfe_u32 v11, v3, 27, 4
	v_lshlrev_b32_sdwa v3, v13, v3 dst_sel:DWORD dst_unused:UNUSED_PAD src0_sel:DWORD src1_sel:BYTE_3
	v_sub_u32_e32 v12, 29, v12
	v_and_b32_e32 v3, 7, v3
	v_cmp_eq_u16_e32 vcc, 0, v10
	v_cndmask_b32_e32 v3, v6, v3, vcc
	v_cndmask_b32_e32 v6, v11, v12, vcc
	v_mov_b32_e32 v10, 0x3b800000
	v_lshlrev_b32_e32 v3, 20, v3
	v_lshl_add_u32 v6, v6, 23, v10
	v_or3_b32 v6, v7, v6, v3
.LBB31_704:
	s_or_b64 exec, exec, s[6:7]
	s_nop 0
	v_mfma_f32_16x16x4f32 a[0:3], v2, v6, a[0:3]
	s_movk_i32 s4, 0x7f
	v_cmp_gt_i16_sdwa s[6:7], v8, s4 src0_sel:BYTE_0 src1_sel:DWORD
	s_mov_b64 s[4:5], 0
                                        ; implicit-def: $sgpr10
	s_and_saveexec_b64 s[8:9], s[6:7]
	s_xor_b64 s[6:7], exec, s[8:9]
	s_cbranch_execnz .LBB31_2753
; %bb.705:
	s_or_saveexec_b64 s[6:7], s[6:7]
	v_mov_b32_e32 v2, s10
	s_xor_b64 exec, exec, s[6:7]
	s_cbranch_execnz .LBB31_2756
.LBB31_706:
	s_or_b64 exec, exec, s[6:7]
	s_and_saveexec_b64 s[6:7], s[4:5]
	s_cbranch_execz .LBB31_708
.LBB31_707:
	v_and_b32_e32 v2, 7, v8
	v_ffbh_u32_e32 v6, v2
	v_min_u32_e32 v6, 32, v6
	v_lshrrev_b16_e32 v3, 3, v8
	v_subrev_u32_e32 v7, 28, v6
	v_and_b32_e32 v3, 15, v3
	v_lshlrev_b32_e32 v7, v7, v8
	v_sub_u32_e32 v6, 29, v6
	v_and_b32_e32 v7, 7, v7
	v_cmp_eq_u16_e32 vcc, 0, v3
	v_cndmask_b32_e32 v2, v2, v7, vcc
	v_cndmask_b32_e32 v3, v3, v6, vcc
	v_lshlrev_b32_e32 v6, 24, v8
	v_mov_b32_e32 v7, 0x3b800000
	v_lshlrev_b32_e32 v2, 20, v2
	v_and_b32_e32 v6, 0x80000000, v6
	v_lshl_add_u32 v3, v3, 23, v7
	v_or3_b32 v2, v6, v3, v2
.LBB31_708:
	s_or_b64 exec, exec, s[6:7]
	s_movk_i32 s4, 0x7f
	v_cmp_gt_i16_sdwa s[6:7], v4, s4 src0_sel:BYTE_0 src1_sel:DWORD
	s_mov_b64 s[4:5], 0
                                        ; implicit-def: $sgpr10
	s_and_saveexec_b64 s[8:9], s[6:7]
	s_xor_b64 s[6:7], exec, s[8:9]
	s_cbranch_execnz .LBB31_2757
; %bb.709:
	s_or_saveexec_b64 s[6:7], s[6:7]
	v_mov_b32_e32 v3, s10
	s_xor_b64 exec, exec, s[6:7]
	s_cbranch_execnz .LBB31_2760
.LBB31_710:
	s_or_b64 exec, exec, s[6:7]
	s_and_saveexec_b64 s[6:7], s[4:5]
	s_cbranch_execz .LBB31_712
.LBB31_711:
	v_and_b32_e32 v3, 7, v4
	v_ffbh_u32_e32 v7, v3
	v_min_u32_e32 v7, 32, v7
	v_lshrrev_b16_e32 v6, 3, v4
	v_subrev_u32_e32 v10, 28, v7
	v_and_b32_e32 v6, 15, v6
	v_lshlrev_b32_e32 v10, v10, v4
	v_sub_u32_e32 v7, 29, v7
	v_and_b32_e32 v10, 7, v10
	v_cmp_eq_u16_e32 vcc, 0, v6
	v_cndmask_b32_e32 v3, v3, v10, vcc
	v_cndmask_b32_e32 v6, v6, v7, vcc
	v_lshlrev_b32_e32 v7, 24, v4
	v_mov_b32_e32 v10, 0x3b800000
	v_lshlrev_b32_e32 v3, 20, v3
	v_and_b32_e32 v7, 0x80000000, v7
	v_lshl_add_u32 v6, v6, 23, v10
	v_or3_b32 v3, v7, v6, v3
.LBB31_712:
	s_or_b64 exec, exec, s[6:7]
	s_nop 0
	v_mfma_f32_16x16x4f32 a[0:3], v2, v3, a[0:3]
	v_lshrrev_b32_e32 v3, 8, v8
	s_movk_i32 s4, 0x7f
	v_cmp_gt_i16_sdwa s[6:7], v3, s4 src0_sel:BYTE_0 src1_sel:DWORD
	s_mov_b64 s[4:5], 0
                                        ; implicit-def: $sgpr10
	s_and_saveexec_b64 s[8:9], s[6:7]
	s_xor_b64 s[6:7], exec, s[8:9]
	s_cbranch_execnz .LBB31_2761
; %bb.713:
	s_or_saveexec_b64 s[6:7], s[6:7]
	v_mov_b32_e32 v2, s10
	s_xor_b64 exec, exec, s[6:7]
	s_cbranch_execnz .LBB31_2764
.LBB31_714:
	s_or_b64 exec, exec, s[6:7]
	s_and_saveexec_b64 s[6:7], s[4:5]
	s_cbranch_execz .LBB31_716
.LBB31_715:
	v_bfe_u32 v2, v8, 8, 3
	v_ffbh_u32_e32 v7, v2
	v_min_u32_e32 v7, 32, v7
	v_lshrrev_b16_e32 v6, 3, v3
	v_subrev_u32_e32 v10, 28, v7
	v_and_b32_e32 v6, 15, v6
	v_lshlrev_b32_e32 v3, v10, v3
	v_sub_u32_e32 v7, 29, v7
	v_and_b32_e32 v3, 7, v3
	v_cmp_eq_u16_e32 vcc, 0, v6
	v_cndmask_b32_e32 v2, v2, v3, vcc
	v_cndmask_b32_e32 v3, v6, v7, vcc
	v_lshlrev_b32_e32 v6, 16, v8
	v_mov_b32_e32 v7, 0x3b800000
	v_lshlrev_b32_e32 v2, 20, v2
	v_and_b32_e32 v6, 0x80000000, v6
	v_lshl_add_u32 v3, v3, 23, v7
	v_or3_b32 v2, v6, v3, v2
.LBB31_716:
	s_or_b64 exec, exec, s[6:7]
	v_lshrrev_b32_e32 v3, 8, v4
	s_movk_i32 s4, 0x7f
	v_cmp_gt_i16_sdwa s[6:7], v3, s4 src0_sel:BYTE_0 src1_sel:DWORD
	s_mov_b64 s[4:5], 0
                                        ; implicit-def: $sgpr10
	s_and_saveexec_b64 s[8:9], s[6:7]
	s_xor_b64 s[6:7], exec, s[8:9]
	s_cbranch_execnz .LBB31_2765
; %bb.717:
	s_or_saveexec_b64 s[6:7], s[6:7]
	v_mov_b32_e32 v6, s10
	s_xor_b64 exec, exec, s[6:7]
	s_cbranch_execnz .LBB31_2768
.LBB31_718:
	s_or_b64 exec, exec, s[6:7]
	s_and_saveexec_b64 s[6:7], s[4:5]
	s_cbranch_execz .LBB31_720
.LBB31_719:
	v_bfe_u32 v6, v4, 8, 3
	v_ffbh_u32_e32 v10, v6
	v_min_u32_e32 v10, 32, v10
	v_lshrrev_b16_e32 v7, 3, v3
	v_subrev_u32_e32 v11, 28, v10
	v_and_b32_e32 v7, 15, v7
	v_lshlrev_b32_e32 v3, v11, v3
	v_sub_u32_e32 v10, 29, v10
	v_and_b32_e32 v3, 7, v3
	v_cmp_eq_u16_e32 vcc, 0, v7
	v_cndmask_b32_e32 v3, v6, v3, vcc
	v_cndmask_b32_e32 v6, v7, v10, vcc
	v_lshlrev_b32_e32 v7, 16, v4
	v_mov_b32_e32 v10, 0x3b800000
	v_lshlrev_b32_e32 v3, 20, v3
	v_and_b32_e32 v7, 0x80000000, v7
	v_lshl_add_u32 v6, v6, 23, v10
	v_or3_b32 v6, v7, v6, v3
.LBB31_720:
	s_or_b64 exec, exec, s[6:7]
	s_nop 0
	v_mfma_f32_16x16x4f32 a[0:3], v2, v6, a[0:3]
	s_movk_i32 s4, 0xff
	v_and_b32_sdwa v3, v8, s4 dst_sel:DWORD dst_unused:UNUSED_PAD src0_sel:WORD_1 src1_sel:DWORD
	s_movk_i32 s4, 0x7f
	v_cmp_lt_i16_e32 vcc, s4, v3
	s_mov_b64 s[4:5], 0
                                        ; implicit-def: $sgpr10
	s_and_saveexec_b64 s[6:7], vcc
	s_xor_b64 s[6:7], exec, s[6:7]
	s_cbranch_execnz .LBB31_2769
; %bb.721:
	s_or_saveexec_b64 s[6:7], s[6:7]
	v_mov_b32_e32 v2, s10
	s_xor_b64 exec, exec, s[6:7]
	s_cbranch_execnz .LBB31_2772
.LBB31_722:
	s_or_b64 exec, exec, s[6:7]
	s_and_saveexec_b64 s[6:7], s[4:5]
	s_cbranch_execz .LBB31_724
.LBB31_723:
	v_bfe_u32 v2, v8, 16, 3
	v_ffbh_u32_e32 v7, v2
	v_min_u32_e32 v7, 32, v7
	v_lshrrev_b32_e32 v3, 19, v8
	v_subrev_u32_e32 v10, 28, v7
	v_and_b32_e32 v3, 15, v3
	v_lshlrev_b32_sdwa v10, v10, v8 dst_sel:DWORD dst_unused:UNUSED_PAD src0_sel:DWORD src1_sel:WORD_1
	v_bfe_u32 v6, v8, 19, 4
	v_sub_u32_e32 v7, 29, v7
	v_and_b32_e32 v10, 7, v10
	v_cmp_eq_u16_e32 vcc, 0, v3
	v_cndmask_b32_e32 v2, v2, v10, vcc
	v_cndmask_b32_e32 v3, v6, v7, vcc
	v_lshlrev_b32_e32 v6, 8, v8
	v_mov_b32_e32 v7, 0x3b800000
	v_lshlrev_b32_e32 v2, 20, v2
	v_and_b32_e32 v6, 0x80000000, v6
	v_lshl_add_u32 v3, v3, 23, v7
	v_or3_b32 v2, v6, v3, v2
.LBB31_724:
	s_or_b64 exec, exec, s[6:7]
	s_movk_i32 s4, 0xff
	v_and_b32_sdwa v3, v4, s4 dst_sel:DWORD dst_unused:UNUSED_PAD src0_sel:WORD_1 src1_sel:DWORD
	s_movk_i32 s4, 0x7f
	v_cmp_lt_i16_e32 vcc, s4, v3
	s_mov_b64 s[4:5], 0
                                        ; implicit-def: $sgpr10
	s_and_saveexec_b64 s[6:7], vcc
	s_xor_b64 s[6:7], exec, s[6:7]
	s_cbranch_execnz .LBB31_2773
; %bb.725:
	s_or_saveexec_b64 s[6:7], s[6:7]
	v_mov_b32_e32 v6, s10
	s_xor_b64 exec, exec, s[6:7]
	s_cbranch_execnz .LBB31_2776
.LBB31_726:
	s_or_b64 exec, exec, s[6:7]
	s_and_saveexec_b64 s[6:7], s[4:5]
	s_cbranch_execz .LBB31_728
.LBB31_727:
	v_bfe_u32 v3, v4, 16, 3
	v_ffbh_u32_e32 v10, v3
	v_min_u32_e32 v10, 32, v10
	v_lshrrev_b32_e32 v6, 19, v4
	v_subrev_u32_e32 v11, 28, v10
	v_and_b32_e32 v6, 15, v6
	v_lshlrev_b32_sdwa v11, v11, v4 dst_sel:DWORD dst_unused:UNUSED_PAD src0_sel:DWORD src1_sel:WORD_1
	v_bfe_u32 v7, v4, 19, 4
	v_sub_u32_e32 v10, 29, v10
	v_and_b32_e32 v11, 7, v11
	v_cmp_eq_u16_e32 vcc, 0, v6
	v_cndmask_b32_e32 v3, v3, v11, vcc
	v_cndmask_b32_e32 v6, v7, v10, vcc
	v_lshlrev_b32_e32 v7, 8, v4
	v_mov_b32_e32 v10, 0x3b800000
	v_lshlrev_b32_e32 v3, 20, v3
	v_and_b32_e32 v7, 0x80000000, v7
	v_lshl_add_u32 v6, v6, 23, v10
	v_or3_b32 v6, v7, v6, v3
.LBB31_728:
	s_or_b64 exec, exec, s[6:7]
	s_nop 0
	v_mfma_f32_16x16x4f32 a[0:3], v2, v6, a[0:3]
	s_movk_i32 s4, 0x7f
	v_cmp_gt_i16_sdwa s[6:7], v8, s4 src0_sel:BYTE_3 src1_sel:DWORD
	s_mov_b64 s[4:5], 0
                                        ; implicit-def: $sgpr10
	s_and_saveexec_b64 s[8:9], s[6:7]
	s_xor_b64 s[6:7], exec, s[8:9]
	s_cbranch_execnz .LBB31_2777
; %bb.729:
	s_or_saveexec_b64 s[6:7], s[6:7]
	v_mov_b32_e32 v2, s10
	s_xor_b64 exec, exec, s[6:7]
	s_cbranch_execnz .LBB31_2780
.LBB31_730:
	s_or_b64 exec, exec, s[6:7]
	s_and_saveexec_b64 s[6:7], s[4:5]
	s_cbranch_execz .LBB31_732
.LBB31_731:
	v_bfe_u32 v2, v8, 24, 3
	v_ffbh_u32_e32 v10, v2
	v_min_u32_e32 v10, 32, v10
	v_lshrrev_b32_e32 v6, 27, v8
	v_subrev_u32_e32 v11, 28, v10
	v_and_b32_e32 v3, 0x80000000, v8
	v_and_b32_e32 v6, 15, v6
	v_bfe_u32 v7, v8, 27, 4
	v_lshlrev_b32_sdwa v8, v11, v8 dst_sel:DWORD dst_unused:UNUSED_PAD src0_sel:DWORD src1_sel:BYTE_3
	v_sub_u32_e32 v10, 29, v10
	v_and_b32_e32 v8, 7, v8
	v_cmp_eq_u16_e32 vcc, 0, v6
	v_cndmask_b32_e32 v2, v2, v8, vcc
	v_cndmask_b32_e32 v6, v7, v10, vcc
	v_mov_b32_e32 v7, 0x3b800000
	v_lshlrev_b32_e32 v2, 20, v2
	v_lshl_add_u32 v6, v6, 23, v7
	v_or3_b32 v2, v3, v6, v2
.LBB31_732:
	s_or_b64 exec, exec, s[6:7]
	s_movk_i32 s4, 0x7f
	v_cmp_gt_i16_sdwa s[6:7], v4, s4 src0_sel:BYTE_3 src1_sel:DWORD
	s_mov_b64 s[4:5], 0
                                        ; implicit-def: $sgpr10
	s_and_saveexec_b64 s[8:9], s[6:7]
	s_xor_b64 s[6:7], exec, s[8:9]
	s_cbranch_execnz .LBB31_2781
; %bb.733:
	s_or_saveexec_b64 s[6:7], s[6:7]
	v_mov_b32_e32 v3, s10
	s_xor_b64 exec, exec, s[6:7]
	s_cbranch_execnz .LBB31_2784
.LBB31_734:
	s_or_b64 exec, exec, s[6:7]
	s_and_saveexec_b64 s[6:7], s[4:5]
	s_cbranch_execz .LBB31_736
.LBB31_735:
	v_bfe_u32 v3, v4, 24, 3
	v_ffbh_u32_e32 v10, v3
	v_min_u32_e32 v10, 32, v10
	v_lshrrev_b32_e32 v7, 27, v4
	v_subrev_u32_e32 v11, 28, v10
	v_and_b32_e32 v6, 0x80000000, v4
	v_and_b32_e32 v7, 15, v7
	v_bfe_u32 v8, v4, 27, 4
	v_lshlrev_b32_sdwa v4, v11, v4 dst_sel:DWORD dst_unused:UNUSED_PAD src0_sel:DWORD src1_sel:BYTE_3
	v_sub_u32_e32 v10, 29, v10
	v_and_b32_e32 v4, 7, v4
	v_cmp_eq_u16_e32 vcc, 0, v7
	v_cndmask_b32_e32 v3, v3, v4, vcc
	v_cndmask_b32_e32 v4, v8, v10, vcc
	v_mov_b32_e32 v7, 0x3b800000
	v_lshlrev_b32_e32 v3, 20, v3
	v_lshl_add_u32 v4, v4, 23, v7
	v_or3_b32 v3, v6, v4, v3
.LBB31_736:
	s_or_b64 exec, exec, s[6:7]
	s_nop 0
	v_mfma_f32_16x16x4f32 a[0:3], v2, v3, a[0:3]
	s_movk_i32 s4, 0x7f
	v_cmp_gt_i16_sdwa s[6:7], v9, s4 src0_sel:BYTE_0 src1_sel:DWORD
	s_mov_b64 s[4:5], 0
                                        ; implicit-def: $sgpr10
	s_and_saveexec_b64 s[8:9], s[6:7]
	s_xor_b64 s[6:7], exec, s[8:9]
	s_cbranch_execnz .LBB31_2785
; %bb.737:
	s_or_saveexec_b64 s[6:7], s[6:7]
	v_mov_b32_e32 v2, s10
	s_xor_b64 exec, exec, s[6:7]
	s_cbranch_execnz .LBB31_2788
.LBB31_738:
	s_or_b64 exec, exec, s[6:7]
	s_and_saveexec_b64 s[6:7], s[4:5]
	s_cbranch_execz .LBB31_740
.LBB31_739:
	v_mov_b32_e32 v2, 8
	v_and_b32_e32 v3, 7, v9
	v_lshrrev_b32_sdwa v2, v2, v9 dst_sel:BYTE_1 dst_unused:UNUSED_PAD src0_sel:DWORD src1_sel:DWORD
	v_ffbh_u32_e32 v4, v3
	v_or_b32_sdwa v2, v9, v2 dst_sel:DWORD dst_unused:UNUSED_PAD src0_sel:BYTE_0 src1_sel:DWORD
	v_min_u32_e32 v4, 32, v4
	v_lshrrev_b16_e32 v2, 3, v2
	v_subrev_u32_e32 v6, 28, v4
	v_and_b32_e32 v2, 15, v2
	v_lshlrev_b32_e32 v6, v6, v9
	v_sub_u32_e32 v4, 29, v4
	v_and_b32_e32 v6, 7, v6
	v_cmp_eq_u16_e32 vcc, 0, v2
	v_cndmask_b32_e32 v3, v3, v6, vcc
	v_cndmask_b32_e32 v2, v2, v4, vcc
	v_lshlrev_b32_e32 v4, 24, v9
	v_mov_b32_e32 v6, 0x3b800000
	v_lshlrev_b32_e32 v3, 20, v3
	v_and_b32_e32 v4, 0x80000000, v4
	v_lshl_add_u32 v2, v2, 23, v6
	v_or3_b32 v2, v4, v2, v3
.LBB31_740:
	s_or_b64 exec, exec, s[6:7]
	s_movk_i32 s4, 0x7f
	v_cmp_gt_i16_sdwa s[6:7], v5, s4 src0_sel:BYTE_0 src1_sel:DWORD
	s_mov_b64 s[4:5], 0
                                        ; implicit-def: $sgpr10
	s_and_saveexec_b64 s[8:9], s[6:7]
	s_xor_b64 s[6:7], exec, s[8:9]
	s_cbranch_execnz .LBB31_2789
; %bb.741:
	s_or_saveexec_b64 s[6:7], s[6:7]
	v_mov_b32_e32 v3, s10
	s_xor_b64 exec, exec, s[6:7]
	s_cbranch_execnz .LBB31_2792
.LBB31_742:
	s_or_b64 exec, exec, s[6:7]
	s_and_saveexec_b64 s[6:7], s[4:5]
	s_cbranch_execz .LBB31_744
.LBB31_743:
	v_mov_b32_e32 v3, 8
	v_and_b32_e32 v4, 7, v5
	v_lshrrev_b32_sdwa v3, v3, v5 dst_sel:BYTE_1 dst_unused:UNUSED_PAD src0_sel:DWORD src1_sel:DWORD
	v_ffbh_u32_e32 v6, v4
	v_or_b32_sdwa v3, v5, v3 dst_sel:DWORD dst_unused:UNUSED_PAD src0_sel:BYTE_0 src1_sel:DWORD
	v_min_u32_e32 v6, 32, v6
	v_lshrrev_b16_e32 v3, 3, v3
	v_subrev_u32_e32 v7, 28, v6
	v_and_b32_e32 v3, 15, v3
	v_lshlrev_b32_e32 v7, v7, v5
	v_sub_u32_e32 v6, 29, v6
	v_and_b32_e32 v7, 7, v7
	v_cmp_eq_u16_e32 vcc, 0, v3
	v_cndmask_b32_e32 v4, v4, v7, vcc
	v_cndmask_b32_e32 v3, v3, v6, vcc
	v_lshlrev_b32_e32 v6, 24, v5
	v_mov_b32_e32 v7, 0x3b800000
	v_lshlrev_b32_e32 v4, 20, v4
	v_and_b32_e32 v6, 0x80000000, v6
	v_lshl_add_u32 v3, v3, 23, v7
	v_or3_b32 v3, v6, v3, v4
.LBB31_744:
	s_or_b64 exec, exec, s[6:7]
	s_nop 0
	v_mfma_f32_16x16x4f32 a[0:3], v2, v3, a[0:3]
	v_lshrrev_b32_e32 v3, 8, v9
	s_movk_i32 s4, 0x7f
	v_cmp_gt_i16_sdwa s[6:7], v3, s4 src0_sel:BYTE_0 src1_sel:DWORD
	s_mov_b64 s[4:5], 0
                                        ; implicit-def: $sgpr10
	s_and_saveexec_b64 s[8:9], s[6:7]
	s_xor_b64 s[6:7], exec, s[8:9]
	s_cbranch_execnz .LBB31_2793
; %bb.745:
	s_or_saveexec_b64 s[6:7], s[6:7]
	v_mov_b32_e32 v2, s10
	s_xor_b64 exec, exec, s[6:7]
	s_cbranch_execnz .LBB31_2796
.LBB31_746:
	s_or_b64 exec, exec, s[6:7]
	s_and_saveexec_b64 s[6:7], s[4:5]
	s_cbranch_execz .LBB31_748
.LBB31_747:
	v_bfe_u32 v2, v9, 8, 3
	v_ffbh_u32_e32 v6, v2
	v_min_u32_e32 v6, 32, v6
	v_lshrrev_b16_e32 v4, 3, v3
	v_subrev_u32_e32 v7, 28, v6
	v_and_b32_e32 v4, 15, v4
	v_lshlrev_b32_e32 v3, v7, v3
	v_sub_u32_e32 v6, 29, v6
	v_and_b32_e32 v3, 7, v3
	v_cmp_eq_u16_e32 vcc, 0, v4
	v_cndmask_b32_e32 v2, v2, v3, vcc
	v_cndmask_b32_e32 v3, v4, v6, vcc
	v_lshlrev_b32_e32 v4, 16, v9
	v_mov_b32_e32 v6, 0x3b800000
	v_lshlrev_b32_e32 v2, 20, v2
	v_and_b32_e32 v4, 0x80000000, v4
	v_lshl_add_u32 v3, v3, 23, v6
	v_or3_b32 v2, v4, v3, v2
.LBB31_748:
	s_or_b64 exec, exec, s[6:7]
	v_lshrrev_b32_e32 v3, 8, v5
	s_movk_i32 s4, 0x7f
	v_cmp_gt_i16_sdwa s[6:7], v3, s4 src0_sel:BYTE_0 src1_sel:DWORD
	s_mov_b64 s[4:5], 0
                                        ; implicit-def: $sgpr10
	s_and_saveexec_b64 s[8:9], s[6:7]
	s_xor_b64 s[6:7], exec, s[8:9]
	s_cbranch_execnz .LBB31_2797
; %bb.749:
	s_or_saveexec_b64 s[6:7], s[6:7]
	v_mov_b32_e32 v4, s10
	s_xor_b64 exec, exec, s[6:7]
	s_cbranch_execnz .LBB31_2800
.LBB31_750:
	s_or_b64 exec, exec, s[6:7]
	s_and_saveexec_b64 s[6:7], s[4:5]
	s_cbranch_execz .LBB31_752
.LBB31_751:
	v_bfe_u32 v4, v5, 8, 3
	v_ffbh_u32_e32 v7, v4
	v_min_u32_e32 v7, 32, v7
	v_lshrrev_b16_e32 v6, 3, v3
	v_subrev_u32_e32 v8, 28, v7
	v_and_b32_e32 v6, 15, v6
	v_lshlrev_b32_e32 v3, v8, v3
	v_sub_u32_e32 v7, 29, v7
	v_and_b32_e32 v3, 7, v3
	v_cmp_eq_u16_e32 vcc, 0, v6
	v_cndmask_b32_e32 v3, v4, v3, vcc
	v_cndmask_b32_e32 v4, v6, v7, vcc
	v_lshlrev_b32_e32 v6, 16, v5
	v_mov_b32_e32 v7, 0x3b800000
	v_lshlrev_b32_e32 v3, 20, v3
	v_and_b32_e32 v6, 0x80000000, v6
	v_lshl_add_u32 v4, v4, 23, v7
	v_or3_b32 v4, v6, v4, v3
.LBB31_752:
	s_or_b64 exec, exec, s[6:7]
	s_nop 0
	v_mfma_f32_16x16x4f32 a[0:3], v2, v4, a[0:3]
	s_movk_i32 s4, 0xff
	v_and_b32_sdwa v3, v9, s4 dst_sel:DWORD dst_unused:UNUSED_PAD src0_sel:WORD_1 src1_sel:DWORD
	s_movk_i32 s4, 0x7f
	v_cmp_lt_i16_e32 vcc, s4, v3
	s_mov_b64 s[4:5], 0
                                        ; implicit-def: $sgpr10
	s_and_saveexec_b64 s[6:7], vcc
	s_xor_b64 s[6:7], exec, s[6:7]
	s_cbranch_execnz .LBB31_2801
; %bb.753:
	s_or_saveexec_b64 s[6:7], s[6:7]
	v_mov_b32_e32 v2, s10
	s_xor_b64 exec, exec, s[6:7]
	s_cbranch_execnz .LBB31_2804
.LBB31_754:
	s_or_b64 exec, exec, s[6:7]
	s_and_saveexec_b64 s[6:7], s[4:5]
	s_cbranch_execz .LBB31_756
.LBB31_755:
	v_bfe_u32 v2, v9, 16, 3
	v_ffbh_u32_e32 v6, v2
	v_min_u32_e32 v6, 32, v6
	v_lshrrev_b32_e32 v3, 19, v9
	v_subrev_u32_e32 v7, 28, v6
	v_and_b32_e32 v3, 15, v3
	v_lshlrev_b32_sdwa v7, v7, v9 dst_sel:DWORD dst_unused:UNUSED_PAD src0_sel:DWORD src1_sel:WORD_1
	v_bfe_u32 v4, v9, 19, 4
	v_sub_u32_e32 v6, 29, v6
	v_and_b32_e32 v7, 7, v7
	v_cmp_eq_u16_e32 vcc, 0, v3
	v_cndmask_b32_e32 v2, v2, v7, vcc
	v_cndmask_b32_e32 v3, v4, v6, vcc
	v_lshlrev_b32_e32 v4, 8, v9
	v_mov_b32_e32 v6, 0x3b800000
	v_lshlrev_b32_e32 v2, 20, v2
	v_and_b32_e32 v4, 0x80000000, v4
	v_lshl_add_u32 v3, v3, 23, v6
	v_or3_b32 v2, v4, v3, v2
.LBB31_756:
	s_or_b64 exec, exec, s[6:7]
	s_movk_i32 s4, 0xff
	v_and_b32_sdwa v3, v5, s4 dst_sel:DWORD dst_unused:UNUSED_PAD src0_sel:WORD_1 src1_sel:DWORD
	s_movk_i32 s4, 0x7f
	v_cmp_lt_i16_e32 vcc, s4, v3
	s_mov_b64 s[4:5], 0
                                        ; implicit-def: $sgpr10
	s_and_saveexec_b64 s[6:7], vcc
	s_xor_b64 s[6:7], exec, s[6:7]
	s_cbranch_execnz .LBB31_2805
; %bb.757:
	s_or_saveexec_b64 s[6:7], s[6:7]
	v_mov_b32_e32 v4, s10
	s_xor_b64 exec, exec, s[6:7]
	s_cbranch_execnz .LBB31_2808
.LBB31_758:
	s_or_b64 exec, exec, s[6:7]
	s_and_saveexec_b64 s[6:7], s[4:5]
	s_cbranch_execz .LBB31_760
.LBB31_759:
	v_bfe_u32 v3, v5, 16, 3
	v_ffbh_u32_e32 v7, v3
	v_min_u32_e32 v7, 32, v7
	v_lshrrev_b32_e32 v4, 19, v5
	v_subrev_u32_e32 v8, 28, v7
	v_and_b32_e32 v4, 15, v4
	v_lshlrev_b32_sdwa v8, v8, v5 dst_sel:DWORD dst_unused:UNUSED_PAD src0_sel:DWORD src1_sel:WORD_1
	v_bfe_u32 v6, v5, 19, 4
	v_sub_u32_e32 v7, 29, v7
	v_and_b32_e32 v8, 7, v8
	v_cmp_eq_u16_e32 vcc, 0, v4
	v_cndmask_b32_e32 v3, v3, v8, vcc
	v_cndmask_b32_e32 v4, v6, v7, vcc
	v_lshlrev_b32_e32 v6, 8, v5
	v_mov_b32_e32 v7, 0x3b800000
	v_lshlrev_b32_e32 v3, 20, v3
	v_and_b32_e32 v6, 0x80000000, v6
	v_lshl_add_u32 v4, v4, 23, v7
	v_or3_b32 v4, v6, v4, v3
.LBB31_760:
	s_or_b64 exec, exec, s[6:7]
	s_nop 0
	v_mfma_f32_16x16x4f32 a[0:3], v2, v4, a[0:3]
	s_movk_i32 s4, 0x7f
	v_cmp_gt_i16_sdwa s[6:7], v9, s4 src0_sel:BYTE_3 src1_sel:DWORD
	s_mov_b64 s[4:5], 0
                                        ; implicit-def: $sgpr10
	s_and_saveexec_b64 s[8:9], s[6:7]
	s_xor_b64 s[6:7], exec, s[8:9]
	s_cbranch_execnz .LBB31_2809
; %bb.761:
	s_or_saveexec_b64 s[6:7], s[6:7]
	v_mov_b32_e32 v2, s10
	s_xor_b64 exec, exec, s[6:7]
	s_cbranch_execnz .LBB31_2812
.LBB31_762:
	s_or_b64 exec, exec, s[6:7]
	s_and_saveexec_b64 s[6:7], s[4:5]
	s_cbranch_execz .LBB31_764
.LBB31_763:
	v_bfe_u32 v2, v9, 24, 3
	v_ffbh_u32_e32 v7, v2
	v_min_u32_e32 v7, 32, v7
	v_lshrrev_b32_e32 v4, 27, v9
	v_subrev_u32_e32 v8, 28, v7
	v_and_b32_e32 v4, 15, v4
	v_lshlrev_b32_sdwa v8, v8, v9 dst_sel:DWORD dst_unused:UNUSED_PAD src0_sel:DWORD src1_sel:BYTE_3
	v_bfe_u32 v6, v9, 27, 4
	v_sub_u32_e32 v7, 29, v7
	v_and_b32_e32 v8, 7, v8
	v_cmp_eq_u16_e32 vcc, 0, v4
	v_cndmask_b32_e32 v2, v2, v8, vcc
	v_cndmask_b32_e32 v4, v6, v7, vcc
	v_mov_b32_e32 v6, 0x3b800000
	v_and_b32_e32 v3, 0x80000000, v9
	v_lshlrev_b32_e32 v2, 20, v2
	v_lshl_add_u32 v4, v4, 23, v6
	v_or3_b32 v2, v3, v4, v2
.LBB31_764:
	s_or_b64 exec, exec, s[6:7]
	s_movk_i32 s4, 0x7f
	v_cmp_gt_i16_sdwa s[6:7], v5, s4 src0_sel:BYTE_3 src1_sel:DWORD
	s_mov_b64 s[4:5], 0
                                        ; implicit-def: $sgpr10
	s_and_saveexec_b64 s[8:9], s[6:7]
	s_xor_b64 s[6:7], exec, s[8:9]
	s_cbranch_execnz .LBB31_2813
; %bb.765:
	s_or_saveexec_b64 s[6:7], s[6:7]
	v_mov_b32_e32 v3, s10
	s_xor_b64 exec, exec, s[6:7]
	s_cbranch_execnz .LBB31_2816
.LBB31_766:
	s_or_b64 exec, exec, s[6:7]
	s_and_saveexec_b64 s[6:7], s[4:5]
	s_cbranch_execz .LBB31_768
.LBB31_767:
	v_bfe_u32 v3, v5, 24, 3
	v_ffbh_u32_e32 v8, v3
	v_min_u32_e32 v8, 32, v8
	v_lshrrev_b32_e32 v6, 27, v5
	v_subrev_u32_e32 v9, 28, v8
	v_and_b32_e32 v4, 0x80000000, v5
	v_and_b32_e32 v6, 15, v6
	v_bfe_u32 v7, v5, 27, 4
	v_lshlrev_b32_sdwa v5, v9, v5 dst_sel:DWORD dst_unused:UNUSED_PAD src0_sel:DWORD src1_sel:BYTE_3
	v_sub_u32_e32 v8, 29, v8
	v_and_b32_e32 v5, 7, v5
	v_cmp_eq_u16_e32 vcc, 0, v6
	v_cndmask_b32_e32 v3, v3, v5, vcc
	v_cndmask_b32_e32 v5, v7, v8, vcc
	v_mov_b32_e32 v6, 0x3b800000
	v_lshlrev_b32_e32 v3, 20, v3
	v_lshl_add_u32 v5, v5, 23, v6
	v_or3_b32 v3, v4, v5, v3
.LBB31_768:
	s_or_b64 exec, exec, s[6:7]
	s_nop 0
	v_mfma_f32_16x16x4f32 a[0:3], v2, v3, a[0:3]
	s_movk_i32 s4, 0x7f
                                        ; implicit-def: $sgpr10
	s_nop 7
	s_nop 1
	flat_store_dwordx4 v[18:19], a[0:3] offset:416
	flat_load_dwordx4 v[20:23], v[0:1] offset:16
	s_nop 0
	flat_load_dwordx2 v[18:19], v[0:1] offset:32
	s_waitcnt vmcnt(0) lgkmcnt(0)
	flat_load_dwordx4 v[14:17], v[20:21] offset:32
	flat_load_dwordx4 v[6:9], v[20:21] offset:48
	;; [unrolled: 1-line block ×4, first 2 shown]
	s_waitcnt vmcnt(0) lgkmcnt(0)
	v_cmp_gt_i16_sdwa s[6:7], v14, s4 src0_sel:BYTE_0 src1_sel:DWORD
	s_mov_b64 s[4:5], 0
	s_and_saveexec_b64 s[8:9], s[6:7]
	s_xor_b64 s[6:7], exec, s[8:9]
	s_cbranch_execnz .LBB31_2817
; %bb.769:
	s_or_saveexec_b64 s[6:7], s[6:7]
	v_mov_b32_e32 v20, s10
	s_xor_b64 exec, exec, s[6:7]
	s_cbranch_execnz .LBB31_2820
.LBB31_770:
	s_or_b64 exec, exec, s[6:7]
	s_and_saveexec_b64 s[6:7], s[4:5]
	s_cbranch_execz .LBB31_772
.LBB31_771:
	v_and_b32_e32 v20, 7, v14
	v_ffbh_u32_e32 v22, v20
	v_min_u32_e32 v22, 32, v22
	v_lshrrev_b16_e32 v21, 3, v14
	v_subrev_u32_e32 v23, 28, v22
	v_and_b32_e32 v21, 15, v21
	v_lshlrev_b32_e32 v23, v23, v14
	v_sub_u32_e32 v22, 29, v22
	v_and_b32_e32 v23, 7, v23
	v_cmp_eq_u16_e32 vcc, 0, v21
	v_cndmask_b32_e32 v20, v20, v23, vcc
	v_cndmask_b32_e32 v21, v21, v22, vcc
	v_lshlrev_b32_e32 v22, 24, v14
	v_mov_b32_e32 v23, 0x3b800000
	v_lshlrev_b32_e32 v20, 20, v20
	v_and_b32_e32 v22, 0x80000000, v22
	v_lshl_add_u32 v21, v21, 23, v23
	v_or3_b32 v20, v22, v21, v20
.LBB31_772:
	s_or_b64 exec, exec, s[6:7]
	s_movk_i32 s4, 0x7f
	v_cmp_gt_i16_sdwa s[6:7], v10, s4 src0_sel:BYTE_0 src1_sel:DWORD
	s_mov_b64 s[4:5], 0
                                        ; implicit-def: $sgpr10
	s_and_saveexec_b64 s[8:9], s[6:7]
	s_xor_b64 s[6:7], exec, s[8:9]
	s_cbranch_execnz .LBB31_2821
; %bb.773:
	s_or_saveexec_b64 s[6:7], s[6:7]
	v_mov_b32_e32 v21, s10
	s_xor_b64 exec, exec, s[6:7]
	s_cbranch_execnz .LBB31_2824
.LBB31_774:
	s_or_b64 exec, exec, s[6:7]
	s_and_saveexec_b64 s[6:7], s[4:5]
	s_cbranch_execz .LBB31_776
.LBB31_775:
	v_and_b32_e32 v21, 7, v10
	v_ffbh_u32_e32 v23, v21
	v_min_u32_e32 v23, 32, v23
	v_lshrrev_b16_e32 v22, 3, v10
	v_subrev_u32_e32 v24, 28, v23
	v_and_b32_e32 v22, 15, v22
	v_lshlrev_b32_e32 v24, v24, v10
	v_sub_u32_e32 v23, 29, v23
	v_and_b32_e32 v24, 7, v24
	v_cmp_eq_u16_e32 vcc, 0, v22
	v_cndmask_b32_e32 v21, v21, v24, vcc
	v_cndmask_b32_e32 v22, v22, v23, vcc
	v_lshlrev_b32_e32 v23, 24, v10
	v_mov_b32_e32 v24, 0x3b800000
	v_lshlrev_b32_e32 v21, 20, v21
	v_and_b32_e32 v23, 0x80000000, v23
	v_lshl_add_u32 v22, v22, 23, v24
	v_or3_b32 v21, v23, v22, v21
.LBB31_776:
	s_or_b64 exec, exec, s[6:7]
	flat_load_dwordx4 a[0:3], v[18:19] offset:432
	s_movk_i32 s4, 0x7f
                                        ; implicit-def: $sgpr10
	s_waitcnt vmcnt(0) lgkmcnt(0)
	v_mfma_f32_16x16x4f32 a[0:3], v20, v21, a[0:3]
	v_lshrrev_b32_e32 v21, 8, v14
	v_cmp_gt_i16_sdwa s[6:7], v21, s4 src0_sel:BYTE_0 src1_sel:DWORD
	s_mov_b64 s[4:5], 0
	s_and_saveexec_b64 s[8:9], s[6:7]
	s_xor_b64 s[6:7], exec, s[8:9]
	s_cbranch_execnz .LBB31_2825
; %bb.777:
	s_or_saveexec_b64 s[6:7], s[6:7]
	v_mov_b32_e32 v20, s10
	s_xor_b64 exec, exec, s[6:7]
	s_cbranch_execnz .LBB31_2828
.LBB31_778:
	s_or_b64 exec, exec, s[6:7]
	s_and_saveexec_b64 s[6:7], s[4:5]
	s_cbranch_execz .LBB31_780
.LBB31_779:
	v_bfe_u32 v20, v14, 8, 3
	v_ffbh_u32_e32 v23, v20
	v_min_u32_e32 v23, 32, v23
	v_lshrrev_b16_e32 v22, 3, v21
	v_subrev_u32_e32 v24, 28, v23
	v_and_b32_e32 v22, 15, v22
	v_lshlrev_b32_e32 v21, v24, v21
	v_sub_u32_e32 v23, 29, v23
	v_and_b32_e32 v21, 7, v21
	v_cmp_eq_u16_e32 vcc, 0, v22
	v_cndmask_b32_e32 v20, v20, v21, vcc
	v_cndmask_b32_e32 v21, v22, v23, vcc
	v_lshlrev_b32_e32 v22, 16, v14
	v_mov_b32_e32 v23, 0x3b800000
	v_lshlrev_b32_e32 v20, 20, v20
	v_and_b32_e32 v22, 0x80000000, v22
	v_lshl_add_u32 v21, v21, 23, v23
	v_or3_b32 v20, v22, v21, v20
.LBB31_780:
	s_or_b64 exec, exec, s[6:7]
	v_lshrrev_b32_e32 v21, 8, v10
	s_movk_i32 s4, 0x7f
	v_cmp_gt_i16_sdwa s[6:7], v21, s4 src0_sel:BYTE_0 src1_sel:DWORD
	s_mov_b64 s[4:5], 0
                                        ; implicit-def: $sgpr10
	s_and_saveexec_b64 s[8:9], s[6:7]
	s_xor_b64 s[6:7], exec, s[8:9]
	s_cbranch_execnz .LBB31_2829
; %bb.781:
	s_or_saveexec_b64 s[6:7], s[6:7]
	v_mov_b32_e32 v22, s10
	s_xor_b64 exec, exec, s[6:7]
	s_cbranch_execnz .LBB31_2832
.LBB31_782:
	s_or_b64 exec, exec, s[6:7]
	s_and_saveexec_b64 s[6:7], s[4:5]
	s_cbranch_execz .LBB31_784
.LBB31_783:
	v_bfe_u32 v22, v10, 8, 3
	v_ffbh_u32_e32 v24, v22
	v_min_u32_e32 v24, 32, v24
	v_lshrrev_b16_e32 v23, 3, v21
	v_subrev_u32_e32 v25, 28, v24
	v_and_b32_e32 v23, 15, v23
	v_lshlrev_b32_e32 v21, v25, v21
	v_sub_u32_e32 v24, 29, v24
	v_and_b32_e32 v21, 7, v21
	v_cmp_eq_u16_e32 vcc, 0, v23
	v_cndmask_b32_e32 v21, v22, v21, vcc
	v_cndmask_b32_e32 v22, v23, v24, vcc
	v_lshlrev_b32_e32 v23, 16, v10
	v_mov_b32_e32 v24, 0x3b800000
	v_lshlrev_b32_e32 v21, 20, v21
	v_and_b32_e32 v23, 0x80000000, v23
	v_lshl_add_u32 v22, v22, 23, v24
	v_or3_b32 v22, v23, v22, v21
.LBB31_784:
	s_or_b64 exec, exec, s[6:7]
	s_nop 0
	v_mfma_f32_16x16x4f32 a[0:3], v20, v22, a[0:3]
	s_movk_i32 s4, 0xff
	v_and_b32_sdwa v21, v14, s4 dst_sel:DWORD dst_unused:UNUSED_PAD src0_sel:WORD_1 src1_sel:DWORD
	s_movk_i32 s4, 0x7f
	v_cmp_lt_i16_e32 vcc, s4, v21
	s_mov_b64 s[4:5], 0
                                        ; implicit-def: $sgpr10
	s_and_saveexec_b64 s[6:7], vcc
	s_xor_b64 s[6:7], exec, s[6:7]
	s_cbranch_execnz .LBB31_2833
; %bb.785:
	s_or_saveexec_b64 s[6:7], s[6:7]
	v_mov_b32_e32 v20, s10
	s_xor_b64 exec, exec, s[6:7]
	s_cbranch_execnz .LBB31_2836
.LBB31_786:
	s_or_b64 exec, exec, s[6:7]
	s_and_saveexec_b64 s[6:7], s[4:5]
	s_cbranch_execz .LBB31_788
.LBB31_787:
	v_bfe_u32 v20, v14, 16, 3
	v_ffbh_u32_e32 v23, v20
	v_min_u32_e32 v23, 32, v23
	v_lshrrev_b32_e32 v21, 19, v14
	v_subrev_u32_e32 v24, 28, v23
	v_and_b32_e32 v21, 15, v21
	v_lshlrev_b32_sdwa v24, v24, v14 dst_sel:DWORD dst_unused:UNUSED_PAD src0_sel:DWORD src1_sel:WORD_1
	v_bfe_u32 v22, v14, 19, 4
	v_sub_u32_e32 v23, 29, v23
	v_and_b32_e32 v24, 7, v24
	v_cmp_eq_u16_e32 vcc, 0, v21
	v_cndmask_b32_e32 v20, v20, v24, vcc
	v_cndmask_b32_e32 v21, v22, v23, vcc
	v_lshlrev_b32_e32 v22, 8, v14
	v_mov_b32_e32 v23, 0x3b800000
	v_lshlrev_b32_e32 v20, 20, v20
	v_and_b32_e32 v22, 0x80000000, v22
	v_lshl_add_u32 v21, v21, 23, v23
	v_or3_b32 v20, v22, v21, v20
.LBB31_788:
	s_or_b64 exec, exec, s[6:7]
	s_movk_i32 s4, 0xff
	v_and_b32_sdwa v21, v10, s4 dst_sel:DWORD dst_unused:UNUSED_PAD src0_sel:WORD_1 src1_sel:DWORD
	s_movk_i32 s4, 0x7f
	v_cmp_lt_i16_e32 vcc, s4, v21
	s_mov_b64 s[4:5], 0
                                        ; implicit-def: $sgpr10
	s_and_saveexec_b64 s[6:7], vcc
	s_xor_b64 s[6:7], exec, s[6:7]
	s_cbranch_execnz .LBB31_2837
; %bb.789:
	s_or_saveexec_b64 s[6:7], s[6:7]
	v_mov_b32_e32 v22, s10
	s_xor_b64 exec, exec, s[6:7]
	s_cbranch_execnz .LBB31_2840
.LBB31_790:
	s_or_b64 exec, exec, s[6:7]
	s_and_saveexec_b64 s[6:7], s[4:5]
	s_cbranch_execz .LBB31_792
.LBB31_791:
	v_bfe_u32 v21, v10, 16, 3
	v_ffbh_u32_e32 v24, v21
	v_min_u32_e32 v24, 32, v24
	v_lshrrev_b32_e32 v22, 19, v10
	v_subrev_u32_e32 v25, 28, v24
	v_and_b32_e32 v22, 15, v22
	v_lshlrev_b32_sdwa v25, v25, v10 dst_sel:DWORD dst_unused:UNUSED_PAD src0_sel:DWORD src1_sel:WORD_1
	v_bfe_u32 v23, v10, 19, 4
	v_sub_u32_e32 v24, 29, v24
	v_and_b32_e32 v25, 7, v25
	v_cmp_eq_u16_e32 vcc, 0, v22
	v_cndmask_b32_e32 v21, v21, v25, vcc
	v_cndmask_b32_e32 v22, v23, v24, vcc
	v_lshlrev_b32_e32 v23, 8, v10
	v_mov_b32_e32 v24, 0x3b800000
	v_lshlrev_b32_e32 v21, 20, v21
	v_and_b32_e32 v23, 0x80000000, v23
	v_lshl_add_u32 v22, v22, 23, v24
	v_or3_b32 v22, v23, v22, v21
.LBB31_792:
	s_or_b64 exec, exec, s[6:7]
	s_nop 0
	v_mfma_f32_16x16x4f32 a[0:3], v20, v22, a[0:3]
	s_movk_i32 s4, 0x7f
	v_cmp_gt_i16_sdwa s[6:7], v14, s4 src0_sel:BYTE_3 src1_sel:DWORD
	s_mov_b64 s[4:5], 0
                                        ; implicit-def: $sgpr10
	s_and_saveexec_b64 s[8:9], s[6:7]
	s_xor_b64 s[6:7], exec, s[8:9]
	s_cbranch_execnz .LBB31_2841
; %bb.793:
	s_or_saveexec_b64 s[6:7], s[6:7]
	v_mov_b32_e32 v20, s10
	s_xor_b64 exec, exec, s[6:7]
	s_cbranch_execnz .LBB31_2844
.LBB31_794:
	s_or_b64 exec, exec, s[6:7]
	s_and_saveexec_b64 s[6:7], s[4:5]
	s_cbranch_execz .LBB31_796
.LBB31_795:
	v_bfe_u32 v20, v14, 24, 3
	v_ffbh_u32_e32 v24, v20
	v_min_u32_e32 v24, 32, v24
	v_lshrrev_b32_e32 v22, 27, v14
	v_subrev_u32_e32 v25, 28, v24
	v_and_b32_e32 v21, 0x80000000, v14
	v_and_b32_e32 v22, 15, v22
	v_bfe_u32 v23, v14, 27, 4
	v_lshlrev_b32_sdwa v14, v25, v14 dst_sel:DWORD dst_unused:UNUSED_PAD src0_sel:DWORD src1_sel:BYTE_3
	v_sub_u32_e32 v24, 29, v24
	v_and_b32_e32 v14, 7, v14
	v_cmp_eq_u16_e32 vcc, 0, v22
	v_cndmask_b32_e32 v14, v20, v14, vcc
	v_cndmask_b32_e32 v20, v23, v24, vcc
	v_mov_b32_e32 v22, 0x3b800000
	v_lshlrev_b32_e32 v14, 20, v14
	v_lshl_add_u32 v20, v20, 23, v22
	v_or3_b32 v20, v21, v20, v14
.LBB31_796:
	s_or_b64 exec, exec, s[6:7]
	s_movk_i32 s4, 0x7f
	v_cmp_gt_i16_sdwa s[6:7], v10, s4 src0_sel:BYTE_3 src1_sel:DWORD
	s_mov_b64 s[4:5], 0
                                        ; implicit-def: $sgpr10
	s_and_saveexec_b64 s[8:9], s[6:7]
	s_xor_b64 s[6:7], exec, s[8:9]
	s_cbranch_execnz .LBB31_2845
; %bb.797:
	s_or_saveexec_b64 s[6:7], s[6:7]
	v_mov_b32_e32 v14, s10
	s_xor_b64 exec, exec, s[6:7]
	s_cbranch_execnz .LBB31_2848
.LBB31_798:
	s_or_b64 exec, exec, s[6:7]
	s_and_saveexec_b64 s[6:7], s[4:5]
	s_cbranch_execz .LBB31_800
.LBB31_799:
	v_bfe_u32 v14, v10, 24, 3
	v_ffbh_u32_e32 v24, v14
	v_min_u32_e32 v24, 32, v24
	v_lshrrev_b32_e32 v22, 27, v10
	v_subrev_u32_e32 v25, 28, v24
	v_and_b32_e32 v21, 0x80000000, v10
	v_and_b32_e32 v22, 15, v22
	v_bfe_u32 v23, v10, 27, 4
	v_lshlrev_b32_sdwa v10, v25, v10 dst_sel:DWORD dst_unused:UNUSED_PAD src0_sel:DWORD src1_sel:BYTE_3
	v_sub_u32_e32 v24, 29, v24
	v_and_b32_e32 v10, 7, v10
	v_cmp_eq_u16_e32 vcc, 0, v22
	v_cndmask_b32_e32 v10, v14, v10, vcc
	v_cndmask_b32_e32 v14, v23, v24, vcc
	v_mov_b32_e32 v22, 0x3b800000
	v_lshlrev_b32_e32 v10, 20, v10
	v_lshl_add_u32 v14, v14, 23, v22
	v_or3_b32 v14, v21, v14, v10
.LBB31_800:
	s_or_b64 exec, exec, s[6:7]
	s_nop 0
	v_mfma_f32_16x16x4f32 a[0:3], v20, v14, a[0:3]
	s_movk_i32 s4, 0x7f
	v_cmp_gt_i16_sdwa s[6:7], v15, s4 src0_sel:BYTE_0 src1_sel:DWORD
	s_mov_b64 s[4:5], 0
                                        ; implicit-def: $sgpr10
	s_and_saveexec_b64 s[8:9], s[6:7]
	s_xor_b64 s[6:7], exec, s[8:9]
	s_cbranch_execnz .LBB31_2849
; %bb.801:
	s_or_saveexec_b64 s[6:7], s[6:7]
	v_mov_b32_e32 v10, s10
	s_xor_b64 exec, exec, s[6:7]
	s_cbranch_execnz .LBB31_2852
.LBB31_802:
	s_or_b64 exec, exec, s[6:7]
	s_and_saveexec_b64 s[6:7], s[4:5]
	s_cbranch_execz .LBB31_804
.LBB31_803:
	v_and_b32_e32 v10, 7, v15
	v_ffbh_u32_e32 v20, v10
	v_min_u32_e32 v20, 32, v20
	v_lshrrev_b16_e32 v14, 3, v15
	v_subrev_u32_e32 v21, 28, v20
	v_and_b32_e32 v14, 15, v14
	v_lshlrev_b32_e32 v21, v21, v15
	v_sub_u32_e32 v20, 29, v20
	v_and_b32_e32 v21, 7, v21
	v_cmp_eq_u16_e32 vcc, 0, v14
	v_cndmask_b32_e32 v10, v10, v21, vcc
	v_cndmask_b32_e32 v14, v14, v20, vcc
	v_lshlrev_b32_e32 v20, 24, v15
	v_mov_b32_e32 v21, 0x3b800000
	v_lshlrev_b32_e32 v10, 20, v10
	v_and_b32_e32 v20, 0x80000000, v20
	v_lshl_add_u32 v14, v14, 23, v21
	v_or3_b32 v10, v20, v14, v10
.LBB31_804:
	s_or_b64 exec, exec, s[6:7]
	s_movk_i32 s4, 0x7f
	v_cmp_gt_i16_sdwa s[6:7], v11, s4 src0_sel:BYTE_0 src1_sel:DWORD
	s_mov_b64 s[4:5], 0
                                        ; implicit-def: $sgpr10
	s_and_saveexec_b64 s[8:9], s[6:7]
	s_xor_b64 s[6:7], exec, s[8:9]
	s_cbranch_execnz .LBB31_2853
; %bb.805:
	s_or_saveexec_b64 s[6:7], s[6:7]
	v_mov_b32_e32 v14, s10
	s_xor_b64 exec, exec, s[6:7]
	s_cbranch_execnz .LBB31_2856
.LBB31_806:
	s_or_b64 exec, exec, s[6:7]
	s_and_saveexec_b64 s[6:7], s[4:5]
	s_cbranch_execz .LBB31_808
.LBB31_807:
	v_and_b32_e32 v14, 7, v11
	v_ffbh_u32_e32 v21, v14
	v_min_u32_e32 v21, 32, v21
	v_lshrrev_b16_e32 v20, 3, v11
	v_subrev_u32_e32 v22, 28, v21
	v_and_b32_e32 v20, 15, v20
	v_lshlrev_b32_e32 v22, v22, v11
	v_sub_u32_e32 v21, 29, v21
	v_and_b32_e32 v22, 7, v22
	v_cmp_eq_u16_e32 vcc, 0, v20
	v_cndmask_b32_e32 v14, v14, v22, vcc
	v_cndmask_b32_e32 v20, v20, v21, vcc
	v_lshlrev_b32_e32 v21, 24, v11
	v_mov_b32_e32 v22, 0x3b800000
	v_lshlrev_b32_e32 v14, 20, v14
	v_and_b32_e32 v21, 0x80000000, v21
	v_lshl_add_u32 v20, v20, 23, v22
	v_or3_b32 v14, v21, v20, v14
.LBB31_808:
	s_or_b64 exec, exec, s[6:7]
	s_nop 0
	v_mfma_f32_16x16x4f32 a[0:3], v10, v14, a[0:3]
	v_lshrrev_b32_e32 v14, 8, v15
	s_movk_i32 s4, 0x7f
	v_cmp_gt_i16_sdwa s[6:7], v14, s4 src0_sel:BYTE_0 src1_sel:DWORD
	s_mov_b64 s[4:5], 0
                                        ; implicit-def: $sgpr10
	s_and_saveexec_b64 s[8:9], s[6:7]
	s_xor_b64 s[6:7], exec, s[8:9]
	s_cbranch_execnz .LBB31_2857
; %bb.809:
	s_or_saveexec_b64 s[6:7], s[6:7]
	v_mov_b32_e32 v10, s10
	s_xor_b64 exec, exec, s[6:7]
	s_cbranch_execnz .LBB31_2860
.LBB31_810:
	s_or_b64 exec, exec, s[6:7]
	s_and_saveexec_b64 s[6:7], s[4:5]
	s_cbranch_execz .LBB31_812
.LBB31_811:
	v_bfe_u32 v10, v15, 8, 3
	v_ffbh_u32_e32 v21, v10
	v_min_u32_e32 v21, 32, v21
	v_lshrrev_b16_e32 v20, 3, v14
	v_subrev_u32_e32 v22, 28, v21
	v_and_b32_e32 v20, 15, v20
	v_lshlrev_b32_e32 v14, v22, v14
	v_sub_u32_e32 v21, 29, v21
	v_and_b32_e32 v14, 7, v14
	v_cmp_eq_u16_e32 vcc, 0, v20
	v_cndmask_b32_e32 v10, v10, v14, vcc
	v_cndmask_b32_e32 v14, v20, v21, vcc
	v_lshlrev_b32_e32 v20, 16, v15
	v_mov_b32_e32 v21, 0x3b800000
	v_lshlrev_b32_e32 v10, 20, v10
	v_and_b32_e32 v20, 0x80000000, v20
	v_lshl_add_u32 v14, v14, 23, v21
	v_or3_b32 v10, v20, v14, v10
.LBB31_812:
	s_or_b64 exec, exec, s[6:7]
	v_lshrrev_b32_e32 v14, 8, v11
	s_movk_i32 s4, 0x7f
	v_cmp_gt_i16_sdwa s[6:7], v14, s4 src0_sel:BYTE_0 src1_sel:DWORD
	s_mov_b64 s[4:5], 0
                                        ; implicit-def: $sgpr10
	s_and_saveexec_b64 s[8:9], s[6:7]
	s_xor_b64 s[6:7], exec, s[8:9]
	s_cbranch_execnz .LBB31_2861
; %bb.813:
	s_or_saveexec_b64 s[6:7], s[6:7]
	v_mov_b32_e32 v20, s10
	s_xor_b64 exec, exec, s[6:7]
	s_cbranch_execnz .LBB31_2864
.LBB31_814:
	s_or_b64 exec, exec, s[6:7]
	s_and_saveexec_b64 s[6:7], s[4:5]
	s_cbranch_execz .LBB31_816
.LBB31_815:
	v_bfe_u32 v20, v11, 8, 3
	v_ffbh_u32_e32 v22, v20
	v_min_u32_e32 v22, 32, v22
	v_lshrrev_b16_e32 v21, 3, v14
	v_subrev_u32_e32 v23, 28, v22
	v_and_b32_e32 v21, 15, v21
	v_lshlrev_b32_e32 v14, v23, v14
	v_sub_u32_e32 v22, 29, v22
	v_and_b32_e32 v14, 7, v14
	v_cmp_eq_u16_e32 vcc, 0, v21
	v_cndmask_b32_e32 v14, v20, v14, vcc
	v_cndmask_b32_e32 v20, v21, v22, vcc
	v_lshlrev_b32_e32 v21, 16, v11
	v_mov_b32_e32 v22, 0x3b800000
	v_lshlrev_b32_e32 v14, 20, v14
	v_and_b32_e32 v21, 0x80000000, v21
	v_lshl_add_u32 v20, v20, 23, v22
	v_or3_b32 v20, v21, v20, v14
.LBB31_816:
	s_or_b64 exec, exec, s[6:7]
	s_nop 0
	v_mfma_f32_16x16x4f32 a[0:3], v10, v20, a[0:3]
	s_movk_i32 s4, 0xff
	v_and_b32_sdwa v14, v15, s4 dst_sel:DWORD dst_unused:UNUSED_PAD src0_sel:WORD_1 src1_sel:DWORD
	s_movk_i32 s4, 0x7f
	v_cmp_lt_i16_e32 vcc, s4, v14
	s_mov_b64 s[4:5], 0
                                        ; implicit-def: $sgpr10
	s_and_saveexec_b64 s[6:7], vcc
	s_xor_b64 s[6:7], exec, s[6:7]
	s_cbranch_execnz .LBB31_2865
; %bb.817:
	s_or_saveexec_b64 s[6:7], s[6:7]
	v_mov_b32_e32 v10, s10
	s_xor_b64 exec, exec, s[6:7]
	s_cbranch_execnz .LBB31_2868
.LBB31_818:
	s_or_b64 exec, exec, s[6:7]
	s_and_saveexec_b64 s[6:7], s[4:5]
	s_cbranch_execz .LBB31_820
.LBB31_819:
	v_bfe_u32 v10, v15, 16, 3
	v_ffbh_u32_e32 v21, v10
	v_min_u32_e32 v21, 32, v21
	v_lshrrev_b32_e32 v14, 19, v15
	v_subrev_u32_e32 v22, 28, v21
	v_and_b32_e32 v14, 15, v14
	v_lshlrev_b32_sdwa v22, v22, v15 dst_sel:DWORD dst_unused:UNUSED_PAD src0_sel:DWORD src1_sel:WORD_1
	v_bfe_u32 v20, v15, 19, 4
	v_sub_u32_e32 v21, 29, v21
	v_and_b32_e32 v22, 7, v22
	v_cmp_eq_u16_e32 vcc, 0, v14
	v_cndmask_b32_e32 v10, v10, v22, vcc
	v_cndmask_b32_e32 v14, v20, v21, vcc
	v_lshlrev_b32_e32 v20, 8, v15
	v_mov_b32_e32 v21, 0x3b800000
	v_lshlrev_b32_e32 v10, 20, v10
	v_and_b32_e32 v20, 0x80000000, v20
	v_lshl_add_u32 v14, v14, 23, v21
	v_or3_b32 v10, v20, v14, v10
.LBB31_820:
	s_or_b64 exec, exec, s[6:7]
	s_movk_i32 s4, 0xff
	v_and_b32_sdwa v14, v11, s4 dst_sel:DWORD dst_unused:UNUSED_PAD src0_sel:WORD_1 src1_sel:DWORD
	s_movk_i32 s4, 0x7f
	v_cmp_lt_i16_e32 vcc, s4, v14
	s_mov_b64 s[4:5], 0
                                        ; implicit-def: $sgpr10
	s_and_saveexec_b64 s[6:7], vcc
	s_xor_b64 s[6:7], exec, s[6:7]
	s_cbranch_execnz .LBB31_2869
; %bb.821:
	s_or_saveexec_b64 s[6:7], s[6:7]
	v_mov_b32_e32 v20, s10
	s_xor_b64 exec, exec, s[6:7]
	s_cbranch_execnz .LBB31_2872
.LBB31_822:
	s_or_b64 exec, exec, s[6:7]
	s_and_saveexec_b64 s[6:7], s[4:5]
	s_cbranch_execz .LBB31_824
.LBB31_823:
	v_bfe_u32 v14, v11, 16, 3
	v_ffbh_u32_e32 v22, v14
	v_min_u32_e32 v22, 32, v22
	v_lshrrev_b32_e32 v20, 19, v11
	v_subrev_u32_e32 v23, 28, v22
	v_and_b32_e32 v20, 15, v20
	v_lshlrev_b32_sdwa v23, v23, v11 dst_sel:DWORD dst_unused:UNUSED_PAD src0_sel:DWORD src1_sel:WORD_1
	v_bfe_u32 v21, v11, 19, 4
	v_sub_u32_e32 v22, 29, v22
	v_and_b32_e32 v23, 7, v23
	v_cmp_eq_u16_e32 vcc, 0, v20
	v_cndmask_b32_e32 v14, v14, v23, vcc
	v_cndmask_b32_e32 v20, v21, v22, vcc
	v_lshlrev_b32_e32 v21, 8, v11
	v_mov_b32_e32 v22, 0x3b800000
	v_lshlrev_b32_e32 v14, 20, v14
	v_and_b32_e32 v21, 0x80000000, v21
	v_lshl_add_u32 v20, v20, 23, v22
	v_or3_b32 v20, v21, v20, v14
.LBB31_824:
	s_or_b64 exec, exec, s[6:7]
	s_nop 0
	v_mfma_f32_16x16x4f32 a[0:3], v10, v20, a[0:3]
	s_movk_i32 s4, 0x7f
	v_cmp_gt_i16_sdwa s[6:7], v15, s4 src0_sel:BYTE_3 src1_sel:DWORD
	s_mov_b64 s[4:5], 0
                                        ; implicit-def: $sgpr10
	s_and_saveexec_b64 s[8:9], s[6:7]
	s_xor_b64 s[6:7], exec, s[8:9]
	s_cbranch_execnz .LBB31_2873
; %bb.825:
	s_or_saveexec_b64 s[6:7], s[6:7]
	v_mov_b32_e32 v10, s10
	s_xor_b64 exec, exec, s[6:7]
	s_cbranch_execnz .LBB31_2876
.LBB31_826:
	s_or_b64 exec, exec, s[6:7]
	s_and_saveexec_b64 s[6:7], s[4:5]
	s_cbranch_execz .LBB31_828
.LBB31_827:
	v_bfe_u32 v10, v15, 24, 3
	v_ffbh_u32_e32 v22, v10
	v_min_u32_e32 v22, 32, v22
	v_lshrrev_b32_e32 v20, 27, v15
	v_subrev_u32_e32 v23, 28, v22
	v_and_b32_e32 v14, 0x80000000, v15
	v_and_b32_e32 v20, 15, v20
	v_bfe_u32 v21, v15, 27, 4
	v_lshlrev_b32_sdwa v15, v23, v15 dst_sel:DWORD dst_unused:UNUSED_PAD src0_sel:DWORD src1_sel:BYTE_3
	v_sub_u32_e32 v22, 29, v22
	v_and_b32_e32 v15, 7, v15
	v_cmp_eq_u16_e32 vcc, 0, v20
	v_cndmask_b32_e32 v10, v10, v15, vcc
	v_cndmask_b32_e32 v15, v21, v22, vcc
	v_mov_b32_e32 v20, 0x3b800000
	v_lshlrev_b32_e32 v10, 20, v10
	v_lshl_add_u32 v15, v15, 23, v20
	v_or3_b32 v10, v14, v15, v10
.LBB31_828:
	s_or_b64 exec, exec, s[6:7]
	s_movk_i32 s4, 0x7f
	v_cmp_gt_i16_sdwa s[6:7], v11, s4 src0_sel:BYTE_3 src1_sel:DWORD
	s_mov_b64 s[4:5], 0
                                        ; implicit-def: $sgpr10
	s_and_saveexec_b64 s[8:9], s[6:7]
	s_xor_b64 s[6:7], exec, s[8:9]
	s_cbranch_execnz .LBB31_2877
; %bb.829:
	s_or_saveexec_b64 s[6:7], s[6:7]
	v_mov_b32_e32 v14, s10
	s_xor_b64 exec, exec, s[6:7]
	s_cbranch_execnz .LBB31_2880
.LBB31_830:
	s_or_b64 exec, exec, s[6:7]
	s_and_saveexec_b64 s[6:7], s[4:5]
	s_cbranch_execz .LBB31_832
.LBB31_831:
	v_bfe_u32 v14, v11, 24, 3
	v_ffbh_u32_e32 v22, v14
	v_min_u32_e32 v22, 32, v22
	v_lshrrev_b32_e32 v20, 27, v11
	v_subrev_u32_e32 v23, 28, v22
	v_and_b32_e32 v15, 0x80000000, v11
	v_and_b32_e32 v20, 15, v20
	v_bfe_u32 v21, v11, 27, 4
	v_lshlrev_b32_sdwa v11, v23, v11 dst_sel:DWORD dst_unused:UNUSED_PAD src0_sel:DWORD src1_sel:BYTE_3
	v_sub_u32_e32 v22, 29, v22
	v_and_b32_e32 v11, 7, v11
	v_cmp_eq_u16_e32 vcc, 0, v20
	v_cndmask_b32_e32 v11, v14, v11, vcc
	v_cndmask_b32_e32 v14, v21, v22, vcc
	v_mov_b32_e32 v20, 0x3b800000
	v_lshlrev_b32_e32 v11, 20, v11
	v_lshl_add_u32 v14, v14, 23, v20
	v_or3_b32 v14, v15, v14, v11
.LBB31_832:
	s_or_b64 exec, exec, s[6:7]
	s_nop 0
	v_mfma_f32_16x16x4f32 a[0:3], v10, v14, a[0:3]
	s_movk_i32 s4, 0x7f
	v_cmp_gt_i16_sdwa s[6:7], v16, s4 src0_sel:BYTE_0 src1_sel:DWORD
	s_mov_b64 s[4:5], 0
                                        ; implicit-def: $sgpr10
	s_and_saveexec_b64 s[8:9], s[6:7]
	s_xor_b64 s[6:7], exec, s[8:9]
	s_cbranch_execnz .LBB31_2881
; %bb.833:
	s_or_saveexec_b64 s[6:7], s[6:7]
	v_mov_b32_e32 v10, s10
	s_xor_b64 exec, exec, s[6:7]
	s_cbranch_execnz .LBB31_2884
.LBB31_834:
	s_or_b64 exec, exec, s[6:7]
	s_and_saveexec_b64 s[6:7], s[4:5]
	s_cbranch_execz .LBB31_836
.LBB31_835:
	v_and_b32_e32 v10, 7, v16
	v_ffbh_u32_e32 v14, v10
	v_min_u32_e32 v14, 32, v14
	v_lshrrev_b16_e32 v11, 3, v16
	v_subrev_u32_e32 v15, 28, v14
	v_and_b32_e32 v11, 15, v11
	v_lshlrev_b32_e32 v15, v15, v16
	v_sub_u32_e32 v14, 29, v14
	v_and_b32_e32 v15, 7, v15
	v_cmp_eq_u16_e32 vcc, 0, v11
	v_cndmask_b32_e32 v10, v10, v15, vcc
	v_cndmask_b32_e32 v11, v11, v14, vcc
	v_lshlrev_b32_e32 v14, 24, v16
	v_mov_b32_e32 v15, 0x3b800000
	v_lshlrev_b32_e32 v10, 20, v10
	v_and_b32_e32 v14, 0x80000000, v14
	v_lshl_add_u32 v11, v11, 23, v15
	v_or3_b32 v10, v14, v11, v10
.LBB31_836:
	s_or_b64 exec, exec, s[6:7]
	s_movk_i32 s4, 0x7f
	v_cmp_gt_i16_sdwa s[6:7], v12, s4 src0_sel:BYTE_0 src1_sel:DWORD
	s_mov_b64 s[4:5], 0
                                        ; implicit-def: $sgpr10
	s_and_saveexec_b64 s[8:9], s[6:7]
	s_xor_b64 s[6:7], exec, s[8:9]
	s_cbranch_execnz .LBB31_2885
; %bb.837:
	s_or_saveexec_b64 s[6:7], s[6:7]
	v_mov_b32_e32 v11, s10
	s_xor_b64 exec, exec, s[6:7]
	s_cbranch_execnz .LBB31_2888
.LBB31_838:
	s_or_b64 exec, exec, s[6:7]
	s_and_saveexec_b64 s[6:7], s[4:5]
	s_cbranch_execz .LBB31_840
.LBB31_839:
	v_and_b32_e32 v11, 7, v12
	v_ffbh_u32_e32 v15, v11
	v_min_u32_e32 v15, 32, v15
	v_lshrrev_b16_e32 v14, 3, v12
	v_subrev_u32_e32 v20, 28, v15
	v_and_b32_e32 v14, 15, v14
	v_lshlrev_b32_e32 v20, v20, v12
	v_sub_u32_e32 v15, 29, v15
	v_and_b32_e32 v20, 7, v20
	v_cmp_eq_u16_e32 vcc, 0, v14
	v_cndmask_b32_e32 v11, v11, v20, vcc
	v_cndmask_b32_e32 v14, v14, v15, vcc
	v_lshlrev_b32_e32 v15, 24, v12
	v_mov_b32_e32 v20, 0x3b800000
	v_lshlrev_b32_e32 v11, 20, v11
	v_and_b32_e32 v15, 0x80000000, v15
	v_lshl_add_u32 v14, v14, 23, v20
	v_or3_b32 v11, v15, v14, v11
.LBB31_840:
	s_or_b64 exec, exec, s[6:7]
	s_nop 0
	v_mfma_f32_16x16x4f32 a[0:3], v10, v11, a[0:3]
	v_lshrrev_b32_e32 v11, 8, v16
	s_movk_i32 s4, 0x7f
	v_cmp_gt_i16_sdwa s[6:7], v11, s4 src0_sel:BYTE_0 src1_sel:DWORD
	s_mov_b64 s[4:5], 0
                                        ; implicit-def: $sgpr10
	s_and_saveexec_b64 s[8:9], s[6:7]
	s_xor_b64 s[6:7], exec, s[8:9]
	s_cbranch_execnz .LBB31_2889
; %bb.841:
	s_or_saveexec_b64 s[6:7], s[6:7]
	v_mov_b32_e32 v10, s10
	s_xor_b64 exec, exec, s[6:7]
	s_cbranch_execnz .LBB31_2892
.LBB31_842:
	s_or_b64 exec, exec, s[6:7]
	s_and_saveexec_b64 s[6:7], s[4:5]
	s_cbranch_execz .LBB31_844
.LBB31_843:
	v_bfe_u32 v10, v16, 8, 3
	v_ffbh_u32_e32 v15, v10
	v_min_u32_e32 v15, 32, v15
	v_lshrrev_b16_e32 v14, 3, v11
	v_subrev_u32_e32 v20, 28, v15
	v_and_b32_e32 v14, 15, v14
	v_lshlrev_b32_e32 v11, v20, v11
	v_sub_u32_e32 v15, 29, v15
	v_and_b32_e32 v11, 7, v11
	v_cmp_eq_u16_e32 vcc, 0, v14
	v_cndmask_b32_e32 v10, v10, v11, vcc
	v_cndmask_b32_e32 v11, v14, v15, vcc
	v_lshlrev_b32_e32 v14, 16, v16
	v_mov_b32_e32 v15, 0x3b800000
	v_lshlrev_b32_e32 v10, 20, v10
	v_and_b32_e32 v14, 0x80000000, v14
	v_lshl_add_u32 v11, v11, 23, v15
	v_or3_b32 v10, v14, v11, v10
.LBB31_844:
	s_or_b64 exec, exec, s[6:7]
	v_lshrrev_b32_e32 v11, 8, v12
	s_movk_i32 s4, 0x7f
	v_cmp_gt_i16_sdwa s[6:7], v11, s4 src0_sel:BYTE_0 src1_sel:DWORD
	s_mov_b64 s[4:5], 0
                                        ; implicit-def: $sgpr10
	s_and_saveexec_b64 s[8:9], s[6:7]
	s_xor_b64 s[6:7], exec, s[8:9]
	s_cbranch_execnz .LBB31_2893
; %bb.845:
	s_or_saveexec_b64 s[6:7], s[6:7]
	v_mov_b32_e32 v14, s10
	s_xor_b64 exec, exec, s[6:7]
	s_cbranch_execnz .LBB31_2896
.LBB31_846:
	s_or_b64 exec, exec, s[6:7]
	s_and_saveexec_b64 s[6:7], s[4:5]
	s_cbranch_execz .LBB31_848
.LBB31_847:
	v_bfe_u32 v14, v12, 8, 3
	v_ffbh_u32_e32 v20, v14
	v_min_u32_e32 v20, 32, v20
	v_lshrrev_b16_e32 v15, 3, v11
	v_subrev_u32_e32 v21, 28, v20
	v_and_b32_e32 v15, 15, v15
	v_lshlrev_b32_e32 v11, v21, v11
	v_sub_u32_e32 v20, 29, v20
	v_and_b32_e32 v11, 7, v11
	v_cmp_eq_u16_e32 vcc, 0, v15
	v_cndmask_b32_e32 v11, v14, v11, vcc
	v_cndmask_b32_e32 v14, v15, v20, vcc
	v_lshlrev_b32_e32 v15, 16, v12
	v_mov_b32_e32 v20, 0x3b800000
	v_lshlrev_b32_e32 v11, 20, v11
	v_and_b32_e32 v15, 0x80000000, v15
	v_lshl_add_u32 v14, v14, 23, v20
	v_or3_b32 v14, v15, v14, v11
.LBB31_848:
	s_or_b64 exec, exec, s[6:7]
	s_nop 0
	v_mfma_f32_16x16x4f32 a[0:3], v10, v14, a[0:3]
	s_movk_i32 s4, 0xff
	v_and_b32_sdwa v11, v16, s4 dst_sel:DWORD dst_unused:UNUSED_PAD src0_sel:WORD_1 src1_sel:DWORD
	s_movk_i32 s4, 0x7f
	v_cmp_lt_i16_e32 vcc, s4, v11
	s_mov_b64 s[4:5], 0
                                        ; implicit-def: $sgpr10
	s_and_saveexec_b64 s[6:7], vcc
	s_xor_b64 s[6:7], exec, s[6:7]
	s_cbranch_execnz .LBB31_2897
; %bb.849:
	s_or_saveexec_b64 s[6:7], s[6:7]
	v_mov_b32_e32 v10, s10
	s_xor_b64 exec, exec, s[6:7]
	s_cbranch_execnz .LBB31_2900
.LBB31_850:
	s_or_b64 exec, exec, s[6:7]
	s_and_saveexec_b64 s[6:7], s[4:5]
	s_cbranch_execz .LBB31_852
.LBB31_851:
	v_bfe_u32 v10, v16, 16, 3
	v_ffbh_u32_e32 v15, v10
	v_min_u32_e32 v15, 32, v15
	v_lshrrev_b32_e32 v11, 19, v16
	v_subrev_u32_e32 v20, 28, v15
	v_and_b32_e32 v11, 15, v11
	v_lshlrev_b32_sdwa v20, v20, v16 dst_sel:DWORD dst_unused:UNUSED_PAD src0_sel:DWORD src1_sel:WORD_1
	v_bfe_u32 v14, v16, 19, 4
	v_sub_u32_e32 v15, 29, v15
	v_and_b32_e32 v20, 7, v20
	v_cmp_eq_u16_e32 vcc, 0, v11
	v_cndmask_b32_e32 v10, v10, v20, vcc
	v_cndmask_b32_e32 v11, v14, v15, vcc
	v_lshlrev_b32_e32 v14, 8, v16
	v_mov_b32_e32 v15, 0x3b800000
	v_lshlrev_b32_e32 v10, 20, v10
	v_and_b32_e32 v14, 0x80000000, v14
	v_lshl_add_u32 v11, v11, 23, v15
	v_or3_b32 v10, v14, v11, v10
.LBB31_852:
	s_or_b64 exec, exec, s[6:7]
	s_movk_i32 s4, 0xff
	v_and_b32_sdwa v11, v12, s4 dst_sel:DWORD dst_unused:UNUSED_PAD src0_sel:WORD_1 src1_sel:DWORD
	s_movk_i32 s4, 0x7f
	v_cmp_lt_i16_e32 vcc, s4, v11
	s_mov_b64 s[4:5], 0
                                        ; implicit-def: $sgpr10
	s_and_saveexec_b64 s[6:7], vcc
	s_xor_b64 s[6:7], exec, s[6:7]
	s_cbranch_execnz .LBB31_2901
; %bb.853:
	s_or_saveexec_b64 s[6:7], s[6:7]
	v_mov_b32_e32 v14, s10
	s_xor_b64 exec, exec, s[6:7]
	s_cbranch_execnz .LBB31_2904
.LBB31_854:
	s_or_b64 exec, exec, s[6:7]
	s_and_saveexec_b64 s[6:7], s[4:5]
	s_cbranch_execz .LBB31_856
.LBB31_855:
	v_bfe_u32 v11, v12, 16, 3
	v_ffbh_u32_e32 v20, v11
	v_min_u32_e32 v20, 32, v20
	v_lshrrev_b32_e32 v14, 19, v12
	v_subrev_u32_e32 v21, 28, v20
	v_and_b32_e32 v14, 15, v14
	v_lshlrev_b32_sdwa v21, v21, v12 dst_sel:DWORD dst_unused:UNUSED_PAD src0_sel:DWORD src1_sel:WORD_1
	v_bfe_u32 v15, v12, 19, 4
	v_sub_u32_e32 v20, 29, v20
	v_and_b32_e32 v21, 7, v21
	v_cmp_eq_u16_e32 vcc, 0, v14
	v_cndmask_b32_e32 v11, v11, v21, vcc
	v_cndmask_b32_e32 v14, v15, v20, vcc
	v_lshlrev_b32_e32 v15, 8, v12
	v_mov_b32_e32 v20, 0x3b800000
	v_lshlrev_b32_e32 v11, 20, v11
	v_and_b32_e32 v15, 0x80000000, v15
	v_lshl_add_u32 v14, v14, 23, v20
	v_or3_b32 v14, v15, v14, v11
.LBB31_856:
	s_or_b64 exec, exec, s[6:7]
	s_nop 0
	v_mfma_f32_16x16x4f32 a[0:3], v10, v14, a[0:3]
	s_movk_i32 s4, 0x7f
	v_cmp_gt_i16_sdwa s[6:7], v16, s4 src0_sel:BYTE_3 src1_sel:DWORD
	s_mov_b64 s[4:5], 0
                                        ; implicit-def: $sgpr10
	s_and_saveexec_b64 s[8:9], s[6:7]
	s_xor_b64 s[6:7], exec, s[8:9]
	s_cbranch_execnz .LBB31_2905
; %bb.857:
	s_or_saveexec_b64 s[6:7], s[6:7]
	v_mov_b32_e32 v10, s10
	s_xor_b64 exec, exec, s[6:7]
	s_cbranch_execnz .LBB31_2908
.LBB31_858:
	s_or_b64 exec, exec, s[6:7]
	s_and_saveexec_b64 s[6:7], s[4:5]
	s_cbranch_execz .LBB31_860
.LBB31_859:
	v_bfe_u32 v10, v16, 24, 3
	v_ffbh_u32_e32 v20, v10
	v_min_u32_e32 v20, 32, v20
	v_lshrrev_b32_e32 v14, 27, v16
	v_subrev_u32_e32 v21, 28, v20
	v_and_b32_e32 v11, 0x80000000, v16
	v_and_b32_e32 v14, 15, v14
	v_bfe_u32 v15, v16, 27, 4
	v_lshlrev_b32_sdwa v16, v21, v16 dst_sel:DWORD dst_unused:UNUSED_PAD src0_sel:DWORD src1_sel:BYTE_3
	v_sub_u32_e32 v20, 29, v20
	v_and_b32_e32 v16, 7, v16
	v_cmp_eq_u16_e32 vcc, 0, v14
	v_cndmask_b32_e32 v10, v10, v16, vcc
	v_cndmask_b32_e32 v14, v15, v20, vcc
	v_mov_b32_e32 v15, 0x3b800000
	v_lshlrev_b32_e32 v10, 20, v10
	v_lshl_add_u32 v14, v14, 23, v15
	v_or3_b32 v10, v11, v14, v10
.LBB31_860:
	s_or_b64 exec, exec, s[6:7]
	s_movk_i32 s4, 0x7f
	v_cmp_gt_i16_sdwa s[6:7], v12, s4 src0_sel:BYTE_3 src1_sel:DWORD
	s_mov_b64 s[4:5], 0
                                        ; implicit-def: $sgpr10
	s_and_saveexec_b64 s[8:9], s[6:7]
	s_xor_b64 s[6:7], exec, s[8:9]
	s_cbranch_execnz .LBB31_2909
; %bb.861:
	s_or_saveexec_b64 s[6:7], s[6:7]
	v_mov_b32_e32 v11, s10
	s_xor_b64 exec, exec, s[6:7]
	s_cbranch_execnz .LBB31_2912
.LBB31_862:
	s_or_b64 exec, exec, s[6:7]
	s_and_saveexec_b64 s[6:7], s[4:5]
	s_cbranch_execz .LBB31_864
.LBB31_863:
	v_bfe_u32 v11, v12, 24, 3
	v_ffbh_u32_e32 v20, v11
	v_min_u32_e32 v20, 32, v20
	v_lshrrev_b32_e32 v15, 27, v12
	v_subrev_u32_e32 v21, 28, v20
	v_and_b32_e32 v14, 0x80000000, v12
	v_and_b32_e32 v15, 15, v15
	v_bfe_u32 v16, v12, 27, 4
	v_lshlrev_b32_sdwa v12, v21, v12 dst_sel:DWORD dst_unused:UNUSED_PAD src0_sel:DWORD src1_sel:BYTE_3
	v_sub_u32_e32 v20, 29, v20
	v_and_b32_e32 v12, 7, v12
	v_cmp_eq_u16_e32 vcc, 0, v15
	v_cndmask_b32_e32 v11, v11, v12, vcc
	v_cndmask_b32_e32 v12, v16, v20, vcc
	v_mov_b32_e32 v15, 0x3b800000
	v_lshlrev_b32_e32 v11, 20, v11
	v_lshl_add_u32 v12, v12, 23, v15
	v_or3_b32 v11, v14, v12, v11
.LBB31_864:
	s_or_b64 exec, exec, s[6:7]
	s_nop 0
	v_mfma_f32_16x16x4f32 a[0:3], v10, v11, a[0:3]
	s_movk_i32 s4, 0x7f
	v_cmp_gt_i16_sdwa s[6:7], v17, s4 src0_sel:BYTE_0 src1_sel:DWORD
	s_mov_b64 s[4:5], 0
                                        ; implicit-def: $sgpr10
	s_and_saveexec_b64 s[8:9], s[6:7]
	s_xor_b64 s[6:7], exec, s[8:9]
	s_cbranch_execnz .LBB31_2913
; %bb.865:
	s_or_saveexec_b64 s[6:7], s[6:7]
	v_mov_b32_e32 v10, s10
	s_xor_b64 exec, exec, s[6:7]
	s_cbranch_execnz .LBB31_2916
.LBB31_866:
	s_or_b64 exec, exec, s[6:7]
	s_and_saveexec_b64 s[6:7], s[4:5]
	s_cbranch_execz .LBB31_868
.LBB31_867:
	v_and_b32_e32 v10, 7, v17
	v_ffbh_u32_e32 v12, v10
	v_min_u32_e32 v12, 32, v12
	v_lshrrev_b16_e32 v11, 3, v17
	v_subrev_u32_e32 v14, 28, v12
	v_and_b32_e32 v11, 15, v11
	v_lshlrev_b32_e32 v14, v14, v17
	v_sub_u32_e32 v12, 29, v12
	v_and_b32_e32 v14, 7, v14
	v_cmp_eq_u16_e32 vcc, 0, v11
	v_cndmask_b32_e32 v10, v10, v14, vcc
	v_cndmask_b32_e32 v11, v11, v12, vcc
	v_lshlrev_b32_e32 v12, 24, v17
	v_mov_b32_e32 v14, 0x3b800000
	v_lshlrev_b32_e32 v10, 20, v10
	v_and_b32_e32 v12, 0x80000000, v12
	v_lshl_add_u32 v11, v11, 23, v14
	v_or3_b32 v10, v12, v11, v10
.LBB31_868:
	s_or_b64 exec, exec, s[6:7]
	s_movk_i32 s4, 0x7f
	v_cmp_gt_i16_sdwa s[6:7], v13, s4 src0_sel:BYTE_0 src1_sel:DWORD
	s_mov_b64 s[4:5], 0
                                        ; implicit-def: $sgpr10
	s_and_saveexec_b64 s[8:9], s[6:7]
	s_xor_b64 s[6:7], exec, s[8:9]
	s_cbranch_execnz .LBB31_2917
; %bb.869:
	s_or_saveexec_b64 s[6:7], s[6:7]
	v_mov_b32_e32 v11, s10
	s_xor_b64 exec, exec, s[6:7]
	s_cbranch_execnz .LBB31_2920
.LBB31_870:
	s_or_b64 exec, exec, s[6:7]
	s_and_saveexec_b64 s[6:7], s[4:5]
	s_cbranch_execz .LBB31_872
.LBB31_871:
	v_and_b32_e32 v11, 7, v13
	v_ffbh_u32_e32 v14, v11
	v_min_u32_e32 v14, 32, v14
	v_lshrrev_b16_e32 v12, 3, v13
	v_subrev_u32_e32 v15, 28, v14
	v_and_b32_e32 v12, 15, v12
	v_lshlrev_b32_e32 v15, v15, v13
	v_sub_u32_e32 v14, 29, v14
	v_and_b32_e32 v15, 7, v15
	v_cmp_eq_u16_e32 vcc, 0, v12
	v_cndmask_b32_e32 v11, v11, v15, vcc
	v_cndmask_b32_e32 v12, v12, v14, vcc
	v_lshlrev_b32_e32 v14, 24, v13
	v_mov_b32_e32 v15, 0x3b800000
	v_lshlrev_b32_e32 v11, 20, v11
	v_and_b32_e32 v14, 0x80000000, v14
	v_lshl_add_u32 v12, v12, 23, v15
	v_or3_b32 v11, v14, v12, v11
.LBB31_872:
	s_or_b64 exec, exec, s[6:7]
	s_nop 0
	v_mfma_f32_16x16x4f32 a[0:3], v10, v11, a[0:3]
	v_lshrrev_b32_e32 v11, 8, v17
	s_movk_i32 s4, 0x7f
	v_cmp_gt_i16_sdwa s[6:7], v11, s4 src0_sel:BYTE_0 src1_sel:DWORD
	s_mov_b64 s[4:5], 0
                                        ; implicit-def: $sgpr10
	s_and_saveexec_b64 s[8:9], s[6:7]
	s_xor_b64 s[6:7], exec, s[8:9]
	s_cbranch_execnz .LBB31_2921
; %bb.873:
	s_or_saveexec_b64 s[6:7], s[6:7]
	v_mov_b32_e32 v10, s10
	s_xor_b64 exec, exec, s[6:7]
	s_cbranch_execnz .LBB31_2924
.LBB31_874:
	s_or_b64 exec, exec, s[6:7]
	s_and_saveexec_b64 s[6:7], s[4:5]
	s_cbranch_execz .LBB31_876
.LBB31_875:
	v_bfe_u32 v10, v17, 8, 3
	v_ffbh_u32_e32 v14, v10
	v_min_u32_e32 v14, 32, v14
	v_lshrrev_b16_e32 v12, 3, v11
	v_subrev_u32_e32 v15, 28, v14
	v_and_b32_e32 v12, 15, v12
	v_lshlrev_b32_e32 v11, v15, v11
	v_sub_u32_e32 v14, 29, v14
	v_and_b32_e32 v11, 7, v11
	v_cmp_eq_u16_e32 vcc, 0, v12
	v_cndmask_b32_e32 v10, v10, v11, vcc
	v_cndmask_b32_e32 v11, v12, v14, vcc
	v_lshlrev_b32_e32 v12, 16, v17
	v_mov_b32_e32 v14, 0x3b800000
	v_lshlrev_b32_e32 v10, 20, v10
	v_and_b32_e32 v12, 0x80000000, v12
	v_lshl_add_u32 v11, v11, 23, v14
	v_or3_b32 v10, v12, v11, v10
.LBB31_876:
	s_or_b64 exec, exec, s[6:7]
	v_lshrrev_b32_e32 v11, 8, v13
	s_movk_i32 s4, 0x7f
	v_cmp_gt_i16_sdwa s[6:7], v11, s4 src0_sel:BYTE_0 src1_sel:DWORD
	s_mov_b64 s[4:5], 0
                                        ; implicit-def: $sgpr10
	s_and_saveexec_b64 s[8:9], s[6:7]
	s_xor_b64 s[6:7], exec, s[8:9]
	s_cbranch_execnz .LBB31_2925
; %bb.877:
	s_or_saveexec_b64 s[6:7], s[6:7]
	v_mov_b32_e32 v12, s10
	s_xor_b64 exec, exec, s[6:7]
	s_cbranch_execnz .LBB31_2928
.LBB31_878:
	s_or_b64 exec, exec, s[6:7]
	s_and_saveexec_b64 s[6:7], s[4:5]
	s_cbranch_execz .LBB31_880
.LBB31_879:
	v_bfe_u32 v12, v13, 8, 3
	v_ffbh_u32_e32 v15, v12
	v_min_u32_e32 v15, 32, v15
	v_lshrrev_b16_e32 v14, 3, v11
	v_subrev_u32_e32 v16, 28, v15
	v_and_b32_e32 v14, 15, v14
	v_lshlrev_b32_e32 v11, v16, v11
	v_sub_u32_e32 v15, 29, v15
	v_and_b32_e32 v11, 7, v11
	v_cmp_eq_u16_e32 vcc, 0, v14
	v_cndmask_b32_e32 v11, v12, v11, vcc
	v_cndmask_b32_e32 v12, v14, v15, vcc
	v_lshlrev_b32_e32 v14, 16, v13
	v_mov_b32_e32 v15, 0x3b800000
	v_lshlrev_b32_e32 v11, 20, v11
	v_and_b32_e32 v14, 0x80000000, v14
	v_lshl_add_u32 v12, v12, 23, v15
	v_or3_b32 v12, v14, v12, v11
.LBB31_880:
	s_or_b64 exec, exec, s[6:7]
	s_nop 0
	v_mfma_f32_16x16x4f32 a[0:3], v10, v12, a[0:3]
	s_movk_i32 s4, 0xff
	v_and_b32_sdwa v11, v17, s4 dst_sel:DWORD dst_unused:UNUSED_PAD src0_sel:WORD_1 src1_sel:DWORD
	s_movk_i32 s4, 0x7f
	v_cmp_lt_i16_e32 vcc, s4, v11
	s_mov_b64 s[4:5], 0
                                        ; implicit-def: $sgpr10
	s_and_saveexec_b64 s[6:7], vcc
	s_xor_b64 s[6:7], exec, s[6:7]
	s_cbranch_execnz .LBB31_2929
; %bb.881:
	s_or_saveexec_b64 s[6:7], s[6:7]
	v_mov_b32_e32 v10, s10
	s_xor_b64 exec, exec, s[6:7]
	s_cbranch_execnz .LBB31_2932
.LBB31_882:
	s_or_b64 exec, exec, s[6:7]
	s_and_saveexec_b64 s[6:7], s[4:5]
	s_cbranch_execz .LBB31_884
.LBB31_883:
	v_bfe_u32 v10, v17, 16, 3
	v_ffbh_u32_e32 v14, v10
	v_min_u32_e32 v14, 32, v14
	v_lshrrev_b32_e32 v11, 19, v17
	v_subrev_u32_e32 v15, 28, v14
	v_and_b32_e32 v11, 15, v11
	v_lshlrev_b32_sdwa v15, v15, v17 dst_sel:DWORD dst_unused:UNUSED_PAD src0_sel:DWORD src1_sel:WORD_1
	v_bfe_u32 v12, v17, 19, 4
	v_sub_u32_e32 v14, 29, v14
	v_and_b32_e32 v15, 7, v15
	v_cmp_eq_u16_e32 vcc, 0, v11
	v_cndmask_b32_e32 v10, v10, v15, vcc
	v_cndmask_b32_e32 v11, v12, v14, vcc
	v_lshlrev_b32_e32 v12, 8, v17
	v_mov_b32_e32 v14, 0x3b800000
	v_lshlrev_b32_e32 v10, 20, v10
	v_and_b32_e32 v12, 0x80000000, v12
	v_lshl_add_u32 v11, v11, 23, v14
	v_or3_b32 v10, v12, v11, v10
.LBB31_884:
	s_or_b64 exec, exec, s[6:7]
	s_movk_i32 s4, 0xff
	v_and_b32_sdwa v11, v13, s4 dst_sel:DWORD dst_unused:UNUSED_PAD src0_sel:WORD_1 src1_sel:DWORD
	s_movk_i32 s4, 0x7f
	v_cmp_lt_i16_e32 vcc, s4, v11
	s_mov_b64 s[4:5], 0
                                        ; implicit-def: $sgpr10
	s_and_saveexec_b64 s[6:7], vcc
	s_xor_b64 s[6:7], exec, s[6:7]
	s_cbranch_execnz .LBB31_2933
; %bb.885:
	s_or_saveexec_b64 s[6:7], s[6:7]
	v_mov_b32_e32 v12, s10
	s_xor_b64 exec, exec, s[6:7]
	s_cbranch_execnz .LBB31_2936
.LBB31_886:
	s_or_b64 exec, exec, s[6:7]
	s_and_saveexec_b64 s[6:7], s[4:5]
	s_cbranch_execz .LBB31_888
.LBB31_887:
	v_bfe_u32 v11, v13, 16, 3
	v_ffbh_u32_e32 v15, v11
	v_min_u32_e32 v15, 32, v15
	v_lshrrev_b32_e32 v12, 19, v13
	v_subrev_u32_e32 v16, 28, v15
	v_and_b32_e32 v12, 15, v12
	v_lshlrev_b32_sdwa v16, v16, v13 dst_sel:DWORD dst_unused:UNUSED_PAD src0_sel:DWORD src1_sel:WORD_1
	v_bfe_u32 v14, v13, 19, 4
	v_sub_u32_e32 v15, 29, v15
	v_and_b32_e32 v16, 7, v16
	v_cmp_eq_u16_e32 vcc, 0, v12
	v_cndmask_b32_e32 v11, v11, v16, vcc
	v_cndmask_b32_e32 v12, v14, v15, vcc
	v_lshlrev_b32_e32 v14, 8, v13
	v_mov_b32_e32 v15, 0x3b800000
	v_lshlrev_b32_e32 v11, 20, v11
	v_and_b32_e32 v14, 0x80000000, v14
	v_lshl_add_u32 v12, v12, 23, v15
	v_or3_b32 v12, v14, v12, v11
.LBB31_888:
	s_or_b64 exec, exec, s[6:7]
	s_nop 0
	v_mfma_f32_16x16x4f32 a[0:3], v10, v12, a[0:3]
	s_movk_i32 s4, 0x7f
	v_cmp_gt_i16_sdwa s[6:7], v17, s4 src0_sel:BYTE_3 src1_sel:DWORD
	s_mov_b64 s[4:5], 0
                                        ; implicit-def: $sgpr10
	s_and_saveexec_b64 s[8:9], s[6:7]
	s_xor_b64 s[6:7], exec, s[8:9]
	s_cbranch_execnz .LBB31_2937
; %bb.889:
	s_or_saveexec_b64 s[6:7], s[6:7]
	v_mov_b32_e32 v10, s10
	s_xor_b64 exec, exec, s[6:7]
	s_cbranch_execnz .LBB31_2940
.LBB31_890:
	s_or_b64 exec, exec, s[6:7]
	s_and_saveexec_b64 s[6:7], s[4:5]
	s_cbranch_execz .LBB31_892
.LBB31_891:
	v_bfe_u32 v10, v17, 24, 3
	v_ffbh_u32_e32 v15, v10
	v_min_u32_e32 v15, 32, v15
	v_lshrrev_b32_e32 v12, 27, v17
	v_subrev_u32_e32 v16, 28, v15
	v_and_b32_e32 v12, 15, v12
	v_lshlrev_b32_sdwa v16, v16, v17 dst_sel:DWORD dst_unused:UNUSED_PAD src0_sel:DWORD src1_sel:BYTE_3
	v_bfe_u32 v14, v17, 27, 4
	v_sub_u32_e32 v15, 29, v15
	v_and_b32_e32 v16, 7, v16
	v_cmp_eq_u16_e32 vcc, 0, v12
	v_cndmask_b32_e32 v10, v10, v16, vcc
	v_cndmask_b32_e32 v12, v14, v15, vcc
	v_mov_b32_e32 v14, 0x3b800000
	v_and_b32_e32 v11, 0x80000000, v17
	v_lshlrev_b32_e32 v10, 20, v10
	v_lshl_add_u32 v12, v12, 23, v14
	v_or3_b32 v10, v11, v12, v10
.LBB31_892:
	s_or_b64 exec, exec, s[6:7]
	s_movk_i32 s4, 0x7f
	v_cmp_gt_i16_sdwa s[6:7], v13, s4 src0_sel:BYTE_3 src1_sel:DWORD
	s_mov_b64 s[4:5], 0
                                        ; implicit-def: $sgpr10
	s_and_saveexec_b64 s[8:9], s[6:7]
	s_xor_b64 s[6:7], exec, s[8:9]
	s_cbranch_execnz .LBB31_2941
; %bb.893:
	s_or_saveexec_b64 s[6:7], s[6:7]
	v_mov_b32_e32 v11, s10
	s_xor_b64 exec, exec, s[6:7]
	s_cbranch_execnz .LBB31_2944
.LBB31_894:
	s_or_b64 exec, exec, s[6:7]
	s_and_saveexec_b64 s[6:7], s[4:5]
	s_cbranch_execz .LBB31_896
.LBB31_895:
	v_bfe_u32 v11, v13, 24, 3
	v_ffbh_u32_e32 v16, v11
	v_min_u32_e32 v16, 32, v16
	v_lshrrev_b32_e32 v14, 27, v13
	v_subrev_u32_e32 v17, 28, v16
	v_and_b32_e32 v12, 0x80000000, v13
	v_and_b32_e32 v14, 15, v14
	v_bfe_u32 v15, v13, 27, 4
	v_lshlrev_b32_sdwa v13, v17, v13 dst_sel:DWORD dst_unused:UNUSED_PAD src0_sel:DWORD src1_sel:BYTE_3
	v_sub_u32_e32 v16, 29, v16
	v_and_b32_e32 v13, 7, v13
	v_cmp_eq_u16_e32 vcc, 0, v14
	v_cndmask_b32_e32 v11, v11, v13, vcc
	v_cndmask_b32_e32 v13, v15, v16, vcc
	v_mov_b32_e32 v14, 0x3b800000
	v_lshlrev_b32_e32 v11, 20, v11
	v_lshl_add_u32 v13, v13, 23, v14
	v_or3_b32 v11, v12, v13, v11
.LBB31_896:
	s_or_b64 exec, exec, s[6:7]
	s_nop 0
	v_mfma_f32_16x16x4f32 a[0:3], v10, v11, a[0:3]
	s_movk_i32 s4, 0x7f
	v_cmp_gt_i16_sdwa s[6:7], v6, s4 src0_sel:BYTE_0 src1_sel:DWORD
	s_mov_b64 s[4:5], 0
                                        ; implicit-def: $sgpr10
	s_and_saveexec_b64 s[8:9], s[6:7]
	s_xor_b64 s[6:7], exec, s[8:9]
	s_cbranch_execnz .LBB31_2945
; %bb.897:
	s_or_saveexec_b64 s[6:7], s[6:7]
	v_mov_b32_e32 v10, s10
	s_xor_b64 exec, exec, s[6:7]
	s_cbranch_execnz .LBB31_2948
.LBB31_898:
	s_or_b64 exec, exec, s[6:7]
	s_and_saveexec_b64 s[6:7], s[4:5]
	s_cbranch_execz .LBB31_900
.LBB31_899:
	v_and_b32_e32 v10, 7, v6
	v_ffbh_u32_e32 v12, v10
	v_min_u32_e32 v12, 32, v12
	v_lshrrev_b16_e32 v11, 3, v6
	v_subrev_u32_e32 v13, 28, v12
	v_and_b32_e32 v11, 15, v11
	v_lshlrev_b32_e32 v13, v13, v6
	v_sub_u32_e32 v12, 29, v12
	v_and_b32_e32 v13, 7, v13
	v_cmp_eq_u16_e32 vcc, 0, v11
	v_cndmask_b32_e32 v10, v10, v13, vcc
	v_cndmask_b32_e32 v11, v11, v12, vcc
	v_lshlrev_b32_e32 v12, 24, v6
	v_mov_b32_e32 v13, 0x3b800000
	v_lshlrev_b32_e32 v10, 20, v10
	v_and_b32_e32 v12, 0x80000000, v12
	v_lshl_add_u32 v11, v11, 23, v13
	v_or3_b32 v10, v12, v11, v10
.LBB31_900:
	s_or_b64 exec, exec, s[6:7]
	s_movk_i32 s4, 0x7f
	v_cmp_gt_i16_sdwa s[6:7], v2, s4 src0_sel:BYTE_0 src1_sel:DWORD
	s_mov_b64 s[4:5], 0
                                        ; implicit-def: $sgpr10
	s_and_saveexec_b64 s[8:9], s[6:7]
	s_xor_b64 s[6:7], exec, s[8:9]
	s_cbranch_execnz .LBB31_2949
; %bb.901:
	s_or_saveexec_b64 s[6:7], s[6:7]
	v_mov_b32_e32 v11, s10
	s_xor_b64 exec, exec, s[6:7]
	s_cbranch_execnz .LBB31_2952
.LBB31_902:
	s_or_b64 exec, exec, s[6:7]
	s_and_saveexec_b64 s[6:7], s[4:5]
	s_cbranch_execz .LBB31_904
.LBB31_903:
	v_and_b32_e32 v11, 7, v2
	v_ffbh_u32_e32 v13, v11
	v_min_u32_e32 v13, 32, v13
	v_lshrrev_b16_e32 v12, 3, v2
	v_subrev_u32_e32 v14, 28, v13
	v_and_b32_e32 v12, 15, v12
	v_lshlrev_b32_e32 v14, v14, v2
	v_sub_u32_e32 v13, 29, v13
	v_and_b32_e32 v14, 7, v14
	v_cmp_eq_u16_e32 vcc, 0, v12
	v_cndmask_b32_e32 v11, v11, v14, vcc
	v_cndmask_b32_e32 v12, v12, v13, vcc
	v_lshlrev_b32_e32 v13, 24, v2
	v_mov_b32_e32 v14, 0x3b800000
	v_lshlrev_b32_e32 v11, 20, v11
	v_and_b32_e32 v13, 0x80000000, v13
	v_lshl_add_u32 v12, v12, 23, v14
	v_or3_b32 v11, v13, v12, v11
.LBB31_904:
	s_or_b64 exec, exec, s[6:7]
	s_nop 0
	v_mfma_f32_16x16x4f32 a[0:3], v10, v11, a[0:3]
	v_lshrrev_b32_e32 v11, 8, v6
	s_movk_i32 s4, 0x7f
	v_cmp_gt_i16_sdwa s[6:7], v11, s4 src0_sel:BYTE_0 src1_sel:DWORD
	s_mov_b64 s[4:5], 0
                                        ; implicit-def: $sgpr10
	s_and_saveexec_b64 s[8:9], s[6:7]
	s_xor_b64 s[6:7], exec, s[8:9]
	s_cbranch_execnz .LBB31_2953
; %bb.905:
	s_or_saveexec_b64 s[6:7], s[6:7]
	v_mov_b32_e32 v10, s10
	s_xor_b64 exec, exec, s[6:7]
	s_cbranch_execnz .LBB31_2956
.LBB31_906:
	s_or_b64 exec, exec, s[6:7]
	s_and_saveexec_b64 s[6:7], s[4:5]
	s_cbranch_execz .LBB31_908
.LBB31_907:
	v_bfe_u32 v10, v6, 8, 3
	v_ffbh_u32_e32 v13, v10
	v_min_u32_e32 v13, 32, v13
	v_lshrrev_b16_e32 v12, 3, v11
	v_subrev_u32_e32 v14, 28, v13
	v_and_b32_e32 v12, 15, v12
	v_lshlrev_b32_e32 v11, v14, v11
	v_sub_u32_e32 v13, 29, v13
	v_and_b32_e32 v11, 7, v11
	v_cmp_eq_u16_e32 vcc, 0, v12
	v_cndmask_b32_e32 v10, v10, v11, vcc
	v_cndmask_b32_e32 v11, v12, v13, vcc
	v_lshlrev_b32_e32 v12, 16, v6
	v_mov_b32_e32 v13, 0x3b800000
	v_lshlrev_b32_e32 v10, 20, v10
	v_and_b32_e32 v12, 0x80000000, v12
	v_lshl_add_u32 v11, v11, 23, v13
	v_or3_b32 v10, v12, v11, v10
.LBB31_908:
	s_or_b64 exec, exec, s[6:7]
	v_lshrrev_b32_e32 v11, 8, v2
	s_movk_i32 s4, 0x7f
	v_cmp_gt_i16_sdwa s[6:7], v11, s4 src0_sel:BYTE_0 src1_sel:DWORD
	s_mov_b64 s[4:5], 0
                                        ; implicit-def: $sgpr10
	s_and_saveexec_b64 s[8:9], s[6:7]
	s_xor_b64 s[6:7], exec, s[8:9]
	s_cbranch_execnz .LBB31_2957
; %bb.909:
	s_or_saveexec_b64 s[6:7], s[6:7]
	v_mov_b32_e32 v12, s10
	s_xor_b64 exec, exec, s[6:7]
	s_cbranch_execnz .LBB31_2960
.LBB31_910:
	s_or_b64 exec, exec, s[6:7]
	s_and_saveexec_b64 s[6:7], s[4:5]
	s_cbranch_execz .LBB31_912
.LBB31_911:
	v_bfe_u32 v12, v2, 8, 3
	v_ffbh_u32_e32 v14, v12
	v_min_u32_e32 v14, 32, v14
	v_lshrrev_b16_e32 v13, 3, v11
	v_subrev_u32_e32 v15, 28, v14
	v_and_b32_e32 v13, 15, v13
	v_lshlrev_b32_e32 v11, v15, v11
	v_sub_u32_e32 v14, 29, v14
	v_and_b32_e32 v11, 7, v11
	v_cmp_eq_u16_e32 vcc, 0, v13
	v_cndmask_b32_e32 v11, v12, v11, vcc
	v_cndmask_b32_e32 v12, v13, v14, vcc
	v_lshlrev_b32_e32 v13, 16, v2
	v_mov_b32_e32 v14, 0x3b800000
	v_lshlrev_b32_e32 v11, 20, v11
	v_and_b32_e32 v13, 0x80000000, v13
	v_lshl_add_u32 v12, v12, 23, v14
	v_or3_b32 v12, v13, v12, v11
.LBB31_912:
	s_or_b64 exec, exec, s[6:7]
	s_nop 0
	v_mfma_f32_16x16x4f32 a[0:3], v10, v12, a[0:3]
	s_movk_i32 s4, 0xff
	v_and_b32_sdwa v11, v6, s4 dst_sel:DWORD dst_unused:UNUSED_PAD src0_sel:WORD_1 src1_sel:DWORD
	s_movk_i32 s4, 0x7f
	v_cmp_lt_i16_e32 vcc, s4, v11
	s_mov_b64 s[4:5], 0
                                        ; implicit-def: $sgpr10
	s_and_saveexec_b64 s[6:7], vcc
	s_xor_b64 s[6:7], exec, s[6:7]
	s_cbranch_execnz .LBB31_2961
; %bb.913:
	s_or_saveexec_b64 s[6:7], s[6:7]
	v_mov_b32_e32 v10, s10
	s_xor_b64 exec, exec, s[6:7]
	s_cbranch_execnz .LBB31_2964
.LBB31_914:
	s_or_b64 exec, exec, s[6:7]
	s_and_saveexec_b64 s[6:7], s[4:5]
	s_cbranch_execz .LBB31_916
.LBB31_915:
	v_bfe_u32 v10, v6, 16, 3
	v_ffbh_u32_e32 v13, v10
	v_min_u32_e32 v13, 32, v13
	v_lshrrev_b32_e32 v11, 19, v6
	v_subrev_u32_e32 v14, 28, v13
	v_and_b32_e32 v11, 15, v11
	v_lshlrev_b32_sdwa v14, v14, v6 dst_sel:DWORD dst_unused:UNUSED_PAD src0_sel:DWORD src1_sel:WORD_1
	v_bfe_u32 v12, v6, 19, 4
	v_sub_u32_e32 v13, 29, v13
	v_and_b32_e32 v14, 7, v14
	v_cmp_eq_u16_e32 vcc, 0, v11
	v_cndmask_b32_e32 v10, v10, v14, vcc
	v_cndmask_b32_e32 v11, v12, v13, vcc
	v_lshlrev_b32_e32 v12, 8, v6
	v_mov_b32_e32 v13, 0x3b800000
	v_lshlrev_b32_e32 v10, 20, v10
	v_and_b32_e32 v12, 0x80000000, v12
	v_lshl_add_u32 v11, v11, 23, v13
	v_or3_b32 v10, v12, v11, v10
.LBB31_916:
	s_or_b64 exec, exec, s[6:7]
	s_movk_i32 s4, 0xff
	v_and_b32_sdwa v11, v2, s4 dst_sel:DWORD dst_unused:UNUSED_PAD src0_sel:WORD_1 src1_sel:DWORD
	s_movk_i32 s4, 0x7f
	v_cmp_lt_i16_e32 vcc, s4, v11
	s_mov_b64 s[4:5], 0
                                        ; implicit-def: $sgpr10
	s_and_saveexec_b64 s[6:7], vcc
	s_xor_b64 s[6:7], exec, s[6:7]
	s_cbranch_execnz .LBB31_2965
; %bb.917:
	s_or_saveexec_b64 s[6:7], s[6:7]
	v_mov_b32_e32 v12, s10
	s_xor_b64 exec, exec, s[6:7]
	s_cbranch_execnz .LBB31_2968
.LBB31_918:
	s_or_b64 exec, exec, s[6:7]
	s_and_saveexec_b64 s[6:7], s[4:5]
	s_cbranch_execz .LBB31_920
.LBB31_919:
	v_bfe_u32 v11, v2, 16, 3
	v_ffbh_u32_e32 v14, v11
	v_min_u32_e32 v14, 32, v14
	v_lshrrev_b32_e32 v12, 19, v2
	v_subrev_u32_e32 v15, 28, v14
	v_and_b32_e32 v12, 15, v12
	v_lshlrev_b32_sdwa v15, v15, v2 dst_sel:DWORD dst_unused:UNUSED_PAD src0_sel:DWORD src1_sel:WORD_1
	v_bfe_u32 v13, v2, 19, 4
	v_sub_u32_e32 v14, 29, v14
	v_and_b32_e32 v15, 7, v15
	v_cmp_eq_u16_e32 vcc, 0, v12
	v_cndmask_b32_e32 v11, v11, v15, vcc
	v_cndmask_b32_e32 v12, v13, v14, vcc
	v_lshlrev_b32_e32 v13, 8, v2
	v_mov_b32_e32 v14, 0x3b800000
	v_lshlrev_b32_e32 v11, 20, v11
	v_and_b32_e32 v13, 0x80000000, v13
	v_lshl_add_u32 v12, v12, 23, v14
	v_or3_b32 v12, v13, v12, v11
.LBB31_920:
	s_or_b64 exec, exec, s[6:7]
	s_nop 0
	v_mfma_f32_16x16x4f32 a[0:3], v10, v12, a[0:3]
	s_movk_i32 s4, 0x7f
	v_cmp_gt_i16_sdwa s[6:7], v6, s4 src0_sel:BYTE_3 src1_sel:DWORD
	s_mov_b64 s[4:5], 0
                                        ; implicit-def: $sgpr10
	s_and_saveexec_b64 s[8:9], s[6:7]
	s_xor_b64 s[6:7], exec, s[8:9]
	s_cbranch_execnz .LBB31_2969
; %bb.921:
	s_or_saveexec_b64 s[6:7], s[6:7]
	v_mov_b32_e32 v10, s10
	s_xor_b64 exec, exec, s[6:7]
	s_cbranch_execnz .LBB31_2972
.LBB31_922:
	s_or_b64 exec, exec, s[6:7]
	s_and_saveexec_b64 s[6:7], s[4:5]
	s_cbranch_execz .LBB31_924
.LBB31_923:
	v_bfe_u32 v10, v6, 24, 3
	v_ffbh_u32_e32 v14, v10
	v_min_u32_e32 v14, 32, v14
	v_lshrrev_b32_e32 v12, 27, v6
	v_subrev_u32_e32 v15, 28, v14
	v_and_b32_e32 v11, 0x80000000, v6
	v_and_b32_e32 v12, 15, v12
	v_bfe_u32 v13, v6, 27, 4
	v_lshlrev_b32_sdwa v6, v15, v6 dst_sel:DWORD dst_unused:UNUSED_PAD src0_sel:DWORD src1_sel:BYTE_3
	v_sub_u32_e32 v14, 29, v14
	v_and_b32_e32 v6, 7, v6
	v_cmp_eq_u16_e32 vcc, 0, v12
	v_cndmask_b32_e32 v6, v10, v6, vcc
	v_cndmask_b32_e32 v10, v13, v14, vcc
	v_mov_b32_e32 v12, 0x3b800000
	v_lshlrev_b32_e32 v6, 20, v6
	v_lshl_add_u32 v10, v10, 23, v12
	v_or3_b32 v10, v11, v10, v6
.LBB31_924:
	s_or_b64 exec, exec, s[6:7]
	s_movk_i32 s4, 0x7f
	v_cmp_gt_i16_sdwa s[6:7], v2, s4 src0_sel:BYTE_3 src1_sel:DWORD
	s_mov_b64 s[4:5], 0
                                        ; implicit-def: $sgpr10
	s_and_saveexec_b64 s[8:9], s[6:7]
	s_xor_b64 s[6:7], exec, s[8:9]
	s_cbranch_execnz .LBB31_2973
; %bb.925:
	s_or_saveexec_b64 s[6:7], s[6:7]
	v_mov_b32_e32 v6, s10
	s_xor_b64 exec, exec, s[6:7]
	s_cbranch_execnz .LBB31_2976
.LBB31_926:
	s_or_b64 exec, exec, s[6:7]
	s_and_saveexec_b64 s[6:7], s[4:5]
	s_cbranch_execz .LBB31_928
.LBB31_927:
	v_bfe_u32 v6, v2, 24, 3
	v_ffbh_u32_e32 v14, v6
	v_min_u32_e32 v14, 32, v14
	v_lshrrev_b32_e32 v12, 27, v2
	v_subrev_u32_e32 v15, 28, v14
	v_and_b32_e32 v11, 0x80000000, v2
	v_and_b32_e32 v12, 15, v12
	v_bfe_u32 v13, v2, 27, 4
	v_lshlrev_b32_sdwa v2, v15, v2 dst_sel:DWORD dst_unused:UNUSED_PAD src0_sel:DWORD src1_sel:BYTE_3
	v_sub_u32_e32 v14, 29, v14
	v_and_b32_e32 v2, 7, v2
	v_cmp_eq_u16_e32 vcc, 0, v12
	v_cndmask_b32_e32 v2, v6, v2, vcc
	v_cndmask_b32_e32 v6, v13, v14, vcc
	v_mov_b32_e32 v12, 0x3b800000
	v_lshlrev_b32_e32 v2, 20, v2
	v_lshl_add_u32 v6, v6, 23, v12
	v_or3_b32 v6, v11, v6, v2
.LBB31_928:
	s_or_b64 exec, exec, s[6:7]
	s_nop 0
	v_mfma_f32_16x16x4f32 a[0:3], v10, v6, a[0:3]
	s_movk_i32 s4, 0x7f
	v_cmp_gt_i16_sdwa s[6:7], v7, s4 src0_sel:BYTE_0 src1_sel:DWORD
	s_mov_b64 s[4:5], 0
                                        ; implicit-def: $sgpr10
	s_and_saveexec_b64 s[8:9], s[6:7]
	s_xor_b64 s[6:7], exec, s[8:9]
	s_cbranch_execnz .LBB31_2977
; %bb.929:
	s_or_saveexec_b64 s[6:7], s[6:7]
	v_mov_b32_e32 v2, s10
	s_xor_b64 exec, exec, s[6:7]
	s_cbranch_execnz .LBB31_2980
.LBB31_930:
	s_or_b64 exec, exec, s[6:7]
	s_and_saveexec_b64 s[6:7], s[4:5]
	s_cbranch_execz .LBB31_932
.LBB31_931:
	v_and_b32_e32 v2, 7, v7
	v_ffbh_u32_e32 v10, v2
	v_min_u32_e32 v10, 32, v10
	v_lshrrev_b16_e32 v6, 3, v7
	v_subrev_u32_e32 v11, 28, v10
	v_and_b32_e32 v6, 15, v6
	v_lshlrev_b32_e32 v11, v11, v7
	v_sub_u32_e32 v10, 29, v10
	v_and_b32_e32 v11, 7, v11
	v_cmp_eq_u16_e32 vcc, 0, v6
	v_cndmask_b32_e32 v2, v2, v11, vcc
	v_cndmask_b32_e32 v6, v6, v10, vcc
	v_lshlrev_b32_e32 v10, 24, v7
	v_mov_b32_e32 v11, 0x3b800000
	v_lshlrev_b32_e32 v2, 20, v2
	v_and_b32_e32 v10, 0x80000000, v10
	v_lshl_add_u32 v6, v6, 23, v11
	v_or3_b32 v2, v10, v6, v2
.LBB31_932:
	s_or_b64 exec, exec, s[6:7]
	s_movk_i32 s4, 0x7f
	v_cmp_gt_i16_sdwa s[6:7], v3, s4 src0_sel:BYTE_0 src1_sel:DWORD
	s_mov_b64 s[4:5], 0
                                        ; implicit-def: $sgpr10
	s_and_saveexec_b64 s[8:9], s[6:7]
	s_xor_b64 s[6:7], exec, s[8:9]
	s_cbranch_execnz .LBB31_2981
; %bb.933:
	s_or_saveexec_b64 s[6:7], s[6:7]
	v_mov_b32_e32 v6, s10
	s_xor_b64 exec, exec, s[6:7]
	s_cbranch_execnz .LBB31_2984
.LBB31_934:
	s_or_b64 exec, exec, s[6:7]
	s_and_saveexec_b64 s[6:7], s[4:5]
	s_cbranch_execz .LBB31_936
.LBB31_935:
	v_and_b32_e32 v6, 7, v3
	v_ffbh_u32_e32 v11, v6
	v_min_u32_e32 v11, 32, v11
	v_lshrrev_b16_e32 v10, 3, v3
	v_subrev_u32_e32 v12, 28, v11
	v_and_b32_e32 v10, 15, v10
	v_lshlrev_b32_e32 v12, v12, v3
	v_sub_u32_e32 v11, 29, v11
	v_and_b32_e32 v12, 7, v12
	v_cmp_eq_u16_e32 vcc, 0, v10
	v_cndmask_b32_e32 v6, v6, v12, vcc
	v_cndmask_b32_e32 v10, v10, v11, vcc
	v_lshlrev_b32_e32 v11, 24, v3
	v_mov_b32_e32 v12, 0x3b800000
	v_lshlrev_b32_e32 v6, 20, v6
	v_and_b32_e32 v11, 0x80000000, v11
	v_lshl_add_u32 v10, v10, 23, v12
	v_or3_b32 v6, v11, v10, v6
.LBB31_936:
	s_or_b64 exec, exec, s[6:7]
	s_nop 0
	v_mfma_f32_16x16x4f32 a[0:3], v2, v6, a[0:3]
	v_lshrrev_b32_e32 v6, 8, v7
	s_movk_i32 s4, 0x7f
	v_cmp_gt_i16_sdwa s[6:7], v6, s4 src0_sel:BYTE_0 src1_sel:DWORD
	s_mov_b64 s[4:5], 0
                                        ; implicit-def: $sgpr10
	s_and_saveexec_b64 s[8:9], s[6:7]
	s_xor_b64 s[6:7], exec, s[8:9]
	s_cbranch_execnz .LBB31_2985
; %bb.937:
	s_or_saveexec_b64 s[6:7], s[6:7]
	v_mov_b32_e32 v2, s10
	s_xor_b64 exec, exec, s[6:7]
	s_cbranch_execnz .LBB31_2988
.LBB31_938:
	s_or_b64 exec, exec, s[6:7]
	s_and_saveexec_b64 s[6:7], s[4:5]
	s_cbranch_execz .LBB31_940
.LBB31_939:
	v_bfe_u32 v2, v7, 8, 3
	v_ffbh_u32_e32 v11, v2
	v_min_u32_e32 v11, 32, v11
	v_lshrrev_b16_e32 v10, 3, v6
	v_subrev_u32_e32 v12, 28, v11
	v_and_b32_e32 v10, 15, v10
	v_lshlrev_b32_e32 v6, v12, v6
	v_sub_u32_e32 v11, 29, v11
	v_and_b32_e32 v6, 7, v6
	v_cmp_eq_u16_e32 vcc, 0, v10
	v_cndmask_b32_e32 v2, v2, v6, vcc
	v_cndmask_b32_e32 v6, v10, v11, vcc
	v_lshlrev_b32_e32 v10, 16, v7
	v_mov_b32_e32 v11, 0x3b800000
	v_lshlrev_b32_e32 v2, 20, v2
	v_and_b32_e32 v10, 0x80000000, v10
	v_lshl_add_u32 v6, v6, 23, v11
	v_or3_b32 v2, v10, v6, v2
.LBB31_940:
	s_or_b64 exec, exec, s[6:7]
	v_lshrrev_b32_e32 v6, 8, v3
	s_movk_i32 s4, 0x7f
	v_cmp_gt_i16_sdwa s[6:7], v6, s4 src0_sel:BYTE_0 src1_sel:DWORD
	s_mov_b64 s[4:5], 0
                                        ; implicit-def: $sgpr10
	s_and_saveexec_b64 s[8:9], s[6:7]
	s_xor_b64 s[6:7], exec, s[8:9]
	s_cbranch_execnz .LBB31_2989
; %bb.941:
	s_or_saveexec_b64 s[6:7], s[6:7]
	v_mov_b32_e32 v10, s10
	s_xor_b64 exec, exec, s[6:7]
	s_cbranch_execnz .LBB31_2992
.LBB31_942:
	s_or_b64 exec, exec, s[6:7]
	s_and_saveexec_b64 s[6:7], s[4:5]
	s_cbranch_execz .LBB31_944
.LBB31_943:
	v_bfe_u32 v10, v3, 8, 3
	v_ffbh_u32_e32 v12, v10
	v_min_u32_e32 v12, 32, v12
	v_lshrrev_b16_e32 v11, 3, v6
	v_subrev_u32_e32 v13, 28, v12
	v_and_b32_e32 v11, 15, v11
	v_lshlrev_b32_e32 v6, v13, v6
	v_sub_u32_e32 v12, 29, v12
	v_and_b32_e32 v6, 7, v6
	v_cmp_eq_u16_e32 vcc, 0, v11
	v_cndmask_b32_e32 v6, v10, v6, vcc
	v_cndmask_b32_e32 v10, v11, v12, vcc
	v_lshlrev_b32_e32 v11, 16, v3
	v_mov_b32_e32 v12, 0x3b800000
	v_lshlrev_b32_e32 v6, 20, v6
	v_and_b32_e32 v11, 0x80000000, v11
	v_lshl_add_u32 v10, v10, 23, v12
	v_or3_b32 v10, v11, v10, v6
.LBB31_944:
	s_or_b64 exec, exec, s[6:7]
	s_nop 0
	v_mfma_f32_16x16x4f32 a[0:3], v2, v10, a[0:3]
	s_movk_i32 s4, 0xff
	v_and_b32_sdwa v6, v7, s4 dst_sel:DWORD dst_unused:UNUSED_PAD src0_sel:WORD_1 src1_sel:DWORD
	s_movk_i32 s4, 0x7f
	v_cmp_lt_i16_e32 vcc, s4, v6
	s_mov_b64 s[4:5], 0
                                        ; implicit-def: $sgpr10
	s_and_saveexec_b64 s[6:7], vcc
	s_xor_b64 s[6:7], exec, s[6:7]
	s_cbranch_execnz .LBB31_2993
; %bb.945:
	s_or_saveexec_b64 s[6:7], s[6:7]
	v_mov_b32_e32 v2, s10
	s_xor_b64 exec, exec, s[6:7]
	s_cbranch_execnz .LBB31_2996
.LBB31_946:
	s_or_b64 exec, exec, s[6:7]
	s_and_saveexec_b64 s[6:7], s[4:5]
	s_cbranch_execz .LBB31_948
.LBB31_947:
	v_bfe_u32 v2, v7, 16, 3
	v_ffbh_u32_e32 v11, v2
	v_min_u32_e32 v11, 32, v11
	v_lshrrev_b32_e32 v6, 19, v7
	v_subrev_u32_e32 v12, 28, v11
	v_and_b32_e32 v6, 15, v6
	v_lshlrev_b32_sdwa v12, v12, v7 dst_sel:DWORD dst_unused:UNUSED_PAD src0_sel:DWORD src1_sel:WORD_1
	v_bfe_u32 v10, v7, 19, 4
	v_sub_u32_e32 v11, 29, v11
	v_and_b32_e32 v12, 7, v12
	v_cmp_eq_u16_e32 vcc, 0, v6
	v_cndmask_b32_e32 v2, v2, v12, vcc
	v_cndmask_b32_e32 v6, v10, v11, vcc
	v_lshlrev_b32_e32 v10, 8, v7
	v_mov_b32_e32 v11, 0x3b800000
	v_lshlrev_b32_e32 v2, 20, v2
	v_and_b32_e32 v10, 0x80000000, v10
	v_lshl_add_u32 v6, v6, 23, v11
	v_or3_b32 v2, v10, v6, v2
.LBB31_948:
	s_or_b64 exec, exec, s[6:7]
	s_movk_i32 s4, 0xff
	v_and_b32_sdwa v6, v3, s4 dst_sel:DWORD dst_unused:UNUSED_PAD src0_sel:WORD_1 src1_sel:DWORD
	s_movk_i32 s4, 0x7f
	v_cmp_lt_i16_e32 vcc, s4, v6
	s_mov_b64 s[4:5], 0
                                        ; implicit-def: $sgpr10
	s_and_saveexec_b64 s[6:7], vcc
	s_xor_b64 s[6:7], exec, s[6:7]
	s_cbranch_execnz .LBB31_2997
; %bb.949:
	s_or_saveexec_b64 s[6:7], s[6:7]
	v_mov_b32_e32 v10, s10
	s_xor_b64 exec, exec, s[6:7]
	s_cbranch_execnz .LBB31_3000
.LBB31_950:
	s_or_b64 exec, exec, s[6:7]
	s_and_saveexec_b64 s[6:7], s[4:5]
	s_cbranch_execz .LBB31_952
.LBB31_951:
	v_bfe_u32 v6, v3, 16, 3
	v_ffbh_u32_e32 v12, v6
	v_min_u32_e32 v12, 32, v12
	v_lshrrev_b32_e32 v10, 19, v3
	v_subrev_u32_e32 v13, 28, v12
	v_and_b32_e32 v10, 15, v10
	v_lshlrev_b32_sdwa v13, v13, v3 dst_sel:DWORD dst_unused:UNUSED_PAD src0_sel:DWORD src1_sel:WORD_1
	v_bfe_u32 v11, v3, 19, 4
	v_sub_u32_e32 v12, 29, v12
	v_and_b32_e32 v13, 7, v13
	v_cmp_eq_u16_e32 vcc, 0, v10
	v_cndmask_b32_e32 v6, v6, v13, vcc
	v_cndmask_b32_e32 v10, v11, v12, vcc
	v_lshlrev_b32_e32 v11, 8, v3
	v_mov_b32_e32 v12, 0x3b800000
	v_lshlrev_b32_e32 v6, 20, v6
	v_and_b32_e32 v11, 0x80000000, v11
	v_lshl_add_u32 v10, v10, 23, v12
	v_or3_b32 v10, v11, v10, v6
.LBB31_952:
	s_or_b64 exec, exec, s[6:7]
	s_nop 0
	v_mfma_f32_16x16x4f32 a[0:3], v2, v10, a[0:3]
	s_movk_i32 s4, 0x7f
	v_cmp_gt_i16_sdwa s[6:7], v7, s4 src0_sel:BYTE_3 src1_sel:DWORD
	s_mov_b64 s[4:5], 0
                                        ; implicit-def: $sgpr10
	s_and_saveexec_b64 s[8:9], s[6:7]
	s_xor_b64 s[6:7], exec, s[8:9]
	s_cbranch_execnz .LBB31_3001
; %bb.953:
	s_or_saveexec_b64 s[6:7], s[6:7]
	v_mov_b32_e32 v2, s10
	s_xor_b64 exec, exec, s[6:7]
	s_cbranch_execnz .LBB31_3004
.LBB31_954:
	s_or_b64 exec, exec, s[6:7]
	s_and_saveexec_b64 s[6:7], s[4:5]
	s_cbranch_execz .LBB31_956
.LBB31_955:
	v_bfe_u32 v2, v7, 24, 3
	v_ffbh_u32_e32 v12, v2
	v_min_u32_e32 v12, 32, v12
	v_lshrrev_b32_e32 v10, 27, v7
	v_subrev_u32_e32 v13, 28, v12
	v_and_b32_e32 v6, 0x80000000, v7
	v_and_b32_e32 v10, 15, v10
	v_bfe_u32 v11, v7, 27, 4
	v_lshlrev_b32_sdwa v7, v13, v7 dst_sel:DWORD dst_unused:UNUSED_PAD src0_sel:DWORD src1_sel:BYTE_3
	v_sub_u32_e32 v12, 29, v12
	v_and_b32_e32 v7, 7, v7
	v_cmp_eq_u16_e32 vcc, 0, v10
	v_cndmask_b32_e32 v2, v2, v7, vcc
	v_cndmask_b32_e32 v7, v11, v12, vcc
	v_mov_b32_e32 v10, 0x3b800000
	v_lshlrev_b32_e32 v2, 20, v2
	v_lshl_add_u32 v7, v7, 23, v10
	v_or3_b32 v2, v6, v7, v2
.LBB31_956:
	s_or_b64 exec, exec, s[6:7]
	s_movk_i32 s4, 0x7f
	v_cmp_gt_i16_sdwa s[6:7], v3, s4 src0_sel:BYTE_3 src1_sel:DWORD
	s_mov_b64 s[4:5], 0
                                        ; implicit-def: $sgpr10
	s_and_saveexec_b64 s[8:9], s[6:7]
	s_xor_b64 s[6:7], exec, s[8:9]
	s_cbranch_execnz .LBB31_3005
; %bb.957:
	s_or_saveexec_b64 s[6:7], s[6:7]
	v_mov_b32_e32 v6, s10
	s_xor_b64 exec, exec, s[6:7]
	s_cbranch_execnz .LBB31_3008
.LBB31_958:
	s_or_b64 exec, exec, s[6:7]
	s_and_saveexec_b64 s[6:7], s[4:5]
	s_cbranch_execz .LBB31_960
.LBB31_959:
	v_bfe_u32 v6, v3, 24, 3
	v_ffbh_u32_e32 v12, v6
	v_min_u32_e32 v12, 32, v12
	v_lshrrev_b32_e32 v10, 27, v3
	v_subrev_u32_e32 v13, 28, v12
	v_and_b32_e32 v7, 0x80000000, v3
	v_and_b32_e32 v10, 15, v10
	v_bfe_u32 v11, v3, 27, 4
	v_lshlrev_b32_sdwa v3, v13, v3 dst_sel:DWORD dst_unused:UNUSED_PAD src0_sel:DWORD src1_sel:BYTE_3
	v_sub_u32_e32 v12, 29, v12
	v_and_b32_e32 v3, 7, v3
	v_cmp_eq_u16_e32 vcc, 0, v10
	v_cndmask_b32_e32 v3, v6, v3, vcc
	v_cndmask_b32_e32 v6, v11, v12, vcc
	v_mov_b32_e32 v10, 0x3b800000
	v_lshlrev_b32_e32 v3, 20, v3
	v_lshl_add_u32 v6, v6, 23, v10
	v_or3_b32 v6, v7, v6, v3
.LBB31_960:
	s_or_b64 exec, exec, s[6:7]
	s_nop 0
	v_mfma_f32_16x16x4f32 a[0:3], v2, v6, a[0:3]
	s_movk_i32 s4, 0x7f
	v_cmp_gt_i16_sdwa s[6:7], v8, s4 src0_sel:BYTE_0 src1_sel:DWORD
	s_mov_b64 s[4:5], 0
                                        ; implicit-def: $sgpr10
	s_and_saveexec_b64 s[8:9], s[6:7]
	s_xor_b64 s[6:7], exec, s[8:9]
	s_cbranch_execnz .LBB31_3009
; %bb.961:
	s_or_saveexec_b64 s[6:7], s[6:7]
	v_mov_b32_e32 v2, s10
	s_xor_b64 exec, exec, s[6:7]
	s_cbranch_execnz .LBB31_3012
.LBB31_962:
	s_or_b64 exec, exec, s[6:7]
	s_and_saveexec_b64 s[6:7], s[4:5]
	s_cbranch_execz .LBB31_964
.LBB31_963:
	v_and_b32_e32 v2, 7, v8
	v_ffbh_u32_e32 v6, v2
	v_min_u32_e32 v6, 32, v6
	v_lshrrev_b16_e32 v3, 3, v8
	v_subrev_u32_e32 v7, 28, v6
	v_and_b32_e32 v3, 15, v3
	v_lshlrev_b32_e32 v7, v7, v8
	v_sub_u32_e32 v6, 29, v6
	v_and_b32_e32 v7, 7, v7
	v_cmp_eq_u16_e32 vcc, 0, v3
	v_cndmask_b32_e32 v2, v2, v7, vcc
	v_cndmask_b32_e32 v3, v3, v6, vcc
	v_lshlrev_b32_e32 v6, 24, v8
	v_mov_b32_e32 v7, 0x3b800000
	v_lshlrev_b32_e32 v2, 20, v2
	v_and_b32_e32 v6, 0x80000000, v6
	v_lshl_add_u32 v3, v3, 23, v7
	v_or3_b32 v2, v6, v3, v2
.LBB31_964:
	s_or_b64 exec, exec, s[6:7]
	s_movk_i32 s4, 0x7f
	v_cmp_gt_i16_sdwa s[6:7], v4, s4 src0_sel:BYTE_0 src1_sel:DWORD
	s_mov_b64 s[4:5], 0
                                        ; implicit-def: $sgpr10
	s_and_saveexec_b64 s[8:9], s[6:7]
	s_xor_b64 s[6:7], exec, s[8:9]
	s_cbranch_execnz .LBB31_3013
; %bb.965:
	s_or_saveexec_b64 s[6:7], s[6:7]
	v_mov_b32_e32 v3, s10
	s_xor_b64 exec, exec, s[6:7]
	s_cbranch_execnz .LBB31_3016
.LBB31_966:
	s_or_b64 exec, exec, s[6:7]
	s_and_saveexec_b64 s[6:7], s[4:5]
	s_cbranch_execz .LBB31_968
.LBB31_967:
	v_and_b32_e32 v3, 7, v4
	v_ffbh_u32_e32 v7, v3
	v_min_u32_e32 v7, 32, v7
	v_lshrrev_b16_e32 v6, 3, v4
	v_subrev_u32_e32 v10, 28, v7
	v_and_b32_e32 v6, 15, v6
	v_lshlrev_b32_e32 v10, v10, v4
	v_sub_u32_e32 v7, 29, v7
	v_and_b32_e32 v10, 7, v10
	v_cmp_eq_u16_e32 vcc, 0, v6
	v_cndmask_b32_e32 v3, v3, v10, vcc
	v_cndmask_b32_e32 v6, v6, v7, vcc
	v_lshlrev_b32_e32 v7, 24, v4
	v_mov_b32_e32 v10, 0x3b800000
	v_lshlrev_b32_e32 v3, 20, v3
	v_and_b32_e32 v7, 0x80000000, v7
	v_lshl_add_u32 v6, v6, 23, v10
	v_or3_b32 v3, v7, v6, v3
.LBB31_968:
	s_or_b64 exec, exec, s[6:7]
	s_nop 0
	v_mfma_f32_16x16x4f32 a[0:3], v2, v3, a[0:3]
	v_lshrrev_b32_e32 v3, 8, v8
	s_movk_i32 s4, 0x7f
	v_cmp_gt_i16_sdwa s[6:7], v3, s4 src0_sel:BYTE_0 src1_sel:DWORD
	s_mov_b64 s[4:5], 0
                                        ; implicit-def: $sgpr10
	s_and_saveexec_b64 s[8:9], s[6:7]
	s_xor_b64 s[6:7], exec, s[8:9]
	s_cbranch_execnz .LBB31_3017
; %bb.969:
	s_or_saveexec_b64 s[6:7], s[6:7]
	v_mov_b32_e32 v2, s10
	s_xor_b64 exec, exec, s[6:7]
	s_cbranch_execnz .LBB31_3020
.LBB31_970:
	s_or_b64 exec, exec, s[6:7]
	s_and_saveexec_b64 s[6:7], s[4:5]
	s_cbranch_execz .LBB31_972
.LBB31_971:
	v_bfe_u32 v2, v8, 8, 3
	v_ffbh_u32_e32 v7, v2
	v_min_u32_e32 v7, 32, v7
	v_lshrrev_b16_e32 v6, 3, v3
	v_subrev_u32_e32 v10, 28, v7
	v_and_b32_e32 v6, 15, v6
	v_lshlrev_b32_e32 v3, v10, v3
	v_sub_u32_e32 v7, 29, v7
	v_and_b32_e32 v3, 7, v3
	v_cmp_eq_u16_e32 vcc, 0, v6
	v_cndmask_b32_e32 v2, v2, v3, vcc
	v_cndmask_b32_e32 v3, v6, v7, vcc
	v_lshlrev_b32_e32 v6, 16, v8
	v_mov_b32_e32 v7, 0x3b800000
	v_lshlrev_b32_e32 v2, 20, v2
	v_and_b32_e32 v6, 0x80000000, v6
	v_lshl_add_u32 v3, v3, 23, v7
	v_or3_b32 v2, v6, v3, v2
.LBB31_972:
	s_or_b64 exec, exec, s[6:7]
	v_lshrrev_b32_e32 v3, 8, v4
	s_movk_i32 s4, 0x7f
	v_cmp_gt_i16_sdwa s[6:7], v3, s4 src0_sel:BYTE_0 src1_sel:DWORD
	s_mov_b64 s[4:5], 0
                                        ; implicit-def: $sgpr10
	s_and_saveexec_b64 s[8:9], s[6:7]
	s_xor_b64 s[6:7], exec, s[8:9]
	s_cbranch_execnz .LBB31_3021
; %bb.973:
	s_or_saveexec_b64 s[6:7], s[6:7]
	v_mov_b32_e32 v6, s10
	s_xor_b64 exec, exec, s[6:7]
	s_cbranch_execnz .LBB31_3024
.LBB31_974:
	s_or_b64 exec, exec, s[6:7]
	s_and_saveexec_b64 s[6:7], s[4:5]
	s_cbranch_execz .LBB31_976
.LBB31_975:
	v_bfe_u32 v6, v4, 8, 3
	v_ffbh_u32_e32 v10, v6
	v_min_u32_e32 v10, 32, v10
	v_lshrrev_b16_e32 v7, 3, v3
	v_subrev_u32_e32 v11, 28, v10
	v_and_b32_e32 v7, 15, v7
	v_lshlrev_b32_e32 v3, v11, v3
	v_sub_u32_e32 v10, 29, v10
	v_and_b32_e32 v3, 7, v3
	v_cmp_eq_u16_e32 vcc, 0, v7
	v_cndmask_b32_e32 v3, v6, v3, vcc
	v_cndmask_b32_e32 v6, v7, v10, vcc
	v_lshlrev_b32_e32 v7, 16, v4
	v_mov_b32_e32 v10, 0x3b800000
	v_lshlrev_b32_e32 v3, 20, v3
	v_and_b32_e32 v7, 0x80000000, v7
	v_lshl_add_u32 v6, v6, 23, v10
	v_or3_b32 v6, v7, v6, v3
.LBB31_976:
	s_or_b64 exec, exec, s[6:7]
	s_nop 0
	v_mfma_f32_16x16x4f32 a[0:3], v2, v6, a[0:3]
	s_movk_i32 s4, 0xff
	v_and_b32_sdwa v3, v8, s4 dst_sel:DWORD dst_unused:UNUSED_PAD src0_sel:WORD_1 src1_sel:DWORD
	s_movk_i32 s4, 0x7f
	v_cmp_lt_i16_e32 vcc, s4, v3
	s_mov_b64 s[4:5], 0
                                        ; implicit-def: $sgpr10
	s_and_saveexec_b64 s[6:7], vcc
	s_xor_b64 s[6:7], exec, s[6:7]
	s_cbranch_execnz .LBB31_3025
; %bb.977:
	s_or_saveexec_b64 s[6:7], s[6:7]
	v_mov_b32_e32 v2, s10
	s_xor_b64 exec, exec, s[6:7]
	s_cbranch_execnz .LBB31_3028
.LBB31_978:
	s_or_b64 exec, exec, s[6:7]
	s_and_saveexec_b64 s[6:7], s[4:5]
	s_cbranch_execz .LBB31_980
.LBB31_979:
	v_bfe_u32 v2, v8, 16, 3
	v_ffbh_u32_e32 v7, v2
	v_min_u32_e32 v7, 32, v7
	v_lshrrev_b32_e32 v3, 19, v8
	v_subrev_u32_e32 v10, 28, v7
	v_and_b32_e32 v3, 15, v3
	v_lshlrev_b32_sdwa v10, v10, v8 dst_sel:DWORD dst_unused:UNUSED_PAD src0_sel:DWORD src1_sel:WORD_1
	v_bfe_u32 v6, v8, 19, 4
	v_sub_u32_e32 v7, 29, v7
	v_and_b32_e32 v10, 7, v10
	v_cmp_eq_u16_e32 vcc, 0, v3
	v_cndmask_b32_e32 v2, v2, v10, vcc
	v_cndmask_b32_e32 v3, v6, v7, vcc
	v_lshlrev_b32_e32 v6, 8, v8
	v_mov_b32_e32 v7, 0x3b800000
	v_lshlrev_b32_e32 v2, 20, v2
	v_and_b32_e32 v6, 0x80000000, v6
	v_lshl_add_u32 v3, v3, 23, v7
	v_or3_b32 v2, v6, v3, v2
.LBB31_980:
	s_or_b64 exec, exec, s[6:7]
	s_movk_i32 s4, 0xff
	v_and_b32_sdwa v3, v4, s4 dst_sel:DWORD dst_unused:UNUSED_PAD src0_sel:WORD_1 src1_sel:DWORD
	s_movk_i32 s4, 0x7f
	v_cmp_lt_i16_e32 vcc, s4, v3
	s_mov_b64 s[4:5], 0
                                        ; implicit-def: $sgpr10
	s_and_saveexec_b64 s[6:7], vcc
	s_xor_b64 s[6:7], exec, s[6:7]
	s_cbranch_execnz .LBB31_3029
; %bb.981:
	s_or_saveexec_b64 s[6:7], s[6:7]
	v_mov_b32_e32 v6, s10
	s_xor_b64 exec, exec, s[6:7]
	s_cbranch_execnz .LBB31_3032
.LBB31_982:
	s_or_b64 exec, exec, s[6:7]
	s_and_saveexec_b64 s[6:7], s[4:5]
	s_cbranch_execz .LBB31_984
.LBB31_983:
	v_bfe_u32 v3, v4, 16, 3
	v_ffbh_u32_e32 v10, v3
	v_min_u32_e32 v10, 32, v10
	v_lshrrev_b32_e32 v6, 19, v4
	v_subrev_u32_e32 v11, 28, v10
	v_and_b32_e32 v6, 15, v6
	v_lshlrev_b32_sdwa v11, v11, v4 dst_sel:DWORD dst_unused:UNUSED_PAD src0_sel:DWORD src1_sel:WORD_1
	v_bfe_u32 v7, v4, 19, 4
	v_sub_u32_e32 v10, 29, v10
	v_and_b32_e32 v11, 7, v11
	v_cmp_eq_u16_e32 vcc, 0, v6
	v_cndmask_b32_e32 v3, v3, v11, vcc
	v_cndmask_b32_e32 v6, v7, v10, vcc
	v_lshlrev_b32_e32 v7, 8, v4
	v_mov_b32_e32 v10, 0x3b800000
	v_lshlrev_b32_e32 v3, 20, v3
	v_and_b32_e32 v7, 0x80000000, v7
	v_lshl_add_u32 v6, v6, 23, v10
	v_or3_b32 v6, v7, v6, v3
.LBB31_984:
	s_or_b64 exec, exec, s[6:7]
	s_nop 0
	v_mfma_f32_16x16x4f32 a[0:3], v2, v6, a[0:3]
	s_movk_i32 s4, 0x7f
	v_cmp_gt_i16_sdwa s[6:7], v8, s4 src0_sel:BYTE_3 src1_sel:DWORD
	s_mov_b64 s[4:5], 0
                                        ; implicit-def: $sgpr10
	s_and_saveexec_b64 s[8:9], s[6:7]
	s_xor_b64 s[6:7], exec, s[8:9]
	s_cbranch_execnz .LBB31_3033
; %bb.985:
	s_or_saveexec_b64 s[6:7], s[6:7]
	v_mov_b32_e32 v2, s10
	s_xor_b64 exec, exec, s[6:7]
	s_cbranch_execnz .LBB31_3036
.LBB31_986:
	s_or_b64 exec, exec, s[6:7]
	s_and_saveexec_b64 s[6:7], s[4:5]
	s_cbranch_execz .LBB31_988
.LBB31_987:
	v_bfe_u32 v2, v8, 24, 3
	v_ffbh_u32_e32 v10, v2
	v_min_u32_e32 v10, 32, v10
	v_lshrrev_b32_e32 v6, 27, v8
	v_subrev_u32_e32 v11, 28, v10
	v_and_b32_e32 v3, 0x80000000, v8
	v_and_b32_e32 v6, 15, v6
	v_bfe_u32 v7, v8, 27, 4
	v_lshlrev_b32_sdwa v8, v11, v8 dst_sel:DWORD dst_unused:UNUSED_PAD src0_sel:DWORD src1_sel:BYTE_3
	v_sub_u32_e32 v10, 29, v10
	v_and_b32_e32 v8, 7, v8
	v_cmp_eq_u16_e32 vcc, 0, v6
	v_cndmask_b32_e32 v2, v2, v8, vcc
	v_cndmask_b32_e32 v6, v7, v10, vcc
	v_mov_b32_e32 v7, 0x3b800000
	v_lshlrev_b32_e32 v2, 20, v2
	v_lshl_add_u32 v6, v6, 23, v7
	v_or3_b32 v2, v3, v6, v2
.LBB31_988:
	s_or_b64 exec, exec, s[6:7]
	s_movk_i32 s4, 0x7f
	v_cmp_gt_i16_sdwa s[6:7], v4, s4 src0_sel:BYTE_3 src1_sel:DWORD
	s_mov_b64 s[4:5], 0
                                        ; implicit-def: $sgpr10
	s_and_saveexec_b64 s[8:9], s[6:7]
	s_xor_b64 s[6:7], exec, s[8:9]
	s_cbranch_execnz .LBB31_3037
; %bb.989:
	s_or_saveexec_b64 s[6:7], s[6:7]
	v_mov_b32_e32 v3, s10
	s_xor_b64 exec, exec, s[6:7]
	s_cbranch_execnz .LBB31_3040
.LBB31_990:
	s_or_b64 exec, exec, s[6:7]
	s_and_saveexec_b64 s[6:7], s[4:5]
	s_cbranch_execz .LBB31_992
.LBB31_991:
	v_bfe_u32 v3, v4, 24, 3
	v_ffbh_u32_e32 v10, v3
	v_min_u32_e32 v10, 32, v10
	v_lshrrev_b32_e32 v7, 27, v4
	v_subrev_u32_e32 v11, 28, v10
	v_and_b32_e32 v6, 0x80000000, v4
	v_and_b32_e32 v7, 15, v7
	v_bfe_u32 v8, v4, 27, 4
	v_lshlrev_b32_sdwa v4, v11, v4 dst_sel:DWORD dst_unused:UNUSED_PAD src0_sel:DWORD src1_sel:BYTE_3
	v_sub_u32_e32 v10, 29, v10
	v_and_b32_e32 v4, 7, v4
	v_cmp_eq_u16_e32 vcc, 0, v7
	v_cndmask_b32_e32 v3, v3, v4, vcc
	v_cndmask_b32_e32 v4, v8, v10, vcc
	v_mov_b32_e32 v7, 0x3b800000
	v_lshlrev_b32_e32 v3, 20, v3
	v_lshl_add_u32 v4, v4, 23, v7
	v_or3_b32 v3, v6, v4, v3
.LBB31_992:
	s_or_b64 exec, exec, s[6:7]
	s_nop 0
	v_mfma_f32_16x16x4f32 a[0:3], v2, v3, a[0:3]
	s_movk_i32 s4, 0x7f
	v_cmp_gt_i16_sdwa s[6:7], v9, s4 src0_sel:BYTE_0 src1_sel:DWORD
	s_mov_b64 s[4:5], 0
                                        ; implicit-def: $sgpr10
	s_and_saveexec_b64 s[8:9], s[6:7]
	s_xor_b64 s[6:7], exec, s[8:9]
	s_cbranch_execnz .LBB31_3041
; %bb.993:
	s_or_saveexec_b64 s[6:7], s[6:7]
	v_mov_b32_e32 v2, s10
	s_xor_b64 exec, exec, s[6:7]
	s_cbranch_execnz .LBB31_3044
.LBB31_994:
	s_or_b64 exec, exec, s[6:7]
	s_and_saveexec_b64 s[6:7], s[4:5]
	s_cbranch_execz .LBB31_996
.LBB31_995:
	v_mov_b32_e32 v2, 8
	v_and_b32_e32 v3, 7, v9
	v_lshrrev_b32_sdwa v2, v2, v9 dst_sel:BYTE_1 dst_unused:UNUSED_PAD src0_sel:DWORD src1_sel:DWORD
	v_ffbh_u32_e32 v4, v3
	v_or_b32_sdwa v2, v9, v2 dst_sel:DWORD dst_unused:UNUSED_PAD src0_sel:BYTE_0 src1_sel:DWORD
	v_min_u32_e32 v4, 32, v4
	v_lshrrev_b16_e32 v2, 3, v2
	v_subrev_u32_e32 v6, 28, v4
	v_and_b32_e32 v2, 15, v2
	v_lshlrev_b32_e32 v6, v6, v9
	v_sub_u32_e32 v4, 29, v4
	v_and_b32_e32 v6, 7, v6
	v_cmp_eq_u16_e32 vcc, 0, v2
	v_cndmask_b32_e32 v3, v3, v6, vcc
	v_cndmask_b32_e32 v2, v2, v4, vcc
	v_lshlrev_b32_e32 v4, 24, v9
	v_mov_b32_e32 v6, 0x3b800000
	v_lshlrev_b32_e32 v3, 20, v3
	v_and_b32_e32 v4, 0x80000000, v4
	v_lshl_add_u32 v2, v2, 23, v6
	v_or3_b32 v2, v4, v2, v3
.LBB31_996:
	s_or_b64 exec, exec, s[6:7]
	s_movk_i32 s4, 0x7f
	v_cmp_gt_i16_sdwa s[6:7], v5, s4 src0_sel:BYTE_0 src1_sel:DWORD
	s_mov_b64 s[4:5], 0
                                        ; implicit-def: $sgpr10
	s_and_saveexec_b64 s[8:9], s[6:7]
	s_xor_b64 s[6:7], exec, s[8:9]
	s_cbranch_execnz .LBB31_3045
; %bb.997:
	s_or_saveexec_b64 s[6:7], s[6:7]
	v_mov_b32_e32 v3, s10
	s_xor_b64 exec, exec, s[6:7]
	s_cbranch_execnz .LBB31_3048
.LBB31_998:
	s_or_b64 exec, exec, s[6:7]
	s_and_saveexec_b64 s[6:7], s[4:5]
	s_cbranch_execz .LBB31_1000
.LBB31_999:
	v_mov_b32_e32 v3, 8
	v_and_b32_e32 v4, 7, v5
	v_lshrrev_b32_sdwa v3, v3, v5 dst_sel:BYTE_1 dst_unused:UNUSED_PAD src0_sel:DWORD src1_sel:DWORD
	v_ffbh_u32_e32 v6, v4
	v_or_b32_sdwa v3, v5, v3 dst_sel:DWORD dst_unused:UNUSED_PAD src0_sel:BYTE_0 src1_sel:DWORD
	v_min_u32_e32 v6, 32, v6
	v_lshrrev_b16_e32 v3, 3, v3
	v_subrev_u32_e32 v7, 28, v6
	v_and_b32_e32 v3, 15, v3
	v_lshlrev_b32_e32 v7, v7, v5
	v_sub_u32_e32 v6, 29, v6
	v_and_b32_e32 v7, 7, v7
	v_cmp_eq_u16_e32 vcc, 0, v3
	v_cndmask_b32_e32 v4, v4, v7, vcc
	v_cndmask_b32_e32 v3, v3, v6, vcc
	v_lshlrev_b32_e32 v6, 24, v5
	v_mov_b32_e32 v7, 0x3b800000
	v_lshlrev_b32_e32 v4, 20, v4
	v_and_b32_e32 v6, 0x80000000, v6
	v_lshl_add_u32 v3, v3, 23, v7
	v_or3_b32 v3, v6, v3, v4
.LBB31_1000:
	s_or_b64 exec, exec, s[6:7]
	s_nop 0
	v_mfma_f32_16x16x4f32 a[0:3], v2, v3, a[0:3]
	v_lshrrev_b32_e32 v3, 8, v9
	s_movk_i32 s4, 0x7f
	v_cmp_gt_i16_sdwa s[6:7], v3, s4 src0_sel:BYTE_0 src1_sel:DWORD
	s_mov_b64 s[4:5], 0
                                        ; implicit-def: $sgpr10
	s_and_saveexec_b64 s[8:9], s[6:7]
	s_xor_b64 s[6:7], exec, s[8:9]
	s_cbranch_execnz .LBB31_3049
; %bb.1001:
	s_or_saveexec_b64 s[6:7], s[6:7]
	v_mov_b32_e32 v2, s10
	s_xor_b64 exec, exec, s[6:7]
	s_cbranch_execnz .LBB31_3052
.LBB31_1002:
	s_or_b64 exec, exec, s[6:7]
	s_and_saveexec_b64 s[6:7], s[4:5]
	s_cbranch_execz .LBB31_1004
.LBB31_1003:
	v_bfe_u32 v2, v9, 8, 3
	v_ffbh_u32_e32 v6, v2
	v_min_u32_e32 v6, 32, v6
	v_lshrrev_b16_e32 v4, 3, v3
	v_subrev_u32_e32 v7, 28, v6
	v_and_b32_e32 v4, 15, v4
	v_lshlrev_b32_e32 v3, v7, v3
	v_sub_u32_e32 v6, 29, v6
	v_and_b32_e32 v3, 7, v3
	v_cmp_eq_u16_e32 vcc, 0, v4
	v_cndmask_b32_e32 v2, v2, v3, vcc
	v_cndmask_b32_e32 v3, v4, v6, vcc
	v_lshlrev_b32_e32 v4, 16, v9
	v_mov_b32_e32 v6, 0x3b800000
	v_lshlrev_b32_e32 v2, 20, v2
	v_and_b32_e32 v4, 0x80000000, v4
	v_lshl_add_u32 v3, v3, 23, v6
	v_or3_b32 v2, v4, v3, v2
.LBB31_1004:
	s_or_b64 exec, exec, s[6:7]
	v_lshrrev_b32_e32 v3, 8, v5
	s_movk_i32 s4, 0x7f
	v_cmp_gt_i16_sdwa s[6:7], v3, s4 src0_sel:BYTE_0 src1_sel:DWORD
	s_mov_b64 s[4:5], 0
                                        ; implicit-def: $sgpr10
	s_and_saveexec_b64 s[8:9], s[6:7]
	s_xor_b64 s[6:7], exec, s[8:9]
	s_cbranch_execnz .LBB31_3053
; %bb.1005:
	s_or_saveexec_b64 s[6:7], s[6:7]
	v_mov_b32_e32 v4, s10
	s_xor_b64 exec, exec, s[6:7]
	s_cbranch_execnz .LBB31_3056
.LBB31_1006:
	s_or_b64 exec, exec, s[6:7]
	s_and_saveexec_b64 s[6:7], s[4:5]
	s_cbranch_execz .LBB31_1008
.LBB31_1007:
	v_bfe_u32 v4, v5, 8, 3
	v_ffbh_u32_e32 v7, v4
	v_min_u32_e32 v7, 32, v7
	v_lshrrev_b16_e32 v6, 3, v3
	v_subrev_u32_e32 v8, 28, v7
	v_and_b32_e32 v6, 15, v6
	v_lshlrev_b32_e32 v3, v8, v3
	v_sub_u32_e32 v7, 29, v7
	v_and_b32_e32 v3, 7, v3
	v_cmp_eq_u16_e32 vcc, 0, v6
	v_cndmask_b32_e32 v3, v4, v3, vcc
	v_cndmask_b32_e32 v4, v6, v7, vcc
	v_lshlrev_b32_e32 v6, 16, v5
	v_mov_b32_e32 v7, 0x3b800000
	v_lshlrev_b32_e32 v3, 20, v3
	v_and_b32_e32 v6, 0x80000000, v6
	v_lshl_add_u32 v4, v4, 23, v7
	v_or3_b32 v4, v6, v4, v3
.LBB31_1008:
	s_or_b64 exec, exec, s[6:7]
	s_nop 0
	v_mfma_f32_16x16x4f32 a[0:3], v2, v4, a[0:3]
	s_movk_i32 s4, 0xff
	v_and_b32_sdwa v3, v9, s4 dst_sel:DWORD dst_unused:UNUSED_PAD src0_sel:WORD_1 src1_sel:DWORD
	s_movk_i32 s4, 0x7f
	v_cmp_lt_i16_e32 vcc, s4, v3
	s_mov_b64 s[4:5], 0
                                        ; implicit-def: $sgpr10
	s_and_saveexec_b64 s[6:7], vcc
	s_xor_b64 s[6:7], exec, s[6:7]
	s_cbranch_execnz .LBB31_3057
; %bb.1009:
	s_or_saveexec_b64 s[6:7], s[6:7]
	v_mov_b32_e32 v2, s10
	s_xor_b64 exec, exec, s[6:7]
	s_cbranch_execnz .LBB31_3060
.LBB31_1010:
	s_or_b64 exec, exec, s[6:7]
	s_and_saveexec_b64 s[6:7], s[4:5]
	s_cbranch_execz .LBB31_1012
.LBB31_1011:
	v_bfe_u32 v2, v9, 16, 3
	v_ffbh_u32_e32 v6, v2
	v_min_u32_e32 v6, 32, v6
	v_lshrrev_b32_e32 v3, 19, v9
	v_subrev_u32_e32 v7, 28, v6
	v_and_b32_e32 v3, 15, v3
	v_lshlrev_b32_sdwa v7, v7, v9 dst_sel:DWORD dst_unused:UNUSED_PAD src0_sel:DWORD src1_sel:WORD_1
	v_bfe_u32 v4, v9, 19, 4
	v_sub_u32_e32 v6, 29, v6
	v_and_b32_e32 v7, 7, v7
	v_cmp_eq_u16_e32 vcc, 0, v3
	v_cndmask_b32_e32 v2, v2, v7, vcc
	v_cndmask_b32_e32 v3, v4, v6, vcc
	v_lshlrev_b32_e32 v4, 8, v9
	v_mov_b32_e32 v6, 0x3b800000
	v_lshlrev_b32_e32 v2, 20, v2
	v_and_b32_e32 v4, 0x80000000, v4
	v_lshl_add_u32 v3, v3, 23, v6
	v_or3_b32 v2, v4, v3, v2
.LBB31_1012:
	s_or_b64 exec, exec, s[6:7]
	s_movk_i32 s4, 0xff
	v_and_b32_sdwa v3, v5, s4 dst_sel:DWORD dst_unused:UNUSED_PAD src0_sel:WORD_1 src1_sel:DWORD
	s_movk_i32 s4, 0x7f
	v_cmp_lt_i16_e32 vcc, s4, v3
	s_mov_b64 s[4:5], 0
                                        ; implicit-def: $sgpr10
	s_and_saveexec_b64 s[6:7], vcc
	s_xor_b64 s[6:7], exec, s[6:7]
	s_cbranch_execnz .LBB31_3061
; %bb.1013:
	s_or_saveexec_b64 s[6:7], s[6:7]
	v_mov_b32_e32 v4, s10
	s_xor_b64 exec, exec, s[6:7]
	s_cbranch_execnz .LBB31_3064
.LBB31_1014:
	s_or_b64 exec, exec, s[6:7]
	s_and_saveexec_b64 s[6:7], s[4:5]
	s_cbranch_execz .LBB31_1016
.LBB31_1015:
	v_bfe_u32 v3, v5, 16, 3
	v_ffbh_u32_e32 v7, v3
	v_min_u32_e32 v7, 32, v7
	v_lshrrev_b32_e32 v4, 19, v5
	v_subrev_u32_e32 v8, 28, v7
	v_and_b32_e32 v4, 15, v4
	v_lshlrev_b32_sdwa v8, v8, v5 dst_sel:DWORD dst_unused:UNUSED_PAD src0_sel:DWORD src1_sel:WORD_1
	v_bfe_u32 v6, v5, 19, 4
	v_sub_u32_e32 v7, 29, v7
	v_and_b32_e32 v8, 7, v8
	v_cmp_eq_u16_e32 vcc, 0, v4
	v_cndmask_b32_e32 v3, v3, v8, vcc
	v_cndmask_b32_e32 v4, v6, v7, vcc
	v_lshlrev_b32_e32 v6, 8, v5
	v_mov_b32_e32 v7, 0x3b800000
	v_lshlrev_b32_e32 v3, 20, v3
	v_and_b32_e32 v6, 0x80000000, v6
	v_lshl_add_u32 v4, v4, 23, v7
	v_or3_b32 v4, v6, v4, v3
.LBB31_1016:
	s_or_b64 exec, exec, s[6:7]
	s_nop 0
	v_mfma_f32_16x16x4f32 a[0:3], v2, v4, a[0:3]
	s_movk_i32 s4, 0x7f
	v_cmp_gt_i16_sdwa s[6:7], v9, s4 src0_sel:BYTE_3 src1_sel:DWORD
	s_mov_b64 s[4:5], 0
                                        ; implicit-def: $sgpr10
	s_and_saveexec_b64 s[8:9], s[6:7]
	s_xor_b64 s[6:7], exec, s[8:9]
	s_cbranch_execnz .LBB31_3065
; %bb.1017:
	s_or_saveexec_b64 s[6:7], s[6:7]
	v_mov_b32_e32 v2, s10
	s_xor_b64 exec, exec, s[6:7]
	s_cbranch_execnz .LBB31_3068
.LBB31_1018:
	s_or_b64 exec, exec, s[6:7]
	s_and_saveexec_b64 s[6:7], s[4:5]
	s_cbranch_execz .LBB31_1020
.LBB31_1019:
	v_bfe_u32 v2, v9, 24, 3
	v_ffbh_u32_e32 v7, v2
	v_min_u32_e32 v7, 32, v7
	v_lshrrev_b32_e32 v4, 27, v9
	v_subrev_u32_e32 v8, 28, v7
	v_and_b32_e32 v4, 15, v4
	v_lshlrev_b32_sdwa v8, v8, v9 dst_sel:DWORD dst_unused:UNUSED_PAD src0_sel:DWORD src1_sel:BYTE_3
	v_bfe_u32 v6, v9, 27, 4
	v_sub_u32_e32 v7, 29, v7
	v_and_b32_e32 v8, 7, v8
	v_cmp_eq_u16_e32 vcc, 0, v4
	v_cndmask_b32_e32 v2, v2, v8, vcc
	v_cndmask_b32_e32 v4, v6, v7, vcc
	v_mov_b32_e32 v6, 0x3b800000
	v_and_b32_e32 v3, 0x80000000, v9
	v_lshlrev_b32_e32 v2, 20, v2
	v_lshl_add_u32 v4, v4, 23, v6
	v_or3_b32 v2, v3, v4, v2
.LBB31_1020:
	s_or_b64 exec, exec, s[6:7]
	s_movk_i32 s4, 0x7f
	v_cmp_gt_i16_sdwa s[6:7], v5, s4 src0_sel:BYTE_3 src1_sel:DWORD
	s_mov_b64 s[4:5], 0
                                        ; implicit-def: $sgpr10
	s_and_saveexec_b64 s[8:9], s[6:7]
	s_xor_b64 s[6:7], exec, s[8:9]
	s_cbranch_execnz .LBB31_3069
; %bb.1021:
	s_or_saveexec_b64 s[6:7], s[6:7]
	v_mov_b32_e32 v3, s10
	s_xor_b64 exec, exec, s[6:7]
	s_cbranch_execnz .LBB31_3072
.LBB31_1022:
	s_or_b64 exec, exec, s[6:7]
	s_and_saveexec_b64 s[6:7], s[4:5]
	s_cbranch_execz .LBB31_1024
.LBB31_1023:
	v_bfe_u32 v3, v5, 24, 3
	v_ffbh_u32_e32 v8, v3
	v_min_u32_e32 v8, 32, v8
	v_lshrrev_b32_e32 v6, 27, v5
	v_subrev_u32_e32 v9, 28, v8
	v_and_b32_e32 v4, 0x80000000, v5
	v_and_b32_e32 v6, 15, v6
	v_bfe_u32 v7, v5, 27, 4
	v_lshlrev_b32_sdwa v5, v9, v5 dst_sel:DWORD dst_unused:UNUSED_PAD src0_sel:DWORD src1_sel:BYTE_3
	v_sub_u32_e32 v8, 29, v8
	v_and_b32_e32 v5, 7, v5
	v_cmp_eq_u16_e32 vcc, 0, v6
	v_cndmask_b32_e32 v3, v3, v5, vcc
	v_cndmask_b32_e32 v5, v7, v8, vcc
	v_mov_b32_e32 v6, 0x3b800000
	v_lshlrev_b32_e32 v3, 20, v3
	v_lshl_add_u32 v5, v5, 23, v6
	v_or3_b32 v3, v4, v5, v3
.LBB31_1024:
	s_or_b64 exec, exec, s[6:7]
	s_nop 0
	v_mfma_f32_16x16x4f32 a[0:3], v2, v3, a[0:3]
	s_movk_i32 s4, 0x7f
                                        ; implicit-def: $sgpr10
	s_nop 7
	s_nop 1
	flat_store_dwordx4 v[18:19], a[0:3] offset:432
	flat_load_dwordx4 v[20:23], v[0:1] offset:16
	s_nop 0
	flat_load_dwordx2 v[18:19], v[0:1] offset:32
	s_waitcnt vmcnt(0) lgkmcnt(0)
	flat_load_dwordx4 v[14:17], v[20:21] offset:32
	flat_load_dwordx4 v[6:9], v[20:21] offset:48
	flat_load_dwordx4 v[10:13], v[22:23] offset:128
	flat_load_dwordx4 v[2:5], v[22:23] offset:144
	s_waitcnt vmcnt(0) lgkmcnt(0)
	v_cmp_gt_i16_sdwa s[6:7], v14, s4 src0_sel:BYTE_0 src1_sel:DWORD
	s_mov_b64 s[4:5], 0
	s_and_saveexec_b64 s[8:9], s[6:7]
	s_xor_b64 s[6:7], exec, s[8:9]
	s_cbranch_execnz .LBB31_3073
; %bb.1025:
	s_or_saveexec_b64 s[6:7], s[6:7]
	v_mov_b32_e32 v20, s10
	s_xor_b64 exec, exec, s[6:7]
	s_cbranch_execnz .LBB31_3076
.LBB31_1026:
	s_or_b64 exec, exec, s[6:7]
	s_and_saveexec_b64 s[6:7], s[4:5]
	s_cbranch_execz .LBB31_1028
.LBB31_1027:
	v_and_b32_e32 v20, 7, v14
	v_ffbh_u32_e32 v22, v20
	v_min_u32_e32 v22, 32, v22
	v_lshrrev_b16_e32 v21, 3, v14
	v_subrev_u32_e32 v23, 28, v22
	v_and_b32_e32 v21, 15, v21
	v_lshlrev_b32_e32 v23, v23, v14
	v_sub_u32_e32 v22, 29, v22
	v_and_b32_e32 v23, 7, v23
	v_cmp_eq_u16_e32 vcc, 0, v21
	v_cndmask_b32_e32 v20, v20, v23, vcc
	v_cndmask_b32_e32 v21, v21, v22, vcc
	v_lshlrev_b32_e32 v22, 24, v14
	v_mov_b32_e32 v23, 0x3b800000
	v_lshlrev_b32_e32 v20, 20, v20
	v_and_b32_e32 v22, 0x80000000, v22
	v_lshl_add_u32 v21, v21, 23, v23
	v_or3_b32 v20, v22, v21, v20
.LBB31_1028:
	s_or_b64 exec, exec, s[6:7]
	s_movk_i32 s4, 0x7f
	v_cmp_gt_i16_sdwa s[6:7], v10, s4 src0_sel:BYTE_0 src1_sel:DWORD
	s_mov_b64 s[4:5], 0
                                        ; implicit-def: $sgpr10
	s_and_saveexec_b64 s[8:9], s[6:7]
	s_xor_b64 s[6:7], exec, s[8:9]
	s_cbranch_execnz .LBB31_3077
; %bb.1029:
	s_or_saveexec_b64 s[6:7], s[6:7]
	v_mov_b32_e32 v21, s10
	s_xor_b64 exec, exec, s[6:7]
	s_cbranch_execnz .LBB31_3080
.LBB31_1030:
	s_or_b64 exec, exec, s[6:7]
	s_and_saveexec_b64 s[6:7], s[4:5]
	s_cbranch_execz .LBB31_1032
.LBB31_1031:
	v_and_b32_e32 v21, 7, v10
	v_ffbh_u32_e32 v23, v21
	v_min_u32_e32 v23, 32, v23
	v_lshrrev_b16_e32 v22, 3, v10
	v_subrev_u32_e32 v24, 28, v23
	v_and_b32_e32 v22, 15, v22
	v_lshlrev_b32_e32 v24, v24, v10
	v_sub_u32_e32 v23, 29, v23
	v_and_b32_e32 v24, 7, v24
	v_cmp_eq_u16_e32 vcc, 0, v22
	v_cndmask_b32_e32 v21, v21, v24, vcc
	v_cndmask_b32_e32 v22, v22, v23, vcc
	v_lshlrev_b32_e32 v23, 24, v10
	v_mov_b32_e32 v24, 0x3b800000
	v_lshlrev_b32_e32 v21, 20, v21
	v_and_b32_e32 v23, 0x80000000, v23
	v_lshl_add_u32 v22, v22, 23, v24
	v_or3_b32 v21, v23, v22, v21
.LBB31_1032:
	s_or_b64 exec, exec, s[6:7]
	flat_load_dwordx4 a[0:3], v[18:19] offset:448
	s_movk_i32 s4, 0x7f
                                        ; implicit-def: $sgpr10
	s_waitcnt vmcnt(0) lgkmcnt(0)
	v_mfma_f32_16x16x4f32 a[0:3], v20, v21, a[0:3]
	v_lshrrev_b32_e32 v21, 8, v14
	v_cmp_gt_i16_sdwa s[6:7], v21, s4 src0_sel:BYTE_0 src1_sel:DWORD
	s_mov_b64 s[4:5], 0
	s_and_saveexec_b64 s[8:9], s[6:7]
	s_xor_b64 s[6:7], exec, s[8:9]
	s_cbranch_execnz .LBB31_3081
; %bb.1033:
	s_or_saveexec_b64 s[6:7], s[6:7]
	v_mov_b32_e32 v20, s10
	s_xor_b64 exec, exec, s[6:7]
	s_cbranch_execnz .LBB31_3084
.LBB31_1034:
	s_or_b64 exec, exec, s[6:7]
	s_and_saveexec_b64 s[6:7], s[4:5]
	s_cbranch_execz .LBB31_1036
.LBB31_1035:
	v_bfe_u32 v20, v14, 8, 3
	v_ffbh_u32_e32 v23, v20
	v_min_u32_e32 v23, 32, v23
	v_lshrrev_b16_e32 v22, 3, v21
	v_subrev_u32_e32 v24, 28, v23
	v_and_b32_e32 v22, 15, v22
	v_lshlrev_b32_e32 v21, v24, v21
	v_sub_u32_e32 v23, 29, v23
	v_and_b32_e32 v21, 7, v21
	v_cmp_eq_u16_e32 vcc, 0, v22
	v_cndmask_b32_e32 v20, v20, v21, vcc
	v_cndmask_b32_e32 v21, v22, v23, vcc
	v_lshlrev_b32_e32 v22, 16, v14
	v_mov_b32_e32 v23, 0x3b800000
	v_lshlrev_b32_e32 v20, 20, v20
	v_and_b32_e32 v22, 0x80000000, v22
	v_lshl_add_u32 v21, v21, 23, v23
	v_or3_b32 v20, v22, v21, v20
.LBB31_1036:
	s_or_b64 exec, exec, s[6:7]
	v_lshrrev_b32_e32 v21, 8, v10
	s_movk_i32 s4, 0x7f
	v_cmp_gt_i16_sdwa s[6:7], v21, s4 src0_sel:BYTE_0 src1_sel:DWORD
	s_mov_b64 s[4:5], 0
                                        ; implicit-def: $sgpr10
	s_and_saveexec_b64 s[8:9], s[6:7]
	s_xor_b64 s[6:7], exec, s[8:9]
	s_cbranch_execnz .LBB31_3085
; %bb.1037:
	s_or_saveexec_b64 s[6:7], s[6:7]
	v_mov_b32_e32 v22, s10
	s_xor_b64 exec, exec, s[6:7]
	s_cbranch_execnz .LBB31_3088
.LBB31_1038:
	s_or_b64 exec, exec, s[6:7]
	s_and_saveexec_b64 s[6:7], s[4:5]
	s_cbranch_execz .LBB31_1040
.LBB31_1039:
	v_bfe_u32 v22, v10, 8, 3
	v_ffbh_u32_e32 v24, v22
	v_min_u32_e32 v24, 32, v24
	v_lshrrev_b16_e32 v23, 3, v21
	v_subrev_u32_e32 v25, 28, v24
	v_and_b32_e32 v23, 15, v23
	v_lshlrev_b32_e32 v21, v25, v21
	v_sub_u32_e32 v24, 29, v24
	v_and_b32_e32 v21, 7, v21
	v_cmp_eq_u16_e32 vcc, 0, v23
	v_cndmask_b32_e32 v21, v22, v21, vcc
	v_cndmask_b32_e32 v22, v23, v24, vcc
	v_lshlrev_b32_e32 v23, 16, v10
	v_mov_b32_e32 v24, 0x3b800000
	v_lshlrev_b32_e32 v21, 20, v21
	v_and_b32_e32 v23, 0x80000000, v23
	v_lshl_add_u32 v22, v22, 23, v24
	v_or3_b32 v22, v23, v22, v21
.LBB31_1040:
	s_or_b64 exec, exec, s[6:7]
	s_nop 0
	v_mfma_f32_16x16x4f32 a[0:3], v20, v22, a[0:3]
	s_movk_i32 s4, 0xff
	v_and_b32_sdwa v21, v14, s4 dst_sel:DWORD dst_unused:UNUSED_PAD src0_sel:WORD_1 src1_sel:DWORD
	s_movk_i32 s4, 0x7f
	v_cmp_lt_i16_e32 vcc, s4, v21
	s_mov_b64 s[4:5], 0
                                        ; implicit-def: $sgpr10
	s_and_saveexec_b64 s[6:7], vcc
	s_xor_b64 s[6:7], exec, s[6:7]
	s_cbranch_execnz .LBB31_3089
; %bb.1041:
	s_or_saveexec_b64 s[6:7], s[6:7]
	v_mov_b32_e32 v20, s10
	s_xor_b64 exec, exec, s[6:7]
	s_cbranch_execnz .LBB31_3092
.LBB31_1042:
	s_or_b64 exec, exec, s[6:7]
	s_and_saveexec_b64 s[6:7], s[4:5]
	s_cbranch_execz .LBB31_1044
.LBB31_1043:
	v_bfe_u32 v20, v14, 16, 3
	v_ffbh_u32_e32 v23, v20
	v_min_u32_e32 v23, 32, v23
	v_lshrrev_b32_e32 v21, 19, v14
	v_subrev_u32_e32 v24, 28, v23
	v_and_b32_e32 v21, 15, v21
	v_lshlrev_b32_sdwa v24, v24, v14 dst_sel:DWORD dst_unused:UNUSED_PAD src0_sel:DWORD src1_sel:WORD_1
	v_bfe_u32 v22, v14, 19, 4
	v_sub_u32_e32 v23, 29, v23
	v_and_b32_e32 v24, 7, v24
	v_cmp_eq_u16_e32 vcc, 0, v21
	v_cndmask_b32_e32 v20, v20, v24, vcc
	v_cndmask_b32_e32 v21, v22, v23, vcc
	v_lshlrev_b32_e32 v22, 8, v14
	v_mov_b32_e32 v23, 0x3b800000
	v_lshlrev_b32_e32 v20, 20, v20
	v_and_b32_e32 v22, 0x80000000, v22
	v_lshl_add_u32 v21, v21, 23, v23
	v_or3_b32 v20, v22, v21, v20
.LBB31_1044:
	s_or_b64 exec, exec, s[6:7]
	s_movk_i32 s4, 0xff
	v_and_b32_sdwa v21, v10, s4 dst_sel:DWORD dst_unused:UNUSED_PAD src0_sel:WORD_1 src1_sel:DWORD
	s_movk_i32 s4, 0x7f
	v_cmp_lt_i16_e32 vcc, s4, v21
	s_mov_b64 s[4:5], 0
                                        ; implicit-def: $sgpr10
	s_and_saveexec_b64 s[6:7], vcc
	s_xor_b64 s[6:7], exec, s[6:7]
	s_cbranch_execnz .LBB31_3093
; %bb.1045:
	s_or_saveexec_b64 s[6:7], s[6:7]
	v_mov_b32_e32 v22, s10
	s_xor_b64 exec, exec, s[6:7]
	s_cbranch_execnz .LBB31_3096
.LBB31_1046:
	s_or_b64 exec, exec, s[6:7]
	s_and_saveexec_b64 s[6:7], s[4:5]
	s_cbranch_execz .LBB31_1048
.LBB31_1047:
	v_bfe_u32 v21, v10, 16, 3
	v_ffbh_u32_e32 v24, v21
	v_min_u32_e32 v24, 32, v24
	v_lshrrev_b32_e32 v22, 19, v10
	v_subrev_u32_e32 v25, 28, v24
	v_and_b32_e32 v22, 15, v22
	v_lshlrev_b32_sdwa v25, v25, v10 dst_sel:DWORD dst_unused:UNUSED_PAD src0_sel:DWORD src1_sel:WORD_1
	v_bfe_u32 v23, v10, 19, 4
	v_sub_u32_e32 v24, 29, v24
	v_and_b32_e32 v25, 7, v25
	v_cmp_eq_u16_e32 vcc, 0, v22
	v_cndmask_b32_e32 v21, v21, v25, vcc
	v_cndmask_b32_e32 v22, v23, v24, vcc
	v_lshlrev_b32_e32 v23, 8, v10
	v_mov_b32_e32 v24, 0x3b800000
	v_lshlrev_b32_e32 v21, 20, v21
	v_and_b32_e32 v23, 0x80000000, v23
	v_lshl_add_u32 v22, v22, 23, v24
	v_or3_b32 v22, v23, v22, v21
.LBB31_1048:
	s_or_b64 exec, exec, s[6:7]
	s_nop 0
	v_mfma_f32_16x16x4f32 a[0:3], v20, v22, a[0:3]
	s_movk_i32 s4, 0x7f
	v_cmp_gt_i16_sdwa s[6:7], v14, s4 src0_sel:BYTE_3 src1_sel:DWORD
	s_mov_b64 s[4:5], 0
                                        ; implicit-def: $sgpr10
	s_and_saveexec_b64 s[8:9], s[6:7]
	s_xor_b64 s[6:7], exec, s[8:9]
	s_cbranch_execnz .LBB31_3097
; %bb.1049:
	s_or_saveexec_b64 s[6:7], s[6:7]
	v_mov_b32_e32 v20, s10
	s_xor_b64 exec, exec, s[6:7]
	s_cbranch_execnz .LBB31_3100
.LBB31_1050:
	s_or_b64 exec, exec, s[6:7]
	s_and_saveexec_b64 s[6:7], s[4:5]
	s_cbranch_execz .LBB31_1052
.LBB31_1051:
	v_bfe_u32 v20, v14, 24, 3
	v_ffbh_u32_e32 v24, v20
	v_min_u32_e32 v24, 32, v24
	v_lshrrev_b32_e32 v22, 27, v14
	v_subrev_u32_e32 v25, 28, v24
	v_and_b32_e32 v21, 0x80000000, v14
	v_and_b32_e32 v22, 15, v22
	v_bfe_u32 v23, v14, 27, 4
	v_lshlrev_b32_sdwa v14, v25, v14 dst_sel:DWORD dst_unused:UNUSED_PAD src0_sel:DWORD src1_sel:BYTE_3
	v_sub_u32_e32 v24, 29, v24
	v_and_b32_e32 v14, 7, v14
	v_cmp_eq_u16_e32 vcc, 0, v22
	v_cndmask_b32_e32 v14, v20, v14, vcc
	v_cndmask_b32_e32 v20, v23, v24, vcc
	v_mov_b32_e32 v22, 0x3b800000
	v_lshlrev_b32_e32 v14, 20, v14
	v_lshl_add_u32 v20, v20, 23, v22
	v_or3_b32 v20, v21, v20, v14
.LBB31_1052:
	s_or_b64 exec, exec, s[6:7]
	s_movk_i32 s4, 0x7f
	v_cmp_gt_i16_sdwa s[6:7], v10, s4 src0_sel:BYTE_3 src1_sel:DWORD
	s_mov_b64 s[4:5], 0
                                        ; implicit-def: $sgpr10
	s_and_saveexec_b64 s[8:9], s[6:7]
	s_xor_b64 s[6:7], exec, s[8:9]
	s_cbranch_execnz .LBB31_3101
; %bb.1053:
	s_or_saveexec_b64 s[6:7], s[6:7]
	v_mov_b32_e32 v14, s10
	s_xor_b64 exec, exec, s[6:7]
	s_cbranch_execnz .LBB31_3104
.LBB31_1054:
	s_or_b64 exec, exec, s[6:7]
	s_and_saveexec_b64 s[6:7], s[4:5]
	s_cbranch_execz .LBB31_1056
.LBB31_1055:
	v_bfe_u32 v14, v10, 24, 3
	v_ffbh_u32_e32 v24, v14
	v_min_u32_e32 v24, 32, v24
	v_lshrrev_b32_e32 v22, 27, v10
	v_subrev_u32_e32 v25, 28, v24
	v_and_b32_e32 v21, 0x80000000, v10
	v_and_b32_e32 v22, 15, v22
	v_bfe_u32 v23, v10, 27, 4
	v_lshlrev_b32_sdwa v10, v25, v10 dst_sel:DWORD dst_unused:UNUSED_PAD src0_sel:DWORD src1_sel:BYTE_3
	v_sub_u32_e32 v24, 29, v24
	v_and_b32_e32 v10, 7, v10
	v_cmp_eq_u16_e32 vcc, 0, v22
	v_cndmask_b32_e32 v10, v14, v10, vcc
	v_cndmask_b32_e32 v14, v23, v24, vcc
	v_mov_b32_e32 v22, 0x3b800000
	v_lshlrev_b32_e32 v10, 20, v10
	v_lshl_add_u32 v14, v14, 23, v22
	v_or3_b32 v14, v21, v14, v10
.LBB31_1056:
	s_or_b64 exec, exec, s[6:7]
	s_nop 0
	v_mfma_f32_16x16x4f32 a[0:3], v20, v14, a[0:3]
	s_movk_i32 s4, 0x7f
	v_cmp_gt_i16_sdwa s[6:7], v15, s4 src0_sel:BYTE_0 src1_sel:DWORD
	s_mov_b64 s[4:5], 0
                                        ; implicit-def: $sgpr10
	s_and_saveexec_b64 s[8:9], s[6:7]
	s_xor_b64 s[6:7], exec, s[8:9]
	s_cbranch_execnz .LBB31_3105
; %bb.1057:
	s_or_saveexec_b64 s[6:7], s[6:7]
	v_mov_b32_e32 v10, s10
	s_xor_b64 exec, exec, s[6:7]
	s_cbranch_execnz .LBB31_3108
.LBB31_1058:
	s_or_b64 exec, exec, s[6:7]
	s_and_saveexec_b64 s[6:7], s[4:5]
	s_cbranch_execz .LBB31_1060
.LBB31_1059:
	v_and_b32_e32 v10, 7, v15
	v_ffbh_u32_e32 v20, v10
	v_min_u32_e32 v20, 32, v20
	v_lshrrev_b16_e32 v14, 3, v15
	v_subrev_u32_e32 v21, 28, v20
	v_and_b32_e32 v14, 15, v14
	v_lshlrev_b32_e32 v21, v21, v15
	v_sub_u32_e32 v20, 29, v20
	v_and_b32_e32 v21, 7, v21
	v_cmp_eq_u16_e32 vcc, 0, v14
	v_cndmask_b32_e32 v10, v10, v21, vcc
	v_cndmask_b32_e32 v14, v14, v20, vcc
	v_lshlrev_b32_e32 v20, 24, v15
	v_mov_b32_e32 v21, 0x3b800000
	v_lshlrev_b32_e32 v10, 20, v10
	v_and_b32_e32 v20, 0x80000000, v20
	v_lshl_add_u32 v14, v14, 23, v21
	v_or3_b32 v10, v20, v14, v10
.LBB31_1060:
	s_or_b64 exec, exec, s[6:7]
	s_movk_i32 s4, 0x7f
	v_cmp_gt_i16_sdwa s[6:7], v11, s4 src0_sel:BYTE_0 src1_sel:DWORD
	s_mov_b64 s[4:5], 0
                                        ; implicit-def: $sgpr10
	s_and_saveexec_b64 s[8:9], s[6:7]
	s_xor_b64 s[6:7], exec, s[8:9]
	s_cbranch_execnz .LBB31_3109
; %bb.1061:
	s_or_saveexec_b64 s[6:7], s[6:7]
	v_mov_b32_e32 v14, s10
	s_xor_b64 exec, exec, s[6:7]
	s_cbranch_execnz .LBB31_3112
.LBB31_1062:
	s_or_b64 exec, exec, s[6:7]
	s_and_saveexec_b64 s[6:7], s[4:5]
	s_cbranch_execz .LBB31_1064
.LBB31_1063:
	v_and_b32_e32 v14, 7, v11
	v_ffbh_u32_e32 v21, v14
	v_min_u32_e32 v21, 32, v21
	v_lshrrev_b16_e32 v20, 3, v11
	v_subrev_u32_e32 v22, 28, v21
	v_and_b32_e32 v20, 15, v20
	v_lshlrev_b32_e32 v22, v22, v11
	v_sub_u32_e32 v21, 29, v21
	v_and_b32_e32 v22, 7, v22
	v_cmp_eq_u16_e32 vcc, 0, v20
	v_cndmask_b32_e32 v14, v14, v22, vcc
	v_cndmask_b32_e32 v20, v20, v21, vcc
	v_lshlrev_b32_e32 v21, 24, v11
	v_mov_b32_e32 v22, 0x3b800000
	v_lshlrev_b32_e32 v14, 20, v14
	v_and_b32_e32 v21, 0x80000000, v21
	v_lshl_add_u32 v20, v20, 23, v22
	v_or3_b32 v14, v21, v20, v14
.LBB31_1064:
	s_or_b64 exec, exec, s[6:7]
	s_nop 0
	v_mfma_f32_16x16x4f32 a[0:3], v10, v14, a[0:3]
	v_lshrrev_b32_e32 v14, 8, v15
	s_movk_i32 s4, 0x7f
	v_cmp_gt_i16_sdwa s[6:7], v14, s4 src0_sel:BYTE_0 src1_sel:DWORD
	s_mov_b64 s[4:5], 0
                                        ; implicit-def: $sgpr10
	s_and_saveexec_b64 s[8:9], s[6:7]
	s_xor_b64 s[6:7], exec, s[8:9]
	s_cbranch_execnz .LBB31_3113
; %bb.1065:
	s_or_saveexec_b64 s[6:7], s[6:7]
	v_mov_b32_e32 v10, s10
	s_xor_b64 exec, exec, s[6:7]
	s_cbranch_execnz .LBB31_3116
.LBB31_1066:
	s_or_b64 exec, exec, s[6:7]
	s_and_saveexec_b64 s[6:7], s[4:5]
	s_cbranch_execz .LBB31_1068
.LBB31_1067:
	v_bfe_u32 v10, v15, 8, 3
	v_ffbh_u32_e32 v21, v10
	v_min_u32_e32 v21, 32, v21
	v_lshrrev_b16_e32 v20, 3, v14
	v_subrev_u32_e32 v22, 28, v21
	v_and_b32_e32 v20, 15, v20
	v_lshlrev_b32_e32 v14, v22, v14
	v_sub_u32_e32 v21, 29, v21
	v_and_b32_e32 v14, 7, v14
	v_cmp_eq_u16_e32 vcc, 0, v20
	v_cndmask_b32_e32 v10, v10, v14, vcc
	v_cndmask_b32_e32 v14, v20, v21, vcc
	v_lshlrev_b32_e32 v20, 16, v15
	v_mov_b32_e32 v21, 0x3b800000
	v_lshlrev_b32_e32 v10, 20, v10
	v_and_b32_e32 v20, 0x80000000, v20
	v_lshl_add_u32 v14, v14, 23, v21
	v_or3_b32 v10, v20, v14, v10
.LBB31_1068:
	s_or_b64 exec, exec, s[6:7]
	v_lshrrev_b32_e32 v14, 8, v11
	s_movk_i32 s4, 0x7f
	v_cmp_gt_i16_sdwa s[6:7], v14, s4 src0_sel:BYTE_0 src1_sel:DWORD
	s_mov_b64 s[4:5], 0
                                        ; implicit-def: $sgpr10
	s_and_saveexec_b64 s[8:9], s[6:7]
	s_xor_b64 s[6:7], exec, s[8:9]
	s_cbranch_execnz .LBB31_3117
; %bb.1069:
	s_or_saveexec_b64 s[6:7], s[6:7]
	v_mov_b32_e32 v20, s10
	s_xor_b64 exec, exec, s[6:7]
	s_cbranch_execnz .LBB31_3120
.LBB31_1070:
	s_or_b64 exec, exec, s[6:7]
	s_and_saveexec_b64 s[6:7], s[4:5]
	s_cbranch_execz .LBB31_1072
.LBB31_1071:
	v_bfe_u32 v20, v11, 8, 3
	v_ffbh_u32_e32 v22, v20
	v_min_u32_e32 v22, 32, v22
	v_lshrrev_b16_e32 v21, 3, v14
	v_subrev_u32_e32 v23, 28, v22
	v_and_b32_e32 v21, 15, v21
	v_lshlrev_b32_e32 v14, v23, v14
	v_sub_u32_e32 v22, 29, v22
	v_and_b32_e32 v14, 7, v14
	v_cmp_eq_u16_e32 vcc, 0, v21
	v_cndmask_b32_e32 v14, v20, v14, vcc
	v_cndmask_b32_e32 v20, v21, v22, vcc
	v_lshlrev_b32_e32 v21, 16, v11
	v_mov_b32_e32 v22, 0x3b800000
	v_lshlrev_b32_e32 v14, 20, v14
	v_and_b32_e32 v21, 0x80000000, v21
	v_lshl_add_u32 v20, v20, 23, v22
	v_or3_b32 v20, v21, v20, v14
.LBB31_1072:
	s_or_b64 exec, exec, s[6:7]
	s_nop 0
	v_mfma_f32_16x16x4f32 a[0:3], v10, v20, a[0:3]
	s_movk_i32 s4, 0xff
	v_and_b32_sdwa v14, v15, s4 dst_sel:DWORD dst_unused:UNUSED_PAD src0_sel:WORD_1 src1_sel:DWORD
	s_movk_i32 s4, 0x7f
	v_cmp_lt_i16_e32 vcc, s4, v14
	s_mov_b64 s[4:5], 0
                                        ; implicit-def: $sgpr10
	s_and_saveexec_b64 s[6:7], vcc
	s_xor_b64 s[6:7], exec, s[6:7]
	s_cbranch_execnz .LBB31_3121
; %bb.1073:
	s_or_saveexec_b64 s[6:7], s[6:7]
	v_mov_b32_e32 v10, s10
	s_xor_b64 exec, exec, s[6:7]
	s_cbranch_execnz .LBB31_3124
.LBB31_1074:
	s_or_b64 exec, exec, s[6:7]
	s_and_saveexec_b64 s[6:7], s[4:5]
	s_cbranch_execz .LBB31_1076
.LBB31_1075:
	v_bfe_u32 v10, v15, 16, 3
	v_ffbh_u32_e32 v21, v10
	v_min_u32_e32 v21, 32, v21
	v_lshrrev_b32_e32 v14, 19, v15
	v_subrev_u32_e32 v22, 28, v21
	v_and_b32_e32 v14, 15, v14
	v_lshlrev_b32_sdwa v22, v22, v15 dst_sel:DWORD dst_unused:UNUSED_PAD src0_sel:DWORD src1_sel:WORD_1
	v_bfe_u32 v20, v15, 19, 4
	v_sub_u32_e32 v21, 29, v21
	v_and_b32_e32 v22, 7, v22
	v_cmp_eq_u16_e32 vcc, 0, v14
	v_cndmask_b32_e32 v10, v10, v22, vcc
	v_cndmask_b32_e32 v14, v20, v21, vcc
	v_lshlrev_b32_e32 v20, 8, v15
	v_mov_b32_e32 v21, 0x3b800000
	v_lshlrev_b32_e32 v10, 20, v10
	v_and_b32_e32 v20, 0x80000000, v20
	v_lshl_add_u32 v14, v14, 23, v21
	v_or3_b32 v10, v20, v14, v10
.LBB31_1076:
	s_or_b64 exec, exec, s[6:7]
	s_movk_i32 s4, 0xff
	v_and_b32_sdwa v14, v11, s4 dst_sel:DWORD dst_unused:UNUSED_PAD src0_sel:WORD_1 src1_sel:DWORD
	s_movk_i32 s4, 0x7f
	v_cmp_lt_i16_e32 vcc, s4, v14
	s_mov_b64 s[4:5], 0
                                        ; implicit-def: $sgpr10
	s_and_saveexec_b64 s[6:7], vcc
	s_xor_b64 s[6:7], exec, s[6:7]
	s_cbranch_execnz .LBB31_3125
; %bb.1077:
	s_or_saveexec_b64 s[6:7], s[6:7]
	v_mov_b32_e32 v20, s10
	s_xor_b64 exec, exec, s[6:7]
	s_cbranch_execnz .LBB31_3128
.LBB31_1078:
	s_or_b64 exec, exec, s[6:7]
	s_and_saveexec_b64 s[6:7], s[4:5]
	s_cbranch_execz .LBB31_1080
.LBB31_1079:
	v_bfe_u32 v14, v11, 16, 3
	v_ffbh_u32_e32 v22, v14
	v_min_u32_e32 v22, 32, v22
	v_lshrrev_b32_e32 v20, 19, v11
	v_subrev_u32_e32 v23, 28, v22
	v_and_b32_e32 v20, 15, v20
	v_lshlrev_b32_sdwa v23, v23, v11 dst_sel:DWORD dst_unused:UNUSED_PAD src0_sel:DWORD src1_sel:WORD_1
	v_bfe_u32 v21, v11, 19, 4
	v_sub_u32_e32 v22, 29, v22
	v_and_b32_e32 v23, 7, v23
	v_cmp_eq_u16_e32 vcc, 0, v20
	v_cndmask_b32_e32 v14, v14, v23, vcc
	v_cndmask_b32_e32 v20, v21, v22, vcc
	v_lshlrev_b32_e32 v21, 8, v11
	v_mov_b32_e32 v22, 0x3b800000
	v_lshlrev_b32_e32 v14, 20, v14
	v_and_b32_e32 v21, 0x80000000, v21
	v_lshl_add_u32 v20, v20, 23, v22
	v_or3_b32 v20, v21, v20, v14
.LBB31_1080:
	s_or_b64 exec, exec, s[6:7]
	s_nop 0
	v_mfma_f32_16x16x4f32 a[0:3], v10, v20, a[0:3]
	s_movk_i32 s4, 0x7f
	v_cmp_gt_i16_sdwa s[6:7], v15, s4 src0_sel:BYTE_3 src1_sel:DWORD
	s_mov_b64 s[4:5], 0
                                        ; implicit-def: $sgpr10
	s_and_saveexec_b64 s[8:9], s[6:7]
	s_xor_b64 s[6:7], exec, s[8:9]
	s_cbranch_execnz .LBB31_3129
; %bb.1081:
	s_or_saveexec_b64 s[6:7], s[6:7]
	v_mov_b32_e32 v10, s10
	s_xor_b64 exec, exec, s[6:7]
	s_cbranch_execnz .LBB31_3132
.LBB31_1082:
	s_or_b64 exec, exec, s[6:7]
	s_and_saveexec_b64 s[6:7], s[4:5]
	s_cbranch_execz .LBB31_1084
.LBB31_1083:
	v_bfe_u32 v10, v15, 24, 3
	v_ffbh_u32_e32 v22, v10
	v_min_u32_e32 v22, 32, v22
	v_lshrrev_b32_e32 v20, 27, v15
	v_subrev_u32_e32 v23, 28, v22
	v_and_b32_e32 v14, 0x80000000, v15
	v_and_b32_e32 v20, 15, v20
	v_bfe_u32 v21, v15, 27, 4
	v_lshlrev_b32_sdwa v15, v23, v15 dst_sel:DWORD dst_unused:UNUSED_PAD src0_sel:DWORD src1_sel:BYTE_3
	v_sub_u32_e32 v22, 29, v22
	v_and_b32_e32 v15, 7, v15
	v_cmp_eq_u16_e32 vcc, 0, v20
	v_cndmask_b32_e32 v10, v10, v15, vcc
	v_cndmask_b32_e32 v15, v21, v22, vcc
	v_mov_b32_e32 v20, 0x3b800000
	v_lshlrev_b32_e32 v10, 20, v10
	v_lshl_add_u32 v15, v15, 23, v20
	v_or3_b32 v10, v14, v15, v10
.LBB31_1084:
	s_or_b64 exec, exec, s[6:7]
	s_movk_i32 s4, 0x7f
	v_cmp_gt_i16_sdwa s[6:7], v11, s4 src0_sel:BYTE_3 src1_sel:DWORD
	s_mov_b64 s[4:5], 0
                                        ; implicit-def: $sgpr10
	s_and_saveexec_b64 s[8:9], s[6:7]
	s_xor_b64 s[6:7], exec, s[8:9]
	s_cbranch_execnz .LBB31_3133
; %bb.1085:
	s_or_saveexec_b64 s[6:7], s[6:7]
	v_mov_b32_e32 v14, s10
	s_xor_b64 exec, exec, s[6:7]
	s_cbranch_execnz .LBB31_3136
.LBB31_1086:
	s_or_b64 exec, exec, s[6:7]
	s_and_saveexec_b64 s[6:7], s[4:5]
	s_cbranch_execz .LBB31_1088
.LBB31_1087:
	v_bfe_u32 v14, v11, 24, 3
	v_ffbh_u32_e32 v22, v14
	v_min_u32_e32 v22, 32, v22
	v_lshrrev_b32_e32 v20, 27, v11
	v_subrev_u32_e32 v23, 28, v22
	v_and_b32_e32 v15, 0x80000000, v11
	v_and_b32_e32 v20, 15, v20
	v_bfe_u32 v21, v11, 27, 4
	v_lshlrev_b32_sdwa v11, v23, v11 dst_sel:DWORD dst_unused:UNUSED_PAD src0_sel:DWORD src1_sel:BYTE_3
	v_sub_u32_e32 v22, 29, v22
	v_and_b32_e32 v11, 7, v11
	v_cmp_eq_u16_e32 vcc, 0, v20
	v_cndmask_b32_e32 v11, v14, v11, vcc
	v_cndmask_b32_e32 v14, v21, v22, vcc
	v_mov_b32_e32 v20, 0x3b800000
	v_lshlrev_b32_e32 v11, 20, v11
	v_lshl_add_u32 v14, v14, 23, v20
	v_or3_b32 v14, v15, v14, v11
.LBB31_1088:
	s_or_b64 exec, exec, s[6:7]
	s_nop 0
	v_mfma_f32_16x16x4f32 a[0:3], v10, v14, a[0:3]
	s_movk_i32 s4, 0x7f
	v_cmp_gt_i16_sdwa s[6:7], v16, s4 src0_sel:BYTE_0 src1_sel:DWORD
	s_mov_b64 s[4:5], 0
                                        ; implicit-def: $sgpr10
	s_and_saveexec_b64 s[8:9], s[6:7]
	s_xor_b64 s[6:7], exec, s[8:9]
	s_cbranch_execnz .LBB31_3137
; %bb.1089:
	s_or_saveexec_b64 s[6:7], s[6:7]
	v_mov_b32_e32 v10, s10
	s_xor_b64 exec, exec, s[6:7]
	s_cbranch_execnz .LBB31_3140
.LBB31_1090:
	s_or_b64 exec, exec, s[6:7]
	s_and_saveexec_b64 s[6:7], s[4:5]
	s_cbranch_execz .LBB31_1092
.LBB31_1091:
	v_and_b32_e32 v10, 7, v16
	v_ffbh_u32_e32 v14, v10
	v_min_u32_e32 v14, 32, v14
	v_lshrrev_b16_e32 v11, 3, v16
	v_subrev_u32_e32 v15, 28, v14
	v_and_b32_e32 v11, 15, v11
	v_lshlrev_b32_e32 v15, v15, v16
	v_sub_u32_e32 v14, 29, v14
	v_and_b32_e32 v15, 7, v15
	v_cmp_eq_u16_e32 vcc, 0, v11
	v_cndmask_b32_e32 v10, v10, v15, vcc
	v_cndmask_b32_e32 v11, v11, v14, vcc
	v_lshlrev_b32_e32 v14, 24, v16
	v_mov_b32_e32 v15, 0x3b800000
	v_lshlrev_b32_e32 v10, 20, v10
	v_and_b32_e32 v14, 0x80000000, v14
	v_lshl_add_u32 v11, v11, 23, v15
	v_or3_b32 v10, v14, v11, v10
.LBB31_1092:
	s_or_b64 exec, exec, s[6:7]
	s_movk_i32 s4, 0x7f
	v_cmp_gt_i16_sdwa s[6:7], v12, s4 src0_sel:BYTE_0 src1_sel:DWORD
	s_mov_b64 s[4:5], 0
                                        ; implicit-def: $sgpr10
	s_and_saveexec_b64 s[8:9], s[6:7]
	s_xor_b64 s[6:7], exec, s[8:9]
	s_cbranch_execnz .LBB31_3141
; %bb.1093:
	s_or_saveexec_b64 s[6:7], s[6:7]
	v_mov_b32_e32 v11, s10
	s_xor_b64 exec, exec, s[6:7]
	s_cbranch_execnz .LBB31_3144
.LBB31_1094:
	s_or_b64 exec, exec, s[6:7]
	s_and_saveexec_b64 s[6:7], s[4:5]
	s_cbranch_execz .LBB31_1096
.LBB31_1095:
	v_and_b32_e32 v11, 7, v12
	v_ffbh_u32_e32 v15, v11
	v_min_u32_e32 v15, 32, v15
	v_lshrrev_b16_e32 v14, 3, v12
	v_subrev_u32_e32 v20, 28, v15
	v_and_b32_e32 v14, 15, v14
	v_lshlrev_b32_e32 v20, v20, v12
	v_sub_u32_e32 v15, 29, v15
	v_and_b32_e32 v20, 7, v20
	v_cmp_eq_u16_e32 vcc, 0, v14
	v_cndmask_b32_e32 v11, v11, v20, vcc
	v_cndmask_b32_e32 v14, v14, v15, vcc
	v_lshlrev_b32_e32 v15, 24, v12
	v_mov_b32_e32 v20, 0x3b800000
	v_lshlrev_b32_e32 v11, 20, v11
	v_and_b32_e32 v15, 0x80000000, v15
	v_lshl_add_u32 v14, v14, 23, v20
	v_or3_b32 v11, v15, v14, v11
.LBB31_1096:
	s_or_b64 exec, exec, s[6:7]
	s_nop 0
	v_mfma_f32_16x16x4f32 a[0:3], v10, v11, a[0:3]
	v_lshrrev_b32_e32 v11, 8, v16
	s_movk_i32 s4, 0x7f
	v_cmp_gt_i16_sdwa s[6:7], v11, s4 src0_sel:BYTE_0 src1_sel:DWORD
	s_mov_b64 s[4:5], 0
                                        ; implicit-def: $sgpr10
	s_and_saveexec_b64 s[8:9], s[6:7]
	s_xor_b64 s[6:7], exec, s[8:9]
	s_cbranch_execnz .LBB31_3145
; %bb.1097:
	s_or_saveexec_b64 s[6:7], s[6:7]
	v_mov_b32_e32 v10, s10
	s_xor_b64 exec, exec, s[6:7]
	s_cbranch_execnz .LBB31_3148
.LBB31_1098:
	s_or_b64 exec, exec, s[6:7]
	s_and_saveexec_b64 s[6:7], s[4:5]
	s_cbranch_execz .LBB31_1100
.LBB31_1099:
	v_bfe_u32 v10, v16, 8, 3
	v_ffbh_u32_e32 v15, v10
	v_min_u32_e32 v15, 32, v15
	v_lshrrev_b16_e32 v14, 3, v11
	v_subrev_u32_e32 v20, 28, v15
	v_and_b32_e32 v14, 15, v14
	v_lshlrev_b32_e32 v11, v20, v11
	v_sub_u32_e32 v15, 29, v15
	v_and_b32_e32 v11, 7, v11
	v_cmp_eq_u16_e32 vcc, 0, v14
	v_cndmask_b32_e32 v10, v10, v11, vcc
	v_cndmask_b32_e32 v11, v14, v15, vcc
	v_lshlrev_b32_e32 v14, 16, v16
	v_mov_b32_e32 v15, 0x3b800000
	v_lshlrev_b32_e32 v10, 20, v10
	v_and_b32_e32 v14, 0x80000000, v14
	v_lshl_add_u32 v11, v11, 23, v15
	v_or3_b32 v10, v14, v11, v10
.LBB31_1100:
	s_or_b64 exec, exec, s[6:7]
	v_lshrrev_b32_e32 v11, 8, v12
	s_movk_i32 s4, 0x7f
	v_cmp_gt_i16_sdwa s[6:7], v11, s4 src0_sel:BYTE_0 src1_sel:DWORD
	s_mov_b64 s[4:5], 0
                                        ; implicit-def: $sgpr10
	s_and_saveexec_b64 s[8:9], s[6:7]
	s_xor_b64 s[6:7], exec, s[8:9]
	s_cbranch_execnz .LBB31_3149
; %bb.1101:
	s_or_saveexec_b64 s[6:7], s[6:7]
	v_mov_b32_e32 v14, s10
	s_xor_b64 exec, exec, s[6:7]
	s_cbranch_execnz .LBB31_3152
.LBB31_1102:
	s_or_b64 exec, exec, s[6:7]
	s_and_saveexec_b64 s[6:7], s[4:5]
	s_cbranch_execz .LBB31_1104
.LBB31_1103:
	v_bfe_u32 v14, v12, 8, 3
	v_ffbh_u32_e32 v20, v14
	v_min_u32_e32 v20, 32, v20
	v_lshrrev_b16_e32 v15, 3, v11
	v_subrev_u32_e32 v21, 28, v20
	v_and_b32_e32 v15, 15, v15
	v_lshlrev_b32_e32 v11, v21, v11
	v_sub_u32_e32 v20, 29, v20
	v_and_b32_e32 v11, 7, v11
	v_cmp_eq_u16_e32 vcc, 0, v15
	v_cndmask_b32_e32 v11, v14, v11, vcc
	v_cndmask_b32_e32 v14, v15, v20, vcc
	v_lshlrev_b32_e32 v15, 16, v12
	v_mov_b32_e32 v20, 0x3b800000
	v_lshlrev_b32_e32 v11, 20, v11
	v_and_b32_e32 v15, 0x80000000, v15
	v_lshl_add_u32 v14, v14, 23, v20
	v_or3_b32 v14, v15, v14, v11
.LBB31_1104:
	s_or_b64 exec, exec, s[6:7]
	s_nop 0
	v_mfma_f32_16x16x4f32 a[0:3], v10, v14, a[0:3]
	s_movk_i32 s4, 0xff
	v_and_b32_sdwa v11, v16, s4 dst_sel:DWORD dst_unused:UNUSED_PAD src0_sel:WORD_1 src1_sel:DWORD
	s_movk_i32 s4, 0x7f
	v_cmp_lt_i16_e32 vcc, s4, v11
	s_mov_b64 s[4:5], 0
                                        ; implicit-def: $sgpr10
	s_and_saveexec_b64 s[6:7], vcc
	s_xor_b64 s[6:7], exec, s[6:7]
	s_cbranch_execnz .LBB31_3153
; %bb.1105:
	s_or_saveexec_b64 s[6:7], s[6:7]
	v_mov_b32_e32 v10, s10
	s_xor_b64 exec, exec, s[6:7]
	s_cbranch_execnz .LBB31_3156
.LBB31_1106:
	s_or_b64 exec, exec, s[6:7]
	s_and_saveexec_b64 s[6:7], s[4:5]
	s_cbranch_execz .LBB31_1108
.LBB31_1107:
	v_bfe_u32 v10, v16, 16, 3
	v_ffbh_u32_e32 v15, v10
	v_min_u32_e32 v15, 32, v15
	v_lshrrev_b32_e32 v11, 19, v16
	v_subrev_u32_e32 v20, 28, v15
	v_and_b32_e32 v11, 15, v11
	v_lshlrev_b32_sdwa v20, v20, v16 dst_sel:DWORD dst_unused:UNUSED_PAD src0_sel:DWORD src1_sel:WORD_1
	v_bfe_u32 v14, v16, 19, 4
	v_sub_u32_e32 v15, 29, v15
	v_and_b32_e32 v20, 7, v20
	v_cmp_eq_u16_e32 vcc, 0, v11
	v_cndmask_b32_e32 v10, v10, v20, vcc
	v_cndmask_b32_e32 v11, v14, v15, vcc
	v_lshlrev_b32_e32 v14, 8, v16
	v_mov_b32_e32 v15, 0x3b800000
	v_lshlrev_b32_e32 v10, 20, v10
	v_and_b32_e32 v14, 0x80000000, v14
	v_lshl_add_u32 v11, v11, 23, v15
	v_or3_b32 v10, v14, v11, v10
.LBB31_1108:
	s_or_b64 exec, exec, s[6:7]
	s_movk_i32 s4, 0xff
	v_and_b32_sdwa v11, v12, s4 dst_sel:DWORD dst_unused:UNUSED_PAD src0_sel:WORD_1 src1_sel:DWORD
	s_movk_i32 s4, 0x7f
	v_cmp_lt_i16_e32 vcc, s4, v11
	s_mov_b64 s[4:5], 0
                                        ; implicit-def: $sgpr10
	s_and_saveexec_b64 s[6:7], vcc
	s_xor_b64 s[6:7], exec, s[6:7]
	s_cbranch_execnz .LBB31_3157
; %bb.1109:
	s_or_saveexec_b64 s[6:7], s[6:7]
	v_mov_b32_e32 v14, s10
	s_xor_b64 exec, exec, s[6:7]
	s_cbranch_execnz .LBB31_3160
.LBB31_1110:
	s_or_b64 exec, exec, s[6:7]
	s_and_saveexec_b64 s[6:7], s[4:5]
	s_cbranch_execz .LBB31_1112
.LBB31_1111:
	v_bfe_u32 v11, v12, 16, 3
	v_ffbh_u32_e32 v20, v11
	v_min_u32_e32 v20, 32, v20
	v_lshrrev_b32_e32 v14, 19, v12
	v_subrev_u32_e32 v21, 28, v20
	v_and_b32_e32 v14, 15, v14
	v_lshlrev_b32_sdwa v21, v21, v12 dst_sel:DWORD dst_unused:UNUSED_PAD src0_sel:DWORD src1_sel:WORD_1
	v_bfe_u32 v15, v12, 19, 4
	v_sub_u32_e32 v20, 29, v20
	v_and_b32_e32 v21, 7, v21
	v_cmp_eq_u16_e32 vcc, 0, v14
	v_cndmask_b32_e32 v11, v11, v21, vcc
	v_cndmask_b32_e32 v14, v15, v20, vcc
	v_lshlrev_b32_e32 v15, 8, v12
	v_mov_b32_e32 v20, 0x3b800000
	v_lshlrev_b32_e32 v11, 20, v11
	v_and_b32_e32 v15, 0x80000000, v15
	v_lshl_add_u32 v14, v14, 23, v20
	v_or3_b32 v14, v15, v14, v11
.LBB31_1112:
	s_or_b64 exec, exec, s[6:7]
	s_nop 0
	v_mfma_f32_16x16x4f32 a[0:3], v10, v14, a[0:3]
	s_movk_i32 s4, 0x7f
	v_cmp_gt_i16_sdwa s[6:7], v16, s4 src0_sel:BYTE_3 src1_sel:DWORD
	s_mov_b64 s[4:5], 0
                                        ; implicit-def: $sgpr10
	s_and_saveexec_b64 s[8:9], s[6:7]
	s_xor_b64 s[6:7], exec, s[8:9]
	s_cbranch_execnz .LBB31_3161
; %bb.1113:
	s_or_saveexec_b64 s[6:7], s[6:7]
	v_mov_b32_e32 v10, s10
	s_xor_b64 exec, exec, s[6:7]
	s_cbranch_execnz .LBB31_3164
.LBB31_1114:
	s_or_b64 exec, exec, s[6:7]
	s_and_saveexec_b64 s[6:7], s[4:5]
	s_cbranch_execz .LBB31_1116
.LBB31_1115:
	v_bfe_u32 v10, v16, 24, 3
	v_ffbh_u32_e32 v20, v10
	v_min_u32_e32 v20, 32, v20
	v_lshrrev_b32_e32 v14, 27, v16
	v_subrev_u32_e32 v21, 28, v20
	v_and_b32_e32 v11, 0x80000000, v16
	v_and_b32_e32 v14, 15, v14
	v_bfe_u32 v15, v16, 27, 4
	v_lshlrev_b32_sdwa v16, v21, v16 dst_sel:DWORD dst_unused:UNUSED_PAD src0_sel:DWORD src1_sel:BYTE_3
	v_sub_u32_e32 v20, 29, v20
	v_and_b32_e32 v16, 7, v16
	v_cmp_eq_u16_e32 vcc, 0, v14
	v_cndmask_b32_e32 v10, v10, v16, vcc
	v_cndmask_b32_e32 v14, v15, v20, vcc
	v_mov_b32_e32 v15, 0x3b800000
	v_lshlrev_b32_e32 v10, 20, v10
	v_lshl_add_u32 v14, v14, 23, v15
	v_or3_b32 v10, v11, v14, v10
.LBB31_1116:
	s_or_b64 exec, exec, s[6:7]
	s_movk_i32 s4, 0x7f
	v_cmp_gt_i16_sdwa s[6:7], v12, s4 src0_sel:BYTE_3 src1_sel:DWORD
	s_mov_b64 s[4:5], 0
                                        ; implicit-def: $sgpr10
	s_and_saveexec_b64 s[8:9], s[6:7]
	s_xor_b64 s[6:7], exec, s[8:9]
	s_cbranch_execnz .LBB31_3165
; %bb.1117:
	s_or_saveexec_b64 s[6:7], s[6:7]
	v_mov_b32_e32 v11, s10
	s_xor_b64 exec, exec, s[6:7]
	s_cbranch_execnz .LBB31_3168
.LBB31_1118:
	s_or_b64 exec, exec, s[6:7]
	s_and_saveexec_b64 s[6:7], s[4:5]
	s_cbranch_execz .LBB31_1120
.LBB31_1119:
	v_bfe_u32 v11, v12, 24, 3
	v_ffbh_u32_e32 v20, v11
	v_min_u32_e32 v20, 32, v20
	v_lshrrev_b32_e32 v15, 27, v12
	v_subrev_u32_e32 v21, 28, v20
	v_and_b32_e32 v14, 0x80000000, v12
	v_and_b32_e32 v15, 15, v15
	v_bfe_u32 v16, v12, 27, 4
	v_lshlrev_b32_sdwa v12, v21, v12 dst_sel:DWORD dst_unused:UNUSED_PAD src0_sel:DWORD src1_sel:BYTE_3
	v_sub_u32_e32 v20, 29, v20
	v_and_b32_e32 v12, 7, v12
	v_cmp_eq_u16_e32 vcc, 0, v15
	v_cndmask_b32_e32 v11, v11, v12, vcc
	v_cndmask_b32_e32 v12, v16, v20, vcc
	v_mov_b32_e32 v15, 0x3b800000
	v_lshlrev_b32_e32 v11, 20, v11
	v_lshl_add_u32 v12, v12, 23, v15
	v_or3_b32 v11, v14, v12, v11
.LBB31_1120:
	s_or_b64 exec, exec, s[6:7]
	s_nop 0
	v_mfma_f32_16x16x4f32 a[0:3], v10, v11, a[0:3]
	s_movk_i32 s4, 0x7f
	v_cmp_gt_i16_sdwa s[6:7], v17, s4 src0_sel:BYTE_0 src1_sel:DWORD
	s_mov_b64 s[4:5], 0
                                        ; implicit-def: $sgpr10
	s_and_saveexec_b64 s[8:9], s[6:7]
	s_xor_b64 s[6:7], exec, s[8:9]
	s_cbranch_execnz .LBB31_3169
; %bb.1121:
	s_or_saveexec_b64 s[6:7], s[6:7]
	v_mov_b32_e32 v10, s10
	s_xor_b64 exec, exec, s[6:7]
	s_cbranch_execnz .LBB31_3172
.LBB31_1122:
	s_or_b64 exec, exec, s[6:7]
	s_and_saveexec_b64 s[6:7], s[4:5]
	s_cbranch_execz .LBB31_1124
.LBB31_1123:
	v_and_b32_e32 v10, 7, v17
	v_ffbh_u32_e32 v12, v10
	v_min_u32_e32 v12, 32, v12
	v_lshrrev_b16_e32 v11, 3, v17
	v_subrev_u32_e32 v14, 28, v12
	v_and_b32_e32 v11, 15, v11
	v_lshlrev_b32_e32 v14, v14, v17
	v_sub_u32_e32 v12, 29, v12
	v_and_b32_e32 v14, 7, v14
	v_cmp_eq_u16_e32 vcc, 0, v11
	v_cndmask_b32_e32 v10, v10, v14, vcc
	v_cndmask_b32_e32 v11, v11, v12, vcc
	v_lshlrev_b32_e32 v12, 24, v17
	v_mov_b32_e32 v14, 0x3b800000
	v_lshlrev_b32_e32 v10, 20, v10
	v_and_b32_e32 v12, 0x80000000, v12
	v_lshl_add_u32 v11, v11, 23, v14
	v_or3_b32 v10, v12, v11, v10
.LBB31_1124:
	s_or_b64 exec, exec, s[6:7]
	s_movk_i32 s4, 0x7f
	v_cmp_gt_i16_sdwa s[6:7], v13, s4 src0_sel:BYTE_0 src1_sel:DWORD
	s_mov_b64 s[4:5], 0
                                        ; implicit-def: $sgpr10
	s_and_saveexec_b64 s[8:9], s[6:7]
	s_xor_b64 s[6:7], exec, s[8:9]
	s_cbranch_execnz .LBB31_3173
; %bb.1125:
	s_or_saveexec_b64 s[6:7], s[6:7]
	v_mov_b32_e32 v11, s10
	s_xor_b64 exec, exec, s[6:7]
	s_cbranch_execnz .LBB31_3176
.LBB31_1126:
	s_or_b64 exec, exec, s[6:7]
	s_and_saveexec_b64 s[6:7], s[4:5]
	s_cbranch_execz .LBB31_1128
.LBB31_1127:
	v_and_b32_e32 v11, 7, v13
	v_ffbh_u32_e32 v14, v11
	v_min_u32_e32 v14, 32, v14
	v_lshrrev_b16_e32 v12, 3, v13
	v_subrev_u32_e32 v15, 28, v14
	v_and_b32_e32 v12, 15, v12
	v_lshlrev_b32_e32 v15, v15, v13
	v_sub_u32_e32 v14, 29, v14
	v_and_b32_e32 v15, 7, v15
	v_cmp_eq_u16_e32 vcc, 0, v12
	v_cndmask_b32_e32 v11, v11, v15, vcc
	v_cndmask_b32_e32 v12, v12, v14, vcc
	v_lshlrev_b32_e32 v14, 24, v13
	v_mov_b32_e32 v15, 0x3b800000
	v_lshlrev_b32_e32 v11, 20, v11
	v_and_b32_e32 v14, 0x80000000, v14
	v_lshl_add_u32 v12, v12, 23, v15
	v_or3_b32 v11, v14, v12, v11
.LBB31_1128:
	s_or_b64 exec, exec, s[6:7]
	s_nop 0
	v_mfma_f32_16x16x4f32 a[0:3], v10, v11, a[0:3]
	v_lshrrev_b32_e32 v11, 8, v17
	s_movk_i32 s4, 0x7f
	v_cmp_gt_i16_sdwa s[6:7], v11, s4 src0_sel:BYTE_0 src1_sel:DWORD
	s_mov_b64 s[4:5], 0
                                        ; implicit-def: $sgpr10
	s_and_saveexec_b64 s[8:9], s[6:7]
	s_xor_b64 s[6:7], exec, s[8:9]
	s_cbranch_execnz .LBB31_3177
; %bb.1129:
	s_or_saveexec_b64 s[6:7], s[6:7]
	v_mov_b32_e32 v10, s10
	s_xor_b64 exec, exec, s[6:7]
	s_cbranch_execnz .LBB31_3180
.LBB31_1130:
	s_or_b64 exec, exec, s[6:7]
	s_and_saveexec_b64 s[6:7], s[4:5]
	s_cbranch_execz .LBB31_1132
.LBB31_1131:
	v_bfe_u32 v10, v17, 8, 3
	v_ffbh_u32_e32 v14, v10
	v_min_u32_e32 v14, 32, v14
	v_lshrrev_b16_e32 v12, 3, v11
	v_subrev_u32_e32 v15, 28, v14
	v_and_b32_e32 v12, 15, v12
	v_lshlrev_b32_e32 v11, v15, v11
	v_sub_u32_e32 v14, 29, v14
	v_and_b32_e32 v11, 7, v11
	v_cmp_eq_u16_e32 vcc, 0, v12
	v_cndmask_b32_e32 v10, v10, v11, vcc
	v_cndmask_b32_e32 v11, v12, v14, vcc
	v_lshlrev_b32_e32 v12, 16, v17
	v_mov_b32_e32 v14, 0x3b800000
	v_lshlrev_b32_e32 v10, 20, v10
	v_and_b32_e32 v12, 0x80000000, v12
	v_lshl_add_u32 v11, v11, 23, v14
	v_or3_b32 v10, v12, v11, v10
.LBB31_1132:
	s_or_b64 exec, exec, s[6:7]
	v_lshrrev_b32_e32 v11, 8, v13
	s_movk_i32 s4, 0x7f
	v_cmp_gt_i16_sdwa s[6:7], v11, s4 src0_sel:BYTE_0 src1_sel:DWORD
	s_mov_b64 s[4:5], 0
                                        ; implicit-def: $sgpr10
	s_and_saveexec_b64 s[8:9], s[6:7]
	s_xor_b64 s[6:7], exec, s[8:9]
	s_cbranch_execnz .LBB31_3181
; %bb.1133:
	s_or_saveexec_b64 s[6:7], s[6:7]
	v_mov_b32_e32 v12, s10
	s_xor_b64 exec, exec, s[6:7]
	s_cbranch_execnz .LBB31_3184
.LBB31_1134:
	s_or_b64 exec, exec, s[6:7]
	s_and_saveexec_b64 s[6:7], s[4:5]
	s_cbranch_execz .LBB31_1136
.LBB31_1135:
	v_bfe_u32 v12, v13, 8, 3
	v_ffbh_u32_e32 v15, v12
	v_min_u32_e32 v15, 32, v15
	v_lshrrev_b16_e32 v14, 3, v11
	v_subrev_u32_e32 v16, 28, v15
	v_and_b32_e32 v14, 15, v14
	v_lshlrev_b32_e32 v11, v16, v11
	v_sub_u32_e32 v15, 29, v15
	v_and_b32_e32 v11, 7, v11
	v_cmp_eq_u16_e32 vcc, 0, v14
	v_cndmask_b32_e32 v11, v12, v11, vcc
	v_cndmask_b32_e32 v12, v14, v15, vcc
	v_lshlrev_b32_e32 v14, 16, v13
	v_mov_b32_e32 v15, 0x3b800000
	v_lshlrev_b32_e32 v11, 20, v11
	v_and_b32_e32 v14, 0x80000000, v14
	v_lshl_add_u32 v12, v12, 23, v15
	v_or3_b32 v12, v14, v12, v11
.LBB31_1136:
	s_or_b64 exec, exec, s[6:7]
	s_nop 0
	v_mfma_f32_16x16x4f32 a[0:3], v10, v12, a[0:3]
	s_movk_i32 s4, 0xff
	v_and_b32_sdwa v11, v17, s4 dst_sel:DWORD dst_unused:UNUSED_PAD src0_sel:WORD_1 src1_sel:DWORD
	s_movk_i32 s4, 0x7f
	v_cmp_lt_i16_e32 vcc, s4, v11
	s_mov_b64 s[4:5], 0
                                        ; implicit-def: $sgpr10
	s_and_saveexec_b64 s[6:7], vcc
	s_xor_b64 s[6:7], exec, s[6:7]
	s_cbranch_execnz .LBB31_3185
; %bb.1137:
	s_or_saveexec_b64 s[6:7], s[6:7]
	v_mov_b32_e32 v10, s10
	s_xor_b64 exec, exec, s[6:7]
	s_cbranch_execnz .LBB31_3188
.LBB31_1138:
	s_or_b64 exec, exec, s[6:7]
	s_and_saveexec_b64 s[6:7], s[4:5]
	s_cbranch_execz .LBB31_1140
.LBB31_1139:
	v_bfe_u32 v10, v17, 16, 3
	v_ffbh_u32_e32 v14, v10
	v_min_u32_e32 v14, 32, v14
	v_lshrrev_b32_e32 v11, 19, v17
	v_subrev_u32_e32 v15, 28, v14
	v_and_b32_e32 v11, 15, v11
	v_lshlrev_b32_sdwa v15, v15, v17 dst_sel:DWORD dst_unused:UNUSED_PAD src0_sel:DWORD src1_sel:WORD_1
	v_bfe_u32 v12, v17, 19, 4
	v_sub_u32_e32 v14, 29, v14
	v_and_b32_e32 v15, 7, v15
	v_cmp_eq_u16_e32 vcc, 0, v11
	v_cndmask_b32_e32 v10, v10, v15, vcc
	v_cndmask_b32_e32 v11, v12, v14, vcc
	v_lshlrev_b32_e32 v12, 8, v17
	v_mov_b32_e32 v14, 0x3b800000
	v_lshlrev_b32_e32 v10, 20, v10
	v_and_b32_e32 v12, 0x80000000, v12
	v_lshl_add_u32 v11, v11, 23, v14
	v_or3_b32 v10, v12, v11, v10
.LBB31_1140:
	s_or_b64 exec, exec, s[6:7]
	s_movk_i32 s4, 0xff
	v_and_b32_sdwa v11, v13, s4 dst_sel:DWORD dst_unused:UNUSED_PAD src0_sel:WORD_1 src1_sel:DWORD
	s_movk_i32 s4, 0x7f
	v_cmp_lt_i16_e32 vcc, s4, v11
	s_mov_b64 s[4:5], 0
                                        ; implicit-def: $sgpr10
	s_and_saveexec_b64 s[6:7], vcc
	s_xor_b64 s[6:7], exec, s[6:7]
	s_cbranch_execnz .LBB31_3189
; %bb.1141:
	s_or_saveexec_b64 s[6:7], s[6:7]
	v_mov_b32_e32 v12, s10
	s_xor_b64 exec, exec, s[6:7]
	s_cbranch_execnz .LBB31_3192
.LBB31_1142:
	s_or_b64 exec, exec, s[6:7]
	s_and_saveexec_b64 s[6:7], s[4:5]
	s_cbranch_execz .LBB31_1144
.LBB31_1143:
	v_bfe_u32 v11, v13, 16, 3
	v_ffbh_u32_e32 v15, v11
	v_min_u32_e32 v15, 32, v15
	v_lshrrev_b32_e32 v12, 19, v13
	v_subrev_u32_e32 v16, 28, v15
	v_and_b32_e32 v12, 15, v12
	v_lshlrev_b32_sdwa v16, v16, v13 dst_sel:DWORD dst_unused:UNUSED_PAD src0_sel:DWORD src1_sel:WORD_1
	v_bfe_u32 v14, v13, 19, 4
	v_sub_u32_e32 v15, 29, v15
	v_and_b32_e32 v16, 7, v16
	v_cmp_eq_u16_e32 vcc, 0, v12
	v_cndmask_b32_e32 v11, v11, v16, vcc
	v_cndmask_b32_e32 v12, v14, v15, vcc
	v_lshlrev_b32_e32 v14, 8, v13
	v_mov_b32_e32 v15, 0x3b800000
	v_lshlrev_b32_e32 v11, 20, v11
	v_and_b32_e32 v14, 0x80000000, v14
	v_lshl_add_u32 v12, v12, 23, v15
	v_or3_b32 v12, v14, v12, v11
.LBB31_1144:
	s_or_b64 exec, exec, s[6:7]
	s_nop 0
	v_mfma_f32_16x16x4f32 a[0:3], v10, v12, a[0:3]
	s_movk_i32 s4, 0x7f
	v_cmp_gt_i16_sdwa s[6:7], v17, s4 src0_sel:BYTE_3 src1_sel:DWORD
	s_mov_b64 s[4:5], 0
                                        ; implicit-def: $sgpr10
	s_and_saveexec_b64 s[8:9], s[6:7]
	s_xor_b64 s[6:7], exec, s[8:9]
	s_cbranch_execnz .LBB31_3193
; %bb.1145:
	s_or_saveexec_b64 s[6:7], s[6:7]
	v_mov_b32_e32 v10, s10
	s_xor_b64 exec, exec, s[6:7]
	s_cbranch_execnz .LBB31_3196
.LBB31_1146:
	s_or_b64 exec, exec, s[6:7]
	s_and_saveexec_b64 s[6:7], s[4:5]
	s_cbranch_execz .LBB31_1148
.LBB31_1147:
	v_bfe_u32 v10, v17, 24, 3
	v_ffbh_u32_e32 v15, v10
	v_min_u32_e32 v15, 32, v15
	v_lshrrev_b32_e32 v12, 27, v17
	v_subrev_u32_e32 v16, 28, v15
	v_and_b32_e32 v12, 15, v12
	v_lshlrev_b32_sdwa v16, v16, v17 dst_sel:DWORD dst_unused:UNUSED_PAD src0_sel:DWORD src1_sel:BYTE_3
	v_bfe_u32 v14, v17, 27, 4
	v_sub_u32_e32 v15, 29, v15
	v_and_b32_e32 v16, 7, v16
	v_cmp_eq_u16_e32 vcc, 0, v12
	v_cndmask_b32_e32 v10, v10, v16, vcc
	v_cndmask_b32_e32 v12, v14, v15, vcc
	v_mov_b32_e32 v14, 0x3b800000
	v_and_b32_e32 v11, 0x80000000, v17
	v_lshlrev_b32_e32 v10, 20, v10
	v_lshl_add_u32 v12, v12, 23, v14
	v_or3_b32 v10, v11, v12, v10
.LBB31_1148:
	s_or_b64 exec, exec, s[6:7]
	s_movk_i32 s4, 0x7f
	v_cmp_gt_i16_sdwa s[6:7], v13, s4 src0_sel:BYTE_3 src1_sel:DWORD
	s_mov_b64 s[4:5], 0
                                        ; implicit-def: $sgpr10
	s_and_saveexec_b64 s[8:9], s[6:7]
	s_xor_b64 s[6:7], exec, s[8:9]
	s_cbranch_execnz .LBB31_3197
; %bb.1149:
	s_or_saveexec_b64 s[6:7], s[6:7]
	v_mov_b32_e32 v11, s10
	s_xor_b64 exec, exec, s[6:7]
	s_cbranch_execnz .LBB31_3200
.LBB31_1150:
	s_or_b64 exec, exec, s[6:7]
	s_and_saveexec_b64 s[6:7], s[4:5]
	s_cbranch_execz .LBB31_1152
.LBB31_1151:
	v_bfe_u32 v11, v13, 24, 3
	v_ffbh_u32_e32 v16, v11
	v_min_u32_e32 v16, 32, v16
	v_lshrrev_b32_e32 v14, 27, v13
	v_subrev_u32_e32 v17, 28, v16
	v_and_b32_e32 v12, 0x80000000, v13
	v_and_b32_e32 v14, 15, v14
	v_bfe_u32 v15, v13, 27, 4
	v_lshlrev_b32_sdwa v13, v17, v13 dst_sel:DWORD dst_unused:UNUSED_PAD src0_sel:DWORD src1_sel:BYTE_3
	v_sub_u32_e32 v16, 29, v16
	v_and_b32_e32 v13, 7, v13
	v_cmp_eq_u16_e32 vcc, 0, v14
	v_cndmask_b32_e32 v11, v11, v13, vcc
	v_cndmask_b32_e32 v13, v15, v16, vcc
	v_mov_b32_e32 v14, 0x3b800000
	v_lshlrev_b32_e32 v11, 20, v11
	v_lshl_add_u32 v13, v13, 23, v14
	v_or3_b32 v11, v12, v13, v11
.LBB31_1152:
	s_or_b64 exec, exec, s[6:7]
	s_nop 0
	v_mfma_f32_16x16x4f32 a[0:3], v10, v11, a[0:3]
	s_movk_i32 s4, 0x7f
	v_cmp_gt_i16_sdwa s[6:7], v6, s4 src0_sel:BYTE_0 src1_sel:DWORD
	s_mov_b64 s[4:5], 0
                                        ; implicit-def: $sgpr10
	s_and_saveexec_b64 s[8:9], s[6:7]
	s_xor_b64 s[6:7], exec, s[8:9]
	s_cbranch_execnz .LBB31_3201
; %bb.1153:
	s_or_saveexec_b64 s[6:7], s[6:7]
	v_mov_b32_e32 v10, s10
	s_xor_b64 exec, exec, s[6:7]
	s_cbranch_execnz .LBB31_3204
.LBB31_1154:
	s_or_b64 exec, exec, s[6:7]
	s_and_saveexec_b64 s[6:7], s[4:5]
	s_cbranch_execz .LBB31_1156
.LBB31_1155:
	v_and_b32_e32 v10, 7, v6
	v_ffbh_u32_e32 v12, v10
	v_min_u32_e32 v12, 32, v12
	v_lshrrev_b16_e32 v11, 3, v6
	v_subrev_u32_e32 v13, 28, v12
	v_and_b32_e32 v11, 15, v11
	v_lshlrev_b32_e32 v13, v13, v6
	v_sub_u32_e32 v12, 29, v12
	v_and_b32_e32 v13, 7, v13
	v_cmp_eq_u16_e32 vcc, 0, v11
	v_cndmask_b32_e32 v10, v10, v13, vcc
	v_cndmask_b32_e32 v11, v11, v12, vcc
	v_lshlrev_b32_e32 v12, 24, v6
	v_mov_b32_e32 v13, 0x3b800000
	v_lshlrev_b32_e32 v10, 20, v10
	v_and_b32_e32 v12, 0x80000000, v12
	v_lshl_add_u32 v11, v11, 23, v13
	v_or3_b32 v10, v12, v11, v10
.LBB31_1156:
	s_or_b64 exec, exec, s[6:7]
	s_movk_i32 s4, 0x7f
	v_cmp_gt_i16_sdwa s[6:7], v2, s4 src0_sel:BYTE_0 src1_sel:DWORD
	s_mov_b64 s[4:5], 0
                                        ; implicit-def: $sgpr10
	s_and_saveexec_b64 s[8:9], s[6:7]
	s_xor_b64 s[6:7], exec, s[8:9]
	s_cbranch_execnz .LBB31_3205
; %bb.1157:
	s_or_saveexec_b64 s[6:7], s[6:7]
	v_mov_b32_e32 v11, s10
	s_xor_b64 exec, exec, s[6:7]
	s_cbranch_execnz .LBB31_3208
.LBB31_1158:
	s_or_b64 exec, exec, s[6:7]
	s_and_saveexec_b64 s[6:7], s[4:5]
	s_cbranch_execz .LBB31_1160
.LBB31_1159:
	v_and_b32_e32 v11, 7, v2
	v_ffbh_u32_e32 v13, v11
	v_min_u32_e32 v13, 32, v13
	v_lshrrev_b16_e32 v12, 3, v2
	v_subrev_u32_e32 v14, 28, v13
	v_and_b32_e32 v12, 15, v12
	v_lshlrev_b32_e32 v14, v14, v2
	v_sub_u32_e32 v13, 29, v13
	v_and_b32_e32 v14, 7, v14
	v_cmp_eq_u16_e32 vcc, 0, v12
	v_cndmask_b32_e32 v11, v11, v14, vcc
	v_cndmask_b32_e32 v12, v12, v13, vcc
	v_lshlrev_b32_e32 v13, 24, v2
	v_mov_b32_e32 v14, 0x3b800000
	v_lshlrev_b32_e32 v11, 20, v11
	v_and_b32_e32 v13, 0x80000000, v13
	v_lshl_add_u32 v12, v12, 23, v14
	v_or3_b32 v11, v13, v12, v11
.LBB31_1160:
	s_or_b64 exec, exec, s[6:7]
	s_nop 0
	v_mfma_f32_16x16x4f32 a[0:3], v10, v11, a[0:3]
	v_lshrrev_b32_e32 v11, 8, v6
	s_movk_i32 s4, 0x7f
	v_cmp_gt_i16_sdwa s[6:7], v11, s4 src0_sel:BYTE_0 src1_sel:DWORD
	s_mov_b64 s[4:5], 0
                                        ; implicit-def: $sgpr10
	s_and_saveexec_b64 s[8:9], s[6:7]
	s_xor_b64 s[6:7], exec, s[8:9]
	s_cbranch_execnz .LBB31_3209
; %bb.1161:
	s_or_saveexec_b64 s[6:7], s[6:7]
	v_mov_b32_e32 v10, s10
	s_xor_b64 exec, exec, s[6:7]
	s_cbranch_execnz .LBB31_3212
.LBB31_1162:
	s_or_b64 exec, exec, s[6:7]
	s_and_saveexec_b64 s[6:7], s[4:5]
	s_cbranch_execz .LBB31_1164
.LBB31_1163:
	v_bfe_u32 v10, v6, 8, 3
	v_ffbh_u32_e32 v13, v10
	v_min_u32_e32 v13, 32, v13
	v_lshrrev_b16_e32 v12, 3, v11
	v_subrev_u32_e32 v14, 28, v13
	v_and_b32_e32 v12, 15, v12
	v_lshlrev_b32_e32 v11, v14, v11
	v_sub_u32_e32 v13, 29, v13
	v_and_b32_e32 v11, 7, v11
	v_cmp_eq_u16_e32 vcc, 0, v12
	v_cndmask_b32_e32 v10, v10, v11, vcc
	v_cndmask_b32_e32 v11, v12, v13, vcc
	v_lshlrev_b32_e32 v12, 16, v6
	v_mov_b32_e32 v13, 0x3b800000
	v_lshlrev_b32_e32 v10, 20, v10
	v_and_b32_e32 v12, 0x80000000, v12
	v_lshl_add_u32 v11, v11, 23, v13
	v_or3_b32 v10, v12, v11, v10
.LBB31_1164:
	s_or_b64 exec, exec, s[6:7]
	v_lshrrev_b32_e32 v11, 8, v2
	s_movk_i32 s4, 0x7f
	v_cmp_gt_i16_sdwa s[6:7], v11, s4 src0_sel:BYTE_0 src1_sel:DWORD
	s_mov_b64 s[4:5], 0
                                        ; implicit-def: $sgpr10
	s_and_saveexec_b64 s[8:9], s[6:7]
	s_xor_b64 s[6:7], exec, s[8:9]
	s_cbranch_execnz .LBB31_3213
; %bb.1165:
	s_or_saveexec_b64 s[6:7], s[6:7]
	v_mov_b32_e32 v12, s10
	s_xor_b64 exec, exec, s[6:7]
	s_cbranch_execnz .LBB31_3216
.LBB31_1166:
	s_or_b64 exec, exec, s[6:7]
	s_and_saveexec_b64 s[6:7], s[4:5]
	s_cbranch_execz .LBB31_1168
.LBB31_1167:
	v_bfe_u32 v12, v2, 8, 3
	v_ffbh_u32_e32 v14, v12
	v_min_u32_e32 v14, 32, v14
	v_lshrrev_b16_e32 v13, 3, v11
	v_subrev_u32_e32 v15, 28, v14
	v_and_b32_e32 v13, 15, v13
	v_lshlrev_b32_e32 v11, v15, v11
	v_sub_u32_e32 v14, 29, v14
	v_and_b32_e32 v11, 7, v11
	v_cmp_eq_u16_e32 vcc, 0, v13
	v_cndmask_b32_e32 v11, v12, v11, vcc
	v_cndmask_b32_e32 v12, v13, v14, vcc
	v_lshlrev_b32_e32 v13, 16, v2
	v_mov_b32_e32 v14, 0x3b800000
	v_lshlrev_b32_e32 v11, 20, v11
	v_and_b32_e32 v13, 0x80000000, v13
	v_lshl_add_u32 v12, v12, 23, v14
	v_or3_b32 v12, v13, v12, v11
.LBB31_1168:
	s_or_b64 exec, exec, s[6:7]
	s_nop 0
	v_mfma_f32_16x16x4f32 a[0:3], v10, v12, a[0:3]
	s_movk_i32 s4, 0xff
	v_and_b32_sdwa v11, v6, s4 dst_sel:DWORD dst_unused:UNUSED_PAD src0_sel:WORD_1 src1_sel:DWORD
	s_movk_i32 s4, 0x7f
	v_cmp_lt_i16_e32 vcc, s4, v11
	s_mov_b64 s[4:5], 0
                                        ; implicit-def: $sgpr10
	s_and_saveexec_b64 s[6:7], vcc
	s_xor_b64 s[6:7], exec, s[6:7]
	s_cbranch_execnz .LBB31_3217
; %bb.1169:
	s_or_saveexec_b64 s[6:7], s[6:7]
	v_mov_b32_e32 v10, s10
	s_xor_b64 exec, exec, s[6:7]
	s_cbranch_execnz .LBB31_3220
.LBB31_1170:
	s_or_b64 exec, exec, s[6:7]
	s_and_saveexec_b64 s[6:7], s[4:5]
	s_cbranch_execz .LBB31_1172
.LBB31_1171:
	v_bfe_u32 v10, v6, 16, 3
	v_ffbh_u32_e32 v13, v10
	v_min_u32_e32 v13, 32, v13
	v_lshrrev_b32_e32 v11, 19, v6
	v_subrev_u32_e32 v14, 28, v13
	v_and_b32_e32 v11, 15, v11
	v_lshlrev_b32_sdwa v14, v14, v6 dst_sel:DWORD dst_unused:UNUSED_PAD src0_sel:DWORD src1_sel:WORD_1
	v_bfe_u32 v12, v6, 19, 4
	v_sub_u32_e32 v13, 29, v13
	v_and_b32_e32 v14, 7, v14
	v_cmp_eq_u16_e32 vcc, 0, v11
	v_cndmask_b32_e32 v10, v10, v14, vcc
	v_cndmask_b32_e32 v11, v12, v13, vcc
	v_lshlrev_b32_e32 v12, 8, v6
	v_mov_b32_e32 v13, 0x3b800000
	v_lshlrev_b32_e32 v10, 20, v10
	v_and_b32_e32 v12, 0x80000000, v12
	v_lshl_add_u32 v11, v11, 23, v13
	v_or3_b32 v10, v12, v11, v10
.LBB31_1172:
	s_or_b64 exec, exec, s[6:7]
	s_movk_i32 s4, 0xff
	v_and_b32_sdwa v11, v2, s4 dst_sel:DWORD dst_unused:UNUSED_PAD src0_sel:WORD_1 src1_sel:DWORD
	s_movk_i32 s4, 0x7f
	v_cmp_lt_i16_e32 vcc, s4, v11
	s_mov_b64 s[4:5], 0
                                        ; implicit-def: $sgpr10
	s_and_saveexec_b64 s[6:7], vcc
	s_xor_b64 s[6:7], exec, s[6:7]
	s_cbranch_execnz .LBB31_3221
; %bb.1173:
	s_or_saveexec_b64 s[6:7], s[6:7]
	v_mov_b32_e32 v12, s10
	s_xor_b64 exec, exec, s[6:7]
	s_cbranch_execnz .LBB31_3224
.LBB31_1174:
	s_or_b64 exec, exec, s[6:7]
	s_and_saveexec_b64 s[6:7], s[4:5]
	s_cbranch_execz .LBB31_1176
.LBB31_1175:
	v_bfe_u32 v11, v2, 16, 3
	v_ffbh_u32_e32 v14, v11
	v_min_u32_e32 v14, 32, v14
	v_lshrrev_b32_e32 v12, 19, v2
	v_subrev_u32_e32 v15, 28, v14
	v_and_b32_e32 v12, 15, v12
	v_lshlrev_b32_sdwa v15, v15, v2 dst_sel:DWORD dst_unused:UNUSED_PAD src0_sel:DWORD src1_sel:WORD_1
	v_bfe_u32 v13, v2, 19, 4
	v_sub_u32_e32 v14, 29, v14
	v_and_b32_e32 v15, 7, v15
	v_cmp_eq_u16_e32 vcc, 0, v12
	v_cndmask_b32_e32 v11, v11, v15, vcc
	v_cndmask_b32_e32 v12, v13, v14, vcc
	v_lshlrev_b32_e32 v13, 8, v2
	v_mov_b32_e32 v14, 0x3b800000
	v_lshlrev_b32_e32 v11, 20, v11
	v_and_b32_e32 v13, 0x80000000, v13
	v_lshl_add_u32 v12, v12, 23, v14
	v_or3_b32 v12, v13, v12, v11
.LBB31_1176:
	s_or_b64 exec, exec, s[6:7]
	s_nop 0
	v_mfma_f32_16x16x4f32 a[0:3], v10, v12, a[0:3]
	s_movk_i32 s4, 0x7f
	v_cmp_gt_i16_sdwa s[6:7], v6, s4 src0_sel:BYTE_3 src1_sel:DWORD
	s_mov_b64 s[4:5], 0
                                        ; implicit-def: $sgpr10
	s_and_saveexec_b64 s[8:9], s[6:7]
	s_xor_b64 s[6:7], exec, s[8:9]
	s_cbranch_execnz .LBB31_3225
; %bb.1177:
	s_or_saveexec_b64 s[6:7], s[6:7]
	v_mov_b32_e32 v10, s10
	s_xor_b64 exec, exec, s[6:7]
	s_cbranch_execnz .LBB31_3228
.LBB31_1178:
	s_or_b64 exec, exec, s[6:7]
	s_and_saveexec_b64 s[6:7], s[4:5]
	s_cbranch_execz .LBB31_1180
.LBB31_1179:
	v_bfe_u32 v10, v6, 24, 3
	v_ffbh_u32_e32 v14, v10
	v_min_u32_e32 v14, 32, v14
	v_lshrrev_b32_e32 v12, 27, v6
	v_subrev_u32_e32 v15, 28, v14
	v_and_b32_e32 v11, 0x80000000, v6
	v_and_b32_e32 v12, 15, v12
	v_bfe_u32 v13, v6, 27, 4
	v_lshlrev_b32_sdwa v6, v15, v6 dst_sel:DWORD dst_unused:UNUSED_PAD src0_sel:DWORD src1_sel:BYTE_3
	v_sub_u32_e32 v14, 29, v14
	v_and_b32_e32 v6, 7, v6
	v_cmp_eq_u16_e32 vcc, 0, v12
	v_cndmask_b32_e32 v6, v10, v6, vcc
	v_cndmask_b32_e32 v10, v13, v14, vcc
	v_mov_b32_e32 v12, 0x3b800000
	v_lshlrev_b32_e32 v6, 20, v6
	v_lshl_add_u32 v10, v10, 23, v12
	v_or3_b32 v10, v11, v10, v6
.LBB31_1180:
	s_or_b64 exec, exec, s[6:7]
	s_movk_i32 s4, 0x7f
	v_cmp_gt_i16_sdwa s[6:7], v2, s4 src0_sel:BYTE_3 src1_sel:DWORD
	s_mov_b64 s[4:5], 0
                                        ; implicit-def: $sgpr10
	s_and_saveexec_b64 s[8:9], s[6:7]
	s_xor_b64 s[6:7], exec, s[8:9]
	s_cbranch_execnz .LBB31_3229
; %bb.1181:
	s_or_saveexec_b64 s[6:7], s[6:7]
	v_mov_b32_e32 v6, s10
	s_xor_b64 exec, exec, s[6:7]
	s_cbranch_execnz .LBB31_3232
.LBB31_1182:
	s_or_b64 exec, exec, s[6:7]
	s_and_saveexec_b64 s[6:7], s[4:5]
	s_cbranch_execz .LBB31_1184
.LBB31_1183:
	v_bfe_u32 v6, v2, 24, 3
	v_ffbh_u32_e32 v14, v6
	v_min_u32_e32 v14, 32, v14
	v_lshrrev_b32_e32 v12, 27, v2
	v_subrev_u32_e32 v15, 28, v14
	v_and_b32_e32 v11, 0x80000000, v2
	v_and_b32_e32 v12, 15, v12
	v_bfe_u32 v13, v2, 27, 4
	v_lshlrev_b32_sdwa v2, v15, v2 dst_sel:DWORD dst_unused:UNUSED_PAD src0_sel:DWORD src1_sel:BYTE_3
	v_sub_u32_e32 v14, 29, v14
	v_and_b32_e32 v2, 7, v2
	v_cmp_eq_u16_e32 vcc, 0, v12
	v_cndmask_b32_e32 v2, v6, v2, vcc
	v_cndmask_b32_e32 v6, v13, v14, vcc
	v_mov_b32_e32 v12, 0x3b800000
	v_lshlrev_b32_e32 v2, 20, v2
	v_lshl_add_u32 v6, v6, 23, v12
	v_or3_b32 v6, v11, v6, v2
.LBB31_1184:
	s_or_b64 exec, exec, s[6:7]
	s_nop 0
	v_mfma_f32_16x16x4f32 a[0:3], v10, v6, a[0:3]
	s_movk_i32 s4, 0x7f
	v_cmp_gt_i16_sdwa s[6:7], v7, s4 src0_sel:BYTE_0 src1_sel:DWORD
	s_mov_b64 s[4:5], 0
                                        ; implicit-def: $sgpr10
	s_and_saveexec_b64 s[8:9], s[6:7]
	s_xor_b64 s[6:7], exec, s[8:9]
	s_cbranch_execnz .LBB31_3233
; %bb.1185:
	s_or_saveexec_b64 s[6:7], s[6:7]
	v_mov_b32_e32 v2, s10
	s_xor_b64 exec, exec, s[6:7]
	s_cbranch_execnz .LBB31_3236
.LBB31_1186:
	s_or_b64 exec, exec, s[6:7]
	s_and_saveexec_b64 s[6:7], s[4:5]
	s_cbranch_execz .LBB31_1188
.LBB31_1187:
	v_and_b32_e32 v2, 7, v7
	v_ffbh_u32_e32 v10, v2
	v_min_u32_e32 v10, 32, v10
	v_lshrrev_b16_e32 v6, 3, v7
	v_subrev_u32_e32 v11, 28, v10
	v_and_b32_e32 v6, 15, v6
	v_lshlrev_b32_e32 v11, v11, v7
	v_sub_u32_e32 v10, 29, v10
	v_and_b32_e32 v11, 7, v11
	v_cmp_eq_u16_e32 vcc, 0, v6
	v_cndmask_b32_e32 v2, v2, v11, vcc
	v_cndmask_b32_e32 v6, v6, v10, vcc
	v_lshlrev_b32_e32 v10, 24, v7
	v_mov_b32_e32 v11, 0x3b800000
	v_lshlrev_b32_e32 v2, 20, v2
	v_and_b32_e32 v10, 0x80000000, v10
	v_lshl_add_u32 v6, v6, 23, v11
	v_or3_b32 v2, v10, v6, v2
.LBB31_1188:
	s_or_b64 exec, exec, s[6:7]
	s_movk_i32 s4, 0x7f
	v_cmp_gt_i16_sdwa s[6:7], v3, s4 src0_sel:BYTE_0 src1_sel:DWORD
	s_mov_b64 s[4:5], 0
                                        ; implicit-def: $sgpr10
	s_and_saveexec_b64 s[8:9], s[6:7]
	s_xor_b64 s[6:7], exec, s[8:9]
	s_cbranch_execnz .LBB31_3237
; %bb.1189:
	s_or_saveexec_b64 s[6:7], s[6:7]
	v_mov_b32_e32 v6, s10
	s_xor_b64 exec, exec, s[6:7]
	s_cbranch_execnz .LBB31_3240
.LBB31_1190:
	s_or_b64 exec, exec, s[6:7]
	s_and_saveexec_b64 s[6:7], s[4:5]
	s_cbranch_execz .LBB31_1192
.LBB31_1191:
	v_and_b32_e32 v6, 7, v3
	v_ffbh_u32_e32 v11, v6
	v_min_u32_e32 v11, 32, v11
	v_lshrrev_b16_e32 v10, 3, v3
	v_subrev_u32_e32 v12, 28, v11
	v_and_b32_e32 v10, 15, v10
	v_lshlrev_b32_e32 v12, v12, v3
	v_sub_u32_e32 v11, 29, v11
	v_and_b32_e32 v12, 7, v12
	v_cmp_eq_u16_e32 vcc, 0, v10
	v_cndmask_b32_e32 v6, v6, v12, vcc
	v_cndmask_b32_e32 v10, v10, v11, vcc
	v_lshlrev_b32_e32 v11, 24, v3
	v_mov_b32_e32 v12, 0x3b800000
	v_lshlrev_b32_e32 v6, 20, v6
	v_and_b32_e32 v11, 0x80000000, v11
	v_lshl_add_u32 v10, v10, 23, v12
	v_or3_b32 v6, v11, v10, v6
.LBB31_1192:
	s_or_b64 exec, exec, s[6:7]
	s_nop 0
	v_mfma_f32_16x16x4f32 a[0:3], v2, v6, a[0:3]
	v_lshrrev_b32_e32 v6, 8, v7
	s_movk_i32 s4, 0x7f
	v_cmp_gt_i16_sdwa s[6:7], v6, s4 src0_sel:BYTE_0 src1_sel:DWORD
	s_mov_b64 s[4:5], 0
                                        ; implicit-def: $sgpr10
	s_and_saveexec_b64 s[8:9], s[6:7]
	s_xor_b64 s[6:7], exec, s[8:9]
	s_cbranch_execnz .LBB31_3241
; %bb.1193:
	s_or_saveexec_b64 s[6:7], s[6:7]
	v_mov_b32_e32 v2, s10
	s_xor_b64 exec, exec, s[6:7]
	s_cbranch_execnz .LBB31_3244
.LBB31_1194:
	s_or_b64 exec, exec, s[6:7]
	s_and_saveexec_b64 s[6:7], s[4:5]
	s_cbranch_execz .LBB31_1196
.LBB31_1195:
	v_bfe_u32 v2, v7, 8, 3
	v_ffbh_u32_e32 v11, v2
	v_min_u32_e32 v11, 32, v11
	v_lshrrev_b16_e32 v10, 3, v6
	v_subrev_u32_e32 v12, 28, v11
	v_and_b32_e32 v10, 15, v10
	v_lshlrev_b32_e32 v6, v12, v6
	v_sub_u32_e32 v11, 29, v11
	v_and_b32_e32 v6, 7, v6
	v_cmp_eq_u16_e32 vcc, 0, v10
	v_cndmask_b32_e32 v2, v2, v6, vcc
	v_cndmask_b32_e32 v6, v10, v11, vcc
	v_lshlrev_b32_e32 v10, 16, v7
	v_mov_b32_e32 v11, 0x3b800000
	v_lshlrev_b32_e32 v2, 20, v2
	v_and_b32_e32 v10, 0x80000000, v10
	v_lshl_add_u32 v6, v6, 23, v11
	v_or3_b32 v2, v10, v6, v2
.LBB31_1196:
	s_or_b64 exec, exec, s[6:7]
	v_lshrrev_b32_e32 v6, 8, v3
	s_movk_i32 s4, 0x7f
	v_cmp_gt_i16_sdwa s[6:7], v6, s4 src0_sel:BYTE_0 src1_sel:DWORD
	s_mov_b64 s[4:5], 0
                                        ; implicit-def: $sgpr10
	s_and_saveexec_b64 s[8:9], s[6:7]
	s_xor_b64 s[6:7], exec, s[8:9]
	s_cbranch_execnz .LBB31_3245
; %bb.1197:
	s_or_saveexec_b64 s[6:7], s[6:7]
	v_mov_b32_e32 v10, s10
	s_xor_b64 exec, exec, s[6:7]
	s_cbranch_execnz .LBB31_3248
.LBB31_1198:
	s_or_b64 exec, exec, s[6:7]
	s_and_saveexec_b64 s[6:7], s[4:5]
	s_cbranch_execz .LBB31_1200
.LBB31_1199:
	v_bfe_u32 v10, v3, 8, 3
	v_ffbh_u32_e32 v12, v10
	v_min_u32_e32 v12, 32, v12
	v_lshrrev_b16_e32 v11, 3, v6
	v_subrev_u32_e32 v13, 28, v12
	v_and_b32_e32 v11, 15, v11
	v_lshlrev_b32_e32 v6, v13, v6
	v_sub_u32_e32 v12, 29, v12
	v_and_b32_e32 v6, 7, v6
	v_cmp_eq_u16_e32 vcc, 0, v11
	v_cndmask_b32_e32 v6, v10, v6, vcc
	v_cndmask_b32_e32 v10, v11, v12, vcc
	v_lshlrev_b32_e32 v11, 16, v3
	v_mov_b32_e32 v12, 0x3b800000
	v_lshlrev_b32_e32 v6, 20, v6
	v_and_b32_e32 v11, 0x80000000, v11
	v_lshl_add_u32 v10, v10, 23, v12
	v_or3_b32 v10, v11, v10, v6
.LBB31_1200:
	s_or_b64 exec, exec, s[6:7]
	s_nop 0
	v_mfma_f32_16x16x4f32 a[0:3], v2, v10, a[0:3]
	s_movk_i32 s4, 0xff
	v_and_b32_sdwa v6, v7, s4 dst_sel:DWORD dst_unused:UNUSED_PAD src0_sel:WORD_1 src1_sel:DWORD
	s_movk_i32 s4, 0x7f
	v_cmp_lt_i16_e32 vcc, s4, v6
	s_mov_b64 s[4:5], 0
                                        ; implicit-def: $sgpr10
	s_and_saveexec_b64 s[6:7], vcc
	s_xor_b64 s[6:7], exec, s[6:7]
	s_cbranch_execnz .LBB31_3249
; %bb.1201:
	s_or_saveexec_b64 s[6:7], s[6:7]
	v_mov_b32_e32 v2, s10
	s_xor_b64 exec, exec, s[6:7]
	s_cbranch_execnz .LBB31_3252
.LBB31_1202:
	s_or_b64 exec, exec, s[6:7]
	s_and_saveexec_b64 s[6:7], s[4:5]
	s_cbranch_execz .LBB31_1204
.LBB31_1203:
	v_bfe_u32 v2, v7, 16, 3
	v_ffbh_u32_e32 v11, v2
	v_min_u32_e32 v11, 32, v11
	v_lshrrev_b32_e32 v6, 19, v7
	v_subrev_u32_e32 v12, 28, v11
	v_and_b32_e32 v6, 15, v6
	v_lshlrev_b32_sdwa v12, v12, v7 dst_sel:DWORD dst_unused:UNUSED_PAD src0_sel:DWORD src1_sel:WORD_1
	v_bfe_u32 v10, v7, 19, 4
	v_sub_u32_e32 v11, 29, v11
	v_and_b32_e32 v12, 7, v12
	v_cmp_eq_u16_e32 vcc, 0, v6
	v_cndmask_b32_e32 v2, v2, v12, vcc
	v_cndmask_b32_e32 v6, v10, v11, vcc
	v_lshlrev_b32_e32 v10, 8, v7
	v_mov_b32_e32 v11, 0x3b800000
	v_lshlrev_b32_e32 v2, 20, v2
	v_and_b32_e32 v10, 0x80000000, v10
	v_lshl_add_u32 v6, v6, 23, v11
	v_or3_b32 v2, v10, v6, v2
.LBB31_1204:
	s_or_b64 exec, exec, s[6:7]
	s_movk_i32 s4, 0xff
	v_and_b32_sdwa v6, v3, s4 dst_sel:DWORD dst_unused:UNUSED_PAD src0_sel:WORD_1 src1_sel:DWORD
	s_movk_i32 s4, 0x7f
	v_cmp_lt_i16_e32 vcc, s4, v6
	s_mov_b64 s[4:5], 0
                                        ; implicit-def: $sgpr10
	s_and_saveexec_b64 s[6:7], vcc
	s_xor_b64 s[6:7], exec, s[6:7]
	s_cbranch_execnz .LBB31_3253
; %bb.1205:
	s_or_saveexec_b64 s[6:7], s[6:7]
	v_mov_b32_e32 v10, s10
	s_xor_b64 exec, exec, s[6:7]
	s_cbranch_execnz .LBB31_3256
.LBB31_1206:
	s_or_b64 exec, exec, s[6:7]
	s_and_saveexec_b64 s[6:7], s[4:5]
	s_cbranch_execz .LBB31_1208
.LBB31_1207:
	v_bfe_u32 v6, v3, 16, 3
	v_ffbh_u32_e32 v12, v6
	v_min_u32_e32 v12, 32, v12
	v_lshrrev_b32_e32 v10, 19, v3
	v_subrev_u32_e32 v13, 28, v12
	v_and_b32_e32 v10, 15, v10
	v_lshlrev_b32_sdwa v13, v13, v3 dst_sel:DWORD dst_unused:UNUSED_PAD src0_sel:DWORD src1_sel:WORD_1
	v_bfe_u32 v11, v3, 19, 4
	v_sub_u32_e32 v12, 29, v12
	v_and_b32_e32 v13, 7, v13
	v_cmp_eq_u16_e32 vcc, 0, v10
	v_cndmask_b32_e32 v6, v6, v13, vcc
	v_cndmask_b32_e32 v10, v11, v12, vcc
	v_lshlrev_b32_e32 v11, 8, v3
	v_mov_b32_e32 v12, 0x3b800000
	v_lshlrev_b32_e32 v6, 20, v6
	v_and_b32_e32 v11, 0x80000000, v11
	v_lshl_add_u32 v10, v10, 23, v12
	v_or3_b32 v10, v11, v10, v6
.LBB31_1208:
	s_or_b64 exec, exec, s[6:7]
	s_nop 0
	v_mfma_f32_16x16x4f32 a[0:3], v2, v10, a[0:3]
	s_movk_i32 s4, 0x7f
	v_cmp_gt_i16_sdwa s[6:7], v7, s4 src0_sel:BYTE_3 src1_sel:DWORD
	s_mov_b64 s[4:5], 0
                                        ; implicit-def: $sgpr10
	s_and_saveexec_b64 s[8:9], s[6:7]
	s_xor_b64 s[6:7], exec, s[8:9]
	s_cbranch_execnz .LBB31_3257
; %bb.1209:
	s_or_saveexec_b64 s[6:7], s[6:7]
	v_mov_b32_e32 v2, s10
	s_xor_b64 exec, exec, s[6:7]
	s_cbranch_execnz .LBB31_3260
.LBB31_1210:
	s_or_b64 exec, exec, s[6:7]
	s_and_saveexec_b64 s[6:7], s[4:5]
	s_cbranch_execz .LBB31_1212
.LBB31_1211:
	v_bfe_u32 v2, v7, 24, 3
	v_ffbh_u32_e32 v12, v2
	v_min_u32_e32 v12, 32, v12
	v_lshrrev_b32_e32 v10, 27, v7
	v_subrev_u32_e32 v13, 28, v12
	v_and_b32_e32 v6, 0x80000000, v7
	v_and_b32_e32 v10, 15, v10
	v_bfe_u32 v11, v7, 27, 4
	v_lshlrev_b32_sdwa v7, v13, v7 dst_sel:DWORD dst_unused:UNUSED_PAD src0_sel:DWORD src1_sel:BYTE_3
	v_sub_u32_e32 v12, 29, v12
	v_and_b32_e32 v7, 7, v7
	v_cmp_eq_u16_e32 vcc, 0, v10
	v_cndmask_b32_e32 v2, v2, v7, vcc
	v_cndmask_b32_e32 v7, v11, v12, vcc
	v_mov_b32_e32 v10, 0x3b800000
	v_lshlrev_b32_e32 v2, 20, v2
	v_lshl_add_u32 v7, v7, 23, v10
	v_or3_b32 v2, v6, v7, v2
.LBB31_1212:
	s_or_b64 exec, exec, s[6:7]
	s_movk_i32 s4, 0x7f
	v_cmp_gt_i16_sdwa s[6:7], v3, s4 src0_sel:BYTE_3 src1_sel:DWORD
	s_mov_b64 s[4:5], 0
                                        ; implicit-def: $sgpr10
	s_and_saveexec_b64 s[8:9], s[6:7]
	s_xor_b64 s[6:7], exec, s[8:9]
	s_cbranch_execnz .LBB31_3261
; %bb.1213:
	s_or_saveexec_b64 s[6:7], s[6:7]
	v_mov_b32_e32 v6, s10
	s_xor_b64 exec, exec, s[6:7]
	s_cbranch_execnz .LBB31_3264
.LBB31_1214:
	s_or_b64 exec, exec, s[6:7]
	s_and_saveexec_b64 s[6:7], s[4:5]
	s_cbranch_execz .LBB31_1216
.LBB31_1215:
	v_bfe_u32 v6, v3, 24, 3
	v_ffbh_u32_e32 v12, v6
	v_min_u32_e32 v12, 32, v12
	v_lshrrev_b32_e32 v10, 27, v3
	v_subrev_u32_e32 v13, 28, v12
	v_and_b32_e32 v7, 0x80000000, v3
	v_and_b32_e32 v10, 15, v10
	v_bfe_u32 v11, v3, 27, 4
	v_lshlrev_b32_sdwa v3, v13, v3 dst_sel:DWORD dst_unused:UNUSED_PAD src0_sel:DWORD src1_sel:BYTE_3
	v_sub_u32_e32 v12, 29, v12
	v_and_b32_e32 v3, 7, v3
	v_cmp_eq_u16_e32 vcc, 0, v10
	v_cndmask_b32_e32 v3, v6, v3, vcc
	v_cndmask_b32_e32 v6, v11, v12, vcc
	v_mov_b32_e32 v10, 0x3b800000
	v_lshlrev_b32_e32 v3, 20, v3
	v_lshl_add_u32 v6, v6, 23, v10
	v_or3_b32 v6, v7, v6, v3
.LBB31_1216:
	s_or_b64 exec, exec, s[6:7]
	s_nop 0
	v_mfma_f32_16x16x4f32 a[0:3], v2, v6, a[0:3]
	s_movk_i32 s4, 0x7f
	v_cmp_gt_i16_sdwa s[6:7], v8, s4 src0_sel:BYTE_0 src1_sel:DWORD
	s_mov_b64 s[4:5], 0
                                        ; implicit-def: $sgpr10
	s_and_saveexec_b64 s[8:9], s[6:7]
	s_xor_b64 s[6:7], exec, s[8:9]
	s_cbranch_execnz .LBB31_3265
; %bb.1217:
	s_or_saveexec_b64 s[6:7], s[6:7]
	v_mov_b32_e32 v2, s10
	s_xor_b64 exec, exec, s[6:7]
	s_cbranch_execnz .LBB31_3268
.LBB31_1218:
	s_or_b64 exec, exec, s[6:7]
	s_and_saveexec_b64 s[6:7], s[4:5]
	s_cbranch_execz .LBB31_1220
.LBB31_1219:
	v_and_b32_e32 v2, 7, v8
	v_ffbh_u32_e32 v6, v2
	v_min_u32_e32 v6, 32, v6
	v_lshrrev_b16_e32 v3, 3, v8
	v_subrev_u32_e32 v7, 28, v6
	v_and_b32_e32 v3, 15, v3
	v_lshlrev_b32_e32 v7, v7, v8
	v_sub_u32_e32 v6, 29, v6
	v_and_b32_e32 v7, 7, v7
	v_cmp_eq_u16_e32 vcc, 0, v3
	v_cndmask_b32_e32 v2, v2, v7, vcc
	v_cndmask_b32_e32 v3, v3, v6, vcc
	v_lshlrev_b32_e32 v6, 24, v8
	v_mov_b32_e32 v7, 0x3b800000
	v_lshlrev_b32_e32 v2, 20, v2
	v_and_b32_e32 v6, 0x80000000, v6
	v_lshl_add_u32 v3, v3, 23, v7
	v_or3_b32 v2, v6, v3, v2
.LBB31_1220:
	s_or_b64 exec, exec, s[6:7]
	s_movk_i32 s4, 0x7f
	v_cmp_gt_i16_sdwa s[6:7], v4, s4 src0_sel:BYTE_0 src1_sel:DWORD
	s_mov_b64 s[4:5], 0
                                        ; implicit-def: $sgpr10
	s_and_saveexec_b64 s[8:9], s[6:7]
	s_xor_b64 s[6:7], exec, s[8:9]
	s_cbranch_execnz .LBB31_3269
; %bb.1221:
	s_or_saveexec_b64 s[6:7], s[6:7]
	v_mov_b32_e32 v3, s10
	s_xor_b64 exec, exec, s[6:7]
	s_cbranch_execnz .LBB31_3272
.LBB31_1222:
	s_or_b64 exec, exec, s[6:7]
	s_and_saveexec_b64 s[6:7], s[4:5]
	s_cbranch_execz .LBB31_1224
.LBB31_1223:
	v_and_b32_e32 v3, 7, v4
	v_ffbh_u32_e32 v7, v3
	v_min_u32_e32 v7, 32, v7
	v_lshrrev_b16_e32 v6, 3, v4
	v_subrev_u32_e32 v10, 28, v7
	v_and_b32_e32 v6, 15, v6
	v_lshlrev_b32_e32 v10, v10, v4
	v_sub_u32_e32 v7, 29, v7
	v_and_b32_e32 v10, 7, v10
	v_cmp_eq_u16_e32 vcc, 0, v6
	v_cndmask_b32_e32 v3, v3, v10, vcc
	v_cndmask_b32_e32 v6, v6, v7, vcc
	v_lshlrev_b32_e32 v7, 24, v4
	v_mov_b32_e32 v10, 0x3b800000
	v_lshlrev_b32_e32 v3, 20, v3
	v_and_b32_e32 v7, 0x80000000, v7
	v_lshl_add_u32 v6, v6, 23, v10
	v_or3_b32 v3, v7, v6, v3
.LBB31_1224:
	s_or_b64 exec, exec, s[6:7]
	s_nop 0
	v_mfma_f32_16x16x4f32 a[0:3], v2, v3, a[0:3]
	v_lshrrev_b32_e32 v3, 8, v8
	s_movk_i32 s4, 0x7f
	v_cmp_gt_i16_sdwa s[6:7], v3, s4 src0_sel:BYTE_0 src1_sel:DWORD
	s_mov_b64 s[4:5], 0
                                        ; implicit-def: $sgpr10
	s_and_saveexec_b64 s[8:9], s[6:7]
	s_xor_b64 s[6:7], exec, s[8:9]
	s_cbranch_execnz .LBB31_3273
; %bb.1225:
	s_or_saveexec_b64 s[6:7], s[6:7]
	v_mov_b32_e32 v2, s10
	s_xor_b64 exec, exec, s[6:7]
	s_cbranch_execnz .LBB31_3276
.LBB31_1226:
	s_or_b64 exec, exec, s[6:7]
	s_and_saveexec_b64 s[6:7], s[4:5]
	s_cbranch_execz .LBB31_1228
.LBB31_1227:
	v_bfe_u32 v2, v8, 8, 3
	v_ffbh_u32_e32 v7, v2
	v_min_u32_e32 v7, 32, v7
	v_lshrrev_b16_e32 v6, 3, v3
	v_subrev_u32_e32 v10, 28, v7
	v_and_b32_e32 v6, 15, v6
	v_lshlrev_b32_e32 v3, v10, v3
	v_sub_u32_e32 v7, 29, v7
	v_and_b32_e32 v3, 7, v3
	v_cmp_eq_u16_e32 vcc, 0, v6
	v_cndmask_b32_e32 v2, v2, v3, vcc
	v_cndmask_b32_e32 v3, v6, v7, vcc
	v_lshlrev_b32_e32 v6, 16, v8
	v_mov_b32_e32 v7, 0x3b800000
	v_lshlrev_b32_e32 v2, 20, v2
	v_and_b32_e32 v6, 0x80000000, v6
	v_lshl_add_u32 v3, v3, 23, v7
	v_or3_b32 v2, v6, v3, v2
.LBB31_1228:
	s_or_b64 exec, exec, s[6:7]
	v_lshrrev_b32_e32 v3, 8, v4
	s_movk_i32 s4, 0x7f
	v_cmp_gt_i16_sdwa s[6:7], v3, s4 src0_sel:BYTE_0 src1_sel:DWORD
	s_mov_b64 s[4:5], 0
                                        ; implicit-def: $sgpr10
	s_and_saveexec_b64 s[8:9], s[6:7]
	s_xor_b64 s[6:7], exec, s[8:9]
	s_cbranch_execnz .LBB31_3277
; %bb.1229:
	s_or_saveexec_b64 s[6:7], s[6:7]
	v_mov_b32_e32 v6, s10
	s_xor_b64 exec, exec, s[6:7]
	s_cbranch_execnz .LBB31_3280
.LBB31_1230:
	s_or_b64 exec, exec, s[6:7]
	s_and_saveexec_b64 s[6:7], s[4:5]
	s_cbranch_execz .LBB31_1232
.LBB31_1231:
	v_bfe_u32 v6, v4, 8, 3
	v_ffbh_u32_e32 v10, v6
	v_min_u32_e32 v10, 32, v10
	v_lshrrev_b16_e32 v7, 3, v3
	v_subrev_u32_e32 v11, 28, v10
	v_and_b32_e32 v7, 15, v7
	v_lshlrev_b32_e32 v3, v11, v3
	v_sub_u32_e32 v10, 29, v10
	v_and_b32_e32 v3, 7, v3
	v_cmp_eq_u16_e32 vcc, 0, v7
	v_cndmask_b32_e32 v3, v6, v3, vcc
	v_cndmask_b32_e32 v6, v7, v10, vcc
	v_lshlrev_b32_e32 v7, 16, v4
	v_mov_b32_e32 v10, 0x3b800000
	v_lshlrev_b32_e32 v3, 20, v3
	v_and_b32_e32 v7, 0x80000000, v7
	v_lshl_add_u32 v6, v6, 23, v10
	v_or3_b32 v6, v7, v6, v3
.LBB31_1232:
	s_or_b64 exec, exec, s[6:7]
	s_nop 0
	v_mfma_f32_16x16x4f32 a[0:3], v2, v6, a[0:3]
	s_movk_i32 s4, 0xff
	v_and_b32_sdwa v3, v8, s4 dst_sel:DWORD dst_unused:UNUSED_PAD src0_sel:WORD_1 src1_sel:DWORD
	s_movk_i32 s4, 0x7f
	v_cmp_lt_i16_e32 vcc, s4, v3
	s_mov_b64 s[4:5], 0
                                        ; implicit-def: $sgpr10
	s_and_saveexec_b64 s[6:7], vcc
	s_xor_b64 s[6:7], exec, s[6:7]
	s_cbranch_execnz .LBB31_3281
; %bb.1233:
	s_or_saveexec_b64 s[6:7], s[6:7]
	v_mov_b32_e32 v2, s10
	s_xor_b64 exec, exec, s[6:7]
	s_cbranch_execnz .LBB31_3284
.LBB31_1234:
	s_or_b64 exec, exec, s[6:7]
	s_and_saveexec_b64 s[6:7], s[4:5]
	s_cbranch_execz .LBB31_1236
.LBB31_1235:
	v_bfe_u32 v2, v8, 16, 3
	v_ffbh_u32_e32 v7, v2
	v_min_u32_e32 v7, 32, v7
	v_lshrrev_b32_e32 v3, 19, v8
	v_subrev_u32_e32 v10, 28, v7
	v_and_b32_e32 v3, 15, v3
	v_lshlrev_b32_sdwa v10, v10, v8 dst_sel:DWORD dst_unused:UNUSED_PAD src0_sel:DWORD src1_sel:WORD_1
	v_bfe_u32 v6, v8, 19, 4
	v_sub_u32_e32 v7, 29, v7
	v_and_b32_e32 v10, 7, v10
	v_cmp_eq_u16_e32 vcc, 0, v3
	v_cndmask_b32_e32 v2, v2, v10, vcc
	v_cndmask_b32_e32 v3, v6, v7, vcc
	v_lshlrev_b32_e32 v6, 8, v8
	v_mov_b32_e32 v7, 0x3b800000
	v_lshlrev_b32_e32 v2, 20, v2
	v_and_b32_e32 v6, 0x80000000, v6
	v_lshl_add_u32 v3, v3, 23, v7
	v_or3_b32 v2, v6, v3, v2
.LBB31_1236:
	s_or_b64 exec, exec, s[6:7]
	s_movk_i32 s4, 0xff
	v_and_b32_sdwa v3, v4, s4 dst_sel:DWORD dst_unused:UNUSED_PAD src0_sel:WORD_1 src1_sel:DWORD
	s_movk_i32 s4, 0x7f
	v_cmp_lt_i16_e32 vcc, s4, v3
	s_mov_b64 s[4:5], 0
                                        ; implicit-def: $sgpr10
	s_and_saveexec_b64 s[6:7], vcc
	s_xor_b64 s[6:7], exec, s[6:7]
	s_cbranch_execnz .LBB31_3285
; %bb.1237:
	s_or_saveexec_b64 s[6:7], s[6:7]
	v_mov_b32_e32 v6, s10
	s_xor_b64 exec, exec, s[6:7]
	s_cbranch_execnz .LBB31_3288
.LBB31_1238:
	s_or_b64 exec, exec, s[6:7]
	s_and_saveexec_b64 s[6:7], s[4:5]
	s_cbranch_execz .LBB31_1240
.LBB31_1239:
	v_bfe_u32 v3, v4, 16, 3
	v_ffbh_u32_e32 v10, v3
	v_min_u32_e32 v10, 32, v10
	v_lshrrev_b32_e32 v6, 19, v4
	v_subrev_u32_e32 v11, 28, v10
	v_and_b32_e32 v6, 15, v6
	v_lshlrev_b32_sdwa v11, v11, v4 dst_sel:DWORD dst_unused:UNUSED_PAD src0_sel:DWORD src1_sel:WORD_1
	v_bfe_u32 v7, v4, 19, 4
	v_sub_u32_e32 v10, 29, v10
	v_and_b32_e32 v11, 7, v11
	v_cmp_eq_u16_e32 vcc, 0, v6
	v_cndmask_b32_e32 v3, v3, v11, vcc
	v_cndmask_b32_e32 v6, v7, v10, vcc
	v_lshlrev_b32_e32 v7, 8, v4
	v_mov_b32_e32 v10, 0x3b800000
	v_lshlrev_b32_e32 v3, 20, v3
	v_and_b32_e32 v7, 0x80000000, v7
	v_lshl_add_u32 v6, v6, 23, v10
	v_or3_b32 v6, v7, v6, v3
.LBB31_1240:
	s_or_b64 exec, exec, s[6:7]
	s_nop 0
	v_mfma_f32_16x16x4f32 a[0:3], v2, v6, a[0:3]
	s_movk_i32 s4, 0x7f
	v_cmp_gt_i16_sdwa s[6:7], v8, s4 src0_sel:BYTE_3 src1_sel:DWORD
	s_mov_b64 s[4:5], 0
                                        ; implicit-def: $sgpr10
	s_and_saveexec_b64 s[8:9], s[6:7]
	s_xor_b64 s[6:7], exec, s[8:9]
	s_cbranch_execnz .LBB31_3289
; %bb.1241:
	s_or_saveexec_b64 s[6:7], s[6:7]
	v_mov_b32_e32 v2, s10
	s_xor_b64 exec, exec, s[6:7]
	s_cbranch_execnz .LBB31_3292
.LBB31_1242:
	s_or_b64 exec, exec, s[6:7]
	s_and_saveexec_b64 s[6:7], s[4:5]
	s_cbranch_execz .LBB31_1244
.LBB31_1243:
	v_bfe_u32 v2, v8, 24, 3
	v_ffbh_u32_e32 v10, v2
	v_min_u32_e32 v10, 32, v10
	v_lshrrev_b32_e32 v6, 27, v8
	v_subrev_u32_e32 v11, 28, v10
	v_and_b32_e32 v3, 0x80000000, v8
	v_and_b32_e32 v6, 15, v6
	v_bfe_u32 v7, v8, 27, 4
	v_lshlrev_b32_sdwa v8, v11, v8 dst_sel:DWORD dst_unused:UNUSED_PAD src0_sel:DWORD src1_sel:BYTE_3
	v_sub_u32_e32 v10, 29, v10
	v_and_b32_e32 v8, 7, v8
	v_cmp_eq_u16_e32 vcc, 0, v6
	v_cndmask_b32_e32 v2, v2, v8, vcc
	v_cndmask_b32_e32 v6, v7, v10, vcc
	v_mov_b32_e32 v7, 0x3b800000
	v_lshlrev_b32_e32 v2, 20, v2
	v_lshl_add_u32 v6, v6, 23, v7
	v_or3_b32 v2, v3, v6, v2
.LBB31_1244:
	s_or_b64 exec, exec, s[6:7]
	s_movk_i32 s4, 0x7f
	v_cmp_gt_i16_sdwa s[6:7], v4, s4 src0_sel:BYTE_3 src1_sel:DWORD
	s_mov_b64 s[4:5], 0
                                        ; implicit-def: $sgpr10
	s_and_saveexec_b64 s[8:9], s[6:7]
	s_xor_b64 s[6:7], exec, s[8:9]
	s_cbranch_execnz .LBB31_3293
; %bb.1245:
	s_or_saveexec_b64 s[6:7], s[6:7]
	v_mov_b32_e32 v3, s10
	s_xor_b64 exec, exec, s[6:7]
	s_cbranch_execnz .LBB31_3296
.LBB31_1246:
	s_or_b64 exec, exec, s[6:7]
	s_and_saveexec_b64 s[6:7], s[4:5]
	s_cbranch_execz .LBB31_1248
.LBB31_1247:
	v_bfe_u32 v3, v4, 24, 3
	v_ffbh_u32_e32 v10, v3
	v_min_u32_e32 v10, 32, v10
	v_lshrrev_b32_e32 v7, 27, v4
	v_subrev_u32_e32 v11, 28, v10
	v_and_b32_e32 v6, 0x80000000, v4
	v_and_b32_e32 v7, 15, v7
	v_bfe_u32 v8, v4, 27, 4
	v_lshlrev_b32_sdwa v4, v11, v4 dst_sel:DWORD dst_unused:UNUSED_PAD src0_sel:DWORD src1_sel:BYTE_3
	v_sub_u32_e32 v10, 29, v10
	v_and_b32_e32 v4, 7, v4
	v_cmp_eq_u16_e32 vcc, 0, v7
	v_cndmask_b32_e32 v3, v3, v4, vcc
	v_cndmask_b32_e32 v4, v8, v10, vcc
	v_mov_b32_e32 v7, 0x3b800000
	v_lshlrev_b32_e32 v3, 20, v3
	v_lshl_add_u32 v4, v4, 23, v7
	v_or3_b32 v3, v6, v4, v3
.LBB31_1248:
	s_or_b64 exec, exec, s[6:7]
	s_nop 0
	v_mfma_f32_16x16x4f32 a[0:3], v2, v3, a[0:3]
	s_movk_i32 s4, 0x7f
	v_cmp_gt_i16_sdwa s[6:7], v9, s4 src0_sel:BYTE_0 src1_sel:DWORD
	s_mov_b64 s[4:5], 0
                                        ; implicit-def: $sgpr10
	s_and_saveexec_b64 s[8:9], s[6:7]
	s_xor_b64 s[6:7], exec, s[8:9]
	s_cbranch_execnz .LBB31_3297
; %bb.1249:
	s_or_saveexec_b64 s[6:7], s[6:7]
	v_mov_b32_e32 v2, s10
	s_xor_b64 exec, exec, s[6:7]
	s_cbranch_execnz .LBB31_3300
.LBB31_1250:
	s_or_b64 exec, exec, s[6:7]
	s_and_saveexec_b64 s[6:7], s[4:5]
	s_cbranch_execz .LBB31_1252
.LBB31_1251:
	v_mov_b32_e32 v2, 8
	v_and_b32_e32 v3, 7, v9
	v_lshrrev_b32_sdwa v2, v2, v9 dst_sel:BYTE_1 dst_unused:UNUSED_PAD src0_sel:DWORD src1_sel:DWORD
	v_ffbh_u32_e32 v4, v3
	v_or_b32_sdwa v2, v9, v2 dst_sel:DWORD dst_unused:UNUSED_PAD src0_sel:BYTE_0 src1_sel:DWORD
	v_min_u32_e32 v4, 32, v4
	v_lshrrev_b16_e32 v2, 3, v2
	v_subrev_u32_e32 v6, 28, v4
	v_and_b32_e32 v2, 15, v2
	v_lshlrev_b32_e32 v6, v6, v9
	v_sub_u32_e32 v4, 29, v4
	v_and_b32_e32 v6, 7, v6
	v_cmp_eq_u16_e32 vcc, 0, v2
	v_cndmask_b32_e32 v3, v3, v6, vcc
	v_cndmask_b32_e32 v2, v2, v4, vcc
	v_lshlrev_b32_e32 v4, 24, v9
	v_mov_b32_e32 v6, 0x3b800000
	v_lshlrev_b32_e32 v3, 20, v3
	v_and_b32_e32 v4, 0x80000000, v4
	v_lshl_add_u32 v2, v2, 23, v6
	v_or3_b32 v2, v4, v2, v3
.LBB31_1252:
	s_or_b64 exec, exec, s[6:7]
	s_movk_i32 s4, 0x7f
	v_cmp_gt_i16_sdwa s[6:7], v5, s4 src0_sel:BYTE_0 src1_sel:DWORD
	s_mov_b64 s[4:5], 0
                                        ; implicit-def: $sgpr10
	s_and_saveexec_b64 s[8:9], s[6:7]
	s_xor_b64 s[6:7], exec, s[8:9]
	s_cbranch_execnz .LBB31_3301
; %bb.1253:
	s_or_saveexec_b64 s[6:7], s[6:7]
	v_mov_b32_e32 v3, s10
	s_xor_b64 exec, exec, s[6:7]
	s_cbranch_execnz .LBB31_3304
.LBB31_1254:
	s_or_b64 exec, exec, s[6:7]
	s_and_saveexec_b64 s[6:7], s[4:5]
	s_cbranch_execz .LBB31_1256
.LBB31_1255:
	v_mov_b32_e32 v3, 8
	v_and_b32_e32 v4, 7, v5
	v_lshrrev_b32_sdwa v3, v3, v5 dst_sel:BYTE_1 dst_unused:UNUSED_PAD src0_sel:DWORD src1_sel:DWORD
	v_ffbh_u32_e32 v6, v4
	v_or_b32_sdwa v3, v5, v3 dst_sel:DWORD dst_unused:UNUSED_PAD src0_sel:BYTE_0 src1_sel:DWORD
	v_min_u32_e32 v6, 32, v6
	v_lshrrev_b16_e32 v3, 3, v3
	v_subrev_u32_e32 v7, 28, v6
	v_and_b32_e32 v3, 15, v3
	v_lshlrev_b32_e32 v7, v7, v5
	v_sub_u32_e32 v6, 29, v6
	v_and_b32_e32 v7, 7, v7
	v_cmp_eq_u16_e32 vcc, 0, v3
	v_cndmask_b32_e32 v4, v4, v7, vcc
	v_cndmask_b32_e32 v3, v3, v6, vcc
	v_lshlrev_b32_e32 v6, 24, v5
	v_mov_b32_e32 v7, 0x3b800000
	v_lshlrev_b32_e32 v4, 20, v4
	v_and_b32_e32 v6, 0x80000000, v6
	v_lshl_add_u32 v3, v3, 23, v7
	v_or3_b32 v3, v6, v3, v4
.LBB31_1256:
	s_or_b64 exec, exec, s[6:7]
	s_nop 0
	v_mfma_f32_16x16x4f32 a[0:3], v2, v3, a[0:3]
	v_lshrrev_b32_e32 v3, 8, v9
	s_movk_i32 s4, 0x7f
	v_cmp_gt_i16_sdwa s[6:7], v3, s4 src0_sel:BYTE_0 src1_sel:DWORD
	s_mov_b64 s[4:5], 0
                                        ; implicit-def: $sgpr10
	s_and_saveexec_b64 s[8:9], s[6:7]
	s_xor_b64 s[6:7], exec, s[8:9]
	s_cbranch_execnz .LBB31_3305
; %bb.1257:
	s_or_saveexec_b64 s[6:7], s[6:7]
	v_mov_b32_e32 v2, s10
	s_xor_b64 exec, exec, s[6:7]
	s_cbranch_execnz .LBB31_3308
.LBB31_1258:
	s_or_b64 exec, exec, s[6:7]
	s_and_saveexec_b64 s[6:7], s[4:5]
	s_cbranch_execz .LBB31_1260
.LBB31_1259:
	v_bfe_u32 v2, v9, 8, 3
	v_ffbh_u32_e32 v6, v2
	v_min_u32_e32 v6, 32, v6
	v_lshrrev_b16_e32 v4, 3, v3
	v_subrev_u32_e32 v7, 28, v6
	v_and_b32_e32 v4, 15, v4
	v_lshlrev_b32_e32 v3, v7, v3
	v_sub_u32_e32 v6, 29, v6
	v_and_b32_e32 v3, 7, v3
	v_cmp_eq_u16_e32 vcc, 0, v4
	v_cndmask_b32_e32 v2, v2, v3, vcc
	v_cndmask_b32_e32 v3, v4, v6, vcc
	v_lshlrev_b32_e32 v4, 16, v9
	v_mov_b32_e32 v6, 0x3b800000
	v_lshlrev_b32_e32 v2, 20, v2
	v_and_b32_e32 v4, 0x80000000, v4
	v_lshl_add_u32 v3, v3, 23, v6
	v_or3_b32 v2, v4, v3, v2
.LBB31_1260:
	s_or_b64 exec, exec, s[6:7]
	v_lshrrev_b32_e32 v3, 8, v5
	s_movk_i32 s4, 0x7f
	v_cmp_gt_i16_sdwa s[6:7], v3, s4 src0_sel:BYTE_0 src1_sel:DWORD
	s_mov_b64 s[4:5], 0
                                        ; implicit-def: $sgpr10
	s_and_saveexec_b64 s[8:9], s[6:7]
	s_xor_b64 s[6:7], exec, s[8:9]
	s_cbranch_execnz .LBB31_3309
; %bb.1261:
	s_or_saveexec_b64 s[6:7], s[6:7]
	v_mov_b32_e32 v4, s10
	s_xor_b64 exec, exec, s[6:7]
	s_cbranch_execnz .LBB31_3312
.LBB31_1262:
	s_or_b64 exec, exec, s[6:7]
	s_and_saveexec_b64 s[6:7], s[4:5]
	s_cbranch_execz .LBB31_1264
.LBB31_1263:
	v_bfe_u32 v4, v5, 8, 3
	v_ffbh_u32_e32 v7, v4
	v_min_u32_e32 v7, 32, v7
	v_lshrrev_b16_e32 v6, 3, v3
	v_subrev_u32_e32 v8, 28, v7
	v_and_b32_e32 v6, 15, v6
	v_lshlrev_b32_e32 v3, v8, v3
	v_sub_u32_e32 v7, 29, v7
	v_and_b32_e32 v3, 7, v3
	v_cmp_eq_u16_e32 vcc, 0, v6
	v_cndmask_b32_e32 v3, v4, v3, vcc
	v_cndmask_b32_e32 v4, v6, v7, vcc
	v_lshlrev_b32_e32 v6, 16, v5
	v_mov_b32_e32 v7, 0x3b800000
	v_lshlrev_b32_e32 v3, 20, v3
	v_and_b32_e32 v6, 0x80000000, v6
	v_lshl_add_u32 v4, v4, 23, v7
	v_or3_b32 v4, v6, v4, v3
.LBB31_1264:
	s_or_b64 exec, exec, s[6:7]
	s_nop 0
	v_mfma_f32_16x16x4f32 a[0:3], v2, v4, a[0:3]
	s_movk_i32 s4, 0xff
	v_and_b32_sdwa v3, v9, s4 dst_sel:DWORD dst_unused:UNUSED_PAD src0_sel:WORD_1 src1_sel:DWORD
	s_movk_i32 s4, 0x7f
	v_cmp_lt_i16_e32 vcc, s4, v3
	s_mov_b64 s[4:5], 0
                                        ; implicit-def: $sgpr10
	s_and_saveexec_b64 s[6:7], vcc
	s_xor_b64 s[6:7], exec, s[6:7]
	s_cbranch_execnz .LBB31_3313
; %bb.1265:
	s_or_saveexec_b64 s[6:7], s[6:7]
	v_mov_b32_e32 v2, s10
	s_xor_b64 exec, exec, s[6:7]
	s_cbranch_execnz .LBB31_3316
.LBB31_1266:
	s_or_b64 exec, exec, s[6:7]
	s_and_saveexec_b64 s[6:7], s[4:5]
	s_cbranch_execz .LBB31_1268
.LBB31_1267:
	v_bfe_u32 v2, v9, 16, 3
	v_ffbh_u32_e32 v6, v2
	v_min_u32_e32 v6, 32, v6
	v_lshrrev_b32_e32 v3, 19, v9
	v_subrev_u32_e32 v7, 28, v6
	v_and_b32_e32 v3, 15, v3
	v_lshlrev_b32_sdwa v7, v7, v9 dst_sel:DWORD dst_unused:UNUSED_PAD src0_sel:DWORD src1_sel:WORD_1
	v_bfe_u32 v4, v9, 19, 4
	v_sub_u32_e32 v6, 29, v6
	v_and_b32_e32 v7, 7, v7
	v_cmp_eq_u16_e32 vcc, 0, v3
	v_cndmask_b32_e32 v2, v2, v7, vcc
	v_cndmask_b32_e32 v3, v4, v6, vcc
	v_lshlrev_b32_e32 v4, 8, v9
	v_mov_b32_e32 v6, 0x3b800000
	v_lshlrev_b32_e32 v2, 20, v2
	v_and_b32_e32 v4, 0x80000000, v4
	v_lshl_add_u32 v3, v3, 23, v6
	v_or3_b32 v2, v4, v3, v2
.LBB31_1268:
	s_or_b64 exec, exec, s[6:7]
	s_movk_i32 s4, 0xff
	v_and_b32_sdwa v3, v5, s4 dst_sel:DWORD dst_unused:UNUSED_PAD src0_sel:WORD_1 src1_sel:DWORD
	s_movk_i32 s4, 0x7f
	v_cmp_lt_i16_e32 vcc, s4, v3
	s_mov_b64 s[4:5], 0
                                        ; implicit-def: $sgpr10
	s_and_saveexec_b64 s[6:7], vcc
	s_xor_b64 s[6:7], exec, s[6:7]
	s_cbranch_execnz .LBB31_3317
; %bb.1269:
	s_or_saveexec_b64 s[6:7], s[6:7]
	v_mov_b32_e32 v4, s10
	s_xor_b64 exec, exec, s[6:7]
	s_cbranch_execnz .LBB31_3320
.LBB31_1270:
	s_or_b64 exec, exec, s[6:7]
	s_and_saveexec_b64 s[6:7], s[4:5]
	s_cbranch_execz .LBB31_1272
.LBB31_1271:
	v_bfe_u32 v3, v5, 16, 3
	v_ffbh_u32_e32 v7, v3
	v_min_u32_e32 v7, 32, v7
	v_lshrrev_b32_e32 v4, 19, v5
	v_subrev_u32_e32 v8, 28, v7
	v_and_b32_e32 v4, 15, v4
	v_lshlrev_b32_sdwa v8, v8, v5 dst_sel:DWORD dst_unused:UNUSED_PAD src0_sel:DWORD src1_sel:WORD_1
	v_bfe_u32 v6, v5, 19, 4
	v_sub_u32_e32 v7, 29, v7
	v_and_b32_e32 v8, 7, v8
	v_cmp_eq_u16_e32 vcc, 0, v4
	v_cndmask_b32_e32 v3, v3, v8, vcc
	v_cndmask_b32_e32 v4, v6, v7, vcc
	v_lshlrev_b32_e32 v6, 8, v5
	v_mov_b32_e32 v7, 0x3b800000
	v_lshlrev_b32_e32 v3, 20, v3
	v_and_b32_e32 v6, 0x80000000, v6
	v_lshl_add_u32 v4, v4, 23, v7
	v_or3_b32 v4, v6, v4, v3
.LBB31_1272:
	s_or_b64 exec, exec, s[6:7]
	s_nop 0
	v_mfma_f32_16x16x4f32 a[0:3], v2, v4, a[0:3]
	s_movk_i32 s4, 0x7f
	v_cmp_gt_i16_sdwa s[6:7], v9, s4 src0_sel:BYTE_3 src1_sel:DWORD
	s_mov_b64 s[4:5], 0
                                        ; implicit-def: $sgpr10
	s_and_saveexec_b64 s[8:9], s[6:7]
	s_xor_b64 s[6:7], exec, s[8:9]
	s_cbranch_execnz .LBB31_3321
; %bb.1273:
	s_or_saveexec_b64 s[6:7], s[6:7]
	v_mov_b32_e32 v2, s10
	s_xor_b64 exec, exec, s[6:7]
	s_cbranch_execnz .LBB31_3324
.LBB31_1274:
	s_or_b64 exec, exec, s[6:7]
	s_and_saveexec_b64 s[6:7], s[4:5]
	s_cbranch_execz .LBB31_1276
.LBB31_1275:
	v_bfe_u32 v2, v9, 24, 3
	v_ffbh_u32_e32 v7, v2
	v_min_u32_e32 v7, 32, v7
	v_lshrrev_b32_e32 v4, 27, v9
	v_subrev_u32_e32 v8, 28, v7
	v_and_b32_e32 v4, 15, v4
	v_lshlrev_b32_sdwa v8, v8, v9 dst_sel:DWORD dst_unused:UNUSED_PAD src0_sel:DWORD src1_sel:BYTE_3
	v_bfe_u32 v6, v9, 27, 4
	v_sub_u32_e32 v7, 29, v7
	v_and_b32_e32 v8, 7, v8
	v_cmp_eq_u16_e32 vcc, 0, v4
	v_cndmask_b32_e32 v2, v2, v8, vcc
	v_cndmask_b32_e32 v4, v6, v7, vcc
	v_mov_b32_e32 v6, 0x3b800000
	v_and_b32_e32 v3, 0x80000000, v9
	v_lshlrev_b32_e32 v2, 20, v2
	v_lshl_add_u32 v4, v4, 23, v6
	v_or3_b32 v2, v3, v4, v2
.LBB31_1276:
	s_or_b64 exec, exec, s[6:7]
	s_movk_i32 s4, 0x7f
	v_cmp_gt_i16_sdwa s[6:7], v5, s4 src0_sel:BYTE_3 src1_sel:DWORD
	s_mov_b64 s[4:5], 0
                                        ; implicit-def: $sgpr10
	s_and_saveexec_b64 s[8:9], s[6:7]
	s_xor_b64 s[6:7], exec, s[8:9]
	s_cbranch_execnz .LBB31_3325
; %bb.1277:
	s_or_saveexec_b64 s[6:7], s[6:7]
	v_mov_b32_e32 v3, s10
	s_xor_b64 exec, exec, s[6:7]
	s_cbranch_execnz .LBB31_3328
.LBB31_1278:
	s_or_b64 exec, exec, s[6:7]
	s_and_saveexec_b64 s[6:7], s[4:5]
	s_cbranch_execz .LBB31_1280
.LBB31_1279:
	v_bfe_u32 v3, v5, 24, 3
	v_ffbh_u32_e32 v8, v3
	v_min_u32_e32 v8, 32, v8
	v_lshrrev_b32_e32 v6, 27, v5
	v_subrev_u32_e32 v9, 28, v8
	v_and_b32_e32 v4, 0x80000000, v5
	v_and_b32_e32 v6, 15, v6
	v_bfe_u32 v7, v5, 27, 4
	v_lshlrev_b32_sdwa v5, v9, v5 dst_sel:DWORD dst_unused:UNUSED_PAD src0_sel:DWORD src1_sel:BYTE_3
	v_sub_u32_e32 v8, 29, v8
	v_and_b32_e32 v5, 7, v5
	v_cmp_eq_u16_e32 vcc, 0, v6
	v_cndmask_b32_e32 v3, v3, v5, vcc
	v_cndmask_b32_e32 v5, v7, v8, vcc
	v_mov_b32_e32 v6, 0x3b800000
	v_lshlrev_b32_e32 v3, 20, v3
	v_lshl_add_u32 v5, v5, 23, v6
	v_or3_b32 v3, v4, v5, v3
.LBB31_1280:
	s_or_b64 exec, exec, s[6:7]
	s_nop 0
	v_mfma_f32_16x16x4f32 a[0:3], v2, v3, a[0:3]
	s_movk_i32 s4, 0x7f
                                        ; implicit-def: $sgpr10
	s_nop 7
	s_nop 1
	flat_store_dwordx4 v[18:19], a[0:3] offset:448
	flat_load_dwordx4 v[20:23], v[0:1] offset:16
	s_nop 0
	flat_load_dwordx2 v[18:19], v[0:1] offset:32
	s_waitcnt vmcnt(0) lgkmcnt(0)
	flat_load_dwordx4 v[14:17], v[20:21] offset:32
	flat_load_dwordx4 v[6:9], v[20:21] offset:48
	;; [unrolled: 1-line block ×4, first 2 shown]
	s_waitcnt vmcnt(0) lgkmcnt(0)
	v_cmp_gt_i16_sdwa s[6:7], v14, s4 src0_sel:BYTE_0 src1_sel:DWORD
	s_mov_b64 s[4:5], 0
	s_and_saveexec_b64 s[8:9], s[6:7]
	s_xor_b64 s[6:7], exec, s[8:9]
	s_cbranch_execnz .LBB31_3329
; %bb.1281:
	s_or_saveexec_b64 s[6:7], s[6:7]
	v_mov_b32_e32 v20, s10
	s_xor_b64 exec, exec, s[6:7]
	s_cbranch_execnz .LBB31_3332
.LBB31_1282:
	s_or_b64 exec, exec, s[6:7]
	s_and_saveexec_b64 s[6:7], s[4:5]
	s_cbranch_execz .LBB31_1284
.LBB31_1283:
	v_and_b32_e32 v20, 7, v14
	v_ffbh_u32_e32 v22, v20
	v_min_u32_e32 v22, 32, v22
	v_lshrrev_b16_e32 v21, 3, v14
	v_subrev_u32_e32 v23, 28, v22
	v_and_b32_e32 v21, 15, v21
	v_lshlrev_b32_e32 v23, v23, v14
	v_sub_u32_e32 v22, 29, v22
	v_and_b32_e32 v23, 7, v23
	v_cmp_eq_u16_e32 vcc, 0, v21
	v_cndmask_b32_e32 v20, v20, v23, vcc
	v_cndmask_b32_e32 v21, v21, v22, vcc
	v_lshlrev_b32_e32 v22, 24, v14
	v_mov_b32_e32 v23, 0x3b800000
	v_lshlrev_b32_e32 v20, 20, v20
	v_and_b32_e32 v22, 0x80000000, v22
	v_lshl_add_u32 v21, v21, 23, v23
	v_or3_b32 v20, v22, v21, v20
.LBB31_1284:
	s_or_b64 exec, exec, s[6:7]
	s_movk_i32 s4, 0x7f
	v_cmp_gt_i16_sdwa s[6:7], v10, s4 src0_sel:BYTE_0 src1_sel:DWORD
	s_mov_b64 s[4:5], 0
                                        ; implicit-def: $sgpr10
	s_and_saveexec_b64 s[8:9], s[6:7]
	s_xor_b64 s[6:7], exec, s[8:9]
	s_cbranch_execnz .LBB31_3333
; %bb.1285:
	s_or_saveexec_b64 s[6:7], s[6:7]
	v_mov_b32_e32 v21, s10
	s_xor_b64 exec, exec, s[6:7]
	s_cbranch_execnz .LBB31_3336
.LBB31_1286:
	s_or_b64 exec, exec, s[6:7]
	s_and_saveexec_b64 s[6:7], s[4:5]
	s_cbranch_execz .LBB31_1288
.LBB31_1287:
	v_and_b32_e32 v21, 7, v10
	v_ffbh_u32_e32 v23, v21
	v_min_u32_e32 v23, 32, v23
	v_lshrrev_b16_e32 v22, 3, v10
	v_subrev_u32_e32 v24, 28, v23
	v_and_b32_e32 v22, 15, v22
	v_lshlrev_b32_e32 v24, v24, v10
	v_sub_u32_e32 v23, 29, v23
	v_and_b32_e32 v24, 7, v24
	v_cmp_eq_u16_e32 vcc, 0, v22
	v_cndmask_b32_e32 v21, v21, v24, vcc
	v_cndmask_b32_e32 v22, v22, v23, vcc
	v_lshlrev_b32_e32 v23, 24, v10
	v_mov_b32_e32 v24, 0x3b800000
	v_lshlrev_b32_e32 v21, 20, v21
	v_and_b32_e32 v23, 0x80000000, v23
	v_lshl_add_u32 v22, v22, 23, v24
	v_or3_b32 v21, v23, v22, v21
.LBB31_1288:
	s_or_b64 exec, exec, s[6:7]
	flat_load_dwordx4 a[0:3], v[18:19] offset:464
	s_movk_i32 s4, 0x7f
                                        ; implicit-def: $sgpr10
	s_waitcnt vmcnt(0) lgkmcnt(0)
	v_mfma_f32_16x16x4f32 a[0:3], v20, v21, a[0:3]
	v_lshrrev_b32_e32 v21, 8, v14
	v_cmp_gt_i16_sdwa s[6:7], v21, s4 src0_sel:BYTE_0 src1_sel:DWORD
	s_mov_b64 s[4:5], 0
	s_and_saveexec_b64 s[8:9], s[6:7]
	s_xor_b64 s[6:7], exec, s[8:9]
	s_cbranch_execnz .LBB31_3337
; %bb.1289:
	s_or_saveexec_b64 s[6:7], s[6:7]
	v_mov_b32_e32 v20, s10
	s_xor_b64 exec, exec, s[6:7]
	s_cbranch_execnz .LBB31_3340
.LBB31_1290:
	s_or_b64 exec, exec, s[6:7]
	s_and_saveexec_b64 s[6:7], s[4:5]
	s_cbranch_execz .LBB31_1292
.LBB31_1291:
	v_bfe_u32 v20, v14, 8, 3
	v_ffbh_u32_e32 v23, v20
	v_min_u32_e32 v23, 32, v23
	v_lshrrev_b16_e32 v22, 3, v21
	v_subrev_u32_e32 v24, 28, v23
	v_and_b32_e32 v22, 15, v22
	v_lshlrev_b32_e32 v21, v24, v21
	v_sub_u32_e32 v23, 29, v23
	v_and_b32_e32 v21, 7, v21
	v_cmp_eq_u16_e32 vcc, 0, v22
	v_cndmask_b32_e32 v20, v20, v21, vcc
	v_cndmask_b32_e32 v21, v22, v23, vcc
	v_lshlrev_b32_e32 v22, 16, v14
	v_mov_b32_e32 v23, 0x3b800000
	v_lshlrev_b32_e32 v20, 20, v20
	v_and_b32_e32 v22, 0x80000000, v22
	v_lshl_add_u32 v21, v21, 23, v23
	v_or3_b32 v20, v22, v21, v20
.LBB31_1292:
	s_or_b64 exec, exec, s[6:7]
	v_lshrrev_b32_e32 v21, 8, v10
	s_movk_i32 s4, 0x7f
	v_cmp_gt_i16_sdwa s[6:7], v21, s4 src0_sel:BYTE_0 src1_sel:DWORD
	s_mov_b64 s[4:5], 0
                                        ; implicit-def: $sgpr10
	s_and_saveexec_b64 s[8:9], s[6:7]
	s_xor_b64 s[6:7], exec, s[8:9]
	s_cbranch_execnz .LBB31_3341
; %bb.1293:
	s_or_saveexec_b64 s[6:7], s[6:7]
	v_mov_b32_e32 v22, s10
	s_xor_b64 exec, exec, s[6:7]
	s_cbranch_execnz .LBB31_3344
.LBB31_1294:
	s_or_b64 exec, exec, s[6:7]
	s_and_saveexec_b64 s[6:7], s[4:5]
	s_cbranch_execz .LBB31_1296
.LBB31_1295:
	v_bfe_u32 v22, v10, 8, 3
	v_ffbh_u32_e32 v24, v22
	v_min_u32_e32 v24, 32, v24
	v_lshrrev_b16_e32 v23, 3, v21
	v_subrev_u32_e32 v25, 28, v24
	v_and_b32_e32 v23, 15, v23
	v_lshlrev_b32_e32 v21, v25, v21
	v_sub_u32_e32 v24, 29, v24
	v_and_b32_e32 v21, 7, v21
	v_cmp_eq_u16_e32 vcc, 0, v23
	v_cndmask_b32_e32 v21, v22, v21, vcc
	v_cndmask_b32_e32 v22, v23, v24, vcc
	v_lshlrev_b32_e32 v23, 16, v10
	v_mov_b32_e32 v24, 0x3b800000
	v_lshlrev_b32_e32 v21, 20, v21
	v_and_b32_e32 v23, 0x80000000, v23
	v_lshl_add_u32 v22, v22, 23, v24
	v_or3_b32 v22, v23, v22, v21
.LBB31_1296:
	s_or_b64 exec, exec, s[6:7]
	s_nop 0
	v_mfma_f32_16x16x4f32 a[0:3], v20, v22, a[0:3]
	s_movk_i32 s4, 0xff
	v_and_b32_sdwa v21, v14, s4 dst_sel:DWORD dst_unused:UNUSED_PAD src0_sel:WORD_1 src1_sel:DWORD
	s_movk_i32 s4, 0x7f
	v_cmp_lt_i16_e32 vcc, s4, v21
	s_mov_b64 s[4:5], 0
                                        ; implicit-def: $sgpr10
	s_and_saveexec_b64 s[6:7], vcc
	s_xor_b64 s[6:7], exec, s[6:7]
	s_cbranch_execnz .LBB31_3345
; %bb.1297:
	s_or_saveexec_b64 s[6:7], s[6:7]
	v_mov_b32_e32 v20, s10
	s_xor_b64 exec, exec, s[6:7]
	s_cbranch_execnz .LBB31_3348
.LBB31_1298:
	s_or_b64 exec, exec, s[6:7]
	s_and_saveexec_b64 s[6:7], s[4:5]
	s_cbranch_execz .LBB31_1300
.LBB31_1299:
	v_bfe_u32 v20, v14, 16, 3
	v_ffbh_u32_e32 v23, v20
	v_min_u32_e32 v23, 32, v23
	v_lshrrev_b32_e32 v21, 19, v14
	v_subrev_u32_e32 v24, 28, v23
	v_and_b32_e32 v21, 15, v21
	v_lshlrev_b32_sdwa v24, v24, v14 dst_sel:DWORD dst_unused:UNUSED_PAD src0_sel:DWORD src1_sel:WORD_1
	v_bfe_u32 v22, v14, 19, 4
	v_sub_u32_e32 v23, 29, v23
	v_and_b32_e32 v24, 7, v24
	v_cmp_eq_u16_e32 vcc, 0, v21
	v_cndmask_b32_e32 v20, v20, v24, vcc
	v_cndmask_b32_e32 v21, v22, v23, vcc
	v_lshlrev_b32_e32 v22, 8, v14
	v_mov_b32_e32 v23, 0x3b800000
	v_lshlrev_b32_e32 v20, 20, v20
	v_and_b32_e32 v22, 0x80000000, v22
	v_lshl_add_u32 v21, v21, 23, v23
	v_or3_b32 v20, v22, v21, v20
.LBB31_1300:
	s_or_b64 exec, exec, s[6:7]
	s_movk_i32 s4, 0xff
	v_and_b32_sdwa v21, v10, s4 dst_sel:DWORD dst_unused:UNUSED_PAD src0_sel:WORD_1 src1_sel:DWORD
	s_movk_i32 s4, 0x7f
	v_cmp_lt_i16_e32 vcc, s4, v21
	s_mov_b64 s[4:5], 0
                                        ; implicit-def: $sgpr10
	s_and_saveexec_b64 s[6:7], vcc
	s_xor_b64 s[6:7], exec, s[6:7]
	s_cbranch_execnz .LBB31_3349
; %bb.1301:
	s_or_saveexec_b64 s[6:7], s[6:7]
	v_mov_b32_e32 v22, s10
	s_xor_b64 exec, exec, s[6:7]
	s_cbranch_execnz .LBB31_3352
.LBB31_1302:
	s_or_b64 exec, exec, s[6:7]
	s_and_saveexec_b64 s[6:7], s[4:5]
	s_cbranch_execz .LBB31_1304
.LBB31_1303:
	v_bfe_u32 v21, v10, 16, 3
	v_ffbh_u32_e32 v24, v21
	v_min_u32_e32 v24, 32, v24
	v_lshrrev_b32_e32 v22, 19, v10
	v_subrev_u32_e32 v25, 28, v24
	v_and_b32_e32 v22, 15, v22
	v_lshlrev_b32_sdwa v25, v25, v10 dst_sel:DWORD dst_unused:UNUSED_PAD src0_sel:DWORD src1_sel:WORD_1
	v_bfe_u32 v23, v10, 19, 4
	v_sub_u32_e32 v24, 29, v24
	v_and_b32_e32 v25, 7, v25
	v_cmp_eq_u16_e32 vcc, 0, v22
	v_cndmask_b32_e32 v21, v21, v25, vcc
	v_cndmask_b32_e32 v22, v23, v24, vcc
	v_lshlrev_b32_e32 v23, 8, v10
	v_mov_b32_e32 v24, 0x3b800000
	v_lshlrev_b32_e32 v21, 20, v21
	v_and_b32_e32 v23, 0x80000000, v23
	v_lshl_add_u32 v22, v22, 23, v24
	v_or3_b32 v22, v23, v22, v21
.LBB31_1304:
	s_or_b64 exec, exec, s[6:7]
	s_nop 0
	v_mfma_f32_16x16x4f32 a[0:3], v20, v22, a[0:3]
	s_movk_i32 s4, 0x7f
	v_cmp_gt_i16_sdwa s[6:7], v14, s4 src0_sel:BYTE_3 src1_sel:DWORD
	s_mov_b64 s[4:5], 0
                                        ; implicit-def: $sgpr10
	s_and_saveexec_b64 s[8:9], s[6:7]
	s_xor_b64 s[6:7], exec, s[8:9]
	s_cbranch_execnz .LBB31_3353
; %bb.1305:
	s_or_saveexec_b64 s[6:7], s[6:7]
	v_mov_b32_e32 v20, s10
	s_xor_b64 exec, exec, s[6:7]
	s_cbranch_execnz .LBB31_3356
.LBB31_1306:
	s_or_b64 exec, exec, s[6:7]
	s_and_saveexec_b64 s[6:7], s[4:5]
	s_cbranch_execz .LBB31_1308
.LBB31_1307:
	v_bfe_u32 v20, v14, 24, 3
	v_ffbh_u32_e32 v24, v20
	v_min_u32_e32 v24, 32, v24
	v_lshrrev_b32_e32 v22, 27, v14
	v_subrev_u32_e32 v25, 28, v24
	v_and_b32_e32 v21, 0x80000000, v14
	v_and_b32_e32 v22, 15, v22
	v_bfe_u32 v23, v14, 27, 4
	v_lshlrev_b32_sdwa v14, v25, v14 dst_sel:DWORD dst_unused:UNUSED_PAD src0_sel:DWORD src1_sel:BYTE_3
	v_sub_u32_e32 v24, 29, v24
	v_and_b32_e32 v14, 7, v14
	v_cmp_eq_u16_e32 vcc, 0, v22
	v_cndmask_b32_e32 v14, v20, v14, vcc
	v_cndmask_b32_e32 v20, v23, v24, vcc
	v_mov_b32_e32 v22, 0x3b800000
	v_lshlrev_b32_e32 v14, 20, v14
	v_lshl_add_u32 v20, v20, 23, v22
	v_or3_b32 v20, v21, v20, v14
.LBB31_1308:
	s_or_b64 exec, exec, s[6:7]
	s_movk_i32 s4, 0x7f
	v_cmp_gt_i16_sdwa s[6:7], v10, s4 src0_sel:BYTE_3 src1_sel:DWORD
	s_mov_b64 s[4:5], 0
                                        ; implicit-def: $sgpr10
	s_and_saveexec_b64 s[8:9], s[6:7]
	s_xor_b64 s[6:7], exec, s[8:9]
	s_cbranch_execnz .LBB31_3357
; %bb.1309:
	s_or_saveexec_b64 s[6:7], s[6:7]
	v_mov_b32_e32 v14, s10
	s_xor_b64 exec, exec, s[6:7]
	s_cbranch_execnz .LBB31_3360
.LBB31_1310:
	s_or_b64 exec, exec, s[6:7]
	s_and_saveexec_b64 s[6:7], s[4:5]
	s_cbranch_execz .LBB31_1312
.LBB31_1311:
	v_bfe_u32 v14, v10, 24, 3
	v_ffbh_u32_e32 v24, v14
	v_min_u32_e32 v24, 32, v24
	v_lshrrev_b32_e32 v22, 27, v10
	v_subrev_u32_e32 v25, 28, v24
	v_and_b32_e32 v21, 0x80000000, v10
	v_and_b32_e32 v22, 15, v22
	v_bfe_u32 v23, v10, 27, 4
	v_lshlrev_b32_sdwa v10, v25, v10 dst_sel:DWORD dst_unused:UNUSED_PAD src0_sel:DWORD src1_sel:BYTE_3
	v_sub_u32_e32 v24, 29, v24
	v_and_b32_e32 v10, 7, v10
	v_cmp_eq_u16_e32 vcc, 0, v22
	v_cndmask_b32_e32 v10, v14, v10, vcc
	v_cndmask_b32_e32 v14, v23, v24, vcc
	v_mov_b32_e32 v22, 0x3b800000
	v_lshlrev_b32_e32 v10, 20, v10
	v_lshl_add_u32 v14, v14, 23, v22
	v_or3_b32 v14, v21, v14, v10
.LBB31_1312:
	s_or_b64 exec, exec, s[6:7]
	s_nop 0
	v_mfma_f32_16x16x4f32 a[0:3], v20, v14, a[0:3]
	s_movk_i32 s4, 0x7f
	v_cmp_gt_i16_sdwa s[6:7], v15, s4 src0_sel:BYTE_0 src1_sel:DWORD
	s_mov_b64 s[4:5], 0
                                        ; implicit-def: $sgpr10
	s_and_saveexec_b64 s[8:9], s[6:7]
	s_xor_b64 s[6:7], exec, s[8:9]
	s_cbranch_execnz .LBB31_3361
; %bb.1313:
	s_or_saveexec_b64 s[6:7], s[6:7]
	v_mov_b32_e32 v10, s10
	s_xor_b64 exec, exec, s[6:7]
	s_cbranch_execnz .LBB31_3364
.LBB31_1314:
	s_or_b64 exec, exec, s[6:7]
	s_and_saveexec_b64 s[6:7], s[4:5]
	s_cbranch_execz .LBB31_1316
.LBB31_1315:
	v_and_b32_e32 v10, 7, v15
	v_ffbh_u32_e32 v20, v10
	v_min_u32_e32 v20, 32, v20
	v_lshrrev_b16_e32 v14, 3, v15
	v_subrev_u32_e32 v21, 28, v20
	v_and_b32_e32 v14, 15, v14
	v_lshlrev_b32_e32 v21, v21, v15
	v_sub_u32_e32 v20, 29, v20
	v_and_b32_e32 v21, 7, v21
	v_cmp_eq_u16_e32 vcc, 0, v14
	v_cndmask_b32_e32 v10, v10, v21, vcc
	v_cndmask_b32_e32 v14, v14, v20, vcc
	v_lshlrev_b32_e32 v20, 24, v15
	v_mov_b32_e32 v21, 0x3b800000
	v_lshlrev_b32_e32 v10, 20, v10
	v_and_b32_e32 v20, 0x80000000, v20
	v_lshl_add_u32 v14, v14, 23, v21
	v_or3_b32 v10, v20, v14, v10
.LBB31_1316:
	s_or_b64 exec, exec, s[6:7]
	s_movk_i32 s4, 0x7f
	v_cmp_gt_i16_sdwa s[6:7], v11, s4 src0_sel:BYTE_0 src1_sel:DWORD
	s_mov_b64 s[4:5], 0
                                        ; implicit-def: $sgpr10
	s_and_saveexec_b64 s[8:9], s[6:7]
	s_xor_b64 s[6:7], exec, s[8:9]
	s_cbranch_execnz .LBB31_3365
; %bb.1317:
	s_or_saveexec_b64 s[6:7], s[6:7]
	v_mov_b32_e32 v14, s10
	s_xor_b64 exec, exec, s[6:7]
	s_cbranch_execnz .LBB31_3368
.LBB31_1318:
	s_or_b64 exec, exec, s[6:7]
	s_and_saveexec_b64 s[6:7], s[4:5]
	s_cbranch_execz .LBB31_1320
.LBB31_1319:
	v_and_b32_e32 v14, 7, v11
	v_ffbh_u32_e32 v21, v14
	v_min_u32_e32 v21, 32, v21
	v_lshrrev_b16_e32 v20, 3, v11
	v_subrev_u32_e32 v22, 28, v21
	v_and_b32_e32 v20, 15, v20
	v_lshlrev_b32_e32 v22, v22, v11
	v_sub_u32_e32 v21, 29, v21
	v_and_b32_e32 v22, 7, v22
	v_cmp_eq_u16_e32 vcc, 0, v20
	v_cndmask_b32_e32 v14, v14, v22, vcc
	v_cndmask_b32_e32 v20, v20, v21, vcc
	v_lshlrev_b32_e32 v21, 24, v11
	v_mov_b32_e32 v22, 0x3b800000
	v_lshlrev_b32_e32 v14, 20, v14
	v_and_b32_e32 v21, 0x80000000, v21
	v_lshl_add_u32 v20, v20, 23, v22
	v_or3_b32 v14, v21, v20, v14
.LBB31_1320:
	s_or_b64 exec, exec, s[6:7]
	s_nop 0
	v_mfma_f32_16x16x4f32 a[0:3], v10, v14, a[0:3]
	v_lshrrev_b32_e32 v14, 8, v15
	s_movk_i32 s4, 0x7f
	v_cmp_gt_i16_sdwa s[6:7], v14, s4 src0_sel:BYTE_0 src1_sel:DWORD
	s_mov_b64 s[4:5], 0
                                        ; implicit-def: $sgpr10
	s_and_saveexec_b64 s[8:9], s[6:7]
	s_xor_b64 s[6:7], exec, s[8:9]
	s_cbranch_execnz .LBB31_3369
; %bb.1321:
	s_or_saveexec_b64 s[6:7], s[6:7]
	v_mov_b32_e32 v10, s10
	s_xor_b64 exec, exec, s[6:7]
	s_cbranch_execnz .LBB31_3372
.LBB31_1322:
	s_or_b64 exec, exec, s[6:7]
	s_and_saveexec_b64 s[6:7], s[4:5]
	s_cbranch_execz .LBB31_1324
.LBB31_1323:
	v_bfe_u32 v10, v15, 8, 3
	v_ffbh_u32_e32 v21, v10
	v_min_u32_e32 v21, 32, v21
	v_lshrrev_b16_e32 v20, 3, v14
	v_subrev_u32_e32 v22, 28, v21
	v_and_b32_e32 v20, 15, v20
	v_lshlrev_b32_e32 v14, v22, v14
	v_sub_u32_e32 v21, 29, v21
	v_and_b32_e32 v14, 7, v14
	v_cmp_eq_u16_e32 vcc, 0, v20
	v_cndmask_b32_e32 v10, v10, v14, vcc
	v_cndmask_b32_e32 v14, v20, v21, vcc
	v_lshlrev_b32_e32 v20, 16, v15
	v_mov_b32_e32 v21, 0x3b800000
	v_lshlrev_b32_e32 v10, 20, v10
	v_and_b32_e32 v20, 0x80000000, v20
	v_lshl_add_u32 v14, v14, 23, v21
	v_or3_b32 v10, v20, v14, v10
.LBB31_1324:
	s_or_b64 exec, exec, s[6:7]
	v_lshrrev_b32_e32 v14, 8, v11
	s_movk_i32 s4, 0x7f
	v_cmp_gt_i16_sdwa s[6:7], v14, s4 src0_sel:BYTE_0 src1_sel:DWORD
	s_mov_b64 s[4:5], 0
                                        ; implicit-def: $sgpr10
	s_and_saveexec_b64 s[8:9], s[6:7]
	s_xor_b64 s[6:7], exec, s[8:9]
	s_cbranch_execnz .LBB31_3373
; %bb.1325:
	s_or_saveexec_b64 s[6:7], s[6:7]
	v_mov_b32_e32 v20, s10
	s_xor_b64 exec, exec, s[6:7]
	s_cbranch_execnz .LBB31_3376
.LBB31_1326:
	s_or_b64 exec, exec, s[6:7]
	s_and_saveexec_b64 s[6:7], s[4:5]
	s_cbranch_execz .LBB31_1328
.LBB31_1327:
	v_bfe_u32 v20, v11, 8, 3
	v_ffbh_u32_e32 v22, v20
	v_min_u32_e32 v22, 32, v22
	v_lshrrev_b16_e32 v21, 3, v14
	v_subrev_u32_e32 v23, 28, v22
	v_and_b32_e32 v21, 15, v21
	v_lshlrev_b32_e32 v14, v23, v14
	v_sub_u32_e32 v22, 29, v22
	v_and_b32_e32 v14, 7, v14
	v_cmp_eq_u16_e32 vcc, 0, v21
	v_cndmask_b32_e32 v14, v20, v14, vcc
	v_cndmask_b32_e32 v20, v21, v22, vcc
	v_lshlrev_b32_e32 v21, 16, v11
	v_mov_b32_e32 v22, 0x3b800000
	v_lshlrev_b32_e32 v14, 20, v14
	v_and_b32_e32 v21, 0x80000000, v21
	v_lshl_add_u32 v20, v20, 23, v22
	v_or3_b32 v20, v21, v20, v14
.LBB31_1328:
	s_or_b64 exec, exec, s[6:7]
	s_nop 0
	v_mfma_f32_16x16x4f32 a[0:3], v10, v20, a[0:3]
	s_movk_i32 s4, 0xff
	v_and_b32_sdwa v14, v15, s4 dst_sel:DWORD dst_unused:UNUSED_PAD src0_sel:WORD_1 src1_sel:DWORD
	s_movk_i32 s4, 0x7f
	v_cmp_lt_i16_e32 vcc, s4, v14
	s_mov_b64 s[4:5], 0
                                        ; implicit-def: $sgpr10
	s_and_saveexec_b64 s[6:7], vcc
	s_xor_b64 s[6:7], exec, s[6:7]
	s_cbranch_execnz .LBB31_3377
; %bb.1329:
	s_or_saveexec_b64 s[6:7], s[6:7]
	v_mov_b32_e32 v10, s10
	s_xor_b64 exec, exec, s[6:7]
	s_cbranch_execnz .LBB31_3380
.LBB31_1330:
	s_or_b64 exec, exec, s[6:7]
	s_and_saveexec_b64 s[6:7], s[4:5]
	s_cbranch_execz .LBB31_1332
.LBB31_1331:
	v_bfe_u32 v10, v15, 16, 3
	v_ffbh_u32_e32 v21, v10
	v_min_u32_e32 v21, 32, v21
	v_lshrrev_b32_e32 v14, 19, v15
	v_subrev_u32_e32 v22, 28, v21
	v_and_b32_e32 v14, 15, v14
	v_lshlrev_b32_sdwa v22, v22, v15 dst_sel:DWORD dst_unused:UNUSED_PAD src0_sel:DWORD src1_sel:WORD_1
	v_bfe_u32 v20, v15, 19, 4
	v_sub_u32_e32 v21, 29, v21
	v_and_b32_e32 v22, 7, v22
	v_cmp_eq_u16_e32 vcc, 0, v14
	v_cndmask_b32_e32 v10, v10, v22, vcc
	v_cndmask_b32_e32 v14, v20, v21, vcc
	v_lshlrev_b32_e32 v20, 8, v15
	v_mov_b32_e32 v21, 0x3b800000
	v_lshlrev_b32_e32 v10, 20, v10
	v_and_b32_e32 v20, 0x80000000, v20
	v_lshl_add_u32 v14, v14, 23, v21
	v_or3_b32 v10, v20, v14, v10
.LBB31_1332:
	s_or_b64 exec, exec, s[6:7]
	s_movk_i32 s4, 0xff
	v_and_b32_sdwa v14, v11, s4 dst_sel:DWORD dst_unused:UNUSED_PAD src0_sel:WORD_1 src1_sel:DWORD
	s_movk_i32 s4, 0x7f
	v_cmp_lt_i16_e32 vcc, s4, v14
	s_mov_b64 s[4:5], 0
                                        ; implicit-def: $sgpr10
	s_and_saveexec_b64 s[6:7], vcc
	s_xor_b64 s[6:7], exec, s[6:7]
	s_cbranch_execnz .LBB31_3381
; %bb.1333:
	s_or_saveexec_b64 s[6:7], s[6:7]
	v_mov_b32_e32 v20, s10
	s_xor_b64 exec, exec, s[6:7]
	s_cbranch_execnz .LBB31_3384
.LBB31_1334:
	s_or_b64 exec, exec, s[6:7]
	s_and_saveexec_b64 s[6:7], s[4:5]
	s_cbranch_execz .LBB31_1336
.LBB31_1335:
	v_bfe_u32 v14, v11, 16, 3
	v_ffbh_u32_e32 v22, v14
	v_min_u32_e32 v22, 32, v22
	v_lshrrev_b32_e32 v20, 19, v11
	v_subrev_u32_e32 v23, 28, v22
	v_and_b32_e32 v20, 15, v20
	v_lshlrev_b32_sdwa v23, v23, v11 dst_sel:DWORD dst_unused:UNUSED_PAD src0_sel:DWORD src1_sel:WORD_1
	v_bfe_u32 v21, v11, 19, 4
	v_sub_u32_e32 v22, 29, v22
	v_and_b32_e32 v23, 7, v23
	v_cmp_eq_u16_e32 vcc, 0, v20
	v_cndmask_b32_e32 v14, v14, v23, vcc
	v_cndmask_b32_e32 v20, v21, v22, vcc
	v_lshlrev_b32_e32 v21, 8, v11
	v_mov_b32_e32 v22, 0x3b800000
	v_lshlrev_b32_e32 v14, 20, v14
	v_and_b32_e32 v21, 0x80000000, v21
	v_lshl_add_u32 v20, v20, 23, v22
	v_or3_b32 v20, v21, v20, v14
.LBB31_1336:
	s_or_b64 exec, exec, s[6:7]
	s_nop 0
	v_mfma_f32_16x16x4f32 a[0:3], v10, v20, a[0:3]
	s_movk_i32 s4, 0x7f
	v_cmp_gt_i16_sdwa s[6:7], v15, s4 src0_sel:BYTE_3 src1_sel:DWORD
	s_mov_b64 s[4:5], 0
                                        ; implicit-def: $sgpr10
	s_and_saveexec_b64 s[8:9], s[6:7]
	s_xor_b64 s[6:7], exec, s[8:9]
	s_cbranch_execnz .LBB31_3385
; %bb.1337:
	s_or_saveexec_b64 s[6:7], s[6:7]
	v_mov_b32_e32 v10, s10
	s_xor_b64 exec, exec, s[6:7]
	s_cbranch_execnz .LBB31_3388
.LBB31_1338:
	s_or_b64 exec, exec, s[6:7]
	s_and_saveexec_b64 s[6:7], s[4:5]
	s_cbranch_execz .LBB31_1340
.LBB31_1339:
	v_bfe_u32 v10, v15, 24, 3
	v_ffbh_u32_e32 v22, v10
	v_min_u32_e32 v22, 32, v22
	v_lshrrev_b32_e32 v20, 27, v15
	v_subrev_u32_e32 v23, 28, v22
	v_and_b32_e32 v14, 0x80000000, v15
	v_and_b32_e32 v20, 15, v20
	v_bfe_u32 v21, v15, 27, 4
	v_lshlrev_b32_sdwa v15, v23, v15 dst_sel:DWORD dst_unused:UNUSED_PAD src0_sel:DWORD src1_sel:BYTE_3
	v_sub_u32_e32 v22, 29, v22
	v_and_b32_e32 v15, 7, v15
	v_cmp_eq_u16_e32 vcc, 0, v20
	v_cndmask_b32_e32 v10, v10, v15, vcc
	v_cndmask_b32_e32 v15, v21, v22, vcc
	v_mov_b32_e32 v20, 0x3b800000
	v_lshlrev_b32_e32 v10, 20, v10
	v_lshl_add_u32 v15, v15, 23, v20
	v_or3_b32 v10, v14, v15, v10
.LBB31_1340:
	s_or_b64 exec, exec, s[6:7]
	s_movk_i32 s4, 0x7f
	v_cmp_gt_i16_sdwa s[6:7], v11, s4 src0_sel:BYTE_3 src1_sel:DWORD
	s_mov_b64 s[4:5], 0
                                        ; implicit-def: $sgpr10
	s_and_saveexec_b64 s[8:9], s[6:7]
	s_xor_b64 s[6:7], exec, s[8:9]
	s_cbranch_execnz .LBB31_3389
; %bb.1341:
	s_or_saveexec_b64 s[6:7], s[6:7]
	v_mov_b32_e32 v14, s10
	s_xor_b64 exec, exec, s[6:7]
	s_cbranch_execnz .LBB31_3392
.LBB31_1342:
	s_or_b64 exec, exec, s[6:7]
	s_and_saveexec_b64 s[6:7], s[4:5]
	s_cbranch_execz .LBB31_1344
.LBB31_1343:
	v_bfe_u32 v14, v11, 24, 3
	v_ffbh_u32_e32 v22, v14
	v_min_u32_e32 v22, 32, v22
	v_lshrrev_b32_e32 v20, 27, v11
	v_subrev_u32_e32 v23, 28, v22
	v_and_b32_e32 v15, 0x80000000, v11
	v_and_b32_e32 v20, 15, v20
	v_bfe_u32 v21, v11, 27, 4
	v_lshlrev_b32_sdwa v11, v23, v11 dst_sel:DWORD dst_unused:UNUSED_PAD src0_sel:DWORD src1_sel:BYTE_3
	v_sub_u32_e32 v22, 29, v22
	v_and_b32_e32 v11, 7, v11
	v_cmp_eq_u16_e32 vcc, 0, v20
	v_cndmask_b32_e32 v11, v14, v11, vcc
	v_cndmask_b32_e32 v14, v21, v22, vcc
	v_mov_b32_e32 v20, 0x3b800000
	v_lshlrev_b32_e32 v11, 20, v11
	v_lshl_add_u32 v14, v14, 23, v20
	v_or3_b32 v14, v15, v14, v11
.LBB31_1344:
	s_or_b64 exec, exec, s[6:7]
	s_nop 0
	v_mfma_f32_16x16x4f32 a[0:3], v10, v14, a[0:3]
	s_movk_i32 s4, 0x7f
	v_cmp_gt_i16_sdwa s[6:7], v16, s4 src0_sel:BYTE_0 src1_sel:DWORD
	s_mov_b64 s[4:5], 0
                                        ; implicit-def: $sgpr10
	s_and_saveexec_b64 s[8:9], s[6:7]
	s_xor_b64 s[6:7], exec, s[8:9]
	s_cbranch_execnz .LBB31_3393
; %bb.1345:
	s_or_saveexec_b64 s[6:7], s[6:7]
	v_mov_b32_e32 v10, s10
	s_xor_b64 exec, exec, s[6:7]
	s_cbranch_execnz .LBB31_3396
.LBB31_1346:
	s_or_b64 exec, exec, s[6:7]
	s_and_saveexec_b64 s[6:7], s[4:5]
	s_cbranch_execz .LBB31_1348
.LBB31_1347:
	v_and_b32_e32 v10, 7, v16
	v_ffbh_u32_e32 v14, v10
	v_min_u32_e32 v14, 32, v14
	v_lshrrev_b16_e32 v11, 3, v16
	v_subrev_u32_e32 v15, 28, v14
	v_and_b32_e32 v11, 15, v11
	v_lshlrev_b32_e32 v15, v15, v16
	v_sub_u32_e32 v14, 29, v14
	v_and_b32_e32 v15, 7, v15
	v_cmp_eq_u16_e32 vcc, 0, v11
	v_cndmask_b32_e32 v10, v10, v15, vcc
	v_cndmask_b32_e32 v11, v11, v14, vcc
	v_lshlrev_b32_e32 v14, 24, v16
	v_mov_b32_e32 v15, 0x3b800000
	v_lshlrev_b32_e32 v10, 20, v10
	v_and_b32_e32 v14, 0x80000000, v14
	v_lshl_add_u32 v11, v11, 23, v15
	v_or3_b32 v10, v14, v11, v10
.LBB31_1348:
	s_or_b64 exec, exec, s[6:7]
	s_movk_i32 s4, 0x7f
	v_cmp_gt_i16_sdwa s[6:7], v12, s4 src0_sel:BYTE_0 src1_sel:DWORD
	s_mov_b64 s[4:5], 0
                                        ; implicit-def: $sgpr10
	s_and_saveexec_b64 s[8:9], s[6:7]
	s_xor_b64 s[6:7], exec, s[8:9]
	s_cbranch_execnz .LBB31_3397
; %bb.1349:
	s_or_saveexec_b64 s[6:7], s[6:7]
	v_mov_b32_e32 v11, s10
	s_xor_b64 exec, exec, s[6:7]
	s_cbranch_execnz .LBB31_3400
.LBB31_1350:
	s_or_b64 exec, exec, s[6:7]
	s_and_saveexec_b64 s[6:7], s[4:5]
	s_cbranch_execz .LBB31_1352
.LBB31_1351:
	v_and_b32_e32 v11, 7, v12
	v_ffbh_u32_e32 v15, v11
	v_min_u32_e32 v15, 32, v15
	v_lshrrev_b16_e32 v14, 3, v12
	v_subrev_u32_e32 v20, 28, v15
	v_and_b32_e32 v14, 15, v14
	v_lshlrev_b32_e32 v20, v20, v12
	v_sub_u32_e32 v15, 29, v15
	v_and_b32_e32 v20, 7, v20
	v_cmp_eq_u16_e32 vcc, 0, v14
	v_cndmask_b32_e32 v11, v11, v20, vcc
	v_cndmask_b32_e32 v14, v14, v15, vcc
	v_lshlrev_b32_e32 v15, 24, v12
	v_mov_b32_e32 v20, 0x3b800000
	v_lshlrev_b32_e32 v11, 20, v11
	v_and_b32_e32 v15, 0x80000000, v15
	v_lshl_add_u32 v14, v14, 23, v20
	v_or3_b32 v11, v15, v14, v11
.LBB31_1352:
	s_or_b64 exec, exec, s[6:7]
	s_nop 0
	v_mfma_f32_16x16x4f32 a[0:3], v10, v11, a[0:3]
	v_lshrrev_b32_e32 v11, 8, v16
	s_movk_i32 s4, 0x7f
	v_cmp_gt_i16_sdwa s[6:7], v11, s4 src0_sel:BYTE_0 src1_sel:DWORD
	s_mov_b64 s[4:5], 0
                                        ; implicit-def: $sgpr10
	s_and_saveexec_b64 s[8:9], s[6:7]
	s_xor_b64 s[6:7], exec, s[8:9]
	s_cbranch_execnz .LBB31_3401
; %bb.1353:
	s_or_saveexec_b64 s[6:7], s[6:7]
	v_mov_b32_e32 v10, s10
	s_xor_b64 exec, exec, s[6:7]
	s_cbranch_execnz .LBB31_3404
.LBB31_1354:
	s_or_b64 exec, exec, s[6:7]
	s_and_saveexec_b64 s[6:7], s[4:5]
	s_cbranch_execz .LBB31_1356
.LBB31_1355:
	v_bfe_u32 v10, v16, 8, 3
	v_ffbh_u32_e32 v15, v10
	v_min_u32_e32 v15, 32, v15
	v_lshrrev_b16_e32 v14, 3, v11
	v_subrev_u32_e32 v20, 28, v15
	v_and_b32_e32 v14, 15, v14
	v_lshlrev_b32_e32 v11, v20, v11
	v_sub_u32_e32 v15, 29, v15
	v_and_b32_e32 v11, 7, v11
	v_cmp_eq_u16_e32 vcc, 0, v14
	v_cndmask_b32_e32 v10, v10, v11, vcc
	v_cndmask_b32_e32 v11, v14, v15, vcc
	v_lshlrev_b32_e32 v14, 16, v16
	v_mov_b32_e32 v15, 0x3b800000
	v_lshlrev_b32_e32 v10, 20, v10
	v_and_b32_e32 v14, 0x80000000, v14
	v_lshl_add_u32 v11, v11, 23, v15
	v_or3_b32 v10, v14, v11, v10
.LBB31_1356:
	s_or_b64 exec, exec, s[6:7]
	v_lshrrev_b32_e32 v11, 8, v12
	s_movk_i32 s4, 0x7f
	v_cmp_gt_i16_sdwa s[6:7], v11, s4 src0_sel:BYTE_0 src1_sel:DWORD
	s_mov_b64 s[4:5], 0
                                        ; implicit-def: $sgpr10
	s_and_saveexec_b64 s[8:9], s[6:7]
	s_xor_b64 s[6:7], exec, s[8:9]
	s_cbranch_execnz .LBB31_3405
; %bb.1357:
	s_or_saveexec_b64 s[6:7], s[6:7]
	v_mov_b32_e32 v14, s10
	s_xor_b64 exec, exec, s[6:7]
	s_cbranch_execnz .LBB31_3408
.LBB31_1358:
	s_or_b64 exec, exec, s[6:7]
	s_and_saveexec_b64 s[6:7], s[4:5]
	s_cbranch_execz .LBB31_1360
.LBB31_1359:
	v_bfe_u32 v14, v12, 8, 3
	v_ffbh_u32_e32 v20, v14
	v_min_u32_e32 v20, 32, v20
	v_lshrrev_b16_e32 v15, 3, v11
	v_subrev_u32_e32 v21, 28, v20
	v_and_b32_e32 v15, 15, v15
	v_lshlrev_b32_e32 v11, v21, v11
	v_sub_u32_e32 v20, 29, v20
	v_and_b32_e32 v11, 7, v11
	v_cmp_eq_u16_e32 vcc, 0, v15
	v_cndmask_b32_e32 v11, v14, v11, vcc
	v_cndmask_b32_e32 v14, v15, v20, vcc
	v_lshlrev_b32_e32 v15, 16, v12
	v_mov_b32_e32 v20, 0x3b800000
	v_lshlrev_b32_e32 v11, 20, v11
	v_and_b32_e32 v15, 0x80000000, v15
	v_lshl_add_u32 v14, v14, 23, v20
	v_or3_b32 v14, v15, v14, v11
.LBB31_1360:
	s_or_b64 exec, exec, s[6:7]
	s_nop 0
	v_mfma_f32_16x16x4f32 a[0:3], v10, v14, a[0:3]
	s_movk_i32 s4, 0xff
	v_and_b32_sdwa v11, v16, s4 dst_sel:DWORD dst_unused:UNUSED_PAD src0_sel:WORD_1 src1_sel:DWORD
	s_movk_i32 s4, 0x7f
	v_cmp_lt_i16_e32 vcc, s4, v11
	s_mov_b64 s[4:5], 0
                                        ; implicit-def: $sgpr10
	s_and_saveexec_b64 s[6:7], vcc
	s_xor_b64 s[6:7], exec, s[6:7]
	s_cbranch_execnz .LBB31_3409
; %bb.1361:
	s_or_saveexec_b64 s[6:7], s[6:7]
	v_mov_b32_e32 v10, s10
	s_xor_b64 exec, exec, s[6:7]
	s_cbranch_execnz .LBB31_3412
.LBB31_1362:
	s_or_b64 exec, exec, s[6:7]
	s_and_saveexec_b64 s[6:7], s[4:5]
	s_cbranch_execz .LBB31_1364
.LBB31_1363:
	v_bfe_u32 v10, v16, 16, 3
	v_ffbh_u32_e32 v15, v10
	v_min_u32_e32 v15, 32, v15
	v_lshrrev_b32_e32 v11, 19, v16
	v_subrev_u32_e32 v20, 28, v15
	v_and_b32_e32 v11, 15, v11
	v_lshlrev_b32_sdwa v20, v20, v16 dst_sel:DWORD dst_unused:UNUSED_PAD src0_sel:DWORD src1_sel:WORD_1
	v_bfe_u32 v14, v16, 19, 4
	v_sub_u32_e32 v15, 29, v15
	v_and_b32_e32 v20, 7, v20
	v_cmp_eq_u16_e32 vcc, 0, v11
	v_cndmask_b32_e32 v10, v10, v20, vcc
	v_cndmask_b32_e32 v11, v14, v15, vcc
	v_lshlrev_b32_e32 v14, 8, v16
	v_mov_b32_e32 v15, 0x3b800000
	v_lshlrev_b32_e32 v10, 20, v10
	v_and_b32_e32 v14, 0x80000000, v14
	v_lshl_add_u32 v11, v11, 23, v15
	v_or3_b32 v10, v14, v11, v10
.LBB31_1364:
	s_or_b64 exec, exec, s[6:7]
	s_movk_i32 s4, 0xff
	v_and_b32_sdwa v11, v12, s4 dst_sel:DWORD dst_unused:UNUSED_PAD src0_sel:WORD_1 src1_sel:DWORD
	s_movk_i32 s4, 0x7f
	v_cmp_lt_i16_e32 vcc, s4, v11
	s_mov_b64 s[4:5], 0
                                        ; implicit-def: $sgpr10
	s_and_saveexec_b64 s[6:7], vcc
	s_xor_b64 s[6:7], exec, s[6:7]
	s_cbranch_execnz .LBB31_3413
; %bb.1365:
	s_or_saveexec_b64 s[6:7], s[6:7]
	v_mov_b32_e32 v14, s10
	s_xor_b64 exec, exec, s[6:7]
	s_cbranch_execnz .LBB31_3416
.LBB31_1366:
	s_or_b64 exec, exec, s[6:7]
	s_and_saveexec_b64 s[6:7], s[4:5]
	s_cbranch_execz .LBB31_1368
.LBB31_1367:
	v_bfe_u32 v11, v12, 16, 3
	v_ffbh_u32_e32 v20, v11
	v_min_u32_e32 v20, 32, v20
	v_lshrrev_b32_e32 v14, 19, v12
	v_subrev_u32_e32 v21, 28, v20
	v_and_b32_e32 v14, 15, v14
	v_lshlrev_b32_sdwa v21, v21, v12 dst_sel:DWORD dst_unused:UNUSED_PAD src0_sel:DWORD src1_sel:WORD_1
	v_bfe_u32 v15, v12, 19, 4
	v_sub_u32_e32 v20, 29, v20
	v_and_b32_e32 v21, 7, v21
	v_cmp_eq_u16_e32 vcc, 0, v14
	v_cndmask_b32_e32 v11, v11, v21, vcc
	v_cndmask_b32_e32 v14, v15, v20, vcc
	v_lshlrev_b32_e32 v15, 8, v12
	v_mov_b32_e32 v20, 0x3b800000
	v_lshlrev_b32_e32 v11, 20, v11
	v_and_b32_e32 v15, 0x80000000, v15
	v_lshl_add_u32 v14, v14, 23, v20
	v_or3_b32 v14, v15, v14, v11
.LBB31_1368:
	s_or_b64 exec, exec, s[6:7]
	s_nop 0
	v_mfma_f32_16x16x4f32 a[0:3], v10, v14, a[0:3]
	s_movk_i32 s4, 0x7f
	v_cmp_gt_i16_sdwa s[6:7], v16, s4 src0_sel:BYTE_3 src1_sel:DWORD
	s_mov_b64 s[4:5], 0
                                        ; implicit-def: $sgpr10
	s_and_saveexec_b64 s[8:9], s[6:7]
	s_xor_b64 s[6:7], exec, s[8:9]
	s_cbranch_execnz .LBB31_3417
; %bb.1369:
	s_or_saveexec_b64 s[6:7], s[6:7]
	v_mov_b32_e32 v10, s10
	s_xor_b64 exec, exec, s[6:7]
	s_cbranch_execnz .LBB31_3420
.LBB31_1370:
	s_or_b64 exec, exec, s[6:7]
	s_and_saveexec_b64 s[6:7], s[4:5]
	s_cbranch_execz .LBB31_1372
.LBB31_1371:
	v_bfe_u32 v10, v16, 24, 3
	v_ffbh_u32_e32 v20, v10
	v_min_u32_e32 v20, 32, v20
	v_lshrrev_b32_e32 v14, 27, v16
	v_subrev_u32_e32 v21, 28, v20
	v_and_b32_e32 v11, 0x80000000, v16
	v_and_b32_e32 v14, 15, v14
	v_bfe_u32 v15, v16, 27, 4
	v_lshlrev_b32_sdwa v16, v21, v16 dst_sel:DWORD dst_unused:UNUSED_PAD src0_sel:DWORD src1_sel:BYTE_3
	v_sub_u32_e32 v20, 29, v20
	v_and_b32_e32 v16, 7, v16
	v_cmp_eq_u16_e32 vcc, 0, v14
	v_cndmask_b32_e32 v10, v10, v16, vcc
	v_cndmask_b32_e32 v14, v15, v20, vcc
	v_mov_b32_e32 v15, 0x3b800000
	v_lshlrev_b32_e32 v10, 20, v10
	v_lshl_add_u32 v14, v14, 23, v15
	v_or3_b32 v10, v11, v14, v10
.LBB31_1372:
	s_or_b64 exec, exec, s[6:7]
	s_movk_i32 s4, 0x7f
	v_cmp_gt_i16_sdwa s[6:7], v12, s4 src0_sel:BYTE_3 src1_sel:DWORD
	s_mov_b64 s[4:5], 0
                                        ; implicit-def: $sgpr10
	s_and_saveexec_b64 s[8:9], s[6:7]
	s_xor_b64 s[6:7], exec, s[8:9]
	s_cbranch_execnz .LBB31_3421
; %bb.1373:
	s_or_saveexec_b64 s[6:7], s[6:7]
	v_mov_b32_e32 v11, s10
	s_xor_b64 exec, exec, s[6:7]
	s_cbranch_execnz .LBB31_3424
.LBB31_1374:
	s_or_b64 exec, exec, s[6:7]
	s_and_saveexec_b64 s[6:7], s[4:5]
	s_cbranch_execz .LBB31_1376
.LBB31_1375:
	v_bfe_u32 v11, v12, 24, 3
	v_ffbh_u32_e32 v20, v11
	v_min_u32_e32 v20, 32, v20
	v_lshrrev_b32_e32 v15, 27, v12
	v_subrev_u32_e32 v21, 28, v20
	v_and_b32_e32 v14, 0x80000000, v12
	v_and_b32_e32 v15, 15, v15
	v_bfe_u32 v16, v12, 27, 4
	v_lshlrev_b32_sdwa v12, v21, v12 dst_sel:DWORD dst_unused:UNUSED_PAD src0_sel:DWORD src1_sel:BYTE_3
	v_sub_u32_e32 v20, 29, v20
	v_and_b32_e32 v12, 7, v12
	v_cmp_eq_u16_e32 vcc, 0, v15
	v_cndmask_b32_e32 v11, v11, v12, vcc
	v_cndmask_b32_e32 v12, v16, v20, vcc
	v_mov_b32_e32 v15, 0x3b800000
	v_lshlrev_b32_e32 v11, 20, v11
	v_lshl_add_u32 v12, v12, 23, v15
	v_or3_b32 v11, v14, v12, v11
.LBB31_1376:
	s_or_b64 exec, exec, s[6:7]
	s_nop 0
	v_mfma_f32_16x16x4f32 a[0:3], v10, v11, a[0:3]
	s_movk_i32 s4, 0x7f
	v_cmp_gt_i16_sdwa s[6:7], v17, s4 src0_sel:BYTE_0 src1_sel:DWORD
	s_mov_b64 s[4:5], 0
                                        ; implicit-def: $sgpr10
	s_and_saveexec_b64 s[8:9], s[6:7]
	s_xor_b64 s[6:7], exec, s[8:9]
	s_cbranch_execnz .LBB31_3425
; %bb.1377:
	s_or_saveexec_b64 s[6:7], s[6:7]
	v_mov_b32_e32 v10, s10
	s_xor_b64 exec, exec, s[6:7]
	s_cbranch_execnz .LBB31_3428
.LBB31_1378:
	s_or_b64 exec, exec, s[6:7]
	s_and_saveexec_b64 s[6:7], s[4:5]
	s_cbranch_execz .LBB31_1380
.LBB31_1379:
	v_and_b32_e32 v10, 7, v17
	v_ffbh_u32_e32 v12, v10
	v_min_u32_e32 v12, 32, v12
	v_lshrrev_b16_e32 v11, 3, v17
	v_subrev_u32_e32 v14, 28, v12
	v_and_b32_e32 v11, 15, v11
	v_lshlrev_b32_e32 v14, v14, v17
	v_sub_u32_e32 v12, 29, v12
	v_and_b32_e32 v14, 7, v14
	v_cmp_eq_u16_e32 vcc, 0, v11
	v_cndmask_b32_e32 v10, v10, v14, vcc
	v_cndmask_b32_e32 v11, v11, v12, vcc
	v_lshlrev_b32_e32 v12, 24, v17
	v_mov_b32_e32 v14, 0x3b800000
	v_lshlrev_b32_e32 v10, 20, v10
	v_and_b32_e32 v12, 0x80000000, v12
	v_lshl_add_u32 v11, v11, 23, v14
	v_or3_b32 v10, v12, v11, v10
.LBB31_1380:
	s_or_b64 exec, exec, s[6:7]
	s_movk_i32 s4, 0x7f
	v_cmp_gt_i16_sdwa s[6:7], v13, s4 src0_sel:BYTE_0 src1_sel:DWORD
	s_mov_b64 s[4:5], 0
                                        ; implicit-def: $sgpr10
	s_and_saveexec_b64 s[8:9], s[6:7]
	s_xor_b64 s[6:7], exec, s[8:9]
	s_cbranch_execnz .LBB31_3429
; %bb.1381:
	s_or_saveexec_b64 s[6:7], s[6:7]
	v_mov_b32_e32 v11, s10
	s_xor_b64 exec, exec, s[6:7]
	s_cbranch_execnz .LBB31_3432
.LBB31_1382:
	s_or_b64 exec, exec, s[6:7]
	s_and_saveexec_b64 s[6:7], s[4:5]
	s_cbranch_execz .LBB31_1384
.LBB31_1383:
	v_and_b32_e32 v11, 7, v13
	v_ffbh_u32_e32 v14, v11
	v_min_u32_e32 v14, 32, v14
	v_lshrrev_b16_e32 v12, 3, v13
	v_subrev_u32_e32 v15, 28, v14
	v_and_b32_e32 v12, 15, v12
	v_lshlrev_b32_e32 v15, v15, v13
	v_sub_u32_e32 v14, 29, v14
	v_and_b32_e32 v15, 7, v15
	v_cmp_eq_u16_e32 vcc, 0, v12
	v_cndmask_b32_e32 v11, v11, v15, vcc
	v_cndmask_b32_e32 v12, v12, v14, vcc
	v_lshlrev_b32_e32 v14, 24, v13
	v_mov_b32_e32 v15, 0x3b800000
	v_lshlrev_b32_e32 v11, 20, v11
	v_and_b32_e32 v14, 0x80000000, v14
	v_lshl_add_u32 v12, v12, 23, v15
	v_or3_b32 v11, v14, v12, v11
.LBB31_1384:
	s_or_b64 exec, exec, s[6:7]
	s_nop 0
	v_mfma_f32_16x16x4f32 a[0:3], v10, v11, a[0:3]
	v_lshrrev_b32_e32 v11, 8, v17
	s_movk_i32 s4, 0x7f
	v_cmp_gt_i16_sdwa s[6:7], v11, s4 src0_sel:BYTE_0 src1_sel:DWORD
	s_mov_b64 s[4:5], 0
                                        ; implicit-def: $sgpr10
	s_and_saveexec_b64 s[8:9], s[6:7]
	s_xor_b64 s[6:7], exec, s[8:9]
	s_cbranch_execnz .LBB31_3433
; %bb.1385:
	s_or_saveexec_b64 s[6:7], s[6:7]
	v_mov_b32_e32 v10, s10
	s_xor_b64 exec, exec, s[6:7]
	s_cbranch_execnz .LBB31_3436
.LBB31_1386:
	s_or_b64 exec, exec, s[6:7]
	s_and_saveexec_b64 s[6:7], s[4:5]
	s_cbranch_execz .LBB31_1388
.LBB31_1387:
	v_bfe_u32 v10, v17, 8, 3
	v_ffbh_u32_e32 v14, v10
	v_min_u32_e32 v14, 32, v14
	v_lshrrev_b16_e32 v12, 3, v11
	v_subrev_u32_e32 v15, 28, v14
	v_and_b32_e32 v12, 15, v12
	v_lshlrev_b32_e32 v11, v15, v11
	v_sub_u32_e32 v14, 29, v14
	v_and_b32_e32 v11, 7, v11
	v_cmp_eq_u16_e32 vcc, 0, v12
	v_cndmask_b32_e32 v10, v10, v11, vcc
	v_cndmask_b32_e32 v11, v12, v14, vcc
	v_lshlrev_b32_e32 v12, 16, v17
	v_mov_b32_e32 v14, 0x3b800000
	v_lshlrev_b32_e32 v10, 20, v10
	v_and_b32_e32 v12, 0x80000000, v12
	v_lshl_add_u32 v11, v11, 23, v14
	v_or3_b32 v10, v12, v11, v10
.LBB31_1388:
	s_or_b64 exec, exec, s[6:7]
	v_lshrrev_b32_e32 v11, 8, v13
	s_movk_i32 s4, 0x7f
	v_cmp_gt_i16_sdwa s[6:7], v11, s4 src0_sel:BYTE_0 src1_sel:DWORD
	s_mov_b64 s[4:5], 0
                                        ; implicit-def: $sgpr10
	s_and_saveexec_b64 s[8:9], s[6:7]
	s_xor_b64 s[6:7], exec, s[8:9]
	s_cbranch_execnz .LBB31_3437
; %bb.1389:
	s_or_saveexec_b64 s[6:7], s[6:7]
	v_mov_b32_e32 v12, s10
	s_xor_b64 exec, exec, s[6:7]
	s_cbranch_execnz .LBB31_3440
.LBB31_1390:
	s_or_b64 exec, exec, s[6:7]
	s_and_saveexec_b64 s[6:7], s[4:5]
	s_cbranch_execz .LBB31_1392
.LBB31_1391:
	v_bfe_u32 v12, v13, 8, 3
	v_ffbh_u32_e32 v15, v12
	v_min_u32_e32 v15, 32, v15
	v_lshrrev_b16_e32 v14, 3, v11
	v_subrev_u32_e32 v16, 28, v15
	v_and_b32_e32 v14, 15, v14
	v_lshlrev_b32_e32 v11, v16, v11
	v_sub_u32_e32 v15, 29, v15
	v_and_b32_e32 v11, 7, v11
	v_cmp_eq_u16_e32 vcc, 0, v14
	v_cndmask_b32_e32 v11, v12, v11, vcc
	v_cndmask_b32_e32 v12, v14, v15, vcc
	v_lshlrev_b32_e32 v14, 16, v13
	v_mov_b32_e32 v15, 0x3b800000
	v_lshlrev_b32_e32 v11, 20, v11
	v_and_b32_e32 v14, 0x80000000, v14
	v_lshl_add_u32 v12, v12, 23, v15
	v_or3_b32 v12, v14, v12, v11
.LBB31_1392:
	s_or_b64 exec, exec, s[6:7]
	s_nop 0
	v_mfma_f32_16x16x4f32 a[0:3], v10, v12, a[0:3]
	s_movk_i32 s4, 0xff
	v_and_b32_sdwa v11, v17, s4 dst_sel:DWORD dst_unused:UNUSED_PAD src0_sel:WORD_1 src1_sel:DWORD
	s_movk_i32 s4, 0x7f
	v_cmp_lt_i16_e32 vcc, s4, v11
	s_mov_b64 s[4:5], 0
                                        ; implicit-def: $sgpr10
	s_and_saveexec_b64 s[6:7], vcc
	s_xor_b64 s[6:7], exec, s[6:7]
	s_cbranch_execnz .LBB31_3441
; %bb.1393:
	s_or_saveexec_b64 s[6:7], s[6:7]
	v_mov_b32_e32 v10, s10
	s_xor_b64 exec, exec, s[6:7]
	s_cbranch_execnz .LBB31_3444
.LBB31_1394:
	s_or_b64 exec, exec, s[6:7]
	s_and_saveexec_b64 s[6:7], s[4:5]
	s_cbranch_execz .LBB31_1396
.LBB31_1395:
	v_bfe_u32 v10, v17, 16, 3
	v_ffbh_u32_e32 v14, v10
	v_min_u32_e32 v14, 32, v14
	v_lshrrev_b32_e32 v11, 19, v17
	v_subrev_u32_e32 v15, 28, v14
	v_and_b32_e32 v11, 15, v11
	v_lshlrev_b32_sdwa v15, v15, v17 dst_sel:DWORD dst_unused:UNUSED_PAD src0_sel:DWORD src1_sel:WORD_1
	v_bfe_u32 v12, v17, 19, 4
	v_sub_u32_e32 v14, 29, v14
	v_and_b32_e32 v15, 7, v15
	v_cmp_eq_u16_e32 vcc, 0, v11
	v_cndmask_b32_e32 v10, v10, v15, vcc
	v_cndmask_b32_e32 v11, v12, v14, vcc
	v_lshlrev_b32_e32 v12, 8, v17
	v_mov_b32_e32 v14, 0x3b800000
	v_lshlrev_b32_e32 v10, 20, v10
	v_and_b32_e32 v12, 0x80000000, v12
	v_lshl_add_u32 v11, v11, 23, v14
	v_or3_b32 v10, v12, v11, v10
.LBB31_1396:
	s_or_b64 exec, exec, s[6:7]
	s_movk_i32 s4, 0xff
	v_and_b32_sdwa v11, v13, s4 dst_sel:DWORD dst_unused:UNUSED_PAD src0_sel:WORD_1 src1_sel:DWORD
	s_movk_i32 s4, 0x7f
	v_cmp_lt_i16_e32 vcc, s4, v11
	s_mov_b64 s[4:5], 0
                                        ; implicit-def: $sgpr10
	s_and_saveexec_b64 s[6:7], vcc
	s_xor_b64 s[6:7], exec, s[6:7]
	s_cbranch_execnz .LBB31_3445
; %bb.1397:
	s_or_saveexec_b64 s[6:7], s[6:7]
	v_mov_b32_e32 v12, s10
	s_xor_b64 exec, exec, s[6:7]
	s_cbranch_execnz .LBB31_3448
.LBB31_1398:
	s_or_b64 exec, exec, s[6:7]
	s_and_saveexec_b64 s[6:7], s[4:5]
	s_cbranch_execz .LBB31_1400
.LBB31_1399:
	v_bfe_u32 v11, v13, 16, 3
	v_ffbh_u32_e32 v15, v11
	v_min_u32_e32 v15, 32, v15
	v_lshrrev_b32_e32 v12, 19, v13
	v_subrev_u32_e32 v16, 28, v15
	v_and_b32_e32 v12, 15, v12
	v_lshlrev_b32_sdwa v16, v16, v13 dst_sel:DWORD dst_unused:UNUSED_PAD src0_sel:DWORD src1_sel:WORD_1
	v_bfe_u32 v14, v13, 19, 4
	v_sub_u32_e32 v15, 29, v15
	v_and_b32_e32 v16, 7, v16
	v_cmp_eq_u16_e32 vcc, 0, v12
	v_cndmask_b32_e32 v11, v11, v16, vcc
	v_cndmask_b32_e32 v12, v14, v15, vcc
	v_lshlrev_b32_e32 v14, 8, v13
	v_mov_b32_e32 v15, 0x3b800000
	v_lshlrev_b32_e32 v11, 20, v11
	v_and_b32_e32 v14, 0x80000000, v14
	v_lshl_add_u32 v12, v12, 23, v15
	v_or3_b32 v12, v14, v12, v11
.LBB31_1400:
	s_or_b64 exec, exec, s[6:7]
	s_nop 0
	v_mfma_f32_16x16x4f32 a[0:3], v10, v12, a[0:3]
	s_movk_i32 s4, 0x7f
	v_cmp_gt_i16_sdwa s[6:7], v17, s4 src0_sel:BYTE_3 src1_sel:DWORD
	s_mov_b64 s[4:5], 0
                                        ; implicit-def: $sgpr10
	s_and_saveexec_b64 s[8:9], s[6:7]
	s_xor_b64 s[6:7], exec, s[8:9]
	s_cbranch_execnz .LBB31_3449
; %bb.1401:
	s_or_saveexec_b64 s[6:7], s[6:7]
	v_mov_b32_e32 v10, s10
	s_xor_b64 exec, exec, s[6:7]
	s_cbranch_execnz .LBB31_3452
.LBB31_1402:
	s_or_b64 exec, exec, s[6:7]
	s_and_saveexec_b64 s[6:7], s[4:5]
	s_cbranch_execz .LBB31_1404
.LBB31_1403:
	v_bfe_u32 v10, v17, 24, 3
	v_ffbh_u32_e32 v15, v10
	v_min_u32_e32 v15, 32, v15
	v_lshrrev_b32_e32 v12, 27, v17
	v_subrev_u32_e32 v16, 28, v15
	v_and_b32_e32 v12, 15, v12
	v_lshlrev_b32_sdwa v16, v16, v17 dst_sel:DWORD dst_unused:UNUSED_PAD src0_sel:DWORD src1_sel:BYTE_3
	v_bfe_u32 v14, v17, 27, 4
	v_sub_u32_e32 v15, 29, v15
	v_and_b32_e32 v16, 7, v16
	v_cmp_eq_u16_e32 vcc, 0, v12
	v_cndmask_b32_e32 v10, v10, v16, vcc
	v_cndmask_b32_e32 v12, v14, v15, vcc
	v_mov_b32_e32 v14, 0x3b800000
	v_and_b32_e32 v11, 0x80000000, v17
	v_lshlrev_b32_e32 v10, 20, v10
	v_lshl_add_u32 v12, v12, 23, v14
	v_or3_b32 v10, v11, v12, v10
.LBB31_1404:
	s_or_b64 exec, exec, s[6:7]
	s_movk_i32 s4, 0x7f
	v_cmp_gt_i16_sdwa s[6:7], v13, s4 src0_sel:BYTE_3 src1_sel:DWORD
	s_mov_b64 s[4:5], 0
                                        ; implicit-def: $sgpr10
	s_and_saveexec_b64 s[8:9], s[6:7]
	s_xor_b64 s[6:7], exec, s[8:9]
	s_cbranch_execnz .LBB31_3453
; %bb.1405:
	s_or_saveexec_b64 s[6:7], s[6:7]
	v_mov_b32_e32 v11, s10
	s_xor_b64 exec, exec, s[6:7]
	s_cbranch_execnz .LBB31_3456
.LBB31_1406:
	s_or_b64 exec, exec, s[6:7]
	s_and_saveexec_b64 s[6:7], s[4:5]
	s_cbranch_execz .LBB31_1408
.LBB31_1407:
	v_bfe_u32 v11, v13, 24, 3
	v_ffbh_u32_e32 v16, v11
	v_min_u32_e32 v16, 32, v16
	v_lshrrev_b32_e32 v14, 27, v13
	v_subrev_u32_e32 v17, 28, v16
	v_and_b32_e32 v12, 0x80000000, v13
	v_and_b32_e32 v14, 15, v14
	v_bfe_u32 v15, v13, 27, 4
	v_lshlrev_b32_sdwa v13, v17, v13 dst_sel:DWORD dst_unused:UNUSED_PAD src0_sel:DWORD src1_sel:BYTE_3
	v_sub_u32_e32 v16, 29, v16
	v_and_b32_e32 v13, 7, v13
	v_cmp_eq_u16_e32 vcc, 0, v14
	v_cndmask_b32_e32 v11, v11, v13, vcc
	v_cndmask_b32_e32 v13, v15, v16, vcc
	v_mov_b32_e32 v14, 0x3b800000
	v_lshlrev_b32_e32 v11, 20, v11
	v_lshl_add_u32 v13, v13, 23, v14
	v_or3_b32 v11, v12, v13, v11
.LBB31_1408:
	s_or_b64 exec, exec, s[6:7]
	s_nop 0
	v_mfma_f32_16x16x4f32 a[0:3], v10, v11, a[0:3]
	s_movk_i32 s4, 0x7f
	v_cmp_gt_i16_sdwa s[6:7], v6, s4 src0_sel:BYTE_0 src1_sel:DWORD
	s_mov_b64 s[4:5], 0
                                        ; implicit-def: $sgpr10
	s_and_saveexec_b64 s[8:9], s[6:7]
	s_xor_b64 s[6:7], exec, s[8:9]
	s_cbranch_execnz .LBB31_3457
; %bb.1409:
	s_or_saveexec_b64 s[6:7], s[6:7]
	v_mov_b32_e32 v10, s10
	s_xor_b64 exec, exec, s[6:7]
	s_cbranch_execnz .LBB31_3460
.LBB31_1410:
	s_or_b64 exec, exec, s[6:7]
	s_and_saveexec_b64 s[6:7], s[4:5]
	s_cbranch_execz .LBB31_1412
.LBB31_1411:
	v_and_b32_e32 v10, 7, v6
	v_ffbh_u32_e32 v12, v10
	v_min_u32_e32 v12, 32, v12
	v_lshrrev_b16_e32 v11, 3, v6
	v_subrev_u32_e32 v13, 28, v12
	v_and_b32_e32 v11, 15, v11
	v_lshlrev_b32_e32 v13, v13, v6
	v_sub_u32_e32 v12, 29, v12
	v_and_b32_e32 v13, 7, v13
	v_cmp_eq_u16_e32 vcc, 0, v11
	v_cndmask_b32_e32 v10, v10, v13, vcc
	v_cndmask_b32_e32 v11, v11, v12, vcc
	v_lshlrev_b32_e32 v12, 24, v6
	v_mov_b32_e32 v13, 0x3b800000
	v_lshlrev_b32_e32 v10, 20, v10
	v_and_b32_e32 v12, 0x80000000, v12
	v_lshl_add_u32 v11, v11, 23, v13
	v_or3_b32 v10, v12, v11, v10
.LBB31_1412:
	s_or_b64 exec, exec, s[6:7]
	s_movk_i32 s4, 0x7f
	v_cmp_gt_i16_sdwa s[6:7], v2, s4 src0_sel:BYTE_0 src1_sel:DWORD
	s_mov_b64 s[4:5], 0
                                        ; implicit-def: $sgpr10
	s_and_saveexec_b64 s[8:9], s[6:7]
	s_xor_b64 s[6:7], exec, s[8:9]
	s_cbranch_execnz .LBB31_3461
; %bb.1413:
	s_or_saveexec_b64 s[6:7], s[6:7]
	v_mov_b32_e32 v11, s10
	s_xor_b64 exec, exec, s[6:7]
	s_cbranch_execnz .LBB31_3464
.LBB31_1414:
	s_or_b64 exec, exec, s[6:7]
	s_and_saveexec_b64 s[6:7], s[4:5]
	s_cbranch_execz .LBB31_1416
.LBB31_1415:
	v_and_b32_e32 v11, 7, v2
	v_ffbh_u32_e32 v13, v11
	v_min_u32_e32 v13, 32, v13
	v_lshrrev_b16_e32 v12, 3, v2
	v_subrev_u32_e32 v14, 28, v13
	v_and_b32_e32 v12, 15, v12
	v_lshlrev_b32_e32 v14, v14, v2
	v_sub_u32_e32 v13, 29, v13
	v_and_b32_e32 v14, 7, v14
	v_cmp_eq_u16_e32 vcc, 0, v12
	v_cndmask_b32_e32 v11, v11, v14, vcc
	v_cndmask_b32_e32 v12, v12, v13, vcc
	v_lshlrev_b32_e32 v13, 24, v2
	v_mov_b32_e32 v14, 0x3b800000
	v_lshlrev_b32_e32 v11, 20, v11
	v_and_b32_e32 v13, 0x80000000, v13
	v_lshl_add_u32 v12, v12, 23, v14
	v_or3_b32 v11, v13, v12, v11
.LBB31_1416:
	s_or_b64 exec, exec, s[6:7]
	s_nop 0
	v_mfma_f32_16x16x4f32 a[0:3], v10, v11, a[0:3]
	v_lshrrev_b32_e32 v11, 8, v6
	s_movk_i32 s4, 0x7f
	v_cmp_gt_i16_sdwa s[6:7], v11, s4 src0_sel:BYTE_0 src1_sel:DWORD
	s_mov_b64 s[4:5], 0
                                        ; implicit-def: $sgpr10
	s_and_saveexec_b64 s[8:9], s[6:7]
	s_xor_b64 s[6:7], exec, s[8:9]
	s_cbranch_execnz .LBB31_3465
; %bb.1417:
	s_or_saveexec_b64 s[6:7], s[6:7]
	v_mov_b32_e32 v10, s10
	s_xor_b64 exec, exec, s[6:7]
	s_cbranch_execnz .LBB31_3468
.LBB31_1418:
	s_or_b64 exec, exec, s[6:7]
	s_and_saveexec_b64 s[6:7], s[4:5]
	s_cbranch_execz .LBB31_1420
.LBB31_1419:
	v_bfe_u32 v10, v6, 8, 3
	v_ffbh_u32_e32 v13, v10
	v_min_u32_e32 v13, 32, v13
	v_lshrrev_b16_e32 v12, 3, v11
	v_subrev_u32_e32 v14, 28, v13
	v_and_b32_e32 v12, 15, v12
	v_lshlrev_b32_e32 v11, v14, v11
	v_sub_u32_e32 v13, 29, v13
	v_and_b32_e32 v11, 7, v11
	v_cmp_eq_u16_e32 vcc, 0, v12
	v_cndmask_b32_e32 v10, v10, v11, vcc
	v_cndmask_b32_e32 v11, v12, v13, vcc
	v_lshlrev_b32_e32 v12, 16, v6
	v_mov_b32_e32 v13, 0x3b800000
	v_lshlrev_b32_e32 v10, 20, v10
	v_and_b32_e32 v12, 0x80000000, v12
	v_lshl_add_u32 v11, v11, 23, v13
	v_or3_b32 v10, v12, v11, v10
.LBB31_1420:
	s_or_b64 exec, exec, s[6:7]
	v_lshrrev_b32_e32 v11, 8, v2
	s_movk_i32 s4, 0x7f
	v_cmp_gt_i16_sdwa s[6:7], v11, s4 src0_sel:BYTE_0 src1_sel:DWORD
	s_mov_b64 s[4:5], 0
                                        ; implicit-def: $sgpr10
	s_and_saveexec_b64 s[8:9], s[6:7]
	s_xor_b64 s[6:7], exec, s[8:9]
	s_cbranch_execnz .LBB31_3469
; %bb.1421:
	s_or_saveexec_b64 s[6:7], s[6:7]
	v_mov_b32_e32 v12, s10
	s_xor_b64 exec, exec, s[6:7]
	s_cbranch_execnz .LBB31_3472
.LBB31_1422:
	s_or_b64 exec, exec, s[6:7]
	s_and_saveexec_b64 s[6:7], s[4:5]
	s_cbranch_execz .LBB31_1424
.LBB31_1423:
	v_bfe_u32 v12, v2, 8, 3
	v_ffbh_u32_e32 v14, v12
	v_min_u32_e32 v14, 32, v14
	v_lshrrev_b16_e32 v13, 3, v11
	v_subrev_u32_e32 v15, 28, v14
	v_and_b32_e32 v13, 15, v13
	v_lshlrev_b32_e32 v11, v15, v11
	v_sub_u32_e32 v14, 29, v14
	v_and_b32_e32 v11, 7, v11
	v_cmp_eq_u16_e32 vcc, 0, v13
	v_cndmask_b32_e32 v11, v12, v11, vcc
	v_cndmask_b32_e32 v12, v13, v14, vcc
	v_lshlrev_b32_e32 v13, 16, v2
	v_mov_b32_e32 v14, 0x3b800000
	v_lshlrev_b32_e32 v11, 20, v11
	v_and_b32_e32 v13, 0x80000000, v13
	v_lshl_add_u32 v12, v12, 23, v14
	v_or3_b32 v12, v13, v12, v11
.LBB31_1424:
	s_or_b64 exec, exec, s[6:7]
	s_nop 0
	v_mfma_f32_16x16x4f32 a[0:3], v10, v12, a[0:3]
	s_movk_i32 s4, 0xff
	v_and_b32_sdwa v11, v6, s4 dst_sel:DWORD dst_unused:UNUSED_PAD src0_sel:WORD_1 src1_sel:DWORD
	s_movk_i32 s4, 0x7f
	v_cmp_lt_i16_e32 vcc, s4, v11
	s_mov_b64 s[4:5], 0
                                        ; implicit-def: $sgpr10
	s_and_saveexec_b64 s[6:7], vcc
	s_xor_b64 s[6:7], exec, s[6:7]
	s_cbranch_execnz .LBB31_3473
; %bb.1425:
	s_or_saveexec_b64 s[6:7], s[6:7]
	v_mov_b32_e32 v10, s10
	s_xor_b64 exec, exec, s[6:7]
	s_cbranch_execnz .LBB31_3476
.LBB31_1426:
	s_or_b64 exec, exec, s[6:7]
	s_and_saveexec_b64 s[6:7], s[4:5]
	s_cbranch_execz .LBB31_1428
.LBB31_1427:
	v_bfe_u32 v10, v6, 16, 3
	v_ffbh_u32_e32 v13, v10
	v_min_u32_e32 v13, 32, v13
	v_lshrrev_b32_e32 v11, 19, v6
	v_subrev_u32_e32 v14, 28, v13
	v_and_b32_e32 v11, 15, v11
	v_lshlrev_b32_sdwa v14, v14, v6 dst_sel:DWORD dst_unused:UNUSED_PAD src0_sel:DWORD src1_sel:WORD_1
	v_bfe_u32 v12, v6, 19, 4
	v_sub_u32_e32 v13, 29, v13
	v_and_b32_e32 v14, 7, v14
	v_cmp_eq_u16_e32 vcc, 0, v11
	v_cndmask_b32_e32 v10, v10, v14, vcc
	v_cndmask_b32_e32 v11, v12, v13, vcc
	v_lshlrev_b32_e32 v12, 8, v6
	v_mov_b32_e32 v13, 0x3b800000
	v_lshlrev_b32_e32 v10, 20, v10
	v_and_b32_e32 v12, 0x80000000, v12
	v_lshl_add_u32 v11, v11, 23, v13
	v_or3_b32 v10, v12, v11, v10
.LBB31_1428:
	s_or_b64 exec, exec, s[6:7]
	s_movk_i32 s4, 0xff
	v_and_b32_sdwa v11, v2, s4 dst_sel:DWORD dst_unused:UNUSED_PAD src0_sel:WORD_1 src1_sel:DWORD
	s_movk_i32 s4, 0x7f
	v_cmp_lt_i16_e32 vcc, s4, v11
	s_mov_b64 s[4:5], 0
                                        ; implicit-def: $sgpr10
	s_and_saveexec_b64 s[6:7], vcc
	s_xor_b64 s[6:7], exec, s[6:7]
	s_cbranch_execnz .LBB31_3477
; %bb.1429:
	s_or_saveexec_b64 s[6:7], s[6:7]
	v_mov_b32_e32 v12, s10
	s_xor_b64 exec, exec, s[6:7]
	s_cbranch_execnz .LBB31_3480
.LBB31_1430:
	s_or_b64 exec, exec, s[6:7]
	s_and_saveexec_b64 s[6:7], s[4:5]
	s_cbranch_execz .LBB31_1432
.LBB31_1431:
	v_bfe_u32 v11, v2, 16, 3
	v_ffbh_u32_e32 v14, v11
	v_min_u32_e32 v14, 32, v14
	v_lshrrev_b32_e32 v12, 19, v2
	v_subrev_u32_e32 v15, 28, v14
	v_and_b32_e32 v12, 15, v12
	v_lshlrev_b32_sdwa v15, v15, v2 dst_sel:DWORD dst_unused:UNUSED_PAD src0_sel:DWORD src1_sel:WORD_1
	v_bfe_u32 v13, v2, 19, 4
	v_sub_u32_e32 v14, 29, v14
	v_and_b32_e32 v15, 7, v15
	v_cmp_eq_u16_e32 vcc, 0, v12
	v_cndmask_b32_e32 v11, v11, v15, vcc
	v_cndmask_b32_e32 v12, v13, v14, vcc
	v_lshlrev_b32_e32 v13, 8, v2
	v_mov_b32_e32 v14, 0x3b800000
	v_lshlrev_b32_e32 v11, 20, v11
	v_and_b32_e32 v13, 0x80000000, v13
	v_lshl_add_u32 v12, v12, 23, v14
	v_or3_b32 v12, v13, v12, v11
.LBB31_1432:
	s_or_b64 exec, exec, s[6:7]
	s_nop 0
	v_mfma_f32_16x16x4f32 a[0:3], v10, v12, a[0:3]
	s_movk_i32 s4, 0x7f
	v_cmp_gt_i16_sdwa s[6:7], v6, s4 src0_sel:BYTE_3 src1_sel:DWORD
	s_mov_b64 s[4:5], 0
                                        ; implicit-def: $sgpr10
	s_and_saveexec_b64 s[8:9], s[6:7]
	s_xor_b64 s[6:7], exec, s[8:9]
	s_cbranch_execnz .LBB31_3481
; %bb.1433:
	s_or_saveexec_b64 s[6:7], s[6:7]
	v_mov_b32_e32 v10, s10
	s_xor_b64 exec, exec, s[6:7]
	s_cbranch_execnz .LBB31_3484
.LBB31_1434:
	s_or_b64 exec, exec, s[6:7]
	s_and_saveexec_b64 s[6:7], s[4:5]
	s_cbranch_execz .LBB31_1436
.LBB31_1435:
	v_bfe_u32 v10, v6, 24, 3
	v_ffbh_u32_e32 v14, v10
	v_min_u32_e32 v14, 32, v14
	v_lshrrev_b32_e32 v12, 27, v6
	v_subrev_u32_e32 v15, 28, v14
	v_and_b32_e32 v11, 0x80000000, v6
	v_and_b32_e32 v12, 15, v12
	v_bfe_u32 v13, v6, 27, 4
	v_lshlrev_b32_sdwa v6, v15, v6 dst_sel:DWORD dst_unused:UNUSED_PAD src0_sel:DWORD src1_sel:BYTE_3
	v_sub_u32_e32 v14, 29, v14
	v_and_b32_e32 v6, 7, v6
	v_cmp_eq_u16_e32 vcc, 0, v12
	v_cndmask_b32_e32 v6, v10, v6, vcc
	v_cndmask_b32_e32 v10, v13, v14, vcc
	v_mov_b32_e32 v12, 0x3b800000
	v_lshlrev_b32_e32 v6, 20, v6
	v_lshl_add_u32 v10, v10, 23, v12
	v_or3_b32 v10, v11, v10, v6
.LBB31_1436:
	s_or_b64 exec, exec, s[6:7]
	s_movk_i32 s4, 0x7f
	v_cmp_gt_i16_sdwa s[6:7], v2, s4 src0_sel:BYTE_3 src1_sel:DWORD
	s_mov_b64 s[4:5], 0
                                        ; implicit-def: $sgpr10
	s_and_saveexec_b64 s[8:9], s[6:7]
	s_xor_b64 s[6:7], exec, s[8:9]
	s_cbranch_execnz .LBB31_3485
; %bb.1437:
	s_or_saveexec_b64 s[6:7], s[6:7]
	v_mov_b32_e32 v6, s10
	s_xor_b64 exec, exec, s[6:7]
	s_cbranch_execnz .LBB31_3488
.LBB31_1438:
	s_or_b64 exec, exec, s[6:7]
	s_and_saveexec_b64 s[6:7], s[4:5]
	s_cbranch_execz .LBB31_1440
.LBB31_1439:
	v_bfe_u32 v6, v2, 24, 3
	v_ffbh_u32_e32 v14, v6
	v_min_u32_e32 v14, 32, v14
	v_lshrrev_b32_e32 v12, 27, v2
	v_subrev_u32_e32 v15, 28, v14
	v_and_b32_e32 v11, 0x80000000, v2
	v_and_b32_e32 v12, 15, v12
	v_bfe_u32 v13, v2, 27, 4
	v_lshlrev_b32_sdwa v2, v15, v2 dst_sel:DWORD dst_unused:UNUSED_PAD src0_sel:DWORD src1_sel:BYTE_3
	v_sub_u32_e32 v14, 29, v14
	v_and_b32_e32 v2, 7, v2
	v_cmp_eq_u16_e32 vcc, 0, v12
	v_cndmask_b32_e32 v2, v6, v2, vcc
	v_cndmask_b32_e32 v6, v13, v14, vcc
	v_mov_b32_e32 v12, 0x3b800000
	v_lshlrev_b32_e32 v2, 20, v2
	v_lshl_add_u32 v6, v6, 23, v12
	v_or3_b32 v6, v11, v6, v2
.LBB31_1440:
	s_or_b64 exec, exec, s[6:7]
	s_nop 0
	v_mfma_f32_16x16x4f32 a[0:3], v10, v6, a[0:3]
	s_movk_i32 s4, 0x7f
	v_cmp_gt_i16_sdwa s[6:7], v7, s4 src0_sel:BYTE_0 src1_sel:DWORD
	s_mov_b64 s[4:5], 0
                                        ; implicit-def: $sgpr10
	s_and_saveexec_b64 s[8:9], s[6:7]
	s_xor_b64 s[6:7], exec, s[8:9]
	s_cbranch_execnz .LBB31_3489
; %bb.1441:
	s_or_saveexec_b64 s[6:7], s[6:7]
	v_mov_b32_e32 v2, s10
	s_xor_b64 exec, exec, s[6:7]
	s_cbranch_execnz .LBB31_3492
.LBB31_1442:
	s_or_b64 exec, exec, s[6:7]
	s_and_saveexec_b64 s[6:7], s[4:5]
	s_cbranch_execz .LBB31_1444
.LBB31_1443:
	v_and_b32_e32 v2, 7, v7
	v_ffbh_u32_e32 v10, v2
	v_min_u32_e32 v10, 32, v10
	v_lshrrev_b16_e32 v6, 3, v7
	v_subrev_u32_e32 v11, 28, v10
	v_and_b32_e32 v6, 15, v6
	v_lshlrev_b32_e32 v11, v11, v7
	v_sub_u32_e32 v10, 29, v10
	v_and_b32_e32 v11, 7, v11
	v_cmp_eq_u16_e32 vcc, 0, v6
	v_cndmask_b32_e32 v2, v2, v11, vcc
	v_cndmask_b32_e32 v6, v6, v10, vcc
	v_lshlrev_b32_e32 v10, 24, v7
	v_mov_b32_e32 v11, 0x3b800000
	v_lshlrev_b32_e32 v2, 20, v2
	v_and_b32_e32 v10, 0x80000000, v10
	v_lshl_add_u32 v6, v6, 23, v11
	v_or3_b32 v2, v10, v6, v2
.LBB31_1444:
	s_or_b64 exec, exec, s[6:7]
	s_movk_i32 s4, 0x7f
	v_cmp_gt_i16_sdwa s[6:7], v3, s4 src0_sel:BYTE_0 src1_sel:DWORD
	s_mov_b64 s[4:5], 0
                                        ; implicit-def: $sgpr10
	s_and_saveexec_b64 s[8:9], s[6:7]
	s_xor_b64 s[6:7], exec, s[8:9]
	s_cbranch_execnz .LBB31_3493
; %bb.1445:
	s_or_saveexec_b64 s[6:7], s[6:7]
	v_mov_b32_e32 v6, s10
	s_xor_b64 exec, exec, s[6:7]
	s_cbranch_execnz .LBB31_3496
.LBB31_1446:
	s_or_b64 exec, exec, s[6:7]
	s_and_saveexec_b64 s[6:7], s[4:5]
	s_cbranch_execz .LBB31_1448
.LBB31_1447:
	v_and_b32_e32 v6, 7, v3
	v_ffbh_u32_e32 v11, v6
	v_min_u32_e32 v11, 32, v11
	v_lshrrev_b16_e32 v10, 3, v3
	v_subrev_u32_e32 v12, 28, v11
	v_and_b32_e32 v10, 15, v10
	v_lshlrev_b32_e32 v12, v12, v3
	v_sub_u32_e32 v11, 29, v11
	v_and_b32_e32 v12, 7, v12
	v_cmp_eq_u16_e32 vcc, 0, v10
	v_cndmask_b32_e32 v6, v6, v12, vcc
	v_cndmask_b32_e32 v10, v10, v11, vcc
	v_lshlrev_b32_e32 v11, 24, v3
	v_mov_b32_e32 v12, 0x3b800000
	v_lshlrev_b32_e32 v6, 20, v6
	v_and_b32_e32 v11, 0x80000000, v11
	v_lshl_add_u32 v10, v10, 23, v12
	v_or3_b32 v6, v11, v10, v6
.LBB31_1448:
	s_or_b64 exec, exec, s[6:7]
	s_nop 0
	v_mfma_f32_16x16x4f32 a[0:3], v2, v6, a[0:3]
	v_lshrrev_b32_e32 v6, 8, v7
	s_movk_i32 s4, 0x7f
	v_cmp_gt_i16_sdwa s[6:7], v6, s4 src0_sel:BYTE_0 src1_sel:DWORD
	s_mov_b64 s[4:5], 0
                                        ; implicit-def: $sgpr10
	s_and_saveexec_b64 s[8:9], s[6:7]
	s_xor_b64 s[6:7], exec, s[8:9]
	s_cbranch_execnz .LBB31_3497
; %bb.1449:
	s_or_saveexec_b64 s[6:7], s[6:7]
	v_mov_b32_e32 v2, s10
	s_xor_b64 exec, exec, s[6:7]
	s_cbranch_execnz .LBB31_3500
.LBB31_1450:
	s_or_b64 exec, exec, s[6:7]
	s_and_saveexec_b64 s[6:7], s[4:5]
	s_cbranch_execz .LBB31_1452
.LBB31_1451:
	v_bfe_u32 v2, v7, 8, 3
	v_ffbh_u32_e32 v11, v2
	v_min_u32_e32 v11, 32, v11
	v_lshrrev_b16_e32 v10, 3, v6
	v_subrev_u32_e32 v12, 28, v11
	v_and_b32_e32 v10, 15, v10
	v_lshlrev_b32_e32 v6, v12, v6
	v_sub_u32_e32 v11, 29, v11
	v_and_b32_e32 v6, 7, v6
	v_cmp_eq_u16_e32 vcc, 0, v10
	v_cndmask_b32_e32 v2, v2, v6, vcc
	v_cndmask_b32_e32 v6, v10, v11, vcc
	v_lshlrev_b32_e32 v10, 16, v7
	v_mov_b32_e32 v11, 0x3b800000
	v_lshlrev_b32_e32 v2, 20, v2
	v_and_b32_e32 v10, 0x80000000, v10
	v_lshl_add_u32 v6, v6, 23, v11
	v_or3_b32 v2, v10, v6, v2
.LBB31_1452:
	s_or_b64 exec, exec, s[6:7]
	v_lshrrev_b32_e32 v6, 8, v3
	s_movk_i32 s4, 0x7f
	v_cmp_gt_i16_sdwa s[6:7], v6, s4 src0_sel:BYTE_0 src1_sel:DWORD
	s_mov_b64 s[4:5], 0
                                        ; implicit-def: $sgpr10
	s_and_saveexec_b64 s[8:9], s[6:7]
	s_xor_b64 s[6:7], exec, s[8:9]
	s_cbranch_execnz .LBB31_3501
; %bb.1453:
	s_or_saveexec_b64 s[6:7], s[6:7]
	v_mov_b32_e32 v10, s10
	s_xor_b64 exec, exec, s[6:7]
	s_cbranch_execnz .LBB31_3504
.LBB31_1454:
	s_or_b64 exec, exec, s[6:7]
	s_and_saveexec_b64 s[6:7], s[4:5]
	s_cbranch_execz .LBB31_1456
.LBB31_1455:
	v_bfe_u32 v10, v3, 8, 3
	v_ffbh_u32_e32 v12, v10
	v_min_u32_e32 v12, 32, v12
	v_lshrrev_b16_e32 v11, 3, v6
	v_subrev_u32_e32 v13, 28, v12
	v_and_b32_e32 v11, 15, v11
	v_lshlrev_b32_e32 v6, v13, v6
	v_sub_u32_e32 v12, 29, v12
	v_and_b32_e32 v6, 7, v6
	v_cmp_eq_u16_e32 vcc, 0, v11
	v_cndmask_b32_e32 v6, v10, v6, vcc
	v_cndmask_b32_e32 v10, v11, v12, vcc
	v_lshlrev_b32_e32 v11, 16, v3
	v_mov_b32_e32 v12, 0x3b800000
	v_lshlrev_b32_e32 v6, 20, v6
	v_and_b32_e32 v11, 0x80000000, v11
	v_lshl_add_u32 v10, v10, 23, v12
	v_or3_b32 v10, v11, v10, v6
.LBB31_1456:
	s_or_b64 exec, exec, s[6:7]
	s_nop 0
	v_mfma_f32_16x16x4f32 a[0:3], v2, v10, a[0:3]
	s_movk_i32 s4, 0xff
	v_and_b32_sdwa v6, v7, s4 dst_sel:DWORD dst_unused:UNUSED_PAD src0_sel:WORD_1 src1_sel:DWORD
	s_movk_i32 s4, 0x7f
	v_cmp_lt_i16_e32 vcc, s4, v6
	s_mov_b64 s[4:5], 0
                                        ; implicit-def: $sgpr10
	s_and_saveexec_b64 s[6:7], vcc
	s_xor_b64 s[6:7], exec, s[6:7]
	s_cbranch_execnz .LBB31_3505
; %bb.1457:
	s_or_saveexec_b64 s[6:7], s[6:7]
	v_mov_b32_e32 v2, s10
	s_xor_b64 exec, exec, s[6:7]
	s_cbranch_execnz .LBB31_3508
.LBB31_1458:
	s_or_b64 exec, exec, s[6:7]
	s_and_saveexec_b64 s[6:7], s[4:5]
	s_cbranch_execz .LBB31_1460
.LBB31_1459:
	v_bfe_u32 v2, v7, 16, 3
	v_ffbh_u32_e32 v11, v2
	v_min_u32_e32 v11, 32, v11
	v_lshrrev_b32_e32 v6, 19, v7
	v_subrev_u32_e32 v12, 28, v11
	v_and_b32_e32 v6, 15, v6
	v_lshlrev_b32_sdwa v12, v12, v7 dst_sel:DWORD dst_unused:UNUSED_PAD src0_sel:DWORD src1_sel:WORD_1
	v_bfe_u32 v10, v7, 19, 4
	v_sub_u32_e32 v11, 29, v11
	v_and_b32_e32 v12, 7, v12
	v_cmp_eq_u16_e32 vcc, 0, v6
	v_cndmask_b32_e32 v2, v2, v12, vcc
	v_cndmask_b32_e32 v6, v10, v11, vcc
	v_lshlrev_b32_e32 v10, 8, v7
	v_mov_b32_e32 v11, 0x3b800000
	v_lshlrev_b32_e32 v2, 20, v2
	v_and_b32_e32 v10, 0x80000000, v10
	v_lshl_add_u32 v6, v6, 23, v11
	v_or3_b32 v2, v10, v6, v2
.LBB31_1460:
	s_or_b64 exec, exec, s[6:7]
	s_movk_i32 s4, 0xff
	v_and_b32_sdwa v6, v3, s4 dst_sel:DWORD dst_unused:UNUSED_PAD src0_sel:WORD_1 src1_sel:DWORD
	s_movk_i32 s4, 0x7f
	v_cmp_lt_i16_e32 vcc, s4, v6
	s_mov_b64 s[4:5], 0
                                        ; implicit-def: $sgpr10
	s_and_saveexec_b64 s[6:7], vcc
	s_xor_b64 s[6:7], exec, s[6:7]
	s_cbranch_execnz .LBB31_3509
; %bb.1461:
	s_or_saveexec_b64 s[6:7], s[6:7]
	v_mov_b32_e32 v10, s10
	s_xor_b64 exec, exec, s[6:7]
	s_cbranch_execnz .LBB31_3512
.LBB31_1462:
	s_or_b64 exec, exec, s[6:7]
	s_and_saveexec_b64 s[6:7], s[4:5]
	s_cbranch_execz .LBB31_1464
.LBB31_1463:
	v_bfe_u32 v6, v3, 16, 3
	v_ffbh_u32_e32 v12, v6
	v_min_u32_e32 v12, 32, v12
	v_lshrrev_b32_e32 v10, 19, v3
	v_subrev_u32_e32 v13, 28, v12
	v_and_b32_e32 v10, 15, v10
	v_lshlrev_b32_sdwa v13, v13, v3 dst_sel:DWORD dst_unused:UNUSED_PAD src0_sel:DWORD src1_sel:WORD_1
	v_bfe_u32 v11, v3, 19, 4
	v_sub_u32_e32 v12, 29, v12
	v_and_b32_e32 v13, 7, v13
	v_cmp_eq_u16_e32 vcc, 0, v10
	v_cndmask_b32_e32 v6, v6, v13, vcc
	v_cndmask_b32_e32 v10, v11, v12, vcc
	v_lshlrev_b32_e32 v11, 8, v3
	v_mov_b32_e32 v12, 0x3b800000
	v_lshlrev_b32_e32 v6, 20, v6
	v_and_b32_e32 v11, 0x80000000, v11
	v_lshl_add_u32 v10, v10, 23, v12
	v_or3_b32 v10, v11, v10, v6
.LBB31_1464:
	s_or_b64 exec, exec, s[6:7]
	s_nop 0
	v_mfma_f32_16x16x4f32 a[0:3], v2, v10, a[0:3]
	s_movk_i32 s4, 0x7f
	v_cmp_gt_i16_sdwa s[6:7], v7, s4 src0_sel:BYTE_3 src1_sel:DWORD
	s_mov_b64 s[4:5], 0
                                        ; implicit-def: $sgpr10
	s_and_saveexec_b64 s[8:9], s[6:7]
	s_xor_b64 s[6:7], exec, s[8:9]
	s_cbranch_execnz .LBB31_3513
; %bb.1465:
	s_or_saveexec_b64 s[6:7], s[6:7]
	v_mov_b32_e32 v2, s10
	s_xor_b64 exec, exec, s[6:7]
	s_cbranch_execnz .LBB31_3516
.LBB31_1466:
	s_or_b64 exec, exec, s[6:7]
	s_and_saveexec_b64 s[6:7], s[4:5]
	s_cbranch_execz .LBB31_1468
.LBB31_1467:
	v_bfe_u32 v2, v7, 24, 3
	v_ffbh_u32_e32 v12, v2
	v_min_u32_e32 v12, 32, v12
	v_lshrrev_b32_e32 v10, 27, v7
	v_subrev_u32_e32 v13, 28, v12
	v_and_b32_e32 v6, 0x80000000, v7
	v_and_b32_e32 v10, 15, v10
	v_bfe_u32 v11, v7, 27, 4
	v_lshlrev_b32_sdwa v7, v13, v7 dst_sel:DWORD dst_unused:UNUSED_PAD src0_sel:DWORD src1_sel:BYTE_3
	v_sub_u32_e32 v12, 29, v12
	v_and_b32_e32 v7, 7, v7
	v_cmp_eq_u16_e32 vcc, 0, v10
	v_cndmask_b32_e32 v2, v2, v7, vcc
	v_cndmask_b32_e32 v7, v11, v12, vcc
	v_mov_b32_e32 v10, 0x3b800000
	v_lshlrev_b32_e32 v2, 20, v2
	v_lshl_add_u32 v7, v7, 23, v10
	v_or3_b32 v2, v6, v7, v2
.LBB31_1468:
	s_or_b64 exec, exec, s[6:7]
	s_movk_i32 s4, 0x7f
	v_cmp_gt_i16_sdwa s[6:7], v3, s4 src0_sel:BYTE_3 src1_sel:DWORD
	s_mov_b64 s[4:5], 0
                                        ; implicit-def: $sgpr10
	s_and_saveexec_b64 s[8:9], s[6:7]
	s_xor_b64 s[6:7], exec, s[8:9]
	s_cbranch_execnz .LBB31_3517
; %bb.1469:
	s_or_saveexec_b64 s[6:7], s[6:7]
	v_mov_b32_e32 v6, s10
	s_xor_b64 exec, exec, s[6:7]
	s_cbranch_execnz .LBB31_3520
.LBB31_1470:
	s_or_b64 exec, exec, s[6:7]
	s_and_saveexec_b64 s[6:7], s[4:5]
	s_cbranch_execz .LBB31_1472
.LBB31_1471:
	v_bfe_u32 v6, v3, 24, 3
	v_ffbh_u32_e32 v12, v6
	v_min_u32_e32 v12, 32, v12
	v_lshrrev_b32_e32 v10, 27, v3
	v_subrev_u32_e32 v13, 28, v12
	v_and_b32_e32 v7, 0x80000000, v3
	v_and_b32_e32 v10, 15, v10
	v_bfe_u32 v11, v3, 27, 4
	v_lshlrev_b32_sdwa v3, v13, v3 dst_sel:DWORD dst_unused:UNUSED_PAD src0_sel:DWORD src1_sel:BYTE_3
	v_sub_u32_e32 v12, 29, v12
	v_and_b32_e32 v3, 7, v3
	v_cmp_eq_u16_e32 vcc, 0, v10
	v_cndmask_b32_e32 v3, v6, v3, vcc
	v_cndmask_b32_e32 v6, v11, v12, vcc
	v_mov_b32_e32 v10, 0x3b800000
	v_lshlrev_b32_e32 v3, 20, v3
	v_lshl_add_u32 v6, v6, 23, v10
	v_or3_b32 v6, v7, v6, v3
.LBB31_1472:
	s_or_b64 exec, exec, s[6:7]
	s_nop 0
	v_mfma_f32_16x16x4f32 a[0:3], v2, v6, a[0:3]
	s_movk_i32 s4, 0x7f
	v_cmp_gt_i16_sdwa s[6:7], v8, s4 src0_sel:BYTE_0 src1_sel:DWORD
	s_mov_b64 s[4:5], 0
                                        ; implicit-def: $sgpr10
	s_and_saveexec_b64 s[8:9], s[6:7]
	s_xor_b64 s[6:7], exec, s[8:9]
	s_cbranch_execnz .LBB31_3521
; %bb.1473:
	s_or_saveexec_b64 s[6:7], s[6:7]
	v_mov_b32_e32 v2, s10
	s_xor_b64 exec, exec, s[6:7]
	s_cbranch_execnz .LBB31_3524
.LBB31_1474:
	s_or_b64 exec, exec, s[6:7]
	s_and_saveexec_b64 s[6:7], s[4:5]
	s_cbranch_execz .LBB31_1476
.LBB31_1475:
	v_and_b32_e32 v2, 7, v8
	v_ffbh_u32_e32 v6, v2
	v_min_u32_e32 v6, 32, v6
	v_lshrrev_b16_e32 v3, 3, v8
	v_subrev_u32_e32 v7, 28, v6
	v_and_b32_e32 v3, 15, v3
	v_lshlrev_b32_e32 v7, v7, v8
	v_sub_u32_e32 v6, 29, v6
	v_and_b32_e32 v7, 7, v7
	v_cmp_eq_u16_e32 vcc, 0, v3
	v_cndmask_b32_e32 v2, v2, v7, vcc
	v_cndmask_b32_e32 v3, v3, v6, vcc
	v_lshlrev_b32_e32 v6, 24, v8
	v_mov_b32_e32 v7, 0x3b800000
	v_lshlrev_b32_e32 v2, 20, v2
	v_and_b32_e32 v6, 0x80000000, v6
	v_lshl_add_u32 v3, v3, 23, v7
	v_or3_b32 v2, v6, v3, v2
.LBB31_1476:
	s_or_b64 exec, exec, s[6:7]
	s_movk_i32 s4, 0x7f
	v_cmp_gt_i16_sdwa s[6:7], v4, s4 src0_sel:BYTE_0 src1_sel:DWORD
	s_mov_b64 s[4:5], 0
                                        ; implicit-def: $sgpr10
	s_and_saveexec_b64 s[8:9], s[6:7]
	s_xor_b64 s[6:7], exec, s[8:9]
	s_cbranch_execnz .LBB31_3525
; %bb.1477:
	s_or_saveexec_b64 s[6:7], s[6:7]
	v_mov_b32_e32 v3, s10
	s_xor_b64 exec, exec, s[6:7]
	s_cbranch_execnz .LBB31_3528
.LBB31_1478:
	s_or_b64 exec, exec, s[6:7]
	s_and_saveexec_b64 s[6:7], s[4:5]
	s_cbranch_execz .LBB31_1480
.LBB31_1479:
	v_and_b32_e32 v3, 7, v4
	v_ffbh_u32_e32 v7, v3
	v_min_u32_e32 v7, 32, v7
	v_lshrrev_b16_e32 v6, 3, v4
	v_subrev_u32_e32 v10, 28, v7
	v_and_b32_e32 v6, 15, v6
	v_lshlrev_b32_e32 v10, v10, v4
	v_sub_u32_e32 v7, 29, v7
	v_and_b32_e32 v10, 7, v10
	v_cmp_eq_u16_e32 vcc, 0, v6
	v_cndmask_b32_e32 v3, v3, v10, vcc
	v_cndmask_b32_e32 v6, v6, v7, vcc
	v_lshlrev_b32_e32 v7, 24, v4
	v_mov_b32_e32 v10, 0x3b800000
	v_lshlrev_b32_e32 v3, 20, v3
	v_and_b32_e32 v7, 0x80000000, v7
	v_lshl_add_u32 v6, v6, 23, v10
	v_or3_b32 v3, v7, v6, v3
.LBB31_1480:
	s_or_b64 exec, exec, s[6:7]
	s_nop 0
	v_mfma_f32_16x16x4f32 a[0:3], v2, v3, a[0:3]
	v_lshrrev_b32_e32 v3, 8, v8
	s_movk_i32 s4, 0x7f
	v_cmp_gt_i16_sdwa s[6:7], v3, s4 src0_sel:BYTE_0 src1_sel:DWORD
	s_mov_b64 s[4:5], 0
                                        ; implicit-def: $sgpr10
	s_and_saveexec_b64 s[8:9], s[6:7]
	s_xor_b64 s[6:7], exec, s[8:9]
	s_cbranch_execnz .LBB31_3529
; %bb.1481:
	s_or_saveexec_b64 s[6:7], s[6:7]
	v_mov_b32_e32 v2, s10
	s_xor_b64 exec, exec, s[6:7]
	s_cbranch_execnz .LBB31_3532
.LBB31_1482:
	s_or_b64 exec, exec, s[6:7]
	s_and_saveexec_b64 s[6:7], s[4:5]
	s_cbranch_execz .LBB31_1484
.LBB31_1483:
	v_bfe_u32 v2, v8, 8, 3
	v_ffbh_u32_e32 v7, v2
	v_min_u32_e32 v7, 32, v7
	v_lshrrev_b16_e32 v6, 3, v3
	v_subrev_u32_e32 v10, 28, v7
	v_and_b32_e32 v6, 15, v6
	v_lshlrev_b32_e32 v3, v10, v3
	v_sub_u32_e32 v7, 29, v7
	v_and_b32_e32 v3, 7, v3
	v_cmp_eq_u16_e32 vcc, 0, v6
	v_cndmask_b32_e32 v2, v2, v3, vcc
	v_cndmask_b32_e32 v3, v6, v7, vcc
	v_lshlrev_b32_e32 v6, 16, v8
	v_mov_b32_e32 v7, 0x3b800000
	v_lshlrev_b32_e32 v2, 20, v2
	v_and_b32_e32 v6, 0x80000000, v6
	v_lshl_add_u32 v3, v3, 23, v7
	v_or3_b32 v2, v6, v3, v2
.LBB31_1484:
	s_or_b64 exec, exec, s[6:7]
	v_lshrrev_b32_e32 v3, 8, v4
	s_movk_i32 s4, 0x7f
	v_cmp_gt_i16_sdwa s[6:7], v3, s4 src0_sel:BYTE_0 src1_sel:DWORD
	s_mov_b64 s[4:5], 0
                                        ; implicit-def: $sgpr10
	s_and_saveexec_b64 s[8:9], s[6:7]
	s_xor_b64 s[6:7], exec, s[8:9]
	s_cbranch_execnz .LBB31_3533
; %bb.1485:
	s_or_saveexec_b64 s[6:7], s[6:7]
	v_mov_b32_e32 v6, s10
	s_xor_b64 exec, exec, s[6:7]
	s_cbranch_execnz .LBB31_3536
.LBB31_1486:
	s_or_b64 exec, exec, s[6:7]
	s_and_saveexec_b64 s[6:7], s[4:5]
	s_cbranch_execz .LBB31_1488
.LBB31_1487:
	v_bfe_u32 v6, v4, 8, 3
	v_ffbh_u32_e32 v10, v6
	v_min_u32_e32 v10, 32, v10
	v_lshrrev_b16_e32 v7, 3, v3
	v_subrev_u32_e32 v11, 28, v10
	v_and_b32_e32 v7, 15, v7
	v_lshlrev_b32_e32 v3, v11, v3
	v_sub_u32_e32 v10, 29, v10
	v_and_b32_e32 v3, 7, v3
	v_cmp_eq_u16_e32 vcc, 0, v7
	v_cndmask_b32_e32 v3, v6, v3, vcc
	v_cndmask_b32_e32 v6, v7, v10, vcc
	v_lshlrev_b32_e32 v7, 16, v4
	v_mov_b32_e32 v10, 0x3b800000
	v_lshlrev_b32_e32 v3, 20, v3
	v_and_b32_e32 v7, 0x80000000, v7
	v_lshl_add_u32 v6, v6, 23, v10
	v_or3_b32 v6, v7, v6, v3
.LBB31_1488:
	s_or_b64 exec, exec, s[6:7]
	s_nop 0
	v_mfma_f32_16x16x4f32 a[0:3], v2, v6, a[0:3]
	s_movk_i32 s4, 0xff
	v_and_b32_sdwa v3, v8, s4 dst_sel:DWORD dst_unused:UNUSED_PAD src0_sel:WORD_1 src1_sel:DWORD
	s_movk_i32 s4, 0x7f
	v_cmp_lt_i16_e32 vcc, s4, v3
	s_mov_b64 s[4:5], 0
                                        ; implicit-def: $sgpr10
	s_and_saveexec_b64 s[6:7], vcc
	s_xor_b64 s[6:7], exec, s[6:7]
	s_cbranch_execnz .LBB31_3537
; %bb.1489:
	s_or_saveexec_b64 s[6:7], s[6:7]
	v_mov_b32_e32 v2, s10
	s_xor_b64 exec, exec, s[6:7]
	s_cbranch_execnz .LBB31_3540
.LBB31_1490:
	s_or_b64 exec, exec, s[6:7]
	s_and_saveexec_b64 s[6:7], s[4:5]
	s_cbranch_execz .LBB31_1492
.LBB31_1491:
	v_bfe_u32 v2, v8, 16, 3
	v_ffbh_u32_e32 v7, v2
	v_min_u32_e32 v7, 32, v7
	v_lshrrev_b32_e32 v3, 19, v8
	v_subrev_u32_e32 v10, 28, v7
	v_and_b32_e32 v3, 15, v3
	v_lshlrev_b32_sdwa v10, v10, v8 dst_sel:DWORD dst_unused:UNUSED_PAD src0_sel:DWORD src1_sel:WORD_1
	v_bfe_u32 v6, v8, 19, 4
	v_sub_u32_e32 v7, 29, v7
	v_and_b32_e32 v10, 7, v10
	v_cmp_eq_u16_e32 vcc, 0, v3
	v_cndmask_b32_e32 v2, v2, v10, vcc
	v_cndmask_b32_e32 v3, v6, v7, vcc
	v_lshlrev_b32_e32 v6, 8, v8
	v_mov_b32_e32 v7, 0x3b800000
	v_lshlrev_b32_e32 v2, 20, v2
	v_and_b32_e32 v6, 0x80000000, v6
	v_lshl_add_u32 v3, v3, 23, v7
	v_or3_b32 v2, v6, v3, v2
.LBB31_1492:
	s_or_b64 exec, exec, s[6:7]
	s_movk_i32 s4, 0xff
	v_and_b32_sdwa v3, v4, s4 dst_sel:DWORD dst_unused:UNUSED_PAD src0_sel:WORD_1 src1_sel:DWORD
	s_movk_i32 s4, 0x7f
	v_cmp_lt_i16_e32 vcc, s4, v3
	s_mov_b64 s[4:5], 0
                                        ; implicit-def: $sgpr10
	s_and_saveexec_b64 s[6:7], vcc
	s_xor_b64 s[6:7], exec, s[6:7]
	s_cbranch_execnz .LBB31_3541
; %bb.1493:
	s_or_saveexec_b64 s[6:7], s[6:7]
	v_mov_b32_e32 v6, s10
	s_xor_b64 exec, exec, s[6:7]
	s_cbranch_execnz .LBB31_3544
.LBB31_1494:
	s_or_b64 exec, exec, s[6:7]
	s_and_saveexec_b64 s[6:7], s[4:5]
	s_cbranch_execz .LBB31_1496
.LBB31_1495:
	v_bfe_u32 v3, v4, 16, 3
	v_ffbh_u32_e32 v10, v3
	v_min_u32_e32 v10, 32, v10
	v_lshrrev_b32_e32 v6, 19, v4
	v_subrev_u32_e32 v11, 28, v10
	v_and_b32_e32 v6, 15, v6
	v_lshlrev_b32_sdwa v11, v11, v4 dst_sel:DWORD dst_unused:UNUSED_PAD src0_sel:DWORD src1_sel:WORD_1
	v_bfe_u32 v7, v4, 19, 4
	v_sub_u32_e32 v10, 29, v10
	v_and_b32_e32 v11, 7, v11
	v_cmp_eq_u16_e32 vcc, 0, v6
	v_cndmask_b32_e32 v3, v3, v11, vcc
	v_cndmask_b32_e32 v6, v7, v10, vcc
	v_lshlrev_b32_e32 v7, 8, v4
	v_mov_b32_e32 v10, 0x3b800000
	v_lshlrev_b32_e32 v3, 20, v3
	v_and_b32_e32 v7, 0x80000000, v7
	v_lshl_add_u32 v6, v6, 23, v10
	v_or3_b32 v6, v7, v6, v3
.LBB31_1496:
	s_or_b64 exec, exec, s[6:7]
	s_nop 0
	v_mfma_f32_16x16x4f32 a[0:3], v2, v6, a[0:3]
	s_movk_i32 s4, 0x7f
	v_cmp_gt_i16_sdwa s[6:7], v8, s4 src0_sel:BYTE_3 src1_sel:DWORD
	s_mov_b64 s[4:5], 0
                                        ; implicit-def: $sgpr10
	s_and_saveexec_b64 s[8:9], s[6:7]
	s_xor_b64 s[6:7], exec, s[8:9]
	s_cbranch_execnz .LBB31_3545
; %bb.1497:
	s_or_saveexec_b64 s[6:7], s[6:7]
	v_mov_b32_e32 v2, s10
	s_xor_b64 exec, exec, s[6:7]
	s_cbranch_execnz .LBB31_3548
.LBB31_1498:
	s_or_b64 exec, exec, s[6:7]
	s_and_saveexec_b64 s[6:7], s[4:5]
	s_cbranch_execz .LBB31_1500
.LBB31_1499:
	v_bfe_u32 v2, v8, 24, 3
	v_ffbh_u32_e32 v10, v2
	v_min_u32_e32 v10, 32, v10
	v_lshrrev_b32_e32 v6, 27, v8
	v_subrev_u32_e32 v11, 28, v10
	v_and_b32_e32 v3, 0x80000000, v8
	v_and_b32_e32 v6, 15, v6
	v_bfe_u32 v7, v8, 27, 4
	v_lshlrev_b32_sdwa v8, v11, v8 dst_sel:DWORD dst_unused:UNUSED_PAD src0_sel:DWORD src1_sel:BYTE_3
	v_sub_u32_e32 v10, 29, v10
	v_and_b32_e32 v8, 7, v8
	v_cmp_eq_u16_e32 vcc, 0, v6
	v_cndmask_b32_e32 v2, v2, v8, vcc
	v_cndmask_b32_e32 v6, v7, v10, vcc
	v_mov_b32_e32 v7, 0x3b800000
	v_lshlrev_b32_e32 v2, 20, v2
	v_lshl_add_u32 v6, v6, 23, v7
	v_or3_b32 v2, v3, v6, v2
.LBB31_1500:
	s_or_b64 exec, exec, s[6:7]
	s_movk_i32 s4, 0x7f
	v_cmp_gt_i16_sdwa s[6:7], v4, s4 src0_sel:BYTE_3 src1_sel:DWORD
	s_mov_b64 s[4:5], 0
                                        ; implicit-def: $sgpr10
	s_and_saveexec_b64 s[8:9], s[6:7]
	s_xor_b64 s[6:7], exec, s[8:9]
	s_cbranch_execnz .LBB31_3549
; %bb.1501:
	s_or_saveexec_b64 s[6:7], s[6:7]
	v_mov_b32_e32 v3, s10
	s_xor_b64 exec, exec, s[6:7]
	s_cbranch_execnz .LBB31_3552
.LBB31_1502:
	s_or_b64 exec, exec, s[6:7]
	s_and_saveexec_b64 s[6:7], s[4:5]
	s_cbranch_execz .LBB31_1504
.LBB31_1503:
	v_bfe_u32 v3, v4, 24, 3
	v_ffbh_u32_e32 v10, v3
	v_min_u32_e32 v10, 32, v10
	v_lshrrev_b32_e32 v7, 27, v4
	v_subrev_u32_e32 v11, 28, v10
	v_and_b32_e32 v6, 0x80000000, v4
	v_and_b32_e32 v7, 15, v7
	v_bfe_u32 v8, v4, 27, 4
	v_lshlrev_b32_sdwa v4, v11, v4 dst_sel:DWORD dst_unused:UNUSED_PAD src0_sel:DWORD src1_sel:BYTE_3
	v_sub_u32_e32 v10, 29, v10
	v_and_b32_e32 v4, 7, v4
	v_cmp_eq_u16_e32 vcc, 0, v7
	v_cndmask_b32_e32 v3, v3, v4, vcc
	v_cndmask_b32_e32 v4, v8, v10, vcc
	v_mov_b32_e32 v7, 0x3b800000
	v_lshlrev_b32_e32 v3, 20, v3
	v_lshl_add_u32 v4, v4, 23, v7
	v_or3_b32 v3, v6, v4, v3
.LBB31_1504:
	s_or_b64 exec, exec, s[6:7]
	s_nop 0
	v_mfma_f32_16x16x4f32 a[0:3], v2, v3, a[0:3]
	s_movk_i32 s4, 0x7f
	v_cmp_gt_i16_sdwa s[6:7], v9, s4 src0_sel:BYTE_0 src1_sel:DWORD
	s_mov_b64 s[4:5], 0
                                        ; implicit-def: $sgpr10
	s_and_saveexec_b64 s[8:9], s[6:7]
	s_xor_b64 s[6:7], exec, s[8:9]
	s_cbranch_execnz .LBB31_3553
; %bb.1505:
	s_or_saveexec_b64 s[6:7], s[6:7]
	v_mov_b32_e32 v2, s10
	s_xor_b64 exec, exec, s[6:7]
	s_cbranch_execnz .LBB31_3556
.LBB31_1506:
	s_or_b64 exec, exec, s[6:7]
	s_and_saveexec_b64 s[6:7], s[4:5]
	s_cbranch_execz .LBB31_1508
.LBB31_1507:
	v_mov_b32_e32 v2, 8
	v_and_b32_e32 v3, 7, v9
	v_lshrrev_b32_sdwa v2, v2, v9 dst_sel:BYTE_1 dst_unused:UNUSED_PAD src0_sel:DWORD src1_sel:DWORD
	v_ffbh_u32_e32 v4, v3
	v_or_b32_sdwa v2, v9, v2 dst_sel:DWORD dst_unused:UNUSED_PAD src0_sel:BYTE_0 src1_sel:DWORD
	v_min_u32_e32 v4, 32, v4
	v_lshrrev_b16_e32 v2, 3, v2
	v_subrev_u32_e32 v6, 28, v4
	v_and_b32_e32 v2, 15, v2
	v_lshlrev_b32_e32 v6, v6, v9
	v_sub_u32_e32 v4, 29, v4
	v_and_b32_e32 v6, 7, v6
	v_cmp_eq_u16_e32 vcc, 0, v2
	v_cndmask_b32_e32 v3, v3, v6, vcc
	v_cndmask_b32_e32 v2, v2, v4, vcc
	v_lshlrev_b32_e32 v4, 24, v9
	v_mov_b32_e32 v6, 0x3b800000
	v_lshlrev_b32_e32 v3, 20, v3
	v_and_b32_e32 v4, 0x80000000, v4
	v_lshl_add_u32 v2, v2, 23, v6
	v_or3_b32 v2, v4, v2, v3
.LBB31_1508:
	s_or_b64 exec, exec, s[6:7]
	s_movk_i32 s4, 0x7f
	v_cmp_gt_i16_sdwa s[6:7], v5, s4 src0_sel:BYTE_0 src1_sel:DWORD
	s_mov_b64 s[4:5], 0
                                        ; implicit-def: $sgpr10
	s_and_saveexec_b64 s[8:9], s[6:7]
	s_xor_b64 s[6:7], exec, s[8:9]
	s_cbranch_execnz .LBB31_3557
; %bb.1509:
	s_or_saveexec_b64 s[6:7], s[6:7]
	v_mov_b32_e32 v3, s10
	s_xor_b64 exec, exec, s[6:7]
	s_cbranch_execnz .LBB31_3560
.LBB31_1510:
	s_or_b64 exec, exec, s[6:7]
	s_and_saveexec_b64 s[6:7], s[4:5]
	s_cbranch_execz .LBB31_1512
.LBB31_1511:
	v_mov_b32_e32 v3, 8
	v_and_b32_e32 v4, 7, v5
	v_lshrrev_b32_sdwa v3, v3, v5 dst_sel:BYTE_1 dst_unused:UNUSED_PAD src0_sel:DWORD src1_sel:DWORD
	v_ffbh_u32_e32 v6, v4
	v_or_b32_sdwa v3, v5, v3 dst_sel:DWORD dst_unused:UNUSED_PAD src0_sel:BYTE_0 src1_sel:DWORD
	v_min_u32_e32 v6, 32, v6
	v_lshrrev_b16_e32 v3, 3, v3
	v_subrev_u32_e32 v7, 28, v6
	v_and_b32_e32 v3, 15, v3
	v_lshlrev_b32_e32 v7, v7, v5
	v_sub_u32_e32 v6, 29, v6
	v_and_b32_e32 v7, 7, v7
	v_cmp_eq_u16_e32 vcc, 0, v3
	v_cndmask_b32_e32 v4, v4, v7, vcc
	v_cndmask_b32_e32 v3, v3, v6, vcc
	v_lshlrev_b32_e32 v6, 24, v5
	v_mov_b32_e32 v7, 0x3b800000
	v_lshlrev_b32_e32 v4, 20, v4
	v_and_b32_e32 v6, 0x80000000, v6
	v_lshl_add_u32 v3, v3, 23, v7
	v_or3_b32 v3, v6, v3, v4
.LBB31_1512:
	s_or_b64 exec, exec, s[6:7]
	s_nop 0
	v_mfma_f32_16x16x4f32 a[0:3], v2, v3, a[0:3]
	v_lshrrev_b32_e32 v3, 8, v9
	s_movk_i32 s4, 0x7f
	v_cmp_gt_i16_sdwa s[6:7], v3, s4 src0_sel:BYTE_0 src1_sel:DWORD
	s_mov_b64 s[4:5], 0
                                        ; implicit-def: $sgpr10
	s_and_saveexec_b64 s[8:9], s[6:7]
	s_xor_b64 s[6:7], exec, s[8:9]
	s_cbranch_execnz .LBB31_3561
; %bb.1513:
	s_or_saveexec_b64 s[6:7], s[6:7]
	v_mov_b32_e32 v2, s10
	s_xor_b64 exec, exec, s[6:7]
	s_cbranch_execnz .LBB31_3564
.LBB31_1514:
	s_or_b64 exec, exec, s[6:7]
	s_and_saveexec_b64 s[6:7], s[4:5]
	s_cbranch_execz .LBB31_1516
.LBB31_1515:
	v_bfe_u32 v2, v9, 8, 3
	v_ffbh_u32_e32 v6, v2
	v_min_u32_e32 v6, 32, v6
	v_lshrrev_b16_e32 v4, 3, v3
	v_subrev_u32_e32 v7, 28, v6
	v_and_b32_e32 v4, 15, v4
	v_lshlrev_b32_e32 v3, v7, v3
	v_sub_u32_e32 v6, 29, v6
	v_and_b32_e32 v3, 7, v3
	v_cmp_eq_u16_e32 vcc, 0, v4
	v_cndmask_b32_e32 v2, v2, v3, vcc
	v_cndmask_b32_e32 v3, v4, v6, vcc
	v_lshlrev_b32_e32 v4, 16, v9
	v_mov_b32_e32 v6, 0x3b800000
	v_lshlrev_b32_e32 v2, 20, v2
	v_and_b32_e32 v4, 0x80000000, v4
	v_lshl_add_u32 v3, v3, 23, v6
	v_or3_b32 v2, v4, v3, v2
.LBB31_1516:
	s_or_b64 exec, exec, s[6:7]
	v_lshrrev_b32_e32 v3, 8, v5
	s_movk_i32 s4, 0x7f
	v_cmp_gt_i16_sdwa s[6:7], v3, s4 src0_sel:BYTE_0 src1_sel:DWORD
	s_mov_b64 s[4:5], 0
                                        ; implicit-def: $sgpr10
	s_and_saveexec_b64 s[8:9], s[6:7]
	s_xor_b64 s[6:7], exec, s[8:9]
	s_cbranch_execnz .LBB31_3565
; %bb.1517:
	s_or_saveexec_b64 s[6:7], s[6:7]
	v_mov_b32_e32 v4, s10
	s_xor_b64 exec, exec, s[6:7]
	s_cbranch_execnz .LBB31_3568
.LBB31_1518:
	s_or_b64 exec, exec, s[6:7]
	s_and_saveexec_b64 s[6:7], s[4:5]
	s_cbranch_execz .LBB31_1520
.LBB31_1519:
	v_bfe_u32 v4, v5, 8, 3
	v_ffbh_u32_e32 v7, v4
	v_min_u32_e32 v7, 32, v7
	v_lshrrev_b16_e32 v6, 3, v3
	v_subrev_u32_e32 v8, 28, v7
	v_and_b32_e32 v6, 15, v6
	v_lshlrev_b32_e32 v3, v8, v3
	v_sub_u32_e32 v7, 29, v7
	v_and_b32_e32 v3, 7, v3
	v_cmp_eq_u16_e32 vcc, 0, v6
	v_cndmask_b32_e32 v3, v4, v3, vcc
	v_cndmask_b32_e32 v4, v6, v7, vcc
	v_lshlrev_b32_e32 v6, 16, v5
	v_mov_b32_e32 v7, 0x3b800000
	v_lshlrev_b32_e32 v3, 20, v3
	v_and_b32_e32 v6, 0x80000000, v6
	v_lshl_add_u32 v4, v4, 23, v7
	v_or3_b32 v4, v6, v4, v3
.LBB31_1520:
	s_or_b64 exec, exec, s[6:7]
	s_nop 0
	v_mfma_f32_16x16x4f32 a[0:3], v2, v4, a[0:3]
	s_movk_i32 s4, 0xff
	v_and_b32_sdwa v3, v9, s4 dst_sel:DWORD dst_unused:UNUSED_PAD src0_sel:WORD_1 src1_sel:DWORD
	s_movk_i32 s4, 0x7f
	v_cmp_lt_i16_e32 vcc, s4, v3
	s_mov_b64 s[4:5], 0
                                        ; implicit-def: $sgpr10
	s_and_saveexec_b64 s[6:7], vcc
	s_xor_b64 s[6:7], exec, s[6:7]
	s_cbranch_execnz .LBB31_3569
; %bb.1521:
	s_or_saveexec_b64 s[6:7], s[6:7]
	v_mov_b32_e32 v2, s10
	s_xor_b64 exec, exec, s[6:7]
	s_cbranch_execnz .LBB31_3572
.LBB31_1522:
	s_or_b64 exec, exec, s[6:7]
	s_and_saveexec_b64 s[6:7], s[4:5]
	s_cbranch_execz .LBB31_1524
.LBB31_1523:
	v_bfe_u32 v2, v9, 16, 3
	v_ffbh_u32_e32 v6, v2
	v_min_u32_e32 v6, 32, v6
	v_lshrrev_b32_e32 v3, 19, v9
	v_subrev_u32_e32 v7, 28, v6
	v_and_b32_e32 v3, 15, v3
	v_lshlrev_b32_sdwa v7, v7, v9 dst_sel:DWORD dst_unused:UNUSED_PAD src0_sel:DWORD src1_sel:WORD_1
	v_bfe_u32 v4, v9, 19, 4
	v_sub_u32_e32 v6, 29, v6
	v_and_b32_e32 v7, 7, v7
	v_cmp_eq_u16_e32 vcc, 0, v3
	v_cndmask_b32_e32 v2, v2, v7, vcc
	v_cndmask_b32_e32 v3, v4, v6, vcc
	v_lshlrev_b32_e32 v4, 8, v9
	v_mov_b32_e32 v6, 0x3b800000
	v_lshlrev_b32_e32 v2, 20, v2
	v_and_b32_e32 v4, 0x80000000, v4
	v_lshl_add_u32 v3, v3, 23, v6
	v_or3_b32 v2, v4, v3, v2
.LBB31_1524:
	s_or_b64 exec, exec, s[6:7]
	s_movk_i32 s4, 0xff
	v_and_b32_sdwa v3, v5, s4 dst_sel:DWORD dst_unused:UNUSED_PAD src0_sel:WORD_1 src1_sel:DWORD
	s_movk_i32 s4, 0x7f
	v_cmp_lt_i16_e32 vcc, s4, v3
	s_mov_b64 s[4:5], 0
                                        ; implicit-def: $sgpr10
	s_and_saveexec_b64 s[6:7], vcc
	s_xor_b64 s[6:7], exec, s[6:7]
	s_cbranch_execnz .LBB31_3573
; %bb.1525:
	s_or_saveexec_b64 s[6:7], s[6:7]
	v_mov_b32_e32 v4, s10
	s_xor_b64 exec, exec, s[6:7]
	s_cbranch_execnz .LBB31_3576
.LBB31_1526:
	s_or_b64 exec, exec, s[6:7]
	s_and_saveexec_b64 s[6:7], s[4:5]
	s_cbranch_execz .LBB31_1528
.LBB31_1527:
	v_bfe_u32 v3, v5, 16, 3
	v_ffbh_u32_e32 v7, v3
	v_min_u32_e32 v7, 32, v7
	v_lshrrev_b32_e32 v4, 19, v5
	v_subrev_u32_e32 v8, 28, v7
	v_and_b32_e32 v4, 15, v4
	v_lshlrev_b32_sdwa v8, v8, v5 dst_sel:DWORD dst_unused:UNUSED_PAD src0_sel:DWORD src1_sel:WORD_1
	v_bfe_u32 v6, v5, 19, 4
	v_sub_u32_e32 v7, 29, v7
	v_and_b32_e32 v8, 7, v8
	v_cmp_eq_u16_e32 vcc, 0, v4
	v_cndmask_b32_e32 v3, v3, v8, vcc
	v_cndmask_b32_e32 v4, v6, v7, vcc
	v_lshlrev_b32_e32 v6, 8, v5
	v_mov_b32_e32 v7, 0x3b800000
	v_lshlrev_b32_e32 v3, 20, v3
	v_and_b32_e32 v6, 0x80000000, v6
	v_lshl_add_u32 v4, v4, 23, v7
	v_or3_b32 v4, v6, v4, v3
.LBB31_1528:
	s_or_b64 exec, exec, s[6:7]
	s_nop 0
	v_mfma_f32_16x16x4f32 a[0:3], v2, v4, a[0:3]
	s_movk_i32 s4, 0x7f
	v_cmp_gt_i16_sdwa s[6:7], v9, s4 src0_sel:BYTE_3 src1_sel:DWORD
	s_mov_b64 s[4:5], 0
                                        ; implicit-def: $sgpr10
	s_and_saveexec_b64 s[8:9], s[6:7]
	s_xor_b64 s[6:7], exec, s[8:9]
	s_cbranch_execnz .LBB31_3577
; %bb.1529:
	s_or_saveexec_b64 s[6:7], s[6:7]
	v_mov_b32_e32 v2, s10
	s_xor_b64 exec, exec, s[6:7]
	s_cbranch_execnz .LBB31_3580
.LBB31_1530:
	s_or_b64 exec, exec, s[6:7]
	s_and_saveexec_b64 s[6:7], s[4:5]
	s_cbranch_execz .LBB31_1532
.LBB31_1531:
	v_bfe_u32 v2, v9, 24, 3
	v_ffbh_u32_e32 v7, v2
	v_min_u32_e32 v7, 32, v7
	v_lshrrev_b32_e32 v4, 27, v9
	v_subrev_u32_e32 v8, 28, v7
	v_and_b32_e32 v4, 15, v4
	v_lshlrev_b32_sdwa v8, v8, v9 dst_sel:DWORD dst_unused:UNUSED_PAD src0_sel:DWORD src1_sel:BYTE_3
	v_bfe_u32 v6, v9, 27, 4
	v_sub_u32_e32 v7, 29, v7
	v_and_b32_e32 v8, 7, v8
	v_cmp_eq_u16_e32 vcc, 0, v4
	v_cndmask_b32_e32 v2, v2, v8, vcc
	v_cndmask_b32_e32 v4, v6, v7, vcc
	v_mov_b32_e32 v6, 0x3b800000
	v_and_b32_e32 v3, 0x80000000, v9
	v_lshlrev_b32_e32 v2, 20, v2
	v_lshl_add_u32 v4, v4, 23, v6
	v_or3_b32 v2, v3, v4, v2
.LBB31_1532:
	s_or_b64 exec, exec, s[6:7]
	s_movk_i32 s4, 0x7f
	v_cmp_gt_i16_sdwa s[6:7], v5, s4 src0_sel:BYTE_3 src1_sel:DWORD
	s_mov_b64 s[4:5], 0
                                        ; implicit-def: $sgpr10
	s_and_saveexec_b64 s[8:9], s[6:7]
	s_xor_b64 s[6:7], exec, s[8:9]
	s_cbranch_execnz .LBB31_3581
; %bb.1533:
	s_or_saveexec_b64 s[6:7], s[6:7]
	v_mov_b32_e32 v3, s10
	s_xor_b64 exec, exec, s[6:7]
	s_cbranch_execnz .LBB31_3584
.LBB31_1534:
	s_or_b64 exec, exec, s[6:7]
	s_and_saveexec_b64 s[6:7], s[4:5]
	s_cbranch_execz .LBB31_1536
.LBB31_1535:
	v_bfe_u32 v3, v5, 24, 3
	v_ffbh_u32_e32 v8, v3
	v_min_u32_e32 v8, 32, v8
	v_lshrrev_b32_e32 v6, 27, v5
	v_subrev_u32_e32 v9, 28, v8
	v_and_b32_e32 v4, 0x80000000, v5
	v_and_b32_e32 v6, 15, v6
	v_bfe_u32 v7, v5, 27, 4
	v_lshlrev_b32_sdwa v5, v9, v5 dst_sel:DWORD dst_unused:UNUSED_PAD src0_sel:DWORD src1_sel:BYTE_3
	v_sub_u32_e32 v8, 29, v8
	v_and_b32_e32 v5, 7, v5
	v_cmp_eq_u16_e32 vcc, 0, v6
	v_cndmask_b32_e32 v3, v3, v5, vcc
	v_cndmask_b32_e32 v5, v7, v8, vcc
	v_mov_b32_e32 v6, 0x3b800000
	v_lshlrev_b32_e32 v3, 20, v3
	v_lshl_add_u32 v5, v5, 23, v6
	v_or3_b32 v3, v4, v5, v3
.LBB31_1536:
	s_or_b64 exec, exec, s[6:7]
	s_nop 0
	v_mfma_f32_16x16x4f32 a[0:3], v2, v3, a[0:3]
	s_movk_i32 s4, 0x7f
                                        ; implicit-def: $sgpr10
	s_nop 7
	s_nop 1
	flat_store_dwordx4 v[18:19], a[0:3] offset:464
	flat_load_dwordx4 v[20:23], v[0:1] offset:16
	s_nop 0
	flat_load_dwordx2 v[18:19], v[0:1] offset:32
	s_waitcnt vmcnt(0) lgkmcnt(0)
	flat_load_dwordx4 v[14:17], v[20:21] offset:32
	flat_load_dwordx4 v[6:9], v[20:21] offset:48
	;; [unrolled: 1-line block ×4, first 2 shown]
	s_waitcnt vmcnt(0) lgkmcnt(0)
	v_cmp_gt_i16_sdwa s[6:7], v14, s4 src0_sel:BYTE_0 src1_sel:DWORD
	s_mov_b64 s[4:5], 0
	s_and_saveexec_b64 s[8:9], s[6:7]
	s_xor_b64 s[6:7], exec, s[8:9]
	s_cbranch_execnz .LBB31_3585
; %bb.1537:
	s_or_saveexec_b64 s[6:7], s[6:7]
	v_mov_b32_e32 v20, s10
	s_xor_b64 exec, exec, s[6:7]
	s_cbranch_execnz .LBB31_3588
.LBB31_1538:
	s_or_b64 exec, exec, s[6:7]
	s_and_saveexec_b64 s[6:7], s[4:5]
	s_cbranch_execz .LBB31_1540
.LBB31_1539:
	v_and_b32_e32 v20, 7, v14
	v_ffbh_u32_e32 v22, v20
	v_min_u32_e32 v22, 32, v22
	v_lshrrev_b16_e32 v21, 3, v14
	v_subrev_u32_e32 v23, 28, v22
	v_and_b32_e32 v21, 15, v21
	v_lshlrev_b32_e32 v23, v23, v14
	v_sub_u32_e32 v22, 29, v22
	v_and_b32_e32 v23, 7, v23
	v_cmp_eq_u16_e32 vcc, 0, v21
	v_cndmask_b32_e32 v20, v20, v23, vcc
	v_cndmask_b32_e32 v21, v21, v22, vcc
	v_lshlrev_b32_e32 v22, 24, v14
	v_mov_b32_e32 v23, 0x3b800000
	v_lshlrev_b32_e32 v20, 20, v20
	v_and_b32_e32 v22, 0x80000000, v22
	v_lshl_add_u32 v21, v21, 23, v23
	v_or3_b32 v20, v22, v21, v20
.LBB31_1540:
	s_or_b64 exec, exec, s[6:7]
	s_movk_i32 s4, 0x7f
	v_cmp_gt_i16_sdwa s[6:7], v10, s4 src0_sel:BYTE_0 src1_sel:DWORD
	s_mov_b64 s[4:5], 0
                                        ; implicit-def: $sgpr10
	s_and_saveexec_b64 s[8:9], s[6:7]
	s_xor_b64 s[6:7], exec, s[8:9]
	s_cbranch_execnz .LBB31_3589
; %bb.1541:
	s_or_saveexec_b64 s[6:7], s[6:7]
	v_mov_b32_e32 v21, s10
	s_xor_b64 exec, exec, s[6:7]
	s_cbranch_execnz .LBB31_3592
.LBB31_1542:
	s_or_b64 exec, exec, s[6:7]
	s_and_saveexec_b64 s[6:7], s[4:5]
	s_cbranch_execz .LBB31_1544
.LBB31_1543:
	v_and_b32_e32 v21, 7, v10
	v_ffbh_u32_e32 v23, v21
	v_min_u32_e32 v23, 32, v23
	v_lshrrev_b16_e32 v22, 3, v10
	v_subrev_u32_e32 v24, 28, v23
	v_and_b32_e32 v22, 15, v22
	v_lshlrev_b32_e32 v24, v24, v10
	v_sub_u32_e32 v23, 29, v23
	v_and_b32_e32 v24, 7, v24
	v_cmp_eq_u16_e32 vcc, 0, v22
	v_cndmask_b32_e32 v21, v21, v24, vcc
	v_cndmask_b32_e32 v22, v22, v23, vcc
	v_lshlrev_b32_e32 v23, 24, v10
	v_mov_b32_e32 v24, 0x3b800000
	v_lshlrev_b32_e32 v21, 20, v21
	v_and_b32_e32 v23, 0x80000000, v23
	v_lshl_add_u32 v22, v22, 23, v24
	v_or3_b32 v21, v23, v22, v21
.LBB31_1544:
	s_or_b64 exec, exec, s[6:7]
	flat_load_dwordx4 a[0:3], v[18:19] offset:480
	s_movk_i32 s4, 0x7f
                                        ; implicit-def: $sgpr10
	s_waitcnt vmcnt(0) lgkmcnt(0)
	v_mfma_f32_16x16x4f32 a[0:3], v20, v21, a[0:3]
	v_lshrrev_b32_e32 v21, 8, v14
	v_cmp_gt_i16_sdwa s[6:7], v21, s4 src0_sel:BYTE_0 src1_sel:DWORD
	s_mov_b64 s[4:5], 0
	s_and_saveexec_b64 s[8:9], s[6:7]
	s_xor_b64 s[6:7], exec, s[8:9]
	s_cbranch_execnz .LBB31_3593
; %bb.1545:
	s_or_saveexec_b64 s[6:7], s[6:7]
	v_mov_b32_e32 v20, s10
	s_xor_b64 exec, exec, s[6:7]
	s_cbranch_execnz .LBB31_3596
.LBB31_1546:
	s_or_b64 exec, exec, s[6:7]
	s_and_saveexec_b64 s[6:7], s[4:5]
	s_cbranch_execz .LBB31_1548
.LBB31_1547:
	v_bfe_u32 v20, v14, 8, 3
	v_ffbh_u32_e32 v23, v20
	v_min_u32_e32 v23, 32, v23
	v_lshrrev_b16_e32 v22, 3, v21
	v_subrev_u32_e32 v24, 28, v23
	v_and_b32_e32 v22, 15, v22
	v_lshlrev_b32_e32 v21, v24, v21
	v_sub_u32_e32 v23, 29, v23
	v_and_b32_e32 v21, 7, v21
	v_cmp_eq_u16_e32 vcc, 0, v22
	v_cndmask_b32_e32 v20, v20, v21, vcc
	v_cndmask_b32_e32 v21, v22, v23, vcc
	v_lshlrev_b32_e32 v22, 16, v14
	v_mov_b32_e32 v23, 0x3b800000
	v_lshlrev_b32_e32 v20, 20, v20
	v_and_b32_e32 v22, 0x80000000, v22
	v_lshl_add_u32 v21, v21, 23, v23
	v_or3_b32 v20, v22, v21, v20
.LBB31_1548:
	s_or_b64 exec, exec, s[6:7]
	v_lshrrev_b32_e32 v21, 8, v10
	s_movk_i32 s4, 0x7f
	v_cmp_gt_i16_sdwa s[6:7], v21, s4 src0_sel:BYTE_0 src1_sel:DWORD
	s_mov_b64 s[4:5], 0
                                        ; implicit-def: $sgpr10
	s_and_saveexec_b64 s[8:9], s[6:7]
	s_xor_b64 s[6:7], exec, s[8:9]
	s_cbranch_execnz .LBB31_3597
; %bb.1549:
	s_or_saveexec_b64 s[6:7], s[6:7]
	v_mov_b32_e32 v22, s10
	s_xor_b64 exec, exec, s[6:7]
	s_cbranch_execnz .LBB31_3600
.LBB31_1550:
	s_or_b64 exec, exec, s[6:7]
	s_and_saveexec_b64 s[6:7], s[4:5]
	s_cbranch_execz .LBB31_1552
.LBB31_1551:
	v_bfe_u32 v22, v10, 8, 3
	v_ffbh_u32_e32 v24, v22
	v_min_u32_e32 v24, 32, v24
	v_lshrrev_b16_e32 v23, 3, v21
	v_subrev_u32_e32 v25, 28, v24
	v_and_b32_e32 v23, 15, v23
	v_lshlrev_b32_e32 v21, v25, v21
	v_sub_u32_e32 v24, 29, v24
	v_and_b32_e32 v21, 7, v21
	v_cmp_eq_u16_e32 vcc, 0, v23
	v_cndmask_b32_e32 v21, v22, v21, vcc
	v_cndmask_b32_e32 v22, v23, v24, vcc
	v_lshlrev_b32_e32 v23, 16, v10
	v_mov_b32_e32 v24, 0x3b800000
	v_lshlrev_b32_e32 v21, 20, v21
	v_and_b32_e32 v23, 0x80000000, v23
	v_lshl_add_u32 v22, v22, 23, v24
	v_or3_b32 v22, v23, v22, v21
.LBB31_1552:
	s_or_b64 exec, exec, s[6:7]
	s_nop 0
	v_mfma_f32_16x16x4f32 a[0:3], v20, v22, a[0:3]
	s_movk_i32 s4, 0xff
	v_and_b32_sdwa v21, v14, s4 dst_sel:DWORD dst_unused:UNUSED_PAD src0_sel:WORD_1 src1_sel:DWORD
	s_movk_i32 s4, 0x7f
	v_cmp_lt_i16_e32 vcc, s4, v21
	s_mov_b64 s[4:5], 0
                                        ; implicit-def: $sgpr10
	s_and_saveexec_b64 s[6:7], vcc
	s_xor_b64 s[6:7], exec, s[6:7]
	s_cbranch_execnz .LBB31_3601
; %bb.1553:
	s_or_saveexec_b64 s[6:7], s[6:7]
	v_mov_b32_e32 v20, s10
	s_xor_b64 exec, exec, s[6:7]
	s_cbranch_execnz .LBB31_3604
.LBB31_1554:
	s_or_b64 exec, exec, s[6:7]
	s_and_saveexec_b64 s[6:7], s[4:5]
	s_cbranch_execz .LBB31_1556
.LBB31_1555:
	v_bfe_u32 v20, v14, 16, 3
	v_ffbh_u32_e32 v23, v20
	v_min_u32_e32 v23, 32, v23
	v_lshrrev_b32_e32 v21, 19, v14
	v_subrev_u32_e32 v24, 28, v23
	v_and_b32_e32 v21, 15, v21
	v_lshlrev_b32_sdwa v24, v24, v14 dst_sel:DWORD dst_unused:UNUSED_PAD src0_sel:DWORD src1_sel:WORD_1
	v_bfe_u32 v22, v14, 19, 4
	v_sub_u32_e32 v23, 29, v23
	v_and_b32_e32 v24, 7, v24
	v_cmp_eq_u16_e32 vcc, 0, v21
	v_cndmask_b32_e32 v20, v20, v24, vcc
	v_cndmask_b32_e32 v21, v22, v23, vcc
	v_lshlrev_b32_e32 v22, 8, v14
	v_mov_b32_e32 v23, 0x3b800000
	v_lshlrev_b32_e32 v20, 20, v20
	v_and_b32_e32 v22, 0x80000000, v22
	v_lshl_add_u32 v21, v21, 23, v23
	v_or3_b32 v20, v22, v21, v20
.LBB31_1556:
	s_or_b64 exec, exec, s[6:7]
	s_movk_i32 s4, 0xff
	v_and_b32_sdwa v21, v10, s4 dst_sel:DWORD dst_unused:UNUSED_PAD src0_sel:WORD_1 src1_sel:DWORD
	s_movk_i32 s4, 0x7f
	v_cmp_lt_i16_e32 vcc, s4, v21
	s_mov_b64 s[4:5], 0
                                        ; implicit-def: $sgpr10
	s_and_saveexec_b64 s[6:7], vcc
	s_xor_b64 s[6:7], exec, s[6:7]
	s_cbranch_execnz .LBB31_3605
; %bb.1557:
	s_or_saveexec_b64 s[6:7], s[6:7]
	v_mov_b32_e32 v22, s10
	s_xor_b64 exec, exec, s[6:7]
	s_cbranch_execnz .LBB31_3608
.LBB31_1558:
	s_or_b64 exec, exec, s[6:7]
	s_and_saveexec_b64 s[6:7], s[4:5]
	s_cbranch_execz .LBB31_1560
.LBB31_1559:
	v_bfe_u32 v21, v10, 16, 3
	v_ffbh_u32_e32 v24, v21
	v_min_u32_e32 v24, 32, v24
	v_lshrrev_b32_e32 v22, 19, v10
	v_subrev_u32_e32 v25, 28, v24
	v_and_b32_e32 v22, 15, v22
	v_lshlrev_b32_sdwa v25, v25, v10 dst_sel:DWORD dst_unused:UNUSED_PAD src0_sel:DWORD src1_sel:WORD_1
	v_bfe_u32 v23, v10, 19, 4
	v_sub_u32_e32 v24, 29, v24
	v_and_b32_e32 v25, 7, v25
	v_cmp_eq_u16_e32 vcc, 0, v22
	v_cndmask_b32_e32 v21, v21, v25, vcc
	v_cndmask_b32_e32 v22, v23, v24, vcc
	v_lshlrev_b32_e32 v23, 8, v10
	v_mov_b32_e32 v24, 0x3b800000
	v_lshlrev_b32_e32 v21, 20, v21
	v_and_b32_e32 v23, 0x80000000, v23
	v_lshl_add_u32 v22, v22, 23, v24
	v_or3_b32 v22, v23, v22, v21
.LBB31_1560:
	s_or_b64 exec, exec, s[6:7]
	s_nop 0
	v_mfma_f32_16x16x4f32 a[0:3], v20, v22, a[0:3]
	s_movk_i32 s4, 0x7f
	v_cmp_gt_i16_sdwa s[6:7], v14, s4 src0_sel:BYTE_3 src1_sel:DWORD
	s_mov_b64 s[4:5], 0
                                        ; implicit-def: $sgpr10
	s_and_saveexec_b64 s[8:9], s[6:7]
	s_xor_b64 s[6:7], exec, s[8:9]
	s_cbranch_execnz .LBB31_3609
; %bb.1561:
	s_or_saveexec_b64 s[6:7], s[6:7]
	v_mov_b32_e32 v20, s10
	s_xor_b64 exec, exec, s[6:7]
	s_cbranch_execnz .LBB31_3612
.LBB31_1562:
	s_or_b64 exec, exec, s[6:7]
	s_and_saveexec_b64 s[6:7], s[4:5]
	s_cbranch_execz .LBB31_1564
.LBB31_1563:
	v_bfe_u32 v20, v14, 24, 3
	v_ffbh_u32_e32 v24, v20
	v_min_u32_e32 v24, 32, v24
	v_lshrrev_b32_e32 v22, 27, v14
	v_subrev_u32_e32 v25, 28, v24
	v_and_b32_e32 v21, 0x80000000, v14
	v_and_b32_e32 v22, 15, v22
	v_bfe_u32 v23, v14, 27, 4
	v_lshlrev_b32_sdwa v14, v25, v14 dst_sel:DWORD dst_unused:UNUSED_PAD src0_sel:DWORD src1_sel:BYTE_3
	v_sub_u32_e32 v24, 29, v24
	v_and_b32_e32 v14, 7, v14
	v_cmp_eq_u16_e32 vcc, 0, v22
	v_cndmask_b32_e32 v14, v20, v14, vcc
	v_cndmask_b32_e32 v20, v23, v24, vcc
	v_mov_b32_e32 v22, 0x3b800000
	v_lshlrev_b32_e32 v14, 20, v14
	v_lshl_add_u32 v20, v20, 23, v22
	v_or3_b32 v20, v21, v20, v14
.LBB31_1564:
	s_or_b64 exec, exec, s[6:7]
	s_movk_i32 s4, 0x7f
	v_cmp_gt_i16_sdwa s[6:7], v10, s4 src0_sel:BYTE_3 src1_sel:DWORD
	s_mov_b64 s[4:5], 0
                                        ; implicit-def: $sgpr10
	s_and_saveexec_b64 s[8:9], s[6:7]
	s_xor_b64 s[6:7], exec, s[8:9]
	s_cbranch_execnz .LBB31_3613
; %bb.1565:
	s_or_saveexec_b64 s[6:7], s[6:7]
	v_mov_b32_e32 v14, s10
	s_xor_b64 exec, exec, s[6:7]
	s_cbranch_execnz .LBB31_3616
.LBB31_1566:
	s_or_b64 exec, exec, s[6:7]
	s_and_saveexec_b64 s[6:7], s[4:5]
	s_cbranch_execz .LBB31_1568
.LBB31_1567:
	v_bfe_u32 v14, v10, 24, 3
	v_ffbh_u32_e32 v24, v14
	v_min_u32_e32 v24, 32, v24
	v_lshrrev_b32_e32 v22, 27, v10
	v_subrev_u32_e32 v25, 28, v24
	v_and_b32_e32 v21, 0x80000000, v10
	v_and_b32_e32 v22, 15, v22
	v_bfe_u32 v23, v10, 27, 4
	v_lshlrev_b32_sdwa v10, v25, v10 dst_sel:DWORD dst_unused:UNUSED_PAD src0_sel:DWORD src1_sel:BYTE_3
	v_sub_u32_e32 v24, 29, v24
	v_and_b32_e32 v10, 7, v10
	v_cmp_eq_u16_e32 vcc, 0, v22
	v_cndmask_b32_e32 v10, v14, v10, vcc
	v_cndmask_b32_e32 v14, v23, v24, vcc
	v_mov_b32_e32 v22, 0x3b800000
	v_lshlrev_b32_e32 v10, 20, v10
	v_lshl_add_u32 v14, v14, 23, v22
	v_or3_b32 v14, v21, v14, v10
.LBB31_1568:
	s_or_b64 exec, exec, s[6:7]
	s_nop 0
	v_mfma_f32_16x16x4f32 a[0:3], v20, v14, a[0:3]
	s_movk_i32 s4, 0x7f
	v_cmp_gt_i16_sdwa s[6:7], v15, s4 src0_sel:BYTE_0 src1_sel:DWORD
	s_mov_b64 s[4:5], 0
                                        ; implicit-def: $sgpr10
	s_and_saveexec_b64 s[8:9], s[6:7]
	s_xor_b64 s[6:7], exec, s[8:9]
	s_cbranch_execnz .LBB31_3617
; %bb.1569:
	s_or_saveexec_b64 s[6:7], s[6:7]
	v_mov_b32_e32 v10, s10
	s_xor_b64 exec, exec, s[6:7]
	s_cbranch_execnz .LBB31_3620
.LBB31_1570:
	s_or_b64 exec, exec, s[6:7]
	s_and_saveexec_b64 s[6:7], s[4:5]
	s_cbranch_execz .LBB31_1572
.LBB31_1571:
	v_and_b32_e32 v10, 7, v15
	v_ffbh_u32_e32 v20, v10
	v_min_u32_e32 v20, 32, v20
	v_lshrrev_b16_e32 v14, 3, v15
	v_subrev_u32_e32 v21, 28, v20
	v_and_b32_e32 v14, 15, v14
	v_lshlrev_b32_e32 v21, v21, v15
	v_sub_u32_e32 v20, 29, v20
	v_and_b32_e32 v21, 7, v21
	v_cmp_eq_u16_e32 vcc, 0, v14
	v_cndmask_b32_e32 v10, v10, v21, vcc
	v_cndmask_b32_e32 v14, v14, v20, vcc
	v_lshlrev_b32_e32 v20, 24, v15
	v_mov_b32_e32 v21, 0x3b800000
	v_lshlrev_b32_e32 v10, 20, v10
	v_and_b32_e32 v20, 0x80000000, v20
	v_lshl_add_u32 v14, v14, 23, v21
	v_or3_b32 v10, v20, v14, v10
.LBB31_1572:
	s_or_b64 exec, exec, s[6:7]
	s_movk_i32 s4, 0x7f
	v_cmp_gt_i16_sdwa s[6:7], v11, s4 src0_sel:BYTE_0 src1_sel:DWORD
	s_mov_b64 s[4:5], 0
                                        ; implicit-def: $sgpr10
	s_and_saveexec_b64 s[8:9], s[6:7]
	s_xor_b64 s[6:7], exec, s[8:9]
	s_cbranch_execnz .LBB31_3621
; %bb.1573:
	s_or_saveexec_b64 s[6:7], s[6:7]
	v_mov_b32_e32 v14, s10
	s_xor_b64 exec, exec, s[6:7]
	s_cbranch_execnz .LBB31_3624
.LBB31_1574:
	s_or_b64 exec, exec, s[6:7]
	s_and_saveexec_b64 s[6:7], s[4:5]
	s_cbranch_execz .LBB31_1576
.LBB31_1575:
	v_and_b32_e32 v14, 7, v11
	v_ffbh_u32_e32 v21, v14
	v_min_u32_e32 v21, 32, v21
	v_lshrrev_b16_e32 v20, 3, v11
	v_subrev_u32_e32 v22, 28, v21
	v_and_b32_e32 v20, 15, v20
	v_lshlrev_b32_e32 v22, v22, v11
	v_sub_u32_e32 v21, 29, v21
	v_and_b32_e32 v22, 7, v22
	v_cmp_eq_u16_e32 vcc, 0, v20
	v_cndmask_b32_e32 v14, v14, v22, vcc
	v_cndmask_b32_e32 v20, v20, v21, vcc
	v_lshlrev_b32_e32 v21, 24, v11
	v_mov_b32_e32 v22, 0x3b800000
	v_lshlrev_b32_e32 v14, 20, v14
	v_and_b32_e32 v21, 0x80000000, v21
	v_lshl_add_u32 v20, v20, 23, v22
	v_or3_b32 v14, v21, v20, v14
.LBB31_1576:
	s_or_b64 exec, exec, s[6:7]
	s_nop 0
	v_mfma_f32_16x16x4f32 a[0:3], v10, v14, a[0:3]
	v_lshrrev_b32_e32 v14, 8, v15
	s_movk_i32 s4, 0x7f
	v_cmp_gt_i16_sdwa s[6:7], v14, s4 src0_sel:BYTE_0 src1_sel:DWORD
	s_mov_b64 s[4:5], 0
                                        ; implicit-def: $sgpr10
	s_and_saveexec_b64 s[8:9], s[6:7]
	s_xor_b64 s[6:7], exec, s[8:9]
	s_cbranch_execnz .LBB31_3625
; %bb.1577:
	s_or_saveexec_b64 s[6:7], s[6:7]
	v_mov_b32_e32 v10, s10
	s_xor_b64 exec, exec, s[6:7]
	s_cbranch_execnz .LBB31_3628
.LBB31_1578:
	s_or_b64 exec, exec, s[6:7]
	s_and_saveexec_b64 s[6:7], s[4:5]
	s_cbranch_execz .LBB31_1580
.LBB31_1579:
	v_bfe_u32 v10, v15, 8, 3
	v_ffbh_u32_e32 v21, v10
	v_min_u32_e32 v21, 32, v21
	v_lshrrev_b16_e32 v20, 3, v14
	v_subrev_u32_e32 v22, 28, v21
	v_and_b32_e32 v20, 15, v20
	v_lshlrev_b32_e32 v14, v22, v14
	v_sub_u32_e32 v21, 29, v21
	v_and_b32_e32 v14, 7, v14
	v_cmp_eq_u16_e32 vcc, 0, v20
	v_cndmask_b32_e32 v10, v10, v14, vcc
	v_cndmask_b32_e32 v14, v20, v21, vcc
	v_lshlrev_b32_e32 v20, 16, v15
	v_mov_b32_e32 v21, 0x3b800000
	v_lshlrev_b32_e32 v10, 20, v10
	v_and_b32_e32 v20, 0x80000000, v20
	v_lshl_add_u32 v14, v14, 23, v21
	v_or3_b32 v10, v20, v14, v10
.LBB31_1580:
	s_or_b64 exec, exec, s[6:7]
	v_lshrrev_b32_e32 v14, 8, v11
	s_movk_i32 s4, 0x7f
	v_cmp_gt_i16_sdwa s[6:7], v14, s4 src0_sel:BYTE_0 src1_sel:DWORD
	s_mov_b64 s[4:5], 0
                                        ; implicit-def: $sgpr10
	s_and_saveexec_b64 s[8:9], s[6:7]
	s_xor_b64 s[6:7], exec, s[8:9]
	s_cbranch_execnz .LBB31_3629
; %bb.1581:
	s_or_saveexec_b64 s[6:7], s[6:7]
	v_mov_b32_e32 v20, s10
	s_xor_b64 exec, exec, s[6:7]
	s_cbranch_execnz .LBB31_3632
.LBB31_1582:
	s_or_b64 exec, exec, s[6:7]
	s_and_saveexec_b64 s[6:7], s[4:5]
	s_cbranch_execz .LBB31_1584
.LBB31_1583:
	v_bfe_u32 v20, v11, 8, 3
	v_ffbh_u32_e32 v22, v20
	v_min_u32_e32 v22, 32, v22
	v_lshrrev_b16_e32 v21, 3, v14
	v_subrev_u32_e32 v23, 28, v22
	v_and_b32_e32 v21, 15, v21
	v_lshlrev_b32_e32 v14, v23, v14
	v_sub_u32_e32 v22, 29, v22
	v_and_b32_e32 v14, 7, v14
	v_cmp_eq_u16_e32 vcc, 0, v21
	v_cndmask_b32_e32 v14, v20, v14, vcc
	v_cndmask_b32_e32 v20, v21, v22, vcc
	v_lshlrev_b32_e32 v21, 16, v11
	v_mov_b32_e32 v22, 0x3b800000
	v_lshlrev_b32_e32 v14, 20, v14
	v_and_b32_e32 v21, 0x80000000, v21
	v_lshl_add_u32 v20, v20, 23, v22
	v_or3_b32 v20, v21, v20, v14
.LBB31_1584:
	s_or_b64 exec, exec, s[6:7]
	s_nop 0
	v_mfma_f32_16x16x4f32 a[0:3], v10, v20, a[0:3]
	s_movk_i32 s4, 0xff
	v_and_b32_sdwa v14, v15, s4 dst_sel:DWORD dst_unused:UNUSED_PAD src0_sel:WORD_1 src1_sel:DWORD
	s_movk_i32 s4, 0x7f
	v_cmp_lt_i16_e32 vcc, s4, v14
	s_mov_b64 s[4:5], 0
                                        ; implicit-def: $sgpr10
	s_and_saveexec_b64 s[6:7], vcc
	s_xor_b64 s[6:7], exec, s[6:7]
	s_cbranch_execnz .LBB31_3633
; %bb.1585:
	s_or_saveexec_b64 s[6:7], s[6:7]
	v_mov_b32_e32 v10, s10
	s_xor_b64 exec, exec, s[6:7]
	s_cbranch_execnz .LBB31_3636
.LBB31_1586:
	s_or_b64 exec, exec, s[6:7]
	s_and_saveexec_b64 s[6:7], s[4:5]
	s_cbranch_execz .LBB31_1588
.LBB31_1587:
	v_bfe_u32 v10, v15, 16, 3
	v_ffbh_u32_e32 v21, v10
	v_min_u32_e32 v21, 32, v21
	v_lshrrev_b32_e32 v14, 19, v15
	v_subrev_u32_e32 v22, 28, v21
	v_and_b32_e32 v14, 15, v14
	v_lshlrev_b32_sdwa v22, v22, v15 dst_sel:DWORD dst_unused:UNUSED_PAD src0_sel:DWORD src1_sel:WORD_1
	v_bfe_u32 v20, v15, 19, 4
	v_sub_u32_e32 v21, 29, v21
	v_and_b32_e32 v22, 7, v22
	v_cmp_eq_u16_e32 vcc, 0, v14
	v_cndmask_b32_e32 v10, v10, v22, vcc
	v_cndmask_b32_e32 v14, v20, v21, vcc
	v_lshlrev_b32_e32 v20, 8, v15
	v_mov_b32_e32 v21, 0x3b800000
	v_lshlrev_b32_e32 v10, 20, v10
	v_and_b32_e32 v20, 0x80000000, v20
	v_lshl_add_u32 v14, v14, 23, v21
	v_or3_b32 v10, v20, v14, v10
.LBB31_1588:
	s_or_b64 exec, exec, s[6:7]
	s_movk_i32 s4, 0xff
	v_and_b32_sdwa v14, v11, s4 dst_sel:DWORD dst_unused:UNUSED_PAD src0_sel:WORD_1 src1_sel:DWORD
	s_movk_i32 s4, 0x7f
	v_cmp_lt_i16_e32 vcc, s4, v14
	s_mov_b64 s[4:5], 0
                                        ; implicit-def: $sgpr10
	s_and_saveexec_b64 s[6:7], vcc
	s_xor_b64 s[6:7], exec, s[6:7]
	s_cbranch_execnz .LBB31_3637
; %bb.1589:
	s_or_saveexec_b64 s[6:7], s[6:7]
	v_mov_b32_e32 v20, s10
	s_xor_b64 exec, exec, s[6:7]
	s_cbranch_execnz .LBB31_3640
.LBB31_1590:
	s_or_b64 exec, exec, s[6:7]
	s_and_saveexec_b64 s[6:7], s[4:5]
	s_cbranch_execz .LBB31_1592
.LBB31_1591:
	v_bfe_u32 v14, v11, 16, 3
	v_ffbh_u32_e32 v22, v14
	v_min_u32_e32 v22, 32, v22
	v_lshrrev_b32_e32 v20, 19, v11
	v_subrev_u32_e32 v23, 28, v22
	v_and_b32_e32 v20, 15, v20
	v_lshlrev_b32_sdwa v23, v23, v11 dst_sel:DWORD dst_unused:UNUSED_PAD src0_sel:DWORD src1_sel:WORD_1
	v_bfe_u32 v21, v11, 19, 4
	v_sub_u32_e32 v22, 29, v22
	v_and_b32_e32 v23, 7, v23
	v_cmp_eq_u16_e32 vcc, 0, v20
	v_cndmask_b32_e32 v14, v14, v23, vcc
	v_cndmask_b32_e32 v20, v21, v22, vcc
	v_lshlrev_b32_e32 v21, 8, v11
	v_mov_b32_e32 v22, 0x3b800000
	v_lshlrev_b32_e32 v14, 20, v14
	v_and_b32_e32 v21, 0x80000000, v21
	v_lshl_add_u32 v20, v20, 23, v22
	v_or3_b32 v20, v21, v20, v14
.LBB31_1592:
	s_or_b64 exec, exec, s[6:7]
	s_nop 0
	v_mfma_f32_16x16x4f32 a[0:3], v10, v20, a[0:3]
	s_movk_i32 s4, 0x7f
	v_cmp_gt_i16_sdwa s[6:7], v15, s4 src0_sel:BYTE_3 src1_sel:DWORD
	s_mov_b64 s[4:5], 0
                                        ; implicit-def: $sgpr10
	s_and_saveexec_b64 s[8:9], s[6:7]
	s_xor_b64 s[6:7], exec, s[8:9]
	s_cbranch_execnz .LBB31_3641
; %bb.1593:
	s_or_saveexec_b64 s[6:7], s[6:7]
	v_mov_b32_e32 v10, s10
	s_xor_b64 exec, exec, s[6:7]
	s_cbranch_execnz .LBB31_3644
.LBB31_1594:
	s_or_b64 exec, exec, s[6:7]
	s_and_saveexec_b64 s[6:7], s[4:5]
	s_cbranch_execz .LBB31_1596
.LBB31_1595:
	v_bfe_u32 v10, v15, 24, 3
	v_ffbh_u32_e32 v22, v10
	v_min_u32_e32 v22, 32, v22
	v_lshrrev_b32_e32 v20, 27, v15
	v_subrev_u32_e32 v23, 28, v22
	v_and_b32_e32 v14, 0x80000000, v15
	v_and_b32_e32 v20, 15, v20
	v_bfe_u32 v21, v15, 27, 4
	v_lshlrev_b32_sdwa v15, v23, v15 dst_sel:DWORD dst_unused:UNUSED_PAD src0_sel:DWORD src1_sel:BYTE_3
	v_sub_u32_e32 v22, 29, v22
	v_and_b32_e32 v15, 7, v15
	v_cmp_eq_u16_e32 vcc, 0, v20
	v_cndmask_b32_e32 v10, v10, v15, vcc
	v_cndmask_b32_e32 v15, v21, v22, vcc
	v_mov_b32_e32 v20, 0x3b800000
	v_lshlrev_b32_e32 v10, 20, v10
	v_lshl_add_u32 v15, v15, 23, v20
	v_or3_b32 v10, v14, v15, v10
.LBB31_1596:
	s_or_b64 exec, exec, s[6:7]
	s_movk_i32 s4, 0x7f
	v_cmp_gt_i16_sdwa s[6:7], v11, s4 src0_sel:BYTE_3 src1_sel:DWORD
	s_mov_b64 s[4:5], 0
                                        ; implicit-def: $sgpr10
	s_and_saveexec_b64 s[8:9], s[6:7]
	s_xor_b64 s[6:7], exec, s[8:9]
	s_cbranch_execnz .LBB31_3645
; %bb.1597:
	s_or_saveexec_b64 s[6:7], s[6:7]
	v_mov_b32_e32 v14, s10
	s_xor_b64 exec, exec, s[6:7]
	s_cbranch_execnz .LBB31_3648
.LBB31_1598:
	s_or_b64 exec, exec, s[6:7]
	s_and_saveexec_b64 s[6:7], s[4:5]
	s_cbranch_execz .LBB31_1600
.LBB31_1599:
	v_bfe_u32 v14, v11, 24, 3
	v_ffbh_u32_e32 v22, v14
	v_min_u32_e32 v22, 32, v22
	v_lshrrev_b32_e32 v20, 27, v11
	v_subrev_u32_e32 v23, 28, v22
	v_and_b32_e32 v15, 0x80000000, v11
	v_and_b32_e32 v20, 15, v20
	v_bfe_u32 v21, v11, 27, 4
	v_lshlrev_b32_sdwa v11, v23, v11 dst_sel:DWORD dst_unused:UNUSED_PAD src0_sel:DWORD src1_sel:BYTE_3
	v_sub_u32_e32 v22, 29, v22
	v_and_b32_e32 v11, 7, v11
	v_cmp_eq_u16_e32 vcc, 0, v20
	v_cndmask_b32_e32 v11, v14, v11, vcc
	v_cndmask_b32_e32 v14, v21, v22, vcc
	v_mov_b32_e32 v20, 0x3b800000
	v_lshlrev_b32_e32 v11, 20, v11
	v_lshl_add_u32 v14, v14, 23, v20
	v_or3_b32 v14, v15, v14, v11
.LBB31_1600:
	s_or_b64 exec, exec, s[6:7]
	s_nop 0
	v_mfma_f32_16x16x4f32 a[0:3], v10, v14, a[0:3]
	s_movk_i32 s4, 0x7f
	v_cmp_gt_i16_sdwa s[6:7], v16, s4 src0_sel:BYTE_0 src1_sel:DWORD
	s_mov_b64 s[4:5], 0
                                        ; implicit-def: $sgpr10
	s_and_saveexec_b64 s[8:9], s[6:7]
	s_xor_b64 s[6:7], exec, s[8:9]
	s_cbranch_execnz .LBB31_3649
; %bb.1601:
	s_or_saveexec_b64 s[6:7], s[6:7]
	v_mov_b32_e32 v10, s10
	s_xor_b64 exec, exec, s[6:7]
	s_cbranch_execnz .LBB31_3652
.LBB31_1602:
	s_or_b64 exec, exec, s[6:7]
	s_and_saveexec_b64 s[6:7], s[4:5]
	s_cbranch_execz .LBB31_1604
.LBB31_1603:
	v_and_b32_e32 v10, 7, v16
	v_ffbh_u32_e32 v14, v10
	v_min_u32_e32 v14, 32, v14
	v_lshrrev_b16_e32 v11, 3, v16
	v_subrev_u32_e32 v15, 28, v14
	v_and_b32_e32 v11, 15, v11
	v_lshlrev_b32_e32 v15, v15, v16
	v_sub_u32_e32 v14, 29, v14
	v_and_b32_e32 v15, 7, v15
	v_cmp_eq_u16_e32 vcc, 0, v11
	v_cndmask_b32_e32 v10, v10, v15, vcc
	v_cndmask_b32_e32 v11, v11, v14, vcc
	v_lshlrev_b32_e32 v14, 24, v16
	v_mov_b32_e32 v15, 0x3b800000
	v_lshlrev_b32_e32 v10, 20, v10
	v_and_b32_e32 v14, 0x80000000, v14
	v_lshl_add_u32 v11, v11, 23, v15
	v_or3_b32 v10, v14, v11, v10
.LBB31_1604:
	s_or_b64 exec, exec, s[6:7]
	s_movk_i32 s4, 0x7f
	v_cmp_gt_i16_sdwa s[6:7], v12, s4 src0_sel:BYTE_0 src1_sel:DWORD
	s_mov_b64 s[4:5], 0
                                        ; implicit-def: $sgpr10
	s_and_saveexec_b64 s[8:9], s[6:7]
	s_xor_b64 s[6:7], exec, s[8:9]
	s_cbranch_execnz .LBB31_3653
; %bb.1605:
	s_or_saveexec_b64 s[6:7], s[6:7]
	v_mov_b32_e32 v11, s10
	s_xor_b64 exec, exec, s[6:7]
	s_cbranch_execnz .LBB31_3656
.LBB31_1606:
	s_or_b64 exec, exec, s[6:7]
	s_and_saveexec_b64 s[6:7], s[4:5]
	s_cbranch_execz .LBB31_1608
.LBB31_1607:
	v_and_b32_e32 v11, 7, v12
	v_ffbh_u32_e32 v15, v11
	v_min_u32_e32 v15, 32, v15
	v_lshrrev_b16_e32 v14, 3, v12
	v_subrev_u32_e32 v20, 28, v15
	v_and_b32_e32 v14, 15, v14
	v_lshlrev_b32_e32 v20, v20, v12
	v_sub_u32_e32 v15, 29, v15
	v_and_b32_e32 v20, 7, v20
	v_cmp_eq_u16_e32 vcc, 0, v14
	v_cndmask_b32_e32 v11, v11, v20, vcc
	v_cndmask_b32_e32 v14, v14, v15, vcc
	v_lshlrev_b32_e32 v15, 24, v12
	v_mov_b32_e32 v20, 0x3b800000
	v_lshlrev_b32_e32 v11, 20, v11
	v_and_b32_e32 v15, 0x80000000, v15
	v_lshl_add_u32 v14, v14, 23, v20
	v_or3_b32 v11, v15, v14, v11
.LBB31_1608:
	s_or_b64 exec, exec, s[6:7]
	s_nop 0
	v_mfma_f32_16x16x4f32 a[0:3], v10, v11, a[0:3]
	v_lshrrev_b32_e32 v11, 8, v16
	s_movk_i32 s4, 0x7f
	v_cmp_gt_i16_sdwa s[6:7], v11, s4 src0_sel:BYTE_0 src1_sel:DWORD
	s_mov_b64 s[4:5], 0
                                        ; implicit-def: $sgpr10
	s_and_saveexec_b64 s[8:9], s[6:7]
	s_xor_b64 s[6:7], exec, s[8:9]
	s_cbranch_execnz .LBB31_3657
; %bb.1609:
	s_or_saveexec_b64 s[6:7], s[6:7]
	v_mov_b32_e32 v10, s10
	s_xor_b64 exec, exec, s[6:7]
	s_cbranch_execnz .LBB31_3660
.LBB31_1610:
	s_or_b64 exec, exec, s[6:7]
	s_and_saveexec_b64 s[6:7], s[4:5]
	s_cbranch_execz .LBB31_1612
.LBB31_1611:
	v_bfe_u32 v10, v16, 8, 3
	v_ffbh_u32_e32 v15, v10
	v_min_u32_e32 v15, 32, v15
	v_lshrrev_b16_e32 v14, 3, v11
	v_subrev_u32_e32 v20, 28, v15
	v_and_b32_e32 v14, 15, v14
	v_lshlrev_b32_e32 v11, v20, v11
	v_sub_u32_e32 v15, 29, v15
	v_and_b32_e32 v11, 7, v11
	v_cmp_eq_u16_e32 vcc, 0, v14
	v_cndmask_b32_e32 v10, v10, v11, vcc
	v_cndmask_b32_e32 v11, v14, v15, vcc
	v_lshlrev_b32_e32 v14, 16, v16
	v_mov_b32_e32 v15, 0x3b800000
	v_lshlrev_b32_e32 v10, 20, v10
	v_and_b32_e32 v14, 0x80000000, v14
	v_lshl_add_u32 v11, v11, 23, v15
	v_or3_b32 v10, v14, v11, v10
.LBB31_1612:
	s_or_b64 exec, exec, s[6:7]
	v_lshrrev_b32_e32 v11, 8, v12
	s_movk_i32 s4, 0x7f
	v_cmp_gt_i16_sdwa s[6:7], v11, s4 src0_sel:BYTE_0 src1_sel:DWORD
	s_mov_b64 s[4:5], 0
                                        ; implicit-def: $sgpr10
	s_and_saveexec_b64 s[8:9], s[6:7]
	s_xor_b64 s[6:7], exec, s[8:9]
	s_cbranch_execnz .LBB31_3661
; %bb.1613:
	s_or_saveexec_b64 s[6:7], s[6:7]
	v_mov_b32_e32 v14, s10
	s_xor_b64 exec, exec, s[6:7]
	s_cbranch_execnz .LBB31_3664
.LBB31_1614:
	s_or_b64 exec, exec, s[6:7]
	s_and_saveexec_b64 s[6:7], s[4:5]
	s_cbranch_execz .LBB31_1616
.LBB31_1615:
	v_bfe_u32 v14, v12, 8, 3
	v_ffbh_u32_e32 v20, v14
	v_min_u32_e32 v20, 32, v20
	v_lshrrev_b16_e32 v15, 3, v11
	v_subrev_u32_e32 v21, 28, v20
	v_and_b32_e32 v15, 15, v15
	v_lshlrev_b32_e32 v11, v21, v11
	v_sub_u32_e32 v20, 29, v20
	v_and_b32_e32 v11, 7, v11
	v_cmp_eq_u16_e32 vcc, 0, v15
	v_cndmask_b32_e32 v11, v14, v11, vcc
	v_cndmask_b32_e32 v14, v15, v20, vcc
	v_lshlrev_b32_e32 v15, 16, v12
	v_mov_b32_e32 v20, 0x3b800000
	v_lshlrev_b32_e32 v11, 20, v11
	v_and_b32_e32 v15, 0x80000000, v15
	v_lshl_add_u32 v14, v14, 23, v20
	v_or3_b32 v14, v15, v14, v11
.LBB31_1616:
	s_or_b64 exec, exec, s[6:7]
	s_nop 0
	v_mfma_f32_16x16x4f32 a[0:3], v10, v14, a[0:3]
	s_movk_i32 s4, 0xff
	v_and_b32_sdwa v11, v16, s4 dst_sel:DWORD dst_unused:UNUSED_PAD src0_sel:WORD_1 src1_sel:DWORD
	s_movk_i32 s4, 0x7f
	v_cmp_lt_i16_e32 vcc, s4, v11
	s_mov_b64 s[4:5], 0
                                        ; implicit-def: $sgpr10
	s_and_saveexec_b64 s[6:7], vcc
	s_xor_b64 s[6:7], exec, s[6:7]
	s_cbranch_execnz .LBB31_3665
; %bb.1617:
	s_or_saveexec_b64 s[6:7], s[6:7]
	v_mov_b32_e32 v10, s10
	s_xor_b64 exec, exec, s[6:7]
	s_cbranch_execnz .LBB31_3668
.LBB31_1618:
	s_or_b64 exec, exec, s[6:7]
	s_and_saveexec_b64 s[6:7], s[4:5]
	s_cbranch_execz .LBB31_1620
.LBB31_1619:
	v_bfe_u32 v10, v16, 16, 3
	v_ffbh_u32_e32 v15, v10
	v_min_u32_e32 v15, 32, v15
	v_lshrrev_b32_e32 v11, 19, v16
	v_subrev_u32_e32 v20, 28, v15
	v_and_b32_e32 v11, 15, v11
	v_lshlrev_b32_sdwa v20, v20, v16 dst_sel:DWORD dst_unused:UNUSED_PAD src0_sel:DWORD src1_sel:WORD_1
	v_bfe_u32 v14, v16, 19, 4
	v_sub_u32_e32 v15, 29, v15
	v_and_b32_e32 v20, 7, v20
	v_cmp_eq_u16_e32 vcc, 0, v11
	v_cndmask_b32_e32 v10, v10, v20, vcc
	v_cndmask_b32_e32 v11, v14, v15, vcc
	v_lshlrev_b32_e32 v14, 8, v16
	v_mov_b32_e32 v15, 0x3b800000
	v_lshlrev_b32_e32 v10, 20, v10
	v_and_b32_e32 v14, 0x80000000, v14
	v_lshl_add_u32 v11, v11, 23, v15
	v_or3_b32 v10, v14, v11, v10
.LBB31_1620:
	s_or_b64 exec, exec, s[6:7]
	s_movk_i32 s4, 0xff
	v_and_b32_sdwa v11, v12, s4 dst_sel:DWORD dst_unused:UNUSED_PAD src0_sel:WORD_1 src1_sel:DWORD
	s_movk_i32 s4, 0x7f
	v_cmp_lt_i16_e32 vcc, s4, v11
	s_mov_b64 s[4:5], 0
                                        ; implicit-def: $sgpr10
	s_and_saveexec_b64 s[6:7], vcc
	s_xor_b64 s[6:7], exec, s[6:7]
	s_cbranch_execnz .LBB31_3669
; %bb.1621:
	s_or_saveexec_b64 s[6:7], s[6:7]
	v_mov_b32_e32 v14, s10
	s_xor_b64 exec, exec, s[6:7]
	s_cbranch_execnz .LBB31_3672
.LBB31_1622:
	s_or_b64 exec, exec, s[6:7]
	s_and_saveexec_b64 s[6:7], s[4:5]
	s_cbranch_execz .LBB31_1624
.LBB31_1623:
	v_bfe_u32 v11, v12, 16, 3
	v_ffbh_u32_e32 v20, v11
	v_min_u32_e32 v20, 32, v20
	v_lshrrev_b32_e32 v14, 19, v12
	v_subrev_u32_e32 v21, 28, v20
	v_and_b32_e32 v14, 15, v14
	v_lshlrev_b32_sdwa v21, v21, v12 dst_sel:DWORD dst_unused:UNUSED_PAD src0_sel:DWORD src1_sel:WORD_1
	v_bfe_u32 v15, v12, 19, 4
	v_sub_u32_e32 v20, 29, v20
	v_and_b32_e32 v21, 7, v21
	v_cmp_eq_u16_e32 vcc, 0, v14
	v_cndmask_b32_e32 v11, v11, v21, vcc
	v_cndmask_b32_e32 v14, v15, v20, vcc
	v_lshlrev_b32_e32 v15, 8, v12
	v_mov_b32_e32 v20, 0x3b800000
	v_lshlrev_b32_e32 v11, 20, v11
	v_and_b32_e32 v15, 0x80000000, v15
	v_lshl_add_u32 v14, v14, 23, v20
	v_or3_b32 v14, v15, v14, v11
.LBB31_1624:
	s_or_b64 exec, exec, s[6:7]
	s_nop 0
	v_mfma_f32_16x16x4f32 a[0:3], v10, v14, a[0:3]
	s_movk_i32 s4, 0x7f
	v_cmp_gt_i16_sdwa s[6:7], v16, s4 src0_sel:BYTE_3 src1_sel:DWORD
	s_mov_b64 s[4:5], 0
                                        ; implicit-def: $sgpr10
	s_and_saveexec_b64 s[8:9], s[6:7]
	s_xor_b64 s[6:7], exec, s[8:9]
	s_cbranch_execnz .LBB31_3673
; %bb.1625:
	s_or_saveexec_b64 s[6:7], s[6:7]
	v_mov_b32_e32 v10, s10
	s_xor_b64 exec, exec, s[6:7]
	s_cbranch_execnz .LBB31_3676
.LBB31_1626:
	s_or_b64 exec, exec, s[6:7]
	s_and_saveexec_b64 s[6:7], s[4:5]
	s_cbranch_execz .LBB31_1628
.LBB31_1627:
	v_bfe_u32 v10, v16, 24, 3
	v_ffbh_u32_e32 v20, v10
	v_min_u32_e32 v20, 32, v20
	v_lshrrev_b32_e32 v14, 27, v16
	v_subrev_u32_e32 v21, 28, v20
	v_and_b32_e32 v11, 0x80000000, v16
	v_and_b32_e32 v14, 15, v14
	v_bfe_u32 v15, v16, 27, 4
	v_lshlrev_b32_sdwa v16, v21, v16 dst_sel:DWORD dst_unused:UNUSED_PAD src0_sel:DWORD src1_sel:BYTE_3
	v_sub_u32_e32 v20, 29, v20
	v_and_b32_e32 v16, 7, v16
	v_cmp_eq_u16_e32 vcc, 0, v14
	v_cndmask_b32_e32 v10, v10, v16, vcc
	v_cndmask_b32_e32 v14, v15, v20, vcc
	v_mov_b32_e32 v15, 0x3b800000
	v_lshlrev_b32_e32 v10, 20, v10
	v_lshl_add_u32 v14, v14, 23, v15
	v_or3_b32 v10, v11, v14, v10
.LBB31_1628:
	s_or_b64 exec, exec, s[6:7]
	s_movk_i32 s4, 0x7f
	v_cmp_gt_i16_sdwa s[6:7], v12, s4 src0_sel:BYTE_3 src1_sel:DWORD
	s_mov_b64 s[4:5], 0
                                        ; implicit-def: $sgpr10
	s_and_saveexec_b64 s[8:9], s[6:7]
	s_xor_b64 s[6:7], exec, s[8:9]
	s_cbranch_execnz .LBB31_3677
; %bb.1629:
	s_or_saveexec_b64 s[6:7], s[6:7]
	v_mov_b32_e32 v11, s10
	s_xor_b64 exec, exec, s[6:7]
	s_cbranch_execnz .LBB31_3680
.LBB31_1630:
	s_or_b64 exec, exec, s[6:7]
	s_and_saveexec_b64 s[6:7], s[4:5]
	s_cbranch_execz .LBB31_1632
.LBB31_1631:
	v_bfe_u32 v11, v12, 24, 3
	v_ffbh_u32_e32 v20, v11
	v_min_u32_e32 v20, 32, v20
	v_lshrrev_b32_e32 v15, 27, v12
	v_subrev_u32_e32 v21, 28, v20
	v_and_b32_e32 v14, 0x80000000, v12
	v_and_b32_e32 v15, 15, v15
	v_bfe_u32 v16, v12, 27, 4
	v_lshlrev_b32_sdwa v12, v21, v12 dst_sel:DWORD dst_unused:UNUSED_PAD src0_sel:DWORD src1_sel:BYTE_3
	v_sub_u32_e32 v20, 29, v20
	v_and_b32_e32 v12, 7, v12
	v_cmp_eq_u16_e32 vcc, 0, v15
	v_cndmask_b32_e32 v11, v11, v12, vcc
	v_cndmask_b32_e32 v12, v16, v20, vcc
	v_mov_b32_e32 v15, 0x3b800000
	v_lshlrev_b32_e32 v11, 20, v11
	v_lshl_add_u32 v12, v12, 23, v15
	v_or3_b32 v11, v14, v12, v11
.LBB31_1632:
	s_or_b64 exec, exec, s[6:7]
	s_nop 0
	v_mfma_f32_16x16x4f32 a[0:3], v10, v11, a[0:3]
	s_movk_i32 s4, 0x7f
	v_cmp_gt_i16_sdwa s[6:7], v17, s4 src0_sel:BYTE_0 src1_sel:DWORD
	s_mov_b64 s[4:5], 0
                                        ; implicit-def: $sgpr10
	s_and_saveexec_b64 s[8:9], s[6:7]
	s_xor_b64 s[6:7], exec, s[8:9]
	s_cbranch_execnz .LBB31_3681
; %bb.1633:
	s_or_saveexec_b64 s[6:7], s[6:7]
	v_mov_b32_e32 v10, s10
	s_xor_b64 exec, exec, s[6:7]
	s_cbranch_execnz .LBB31_3684
.LBB31_1634:
	s_or_b64 exec, exec, s[6:7]
	s_and_saveexec_b64 s[6:7], s[4:5]
	s_cbranch_execz .LBB31_1636
.LBB31_1635:
	v_and_b32_e32 v10, 7, v17
	v_ffbh_u32_e32 v12, v10
	v_min_u32_e32 v12, 32, v12
	v_lshrrev_b16_e32 v11, 3, v17
	v_subrev_u32_e32 v14, 28, v12
	v_and_b32_e32 v11, 15, v11
	v_lshlrev_b32_e32 v14, v14, v17
	v_sub_u32_e32 v12, 29, v12
	v_and_b32_e32 v14, 7, v14
	v_cmp_eq_u16_e32 vcc, 0, v11
	v_cndmask_b32_e32 v10, v10, v14, vcc
	v_cndmask_b32_e32 v11, v11, v12, vcc
	v_lshlrev_b32_e32 v12, 24, v17
	v_mov_b32_e32 v14, 0x3b800000
	v_lshlrev_b32_e32 v10, 20, v10
	v_and_b32_e32 v12, 0x80000000, v12
	v_lshl_add_u32 v11, v11, 23, v14
	v_or3_b32 v10, v12, v11, v10
.LBB31_1636:
	s_or_b64 exec, exec, s[6:7]
	s_movk_i32 s4, 0x7f
	v_cmp_gt_i16_sdwa s[6:7], v13, s4 src0_sel:BYTE_0 src1_sel:DWORD
	s_mov_b64 s[4:5], 0
                                        ; implicit-def: $sgpr10
	s_and_saveexec_b64 s[8:9], s[6:7]
	s_xor_b64 s[6:7], exec, s[8:9]
	s_cbranch_execnz .LBB31_3685
; %bb.1637:
	s_or_saveexec_b64 s[6:7], s[6:7]
	v_mov_b32_e32 v11, s10
	s_xor_b64 exec, exec, s[6:7]
	s_cbranch_execnz .LBB31_3688
.LBB31_1638:
	s_or_b64 exec, exec, s[6:7]
	s_and_saveexec_b64 s[6:7], s[4:5]
	s_cbranch_execz .LBB31_1640
.LBB31_1639:
	v_and_b32_e32 v11, 7, v13
	v_ffbh_u32_e32 v14, v11
	v_min_u32_e32 v14, 32, v14
	v_lshrrev_b16_e32 v12, 3, v13
	v_subrev_u32_e32 v15, 28, v14
	v_and_b32_e32 v12, 15, v12
	v_lshlrev_b32_e32 v15, v15, v13
	v_sub_u32_e32 v14, 29, v14
	v_and_b32_e32 v15, 7, v15
	v_cmp_eq_u16_e32 vcc, 0, v12
	v_cndmask_b32_e32 v11, v11, v15, vcc
	v_cndmask_b32_e32 v12, v12, v14, vcc
	v_lshlrev_b32_e32 v14, 24, v13
	v_mov_b32_e32 v15, 0x3b800000
	v_lshlrev_b32_e32 v11, 20, v11
	v_and_b32_e32 v14, 0x80000000, v14
	v_lshl_add_u32 v12, v12, 23, v15
	v_or3_b32 v11, v14, v12, v11
.LBB31_1640:
	s_or_b64 exec, exec, s[6:7]
	s_nop 0
	v_mfma_f32_16x16x4f32 a[0:3], v10, v11, a[0:3]
	v_lshrrev_b32_e32 v11, 8, v17
	s_movk_i32 s4, 0x7f
	v_cmp_gt_i16_sdwa s[6:7], v11, s4 src0_sel:BYTE_0 src1_sel:DWORD
	s_mov_b64 s[4:5], 0
                                        ; implicit-def: $sgpr10
	s_and_saveexec_b64 s[8:9], s[6:7]
	s_xor_b64 s[6:7], exec, s[8:9]
	s_cbranch_execnz .LBB31_3689
; %bb.1641:
	s_or_saveexec_b64 s[6:7], s[6:7]
	v_mov_b32_e32 v10, s10
	s_xor_b64 exec, exec, s[6:7]
	s_cbranch_execnz .LBB31_3692
.LBB31_1642:
	s_or_b64 exec, exec, s[6:7]
	s_and_saveexec_b64 s[6:7], s[4:5]
	s_cbranch_execz .LBB31_1644
.LBB31_1643:
	v_bfe_u32 v10, v17, 8, 3
	v_ffbh_u32_e32 v14, v10
	v_min_u32_e32 v14, 32, v14
	v_lshrrev_b16_e32 v12, 3, v11
	v_subrev_u32_e32 v15, 28, v14
	v_and_b32_e32 v12, 15, v12
	v_lshlrev_b32_e32 v11, v15, v11
	v_sub_u32_e32 v14, 29, v14
	v_and_b32_e32 v11, 7, v11
	v_cmp_eq_u16_e32 vcc, 0, v12
	v_cndmask_b32_e32 v10, v10, v11, vcc
	v_cndmask_b32_e32 v11, v12, v14, vcc
	v_lshlrev_b32_e32 v12, 16, v17
	v_mov_b32_e32 v14, 0x3b800000
	v_lshlrev_b32_e32 v10, 20, v10
	v_and_b32_e32 v12, 0x80000000, v12
	v_lshl_add_u32 v11, v11, 23, v14
	v_or3_b32 v10, v12, v11, v10
.LBB31_1644:
	s_or_b64 exec, exec, s[6:7]
	v_lshrrev_b32_e32 v11, 8, v13
	s_movk_i32 s4, 0x7f
	v_cmp_gt_i16_sdwa s[6:7], v11, s4 src0_sel:BYTE_0 src1_sel:DWORD
	s_mov_b64 s[4:5], 0
                                        ; implicit-def: $sgpr10
	s_and_saveexec_b64 s[8:9], s[6:7]
	s_xor_b64 s[6:7], exec, s[8:9]
	s_cbranch_execnz .LBB31_3693
; %bb.1645:
	s_or_saveexec_b64 s[6:7], s[6:7]
	v_mov_b32_e32 v12, s10
	s_xor_b64 exec, exec, s[6:7]
	s_cbranch_execnz .LBB31_3696
.LBB31_1646:
	s_or_b64 exec, exec, s[6:7]
	s_and_saveexec_b64 s[6:7], s[4:5]
	s_cbranch_execz .LBB31_1648
.LBB31_1647:
	v_bfe_u32 v12, v13, 8, 3
	v_ffbh_u32_e32 v15, v12
	v_min_u32_e32 v15, 32, v15
	v_lshrrev_b16_e32 v14, 3, v11
	v_subrev_u32_e32 v16, 28, v15
	v_and_b32_e32 v14, 15, v14
	v_lshlrev_b32_e32 v11, v16, v11
	v_sub_u32_e32 v15, 29, v15
	v_and_b32_e32 v11, 7, v11
	v_cmp_eq_u16_e32 vcc, 0, v14
	v_cndmask_b32_e32 v11, v12, v11, vcc
	v_cndmask_b32_e32 v12, v14, v15, vcc
	v_lshlrev_b32_e32 v14, 16, v13
	v_mov_b32_e32 v15, 0x3b800000
	v_lshlrev_b32_e32 v11, 20, v11
	v_and_b32_e32 v14, 0x80000000, v14
	v_lshl_add_u32 v12, v12, 23, v15
	v_or3_b32 v12, v14, v12, v11
.LBB31_1648:
	s_or_b64 exec, exec, s[6:7]
	s_nop 0
	v_mfma_f32_16x16x4f32 a[0:3], v10, v12, a[0:3]
	s_movk_i32 s4, 0xff
	v_and_b32_sdwa v11, v17, s4 dst_sel:DWORD dst_unused:UNUSED_PAD src0_sel:WORD_1 src1_sel:DWORD
	s_movk_i32 s4, 0x7f
	v_cmp_lt_i16_e32 vcc, s4, v11
	s_mov_b64 s[4:5], 0
                                        ; implicit-def: $sgpr10
	s_and_saveexec_b64 s[6:7], vcc
	s_xor_b64 s[6:7], exec, s[6:7]
	s_cbranch_execnz .LBB31_3697
; %bb.1649:
	s_or_saveexec_b64 s[6:7], s[6:7]
	v_mov_b32_e32 v10, s10
	s_xor_b64 exec, exec, s[6:7]
	s_cbranch_execnz .LBB31_3700
.LBB31_1650:
	s_or_b64 exec, exec, s[6:7]
	s_and_saveexec_b64 s[6:7], s[4:5]
	s_cbranch_execz .LBB31_1652
.LBB31_1651:
	v_bfe_u32 v10, v17, 16, 3
	v_ffbh_u32_e32 v14, v10
	v_min_u32_e32 v14, 32, v14
	v_lshrrev_b32_e32 v11, 19, v17
	v_subrev_u32_e32 v15, 28, v14
	v_and_b32_e32 v11, 15, v11
	v_lshlrev_b32_sdwa v15, v15, v17 dst_sel:DWORD dst_unused:UNUSED_PAD src0_sel:DWORD src1_sel:WORD_1
	v_bfe_u32 v12, v17, 19, 4
	v_sub_u32_e32 v14, 29, v14
	v_and_b32_e32 v15, 7, v15
	v_cmp_eq_u16_e32 vcc, 0, v11
	v_cndmask_b32_e32 v10, v10, v15, vcc
	v_cndmask_b32_e32 v11, v12, v14, vcc
	v_lshlrev_b32_e32 v12, 8, v17
	v_mov_b32_e32 v14, 0x3b800000
	v_lshlrev_b32_e32 v10, 20, v10
	v_and_b32_e32 v12, 0x80000000, v12
	v_lshl_add_u32 v11, v11, 23, v14
	v_or3_b32 v10, v12, v11, v10
.LBB31_1652:
	s_or_b64 exec, exec, s[6:7]
	s_movk_i32 s4, 0xff
	v_and_b32_sdwa v11, v13, s4 dst_sel:DWORD dst_unused:UNUSED_PAD src0_sel:WORD_1 src1_sel:DWORD
	s_movk_i32 s4, 0x7f
	v_cmp_lt_i16_e32 vcc, s4, v11
	s_mov_b64 s[4:5], 0
                                        ; implicit-def: $sgpr10
	s_and_saveexec_b64 s[6:7], vcc
	s_xor_b64 s[6:7], exec, s[6:7]
	s_cbranch_execnz .LBB31_3701
; %bb.1653:
	s_or_saveexec_b64 s[6:7], s[6:7]
	v_mov_b32_e32 v12, s10
	s_xor_b64 exec, exec, s[6:7]
	s_cbranch_execnz .LBB31_3704
.LBB31_1654:
	s_or_b64 exec, exec, s[6:7]
	s_and_saveexec_b64 s[6:7], s[4:5]
	s_cbranch_execz .LBB31_1656
.LBB31_1655:
	v_bfe_u32 v11, v13, 16, 3
	v_ffbh_u32_e32 v15, v11
	v_min_u32_e32 v15, 32, v15
	v_lshrrev_b32_e32 v12, 19, v13
	v_subrev_u32_e32 v16, 28, v15
	v_and_b32_e32 v12, 15, v12
	v_lshlrev_b32_sdwa v16, v16, v13 dst_sel:DWORD dst_unused:UNUSED_PAD src0_sel:DWORD src1_sel:WORD_1
	v_bfe_u32 v14, v13, 19, 4
	v_sub_u32_e32 v15, 29, v15
	v_and_b32_e32 v16, 7, v16
	v_cmp_eq_u16_e32 vcc, 0, v12
	v_cndmask_b32_e32 v11, v11, v16, vcc
	v_cndmask_b32_e32 v12, v14, v15, vcc
	v_lshlrev_b32_e32 v14, 8, v13
	v_mov_b32_e32 v15, 0x3b800000
	v_lshlrev_b32_e32 v11, 20, v11
	v_and_b32_e32 v14, 0x80000000, v14
	v_lshl_add_u32 v12, v12, 23, v15
	v_or3_b32 v12, v14, v12, v11
.LBB31_1656:
	s_or_b64 exec, exec, s[6:7]
	s_nop 0
	v_mfma_f32_16x16x4f32 a[0:3], v10, v12, a[0:3]
	s_movk_i32 s4, 0x7f
	v_cmp_gt_i16_sdwa s[6:7], v17, s4 src0_sel:BYTE_3 src1_sel:DWORD
	s_mov_b64 s[4:5], 0
                                        ; implicit-def: $sgpr10
	s_and_saveexec_b64 s[8:9], s[6:7]
	s_xor_b64 s[6:7], exec, s[8:9]
	s_cbranch_execnz .LBB31_3705
; %bb.1657:
	s_or_saveexec_b64 s[6:7], s[6:7]
	v_mov_b32_e32 v10, s10
	s_xor_b64 exec, exec, s[6:7]
	s_cbranch_execnz .LBB31_3708
.LBB31_1658:
	s_or_b64 exec, exec, s[6:7]
	s_and_saveexec_b64 s[6:7], s[4:5]
	s_cbranch_execz .LBB31_1660
.LBB31_1659:
	v_bfe_u32 v10, v17, 24, 3
	v_ffbh_u32_e32 v15, v10
	v_min_u32_e32 v15, 32, v15
	v_lshrrev_b32_e32 v12, 27, v17
	v_subrev_u32_e32 v16, 28, v15
	v_and_b32_e32 v12, 15, v12
	v_lshlrev_b32_sdwa v16, v16, v17 dst_sel:DWORD dst_unused:UNUSED_PAD src0_sel:DWORD src1_sel:BYTE_3
	v_bfe_u32 v14, v17, 27, 4
	v_sub_u32_e32 v15, 29, v15
	v_and_b32_e32 v16, 7, v16
	v_cmp_eq_u16_e32 vcc, 0, v12
	v_cndmask_b32_e32 v10, v10, v16, vcc
	v_cndmask_b32_e32 v12, v14, v15, vcc
	v_mov_b32_e32 v14, 0x3b800000
	v_and_b32_e32 v11, 0x80000000, v17
	v_lshlrev_b32_e32 v10, 20, v10
	v_lshl_add_u32 v12, v12, 23, v14
	v_or3_b32 v10, v11, v12, v10
.LBB31_1660:
	s_or_b64 exec, exec, s[6:7]
	s_movk_i32 s4, 0x7f
	v_cmp_gt_i16_sdwa s[6:7], v13, s4 src0_sel:BYTE_3 src1_sel:DWORD
	s_mov_b64 s[4:5], 0
                                        ; implicit-def: $sgpr10
	s_and_saveexec_b64 s[8:9], s[6:7]
	s_xor_b64 s[6:7], exec, s[8:9]
	s_cbranch_execnz .LBB31_3709
; %bb.1661:
	s_or_saveexec_b64 s[6:7], s[6:7]
	v_mov_b32_e32 v11, s10
	s_xor_b64 exec, exec, s[6:7]
	s_cbranch_execnz .LBB31_3712
.LBB31_1662:
	s_or_b64 exec, exec, s[6:7]
	s_and_saveexec_b64 s[6:7], s[4:5]
	s_cbranch_execz .LBB31_1664
.LBB31_1663:
	v_bfe_u32 v11, v13, 24, 3
	v_ffbh_u32_e32 v16, v11
	v_min_u32_e32 v16, 32, v16
	v_lshrrev_b32_e32 v14, 27, v13
	v_subrev_u32_e32 v17, 28, v16
	v_and_b32_e32 v12, 0x80000000, v13
	v_and_b32_e32 v14, 15, v14
	v_bfe_u32 v15, v13, 27, 4
	v_lshlrev_b32_sdwa v13, v17, v13 dst_sel:DWORD dst_unused:UNUSED_PAD src0_sel:DWORD src1_sel:BYTE_3
	v_sub_u32_e32 v16, 29, v16
	v_and_b32_e32 v13, 7, v13
	v_cmp_eq_u16_e32 vcc, 0, v14
	v_cndmask_b32_e32 v11, v11, v13, vcc
	v_cndmask_b32_e32 v13, v15, v16, vcc
	v_mov_b32_e32 v14, 0x3b800000
	v_lshlrev_b32_e32 v11, 20, v11
	v_lshl_add_u32 v13, v13, 23, v14
	v_or3_b32 v11, v12, v13, v11
.LBB31_1664:
	s_or_b64 exec, exec, s[6:7]
	s_nop 0
	v_mfma_f32_16x16x4f32 a[0:3], v10, v11, a[0:3]
	s_movk_i32 s4, 0x7f
	v_cmp_gt_i16_sdwa s[6:7], v6, s4 src0_sel:BYTE_0 src1_sel:DWORD
	s_mov_b64 s[4:5], 0
                                        ; implicit-def: $sgpr10
	s_and_saveexec_b64 s[8:9], s[6:7]
	s_xor_b64 s[6:7], exec, s[8:9]
	s_cbranch_execnz .LBB31_3713
; %bb.1665:
	s_or_saveexec_b64 s[6:7], s[6:7]
	v_mov_b32_e32 v10, s10
	s_xor_b64 exec, exec, s[6:7]
	s_cbranch_execnz .LBB31_3716
.LBB31_1666:
	s_or_b64 exec, exec, s[6:7]
	s_and_saveexec_b64 s[6:7], s[4:5]
	s_cbranch_execz .LBB31_1668
.LBB31_1667:
	v_and_b32_e32 v10, 7, v6
	v_ffbh_u32_e32 v12, v10
	v_min_u32_e32 v12, 32, v12
	v_lshrrev_b16_e32 v11, 3, v6
	v_subrev_u32_e32 v13, 28, v12
	v_and_b32_e32 v11, 15, v11
	v_lshlrev_b32_e32 v13, v13, v6
	v_sub_u32_e32 v12, 29, v12
	v_and_b32_e32 v13, 7, v13
	v_cmp_eq_u16_e32 vcc, 0, v11
	v_cndmask_b32_e32 v10, v10, v13, vcc
	v_cndmask_b32_e32 v11, v11, v12, vcc
	v_lshlrev_b32_e32 v12, 24, v6
	v_mov_b32_e32 v13, 0x3b800000
	v_lshlrev_b32_e32 v10, 20, v10
	v_and_b32_e32 v12, 0x80000000, v12
	v_lshl_add_u32 v11, v11, 23, v13
	v_or3_b32 v10, v12, v11, v10
.LBB31_1668:
	s_or_b64 exec, exec, s[6:7]
	s_movk_i32 s4, 0x7f
	v_cmp_gt_i16_sdwa s[6:7], v2, s4 src0_sel:BYTE_0 src1_sel:DWORD
	s_mov_b64 s[4:5], 0
                                        ; implicit-def: $sgpr10
	s_and_saveexec_b64 s[8:9], s[6:7]
	s_xor_b64 s[6:7], exec, s[8:9]
	s_cbranch_execnz .LBB31_3717
; %bb.1669:
	s_or_saveexec_b64 s[6:7], s[6:7]
	v_mov_b32_e32 v11, s10
	s_xor_b64 exec, exec, s[6:7]
	s_cbranch_execnz .LBB31_3720
.LBB31_1670:
	s_or_b64 exec, exec, s[6:7]
	s_and_saveexec_b64 s[6:7], s[4:5]
	s_cbranch_execz .LBB31_1672
.LBB31_1671:
	v_and_b32_e32 v11, 7, v2
	v_ffbh_u32_e32 v13, v11
	v_min_u32_e32 v13, 32, v13
	v_lshrrev_b16_e32 v12, 3, v2
	v_subrev_u32_e32 v14, 28, v13
	v_and_b32_e32 v12, 15, v12
	v_lshlrev_b32_e32 v14, v14, v2
	v_sub_u32_e32 v13, 29, v13
	v_and_b32_e32 v14, 7, v14
	v_cmp_eq_u16_e32 vcc, 0, v12
	v_cndmask_b32_e32 v11, v11, v14, vcc
	v_cndmask_b32_e32 v12, v12, v13, vcc
	v_lshlrev_b32_e32 v13, 24, v2
	v_mov_b32_e32 v14, 0x3b800000
	v_lshlrev_b32_e32 v11, 20, v11
	v_and_b32_e32 v13, 0x80000000, v13
	v_lshl_add_u32 v12, v12, 23, v14
	v_or3_b32 v11, v13, v12, v11
.LBB31_1672:
	s_or_b64 exec, exec, s[6:7]
	s_nop 0
	v_mfma_f32_16x16x4f32 a[0:3], v10, v11, a[0:3]
	v_lshrrev_b32_e32 v11, 8, v6
	s_movk_i32 s4, 0x7f
	v_cmp_gt_i16_sdwa s[6:7], v11, s4 src0_sel:BYTE_0 src1_sel:DWORD
	s_mov_b64 s[4:5], 0
                                        ; implicit-def: $sgpr10
	s_and_saveexec_b64 s[8:9], s[6:7]
	s_xor_b64 s[6:7], exec, s[8:9]
	s_cbranch_execnz .LBB31_3721
; %bb.1673:
	s_or_saveexec_b64 s[6:7], s[6:7]
	v_mov_b32_e32 v10, s10
	s_xor_b64 exec, exec, s[6:7]
	s_cbranch_execnz .LBB31_3724
.LBB31_1674:
	s_or_b64 exec, exec, s[6:7]
	s_and_saveexec_b64 s[6:7], s[4:5]
	s_cbranch_execz .LBB31_1676
.LBB31_1675:
	v_bfe_u32 v10, v6, 8, 3
	v_ffbh_u32_e32 v13, v10
	v_min_u32_e32 v13, 32, v13
	v_lshrrev_b16_e32 v12, 3, v11
	v_subrev_u32_e32 v14, 28, v13
	v_and_b32_e32 v12, 15, v12
	v_lshlrev_b32_e32 v11, v14, v11
	v_sub_u32_e32 v13, 29, v13
	v_and_b32_e32 v11, 7, v11
	v_cmp_eq_u16_e32 vcc, 0, v12
	v_cndmask_b32_e32 v10, v10, v11, vcc
	v_cndmask_b32_e32 v11, v12, v13, vcc
	v_lshlrev_b32_e32 v12, 16, v6
	v_mov_b32_e32 v13, 0x3b800000
	v_lshlrev_b32_e32 v10, 20, v10
	v_and_b32_e32 v12, 0x80000000, v12
	v_lshl_add_u32 v11, v11, 23, v13
	v_or3_b32 v10, v12, v11, v10
.LBB31_1676:
	s_or_b64 exec, exec, s[6:7]
	v_lshrrev_b32_e32 v11, 8, v2
	s_movk_i32 s4, 0x7f
	v_cmp_gt_i16_sdwa s[6:7], v11, s4 src0_sel:BYTE_0 src1_sel:DWORD
	s_mov_b64 s[4:5], 0
                                        ; implicit-def: $sgpr10
	s_and_saveexec_b64 s[8:9], s[6:7]
	s_xor_b64 s[6:7], exec, s[8:9]
	s_cbranch_execnz .LBB31_3725
; %bb.1677:
	s_or_saveexec_b64 s[6:7], s[6:7]
	v_mov_b32_e32 v12, s10
	s_xor_b64 exec, exec, s[6:7]
	s_cbranch_execnz .LBB31_3728
.LBB31_1678:
	s_or_b64 exec, exec, s[6:7]
	s_and_saveexec_b64 s[6:7], s[4:5]
	s_cbranch_execz .LBB31_1680
.LBB31_1679:
	v_bfe_u32 v12, v2, 8, 3
	v_ffbh_u32_e32 v14, v12
	v_min_u32_e32 v14, 32, v14
	v_lshrrev_b16_e32 v13, 3, v11
	v_subrev_u32_e32 v15, 28, v14
	v_and_b32_e32 v13, 15, v13
	v_lshlrev_b32_e32 v11, v15, v11
	v_sub_u32_e32 v14, 29, v14
	v_and_b32_e32 v11, 7, v11
	v_cmp_eq_u16_e32 vcc, 0, v13
	v_cndmask_b32_e32 v11, v12, v11, vcc
	v_cndmask_b32_e32 v12, v13, v14, vcc
	v_lshlrev_b32_e32 v13, 16, v2
	v_mov_b32_e32 v14, 0x3b800000
	v_lshlrev_b32_e32 v11, 20, v11
	v_and_b32_e32 v13, 0x80000000, v13
	v_lshl_add_u32 v12, v12, 23, v14
	v_or3_b32 v12, v13, v12, v11
.LBB31_1680:
	s_or_b64 exec, exec, s[6:7]
	s_nop 0
	v_mfma_f32_16x16x4f32 a[0:3], v10, v12, a[0:3]
	s_movk_i32 s4, 0xff
	v_and_b32_sdwa v11, v6, s4 dst_sel:DWORD dst_unused:UNUSED_PAD src0_sel:WORD_1 src1_sel:DWORD
	s_movk_i32 s4, 0x7f
	v_cmp_lt_i16_e32 vcc, s4, v11
	s_mov_b64 s[4:5], 0
                                        ; implicit-def: $sgpr10
	s_and_saveexec_b64 s[6:7], vcc
	s_xor_b64 s[6:7], exec, s[6:7]
	s_cbranch_execnz .LBB31_3729
; %bb.1681:
	s_or_saveexec_b64 s[6:7], s[6:7]
	v_mov_b32_e32 v10, s10
	s_xor_b64 exec, exec, s[6:7]
	s_cbranch_execnz .LBB31_3732
.LBB31_1682:
	s_or_b64 exec, exec, s[6:7]
	s_and_saveexec_b64 s[6:7], s[4:5]
	s_cbranch_execz .LBB31_1684
.LBB31_1683:
	v_bfe_u32 v10, v6, 16, 3
	v_ffbh_u32_e32 v13, v10
	v_min_u32_e32 v13, 32, v13
	v_lshrrev_b32_e32 v11, 19, v6
	v_subrev_u32_e32 v14, 28, v13
	v_and_b32_e32 v11, 15, v11
	v_lshlrev_b32_sdwa v14, v14, v6 dst_sel:DWORD dst_unused:UNUSED_PAD src0_sel:DWORD src1_sel:WORD_1
	v_bfe_u32 v12, v6, 19, 4
	v_sub_u32_e32 v13, 29, v13
	v_and_b32_e32 v14, 7, v14
	v_cmp_eq_u16_e32 vcc, 0, v11
	v_cndmask_b32_e32 v10, v10, v14, vcc
	v_cndmask_b32_e32 v11, v12, v13, vcc
	v_lshlrev_b32_e32 v12, 8, v6
	v_mov_b32_e32 v13, 0x3b800000
	v_lshlrev_b32_e32 v10, 20, v10
	v_and_b32_e32 v12, 0x80000000, v12
	v_lshl_add_u32 v11, v11, 23, v13
	v_or3_b32 v10, v12, v11, v10
.LBB31_1684:
	s_or_b64 exec, exec, s[6:7]
	s_movk_i32 s4, 0xff
	v_and_b32_sdwa v11, v2, s4 dst_sel:DWORD dst_unused:UNUSED_PAD src0_sel:WORD_1 src1_sel:DWORD
	s_movk_i32 s4, 0x7f
	v_cmp_lt_i16_e32 vcc, s4, v11
	s_mov_b64 s[4:5], 0
                                        ; implicit-def: $sgpr10
	s_and_saveexec_b64 s[6:7], vcc
	s_xor_b64 s[6:7], exec, s[6:7]
	s_cbranch_execnz .LBB31_3733
; %bb.1685:
	s_or_saveexec_b64 s[6:7], s[6:7]
	v_mov_b32_e32 v12, s10
	s_xor_b64 exec, exec, s[6:7]
	s_cbranch_execnz .LBB31_3736
.LBB31_1686:
	s_or_b64 exec, exec, s[6:7]
	s_and_saveexec_b64 s[6:7], s[4:5]
	s_cbranch_execz .LBB31_1688
.LBB31_1687:
	v_bfe_u32 v11, v2, 16, 3
	v_ffbh_u32_e32 v14, v11
	v_min_u32_e32 v14, 32, v14
	v_lshrrev_b32_e32 v12, 19, v2
	v_subrev_u32_e32 v15, 28, v14
	v_and_b32_e32 v12, 15, v12
	v_lshlrev_b32_sdwa v15, v15, v2 dst_sel:DWORD dst_unused:UNUSED_PAD src0_sel:DWORD src1_sel:WORD_1
	v_bfe_u32 v13, v2, 19, 4
	v_sub_u32_e32 v14, 29, v14
	v_and_b32_e32 v15, 7, v15
	v_cmp_eq_u16_e32 vcc, 0, v12
	v_cndmask_b32_e32 v11, v11, v15, vcc
	v_cndmask_b32_e32 v12, v13, v14, vcc
	v_lshlrev_b32_e32 v13, 8, v2
	v_mov_b32_e32 v14, 0x3b800000
	v_lshlrev_b32_e32 v11, 20, v11
	v_and_b32_e32 v13, 0x80000000, v13
	v_lshl_add_u32 v12, v12, 23, v14
	v_or3_b32 v12, v13, v12, v11
.LBB31_1688:
	s_or_b64 exec, exec, s[6:7]
	s_nop 0
	v_mfma_f32_16x16x4f32 a[0:3], v10, v12, a[0:3]
	s_movk_i32 s4, 0x7f
	v_cmp_gt_i16_sdwa s[6:7], v6, s4 src0_sel:BYTE_3 src1_sel:DWORD
	s_mov_b64 s[4:5], 0
                                        ; implicit-def: $sgpr10
	s_and_saveexec_b64 s[8:9], s[6:7]
	s_xor_b64 s[6:7], exec, s[8:9]
	s_cbranch_execnz .LBB31_3737
; %bb.1689:
	s_or_saveexec_b64 s[6:7], s[6:7]
	v_mov_b32_e32 v10, s10
	s_xor_b64 exec, exec, s[6:7]
	s_cbranch_execnz .LBB31_3740
.LBB31_1690:
	s_or_b64 exec, exec, s[6:7]
	s_and_saveexec_b64 s[6:7], s[4:5]
	s_cbranch_execz .LBB31_1692
.LBB31_1691:
	v_bfe_u32 v10, v6, 24, 3
	v_ffbh_u32_e32 v14, v10
	v_min_u32_e32 v14, 32, v14
	v_lshrrev_b32_e32 v12, 27, v6
	v_subrev_u32_e32 v15, 28, v14
	v_and_b32_e32 v11, 0x80000000, v6
	v_and_b32_e32 v12, 15, v12
	v_bfe_u32 v13, v6, 27, 4
	v_lshlrev_b32_sdwa v6, v15, v6 dst_sel:DWORD dst_unused:UNUSED_PAD src0_sel:DWORD src1_sel:BYTE_3
	v_sub_u32_e32 v14, 29, v14
	v_and_b32_e32 v6, 7, v6
	v_cmp_eq_u16_e32 vcc, 0, v12
	v_cndmask_b32_e32 v6, v10, v6, vcc
	v_cndmask_b32_e32 v10, v13, v14, vcc
	v_mov_b32_e32 v12, 0x3b800000
	v_lshlrev_b32_e32 v6, 20, v6
	v_lshl_add_u32 v10, v10, 23, v12
	v_or3_b32 v10, v11, v10, v6
.LBB31_1692:
	s_or_b64 exec, exec, s[6:7]
	s_movk_i32 s4, 0x7f
	v_cmp_gt_i16_sdwa s[6:7], v2, s4 src0_sel:BYTE_3 src1_sel:DWORD
	s_mov_b64 s[4:5], 0
                                        ; implicit-def: $sgpr10
	s_and_saveexec_b64 s[8:9], s[6:7]
	s_xor_b64 s[6:7], exec, s[8:9]
	s_cbranch_execnz .LBB31_3741
; %bb.1693:
	s_or_saveexec_b64 s[6:7], s[6:7]
	v_mov_b32_e32 v6, s10
	s_xor_b64 exec, exec, s[6:7]
	s_cbranch_execnz .LBB31_3744
.LBB31_1694:
	s_or_b64 exec, exec, s[6:7]
	s_and_saveexec_b64 s[6:7], s[4:5]
	s_cbranch_execz .LBB31_1696
.LBB31_1695:
	v_bfe_u32 v6, v2, 24, 3
	v_ffbh_u32_e32 v14, v6
	v_min_u32_e32 v14, 32, v14
	v_lshrrev_b32_e32 v12, 27, v2
	v_subrev_u32_e32 v15, 28, v14
	v_and_b32_e32 v11, 0x80000000, v2
	v_and_b32_e32 v12, 15, v12
	v_bfe_u32 v13, v2, 27, 4
	v_lshlrev_b32_sdwa v2, v15, v2 dst_sel:DWORD dst_unused:UNUSED_PAD src0_sel:DWORD src1_sel:BYTE_3
	v_sub_u32_e32 v14, 29, v14
	v_and_b32_e32 v2, 7, v2
	v_cmp_eq_u16_e32 vcc, 0, v12
	v_cndmask_b32_e32 v2, v6, v2, vcc
	v_cndmask_b32_e32 v6, v13, v14, vcc
	v_mov_b32_e32 v12, 0x3b800000
	v_lshlrev_b32_e32 v2, 20, v2
	v_lshl_add_u32 v6, v6, 23, v12
	v_or3_b32 v6, v11, v6, v2
.LBB31_1696:
	s_or_b64 exec, exec, s[6:7]
	s_nop 0
	v_mfma_f32_16x16x4f32 a[0:3], v10, v6, a[0:3]
	s_movk_i32 s4, 0x7f
	v_cmp_gt_i16_sdwa s[6:7], v7, s4 src0_sel:BYTE_0 src1_sel:DWORD
	s_mov_b64 s[4:5], 0
                                        ; implicit-def: $sgpr10
	s_and_saveexec_b64 s[8:9], s[6:7]
	s_xor_b64 s[6:7], exec, s[8:9]
	s_cbranch_execnz .LBB31_3745
; %bb.1697:
	s_or_saveexec_b64 s[6:7], s[6:7]
	v_mov_b32_e32 v2, s10
	s_xor_b64 exec, exec, s[6:7]
	s_cbranch_execnz .LBB31_3748
.LBB31_1698:
	s_or_b64 exec, exec, s[6:7]
	s_and_saveexec_b64 s[6:7], s[4:5]
	s_cbranch_execz .LBB31_1700
.LBB31_1699:
	v_and_b32_e32 v2, 7, v7
	v_ffbh_u32_e32 v10, v2
	v_min_u32_e32 v10, 32, v10
	v_lshrrev_b16_e32 v6, 3, v7
	v_subrev_u32_e32 v11, 28, v10
	v_and_b32_e32 v6, 15, v6
	v_lshlrev_b32_e32 v11, v11, v7
	v_sub_u32_e32 v10, 29, v10
	v_and_b32_e32 v11, 7, v11
	v_cmp_eq_u16_e32 vcc, 0, v6
	v_cndmask_b32_e32 v2, v2, v11, vcc
	v_cndmask_b32_e32 v6, v6, v10, vcc
	v_lshlrev_b32_e32 v10, 24, v7
	v_mov_b32_e32 v11, 0x3b800000
	v_lshlrev_b32_e32 v2, 20, v2
	v_and_b32_e32 v10, 0x80000000, v10
	v_lshl_add_u32 v6, v6, 23, v11
	v_or3_b32 v2, v10, v6, v2
.LBB31_1700:
	s_or_b64 exec, exec, s[6:7]
	s_movk_i32 s4, 0x7f
	v_cmp_gt_i16_sdwa s[6:7], v3, s4 src0_sel:BYTE_0 src1_sel:DWORD
	s_mov_b64 s[4:5], 0
                                        ; implicit-def: $sgpr10
	s_and_saveexec_b64 s[8:9], s[6:7]
	s_xor_b64 s[6:7], exec, s[8:9]
	s_cbranch_execnz .LBB31_3749
; %bb.1701:
	s_or_saveexec_b64 s[6:7], s[6:7]
	v_mov_b32_e32 v6, s10
	s_xor_b64 exec, exec, s[6:7]
	s_cbranch_execnz .LBB31_3752
.LBB31_1702:
	s_or_b64 exec, exec, s[6:7]
	s_and_saveexec_b64 s[6:7], s[4:5]
	s_cbranch_execz .LBB31_1704
.LBB31_1703:
	v_and_b32_e32 v6, 7, v3
	v_ffbh_u32_e32 v11, v6
	v_min_u32_e32 v11, 32, v11
	v_lshrrev_b16_e32 v10, 3, v3
	v_subrev_u32_e32 v12, 28, v11
	v_and_b32_e32 v10, 15, v10
	v_lshlrev_b32_e32 v12, v12, v3
	v_sub_u32_e32 v11, 29, v11
	v_and_b32_e32 v12, 7, v12
	v_cmp_eq_u16_e32 vcc, 0, v10
	v_cndmask_b32_e32 v6, v6, v12, vcc
	v_cndmask_b32_e32 v10, v10, v11, vcc
	v_lshlrev_b32_e32 v11, 24, v3
	v_mov_b32_e32 v12, 0x3b800000
	v_lshlrev_b32_e32 v6, 20, v6
	v_and_b32_e32 v11, 0x80000000, v11
	v_lshl_add_u32 v10, v10, 23, v12
	v_or3_b32 v6, v11, v10, v6
.LBB31_1704:
	s_or_b64 exec, exec, s[6:7]
	s_nop 0
	v_mfma_f32_16x16x4f32 a[0:3], v2, v6, a[0:3]
	v_lshrrev_b32_e32 v6, 8, v7
	s_movk_i32 s4, 0x7f
	v_cmp_gt_i16_sdwa s[6:7], v6, s4 src0_sel:BYTE_0 src1_sel:DWORD
	s_mov_b64 s[4:5], 0
                                        ; implicit-def: $sgpr10
	s_and_saveexec_b64 s[8:9], s[6:7]
	s_xor_b64 s[6:7], exec, s[8:9]
	s_cbranch_execnz .LBB31_3753
; %bb.1705:
	s_or_saveexec_b64 s[6:7], s[6:7]
	v_mov_b32_e32 v2, s10
	s_xor_b64 exec, exec, s[6:7]
	s_cbranch_execnz .LBB31_3756
.LBB31_1706:
	s_or_b64 exec, exec, s[6:7]
	s_and_saveexec_b64 s[6:7], s[4:5]
	s_cbranch_execz .LBB31_1708
.LBB31_1707:
	v_bfe_u32 v2, v7, 8, 3
	v_ffbh_u32_e32 v11, v2
	v_min_u32_e32 v11, 32, v11
	v_lshrrev_b16_e32 v10, 3, v6
	v_subrev_u32_e32 v12, 28, v11
	v_and_b32_e32 v10, 15, v10
	v_lshlrev_b32_e32 v6, v12, v6
	v_sub_u32_e32 v11, 29, v11
	v_and_b32_e32 v6, 7, v6
	v_cmp_eq_u16_e32 vcc, 0, v10
	v_cndmask_b32_e32 v2, v2, v6, vcc
	v_cndmask_b32_e32 v6, v10, v11, vcc
	v_lshlrev_b32_e32 v10, 16, v7
	v_mov_b32_e32 v11, 0x3b800000
	v_lshlrev_b32_e32 v2, 20, v2
	v_and_b32_e32 v10, 0x80000000, v10
	v_lshl_add_u32 v6, v6, 23, v11
	v_or3_b32 v2, v10, v6, v2
.LBB31_1708:
	s_or_b64 exec, exec, s[6:7]
	v_lshrrev_b32_e32 v6, 8, v3
	s_movk_i32 s4, 0x7f
	v_cmp_gt_i16_sdwa s[6:7], v6, s4 src0_sel:BYTE_0 src1_sel:DWORD
	s_mov_b64 s[4:5], 0
                                        ; implicit-def: $sgpr10
	s_and_saveexec_b64 s[8:9], s[6:7]
	s_xor_b64 s[6:7], exec, s[8:9]
	s_cbranch_execnz .LBB31_3757
; %bb.1709:
	s_or_saveexec_b64 s[6:7], s[6:7]
	v_mov_b32_e32 v10, s10
	s_xor_b64 exec, exec, s[6:7]
	s_cbranch_execnz .LBB31_3760
.LBB31_1710:
	s_or_b64 exec, exec, s[6:7]
	s_and_saveexec_b64 s[6:7], s[4:5]
	s_cbranch_execz .LBB31_1712
.LBB31_1711:
	v_bfe_u32 v10, v3, 8, 3
	v_ffbh_u32_e32 v12, v10
	v_min_u32_e32 v12, 32, v12
	v_lshrrev_b16_e32 v11, 3, v6
	v_subrev_u32_e32 v13, 28, v12
	v_and_b32_e32 v11, 15, v11
	v_lshlrev_b32_e32 v6, v13, v6
	v_sub_u32_e32 v12, 29, v12
	v_and_b32_e32 v6, 7, v6
	v_cmp_eq_u16_e32 vcc, 0, v11
	v_cndmask_b32_e32 v6, v10, v6, vcc
	v_cndmask_b32_e32 v10, v11, v12, vcc
	v_lshlrev_b32_e32 v11, 16, v3
	v_mov_b32_e32 v12, 0x3b800000
	v_lshlrev_b32_e32 v6, 20, v6
	v_and_b32_e32 v11, 0x80000000, v11
	v_lshl_add_u32 v10, v10, 23, v12
	v_or3_b32 v10, v11, v10, v6
.LBB31_1712:
	s_or_b64 exec, exec, s[6:7]
	s_nop 0
	v_mfma_f32_16x16x4f32 a[0:3], v2, v10, a[0:3]
	s_movk_i32 s4, 0xff
	v_and_b32_sdwa v6, v7, s4 dst_sel:DWORD dst_unused:UNUSED_PAD src0_sel:WORD_1 src1_sel:DWORD
	s_movk_i32 s4, 0x7f
	v_cmp_lt_i16_e32 vcc, s4, v6
	s_mov_b64 s[4:5], 0
                                        ; implicit-def: $sgpr10
	s_and_saveexec_b64 s[6:7], vcc
	s_xor_b64 s[6:7], exec, s[6:7]
	s_cbranch_execnz .LBB31_3761
; %bb.1713:
	s_or_saveexec_b64 s[6:7], s[6:7]
	v_mov_b32_e32 v2, s10
	s_xor_b64 exec, exec, s[6:7]
	s_cbranch_execnz .LBB31_3764
.LBB31_1714:
	s_or_b64 exec, exec, s[6:7]
	s_and_saveexec_b64 s[6:7], s[4:5]
	s_cbranch_execz .LBB31_1716
.LBB31_1715:
	v_bfe_u32 v2, v7, 16, 3
	v_ffbh_u32_e32 v11, v2
	v_min_u32_e32 v11, 32, v11
	v_lshrrev_b32_e32 v6, 19, v7
	v_subrev_u32_e32 v12, 28, v11
	v_and_b32_e32 v6, 15, v6
	v_lshlrev_b32_sdwa v12, v12, v7 dst_sel:DWORD dst_unused:UNUSED_PAD src0_sel:DWORD src1_sel:WORD_1
	v_bfe_u32 v10, v7, 19, 4
	v_sub_u32_e32 v11, 29, v11
	v_and_b32_e32 v12, 7, v12
	v_cmp_eq_u16_e32 vcc, 0, v6
	v_cndmask_b32_e32 v2, v2, v12, vcc
	v_cndmask_b32_e32 v6, v10, v11, vcc
	v_lshlrev_b32_e32 v10, 8, v7
	v_mov_b32_e32 v11, 0x3b800000
	v_lshlrev_b32_e32 v2, 20, v2
	v_and_b32_e32 v10, 0x80000000, v10
	v_lshl_add_u32 v6, v6, 23, v11
	v_or3_b32 v2, v10, v6, v2
.LBB31_1716:
	s_or_b64 exec, exec, s[6:7]
	s_movk_i32 s4, 0xff
	v_and_b32_sdwa v6, v3, s4 dst_sel:DWORD dst_unused:UNUSED_PAD src0_sel:WORD_1 src1_sel:DWORD
	s_movk_i32 s4, 0x7f
	v_cmp_lt_i16_e32 vcc, s4, v6
	s_mov_b64 s[4:5], 0
                                        ; implicit-def: $sgpr10
	s_and_saveexec_b64 s[6:7], vcc
	s_xor_b64 s[6:7], exec, s[6:7]
	s_cbranch_execnz .LBB31_3765
; %bb.1717:
	s_or_saveexec_b64 s[6:7], s[6:7]
	v_mov_b32_e32 v10, s10
	s_xor_b64 exec, exec, s[6:7]
	s_cbranch_execnz .LBB31_3768
.LBB31_1718:
	s_or_b64 exec, exec, s[6:7]
	s_and_saveexec_b64 s[6:7], s[4:5]
	s_cbranch_execz .LBB31_1720
.LBB31_1719:
	v_bfe_u32 v6, v3, 16, 3
	v_ffbh_u32_e32 v12, v6
	v_min_u32_e32 v12, 32, v12
	v_lshrrev_b32_e32 v10, 19, v3
	v_subrev_u32_e32 v13, 28, v12
	v_and_b32_e32 v10, 15, v10
	v_lshlrev_b32_sdwa v13, v13, v3 dst_sel:DWORD dst_unused:UNUSED_PAD src0_sel:DWORD src1_sel:WORD_1
	v_bfe_u32 v11, v3, 19, 4
	v_sub_u32_e32 v12, 29, v12
	v_and_b32_e32 v13, 7, v13
	v_cmp_eq_u16_e32 vcc, 0, v10
	v_cndmask_b32_e32 v6, v6, v13, vcc
	v_cndmask_b32_e32 v10, v11, v12, vcc
	v_lshlrev_b32_e32 v11, 8, v3
	v_mov_b32_e32 v12, 0x3b800000
	v_lshlrev_b32_e32 v6, 20, v6
	v_and_b32_e32 v11, 0x80000000, v11
	v_lshl_add_u32 v10, v10, 23, v12
	v_or3_b32 v10, v11, v10, v6
.LBB31_1720:
	s_or_b64 exec, exec, s[6:7]
	s_nop 0
	v_mfma_f32_16x16x4f32 a[0:3], v2, v10, a[0:3]
	s_movk_i32 s4, 0x7f
	v_cmp_gt_i16_sdwa s[6:7], v7, s4 src0_sel:BYTE_3 src1_sel:DWORD
	s_mov_b64 s[4:5], 0
                                        ; implicit-def: $sgpr10
	s_and_saveexec_b64 s[8:9], s[6:7]
	s_xor_b64 s[6:7], exec, s[8:9]
	s_cbranch_execnz .LBB31_3769
; %bb.1721:
	s_or_saveexec_b64 s[6:7], s[6:7]
	v_mov_b32_e32 v2, s10
	s_xor_b64 exec, exec, s[6:7]
	s_cbranch_execnz .LBB31_3772
.LBB31_1722:
	s_or_b64 exec, exec, s[6:7]
	s_and_saveexec_b64 s[6:7], s[4:5]
	s_cbranch_execz .LBB31_1724
.LBB31_1723:
	v_bfe_u32 v2, v7, 24, 3
	v_ffbh_u32_e32 v12, v2
	v_min_u32_e32 v12, 32, v12
	v_lshrrev_b32_e32 v10, 27, v7
	v_subrev_u32_e32 v13, 28, v12
	v_and_b32_e32 v6, 0x80000000, v7
	v_and_b32_e32 v10, 15, v10
	v_bfe_u32 v11, v7, 27, 4
	v_lshlrev_b32_sdwa v7, v13, v7 dst_sel:DWORD dst_unused:UNUSED_PAD src0_sel:DWORD src1_sel:BYTE_3
	v_sub_u32_e32 v12, 29, v12
	v_and_b32_e32 v7, 7, v7
	v_cmp_eq_u16_e32 vcc, 0, v10
	v_cndmask_b32_e32 v2, v2, v7, vcc
	v_cndmask_b32_e32 v7, v11, v12, vcc
	v_mov_b32_e32 v10, 0x3b800000
	v_lshlrev_b32_e32 v2, 20, v2
	v_lshl_add_u32 v7, v7, 23, v10
	v_or3_b32 v2, v6, v7, v2
.LBB31_1724:
	s_or_b64 exec, exec, s[6:7]
	s_movk_i32 s4, 0x7f
	v_cmp_gt_i16_sdwa s[6:7], v3, s4 src0_sel:BYTE_3 src1_sel:DWORD
	s_mov_b64 s[4:5], 0
                                        ; implicit-def: $sgpr10
	s_and_saveexec_b64 s[8:9], s[6:7]
	s_xor_b64 s[6:7], exec, s[8:9]
	s_cbranch_execnz .LBB31_3773
; %bb.1725:
	s_or_saveexec_b64 s[6:7], s[6:7]
	v_mov_b32_e32 v6, s10
	s_xor_b64 exec, exec, s[6:7]
	s_cbranch_execnz .LBB31_3776
.LBB31_1726:
	s_or_b64 exec, exec, s[6:7]
	s_and_saveexec_b64 s[6:7], s[4:5]
	s_cbranch_execz .LBB31_1728
.LBB31_1727:
	v_bfe_u32 v6, v3, 24, 3
	v_ffbh_u32_e32 v12, v6
	v_min_u32_e32 v12, 32, v12
	v_lshrrev_b32_e32 v10, 27, v3
	v_subrev_u32_e32 v13, 28, v12
	v_and_b32_e32 v7, 0x80000000, v3
	v_and_b32_e32 v10, 15, v10
	v_bfe_u32 v11, v3, 27, 4
	v_lshlrev_b32_sdwa v3, v13, v3 dst_sel:DWORD dst_unused:UNUSED_PAD src0_sel:DWORD src1_sel:BYTE_3
	v_sub_u32_e32 v12, 29, v12
	v_and_b32_e32 v3, 7, v3
	v_cmp_eq_u16_e32 vcc, 0, v10
	v_cndmask_b32_e32 v3, v6, v3, vcc
	v_cndmask_b32_e32 v6, v11, v12, vcc
	v_mov_b32_e32 v10, 0x3b800000
	v_lshlrev_b32_e32 v3, 20, v3
	v_lshl_add_u32 v6, v6, 23, v10
	v_or3_b32 v6, v7, v6, v3
.LBB31_1728:
	s_or_b64 exec, exec, s[6:7]
	s_nop 0
	v_mfma_f32_16x16x4f32 a[0:3], v2, v6, a[0:3]
	s_movk_i32 s4, 0x7f
	v_cmp_gt_i16_sdwa s[6:7], v8, s4 src0_sel:BYTE_0 src1_sel:DWORD
	s_mov_b64 s[4:5], 0
                                        ; implicit-def: $sgpr10
	s_and_saveexec_b64 s[8:9], s[6:7]
	s_xor_b64 s[6:7], exec, s[8:9]
	s_cbranch_execnz .LBB31_3777
; %bb.1729:
	s_or_saveexec_b64 s[6:7], s[6:7]
	v_mov_b32_e32 v2, s10
	s_xor_b64 exec, exec, s[6:7]
	s_cbranch_execnz .LBB31_3780
.LBB31_1730:
	s_or_b64 exec, exec, s[6:7]
	s_and_saveexec_b64 s[6:7], s[4:5]
	s_cbranch_execz .LBB31_1732
.LBB31_1731:
	v_and_b32_e32 v2, 7, v8
	v_ffbh_u32_e32 v6, v2
	v_min_u32_e32 v6, 32, v6
	v_lshrrev_b16_e32 v3, 3, v8
	v_subrev_u32_e32 v7, 28, v6
	v_and_b32_e32 v3, 15, v3
	v_lshlrev_b32_e32 v7, v7, v8
	v_sub_u32_e32 v6, 29, v6
	v_and_b32_e32 v7, 7, v7
	v_cmp_eq_u16_e32 vcc, 0, v3
	v_cndmask_b32_e32 v2, v2, v7, vcc
	v_cndmask_b32_e32 v3, v3, v6, vcc
	v_lshlrev_b32_e32 v6, 24, v8
	v_mov_b32_e32 v7, 0x3b800000
	v_lshlrev_b32_e32 v2, 20, v2
	v_and_b32_e32 v6, 0x80000000, v6
	v_lshl_add_u32 v3, v3, 23, v7
	v_or3_b32 v2, v6, v3, v2
.LBB31_1732:
	s_or_b64 exec, exec, s[6:7]
	s_movk_i32 s4, 0x7f
	v_cmp_gt_i16_sdwa s[6:7], v4, s4 src0_sel:BYTE_0 src1_sel:DWORD
	s_mov_b64 s[4:5], 0
                                        ; implicit-def: $sgpr10
	s_and_saveexec_b64 s[8:9], s[6:7]
	s_xor_b64 s[6:7], exec, s[8:9]
	s_cbranch_execnz .LBB31_3781
; %bb.1733:
	s_or_saveexec_b64 s[6:7], s[6:7]
	v_mov_b32_e32 v3, s10
	s_xor_b64 exec, exec, s[6:7]
	s_cbranch_execnz .LBB31_3784
.LBB31_1734:
	s_or_b64 exec, exec, s[6:7]
	s_and_saveexec_b64 s[6:7], s[4:5]
	s_cbranch_execz .LBB31_1736
.LBB31_1735:
	v_and_b32_e32 v3, 7, v4
	v_ffbh_u32_e32 v7, v3
	v_min_u32_e32 v7, 32, v7
	v_lshrrev_b16_e32 v6, 3, v4
	v_subrev_u32_e32 v10, 28, v7
	v_and_b32_e32 v6, 15, v6
	v_lshlrev_b32_e32 v10, v10, v4
	v_sub_u32_e32 v7, 29, v7
	v_and_b32_e32 v10, 7, v10
	v_cmp_eq_u16_e32 vcc, 0, v6
	v_cndmask_b32_e32 v3, v3, v10, vcc
	v_cndmask_b32_e32 v6, v6, v7, vcc
	v_lshlrev_b32_e32 v7, 24, v4
	v_mov_b32_e32 v10, 0x3b800000
	v_lshlrev_b32_e32 v3, 20, v3
	v_and_b32_e32 v7, 0x80000000, v7
	v_lshl_add_u32 v6, v6, 23, v10
	v_or3_b32 v3, v7, v6, v3
.LBB31_1736:
	s_or_b64 exec, exec, s[6:7]
	s_nop 0
	v_mfma_f32_16x16x4f32 a[0:3], v2, v3, a[0:3]
	v_lshrrev_b32_e32 v3, 8, v8
	s_movk_i32 s4, 0x7f
	v_cmp_gt_i16_sdwa s[6:7], v3, s4 src0_sel:BYTE_0 src1_sel:DWORD
	s_mov_b64 s[4:5], 0
                                        ; implicit-def: $sgpr10
	s_and_saveexec_b64 s[8:9], s[6:7]
	s_xor_b64 s[6:7], exec, s[8:9]
	s_cbranch_execnz .LBB31_3785
; %bb.1737:
	s_or_saveexec_b64 s[6:7], s[6:7]
	v_mov_b32_e32 v2, s10
	s_xor_b64 exec, exec, s[6:7]
	s_cbranch_execnz .LBB31_3788
.LBB31_1738:
	s_or_b64 exec, exec, s[6:7]
	s_and_saveexec_b64 s[6:7], s[4:5]
	s_cbranch_execz .LBB31_1740
.LBB31_1739:
	v_bfe_u32 v2, v8, 8, 3
	v_ffbh_u32_e32 v7, v2
	v_min_u32_e32 v7, 32, v7
	v_lshrrev_b16_e32 v6, 3, v3
	v_subrev_u32_e32 v10, 28, v7
	v_and_b32_e32 v6, 15, v6
	v_lshlrev_b32_e32 v3, v10, v3
	v_sub_u32_e32 v7, 29, v7
	v_and_b32_e32 v3, 7, v3
	v_cmp_eq_u16_e32 vcc, 0, v6
	v_cndmask_b32_e32 v2, v2, v3, vcc
	v_cndmask_b32_e32 v3, v6, v7, vcc
	v_lshlrev_b32_e32 v6, 16, v8
	v_mov_b32_e32 v7, 0x3b800000
	v_lshlrev_b32_e32 v2, 20, v2
	v_and_b32_e32 v6, 0x80000000, v6
	v_lshl_add_u32 v3, v3, 23, v7
	v_or3_b32 v2, v6, v3, v2
.LBB31_1740:
	s_or_b64 exec, exec, s[6:7]
	v_lshrrev_b32_e32 v3, 8, v4
	s_movk_i32 s4, 0x7f
	v_cmp_gt_i16_sdwa s[6:7], v3, s4 src0_sel:BYTE_0 src1_sel:DWORD
	s_mov_b64 s[4:5], 0
                                        ; implicit-def: $sgpr10
	s_and_saveexec_b64 s[8:9], s[6:7]
	s_xor_b64 s[6:7], exec, s[8:9]
	s_cbranch_execnz .LBB31_3789
; %bb.1741:
	s_or_saveexec_b64 s[6:7], s[6:7]
	v_mov_b32_e32 v6, s10
	s_xor_b64 exec, exec, s[6:7]
	s_cbranch_execnz .LBB31_3792
.LBB31_1742:
	s_or_b64 exec, exec, s[6:7]
	s_and_saveexec_b64 s[6:7], s[4:5]
	s_cbranch_execz .LBB31_1744
.LBB31_1743:
	v_bfe_u32 v6, v4, 8, 3
	v_ffbh_u32_e32 v10, v6
	v_min_u32_e32 v10, 32, v10
	v_lshrrev_b16_e32 v7, 3, v3
	v_subrev_u32_e32 v11, 28, v10
	v_and_b32_e32 v7, 15, v7
	v_lshlrev_b32_e32 v3, v11, v3
	v_sub_u32_e32 v10, 29, v10
	v_and_b32_e32 v3, 7, v3
	v_cmp_eq_u16_e32 vcc, 0, v7
	v_cndmask_b32_e32 v3, v6, v3, vcc
	v_cndmask_b32_e32 v6, v7, v10, vcc
	v_lshlrev_b32_e32 v7, 16, v4
	v_mov_b32_e32 v10, 0x3b800000
	v_lshlrev_b32_e32 v3, 20, v3
	v_and_b32_e32 v7, 0x80000000, v7
	v_lshl_add_u32 v6, v6, 23, v10
	v_or3_b32 v6, v7, v6, v3
.LBB31_1744:
	s_or_b64 exec, exec, s[6:7]
	s_nop 0
	v_mfma_f32_16x16x4f32 a[0:3], v2, v6, a[0:3]
	s_movk_i32 s4, 0xff
	v_and_b32_sdwa v3, v8, s4 dst_sel:DWORD dst_unused:UNUSED_PAD src0_sel:WORD_1 src1_sel:DWORD
	s_movk_i32 s4, 0x7f
	v_cmp_lt_i16_e32 vcc, s4, v3
	s_mov_b64 s[4:5], 0
                                        ; implicit-def: $sgpr10
	s_and_saveexec_b64 s[6:7], vcc
	s_xor_b64 s[6:7], exec, s[6:7]
	s_cbranch_execnz .LBB31_3793
; %bb.1745:
	s_or_saveexec_b64 s[6:7], s[6:7]
	v_mov_b32_e32 v2, s10
	s_xor_b64 exec, exec, s[6:7]
	s_cbranch_execnz .LBB31_3796
.LBB31_1746:
	s_or_b64 exec, exec, s[6:7]
	s_and_saveexec_b64 s[6:7], s[4:5]
	s_cbranch_execz .LBB31_1748
.LBB31_1747:
	v_bfe_u32 v2, v8, 16, 3
	v_ffbh_u32_e32 v7, v2
	v_min_u32_e32 v7, 32, v7
	v_lshrrev_b32_e32 v3, 19, v8
	v_subrev_u32_e32 v10, 28, v7
	v_and_b32_e32 v3, 15, v3
	v_lshlrev_b32_sdwa v10, v10, v8 dst_sel:DWORD dst_unused:UNUSED_PAD src0_sel:DWORD src1_sel:WORD_1
	v_bfe_u32 v6, v8, 19, 4
	v_sub_u32_e32 v7, 29, v7
	v_and_b32_e32 v10, 7, v10
	v_cmp_eq_u16_e32 vcc, 0, v3
	v_cndmask_b32_e32 v2, v2, v10, vcc
	v_cndmask_b32_e32 v3, v6, v7, vcc
	v_lshlrev_b32_e32 v6, 8, v8
	v_mov_b32_e32 v7, 0x3b800000
	v_lshlrev_b32_e32 v2, 20, v2
	v_and_b32_e32 v6, 0x80000000, v6
	v_lshl_add_u32 v3, v3, 23, v7
	v_or3_b32 v2, v6, v3, v2
.LBB31_1748:
	s_or_b64 exec, exec, s[6:7]
	s_movk_i32 s4, 0xff
	v_and_b32_sdwa v3, v4, s4 dst_sel:DWORD dst_unused:UNUSED_PAD src0_sel:WORD_1 src1_sel:DWORD
	s_movk_i32 s4, 0x7f
	v_cmp_lt_i16_e32 vcc, s4, v3
	s_mov_b64 s[4:5], 0
                                        ; implicit-def: $sgpr10
	s_and_saveexec_b64 s[6:7], vcc
	s_xor_b64 s[6:7], exec, s[6:7]
	s_cbranch_execnz .LBB31_3797
; %bb.1749:
	s_or_saveexec_b64 s[6:7], s[6:7]
	v_mov_b32_e32 v6, s10
	s_xor_b64 exec, exec, s[6:7]
	s_cbranch_execnz .LBB31_3800
.LBB31_1750:
	s_or_b64 exec, exec, s[6:7]
	s_and_saveexec_b64 s[6:7], s[4:5]
	s_cbranch_execz .LBB31_1752
.LBB31_1751:
	v_bfe_u32 v3, v4, 16, 3
	v_ffbh_u32_e32 v10, v3
	v_min_u32_e32 v10, 32, v10
	v_lshrrev_b32_e32 v6, 19, v4
	v_subrev_u32_e32 v11, 28, v10
	v_and_b32_e32 v6, 15, v6
	v_lshlrev_b32_sdwa v11, v11, v4 dst_sel:DWORD dst_unused:UNUSED_PAD src0_sel:DWORD src1_sel:WORD_1
	v_bfe_u32 v7, v4, 19, 4
	v_sub_u32_e32 v10, 29, v10
	v_and_b32_e32 v11, 7, v11
	v_cmp_eq_u16_e32 vcc, 0, v6
	v_cndmask_b32_e32 v3, v3, v11, vcc
	v_cndmask_b32_e32 v6, v7, v10, vcc
	v_lshlrev_b32_e32 v7, 8, v4
	v_mov_b32_e32 v10, 0x3b800000
	v_lshlrev_b32_e32 v3, 20, v3
	v_and_b32_e32 v7, 0x80000000, v7
	v_lshl_add_u32 v6, v6, 23, v10
	v_or3_b32 v6, v7, v6, v3
.LBB31_1752:
	s_or_b64 exec, exec, s[6:7]
	s_nop 0
	v_mfma_f32_16x16x4f32 a[0:3], v2, v6, a[0:3]
	s_movk_i32 s4, 0x7f
	v_cmp_gt_i16_sdwa s[6:7], v8, s4 src0_sel:BYTE_3 src1_sel:DWORD
	s_mov_b64 s[4:5], 0
                                        ; implicit-def: $sgpr10
	s_and_saveexec_b64 s[8:9], s[6:7]
	s_xor_b64 s[6:7], exec, s[8:9]
	s_cbranch_execnz .LBB31_3801
; %bb.1753:
	s_or_saveexec_b64 s[6:7], s[6:7]
	v_mov_b32_e32 v2, s10
	s_xor_b64 exec, exec, s[6:7]
	s_cbranch_execnz .LBB31_3804
.LBB31_1754:
	s_or_b64 exec, exec, s[6:7]
	s_and_saveexec_b64 s[6:7], s[4:5]
	s_cbranch_execz .LBB31_1756
.LBB31_1755:
	v_bfe_u32 v2, v8, 24, 3
	v_ffbh_u32_e32 v10, v2
	v_min_u32_e32 v10, 32, v10
	v_lshrrev_b32_e32 v6, 27, v8
	v_subrev_u32_e32 v11, 28, v10
	v_and_b32_e32 v3, 0x80000000, v8
	v_and_b32_e32 v6, 15, v6
	v_bfe_u32 v7, v8, 27, 4
	v_lshlrev_b32_sdwa v8, v11, v8 dst_sel:DWORD dst_unused:UNUSED_PAD src0_sel:DWORD src1_sel:BYTE_3
	v_sub_u32_e32 v10, 29, v10
	v_and_b32_e32 v8, 7, v8
	v_cmp_eq_u16_e32 vcc, 0, v6
	v_cndmask_b32_e32 v2, v2, v8, vcc
	v_cndmask_b32_e32 v6, v7, v10, vcc
	v_mov_b32_e32 v7, 0x3b800000
	v_lshlrev_b32_e32 v2, 20, v2
	v_lshl_add_u32 v6, v6, 23, v7
	v_or3_b32 v2, v3, v6, v2
.LBB31_1756:
	s_or_b64 exec, exec, s[6:7]
	s_movk_i32 s4, 0x7f
	v_cmp_gt_i16_sdwa s[6:7], v4, s4 src0_sel:BYTE_3 src1_sel:DWORD
	s_mov_b64 s[4:5], 0
                                        ; implicit-def: $sgpr10
	s_and_saveexec_b64 s[8:9], s[6:7]
	s_xor_b64 s[6:7], exec, s[8:9]
	s_cbranch_execnz .LBB31_3805
; %bb.1757:
	s_or_saveexec_b64 s[6:7], s[6:7]
	v_mov_b32_e32 v3, s10
	s_xor_b64 exec, exec, s[6:7]
	s_cbranch_execnz .LBB31_3808
.LBB31_1758:
	s_or_b64 exec, exec, s[6:7]
	s_and_saveexec_b64 s[6:7], s[4:5]
	s_cbranch_execz .LBB31_1760
.LBB31_1759:
	v_bfe_u32 v3, v4, 24, 3
	v_ffbh_u32_e32 v10, v3
	v_min_u32_e32 v10, 32, v10
	v_lshrrev_b32_e32 v7, 27, v4
	v_subrev_u32_e32 v11, 28, v10
	v_and_b32_e32 v6, 0x80000000, v4
	v_and_b32_e32 v7, 15, v7
	v_bfe_u32 v8, v4, 27, 4
	v_lshlrev_b32_sdwa v4, v11, v4 dst_sel:DWORD dst_unused:UNUSED_PAD src0_sel:DWORD src1_sel:BYTE_3
	v_sub_u32_e32 v10, 29, v10
	v_and_b32_e32 v4, 7, v4
	v_cmp_eq_u16_e32 vcc, 0, v7
	v_cndmask_b32_e32 v3, v3, v4, vcc
	v_cndmask_b32_e32 v4, v8, v10, vcc
	v_mov_b32_e32 v7, 0x3b800000
	v_lshlrev_b32_e32 v3, 20, v3
	v_lshl_add_u32 v4, v4, 23, v7
	v_or3_b32 v3, v6, v4, v3
.LBB31_1760:
	s_or_b64 exec, exec, s[6:7]
	s_nop 0
	v_mfma_f32_16x16x4f32 a[0:3], v2, v3, a[0:3]
	s_movk_i32 s4, 0x7f
	v_cmp_gt_i16_sdwa s[6:7], v9, s4 src0_sel:BYTE_0 src1_sel:DWORD
	s_mov_b64 s[4:5], 0
                                        ; implicit-def: $sgpr10
	s_and_saveexec_b64 s[8:9], s[6:7]
	s_xor_b64 s[6:7], exec, s[8:9]
	s_cbranch_execnz .LBB31_3809
; %bb.1761:
	s_or_saveexec_b64 s[6:7], s[6:7]
	v_mov_b32_e32 v2, s10
	s_xor_b64 exec, exec, s[6:7]
	s_cbranch_execnz .LBB31_3812
.LBB31_1762:
	s_or_b64 exec, exec, s[6:7]
	s_and_saveexec_b64 s[6:7], s[4:5]
	s_cbranch_execz .LBB31_1764
.LBB31_1763:
	v_mov_b32_e32 v2, 8
	v_and_b32_e32 v3, 7, v9
	v_lshrrev_b32_sdwa v2, v2, v9 dst_sel:BYTE_1 dst_unused:UNUSED_PAD src0_sel:DWORD src1_sel:DWORD
	v_ffbh_u32_e32 v4, v3
	v_or_b32_sdwa v2, v9, v2 dst_sel:DWORD dst_unused:UNUSED_PAD src0_sel:BYTE_0 src1_sel:DWORD
	v_min_u32_e32 v4, 32, v4
	v_lshrrev_b16_e32 v2, 3, v2
	v_subrev_u32_e32 v6, 28, v4
	v_and_b32_e32 v2, 15, v2
	v_lshlrev_b32_e32 v6, v6, v9
	v_sub_u32_e32 v4, 29, v4
	v_and_b32_e32 v6, 7, v6
	v_cmp_eq_u16_e32 vcc, 0, v2
	v_cndmask_b32_e32 v3, v3, v6, vcc
	v_cndmask_b32_e32 v2, v2, v4, vcc
	v_lshlrev_b32_e32 v4, 24, v9
	v_mov_b32_e32 v6, 0x3b800000
	v_lshlrev_b32_e32 v3, 20, v3
	v_and_b32_e32 v4, 0x80000000, v4
	v_lshl_add_u32 v2, v2, 23, v6
	v_or3_b32 v2, v4, v2, v3
.LBB31_1764:
	s_or_b64 exec, exec, s[6:7]
	s_movk_i32 s4, 0x7f
	v_cmp_gt_i16_sdwa s[6:7], v5, s4 src0_sel:BYTE_0 src1_sel:DWORD
	s_mov_b64 s[4:5], 0
                                        ; implicit-def: $sgpr10
	s_and_saveexec_b64 s[8:9], s[6:7]
	s_xor_b64 s[6:7], exec, s[8:9]
	s_cbranch_execnz .LBB31_3813
; %bb.1765:
	s_or_saveexec_b64 s[6:7], s[6:7]
	v_mov_b32_e32 v3, s10
	s_xor_b64 exec, exec, s[6:7]
	s_cbranch_execnz .LBB31_3816
.LBB31_1766:
	s_or_b64 exec, exec, s[6:7]
	s_and_saveexec_b64 s[6:7], s[4:5]
	s_cbranch_execz .LBB31_1768
.LBB31_1767:
	v_mov_b32_e32 v3, 8
	v_and_b32_e32 v4, 7, v5
	v_lshrrev_b32_sdwa v3, v3, v5 dst_sel:BYTE_1 dst_unused:UNUSED_PAD src0_sel:DWORD src1_sel:DWORD
	v_ffbh_u32_e32 v6, v4
	v_or_b32_sdwa v3, v5, v3 dst_sel:DWORD dst_unused:UNUSED_PAD src0_sel:BYTE_0 src1_sel:DWORD
	v_min_u32_e32 v6, 32, v6
	v_lshrrev_b16_e32 v3, 3, v3
	v_subrev_u32_e32 v7, 28, v6
	v_and_b32_e32 v3, 15, v3
	v_lshlrev_b32_e32 v7, v7, v5
	v_sub_u32_e32 v6, 29, v6
	v_and_b32_e32 v7, 7, v7
	v_cmp_eq_u16_e32 vcc, 0, v3
	v_cndmask_b32_e32 v4, v4, v7, vcc
	v_cndmask_b32_e32 v3, v3, v6, vcc
	v_lshlrev_b32_e32 v6, 24, v5
	v_mov_b32_e32 v7, 0x3b800000
	v_lshlrev_b32_e32 v4, 20, v4
	v_and_b32_e32 v6, 0x80000000, v6
	v_lshl_add_u32 v3, v3, 23, v7
	v_or3_b32 v3, v6, v3, v4
.LBB31_1768:
	s_or_b64 exec, exec, s[6:7]
	s_nop 0
	v_mfma_f32_16x16x4f32 a[0:3], v2, v3, a[0:3]
	v_lshrrev_b32_e32 v3, 8, v9
	s_movk_i32 s4, 0x7f
	v_cmp_gt_i16_sdwa s[6:7], v3, s4 src0_sel:BYTE_0 src1_sel:DWORD
	s_mov_b64 s[4:5], 0
                                        ; implicit-def: $sgpr10
	s_and_saveexec_b64 s[8:9], s[6:7]
	s_xor_b64 s[6:7], exec, s[8:9]
	s_cbranch_execnz .LBB31_3817
; %bb.1769:
	s_or_saveexec_b64 s[6:7], s[6:7]
	v_mov_b32_e32 v2, s10
	s_xor_b64 exec, exec, s[6:7]
	s_cbranch_execnz .LBB31_3820
.LBB31_1770:
	s_or_b64 exec, exec, s[6:7]
	s_and_saveexec_b64 s[6:7], s[4:5]
	s_cbranch_execz .LBB31_1772
.LBB31_1771:
	v_bfe_u32 v2, v9, 8, 3
	v_ffbh_u32_e32 v6, v2
	v_min_u32_e32 v6, 32, v6
	v_lshrrev_b16_e32 v4, 3, v3
	v_subrev_u32_e32 v7, 28, v6
	v_and_b32_e32 v4, 15, v4
	v_lshlrev_b32_e32 v3, v7, v3
	v_sub_u32_e32 v6, 29, v6
	v_and_b32_e32 v3, 7, v3
	v_cmp_eq_u16_e32 vcc, 0, v4
	v_cndmask_b32_e32 v2, v2, v3, vcc
	v_cndmask_b32_e32 v3, v4, v6, vcc
	v_lshlrev_b32_e32 v4, 16, v9
	v_mov_b32_e32 v6, 0x3b800000
	v_lshlrev_b32_e32 v2, 20, v2
	v_and_b32_e32 v4, 0x80000000, v4
	v_lshl_add_u32 v3, v3, 23, v6
	v_or3_b32 v2, v4, v3, v2
.LBB31_1772:
	s_or_b64 exec, exec, s[6:7]
	v_lshrrev_b32_e32 v3, 8, v5
	s_movk_i32 s4, 0x7f
	v_cmp_gt_i16_sdwa s[6:7], v3, s4 src0_sel:BYTE_0 src1_sel:DWORD
	s_mov_b64 s[4:5], 0
                                        ; implicit-def: $sgpr10
	s_and_saveexec_b64 s[8:9], s[6:7]
	s_xor_b64 s[6:7], exec, s[8:9]
	s_cbranch_execnz .LBB31_3821
; %bb.1773:
	s_or_saveexec_b64 s[6:7], s[6:7]
	v_mov_b32_e32 v4, s10
	s_xor_b64 exec, exec, s[6:7]
	s_cbranch_execnz .LBB31_3824
.LBB31_1774:
	s_or_b64 exec, exec, s[6:7]
	s_and_saveexec_b64 s[6:7], s[4:5]
	s_cbranch_execz .LBB31_1776
.LBB31_1775:
	v_bfe_u32 v4, v5, 8, 3
	v_ffbh_u32_e32 v7, v4
	v_min_u32_e32 v7, 32, v7
	v_lshrrev_b16_e32 v6, 3, v3
	v_subrev_u32_e32 v8, 28, v7
	v_and_b32_e32 v6, 15, v6
	v_lshlrev_b32_e32 v3, v8, v3
	v_sub_u32_e32 v7, 29, v7
	v_and_b32_e32 v3, 7, v3
	v_cmp_eq_u16_e32 vcc, 0, v6
	v_cndmask_b32_e32 v3, v4, v3, vcc
	v_cndmask_b32_e32 v4, v6, v7, vcc
	v_lshlrev_b32_e32 v6, 16, v5
	v_mov_b32_e32 v7, 0x3b800000
	v_lshlrev_b32_e32 v3, 20, v3
	v_and_b32_e32 v6, 0x80000000, v6
	v_lshl_add_u32 v4, v4, 23, v7
	v_or3_b32 v4, v6, v4, v3
.LBB31_1776:
	s_or_b64 exec, exec, s[6:7]
	s_nop 0
	v_mfma_f32_16x16x4f32 a[0:3], v2, v4, a[0:3]
	s_movk_i32 s4, 0xff
	v_and_b32_sdwa v3, v9, s4 dst_sel:DWORD dst_unused:UNUSED_PAD src0_sel:WORD_1 src1_sel:DWORD
	s_movk_i32 s4, 0x7f
	v_cmp_lt_i16_e32 vcc, s4, v3
	s_mov_b64 s[4:5], 0
                                        ; implicit-def: $sgpr10
	s_and_saveexec_b64 s[6:7], vcc
	s_xor_b64 s[6:7], exec, s[6:7]
	s_cbranch_execnz .LBB31_3825
; %bb.1777:
	s_or_saveexec_b64 s[6:7], s[6:7]
	v_mov_b32_e32 v2, s10
	s_xor_b64 exec, exec, s[6:7]
	s_cbranch_execnz .LBB31_3828
.LBB31_1778:
	s_or_b64 exec, exec, s[6:7]
	s_and_saveexec_b64 s[6:7], s[4:5]
	s_cbranch_execz .LBB31_1780
.LBB31_1779:
	v_bfe_u32 v2, v9, 16, 3
	v_ffbh_u32_e32 v6, v2
	v_min_u32_e32 v6, 32, v6
	v_lshrrev_b32_e32 v3, 19, v9
	v_subrev_u32_e32 v7, 28, v6
	v_and_b32_e32 v3, 15, v3
	v_lshlrev_b32_sdwa v7, v7, v9 dst_sel:DWORD dst_unused:UNUSED_PAD src0_sel:DWORD src1_sel:WORD_1
	v_bfe_u32 v4, v9, 19, 4
	v_sub_u32_e32 v6, 29, v6
	v_and_b32_e32 v7, 7, v7
	v_cmp_eq_u16_e32 vcc, 0, v3
	v_cndmask_b32_e32 v2, v2, v7, vcc
	v_cndmask_b32_e32 v3, v4, v6, vcc
	v_lshlrev_b32_e32 v4, 8, v9
	v_mov_b32_e32 v6, 0x3b800000
	v_lshlrev_b32_e32 v2, 20, v2
	v_and_b32_e32 v4, 0x80000000, v4
	v_lshl_add_u32 v3, v3, 23, v6
	v_or3_b32 v2, v4, v3, v2
.LBB31_1780:
	s_or_b64 exec, exec, s[6:7]
	s_movk_i32 s4, 0xff
	v_and_b32_sdwa v3, v5, s4 dst_sel:DWORD dst_unused:UNUSED_PAD src0_sel:WORD_1 src1_sel:DWORD
	s_movk_i32 s4, 0x7f
	v_cmp_lt_i16_e32 vcc, s4, v3
	s_mov_b64 s[4:5], 0
                                        ; implicit-def: $sgpr10
	s_and_saveexec_b64 s[6:7], vcc
	s_xor_b64 s[6:7], exec, s[6:7]
	s_cbranch_execnz .LBB31_3829
; %bb.1781:
	s_or_saveexec_b64 s[6:7], s[6:7]
	v_mov_b32_e32 v4, s10
	s_xor_b64 exec, exec, s[6:7]
	s_cbranch_execnz .LBB31_3832
.LBB31_1782:
	s_or_b64 exec, exec, s[6:7]
	s_and_saveexec_b64 s[6:7], s[4:5]
	s_cbranch_execz .LBB31_1784
.LBB31_1783:
	v_bfe_u32 v3, v5, 16, 3
	v_ffbh_u32_e32 v7, v3
	v_min_u32_e32 v7, 32, v7
	v_lshrrev_b32_e32 v4, 19, v5
	v_subrev_u32_e32 v8, 28, v7
	v_and_b32_e32 v4, 15, v4
	v_lshlrev_b32_sdwa v8, v8, v5 dst_sel:DWORD dst_unused:UNUSED_PAD src0_sel:DWORD src1_sel:WORD_1
	v_bfe_u32 v6, v5, 19, 4
	v_sub_u32_e32 v7, 29, v7
	v_and_b32_e32 v8, 7, v8
	v_cmp_eq_u16_e32 vcc, 0, v4
	v_cndmask_b32_e32 v3, v3, v8, vcc
	v_cndmask_b32_e32 v4, v6, v7, vcc
	v_lshlrev_b32_e32 v6, 8, v5
	v_mov_b32_e32 v7, 0x3b800000
	v_lshlrev_b32_e32 v3, 20, v3
	v_and_b32_e32 v6, 0x80000000, v6
	v_lshl_add_u32 v4, v4, 23, v7
	v_or3_b32 v4, v6, v4, v3
.LBB31_1784:
	s_or_b64 exec, exec, s[6:7]
	s_nop 0
	v_mfma_f32_16x16x4f32 a[0:3], v2, v4, a[0:3]
	s_movk_i32 s4, 0x7f
	v_cmp_gt_i16_sdwa s[6:7], v9, s4 src0_sel:BYTE_3 src1_sel:DWORD
	s_mov_b64 s[4:5], 0
                                        ; implicit-def: $sgpr10
	s_and_saveexec_b64 s[8:9], s[6:7]
	s_xor_b64 s[6:7], exec, s[8:9]
	s_cbranch_execnz .LBB31_3833
; %bb.1785:
	s_or_saveexec_b64 s[6:7], s[6:7]
	v_mov_b32_e32 v2, s10
	s_xor_b64 exec, exec, s[6:7]
	s_cbranch_execnz .LBB31_3836
.LBB31_1786:
	s_or_b64 exec, exec, s[6:7]
	s_and_saveexec_b64 s[6:7], s[4:5]
	s_cbranch_execz .LBB31_1788
.LBB31_1787:
	v_bfe_u32 v2, v9, 24, 3
	v_ffbh_u32_e32 v7, v2
	v_min_u32_e32 v7, 32, v7
	v_lshrrev_b32_e32 v4, 27, v9
	v_subrev_u32_e32 v8, 28, v7
	v_and_b32_e32 v4, 15, v4
	v_lshlrev_b32_sdwa v8, v8, v9 dst_sel:DWORD dst_unused:UNUSED_PAD src0_sel:DWORD src1_sel:BYTE_3
	v_bfe_u32 v6, v9, 27, 4
	v_sub_u32_e32 v7, 29, v7
	v_and_b32_e32 v8, 7, v8
	v_cmp_eq_u16_e32 vcc, 0, v4
	v_cndmask_b32_e32 v2, v2, v8, vcc
	v_cndmask_b32_e32 v4, v6, v7, vcc
	v_mov_b32_e32 v6, 0x3b800000
	v_and_b32_e32 v3, 0x80000000, v9
	v_lshlrev_b32_e32 v2, 20, v2
	v_lshl_add_u32 v4, v4, 23, v6
	v_or3_b32 v2, v3, v4, v2
.LBB31_1788:
	s_or_b64 exec, exec, s[6:7]
	s_movk_i32 s4, 0x7f
	v_cmp_gt_i16_sdwa s[6:7], v5, s4 src0_sel:BYTE_3 src1_sel:DWORD
	s_mov_b64 s[4:5], 0
                                        ; implicit-def: $sgpr10
	s_and_saveexec_b64 s[8:9], s[6:7]
	s_xor_b64 s[6:7], exec, s[8:9]
	s_cbranch_execnz .LBB31_3837
; %bb.1789:
	s_or_saveexec_b64 s[6:7], s[6:7]
	v_mov_b32_e32 v3, s10
	s_xor_b64 exec, exec, s[6:7]
	s_cbranch_execnz .LBB31_3840
.LBB31_1790:
	s_or_b64 exec, exec, s[6:7]
	s_and_saveexec_b64 s[6:7], s[4:5]
	s_cbranch_execz .LBB31_1792
.LBB31_1791:
	v_bfe_u32 v3, v5, 24, 3
	v_ffbh_u32_e32 v8, v3
	v_min_u32_e32 v8, 32, v8
	v_lshrrev_b32_e32 v6, 27, v5
	v_subrev_u32_e32 v9, 28, v8
	v_and_b32_e32 v4, 0x80000000, v5
	v_and_b32_e32 v6, 15, v6
	v_bfe_u32 v7, v5, 27, 4
	v_lshlrev_b32_sdwa v5, v9, v5 dst_sel:DWORD dst_unused:UNUSED_PAD src0_sel:DWORD src1_sel:BYTE_3
	v_sub_u32_e32 v8, 29, v8
	v_and_b32_e32 v5, 7, v5
	v_cmp_eq_u16_e32 vcc, 0, v6
	v_cndmask_b32_e32 v3, v3, v5, vcc
	v_cndmask_b32_e32 v5, v7, v8, vcc
	v_mov_b32_e32 v6, 0x3b800000
	v_lshlrev_b32_e32 v3, 20, v3
	v_lshl_add_u32 v5, v5, 23, v6
	v_or3_b32 v3, v4, v5, v3
.LBB31_1792:
	s_or_b64 exec, exec, s[6:7]
	s_nop 0
	v_mfma_f32_16x16x4f32 a[0:3], v2, v3, a[0:3]
	s_movk_i32 s4, 0x7f
                                        ; implicit-def: $sgpr10
	s_nop 7
	s_nop 1
	flat_store_dwordx4 v[18:19], a[0:3] offset:480
	flat_load_dwordx4 v[18:21], v[0:1] offset:16
	s_nop 0
	flat_load_dwordx2 v[16:17], v[0:1] offset:32
	s_waitcnt vmcnt(0) lgkmcnt(0)
	flat_load_dwordx4 v[12:15], v[18:19] offset:32
	flat_load_dwordx4 v[4:7], v[18:19] offset:48
	;; [unrolled: 1-line block ×4, first 2 shown]
	s_waitcnt vmcnt(0) lgkmcnt(0)
	v_cmp_gt_i16_sdwa s[6:7], v12, s4 src0_sel:BYTE_0 src1_sel:DWORD
	s_mov_b64 s[4:5], 0
	s_and_saveexec_b64 s[8:9], s[6:7]
	s_xor_b64 s[6:7], exec, s[8:9]
	s_cbranch_execnz .LBB31_3841
; %bb.1793:
	s_or_saveexec_b64 s[6:7], s[6:7]
	v_mov_b32_e32 v18, s10
	s_xor_b64 exec, exec, s[6:7]
	s_cbranch_execnz .LBB31_3844
.LBB31_1794:
	s_or_b64 exec, exec, s[6:7]
	s_and_saveexec_b64 s[6:7], s[4:5]
	s_cbranch_execz .LBB31_1796
.LBB31_1795:
	v_and_b32_e32 v18, 7, v12
	v_ffbh_u32_e32 v20, v18
	v_min_u32_e32 v20, 32, v20
	v_lshrrev_b16_e32 v19, 3, v12
	v_subrev_u32_e32 v21, 28, v20
	v_and_b32_e32 v19, 15, v19
	v_lshlrev_b32_e32 v21, v21, v12
	v_sub_u32_e32 v20, 29, v20
	v_and_b32_e32 v21, 7, v21
	v_cmp_eq_u16_e32 vcc, 0, v19
	v_cndmask_b32_e32 v18, v18, v21, vcc
	v_cndmask_b32_e32 v19, v19, v20, vcc
	v_lshlrev_b32_e32 v20, 24, v12
	v_mov_b32_e32 v21, 0x3b800000
	v_lshlrev_b32_e32 v18, 20, v18
	v_and_b32_e32 v20, 0x80000000, v20
	v_lshl_add_u32 v19, v19, 23, v21
	v_or3_b32 v18, v20, v19, v18
.LBB31_1796:
	s_or_b64 exec, exec, s[6:7]
	s_movk_i32 s4, 0x7f
	v_cmp_gt_i16_sdwa s[6:7], v8, s4 src0_sel:BYTE_0 src1_sel:DWORD
	s_mov_b64 s[4:5], 0
                                        ; implicit-def: $sgpr10
	s_and_saveexec_b64 s[8:9], s[6:7]
	s_xor_b64 s[6:7], exec, s[8:9]
	s_cbranch_execnz .LBB31_3845
; %bb.1797:
	s_or_saveexec_b64 s[6:7], s[6:7]
	v_mov_b32_e32 v19, s10
	s_xor_b64 exec, exec, s[6:7]
	s_cbranch_execnz .LBB31_3848
.LBB31_1798:
	s_or_b64 exec, exec, s[6:7]
	s_and_saveexec_b64 s[6:7], s[4:5]
	s_cbranch_execz .LBB31_1800
.LBB31_1799:
	v_and_b32_e32 v19, 7, v8
	v_ffbh_u32_e32 v21, v19
	v_min_u32_e32 v21, 32, v21
	v_lshrrev_b16_e32 v20, 3, v8
	v_subrev_u32_e32 v22, 28, v21
	v_and_b32_e32 v20, 15, v20
	v_lshlrev_b32_e32 v22, v22, v8
	v_sub_u32_e32 v21, 29, v21
	v_and_b32_e32 v22, 7, v22
	v_cmp_eq_u16_e32 vcc, 0, v20
	v_cndmask_b32_e32 v19, v19, v22, vcc
	v_cndmask_b32_e32 v20, v20, v21, vcc
	v_lshlrev_b32_e32 v21, 24, v8
	v_mov_b32_e32 v22, 0x3b800000
	v_lshlrev_b32_e32 v19, 20, v19
	v_and_b32_e32 v21, 0x80000000, v21
	v_lshl_add_u32 v20, v20, 23, v22
	v_or3_b32 v19, v21, v20, v19
.LBB31_1800:
	s_or_b64 exec, exec, s[6:7]
	flat_load_dwordx4 a[0:3], v[16:17] offset:496
	s_movk_i32 s4, 0x7f
                                        ; implicit-def: $sgpr10
	s_waitcnt vmcnt(0) lgkmcnt(0)
	v_mfma_f32_16x16x4f32 a[0:3], v18, v19, a[0:3]
	v_lshrrev_b32_e32 v19, 8, v12
	v_cmp_gt_i16_sdwa s[6:7], v19, s4 src0_sel:BYTE_0 src1_sel:DWORD
	s_mov_b64 s[4:5], 0
	s_and_saveexec_b64 s[8:9], s[6:7]
	s_xor_b64 s[6:7], exec, s[8:9]
	s_cbranch_execnz .LBB31_3849
; %bb.1801:
	s_or_saveexec_b64 s[6:7], s[6:7]
	v_mov_b32_e32 v18, s10
	s_xor_b64 exec, exec, s[6:7]
	s_cbranch_execnz .LBB31_3852
.LBB31_1802:
	s_or_b64 exec, exec, s[6:7]
	s_and_saveexec_b64 s[6:7], s[4:5]
	s_cbranch_execz .LBB31_1804
.LBB31_1803:
	v_bfe_u32 v18, v12, 8, 3
	v_ffbh_u32_e32 v21, v18
	v_min_u32_e32 v21, 32, v21
	v_lshrrev_b16_e32 v20, 3, v19
	v_subrev_u32_e32 v22, 28, v21
	v_and_b32_e32 v20, 15, v20
	v_lshlrev_b32_e32 v19, v22, v19
	v_sub_u32_e32 v21, 29, v21
	v_and_b32_e32 v19, 7, v19
	v_cmp_eq_u16_e32 vcc, 0, v20
	v_cndmask_b32_e32 v18, v18, v19, vcc
	v_cndmask_b32_e32 v19, v20, v21, vcc
	v_lshlrev_b32_e32 v20, 16, v12
	v_mov_b32_e32 v21, 0x3b800000
	v_lshlrev_b32_e32 v18, 20, v18
	v_and_b32_e32 v20, 0x80000000, v20
	v_lshl_add_u32 v19, v19, 23, v21
	v_or3_b32 v18, v20, v19, v18
.LBB31_1804:
	s_or_b64 exec, exec, s[6:7]
	v_lshrrev_b32_e32 v19, 8, v8
	s_movk_i32 s4, 0x7f
	v_cmp_gt_i16_sdwa s[6:7], v19, s4 src0_sel:BYTE_0 src1_sel:DWORD
	s_mov_b64 s[4:5], 0
                                        ; implicit-def: $sgpr10
	s_and_saveexec_b64 s[8:9], s[6:7]
	s_xor_b64 s[6:7], exec, s[8:9]
	s_cbranch_execnz .LBB31_3853
; %bb.1805:
	s_or_saveexec_b64 s[6:7], s[6:7]
	v_mov_b32_e32 v20, s10
	s_xor_b64 exec, exec, s[6:7]
	s_cbranch_execnz .LBB31_3856
.LBB31_1806:
	s_or_b64 exec, exec, s[6:7]
	s_and_saveexec_b64 s[6:7], s[4:5]
	s_cbranch_execz .LBB31_1808
.LBB31_1807:
	v_bfe_u32 v20, v8, 8, 3
	v_ffbh_u32_e32 v22, v20
	v_min_u32_e32 v22, 32, v22
	v_lshrrev_b16_e32 v21, 3, v19
	v_subrev_u32_e32 v23, 28, v22
	v_and_b32_e32 v21, 15, v21
	v_lshlrev_b32_e32 v19, v23, v19
	v_sub_u32_e32 v22, 29, v22
	v_and_b32_e32 v19, 7, v19
	v_cmp_eq_u16_e32 vcc, 0, v21
	v_cndmask_b32_e32 v19, v20, v19, vcc
	v_cndmask_b32_e32 v20, v21, v22, vcc
	v_lshlrev_b32_e32 v21, 16, v8
	v_mov_b32_e32 v22, 0x3b800000
	v_lshlrev_b32_e32 v19, 20, v19
	v_and_b32_e32 v21, 0x80000000, v21
	v_lshl_add_u32 v20, v20, 23, v22
	v_or3_b32 v20, v21, v20, v19
.LBB31_1808:
	s_or_b64 exec, exec, s[6:7]
	s_nop 0
	v_mfma_f32_16x16x4f32 a[0:3], v18, v20, a[0:3]
	s_movk_i32 s4, 0xff
	v_and_b32_sdwa v19, v12, s4 dst_sel:DWORD dst_unused:UNUSED_PAD src0_sel:WORD_1 src1_sel:DWORD
	s_movk_i32 s4, 0x7f
	v_cmp_lt_i16_e32 vcc, s4, v19
	s_mov_b64 s[4:5], 0
                                        ; implicit-def: $sgpr10
	s_and_saveexec_b64 s[6:7], vcc
	s_xor_b64 s[6:7], exec, s[6:7]
	s_cbranch_execnz .LBB31_3857
; %bb.1809:
	s_or_saveexec_b64 s[6:7], s[6:7]
	v_mov_b32_e32 v18, s10
	s_xor_b64 exec, exec, s[6:7]
	s_cbranch_execnz .LBB31_3860
.LBB31_1810:
	s_or_b64 exec, exec, s[6:7]
	s_and_saveexec_b64 s[6:7], s[4:5]
	s_cbranch_execz .LBB31_1812
.LBB31_1811:
	v_bfe_u32 v18, v12, 16, 3
	v_ffbh_u32_e32 v21, v18
	v_min_u32_e32 v21, 32, v21
	v_lshrrev_b32_e32 v19, 19, v12
	v_subrev_u32_e32 v22, 28, v21
	v_and_b32_e32 v19, 15, v19
	v_lshlrev_b32_sdwa v22, v22, v12 dst_sel:DWORD dst_unused:UNUSED_PAD src0_sel:DWORD src1_sel:WORD_1
	v_bfe_u32 v20, v12, 19, 4
	v_sub_u32_e32 v21, 29, v21
	v_and_b32_e32 v22, 7, v22
	v_cmp_eq_u16_e32 vcc, 0, v19
	v_cndmask_b32_e32 v18, v18, v22, vcc
	v_cndmask_b32_e32 v19, v20, v21, vcc
	v_lshlrev_b32_e32 v20, 8, v12
	v_mov_b32_e32 v21, 0x3b800000
	v_lshlrev_b32_e32 v18, 20, v18
	v_and_b32_e32 v20, 0x80000000, v20
	v_lshl_add_u32 v19, v19, 23, v21
	v_or3_b32 v18, v20, v19, v18
.LBB31_1812:
	s_or_b64 exec, exec, s[6:7]
	s_movk_i32 s4, 0xff
	v_and_b32_sdwa v19, v8, s4 dst_sel:DWORD dst_unused:UNUSED_PAD src0_sel:WORD_1 src1_sel:DWORD
	s_movk_i32 s4, 0x7f
	v_cmp_lt_i16_e32 vcc, s4, v19
	s_mov_b64 s[4:5], 0
                                        ; implicit-def: $sgpr10
	s_and_saveexec_b64 s[6:7], vcc
	s_xor_b64 s[6:7], exec, s[6:7]
	s_cbranch_execnz .LBB31_3861
; %bb.1813:
	s_or_saveexec_b64 s[6:7], s[6:7]
	v_mov_b32_e32 v20, s10
	s_xor_b64 exec, exec, s[6:7]
	s_cbranch_execnz .LBB31_3864
.LBB31_1814:
	s_or_b64 exec, exec, s[6:7]
	s_and_saveexec_b64 s[6:7], s[4:5]
	s_cbranch_execz .LBB31_1816
.LBB31_1815:
	v_bfe_u32 v19, v8, 16, 3
	v_ffbh_u32_e32 v22, v19
	v_min_u32_e32 v22, 32, v22
	v_lshrrev_b32_e32 v20, 19, v8
	v_subrev_u32_e32 v23, 28, v22
	v_and_b32_e32 v20, 15, v20
	v_lshlrev_b32_sdwa v23, v23, v8 dst_sel:DWORD dst_unused:UNUSED_PAD src0_sel:DWORD src1_sel:WORD_1
	v_bfe_u32 v21, v8, 19, 4
	v_sub_u32_e32 v22, 29, v22
	v_and_b32_e32 v23, 7, v23
	v_cmp_eq_u16_e32 vcc, 0, v20
	v_cndmask_b32_e32 v19, v19, v23, vcc
	v_cndmask_b32_e32 v20, v21, v22, vcc
	v_lshlrev_b32_e32 v21, 8, v8
	v_mov_b32_e32 v22, 0x3b800000
	v_lshlrev_b32_e32 v19, 20, v19
	v_and_b32_e32 v21, 0x80000000, v21
	v_lshl_add_u32 v20, v20, 23, v22
	v_or3_b32 v20, v21, v20, v19
.LBB31_1816:
	s_or_b64 exec, exec, s[6:7]
	s_nop 0
	v_mfma_f32_16x16x4f32 a[0:3], v18, v20, a[0:3]
	s_movk_i32 s4, 0x7f
	v_cmp_gt_i16_sdwa s[6:7], v12, s4 src0_sel:BYTE_3 src1_sel:DWORD
	s_mov_b64 s[4:5], 0
                                        ; implicit-def: $sgpr10
	s_and_saveexec_b64 s[8:9], s[6:7]
	s_xor_b64 s[6:7], exec, s[8:9]
	s_cbranch_execnz .LBB31_3865
; %bb.1817:
	s_or_saveexec_b64 s[6:7], s[6:7]
	v_mov_b32_e32 v18, s10
	s_xor_b64 exec, exec, s[6:7]
	s_cbranch_execnz .LBB31_3868
.LBB31_1818:
	s_or_b64 exec, exec, s[6:7]
	s_and_saveexec_b64 s[6:7], s[4:5]
	s_cbranch_execz .LBB31_1820
.LBB31_1819:
	v_bfe_u32 v18, v12, 24, 3
	v_ffbh_u32_e32 v22, v18
	v_min_u32_e32 v22, 32, v22
	v_lshrrev_b32_e32 v20, 27, v12
	v_subrev_u32_e32 v23, 28, v22
	v_and_b32_e32 v19, 0x80000000, v12
	v_and_b32_e32 v20, 15, v20
	v_bfe_u32 v21, v12, 27, 4
	v_lshlrev_b32_sdwa v12, v23, v12 dst_sel:DWORD dst_unused:UNUSED_PAD src0_sel:DWORD src1_sel:BYTE_3
	v_sub_u32_e32 v22, 29, v22
	v_and_b32_e32 v12, 7, v12
	v_cmp_eq_u16_e32 vcc, 0, v20
	v_cndmask_b32_e32 v12, v18, v12, vcc
	v_cndmask_b32_e32 v18, v21, v22, vcc
	v_mov_b32_e32 v20, 0x3b800000
	v_lshlrev_b32_e32 v12, 20, v12
	v_lshl_add_u32 v18, v18, 23, v20
	v_or3_b32 v18, v19, v18, v12
.LBB31_1820:
	s_or_b64 exec, exec, s[6:7]
	s_movk_i32 s4, 0x7f
	v_cmp_gt_i16_sdwa s[6:7], v8, s4 src0_sel:BYTE_3 src1_sel:DWORD
	s_mov_b64 s[4:5], 0
                                        ; implicit-def: $sgpr10
	s_and_saveexec_b64 s[8:9], s[6:7]
	s_xor_b64 s[6:7], exec, s[8:9]
	s_cbranch_execnz .LBB31_3869
; %bb.1821:
	s_or_saveexec_b64 s[6:7], s[6:7]
	v_mov_b32_e32 v12, s10
	s_xor_b64 exec, exec, s[6:7]
	s_cbranch_execnz .LBB31_3872
.LBB31_1822:
	s_or_b64 exec, exec, s[6:7]
	s_and_saveexec_b64 s[6:7], s[4:5]
	s_cbranch_execz .LBB31_1824
.LBB31_1823:
	v_bfe_u32 v12, v8, 24, 3
	v_ffbh_u32_e32 v22, v12
	v_min_u32_e32 v22, 32, v22
	v_lshrrev_b32_e32 v20, 27, v8
	v_subrev_u32_e32 v23, 28, v22
	v_and_b32_e32 v19, 0x80000000, v8
	v_and_b32_e32 v20, 15, v20
	v_bfe_u32 v21, v8, 27, 4
	v_lshlrev_b32_sdwa v8, v23, v8 dst_sel:DWORD dst_unused:UNUSED_PAD src0_sel:DWORD src1_sel:BYTE_3
	v_sub_u32_e32 v22, 29, v22
	v_and_b32_e32 v8, 7, v8
	v_cmp_eq_u16_e32 vcc, 0, v20
	v_cndmask_b32_e32 v8, v12, v8, vcc
	v_cndmask_b32_e32 v12, v21, v22, vcc
	v_mov_b32_e32 v20, 0x3b800000
	v_lshlrev_b32_e32 v8, 20, v8
	v_lshl_add_u32 v12, v12, 23, v20
	v_or3_b32 v12, v19, v12, v8
.LBB31_1824:
	s_or_b64 exec, exec, s[6:7]
	s_nop 0
	v_mfma_f32_16x16x4f32 a[0:3], v18, v12, a[0:3]
	s_movk_i32 s4, 0x7f
	v_cmp_gt_i16_sdwa s[6:7], v13, s4 src0_sel:BYTE_0 src1_sel:DWORD
	s_mov_b64 s[4:5], 0
                                        ; implicit-def: $sgpr10
	s_and_saveexec_b64 s[8:9], s[6:7]
	s_xor_b64 s[6:7], exec, s[8:9]
	s_cbranch_execnz .LBB31_3873
; %bb.1825:
	s_or_saveexec_b64 s[6:7], s[6:7]
	v_mov_b32_e32 v8, s10
	s_xor_b64 exec, exec, s[6:7]
	s_cbranch_execnz .LBB31_3876
.LBB31_1826:
	s_or_b64 exec, exec, s[6:7]
	s_and_saveexec_b64 s[6:7], s[4:5]
	s_cbranch_execz .LBB31_1828
.LBB31_1827:
	v_and_b32_e32 v8, 7, v13
	v_ffbh_u32_e32 v18, v8
	v_min_u32_e32 v18, 32, v18
	v_lshrrev_b16_e32 v12, 3, v13
	v_subrev_u32_e32 v19, 28, v18
	v_and_b32_e32 v12, 15, v12
	v_lshlrev_b32_e32 v19, v19, v13
	v_sub_u32_e32 v18, 29, v18
	v_and_b32_e32 v19, 7, v19
	v_cmp_eq_u16_e32 vcc, 0, v12
	v_cndmask_b32_e32 v8, v8, v19, vcc
	v_cndmask_b32_e32 v12, v12, v18, vcc
	v_lshlrev_b32_e32 v18, 24, v13
	v_mov_b32_e32 v19, 0x3b800000
	v_lshlrev_b32_e32 v8, 20, v8
	v_and_b32_e32 v18, 0x80000000, v18
	v_lshl_add_u32 v12, v12, 23, v19
	v_or3_b32 v8, v18, v12, v8
.LBB31_1828:
	s_or_b64 exec, exec, s[6:7]
	s_movk_i32 s4, 0x7f
	v_cmp_gt_i16_sdwa s[6:7], v9, s4 src0_sel:BYTE_0 src1_sel:DWORD
	s_mov_b64 s[4:5], 0
                                        ; implicit-def: $sgpr10
	s_and_saveexec_b64 s[8:9], s[6:7]
	s_xor_b64 s[6:7], exec, s[8:9]
	s_cbranch_execnz .LBB31_3877
; %bb.1829:
	s_or_saveexec_b64 s[6:7], s[6:7]
	v_mov_b32_e32 v12, s10
	s_xor_b64 exec, exec, s[6:7]
	s_cbranch_execnz .LBB31_3880
.LBB31_1830:
	s_or_b64 exec, exec, s[6:7]
	s_and_saveexec_b64 s[6:7], s[4:5]
	s_cbranch_execz .LBB31_1832
.LBB31_1831:
	v_and_b32_e32 v12, 7, v9
	v_ffbh_u32_e32 v19, v12
	v_min_u32_e32 v19, 32, v19
	v_lshrrev_b16_e32 v18, 3, v9
	v_subrev_u32_e32 v20, 28, v19
	v_and_b32_e32 v18, 15, v18
	v_lshlrev_b32_e32 v20, v20, v9
	v_sub_u32_e32 v19, 29, v19
	v_and_b32_e32 v20, 7, v20
	v_cmp_eq_u16_e32 vcc, 0, v18
	v_cndmask_b32_e32 v12, v12, v20, vcc
	v_cndmask_b32_e32 v18, v18, v19, vcc
	v_lshlrev_b32_e32 v19, 24, v9
	v_mov_b32_e32 v20, 0x3b800000
	v_lshlrev_b32_e32 v12, 20, v12
	v_and_b32_e32 v19, 0x80000000, v19
	v_lshl_add_u32 v18, v18, 23, v20
	v_or3_b32 v12, v19, v18, v12
.LBB31_1832:
	s_or_b64 exec, exec, s[6:7]
	s_nop 0
	v_mfma_f32_16x16x4f32 a[0:3], v8, v12, a[0:3]
	v_lshrrev_b32_e32 v12, 8, v13
	s_movk_i32 s4, 0x7f
	v_cmp_gt_i16_sdwa s[6:7], v12, s4 src0_sel:BYTE_0 src1_sel:DWORD
	s_mov_b64 s[4:5], 0
                                        ; implicit-def: $sgpr10
	s_and_saveexec_b64 s[8:9], s[6:7]
	s_xor_b64 s[6:7], exec, s[8:9]
	s_cbranch_execnz .LBB31_3881
; %bb.1833:
	s_or_saveexec_b64 s[6:7], s[6:7]
	v_mov_b32_e32 v8, s10
	s_xor_b64 exec, exec, s[6:7]
	s_cbranch_execnz .LBB31_3884
.LBB31_1834:
	s_or_b64 exec, exec, s[6:7]
	s_and_saveexec_b64 s[6:7], s[4:5]
	s_cbranch_execz .LBB31_1836
.LBB31_1835:
	v_bfe_u32 v8, v13, 8, 3
	v_ffbh_u32_e32 v19, v8
	v_min_u32_e32 v19, 32, v19
	v_lshrrev_b16_e32 v18, 3, v12
	v_subrev_u32_e32 v20, 28, v19
	v_and_b32_e32 v18, 15, v18
	v_lshlrev_b32_e32 v12, v20, v12
	v_sub_u32_e32 v19, 29, v19
	v_and_b32_e32 v12, 7, v12
	v_cmp_eq_u16_e32 vcc, 0, v18
	v_cndmask_b32_e32 v8, v8, v12, vcc
	v_cndmask_b32_e32 v12, v18, v19, vcc
	v_lshlrev_b32_e32 v18, 16, v13
	v_mov_b32_e32 v19, 0x3b800000
	v_lshlrev_b32_e32 v8, 20, v8
	v_and_b32_e32 v18, 0x80000000, v18
	v_lshl_add_u32 v12, v12, 23, v19
	v_or3_b32 v8, v18, v12, v8
.LBB31_1836:
	s_or_b64 exec, exec, s[6:7]
	v_lshrrev_b32_e32 v12, 8, v9
	s_movk_i32 s4, 0x7f
	v_cmp_gt_i16_sdwa s[6:7], v12, s4 src0_sel:BYTE_0 src1_sel:DWORD
	s_mov_b64 s[4:5], 0
                                        ; implicit-def: $sgpr10
	s_and_saveexec_b64 s[8:9], s[6:7]
	s_xor_b64 s[6:7], exec, s[8:9]
	s_cbranch_execnz .LBB31_3885
; %bb.1837:
	s_or_saveexec_b64 s[6:7], s[6:7]
	v_mov_b32_e32 v18, s10
	s_xor_b64 exec, exec, s[6:7]
	s_cbranch_execnz .LBB31_3888
.LBB31_1838:
	s_or_b64 exec, exec, s[6:7]
	s_and_saveexec_b64 s[6:7], s[4:5]
	s_cbranch_execz .LBB31_1840
.LBB31_1839:
	v_bfe_u32 v18, v9, 8, 3
	v_ffbh_u32_e32 v20, v18
	v_min_u32_e32 v20, 32, v20
	v_lshrrev_b16_e32 v19, 3, v12
	v_subrev_u32_e32 v21, 28, v20
	v_and_b32_e32 v19, 15, v19
	v_lshlrev_b32_e32 v12, v21, v12
	v_sub_u32_e32 v20, 29, v20
	v_and_b32_e32 v12, 7, v12
	v_cmp_eq_u16_e32 vcc, 0, v19
	v_cndmask_b32_e32 v12, v18, v12, vcc
	v_cndmask_b32_e32 v18, v19, v20, vcc
	v_lshlrev_b32_e32 v19, 16, v9
	v_mov_b32_e32 v20, 0x3b800000
	v_lshlrev_b32_e32 v12, 20, v12
	v_and_b32_e32 v19, 0x80000000, v19
	v_lshl_add_u32 v18, v18, 23, v20
	v_or3_b32 v18, v19, v18, v12
.LBB31_1840:
	s_or_b64 exec, exec, s[6:7]
	s_nop 0
	v_mfma_f32_16x16x4f32 a[0:3], v8, v18, a[0:3]
	s_movk_i32 s4, 0xff
	v_and_b32_sdwa v12, v13, s4 dst_sel:DWORD dst_unused:UNUSED_PAD src0_sel:WORD_1 src1_sel:DWORD
	s_movk_i32 s4, 0x7f
	v_cmp_lt_i16_e32 vcc, s4, v12
	s_mov_b64 s[4:5], 0
                                        ; implicit-def: $sgpr10
	s_and_saveexec_b64 s[6:7], vcc
	s_xor_b64 s[6:7], exec, s[6:7]
	s_cbranch_execnz .LBB31_3889
; %bb.1841:
	s_or_saveexec_b64 s[6:7], s[6:7]
	v_mov_b32_e32 v8, s10
	s_xor_b64 exec, exec, s[6:7]
	s_cbranch_execnz .LBB31_3892
.LBB31_1842:
	s_or_b64 exec, exec, s[6:7]
	s_and_saveexec_b64 s[6:7], s[4:5]
	s_cbranch_execz .LBB31_1844
.LBB31_1843:
	v_bfe_u32 v8, v13, 16, 3
	v_ffbh_u32_e32 v19, v8
	v_min_u32_e32 v19, 32, v19
	v_lshrrev_b32_e32 v12, 19, v13
	v_subrev_u32_e32 v20, 28, v19
	v_and_b32_e32 v12, 15, v12
	v_lshlrev_b32_sdwa v20, v20, v13 dst_sel:DWORD dst_unused:UNUSED_PAD src0_sel:DWORD src1_sel:WORD_1
	v_bfe_u32 v18, v13, 19, 4
	v_sub_u32_e32 v19, 29, v19
	v_and_b32_e32 v20, 7, v20
	v_cmp_eq_u16_e32 vcc, 0, v12
	v_cndmask_b32_e32 v8, v8, v20, vcc
	v_cndmask_b32_e32 v12, v18, v19, vcc
	v_lshlrev_b32_e32 v18, 8, v13
	v_mov_b32_e32 v19, 0x3b800000
	v_lshlrev_b32_e32 v8, 20, v8
	v_and_b32_e32 v18, 0x80000000, v18
	v_lshl_add_u32 v12, v12, 23, v19
	v_or3_b32 v8, v18, v12, v8
.LBB31_1844:
	s_or_b64 exec, exec, s[6:7]
	s_movk_i32 s4, 0xff
	v_and_b32_sdwa v12, v9, s4 dst_sel:DWORD dst_unused:UNUSED_PAD src0_sel:WORD_1 src1_sel:DWORD
	s_movk_i32 s4, 0x7f
	v_cmp_lt_i16_e32 vcc, s4, v12
	s_mov_b64 s[4:5], 0
                                        ; implicit-def: $sgpr10
	s_and_saveexec_b64 s[6:7], vcc
	s_xor_b64 s[6:7], exec, s[6:7]
	s_cbranch_execnz .LBB31_3893
; %bb.1845:
	s_or_saveexec_b64 s[6:7], s[6:7]
	v_mov_b32_e32 v18, s10
	s_xor_b64 exec, exec, s[6:7]
	s_cbranch_execnz .LBB31_3896
.LBB31_1846:
	s_or_b64 exec, exec, s[6:7]
	s_and_saveexec_b64 s[6:7], s[4:5]
	s_cbranch_execz .LBB31_1848
.LBB31_1847:
	v_bfe_u32 v12, v9, 16, 3
	v_ffbh_u32_e32 v20, v12
	v_min_u32_e32 v20, 32, v20
	v_lshrrev_b32_e32 v18, 19, v9
	v_subrev_u32_e32 v21, 28, v20
	v_and_b32_e32 v18, 15, v18
	v_lshlrev_b32_sdwa v21, v21, v9 dst_sel:DWORD dst_unused:UNUSED_PAD src0_sel:DWORD src1_sel:WORD_1
	v_bfe_u32 v19, v9, 19, 4
	v_sub_u32_e32 v20, 29, v20
	v_and_b32_e32 v21, 7, v21
	v_cmp_eq_u16_e32 vcc, 0, v18
	v_cndmask_b32_e32 v12, v12, v21, vcc
	v_cndmask_b32_e32 v18, v19, v20, vcc
	v_lshlrev_b32_e32 v19, 8, v9
	v_mov_b32_e32 v20, 0x3b800000
	v_lshlrev_b32_e32 v12, 20, v12
	v_and_b32_e32 v19, 0x80000000, v19
	v_lshl_add_u32 v18, v18, 23, v20
	v_or3_b32 v18, v19, v18, v12
.LBB31_1848:
	s_or_b64 exec, exec, s[6:7]
	s_nop 0
	v_mfma_f32_16x16x4f32 a[0:3], v8, v18, a[0:3]
	s_movk_i32 s4, 0x7f
	v_cmp_gt_i16_sdwa s[6:7], v13, s4 src0_sel:BYTE_3 src1_sel:DWORD
	s_mov_b64 s[4:5], 0
                                        ; implicit-def: $sgpr10
	s_and_saveexec_b64 s[8:9], s[6:7]
	s_xor_b64 s[6:7], exec, s[8:9]
	s_cbranch_execnz .LBB31_3897
; %bb.1849:
	s_or_saveexec_b64 s[6:7], s[6:7]
	v_mov_b32_e32 v8, s10
	s_xor_b64 exec, exec, s[6:7]
	s_cbranch_execnz .LBB31_3900
.LBB31_1850:
	s_or_b64 exec, exec, s[6:7]
	s_and_saveexec_b64 s[6:7], s[4:5]
	s_cbranch_execz .LBB31_1852
.LBB31_1851:
	v_bfe_u32 v8, v13, 24, 3
	v_ffbh_u32_e32 v20, v8
	v_min_u32_e32 v20, 32, v20
	v_lshrrev_b32_e32 v18, 27, v13
	v_subrev_u32_e32 v21, 28, v20
	v_and_b32_e32 v12, 0x80000000, v13
	v_and_b32_e32 v18, 15, v18
	v_bfe_u32 v19, v13, 27, 4
	v_lshlrev_b32_sdwa v13, v21, v13 dst_sel:DWORD dst_unused:UNUSED_PAD src0_sel:DWORD src1_sel:BYTE_3
	v_sub_u32_e32 v20, 29, v20
	v_and_b32_e32 v13, 7, v13
	v_cmp_eq_u16_e32 vcc, 0, v18
	v_cndmask_b32_e32 v8, v8, v13, vcc
	v_cndmask_b32_e32 v13, v19, v20, vcc
	v_mov_b32_e32 v18, 0x3b800000
	v_lshlrev_b32_e32 v8, 20, v8
	v_lshl_add_u32 v13, v13, 23, v18
	v_or3_b32 v8, v12, v13, v8
.LBB31_1852:
	s_or_b64 exec, exec, s[6:7]
	s_movk_i32 s4, 0x7f
	v_cmp_gt_i16_sdwa s[6:7], v9, s4 src0_sel:BYTE_3 src1_sel:DWORD
	s_mov_b64 s[4:5], 0
                                        ; implicit-def: $sgpr10
	s_and_saveexec_b64 s[8:9], s[6:7]
	s_xor_b64 s[6:7], exec, s[8:9]
	s_cbranch_execnz .LBB31_3901
; %bb.1853:
	s_or_saveexec_b64 s[6:7], s[6:7]
	v_mov_b32_e32 v12, s10
	s_xor_b64 exec, exec, s[6:7]
	s_cbranch_execnz .LBB31_3904
.LBB31_1854:
	s_or_b64 exec, exec, s[6:7]
	s_and_saveexec_b64 s[6:7], s[4:5]
	s_cbranch_execz .LBB31_1856
.LBB31_1855:
	v_bfe_u32 v12, v9, 24, 3
	v_ffbh_u32_e32 v20, v12
	v_min_u32_e32 v20, 32, v20
	v_lshrrev_b32_e32 v18, 27, v9
	v_subrev_u32_e32 v21, 28, v20
	v_and_b32_e32 v13, 0x80000000, v9
	v_and_b32_e32 v18, 15, v18
	v_bfe_u32 v19, v9, 27, 4
	v_lshlrev_b32_sdwa v9, v21, v9 dst_sel:DWORD dst_unused:UNUSED_PAD src0_sel:DWORD src1_sel:BYTE_3
	v_sub_u32_e32 v20, 29, v20
	v_and_b32_e32 v9, 7, v9
	v_cmp_eq_u16_e32 vcc, 0, v18
	v_cndmask_b32_e32 v9, v12, v9, vcc
	v_cndmask_b32_e32 v12, v19, v20, vcc
	v_mov_b32_e32 v18, 0x3b800000
	v_lshlrev_b32_e32 v9, 20, v9
	v_lshl_add_u32 v12, v12, 23, v18
	v_or3_b32 v12, v13, v12, v9
.LBB31_1856:
	s_or_b64 exec, exec, s[6:7]
	s_nop 0
	v_mfma_f32_16x16x4f32 a[0:3], v8, v12, a[0:3]
	s_movk_i32 s4, 0x7f
	v_cmp_gt_i16_sdwa s[6:7], v14, s4 src0_sel:BYTE_0 src1_sel:DWORD
	s_mov_b64 s[4:5], 0
                                        ; implicit-def: $sgpr10
	s_and_saveexec_b64 s[8:9], s[6:7]
	s_xor_b64 s[6:7], exec, s[8:9]
	s_cbranch_execnz .LBB31_3905
; %bb.1857:
	s_or_saveexec_b64 s[6:7], s[6:7]
	v_mov_b32_e32 v8, s10
	s_xor_b64 exec, exec, s[6:7]
	s_cbranch_execnz .LBB31_3908
.LBB31_1858:
	s_or_b64 exec, exec, s[6:7]
	s_and_saveexec_b64 s[6:7], s[4:5]
	s_cbranch_execz .LBB31_1860
.LBB31_1859:
	v_and_b32_e32 v8, 7, v14
	v_ffbh_u32_e32 v12, v8
	v_min_u32_e32 v12, 32, v12
	v_lshrrev_b16_e32 v9, 3, v14
	v_subrev_u32_e32 v13, 28, v12
	v_and_b32_e32 v9, 15, v9
	v_lshlrev_b32_e32 v13, v13, v14
	v_sub_u32_e32 v12, 29, v12
	v_and_b32_e32 v13, 7, v13
	v_cmp_eq_u16_e32 vcc, 0, v9
	v_cndmask_b32_e32 v8, v8, v13, vcc
	v_cndmask_b32_e32 v9, v9, v12, vcc
	v_lshlrev_b32_e32 v12, 24, v14
	v_mov_b32_e32 v13, 0x3b800000
	v_lshlrev_b32_e32 v8, 20, v8
	v_and_b32_e32 v12, 0x80000000, v12
	v_lshl_add_u32 v9, v9, 23, v13
	v_or3_b32 v8, v12, v9, v8
.LBB31_1860:
	s_or_b64 exec, exec, s[6:7]
	s_movk_i32 s4, 0x7f
	v_cmp_gt_i16_sdwa s[6:7], v10, s4 src0_sel:BYTE_0 src1_sel:DWORD
	s_mov_b64 s[4:5], 0
                                        ; implicit-def: $sgpr10
	s_and_saveexec_b64 s[8:9], s[6:7]
	s_xor_b64 s[6:7], exec, s[8:9]
	s_cbranch_execnz .LBB31_3909
; %bb.1861:
	s_or_saveexec_b64 s[6:7], s[6:7]
	v_mov_b32_e32 v9, s10
	s_xor_b64 exec, exec, s[6:7]
	s_cbranch_execnz .LBB31_3912
.LBB31_1862:
	s_or_b64 exec, exec, s[6:7]
	s_and_saveexec_b64 s[6:7], s[4:5]
	s_cbranch_execz .LBB31_1864
.LBB31_1863:
	v_and_b32_e32 v9, 7, v10
	v_ffbh_u32_e32 v13, v9
	v_min_u32_e32 v13, 32, v13
	v_lshrrev_b16_e32 v12, 3, v10
	v_subrev_u32_e32 v18, 28, v13
	v_and_b32_e32 v12, 15, v12
	v_lshlrev_b32_e32 v18, v18, v10
	v_sub_u32_e32 v13, 29, v13
	v_and_b32_e32 v18, 7, v18
	v_cmp_eq_u16_e32 vcc, 0, v12
	v_cndmask_b32_e32 v9, v9, v18, vcc
	v_cndmask_b32_e32 v12, v12, v13, vcc
	v_lshlrev_b32_e32 v13, 24, v10
	v_mov_b32_e32 v18, 0x3b800000
	v_lshlrev_b32_e32 v9, 20, v9
	v_and_b32_e32 v13, 0x80000000, v13
	v_lshl_add_u32 v12, v12, 23, v18
	v_or3_b32 v9, v13, v12, v9
.LBB31_1864:
	s_or_b64 exec, exec, s[6:7]
	s_nop 0
	v_mfma_f32_16x16x4f32 a[0:3], v8, v9, a[0:3]
	v_lshrrev_b32_e32 v9, 8, v14
	s_movk_i32 s4, 0x7f
	v_cmp_gt_i16_sdwa s[6:7], v9, s4 src0_sel:BYTE_0 src1_sel:DWORD
	s_mov_b64 s[4:5], 0
                                        ; implicit-def: $sgpr10
	s_and_saveexec_b64 s[8:9], s[6:7]
	s_xor_b64 s[6:7], exec, s[8:9]
	s_cbranch_execnz .LBB31_3913
; %bb.1865:
	s_or_saveexec_b64 s[6:7], s[6:7]
	v_mov_b32_e32 v8, s10
	s_xor_b64 exec, exec, s[6:7]
	s_cbranch_execnz .LBB31_3916
.LBB31_1866:
	s_or_b64 exec, exec, s[6:7]
	s_and_saveexec_b64 s[6:7], s[4:5]
	s_cbranch_execz .LBB31_1868
.LBB31_1867:
	v_bfe_u32 v8, v14, 8, 3
	v_ffbh_u32_e32 v13, v8
	v_min_u32_e32 v13, 32, v13
	v_lshrrev_b16_e32 v12, 3, v9
	v_subrev_u32_e32 v18, 28, v13
	v_and_b32_e32 v12, 15, v12
	v_lshlrev_b32_e32 v9, v18, v9
	v_sub_u32_e32 v13, 29, v13
	v_and_b32_e32 v9, 7, v9
	v_cmp_eq_u16_e32 vcc, 0, v12
	v_cndmask_b32_e32 v8, v8, v9, vcc
	v_cndmask_b32_e32 v9, v12, v13, vcc
	v_lshlrev_b32_e32 v12, 16, v14
	v_mov_b32_e32 v13, 0x3b800000
	v_lshlrev_b32_e32 v8, 20, v8
	v_and_b32_e32 v12, 0x80000000, v12
	v_lshl_add_u32 v9, v9, 23, v13
	v_or3_b32 v8, v12, v9, v8
.LBB31_1868:
	s_or_b64 exec, exec, s[6:7]
	v_lshrrev_b32_e32 v9, 8, v10
	s_movk_i32 s4, 0x7f
	v_cmp_gt_i16_sdwa s[6:7], v9, s4 src0_sel:BYTE_0 src1_sel:DWORD
	s_mov_b64 s[4:5], 0
                                        ; implicit-def: $sgpr10
	s_and_saveexec_b64 s[8:9], s[6:7]
	s_xor_b64 s[6:7], exec, s[8:9]
	s_cbranch_execnz .LBB31_3917
; %bb.1869:
	s_or_saveexec_b64 s[6:7], s[6:7]
	v_mov_b32_e32 v12, s10
	s_xor_b64 exec, exec, s[6:7]
	s_cbranch_execnz .LBB31_3920
.LBB31_1870:
	s_or_b64 exec, exec, s[6:7]
	s_and_saveexec_b64 s[6:7], s[4:5]
	s_cbranch_execz .LBB31_1872
.LBB31_1871:
	v_bfe_u32 v12, v10, 8, 3
	v_ffbh_u32_e32 v18, v12
	v_min_u32_e32 v18, 32, v18
	v_lshrrev_b16_e32 v13, 3, v9
	v_subrev_u32_e32 v19, 28, v18
	v_and_b32_e32 v13, 15, v13
	v_lshlrev_b32_e32 v9, v19, v9
	v_sub_u32_e32 v18, 29, v18
	v_and_b32_e32 v9, 7, v9
	v_cmp_eq_u16_e32 vcc, 0, v13
	v_cndmask_b32_e32 v9, v12, v9, vcc
	v_cndmask_b32_e32 v12, v13, v18, vcc
	v_lshlrev_b32_e32 v13, 16, v10
	v_mov_b32_e32 v18, 0x3b800000
	v_lshlrev_b32_e32 v9, 20, v9
	v_and_b32_e32 v13, 0x80000000, v13
	v_lshl_add_u32 v12, v12, 23, v18
	v_or3_b32 v12, v13, v12, v9
.LBB31_1872:
	s_or_b64 exec, exec, s[6:7]
	s_nop 0
	v_mfma_f32_16x16x4f32 a[0:3], v8, v12, a[0:3]
	s_movk_i32 s4, 0xff
	v_and_b32_sdwa v9, v14, s4 dst_sel:DWORD dst_unused:UNUSED_PAD src0_sel:WORD_1 src1_sel:DWORD
	s_movk_i32 s4, 0x7f
	v_cmp_lt_i16_e32 vcc, s4, v9
	s_mov_b64 s[4:5], 0
                                        ; implicit-def: $sgpr10
	s_and_saveexec_b64 s[6:7], vcc
	s_xor_b64 s[6:7], exec, s[6:7]
	s_cbranch_execnz .LBB31_3921
; %bb.1873:
	s_or_saveexec_b64 s[6:7], s[6:7]
	v_mov_b32_e32 v8, s10
	s_xor_b64 exec, exec, s[6:7]
	s_cbranch_execnz .LBB31_3924
.LBB31_1874:
	s_or_b64 exec, exec, s[6:7]
	s_and_saveexec_b64 s[6:7], s[4:5]
	s_cbranch_execz .LBB31_1876
.LBB31_1875:
	v_bfe_u32 v8, v14, 16, 3
	v_ffbh_u32_e32 v13, v8
	v_min_u32_e32 v13, 32, v13
	v_lshrrev_b32_e32 v9, 19, v14
	v_subrev_u32_e32 v18, 28, v13
	v_and_b32_e32 v9, 15, v9
	v_lshlrev_b32_sdwa v18, v18, v14 dst_sel:DWORD dst_unused:UNUSED_PAD src0_sel:DWORD src1_sel:WORD_1
	v_bfe_u32 v12, v14, 19, 4
	v_sub_u32_e32 v13, 29, v13
	v_and_b32_e32 v18, 7, v18
	v_cmp_eq_u16_e32 vcc, 0, v9
	v_cndmask_b32_e32 v8, v8, v18, vcc
	v_cndmask_b32_e32 v9, v12, v13, vcc
	v_lshlrev_b32_e32 v12, 8, v14
	v_mov_b32_e32 v13, 0x3b800000
	v_lshlrev_b32_e32 v8, 20, v8
	v_and_b32_e32 v12, 0x80000000, v12
	v_lshl_add_u32 v9, v9, 23, v13
	v_or3_b32 v8, v12, v9, v8
.LBB31_1876:
	s_or_b64 exec, exec, s[6:7]
	s_movk_i32 s4, 0xff
	v_and_b32_sdwa v9, v10, s4 dst_sel:DWORD dst_unused:UNUSED_PAD src0_sel:WORD_1 src1_sel:DWORD
	s_movk_i32 s4, 0x7f
	v_cmp_lt_i16_e32 vcc, s4, v9
	s_mov_b64 s[4:5], 0
                                        ; implicit-def: $sgpr10
	s_and_saveexec_b64 s[6:7], vcc
	s_xor_b64 s[6:7], exec, s[6:7]
	s_cbranch_execnz .LBB31_3925
; %bb.1877:
	s_or_saveexec_b64 s[6:7], s[6:7]
	v_mov_b32_e32 v12, s10
	s_xor_b64 exec, exec, s[6:7]
	s_cbranch_execnz .LBB31_3928
.LBB31_1878:
	s_or_b64 exec, exec, s[6:7]
	s_and_saveexec_b64 s[6:7], s[4:5]
	s_cbranch_execz .LBB31_1880
.LBB31_1879:
	v_bfe_u32 v9, v10, 16, 3
	v_ffbh_u32_e32 v18, v9
	v_min_u32_e32 v18, 32, v18
	v_lshrrev_b32_e32 v12, 19, v10
	v_subrev_u32_e32 v19, 28, v18
	v_and_b32_e32 v12, 15, v12
	v_lshlrev_b32_sdwa v19, v19, v10 dst_sel:DWORD dst_unused:UNUSED_PAD src0_sel:DWORD src1_sel:WORD_1
	v_bfe_u32 v13, v10, 19, 4
	v_sub_u32_e32 v18, 29, v18
	v_and_b32_e32 v19, 7, v19
	v_cmp_eq_u16_e32 vcc, 0, v12
	v_cndmask_b32_e32 v9, v9, v19, vcc
	v_cndmask_b32_e32 v12, v13, v18, vcc
	v_lshlrev_b32_e32 v13, 8, v10
	v_mov_b32_e32 v18, 0x3b800000
	v_lshlrev_b32_e32 v9, 20, v9
	v_and_b32_e32 v13, 0x80000000, v13
	v_lshl_add_u32 v12, v12, 23, v18
	v_or3_b32 v12, v13, v12, v9
.LBB31_1880:
	s_or_b64 exec, exec, s[6:7]
	s_nop 0
	v_mfma_f32_16x16x4f32 a[0:3], v8, v12, a[0:3]
	s_movk_i32 s4, 0x7f
	v_cmp_gt_i16_sdwa s[6:7], v14, s4 src0_sel:BYTE_3 src1_sel:DWORD
	s_mov_b64 s[4:5], 0
                                        ; implicit-def: $sgpr10
	s_and_saveexec_b64 s[8:9], s[6:7]
	s_xor_b64 s[6:7], exec, s[8:9]
	s_cbranch_execnz .LBB31_3929
; %bb.1881:
	s_or_saveexec_b64 s[6:7], s[6:7]
	v_mov_b32_e32 v8, s10
	s_xor_b64 exec, exec, s[6:7]
	s_cbranch_execnz .LBB31_3932
.LBB31_1882:
	s_or_b64 exec, exec, s[6:7]
	s_and_saveexec_b64 s[6:7], s[4:5]
	s_cbranch_execz .LBB31_1884
.LBB31_1883:
	v_bfe_u32 v8, v14, 24, 3
	v_ffbh_u32_e32 v18, v8
	v_min_u32_e32 v18, 32, v18
	v_lshrrev_b32_e32 v12, 27, v14
	v_subrev_u32_e32 v19, 28, v18
	v_and_b32_e32 v9, 0x80000000, v14
	v_and_b32_e32 v12, 15, v12
	v_bfe_u32 v13, v14, 27, 4
	v_lshlrev_b32_sdwa v14, v19, v14 dst_sel:DWORD dst_unused:UNUSED_PAD src0_sel:DWORD src1_sel:BYTE_3
	v_sub_u32_e32 v18, 29, v18
	v_and_b32_e32 v14, 7, v14
	v_cmp_eq_u16_e32 vcc, 0, v12
	v_cndmask_b32_e32 v8, v8, v14, vcc
	v_cndmask_b32_e32 v12, v13, v18, vcc
	v_mov_b32_e32 v13, 0x3b800000
	v_lshlrev_b32_e32 v8, 20, v8
	v_lshl_add_u32 v12, v12, 23, v13
	v_or3_b32 v8, v9, v12, v8
.LBB31_1884:
	s_or_b64 exec, exec, s[6:7]
	s_movk_i32 s4, 0x7f
	v_cmp_gt_i16_sdwa s[6:7], v10, s4 src0_sel:BYTE_3 src1_sel:DWORD
	s_mov_b64 s[4:5], 0
                                        ; implicit-def: $sgpr10
	s_and_saveexec_b64 s[8:9], s[6:7]
	s_xor_b64 s[6:7], exec, s[8:9]
	s_cbranch_execnz .LBB31_3933
; %bb.1885:
	s_or_saveexec_b64 s[6:7], s[6:7]
	v_mov_b32_e32 v9, s10
	s_xor_b64 exec, exec, s[6:7]
	s_cbranch_execnz .LBB31_3936
.LBB31_1886:
	s_or_b64 exec, exec, s[6:7]
	s_and_saveexec_b64 s[6:7], s[4:5]
	s_cbranch_execz .LBB31_1888
.LBB31_1887:
	v_bfe_u32 v9, v10, 24, 3
	v_ffbh_u32_e32 v18, v9
	v_min_u32_e32 v18, 32, v18
	v_lshrrev_b32_e32 v13, 27, v10
	v_subrev_u32_e32 v19, 28, v18
	v_and_b32_e32 v12, 0x80000000, v10
	v_and_b32_e32 v13, 15, v13
	v_bfe_u32 v14, v10, 27, 4
	v_lshlrev_b32_sdwa v10, v19, v10 dst_sel:DWORD dst_unused:UNUSED_PAD src0_sel:DWORD src1_sel:BYTE_3
	v_sub_u32_e32 v18, 29, v18
	v_and_b32_e32 v10, 7, v10
	v_cmp_eq_u16_e32 vcc, 0, v13
	v_cndmask_b32_e32 v9, v9, v10, vcc
	v_cndmask_b32_e32 v10, v14, v18, vcc
	v_mov_b32_e32 v13, 0x3b800000
	v_lshlrev_b32_e32 v9, 20, v9
	v_lshl_add_u32 v10, v10, 23, v13
	v_or3_b32 v9, v12, v10, v9
.LBB31_1888:
	s_or_b64 exec, exec, s[6:7]
	s_nop 0
	v_mfma_f32_16x16x4f32 a[0:3], v8, v9, a[0:3]
	s_movk_i32 s4, 0x7f
	v_cmp_gt_i16_sdwa s[6:7], v15, s4 src0_sel:BYTE_0 src1_sel:DWORD
	s_mov_b64 s[4:5], 0
                                        ; implicit-def: $sgpr10
	s_and_saveexec_b64 s[8:9], s[6:7]
	s_xor_b64 s[6:7], exec, s[8:9]
	s_cbranch_execnz .LBB31_3937
; %bb.1889:
	s_or_saveexec_b64 s[6:7], s[6:7]
	v_mov_b32_e32 v8, s10
	s_xor_b64 exec, exec, s[6:7]
	s_cbranch_execnz .LBB31_3940
.LBB31_1890:
	s_or_b64 exec, exec, s[6:7]
	s_and_saveexec_b64 s[6:7], s[4:5]
	s_cbranch_execz .LBB31_1892
.LBB31_1891:
	v_and_b32_e32 v8, 7, v15
	v_ffbh_u32_e32 v10, v8
	v_min_u32_e32 v10, 32, v10
	v_lshrrev_b16_e32 v9, 3, v15
	v_subrev_u32_e32 v12, 28, v10
	v_and_b32_e32 v9, 15, v9
	v_lshlrev_b32_e32 v12, v12, v15
	v_sub_u32_e32 v10, 29, v10
	v_and_b32_e32 v12, 7, v12
	v_cmp_eq_u16_e32 vcc, 0, v9
	v_cndmask_b32_e32 v8, v8, v12, vcc
	v_cndmask_b32_e32 v9, v9, v10, vcc
	v_lshlrev_b32_e32 v10, 24, v15
	v_mov_b32_e32 v12, 0x3b800000
	v_lshlrev_b32_e32 v8, 20, v8
	v_and_b32_e32 v10, 0x80000000, v10
	v_lshl_add_u32 v9, v9, 23, v12
	v_or3_b32 v8, v10, v9, v8
.LBB31_1892:
	s_or_b64 exec, exec, s[6:7]
	s_movk_i32 s4, 0x7f
	v_cmp_gt_i16_sdwa s[6:7], v11, s4 src0_sel:BYTE_0 src1_sel:DWORD
	s_mov_b64 s[4:5], 0
                                        ; implicit-def: $sgpr10
	s_and_saveexec_b64 s[8:9], s[6:7]
	s_xor_b64 s[6:7], exec, s[8:9]
	s_cbranch_execnz .LBB31_3941
; %bb.1893:
	s_or_saveexec_b64 s[6:7], s[6:7]
	v_mov_b32_e32 v9, s10
	s_xor_b64 exec, exec, s[6:7]
	s_cbranch_execnz .LBB31_3944
.LBB31_1894:
	s_or_b64 exec, exec, s[6:7]
	s_and_saveexec_b64 s[6:7], s[4:5]
	s_cbranch_execz .LBB31_1896
.LBB31_1895:
	v_and_b32_e32 v9, 7, v11
	v_ffbh_u32_e32 v12, v9
	v_min_u32_e32 v12, 32, v12
	v_lshrrev_b16_e32 v10, 3, v11
	v_subrev_u32_e32 v13, 28, v12
	v_and_b32_e32 v10, 15, v10
	v_lshlrev_b32_e32 v13, v13, v11
	v_sub_u32_e32 v12, 29, v12
	v_and_b32_e32 v13, 7, v13
	v_cmp_eq_u16_e32 vcc, 0, v10
	v_cndmask_b32_e32 v9, v9, v13, vcc
	v_cndmask_b32_e32 v10, v10, v12, vcc
	v_lshlrev_b32_e32 v12, 24, v11
	v_mov_b32_e32 v13, 0x3b800000
	v_lshlrev_b32_e32 v9, 20, v9
	v_and_b32_e32 v12, 0x80000000, v12
	v_lshl_add_u32 v10, v10, 23, v13
	v_or3_b32 v9, v12, v10, v9
.LBB31_1896:
	s_or_b64 exec, exec, s[6:7]
	s_nop 0
	v_mfma_f32_16x16x4f32 a[0:3], v8, v9, a[0:3]
	v_lshrrev_b32_e32 v9, 8, v15
	s_movk_i32 s4, 0x7f
	v_cmp_gt_i16_sdwa s[6:7], v9, s4 src0_sel:BYTE_0 src1_sel:DWORD
	s_mov_b64 s[4:5], 0
                                        ; implicit-def: $sgpr10
	s_and_saveexec_b64 s[8:9], s[6:7]
	s_xor_b64 s[6:7], exec, s[8:9]
	s_cbranch_execnz .LBB31_3945
; %bb.1897:
	s_or_saveexec_b64 s[6:7], s[6:7]
	v_mov_b32_e32 v8, s10
	s_xor_b64 exec, exec, s[6:7]
	s_cbranch_execnz .LBB31_3948
.LBB31_1898:
	s_or_b64 exec, exec, s[6:7]
	s_and_saveexec_b64 s[6:7], s[4:5]
	s_cbranch_execz .LBB31_1900
.LBB31_1899:
	v_bfe_u32 v8, v15, 8, 3
	v_ffbh_u32_e32 v12, v8
	v_min_u32_e32 v12, 32, v12
	v_lshrrev_b16_e32 v10, 3, v9
	v_subrev_u32_e32 v13, 28, v12
	v_and_b32_e32 v10, 15, v10
	v_lshlrev_b32_e32 v9, v13, v9
	v_sub_u32_e32 v12, 29, v12
	v_and_b32_e32 v9, 7, v9
	v_cmp_eq_u16_e32 vcc, 0, v10
	v_cndmask_b32_e32 v8, v8, v9, vcc
	v_cndmask_b32_e32 v9, v10, v12, vcc
	v_lshlrev_b32_e32 v10, 16, v15
	v_mov_b32_e32 v12, 0x3b800000
	v_lshlrev_b32_e32 v8, 20, v8
	v_and_b32_e32 v10, 0x80000000, v10
	v_lshl_add_u32 v9, v9, 23, v12
	v_or3_b32 v8, v10, v9, v8
.LBB31_1900:
	s_or_b64 exec, exec, s[6:7]
	v_lshrrev_b32_e32 v9, 8, v11
	s_movk_i32 s4, 0x7f
	v_cmp_gt_i16_sdwa s[6:7], v9, s4 src0_sel:BYTE_0 src1_sel:DWORD
	s_mov_b64 s[4:5], 0
                                        ; implicit-def: $sgpr10
	s_and_saveexec_b64 s[8:9], s[6:7]
	s_xor_b64 s[6:7], exec, s[8:9]
	s_cbranch_execnz .LBB31_3949
; %bb.1901:
	s_or_saveexec_b64 s[6:7], s[6:7]
	v_mov_b32_e32 v10, s10
	s_xor_b64 exec, exec, s[6:7]
	s_cbranch_execnz .LBB31_3952
.LBB31_1902:
	s_or_b64 exec, exec, s[6:7]
	s_and_saveexec_b64 s[6:7], s[4:5]
	s_cbranch_execz .LBB31_1904
.LBB31_1903:
	v_bfe_u32 v10, v11, 8, 3
	v_ffbh_u32_e32 v13, v10
	v_min_u32_e32 v13, 32, v13
	v_lshrrev_b16_e32 v12, 3, v9
	v_subrev_u32_e32 v14, 28, v13
	v_and_b32_e32 v12, 15, v12
	v_lshlrev_b32_e32 v9, v14, v9
	v_sub_u32_e32 v13, 29, v13
	v_and_b32_e32 v9, 7, v9
	v_cmp_eq_u16_e32 vcc, 0, v12
	v_cndmask_b32_e32 v9, v10, v9, vcc
	v_cndmask_b32_e32 v10, v12, v13, vcc
	v_lshlrev_b32_e32 v12, 16, v11
	v_mov_b32_e32 v13, 0x3b800000
	v_lshlrev_b32_e32 v9, 20, v9
	v_and_b32_e32 v12, 0x80000000, v12
	v_lshl_add_u32 v10, v10, 23, v13
	v_or3_b32 v10, v12, v10, v9
.LBB31_1904:
	s_or_b64 exec, exec, s[6:7]
	s_nop 0
	v_mfma_f32_16x16x4f32 a[0:3], v8, v10, a[0:3]
	s_movk_i32 s4, 0xff
	v_and_b32_sdwa v9, v15, s4 dst_sel:DWORD dst_unused:UNUSED_PAD src0_sel:WORD_1 src1_sel:DWORD
	s_movk_i32 s4, 0x7f
	v_cmp_lt_i16_e32 vcc, s4, v9
	s_mov_b64 s[4:5], 0
                                        ; implicit-def: $sgpr10
	s_and_saveexec_b64 s[6:7], vcc
	s_xor_b64 s[6:7], exec, s[6:7]
	s_cbranch_execnz .LBB31_3953
; %bb.1905:
	s_or_saveexec_b64 s[6:7], s[6:7]
	v_mov_b32_e32 v8, s10
	s_xor_b64 exec, exec, s[6:7]
	s_cbranch_execnz .LBB31_3956
.LBB31_1906:
	s_or_b64 exec, exec, s[6:7]
	s_and_saveexec_b64 s[6:7], s[4:5]
	s_cbranch_execz .LBB31_1908
.LBB31_1907:
	v_bfe_u32 v8, v15, 16, 3
	v_ffbh_u32_e32 v12, v8
	v_min_u32_e32 v12, 32, v12
	v_lshrrev_b32_e32 v9, 19, v15
	v_subrev_u32_e32 v13, 28, v12
	v_and_b32_e32 v9, 15, v9
	v_lshlrev_b32_sdwa v13, v13, v15 dst_sel:DWORD dst_unused:UNUSED_PAD src0_sel:DWORD src1_sel:WORD_1
	v_bfe_u32 v10, v15, 19, 4
	v_sub_u32_e32 v12, 29, v12
	v_and_b32_e32 v13, 7, v13
	v_cmp_eq_u16_e32 vcc, 0, v9
	v_cndmask_b32_e32 v8, v8, v13, vcc
	v_cndmask_b32_e32 v9, v10, v12, vcc
	v_lshlrev_b32_e32 v10, 8, v15
	v_mov_b32_e32 v12, 0x3b800000
	v_lshlrev_b32_e32 v8, 20, v8
	v_and_b32_e32 v10, 0x80000000, v10
	v_lshl_add_u32 v9, v9, 23, v12
	v_or3_b32 v8, v10, v9, v8
.LBB31_1908:
	s_or_b64 exec, exec, s[6:7]
	s_movk_i32 s4, 0xff
	v_and_b32_sdwa v9, v11, s4 dst_sel:DWORD dst_unused:UNUSED_PAD src0_sel:WORD_1 src1_sel:DWORD
	s_movk_i32 s4, 0x7f
	v_cmp_lt_i16_e32 vcc, s4, v9
	s_mov_b64 s[4:5], 0
                                        ; implicit-def: $sgpr10
	s_and_saveexec_b64 s[6:7], vcc
	s_xor_b64 s[6:7], exec, s[6:7]
	s_cbranch_execnz .LBB31_3957
; %bb.1909:
	s_or_saveexec_b64 s[6:7], s[6:7]
	v_mov_b32_e32 v10, s10
	s_xor_b64 exec, exec, s[6:7]
	s_cbranch_execnz .LBB31_3960
.LBB31_1910:
	s_or_b64 exec, exec, s[6:7]
	s_and_saveexec_b64 s[6:7], s[4:5]
	s_cbranch_execz .LBB31_1912
.LBB31_1911:
	v_bfe_u32 v9, v11, 16, 3
	v_ffbh_u32_e32 v13, v9
	v_min_u32_e32 v13, 32, v13
	v_lshrrev_b32_e32 v10, 19, v11
	v_subrev_u32_e32 v14, 28, v13
	v_and_b32_e32 v10, 15, v10
	v_lshlrev_b32_sdwa v14, v14, v11 dst_sel:DWORD dst_unused:UNUSED_PAD src0_sel:DWORD src1_sel:WORD_1
	v_bfe_u32 v12, v11, 19, 4
	v_sub_u32_e32 v13, 29, v13
	v_and_b32_e32 v14, 7, v14
	v_cmp_eq_u16_e32 vcc, 0, v10
	v_cndmask_b32_e32 v9, v9, v14, vcc
	v_cndmask_b32_e32 v10, v12, v13, vcc
	v_lshlrev_b32_e32 v12, 8, v11
	v_mov_b32_e32 v13, 0x3b800000
	v_lshlrev_b32_e32 v9, 20, v9
	v_and_b32_e32 v12, 0x80000000, v12
	v_lshl_add_u32 v10, v10, 23, v13
	v_or3_b32 v10, v12, v10, v9
.LBB31_1912:
	s_or_b64 exec, exec, s[6:7]
	s_nop 0
	v_mfma_f32_16x16x4f32 a[0:3], v8, v10, a[0:3]
	s_movk_i32 s4, 0x7f
	v_cmp_gt_i16_sdwa s[6:7], v15, s4 src0_sel:BYTE_3 src1_sel:DWORD
	s_mov_b64 s[4:5], 0
                                        ; implicit-def: $sgpr10
	s_and_saveexec_b64 s[8:9], s[6:7]
	s_xor_b64 s[6:7], exec, s[8:9]
	s_cbranch_execnz .LBB31_3961
; %bb.1913:
	s_or_saveexec_b64 s[6:7], s[6:7]
	v_mov_b32_e32 v8, s10
	s_xor_b64 exec, exec, s[6:7]
	s_cbranch_execnz .LBB31_3964
.LBB31_1914:
	s_or_b64 exec, exec, s[6:7]
	s_and_saveexec_b64 s[6:7], s[4:5]
	s_cbranch_execz .LBB31_1916
.LBB31_1915:
	v_bfe_u32 v8, v15, 24, 3
	v_ffbh_u32_e32 v13, v8
	v_min_u32_e32 v13, 32, v13
	v_lshrrev_b32_e32 v10, 27, v15
	v_subrev_u32_e32 v14, 28, v13
	v_and_b32_e32 v10, 15, v10
	v_lshlrev_b32_sdwa v14, v14, v15 dst_sel:DWORD dst_unused:UNUSED_PAD src0_sel:DWORD src1_sel:BYTE_3
	v_bfe_u32 v12, v15, 27, 4
	v_sub_u32_e32 v13, 29, v13
	v_and_b32_e32 v14, 7, v14
	v_cmp_eq_u16_e32 vcc, 0, v10
	v_cndmask_b32_e32 v8, v8, v14, vcc
	v_cndmask_b32_e32 v10, v12, v13, vcc
	v_mov_b32_e32 v12, 0x3b800000
	v_and_b32_e32 v9, 0x80000000, v15
	v_lshlrev_b32_e32 v8, 20, v8
	v_lshl_add_u32 v10, v10, 23, v12
	v_or3_b32 v8, v9, v10, v8
.LBB31_1916:
	s_or_b64 exec, exec, s[6:7]
	s_movk_i32 s4, 0x7f
	v_cmp_gt_i16_sdwa s[6:7], v11, s4 src0_sel:BYTE_3 src1_sel:DWORD
	s_mov_b64 s[4:5], 0
                                        ; implicit-def: $sgpr10
	s_and_saveexec_b64 s[8:9], s[6:7]
	s_xor_b64 s[6:7], exec, s[8:9]
	s_cbranch_execnz .LBB31_3965
; %bb.1917:
	s_or_saveexec_b64 s[6:7], s[6:7]
	v_mov_b32_e32 v9, s10
	s_xor_b64 exec, exec, s[6:7]
	s_cbranch_execnz .LBB31_3968
.LBB31_1918:
	s_or_b64 exec, exec, s[6:7]
	s_and_saveexec_b64 s[6:7], s[4:5]
	s_cbranch_execz .LBB31_1920
.LBB31_1919:
	v_bfe_u32 v9, v11, 24, 3
	v_ffbh_u32_e32 v14, v9
	v_min_u32_e32 v14, 32, v14
	v_lshrrev_b32_e32 v12, 27, v11
	v_subrev_u32_e32 v15, 28, v14
	v_and_b32_e32 v10, 0x80000000, v11
	v_and_b32_e32 v12, 15, v12
	v_bfe_u32 v13, v11, 27, 4
	v_lshlrev_b32_sdwa v11, v15, v11 dst_sel:DWORD dst_unused:UNUSED_PAD src0_sel:DWORD src1_sel:BYTE_3
	v_sub_u32_e32 v14, 29, v14
	v_and_b32_e32 v11, 7, v11
	v_cmp_eq_u16_e32 vcc, 0, v12
	v_cndmask_b32_e32 v9, v9, v11, vcc
	v_cndmask_b32_e32 v11, v13, v14, vcc
	v_mov_b32_e32 v12, 0x3b800000
	v_lshlrev_b32_e32 v9, 20, v9
	v_lshl_add_u32 v11, v11, 23, v12
	v_or3_b32 v9, v10, v11, v9
.LBB31_1920:
	s_or_b64 exec, exec, s[6:7]
	s_nop 0
	v_mfma_f32_16x16x4f32 a[0:3], v8, v9, a[0:3]
	s_movk_i32 s4, 0x7f
	v_cmp_gt_i16_sdwa s[6:7], v4, s4 src0_sel:BYTE_0 src1_sel:DWORD
	s_mov_b64 s[4:5], 0
                                        ; implicit-def: $sgpr10
	s_and_saveexec_b64 s[8:9], s[6:7]
	s_xor_b64 s[6:7], exec, s[8:9]
	s_cbranch_execnz .LBB31_3969
; %bb.1921:
	s_or_saveexec_b64 s[6:7], s[6:7]
	v_mov_b32_e32 v8, s10
	s_xor_b64 exec, exec, s[6:7]
	s_cbranch_execnz .LBB31_3972
.LBB31_1922:
	s_or_b64 exec, exec, s[6:7]
	s_and_saveexec_b64 s[6:7], s[4:5]
	s_cbranch_execz .LBB31_1924
.LBB31_1923:
	v_and_b32_e32 v8, 7, v4
	v_ffbh_u32_e32 v10, v8
	v_min_u32_e32 v10, 32, v10
	v_lshrrev_b16_e32 v9, 3, v4
	v_subrev_u32_e32 v11, 28, v10
	v_and_b32_e32 v9, 15, v9
	v_lshlrev_b32_e32 v11, v11, v4
	v_sub_u32_e32 v10, 29, v10
	v_and_b32_e32 v11, 7, v11
	v_cmp_eq_u16_e32 vcc, 0, v9
	v_cndmask_b32_e32 v8, v8, v11, vcc
	v_cndmask_b32_e32 v9, v9, v10, vcc
	v_lshlrev_b32_e32 v10, 24, v4
	v_mov_b32_e32 v11, 0x3b800000
	v_lshlrev_b32_e32 v8, 20, v8
	v_and_b32_e32 v10, 0x80000000, v10
	v_lshl_add_u32 v9, v9, 23, v11
	v_or3_b32 v8, v10, v9, v8
.LBB31_1924:
	s_or_b64 exec, exec, s[6:7]
	s_movk_i32 s4, 0x7f
	v_cmp_gt_i16_sdwa s[6:7], v0, s4 src0_sel:BYTE_0 src1_sel:DWORD
	s_mov_b64 s[4:5], 0
                                        ; implicit-def: $sgpr10
	s_and_saveexec_b64 s[8:9], s[6:7]
	s_xor_b64 s[6:7], exec, s[8:9]
	s_cbranch_execnz .LBB31_3973
; %bb.1925:
	s_or_saveexec_b64 s[6:7], s[6:7]
	v_mov_b32_e32 v9, s10
	s_xor_b64 exec, exec, s[6:7]
	s_cbranch_execnz .LBB31_3976
.LBB31_1926:
	s_or_b64 exec, exec, s[6:7]
	s_and_saveexec_b64 s[6:7], s[4:5]
	s_cbranch_execz .LBB31_1928
.LBB31_1927:
	v_and_b32_e32 v9, 7, v0
	v_ffbh_u32_e32 v11, v9
	v_min_u32_e32 v11, 32, v11
	v_lshrrev_b16_e32 v10, 3, v0
	v_subrev_u32_e32 v12, 28, v11
	v_and_b32_e32 v10, 15, v10
	v_lshlrev_b32_e32 v12, v12, v0
	v_sub_u32_e32 v11, 29, v11
	v_and_b32_e32 v12, 7, v12
	v_cmp_eq_u16_e32 vcc, 0, v10
	v_cndmask_b32_e32 v9, v9, v12, vcc
	v_cndmask_b32_e32 v10, v10, v11, vcc
	v_lshlrev_b32_e32 v11, 24, v0
	v_mov_b32_e32 v12, 0x3b800000
	v_lshlrev_b32_e32 v9, 20, v9
	v_and_b32_e32 v11, 0x80000000, v11
	v_lshl_add_u32 v10, v10, 23, v12
	v_or3_b32 v9, v11, v10, v9
.LBB31_1928:
	s_or_b64 exec, exec, s[6:7]
	s_nop 0
	v_mfma_f32_16x16x4f32 a[0:3], v8, v9, a[0:3]
	v_lshrrev_b32_e32 v9, 8, v4
	s_movk_i32 s4, 0x7f
	v_cmp_gt_i16_sdwa s[6:7], v9, s4 src0_sel:BYTE_0 src1_sel:DWORD
	s_mov_b64 s[4:5], 0
                                        ; implicit-def: $sgpr10
	s_and_saveexec_b64 s[8:9], s[6:7]
	s_xor_b64 s[6:7], exec, s[8:9]
	s_cbranch_execnz .LBB31_3977
; %bb.1929:
	s_or_saveexec_b64 s[6:7], s[6:7]
	v_mov_b32_e32 v8, s10
	s_xor_b64 exec, exec, s[6:7]
	s_cbranch_execnz .LBB31_3980
.LBB31_1930:
	s_or_b64 exec, exec, s[6:7]
	s_and_saveexec_b64 s[6:7], s[4:5]
	s_cbranch_execz .LBB31_1932
.LBB31_1931:
	v_bfe_u32 v8, v4, 8, 3
	v_ffbh_u32_e32 v11, v8
	v_min_u32_e32 v11, 32, v11
	v_lshrrev_b16_e32 v10, 3, v9
	v_subrev_u32_e32 v12, 28, v11
	v_and_b32_e32 v10, 15, v10
	v_lshlrev_b32_e32 v9, v12, v9
	v_sub_u32_e32 v11, 29, v11
	v_and_b32_e32 v9, 7, v9
	v_cmp_eq_u16_e32 vcc, 0, v10
	v_cndmask_b32_e32 v8, v8, v9, vcc
	v_cndmask_b32_e32 v9, v10, v11, vcc
	v_lshlrev_b32_e32 v10, 16, v4
	v_mov_b32_e32 v11, 0x3b800000
	v_lshlrev_b32_e32 v8, 20, v8
	v_and_b32_e32 v10, 0x80000000, v10
	v_lshl_add_u32 v9, v9, 23, v11
	v_or3_b32 v8, v10, v9, v8
.LBB31_1932:
	s_or_b64 exec, exec, s[6:7]
	v_lshrrev_b32_e32 v9, 8, v0
	s_movk_i32 s4, 0x7f
	v_cmp_gt_i16_sdwa s[6:7], v9, s4 src0_sel:BYTE_0 src1_sel:DWORD
	s_mov_b64 s[4:5], 0
                                        ; implicit-def: $sgpr10
	s_and_saveexec_b64 s[8:9], s[6:7]
	s_xor_b64 s[6:7], exec, s[8:9]
	s_cbranch_execnz .LBB31_3981
; %bb.1933:
	s_or_saveexec_b64 s[6:7], s[6:7]
	v_mov_b32_e32 v10, s10
	s_xor_b64 exec, exec, s[6:7]
	s_cbranch_execnz .LBB31_3984
.LBB31_1934:
	s_or_b64 exec, exec, s[6:7]
	s_and_saveexec_b64 s[6:7], s[4:5]
	s_cbranch_execz .LBB31_1936
.LBB31_1935:
	v_bfe_u32 v10, v0, 8, 3
	v_ffbh_u32_e32 v12, v10
	v_min_u32_e32 v12, 32, v12
	v_lshrrev_b16_e32 v11, 3, v9
	v_subrev_u32_e32 v13, 28, v12
	v_and_b32_e32 v11, 15, v11
	v_lshlrev_b32_e32 v9, v13, v9
	v_sub_u32_e32 v12, 29, v12
	v_and_b32_e32 v9, 7, v9
	v_cmp_eq_u16_e32 vcc, 0, v11
	v_cndmask_b32_e32 v9, v10, v9, vcc
	v_cndmask_b32_e32 v10, v11, v12, vcc
	v_lshlrev_b32_e32 v11, 16, v0
	v_mov_b32_e32 v12, 0x3b800000
	v_lshlrev_b32_e32 v9, 20, v9
	v_and_b32_e32 v11, 0x80000000, v11
	v_lshl_add_u32 v10, v10, 23, v12
	v_or3_b32 v10, v11, v10, v9
.LBB31_1936:
	s_or_b64 exec, exec, s[6:7]
	s_nop 0
	v_mfma_f32_16x16x4f32 a[0:3], v8, v10, a[0:3]
	s_movk_i32 s4, 0xff
	v_and_b32_sdwa v9, v4, s4 dst_sel:DWORD dst_unused:UNUSED_PAD src0_sel:WORD_1 src1_sel:DWORD
	s_movk_i32 s4, 0x7f
	v_cmp_lt_i16_e32 vcc, s4, v9
	s_mov_b64 s[4:5], 0
                                        ; implicit-def: $sgpr10
	s_and_saveexec_b64 s[6:7], vcc
	s_xor_b64 s[6:7], exec, s[6:7]
	s_cbranch_execnz .LBB31_3985
; %bb.1937:
	s_or_saveexec_b64 s[6:7], s[6:7]
	v_mov_b32_e32 v8, s10
	s_xor_b64 exec, exec, s[6:7]
	s_cbranch_execnz .LBB31_3988
.LBB31_1938:
	s_or_b64 exec, exec, s[6:7]
	s_and_saveexec_b64 s[6:7], s[4:5]
	s_cbranch_execz .LBB31_1940
.LBB31_1939:
	v_bfe_u32 v8, v4, 16, 3
	v_ffbh_u32_e32 v11, v8
	v_min_u32_e32 v11, 32, v11
	v_lshrrev_b32_e32 v9, 19, v4
	v_subrev_u32_e32 v12, 28, v11
	v_and_b32_e32 v9, 15, v9
	v_lshlrev_b32_sdwa v12, v12, v4 dst_sel:DWORD dst_unused:UNUSED_PAD src0_sel:DWORD src1_sel:WORD_1
	v_bfe_u32 v10, v4, 19, 4
	v_sub_u32_e32 v11, 29, v11
	v_and_b32_e32 v12, 7, v12
	v_cmp_eq_u16_e32 vcc, 0, v9
	v_cndmask_b32_e32 v8, v8, v12, vcc
	v_cndmask_b32_e32 v9, v10, v11, vcc
	v_lshlrev_b32_e32 v10, 8, v4
	v_mov_b32_e32 v11, 0x3b800000
	v_lshlrev_b32_e32 v8, 20, v8
	v_and_b32_e32 v10, 0x80000000, v10
	v_lshl_add_u32 v9, v9, 23, v11
	v_or3_b32 v8, v10, v9, v8
.LBB31_1940:
	s_or_b64 exec, exec, s[6:7]
	s_movk_i32 s4, 0xff
	v_and_b32_sdwa v9, v0, s4 dst_sel:DWORD dst_unused:UNUSED_PAD src0_sel:WORD_1 src1_sel:DWORD
	s_movk_i32 s4, 0x7f
	v_cmp_lt_i16_e32 vcc, s4, v9
	s_mov_b64 s[4:5], 0
                                        ; implicit-def: $sgpr10
	s_and_saveexec_b64 s[6:7], vcc
	s_xor_b64 s[6:7], exec, s[6:7]
	s_cbranch_execnz .LBB31_3989
; %bb.1941:
	s_or_saveexec_b64 s[6:7], s[6:7]
	v_mov_b32_e32 v10, s10
	s_xor_b64 exec, exec, s[6:7]
	s_cbranch_execnz .LBB31_3992
.LBB31_1942:
	s_or_b64 exec, exec, s[6:7]
	s_and_saveexec_b64 s[6:7], s[4:5]
	s_cbranch_execz .LBB31_1944
.LBB31_1943:
	v_bfe_u32 v9, v0, 16, 3
	v_ffbh_u32_e32 v12, v9
	v_min_u32_e32 v12, 32, v12
	v_lshrrev_b32_e32 v10, 19, v0
	v_subrev_u32_e32 v13, 28, v12
	v_and_b32_e32 v10, 15, v10
	v_lshlrev_b32_sdwa v13, v13, v0 dst_sel:DWORD dst_unused:UNUSED_PAD src0_sel:DWORD src1_sel:WORD_1
	v_bfe_u32 v11, v0, 19, 4
	v_sub_u32_e32 v12, 29, v12
	v_and_b32_e32 v13, 7, v13
	v_cmp_eq_u16_e32 vcc, 0, v10
	v_cndmask_b32_e32 v9, v9, v13, vcc
	v_cndmask_b32_e32 v10, v11, v12, vcc
	v_lshlrev_b32_e32 v11, 8, v0
	v_mov_b32_e32 v12, 0x3b800000
	v_lshlrev_b32_e32 v9, 20, v9
	v_and_b32_e32 v11, 0x80000000, v11
	v_lshl_add_u32 v10, v10, 23, v12
	v_or3_b32 v10, v11, v10, v9
.LBB31_1944:
	s_or_b64 exec, exec, s[6:7]
	s_nop 0
	v_mfma_f32_16x16x4f32 a[0:3], v8, v10, a[0:3]
	s_movk_i32 s4, 0x7f
	v_cmp_gt_i16_sdwa s[6:7], v4, s4 src0_sel:BYTE_3 src1_sel:DWORD
	s_mov_b64 s[4:5], 0
                                        ; implicit-def: $sgpr10
	s_and_saveexec_b64 s[8:9], s[6:7]
	s_xor_b64 s[6:7], exec, s[8:9]
	s_cbranch_execnz .LBB31_3993
; %bb.1945:
	s_or_saveexec_b64 s[6:7], s[6:7]
	v_mov_b32_e32 v8, s10
	s_xor_b64 exec, exec, s[6:7]
	s_cbranch_execnz .LBB31_3996
.LBB31_1946:
	s_or_b64 exec, exec, s[6:7]
	s_and_saveexec_b64 s[6:7], s[4:5]
	s_cbranch_execz .LBB31_1948
.LBB31_1947:
	v_bfe_u32 v8, v4, 24, 3
	v_ffbh_u32_e32 v12, v8
	v_min_u32_e32 v12, 32, v12
	v_lshrrev_b32_e32 v10, 27, v4
	v_subrev_u32_e32 v13, 28, v12
	v_and_b32_e32 v9, 0x80000000, v4
	v_and_b32_e32 v10, 15, v10
	v_bfe_u32 v11, v4, 27, 4
	v_lshlrev_b32_sdwa v4, v13, v4 dst_sel:DWORD dst_unused:UNUSED_PAD src0_sel:DWORD src1_sel:BYTE_3
	v_sub_u32_e32 v12, 29, v12
	v_and_b32_e32 v4, 7, v4
	v_cmp_eq_u16_e32 vcc, 0, v10
	v_cndmask_b32_e32 v4, v8, v4, vcc
	v_cndmask_b32_e32 v8, v11, v12, vcc
	v_mov_b32_e32 v10, 0x3b800000
	v_lshlrev_b32_e32 v4, 20, v4
	v_lshl_add_u32 v8, v8, 23, v10
	v_or3_b32 v8, v9, v8, v4
.LBB31_1948:
	s_or_b64 exec, exec, s[6:7]
	s_movk_i32 s4, 0x7f
	v_cmp_gt_i16_sdwa s[6:7], v0, s4 src0_sel:BYTE_3 src1_sel:DWORD
	s_mov_b64 s[4:5], 0
                                        ; implicit-def: $sgpr10
	s_and_saveexec_b64 s[8:9], s[6:7]
	s_xor_b64 s[6:7], exec, s[8:9]
	s_cbranch_execnz .LBB31_3997
; %bb.1949:
	s_or_saveexec_b64 s[6:7], s[6:7]
	v_mov_b32_e32 v4, s10
	s_xor_b64 exec, exec, s[6:7]
	s_cbranch_execnz .LBB31_4000
.LBB31_1950:
	s_or_b64 exec, exec, s[6:7]
	s_and_saveexec_b64 s[6:7], s[4:5]
	s_cbranch_execz .LBB31_1952
.LBB31_1951:
	v_bfe_u32 v4, v0, 24, 3
	v_ffbh_u32_e32 v12, v4
	v_min_u32_e32 v12, 32, v12
	v_lshrrev_b32_e32 v10, 27, v0
	v_subrev_u32_e32 v13, 28, v12
	v_and_b32_e32 v9, 0x80000000, v0
	v_and_b32_e32 v10, 15, v10
	v_bfe_u32 v11, v0, 27, 4
	v_lshlrev_b32_sdwa v0, v13, v0 dst_sel:DWORD dst_unused:UNUSED_PAD src0_sel:DWORD src1_sel:BYTE_3
	v_sub_u32_e32 v12, 29, v12
	v_and_b32_e32 v0, 7, v0
	v_cmp_eq_u16_e32 vcc, 0, v10
	v_cndmask_b32_e32 v0, v4, v0, vcc
	v_cndmask_b32_e32 v4, v11, v12, vcc
	v_mov_b32_e32 v10, 0x3b800000
	v_lshlrev_b32_e32 v0, 20, v0
	v_lshl_add_u32 v4, v4, 23, v10
	v_or3_b32 v4, v9, v4, v0
.LBB31_1952:
	s_or_b64 exec, exec, s[6:7]
	s_nop 0
	v_mfma_f32_16x16x4f32 a[0:3], v8, v4, a[0:3]
	s_movk_i32 s4, 0x7f
	v_cmp_gt_i16_sdwa s[6:7], v5, s4 src0_sel:BYTE_0 src1_sel:DWORD
	s_mov_b64 s[4:5], 0
                                        ; implicit-def: $sgpr10
	s_and_saveexec_b64 s[8:9], s[6:7]
	s_xor_b64 s[6:7], exec, s[8:9]
	s_cbranch_execnz .LBB31_4001
; %bb.1953:
	s_or_saveexec_b64 s[6:7], s[6:7]
	v_mov_b32_e32 v0, s10
	s_xor_b64 exec, exec, s[6:7]
	s_cbranch_execnz .LBB31_4004
.LBB31_1954:
	s_or_b64 exec, exec, s[6:7]
	s_and_saveexec_b64 s[6:7], s[4:5]
	s_cbranch_execz .LBB31_1956
.LBB31_1955:
	v_and_b32_e32 v0, 7, v5
	v_ffbh_u32_e32 v8, v0
	v_min_u32_e32 v8, 32, v8
	v_lshrrev_b16_e32 v4, 3, v5
	v_subrev_u32_e32 v9, 28, v8
	v_and_b32_e32 v4, 15, v4
	v_lshlrev_b32_e32 v9, v9, v5
	v_sub_u32_e32 v8, 29, v8
	v_and_b32_e32 v9, 7, v9
	v_cmp_eq_u16_e32 vcc, 0, v4
	v_cndmask_b32_e32 v0, v0, v9, vcc
	v_cndmask_b32_e32 v4, v4, v8, vcc
	v_lshlrev_b32_e32 v8, 24, v5
	v_mov_b32_e32 v9, 0x3b800000
	v_lshlrev_b32_e32 v0, 20, v0
	v_and_b32_e32 v8, 0x80000000, v8
	v_lshl_add_u32 v4, v4, 23, v9
	v_or3_b32 v0, v8, v4, v0
.LBB31_1956:
	s_or_b64 exec, exec, s[6:7]
	s_movk_i32 s4, 0x7f
	v_cmp_gt_i16_sdwa s[6:7], v1, s4 src0_sel:BYTE_0 src1_sel:DWORD
	s_mov_b64 s[4:5], 0
                                        ; implicit-def: $sgpr10
	s_and_saveexec_b64 s[8:9], s[6:7]
	s_xor_b64 s[6:7], exec, s[8:9]
	s_cbranch_execnz .LBB31_4005
; %bb.1957:
	s_or_saveexec_b64 s[6:7], s[6:7]
	v_mov_b32_e32 v4, s10
	s_xor_b64 exec, exec, s[6:7]
	s_cbranch_execnz .LBB31_4008
.LBB31_1958:
	s_or_b64 exec, exec, s[6:7]
	s_and_saveexec_b64 s[6:7], s[4:5]
	s_cbranch_execz .LBB31_1960
.LBB31_1959:
	v_and_b32_e32 v4, 7, v1
	v_ffbh_u32_e32 v9, v4
	v_min_u32_e32 v9, 32, v9
	v_lshrrev_b16_e32 v8, 3, v1
	v_subrev_u32_e32 v10, 28, v9
	v_and_b32_e32 v8, 15, v8
	v_lshlrev_b32_e32 v10, v10, v1
	v_sub_u32_e32 v9, 29, v9
	v_and_b32_e32 v10, 7, v10
	v_cmp_eq_u16_e32 vcc, 0, v8
	v_cndmask_b32_e32 v4, v4, v10, vcc
	v_cndmask_b32_e32 v8, v8, v9, vcc
	v_lshlrev_b32_e32 v9, 24, v1
	v_mov_b32_e32 v10, 0x3b800000
	v_lshlrev_b32_e32 v4, 20, v4
	v_and_b32_e32 v9, 0x80000000, v9
	v_lshl_add_u32 v8, v8, 23, v10
	v_or3_b32 v4, v9, v8, v4
.LBB31_1960:
	s_or_b64 exec, exec, s[6:7]
	s_nop 0
	v_mfma_f32_16x16x4f32 a[0:3], v0, v4, a[0:3]
	v_lshrrev_b32_e32 v4, 8, v5
	s_movk_i32 s4, 0x7f
	v_cmp_gt_i16_sdwa s[6:7], v4, s4 src0_sel:BYTE_0 src1_sel:DWORD
	s_mov_b64 s[4:5], 0
                                        ; implicit-def: $sgpr10
	s_and_saveexec_b64 s[8:9], s[6:7]
	s_xor_b64 s[6:7], exec, s[8:9]
	s_cbranch_execnz .LBB31_4009
; %bb.1961:
	s_or_saveexec_b64 s[6:7], s[6:7]
	v_mov_b32_e32 v0, s10
	s_xor_b64 exec, exec, s[6:7]
	s_cbranch_execnz .LBB31_4012
.LBB31_1962:
	s_or_b64 exec, exec, s[6:7]
	s_and_saveexec_b64 s[6:7], s[4:5]
	s_cbranch_execz .LBB31_1964
.LBB31_1963:
	v_bfe_u32 v0, v5, 8, 3
	v_ffbh_u32_e32 v9, v0
	v_min_u32_e32 v9, 32, v9
	v_lshrrev_b16_e32 v8, 3, v4
	v_subrev_u32_e32 v10, 28, v9
	v_and_b32_e32 v8, 15, v8
	v_lshlrev_b32_e32 v4, v10, v4
	v_sub_u32_e32 v9, 29, v9
	v_and_b32_e32 v4, 7, v4
	v_cmp_eq_u16_e32 vcc, 0, v8
	v_cndmask_b32_e32 v0, v0, v4, vcc
	v_cndmask_b32_e32 v4, v8, v9, vcc
	v_lshlrev_b32_e32 v8, 16, v5
	v_mov_b32_e32 v9, 0x3b800000
	v_lshlrev_b32_e32 v0, 20, v0
	v_and_b32_e32 v8, 0x80000000, v8
	v_lshl_add_u32 v4, v4, 23, v9
	v_or3_b32 v0, v8, v4, v0
.LBB31_1964:
	s_or_b64 exec, exec, s[6:7]
	v_lshrrev_b32_e32 v4, 8, v1
	s_movk_i32 s4, 0x7f
	v_cmp_gt_i16_sdwa s[6:7], v4, s4 src0_sel:BYTE_0 src1_sel:DWORD
	s_mov_b64 s[4:5], 0
                                        ; implicit-def: $sgpr10
	s_and_saveexec_b64 s[8:9], s[6:7]
	s_xor_b64 s[6:7], exec, s[8:9]
	s_cbranch_execnz .LBB31_4013
; %bb.1965:
	s_or_saveexec_b64 s[6:7], s[6:7]
	v_mov_b32_e32 v8, s10
	s_xor_b64 exec, exec, s[6:7]
	s_cbranch_execnz .LBB31_4016
.LBB31_1966:
	s_or_b64 exec, exec, s[6:7]
	s_and_saveexec_b64 s[6:7], s[4:5]
	s_cbranch_execz .LBB31_1968
.LBB31_1967:
	v_bfe_u32 v8, v1, 8, 3
	v_ffbh_u32_e32 v10, v8
	v_min_u32_e32 v10, 32, v10
	v_lshrrev_b16_e32 v9, 3, v4
	v_subrev_u32_e32 v11, 28, v10
	v_and_b32_e32 v9, 15, v9
	v_lshlrev_b32_e32 v4, v11, v4
	v_sub_u32_e32 v10, 29, v10
	v_and_b32_e32 v4, 7, v4
	v_cmp_eq_u16_e32 vcc, 0, v9
	v_cndmask_b32_e32 v4, v8, v4, vcc
	v_cndmask_b32_e32 v8, v9, v10, vcc
	v_lshlrev_b32_e32 v9, 16, v1
	v_mov_b32_e32 v10, 0x3b800000
	v_lshlrev_b32_e32 v4, 20, v4
	v_and_b32_e32 v9, 0x80000000, v9
	v_lshl_add_u32 v8, v8, 23, v10
	v_or3_b32 v8, v9, v8, v4
.LBB31_1968:
	s_or_b64 exec, exec, s[6:7]
	s_nop 0
	v_mfma_f32_16x16x4f32 a[0:3], v0, v8, a[0:3]
	s_movk_i32 s4, 0xff
	v_and_b32_sdwa v4, v5, s4 dst_sel:DWORD dst_unused:UNUSED_PAD src0_sel:WORD_1 src1_sel:DWORD
	s_movk_i32 s4, 0x7f
	v_cmp_lt_i16_e32 vcc, s4, v4
	s_mov_b64 s[4:5], 0
                                        ; implicit-def: $sgpr10
	s_and_saveexec_b64 s[6:7], vcc
	s_xor_b64 s[6:7], exec, s[6:7]
	s_cbranch_execnz .LBB31_4017
; %bb.1969:
	s_or_saveexec_b64 s[6:7], s[6:7]
	v_mov_b32_e32 v0, s10
	s_xor_b64 exec, exec, s[6:7]
	s_cbranch_execnz .LBB31_4020
.LBB31_1970:
	s_or_b64 exec, exec, s[6:7]
	s_and_saveexec_b64 s[6:7], s[4:5]
	s_cbranch_execz .LBB31_1972
.LBB31_1971:
	v_bfe_u32 v0, v5, 16, 3
	v_ffbh_u32_e32 v9, v0
	v_min_u32_e32 v9, 32, v9
	v_lshrrev_b32_e32 v4, 19, v5
	v_subrev_u32_e32 v10, 28, v9
	v_and_b32_e32 v4, 15, v4
	v_lshlrev_b32_sdwa v10, v10, v5 dst_sel:DWORD dst_unused:UNUSED_PAD src0_sel:DWORD src1_sel:WORD_1
	v_bfe_u32 v8, v5, 19, 4
	v_sub_u32_e32 v9, 29, v9
	v_and_b32_e32 v10, 7, v10
	v_cmp_eq_u16_e32 vcc, 0, v4
	v_cndmask_b32_e32 v0, v0, v10, vcc
	v_cndmask_b32_e32 v4, v8, v9, vcc
	v_lshlrev_b32_e32 v8, 8, v5
	v_mov_b32_e32 v9, 0x3b800000
	v_lshlrev_b32_e32 v0, 20, v0
	v_and_b32_e32 v8, 0x80000000, v8
	v_lshl_add_u32 v4, v4, 23, v9
	v_or3_b32 v0, v8, v4, v0
.LBB31_1972:
	s_or_b64 exec, exec, s[6:7]
	s_movk_i32 s4, 0xff
	v_and_b32_sdwa v4, v1, s4 dst_sel:DWORD dst_unused:UNUSED_PAD src0_sel:WORD_1 src1_sel:DWORD
	s_movk_i32 s4, 0x7f
	v_cmp_lt_i16_e32 vcc, s4, v4
	s_mov_b64 s[4:5], 0
                                        ; implicit-def: $sgpr10
	s_and_saveexec_b64 s[6:7], vcc
	s_xor_b64 s[6:7], exec, s[6:7]
	s_cbranch_execnz .LBB31_4021
; %bb.1973:
	s_or_saveexec_b64 s[6:7], s[6:7]
	v_mov_b32_e32 v8, s10
	s_xor_b64 exec, exec, s[6:7]
	s_cbranch_execnz .LBB31_4024
.LBB31_1974:
	s_or_b64 exec, exec, s[6:7]
	s_and_saveexec_b64 s[6:7], s[4:5]
	s_cbranch_execz .LBB31_1976
.LBB31_1975:
	v_bfe_u32 v4, v1, 16, 3
	v_ffbh_u32_e32 v10, v4
	v_min_u32_e32 v10, 32, v10
	v_lshrrev_b32_e32 v8, 19, v1
	v_subrev_u32_e32 v11, 28, v10
	v_and_b32_e32 v8, 15, v8
	v_lshlrev_b32_sdwa v11, v11, v1 dst_sel:DWORD dst_unused:UNUSED_PAD src0_sel:DWORD src1_sel:WORD_1
	v_bfe_u32 v9, v1, 19, 4
	v_sub_u32_e32 v10, 29, v10
	v_and_b32_e32 v11, 7, v11
	v_cmp_eq_u16_e32 vcc, 0, v8
	v_cndmask_b32_e32 v4, v4, v11, vcc
	v_cndmask_b32_e32 v8, v9, v10, vcc
	v_lshlrev_b32_e32 v9, 8, v1
	v_mov_b32_e32 v10, 0x3b800000
	v_lshlrev_b32_e32 v4, 20, v4
	v_and_b32_e32 v9, 0x80000000, v9
	v_lshl_add_u32 v8, v8, 23, v10
	v_or3_b32 v8, v9, v8, v4
.LBB31_1976:
	s_or_b64 exec, exec, s[6:7]
	s_nop 0
	v_mfma_f32_16x16x4f32 a[0:3], v0, v8, a[0:3]
	s_movk_i32 s4, 0x7f
	v_cmp_gt_i16_sdwa s[6:7], v5, s4 src0_sel:BYTE_3 src1_sel:DWORD
	s_mov_b64 s[4:5], 0
                                        ; implicit-def: $sgpr10
	s_and_saveexec_b64 s[8:9], s[6:7]
	s_xor_b64 s[6:7], exec, s[8:9]
	s_cbranch_execnz .LBB31_4025
; %bb.1977:
	s_or_saveexec_b64 s[6:7], s[6:7]
	v_mov_b32_e32 v0, s10
	s_xor_b64 exec, exec, s[6:7]
	s_cbranch_execnz .LBB31_4028
.LBB31_1978:
	s_or_b64 exec, exec, s[6:7]
	s_and_saveexec_b64 s[6:7], s[4:5]
	s_cbranch_execz .LBB31_1980
.LBB31_1979:
	v_bfe_u32 v0, v5, 24, 3
	v_ffbh_u32_e32 v10, v0
	v_min_u32_e32 v10, 32, v10
	v_lshrrev_b32_e32 v8, 27, v5
	v_subrev_u32_e32 v11, 28, v10
	v_and_b32_e32 v4, 0x80000000, v5
	v_and_b32_e32 v8, 15, v8
	v_bfe_u32 v9, v5, 27, 4
	v_lshlrev_b32_sdwa v5, v11, v5 dst_sel:DWORD dst_unused:UNUSED_PAD src0_sel:DWORD src1_sel:BYTE_3
	v_sub_u32_e32 v10, 29, v10
	v_and_b32_e32 v5, 7, v5
	v_cmp_eq_u16_e32 vcc, 0, v8
	v_cndmask_b32_e32 v0, v0, v5, vcc
	v_cndmask_b32_e32 v5, v9, v10, vcc
	v_mov_b32_e32 v8, 0x3b800000
	v_lshlrev_b32_e32 v0, 20, v0
	v_lshl_add_u32 v5, v5, 23, v8
	v_or3_b32 v0, v4, v5, v0
.LBB31_1980:
	s_or_b64 exec, exec, s[6:7]
	s_movk_i32 s4, 0x7f
	v_cmp_gt_i16_sdwa s[6:7], v1, s4 src0_sel:BYTE_3 src1_sel:DWORD
	s_mov_b64 s[4:5], 0
                                        ; implicit-def: $sgpr10
	s_and_saveexec_b64 s[8:9], s[6:7]
	s_xor_b64 s[6:7], exec, s[8:9]
	s_cbranch_execnz .LBB31_4029
; %bb.1981:
	s_or_saveexec_b64 s[6:7], s[6:7]
	v_mov_b32_e32 v4, s10
	s_xor_b64 exec, exec, s[6:7]
	s_cbranch_execnz .LBB31_4032
.LBB31_1982:
	s_or_b64 exec, exec, s[6:7]
	s_and_saveexec_b64 s[6:7], s[4:5]
	s_cbranch_execz .LBB31_1984
.LBB31_1983:
	v_bfe_u32 v4, v1, 24, 3
	v_ffbh_u32_e32 v10, v4
	v_min_u32_e32 v10, 32, v10
	v_lshrrev_b32_e32 v8, 27, v1
	v_subrev_u32_e32 v11, 28, v10
	v_and_b32_e32 v5, 0x80000000, v1
	v_and_b32_e32 v8, 15, v8
	v_bfe_u32 v9, v1, 27, 4
	v_lshlrev_b32_sdwa v1, v11, v1 dst_sel:DWORD dst_unused:UNUSED_PAD src0_sel:DWORD src1_sel:BYTE_3
	v_sub_u32_e32 v10, 29, v10
	v_and_b32_e32 v1, 7, v1
	v_cmp_eq_u16_e32 vcc, 0, v8
	v_cndmask_b32_e32 v1, v4, v1, vcc
	v_cndmask_b32_e32 v4, v9, v10, vcc
	v_mov_b32_e32 v8, 0x3b800000
	v_lshlrev_b32_e32 v1, 20, v1
	v_lshl_add_u32 v4, v4, 23, v8
	v_or3_b32 v4, v5, v4, v1
.LBB31_1984:
	s_or_b64 exec, exec, s[6:7]
	s_nop 0
	v_mfma_f32_16x16x4f32 a[0:3], v0, v4, a[0:3]
	s_movk_i32 s4, 0x7f
	v_cmp_gt_i16_sdwa s[6:7], v6, s4 src0_sel:BYTE_0 src1_sel:DWORD
	s_mov_b64 s[4:5], 0
                                        ; implicit-def: $sgpr10
	s_and_saveexec_b64 s[8:9], s[6:7]
	s_xor_b64 s[6:7], exec, s[8:9]
	s_cbranch_execnz .LBB31_4033
; %bb.1985:
	s_or_saveexec_b64 s[6:7], s[6:7]
	v_mov_b32_e32 v0, s10
	s_xor_b64 exec, exec, s[6:7]
	s_cbranch_execnz .LBB31_4036
.LBB31_1986:
	s_or_b64 exec, exec, s[6:7]
	s_and_saveexec_b64 s[6:7], s[4:5]
	s_cbranch_execz .LBB31_1988
.LBB31_1987:
	v_and_b32_e32 v0, 7, v6
	v_ffbh_u32_e32 v4, v0
	v_min_u32_e32 v4, 32, v4
	v_lshrrev_b16_e32 v1, 3, v6
	v_subrev_u32_e32 v5, 28, v4
	v_and_b32_e32 v1, 15, v1
	v_lshlrev_b32_e32 v5, v5, v6
	v_sub_u32_e32 v4, 29, v4
	v_and_b32_e32 v5, 7, v5
	v_cmp_eq_u16_e32 vcc, 0, v1
	v_cndmask_b32_e32 v0, v0, v5, vcc
	v_cndmask_b32_e32 v1, v1, v4, vcc
	v_lshlrev_b32_e32 v4, 24, v6
	v_mov_b32_e32 v5, 0x3b800000
	v_lshlrev_b32_e32 v0, 20, v0
	v_and_b32_e32 v4, 0x80000000, v4
	v_lshl_add_u32 v1, v1, 23, v5
	v_or3_b32 v0, v4, v1, v0
.LBB31_1988:
	s_or_b64 exec, exec, s[6:7]
	s_movk_i32 s4, 0x7f
	v_cmp_gt_i16_sdwa s[6:7], v2, s4 src0_sel:BYTE_0 src1_sel:DWORD
	s_mov_b64 s[4:5], 0
                                        ; implicit-def: $sgpr10
	s_and_saveexec_b64 s[8:9], s[6:7]
	s_xor_b64 s[6:7], exec, s[8:9]
	s_cbranch_execnz .LBB31_4037
; %bb.1989:
	s_or_saveexec_b64 s[6:7], s[6:7]
	v_mov_b32_e32 v1, s10
	s_xor_b64 exec, exec, s[6:7]
	s_cbranch_execnz .LBB31_4040
.LBB31_1990:
	s_or_b64 exec, exec, s[6:7]
	s_and_saveexec_b64 s[6:7], s[4:5]
	s_cbranch_execz .LBB31_1992
.LBB31_1991:
	v_and_b32_e32 v1, 7, v2
	v_ffbh_u32_e32 v5, v1
	v_min_u32_e32 v5, 32, v5
	v_lshrrev_b16_e32 v4, 3, v2
	v_subrev_u32_e32 v8, 28, v5
	v_and_b32_e32 v4, 15, v4
	v_lshlrev_b32_e32 v8, v8, v2
	v_sub_u32_e32 v5, 29, v5
	v_and_b32_e32 v8, 7, v8
	v_cmp_eq_u16_e32 vcc, 0, v4
	v_cndmask_b32_e32 v1, v1, v8, vcc
	v_cndmask_b32_e32 v4, v4, v5, vcc
	v_lshlrev_b32_e32 v5, 24, v2
	v_mov_b32_e32 v8, 0x3b800000
	v_lshlrev_b32_e32 v1, 20, v1
	v_and_b32_e32 v5, 0x80000000, v5
	v_lshl_add_u32 v4, v4, 23, v8
	v_or3_b32 v1, v5, v4, v1
.LBB31_1992:
	s_or_b64 exec, exec, s[6:7]
	s_nop 0
	v_mfma_f32_16x16x4f32 a[0:3], v0, v1, a[0:3]
	v_lshrrev_b32_e32 v1, 8, v6
	s_movk_i32 s4, 0x7f
	v_cmp_gt_i16_sdwa s[6:7], v1, s4 src0_sel:BYTE_0 src1_sel:DWORD
	s_mov_b64 s[4:5], 0
                                        ; implicit-def: $sgpr10
	s_and_saveexec_b64 s[8:9], s[6:7]
	s_xor_b64 s[6:7], exec, s[8:9]
	s_cbranch_execnz .LBB31_4041
; %bb.1993:
	s_or_saveexec_b64 s[6:7], s[6:7]
	v_mov_b32_e32 v0, s10
	s_xor_b64 exec, exec, s[6:7]
	s_cbranch_execnz .LBB31_4044
.LBB31_1994:
	s_or_b64 exec, exec, s[6:7]
	s_and_saveexec_b64 s[6:7], s[4:5]
	s_cbranch_execz .LBB31_1996
.LBB31_1995:
	v_bfe_u32 v0, v6, 8, 3
	v_ffbh_u32_e32 v5, v0
	v_min_u32_e32 v5, 32, v5
	v_lshrrev_b16_e32 v4, 3, v1
	v_subrev_u32_e32 v8, 28, v5
	v_and_b32_e32 v4, 15, v4
	v_lshlrev_b32_e32 v1, v8, v1
	v_sub_u32_e32 v5, 29, v5
	v_and_b32_e32 v1, 7, v1
	v_cmp_eq_u16_e32 vcc, 0, v4
	v_cndmask_b32_e32 v0, v0, v1, vcc
	v_cndmask_b32_e32 v1, v4, v5, vcc
	v_lshlrev_b32_e32 v4, 16, v6
	v_mov_b32_e32 v5, 0x3b800000
	v_lshlrev_b32_e32 v0, 20, v0
	v_and_b32_e32 v4, 0x80000000, v4
	v_lshl_add_u32 v1, v1, 23, v5
	v_or3_b32 v0, v4, v1, v0
.LBB31_1996:
	s_or_b64 exec, exec, s[6:7]
	v_lshrrev_b32_e32 v1, 8, v2
	s_movk_i32 s4, 0x7f
	v_cmp_gt_i16_sdwa s[6:7], v1, s4 src0_sel:BYTE_0 src1_sel:DWORD
	s_mov_b64 s[4:5], 0
                                        ; implicit-def: $sgpr10
	s_and_saveexec_b64 s[8:9], s[6:7]
	s_xor_b64 s[6:7], exec, s[8:9]
	s_cbranch_execnz .LBB31_4045
; %bb.1997:
	s_or_saveexec_b64 s[6:7], s[6:7]
	v_mov_b32_e32 v4, s10
	s_xor_b64 exec, exec, s[6:7]
	s_cbranch_execnz .LBB31_4048
.LBB31_1998:
	s_or_b64 exec, exec, s[6:7]
	s_and_saveexec_b64 s[6:7], s[4:5]
	s_cbranch_execz .LBB31_2000
.LBB31_1999:
	v_bfe_u32 v4, v2, 8, 3
	v_ffbh_u32_e32 v8, v4
	v_min_u32_e32 v8, 32, v8
	v_lshrrev_b16_e32 v5, 3, v1
	v_subrev_u32_e32 v9, 28, v8
	v_and_b32_e32 v5, 15, v5
	v_lshlrev_b32_e32 v1, v9, v1
	v_sub_u32_e32 v8, 29, v8
	v_and_b32_e32 v1, 7, v1
	v_cmp_eq_u16_e32 vcc, 0, v5
	v_cndmask_b32_e32 v1, v4, v1, vcc
	v_cndmask_b32_e32 v4, v5, v8, vcc
	v_lshlrev_b32_e32 v5, 16, v2
	v_mov_b32_e32 v8, 0x3b800000
	v_lshlrev_b32_e32 v1, 20, v1
	v_and_b32_e32 v5, 0x80000000, v5
	v_lshl_add_u32 v4, v4, 23, v8
	v_or3_b32 v4, v5, v4, v1
.LBB31_2000:
	s_or_b64 exec, exec, s[6:7]
	s_nop 0
	v_mfma_f32_16x16x4f32 a[0:3], v0, v4, a[0:3]
	s_movk_i32 s4, 0xff
	v_and_b32_sdwa v1, v6, s4 dst_sel:DWORD dst_unused:UNUSED_PAD src0_sel:WORD_1 src1_sel:DWORD
	s_movk_i32 s4, 0x7f
	v_cmp_lt_i16_e32 vcc, s4, v1
	s_mov_b64 s[4:5], 0
                                        ; implicit-def: $sgpr10
	s_and_saveexec_b64 s[6:7], vcc
	s_xor_b64 s[6:7], exec, s[6:7]
	s_cbranch_execnz .LBB31_4049
; %bb.2001:
	s_or_saveexec_b64 s[6:7], s[6:7]
	v_mov_b32_e32 v0, s10
	s_xor_b64 exec, exec, s[6:7]
	s_cbranch_execnz .LBB31_4052
.LBB31_2002:
	s_or_b64 exec, exec, s[6:7]
	s_and_saveexec_b64 s[6:7], s[4:5]
	s_cbranch_execz .LBB31_2004
.LBB31_2003:
	v_bfe_u32 v0, v6, 16, 3
	v_ffbh_u32_e32 v5, v0
	v_min_u32_e32 v5, 32, v5
	v_lshrrev_b32_e32 v1, 19, v6
	v_subrev_u32_e32 v8, 28, v5
	v_and_b32_e32 v1, 15, v1
	v_lshlrev_b32_sdwa v8, v8, v6 dst_sel:DWORD dst_unused:UNUSED_PAD src0_sel:DWORD src1_sel:WORD_1
	v_bfe_u32 v4, v6, 19, 4
	v_sub_u32_e32 v5, 29, v5
	v_and_b32_e32 v8, 7, v8
	v_cmp_eq_u16_e32 vcc, 0, v1
	v_cndmask_b32_e32 v0, v0, v8, vcc
	v_cndmask_b32_e32 v1, v4, v5, vcc
	v_lshlrev_b32_e32 v4, 8, v6
	v_mov_b32_e32 v5, 0x3b800000
	v_lshlrev_b32_e32 v0, 20, v0
	v_and_b32_e32 v4, 0x80000000, v4
	v_lshl_add_u32 v1, v1, 23, v5
	v_or3_b32 v0, v4, v1, v0
.LBB31_2004:
	s_or_b64 exec, exec, s[6:7]
	s_movk_i32 s4, 0xff
	v_and_b32_sdwa v1, v2, s4 dst_sel:DWORD dst_unused:UNUSED_PAD src0_sel:WORD_1 src1_sel:DWORD
	s_movk_i32 s4, 0x7f
	v_cmp_lt_i16_e32 vcc, s4, v1
	s_mov_b64 s[4:5], 0
                                        ; implicit-def: $sgpr10
	s_and_saveexec_b64 s[6:7], vcc
	s_xor_b64 s[6:7], exec, s[6:7]
	s_cbranch_execnz .LBB31_4053
; %bb.2005:
	s_or_saveexec_b64 s[6:7], s[6:7]
	v_mov_b32_e32 v4, s10
	s_xor_b64 exec, exec, s[6:7]
	s_cbranch_execnz .LBB31_4056
.LBB31_2006:
	s_or_b64 exec, exec, s[6:7]
	s_and_saveexec_b64 s[6:7], s[4:5]
	s_cbranch_execz .LBB31_2008
.LBB31_2007:
	v_bfe_u32 v1, v2, 16, 3
	v_ffbh_u32_e32 v8, v1
	v_min_u32_e32 v8, 32, v8
	v_lshrrev_b32_e32 v4, 19, v2
	v_subrev_u32_e32 v9, 28, v8
	v_and_b32_e32 v4, 15, v4
	v_lshlrev_b32_sdwa v9, v9, v2 dst_sel:DWORD dst_unused:UNUSED_PAD src0_sel:DWORD src1_sel:WORD_1
	v_bfe_u32 v5, v2, 19, 4
	v_sub_u32_e32 v8, 29, v8
	v_and_b32_e32 v9, 7, v9
	v_cmp_eq_u16_e32 vcc, 0, v4
	v_cndmask_b32_e32 v1, v1, v9, vcc
	v_cndmask_b32_e32 v4, v5, v8, vcc
	v_lshlrev_b32_e32 v5, 8, v2
	v_mov_b32_e32 v8, 0x3b800000
	v_lshlrev_b32_e32 v1, 20, v1
	v_and_b32_e32 v5, 0x80000000, v5
	v_lshl_add_u32 v4, v4, 23, v8
	v_or3_b32 v4, v5, v4, v1
.LBB31_2008:
	s_or_b64 exec, exec, s[6:7]
	s_nop 0
	v_mfma_f32_16x16x4f32 a[0:3], v0, v4, a[0:3]
	s_movk_i32 s4, 0x7f
	v_cmp_gt_i16_sdwa s[6:7], v6, s4 src0_sel:BYTE_3 src1_sel:DWORD
	s_mov_b64 s[4:5], 0
                                        ; implicit-def: $sgpr10
	s_and_saveexec_b64 s[8:9], s[6:7]
	s_xor_b64 s[6:7], exec, s[8:9]
	s_cbranch_execnz .LBB31_4057
; %bb.2009:
	s_or_saveexec_b64 s[6:7], s[6:7]
	v_mov_b32_e32 v0, s10
	s_xor_b64 exec, exec, s[6:7]
	s_cbranch_execnz .LBB31_4060
.LBB31_2010:
	s_or_b64 exec, exec, s[6:7]
	s_and_saveexec_b64 s[6:7], s[4:5]
	s_cbranch_execz .LBB31_2012
.LBB31_2011:
	v_bfe_u32 v0, v6, 24, 3
	v_ffbh_u32_e32 v8, v0
	v_min_u32_e32 v8, 32, v8
	v_lshrrev_b32_e32 v4, 27, v6
	v_subrev_u32_e32 v9, 28, v8
	v_and_b32_e32 v1, 0x80000000, v6
	v_and_b32_e32 v4, 15, v4
	v_bfe_u32 v5, v6, 27, 4
	v_lshlrev_b32_sdwa v6, v9, v6 dst_sel:DWORD dst_unused:UNUSED_PAD src0_sel:DWORD src1_sel:BYTE_3
	v_sub_u32_e32 v8, 29, v8
	v_and_b32_e32 v6, 7, v6
	v_cmp_eq_u16_e32 vcc, 0, v4
	v_cndmask_b32_e32 v0, v0, v6, vcc
	v_cndmask_b32_e32 v4, v5, v8, vcc
	v_mov_b32_e32 v5, 0x3b800000
	v_lshlrev_b32_e32 v0, 20, v0
	v_lshl_add_u32 v4, v4, 23, v5
	v_or3_b32 v0, v1, v4, v0
.LBB31_2012:
	s_or_b64 exec, exec, s[6:7]
	s_movk_i32 s4, 0x7f
	v_cmp_gt_i16_sdwa s[6:7], v2, s4 src0_sel:BYTE_3 src1_sel:DWORD
	s_mov_b64 s[4:5], 0
                                        ; implicit-def: $sgpr10
	s_and_saveexec_b64 s[8:9], s[6:7]
	s_xor_b64 s[6:7], exec, s[8:9]
	s_cbranch_execnz .LBB31_4061
; %bb.2013:
	s_or_saveexec_b64 s[6:7], s[6:7]
	v_mov_b32_e32 v1, s10
	s_xor_b64 exec, exec, s[6:7]
	s_cbranch_execnz .LBB31_4064
.LBB31_2014:
	s_or_b64 exec, exec, s[6:7]
	s_and_saveexec_b64 s[6:7], s[4:5]
	s_cbranch_execz .LBB31_2016
.LBB31_2015:
	v_bfe_u32 v1, v2, 24, 3
	v_ffbh_u32_e32 v8, v1
	v_min_u32_e32 v8, 32, v8
	v_lshrrev_b32_e32 v5, 27, v2
	v_subrev_u32_e32 v9, 28, v8
	v_and_b32_e32 v4, 0x80000000, v2
	v_and_b32_e32 v5, 15, v5
	v_bfe_u32 v6, v2, 27, 4
	v_lshlrev_b32_sdwa v2, v9, v2 dst_sel:DWORD dst_unused:UNUSED_PAD src0_sel:DWORD src1_sel:BYTE_3
	v_sub_u32_e32 v8, 29, v8
	v_and_b32_e32 v2, 7, v2
	v_cmp_eq_u16_e32 vcc, 0, v5
	v_cndmask_b32_e32 v1, v1, v2, vcc
	v_cndmask_b32_e32 v2, v6, v8, vcc
	v_mov_b32_e32 v5, 0x3b800000
	v_lshlrev_b32_e32 v1, 20, v1
	v_lshl_add_u32 v2, v2, 23, v5
	v_or3_b32 v1, v4, v2, v1
.LBB31_2016:
	s_or_b64 exec, exec, s[6:7]
	s_nop 0
	v_mfma_f32_16x16x4f32 a[0:3], v0, v1, a[0:3]
	s_movk_i32 s4, 0x7f
	v_cmp_gt_i16_sdwa s[6:7], v7, s4 src0_sel:BYTE_0 src1_sel:DWORD
	s_mov_b64 s[4:5], 0
                                        ; implicit-def: $sgpr10
	s_and_saveexec_b64 s[8:9], s[6:7]
	s_xor_b64 s[6:7], exec, s[8:9]
	s_cbranch_execnz .LBB31_4065
; %bb.2017:
	s_or_saveexec_b64 s[6:7], s[6:7]
	v_mov_b32_e32 v0, s10
	s_xor_b64 exec, exec, s[6:7]
	s_cbranch_execnz .LBB31_4068
.LBB31_2018:
	s_or_b64 exec, exec, s[6:7]
	s_and_saveexec_b64 s[6:7], s[4:5]
	s_cbranch_execz .LBB31_2020
.LBB31_2019:
	v_mov_b32_e32 v0, 8
	v_and_b32_e32 v1, 7, v7
	v_lshrrev_b32_sdwa v0, v0, v7 dst_sel:BYTE_1 dst_unused:UNUSED_PAD src0_sel:DWORD src1_sel:DWORD
	v_ffbh_u32_e32 v2, v1
	v_or_b32_sdwa v0, v7, v0 dst_sel:DWORD dst_unused:UNUSED_PAD src0_sel:BYTE_0 src1_sel:DWORD
	v_min_u32_e32 v2, 32, v2
	v_lshrrev_b16_e32 v0, 3, v0
	v_subrev_u32_e32 v4, 28, v2
	v_and_b32_e32 v0, 15, v0
	v_lshlrev_b32_e32 v4, v4, v7
	v_sub_u32_e32 v2, 29, v2
	v_and_b32_e32 v4, 7, v4
	v_cmp_eq_u16_e32 vcc, 0, v0
	v_cndmask_b32_e32 v1, v1, v4, vcc
	v_cndmask_b32_e32 v0, v0, v2, vcc
	v_lshlrev_b32_e32 v2, 24, v7
	v_mov_b32_e32 v4, 0x3b800000
	v_lshlrev_b32_e32 v1, 20, v1
	v_and_b32_e32 v2, 0x80000000, v2
	v_lshl_add_u32 v0, v0, 23, v4
	v_or3_b32 v0, v2, v0, v1
.LBB31_2020:
	s_or_b64 exec, exec, s[6:7]
	s_movk_i32 s4, 0x7f
	v_cmp_gt_i16_sdwa s[6:7], v3, s4 src0_sel:BYTE_0 src1_sel:DWORD
	s_mov_b64 s[4:5], 0
                                        ; implicit-def: $sgpr10
	s_and_saveexec_b64 s[8:9], s[6:7]
	s_xor_b64 s[6:7], exec, s[8:9]
	s_cbranch_execnz .LBB31_4069
; %bb.2021:
	s_or_saveexec_b64 s[6:7], s[6:7]
	v_mov_b32_e32 v1, s10
	s_xor_b64 exec, exec, s[6:7]
	s_cbranch_execnz .LBB31_4072
.LBB31_2022:
	s_or_b64 exec, exec, s[6:7]
	s_and_saveexec_b64 s[6:7], s[4:5]
	s_cbranch_execz .LBB31_2024
.LBB31_2023:
	v_mov_b32_e32 v1, 8
	v_and_b32_e32 v2, 7, v3
	v_lshrrev_b32_sdwa v1, v1, v3 dst_sel:BYTE_1 dst_unused:UNUSED_PAD src0_sel:DWORD src1_sel:DWORD
	v_ffbh_u32_e32 v4, v2
	v_or_b32_sdwa v1, v3, v1 dst_sel:DWORD dst_unused:UNUSED_PAD src0_sel:BYTE_0 src1_sel:DWORD
	v_min_u32_e32 v4, 32, v4
	v_lshrrev_b16_e32 v1, 3, v1
	v_subrev_u32_e32 v5, 28, v4
	v_and_b32_e32 v1, 15, v1
	v_lshlrev_b32_e32 v5, v5, v3
	v_sub_u32_e32 v4, 29, v4
	v_and_b32_e32 v5, 7, v5
	v_cmp_eq_u16_e32 vcc, 0, v1
	v_cndmask_b32_e32 v2, v2, v5, vcc
	v_cndmask_b32_e32 v1, v1, v4, vcc
	v_lshlrev_b32_e32 v4, 24, v3
	v_mov_b32_e32 v5, 0x3b800000
	v_lshlrev_b32_e32 v2, 20, v2
	v_and_b32_e32 v4, 0x80000000, v4
	v_lshl_add_u32 v1, v1, 23, v5
	v_or3_b32 v1, v4, v1, v2
.LBB31_2024:
	s_or_b64 exec, exec, s[6:7]
	s_nop 0
	v_mfma_f32_16x16x4f32 a[0:3], v0, v1, a[0:3]
	v_lshrrev_b32_e32 v1, 8, v7
	s_movk_i32 s4, 0x7f
	v_cmp_gt_i16_sdwa s[6:7], v1, s4 src0_sel:BYTE_0 src1_sel:DWORD
	s_mov_b64 s[4:5], 0
                                        ; implicit-def: $sgpr10
	s_and_saveexec_b64 s[8:9], s[6:7]
	s_xor_b64 s[6:7], exec, s[8:9]
	s_cbranch_execnz .LBB31_4073
; %bb.2025:
	s_or_saveexec_b64 s[6:7], s[6:7]
	v_mov_b32_e32 v0, s10
	s_xor_b64 exec, exec, s[6:7]
	s_cbranch_execnz .LBB31_4076
.LBB31_2026:
	s_or_b64 exec, exec, s[6:7]
	s_and_saveexec_b64 s[6:7], s[4:5]
	s_cbranch_execz .LBB31_2028
.LBB31_2027:
	v_bfe_u32 v0, v7, 8, 3
	v_ffbh_u32_e32 v4, v0
	v_min_u32_e32 v4, 32, v4
	v_lshrrev_b16_e32 v2, 3, v1
	v_subrev_u32_e32 v5, 28, v4
	v_and_b32_e32 v2, 15, v2
	v_lshlrev_b32_e32 v1, v5, v1
	v_sub_u32_e32 v4, 29, v4
	v_and_b32_e32 v1, 7, v1
	v_cmp_eq_u16_e32 vcc, 0, v2
	v_cndmask_b32_e32 v0, v0, v1, vcc
	v_cndmask_b32_e32 v1, v2, v4, vcc
	v_lshlrev_b32_e32 v2, 16, v7
	v_mov_b32_e32 v4, 0x3b800000
	v_lshlrev_b32_e32 v0, 20, v0
	v_and_b32_e32 v2, 0x80000000, v2
	v_lshl_add_u32 v1, v1, 23, v4
	v_or3_b32 v0, v2, v1, v0
.LBB31_2028:
	s_or_b64 exec, exec, s[6:7]
	v_lshrrev_b32_e32 v1, 8, v3
	s_movk_i32 s4, 0x7f
	v_cmp_gt_i16_sdwa s[6:7], v1, s4 src0_sel:BYTE_0 src1_sel:DWORD
	s_mov_b64 s[4:5], 0
                                        ; implicit-def: $sgpr10
	s_and_saveexec_b64 s[8:9], s[6:7]
	s_xor_b64 s[6:7], exec, s[8:9]
	s_cbranch_execnz .LBB31_4077
; %bb.2029:
	s_or_saveexec_b64 s[6:7], s[6:7]
	v_mov_b32_e32 v2, s10
	s_xor_b64 exec, exec, s[6:7]
	s_cbranch_execnz .LBB31_4080
.LBB31_2030:
	s_or_b64 exec, exec, s[6:7]
	s_and_saveexec_b64 s[6:7], s[4:5]
	s_cbranch_execz .LBB31_2032
.LBB31_2031:
	v_bfe_u32 v2, v3, 8, 3
	v_ffbh_u32_e32 v5, v2
	v_min_u32_e32 v5, 32, v5
	v_lshrrev_b16_e32 v4, 3, v1
	v_subrev_u32_e32 v6, 28, v5
	v_and_b32_e32 v4, 15, v4
	v_lshlrev_b32_e32 v1, v6, v1
	v_sub_u32_e32 v5, 29, v5
	v_and_b32_e32 v1, 7, v1
	v_cmp_eq_u16_e32 vcc, 0, v4
	v_cndmask_b32_e32 v1, v2, v1, vcc
	v_cndmask_b32_e32 v2, v4, v5, vcc
	v_lshlrev_b32_e32 v4, 16, v3
	v_mov_b32_e32 v5, 0x3b800000
	v_lshlrev_b32_e32 v1, 20, v1
	v_and_b32_e32 v4, 0x80000000, v4
	v_lshl_add_u32 v2, v2, 23, v5
	v_or3_b32 v2, v4, v2, v1
.LBB31_2032:
	s_or_b64 exec, exec, s[6:7]
	s_nop 0
	v_mfma_f32_16x16x4f32 a[0:3], v0, v2, a[0:3]
	s_movk_i32 s4, 0xff
	v_and_b32_sdwa v1, v7, s4 dst_sel:DWORD dst_unused:UNUSED_PAD src0_sel:WORD_1 src1_sel:DWORD
	s_movk_i32 s4, 0x7f
	v_cmp_lt_i16_e32 vcc, s4, v1
	s_mov_b64 s[4:5], 0
                                        ; implicit-def: $sgpr10
	s_and_saveexec_b64 s[6:7], vcc
	s_xor_b64 s[6:7], exec, s[6:7]
	s_cbranch_execnz .LBB31_4081
; %bb.2033:
	s_or_saveexec_b64 s[6:7], s[6:7]
	v_mov_b32_e32 v0, s10
	s_xor_b64 exec, exec, s[6:7]
	s_cbranch_execnz .LBB31_4084
.LBB31_2034:
	s_or_b64 exec, exec, s[6:7]
	s_and_saveexec_b64 s[6:7], s[4:5]
	s_cbranch_execz .LBB31_2036
.LBB31_2035:
	v_bfe_u32 v0, v7, 16, 3
	v_ffbh_u32_e32 v4, v0
	v_min_u32_e32 v4, 32, v4
	v_lshrrev_b32_e32 v1, 19, v7
	v_subrev_u32_e32 v5, 28, v4
	v_and_b32_e32 v1, 15, v1
	v_lshlrev_b32_sdwa v5, v5, v7 dst_sel:DWORD dst_unused:UNUSED_PAD src0_sel:DWORD src1_sel:WORD_1
	v_bfe_u32 v2, v7, 19, 4
	v_sub_u32_e32 v4, 29, v4
	v_and_b32_e32 v5, 7, v5
	v_cmp_eq_u16_e32 vcc, 0, v1
	v_cndmask_b32_e32 v0, v0, v5, vcc
	v_cndmask_b32_e32 v1, v2, v4, vcc
	v_lshlrev_b32_e32 v2, 8, v7
	v_mov_b32_e32 v4, 0x3b800000
	v_lshlrev_b32_e32 v0, 20, v0
	v_and_b32_e32 v2, 0x80000000, v2
	v_lshl_add_u32 v1, v1, 23, v4
	v_or3_b32 v0, v2, v1, v0
.LBB31_2036:
	s_or_b64 exec, exec, s[6:7]
	s_movk_i32 s4, 0xff
	v_and_b32_sdwa v1, v3, s4 dst_sel:DWORD dst_unused:UNUSED_PAD src0_sel:WORD_1 src1_sel:DWORD
	s_movk_i32 s4, 0x7f
	v_cmp_lt_i16_e32 vcc, s4, v1
	s_mov_b64 s[4:5], 0
                                        ; implicit-def: $sgpr10
	s_and_saveexec_b64 s[6:7], vcc
	s_xor_b64 s[6:7], exec, s[6:7]
	s_cbranch_execnz .LBB31_4085
; %bb.2037:
	s_or_saveexec_b64 s[6:7], s[6:7]
	v_mov_b32_e32 v2, s10
	s_xor_b64 exec, exec, s[6:7]
	s_cbranch_execnz .LBB31_4088
.LBB31_2038:
	s_or_b64 exec, exec, s[6:7]
	s_and_saveexec_b64 s[6:7], s[4:5]
	s_cbranch_execz .LBB31_2040
.LBB31_2039:
	v_bfe_u32 v1, v3, 16, 3
	v_ffbh_u32_e32 v5, v1
	v_min_u32_e32 v5, 32, v5
	v_lshrrev_b32_e32 v2, 19, v3
	v_subrev_u32_e32 v6, 28, v5
	v_and_b32_e32 v2, 15, v2
	v_lshlrev_b32_sdwa v6, v6, v3 dst_sel:DWORD dst_unused:UNUSED_PAD src0_sel:DWORD src1_sel:WORD_1
	v_bfe_u32 v4, v3, 19, 4
	v_sub_u32_e32 v5, 29, v5
	v_and_b32_e32 v6, 7, v6
	v_cmp_eq_u16_e32 vcc, 0, v2
	v_cndmask_b32_e32 v1, v1, v6, vcc
	v_cndmask_b32_e32 v2, v4, v5, vcc
	v_lshlrev_b32_e32 v4, 8, v3
	v_mov_b32_e32 v5, 0x3b800000
	v_lshlrev_b32_e32 v1, 20, v1
	v_and_b32_e32 v4, 0x80000000, v4
	v_lshl_add_u32 v2, v2, 23, v5
	v_or3_b32 v2, v4, v2, v1
.LBB31_2040:
	s_or_b64 exec, exec, s[6:7]
	s_nop 0
	v_mfma_f32_16x16x4f32 a[0:3], v0, v2, a[0:3]
	s_movk_i32 s4, 0x7f
	v_cmp_gt_i16_sdwa s[6:7], v7, s4 src0_sel:BYTE_3 src1_sel:DWORD
	s_mov_b64 s[4:5], 0
                                        ; implicit-def: $sgpr10
	s_and_saveexec_b64 s[8:9], s[6:7]
	s_xor_b64 s[6:7], exec, s[8:9]
	s_cbranch_execnz .LBB31_4089
; %bb.2041:
	s_or_saveexec_b64 s[6:7], s[6:7]
	v_mov_b32_e32 v0, s10
	s_xor_b64 exec, exec, s[6:7]
	s_cbranch_execnz .LBB31_4092
.LBB31_2042:
	s_or_b64 exec, exec, s[6:7]
	s_and_saveexec_b64 s[6:7], s[4:5]
	s_cbranch_execz .LBB31_2044
.LBB31_2043:
	v_bfe_u32 v0, v7, 24, 3
	v_ffbh_u32_e32 v5, v0
	v_min_u32_e32 v5, 32, v5
	v_lshrrev_b32_e32 v2, 27, v7
	v_subrev_u32_e32 v6, 28, v5
	v_and_b32_e32 v2, 15, v2
	v_lshlrev_b32_sdwa v6, v6, v7 dst_sel:DWORD dst_unused:UNUSED_PAD src0_sel:DWORD src1_sel:BYTE_3
	v_bfe_u32 v4, v7, 27, 4
	v_sub_u32_e32 v5, 29, v5
	v_and_b32_e32 v6, 7, v6
	v_cmp_eq_u16_e32 vcc, 0, v2
	v_cndmask_b32_e32 v0, v0, v6, vcc
	v_cndmask_b32_e32 v2, v4, v5, vcc
	v_mov_b32_e32 v4, 0x3b800000
	v_and_b32_e32 v1, 0x80000000, v7
	v_lshlrev_b32_e32 v0, 20, v0
	v_lshl_add_u32 v2, v2, 23, v4
	v_or3_b32 v0, v1, v2, v0
.LBB31_2044:
	s_or_b64 exec, exec, s[6:7]
	s_movk_i32 s4, 0x7f
	v_cmp_gt_i16_sdwa s[6:7], v3, s4 src0_sel:BYTE_3 src1_sel:DWORD
	s_mov_b64 s[4:5], 0
                                        ; implicit-def: $sgpr10
	s_and_saveexec_b64 s[8:9], s[6:7]
	s_xor_b64 s[6:7], exec, s[8:9]
	s_cbranch_execnz .LBB31_4093
; %bb.2045:
	s_or_saveexec_b64 s[6:7], s[6:7]
	v_mov_b32_e32 v1, s10
	s_xor_b64 exec, exec, s[6:7]
	s_cbranch_execnz .LBB31_4096
.LBB31_2046:
	s_or_b64 exec, exec, s[6:7]
	s_and_saveexec_b64 s[6:7], s[4:5]
	s_cbranch_execz .LBB31_2048
.LBB31_2047:
	v_bfe_u32 v1, v3, 24, 3
	v_ffbh_u32_e32 v6, v1
	v_min_u32_e32 v6, 32, v6
	v_lshrrev_b32_e32 v4, 27, v3
	v_subrev_u32_e32 v7, 28, v6
	v_and_b32_e32 v2, 0x80000000, v3
	v_and_b32_e32 v4, 15, v4
	v_bfe_u32 v5, v3, 27, 4
	v_lshlrev_b32_sdwa v3, v7, v3 dst_sel:DWORD dst_unused:UNUSED_PAD src0_sel:DWORD src1_sel:BYTE_3
	v_sub_u32_e32 v6, 29, v6
	v_and_b32_e32 v3, 7, v3
	v_cmp_eq_u16_e32 vcc, 0, v4
	v_cndmask_b32_e32 v1, v1, v3, vcc
	v_cndmask_b32_e32 v3, v5, v6, vcc
	v_mov_b32_e32 v4, 0x3b800000
	v_lshlrev_b32_e32 v1, 20, v1
	v_lshl_add_u32 v3, v3, 23, v4
	v_or3_b32 v1, v2, v3, v1
.LBB31_2048:
	s_or_b64 exec, exec, s[6:7]
	s_nop 0
	v_mfma_f32_16x16x4f32 a[0:3], v0, v1, a[0:3]
	s_nop 7
	s_nop 2
	flat_store_dwordx4 v[16:17], a[0:3] offset:496
	s_waitcnt vmcnt(0) lgkmcnt(0)
	s_setpc_b64 s[30:31]
.LBB31_2049:
	s_movk_i32 s4, 0x80
	v_cmp_eq_u16_sdwa s[12:13], v14, s4 src0_sel:BYTE_0 src1_sel:DWORD
	s_mov_b64 s[4:5], -1
                                        ; implicit-def: $sgpr10
	s_and_saveexec_b64 s[8:9], s[12:13]
; %bb.2050:
	s_mov_b32 s10, 0x7f800001
	s_xor_b64 s[4:5], exec, -1
; %bb.2051:
	s_or_b64 exec, exec, s[8:9]
	s_and_b64 s[4:5], s[4:5], exec
	s_or_saveexec_b64 s[6:7], s[6:7]
	v_mov_b32_e32 v20, s10
	s_xor_b64 exec, exec, s[6:7]
	s_cbranch_execz .LBB31_2
.LBB31_2052:
	v_mov_b32_e32 v20, 0
	v_cmp_ne_u16_sdwa s[8:9], v14, v20 src0_sel:BYTE_0 src1_sel:DWORD
	s_andn2_b64 s[4:5], s[4:5], exec
	s_and_b64 s[8:9], s[8:9], exec
	s_or_b64 s[4:5], s[4:5], s[8:9]
	s_or_b64 exec, exec, s[6:7]
	s_and_saveexec_b64 s[6:7], s[4:5]
	s_cbranch_execnz .LBB31_3
	s_branch .LBB31_4
.LBB31_2053:
	s_movk_i32 s4, 0x80
	v_cmp_eq_u16_sdwa s[12:13], v10, s4 src0_sel:BYTE_0 src1_sel:DWORD
	s_mov_b64 s[4:5], -1
                                        ; implicit-def: $sgpr10
	s_and_saveexec_b64 s[8:9], s[12:13]
; %bb.2054:
	s_mov_b32 s10, 0x7f800001
	s_xor_b64 s[4:5], exec, -1
; %bb.2055:
	s_or_b64 exec, exec, s[8:9]
	s_and_b64 s[4:5], s[4:5], exec
	s_or_saveexec_b64 s[6:7], s[6:7]
	v_mov_b32_e32 v21, s10
	s_xor_b64 exec, exec, s[6:7]
	s_cbranch_execz .LBB31_6
.LBB31_2056:
	v_mov_b32_e32 v21, 0
	v_cmp_ne_u16_sdwa s[8:9], v10, v21 src0_sel:BYTE_0 src1_sel:DWORD
	s_andn2_b64 s[4:5], s[4:5], exec
	s_and_b64 s[8:9], s[8:9], exec
	s_or_b64 s[4:5], s[4:5], s[8:9]
	s_or_b64 exec, exec, s[6:7]
	s_and_saveexec_b64 s[6:7], s[4:5]
	s_cbranch_execnz .LBB31_7
	s_branch .LBB31_8
.LBB31_2057:
	s_movk_i32 s4, 0x80
	v_cmp_eq_u16_sdwa s[12:13], v21, s4 src0_sel:BYTE_0 src1_sel:DWORD
	s_mov_b64 s[4:5], -1
                                        ; implicit-def: $sgpr10
	s_and_saveexec_b64 s[8:9], s[12:13]
; %bb.2058:
	s_mov_b32 s10, 0x7f800001
	s_xor_b64 s[4:5], exec, -1
; %bb.2059:
	s_or_b64 exec, exec, s[8:9]
	s_and_b64 s[4:5], s[4:5], exec
	s_or_saveexec_b64 s[6:7], s[6:7]
	v_mov_b32_e32 v20, s10
	s_xor_b64 exec, exec, s[6:7]
	s_cbranch_execz .LBB31_10
.LBB31_2060:
	v_mov_b32_e32 v20, 0
	v_cmp_ne_u16_sdwa s[8:9], v21, v20 src0_sel:BYTE_0 src1_sel:DWORD
	s_andn2_b64 s[4:5], s[4:5], exec
	s_and_b64 s[8:9], s[8:9], exec
	s_or_b64 s[4:5], s[4:5], s[8:9]
	s_or_b64 exec, exec, s[6:7]
	s_and_saveexec_b64 s[6:7], s[4:5]
	s_cbranch_execnz .LBB31_11
	s_branch .LBB31_12
.LBB31_2061:
	s_movk_i32 s4, 0x80
	v_cmp_eq_u16_sdwa s[12:13], v21, s4 src0_sel:BYTE_0 src1_sel:DWORD
	s_mov_b64 s[4:5], -1
                                        ; implicit-def: $sgpr10
	s_and_saveexec_b64 s[8:9], s[12:13]
; %bb.2062:
	s_mov_b32 s10, 0x7f800001
	s_xor_b64 s[4:5], exec, -1
; %bb.2063:
	s_or_b64 exec, exec, s[8:9]
	s_and_b64 s[4:5], s[4:5], exec
	s_or_saveexec_b64 s[6:7], s[6:7]
	v_mov_b32_e32 v22, s10
	s_xor_b64 exec, exec, s[6:7]
	s_cbranch_execz .LBB31_14
.LBB31_2064:
	v_mov_b32_e32 v22, 0
	v_cmp_ne_u16_sdwa s[8:9], v21, v22 src0_sel:BYTE_0 src1_sel:DWORD
	s_andn2_b64 s[4:5], s[4:5], exec
	s_and_b64 s[8:9], s[8:9], exec
	s_or_b64 s[4:5], s[4:5], s[8:9]
	s_or_b64 exec, exec, s[6:7]
	s_and_saveexec_b64 s[6:7], s[4:5]
	s_cbranch_execnz .LBB31_15
	s_branch .LBB31_16
.LBB31_2065:
	s_movk_i32 s4, 0x80
	v_cmp_eq_u16_e32 vcc, s4, v21
	s_mov_b64 s[4:5], -1
                                        ; implicit-def: $sgpr10
	s_and_saveexec_b64 s[8:9], vcc
; %bb.2066:
	s_mov_b32 s10, 0x7f800001
	s_xor_b64 s[4:5], exec, -1
; %bb.2067:
	s_or_b64 exec, exec, s[8:9]
	s_and_b64 s[4:5], s[4:5], exec
                                        ; implicit-def: $vgpr21
	s_or_saveexec_b64 s[6:7], s[6:7]
	v_mov_b32_e32 v20, s10
	s_xor_b64 exec, exec, s[6:7]
	s_cbranch_execz .LBB31_18
.LBB31_2068:
	v_cmp_ne_u16_e32 vcc, 0, v21
	s_andn2_b64 s[4:5], s[4:5], exec
	s_and_b64 s[8:9], vcc, exec
	v_mov_b32_e32 v20, 0
	s_or_b64 s[4:5], s[4:5], s[8:9]
	s_or_b64 exec, exec, s[6:7]
	s_and_saveexec_b64 s[6:7], s[4:5]
	s_cbranch_execnz .LBB31_19
	s_branch .LBB31_20
.LBB31_2069:
	s_movk_i32 s4, 0x80
	v_cmp_eq_u16_e32 vcc, s4, v21
	s_mov_b64 s[4:5], -1
                                        ; implicit-def: $sgpr10
	s_and_saveexec_b64 s[8:9], vcc
; %bb.2070:
	s_mov_b32 s10, 0x7f800001
	s_xor_b64 s[4:5], exec, -1
; %bb.2071:
	s_or_b64 exec, exec, s[8:9]
	s_and_b64 s[4:5], s[4:5], exec
                                        ; implicit-def: $vgpr21
	s_or_saveexec_b64 s[6:7], s[6:7]
	v_mov_b32_e32 v22, s10
	s_xor_b64 exec, exec, s[6:7]
	s_cbranch_execz .LBB31_22
.LBB31_2072:
	v_cmp_ne_u16_e32 vcc, 0, v21
	s_andn2_b64 s[4:5], s[4:5], exec
	s_and_b64 s[8:9], vcc, exec
	v_mov_b32_e32 v22, 0
	s_or_b64 s[4:5], s[4:5], s[8:9]
	s_or_b64 exec, exec, s[6:7]
	s_and_saveexec_b64 s[6:7], s[4:5]
	s_cbranch_execnz .LBB31_23
	s_branch .LBB31_24
.LBB31_2073:
	s_movk_i32 s4, 0x80
	v_cmp_eq_u16_sdwa s[12:13], v14, s4 src0_sel:BYTE_3 src1_sel:DWORD
	s_mov_b64 s[4:5], -1
                                        ; implicit-def: $sgpr10
	s_and_saveexec_b64 s[8:9], s[12:13]
; %bb.2074:
	s_mov_b32 s10, 0x7f800001
	s_xor_b64 s[4:5], exec, -1
; %bb.2075:
	s_or_b64 exec, exec, s[8:9]
	s_and_b64 s[4:5], s[4:5], exec
	s_or_saveexec_b64 s[6:7], s[6:7]
	v_mov_b32_e32 v20, s10
	s_xor_b64 exec, exec, s[6:7]
	s_cbranch_execz .LBB31_26
.LBB31_2076:
	v_mov_b32_e32 v20, 0
	v_cmp_ne_u16_sdwa s[8:9], v14, v20 src0_sel:BYTE_3 src1_sel:DWORD
	s_andn2_b64 s[4:5], s[4:5], exec
	s_and_b64 s[8:9], s[8:9], exec
	s_or_b64 s[4:5], s[4:5], s[8:9]
	s_or_b64 exec, exec, s[6:7]
	s_and_saveexec_b64 s[6:7], s[4:5]
	s_cbranch_execnz .LBB31_27
	s_branch .LBB31_28
.LBB31_2077:
	s_movk_i32 s4, 0x80
	v_cmp_eq_u16_sdwa s[12:13], v10, s4 src0_sel:BYTE_3 src1_sel:DWORD
	s_mov_b64 s[4:5], -1
                                        ; implicit-def: $sgpr10
	s_and_saveexec_b64 s[8:9], s[12:13]
; %bb.2078:
	s_mov_b32 s10, 0x7f800001
	s_xor_b64 s[4:5], exec, -1
; %bb.2079:
	s_or_b64 exec, exec, s[8:9]
	s_and_b64 s[4:5], s[4:5], exec
	s_or_saveexec_b64 s[6:7], s[6:7]
	v_mov_b32_e32 v14, s10
	s_xor_b64 exec, exec, s[6:7]
	s_cbranch_execz .LBB31_30
.LBB31_2080:
	v_mov_b32_e32 v14, 0
	v_cmp_ne_u16_sdwa s[8:9], v10, v14 src0_sel:BYTE_3 src1_sel:DWORD
	s_andn2_b64 s[4:5], s[4:5], exec
	s_and_b64 s[8:9], s[8:9], exec
	s_or_b64 s[4:5], s[4:5], s[8:9]
	s_or_b64 exec, exec, s[6:7]
	s_and_saveexec_b64 s[6:7], s[4:5]
	s_cbranch_execnz .LBB31_31
	s_branch .LBB31_32
.LBB31_2081:
	s_movk_i32 s4, 0x80
	v_cmp_eq_u16_sdwa s[12:13], v15, s4 src0_sel:BYTE_0 src1_sel:DWORD
	s_mov_b64 s[4:5], -1
                                        ; implicit-def: $sgpr10
	s_and_saveexec_b64 s[8:9], s[12:13]
; %bb.2082:
	s_mov_b32 s10, 0x7f800001
	s_xor_b64 s[4:5], exec, -1
; %bb.2083:
	s_or_b64 exec, exec, s[8:9]
	s_and_b64 s[4:5], s[4:5], exec
	s_or_saveexec_b64 s[6:7], s[6:7]
	v_mov_b32_e32 v10, s10
	s_xor_b64 exec, exec, s[6:7]
	s_cbranch_execz .LBB31_34
.LBB31_2084:
	v_mov_b32_e32 v10, 0
	v_cmp_ne_u16_sdwa s[8:9], v15, v10 src0_sel:BYTE_0 src1_sel:DWORD
	s_andn2_b64 s[4:5], s[4:5], exec
	s_and_b64 s[8:9], s[8:9], exec
	s_or_b64 s[4:5], s[4:5], s[8:9]
	s_or_b64 exec, exec, s[6:7]
	s_and_saveexec_b64 s[6:7], s[4:5]
	s_cbranch_execnz .LBB31_35
	s_branch .LBB31_36
.LBB31_2085:
	s_movk_i32 s4, 0x80
	v_cmp_eq_u16_sdwa s[12:13], v11, s4 src0_sel:BYTE_0 src1_sel:DWORD
	s_mov_b64 s[4:5], -1
                                        ; implicit-def: $sgpr10
	s_and_saveexec_b64 s[8:9], s[12:13]
; %bb.2086:
	s_mov_b32 s10, 0x7f800001
	s_xor_b64 s[4:5], exec, -1
; %bb.2087:
	s_or_b64 exec, exec, s[8:9]
	s_and_b64 s[4:5], s[4:5], exec
	s_or_saveexec_b64 s[6:7], s[6:7]
	v_mov_b32_e32 v14, s10
	s_xor_b64 exec, exec, s[6:7]
	s_cbranch_execz .LBB31_38
.LBB31_2088:
	v_mov_b32_e32 v14, 0
	v_cmp_ne_u16_sdwa s[8:9], v11, v14 src0_sel:BYTE_0 src1_sel:DWORD
	s_andn2_b64 s[4:5], s[4:5], exec
	s_and_b64 s[8:9], s[8:9], exec
	s_or_b64 s[4:5], s[4:5], s[8:9]
	s_or_b64 exec, exec, s[6:7]
	s_and_saveexec_b64 s[6:7], s[4:5]
	s_cbranch_execnz .LBB31_39
	s_branch .LBB31_40
.LBB31_2089:
	s_movk_i32 s4, 0x80
	v_cmp_eq_u16_sdwa s[12:13], v14, s4 src0_sel:BYTE_0 src1_sel:DWORD
	s_mov_b64 s[4:5], -1
                                        ; implicit-def: $sgpr10
	s_and_saveexec_b64 s[8:9], s[12:13]
; %bb.2090:
	s_mov_b32 s10, 0x7f800001
	s_xor_b64 s[4:5], exec, -1
; %bb.2091:
	s_or_b64 exec, exec, s[8:9]
	s_and_b64 s[4:5], s[4:5], exec
	s_or_saveexec_b64 s[6:7], s[6:7]
	v_mov_b32_e32 v10, s10
	s_xor_b64 exec, exec, s[6:7]
	s_cbranch_execz .LBB31_42
.LBB31_2092:
	v_mov_b32_e32 v10, 0
	v_cmp_ne_u16_sdwa s[8:9], v14, v10 src0_sel:BYTE_0 src1_sel:DWORD
	s_andn2_b64 s[4:5], s[4:5], exec
	s_and_b64 s[8:9], s[8:9], exec
	s_or_b64 s[4:5], s[4:5], s[8:9]
	s_or_b64 exec, exec, s[6:7]
	s_and_saveexec_b64 s[6:7], s[4:5]
	s_cbranch_execnz .LBB31_43
	s_branch .LBB31_44
.LBB31_2093:
	s_movk_i32 s4, 0x80
	v_cmp_eq_u16_sdwa s[12:13], v14, s4 src0_sel:BYTE_0 src1_sel:DWORD
	s_mov_b64 s[4:5], -1
                                        ; implicit-def: $sgpr10
	s_and_saveexec_b64 s[8:9], s[12:13]
; %bb.2094:
	s_mov_b32 s10, 0x7f800001
	s_xor_b64 s[4:5], exec, -1
; %bb.2095:
	s_or_b64 exec, exec, s[8:9]
	s_and_b64 s[4:5], s[4:5], exec
	s_or_saveexec_b64 s[6:7], s[6:7]
	v_mov_b32_e32 v20, s10
	s_xor_b64 exec, exec, s[6:7]
	s_cbranch_execz .LBB31_46
.LBB31_2096:
	v_mov_b32_e32 v20, 0
	v_cmp_ne_u16_sdwa s[8:9], v14, v20 src0_sel:BYTE_0 src1_sel:DWORD
	s_andn2_b64 s[4:5], s[4:5], exec
	s_and_b64 s[8:9], s[8:9], exec
	s_or_b64 s[4:5], s[4:5], s[8:9]
	s_or_b64 exec, exec, s[6:7]
	s_and_saveexec_b64 s[6:7], s[4:5]
	s_cbranch_execnz .LBB31_47
	s_branch .LBB31_48
.LBB31_2097:
	s_movk_i32 s4, 0x80
	v_cmp_eq_u16_e32 vcc, s4, v14
	s_mov_b64 s[4:5], -1
                                        ; implicit-def: $sgpr10
	s_and_saveexec_b64 s[8:9], vcc
; %bb.2098:
	s_mov_b32 s10, 0x7f800001
	s_xor_b64 s[4:5], exec, -1
; %bb.2099:
	s_or_b64 exec, exec, s[8:9]
	s_and_b64 s[4:5], s[4:5], exec
                                        ; implicit-def: $vgpr14
	s_or_saveexec_b64 s[6:7], s[6:7]
	v_mov_b32_e32 v10, s10
	s_xor_b64 exec, exec, s[6:7]
	s_cbranch_execz .LBB31_50
.LBB31_2100:
	v_cmp_ne_u16_e32 vcc, 0, v14
	s_andn2_b64 s[4:5], s[4:5], exec
	s_and_b64 s[8:9], vcc, exec
	v_mov_b32_e32 v10, 0
	s_or_b64 s[4:5], s[4:5], s[8:9]
	s_or_b64 exec, exec, s[6:7]
	s_and_saveexec_b64 s[6:7], s[4:5]
	s_cbranch_execnz .LBB31_51
	s_branch .LBB31_52
.LBB31_2101:
	s_movk_i32 s4, 0x80
	v_cmp_eq_u16_e32 vcc, s4, v14
	s_mov_b64 s[4:5], -1
                                        ; implicit-def: $sgpr10
	s_and_saveexec_b64 s[8:9], vcc
; %bb.2102:
	s_mov_b32 s10, 0x7f800001
	s_xor_b64 s[4:5], exec, -1
; %bb.2103:
	s_or_b64 exec, exec, s[8:9]
	s_and_b64 s[4:5], s[4:5], exec
                                        ; implicit-def: $vgpr14
	s_or_saveexec_b64 s[6:7], s[6:7]
	v_mov_b32_e32 v20, s10
	s_xor_b64 exec, exec, s[6:7]
	s_cbranch_execz .LBB31_54
.LBB31_2104:
	v_cmp_ne_u16_e32 vcc, 0, v14
	s_andn2_b64 s[4:5], s[4:5], exec
	s_and_b64 s[8:9], vcc, exec
	v_mov_b32_e32 v20, 0
	s_or_b64 s[4:5], s[4:5], s[8:9]
	s_or_b64 exec, exec, s[6:7]
	s_and_saveexec_b64 s[6:7], s[4:5]
	s_cbranch_execnz .LBB31_55
	s_branch .LBB31_56
.LBB31_2105:
	s_movk_i32 s4, 0x80
	v_cmp_eq_u16_sdwa s[12:13], v15, s4 src0_sel:BYTE_3 src1_sel:DWORD
	s_mov_b64 s[4:5], -1
                                        ; implicit-def: $sgpr10
	s_and_saveexec_b64 s[8:9], s[12:13]
; %bb.2106:
	s_mov_b32 s10, 0x7f800001
	s_xor_b64 s[4:5], exec, -1
; %bb.2107:
	s_or_b64 exec, exec, s[8:9]
	s_and_b64 s[4:5], s[4:5], exec
	s_or_saveexec_b64 s[6:7], s[6:7]
	v_mov_b32_e32 v10, s10
	s_xor_b64 exec, exec, s[6:7]
	s_cbranch_execz .LBB31_58
.LBB31_2108:
	v_mov_b32_e32 v10, 0
	v_cmp_ne_u16_sdwa s[8:9], v15, v10 src0_sel:BYTE_3 src1_sel:DWORD
	s_andn2_b64 s[4:5], s[4:5], exec
	s_and_b64 s[8:9], s[8:9], exec
	s_or_b64 s[4:5], s[4:5], s[8:9]
	s_or_b64 exec, exec, s[6:7]
	s_and_saveexec_b64 s[6:7], s[4:5]
	s_cbranch_execnz .LBB31_59
	s_branch .LBB31_60
.LBB31_2109:
	s_movk_i32 s4, 0x80
	v_cmp_eq_u16_sdwa s[12:13], v11, s4 src0_sel:BYTE_3 src1_sel:DWORD
	s_mov_b64 s[4:5], -1
                                        ; implicit-def: $sgpr10
	s_and_saveexec_b64 s[8:9], s[12:13]
; %bb.2110:
	s_mov_b32 s10, 0x7f800001
	s_xor_b64 s[4:5], exec, -1
; %bb.2111:
	s_or_b64 exec, exec, s[8:9]
	s_and_b64 s[4:5], s[4:5], exec
	s_or_saveexec_b64 s[6:7], s[6:7]
	v_mov_b32_e32 v14, s10
	s_xor_b64 exec, exec, s[6:7]
	s_cbranch_execz .LBB31_62
.LBB31_2112:
	v_mov_b32_e32 v14, 0
	v_cmp_ne_u16_sdwa s[8:9], v11, v14 src0_sel:BYTE_3 src1_sel:DWORD
	s_andn2_b64 s[4:5], s[4:5], exec
	s_and_b64 s[8:9], s[8:9], exec
	s_or_b64 s[4:5], s[4:5], s[8:9]
	s_or_b64 exec, exec, s[6:7]
	s_and_saveexec_b64 s[6:7], s[4:5]
	s_cbranch_execnz .LBB31_63
	s_branch .LBB31_64
.LBB31_2113:
	s_movk_i32 s4, 0x80
	v_cmp_eq_u16_sdwa s[12:13], v16, s4 src0_sel:BYTE_0 src1_sel:DWORD
	s_mov_b64 s[4:5], -1
                                        ; implicit-def: $sgpr10
	s_and_saveexec_b64 s[8:9], s[12:13]
; %bb.2114:
	s_mov_b32 s10, 0x7f800001
	s_xor_b64 s[4:5], exec, -1
; %bb.2115:
	s_or_b64 exec, exec, s[8:9]
	s_and_b64 s[4:5], s[4:5], exec
	s_or_saveexec_b64 s[6:7], s[6:7]
	v_mov_b32_e32 v10, s10
	s_xor_b64 exec, exec, s[6:7]
	s_cbranch_execz .LBB31_66
.LBB31_2116:
	v_mov_b32_e32 v10, 0
	v_cmp_ne_u16_sdwa s[8:9], v16, v10 src0_sel:BYTE_0 src1_sel:DWORD
	s_andn2_b64 s[4:5], s[4:5], exec
	s_and_b64 s[8:9], s[8:9], exec
	s_or_b64 s[4:5], s[4:5], s[8:9]
	s_or_b64 exec, exec, s[6:7]
	s_and_saveexec_b64 s[6:7], s[4:5]
	s_cbranch_execnz .LBB31_67
	s_branch .LBB31_68
.LBB31_2117:
	s_movk_i32 s4, 0x80
	v_cmp_eq_u16_sdwa s[12:13], v12, s4 src0_sel:BYTE_0 src1_sel:DWORD
	s_mov_b64 s[4:5], -1
                                        ; implicit-def: $sgpr10
	s_and_saveexec_b64 s[8:9], s[12:13]
; %bb.2118:
	s_mov_b32 s10, 0x7f800001
	s_xor_b64 s[4:5], exec, -1
; %bb.2119:
	s_or_b64 exec, exec, s[8:9]
	s_and_b64 s[4:5], s[4:5], exec
	s_or_saveexec_b64 s[6:7], s[6:7]
	v_mov_b32_e32 v11, s10
	s_xor_b64 exec, exec, s[6:7]
	s_cbranch_execz .LBB31_70
.LBB31_2120:
	v_mov_b32_e32 v11, 0
	v_cmp_ne_u16_sdwa s[8:9], v12, v11 src0_sel:BYTE_0 src1_sel:DWORD
	s_andn2_b64 s[4:5], s[4:5], exec
	s_and_b64 s[8:9], s[8:9], exec
	s_or_b64 s[4:5], s[4:5], s[8:9]
	s_or_b64 exec, exec, s[6:7]
	s_and_saveexec_b64 s[6:7], s[4:5]
	s_cbranch_execnz .LBB31_71
	s_branch .LBB31_72
.LBB31_2121:
	s_movk_i32 s4, 0x80
	v_cmp_eq_u16_sdwa s[12:13], v11, s4 src0_sel:BYTE_0 src1_sel:DWORD
	s_mov_b64 s[4:5], -1
                                        ; implicit-def: $sgpr10
	s_and_saveexec_b64 s[8:9], s[12:13]
; %bb.2122:
	s_mov_b32 s10, 0x7f800001
	s_xor_b64 s[4:5], exec, -1
; %bb.2123:
	s_or_b64 exec, exec, s[8:9]
	s_and_b64 s[4:5], s[4:5], exec
	s_or_saveexec_b64 s[6:7], s[6:7]
	v_mov_b32_e32 v10, s10
	s_xor_b64 exec, exec, s[6:7]
	s_cbranch_execz .LBB31_74
.LBB31_2124:
	v_mov_b32_e32 v10, 0
	v_cmp_ne_u16_sdwa s[8:9], v11, v10 src0_sel:BYTE_0 src1_sel:DWORD
	s_andn2_b64 s[4:5], s[4:5], exec
	s_and_b64 s[8:9], s[8:9], exec
	s_or_b64 s[4:5], s[4:5], s[8:9]
	s_or_b64 exec, exec, s[6:7]
	s_and_saveexec_b64 s[6:7], s[4:5]
	s_cbranch_execnz .LBB31_75
	s_branch .LBB31_76
.LBB31_2125:
	s_movk_i32 s4, 0x80
	v_cmp_eq_u16_sdwa s[12:13], v11, s4 src0_sel:BYTE_0 src1_sel:DWORD
	s_mov_b64 s[4:5], -1
                                        ; implicit-def: $sgpr10
	s_and_saveexec_b64 s[8:9], s[12:13]
; %bb.2126:
	s_mov_b32 s10, 0x7f800001
	s_xor_b64 s[4:5], exec, -1
; %bb.2127:
	s_or_b64 exec, exec, s[8:9]
	s_and_b64 s[4:5], s[4:5], exec
	s_or_saveexec_b64 s[6:7], s[6:7]
	v_mov_b32_e32 v14, s10
	s_xor_b64 exec, exec, s[6:7]
	s_cbranch_execz .LBB31_78
.LBB31_2128:
	v_mov_b32_e32 v14, 0
	v_cmp_ne_u16_sdwa s[8:9], v11, v14 src0_sel:BYTE_0 src1_sel:DWORD
	s_andn2_b64 s[4:5], s[4:5], exec
	s_and_b64 s[8:9], s[8:9], exec
	s_or_b64 s[4:5], s[4:5], s[8:9]
	s_or_b64 exec, exec, s[6:7]
	s_and_saveexec_b64 s[6:7], s[4:5]
	s_cbranch_execnz .LBB31_79
	s_branch .LBB31_80
.LBB31_2129:
	s_movk_i32 s4, 0x80
	v_cmp_eq_u16_e32 vcc, s4, v11
	s_mov_b64 s[4:5], -1
                                        ; implicit-def: $sgpr10
	s_and_saveexec_b64 s[8:9], vcc
; %bb.2130:
	s_mov_b32 s10, 0x7f800001
	s_xor_b64 s[4:5], exec, -1
; %bb.2131:
	s_or_b64 exec, exec, s[8:9]
	s_and_b64 s[4:5], s[4:5], exec
                                        ; implicit-def: $vgpr11
	s_or_saveexec_b64 s[6:7], s[6:7]
	v_mov_b32_e32 v10, s10
	s_xor_b64 exec, exec, s[6:7]
	s_cbranch_execz .LBB31_82
.LBB31_2132:
	v_cmp_ne_u16_e32 vcc, 0, v11
	s_andn2_b64 s[4:5], s[4:5], exec
	s_and_b64 s[8:9], vcc, exec
	v_mov_b32_e32 v10, 0
	s_or_b64 s[4:5], s[4:5], s[8:9]
	s_or_b64 exec, exec, s[6:7]
	s_and_saveexec_b64 s[6:7], s[4:5]
	s_cbranch_execnz .LBB31_83
	s_branch .LBB31_84
.LBB31_2133:
	s_movk_i32 s4, 0x80
	v_cmp_eq_u16_e32 vcc, s4, v11
	s_mov_b64 s[4:5], -1
                                        ; implicit-def: $sgpr10
	s_and_saveexec_b64 s[8:9], vcc
; %bb.2134:
	s_mov_b32 s10, 0x7f800001
	s_xor_b64 s[4:5], exec, -1
; %bb.2135:
	s_or_b64 exec, exec, s[8:9]
	s_and_b64 s[4:5], s[4:5], exec
                                        ; implicit-def: $vgpr11
	s_or_saveexec_b64 s[6:7], s[6:7]
	v_mov_b32_e32 v14, s10
	s_xor_b64 exec, exec, s[6:7]
	s_cbranch_execz .LBB31_86
.LBB31_2136:
	v_cmp_ne_u16_e32 vcc, 0, v11
	s_andn2_b64 s[4:5], s[4:5], exec
	s_and_b64 s[8:9], vcc, exec
	v_mov_b32_e32 v14, 0
	s_or_b64 s[4:5], s[4:5], s[8:9]
	s_or_b64 exec, exec, s[6:7]
	s_and_saveexec_b64 s[6:7], s[4:5]
	s_cbranch_execnz .LBB31_87
	s_branch .LBB31_88
.LBB31_2137:
	s_movk_i32 s4, 0x80
	v_cmp_eq_u16_sdwa s[12:13], v16, s4 src0_sel:BYTE_3 src1_sel:DWORD
	s_mov_b64 s[4:5], -1
                                        ; implicit-def: $sgpr10
	s_and_saveexec_b64 s[8:9], s[12:13]
; %bb.2138:
	s_mov_b32 s10, 0x7f800001
	s_xor_b64 s[4:5], exec, -1
; %bb.2139:
	s_or_b64 exec, exec, s[8:9]
	s_and_b64 s[4:5], s[4:5], exec
	s_or_saveexec_b64 s[6:7], s[6:7]
	v_mov_b32_e32 v10, s10
	s_xor_b64 exec, exec, s[6:7]
	s_cbranch_execz .LBB31_90
.LBB31_2140:
	v_mov_b32_e32 v10, 0
	v_cmp_ne_u16_sdwa s[8:9], v16, v10 src0_sel:BYTE_3 src1_sel:DWORD
	s_andn2_b64 s[4:5], s[4:5], exec
	s_and_b64 s[8:9], s[8:9], exec
	s_or_b64 s[4:5], s[4:5], s[8:9]
	s_or_b64 exec, exec, s[6:7]
	s_and_saveexec_b64 s[6:7], s[4:5]
	s_cbranch_execnz .LBB31_91
	s_branch .LBB31_92
.LBB31_2141:
	s_movk_i32 s4, 0x80
	v_cmp_eq_u16_sdwa s[12:13], v12, s4 src0_sel:BYTE_3 src1_sel:DWORD
	s_mov_b64 s[4:5], -1
                                        ; implicit-def: $sgpr10
	s_and_saveexec_b64 s[8:9], s[12:13]
; %bb.2142:
	s_mov_b32 s10, 0x7f800001
	s_xor_b64 s[4:5], exec, -1
; %bb.2143:
	s_or_b64 exec, exec, s[8:9]
	s_and_b64 s[4:5], s[4:5], exec
	s_or_saveexec_b64 s[6:7], s[6:7]
	v_mov_b32_e32 v11, s10
	s_xor_b64 exec, exec, s[6:7]
	s_cbranch_execz .LBB31_94
.LBB31_2144:
	v_mov_b32_e32 v11, 0
	v_cmp_ne_u16_sdwa s[8:9], v12, v11 src0_sel:BYTE_3 src1_sel:DWORD
	s_andn2_b64 s[4:5], s[4:5], exec
	s_and_b64 s[8:9], s[8:9], exec
	s_or_b64 s[4:5], s[4:5], s[8:9]
	s_or_b64 exec, exec, s[6:7]
	s_and_saveexec_b64 s[6:7], s[4:5]
	s_cbranch_execnz .LBB31_95
	s_branch .LBB31_96
.LBB31_2145:
	s_movk_i32 s4, 0x80
	v_cmp_eq_u16_sdwa s[12:13], v17, s4 src0_sel:BYTE_0 src1_sel:DWORD
	s_mov_b64 s[4:5], -1
                                        ; implicit-def: $sgpr10
	s_and_saveexec_b64 s[8:9], s[12:13]
; %bb.2146:
	s_mov_b32 s10, 0x7f800001
	s_xor_b64 s[4:5], exec, -1
; %bb.2147:
	s_or_b64 exec, exec, s[8:9]
	s_and_b64 s[4:5], s[4:5], exec
	s_or_saveexec_b64 s[6:7], s[6:7]
	v_mov_b32_e32 v10, s10
	s_xor_b64 exec, exec, s[6:7]
	s_cbranch_execz .LBB31_98
.LBB31_2148:
	v_mov_b32_e32 v10, 0
	v_cmp_ne_u16_sdwa s[8:9], v17, v10 src0_sel:BYTE_0 src1_sel:DWORD
	s_andn2_b64 s[4:5], s[4:5], exec
	s_and_b64 s[8:9], s[8:9], exec
	s_or_b64 s[4:5], s[4:5], s[8:9]
	s_or_b64 exec, exec, s[6:7]
	s_and_saveexec_b64 s[6:7], s[4:5]
	s_cbranch_execnz .LBB31_99
	s_branch .LBB31_100
.LBB31_2149:
	s_movk_i32 s4, 0x80
	v_cmp_eq_u16_sdwa s[12:13], v13, s4 src0_sel:BYTE_0 src1_sel:DWORD
	s_mov_b64 s[4:5], -1
                                        ; implicit-def: $sgpr10
	s_and_saveexec_b64 s[8:9], s[12:13]
; %bb.2150:
	s_mov_b32 s10, 0x7f800001
	s_xor_b64 s[4:5], exec, -1
; %bb.2151:
	s_or_b64 exec, exec, s[8:9]
	s_and_b64 s[4:5], s[4:5], exec
	s_or_saveexec_b64 s[6:7], s[6:7]
	v_mov_b32_e32 v11, s10
	s_xor_b64 exec, exec, s[6:7]
	s_cbranch_execz .LBB31_102
.LBB31_2152:
	v_mov_b32_e32 v11, 0
	v_cmp_ne_u16_sdwa s[8:9], v13, v11 src0_sel:BYTE_0 src1_sel:DWORD
	s_andn2_b64 s[4:5], s[4:5], exec
	s_and_b64 s[8:9], s[8:9], exec
	s_or_b64 s[4:5], s[4:5], s[8:9]
	s_or_b64 exec, exec, s[6:7]
	s_and_saveexec_b64 s[6:7], s[4:5]
	s_cbranch_execnz .LBB31_103
	s_branch .LBB31_104
.LBB31_2153:
	s_movk_i32 s4, 0x80
	v_cmp_eq_u16_sdwa s[12:13], v11, s4 src0_sel:BYTE_0 src1_sel:DWORD
	s_mov_b64 s[4:5], -1
                                        ; implicit-def: $sgpr10
	s_and_saveexec_b64 s[8:9], s[12:13]
; %bb.2154:
	s_mov_b32 s10, 0x7f800001
	s_xor_b64 s[4:5], exec, -1
; %bb.2155:
	s_or_b64 exec, exec, s[8:9]
	s_and_b64 s[4:5], s[4:5], exec
	s_or_saveexec_b64 s[6:7], s[6:7]
	v_mov_b32_e32 v10, s10
	s_xor_b64 exec, exec, s[6:7]
	s_cbranch_execz .LBB31_106
.LBB31_2156:
	v_mov_b32_e32 v10, 0
	v_cmp_ne_u16_sdwa s[8:9], v11, v10 src0_sel:BYTE_0 src1_sel:DWORD
	s_andn2_b64 s[4:5], s[4:5], exec
	s_and_b64 s[8:9], s[8:9], exec
	s_or_b64 s[4:5], s[4:5], s[8:9]
	s_or_b64 exec, exec, s[6:7]
	s_and_saveexec_b64 s[6:7], s[4:5]
	s_cbranch_execnz .LBB31_107
	s_branch .LBB31_108
.LBB31_2157:
	s_movk_i32 s4, 0x80
	v_cmp_eq_u16_sdwa s[12:13], v11, s4 src0_sel:BYTE_0 src1_sel:DWORD
	s_mov_b64 s[4:5], -1
                                        ; implicit-def: $sgpr10
	s_and_saveexec_b64 s[8:9], s[12:13]
; %bb.2158:
	s_mov_b32 s10, 0x7f800001
	s_xor_b64 s[4:5], exec, -1
; %bb.2159:
	s_or_b64 exec, exec, s[8:9]
	s_and_b64 s[4:5], s[4:5], exec
	s_or_saveexec_b64 s[6:7], s[6:7]
	v_mov_b32_e32 v12, s10
	s_xor_b64 exec, exec, s[6:7]
	s_cbranch_execz .LBB31_110
.LBB31_2160:
	v_mov_b32_e32 v12, 0
	v_cmp_ne_u16_sdwa s[8:9], v11, v12 src0_sel:BYTE_0 src1_sel:DWORD
	s_andn2_b64 s[4:5], s[4:5], exec
	s_and_b64 s[8:9], s[8:9], exec
	s_or_b64 s[4:5], s[4:5], s[8:9]
	s_or_b64 exec, exec, s[6:7]
	s_and_saveexec_b64 s[6:7], s[4:5]
	s_cbranch_execnz .LBB31_111
	s_branch .LBB31_112
.LBB31_2161:
	s_movk_i32 s4, 0x80
	v_cmp_eq_u16_e32 vcc, s4, v11
	s_mov_b64 s[4:5], -1
                                        ; implicit-def: $sgpr10
	s_and_saveexec_b64 s[8:9], vcc
; %bb.2162:
	s_mov_b32 s10, 0x7f800001
	s_xor_b64 s[4:5], exec, -1
; %bb.2163:
	s_or_b64 exec, exec, s[8:9]
	s_and_b64 s[4:5], s[4:5], exec
                                        ; implicit-def: $vgpr11
	s_or_saveexec_b64 s[6:7], s[6:7]
	v_mov_b32_e32 v10, s10
	s_xor_b64 exec, exec, s[6:7]
	s_cbranch_execz .LBB31_114
.LBB31_2164:
	v_cmp_ne_u16_e32 vcc, 0, v11
	s_andn2_b64 s[4:5], s[4:5], exec
	s_and_b64 s[8:9], vcc, exec
	v_mov_b32_e32 v10, 0
	s_or_b64 s[4:5], s[4:5], s[8:9]
	s_or_b64 exec, exec, s[6:7]
	s_and_saveexec_b64 s[6:7], s[4:5]
	s_cbranch_execnz .LBB31_115
	s_branch .LBB31_116
.LBB31_2165:
	s_movk_i32 s4, 0x80
	v_cmp_eq_u16_e32 vcc, s4, v11
	s_mov_b64 s[4:5], -1
                                        ; implicit-def: $sgpr10
	s_and_saveexec_b64 s[8:9], vcc
; %bb.2166:
	s_mov_b32 s10, 0x7f800001
	s_xor_b64 s[4:5], exec, -1
; %bb.2167:
	s_or_b64 exec, exec, s[8:9]
	s_and_b64 s[4:5], s[4:5], exec
                                        ; implicit-def: $vgpr11
	s_or_saveexec_b64 s[6:7], s[6:7]
	v_mov_b32_e32 v12, s10
	s_xor_b64 exec, exec, s[6:7]
	s_cbranch_execz .LBB31_118
.LBB31_2168:
	v_cmp_ne_u16_e32 vcc, 0, v11
	s_andn2_b64 s[4:5], s[4:5], exec
	s_and_b64 s[8:9], vcc, exec
	v_mov_b32_e32 v12, 0
	s_or_b64 s[4:5], s[4:5], s[8:9]
	s_or_b64 exec, exec, s[6:7]
	s_and_saveexec_b64 s[6:7], s[4:5]
	s_cbranch_execnz .LBB31_119
	s_branch .LBB31_120
.LBB31_2169:
	s_movk_i32 s4, 0x80
	v_cmp_eq_u16_sdwa s[12:13], v17, s4 src0_sel:BYTE_3 src1_sel:DWORD
	s_mov_b64 s[4:5], -1
                                        ; implicit-def: $sgpr10
	s_and_saveexec_b64 s[8:9], s[12:13]
; %bb.2170:
	s_mov_b32 s10, 0x7f800001
	s_xor_b64 s[4:5], exec, -1
; %bb.2171:
	s_or_b64 exec, exec, s[8:9]
	s_and_b64 s[4:5], s[4:5], exec
	s_or_saveexec_b64 s[6:7], s[6:7]
	v_mov_b32_e32 v10, s10
	s_xor_b64 exec, exec, s[6:7]
	s_cbranch_execz .LBB31_122
.LBB31_2172:
	v_mov_b32_e32 v10, 0
	v_cmp_ne_u16_sdwa s[8:9], v17, v10 src0_sel:BYTE_3 src1_sel:DWORD
	s_andn2_b64 s[4:5], s[4:5], exec
	s_and_b64 s[8:9], s[8:9], exec
	s_or_b64 s[4:5], s[4:5], s[8:9]
	s_or_b64 exec, exec, s[6:7]
	s_and_saveexec_b64 s[6:7], s[4:5]
	s_cbranch_execnz .LBB31_123
	s_branch .LBB31_124
.LBB31_2173:
	s_movk_i32 s4, 0x80
	v_cmp_eq_u16_sdwa s[12:13], v13, s4 src0_sel:BYTE_3 src1_sel:DWORD
	s_mov_b64 s[4:5], -1
                                        ; implicit-def: $sgpr10
	s_and_saveexec_b64 s[8:9], s[12:13]
; %bb.2174:
	s_mov_b32 s10, 0x7f800001
	s_xor_b64 s[4:5], exec, -1
; %bb.2175:
	s_or_b64 exec, exec, s[8:9]
	s_and_b64 s[4:5], s[4:5], exec
	s_or_saveexec_b64 s[6:7], s[6:7]
	v_mov_b32_e32 v11, s10
	s_xor_b64 exec, exec, s[6:7]
	s_cbranch_execz .LBB31_126
.LBB31_2176:
	v_mov_b32_e32 v11, 0
	v_cmp_ne_u16_sdwa s[8:9], v13, v11 src0_sel:BYTE_3 src1_sel:DWORD
	s_andn2_b64 s[4:5], s[4:5], exec
	s_and_b64 s[8:9], s[8:9], exec
	s_or_b64 s[4:5], s[4:5], s[8:9]
	s_or_b64 exec, exec, s[6:7]
	s_and_saveexec_b64 s[6:7], s[4:5]
	s_cbranch_execnz .LBB31_127
	s_branch .LBB31_128
.LBB31_2177:
	s_movk_i32 s4, 0x80
	v_cmp_eq_u16_sdwa s[12:13], v6, s4 src0_sel:BYTE_0 src1_sel:DWORD
	s_mov_b64 s[4:5], -1
                                        ; implicit-def: $sgpr10
	s_and_saveexec_b64 s[8:9], s[12:13]
; %bb.2178:
	s_mov_b32 s10, 0x7f800001
	s_xor_b64 s[4:5], exec, -1
; %bb.2179:
	s_or_b64 exec, exec, s[8:9]
	s_and_b64 s[4:5], s[4:5], exec
	s_or_saveexec_b64 s[6:7], s[6:7]
	v_mov_b32_e32 v10, s10
	s_xor_b64 exec, exec, s[6:7]
	s_cbranch_execz .LBB31_130
.LBB31_2180:
	v_mov_b32_e32 v10, 0
	v_cmp_ne_u16_sdwa s[8:9], v6, v10 src0_sel:BYTE_0 src1_sel:DWORD
	s_andn2_b64 s[4:5], s[4:5], exec
	s_and_b64 s[8:9], s[8:9], exec
	s_or_b64 s[4:5], s[4:5], s[8:9]
	s_or_b64 exec, exec, s[6:7]
	s_and_saveexec_b64 s[6:7], s[4:5]
	s_cbranch_execnz .LBB31_131
	s_branch .LBB31_132
.LBB31_2181:
	s_movk_i32 s4, 0x80
	v_cmp_eq_u16_sdwa s[12:13], v2, s4 src0_sel:BYTE_0 src1_sel:DWORD
	s_mov_b64 s[4:5], -1
                                        ; implicit-def: $sgpr10
	s_and_saveexec_b64 s[8:9], s[12:13]
; %bb.2182:
	s_mov_b32 s10, 0x7f800001
	s_xor_b64 s[4:5], exec, -1
; %bb.2183:
	s_or_b64 exec, exec, s[8:9]
	s_and_b64 s[4:5], s[4:5], exec
	s_or_saveexec_b64 s[6:7], s[6:7]
	v_mov_b32_e32 v11, s10
	s_xor_b64 exec, exec, s[6:7]
	s_cbranch_execz .LBB31_134
.LBB31_2184:
	v_mov_b32_e32 v11, 0
	v_cmp_ne_u16_sdwa s[8:9], v2, v11 src0_sel:BYTE_0 src1_sel:DWORD
	s_andn2_b64 s[4:5], s[4:5], exec
	s_and_b64 s[8:9], s[8:9], exec
	s_or_b64 s[4:5], s[4:5], s[8:9]
	s_or_b64 exec, exec, s[6:7]
	s_and_saveexec_b64 s[6:7], s[4:5]
	s_cbranch_execnz .LBB31_135
	s_branch .LBB31_136
.LBB31_2185:
	s_movk_i32 s4, 0x80
	v_cmp_eq_u16_sdwa s[12:13], v11, s4 src0_sel:BYTE_0 src1_sel:DWORD
	s_mov_b64 s[4:5], -1
                                        ; implicit-def: $sgpr10
	s_and_saveexec_b64 s[8:9], s[12:13]
; %bb.2186:
	s_mov_b32 s10, 0x7f800001
	s_xor_b64 s[4:5], exec, -1
; %bb.2187:
	s_or_b64 exec, exec, s[8:9]
	s_and_b64 s[4:5], s[4:5], exec
	s_or_saveexec_b64 s[6:7], s[6:7]
	v_mov_b32_e32 v10, s10
	s_xor_b64 exec, exec, s[6:7]
	s_cbranch_execz .LBB31_138
.LBB31_2188:
	v_mov_b32_e32 v10, 0
	v_cmp_ne_u16_sdwa s[8:9], v11, v10 src0_sel:BYTE_0 src1_sel:DWORD
	s_andn2_b64 s[4:5], s[4:5], exec
	s_and_b64 s[8:9], s[8:9], exec
	s_or_b64 s[4:5], s[4:5], s[8:9]
	s_or_b64 exec, exec, s[6:7]
	s_and_saveexec_b64 s[6:7], s[4:5]
	s_cbranch_execnz .LBB31_139
	s_branch .LBB31_140
.LBB31_2189:
	s_movk_i32 s4, 0x80
	v_cmp_eq_u16_sdwa s[12:13], v11, s4 src0_sel:BYTE_0 src1_sel:DWORD
	s_mov_b64 s[4:5], -1
                                        ; implicit-def: $sgpr10
	s_and_saveexec_b64 s[8:9], s[12:13]
; %bb.2190:
	s_mov_b32 s10, 0x7f800001
	s_xor_b64 s[4:5], exec, -1
; %bb.2191:
	s_or_b64 exec, exec, s[8:9]
	s_and_b64 s[4:5], s[4:5], exec
	s_or_saveexec_b64 s[6:7], s[6:7]
	v_mov_b32_e32 v12, s10
	s_xor_b64 exec, exec, s[6:7]
	s_cbranch_execz .LBB31_142
.LBB31_2192:
	v_mov_b32_e32 v12, 0
	v_cmp_ne_u16_sdwa s[8:9], v11, v12 src0_sel:BYTE_0 src1_sel:DWORD
	s_andn2_b64 s[4:5], s[4:5], exec
	s_and_b64 s[8:9], s[8:9], exec
	s_or_b64 s[4:5], s[4:5], s[8:9]
	s_or_b64 exec, exec, s[6:7]
	s_and_saveexec_b64 s[6:7], s[4:5]
	s_cbranch_execnz .LBB31_143
	s_branch .LBB31_144
.LBB31_2193:
	s_movk_i32 s4, 0x80
	v_cmp_eq_u16_e32 vcc, s4, v11
	s_mov_b64 s[4:5], -1
                                        ; implicit-def: $sgpr10
	s_and_saveexec_b64 s[8:9], vcc
; %bb.2194:
	s_mov_b32 s10, 0x7f800001
	s_xor_b64 s[4:5], exec, -1
; %bb.2195:
	s_or_b64 exec, exec, s[8:9]
	s_and_b64 s[4:5], s[4:5], exec
                                        ; implicit-def: $vgpr11
	s_or_saveexec_b64 s[6:7], s[6:7]
	v_mov_b32_e32 v10, s10
	s_xor_b64 exec, exec, s[6:7]
	s_cbranch_execz .LBB31_146
.LBB31_2196:
	v_cmp_ne_u16_e32 vcc, 0, v11
	s_andn2_b64 s[4:5], s[4:5], exec
	s_and_b64 s[8:9], vcc, exec
	v_mov_b32_e32 v10, 0
	s_or_b64 s[4:5], s[4:5], s[8:9]
	s_or_b64 exec, exec, s[6:7]
	s_and_saveexec_b64 s[6:7], s[4:5]
	s_cbranch_execnz .LBB31_147
	s_branch .LBB31_148
.LBB31_2197:
	s_movk_i32 s4, 0x80
	v_cmp_eq_u16_e32 vcc, s4, v11
	s_mov_b64 s[4:5], -1
                                        ; implicit-def: $sgpr10
	s_and_saveexec_b64 s[8:9], vcc
; %bb.2198:
	s_mov_b32 s10, 0x7f800001
	s_xor_b64 s[4:5], exec, -1
; %bb.2199:
	s_or_b64 exec, exec, s[8:9]
	s_and_b64 s[4:5], s[4:5], exec
                                        ; implicit-def: $vgpr11
	s_or_saveexec_b64 s[6:7], s[6:7]
	v_mov_b32_e32 v12, s10
	s_xor_b64 exec, exec, s[6:7]
	s_cbranch_execz .LBB31_150
.LBB31_2200:
	v_cmp_ne_u16_e32 vcc, 0, v11
	s_andn2_b64 s[4:5], s[4:5], exec
	s_and_b64 s[8:9], vcc, exec
	v_mov_b32_e32 v12, 0
	s_or_b64 s[4:5], s[4:5], s[8:9]
	s_or_b64 exec, exec, s[6:7]
	s_and_saveexec_b64 s[6:7], s[4:5]
	s_cbranch_execnz .LBB31_151
	s_branch .LBB31_152
.LBB31_2201:
	s_movk_i32 s4, 0x80
	v_cmp_eq_u16_sdwa s[12:13], v6, s4 src0_sel:BYTE_3 src1_sel:DWORD
	s_mov_b64 s[4:5], -1
                                        ; implicit-def: $sgpr10
	s_and_saveexec_b64 s[8:9], s[12:13]
; %bb.2202:
	s_mov_b32 s10, 0x7f800001
	s_xor_b64 s[4:5], exec, -1
; %bb.2203:
	s_or_b64 exec, exec, s[8:9]
	s_and_b64 s[4:5], s[4:5], exec
	s_or_saveexec_b64 s[6:7], s[6:7]
	v_mov_b32_e32 v10, s10
	s_xor_b64 exec, exec, s[6:7]
	s_cbranch_execz .LBB31_154
.LBB31_2204:
	v_mov_b32_e32 v10, 0
	v_cmp_ne_u16_sdwa s[8:9], v6, v10 src0_sel:BYTE_3 src1_sel:DWORD
	s_andn2_b64 s[4:5], s[4:5], exec
	s_and_b64 s[8:9], s[8:9], exec
	s_or_b64 s[4:5], s[4:5], s[8:9]
	s_or_b64 exec, exec, s[6:7]
	s_and_saveexec_b64 s[6:7], s[4:5]
	s_cbranch_execnz .LBB31_155
	s_branch .LBB31_156
.LBB31_2205:
	s_movk_i32 s4, 0x80
	v_cmp_eq_u16_sdwa s[12:13], v2, s4 src0_sel:BYTE_3 src1_sel:DWORD
	s_mov_b64 s[4:5], -1
                                        ; implicit-def: $sgpr10
	s_and_saveexec_b64 s[8:9], s[12:13]
; %bb.2206:
	s_mov_b32 s10, 0x7f800001
	s_xor_b64 s[4:5], exec, -1
; %bb.2207:
	s_or_b64 exec, exec, s[8:9]
	s_and_b64 s[4:5], s[4:5], exec
	s_or_saveexec_b64 s[6:7], s[6:7]
	v_mov_b32_e32 v6, s10
	s_xor_b64 exec, exec, s[6:7]
	s_cbranch_execz .LBB31_158
.LBB31_2208:
	v_mov_b32_e32 v6, 0
	v_cmp_ne_u16_sdwa s[8:9], v2, v6 src0_sel:BYTE_3 src1_sel:DWORD
	s_andn2_b64 s[4:5], s[4:5], exec
	s_and_b64 s[8:9], s[8:9], exec
	s_or_b64 s[4:5], s[4:5], s[8:9]
	s_or_b64 exec, exec, s[6:7]
	s_and_saveexec_b64 s[6:7], s[4:5]
	s_cbranch_execnz .LBB31_159
	s_branch .LBB31_160
.LBB31_2209:
	s_movk_i32 s4, 0x80
	v_cmp_eq_u16_sdwa s[12:13], v7, s4 src0_sel:BYTE_0 src1_sel:DWORD
	s_mov_b64 s[4:5], -1
                                        ; implicit-def: $sgpr10
	s_and_saveexec_b64 s[8:9], s[12:13]
; %bb.2210:
	s_mov_b32 s10, 0x7f800001
	s_xor_b64 s[4:5], exec, -1
; %bb.2211:
	s_or_b64 exec, exec, s[8:9]
	s_and_b64 s[4:5], s[4:5], exec
	s_or_saveexec_b64 s[6:7], s[6:7]
	v_mov_b32_e32 v2, s10
	s_xor_b64 exec, exec, s[6:7]
	s_cbranch_execz .LBB31_162
.LBB31_2212:
	v_mov_b32_e32 v2, 0
	v_cmp_ne_u16_sdwa s[8:9], v7, v2 src0_sel:BYTE_0 src1_sel:DWORD
	s_andn2_b64 s[4:5], s[4:5], exec
	s_and_b64 s[8:9], s[8:9], exec
	s_or_b64 s[4:5], s[4:5], s[8:9]
	s_or_b64 exec, exec, s[6:7]
	s_and_saveexec_b64 s[6:7], s[4:5]
	s_cbranch_execnz .LBB31_163
	s_branch .LBB31_164
.LBB31_2213:
	s_movk_i32 s4, 0x80
	v_cmp_eq_u16_sdwa s[12:13], v3, s4 src0_sel:BYTE_0 src1_sel:DWORD
	s_mov_b64 s[4:5], -1
                                        ; implicit-def: $sgpr10
	s_and_saveexec_b64 s[8:9], s[12:13]
; %bb.2214:
	s_mov_b32 s10, 0x7f800001
	s_xor_b64 s[4:5], exec, -1
; %bb.2215:
	s_or_b64 exec, exec, s[8:9]
	s_and_b64 s[4:5], s[4:5], exec
	s_or_saveexec_b64 s[6:7], s[6:7]
	v_mov_b32_e32 v6, s10
	s_xor_b64 exec, exec, s[6:7]
	s_cbranch_execz .LBB31_166
.LBB31_2216:
	v_mov_b32_e32 v6, 0
	v_cmp_ne_u16_sdwa s[8:9], v3, v6 src0_sel:BYTE_0 src1_sel:DWORD
	s_andn2_b64 s[4:5], s[4:5], exec
	s_and_b64 s[8:9], s[8:9], exec
	s_or_b64 s[4:5], s[4:5], s[8:9]
	s_or_b64 exec, exec, s[6:7]
	s_and_saveexec_b64 s[6:7], s[4:5]
	s_cbranch_execnz .LBB31_167
	s_branch .LBB31_168
.LBB31_2217:
	s_movk_i32 s4, 0x80
	v_cmp_eq_u16_sdwa s[12:13], v6, s4 src0_sel:BYTE_0 src1_sel:DWORD
	s_mov_b64 s[4:5], -1
                                        ; implicit-def: $sgpr10
	s_and_saveexec_b64 s[8:9], s[12:13]
; %bb.2218:
	s_mov_b32 s10, 0x7f800001
	s_xor_b64 s[4:5], exec, -1
; %bb.2219:
	s_or_b64 exec, exec, s[8:9]
	s_and_b64 s[4:5], s[4:5], exec
	s_or_saveexec_b64 s[6:7], s[6:7]
	v_mov_b32_e32 v2, s10
	s_xor_b64 exec, exec, s[6:7]
	s_cbranch_execz .LBB31_170
.LBB31_2220:
	v_mov_b32_e32 v2, 0
	v_cmp_ne_u16_sdwa s[8:9], v6, v2 src0_sel:BYTE_0 src1_sel:DWORD
	s_andn2_b64 s[4:5], s[4:5], exec
	s_and_b64 s[8:9], s[8:9], exec
	s_or_b64 s[4:5], s[4:5], s[8:9]
	s_or_b64 exec, exec, s[6:7]
	s_and_saveexec_b64 s[6:7], s[4:5]
	s_cbranch_execnz .LBB31_171
	s_branch .LBB31_172
.LBB31_2221:
	s_movk_i32 s4, 0x80
	v_cmp_eq_u16_sdwa s[12:13], v6, s4 src0_sel:BYTE_0 src1_sel:DWORD
	s_mov_b64 s[4:5], -1
                                        ; implicit-def: $sgpr10
	s_and_saveexec_b64 s[8:9], s[12:13]
; %bb.2222:
	s_mov_b32 s10, 0x7f800001
	s_xor_b64 s[4:5], exec, -1
; %bb.2223:
	s_or_b64 exec, exec, s[8:9]
	s_and_b64 s[4:5], s[4:5], exec
	s_or_saveexec_b64 s[6:7], s[6:7]
	v_mov_b32_e32 v10, s10
	s_xor_b64 exec, exec, s[6:7]
	s_cbranch_execz .LBB31_174
.LBB31_2224:
	v_mov_b32_e32 v10, 0
	v_cmp_ne_u16_sdwa s[8:9], v6, v10 src0_sel:BYTE_0 src1_sel:DWORD
	s_andn2_b64 s[4:5], s[4:5], exec
	s_and_b64 s[8:9], s[8:9], exec
	s_or_b64 s[4:5], s[4:5], s[8:9]
	s_or_b64 exec, exec, s[6:7]
	s_and_saveexec_b64 s[6:7], s[4:5]
	s_cbranch_execnz .LBB31_175
	s_branch .LBB31_176
.LBB31_2225:
	s_movk_i32 s4, 0x80
	v_cmp_eq_u16_e32 vcc, s4, v6
	s_mov_b64 s[4:5], -1
                                        ; implicit-def: $sgpr10
	s_and_saveexec_b64 s[8:9], vcc
; %bb.2226:
	s_mov_b32 s10, 0x7f800001
	s_xor_b64 s[4:5], exec, -1
; %bb.2227:
	s_or_b64 exec, exec, s[8:9]
	s_and_b64 s[4:5], s[4:5], exec
                                        ; implicit-def: $vgpr6
	s_or_saveexec_b64 s[6:7], s[6:7]
	v_mov_b32_e32 v2, s10
	s_xor_b64 exec, exec, s[6:7]
	s_cbranch_execz .LBB31_178
.LBB31_2228:
	v_cmp_ne_u16_e32 vcc, 0, v6
	s_andn2_b64 s[4:5], s[4:5], exec
	s_and_b64 s[8:9], vcc, exec
	v_mov_b32_e32 v2, 0
	s_or_b64 s[4:5], s[4:5], s[8:9]
	s_or_b64 exec, exec, s[6:7]
	s_and_saveexec_b64 s[6:7], s[4:5]
	s_cbranch_execnz .LBB31_179
	s_branch .LBB31_180
.LBB31_2229:
	s_movk_i32 s4, 0x80
	v_cmp_eq_u16_e32 vcc, s4, v6
	s_mov_b64 s[4:5], -1
                                        ; implicit-def: $sgpr10
	s_and_saveexec_b64 s[8:9], vcc
; %bb.2230:
	s_mov_b32 s10, 0x7f800001
	s_xor_b64 s[4:5], exec, -1
; %bb.2231:
	s_or_b64 exec, exec, s[8:9]
	s_and_b64 s[4:5], s[4:5], exec
                                        ; implicit-def: $vgpr6
	s_or_saveexec_b64 s[6:7], s[6:7]
	v_mov_b32_e32 v10, s10
	s_xor_b64 exec, exec, s[6:7]
	s_cbranch_execz .LBB31_182
.LBB31_2232:
	v_cmp_ne_u16_e32 vcc, 0, v6
	s_andn2_b64 s[4:5], s[4:5], exec
	s_and_b64 s[8:9], vcc, exec
	v_mov_b32_e32 v10, 0
	s_or_b64 s[4:5], s[4:5], s[8:9]
	s_or_b64 exec, exec, s[6:7]
	s_and_saveexec_b64 s[6:7], s[4:5]
	s_cbranch_execnz .LBB31_183
	s_branch .LBB31_184
.LBB31_2233:
	s_movk_i32 s4, 0x80
	v_cmp_eq_u16_sdwa s[12:13], v7, s4 src0_sel:BYTE_3 src1_sel:DWORD
	s_mov_b64 s[4:5], -1
                                        ; implicit-def: $sgpr10
	s_and_saveexec_b64 s[8:9], s[12:13]
; %bb.2234:
	s_mov_b32 s10, 0x7f800001
	s_xor_b64 s[4:5], exec, -1
; %bb.2235:
	s_or_b64 exec, exec, s[8:9]
	s_and_b64 s[4:5], s[4:5], exec
	s_or_saveexec_b64 s[6:7], s[6:7]
	v_mov_b32_e32 v2, s10
	s_xor_b64 exec, exec, s[6:7]
	s_cbranch_execz .LBB31_186
.LBB31_2236:
	v_mov_b32_e32 v2, 0
	v_cmp_ne_u16_sdwa s[8:9], v7, v2 src0_sel:BYTE_3 src1_sel:DWORD
	s_andn2_b64 s[4:5], s[4:5], exec
	s_and_b64 s[8:9], s[8:9], exec
	s_or_b64 s[4:5], s[4:5], s[8:9]
	s_or_b64 exec, exec, s[6:7]
	s_and_saveexec_b64 s[6:7], s[4:5]
	s_cbranch_execnz .LBB31_187
	s_branch .LBB31_188
.LBB31_2237:
	s_movk_i32 s4, 0x80
	v_cmp_eq_u16_sdwa s[12:13], v3, s4 src0_sel:BYTE_3 src1_sel:DWORD
	s_mov_b64 s[4:5], -1
                                        ; implicit-def: $sgpr10
	s_and_saveexec_b64 s[8:9], s[12:13]
; %bb.2238:
	s_mov_b32 s10, 0x7f800001
	s_xor_b64 s[4:5], exec, -1
; %bb.2239:
	s_or_b64 exec, exec, s[8:9]
	s_and_b64 s[4:5], s[4:5], exec
	s_or_saveexec_b64 s[6:7], s[6:7]
	v_mov_b32_e32 v6, s10
	s_xor_b64 exec, exec, s[6:7]
	s_cbranch_execz .LBB31_190
.LBB31_2240:
	v_mov_b32_e32 v6, 0
	v_cmp_ne_u16_sdwa s[8:9], v3, v6 src0_sel:BYTE_3 src1_sel:DWORD
	s_andn2_b64 s[4:5], s[4:5], exec
	s_and_b64 s[8:9], s[8:9], exec
	s_or_b64 s[4:5], s[4:5], s[8:9]
	s_or_b64 exec, exec, s[6:7]
	s_and_saveexec_b64 s[6:7], s[4:5]
	s_cbranch_execnz .LBB31_191
	s_branch .LBB31_192
.LBB31_2241:
	s_movk_i32 s4, 0x80
	v_cmp_eq_u16_sdwa s[12:13], v8, s4 src0_sel:BYTE_0 src1_sel:DWORD
	s_mov_b64 s[4:5], -1
                                        ; implicit-def: $sgpr10
	s_and_saveexec_b64 s[8:9], s[12:13]
; %bb.2242:
	s_mov_b32 s10, 0x7f800001
	s_xor_b64 s[4:5], exec, -1
; %bb.2243:
	s_or_b64 exec, exec, s[8:9]
	s_and_b64 s[4:5], s[4:5], exec
	s_or_saveexec_b64 s[6:7], s[6:7]
	v_mov_b32_e32 v2, s10
	s_xor_b64 exec, exec, s[6:7]
	s_cbranch_execz .LBB31_194
.LBB31_2244:
	v_mov_b32_e32 v2, 0
	v_cmp_ne_u16_sdwa s[8:9], v8, v2 src0_sel:BYTE_0 src1_sel:DWORD
	s_andn2_b64 s[4:5], s[4:5], exec
	s_and_b64 s[8:9], s[8:9], exec
	s_or_b64 s[4:5], s[4:5], s[8:9]
	s_or_b64 exec, exec, s[6:7]
	s_and_saveexec_b64 s[6:7], s[4:5]
	s_cbranch_execnz .LBB31_195
	s_branch .LBB31_196
.LBB31_2245:
	s_movk_i32 s4, 0x80
	v_cmp_eq_u16_sdwa s[12:13], v4, s4 src0_sel:BYTE_0 src1_sel:DWORD
	s_mov_b64 s[4:5], -1
                                        ; implicit-def: $sgpr10
	s_and_saveexec_b64 s[8:9], s[12:13]
; %bb.2246:
	s_mov_b32 s10, 0x7f800001
	s_xor_b64 s[4:5], exec, -1
; %bb.2247:
	s_or_b64 exec, exec, s[8:9]
	s_and_b64 s[4:5], s[4:5], exec
	s_or_saveexec_b64 s[6:7], s[6:7]
	v_mov_b32_e32 v3, s10
	s_xor_b64 exec, exec, s[6:7]
	s_cbranch_execz .LBB31_198
.LBB31_2248:
	v_mov_b32_e32 v3, 0
	v_cmp_ne_u16_sdwa s[8:9], v4, v3 src0_sel:BYTE_0 src1_sel:DWORD
	s_andn2_b64 s[4:5], s[4:5], exec
	s_and_b64 s[8:9], s[8:9], exec
	s_or_b64 s[4:5], s[4:5], s[8:9]
	s_or_b64 exec, exec, s[6:7]
	s_and_saveexec_b64 s[6:7], s[4:5]
	s_cbranch_execnz .LBB31_199
	s_branch .LBB31_200
.LBB31_2249:
	s_movk_i32 s4, 0x80
	v_cmp_eq_u16_sdwa s[12:13], v3, s4 src0_sel:BYTE_0 src1_sel:DWORD
	s_mov_b64 s[4:5], -1
                                        ; implicit-def: $sgpr10
	s_and_saveexec_b64 s[8:9], s[12:13]
; %bb.2250:
	s_mov_b32 s10, 0x7f800001
	s_xor_b64 s[4:5], exec, -1
; %bb.2251:
	s_or_b64 exec, exec, s[8:9]
	s_and_b64 s[4:5], s[4:5], exec
	s_or_saveexec_b64 s[6:7], s[6:7]
	v_mov_b32_e32 v2, s10
	s_xor_b64 exec, exec, s[6:7]
	s_cbranch_execz .LBB31_202
.LBB31_2252:
	v_mov_b32_e32 v2, 0
	v_cmp_ne_u16_sdwa s[8:9], v3, v2 src0_sel:BYTE_0 src1_sel:DWORD
	s_andn2_b64 s[4:5], s[4:5], exec
	s_and_b64 s[8:9], s[8:9], exec
	s_or_b64 s[4:5], s[4:5], s[8:9]
	s_or_b64 exec, exec, s[6:7]
	s_and_saveexec_b64 s[6:7], s[4:5]
	s_cbranch_execnz .LBB31_203
	s_branch .LBB31_204
.LBB31_2253:
	s_movk_i32 s4, 0x80
	v_cmp_eq_u16_sdwa s[12:13], v3, s4 src0_sel:BYTE_0 src1_sel:DWORD
	s_mov_b64 s[4:5], -1
                                        ; implicit-def: $sgpr10
	s_and_saveexec_b64 s[8:9], s[12:13]
; %bb.2254:
	s_mov_b32 s10, 0x7f800001
	s_xor_b64 s[4:5], exec, -1
; %bb.2255:
	s_or_b64 exec, exec, s[8:9]
	s_and_b64 s[4:5], s[4:5], exec
	s_or_saveexec_b64 s[6:7], s[6:7]
	v_mov_b32_e32 v6, s10
	s_xor_b64 exec, exec, s[6:7]
	s_cbranch_execz .LBB31_206
.LBB31_2256:
	v_mov_b32_e32 v6, 0
	v_cmp_ne_u16_sdwa s[8:9], v3, v6 src0_sel:BYTE_0 src1_sel:DWORD
	s_andn2_b64 s[4:5], s[4:5], exec
	s_and_b64 s[8:9], s[8:9], exec
	s_or_b64 s[4:5], s[4:5], s[8:9]
	s_or_b64 exec, exec, s[6:7]
	s_and_saveexec_b64 s[6:7], s[4:5]
	s_cbranch_execnz .LBB31_207
	s_branch .LBB31_208
.LBB31_2257:
	s_movk_i32 s4, 0x80
	v_cmp_eq_u16_e32 vcc, s4, v3
	s_mov_b64 s[4:5], -1
                                        ; implicit-def: $sgpr10
	s_and_saveexec_b64 s[8:9], vcc
; %bb.2258:
	s_mov_b32 s10, 0x7f800001
	s_xor_b64 s[4:5], exec, -1
; %bb.2259:
	s_or_b64 exec, exec, s[8:9]
	s_and_b64 s[4:5], s[4:5], exec
                                        ; implicit-def: $vgpr3
	s_or_saveexec_b64 s[6:7], s[6:7]
	v_mov_b32_e32 v2, s10
	s_xor_b64 exec, exec, s[6:7]
	s_cbranch_execz .LBB31_210
.LBB31_2260:
	v_cmp_ne_u16_e32 vcc, 0, v3
	s_andn2_b64 s[4:5], s[4:5], exec
	s_and_b64 s[8:9], vcc, exec
	v_mov_b32_e32 v2, 0
	s_or_b64 s[4:5], s[4:5], s[8:9]
	s_or_b64 exec, exec, s[6:7]
	s_and_saveexec_b64 s[6:7], s[4:5]
	s_cbranch_execnz .LBB31_211
	s_branch .LBB31_212
.LBB31_2261:
	s_movk_i32 s4, 0x80
	v_cmp_eq_u16_e32 vcc, s4, v3
	s_mov_b64 s[4:5], -1
                                        ; implicit-def: $sgpr10
	s_and_saveexec_b64 s[8:9], vcc
; %bb.2262:
	s_mov_b32 s10, 0x7f800001
	s_xor_b64 s[4:5], exec, -1
; %bb.2263:
	s_or_b64 exec, exec, s[8:9]
	s_and_b64 s[4:5], s[4:5], exec
                                        ; implicit-def: $vgpr3
	s_or_saveexec_b64 s[6:7], s[6:7]
	v_mov_b32_e32 v6, s10
	s_xor_b64 exec, exec, s[6:7]
	s_cbranch_execz .LBB31_214
.LBB31_2264:
	v_cmp_ne_u16_e32 vcc, 0, v3
	s_andn2_b64 s[4:5], s[4:5], exec
	s_and_b64 s[8:9], vcc, exec
	v_mov_b32_e32 v6, 0
	s_or_b64 s[4:5], s[4:5], s[8:9]
	s_or_b64 exec, exec, s[6:7]
	s_and_saveexec_b64 s[6:7], s[4:5]
	s_cbranch_execnz .LBB31_215
	s_branch .LBB31_216
.LBB31_2265:
	s_movk_i32 s4, 0x80
	v_cmp_eq_u16_sdwa s[12:13], v8, s4 src0_sel:BYTE_3 src1_sel:DWORD
	s_mov_b64 s[4:5], -1
                                        ; implicit-def: $sgpr10
	s_and_saveexec_b64 s[8:9], s[12:13]
; %bb.2266:
	s_mov_b32 s10, 0x7f800001
	s_xor_b64 s[4:5], exec, -1
; %bb.2267:
	s_or_b64 exec, exec, s[8:9]
	s_and_b64 s[4:5], s[4:5], exec
	s_or_saveexec_b64 s[6:7], s[6:7]
	v_mov_b32_e32 v2, s10
	s_xor_b64 exec, exec, s[6:7]
	s_cbranch_execz .LBB31_218
.LBB31_2268:
	v_mov_b32_e32 v2, 0
	v_cmp_ne_u16_sdwa s[8:9], v8, v2 src0_sel:BYTE_3 src1_sel:DWORD
	s_andn2_b64 s[4:5], s[4:5], exec
	s_and_b64 s[8:9], s[8:9], exec
	s_or_b64 s[4:5], s[4:5], s[8:9]
	s_or_b64 exec, exec, s[6:7]
	s_and_saveexec_b64 s[6:7], s[4:5]
	s_cbranch_execnz .LBB31_219
	s_branch .LBB31_220
.LBB31_2269:
	s_movk_i32 s4, 0x80
	v_cmp_eq_u16_sdwa s[12:13], v4, s4 src0_sel:BYTE_3 src1_sel:DWORD
	s_mov_b64 s[4:5], -1
                                        ; implicit-def: $sgpr10
	s_and_saveexec_b64 s[8:9], s[12:13]
; %bb.2270:
	s_mov_b32 s10, 0x7f800001
	s_xor_b64 s[4:5], exec, -1
; %bb.2271:
	s_or_b64 exec, exec, s[8:9]
	s_and_b64 s[4:5], s[4:5], exec
	s_or_saveexec_b64 s[6:7], s[6:7]
	v_mov_b32_e32 v3, s10
	s_xor_b64 exec, exec, s[6:7]
	s_cbranch_execz .LBB31_222
.LBB31_2272:
	v_mov_b32_e32 v3, 0
	v_cmp_ne_u16_sdwa s[8:9], v4, v3 src0_sel:BYTE_3 src1_sel:DWORD
	s_andn2_b64 s[4:5], s[4:5], exec
	s_and_b64 s[8:9], s[8:9], exec
	s_or_b64 s[4:5], s[4:5], s[8:9]
	s_or_b64 exec, exec, s[6:7]
	s_and_saveexec_b64 s[6:7], s[4:5]
	s_cbranch_execnz .LBB31_223
	s_branch .LBB31_224
.LBB31_2273:
	s_movk_i32 s4, 0x80
	v_cmp_eq_u16_sdwa s[12:13], v9, s4 src0_sel:BYTE_0 src1_sel:DWORD
	s_mov_b64 s[4:5], -1
                                        ; implicit-def: $sgpr10
	s_and_saveexec_b64 s[8:9], s[12:13]
; %bb.2274:
	s_mov_b32 s10, 0x7f800001
	s_xor_b64 s[4:5], exec, -1
; %bb.2275:
	s_or_b64 exec, exec, s[8:9]
	s_and_b64 s[4:5], s[4:5], exec
	s_or_saveexec_b64 s[6:7], s[6:7]
	v_mov_b32_e32 v2, s10
	s_xor_b64 exec, exec, s[6:7]
	s_cbranch_execz .LBB31_226
.LBB31_2276:
	v_mov_b32_e32 v2, 0
	v_cmp_ne_u16_sdwa s[8:9], v9, v2 src0_sel:BYTE_0 src1_sel:DWORD
	s_andn2_b64 s[4:5], s[4:5], exec
	s_and_b64 s[8:9], s[8:9], exec
	s_or_b64 s[4:5], s[4:5], s[8:9]
	s_or_b64 exec, exec, s[6:7]
	s_and_saveexec_b64 s[6:7], s[4:5]
	s_cbranch_execnz .LBB31_227
	s_branch .LBB31_228
.LBB31_2277:
	s_movk_i32 s4, 0x80
	v_cmp_eq_u16_sdwa s[12:13], v5, s4 src0_sel:BYTE_0 src1_sel:DWORD
	s_mov_b64 s[4:5], -1
                                        ; implicit-def: $sgpr10
	s_and_saveexec_b64 s[8:9], s[12:13]
; %bb.2278:
	s_mov_b32 s10, 0x7f800001
	s_xor_b64 s[4:5], exec, -1
; %bb.2279:
	s_or_b64 exec, exec, s[8:9]
	s_and_b64 s[4:5], s[4:5], exec
	s_or_saveexec_b64 s[6:7], s[6:7]
	v_mov_b32_e32 v3, s10
	s_xor_b64 exec, exec, s[6:7]
	s_cbranch_execz .LBB31_230
.LBB31_2280:
	v_mov_b32_e32 v3, 0
	v_cmp_ne_u16_sdwa s[8:9], v5, v3 src0_sel:BYTE_0 src1_sel:DWORD
	s_andn2_b64 s[4:5], s[4:5], exec
	s_and_b64 s[8:9], s[8:9], exec
	s_or_b64 s[4:5], s[4:5], s[8:9]
	s_or_b64 exec, exec, s[6:7]
	s_and_saveexec_b64 s[6:7], s[4:5]
	s_cbranch_execnz .LBB31_231
	s_branch .LBB31_232
.LBB31_2281:
	s_movk_i32 s4, 0x80
	v_cmp_eq_u16_sdwa s[12:13], v3, s4 src0_sel:BYTE_0 src1_sel:DWORD
	s_mov_b64 s[4:5], -1
                                        ; implicit-def: $sgpr10
	s_and_saveexec_b64 s[8:9], s[12:13]
; %bb.2282:
	s_mov_b32 s10, 0x7f800001
	s_xor_b64 s[4:5], exec, -1
; %bb.2283:
	s_or_b64 exec, exec, s[8:9]
	s_and_b64 s[4:5], s[4:5], exec
	s_or_saveexec_b64 s[6:7], s[6:7]
	v_mov_b32_e32 v2, s10
	s_xor_b64 exec, exec, s[6:7]
	s_cbranch_execz .LBB31_234
.LBB31_2284:
	v_mov_b32_e32 v2, 0
	v_cmp_ne_u16_sdwa s[8:9], v3, v2 src0_sel:BYTE_0 src1_sel:DWORD
	s_andn2_b64 s[4:5], s[4:5], exec
	s_and_b64 s[8:9], s[8:9], exec
	s_or_b64 s[4:5], s[4:5], s[8:9]
	s_or_b64 exec, exec, s[6:7]
	s_and_saveexec_b64 s[6:7], s[4:5]
	s_cbranch_execnz .LBB31_235
	s_branch .LBB31_236
.LBB31_2285:
	s_movk_i32 s4, 0x80
	v_cmp_eq_u16_sdwa s[12:13], v3, s4 src0_sel:BYTE_0 src1_sel:DWORD
	s_mov_b64 s[4:5], -1
                                        ; implicit-def: $sgpr10
	s_and_saveexec_b64 s[8:9], s[12:13]
; %bb.2286:
	s_mov_b32 s10, 0x7f800001
	s_xor_b64 s[4:5], exec, -1
; %bb.2287:
	s_or_b64 exec, exec, s[8:9]
	s_and_b64 s[4:5], s[4:5], exec
	s_or_saveexec_b64 s[6:7], s[6:7]
	v_mov_b32_e32 v4, s10
	s_xor_b64 exec, exec, s[6:7]
	s_cbranch_execz .LBB31_238
.LBB31_2288:
	v_mov_b32_e32 v4, 0
	v_cmp_ne_u16_sdwa s[8:9], v3, v4 src0_sel:BYTE_0 src1_sel:DWORD
	s_andn2_b64 s[4:5], s[4:5], exec
	s_and_b64 s[8:9], s[8:9], exec
	s_or_b64 s[4:5], s[4:5], s[8:9]
	s_or_b64 exec, exec, s[6:7]
	s_and_saveexec_b64 s[6:7], s[4:5]
	s_cbranch_execnz .LBB31_239
	s_branch .LBB31_240
.LBB31_2289:
	s_movk_i32 s4, 0x80
	v_cmp_eq_u16_e32 vcc, s4, v3
	s_mov_b64 s[4:5], -1
                                        ; implicit-def: $sgpr10
	s_and_saveexec_b64 s[8:9], vcc
; %bb.2290:
	s_mov_b32 s10, 0x7f800001
	s_xor_b64 s[4:5], exec, -1
; %bb.2291:
	s_or_b64 exec, exec, s[8:9]
	s_and_b64 s[4:5], s[4:5], exec
                                        ; implicit-def: $vgpr3
	s_or_saveexec_b64 s[6:7], s[6:7]
	v_mov_b32_e32 v2, s10
	s_xor_b64 exec, exec, s[6:7]
	s_cbranch_execz .LBB31_242
.LBB31_2292:
	v_cmp_ne_u16_e32 vcc, 0, v3
	s_andn2_b64 s[4:5], s[4:5], exec
	s_and_b64 s[8:9], vcc, exec
	v_mov_b32_e32 v2, 0
	s_or_b64 s[4:5], s[4:5], s[8:9]
	s_or_b64 exec, exec, s[6:7]
	s_and_saveexec_b64 s[6:7], s[4:5]
	s_cbranch_execnz .LBB31_243
	s_branch .LBB31_244
.LBB31_2293:
	s_movk_i32 s4, 0x80
	v_cmp_eq_u16_e32 vcc, s4, v3
	s_mov_b64 s[4:5], -1
                                        ; implicit-def: $sgpr10
	s_and_saveexec_b64 s[8:9], vcc
; %bb.2294:
	s_mov_b32 s10, 0x7f800001
	s_xor_b64 s[4:5], exec, -1
; %bb.2295:
	s_or_b64 exec, exec, s[8:9]
	s_and_b64 s[4:5], s[4:5], exec
                                        ; implicit-def: $vgpr3
	s_or_saveexec_b64 s[6:7], s[6:7]
	v_mov_b32_e32 v4, s10
	s_xor_b64 exec, exec, s[6:7]
	s_cbranch_execz .LBB31_246
.LBB31_2296:
	v_cmp_ne_u16_e32 vcc, 0, v3
	s_andn2_b64 s[4:5], s[4:5], exec
	s_and_b64 s[8:9], vcc, exec
	v_mov_b32_e32 v4, 0
	s_or_b64 s[4:5], s[4:5], s[8:9]
	s_or_b64 exec, exec, s[6:7]
	s_and_saveexec_b64 s[6:7], s[4:5]
	s_cbranch_execnz .LBB31_247
	s_branch .LBB31_248
.LBB31_2297:
	s_movk_i32 s4, 0x80
	v_cmp_eq_u16_sdwa s[12:13], v9, s4 src0_sel:BYTE_3 src1_sel:DWORD
	s_mov_b64 s[4:5], -1
                                        ; implicit-def: $sgpr10
	s_and_saveexec_b64 s[8:9], s[12:13]
; %bb.2298:
	s_mov_b32 s10, 0x7f800001
	s_xor_b64 s[4:5], exec, -1
; %bb.2299:
	s_or_b64 exec, exec, s[8:9]
	s_and_b64 s[4:5], s[4:5], exec
	s_or_saveexec_b64 s[6:7], s[6:7]
	v_mov_b32_e32 v2, s10
	s_xor_b64 exec, exec, s[6:7]
	s_cbranch_execz .LBB31_250
.LBB31_2300:
	v_mov_b32_e32 v2, 0
	v_cmp_ne_u16_sdwa s[8:9], v9, v2 src0_sel:BYTE_3 src1_sel:DWORD
	s_andn2_b64 s[4:5], s[4:5], exec
	s_and_b64 s[8:9], s[8:9], exec
	s_or_b64 s[4:5], s[4:5], s[8:9]
	s_or_b64 exec, exec, s[6:7]
	s_and_saveexec_b64 s[6:7], s[4:5]
	s_cbranch_execnz .LBB31_251
	s_branch .LBB31_252
.LBB31_2301:
	s_movk_i32 s4, 0x80
	v_cmp_eq_u16_sdwa s[12:13], v5, s4 src0_sel:BYTE_3 src1_sel:DWORD
	s_mov_b64 s[4:5], -1
                                        ; implicit-def: $sgpr10
	s_and_saveexec_b64 s[8:9], s[12:13]
; %bb.2302:
	s_mov_b32 s10, 0x7f800001
	s_xor_b64 s[4:5], exec, -1
; %bb.2303:
	s_or_b64 exec, exec, s[8:9]
	s_and_b64 s[4:5], s[4:5], exec
	s_or_saveexec_b64 s[6:7], s[6:7]
	v_mov_b32_e32 v3, s10
	s_xor_b64 exec, exec, s[6:7]
	s_cbranch_execz .LBB31_254
.LBB31_2304:
	v_mov_b32_e32 v3, 0
	v_cmp_ne_u16_sdwa s[8:9], v5, v3 src0_sel:BYTE_3 src1_sel:DWORD
	s_andn2_b64 s[4:5], s[4:5], exec
	s_and_b64 s[8:9], s[8:9], exec
	s_or_b64 s[4:5], s[4:5], s[8:9]
	s_or_b64 exec, exec, s[6:7]
	s_and_saveexec_b64 s[6:7], s[4:5]
	s_cbranch_execnz .LBB31_255
	s_branch .LBB31_256
.LBB31_2305:
	s_movk_i32 s4, 0x80
	v_cmp_eq_u16_sdwa s[12:13], v14, s4 src0_sel:BYTE_0 src1_sel:DWORD
	s_mov_b64 s[4:5], -1
                                        ; implicit-def: $sgpr10
	s_and_saveexec_b64 s[8:9], s[12:13]
; %bb.2306:
	s_mov_b32 s10, 0x7f800001
	s_xor_b64 s[4:5], exec, -1
; %bb.2307:
	s_or_b64 exec, exec, s[8:9]
	s_and_b64 s[4:5], s[4:5], exec
	s_or_saveexec_b64 s[6:7], s[6:7]
	v_mov_b32_e32 v20, s10
	s_xor_b64 exec, exec, s[6:7]
	s_cbranch_execz .LBB31_258
.LBB31_2308:
	v_mov_b32_e32 v20, 0
	v_cmp_ne_u16_sdwa s[8:9], v14, v20 src0_sel:BYTE_0 src1_sel:DWORD
	s_andn2_b64 s[4:5], s[4:5], exec
	s_and_b64 s[8:9], s[8:9], exec
	s_or_b64 s[4:5], s[4:5], s[8:9]
	s_or_b64 exec, exec, s[6:7]
	s_and_saveexec_b64 s[6:7], s[4:5]
	s_cbranch_execnz .LBB31_259
	s_branch .LBB31_260
.LBB31_2309:
	s_movk_i32 s4, 0x80
	v_cmp_eq_u16_sdwa s[12:13], v10, s4 src0_sel:BYTE_0 src1_sel:DWORD
	s_mov_b64 s[4:5], -1
                                        ; implicit-def: $sgpr10
	s_and_saveexec_b64 s[8:9], s[12:13]
; %bb.2310:
	s_mov_b32 s10, 0x7f800001
	s_xor_b64 s[4:5], exec, -1
; %bb.2311:
	s_or_b64 exec, exec, s[8:9]
	s_and_b64 s[4:5], s[4:5], exec
	s_or_saveexec_b64 s[6:7], s[6:7]
	v_mov_b32_e32 v21, s10
	s_xor_b64 exec, exec, s[6:7]
	s_cbranch_execz .LBB31_262
.LBB31_2312:
	v_mov_b32_e32 v21, 0
	v_cmp_ne_u16_sdwa s[8:9], v10, v21 src0_sel:BYTE_0 src1_sel:DWORD
	s_andn2_b64 s[4:5], s[4:5], exec
	s_and_b64 s[8:9], s[8:9], exec
	s_or_b64 s[4:5], s[4:5], s[8:9]
	s_or_b64 exec, exec, s[6:7]
	s_and_saveexec_b64 s[6:7], s[4:5]
	s_cbranch_execnz .LBB31_263
	s_branch .LBB31_264
.LBB31_2313:
	s_movk_i32 s4, 0x80
	v_cmp_eq_u16_sdwa s[12:13], v21, s4 src0_sel:BYTE_0 src1_sel:DWORD
	s_mov_b64 s[4:5], -1
                                        ; implicit-def: $sgpr10
	s_and_saveexec_b64 s[8:9], s[12:13]
; %bb.2314:
	s_mov_b32 s10, 0x7f800001
	s_xor_b64 s[4:5], exec, -1
; %bb.2315:
	s_or_b64 exec, exec, s[8:9]
	s_and_b64 s[4:5], s[4:5], exec
	s_or_saveexec_b64 s[6:7], s[6:7]
	v_mov_b32_e32 v20, s10
	s_xor_b64 exec, exec, s[6:7]
	s_cbranch_execz .LBB31_266
.LBB31_2316:
	v_mov_b32_e32 v20, 0
	v_cmp_ne_u16_sdwa s[8:9], v21, v20 src0_sel:BYTE_0 src1_sel:DWORD
	s_andn2_b64 s[4:5], s[4:5], exec
	s_and_b64 s[8:9], s[8:9], exec
	s_or_b64 s[4:5], s[4:5], s[8:9]
	s_or_b64 exec, exec, s[6:7]
	s_and_saveexec_b64 s[6:7], s[4:5]
	s_cbranch_execnz .LBB31_267
	s_branch .LBB31_268
.LBB31_2317:
	s_movk_i32 s4, 0x80
	v_cmp_eq_u16_sdwa s[12:13], v21, s4 src0_sel:BYTE_0 src1_sel:DWORD
	s_mov_b64 s[4:5], -1
                                        ; implicit-def: $sgpr10
	s_and_saveexec_b64 s[8:9], s[12:13]
; %bb.2318:
	s_mov_b32 s10, 0x7f800001
	s_xor_b64 s[4:5], exec, -1
; %bb.2319:
	s_or_b64 exec, exec, s[8:9]
	s_and_b64 s[4:5], s[4:5], exec
	s_or_saveexec_b64 s[6:7], s[6:7]
	v_mov_b32_e32 v22, s10
	s_xor_b64 exec, exec, s[6:7]
	s_cbranch_execz .LBB31_270
.LBB31_2320:
	v_mov_b32_e32 v22, 0
	v_cmp_ne_u16_sdwa s[8:9], v21, v22 src0_sel:BYTE_0 src1_sel:DWORD
	s_andn2_b64 s[4:5], s[4:5], exec
	s_and_b64 s[8:9], s[8:9], exec
	s_or_b64 s[4:5], s[4:5], s[8:9]
	s_or_b64 exec, exec, s[6:7]
	s_and_saveexec_b64 s[6:7], s[4:5]
	s_cbranch_execnz .LBB31_271
	s_branch .LBB31_272
.LBB31_2321:
	s_movk_i32 s4, 0x80
	v_cmp_eq_u16_e32 vcc, s4, v21
	s_mov_b64 s[4:5], -1
                                        ; implicit-def: $sgpr10
	s_and_saveexec_b64 s[8:9], vcc
; %bb.2322:
	s_mov_b32 s10, 0x7f800001
	s_xor_b64 s[4:5], exec, -1
; %bb.2323:
	s_or_b64 exec, exec, s[8:9]
	s_and_b64 s[4:5], s[4:5], exec
                                        ; implicit-def: $vgpr21
	s_or_saveexec_b64 s[6:7], s[6:7]
	v_mov_b32_e32 v20, s10
	s_xor_b64 exec, exec, s[6:7]
	s_cbranch_execz .LBB31_274
.LBB31_2324:
	v_cmp_ne_u16_e32 vcc, 0, v21
	s_andn2_b64 s[4:5], s[4:5], exec
	s_and_b64 s[8:9], vcc, exec
	v_mov_b32_e32 v20, 0
	s_or_b64 s[4:5], s[4:5], s[8:9]
	s_or_b64 exec, exec, s[6:7]
	s_and_saveexec_b64 s[6:7], s[4:5]
	s_cbranch_execnz .LBB31_275
	s_branch .LBB31_276
.LBB31_2325:
	s_movk_i32 s4, 0x80
	v_cmp_eq_u16_e32 vcc, s4, v21
	s_mov_b64 s[4:5], -1
                                        ; implicit-def: $sgpr10
	s_and_saveexec_b64 s[8:9], vcc
; %bb.2326:
	s_mov_b32 s10, 0x7f800001
	s_xor_b64 s[4:5], exec, -1
; %bb.2327:
	s_or_b64 exec, exec, s[8:9]
	s_and_b64 s[4:5], s[4:5], exec
                                        ; implicit-def: $vgpr21
	s_or_saveexec_b64 s[6:7], s[6:7]
	v_mov_b32_e32 v22, s10
	s_xor_b64 exec, exec, s[6:7]
	s_cbranch_execz .LBB31_278
.LBB31_2328:
	v_cmp_ne_u16_e32 vcc, 0, v21
	s_andn2_b64 s[4:5], s[4:5], exec
	s_and_b64 s[8:9], vcc, exec
	v_mov_b32_e32 v22, 0
	s_or_b64 s[4:5], s[4:5], s[8:9]
	s_or_b64 exec, exec, s[6:7]
	s_and_saveexec_b64 s[6:7], s[4:5]
	s_cbranch_execnz .LBB31_279
	s_branch .LBB31_280
.LBB31_2329:
	s_movk_i32 s4, 0x80
	v_cmp_eq_u16_sdwa s[12:13], v14, s4 src0_sel:BYTE_3 src1_sel:DWORD
	s_mov_b64 s[4:5], -1
                                        ; implicit-def: $sgpr10
	s_and_saveexec_b64 s[8:9], s[12:13]
; %bb.2330:
	s_mov_b32 s10, 0x7f800001
	s_xor_b64 s[4:5], exec, -1
; %bb.2331:
	s_or_b64 exec, exec, s[8:9]
	s_and_b64 s[4:5], s[4:5], exec
	s_or_saveexec_b64 s[6:7], s[6:7]
	v_mov_b32_e32 v20, s10
	s_xor_b64 exec, exec, s[6:7]
	s_cbranch_execz .LBB31_282
.LBB31_2332:
	v_mov_b32_e32 v20, 0
	v_cmp_ne_u16_sdwa s[8:9], v14, v20 src0_sel:BYTE_3 src1_sel:DWORD
	s_andn2_b64 s[4:5], s[4:5], exec
	s_and_b64 s[8:9], s[8:9], exec
	s_or_b64 s[4:5], s[4:5], s[8:9]
	s_or_b64 exec, exec, s[6:7]
	s_and_saveexec_b64 s[6:7], s[4:5]
	s_cbranch_execnz .LBB31_283
	s_branch .LBB31_284
.LBB31_2333:
	s_movk_i32 s4, 0x80
	v_cmp_eq_u16_sdwa s[12:13], v10, s4 src0_sel:BYTE_3 src1_sel:DWORD
	s_mov_b64 s[4:5], -1
                                        ; implicit-def: $sgpr10
	s_and_saveexec_b64 s[8:9], s[12:13]
; %bb.2334:
	s_mov_b32 s10, 0x7f800001
	s_xor_b64 s[4:5], exec, -1
; %bb.2335:
	s_or_b64 exec, exec, s[8:9]
	s_and_b64 s[4:5], s[4:5], exec
	s_or_saveexec_b64 s[6:7], s[6:7]
	v_mov_b32_e32 v14, s10
	s_xor_b64 exec, exec, s[6:7]
	s_cbranch_execz .LBB31_286
.LBB31_2336:
	v_mov_b32_e32 v14, 0
	v_cmp_ne_u16_sdwa s[8:9], v10, v14 src0_sel:BYTE_3 src1_sel:DWORD
	s_andn2_b64 s[4:5], s[4:5], exec
	s_and_b64 s[8:9], s[8:9], exec
	s_or_b64 s[4:5], s[4:5], s[8:9]
	s_or_b64 exec, exec, s[6:7]
	s_and_saveexec_b64 s[6:7], s[4:5]
	s_cbranch_execnz .LBB31_287
	s_branch .LBB31_288
.LBB31_2337:
	s_movk_i32 s4, 0x80
	v_cmp_eq_u16_sdwa s[12:13], v15, s4 src0_sel:BYTE_0 src1_sel:DWORD
	s_mov_b64 s[4:5], -1
                                        ; implicit-def: $sgpr10
	s_and_saveexec_b64 s[8:9], s[12:13]
; %bb.2338:
	s_mov_b32 s10, 0x7f800001
	s_xor_b64 s[4:5], exec, -1
; %bb.2339:
	s_or_b64 exec, exec, s[8:9]
	s_and_b64 s[4:5], s[4:5], exec
	s_or_saveexec_b64 s[6:7], s[6:7]
	v_mov_b32_e32 v10, s10
	s_xor_b64 exec, exec, s[6:7]
	s_cbranch_execz .LBB31_290
.LBB31_2340:
	v_mov_b32_e32 v10, 0
	v_cmp_ne_u16_sdwa s[8:9], v15, v10 src0_sel:BYTE_0 src1_sel:DWORD
	s_andn2_b64 s[4:5], s[4:5], exec
	s_and_b64 s[8:9], s[8:9], exec
	s_or_b64 s[4:5], s[4:5], s[8:9]
	s_or_b64 exec, exec, s[6:7]
	s_and_saveexec_b64 s[6:7], s[4:5]
	s_cbranch_execnz .LBB31_291
	s_branch .LBB31_292
.LBB31_2341:
	s_movk_i32 s4, 0x80
	v_cmp_eq_u16_sdwa s[12:13], v11, s4 src0_sel:BYTE_0 src1_sel:DWORD
	s_mov_b64 s[4:5], -1
                                        ; implicit-def: $sgpr10
	s_and_saveexec_b64 s[8:9], s[12:13]
; %bb.2342:
	s_mov_b32 s10, 0x7f800001
	s_xor_b64 s[4:5], exec, -1
; %bb.2343:
	s_or_b64 exec, exec, s[8:9]
	s_and_b64 s[4:5], s[4:5], exec
	s_or_saveexec_b64 s[6:7], s[6:7]
	v_mov_b32_e32 v14, s10
	s_xor_b64 exec, exec, s[6:7]
	s_cbranch_execz .LBB31_294
.LBB31_2344:
	v_mov_b32_e32 v14, 0
	v_cmp_ne_u16_sdwa s[8:9], v11, v14 src0_sel:BYTE_0 src1_sel:DWORD
	s_andn2_b64 s[4:5], s[4:5], exec
	s_and_b64 s[8:9], s[8:9], exec
	s_or_b64 s[4:5], s[4:5], s[8:9]
	s_or_b64 exec, exec, s[6:7]
	s_and_saveexec_b64 s[6:7], s[4:5]
	s_cbranch_execnz .LBB31_295
	s_branch .LBB31_296
.LBB31_2345:
	s_movk_i32 s4, 0x80
	v_cmp_eq_u16_sdwa s[12:13], v14, s4 src0_sel:BYTE_0 src1_sel:DWORD
	s_mov_b64 s[4:5], -1
                                        ; implicit-def: $sgpr10
	s_and_saveexec_b64 s[8:9], s[12:13]
; %bb.2346:
	s_mov_b32 s10, 0x7f800001
	s_xor_b64 s[4:5], exec, -1
; %bb.2347:
	s_or_b64 exec, exec, s[8:9]
	s_and_b64 s[4:5], s[4:5], exec
	s_or_saveexec_b64 s[6:7], s[6:7]
	v_mov_b32_e32 v10, s10
	s_xor_b64 exec, exec, s[6:7]
	s_cbranch_execz .LBB31_298
.LBB31_2348:
	v_mov_b32_e32 v10, 0
	v_cmp_ne_u16_sdwa s[8:9], v14, v10 src0_sel:BYTE_0 src1_sel:DWORD
	s_andn2_b64 s[4:5], s[4:5], exec
	s_and_b64 s[8:9], s[8:9], exec
	s_or_b64 s[4:5], s[4:5], s[8:9]
	s_or_b64 exec, exec, s[6:7]
	s_and_saveexec_b64 s[6:7], s[4:5]
	s_cbranch_execnz .LBB31_299
	s_branch .LBB31_300
.LBB31_2349:
	s_movk_i32 s4, 0x80
	v_cmp_eq_u16_sdwa s[12:13], v14, s4 src0_sel:BYTE_0 src1_sel:DWORD
	s_mov_b64 s[4:5], -1
                                        ; implicit-def: $sgpr10
	s_and_saveexec_b64 s[8:9], s[12:13]
; %bb.2350:
	s_mov_b32 s10, 0x7f800001
	s_xor_b64 s[4:5], exec, -1
; %bb.2351:
	s_or_b64 exec, exec, s[8:9]
	s_and_b64 s[4:5], s[4:5], exec
	s_or_saveexec_b64 s[6:7], s[6:7]
	v_mov_b32_e32 v20, s10
	s_xor_b64 exec, exec, s[6:7]
	s_cbranch_execz .LBB31_302
.LBB31_2352:
	v_mov_b32_e32 v20, 0
	v_cmp_ne_u16_sdwa s[8:9], v14, v20 src0_sel:BYTE_0 src1_sel:DWORD
	s_andn2_b64 s[4:5], s[4:5], exec
	s_and_b64 s[8:9], s[8:9], exec
	s_or_b64 s[4:5], s[4:5], s[8:9]
	s_or_b64 exec, exec, s[6:7]
	s_and_saveexec_b64 s[6:7], s[4:5]
	s_cbranch_execnz .LBB31_303
	s_branch .LBB31_304
.LBB31_2353:
	s_movk_i32 s4, 0x80
	v_cmp_eq_u16_e32 vcc, s4, v14
	s_mov_b64 s[4:5], -1
                                        ; implicit-def: $sgpr10
	s_and_saveexec_b64 s[8:9], vcc
; %bb.2354:
	s_mov_b32 s10, 0x7f800001
	s_xor_b64 s[4:5], exec, -1
; %bb.2355:
	s_or_b64 exec, exec, s[8:9]
	s_and_b64 s[4:5], s[4:5], exec
                                        ; implicit-def: $vgpr14
	s_or_saveexec_b64 s[6:7], s[6:7]
	v_mov_b32_e32 v10, s10
	s_xor_b64 exec, exec, s[6:7]
	s_cbranch_execz .LBB31_306
.LBB31_2356:
	v_cmp_ne_u16_e32 vcc, 0, v14
	s_andn2_b64 s[4:5], s[4:5], exec
	s_and_b64 s[8:9], vcc, exec
	v_mov_b32_e32 v10, 0
	s_or_b64 s[4:5], s[4:5], s[8:9]
	s_or_b64 exec, exec, s[6:7]
	s_and_saveexec_b64 s[6:7], s[4:5]
	s_cbranch_execnz .LBB31_307
	s_branch .LBB31_308
.LBB31_2357:
	s_movk_i32 s4, 0x80
	v_cmp_eq_u16_e32 vcc, s4, v14
	s_mov_b64 s[4:5], -1
                                        ; implicit-def: $sgpr10
	s_and_saveexec_b64 s[8:9], vcc
; %bb.2358:
	s_mov_b32 s10, 0x7f800001
	s_xor_b64 s[4:5], exec, -1
; %bb.2359:
	s_or_b64 exec, exec, s[8:9]
	s_and_b64 s[4:5], s[4:5], exec
                                        ; implicit-def: $vgpr14
	s_or_saveexec_b64 s[6:7], s[6:7]
	v_mov_b32_e32 v20, s10
	s_xor_b64 exec, exec, s[6:7]
	s_cbranch_execz .LBB31_310
.LBB31_2360:
	v_cmp_ne_u16_e32 vcc, 0, v14
	s_andn2_b64 s[4:5], s[4:5], exec
	s_and_b64 s[8:9], vcc, exec
	v_mov_b32_e32 v20, 0
	s_or_b64 s[4:5], s[4:5], s[8:9]
	s_or_b64 exec, exec, s[6:7]
	s_and_saveexec_b64 s[6:7], s[4:5]
	s_cbranch_execnz .LBB31_311
	s_branch .LBB31_312
.LBB31_2361:
	s_movk_i32 s4, 0x80
	v_cmp_eq_u16_sdwa s[12:13], v15, s4 src0_sel:BYTE_3 src1_sel:DWORD
	s_mov_b64 s[4:5], -1
                                        ; implicit-def: $sgpr10
	s_and_saveexec_b64 s[8:9], s[12:13]
; %bb.2362:
	s_mov_b32 s10, 0x7f800001
	s_xor_b64 s[4:5], exec, -1
; %bb.2363:
	s_or_b64 exec, exec, s[8:9]
	s_and_b64 s[4:5], s[4:5], exec
	s_or_saveexec_b64 s[6:7], s[6:7]
	v_mov_b32_e32 v10, s10
	s_xor_b64 exec, exec, s[6:7]
	s_cbranch_execz .LBB31_314
.LBB31_2364:
	v_mov_b32_e32 v10, 0
	v_cmp_ne_u16_sdwa s[8:9], v15, v10 src0_sel:BYTE_3 src1_sel:DWORD
	s_andn2_b64 s[4:5], s[4:5], exec
	s_and_b64 s[8:9], s[8:9], exec
	s_or_b64 s[4:5], s[4:5], s[8:9]
	s_or_b64 exec, exec, s[6:7]
	s_and_saveexec_b64 s[6:7], s[4:5]
	s_cbranch_execnz .LBB31_315
	s_branch .LBB31_316
.LBB31_2365:
	s_movk_i32 s4, 0x80
	v_cmp_eq_u16_sdwa s[12:13], v11, s4 src0_sel:BYTE_3 src1_sel:DWORD
	s_mov_b64 s[4:5], -1
                                        ; implicit-def: $sgpr10
	s_and_saveexec_b64 s[8:9], s[12:13]
; %bb.2366:
	s_mov_b32 s10, 0x7f800001
	s_xor_b64 s[4:5], exec, -1
; %bb.2367:
	s_or_b64 exec, exec, s[8:9]
	s_and_b64 s[4:5], s[4:5], exec
	s_or_saveexec_b64 s[6:7], s[6:7]
	v_mov_b32_e32 v14, s10
	s_xor_b64 exec, exec, s[6:7]
	s_cbranch_execz .LBB31_318
.LBB31_2368:
	v_mov_b32_e32 v14, 0
	v_cmp_ne_u16_sdwa s[8:9], v11, v14 src0_sel:BYTE_3 src1_sel:DWORD
	s_andn2_b64 s[4:5], s[4:5], exec
	s_and_b64 s[8:9], s[8:9], exec
	s_or_b64 s[4:5], s[4:5], s[8:9]
	s_or_b64 exec, exec, s[6:7]
	s_and_saveexec_b64 s[6:7], s[4:5]
	s_cbranch_execnz .LBB31_319
	s_branch .LBB31_320
.LBB31_2369:
	s_movk_i32 s4, 0x80
	v_cmp_eq_u16_sdwa s[12:13], v16, s4 src0_sel:BYTE_0 src1_sel:DWORD
	s_mov_b64 s[4:5], -1
                                        ; implicit-def: $sgpr10
	s_and_saveexec_b64 s[8:9], s[12:13]
; %bb.2370:
	s_mov_b32 s10, 0x7f800001
	s_xor_b64 s[4:5], exec, -1
; %bb.2371:
	s_or_b64 exec, exec, s[8:9]
	s_and_b64 s[4:5], s[4:5], exec
	s_or_saveexec_b64 s[6:7], s[6:7]
	v_mov_b32_e32 v10, s10
	s_xor_b64 exec, exec, s[6:7]
	s_cbranch_execz .LBB31_322
.LBB31_2372:
	v_mov_b32_e32 v10, 0
	v_cmp_ne_u16_sdwa s[8:9], v16, v10 src0_sel:BYTE_0 src1_sel:DWORD
	s_andn2_b64 s[4:5], s[4:5], exec
	s_and_b64 s[8:9], s[8:9], exec
	s_or_b64 s[4:5], s[4:5], s[8:9]
	s_or_b64 exec, exec, s[6:7]
	s_and_saveexec_b64 s[6:7], s[4:5]
	s_cbranch_execnz .LBB31_323
	s_branch .LBB31_324
.LBB31_2373:
	s_movk_i32 s4, 0x80
	v_cmp_eq_u16_sdwa s[12:13], v12, s4 src0_sel:BYTE_0 src1_sel:DWORD
	s_mov_b64 s[4:5], -1
                                        ; implicit-def: $sgpr10
	s_and_saveexec_b64 s[8:9], s[12:13]
; %bb.2374:
	s_mov_b32 s10, 0x7f800001
	s_xor_b64 s[4:5], exec, -1
; %bb.2375:
	s_or_b64 exec, exec, s[8:9]
	s_and_b64 s[4:5], s[4:5], exec
	s_or_saveexec_b64 s[6:7], s[6:7]
	v_mov_b32_e32 v11, s10
	s_xor_b64 exec, exec, s[6:7]
	s_cbranch_execz .LBB31_326
.LBB31_2376:
	v_mov_b32_e32 v11, 0
	v_cmp_ne_u16_sdwa s[8:9], v12, v11 src0_sel:BYTE_0 src1_sel:DWORD
	s_andn2_b64 s[4:5], s[4:5], exec
	s_and_b64 s[8:9], s[8:9], exec
	s_or_b64 s[4:5], s[4:5], s[8:9]
	s_or_b64 exec, exec, s[6:7]
	s_and_saveexec_b64 s[6:7], s[4:5]
	s_cbranch_execnz .LBB31_327
	s_branch .LBB31_328
.LBB31_2377:
	s_movk_i32 s4, 0x80
	v_cmp_eq_u16_sdwa s[12:13], v11, s4 src0_sel:BYTE_0 src1_sel:DWORD
	s_mov_b64 s[4:5], -1
                                        ; implicit-def: $sgpr10
	s_and_saveexec_b64 s[8:9], s[12:13]
; %bb.2378:
	s_mov_b32 s10, 0x7f800001
	s_xor_b64 s[4:5], exec, -1
; %bb.2379:
	s_or_b64 exec, exec, s[8:9]
	s_and_b64 s[4:5], s[4:5], exec
	s_or_saveexec_b64 s[6:7], s[6:7]
	v_mov_b32_e32 v10, s10
	s_xor_b64 exec, exec, s[6:7]
	s_cbranch_execz .LBB31_330
.LBB31_2380:
	v_mov_b32_e32 v10, 0
	v_cmp_ne_u16_sdwa s[8:9], v11, v10 src0_sel:BYTE_0 src1_sel:DWORD
	s_andn2_b64 s[4:5], s[4:5], exec
	s_and_b64 s[8:9], s[8:9], exec
	s_or_b64 s[4:5], s[4:5], s[8:9]
	s_or_b64 exec, exec, s[6:7]
	s_and_saveexec_b64 s[6:7], s[4:5]
	s_cbranch_execnz .LBB31_331
	s_branch .LBB31_332
.LBB31_2381:
	s_movk_i32 s4, 0x80
	v_cmp_eq_u16_sdwa s[12:13], v11, s4 src0_sel:BYTE_0 src1_sel:DWORD
	s_mov_b64 s[4:5], -1
                                        ; implicit-def: $sgpr10
	s_and_saveexec_b64 s[8:9], s[12:13]
; %bb.2382:
	s_mov_b32 s10, 0x7f800001
	s_xor_b64 s[4:5], exec, -1
; %bb.2383:
	s_or_b64 exec, exec, s[8:9]
	s_and_b64 s[4:5], s[4:5], exec
	s_or_saveexec_b64 s[6:7], s[6:7]
	v_mov_b32_e32 v14, s10
	s_xor_b64 exec, exec, s[6:7]
	s_cbranch_execz .LBB31_334
.LBB31_2384:
	v_mov_b32_e32 v14, 0
	v_cmp_ne_u16_sdwa s[8:9], v11, v14 src0_sel:BYTE_0 src1_sel:DWORD
	s_andn2_b64 s[4:5], s[4:5], exec
	s_and_b64 s[8:9], s[8:9], exec
	s_or_b64 s[4:5], s[4:5], s[8:9]
	s_or_b64 exec, exec, s[6:7]
	s_and_saveexec_b64 s[6:7], s[4:5]
	s_cbranch_execnz .LBB31_335
	s_branch .LBB31_336
.LBB31_2385:
	s_movk_i32 s4, 0x80
	v_cmp_eq_u16_e32 vcc, s4, v11
	s_mov_b64 s[4:5], -1
                                        ; implicit-def: $sgpr10
	s_and_saveexec_b64 s[8:9], vcc
; %bb.2386:
	s_mov_b32 s10, 0x7f800001
	s_xor_b64 s[4:5], exec, -1
; %bb.2387:
	s_or_b64 exec, exec, s[8:9]
	s_and_b64 s[4:5], s[4:5], exec
                                        ; implicit-def: $vgpr11
	s_or_saveexec_b64 s[6:7], s[6:7]
	v_mov_b32_e32 v10, s10
	s_xor_b64 exec, exec, s[6:7]
	s_cbranch_execz .LBB31_338
.LBB31_2388:
	v_cmp_ne_u16_e32 vcc, 0, v11
	s_andn2_b64 s[4:5], s[4:5], exec
	s_and_b64 s[8:9], vcc, exec
	v_mov_b32_e32 v10, 0
	s_or_b64 s[4:5], s[4:5], s[8:9]
	s_or_b64 exec, exec, s[6:7]
	s_and_saveexec_b64 s[6:7], s[4:5]
	s_cbranch_execnz .LBB31_339
	s_branch .LBB31_340
.LBB31_2389:
	s_movk_i32 s4, 0x80
	v_cmp_eq_u16_e32 vcc, s4, v11
	s_mov_b64 s[4:5], -1
                                        ; implicit-def: $sgpr10
	s_and_saveexec_b64 s[8:9], vcc
; %bb.2390:
	s_mov_b32 s10, 0x7f800001
	s_xor_b64 s[4:5], exec, -1
; %bb.2391:
	s_or_b64 exec, exec, s[8:9]
	s_and_b64 s[4:5], s[4:5], exec
                                        ; implicit-def: $vgpr11
	s_or_saveexec_b64 s[6:7], s[6:7]
	v_mov_b32_e32 v14, s10
	s_xor_b64 exec, exec, s[6:7]
	s_cbranch_execz .LBB31_342
.LBB31_2392:
	v_cmp_ne_u16_e32 vcc, 0, v11
	s_andn2_b64 s[4:5], s[4:5], exec
	s_and_b64 s[8:9], vcc, exec
	v_mov_b32_e32 v14, 0
	s_or_b64 s[4:5], s[4:5], s[8:9]
	s_or_b64 exec, exec, s[6:7]
	s_and_saveexec_b64 s[6:7], s[4:5]
	s_cbranch_execnz .LBB31_343
	s_branch .LBB31_344
.LBB31_2393:
	s_movk_i32 s4, 0x80
	v_cmp_eq_u16_sdwa s[12:13], v16, s4 src0_sel:BYTE_3 src1_sel:DWORD
	s_mov_b64 s[4:5], -1
                                        ; implicit-def: $sgpr10
	s_and_saveexec_b64 s[8:9], s[12:13]
; %bb.2394:
	s_mov_b32 s10, 0x7f800001
	s_xor_b64 s[4:5], exec, -1
; %bb.2395:
	s_or_b64 exec, exec, s[8:9]
	s_and_b64 s[4:5], s[4:5], exec
	s_or_saveexec_b64 s[6:7], s[6:7]
	v_mov_b32_e32 v10, s10
	s_xor_b64 exec, exec, s[6:7]
	s_cbranch_execz .LBB31_346
.LBB31_2396:
	v_mov_b32_e32 v10, 0
	v_cmp_ne_u16_sdwa s[8:9], v16, v10 src0_sel:BYTE_3 src1_sel:DWORD
	s_andn2_b64 s[4:5], s[4:5], exec
	s_and_b64 s[8:9], s[8:9], exec
	s_or_b64 s[4:5], s[4:5], s[8:9]
	s_or_b64 exec, exec, s[6:7]
	s_and_saveexec_b64 s[6:7], s[4:5]
	s_cbranch_execnz .LBB31_347
	s_branch .LBB31_348
.LBB31_2397:
	s_movk_i32 s4, 0x80
	v_cmp_eq_u16_sdwa s[12:13], v12, s4 src0_sel:BYTE_3 src1_sel:DWORD
	s_mov_b64 s[4:5], -1
                                        ; implicit-def: $sgpr10
	s_and_saveexec_b64 s[8:9], s[12:13]
; %bb.2398:
	s_mov_b32 s10, 0x7f800001
	s_xor_b64 s[4:5], exec, -1
; %bb.2399:
	s_or_b64 exec, exec, s[8:9]
	s_and_b64 s[4:5], s[4:5], exec
	s_or_saveexec_b64 s[6:7], s[6:7]
	v_mov_b32_e32 v11, s10
	s_xor_b64 exec, exec, s[6:7]
	s_cbranch_execz .LBB31_350
.LBB31_2400:
	v_mov_b32_e32 v11, 0
	v_cmp_ne_u16_sdwa s[8:9], v12, v11 src0_sel:BYTE_3 src1_sel:DWORD
	s_andn2_b64 s[4:5], s[4:5], exec
	s_and_b64 s[8:9], s[8:9], exec
	s_or_b64 s[4:5], s[4:5], s[8:9]
	s_or_b64 exec, exec, s[6:7]
	s_and_saveexec_b64 s[6:7], s[4:5]
	s_cbranch_execnz .LBB31_351
	s_branch .LBB31_352
.LBB31_2401:
	s_movk_i32 s4, 0x80
	v_cmp_eq_u16_sdwa s[12:13], v17, s4 src0_sel:BYTE_0 src1_sel:DWORD
	s_mov_b64 s[4:5], -1
                                        ; implicit-def: $sgpr10
	s_and_saveexec_b64 s[8:9], s[12:13]
; %bb.2402:
	s_mov_b32 s10, 0x7f800001
	s_xor_b64 s[4:5], exec, -1
; %bb.2403:
	s_or_b64 exec, exec, s[8:9]
	s_and_b64 s[4:5], s[4:5], exec
	s_or_saveexec_b64 s[6:7], s[6:7]
	v_mov_b32_e32 v10, s10
	s_xor_b64 exec, exec, s[6:7]
	s_cbranch_execz .LBB31_354
.LBB31_2404:
	v_mov_b32_e32 v10, 0
	v_cmp_ne_u16_sdwa s[8:9], v17, v10 src0_sel:BYTE_0 src1_sel:DWORD
	s_andn2_b64 s[4:5], s[4:5], exec
	s_and_b64 s[8:9], s[8:9], exec
	s_or_b64 s[4:5], s[4:5], s[8:9]
	s_or_b64 exec, exec, s[6:7]
	s_and_saveexec_b64 s[6:7], s[4:5]
	s_cbranch_execnz .LBB31_355
	s_branch .LBB31_356
.LBB31_2405:
	s_movk_i32 s4, 0x80
	v_cmp_eq_u16_sdwa s[12:13], v13, s4 src0_sel:BYTE_0 src1_sel:DWORD
	s_mov_b64 s[4:5], -1
                                        ; implicit-def: $sgpr10
	s_and_saveexec_b64 s[8:9], s[12:13]
; %bb.2406:
	s_mov_b32 s10, 0x7f800001
	s_xor_b64 s[4:5], exec, -1
; %bb.2407:
	s_or_b64 exec, exec, s[8:9]
	s_and_b64 s[4:5], s[4:5], exec
	s_or_saveexec_b64 s[6:7], s[6:7]
	v_mov_b32_e32 v11, s10
	s_xor_b64 exec, exec, s[6:7]
	s_cbranch_execz .LBB31_358
.LBB31_2408:
	v_mov_b32_e32 v11, 0
	v_cmp_ne_u16_sdwa s[8:9], v13, v11 src0_sel:BYTE_0 src1_sel:DWORD
	s_andn2_b64 s[4:5], s[4:5], exec
	s_and_b64 s[8:9], s[8:9], exec
	s_or_b64 s[4:5], s[4:5], s[8:9]
	s_or_b64 exec, exec, s[6:7]
	s_and_saveexec_b64 s[6:7], s[4:5]
	s_cbranch_execnz .LBB31_359
	s_branch .LBB31_360
.LBB31_2409:
	s_movk_i32 s4, 0x80
	v_cmp_eq_u16_sdwa s[12:13], v11, s4 src0_sel:BYTE_0 src1_sel:DWORD
	s_mov_b64 s[4:5], -1
                                        ; implicit-def: $sgpr10
	s_and_saveexec_b64 s[8:9], s[12:13]
; %bb.2410:
	s_mov_b32 s10, 0x7f800001
	s_xor_b64 s[4:5], exec, -1
; %bb.2411:
	s_or_b64 exec, exec, s[8:9]
	s_and_b64 s[4:5], s[4:5], exec
	s_or_saveexec_b64 s[6:7], s[6:7]
	v_mov_b32_e32 v10, s10
	s_xor_b64 exec, exec, s[6:7]
	s_cbranch_execz .LBB31_362
.LBB31_2412:
	v_mov_b32_e32 v10, 0
	v_cmp_ne_u16_sdwa s[8:9], v11, v10 src0_sel:BYTE_0 src1_sel:DWORD
	s_andn2_b64 s[4:5], s[4:5], exec
	s_and_b64 s[8:9], s[8:9], exec
	s_or_b64 s[4:5], s[4:5], s[8:9]
	s_or_b64 exec, exec, s[6:7]
	s_and_saveexec_b64 s[6:7], s[4:5]
	s_cbranch_execnz .LBB31_363
	s_branch .LBB31_364
.LBB31_2413:
	s_movk_i32 s4, 0x80
	v_cmp_eq_u16_sdwa s[12:13], v11, s4 src0_sel:BYTE_0 src1_sel:DWORD
	s_mov_b64 s[4:5], -1
                                        ; implicit-def: $sgpr10
	s_and_saveexec_b64 s[8:9], s[12:13]
; %bb.2414:
	s_mov_b32 s10, 0x7f800001
	s_xor_b64 s[4:5], exec, -1
; %bb.2415:
	s_or_b64 exec, exec, s[8:9]
	s_and_b64 s[4:5], s[4:5], exec
	s_or_saveexec_b64 s[6:7], s[6:7]
	v_mov_b32_e32 v12, s10
	s_xor_b64 exec, exec, s[6:7]
	s_cbranch_execz .LBB31_366
.LBB31_2416:
	v_mov_b32_e32 v12, 0
	v_cmp_ne_u16_sdwa s[8:9], v11, v12 src0_sel:BYTE_0 src1_sel:DWORD
	s_andn2_b64 s[4:5], s[4:5], exec
	s_and_b64 s[8:9], s[8:9], exec
	s_or_b64 s[4:5], s[4:5], s[8:9]
	s_or_b64 exec, exec, s[6:7]
	s_and_saveexec_b64 s[6:7], s[4:5]
	s_cbranch_execnz .LBB31_367
	s_branch .LBB31_368
.LBB31_2417:
	s_movk_i32 s4, 0x80
	v_cmp_eq_u16_e32 vcc, s4, v11
	s_mov_b64 s[4:5], -1
                                        ; implicit-def: $sgpr10
	s_and_saveexec_b64 s[8:9], vcc
; %bb.2418:
	s_mov_b32 s10, 0x7f800001
	s_xor_b64 s[4:5], exec, -1
; %bb.2419:
	s_or_b64 exec, exec, s[8:9]
	s_and_b64 s[4:5], s[4:5], exec
                                        ; implicit-def: $vgpr11
	s_or_saveexec_b64 s[6:7], s[6:7]
	v_mov_b32_e32 v10, s10
	s_xor_b64 exec, exec, s[6:7]
	s_cbranch_execz .LBB31_370
.LBB31_2420:
	v_cmp_ne_u16_e32 vcc, 0, v11
	s_andn2_b64 s[4:5], s[4:5], exec
	s_and_b64 s[8:9], vcc, exec
	v_mov_b32_e32 v10, 0
	s_or_b64 s[4:5], s[4:5], s[8:9]
	s_or_b64 exec, exec, s[6:7]
	s_and_saveexec_b64 s[6:7], s[4:5]
	s_cbranch_execnz .LBB31_371
	s_branch .LBB31_372
.LBB31_2421:
	s_movk_i32 s4, 0x80
	v_cmp_eq_u16_e32 vcc, s4, v11
	s_mov_b64 s[4:5], -1
                                        ; implicit-def: $sgpr10
	s_and_saveexec_b64 s[8:9], vcc
; %bb.2422:
	s_mov_b32 s10, 0x7f800001
	s_xor_b64 s[4:5], exec, -1
; %bb.2423:
	s_or_b64 exec, exec, s[8:9]
	s_and_b64 s[4:5], s[4:5], exec
                                        ; implicit-def: $vgpr11
	s_or_saveexec_b64 s[6:7], s[6:7]
	v_mov_b32_e32 v12, s10
	s_xor_b64 exec, exec, s[6:7]
	s_cbranch_execz .LBB31_374
.LBB31_2424:
	v_cmp_ne_u16_e32 vcc, 0, v11
	s_andn2_b64 s[4:5], s[4:5], exec
	s_and_b64 s[8:9], vcc, exec
	v_mov_b32_e32 v12, 0
	s_or_b64 s[4:5], s[4:5], s[8:9]
	s_or_b64 exec, exec, s[6:7]
	s_and_saveexec_b64 s[6:7], s[4:5]
	s_cbranch_execnz .LBB31_375
	s_branch .LBB31_376
.LBB31_2425:
	s_movk_i32 s4, 0x80
	v_cmp_eq_u16_sdwa s[12:13], v17, s4 src0_sel:BYTE_3 src1_sel:DWORD
	s_mov_b64 s[4:5], -1
                                        ; implicit-def: $sgpr10
	s_and_saveexec_b64 s[8:9], s[12:13]
; %bb.2426:
	s_mov_b32 s10, 0x7f800001
	s_xor_b64 s[4:5], exec, -1
; %bb.2427:
	s_or_b64 exec, exec, s[8:9]
	s_and_b64 s[4:5], s[4:5], exec
	s_or_saveexec_b64 s[6:7], s[6:7]
	v_mov_b32_e32 v10, s10
	s_xor_b64 exec, exec, s[6:7]
	s_cbranch_execz .LBB31_378
.LBB31_2428:
	v_mov_b32_e32 v10, 0
	v_cmp_ne_u16_sdwa s[8:9], v17, v10 src0_sel:BYTE_3 src1_sel:DWORD
	s_andn2_b64 s[4:5], s[4:5], exec
	s_and_b64 s[8:9], s[8:9], exec
	s_or_b64 s[4:5], s[4:5], s[8:9]
	s_or_b64 exec, exec, s[6:7]
	s_and_saveexec_b64 s[6:7], s[4:5]
	s_cbranch_execnz .LBB31_379
	s_branch .LBB31_380
.LBB31_2429:
	s_movk_i32 s4, 0x80
	v_cmp_eq_u16_sdwa s[12:13], v13, s4 src0_sel:BYTE_3 src1_sel:DWORD
	s_mov_b64 s[4:5], -1
                                        ; implicit-def: $sgpr10
	s_and_saveexec_b64 s[8:9], s[12:13]
; %bb.2430:
	s_mov_b32 s10, 0x7f800001
	s_xor_b64 s[4:5], exec, -1
; %bb.2431:
	s_or_b64 exec, exec, s[8:9]
	s_and_b64 s[4:5], s[4:5], exec
	s_or_saveexec_b64 s[6:7], s[6:7]
	v_mov_b32_e32 v11, s10
	s_xor_b64 exec, exec, s[6:7]
	s_cbranch_execz .LBB31_382
.LBB31_2432:
	v_mov_b32_e32 v11, 0
	v_cmp_ne_u16_sdwa s[8:9], v13, v11 src0_sel:BYTE_3 src1_sel:DWORD
	s_andn2_b64 s[4:5], s[4:5], exec
	s_and_b64 s[8:9], s[8:9], exec
	s_or_b64 s[4:5], s[4:5], s[8:9]
	s_or_b64 exec, exec, s[6:7]
	s_and_saveexec_b64 s[6:7], s[4:5]
	s_cbranch_execnz .LBB31_383
	s_branch .LBB31_384
.LBB31_2433:
	s_movk_i32 s4, 0x80
	v_cmp_eq_u16_sdwa s[12:13], v6, s4 src0_sel:BYTE_0 src1_sel:DWORD
	s_mov_b64 s[4:5], -1
                                        ; implicit-def: $sgpr10
	s_and_saveexec_b64 s[8:9], s[12:13]
; %bb.2434:
	s_mov_b32 s10, 0x7f800001
	s_xor_b64 s[4:5], exec, -1
; %bb.2435:
	s_or_b64 exec, exec, s[8:9]
	s_and_b64 s[4:5], s[4:5], exec
	s_or_saveexec_b64 s[6:7], s[6:7]
	v_mov_b32_e32 v10, s10
	s_xor_b64 exec, exec, s[6:7]
	s_cbranch_execz .LBB31_386
.LBB31_2436:
	v_mov_b32_e32 v10, 0
	v_cmp_ne_u16_sdwa s[8:9], v6, v10 src0_sel:BYTE_0 src1_sel:DWORD
	s_andn2_b64 s[4:5], s[4:5], exec
	s_and_b64 s[8:9], s[8:9], exec
	s_or_b64 s[4:5], s[4:5], s[8:9]
	s_or_b64 exec, exec, s[6:7]
	s_and_saveexec_b64 s[6:7], s[4:5]
	s_cbranch_execnz .LBB31_387
	s_branch .LBB31_388
.LBB31_2437:
	s_movk_i32 s4, 0x80
	v_cmp_eq_u16_sdwa s[12:13], v2, s4 src0_sel:BYTE_0 src1_sel:DWORD
	s_mov_b64 s[4:5], -1
                                        ; implicit-def: $sgpr10
	s_and_saveexec_b64 s[8:9], s[12:13]
; %bb.2438:
	s_mov_b32 s10, 0x7f800001
	s_xor_b64 s[4:5], exec, -1
; %bb.2439:
	s_or_b64 exec, exec, s[8:9]
	s_and_b64 s[4:5], s[4:5], exec
	s_or_saveexec_b64 s[6:7], s[6:7]
	v_mov_b32_e32 v11, s10
	s_xor_b64 exec, exec, s[6:7]
	s_cbranch_execz .LBB31_390
.LBB31_2440:
	v_mov_b32_e32 v11, 0
	v_cmp_ne_u16_sdwa s[8:9], v2, v11 src0_sel:BYTE_0 src1_sel:DWORD
	s_andn2_b64 s[4:5], s[4:5], exec
	s_and_b64 s[8:9], s[8:9], exec
	s_or_b64 s[4:5], s[4:5], s[8:9]
	s_or_b64 exec, exec, s[6:7]
	s_and_saveexec_b64 s[6:7], s[4:5]
	s_cbranch_execnz .LBB31_391
	s_branch .LBB31_392
.LBB31_2441:
	s_movk_i32 s4, 0x80
	v_cmp_eq_u16_sdwa s[12:13], v11, s4 src0_sel:BYTE_0 src1_sel:DWORD
	s_mov_b64 s[4:5], -1
                                        ; implicit-def: $sgpr10
	s_and_saveexec_b64 s[8:9], s[12:13]
; %bb.2442:
	s_mov_b32 s10, 0x7f800001
	s_xor_b64 s[4:5], exec, -1
; %bb.2443:
	s_or_b64 exec, exec, s[8:9]
	s_and_b64 s[4:5], s[4:5], exec
	s_or_saveexec_b64 s[6:7], s[6:7]
	v_mov_b32_e32 v10, s10
	s_xor_b64 exec, exec, s[6:7]
	s_cbranch_execz .LBB31_394
.LBB31_2444:
	v_mov_b32_e32 v10, 0
	v_cmp_ne_u16_sdwa s[8:9], v11, v10 src0_sel:BYTE_0 src1_sel:DWORD
	s_andn2_b64 s[4:5], s[4:5], exec
	s_and_b64 s[8:9], s[8:9], exec
	s_or_b64 s[4:5], s[4:5], s[8:9]
	s_or_b64 exec, exec, s[6:7]
	s_and_saveexec_b64 s[6:7], s[4:5]
	s_cbranch_execnz .LBB31_395
	s_branch .LBB31_396
.LBB31_2445:
	s_movk_i32 s4, 0x80
	v_cmp_eq_u16_sdwa s[12:13], v11, s4 src0_sel:BYTE_0 src1_sel:DWORD
	s_mov_b64 s[4:5], -1
                                        ; implicit-def: $sgpr10
	s_and_saveexec_b64 s[8:9], s[12:13]
; %bb.2446:
	s_mov_b32 s10, 0x7f800001
	s_xor_b64 s[4:5], exec, -1
; %bb.2447:
	s_or_b64 exec, exec, s[8:9]
	s_and_b64 s[4:5], s[4:5], exec
	s_or_saveexec_b64 s[6:7], s[6:7]
	v_mov_b32_e32 v12, s10
	s_xor_b64 exec, exec, s[6:7]
	s_cbranch_execz .LBB31_398
.LBB31_2448:
	v_mov_b32_e32 v12, 0
	v_cmp_ne_u16_sdwa s[8:9], v11, v12 src0_sel:BYTE_0 src1_sel:DWORD
	s_andn2_b64 s[4:5], s[4:5], exec
	s_and_b64 s[8:9], s[8:9], exec
	s_or_b64 s[4:5], s[4:5], s[8:9]
	s_or_b64 exec, exec, s[6:7]
	s_and_saveexec_b64 s[6:7], s[4:5]
	s_cbranch_execnz .LBB31_399
	s_branch .LBB31_400
.LBB31_2449:
	s_movk_i32 s4, 0x80
	v_cmp_eq_u16_e32 vcc, s4, v11
	s_mov_b64 s[4:5], -1
                                        ; implicit-def: $sgpr10
	s_and_saveexec_b64 s[8:9], vcc
; %bb.2450:
	s_mov_b32 s10, 0x7f800001
	s_xor_b64 s[4:5], exec, -1
; %bb.2451:
	s_or_b64 exec, exec, s[8:9]
	s_and_b64 s[4:5], s[4:5], exec
                                        ; implicit-def: $vgpr11
	s_or_saveexec_b64 s[6:7], s[6:7]
	v_mov_b32_e32 v10, s10
	s_xor_b64 exec, exec, s[6:7]
	s_cbranch_execz .LBB31_402
.LBB31_2452:
	v_cmp_ne_u16_e32 vcc, 0, v11
	s_andn2_b64 s[4:5], s[4:5], exec
	s_and_b64 s[8:9], vcc, exec
	v_mov_b32_e32 v10, 0
	s_or_b64 s[4:5], s[4:5], s[8:9]
	s_or_b64 exec, exec, s[6:7]
	s_and_saveexec_b64 s[6:7], s[4:5]
	s_cbranch_execnz .LBB31_403
	s_branch .LBB31_404
.LBB31_2453:
	s_movk_i32 s4, 0x80
	v_cmp_eq_u16_e32 vcc, s4, v11
	s_mov_b64 s[4:5], -1
                                        ; implicit-def: $sgpr10
	s_and_saveexec_b64 s[8:9], vcc
; %bb.2454:
	s_mov_b32 s10, 0x7f800001
	s_xor_b64 s[4:5], exec, -1
; %bb.2455:
	s_or_b64 exec, exec, s[8:9]
	s_and_b64 s[4:5], s[4:5], exec
                                        ; implicit-def: $vgpr11
	s_or_saveexec_b64 s[6:7], s[6:7]
	v_mov_b32_e32 v12, s10
	s_xor_b64 exec, exec, s[6:7]
	s_cbranch_execz .LBB31_406
.LBB31_2456:
	v_cmp_ne_u16_e32 vcc, 0, v11
	s_andn2_b64 s[4:5], s[4:5], exec
	s_and_b64 s[8:9], vcc, exec
	v_mov_b32_e32 v12, 0
	s_or_b64 s[4:5], s[4:5], s[8:9]
	s_or_b64 exec, exec, s[6:7]
	s_and_saveexec_b64 s[6:7], s[4:5]
	s_cbranch_execnz .LBB31_407
	s_branch .LBB31_408
.LBB31_2457:
	s_movk_i32 s4, 0x80
	v_cmp_eq_u16_sdwa s[12:13], v6, s4 src0_sel:BYTE_3 src1_sel:DWORD
	s_mov_b64 s[4:5], -1
                                        ; implicit-def: $sgpr10
	s_and_saveexec_b64 s[8:9], s[12:13]
; %bb.2458:
	s_mov_b32 s10, 0x7f800001
	s_xor_b64 s[4:5], exec, -1
; %bb.2459:
	s_or_b64 exec, exec, s[8:9]
	s_and_b64 s[4:5], s[4:5], exec
	s_or_saveexec_b64 s[6:7], s[6:7]
	v_mov_b32_e32 v10, s10
	s_xor_b64 exec, exec, s[6:7]
	s_cbranch_execz .LBB31_410
.LBB31_2460:
	v_mov_b32_e32 v10, 0
	v_cmp_ne_u16_sdwa s[8:9], v6, v10 src0_sel:BYTE_3 src1_sel:DWORD
	s_andn2_b64 s[4:5], s[4:5], exec
	s_and_b64 s[8:9], s[8:9], exec
	s_or_b64 s[4:5], s[4:5], s[8:9]
	s_or_b64 exec, exec, s[6:7]
	s_and_saveexec_b64 s[6:7], s[4:5]
	s_cbranch_execnz .LBB31_411
	s_branch .LBB31_412
.LBB31_2461:
	s_movk_i32 s4, 0x80
	v_cmp_eq_u16_sdwa s[12:13], v2, s4 src0_sel:BYTE_3 src1_sel:DWORD
	s_mov_b64 s[4:5], -1
                                        ; implicit-def: $sgpr10
	s_and_saveexec_b64 s[8:9], s[12:13]
; %bb.2462:
	s_mov_b32 s10, 0x7f800001
	s_xor_b64 s[4:5], exec, -1
; %bb.2463:
	s_or_b64 exec, exec, s[8:9]
	s_and_b64 s[4:5], s[4:5], exec
	s_or_saveexec_b64 s[6:7], s[6:7]
	v_mov_b32_e32 v6, s10
	s_xor_b64 exec, exec, s[6:7]
	s_cbranch_execz .LBB31_414
.LBB31_2464:
	v_mov_b32_e32 v6, 0
	v_cmp_ne_u16_sdwa s[8:9], v2, v6 src0_sel:BYTE_3 src1_sel:DWORD
	s_andn2_b64 s[4:5], s[4:5], exec
	s_and_b64 s[8:9], s[8:9], exec
	s_or_b64 s[4:5], s[4:5], s[8:9]
	s_or_b64 exec, exec, s[6:7]
	s_and_saveexec_b64 s[6:7], s[4:5]
	s_cbranch_execnz .LBB31_415
	s_branch .LBB31_416
.LBB31_2465:
	s_movk_i32 s4, 0x80
	v_cmp_eq_u16_sdwa s[12:13], v7, s4 src0_sel:BYTE_0 src1_sel:DWORD
	s_mov_b64 s[4:5], -1
                                        ; implicit-def: $sgpr10
	s_and_saveexec_b64 s[8:9], s[12:13]
; %bb.2466:
	s_mov_b32 s10, 0x7f800001
	s_xor_b64 s[4:5], exec, -1
; %bb.2467:
	s_or_b64 exec, exec, s[8:9]
	s_and_b64 s[4:5], s[4:5], exec
	s_or_saveexec_b64 s[6:7], s[6:7]
	v_mov_b32_e32 v2, s10
	s_xor_b64 exec, exec, s[6:7]
	s_cbranch_execz .LBB31_418
.LBB31_2468:
	v_mov_b32_e32 v2, 0
	v_cmp_ne_u16_sdwa s[8:9], v7, v2 src0_sel:BYTE_0 src1_sel:DWORD
	s_andn2_b64 s[4:5], s[4:5], exec
	s_and_b64 s[8:9], s[8:9], exec
	s_or_b64 s[4:5], s[4:5], s[8:9]
	s_or_b64 exec, exec, s[6:7]
	s_and_saveexec_b64 s[6:7], s[4:5]
	s_cbranch_execnz .LBB31_419
	s_branch .LBB31_420
.LBB31_2469:
	s_movk_i32 s4, 0x80
	v_cmp_eq_u16_sdwa s[12:13], v3, s4 src0_sel:BYTE_0 src1_sel:DWORD
	s_mov_b64 s[4:5], -1
                                        ; implicit-def: $sgpr10
	s_and_saveexec_b64 s[8:9], s[12:13]
; %bb.2470:
	s_mov_b32 s10, 0x7f800001
	s_xor_b64 s[4:5], exec, -1
; %bb.2471:
	s_or_b64 exec, exec, s[8:9]
	s_and_b64 s[4:5], s[4:5], exec
	s_or_saveexec_b64 s[6:7], s[6:7]
	v_mov_b32_e32 v6, s10
	s_xor_b64 exec, exec, s[6:7]
	s_cbranch_execz .LBB31_422
.LBB31_2472:
	v_mov_b32_e32 v6, 0
	v_cmp_ne_u16_sdwa s[8:9], v3, v6 src0_sel:BYTE_0 src1_sel:DWORD
	s_andn2_b64 s[4:5], s[4:5], exec
	s_and_b64 s[8:9], s[8:9], exec
	s_or_b64 s[4:5], s[4:5], s[8:9]
	s_or_b64 exec, exec, s[6:7]
	s_and_saveexec_b64 s[6:7], s[4:5]
	s_cbranch_execnz .LBB31_423
	s_branch .LBB31_424
.LBB31_2473:
	s_movk_i32 s4, 0x80
	v_cmp_eq_u16_sdwa s[12:13], v6, s4 src0_sel:BYTE_0 src1_sel:DWORD
	s_mov_b64 s[4:5], -1
                                        ; implicit-def: $sgpr10
	s_and_saveexec_b64 s[8:9], s[12:13]
; %bb.2474:
	s_mov_b32 s10, 0x7f800001
	s_xor_b64 s[4:5], exec, -1
; %bb.2475:
	s_or_b64 exec, exec, s[8:9]
	s_and_b64 s[4:5], s[4:5], exec
	s_or_saveexec_b64 s[6:7], s[6:7]
	v_mov_b32_e32 v2, s10
	s_xor_b64 exec, exec, s[6:7]
	s_cbranch_execz .LBB31_426
.LBB31_2476:
	v_mov_b32_e32 v2, 0
	v_cmp_ne_u16_sdwa s[8:9], v6, v2 src0_sel:BYTE_0 src1_sel:DWORD
	s_andn2_b64 s[4:5], s[4:5], exec
	s_and_b64 s[8:9], s[8:9], exec
	s_or_b64 s[4:5], s[4:5], s[8:9]
	s_or_b64 exec, exec, s[6:7]
	s_and_saveexec_b64 s[6:7], s[4:5]
	s_cbranch_execnz .LBB31_427
	s_branch .LBB31_428
.LBB31_2477:
	s_movk_i32 s4, 0x80
	v_cmp_eq_u16_sdwa s[12:13], v6, s4 src0_sel:BYTE_0 src1_sel:DWORD
	s_mov_b64 s[4:5], -1
                                        ; implicit-def: $sgpr10
	s_and_saveexec_b64 s[8:9], s[12:13]
; %bb.2478:
	s_mov_b32 s10, 0x7f800001
	s_xor_b64 s[4:5], exec, -1
; %bb.2479:
	s_or_b64 exec, exec, s[8:9]
	s_and_b64 s[4:5], s[4:5], exec
	s_or_saveexec_b64 s[6:7], s[6:7]
	v_mov_b32_e32 v10, s10
	s_xor_b64 exec, exec, s[6:7]
	s_cbranch_execz .LBB31_430
.LBB31_2480:
	v_mov_b32_e32 v10, 0
	v_cmp_ne_u16_sdwa s[8:9], v6, v10 src0_sel:BYTE_0 src1_sel:DWORD
	s_andn2_b64 s[4:5], s[4:5], exec
	s_and_b64 s[8:9], s[8:9], exec
	s_or_b64 s[4:5], s[4:5], s[8:9]
	s_or_b64 exec, exec, s[6:7]
	s_and_saveexec_b64 s[6:7], s[4:5]
	s_cbranch_execnz .LBB31_431
	s_branch .LBB31_432
.LBB31_2481:
	s_movk_i32 s4, 0x80
	v_cmp_eq_u16_e32 vcc, s4, v6
	s_mov_b64 s[4:5], -1
                                        ; implicit-def: $sgpr10
	s_and_saveexec_b64 s[8:9], vcc
; %bb.2482:
	s_mov_b32 s10, 0x7f800001
	s_xor_b64 s[4:5], exec, -1
; %bb.2483:
	s_or_b64 exec, exec, s[8:9]
	s_and_b64 s[4:5], s[4:5], exec
                                        ; implicit-def: $vgpr6
	s_or_saveexec_b64 s[6:7], s[6:7]
	v_mov_b32_e32 v2, s10
	s_xor_b64 exec, exec, s[6:7]
	s_cbranch_execz .LBB31_434
.LBB31_2484:
	v_cmp_ne_u16_e32 vcc, 0, v6
	s_andn2_b64 s[4:5], s[4:5], exec
	s_and_b64 s[8:9], vcc, exec
	v_mov_b32_e32 v2, 0
	s_or_b64 s[4:5], s[4:5], s[8:9]
	s_or_b64 exec, exec, s[6:7]
	s_and_saveexec_b64 s[6:7], s[4:5]
	s_cbranch_execnz .LBB31_435
	s_branch .LBB31_436
.LBB31_2485:
	s_movk_i32 s4, 0x80
	v_cmp_eq_u16_e32 vcc, s4, v6
	s_mov_b64 s[4:5], -1
                                        ; implicit-def: $sgpr10
	s_and_saveexec_b64 s[8:9], vcc
; %bb.2486:
	s_mov_b32 s10, 0x7f800001
	s_xor_b64 s[4:5], exec, -1
; %bb.2487:
	s_or_b64 exec, exec, s[8:9]
	s_and_b64 s[4:5], s[4:5], exec
                                        ; implicit-def: $vgpr6
	s_or_saveexec_b64 s[6:7], s[6:7]
	v_mov_b32_e32 v10, s10
	s_xor_b64 exec, exec, s[6:7]
	s_cbranch_execz .LBB31_438
.LBB31_2488:
	v_cmp_ne_u16_e32 vcc, 0, v6
	s_andn2_b64 s[4:5], s[4:5], exec
	s_and_b64 s[8:9], vcc, exec
	v_mov_b32_e32 v10, 0
	s_or_b64 s[4:5], s[4:5], s[8:9]
	s_or_b64 exec, exec, s[6:7]
	s_and_saveexec_b64 s[6:7], s[4:5]
	s_cbranch_execnz .LBB31_439
	s_branch .LBB31_440
.LBB31_2489:
	s_movk_i32 s4, 0x80
	v_cmp_eq_u16_sdwa s[12:13], v7, s4 src0_sel:BYTE_3 src1_sel:DWORD
	s_mov_b64 s[4:5], -1
                                        ; implicit-def: $sgpr10
	s_and_saveexec_b64 s[8:9], s[12:13]
; %bb.2490:
	s_mov_b32 s10, 0x7f800001
	s_xor_b64 s[4:5], exec, -1
; %bb.2491:
	s_or_b64 exec, exec, s[8:9]
	s_and_b64 s[4:5], s[4:5], exec
	s_or_saveexec_b64 s[6:7], s[6:7]
	v_mov_b32_e32 v2, s10
	s_xor_b64 exec, exec, s[6:7]
	s_cbranch_execz .LBB31_442
.LBB31_2492:
	v_mov_b32_e32 v2, 0
	v_cmp_ne_u16_sdwa s[8:9], v7, v2 src0_sel:BYTE_3 src1_sel:DWORD
	s_andn2_b64 s[4:5], s[4:5], exec
	s_and_b64 s[8:9], s[8:9], exec
	s_or_b64 s[4:5], s[4:5], s[8:9]
	s_or_b64 exec, exec, s[6:7]
	s_and_saveexec_b64 s[6:7], s[4:5]
	s_cbranch_execnz .LBB31_443
	s_branch .LBB31_444
.LBB31_2493:
	s_movk_i32 s4, 0x80
	v_cmp_eq_u16_sdwa s[12:13], v3, s4 src0_sel:BYTE_3 src1_sel:DWORD
	s_mov_b64 s[4:5], -1
                                        ; implicit-def: $sgpr10
	s_and_saveexec_b64 s[8:9], s[12:13]
; %bb.2494:
	s_mov_b32 s10, 0x7f800001
	s_xor_b64 s[4:5], exec, -1
; %bb.2495:
	s_or_b64 exec, exec, s[8:9]
	s_and_b64 s[4:5], s[4:5], exec
	s_or_saveexec_b64 s[6:7], s[6:7]
	v_mov_b32_e32 v6, s10
	s_xor_b64 exec, exec, s[6:7]
	s_cbranch_execz .LBB31_446
.LBB31_2496:
	v_mov_b32_e32 v6, 0
	v_cmp_ne_u16_sdwa s[8:9], v3, v6 src0_sel:BYTE_3 src1_sel:DWORD
	s_andn2_b64 s[4:5], s[4:5], exec
	s_and_b64 s[8:9], s[8:9], exec
	s_or_b64 s[4:5], s[4:5], s[8:9]
	s_or_b64 exec, exec, s[6:7]
	s_and_saveexec_b64 s[6:7], s[4:5]
	s_cbranch_execnz .LBB31_447
	s_branch .LBB31_448
.LBB31_2497:
	s_movk_i32 s4, 0x80
	v_cmp_eq_u16_sdwa s[12:13], v8, s4 src0_sel:BYTE_0 src1_sel:DWORD
	s_mov_b64 s[4:5], -1
                                        ; implicit-def: $sgpr10
	s_and_saveexec_b64 s[8:9], s[12:13]
; %bb.2498:
	s_mov_b32 s10, 0x7f800001
	s_xor_b64 s[4:5], exec, -1
; %bb.2499:
	s_or_b64 exec, exec, s[8:9]
	s_and_b64 s[4:5], s[4:5], exec
	s_or_saveexec_b64 s[6:7], s[6:7]
	v_mov_b32_e32 v2, s10
	s_xor_b64 exec, exec, s[6:7]
	s_cbranch_execz .LBB31_450
.LBB31_2500:
	v_mov_b32_e32 v2, 0
	v_cmp_ne_u16_sdwa s[8:9], v8, v2 src0_sel:BYTE_0 src1_sel:DWORD
	s_andn2_b64 s[4:5], s[4:5], exec
	s_and_b64 s[8:9], s[8:9], exec
	s_or_b64 s[4:5], s[4:5], s[8:9]
	s_or_b64 exec, exec, s[6:7]
	s_and_saveexec_b64 s[6:7], s[4:5]
	s_cbranch_execnz .LBB31_451
	s_branch .LBB31_452
.LBB31_2501:
	s_movk_i32 s4, 0x80
	v_cmp_eq_u16_sdwa s[12:13], v4, s4 src0_sel:BYTE_0 src1_sel:DWORD
	s_mov_b64 s[4:5], -1
                                        ; implicit-def: $sgpr10
	s_and_saveexec_b64 s[8:9], s[12:13]
; %bb.2502:
	s_mov_b32 s10, 0x7f800001
	s_xor_b64 s[4:5], exec, -1
; %bb.2503:
	s_or_b64 exec, exec, s[8:9]
	s_and_b64 s[4:5], s[4:5], exec
	s_or_saveexec_b64 s[6:7], s[6:7]
	v_mov_b32_e32 v3, s10
	s_xor_b64 exec, exec, s[6:7]
	s_cbranch_execz .LBB31_454
.LBB31_2504:
	v_mov_b32_e32 v3, 0
	v_cmp_ne_u16_sdwa s[8:9], v4, v3 src0_sel:BYTE_0 src1_sel:DWORD
	s_andn2_b64 s[4:5], s[4:5], exec
	s_and_b64 s[8:9], s[8:9], exec
	s_or_b64 s[4:5], s[4:5], s[8:9]
	s_or_b64 exec, exec, s[6:7]
	s_and_saveexec_b64 s[6:7], s[4:5]
	s_cbranch_execnz .LBB31_455
	s_branch .LBB31_456
.LBB31_2505:
	s_movk_i32 s4, 0x80
	v_cmp_eq_u16_sdwa s[12:13], v3, s4 src0_sel:BYTE_0 src1_sel:DWORD
	s_mov_b64 s[4:5], -1
                                        ; implicit-def: $sgpr10
	s_and_saveexec_b64 s[8:9], s[12:13]
; %bb.2506:
	s_mov_b32 s10, 0x7f800001
	s_xor_b64 s[4:5], exec, -1
; %bb.2507:
	s_or_b64 exec, exec, s[8:9]
	s_and_b64 s[4:5], s[4:5], exec
	s_or_saveexec_b64 s[6:7], s[6:7]
	v_mov_b32_e32 v2, s10
	s_xor_b64 exec, exec, s[6:7]
	s_cbranch_execz .LBB31_458
.LBB31_2508:
	v_mov_b32_e32 v2, 0
	v_cmp_ne_u16_sdwa s[8:9], v3, v2 src0_sel:BYTE_0 src1_sel:DWORD
	s_andn2_b64 s[4:5], s[4:5], exec
	s_and_b64 s[8:9], s[8:9], exec
	s_or_b64 s[4:5], s[4:5], s[8:9]
	s_or_b64 exec, exec, s[6:7]
	s_and_saveexec_b64 s[6:7], s[4:5]
	s_cbranch_execnz .LBB31_459
	s_branch .LBB31_460
.LBB31_2509:
	s_movk_i32 s4, 0x80
	v_cmp_eq_u16_sdwa s[12:13], v3, s4 src0_sel:BYTE_0 src1_sel:DWORD
	s_mov_b64 s[4:5], -1
                                        ; implicit-def: $sgpr10
	s_and_saveexec_b64 s[8:9], s[12:13]
; %bb.2510:
	s_mov_b32 s10, 0x7f800001
	s_xor_b64 s[4:5], exec, -1
; %bb.2511:
	s_or_b64 exec, exec, s[8:9]
	s_and_b64 s[4:5], s[4:5], exec
	s_or_saveexec_b64 s[6:7], s[6:7]
	v_mov_b32_e32 v6, s10
	s_xor_b64 exec, exec, s[6:7]
	s_cbranch_execz .LBB31_462
.LBB31_2512:
	v_mov_b32_e32 v6, 0
	v_cmp_ne_u16_sdwa s[8:9], v3, v6 src0_sel:BYTE_0 src1_sel:DWORD
	s_andn2_b64 s[4:5], s[4:5], exec
	s_and_b64 s[8:9], s[8:9], exec
	s_or_b64 s[4:5], s[4:5], s[8:9]
	s_or_b64 exec, exec, s[6:7]
	s_and_saveexec_b64 s[6:7], s[4:5]
	s_cbranch_execnz .LBB31_463
	s_branch .LBB31_464
.LBB31_2513:
	s_movk_i32 s4, 0x80
	v_cmp_eq_u16_e32 vcc, s4, v3
	s_mov_b64 s[4:5], -1
                                        ; implicit-def: $sgpr10
	s_and_saveexec_b64 s[8:9], vcc
; %bb.2514:
	s_mov_b32 s10, 0x7f800001
	s_xor_b64 s[4:5], exec, -1
; %bb.2515:
	s_or_b64 exec, exec, s[8:9]
	s_and_b64 s[4:5], s[4:5], exec
                                        ; implicit-def: $vgpr3
	s_or_saveexec_b64 s[6:7], s[6:7]
	v_mov_b32_e32 v2, s10
	s_xor_b64 exec, exec, s[6:7]
	s_cbranch_execz .LBB31_466
.LBB31_2516:
	v_cmp_ne_u16_e32 vcc, 0, v3
	s_andn2_b64 s[4:5], s[4:5], exec
	s_and_b64 s[8:9], vcc, exec
	v_mov_b32_e32 v2, 0
	s_or_b64 s[4:5], s[4:5], s[8:9]
	s_or_b64 exec, exec, s[6:7]
	s_and_saveexec_b64 s[6:7], s[4:5]
	s_cbranch_execnz .LBB31_467
	s_branch .LBB31_468
.LBB31_2517:
	s_movk_i32 s4, 0x80
	v_cmp_eq_u16_e32 vcc, s4, v3
	s_mov_b64 s[4:5], -1
                                        ; implicit-def: $sgpr10
	s_and_saveexec_b64 s[8:9], vcc
; %bb.2518:
	s_mov_b32 s10, 0x7f800001
	s_xor_b64 s[4:5], exec, -1
; %bb.2519:
	s_or_b64 exec, exec, s[8:9]
	s_and_b64 s[4:5], s[4:5], exec
                                        ; implicit-def: $vgpr3
	s_or_saveexec_b64 s[6:7], s[6:7]
	v_mov_b32_e32 v6, s10
	s_xor_b64 exec, exec, s[6:7]
	s_cbranch_execz .LBB31_470
.LBB31_2520:
	v_cmp_ne_u16_e32 vcc, 0, v3
	s_andn2_b64 s[4:5], s[4:5], exec
	s_and_b64 s[8:9], vcc, exec
	v_mov_b32_e32 v6, 0
	s_or_b64 s[4:5], s[4:5], s[8:9]
	s_or_b64 exec, exec, s[6:7]
	s_and_saveexec_b64 s[6:7], s[4:5]
	s_cbranch_execnz .LBB31_471
	s_branch .LBB31_472
.LBB31_2521:
	s_movk_i32 s4, 0x80
	v_cmp_eq_u16_sdwa s[12:13], v8, s4 src0_sel:BYTE_3 src1_sel:DWORD
	s_mov_b64 s[4:5], -1
                                        ; implicit-def: $sgpr10
	s_and_saveexec_b64 s[8:9], s[12:13]
; %bb.2522:
	s_mov_b32 s10, 0x7f800001
	s_xor_b64 s[4:5], exec, -1
; %bb.2523:
	s_or_b64 exec, exec, s[8:9]
	s_and_b64 s[4:5], s[4:5], exec
	s_or_saveexec_b64 s[6:7], s[6:7]
	v_mov_b32_e32 v2, s10
	s_xor_b64 exec, exec, s[6:7]
	s_cbranch_execz .LBB31_474
.LBB31_2524:
	v_mov_b32_e32 v2, 0
	v_cmp_ne_u16_sdwa s[8:9], v8, v2 src0_sel:BYTE_3 src1_sel:DWORD
	s_andn2_b64 s[4:5], s[4:5], exec
	s_and_b64 s[8:9], s[8:9], exec
	s_or_b64 s[4:5], s[4:5], s[8:9]
	s_or_b64 exec, exec, s[6:7]
	s_and_saveexec_b64 s[6:7], s[4:5]
	s_cbranch_execnz .LBB31_475
	s_branch .LBB31_476
.LBB31_2525:
	s_movk_i32 s4, 0x80
	v_cmp_eq_u16_sdwa s[12:13], v4, s4 src0_sel:BYTE_3 src1_sel:DWORD
	s_mov_b64 s[4:5], -1
                                        ; implicit-def: $sgpr10
	s_and_saveexec_b64 s[8:9], s[12:13]
; %bb.2526:
	s_mov_b32 s10, 0x7f800001
	s_xor_b64 s[4:5], exec, -1
; %bb.2527:
	s_or_b64 exec, exec, s[8:9]
	s_and_b64 s[4:5], s[4:5], exec
	s_or_saveexec_b64 s[6:7], s[6:7]
	v_mov_b32_e32 v3, s10
	s_xor_b64 exec, exec, s[6:7]
	s_cbranch_execz .LBB31_478
.LBB31_2528:
	v_mov_b32_e32 v3, 0
	v_cmp_ne_u16_sdwa s[8:9], v4, v3 src0_sel:BYTE_3 src1_sel:DWORD
	s_andn2_b64 s[4:5], s[4:5], exec
	s_and_b64 s[8:9], s[8:9], exec
	s_or_b64 s[4:5], s[4:5], s[8:9]
	s_or_b64 exec, exec, s[6:7]
	s_and_saveexec_b64 s[6:7], s[4:5]
	s_cbranch_execnz .LBB31_479
	s_branch .LBB31_480
.LBB31_2529:
	s_movk_i32 s4, 0x80
	v_cmp_eq_u16_sdwa s[12:13], v9, s4 src0_sel:BYTE_0 src1_sel:DWORD
	s_mov_b64 s[4:5], -1
                                        ; implicit-def: $sgpr10
	s_and_saveexec_b64 s[8:9], s[12:13]
; %bb.2530:
	s_mov_b32 s10, 0x7f800001
	s_xor_b64 s[4:5], exec, -1
; %bb.2531:
	s_or_b64 exec, exec, s[8:9]
	s_and_b64 s[4:5], s[4:5], exec
	s_or_saveexec_b64 s[6:7], s[6:7]
	v_mov_b32_e32 v2, s10
	s_xor_b64 exec, exec, s[6:7]
	s_cbranch_execz .LBB31_482
.LBB31_2532:
	v_mov_b32_e32 v2, 0
	v_cmp_ne_u16_sdwa s[8:9], v9, v2 src0_sel:BYTE_0 src1_sel:DWORD
	s_andn2_b64 s[4:5], s[4:5], exec
	s_and_b64 s[8:9], s[8:9], exec
	s_or_b64 s[4:5], s[4:5], s[8:9]
	s_or_b64 exec, exec, s[6:7]
	s_and_saveexec_b64 s[6:7], s[4:5]
	s_cbranch_execnz .LBB31_483
	s_branch .LBB31_484
.LBB31_2533:
	s_movk_i32 s4, 0x80
	v_cmp_eq_u16_sdwa s[12:13], v5, s4 src0_sel:BYTE_0 src1_sel:DWORD
	s_mov_b64 s[4:5], -1
                                        ; implicit-def: $sgpr10
	s_and_saveexec_b64 s[8:9], s[12:13]
; %bb.2534:
	s_mov_b32 s10, 0x7f800001
	s_xor_b64 s[4:5], exec, -1
; %bb.2535:
	s_or_b64 exec, exec, s[8:9]
	s_and_b64 s[4:5], s[4:5], exec
	s_or_saveexec_b64 s[6:7], s[6:7]
	v_mov_b32_e32 v3, s10
	s_xor_b64 exec, exec, s[6:7]
	s_cbranch_execz .LBB31_486
.LBB31_2536:
	v_mov_b32_e32 v3, 0
	v_cmp_ne_u16_sdwa s[8:9], v5, v3 src0_sel:BYTE_0 src1_sel:DWORD
	s_andn2_b64 s[4:5], s[4:5], exec
	s_and_b64 s[8:9], s[8:9], exec
	s_or_b64 s[4:5], s[4:5], s[8:9]
	s_or_b64 exec, exec, s[6:7]
	s_and_saveexec_b64 s[6:7], s[4:5]
	s_cbranch_execnz .LBB31_487
	s_branch .LBB31_488
.LBB31_2537:
	s_movk_i32 s4, 0x80
	v_cmp_eq_u16_sdwa s[12:13], v3, s4 src0_sel:BYTE_0 src1_sel:DWORD
	s_mov_b64 s[4:5], -1
                                        ; implicit-def: $sgpr10
	s_and_saveexec_b64 s[8:9], s[12:13]
; %bb.2538:
	s_mov_b32 s10, 0x7f800001
	s_xor_b64 s[4:5], exec, -1
; %bb.2539:
	s_or_b64 exec, exec, s[8:9]
	s_and_b64 s[4:5], s[4:5], exec
	s_or_saveexec_b64 s[6:7], s[6:7]
	v_mov_b32_e32 v2, s10
	s_xor_b64 exec, exec, s[6:7]
	s_cbranch_execz .LBB31_490
.LBB31_2540:
	v_mov_b32_e32 v2, 0
	v_cmp_ne_u16_sdwa s[8:9], v3, v2 src0_sel:BYTE_0 src1_sel:DWORD
	s_andn2_b64 s[4:5], s[4:5], exec
	s_and_b64 s[8:9], s[8:9], exec
	s_or_b64 s[4:5], s[4:5], s[8:9]
	s_or_b64 exec, exec, s[6:7]
	s_and_saveexec_b64 s[6:7], s[4:5]
	s_cbranch_execnz .LBB31_491
	s_branch .LBB31_492
.LBB31_2541:
	s_movk_i32 s4, 0x80
	v_cmp_eq_u16_sdwa s[12:13], v3, s4 src0_sel:BYTE_0 src1_sel:DWORD
	s_mov_b64 s[4:5], -1
                                        ; implicit-def: $sgpr10
	s_and_saveexec_b64 s[8:9], s[12:13]
; %bb.2542:
	s_mov_b32 s10, 0x7f800001
	s_xor_b64 s[4:5], exec, -1
; %bb.2543:
	s_or_b64 exec, exec, s[8:9]
	s_and_b64 s[4:5], s[4:5], exec
	s_or_saveexec_b64 s[6:7], s[6:7]
	v_mov_b32_e32 v4, s10
	s_xor_b64 exec, exec, s[6:7]
	s_cbranch_execz .LBB31_494
.LBB31_2544:
	v_mov_b32_e32 v4, 0
	v_cmp_ne_u16_sdwa s[8:9], v3, v4 src0_sel:BYTE_0 src1_sel:DWORD
	s_andn2_b64 s[4:5], s[4:5], exec
	s_and_b64 s[8:9], s[8:9], exec
	s_or_b64 s[4:5], s[4:5], s[8:9]
	s_or_b64 exec, exec, s[6:7]
	s_and_saveexec_b64 s[6:7], s[4:5]
	s_cbranch_execnz .LBB31_495
	s_branch .LBB31_496
.LBB31_2545:
	s_movk_i32 s4, 0x80
	v_cmp_eq_u16_e32 vcc, s4, v3
	s_mov_b64 s[4:5], -1
                                        ; implicit-def: $sgpr10
	s_and_saveexec_b64 s[8:9], vcc
; %bb.2546:
	s_mov_b32 s10, 0x7f800001
	s_xor_b64 s[4:5], exec, -1
; %bb.2547:
	s_or_b64 exec, exec, s[8:9]
	s_and_b64 s[4:5], s[4:5], exec
                                        ; implicit-def: $vgpr3
	s_or_saveexec_b64 s[6:7], s[6:7]
	v_mov_b32_e32 v2, s10
	s_xor_b64 exec, exec, s[6:7]
	s_cbranch_execz .LBB31_498
.LBB31_2548:
	v_cmp_ne_u16_e32 vcc, 0, v3
	s_andn2_b64 s[4:5], s[4:5], exec
	s_and_b64 s[8:9], vcc, exec
	v_mov_b32_e32 v2, 0
	s_or_b64 s[4:5], s[4:5], s[8:9]
	s_or_b64 exec, exec, s[6:7]
	s_and_saveexec_b64 s[6:7], s[4:5]
	s_cbranch_execnz .LBB31_499
	s_branch .LBB31_500
.LBB31_2549:
	s_movk_i32 s4, 0x80
	v_cmp_eq_u16_e32 vcc, s4, v3
	s_mov_b64 s[4:5], -1
                                        ; implicit-def: $sgpr10
	s_and_saveexec_b64 s[8:9], vcc
; %bb.2550:
	s_mov_b32 s10, 0x7f800001
	s_xor_b64 s[4:5], exec, -1
; %bb.2551:
	s_or_b64 exec, exec, s[8:9]
	s_and_b64 s[4:5], s[4:5], exec
                                        ; implicit-def: $vgpr3
	s_or_saveexec_b64 s[6:7], s[6:7]
	v_mov_b32_e32 v4, s10
	s_xor_b64 exec, exec, s[6:7]
	s_cbranch_execz .LBB31_502
.LBB31_2552:
	v_cmp_ne_u16_e32 vcc, 0, v3
	s_andn2_b64 s[4:5], s[4:5], exec
	s_and_b64 s[8:9], vcc, exec
	v_mov_b32_e32 v4, 0
	s_or_b64 s[4:5], s[4:5], s[8:9]
	s_or_b64 exec, exec, s[6:7]
	s_and_saveexec_b64 s[6:7], s[4:5]
	s_cbranch_execnz .LBB31_503
	s_branch .LBB31_504
.LBB31_2553:
	s_movk_i32 s4, 0x80
	v_cmp_eq_u16_sdwa s[12:13], v9, s4 src0_sel:BYTE_3 src1_sel:DWORD
	s_mov_b64 s[4:5], -1
                                        ; implicit-def: $sgpr10
	s_and_saveexec_b64 s[8:9], s[12:13]
; %bb.2554:
	s_mov_b32 s10, 0x7f800001
	s_xor_b64 s[4:5], exec, -1
; %bb.2555:
	s_or_b64 exec, exec, s[8:9]
	s_and_b64 s[4:5], s[4:5], exec
	s_or_saveexec_b64 s[6:7], s[6:7]
	v_mov_b32_e32 v2, s10
	s_xor_b64 exec, exec, s[6:7]
	s_cbranch_execz .LBB31_506
.LBB31_2556:
	v_mov_b32_e32 v2, 0
	v_cmp_ne_u16_sdwa s[8:9], v9, v2 src0_sel:BYTE_3 src1_sel:DWORD
	s_andn2_b64 s[4:5], s[4:5], exec
	s_and_b64 s[8:9], s[8:9], exec
	s_or_b64 s[4:5], s[4:5], s[8:9]
	s_or_b64 exec, exec, s[6:7]
	s_and_saveexec_b64 s[6:7], s[4:5]
	s_cbranch_execnz .LBB31_507
	s_branch .LBB31_508
.LBB31_2557:
	s_movk_i32 s4, 0x80
	v_cmp_eq_u16_sdwa s[12:13], v5, s4 src0_sel:BYTE_3 src1_sel:DWORD
	s_mov_b64 s[4:5], -1
                                        ; implicit-def: $sgpr10
	s_and_saveexec_b64 s[8:9], s[12:13]
; %bb.2558:
	s_mov_b32 s10, 0x7f800001
	s_xor_b64 s[4:5], exec, -1
; %bb.2559:
	s_or_b64 exec, exec, s[8:9]
	s_and_b64 s[4:5], s[4:5], exec
	s_or_saveexec_b64 s[6:7], s[6:7]
	v_mov_b32_e32 v3, s10
	s_xor_b64 exec, exec, s[6:7]
	s_cbranch_execz .LBB31_510
.LBB31_2560:
	v_mov_b32_e32 v3, 0
	v_cmp_ne_u16_sdwa s[8:9], v5, v3 src0_sel:BYTE_3 src1_sel:DWORD
	s_andn2_b64 s[4:5], s[4:5], exec
	s_and_b64 s[8:9], s[8:9], exec
	s_or_b64 s[4:5], s[4:5], s[8:9]
	s_or_b64 exec, exec, s[6:7]
	s_and_saveexec_b64 s[6:7], s[4:5]
	s_cbranch_execnz .LBB31_511
	s_branch .LBB31_512
.LBB31_2561:
	s_movk_i32 s4, 0x80
	v_cmp_eq_u16_sdwa s[12:13], v14, s4 src0_sel:BYTE_0 src1_sel:DWORD
	s_mov_b64 s[4:5], -1
                                        ; implicit-def: $sgpr10
	s_and_saveexec_b64 s[8:9], s[12:13]
; %bb.2562:
	s_mov_b32 s10, 0x7f800001
	s_xor_b64 s[4:5], exec, -1
; %bb.2563:
	s_or_b64 exec, exec, s[8:9]
	s_and_b64 s[4:5], s[4:5], exec
	s_or_saveexec_b64 s[6:7], s[6:7]
	v_mov_b32_e32 v20, s10
	s_xor_b64 exec, exec, s[6:7]
	s_cbranch_execz .LBB31_514
.LBB31_2564:
	v_mov_b32_e32 v20, 0
	v_cmp_ne_u16_sdwa s[8:9], v14, v20 src0_sel:BYTE_0 src1_sel:DWORD
	s_andn2_b64 s[4:5], s[4:5], exec
	s_and_b64 s[8:9], s[8:9], exec
	s_or_b64 s[4:5], s[4:5], s[8:9]
	s_or_b64 exec, exec, s[6:7]
	s_and_saveexec_b64 s[6:7], s[4:5]
	s_cbranch_execnz .LBB31_515
	s_branch .LBB31_516
.LBB31_2565:
	s_movk_i32 s4, 0x80
	v_cmp_eq_u16_sdwa s[12:13], v10, s4 src0_sel:BYTE_0 src1_sel:DWORD
	s_mov_b64 s[4:5], -1
                                        ; implicit-def: $sgpr10
	s_and_saveexec_b64 s[8:9], s[12:13]
; %bb.2566:
	s_mov_b32 s10, 0x7f800001
	s_xor_b64 s[4:5], exec, -1
; %bb.2567:
	s_or_b64 exec, exec, s[8:9]
	s_and_b64 s[4:5], s[4:5], exec
	s_or_saveexec_b64 s[6:7], s[6:7]
	v_mov_b32_e32 v21, s10
	s_xor_b64 exec, exec, s[6:7]
	s_cbranch_execz .LBB31_518
.LBB31_2568:
	v_mov_b32_e32 v21, 0
	v_cmp_ne_u16_sdwa s[8:9], v10, v21 src0_sel:BYTE_0 src1_sel:DWORD
	s_andn2_b64 s[4:5], s[4:5], exec
	s_and_b64 s[8:9], s[8:9], exec
	s_or_b64 s[4:5], s[4:5], s[8:9]
	s_or_b64 exec, exec, s[6:7]
	s_and_saveexec_b64 s[6:7], s[4:5]
	s_cbranch_execnz .LBB31_519
	s_branch .LBB31_520
.LBB31_2569:
	s_movk_i32 s4, 0x80
	v_cmp_eq_u16_sdwa s[12:13], v21, s4 src0_sel:BYTE_0 src1_sel:DWORD
	s_mov_b64 s[4:5], -1
                                        ; implicit-def: $sgpr10
	s_and_saveexec_b64 s[8:9], s[12:13]
; %bb.2570:
	s_mov_b32 s10, 0x7f800001
	s_xor_b64 s[4:5], exec, -1
; %bb.2571:
	s_or_b64 exec, exec, s[8:9]
	s_and_b64 s[4:5], s[4:5], exec
	s_or_saveexec_b64 s[6:7], s[6:7]
	v_mov_b32_e32 v20, s10
	s_xor_b64 exec, exec, s[6:7]
	s_cbranch_execz .LBB31_522
.LBB31_2572:
	v_mov_b32_e32 v20, 0
	v_cmp_ne_u16_sdwa s[8:9], v21, v20 src0_sel:BYTE_0 src1_sel:DWORD
	s_andn2_b64 s[4:5], s[4:5], exec
	s_and_b64 s[8:9], s[8:9], exec
	s_or_b64 s[4:5], s[4:5], s[8:9]
	s_or_b64 exec, exec, s[6:7]
	s_and_saveexec_b64 s[6:7], s[4:5]
	s_cbranch_execnz .LBB31_523
	s_branch .LBB31_524
.LBB31_2573:
	s_movk_i32 s4, 0x80
	v_cmp_eq_u16_sdwa s[12:13], v21, s4 src0_sel:BYTE_0 src1_sel:DWORD
	s_mov_b64 s[4:5], -1
                                        ; implicit-def: $sgpr10
	s_and_saveexec_b64 s[8:9], s[12:13]
; %bb.2574:
	s_mov_b32 s10, 0x7f800001
	s_xor_b64 s[4:5], exec, -1
; %bb.2575:
	s_or_b64 exec, exec, s[8:9]
	s_and_b64 s[4:5], s[4:5], exec
	s_or_saveexec_b64 s[6:7], s[6:7]
	v_mov_b32_e32 v22, s10
	s_xor_b64 exec, exec, s[6:7]
	s_cbranch_execz .LBB31_526
.LBB31_2576:
	v_mov_b32_e32 v22, 0
	v_cmp_ne_u16_sdwa s[8:9], v21, v22 src0_sel:BYTE_0 src1_sel:DWORD
	s_andn2_b64 s[4:5], s[4:5], exec
	s_and_b64 s[8:9], s[8:9], exec
	s_or_b64 s[4:5], s[4:5], s[8:9]
	s_or_b64 exec, exec, s[6:7]
	s_and_saveexec_b64 s[6:7], s[4:5]
	s_cbranch_execnz .LBB31_527
	s_branch .LBB31_528
.LBB31_2577:
	s_movk_i32 s4, 0x80
	v_cmp_eq_u16_e32 vcc, s4, v21
	s_mov_b64 s[4:5], -1
                                        ; implicit-def: $sgpr10
	s_and_saveexec_b64 s[8:9], vcc
; %bb.2578:
	s_mov_b32 s10, 0x7f800001
	s_xor_b64 s[4:5], exec, -1
; %bb.2579:
	s_or_b64 exec, exec, s[8:9]
	s_and_b64 s[4:5], s[4:5], exec
                                        ; implicit-def: $vgpr21
	s_or_saveexec_b64 s[6:7], s[6:7]
	v_mov_b32_e32 v20, s10
	s_xor_b64 exec, exec, s[6:7]
	s_cbranch_execz .LBB31_530
.LBB31_2580:
	v_cmp_ne_u16_e32 vcc, 0, v21
	s_andn2_b64 s[4:5], s[4:5], exec
	s_and_b64 s[8:9], vcc, exec
	v_mov_b32_e32 v20, 0
	s_or_b64 s[4:5], s[4:5], s[8:9]
	s_or_b64 exec, exec, s[6:7]
	s_and_saveexec_b64 s[6:7], s[4:5]
	s_cbranch_execnz .LBB31_531
	s_branch .LBB31_532
.LBB31_2581:
	s_movk_i32 s4, 0x80
	v_cmp_eq_u16_e32 vcc, s4, v21
	s_mov_b64 s[4:5], -1
                                        ; implicit-def: $sgpr10
	s_and_saveexec_b64 s[8:9], vcc
; %bb.2582:
	s_mov_b32 s10, 0x7f800001
	s_xor_b64 s[4:5], exec, -1
; %bb.2583:
	s_or_b64 exec, exec, s[8:9]
	s_and_b64 s[4:5], s[4:5], exec
                                        ; implicit-def: $vgpr21
	s_or_saveexec_b64 s[6:7], s[6:7]
	v_mov_b32_e32 v22, s10
	s_xor_b64 exec, exec, s[6:7]
	s_cbranch_execz .LBB31_534
.LBB31_2584:
	v_cmp_ne_u16_e32 vcc, 0, v21
	s_andn2_b64 s[4:5], s[4:5], exec
	s_and_b64 s[8:9], vcc, exec
	v_mov_b32_e32 v22, 0
	s_or_b64 s[4:5], s[4:5], s[8:9]
	s_or_b64 exec, exec, s[6:7]
	s_and_saveexec_b64 s[6:7], s[4:5]
	s_cbranch_execnz .LBB31_535
	s_branch .LBB31_536
.LBB31_2585:
	s_movk_i32 s4, 0x80
	v_cmp_eq_u16_sdwa s[12:13], v14, s4 src0_sel:BYTE_3 src1_sel:DWORD
	s_mov_b64 s[4:5], -1
                                        ; implicit-def: $sgpr10
	s_and_saveexec_b64 s[8:9], s[12:13]
; %bb.2586:
	s_mov_b32 s10, 0x7f800001
	s_xor_b64 s[4:5], exec, -1
; %bb.2587:
	s_or_b64 exec, exec, s[8:9]
	s_and_b64 s[4:5], s[4:5], exec
	s_or_saveexec_b64 s[6:7], s[6:7]
	v_mov_b32_e32 v20, s10
	s_xor_b64 exec, exec, s[6:7]
	s_cbranch_execz .LBB31_538
.LBB31_2588:
	v_mov_b32_e32 v20, 0
	v_cmp_ne_u16_sdwa s[8:9], v14, v20 src0_sel:BYTE_3 src1_sel:DWORD
	s_andn2_b64 s[4:5], s[4:5], exec
	s_and_b64 s[8:9], s[8:9], exec
	s_or_b64 s[4:5], s[4:5], s[8:9]
	s_or_b64 exec, exec, s[6:7]
	s_and_saveexec_b64 s[6:7], s[4:5]
	s_cbranch_execnz .LBB31_539
	s_branch .LBB31_540
.LBB31_2589:
	s_movk_i32 s4, 0x80
	v_cmp_eq_u16_sdwa s[12:13], v10, s4 src0_sel:BYTE_3 src1_sel:DWORD
	s_mov_b64 s[4:5], -1
                                        ; implicit-def: $sgpr10
	s_and_saveexec_b64 s[8:9], s[12:13]
; %bb.2590:
	s_mov_b32 s10, 0x7f800001
	s_xor_b64 s[4:5], exec, -1
; %bb.2591:
	s_or_b64 exec, exec, s[8:9]
	s_and_b64 s[4:5], s[4:5], exec
	s_or_saveexec_b64 s[6:7], s[6:7]
	v_mov_b32_e32 v14, s10
	s_xor_b64 exec, exec, s[6:7]
	s_cbranch_execz .LBB31_542
.LBB31_2592:
	v_mov_b32_e32 v14, 0
	v_cmp_ne_u16_sdwa s[8:9], v10, v14 src0_sel:BYTE_3 src1_sel:DWORD
	s_andn2_b64 s[4:5], s[4:5], exec
	s_and_b64 s[8:9], s[8:9], exec
	s_or_b64 s[4:5], s[4:5], s[8:9]
	s_or_b64 exec, exec, s[6:7]
	s_and_saveexec_b64 s[6:7], s[4:5]
	s_cbranch_execnz .LBB31_543
	s_branch .LBB31_544
.LBB31_2593:
	s_movk_i32 s4, 0x80
	v_cmp_eq_u16_sdwa s[12:13], v15, s4 src0_sel:BYTE_0 src1_sel:DWORD
	s_mov_b64 s[4:5], -1
                                        ; implicit-def: $sgpr10
	s_and_saveexec_b64 s[8:9], s[12:13]
; %bb.2594:
	s_mov_b32 s10, 0x7f800001
	s_xor_b64 s[4:5], exec, -1
; %bb.2595:
	s_or_b64 exec, exec, s[8:9]
	s_and_b64 s[4:5], s[4:5], exec
	s_or_saveexec_b64 s[6:7], s[6:7]
	v_mov_b32_e32 v10, s10
	s_xor_b64 exec, exec, s[6:7]
	s_cbranch_execz .LBB31_546
.LBB31_2596:
	v_mov_b32_e32 v10, 0
	v_cmp_ne_u16_sdwa s[8:9], v15, v10 src0_sel:BYTE_0 src1_sel:DWORD
	s_andn2_b64 s[4:5], s[4:5], exec
	s_and_b64 s[8:9], s[8:9], exec
	s_or_b64 s[4:5], s[4:5], s[8:9]
	s_or_b64 exec, exec, s[6:7]
	s_and_saveexec_b64 s[6:7], s[4:5]
	s_cbranch_execnz .LBB31_547
	s_branch .LBB31_548
.LBB31_2597:
	s_movk_i32 s4, 0x80
	v_cmp_eq_u16_sdwa s[12:13], v11, s4 src0_sel:BYTE_0 src1_sel:DWORD
	s_mov_b64 s[4:5], -1
                                        ; implicit-def: $sgpr10
	s_and_saveexec_b64 s[8:9], s[12:13]
; %bb.2598:
	s_mov_b32 s10, 0x7f800001
	s_xor_b64 s[4:5], exec, -1
; %bb.2599:
	s_or_b64 exec, exec, s[8:9]
	s_and_b64 s[4:5], s[4:5], exec
	s_or_saveexec_b64 s[6:7], s[6:7]
	v_mov_b32_e32 v14, s10
	s_xor_b64 exec, exec, s[6:7]
	s_cbranch_execz .LBB31_550
.LBB31_2600:
	v_mov_b32_e32 v14, 0
	v_cmp_ne_u16_sdwa s[8:9], v11, v14 src0_sel:BYTE_0 src1_sel:DWORD
	s_andn2_b64 s[4:5], s[4:5], exec
	s_and_b64 s[8:9], s[8:9], exec
	s_or_b64 s[4:5], s[4:5], s[8:9]
	s_or_b64 exec, exec, s[6:7]
	s_and_saveexec_b64 s[6:7], s[4:5]
	s_cbranch_execnz .LBB31_551
	s_branch .LBB31_552
.LBB31_2601:
	s_movk_i32 s4, 0x80
	v_cmp_eq_u16_sdwa s[12:13], v14, s4 src0_sel:BYTE_0 src1_sel:DWORD
	s_mov_b64 s[4:5], -1
                                        ; implicit-def: $sgpr10
	s_and_saveexec_b64 s[8:9], s[12:13]
; %bb.2602:
	s_mov_b32 s10, 0x7f800001
	s_xor_b64 s[4:5], exec, -1
; %bb.2603:
	s_or_b64 exec, exec, s[8:9]
	s_and_b64 s[4:5], s[4:5], exec
	s_or_saveexec_b64 s[6:7], s[6:7]
	v_mov_b32_e32 v10, s10
	s_xor_b64 exec, exec, s[6:7]
	s_cbranch_execz .LBB31_554
.LBB31_2604:
	v_mov_b32_e32 v10, 0
	v_cmp_ne_u16_sdwa s[8:9], v14, v10 src0_sel:BYTE_0 src1_sel:DWORD
	s_andn2_b64 s[4:5], s[4:5], exec
	s_and_b64 s[8:9], s[8:9], exec
	s_or_b64 s[4:5], s[4:5], s[8:9]
	s_or_b64 exec, exec, s[6:7]
	s_and_saveexec_b64 s[6:7], s[4:5]
	s_cbranch_execnz .LBB31_555
	s_branch .LBB31_556
.LBB31_2605:
	s_movk_i32 s4, 0x80
	v_cmp_eq_u16_sdwa s[12:13], v14, s4 src0_sel:BYTE_0 src1_sel:DWORD
	s_mov_b64 s[4:5], -1
                                        ; implicit-def: $sgpr10
	s_and_saveexec_b64 s[8:9], s[12:13]
; %bb.2606:
	s_mov_b32 s10, 0x7f800001
	s_xor_b64 s[4:5], exec, -1
; %bb.2607:
	s_or_b64 exec, exec, s[8:9]
	s_and_b64 s[4:5], s[4:5], exec
	s_or_saveexec_b64 s[6:7], s[6:7]
	v_mov_b32_e32 v20, s10
	s_xor_b64 exec, exec, s[6:7]
	s_cbranch_execz .LBB31_558
.LBB31_2608:
	v_mov_b32_e32 v20, 0
	v_cmp_ne_u16_sdwa s[8:9], v14, v20 src0_sel:BYTE_0 src1_sel:DWORD
	s_andn2_b64 s[4:5], s[4:5], exec
	s_and_b64 s[8:9], s[8:9], exec
	s_or_b64 s[4:5], s[4:5], s[8:9]
	s_or_b64 exec, exec, s[6:7]
	s_and_saveexec_b64 s[6:7], s[4:5]
	s_cbranch_execnz .LBB31_559
	s_branch .LBB31_560
.LBB31_2609:
	s_movk_i32 s4, 0x80
	v_cmp_eq_u16_e32 vcc, s4, v14
	s_mov_b64 s[4:5], -1
                                        ; implicit-def: $sgpr10
	s_and_saveexec_b64 s[8:9], vcc
; %bb.2610:
	s_mov_b32 s10, 0x7f800001
	s_xor_b64 s[4:5], exec, -1
; %bb.2611:
	s_or_b64 exec, exec, s[8:9]
	s_and_b64 s[4:5], s[4:5], exec
                                        ; implicit-def: $vgpr14
	s_or_saveexec_b64 s[6:7], s[6:7]
	v_mov_b32_e32 v10, s10
	s_xor_b64 exec, exec, s[6:7]
	s_cbranch_execz .LBB31_562
.LBB31_2612:
	v_cmp_ne_u16_e32 vcc, 0, v14
	s_andn2_b64 s[4:5], s[4:5], exec
	s_and_b64 s[8:9], vcc, exec
	v_mov_b32_e32 v10, 0
	s_or_b64 s[4:5], s[4:5], s[8:9]
	s_or_b64 exec, exec, s[6:7]
	s_and_saveexec_b64 s[6:7], s[4:5]
	s_cbranch_execnz .LBB31_563
	s_branch .LBB31_564
.LBB31_2613:
	s_movk_i32 s4, 0x80
	v_cmp_eq_u16_e32 vcc, s4, v14
	s_mov_b64 s[4:5], -1
                                        ; implicit-def: $sgpr10
	s_and_saveexec_b64 s[8:9], vcc
; %bb.2614:
	s_mov_b32 s10, 0x7f800001
	s_xor_b64 s[4:5], exec, -1
; %bb.2615:
	s_or_b64 exec, exec, s[8:9]
	s_and_b64 s[4:5], s[4:5], exec
                                        ; implicit-def: $vgpr14
	s_or_saveexec_b64 s[6:7], s[6:7]
	v_mov_b32_e32 v20, s10
	s_xor_b64 exec, exec, s[6:7]
	s_cbranch_execz .LBB31_566
.LBB31_2616:
	v_cmp_ne_u16_e32 vcc, 0, v14
	s_andn2_b64 s[4:5], s[4:5], exec
	s_and_b64 s[8:9], vcc, exec
	v_mov_b32_e32 v20, 0
	s_or_b64 s[4:5], s[4:5], s[8:9]
	s_or_b64 exec, exec, s[6:7]
	s_and_saveexec_b64 s[6:7], s[4:5]
	s_cbranch_execnz .LBB31_567
	s_branch .LBB31_568
.LBB31_2617:
	s_movk_i32 s4, 0x80
	v_cmp_eq_u16_sdwa s[12:13], v15, s4 src0_sel:BYTE_3 src1_sel:DWORD
	s_mov_b64 s[4:5], -1
                                        ; implicit-def: $sgpr10
	s_and_saveexec_b64 s[8:9], s[12:13]
; %bb.2618:
	s_mov_b32 s10, 0x7f800001
	s_xor_b64 s[4:5], exec, -1
; %bb.2619:
	s_or_b64 exec, exec, s[8:9]
	s_and_b64 s[4:5], s[4:5], exec
	s_or_saveexec_b64 s[6:7], s[6:7]
	v_mov_b32_e32 v10, s10
	s_xor_b64 exec, exec, s[6:7]
	s_cbranch_execz .LBB31_570
.LBB31_2620:
	v_mov_b32_e32 v10, 0
	v_cmp_ne_u16_sdwa s[8:9], v15, v10 src0_sel:BYTE_3 src1_sel:DWORD
	s_andn2_b64 s[4:5], s[4:5], exec
	s_and_b64 s[8:9], s[8:9], exec
	s_or_b64 s[4:5], s[4:5], s[8:9]
	s_or_b64 exec, exec, s[6:7]
	s_and_saveexec_b64 s[6:7], s[4:5]
	s_cbranch_execnz .LBB31_571
	s_branch .LBB31_572
.LBB31_2621:
	s_movk_i32 s4, 0x80
	v_cmp_eq_u16_sdwa s[12:13], v11, s4 src0_sel:BYTE_3 src1_sel:DWORD
	s_mov_b64 s[4:5], -1
                                        ; implicit-def: $sgpr10
	s_and_saveexec_b64 s[8:9], s[12:13]
; %bb.2622:
	s_mov_b32 s10, 0x7f800001
	s_xor_b64 s[4:5], exec, -1
; %bb.2623:
	s_or_b64 exec, exec, s[8:9]
	s_and_b64 s[4:5], s[4:5], exec
	s_or_saveexec_b64 s[6:7], s[6:7]
	v_mov_b32_e32 v14, s10
	s_xor_b64 exec, exec, s[6:7]
	s_cbranch_execz .LBB31_574
.LBB31_2624:
	v_mov_b32_e32 v14, 0
	v_cmp_ne_u16_sdwa s[8:9], v11, v14 src0_sel:BYTE_3 src1_sel:DWORD
	s_andn2_b64 s[4:5], s[4:5], exec
	s_and_b64 s[8:9], s[8:9], exec
	s_or_b64 s[4:5], s[4:5], s[8:9]
	s_or_b64 exec, exec, s[6:7]
	s_and_saveexec_b64 s[6:7], s[4:5]
	s_cbranch_execnz .LBB31_575
	s_branch .LBB31_576
.LBB31_2625:
	s_movk_i32 s4, 0x80
	v_cmp_eq_u16_sdwa s[12:13], v16, s4 src0_sel:BYTE_0 src1_sel:DWORD
	s_mov_b64 s[4:5], -1
                                        ; implicit-def: $sgpr10
	s_and_saveexec_b64 s[8:9], s[12:13]
; %bb.2626:
	s_mov_b32 s10, 0x7f800001
	s_xor_b64 s[4:5], exec, -1
; %bb.2627:
	s_or_b64 exec, exec, s[8:9]
	s_and_b64 s[4:5], s[4:5], exec
	s_or_saveexec_b64 s[6:7], s[6:7]
	v_mov_b32_e32 v10, s10
	s_xor_b64 exec, exec, s[6:7]
	s_cbranch_execz .LBB31_578
.LBB31_2628:
	v_mov_b32_e32 v10, 0
	v_cmp_ne_u16_sdwa s[8:9], v16, v10 src0_sel:BYTE_0 src1_sel:DWORD
	s_andn2_b64 s[4:5], s[4:5], exec
	s_and_b64 s[8:9], s[8:9], exec
	s_or_b64 s[4:5], s[4:5], s[8:9]
	s_or_b64 exec, exec, s[6:7]
	s_and_saveexec_b64 s[6:7], s[4:5]
	s_cbranch_execnz .LBB31_579
	s_branch .LBB31_580
.LBB31_2629:
	s_movk_i32 s4, 0x80
	v_cmp_eq_u16_sdwa s[12:13], v12, s4 src0_sel:BYTE_0 src1_sel:DWORD
	s_mov_b64 s[4:5], -1
                                        ; implicit-def: $sgpr10
	s_and_saveexec_b64 s[8:9], s[12:13]
; %bb.2630:
	s_mov_b32 s10, 0x7f800001
	s_xor_b64 s[4:5], exec, -1
; %bb.2631:
	s_or_b64 exec, exec, s[8:9]
	s_and_b64 s[4:5], s[4:5], exec
	s_or_saveexec_b64 s[6:7], s[6:7]
	v_mov_b32_e32 v11, s10
	s_xor_b64 exec, exec, s[6:7]
	s_cbranch_execz .LBB31_582
.LBB31_2632:
	v_mov_b32_e32 v11, 0
	v_cmp_ne_u16_sdwa s[8:9], v12, v11 src0_sel:BYTE_0 src1_sel:DWORD
	s_andn2_b64 s[4:5], s[4:5], exec
	s_and_b64 s[8:9], s[8:9], exec
	s_or_b64 s[4:5], s[4:5], s[8:9]
	s_or_b64 exec, exec, s[6:7]
	s_and_saveexec_b64 s[6:7], s[4:5]
	s_cbranch_execnz .LBB31_583
	s_branch .LBB31_584
.LBB31_2633:
	s_movk_i32 s4, 0x80
	v_cmp_eq_u16_sdwa s[12:13], v11, s4 src0_sel:BYTE_0 src1_sel:DWORD
	s_mov_b64 s[4:5], -1
                                        ; implicit-def: $sgpr10
	s_and_saveexec_b64 s[8:9], s[12:13]
; %bb.2634:
	s_mov_b32 s10, 0x7f800001
	s_xor_b64 s[4:5], exec, -1
; %bb.2635:
	s_or_b64 exec, exec, s[8:9]
	s_and_b64 s[4:5], s[4:5], exec
	s_or_saveexec_b64 s[6:7], s[6:7]
	v_mov_b32_e32 v10, s10
	s_xor_b64 exec, exec, s[6:7]
	s_cbranch_execz .LBB31_586
.LBB31_2636:
	v_mov_b32_e32 v10, 0
	v_cmp_ne_u16_sdwa s[8:9], v11, v10 src0_sel:BYTE_0 src1_sel:DWORD
	s_andn2_b64 s[4:5], s[4:5], exec
	s_and_b64 s[8:9], s[8:9], exec
	s_or_b64 s[4:5], s[4:5], s[8:9]
	s_or_b64 exec, exec, s[6:7]
	s_and_saveexec_b64 s[6:7], s[4:5]
	s_cbranch_execnz .LBB31_587
	s_branch .LBB31_588
.LBB31_2637:
	s_movk_i32 s4, 0x80
	v_cmp_eq_u16_sdwa s[12:13], v11, s4 src0_sel:BYTE_0 src1_sel:DWORD
	s_mov_b64 s[4:5], -1
                                        ; implicit-def: $sgpr10
	s_and_saveexec_b64 s[8:9], s[12:13]
; %bb.2638:
	s_mov_b32 s10, 0x7f800001
	s_xor_b64 s[4:5], exec, -1
; %bb.2639:
	s_or_b64 exec, exec, s[8:9]
	s_and_b64 s[4:5], s[4:5], exec
	s_or_saveexec_b64 s[6:7], s[6:7]
	v_mov_b32_e32 v14, s10
	s_xor_b64 exec, exec, s[6:7]
	s_cbranch_execz .LBB31_590
.LBB31_2640:
	v_mov_b32_e32 v14, 0
	v_cmp_ne_u16_sdwa s[8:9], v11, v14 src0_sel:BYTE_0 src1_sel:DWORD
	s_andn2_b64 s[4:5], s[4:5], exec
	s_and_b64 s[8:9], s[8:9], exec
	s_or_b64 s[4:5], s[4:5], s[8:9]
	s_or_b64 exec, exec, s[6:7]
	s_and_saveexec_b64 s[6:7], s[4:5]
	s_cbranch_execnz .LBB31_591
	s_branch .LBB31_592
.LBB31_2641:
	s_movk_i32 s4, 0x80
	v_cmp_eq_u16_e32 vcc, s4, v11
	s_mov_b64 s[4:5], -1
                                        ; implicit-def: $sgpr10
	s_and_saveexec_b64 s[8:9], vcc
; %bb.2642:
	s_mov_b32 s10, 0x7f800001
	s_xor_b64 s[4:5], exec, -1
; %bb.2643:
	s_or_b64 exec, exec, s[8:9]
	s_and_b64 s[4:5], s[4:5], exec
                                        ; implicit-def: $vgpr11
	s_or_saveexec_b64 s[6:7], s[6:7]
	v_mov_b32_e32 v10, s10
	s_xor_b64 exec, exec, s[6:7]
	s_cbranch_execz .LBB31_594
.LBB31_2644:
	v_cmp_ne_u16_e32 vcc, 0, v11
	s_andn2_b64 s[4:5], s[4:5], exec
	s_and_b64 s[8:9], vcc, exec
	v_mov_b32_e32 v10, 0
	s_or_b64 s[4:5], s[4:5], s[8:9]
	s_or_b64 exec, exec, s[6:7]
	s_and_saveexec_b64 s[6:7], s[4:5]
	s_cbranch_execnz .LBB31_595
	s_branch .LBB31_596
.LBB31_2645:
	s_movk_i32 s4, 0x80
	v_cmp_eq_u16_e32 vcc, s4, v11
	s_mov_b64 s[4:5], -1
                                        ; implicit-def: $sgpr10
	s_and_saveexec_b64 s[8:9], vcc
; %bb.2646:
	s_mov_b32 s10, 0x7f800001
	s_xor_b64 s[4:5], exec, -1
; %bb.2647:
	s_or_b64 exec, exec, s[8:9]
	s_and_b64 s[4:5], s[4:5], exec
                                        ; implicit-def: $vgpr11
	s_or_saveexec_b64 s[6:7], s[6:7]
	v_mov_b32_e32 v14, s10
	s_xor_b64 exec, exec, s[6:7]
	s_cbranch_execz .LBB31_598
.LBB31_2648:
	v_cmp_ne_u16_e32 vcc, 0, v11
	s_andn2_b64 s[4:5], s[4:5], exec
	s_and_b64 s[8:9], vcc, exec
	v_mov_b32_e32 v14, 0
	s_or_b64 s[4:5], s[4:5], s[8:9]
	s_or_b64 exec, exec, s[6:7]
	s_and_saveexec_b64 s[6:7], s[4:5]
	s_cbranch_execnz .LBB31_599
	s_branch .LBB31_600
.LBB31_2649:
	s_movk_i32 s4, 0x80
	v_cmp_eq_u16_sdwa s[12:13], v16, s4 src0_sel:BYTE_3 src1_sel:DWORD
	s_mov_b64 s[4:5], -1
                                        ; implicit-def: $sgpr10
	s_and_saveexec_b64 s[8:9], s[12:13]
; %bb.2650:
	s_mov_b32 s10, 0x7f800001
	s_xor_b64 s[4:5], exec, -1
; %bb.2651:
	s_or_b64 exec, exec, s[8:9]
	s_and_b64 s[4:5], s[4:5], exec
	s_or_saveexec_b64 s[6:7], s[6:7]
	v_mov_b32_e32 v10, s10
	s_xor_b64 exec, exec, s[6:7]
	s_cbranch_execz .LBB31_602
.LBB31_2652:
	v_mov_b32_e32 v10, 0
	v_cmp_ne_u16_sdwa s[8:9], v16, v10 src0_sel:BYTE_3 src1_sel:DWORD
	s_andn2_b64 s[4:5], s[4:5], exec
	s_and_b64 s[8:9], s[8:9], exec
	s_or_b64 s[4:5], s[4:5], s[8:9]
	s_or_b64 exec, exec, s[6:7]
	s_and_saveexec_b64 s[6:7], s[4:5]
	s_cbranch_execnz .LBB31_603
	s_branch .LBB31_604
.LBB31_2653:
	s_movk_i32 s4, 0x80
	v_cmp_eq_u16_sdwa s[12:13], v12, s4 src0_sel:BYTE_3 src1_sel:DWORD
	s_mov_b64 s[4:5], -1
                                        ; implicit-def: $sgpr10
	s_and_saveexec_b64 s[8:9], s[12:13]
; %bb.2654:
	s_mov_b32 s10, 0x7f800001
	s_xor_b64 s[4:5], exec, -1
; %bb.2655:
	s_or_b64 exec, exec, s[8:9]
	s_and_b64 s[4:5], s[4:5], exec
	s_or_saveexec_b64 s[6:7], s[6:7]
	v_mov_b32_e32 v11, s10
	s_xor_b64 exec, exec, s[6:7]
	s_cbranch_execz .LBB31_606
.LBB31_2656:
	v_mov_b32_e32 v11, 0
	v_cmp_ne_u16_sdwa s[8:9], v12, v11 src0_sel:BYTE_3 src1_sel:DWORD
	s_andn2_b64 s[4:5], s[4:5], exec
	s_and_b64 s[8:9], s[8:9], exec
	s_or_b64 s[4:5], s[4:5], s[8:9]
	s_or_b64 exec, exec, s[6:7]
	s_and_saveexec_b64 s[6:7], s[4:5]
	s_cbranch_execnz .LBB31_607
	s_branch .LBB31_608
.LBB31_2657:
	s_movk_i32 s4, 0x80
	v_cmp_eq_u16_sdwa s[12:13], v17, s4 src0_sel:BYTE_0 src1_sel:DWORD
	s_mov_b64 s[4:5], -1
                                        ; implicit-def: $sgpr10
	s_and_saveexec_b64 s[8:9], s[12:13]
; %bb.2658:
	s_mov_b32 s10, 0x7f800001
	s_xor_b64 s[4:5], exec, -1
; %bb.2659:
	s_or_b64 exec, exec, s[8:9]
	s_and_b64 s[4:5], s[4:5], exec
	s_or_saveexec_b64 s[6:7], s[6:7]
	v_mov_b32_e32 v10, s10
	s_xor_b64 exec, exec, s[6:7]
	s_cbranch_execz .LBB31_610
.LBB31_2660:
	v_mov_b32_e32 v10, 0
	v_cmp_ne_u16_sdwa s[8:9], v17, v10 src0_sel:BYTE_0 src1_sel:DWORD
	s_andn2_b64 s[4:5], s[4:5], exec
	s_and_b64 s[8:9], s[8:9], exec
	s_or_b64 s[4:5], s[4:5], s[8:9]
	s_or_b64 exec, exec, s[6:7]
	s_and_saveexec_b64 s[6:7], s[4:5]
	s_cbranch_execnz .LBB31_611
	s_branch .LBB31_612
.LBB31_2661:
	s_movk_i32 s4, 0x80
	v_cmp_eq_u16_sdwa s[12:13], v13, s4 src0_sel:BYTE_0 src1_sel:DWORD
	s_mov_b64 s[4:5], -1
                                        ; implicit-def: $sgpr10
	s_and_saveexec_b64 s[8:9], s[12:13]
; %bb.2662:
	s_mov_b32 s10, 0x7f800001
	s_xor_b64 s[4:5], exec, -1
; %bb.2663:
	s_or_b64 exec, exec, s[8:9]
	s_and_b64 s[4:5], s[4:5], exec
	s_or_saveexec_b64 s[6:7], s[6:7]
	v_mov_b32_e32 v11, s10
	s_xor_b64 exec, exec, s[6:7]
	s_cbranch_execz .LBB31_614
.LBB31_2664:
	v_mov_b32_e32 v11, 0
	v_cmp_ne_u16_sdwa s[8:9], v13, v11 src0_sel:BYTE_0 src1_sel:DWORD
	s_andn2_b64 s[4:5], s[4:5], exec
	s_and_b64 s[8:9], s[8:9], exec
	s_or_b64 s[4:5], s[4:5], s[8:9]
	s_or_b64 exec, exec, s[6:7]
	s_and_saveexec_b64 s[6:7], s[4:5]
	s_cbranch_execnz .LBB31_615
	s_branch .LBB31_616
.LBB31_2665:
	s_movk_i32 s4, 0x80
	v_cmp_eq_u16_sdwa s[12:13], v11, s4 src0_sel:BYTE_0 src1_sel:DWORD
	s_mov_b64 s[4:5], -1
                                        ; implicit-def: $sgpr10
	s_and_saveexec_b64 s[8:9], s[12:13]
; %bb.2666:
	s_mov_b32 s10, 0x7f800001
	s_xor_b64 s[4:5], exec, -1
; %bb.2667:
	s_or_b64 exec, exec, s[8:9]
	s_and_b64 s[4:5], s[4:5], exec
	s_or_saveexec_b64 s[6:7], s[6:7]
	v_mov_b32_e32 v10, s10
	s_xor_b64 exec, exec, s[6:7]
	s_cbranch_execz .LBB31_618
.LBB31_2668:
	v_mov_b32_e32 v10, 0
	v_cmp_ne_u16_sdwa s[8:9], v11, v10 src0_sel:BYTE_0 src1_sel:DWORD
	s_andn2_b64 s[4:5], s[4:5], exec
	s_and_b64 s[8:9], s[8:9], exec
	s_or_b64 s[4:5], s[4:5], s[8:9]
	s_or_b64 exec, exec, s[6:7]
	s_and_saveexec_b64 s[6:7], s[4:5]
	s_cbranch_execnz .LBB31_619
	s_branch .LBB31_620
.LBB31_2669:
	s_movk_i32 s4, 0x80
	v_cmp_eq_u16_sdwa s[12:13], v11, s4 src0_sel:BYTE_0 src1_sel:DWORD
	s_mov_b64 s[4:5], -1
                                        ; implicit-def: $sgpr10
	s_and_saveexec_b64 s[8:9], s[12:13]
; %bb.2670:
	s_mov_b32 s10, 0x7f800001
	s_xor_b64 s[4:5], exec, -1
; %bb.2671:
	s_or_b64 exec, exec, s[8:9]
	s_and_b64 s[4:5], s[4:5], exec
	s_or_saveexec_b64 s[6:7], s[6:7]
	v_mov_b32_e32 v12, s10
	s_xor_b64 exec, exec, s[6:7]
	s_cbranch_execz .LBB31_622
.LBB31_2672:
	v_mov_b32_e32 v12, 0
	v_cmp_ne_u16_sdwa s[8:9], v11, v12 src0_sel:BYTE_0 src1_sel:DWORD
	s_andn2_b64 s[4:5], s[4:5], exec
	s_and_b64 s[8:9], s[8:9], exec
	s_or_b64 s[4:5], s[4:5], s[8:9]
	s_or_b64 exec, exec, s[6:7]
	s_and_saveexec_b64 s[6:7], s[4:5]
	s_cbranch_execnz .LBB31_623
	s_branch .LBB31_624
.LBB31_2673:
	s_movk_i32 s4, 0x80
	v_cmp_eq_u16_e32 vcc, s4, v11
	s_mov_b64 s[4:5], -1
                                        ; implicit-def: $sgpr10
	s_and_saveexec_b64 s[8:9], vcc
; %bb.2674:
	s_mov_b32 s10, 0x7f800001
	s_xor_b64 s[4:5], exec, -1
; %bb.2675:
	s_or_b64 exec, exec, s[8:9]
	s_and_b64 s[4:5], s[4:5], exec
                                        ; implicit-def: $vgpr11
	s_or_saveexec_b64 s[6:7], s[6:7]
	v_mov_b32_e32 v10, s10
	s_xor_b64 exec, exec, s[6:7]
	s_cbranch_execz .LBB31_626
.LBB31_2676:
	v_cmp_ne_u16_e32 vcc, 0, v11
	s_andn2_b64 s[4:5], s[4:5], exec
	s_and_b64 s[8:9], vcc, exec
	v_mov_b32_e32 v10, 0
	s_or_b64 s[4:5], s[4:5], s[8:9]
	s_or_b64 exec, exec, s[6:7]
	s_and_saveexec_b64 s[6:7], s[4:5]
	s_cbranch_execnz .LBB31_627
	s_branch .LBB31_628
.LBB31_2677:
	s_movk_i32 s4, 0x80
	v_cmp_eq_u16_e32 vcc, s4, v11
	s_mov_b64 s[4:5], -1
                                        ; implicit-def: $sgpr10
	s_and_saveexec_b64 s[8:9], vcc
; %bb.2678:
	s_mov_b32 s10, 0x7f800001
	s_xor_b64 s[4:5], exec, -1
; %bb.2679:
	s_or_b64 exec, exec, s[8:9]
	s_and_b64 s[4:5], s[4:5], exec
                                        ; implicit-def: $vgpr11
	s_or_saveexec_b64 s[6:7], s[6:7]
	v_mov_b32_e32 v12, s10
	s_xor_b64 exec, exec, s[6:7]
	s_cbranch_execz .LBB31_630
.LBB31_2680:
	v_cmp_ne_u16_e32 vcc, 0, v11
	s_andn2_b64 s[4:5], s[4:5], exec
	s_and_b64 s[8:9], vcc, exec
	v_mov_b32_e32 v12, 0
	s_or_b64 s[4:5], s[4:5], s[8:9]
	s_or_b64 exec, exec, s[6:7]
	s_and_saveexec_b64 s[6:7], s[4:5]
	s_cbranch_execnz .LBB31_631
	s_branch .LBB31_632
.LBB31_2681:
	s_movk_i32 s4, 0x80
	v_cmp_eq_u16_sdwa s[12:13], v17, s4 src0_sel:BYTE_3 src1_sel:DWORD
	s_mov_b64 s[4:5], -1
                                        ; implicit-def: $sgpr10
	s_and_saveexec_b64 s[8:9], s[12:13]
; %bb.2682:
	s_mov_b32 s10, 0x7f800001
	s_xor_b64 s[4:5], exec, -1
; %bb.2683:
	s_or_b64 exec, exec, s[8:9]
	s_and_b64 s[4:5], s[4:5], exec
	s_or_saveexec_b64 s[6:7], s[6:7]
	v_mov_b32_e32 v10, s10
	s_xor_b64 exec, exec, s[6:7]
	s_cbranch_execz .LBB31_634
.LBB31_2684:
	v_mov_b32_e32 v10, 0
	v_cmp_ne_u16_sdwa s[8:9], v17, v10 src0_sel:BYTE_3 src1_sel:DWORD
	s_andn2_b64 s[4:5], s[4:5], exec
	s_and_b64 s[8:9], s[8:9], exec
	s_or_b64 s[4:5], s[4:5], s[8:9]
	s_or_b64 exec, exec, s[6:7]
	s_and_saveexec_b64 s[6:7], s[4:5]
	s_cbranch_execnz .LBB31_635
	s_branch .LBB31_636
.LBB31_2685:
	s_movk_i32 s4, 0x80
	v_cmp_eq_u16_sdwa s[12:13], v13, s4 src0_sel:BYTE_3 src1_sel:DWORD
	s_mov_b64 s[4:5], -1
                                        ; implicit-def: $sgpr10
	s_and_saveexec_b64 s[8:9], s[12:13]
; %bb.2686:
	s_mov_b32 s10, 0x7f800001
	s_xor_b64 s[4:5], exec, -1
; %bb.2687:
	s_or_b64 exec, exec, s[8:9]
	s_and_b64 s[4:5], s[4:5], exec
	s_or_saveexec_b64 s[6:7], s[6:7]
	v_mov_b32_e32 v11, s10
	s_xor_b64 exec, exec, s[6:7]
	s_cbranch_execz .LBB31_638
.LBB31_2688:
	v_mov_b32_e32 v11, 0
	v_cmp_ne_u16_sdwa s[8:9], v13, v11 src0_sel:BYTE_3 src1_sel:DWORD
	s_andn2_b64 s[4:5], s[4:5], exec
	s_and_b64 s[8:9], s[8:9], exec
	s_or_b64 s[4:5], s[4:5], s[8:9]
	s_or_b64 exec, exec, s[6:7]
	s_and_saveexec_b64 s[6:7], s[4:5]
	s_cbranch_execnz .LBB31_639
	s_branch .LBB31_640
.LBB31_2689:
	s_movk_i32 s4, 0x80
	v_cmp_eq_u16_sdwa s[12:13], v6, s4 src0_sel:BYTE_0 src1_sel:DWORD
	s_mov_b64 s[4:5], -1
                                        ; implicit-def: $sgpr10
	s_and_saveexec_b64 s[8:9], s[12:13]
; %bb.2690:
	s_mov_b32 s10, 0x7f800001
	s_xor_b64 s[4:5], exec, -1
; %bb.2691:
	s_or_b64 exec, exec, s[8:9]
	s_and_b64 s[4:5], s[4:5], exec
	s_or_saveexec_b64 s[6:7], s[6:7]
	v_mov_b32_e32 v10, s10
	s_xor_b64 exec, exec, s[6:7]
	s_cbranch_execz .LBB31_642
.LBB31_2692:
	v_mov_b32_e32 v10, 0
	v_cmp_ne_u16_sdwa s[8:9], v6, v10 src0_sel:BYTE_0 src1_sel:DWORD
	s_andn2_b64 s[4:5], s[4:5], exec
	s_and_b64 s[8:9], s[8:9], exec
	s_or_b64 s[4:5], s[4:5], s[8:9]
	s_or_b64 exec, exec, s[6:7]
	s_and_saveexec_b64 s[6:7], s[4:5]
	s_cbranch_execnz .LBB31_643
	s_branch .LBB31_644
.LBB31_2693:
	s_movk_i32 s4, 0x80
	v_cmp_eq_u16_sdwa s[12:13], v2, s4 src0_sel:BYTE_0 src1_sel:DWORD
	s_mov_b64 s[4:5], -1
                                        ; implicit-def: $sgpr10
	s_and_saveexec_b64 s[8:9], s[12:13]
; %bb.2694:
	s_mov_b32 s10, 0x7f800001
	s_xor_b64 s[4:5], exec, -1
; %bb.2695:
	s_or_b64 exec, exec, s[8:9]
	s_and_b64 s[4:5], s[4:5], exec
	s_or_saveexec_b64 s[6:7], s[6:7]
	v_mov_b32_e32 v11, s10
	s_xor_b64 exec, exec, s[6:7]
	s_cbranch_execz .LBB31_646
.LBB31_2696:
	v_mov_b32_e32 v11, 0
	v_cmp_ne_u16_sdwa s[8:9], v2, v11 src0_sel:BYTE_0 src1_sel:DWORD
	s_andn2_b64 s[4:5], s[4:5], exec
	s_and_b64 s[8:9], s[8:9], exec
	s_or_b64 s[4:5], s[4:5], s[8:9]
	s_or_b64 exec, exec, s[6:7]
	s_and_saveexec_b64 s[6:7], s[4:5]
	s_cbranch_execnz .LBB31_647
	s_branch .LBB31_648
.LBB31_2697:
	s_movk_i32 s4, 0x80
	v_cmp_eq_u16_sdwa s[12:13], v11, s4 src0_sel:BYTE_0 src1_sel:DWORD
	s_mov_b64 s[4:5], -1
                                        ; implicit-def: $sgpr10
	s_and_saveexec_b64 s[8:9], s[12:13]
; %bb.2698:
	s_mov_b32 s10, 0x7f800001
	s_xor_b64 s[4:5], exec, -1
; %bb.2699:
	s_or_b64 exec, exec, s[8:9]
	s_and_b64 s[4:5], s[4:5], exec
	s_or_saveexec_b64 s[6:7], s[6:7]
	v_mov_b32_e32 v10, s10
	s_xor_b64 exec, exec, s[6:7]
	s_cbranch_execz .LBB31_650
.LBB31_2700:
	v_mov_b32_e32 v10, 0
	v_cmp_ne_u16_sdwa s[8:9], v11, v10 src0_sel:BYTE_0 src1_sel:DWORD
	s_andn2_b64 s[4:5], s[4:5], exec
	s_and_b64 s[8:9], s[8:9], exec
	s_or_b64 s[4:5], s[4:5], s[8:9]
	s_or_b64 exec, exec, s[6:7]
	s_and_saveexec_b64 s[6:7], s[4:5]
	s_cbranch_execnz .LBB31_651
	s_branch .LBB31_652
.LBB31_2701:
	s_movk_i32 s4, 0x80
	v_cmp_eq_u16_sdwa s[12:13], v11, s4 src0_sel:BYTE_0 src1_sel:DWORD
	s_mov_b64 s[4:5], -1
                                        ; implicit-def: $sgpr10
	s_and_saveexec_b64 s[8:9], s[12:13]
; %bb.2702:
	s_mov_b32 s10, 0x7f800001
	s_xor_b64 s[4:5], exec, -1
; %bb.2703:
	s_or_b64 exec, exec, s[8:9]
	s_and_b64 s[4:5], s[4:5], exec
	s_or_saveexec_b64 s[6:7], s[6:7]
	v_mov_b32_e32 v12, s10
	s_xor_b64 exec, exec, s[6:7]
	s_cbranch_execz .LBB31_654
.LBB31_2704:
	v_mov_b32_e32 v12, 0
	v_cmp_ne_u16_sdwa s[8:9], v11, v12 src0_sel:BYTE_0 src1_sel:DWORD
	s_andn2_b64 s[4:5], s[4:5], exec
	s_and_b64 s[8:9], s[8:9], exec
	s_or_b64 s[4:5], s[4:5], s[8:9]
	s_or_b64 exec, exec, s[6:7]
	s_and_saveexec_b64 s[6:7], s[4:5]
	s_cbranch_execnz .LBB31_655
	s_branch .LBB31_656
.LBB31_2705:
	s_movk_i32 s4, 0x80
	v_cmp_eq_u16_e32 vcc, s4, v11
	s_mov_b64 s[4:5], -1
                                        ; implicit-def: $sgpr10
	s_and_saveexec_b64 s[8:9], vcc
; %bb.2706:
	s_mov_b32 s10, 0x7f800001
	s_xor_b64 s[4:5], exec, -1
; %bb.2707:
	s_or_b64 exec, exec, s[8:9]
	s_and_b64 s[4:5], s[4:5], exec
                                        ; implicit-def: $vgpr11
	s_or_saveexec_b64 s[6:7], s[6:7]
	v_mov_b32_e32 v10, s10
	s_xor_b64 exec, exec, s[6:7]
	s_cbranch_execz .LBB31_658
.LBB31_2708:
	v_cmp_ne_u16_e32 vcc, 0, v11
	s_andn2_b64 s[4:5], s[4:5], exec
	s_and_b64 s[8:9], vcc, exec
	v_mov_b32_e32 v10, 0
	s_or_b64 s[4:5], s[4:5], s[8:9]
	s_or_b64 exec, exec, s[6:7]
	s_and_saveexec_b64 s[6:7], s[4:5]
	s_cbranch_execnz .LBB31_659
	s_branch .LBB31_660
.LBB31_2709:
	s_movk_i32 s4, 0x80
	v_cmp_eq_u16_e32 vcc, s4, v11
	s_mov_b64 s[4:5], -1
                                        ; implicit-def: $sgpr10
	s_and_saveexec_b64 s[8:9], vcc
; %bb.2710:
	s_mov_b32 s10, 0x7f800001
	s_xor_b64 s[4:5], exec, -1
; %bb.2711:
	s_or_b64 exec, exec, s[8:9]
	s_and_b64 s[4:5], s[4:5], exec
                                        ; implicit-def: $vgpr11
	s_or_saveexec_b64 s[6:7], s[6:7]
	v_mov_b32_e32 v12, s10
	s_xor_b64 exec, exec, s[6:7]
	s_cbranch_execz .LBB31_662
.LBB31_2712:
	v_cmp_ne_u16_e32 vcc, 0, v11
	s_andn2_b64 s[4:5], s[4:5], exec
	s_and_b64 s[8:9], vcc, exec
	v_mov_b32_e32 v12, 0
	s_or_b64 s[4:5], s[4:5], s[8:9]
	s_or_b64 exec, exec, s[6:7]
	s_and_saveexec_b64 s[6:7], s[4:5]
	s_cbranch_execnz .LBB31_663
	s_branch .LBB31_664
.LBB31_2713:
	s_movk_i32 s4, 0x80
	v_cmp_eq_u16_sdwa s[12:13], v6, s4 src0_sel:BYTE_3 src1_sel:DWORD
	s_mov_b64 s[4:5], -1
                                        ; implicit-def: $sgpr10
	s_and_saveexec_b64 s[8:9], s[12:13]
; %bb.2714:
	s_mov_b32 s10, 0x7f800001
	s_xor_b64 s[4:5], exec, -1
; %bb.2715:
	s_or_b64 exec, exec, s[8:9]
	s_and_b64 s[4:5], s[4:5], exec
	s_or_saveexec_b64 s[6:7], s[6:7]
	v_mov_b32_e32 v10, s10
	s_xor_b64 exec, exec, s[6:7]
	s_cbranch_execz .LBB31_666
.LBB31_2716:
	v_mov_b32_e32 v10, 0
	v_cmp_ne_u16_sdwa s[8:9], v6, v10 src0_sel:BYTE_3 src1_sel:DWORD
	s_andn2_b64 s[4:5], s[4:5], exec
	s_and_b64 s[8:9], s[8:9], exec
	s_or_b64 s[4:5], s[4:5], s[8:9]
	s_or_b64 exec, exec, s[6:7]
	s_and_saveexec_b64 s[6:7], s[4:5]
	s_cbranch_execnz .LBB31_667
	s_branch .LBB31_668
.LBB31_2717:
	s_movk_i32 s4, 0x80
	v_cmp_eq_u16_sdwa s[12:13], v2, s4 src0_sel:BYTE_3 src1_sel:DWORD
	s_mov_b64 s[4:5], -1
                                        ; implicit-def: $sgpr10
	s_and_saveexec_b64 s[8:9], s[12:13]
; %bb.2718:
	s_mov_b32 s10, 0x7f800001
	s_xor_b64 s[4:5], exec, -1
; %bb.2719:
	s_or_b64 exec, exec, s[8:9]
	s_and_b64 s[4:5], s[4:5], exec
	s_or_saveexec_b64 s[6:7], s[6:7]
	v_mov_b32_e32 v6, s10
	s_xor_b64 exec, exec, s[6:7]
	s_cbranch_execz .LBB31_670
.LBB31_2720:
	v_mov_b32_e32 v6, 0
	v_cmp_ne_u16_sdwa s[8:9], v2, v6 src0_sel:BYTE_3 src1_sel:DWORD
	s_andn2_b64 s[4:5], s[4:5], exec
	s_and_b64 s[8:9], s[8:9], exec
	s_or_b64 s[4:5], s[4:5], s[8:9]
	s_or_b64 exec, exec, s[6:7]
	s_and_saveexec_b64 s[6:7], s[4:5]
	s_cbranch_execnz .LBB31_671
	s_branch .LBB31_672
.LBB31_2721:
	s_movk_i32 s4, 0x80
	v_cmp_eq_u16_sdwa s[12:13], v7, s4 src0_sel:BYTE_0 src1_sel:DWORD
	s_mov_b64 s[4:5], -1
                                        ; implicit-def: $sgpr10
	s_and_saveexec_b64 s[8:9], s[12:13]
; %bb.2722:
	s_mov_b32 s10, 0x7f800001
	s_xor_b64 s[4:5], exec, -1
; %bb.2723:
	s_or_b64 exec, exec, s[8:9]
	s_and_b64 s[4:5], s[4:5], exec
	s_or_saveexec_b64 s[6:7], s[6:7]
	v_mov_b32_e32 v2, s10
	s_xor_b64 exec, exec, s[6:7]
	s_cbranch_execz .LBB31_674
.LBB31_2724:
	v_mov_b32_e32 v2, 0
	v_cmp_ne_u16_sdwa s[8:9], v7, v2 src0_sel:BYTE_0 src1_sel:DWORD
	s_andn2_b64 s[4:5], s[4:5], exec
	s_and_b64 s[8:9], s[8:9], exec
	s_or_b64 s[4:5], s[4:5], s[8:9]
	s_or_b64 exec, exec, s[6:7]
	s_and_saveexec_b64 s[6:7], s[4:5]
	s_cbranch_execnz .LBB31_675
	s_branch .LBB31_676
.LBB31_2725:
	s_movk_i32 s4, 0x80
	v_cmp_eq_u16_sdwa s[12:13], v3, s4 src0_sel:BYTE_0 src1_sel:DWORD
	s_mov_b64 s[4:5], -1
                                        ; implicit-def: $sgpr10
	s_and_saveexec_b64 s[8:9], s[12:13]
; %bb.2726:
	s_mov_b32 s10, 0x7f800001
	s_xor_b64 s[4:5], exec, -1
; %bb.2727:
	s_or_b64 exec, exec, s[8:9]
	s_and_b64 s[4:5], s[4:5], exec
	s_or_saveexec_b64 s[6:7], s[6:7]
	v_mov_b32_e32 v6, s10
	s_xor_b64 exec, exec, s[6:7]
	s_cbranch_execz .LBB31_678
.LBB31_2728:
	v_mov_b32_e32 v6, 0
	v_cmp_ne_u16_sdwa s[8:9], v3, v6 src0_sel:BYTE_0 src1_sel:DWORD
	s_andn2_b64 s[4:5], s[4:5], exec
	s_and_b64 s[8:9], s[8:9], exec
	s_or_b64 s[4:5], s[4:5], s[8:9]
	s_or_b64 exec, exec, s[6:7]
	s_and_saveexec_b64 s[6:7], s[4:5]
	s_cbranch_execnz .LBB31_679
	s_branch .LBB31_680
.LBB31_2729:
	s_movk_i32 s4, 0x80
	v_cmp_eq_u16_sdwa s[12:13], v6, s4 src0_sel:BYTE_0 src1_sel:DWORD
	s_mov_b64 s[4:5], -1
                                        ; implicit-def: $sgpr10
	s_and_saveexec_b64 s[8:9], s[12:13]
; %bb.2730:
	s_mov_b32 s10, 0x7f800001
	s_xor_b64 s[4:5], exec, -1
; %bb.2731:
	s_or_b64 exec, exec, s[8:9]
	s_and_b64 s[4:5], s[4:5], exec
	s_or_saveexec_b64 s[6:7], s[6:7]
	v_mov_b32_e32 v2, s10
	s_xor_b64 exec, exec, s[6:7]
	s_cbranch_execz .LBB31_682
.LBB31_2732:
	v_mov_b32_e32 v2, 0
	v_cmp_ne_u16_sdwa s[8:9], v6, v2 src0_sel:BYTE_0 src1_sel:DWORD
	s_andn2_b64 s[4:5], s[4:5], exec
	s_and_b64 s[8:9], s[8:9], exec
	s_or_b64 s[4:5], s[4:5], s[8:9]
	s_or_b64 exec, exec, s[6:7]
	s_and_saveexec_b64 s[6:7], s[4:5]
	s_cbranch_execnz .LBB31_683
	s_branch .LBB31_684
.LBB31_2733:
	s_movk_i32 s4, 0x80
	v_cmp_eq_u16_sdwa s[12:13], v6, s4 src0_sel:BYTE_0 src1_sel:DWORD
	s_mov_b64 s[4:5], -1
                                        ; implicit-def: $sgpr10
	s_and_saveexec_b64 s[8:9], s[12:13]
; %bb.2734:
	s_mov_b32 s10, 0x7f800001
	s_xor_b64 s[4:5], exec, -1
; %bb.2735:
	s_or_b64 exec, exec, s[8:9]
	s_and_b64 s[4:5], s[4:5], exec
	s_or_saveexec_b64 s[6:7], s[6:7]
	v_mov_b32_e32 v10, s10
	s_xor_b64 exec, exec, s[6:7]
	s_cbranch_execz .LBB31_686
.LBB31_2736:
	v_mov_b32_e32 v10, 0
	v_cmp_ne_u16_sdwa s[8:9], v6, v10 src0_sel:BYTE_0 src1_sel:DWORD
	s_andn2_b64 s[4:5], s[4:5], exec
	s_and_b64 s[8:9], s[8:9], exec
	s_or_b64 s[4:5], s[4:5], s[8:9]
	s_or_b64 exec, exec, s[6:7]
	s_and_saveexec_b64 s[6:7], s[4:5]
	s_cbranch_execnz .LBB31_687
	s_branch .LBB31_688
.LBB31_2737:
	s_movk_i32 s4, 0x80
	v_cmp_eq_u16_e32 vcc, s4, v6
	s_mov_b64 s[4:5], -1
                                        ; implicit-def: $sgpr10
	s_and_saveexec_b64 s[8:9], vcc
; %bb.2738:
	s_mov_b32 s10, 0x7f800001
	s_xor_b64 s[4:5], exec, -1
; %bb.2739:
	s_or_b64 exec, exec, s[8:9]
	s_and_b64 s[4:5], s[4:5], exec
                                        ; implicit-def: $vgpr6
	s_or_saveexec_b64 s[6:7], s[6:7]
	v_mov_b32_e32 v2, s10
	s_xor_b64 exec, exec, s[6:7]
	s_cbranch_execz .LBB31_690
.LBB31_2740:
	v_cmp_ne_u16_e32 vcc, 0, v6
	s_andn2_b64 s[4:5], s[4:5], exec
	s_and_b64 s[8:9], vcc, exec
	v_mov_b32_e32 v2, 0
	s_or_b64 s[4:5], s[4:5], s[8:9]
	s_or_b64 exec, exec, s[6:7]
	s_and_saveexec_b64 s[6:7], s[4:5]
	s_cbranch_execnz .LBB31_691
	s_branch .LBB31_692
.LBB31_2741:
	s_movk_i32 s4, 0x80
	v_cmp_eq_u16_e32 vcc, s4, v6
	s_mov_b64 s[4:5], -1
                                        ; implicit-def: $sgpr10
	s_and_saveexec_b64 s[8:9], vcc
; %bb.2742:
	s_mov_b32 s10, 0x7f800001
	s_xor_b64 s[4:5], exec, -1
; %bb.2743:
	s_or_b64 exec, exec, s[8:9]
	s_and_b64 s[4:5], s[4:5], exec
                                        ; implicit-def: $vgpr6
	s_or_saveexec_b64 s[6:7], s[6:7]
	v_mov_b32_e32 v10, s10
	s_xor_b64 exec, exec, s[6:7]
	s_cbranch_execz .LBB31_694
.LBB31_2744:
	v_cmp_ne_u16_e32 vcc, 0, v6
	s_andn2_b64 s[4:5], s[4:5], exec
	s_and_b64 s[8:9], vcc, exec
	v_mov_b32_e32 v10, 0
	s_or_b64 s[4:5], s[4:5], s[8:9]
	s_or_b64 exec, exec, s[6:7]
	s_and_saveexec_b64 s[6:7], s[4:5]
	s_cbranch_execnz .LBB31_695
	s_branch .LBB31_696
.LBB31_2745:
	s_movk_i32 s4, 0x80
	v_cmp_eq_u16_sdwa s[12:13], v7, s4 src0_sel:BYTE_3 src1_sel:DWORD
	s_mov_b64 s[4:5], -1
                                        ; implicit-def: $sgpr10
	s_and_saveexec_b64 s[8:9], s[12:13]
; %bb.2746:
	s_mov_b32 s10, 0x7f800001
	s_xor_b64 s[4:5], exec, -1
; %bb.2747:
	s_or_b64 exec, exec, s[8:9]
	s_and_b64 s[4:5], s[4:5], exec
	s_or_saveexec_b64 s[6:7], s[6:7]
	v_mov_b32_e32 v2, s10
	s_xor_b64 exec, exec, s[6:7]
	s_cbranch_execz .LBB31_698
.LBB31_2748:
	v_mov_b32_e32 v2, 0
	v_cmp_ne_u16_sdwa s[8:9], v7, v2 src0_sel:BYTE_3 src1_sel:DWORD
	s_andn2_b64 s[4:5], s[4:5], exec
	s_and_b64 s[8:9], s[8:9], exec
	s_or_b64 s[4:5], s[4:5], s[8:9]
	s_or_b64 exec, exec, s[6:7]
	s_and_saveexec_b64 s[6:7], s[4:5]
	s_cbranch_execnz .LBB31_699
	s_branch .LBB31_700
.LBB31_2749:
	s_movk_i32 s4, 0x80
	v_cmp_eq_u16_sdwa s[12:13], v3, s4 src0_sel:BYTE_3 src1_sel:DWORD
	s_mov_b64 s[4:5], -1
                                        ; implicit-def: $sgpr10
	s_and_saveexec_b64 s[8:9], s[12:13]
; %bb.2750:
	s_mov_b32 s10, 0x7f800001
	s_xor_b64 s[4:5], exec, -1
; %bb.2751:
	s_or_b64 exec, exec, s[8:9]
	s_and_b64 s[4:5], s[4:5], exec
	s_or_saveexec_b64 s[6:7], s[6:7]
	v_mov_b32_e32 v6, s10
	s_xor_b64 exec, exec, s[6:7]
	s_cbranch_execz .LBB31_702
.LBB31_2752:
	v_mov_b32_e32 v6, 0
	v_cmp_ne_u16_sdwa s[8:9], v3, v6 src0_sel:BYTE_3 src1_sel:DWORD
	s_andn2_b64 s[4:5], s[4:5], exec
	s_and_b64 s[8:9], s[8:9], exec
	s_or_b64 s[4:5], s[4:5], s[8:9]
	s_or_b64 exec, exec, s[6:7]
	s_and_saveexec_b64 s[6:7], s[4:5]
	s_cbranch_execnz .LBB31_703
	s_branch .LBB31_704
.LBB31_2753:
	s_movk_i32 s4, 0x80
	v_cmp_eq_u16_sdwa s[12:13], v8, s4 src0_sel:BYTE_0 src1_sel:DWORD
	s_mov_b64 s[4:5], -1
                                        ; implicit-def: $sgpr10
	s_and_saveexec_b64 s[8:9], s[12:13]
; %bb.2754:
	s_mov_b32 s10, 0x7f800001
	s_xor_b64 s[4:5], exec, -1
; %bb.2755:
	s_or_b64 exec, exec, s[8:9]
	s_and_b64 s[4:5], s[4:5], exec
	s_or_saveexec_b64 s[6:7], s[6:7]
	v_mov_b32_e32 v2, s10
	s_xor_b64 exec, exec, s[6:7]
	s_cbranch_execz .LBB31_706
.LBB31_2756:
	v_mov_b32_e32 v2, 0
	v_cmp_ne_u16_sdwa s[8:9], v8, v2 src0_sel:BYTE_0 src1_sel:DWORD
	s_andn2_b64 s[4:5], s[4:5], exec
	s_and_b64 s[8:9], s[8:9], exec
	s_or_b64 s[4:5], s[4:5], s[8:9]
	s_or_b64 exec, exec, s[6:7]
	s_and_saveexec_b64 s[6:7], s[4:5]
	s_cbranch_execnz .LBB31_707
	s_branch .LBB31_708
.LBB31_2757:
	s_movk_i32 s4, 0x80
	v_cmp_eq_u16_sdwa s[12:13], v4, s4 src0_sel:BYTE_0 src1_sel:DWORD
	s_mov_b64 s[4:5], -1
                                        ; implicit-def: $sgpr10
	s_and_saveexec_b64 s[8:9], s[12:13]
; %bb.2758:
	s_mov_b32 s10, 0x7f800001
	s_xor_b64 s[4:5], exec, -1
; %bb.2759:
	s_or_b64 exec, exec, s[8:9]
	s_and_b64 s[4:5], s[4:5], exec
	s_or_saveexec_b64 s[6:7], s[6:7]
	v_mov_b32_e32 v3, s10
	s_xor_b64 exec, exec, s[6:7]
	s_cbranch_execz .LBB31_710
.LBB31_2760:
	v_mov_b32_e32 v3, 0
	v_cmp_ne_u16_sdwa s[8:9], v4, v3 src0_sel:BYTE_0 src1_sel:DWORD
	s_andn2_b64 s[4:5], s[4:5], exec
	s_and_b64 s[8:9], s[8:9], exec
	s_or_b64 s[4:5], s[4:5], s[8:9]
	s_or_b64 exec, exec, s[6:7]
	s_and_saveexec_b64 s[6:7], s[4:5]
	s_cbranch_execnz .LBB31_711
	s_branch .LBB31_712
.LBB31_2761:
	s_movk_i32 s4, 0x80
	v_cmp_eq_u16_sdwa s[12:13], v3, s4 src0_sel:BYTE_0 src1_sel:DWORD
	s_mov_b64 s[4:5], -1
                                        ; implicit-def: $sgpr10
	s_and_saveexec_b64 s[8:9], s[12:13]
; %bb.2762:
	s_mov_b32 s10, 0x7f800001
	s_xor_b64 s[4:5], exec, -1
; %bb.2763:
	s_or_b64 exec, exec, s[8:9]
	s_and_b64 s[4:5], s[4:5], exec
	s_or_saveexec_b64 s[6:7], s[6:7]
	v_mov_b32_e32 v2, s10
	s_xor_b64 exec, exec, s[6:7]
	s_cbranch_execz .LBB31_714
.LBB31_2764:
	v_mov_b32_e32 v2, 0
	v_cmp_ne_u16_sdwa s[8:9], v3, v2 src0_sel:BYTE_0 src1_sel:DWORD
	s_andn2_b64 s[4:5], s[4:5], exec
	s_and_b64 s[8:9], s[8:9], exec
	s_or_b64 s[4:5], s[4:5], s[8:9]
	s_or_b64 exec, exec, s[6:7]
	s_and_saveexec_b64 s[6:7], s[4:5]
	s_cbranch_execnz .LBB31_715
	s_branch .LBB31_716
.LBB31_2765:
	s_movk_i32 s4, 0x80
	v_cmp_eq_u16_sdwa s[12:13], v3, s4 src0_sel:BYTE_0 src1_sel:DWORD
	s_mov_b64 s[4:5], -1
                                        ; implicit-def: $sgpr10
	s_and_saveexec_b64 s[8:9], s[12:13]
; %bb.2766:
	s_mov_b32 s10, 0x7f800001
	s_xor_b64 s[4:5], exec, -1
; %bb.2767:
	s_or_b64 exec, exec, s[8:9]
	s_and_b64 s[4:5], s[4:5], exec
	s_or_saveexec_b64 s[6:7], s[6:7]
	v_mov_b32_e32 v6, s10
	s_xor_b64 exec, exec, s[6:7]
	s_cbranch_execz .LBB31_718
.LBB31_2768:
	v_mov_b32_e32 v6, 0
	v_cmp_ne_u16_sdwa s[8:9], v3, v6 src0_sel:BYTE_0 src1_sel:DWORD
	s_andn2_b64 s[4:5], s[4:5], exec
	s_and_b64 s[8:9], s[8:9], exec
	s_or_b64 s[4:5], s[4:5], s[8:9]
	s_or_b64 exec, exec, s[6:7]
	s_and_saveexec_b64 s[6:7], s[4:5]
	s_cbranch_execnz .LBB31_719
	s_branch .LBB31_720
.LBB31_2769:
	s_movk_i32 s4, 0x80
	v_cmp_eq_u16_e32 vcc, s4, v3
	s_mov_b64 s[4:5], -1
                                        ; implicit-def: $sgpr10
	s_and_saveexec_b64 s[8:9], vcc
; %bb.2770:
	s_mov_b32 s10, 0x7f800001
	s_xor_b64 s[4:5], exec, -1
; %bb.2771:
	s_or_b64 exec, exec, s[8:9]
	s_and_b64 s[4:5], s[4:5], exec
                                        ; implicit-def: $vgpr3
	s_or_saveexec_b64 s[6:7], s[6:7]
	v_mov_b32_e32 v2, s10
	s_xor_b64 exec, exec, s[6:7]
	s_cbranch_execz .LBB31_722
.LBB31_2772:
	v_cmp_ne_u16_e32 vcc, 0, v3
	s_andn2_b64 s[4:5], s[4:5], exec
	s_and_b64 s[8:9], vcc, exec
	v_mov_b32_e32 v2, 0
	s_or_b64 s[4:5], s[4:5], s[8:9]
	s_or_b64 exec, exec, s[6:7]
	s_and_saveexec_b64 s[6:7], s[4:5]
	s_cbranch_execnz .LBB31_723
	s_branch .LBB31_724
.LBB31_2773:
	s_movk_i32 s4, 0x80
	v_cmp_eq_u16_e32 vcc, s4, v3
	s_mov_b64 s[4:5], -1
                                        ; implicit-def: $sgpr10
	s_and_saveexec_b64 s[8:9], vcc
; %bb.2774:
	s_mov_b32 s10, 0x7f800001
	s_xor_b64 s[4:5], exec, -1
; %bb.2775:
	s_or_b64 exec, exec, s[8:9]
	s_and_b64 s[4:5], s[4:5], exec
                                        ; implicit-def: $vgpr3
	s_or_saveexec_b64 s[6:7], s[6:7]
	v_mov_b32_e32 v6, s10
	s_xor_b64 exec, exec, s[6:7]
	s_cbranch_execz .LBB31_726
.LBB31_2776:
	v_cmp_ne_u16_e32 vcc, 0, v3
	s_andn2_b64 s[4:5], s[4:5], exec
	s_and_b64 s[8:9], vcc, exec
	v_mov_b32_e32 v6, 0
	s_or_b64 s[4:5], s[4:5], s[8:9]
	s_or_b64 exec, exec, s[6:7]
	s_and_saveexec_b64 s[6:7], s[4:5]
	s_cbranch_execnz .LBB31_727
	s_branch .LBB31_728
.LBB31_2777:
	s_movk_i32 s4, 0x80
	v_cmp_eq_u16_sdwa s[12:13], v8, s4 src0_sel:BYTE_3 src1_sel:DWORD
	s_mov_b64 s[4:5], -1
                                        ; implicit-def: $sgpr10
	s_and_saveexec_b64 s[8:9], s[12:13]
; %bb.2778:
	s_mov_b32 s10, 0x7f800001
	s_xor_b64 s[4:5], exec, -1
; %bb.2779:
	s_or_b64 exec, exec, s[8:9]
	s_and_b64 s[4:5], s[4:5], exec
	s_or_saveexec_b64 s[6:7], s[6:7]
	v_mov_b32_e32 v2, s10
	s_xor_b64 exec, exec, s[6:7]
	s_cbranch_execz .LBB31_730
.LBB31_2780:
	v_mov_b32_e32 v2, 0
	v_cmp_ne_u16_sdwa s[8:9], v8, v2 src0_sel:BYTE_3 src1_sel:DWORD
	s_andn2_b64 s[4:5], s[4:5], exec
	s_and_b64 s[8:9], s[8:9], exec
	s_or_b64 s[4:5], s[4:5], s[8:9]
	s_or_b64 exec, exec, s[6:7]
	s_and_saveexec_b64 s[6:7], s[4:5]
	s_cbranch_execnz .LBB31_731
	s_branch .LBB31_732
.LBB31_2781:
	s_movk_i32 s4, 0x80
	v_cmp_eq_u16_sdwa s[12:13], v4, s4 src0_sel:BYTE_3 src1_sel:DWORD
	s_mov_b64 s[4:5], -1
                                        ; implicit-def: $sgpr10
	s_and_saveexec_b64 s[8:9], s[12:13]
; %bb.2782:
	s_mov_b32 s10, 0x7f800001
	s_xor_b64 s[4:5], exec, -1
; %bb.2783:
	s_or_b64 exec, exec, s[8:9]
	s_and_b64 s[4:5], s[4:5], exec
	s_or_saveexec_b64 s[6:7], s[6:7]
	v_mov_b32_e32 v3, s10
	s_xor_b64 exec, exec, s[6:7]
	s_cbranch_execz .LBB31_734
.LBB31_2784:
	v_mov_b32_e32 v3, 0
	v_cmp_ne_u16_sdwa s[8:9], v4, v3 src0_sel:BYTE_3 src1_sel:DWORD
	s_andn2_b64 s[4:5], s[4:5], exec
	s_and_b64 s[8:9], s[8:9], exec
	s_or_b64 s[4:5], s[4:5], s[8:9]
	s_or_b64 exec, exec, s[6:7]
	s_and_saveexec_b64 s[6:7], s[4:5]
	s_cbranch_execnz .LBB31_735
	s_branch .LBB31_736
.LBB31_2785:
	s_movk_i32 s4, 0x80
	v_cmp_eq_u16_sdwa s[12:13], v9, s4 src0_sel:BYTE_0 src1_sel:DWORD
	s_mov_b64 s[4:5], -1
                                        ; implicit-def: $sgpr10
	s_and_saveexec_b64 s[8:9], s[12:13]
; %bb.2786:
	s_mov_b32 s10, 0x7f800001
	s_xor_b64 s[4:5], exec, -1
; %bb.2787:
	s_or_b64 exec, exec, s[8:9]
	s_and_b64 s[4:5], s[4:5], exec
	s_or_saveexec_b64 s[6:7], s[6:7]
	v_mov_b32_e32 v2, s10
	s_xor_b64 exec, exec, s[6:7]
	s_cbranch_execz .LBB31_738
.LBB31_2788:
	v_mov_b32_e32 v2, 0
	v_cmp_ne_u16_sdwa s[8:9], v9, v2 src0_sel:BYTE_0 src1_sel:DWORD
	s_andn2_b64 s[4:5], s[4:5], exec
	s_and_b64 s[8:9], s[8:9], exec
	s_or_b64 s[4:5], s[4:5], s[8:9]
	s_or_b64 exec, exec, s[6:7]
	s_and_saveexec_b64 s[6:7], s[4:5]
	s_cbranch_execnz .LBB31_739
	s_branch .LBB31_740
.LBB31_2789:
	s_movk_i32 s4, 0x80
	v_cmp_eq_u16_sdwa s[12:13], v5, s4 src0_sel:BYTE_0 src1_sel:DWORD
	s_mov_b64 s[4:5], -1
                                        ; implicit-def: $sgpr10
	s_and_saveexec_b64 s[8:9], s[12:13]
; %bb.2790:
	s_mov_b32 s10, 0x7f800001
	s_xor_b64 s[4:5], exec, -1
; %bb.2791:
	s_or_b64 exec, exec, s[8:9]
	s_and_b64 s[4:5], s[4:5], exec
	s_or_saveexec_b64 s[6:7], s[6:7]
	v_mov_b32_e32 v3, s10
	s_xor_b64 exec, exec, s[6:7]
	s_cbranch_execz .LBB31_742
.LBB31_2792:
	v_mov_b32_e32 v3, 0
	v_cmp_ne_u16_sdwa s[8:9], v5, v3 src0_sel:BYTE_0 src1_sel:DWORD
	s_andn2_b64 s[4:5], s[4:5], exec
	s_and_b64 s[8:9], s[8:9], exec
	s_or_b64 s[4:5], s[4:5], s[8:9]
	s_or_b64 exec, exec, s[6:7]
	s_and_saveexec_b64 s[6:7], s[4:5]
	s_cbranch_execnz .LBB31_743
	s_branch .LBB31_744
.LBB31_2793:
	s_movk_i32 s4, 0x80
	v_cmp_eq_u16_sdwa s[12:13], v3, s4 src0_sel:BYTE_0 src1_sel:DWORD
	s_mov_b64 s[4:5], -1
                                        ; implicit-def: $sgpr10
	s_and_saveexec_b64 s[8:9], s[12:13]
; %bb.2794:
	s_mov_b32 s10, 0x7f800001
	s_xor_b64 s[4:5], exec, -1
; %bb.2795:
	s_or_b64 exec, exec, s[8:9]
	s_and_b64 s[4:5], s[4:5], exec
	s_or_saveexec_b64 s[6:7], s[6:7]
	v_mov_b32_e32 v2, s10
	s_xor_b64 exec, exec, s[6:7]
	s_cbranch_execz .LBB31_746
.LBB31_2796:
	v_mov_b32_e32 v2, 0
	v_cmp_ne_u16_sdwa s[8:9], v3, v2 src0_sel:BYTE_0 src1_sel:DWORD
	s_andn2_b64 s[4:5], s[4:5], exec
	s_and_b64 s[8:9], s[8:9], exec
	s_or_b64 s[4:5], s[4:5], s[8:9]
	s_or_b64 exec, exec, s[6:7]
	s_and_saveexec_b64 s[6:7], s[4:5]
	s_cbranch_execnz .LBB31_747
	s_branch .LBB31_748
.LBB31_2797:
	s_movk_i32 s4, 0x80
	v_cmp_eq_u16_sdwa s[12:13], v3, s4 src0_sel:BYTE_0 src1_sel:DWORD
	s_mov_b64 s[4:5], -1
                                        ; implicit-def: $sgpr10
	s_and_saveexec_b64 s[8:9], s[12:13]
; %bb.2798:
	s_mov_b32 s10, 0x7f800001
	s_xor_b64 s[4:5], exec, -1
; %bb.2799:
	s_or_b64 exec, exec, s[8:9]
	s_and_b64 s[4:5], s[4:5], exec
	s_or_saveexec_b64 s[6:7], s[6:7]
	v_mov_b32_e32 v4, s10
	s_xor_b64 exec, exec, s[6:7]
	s_cbranch_execz .LBB31_750
.LBB31_2800:
	v_mov_b32_e32 v4, 0
	v_cmp_ne_u16_sdwa s[8:9], v3, v4 src0_sel:BYTE_0 src1_sel:DWORD
	s_andn2_b64 s[4:5], s[4:5], exec
	s_and_b64 s[8:9], s[8:9], exec
	s_or_b64 s[4:5], s[4:5], s[8:9]
	s_or_b64 exec, exec, s[6:7]
	s_and_saveexec_b64 s[6:7], s[4:5]
	s_cbranch_execnz .LBB31_751
	s_branch .LBB31_752
.LBB31_2801:
	s_movk_i32 s4, 0x80
	v_cmp_eq_u16_e32 vcc, s4, v3
	s_mov_b64 s[4:5], -1
                                        ; implicit-def: $sgpr10
	s_and_saveexec_b64 s[8:9], vcc
; %bb.2802:
	s_mov_b32 s10, 0x7f800001
	s_xor_b64 s[4:5], exec, -1
; %bb.2803:
	s_or_b64 exec, exec, s[8:9]
	s_and_b64 s[4:5], s[4:5], exec
                                        ; implicit-def: $vgpr3
	s_or_saveexec_b64 s[6:7], s[6:7]
	v_mov_b32_e32 v2, s10
	s_xor_b64 exec, exec, s[6:7]
	s_cbranch_execz .LBB31_754
.LBB31_2804:
	v_cmp_ne_u16_e32 vcc, 0, v3
	s_andn2_b64 s[4:5], s[4:5], exec
	s_and_b64 s[8:9], vcc, exec
	v_mov_b32_e32 v2, 0
	s_or_b64 s[4:5], s[4:5], s[8:9]
	s_or_b64 exec, exec, s[6:7]
	s_and_saveexec_b64 s[6:7], s[4:5]
	s_cbranch_execnz .LBB31_755
	s_branch .LBB31_756
.LBB31_2805:
	s_movk_i32 s4, 0x80
	v_cmp_eq_u16_e32 vcc, s4, v3
	s_mov_b64 s[4:5], -1
                                        ; implicit-def: $sgpr10
	s_and_saveexec_b64 s[8:9], vcc
; %bb.2806:
	s_mov_b32 s10, 0x7f800001
	s_xor_b64 s[4:5], exec, -1
; %bb.2807:
	s_or_b64 exec, exec, s[8:9]
	s_and_b64 s[4:5], s[4:5], exec
                                        ; implicit-def: $vgpr3
	s_or_saveexec_b64 s[6:7], s[6:7]
	v_mov_b32_e32 v4, s10
	s_xor_b64 exec, exec, s[6:7]
	s_cbranch_execz .LBB31_758
.LBB31_2808:
	v_cmp_ne_u16_e32 vcc, 0, v3
	s_andn2_b64 s[4:5], s[4:5], exec
	s_and_b64 s[8:9], vcc, exec
	v_mov_b32_e32 v4, 0
	s_or_b64 s[4:5], s[4:5], s[8:9]
	s_or_b64 exec, exec, s[6:7]
	s_and_saveexec_b64 s[6:7], s[4:5]
	s_cbranch_execnz .LBB31_759
	s_branch .LBB31_760
.LBB31_2809:
	s_movk_i32 s4, 0x80
	v_cmp_eq_u16_sdwa s[12:13], v9, s4 src0_sel:BYTE_3 src1_sel:DWORD
	s_mov_b64 s[4:5], -1
                                        ; implicit-def: $sgpr10
	s_and_saveexec_b64 s[8:9], s[12:13]
; %bb.2810:
	s_mov_b32 s10, 0x7f800001
	s_xor_b64 s[4:5], exec, -1
; %bb.2811:
	s_or_b64 exec, exec, s[8:9]
	s_and_b64 s[4:5], s[4:5], exec
	s_or_saveexec_b64 s[6:7], s[6:7]
	v_mov_b32_e32 v2, s10
	s_xor_b64 exec, exec, s[6:7]
	s_cbranch_execz .LBB31_762
.LBB31_2812:
	v_mov_b32_e32 v2, 0
	v_cmp_ne_u16_sdwa s[8:9], v9, v2 src0_sel:BYTE_3 src1_sel:DWORD
	s_andn2_b64 s[4:5], s[4:5], exec
	s_and_b64 s[8:9], s[8:9], exec
	s_or_b64 s[4:5], s[4:5], s[8:9]
	s_or_b64 exec, exec, s[6:7]
	s_and_saveexec_b64 s[6:7], s[4:5]
	s_cbranch_execnz .LBB31_763
	s_branch .LBB31_764
.LBB31_2813:
	s_movk_i32 s4, 0x80
	v_cmp_eq_u16_sdwa s[12:13], v5, s4 src0_sel:BYTE_3 src1_sel:DWORD
	s_mov_b64 s[4:5], -1
                                        ; implicit-def: $sgpr10
	s_and_saveexec_b64 s[8:9], s[12:13]
; %bb.2814:
	s_mov_b32 s10, 0x7f800001
	s_xor_b64 s[4:5], exec, -1
; %bb.2815:
	s_or_b64 exec, exec, s[8:9]
	s_and_b64 s[4:5], s[4:5], exec
	s_or_saveexec_b64 s[6:7], s[6:7]
	v_mov_b32_e32 v3, s10
	s_xor_b64 exec, exec, s[6:7]
	s_cbranch_execz .LBB31_766
.LBB31_2816:
	v_mov_b32_e32 v3, 0
	v_cmp_ne_u16_sdwa s[8:9], v5, v3 src0_sel:BYTE_3 src1_sel:DWORD
	s_andn2_b64 s[4:5], s[4:5], exec
	s_and_b64 s[8:9], s[8:9], exec
	s_or_b64 s[4:5], s[4:5], s[8:9]
	s_or_b64 exec, exec, s[6:7]
	s_and_saveexec_b64 s[6:7], s[4:5]
	s_cbranch_execnz .LBB31_767
	s_branch .LBB31_768
.LBB31_2817:
	s_movk_i32 s4, 0x80
	v_cmp_eq_u16_sdwa s[12:13], v14, s4 src0_sel:BYTE_0 src1_sel:DWORD
	s_mov_b64 s[4:5], -1
                                        ; implicit-def: $sgpr10
	s_and_saveexec_b64 s[8:9], s[12:13]
; %bb.2818:
	s_mov_b32 s10, 0x7f800001
	s_xor_b64 s[4:5], exec, -1
; %bb.2819:
	s_or_b64 exec, exec, s[8:9]
	s_and_b64 s[4:5], s[4:5], exec
	s_or_saveexec_b64 s[6:7], s[6:7]
	v_mov_b32_e32 v20, s10
	s_xor_b64 exec, exec, s[6:7]
	s_cbranch_execz .LBB31_770
.LBB31_2820:
	v_mov_b32_e32 v20, 0
	v_cmp_ne_u16_sdwa s[8:9], v14, v20 src0_sel:BYTE_0 src1_sel:DWORD
	s_andn2_b64 s[4:5], s[4:5], exec
	s_and_b64 s[8:9], s[8:9], exec
	s_or_b64 s[4:5], s[4:5], s[8:9]
	s_or_b64 exec, exec, s[6:7]
	s_and_saveexec_b64 s[6:7], s[4:5]
	s_cbranch_execnz .LBB31_771
	s_branch .LBB31_772
.LBB31_2821:
	s_movk_i32 s4, 0x80
	v_cmp_eq_u16_sdwa s[12:13], v10, s4 src0_sel:BYTE_0 src1_sel:DWORD
	s_mov_b64 s[4:5], -1
                                        ; implicit-def: $sgpr10
	s_and_saveexec_b64 s[8:9], s[12:13]
; %bb.2822:
	s_mov_b32 s10, 0x7f800001
	s_xor_b64 s[4:5], exec, -1
; %bb.2823:
	s_or_b64 exec, exec, s[8:9]
	s_and_b64 s[4:5], s[4:5], exec
	s_or_saveexec_b64 s[6:7], s[6:7]
	v_mov_b32_e32 v21, s10
	s_xor_b64 exec, exec, s[6:7]
	s_cbranch_execz .LBB31_774
.LBB31_2824:
	v_mov_b32_e32 v21, 0
	v_cmp_ne_u16_sdwa s[8:9], v10, v21 src0_sel:BYTE_0 src1_sel:DWORD
	s_andn2_b64 s[4:5], s[4:5], exec
	s_and_b64 s[8:9], s[8:9], exec
	s_or_b64 s[4:5], s[4:5], s[8:9]
	s_or_b64 exec, exec, s[6:7]
	s_and_saveexec_b64 s[6:7], s[4:5]
	s_cbranch_execnz .LBB31_775
	s_branch .LBB31_776
.LBB31_2825:
	s_movk_i32 s4, 0x80
	v_cmp_eq_u16_sdwa s[12:13], v21, s4 src0_sel:BYTE_0 src1_sel:DWORD
	s_mov_b64 s[4:5], -1
                                        ; implicit-def: $sgpr10
	s_and_saveexec_b64 s[8:9], s[12:13]
; %bb.2826:
	s_mov_b32 s10, 0x7f800001
	s_xor_b64 s[4:5], exec, -1
; %bb.2827:
	s_or_b64 exec, exec, s[8:9]
	s_and_b64 s[4:5], s[4:5], exec
	s_or_saveexec_b64 s[6:7], s[6:7]
	v_mov_b32_e32 v20, s10
	s_xor_b64 exec, exec, s[6:7]
	s_cbranch_execz .LBB31_778
.LBB31_2828:
	v_mov_b32_e32 v20, 0
	v_cmp_ne_u16_sdwa s[8:9], v21, v20 src0_sel:BYTE_0 src1_sel:DWORD
	s_andn2_b64 s[4:5], s[4:5], exec
	s_and_b64 s[8:9], s[8:9], exec
	s_or_b64 s[4:5], s[4:5], s[8:9]
	s_or_b64 exec, exec, s[6:7]
	s_and_saveexec_b64 s[6:7], s[4:5]
	s_cbranch_execnz .LBB31_779
	s_branch .LBB31_780
.LBB31_2829:
	s_movk_i32 s4, 0x80
	v_cmp_eq_u16_sdwa s[12:13], v21, s4 src0_sel:BYTE_0 src1_sel:DWORD
	s_mov_b64 s[4:5], -1
                                        ; implicit-def: $sgpr10
	s_and_saveexec_b64 s[8:9], s[12:13]
; %bb.2830:
	s_mov_b32 s10, 0x7f800001
	s_xor_b64 s[4:5], exec, -1
; %bb.2831:
	s_or_b64 exec, exec, s[8:9]
	s_and_b64 s[4:5], s[4:5], exec
	s_or_saveexec_b64 s[6:7], s[6:7]
	v_mov_b32_e32 v22, s10
	s_xor_b64 exec, exec, s[6:7]
	s_cbranch_execz .LBB31_782
.LBB31_2832:
	v_mov_b32_e32 v22, 0
	v_cmp_ne_u16_sdwa s[8:9], v21, v22 src0_sel:BYTE_0 src1_sel:DWORD
	s_andn2_b64 s[4:5], s[4:5], exec
	s_and_b64 s[8:9], s[8:9], exec
	s_or_b64 s[4:5], s[4:5], s[8:9]
	s_or_b64 exec, exec, s[6:7]
	s_and_saveexec_b64 s[6:7], s[4:5]
	s_cbranch_execnz .LBB31_783
	s_branch .LBB31_784
.LBB31_2833:
	s_movk_i32 s4, 0x80
	v_cmp_eq_u16_e32 vcc, s4, v21
	s_mov_b64 s[4:5], -1
                                        ; implicit-def: $sgpr10
	s_and_saveexec_b64 s[8:9], vcc
; %bb.2834:
	s_mov_b32 s10, 0x7f800001
	s_xor_b64 s[4:5], exec, -1
; %bb.2835:
	s_or_b64 exec, exec, s[8:9]
	s_and_b64 s[4:5], s[4:5], exec
                                        ; implicit-def: $vgpr21
	s_or_saveexec_b64 s[6:7], s[6:7]
	v_mov_b32_e32 v20, s10
	s_xor_b64 exec, exec, s[6:7]
	s_cbranch_execz .LBB31_786
.LBB31_2836:
	v_cmp_ne_u16_e32 vcc, 0, v21
	s_andn2_b64 s[4:5], s[4:5], exec
	s_and_b64 s[8:9], vcc, exec
	v_mov_b32_e32 v20, 0
	s_or_b64 s[4:5], s[4:5], s[8:9]
	s_or_b64 exec, exec, s[6:7]
	s_and_saveexec_b64 s[6:7], s[4:5]
	s_cbranch_execnz .LBB31_787
	s_branch .LBB31_788
.LBB31_2837:
	s_movk_i32 s4, 0x80
	v_cmp_eq_u16_e32 vcc, s4, v21
	s_mov_b64 s[4:5], -1
                                        ; implicit-def: $sgpr10
	s_and_saveexec_b64 s[8:9], vcc
; %bb.2838:
	s_mov_b32 s10, 0x7f800001
	s_xor_b64 s[4:5], exec, -1
; %bb.2839:
	s_or_b64 exec, exec, s[8:9]
	s_and_b64 s[4:5], s[4:5], exec
                                        ; implicit-def: $vgpr21
	s_or_saveexec_b64 s[6:7], s[6:7]
	v_mov_b32_e32 v22, s10
	s_xor_b64 exec, exec, s[6:7]
	s_cbranch_execz .LBB31_790
.LBB31_2840:
	v_cmp_ne_u16_e32 vcc, 0, v21
	s_andn2_b64 s[4:5], s[4:5], exec
	s_and_b64 s[8:9], vcc, exec
	v_mov_b32_e32 v22, 0
	s_or_b64 s[4:5], s[4:5], s[8:9]
	s_or_b64 exec, exec, s[6:7]
	s_and_saveexec_b64 s[6:7], s[4:5]
	s_cbranch_execnz .LBB31_791
	s_branch .LBB31_792
.LBB31_2841:
	s_movk_i32 s4, 0x80
	v_cmp_eq_u16_sdwa s[12:13], v14, s4 src0_sel:BYTE_3 src1_sel:DWORD
	s_mov_b64 s[4:5], -1
                                        ; implicit-def: $sgpr10
	s_and_saveexec_b64 s[8:9], s[12:13]
; %bb.2842:
	s_mov_b32 s10, 0x7f800001
	s_xor_b64 s[4:5], exec, -1
; %bb.2843:
	s_or_b64 exec, exec, s[8:9]
	s_and_b64 s[4:5], s[4:5], exec
	s_or_saveexec_b64 s[6:7], s[6:7]
	v_mov_b32_e32 v20, s10
	s_xor_b64 exec, exec, s[6:7]
	s_cbranch_execz .LBB31_794
.LBB31_2844:
	v_mov_b32_e32 v20, 0
	v_cmp_ne_u16_sdwa s[8:9], v14, v20 src0_sel:BYTE_3 src1_sel:DWORD
	s_andn2_b64 s[4:5], s[4:5], exec
	s_and_b64 s[8:9], s[8:9], exec
	s_or_b64 s[4:5], s[4:5], s[8:9]
	s_or_b64 exec, exec, s[6:7]
	s_and_saveexec_b64 s[6:7], s[4:5]
	s_cbranch_execnz .LBB31_795
	s_branch .LBB31_796
.LBB31_2845:
	s_movk_i32 s4, 0x80
	v_cmp_eq_u16_sdwa s[12:13], v10, s4 src0_sel:BYTE_3 src1_sel:DWORD
	s_mov_b64 s[4:5], -1
                                        ; implicit-def: $sgpr10
	s_and_saveexec_b64 s[8:9], s[12:13]
; %bb.2846:
	s_mov_b32 s10, 0x7f800001
	s_xor_b64 s[4:5], exec, -1
; %bb.2847:
	s_or_b64 exec, exec, s[8:9]
	s_and_b64 s[4:5], s[4:5], exec
	s_or_saveexec_b64 s[6:7], s[6:7]
	v_mov_b32_e32 v14, s10
	s_xor_b64 exec, exec, s[6:7]
	s_cbranch_execz .LBB31_798
.LBB31_2848:
	v_mov_b32_e32 v14, 0
	v_cmp_ne_u16_sdwa s[8:9], v10, v14 src0_sel:BYTE_3 src1_sel:DWORD
	s_andn2_b64 s[4:5], s[4:5], exec
	s_and_b64 s[8:9], s[8:9], exec
	s_or_b64 s[4:5], s[4:5], s[8:9]
	s_or_b64 exec, exec, s[6:7]
	s_and_saveexec_b64 s[6:7], s[4:5]
	s_cbranch_execnz .LBB31_799
	s_branch .LBB31_800
.LBB31_2849:
	s_movk_i32 s4, 0x80
	v_cmp_eq_u16_sdwa s[12:13], v15, s4 src0_sel:BYTE_0 src1_sel:DWORD
	s_mov_b64 s[4:5], -1
                                        ; implicit-def: $sgpr10
	s_and_saveexec_b64 s[8:9], s[12:13]
; %bb.2850:
	s_mov_b32 s10, 0x7f800001
	s_xor_b64 s[4:5], exec, -1
; %bb.2851:
	s_or_b64 exec, exec, s[8:9]
	s_and_b64 s[4:5], s[4:5], exec
	s_or_saveexec_b64 s[6:7], s[6:7]
	v_mov_b32_e32 v10, s10
	s_xor_b64 exec, exec, s[6:7]
	s_cbranch_execz .LBB31_802
.LBB31_2852:
	v_mov_b32_e32 v10, 0
	v_cmp_ne_u16_sdwa s[8:9], v15, v10 src0_sel:BYTE_0 src1_sel:DWORD
	s_andn2_b64 s[4:5], s[4:5], exec
	s_and_b64 s[8:9], s[8:9], exec
	s_or_b64 s[4:5], s[4:5], s[8:9]
	s_or_b64 exec, exec, s[6:7]
	s_and_saveexec_b64 s[6:7], s[4:5]
	s_cbranch_execnz .LBB31_803
	s_branch .LBB31_804
.LBB31_2853:
	s_movk_i32 s4, 0x80
	v_cmp_eq_u16_sdwa s[12:13], v11, s4 src0_sel:BYTE_0 src1_sel:DWORD
	s_mov_b64 s[4:5], -1
                                        ; implicit-def: $sgpr10
	s_and_saveexec_b64 s[8:9], s[12:13]
; %bb.2854:
	s_mov_b32 s10, 0x7f800001
	s_xor_b64 s[4:5], exec, -1
; %bb.2855:
	s_or_b64 exec, exec, s[8:9]
	s_and_b64 s[4:5], s[4:5], exec
	s_or_saveexec_b64 s[6:7], s[6:7]
	v_mov_b32_e32 v14, s10
	s_xor_b64 exec, exec, s[6:7]
	s_cbranch_execz .LBB31_806
.LBB31_2856:
	v_mov_b32_e32 v14, 0
	v_cmp_ne_u16_sdwa s[8:9], v11, v14 src0_sel:BYTE_0 src1_sel:DWORD
	s_andn2_b64 s[4:5], s[4:5], exec
	s_and_b64 s[8:9], s[8:9], exec
	s_or_b64 s[4:5], s[4:5], s[8:9]
	s_or_b64 exec, exec, s[6:7]
	s_and_saveexec_b64 s[6:7], s[4:5]
	s_cbranch_execnz .LBB31_807
	s_branch .LBB31_808
.LBB31_2857:
	s_movk_i32 s4, 0x80
	v_cmp_eq_u16_sdwa s[12:13], v14, s4 src0_sel:BYTE_0 src1_sel:DWORD
	s_mov_b64 s[4:5], -1
                                        ; implicit-def: $sgpr10
	s_and_saveexec_b64 s[8:9], s[12:13]
; %bb.2858:
	s_mov_b32 s10, 0x7f800001
	s_xor_b64 s[4:5], exec, -1
; %bb.2859:
	s_or_b64 exec, exec, s[8:9]
	s_and_b64 s[4:5], s[4:5], exec
	s_or_saveexec_b64 s[6:7], s[6:7]
	v_mov_b32_e32 v10, s10
	s_xor_b64 exec, exec, s[6:7]
	s_cbranch_execz .LBB31_810
.LBB31_2860:
	v_mov_b32_e32 v10, 0
	v_cmp_ne_u16_sdwa s[8:9], v14, v10 src0_sel:BYTE_0 src1_sel:DWORD
	s_andn2_b64 s[4:5], s[4:5], exec
	s_and_b64 s[8:9], s[8:9], exec
	s_or_b64 s[4:5], s[4:5], s[8:9]
	s_or_b64 exec, exec, s[6:7]
	s_and_saveexec_b64 s[6:7], s[4:5]
	s_cbranch_execnz .LBB31_811
	s_branch .LBB31_812
.LBB31_2861:
	s_movk_i32 s4, 0x80
	v_cmp_eq_u16_sdwa s[12:13], v14, s4 src0_sel:BYTE_0 src1_sel:DWORD
	s_mov_b64 s[4:5], -1
                                        ; implicit-def: $sgpr10
	s_and_saveexec_b64 s[8:9], s[12:13]
; %bb.2862:
	s_mov_b32 s10, 0x7f800001
	s_xor_b64 s[4:5], exec, -1
; %bb.2863:
	s_or_b64 exec, exec, s[8:9]
	s_and_b64 s[4:5], s[4:5], exec
	s_or_saveexec_b64 s[6:7], s[6:7]
	v_mov_b32_e32 v20, s10
	s_xor_b64 exec, exec, s[6:7]
	s_cbranch_execz .LBB31_814
.LBB31_2864:
	v_mov_b32_e32 v20, 0
	v_cmp_ne_u16_sdwa s[8:9], v14, v20 src0_sel:BYTE_0 src1_sel:DWORD
	s_andn2_b64 s[4:5], s[4:5], exec
	s_and_b64 s[8:9], s[8:9], exec
	s_or_b64 s[4:5], s[4:5], s[8:9]
	s_or_b64 exec, exec, s[6:7]
	s_and_saveexec_b64 s[6:7], s[4:5]
	s_cbranch_execnz .LBB31_815
	s_branch .LBB31_816
.LBB31_2865:
	s_movk_i32 s4, 0x80
	v_cmp_eq_u16_e32 vcc, s4, v14
	s_mov_b64 s[4:5], -1
                                        ; implicit-def: $sgpr10
	s_and_saveexec_b64 s[8:9], vcc
; %bb.2866:
	s_mov_b32 s10, 0x7f800001
	s_xor_b64 s[4:5], exec, -1
; %bb.2867:
	s_or_b64 exec, exec, s[8:9]
	s_and_b64 s[4:5], s[4:5], exec
                                        ; implicit-def: $vgpr14
	s_or_saveexec_b64 s[6:7], s[6:7]
	v_mov_b32_e32 v10, s10
	s_xor_b64 exec, exec, s[6:7]
	s_cbranch_execz .LBB31_818
.LBB31_2868:
	v_cmp_ne_u16_e32 vcc, 0, v14
	s_andn2_b64 s[4:5], s[4:5], exec
	s_and_b64 s[8:9], vcc, exec
	v_mov_b32_e32 v10, 0
	s_or_b64 s[4:5], s[4:5], s[8:9]
	s_or_b64 exec, exec, s[6:7]
	s_and_saveexec_b64 s[6:7], s[4:5]
	s_cbranch_execnz .LBB31_819
	s_branch .LBB31_820
.LBB31_2869:
	s_movk_i32 s4, 0x80
	v_cmp_eq_u16_e32 vcc, s4, v14
	s_mov_b64 s[4:5], -1
                                        ; implicit-def: $sgpr10
	s_and_saveexec_b64 s[8:9], vcc
; %bb.2870:
	s_mov_b32 s10, 0x7f800001
	s_xor_b64 s[4:5], exec, -1
; %bb.2871:
	s_or_b64 exec, exec, s[8:9]
	s_and_b64 s[4:5], s[4:5], exec
                                        ; implicit-def: $vgpr14
	s_or_saveexec_b64 s[6:7], s[6:7]
	v_mov_b32_e32 v20, s10
	s_xor_b64 exec, exec, s[6:7]
	s_cbranch_execz .LBB31_822
.LBB31_2872:
	v_cmp_ne_u16_e32 vcc, 0, v14
	s_andn2_b64 s[4:5], s[4:5], exec
	s_and_b64 s[8:9], vcc, exec
	v_mov_b32_e32 v20, 0
	s_or_b64 s[4:5], s[4:5], s[8:9]
	s_or_b64 exec, exec, s[6:7]
	s_and_saveexec_b64 s[6:7], s[4:5]
	s_cbranch_execnz .LBB31_823
	s_branch .LBB31_824
.LBB31_2873:
	s_movk_i32 s4, 0x80
	v_cmp_eq_u16_sdwa s[12:13], v15, s4 src0_sel:BYTE_3 src1_sel:DWORD
	s_mov_b64 s[4:5], -1
                                        ; implicit-def: $sgpr10
	s_and_saveexec_b64 s[8:9], s[12:13]
; %bb.2874:
	s_mov_b32 s10, 0x7f800001
	s_xor_b64 s[4:5], exec, -1
; %bb.2875:
	s_or_b64 exec, exec, s[8:9]
	s_and_b64 s[4:5], s[4:5], exec
	s_or_saveexec_b64 s[6:7], s[6:7]
	v_mov_b32_e32 v10, s10
	s_xor_b64 exec, exec, s[6:7]
	s_cbranch_execz .LBB31_826
.LBB31_2876:
	v_mov_b32_e32 v10, 0
	v_cmp_ne_u16_sdwa s[8:9], v15, v10 src0_sel:BYTE_3 src1_sel:DWORD
	s_andn2_b64 s[4:5], s[4:5], exec
	s_and_b64 s[8:9], s[8:9], exec
	s_or_b64 s[4:5], s[4:5], s[8:9]
	s_or_b64 exec, exec, s[6:7]
	s_and_saveexec_b64 s[6:7], s[4:5]
	s_cbranch_execnz .LBB31_827
	s_branch .LBB31_828
.LBB31_2877:
	s_movk_i32 s4, 0x80
	v_cmp_eq_u16_sdwa s[12:13], v11, s4 src0_sel:BYTE_3 src1_sel:DWORD
	s_mov_b64 s[4:5], -1
                                        ; implicit-def: $sgpr10
	s_and_saveexec_b64 s[8:9], s[12:13]
; %bb.2878:
	s_mov_b32 s10, 0x7f800001
	s_xor_b64 s[4:5], exec, -1
; %bb.2879:
	s_or_b64 exec, exec, s[8:9]
	s_and_b64 s[4:5], s[4:5], exec
	s_or_saveexec_b64 s[6:7], s[6:7]
	v_mov_b32_e32 v14, s10
	s_xor_b64 exec, exec, s[6:7]
	s_cbranch_execz .LBB31_830
.LBB31_2880:
	v_mov_b32_e32 v14, 0
	v_cmp_ne_u16_sdwa s[8:9], v11, v14 src0_sel:BYTE_3 src1_sel:DWORD
	s_andn2_b64 s[4:5], s[4:5], exec
	s_and_b64 s[8:9], s[8:9], exec
	s_or_b64 s[4:5], s[4:5], s[8:9]
	s_or_b64 exec, exec, s[6:7]
	s_and_saveexec_b64 s[6:7], s[4:5]
	s_cbranch_execnz .LBB31_831
	s_branch .LBB31_832
.LBB31_2881:
	s_movk_i32 s4, 0x80
	v_cmp_eq_u16_sdwa s[12:13], v16, s4 src0_sel:BYTE_0 src1_sel:DWORD
	s_mov_b64 s[4:5], -1
                                        ; implicit-def: $sgpr10
	s_and_saveexec_b64 s[8:9], s[12:13]
; %bb.2882:
	s_mov_b32 s10, 0x7f800001
	s_xor_b64 s[4:5], exec, -1
; %bb.2883:
	s_or_b64 exec, exec, s[8:9]
	s_and_b64 s[4:5], s[4:5], exec
	s_or_saveexec_b64 s[6:7], s[6:7]
	v_mov_b32_e32 v10, s10
	s_xor_b64 exec, exec, s[6:7]
	s_cbranch_execz .LBB31_834
.LBB31_2884:
	v_mov_b32_e32 v10, 0
	v_cmp_ne_u16_sdwa s[8:9], v16, v10 src0_sel:BYTE_0 src1_sel:DWORD
	s_andn2_b64 s[4:5], s[4:5], exec
	s_and_b64 s[8:9], s[8:9], exec
	s_or_b64 s[4:5], s[4:5], s[8:9]
	s_or_b64 exec, exec, s[6:7]
	s_and_saveexec_b64 s[6:7], s[4:5]
	s_cbranch_execnz .LBB31_835
	s_branch .LBB31_836
.LBB31_2885:
	s_movk_i32 s4, 0x80
	v_cmp_eq_u16_sdwa s[12:13], v12, s4 src0_sel:BYTE_0 src1_sel:DWORD
	s_mov_b64 s[4:5], -1
                                        ; implicit-def: $sgpr10
	s_and_saveexec_b64 s[8:9], s[12:13]
; %bb.2886:
	s_mov_b32 s10, 0x7f800001
	s_xor_b64 s[4:5], exec, -1
; %bb.2887:
	s_or_b64 exec, exec, s[8:9]
	s_and_b64 s[4:5], s[4:5], exec
	s_or_saveexec_b64 s[6:7], s[6:7]
	v_mov_b32_e32 v11, s10
	s_xor_b64 exec, exec, s[6:7]
	s_cbranch_execz .LBB31_838
.LBB31_2888:
	v_mov_b32_e32 v11, 0
	v_cmp_ne_u16_sdwa s[8:9], v12, v11 src0_sel:BYTE_0 src1_sel:DWORD
	s_andn2_b64 s[4:5], s[4:5], exec
	s_and_b64 s[8:9], s[8:9], exec
	s_or_b64 s[4:5], s[4:5], s[8:9]
	s_or_b64 exec, exec, s[6:7]
	s_and_saveexec_b64 s[6:7], s[4:5]
	s_cbranch_execnz .LBB31_839
	s_branch .LBB31_840
.LBB31_2889:
	s_movk_i32 s4, 0x80
	v_cmp_eq_u16_sdwa s[12:13], v11, s4 src0_sel:BYTE_0 src1_sel:DWORD
	s_mov_b64 s[4:5], -1
                                        ; implicit-def: $sgpr10
	s_and_saveexec_b64 s[8:9], s[12:13]
; %bb.2890:
	s_mov_b32 s10, 0x7f800001
	s_xor_b64 s[4:5], exec, -1
; %bb.2891:
	s_or_b64 exec, exec, s[8:9]
	s_and_b64 s[4:5], s[4:5], exec
	s_or_saveexec_b64 s[6:7], s[6:7]
	v_mov_b32_e32 v10, s10
	s_xor_b64 exec, exec, s[6:7]
	s_cbranch_execz .LBB31_842
.LBB31_2892:
	v_mov_b32_e32 v10, 0
	v_cmp_ne_u16_sdwa s[8:9], v11, v10 src0_sel:BYTE_0 src1_sel:DWORD
	s_andn2_b64 s[4:5], s[4:5], exec
	s_and_b64 s[8:9], s[8:9], exec
	s_or_b64 s[4:5], s[4:5], s[8:9]
	s_or_b64 exec, exec, s[6:7]
	s_and_saveexec_b64 s[6:7], s[4:5]
	s_cbranch_execnz .LBB31_843
	s_branch .LBB31_844
.LBB31_2893:
	s_movk_i32 s4, 0x80
	v_cmp_eq_u16_sdwa s[12:13], v11, s4 src0_sel:BYTE_0 src1_sel:DWORD
	s_mov_b64 s[4:5], -1
                                        ; implicit-def: $sgpr10
	s_and_saveexec_b64 s[8:9], s[12:13]
; %bb.2894:
	s_mov_b32 s10, 0x7f800001
	s_xor_b64 s[4:5], exec, -1
; %bb.2895:
	s_or_b64 exec, exec, s[8:9]
	s_and_b64 s[4:5], s[4:5], exec
	s_or_saveexec_b64 s[6:7], s[6:7]
	v_mov_b32_e32 v14, s10
	s_xor_b64 exec, exec, s[6:7]
	s_cbranch_execz .LBB31_846
.LBB31_2896:
	v_mov_b32_e32 v14, 0
	v_cmp_ne_u16_sdwa s[8:9], v11, v14 src0_sel:BYTE_0 src1_sel:DWORD
	s_andn2_b64 s[4:5], s[4:5], exec
	s_and_b64 s[8:9], s[8:9], exec
	s_or_b64 s[4:5], s[4:5], s[8:9]
	s_or_b64 exec, exec, s[6:7]
	s_and_saveexec_b64 s[6:7], s[4:5]
	s_cbranch_execnz .LBB31_847
	s_branch .LBB31_848
.LBB31_2897:
	s_movk_i32 s4, 0x80
	v_cmp_eq_u16_e32 vcc, s4, v11
	s_mov_b64 s[4:5], -1
                                        ; implicit-def: $sgpr10
	s_and_saveexec_b64 s[8:9], vcc
; %bb.2898:
	s_mov_b32 s10, 0x7f800001
	s_xor_b64 s[4:5], exec, -1
; %bb.2899:
	s_or_b64 exec, exec, s[8:9]
	s_and_b64 s[4:5], s[4:5], exec
                                        ; implicit-def: $vgpr11
	s_or_saveexec_b64 s[6:7], s[6:7]
	v_mov_b32_e32 v10, s10
	s_xor_b64 exec, exec, s[6:7]
	s_cbranch_execz .LBB31_850
.LBB31_2900:
	v_cmp_ne_u16_e32 vcc, 0, v11
	s_andn2_b64 s[4:5], s[4:5], exec
	s_and_b64 s[8:9], vcc, exec
	v_mov_b32_e32 v10, 0
	s_or_b64 s[4:5], s[4:5], s[8:9]
	s_or_b64 exec, exec, s[6:7]
	s_and_saveexec_b64 s[6:7], s[4:5]
	s_cbranch_execnz .LBB31_851
	s_branch .LBB31_852
.LBB31_2901:
	s_movk_i32 s4, 0x80
	v_cmp_eq_u16_e32 vcc, s4, v11
	s_mov_b64 s[4:5], -1
                                        ; implicit-def: $sgpr10
	s_and_saveexec_b64 s[8:9], vcc
; %bb.2902:
	s_mov_b32 s10, 0x7f800001
	s_xor_b64 s[4:5], exec, -1
; %bb.2903:
	s_or_b64 exec, exec, s[8:9]
	s_and_b64 s[4:5], s[4:5], exec
                                        ; implicit-def: $vgpr11
	s_or_saveexec_b64 s[6:7], s[6:7]
	v_mov_b32_e32 v14, s10
	s_xor_b64 exec, exec, s[6:7]
	s_cbranch_execz .LBB31_854
.LBB31_2904:
	v_cmp_ne_u16_e32 vcc, 0, v11
	s_andn2_b64 s[4:5], s[4:5], exec
	s_and_b64 s[8:9], vcc, exec
	v_mov_b32_e32 v14, 0
	s_or_b64 s[4:5], s[4:5], s[8:9]
	s_or_b64 exec, exec, s[6:7]
	s_and_saveexec_b64 s[6:7], s[4:5]
	s_cbranch_execnz .LBB31_855
	s_branch .LBB31_856
.LBB31_2905:
	s_movk_i32 s4, 0x80
	v_cmp_eq_u16_sdwa s[12:13], v16, s4 src0_sel:BYTE_3 src1_sel:DWORD
	s_mov_b64 s[4:5], -1
                                        ; implicit-def: $sgpr10
	s_and_saveexec_b64 s[8:9], s[12:13]
; %bb.2906:
	s_mov_b32 s10, 0x7f800001
	s_xor_b64 s[4:5], exec, -1
; %bb.2907:
	s_or_b64 exec, exec, s[8:9]
	s_and_b64 s[4:5], s[4:5], exec
	s_or_saveexec_b64 s[6:7], s[6:7]
	v_mov_b32_e32 v10, s10
	s_xor_b64 exec, exec, s[6:7]
	s_cbranch_execz .LBB31_858
.LBB31_2908:
	v_mov_b32_e32 v10, 0
	v_cmp_ne_u16_sdwa s[8:9], v16, v10 src0_sel:BYTE_3 src1_sel:DWORD
	s_andn2_b64 s[4:5], s[4:5], exec
	s_and_b64 s[8:9], s[8:9], exec
	s_or_b64 s[4:5], s[4:5], s[8:9]
	s_or_b64 exec, exec, s[6:7]
	s_and_saveexec_b64 s[6:7], s[4:5]
	s_cbranch_execnz .LBB31_859
	s_branch .LBB31_860
.LBB31_2909:
	s_movk_i32 s4, 0x80
	v_cmp_eq_u16_sdwa s[12:13], v12, s4 src0_sel:BYTE_3 src1_sel:DWORD
	s_mov_b64 s[4:5], -1
                                        ; implicit-def: $sgpr10
	s_and_saveexec_b64 s[8:9], s[12:13]
; %bb.2910:
	s_mov_b32 s10, 0x7f800001
	s_xor_b64 s[4:5], exec, -1
; %bb.2911:
	s_or_b64 exec, exec, s[8:9]
	s_and_b64 s[4:5], s[4:5], exec
	s_or_saveexec_b64 s[6:7], s[6:7]
	v_mov_b32_e32 v11, s10
	s_xor_b64 exec, exec, s[6:7]
	s_cbranch_execz .LBB31_862
.LBB31_2912:
	v_mov_b32_e32 v11, 0
	v_cmp_ne_u16_sdwa s[8:9], v12, v11 src0_sel:BYTE_3 src1_sel:DWORD
	s_andn2_b64 s[4:5], s[4:5], exec
	s_and_b64 s[8:9], s[8:9], exec
	s_or_b64 s[4:5], s[4:5], s[8:9]
	s_or_b64 exec, exec, s[6:7]
	s_and_saveexec_b64 s[6:7], s[4:5]
	s_cbranch_execnz .LBB31_863
	s_branch .LBB31_864
.LBB31_2913:
	s_movk_i32 s4, 0x80
	v_cmp_eq_u16_sdwa s[12:13], v17, s4 src0_sel:BYTE_0 src1_sel:DWORD
	s_mov_b64 s[4:5], -1
                                        ; implicit-def: $sgpr10
	s_and_saveexec_b64 s[8:9], s[12:13]
; %bb.2914:
	s_mov_b32 s10, 0x7f800001
	s_xor_b64 s[4:5], exec, -1
; %bb.2915:
	s_or_b64 exec, exec, s[8:9]
	s_and_b64 s[4:5], s[4:5], exec
	s_or_saveexec_b64 s[6:7], s[6:7]
	v_mov_b32_e32 v10, s10
	s_xor_b64 exec, exec, s[6:7]
	s_cbranch_execz .LBB31_866
.LBB31_2916:
	v_mov_b32_e32 v10, 0
	v_cmp_ne_u16_sdwa s[8:9], v17, v10 src0_sel:BYTE_0 src1_sel:DWORD
	s_andn2_b64 s[4:5], s[4:5], exec
	s_and_b64 s[8:9], s[8:9], exec
	s_or_b64 s[4:5], s[4:5], s[8:9]
	s_or_b64 exec, exec, s[6:7]
	s_and_saveexec_b64 s[6:7], s[4:5]
	s_cbranch_execnz .LBB31_867
	s_branch .LBB31_868
.LBB31_2917:
	s_movk_i32 s4, 0x80
	v_cmp_eq_u16_sdwa s[12:13], v13, s4 src0_sel:BYTE_0 src1_sel:DWORD
	s_mov_b64 s[4:5], -1
                                        ; implicit-def: $sgpr10
	s_and_saveexec_b64 s[8:9], s[12:13]
; %bb.2918:
	s_mov_b32 s10, 0x7f800001
	s_xor_b64 s[4:5], exec, -1
; %bb.2919:
	s_or_b64 exec, exec, s[8:9]
	s_and_b64 s[4:5], s[4:5], exec
	s_or_saveexec_b64 s[6:7], s[6:7]
	v_mov_b32_e32 v11, s10
	s_xor_b64 exec, exec, s[6:7]
	s_cbranch_execz .LBB31_870
.LBB31_2920:
	v_mov_b32_e32 v11, 0
	v_cmp_ne_u16_sdwa s[8:9], v13, v11 src0_sel:BYTE_0 src1_sel:DWORD
	s_andn2_b64 s[4:5], s[4:5], exec
	s_and_b64 s[8:9], s[8:9], exec
	s_or_b64 s[4:5], s[4:5], s[8:9]
	s_or_b64 exec, exec, s[6:7]
	s_and_saveexec_b64 s[6:7], s[4:5]
	s_cbranch_execnz .LBB31_871
	s_branch .LBB31_872
.LBB31_2921:
	s_movk_i32 s4, 0x80
	v_cmp_eq_u16_sdwa s[12:13], v11, s4 src0_sel:BYTE_0 src1_sel:DWORD
	s_mov_b64 s[4:5], -1
                                        ; implicit-def: $sgpr10
	s_and_saveexec_b64 s[8:9], s[12:13]
; %bb.2922:
	s_mov_b32 s10, 0x7f800001
	s_xor_b64 s[4:5], exec, -1
; %bb.2923:
	s_or_b64 exec, exec, s[8:9]
	s_and_b64 s[4:5], s[4:5], exec
	s_or_saveexec_b64 s[6:7], s[6:7]
	v_mov_b32_e32 v10, s10
	s_xor_b64 exec, exec, s[6:7]
	s_cbranch_execz .LBB31_874
.LBB31_2924:
	v_mov_b32_e32 v10, 0
	v_cmp_ne_u16_sdwa s[8:9], v11, v10 src0_sel:BYTE_0 src1_sel:DWORD
	s_andn2_b64 s[4:5], s[4:5], exec
	s_and_b64 s[8:9], s[8:9], exec
	s_or_b64 s[4:5], s[4:5], s[8:9]
	s_or_b64 exec, exec, s[6:7]
	s_and_saveexec_b64 s[6:7], s[4:5]
	s_cbranch_execnz .LBB31_875
	s_branch .LBB31_876
.LBB31_2925:
	s_movk_i32 s4, 0x80
	v_cmp_eq_u16_sdwa s[12:13], v11, s4 src0_sel:BYTE_0 src1_sel:DWORD
	s_mov_b64 s[4:5], -1
                                        ; implicit-def: $sgpr10
	s_and_saveexec_b64 s[8:9], s[12:13]
; %bb.2926:
	s_mov_b32 s10, 0x7f800001
	s_xor_b64 s[4:5], exec, -1
; %bb.2927:
	s_or_b64 exec, exec, s[8:9]
	s_and_b64 s[4:5], s[4:5], exec
	s_or_saveexec_b64 s[6:7], s[6:7]
	v_mov_b32_e32 v12, s10
	s_xor_b64 exec, exec, s[6:7]
	s_cbranch_execz .LBB31_878
.LBB31_2928:
	v_mov_b32_e32 v12, 0
	v_cmp_ne_u16_sdwa s[8:9], v11, v12 src0_sel:BYTE_0 src1_sel:DWORD
	s_andn2_b64 s[4:5], s[4:5], exec
	s_and_b64 s[8:9], s[8:9], exec
	s_or_b64 s[4:5], s[4:5], s[8:9]
	s_or_b64 exec, exec, s[6:7]
	s_and_saveexec_b64 s[6:7], s[4:5]
	s_cbranch_execnz .LBB31_879
	s_branch .LBB31_880
.LBB31_2929:
	s_movk_i32 s4, 0x80
	v_cmp_eq_u16_e32 vcc, s4, v11
	s_mov_b64 s[4:5], -1
                                        ; implicit-def: $sgpr10
	s_and_saveexec_b64 s[8:9], vcc
; %bb.2930:
	s_mov_b32 s10, 0x7f800001
	s_xor_b64 s[4:5], exec, -1
; %bb.2931:
	s_or_b64 exec, exec, s[8:9]
	s_and_b64 s[4:5], s[4:5], exec
                                        ; implicit-def: $vgpr11
	s_or_saveexec_b64 s[6:7], s[6:7]
	v_mov_b32_e32 v10, s10
	s_xor_b64 exec, exec, s[6:7]
	s_cbranch_execz .LBB31_882
.LBB31_2932:
	v_cmp_ne_u16_e32 vcc, 0, v11
	s_andn2_b64 s[4:5], s[4:5], exec
	s_and_b64 s[8:9], vcc, exec
	v_mov_b32_e32 v10, 0
	s_or_b64 s[4:5], s[4:5], s[8:9]
	s_or_b64 exec, exec, s[6:7]
	s_and_saveexec_b64 s[6:7], s[4:5]
	s_cbranch_execnz .LBB31_883
	s_branch .LBB31_884
.LBB31_2933:
	s_movk_i32 s4, 0x80
	v_cmp_eq_u16_e32 vcc, s4, v11
	s_mov_b64 s[4:5], -1
                                        ; implicit-def: $sgpr10
	s_and_saveexec_b64 s[8:9], vcc
; %bb.2934:
	s_mov_b32 s10, 0x7f800001
	s_xor_b64 s[4:5], exec, -1
; %bb.2935:
	s_or_b64 exec, exec, s[8:9]
	s_and_b64 s[4:5], s[4:5], exec
                                        ; implicit-def: $vgpr11
	s_or_saveexec_b64 s[6:7], s[6:7]
	v_mov_b32_e32 v12, s10
	s_xor_b64 exec, exec, s[6:7]
	s_cbranch_execz .LBB31_886
.LBB31_2936:
	v_cmp_ne_u16_e32 vcc, 0, v11
	s_andn2_b64 s[4:5], s[4:5], exec
	s_and_b64 s[8:9], vcc, exec
	v_mov_b32_e32 v12, 0
	s_or_b64 s[4:5], s[4:5], s[8:9]
	s_or_b64 exec, exec, s[6:7]
	s_and_saveexec_b64 s[6:7], s[4:5]
	s_cbranch_execnz .LBB31_887
	s_branch .LBB31_888
.LBB31_2937:
	s_movk_i32 s4, 0x80
	v_cmp_eq_u16_sdwa s[12:13], v17, s4 src0_sel:BYTE_3 src1_sel:DWORD
	s_mov_b64 s[4:5], -1
                                        ; implicit-def: $sgpr10
	s_and_saveexec_b64 s[8:9], s[12:13]
; %bb.2938:
	s_mov_b32 s10, 0x7f800001
	s_xor_b64 s[4:5], exec, -1
; %bb.2939:
	s_or_b64 exec, exec, s[8:9]
	s_and_b64 s[4:5], s[4:5], exec
	s_or_saveexec_b64 s[6:7], s[6:7]
	v_mov_b32_e32 v10, s10
	s_xor_b64 exec, exec, s[6:7]
	s_cbranch_execz .LBB31_890
.LBB31_2940:
	v_mov_b32_e32 v10, 0
	v_cmp_ne_u16_sdwa s[8:9], v17, v10 src0_sel:BYTE_3 src1_sel:DWORD
	s_andn2_b64 s[4:5], s[4:5], exec
	s_and_b64 s[8:9], s[8:9], exec
	s_or_b64 s[4:5], s[4:5], s[8:9]
	s_or_b64 exec, exec, s[6:7]
	s_and_saveexec_b64 s[6:7], s[4:5]
	s_cbranch_execnz .LBB31_891
	s_branch .LBB31_892
.LBB31_2941:
	s_movk_i32 s4, 0x80
	v_cmp_eq_u16_sdwa s[12:13], v13, s4 src0_sel:BYTE_3 src1_sel:DWORD
	s_mov_b64 s[4:5], -1
                                        ; implicit-def: $sgpr10
	s_and_saveexec_b64 s[8:9], s[12:13]
; %bb.2942:
	s_mov_b32 s10, 0x7f800001
	s_xor_b64 s[4:5], exec, -1
; %bb.2943:
	s_or_b64 exec, exec, s[8:9]
	s_and_b64 s[4:5], s[4:5], exec
	s_or_saveexec_b64 s[6:7], s[6:7]
	v_mov_b32_e32 v11, s10
	s_xor_b64 exec, exec, s[6:7]
	s_cbranch_execz .LBB31_894
.LBB31_2944:
	v_mov_b32_e32 v11, 0
	v_cmp_ne_u16_sdwa s[8:9], v13, v11 src0_sel:BYTE_3 src1_sel:DWORD
	s_andn2_b64 s[4:5], s[4:5], exec
	s_and_b64 s[8:9], s[8:9], exec
	s_or_b64 s[4:5], s[4:5], s[8:9]
	s_or_b64 exec, exec, s[6:7]
	s_and_saveexec_b64 s[6:7], s[4:5]
	s_cbranch_execnz .LBB31_895
	s_branch .LBB31_896
.LBB31_2945:
	s_movk_i32 s4, 0x80
	v_cmp_eq_u16_sdwa s[12:13], v6, s4 src0_sel:BYTE_0 src1_sel:DWORD
	s_mov_b64 s[4:5], -1
                                        ; implicit-def: $sgpr10
	s_and_saveexec_b64 s[8:9], s[12:13]
; %bb.2946:
	s_mov_b32 s10, 0x7f800001
	s_xor_b64 s[4:5], exec, -1
; %bb.2947:
	s_or_b64 exec, exec, s[8:9]
	s_and_b64 s[4:5], s[4:5], exec
	s_or_saveexec_b64 s[6:7], s[6:7]
	v_mov_b32_e32 v10, s10
	s_xor_b64 exec, exec, s[6:7]
	s_cbranch_execz .LBB31_898
.LBB31_2948:
	v_mov_b32_e32 v10, 0
	v_cmp_ne_u16_sdwa s[8:9], v6, v10 src0_sel:BYTE_0 src1_sel:DWORD
	s_andn2_b64 s[4:5], s[4:5], exec
	s_and_b64 s[8:9], s[8:9], exec
	s_or_b64 s[4:5], s[4:5], s[8:9]
	s_or_b64 exec, exec, s[6:7]
	s_and_saveexec_b64 s[6:7], s[4:5]
	s_cbranch_execnz .LBB31_899
	s_branch .LBB31_900
.LBB31_2949:
	s_movk_i32 s4, 0x80
	v_cmp_eq_u16_sdwa s[12:13], v2, s4 src0_sel:BYTE_0 src1_sel:DWORD
	s_mov_b64 s[4:5], -1
                                        ; implicit-def: $sgpr10
	s_and_saveexec_b64 s[8:9], s[12:13]
; %bb.2950:
	s_mov_b32 s10, 0x7f800001
	s_xor_b64 s[4:5], exec, -1
; %bb.2951:
	s_or_b64 exec, exec, s[8:9]
	s_and_b64 s[4:5], s[4:5], exec
	s_or_saveexec_b64 s[6:7], s[6:7]
	v_mov_b32_e32 v11, s10
	s_xor_b64 exec, exec, s[6:7]
	s_cbranch_execz .LBB31_902
.LBB31_2952:
	v_mov_b32_e32 v11, 0
	v_cmp_ne_u16_sdwa s[8:9], v2, v11 src0_sel:BYTE_0 src1_sel:DWORD
	s_andn2_b64 s[4:5], s[4:5], exec
	s_and_b64 s[8:9], s[8:9], exec
	s_or_b64 s[4:5], s[4:5], s[8:9]
	s_or_b64 exec, exec, s[6:7]
	s_and_saveexec_b64 s[6:7], s[4:5]
	s_cbranch_execnz .LBB31_903
	s_branch .LBB31_904
.LBB31_2953:
	s_movk_i32 s4, 0x80
	v_cmp_eq_u16_sdwa s[12:13], v11, s4 src0_sel:BYTE_0 src1_sel:DWORD
	s_mov_b64 s[4:5], -1
                                        ; implicit-def: $sgpr10
	s_and_saveexec_b64 s[8:9], s[12:13]
; %bb.2954:
	s_mov_b32 s10, 0x7f800001
	s_xor_b64 s[4:5], exec, -1
; %bb.2955:
	s_or_b64 exec, exec, s[8:9]
	s_and_b64 s[4:5], s[4:5], exec
	s_or_saveexec_b64 s[6:7], s[6:7]
	v_mov_b32_e32 v10, s10
	s_xor_b64 exec, exec, s[6:7]
	s_cbranch_execz .LBB31_906
.LBB31_2956:
	v_mov_b32_e32 v10, 0
	v_cmp_ne_u16_sdwa s[8:9], v11, v10 src0_sel:BYTE_0 src1_sel:DWORD
	s_andn2_b64 s[4:5], s[4:5], exec
	s_and_b64 s[8:9], s[8:9], exec
	s_or_b64 s[4:5], s[4:5], s[8:9]
	s_or_b64 exec, exec, s[6:7]
	s_and_saveexec_b64 s[6:7], s[4:5]
	s_cbranch_execnz .LBB31_907
	s_branch .LBB31_908
.LBB31_2957:
	s_movk_i32 s4, 0x80
	v_cmp_eq_u16_sdwa s[12:13], v11, s4 src0_sel:BYTE_0 src1_sel:DWORD
	s_mov_b64 s[4:5], -1
                                        ; implicit-def: $sgpr10
	s_and_saveexec_b64 s[8:9], s[12:13]
; %bb.2958:
	s_mov_b32 s10, 0x7f800001
	s_xor_b64 s[4:5], exec, -1
; %bb.2959:
	s_or_b64 exec, exec, s[8:9]
	s_and_b64 s[4:5], s[4:5], exec
	s_or_saveexec_b64 s[6:7], s[6:7]
	v_mov_b32_e32 v12, s10
	s_xor_b64 exec, exec, s[6:7]
	s_cbranch_execz .LBB31_910
.LBB31_2960:
	v_mov_b32_e32 v12, 0
	v_cmp_ne_u16_sdwa s[8:9], v11, v12 src0_sel:BYTE_0 src1_sel:DWORD
	s_andn2_b64 s[4:5], s[4:5], exec
	s_and_b64 s[8:9], s[8:9], exec
	s_or_b64 s[4:5], s[4:5], s[8:9]
	s_or_b64 exec, exec, s[6:7]
	s_and_saveexec_b64 s[6:7], s[4:5]
	s_cbranch_execnz .LBB31_911
	s_branch .LBB31_912
.LBB31_2961:
	s_movk_i32 s4, 0x80
	v_cmp_eq_u16_e32 vcc, s4, v11
	s_mov_b64 s[4:5], -1
                                        ; implicit-def: $sgpr10
	s_and_saveexec_b64 s[8:9], vcc
; %bb.2962:
	s_mov_b32 s10, 0x7f800001
	s_xor_b64 s[4:5], exec, -1
; %bb.2963:
	s_or_b64 exec, exec, s[8:9]
	s_and_b64 s[4:5], s[4:5], exec
                                        ; implicit-def: $vgpr11
	s_or_saveexec_b64 s[6:7], s[6:7]
	v_mov_b32_e32 v10, s10
	s_xor_b64 exec, exec, s[6:7]
	s_cbranch_execz .LBB31_914
.LBB31_2964:
	v_cmp_ne_u16_e32 vcc, 0, v11
	s_andn2_b64 s[4:5], s[4:5], exec
	s_and_b64 s[8:9], vcc, exec
	v_mov_b32_e32 v10, 0
	s_or_b64 s[4:5], s[4:5], s[8:9]
	s_or_b64 exec, exec, s[6:7]
	s_and_saveexec_b64 s[6:7], s[4:5]
	s_cbranch_execnz .LBB31_915
	s_branch .LBB31_916
.LBB31_2965:
	s_movk_i32 s4, 0x80
	v_cmp_eq_u16_e32 vcc, s4, v11
	s_mov_b64 s[4:5], -1
                                        ; implicit-def: $sgpr10
	s_and_saveexec_b64 s[8:9], vcc
; %bb.2966:
	s_mov_b32 s10, 0x7f800001
	s_xor_b64 s[4:5], exec, -1
; %bb.2967:
	s_or_b64 exec, exec, s[8:9]
	s_and_b64 s[4:5], s[4:5], exec
                                        ; implicit-def: $vgpr11
	s_or_saveexec_b64 s[6:7], s[6:7]
	v_mov_b32_e32 v12, s10
	s_xor_b64 exec, exec, s[6:7]
	s_cbranch_execz .LBB31_918
.LBB31_2968:
	v_cmp_ne_u16_e32 vcc, 0, v11
	s_andn2_b64 s[4:5], s[4:5], exec
	s_and_b64 s[8:9], vcc, exec
	v_mov_b32_e32 v12, 0
	s_or_b64 s[4:5], s[4:5], s[8:9]
	s_or_b64 exec, exec, s[6:7]
	s_and_saveexec_b64 s[6:7], s[4:5]
	s_cbranch_execnz .LBB31_919
	s_branch .LBB31_920
.LBB31_2969:
	s_movk_i32 s4, 0x80
	v_cmp_eq_u16_sdwa s[12:13], v6, s4 src0_sel:BYTE_3 src1_sel:DWORD
	s_mov_b64 s[4:5], -1
                                        ; implicit-def: $sgpr10
	s_and_saveexec_b64 s[8:9], s[12:13]
; %bb.2970:
	s_mov_b32 s10, 0x7f800001
	s_xor_b64 s[4:5], exec, -1
; %bb.2971:
	s_or_b64 exec, exec, s[8:9]
	s_and_b64 s[4:5], s[4:5], exec
	s_or_saveexec_b64 s[6:7], s[6:7]
	v_mov_b32_e32 v10, s10
	s_xor_b64 exec, exec, s[6:7]
	s_cbranch_execz .LBB31_922
.LBB31_2972:
	v_mov_b32_e32 v10, 0
	v_cmp_ne_u16_sdwa s[8:9], v6, v10 src0_sel:BYTE_3 src1_sel:DWORD
	s_andn2_b64 s[4:5], s[4:5], exec
	s_and_b64 s[8:9], s[8:9], exec
	s_or_b64 s[4:5], s[4:5], s[8:9]
	s_or_b64 exec, exec, s[6:7]
	s_and_saveexec_b64 s[6:7], s[4:5]
	s_cbranch_execnz .LBB31_923
	s_branch .LBB31_924
.LBB31_2973:
	s_movk_i32 s4, 0x80
	v_cmp_eq_u16_sdwa s[12:13], v2, s4 src0_sel:BYTE_3 src1_sel:DWORD
	s_mov_b64 s[4:5], -1
                                        ; implicit-def: $sgpr10
	s_and_saveexec_b64 s[8:9], s[12:13]
; %bb.2974:
	s_mov_b32 s10, 0x7f800001
	s_xor_b64 s[4:5], exec, -1
; %bb.2975:
	s_or_b64 exec, exec, s[8:9]
	s_and_b64 s[4:5], s[4:5], exec
	s_or_saveexec_b64 s[6:7], s[6:7]
	v_mov_b32_e32 v6, s10
	s_xor_b64 exec, exec, s[6:7]
	s_cbranch_execz .LBB31_926
.LBB31_2976:
	v_mov_b32_e32 v6, 0
	v_cmp_ne_u16_sdwa s[8:9], v2, v6 src0_sel:BYTE_3 src1_sel:DWORD
	s_andn2_b64 s[4:5], s[4:5], exec
	s_and_b64 s[8:9], s[8:9], exec
	s_or_b64 s[4:5], s[4:5], s[8:9]
	s_or_b64 exec, exec, s[6:7]
	s_and_saveexec_b64 s[6:7], s[4:5]
	s_cbranch_execnz .LBB31_927
	s_branch .LBB31_928
.LBB31_2977:
	s_movk_i32 s4, 0x80
	v_cmp_eq_u16_sdwa s[12:13], v7, s4 src0_sel:BYTE_0 src1_sel:DWORD
	s_mov_b64 s[4:5], -1
                                        ; implicit-def: $sgpr10
	s_and_saveexec_b64 s[8:9], s[12:13]
; %bb.2978:
	s_mov_b32 s10, 0x7f800001
	s_xor_b64 s[4:5], exec, -1
; %bb.2979:
	s_or_b64 exec, exec, s[8:9]
	s_and_b64 s[4:5], s[4:5], exec
	s_or_saveexec_b64 s[6:7], s[6:7]
	v_mov_b32_e32 v2, s10
	s_xor_b64 exec, exec, s[6:7]
	s_cbranch_execz .LBB31_930
.LBB31_2980:
	v_mov_b32_e32 v2, 0
	v_cmp_ne_u16_sdwa s[8:9], v7, v2 src0_sel:BYTE_0 src1_sel:DWORD
	s_andn2_b64 s[4:5], s[4:5], exec
	s_and_b64 s[8:9], s[8:9], exec
	s_or_b64 s[4:5], s[4:5], s[8:9]
	s_or_b64 exec, exec, s[6:7]
	s_and_saveexec_b64 s[6:7], s[4:5]
	s_cbranch_execnz .LBB31_931
	s_branch .LBB31_932
.LBB31_2981:
	s_movk_i32 s4, 0x80
	v_cmp_eq_u16_sdwa s[12:13], v3, s4 src0_sel:BYTE_0 src1_sel:DWORD
	s_mov_b64 s[4:5], -1
                                        ; implicit-def: $sgpr10
	s_and_saveexec_b64 s[8:9], s[12:13]
; %bb.2982:
	s_mov_b32 s10, 0x7f800001
	s_xor_b64 s[4:5], exec, -1
; %bb.2983:
	s_or_b64 exec, exec, s[8:9]
	s_and_b64 s[4:5], s[4:5], exec
	s_or_saveexec_b64 s[6:7], s[6:7]
	v_mov_b32_e32 v6, s10
	s_xor_b64 exec, exec, s[6:7]
	s_cbranch_execz .LBB31_934
.LBB31_2984:
	v_mov_b32_e32 v6, 0
	v_cmp_ne_u16_sdwa s[8:9], v3, v6 src0_sel:BYTE_0 src1_sel:DWORD
	s_andn2_b64 s[4:5], s[4:5], exec
	s_and_b64 s[8:9], s[8:9], exec
	s_or_b64 s[4:5], s[4:5], s[8:9]
	s_or_b64 exec, exec, s[6:7]
	s_and_saveexec_b64 s[6:7], s[4:5]
	s_cbranch_execnz .LBB31_935
	s_branch .LBB31_936
.LBB31_2985:
	s_movk_i32 s4, 0x80
	v_cmp_eq_u16_sdwa s[12:13], v6, s4 src0_sel:BYTE_0 src1_sel:DWORD
	s_mov_b64 s[4:5], -1
                                        ; implicit-def: $sgpr10
	s_and_saveexec_b64 s[8:9], s[12:13]
; %bb.2986:
	s_mov_b32 s10, 0x7f800001
	s_xor_b64 s[4:5], exec, -1
; %bb.2987:
	s_or_b64 exec, exec, s[8:9]
	s_and_b64 s[4:5], s[4:5], exec
	s_or_saveexec_b64 s[6:7], s[6:7]
	v_mov_b32_e32 v2, s10
	s_xor_b64 exec, exec, s[6:7]
	s_cbranch_execz .LBB31_938
.LBB31_2988:
	v_mov_b32_e32 v2, 0
	v_cmp_ne_u16_sdwa s[8:9], v6, v2 src0_sel:BYTE_0 src1_sel:DWORD
	s_andn2_b64 s[4:5], s[4:5], exec
	s_and_b64 s[8:9], s[8:9], exec
	s_or_b64 s[4:5], s[4:5], s[8:9]
	s_or_b64 exec, exec, s[6:7]
	s_and_saveexec_b64 s[6:7], s[4:5]
	s_cbranch_execnz .LBB31_939
	s_branch .LBB31_940
.LBB31_2989:
	s_movk_i32 s4, 0x80
	v_cmp_eq_u16_sdwa s[12:13], v6, s4 src0_sel:BYTE_0 src1_sel:DWORD
	s_mov_b64 s[4:5], -1
                                        ; implicit-def: $sgpr10
	s_and_saveexec_b64 s[8:9], s[12:13]
; %bb.2990:
	s_mov_b32 s10, 0x7f800001
	s_xor_b64 s[4:5], exec, -1
; %bb.2991:
	s_or_b64 exec, exec, s[8:9]
	s_and_b64 s[4:5], s[4:5], exec
	s_or_saveexec_b64 s[6:7], s[6:7]
	v_mov_b32_e32 v10, s10
	s_xor_b64 exec, exec, s[6:7]
	s_cbranch_execz .LBB31_942
.LBB31_2992:
	v_mov_b32_e32 v10, 0
	v_cmp_ne_u16_sdwa s[8:9], v6, v10 src0_sel:BYTE_0 src1_sel:DWORD
	s_andn2_b64 s[4:5], s[4:5], exec
	s_and_b64 s[8:9], s[8:9], exec
	s_or_b64 s[4:5], s[4:5], s[8:9]
	s_or_b64 exec, exec, s[6:7]
	s_and_saveexec_b64 s[6:7], s[4:5]
	s_cbranch_execnz .LBB31_943
	s_branch .LBB31_944
.LBB31_2993:
	s_movk_i32 s4, 0x80
	v_cmp_eq_u16_e32 vcc, s4, v6
	s_mov_b64 s[4:5], -1
                                        ; implicit-def: $sgpr10
	s_and_saveexec_b64 s[8:9], vcc
; %bb.2994:
	s_mov_b32 s10, 0x7f800001
	s_xor_b64 s[4:5], exec, -1
; %bb.2995:
	s_or_b64 exec, exec, s[8:9]
	s_and_b64 s[4:5], s[4:5], exec
                                        ; implicit-def: $vgpr6
	s_or_saveexec_b64 s[6:7], s[6:7]
	v_mov_b32_e32 v2, s10
	s_xor_b64 exec, exec, s[6:7]
	s_cbranch_execz .LBB31_946
.LBB31_2996:
	v_cmp_ne_u16_e32 vcc, 0, v6
	s_andn2_b64 s[4:5], s[4:5], exec
	s_and_b64 s[8:9], vcc, exec
	v_mov_b32_e32 v2, 0
	s_or_b64 s[4:5], s[4:5], s[8:9]
	s_or_b64 exec, exec, s[6:7]
	s_and_saveexec_b64 s[6:7], s[4:5]
	s_cbranch_execnz .LBB31_947
	s_branch .LBB31_948
.LBB31_2997:
	s_movk_i32 s4, 0x80
	v_cmp_eq_u16_e32 vcc, s4, v6
	s_mov_b64 s[4:5], -1
                                        ; implicit-def: $sgpr10
	s_and_saveexec_b64 s[8:9], vcc
; %bb.2998:
	s_mov_b32 s10, 0x7f800001
	s_xor_b64 s[4:5], exec, -1
; %bb.2999:
	s_or_b64 exec, exec, s[8:9]
	s_and_b64 s[4:5], s[4:5], exec
                                        ; implicit-def: $vgpr6
	s_or_saveexec_b64 s[6:7], s[6:7]
	v_mov_b32_e32 v10, s10
	s_xor_b64 exec, exec, s[6:7]
	s_cbranch_execz .LBB31_950
.LBB31_3000:
	v_cmp_ne_u16_e32 vcc, 0, v6
	s_andn2_b64 s[4:5], s[4:5], exec
	s_and_b64 s[8:9], vcc, exec
	v_mov_b32_e32 v10, 0
	s_or_b64 s[4:5], s[4:5], s[8:9]
	s_or_b64 exec, exec, s[6:7]
	s_and_saveexec_b64 s[6:7], s[4:5]
	s_cbranch_execnz .LBB31_951
	s_branch .LBB31_952
.LBB31_3001:
	s_movk_i32 s4, 0x80
	v_cmp_eq_u16_sdwa s[12:13], v7, s4 src0_sel:BYTE_3 src1_sel:DWORD
	s_mov_b64 s[4:5], -1
                                        ; implicit-def: $sgpr10
	s_and_saveexec_b64 s[8:9], s[12:13]
; %bb.3002:
	s_mov_b32 s10, 0x7f800001
	s_xor_b64 s[4:5], exec, -1
; %bb.3003:
	s_or_b64 exec, exec, s[8:9]
	s_and_b64 s[4:5], s[4:5], exec
	s_or_saveexec_b64 s[6:7], s[6:7]
	v_mov_b32_e32 v2, s10
	s_xor_b64 exec, exec, s[6:7]
	s_cbranch_execz .LBB31_954
.LBB31_3004:
	v_mov_b32_e32 v2, 0
	v_cmp_ne_u16_sdwa s[8:9], v7, v2 src0_sel:BYTE_3 src1_sel:DWORD
	s_andn2_b64 s[4:5], s[4:5], exec
	s_and_b64 s[8:9], s[8:9], exec
	s_or_b64 s[4:5], s[4:5], s[8:9]
	s_or_b64 exec, exec, s[6:7]
	s_and_saveexec_b64 s[6:7], s[4:5]
	s_cbranch_execnz .LBB31_955
	s_branch .LBB31_956
.LBB31_3005:
	s_movk_i32 s4, 0x80
	v_cmp_eq_u16_sdwa s[12:13], v3, s4 src0_sel:BYTE_3 src1_sel:DWORD
	s_mov_b64 s[4:5], -1
                                        ; implicit-def: $sgpr10
	s_and_saveexec_b64 s[8:9], s[12:13]
; %bb.3006:
	s_mov_b32 s10, 0x7f800001
	s_xor_b64 s[4:5], exec, -1
; %bb.3007:
	s_or_b64 exec, exec, s[8:9]
	s_and_b64 s[4:5], s[4:5], exec
	s_or_saveexec_b64 s[6:7], s[6:7]
	v_mov_b32_e32 v6, s10
	s_xor_b64 exec, exec, s[6:7]
	s_cbranch_execz .LBB31_958
.LBB31_3008:
	v_mov_b32_e32 v6, 0
	v_cmp_ne_u16_sdwa s[8:9], v3, v6 src0_sel:BYTE_3 src1_sel:DWORD
	s_andn2_b64 s[4:5], s[4:5], exec
	s_and_b64 s[8:9], s[8:9], exec
	s_or_b64 s[4:5], s[4:5], s[8:9]
	s_or_b64 exec, exec, s[6:7]
	s_and_saveexec_b64 s[6:7], s[4:5]
	s_cbranch_execnz .LBB31_959
	s_branch .LBB31_960
.LBB31_3009:
	s_movk_i32 s4, 0x80
	v_cmp_eq_u16_sdwa s[12:13], v8, s4 src0_sel:BYTE_0 src1_sel:DWORD
	s_mov_b64 s[4:5], -1
                                        ; implicit-def: $sgpr10
	s_and_saveexec_b64 s[8:9], s[12:13]
; %bb.3010:
	s_mov_b32 s10, 0x7f800001
	s_xor_b64 s[4:5], exec, -1
; %bb.3011:
	s_or_b64 exec, exec, s[8:9]
	s_and_b64 s[4:5], s[4:5], exec
	s_or_saveexec_b64 s[6:7], s[6:7]
	v_mov_b32_e32 v2, s10
	s_xor_b64 exec, exec, s[6:7]
	s_cbranch_execz .LBB31_962
.LBB31_3012:
	v_mov_b32_e32 v2, 0
	v_cmp_ne_u16_sdwa s[8:9], v8, v2 src0_sel:BYTE_0 src1_sel:DWORD
	s_andn2_b64 s[4:5], s[4:5], exec
	s_and_b64 s[8:9], s[8:9], exec
	s_or_b64 s[4:5], s[4:5], s[8:9]
	s_or_b64 exec, exec, s[6:7]
	s_and_saveexec_b64 s[6:7], s[4:5]
	s_cbranch_execnz .LBB31_963
	s_branch .LBB31_964
.LBB31_3013:
	s_movk_i32 s4, 0x80
	v_cmp_eq_u16_sdwa s[12:13], v4, s4 src0_sel:BYTE_0 src1_sel:DWORD
	s_mov_b64 s[4:5], -1
                                        ; implicit-def: $sgpr10
	s_and_saveexec_b64 s[8:9], s[12:13]
; %bb.3014:
	s_mov_b32 s10, 0x7f800001
	s_xor_b64 s[4:5], exec, -1
; %bb.3015:
	s_or_b64 exec, exec, s[8:9]
	s_and_b64 s[4:5], s[4:5], exec
	s_or_saveexec_b64 s[6:7], s[6:7]
	v_mov_b32_e32 v3, s10
	s_xor_b64 exec, exec, s[6:7]
	s_cbranch_execz .LBB31_966
.LBB31_3016:
	v_mov_b32_e32 v3, 0
	v_cmp_ne_u16_sdwa s[8:9], v4, v3 src0_sel:BYTE_0 src1_sel:DWORD
	s_andn2_b64 s[4:5], s[4:5], exec
	s_and_b64 s[8:9], s[8:9], exec
	s_or_b64 s[4:5], s[4:5], s[8:9]
	s_or_b64 exec, exec, s[6:7]
	s_and_saveexec_b64 s[6:7], s[4:5]
	s_cbranch_execnz .LBB31_967
	s_branch .LBB31_968
.LBB31_3017:
	s_movk_i32 s4, 0x80
	v_cmp_eq_u16_sdwa s[12:13], v3, s4 src0_sel:BYTE_0 src1_sel:DWORD
	s_mov_b64 s[4:5], -1
                                        ; implicit-def: $sgpr10
	s_and_saveexec_b64 s[8:9], s[12:13]
; %bb.3018:
	s_mov_b32 s10, 0x7f800001
	s_xor_b64 s[4:5], exec, -1
; %bb.3019:
	s_or_b64 exec, exec, s[8:9]
	s_and_b64 s[4:5], s[4:5], exec
	s_or_saveexec_b64 s[6:7], s[6:7]
	v_mov_b32_e32 v2, s10
	s_xor_b64 exec, exec, s[6:7]
	s_cbranch_execz .LBB31_970
.LBB31_3020:
	v_mov_b32_e32 v2, 0
	v_cmp_ne_u16_sdwa s[8:9], v3, v2 src0_sel:BYTE_0 src1_sel:DWORD
	s_andn2_b64 s[4:5], s[4:5], exec
	s_and_b64 s[8:9], s[8:9], exec
	s_or_b64 s[4:5], s[4:5], s[8:9]
	s_or_b64 exec, exec, s[6:7]
	s_and_saveexec_b64 s[6:7], s[4:5]
	s_cbranch_execnz .LBB31_971
	s_branch .LBB31_972
.LBB31_3021:
	s_movk_i32 s4, 0x80
	v_cmp_eq_u16_sdwa s[12:13], v3, s4 src0_sel:BYTE_0 src1_sel:DWORD
	s_mov_b64 s[4:5], -1
                                        ; implicit-def: $sgpr10
	s_and_saveexec_b64 s[8:9], s[12:13]
; %bb.3022:
	s_mov_b32 s10, 0x7f800001
	s_xor_b64 s[4:5], exec, -1
; %bb.3023:
	s_or_b64 exec, exec, s[8:9]
	s_and_b64 s[4:5], s[4:5], exec
	s_or_saveexec_b64 s[6:7], s[6:7]
	v_mov_b32_e32 v6, s10
	s_xor_b64 exec, exec, s[6:7]
	s_cbranch_execz .LBB31_974
.LBB31_3024:
	v_mov_b32_e32 v6, 0
	v_cmp_ne_u16_sdwa s[8:9], v3, v6 src0_sel:BYTE_0 src1_sel:DWORD
	s_andn2_b64 s[4:5], s[4:5], exec
	s_and_b64 s[8:9], s[8:9], exec
	s_or_b64 s[4:5], s[4:5], s[8:9]
	s_or_b64 exec, exec, s[6:7]
	s_and_saveexec_b64 s[6:7], s[4:5]
	s_cbranch_execnz .LBB31_975
	s_branch .LBB31_976
.LBB31_3025:
	s_movk_i32 s4, 0x80
	v_cmp_eq_u16_e32 vcc, s4, v3
	s_mov_b64 s[4:5], -1
                                        ; implicit-def: $sgpr10
	s_and_saveexec_b64 s[8:9], vcc
; %bb.3026:
	s_mov_b32 s10, 0x7f800001
	s_xor_b64 s[4:5], exec, -1
; %bb.3027:
	s_or_b64 exec, exec, s[8:9]
	s_and_b64 s[4:5], s[4:5], exec
                                        ; implicit-def: $vgpr3
	s_or_saveexec_b64 s[6:7], s[6:7]
	v_mov_b32_e32 v2, s10
	s_xor_b64 exec, exec, s[6:7]
	s_cbranch_execz .LBB31_978
.LBB31_3028:
	v_cmp_ne_u16_e32 vcc, 0, v3
	s_andn2_b64 s[4:5], s[4:5], exec
	s_and_b64 s[8:9], vcc, exec
	v_mov_b32_e32 v2, 0
	s_or_b64 s[4:5], s[4:5], s[8:9]
	s_or_b64 exec, exec, s[6:7]
	s_and_saveexec_b64 s[6:7], s[4:5]
	s_cbranch_execnz .LBB31_979
	s_branch .LBB31_980
.LBB31_3029:
	s_movk_i32 s4, 0x80
	v_cmp_eq_u16_e32 vcc, s4, v3
	s_mov_b64 s[4:5], -1
                                        ; implicit-def: $sgpr10
	s_and_saveexec_b64 s[8:9], vcc
; %bb.3030:
	s_mov_b32 s10, 0x7f800001
	s_xor_b64 s[4:5], exec, -1
; %bb.3031:
	s_or_b64 exec, exec, s[8:9]
	s_and_b64 s[4:5], s[4:5], exec
                                        ; implicit-def: $vgpr3
	s_or_saveexec_b64 s[6:7], s[6:7]
	v_mov_b32_e32 v6, s10
	s_xor_b64 exec, exec, s[6:7]
	s_cbranch_execz .LBB31_982
.LBB31_3032:
	v_cmp_ne_u16_e32 vcc, 0, v3
	s_andn2_b64 s[4:5], s[4:5], exec
	s_and_b64 s[8:9], vcc, exec
	v_mov_b32_e32 v6, 0
	s_or_b64 s[4:5], s[4:5], s[8:9]
	s_or_b64 exec, exec, s[6:7]
	s_and_saveexec_b64 s[6:7], s[4:5]
	s_cbranch_execnz .LBB31_983
	s_branch .LBB31_984
.LBB31_3033:
	s_movk_i32 s4, 0x80
	v_cmp_eq_u16_sdwa s[12:13], v8, s4 src0_sel:BYTE_3 src1_sel:DWORD
	s_mov_b64 s[4:5], -1
                                        ; implicit-def: $sgpr10
	s_and_saveexec_b64 s[8:9], s[12:13]
; %bb.3034:
	s_mov_b32 s10, 0x7f800001
	s_xor_b64 s[4:5], exec, -1
; %bb.3035:
	s_or_b64 exec, exec, s[8:9]
	s_and_b64 s[4:5], s[4:5], exec
	s_or_saveexec_b64 s[6:7], s[6:7]
	v_mov_b32_e32 v2, s10
	s_xor_b64 exec, exec, s[6:7]
	s_cbranch_execz .LBB31_986
.LBB31_3036:
	v_mov_b32_e32 v2, 0
	v_cmp_ne_u16_sdwa s[8:9], v8, v2 src0_sel:BYTE_3 src1_sel:DWORD
	s_andn2_b64 s[4:5], s[4:5], exec
	s_and_b64 s[8:9], s[8:9], exec
	s_or_b64 s[4:5], s[4:5], s[8:9]
	s_or_b64 exec, exec, s[6:7]
	s_and_saveexec_b64 s[6:7], s[4:5]
	s_cbranch_execnz .LBB31_987
	s_branch .LBB31_988
.LBB31_3037:
	s_movk_i32 s4, 0x80
	v_cmp_eq_u16_sdwa s[12:13], v4, s4 src0_sel:BYTE_3 src1_sel:DWORD
	s_mov_b64 s[4:5], -1
                                        ; implicit-def: $sgpr10
	s_and_saveexec_b64 s[8:9], s[12:13]
; %bb.3038:
	s_mov_b32 s10, 0x7f800001
	s_xor_b64 s[4:5], exec, -1
; %bb.3039:
	s_or_b64 exec, exec, s[8:9]
	s_and_b64 s[4:5], s[4:5], exec
	s_or_saveexec_b64 s[6:7], s[6:7]
	v_mov_b32_e32 v3, s10
	s_xor_b64 exec, exec, s[6:7]
	s_cbranch_execz .LBB31_990
.LBB31_3040:
	v_mov_b32_e32 v3, 0
	v_cmp_ne_u16_sdwa s[8:9], v4, v3 src0_sel:BYTE_3 src1_sel:DWORD
	s_andn2_b64 s[4:5], s[4:5], exec
	s_and_b64 s[8:9], s[8:9], exec
	s_or_b64 s[4:5], s[4:5], s[8:9]
	s_or_b64 exec, exec, s[6:7]
	s_and_saveexec_b64 s[6:7], s[4:5]
	s_cbranch_execnz .LBB31_991
	s_branch .LBB31_992
.LBB31_3041:
	s_movk_i32 s4, 0x80
	v_cmp_eq_u16_sdwa s[12:13], v9, s4 src0_sel:BYTE_0 src1_sel:DWORD
	s_mov_b64 s[4:5], -1
                                        ; implicit-def: $sgpr10
	s_and_saveexec_b64 s[8:9], s[12:13]
; %bb.3042:
	s_mov_b32 s10, 0x7f800001
	s_xor_b64 s[4:5], exec, -1
; %bb.3043:
	s_or_b64 exec, exec, s[8:9]
	s_and_b64 s[4:5], s[4:5], exec
	s_or_saveexec_b64 s[6:7], s[6:7]
	v_mov_b32_e32 v2, s10
	s_xor_b64 exec, exec, s[6:7]
	s_cbranch_execz .LBB31_994
.LBB31_3044:
	v_mov_b32_e32 v2, 0
	v_cmp_ne_u16_sdwa s[8:9], v9, v2 src0_sel:BYTE_0 src1_sel:DWORD
	s_andn2_b64 s[4:5], s[4:5], exec
	s_and_b64 s[8:9], s[8:9], exec
	s_or_b64 s[4:5], s[4:5], s[8:9]
	s_or_b64 exec, exec, s[6:7]
	s_and_saveexec_b64 s[6:7], s[4:5]
	s_cbranch_execnz .LBB31_995
	s_branch .LBB31_996
.LBB31_3045:
	s_movk_i32 s4, 0x80
	v_cmp_eq_u16_sdwa s[12:13], v5, s4 src0_sel:BYTE_0 src1_sel:DWORD
	s_mov_b64 s[4:5], -1
                                        ; implicit-def: $sgpr10
	s_and_saveexec_b64 s[8:9], s[12:13]
; %bb.3046:
	s_mov_b32 s10, 0x7f800001
	s_xor_b64 s[4:5], exec, -1
; %bb.3047:
	s_or_b64 exec, exec, s[8:9]
	s_and_b64 s[4:5], s[4:5], exec
	s_or_saveexec_b64 s[6:7], s[6:7]
	v_mov_b32_e32 v3, s10
	s_xor_b64 exec, exec, s[6:7]
	s_cbranch_execz .LBB31_998
.LBB31_3048:
	v_mov_b32_e32 v3, 0
	v_cmp_ne_u16_sdwa s[8:9], v5, v3 src0_sel:BYTE_0 src1_sel:DWORD
	s_andn2_b64 s[4:5], s[4:5], exec
	s_and_b64 s[8:9], s[8:9], exec
	s_or_b64 s[4:5], s[4:5], s[8:9]
	s_or_b64 exec, exec, s[6:7]
	s_and_saveexec_b64 s[6:7], s[4:5]
	s_cbranch_execnz .LBB31_999
	s_branch .LBB31_1000
.LBB31_3049:
	s_movk_i32 s4, 0x80
	v_cmp_eq_u16_sdwa s[12:13], v3, s4 src0_sel:BYTE_0 src1_sel:DWORD
	s_mov_b64 s[4:5], -1
                                        ; implicit-def: $sgpr10
	s_and_saveexec_b64 s[8:9], s[12:13]
; %bb.3050:
	s_mov_b32 s10, 0x7f800001
	s_xor_b64 s[4:5], exec, -1
; %bb.3051:
	s_or_b64 exec, exec, s[8:9]
	s_and_b64 s[4:5], s[4:5], exec
	s_or_saveexec_b64 s[6:7], s[6:7]
	v_mov_b32_e32 v2, s10
	s_xor_b64 exec, exec, s[6:7]
	s_cbranch_execz .LBB31_1002
.LBB31_3052:
	v_mov_b32_e32 v2, 0
	v_cmp_ne_u16_sdwa s[8:9], v3, v2 src0_sel:BYTE_0 src1_sel:DWORD
	s_andn2_b64 s[4:5], s[4:5], exec
	s_and_b64 s[8:9], s[8:9], exec
	s_or_b64 s[4:5], s[4:5], s[8:9]
	s_or_b64 exec, exec, s[6:7]
	s_and_saveexec_b64 s[6:7], s[4:5]
	s_cbranch_execnz .LBB31_1003
	s_branch .LBB31_1004
.LBB31_3053:
	s_movk_i32 s4, 0x80
	v_cmp_eq_u16_sdwa s[12:13], v3, s4 src0_sel:BYTE_0 src1_sel:DWORD
	s_mov_b64 s[4:5], -1
                                        ; implicit-def: $sgpr10
	s_and_saveexec_b64 s[8:9], s[12:13]
; %bb.3054:
	s_mov_b32 s10, 0x7f800001
	s_xor_b64 s[4:5], exec, -1
; %bb.3055:
	s_or_b64 exec, exec, s[8:9]
	s_and_b64 s[4:5], s[4:5], exec
	s_or_saveexec_b64 s[6:7], s[6:7]
	v_mov_b32_e32 v4, s10
	s_xor_b64 exec, exec, s[6:7]
	s_cbranch_execz .LBB31_1006
.LBB31_3056:
	v_mov_b32_e32 v4, 0
	v_cmp_ne_u16_sdwa s[8:9], v3, v4 src0_sel:BYTE_0 src1_sel:DWORD
	s_andn2_b64 s[4:5], s[4:5], exec
	s_and_b64 s[8:9], s[8:9], exec
	s_or_b64 s[4:5], s[4:5], s[8:9]
	s_or_b64 exec, exec, s[6:7]
	s_and_saveexec_b64 s[6:7], s[4:5]
	s_cbranch_execnz .LBB31_1007
	s_branch .LBB31_1008
.LBB31_3057:
	s_movk_i32 s4, 0x80
	v_cmp_eq_u16_e32 vcc, s4, v3
	s_mov_b64 s[4:5], -1
                                        ; implicit-def: $sgpr10
	s_and_saveexec_b64 s[8:9], vcc
; %bb.3058:
	s_mov_b32 s10, 0x7f800001
	s_xor_b64 s[4:5], exec, -1
; %bb.3059:
	s_or_b64 exec, exec, s[8:9]
	s_and_b64 s[4:5], s[4:5], exec
                                        ; implicit-def: $vgpr3
	s_or_saveexec_b64 s[6:7], s[6:7]
	v_mov_b32_e32 v2, s10
	s_xor_b64 exec, exec, s[6:7]
	s_cbranch_execz .LBB31_1010
.LBB31_3060:
	v_cmp_ne_u16_e32 vcc, 0, v3
	s_andn2_b64 s[4:5], s[4:5], exec
	s_and_b64 s[8:9], vcc, exec
	v_mov_b32_e32 v2, 0
	s_or_b64 s[4:5], s[4:5], s[8:9]
	s_or_b64 exec, exec, s[6:7]
	s_and_saveexec_b64 s[6:7], s[4:5]
	s_cbranch_execnz .LBB31_1011
	s_branch .LBB31_1012
.LBB31_3061:
	s_movk_i32 s4, 0x80
	v_cmp_eq_u16_e32 vcc, s4, v3
	s_mov_b64 s[4:5], -1
                                        ; implicit-def: $sgpr10
	s_and_saveexec_b64 s[8:9], vcc
; %bb.3062:
	s_mov_b32 s10, 0x7f800001
	s_xor_b64 s[4:5], exec, -1
; %bb.3063:
	s_or_b64 exec, exec, s[8:9]
	s_and_b64 s[4:5], s[4:5], exec
                                        ; implicit-def: $vgpr3
	s_or_saveexec_b64 s[6:7], s[6:7]
	v_mov_b32_e32 v4, s10
	s_xor_b64 exec, exec, s[6:7]
	s_cbranch_execz .LBB31_1014
.LBB31_3064:
	v_cmp_ne_u16_e32 vcc, 0, v3
	s_andn2_b64 s[4:5], s[4:5], exec
	s_and_b64 s[8:9], vcc, exec
	v_mov_b32_e32 v4, 0
	s_or_b64 s[4:5], s[4:5], s[8:9]
	s_or_b64 exec, exec, s[6:7]
	s_and_saveexec_b64 s[6:7], s[4:5]
	s_cbranch_execnz .LBB31_1015
	s_branch .LBB31_1016
.LBB31_3065:
	s_movk_i32 s4, 0x80
	v_cmp_eq_u16_sdwa s[12:13], v9, s4 src0_sel:BYTE_3 src1_sel:DWORD
	s_mov_b64 s[4:5], -1
                                        ; implicit-def: $sgpr10
	s_and_saveexec_b64 s[8:9], s[12:13]
; %bb.3066:
	s_mov_b32 s10, 0x7f800001
	s_xor_b64 s[4:5], exec, -1
; %bb.3067:
	s_or_b64 exec, exec, s[8:9]
	s_and_b64 s[4:5], s[4:5], exec
	s_or_saveexec_b64 s[6:7], s[6:7]
	v_mov_b32_e32 v2, s10
	s_xor_b64 exec, exec, s[6:7]
	s_cbranch_execz .LBB31_1018
.LBB31_3068:
	v_mov_b32_e32 v2, 0
	v_cmp_ne_u16_sdwa s[8:9], v9, v2 src0_sel:BYTE_3 src1_sel:DWORD
	s_andn2_b64 s[4:5], s[4:5], exec
	s_and_b64 s[8:9], s[8:9], exec
	s_or_b64 s[4:5], s[4:5], s[8:9]
	s_or_b64 exec, exec, s[6:7]
	s_and_saveexec_b64 s[6:7], s[4:5]
	s_cbranch_execnz .LBB31_1019
	s_branch .LBB31_1020
.LBB31_3069:
	s_movk_i32 s4, 0x80
	v_cmp_eq_u16_sdwa s[12:13], v5, s4 src0_sel:BYTE_3 src1_sel:DWORD
	s_mov_b64 s[4:5], -1
                                        ; implicit-def: $sgpr10
	s_and_saveexec_b64 s[8:9], s[12:13]
; %bb.3070:
	s_mov_b32 s10, 0x7f800001
	s_xor_b64 s[4:5], exec, -1
; %bb.3071:
	s_or_b64 exec, exec, s[8:9]
	s_and_b64 s[4:5], s[4:5], exec
	s_or_saveexec_b64 s[6:7], s[6:7]
	v_mov_b32_e32 v3, s10
	s_xor_b64 exec, exec, s[6:7]
	s_cbranch_execz .LBB31_1022
.LBB31_3072:
	v_mov_b32_e32 v3, 0
	v_cmp_ne_u16_sdwa s[8:9], v5, v3 src0_sel:BYTE_3 src1_sel:DWORD
	s_andn2_b64 s[4:5], s[4:5], exec
	s_and_b64 s[8:9], s[8:9], exec
	s_or_b64 s[4:5], s[4:5], s[8:9]
	s_or_b64 exec, exec, s[6:7]
	s_and_saveexec_b64 s[6:7], s[4:5]
	s_cbranch_execnz .LBB31_1023
	s_branch .LBB31_1024
.LBB31_3073:
	s_movk_i32 s4, 0x80
	v_cmp_eq_u16_sdwa s[12:13], v14, s4 src0_sel:BYTE_0 src1_sel:DWORD
	s_mov_b64 s[4:5], -1
                                        ; implicit-def: $sgpr10
	s_and_saveexec_b64 s[8:9], s[12:13]
; %bb.3074:
	s_mov_b32 s10, 0x7f800001
	s_xor_b64 s[4:5], exec, -1
; %bb.3075:
	s_or_b64 exec, exec, s[8:9]
	s_and_b64 s[4:5], s[4:5], exec
	s_or_saveexec_b64 s[6:7], s[6:7]
	v_mov_b32_e32 v20, s10
	s_xor_b64 exec, exec, s[6:7]
	s_cbranch_execz .LBB31_1026
.LBB31_3076:
	v_mov_b32_e32 v20, 0
	v_cmp_ne_u16_sdwa s[8:9], v14, v20 src0_sel:BYTE_0 src1_sel:DWORD
	s_andn2_b64 s[4:5], s[4:5], exec
	s_and_b64 s[8:9], s[8:9], exec
	s_or_b64 s[4:5], s[4:5], s[8:9]
	s_or_b64 exec, exec, s[6:7]
	s_and_saveexec_b64 s[6:7], s[4:5]
	s_cbranch_execnz .LBB31_1027
	s_branch .LBB31_1028
.LBB31_3077:
	s_movk_i32 s4, 0x80
	v_cmp_eq_u16_sdwa s[12:13], v10, s4 src0_sel:BYTE_0 src1_sel:DWORD
	s_mov_b64 s[4:5], -1
                                        ; implicit-def: $sgpr10
	s_and_saveexec_b64 s[8:9], s[12:13]
; %bb.3078:
	s_mov_b32 s10, 0x7f800001
	s_xor_b64 s[4:5], exec, -1
; %bb.3079:
	s_or_b64 exec, exec, s[8:9]
	s_and_b64 s[4:5], s[4:5], exec
	s_or_saveexec_b64 s[6:7], s[6:7]
	v_mov_b32_e32 v21, s10
	s_xor_b64 exec, exec, s[6:7]
	s_cbranch_execz .LBB31_1030
.LBB31_3080:
	v_mov_b32_e32 v21, 0
	v_cmp_ne_u16_sdwa s[8:9], v10, v21 src0_sel:BYTE_0 src1_sel:DWORD
	s_andn2_b64 s[4:5], s[4:5], exec
	s_and_b64 s[8:9], s[8:9], exec
	s_or_b64 s[4:5], s[4:5], s[8:9]
	s_or_b64 exec, exec, s[6:7]
	s_and_saveexec_b64 s[6:7], s[4:5]
	s_cbranch_execnz .LBB31_1031
	s_branch .LBB31_1032
.LBB31_3081:
	s_movk_i32 s4, 0x80
	v_cmp_eq_u16_sdwa s[12:13], v21, s4 src0_sel:BYTE_0 src1_sel:DWORD
	s_mov_b64 s[4:5], -1
                                        ; implicit-def: $sgpr10
	s_and_saveexec_b64 s[8:9], s[12:13]
; %bb.3082:
	s_mov_b32 s10, 0x7f800001
	s_xor_b64 s[4:5], exec, -1
; %bb.3083:
	s_or_b64 exec, exec, s[8:9]
	s_and_b64 s[4:5], s[4:5], exec
	s_or_saveexec_b64 s[6:7], s[6:7]
	v_mov_b32_e32 v20, s10
	s_xor_b64 exec, exec, s[6:7]
	s_cbranch_execz .LBB31_1034
.LBB31_3084:
	v_mov_b32_e32 v20, 0
	v_cmp_ne_u16_sdwa s[8:9], v21, v20 src0_sel:BYTE_0 src1_sel:DWORD
	s_andn2_b64 s[4:5], s[4:5], exec
	s_and_b64 s[8:9], s[8:9], exec
	s_or_b64 s[4:5], s[4:5], s[8:9]
	s_or_b64 exec, exec, s[6:7]
	s_and_saveexec_b64 s[6:7], s[4:5]
	s_cbranch_execnz .LBB31_1035
	s_branch .LBB31_1036
.LBB31_3085:
	s_movk_i32 s4, 0x80
	v_cmp_eq_u16_sdwa s[12:13], v21, s4 src0_sel:BYTE_0 src1_sel:DWORD
	s_mov_b64 s[4:5], -1
                                        ; implicit-def: $sgpr10
	s_and_saveexec_b64 s[8:9], s[12:13]
; %bb.3086:
	s_mov_b32 s10, 0x7f800001
	s_xor_b64 s[4:5], exec, -1
; %bb.3087:
	s_or_b64 exec, exec, s[8:9]
	s_and_b64 s[4:5], s[4:5], exec
	s_or_saveexec_b64 s[6:7], s[6:7]
	v_mov_b32_e32 v22, s10
	s_xor_b64 exec, exec, s[6:7]
	s_cbranch_execz .LBB31_1038
.LBB31_3088:
	v_mov_b32_e32 v22, 0
	v_cmp_ne_u16_sdwa s[8:9], v21, v22 src0_sel:BYTE_0 src1_sel:DWORD
	s_andn2_b64 s[4:5], s[4:5], exec
	s_and_b64 s[8:9], s[8:9], exec
	s_or_b64 s[4:5], s[4:5], s[8:9]
	s_or_b64 exec, exec, s[6:7]
	s_and_saveexec_b64 s[6:7], s[4:5]
	s_cbranch_execnz .LBB31_1039
	s_branch .LBB31_1040
.LBB31_3089:
	s_movk_i32 s4, 0x80
	v_cmp_eq_u16_e32 vcc, s4, v21
	s_mov_b64 s[4:5], -1
                                        ; implicit-def: $sgpr10
	s_and_saveexec_b64 s[8:9], vcc
; %bb.3090:
	s_mov_b32 s10, 0x7f800001
	s_xor_b64 s[4:5], exec, -1
; %bb.3091:
	s_or_b64 exec, exec, s[8:9]
	s_and_b64 s[4:5], s[4:5], exec
                                        ; implicit-def: $vgpr21
	s_or_saveexec_b64 s[6:7], s[6:7]
	v_mov_b32_e32 v20, s10
	s_xor_b64 exec, exec, s[6:7]
	s_cbranch_execz .LBB31_1042
.LBB31_3092:
	v_cmp_ne_u16_e32 vcc, 0, v21
	s_andn2_b64 s[4:5], s[4:5], exec
	s_and_b64 s[8:9], vcc, exec
	v_mov_b32_e32 v20, 0
	s_or_b64 s[4:5], s[4:5], s[8:9]
	s_or_b64 exec, exec, s[6:7]
	s_and_saveexec_b64 s[6:7], s[4:5]
	s_cbranch_execnz .LBB31_1043
	s_branch .LBB31_1044
.LBB31_3093:
	s_movk_i32 s4, 0x80
	v_cmp_eq_u16_e32 vcc, s4, v21
	s_mov_b64 s[4:5], -1
                                        ; implicit-def: $sgpr10
	s_and_saveexec_b64 s[8:9], vcc
; %bb.3094:
	s_mov_b32 s10, 0x7f800001
	s_xor_b64 s[4:5], exec, -1
; %bb.3095:
	s_or_b64 exec, exec, s[8:9]
	s_and_b64 s[4:5], s[4:5], exec
                                        ; implicit-def: $vgpr21
	s_or_saveexec_b64 s[6:7], s[6:7]
	v_mov_b32_e32 v22, s10
	s_xor_b64 exec, exec, s[6:7]
	s_cbranch_execz .LBB31_1046
.LBB31_3096:
	v_cmp_ne_u16_e32 vcc, 0, v21
	s_andn2_b64 s[4:5], s[4:5], exec
	s_and_b64 s[8:9], vcc, exec
	v_mov_b32_e32 v22, 0
	s_or_b64 s[4:5], s[4:5], s[8:9]
	s_or_b64 exec, exec, s[6:7]
	s_and_saveexec_b64 s[6:7], s[4:5]
	s_cbranch_execnz .LBB31_1047
	s_branch .LBB31_1048
.LBB31_3097:
	s_movk_i32 s4, 0x80
	v_cmp_eq_u16_sdwa s[12:13], v14, s4 src0_sel:BYTE_3 src1_sel:DWORD
	s_mov_b64 s[4:5], -1
                                        ; implicit-def: $sgpr10
	s_and_saveexec_b64 s[8:9], s[12:13]
; %bb.3098:
	s_mov_b32 s10, 0x7f800001
	s_xor_b64 s[4:5], exec, -1
; %bb.3099:
	s_or_b64 exec, exec, s[8:9]
	s_and_b64 s[4:5], s[4:5], exec
	s_or_saveexec_b64 s[6:7], s[6:7]
	v_mov_b32_e32 v20, s10
	s_xor_b64 exec, exec, s[6:7]
	s_cbranch_execz .LBB31_1050
.LBB31_3100:
	v_mov_b32_e32 v20, 0
	v_cmp_ne_u16_sdwa s[8:9], v14, v20 src0_sel:BYTE_3 src1_sel:DWORD
	s_andn2_b64 s[4:5], s[4:5], exec
	s_and_b64 s[8:9], s[8:9], exec
	s_or_b64 s[4:5], s[4:5], s[8:9]
	s_or_b64 exec, exec, s[6:7]
	s_and_saveexec_b64 s[6:7], s[4:5]
	s_cbranch_execnz .LBB31_1051
	s_branch .LBB31_1052
.LBB31_3101:
	s_movk_i32 s4, 0x80
	v_cmp_eq_u16_sdwa s[12:13], v10, s4 src0_sel:BYTE_3 src1_sel:DWORD
	s_mov_b64 s[4:5], -1
                                        ; implicit-def: $sgpr10
	s_and_saveexec_b64 s[8:9], s[12:13]
; %bb.3102:
	s_mov_b32 s10, 0x7f800001
	s_xor_b64 s[4:5], exec, -1
; %bb.3103:
	s_or_b64 exec, exec, s[8:9]
	s_and_b64 s[4:5], s[4:5], exec
	s_or_saveexec_b64 s[6:7], s[6:7]
	v_mov_b32_e32 v14, s10
	s_xor_b64 exec, exec, s[6:7]
	s_cbranch_execz .LBB31_1054
.LBB31_3104:
	v_mov_b32_e32 v14, 0
	v_cmp_ne_u16_sdwa s[8:9], v10, v14 src0_sel:BYTE_3 src1_sel:DWORD
	s_andn2_b64 s[4:5], s[4:5], exec
	s_and_b64 s[8:9], s[8:9], exec
	s_or_b64 s[4:5], s[4:5], s[8:9]
	s_or_b64 exec, exec, s[6:7]
	s_and_saveexec_b64 s[6:7], s[4:5]
	s_cbranch_execnz .LBB31_1055
	s_branch .LBB31_1056
.LBB31_3105:
	s_movk_i32 s4, 0x80
	v_cmp_eq_u16_sdwa s[12:13], v15, s4 src0_sel:BYTE_0 src1_sel:DWORD
	s_mov_b64 s[4:5], -1
                                        ; implicit-def: $sgpr10
	s_and_saveexec_b64 s[8:9], s[12:13]
; %bb.3106:
	s_mov_b32 s10, 0x7f800001
	s_xor_b64 s[4:5], exec, -1
; %bb.3107:
	s_or_b64 exec, exec, s[8:9]
	s_and_b64 s[4:5], s[4:5], exec
	s_or_saveexec_b64 s[6:7], s[6:7]
	v_mov_b32_e32 v10, s10
	s_xor_b64 exec, exec, s[6:7]
	s_cbranch_execz .LBB31_1058
.LBB31_3108:
	v_mov_b32_e32 v10, 0
	v_cmp_ne_u16_sdwa s[8:9], v15, v10 src0_sel:BYTE_0 src1_sel:DWORD
	s_andn2_b64 s[4:5], s[4:5], exec
	s_and_b64 s[8:9], s[8:9], exec
	s_or_b64 s[4:5], s[4:5], s[8:9]
	s_or_b64 exec, exec, s[6:7]
	s_and_saveexec_b64 s[6:7], s[4:5]
	s_cbranch_execnz .LBB31_1059
	s_branch .LBB31_1060
.LBB31_3109:
	s_movk_i32 s4, 0x80
	v_cmp_eq_u16_sdwa s[12:13], v11, s4 src0_sel:BYTE_0 src1_sel:DWORD
	s_mov_b64 s[4:5], -1
                                        ; implicit-def: $sgpr10
	s_and_saveexec_b64 s[8:9], s[12:13]
; %bb.3110:
	s_mov_b32 s10, 0x7f800001
	s_xor_b64 s[4:5], exec, -1
; %bb.3111:
	s_or_b64 exec, exec, s[8:9]
	s_and_b64 s[4:5], s[4:5], exec
	s_or_saveexec_b64 s[6:7], s[6:7]
	v_mov_b32_e32 v14, s10
	s_xor_b64 exec, exec, s[6:7]
	s_cbranch_execz .LBB31_1062
.LBB31_3112:
	v_mov_b32_e32 v14, 0
	v_cmp_ne_u16_sdwa s[8:9], v11, v14 src0_sel:BYTE_0 src1_sel:DWORD
	s_andn2_b64 s[4:5], s[4:5], exec
	s_and_b64 s[8:9], s[8:9], exec
	s_or_b64 s[4:5], s[4:5], s[8:9]
	s_or_b64 exec, exec, s[6:7]
	s_and_saveexec_b64 s[6:7], s[4:5]
	s_cbranch_execnz .LBB31_1063
	s_branch .LBB31_1064
.LBB31_3113:
	s_movk_i32 s4, 0x80
	v_cmp_eq_u16_sdwa s[12:13], v14, s4 src0_sel:BYTE_0 src1_sel:DWORD
	s_mov_b64 s[4:5], -1
                                        ; implicit-def: $sgpr10
	s_and_saveexec_b64 s[8:9], s[12:13]
; %bb.3114:
	s_mov_b32 s10, 0x7f800001
	s_xor_b64 s[4:5], exec, -1
; %bb.3115:
	s_or_b64 exec, exec, s[8:9]
	s_and_b64 s[4:5], s[4:5], exec
	s_or_saveexec_b64 s[6:7], s[6:7]
	v_mov_b32_e32 v10, s10
	s_xor_b64 exec, exec, s[6:7]
	s_cbranch_execz .LBB31_1066
.LBB31_3116:
	v_mov_b32_e32 v10, 0
	v_cmp_ne_u16_sdwa s[8:9], v14, v10 src0_sel:BYTE_0 src1_sel:DWORD
	s_andn2_b64 s[4:5], s[4:5], exec
	s_and_b64 s[8:9], s[8:9], exec
	s_or_b64 s[4:5], s[4:5], s[8:9]
	s_or_b64 exec, exec, s[6:7]
	s_and_saveexec_b64 s[6:7], s[4:5]
	s_cbranch_execnz .LBB31_1067
	s_branch .LBB31_1068
.LBB31_3117:
	s_movk_i32 s4, 0x80
	v_cmp_eq_u16_sdwa s[12:13], v14, s4 src0_sel:BYTE_0 src1_sel:DWORD
	s_mov_b64 s[4:5], -1
                                        ; implicit-def: $sgpr10
	s_and_saveexec_b64 s[8:9], s[12:13]
; %bb.3118:
	s_mov_b32 s10, 0x7f800001
	s_xor_b64 s[4:5], exec, -1
; %bb.3119:
	s_or_b64 exec, exec, s[8:9]
	s_and_b64 s[4:5], s[4:5], exec
	s_or_saveexec_b64 s[6:7], s[6:7]
	v_mov_b32_e32 v20, s10
	s_xor_b64 exec, exec, s[6:7]
	s_cbranch_execz .LBB31_1070
.LBB31_3120:
	v_mov_b32_e32 v20, 0
	v_cmp_ne_u16_sdwa s[8:9], v14, v20 src0_sel:BYTE_0 src1_sel:DWORD
	s_andn2_b64 s[4:5], s[4:5], exec
	s_and_b64 s[8:9], s[8:9], exec
	s_or_b64 s[4:5], s[4:5], s[8:9]
	s_or_b64 exec, exec, s[6:7]
	s_and_saveexec_b64 s[6:7], s[4:5]
	s_cbranch_execnz .LBB31_1071
	s_branch .LBB31_1072
.LBB31_3121:
	s_movk_i32 s4, 0x80
	v_cmp_eq_u16_e32 vcc, s4, v14
	s_mov_b64 s[4:5], -1
                                        ; implicit-def: $sgpr10
	s_and_saveexec_b64 s[8:9], vcc
; %bb.3122:
	s_mov_b32 s10, 0x7f800001
	s_xor_b64 s[4:5], exec, -1
; %bb.3123:
	s_or_b64 exec, exec, s[8:9]
	s_and_b64 s[4:5], s[4:5], exec
                                        ; implicit-def: $vgpr14
	s_or_saveexec_b64 s[6:7], s[6:7]
	v_mov_b32_e32 v10, s10
	s_xor_b64 exec, exec, s[6:7]
	s_cbranch_execz .LBB31_1074
.LBB31_3124:
	v_cmp_ne_u16_e32 vcc, 0, v14
	s_andn2_b64 s[4:5], s[4:5], exec
	s_and_b64 s[8:9], vcc, exec
	v_mov_b32_e32 v10, 0
	s_or_b64 s[4:5], s[4:5], s[8:9]
	s_or_b64 exec, exec, s[6:7]
	s_and_saveexec_b64 s[6:7], s[4:5]
	s_cbranch_execnz .LBB31_1075
	s_branch .LBB31_1076
.LBB31_3125:
	s_movk_i32 s4, 0x80
	v_cmp_eq_u16_e32 vcc, s4, v14
	s_mov_b64 s[4:5], -1
                                        ; implicit-def: $sgpr10
	s_and_saveexec_b64 s[8:9], vcc
; %bb.3126:
	s_mov_b32 s10, 0x7f800001
	s_xor_b64 s[4:5], exec, -1
; %bb.3127:
	s_or_b64 exec, exec, s[8:9]
	s_and_b64 s[4:5], s[4:5], exec
                                        ; implicit-def: $vgpr14
	s_or_saveexec_b64 s[6:7], s[6:7]
	v_mov_b32_e32 v20, s10
	s_xor_b64 exec, exec, s[6:7]
	s_cbranch_execz .LBB31_1078
.LBB31_3128:
	v_cmp_ne_u16_e32 vcc, 0, v14
	s_andn2_b64 s[4:5], s[4:5], exec
	s_and_b64 s[8:9], vcc, exec
	v_mov_b32_e32 v20, 0
	s_or_b64 s[4:5], s[4:5], s[8:9]
	s_or_b64 exec, exec, s[6:7]
	s_and_saveexec_b64 s[6:7], s[4:5]
	s_cbranch_execnz .LBB31_1079
	s_branch .LBB31_1080
.LBB31_3129:
	s_movk_i32 s4, 0x80
	v_cmp_eq_u16_sdwa s[12:13], v15, s4 src0_sel:BYTE_3 src1_sel:DWORD
	s_mov_b64 s[4:5], -1
                                        ; implicit-def: $sgpr10
	s_and_saveexec_b64 s[8:9], s[12:13]
; %bb.3130:
	s_mov_b32 s10, 0x7f800001
	s_xor_b64 s[4:5], exec, -1
; %bb.3131:
	s_or_b64 exec, exec, s[8:9]
	s_and_b64 s[4:5], s[4:5], exec
	s_or_saveexec_b64 s[6:7], s[6:7]
	v_mov_b32_e32 v10, s10
	s_xor_b64 exec, exec, s[6:7]
	s_cbranch_execz .LBB31_1082
.LBB31_3132:
	v_mov_b32_e32 v10, 0
	v_cmp_ne_u16_sdwa s[8:9], v15, v10 src0_sel:BYTE_3 src1_sel:DWORD
	s_andn2_b64 s[4:5], s[4:5], exec
	s_and_b64 s[8:9], s[8:9], exec
	s_or_b64 s[4:5], s[4:5], s[8:9]
	s_or_b64 exec, exec, s[6:7]
	s_and_saveexec_b64 s[6:7], s[4:5]
	s_cbranch_execnz .LBB31_1083
	s_branch .LBB31_1084
.LBB31_3133:
	s_movk_i32 s4, 0x80
	v_cmp_eq_u16_sdwa s[12:13], v11, s4 src0_sel:BYTE_3 src1_sel:DWORD
	s_mov_b64 s[4:5], -1
                                        ; implicit-def: $sgpr10
	s_and_saveexec_b64 s[8:9], s[12:13]
; %bb.3134:
	s_mov_b32 s10, 0x7f800001
	s_xor_b64 s[4:5], exec, -1
; %bb.3135:
	s_or_b64 exec, exec, s[8:9]
	s_and_b64 s[4:5], s[4:5], exec
	s_or_saveexec_b64 s[6:7], s[6:7]
	v_mov_b32_e32 v14, s10
	s_xor_b64 exec, exec, s[6:7]
	s_cbranch_execz .LBB31_1086
.LBB31_3136:
	v_mov_b32_e32 v14, 0
	v_cmp_ne_u16_sdwa s[8:9], v11, v14 src0_sel:BYTE_3 src1_sel:DWORD
	s_andn2_b64 s[4:5], s[4:5], exec
	s_and_b64 s[8:9], s[8:9], exec
	s_or_b64 s[4:5], s[4:5], s[8:9]
	s_or_b64 exec, exec, s[6:7]
	s_and_saveexec_b64 s[6:7], s[4:5]
	s_cbranch_execnz .LBB31_1087
	s_branch .LBB31_1088
.LBB31_3137:
	s_movk_i32 s4, 0x80
	v_cmp_eq_u16_sdwa s[12:13], v16, s4 src0_sel:BYTE_0 src1_sel:DWORD
	s_mov_b64 s[4:5], -1
                                        ; implicit-def: $sgpr10
	s_and_saveexec_b64 s[8:9], s[12:13]
; %bb.3138:
	s_mov_b32 s10, 0x7f800001
	s_xor_b64 s[4:5], exec, -1
; %bb.3139:
	s_or_b64 exec, exec, s[8:9]
	s_and_b64 s[4:5], s[4:5], exec
	s_or_saveexec_b64 s[6:7], s[6:7]
	v_mov_b32_e32 v10, s10
	s_xor_b64 exec, exec, s[6:7]
	s_cbranch_execz .LBB31_1090
.LBB31_3140:
	v_mov_b32_e32 v10, 0
	v_cmp_ne_u16_sdwa s[8:9], v16, v10 src0_sel:BYTE_0 src1_sel:DWORD
	s_andn2_b64 s[4:5], s[4:5], exec
	s_and_b64 s[8:9], s[8:9], exec
	s_or_b64 s[4:5], s[4:5], s[8:9]
	s_or_b64 exec, exec, s[6:7]
	s_and_saveexec_b64 s[6:7], s[4:5]
	s_cbranch_execnz .LBB31_1091
	s_branch .LBB31_1092
.LBB31_3141:
	s_movk_i32 s4, 0x80
	v_cmp_eq_u16_sdwa s[12:13], v12, s4 src0_sel:BYTE_0 src1_sel:DWORD
	s_mov_b64 s[4:5], -1
                                        ; implicit-def: $sgpr10
	s_and_saveexec_b64 s[8:9], s[12:13]
; %bb.3142:
	s_mov_b32 s10, 0x7f800001
	s_xor_b64 s[4:5], exec, -1
; %bb.3143:
	s_or_b64 exec, exec, s[8:9]
	s_and_b64 s[4:5], s[4:5], exec
	s_or_saveexec_b64 s[6:7], s[6:7]
	v_mov_b32_e32 v11, s10
	s_xor_b64 exec, exec, s[6:7]
	s_cbranch_execz .LBB31_1094
.LBB31_3144:
	v_mov_b32_e32 v11, 0
	v_cmp_ne_u16_sdwa s[8:9], v12, v11 src0_sel:BYTE_0 src1_sel:DWORD
	s_andn2_b64 s[4:5], s[4:5], exec
	s_and_b64 s[8:9], s[8:9], exec
	s_or_b64 s[4:5], s[4:5], s[8:9]
	s_or_b64 exec, exec, s[6:7]
	s_and_saveexec_b64 s[6:7], s[4:5]
	s_cbranch_execnz .LBB31_1095
	s_branch .LBB31_1096
.LBB31_3145:
	s_movk_i32 s4, 0x80
	v_cmp_eq_u16_sdwa s[12:13], v11, s4 src0_sel:BYTE_0 src1_sel:DWORD
	s_mov_b64 s[4:5], -1
                                        ; implicit-def: $sgpr10
	s_and_saveexec_b64 s[8:9], s[12:13]
; %bb.3146:
	s_mov_b32 s10, 0x7f800001
	s_xor_b64 s[4:5], exec, -1
; %bb.3147:
	s_or_b64 exec, exec, s[8:9]
	s_and_b64 s[4:5], s[4:5], exec
	s_or_saveexec_b64 s[6:7], s[6:7]
	v_mov_b32_e32 v10, s10
	s_xor_b64 exec, exec, s[6:7]
	s_cbranch_execz .LBB31_1098
.LBB31_3148:
	v_mov_b32_e32 v10, 0
	v_cmp_ne_u16_sdwa s[8:9], v11, v10 src0_sel:BYTE_0 src1_sel:DWORD
	s_andn2_b64 s[4:5], s[4:5], exec
	s_and_b64 s[8:9], s[8:9], exec
	s_or_b64 s[4:5], s[4:5], s[8:9]
	s_or_b64 exec, exec, s[6:7]
	s_and_saveexec_b64 s[6:7], s[4:5]
	s_cbranch_execnz .LBB31_1099
	s_branch .LBB31_1100
.LBB31_3149:
	s_movk_i32 s4, 0x80
	v_cmp_eq_u16_sdwa s[12:13], v11, s4 src0_sel:BYTE_0 src1_sel:DWORD
	s_mov_b64 s[4:5], -1
                                        ; implicit-def: $sgpr10
	s_and_saveexec_b64 s[8:9], s[12:13]
; %bb.3150:
	s_mov_b32 s10, 0x7f800001
	s_xor_b64 s[4:5], exec, -1
; %bb.3151:
	s_or_b64 exec, exec, s[8:9]
	s_and_b64 s[4:5], s[4:5], exec
	s_or_saveexec_b64 s[6:7], s[6:7]
	v_mov_b32_e32 v14, s10
	s_xor_b64 exec, exec, s[6:7]
	s_cbranch_execz .LBB31_1102
.LBB31_3152:
	v_mov_b32_e32 v14, 0
	v_cmp_ne_u16_sdwa s[8:9], v11, v14 src0_sel:BYTE_0 src1_sel:DWORD
	s_andn2_b64 s[4:5], s[4:5], exec
	s_and_b64 s[8:9], s[8:9], exec
	s_or_b64 s[4:5], s[4:5], s[8:9]
	s_or_b64 exec, exec, s[6:7]
	s_and_saveexec_b64 s[6:7], s[4:5]
	s_cbranch_execnz .LBB31_1103
	s_branch .LBB31_1104
.LBB31_3153:
	s_movk_i32 s4, 0x80
	v_cmp_eq_u16_e32 vcc, s4, v11
	s_mov_b64 s[4:5], -1
                                        ; implicit-def: $sgpr10
	s_and_saveexec_b64 s[8:9], vcc
; %bb.3154:
	s_mov_b32 s10, 0x7f800001
	s_xor_b64 s[4:5], exec, -1
; %bb.3155:
	s_or_b64 exec, exec, s[8:9]
	s_and_b64 s[4:5], s[4:5], exec
                                        ; implicit-def: $vgpr11
	s_or_saveexec_b64 s[6:7], s[6:7]
	v_mov_b32_e32 v10, s10
	s_xor_b64 exec, exec, s[6:7]
	s_cbranch_execz .LBB31_1106
.LBB31_3156:
	v_cmp_ne_u16_e32 vcc, 0, v11
	s_andn2_b64 s[4:5], s[4:5], exec
	s_and_b64 s[8:9], vcc, exec
	v_mov_b32_e32 v10, 0
	s_or_b64 s[4:5], s[4:5], s[8:9]
	s_or_b64 exec, exec, s[6:7]
	s_and_saveexec_b64 s[6:7], s[4:5]
	s_cbranch_execnz .LBB31_1107
	s_branch .LBB31_1108
.LBB31_3157:
	s_movk_i32 s4, 0x80
	v_cmp_eq_u16_e32 vcc, s4, v11
	s_mov_b64 s[4:5], -1
                                        ; implicit-def: $sgpr10
	s_and_saveexec_b64 s[8:9], vcc
; %bb.3158:
	s_mov_b32 s10, 0x7f800001
	s_xor_b64 s[4:5], exec, -1
; %bb.3159:
	s_or_b64 exec, exec, s[8:9]
	s_and_b64 s[4:5], s[4:5], exec
                                        ; implicit-def: $vgpr11
	s_or_saveexec_b64 s[6:7], s[6:7]
	v_mov_b32_e32 v14, s10
	s_xor_b64 exec, exec, s[6:7]
	s_cbranch_execz .LBB31_1110
.LBB31_3160:
	v_cmp_ne_u16_e32 vcc, 0, v11
	s_andn2_b64 s[4:5], s[4:5], exec
	s_and_b64 s[8:9], vcc, exec
	v_mov_b32_e32 v14, 0
	s_or_b64 s[4:5], s[4:5], s[8:9]
	s_or_b64 exec, exec, s[6:7]
	s_and_saveexec_b64 s[6:7], s[4:5]
	s_cbranch_execnz .LBB31_1111
	s_branch .LBB31_1112
.LBB31_3161:
	s_movk_i32 s4, 0x80
	v_cmp_eq_u16_sdwa s[12:13], v16, s4 src0_sel:BYTE_3 src1_sel:DWORD
	s_mov_b64 s[4:5], -1
                                        ; implicit-def: $sgpr10
	s_and_saveexec_b64 s[8:9], s[12:13]
; %bb.3162:
	s_mov_b32 s10, 0x7f800001
	s_xor_b64 s[4:5], exec, -1
; %bb.3163:
	s_or_b64 exec, exec, s[8:9]
	s_and_b64 s[4:5], s[4:5], exec
	s_or_saveexec_b64 s[6:7], s[6:7]
	v_mov_b32_e32 v10, s10
	s_xor_b64 exec, exec, s[6:7]
	s_cbranch_execz .LBB31_1114
.LBB31_3164:
	v_mov_b32_e32 v10, 0
	v_cmp_ne_u16_sdwa s[8:9], v16, v10 src0_sel:BYTE_3 src1_sel:DWORD
	s_andn2_b64 s[4:5], s[4:5], exec
	s_and_b64 s[8:9], s[8:9], exec
	s_or_b64 s[4:5], s[4:5], s[8:9]
	s_or_b64 exec, exec, s[6:7]
	s_and_saveexec_b64 s[6:7], s[4:5]
	s_cbranch_execnz .LBB31_1115
	s_branch .LBB31_1116
.LBB31_3165:
	s_movk_i32 s4, 0x80
	v_cmp_eq_u16_sdwa s[12:13], v12, s4 src0_sel:BYTE_3 src1_sel:DWORD
	s_mov_b64 s[4:5], -1
                                        ; implicit-def: $sgpr10
	s_and_saveexec_b64 s[8:9], s[12:13]
; %bb.3166:
	s_mov_b32 s10, 0x7f800001
	s_xor_b64 s[4:5], exec, -1
; %bb.3167:
	s_or_b64 exec, exec, s[8:9]
	s_and_b64 s[4:5], s[4:5], exec
	s_or_saveexec_b64 s[6:7], s[6:7]
	v_mov_b32_e32 v11, s10
	s_xor_b64 exec, exec, s[6:7]
	s_cbranch_execz .LBB31_1118
.LBB31_3168:
	v_mov_b32_e32 v11, 0
	v_cmp_ne_u16_sdwa s[8:9], v12, v11 src0_sel:BYTE_3 src1_sel:DWORD
	s_andn2_b64 s[4:5], s[4:5], exec
	s_and_b64 s[8:9], s[8:9], exec
	s_or_b64 s[4:5], s[4:5], s[8:9]
	s_or_b64 exec, exec, s[6:7]
	s_and_saveexec_b64 s[6:7], s[4:5]
	s_cbranch_execnz .LBB31_1119
	s_branch .LBB31_1120
.LBB31_3169:
	s_movk_i32 s4, 0x80
	v_cmp_eq_u16_sdwa s[12:13], v17, s4 src0_sel:BYTE_0 src1_sel:DWORD
	s_mov_b64 s[4:5], -1
                                        ; implicit-def: $sgpr10
	s_and_saveexec_b64 s[8:9], s[12:13]
; %bb.3170:
	s_mov_b32 s10, 0x7f800001
	s_xor_b64 s[4:5], exec, -1
; %bb.3171:
	s_or_b64 exec, exec, s[8:9]
	s_and_b64 s[4:5], s[4:5], exec
	s_or_saveexec_b64 s[6:7], s[6:7]
	v_mov_b32_e32 v10, s10
	s_xor_b64 exec, exec, s[6:7]
	s_cbranch_execz .LBB31_1122
.LBB31_3172:
	v_mov_b32_e32 v10, 0
	v_cmp_ne_u16_sdwa s[8:9], v17, v10 src0_sel:BYTE_0 src1_sel:DWORD
	s_andn2_b64 s[4:5], s[4:5], exec
	s_and_b64 s[8:9], s[8:9], exec
	s_or_b64 s[4:5], s[4:5], s[8:9]
	s_or_b64 exec, exec, s[6:7]
	s_and_saveexec_b64 s[6:7], s[4:5]
	s_cbranch_execnz .LBB31_1123
	s_branch .LBB31_1124
.LBB31_3173:
	s_movk_i32 s4, 0x80
	v_cmp_eq_u16_sdwa s[12:13], v13, s4 src0_sel:BYTE_0 src1_sel:DWORD
	s_mov_b64 s[4:5], -1
                                        ; implicit-def: $sgpr10
	s_and_saveexec_b64 s[8:9], s[12:13]
; %bb.3174:
	s_mov_b32 s10, 0x7f800001
	s_xor_b64 s[4:5], exec, -1
; %bb.3175:
	s_or_b64 exec, exec, s[8:9]
	s_and_b64 s[4:5], s[4:5], exec
	s_or_saveexec_b64 s[6:7], s[6:7]
	v_mov_b32_e32 v11, s10
	s_xor_b64 exec, exec, s[6:7]
	s_cbranch_execz .LBB31_1126
.LBB31_3176:
	v_mov_b32_e32 v11, 0
	v_cmp_ne_u16_sdwa s[8:9], v13, v11 src0_sel:BYTE_0 src1_sel:DWORD
	s_andn2_b64 s[4:5], s[4:5], exec
	s_and_b64 s[8:9], s[8:9], exec
	s_or_b64 s[4:5], s[4:5], s[8:9]
	s_or_b64 exec, exec, s[6:7]
	s_and_saveexec_b64 s[6:7], s[4:5]
	s_cbranch_execnz .LBB31_1127
	s_branch .LBB31_1128
.LBB31_3177:
	s_movk_i32 s4, 0x80
	v_cmp_eq_u16_sdwa s[12:13], v11, s4 src0_sel:BYTE_0 src1_sel:DWORD
	s_mov_b64 s[4:5], -1
                                        ; implicit-def: $sgpr10
	s_and_saveexec_b64 s[8:9], s[12:13]
; %bb.3178:
	s_mov_b32 s10, 0x7f800001
	s_xor_b64 s[4:5], exec, -1
; %bb.3179:
	s_or_b64 exec, exec, s[8:9]
	s_and_b64 s[4:5], s[4:5], exec
	s_or_saveexec_b64 s[6:7], s[6:7]
	v_mov_b32_e32 v10, s10
	s_xor_b64 exec, exec, s[6:7]
	s_cbranch_execz .LBB31_1130
.LBB31_3180:
	v_mov_b32_e32 v10, 0
	v_cmp_ne_u16_sdwa s[8:9], v11, v10 src0_sel:BYTE_0 src1_sel:DWORD
	s_andn2_b64 s[4:5], s[4:5], exec
	s_and_b64 s[8:9], s[8:9], exec
	s_or_b64 s[4:5], s[4:5], s[8:9]
	s_or_b64 exec, exec, s[6:7]
	s_and_saveexec_b64 s[6:7], s[4:5]
	s_cbranch_execnz .LBB31_1131
	s_branch .LBB31_1132
.LBB31_3181:
	s_movk_i32 s4, 0x80
	v_cmp_eq_u16_sdwa s[12:13], v11, s4 src0_sel:BYTE_0 src1_sel:DWORD
	s_mov_b64 s[4:5], -1
                                        ; implicit-def: $sgpr10
	s_and_saveexec_b64 s[8:9], s[12:13]
; %bb.3182:
	s_mov_b32 s10, 0x7f800001
	s_xor_b64 s[4:5], exec, -1
; %bb.3183:
	s_or_b64 exec, exec, s[8:9]
	s_and_b64 s[4:5], s[4:5], exec
	s_or_saveexec_b64 s[6:7], s[6:7]
	v_mov_b32_e32 v12, s10
	s_xor_b64 exec, exec, s[6:7]
	s_cbranch_execz .LBB31_1134
.LBB31_3184:
	v_mov_b32_e32 v12, 0
	v_cmp_ne_u16_sdwa s[8:9], v11, v12 src0_sel:BYTE_0 src1_sel:DWORD
	s_andn2_b64 s[4:5], s[4:5], exec
	s_and_b64 s[8:9], s[8:9], exec
	s_or_b64 s[4:5], s[4:5], s[8:9]
	s_or_b64 exec, exec, s[6:7]
	s_and_saveexec_b64 s[6:7], s[4:5]
	s_cbranch_execnz .LBB31_1135
	s_branch .LBB31_1136
.LBB31_3185:
	s_movk_i32 s4, 0x80
	v_cmp_eq_u16_e32 vcc, s4, v11
	s_mov_b64 s[4:5], -1
                                        ; implicit-def: $sgpr10
	s_and_saveexec_b64 s[8:9], vcc
; %bb.3186:
	s_mov_b32 s10, 0x7f800001
	s_xor_b64 s[4:5], exec, -1
; %bb.3187:
	s_or_b64 exec, exec, s[8:9]
	s_and_b64 s[4:5], s[4:5], exec
                                        ; implicit-def: $vgpr11
	s_or_saveexec_b64 s[6:7], s[6:7]
	v_mov_b32_e32 v10, s10
	s_xor_b64 exec, exec, s[6:7]
	s_cbranch_execz .LBB31_1138
.LBB31_3188:
	v_cmp_ne_u16_e32 vcc, 0, v11
	s_andn2_b64 s[4:5], s[4:5], exec
	s_and_b64 s[8:9], vcc, exec
	v_mov_b32_e32 v10, 0
	s_or_b64 s[4:5], s[4:5], s[8:9]
	s_or_b64 exec, exec, s[6:7]
	s_and_saveexec_b64 s[6:7], s[4:5]
	s_cbranch_execnz .LBB31_1139
	s_branch .LBB31_1140
.LBB31_3189:
	s_movk_i32 s4, 0x80
	v_cmp_eq_u16_e32 vcc, s4, v11
	s_mov_b64 s[4:5], -1
                                        ; implicit-def: $sgpr10
	s_and_saveexec_b64 s[8:9], vcc
; %bb.3190:
	s_mov_b32 s10, 0x7f800001
	s_xor_b64 s[4:5], exec, -1
; %bb.3191:
	s_or_b64 exec, exec, s[8:9]
	s_and_b64 s[4:5], s[4:5], exec
                                        ; implicit-def: $vgpr11
	s_or_saveexec_b64 s[6:7], s[6:7]
	v_mov_b32_e32 v12, s10
	s_xor_b64 exec, exec, s[6:7]
	s_cbranch_execz .LBB31_1142
.LBB31_3192:
	v_cmp_ne_u16_e32 vcc, 0, v11
	s_andn2_b64 s[4:5], s[4:5], exec
	s_and_b64 s[8:9], vcc, exec
	v_mov_b32_e32 v12, 0
	s_or_b64 s[4:5], s[4:5], s[8:9]
	s_or_b64 exec, exec, s[6:7]
	s_and_saveexec_b64 s[6:7], s[4:5]
	s_cbranch_execnz .LBB31_1143
	s_branch .LBB31_1144
.LBB31_3193:
	s_movk_i32 s4, 0x80
	v_cmp_eq_u16_sdwa s[12:13], v17, s4 src0_sel:BYTE_3 src1_sel:DWORD
	s_mov_b64 s[4:5], -1
                                        ; implicit-def: $sgpr10
	s_and_saveexec_b64 s[8:9], s[12:13]
; %bb.3194:
	s_mov_b32 s10, 0x7f800001
	s_xor_b64 s[4:5], exec, -1
; %bb.3195:
	s_or_b64 exec, exec, s[8:9]
	s_and_b64 s[4:5], s[4:5], exec
	s_or_saveexec_b64 s[6:7], s[6:7]
	v_mov_b32_e32 v10, s10
	s_xor_b64 exec, exec, s[6:7]
	s_cbranch_execz .LBB31_1146
.LBB31_3196:
	v_mov_b32_e32 v10, 0
	v_cmp_ne_u16_sdwa s[8:9], v17, v10 src0_sel:BYTE_3 src1_sel:DWORD
	s_andn2_b64 s[4:5], s[4:5], exec
	s_and_b64 s[8:9], s[8:9], exec
	s_or_b64 s[4:5], s[4:5], s[8:9]
	s_or_b64 exec, exec, s[6:7]
	s_and_saveexec_b64 s[6:7], s[4:5]
	s_cbranch_execnz .LBB31_1147
	s_branch .LBB31_1148
.LBB31_3197:
	s_movk_i32 s4, 0x80
	v_cmp_eq_u16_sdwa s[12:13], v13, s4 src0_sel:BYTE_3 src1_sel:DWORD
	s_mov_b64 s[4:5], -1
                                        ; implicit-def: $sgpr10
	s_and_saveexec_b64 s[8:9], s[12:13]
; %bb.3198:
	s_mov_b32 s10, 0x7f800001
	s_xor_b64 s[4:5], exec, -1
; %bb.3199:
	s_or_b64 exec, exec, s[8:9]
	s_and_b64 s[4:5], s[4:5], exec
	s_or_saveexec_b64 s[6:7], s[6:7]
	v_mov_b32_e32 v11, s10
	s_xor_b64 exec, exec, s[6:7]
	s_cbranch_execz .LBB31_1150
.LBB31_3200:
	v_mov_b32_e32 v11, 0
	v_cmp_ne_u16_sdwa s[8:9], v13, v11 src0_sel:BYTE_3 src1_sel:DWORD
	s_andn2_b64 s[4:5], s[4:5], exec
	s_and_b64 s[8:9], s[8:9], exec
	s_or_b64 s[4:5], s[4:5], s[8:9]
	s_or_b64 exec, exec, s[6:7]
	s_and_saveexec_b64 s[6:7], s[4:5]
	s_cbranch_execnz .LBB31_1151
	s_branch .LBB31_1152
.LBB31_3201:
	s_movk_i32 s4, 0x80
	v_cmp_eq_u16_sdwa s[12:13], v6, s4 src0_sel:BYTE_0 src1_sel:DWORD
	s_mov_b64 s[4:5], -1
                                        ; implicit-def: $sgpr10
	s_and_saveexec_b64 s[8:9], s[12:13]
; %bb.3202:
	s_mov_b32 s10, 0x7f800001
	s_xor_b64 s[4:5], exec, -1
; %bb.3203:
	s_or_b64 exec, exec, s[8:9]
	s_and_b64 s[4:5], s[4:5], exec
	s_or_saveexec_b64 s[6:7], s[6:7]
	v_mov_b32_e32 v10, s10
	s_xor_b64 exec, exec, s[6:7]
	s_cbranch_execz .LBB31_1154
.LBB31_3204:
	v_mov_b32_e32 v10, 0
	v_cmp_ne_u16_sdwa s[8:9], v6, v10 src0_sel:BYTE_0 src1_sel:DWORD
	s_andn2_b64 s[4:5], s[4:5], exec
	s_and_b64 s[8:9], s[8:9], exec
	s_or_b64 s[4:5], s[4:5], s[8:9]
	s_or_b64 exec, exec, s[6:7]
	s_and_saveexec_b64 s[6:7], s[4:5]
	s_cbranch_execnz .LBB31_1155
	s_branch .LBB31_1156
.LBB31_3205:
	s_movk_i32 s4, 0x80
	v_cmp_eq_u16_sdwa s[12:13], v2, s4 src0_sel:BYTE_0 src1_sel:DWORD
	s_mov_b64 s[4:5], -1
                                        ; implicit-def: $sgpr10
	s_and_saveexec_b64 s[8:9], s[12:13]
; %bb.3206:
	s_mov_b32 s10, 0x7f800001
	s_xor_b64 s[4:5], exec, -1
; %bb.3207:
	s_or_b64 exec, exec, s[8:9]
	s_and_b64 s[4:5], s[4:5], exec
	s_or_saveexec_b64 s[6:7], s[6:7]
	v_mov_b32_e32 v11, s10
	s_xor_b64 exec, exec, s[6:7]
	s_cbranch_execz .LBB31_1158
.LBB31_3208:
	v_mov_b32_e32 v11, 0
	v_cmp_ne_u16_sdwa s[8:9], v2, v11 src0_sel:BYTE_0 src1_sel:DWORD
	s_andn2_b64 s[4:5], s[4:5], exec
	s_and_b64 s[8:9], s[8:9], exec
	s_or_b64 s[4:5], s[4:5], s[8:9]
	s_or_b64 exec, exec, s[6:7]
	s_and_saveexec_b64 s[6:7], s[4:5]
	s_cbranch_execnz .LBB31_1159
	s_branch .LBB31_1160
.LBB31_3209:
	s_movk_i32 s4, 0x80
	v_cmp_eq_u16_sdwa s[12:13], v11, s4 src0_sel:BYTE_0 src1_sel:DWORD
	s_mov_b64 s[4:5], -1
                                        ; implicit-def: $sgpr10
	s_and_saveexec_b64 s[8:9], s[12:13]
; %bb.3210:
	s_mov_b32 s10, 0x7f800001
	s_xor_b64 s[4:5], exec, -1
; %bb.3211:
	s_or_b64 exec, exec, s[8:9]
	s_and_b64 s[4:5], s[4:5], exec
	s_or_saveexec_b64 s[6:7], s[6:7]
	v_mov_b32_e32 v10, s10
	s_xor_b64 exec, exec, s[6:7]
	s_cbranch_execz .LBB31_1162
.LBB31_3212:
	v_mov_b32_e32 v10, 0
	v_cmp_ne_u16_sdwa s[8:9], v11, v10 src0_sel:BYTE_0 src1_sel:DWORD
	s_andn2_b64 s[4:5], s[4:5], exec
	s_and_b64 s[8:9], s[8:9], exec
	s_or_b64 s[4:5], s[4:5], s[8:9]
	s_or_b64 exec, exec, s[6:7]
	s_and_saveexec_b64 s[6:7], s[4:5]
	s_cbranch_execnz .LBB31_1163
	s_branch .LBB31_1164
.LBB31_3213:
	s_movk_i32 s4, 0x80
	v_cmp_eq_u16_sdwa s[12:13], v11, s4 src0_sel:BYTE_0 src1_sel:DWORD
	s_mov_b64 s[4:5], -1
                                        ; implicit-def: $sgpr10
	s_and_saveexec_b64 s[8:9], s[12:13]
; %bb.3214:
	s_mov_b32 s10, 0x7f800001
	s_xor_b64 s[4:5], exec, -1
; %bb.3215:
	s_or_b64 exec, exec, s[8:9]
	s_and_b64 s[4:5], s[4:5], exec
	s_or_saveexec_b64 s[6:7], s[6:7]
	v_mov_b32_e32 v12, s10
	s_xor_b64 exec, exec, s[6:7]
	s_cbranch_execz .LBB31_1166
.LBB31_3216:
	v_mov_b32_e32 v12, 0
	v_cmp_ne_u16_sdwa s[8:9], v11, v12 src0_sel:BYTE_0 src1_sel:DWORD
	s_andn2_b64 s[4:5], s[4:5], exec
	s_and_b64 s[8:9], s[8:9], exec
	s_or_b64 s[4:5], s[4:5], s[8:9]
	s_or_b64 exec, exec, s[6:7]
	s_and_saveexec_b64 s[6:7], s[4:5]
	s_cbranch_execnz .LBB31_1167
	s_branch .LBB31_1168
.LBB31_3217:
	s_movk_i32 s4, 0x80
	v_cmp_eq_u16_e32 vcc, s4, v11
	s_mov_b64 s[4:5], -1
                                        ; implicit-def: $sgpr10
	s_and_saveexec_b64 s[8:9], vcc
; %bb.3218:
	s_mov_b32 s10, 0x7f800001
	s_xor_b64 s[4:5], exec, -1
; %bb.3219:
	s_or_b64 exec, exec, s[8:9]
	s_and_b64 s[4:5], s[4:5], exec
                                        ; implicit-def: $vgpr11
	s_or_saveexec_b64 s[6:7], s[6:7]
	v_mov_b32_e32 v10, s10
	s_xor_b64 exec, exec, s[6:7]
	s_cbranch_execz .LBB31_1170
.LBB31_3220:
	v_cmp_ne_u16_e32 vcc, 0, v11
	s_andn2_b64 s[4:5], s[4:5], exec
	s_and_b64 s[8:9], vcc, exec
	v_mov_b32_e32 v10, 0
	s_or_b64 s[4:5], s[4:5], s[8:9]
	s_or_b64 exec, exec, s[6:7]
	s_and_saveexec_b64 s[6:7], s[4:5]
	s_cbranch_execnz .LBB31_1171
	s_branch .LBB31_1172
.LBB31_3221:
	s_movk_i32 s4, 0x80
	v_cmp_eq_u16_e32 vcc, s4, v11
	s_mov_b64 s[4:5], -1
                                        ; implicit-def: $sgpr10
	s_and_saveexec_b64 s[8:9], vcc
; %bb.3222:
	s_mov_b32 s10, 0x7f800001
	s_xor_b64 s[4:5], exec, -1
; %bb.3223:
	s_or_b64 exec, exec, s[8:9]
	s_and_b64 s[4:5], s[4:5], exec
                                        ; implicit-def: $vgpr11
	s_or_saveexec_b64 s[6:7], s[6:7]
	v_mov_b32_e32 v12, s10
	s_xor_b64 exec, exec, s[6:7]
	s_cbranch_execz .LBB31_1174
.LBB31_3224:
	v_cmp_ne_u16_e32 vcc, 0, v11
	s_andn2_b64 s[4:5], s[4:5], exec
	s_and_b64 s[8:9], vcc, exec
	v_mov_b32_e32 v12, 0
	s_or_b64 s[4:5], s[4:5], s[8:9]
	s_or_b64 exec, exec, s[6:7]
	s_and_saveexec_b64 s[6:7], s[4:5]
	s_cbranch_execnz .LBB31_1175
	s_branch .LBB31_1176
.LBB31_3225:
	s_movk_i32 s4, 0x80
	v_cmp_eq_u16_sdwa s[12:13], v6, s4 src0_sel:BYTE_3 src1_sel:DWORD
	s_mov_b64 s[4:5], -1
                                        ; implicit-def: $sgpr10
	s_and_saveexec_b64 s[8:9], s[12:13]
; %bb.3226:
	s_mov_b32 s10, 0x7f800001
	s_xor_b64 s[4:5], exec, -1
; %bb.3227:
	s_or_b64 exec, exec, s[8:9]
	s_and_b64 s[4:5], s[4:5], exec
	s_or_saveexec_b64 s[6:7], s[6:7]
	v_mov_b32_e32 v10, s10
	s_xor_b64 exec, exec, s[6:7]
	s_cbranch_execz .LBB31_1178
.LBB31_3228:
	v_mov_b32_e32 v10, 0
	v_cmp_ne_u16_sdwa s[8:9], v6, v10 src0_sel:BYTE_3 src1_sel:DWORD
	s_andn2_b64 s[4:5], s[4:5], exec
	s_and_b64 s[8:9], s[8:9], exec
	s_or_b64 s[4:5], s[4:5], s[8:9]
	s_or_b64 exec, exec, s[6:7]
	s_and_saveexec_b64 s[6:7], s[4:5]
	s_cbranch_execnz .LBB31_1179
	s_branch .LBB31_1180
.LBB31_3229:
	s_movk_i32 s4, 0x80
	v_cmp_eq_u16_sdwa s[12:13], v2, s4 src0_sel:BYTE_3 src1_sel:DWORD
	s_mov_b64 s[4:5], -1
                                        ; implicit-def: $sgpr10
	s_and_saveexec_b64 s[8:9], s[12:13]
; %bb.3230:
	s_mov_b32 s10, 0x7f800001
	s_xor_b64 s[4:5], exec, -1
; %bb.3231:
	s_or_b64 exec, exec, s[8:9]
	s_and_b64 s[4:5], s[4:5], exec
	s_or_saveexec_b64 s[6:7], s[6:7]
	v_mov_b32_e32 v6, s10
	s_xor_b64 exec, exec, s[6:7]
	s_cbranch_execz .LBB31_1182
.LBB31_3232:
	v_mov_b32_e32 v6, 0
	v_cmp_ne_u16_sdwa s[8:9], v2, v6 src0_sel:BYTE_3 src1_sel:DWORD
	s_andn2_b64 s[4:5], s[4:5], exec
	s_and_b64 s[8:9], s[8:9], exec
	s_or_b64 s[4:5], s[4:5], s[8:9]
	s_or_b64 exec, exec, s[6:7]
	s_and_saveexec_b64 s[6:7], s[4:5]
	s_cbranch_execnz .LBB31_1183
	s_branch .LBB31_1184
.LBB31_3233:
	s_movk_i32 s4, 0x80
	v_cmp_eq_u16_sdwa s[12:13], v7, s4 src0_sel:BYTE_0 src1_sel:DWORD
	s_mov_b64 s[4:5], -1
                                        ; implicit-def: $sgpr10
	s_and_saveexec_b64 s[8:9], s[12:13]
; %bb.3234:
	s_mov_b32 s10, 0x7f800001
	s_xor_b64 s[4:5], exec, -1
; %bb.3235:
	s_or_b64 exec, exec, s[8:9]
	s_and_b64 s[4:5], s[4:5], exec
	s_or_saveexec_b64 s[6:7], s[6:7]
	v_mov_b32_e32 v2, s10
	s_xor_b64 exec, exec, s[6:7]
	s_cbranch_execz .LBB31_1186
.LBB31_3236:
	v_mov_b32_e32 v2, 0
	v_cmp_ne_u16_sdwa s[8:9], v7, v2 src0_sel:BYTE_0 src1_sel:DWORD
	s_andn2_b64 s[4:5], s[4:5], exec
	s_and_b64 s[8:9], s[8:9], exec
	s_or_b64 s[4:5], s[4:5], s[8:9]
	s_or_b64 exec, exec, s[6:7]
	s_and_saveexec_b64 s[6:7], s[4:5]
	s_cbranch_execnz .LBB31_1187
	s_branch .LBB31_1188
.LBB31_3237:
	s_movk_i32 s4, 0x80
	v_cmp_eq_u16_sdwa s[12:13], v3, s4 src0_sel:BYTE_0 src1_sel:DWORD
	s_mov_b64 s[4:5], -1
                                        ; implicit-def: $sgpr10
	s_and_saveexec_b64 s[8:9], s[12:13]
; %bb.3238:
	s_mov_b32 s10, 0x7f800001
	s_xor_b64 s[4:5], exec, -1
; %bb.3239:
	s_or_b64 exec, exec, s[8:9]
	s_and_b64 s[4:5], s[4:5], exec
	s_or_saveexec_b64 s[6:7], s[6:7]
	v_mov_b32_e32 v6, s10
	s_xor_b64 exec, exec, s[6:7]
	s_cbranch_execz .LBB31_1190
.LBB31_3240:
	v_mov_b32_e32 v6, 0
	v_cmp_ne_u16_sdwa s[8:9], v3, v6 src0_sel:BYTE_0 src1_sel:DWORD
	s_andn2_b64 s[4:5], s[4:5], exec
	s_and_b64 s[8:9], s[8:9], exec
	s_or_b64 s[4:5], s[4:5], s[8:9]
	s_or_b64 exec, exec, s[6:7]
	s_and_saveexec_b64 s[6:7], s[4:5]
	s_cbranch_execnz .LBB31_1191
	s_branch .LBB31_1192
.LBB31_3241:
	s_movk_i32 s4, 0x80
	v_cmp_eq_u16_sdwa s[12:13], v6, s4 src0_sel:BYTE_0 src1_sel:DWORD
	s_mov_b64 s[4:5], -1
                                        ; implicit-def: $sgpr10
	s_and_saveexec_b64 s[8:9], s[12:13]
; %bb.3242:
	s_mov_b32 s10, 0x7f800001
	s_xor_b64 s[4:5], exec, -1
; %bb.3243:
	s_or_b64 exec, exec, s[8:9]
	s_and_b64 s[4:5], s[4:5], exec
	s_or_saveexec_b64 s[6:7], s[6:7]
	v_mov_b32_e32 v2, s10
	s_xor_b64 exec, exec, s[6:7]
	s_cbranch_execz .LBB31_1194
.LBB31_3244:
	v_mov_b32_e32 v2, 0
	v_cmp_ne_u16_sdwa s[8:9], v6, v2 src0_sel:BYTE_0 src1_sel:DWORD
	s_andn2_b64 s[4:5], s[4:5], exec
	s_and_b64 s[8:9], s[8:9], exec
	s_or_b64 s[4:5], s[4:5], s[8:9]
	s_or_b64 exec, exec, s[6:7]
	s_and_saveexec_b64 s[6:7], s[4:5]
	s_cbranch_execnz .LBB31_1195
	s_branch .LBB31_1196
.LBB31_3245:
	s_movk_i32 s4, 0x80
	v_cmp_eq_u16_sdwa s[12:13], v6, s4 src0_sel:BYTE_0 src1_sel:DWORD
	s_mov_b64 s[4:5], -1
                                        ; implicit-def: $sgpr10
	s_and_saveexec_b64 s[8:9], s[12:13]
; %bb.3246:
	s_mov_b32 s10, 0x7f800001
	s_xor_b64 s[4:5], exec, -1
; %bb.3247:
	s_or_b64 exec, exec, s[8:9]
	s_and_b64 s[4:5], s[4:5], exec
	s_or_saveexec_b64 s[6:7], s[6:7]
	v_mov_b32_e32 v10, s10
	s_xor_b64 exec, exec, s[6:7]
	s_cbranch_execz .LBB31_1198
.LBB31_3248:
	v_mov_b32_e32 v10, 0
	v_cmp_ne_u16_sdwa s[8:9], v6, v10 src0_sel:BYTE_0 src1_sel:DWORD
	s_andn2_b64 s[4:5], s[4:5], exec
	s_and_b64 s[8:9], s[8:9], exec
	s_or_b64 s[4:5], s[4:5], s[8:9]
	s_or_b64 exec, exec, s[6:7]
	s_and_saveexec_b64 s[6:7], s[4:5]
	s_cbranch_execnz .LBB31_1199
	s_branch .LBB31_1200
.LBB31_3249:
	s_movk_i32 s4, 0x80
	v_cmp_eq_u16_e32 vcc, s4, v6
	s_mov_b64 s[4:5], -1
                                        ; implicit-def: $sgpr10
	s_and_saveexec_b64 s[8:9], vcc
; %bb.3250:
	s_mov_b32 s10, 0x7f800001
	s_xor_b64 s[4:5], exec, -1
; %bb.3251:
	s_or_b64 exec, exec, s[8:9]
	s_and_b64 s[4:5], s[4:5], exec
                                        ; implicit-def: $vgpr6
	s_or_saveexec_b64 s[6:7], s[6:7]
	v_mov_b32_e32 v2, s10
	s_xor_b64 exec, exec, s[6:7]
	s_cbranch_execz .LBB31_1202
.LBB31_3252:
	v_cmp_ne_u16_e32 vcc, 0, v6
	s_andn2_b64 s[4:5], s[4:5], exec
	s_and_b64 s[8:9], vcc, exec
	v_mov_b32_e32 v2, 0
	s_or_b64 s[4:5], s[4:5], s[8:9]
	s_or_b64 exec, exec, s[6:7]
	s_and_saveexec_b64 s[6:7], s[4:5]
	s_cbranch_execnz .LBB31_1203
	s_branch .LBB31_1204
.LBB31_3253:
	s_movk_i32 s4, 0x80
	v_cmp_eq_u16_e32 vcc, s4, v6
	s_mov_b64 s[4:5], -1
                                        ; implicit-def: $sgpr10
	s_and_saveexec_b64 s[8:9], vcc
; %bb.3254:
	s_mov_b32 s10, 0x7f800001
	s_xor_b64 s[4:5], exec, -1
; %bb.3255:
	s_or_b64 exec, exec, s[8:9]
	s_and_b64 s[4:5], s[4:5], exec
                                        ; implicit-def: $vgpr6
	s_or_saveexec_b64 s[6:7], s[6:7]
	v_mov_b32_e32 v10, s10
	s_xor_b64 exec, exec, s[6:7]
	s_cbranch_execz .LBB31_1206
.LBB31_3256:
	v_cmp_ne_u16_e32 vcc, 0, v6
	s_andn2_b64 s[4:5], s[4:5], exec
	s_and_b64 s[8:9], vcc, exec
	v_mov_b32_e32 v10, 0
	s_or_b64 s[4:5], s[4:5], s[8:9]
	s_or_b64 exec, exec, s[6:7]
	s_and_saveexec_b64 s[6:7], s[4:5]
	s_cbranch_execnz .LBB31_1207
	s_branch .LBB31_1208
.LBB31_3257:
	s_movk_i32 s4, 0x80
	v_cmp_eq_u16_sdwa s[12:13], v7, s4 src0_sel:BYTE_3 src1_sel:DWORD
	s_mov_b64 s[4:5], -1
                                        ; implicit-def: $sgpr10
	s_and_saveexec_b64 s[8:9], s[12:13]
; %bb.3258:
	s_mov_b32 s10, 0x7f800001
	s_xor_b64 s[4:5], exec, -1
; %bb.3259:
	s_or_b64 exec, exec, s[8:9]
	s_and_b64 s[4:5], s[4:5], exec
	s_or_saveexec_b64 s[6:7], s[6:7]
	v_mov_b32_e32 v2, s10
	s_xor_b64 exec, exec, s[6:7]
	s_cbranch_execz .LBB31_1210
.LBB31_3260:
	v_mov_b32_e32 v2, 0
	v_cmp_ne_u16_sdwa s[8:9], v7, v2 src0_sel:BYTE_3 src1_sel:DWORD
	s_andn2_b64 s[4:5], s[4:5], exec
	s_and_b64 s[8:9], s[8:9], exec
	s_or_b64 s[4:5], s[4:5], s[8:9]
	s_or_b64 exec, exec, s[6:7]
	s_and_saveexec_b64 s[6:7], s[4:5]
	s_cbranch_execnz .LBB31_1211
	s_branch .LBB31_1212
.LBB31_3261:
	s_movk_i32 s4, 0x80
	v_cmp_eq_u16_sdwa s[12:13], v3, s4 src0_sel:BYTE_3 src1_sel:DWORD
	s_mov_b64 s[4:5], -1
                                        ; implicit-def: $sgpr10
	s_and_saveexec_b64 s[8:9], s[12:13]
; %bb.3262:
	s_mov_b32 s10, 0x7f800001
	s_xor_b64 s[4:5], exec, -1
; %bb.3263:
	s_or_b64 exec, exec, s[8:9]
	s_and_b64 s[4:5], s[4:5], exec
	s_or_saveexec_b64 s[6:7], s[6:7]
	v_mov_b32_e32 v6, s10
	s_xor_b64 exec, exec, s[6:7]
	s_cbranch_execz .LBB31_1214
.LBB31_3264:
	v_mov_b32_e32 v6, 0
	v_cmp_ne_u16_sdwa s[8:9], v3, v6 src0_sel:BYTE_3 src1_sel:DWORD
	s_andn2_b64 s[4:5], s[4:5], exec
	s_and_b64 s[8:9], s[8:9], exec
	s_or_b64 s[4:5], s[4:5], s[8:9]
	s_or_b64 exec, exec, s[6:7]
	s_and_saveexec_b64 s[6:7], s[4:5]
	s_cbranch_execnz .LBB31_1215
	s_branch .LBB31_1216
.LBB31_3265:
	s_movk_i32 s4, 0x80
	v_cmp_eq_u16_sdwa s[12:13], v8, s4 src0_sel:BYTE_0 src1_sel:DWORD
	s_mov_b64 s[4:5], -1
                                        ; implicit-def: $sgpr10
	s_and_saveexec_b64 s[8:9], s[12:13]
; %bb.3266:
	s_mov_b32 s10, 0x7f800001
	s_xor_b64 s[4:5], exec, -1
; %bb.3267:
	s_or_b64 exec, exec, s[8:9]
	s_and_b64 s[4:5], s[4:5], exec
	s_or_saveexec_b64 s[6:7], s[6:7]
	v_mov_b32_e32 v2, s10
	s_xor_b64 exec, exec, s[6:7]
	s_cbranch_execz .LBB31_1218
.LBB31_3268:
	v_mov_b32_e32 v2, 0
	v_cmp_ne_u16_sdwa s[8:9], v8, v2 src0_sel:BYTE_0 src1_sel:DWORD
	s_andn2_b64 s[4:5], s[4:5], exec
	s_and_b64 s[8:9], s[8:9], exec
	s_or_b64 s[4:5], s[4:5], s[8:9]
	s_or_b64 exec, exec, s[6:7]
	s_and_saveexec_b64 s[6:7], s[4:5]
	s_cbranch_execnz .LBB31_1219
	s_branch .LBB31_1220
.LBB31_3269:
	s_movk_i32 s4, 0x80
	v_cmp_eq_u16_sdwa s[12:13], v4, s4 src0_sel:BYTE_0 src1_sel:DWORD
	s_mov_b64 s[4:5], -1
                                        ; implicit-def: $sgpr10
	s_and_saveexec_b64 s[8:9], s[12:13]
; %bb.3270:
	s_mov_b32 s10, 0x7f800001
	s_xor_b64 s[4:5], exec, -1
; %bb.3271:
	s_or_b64 exec, exec, s[8:9]
	s_and_b64 s[4:5], s[4:5], exec
	s_or_saveexec_b64 s[6:7], s[6:7]
	v_mov_b32_e32 v3, s10
	s_xor_b64 exec, exec, s[6:7]
	s_cbranch_execz .LBB31_1222
.LBB31_3272:
	v_mov_b32_e32 v3, 0
	v_cmp_ne_u16_sdwa s[8:9], v4, v3 src0_sel:BYTE_0 src1_sel:DWORD
	s_andn2_b64 s[4:5], s[4:5], exec
	s_and_b64 s[8:9], s[8:9], exec
	s_or_b64 s[4:5], s[4:5], s[8:9]
	s_or_b64 exec, exec, s[6:7]
	s_and_saveexec_b64 s[6:7], s[4:5]
	s_cbranch_execnz .LBB31_1223
	s_branch .LBB31_1224
.LBB31_3273:
	s_movk_i32 s4, 0x80
	v_cmp_eq_u16_sdwa s[12:13], v3, s4 src0_sel:BYTE_0 src1_sel:DWORD
	s_mov_b64 s[4:5], -1
                                        ; implicit-def: $sgpr10
	s_and_saveexec_b64 s[8:9], s[12:13]
; %bb.3274:
	s_mov_b32 s10, 0x7f800001
	s_xor_b64 s[4:5], exec, -1
; %bb.3275:
	s_or_b64 exec, exec, s[8:9]
	s_and_b64 s[4:5], s[4:5], exec
	s_or_saveexec_b64 s[6:7], s[6:7]
	v_mov_b32_e32 v2, s10
	s_xor_b64 exec, exec, s[6:7]
	s_cbranch_execz .LBB31_1226
.LBB31_3276:
	v_mov_b32_e32 v2, 0
	v_cmp_ne_u16_sdwa s[8:9], v3, v2 src0_sel:BYTE_0 src1_sel:DWORD
	s_andn2_b64 s[4:5], s[4:5], exec
	s_and_b64 s[8:9], s[8:9], exec
	s_or_b64 s[4:5], s[4:5], s[8:9]
	s_or_b64 exec, exec, s[6:7]
	s_and_saveexec_b64 s[6:7], s[4:5]
	s_cbranch_execnz .LBB31_1227
	s_branch .LBB31_1228
.LBB31_3277:
	s_movk_i32 s4, 0x80
	v_cmp_eq_u16_sdwa s[12:13], v3, s4 src0_sel:BYTE_0 src1_sel:DWORD
	s_mov_b64 s[4:5], -1
                                        ; implicit-def: $sgpr10
	s_and_saveexec_b64 s[8:9], s[12:13]
; %bb.3278:
	s_mov_b32 s10, 0x7f800001
	s_xor_b64 s[4:5], exec, -1
; %bb.3279:
	s_or_b64 exec, exec, s[8:9]
	s_and_b64 s[4:5], s[4:5], exec
	s_or_saveexec_b64 s[6:7], s[6:7]
	v_mov_b32_e32 v6, s10
	s_xor_b64 exec, exec, s[6:7]
	s_cbranch_execz .LBB31_1230
.LBB31_3280:
	v_mov_b32_e32 v6, 0
	v_cmp_ne_u16_sdwa s[8:9], v3, v6 src0_sel:BYTE_0 src1_sel:DWORD
	s_andn2_b64 s[4:5], s[4:5], exec
	s_and_b64 s[8:9], s[8:9], exec
	s_or_b64 s[4:5], s[4:5], s[8:9]
	s_or_b64 exec, exec, s[6:7]
	s_and_saveexec_b64 s[6:7], s[4:5]
	s_cbranch_execnz .LBB31_1231
	s_branch .LBB31_1232
.LBB31_3281:
	s_movk_i32 s4, 0x80
	v_cmp_eq_u16_e32 vcc, s4, v3
	s_mov_b64 s[4:5], -1
                                        ; implicit-def: $sgpr10
	s_and_saveexec_b64 s[8:9], vcc
; %bb.3282:
	s_mov_b32 s10, 0x7f800001
	s_xor_b64 s[4:5], exec, -1
; %bb.3283:
	s_or_b64 exec, exec, s[8:9]
	s_and_b64 s[4:5], s[4:5], exec
                                        ; implicit-def: $vgpr3
	s_or_saveexec_b64 s[6:7], s[6:7]
	v_mov_b32_e32 v2, s10
	s_xor_b64 exec, exec, s[6:7]
	s_cbranch_execz .LBB31_1234
.LBB31_3284:
	v_cmp_ne_u16_e32 vcc, 0, v3
	s_andn2_b64 s[4:5], s[4:5], exec
	s_and_b64 s[8:9], vcc, exec
	v_mov_b32_e32 v2, 0
	s_or_b64 s[4:5], s[4:5], s[8:9]
	s_or_b64 exec, exec, s[6:7]
	s_and_saveexec_b64 s[6:7], s[4:5]
	s_cbranch_execnz .LBB31_1235
	s_branch .LBB31_1236
.LBB31_3285:
	s_movk_i32 s4, 0x80
	v_cmp_eq_u16_e32 vcc, s4, v3
	s_mov_b64 s[4:5], -1
                                        ; implicit-def: $sgpr10
	s_and_saveexec_b64 s[8:9], vcc
; %bb.3286:
	s_mov_b32 s10, 0x7f800001
	s_xor_b64 s[4:5], exec, -1
; %bb.3287:
	s_or_b64 exec, exec, s[8:9]
	s_and_b64 s[4:5], s[4:5], exec
                                        ; implicit-def: $vgpr3
	s_or_saveexec_b64 s[6:7], s[6:7]
	v_mov_b32_e32 v6, s10
	s_xor_b64 exec, exec, s[6:7]
	s_cbranch_execz .LBB31_1238
.LBB31_3288:
	v_cmp_ne_u16_e32 vcc, 0, v3
	s_andn2_b64 s[4:5], s[4:5], exec
	s_and_b64 s[8:9], vcc, exec
	v_mov_b32_e32 v6, 0
	s_or_b64 s[4:5], s[4:5], s[8:9]
	s_or_b64 exec, exec, s[6:7]
	s_and_saveexec_b64 s[6:7], s[4:5]
	s_cbranch_execnz .LBB31_1239
	s_branch .LBB31_1240
.LBB31_3289:
	s_movk_i32 s4, 0x80
	v_cmp_eq_u16_sdwa s[12:13], v8, s4 src0_sel:BYTE_3 src1_sel:DWORD
	s_mov_b64 s[4:5], -1
                                        ; implicit-def: $sgpr10
	s_and_saveexec_b64 s[8:9], s[12:13]
; %bb.3290:
	s_mov_b32 s10, 0x7f800001
	s_xor_b64 s[4:5], exec, -1
; %bb.3291:
	s_or_b64 exec, exec, s[8:9]
	s_and_b64 s[4:5], s[4:5], exec
	s_or_saveexec_b64 s[6:7], s[6:7]
	v_mov_b32_e32 v2, s10
	s_xor_b64 exec, exec, s[6:7]
	s_cbranch_execz .LBB31_1242
.LBB31_3292:
	v_mov_b32_e32 v2, 0
	v_cmp_ne_u16_sdwa s[8:9], v8, v2 src0_sel:BYTE_3 src1_sel:DWORD
	s_andn2_b64 s[4:5], s[4:5], exec
	s_and_b64 s[8:9], s[8:9], exec
	s_or_b64 s[4:5], s[4:5], s[8:9]
	s_or_b64 exec, exec, s[6:7]
	s_and_saveexec_b64 s[6:7], s[4:5]
	s_cbranch_execnz .LBB31_1243
	s_branch .LBB31_1244
.LBB31_3293:
	s_movk_i32 s4, 0x80
	v_cmp_eq_u16_sdwa s[12:13], v4, s4 src0_sel:BYTE_3 src1_sel:DWORD
	s_mov_b64 s[4:5], -1
                                        ; implicit-def: $sgpr10
	s_and_saveexec_b64 s[8:9], s[12:13]
; %bb.3294:
	s_mov_b32 s10, 0x7f800001
	s_xor_b64 s[4:5], exec, -1
; %bb.3295:
	s_or_b64 exec, exec, s[8:9]
	s_and_b64 s[4:5], s[4:5], exec
	s_or_saveexec_b64 s[6:7], s[6:7]
	v_mov_b32_e32 v3, s10
	s_xor_b64 exec, exec, s[6:7]
	s_cbranch_execz .LBB31_1246
.LBB31_3296:
	v_mov_b32_e32 v3, 0
	v_cmp_ne_u16_sdwa s[8:9], v4, v3 src0_sel:BYTE_3 src1_sel:DWORD
	s_andn2_b64 s[4:5], s[4:5], exec
	s_and_b64 s[8:9], s[8:9], exec
	s_or_b64 s[4:5], s[4:5], s[8:9]
	s_or_b64 exec, exec, s[6:7]
	s_and_saveexec_b64 s[6:7], s[4:5]
	s_cbranch_execnz .LBB31_1247
	s_branch .LBB31_1248
.LBB31_3297:
	s_movk_i32 s4, 0x80
	v_cmp_eq_u16_sdwa s[12:13], v9, s4 src0_sel:BYTE_0 src1_sel:DWORD
	s_mov_b64 s[4:5], -1
                                        ; implicit-def: $sgpr10
	s_and_saveexec_b64 s[8:9], s[12:13]
; %bb.3298:
	s_mov_b32 s10, 0x7f800001
	s_xor_b64 s[4:5], exec, -1
; %bb.3299:
	s_or_b64 exec, exec, s[8:9]
	s_and_b64 s[4:5], s[4:5], exec
	s_or_saveexec_b64 s[6:7], s[6:7]
	v_mov_b32_e32 v2, s10
	s_xor_b64 exec, exec, s[6:7]
	s_cbranch_execz .LBB31_1250
.LBB31_3300:
	v_mov_b32_e32 v2, 0
	v_cmp_ne_u16_sdwa s[8:9], v9, v2 src0_sel:BYTE_0 src1_sel:DWORD
	s_andn2_b64 s[4:5], s[4:5], exec
	s_and_b64 s[8:9], s[8:9], exec
	s_or_b64 s[4:5], s[4:5], s[8:9]
	s_or_b64 exec, exec, s[6:7]
	s_and_saveexec_b64 s[6:7], s[4:5]
	s_cbranch_execnz .LBB31_1251
	s_branch .LBB31_1252
.LBB31_3301:
	s_movk_i32 s4, 0x80
	v_cmp_eq_u16_sdwa s[12:13], v5, s4 src0_sel:BYTE_0 src1_sel:DWORD
	s_mov_b64 s[4:5], -1
                                        ; implicit-def: $sgpr10
	s_and_saveexec_b64 s[8:9], s[12:13]
; %bb.3302:
	s_mov_b32 s10, 0x7f800001
	s_xor_b64 s[4:5], exec, -1
; %bb.3303:
	s_or_b64 exec, exec, s[8:9]
	s_and_b64 s[4:5], s[4:5], exec
	s_or_saveexec_b64 s[6:7], s[6:7]
	v_mov_b32_e32 v3, s10
	s_xor_b64 exec, exec, s[6:7]
	s_cbranch_execz .LBB31_1254
.LBB31_3304:
	v_mov_b32_e32 v3, 0
	v_cmp_ne_u16_sdwa s[8:9], v5, v3 src0_sel:BYTE_0 src1_sel:DWORD
	s_andn2_b64 s[4:5], s[4:5], exec
	s_and_b64 s[8:9], s[8:9], exec
	s_or_b64 s[4:5], s[4:5], s[8:9]
	s_or_b64 exec, exec, s[6:7]
	s_and_saveexec_b64 s[6:7], s[4:5]
	s_cbranch_execnz .LBB31_1255
	s_branch .LBB31_1256
.LBB31_3305:
	s_movk_i32 s4, 0x80
	v_cmp_eq_u16_sdwa s[12:13], v3, s4 src0_sel:BYTE_0 src1_sel:DWORD
	s_mov_b64 s[4:5], -1
                                        ; implicit-def: $sgpr10
	s_and_saveexec_b64 s[8:9], s[12:13]
; %bb.3306:
	s_mov_b32 s10, 0x7f800001
	s_xor_b64 s[4:5], exec, -1
; %bb.3307:
	s_or_b64 exec, exec, s[8:9]
	s_and_b64 s[4:5], s[4:5], exec
	s_or_saveexec_b64 s[6:7], s[6:7]
	v_mov_b32_e32 v2, s10
	s_xor_b64 exec, exec, s[6:7]
	s_cbranch_execz .LBB31_1258
.LBB31_3308:
	v_mov_b32_e32 v2, 0
	v_cmp_ne_u16_sdwa s[8:9], v3, v2 src0_sel:BYTE_0 src1_sel:DWORD
	s_andn2_b64 s[4:5], s[4:5], exec
	s_and_b64 s[8:9], s[8:9], exec
	s_or_b64 s[4:5], s[4:5], s[8:9]
	s_or_b64 exec, exec, s[6:7]
	s_and_saveexec_b64 s[6:7], s[4:5]
	s_cbranch_execnz .LBB31_1259
	s_branch .LBB31_1260
.LBB31_3309:
	s_movk_i32 s4, 0x80
	v_cmp_eq_u16_sdwa s[12:13], v3, s4 src0_sel:BYTE_0 src1_sel:DWORD
	s_mov_b64 s[4:5], -1
                                        ; implicit-def: $sgpr10
	s_and_saveexec_b64 s[8:9], s[12:13]
; %bb.3310:
	s_mov_b32 s10, 0x7f800001
	s_xor_b64 s[4:5], exec, -1
; %bb.3311:
	s_or_b64 exec, exec, s[8:9]
	s_and_b64 s[4:5], s[4:5], exec
	s_or_saveexec_b64 s[6:7], s[6:7]
	v_mov_b32_e32 v4, s10
	s_xor_b64 exec, exec, s[6:7]
	s_cbranch_execz .LBB31_1262
.LBB31_3312:
	v_mov_b32_e32 v4, 0
	v_cmp_ne_u16_sdwa s[8:9], v3, v4 src0_sel:BYTE_0 src1_sel:DWORD
	s_andn2_b64 s[4:5], s[4:5], exec
	s_and_b64 s[8:9], s[8:9], exec
	s_or_b64 s[4:5], s[4:5], s[8:9]
	s_or_b64 exec, exec, s[6:7]
	s_and_saveexec_b64 s[6:7], s[4:5]
	s_cbranch_execnz .LBB31_1263
	s_branch .LBB31_1264
.LBB31_3313:
	s_movk_i32 s4, 0x80
	v_cmp_eq_u16_e32 vcc, s4, v3
	s_mov_b64 s[4:5], -1
                                        ; implicit-def: $sgpr10
	s_and_saveexec_b64 s[8:9], vcc
; %bb.3314:
	s_mov_b32 s10, 0x7f800001
	s_xor_b64 s[4:5], exec, -1
; %bb.3315:
	s_or_b64 exec, exec, s[8:9]
	s_and_b64 s[4:5], s[4:5], exec
                                        ; implicit-def: $vgpr3
	s_or_saveexec_b64 s[6:7], s[6:7]
	v_mov_b32_e32 v2, s10
	s_xor_b64 exec, exec, s[6:7]
	s_cbranch_execz .LBB31_1266
.LBB31_3316:
	v_cmp_ne_u16_e32 vcc, 0, v3
	s_andn2_b64 s[4:5], s[4:5], exec
	s_and_b64 s[8:9], vcc, exec
	v_mov_b32_e32 v2, 0
	s_or_b64 s[4:5], s[4:5], s[8:9]
	s_or_b64 exec, exec, s[6:7]
	s_and_saveexec_b64 s[6:7], s[4:5]
	s_cbranch_execnz .LBB31_1267
	s_branch .LBB31_1268
.LBB31_3317:
	s_movk_i32 s4, 0x80
	v_cmp_eq_u16_e32 vcc, s4, v3
	s_mov_b64 s[4:5], -1
                                        ; implicit-def: $sgpr10
	s_and_saveexec_b64 s[8:9], vcc
; %bb.3318:
	s_mov_b32 s10, 0x7f800001
	s_xor_b64 s[4:5], exec, -1
; %bb.3319:
	s_or_b64 exec, exec, s[8:9]
	s_and_b64 s[4:5], s[4:5], exec
                                        ; implicit-def: $vgpr3
	s_or_saveexec_b64 s[6:7], s[6:7]
	v_mov_b32_e32 v4, s10
	s_xor_b64 exec, exec, s[6:7]
	s_cbranch_execz .LBB31_1270
.LBB31_3320:
	v_cmp_ne_u16_e32 vcc, 0, v3
	s_andn2_b64 s[4:5], s[4:5], exec
	s_and_b64 s[8:9], vcc, exec
	v_mov_b32_e32 v4, 0
	s_or_b64 s[4:5], s[4:5], s[8:9]
	s_or_b64 exec, exec, s[6:7]
	s_and_saveexec_b64 s[6:7], s[4:5]
	s_cbranch_execnz .LBB31_1271
	s_branch .LBB31_1272
.LBB31_3321:
	s_movk_i32 s4, 0x80
	v_cmp_eq_u16_sdwa s[12:13], v9, s4 src0_sel:BYTE_3 src1_sel:DWORD
	s_mov_b64 s[4:5], -1
                                        ; implicit-def: $sgpr10
	s_and_saveexec_b64 s[8:9], s[12:13]
; %bb.3322:
	s_mov_b32 s10, 0x7f800001
	s_xor_b64 s[4:5], exec, -1
; %bb.3323:
	s_or_b64 exec, exec, s[8:9]
	s_and_b64 s[4:5], s[4:5], exec
	s_or_saveexec_b64 s[6:7], s[6:7]
	v_mov_b32_e32 v2, s10
	s_xor_b64 exec, exec, s[6:7]
	s_cbranch_execz .LBB31_1274
.LBB31_3324:
	v_mov_b32_e32 v2, 0
	v_cmp_ne_u16_sdwa s[8:9], v9, v2 src0_sel:BYTE_3 src1_sel:DWORD
	s_andn2_b64 s[4:5], s[4:5], exec
	s_and_b64 s[8:9], s[8:9], exec
	s_or_b64 s[4:5], s[4:5], s[8:9]
	s_or_b64 exec, exec, s[6:7]
	s_and_saveexec_b64 s[6:7], s[4:5]
	s_cbranch_execnz .LBB31_1275
	s_branch .LBB31_1276
.LBB31_3325:
	s_movk_i32 s4, 0x80
	v_cmp_eq_u16_sdwa s[12:13], v5, s4 src0_sel:BYTE_3 src1_sel:DWORD
	s_mov_b64 s[4:5], -1
                                        ; implicit-def: $sgpr10
	s_and_saveexec_b64 s[8:9], s[12:13]
; %bb.3326:
	s_mov_b32 s10, 0x7f800001
	s_xor_b64 s[4:5], exec, -1
; %bb.3327:
	s_or_b64 exec, exec, s[8:9]
	s_and_b64 s[4:5], s[4:5], exec
	s_or_saveexec_b64 s[6:7], s[6:7]
	v_mov_b32_e32 v3, s10
	s_xor_b64 exec, exec, s[6:7]
	s_cbranch_execz .LBB31_1278
.LBB31_3328:
	v_mov_b32_e32 v3, 0
	v_cmp_ne_u16_sdwa s[8:9], v5, v3 src0_sel:BYTE_3 src1_sel:DWORD
	s_andn2_b64 s[4:5], s[4:5], exec
	s_and_b64 s[8:9], s[8:9], exec
	s_or_b64 s[4:5], s[4:5], s[8:9]
	s_or_b64 exec, exec, s[6:7]
	s_and_saveexec_b64 s[6:7], s[4:5]
	s_cbranch_execnz .LBB31_1279
	s_branch .LBB31_1280
.LBB31_3329:
	s_movk_i32 s4, 0x80
	v_cmp_eq_u16_sdwa s[12:13], v14, s4 src0_sel:BYTE_0 src1_sel:DWORD
	s_mov_b64 s[4:5], -1
                                        ; implicit-def: $sgpr10
	s_and_saveexec_b64 s[8:9], s[12:13]
; %bb.3330:
	s_mov_b32 s10, 0x7f800001
	s_xor_b64 s[4:5], exec, -1
; %bb.3331:
	s_or_b64 exec, exec, s[8:9]
	s_and_b64 s[4:5], s[4:5], exec
	s_or_saveexec_b64 s[6:7], s[6:7]
	v_mov_b32_e32 v20, s10
	s_xor_b64 exec, exec, s[6:7]
	s_cbranch_execz .LBB31_1282
.LBB31_3332:
	v_mov_b32_e32 v20, 0
	v_cmp_ne_u16_sdwa s[8:9], v14, v20 src0_sel:BYTE_0 src1_sel:DWORD
	s_andn2_b64 s[4:5], s[4:5], exec
	s_and_b64 s[8:9], s[8:9], exec
	s_or_b64 s[4:5], s[4:5], s[8:9]
	s_or_b64 exec, exec, s[6:7]
	s_and_saveexec_b64 s[6:7], s[4:5]
	s_cbranch_execnz .LBB31_1283
	s_branch .LBB31_1284
.LBB31_3333:
	s_movk_i32 s4, 0x80
	v_cmp_eq_u16_sdwa s[12:13], v10, s4 src0_sel:BYTE_0 src1_sel:DWORD
	s_mov_b64 s[4:5], -1
                                        ; implicit-def: $sgpr10
	s_and_saveexec_b64 s[8:9], s[12:13]
; %bb.3334:
	s_mov_b32 s10, 0x7f800001
	s_xor_b64 s[4:5], exec, -1
; %bb.3335:
	s_or_b64 exec, exec, s[8:9]
	s_and_b64 s[4:5], s[4:5], exec
	s_or_saveexec_b64 s[6:7], s[6:7]
	v_mov_b32_e32 v21, s10
	s_xor_b64 exec, exec, s[6:7]
	s_cbranch_execz .LBB31_1286
.LBB31_3336:
	v_mov_b32_e32 v21, 0
	v_cmp_ne_u16_sdwa s[8:9], v10, v21 src0_sel:BYTE_0 src1_sel:DWORD
	s_andn2_b64 s[4:5], s[4:5], exec
	s_and_b64 s[8:9], s[8:9], exec
	s_or_b64 s[4:5], s[4:5], s[8:9]
	s_or_b64 exec, exec, s[6:7]
	s_and_saveexec_b64 s[6:7], s[4:5]
	s_cbranch_execnz .LBB31_1287
	s_branch .LBB31_1288
.LBB31_3337:
	s_movk_i32 s4, 0x80
	v_cmp_eq_u16_sdwa s[12:13], v21, s4 src0_sel:BYTE_0 src1_sel:DWORD
	s_mov_b64 s[4:5], -1
                                        ; implicit-def: $sgpr10
	s_and_saveexec_b64 s[8:9], s[12:13]
; %bb.3338:
	s_mov_b32 s10, 0x7f800001
	s_xor_b64 s[4:5], exec, -1
; %bb.3339:
	s_or_b64 exec, exec, s[8:9]
	s_and_b64 s[4:5], s[4:5], exec
	s_or_saveexec_b64 s[6:7], s[6:7]
	v_mov_b32_e32 v20, s10
	s_xor_b64 exec, exec, s[6:7]
	s_cbranch_execz .LBB31_1290
.LBB31_3340:
	v_mov_b32_e32 v20, 0
	v_cmp_ne_u16_sdwa s[8:9], v21, v20 src0_sel:BYTE_0 src1_sel:DWORD
	s_andn2_b64 s[4:5], s[4:5], exec
	s_and_b64 s[8:9], s[8:9], exec
	s_or_b64 s[4:5], s[4:5], s[8:9]
	s_or_b64 exec, exec, s[6:7]
	s_and_saveexec_b64 s[6:7], s[4:5]
	s_cbranch_execnz .LBB31_1291
	s_branch .LBB31_1292
.LBB31_3341:
	s_movk_i32 s4, 0x80
	v_cmp_eq_u16_sdwa s[12:13], v21, s4 src0_sel:BYTE_0 src1_sel:DWORD
	s_mov_b64 s[4:5], -1
                                        ; implicit-def: $sgpr10
	s_and_saveexec_b64 s[8:9], s[12:13]
; %bb.3342:
	s_mov_b32 s10, 0x7f800001
	s_xor_b64 s[4:5], exec, -1
; %bb.3343:
	s_or_b64 exec, exec, s[8:9]
	s_and_b64 s[4:5], s[4:5], exec
	s_or_saveexec_b64 s[6:7], s[6:7]
	v_mov_b32_e32 v22, s10
	s_xor_b64 exec, exec, s[6:7]
	s_cbranch_execz .LBB31_1294
.LBB31_3344:
	v_mov_b32_e32 v22, 0
	v_cmp_ne_u16_sdwa s[8:9], v21, v22 src0_sel:BYTE_0 src1_sel:DWORD
	s_andn2_b64 s[4:5], s[4:5], exec
	s_and_b64 s[8:9], s[8:9], exec
	s_or_b64 s[4:5], s[4:5], s[8:9]
	s_or_b64 exec, exec, s[6:7]
	s_and_saveexec_b64 s[6:7], s[4:5]
	s_cbranch_execnz .LBB31_1295
	s_branch .LBB31_1296
.LBB31_3345:
	s_movk_i32 s4, 0x80
	v_cmp_eq_u16_e32 vcc, s4, v21
	s_mov_b64 s[4:5], -1
                                        ; implicit-def: $sgpr10
	s_and_saveexec_b64 s[8:9], vcc
; %bb.3346:
	s_mov_b32 s10, 0x7f800001
	s_xor_b64 s[4:5], exec, -1
; %bb.3347:
	s_or_b64 exec, exec, s[8:9]
	s_and_b64 s[4:5], s[4:5], exec
                                        ; implicit-def: $vgpr21
	s_or_saveexec_b64 s[6:7], s[6:7]
	v_mov_b32_e32 v20, s10
	s_xor_b64 exec, exec, s[6:7]
	s_cbranch_execz .LBB31_1298
.LBB31_3348:
	v_cmp_ne_u16_e32 vcc, 0, v21
	s_andn2_b64 s[4:5], s[4:5], exec
	s_and_b64 s[8:9], vcc, exec
	v_mov_b32_e32 v20, 0
	s_or_b64 s[4:5], s[4:5], s[8:9]
	s_or_b64 exec, exec, s[6:7]
	s_and_saveexec_b64 s[6:7], s[4:5]
	s_cbranch_execnz .LBB31_1299
	s_branch .LBB31_1300
.LBB31_3349:
	s_movk_i32 s4, 0x80
	v_cmp_eq_u16_e32 vcc, s4, v21
	s_mov_b64 s[4:5], -1
                                        ; implicit-def: $sgpr10
	s_and_saveexec_b64 s[8:9], vcc
; %bb.3350:
	s_mov_b32 s10, 0x7f800001
	s_xor_b64 s[4:5], exec, -1
; %bb.3351:
	s_or_b64 exec, exec, s[8:9]
	s_and_b64 s[4:5], s[4:5], exec
                                        ; implicit-def: $vgpr21
	s_or_saveexec_b64 s[6:7], s[6:7]
	v_mov_b32_e32 v22, s10
	s_xor_b64 exec, exec, s[6:7]
	s_cbranch_execz .LBB31_1302
.LBB31_3352:
	v_cmp_ne_u16_e32 vcc, 0, v21
	s_andn2_b64 s[4:5], s[4:5], exec
	s_and_b64 s[8:9], vcc, exec
	v_mov_b32_e32 v22, 0
	s_or_b64 s[4:5], s[4:5], s[8:9]
	s_or_b64 exec, exec, s[6:7]
	s_and_saveexec_b64 s[6:7], s[4:5]
	s_cbranch_execnz .LBB31_1303
	s_branch .LBB31_1304
.LBB31_3353:
	s_movk_i32 s4, 0x80
	v_cmp_eq_u16_sdwa s[12:13], v14, s4 src0_sel:BYTE_3 src1_sel:DWORD
	s_mov_b64 s[4:5], -1
                                        ; implicit-def: $sgpr10
	s_and_saveexec_b64 s[8:9], s[12:13]
; %bb.3354:
	s_mov_b32 s10, 0x7f800001
	s_xor_b64 s[4:5], exec, -1
; %bb.3355:
	s_or_b64 exec, exec, s[8:9]
	s_and_b64 s[4:5], s[4:5], exec
	s_or_saveexec_b64 s[6:7], s[6:7]
	v_mov_b32_e32 v20, s10
	s_xor_b64 exec, exec, s[6:7]
	s_cbranch_execz .LBB31_1306
.LBB31_3356:
	v_mov_b32_e32 v20, 0
	v_cmp_ne_u16_sdwa s[8:9], v14, v20 src0_sel:BYTE_3 src1_sel:DWORD
	s_andn2_b64 s[4:5], s[4:5], exec
	s_and_b64 s[8:9], s[8:9], exec
	s_or_b64 s[4:5], s[4:5], s[8:9]
	s_or_b64 exec, exec, s[6:7]
	s_and_saveexec_b64 s[6:7], s[4:5]
	s_cbranch_execnz .LBB31_1307
	s_branch .LBB31_1308
.LBB31_3357:
	s_movk_i32 s4, 0x80
	v_cmp_eq_u16_sdwa s[12:13], v10, s4 src0_sel:BYTE_3 src1_sel:DWORD
	s_mov_b64 s[4:5], -1
                                        ; implicit-def: $sgpr10
	s_and_saveexec_b64 s[8:9], s[12:13]
; %bb.3358:
	s_mov_b32 s10, 0x7f800001
	s_xor_b64 s[4:5], exec, -1
; %bb.3359:
	s_or_b64 exec, exec, s[8:9]
	s_and_b64 s[4:5], s[4:5], exec
	s_or_saveexec_b64 s[6:7], s[6:7]
	v_mov_b32_e32 v14, s10
	s_xor_b64 exec, exec, s[6:7]
	s_cbranch_execz .LBB31_1310
.LBB31_3360:
	v_mov_b32_e32 v14, 0
	v_cmp_ne_u16_sdwa s[8:9], v10, v14 src0_sel:BYTE_3 src1_sel:DWORD
	s_andn2_b64 s[4:5], s[4:5], exec
	s_and_b64 s[8:9], s[8:9], exec
	s_or_b64 s[4:5], s[4:5], s[8:9]
	s_or_b64 exec, exec, s[6:7]
	s_and_saveexec_b64 s[6:7], s[4:5]
	s_cbranch_execnz .LBB31_1311
	s_branch .LBB31_1312
.LBB31_3361:
	s_movk_i32 s4, 0x80
	v_cmp_eq_u16_sdwa s[12:13], v15, s4 src0_sel:BYTE_0 src1_sel:DWORD
	s_mov_b64 s[4:5], -1
                                        ; implicit-def: $sgpr10
	s_and_saveexec_b64 s[8:9], s[12:13]
; %bb.3362:
	s_mov_b32 s10, 0x7f800001
	s_xor_b64 s[4:5], exec, -1
; %bb.3363:
	s_or_b64 exec, exec, s[8:9]
	s_and_b64 s[4:5], s[4:5], exec
	s_or_saveexec_b64 s[6:7], s[6:7]
	v_mov_b32_e32 v10, s10
	s_xor_b64 exec, exec, s[6:7]
	s_cbranch_execz .LBB31_1314
.LBB31_3364:
	v_mov_b32_e32 v10, 0
	v_cmp_ne_u16_sdwa s[8:9], v15, v10 src0_sel:BYTE_0 src1_sel:DWORD
	s_andn2_b64 s[4:5], s[4:5], exec
	s_and_b64 s[8:9], s[8:9], exec
	s_or_b64 s[4:5], s[4:5], s[8:9]
	s_or_b64 exec, exec, s[6:7]
	s_and_saveexec_b64 s[6:7], s[4:5]
	s_cbranch_execnz .LBB31_1315
	s_branch .LBB31_1316
.LBB31_3365:
	s_movk_i32 s4, 0x80
	v_cmp_eq_u16_sdwa s[12:13], v11, s4 src0_sel:BYTE_0 src1_sel:DWORD
	s_mov_b64 s[4:5], -1
                                        ; implicit-def: $sgpr10
	s_and_saveexec_b64 s[8:9], s[12:13]
; %bb.3366:
	s_mov_b32 s10, 0x7f800001
	s_xor_b64 s[4:5], exec, -1
; %bb.3367:
	s_or_b64 exec, exec, s[8:9]
	s_and_b64 s[4:5], s[4:5], exec
	s_or_saveexec_b64 s[6:7], s[6:7]
	v_mov_b32_e32 v14, s10
	s_xor_b64 exec, exec, s[6:7]
	s_cbranch_execz .LBB31_1318
.LBB31_3368:
	v_mov_b32_e32 v14, 0
	v_cmp_ne_u16_sdwa s[8:9], v11, v14 src0_sel:BYTE_0 src1_sel:DWORD
	s_andn2_b64 s[4:5], s[4:5], exec
	s_and_b64 s[8:9], s[8:9], exec
	s_or_b64 s[4:5], s[4:5], s[8:9]
	s_or_b64 exec, exec, s[6:7]
	s_and_saveexec_b64 s[6:7], s[4:5]
	s_cbranch_execnz .LBB31_1319
	s_branch .LBB31_1320
.LBB31_3369:
	s_movk_i32 s4, 0x80
	v_cmp_eq_u16_sdwa s[12:13], v14, s4 src0_sel:BYTE_0 src1_sel:DWORD
	s_mov_b64 s[4:5], -1
                                        ; implicit-def: $sgpr10
	s_and_saveexec_b64 s[8:9], s[12:13]
; %bb.3370:
	s_mov_b32 s10, 0x7f800001
	s_xor_b64 s[4:5], exec, -1
; %bb.3371:
	s_or_b64 exec, exec, s[8:9]
	s_and_b64 s[4:5], s[4:5], exec
	s_or_saveexec_b64 s[6:7], s[6:7]
	v_mov_b32_e32 v10, s10
	s_xor_b64 exec, exec, s[6:7]
	s_cbranch_execz .LBB31_1322
.LBB31_3372:
	v_mov_b32_e32 v10, 0
	v_cmp_ne_u16_sdwa s[8:9], v14, v10 src0_sel:BYTE_0 src1_sel:DWORD
	s_andn2_b64 s[4:5], s[4:5], exec
	s_and_b64 s[8:9], s[8:9], exec
	s_or_b64 s[4:5], s[4:5], s[8:9]
	s_or_b64 exec, exec, s[6:7]
	s_and_saveexec_b64 s[6:7], s[4:5]
	s_cbranch_execnz .LBB31_1323
	s_branch .LBB31_1324
.LBB31_3373:
	s_movk_i32 s4, 0x80
	v_cmp_eq_u16_sdwa s[12:13], v14, s4 src0_sel:BYTE_0 src1_sel:DWORD
	s_mov_b64 s[4:5], -1
                                        ; implicit-def: $sgpr10
	s_and_saveexec_b64 s[8:9], s[12:13]
; %bb.3374:
	s_mov_b32 s10, 0x7f800001
	s_xor_b64 s[4:5], exec, -1
; %bb.3375:
	s_or_b64 exec, exec, s[8:9]
	s_and_b64 s[4:5], s[4:5], exec
	s_or_saveexec_b64 s[6:7], s[6:7]
	v_mov_b32_e32 v20, s10
	s_xor_b64 exec, exec, s[6:7]
	s_cbranch_execz .LBB31_1326
.LBB31_3376:
	v_mov_b32_e32 v20, 0
	v_cmp_ne_u16_sdwa s[8:9], v14, v20 src0_sel:BYTE_0 src1_sel:DWORD
	s_andn2_b64 s[4:5], s[4:5], exec
	s_and_b64 s[8:9], s[8:9], exec
	s_or_b64 s[4:5], s[4:5], s[8:9]
	s_or_b64 exec, exec, s[6:7]
	s_and_saveexec_b64 s[6:7], s[4:5]
	s_cbranch_execnz .LBB31_1327
	s_branch .LBB31_1328
.LBB31_3377:
	s_movk_i32 s4, 0x80
	v_cmp_eq_u16_e32 vcc, s4, v14
	s_mov_b64 s[4:5], -1
                                        ; implicit-def: $sgpr10
	s_and_saveexec_b64 s[8:9], vcc
; %bb.3378:
	s_mov_b32 s10, 0x7f800001
	s_xor_b64 s[4:5], exec, -1
; %bb.3379:
	s_or_b64 exec, exec, s[8:9]
	s_and_b64 s[4:5], s[4:5], exec
                                        ; implicit-def: $vgpr14
	s_or_saveexec_b64 s[6:7], s[6:7]
	v_mov_b32_e32 v10, s10
	s_xor_b64 exec, exec, s[6:7]
	s_cbranch_execz .LBB31_1330
.LBB31_3380:
	v_cmp_ne_u16_e32 vcc, 0, v14
	s_andn2_b64 s[4:5], s[4:5], exec
	s_and_b64 s[8:9], vcc, exec
	v_mov_b32_e32 v10, 0
	s_or_b64 s[4:5], s[4:5], s[8:9]
	s_or_b64 exec, exec, s[6:7]
	s_and_saveexec_b64 s[6:7], s[4:5]
	s_cbranch_execnz .LBB31_1331
	s_branch .LBB31_1332
.LBB31_3381:
	s_movk_i32 s4, 0x80
	v_cmp_eq_u16_e32 vcc, s4, v14
	s_mov_b64 s[4:5], -1
                                        ; implicit-def: $sgpr10
	s_and_saveexec_b64 s[8:9], vcc
; %bb.3382:
	s_mov_b32 s10, 0x7f800001
	s_xor_b64 s[4:5], exec, -1
; %bb.3383:
	s_or_b64 exec, exec, s[8:9]
	s_and_b64 s[4:5], s[4:5], exec
                                        ; implicit-def: $vgpr14
	s_or_saveexec_b64 s[6:7], s[6:7]
	v_mov_b32_e32 v20, s10
	s_xor_b64 exec, exec, s[6:7]
	s_cbranch_execz .LBB31_1334
.LBB31_3384:
	v_cmp_ne_u16_e32 vcc, 0, v14
	s_andn2_b64 s[4:5], s[4:5], exec
	s_and_b64 s[8:9], vcc, exec
	v_mov_b32_e32 v20, 0
	s_or_b64 s[4:5], s[4:5], s[8:9]
	s_or_b64 exec, exec, s[6:7]
	s_and_saveexec_b64 s[6:7], s[4:5]
	s_cbranch_execnz .LBB31_1335
	s_branch .LBB31_1336
.LBB31_3385:
	s_movk_i32 s4, 0x80
	v_cmp_eq_u16_sdwa s[12:13], v15, s4 src0_sel:BYTE_3 src1_sel:DWORD
	s_mov_b64 s[4:5], -1
                                        ; implicit-def: $sgpr10
	s_and_saveexec_b64 s[8:9], s[12:13]
; %bb.3386:
	s_mov_b32 s10, 0x7f800001
	s_xor_b64 s[4:5], exec, -1
; %bb.3387:
	s_or_b64 exec, exec, s[8:9]
	s_and_b64 s[4:5], s[4:5], exec
	s_or_saveexec_b64 s[6:7], s[6:7]
	v_mov_b32_e32 v10, s10
	s_xor_b64 exec, exec, s[6:7]
	s_cbranch_execz .LBB31_1338
.LBB31_3388:
	v_mov_b32_e32 v10, 0
	v_cmp_ne_u16_sdwa s[8:9], v15, v10 src0_sel:BYTE_3 src1_sel:DWORD
	s_andn2_b64 s[4:5], s[4:5], exec
	s_and_b64 s[8:9], s[8:9], exec
	s_or_b64 s[4:5], s[4:5], s[8:9]
	s_or_b64 exec, exec, s[6:7]
	s_and_saveexec_b64 s[6:7], s[4:5]
	s_cbranch_execnz .LBB31_1339
	s_branch .LBB31_1340
.LBB31_3389:
	s_movk_i32 s4, 0x80
	v_cmp_eq_u16_sdwa s[12:13], v11, s4 src0_sel:BYTE_3 src1_sel:DWORD
	s_mov_b64 s[4:5], -1
                                        ; implicit-def: $sgpr10
	s_and_saveexec_b64 s[8:9], s[12:13]
; %bb.3390:
	s_mov_b32 s10, 0x7f800001
	s_xor_b64 s[4:5], exec, -1
; %bb.3391:
	s_or_b64 exec, exec, s[8:9]
	s_and_b64 s[4:5], s[4:5], exec
	s_or_saveexec_b64 s[6:7], s[6:7]
	v_mov_b32_e32 v14, s10
	s_xor_b64 exec, exec, s[6:7]
	s_cbranch_execz .LBB31_1342
.LBB31_3392:
	v_mov_b32_e32 v14, 0
	v_cmp_ne_u16_sdwa s[8:9], v11, v14 src0_sel:BYTE_3 src1_sel:DWORD
	s_andn2_b64 s[4:5], s[4:5], exec
	s_and_b64 s[8:9], s[8:9], exec
	s_or_b64 s[4:5], s[4:5], s[8:9]
	s_or_b64 exec, exec, s[6:7]
	s_and_saveexec_b64 s[6:7], s[4:5]
	s_cbranch_execnz .LBB31_1343
	s_branch .LBB31_1344
.LBB31_3393:
	s_movk_i32 s4, 0x80
	v_cmp_eq_u16_sdwa s[12:13], v16, s4 src0_sel:BYTE_0 src1_sel:DWORD
	s_mov_b64 s[4:5], -1
                                        ; implicit-def: $sgpr10
	s_and_saveexec_b64 s[8:9], s[12:13]
; %bb.3394:
	s_mov_b32 s10, 0x7f800001
	s_xor_b64 s[4:5], exec, -1
; %bb.3395:
	s_or_b64 exec, exec, s[8:9]
	s_and_b64 s[4:5], s[4:5], exec
	s_or_saveexec_b64 s[6:7], s[6:7]
	v_mov_b32_e32 v10, s10
	s_xor_b64 exec, exec, s[6:7]
	s_cbranch_execz .LBB31_1346
.LBB31_3396:
	v_mov_b32_e32 v10, 0
	v_cmp_ne_u16_sdwa s[8:9], v16, v10 src0_sel:BYTE_0 src1_sel:DWORD
	s_andn2_b64 s[4:5], s[4:5], exec
	s_and_b64 s[8:9], s[8:9], exec
	s_or_b64 s[4:5], s[4:5], s[8:9]
	s_or_b64 exec, exec, s[6:7]
	s_and_saveexec_b64 s[6:7], s[4:5]
	s_cbranch_execnz .LBB31_1347
	s_branch .LBB31_1348
.LBB31_3397:
	s_movk_i32 s4, 0x80
	v_cmp_eq_u16_sdwa s[12:13], v12, s4 src0_sel:BYTE_0 src1_sel:DWORD
	s_mov_b64 s[4:5], -1
                                        ; implicit-def: $sgpr10
	s_and_saveexec_b64 s[8:9], s[12:13]
; %bb.3398:
	s_mov_b32 s10, 0x7f800001
	s_xor_b64 s[4:5], exec, -1
; %bb.3399:
	s_or_b64 exec, exec, s[8:9]
	s_and_b64 s[4:5], s[4:5], exec
	s_or_saveexec_b64 s[6:7], s[6:7]
	v_mov_b32_e32 v11, s10
	s_xor_b64 exec, exec, s[6:7]
	s_cbranch_execz .LBB31_1350
.LBB31_3400:
	v_mov_b32_e32 v11, 0
	v_cmp_ne_u16_sdwa s[8:9], v12, v11 src0_sel:BYTE_0 src1_sel:DWORD
	s_andn2_b64 s[4:5], s[4:5], exec
	s_and_b64 s[8:9], s[8:9], exec
	s_or_b64 s[4:5], s[4:5], s[8:9]
	s_or_b64 exec, exec, s[6:7]
	s_and_saveexec_b64 s[6:7], s[4:5]
	s_cbranch_execnz .LBB31_1351
	s_branch .LBB31_1352
.LBB31_3401:
	s_movk_i32 s4, 0x80
	v_cmp_eq_u16_sdwa s[12:13], v11, s4 src0_sel:BYTE_0 src1_sel:DWORD
	s_mov_b64 s[4:5], -1
                                        ; implicit-def: $sgpr10
	s_and_saveexec_b64 s[8:9], s[12:13]
; %bb.3402:
	s_mov_b32 s10, 0x7f800001
	s_xor_b64 s[4:5], exec, -1
; %bb.3403:
	s_or_b64 exec, exec, s[8:9]
	s_and_b64 s[4:5], s[4:5], exec
	s_or_saveexec_b64 s[6:7], s[6:7]
	v_mov_b32_e32 v10, s10
	s_xor_b64 exec, exec, s[6:7]
	s_cbranch_execz .LBB31_1354
.LBB31_3404:
	v_mov_b32_e32 v10, 0
	v_cmp_ne_u16_sdwa s[8:9], v11, v10 src0_sel:BYTE_0 src1_sel:DWORD
	s_andn2_b64 s[4:5], s[4:5], exec
	s_and_b64 s[8:9], s[8:9], exec
	s_or_b64 s[4:5], s[4:5], s[8:9]
	s_or_b64 exec, exec, s[6:7]
	s_and_saveexec_b64 s[6:7], s[4:5]
	s_cbranch_execnz .LBB31_1355
	s_branch .LBB31_1356
.LBB31_3405:
	s_movk_i32 s4, 0x80
	v_cmp_eq_u16_sdwa s[12:13], v11, s4 src0_sel:BYTE_0 src1_sel:DWORD
	s_mov_b64 s[4:5], -1
                                        ; implicit-def: $sgpr10
	s_and_saveexec_b64 s[8:9], s[12:13]
; %bb.3406:
	s_mov_b32 s10, 0x7f800001
	s_xor_b64 s[4:5], exec, -1
; %bb.3407:
	s_or_b64 exec, exec, s[8:9]
	s_and_b64 s[4:5], s[4:5], exec
	s_or_saveexec_b64 s[6:7], s[6:7]
	v_mov_b32_e32 v14, s10
	s_xor_b64 exec, exec, s[6:7]
	s_cbranch_execz .LBB31_1358
.LBB31_3408:
	v_mov_b32_e32 v14, 0
	v_cmp_ne_u16_sdwa s[8:9], v11, v14 src0_sel:BYTE_0 src1_sel:DWORD
	s_andn2_b64 s[4:5], s[4:5], exec
	s_and_b64 s[8:9], s[8:9], exec
	s_or_b64 s[4:5], s[4:5], s[8:9]
	s_or_b64 exec, exec, s[6:7]
	s_and_saveexec_b64 s[6:7], s[4:5]
	s_cbranch_execnz .LBB31_1359
	s_branch .LBB31_1360
.LBB31_3409:
	s_movk_i32 s4, 0x80
	v_cmp_eq_u16_e32 vcc, s4, v11
	s_mov_b64 s[4:5], -1
                                        ; implicit-def: $sgpr10
	s_and_saveexec_b64 s[8:9], vcc
; %bb.3410:
	s_mov_b32 s10, 0x7f800001
	s_xor_b64 s[4:5], exec, -1
; %bb.3411:
	s_or_b64 exec, exec, s[8:9]
	s_and_b64 s[4:5], s[4:5], exec
                                        ; implicit-def: $vgpr11
	s_or_saveexec_b64 s[6:7], s[6:7]
	v_mov_b32_e32 v10, s10
	s_xor_b64 exec, exec, s[6:7]
	s_cbranch_execz .LBB31_1362
.LBB31_3412:
	v_cmp_ne_u16_e32 vcc, 0, v11
	s_andn2_b64 s[4:5], s[4:5], exec
	s_and_b64 s[8:9], vcc, exec
	v_mov_b32_e32 v10, 0
	s_or_b64 s[4:5], s[4:5], s[8:9]
	s_or_b64 exec, exec, s[6:7]
	s_and_saveexec_b64 s[6:7], s[4:5]
	s_cbranch_execnz .LBB31_1363
	s_branch .LBB31_1364
.LBB31_3413:
	s_movk_i32 s4, 0x80
	v_cmp_eq_u16_e32 vcc, s4, v11
	s_mov_b64 s[4:5], -1
                                        ; implicit-def: $sgpr10
	s_and_saveexec_b64 s[8:9], vcc
; %bb.3414:
	s_mov_b32 s10, 0x7f800001
	s_xor_b64 s[4:5], exec, -1
; %bb.3415:
	s_or_b64 exec, exec, s[8:9]
	s_and_b64 s[4:5], s[4:5], exec
                                        ; implicit-def: $vgpr11
	s_or_saveexec_b64 s[6:7], s[6:7]
	v_mov_b32_e32 v14, s10
	s_xor_b64 exec, exec, s[6:7]
	s_cbranch_execz .LBB31_1366
.LBB31_3416:
	v_cmp_ne_u16_e32 vcc, 0, v11
	s_andn2_b64 s[4:5], s[4:5], exec
	s_and_b64 s[8:9], vcc, exec
	v_mov_b32_e32 v14, 0
	s_or_b64 s[4:5], s[4:5], s[8:9]
	s_or_b64 exec, exec, s[6:7]
	s_and_saveexec_b64 s[6:7], s[4:5]
	s_cbranch_execnz .LBB31_1367
	s_branch .LBB31_1368
.LBB31_3417:
	s_movk_i32 s4, 0x80
	v_cmp_eq_u16_sdwa s[12:13], v16, s4 src0_sel:BYTE_3 src1_sel:DWORD
	s_mov_b64 s[4:5], -1
                                        ; implicit-def: $sgpr10
	s_and_saveexec_b64 s[8:9], s[12:13]
; %bb.3418:
	s_mov_b32 s10, 0x7f800001
	s_xor_b64 s[4:5], exec, -1
; %bb.3419:
	s_or_b64 exec, exec, s[8:9]
	s_and_b64 s[4:5], s[4:5], exec
	s_or_saveexec_b64 s[6:7], s[6:7]
	v_mov_b32_e32 v10, s10
	s_xor_b64 exec, exec, s[6:7]
	s_cbranch_execz .LBB31_1370
.LBB31_3420:
	v_mov_b32_e32 v10, 0
	v_cmp_ne_u16_sdwa s[8:9], v16, v10 src0_sel:BYTE_3 src1_sel:DWORD
	s_andn2_b64 s[4:5], s[4:5], exec
	s_and_b64 s[8:9], s[8:9], exec
	s_or_b64 s[4:5], s[4:5], s[8:9]
	s_or_b64 exec, exec, s[6:7]
	s_and_saveexec_b64 s[6:7], s[4:5]
	s_cbranch_execnz .LBB31_1371
	s_branch .LBB31_1372
.LBB31_3421:
	s_movk_i32 s4, 0x80
	v_cmp_eq_u16_sdwa s[12:13], v12, s4 src0_sel:BYTE_3 src1_sel:DWORD
	s_mov_b64 s[4:5], -1
                                        ; implicit-def: $sgpr10
	s_and_saveexec_b64 s[8:9], s[12:13]
; %bb.3422:
	s_mov_b32 s10, 0x7f800001
	s_xor_b64 s[4:5], exec, -1
; %bb.3423:
	s_or_b64 exec, exec, s[8:9]
	s_and_b64 s[4:5], s[4:5], exec
	s_or_saveexec_b64 s[6:7], s[6:7]
	v_mov_b32_e32 v11, s10
	s_xor_b64 exec, exec, s[6:7]
	s_cbranch_execz .LBB31_1374
.LBB31_3424:
	v_mov_b32_e32 v11, 0
	v_cmp_ne_u16_sdwa s[8:9], v12, v11 src0_sel:BYTE_3 src1_sel:DWORD
	s_andn2_b64 s[4:5], s[4:5], exec
	s_and_b64 s[8:9], s[8:9], exec
	s_or_b64 s[4:5], s[4:5], s[8:9]
	s_or_b64 exec, exec, s[6:7]
	s_and_saveexec_b64 s[6:7], s[4:5]
	s_cbranch_execnz .LBB31_1375
	s_branch .LBB31_1376
.LBB31_3425:
	s_movk_i32 s4, 0x80
	v_cmp_eq_u16_sdwa s[12:13], v17, s4 src0_sel:BYTE_0 src1_sel:DWORD
	s_mov_b64 s[4:5], -1
                                        ; implicit-def: $sgpr10
	s_and_saveexec_b64 s[8:9], s[12:13]
; %bb.3426:
	s_mov_b32 s10, 0x7f800001
	s_xor_b64 s[4:5], exec, -1
; %bb.3427:
	s_or_b64 exec, exec, s[8:9]
	s_and_b64 s[4:5], s[4:5], exec
	s_or_saveexec_b64 s[6:7], s[6:7]
	v_mov_b32_e32 v10, s10
	s_xor_b64 exec, exec, s[6:7]
	s_cbranch_execz .LBB31_1378
.LBB31_3428:
	v_mov_b32_e32 v10, 0
	v_cmp_ne_u16_sdwa s[8:9], v17, v10 src0_sel:BYTE_0 src1_sel:DWORD
	s_andn2_b64 s[4:5], s[4:5], exec
	s_and_b64 s[8:9], s[8:9], exec
	s_or_b64 s[4:5], s[4:5], s[8:9]
	s_or_b64 exec, exec, s[6:7]
	s_and_saveexec_b64 s[6:7], s[4:5]
	s_cbranch_execnz .LBB31_1379
	s_branch .LBB31_1380
.LBB31_3429:
	s_movk_i32 s4, 0x80
	v_cmp_eq_u16_sdwa s[12:13], v13, s4 src0_sel:BYTE_0 src1_sel:DWORD
	s_mov_b64 s[4:5], -1
                                        ; implicit-def: $sgpr10
	s_and_saveexec_b64 s[8:9], s[12:13]
; %bb.3430:
	s_mov_b32 s10, 0x7f800001
	s_xor_b64 s[4:5], exec, -1
; %bb.3431:
	s_or_b64 exec, exec, s[8:9]
	s_and_b64 s[4:5], s[4:5], exec
	s_or_saveexec_b64 s[6:7], s[6:7]
	v_mov_b32_e32 v11, s10
	s_xor_b64 exec, exec, s[6:7]
	s_cbranch_execz .LBB31_1382
.LBB31_3432:
	v_mov_b32_e32 v11, 0
	v_cmp_ne_u16_sdwa s[8:9], v13, v11 src0_sel:BYTE_0 src1_sel:DWORD
	s_andn2_b64 s[4:5], s[4:5], exec
	s_and_b64 s[8:9], s[8:9], exec
	s_or_b64 s[4:5], s[4:5], s[8:9]
	s_or_b64 exec, exec, s[6:7]
	s_and_saveexec_b64 s[6:7], s[4:5]
	s_cbranch_execnz .LBB31_1383
	s_branch .LBB31_1384
.LBB31_3433:
	s_movk_i32 s4, 0x80
	v_cmp_eq_u16_sdwa s[12:13], v11, s4 src0_sel:BYTE_0 src1_sel:DWORD
	s_mov_b64 s[4:5], -1
                                        ; implicit-def: $sgpr10
	s_and_saveexec_b64 s[8:9], s[12:13]
; %bb.3434:
	s_mov_b32 s10, 0x7f800001
	s_xor_b64 s[4:5], exec, -1
; %bb.3435:
	s_or_b64 exec, exec, s[8:9]
	s_and_b64 s[4:5], s[4:5], exec
	s_or_saveexec_b64 s[6:7], s[6:7]
	v_mov_b32_e32 v10, s10
	s_xor_b64 exec, exec, s[6:7]
	s_cbranch_execz .LBB31_1386
.LBB31_3436:
	v_mov_b32_e32 v10, 0
	v_cmp_ne_u16_sdwa s[8:9], v11, v10 src0_sel:BYTE_0 src1_sel:DWORD
	s_andn2_b64 s[4:5], s[4:5], exec
	s_and_b64 s[8:9], s[8:9], exec
	s_or_b64 s[4:5], s[4:5], s[8:9]
	s_or_b64 exec, exec, s[6:7]
	s_and_saveexec_b64 s[6:7], s[4:5]
	s_cbranch_execnz .LBB31_1387
	s_branch .LBB31_1388
.LBB31_3437:
	s_movk_i32 s4, 0x80
	v_cmp_eq_u16_sdwa s[12:13], v11, s4 src0_sel:BYTE_0 src1_sel:DWORD
	s_mov_b64 s[4:5], -1
                                        ; implicit-def: $sgpr10
	s_and_saveexec_b64 s[8:9], s[12:13]
; %bb.3438:
	s_mov_b32 s10, 0x7f800001
	s_xor_b64 s[4:5], exec, -1
; %bb.3439:
	s_or_b64 exec, exec, s[8:9]
	s_and_b64 s[4:5], s[4:5], exec
	s_or_saveexec_b64 s[6:7], s[6:7]
	v_mov_b32_e32 v12, s10
	s_xor_b64 exec, exec, s[6:7]
	s_cbranch_execz .LBB31_1390
.LBB31_3440:
	v_mov_b32_e32 v12, 0
	v_cmp_ne_u16_sdwa s[8:9], v11, v12 src0_sel:BYTE_0 src1_sel:DWORD
	s_andn2_b64 s[4:5], s[4:5], exec
	s_and_b64 s[8:9], s[8:9], exec
	s_or_b64 s[4:5], s[4:5], s[8:9]
	s_or_b64 exec, exec, s[6:7]
	s_and_saveexec_b64 s[6:7], s[4:5]
	s_cbranch_execnz .LBB31_1391
	s_branch .LBB31_1392
.LBB31_3441:
	s_movk_i32 s4, 0x80
	v_cmp_eq_u16_e32 vcc, s4, v11
	s_mov_b64 s[4:5], -1
                                        ; implicit-def: $sgpr10
	s_and_saveexec_b64 s[8:9], vcc
; %bb.3442:
	s_mov_b32 s10, 0x7f800001
	s_xor_b64 s[4:5], exec, -1
; %bb.3443:
	s_or_b64 exec, exec, s[8:9]
	s_and_b64 s[4:5], s[4:5], exec
                                        ; implicit-def: $vgpr11
	s_or_saveexec_b64 s[6:7], s[6:7]
	v_mov_b32_e32 v10, s10
	s_xor_b64 exec, exec, s[6:7]
	s_cbranch_execz .LBB31_1394
.LBB31_3444:
	v_cmp_ne_u16_e32 vcc, 0, v11
	s_andn2_b64 s[4:5], s[4:5], exec
	s_and_b64 s[8:9], vcc, exec
	v_mov_b32_e32 v10, 0
	s_or_b64 s[4:5], s[4:5], s[8:9]
	s_or_b64 exec, exec, s[6:7]
	s_and_saveexec_b64 s[6:7], s[4:5]
	s_cbranch_execnz .LBB31_1395
	s_branch .LBB31_1396
.LBB31_3445:
	s_movk_i32 s4, 0x80
	v_cmp_eq_u16_e32 vcc, s4, v11
	s_mov_b64 s[4:5], -1
                                        ; implicit-def: $sgpr10
	s_and_saveexec_b64 s[8:9], vcc
; %bb.3446:
	s_mov_b32 s10, 0x7f800001
	s_xor_b64 s[4:5], exec, -1
; %bb.3447:
	s_or_b64 exec, exec, s[8:9]
	s_and_b64 s[4:5], s[4:5], exec
                                        ; implicit-def: $vgpr11
	s_or_saveexec_b64 s[6:7], s[6:7]
	v_mov_b32_e32 v12, s10
	s_xor_b64 exec, exec, s[6:7]
	s_cbranch_execz .LBB31_1398
.LBB31_3448:
	v_cmp_ne_u16_e32 vcc, 0, v11
	s_andn2_b64 s[4:5], s[4:5], exec
	s_and_b64 s[8:9], vcc, exec
	v_mov_b32_e32 v12, 0
	s_or_b64 s[4:5], s[4:5], s[8:9]
	s_or_b64 exec, exec, s[6:7]
	s_and_saveexec_b64 s[6:7], s[4:5]
	s_cbranch_execnz .LBB31_1399
	s_branch .LBB31_1400
.LBB31_3449:
	s_movk_i32 s4, 0x80
	v_cmp_eq_u16_sdwa s[12:13], v17, s4 src0_sel:BYTE_3 src1_sel:DWORD
	s_mov_b64 s[4:5], -1
                                        ; implicit-def: $sgpr10
	s_and_saveexec_b64 s[8:9], s[12:13]
; %bb.3450:
	s_mov_b32 s10, 0x7f800001
	s_xor_b64 s[4:5], exec, -1
; %bb.3451:
	s_or_b64 exec, exec, s[8:9]
	s_and_b64 s[4:5], s[4:5], exec
	s_or_saveexec_b64 s[6:7], s[6:7]
	v_mov_b32_e32 v10, s10
	s_xor_b64 exec, exec, s[6:7]
	s_cbranch_execz .LBB31_1402
.LBB31_3452:
	v_mov_b32_e32 v10, 0
	v_cmp_ne_u16_sdwa s[8:9], v17, v10 src0_sel:BYTE_3 src1_sel:DWORD
	s_andn2_b64 s[4:5], s[4:5], exec
	s_and_b64 s[8:9], s[8:9], exec
	s_or_b64 s[4:5], s[4:5], s[8:9]
	s_or_b64 exec, exec, s[6:7]
	s_and_saveexec_b64 s[6:7], s[4:5]
	s_cbranch_execnz .LBB31_1403
	s_branch .LBB31_1404
.LBB31_3453:
	s_movk_i32 s4, 0x80
	v_cmp_eq_u16_sdwa s[12:13], v13, s4 src0_sel:BYTE_3 src1_sel:DWORD
	s_mov_b64 s[4:5], -1
                                        ; implicit-def: $sgpr10
	s_and_saveexec_b64 s[8:9], s[12:13]
; %bb.3454:
	s_mov_b32 s10, 0x7f800001
	s_xor_b64 s[4:5], exec, -1
; %bb.3455:
	s_or_b64 exec, exec, s[8:9]
	s_and_b64 s[4:5], s[4:5], exec
	s_or_saveexec_b64 s[6:7], s[6:7]
	v_mov_b32_e32 v11, s10
	s_xor_b64 exec, exec, s[6:7]
	s_cbranch_execz .LBB31_1406
.LBB31_3456:
	v_mov_b32_e32 v11, 0
	v_cmp_ne_u16_sdwa s[8:9], v13, v11 src0_sel:BYTE_3 src1_sel:DWORD
	s_andn2_b64 s[4:5], s[4:5], exec
	s_and_b64 s[8:9], s[8:9], exec
	s_or_b64 s[4:5], s[4:5], s[8:9]
	s_or_b64 exec, exec, s[6:7]
	s_and_saveexec_b64 s[6:7], s[4:5]
	s_cbranch_execnz .LBB31_1407
	s_branch .LBB31_1408
.LBB31_3457:
	s_movk_i32 s4, 0x80
	v_cmp_eq_u16_sdwa s[12:13], v6, s4 src0_sel:BYTE_0 src1_sel:DWORD
	s_mov_b64 s[4:5], -1
                                        ; implicit-def: $sgpr10
	s_and_saveexec_b64 s[8:9], s[12:13]
; %bb.3458:
	s_mov_b32 s10, 0x7f800001
	s_xor_b64 s[4:5], exec, -1
; %bb.3459:
	s_or_b64 exec, exec, s[8:9]
	s_and_b64 s[4:5], s[4:5], exec
	s_or_saveexec_b64 s[6:7], s[6:7]
	v_mov_b32_e32 v10, s10
	s_xor_b64 exec, exec, s[6:7]
	s_cbranch_execz .LBB31_1410
.LBB31_3460:
	v_mov_b32_e32 v10, 0
	v_cmp_ne_u16_sdwa s[8:9], v6, v10 src0_sel:BYTE_0 src1_sel:DWORD
	s_andn2_b64 s[4:5], s[4:5], exec
	s_and_b64 s[8:9], s[8:9], exec
	s_or_b64 s[4:5], s[4:5], s[8:9]
	s_or_b64 exec, exec, s[6:7]
	s_and_saveexec_b64 s[6:7], s[4:5]
	s_cbranch_execnz .LBB31_1411
	s_branch .LBB31_1412
.LBB31_3461:
	s_movk_i32 s4, 0x80
	v_cmp_eq_u16_sdwa s[12:13], v2, s4 src0_sel:BYTE_0 src1_sel:DWORD
	s_mov_b64 s[4:5], -1
                                        ; implicit-def: $sgpr10
	s_and_saveexec_b64 s[8:9], s[12:13]
; %bb.3462:
	s_mov_b32 s10, 0x7f800001
	s_xor_b64 s[4:5], exec, -1
; %bb.3463:
	s_or_b64 exec, exec, s[8:9]
	s_and_b64 s[4:5], s[4:5], exec
	s_or_saveexec_b64 s[6:7], s[6:7]
	v_mov_b32_e32 v11, s10
	s_xor_b64 exec, exec, s[6:7]
	s_cbranch_execz .LBB31_1414
.LBB31_3464:
	v_mov_b32_e32 v11, 0
	v_cmp_ne_u16_sdwa s[8:9], v2, v11 src0_sel:BYTE_0 src1_sel:DWORD
	s_andn2_b64 s[4:5], s[4:5], exec
	s_and_b64 s[8:9], s[8:9], exec
	s_or_b64 s[4:5], s[4:5], s[8:9]
	s_or_b64 exec, exec, s[6:7]
	s_and_saveexec_b64 s[6:7], s[4:5]
	s_cbranch_execnz .LBB31_1415
	s_branch .LBB31_1416
.LBB31_3465:
	s_movk_i32 s4, 0x80
	v_cmp_eq_u16_sdwa s[12:13], v11, s4 src0_sel:BYTE_0 src1_sel:DWORD
	s_mov_b64 s[4:5], -1
                                        ; implicit-def: $sgpr10
	s_and_saveexec_b64 s[8:9], s[12:13]
; %bb.3466:
	s_mov_b32 s10, 0x7f800001
	s_xor_b64 s[4:5], exec, -1
; %bb.3467:
	s_or_b64 exec, exec, s[8:9]
	s_and_b64 s[4:5], s[4:5], exec
	s_or_saveexec_b64 s[6:7], s[6:7]
	v_mov_b32_e32 v10, s10
	s_xor_b64 exec, exec, s[6:7]
	s_cbranch_execz .LBB31_1418
.LBB31_3468:
	v_mov_b32_e32 v10, 0
	v_cmp_ne_u16_sdwa s[8:9], v11, v10 src0_sel:BYTE_0 src1_sel:DWORD
	s_andn2_b64 s[4:5], s[4:5], exec
	s_and_b64 s[8:9], s[8:9], exec
	s_or_b64 s[4:5], s[4:5], s[8:9]
	s_or_b64 exec, exec, s[6:7]
	s_and_saveexec_b64 s[6:7], s[4:5]
	s_cbranch_execnz .LBB31_1419
	s_branch .LBB31_1420
.LBB31_3469:
	s_movk_i32 s4, 0x80
	v_cmp_eq_u16_sdwa s[12:13], v11, s4 src0_sel:BYTE_0 src1_sel:DWORD
	s_mov_b64 s[4:5], -1
                                        ; implicit-def: $sgpr10
	s_and_saveexec_b64 s[8:9], s[12:13]
; %bb.3470:
	s_mov_b32 s10, 0x7f800001
	s_xor_b64 s[4:5], exec, -1
; %bb.3471:
	s_or_b64 exec, exec, s[8:9]
	s_and_b64 s[4:5], s[4:5], exec
	s_or_saveexec_b64 s[6:7], s[6:7]
	v_mov_b32_e32 v12, s10
	s_xor_b64 exec, exec, s[6:7]
	s_cbranch_execz .LBB31_1422
.LBB31_3472:
	v_mov_b32_e32 v12, 0
	v_cmp_ne_u16_sdwa s[8:9], v11, v12 src0_sel:BYTE_0 src1_sel:DWORD
	s_andn2_b64 s[4:5], s[4:5], exec
	s_and_b64 s[8:9], s[8:9], exec
	s_or_b64 s[4:5], s[4:5], s[8:9]
	s_or_b64 exec, exec, s[6:7]
	s_and_saveexec_b64 s[6:7], s[4:5]
	s_cbranch_execnz .LBB31_1423
	s_branch .LBB31_1424
.LBB31_3473:
	s_movk_i32 s4, 0x80
	v_cmp_eq_u16_e32 vcc, s4, v11
	s_mov_b64 s[4:5], -1
                                        ; implicit-def: $sgpr10
	s_and_saveexec_b64 s[8:9], vcc
; %bb.3474:
	s_mov_b32 s10, 0x7f800001
	s_xor_b64 s[4:5], exec, -1
; %bb.3475:
	s_or_b64 exec, exec, s[8:9]
	s_and_b64 s[4:5], s[4:5], exec
                                        ; implicit-def: $vgpr11
	s_or_saveexec_b64 s[6:7], s[6:7]
	v_mov_b32_e32 v10, s10
	s_xor_b64 exec, exec, s[6:7]
	s_cbranch_execz .LBB31_1426
.LBB31_3476:
	v_cmp_ne_u16_e32 vcc, 0, v11
	s_andn2_b64 s[4:5], s[4:5], exec
	s_and_b64 s[8:9], vcc, exec
	v_mov_b32_e32 v10, 0
	s_or_b64 s[4:5], s[4:5], s[8:9]
	s_or_b64 exec, exec, s[6:7]
	s_and_saveexec_b64 s[6:7], s[4:5]
	s_cbranch_execnz .LBB31_1427
	s_branch .LBB31_1428
.LBB31_3477:
	s_movk_i32 s4, 0x80
	v_cmp_eq_u16_e32 vcc, s4, v11
	s_mov_b64 s[4:5], -1
                                        ; implicit-def: $sgpr10
	s_and_saveexec_b64 s[8:9], vcc
; %bb.3478:
	s_mov_b32 s10, 0x7f800001
	s_xor_b64 s[4:5], exec, -1
; %bb.3479:
	s_or_b64 exec, exec, s[8:9]
	s_and_b64 s[4:5], s[4:5], exec
                                        ; implicit-def: $vgpr11
	s_or_saveexec_b64 s[6:7], s[6:7]
	v_mov_b32_e32 v12, s10
	s_xor_b64 exec, exec, s[6:7]
	s_cbranch_execz .LBB31_1430
.LBB31_3480:
	v_cmp_ne_u16_e32 vcc, 0, v11
	s_andn2_b64 s[4:5], s[4:5], exec
	s_and_b64 s[8:9], vcc, exec
	v_mov_b32_e32 v12, 0
	s_or_b64 s[4:5], s[4:5], s[8:9]
	s_or_b64 exec, exec, s[6:7]
	s_and_saveexec_b64 s[6:7], s[4:5]
	s_cbranch_execnz .LBB31_1431
	s_branch .LBB31_1432
.LBB31_3481:
	s_movk_i32 s4, 0x80
	v_cmp_eq_u16_sdwa s[12:13], v6, s4 src0_sel:BYTE_3 src1_sel:DWORD
	s_mov_b64 s[4:5], -1
                                        ; implicit-def: $sgpr10
	s_and_saveexec_b64 s[8:9], s[12:13]
; %bb.3482:
	s_mov_b32 s10, 0x7f800001
	s_xor_b64 s[4:5], exec, -1
; %bb.3483:
	s_or_b64 exec, exec, s[8:9]
	s_and_b64 s[4:5], s[4:5], exec
	s_or_saveexec_b64 s[6:7], s[6:7]
	v_mov_b32_e32 v10, s10
	s_xor_b64 exec, exec, s[6:7]
	s_cbranch_execz .LBB31_1434
.LBB31_3484:
	v_mov_b32_e32 v10, 0
	v_cmp_ne_u16_sdwa s[8:9], v6, v10 src0_sel:BYTE_3 src1_sel:DWORD
	s_andn2_b64 s[4:5], s[4:5], exec
	s_and_b64 s[8:9], s[8:9], exec
	s_or_b64 s[4:5], s[4:5], s[8:9]
	s_or_b64 exec, exec, s[6:7]
	s_and_saveexec_b64 s[6:7], s[4:5]
	s_cbranch_execnz .LBB31_1435
	s_branch .LBB31_1436
.LBB31_3485:
	s_movk_i32 s4, 0x80
	v_cmp_eq_u16_sdwa s[12:13], v2, s4 src0_sel:BYTE_3 src1_sel:DWORD
	s_mov_b64 s[4:5], -1
                                        ; implicit-def: $sgpr10
	s_and_saveexec_b64 s[8:9], s[12:13]
; %bb.3486:
	s_mov_b32 s10, 0x7f800001
	s_xor_b64 s[4:5], exec, -1
; %bb.3487:
	s_or_b64 exec, exec, s[8:9]
	s_and_b64 s[4:5], s[4:5], exec
	s_or_saveexec_b64 s[6:7], s[6:7]
	v_mov_b32_e32 v6, s10
	s_xor_b64 exec, exec, s[6:7]
	s_cbranch_execz .LBB31_1438
.LBB31_3488:
	v_mov_b32_e32 v6, 0
	v_cmp_ne_u16_sdwa s[8:9], v2, v6 src0_sel:BYTE_3 src1_sel:DWORD
	s_andn2_b64 s[4:5], s[4:5], exec
	s_and_b64 s[8:9], s[8:9], exec
	s_or_b64 s[4:5], s[4:5], s[8:9]
	s_or_b64 exec, exec, s[6:7]
	s_and_saveexec_b64 s[6:7], s[4:5]
	s_cbranch_execnz .LBB31_1439
	s_branch .LBB31_1440
.LBB31_3489:
	s_movk_i32 s4, 0x80
	v_cmp_eq_u16_sdwa s[12:13], v7, s4 src0_sel:BYTE_0 src1_sel:DWORD
	s_mov_b64 s[4:5], -1
                                        ; implicit-def: $sgpr10
	s_and_saveexec_b64 s[8:9], s[12:13]
; %bb.3490:
	s_mov_b32 s10, 0x7f800001
	s_xor_b64 s[4:5], exec, -1
; %bb.3491:
	s_or_b64 exec, exec, s[8:9]
	s_and_b64 s[4:5], s[4:5], exec
	s_or_saveexec_b64 s[6:7], s[6:7]
	v_mov_b32_e32 v2, s10
	s_xor_b64 exec, exec, s[6:7]
	s_cbranch_execz .LBB31_1442
.LBB31_3492:
	v_mov_b32_e32 v2, 0
	v_cmp_ne_u16_sdwa s[8:9], v7, v2 src0_sel:BYTE_0 src1_sel:DWORD
	s_andn2_b64 s[4:5], s[4:5], exec
	s_and_b64 s[8:9], s[8:9], exec
	s_or_b64 s[4:5], s[4:5], s[8:9]
	s_or_b64 exec, exec, s[6:7]
	s_and_saveexec_b64 s[6:7], s[4:5]
	s_cbranch_execnz .LBB31_1443
	s_branch .LBB31_1444
.LBB31_3493:
	s_movk_i32 s4, 0x80
	v_cmp_eq_u16_sdwa s[12:13], v3, s4 src0_sel:BYTE_0 src1_sel:DWORD
	s_mov_b64 s[4:5], -1
                                        ; implicit-def: $sgpr10
	s_and_saveexec_b64 s[8:9], s[12:13]
; %bb.3494:
	s_mov_b32 s10, 0x7f800001
	s_xor_b64 s[4:5], exec, -1
; %bb.3495:
	s_or_b64 exec, exec, s[8:9]
	s_and_b64 s[4:5], s[4:5], exec
	s_or_saveexec_b64 s[6:7], s[6:7]
	v_mov_b32_e32 v6, s10
	s_xor_b64 exec, exec, s[6:7]
	s_cbranch_execz .LBB31_1446
.LBB31_3496:
	v_mov_b32_e32 v6, 0
	v_cmp_ne_u16_sdwa s[8:9], v3, v6 src0_sel:BYTE_0 src1_sel:DWORD
	s_andn2_b64 s[4:5], s[4:5], exec
	s_and_b64 s[8:9], s[8:9], exec
	s_or_b64 s[4:5], s[4:5], s[8:9]
	s_or_b64 exec, exec, s[6:7]
	s_and_saveexec_b64 s[6:7], s[4:5]
	s_cbranch_execnz .LBB31_1447
	s_branch .LBB31_1448
.LBB31_3497:
	s_movk_i32 s4, 0x80
	v_cmp_eq_u16_sdwa s[12:13], v6, s4 src0_sel:BYTE_0 src1_sel:DWORD
	s_mov_b64 s[4:5], -1
                                        ; implicit-def: $sgpr10
	s_and_saveexec_b64 s[8:9], s[12:13]
; %bb.3498:
	s_mov_b32 s10, 0x7f800001
	s_xor_b64 s[4:5], exec, -1
; %bb.3499:
	s_or_b64 exec, exec, s[8:9]
	s_and_b64 s[4:5], s[4:5], exec
	s_or_saveexec_b64 s[6:7], s[6:7]
	v_mov_b32_e32 v2, s10
	s_xor_b64 exec, exec, s[6:7]
	s_cbranch_execz .LBB31_1450
.LBB31_3500:
	v_mov_b32_e32 v2, 0
	v_cmp_ne_u16_sdwa s[8:9], v6, v2 src0_sel:BYTE_0 src1_sel:DWORD
	s_andn2_b64 s[4:5], s[4:5], exec
	s_and_b64 s[8:9], s[8:9], exec
	s_or_b64 s[4:5], s[4:5], s[8:9]
	s_or_b64 exec, exec, s[6:7]
	s_and_saveexec_b64 s[6:7], s[4:5]
	s_cbranch_execnz .LBB31_1451
	s_branch .LBB31_1452
.LBB31_3501:
	s_movk_i32 s4, 0x80
	v_cmp_eq_u16_sdwa s[12:13], v6, s4 src0_sel:BYTE_0 src1_sel:DWORD
	s_mov_b64 s[4:5], -1
                                        ; implicit-def: $sgpr10
	s_and_saveexec_b64 s[8:9], s[12:13]
; %bb.3502:
	s_mov_b32 s10, 0x7f800001
	s_xor_b64 s[4:5], exec, -1
; %bb.3503:
	s_or_b64 exec, exec, s[8:9]
	s_and_b64 s[4:5], s[4:5], exec
	s_or_saveexec_b64 s[6:7], s[6:7]
	v_mov_b32_e32 v10, s10
	s_xor_b64 exec, exec, s[6:7]
	s_cbranch_execz .LBB31_1454
.LBB31_3504:
	v_mov_b32_e32 v10, 0
	v_cmp_ne_u16_sdwa s[8:9], v6, v10 src0_sel:BYTE_0 src1_sel:DWORD
	s_andn2_b64 s[4:5], s[4:5], exec
	s_and_b64 s[8:9], s[8:9], exec
	s_or_b64 s[4:5], s[4:5], s[8:9]
	s_or_b64 exec, exec, s[6:7]
	s_and_saveexec_b64 s[6:7], s[4:5]
	s_cbranch_execnz .LBB31_1455
	s_branch .LBB31_1456
.LBB31_3505:
	s_movk_i32 s4, 0x80
	v_cmp_eq_u16_e32 vcc, s4, v6
	s_mov_b64 s[4:5], -1
                                        ; implicit-def: $sgpr10
	s_and_saveexec_b64 s[8:9], vcc
; %bb.3506:
	s_mov_b32 s10, 0x7f800001
	s_xor_b64 s[4:5], exec, -1
; %bb.3507:
	s_or_b64 exec, exec, s[8:9]
	s_and_b64 s[4:5], s[4:5], exec
                                        ; implicit-def: $vgpr6
	s_or_saveexec_b64 s[6:7], s[6:7]
	v_mov_b32_e32 v2, s10
	s_xor_b64 exec, exec, s[6:7]
	s_cbranch_execz .LBB31_1458
.LBB31_3508:
	v_cmp_ne_u16_e32 vcc, 0, v6
	s_andn2_b64 s[4:5], s[4:5], exec
	s_and_b64 s[8:9], vcc, exec
	v_mov_b32_e32 v2, 0
	s_or_b64 s[4:5], s[4:5], s[8:9]
	s_or_b64 exec, exec, s[6:7]
	s_and_saveexec_b64 s[6:7], s[4:5]
	s_cbranch_execnz .LBB31_1459
	s_branch .LBB31_1460
.LBB31_3509:
	s_movk_i32 s4, 0x80
	v_cmp_eq_u16_e32 vcc, s4, v6
	s_mov_b64 s[4:5], -1
                                        ; implicit-def: $sgpr10
	s_and_saveexec_b64 s[8:9], vcc
; %bb.3510:
	s_mov_b32 s10, 0x7f800001
	s_xor_b64 s[4:5], exec, -1
; %bb.3511:
	s_or_b64 exec, exec, s[8:9]
	s_and_b64 s[4:5], s[4:5], exec
                                        ; implicit-def: $vgpr6
	s_or_saveexec_b64 s[6:7], s[6:7]
	v_mov_b32_e32 v10, s10
	s_xor_b64 exec, exec, s[6:7]
	s_cbranch_execz .LBB31_1462
.LBB31_3512:
	v_cmp_ne_u16_e32 vcc, 0, v6
	s_andn2_b64 s[4:5], s[4:5], exec
	s_and_b64 s[8:9], vcc, exec
	v_mov_b32_e32 v10, 0
	s_or_b64 s[4:5], s[4:5], s[8:9]
	s_or_b64 exec, exec, s[6:7]
	s_and_saveexec_b64 s[6:7], s[4:5]
	s_cbranch_execnz .LBB31_1463
	s_branch .LBB31_1464
.LBB31_3513:
	s_movk_i32 s4, 0x80
	v_cmp_eq_u16_sdwa s[12:13], v7, s4 src0_sel:BYTE_3 src1_sel:DWORD
	s_mov_b64 s[4:5], -1
                                        ; implicit-def: $sgpr10
	s_and_saveexec_b64 s[8:9], s[12:13]
; %bb.3514:
	s_mov_b32 s10, 0x7f800001
	s_xor_b64 s[4:5], exec, -1
; %bb.3515:
	s_or_b64 exec, exec, s[8:9]
	s_and_b64 s[4:5], s[4:5], exec
	s_or_saveexec_b64 s[6:7], s[6:7]
	v_mov_b32_e32 v2, s10
	s_xor_b64 exec, exec, s[6:7]
	s_cbranch_execz .LBB31_1466
.LBB31_3516:
	v_mov_b32_e32 v2, 0
	v_cmp_ne_u16_sdwa s[8:9], v7, v2 src0_sel:BYTE_3 src1_sel:DWORD
	s_andn2_b64 s[4:5], s[4:5], exec
	s_and_b64 s[8:9], s[8:9], exec
	s_or_b64 s[4:5], s[4:5], s[8:9]
	s_or_b64 exec, exec, s[6:7]
	s_and_saveexec_b64 s[6:7], s[4:5]
	s_cbranch_execnz .LBB31_1467
	s_branch .LBB31_1468
.LBB31_3517:
	s_movk_i32 s4, 0x80
	v_cmp_eq_u16_sdwa s[12:13], v3, s4 src0_sel:BYTE_3 src1_sel:DWORD
	s_mov_b64 s[4:5], -1
                                        ; implicit-def: $sgpr10
	s_and_saveexec_b64 s[8:9], s[12:13]
; %bb.3518:
	s_mov_b32 s10, 0x7f800001
	s_xor_b64 s[4:5], exec, -1
; %bb.3519:
	s_or_b64 exec, exec, s[8:9]
	s_and_b64 s[4:5], s[4:5], exec
	s_or_saveexec_b64 s[6:7], s[6:7]
	v_mov_b32_e32 v6, s10
	s_xor_b64 exec, exec, s[6:7]
	s_cbranch_execz .LBB31_1470
.LBB31_3520:
	v_mov_b32_e32 v6, 0
	v_cmp_ne_u16_sdwa s[8:9], v3, v6 src0_sel:BYTE_3 src1_sel:DWORD
	s_andn2_b64 s[4:5], s[4:5], exec
	s_and_b64 s[8:9], s[8:9], exec
	s_or_b64 s[4:5], s[4:5], s[8:9]
	s_or_b64 exec, exec, s[6:7]
	s_and_saveexec_b64 s[6:7], s[4:5]
	s_cbranch_execnz .LBB31_1471
	s_branch .LBB31_1472
.LBB31_3521:
	s_movk_i32 s4, 0x80
	v_cmp_eq_u16_sdwa s[12:13], v8, s4 src0_sel:BYTE_0 src1_sel:DWORD
	s_mov_b64 s[4:5], -1
                                        ; implicit-def: $sgpr10
	s_and_saveexec_b64 s[8:9], s[12:13]
; %bb.3522:
	s_mov_b32 s10, 0x7f800001
	s_xor_b64 s[4:5], exec, -1
; %bb.3523:
	s_or_b64 exec, exec, s[8:9]
	s_and_b64 s[4:5], s[4:5], exec
	s_or_saveexec_b64 s[6:7], s[6:7]
	v_mov_b32_e32 v2, s10
	s_xor_b64 exec, exec, s[6:7]
	s_cbranch_execz .LBB31_1474
.LBB31_3524:
	v_mov_b32_e32 v2, 0
	v_cmp_ne_u16_sdwa s[8:9], v8, v2 src0_sel:BYTE_0 src1_sel:DWORD
	s_andn2_b64 s[4:5], s[4:5], exec
	s_and_b64 s[8:9], s[8:9], exec
	s_or_b64 s[4:5], s[4:5], s[8:9]
	s_or_b64 exec, exec, s[6:7]
	s_and_saveexec_b64 s[6:7], s[4:5]
	s_cbranch_execnz .LBB31_1475
	s_branch .LBB31_1476
.LBB31_3525:
	s_movk_i32 s4, 0x80
	v_cmp_eq_u16_sdwa s[12:13], v4, s4 src0_sel:BYTE_0 src1_sel:DWORD
	s_mov_b64 s[4:5], -1
                                        ; implicit-def: $sgpr10
	s_and_saveexec_b64 s[8:9], s[12:13]
; %bb.3526:
	s_mov_b32 s10, 0x7f800001
	s_xor_b64 s[4:5], exec, -1
; %bb.3527:
	s_or_b64 exec, exec, s[8:9]
	s_and_b64 s[4:5], s[4:5], exec
	s_or_saveexec_b64 s[6:7], s[6:7]
	v_mov_b32_e32 v3, s10
	s_xor_b64 exec, exec, s[6:7]
	s_cbranch_execz .LBB31_1478
.LBB31_3528:
	v_mov_b32_e32 v3, 0
	v_cmp_ne_u16_sdwa s[8:9], v4, v3 src0_sel:BYTE_0 src1_sel:DWORD
	s_andn2_b64 s[4:5], s[4:5], exec
	s_and_b64 s[8:9], s[8:9], exec
	s_or_b64 s[4:5], s[4:5], s[8:9]
	s_or_b64 exec, exec, s[6:7]
	s_and_saveexec_b64 s[6:7], s[4:5]
	s_cbranch_execnz .LBB31_1479
	s_branch .LBB31_1480
.LBB31_3529:
	s_movk_i32 s4, 0x80
	v_cmp_eq_u16_sdwa s[12:13], v3, s4 src0_sel:BYTE_0 src1_sel:DWORD
	s_mov_b64 s[4:5], -1
                                        ; implicit-def: $sgpr10
	s_and_saveexec_b64 s[8:9], s[12:13]
; %bb.3530:
	s_mov_b32 s10, 0x7f800001
	s_xor_b64 s[4:5], exec, -1
; %bb.3531:
	s_or_b64 exec, exec, s[8:9]
	s_and_b64 s[4:5], s[4:5], exec
	s_or_saveexec_b64 s[6:7], s[6:7]
	v_mov_b32_e32 v2, s10
	s_xor_b64 exec, exec, s[6:7]
	s_cbranch_execz .LBB31_1482
.LBB31_3532:
	v_mov_b32_e32 v2, 0
	v_cmp_ne_u16_sdwa s[8:9], v3, v2 src0_sel:BYTE_0 src1_sel:DWORD
	s_andn2_b64 s[4:5], s[4:5], exec
	s_and_b64 s[8:9], s[8:9], exec
	s_or_b64 s[4:5], s[4:5], s[8:9]
	s_or_b64 exec, exec, s[6:7]
	s_and_saveexec_b64 s[6:7], s[4:5]
	s_cbranch_execnz .LBB31_1483
	s_branch .LBB31_1484
.LBB31_3533:
	s_movk_i32 s4, 0x80
	v_cmp_eq_u16_sdwa s[12:13], v3, s4 src0_sel:BYTE_0 src1_sel:DWORD
	s_mov_b64 s[4:5], -1
                                        ; implicit-def: $sgpr10
	s_and_saveexec_b64 s[8:9], s[12:13]
; %bb.3534:
	s_mov_b32 s10, 0x7f800001
	s_xor_b64 s[4:5], exec, -1
; %bb.3535:
	s_or_b64 exec, exec, s[8:9]
	s_and_b64 s[4:5], s[4:5], exec
	s_or_saveexec_b64 s[6:7], s[6:7]
	v_mov_b32_e32 v6, s10
	s_xor_b64 exec, exec, s[6:7]
	s_cbranch_execz .LBB31_1486
.LBB31_3536:
	v_mov_b32_e32 v6, 0
	v_cmp_ne_u16_sdwa s[8:9], v3, v6 src0_sel:BYTE_0 src1_sel:DWORD
	s_andn2_b64 s[4:5], s[4:5], exec
	s_and_b64 s[8:9], s[8:9], exec
	s_or_b64 s[4:5], s[4:5], s[8:9]
	s_or_b64 exec, exec, s[6:7]
	s_and_saveexec_b64 s[6:7], s[4:5]
	s_cbranch_execnz .LBB31_1487
	s_branch .LBB31_1488
.LBB31_3537:
	s_movk_i32 s4, 0x80
	v_cmp_eq_u16_e32 vcc, s4, v3
	s_mov_b64 s[4:5], -1
                                        ; implicit-def: $sgpr10
	s_and_saveexec_b64 s[8:9], vcc
; %bb.3538:
	s_mov_b32 s10, 0x7f800001
	s_xor_b64 s[4:5], exec, -1
; %bb.3539:
	s_or_b64 exec, exec, s[8:9]
	s_and_b64 s[4:5], s[4:5], exec
                                        ; implicit-def: $vgpr3
	s_or_saveexec_b64 s[6:7], s[6:7]
	v_mov_b32_e32 v2, s10
	s_xor_b64 exec, exec, s[6:7]
	s_cbranch_execz .LBB31_1490
.LBB31_3540:
	v_cmp_ne_u16_e32 vcc, 0, v3
	s_andn2_b64 s[4:5], s[4:5], exec
	s_and_b64 s[8:9], vcc, exec
	v_mov_b32_e32 v2, 0
	s_or_b64 s[4:5], s[4:5], s[8:9]
	s_or_b64 exec, exec, s[6:7]
	s_and_saveexec_b64 s[6:7], s[4:5]
	s_cbranch_execnz .LBB31_1491
	s_branch .LBB31_1492
.LBB31_3541:
	s_movk_i32 s4, 0x80
	v_cmp_eq_u16_e32 vcc, s4, v3
	s_mov_b64 s[4:5], -1
                                        ; implicit-def: $sgpr10
	s_and_saveexec_b64 s[8:9], vcc
; %bb.3542:
	s_mov_b32 s10, 0x7f800001
	s_xor_b64 s[4:5], exec, -1
; %bb.3543:
	s_or_b64 exec, exec, s[8:9]
	s_and_b64 s[4:5], s[4:5], exec
                                        ; implicit-def: $vgpr3
	s_or_saveexec_b64 s[6:7], s[6:7]
	v_mov_b32_e32 v6, s10
	s_xor_b64 exec, exec, s[6:7]
	s_cbranch_execz .LBB31_1494
.LBB31_3544:
	v_cmp_ne_u16_e32 vcc, 0, v3
	s_andn2_b64 s[4:5], s[4:5], exec
	s_and_b64 s[8:9], vcc, exec
	v_mov_b32_e32 v6, 0
	s_or_b64 s[4:5], s[4:5], s[8:9]
	s_or_b64 exec, exec, s[6:7]
	s_and_saveexec_b64 s[6:7], s[4:5]
	s_cbranch_execnz .LBB31_1495
	s_branch .LBB31_1496
.LBB31_3545:
	s_movk_i32 s4, 0x80
	v_cmp_eq_u16_sdwa s[12:13], v8, s4 src0_sel:BYTE_3 src1_sel:DWORD
	s_mov_b64 s[4:5], -1
                                        ; implicit-def: $sgpr10
	s_and_saveexec_b64 s[8:9], s[12:13]
; %bb.3546:
	s_mov_b32 s10, 0x7f800001
	s_xor_b64 s[4:5], exec, -1
; %bb.3547:
	s_or_b64 exec, exec, s[8:9]
	s_and_b64 s[4:5], s[4:5], exec
	s_or_saveexec_b64 s[6:7], s[6:7]
	v_mov_b32_e32 v2, s10
	s_xor_b64 exec, exec, s[6:7]
	s_cbranch_execz .LBB31_1498
.LBB31_3548:
	v_mov_b32_e32 v2, 0
	v_cmp_ne_u16_sdwa s[8:9], v8, v2 src0_sel:BYTE_3 src1_sel:DWORD
	s_andn2_b64 s[4:5], s[4:5], exec
	s_and_b64 s[8:9], s[8:9], exec
	s_or_b64 s[4:5], s[4:5], s[8:9]
	s_or_b64 exec, exec, s[6:7]
	s_and_saveexec_b64 s[6:7], s[4:5]
	s_cbranch_execnz .LBB31_1499
	s_branch .LBB31_1500
.LBB31_3549:
	s_movk_i32 s4, 0x80
	v_cmp_eq_u16_sdwa s[12:13], v4, s4 src0_sel:BYTE_3 src1_sel:DWORD
	s_mov_b64 s[4:5], -1
                                        ; implicit-def: $sgpr10
	s_and_saveexec_b64 s[8:9], s[12:13]
; %bb.3550:
	s_mov_b32 s10, 0x7f800001
	s_xor_b64 s[4:5], exec, -1
; %bb.3551:
	s_or_b64 exec, exec, s[8:9]
	s_and_b64 s[4:5], s[4:5], exec
	s_or_saveexec_b64 s[6:7], s[6:7]
	v_mov_b32_e32 v3, s10
	s_xor_b64 exec, exec, s[6:7]
	s_cbranch_execz .LBB31_1502
.LBB31_3552:
	v_mov_b32_e32 v3, 0
	v_cmp_ne_u16_sdwa s[8:9], v4, v3 src0_sel:BYTE_3 src1_sel:DWORD
	s_andn2_b64 s[4:5], s[4:5], exec
	s_and_b64 s[8:9], s[8:9], exec
	s_or_b64 s[4:5], s[4:5], s[8:9]
	s_or_b64 exec, exec, s[6:7]
	s_and_saveexec_b64 s[6:7], s[4:5]
	s_cbranch_execnz .LBB31_1503
	s_branch .LBB31_1504
.LBB31_3553:
	s_movk_i32 s4, 0x80
	v_cmp_eq_u16_sdwa s[12:13], v9, s4 src0_sel:BYTE_0 src1_sel:DWORD
	s_mov_b64 s[4:5], -1
                                        ; implicit-def: $sgpr10
	s_and_saveexec_b64 s[8:9], s[12:13]
; %bb.3554:
	s_mov_b32 s10, 0x7f800001
	s_xor_b64 s[4:5], exec, -1
; %bb.3555:
	s_or_b64 exec, exec, s[8:9]
	s_and_b64 s[4:5], s[4:5], exec
	s_or_saveexec_b64 s[6:7], s[6:7]
	v_mov_b32_e32 v2, s10
	s_xor_b64 exec, exec, s[6:7]
	s_cbranch_execz .LBB31_1506
.LBB31_3556:
	v_mov_b32_e32 v2, 0
	v_cmp_ne_u16_sdwa s[8:9], v9, v2 src0_sel:BYTE_0 src1_sel:DWORD
	s_andn2_b64 s[4:5], s[4:5], exec
	s_and_b64 s[8:9], s[8:9], exec
	s_or_b64 s[4:5], s[4:5], s[8:9]
	s_or_b64 exec, exec, s[6:7]
	s_and_saveexec_b64 s[6:7], s[4:5]
	s_cbranch_execnz .LBB31_1507
	s_branch .LBB31_1508
.LBB31_3557:
	s_movk_i32 s4, 0x80
	v_cmp_eq_u16_sdwa s[12:13], v5, s4 src0_sel:BYTE_0 src1_sel:DWORD
	s_mov_b64 s[4:5], -1
                                        ; implicit-def: $sgpr10
	s_and_saveexec_b64 s[8:9], s[12:13]
; %bb.3558:
	s_mov_b32 s10, 0x7f800001
	s_xor_b64 s[4:5], exec, -1
; %bb.3559:
	s_or_b64 exec, exec, s[8:9]
	s_and_b64 s[4:5], s[4:5], exec
	s_or_saveexec_b64 s[6:7], s[6:7]
	v_mov_b32_e32 v3, s10
	s_xor_b64 exec, exec, s[6:7]
	s_cbranch_execz .LBB31_1510
.LBB31_3560:
	v_mov_b32_e32 v3, 0
	v_cmp_ne_u16_sdwa s[8:9], v5, v3 src0_sel:BYTE_0 src1_sel:DWORD
	s_andn2_b64 s[4:5], s[4:5], exec
	s_and_b64 s[8:9], s[8:9], exec
	s_or_b64 s[4:5], s[4:5], s[8:9]
	s_or_b64 exec, exec, s[6:7]
	s_and_saveexec_b64 s[6:7], s[4:5]
	s_cbranch_execnz .LBB31_1511
	s_branch .LBB31_1512
.LBB31_3561:
	s_movk_i32 s4, 0x80
	v_cmp_eq_u16_sdwa s[12:13], v3, s4 src0_sel:BYTE_0 src1_sel:DWORD
	s_mov_b64 s[4:5], -1
                                        ; implicit-def: $sgpr10
	s_and_saveexec_b64 s[8:9], s[12:13]
; %bb.3562:
	s_mov_b32 s10, 0x7f800001
	s_xor_b64 s[4:5], exec, -1
; %bb.3563:
	s_or_b64 exec, exec, s[8:9]
	s_and_b64 s[4:5], s[4:5], exec
	s_or_saveexec_b64 s[6:7], s[6:7]
	v_mov_b32_e32 v2, s10
	s_xor_b64 exec, exec, s[6:7]
	s_cbranch_execz .LBB31_1514
.LBB31_3564:
	v_mov_b32_e32 v2, 0
	v_cmp_ne_u16_sdwa s[8:9], v3, v2 src0_sel:BYTE_0 src1_sel:DWORD
	s_andn2_b64 s[4:5], s[4:5], exec
	s_and_b64 s[8:9], s[8:9], exec
	s_or_b64 s[4:5], s[4:5], s[8:9]
	s_or_b64 exec, exec, s[6:7]
	s_and_saveexec_b64 s[6:7], s[4:5]
	s_cbranch_execnz .LBB31_1515
	s_branch .LBB31_1516
.LBB31_3565:
	s_movk_i32 s4, 0x80
	v_cmp_eq_u16_sdwa s[12:13], v3, s4 src0_sel:BYTE_0 src1_sel:DWORD
	s_mov_b64 s[4:5], -1
                                        ; implicit-def: $sgpr10
	s_and_saveexec_b64 s[8:9], s[12:13]
; %bb.3566:
	s_mov_b32 s10, 0x7f800001
	s_xor_b64 s[4:5], exec, -1
; %bb.3567:
	s_or_b64 exec, exec, s[8:9]
	s_and_b64 s[4:5], s[4:5], exec
	s_or_saveexec_b64 s[6:7], s[6:7]
	v_mov_b32_e32 v4, s10
	s_xor_b64 exec, exec, s[6:7]
	s_cbranch_execz .LBB31_1518
.LBB31_3568:
	v_mov_b32_e32 v4, 0
	v_cmp_ne_u16_sdwa s[8:9], v3, v4 src0_sel:BYTE_0 src1_sel:DWORD
	s_andn2_b64 s[4:5], s[4:5], exec
	s_and_b64 s[8:9], s[8:9], exec
	s_or_b64 s[4:5], s[4:5], s[8:9]
	s_or_b64 exec, exec, s[6:7]
	s_and_saveexec_b64 s[6:7], s[4:5]
	s_cbranch_execnz .LBB31_1519
	s_branch .LBB31_1520
.LBB31_3569:
	s_movk_i32 s4, 0x80
	v_cmp_eq_u16_e32 vcc, s4, v3
	s_mov_b64 s[4:5], -1
                                        ; implicit-def: $sgpr10
	s_and_saveexec_b64 s[8:9], vcc
; %bb.3570:
	s_mov_b32 s10, 0x7f800001
	s_xor_b64 s[4:5], exec, -1
; %bb.3571:
	s_or_b64 exec, exec, s[8:9]
	s_and_b64 s[4:5], s[4:5], exec
                                        ; implicit-def: $vgpr3
	s_or_saveexec_b64 s[6:7], s[6:7]
	v_mov_b32_e32 v2, s10
	s_xor_b64 exec, exec, s[6:7]
	s_cbranch_execz .LBB31_1522
.LBB31_3572:
	v_cmp_ne_u16_e32 vcc, 0, v3
	s_andn2_b64 s[4:5], s[4:5], exec
	s_and_b64 s[8:9], vcc, exec
	v_mov_b32_e32 v2, 0
	s_or_b64 s[4:5], s[4:5], s[8:9]
	s_or_b64 exec, exec, s[6:7]
	s_and_saveexec_b64 s[6:7], s[4:5]
	s_cbranch_execnz .LBB31_1523
	s_branch .LBB31_1524
.LBB31_3573:
	s_movk_i32 s4, 0x80
	v_cmp_eq_u16_e32 vcc, s4, v3
	s_mov_b64 s[4:5], -1
                                        ; implicit-def: $sgpr10
	s_and_saveexec_b64 s[8:9], vcc
; %bb.3574:
	s_mov_b32 s10, 0x7f800001
	s_xor_b64 s[4:5], exec, -1
; %bb.3575:
	s_or_b64 exec, exec, s[8:9]
	s_and_b64 s[4:5], s[4:5], exec
                                        ; implicit-def: $vgpr3
	s_or_saveexec_b64 s[6:7], s[6:7]
	v_mov_b32_e32 v4, s10
	s_xor_b64 exec, exec, s[6:7]
	s_cbranch_execz .LBB31_1526
.LBB31_3576:
	v_cmp_ne_u16_e32 vcc, 0, v3
	s_andn2_b64 s[4:5], s[4:5], exec
	s_and_b64 s[8:9], vcc, exec
	v_mov_b32_e32 v4, 0
	s_or_b64 s[4:5], s[4:5], s[8:9]
	s_or_b64 exec, exec, s[6:7]
	s_and_saveexec_b64 s[6:7], s[4:5]
	s_cbranch_execnz .LBB31_1527
	s_branch .LBB31_1528
.LBB31_3577:
	s_movk_i32 s4, 0x80
	v_cmp_eq_u16_sdwa s[12:13], v9, s4 src0_sel:BYTE_3 src1_sel:DWORD
	s_mov_b64 s[4:5], -1
                                        ; implicit-def: $sgpr10
	s_and_saveexec_b64 s[8:9], s[12:13]
; %bb.3578:
	s_mov_b32 s10, 0x7f800001
	s_xor_b64 s[4:5], exec, -1
; %bb.3579:
	s_or_b64 exec, exec, s[8:9]
	s_and_b64 s[4:5], s[4:5], exec
	s_or_saveexec_b64 s[6:7], s[6:7]
	v_mov_b32_e32 v2, s10
	s_xor_b64 exec, exec, s[6:7]
	s_cbranch_execz .LBB31_1530
.LBB31_3580:
	v_mov_b32_e32 v2, 0
	v_cmp_ne_u16_sdwa s[8:9], v9, v2 src0_sel:BYTE_3 src1_sel:DWORD
	s_andn2_b64 s[4:5], s[4:5], exec
	s_and_b64 s[8:9], s[8:9], exec
	s_or_b64 s[4:5], s[4:5], s[8:9]
	s_or_b64 exec, exec, s[6:7]
	s_and_saveexec_b64 s[6:7], s[4:5]
	s_cbranch_execnz .LBB31_1531
	s_branch .LBB31_1532
.LBB31_3581:
	s_movk_i32 s4, 0x80
	v_cmp_eq_u16_sdwa s[12:13], v5, s4 src0_sel:BYTE_3 src1_sel:DWORD
	s_mov_b64 s[4:5], -1
                                        ; implicit-def: $sgpr10
	s_and_saveexec_b64 s[8:9], s[12:13]
; %bb.3582:
	s_mov_b32 s10, 0x7f800001
	s_xor_b64 s[4:5], exec, -1
; %bb.3583:
	s_or_b64 exec, exec, s[8:9]
	s_and_b64 s[4:5], s[4:5], exec
	s_or_saveexec_b64 s[6:7], s[6:7]
	v_mov_b32_e32 v3, s10
	s_xor_b64 exec, exec, s[6:7]
	s_cbranch_execz .LBB31_1534
.LBB31_3584:
	v_mov_b32_e32 v3, 0
	v_cmp_ne_u16_sdwa s[8:9], v5, v3 src0_sel:BYTE_3 src1_sel:DWORD
	s_andn2_b64 s[4:5], s[4:5], exec
	s_and_b64 s[8:9], s[8:9], exec
	s_or_b64 s[4:5], s[4:5], s[8:9]
	s_or_b64 exec, exec, s[6:7]
	s_and_saveexec_b64 s[6:7], s[4:5]
	s_cbranch_execnz .LBB31_1535
	s_branch .LBB31_1536
.LBB31_3585:
	s_movk_i32 s4, 0x80
	v_cmp_eq_u16_sdwa s[12:13], v14, s4 src0_sel:BYTE_0 src1_sel:DWORD
	s_mov_b64 s[4:5], -1
                                        ; implicit-def: $sgpr10
	s_and_saveexec_b64 s[8:9], s[12:13]
; %bb.3586:
	s_mov_b32 s10, 0x7f800001
	s_xor_b64 s[4:5], exec, -1
; %bb.3587:
	s_or_b64 exec, exec, s[8:9]
	s_and_b64 s[4:5], s[4:5], exec
	s_or_saveexec_b64 s[6:7], s[6:7]
	v_mov_b32_e32 v20, s10
	s_xor_b64 exec, exec, s[6:7]
	s_cbranch_execz .LBB31_1538
.LBB31_3588:
	v_mov_b32_e32 v20, 0
	v_cmp_ne_u16_sdwa s[8:9], v14, v20 src0_sel:BYTE_0 src1_sel:DWORD
	s_andn2_b64 s[4:5], s[4:5], exec
	s_and_b64 s[8:9], s[8:9], exec
	s_or_b64 s[4:5], s[4:5], s[8:9]
	s_or_b64 exec, exec, s[6:7]
	s_and_saveexec_b64 s[6:7], s[4:5]
	s_cbranch_execnz .LBB31_1539
	s_branch .LBB31_1540
.LBB31_3589:
	s_movk_i32 s4, 0x80
	v_cmp_eq_u16_sdwa s[12:13], v10, s4 src0_sel:BYTE_0 src1_sel:DWORD
	s_mov_b64 s[4:5], -1
                                        ; implicit-def: $sgpr10
	s_and_saveexec_b64 s[8:9], s[12:13]
; %bb.3590:
	s_mov_b32 s10, 0x7f800001
	s_xor_b64 s[4:5], exec, -1
; %bb.3591:
	s_or_b64 exec, exec, s[8:9]
	s_and_b64 s[4:5], s[4:5], exec
	s_or_saveexec_b64 s[6:7], s[6:7]
	v_mov_b32_e32 v21, s10
	s_xor_b64 exec, exec, s[6:7]
	s_cbranch_execz .LBB31_1542
.LBB31_3592:
	v_mov_b32_e32 v21, 0
	v_cmp_ne_u16_sdwa s[8:9], v10, v21 src0_sel:BYTE_0 src1_sel:DWORD
	s_andn2_b64 s[4:5], s[4:5], exec
	s_and_b64 s[8:9], s[8:9], exec
	s_or_b64 s[4:5], s[4:5], s[8:9]
	s_or_b64 exec, exec, s[6:7]
	s_and_saveexec_b64 s[6:7], s[4:5]
	s_cbranch_execnz .LBB31_1543
	s_branch .LBB31_1544
.LBB31_3593:
	s_movk_i32 s4, 0x80
	v_cmp_eq_u16_sdwa s[12:13], v21, s4 src0_sel:BYTE_0 src1_sel:DWORD
	s_mov_b64 s[4:5], -1
                                        ; implicit-def: $sgpr10
	s_and_saveexec_b64 s[8:9], s[12:13]
; %bb.3594:
	s_mov_b32 s10, 0x7f800001
	s_xor_b64 s[4:5], exec, -1
; %bb.3595:
	s_or_b64 exec, exec, s[8:9]
	s_and_b64 s[4:5], s[4:5], exec
	s_or_saveexec_b64 s[6:7], s[6:7]
	v_mov_b32_e32 v20, s10
	s_xor_b64 exec, exec, s[6:7]
	s_cbranch_execz .LBB31_1546
.LBB31_3596:
	v_mov_b32_e32 v20, 0
	v_cmp_ne_u16_sdwa s[8:9], v21, v20 src0_sel:BYTE_0 src1_sel:DWORD
	s_andn2_b64 s[4:5], s[4:5], exec
	s_and_b64 s[8:9], s[8:9], exec
	s_or_b64 s[4:5], s[4:5], s[8:9]
	s_or_b64 exec, exec, s[6:7]
	s_and_saveexec_b64 s[6:7], s[4:5]
	s_cbranch_execnz .LBB31_1547
	s_branch .LBB31_1548
.LBB31_3597:
	s_movk_i32 s4, 0x80
	v_cmp_eq_u16_sdwa s[12:13], v21, s4 src0_sel:BYTE_0 src1_sel:DWORD
	s_mov_b64 s[4:5], -1
                                        ; implicit-def: $sgpr10
	s_and_saveexec_b64 s[8:9], s[12:13]
; %bb.3598:
	s_mov_b32 s10, 0x7f800001
	s_xor_b64 s[4:5], exec, -1
; %bb.3599:
	s_or_b64 exec, exec, s[8:9]
	s_and_b64 s[4:5], s[4:5], exec
	s_or_saveexec_b64 s[6:7], s[6:7]
	v_mov_b32_e32 v22, s10
	s_xor_b64 exec, exec, s[6:7]
	s_cbranch_execz .LBB31_1550
.LBB31_3600:
	v_mov_b32_e32 v22, 0
	v_cmp_ne_u16_sdwa s[8:9], v21, v22 src0_sel:BYTE_0 src1_sel:DWORD
	s_andn2_b64 s[4:5], s[4:5], exec
	s_and_b64 s[8:9], s[8:9], exec
	s_or_b64 s[4:5], s[4:5], s[8:9]
	s_or_b64 exec, exec, s[6:7]
	s_and_saveexec_b64 s[6:7], s[4:5]
	s_cbranch_execnz .LBB31_1551
	s_branch .LBB31_1552
.LBB31_3601:
	s_movk_i32 s4, 0x80
	v_cmp_eq_u16_e32 vcc, s4, v21
	s_mov_b64 s[4:5], -1
                                        ; implicit-def: $sgpr10
	s_and_saveexec_b64 s[8:9], vcc
; %bb.3602:
	s_mov_b32 s10, 0x7f800001
	s_xor_b64 s[4:5], exec, -1
; %bb.3603:
	s_or_b64 exec, exec, s[8:9]
	s_and_b64 s[4:5], s[4:5], exec
                                        ; implicit-def: $vgpr21
	s_or_saveexec_b64 s[6:7], s[6:7]
	v_mov_b32_e32 v20, s10
	s_xor_b64 exec, exec, s[6:7]
	s_cbranch_execz .LBB31_1554
.LBB31_3604:
	v_cmp_ne_u16_e32 vcc, 0, v21
	s_andn2_b64 s[4:5], s[4:5], exec
	s_and_b64 s[8:9], vcc, exec
	v_mov_b32_e32 v20, 0
	s_or_b64 s[4:5], s[4:5], s[8:9]
	s_or_b64 exec, exec, s[6:7]
	s_and_saveexec_b64 s[6:7], s[4:5]
	s_cbranch_execnz .LBB31_1555
	s_branch .LBB31_1556
.LBB31_3605:
	s_movk_i32 s4, 0x80
	v_cmp_eq_u16_e32 vcc, s4, v21
	s_mov_b64 s[4:5], -1
                                        ; implicit-def: $sgpr10
	s_and_saveexec_b64 s[8:9], vcc
; %bb.3606:
	s_mov_b32 s10, 0x7f800001
	s_xor_b64 s[4:5], exec, -1
; %bb.3607:
	s_or_b64 exec, exec, s[8:9]
	s_and_b64 s[4:5], s[4:5], exec
                                        ; implicit-def: $vgpr21
	s_or_saveexec_b64 s[6:7], s[6:7]
	v_mov_b32_e32 v22, s10
	s_xor_b64 exec, exec, s[6:7]
	s_cbranch_execz .LBB31_1558
.LBB31_3608:
	v_cmp_ne_u16_e32 vcc, 0, v21
	s_andn2_b64 s[4:5], s[4:5], exec
	s_and_b64 s[8:9], vcc, exec
	v_mov_b32_e32 v22, 0
	s_or_b64 s[4:5], s[4:5], s[8:9]
	s_or_b64 exec, exec, s[6:7]
	s_and_saveexec_b64 s[6:7], s[4:5]
	s_cbranch_execnz .LBB31_1559
	s_branch .LBB31_1560
.LBB31_3609:
	s_movk_i32 s4, 0x80
	v_cmp_eq_u16_sdwa s[12:13], v14, s4 src0_sel:BYTE_3 src1_sel:DWORD
	s_mov_b64 s[4:5], -1
                                        ; implicit-def: $sgpr10
	s_and_saveexec_b64 s[8:9], s[12:13]
; %bb.3610:
	s_mov_b32 s10, 0x7f800001
	s_xor_b64 s[4:5], exec, -1
; %bb.3611:
	s_or_b64 exec, exec, s[8:9]
	s_and_b64 s[4:5], s[4:5], exec
	s_or_saveexec_b64 s[6:7], s[6:7]
	v_mov_b32_e32 v20, s10
	s_xor_b64 exec, exec, s[6:7]
	s_cbranch_execz .LBB31_1562
.LBB31_3612:
	v_mov_b32_e32 v20, 0
	v_cmp_ne_u16_sdwa s[8:9], v14, v20 src0_sel:BYTE_3 src1_sel:DWORD
	s_andn2_b64 s[4:5], s[4:5], exec
	s_and_b64 s[8:9], s[8:9], exec
	s_or_b64 s[4:5], s[4:5], s[8:9]
	s_or_b64 exec, exec, s[6:7]
	s_and_saveexec_b64 s[6:7], s[4:5]
	s_cbranch_execnz .LBB31_1563
	s_branch .LBB31_1564
.LBB31_3613:
	s_movk_i32 s4, 0x80
	v_cmp_eq_u16_sdwa s[12:13], v10, s4 src0_sel:BYTE_3 src1_sel:DWORD
	s_mov_b64 s[4:5], -1
                                        ; implicit-def: $sgpr10
	s_and_saveexec_b64 s[8:9], s[12:13]
; %bb.3614:
	s_mov_b32 s10, 0x7f800001
	s_xor_b64 s[4:5], exec, -1
; %bb.3615:
	s_or_b64 exec, exec, s[8:9]
	s_and_b64 s[4:5], s[4:5], exec
	s_or_saveexec_b64 s[6:7], s[6:7]
	v_mov_b32_e32 v14, s10
	s_xor_b64 exec, exec, s[6:7]
	s_cbranch_execz .LBB31_1566
.LBB31_3616:
	v_mov_b32_e32 v14, 0
	v_cmp_ne_u16_sdwa s[8:9], v10, v14 src0_sel:BYTE_3 src1_sel:DWORD
	s_andn2_b64 s[4:5], s[4:5], exec
	s_and_b64 s[8:9], s[8:9], exec
	s_or_b64 s[4:5], s[4:5], s[8:9]
	s_or_b64 exec, exec, s[6:7]
	s_and_saveexec_b64 s[6:7], s[4:5]
	s_cbranch_execnz .LBB31_1567
	s_branch .LBB31_1568
.LBB31_3617:
	s_movk_i32 s4, 0x80
	v_cmp_eq_u16_sdwa s[12:13], v15, s4 src0_sel:BYTE_0 src1_sel:DWORD
	s_mov_b64 s[4:5], -1
                                        ; implicit-def: $sgpr10
	s_and_saveexec_b64 s[8:9], s[12:13]
; %bb.3618:
	s_mov_b32 s10, 0x7f800001
	s_xor_b64 s[4:5], exec, -1
; %bb.3619:
	s_or_b64 exec, exec, s[8:9]
	s_and_b64 s[4:5], s[4:5], exec
	s_or_saveexec_b64 s[6:7], s[6:7]
	v_mov_b32_e32 v10, s10
	s_xor_b64 exec, exec, s[6:7]
	s_cbranch_execz .LBB31_1570
.LBB31_3620:
	v_mov_b32_e32 v10, 0
	v_cmp_ne_u16_sdwa s[8:9], v15, v10 src0_sel:BYTE_0 src1_sel:DWORD
	s_andn2_b64 s[4:5], s[4:5], exec
	s_and_b64 s[8:9], s[8:9], exec
	s_or_b64 s[4:5], s[4:5], s[8:9]
	s_or_b64 exec, exec, s[6:7]
	s_and_saveexec_b64 s[6:7], s[4:5]
	s_cbranch_execnz .LBB31_1571
	s_branch .LBB31_1572
.LBB31_3621:
	s_movk_i32 s4, 0x80
	v_cmp_eq_u16_sdwa s[12:13], v11, s4 src0_sel:BYTE_0 src1_sel:DWORD
	s_mov_b64 s[4:5], -1
                                        ; implicit-def: $sgpr10
	s_and_saveexec_b64 s[8:9], s[12:13]
; %bb.3622:
	s_mov_b32 s10, 0x7f800001
	s_xor_b64 s[4:5], exec, -1
; %bb.3623:
	s_or_b64 exec, exec, s[8:9]
	s_and_b64 s[4:5], s[4:5], exec
	s_or_saveexec_b64 s[6:7], s[6:7]
	v_mov_b32_e32 v14, s10
	s_xor_b64 exec, exec, s[6:7]
	s_cbranch_execz .LBB31_1574
.LBB31_3624:
	v_mov_b32_e32 v14, 0
	v_cmp_ne_u16_sdwa s[8:9], v11, v14 src0_sel:BYTE_0 src1_sel:DWORD
	s_andn2_b64 s[4:5], s[4:5], exec
	s_and_b64 s[8:9], s[8:9], exec
	s_or_b64 s[4:5], s[4:5], s[8:9]
	s_or_b64 exec, exec, s[6:7]
	s_and_saveexec_b64 s[6:7], s[4:5]
	s_cbranch_execnz .LBB31_1575
	s_branch .LBB31_1576
.LBB31_3625:
	s_movk_i32 s4, 0x80
	v_cmp_eq_u16_sdwa s[12:13], v14, s4 src0_sel:BYTE_0 src1_sel:DWORD
	s_mov_b64 s[4:5], -1
                                        ; implicit-def: $sgpr10
	s_and_saveexec_b64 s[8:9], s[12:13]
; %bb.3626:
	s_mov_b32 s10, 0x7f800001
	s_xor_b64 s[4:5], exec, -1
; %bb.3627:
	s_or_b64 exec, exec, s[8:9]
	s_and_b64 s[4:5], s[4:5], exec
	s_or_saveexec_b64 s[6:7], s[6:7]
	v_mov_b32_e32 v10, s10
	s_xor_b64 exec, exec, s[6:7]
	s_cbranch_execz .LBB31_1578
.LBB31_3628:
	v_mov_b32_e32 v10, 0
	v_cmp_ne_u16_sdwa s[8:9], v14, v10 src0_sel:BYTE_0 src1_sel:DWORD
	s_andn2_b64 s[4:5], s[4:5], exec
	s_and_b64 s[8:9], s[8:9], exec
	s_or_b64 s[4:5], s[4:5], s[8:9]
	s_or_b64 exec, exec, s[6:7]
	s_and_saveexec_b64 s[6:7], s[4:5]
	s_cbranch_execnz .LBB31_1579
	s_branch .LBB31_1580
.LBB31_3629:
	s_movk_i32 s4, 0x80
	v_cmp_eq_u16_sdwa s[12:13], v14, s4 src0_sel:BYTE_0 src1_sel:DWORD
	s_mov_b64 s[4:5], -1
                                        ; implicit-def: $sgpr10
	s_and_saveexec_b64 s[8:9], s[12:13]
; %bb.3630:
	s_mov_b32 s10, 0x7f800001
	s_xor_b64 s[4:5], exec, -1
; %bb.3631:
	s_or_b64 exec, exec, s[8:9]
	s_and_b64 s[4:5], s[4:5], exec
	s_or_saveexec_b64 s[6:7], s[6:7]
	v_mov_b32_e32 v20, s10
	s_xor_b64 exec, exec, s[6:7]
	s_cbranch_execz .LBB31_1582
.LBB31_3632:
	v_mov_b32_e32 v20, 0
	v_cmp_ne_u16_sdwa s[8:9], v14, v20 src0_sel:BYTE_0 src1_sel:DWORD
	s_andn2_b64 s[4:5], s[4:5], exec
	s_and_b64 s[8:9], s[8:9], exec
	s_or_b64 s[4:5], s[4:5], s[8:9]
	s_or_b64 exec, exec, s[6:7]
	s_and_saveexec_b64 s[6:7], s[4:5]
	s_cbranch_execnz .LBB31_1583
	s_branch .LBB31_1584
.LBB31_3633:
	s_movk_i32 s4, 0x80
	v_cmp_eq_u16_e32 vcc, s4, v14
	s_mov_b64 s[4:5], -1
                                        ; implicit-def: $sgpr10
	s_and_saveexec_b64 s[8:9], vcc
; %bb.3634:
	s_mov_b32 s10, 0x7f800001
	s_xor_b64 s[4:5], exec, -1
; %bb.3635:
	s_or_b64 exec, exec, s[8:9]
	s_and_b64 s[4:5], s[4:5], exec
                                        ; implicit-def: $vgpr14
	s_or_saveexec_b64 s[6:7], s[6:7]
	v_mov_b32_e32 v10, s10
	s_xor_b64 exec, exec, s[6:7]
	s_cbranch_execz .LBB31_1586
.LBB31_3636:
	v_cmp_ne_u16_e32 vcc, 0, v14
	s_andn2_b64 s[4:5], s[4:5], exec
	s_and_b64 s[8:9], vcc, exec
	v_mov_b32_e32 v10, 0
	s_or_b64 s[4:5], s[4:5], s[8:9]
	s_or_b64 exec, exec, s[6:7]
	s_and_saveexec_b64 s[6:7], s[4:5]
	s_cbranch_execnz .LBB31_1587
	s_branch .LBB31_1588
.LBB31_3637:
	s_movk_i32 s4, 0x80
	v_cmp_eq_u16_e32 vcc, s4, v14
	s_mov_b64 s[4:5], -1
                                        ; implicit-def: $sgpr10
	s_and_saveexec_b64 s[8:9], vcc
; %bb.3638:
	s_mov_b32 s10, 0x7f800001
	s_xor_b64 s[4:5], exec, -1
; %bb.3639:
	s_or_b64 exec, exec, s[8:9]
	s_and_b64 s[4:5], s[4:5], exec
                                        ; implicit-def: $vgpr14
	s_or_saveexec_b64 s[6:7], s[6:7]
	v_mov_b32_e32 v20, s10
	s_xor_b64 exec, exec, s[6:7]
	s_cbranch_execz .LBB31_1590
.LBB31_3640:
	v_cmp_ne_u16_e32 vcc, 0, v14
	s_andn2_b64 s[4:5], s[4:5], exec
	s_and_b64 s[8:9], vcc, exec
	v_mov_b32_e32 v20, 0
	s_or_b64 s[4:5], s[4:5], s[8:9]
	s_or_b64 exec, exec, s[6:7]
	s_and_saveexec_b64 s[6:7], s[4:5]
	s_cbranch_execnz .LBB31_1591
	s_branch .LBB31_1592
.LBB31_3641:
	s_movk_i32 s4, 0x80
	v_cmp_eq_u16_sdwa s[12:13], v15, s4 src0_sel:BYTE_3 src1_sel:DWORD
	s_mov_b64 s[4:5], -1
                                        ; implicit-def: $sgpr10
	s_and_saveexec_b64 s[8:9], s[12:13]
; %bb.3642:
	s_mov_b32 s10, 0x7f800001
	s_xor_b64 s[4:5], exec, -1
; %bb.3643:
	s_or_b64 exec, exec, s[8:9]
	s_and_b64 s[4:5], s[4:5], exec
	s_or_saveexec_b64 s[6:7], s[6:7]
	v_mov_b32_e32 v10, s10
	s_xor_b64 exec, exec, s[6:7]
	s_cbranch_execz .LBB31_1594
.LBB31_3644:
	v_mov_b32_e32 v10, 0
	v_cmp_ne_u16_sdwa s[8:9], v15, v10 src0_sel:BYTE_3 src1_sel:DWORD
	s_andn2_b64 s[4:5], s[4:5], exec
	s_and_b64 s[8:9], s[8:9], exec
	s_or_b64 s[4:5], s[4:5], s[8:9]
	s_or_b64 exec, exec, s[6:7]
	s_and_saveexec_b64 s[6:7], s[4:5]
	s_cbranch_execnz .LBB31_1595
	s_branch .LBB31_1596
.LBB31_3645:
	s_movk_i32 s4, 0x80
	v_cmp_eq_u16_sdwa s[12:13], v11, s4 src0_sel:BYTE_3 src1_sel:DWORD
	s_mov_b64 s[4:5], -1
                                        ; implicit-def: $sgpr10
	s_and_saveexec_b64 s[8:9], s[12:13]
; %bb.3646:
	s_mov_b32 s10, 0x7f800001
	s_xor_b64 s[4:5], exec, -1
; %bb.3647:
	s_or_b64 exec, exec, s[8:9]
	s_and_b64 s[4:5], s[4:5], exec
	s_or_saveexec_b64 s[6:7], s[6:7]
	v_mov_b32_e32 v14, s10
	s_xor_b64 exec, exec, s[6:7]
	s_cbranch_execz .LBB31_1598
.LBB31_3648:
	v_mov_b32_e32 v14, 0
	v_cmp_ne_u16_sdwa s[8:9], v11, v14 src0_sel:BYTE_3 src1_sel:DWORD
	s_andn2_b64 s[4:5], s[4:5], exec
	s_and_b64 s[8:9], s[8:9], exec
	s_or_b64 s[4:5], s[4:5], s[8:9]
	s_or_b64 exec, exec, s[6:7]
	s_and_saveexec_b64 s[6:7], s[4:5]
	s_cbranch_execnz .LBB31_1599
	s_branch .LBB31_1600
.LBB31_3649:
	s_movk_i32 s4, 0x80
	v_cmp_eq_u16_sdwa s[12:13], v16, s4 src0_sel:BYTE_0 src1_sel:DWORD
	s_mov_b64 s[4:5], -1
                                        ; implicit-def: $sgpr10
	s_and_saveexec_b64 s[8:9], s[12:13]
; %bb.3650:
	s_mov_b32 s10, 0x7f800001
	s_xor_b64 s[4:5], exec, -1
; %bb.3651:
	s_or_b64 exec, exec, s[8:9]
	s_and_b64 s[4:5], s[4:5], exec
	s_or_saveexec_b64 s[6:7], s[6:7]
	v_mov_b32_e32 v10, s10
	s_xor_b64 exec, exec, s[6:7]
	s_cbranch_execz .LBB31_1602
.LBB31_3652:
	v_mov_b32_e32 v10, 0
	v_cmp_ne_u16_sdwa s[8:9], v16, v10 src0_sel:BYTE_0 src1_sel:DWORD
	s_andn2_b64 s[4:5], s[4:5], exec
	s_and_b64 s[8:9], s[8:9], exec
	s_or_b64 s[4:5], s[4:5], s[8:9]
	s_or_b64 exec, exec, s[6:7]
	s_and_saveexec_b64 s[6:7], s[4:5]
	s_cbranch_execnz .LBB31_1603
	s_branch .LBB31_1604
.LBB31_3653:
	s_movk_i32 s4, 0x80
	v_cmp_eq_u16_sdwa s[12:13], v12, s4 src0_sel:BYTE_0 src1_sel:DWORD
	s_mov_b64 s[4:5], -1
                                        ; implicit-def: $sgpr10
	s_and_saveexec_b64 s[8:9], s[12:13]
; %bb.3654:
	s_mov_b32 s10, 0x7f800001
	s_xor_b64 s[4:5], exec, -1
; %bb.3655:
	s_or_b64 exec, exec, s[8:9]
	s_and_b64 s[4:5], s[4:5], exec
	s_or_saveexec_b64 s[6:7], s[6:7]
	v_mov_b32_e32 v11, s10
	s_xor_b64 exec, exec, s[6:7]
	s_cbranch_execz .LBB31_1606
.LBB31_3656:
	v_mov_b32_e32 v11, 0
	v_cmp_ne_u16_sdwa s[8:9], v12, v11 src0_sel:BYTE_0 src1_sel:DWORD
	s_andn2_b64 s[4:5], s[4:5], exec
	s_and_b64 s[8:9], s[8:9], exec
	s_or_b64 s[4:5], s[4:5], s[8:9]
	s_or_b64 exec, exec, s[6:7]
	s_and_saveexec_b64 s[6:7], s[4:5]
	s_cbranch_execnz .LBB31_1607
	s_branch .LBB31_1608
.LBB31_3657:
	s_movk_i32 s4, 0x80
	v_cmp_eq_u16_sdwa s[12:13], v11, s4 src0_sel:BYTE_0 src1_sel:DWORD
	s_mov_b64 s[4:5], -1
                                        ; implicit-def: $sgpr10
	s_and_saveexec_b64 s[8:9], s[12:13]
; %bb.3658:
	s_mov_b32 s10, 0x7f800001
	s_xor_b64 s[4:5], exec, -1
; %bb.3659:
	s_or_b64 exec, exec, s[8:9]
	s_and_b64 s[4:5], s[4:5], exec
	s_or_saveexec_b64 s[6:7], s[6:7]
	v_mov_b32_e32 v10, s10
	s_xor_b64 exec, exec, s[6:7]
	s_cbranch_execz .LBB31_1610
.LBB31_3660:
	v_mov_b32_e32 v10, 0
	v_cmp_ne_u16_sdwa s[8:9], v11, v10 src0_sel:BYTE_0 src1_sel:DWORD
	s_andn2_b64 s[4:5], s[4:5], exec
	s_and_b64 s[8:9], s[8:9], exec
	s_or_b64 s[4:5], s[4:5], s[8:9]
	s_or_b64 exec, exec, s[6:7]
	s_and_saveexec_b64 s[6:7], s[4:5]
	s_cbranch_execnz .LBB31_1611
	s_branch .LBB31_1612
.LBB31_3661:
	s_movk_i32 s4, 0x80
	v_cmp_eq_u16_sdwa s[12:13], v11, s4 src0_sel:BYTE_0 src1_sel:DWORD
	s_mov_b64 s[4:5], -1
                                        ; implicit-def: $sgpr10
	s_and_saveexec_b64 s[8:9], s[12:13]
; %bb.3662:
	s_mov_b32 s10, 0x7f800001
	s_xor_b64 s[4:5], exec, -1
; %bb.3663:
	s_or_b64 exec, exec, s[8:9]
	s_and_b64 s[4:5], s[4:5], exec
	s_or_saveexec_b64 s[6:7], s[6:7]
	v_mov_b32_e32 v14, s10
	s_xor_b64 exec, exec, s[6:7]
	s_cbranch_execz .LBB31_1614
.LBB31_3664:
	v_mov_b32_e32 v14, 0
	v_cmp_ne_u16_sdwa s[8:9], v11, v14 src0_sel:BYTE_0 src1_sel:DWORD
	s_andn2_b64 s[4:5], s[4:5], exec
	s_and_b64 s[8:9], s[8:9], exec
	s_or_b64 s[4:5], s[4:5], s[8:9]
	s_or_b64 exec, exec, s[6:7]
	s_and_saveexec_b64 s[6:7], s[4:5]
	s_cbranch_execnz .LBB31_1615
	s_branch .LBB31_1616
.LBB31_3665:
	s_movk_i32 s4, 0x80
	v_cmp_eq_u16_e32 vcc, s4, v11
	s_mov_b64 s[4:5], -1
                                        ; implicit-def: $sgpr10
	s_and_saveexec_b64 s[8:9], vcc
; %bb.3666:
	s_mov_b32 s10, 0x7f800001
	s_xor_b64 s[4:5], exec, -1
; %bb.3667:
	s_or_b64 exec, exec, s[8:9]
	s_and_b64 s[4:5], s[4:5], exec
                                        ; implicit-def: $vgpr11
	s_or_saveexec_b64 s[6:7], s[6:7]
	v_mov_b32_e32 v10, s10
	s_xor_b64 exec, exec, s[6:7]
	s_cbranch_execz .LBB31_1618
.LBB31_3668:
	v_cmp_ne_u16_e32 vcc, 0, v11
	s_andn2_b64 s[4:5], s[4:5], exec
	s_and_b64 s[8:9], vcc, exec
	v_mov_b32_e32 v10, 0
	s_or_b64 s[4:5], s[4:5], s[8:9]
	s_or_b64 exec, exec, s[6:7]
	s_and_saveexec_b64 s[6:7], s[4:5]
	s_cbranch_execnz .LBB31_1619
	s_branch .LBB31_1620
.LBB31_3669:
	s_movk_i32 s4, 0x80
	v_cmp_eq_u16_e32 vcc, s4, v11
	s_mov_b64 s[4:5], -1
                                        ; implicit-def: $sgpr10
	s_and_saveexec_b64 s[8:9], vcc
; %bb.3670:
	s_mov_b32 s10, 0x7f800001
	s_xor_b64 s[4:5], exec, -1
; %bb.3671:
	s_or_b64 exec, exec, s[8:9]
	s_and_b64 s[4:5], s[4:5], exec
                                        ; implicit-def: $vgpr11
	s_or_saveexec_b64 s[6:7], s[6:7]
	v_mov_b32_e32 v14, s10
	s_xor_b64 exec, exec, s[6:7]
	s_cbranch_execz .LBB31_1622
.LBB31_3672:
	v_cmp_ne_u16_e32 vcc, 0, v11
	s_andn2_b64 s[4:5], s[4:5], exec
	s_and_b64 s[8:9], vcc, exec
	v_mov_b32_e32 v14, 0
	s_or_b64 s[4:5], s[4:5], s[8:9]
	s_or_b64 exec, exec, s[6:7]
	s_and_saveexec_b64 s[6:7], s[4:5]
	s_cbranch_execnz .LBB31_1623
	s_branch .LBB31_1624
.LBB31_3673:
	s_movk_i32 s4, 0x80
	v_cmp_eq_u16_sdwa s[12:13], v16, s4 src0_sel:BYTE_3 src1_sel:DWORD
	s_mov_b64 s[4:5], -1
                                        ; implicit-def: $sgpr10
	s_and_saveexec_b64 s[8:9], s[12:13]
; %bb.3674:
	s_mov_b32 s10, 0x7f800001
	s_xor_b64 s[4:5], exec, -1
; %bb.3675:
	s_or_b64 exec, exec, s[8:9]
	s_and_b64 s[4:5], s[4:5], exec
	s_or_saveexec_b64 s[6:7], s[6:7]
	v_mov_b32_e32 v10, s10
	s_xor_b64 exec, exec, s[6:7]
	s_cbranch_execz .LBB31_1626
.LBB31_3676:
	v_mov_b32_e32 v10, 0
	v_cmp_ne_u16_sdwa s[8:9], v16, v10 src0_sel:BYTE_3 src1_sel:DWORD
	s_andn2_b64 s[4:5], s[4:5], exec
	s_and_b64 s[8:9], s[8:9], exec
	s_or_b64 s[4:5], s[4:5], s[8:9]
	s_or_b64 exec, exec, s[6:7]
	s_and_saveexec_b64 s[6:7], s[4:5]
	s_cbranch_execnz .LBB31_1627
	s_branch .LBB31_1628
.LBB31_3677:
	s_movk_i32 s4, 0x80
	v_cmp_eq_u16_sdwa s[12:13], v12, s4 src0_sel:BYTE_3 src1_sel:DWORD
	s_mov_b64 s[4:5], -1
                                        ; implicit-def: $sgpr10
	s_and_saveexec_b64 s[8:9], s[12:13]
; %bb.3678:
	s_mov_b32 s10, 0x7f800001
	s_xor_b64 s[4:5], exec, -1
; %bb.3679:
	s_or_b64 exec, exec, s[8:9]
	s_and_b64 s[4:5], s[4:5], exec
	s_or_saveexec_b64 s[6:7], s[6:7]
	v_mov_b32_e32 v11, s10
	s_xor_b64 exec, exec, s[6:7]
	s_cbranch_execz .LBB31_1630
.LBB31_3680:
	v_mov_b32_e32 v11, 0
	v_cmp_ne_u16_sdwa s[8:9], v12, v11 src0_sel:BYTE_3 src1_sel:DWORD
	s_andn2_b64 s[4:5], s[4:5], exec
	s_and_b64 s[8:9], s[8:9], exec
	s_or_b64 s[4:5], s[4:5], s[8:9]
	s_or_b64 exec, exec, s[6:7]
	s_and_saveexec_b64 s[6:7], s[4:5]
	s_cbranch_execnz .LBB31_1631
	s_branch .LBB31_1632
.LBB31_3681:
	s_movk_i32 s4, 0x80
	v_cmp_eq_u16_sdwa s[12:13], v17, s4 src0_sel:BYTE_0 src1_sel:DWORD
	s_mov_b64 s[4:5], -1
                                        ; implicit-def: $sgpr10
	s_and_saveexec_b64 s[8:9], s[12:13]
; %bb.3682:
	s_mov_b32 s10, 0x7f800001
	s_xor_b64 s[4:5], exec, -1
; %bb.3683:
	s_or_b64 exec, exec, s[8:9]
	s_and_b64 s[4:5], s[4:5], exec
	s_or_saveexec_b64 s[6:7], s[6:7]
	v_mov_b32_e32 v10, s10
	s_xor_b64 exec, exec, s[6:7]
	s_cbranch_execz .LBB31_1634
.LBB31_3684:
	v_mov_b32_e32 v10, 0
	v_cmp_ne_u16_sdwa s[8:9], v17, v10 src0_sel:BYTE_0 src1_sel:DWORD
	s_andn2_b64 s[4:5], s[4:5], exec
	s_and_b64 s[8:9], s[8:9], exec
	s_or_b64 s[4:5], s[4:5], s[8:9]
	s_or_b64 exec, exec, s[6:7]
	s_and_saveexec_b64 s[6:7], s[4:5]
	s_cbranch_execnz .LBB31_1635
	s_branch .LBB31_1636
.LBB31_3685:
	s_movk_i32 s4, 0x80
	v_cmp_eq_u16_sdwa s[12:13], v13, s4 src0_sel:BYTE_0 src1_sel:DWORD
	s_mov_b64 s[4:5], -1
                                        ; implicit-def: $sgpr10
	s_and_saveexec_b64 s[8:9], s[12:13]
; %bb.3686:
	s_mov_b32 s10, 0x7f800001
	s_xor_b64 s[4:5], exec, -1
; %bb.3687:
	s_or_b64 exec, exec, s[8:9]
	s_and_b64 s[4:5], s[4:5], exec
	s_or_saveexec_b64 s[6:7], s[6:7]
	v_mov_b32_e32 v11, s10
	s_xor_b64 exec, exec, s[6:7]
	s_cbranch_execz .LBB31_1638
.LBB31_3688:
	v_mov_b32_e32 v11, 0
	v_cmp_ne_u16_sdwa s[8:9], v13, v11 src0_sel:BYTE_0 src1_sel:DWORD
	s_andn2_b64 s[4:5], s[4:5], exec
	s_and_b64 s[8:9], s[8:9], exec
	s_or_b64 s[4:5], s[4:5], s[8:9]
	s_or_b64 exec, exec, s[6:7]
	s_and_saveexec_b64 s[6:7], s[4:5]
	s_cbranch_execnz .LBB31_1639
	s_branch .LBB31_1640
.LBB31_3689:
	s_movk_i32 s4, 0x80
	v_cmp_eq_u16_sdwa s[12:13], v11, s4 src0_sel:BYTE_0 src1_sel:DWORD
	s_mov_b64 s[4:5], -1
                                        ; implicit-def: $sgpr10
	s_and_saveexec_b64 s[8:9], s[12:13]
; %bb.3690:
	s_mov_b32 s10, 0x7f800001
	s_xor_b64 s[4:5], exec, -1
; %bb.3691:
	s_or_b64 exec, exec, s[8:9]
	s_and_b64 s[4:5], s[4:5], exec
	s_or_saveexec_b64 s[6:7], s[6:7]
	v_mov_b32_e32 v10, s10
	s_xor_b64 exec, exec, s[6:7]
	s_cbranch_execz .LBB31_1642
.LBB31_3692:
	v_mov_b32_e32 v10, 0
	v_cmp_ne_u16_sdwa s[8:9], v11, v10 src0_sel:BYTE_0 src1_sel:DWORD
	s_andn2_b64 s[4:5], s[4:5], exec
	s_and_b64 s[8:9], s[8:9], exec
	s_or_b64 s[4:5], s[4:5], s[8:9]
	s_or_b64 exec, exec, s[6:7]
	s_and_saveexec_b64 s[6:7], s[4:5]
	s_cbranch_execnz .LBB31_1643
	s_branch .LBB31_1644
.LBB31_3693:
	s_movk_i32 s4, 0x80
	v_cmp_eq_u16_sdwa s[12:13], v11, s4 src0_sel:BYTE_0 src1_sel:DWORD
	s_mov_b64 s[4:5], -1
                                        ; implicit-def: $sgpr10
	s_and_saveexec_b64 s[8:9], s[12:13]
; %bb.3694:
	s_mov_b32 s10, 0x7f800001
	s_xor_b64 s[4:5], exec, -1
; %bb.3695:
	s_or_b64 exec, exec, s[8:9]
	s_and_b64 s[4:5], s[4:5], exec
	s_or_saveexec_b64 s[6:7], s[6:7]
	v_mov_b32_e32 v12, s10
	s_xor_b64 exec, exec, s[6:7]
	s_cbranch_execz .LBB31_1646
.LBB31_3696:
	v_mov_b32_e32 v12, 0
	v_cmp_ne_u16_sdwa s[8:9], v11, v12 src0_sel:BYTE_0 src1_sel:DWORD
	s_andn2_b64 s[4:5], s[4:5], exec
	s_and_b64 s[8:9], s[8:9], exec
	s_or_b64 s[4:5], s[4:5], s[8:9]
	s_or_b64 exec, exec, s[6:7]
	s_and_saveexec_b64 s[6:7], s[4:5]
	s_cbranch_execnz .LBB31_1647
	s_branch .LBB31_1648
.LBB31_3697:
	s_movk_i32 s4, 0x80
	v_cmp_eq_u16_e32 vcc, s4, v11
	s_mov_b64 s[4:5], -1
                                        ; implicit-def: $sgpr10
	s_and_saveexec_b64 s[8:9], vcc
; %bb.3698:
	s_mov_b32 s10, 0x7f800001
	s_xor_b64 s[4:5], exec, -1
; %bb.3699:
	s_or_b64 exec, exec, s[8:9]
	s_and_b64 s[4:5], s[4:5], exec
                                        ; implicit-def: $vgpr11
	s_or_saveexec_b64 s[6:7], s[6:7]
	v_mov_b32_e32 v10, s10
	s_xor_b64 exec, exec, s[6:7]
	s_cbranch_execz .LBB31_1650
.LBB31_3700:
	v_cmp_ne_u16_e32 vcc, 0, v11
	s_andn2_b64 s[4:5], s[4:5], exec
	s_and_b64 s[8:9], vcc, exec
	v_mov_b32_e32 v10, 0
	s_or_b64 s[4:5], s[4:5], s[8:9]
	s_or_b64 exec, exec, s[6:7]
	s_and_saveexec_b64 s[6:7], s[4:5]
	s_cbranch_execnz .LBB31_1651
	s_branch .LBB31_1652
.LBB31_3701:
	s_movk_i32 s4, 0x80
	v_cmp_eq_u16_e32 vcc, s4, v11
	s_mov_b64 s[4:5], -1
                                        ; implicit-def: $sgpr10
	s_and_saveexec_b64 s[8:9], vcc
; %bb.3702:
	s_mov_b32 s10, 0x7f800001
	s_xor_b64 s[4:5], exec, -1
; %bb.3703:
	s_or_b64 exec, exec, s[8:9]
	s_and_b64 s[4:5], s[4:5], exec
                                        ; implicit-def: $vgpr11
	s_or_saveexec_b64 s[6:7], s[6:7]
	v_mov_b32_e32 v12, s10
	s_xor_b64 exec, exec, s[6:7]
	s_cbranch_execz .LBB31_1654
.LBB31_3704:
	v_cmp_ne_u16_e32 vcc, 0, v11
	s_andn2_b64 s[4:5], s[4:5], exec
	s_and_b64 s[8:9], vcc, exec
	v_mov_b32_e32 v12, 0
	s_or_b64 s[4:5], s[4:5], s[8:9]
	s_or_b64 exec, exec, s[6:7]
	s_and_saveexec_b64 s[6:7], s[4:5]
	s_cbranch_execnz .LBB31_1655
	s_branch .LBB31_1656
.LBB31_3705:
	s_movk_i32 s4, 0x80
	v_cmp_eq_u16_sdwa s[12:13], v17, s4 src0_sel:BYTE_3 src1_sel:DWORD
	s_mov_b64 s[4:5], -1
                                        ; implicit-def: $sgpr10
	s_and_saveexec_b64 s[8:9], s[12:13]
; %bb.3706:
	s_mov_b32 s10, 0x7f800001
	s_xor_b64 s[4:5], exec, -1
; %bb.3707:
	s_or_b64 exec, exec, s[8:9]
	s_and_b64 s[4:5], s[4:5], exec
	s_or_saveexec_b64 s[6:7], s[6:7]
	v_mov_b32_e32 v10, s10
	s_xor_b64 exec, exec, s[6:7]
	s_cbranch_execz .LBB31_1658
.LBB31_3708:
	v_mov_b32_e32 v10, 0
	v_cmp_ne_u16_sdwa s[8:9], v17, v10 src0_sel:BYTE_3 src1_sel:DWORD
	s_andn2_b64 s[4:5], s[4:5], exec
	s_and_b64 s[8:9], s[8:9], exec
	s_or_b64 s[4:5], s[4:5], s[8:9]
	s_or_b64 exec, exec, s[6:7]
	s_and_saveexec_b64 s[6:7], s[4:5]
	s_cbranch_execnz .LBB31_1659
	s_branch .LBB31_1660
.LBB31_3709:
	s_movk_i32 s4, 0x80
	v_cmp_eq_u16_sdwa s[12:13], v13, s4 src0_sel:BYTE_3 src1_sel:DWORD
	s_mov_b64 s[4:5], -1
                                        ; implicit-def: $sgpr10
	s_and_saveexec_b64 s[8:9], s[12:13]
; %bb.3710:
	s_mov_b32 s10, 0x7f800001
	s_xor_b64 s[4:5], exec, -1
; %bb.3711:
	s_or_b64 exec, exec, s[8:9]
	s_and_b64 s[4:5], s[4:5], exec
	s_or_saveexec_b64 s[6:7], s[6:7]
	v_mov_b32_e32 v11, s10
	s_xor_b64 exec, exec, s[6:7]
	s_cbranch_execz .LBB31_1662
.LBB31_3712:
	v_mov_b32_e32 v11, 0
	v_cmp_ne_u16_sdwa s[8:9], v13, v11 src0_sel:BYTE_3 src1_sel:DWORD
	s_andn2_b64 s[4:5], s[4:5], exec
	s_and_b64 s[8:9], s[8:9], exec
	s_or_b64 s[4:5], s[4:5], s[8:9]
	s_or_b64 exec, exec, s[6:7]
	s_and_saveexec_b64 s[6:7], s[4:5]
	s_cbranch_execnz .LBB31_1663
	s_branch .LBB31_1664
.LBB31_3713:
	s_movk_i32 s4, 0x80
	v_cmp_eq_u16_sdwa s[12:13], v6, s4 src0_sel:BYTE_0 src1_sel:DWORD
	s_mov_b64 s[4:5], -1
                                        ; implicit-def: $sgpr10
	s_and_saveexec_b64 s[8:9], s[12:13]
; %bb.3714:
	s_mov_b32 s10, 0x7f800001
	s_xor_b64 s[4:5], exec, -1
; %bb.3715:
	s_or_b64 exec, exec, s[8:9]
	s_and_b64 s[4:5], s[4:5], exec
	s_or_saveexec_b64 s[6:7], s[6:7]
	v_mov_b32_e32 v10, s10
	s_xor_b64 exec, exec, s[6:7]
	s_cbranch_execz .LBB31_1666
.LBB31_3716:
	v_mov_b32_e32 v10, 0
	v_cmp_ne_u16_sdwa s[8:9], v6, v10 src0_sel:BYTE_0 src1_sel:DWORD
	s_andn2_b64 s[4:5], s[4:5], exec
	s_and_b64 s[8:9], s[8:9], exec
	s_or_b64 s[4:5], s[4:5], s[8:9]
	s_or_b64 exec, exec, s[6:7]
	s_and_saveexec_b64 s[6:7], s[4:5]
	s_cbranch_execnz .LBB31_1667
	s_branch .LBB31_1668
.LBB31_3717:
	s_movk_i32 s4, 0x80
	v_cmp_eq_u16_sdwa s[12:13], v2, s4 src0_sel:BYTE_0 src1_sel:DWORD
	s_mov_b64 s[4:5], -1
                                        ; implicit-def: $sgpr10
	s_and_saveexec_b64 s[8:9], s[12:13]
; %bb.3718:
	s_mov_b32 s10, 0x7f800001
	s_xor_b64 s[4:5], exec, -1
; %bb.3719:
	s_or_b64 exec, exec, s[8:9]
	s_and_b64 s[4:5], s[4:5], exec
	s_or_saveexec_b64 s[6:7], s[6:7]
	v_mov_b32_e32 v11, s10
	s_xor_b64 exec, exec, s[6:7]
	s_cbranch_execz .LBB31_1670
.LBB31_3720:
	v_mov_b32_e32 v11, 0
	v_cmp_ne_u16_sdwa s[8:9], v2, v11 src0_sel:BYTE_0 src1_sel:DWORD
	s_andn2_b64 s[4:5], s[4:5], exec
	s_and_b64 s[8:9], s[8:9], exec
	s_or_b64 s[4:5], s[4:5], s[8:9]
	s_or_b64 exec, exec, s[6:7]
	s_and_saveexec_b64 s[6:7], s[4:5]
	s_cbranch_execnz .LBB31_1671
	s_branch .LBB31_1672
.LBB31_3721:
	s_movk_i32 s4, 0x80
	v_cmp_eq_u16_sdwa s[12:13], v11, s4 src0_sel:BYTE_0 src1_sel:DWORD
	s_mov_b64 s[4:5], -1
                                        ; implicit-def: $sgpr10
	s_and_saveexec_b64 s[8:9], s[12:13]
; %bb.3722:
	s_mov_b32 s10, 0x7f800001
	s_xor_b64 s[4:5], exec, -1
; %bb.3723:
	s_or_b64 exec, exec, s[8:9]
	s_and_b64 s[4:5], s[4:5], exec
	s_or_saveexec_b64 s[6:7], s[6:7]
	v_mov_b32_e32 v10, s10
	s_xor_b64 exec, exec, s[6:7]
	s_cbranch_execz .LBB31_1674
.LBB31_3724:
	v_mov_b32_e32 v10, 0
	v_cmp_ne_u16_sdwa s[8:9], v11, v10 src0_sel:BYTE_0 src1_sel:DWORD
	s_andn2_b64 s[4:5], s[4:5], exec
	s_and_b64 s[8:9], s[8:9], exec
	s_or_b64 s[4:5], s[4:5], s[8:9]
	s_or_b64 exec, exec, s[6:7]
	s_and_saveexec_b64 s[6:7], s[4:5]
	s_cbranch_execnz .LBB31_1675
	s_branch .LBB31_1676
.LBB31_3725:
	s_movk_i32 s4, 0x80
	v_cmp_eq_u16_sdwa s[12:13], v11, s4 src0_sel:BYTE_0 src1_sel:DWORD
	s_mov_b64 s[4:5], -1
                                        ; implicit-def: $sgpr10
	s_and_saveexec_b64 s[8:9], s[12:13]
; %bb.3726:
	s_mov_b32 s10, 0x7f800001
	s_xor_b64 s[4:5], exec, -1
; %bb.3727:
	s_or_b64 exec, exec, s[8:9]
	s_and_b64 s[4:5], s[4:5], exec
	s_or_saveexec_b64 s[6:7], s[6:7]
	v_mov_b32_e32 v12, s10
	s_xor_b64 exec, exec, s[6:7]
	s_cbranch_execz .LBB31_1678
.LBB31_3728:
	v_mov_b32_e32 v12, 0
	v_cmp_ne_u16_sdwa s[8:9], v11, v12 src0_sel:BYTE_0 src1_sel:DWORD
	s_andn2_b64 s[4:5], s[4:5], exec
	s_and_b64 s[8:9], s[8:9], exec
	s_or_b64 s[4:5], s[4:5], s[8:9]
	s_or_b64 exec, exec, s[6:7]
	s_and_saveexec_b64 s[6:7], s[4:5]
	s_cbranch_execnz .LBB31_1679
	s_branch .LBB31_1680
.LBB31_3729:
	s_movk_i32 s4, 0x80
	v_cmp_eq_u16_e32 vcc, s4, v11
	s_mov_b64 s[4:5], -1
                                        ; implicit-def: $sgpr10
	s_and_saveexec_b64 s[8:9], vcc
; %bb.3730:
	s_mov_b32 s10, 0x7f800001
	s_xor_b64 s[4:5], exec, -1
; %bb.3731:
	s_or_b64 exec, exec, s[8:9]
	s_and_b64 s[4:5], s[4:5], exec
                                        ; implicit-def: $vgpr11
	s_or_saveexec_b64 s[6:7], s[6:7]
	v_mov_b32_e32 v10, s10
	s_xor_b64 exec, exec, s[6:7]
	s_cbranch_execz .LBB31_1682
.LBB31_3732:
	v_cmp_ne_u16_e32 vcc, 0, v11
	s_andn2_b64 s[4:5], s[4:5], exec
	s_and_b64 s[8:9], vcc, exec
	v_mov_b32_e32 v10, 0
	s_or_b64 s[4:5], s[4:5], s[8:9]
	s_or_b64 exec, exec, s[6:7]
	s_and_saveexec_b64 s[6:7], s[4:5]
	s_cbranch_execnz .LBB31_1683
	s_branch .LBB31_1684
.LBB31_3733:
	s_movk_i32 s4, 0x80
	v_cmp_eq_u16_e32 vcc, s4, v11
	s_mov_b64 s[4:5], -1
                                        ; implicit-def: $sgpr10
	s_and_saveexec_b64 s[8:9], vcc
; %bb.3734:
	s_mov_b32 s10, 0x7f800001
	s_xor_b64 s[4:5], exec, -1
; %bb.3735:
	s_or_b64 exec, exec, s[8:9]
	s_and_b64 s[4:5], s[4:5], exec
                                        ; implicit-def: $vgpr11
	s_or_saveexec_b64 s[6:7], s[6:7]
	v_mov_b32_e32 v12, s10
	s_xor_b64 exec, exec, s[6:7]
	s_cbranch_execz .LBB31_1686
.LBB31_3736:
	v_cmp_ne_u16_e32 vcc, 0, v11
	s_andn2_b64 s[4:5], s[4:5], exec
	s_and_b64 s[8:9], vcc, exec
	v_mov_b32_e32 v12, 0
	s_or_b64 s[4:5], s[4:5], s[8:9]
	s_or_b64 exec, exec, s[6:7]
	s_and_saveexec_b64 s[6:7], s[4:5]
	s_cbranch_execnz .LBB31_1687
	s_branch .LBB31_1688
.LBB31_3737:
	s_movk_i32 s4, 0x80
	v_cmp_eq_u16_sdwa s[12:13], v6, s4 src0_sel:BYTE_3 src1_sel:DWORD
	s_mov_b64 s[4:5], -1
                                        ; implicit-def: $sgpr10
	s_and_saveexec_b64 s[8:9], s[12:13]
; %bb.3738:
	s_mov_b32 s10, 0x7f800001
	s_xor_b64 s[4:5], exec, -1
; %bb.3739:
	s_or_b64 exec, exec, s[8:9]
	s_and_b64 s[4:5], s[4:5], exec
	s_or_saveexec_b64 s[6:7], s[6:7]
	v_mov_b32_e32 v10, s10
	s_xor_b64 exec, exec, s[6:7]
	s_cbranch_execz .LBB31_1690
.LBB31_3740:
	v_mov_b32_e32 v10, 0
	v_cmp_ne_u16_sdwa s[8:9], v6, v10 src0_sel:BYTE_3 src1_sel:DWORD
	s_andn2_b64 s[4:5], s[4:5], exec
	s_and_b64 s[8:9], s[8:9], exec
	s_or_b64 s[4:5], s[4:5], s[8:9]
	s_or_b64 exec, exec, s[6:7]
	s_and_saveexec_b64 s[6:7], s[4:5]
	s_cbranch_execnz .LBB31_1691
	s_branch .LBB31_1692
.LBB31_3741:
	s_movk_i32 s4, 0x80
	v_cmp_eq_u16_sdwa s[12:13], v2, s4 src0_sel:BYTE_3 src1_sel:DWORD
	s_mov_b64 s[4:5], -1
                                        ; implicit-def: $sgpr10
	s_and_saveexec_b64 s[8:9], s[12:13]
; %bb.3742:
	s_mov_b32 s10, 0x7f800001
	s_xor_b64 s[4:5], exec, -1
; %bb.3743:
	s_or_b64 exec, exec, s[8:9]
	s_and_b64 s[4:5], s[4:5], exec
	s_or_saveexec_b64 s[6:7], s[6:7]
	v_mov_b32_e32 v6, s10
	s_xor_b64 exec, exec, s[6:7]
	s_cbranch_execz .LBB31_1694
.LBB31_3744:
	v_mov_b32_e32 v6, 0
	v_cmp_ne_u16_sdwa s[8:9], v2, v6 src0_sel:BYTE_3 src1_sel:DWORD
	s_andn2_b64 s[4:5], s[4:5], exec
	s_and_b64 s[8:9], s[8:9], exec
	s_or_b64 s[4:5], s[4:5], s[8:9]
	s_or_b64 exec, exec, s[6:7]
	s_and_saveexec_b64 s[6:7], s[4:5]
	s_cbranch_execnz .LBB31_1695
	s_branch .LBB31_1696
.LBB31_3745:
	s_movk_i32 s4, 0x80
	v_cmp_eq_u16_sdwa s[12:13], v7, s4 src0_sel:BYTE_0 src1_sel:DWORD
	s_mov_b64 s[4:5], -1
                                        ; implicit-def: $sgpr10
	s_and_saveexec_b64 s[8:9], s[12:13]
; %bb.3746:
	s_mov_b32 s10, 0x7f800001
	s_xor_b64 s[4:5], exec, -1
; %bb.3747:
	s_or_b64 exec, exec, s[8:9]
	s_and_b64 s[4:5], s[4:5], exec
	s_or_saveexec_b64 s[6:7], s[6:7]
	v_mov_b32_e32 v2, s10
	s_xor_b64 exec, exec, s[6:7]
	s_cbranch_execz .LBB31_1698
.LBB31_3748:
	v_mov_b32_e32 v2, 0
	v_cmp_ne_u16_sdwa s[8:9], v7, v2 src0_sel:BYTE_0 src1_sel:DWORD
	s_andn2_b64 s[4:5], s[4:5], exec
	s_and_b64 s[8:9], s[8:9], exec
	s_or_b64 s[4:5], s[4:5], s[8:9]
	s_or_b64 exec, exec, s[6:7]
	s_and_saveexec_b64 s[6:7], s[4:5]
	s_cbranch_execnz .LBB31_1699
	s_branch .LBB31_1700
.LBB31_3749:
	s_movk_i32 s4, 0x80
	v_cmp_eq_u16_sdwa s[12:13], v3, s4 src0_sel:BYTE_0 src1_sel:DWORD
	s_mov_b64 s[4:5], -1
                                        ; implicit-def: $sgpr10
	s_and_saveexec_b64 s[8:9], s[12:13]
; %bb.3750:
	s_mov_b32 s10, 0x7f800001
	s_xor_b64 s[4:5], exec, -1
; %bb.3751:
	s_or_b64 exec, exec, s[8:9]
	s_and_b64 s[4:5], s[4:5], exec
	s_or_saveexec_b64 s[6:7], s[6:7]
	v_mov_b32_e32 v6, s10
	s_xor_b64 exec, exec, s[6:7]
	s_cbranch_execz .LBB31_1702
.LBB31_3752:
	v_mov_b32_e32 v6, 0
	v_cmp_ne_u16_sdwa s[8:9], v3, v6 src0_sel:BYTE_0 src1_sel:DWORD
	s_andn2_b64 s[4:5], s[4:5], exec
	s_and_b64 s[8:9], s[8:9], exec
	s_or_b64 s[4:5], s[4:5], s[8:9]
	s_or_b64 exec, exec, s[6:7]
	s_and_saveexec_b64 s[6:7], s[4:5]
	s_cbranch_execnz .LBB31_1703
	s_branch .LBB31_1704
.LBB31_3753:
	s_movk_i32 s4, 0x80
	v_cmp_eq_u16_sdwa s[12:13], v6, s4 src0_sel:BYTE_0 src1_sel:DWORD
	s_mov_b64 s[4:5], -1
                                        ; implicit-def: $sgpr10
	s_and_saveexec_b64 s[8:9], s[12:13]
; %bb.3754:
	s_mov_b32 s10, 0x7f800001
	s_xor_b64 s[4:5], exec, -1
; %bb.3755:
	s_or_b64 exec, exec, s[8:9]
	s_and_b64 s[4:5], s[4:5], exec
	s_or_saveexec_b64 s[6:7], s[6:7]
	v_mov_b32_e32 v2, s10
	s_xor_b64 exec, exec, s[6:7]
	s_cbranch_execz .LBB31_1706
.LBB31_3756:
	v_mov_b32_e32 v2, 0
	v_cmp_ne_u16_sdwa s[8:9], v6, v2 src0_sel:BYTE_0 src1_sel:DWORD
	s_andn2_b64 s[4:5], s[4:5], exec
	s_and_b64 s[8:9], s[8:9], exec
	s_or_b64 s[4:5], s[4:5], s[8:9]
	s_or_b64 exec, exec, s[6:7]
	s_and_saveexec_b64 s[6:7], s[4:5]
	s_cbranch_execnz .LBB31_1707
	s_branch .LBB31_1708
.LBB31_3757:
	s_movk_i32 s4, 0x80
	v_cmp_eq_u16_sdwa s[12:13], v6, s4 src0_sel:BYTE_0 src1_sel:DWORD
	s_mov_b64 s[4:5], -1
                                        ; implicit-def: $sgpr10
	s_and_saveexec_b64 s[8:9], s[12:13]
; %bb.3758:
	s_mov_b32 s10, 0x7f800001
	s_xor_b64 s[4:5], exec, -1
; %bb.3759:
	s_or_b64 exec, exec, s[8:9]
	s_and_b64 s[4:5], s[4:5], exec
	s_or_saveexec_b64 s[6:7], s[6:7]
	v_mov_b32_e32 v10, s10
	s_xor_b64 exec, exec, s[6:7]
	s_cbranch_execz .LBB31_1710
.LBB31_3760:
	v_mov_b32_e32 v10, 0
	v_cmp_ne_u16_sdwa s[8:9], v6, v10 src0_sel:BYTE_0 src1_sel:DWORD
	s_andn2_b64 s[4:5], s[4:5], exec
	s_and_b64 s[8:9], s[8:9], exec
	s_or_b64 s[4:5], s[4:5], s[8:9]
	s_or_b64 exec, exec, s[6:7]
	s_and_saveexec_b64 s[6:7], s[4:5]
	s_cbranch_execnz .LBB31_1711
	s_branch .LBB31_1712
.LBB31_3761:
	s_movk_i32 s4, 0x80
	v_cmp_eq_u16_e32 vcc, s4, v6
	s_mov_b64 s[4:5], -1
                                        ; implicit-def: $sgpr10
	s_and_saveexec_b64 s[8:9], vcc
; %bb.3762:
	s_mov_b32 s10, 0x7f800001
	s_xor_b64 s[4:5], exec, -1
; %bb.3763:
	s_or_b64 exec, exec, s[8:9]
	s_and_b64 s[4:5], s[4:5], exec
                                        ; implicit-def: $vgpr6
	s_or_saveexec_b64 s[6:7], s[6:7]
	v_mov_b32_e32 v2, s10
	s_xor_b64 exec, exec, s[6:7]
	s_cbranch_execz .LBB31_1714
.LBB31_3764:
	v_cmp_ne_u16_e32 vcc, 0, v6
	s_andn2_b64 s[4:5], s[4:5], exec
	s_and_b64 s[8:9], vcc, exec
	v_mov_b32_e32 v2, 0
	s_or_b64 s[4:5], s[4:5], s[8:9]
	s_or_b64 exec, exec, s[6:7]
	s_and_saveexec_b64 s[6:7], s[4:5]
	s_cbranch_execnz .LBB31_1715
	s_branch .LBB31_1716
.LBB31_3765:
	s_movk_i32 s4, 0x80
	v_cmp_eq_u16_e32 vcc, s4, v6
	s_mov_b64 s[4:5], -1
                                        ; implicit-def: $sgpr10
	s_and_saveexec_b64 s[8:9], vcc
; %bb.3766:
	s_mov_b32 s10, 0x7f800001
	s_xor_b64 s[4:5], exec, -1
; %bb.3767:
	s_or_b64 exec, exec, s[8:9]
	s_and_b64 s[4:5], s[4:5], exec
                                        ; implicit-def: $vgpr6
	s_or_saveexec_b64 s[6:7], s[6:7]
	v_mov_b32_e32 v10, s10
	s_xor_b64 exec, exec, s[6:7]
	s_cbranch_execz .LBB31_1718
.LBB31_3768:
	v_cmp_ne_u16_e32 vcc, 0, v6
	s_andn2_b64 s[4:5], s[4:5], exec
	s_and_b64 s[8:9], vcc, exec
	v_mov_b32_e32 v10, 0
	s_or_b64 s[4:5], s[4:5], s[8:9]
	s_or_b64 exec, exec, s[6:7]
	s_and_saveexec_b64 s[6:7], s[4:5]
	s_cbranch_execnz .LBB31_1719
	s_branch .LBB31_1720
.LBB31_3769:
	s_movk_i32 s4, 0x80
	v_cmp_eq_u16_sdwa s[12:13], v7, s4 src0_sel:BYTE_3 src1_sel:DWORD
	s_mov_b64 s[4:5], -1
                                        ; implicit-def: $sgpr10
	s_and_saveexec_b64 s[8:9], s[12:13]
; %bb.3770:
	s_mov_b32 s10, 0x7f800001
	s_xor_b64 s[4:5], exec, -1
; %bb.3771:
	s_or_b64 exec, exec, s[8:9]
	s_and_b64 s[4:5], s[4:5], exec
	s_or_saveexec_b64 s[6:7], s[6:7]
	v_mov_b32_e32 v2, s10
	s_xor_b64 exec, exec, s[6:7]
	s_cbranch_execz .LBB31_1722
.LBB31_3772:
	v_mov_b32_e32 v2, 0
	v_cmp_ne_u16_sdwa s[8:9], v7, v2 src0_sel:BYTE_3 src1_sel:DWORD
	s_andn2_b64 s[4:5], s[4:5], exec
	s_and_b64 s[8:9], s[8:9], exec
	s_or_b64 s[4:5], s[4:5], s[8:9]
	s_or_b64 exec, exec, s[6:7]
	s_and_saveexec_b64 s[6:7], s[4:5]
	s_cbranch_execnz .LBB31_1723
	s_branch .LBB31_1724
.LBB31_3773:
	s_movk_i32 s4, 0x80
	v_cmp_eq_u16_sdwa s[12:13], v3, s4 src0_sel:BYTE_3 src1_sel:DWORD
	s_mov_b64 s[4:5], -1
                                        ; implicit-def: $sgpr10
	s_and_saveexec_b64 s[8:9], s[12:13]
; %bb.3774:
	s_mov_b32 s10, 0x7f800001
	s_xor_b64 s[4:5], exec, -1
; %bb.3775:
	s_or_b64 exec, exec, s[8:9]
	s_and_b64 s[4:5], s[4:5], exec
	s_or_saveexec_b64 s[6:7], s[6:7]
	v_mov_b32_e32 v6, s10
	s_xor_b64 exec, exec, s[6:7]
	s_cbranch_execz .LBB31_1726
.LBB31_3776:
	v_mov_b32_e32 v6, 0
	v_cmp_ne_u16_sdwa s[8:9], v3, v6 src0_sel:BYTE_3 src1_sel:DWORD
	s_andn2_b64 s[4:5], s[4:5], exec
	s_and_b64 s[8:9], s[8:9], exec
	s_or_b64 s[4:5], s[4:5], s[8:9]
	s_or_b64 exec, exec, s[6:7]
	s_and_saveexec_b64 s[6:7], s[4:5]
	s_cbranch_execnz .LBB31_1727
	s_branch .LBB31_1728
.LBB31_3777:
	s_movk_i32 s4, 0x80
	v_cmp_eq_u16_sdwa s[12:13], v8, s4 src0_sel:BYTE_0 src1_sel:DWORD
	s_mov_b64 s[4:5], -1
                                        ; implicit-def: $sgpr10
	s_and_saveexec_b64 s[8:9], s[12:13]
; %bb.3778:
	s_mov_b32 s10, 0x7f800001
	s_xor_b64 s[4:5], exec, -1
; %bb.3779:
	s_or_b64 exec, exec, s[8:9]
	s_and_b64 s[4:5], s[4:5], exec
	s_or_saveexec_b64 s[6:7], s[6:7]
	v_mov_b32_e32 v2, s10
	s_xor_b64 exec, exec, s[6:7]
	s_cbranch_execz .LBB31_1730
.LBB31_3780:
	v_mov_b32_e32 v2, 0
	v_cmp_ne_u16_sdwa s[8:9], v8, v2 src0_sel:BYTE_0 src1_sel:DWORD
	s_andn2_b64 s[4:5], s[4:5], exec
	s_and_b64 s[8:9], s[8:9], exec
	s_or_b64 s[4:5], s[4:5], s[8:9]
	s_or_b64 exec, exec, s[6:7]
	s_and_saveexec_b64 s[6:7], s[4:5]
	s_cbranch_execnz .LBB31_1731
	s_branch .LBB31_1732
.LBB31_3781:
	s_movk_i32 s4, 0x80
	v_cmp_eq_u16_sdwa s[12:13], v4, s4 src0_sel:BYTE_0 src1_sel:DWORD
	s_mov_b64 s[4:5], -1
                                        ; implicit-def: $sgpr10
	s_and_saveexec_b64 s[8:9], s[12:13]
; %bb.3782:
	s_mov_b32 s10, 0x7f800001
	s_xor_b64 s[4:5], exec, -1
; %bb.3783:
	s_or_b64 exec, exec, s[8:9]
	s_and_b64 s[4:5], s[4:5], exec
	s_or_saveexec_b64 s[6:7], s[6:7]
	v_mov_b32_e32 v3, s10
	s_xor_b64 exec, exec, s[6:7]
	s_cbranch_execz .LBB31_1734
.LBB31_3784:
	v_mov_b32_e32 v3, 0
	v_cmp_ne_u16_sdwa s[8:9], v4, v3 src0_sel:BYTE_0 src1_sel:DWORD
	s_andn2_b64 s[4:5], s[4:5], exec
	s_and_b64 s[8:9], s[8:9], exec
	s_or_b64 s[4:5], s[4:5], s[8:9]
	s_or_b64 exec, exec, s[6:7]
	s_and_saveexec_b64 s[6:7], s[4:5]
	s_cbranch_execnz .LBB31_1735
	s_branch .LBB31_1736
.LBB31_3785:
	s_movk_i32 s4, 0x80
	v_cmp_eq_u16_sdwa s[12:13], v3, s4 src0_sel:BYTE_0 src1_sel:DWORD
	s_mov_b64 s[4:5], -1
                                        ; implicit-def: $sgpr10
	s_and_saveexec_b64 s[8:9], s[12:13]
; %bb.3786:
	s_mov_b32 s10, 0x7f800001
	s_xor_b64 s[4:5], exec, -1
; %bb.3787:
	s_or_b64 exec, exec, s[8:9]
	s_and_b64 s[4:5], s[4:5], exec
	s_or_saveexec_b64 s[6:7], s[6:7]
	v_mov_b32_e32 v2, s10
	s_xor_b64 exec, exec, s[6:7]
	s_cbranch_execz .LBB31_1738
.LBB31_3788:
	v_mov_b32_e32 v2, 0
	v_cmp_ne_u16_sdwa s[8:9], v3, v2 src0_sel:BYTE_0 src1_sel:DWORD
	s_andn2_b64 s[4:5], s[4:5], exec
	s_and_b64 s[8:9], s[8:9], exec
	s_or_b64 s[4:5], s[4:5], s[8:9]
	s_or_b64 exec, exec, s[6:7]
	s_and_saveexec_b64 s[6:7], s[4:5]
	s_cbranch_execnz .LBB31_1739
	s_branch .LBB31_1740
.LBB31_3789:
	s_movk_i32 s4, 0x80
	v_cmp_eq_u16_sdwa s[12:13], v3, s4 src0_sel:BYTE_0 src1_sel:DWORD
	s_mov_b64 s[4:5], -1
                                        ; implicit-def: $sgpr10
	s_and_saveexec_b64 s[8:9], s[12:13]
; %bb.3790:
	s_mov_b32 s10, 0x7f800001
	s_xor_b64 s[4:5], exec, -1
; %bb.3791:
	s_or_b64 exec, exec, s[8:9]
	s_and_b64 s[4:5], s[4:5], exec
	s_or_saveexec_b64 s[6:7], s[6:7]
	v_mov_b32_e32 v6, s10
	s_xor_b64 exec, exec, s[6:7]
	s_cbranch_execz .LBB31_1742
.LBB31_3792:
	v_mov_b32_e32 v6, 0
	v_cmp_ne_u16_sdwa s[8:9], v3, v6 src0_sel:BYTE_0 src1_sel:DWORD
	s_andn2_b64 s[4:5], s[4:5], exec
	s_and_b64 s[8:9], s[8:9], exec
	s_or_b64 s[4:5], s[4:5], s[8:9]
	s_or_b64 exec, exec, s[6:7]
	s_and_saveexec_b64 s[6:7], s[4:5]
	s_cbranch_execnz .LBB31_1743
	s_branch .LBB31_1744
.LBB31_3793:
	s_movk_i32 s4, 0x80
	v_cmp_eq_u16_e32 vcc, s4, v3
	s_mov_b64 s[4:5], -1
                                        ; implicit-def: $sgpr10
	s_and_saveexec_b64 s[8:9], vcc
; %bb.3794:
	s_mov_b32 s10, 0x7f800001
	s_xor_b64 s[4:5], exec, -1
; %bb.3795:
	s_or_b64 exec, exec, s[8:9]
	s_and_b64 s[4:5], s[4:5], exec
                                        ; implicit-def: $vgpr3
	s_or_saveexec_b64 s[6:7], s[6:7]
	v_mov_b32_e32 v2, s10
	s_xor_b64 exec, exec, s[6:7]
	s_cbranch_execz .LBB31_1746
.LBB31_3796:
	v_cmp_ne_u16_e32 vcc, 0, v3
	s_andn2_b64 s[4:5], s[4:5], exec
	s_and_b64 s[8:9], vcc, exec
	v_mov_b32_e32 v2, 0
	s_or_b64 s[4:5], s[4:5], s[8:9]
	s_or_b64 exec, exec, s[6:7]
	s_and_saveexec_b64 s[6:7], s[4:5]
	s_cbranch_execnz .LBB31_1747
	s_branch .LBB31_1748
.LBB31_3797:
	s_movk_i32 s4, 0x80
	v_cmp_eq_u16_e32 vcc, s4, v3
	s_mov_b64 s[4:5], -1
                                        ; implicit-def: $sgpr10
	s_and_saveexec_b64 s[8:9], vcc
; %bb.3798:
	s_mov_b32 s10, 0x7f800001
	s_xor_b64 s[4:5], exec, -1
; %bb.3799:
	s_or_b64 exec, exec, s[8:9]
	s_and_b64 s[4:5], s[4:5], exec
                                        ; implicit-def: $vgpr3
	s_or_saveexec_b64 s[6:7], s[6:7]
	v_mov_b32_e32 v6, s10
	s_xor_b64 exec, exec, s[6:7]
	s_cbranch_execz .LBB31_1750
.LBB31_3800:
	v_cmp_ne_u16_e32 vcc, 0, v3
	s_andn2_b64 s[4:5], s[4:5], exec
	s_and_b64 s[8:9], vcc, exec
	v_mov_b32_e32 v6, 0
	s_or_b64 s[4:5], s[4:5], s[8:9]
	s_or_b64 exec, exec, s[6:7]
	s_and_saveexec_b64 s[6:7], s[4:5]
	s_cbranch_execnz .LBB31_1751
	s_branch .LBB31_1752
.LBB31_3801:
	s_movk_i32 s4, 0x80
	v_cmp_eq_u16_sdwa s[12:13], v8, s4 src0_sel:BYTE_3 src1_sel:DWORD
	s_mov_b64 s[4:5], -1
                                        ; implicit-def: $sgpr10
	s_and_saveexec_b64 s[8:9], s[12:13]
; %bb.3802:
	s_mov_b32 s10, 0x7f800001
	s_xor_b64 s[4:5], exec, -1
; %bb.3803:
	s_or_b64 exec, exec, s[8:9]
	s_and_b64 s[4:5], s[4:5], exec
	s_or_saveexec_b64 s[6:7], s[6:7]
	v_mov_b32_e32 v2, s10
	s_xor_b64 exec, exec, s[6:7]
	s_cbranch_execz .LBB31_1754
.LBB31_3804:
	v_mov_b32_e32 v2, 0
	v_cmp_ne_u16_sdwa s[8:9], v8, v2 src0_sel:BYTE_3 src1_sel:DWORD
	s_andn2_b64 s[4:5], s[4:5], exec
	s_and_b64 s[8:9], s[8:9], exec
	s_or_b64 s[4:5], s[4:5], s[8:9]
	s_or_b64 exec, exec, s[6:7]
	s_and_saveexec_b64 s[6:7], s[4:5]
	s_cbranch_execnz .LBB31_1755
	s_branch .LBB31_1756
.LBB31_3805:
	s_movk_i32 s4, 0x80
	v_cmp_eq_u16_sdwa s[12:13], v4, s4 src0_sel:BYTE_3 src1_sel:DWORD
	s_mov_b64 s[4:5], -1
                                        ; implicit-def: $sgpr10
	s_and_saveexec_b64 s[8:9], s[12:13]
; %bb.3806:
	s_mov_b32 s10, 0x7f800001
	s_xor_b64 s[4:5], exec, -1
; %bb.3807:
	s_or_b64 exec, exec, s[8:9]
	s_and_b64 s[4:5], s[4:5], exec
	s_or_saveexec_b64 s[6:7], s[6:7]
	v_mov_b32_e32 v3, s10
	s_xor_b64 exec, exec, s[6:7]
	s_cbranch_execz .LBB31_1758
.LBB31_3808:
	v_mov_b32_e32 v3, 0
	v_cmp_ne_u16_sdwa s[8:9], v4, v3 src0_sel:BYTE_3 src1_sel:DWORD
	s_andn2_b64 s[4:5], s[4:5], exec
	s_and_b64 s[8:9], s[8:9], exec
	s_or_b64 s[4:5], s[4:5], s[8:9]
	s_or_b64 exec, exec, s[6:7]
	s_and_saveexec_b64 s[6:7], s[4:5]
	s_cbranch_execnz .LBB31_1759
	s_branch .LBB31_1760
.LBB31_3809:
	s_movk_i32 s4, 0x80
	v_cmp_eq_u16_sdwa s[12:13], v9, s4 src0_sel:BYTE_0 src1_sel:DWORD
	s_mov_b64 s[4:5], -1
                                        ; implicit-def: $sgpr10
	s_and_saveexec_b64 s[8:9], s[12:13]
; %bb.3810:
	s_mov_b32 s10, 0x7f800001
	s_xor_b64 s[4:5], exec, -1
; %bb.3811:
	s_or_b64 exec, exec, s[8:9]
	s_and_b64 s[4:5], s[4:5], exec
	s_or_saveexec_b64 s[6:7], s[6:7]
	v_mov_b32_e32 v2, s10
	s_xor_b64 exec, exec, s[6:7]
	s_cbranch_execz .LBB31_1762
.LBB31_3812:
	v_mov_b32_e32 v2, 0
	v_cmp_ne_u16_sdwa s[8:9], v9, v2 src0_sel:BYTE_0 src1_sel:DWORD
	s_andn2_b64 s[4:5], s[4:5], exec
	s_and_b64 s[8:9], s[8:9], exec
	s_or_b64 s[4:5], s[4:5], s[8:9]
	s_or_b64 exec, exec, s[6:7]
	s_and_saveexec_b64 s[6:7], s[4:5]
	s_cbranch_execnz .LBB31_1763
	s_branch .LBB31_1764
.LBB31_3813:
	s_movk_i32 s4, 0x80
	v_cmp_eq_u16_sdwa s[12:13], v5, s4 src0_sel:BYTE_0 src1_sel:DWORD
	s_mov_b64 s[4:5], -1
                                        ; implicit-def: $sgpr10
	s_and_saveexec_b64 s[8:9], s[12:13]
; %bb.3814:
	s_mov_b32 s10, 0x7f800001
	s_xor_b64 s[4:5], exec, -1
; %bb.3815:
	s_or_b64 exec, exec, s[8:9]
	s_and_b64 s[4:5], s[4:5], exec
	s_or_saveexec_b64 s[6:7], s[6:7]
	v_mov_b32_e32 v3, s10
	s_xor_b64 exec, exec, s[6:7]
	s_cbranch_execz .LBB31_1766
.LBB31_3816:
	v_mov_b32_e32 v3, 0
	v_cmp_ne_u16_sdwa s[8:9], v5, v3 src0_sel:BYTE_0 src1_sel:DWORD
	s_andn2_b64 s[4:5], s[4:5], exec
	s_and_b64 s[8:9], s[8:9], exec
	s_or_b64 s[4:5], s[4:5], s[8:9]
	s_or_b64 exec, exec, s[6:7]
	s_and_saveexec_b64 s[6:7], s[4:5]
	s_cbranch_execnz .LBB31_1767
	s_branch .LBB31_1768
.LBB31_3817:
	s_movk_i32 s4, 0x80
	v_cmp_eq_u16_sdwa s[12:13], v3, s4 src0_sel:BYTE_0 src1_sel:DWORD
	s_mov_b64 s[4:5], -1
                                        ; implicit-def: $sgpr10
	s_and_saveexec_b64 s[8:9], s[12:13]
; %bb.3818:
	s_mov_b32 s10, 0x7f800001
	s_xor_b64 s[4:5], exec, -1
; %bb.3819:
	s_or_b64 exec, exec, s[8:9]
	s_and_b64 s[4:5], s[4:5], exec
	s_or_saveexec_b64 s[6:7], s[6:7]
	v_mov_b32_e32 v2, s10
	s_xor_b64 exec, exec, s[6:7]
	s_cbranch_execz .LBB31_1770
.LBB31_3820:
	v_mov_b32_e32 v2, 0
	v_cmp_ne_u16_sdwa s[8:9], v3, v2 src0_sel:BYTE_0 src1_sel:DWORD
	s_andn2_b64 s[4:5], s[4:5], exec
	s_and_b64 s[8:9], s[8:9], exec
	s_or_b64 s[4:5], s[4:5], s[8:9]
	s_or_b64 exec, exec, s[6:7]
	s_and_saveexec_b64 s[6:7], s[4:5]
	s_cbranch_execnz .LBB31_1771
	s_branch .LBB31_1772
.LBB31_3821:
	s_movk_i32 s4, 0x80
	v_cmp_eq_u16_sdwa s[12:13], v3, s4 src0_sel:BYTE_0 src1_sel:DWORD
	s_mov_b64 s[4:5], -1
                                        ; implicit-def: $sgpr10
	s_and_saveexec_b64 s[8:9], s[12:13]
; %bb.3822:
	s_mov_b32 s10, 0x7f800001
	s_xor_b64 s[4:5], exec, -1
; %bb.3823:
	s_or_b64 exec, exec, s[8:9]
	s_and_b64 s[4:5], s[4:5], exec
	s_or_saveexec_b64 s[6:7], s[6:7]
	v_mov_b32_e32 v4, s10
	s_xor_b64 exec, exec, s[6:7]
	s_cbranch_execz .LBB31_1774
.LBB31_3824:
	v_mov_b32_e32 v4, 0
	v_cmp_ne_u16_sdwa s[8:9], v3, v4 src0_sel:BYTE_0 src1_sel:DWORD
	s_andn2_b64 s[4:5], s[4:5], exec
	s_and_b64 s[8:9], s[8:9], exec
	s_or_b64 s[4:5], s[4:5], s[8:9]
	s_or_b64 exec, exec, s[6:7]
	s_and_saveexec_b64 s[6:7], s[4:5]
	s_cbranch_execnz .LBB31_1775
	s_branch .LBB31_1776
.LBB31_3825:
	s_movk_i32 s4, 0x80
	v_cmp_eq_u16_e32 vcc, s4, v3
	s_mov_b64 s[4:5], -1
                                        ; implicit-def: $sgpr10
	s_and_saveexec_b64 s[8:9], vcc
; %bb.3826:
	s_mov_b32 s10, 0x7f800001
	s_xor_b64 s[4:5], exec, -1
; %bb.3827:
	s_or_b64 exec, exec, s[8:9]
	s_and_b64 s[4:5], s[4:5], exec
                                        ; implicit-def: $vgpr3
	s_or_saveexec_b64 s[6:7], s[6:7]
	v_mov_b32_e32 v2, s10
	s_xor_b64 exec, exec, s[6:7]
	s_cbranch_execz .LBB31_1778
.LBB31_3828:
	v_cmp_ne_u16_e32 vcc, 0, v3
	s_andn2_b64 s[4:5], s[4:5], exec
	s_and_b64 s[8:9], vcc, exec
	v_mov_b32_e32 v2, 0
	s_or_b64 s[4:5], s[4:5], s[8:9]
	s_or_b64 exec, exec, s[6:7]
	s_and_saveexec_b64 s[6:7], s[4:5]
	s_cbranch_execnz .LBB31_1779
	s_branch .LBB31_1780
.LBB31_3829:
	s_movk_i32 s4, 0x80
	v_cmp_eq_u16_e32 vcc, s4, v3
	s_mov_b64 s[4:5], -1
                                        ; implicit-def: $sgpr10
	s_and_saveexec_b64 s[8:9], vcc
; %bb.3830:
	s_mov_b32 s10, 0x7f800001
	s_xor_b64 s[4:5], exec, -1
; %bb.3831:
	s_or_b64 exec, exec, s[8:9]
	s_and_b64 s[4:5], s[4:5], exec
                                        ; implicit-def: $vgpr3
	s_or_saveexec_b64 s[6:7], s[6:7]
	v_mov_b32_e32 v4, s10
	s_xor_b64 exec, exec, s[6:7]
	s_cbranch_execz .LBB31_1782
.LBB31_3832:
	v_cmp_ne_u16_e32 vcc, 0, v3
	s_andn2_b64 s[4:5], s[4:5], exec
	s_and_b64 s[8:9], vcc, exec
	v_mov_b32_e32 v4, 0
	s_or_b64 s[4:5], s[4:5], s[8:9]
	s_or_b64 exec, exec, s[6:7]
	s_and_saveexec_b64 s[6:7], s[4:5]
	s_cbranch_execnz .LBB31_1783
	s_branch .LBB31_1784
.LBB31_3833:
	s_movk_i32 s4, 0x80
	v_cmp_eq_u16_sdwa s[12:13], v9, s4 src0_sel:BYTE_3 src1_sel:DWORD
	s_mov_b64 s[4:5], -1
                                        ; implicit-def: $sgpr10
	s_and_saveexec_b64 s[8:9], s[12:13]
; %bb.3834:
	s_mov_b32 s10, 0x7f800001
	s_xor_b64 s[4:5], exec, -1
; %bb.3835:
	s_or_b64 exec, exec, s[8:9]
	s_and_b64 s[4:5], s[4:5], exec
	s_or_saveexec_b64 s[6:7], s[6:7]
	v_mov_b32_e32 v2, s10
	s_xor_b64 exec, exec, s[6:7]
	s_cbranch_execz .LBB31_1786
.LBB31_3836:
	v_mov_b32_e32 v2, 0
	v_cmp_ne_u16_sdwa s[8:9], v9, v2 src0_sel:BYTE_3 src1_sel:DWORD
	s_andn2_b64 s[4:5], s[4:5], exec
	s_and_b64 s[8:9], s[8:9], exec
	s_or_b64 s[4:5], s[4:5], s[8:9]
	s_or_b64 exec, exec, s[6:7]
	s_and_saveexec_b64 s[6:7], s[4:5]
	s_cbranch_execnz .LBB31_1787
	s_branch .LBB31_1788
.LBB31_3837:
	s_movk_i32 s4, 0x80
	v_cmp_eq_u16_sdwa s[12:13], v5, s4 src0_sel:BYTE_3 src1_sel:DWORD
	s_mov_b64 s[4:5], -1
                                        ; implicit-def: $sgpr10
	s_and_saveexec_b64 s[8:9], s[12:13]
; %bb.3838:
	s_mov_b32 s10, 0x7f800001
	s_xor_b64 s[4:5], exec, -1
; %bb.3839:
	s_or_b64 exec, exec, s[8:9]
	s_and_b64 s[4:5], s[4:5], exec
	s_or_saveexec_b64 s[6:7], s[6:7]
	v_mov_b32_e32 v3, s10
	s_xor_b64 exec, exec, s[6:7]
	s_cbranch_execz .LBB31_1790
.LBB31_3840:
	v_mov_b32_e32 v3, 0
	v_cmp_ne_u16_sdwa s[8:9], v5, v3 src0_sel:BYTE_3 src1_sel:DWORD
	s_andn2_b64 s[4:5], s[4:5], exec
	s_and_b64 s[8:9], s[8:9], exec
	s_or_b64 s[4:5], s[4:5], s[8:9]
	s_or_b64 exec, exec, s[6:7]
	s_and_saveexec_b64 s[6:7], s[4:5]
	s_cbranch_execnz .LBB31_1791
	s_branch .LBB31_1792
.LBB31_3841:
	s_movk_i32 s4, 0x80
	v_cmp_eq_u16_sdwa s[12:13], v12, s4 src0_sel:BYTE_0 src1_sel:DWORD
	s_mov_b64 s[4:5], -1
                                        ; implicit-def: $sgpr10
	s_and_saveexec_b64 s[8:9], s[12:13]
; %bb.3842:
	s_mov_b32 s10, 0x7f800001
	s_xor_b64 s[4:5], exec, -1
; %bb.3843:
	s_or_b64 exec, exec, s[8:9]
	s_and_b64 s[4:5], s[4:5], exec
	s_or_saveexec_b64 s[6:7], s[6:7]
	v_mov_b32_e32 v18, s10
	s_xor_b64 exec, exec, s[6:7]
	s_cbranch_execz .LBB31_1794
.LBB31_3844:
	v_mov_b32_e32 v18, 0
	v_cmp_ne_u16_sdwa s[8:9], v12, v18 src0_sel:BYTE_0 src1_sel:DWORD
	s_andn2_b64 s[4:5], s[4:5], exec
	s_and_b64 s[8:9], s[8:9], exec
	s_or_b64 s[4:5], s[4:5], s[8:9]
	s_or_b64 exec, exec, s[6:7]
	s_and_saveexec_b64 s[6:7], s[4:5]
	s_cbranch_execnz .LBB31_1795
	s_branch .LBB31_1796
.LBB31_3845:
	s_movk_i32 s4, 0x80
	v_cmp_eq_u16_sdwa s[12:13], v8, s4 src0_sel:BYTE_0 src1_sel:DWORD
	s_mov_b64 s[4:5], -1
                                        ; implicit-def: $sgpr10
	s_and_saveexec_b64 s[8:9], s[12:13]
; %bb.3846:
	s_mov_b32 s10, 0x7f800001
	s_xor_b64 s[4:5], exec, -1
; %bb.3847:
	s_or_b64 exec, exec, s[8:9]
	s_and_b64 s[4:5], s[4:5], exec
	s_or_saveexec_b64 s[6:7], s[6:7]
	v_mov_b32_e32 v19, s10
	s_xor_b64 exec, exec, s[6:7]
	s_cbranch_execz .LBB31_1798
.LBB31_3848:
	v_mov_b32_e32 v19, 0
	v_cmp_ne_u16_sdwa s[8:9], v8, v19 src0_sel:BYTE_0 src1_sel:DWORD
	s_andn2_b64 s[4:5], s[4:5], exec
	s_and_b64 s[8:9], s[8:9], exec
	s_or_b64 s[4:5], s[4:5], s[8:9]
	s_or_b64 exec, exec, s[6:7]
	s_and_saveexec_b64 s[6:7], s[4:5]
	s_cbranch_execnz .LBB31_1799
	s_branch .LBB31_1800
.LBB31_3849:
	s_movk_i32 s4, 0x80
	v_cmp_eq_u16_sdwa s[12:13], v19, s4 src0_sel:BYTE_0 src1_sel:DWORD
	s_mov_b64 s[4:5], -1
                                        ; implicit-def: $sgpr10
	s_and_saveexec_b64 s[8:9], s[12:13]
; %bb.3850:
	s_mov_b32 s10, 0x7f800001
	s_xor_b64 s[4:5], exec, -1
; %bb.3851:
	s_or_b64 exec, exec, s[8:9]
	s_and_b64 s[4:5], s[4:5], exec
	s_or_saveexec_b64 s[6:7], s[6:7]
	v_mov_b32_e32 v18, s10
	s_xor_b64 exec, exec, s[6:7]
	s_cbranch_execz .LBB31_1802
.LBB31_3852:
	v_mov_b32_e32 v18, 0
	v_cmp_ne_u16_sdwa s[8:9], v19, v18 src0_sel:BYTE_0 src1_sel:DWORD
	s_andn2_b64 s[4:5], s[4:5], exec
	s_and_b64 s[8:9], s[8:9], exec
	s_or_b64 s[4:5], s[4:5], s[8:9]
	s_or_b64 exec, exec, s[6:7]
	s_and_saveexec_b64 s[6:7], s[4:5]
	s_cbranch_execnz .LBB31_1803
	s_branch .LBB31_1804
.LBB31_3853:
	s_movk_i32 s4, 0x80
	v_cmp_eq_u16_sdwa s[12:13], v19, s4 src0_sel:BYTE_0 src1_sel:DWORD
	s_mov_b64 s[4:5], -1
                                        ; implicit-def: $sgpr10
	s_and_saveexec_b64 s[8:9], s[12:13]
; %bb.3854:
	s_mov_b32 s10, 0x7f800001
	s_xor_b64 s[4:5], exec, -1
; %bb.3855:
	s_or_b64 exec, exec, s[8:9]
	s_and_b64 s[4:5], s[4:5], exec
	s_or_saveexec_b64 s[6:7], s[6:7]
	v_mov_b32_e32 v20, s10
	s_xor_b64 exec, exec, s[6:7]
	s_cbranch_execz .LBB31_1806
.LBB31_3856:
	v_mov_b32_e32 v20, 0
	v_cmp_ne_u16_sdwa s[8:9], v19, v20 src0_sel:BYTE_0 src1_sel:DWORD
	s_andn2_b64 s[4:5], s[4:5], exec
	s_and_b64 s[8:9], s[8:9], exec
	s_or_b64 s[4:5], s[4:5], s[8:9]
	s_or_b64 exec, exec, s[6:7]
	s_and_saveexec_b64 s[6:7], s[4:5]
	s_cbranch_execnz .LBB31_1807
	s_branch .LBB31_1808
.LBB31_3857:
	s_movk_i32 s4, 0x80
	v_cmp_eq_u16_e32 vcc, s4, v19
	s_mov_b64 s[4:5], -1
                                        ; implicit-def: $sgpr10
	s_and_saveexec_b64 s[8:9], vcc
; %bb.3858:
	s_mov_b32 s10, 0x7f800001
	s_xor_b64 s[4:5], exec, -1
; %bb.3859:
	s_or_b64 exec, exec, s[8:9]
	s_and_b64 s[4:5], s[4:5], exec
                                        ; implicit-def: $vgpr19
	s_or_saveexec_b64 s[6:7], s[6:7]
	v_mov_b32_e32 v18, s10
	s_xor_b64 exec, exec, s[6:7]
	s_cbranch_execz .LBB31_1810
.LBB31_3860:
	v_cmp_ne_u16_e32 vcc, 0, v19
	s_andn2_b64 s[4:5], s[4:5], exec
	s_and_b64 s[8:9], vcc, exec
	v_mov_b32_e32 v18, 0
	s_or_b64 s[4:5], s[4:5], s[8:9]
	s_or_b64 exec, exec, s[6:7]
	s_and_saveexec_b64 s[6:7], s[4:5]
	s_cbranch_execnz .LBB31_1811
	s_branch .LBB31_1812
.LBB31_3861:
	s_movk_i32 s4, 0x80
	v_cmp_eq_u16_e32 vcc, s4, v19
	s_mov_b64 s[4:5], -1
                                        ; implicit-def: $sgpr10
	s_and_saveexec_b64 s[8:9], vcc
; %bb.3862:
	s_mov_b32 s10, 0x7f800001
	s_xor_b64 s[4:5], exec, -1
; %bb.3863:
	s_or_b64 exec, exec, s[8:9]
	s_and_b64 s[4:5], s[4:5], exec
                                        ; implicit-def: $vgpr19
	s_or_saveexec_b64 s[6:7], s[6:7]
	v_mov_b32_e32 v20, s10
	s_xor_b64 exec, exec, s[6:7]
	s_cbranch_execz .LBB31_1814
.LBB31_3864:
	v_cmp_ne_u16_e32 vcc, 0, v19
	s_andn2_b64 s[4:5], s[4:5], exec
	s_and_b64 s[8:9], vcc, exec
	v_mov_b32_e32 v20, 0
	s_or_b64 s[4:5], s[4:5], s[8:9]
	s_or_b64 exec, exec, s[6:7]
	s_and_saveexec_b64 s[6:7], s[4:5]
	s_cbranch_execnz .LBB31_1815
	s_branch .LBB31_1816
.LBB31_3865:
	s_movk_i32 s4, 0x80
	v_cmp_eq_u16_sdwa s[12:13], v12, s4 src0_sel:BYTE_3 src1_sel:DWORD
	s_mov_b64 s[4:5], -1
                                        ; implicit-def: $sgpr10
	s_and_saveexec_b64 s[8:9], s[12:13]
; %bb.3866:
	s_mov_b32 s10, 0x7f800001
	s_xor_b64 s[4:5], exec, -1
; %bb.3867:
	s_or_b64 exec, exec, s[8:9]
	s_and_b64 s[4:5], s[4:5], exec
	s_or_saveexec_b64 s[6:7], s[6:7]
	v_mov_b32_e32 v18, s10
	s_xor_b64 exec, exec, s[6:7]
	s_cbranch_execz .LBB31_1818
.LBB31_3868:
	v_mov_b32_e32 v18, 0
	v_cmp_ne_u16_sdwa s[8:9], v12, v18 src0_sel:BYTE_3 src1_sel:DWORD
	s_andn2_b64 s[4:5], s[4:5], exec
	s_and_b64 s[8:9], s[8:9], exec
	s_or_b64 s[4:5], s[4:5], s[8:9]
	s_or_b64 exec, exec, s[6:7]
	s_and_saveexec_b64 s[6:7], s[4:5]
	s_cbranch_execnz .LBB31_1819
	s_branch .LBB31_1820
.LBB31_3869:
	s_movk_i32 s4, 0x80
	v_cmp_eq_u16_sdwa s[12:13], v8, s4 src0_sel:BYTE_3 src1_sel:DWORD
	s_mov_b64 s[4:5], -1
                                        ; implicit-def: $sgpr10
	s_and_saveexec_b64 s[8:9], s[12:13]
; %bb.3870:
	s_mov_b32 s10, 0x7f800001
	s_xor_b64 s[4:5], exec, -1
; %bb.3871:
	s_or_b64 exec, exec, s[8:9]
	s_and_b64 s[4:5], s[4:5], exec
	s_or_saveexec_b64 s[6:7], s[6:7]
	v_mov_b32_e32 v12, s10
	s_xor_b64 exec, exec, s[6:7]
	s_cbranch_execz .LBB31_1822
.LBB31_3872:
	v_mov_b32_e32 v12, 0
	v_cmp_ne_u16_sdwa s[8:9], v8, v12 src0_sel:BYTE_3 src1_sel:DWORD
	s_andn2_b64 s[4:5], s[4:5], exec
	s_and_b64 s[8:9], s[8:9], exec
	s_or_b64 s[4:5], s[4:5], s[8:9]
	s_or_b64 exec, exec, s[6:7]
	s_and_saveexec_b64 s[6:7], s[4:5]
	s_cbranch_execnz .LBB31_1823
	s_branch .LBB31_1824
.LBB31_3873:
	s_movk_i32 s4, 0x80
	v_cmp_eq_u16_sdwa s[12:13], v13, s4 src0_sel:BYTE_0 src1_sel:DWORD
	s_mov_b64 s[4:5], -1
                                        ; implicit-def: $sgpr10
	s_and_saveexec_b64 s[8:9], s[12:13]
; %bb.3874:
	s_mov_b32 s10, 0x7f800001
	s_xor_b64 s[4:5], exec, -1
; %bb.3875:
	s_or_b64 exec, exec, s[8:9]
	s_and_b64 s[4:5], s[4:5], exec
	s_or_saveexec_b64 s[6:7], s[6:7]
	v_mov_b32_e32 v8, s10
	s_xor_b64 exec, exec, s[6:7]
	s_cbranch_execz .LBB31_1826
.LBB31_3876:
	v_mov_b32_e32 v8, 0
	v_cmp_ne_u16_sdwa s[8:9], v13, v8 src0_sel:BYTE_0 src1_sel:DWORD
	s_andn2_b64 s[4:5], s[4:5], exec
	s_and_b64 s[8:9], s[8:9], exec
	s_or_b64 s[4:5], s[4:5], s[8:9]
	s_or_b64 exec, exec, s[6:7]
	s_and_saveexec_b64 s[6:7], s[4:5]
	s_cbranch_execnz .LBB31_1827
	s_branch .LBB31_1828
.LBB31_3877:
	s_movk_i32 s4, 0x80
	v_cmp_eq_u16_sdwa s[12:13], v9, s4 src0_sel:BYTE_0 src1_sel:DWORD
	s_mov_b64 s[4:5], -1
                                        ; implicit-def: $sgpr10
	s_and_saveexec_b64 s[8:9], s[12:13]
; %bb.3878:
	s_mov_b32 s10, 0x7f800001
	s_xor_b64 s[4:5], exec, -1
; %bb.3879:
	s_or_b64 exec, exec, s[8:9]
	s_and_b64 s[4:5], s[4:5], exec
	s_or_saveexec_b64 s[6:7], s[6:7]
	v_mov_b32_e32 v12, s10
	s_xor_b64 exec, exec, s[6:7]
	s_cbranch_execz .LBB31_1830
.LBB31_3880:
	v_mov_b32_e32 v12, 0
	v_cmp_ne_u16_sdwa s[8:9], v9, v12 src0_sel:BYTE_0 src1_sel:DWORD
	s_andn2_b64 s[4:5], s[4:5], exec
	s_and_b64 s[8:9], s[8:9], exec
	s_or_b64 s[4:5], s[4:5], s[8:9]
	s_or_b64 exec, exec, s[6:7]
	s_and_saveexec_b64 s[6:7], s[4:5]
	s_cbranch_execnz .LBB31_1831
	s_branch .LBB31_1832
.LBB31_3881:
	s_movk_i32 s4, 0x80
	v_cmp_eq_u16_sdwa s[12:13], v12, s4 src0_sel:BYTE_0 src1_sel:DWORD
	s_mov_b64 s[4:5], -1
                                        ; implicit-def: $sgpr10
	s_and_saveexec_b64 s[8:9], s[12:13]
; %bb.3882:
	s_mov_b32 s10, 0x7f800001
	s_xor_b64 s[4:5], exec, -1
; %bb.3883:
	s_or_b64 exec, exec, s[8:9]
	s_and_b64 s[4:5], s[4:5], exec
	s_or_saveexec_b64 s[6:7], s[6:7]
	v_mov_b32_e32 v8, s10
	s_xor_b64 exec, exec, s[6:7]
	s_cbranch_execz .LBB31_1834
.LBB31_3884:
	v_mov_b32_e32 v8, 0
	v_cmp_ne_u16_sdwa s[8:9], v12, v8 src0_sel:BYTE_0 src1_sel:DWORD
	s_andn2_b64 s[4:5], s[4:5], exec
	s_and_b64 s[8:9], s[8:9], exec
	s_or_b64 s[4:5], s[4:5], s[8:9]
	s_or_b64 exec, exec, s[6:7]
	s_and_saveexec_b64 s[6:7], s[4:5]
	s_cbranch_execnz .LBB31_1835
	s_branch .LBB31_1836
.LBB31_3885:
	s_movk_i32 s4, 0x80
	v_cmp_eq_u16_sdwa s[12:13], v12, s4 src0_sel:BYTE_0 src1_sel:DWORD
	s_mov_b64 s[4:5], -1
                                        ; implicit-def: $sgpr10
	s_and_saveexec_b64 s[8:9], s[12:13]
; %bb.3886:
	s_mov_b32 s10, 0x7f800001
	s_xor_b64 s[4:5], exec, -1
; %bb.3887:
	s_or_b64 exec, exec, s[8:9]
	s_and_b64 s[4:5], s[4:5], exec
	s_or_saveexec_b64 s[6:7], s[6:7]
	v_mov_b32_e32 v18, s10
	s_xor_b64 exec, exec, s[6:7]
	s_cbranch_execz .LBB31_1838
.LBB31_3888:
	v_mov_b32_e32 v18, 0
	v_cmp_ne_u16_sdwa s[8:9], v12, v18 src0_sel:BYTE_0 src1_sel:DWORD
	s_andn2_b64 s[4:5], s[4:5], exec
	s_and_b64 s[8:9], s[8:9], exec
	s_or_b64 s[4:5], s[4:5], s[8:9]
	s_or_b64 exec, exec, s[6:7]
	s_and_saveexec_b64 s[6:7], s[4:5]
	s_cbranch_execnz .LBB31_1839
	s_branch .LBB31_1840
.LBB31_3889:
	s_movk_i32 s4, 0x80
	v_cmp_eq_u16_e32 vcc, s4, v12
	s_mov_b64 s[4:5], -1
                                        ; implicit-def: $sgpr10
	s_and_saveexec_b64 s[8:9], vcc
; %bb.3890:
	s_mov_b32 s10, 0x7f800001
	s_xor_b64 s[4:5], exec, -1
; %bb.3891:
	s_or_b64 exec, exec, s[8:9]
	s_and_b64 s[4:5], s[4:5], exec
                                        ; implicit-def: $vgpr12
	s_or_saveexec_b64 s[6:7], s[6:7]
	v_mov_b32_e32 v8, s10
	s_xor_b64 exec, exec, s[6:7]
	s_cbranch_execz .LBB31_1842
.LBB31_3892:
	v_cmp_ne_u16_e32 vcc, 0, v12
	s_andn2_b64 s[4:5], s[4:5], exec
	s_and_b64 s[8:9], vcc, exec
	v_mov_b32_e32 v8, 0
	s_or_b64 s[4:5], s[4:5], s[8:9]
	s_or_b64 exec, exec, s[6:7]
	s_and_saveexec_b64 s[6:7], s[4:5]
	s_cbranch_execnz .LBB31_1843
	s_branch .LBB31_1844
.LBB31_3893:
	s_movk_i32 s4, 0x80
	v_cmp_eq_u16_e32 vcc, s4, v12
	s_mov_b64 s[4:5], -1
                                        ; implicit-def: $sgpr10
	s_and_saveexec_b64 s[8:9], vcc
; %bb.3894:
	s_mov_b32 s10, 0x7f800001
	s_xor_b64 s[4:5], exec, -1
; %bb.3895:
	s_or_b64 exec, exec, s[8:9]
	s_and_b64 s[4:5], s[4:5], exec
                                        ; implicit-def: $vgpr12
	s_or_saveexec_b64 s[6:7], s[6:7]
	v_mov_b32_e32 v18, s10
	s_xor_b64 exec, exec, s[6:7]
	s_cbranch_execz .LBB31_1846
.LBB31_3896:
	v_cmp_ne_u16_e32 vcc, 0, v12
	s_andn2_b64 s[4:5], s[4:5], exec
	s_and_b64 s[8:9], vcc, exec
	v_mov_b32_e32 v18, 0
	s_or_b64 s[4:5], s[4:5], s[8:9]
	s_or_b64 exec, exec, s[6:7]
	s_and_saveexec_b64 s[6:7], s[4:5]
	s_cbranch_execnz .LBB31_1847
	s_branch .LBB31_1848
.LBB31_3897:
	s_movk_i32 s4, 0x80
	v_cmp_eq_u16_sdwa s[12:13], v13, s4 src0_sel:BYTE_3 src1_sel:DWORD
	s_mov_b64 s[4:5], -1
                                        ; implicit-def: $sgpr10
	s_and_saveexec_b64 s[8:9], s[12:13]
; %bb.3898:
	s_mov_b32 s10, 0x7f800001
	s_xor_b64 s[4:5], exec, -1
; %bb.3899:
	s_or_b64 exec, exec, s[8:9]
	s_and_b64 s[4:5], s[4:5], exec
	s_or_saveexec_b64 s[6:7], s[6:7]
	v_mov_b32_e32 v8, s10
	s_xor_b64 exec, exec, s[6:7]
	s_cbranch_execz .LBB31_1850
.LBB31_3900:
	v_mov_b32_e32 v8, 0
	v_cmp_ne_u16_sdwa s[8:9], v13, v8 src0_sel:BYTE_3 src1_sel:DWORD
	s_andn2_b64 s[4:5], s[4:5], exec
	s_and_b64 s[8:9], s[8:9], exec
	s_or_b64 s[4:5], s[4:5], s[8:9]
	s_or_b64 exec, exec, s[6:7]
	s_and_saveexec_b64 s[6:7], s[4:5]
	s_cbranch_execnz .LBB31_1851
	s_branch .LBB31_1852
.LBB31_3901:
	s_movk_i32 s4, 0x80
	v_cmp_eq_u16_sdwa s[12:13], v9, s4 src0_sel:BYTE_3 src1_sel:DWORD
	s_mov_b64 s[4:5], -1
                                        ; implicit-def: $sgpr10
	s_and_saveexec_b64 s[8:9], s[12:13]
; %bb.3902:
	s_mov_b32 s10, 0x7f800001
	s_xor_b64 s[4:5], exec, -1
; %bb.3903:
	s_or_b64 exec, exec, s[8:9]
	s_and_b64 s[4:5], s[4:5], exec
	s_or_saveexec_b64 s[6:7], s[6:7]
	v_mov_b32_e32 v12, s10
	s_xor_b64 exec, exec, s[6:7]
	s_cbranch_execz .LBB31_1854
.LBB31_3904:
	v_mov_b32_e32 v12, 0
	v_cmp_ne_u16_sdwa s[8:9], v9, v12 src0_sel:BYTE_3 src1_sel:DWORD
	s_andn2_b64 s[4:5], s[4:5], exec
	s_and_b64 s[8:9], s[8:9], exec
	s_or_b64 s[4:5], s[4:5], s[8:9]
	s_or_b64 exec, exec, s[6:7]
	s_and_saveexec_b64 s[6:7], s[4:5]
	s_cbranch_execnz .LBB31_1855
	s_branch .LBB31_1856
.LBB31_3905:
	s_movk_i32 s4, 0x80
	v_cmp_eq_u16_sdwa s[12:13], v14, s4 src0_sel:BYTE_0 src1_sel:DWORD
	s_mov_b64 s[4:5], -1
                                        ; implicit-def: $sgpr10
	s_and_saveexec_b64 s[8:9], s[12:13]
; %bb.3906:
	s_mov_b32 s10, 0x7f800001
	s_xor_b64 s[4:5], exec, -1
; %bb.3907:
	s_or_b64 exec, exec, s[8:9]
	s_and_b64 s[4:5], s[4:5], exec
	s_or_saveexec_b64 s[6:7], s[6:7]
	v_mov_b32_e32 v8, s10
	s_xor_b64 exec, exec, s[6:7]
	s_cbranch_execz .LBB31_1858
.LBB31_3908:
	v_mov_b32_e32 v8, 0
	v_cmp_ne_u16_sdwa s[8:9], v14, v8 src0_sel:BYTE_0 src1_sel:DWORD
	s_andn2_b64 s[4:5], s[4:5], exec
	s_and_b64 s[8:9], s[8:9], exec
	s_or_b64 s[4:5], s[4:5], s[8:9]
	s_or_b64 exec, exec, s[6:7]
	s_and_saveexec_b64 s[6:7], s[4:5]
	s_cbranch_execnz .LBB31_1859
	s_branch .LBB31_1860
.LBB31_3909:
	s_movk_i32 s4, 0x80
	v_cmp_eq_u16_sdwa s[12:13], v10, s4 src0_sel:BYTE_0 src1_sel:DWORD
	s_mov_b64 s[4:5], -1
                                        ; implicit-def: $sgpr10
	s_and_saveexec_b64 s[8:9], s[12:13]
; %bb.3910:
	s_mov_b32 s10, 0x7f800001
	s_xor_b64 s[4:5], exec, -1
; %bb.3911:
	s_or_b64 exec, exec, s[8:9]
	s_and_b64 s[4:5], s[4:5], exec
	s_or_saveexec_b64 s[6:7], s[6:7]
	v_mov_b32_e32 v9, s10
	s_xor_b64 exec, exec, s[6:7]
	s_cbranch_execz .LBB31_1862
.LBB31_3912:
	v_mov_b32_e32 v9, 0
	v_cmp_ne_u16_sdwa s[8:9], v10, v9 src0_sel:BYTE_0 src1_sel:DWORD
	s_andn2_b64 s[4:5], s[4:5], exec
	s_and_b64 s[8:9], s[8:9], exec
	s_or_b64 s[4:5], s[4:5], s[8:9]
	s_or_b64 exec, exec, s[6:7]
	s_and_saveexec_b64 s[6:7], s[4:5]
	s_cbranch_execnz .LBB31_1863
	s_branch .LBB31_1864
.LBB31_3913:
	s_movk_i32 s4, 0x80
	v_cmp_eq_u16_sdwa s[12:13], v9, s4 src0_sel:BYTE_0 src1_sel:DWORD
	s_mov_b64 s[4:5], -1
                                        ; implicit-def: $sgpr10
	s_and_saveexec_b64 s[8:9], s[12:13]
; %bb.3914:
	s_mov_b32 s10, 0x7f800001
	s_xor_b64 s[4:5], exec, -1
; %bb.3915:
	s_or_b64 exec, exec, s[8:9]
	s_and_b64 s[4:5], s[4:5], exec
	s_or_saveexec_b64 s[6:7], s[6:7]
	v_mov_b32_e32 v8, s10
	s_xor_b64 exec, exec, s[6:7]
	s_cbranch_execz .LBB31_1866
.LBB31_3916:
	v_mov_b32_e32 v8, 0
	v_cmp_ne_u16_sdwa s[8:9], v9, v8 src0_sel:BYTE_0 src1_sel:DWORD
	s_andn2_b64 s[4:5], s[4:5], exec
	s_and_b64 s[8:9], s[8:9], exec
	s_or_b64 s[4:5], s[4:5], s[8:9]
	s_or_b64 exec, exec, s[6:7]
	s_and_saveexec_b64 s[6:7], s[4:5]
	s_cbranch_execnz .LBB31_1867
	s_branch .LBB31_1868
.LBB31_3917:
	s_movk_i32 s4, 0x80
	v_cmp_eq_u16_sdwa s[12:13], v9, s4 src0_sel:BYTE_0 src1_sel:DWORD
	s_mov_b64 s[4:5], -1
                                        ; implicit-def: $sgpr10
	s_and_saveexec_b64 s[8:9], s[12:13]
; %bb.3918:
	s_mov_b32 s10, 0x7f800001
	s_xor_b64 s[4:5], exec, -1
; %bb.3919:
	s_or_b64 exec, exec, s[8:9]
	s_and_b64 s[4:5], s[4:5], exec
	s_or_saveexec_b64 s[6:7], s[6:7]
	v_mov_b32_e32 v12, s10
	s_xor_b64 exec, exec, s[6:7]
	s_cbranch_execz .LBB31_1870
.LBB31_3920:
	v_mov_b32_e32 v12, 0
	v_cmp_ne_u16_sdwa s[8:9], v9, v12 src0_sel:BYTE_0 src1_sel:DWORD
	s_andn2_b64 s[4:5], s[4:5], exec
	s_and_b64 s[8:9], s[8:9], exec
	s_or_b64 s[4:5], s[4:5], s[8:9]
	s_or_b64 exec, exec, s[6:7]
	s_and_saveexec_b64 s[6:7], s[4:5]
	s_cbranch_execnz .LBB31_1871
	s_branch .LBB31_1872
.LBB31_3921:
	s_movk_i32 s4, 0x80
	v_cmp_eq_u16_e32 vcc, s4, v9
	s_mov_b64 s[4:5], -1
                                        ; implicit-def: $sgpr10
	s_and_saveexec_b64 s[8:9], vcc
; %bb.3922:
	s_mov_b32 s10, 0x7f800001
	s_xor_b64 s[4:5], exec, -1
; %bb.3923:
	s_or_b64 exec, exec, s[8:9]
	s_and_b64 s[4:5], s[4:5], exec
                                        ; implicit-def: $vgpr9
	s_or_saveexec_b64 s[6:7], s[6:7]
	v_mov_b32_e32 v8, s10
	s_xor_b64 exec, exec, s[6:7]
	s_cbranch_execz .LBB31_1874
.LBB31_3924:
	v_cmp_ne_u16_e32 vcc, 0, v9
	s_andn2_b64 s[4:5], s[4:5], exec
	s_and_b64 s[8:9], vcc, exec
	v_mov_b32_e32 v8, 0
	s_or_b64 s[4:5], s[4:5], s[8:9]
	s_or_b64 exec, exec, s[6:7]
	s_and_saveexec_b64 s[6:7], s[4:5]
	s_cbranch_execnz .LBB31_1875
	s_branch .LBB31_1876
.LBB31_3925:
	s_movk_i32 s4, 0x80
	v_cmp_eq_u16_e32 vcc, s4, v9
	s_mov_b64 s[4:5], -1
                                        ; implicit-def: $sgpr10
	s_and_saveexec_b64 s[8:9], vcc
; %bb.3926:
	s_mov_b32 s10, 0x7f800001
	s_xor_b64 s[4:5], exec, -1
; %bb.3927:
	s_or_b64 exec, exec, s[8:9]
	s_and_b64 s[4:5], s[4:5], exec
                                        ; implicit-def: $vgpr9
	s_or_saveexec_b64 s[6:7], s[6:7]
	v_mov_b32_e32 v12, s10
	s_xor_b64 exec, exec, s[6:7]
	s_cbranch_execz .LBB31_1878
.LBB31_3928:
	v_cmp_ne_u16_e32 vcc, 0, v9
	s_andn2_b64 s[4:5], s[4:5], exec
	s_and_b64 s[8:9], vcc, exec
	v_mov_b32_e32 v12, 0
	s_or_b64 s[4:5], s[4:5], s[8:9]
	s_or_b64 exec, exec, s[6:7]
	s_and_saveexec_b64 s[6:7], s[4:5]
	s_cbranch_execnz .LBB31_1879
	s_branch .LBB31_1880
.LBB31_3929:
	s_movk_i32 s4, 0x80
	v_cmp_eq_u16_sdwa s[12:13], v14, s4 src0_sel:BYTE_3 src1_sel:DWORD
	s_mov_b64 s[4:5], -1
                                        ; implicit-def: $sgpr10
	s_and_saveexec_b64 s[8:9], s[12:13]
; %bb.3930:
	s_mov_b32 s10, 0x7f800001
	s_xor_b64 s[4:5], exec, -1
; %bb.3931:
	s_or_b64 exec, exec, s[8:9]
	s_and_b64 s[4:5], s[4:5], exec
	s_or_saveexec_b64 s[6:7], s[6:7]
	v_mov_b32_e32 v8, s10
	s_xor_b64 exec, exec, s[6:7]
	s_cbranch_execz .LBB31_1882
.LBB31_3932:
	v_mov_b32_e32 v8, 0
	v_cmp_ne_u16_sdwa s[8:9], v14, v8 src0_sel:BYTE_3 src1_sel:DWORD
	s_andn2_b64 s[4:5], s[4:5], exec
	s_and_b64 s[8:9], s[8:9], exec
	s_or_b64 s[4:5], s[4:5], s[8:9]
	s_or_b64 exec, exec, s[6:7]
	s_and_saveexec_b64 s[6:7], s[4:5]
	s_cbranch_execnz .LBB31_1883
	s_branch .LBB31_1884
.LBB31_3933:
	s_movk_i32 s4, 0x80
	v_cmp_eq_u16_sdwa s[12:13], v10, s4 src0_sel:BYTE_3 src1_sel:DWORD
	s_mov_b64 s[4:5], -1
                                        ; implicit-def: $sgpr10
	s_and_saveexec_b64 s[8:9], s[12:13]
; %bb.3934:
	s_mov_b32 s10, 0x7f800001
	s_xor_b64 s[4:5], exec, -1
; %bb.3935:
	s_or_b64 exec, exec, s[8:9]
	s_and_b64 s[4:5], s[4:5], exec
	s_or_saveexec_b64 s[6:7], s[6:7]
	v_mov_b32_e32 v9, s10
	s_xor_b64 exec, exec, s[6:7]
	s_cbranch_execz .LBB31_1886
.LBB31_3936:
	v_mov_b32_e32 v9, 0
	v_cmp_ne_u16_sdwa s[8:9], v10, v9 src0_sel:BYTE_3 src1_sel:DWORD
	s_andn2_b64 s[4:5], s[4:5], exec
	s_and_b64 s[8:9], s[8:9], exec
	s_or_b64 s[4:5], s[4:5], s[8:9]
	s_or_b64 exec, exec, s[6:7]
	s_and_saveexec_b64 s[6:7], s[4:5]
	s_cbranch_execnz .LBB31_1887
	s_branch .LBB31_1888
.LBB31_3937:
	s_movk_i32 s4, 0x80
	v_cmp_eq_u16_sdwa s[12:13], v15, s4 src0_sel:BYTE_0 src1_sel:DWORD
	s_mov_b64 s[4:5], -1
                                        ; implicit-def: $sgpr10
	s_and_saveexec_b64 s[8:9], s[12:13]
; %bb.3938:
	s_mov_b32 s10, 0x7f800001
	s_xor_b64 s[4:5], exec, -1
; %bb.3939:
	s_or_b64 exec, exec, s[8:9]
	s_and_b64 s[4:5], s[4:5], exec
	s_or_saveexec_b64 s[6:7], s[6:7]
	v_mov_b32_e32 v8, s10
	s_xor_b64 exec, exec, s[6:7]
	s_cbranch_execz .LBB31_1890
.LBB31_3940:
	v_mov_b32_e32 v8, 0
	v_cmp_ne_u16_sdwa s[8:9], v15, v8 src0_sel:BYTE_0 src1_sel:DWORD
	s_andn2_b64 s[4:5], s[4:5], exec
	s_and_b64 s[8:9], s[8:9], exec
	s_or_b64 s[4:5], s[4:5], s[8:9]
	s_or_b64 exec, exec, s[6:7]
	s_and_saveexec_b64 s[6:7], s[4:5]
	s_cbranch_execnz .LBB31_1891
	s_branch .LBB31_1892
.LBB31_3941:
	s_movk_i32 s4, 0x80
	v_cmp_eq_u16_sdwa s[12:13], v11, s4 src0_sel:BYTE_0 src1_sel:DWORD
	s_mov_b64 s[4:5], -1
                                        ; implicit-def: $sgpr10
	s_and_saveexec_b64 s[8:9], s[12:13]
; %bb.3942:
	s_mov_b32 s10, 0x7f800001
	s_xor_b64 s[4:5], exec, -1
; %bb.3943:
	s_or_b64 exec, exec, s[8:9]
	s_and_b64 s[4:5], s[4:5], exec
	s_or_saveexec_b64 s[6:7], s[6:7]
	v_mov_b32_e32 v9, s10
	s_xor_b64 exec, exec, s[6:7]
	s_cbranch_execz .LBB31_1894
.LBB31_3944:
	v_mov_b32_e32 v9, 0
	v_cmp_ne_u16_sdwa s[8:9], v11, v9 src0_sel:BYTE_0 src1_sel:DWORD
	s_andn2_b64 s[4:5], s[4:5], exec
	s_and_b64 s[8:9], s[8:9], exec
	s_or_b64 s[4:5], s[4:5], s[8:9]
	s_or_b64 exec, exec, s[6:7]
	s_and_saveexec_b64 s[6:7], s[4:5]
	s_cbranch_execnz .LBB31_1895
	s_branch .LBB31_1896
.LBB31_3945:
	s_movk_i32 s4, 0x80
	v_cmp_eq_u16_sdwa s[12:13], v9, s4 src0_sel:BYTE_0 src1_sel:DWORD
	s_mov_b64 s[4:5], -1
                                        ; implicit-def: $sgpr10
	s_and_saveexec_b64 s[8:9], s[12:13]
; %bb.3946:
	s_mov_b32 s10, 0x7f800001
	s_xor_b64 s[4:5], exec, -1
; %bb.3947:
	s_or_b64 exec, exec, s[8:9]
	s_and_b64 s[4:5], s[4:5], exec
	s_or_saveexec_b64 s[6:7], s[6:7]
	v_mov_b32_e32 v8, s10
	s_xor_b64 exec, exec, s[6:7]
	s_cbranch_execz .LBB31_1898
.LBB31_3948:
	v_mov_b32_e32 v8, 0
	v_cmp_ne_u16_sdwa s[8:9], v9, v8 src0_sel:BYTE_0 src1_sel:DWORD
	s_andn2_b64 s[4:5], s[4:5], exec
	s_and_b64 s[8:9], s[8:9], exec
	s_or_b64 s[4:5], s[4:5], s[8:9]
	s_or_b64 exec, exec, s[6:7]
	s_and_saveexec_b64 s[6:7], s[4:5]
	s_cbranch_execnz .LBB31_1899
	s_branch .LBB31_1900
.LBB31_3949:
	s_movk_i32 s4, 0x80
	v_cmp_eq_u16_sdwa s[12:13], v9, s4 src0_sel:BYTE_0 src1_sel:DWORD
	s_mov_b64 s[4:5], -1
                                        ; implicit-def: $sgpr10
	s_and_saveexec_b64 s[8:9], s[12:13]
; %bb.3950:
	s_mov_b32 s10, 0x7f800001
	s_xor_b64 s[4:5], exec, -1
; %bb.3951:
	s_or_b64 exec, exec, s[8:9]
	s_and_b64 s[4:5], s[4:5], exec
	s_or_saveexec_b64 s[6:7], s[6:7]
	v_mov_b32_e32 v10, s10
	s_xor_b64 exec, exec, s[6:7]
	s_cbranch_execz .LBB31_1902
.LBB31_3952:
	v_mov_b32_e32 v10, 0
	v_cmp_ne_u16_sdwa s[8:9], v9, v10 src0_sel:BYTE_0 src1_sel:DWORD
	s_andn2_b64 s[4:5], s[4:5], exec
	s_and_b64 s[8:9], s[8:9], exec
	s_or_b64 s[4:5], s[4:5], s[8:9]
	s_or_b64 exec, exec, s[6:7]
	s_and_saveexec_b64 s[6:7], s[4:5]
	s_cbranch_execnz .LBB31_1903
	s_branch .LBB31_1904
.LBB31_3953:
	s_movk_i32 s4, 0x80
	v_cmp_eq_u16_e32 vcc, s4, v9
	s_mov_b64 s[4:5], -1
                                        ; implicit-def: $sgpr10
	s_and_saveexec_b64 s[8:9], vcc
; %bb.3954:
	s_mov_b32 s10, 0x7f800001
	s_xor_b64 s[4:5], exec, -1
; %bb.3955:
	s_or_b64 exec, exec, s[8:9]
	s_and_b64 s[4:5], s[4:5], exec
                                        ; implicit-def: $vgpr9
	s_or_saveexec_b64 s[6:7], s[6:7]
	v_mov_b32_e32 v8, s10
	s_xor_b64 exec, exec, s[6:7]
	s_cbranch_execz .LBB31_1906
.LBB31_3956:
	v_cmp_ne_u16_e32 vcc, 0, v9
	s_andn2_b64 s[4:5], s[4:5], exec
	s_and_b64 s[8:9], vcc, exec
	v_mov_b32_e32 v8, 0
	s_or_b64 s[4:5], s[4:5], s[8:9]
	s_or_b64 exec, exec, s[6:7]
	s_and_saveexec_b64 s[6:7], s[4:5]
	s_cbranch_execnz .LBB31_1907
	s_branch .LBB31_1908
.LBB31_3957:
	s_movk_i32 s4, 0x80
	v_cmp_eq_u16_e32 vcc, s4, v9
	s_mov_b64 s[4:5], -1
                                        ; implicit-def: $sgpr10
	s_and_saveexec_b64 s[8:9], vcc
; %bb.3958:
	s_mov_b32 s10, 0x7f800001
	s_xor_b64 s[4:5], exec, -1
; %bb.3959:
	s_or_b64 exec, exec, s[8:9]
	s_and_b64 s[4:5], s[4:5], exec
                                        ; implicit-def: $vgpr9
	s_or_saveexec_b64 s[6:7], s[6:7]
	v_mov_b32_e32 v10, s10
	s_xor_b64 exec, exec, s[6:7]
	s_cbranch_execz .LBB31_1910
.LBB31_3960:
	v_cmp_ne_u16_e32 vcc, 0, v9
	s_andn2_b64 s[4:5], s[4:5], exec
	s_and_b64 s[8:9], vcc, exec
	v_mov_b32_e32 v10, 0
	s_or_b64 s[4:5], s[4:5], s[8:9]
	s_or_b64 exec, exec, s[6:7]
	s_and_saveexec_b64 s[6:7], s[4:5]
	s_cbranch_execnz .LBB31_1911
	s_branch .LBB31_1912
.LBB31_3961:
	s_movk_i32 s4, 0x80
	v_cmp_eq_u16_sdwa s[12:13], v15, s4 src0_sel:BYTE_3 src1_sel:DWORD
	s_mov_b64 s[4:5], -1
                                        ; implicit-def: $sgpr10
	s_and_saveexec_b64 s[8:9], s[12:13]
; %bb.3962:
	s_mov_b32 s10, 0x7f800001
	s_xor_b64 s[4:5], exec, -1
; %bb.3963:
	s_or_b64 exec, exec, s[8:9]
	s_and_b64 s[4:5], s[4:5], exec
	s_or_saveexec_b64 s[6:7], s[6:7]
	v_mov_b32_e32 v8, s10
	s_xor_b64 exec, exec, s[6:7]
	s_cbranch_execz .LBB31_1914
.LBB31_3964:
	v_mov_b32_e32 v8, 0
	v_cmp_ne_u16_sdwa s[8:9], v15, v8 src0_sel:BYTE_3 src1_sel:DWORD
	s_andn2_b64 s[4:5], s[4:5], exec
	s_and_b64 s[8:9], s[8:9], exec
	s_or_b64 s[4:5], s[4:5], s[8:9]
	s_or_b64 exec, exec, s[6:7]
	s_and_saveexec_b64 s[6:7], s[4:5]
	s_cbranch_execnz .LBB31_1915
	s_branch .LBB31_1916
.LBB31_3965:
	s_movk_i32 s4, 0x80
	v_cmp_eq_u16_sdwa s[12:13], v11, s4 src0_sel:BYTE_3 src1_sel:DWORD
	s_mov_b64 s[4:5], -1
                                        ; implicit-def: $sgpr10
	s_and_saveexec_b64 s[8:9], s[12:13]
; %bb.3966:
	s_mov_b32 s10, 0x7f800001
	s_xor_b64 s[4:5], exec, -1
; %bb.3967:
	s_or_b64 exec, exec, s[8:9]
	s_and_b64 s[4:5], s[4:5], exec
	s_or_saveexec_b64 s[6:7], s[6:7]
	v_mov_b32_e32 v9, s10
	s_xor_b64 exec, exec, s[6:7]
	s_cbranch_execz .LBB31_1918
.LBB31_3968:
	v_mov_b32_e32 v9, 0
	v_cmp_ne_u16_sdwa s[8:9], v11, v9 src0_sel:BYTE_3 src1_sel:DWORD
	s_andn2_b64 s[4:5], s[4:5], exec
	s_and_b64 s[8:9], s[8:9], exec
	s_or_b64 s[4:5], s[4:5], s[8:9]
	s_or_b64 exec, exec, s[6:7]
	s_and_saveexec_b64 s[6:7], s[4:5]
	s_cbranch_execnz .LBB31_1919
	s_branch .LBB31_1920
.LBB31_3969:
	s_movk_i32 s4, 0x80
	v_cmp_eq_u16_sdwa s[12:13], v4, s4 src0_sel:BYTE_0 src1_sel:DWORD
	s_mov_b64 s[4:5], -1
                                        ; implicit-def: $sgpr10
	s_and_saveexec_b64 s[8:9], s[12:13]
; %bb.3970:
	s_mov_b32 s10, 0x7f800001
	s_xor_b64 s[4:5], exec, -1
; %bb.3971:
	s_or_b64 exec, exec, s[8:9]
	s_and_b64 s[4:5], s[4:5], exec
	s_or_saveexec_b64 s[6:7], s[6:7]
	v_mov_b32_e32 v8, s10
	s_xor_b64 exec, exec, s[6:7]
	s_cbranch_execz .LBB31_1922
.LBB31_3972:
	v_mov_b32_e32 v8, 0
	v_cmp_ne_u16_sdwa s[8:9], v4, v8 src0_sel:BYTE_0 src1_sel:DWORD
	s_andn2_b64 s[4:5], s[4:5], exec
	s_and_b64 s[8:9], s[8:9], exec
	s_or_b64 s[4:5], s[4:5], s[8:9]
	s_or_b64 exec, exec, s[6:7]
	s_and_saveexec_b64 s[6:7], s[4:5]
	s_cbranch_execnz .LBB31_1923
	s_branch .LBB31_1924
.LBB31_3973:
	s_movk_i32 s4, 0x80
	v_cmp_eq_u16_sdwa s[12:13], v0, s4 src0_sel:BYTE_0 src1_sel:DWORD
	s_mov_b64 s[4:5], -1
                                        ; implicit-def: $sgpr10
	s_and_saveexec_b64 s[8:9], s[12:13]
; %bb.3974:
	s_mov_b32 s10, 0x7f800001
	s_xor_b64 s[4:5], exec, -1
; %bb.3975:
	s_or_b64 exec, exec, s[8:9]
	s_and_b64 s[4:5], s[4:5], exec
	s_or_saveexec_b64 s[6:7], s[6:7]
	v_mov_b32_e32 v9, s10
	s_xor_b64 exec, exec, s[6:7]
	s_cbranch_execz .LBB31_1926
.LBB31_3976:
	v_mov_b32_e32 v9, 0
	v_cmp_ne_u16_sdwa s[8:9], v0, v9 src0_sel:BYTE_0 src1_sel:DWORD
	s_andn2_b64 s[4:5], s[4:5], exec
	s_and_b64 s[8:9], s[8:9], exec
	s_or_b64 s[4:5], s[4:5], s[8:9]
	s_or_b64 exec, exec, s[6:7]
	s_and_saveexec_b64 s[6:7], s[4:5]
	s_cbranch_execnz .LBB31_1927
	s_branch .LBB31_1928
.LBB31_3977:
	s_movk_i32 s4, 0x80
	v_cmp_eq_u16_sdwa s[12:13], v9, s4 src0_sel:BYTE_0 src1_sel:DWORD
	s_mov_b64 s[4:5], -1
                                        ; implicit-def: $sgpr10
	s_and_saveexec_b64 s[8:9], s[12:13]
; %bb.3978:
	s_mov_b32 s10, 0x7f800001
	s_xor_b64 s[4:5], exec, -1
; %bb.3979:
	s_or_b64 exec, exec, s[8:9]
	s_and_b64 s[4:5], s[4:5], exec
	s_or_saveexec_b64 s[6:7], s[6:7]
	v_mov_b32_e32 v8, s10
	s_xor_b64 exec, exec, s[6:7]
	s_cbranch_execz .LBB31_1930
.LBB31_3980:
	v_mov_b32_e32 v8, 0
	v_cmp_ne_u16_sdwa s[8:9], v9, v8 src0_sel:BYTE_0 src1_sel:DWORD
	s_andn2_b64 s[4:5], s[4:5], exec
	s_and_b64 s[8:9], s[8:9], exec
	s_or_b64 s[4:5], s[4:5], s[8:9]
	s_or_b64 exec, exec, s[6:7]
	s_and_saveexec_b64 s[6:7], s[4:5]
	s_cbranch_execnz .LBB31_1931
	s_branch .LBB31_1932
.LBB31_3981:
	s_movk_i32 s4, 0x80
	v_cmp_eq_u16_sdwa s[12:13], v9, s4 src0_sel:BYTE_0 src1_sel:DWORD
	s_mov_b64 s[4:5], -1
                                        ; implicit-def: $sgpr10
	s_and_saveexec_b64 s[8:9], s[12:13]
; %bb.3982:
	s_mov_b32 s10, 0x7f800001
	s_xor_b64 s[4:5], exec, -1
; %bb.3983:
	s_or_b64 exec, exec, s[8:9]
	s_and_b64 s[4:5], s[4:5], exec
	s_or_saveexec_b64 s[6:7], s[6:7]
	v_mov_b32_e32 v10, s10
	s_xor_b64 exec, exec, s[6:7]
	s_cbranch_execz .LBB31_1934
.LBB31_3984:
	v_mov_b32_e32 v10, 0
	v_cmp_ne_u16_sdwa s[8:9], v9, v10 src0_sel:BYTE_0 src1_sel:DWORD
	s_andn2_b64 s[4:5], s[4:5], exec
	s_and_b64 s[8:9], s[8:9], exec
	s_or_b64 s[4:5], s[4:5], s[8:9]
	s_or_b64 exec, exec, s[6:7]
	s_and_saveexec_b64 s[6:7], s[4:5]
	s_cbranch_execnz .LBB31_1935
	s_branch .LBB31_1936
.LBB31_3985:
	s_movk_i32 s4, 0x80
	v_cmp_eq_u16_e32 vcc, s4, v9
	s_mov_b64 s[4:5], -1
                                        ; implicit-def: $sgpr10
	s_and_saveexec_b64 s[8:9], vcc
; %bb.3986:
	s_mov_b32 s10, 0x7f800001
	s_xor_b64 s[4:5], exec, -1
; %bb.3987:
	s_or_b64 exec, exec, s[8:9]
	s_and_b64 s[4:5], s[4:5], exec
                                        ; implicit-def: $vgpr9
	s_or_saveexec_b64 s[6:7], s[6:7]
	v_mov_b32_e32 v8, s10
	s_xor_b64 exec, exec, s[6:7]
	s_cbranch_execz .LBB31_1938
.LBB31_3988:
	v_cmp_ne_u16_e32 vcc, 0, v9
	s_andn2_b64 s[4:5], s[4:5], exec
	s_and_b64 s[8:9], vcc, exec
	v_mov_b32_e32 v8, 0
	s_or_b64 s[4:5], s[4:5], s[8:9]
	s_or_b64 exec, exec, s[6:7]
	s_and_saveexec_b64 s[6:7], s[4:5]
	s_cbranch_execnz .LBB31_1939
	s_branch .LBB31_1940
.LBB31_3989:
	s_movk_i32 s4, 0x80
	v_cmp_eq_u16_e32 vcc, s4, v9
	s_mov_b64 s[4:5], -1
                                        ; implicit-def: $sgpr10
	s_and_saveexec_b64 s[8:9], vcc
; %bb.3990:
	s_mov_b32 s10, 0x7f800001
	s_xor_b64 s[4:5], exec, -1
; %bb.3991:
	s_or_b64 exec, exec, s[8:9]
	s_and_b64 s[4:5], s[4:5], exec
                                        ; implicit-def: $vgpr9
	s_or_saveexec_b64 s[6:7], s[6:7]
	v_mov_b32_e32 v10, s10
	s_xor_b64 exec, exec, s[6:7]
	s_cbranch_execz .LBB31_1942
.LBB31_3992:
	v_cmp_ne_u16_e32 vcc, 0, v9
	s_andn2_b64 s[4:5], s[4:5], exec
	s_and_b64 s[8:9], vcc, exec
	v_mov_b32_e32 v10, 0
	s_or_b64 s[4:5], s[4:5], s[8:9]
	s_or_b64 exec, exec, s[6:7]
	s_and_saveexec_b64 s[6:7], s[4:5]
	s_cbranch_execnz .LBB31_1943
	s_branch .LBB31_1944
.LBB31_3993:
	s_movk_i32 s4, 0x80
	v_cmp_eq_u16_sdwa s[12:13], v4, s4 src0_sel:BYTE_3 src1_sel:DWORD
	s_mov_b64 s[4:5], -1
                                        ; implicit-def: $sgpr10
	s_and_saveexec_b64 s[8:9], s[12:13]
; %bb.3994:
	s_mov_b32 s10, 0x7f800001
	s_xor_b64 s[4:5], exec, -1
; %bb.3995:
	s_or_b64 exec, exec, s[8:9]
	s_and_b64 s[4:5], s[4:5], exec
	s_or_saveexec_b64 s[6:7], s[6:7]
	v_mov_b32_e32 v8, s10
	s_xor_b64 exec, exec, s[6:7]
	s_cbranch_execz .LBB31_1946
.LBB31_3996:
	v_mov_b32_e32 v8, 0
	v_cmp_ne_u16_sdwa s[8:9], v4, v8 src0_sel:BYTE_3 src1_sel:DWORD
	s_andn2_b64 s[4:5], s[4:5], exec
	s_and_b64 s[8:9], s[8:9], exec
	s_or_b64 s[4:5], s[4:5], s[8:9]
	s_or_b64 exec, exec, s[6:7]
	s_and_saveexec_b64 s[6:7], s[4:5]
	s_cbranch_execnz .LBB31_1947
	s_branch .LBB31_1948
.LBB31_3997:
	s_movk_i32 s4, 0x80
	v_cmp_eq_u16_sdwa s[12:13], v0, s4 src0_sel:BYTE_3 src1_sel:DWORD
	s_mov_b64 s[4:5], -1
                                        ; implicit-def: $sgpr10
	s_and_saveexec_b64 s[8:9], s[12:13]
; %bb.3998:
	s_mov_b32 s10, 0x7f800001
	s_xor_b64 s[4:5], exec, -1
; %bb.3999:
	s_or_b64 exec, exec, s[8:9]
	s_and_b64 s[4:5], s[4:5], exec
	s_or_saveexec_b64 s[6:7], s[6:7]
	v_mov_b32_e32 v4, s10
	s_xor_b64 exec, exec, s[6:7]
	s_cbranch_execz .LBB31_1950
.LBB31_4000:
	v_mov_b32_e32 v4, 0
	v_cmp_ne_u16_sdwa s[8:9], v0, v4 src0_sel:BYTE_3 src1_sel:DWORD
	s_andn2_b64 s[4:5], s[4:5], exec
	s_and_b64 s[8:9], s[8:9], exec
	s_or_b64 s[4:5], s[4:5], s[8:9]
	s_or_b64 exec, exec, s[6:7]
	s_and_saveexec_b64 s[6:7], s[4:5]
	s_cbranch_execnz .LBB31_1951
	s_branch .LBB31_1952
.LBB31_4001:
	s_movk_i32 s4, 0x80
	v_cmp_eq_u16_sdwa s[12:13], v5, s4 src0_sel:BYTE_0 src1_sel:DWORD
	s_mov_b64 s[4:5], -1
                                        ; implicit-def: $sgpr10
	s_and_saveexec_b64 s[8:9], s[12:13]
; %bb.4002:
	s_mov_b32 s10, 0x7f800001
	s_xor_b64 s[4:5], exec, -1
; %bb.4003:
	s_or_b64 exec, exec, s[8:9]
	s_and_b64 s[4:5], s[4:5], exec
	s_or_saveexec_b64 s[6:7], s[6:7]
	v_mov_b32_e32 v0, s10
	s_xor_b64 exec, exec, s[6:7]
	s_cbranch_execz .LBB31_1954
.LBB31_4004:
	v_mov_b32_e32 v0, 0
	v_cmp_ne_u16_sdwa s[8:9], v5, v0 src0_sel:BYTE_0 src1_sel:DWORD
	s_andn2_b64 s[4:5], s[4:5], exec
	s_and_b64 s[8:9], s[8:9], exec
	s_or_b64 s[4:5], s[4:5], s[8:9]
	s_or_b64 exec, exec, s[6:7]
	s_and_saveexec_b64 s[6:7], s[4:5]
	s_cbranch_execnz .LBB31_1955
	s_branch .LBB31_1956
.LBB31_4005:
	s_movk_i32 s4, 0x80
	v_cmp_eq_u16_sdwa s[12:13], v1, s4 src0_sel:BYTE_0 src1_sel:DWORD
	s_mov_b64 s[4:5], -1
                                        ; implicit-def: $sgpr10
	s_and_saveexec_b64 s[8:9], s[12:13]
; %bb.4006:
	s_mov_b32 s10, 0x7f800001
	s_xor_b64 s[4:5], exec, -1
; %bb.4007:
	s_or_b64 exec, exec, s[8:9]
	s_and_b64 s[4:5], s[4:5], exec
	s_or_saveexec_b64 s[6:7], s[6:7]
	v_mov_b32_e32 v4, s10
	s_xor_b64 exec, exec, s[6:7]
	s_cbranch_execz .LBB31_1958
.LBB31_4008:
	v_mov_b32_e32 v4, 0
	v_cmp_ne_u16_sdwa s[8:9], v1, v4 src0_sel:BYTE_0 src1_sel:DWORD
	s_andn2_b64 s[4:5], s[4:5], exec
	s_and_b64 s[8:9], s[8:9], exec
	s_or_b64 s[4:5], s[4:5], s[8:9]
	s_or_b64 exec, exec, s[6:7]
	s_and_saveexec_b64 s[6:7], s[4:5]
	s_cbranch_execnz .LBB31_1959
	s_branch .LBB31_1960
.LBB31_4009:
	s_movk_i32 s4, 0x80
	v_cmp_eq_u16_sdwa s[12:13], v4, s4 src0_sel:BYTE_0 src1_sel:DWORD
	s_mov_b64 s[4:5], -1
                                        ; implicit-def: $sgpr10
	s_and_saveexec_b64 s[8:9], s[12:13]
; %bb.4010:
	s_mov_b32 s10, 0x7f800001
	s_xor_b64 s[4:5], exec, -1
; %bb.4011:
	s_or_b64 exec, exec, s[8:9]
	s_and_b64 s[4:5], s[4:5], exec
	s_or_saveexec_b64 s[6:7], s[6:7]
	v_mov_b32_e32 v0, s10
	s_xor_b64 exec, exec, s[6:7]
	s_cbranch_execz .LBB31_1962
.LBB31_4012:
	v_mov_b32_e32 v0, 0
	v_cmp_ne_u16_sdwa s[8:9], v4, v0 src0_sel:BYTE_0 src1_sel:DWORD
	s_andn2_b64 s[4:5], s[4:5], exec
	s_and_b64 s[8:9], s[8:9], exec
	s_or_b64 s[4:5], s[4:5], s[8:9]
	s_or_b64 exec, exec, s[6:7]
	s_and_saveexec_b64 s[6:7], s[4:5]
	s_cbranch_execnz .LBB31_1963
	s_branch .LBB31_1964
.LBB31_4013:
	s_movk_i32 s4, 0x80
	v_cmp_eq_u16_sdwa s[12:13], v4, s4 src0_sel:BYTE_0 src1_sel:DWORD
	s_mov_b64 s[4:5], -1
                                        ; implicit-def: $sgpr10
	s_and_saveexec_b64 s[8:9], s[12:13]
; %bb.4014:
	s_mov_b32 s10, 0x7f800001
	s_xor_b64 s[4:5], exec, -1
; %bb.4015:
	s_or_b64 exec, exec, s[8:9]
	s_and_b64 s[4:5], s[4:5], exec
	s_or_saveexec_b64 s[6:7], s[6:7]
	v_mov_b32_e32 v8, s10
	s_xor_b64 exec, exec, s[6:7]
	s_cbranch_execz .LBB31_1966
.LBB31_4016:
	v_mov_b32_e32 v8, 0
	v_cmp_ne_u16_sdwa s[8:9], v4, v8 src0_sel:BYTE_0 src1_sel:DWORD
	s_andn2_b64 s[4:5], s[4:5], exec
	s_and_b64 s[8:9], s[8:9], exec
	s_or_b64 s[4:5], s[4:5], s[8:9]
	s_or_b64 exec, exec, s[6:7]
	s_and_saveexec_b64 s[6:7], s[4:5]
	s_cbranch_execnz .LBB31_1967
	s_branch .LBB31_1968
.LBB31_4017:
	s_movk_i32 s4, 0x80
	v_cmp_eq_u16_e32 vcc, s4, v4
	s_mov_b64 s[4:5], -1
                                        ; implicit-def: $sgpr10
	s_and_saveexec_b64 s[8:9], vcc
; %bb.4018:
	s_mov_b32 s10, 0x7f800001
	s_xor_b64 s[4:5], exec, -1
; %bb.4019:
	s_or_b64 exec, exec, s[8:9]
	s_and_b64 s[4:5], s[4:5], exec
                                        ; implicit-def: $vgpr4
	s_or_saveexec_b64 s[6:7], s[6:7]
	v_mov_b32_e32 v0, s10
	s_xor_b64 exec, exec, s[6:7]
	s_cbranch_execz .LBB31_1970
.LBB31_4020:
	v_cmp_ne_u16_e32 vcc, 0, v4
	s_andn2_b64 s[4:5], s[4:5], exec
	s_and_b64 s[8:9], vcc, exec
	v_mov_b32_e32 v0, 0
	s_or_b64 s[4:5], s[4:5], s[8:9]
	s_or_b64 exec, exec, s[6:7]
	s_and_saveexec_b64 s[6:7], s[4:5]
	s_cbranch_execnz .LBB31_1971
	s_branch .LBB31_1972
.LBB31_4021:
	s_movk_i32 s4, 0x80
	v_cmp_eq_u16_e32 vcc, s4, v4
	s_mov_b64 s[4:5], -1
                                        ; implicit-def: $sgpr10
	s_and_saveexec_b64 s[8:9], vcc
; %bb.4022:
	s_mov_b32 s10, 0x7f800001
	s_xor_b64 s[4:5], exec, -1
; %bb.4023:
	s_or_b64 exec, exec, s[8:9]
	s_and_b64 s[4:5], s[4:5], exec
                                        ; implicit-def: $vgpr4
	s_or_saveexec_b64 s[6:7], s[6:7]
	v_mov_b32_e32 v8, s10
	s_xor_b64 exec, exec, s[6:7]
	s_cbranch_execz .LBB31_1974
.LBB31_4024:
	v_cmp_ne_u16_e32 vcc, 0, v4
	s_andn2_b64 s[4:5], s[4:5], exec
	s_and_b64 s[8:9], vcc, exec
	v_mov_b32_e32 v8, 0
	s_or_b64 s[4:5], s[4:5], s[8:9]
	s_or_b64 exec, exec, s[6:7]
	s_and_saveexec_b64 s[6:7], s[4:5]
	s_cbranch_execnz .LBB31_1975
	s_branch .LBB31_1976
.LBB31_4025:
	s_movk_i32 s4, 0x80
	v_cmp_eq_u16_sdwa s[12:13], v5, s4 src0_sel:BYTE_3 src1_sel:DWORD
	s_mov_b64 s[4:5], -1
                                        ; implicit-def: $sgpr10
	s_and_saveexec_b64 s[8:9], s[12:13]
; %bb.4026:
	s_mov_b32 s10, 0x7f800001
	s_xor_b64 s[4:5], exec, -1
; %bb.4027:
	s_or_b64 exec, exec, s[8:9]
	s_and_b64 s[4:5], s[4:5], exec
	s_or_saveexec_b64 s[6:7], s[6:7]
	v_mov_b32_e32 v0, s10
	s_xor_b64 exec, exec, s[6:7]
	s_cbranch_execz .LBB31_1978
.LBB31_4028:
	v_mov_b32_e32 v0, 0
	v_cmp_ne_u16_sdwa s[8:9], v5, v0 src0_sel:BYTE_3 src1_sel:DWORD
	s_andn2_b64 s[4:5], s[4:5], exec
	s_and_b64 s[8:9], s[8:9], exec
	s_or_b64 s[4:5], s[4:5], s[8:9]
	s_or_b64 exec, exec, s[6:7]
	s_and_saveexec_b64 s[6:7], s[4:5]
	s_cbranch_execnz .LBB31_1979
	s_branch .LBB31_1980
.LBB31_4029:
	s_movk_i32 s4, 0x80
	v_cmp_eq_u16_sdwa s[12:13], v1, s4 src0_sel:BYTE_3 src1_sel:DWORD
	s_mov_b64 s[4:5], -1
                                        ; implicit-def: $sgpr10
	s_and_saveexec_b64 s[8:9], s[12:13]
; %bb.4030:
	s_mov_b32 s10, 0x7f800001
	s_xor_b64 s[4:5], exec, -1
; %bb.4031:
	s_or_b64 exec, exec, s[8:9]
	s_and_b64 s[4:5], s[4:5], exec
	s_or_saveexec_b64 s[6:7], s[6:7]
	v_mov_b32_e32 v4, s10
	s_xor_b64 exec, exec, s[6:7]
	s_cbranch_execz .LBB31_1982
.LBB31_4032:
	v_mov_b32_e32 v4, 0
	v_cmp_ne_u16_sdwa s[8:9], v1, v4 src0_sel:BYTE_3 src1_sel:DWORD
	s_andn2_b64 s[4:5], s[4:5], exec
	s_and_b64 s[8:9], s[8:9], exec
	s_or_b64 s[4:5], s[4:5], s[8:9]
	s_or_b64 exec, exec, s[6:7]
	s_and_saveexec_b64 s[6:7], s[4:5]
	s_cbranch_execnz .LBB31_1983
	s_branch .LBB31_1984
.LBB31_4033:
	s_movk_i32 s4, 0x80
	v_cmp_eq_u16_sdwa s[12:13], v6, s4 src0_sel:BYTE_0 src1_sel:DWORD
	s_mov_b64 s[4:5], -1
                                        ; implicit-def: $sgpr10
	s_and_saveexec_b64 s[8:9], s[12:13]
; %bb.4034:
	s_mov_b32 s10, 0x7f800001
	s_xor_b64 s[4:5], exec, -1
; %bb.4035:
	s_or_b64 exec, exec, s[8:9]
	s_and_b64 s[4:5], s[4:5], exec
	s_or_saveexec_b64 s[6:7], s[6:7]
	v_mov_b32_e32 v0, s10
	s_xor_b64 exec, exec, s[6:7]
	s_cbranch_execz .LBB31_1986
.LBB31_4036:
	v_mov_b32_e32 v0, 0
	v_cmp_ne_u16_sdwa s[8:9], v6, v0 src0_sel:BYTE_0 src1_sel:DWORD
	s_andn2_b64 s[4:5], s[4:5], exec
	s_and_b64 s[8:9], s[8:9], exec
	s_or_b64 s[4:5], s[4:5], s[8:9]
	s_or_b64 exec, exec, s[6:7]
	s_and_saveexec_b64 s[6:7], s[4:5]
	s_cbranch_execnz .LBB31_1987
	s_branch .LBB31_1988
.LBB31_4037:
	s_movk_i32 s4, 0x80
	v_cmp_eq_u16_sdwa s[12:13], v2, s4 src0_sel:BYTE_0 src1_sel:DWORD
	s_mov_b64 s[4:5], -1
                                        ; implicit-def: $sgpr10
	s_and_saveexec_b64 s[8:9], s[12:13]
; %bb.4038:
	s_mov_b32 s10, 0x7f800001
	s_xor_b64 s[4:5], exec, -1
; %bb.4039:
	s_or_b64 exec, exec, s[8:9]
	s_and_b64 s[4:5], s[4:5], exec
	s_or_saveexec_b64 s[6:7], s[6:7]
	v_mov_b32_e32 v1, s10
	s_xor_b64 exec, exec, s[6:7]
	s_cbranch_execz .LBB31_1990
.LBB31_4040:
	v_mov_b32_e32 v1, 0
	v_cmp_ne_u16_sdwa s[8:9], v2, v1 src0_sel:BYTE_0 src1_sel:DWORD
	s_andn2_b64 s[4:5], s[4:5], exec
	s_and_b64 s[8:9], s[8:9], exec
	s_or_b64 s[4:5], s[4:5], s[8:9]
	s_or_b64 exec, exec, s[6:7]
	s_and_saveexec_b64 s[6:7], s[4:5]
	s_cbranch_execnz .LBB31_1991
	s_branch .LBB31_1992
.LBB31_4041:
	s_movk_i32 s4, 0x80
	v_cmp_eq_u16_sdwa s[12:13], v1, s4 src0_sel:BYTE_0 src1_sel:DWORD
	s_mov_b64 s[4:5], -1
                                        ; implicit-def: $sgpr10
	s_and_saveexec_b64 s[8:9], s[12:13]
; %bb.4042:
	s_mov_b32 s10, 0x7f800001
	s_xor_b64 s[4:5], exec, -1
; %bb.4043:
	s_or_b64 exec, exec, s[8:9]
	s_and_b64 s[4:5], s[4:5], exec
	s_or_saveexec_b64 s[6:7], s[6:7]
	v_mov_b32_e32 v0, s10
	s_xor_b64 exec, exec, s[6:7]
	s_cbranch_execz .LBB31_1994
.LBB31_4044:
	v_mov_b32_e32 v0, 0
	v_cmp_ne_u16_sdwa s[8:9], v1, v0 src0_sel:BYTE_0 src1_sel:DWORD
	s_andn2_b64 s[4:5], s[4:5], exec
	s_and_b64 s[8:9], s[8:9], exec
	s_or_b64 s[4:5], s[4:5], s[8:9]
	s_or_b64 exec, exec, s[6:7]
	s_and_saveexec_b64 s[6:7], s[4:5]
	s_cbranch_execnz .LBB31_1995
	s_branch .LBB31_1996
.LBB31_4045:
	s_movk_i32 s4, 0x80
	v_cmp_eq_u16_sdwa s[12:13], v1, s4 src0_sel:BYTE_0 src1_sel:DWORD
	s_mov_b64 s[4:5], -1
                                        ; implicit-def: $sgpr10
	s_and_saveexec_b64 s[8:9], s[12:13]
; %bb.4046:
	s_mov_b32 s10, 0x7f800001
	s_xor_b64 s[4:5], exec, -1
; %bb.4047:
	s_or_b64 exec, exec, s[8:9]
	s_and_b64 s[4:5], s[4:5], exec
	s_or_saveexec_b64 s[6:7], s[6:7]
	v_mov_b32_e32 v4, s10
	s_xor_b64 exec, exec, s[6:7]
	s_cbranch_execz .LBB31_1998
.LBB31_4048:
	v_mov_b32_e32 v4, 0
	v_cmp_ne_u16_sdwa s[8:9], v1, v4 src0_sel:BYTE_0 src1_sel:DWORD
	s_andn2_b64 s[4:5], s[4:5], exec
	s_and_b64 s[8:9], s[8:9], exec
	s_or_b64 s[4:5], s[4:5], s[8:9]
	s_or_b64 exec, exec, s[6:7]
	s_and_saveexec_b64 s[6:7], s[4:5]
	s_cbranch_execnz .LBB31_1999
	s_branch .LBB31_2000
.LBB31_4049:
	s_movk_i32 s4, 0x80
	v_cmp_eq_u16_e32 vcc, s4, v1
	s_mov_b64 s[4:5], -1
                                        ; implicit-def: $sgpr10
	s_and_saveexec_b64 s[8:9], vcc
; %bb.4050:
	s_mov_b32 s10, 0x7f800001
	s_xor_b64 s[4:5], exec, -1
; %bb.4051:
	s_or_b64 exec, exec, s[8:9]
	s_and_b64 s[4:5], s[4:5], exec
                                        ; implicit-def: $vgpr1
	s_or_saveexec_b64 s[6:7], s[6:7]
	v_mov_b32_e32 v0, s10
	s_xor_b64 exec, exec, s[6:7]
	s_cbranch_execz .LBB31_2002
.LBB31_4052:
	v_cmp_ne_u16_e32 vcc, 0, v1
	s_andn2_b64 s[4:5], s[4:5], exec
	s_and_b64 s[8:9], vcc, exec
	v_mov_b32_e32 v0, 0
	s_or_b64 s[4:5], s[4:5], s[8:9]
	s_or_b64 exec, exec, s[6:7]
	s_and_saveexec_b64 s[6:7], s[4:5]
	s_cbranch_execnz .LBB31_2003
	s_branch .LBB31_2004
.LBB31_4053:
	s_movk_i32 s4, 0x80
	v_cmp_eq_u16_e32 vcc, s4, v1
	s_mov_b64 s[4:5], -1
                                        ; implicit-def: $sgpr10
	s_and_saveexec_b64 s[8:9], vcc
; %bb.4054:
	s_mov_b32 s10, 0x7f800001
	s_xor_b64 s[4:5], exec, -1
; %bb.4055:
	s_or_b64 exec, exec, s[8:9]
	s_and_b64 s[4:5], s[4:5], exec
                                        ; implicit-def: $vgpr1
	s_or_saveexec_b64 s[6:7], s[6:7]
	v_mov_b32_e32 v4, s10
	s_xor_b64 exec, exec, s[6:7]
	s_cbranch_execz .LBB31_2006
.LBB31_4056:
	v_cmp_ne_u16_e32 vcc, 0, v1
	s_andn2_b64 s[4:5], s[4:5], exec
	s_and_b64 s[8:9], vcc, exec
	v_mov_b32_e32 v4, 0
	s_or_b64 s[4:5], s[4:5], s[8:9]
	s_or_b64 exec, exec, s[6:7]
	s_and_saveexec_b64 s[6:7], s[4:5]
	s_cbranch_execnz .LBB31_2007
	s_branch .LBB31_2008
.LBB31_4057:
	s_movk_i32 s4, 0x80
	v_cmp_eq_u16_sdwa s[12:13], v6, s4 src0_sel:BYTE_3 src1_sel:DWORD
	s_mov_b64 s[4:5], -1
                                        ; implicit-def: $sgpr10
	s_and_saveexec_b64 s[8:9], s[12:13]
; %bb.4058:
	s_mov_b32 s10, 0x7f800001
	s_xor_b64 s[4:5], exec, -1
; %bb.4059:
	s_or_b64 exec, exec, s[8:9]
	s_and_b64 s[4:5], s[4:5], exec
	s_or_saveexec_b64 s[6:7], s[6:7]
	v_mov_b32_e32 v0, s10
	s_xor_b64 exec, exec, s[6:7]
	s_cbranch_execz .LBB31_2010
.LBB31_4060:
	v_mov_b32_e32 v0, 0
	v_cmp_ne_u16_sdwa s[8:9], v6, v0 src0_sel:BYTE_3 src1_sel:DWORD
	s_andn2_b64 s[4:5], s[4:5], exec
	s_and_b64 s[8:9], s[8:9], exec
	s_or_b64 s[4:5], s[4:5], s[8:9]
	s_or_b64 exec, exec, s[6:7]
	s_and_saveexec_b64 s[6:7], s[4:5]
	s_cbranch_execnz .LBB31_2011
	s_branch .LBB31_2012
.LBB31_4061:
	s_movk_i32 s4, 0x80
	v_cmp_eq_u16_sdwa s[12:13], v2, s4 src0_sel:BYTE_3 src1_sel:DWORD
	s_mov_b64 s[4:5], -1
                                        ; implicit-def: $sgpr10
	s_and_saveexec_b64 s[8:9], s[12:13]
; %bb.4062:
	s_mov_b32 s10, 0x7f800001
	s_xor_b64 s[4:5], exec, -1
; %bb.4063:
	s_or_b64 exec, exec, s[8:9]
	s_and_b64 s[4:5], s[4:5], exec
	s_or_saveexec_b64 s[6:7], s[6:7]
	v_mov_b32_e32 v1, s10
	s_xor_b64 exec, exec, s[6:7]
	s_cbranch_execz .LBB31_2014
.LBB31_4064:
	v_mov_b32_e32 v1, 0
	v_cmp_ne_u16_sdwa s[8:9], v2, v1 src0_sel:BYTE_3 src1_sel:DWORD
	s_andn2_b64 s[4:5], s[4:5], exec
	s_and_b64 s[8:9], s[8:9], exec
	s_or_b64 s[4:5], s[4:5], s[8:9]
	s_or_b64 exec, exec, s[6:7]
	s_and_saveexec_b64 s[6:7], s[4:5]
	s_cbranch_execnz .LBB31_2015
	s_branch .LBB31_2016
.LBB31_4065:
	s_movk_i32 s4, 0x80
	v_cmp_eq_u16_sdwa s[12:13], v7, s4 src0_sel:BYTE_0 src1_sel:DWORD
	s_mov_b64 s[4:5], -1
                                        ; implicit-def: $sgpr10
	s_and_saveexec_b64 s[8:9], s[12:13]
; %bb.4066:
	s_mov_b32 s10, 0x7f800001
	s_xor_b64 s[4:5], exec, -1
; %bb.4067:
	s_or_b64 exec, exec, s[8:9]
	s_and_b64 s[4:5], s[4:5], exec
	s_or_saveexec_b64 s[6:7], s[6:7]
	v_mov_b32_e32 v0, s10
	s_xor_b64 exec, exec, s[6:7]
	s_cbranch_execz .LBB31_2018
.LBB31_4068:
	v_mov_b32_e32 v0, 0
	v_cmp_ne_u16_sdwa s[8:9], v7, v0 src0_sel:BYTE_0 src1_sel:DWORD
	s_andn2_b64 s[4:5], s[4:5], exec
	s_and_b64 s[8:9], s[8:9], exec
	s_or_b64 s[4:5], s[4:5], s[8:9]
	s_or_b64 exec, exec, s[6:7]
	s_and_saveexec_b64 s[6:7], s[4:5]
	s_cbranch_execnz .LBB31_2019
	s_branch .LBB31_2020
.LBB31_4069:
	s_movk_i32 s4, 0x80
	v_cmp_eq_u16_sdwa s[12:13], v3, s4 src0_sel:BYTE_0 src1_sel:DWORD
	s_mov_b64 s[4:5], -1
                                        ; implicit-def: $sgpr10
	s_and_saveexec_b64 s[8:9], s[12:13]
; %bb.4070:
	s_mov_b32 s10, 0x7f800001
	s_xor_b64 s[4:5], exec, -1
; %bb.4071:
	s_or_b64 exec, exec, s[8:9]
	s_and_b64 s[4:5], s[4:5], exec
	s_or_saveexec_b64 s[6:7], s[6:7]
	v_mov_b32_e32 v1, s10
	s_xor_b64 exec, exec, s[6:7]
	s_cbranch_execz .LBB31_2022
.LBB31_4072:
	v_mov_b32_e32 v1, 0
	v_cmp_ne_u16_sdwa s[8:9], v3, v1 src0_sel:BYTE_0 src1_sel:DWORD
	s_andn2_b64 s[4:5], s[4:5], exec
	s_and_b64 s[8:9], s[8:9], exec
	s_or_b64 s[4:5], s[4:5], s[8:9]
	s_or_b64 exec, exec, s[6:7]
	s_and_saveexec_b64 s[6:7], s[4:5]
	s_cbranch_execnz .LBB31_2023
	s_branch .LBB31_2024
.LBB31_4073:
	s_movk_i32 s4, 0x80
	v_cmp_eq_u16_sdwa s[12:13], v1, s4 src0_sel:BYTE_0 src1_sel:DWORD
	s_mov_b64 s[4:5], -1
                                        ; implicit-def: $sgpr10
	s_and_saveexec_b64 s[8:9], s[12:13]
; %bb.4074:
	s_mov_b32 s10, 0x7f800001
	s_xor_b64 s[4:5], exec, -1
; %bb.4075:
	s_or_b64 exec, exec, s[8:9]
	s_and_b64 s[4:5], s[4:5], exec
	s_or_saveexec_b64 s[6:7], s[6:7]
	v_mov_b32_e32 v0, s10
	s_xor_b64 exec, exec, s[6:7]
	s_cbranch_execz .LBB31_2026
.LBB31_4076:
	v_mov_b32_e32 v0, 0
	v_cmp_ne_u16_sdwa s[8:9], v1, v0 src0_sel:BYTE_0 src1_sel:DWORD
	s_andn2_b64 s[4:5], s[4:5], exec
	s_and_b64 s[8:9], s[8:9], exec
	s_or_b64 s[4:5], s[4:5], s[8:9]
	s_or_b64 exec, exec, s[6:7]
	s_and_saveexec_b64 s[6:7], s[4:5]
	s_cbranch_execnz .LBB31_2027
	s_branch .LBB31_2028
.LBB31_4077:
	s_movk_i32 s4, 0x80
	v_cmp_eq_u16_sdwa s[12:13], v1, s4 src0_sel:BYTE_0 src1_sel:DWORD
	s_mov_b64 s[4:5], -1
                                        ; implicit-def: $sgpr10
	s_and_saveexec_b64 s[8:9], s[12:13]
; %bb.4078:
	s_mov_b32 s10, 0x7f800001
	s_xor_b64 s[4:5], exec, -1
; %bb.4079:
	s_or_b64 exec, exec, s[8:9]
	s_and_b64 s[4:5], s[4:5], exec
	s_or_saveexec_b64 s[6:7], s[6:7]
	v_mov_b32_e32 v2, s10
	s_xor_b64 exec, exec, s[6:7]
	s_cbranch_execz .LBB31_2030
.LBB31_4080:
	v_mov_b32_e32 v2, 0
	v_cmp_ne_u16_sdwa s[8:9], v1, v2 src0_sel:BYTE_0 src1_sel:DWORD
	s_andn2_b64 s[4:5], s[4:5], exec
	s_and_b64 s[8:9], s[8:9], exec
	s_or_b64 s[4:5], s[4:5], s[8:9]
	s_or_b64 exec, exec, s[6:7]
	s_and_saveexec_b64 s[6:7], s[4:5]
	s_cbranch_execnz .LBB31_2031
	s_branch .LBB31_2032
.LBB31_4081:
	s_movk_i32 s4, 0x80
	v_cmp_eq_u16_e32 vcc, s4, v1
	s_mov_b64 s[4:5], -1
                                        ; implicit-def: $sgpr10
	s_and_saveexec_b64 s[8:9], vcc
; %bb.4082:
	s_mov_b32 s10, 0x7f800001
	s_xor_b64 s[4:5], exec, -1
; %bb.4083:
	s_or_b64 exec, exec, s[8:9]
	s_and_b64 s[4:5], s[4:5], exec
                                        ; implicit-def: $vgpr1
	s_or_saveexec_b64 s[6:7], s[6:7]
	v_mov_b32_e32 v0, s10
	s_xor_b64 exec, exec, s[6:7]
	s_cbranch_execz .LBB31_2034
.LBB31_4084:
	v_cmp_ne_u16_e32 vcc, 0, v1
	s_andn2_b64 s[4:5], s[4:5], exec
	s_and_b64 s[8:9], vcc, exec
	v_mov_b32_e32 v0, 0
	s_or_b64 s[4:5], s[4:5], s[8:9]
	s_or_b64 exec, exec, s[6:7]
	s_and_saveexec_b64 s[6:7], s[4:5]
	s_cbranch_execnz .LBB31_2035
	s_branch .LBB31_2036
.LBB31_4085:
	s_movk_i32 s4, 0x80
	v_cmp_eq_u16_e32 vcc, s4, v1
	s_mov_b64 s[4:5], -1
                                        ; implicit-def: $sgpr10
	s_and_saveexec_b64 s[8:9], vcc
; %bb.4086:
	s_mov_b32 s10, 0x7f800001
	s_xor_b64 s[4:5], exec, -1
; %bb.4087:
	s_or_b64 exec, exec, s[8:9]
	s_and_b64 s[4:5], s[4:5], exec
                                        ; implicit-def: $vgpr1
	s_or_saveexec_b64 s[6:7], s[6:7]
	v_mov_b32_e32 v2, s10
	s_xor_b64 exec, exec, s[6:7]
	s_cbranch_execz .LBB31_2038
.LBB31_4088:
	v_cmp_ne_u16_e32 vcc, 0, v1
	s_andn2_b64 s[4:5], s[4:5], exec
	s_and_b64 s[8:9], vcc, exec
	v_mov_b32_e32 v2, 0
	s_or_b64 s[4:5], s[4:5], s[8:9]
	s_or_b64 exec, exec, s[6:7]
	s_and_saveexec_b64 s[6:7], s[4:5]
	s_cbranch_execnz .LBB31_2039
	s_branch .LBB31_2040
.LBB31_4089:
	s_movk_i32 s4, 0x80
	v_cmp_eq_u16_sdwa s[12:13], v7, s4 src0_sel:BYTE_3 src1_sel:DWORD
	s_mov_b64 s[4:5], -1
                                        ; implicit-def: $sgpr10
	s_and_saveexec_b64 s[8:9], s[12:13]
; %bb.4090:
	s_mov_b32 s10, 0x7f800001
	s_xor_b64 s[4:5], exec, -1
; %bb.4091:
	s_or_b64 exec, exec, s[8:9]
	s_and_b64 s[4:5], s[4:5], exec
	s_or_saveexec_b64 s[6:7], s[6:7]
	v_mov_b32_e32 v0, s10
	s_xor_b64 exec, exec, s[6:7]
	s_cbranch_execz .LBB31_2042
.LBB31_4092:
	v_mov_b32_e32 v0, 0
	v_cmp_ne_u16_sdwa s[8:9], v7, v0 src0_sel:BYTE_3 src1_sel:DWORD
	s_andn2_b64 s[4:5], s[4:5], exec
	s_and_b64 s[8:9], s[8:9], exec
	s_or_b64 s[4:5], s[4:5], s[8:9]
	s_or_b64 exec, exec, s[6:7]
	s_and_saveexec_b64 s[6:7], s[4:5]
	s_cbranch_execnz .LBB31_2043
	s_branch .LBB31_2044
.LBB31_4093:
	s_movk_i32 s4, 0x80
	v_cmp_eq_u16_sdwa s[12:13], v3, s4 src0_sel:BYTE_3 src1_sel:DWORD
	s_mov_b64 s[4:5], -1
                                        ; implicit-def: $sgpr10
	s_and_saveexec_b64 s[8:9], s[12:13]
; %bb.4094:
	s_mov_b32 s10, 0x7f800001
	s_xor_b64 s[4:5], exec, -1
; %bb.4095:
	s_or_b64 exec, exec, s[8:9]
	s_and_b64 s[4:5], s[4:5], exec
	s_or_saveexec_b64 s[6:7], s[6:7]
	v_mov_b32_e32 v1, s10
	s_xor_b64 exec, exec, s[6:7]
	s_cbranch_execz .LBB31_2046
.LBB31_4096:
	v_mov_b32_e32 v1, 0
	v_cmp_ne_u16_sdwa s[8:9], v3, v1 src0_sel:BYTE_3 src1_sel:DWORD
	s_andn2_b64 s[4:5], s[4:5], exec
	s_and_b64 s[8:9], s[8:9], exec
	s_or_b64 s[4:5], s[4:5], s[8:9]
	s_or_b64 exec, exec, s[6:7]
	s_and_saveexec_b64 s[6:7], s[4:5]
	s_cbranch_execnz .LBB31_2047
	s_branch .LBB31_2048
.Lfunc_end31:
	.size	_ZNK2ck6detail7applierIiJLi0ELi1ELi2ELi3ELi4ELi5ELi6ELi7EEEclIZNKS_11static_fordINS_8SequenceIJLi1ELi8EEEENS5_IJLi0ELi1EEEEEclIZZZNKS_52BlockwiseGemmXdlops_pipeline_bpreshuffle_bdequant_v3ILNS_26BlockGemmPipelineSchedulerE0ELi256ENS_9f8_fnuz_tENS_7pk_i4_tESC_fNS_16TensorDescriptorINS_5TupleIJNS_5EmbedINSF_IJNS_17integral_constantIiLi8EEENSH_IiLi256EEENSH_IiLi16EEEEEENSF_IJSK_NSH_IiLi128EEENSH_IiLi1EEEEEELb0EEENS_3XorINSF_IJSJ_SI_EEELb1EEENS_11PassThroughISK_EENS_7UnMergeINSF_IJSI_SN_EEELb0EEENST_ISJ_EESU_NST_ISI_EENS_21Merge_v3_division_modINSF_IJSJ_SN_EEEEESU_EEENSF_IJNS5_IJLi0EEEENS5_IJLi2ELi1EEEENS5_IJLi3EEEENS5_IJLi5EEEENS5_IJLi4EEEENS5_IJLi6EEEENS5_IJLi7EEEENS5_IJLi9ELi8EEEENS5_IJLi10EEEEEEENSF_IJNS5_IJLi1ELi2ELi3EEEENS5_IJLi4ELi5EEEES19_NS5_IJLi7ELi8EEEENS5_IJLi9EEEES1C_NS5_IJLi11EEEENS5_IJLi12EEEENS5_IJLi13EEEEEEENS5_IJLi11ELi12ELi13EEEENSH_IlLl32768EEEEENSE_INSF_IJNSV_INSF_IJSI_SN_SN_NSH_IiLi32EEEEEELb0EEEEEENSF_IJS14_EEENSF_IJNS5_IJLi1ELi2ELi3ELi4EEEEEEES1U_NSH_IlLl256EEEEENSE_INSF_IJSP_SS_SU_SX_SY_SU_SZ_S12_SU_NS10_INSF_IJSI_SK_EEEEENSV_INSF_IJSI_NSH_IiLi2EEESK_EEELb0EEEEEENSF_IJS14_S15_S16_S17_S18_S19_S1A_S1B_S1C_NS5_IJLi11ELi13EEEES1J_EEENSF_IJS1E_S1F_S19_S1G_S1H_S1C_S1I_S1J_S1K_NS5_IJLi14EEEENS5_IJLi15ELi16ELi17EEEEEEENS5_IJLi15ELi16ELi17ELi14EEEES1N_EENSE_INSF_IJS1R_NS10_ISW_EES22_EEENSF_IJS14_NS5_IJLi1ELi3EEEENS5_IJLi2EEEEEEENSF_IJS1U_S17_NS5_IJLi6ELi7ELi8EEEEEEENS5_IJLi6ELi7ELi8ELi5EEEES1W_EELi16ELi32ELi256ELi256ELi128ELi16ELi16ELi8ELi8ELi32ELb0EE3RunILb1ELNS_10TailNumberE1ENSE_INSF_IJNSG_INSF_IJiiEEENSF_IJiSN_EEELb0EEENSV_IS2N_Lb0EEENST_IiEEEEENSF_IJS14_S2E_NS5_IJLi1EEEEEEENSF_IJNS5_IJLi1ELi2EEEENS5_IJLi3ELi4EEEES17_EEENS5_IJLi3ELi5ELi4EEEElEES1O_NS_35ThreadGroupTensorSliceTransfer_v4r1INS_15ThisThreadBlockILi256EEENS_16tensor_operation12element_wise11PassThroughES35_LNS_25InMemoryDataOperationEnumE0ENS5_IJLi8ELi256ELi16EEEENS5_IJLi8ELi32ELi1EEEENS5_IJLi1ELi0ELi2EEEESC_SC_RKS2Z_KS1O_S39_NS5_IJLi0ELi1ELi2EEEELi2ELi2ELi16ELi16ELi1ELi1ELb0ELb1ELi2EiEENS_13DynamicBufferILNS_16AddressSpaceEnumE1EKSC_lLb1ELNS_22AmdBufferCoherenceEnumE0EiEENSF_IJNS3F_ILS3G_2ESC_S1N_Lb1ELS3I_0EiEES3K_EEENSF_IJiiiEEENSE_INSF_IJNSG_INSF_IJiiiiEEENSF_IJiiiSN_EEELb0EEEEEES1T_S1V_S1U_lEENS_32ThreadwiseTensorSliceTransfer_v2ISD_SD_RKS3R_KS1X_NS5_IJLi8ELi1ELi1ELi32EEEENS5_IJLi1ELi2ELi0ELi3EEEELi3ELi32ELi0ELb1ELb0ELb0EEENS3F_ILS3G_1EKSD_lLb1ELS3I_0EiEENSF_IJNS_12StaticBufferILS3G_4ESD_Li256ELb1EEES42_EEES3N_NS_25StaticBufferTupleOfVectorILS3G_4EfLi64ELi4ELb1ELb0EEEEEvRKT1_RKT2_RT3_RKT4_RT5_RKT6_RKT7_RT8_RKT9_RT10_RKT11_RT12_iENKUlT_T0_E_clINSH_IiLi0EEESN_EEDaS51_S52_ENKUlS51_E_clINSH_IiLi3EEEEEDaS51_EUlS51_E_EEvS51_EUlS51_E_EEvS51_, .Lfunc_end31-_ZNK2ck6detail7applierIiJLi0ELi1ELi2ELi3ELi4ELi5ELi6ELi7EEEclIZNKS_11static_fordINS_8SequenceIJLi1ELi8EEEENS5_IJLi0ELi1EEEEEclIZZZNKS_52BlockwiseGemmXdlops_pipeline_bpreshuffle_bdequant_v3ILNS_26BlockGemmPipelineSchedulerE0ELi256ENS_9f8_fnuz_tENS_7pk_i4_tESC_fNS_16TensorDescriptorINS_5TupleIJNS_5EmbedINSF_IJNS_17integral_constantIiLi8EEENSH_IiLi256EEENSH_IiLi16EEEEEENSF_IJSK_NSH_IiLi128EEENSH_IiLi1EEEEEELb0EEENS_3XorINSF_IJSJ_SI_EEELb1EEENS_11PassThroughISK_EENS_7UnMergeINSF_IJSI_SN_EEELb0EEENST_ISJ_EESU_NST_ISI_EENS_21Merge_v3_division_modINSF_IJSJ_SN_EEEEESU_EEENSF_IJNS5_IJLi0EEEENS5_IJLi2ELi1EEEENS5_IJLi3EEEENS5_IJLi5EEEENS5_IJLi4EEEENS5_IJLi6EEEENS5_IJLi7EEEENS5_IJLi9ELi8EEEENS5_IJLi10EEEEEEENSF_IJNS5_IJLi1ELi2ELi3EEEENS5_IJLi4ELi5EEEES19_NS5_IJLi7ELi8EEEENS5_IJLi9EEEES1C_NS5_IJLi11EEEENS5_IJLi12EEEENS5_IJLi13EEEEEEENS5_IJLi11ELi12ELi13EEEENSH_IlLl32768EEEEENSE_INSF_IJNSV_INSF_IJSI_SN_SN_NSH_IiLi32EEEEEELb0EEEEEENSF_IJS14_EEENSF_IJNS5_IJLi1ELi2ELi3ELi4EEEEEEES1U_NSH_IlLl256EEEEENSE_INSF_IJSP_SS_SU_SX_SY_SU_SZ_S12_SU_NS10_INSF_IJSI_SK_EEEEENSV_INSF_IJSI_NSH_IiLi2EEESK_EEELb0EEEEEENSF_IJS14_S15_S16_S17_S18_S19_S1A_S1B_S1C_NS5_IJLi11ELi13EEEES1J_EEENSF_IJS1E_S1F_S19_S1G_S1H_S1C_S1I_S1J_S1K_NS5_IJLi14EEEENS5_IJLi15ELi16ELi17EEEEEEENS5_IJLi15ELi16ELi17ELi14EEEES1N_EENSE_INSF_IJS1R_NS10_ISW_EES22_EEENSF_IJS14_NS5_IJLi1ELi3EEEENS5_IJLi2EEEEEEENSF_IJS1U_S17_NS5_IJLi6ELi7ELi8EEEEEEENS5_IJLi6ELi7ELi8ELi5EEEES1W_EELi16ELi32ELi256ELi256ELi128ELi16ELi16ELi8ELi8ELi32ELb0EE3RunILb1ELNS_10TailNumberE1ENSE_INSF_IJNSG_INSF_IJiiEEENSF_IJiSN_EEELb0EEENSV_IS2N_Lb0EEENST_IiEEEEENSF_IJS14_S2E_NS5_IJLi1EEEEEEENSF_IJNS5_IJLi1ELi2EEEENS5_IJLi3ELi4EEEES17_EEENS5_IJLi3ELi5ELi4EEEElEES1O_NS_35ThreadGroupTensorSliceTransfer_v4r1INS_15ThisThreadBlockILi256EEENS_16tensor_operation12element_wise11PassThroughES35_LNS_25InMemoryDataOperationEnumE0ENS5_IJLi8ELi256ELi16EEEENS5_IJLi8ELi32ELi1EEEENS5_IJLi1ELi0ELi2EEEESC_SC_RKS2Z_KS1O_S39_NS5_IJLi0ELi1ELi2EEEELi2ELi2ELi16ELi16ELi1ELi1ELb0ELb1ELi2EiEENS_13DynamicBufferILNS_16AddressSpaceEnumE1EKSC_lLb1ELNS_22AmdBufferCoherenceEnumE0EiEENSF_IJNS3F_ILS3G_2ESC_S1N_Lb1ELS3I_0EiEES3K_EEENSF_IJiiiEEENSE_INSF_IJNSG_INSF_IJiiiiEEENSF_IJiiiSN_EEELb0EEEEEES1T_S1V_S1U_lEENS_32ThreadwiseTensorSliceTransfer_v2ISD_SD_RKS3R_KS1X_NS5_IJLi8ELi1ELi1ELi32EEEENS5_IJLi1ELi2ELi0ELi3EEEELi3ELi32ELi0ELb1ELb0ELb0EEENS3F_ILS3G_1EKSD_lLb1ELS3I_0EiEENSF_IJNS_12StaticBufferILS3G_4ESD_Li256ELb1EEES42_EEES3N_NS_25StaticBufferTupleOfVectorILS3G_4EfLi64ELi4ELb1ELb0EEEEEvRKT1_RKT2_RT3_RKT4_RT5_RKT6_RKT7_RT8_RKT9_RT10_RKT11_RT12_iENKUlT_T0_E_clINSH_IiLi0EEESN_EEDaS51_S52_ENKUlS51_E_clINSH_IiLi3EEEEEDaS51_EUlS51_E_EEvS51_EUlS51_E_EEvS51_
                                        ; -- End function
	.section	.AMDGPU.csdata,"",@progbits
; Function info:
; codeLenInByte = 133608
; NumSgprs: 36
; NumVgprs: 26
; NumAgprs: 4
; TotalNumVgprs: 32
; ScratchSize: 0
; MemoryBound: 1
	.text
	.p2align	2                               ; -- Begin function _ZNK2ck6detail7applierIiJLi0ELi1ELi2ELi3ELi4ELi5ELi6ELi7EEEclIZNKS_11static_fordINS_8SequenceIJLi1ELi8EEEENS5_IJLi0ELi1EEEEEclIZZZNKS_52BlockwiseGemmXdlops_pipeline_bpreshuffle_bdequant_v3ILNS_26BlockGemmPipelineSchedulerE0ELi256ENS_9f8_fnuz_tENS_7pk_i4_tESC_fNS_16TensorDescriptorINS_5TupleIJNS_5EmbedINSF_IJNS_17integral_constantIiLi8EEENSH_IiLi256EEENSH_IiLi16EEEEEENSF_IJSK_NSH_IiLi128EEENSH_IiLi1EEEEEELb0EEENS_3XorINSF_IJSJ_SI_EEELb1EEENS_11PassThroughISK_EENS_7UnMergeINSF_IJSI_SN_EEELb0EEENST_ISJ_EESU_NST_ISI_EENS_21Merge_v3_division_modINSF_IJSJ_SN_EEEEESU_EEENSF_IJNS5_IJLi0EEEENS5_IJLi2ELi1EEEENS5_IJLi3EEEENS5_IJLi5EEEENS5_IJLi4EEEENS5_IJLi6EEEENS5_IJLi7EEEENS5_IJLi9ELi8EEEENS5_IJLi10EEEEEEENSF_IJNS5_IJLi1ELi2ELi3EEEENS5_IJLi4ELi5EEEES19_NS5_IJLi7ELi8EEEENS5_IJLi9EEEES1C_NS5_IJLi11EEEENS5_IJLi12EEEENS5_IJLi13EEEEEEENS5_IJLi11ELi12ELi13EEEENSH_IlLl32768EEEEENSE_INSF_IJNSV_INSF_IJSI_SN_SN_NSH_IiLi32EEEEEELb0EEEEEENSF_IJS14_EEENSF_IJNS5_IJLi1ELi2ELi3ELi4EEEEEEES1U_NSH_IlLl256EEEEENSE_INSF_IJSP_SS_SU_SX_SY_SU_SZ_S12_SU_NS10_INSF_IJSI_SK_EEEEENSV_INSF_IJSI_NSH_IiLi2EEESK_EEELb0EEEEEENSF_IJS14_S15_S16_S17_S18_S19_S1A_S1B_S1C_NS5_IJLi11ELi13EEEES1J_EEENSF_IJS1E_S1F_S19_S1G_S1H_S1C_S1I_S1J_S1K_NS5_IJLi14EEEENS5_IJLi15ELi16ELi17EEEEEEENS5_IJLi15ELi16ELi17ELi14EEEES1N_EENSE_INSF_IJS1R_NS10_ISW_EES22_EEENSF_IJS14_NS5_IJLi1ELi3EEEENS5_IJLi2EEEEEEENSF_IJS1U_S17_NS5_IJLi6ELi7ELi8EEEEEEENS5_IJLi6ELi7ELi8ELi5EEEES1W_EELi16ELi32ELi256ELi256ELi128ELi16ELi16ELi8ELi8ELi32ELb0EE3RunILb1ELNS_10TailNumberE1ENSE_INSF_IJNSG_INSF_IJiiEEENSF_IJiSN_EEELb0EEENSV_IS2N_Lb0EEENST_IiEEEEENSF_IJS14_S2E_NS5_IJLi1EEEEEEENSF_IJNS5_IJLi1ELi2EEEENS5_IJLi3ELi4EEEES17_EEENS5_IJLi3ELi5ELi4EEEElEES1O_NS_35ThreadGroupTensorSliceTransfer_v4r1INS_15ThisThreadBlockILi256EEENS_16tensor_operation12element_wise11PassThroughES35_LNS_25InMemoryDataOperationEnumE0ENS5_IJLi8ELi256ELi16EEEENS5_IJLi8ELi32ELi1EEEENS5_IJLi1ELi0ELi2EEEESC_SC_RKS2Z_KS1O_S39_NS5_IJLi0ELi1ELi2EEEELi2ELi2ELi16ELi16ELi1ELi1ELb0ELb1ELi2EiEENS_13DynamicBufferILNS_16AddressSpaceEnumE1EKSC_lLb1ELNS_22AmdBufferCoherenceEnumE0EiEENSF_IJNS3F_ILS3G_2ESC_S1N_Lb1ELS3I_0EiEES3K_EEENSF_IJiiiEEENSE_INSF_IJNSG_INSF_IJiiiiEEENSF_IJiiiSN_EEELb0EEEEEES1T_S1V_S1U_lEENS_32ThreadwiseTensorSliceTransfer_v2ISD_SD_RKS3R_KS1X_NS5_IJLi8ELi1ELi1ELi32EEEENS5_IJLi1ELi2ELi0ELi3EEEELi3ELi32ELi0ELb1ELb0ELb0EEENS3F_ILS3G_1EKSD_lLb1ELS3I_0EiEENSF_IJNS_12StaticBufferILS3G_4ESD_Li256ELb1EEES42_EEES3N_NS_25StaticBufferTupleOfVectorILS3G_4EfLi64ELi4ELb1ELb0EEEEEvRKT1_RKT2_RT3_RKT4_RT5_RKT6_RKT7_RT8_RKT9_RT10_RKT11_RT12_iENKUlT_T0_E_clINSH_IiLi0EEESN_EEDaS51_S52_ENKUlS51_E_clINSH_IiLi4EEEEEDaS51_EUlS51_E_EEvS51_EUlS51_E_EEvS51_
	.type	_ZNK2ck6detail7applierIiJLi0ELi1ELi2ELi3ELi4ELi5ELi6ELi7EEEclIZNKS_11static_fordINS_8SequenceIJLi1ELi8EEEENS5_IJLi0ELi1EEEEEclIZZZNKS_52BlockwiseGemmXdlops_pipeline_bpreshuffle_bdequant_v3ILNS_26BlockGemmPipelineSchedulerE0ELi256ENS_9f8_fnuz_tENS_7pk_i4_tESC_fNS_16TensorDescriptorINS_5TupleIJNS_5EmbedINSF_IJNS_17integral_constantIiLi8EEENSH_IiLi256EEENSH_IiLi16EEEEEENSF_IJSK_NSH_IiLi128EEENSH_IiLi1EEEEEELb0EEENS_3XorINSF_IJSJ_SI_EEELb1EEENS_11PassThroughISK_EENS_7UnMergeINSF_IJSI_SN_EEELb0EEENST_ISJ_EESU_NST_ISI_EENS_21Merge_v3_division_modINSF_IJSJ_SN_EEEEESU_EEENSF_IJNS5_IJLi0EEEENS5_IJLi2ELi1EEEENS5_IJLi3EEEENS5_IJLi5EEEENS5_IJLi4EEEENS5_IJLi6EEEENS5_IJLi7EEEENS5_IJLi9ELi8EEEENS5_IJLi10EEEEEEENSF_IJNS5_IJLi1ELi2ELi3EEEENS5_IJLi4ELi5EEEES19_NS5_IJLi7ELi8EEEENS5_IJLi9EEEES1C_NS5_IJLi11EEEENS5_IJLi12EEEENS5_IJLi13EEEEEEENS5_IJLi11ELi12ELi13EEEENSH_IlLl32768EEEEENSE_INSF_IJNSV_INSF_IJSI_SN_SN_NSH_IiLi32EEEEEELb0EEEEEENSF_IJS14_EEENSF_IJNS5_IJLi1ELi2ELi3ELi4EEEEEEES1U_NSH_IlLl256EEEEENSE_INSF_IJSP_SS_SU_SX_SY_SU_SZ_S12_SU_NS10_INSF_IJSI_SK_EEEEENSV_INSF_IJSI_NSH_IiLi2EEESK_EEELb0EEEEEENSF_IJS14_S15_S16_S17_S18_S19_S1A_S1B_S1C_NS5_IJLi11ELi13EEEES1J_EEENSF_IJS1E_S1F_S19_S1G_S1H_S1C_S1I_S1J_S1K_NS5_IJLi14EEEENS5_IJLi15ELi16ELi17EEEEEEENS5_IJLi15ELi16ELi17ELi14EEEES1N_EENSE_INSF_IJS1R_NS10_ISW_EES22_EEENSF_IJS14_NS5_IJLi1ELi3EEEENS5_IJLi2EEEEEEENSF_IJS1U_S17_NS5_IJLi6ELi7ELi8EEEEEEENS5_IJLi6ELi7ELi8ELi5EEEES1W_EELi16ELi32ELi256ELi256ELi128ELi16ELi16ELi8ELi8ELi32ELb0EE3RunILb1ELNS_10TailNumberE1ENSE_INSF_IJNSG_INSF_IJiiEEENSF_IJiSN_EEELb0EEENSV_IS2N_Lb0EEENST_IiEEEEENSF_IJS14_S2E_NS5_IJLi1EEEEEEENSF_IJNS5_IJLi1ELi2EEEENS5_IJLi3ELi4EEEES17_EEENS5_IJLi3ELi5ELi4EEEElEES1O_NS_35ThreadGroupTensorSliceTransfer_v4r1INS_15ThisThreadBlockILi256EEENS_16tensor_operation12element_wise11PassThroughES35_LNS_25InMemoryDataOperationEnumE0ENS5_IJLi8ELi256ELi16EEEENS5_IJLi8ELi32ELi1EEEENS5_IJLi1ELi0ELi2EEEESC_SC_RKS2Z_KS1O_S39_NS5_IJLi0ELi1ELi2EEEELi2ELi2ELi16ELi16ELi1ELi1ELb0ELb1ELi2EiEENS_13DynamicBufferILNS_16AddressSpaceEnumE1EKSC_lLb1ELNS_22AmdBufferCoherenceEnumE0EiEENSF_IJNS3F_ILS3G_2ESC_S1N_Lb1ELS3I_0EiEES3K_EEENSF_IJiiiEEENSE_INSF_IJNSG_INSF_IJiiiiEEENSF_IJiiiSN_EEELb0EEEEEES1T_S1V_S1U_lEENS_32ThreadwiseTensorSliceTransfer_v2ISD_SD_RKS3R_KS1X_NS5_IJLi8ELi1ELi1ELi32EEEENS5_IJLi1ELi2ELi0ELi3EEEELi3ELi32ELi0ELb1ELb0ELb0EEENS3F_ILS3G_1EKSD_lLb1ELS3I_0EiEENSF_IJNS_12StaticBufferILS3G_4ESD_Li256ELb1EEES42_EEES3N_NS_25StaticBufferTupleOfVectorILS3G_4EfLi64ELi4ELb1ELb0EEEEEvRKT1_RKT2_RT3_RKT4_RT5_RKT6_RKT7_RT8_RKT9_RT10_RKT11_RT12_iENKUlT_T0_E_clINSH_IiLi0EEESN_EEDaS51_S52_ENKUlS51_E_clINSH_IiLi4EEEEEDaS51_EUlS51_E_EEvS51_EUlS51_E_EEvS51_,@function
_ZNK2ck6detail7applierIiJLi0ELi1ELi2ELi3ELi4ELi5ELi6ELi7EEEclIZNKS_11static_fordINS_8SequenceIJLi1ELi8EEEENS5_IJLi0ELi1EEEEEclIZZZNKS_52BlockwiseGemmXdlops_pipeline_bpreshuffle_bdequant_v3ILNS_26BlockGemmPipelineSchedulerE0ELi256ENS_9f8_fnuz_tENS_7pk_i4_tESC_fNS_16TensorDescriptorINS_5TupleIJNS_5EmbedINSF_IJNS_17integral_constantIiLi8EEENSH_IiLi256EEENSH_IiLi16EEEEEENSF_IJSK_NSH_IiLi128EEENSH_IiLi1EEEEEELb0EEENS_3XorINSF_IJSJ_SI_EEELb1EEENS_11PassThroughISK_EENS_7UnMergeINSF_IJSI_SN_EEELb0EEENST_ISJ_EESU_NST_ISI_EENS_21Merge_v3_division_modINSF_IJSJ_SN_EEEEESU_EEENSF_IJNS5_IJLi0EEEENS5_IJLi2ELi1EEEENS5_IJLi3EEEENS5_IJLi5EEEENS5_IJLi4EEEENS5_IJLi6EEEENS5_IJLi7EEEENS5_IJLi9ELi8EEEENS5_IJLi10EEEEEEENSF_IJNS5_IJLi1ELi2ELi3EEEENS5_IJLi4ELi5EEEES19_NS5_IJLi7ELi8EEEENS5_IJLi9EEEES1C_NS5_IJLi11EEEENS5_IJLi12EEEENS5_IJLi13EEEEEEENS5_IJLi11ELi12ELi13EEEENSH_IlLl32768EEEEENSE_INSF_IJNSV_INSF_IJSI_SN_SN_NSH_IiLi32EEEEEELb0EEEEEENSF_IJS14_EEENSF_IJNS5_IJLi1ELi2ELi3ELi4EEEEEEES1U_NSH_IlLl256EEEEENSE_INSF_IJSP_SS_SU_SX_SY_SU_SZ_S12_SU_NS10_INSF_IJSI_SK_EEEEENSV_INSF_IJSI_NSH_IiLi2EEESK_EEELb0EEEEEENSF_IJS14_S15_S16_S17_S18_S19_S1A_S1B_S1C_NS5_IJLi11ELi13EEEES1J_EEENSF_IJS1E_S1F_S19_S1G_S1H_S1C_S1I_S1J_S1K_NS5_IJLi14EEEENS5_IJLi15ELi16ELi17EEEEEEENS5_IJLi15ELi16ELi17ELi14EEEES1N_EENSE_INSF_IJS1R_NS10_ISW_EES22_EEENSF_IJS14_NS5_IJLi1ELi3EEEENS5_IJLi2EEEEEEENSF_IJS1U_S17_NS5_IJLi6ELi7ELi8EEEEEEENS5_IJLi6ELi7ELi8ELi5EEEES1W_EELi16ELi32ELi256ELi256ELi128ELi16ELi16ELi8ELi8ELi32ELb0EE3RunILb1ELNS_10TailNumberE1ENSE_INSF_IJNSG_INSF_IJiiEEENSF_IJiSN_EEELb0EEENSV_IS2N_Lb0EEENST_IiEEEEENSF_IJS14_S2E_NS5_IJLi1EEEEEEENSF_IJNS5_IJLi1ELi2EEEENS5_IJLi3ELi4EEEES17_EEENS5_IJLi3ELi5ELi4EEEElEES1O_NS_35ThreadGroupTensorSliceTransfer_v4r1INS_15ThisThreadBlockILi256EEENS_16tensor_operation12element_wise11PassThroughES35_LNS_25InMemoryDataOperationEnumE0ENS5_IJLi8ELi256ELi16EEEENS5_IJLi8ELi32ELi1EEEENS5_IJLi1ELi0ELi2EEEESC_SC_RKS2Z_KS1O_S39_NS5_IJLi0ELi1ELi2EEEELi2ELi2ELi16ELi16ELi1ELi1ELb0ELb1ELi2EiEENS_13DynamicBufferILNS_16AddressSpaceEnumE1EKSC_lLb1ELNS_22AmdBufferCoherenceEnumE0EiEENSF_IJNS3F_ILS3G_2ESC_S1N_Lb1ELS3I_0EiEES3K_EEENSF_IJiiiEEENSE_INSF_IJNSG_INSF_IJiiiiEEENSF_IJiiiSN_EEELb0EEEEEES1T_S1V_S1U_lEENS_32ThreadwiseTensorSliceTransfer_v2ISD_SD_RKS3R_KS1X_NS5_IJLi8ELi1ELi1ELi32EEEENS5_IJLi1ELi2ELi0ELi3EEEELi3ELi32ELi0ELb1ELb0ELb0EEENS3F_ILS3G_1EKSD_lLb1ELS3I_0EiEENSF_IJNS_12StaticBufferILS3G_4ESD_Li256ELb1EEES42_EEES3N_NS_25StaticBufferTupleOfVectorILS3G_4EfLi64ELi4ELb1ELb0EEEEEvRKT1_RKT2_RT3_RKT4_RT5_RKT6_RKT7_RT8_RKT9_RT10_RKT11_RT12_iENKUlT_T0_E_clINSH_IiLi0EEESN_EEDaS51_S52_ENKUlS51_E_clINSH_IiLi4EEEEEDaS51_EUlS51_E_EEvS51_EUlS51_E_EEvS51_: ; @_ZNK2ck6detail7applierIiJLi0ELi1ELi2ELi3ELi4ELi5ELi6ELi7EEEclIZNKS_11static_fordINS_8SequenceIJLi1ELi8EEEENS5_IJLi0ELi1EEEEEclIZZZNKS_52BlockwiseGemmXdlops_pipeline_bpreshuffle_bdequant_v3ILNS_26BlockGemmPipelineSchedulerE0ELi256ENS_9f8_fnuz_tENS_7pk_i4_tESC_fNS_16TensorDescriptorINS_5TupleIJNS_5EmbedINSF_IJNS_17integral_constantIiLi8EEENSH_IiLi256EEENSH_IiLi16EEEEEENSF_IJSK_NSH_IiLi128EEENSH_IiLi1EEEEEELb0EEENS_3XorINSF_IJSJ_SI_EEELb1EEENS_11PassThroughISK_EENS_7UnMergeINSF_IJSI_SN_EEELb0EEENST_ISJ_EESU_NST_ISI_EENS_21Merge_v3_division_modINSF_IJSJ_SN_EEEEESU_EEENSF_IJNS5_IJLi0EEEENS5_IJLi2ELi1EEEENS5_IJLi3EEEENS5_IJLi5EEEENS5_IJLi4EEEENS5_IJLi6EEEENS5_IJLi7EEEENS5_IJLi9ELi8EEEENS5_IJLi10EEEEEEENSF_IJNS5_IJLi1ELi2ELi3EEEENS5_IJLi4ELi5EEEES19_NS5_IJLi7ELi8EEEENS5_IJLi9EEEES1C_NS5_IJLi11EEEENS5_IJLi12EEEENS5_IJLi13EEEEEEENS5_IJLi11ELi12ELi13EEEENSH_IlLl32768EEEEENSE_INSF_IJNSV_INSF_IJSI_SN_SN_NSH_IiLi32EEEEEELb0EEEEEENSF_IJS14_EEENSF_IJNS5_IJLi1ELi2ELi3ELi4EEEEEEES1U_NSH_IlLl256EEEEENSE_INSF_IJSP_SS_SU_SX_SY_SU_SZ_S12_SU_NS10_INSF_IJSI_SK_EEEEENSV_INSF_IJSI_NSH_IiLi2EEESK_EEELb0EEEEEENSF_IJS14_S15_S16_S17_S18_S19_S1A_S1B_S1C_NS5_IJLi11ELi13EEEES1J_EEENSF_IJS1E_S1F_S19_S1G_S1H_S1C_S1I_S1J_S1K_NS5_IJLi14EEEENS5_IJLi15ELi16ELi17EEEEEEENS5_IJLi15ELi16ELi17ELi14EEEES1N_EENSE_INSF_IJS1R_NS10_ISW_EES22_EEENSF_IJS14_NS5_IJLi1ELi3EEEENS5_IJLi2EEEEEEENSF_IJS1U_S17_NS5_IJLi6ELi7ELi8EEEEEEENS5_IJLi6ELi7ELi8ELi5EEEES1W_EELi16ELi32ELi256ELi256ELi128ELi16ELi16ELi8ELi8ELi32ELb0EE3RunILb1ELNS_10TailNumberE1ENSE_INSF_IJNSG_INSF_IJiiEEENSF_IJiSN_EEELb0EEENSV_IS2N_Lb0EEENST_IiEEEEENSF_IJS14_S2E_NS5_IJLi1EEEEEEENSF_IJNS5_IJLi1ELi2EEEENS5_IJLi3ELi4EEEES17_EEENS5_IJLi3ELi5ELi4EEEElEES1O_NS_35ThreadGroupTensorSliceTransfer_v4r1INS_15ThisThreadBlockILi256EEENS_16tensor_operation12element_wise11PassThroughES35_LNS_25InMemoryDataOperationEnumE0ENS5_IJLi8ELi256ELi16EEEENS5_IJLi8ELi32ELi1EEEENS5_IJLi1ELi0ELi2EEEESC_SC_RKS2Z_KS1O_S39_NS5_IJLi0ELi1ELi2EEEELi2ELi2ELi16ELi16ELi1ELi1ELb0ELb1ELi2EiEENS_13DynamicBufferILNS_16AddressSpaceEnumE1EKSC_lLb1ELNS_22AmdBufferCoherenceEnumE0EiEENSF_IJNS3F_ILS3G_2ESC_S1N_Lb1ELS3I_0EiEES3K_EEENSF_IJiiiEEENSE_INSF_IJNSG_INSF_IJiiiiEEENSF_IJiiiSN_EEELb0EEEEEES1T_S1V_S1U_lEENS_32ThreadwiseTensorSliceTransfer_v2ISD_SD_RKS3R_KS1X_NS5_IJLi8ELi1ELi1ELi32EEEENS5_IJLi1ELi2ELi0ELi3EEEELi3ELi32ELi0ELb1ELb0ELb0EEENS3F_ILS3G_1EKSD_lLb1ELS3I_0EiEENSF_IJNS_12StaticBufferILS3G_4ESD_Li256ELb1EEES42_EEES3N_NS_25StaticBufferTupleOfVectorILS3G_4EfLi64ELi4ELb1ELb0EEEEEvRKT1_RKT2_RT3_RKT4_RT5_RKT6_RKT7_RT8_RKT9_RT10_RKT11_RT12_iENKUlT_T0_E_clINSH_IiLi0EEESN_EEDaS51_S52_ENKUlS51_E_clINSH_IiLi4EEEEEDaS51_EUlS51_E_EEvS51_EUlS51_E_EEvS51_
; %bb.0:
	s_waitcnt vmcnt(0) expcnt(0) lgkmcnt(0)
	flat_load_dwordx4 v[20:23], v[0:1] offset:16
	flat_load_dwordx2 v[18:19], v[0:1] offset:32
	s_movk_i32 s4, 0x7f
                                        ; implicit-def: $sgpr10
	s_waitcnt vmcnt(0) lgkmcnt(0)
	flat_load_dwordx4 v[14:17], v[20:21]
	flat_load_dwordx4 v[10:13], v[22:23]
	flat_load_dwordx4 v[6:9], v[20:21] offset:16
	flat_load_dwordx4 v[2:5], v[22:23] offset:16
	s_waitcnt vmcnt(0) lgkmcnt(0)
	v_cmp_gt_i16_sdwa s[6:7], v14, s4 src0_sel:BYTE_0 src1_sel:DWORD
	s_mov_b64 s[4:5], 0
	s_and_saveexec_b64 s[8:9], s[6:7]
	s_xor_b64 s[6:7], exec, s[8:9]
	s_cbranch_execnz .LBB32_2049
; %bb.1:
	s_or_saveexec_b64 s[6:7], s[6:7]
	v_mov_b32_e32 v20, s10
	s_xor_b64 exec, exec, s[6:7]
	s_cbranch_execnz .LBB32_2052
.LBB32_2:
	s_or_b64 exec, exec, s[6:7]
	s_and_saveexec_b64 s[6:7], s[4:5]
	s_cbranch_execz .LBB32_4
.LBB32_3:
	v_and_b32_e32 v20, 7, v14
	v_ffbh_u32_e32 v22, v20
	v_min_u32_e32 v22, 32, v22
	v_lshrrev_b16_e32 v21, 3, v14
	v_subrev_u32_e32 v23, 28, v22
	v_and_b32_e32 v21, 15, v21
	v_lshlrev_b32_e32 v23, v23, v14
	v_sub_u32_e32 v22, 29, v22
	v_and_b32_e32 v23, 7, v23
	v_cmp_eq_u16_e32 vcc, 0, v21
	v_cndmask_b32_e32 v20, v20, v23, vcc
	v_cndmask_b32_e32 v21, v21, v22, vcc
	v_lshlrev_b32_e32 v22, 24, v14
	v_mov_b32_e32 v23, 0x3b800000
	v_lshlrev_b32_e32 v20, 20, v20
	v_and_b32_e32 v22, 0x80000000, v22
	v_lshl_add_u32 v21, v21, 23, v23
	v_or3_b32 v20, v22, v21, v20
.LBB32_4:
	s_or_b64 exec, exec, s[6:7]
	s_movk_i32 s4, 0x7f
	v_cmp_gt_i16_sdwa s[6:7], v10, s4 src0_sel:BYTE_0 src1_sel:DWORD
	s_mov_b64 s[4:5], 0
                                        ; implicit-def: $sgpr10
	s_and_saveexec_b64 s[8:9], s[6:7]
	s_xor_b64 s[6:7], exec, s[8:9]
	s_cbranch_execnz .LBB32_2053
; %bb.5:
	s_or_saveexec_b64 s[6:7], s[6:7]
	v_mov_b32_e32 v21, s10
	s_xor_b64 exec, exec, s[6:7]
	s_cbranch_execnz .LBB32_2056
.LBB32_6:
	s_or_b64 exec, exec, s[6:7]
	s_and_saveexec_b64 s[6:7], s[4:5]
	s_cbranch_execz .LBB32_8
.LBB32_7:
	v_and_b32_e32 v21, 7, v10
	v_ffbh_u32_e32 v23, v21
	v_min_u32_e32 v23, 32, v23
	v_lshrrev_b16_e32 v22, 3, v10
	v_subrev_u32_e32 v24, 28, v23
	v_and_b32_e32 v22, 15, v22
	v_lshlrev_b32_e32 v24, v24, v10
	v_sub_u32_e32 v23, 29, v23
	v_and_b32_e32 v24, 7, v24
	v_cmp_eq_u16_e32 vcc, 0, v22
	v_cndmask_b32_e32 v21, v21, v24, vcc
	v_cndmask_b32_e32 v22, v22, v23, vcc
	v_lshlrev_b32_e32 v23, 24, v10
	v_mov_b32_e32 v24, 0x3b800000
	v_lshlrev_b32_e32 v21, 20, v21
	v_and_b32_e32 v23, 0x80000000, v23
	v_lshl_add_u32 v22, v22, 23, v24
	v_or3_b32 v21, v23, v22, v21
.LBB32_8:
	s_or_b64 exec, exec, s[6:7]
	flat_load_dwordx4 a[0:3], v[18:19] offset:512
	s_movk_i32 s4, 0x7f
                                        ; implicit-def: $sgpr10
	s_waitcnt vmcnt(0) lgkmcnt(0)
	v_mfma_f32_16x16x4f32 a[0:3], v20, v21, a[0:3]
	v_lshrrev_b32_e32 v21, 8, v14
	v_cmp_gt_i16_sdwa s[6:7], v21, s4 src0_sel:BYTE_0 src1_sel:DWORD
	s_mov_b64 s[4:5], 0
	s_and_saveexec_b64 s[8:9], s[6:7]
	s_xor_b64 s[6:7], exec, s[8:9]
	s_cbranch_execnz .LBB32_2057
; %bb.9:
	s_or_saveexec_b64 s[6:7], s[6:7]
	v_mov_b32_e32 v20, s10
	s_xor_b64 exec, exec, s[6:7]
	s_cbranch_execnz .LBB32_2060
.LBB32_10:
	s_or_b64 exec, exec, s[6:7]
	s_and_saveexec_b64 s[6:7], s[4:5]
	s_cbranch_execz .LBB32_12
.LBB32_11:
	v_bfe_u32 v20, v14, 8, 3
	v_ffbh_u32_e32 v23, v20
	v_min_u32_e32 v23, 32, v23
	v_lshrrev_b16_e32 v22, 3, v21
	v_subrev_u32_e32 v24, 28, v23
	v_and_b32_e32 v22, 15, v22
	v_lshlrev_b32_e32 v21, v24, v21
	v_sub_u32_e32 v23, 29, v23
	v_and_b32_e32 v21, 7, v21
	v_cmp_eq_u16_e32 vcc, 0, v22
	v_cndmask_b32_e32 v20, v20, v21, vcc
	v_cndmask_b32_e32 v21, v22, v23, vcc
	v_lshlrev_b32_e32 v22, 16, v14
	v_mov_b32_e32 v23, 0x3b800000
	v_lshlrev_b32_e32 v20, 20, v20
	v_and_b32_e32 v22, 0x80000000, v22
	v_lshl_add_u32 v21, v21, 23, v23
	v_or3_b32 v20, v22, v21, v20
.LBB32_12:
	s_or_b64 exec, exec, s[6:7]
	v_lshrrev_b32_e32 v21, 8, v10
	s_movk_i32 s4, 0x7f
	v_cmp_gt_i16_sdwa s[6:7], v21, s4 src0_sel:BYTE_0 src1_sel:DWORD
	s_mov_b64 s[4:5], 0
                                        ; implicit-def: $sgpr10
	s_and_saveexec_b64 s[8:9], s[6:7]
	s_xor_b64 s[6:7], exec, s[8:9]
	s_cbranch_execnz .LBB32_2061
; %bb.13:
	s_or_saveexec_b64 s[6:7], s[6:7]
	v_mov_b32_e32 v22, s10
	s_xor_b64 exec, exec, s[6:7]
	s_cbranch_execnz .LBB32_2064
.LBB32_14:
	s_or_b64 exec, exec, s[6:7]
	s_and_saveexec_b64 s[6:7], s[4:5]
	s_cbranch_execz .LBB32_16
.LBB32_15:
	v_bfe_u32 v22, v10, 8, 3
	v_ffbh_u32_e32 v24, v22
	v_min_u32_e32 v24, 32, v24
	v_lshrrev_b16_e32 v23, 3, v21
	v_subrev_u32_e32 v25, 28, v24
	v_and_b32_e32 v23, 15, v23
	v_lshlrev_b32_e32 v21, v25, v21
	v_sub_u32_e32 v24, 29, v24
	v_and_b32_e32 v21, 7, v21
	v_cmp_eq_u16_e32 vcc, 0, v23
	v_cndmask_b32_e32 v21, v22, v21, vcc
	v_cndmask_b32_e32 v22, v23, v24, vcc
	v_lshlrev_b32_e32 v23, 16, v10
	v_mov_b32_e32 v24, 0x3b800000
	v_lshlrev_b32_e32 v21, 20, v21
	v_and_b32_e32 v23, 0x80000000, v23
	v_lshl_add_u32 v22, v22, 23, v24
	v_or3_b32 v22, v23, v22, v21
.LBB32_16:
	s_or_b64 exec, exec, s[6:7]
	s_nop 0
	v_mfma_f32_16x16x4f32 a[0:3], v20, v22, a[0:3]
	s_movk_i32 s4, 0xff
	v_and_b32_sdwa v21, v14, s4 dst_sel:DWORD dst_unused:UNUSED_PAD src0_sel:WORD_1 src1_sel:DWORD
	s_movk_i32 s4, 0x7f
	v_cmp_lt_i16_e32 vcc, s4, v21
	s_mov_b64 s[4:5], 0
                                        ; implicit-def: $sgpr10
	s_and_saveexec_b64 s[6:7], vcc
	s_xor_b64 s[6:7], exec, s[6:7]
	s_cbranch_execnz .LBB32_2065
; %bb.17:
	s_or_saveexec_b64 s[6:7], s[6:7]
	v_mov_b32_e32 v20, s10
	s_xor_b64 exec, exec, s[6:7]
	s_cbranch_execnz .LBB32_2068
.LBB32_18:
	s_or_b64 exec, exec, s[6:7]
	s_and_saveexec_b64 s[6:7], s[4:5]
	s_cbranch_execz .LBB32_20
.LBB32_19:
	v_bfe_u32 v20, v14, 16, 3
	v_ffbh_u32_e32 v23, v20
	v_min_u32_e32 v23, 32, v23
	v_lshrrev_b32_e32 v21, 19, v14
	v_subrev_u32_e32 v24, 28, v23
	v_and_b32_e32 v21, 15, v21
	v_lshlrev_b32_sdwa v24, v24, v14 dst_sel:DWORD dst_unused:UNUSED_PAD src0_sel:DWORD src1_sel:WORD_1
	v_bfe_u32 v22, v14, 19, 4
	v_sub_u32_e32 v23, 29, v23
	v_and_b32_e32 v24, 7, v24
	v_cmp_eq_u16_e32 vcc, 0, v21
	v_cndmask_b32_e32 v20, v20, v24, vcc
	v_cndmask_b32_e32 v21, v22, v23, vcc
	v_lshlrev_b32_e32 v22, 8, v14
	v_mov_b32_e32 v23, 0x3b800000
	v_lshlrev_b32_e32 v20, 20, v20
	v_and_b32_e32 v22, 0x80000000, v22
	v_lshl_add_u32 v21, v21, 23, v23
	v_or3_b32 v20, v22, v21, v20
.LBB32_20:
	s_or_b64 exec, exec, s[6:7]
	s_movk_i32 s4, 0xff
	v_and_b32_sdwa v21, v10, s4 dst_sel:DWORD dst_unused:UNUSED_PAD src0_sel:WORD_1 src1_sel:DWORD
	s_movk_i32 s4, 0x7f
	v_cmp_lt_i16_e32 vcc, s4, v21
	s_mov_b64 s[4:5], 0
                                        ; implicit-def: $sgpr10
	s_and_saveexec_b64 s[6:7], vcc
	s_xor_b64 s[6:7], exec, s[6:7]
	s_cbranch_execnz .LBB32_2069
; %bb.21:
	s_or_saveexec_b64 s[6:7], s[6:7]
	v_mov_b32_e32 v22, s10
	s_xor_b64 exec, exec, s[6:7]
	s_cbranch_execnz .LBB32_2072
.LBB32_22:
	s_or_b64 exec, exec, s[6:7]
	s_and_saveexec_b64 s[6:7], s[4:5]
	s_cbranch_execz .LBB32_24
.LBB32_23:
	v_bfe_u32 v21, v10, 16, 3
	v_ffbh_u32_e32 v24, v21
	v_min_u32_e32 v24, 32, v24
	v_lshrrev_b32_e32 v22, 19, v10
	v_subrev_u32_e32 v25, 28, v24
	v_and_b32_e32 v22, 15, v22
	v_lshlrev_b32_sdwa v25, v25, v10 dst_sel:DWORD dst_unused:UNUSED_PAD src0_sel:DWORD src1_sel:WORD_1
	v_bfe_u32 v23, v10, 19, 4
	v_sub_u32_e32 v24, 29, v24
	v_and_b32_e32 v25, 7, v25
	v_cmp_eq_u16_e32 vcc, 0, v22
	v_cndmask_b32_e32 v21, v21, v25, vcc
	v_cndmask_b32_e32 v22, v23, v24, vcc
	v_lshlrev_b32_e32 v23, 8, v10
	v_mov_b32_e32 v24, 0x3b800000
	v_lshlrev_b32_e32 v21, 20, v21
	v_and_b32_e32 v23, 0x80000000, v23
	v_lshl_add_u32 v22, v22, 23, v24
	v_or3_b32 v22, v23, v22, v21
.LBB32_24:
	s_or_b64 exec, exec, s[6:7]
	s_nop 0
	v_mfma_f32_16x16x4f32 a[0:3], v20, v22, a[0:3]
	s_movk_i32 s4, 0x7f
	v_cmp_gt_i16_sdwa s[6:7], v14, s4 src0_sel:BYTE_3 src1_sel:DWORD
	s_mov_b64 s[4:5], 0
                                        ; implicit-def: $sgpr10
	s_and_saveexec_b64 s[8:9], s[6:7]
	s_xor_b64 s[6:7], exec, s[8:9]
	s_cbranch_execnz .LBB32_2073
; %bb.25:
	s_or_saveexec_b64 s[6:7], s[6:7]
	v_mov_b32_e32 v20, s10
	s_xor_b64 exec, exec, s[6:7]
	s_cbranch_execnz .LBB32_2076
.LBB32_26:
	s_or_b64 exec, exec, s[6:7]
	s_and_saveexec_b64 s[6:7], s[4:5]
	s_cbranch_execz .LBB32_28
.LBB32_27:
	v_bfe_u32 v20, v14, 24, 3
	v_ffbh_u32_e32 v24, v20
	v_min_u32_e32 v24, 32, v24
	v_lshrrev_b32_e32 v22, 27, v14
	v_subrev_u32_e32 v25, 28, v24
	v_and_b32_e32 v21, 0x80000000, v14
	v_and_b32_e32 v22, 15, v22
	v_bfe_u32 v23, v14, 27, 4
	v_lshlrev_b32_sdwa v14, v25, v14 dst_sel:DWORD dst_unused:UNUSED_PAD src0_sel:DWORD src1_sel:BYTE_3
	v_sub_u32_e32 v24, 29, v24
	v_and_b32_e32 v14, 7, v14
	v_cmp_eq_u16_e32 vcc, 0, v22
	v_cndmask_b32_e32 v14, v20, v14, vcc
	v_cndmask_b32_e32 v20, v23, v24, vcc
	v_mov_b32_e32 v22, 0x3b800000
	v_lshlrev_b32_e32 v14, 20, v14
	v_lshl_add_u32 v20, v20, 23, v22
	v_or3_b32 v20, v21, v20, v14
.LBB32_28:
	s_or_b64 exec, exec, s[6:7]
	s_movk_i32 s4, 0x7f
	v_cmp_gt_i16_sdwa s[6:7], v10, s4 src0_sel:BYTE_3 src1_sel:DWORD
	s_mov_b64 s[4:5], 0
                                        ; implicit-def: $sgpr10
	s_and_saveexec_b64 s[8:9], s[6:7]
	s_xor_b64 s[6:7], exec, s[8:9]
	s_cbranch_execnz .LBB32_2077
; %bb.29:
	s_or_saveexec_b64 s[6:7], s[6:7]
	v_mov_b32_e32 v14, s10
	s_xor_b64 exec, exec, s[6:7]
	s_cbranch_execnz .LBB32_2080
.LBB32_30:
	s_or_b64 exec, exec, s[6:7]
	s_and_saveexec_b64 s[6:7], s[4:5]
	s_cbranch_execz .LBB32_32
.LBB32_31:
	v_bfe_u32 v14, v10, 24, 3
	v_ffbh_u32_e32 v24, v14
	v_min_u32_e32 v24, 32, v24
	v_lshrrev_b32_e32 v22, 27, v10
	v_subrev_u32_e32 v25, 28, v24
	v_and_b32_e32 v21, 0x80000000, v10
	v_and_b32_e32 v22, 15, v22
	v_bfe_u32 v23, v10, 27, 4
	v_lshlrev_b32_sdwa v10, v25, v10 dst_sel:DWORD dst_unused:UNUSED_PAD src0_sel:DWORD src1_sel:BYTE_3
	v_sub_u32_e32 v24, 29, v24
	v_and_b32_e32 v10, 7, v10
	v_cmp_eq_u16_e32 vcc, 0, v22
	v_cndmask_b32_e32 v10, v14, v10, vcc
	v_cndmask_b32_e32 v14, v23, v24, vcc
	v_mov_b32_e32 v22, 0x3b800000
	v_lshlrev_b32_e32 v10, 20, v10
	v_lshl_add_u32 v14, v14, 23, v22
	v_or3_b32 v14, v21, v14, v10
.LBB32_32:
	s_or_b64 exec, exec, s[6:7]
	s_nop 0
	v_mfma_f32_16x16x4f32 a[0:3], v20, v14, a[0:3]
	s_movk_i32 s4, 0x7f
	v_cmp_gt_i16_sdwa s[6:7], v15, s4 src0_sel:BYTE_0 src1_sel:DWORD
	s_mov_b64 s[4:5], 0
                                        ; implicit-def: $sgpr10
	s_and_saveexec_b64 s[8:9], s[6:7]
	s_xor_b64 s[6:7], exec, s[8:9]
	s_cbranch_execnz .LBB32_2081
; %bb.33:
	s_or_saveexec_b64 s[6:7], s[6:7]
	v_mov_b32_e32 v10, s10
	s_xor_b64 exec, exec, s[6:7]
	s_cbranch_execnz .LBB32_2084
.LBB32_34:
	s_or_b64 exec, exec, s[6:7]
	s_and_saveexec_b64 s[6:7], s[4:5]
	s_cbranch_execz .LBB32_36
.LBB32_35:
	v_and_b32_e32 v10, 7, v15
	v_ffbh_u32_e32 v20, v10
	v_min_u32_e32 v20, 32, v20
	v_lshrrev_b16_e32 v14, 3, v15
	v_subrev_u32_e32 v21, 28, v20
	v_and_b32_e32 v14, 15, v14
	v_lshlrev_b32_e32 v21, v21, v15
	v_sub_u32_e32 v20, 29, v20
	v_and_b32_e32 v21, 7, v21
	v_cmp_eq_u16_e32 vcc, 0, v14
	v_cndmask_b32_e32 v10, v10, v21, vcc
	v_cndmask_b32_e32 v14, v14, v20, vcc
	v_lshlrev_b32_e32 v20, 24, v15
	v_mov_b32_e32 v21, 0x3b800000
	v_lshlrev_b32_e32 v10, 20, v10
	v_and_b32_e32 v20, 0x80000000, v20
	v_lshl_add_u32 v14, v14, 23, v21
	v_or3_b32 v10, v20, v14, v10
.LBB32_36:
	s_or_b64 exec, exec, s[6:7]
	s_movk_i32 s4, 0x7f
	v_cmp_gt_i16_sdwa s[6:7], v11, s4 src0_sel:BYTE_0 src1_sel:DWORD
	s_mov_b64 s[4:5], 0
                                        ; implicit-def: $sgpr10
	s_and_saveexec_b64 s[8:9], s[6:7]
	s_xor_b64 s[6:7], exec, s[8:9]
	s_cbranch_execnz .LBB32_2085
; %bb.37:
	s_or_saveexec_b64 s[6:7], s[6:7]
	v_mov_b32_e32 v14, s10
	s_xor_b64 exec, exec, s[6:7]
	s_cbranch_execnz .LBB32_2088
.LBB32_38:
	s_or_b64 exec, exec, s[6:7]
	s_and_saveexec_b64 s[6:7], s[4:5]
	s_cbranch_execz .LBB32_40
.LBB32_39:
	v_and_b32_e32 v14, 7, v11
	v_ffbh_u32_e32 v21, v14
	v_min_u32_e32 v21, 32, v21
	v_lshrrev_b16_e32 v20, 3, v11
	v_subrev_u32_e32 v22, 28, v21
	v_and_b32_e32 v20, 15, v20
	v_lshlrev_b32_e32 v22, v22, v11
	v_sub_u32_e32 v21, 29, v21
	v_and_b32_e32 v22, 7, v22
	v_cmp_eq_u16_e32 vcc, 0, v20
	v_cndmask_b32_e32 v14, v14, v22, vcc
	v_cndmask_b32_e32 v20, v20, v21, vcc
	v_lshlrev_b32_e32 v21, 24, v11
	v_mov_b32_e32 v22, 0x3b800000
	v_lshlrev_b32_e32 v14, 20, v14
	v_and_b32_e32 v21, 0x80000000, v21
	v_lshl_add_u32 v20, v20, 23, v22
	v_or3_b32 v14, v21, v20, v14
.LBB32_40:
	s_or_b64 exec, exec, s[6:7]
	s_nop 0
	v_mfma_f32_16x16x4f32 a[0:3], v10, v14, a[0:3]
	v_lshrrev_b32_e32 v14, 8, v15
	s_movk_i32 s4, 0x7f
	v_cmp_gt_i16_sdwa s[6:7], v14, s4 src0_sel:BYTE_0 src1_sel:DWORD
	s_mov_b64 s[4:5], 0
                                        ; implicit-def: $sgpr10
	s_and_saveexec_b64 s[8:9], s[6:7]
	s_xor_b64 s[6:7], exec, s[8:9]
	s_cbranch_execnz .LBB32_2089
; %bb.41:
	s_or_saveexec_b64 s[6:7], s[6:7]
	v_mov_b32_e32 v10, s10
	s_xor_b64 exec, exec, s[6:7]
	s_cbranch_execnz .LBB32_2092
.LBB32_42:
	s_or_b64 exec, exec, s[6:7]
	s_and_saveexec_b64 s[6:7], s[4:5]
	s_cbranch_execz .LBB32_44
.LBB32_43:
	v_bfe_u32 v10, v15, 8, 3
	v_ffbh_u32_e32 v21, v10
	v_min_u32_e32 v21, 32, v21
	v_lshrrev_b16_e32 v20, 3, v14
	v_subrev_u32_e32 v22, 28, v21
	v_and_b32_e32 v20, 15, v20
	v_lshlrev_b32_e32 v14, v22, v14
	v_sub_u32_e32 v21, 29, v21
	v_and_b32_e32 v14, 7, v14
	v_cmp_eq_u16_e32 vcc, 0, v20
	v_cndmask_b32_e32 v10, v10, v14, vcc
	v_cndmask_b32_e32 v14, v20, v21, vcc
	v_lshlrev_b32_e32 v20, 16, v15
	v_mov_b32_e32 v21, 0x3b800000
	v_lshlrev_b32_e32 v10, 20, v10
	v_and_b32_e32 v20, 0x80000000, v20
	v_lshl_add_u32 v14, v14, 23, v21
	v_or3_b32 v10, v20, v14, v10
.LBB32_44:
	s_or_b64 exec, exec, s[6:7]
	v_lshrrev_b32_e32 v14, 8, v11
	s_movk_i32 s4, 0x7f
	v_cmp_gt_i16_sdwa s[6:7], v14, s4 src0_sel:BYTE_0 src1_sel:DWORD
	s_mov_b64 s[4:5], 0
                                        ; implicit-def: $sgpr10
	s_and_saveexec_b64 s[8:9], s[6:7]
	s_xor_b64 s[6:7], exec, s[8:9]
	s_cbranch_execnz .LBB32_2093
; %bb.45:
	s_or_saveexec_b64 s[6:7], s[6:7]
	v_mov_b32_e32 v20, s10
	s_xor_b64 exec, exec, s[6:7]
	s_cbranch_execnz .LBB32_2096
.LBB32_46:
	s_or_b64 exec, exec, s[6:7]
	s_and_saveexec_b64 s[6:7], s[4:5]
	s_cbranch_execz .LBB32_48
.LBB32_47:
	v_bfe_u32 v20, v11, 8, 3
	v_ffbh_u32_e32 v22, v20
	v_min_u32_e32 v22, 32, v22
	v_lshrrev_b16_e32 v21, 3, v14
	v_subrev_u32_e32 v23, 28, v22
	v_and_b32_e32 v21, 15, v21
	v_lshlrev_b32_e32 v14, v23, v14
	v_sub_u32_e32 v22, 29, v22
	v_and_b32_e32 v14, 7, v14
	v_cmp_eq_u16_e32 vcc, 0, v21
	v_cndmask_b32_e32 v14, v20, v14, vcc
	v_cndmask_b32_e32 v20, v21, v22, vcc
	v_lshlrev_b32_e32 v21, 16, v11
	v_mov_b32_e32 v22, 0x3b800000
	v_lshlrev_b32_e32 v14, 20, v14
	v_and_b32_e32 v21, 0x80000000, v21
	v_lshl_add_u32 v20, v20, 23, v22
	v_or3_b32 v20, v21, v20, v14
.LBB32_48:
	s_or_b64 exec, exec, s[6:7]
	s_nop 0
	v_mfma_f32_16x16x4f32 a[0:3], v10, v20, a[0:3]
	s_movk_i32 s4, 0xff
	v_and_b32_sdwa v14, v15, s4 dst_sel:DWORD dst_unused:UNUSED_PAD src0_sel:WORD_1 src1_sel:DWORD
	s_movk_i32 s4, 0x7f
	v_cmp_lt_i16_e32 vcc, s4, v14
	s_mov_b64 s[4:5], 0
                                        ; implicit-def: $sgpr10
	s_and_saveexec_b64 s[6:7], vcc
	s_xor_b64 s[6:7], exec, s[6:7]
	s_cbranch_execnz .LBB32_2097
; %bb.49:
	s_or_saveexec_b64 s[6:7], s[6:7]
	v_mov_b32_e32 v10, s10
	s_xor_b64 exec, exec, s[6:7]
	s_cbranch_execnz .LBB32_2100
.LBB32_50:
	s_or_b64 exec, exec, s[6:7]
	s_and_saveexec_b64 s[6:7], s[4:5]
	s_cbranch_execz .LBB32_52
.LBB32_51:
	v_bfe_u32 v10, v15, 16, 3
	v_ffbh_u32_e32 v21, v10
	v_min_u32_e32 v21, 32, v21
	v_lshrrev_b32_e32 v14, 19, v15
	v_subrev_u32_e32 v22, 28, v21
	v_and_b32_e32 v14, 15, v14
	v_lshlrev_b32_sdwa v22, v22, v15 dst_sel:DWORD dst_unused:UNUSED_PAD src0_sel:DWORD src1_sel:WORD_1
	v_bfe_u32 v20, v15, 19, 4
	v_sub_u32_e32 v21, 29, v21
	v_and_b32_e32 v22, 7, v22
	v_cmp_eq_u16_e32 vcc, 0, v14
	v_cndmask_b32_e32 v10, v10, v22, vcc
	v_cndmask_b32_e32 v14, v20, v21, vcc
	v_lshlrev_b32_e32 v20, 8, v15
	v_mov_b32_e32 v21, 0x3b800000
	v_lshlrev_b32_e32 v10, 20, v10
	v_and_b32_e32 v20, 0x80000000, v20
	v_lshl_add_u32 v14, v14, 23, v21
	v_or3_b32 v10, v20, v14, v10
.LBB32_52:
	s_or_b64 exec, exec, s[6:7]
	s_movk_i32 s4, 0xff
	v_and_b32_sdwa v14, v11, s4 dst_sel:DWORD dst_unused:UNUSED_PAD src0_sel:WORD_1 src1_sel:DWORD
	s_movk_i32 s4, 0x7f
	v_cmp_lt_i16_e32 vcc, s4, v14
	s_mov_b64 s[4:5], 0
                                        ; implicit-def: $sgpr10
	s_and_saveexec_b64 s[6:7], vcc
	s_xor_b64 s[6:7], exec, s[6:7]
	s_cbranch_execnz .LBB32_2101
; %bb.53:
	s_or_saveexec_b64 s[6:7], s[6:7]
	v_mov_b32_e32 v20, s10
	s_xor_b64 exec, exec, s[6:7]
	s_cbranch_execnz .LBB32_2104
.LBB32_54:
	s_or_b64 exec, exec, s[6:7]
	s_and_saveexec_b64 s[6:7], s[4:5]
	s_cbranch_execz .LBB32_56
.LBB32_55:
	v_bfe_u32 v14, v11, 16, 3
	v_ffbh_u32_e32 v22, v14
	v_min_u32_e32 v22, 32, v22
	v_lshrrev_b32_e32 v20, 19, v11
	v_subrev_u32_e32 v23, 28, v22
	v_and_b32_e32 v20, 15, v20
	v_lshlrev_b32_sdwa v23, v23, v11 dst_sel:DWORD dst_unused:UNUSED_PAD src0_sel:DWORD src1_sel:WORD_1
	v_bfe_u32 v21, v11, 19, 4
	v_sub_u32_e32 v22, 29, v22
	v_and_b32_e32 v23, 7, v23
	v_cmp_eq_u16_e32 vcc, 0, v20
	v_cndmask_b32_e32 v14, v14, v23, vcc
	v_cndmask_b32_e32 v20, v21, v22, vcc
	v_lshlrev_b32_e32 v21, 8, v11
	v_mov_b32_e32 v22, 0x3b800000
	v_lshlrev_b32_e32 v14, 20, v14
	v_and_b32_e32 v21, 0x80000000, v21
	v_lshl_add_u32 v20, v20, 23, v22
	v_or3_b32 v20, v21, v20, v14
.LBB32_56:
	s_or_b64 exec, exec, s[6:7]
	s_nop 0
	v_mfma_f32_16x16x4f32 a[0:3], v10, v20, a[0:3]
	s_movk_i32 s4, 0x7f
	v_cmp_gt_i16_sdwa s[6:7], v15, s4 src0_sel:BYTE_3 src1_sel:DWORD
	s_mov_b64 s[4:5], 0
                                        ; implicit-def: $sgpr10
	s_and_saveexec_b64 s[8:9], s[6:7]
	s_xor_b64 s[6:7], exec, s[8:9]
	s_cbranch_execnz .LBB32_2105
; %bb.57:
	s_or_saveexec_b64 s[6:7], s[6:7]
	v_mov_b32_e32 v10, s10
	s_xor_b64 exec, exec, s[6:7]
	s_cbranch_execnz .LBB32_2108
.LBB32_58:
	s_or_b64 exec, exec, s[6:7]
	s_and_saveexec_b64 s[6:7], s[4:5]
	s_cbranch_execz .LBB32_60
.LBB32_59:
	v_bfe_u32 v10, v15, 24, 3
	v_ffbh_u32_e32 v22, v10
	v_min_u32_e32 v22, 32, v22
	v_lshrrev_b32_e32 v20, 27, v15
	v_subrev_u32_e32 v23, 28, v22
	v_and_b32_e32 v14, 0x80000000, v15
	v_and_b32_e32 v20, 15, v20
	v_bfe_u32 v21, v15, 27, 4
	v_lshlrev_b32_sdwa v15, v23, v15 dst_sel:DWORD dst_unused:UNUSED_PAD src0_sel:DWORD src1_sel:BYTE_3
	v_sub_u32_e32 v22, 29, v22
	v_and_b32_e32 v15, 7, v15
	v_cmp_eq_u16_e32 vcc, 0, v20
	v_cndmask_b32_e32 v10, v10, v15, vcc
	v_cndmask_b32_e32 v15, v21, v22, vcc
	v_mov_b32_e32 v20, 0x3b800000
	v_lshlrev_b32_e32 v10, 20, v10
	v_lshl_add_u32 v15, v15, 23, v20
	v_or3_b32 v10, v14, v15, v10
.LBB32_60:
	s_or_b64 exec, exec, s[6:7]
	s_movk_i32 s4, 0x7f
	v_cmp_gt_i16_sdwa s[6:7], v11, s4 src0_sel:BYTE_3 src1_sel:DWORD
	s_mov_b64 s[4:5], 0
                                        ; implicit-def: $sgpr10
	s_and_saveexec_b64 s[8:9], s[6:7]
	s_xor_b64 s[6:7], exec, s[8:9]
	s_cbranch_execnz .LBB32_2109
; %bb.61:
	s_or_saveexec_b64 s[6:7], s[6:7]
	v_mov_b32_e32 v14, s10
	s_xor_b64 exec, exec, s[6:7]
	s_cbranch_execnz .LBB32_2112
.LBB32_62:
	s_or_b64 exec, exec, s[6:7]
	s_and_saveexec_b64 s[6:7], s[4:5]
	s_cbranch_execz .LBB32_64
.LBB32_63:
	v_bfe_u32 v14, v11, 24, 3
	v_ffbh_u32_e32 v22, v14
	v_min_u32_e32 v22, 32, v22
	v_lshrrev_b32_e32 v20, 27, v11
	v_subrev_u32_e32 v23, 28, v22
	v_and_b32_e32 v15, 0x80000000, v11
	v_and_b32_e32 v20, 15, v20
	v_bfe_u32 v21, v11, 27, 4
	v_lshlrev_b32_sdwa v11, v23, v11 dst_sel:DWORD dst_unused:UNUSED_PAD src0_sel:DWORD src1_sel:BYTE_3
	v_sub_u32_e32 v22, 29, v22
	v_and_b32_e32 v11, 7, v11
	v_cmp_eq_u16_e32 vcc, 0, v20
	v_cndmask_b32_e32 v11, v14, v11, vcc
	v_cndmask_b32_e32 v14, v21, v22, vcc
	v_mov_b32_e32 v20, 0x3b800000
	v_lshlrev_b32_e32 v11, 20, v11
	v_lshl_add_u32 v14, v14, 23, v20
	v_or3_b32 v14, v15, v14, v11
.LBB32_64:
	s_or_b64 exec, exec, s[6:7]
	s_nop 0
	v_mfma_f32_16x16x4f32 a[0:3], v10, v14, a[0:3]
	s_movk_i32 s4, 0x7f
	v_cmp_gt_i16_sdwa s[6:7], v16, s4 src0_sel:BYTE_0 src1_sel:DWORD
	s_mov_b64 s[4:5], 0
                                        ; implicit-def: $sgpr10
	s_and_saveexec_b64 s[8:9], s[6:7]
	s_xor_b64 s[6:7], exec, s[8:9]
	s_cbranch_execnz .LBB32_2113
; %bb.65:
	s_or_saveexec_b64 s[6:7], s[6:7]
	v_mov_b32_e32 v10, s10
	s_xor_b64 exec, exec, s[6:7]
	s_cbranch_execnz .LBB32_2116
.LBB32_66:
	s_or_b64 exec, exec, s[6:7]
	s_and_saveexec_b64 s[6:7], s[4:5]
	s_cbranch_execz .LBB32_68
.LBB32_67:
	v_and_b32_e32 v10, 7, v16
	v_ffbh_u32_e32 v14, v10
	v_min_u32_e32 v14, 32, v14
	v_lshrrev_b16_e32 v11, 3, v16
	v_subrev_u32_e32 v15, 28, v14
	v_and_b32_e32 v11, 15, v11
	v_lshlrev_b32_e32 v15, v15, v16
	v_sub_u32_e32 v14, 29, v14
	v_and_b32_e32 v15, 7, v15
	v_cmp_eq_u16_e32 vcc, 0, v11
	v_cndmask_b32_e32 v10, v10, v15, vcc
	v_cndmask_b32_e32 v11, v11, v14, vcc
	v_lshlrev_b32_e32 v14, 24, v16
	v_mov_b32_e32 v15, 0x3b800000
	v_lshlrev_b32_e32 v10, 20, v10
	v_and_b32_e32 v14, 0x80000000, v14
	v_lshl_add_u32 v11, v11, 23, v15
	v_or3_b32 v10, v14, v11, v10
.LBB32_68:
	s_or_b64 exec, exec, s[6:7]
	s_movk_i32 s4, 0x7f
	v_cmp_gt_i16_sdwa s[6:7], v12, s4 src0_sel:BYTE_0 src1_sel:DWORD
	s_mov_b64 s[4:5], 0
                                        ; implicit-def: $sgpr10
	s_and_saveexec_b64 s[8:9], s[6:7]
	s_xor_b64 s[6:7], exec, s[8:9]
	s_cbranch_execnz .LBB32_2117
; %bb.69:
	s_or_saveexec_b64 s[6:7], s[6:7]
	v_mov_b32_e32 v11, s10
	s_xor_b64 exec, exec, s[6:7]
	s_cbranch_execnz .LBB32_2120
.LBB32_70:
	s_or_b64 exec, exec, s[6:7]
	s_and_saveexec_b64 s[6:7], s[4:5]
	s_cbranch_execz .LBB32_72
.LBB32_71:
	v_and_b32_e32 v11, 7, v12
	v_ffbh_u32_e32 v15, v11
	v_min_u32_e32 v15, 32, v15
	v_lshrrev_b16_e32 v14, 3, v12
	v_subrev_u32_e32 v20, 28, v15
	v_and_b32_e32 v14, 15, v14
	v_lshlrev_b32_e32 v20, v20, v12
	v_sub_u32_e32 v15, 29, v15
	v_and_b32_e32 v20, 7, v20
	v_cmp_eq_u16_e32 vcc, 0, v14
	v_cndmask_b32_e32 v11, v11, v20, vcc
	v_cndmask_b32_e32 v14, v14, v15, vcc
	v_lshlrev_b32_e32 v15, 24, v12
	v_mov_b32_e32 v20, 0x3b800000
	v_lshlrev_b32_e32 v11, 20, v11
	v_and_b32_e32 v15, 0x80000000, v15
	v_lshl_add_u32 v14, v14, 23, v20
	v_or3_b32 v11, v15, v14, v11
.LBB32_72:
	s_or_b64 exec, exec, s[6:7]
	s_nop 0
	v_mfma_f32_16x16x4f32 a[0:3], v10, v11, a[0:3]
	v_lshrrev_b32_e32 v11, 8, v16
	s_movk_i32 s4, 0x7f
	v_cmp_gt_i16_sdwa s[6:7], v11, s4 src0_sel:BYTE_0 src1_sel:DWORD
	s_mov_b64 s[4:5], 0
                                        ; implicit-def: $sgpr10
	s_and_saveexec_b64 s[8:9], s[6:7]
	s_xor_b64 s[6:7], exec, s[8:9]
	s_cbranch_execnz .LBB32_2121
; %bb.73:
	s_or_saveexec_b64 s[6:7], s[6:7]
	v_mov_b32_e32 v10, s10
	s_xor_b64 exec, exec, s[6:7]
	s_cbranch_execnz .LBB32_2124
.LBB32_74:
	s_or_b64 exec, exec, s[6:7]
	s_and_saveexec_b64 s[6:7], s[4:5]
	s_cbranch_execz .LBB32_76
.LBB32_75:
	v_bfe_u32 v10, v16, 8, 3
	v_ffbh_u32_e32 v15, v10
	v_min_u32_e32 v15, 32, v15
	v_lshrrev_b16_e32 v14, 3, v11
	v_subrev_u32_e32 v20, 28, v15
	v_and_b32_e32 v14, 15, v14
	v_lshlrev_b32_e32 v11, v20, v11
	v_sub_u32_e32 v15, 29, v15
	v_and_b32_e32 v11, 7, v11
	v_cmp_eq_u16_e32 vcc, 0, v14
	v_cndmask_b32_e32 v10, v10, v11, vcc
	v_cndmask_b32_e32 v11, v14, v15, vcc
	v_lshlrev_b32_e32 v14, 16, v16
	v_mov_b32_e32 v15, 0x3b800000
	v_lshlrev_b32_e32 v10, 20, v10
	v_and_b32_e32 v14, 0x80000000, v14
	v_lshl_add_u32 v11, v11, 23, v15
	v_or3_b32 v10, v14, v11, v10
.LBB32_76:
	s_or_b64 exec, exec, s[6:7]
	v_lshrrev_b32_e32 v11, 8, v12
	s_movk_i32 s4, 0x7f
	v_cmp_gt_i16_sdwa s[6:7], v11, s4 src0_sel:BYTE_0 src1_sel:DWORD
	s_mov_b64 s[4:5], 0
                                        ; implicit-def: $sgpr10
	s_and_saveexec_b64 s[8:9], s[6:7]
	s_xor_b64 s[6:7], exec, s[8:9]
	s_cbranch_execnz .LBB32_2125
; %bb.77:
	s_or_saveexec_b64 s[6:7], s[6:7]
	v_mov_b32_e32 v14, s10
	s_xor_b64 exec, exec, s[6:7]
	s_cbranch_execnz .LBB32_2128
.LBB32_78:
	s_or_b64 exec, exec, s[6:7]
	s_and_saveexec_b64 s[6:7], s[4:5]
	s_cbranch_execz .LBB32_80
.LBB32_79:
	v_bfe_u32 v14, v12, 8, 3
	v_ffbh_u32_e32 v20, v14
	v_min_u32_e32 v20, 32, v20
	v_lshrrev_b16_e32 v15, 3, v11
	v_subrev_u32_e32 v21, 28, v20
	v_and_b32_e32 v15, 15, v15
	v_lshlrev_b32_e32 v11, v21, v11
	v_sub_u32_e32 v20, 29, v20
	v_and_b32_e32 v11, 7, v11
	v_cmp_eq_u16_e32 vcc, 0, v15
	v_cndmask_b32_e32 v11, v14, v11, vcc
	v_cndmask_b32_e32 v14, v15, v20, vcc
	v_lshlrev_b32_e32 v15, 16, v12
	v_mov_b32_e32 v20, 0x3b800000
	v_lshlrev_b32_e32 v11, 20, v11
	v_and_b32_e32 v15, 0x80000000, v15
	v_lshl_add_u32 v14, v14, 23, v20
	v_or3_b32 v14, v15, v14, v11
.LBB32_80:
	s_or_b64 exec, exec, s[6:7]
	s_nop 0
	v_mfma_f32_16x16x4f32 a[0:3], v10, v14, a[0:3]
	s_movk_i32 s4, 0xff
	v_and_b32_sdwa v11, v16, s4 dst_sel:DWORD dst_unused:UNUSED_PAD src0_sel:WORD_1 src1_sel:DWORD
	s_movk_i32 s4, 0x7f
	v_cmp_lt_i16_e32 vcc, s4, v11
	s_mov_b64 s[4:5], 0
                                        ; implicit-def: $sgpr10
	s_and_saveexec_b64 s[6:7], vcc
	s_xor_b64 s[6:7], exec, s[6:7]
	s_cbranch_execnz .LBB32_2129
; %bb.81:
	s_or_saveexec_b64 s[6:7], s[6:7]
	v_mov_b32_e32 v10, s10
	s_xor_b64 exec, exec, s[6:7]
	s_cbranch_execnz .LBB32_2132
.LBB32_82:
	s_or_b64 exec, exec, s[6:7]
	s_and_saveexec_b64 s[6:7], s[4:5]
	s_cbranch_execz .LBB32_84
.LBB32_83:
	v_bfe_u32 v10, v16, 16, 3
	v_ffbh_u32_e32 v15, v10
	v_min_u32_e32 v15, 32, v15
	v_lshrrev_b32_e32 v11, 19, v16
	v_subrev_u32_e32 v20, 28, v15
	v_and_b32_e32 v11, 15, v11
	v_lshlrev_b32_sdwa v20, v20, v16 dst_sel:DWORD dst_unused:UNUSED_PAD src0_sel:DWORD src1_sel:WORD_1
	v_bfe_u32 v14, v16, 19, 4
	v_sub_u32_e32 v15, 29, v15
	v_and_b32_e32 v20, 7, v20
	v_cmp_eq_u16_e32 vcc, 0, v11
	v_cndmask_b32_e32 v10, v10, v20, vcc
	v_cndmask_b32_e32 v11, v14, v15, vcc
	v_lshlrev_b32_e32 v14, 8, v16
	v_mov_b32_e32 v15, 0x3b800000
	v_lshlrev_b32_e32 v10, 20, v10
	v_and_b32_e32 v14, 0x80000000, v14
	v_lshl_add_u32 v11, v11, 23, v15
	v_or3_b32 v10, v14, v11, v10
.LBB32_84:
	s_or_b64 exec, exec, s[6:7]
	s_movk_i32 s4, 0xff
	v_and_b32_sdwa v11, v12, s4 dst_sel:DWORD dst_unused:UNUSED_PAD src0_sel:WORD_1 src1_sel:DWORD
	s_movk_i32 s4, 0x7f
	v_cmp_lt_i16_e32 vcc, s4, v11
	s_mov_b64 s[4:5], 0
                                        ; implicit-def: $sgpr10
	s_and_saveexec_b64 s[6:7], vcc
	s_xor_b64 s[6:7], exec, s[6:7]
	s_cbranch_execnz .LBB32_2133
; %bb.85:
	s_or_saveexec_b64 s[6:7], s[6:7]
	v_mov_b32_e32 v14, s10
	s_xor_b64 exec, exec, s[6:7]
	s_cbranch_execnz .LBB32_2136
.LBB32_86:
	s_or_b64 exec, exec, s[6:7]
	s_and_saveexec_b64 s[6:7], s[4:5]
	s_cbranch_execz .LBB32_88
.LBB32_87:
	v_bfe_u32 v11, v12, 16, 3
	v_ffbh_u32_e32 v20, v11
	v_min_u32_e32 v20, 32, v20
	v_lshrrev_b32_e32 v14, 19, v12
	v_subrev_u32_e32 v21, 28, v20
	v_and_b32_e32 v14, 15, v14
	v_lshlrev_b32_sdwa v21, v21, v12 dst_sel:DWORD dst_unused:UNUSED_PAD src0_sel:DWORD src1_sel:WORD_1
	v_bfe_u32 v15, v12, 19, 4
	v_sub_u32_e32 v20, 29, v20
	v_and_b32_e32 v21, 7, v21
	v_cmp_eq_u16_e32 vcc, 0, v14
	v_cndmask_b32_e32 v11, v11, v21, vcc
	v_cndmask_b32_e32 v14, v15, v20, vcc
	v_lshlrev_b32_e32 v15, 8, v12
	v_mov_b32_e32 v20, 0x3b800000
	v_lshlrev_b32_e32 v11, 20, v11
	v_and_b32_e32 v15, 0x80000000, v15
	v_lshl_add_u32 v14, v14, 23, v20
	v_or3_b32 v14, v15, v14, v11
.LBB32_88:
	s_or_b64 exec, exec, s[6:7]
	s_nop 0
	v_mfma_f32_16x16x4f32 a[0:3], v10, v14, a[0:3]
	s_movk_i32 s4, 0x7f
	v_cmp_gt_i16_sdwa s[6:7], v16, s4 src0_sel:BYTE_3 src1_sel:DWORD
	s_mov_b64 s[4:5], 0
                                        ; implicit-def: $sgpr10
	s_and_saveexec_b64 s[8:9], s[6:7]
	s_xor_b64 s[6:7], exec, s[8:9]
	s_cbranch_execnz .LBB32_2137
; %bb.89:
	s_or_saveexec_b64 s[6:7], s[6:7]
	v_mov_b32_e32 v10, s10
	s_xor_b64 exec, exec, s[6:7]
	s_cbranch_execnz .LBB32_2140
.LBB32_90:
	s_or_b64 exec, exec, s[6:7]
	s_and_saveexec_b64 s[6:7], s[4:5]
	s_cbranch_execz .LBB32_92
.LBB32_91:
	v_bfe_u32 v10, v16, 24, 3
	v_ffbh_u32_e32 v20, v10
	v_min_u32_e32 v20, 32, v20
	v_lshrrev_b32_e32 v14, 27, v16
	v_subrev_u32_e32 v21, 28, v20
	v_and_b32_e32 v11, 0x80000000, v16
	v_and_b32_e32 v14, 15, v14
	v_bfe_u32 v15, v16, 27, 4
	v_lshlrev_b32_sdwa v16, v21, v16 dst_sel:DWORD dst_unused:UNUSED_PAD src0_sel:DWORD src1_sel:BYTE_3
	v_sub_u32_e32 v20, 29, v20
	v_and_b32_e32 v16, 7, v16
	v_cmp_eq_u16_e32 vcc, 0, v14
	v_cndmask_b32_e32 v10, v10, v16, vcc
	v_cndmask_b32_e32 v14, v15, v20, vcc
	v_mov_b32_e32 v15, 0x3b800000
	v_lshlrev_b32_e32 v10, 20, v10
	v_lshl_add_u32 v14, v14, 23, v15
	v_or3_b32 v10, v11, v14, v10
.LBB32_92:
	s_or_b64 exec, exec, s[6:7]
	s_movk_i32 s4, 0x7f
	v_cmp_gt_i16_sdwa s[6:7], v12, s4 src0_sel:BYTE_3 src1_sel:DWORD
	s_mov_b64 s[4:5], 0
                                        ; implicit-def: $sgpr10
	s_and_saveexec_b64 s[8:9], s[6:7]
	s_xor_b64 s[6:7], exec, s[8:9]
	s_cbranch_execnz .LBB32_2141
; %bb.93:
	s_or_saveexec_b64 s[6:7], s[6:7]
	v_mov_b32_e32 v11, s10
	s_xor_b64 exec, exec, s[6:7]
	s_cbranch_execnz .LBB32_2144
.LBB32_94:
	s_or_b64 exec, exec, s[6:7]
	s_and_saveexec_b64 s[6:7], s[4:5]
	s_cbranch_execz .LBB32_96
.LBB32_95:
	v_bfe_u32 v11, v12, 24, 3
	v_ffbh_u32_e32 v20, v11
	v_min_u32_e32 v20, 32, v20
	v_lshrrev_b32_e32 v15, 27, v12
	v_subrev_u32_e32 v21, 28, v20
	v_and_b32_e32 v14, 0x80000000, v12
	v_and_b32_e32 v15, 15, v15
	v_bfe_u32 v16, v12, 27, 4
	v_lshlrev_b32_sdwa v12, v21, v12 dst_sel:DWORD dst_unused:UNUSED_PAD src0_sel:DWORD src1_sel:BYTE_3
	v_sub_u32_e32 v20, 29, v20
	v_and_b32_e32 v12, 7, v12
	v_cmp_eq_u16_e32 vcc, 0, v15
	v_cndmask_b32_e32 v11, v11, v12, vcc
	v_cndmask_b32_e32 v12, v16, v20, vcc
	v_mov_b32_e32 v15, 0x3b800000
	v_lshlrev_b32_e32 v11, 20, v11
	v_lshl_add_u32 v12, v12, 23, v15
	v_or3_b32 v11, v14, v12, v11
.LBB32_96:
	s_or_b64 exec, exec, s[6:7]
	s_nop 0
	v_mfma_f32_16x16x4f32 a[0:3], v10, v11, a[0:3]
	s_movk_i32 s4, 0x7f
	v_cmp_gt_i16_sdwa s[6:7], v17, s4 src0_sel:BYTE_0 src1_sel:DWORD
	s_mov_b64 s[4:5], 0
                                        ; implicit-def: $sgpr10
	s_and_saveexec_b64 s[8:9], s[6:7]
	s_xor_b64 s[6:7], exec, s[8:9]
	s_cbranch_execnz .LBB32_2145
; %bb.97:
	s_or_saveexec_b64 s[6:7], s[6:7]
	v_mov_b32_e32 v10, s10
	s_xor_b64 exec, exec, s[6:7]
	s_cbranch_execnz .LBB32_2148
.LBB32_98:
	s_or_b64 exec, exec, s[6:7]
	s_and_saveexec_b64 s[6:7], s[4:5]
	s_cbranch_execz .LBB32_100
.LBB32_99:
	v_and_b32_e32 v10, 7, v17
	v_ffbh_u32_e32 v12, v10
	v_min_u32_e32 v12, 32, v12
	v_lshrrev_b16_e32 v11, 3, v17
	v_subrev_u32_e32 v14, 28, v12
	v_and_b32_e32 v11, 15, v11
	v_lshlrev_b32_e32 v14, v14, v17
	v_sub_u32_e32 v12, 29, v12
	v_and_b32_e32 v14, 7, v14
	v_cmp_eq_u16_e32 vcc, 0, v11
	v_cndmask_b32_e32 v10, v10, v14, vcc
	v_cndmask_b32_e32 v11, v11, v12, vcc
	v_lshlrev_b32_e32 v12, 24, v17
	v_mov_b32_e32 v14, 0x3b800000
	v_lshlrev_b32_e32 v10, 20, v10
	v_and_b32_e32 v12, 0x80000000, v12
	v_lshl_add_u32 v11, v11, 23, v14
	v_or3_b32 v10, v12, v11, v10
.LBB32_100:
	s_or_b64 exec, exec, s[6:7]
	s_movk_i32 s4, 0x7f
	v_cmp_gt_i16_sdwa s[6:7], v13, s4 src0_sel:BYTE_0 src1_sel:DWORD
	s_mov_b64 s[4:5], 0
                                        ; implicit-def: $sgpr10
	s_and_saveexec_b64 s[8:9], s[6:7]
	s_xor_b64 s[6:7], exec, s[8:9]
	s_cbranch_execnz .LBB32_2149
; %bb.101:
	s_or_saveexec_b64 s[6:7], s[6:7]
	v_mov_b32_e32 v11, s10
	s_xor_b64 exec, exec, s[6:7]
	s_cbranch_execnz .LBB32_2152
.LBB32_102:
	s_or_b64 exec, exec, s[6:7]
	s_and_saveexec_b64 s[6:7], s[4:5]
	s_cbranch_execz .LBB32_104
.LBB32_103:
	v_and_b32_e32 v11, 7, v13
	v_ffbh_u32_e32 v14, v11
	v_min_u32_e32 v14, 32, v14
	v_lshrrev_b16_e32 v12, 3, v13
	v_subrev_u32_e32 v15, 28, v14
	v_and_b32_e32 v12, 15, v12
	v_lshlrev_b32_e32 v15, v15, v13
	v_sub_u32_e32 v14, 29, v14
	v_and_b32_e32 v15, 7, v15
	v_cmp_eq_u16_e32 vcc, 0, v12
	v_cndmask_b32_e32 v11, v11, v15, vcc
	v_cndmask_b32_e32 v12, v12, v14, vcc
	v_lshlrev_b32_e32 v14, 24, v13
	v_mov_b32_e32 v15, 0x3b800000
	v_lshlrev_b32_e32 v11, 20, v11
	v_and_b32_e32 v14, 0x80000000, v14
	v_lshl_add_u32 v12, v12, 23, v15
	v_or3_b32 v11, v14, v12, v11
.LBB32_104:
	s_or_b64 exec, exec, s[6:7]
	s_nop 0
	v_mfma_f32_16x16x4f32 a[0:3], v10, v11, a[0:3]
	v_lshrrev_b32_e32 v11, 8, v17
	s_movk_i32 s4, 0x7f
	v_cmp_gt_i16_sdwa s[6:7], v11, s4 src0_sel:BYTE_0 src1_sel:DWORD
	s_mov_b64 s[4:5], 0
                                        ; implicit-def: $sgpr10
	s_and_saveexec_b64 s[8:9], s[6:7]
	s_xor_b64 s[6:7], exec, s[8:9]
	s_cbranch_execnz .LBB32_2153
; %bb.105:
	s_or_saveexec_b64 s[6:7], s[6:7]
	v_mov_b32_e32 v10, s10
	s_xor_b64 exec, exec, s[6:7]
	s_cbranch_execnz .LBB32_2156
.LBB32_106:
	s_or_b64 exec, exec, s[6:7]
	s_and_saveexec_b64 s[6:7], s[4:5]
	s_cbranch_execz .LBB32_108
.LBB32_107:
	v_bfe_u32 v10, v17, 8, 3
	v_ffbh_u32_e32 v14, v10
	v_min_u32_e32 v14, 32, v14
	v_lshrrev_b16_e32 v12, 3, v11
	v_subrev_u32_e32 v15, 28, v14
	v_and_b32_e32 v12, 15, v12
	v_lshlrev_b32_e32 v11, v15, v11
	v_sub_u32_e32 v14, 29, v14
	v_and_b32_e32 v11, 7, v11
	v_cmp_eq_u16_e32 vcc, 0, v12
	v_cndmask_b32_e32 v10, v10, v11, vcc
	v_cndmask_b32_e32 v11, v12, v14, vcc
	v_lshlrev_b32_e32 v12, 16, v17
	v_mov_b32_e32 v14, 0x3b800000
	v_lshlrev_b32_e32 v10, 20, v10
	v_and_b32_e32 v12, 0x80000000, v12
	v_lshl_add_u32 v11, v11, 23, v14
	v_or3_b32 v10, v12, v11, v10
.LBB32_108:
	s_or_b64 exec, exec, s[6:7]
	v_lshrrev_b32_e32 v11, 8, v13
	s_movk_i32 s4, 0x7f
	v_cmp_gt_i16_sdwa s[6:7], v11, s4 src0_sel:BYTE_0 src1_sel:DWORD
	s_mov_b64 s[4:5], 0
                                        ; implicit-def: $sgpr10
	s_and_saveexec_b64 s[8:9], s[6:7]
	s_xor_b64 s[6:7], exec, s[8:9]
	s_cbranch_execnz .LBB32_2157
; %bb.109:
	s_or_saveexec_b64 s[6:7], s[6:7]
	v_mov_b32_e32 v12, s10
	s_xor_b64 exec, exec, s[6:7]
	s_cbranch_execnz .LBB32_2160
.LBB32_110:
	s_or_b64 exec, exec, s[6:7]
	s_and_saveexec_b64 s[6:7], s[4:5]
	s_cbranch_execz .LBB32_112
.LBB32_111:
	v_bfe_u32 v12, v13, 8, 3
	v_ffbh_u32_e32 v15, v12
	v_min_u32_e32 v15, 32, v15
	v_lshrrev_b16_e32 v14, 3, v11
	v_subrev_u32_e32 v16, 28, v15
	v_and_b32_e32 v14, 15, v14
	v_lshlrev_b32_e32 v11, v16, v11
	v_sub_u32_e32 v15, 29, v15
	v_and_b32_e32 v11, 7, v11
	v_cmp_eq_u16_e32 vcc, 0, v14
	v_cndmask_b32_e32 v11, v12, v11, vcc
	v_cndmask_b32_e32 v12, v14, v15, vcc
	v_lshlrev_b32_e32 v14, 16, v13
	v_mov_b32_e32 v15, 0x3b800000
	v_lshlrev_b32_e32 v11, 20, v11
	v_and_b32_e32 v14, 0x80000000, v14
	v_lshl_add_u32 v12, v12, 23, v15
	v_or3_b32 v12, v14, v12, v11
.LBB32_112:
	s_or_b64 exec, exec, s[6:7]
	s_nop 0
	v_mfma_f32_16x16x4f32 a[0:3], v10, v12, a[0:3]
	s_movk_i32 s4, 0xff
	v_and_b32_sdwa v11, v17, s4 dst_sel:DWORD dst_unused:UNUSED_PAD src0_sel:WORD_1 src1_sel:DWORD
	s_movk_i32 s4, 0x7f
	v_cmp_lt_i16_e32 vcc, s4, v11
	s_mov_b64 s[4:5], 0
                                        ; implicit-def: $sgpr10
	s_and_saveexec_b64 s[6:7], vcc
	s_xor_b64 s[6:7], exec, s[6:7]
	s_cbranch_execnz .LBB32_2161
; %bb.113:
	s_or_saveexec_b64 s[6:7], s[6:7]
	v_mov_b32_e32 v10, s10
	s_xor_b64 exec, exec, s[6:7]
	s_cbranch_execnz .LBB32_2164
.LBB32_114:
	s_or_b64 exec, exec, s[6:7]
	s_and_saveexec_b64 s[6:7], s[4:5]
	s_cbranch_execz .LBB32_116
.LBB32_115:
	v_bfe_u32 v10, v17, 16, 3
	v_ffbh_u32_e32 v14, v10
	v_min_u32_e32 v14, 32, v14
	v_lshrrev_b32_e32 v11, 19, v17
	v_subrev_u32_e32 v15, 28, v14
	v_and_b32_e32 v11, 15, v11
	v_lshlrev_b32_sdwa v15, v15, v17 dst_sel:DWORD dst_unused:UNUSED_PAD src0_sel:DWORD src1_sel:WORD_1
	v_bfe_u32 v12, v17, 19, 4
	v_sub_u32_e32 v14, 29, v14
	v_and_b32_e32 v15, 7, v15
	v_cmp_eq_u16_e32 vcc, 0, v11
	v_cndmask_b32_e32 v10, v10, v15, vcc
	v_cndmask_b32_e32 v11, v12, v14, vcc
	v_lshlrev_b32_e32 v12, 8, v17
	v_mov_b32_e32 v14, 0x3b800000
	v_lshlrev_b32_e32 v10, 20, v10
	v_and_b32_e32 v12, 0x80000000, v12
	v_lshl_add_u32 v11, v11, 23, v14
	v_or3_b32 v10, v12, v11, v10
.LBB32_116:
	s_or_b64 exec, exec, s[6:7]
	s_movk_i32 s4, 0xff
	v_and_b32_sdwa v11, v13, s4 dst_sel:DWORD dst_unused:UNUSED_PAD src0_sel:WORD_1 src1_sel:DWORD
	s_movk_i32 s4, 0x7f
	v_cmp_lt_i16_e32 vcc, s4, v11
	s_mov_b64 s[4:5], 0
                                        ; implicit-def: $sgpr10
	s_and_saveexec_b64 s[6:7], vcc
	s_xor_b64 s[6:7], exec, s[6:7]
	s_cbranch_execnz .LBB32_2165
; %bb.117:
	s_or_saveexec_b64 s[6:7], s[6:7]
	v_mov_b32_e32 v12, s10
	s_xor_b64 exec, exec, s[6:7]
	s_cbranch_execnz .LBB32_2168
.LBB32_118:
	s_or_b64 exec, exec, s[6:7]
	s_and_saveexec_b64 s[6:7], s[4:5]
	s_cbranch_execz .LBB32_120
.LBB32_119:
	v_bfe_u32 v11, v13, 16, 3
	v_ffbh_u32_e32 v15, v11
	v_min_u32_e32 v15, 32, v15
	v_lshrrev_b32_e32 v12, 19, v13
	v_subrev_u32_e32 v16, 28, v15
	v_and_b32_e32 v12, 15, v12
	v_lshlrev_b32_sdwa v16, v16, v13 dst_sel:DWORD dst_unused:UNUSED_PAD src0_sel:DWORD src1_sel:WORD_1
	v_bfe_u32 v14, v13, 19, 4
	v_sub_u32_e32 v15, 29, v15
	v_and_b32_e32 v16, 7, v16
	v_cmp_eq_u16_e32 vcc, 0, v12
	v_cndmask_b32_e32 v11, v11, v16, vcc
	v_cndmask_b32_e32 v12, v14, v15, vcc
	v_lshlrev_b32_e32 v14, 8, v13
	v_mov_b32_e32 v15, 0x3b800000
	v_lshlrev_b32_e32 v11, 20, v11
	v_and_b32_e32 v14, 0x80000000, v14
	v_lshl_add_u32 v12, v12, 23, v15
	v_or3_b32 v12, v14, v12, v11
.LBB32_120:
	s_or_b64 exec, exec, s[6:7]
	s_nop 0
	v_mfma_f32_16x16x4f32 a[0:3], v10, v12, a[0:3]
	s_movk_i32 s4, 0x7f
	v_cmp_gt_i16_sdwa s[6:7], v17, s4 src0_sel:BYTE_3 src1_sel:DWORD
	s_mov_b64 s[4:5], 0
                                        ; implicit-def: $sgpr10
	s_and_saveexec_b64 s[8:9], s[6:7]
	s_xor_b64 s[6:7], exec, s[8:9]
	s_cbranch_execnz .LBB32_2169
; %bb.121:
	s_or_saveexec_b64 s[6:7], s[6:7]
	v_mov_b32_e32 v10, s10
	s_xor_b64 exec, exec, s[6:7]
	s_cbranch_execnz .LBB32_2172
.LBB32_122:
	s_or_b64 exec, exec, s[6:7]
	s_and_saveexec_b64 s[6:7], s[4:5]
	s_cbranch_execz .LBB32_124
.LBB32_123:
	v_bfe_u32 v10, v17, 24, 3
	v_ffbh_u32_e32 v15, v10
	v_min_u32_e32 v15, 32, v15
	v_lshrrev_b32_e32 v12, 27, v17
	v_subrev_u32_e32 v16, 28, v15
	v_and_b32_e32 v12, 15, v12
	v_lshlrev_b32_sdwa v16, v16, v17 dst_sel:DWORD dst_unused:UNUSED_PAD src0_sel:DWORD src1_sel:BYTE_3
	v_bfe_u32 v14, v17, 27, 4
	v_sub_u32_e32 v15, 29, v15
	v_and_b32_e32 v16, 7, v16
	v_cmp_eq_u16_e32 vcc, 0, v12
	v_cndmask_b32_e32 v10, v10, v16, vcc
	v_cndmask_b32_e32 v12, v14, v15, vcc
	v_mov_b32_e32 v14, 0x3b800000
	v_and_b32_e32 v11, 0x80000000, v17
	v_lshlrev_b32_e32 v10, 20, v10
	v_lshl_add_u32 v12, v12, 23, v14
	v_or3_b32 v10, v11, v12, v10
.LBB32_124:
	s_or_b64 exec, exec, s[6:7]
	s_movk_i32 s4, 0x7f
	v_cmp_gt_i16_sdwa s[6:7], v13, s4 src0_sel:BYTE_3 src1_sel:DWORD
	s_mov_b64 s[4:5], 0
                                        ; implicit-def: $sgpr10
	s_and_saveexec_b64 s[8:9], s[6:7]
	s_xor_b64 s[6:7], exec, s[8:9]
	s_cbranch_execnz .LBB32_2173
; %bb.125:
	s_or_saveexec_b64 s[6:7], s[6:7]
	v_mov_b32_e32 v11, s10
	s_xor_b64 exec, exec, s[6:7]
	s_cbranch_execnz .LBB32_2176
.LBB32_126:
	s_or_b64 exec, exec, s[6:7]
	s_and_saveexec_b64 s[6:7], s[4:5]
	s_cbranch_execz .LBB32_128
.LBB32_127:
	v_bfe_u32 v11, v13, 24, 3
	v_ffbh_u32_e32 v16, v11
	v_min_u32_e32 v16, 32, v16
	v_lshrrev_b32_e32 v14, 27, v13
	v_subrev_u32_e32 v17, 28, v16
	v_and_b32_e32 v12, 0x80000000, v13
	v_and_b32_e32 v14, 15, v14
	v_bfe_u32 v15, v13, 27, 4
	v_lshlrev_b32_sdwa v13, v17, v13 dst_sel:DWORD dst_unused:UNUSED_PAD src0_sel:DWORD src1_sel:BYTE_3
	v_sub_u32_e32 v16, 29, v16
	v_and_b32_e32 v13, 7, v13
	v_cmp_eq_u16_e32 vcc, 0, v14
	v_cndmask_b32_e32 v11, v11, v13, vcc
	v_cndmask_b32_e32 v13, v15, v16, vcc
	v_mov_b32_e32 v14, 0x3b800000
	v_lshlrev_b32_e32 v11, 20, v11
	v_lshl_add_u32 v13, v13, 23, v14
	v_or3_b32 v11, v12, v13, v11
.LBB32_128:
	s_or_b64 exec, exec, s[6:7]
	s_nop 0
	v_mfma_f32_16x16x4f32 a[0:3], v10, v11, a[0:3]
	s_movk_i32 s4, 0x7f
	v_cmp_gt_i16_sdwa s[6:7], v6, s4 src0_sel:BYTE_0 src1_sel:DWORD
	s_mov_b64 s[4:5], 0
                                        ; implicit-def: $sgpr10
	s_and_saveexec_b64 s[8:9], s[6:7]
	s_xor_b64 s[6:7], exec, s[8:9]
	s_cbranch_execnz .LBB32_2177
; %bb.129:
	s_or_saveexec_b64 s[6:7], s[6:7]
	v_mov_b32_e32 v10, s10
	s_xor_b64 exec, exec, s[6:7]
	s_cbranch_execnz .LBB32_2180
.LBB32_130:
	s_or_b64 exec, exec, s[6:7]
	s_and_saveexec_b64 s[6:7], s[4:5]
	s_cbranch_execz .LBB32_132
.LBB32_131:
	v_and_b32_e32 v10, 7, v6
	v_ffbh_u32_e32 v12, v10
	v_min_u32_e32 v12, 32, v12
	v_lshrrev_b16_e32 v11, 3, v6
	v_subrev_u32_e32 v13, 28, v12
	v_and_b32_e32 v11, 15, v11
	v_lshlrev_b32_e32 v13, v13, v6
	v_sub_u32_e32 v12, 29, v12
	v_and_b32_e32 v13, 7, v13
	v_cmp_eq_u16_e32 vcc, 0, v11
	v_cndmask_b32_e32 v10, v10, v13, vcc
	v_cndmask_b32_e32 v11, v11, v12, vcc
	v_lshlrev_b32_e32 v12, 24, v6
	v_mov_b32_e32 v13, 0x3b800000
	v_lshlrev_b32_e32 v10, 20, v10
	v_and_b32_e32 v12, 0x80000000, v12
	v_lshl_add_u32 v11, v11, 23, v13
	v_or3_b32 v10, v12, v11, v10
.LBB32_132:
	s_or_b64 exec, exec, s[6:7]
	s_movk_i32 s4, 0x7f
	v_cmp_gt_i16_sdwa s[6:7], v2, s4 src0_sel:BYTE_0 src1_sel:DWORD
	s_mov_b64 s[4:5], 0
                                        ; implicit-def: $sgpr10
	s_and_saveexec_b64 s[8:9], s[6:7]
	s_xor_b64 s[6:7], exec, s[8:9]
	s_cbranch_execnz .LBB32_2181
; %bb.133:
	s_or_saveexec_b64 s[6:7], s[6:7]
	v_mov_b32_e32 v11, s10
	s_xor_b64 exec, exec, s[6:7]
	s_cbranch_execnz .LBB32_2184
.LBB32_134:
	s_or_b64 exec, exec, s[6:7]
	s_and_saveexec_b64 s[6:7], s[4:5]
	s_cbranch_execz .LBB32_136
.LBB32_135:
	v_and_b32_e32 v11, 7, v2
	v_ffbh_u32_e32 v13, v11
	v_min_u32_e32 v13, 32, v13
	v_lshrrev_b16_e32 v12, 3, v2
	v_subrev_u32_e32 v14, 28, v13
	v_and_b32_e32 v12, 15, v12
	v_lshlrev_b32_e32 v14, v14, v2
	v_sub_u32_e32 v13, 29, v13
	v_and_b32_e32 v14, 7, v14
	v_cmp_eq_u16_e32 vcc, 0, v12
	v_cndmask_b32_e32 v11, v11, v14, vcc
	v_cndmask_b32_e32 v12, v12, v13, vcc
	v_lshlrev_b32_e32 v13, 24, v2
	v_mov_b32_e32 v14, 0x3b800000
	v_lshlrev_b32_e32 v11, 20, v11
	v_and_b32_e32 v13, 0x80000000, v13
	v_lshl_add_u32 v12, v12, 23, v14
	v_or3_b32 v11, v13, v12, v11
.LBB32_136:
	s_or_b64 exec, exec, s[6:7]
	s_nop 0
	v_mfma_f32_16x16x4f32 a[0:3], v10, v11, a[0:3]
	v_lshrrev_b32_e32 v11, 8, v6
	s_movk_i32 s4, 0x7f
	v_cmp_gt_i16_sdwa s[6:7], v11, s4 src0_sel:BYTE_0 src1_sel:DWORD
	s_mov_b64 s[4:5], 0
                                        ; implicit-def: $sgpr10
	s_and_saveexec_b64 s[8:9], s[6:7]
	s_xor_b64 s[6:7], exec, s[8:9]
	s_cbranch_execnz .LBB32_2185
; %bb.137:
	s_or_saveexec_b64 s[6:7], s[6:7]
	v_mov_b32_e32 v10, s10
	s_xor_b64 exec, exec, s[6:7]
	s_cbranch_execnz .LBB32_2188
.LBB32_138:
	s_or_b64 exec, exec, s[6:7]
	s_and_saveexec_b64 s[6:7], s[4:5]
	s_cbranch_execz .LBB32_140
.LBB32_139:
	v_bfe_u32 v10, v6, 8, 3
	v_ffbh_u32_e32 v13, v10
	v_min_u32_e32 v13, 32, v13
	v_lshrrev_b16_e32 v12, 3, v11
	v_subrev_u32_e32 v14, 28, v13
	v_and_b32_e32 v12, 15, v12
	v_lshlrev_b32_e32 v11, v14, v11
	v_sub_u32_e32 v13, 29, v13
	v_and_b32_e32 v11, 7, v11
	v_cmp_eq_u16_e32 vcc, 0, v12
	v_cndmask_b32_e32 v10, v10, v11, vcc
	v_cndmask_b32_e32 v11, v12, v13, vcc
	v_lshlrev_b32_e32 v12, 16, v6
	v_mov_b32_e32 v13, 0x3b800000
	v_lshlrev_b32_e32 v10, 20, v10
	v_and_b32_e32 v12, 0x80000000, v12
	v_lshl_add_u32 v11, v11, 23, v13
	v_or3_b32 v10, v12, v11, v10
.LBB32_140:
	s_or_b64 exec, exec, s[6:7]
	v_lshrrev_b32_e32 v11, 8, v2
	s_movk_i32 s4, 0x7f
	v_cmp_gt_i16_sdwa s[6:7], v11, s4 src0_sel:BYTE_0 src1_sel:DWORD
	s_mov_b64 s[4:5], 0
                                        ; implicit-def: $sgpr10
	s_and_saveexec_b64 s[8:9], s[6:7]
	s_xor_b64 s[6:7], exec, s[8:9]
	s_cbranch_execnz .LBB32_2189
; %bb.141:
	s_or_saveexec_b64 s[6:7], s[6:7]
	v_mov_b32_e32 v12, s10
	s_xor_b64 exec, exec, s[6:7]
	s_cbranch_execnz .LBB32_2192
.LBB32_142:
	s_or_b64 exec, exec, s[6:7]
	s_and_saveexec_b64 s[6:7], s[4:5]
	s_cbranch_execz .LBB32_144
.LBB32_143:
	v_bfe_u32 v12, v2, 8, 3
	v_ffbh_u32_e32 v14, v12
	v_min_u32_e32 v14, 32, v14
	v_lshrrev_b16_e32 v13, 3, v11
	v_subrev_u32_e32 v15, 28, v14
	v_and_b32_e32 v13, 15, v13
	v_lshlrev_b32_e32 v11, v15, v11
	v_sub_u32_e32 v14, 29, v14
	v_and_b32_e32 v11, 7, v11
	v_cmp_eq_u16_e32 vcc, 0, v13
	v_cndmask_b32_e32 v11, v12, v11, vcc
	v_cndmask_b32_e32 v12, v13, v14, vcc
	v_lshlrev_b32_e32 v13, 16, v2
	v_mov_b32_e32 v14, 0x3b800000
	v_lshlrev_b32_e32 v11, 20, v11
	v_and_b32_e32 v13, 0x80000000, v13
	v_lshl_add_u32 v12, v12, 23, v14
	v_or3_b32 v12, v13, v12, v11
.LBB32_144:
	s_or_b64 exec, exec, s[6:7]
	s_nop 0
	v_mfma_f32_16x16x4f32 a[0:3], v10, v12, a[0:3]
	s_movk_i32 s4, 0xff
	v_and_b32_sdwa v11, v6, s4 dst_sel:DWORD dst_unused:UNUSED_PAD src0_sel:WORD_1 src1_sel:DWORD
	s_movk_i32 s4, 0x7f
	v_cmp_lt_i16_e32 vcc, s4, v11
	s_mov_b64 s[4:5], 0
                                        ; implicit-def: $sgpr10
	s_and_saveexec_b64 s[6:7], vcc
	s_xor_b64 s[6:7], exec, s[6:7]
	s_cbranch_execnz .LBB32_2193
; %bb.145:
	s_or_saveexec_b64 s[6:7], s[6:7]
	v_mov_b32_e32 v10, s10
	s_xor_b64 exec, exec, s[6:7]
	s_cbranch_execnz .LBB32_2196
.LBB32_146:
	s_or_b64 exec, exec, s[6:7]
	s_and_saveexec_b64 s[6:7], s[4:5]
	s_cbranch_execz .LBB32_148
.LBB32_147:
	v_bfe_u32 v10, v6, 16, 3
	v_ffbh_u32_e32 v13, v10
	v_min_u32_e32 v13, 32, v13
	v_lshrrev_b32_e32 v11, 19, v6
	v_subrev_u32_e32 v14, 28, v13
	v_and_b32_e32 v11, 15, v11
	v_lshlrev_b32_sdwa v14, v14, v6 dst_sel:DWORD dst_unused:UNUSED_PAD src0_sel:DWORD src1_sel:WORD_1
	v_bfe_u32 v12, v6, 19, 4
	v_sub_u32_e32 v13, 29, v13
	v_and_b32_e32 v14, 7, v14
	v_cmp_eq_u16_e32 vcc, 0, v11
	v_cndmask_b32_e32 v10, v10, v14, vcc
	v_cndmask_b32_e32 v11, v12, v13, vcc
	v_lshlrev_b32_e32 v12, 8, v6
	v_mov_b32_e32 v13, 0x3b800000
	v_lshlrev_b32_e32 v10, 20, v10
	v_and_b32_e32 v12, 0x80000000, v12
	v_lshl_add_u32 v11, v11, 23, v13
	v_or3_b32 v10, v12, v11, v10
.LBB32_148:
	s_or_b64 exec, exec, s[6:7]
	s_movk_i32 s4, 0xff
	v_and_b32_sdwa v11, v2, s4 dst_sel:DWORD dst_unused:UNUSED_PAD src0_sel:WORD_1 src1_sel:DWORD
	s_movk_i32 s4, 0x7f
	v_cmp_lt_i16_e32 vcc, s4, v11
	s_mov_b64 s[4:5], 0
                                        ; implicit-def: $sgpr10
	s_and_saveexec_b64 s[6:7], vcc
	s_xor_b64 s[6:7], exec, s[6:7]
	s_cbranch_execnz .LBB32_2197
; %bb.149:
	s_or_saveexec_b64 s[6:7], s[6:7]
	v_mov_b32_e32 v12, s10
	s_xor_b64 exec, exec, s[6:7]
	s_cbranch_execnz .LBB32_2200
.LBB32_150:
	s_or_b64 exec, exec, s[6:7]
	s_and_saveexec_b64 s[6:7], s[4:5]
	s_cbranch_execz .LBB32_152
.LBB32_151:
	v_bfe_u32 v11, v2, 16, 3
	v_ffbh_u32_e32 v14, v11
	v_min_u32_e32 v14, 32, v14
	v_lshrrev_b32_e32 v12, 19, v2
	v_subrev_u32_e32 v15, 28, v14
	v_and_b32_e32 v12, 15, v12
	v_lshlrev_b32_sdwa v15, v15, v2 dst_sel:DWORD dst_unused:UNUSED_PAD src0_sel:DWORD src1_sel:WORD_1
	v_bfe_u32 v13, v2, 19, 4
	v_sub_u32_e32 v14, 29, v14
	v_and_b32_e32 v15, 7, v15
	v_cmp_eq_u16_e32 vcc, 0, v12
	v_cndmask_b32_e32 v11, v11, v15, vcc
	v_cndmask_b32_e32 v12, v13, v14, vcc
	v_lshlrev_b32_e32 v13, 8, v2
	v_mov_b32_e32 v14, 0x3b800000
	v_lshlrev_b32_e32 v11, 20, v11
	v_and_b32_e32 v13, 0x80000000, v13
	v_lshl_add_u32 v12, v12, 23, v14
	v_or3_b32 v12, v13, v12, v11
.LBB32_152:
	s_or_b64 exec, exec, s[6:7]
	s_nop 0
	v_mfma_f32_16x16x4f32 a[0:3], v10, v12, a[0:3]
	s_movk_i32 s4, 0x7f
	v_cmp_gt_i16_sdwa s[6:7], v6, s4 src0_sel:BYTE_3 src1_sel:DWORD
	s_mov_b64 s[4:5], 0
                                        ; implicit-def: $sgpr10
	s_and_saveexec_b64 s[8:9], s[6:7]
	s_xor_b64 s[6:7], exec, s[8:9]
	s_cbranch_execnz .LBB32_2201
; %bb.153:
	s_or_saveexec_b64 s[6:7], s[6:7]
	v_mov_b32_e32 v10, s10
	s_xor_b64 exec, exec, s[6:7]
	s_cbranch_execnz .LBB32_2204
.LBB32_154:
	s_or_b64 exec, exec, s[6:7]
	s_and_saveexec_b64 s[6:7], s[4:5]
	s_cbranch_execz .LBB32_156
.LBB32_155:
	v_bfe_u32 v10, v6, 24, 3
	v_ffbh_u32_e32 v14, v10
	v_min_u32_e32 v14, 32, v14
	v_lshrrev_b32_e32 v12, 27, v6
	v_subrev_u32_e32 v15, 28, v14
	v_and_b32_e32 v11, 0x80000000, v6
	v_and_b32_e32 v12, 15, v12
	v_bfe_u32 v13, v6, 27, 4
	v_lshlrev_b32_sdwa v6, v15, v6 dst_sel:DWORD dst_unused:UNUSED_PAD src0_sel:DWORD src1_sel:BYTE_3
	v_sub_u32_e32 v14, 29, v14
	v_and_b32_e32 v6, 7, v6
	v_cmp_eq_u16_e32 vcc, 0, v12
	v_cndmask_b32_e32 v6, v10, v6, vcc
	v_cndmask_b32_e32 v10, v13, v14, vcc
	v_mov_b32_e32 v12, 0x3b800000
	v_lshlrev_b32_e32 v6, 20, v6
	v_lshl_add_u32 v10, v10, 23, v12
	v_or3_b32 v10, v11, v10, v6
.LBB32_156:
	s_or_b64 exec, exec, s[6:7]
	s_movk_i32 s4, 0x7f
	v_cmp_gt_i16_sdwa s[6:7], v2, s4 src0_sel:BYTE_3 src1_sel:DWORD
	s_mov_b64 s[4:5], 0
                                        ; implicit-def: $sgpr10
	s_and_saveexec_b64 s[8:9], s[6:7]
	s_xor_b64 s[6:7], exec, s[8:9]
	s_cbranch_execnz .LBB32_2205
; %bb.157:
	s_or_saveexec_b64 s[6:7], s[6:7]
	v_mov_b32_e32 v6, s10
	s_xor_b64 exec, exec, s[6:7]
	s_cbranch_execnz .LBB32_2208
.LBB32_158:
	s_or_b64 exec, exec, s[6:7]
	s_and_saveexec_b64 s[6:7], s[4:5]
	s_cbranch_execz .LBB32_160
.LBB32_159:
	v_bfe_u32 v6, v2, 24, 3
	v_ffbh_u32_e32 v14, v6
	v_min_u32_e32 v14, 32, v14
	v_lshrrev_b32_e32 v12, 27, v2
	v_subrev_u32_e32 v15, 28, v14
	v_and_b32_e32 v11, 0x80000000, v2
	v_and_b32_e32 v12, 15, v12
	v_bfe_u32 v13, v2, 27, 4
	v_lshlrev_b32_sdwa v2, v15, v2 dst_sel:DWORD dst_unused:UNUSED_PAD src0_sel:DWORD src1_sel:BYTE_3
	v_sub_u32_e32 v14, 29, v14
	v_and_b32_e32 v2, 7, v2
	v_cmp_eq_u16_e32 vcc, 0, v12
	v_cndmask_b32_e32 v2, v6, v2, vcc
	v_cndmask_b32_e32 v6, v13, v14, vcc
	v_mov_b32_e32 v12, 0x3b800000
	v_lshlrev_b32_e32 v2, 20, v2
	v_lshl_add_u32 v6, v6, 23, v12
	v_or3_b32 v6, v11, v6, v2
.LBB32_160:
	s_or_b64 exec, exec, s[6:7]
	s_nop 0
	v_mfma_f32_16x16x4f32 a[0:3], v10, v6, a[0:3]
	s_movk_i32 s4, 0x7f
	v_cmp_gt_i16_sdwa s[6:7], v7, s4 src0_sel:BYTE_0 src1_sel:DWORD
	s_mov_b64 s[4:5], 0
                                        ; implicit-def: $sgpr10
	s_and_saveexec_b64 s[8:9], s[6:7]
	s_xor_b64 s[6:7], exec, s[8:9]
	s_cbranch_execnz .LBB32_2209
; %bb.161:
	s_or_saveexec_b64 s[6:7], s[6:7]
	v_mov_b32_e32 v2, s10
	s_xor_b64 exec, exec, s[6:7]
	s_cbranch_execnz .LBB32_2212
.LBB32_162:
	s_or_b64 exec, exec, s[6:7]
	s_and_saveexec_b64 s[6:7], s[4:5]
	s_cbranch_execz .LBB32_164
.LBB32_163:
	v_and_b32_e32 v2, 7, v7
	v_ffbh_u32_e32 v10, v2
	v_min_u32_e32 v10, 32, v10
	v_lshrrev_b16_e32 v6, 3, v7
	v_subrev_u32_e32 v11, 28, v10
	v_and_b32_e32 v6, 15, v6
	v_lshlrev_b32_e32 v11, v11, v7
	v_sub_u32_e32 v10, 29, v10
	v_and_b32_e32 v11, 7, v11
	v_cmp_eq_u16_e32 vcc, 0, v6
	v_cndmask_b32_e32 v2, v2, v11, vcc
	v_cndmask_b32_e32 v6, v6, v10, vcc
	v_lshlrev_b32_e32 v10, 24, v7
	v_mov_b32_e32 v11, 0x3b800000
	v_lshlrev_b32_e32 v2, 20, v2
	v_and_b32_e32 v10, 0x80000000, v10
	v_lshl_add_u32 v6, v6, 23, v11
	v_or3_b32 v2, v10, v6, v2
.LBB32_164:
	s_or_b64 exec, exec, s[6:7]
	s_movk_i32 s4, 0x7f
	v_cmp_gt_i16_sdwa s[6:7], v3, s4 src0_sel:BYTE_0 src1_sel:DWORD
	s_mov_b64 s[4:5], 0
                                        ; implicit-def: $sgpr10
	s_and_saveexec_b64 s[8:9], s[6:7]
	s_xor_b64 s[6:7], exec, s[8:9]
	s_cbranch_execnz .LBB32_2213
; %bb.165:
	s_or_saveexec_b64 s[6:7], s[6:7]
	v_mov_b32_e32 v6, s10
	s_xor_b64 exec, exec, s[6:7]
	s_cbranch_execnz .LBB32_2216
.LBB32_166:
	s_or_b64 exec, exec, s[6:7]
	s_and_saveexec_b64 s[6:7], s[4:5]
	s_cbranch_execz .LBB32_168
.LBB32_167:
	v_and_b32_e32 v6, 7, v3
	v_ffbh_u32_e32 v11, v6
	v_min_u32_e32 v11, 32, v11
	v_lshrrev_b16_e32 v10, 3, v3
	v_subrev_u32_e32 v12, 28, v11
	v_and_b32_e32 v10, 15, v10
	v_lshlrev_b32_e32 v12, v12, v3
	v_sub_u32_e32 v11, 29, v11
	v_and_b32_e32 v12, 7, v12
	v_cmp_eq_u16_e32 vcc, 0, v10
	v_cndmask_b32_e32 v6, v6, v12, vcc
	v_cndmask_b32_e32 v10, v10, v11, vcc
	v_lshlrev_b32_e32 v11, 24, v3
	v_mov_b32_e32 v12, 0x3b800000
	v_lshlrev_b32_e32 v6, 20, v6
	v_and_b32_e32 v11, 0x80000000, v11
	v_lshl_add_u32 v10, v10, 23, v12
	v_or3_b32 v6, v11, v10, v6
.LBB32_168:
	s_or_b64 exec, exec, s[6:7]
	s_nop 0
	v_mfma_f32_16x16x4f32 a[0:3], v2, v6, a[0:3]
	v_lshrrev_b32_e32 v6, 8, v7
	s_movk_i32 s4, 0x7f
	v_cmp_gt_i16_sdwa s[6:7], v6, s4 src0_sel:BYTE_0 src1_sel:DWORD
	s_mov_b64 s[4:5], 0
                                        ; implicit-def: $sgpr10
	s_and_saveexec_b64 s[8:9], s[6:7]
	s_xor_b64 s[6:7], exec, s[8:9]
	s_cbranch_execnz .LBB32_2217
; %bb.169:
	s_or_saveexec_b64 s[6:7], s[6:7]
	v_mov_b32_e32 v2, s10
	s_xor_b64 exec, exec, s[6:7]
	s_cbranch_execnz .LBB32_2220
.LBB32_170:
	s_or_b64 exec, exec, s[6:7]
	s_and_saveexec_b64 s[6:7], s[4:5]
	s_cbranch_execz .LBB32_172
.LBB32_171:
	v_bfe_u32 v2, v7, 8, 3
	v_ffbh_u32_e32 v11, v2
	v_min_u32_e32 v11, 32, v11
	v_lshrrev_b16_e32 v10, 3, v6
	v_subrev_u32_e32 v12, 28, v11
	v_and_b32_e32 v10, 15, v10
	v_lshlrev_b32_e32 v6, v12, v6
	v_sub_u32_e32 v11, 29, v11
	v_and_b32_e32 v6, 7, v6
	v_cmp_eq_u16_e32 vcc, 0, v10
	v_cndmask_b32_e32 v2, v2, v6, vcc
	v_cndmask_b32_e32 v6, v10, v11, vcc
	v_lshlrev_b32_e32 v10, 16, v7
	v_mov_b32_e32 v11, 0x3b800000
	v_lshlrev_b32_e32 v2, 20, v2
	v_and_b32_e32 v10, 0x80000000, v10
	v_lshl_add_u32 v6, v6, 23, v11
	v_or3_b32 v2, v10, v6, v2
.LBB32_172:
	s_or_b64 exec, exec, s[6:7]
	v_lshrrev_b32_e32 v6, 8, v3
	s_movk_i32 s4, 0x7f
	v_cmp_gt_i16_sdwa s[6:7], v6, s4 src0_sel:BYTE_0 src1_sel:DWORD
	s_mov_b64 s[4:5], 0
                                        ; implicit-def: $sgpr10
	s_and_saveexec_b64 s[8:9], s[6:7]
	s_xor_b64 s[6:7], exec, s[8:9]
	s_cbranch_execnz .LBB32_2221
; %bb.173:
	s_or_saveexec_b64 s[6:7], s[6:7]
	v_mov_b32_e32 v10, s10
	s_xor_b64 exec, exec, s[6:7]
	s_cbranch_execnz .LBB32_2224
.LBB32_174:
	s_or_b64 exec, exec, s[6:7]
	s_and_saveexec_b64 s[6:7], s[4:5]
	s_cbranch_execz .LBB32_176
.LBB32_175:
	v_bfe_u32 v10, v3, 8, 3
	v_ffbh_u32_e32 v12, v10
	v_min_u32_e32 v12, 32, v12
	v_lshrrev_b16_e32 v11, 3, v6
	v_subrev_u32_e32 v13, 28, v12
	v_and_b32_e32 v11, 15, v11
	v_lshlrev_b32_e32 v6, v13, v6
	v_sub_u32_e32 v12, 29, v12
	v_and_b32_e32 v6, 7, v6
	v_cmp_eq_u16_e32 vcc, 0, v11
	v_cndmask_b32_e32 v6, v10, v6, vcc
	v_cndmask_b32_e32 v10, v11, v12, vcc
	v_lshlrev_b32_e32 v11, 16, v3
	v_mov_b32_e32 v12, 0x3b800000
	v_lshlrev_b32_e32 v6, 20, v6
	v_and_b32_e32 v11, 0x80000000, v11
	v_lshl_add_u32 v10, v10, 23, v12
	v_or3_b32 v10, v11, v10, v6
.LBB32_176:
	s_or_b64 exec, exec, s[6:7]
	s_nop 0
	v_mfma_f32_16x16x4f32 a[0:3], v2, v10, a[0:3]
	s_movk_i32 s4, 0xff
	v_and_b32_sdwa v6, v7, s4 dst_sel:DWORD dst_unused:UNUSED_PAD src0_sel:WORD_1 src1_sel:DWORD
	s_movk_i32 s4, 0x7f
	v_cmp_lt_i16_e32 vcc, s4, v6
	s_mov_b64 s[4:5], 0
                                        ; implicit-def: $sgpr10
	s_and_saveexec_b64 s[6:7], vcc
	s_xor_b64 s[6:7], exec, s[6:7]
	s_cbranch_execnz .LBB32_2225
; %bb.177:
	s_or_saveexec_b64 s[6:7], s[6:7]
	v_mov_b32_e32 v2, s10
	s_xor_b64 exec, exec, s[6:7]
	s_cbranch_execnz .LBB32_2228
.LBB32_178:
	s_or_b64 exec, exec, s[6:7]
	s_and_saveexec_b64 s[6:7], s[4:5]
	s_cbranch_execz .LBB32_180
.LBB32_179:
	v_bfe_u32 v2, v7, 16, 3
	v_ffbh_u32_e32 v11, v2
	v_min_u32_e32 v11, 32, v11
	v_lshrrev_b32_e32 v6, 19, v7
	v_subrev_u32_e32 v12, 28, v11
	v_and_b32_e32 v6, 15, v6
	v_lshlrev_b32_sdwa v12, v12, v7 dst_sel:DWORD dst_unused:UNUSED_PAD src0_sel:DWORD src1_sel:WORD_1
	v_bfe_u32 v10, v7, 19, 4
	v_sub_u32_e32 v11, 29, v11
	v_and_b32_e32 v12, 7, v12
	v_cmp_eq_u16_e32 vcc, 0, v6
	v_cndmask_b32_e32 v2, v2, v12, vcc
	v_cndmask_b32_e32 v6, v10, v11, vcc
	v_lshlrev_b32_e32 v10, 8, v7
	v_mov_b32_e32 v11, 0x3b800000
	v_lshlrev_b32_e32 v2, 20, v2
	v_and_b32_e32 v10, 0x80000000, v10
	v_lshl_add_u32 v6, v6, 23, v11
	v_or3_b32 v2, v10, v6, v2
.LBB32_180:
	s_or_b64 exec, exec, s[6:7]
	s_movk_i32 s4, 0xff
	v_and_b32_sdwa v6, v3, s4 dst_sel:DWORD dst_unused:UNUSED_PAD src0_sel:WORD_1 src1_sel:DWORD
	s_movk_i32 s4, 0x7f
	v_cmp_lt_i16_e32 vcc, s4, v6
	s_mov_b64 s[4:5], 0
                                        ; implicit-def: $sgpr10
	s_and_saveexec_b64 s[6:7], vcc
	s_xor_b64 s[6:7], exec, s[6:7]
	s_cbranch_execnz .LBB32_2229
; %bb.181:
	s_or_saveexec_b64 s[6:7], s[6:7]
	v_mov_b32_e32 v10, s10
	s_xor_b64 exec, exec, s[6:7]
	s_cbranch_execnz .LBB32_2232
.LBB32_182:
	s_or_b64 exec, exec, s[6:7]
	s_and_saveexec_b64 s[6:7], s[4:5]
	s_cbranch_execz .LBB32_184
.LBB32_183:
	v_bfe_u32 v6, v3, 16, 3
	v_ffbh_u32_e32 v12, v6
	v_min_u32_e32 v12, 32, v12
	v_lshrrev_b32_e32 v10, 19, v3
	v_subrev_u32_e32 v13, 28, v12
	v_and_b32_e32 v10, 15, v10
	v_lshlrev_b32_sdwa v13, v13, v3 dst_sel:DWORD dst_unused:UNUSED_PAD src0_sel:DWORD src1_sel:WORD_1
	v_bfe_u32 v11, v3, 19, 4
	v_sub_u32_e32 v12, 29, v12
	v_and_b32_e32 v13, 7, v13
	v_cmp_eq_u16_e32 vcc, 0, v10
	v_cndmask_b32_e32 v6, v6, v13, vcc
	v_cndmask_b32_e32 v10, v11, v12, vcc
	v_lshlrev_b32_e32 v11, 8, v3
	v_mov_b32_e32 v12, 0x3b800000
	v_lshlrev_b32_e32 v6, 20, v6
	v_and_b32_e32 v11, 0x80000000, v11
	v_lshl_add_u32 v10, v10, 23, v12
	v_or3_b32 v10, v11, v10, v6
.LBB32_184:
	s_or_b64 exec, exec, s[6:7]
	s_nop 0
	v_mfma_f32_16x16x4f32 a[0:3], v2, v10, a[0:3]
	s_movk_i32 s4, 0x7f
	v_cmp_gt_i16_sdwa s[6:7], v7, s4 src0_sel:BYTE_3 src1_sel:DWORD
	s_mov_b64 s[4:5], 0
                                        ; implicit-def: $sgpr10
	s_and_saveexec_b64 s[8:9], s[6:7]
	s_xor_b64 s[6:7], exec, s[8:9]
	s_cbranch_execnz .LBB32_2233
; %bb.185:
	s_or_saveexec_b64 s[6:7], s[6:7]
	v_mov_b32_e32 v2, s10
	s_xor_b64 exec, exec, s[6:7]
	s_cbranch_execnz .LBB32_2236
.LBB32_186:
	s_or_b64 exec, exec, s[6:7]
	s_and_saveexec_b64 s[6:7], s[4:5]
	s_cbranch_execz .LBB32_188
.LBB32_187:
	v_bfe_u32 v2, v7, 24, 3
	v_ffbh_u32_e32 v12, v2
	v_min_u32_e32 v12, 32, v12
	v_lshrrev_b32_e32 v10, 27, v7
	v_subrev_u32_e32 v13, 28, v12
	v_and_b32_e32 v6, 0x80000000, v7
	v_and_b32_e32 v10, 15, v10
	v_bfe_u32 v11, v7, 27, 4
	v_lshlrev_b32_sdwa v7, v13, v7 dst_sel:DWORD dst_unused:UNUSED_PAD src0_sel:DWORD src1_sel:BYTE_3
	v_sub_u32_e32 v12, 29, v12
	v_and_b32_e32 v7, 7, v7
	v_cmp_eq_u16_e32 vcc, 0, v10
	v_cndmask_b32_e32 v2, v2, v7, vcc
	v_cndmask_b32_e32 v7, v11, v12, vcc
	v_mov_b32_e32 v10, 0x3b800000
	v_lshlrev_b32_e32 v2, 20, v2
	v_lshl_add_u32 v7, v7, 23, v10
	v_or3_b32 v2, v6, v7, v2
.LBB32_188:
	s_or_b64 exec, exec, s[6:7]
	s_movk_i32 s4, 0x7f
	v_cmp_gt_i16_sdwa s[6:7], v3, s4 src0_sel:BYTE_3 src1_sel:DWORD
	s_mov_b64 s[4:5], 0
                                        ; implicit-def: $sgpr10
	s_and_saveexec_b64 s[8:9], s[6:7]
	s_xor_b64 s[6:7], exec, s[8:9]
	s_cbranch_execnz .LBB32_2237
; %bb.189:
	s_or_saveexec_b64 s[6:7], s[6:7]
	v_mov_b32_e32 v6, s10
	s_xor_b64 exec, exec, s[6:7]
	s_cbranch_execnz .LBB32_2240
.LBB32_190:
	s_or_b64 exec, exec, s[6:7]
	s_and_saveexec_b64 s[6:7], s[4:5]
	s_cbranch_execz .LBB32_192
.LBB32_191:
	v_bfe_u32 v6, v3, 24, 3
	v_ffbh_u32_e32 v12, v6
	v_min_u32_e32 v12, 32, v12
	v_lshrrev_b32_e32 v10, 27, v3
	v_subrev_u32_e32 v13, 28, v12
	v_and_b32_e32 v7, 0x80000000, v3
	v_and_b32_e32 v10, 15, v10
	v_bfe_u32 v11, v3, 27, 4
	v_lshlrev_b32_sdwa v3, v13, v3 dst_sel:DWORD dst_unused:UNUSED_PAD src0_sel:DWORD src1_sel:BYTE_3
	v_sub_u32_e32 v12, 29, v12
	v_and_b32_e32 v3, 7, v3
	v_cmp_eq_u16_e32 vcc, 0, v10
	v_cndmask_b32_e32 v3, v6, v3, vcc
	v_cndmask_b32_e32 v6, v11, v12, vcc
	v_mov_b32_e32 v10, 0x3b800000
	v_lshlrev_b32_e32 v3, 20, v3
	v_lshl_add_u32 v6, v6, 23, v10
	v_or3_b32 v6, v7, v6, v3
.LBB32_192:
	s_or_b64 exec, exec, s[6:7]
	s_nop 0
	v_mfma_f32_16x16x4f32 a[0:3], v2, v6, a[0:3]
	s_movk_i32 s4, 0x7f
	v_cmp_gt_i16_sdwa s[6:7], v8, s4 src0_sel:BYTE_0 src1_sel:DWORD
	s_mov_b64 s[4:5], 0
                                        ; implicit-def: $sgpr10
	s_and_saveexec_b64 s[8:9], s[6:7]
	s_xor_b64 s[6:7], exec, s[8:9]
	s_cbranch_execnz .LBB32_2241
; %bb.193:
	s_or_saveexec_b64 s[6:7], s[6:7]
	v_mov_b32_e32 v2, s10
	s_xor_b64 exec, exec, s[6:7]
	s_cbranch_execnz .LBB32_2244
.LBB32_194:
	s_or_b64 exec, exec, s[6:7]
	s_and_saveexec_b64 s[6:7], s[4:5]
	s_cbranch_execz .LBB32_196
.LBB32_195:
	v_and_b32_e32 v2, 7, v8
	v_ffbh_u32_e32 v6, v2
	v_min_u32_e32 v6, 32, v6
	v_lshrrev_b16_e32 v3, 3, v8
	v_subrev_u32_e32 v7, 28, v6
	v_and_b32_e32 v3, 15, v3
	v_lshlrev_b32_e32 v7, v7, v8
	v_sub_u32_e32 v6, 29, v6
	v_and_b32_e32 v7, 7, v7
	v_cmp_eq_u16_e32 vcc, 0, v3
	v_cndmask_b32_e32 v2, v2, v7, vcc
	v_cndmask_b32_e32 v3, v3, v6, vcc
	v_lshlrev_b32_e32 v6, 24, v8
	v_mov_b32_e32 v7, 0x3b800000
	v_lshlrev_b32_e32 v2, 20, v2
	v_and_b32_e32 v6, 0x80000000, v6
	v_lshl_add_u32 v3, v3, 23, v7
	v_or3_b32 v2, v6, v3, v2
.LBB32_196:
	s_or_b64 exec, exec, s[6:7]
	s_movk_i32 s4, 0x7f
	v_cmp_gt_i16_sdwa s[6:7], v4, s4 src0_sel:BYTE_0 src1_sel:DWORD
	s_mov_b64 s[4:5], 0
                                        ; implicit-def: $sgpr10
	s_and_saveexec_b64 s[8:9], s[6:7]
	s_xor_b64 s[6:7], exec, s[8:9]
	s_cbranch_execnz .LBB32_2245
; %bb.197:
	s_or_saveexec_b64 s[6:7], s[6:7]
	v_mov_b32_e32 v3, s10
	s_xor_b64 exec, exec, s[6:7]
	s_cbranch_execnz .LBB32_2248
.LBB32_198:
	s_or_b64 exec, exec, s[6:7]
	s_and_saveexec_b64 s[6:7], s[4:5]
	s_cbranch_execz .LBB32_200
.LBB32_199:
	v_and_b32_e32 v3, 7, v4
	v_ffbh_u32_e32 v7, v3
	v_min_u32_e32 v7, 32, v7
	v_lshrrev_b16_e32 v6, 3, v4
	v_subrev_u32_e32 v10, 28, v7
	v_and_b32_e32 v6, 15, v6
	v_lshlrev_b32_e32 v10, v10, v4
	v_sub_u32_e32 v7, 29, v7
	v_and_b32_e32 v10, 7, v10
	v_cmp_eq_u16_e32 vcc, 0, v6
	v_cndmask_b32_e32 v3, v3, v10, vcc
	v_cndmask_b32_e32 v6, v6, v7, vcc
	v_lshlrev_b32_e32 v7, 24, v4
	v_mov_b32_e32 v10, 0x3b800000
	v_lshlrev_b32_e32 v3, 20, v3
	v_and_b32_e32 v7, 0x80000000, v7
	v_lshl_add_u32 v6, v6, 23, v10
	v_or3_b32 v3, v7, v6, v3
.LBB32_200:
	s_or_b64 exec, exec, s[6:7]
	s_nop 0
	v_mfma_f32_16x16x4f32 a[0:3], v2, v3, a[0:3]
	v_lshrrev_b32_e32 v3, 8, v8
	s_movk_i32 s4, 0x7f
	v_cmp_gt_i16_sdwa s[6:7], v3, s4 src0_sel:BYTE_0 src1_sel:DWORD
	s_mov_b64 s[4:5], 0
                                        ; implicit-def: $sgpr10
	s_and_saveexec_b64 s[8:9], s[6:7]
	s_xor_b64 s[6:7], exec, s[8:9]
	s_cbranch_execnz .LBB32_2249
; %bb.201:
	s_or_saveexec_b64 s[6:7], s[6:7]
	v_mov_b32_e32 v2, s10
	s_xor_b64 exec, exec, s[6:7]
	s_cbranch_execnz .LBB32_2252
.LBB32_202:
	s_or_b64 exec, exec, s[6:7]
	s_and_saveexec_b64 s[6:7], s[4:5]
	s_cbranch_execz .LBB32_204
.LBB32_203:
	v_bfe_u32 v2, v8, 8, 3
	v_ffbh_u32_e32 v7, v2
	v_min_u32_e32 v7, 32, v7
	v_lshrrev_b16_e32 v6, 3, v3
	v_subrev_u32_e32 v10, 28, v7
	v_and_b32_e32 v6, 15, v6
	v_lshlrev_b32_e32 v3, v10, v3
	v_sub_u32_e32 v7, 29, v7
	v_and_b32_e32 v3, 7, v3
	v_cmp_eq_u16_e32 vcc, 0, v6
	v_cndmask_b32_e32 v2, v2, v3, vcc
	v_cndmask_b32_e32 v3, v6, v7, vcc
	v_lshlrev_b32_e32 v6, 16, v8
	v_mov_b32_e32 v7, 0x3b800000
	v_lshlrev_b32_e32 v2, 20, v2
	v_and_b32_e32 v6, 0x80000000, v6
	v_lshl_add_u32 v3, v3, 23, v7
	v_or3_b32 v2, v6, v3, v2
.LBB32_204:
	s_or_b64 exec, exec, s[6:7]
	v_lshrrev_b32_e32 v3, 8, v4
	s_movk_i32 s4, 0x7f
	v_cmp_gt_i16_sdwa s[6:7], v3, s4 src0_sel:BYTE_0 src1_sel:DWORD
	s_mov_b64 s[4:5], 0
                                        ; implicit-def: $sgpr10
	s_and_saveexec_b64 s[8:9], s[6:7]
	s_xor_b64 s[6:7], exec, s[8:9]
	s_cbranch_execnz .LBB32_2253
; %bb.205:
	s_or_saveexec_b64 s[6:7], s[6:7]
	v_mov_b32_e32 v6, s10
	s_xor_b64 exec, exec, s[6:7]
	s_cbranch_execnz .LBB32_2256
.LBB32_206:
	s_or_b64 exec, exec, s[6:7]
	s_and_saveexec_b64 s[6:7], s[4:5]
	s_cbranch_execz .LBB32_208
.LBB32_207:
	v_bfe_u32 v6, v4, 8, 3
	v_ffbh_u32_e32 v10, v6
	v_min_u32_e32 v10, 32, v10
	v_lshrrev_b16_e32 v7, 3, v3
	v_subrev_u32_e32 v11, 28, v10
	v_and_b32_e32 v7, 15, v7
	v_lshlrev_b32_e32 v3, v11, v3
	v_sub_u32_e32 v10, 29, v10
	v_and_b32_e32 v3, 7, v3
	v_cmp_eq_u16_e32 vcc, 0, v7
	v_cndmask_b32_e32 v3, v6, v3, vcc
	v_cndmask_b32_e32 v6, v7, v10, vcc
	v_lshlrev_b32_e32 v7, 16, v4
	v_mov_b32_e32 v10, 0x3b800000
	v_lshlrev_b32_e32 v3, 20, v3
	v_and_b32_e32 v7, 0x80000000, v7
	v_lshl_add_u32 v6, v6, 23, v10
	v_or3_b32 v6, v7, v6, v3
.LBB32_208:
	s_or_b64 exec, exec, s[6:7]
	s_nop 0
	v_mfma_f32_16x16x4f32 a[0:3], v2, v6, a[0:3]
	s_movk_i32 s4, 0xff
	v_and_b32_sdwa v3, v8, s4 dst_sel:DWORD dst_unused:UNUSED_PAD src0_sel:WORD_1 src1_sel:DWORD
	s_movk_i32 s4, 0x7f
	v_cmp_lt_i16_e32 vcc, s4, v3
	s_mov_b64 s[4:5], 0
                                        ; implicit-def: $sgpr10
	s_and_saveexec_b64 s[6:7], vcc
	s_xor_b64 s[6:7], exec, s[6:7]
	s_cbranch_execnz .LBB32_2257
; %bb.209:
	s_or_saveexec_b64 s[6:7], s[6:7]
	v_mov_b32_e32 v2, s10
	s_xor_b64 exec, exec, s[6:7]
	s_cbranch_execnz .LBB32_2260
.LBB32_210:
	s_or_b64 exec, exec, s[6:7]
	s_and_saveexec_b64 s[6:7], s[4:5]
	s_cbranch_execz .LBB32_212
.LBB32_211:
	v_bfe_u32 v2, v8, 16, 3
	v_ffbh_u32_e32 v7, v2
	v_min_u32_e32 v7, 32, v7
	v_lshrrev_b32_e32 v3, 19, v8
	v_subrev_u32_e32 v10, 28, v7
	v_and_b32_e32 v3, 15, v3
	v_lshlrev_b32_sdwa v10, v10, v8 dst_sel:DWORD dst_unused:UNUSED_PAD src0_sel:DWORD src1_sel:WORD_1
	v_bfe_u32 v6, v8, 19, 4
	v_sub_u32_e32 v7, 29, v7
	v_and_b32_e32 v10, 7, v10
	v_cmp_eq_u16_e32 vcc, 0, v3
	v_cndmask_b32_e32 v2, v2, v10, vcc
	v_cndmask_b32_e32 v3, v6, v7, vcc
	v_lshlrev_b32_e32 v6, 8, v8
	v_mov_b32_e32 v7, 0x3b800000
	v_lshlrev_b32_e32 v2, 20, v2
	v_and_b32_e32 v6, 0x80000000, v6
	v_lshl_add_u32 v3, v3, 23, v7
	v_or3_b32 v2, v6, v3, v2
.LBB32_212:
	s_or_b64 exec, exec, s[6:7]
	s_movk_i32 s4, 0xff
	v_and_b32_sdwa v3, v4, s4 dst_sel:DWORD dst_unused:UNUSED_PAD src0_sel:WORD_1 src1_sel:DWORD
	s_movk_i32 s4, 0x7f
	v_cmp_lt_i16_e32 vcc, s4, v3
	s_mov_b64 s[4:5], 0
                                        ; implicit-def: $sgpr10
	s_and_saveexec_b64 s[6:7], vcc
	s_xor_b64 s[6:7], exec, s[6:7]
	s_cbranch_execnz .LBB32_2261
; %bb.213:
	s_or_saveexec_b64 s[6:7], s[6:7]
	v_mov_b32_e32 v6, s10
	s_xor_b64 exec, exec, s[6:7]
	s_cbranch_execnz .LBB32_2264
.LBB32_214:
	s_or_b64 exec, exec, s[6:7]
	s_and_saveexec_b64 s[6:7], s[4:5]
	s_cbranch_execz .LBB32_216
.LBB32_215:
	v_bfe_u32 v3, v4, 16, 3
	v_ffbh_u32_e32 v10, v3
	v_min_u32_e32 v10, 32, v10
	v_lshrrev_b32_e32 v6, 19, v4
	v_subrev_u32_e32 v11, 28, v10
	v_and_b32_e32 v6, 15, v6
	v_lshlrev_b32_sdwa v11, v11, v4 dst_sel:DWORD dst_unused:UNUSED_PAD src0_sel:DWORD src1_sel:WORD_1
	v_bfe_u32 v7, v4, 19, 4
	v_sub_u32_e32 v10, 29, v10
	v_and_b32_e32 v11, 7, v11
	v_cmp_eq_u16_e32 vcc, 0, v6
	v_cndmask_b32_e32 v3, v3, v11, vcc
	v_cndmask_b32_e32 v6, v7, v10, vcc
	v_lshlrev_b32_e32 v7, 8, v4
	v_mov_b32_e32 v10, 0x3b800000
	v_lshlrev_b32_e32 v3, 20, v3
	v_and_b32_e32 v7, 0x80000000, v7
	v_lshl_add_u32 v6, v6, 23, v10
	v_or3_b32 v6, v7, v6, v3
.LBB32_216:
	s_or_b64 exec, exec, s[6:7]
	s_nop 0
	v_mfma_f32_16x16x4f32 a[0:3], v2, v6, a[0:3]
	s_movk_i32 s4, 0x7f
	v_cmp_gt_i16_sdwa s[6:7], v8, s4 src0_sel:BYTE_3 src1_sel:DWORD
	s_mov_b64 s[4:5], 0
                                        ; implicit-def: $sgpr10
	s_and_saveexec_b64 s[8:9], s[6:7]
	s_xor_b64 s[6:7], exec, s[8:9]
	s_cbranch_execnz .LBB32_2265
; %bb.217:
	s_or_saveexec_b64 s[6:7], s[6:7]
	v_mov_b32_e32 v2, s10
	s_xor_b64 exec, exec, s[6:7]
	s_cbranch_execnz .LBB32_2268
.LBB32_218:
	s_or_b64 exec, exec, s[6:7]
	s_and_saveexec_b64 s[6:7], s[4:5]
	s_cbranch_execz .LBB32_220
.LBB32_219:
	v_bfe_u32 v2, v8, 24, 3
	v_ffbh_u32_e32 v10, v2
	v_min_u32_e32 v10, 32, v10
	v_lshrrev_b32_e32 v6, 27, v8
	v_subrev_u32_e32 v11, 28, v10
	v_and_b32_e32 v3, 0x80000000, v8
	v_and_b32_e32 v6, 15, v6
	v_bfe_u32 v7, v8, 27, 4
	v_lshlrev_b32_sdwa v8, v11, v8 dst_sel:DWORD dst_unused:UNUSED_PAD src0_sel:DWORD src1_sel:BYTE_3
	v_sub_u32_e32 v10, 29, v10
	v_and_b32_e32 v8, 7, v8
	v_cmp_eq_u16_e32 vcc, 0, v6
	v_cndmask_b32_e32 v2, v2, v8, vcc
	v_cndmask_b32_e32 v6, v7, v10, vcc
	v_mov_b32_e32 v7, 0x3b800000
	v_lshlrev_b32_e32 v2, 20, v2
	v_lshl_add_u32 v6, v6, 23, v7
	v_or3_b32 v2, v3, v6, v2
.LBB32_220:
	s_or_b64 exec, exec, s[6:7]
	s_movk_i32 s4, 0x7f
	v_cmp_gt_i16_sdwa s[6:7], v4, s4 src0_sel:BYTE_3 src1_sel:DWORD
	s_mov_b64 s[4:5], 0
                                        ; implicit-def: $sgpr10
	s_and_saveexec_b64 s[8:9], s[6:7]
	s_xor_b64 s[6:7], exec, s[8:9]
	s_cbranch_execnz .LBB32_2269
; %bb.221:
	s_or_saveexec_b64 s[6:7], s[6:7]
	v_mov_b32_e32 v3, s10
	s_xor_b64 exec, exec, s[6:7]
	s_cbranch_execnz .LBB32_2272
.LBB32_222:
	s_or_b64 exec, exec, s[6:7]
	s_and_saveexec_b64 s[6:7], s[4:5]
	s_cbranch_execz .LBB32_224
.LBB32_223:
	v_bfe_u32 v3, v4, 24, 3
	v_ffbh_u32_e32 v10, v3
	v_min_u32_e32 v10, 32, v10
	v_lshrrev_b32_e32 v7, 27, v4
	v_subrev_u32_e32 v11, 28, v10
	v_and_b32_e32 v6, 0x80000000, v4
	v_and_b32_e32 v7, 15, v7
	v_bfe_u32 v8, v4, 27, 4
	v_lshlrev_b32_sdwa v4, v11, v4 dst_sel:DWORD dst_unused:UNUSED_PAD src0_sel:DWORD src1_sel:BYTE_3
	v_sub_u32_e32 v10, 29, v10
	v_and_b32_e32 v4, 7, v4
	v_cmp_eq_u16_e32 vcc, 0, v7
	v_cndmask_b32_e32 v3, v3, v4, vcc
	v_cndmask_b32_e32 v4, v8, v10, vcc
	v_mov_b32_e32 v7, 0x3b800000
	v_lshlrev_b32_e32 v3, 20, v3
	v_lshl_add_u32 v4, v4, 23, v7
	v_or3_b32 v3, v6, v4, v3
.LBB32_224:
	s_or_b64 exec, exec, s[6:7]
	s_nop 0
	v_mfma_f32_16x16x4f32 a[0:3], v2, v3, a[0:3]
	s_movk_i32 s4, 0x7f
	v_cmp_gt_i16_sdwa s[6:7], v9, s4 src0_sel:BYTE_0 src1_sel:DWORD
	s_mov_b64 s[4:5], 0
                                        ; implicit-def: $sgpr10
	s_and_saveexec_b64 s[8:9], s[6:7]
	s_xor_b64 s[6:7], exec, s[8:9]
	s_cbranch_execnz .LBB32_2273
; %bb.225:
	s_or_saveexec_b64 s[6:7], s[6:7]
	v_mov_b32_e32 v2, s10
	s_xor_b64 exec, exec, s[6:7]
	s_cbranch_execnz .LBB32_2276
.LBB32_226:
	s_or_b64 exec, exec, s[6:7]
	s_and_saveexec_b64 s[6:7], s[4:5]
	s_cbranch_execz .LBB32_228
.LBB32_227:
	v_mov_b32_e32 v2, 8
	v_and_b32_e32 v3, 7, v9
	v_lshrrev_b32_sdwa v2, v2, v9 dst_sel:BYTE_1 dst_unused:UNUSED_PAD src0_sel:DWORD src1_sel:DWORD
	v_ffbh_u32_e32 v4, v3
	v_or_b32_sdwa v2, v9, v2 dst_sel:DWORD dst_unused:UNUSED_PAD src0_sel:BYTE_0 src1_sel:DWORD
	v_min_u32_e32 v4, 32, v4
	v_lshrrev_b16_e32 v2, 3, v2
	v_subrev_u32_e32 v6, 28, v4
	v_and_b32_e32 v2, 15, v2
	v_lshlrev_b32_e32 v6, v6, v9
	v_sub_u32_e32 v4, 29, v4
	v_and_b32_e32 v6, 7, v6
	v_cmp_eq_u16_e32 vcc, 0, v2
	v_cndmask_b32_e32 v3, v3, v6, vcc
	v_cndmask_b32_e32 v2, v2, v4, vcc
	v_lshlrev_b32_e32 v4, 24, v9
	v_mov_b32_e32 v6, 0x3b800000
	v_lshlrev_b32_e32 v3, 20, v3
	v_and_b32_e32 v4, 0x80000000, v4
	v_lshl_add_u32 v2, v2, 23, v6
	v_or3_b32 v2, v4, v2, v3
.LBB32_228:
	s_or_b64 exec, exec, s[6:7]
	s_movk_i32 s4, 0x7f
	v_cmp_gt_i16_sdwa s[6:7], v5, s4 src0_sel:BYTE_0 src1_sel:DWORD
	s_mov_b64 s[4:5], 0
                                        ; implicit-def: $sgpr10
	s_and_saveexec_b64 s[8:9], s[6:7]
	s_xor_b64 s[6:7], exec, s[8:9]
	s_cbranch_execnz .LBB32_2277
; %bb.229:
	s_or_saveexec_b64 s[6:7], s[6:7]
	v_mov_b32_e32 v3, s10
	s_xor_b64 exec, exec, s[6:7]
	s_cbranch_execnz .LBB32_2280
.LBB32_230:
	s_or_b64 exec, exec, s[6:7]
	s_and_saveexec_b64 s[6:7], s[4:5]
	s_cbranch_execz .LBB32_232
.LBB32_231:
	v_mov_b32_e32 v3, 8
	v_and_b32_e32 v4, 7, v5
	v_lshrrev_b32_sdwa v3, v3, v5 dst_sel:BYTE_1 dst_unused:UNUSED_PAD src0_sel:DWORD src1_sel:DWORD
	v_ffbh_u32_e32 v6, v4
	v_or_b32_sdwa v3, v5, v3 dst_sel:DWORD dst_unused:UNUSED_PAD src0_sel:BYTE_0 src1_sel:DWORD
	v_min_u32_e32 v6, 32, v6
	v_lshrrev_b16_e32 v3, 3, v3
	v_subrev_u32_e32 v7, 28, v6
	v_and_b32_e32 v3, 15, v3
	v_lshlrev_b32_e32 v7, v7, v5
	v_sub_u32_e32 v6, 29, v6
	v_and_b32_e32 v7, 7, v7
	v_cmp_eq_u16_e32 vcc, 0, v3
	v_cndmask_b32_e32 v4, v4, v7, vcc
	v_cndmask_b32_e32 v3, v3, v6, vcc
	v_lshlrev_b32_e32 v6, 24, v5
	v_mov_b32_e32 v7, 0x3b800000
	v_lshlrev_b32_e32 v4, 20, v4
	v_and_b32_e32 v6, 0x80000000, v6
	v_lshl_add_u32 v3, v3, 23, v7
	v_or3_b32 v3, v6, v3, v4
.LBB32_232:
	s_or_b64 exec, exec, s[6:7]
	s_nop 0
	v_mfma_f32_16x16x4f32 a[0:3], v2, v3, a[0:3]
	v_lshrrev_b32_e32 v3, 8, v9
	s_movk_i32 s4, 0x7f
	v_cmp_gt_i16_sdwa s[6:7], v3, s4 src0_sel:BYTE_0 src1_sel:DWORD
	s_mov_b64 s[4:5], 0
                                        ; implicit-def: $sgpr10
	s_and_saveexec_b64 s[8:9], s[6:7]
	s_xor_b64 s[6:7], exec, s[8:9]
	s_cbranch_execnz .LBB32_2281
; %bb.233:
	s_or_saveexec_b64 s[6:7], s[6:7]
	v_mov_b32_e32 v2, s10
	s_xor_b64 exec, exec, s[6:7]
	s_cbranch_execnz .LBB32_2284
.LBB32_234:
	s_or_b64 exec, exec, s[6:7]
	s_and_saveexec_b64 s[6:7], s[4:5]
	s_cbranch_execz .LBB32_236
.LBB32_235:
	v_bfe_u32 v2, v9, 8, 3
	v_ffbh_u32_e32 v6, v2
	v_min_u32_e32 v6, 32, v6
	v_lshrrev_b16_e32 v4, 3, v3
	v_subrev_u32_e32 v7, 28, v6
	v_and_b32_e32 v4, 15, v4
	v_lshlrev_b32_e32 v3, v7, v3
	v_sub_u32_e32 v6, 29, v6
	v_and_b32_e32 v3, 7, v3
	v_cmp_eq_u16_e32 vcc, 0, v4
	v_cndmask_b32_e32 v2, v2, v3, vcc
	v_cndmask_b32_e32 v3, v4, v6, vcc
	v_lshlrev_b32_e32 v4, 16, v9
	v_mov_b32_e32 v6, 0x3b800000
	v_lshlrev_b32_e32 v2, 20, v2
	v_and_b32_e32 v4, 0x80000000, v4
	v_lshl_add_u32 v3, v3, 23, v6
	v_or3_b32 v2, v4, v3, v2
.LBB32_236:
	s_or_b64 exec, exec, s[6:7]
	v_lshrrev_b32_e32 v3, 8, v5
	s_movk_i32 s4, 0x7f
	v_cmp_gt_i16_sdwa s[6:7], v3, s4 src0_sel:BYTE_0 src1_sel:DWORD
	s_mov_b64 s[4:5], 0
                                        ; implicit-def: $sgpr10
	s_and_saveexec_b64 s[8:9], s[6:7]
	s_xor_b64 s[6:7], exec, s[8:9]
	s_cbranch_execnz .LBB32_2285
; %bb.237:
	s_or_saveexec_b64 s[6:7], s[6:7]
	v_mov_b32_e32 v4, s10
	s_xor_b64 exec, exec, s[6:7]
	s_cbranch_execnz .LBB32_2288
.LBB32_238:
	s_or_b64 exec, exec, s[6:7]
	s_and_saveexec_b64 s[6:7], s[4:5]
	s_cbranch_execz .LBB32_240
.LBB32_239:
	v_bfe_u32 v4, v5, 8, 3
	v_ffbh_u32_e32 v7, v4
	v_min_u32_e32 v7, 32, v7
	v_lshrrev_b16_e32 v6, 3, v3
	v_subrev_u32_e32 v8, 28, v7
	v_and_b32_e32 v6, 15, v6
	v_lshlrev_b32_e32 v3, v8, v3
	v_sub_u32_e32 v7, 29, v7
	v_and_b32_e32 v3, 7, v3
	v_cmp_eq_u16_e32 vcc, 0, v6
	v_cndmask_b32_e32 v3, v4, v3, vcc
	v_cndmask_b32_e32 v4, v6, v7, vcc
	v_lshlrev_b32_e32 v6, 16, v5
	v_mov_b32_e32 v7, 0x3b800000
	v_lshlrev_b32_e32 v3, 20, v3
	v_and_b32_e32 v6, 0x80000000, v6
	v_lshl_add_u32 v4, v4, 23, v7
	v_or3_b32 v4, v6, v4, v3
.LBB32_240:
	s_or_b64 exec, exec, s[6:7]
	s_nop 0
	v_mfma_f32_16x16x4f32 a[0:3], v2, v4, a[0:3]
	s_movk_i32 s4, 0xff
	v_and_b32_sdwa v3, v9, s4 dst_sel:DWORD dst_unused:UNUSED_PAD src0_sel:WORD_1 src1_sel:DWORD
	s_movk_i32 s4, 0x7f
	v_cmp_lt_i16_e32 vcc, s4, v3
	s_mov_b64 s[4:5], 0
                                        ; implicit-def: $sgpr10
	s_and_saveexec_b64 s[6:7], vcc
	s_xor_b64 s[6:7], exec, s[6:7]
	s_cbranch_execnz .LBB32_2289
; %bb.241:
	s_or_saveexec_b64 s[6:7], s[6:7]
	v_mov_b32_e32 v2, s10
	s_xor_b64 exec, exec, s[6:7]
	s_cbranch_execnz .LBB32_2292
.LBB32_242:
	s_or_b64 exec, exec, s[6:7]
	s_and_saveexec_b64 s[6:7], s[4:5]
	s_cbranch_execz .LBB32_244
.LBB32_243:
	v_bfe_u32 v2, v9, 16, 3
	v_ffbh_u32_e32 v6, v2
	v_min_u32_e32 v6, 32, v6
	v_lshrrev_b32_e32 v3, 19, v9
	v_subrev_u32_e32 v7, 28, v6
	v_and_b32_e32 v3, 15, v3
	v_lshlrev_b32_sdwa v7, v7, v9 dst_sel:DWORD dst_unused:UNUSED_PAD src0_sel:DWORD src1_sel:WORD_1
	v_bfe_u32 v4, v9, 19, 4
	v_sub_u32_e32 v6, 29, v6
	v_and_b32_e32 v7, 7, v7
	v_cmp_eq_u16_e32 vcc, 0, v3
	v_cndmask_b32_e32 v2, v2, v7, vcc
	v_cndmask_b32_e32 v3, v4, v6, vcc
	v_lshlrev_b32_e32 v4, 8, v9
	v_mov_b32_e32 v6, 0x3b800000
	v_lshlrev_b32_e32 v2, 20, v2
	v_and_b32_e32 v4, 0x80000000, v4
	v_lshl_add_u32 v3, v3, 23, v6
	v_or3_b32 v2, v4, v3, v2
.LBB32_244:
	s_or_b64 exec, exec, s[6:7]
	s_movk_i32 s4, 0xff
	v_and_b32_sdwa v3, v5, s4 dst_sel:DWORD dst_unused:UNUSED_PAD src0_sel:WORD_1 src1_sel:DWORD
	s_movk_i32 s4, 0x7f
	v_cmp_lt_i16_e32 vcc, s4, v3
	s_mov_b64 s[4:5], 0
                                        ; implicit-def: $sgpr10
	s_and_saveexec_b64 s[6:7], vcc
	s_xor_b64 s[6:7], exec, s[6:7]
	s_cbranch_execnz .LBB32_2293
; %bb.245:
	s_or_saveexec_b64 s[6:7], s[6:7]
	v_mov_b32_e32 v4, s10
	s_xor_b64 exec, exec, s[6:7]
	s_cbranch_execnz .LBB32_2296
.LBB32_246:
	s_or_b64 exec, exec, s[6:7]
	s_and_saveexec_b64 s[6:7], s[4:5]
	s_cbranch_execz .LBB32_248
.LBB32_247:
	v_bfe_u32 v3, v5, 16, 3
	v_ffbh_u32_e32 v7, v3
	v_min_u32_e32 v7, 32, v7
	v_lshrrev_b32_e32 v4, 19, v5
	v_subrev_u32_e32 v8, 28, v7
	v_and_b32_e32 v4, 15, v4
	v_lshlrev_b32_sdwa v8, v8, v5 dst_sel:DWORD dst_unused:UNUSED_PAD src0_sel:DWORD src1_sel:WORD_1
	v_bfe_u32 v6, v5, 19, 4
	v_sub_u32_e32 v7, 29, v7
	v_and_b32_e32 v8, 7, v8
	v_cmp_eq_u16_e32 vcc, 0, v4
	v_cndmask_b32_e32 v3, v3, v8, vcc
	v_cndmask_b32_e32 v4, v6, v7, vcc
	v_lshlrev_b32_e32 v6, 8, v5
	v_mov_b32_e32 v7, 0x3b800000
	v_lshlrev_b32_e32 v3, 20, v3
	v_and_b32_e32 v6, 0x80000000, v6
	v_lshl_add_u32 v4, v4, 23, v7
	v_or3_b32 v4, v6, v4, v3
.LBB32_248:
	s_or_b64 exec, exec, s[6:7]
	s_nop 0
	v_mfma_f32_16x16x4f32 a[0:3], v2, v4, a[0:3]
	s_movk_i32 s4, 0x7f
	v_cmp_gt_i16_sdwa s[6:7], v9, s4 src0_sel:BYTE_3 src1_sel:DWORD
	s_mov_b64 s[4:5], 0
                                        ; implicit-def: $sgpr10
	s_and_saveexec_b64 s[8:9], s[6:7]
	s_xor_b64 s[6:7], exec, s[8:9]
	s_cbranch_execnz .LBB32_2297
; %bb.249:
	s_or_saveexec_b64 s[6:7], s[6:7]
	v_mov_b32_e32 v2, s10
	s_xor_b64 exec, exec, s[6:7]
	s_cbranch_execnz .LBB32_2300
.LBB32_250:
	s_or_b64 exec, exec, s[6:7]
	s_and_saveexec_b64 s[6:7], s[4:5]
	s_cbranch_execz .LBB32_252
.LBB32_251:
	v_bfe_u32 v2, v9, 24, 3
	v_ffbh_u32_e32 v7, v2
	v_min_u32_e32 v7, 32, v7
	v_lshrrev_b32_e32 v4, 27, v9
	v_subrev_u32_e32 v8, 28, v7
	v_and_b32_e32 v4, 15, v4
	v_lshlrev_b32_sdwa v8, v8, v9 dst_sel:DWORD dst_unused:UNUSED_PAD src0_sel:DWORD src1_sel:BYTE_3
	v_bfe_u32 v6, v9, 27, 4
	v_sub_u32_e32 v7, 29, v7
	v_and_b32_e32 v8, 7, v8
	v_cmp_eq_u16_e32 vcc, 0, v4
	v_cndmask_b32_e32 v2, v2, v8, vcc
	v_cndmask_b32_e32 v4, v6, v7, vcc
	v_mov_b32_e32 v6, 0x3b800000
	v_and_b32_e32 v3, 0x80000000, v9
	v_lshlrev_b32_e32 v2, 20, v2
	v_lshl_add_u32 v4, v4, 23, v6
	v_or3_b32 v2, v3, v4, v2
.LBB32_252:
	s_or_b64 exec, exec, s[6:7]
	s_movk_i32 s4, 0x7f
	v_cmp_gt_i16_sdwa s[6:7], v5, s4 src0_sel:BYTE_3 src1_sel:DWORD
	s_mov_b64 s[4:5], 0
                                        ; implicit-def: $sgpr10
	s_and_saveexec_b64 s[8:9], s[6:7]
	s_xor_b64 s[6:7], exec, s[8:9]
	s_cbranch_execnz .LBB32_2301
; %bb.253:
	s_or_saveexec_b64 s[6:7], s[6:7]
	v_mov_b32_e32 v3, s10
	s_xor_b64 exec, exec, s[6:7]
	s_cbranch_execnz .LBB32_2304
.LBB32_254:
	s_or_b64 exec, exec, s[6:7]
	s_and_saveexec_b64 s[6:7], s[4:5]
	s_cbranch_execz .LBB32_256
.LBB32_255:
	v_bfe_u32 v3, v5, 24, 3
	v_ffbh_u32_e32 v8, v3
	v_min_u32_e32 v8, 32, v8
	v_lshrrev_b32_e32 v6, 27, v5
	v_subrev_u32_e32 v9, 28, v8
	v_and_b32_e32 v4, 0x80000000, v5
	v_and_b32_e32 v6, 15, v6
	v_bfe_u32 v7, v5, 27, 4
	v_lshlrev_b32_sdwa v5, v9, v5 dst_sel:DWORD dst_unused:UNUSED_PAD src0_sel:DWORD src1_sel:BYTE_3
	v_sub_u32_e32 v8, 29, v8
	v_and_b32_e32 v5, 7, v5
	v_cmp_eq_u16_e32 vcc, 0, v6
	v_cndmask_b32_e32 v3, v3, v5, vcc
	v_cndmask_b32_e32 v5, v7, v8, vcc
	v_mov_b32_e32 v6, 0x3b800000
	v_lshlrev_b32_e32 v3, 20, v3
	v_lshl_add_u32 v5, v5, 23, v6
	v_or3_b32 v3, v4, v5, v3
.LBB32_256:
	s_or_b64 exec, exec, s[6:7]
	s_nop 0
	v_mfma_f32_16x16x4f32 a[0:3], v2, v3, a[0:3]
	s_movk_i32 s4, 0x7f
                                        ; implicit-def: $sgpr10
	s_nop 7
	s_nop 1
	flat_store_dwordx4 v[18:19], a[0:3] offset:512
	flat_load_dwordx4 v[20:23], v[0:1] offset:16
	s_nop 0
	flat_load_dwordx2 v[18:19], v[0:1] offset:32
	s_waitcnt vmcnt(0) lgkmcnt(0)
	flat_load_dwordx4 v[14:17], v[20:21]
	flat_load_dwordx4 v[6:9], v[20:21] offset:16
	flat_load_dwordx4 v[10:13], v[22:23] offset:32
	flat_load_dwordx4 v[2:5], v[22:23] offset:48
	s_waitcnt vmcnt(0) lgkmcnt(0)
	v_cmp_gt_i16_sdwa s[6:7], v14, s4 src0_sel:BYTE_0 src1_sel:DWORD
	s_mov_b64 s[4:5], 0
	s_and_saveexec_b64 s[8:9], s[6:7]
	s_xor_b64 s[6:7], exec, s[8:9]
	s_cbranch_execnz .LBB32_2305
; %bb.257:
	s_or_saveexec_b64 s[6:7], s[6:7]
	v_mov_b32_e32 v20, s10
	s_xor_b64 exec, exec, s[6:7]
	s_cbranch_execnz .LBB32_2308
.LBB32_258:
	s_or_b64 exec, exec, s[6:7]
	s_and_saveexec_b64 s[6:7], s[4:5]
	s_cbranch_execz .LBB32_260
.LBB32_259:
	v_and_b32_e32 v20, 7, v14
	v_ffbh_u32_e32 v22, v20
	v_min_u32_e32 v22, 32, v22
	v_lshrrev_b16_e32 v21, 3, v14
	v_subrev_u32_e32 v23, 28, v22
	v_and_b32_e32 v21, 15, v21
	v_lshlrev_b32_e32 v23, v23, v14
	v_sub_u32_e32 v22, 29, v22
	v_and_b32_e32 v23, 7, v23
	v_cmp_eq_u16_e32 vcc, 0, v21
	v_cndmask_b32_e32 v20, v20, v23, vcc
	v_cndmask_b32_e32 v21, v21, v22, vcc
	v_lshlrev_b32_e32 v22, 24, v14
	v_mov_b32_e32 v23, 0x3b800000
	v_lshlrev_b32_e32 v20, 20, v20
	v_and_b32_e32 v22, 0x80000000, v22
	v_lshl_add_u32 v21, v21, 23, v23
	v_or3_b32 v20, v22, v21, v20
.LBB32_260:
	s_or_b64 exec, exec, s[6:7]
	s_movk_i32 s4, 0x7f
	v_cmp_gt_i16_sdwa s[6:7], v10, s4 src0_sel:BYTE_0 src1_sel:DWORD
	s_mov_b64 s[4:5], 0
                                        ; implicit-def: $sgpr10
	s_and_saveexec_b64 s[8:9], s[6:7]
	s_xor_b64 s[6:7], exec, s[8:9]
	s_cbranch_execnz .LBB32_2309
; %bb.261:
	s_or_saveexec_b64 s[6:7], s[6:7]
	v_mov_b32_e32 v21, s10
	s_xor_b64 exec, exec, s[6:7]
	s_cbranch_execnz .LBB32_2312
.LBB32_262:
	s_or_b64 exec, exec, s[6:7]
	s_and_saveexec_b64 s[6:7], s[4:5]
	s_cbranch_execz .LBB32_264
.LBB32_263:
	v_and_b32_e32 v21, 7, v10
	v_ffbh_u32_e32 v23, v21
	v_min_u32_e32 v23, 32, v23
	v_lshrrev_b16_e32 v22, 3, v10
	v_subrev_u32_e32 v24, 28, v23
	v_and_b32_e32 v22, 15, v22
	v_lshlrev_b32_e32 v24, v24, v10
	v_sub_u32_e32 v23, 29, v23
	v_and_b32_e32 v24, 7, v24
	v_cmp_eq_u16_e32 vcc, 0, v22
	v_cndmask_b32_e32 v21, v21, v24, vcc
	v_cndmask_b32_e32 v22, v22, v23, vcc
	v_lshlrev_b32_e32 v23, 24, v10
	v_mov_b32_e32 v24, 0x3b800000
	v_lshlrev_b32_e32 v21, 20, v21
	v_and_b32_e32 v23, 0x80000000, v23
	v_lshl_add_u32 v22, v22, 23, v24
	v_or3_b32 v21, v23, v22, v21
.LBB32_264:
	s_or_b64 exec, exec, s[6:7]
	flat_load_dwordx4 a[0:3], v[18:19] offset:528
	s_movk_i32 s4, 0x7f
                                        ; implicit-def: $sgpr10
	s_waitcnt vmcnt(0) lgkmcnt(0)
	v_mfma_f32_16x16x4f32 a[0:3], v20, v21, a[0:3]
	v_lshrrev_b32_e32 v21, 8, v14
	v_cmp_gt_i16_sdwa s[6:7], v21, s4 src0_sel:BYTE_0 src1_sel:DWORD
	s_mov_b64 s[4:5], 0
	s_and_saveexec_b64 s[8:9], s[6:7]
	s_xor_b64 s[6:7], exec, s[8:9]
	s_cbranch_execnz .LBB32_2313
; %bb.265:
	s_or_saveexec_b64 s[6:7], s[6:7]
	v_mov_b32_e32 v20, s10
	s_xor_b64 exec, exec, s[6:7]
	s_cbranch_execnz .LBB32_2316
.LBB32_266:
	s_or_b64 exec, exec, s[6:7]
	s_and_saveexec_b64 s[6:7], s[4:5]
	s_cbranch_execz .LBB32_268
.LBB32_267:
	v_bfe_u32 v20, v14, 8, 3
	v_ffbh_u32_e32 v23, v20
	v_min_u32_e32 v23, 32, v23
	v_lshrrev_b16_e32 v22, 3, v21
	v_subrev_u32_e32 v24, 28, v23
	v_and_b32_e32 v22, 15, v22
	v_lshlrev_b32_e32 v21, v24, v21
	v_sub_u32_e32 v23, 29, v23
	v_and_b32_e32 v21, 7, v21
	v_cmp_eq_u16_e32 vcc, 0, v22
	v_cndmask_b32_e32 v20, v20, v21, vcc
	v_cndmask_b32_e32 v21, v22, v23, vcc
	v_lshlrev_b32_e32 v22, 16, v14
	v_mov_b32_e32 v23, 0x3b800000
	v_lshlrev_b32_e32 v20, 20, v20
	v_and_b32_e32 v22, 0x80000000, v22
	v_lshl_add_u32 v21, v21, 23, v23
	v_or3_b32 v20, v22, v21, v20
.LBB32_268:
	s_or_b64 exec, exec, s[6:7]
	v_lshrrev_b32_e32 v21, 8, v10
	s_movk_i32 s4, 0x7f
	v_cmp_gt_i16_sdwa s[6:7], v21, s4 src0_sel:BYTE_0 src1_sel:DWORD
	s_mov_b64 s[4:5], 0
                                        ; implicit-def: $sgpr10
	s_and_saveexec_b64 s[8:9], s[6:7]
	s_xor_b64 s[6:7], exec, s[8:9]
	s_cbranch_execnz .LBB32_2317
; %bb.269:
	s_or_saveexec_b64 s[6:7], s[6:7]
	v_mov_b32_e32 v22, s10
	s_xor_b64 exec, exec, s[6:7]
	s_cbranch_execnz .LBB32_2320
.LBB32_270:
	s_or_b64 exec, exec, s[6:7]
	s_and_saveexec_b64 s[6:7], s[4:5]
	s_cbranch_execz .LBB32_272
.LBB32_271:
	v_bfe_u32 v22, v10, 8, 3
	v_ffbh_u32_e32 v24, v22
	v_min_u32_e32 v24, 32, v24
	v_lshrrev_b16_e32 v23, 3, v21
	v_subrev_u32_e32 v25, 28, v24
	v_and_b32_e32 v23, 15, v23
	v_lshlrev_b32_e32 v21, v25, v21
	v_sub_u32_e32 v24, 29, v24
	v_and_b32_e32 v21, 7, v21
	v_cmp_eq_u16_e32 vcc, 0, v23
	v_cndmask_b32_e32 v21, v22, v21, vcc
	v_cndmask_b32_e32 v22, v23, v24, vcc
	v_lshlrev_b32_e32 v23, 16, v10
	v_mov_b32_e32 v24, 0x3b800000
	v_lshlrev_b32_e32 v21, 20, v21
	v_and_b32_e32 v23, 0x80000000, v23
	v_lshl_add_u32 v22, v22, 23, v24
	v_or3_b32 v22, v23, v22, v21
.LBB32_272:
	s_or_b64 exec, exec, s[6:7]
	s_nop 0
	v_mfma_f32_16x16x4f32 a[0:3], v20, v22, a[0:3]
	s_movk_i32 s4, 0xff
	v_and_b32_sdwa v21, v14, s4 dst_sel:DWORD dst_unused:UNUSED_PAD src0_sel:WORD_1 src1_sel:DWORD
	s_movk_i32 s4, 0x7f
	v_cmp_lt_i16_e32 vcc, s4, v21
	s_mov_b64 s[4:5], 0
                                        ; implicit-def: $sgpr10
	s_and_saveexec_b64 s[6:7], vcc
	s_xor_b64 s[6:7], exec, s[6:7]
	s_cbranch_execnz .LBB32_2321
; %bb.273:
	s_or_saveexec_b64 s[6:7], s[6:7]
	v_mov_b32_e32 v20, s10
	s_xor_b64 exec, exec, s[6:7]
	s_cbranch_execnz .LBB32_2324
.LBB32_274:
	s_or_b64 exec, exec, s[6:7]
	s_and_saveexec_b64 s[6:7], s[4:5]
	s_cbranch_execz .LBB32_276
.LBB32_275:
	v_bfe_u32 v20, v14, 16, 3
	v_ffbh_u32_e32 v23, v20
	v_min_u32_e32 v23, 32, v23
	v_lshrrev_b32_e32 v21, 19, v14
	v_subrev_u32_e32 v24, 28, v23
	v_and_b32_e32 v21, 15, v21
	v_lshlrev_b32_sdwa v24, v24, v14 dst_sel:DWORD dst_unused:UNUSED_PAD src0_sel:DWORD src1_sel:WORD_1
	v_bfe_u32 v22, v14, 19, 4
	v_sub_u32_e32 v23, 29, v23
	v_and_b32_e32 v24, 7, v24
	v_cmp_eq_u16_e32 vcc, 0, v21
	v_cndmask_b32_e32 v20, v20, v24, vcc
	v_cndmask_b32_e32 v21, v22, v23, vcc
	v_lshlrev_b32_e32 v22, 8, v14
	v_mov_b32_e32 v23, 0x3b800000
	v_lshlrev_b32_e32 v20, 20, v20
	v_and_b32_e32 v22, 0x80000000, v22
	v_lshl_add_u32 v21, v21, 23, v23
	v_or3_b32 v20, v22, v21, v20
.LBB32_276:
	s_or_b64 exec, exec, s[6:7]
	s_movk_i32 s4, 0xff
	v_and_b32_sdwa v21, v10, s4 dst_sel:DWORD dst_unused:UNUSED_PAD src0_sel:WORD_1 src1_sel:DWORD
	s_movk_i32 s4, 0x7f
	v_cmp_lt_i16_e32 vcc, s4, v21
	s_mov_b64 s[4:5], 0
                                        ; implicit-def: $sgpr10
	s_and_saveexec_b64 s[6:7], vcc
	s_xor_b64 s[6:7], exec, s[6:7]
	s_cbranch_execnz .LBB32_2325
; %bb.277:
	s_or_saveexec_b64 s[6:7], s[6:7]
	v_mov_b32_e32 v22, s10
	s_xor_b64 exec, exec, s[6:7]
	s_cbranch_execnz .LBB32_2328
.LBB32_278:
	s_or_b64 exec, exec, s[6:7]
	s_and_saveexec_b64 s[6:7], s[4:5]
	s_cbranch_execz .LBB32_280
.LBB32_279:
	v_bfe_u32 v21, v10, 16, 3
	v_ffbh_u32_e32 v24, v21
	v_min_u32_e32 v24, 32, v24
	v_lshrrev_b32_e32 v22, 19, v10
	v_subrev_u32_e32 v25, 28, v24
	v_and_b32_e32 v22, 15, v22
	v_lshlrev_b32_sdwa v25, v25, v10 dst_sel:DWORD dst_unused:UNUSED_PAD src0_sel:DWORD src1_sel:WORD_1
	v_bfe_u32 v23, v10, 19, 4
	v_sub_u32_e32 v24, 29, v24
	v_and_b32_e32 v25, 7, v25
	v_cmp_eq_u16_e32 vcc, 0, v22
	v_cndmask_b32_e32 v21, v21, v25, vcc
	v_cndmask_b32_e32 v22, v23, v24, vcc
	v_lshlrev_b32_e32 v23, 8, v10
	v_mov_b32_e32 v24, 0x3b800000
	v_lshlrev_b32_e32 v21, 20, v21
	v_and_b32_e32 v23, 0x80000000, v23
	v_lshl_add_u32 v22, v22, 23, v24
	v_or3_b32 v22, v23, v22, v21
.LBB32_280:
	s_or_b64 exec, exec, s[6:7]
	s_nop 0
	v_mfma_f32_16x16x4f32 a[0:3], v20, v22, a[0:3]
	s_movk_i32 s4, 0x7f
	v_cmp_gt_i16_sdwa s[6:7], v14, s4 src0_sel:BYTE_3 src1_sel:DWORD
	s_mov_b64 s[4:5], 0
                                        ; implicit-def: $sgpr10
	s_and_saveexec_b64 s[8:9], s[6:7]
	s_xor_b64 s[6:7], exec, s[8:9]
	s_cbranch_execnz .LBB32_2329
; %bb.281:
	s_or_saveexec_b64 s[6:7], s[6:7]
	v_mov_b32_e32 v20, s10
	s_xor_b64 exec, exec, s[6:7]
	s_cbranch_execnz .LBB32_2332
.LBB32_282:
	s_or_b64 exec, exec, s[6:7]
	s_and_saveexec_b64 s[6:7], s[4:5]
	s_cbranch_execz .LBB32_284
.LBB32_283:
	v_bfe_u32 v20, v14, 24, 3
	v_ffbh_u32_e32 v24, v20
	v_min_u32_e32 v24, 32, v24
	v_lshrrev_b32_e32 v22, 27, v14
	v_subrev_u32_e32 v25, 28, v24
	v_and_b32_e32 v21, 0x80000000, v14
	v_and_b32_e32 v22, 15, v22
	v_bfe_u32 v23, v14, 27, 4
	v_lshlrev_b32_sdwa v14, v25, v14 dst_sel:DWORD dst_unused:UNUSED_PAD src0_sel:DWORD src1_sel:BYTE_3
	v_sub_u32_e32 v24, 29, v24
	v_and_b32_e32 v14, 7, v14
	v_cmp_eq_u16_e32 vcc, 0, v22
	v_cndmask_b32_e32 v14, v20, v14, vcc
	v_cndmask_b32_e32 v20, v23, v24, vcc
	v_mov_b32_e32 v22, 0x3b800000
	v_lshlrev_b32_e32 v14, 20, v14
	v_lshl_add_u32 v20, v20, 23, v22
	v_or3_b32 v20, v21, v20, v14
.LBB32_284:
	s_or_b64 exec, exec, s[6:7]
	s_movk_i32 s4, 0x7f
	v_cmp_gt_i16_sdwa s[6:7], v10, s4 src0_sel:BYTE_3 src1_sel:DWORD
	s_mov_b64 s[4:5], 0
                                        ; implicit-def: $sgpr10
	s_and_saveexec_b64 s[8:9], s[6:7]
	s_xor_b64 s[6:7], exec, s[8:9]
	s_cbranch_execnz .LBB32_2333
; %bb.285:
	s_or_saveexec_b64 s[6:7], s[6:7]
	v_mov_b32_e32 v14, s10
	s_xor_b64 exec, exec, s[6:7]
	s_cbranch_execnz .LBB32_2336
.LBB32_286:
	s_or_b64 exec, exec, s[6:7]
	s_and_saveexec_b64 s[6:7], s[4:5]
	s_cbranch_execz .LBB32_288
.LBB32_287:
	v_bfe_u32 v14, v10, 24, 3
	v_ffbh_u32_e32 v24, v14
	v_min_u32_e32 v24, 32, v24
	v_lshrrev_b32_e32 v22, 27, v10
	v_subrev_u32_e32 v25, 28, v24
	v_and_b32_e32 v21, 0x80000000, v10
	v_and_b32_e32 v22, 15, v22
	v_bfe_u32 v23, v10, 27, 4
	v_lshlrev_b32_sdwa v10, v25, v10 dst_sel:DWORD dst_unused:UNUSED_PAD src0_sel:DWORD src1_sel:BYTE_3
	v_sub_u32_e32 v24, 29, v24
	v_and_b32_e32 v10, 7, v10
	v_cmp_eq_u16_e32 vcc, 0, v22
	v_cndmask_b32_e32 v10, v14, v10, vcc
	v_cndmask_b32_e32 v14, v23, v24, vcc
	v_mov_b32_e32 v22, 0x3b800000
	v_lshlrev_b32_e32 v10, 20, v10
	v_lshl_add_u32 v14, v14, 23, v22
	v_or3_b32 v14, v21, v14, v10
.LBB32_288:
	s_or_b64 exec, exec, s[6:7]
	s_nop 0
	v_mfma_f32_16x16x4f32 a[0:3], v20, v14, a[0:3]
	s_movk_i32 s4, 0x7f
	v_cmp_gt_i16_sdwa s[6:7], v15, s4 src0_sel:BYTE_0 src1_sel:DWORD
	s_mov_b64 s[4:5], 0
                                        ; implicit-def: $sgpr10
	s_and_saveexec_b64 s[8:9], s[6:7]
	s_xor_b64 s[6:7], exec, s[8:9]
	s_cbranch_execnz .LBB32_2337
; %bb.289:
	s_or_saveexec_b64 s[6:7], s[6:7]
	v_mov_b32_e32 v10, s10
	s_xor_b64 exec, exec, s[6:7]
	s_cbranch_execnz .LBB32_2340
.LBB32_290:
	s_or_b64 exec, exec, s[6:7]
	s_and_saveexec_b64 s[6:7], s[4:5]
	s_cbranch_execz .LBB32_292
.LBB32_291:
	v_and_b32_e32 v10, 7, v15
	v_ffbh_u32_e32 v20, v10
	v_min_u32_e32 v20, 32, v20
	v_lshrrev_b16_e32 v14, 3, v15
	v_subrev_u32_e32 v21, 28, v20
	v_and_b32_e32 v14, 15, v14
	v_lshlrev_b32_e32 v21, v21, v15
	v_sub_u32_e32 v20, 29, v20
	v_and_b32_e32 v21, 7, v21
	v_cmp_eq_u16_e32 vcc, 0, v14
	v_cndmask_b32_e32 v10, v10, v21, vcc
	v_cndmask_b32_e32 v14, v14, v20, vcc
	v_lshlrev_b32_e32 v20, 24, v15
	v_mov_b32_e32 v21, 0x3b800000
	v_lshlrev_b32_e32 v10, 20, v10
	v_and_b32_e32 v20, 0x80000000, v20
	v_lshl_add_u32 v14, v14, 23, v21
	v_or3_b32 v10, v20, v14, v10
.LBB32_292:
	s_or_b64 exec, exec, s[6:7]
	s_movk_i32 s4, 0x7f
	v_cmp_gt_i16_sdwa s[6:7], v11, s4 src0_sel:BYTE_0 src1_sel:DWORD
	s_mov_b64 s[4:5], 0
                                        ; implicit-def: $sgpr10
	s_and_saveexec_b64 s[8:9], s[6:7]
	s_xor_b64 s[6:7], exec, s[8:9]
	s_cbranch_execnz .LBB32_2341
; %bb.293:
	s_or_saveexec_b64 s[6:7], s[6:7]
	v_mov_b32_e32 v14, s10
	s_xor_b64 exec, exec, s[6:7]
	s_cbranch_execnz .LBB32_2344
.LBB32_294:
	s_or_b64 exec, exec, s[6:7]
	s_and_saveexec_b64 s[6:7], s[4:5]
	s_cbranch_execz .LBB32_296
.LBB32_295:
	v_and_b32_e32 v14, 7, v11
	v_ffbh_u32_e32 v21, v14
	v_min_u32_e32 v21, 32, v21
	v_lshrrev_b16_e32 v20, 3, v11
	v_subrev_u32_e32 v22, 28, v21
	v_and_b32_e32 v20, 15, v20
	v_lshlrev_b32_e32 v22, v22, v11
	v_sub_u32_e32 v21, 29, v21
	v_and_b32_e32 v22, 7, v22
	v_cmp_eq_u16_e32 vcc, 0, v20
	v_cndmask_b32_e32 v14, v14, v22, vcc
	v_cndmask_b32_e32 v20, v20, v21, vcc
	v_lshlrev_b32_e32 v21, 24, v11
	v_mov_b32_e32 v22, 0x3b800000
	v_lshlrev_b32_e32 v14, 20, v14
	v_and_b32_e32 v21, 0x80000000, v21
	v_lshl_add_u32 v20, v20, 23, v22
	v_or3_b32 v14, v21, v20, v14
.LBB32_296:
	s_or_b64 exec, exec, s[6:7]
	s_nop 0
	v_mfma_f32_16x16x4f32 a[0:3], v10, v14, a[0:3]
	v_lshrrev_b32_e32 v14, 8, v15
	s_movk_i32 s4, 0x7f
	v_cmp_gt_i16_sdwa s[6:7], v14, s4 src0_sel:BYTE_0 src1_sel:DWORD
	s_mov_b64 s[4:5], 0
                                        ; implicit-def: $sgpr10
	s_and_saveexec_b64 s[8:9], s[6:7]
	s_xor_b64 s[6:7], exec, s[8:9]
	s_cbranch_execnz .LBB32_2345
; %bb.297:
	s_or_saveexec_b64 s[6:7], s[6:7]
	v_mov_b32_e32 v10, s10
	s_xor_b64 exec, exec, s[6:7]
	s_cbranch_execnz .LBB32_2348
.LBB32_298:
	s_or_b64 exec, exec, s[6:7]
	s_and_saveexec_b64 s[6:7], s[4:5]
	s_cbranch_execz .LBB32_300
.LBB32_299:
	v_bfe_u32 v10, v15, 8, 3
	v_ffbh_u32_e32 v21, v10
	v_min_u32_e32 v21, 32, v21
	v_lshrrev_b16_e32 v20, 3, v14
	v_subrev_u32_e32 v22, 28, v21
	v_and_b32_e32 v20, 15, v20
	v_lshlrev_b32_e32 v14, v22, v14
	v_sub_u32_e32 v21, 29, v21
	v_and_b32_e32 v14, 7, v14
	v_cmp_eq_u16_e32 vcc, 0, v20
	v_cndmask_b32_e32 v10, v10, v14, vcc
	v_cndmask_b32_e32 v14, v20, v21, vcc
	v_lshlrev_b32_e32 v20, 16, v15
	v_mov_b32_e32 v21, 0x3b800000
	v_lshlrev_b32_e32 v10, 20, v10
	v_and_b32_e32 v20, 0x80000000, v20
	v_lshl_add_u32 v14, v14, 23, v21
	v_or3_b32 v10, v20, v14, v10
.LBB32_300:
	s_or_b64 exec, exec, s[6:7]
	v_lshrrev_b32_e32 v14, 8, v11
	s_movk_i32 s4, 0x7f
	v_cmp_gt_i16_sdwa s[6:7], v14, s4 src0_sel:BYTE_0 src1_sel:DWORD
	s_mov_b64 s[4:5], 0
                                        ; implicit-def: $sgpr10
	s_and_saveexec_b64 s[8:9], s[6:7]
	s_xor_b64 s[6:7], exec, s[8:9]
	s_cbranch_execnz .LBB32_2349
; %bb.301:
	s_or_saveexec_b64 s[6:7], s[6:7]
	v_mov_b32_e32 v20, s10
	s_xor_b64 exec, exec, s[6:7]
	s_cbranch_execnz .LBB32_2352
.LBB32_302:
	s_or_b64 exec, exec, s[6:7]
	s_and_saveexec_b64 s[6:7], s[4:5]
	s_cbranch_execz .LBB32_304
.LBB32_303:
	v_bfe_u32 v20, v11, 8, 3
	v_ffbh_u32_e32 v22, v20
	v_min_u32_e32 v22, 32, v22
	v_lshrrev_b16_e32 v21, 3, v14
	v_subrev_u32_e32 v23, 28, v22
	v_and_b32_e32 v21, 15, v21
	v_lshlrev_b32_e32 v14, v23, v14
	v_sub_u32_e32 v22, 29, v22
	v_and_b32_e32 v14, 7, v14
	v_cmp_eq_u16_e32 vcc, 0, v21
	v_cndmask_b32_e32 v14, v20, v14, vcc
	v_cndmask_b32_e32 v20, v21, v22, vcc
	v_lshlrev_b32_e32 v21, 16, v11
	v_mov_b32_e32 v22, 0x3b800000
	v_lshlrev_b32_e32 v14, 20, v14
	v_and_b32_e32 v21, 0x80000000, v21
	v_lshl_add_u32 v20, v20, 23, v22
	v_or3_b32 v20, v21, v20, v14
.LBB32_304:
	s_or_b64 exec, exec, s[6:7]
	s_nop 0
	v_mfma_f32_16x16x4f32 a[0:3], v10, v20, a[0:3]
	s_movk_i32 s4, 0xff
	v_and_b32_sdwa v14, v15, s4 dst_sel:DWORD dst_unused:UNUSED_PAD src0_sel:WORD_1 src1_sel:DWORD
	s_movk_i32 s4, 0x7f
	v_cmp_lt_i16_e32 vcc, s4, v14
	s_mov_b64 s[4:5], 0
                                        ; implicit-def: $sgpr10
	s_and_saveexec_b64 s[6:7], vcc
	s_xor_b64 s[6:7], exec, s[6:7]
	s_cbranch_execnz .LBB32_2353
; %bb.305:
	s_or_saveexec_b64 s[6:7], s[6:7]
	v_mov_b32_e32 v10, s10
	s_xor_b64 exec, exec, s[6:7]
	s_cbranch_execnz .LBB32_2356
.LBB32_306:
	s_or_b64 exec, exec, s[6:7]
	s_and_saveexec_b64 s[6:7], s[4:5]
	s_cbranch_execz .LBB32_308
.LBB32_307:
	v_bfe_u32 v10, v15, 16, 3
	v_ffbh_u32_e32 v21, v10
	v_min_u32_e32 v21, 32, v21
	v_lshrrev_b32_e32 v14, 19, v15
	v_subrev_u32_e32 v22, 28, v21
	v_and_b32_e32 v14, 15, v14
	v_lshlrev_b32_sdwa v22, v22, v15 dst_sel:DWORD dst_unused:UNUSED_PAD src0_sel:DWORD src1_sel:WORD_1
	v_bfe_u32 v20, v15, 19, 4
	v_sub_u32_e32 v21, 29, v21
	v_and_b32_e32 v22, 7, v22
	v_cmp_eq_u16_e32 vcc, 0, v14
	v_cndmask_b32_e32 v10, v10, v22, vcc
	v_cndmask_b32_e32 v14, v20, v21, vcc
	v_lshlrev_b32_e32 v20, 8, v15
	v_mov_b32_e32 v21, 0x3b800000
	v_lshlrev_b32_e32 v10, 20, v10
	v_and_b32_e32 v20, 0x80000000, v20
	v_lshl_add_u32 v14, v14, 23, v21
	v_or3_b32 v10, v20, v14, v10
.LBB32_308:
	s_or_b64 exec, exec, s[6:7]
	s_movk_i32 s4, 0xff
	v_and_b32_sdwa v14, v11, s4 dst_sel:DWORD dst_unused:UNUSED_PAD src0_sel:WORD_1 src1_sel:DWORD
	s_movk_i32 s4, 0x7f
	v_cmp_lt_i16_e32 vcc, s4, v14
	s_mov_b64 s[4:5], 0
                                        ; implicit-def: $sgpr10
	s_and_saveexec_b64 s[6:7], vcc
	s_xor_b64 s[6:7], exec, s[6:7]
	s_cbranch_execnz .LBB32_2357
; %bb.309:
	s_or_saveexec_b64 s[6:7], s[6:7]
	v_mov_b32_e32 v20, s10
	s_xor_b64 exec, exec, s[6:7]
	s_cbranch_execnz .LBB32_2360
.LBB32_310:
	s_or_b64 exec, exec, s[6:7]
	s_and_saveexec_b64 s[6:7], s[4:5]
	s_cbranch_execz .LBB32_312
.LBB32_311:
	v_bfe_u32 v14, v11, 16, 3
	v_ffbh_u32_e32 v22, v14
	v_min_u32_e32 v22, 32, v22
	v_lshrrev_b32_e32 v20, 19, v11
	v_subrev_u32_e32 v23, 28, v22
	v_and_b32_e32 v20, 15, v20
	v_lshlrev_b32_sdwa v23, v23, v11 dst_sel:DWORD dst_unused:UNUSED_PAD src0_sel:DWORD src1_sel:WORD_1
	v_bfe_u32 v21, v11, 19, 4
	v_sub_u32_e32 v22, 29, v22
	v_and_b32_e32 v23, 7, v23
	v_cmp_eq_u16_e32 vcc, 0, v20
	v_cndmask_b32_e32 v14, v14, v23, vcc
	v_cndmask_b32_e32 v20, v21, v22, vcc
	v_lshlrev_b32_e32 v21, 8, v11
	v_mov_b32_e32 v22, 0x3b800000
	v_lshlrev_b32_e32 v14, 20, v14
	v_and_b32_e32 v21, 0x80000000, v21
	v_lshl_add_u32 v20, v20, 23, v22
	v_or3_b32 v20, v21, v20, v14
.LBB32_312:
	s_or_b64 exec, exec, s[6:7]
	s_nop 0
	v_mfma_f32_16x16x4f32 a[0:3], v10, v20, a[0:3]
	s_movk_i32 s4, 0x7f
	v_cmp_gt_i16_sdwa s[6:7], v15, s4 src0_sel:BYTE_3 src1_sel:DWORD
	s_mov_b64 s[4:5], 0
                                        ; implicit-def: $sgpr10
	s_and_saveexec_b64 s[8:9], s[6:7]
	s_xor_b64 s[6:7], exec, s[8:9]
	s_cbranch_execnz .LBB32_2361
; %bb.313:
	s_or_saveexec_b64 s[6:7], s[6:7]
	v_mov_b32_e32 v10, s10
	s_xor_b64 exec, exec, s[6:7]
	s_cbranch_execnz .LBB32_2364
.LBB32_314:
	s_or_b64 exec, exec, s[6:7]
	s_and_saveexec_b64 s[6:7], s[4:5]
	s_cbranch_execz .LBB32_316
.LBB32_315:
	v_bfe_u32 v10, v15, 24, 3
	v_ffbh_u32_e32 v22, v10
	v_min_u32_e32 v22, 32, v22
	v_lshrrev_b32_e32 v20, 27, v15
	v_subrev_u32_e32 v23, 28, v22
	v_and_b32_e32 v14, 0x80000000, v15
	v_and_b32_e32 v20, 15, v20
	v_bfe_u32 v21, v15, 27, 4
	v_lshlrev_b32_sdwa v15, v23, v15 dst_sel:DWORD dst_unused:UNUSED_PAD src0_sel:DWORD src1_sel:BYTE_3
	v_sub_u32_e32 v22, 29, v22
	v_and_b32_e32 v15, 7, v15
	v_cmp_eq_u16_e32 vcc, 0, v20
	v_cndmask_b32_e32 v10, v10, v15, vcc
	v_cndmask_b32_e32 v15, v21, v22, vcc
	v_mov_b32_e32 v20, 0x3b800000
	v_lshlrev_b32_e32 v10, 20, v10
	v_lshl_add_u32 v15, v15, 23, v20
	v_or3_b32 v10, v14, v15, v10
.LBB32_316:
	s_or_b64 exec, exec, s[6:7]
	s_movk_i32 s4, 0x7f
	v_cmp_gt_i16_sdwa s[6:7], v11, s4 src0_sel:BYTE_3 src1_sel:DWORD
	s_mov_b64 s[4:5], 0
                                        ; implicit-def: $sgpr10
	s_and_saveexec_b64 s[8:9], s[6:7]
	s_xor_b64 s[6:7], exec, s[8:9]
	s_cbranch_execnz .LBB32_2365
; %bb.317:
	s_or_saveexec_b64 s[6:7], s[6:7]
	v_mov_b32_e32 v14, s10
	s_xor_b64 exec, exec, s[6:7]
	s_cbranch_execnz .LBB32_2368
.LBB32_318:
	s_or_b64 exec, exec, s[6:7]
	s_and_saveexec_b64 s[6:7], s[4:5]
	s_cbranch_execz .LBB32_320
.LBB32_319:
	v_bfe_u32 v14, v11, 24, 3
	v_ffbh_u32_e32 v22, v14
	v_min_u32_e32 v22, 32, v22
	v_lshrrev_b32_e32 v20, 27, v11
	v_subrev_u32_e32 v23, 28, v22
	v_and_b32_e32 v15, 0x80000000, v11
	v_and_b32_e32 v20, 15, v20
	v_bfe_u32 v21, v11, 27, 4
	v_lshlrev_b32_sdwa v11, v23, v11 dst_sel:DWORD dst_unused:UNUSED_PAD src0_sel:DWORD src1_sel:BYTE_3
	v_sub_u32_e32 v22, 29, v22
	v_and_b32_e32 v11, 7, v11
	v_cmp_eq_u16_e32 vcc, 0, v20
	v_cndmask_b32_e32 v11, v14, v11, vcc
	v_cndmask_b32_e32 v14, v21, v22, vcc
	v_mov_b32_e32 v20, 0x3b800000
	v_lshlrev_b32_e32 v11, 20, v11
	v_lshl_add_u32 v14, v14, 23, v20
	v_or3_b32 v14, v15, v14, v11
.LBB32_320:
	s_or_b64 exec, exec, s[6:7]
	s_nop 0
	v_mfma_f32_16x16x4f32 a[0:3], v10, v14, a[0:3]
	s_movk_i32 s4, 0x7f
	v_cmp_gt_i16_sdwa s[6:7], v16, s4 src0_sel:BYTE_0 src1_sel:DWORD
	s_mov_b64 s[4:5], 0
                                        ; implicit-def: $sgpr10
	s_and_saveexec_b64 s[8:9], s[6:7]
	s_xor_b64 s[6:7], exec, s[8:9]
	s_cbranch_execnz .LBB32_2369
; %bb.321:
	s_or_saveexec_b64 s[6:7], s[6:7]
	v_mov_b32_e32 v10, s10
	s_xor_b64 exec, exec, s[6:7]
	s_cbranch_execnz .LBB32_2372
.LBB32_322:
	s_or_b64 exec, exec, s[6:7]
	s_and_saveexec_b64 s[6:7], s[4:5]
	s_cbranch_execz .LBB32_324
.LBB32_323:
	v_and_b32_e32 v10, 7, v16
	v_ffbh_u32_e32 v14, v10
	v_min_u32_e32 v14, 32, v14
	v_lshrrev_b16_e32 v11, 3, v16
	v_subrev_u32_e32 v15, 28, v14
	v_and_b32_e32 v11, 15, v11
	v_lshlrev_b32_e32 v15, v15, v16
	v_sub_u32_e32 v14, 29, v14
	v_and_b32_e32 v15, 7, v15
	v_cmp_eq_u16_e32 vcc, 0, v11
	v_cndmask_b32_e32 v10, v10, v15, vcc
	v_cndmask_b32_e32 v11, v11, v14, vcc
	v_lshlrev_b32_e32 v14, 24, v16
	v_mov_b32_e32 v15, 0x3b800000
	v_lshlrev_b32_e32 v10, 20, v10
	v_and_b32_e32 v14, 0x80000000, v14
	v_lshl_add_u32 v11, v11, 23, v15
	v_or3_b32 v10, v14, v11, v10
.LBB32_324:
	s_or_b64 exec, exec, s[6:7]
	s_movk_i32 s4, 0x7f
	v_cmp_gt_i16_sdwa s[6:7], v12, s4 src0_sel:BYTE_0 src1_sel:DWORD
	s_mov_b64 s[4:5], 0
                                        ; implicit-def: $sgpr10
	s_and_saveexec_b64 s[8:9], s[6:7]
	s_xor_b64 s[6:7], exec, s[8:9]
	s_cbranch_execnz .LBB32_2373
; %bb.325:
	s_or_saveexec_b64 s[6:7], s[6:7]
	v_mov_b32_e32 v11, s10
	s_xor_b64 exec, exec, s[6:7]
	s_cbranch_execnz .LBB32_2376
.LBB32_326:
	s_or_b64 exec, exec, s[6:7]
	s_and_saveexec_b64 s[6:7], s[4:5]
	s_cbranch_execz .LBB32_328
.LBB32_327:
	v_and_b32_e32 v11, 7, v12
	v_ffbh_u32_e32 v15, v11
	v_min_u32_e32 v15, 32, v15
	v_lshrrev_b16_e32 v14, 3, v12
	v_subrev_u32_e32 v20, 28, v15
	v_and_b32_e32 v14, 15, v14
	v_lshlrev_b32_e32 v20, v20, v12
	v_sub_u32_e32 v15, 29, v15
	v_and_b32_e32 v20, 7, v20
	v_cmp_eq_u16_e32 vcc, 0, v14
	v_cndmask_b32_e32 v11, v11, v20, vcc
	v_cndmask_b32_e32 v14, v14, v15, vcc
	v_lshlrev_b32_e32 v15, 24, v12
	v_mov_b32_e32 v20, 0x3b800000
	v_lshlrev_b32_e32 v11, 20, v11
	v_and_b32_e32 v15, 0x80000000, v15
	v_lshl_add_u32 v14, v14, 23, v20
	v_or3_b32 v11, v15, v14, v11
.LBB32_328:
	s_or_b64 exec, exec, s[6:7]
	s_nop 0
	v_mfma_f32_16x16x4f32 a[0:3], v10, v11, a[0:3]
	v_lshrrev_b32_e32 v11, 8, v16
	s_movk_i32 s4, 0x7f
	v_cmp_gt_i16_sdwa s[6:7], v11, s4 src0_sel:BYTE_0 src1_sel:DWORD
	s_mov_b64 s[4:5], 0
                                        ; implicit-def: $sgpr10
	s_and_saveexec_b64 s[8:9], s[6:7]
	s_xor_b64 s[6:7], exec, s[8:9]
	s_cbranch_execnz .LBB32_2377
; %bb.329:
	s_or_saveexec_b64 s[6:7], s[6:7]
	v_mov_b32_e32 v10, s10
	s_xor_b64 exec, exec, s[6:7]
	s_cbranch_execnz .LBB32_2380
.LBB32_330:
	s_or_b64 exec, exec, s[6:7]
	s_and_saveexec_b64 s[6:7], s[4:5]
	s_cbranch_execz .LBB32_332
.LBB32_331:
	v_bfe_u32 v10, v16, 8, 3
	v_ffbh_u32_e32 v15, v10
	v_min_u32_e32 v15, 32, v15
	v_lshrrev_b16_e32 v14, 3, v11
	v_subrev_u32_e32 v20, 28, v15
	v_and_b32_e32 v14, 15, v14
	v_lshlrev_b32_e32 v11, v20, v11
	v_sub_u32_e32 v15, 29, v15
	v_and_b32_e32 v11, 7, v11
	v_cmp_eq_u16_e32 vcc, 0, v14
	v_cndmask_b32_e32 v10, v10, v11, vcc
	v_cndmask_b32_e32 v11, v14, v15, vcc
	v_lshlrev_b32_e32 v14, 16, v16
	v_mov_b32_e32 v15, 0x3b800000
	v_lshlrev_b32_e32 v10, 20, v10
	v_and_b32_e32 v14, 0x80000000, v14
	v_lshl_add_u32 v11, v11, 23, v15
	v_or3_b32 v10, v14, v11, v10
.LBB32_332:
	s_or_b64 exec, exec, s[6:7]
	v_lshrrev_b32_e32 v11, 8, v12
	s_movk_i32 s4, 0x7f
	v_cmp_gt_i16_sdwa s[6:7], v11, s4 src0_sel:BYTE_0 src1_sel:DWORD
	s_mov_b64 s[4:5], 0
                                        ; implicit-def: $sgpr10
	s_and_saveexec_b64 s[8:9], s[6:7]
	s_xor_b64 s[6:7], exec, s[8:9]
	s_cbranch_execnz .LBB32_2381
; %bb.333:
	s_or_saveexec_b64 s[6:7], s[6:7]
	v_mov_b32_e32 v14, s10
	s_xor_b64 exec, exec, s[6:7]
	s_cbranch_execnz .LBB32_2384
.LBB32_334:
	s_or_b64 exec, exec, s[6:7]
	s_and_saveexec_b64 s[6:7], s[4:5]
	s_cbranch_execz .LBB32_336
.LBB32_335:
	v_bfe_u32 v14, v12, 8, 3
	v_ffbh_u32_e32 v20, v14
	v_min_u32_e32 v20, 32, v20
	v_lshrrev_b16_e32 v15, 3, v11
	v_subrev_u32_e32 v21, 28, v20
	v_and_b32_e32 v15, 15, v15
	v_lshlrev_b32_e32 v11, v21, v11
	v_sub_u32_e32 v20, 29, v20
	v_and_b32_e32 v11, 7, v11
	v_cmp_eq_u16_e32 vcc, 0, v15
	v_cndmask_b32_e32 v11, v14, v11, vcc
	v_cndmask_b32_e32 v14, v15, v20, vcc
	v_lshlrev_b32_e32 v15, 16, v12
	v_mov_b32_e32 v20, 0x3b800000
	v_lshlrev_b32_e32 v11, 20, v11
	v_and_b32_e32 v15, 0x80000000, v15
	v_lshl_add_u32 v14, v14, 23, v20
	v_or3_b32 v14, v15, v14, v11
.LBB32_336:
	s_or_b64 exec, exec, s[6:7]
	s_nop 0
	v_mfma_f32_16x16x4f32 a[0:3], v10, v14, a[0:3]
	s_movk_i32 s4, 0xff
	v_and_b32_sdwa v11, v16, s4 dst_sel:DWORD dst_unused:UNUSED_PAD src0_sel:WORD_1 src1_sel:DWORD
	s_movk_i32 s4, 0x7f
	v_cmp_lt_i16_e32 vcc, s4, v11
	s_mov_b64 s[4:5], 0
                                        ; implicit-def: $sgpr10
	s_and_saveexec_b64 s[6:7], vcc
	s_xor_b64 s[6:7], exec, s[6:7]
	s_cbranch_execnz .LBB32_2385
; %bb.337:
	s_or_saveexec_b64 s[6:7], s[6:7]
	v_mov_b32_e32 v10, s10
	s_xor_b64 exec, exec, s[6:7]
	s_cbranch_execnz .LBB32_2388
.LBB32_338:
	s_or_b64 exec, exec, s[6:7]
	s_and_saveexec_b64 s[6:7], s[4:5]
	s_cbranch_execz .LBB32_340
.LBB32_339:
	v_bfe_u32 v10, v16, 16, 3
	v_ffbh_u32_e32 v15, v10
	v_min_u32_e32 v15, 32, v15
	v_lshrrev_b32_e32 v11, 19, v16
	v_subrev_u32_e32 v20, 28, v15
	v_and_b32_e32 v11, 15, v11
	v_lshlrev_b32_sdwa v20, v20, v16 dst_sel:DWORD dst_unused:UNUSED_PAD src0_sel:DWORD src1_sel:WORD_1
	v_bfe_u32 v14, v16, 19, 4
	v_sub_u32_e32 v15, 29, v15
	v_and_b32_e32 v20, 7, v20
	v_cmp_eq_u16_e32 vcc, 0, v11
	v_cndmask_b32_e32 v10, v10, v20, vcc
	v_cndmask_b32_e32 v11, v14, v15, vcc
	v_lshlrev_b32_e32 v14, 8, v16
	v_mov_b32_e32 v15, 0x3b800000
	v_lshlrev_b32_e32 v10, 20, v10
	v_and_b32_e32 v14, 0x80000000, v14
	v_lshl_add_u32 v11, v11, 23, v15
	v_or3_b32 v10, v14, v11, v10
.LBB32_340:
	s_or_b64 exec, exec, s[6:7]
	s_movk_i32 s4, 0xff
	v_and_b32_sdwa v11, v12, s4 dst_sel:DWORD dst_unused:UNUSED_PAD src0_sel:WORD_1 src1_sel:DWORD
	s_movk_i32 s4, 0x7f
	v_cmp_lt_i16_e32 vcc, s4, v11
	s_mov_b64 s[4:5], 0
                                        ; implicit-def: $sgpr10
	s_and_saveexec_b64 s[6:7], vcc
	s_xor_b64 s[6:7], exec, s[6:7]
	s_cbranch_execnz .LBB32_2389
; %bb.341:
	s_or_saveexec_b64 s[6:7], s[6:7]
	v_mov_b32_e32 v14, s10
	s_xor_b64 exec, exec, s[6:7]
	s_cbranch_execnz .LBB32_2392
.LBB32_342:
	s_or_b64 exec, exec, s[6:7]
	s_and_saveexec_b64 s[6:7], s[4:5]
	s_cbranch_execz .LBB32_344
.LBB32_343:
	v_bfe_u32 v11, v12, 16, 3
	v_ffbh_u32_e32 v20, v11
	v_min_u32_e32 v20, 32, v20
	v_lshrrev_b32_e32 v14, 19, v12
	v_subrev_u32_e32 v21, 28, v20
	v_and_b32_e32 v14, 15, v14
	v_lshlrev_b32_sdwa v21, v21, v12 dst_sel:DWORD dst_unused:UNUSED_PAD src0_sel:DWORD src1_sel:WORD_1
	v_bfe_u32 v15, v12, 19, 4
	v_sub_u32_e32 v20, 29, v20
	v_and_b32_e32 v21, 7, v21
	v_cmp_eq_u16_e32 vcc, 0, v14
	v_cndmask_b32_e32 v11, v11, v21, vcc
	v_cndmask_b32_e32 v14, v15, v20, vcc
	v_lshlrev_b32_e32 v15, 8, v12
	v_mov_b32_e32 v20, 0x3b800000
	v_lshlrev_b32_e32 v11, 20, v11
	v_and_b32_e32 v15, 0x80000000, v15
	v_lshl_add_u32 v14, v14, 23, v20
	v_or3_b32 v14, v15, v14, v11
.LBB32_344:
	s_or_b64 exec, exec, s[6:7]
	s_nop 0
	v_mfma_f32_16x16x4f32 a[0:3], v10, v14, a[0:3]
	s_movk_i32 s4, 0x7f
	v_cmp_gt_i16_sdwa s[6:7], v16, s4 src0_sel:BYTE_3 src1_sel:DWORD
	s_mov_b64 s[4:5], 0
                                        ; implicit-def: $sgpr10
	s_and_saveexec_b64 s[8:9], s[6:7]
	s_xor_b64 s[6:7], exec, s[8:9]
	s_cbranch_execnz .LBB32_2393
; %bb.345:
	s_or_saveexec_b64 s[6:7], s[6:7]
	v_mov_b32_e32 v10, s10
	s_xor_b64 exec, exec, s[6:7]
	s_cbranch_execnz .LBB32_2396
.LBB32_346:
	s_or_b64 exec, exec, s[6:7]
	s_and_saveexec_b64 s[6:7], s[4:5]
	s_cbranch_execz .LBB32_348
.LBB32_347:
	v_bfe_u32 v10, v16, 24, 3
	v_ffbh_u32_e32 v20, v10
	v_min_u32_e32 v20, 32, v20
	v_lshrrev_b32_e32 v14, 27, v16
	v_subrev_u32_e32 v21, 28, v20
	v_and_b32_e32 v11, 0x80000000, v16
	v_and_b32_e32 v14, 15, v14
	v_bfe_u32 v15, v16, 27, 4
	v_lshlrev_b32_sdwa v16, v21, v16 dst_sel:DWORD dst_unused:UNUSED_PAD src0_sel:DWORD src1_sel:BYTE_3
	v_sub_u32_e32 v20, 29, v20
	v_and_b32_e32 v16, 7, v16
	v_cmp_eq_u16_e32 vcc, 0, v14
	v_cndmask_b32_e32 v10, v10, v16, vcc
	v_cndmask_b32_e32 v14, v15, v20, vcc
	v_mov_b32_e32 v15, 0x3b800000
	v_lshlrev_b32_e32 v10, 20, v10
	v_lshl_add_u32 v14, v14, 23, v15
	v_or3_b32 v10, v11, v14, v10
.LBB32_348:
	s_or_b64 exec, exec, s[6:7]
	s_movk_i32 s4, 0x7f
	v_cmp_gt_i16_sdwa s[6:7], v12, s4 src0_sel:BYTE_3 src1_sel:DWORD
	s_mov_b64 s[4:5], 0
                                        ; implicit-def: $sgpr10
	s_and_saveexec_b64 s[8:9], s[6:7]
	s_xor_b64 s[6:7], exec, s[8:9]
	s_cbranch_execnz .LBB32_2397
; %bb.349:
	s_or_saveexec_b64 s[6:7], s[6:7]
	v_mov_b32_e32 v11, s10
	s_xor_b64 exec, exec, s[6:7]
	s_cbranch_execnz .LBB32_2400
.LBB32_350:
	s_or_b64 exec, exec, s[6:7]
	s_and_saveexec_b64 s[6:7], s[4:5]
	s_cbranch_execz .LBB32_352
.LBB32_351:
	v_bfe_u32 v11, v12, 24, 3
	v_ffbh_u32_e32 v20, v11
	v_min_u32_e32 v20, 32, v20
	v_lshrrev_b32_e32 v15, 27, v12
	v_subrev_u32_e32 v21, 28, v20
	v_and_b32_e32 v14, 0x80000000, v12
	v_and_b32_e32 v15, 15, v15
	v_bfe_u32 v16, v12, 27, 4
	v_lshlrev_b32_sdwa v12, v21, v12 dst_sel:DWORD dst_unused:UNUSED_PAD src0_sel:DWORD src1_sel:BYTE_3
	v_sub_u32_e32 v20, 29, v20
	v_and_b32_e32 v12, 7, v12
	v_cmp_eq_u16_e32 vcc, 0, v15
	v_cndmask_b32_e32 v11, v11, v12, vcc
	v_cndmask_b32_e32 v12, v16, v20, vcc
	v_mov_b32_e32 v15, 0x3b800000
	v_lshlrev_b32_e32 v11, 20, v11
	v_lshl_add_u32 v12, v12, 23, v15
	v_or3_b32 v11, v14, v12, v11
.LBB32_352:
	s_or_b64 exec, exec, s[6:7]
	s_nop 0
	v_mfma_f32_16x16x4f32 a[0:3], v10, v11, a[0:3]
	s_movk_i32 s4, 0x7f
	v_cmp_gt_i16_sdwa s[6:7], v17, s4 src0_sel:BYTE_0 src1_sel:DWORD
	s_mov_b64 s[4:5], 0
                                        ; implicit-def: $sgpr10
	s_and_saveexec_b64 s[8:9], s[6:7]
	s_xor_b64 s[6:7], exec, s[8:9]
	s_cbranch_execnz .LBB32_2401
; %bb.353:
	s_or_saveexec_b64 s[6:7], s[6:7]
	v_mov_b32_e32 v10, s10
	s_xor_b64 exec, exec, s[6:7]
	s_cbranch_execnz .LBB32_2404
.LBB32_354:
	s_or_b64 exec, exec, s[6:7]
	s_and_saveexec_b64 s[6:7], s[4:5]
	s_cbranch_execz .LBB32_356
.LBB32_355:
	v_and_b32_e32 v10, 7, v17
	v_ffbh_u32_e32 v12, v10
	v_min_u32_e32 v12, 32, v12
	v_lshrrev_b16_e32 v11, 3, v17
	v_subrev_u32_e32 v14, 28, v12
	v_and_b32_e32 v11, 15, v11
	v_lshlrev_b32_e32 v14, v14, v17
	v_sub_u32_e32 v12, 29, v12
	v_and_b32_e32 v14, 7, v14
	v_cmp_eq_u16_e32 vcc, 0, v11
	v_cndmask_b32_e32 v10, v10, v14, vcc
	v_cndmask_b32_e32 v11, v11, v12, vcc
	v_lshlrev_b32_e32 v12, 24, v17
	v_mov_b32_e32 v14, 0x3b800000
	v_lshlrev_b32_e32 v10, 20, v10
	v_and_b32_e32 v12, 0x80000000, v12
	v_lshl_add_u32 v11, v11, 23, v14
	v_or3_b32 v10, v12, v11, v10
.LBB32_356:
	s_or_b64 exec, exec, s[6:7]
	s_movk_i32 s4, 0x7f
	v_cmp_gt_i16_sdwa s[6:7], v13, s4 src0_sel:BYTE_0 src1_sel:DWORD
	s_mov_b64 s[4:5], 0
                                        ; implicit-def: $sgpr10
	s_and_saveexec_b64 s[8:9], s[6:7]
	s_xor_b64 s[6:7], exec, s[8:9]
	s_cbranch_execnz .LBB32_2405
; %bb.357:
	s_or_saveexec_b64 s[6:7], s[6:7]
	v_mov_b32_e32 v11, s10
	s_xor_b64 exec, exec, s[6:7]
	s_cbranch_execnz .LBB32_2408
.LBB32_358:
	s_or_b64 exec, exec, s[6:7]
	s_and_saveexec_b64 s[6:7], s[4:5]
	s_cbranch_execz .LBB32_360
.LBB32_359:
	v_and_b32_e32 v11, 7, v13
	v_ffbh_u32_e32 v14, v11
	v_min_u32_e32 v14, 32, v14
	v_lshrrev_b16_e32 v12, 3, v13
	v_subrev_u32_e32 v15, 28, v14
	v_and_b32_e32 v12, 15, v12
	v_lshlrev_b32_e32 v15, v15, v13
	v_sub_u32_e32 v14, 29, v14
	v_and_b32_e32 v15, 7, v15
	v_cmp_eq_u16_e32 vcc, 0, v12
	v_cndmask_b32_e32 v11, v11, v15, vcc
	v_cndmask_b32_e32 v12, v12, v14, vcc
	v_lshlrev_b32_e32 v14, 24, v13
	v_mov_b32_e32 v15, 0x3b800000
	v_lshlrev_b32_e32 v11, 20, v11
	v_and_b32_e32 v14, 0x80000000, v14
	v_lshl_add_u32 v12, v12, 23, v15
	v_or3_b32 v11, v14, v12, v11
.LBB32_360:
	s_or_b64 exec, exec, s[6:7]
	s_nop 0
	v_mfma_f32_16x16x4f32 a[0:3], v10, v11, a[0:3]
	v_lshrrev_b32_e32 v11, 8, v17
	s_movk_i32 s4, 0x7f
	v_cmp_gt_i16_sdwa s[6:7], v11, s4 src0_sel:BYTE_0 src1_sel:DWORD
	s_mov_b64 s[4:5], 0
                                        ; implicit-def: $sgpr10
	s_and_saveexec_b64 s[8:9], s[6:7]
	s_xor_b64 s[6:7], exec, s[8:9]
	s_cbranch_execnz .LBB32_2409
; %bb.361:
	s_or_saveexec_b64 s[6:7], s[6:7]
	v_mov_b32_e32 v10, s10
	s_xor_b64 exec, exec, s[6:7]
	s_cbranch_execnz .LBB32_2412
.LBB32_362:
	s_or_b64 exec, exec, s[6:7]
	s_and_saveexec_b64 s[6:7], s[4:5]
	s_cbranch_execz .LBB32_364
.LBB32_363:
	v_bfe_u32 v10, v17, 8, 3
	v_ffbh_u32_e32 v14, v10
	v_min_u32_e32 v14, 32, v14
	v_lshrrev_b16_e32 v12, 3, v11
	v_subrev_u32_e32 v15, 28, v14
	v_and_b32_e32 v12, 15, v12
	v_lshlrev_b32_e32 v11, v15, v11
	v_sub_u32_e32 v14, 29, v14
	v_and_b32_e32 v11, 7, v11
	v_cmp_eq_u16_e32 vcc, 0, v12
	v_cndmask_b32_e32 v10, v10, v11, vcc
	v_cndmask_b32_e32 v11, v12, v14, vcc
	v_lshlrev_b32_e32 v12, 16, v17
	v_mov_b32_e32 v14, 0x3b800000
	v_lshlrev_b32_e32 v10, 20, v10
	v_and_b32_e32 v12, 0x80000000, v12
	v_lshl_add_u32 v11, v11, 23, v14
	v_or3_b32 v10, v12, v11, v10
.LBB32_364:
	s_or_b64 exec, exec, s[6:7]
	v_lshrrev_b32_e32 v11, 8, v13
	s_movk_i32 s4, 0x7f
	v_cmp_gt_i16_sdwa s[6:7], v11, s4 src0_sel:BYTE_0 src1_sel:DWORD
	s_mov_b64 s[4:5], 0
                                        ; implicit-def: $sgpr10
	s_and_saveexec_b64 s[8:9], s[6:7]
	s_xor_b64 s[6:7], exec, s[8:9]
	s_cbranch_execnz .LBB32_2413
; %bb.365:
	s_or_saveexec_b64 s[6:7], s[6:7]
	v_mov_b32_e32 v12, s10
	s_xor_b64 exec, exec, s[6:7]
	s_cbranch_execnz .LBB32_2416
.LBB32_366:
	s_or_b64 exec, exec, s[6:7]
	s_and_saveexec_b64 s[6:7], s[4:5]
	s_cbranch_execz .LBB32_368
.LBB32_367:
	v_bfe_u32 v12, v13, 8, 3
	v_ffbh_u32_e32 v15, v12
	v_min_u32_e32 v15, 32, v15
	v_lshrrev_b16_e32 v14, 3, v11
	v_subrev_u32_e32 v16, 28, v15
	v_and_b32_e32 v14, 15, v14
	v_lshlrev_b32_e32 v11, v16, v11
	v_sub_u32_e32 v15, 29, v15
	v_and_b32_e32 v11, 7, v11
	v_cmp_eq_u16_e32 vcc, 0, v14
	v_cndmask_b32_e32 v11, v12, v11, vcc
	v_cndmask_b32_e32 v12, v14, v15, vcc
	v_lshlrev_b32_e32 v14, 16, v13
	v_mov_b32_e32 v15, 0x3b800000
	v_lshlrev_b32_e32 v11, 20, v11
	v_and_b32_e32 v14, 0x80000000, v14
	v_lshl_add_u32 v12, v12, 23, v15
	v_or3_b32 v12, v14, v12, v11
.LBB32_368:
	s_or_b64 exec, exec, s[6:7]
	s_nop 0
	v_mfma_f32_16x16x4f32 a[0:3], v10, v12, a[0:3]
	s_movk_i32 s4, 0xff
	v_and_b32_sdwa v11, v17, s4 dst_sel:DWORD dst_unused:UNUSED_PAD src0_sel:WORD_1 src1_sel:DWORD
	s_movk_i32 s4, 0x7f
	v_cmp_lt_i16_e32 vcc, s4, v11
	s_mov_b64 s[4:5], 0
                                        ; implicit-def: $sgpr10
	s_and_saveexec_b64 s[6:7], vcc
	s_xor_b64 s[6:7], exec, s[6:7]
	s_cbranch_execnz .LBB32_2417
; %bb.369:
	s_or_saveexec_b64 s[6:7], s[6:7]
	v_mov_b32_e32 v10, s10
	s_xor_b64 exec, exec, s[6:7]
	s_cbranch_execnz .LBB32_2420
.LBB32_370:
	s_or_b64 exec, exec, s[6:7]
	s_and_saveexec_b64 s[6:7], s[4:5]
	s_cbranch_execz .LBB32_372
.LBB32_371:
	v_bfe_u32 v10, v17, 16, 3
	v_ffbh_u32_e32 v14, v10
	v_min_u32_e32 v14, 32, v14
	v_lshrrev_b32_e32 v11, 19, v17
	v_subrev_u32_e32 v15, 28, v14
	v_and_b32_e32 v11, 15, v11
	v_lshlrev_b32_sdwa v15, v15, v17 dst_sel:DWORD dst_unused:UNUSED_PAD src0_sel:DWORD src1_sel:WORD_1
	v_bfe_u32 v12, v17, 19, 4
	v_sub_u32_e32 v14, 29, v14
	v_and_b32_e32 v15, 7, v15
	v_cmp_eq_u16_e32 vcc, 0, v11
	v_cndmask_b32_e32 v10, v10, v15, vcc
	v_cndmask_b32_e32 v11, v12, v14, vcc
	v_lshlrev_b32_e32 v12, 8, v17
	v_mov_b32_e32 v14, 0x3b800000
	v_lshlrev_b32_e32 v10, 20, v10
	v_and_b32_e32 v12, 0x80000000, v12
	v_lshl_add_u32 v11, v11, 23, v14
	v_or3_b32 v10, v12, v11, v10
.LBB32_372:
	s_or_b64 exec, exec, s[6:7]
	s_movk_i32 s4, 0xff
	v_and_b32_sdwa v11, v13, s4 dst_sel:DWORD dst_unused:UNUSED_PAD src0_sel:WORD_1 src1_sel:DWORD
	s_movk_i32 s4, 0x7f
	v_cmp_lt_i16_e32 vcc, s4, v11
	s_mov_b64 s[4:5], 0
                                        ; implicit-def: $sgpr10
	s_and_saveexec_b64 s[6:7], vcc
	s_xor_b64 s[6:7], exec, s[6:7]
	s_cbranch_execnz .LBB32_2421
; %bb.373:
	s_or_saveexec_b64 s[6:7], s[6:7]
	v_mov_b32_e32 v12, s10
	s_xor_b64 exec, exec, s[6:7]
	s_cbranch_execnz .LBB32_2424
.LBB32_374:
	s_or_b64 exec, exec, s[6:7]
	s_and_saveexec_b64 s[6:7], s[4:5]
	s_cbranch_execz .LBB32_376
.LBB32_375:
	v_bfe_u32 v11, v13, 16, 3
	v_ffbh_u32_e32 v15, v11
	v_min_u32_e32 v15, 32, v15
	v_lshrrev_b32_e32 v12, 19, v13
	v_subrev_u32_e32 v16, 28, v15
	v_and_b32_e32 v12, 15, v12
	v_lshlrev_b32_sdwa v16, v16, v13 dst_sel:DWORD dst_unused:UNUSED_PAD src0_sel:DWORD src1_sel:WORD_1
	v_bfe_u32 v14, v13, 19, 4
	v_sub_u32_e32 v15, 29, v15
	v_and_b32_e32 v16, 7, v16
	v_cmp_eq_u16_e32 vcc, 0, v12
	v_cndmask_b32_e32 v11, v11, v16, vcc
	v_cndmask_b32_e32 v12, v14, v15, vcc
	v_lshlrev_b32_e32 v14, 8, v13
	v_mov_b32_e32 v15, 0x3b800000
	v_lshlrev_b32_e32 v11, 20, v11
	v_and_b32_e32 v14, 0x80000000, v14
	v_lshl_add_u32 v12, v12, 23, v15
	v_or3_b32 v12, v14, v12, v11
.LBB32_376:
	s_or_b64 exec, exec, s[6:7]
	s_nop 0
	v_mfma_f32_16x16x4f32 a[0:3], v10, v12, a[0:3]
	s_movk_i32 s4, 0x7f
	v_cmp_gt_i16_sdwa s[6:7], v17, s4 src0_sel:BYTE_3 src1_sel:DWORD
	s_mov_b64 s[4:5], 0
                                        ; implicit-def: $sgpr10
	s_and_saveexec_b64 s[8:9], s[6:7]
	s_xor_b64 s[6:7], exec, s[8:9]
	s_cbranch_execnz .LBB32_2425
; %bb.377:
	s_or_saveexec_b64 s[6:7], s[6:7]
	v_mov_b32_e32 v10, s10
	s_xor_b64 exec, exec, s[6:7]
	s_cbranch_execnz .LBB32_2428
.LBB32_378:
	s_or_b64 exec, exec, s[6:7]
	s_and_saveexec_b64 s[6:7], s[4:5]
	s_cbranch_execz .LBB32_380
.LBB32_379:
	v_bfe_u32 v10, v17, 24, 3
	v_ffbh_u32_e32 v15, v10
	v_min_u32_e32 v15, 32, v15
	v_lshrrev_b32_e32 v12, 27, v17
	v_subrev_u32_e32 v16, 28, v15
	v_and_b32_e32 v12, 15, v12
	v_lshlrev_b32_sdwa v16, v16, v17 dst_sel:DWORD dst_unused:UNUSED_PAD src0_sel:DWORD src1_sel:BYTE_3
	v_bfe_u32 v14, v17, 27, 4
	v_sub_u32_e32 v15, 29, v15
	v_and_b32_e32 v16, 7, v16
	v_cmp_eq_u16_e32 vcc, 0, v12
	v_cndmask_b32_e32 v10, v10, v16, vcc
	v_cndmask_b32_e32 v12, v14, v15, vcc
	v_mov_b32_e32 v14, 0x3b800000
	v_and_b32_e32 v11, 0x80000000, v17
	v_lshlrev_b32_e32 v10, 20, v10
	v_lshl_add_u32 v12, v12, 23, v14
	v_or3_b32 v10, v11, v12, v10
.LBB32_380:
	s_or_b64 exec, exec, s[6:7]
	s_movk_i32 s4, 0x7f
	v_cmp_gt_i16_sdwa s[6:7], v13, s4 src0_sel:BYTE_3 src1_sel:DWORD
	s_mov_b64 s[4:5], 0
                                        ; implicit-def: $sgpr10
	s_and_saveexec_b64 s[8:9], s[6:7]
	s_xor_b64 s[6:7], exec, s[8:9]
	s_cbranch_execnz .LBB32_2429
; %bb.381:
	s_or_saveexec_b64 s[6:7], s[6:7]
	v_mov_b32_e32 v11, s10
	s_xor_b64 exec, exec, s[6:7]
	s_cbranch_execnz .LBB32_2432
.LBB32_382:
	s_or_b64 exec, exec, s[6:7]
	s_and_saveexec_b64 s[6:7], s[4:5]
	s_cbranch_execz .LBB32_384
.LBB32_383:
	v_bfe_u32 v11, v13, 24, 3
	v_ffbh_u32_e32 v16, v11
	v_min_u32_e32 v16, 32, v16
	v_lshrrev_b32_e32 v14, 27, v13
	v_subrev_u32_e32 v17, 28, v16
	v_and_b32_e32 v12, 0x80000000, v13
	v_and_b32_e32 v14, 15, v14
	v_bfe_u32 v15, v13, 27, 4
	v_lshlrev_b32_sdwa v13, v17, v13 dst_sel:DWORD dst_unused:UNUSED_PAD src0_sel:DWORD src1_sel:BYTE_3
	v_sub_u32_e32 v16, 29, v16
	v_and_b32_e32 v13, 7, v13
	v_cmp_eq_u16_e32 vcc, 0, v14
	v_cndmask_b32_e32 v11, v11, v13, vcc
	v_cndmask_b32_e32 v13, v15, v16, vcc
	v_mov_b32_e32 v14, 0x3b800000
	v_lshlrev_b32_e32 v11, 20, v11
	v_lshl_add_u32 v13, v13, 23, v14
	v_or3_b32 v11, v12, v13, v11
.LBB32_384:
	s_or_b64 exec, exec, s[6:7]
	s_nop 0
	v_mfma_f32_16x16x4f32 a[0:3], v10, v11, a[0:3]
	s_movk_i32 s4, 0x7f
	v_cmp_gt_i16_sdwa s[6:7], v6, s4 src0_sel:BYTE_0 src1_sel:DWORD
	s_mov_b64 s[4:5], 0
                                        ; implicit-def: $sgpr10
	s_and_saveexec_b64 s[8:9], s[6:7]
	s_xor_b64 s[6:7], exec, s[8:9]
	s_cbranch_execnz .LBB32_2433
; %bb.385:
	s_or_saveexec_b64 s[6:7], s[6:7]
	v_mov_b32_e32 v10, s10
	s_xor_b64 exec, exec, s[6:7]
	s_cbranch_execnz .LBB32_2436
.LBB32_386:
	s_or_b64 exec, exec, s[6:7]
	s_and_saveexec_b64 s[6:7], s[4:5]
	s_cbranch_execz .LBB32_388
.LBB32_387:
	v_and_b32_e32 v10, 7, v6
	v_ffbh_u32_e32 v12, v10
	v_min_u32_e32 v12, 32, v12
	v_lshrrev_b16_e32 v11, 3, v6
	v_subrev_u32_e32 v13, 28, v12
	v_and_b32_e32 v11, 15, v11
	v_lshlrev_b32_e32 v13, v13, v6
	v_sub_u32_e32 v12, 29, v12
	v_and_b32_e32 v13, 7, v13
	v_cmp_eq_u16_e32 vcc, 0, v11
	v_cndmask_b32_e32 v10, v10, v13, vcc
	v_cndmask_b32_e32 v11, v11, v12, vcc
	v_lshlrev_b32_e32 v12, 24, v6
	v_mov_b32_e32 v13, 0x3b800000
	v_lshlrev_b32_e32 v10, 20, v10
	v_and_b32_e32 v12, 0x80000000, v12
	v_lshl_add_u32 v11, v11, 23, v13
	v_or3_b32 v10, v12, v11, v10
.LBB32_388:
	s_or_b64 exec, exec, s[6:7]
	s_movk_i32 s4, 0x7f
	v_cmp_gt_i16_sdwa s[6:7], v2, s4 src0_sel:BYTE_0 src1_sel:DWORD
	s_mov_b64 s[4:5], 0
                                        ; implicit-def: $sgpr10
	s_and_saveexec_b64 s[8:9], s[6:7]
	s_xor_b64 s[6:7], exec, s[8:9]
	s_cbranch_execnz .LBB32_2437
; %bb.389:
	s_or_saveexec_b64 s[6:7], s[6:7]
	v_mov_b32_e32 v11, s10
	s_xor_b64 exec, exec, s[6:7]
	s_cbranch_execnz .LBB32_2440
.LBB32_390:
	s_or_b64 exec, exec, s[6:7]
	s_and_saveexec_b64 s[6:7], s[4:5]
	s_cbranch_execz .LBB32_392
.LBB32_391:
	v_and_b32_e32 v11, 7, v2
	v_ffbh_u32_e32 v13, v11
	v_min_u32_e32 v13, 32, v13
	v_lshrrev_b16_e32 v12, 3, v2
	v_subrev_u32_e32 v14, 28, v13
	v_and_b32_e32 v12, 15, v12
	v_lshlrev_b32_e32 v14, v14, v2
	v_sub_u32_e32 v13, 29, v13
	v_and_b32_e32 v14, 7, v14
	v_cmp_eq_u16_e32 vcc, 0, v12
	v_cndmask_b32_e32 v11, v11, v14, vcc
	v_cndmask_b32_e32 v12, v12, v13, vcc
	v_lshlrev_b32_e32 v13, 24, v2
	v_mov_b32_e32 v14, 0x3b800000
	v_lshlrev_b32_e32 v11, 20, v11
	v_and_b32_e32 v13, 0x80000000, v13
	v_lshl_add_u32 v12, v12, 23, v14
	v_or3_b32 v11, v13, v12, v11
.LBB32_392:
	s_or_b64 exec, exec, s[6:7]
	s_nop 0
	v_mfma_f32_16x16x4f32 a[0:3], v10, v11, a[0:3]
	v_lshrrev_b32_e32 v11, 8, v6
	s_movk_i32 s4, 0x7f
	v_cmp_gt_i16_sdwa s[6:7], v11, s4 src0_sel:BYTE_0 src1_sel:DWORD
	s_mov_b64 s[4:5], 0
                                        ; implicit-def: $sgpr10
	s_and_saveexec_b64 s[8:9], s[6:7]
	s_xor_b64 s[6:7], exec, s[8:9]
	s_cbranch_execnz .LBB32_2441
; %bb.393:
	s_or_saveexec_b64 s[6:7], s[6:7]
	v_mov_b32_e32 v10, s10
	s_xor_b64 exec, exec, s[6:7]
	s_cbranch_execnz .LBB32_2444
.LBB32_394:
	s_or_b64 exec, exec, s[6:7]
	s_and_saveexec_b64 s[6:7], s[4:5]
	s_cbranch_execz .LBB32_396
.LBB32_395:
	v_bfe_u32 v10, v6, 8, 3
	v_ffbh_u32_e32 v13, v10
	v_min_u32_e32 v13, 32, v13
	v_lshrrev_b16_e32 v12, 3, v11
	v_subrev_u32_e32 v14, 28, v13
	v_and_b32_e32 v12, 15, v12
	v_lshlrev_b32_e32 v11, v14, v11
	v_sub_u32_e32 v13, 29, v13
	v_and_b32_e32 v11, 7, v11
	v_cmp_eq_u16_e32 vcc, 0, v12
	v_cndmask_b32_e32 v10, v10, v11, vcc
	v_cndmask_b32_e32 v11, v12, v13, vcc
	v_lshlrev_b32_e32 v12, 16, v6
	v_mov_b32_e32 v13, 0x3b800000
	v_lshlrev_b32_e32 v10, 20, v10
	v_and_b32_e32 v12, 0x80000000, v12
	v_lshl_add_u32 v11, v11, 23, v13
	v_or3_b32 v10, v12, v11, v10
.LBB32_396:
	s_or_b64 exec, exec, s[6:7]
	v_lshrrev_b32_e32 v11, 8, v2
	s_movk_i32 s4, 0x7f
	v_cmp_gt_i16_sdwa s[6:7], v11, s4 src0_sel:BYTE_0 src1_sel:DWORD
	s_mov_b64 s[4:5], 0
                                        ; implicit-def: $sgpr10
	s_and_saveexec_b64 s[8:9], s[6:7]
	s_xor_b64 s[6:7], exec, s[8:9]
	s_cbranch_execnz .LBB32_2445
; %bb.397:
	s_or_saveexec_b64 s[6:7], s[6:7]
	v_mov_b32_e32 v12, s10
	s_xor_b64 exec, exec, s[6:7]
	s_cbranch_execnz .LBB32_2448
.LBB32_398:
	s_or_b64 exec, exec, s[6:7]
	s_and_saveexec_b64 s[6:7], s[4:5]
	s_cbranch_execz .LBB32_400
.LBB32_399:
	v_bfe_u32 v12, v2, 8, 3
	v_ffbh_u32_e32 v14, v12
	v_min_u32_e32 v14, 32, v14
	v_lshrrev_b16_e32 v13, 3, v11
	v_subrev_u32_e32 v15, 28, v14
	v_and_b32_e32 v13, 15, v13
	v_lshlrev_b32_e32 v11, v15, v11
	v_sub_u32_e32 v14, 29, v14
	v_and_b32_e32 v11, 7, v11
	v_cmp_eq_u16_e32 vcc, 0, v13
	v_cndmask_b32_e32 v11, v12, v11, vcc
	v_cndmask_b32_e32 v12, v13, v14, vcc
	v_lshlrev_b32_e32 v13, 16, v2
	v_mov_b32_e32 v14, 0x3b800000
	v_lshlrev_b32_e32 v11, 20, v11
	v_and_b32_e32 v13, 0x80000000, v13
	v_lshl_add_u32 v12, v12, 23, v14
	v_or3_b32 v12, v13, v12, v11
.LBB32_400:
	s_or_b64 exec, exec, s[6:7]
	s_nop 0
	v_mfma_f32_16x16x4f32 a[0:3], v10, v12, a[0:3]
	s_movk_i32 s4, 0xff
	v_and_b32_sdwa v11, v6, s4 dst_sel:DWORD dst_unused:UNUSED_PAD src0_sel:WORD_1 src1_sel:DWORD
	s_movk_i32 s4, 0x7f
	v_cmp_lt_i16_e32 vcc, s4, v11
	s_mov_b64 s[4:5], 0
                                        ; implicit-def: $sgpr10
	s_and_saveexec_b64 s[6:7], vcc
	s_xor_b64 s[6:7], exec, s[6:7]
	s_cbranch_execnz .LBB32_2449
; %bb.401:
	s_or_saveexec_b64 s[6:7], s[6:7]
	v_mov_b32_e32 v10, s10
	s_xor_b64 exec, exec, s[6:7]
	s_cbranch_execnz .LBB32_2452
.LBB32_402:
	s_or_b64 exec, exec, s[6:7]
	s_and_saveexec_b64 s[6:7], s[4:5]
	s_cbranch_execz .LBB32_404
.LBB32_403:
	v_bfe_u32 v10, v6, 16, 3
	v_ffbh_u32_e32 v13, v10
	v_min_u32_e32 v13, 32, v13
	v_lshrrev_b32_e32 v11, 19, v6
	v_subrev_u32_e32 v14, 28, v13
	v_and_b32_e32 v11, 15, v11
	v_lshlrev_b32_sdwa v14, v14, v6 dst_sel:DWORD dst_unused:UNUSED_PAD src0_sel:DWORD src1_sel:WORD_1
	v_bfe_u32 v12, v6, 19, 4
	v_sub_u32_e32 v13, 29, v13
	v_and_b32_e32 v14, 7, v14
	v_cmp_eq_u16_e32 vcc, 0, v11
	v_cndmask_b32_e32 v10, v10, v14, vcc
	v_cndmask_b32_e32 v11, v12, v13, vcc
	v_lshlrev_b32_e32 v12, 8, v6
	v_mov_b32_e32 v13, 0x3b800000
	v_lshlrev_b32_e32 v10, 20, v10
	v_and_b32_e32 v12, 0x80000000, v12
	v_lshl_add_u32 v11, v11, 23, v13
	v_or3_b32 v10, v12, v11, v10
.LBB32_404:
	s_or_b64 exec, exec, s[6:7]
	s_movk_i32 s4, 0xff
	v_and_b32_sdwa v11, v2, s4 dst_sel:DWORD dst_unused:UNUSED_PAD src0_sel:WORD_1 src1_sel:DWORD
	s_movk_i32 s4, 0x7f
	v_cmp_lt_i16_e32 vcc, s4, v11
	s_mov_b64 s[4:5], 0
                                        ; implicit-def: $sgpr10
	s_and_saveexec_b64 s[6:7], vcc
	s_xor_b64 s[6:7], exec, s[6:7]
	s_cbranch_execnz .LBB32_2453
; %bb.405:
	s_or_saveexec_b64 s[6:7], s[6:7]
	v_mov_b32_e32 v12, s10
	s_xor_b64 exec, exec, s[6:7]
	s_cbranch_execnz .LBB32_2456
.LBB32_406:
	s_or_b64 exec, exec, s[6:7]
	s_and_saveexec_b64 s[6:7], s[4:5]
	s_cbranch_execz .LBB32_408
.LBB32_407:
	v_bfe_u32 v11, v2, 16, 3
	v_ffbh_u32_e32 v14, v11
	v_min_u32_e32 v14, 32, v14
	v_lshrrev_b32_e32 v12, 19, v2
	v_subrev_u32_e32 v15, 28, v14
	v_and_b32_e32 v12, 15, v12
	v_lshlrev_b32_sdwa v15, v15, v2 dst_sel:DWORD dst_unused:UNUSED_PAD src0_sel:DWORD src1_sel:WORD_1
	v_bfe_u32 v13, v2, 19, 4
	v_sub_u32_e32 v14, 29, v14
	v_and_b32_e32 v15, 7, v15
	v_cmp_eq_u16_e32 vcc, 0, v12
	v_cndmask_b32_e32 v11, v11, v15, vcc
	v_cndmask_b32_e32 v12, v13, v14, vcc
	v_lshlrev_b32_e32 v13, 8, v2
	v_mov_b32_e32 v14, 0x3b800000
	v_lshlrev_b32_e32 v11, 20, v11
	v_and_b32_e32 v13, 0x80000000, v13
	v_lshl_add_u32 v12, v12, 23, v14
	v_or3_b32 v12, v13, v12, v11
.LBB32_408:
	s_or_b64 exec, exec, s[6:7]
	s_nop 0
	v_mfma_f32_16x16x4f32 a[0:3], v10, v12, a[0:3]
	s_movk_i32 s4, 0x7f
	v_cmp_gt_i16_sdwa s[6:7], v6, s4 src0_sel:BYTE_3 src1_sel:DWORD
	s_mov_b64 s[4:5], 0
                                        ; implicit-def: $sgpr10
	s_and_saveexec_b64 s[8:9], s[6:7]
	s_xor_b64 s[6:7], exec, s[8:9]
	s_cbranch_execnz .LBB32_2457
; %bb.409:
	s_or_saveexec_b64 s[6:7], s[6:7]
	v_mov_b32_e32 v10, s10
	s_xor_b64 exec, exec, s[6:7]
	s_cbranch_execnz .LBB32_2460
.LBB32_410:
	s_or_b64 exec, exec, s[6:7]
	s_and_saveexec_b64 s[6:7], s[4:5]
	s_cbranch_execz .LBB32_412
.LBB32_411:
	v_bfe_u32 v10, v6, 24, 3
	v_ffbh_u32_e32 v14, v10
	v_min_u32_e32 v14, 32, v14
	v_lshrrev_b32_e32 v12, 27, v6
	v_subrev_u32_e32 v15, 28, v14
	v_and_b32_e32 v11, 0x80000000, v6
	v_and_b32_e32 v12, 15, v12
	v_bfe_u32 v13, v6, 27, 4
	v_lshlrev_b32_sdwa v6, v15, v6 dst_sel:DWORD dst_unused:UNUSED_PAD src0_sel:DWORD src1_sel:BYTE_3
	v_sub_u32_e32 v14, 29, v14
	v_and_b32_e32 v6, 7, v6
	v_cmp_eq_u16_e32 vcc, 0, v12
	v_cndmask_b32_e32 v6, v10, v6, vcc
	v_cndmask_b32_e32 v10, v13, v14, vcc
	v_mov_b32_e32 v12, 0x3b800000
	v_lshlrev_b32_e32 v6, 20, v6
	v_lshl_add_u32 v10, v10, 23, v12
	v_or3_b32 v10, v11, v10, v6
.LBB32_412:
	s_or_b64 exec, exec, s[6:7]
	s_movk_i32 s4, 0x7f
	v_cmp_gt_i16_sdwa s[6:7], v2, s4 src0_sel:BYTE_3 src1_sel:DWORD
	s_mov_b64 s[4:5], 0
                                        ; implicit-def: $sgpr10
	s_and_saveexec_b64 s[8:9], s[6:7]
	s_xor_b64 s[6:7], exec, s[8:9]
	s_cbranch_execnz .LBB32_2461
; %bb.413:
	s_or_saveexec_b64 s[6:7], s[6:7]
	v_mov_b32_e32 v6, s10
	s_xor_b64 exec, exec, s[6:7]
	s_cbranch_execnz .LBB32_2464
.LBB32_414:
	s_or_b64 exec, exec, s[6:7]
	s_and_saveexec_b64 s[6:7], s[4:5]
	s_cbranch_execz .LBB32_416
.LBB32_415:
	v_bfe_u32 v6, v2, 24, 3
	v_ffbh_u32_e32 v14, v6
	v_min_u32_e32 v14, 32, v14
	v_lshrrev_b32_e32 v12, 27, v2
	v_subrev_u32_e32 v15, 28, v14
	v_and_b32_e32 v11, 0x80000000, v2
	v_and_b32_e32 v12, 15, v12
	v_bfe_u32 v13, v2, 27, 4
	v_lshlrev_b32_sdwa v2, v15, v2 dst_sel:DWORD dst_unused:UNUSED_PAD src0_sel:DWORD src1_sel:BYTE_3
	v_sub_u32_e32 v14, 29, v14
	v_and_b32_e32 v2, 7, v2
	v_cmp_eq_u16_e32 vcc, 0, v12
	v_cndmask_b32_e32 v2, v6, v2, vcc
	v_cndmask_b32_e32 v6, v13, v14, vcc
	v_mov_b32_e32 v12, 0x3b800000
	v_lshlrev_b32_e32 v2, 20, v2
	v_lshl_add_u32 v6, v6, 23, v12
	v_or3_b32 v6, v11, v6, v2
.LBB32_416:
	s_or_b64 exec, exec, s[6:7]
	s_nop 0
	v_mfma_f32_16x16x4f32 a[0:3], v10, v6, a[0:3]
	s_movk_i32 s4, 0x7f
	v_cmp_gt_i16_sdwa s[6:7], v7, s4 src0_sel:BYTE_0 src1_sel:DWORD
	s_mov_b64 s[4:5], 0
                                        ; implicit-def: $sgpr10
	s_and_saveexec_b64 s[8:9], s[6:7]
	s_xor_b64 s[6:7], exec, s[8:9]
	s_cbranch_execnz .LBB32_2465
; %bb.417:
	s_or_saveexec_b64 s[6:7], s[6:7]
	v_mov_b32_e32 v2, s10
	s_xor_b64 exec, exec, s[6:7]
	s_cbranch_execnz .LBB32_2468
.LBB32_418:
	s_or_b64 exec, exec, s[6:7]
	s_and_saveexec_b64 s[6:7], s[4:5]
	s_cbranch_execz .LBB32_420
.LBB32_419:
	v_and_b32_e32 v2, 7, v7
	v_ffbh_u32_e32 v10, v2
	v_min_u32_e32 v10, 32, v10
	v_lshrrev_b16_e32 v6, 3, v7
	v_subrev_u32_e32 v11, 28, v10
	v_and_b32_e32 v6, 15, v6
	v_lshlrev_b32_e32 v11, v11, v7
	v_sub_u32_e32 v10, 29, v10
	v_and_b32_e32 v11, 7, v11
	v_cmp_eq_u16_e32 vcc, 0, v6
	v_cndmask_b32_e32 v2, v2, v11, vcc
	v_cndmask_b32_e32 v6, v6, v10, vcc
	v_lshlrev_b32_e32 v10, 24, v7
	v_mov_b32_e32 v11, 0x3b800000
	v_lshlrev_b32_e32 v2, 20, v2
	v_and_b32_e32 v10, 0x80000000, v10
	v_lshl_add_u32 v6, v6, 23, v11
	v_or3_b32 v2, v10, v6, v2
.LBB32_420:
	s_or_b64 exec, exec, s[6:7]
	s_movk_i32 s4, 0x7f
	v_cmp_gt_i16_sdwa s[6:7], v3, s4 src0_sel:BYTE_0 src1_sel:DWORD
	s_mov_b64 s[4:5], 0
                                        ; implicit-def: $sgpr10
	s_and_saveexec_b64 s[8:9], s[6:7]
	s_xor_b64 s[6:7], exec, s[8:9]
	s_cbranch_execnz .LBB32_2469
; %bb.421:
	s_or_saveexec_b64 s[6:7], s[6:7]
	v_mov_b32_e32 v6, s10
	s_xor_b64 exec, exec, s[6:7]
	s_cbranch_execnz .LBB32_2472
.LBB32_422:
	s_or_b64 exec, exec, s[6:7]
	s_and_saveexec_b64 s[6:7], s[4:5]
	s_cbranch_execz .LBB32_424
.LBB32_423:
	v_and_b32_e32 v6, 7, v3
	v_ffbh_u32_e32 v11, v6
	v_min_u32_e32 v11, 32, v11
	v_lshrrev_b16_e32 v10, 3, v3
	v_subrev_u32_e32 v12, 28, v11
	v_and_b32_e32 v10, 15, v10
	v_lshlrev_b32_e32 v12, v12, v3
	v_sub_u32_e32 v11, 29, v11
	v_and_b32_e32 v12, 7, v12
	v_cmp_eq_u16_e32 vcc, 0, v10
	v_cndmask_b32_e32 v6, v6, v12, vcc
	v_cndmask_b32_e32 v10, v10, v11, vcc
	v_lshlrev_b32_e32 v11, 24, v3
	v_mov_b32_e32 v12, 0x3b800000
	v_lshlrev_b32_e32 v6, 20, v6
	v_and_b32_e32 v11, 0x80000000, v11
	v_lshl_add_u32 v10, v10, 23, v12
	v_or3_b32 v6, v11, v10, v6
.LBB32_424:
	s_or_b64 exec, exec, s[6:7]
	s_nop 0
	v_mfma_f32_16x16x4f32 a[0:3], v2, v6, a[0:3]
	v_lshrrev_b32_e32 v6, 8, v7
	s_movk_i32 s4, 0x7f
	v_cmp_gt_i16_sdwa s[6:7], v6, s4 src0_sel:BYTE_0 src1_sel:DWORD
	s_mov_b64 s[4:5], 0
                                        ; implicit-def: $sgpr10
	s_and_saveexec_b64 s[8:9], s[6:7]
	s_xor_b64 s[6:7], exec, s[8:9]
	s_cbranch_execnz .LBB32_2473
; %bb.425:
	s_or_saveexec_b64 s[6:7], s[6:7]
	v_mov_b32_e32 v2, s10
	s_xor_b64 exec, exec, s[6:7]
	s_cbranch_execnz .LBB32_2476
.LBB32_426:
	s_or_b64 exec, exec, s[6:7]
	s_and_saveexec_b64 s[6:7], s[4:5]
	s_cbranch_execz .LBB32_428
.LBB32_427:
	v_bfe_u32 v2, v7, 8, 3
	v_ffbh_u32_e32 v11, v2
	v_min_u32_e32 v11, 32, v11
	v_lshrrev_b16_e32 v10, 3, v6
	v_subrev_u32_e32 v12, 28, v11
	v_and_b32_e32 v10, 15, v10
	v_lshlrev_b32_e32 v6, v12, v6
	v_sub_u32_e32 v11, 29, v11
	v_and_b32_e32 v6, 7, v6
	v_cmp_eq_u16_e32 vcc, 0, v10
	v_cndmask_b32_e32 v2, v2, v6, vcc
	v_cndmask_b32_e32 v6, v10, v11, vcc
	v_lshlrev_b32_e32 v10, 16, v7
	v_mov_b32_e32 v11, 0x3b800000
	v_lshlrev_b32_e32 v2, 20, v2
	v_and_b32_e32 v10, 0x80000000, v10
	v_lshl_add_u32 v6, v6, 23, v11
	v_or3_b32 v2, v10, v6, v2
.LBB32_428:
	s_or_b64 exec, exec, s[6:7]
	v_lshrrev_b32_e32 v6, 8, v3
	s_movk_i32 s4, 0x7f
	v_cmp_gt_i16_sdwa s[6:7], v6, s4 src0_sel:BYTE_0 src1_sel:DWORD
	s_mov_b64 s[4:5], 0
                                        ; implicit-def: $sgpr10
	s_and_saveexec_b64 s[8:9], s[6:7]
	s_xor_b64 s[6:7], exec, s[8:9]
	s_cbranch_execnz .LBB32_2477
; %bb.429:
	s_or_saveexec_b64 s[6:7], s[6:7]
	v_mov_b32_e32 v10, s10
	s_xor_b64 exec, exec, s[6:7]
	s_cbranch_execnz .LBB32_2480
.LBB32_430:
	s_or_b64 exec, exec, s[6:7]
	s_and_saveexec_b64 s[6:7], s[4:5]
	s_cbranch_execz .LBB32_432
.LBB32_431:
	v_bfe_u32 v10, v3, 8, 3
	v_ffbh_u32_e32 v12, v10
	v_min_u32_e32 v12, 32, v12
	v_lshrrev_b16_e32 v11, 3, v6
	v_subrev_u32_e32 v13, 28, v12
	v_and_b32_e32 v11, 15, v11
	v_lshlrev_b32_e32 v6, v13, v6
	v_sub_u32_e32 v12, 29, v12
	v_and_b32_e32 v6, 7, v6
	v_cmp_eq_u16_e32 vcc, 0, v11
	v_cndmask_b32_e32 v6, v10, v6, vcc
	v_cndmask_b32_e32 v10, v11, v12, vcc
	v_lshlrev_b32_e32 v11, 16, v3
	v_mov_b32_e32 v12, 0x3b800000
	v_lshlrev_b32_e32 v6, 20, v6
	v_and_b32_e32 v11, 0x80000000, v11
	v_lshl_add_u32 v10, v10, 23, v12
	v_or3_b32 v10, v11, v10, v6
.LBB32_432:
	s_or_b64 exec, exec, s[6:7]
	s_nop 0
	v_mfma_f32_16x16x4f32 a[0:3], v2, v10, a[0:3]
	s_movk_i32 s4, 0xff
	v_and_b32_sdwa v6, v7, s4 dst_sel:DWORD dst_unused:UNUSED_PAD src0_sel:WORD_1 src1_sel:DWORD
	s_movk_i32 s4, 0x7f
	v_cmp_lt_i16_e32 vcc, s4, v6
	s_mov_b64 s[4:5], 0
                                        ; implicit-def: $sgpr10
	s_and_saveexec_b64 s[6:7], vcc
	s_xor_b64 s[6:7], exec, s[6:7]
	s_cbranch_execnz .LBB32_2481
; %bb.433:
	s_or_saveexec_b64 s[6:7], s[6:7]
	v_mov_b32_e32 v2, s10
	s_xor_b64 exec, exec, s[6:7]
	s_cbranch_execnz .LBB32_2484
.LBB32_434:
	s_or_b64 exec, exec, s[6:7]
	s_and_saveexec_b64 s[6:7], s[4:5]
	s_cbranch_execz .LBB32_436
.LBB32_435:
	v_bfe_u32 v2, v7, 16, 3
	v_ffbh_u32_e32 v11, v2
	v_min_u32_e32 v11, 32, v11
	v_lshrrev_b32_e32 v6, 19, v7
	v_subrev_u32_e32 v12, 28, v11
	v_and_b32_e32 v6, 15, v6
	v_lshlrev_b32_sdwa v12, v12, v7 dst_sel:DWORD dst_unused:UNUSED_PAD src0_sel:DWORD src1_sel:WORD_1
	v_bfe_u32 v10, v7, 19, 4
	v_sub_u32_e32 v11, 29, v11
	v_and_b32_e32 v12, 7, v12
	v_cmp_eq_u16_e32 vcc, 0, v6
	v_cndmask_b32_e32 v2, v2, v12, vcc
	v_cndmask_b32_e32 v6, v10, v11, vcc
	v_lshlrev_b32_e32 v10, 8, v7
	v_mov_b32_e32 v11, 0x3b800000
	v_lshlrev_b32_e32 v2, 20, v2
	v_and_b32_e32 v10, 0x80000000, v10
	v_lshl_add_u32 v6, v6, 23, v11
	v_or3_b32 v2, v10, v6, v2
.LBB32_436:
	s_or_b64 exec, exec, s[6:7]
	s_movk_i32 s4, 0xff
	v_and_b32_sdwa v6, v3, s4 dst_sel:DWORD dst_unused:UNUSED_PAD src0_sel:WORD_1 src1_sel:DWORD
	s_movk_i32 s4, 0x7f
	v_cmp_lt_i16_e32 vcc, s4, v6
	s_mov_b64 s[4:5], 0
                                        ; implicit-def: $sgpr10
	s_and_saveexec_b64 s[6:7], vcc
	s_xor_b64 s[6:7], exec, s[6:7]
	s_cbranch_execnz .LBB32_2485
; %bb.437:
	s_or_saveexec_b64 s[6:7], s[6:7]
	v_mov_b32_e32 v10, s10
	s_xor_b64 exec, exec, s[6:7]
	s_cbranch_execnz .LBB32_2488
.LBB32_438:
	s_or_b64 exec, exec, s[6:7]
	s_and_saveexec_b64 s[6:7], s[4:5]
	s_cbranch_execz .LBB32_440
.LBB32_439:
	v_bfe_u32 v6, v3, 16, 3
	v_ffbh_u32_e32 v12, v6
	v_min_u32_e32 v12, 32, v12
	v_lshrrev_b32_e32 v10, 19, v3
	v_subrev_u32_e32 v13, 28, v12
	v_and_b32_e32 v10, 15, v10
	v_lshlrev_b32_sdwa v13, v13, v3 dst_sel:DWORD dst_unused:UNUSED_PAD src0_sel:DWORD src1_sel:WORD_1
	v_bfe_u32 v11, v3, 19, 4
	v_sub_u32_e32 v12, 29, v12
	v_and_b32_e32 v13, 7, v13
	v_cmp_eq_u16_e32 vcc, 0, v10
	v_cndmask_b32_e32 v6, v6, v13, vcc
	v_cndmask_b32_e32 v10, v11, v12, vcc
	v_lshlrev_b32_e32 v11, 8, v3
	v_mov_b32_e32 v12, 0x3b800000
	v_lshlrev_b32_e32 v6, 20, v6
	v_and_b32_e32 v11, 0x80000000, v11
	v_lshl_add_u32 v10, v10, 23, v12
	v_or3_b32 v10, v11, v10, v6
.LBB32_440:
	s_or_b64 exec, exec, s[6:7]
	s_nop 0
	v_mfma_f32_16x16x4f32 a[0:3], v2, v10, a[0:3]
	s_movk_i32 s4, 0x7f
	v_cmp_gt_i16_sdwa s[6:7], v7, s4 src0_sel:BYTE_3 src1_sel:DWORD
	s_mov_b64 s[4:5], 0
                                        ; implicit-def: $sgpr10
	s_and_saveexec_b64 s[8:9], s[6:7]
	s_xor_b64 s[6:7], exec, s[8:9]
	s_cbranch_execnz .LBB32_2489
; %bb.441:
	s_or_saveexec_b64 s[6:7], s[6:7]
	v_mov_b32_e32 v2, s10
	s_xor_b64 exec, exec, s[6:7]
	s_cbranch_execnz .LBB32_2492
.LBB32_442:
	s_or_b64 exec, exec, s[6:7]
	s_and_saveexec_b64 s[6:7], s[4:5]
	s_cbranch_execz .LBB32_444
.LBB32_443:
	v_bfe_u32 v2, v7, 24, 3
	v_ffbh_u32_e32 v12, v2
	v_min_u32_e32 v12, 32, v12
	v_lshrrev_b32_e32 v10, 27, v7
	v_subrev_u32_e32 v13, 28, v12
	v_and_b32_e32 v6, 0x80000000, v7
	v_and_b32_e32 v10, 15, v10
	v_bfe_u32 v11, v7, 27, 4
	v_lshlrev_b32_sdwa v7, v13, v7 dst_sel:DWORD dst_unused:UNUSED_PAD src0_sel:DWORD src1_sel:BYTE_3
	v_sub_u32_e32 v12, 29, v12
	v_and_b32_e32 v7, 7, v7
	v_cmp_eq_u16_e32 vcc, 0, v10
	v_cndmask_b32_e32 v2, v2, v7, vcc
	v_cndmask_b32_e32 v7, v11, v12, vcc
	v_mov_b32_e32 v10, 0x3b800000
	v_lshlrev_b32_e32 v2, 20, v2
	v_lshl_add_u32 v7, v7, 23, v10
	v_or3_b32 v2, v6, v7, v2
.LBB32_444:
	s_or_b64 exec, exec, s[6:7]
	s_movk_i32 s4, 0x7f
	v_cmp_gt_i16_sdwa s[6:7], v3, s4 src0_sel:BYTE_3 src1_sel:DWORD
	s_mov_b64 s[4:5], 0
                                        ; implicit-def: $sgpr10
	s_and_saveexec_b64 s[8:9], s[6:7]
	s_xor_b64 s[6:7], exec, s[8:9]
	s_cbranch_execnz .LBB32_2493
; %bb.445:
	s_or_saveexec_b64 s[6:7], s[6:7]
	v_mov_b32_e32 v6, s10
	s_xor_b64 exec, exec, s[6:7]
	s_cbranch_execnz .LBB32_2496
.LBB32_446:
	s_or_b64 exec, exec, s[6:7]
	s_and_saveexec_b64 s[6:7], s[4:5]
	s_cbranch_execz .LBB32_448
.LBB32_447:
	v_bfe_u32 v6, v3, 24, 3
	v_ffbh_u32_e32 v12, v6
	v_min_u32_e32 v12, 32, v12
	v_lshrrev_b32_e32 v10, 27, v3
	v_subrev_u32_e32 v13, 28, v12
	v_and_b32_e32 v7, 0x80000000, v3
	v_and_b32_e32 v10, 15, v10
	v_bfe_u32 v11, v3, 27, 4
	v_lshlrev_b32_sdwa v3, v13, v3 dst_sel:DWORD dst_unused:UNUSED_PAD src0_sel:DWORD src1_sel:BYTE_3
	v_sub_u32_e32 v12, 29, v12
	v_and_b32_e32 v3, 7, v3
	v_cmp_eq_u16_e32 vcc, 0, v10
	v_cndmask_b32_e32 v3, v6, v3, vcc
	v_cndmask_b32_e32 v6, v11, v12, vcc
	v_mov_b32_e32 v10, 0x3b800000
	v_lshlrev_b32_e32 v3, 20, v3
	v_lshl_add_u32 v6, v6, 23, v10
	v_or3_b32 v6, v7, v6, v3
.LBB32_448:
	s_or_b64 exec, exec, s[6:7]
	s_nop 0
	v_mfma_f32_16x16x4f32 a[0:3], v2, v6, a[0:3]
	s_movk_i32 s4, 0x7f
	v_cmp_gt_i16_sdwa s[6:7], v8, s4 src0_sel:BYTE_0 src1_sel:DWORD
	s_mov_b64 s[4:5], 0
                                        ; implicit-def: $sgpr10
	s_and_saveexec_b64 s[8:9], s[6:7]
	s_xor_b64 s[6:7], exec, s[8:9]
	s_cbranch_execnz .LBB32_2497
; %bb.449:
	s_or_saveexec_b64 s[6:7], s[6:7]
	v_mov_b32_e32 v2, s10
	s_xor_b64 exec, exec, s[6:7]
	s_cbranch_execnz .LBB32_2500
.LBB32_450:
	s_or_b64 exec, exec, s[6:7]
	s_and_saveexec_b64 s[6:7], s[4:5]
	s_cbranch_execz .LBB32_452
.LBB32_451:
	v_and_b32_e32 v2, 7, v8
	v_ffbh_u32_e32 v6, v2
	v_min_u32_e32 v6, 32, v6
	v_lshrrev_b16_e32 v3, 3, v8
	v_subrev_u32_e32 v7, 28, v6
	v_and_b32_e32 v3, 15, v3
	v_lshlrev_b32_e32 v7, v7, v8
	v_sub_u32_e32 v6, 29, v6
	v_and_b32_e32 v7, 7, v7
	v_cmp_eq_u16_e32 vcc, 0, v3
	v_cndmask_b32_e32 v2, v2, v7, vcc
	v_cndmask_b32_e32 v3, v3, v6, vcc
	v_lshlrev_b32_e32 v6, 24, v8
	v_mov_b32_e32 v7, 0x3b800000
	v_lshlrev_b32_e32 v2, 20, v2
	v_and_b32_e32 v6, 0x80000000, v6
	v_lshl_add_u32 v3, v3, 23, v7
	v_or3_b32 v2, v6, v3, v2
.LBB32_452:
	s_or_b64 exec, exec, s[6:7]
	s_movk_i32 s4, 0x7f
	v_cmp_gt_i16_sdwa s[6:7], v4, s4 src0_sel:BYTE_0 src1_sel:DWORD
	s_mov_b64 s[4:5], 0
                                        ; implicit-def: $sgpr10
	s_and_saveexec_b64 s[8:9], s[6:7]
	s_xor_b64 s[6:7], exec, s[8:9]
	s_cbranch_execnz .LBB32_2501
; %bb.453:
	s_or_saveexec_b64 s[6:7], s[6:7]
	v_mov_b32_e32 v3, s10
	s_xor_b64 exec, exec, s[6:7]
	s_cbranch_execnz .LBB32_2504
.LBB32_454:
	s_or_b64 exec, exec, s[6:7]
	s_and_saveexec_b64 s[6:7], s[4:5]
	s_cbranch_execz .LBB32_456
.LBB32_455:
	v_and_b32_e32 v3, 7, v4
	v_ffbh_u32_e32 v7, v3
	v_min_u32_e32 v7, 32, v7
	v_lshrrev_b16_e32 v6, 3, v4
	v_subrev_u32_e32 v10, 28, v7
	v_and_b32_e32 v6, 15, v6
	v_lshlrev_b32_e32 v10, v10, v4
	v_sub_u32_e32 v7, 29, v7
	v_and_b32_e32 v10, 7, v10
	v_cmp_eq_u16_e32 vcc, 0, v6
	v_cndmask_b32_e32 v3, v3, v10, vcc
	v_cndmask_b32_e32 v6, v6, v7, vcc
	v_lshlrev_b32_e32 v7, 24, v4
	v_mov_b32_e32 v10, 0x3b800000
	v_lshlrev_b32_e32 v3, 20, v3
	v_and_b32_e32 v7, 0x80000000, v7
	v_lshl_add_u32 v6, v6, 23, v10
	v_or3_b32 v3, v7, v6, v3
.LBB32_456:
	s_or_b64 exec, exec, s[6:7]
	s_nop 0
	v_mfma_f32_16x16x4f32 a[0:3], v2, v3, a[0:3]
	v_lshrrev_b32_e32 v3, 8, v8
	s_movk_i32 s4, 0x7f
	v_cmp_gt_i16_sdwa s[6:7], v3, s4 src0_sel:BYTE_0 src1_sel:DWORD
	s_mov_b64 s[4:5], 0
                                        ; implicit-def: $sgpr10
	s_and_saveexec_b64 s[8:9], s[6:7]
	s_xor_b64 s[6:7], exec, s[8:9]
	s_cbranch_execnz .LBB32_2505
; %bb.457:
	s_or_saveexec_b64 s[6:7], s[6:7]
	v_mov_b32_e32 v2, s10
	s_xor_b64 exec, exec, s[6:7]
	s_cbranch_execnz .LBB32_2508
.LBB32_458:
	s_or_b64 exec, exec, s[6:7]
	s_and_saveexec_b64 s[6:7], s[4:5]
	s_cbranch_execz .LBB32_460
.LBB32_459:
	v_bfe_u32 v2, v8, 8, 3
	v_ffbh_u32_e32 v7, v2
	v_min_u32_e32 v7, 32, v7
	v_lshrrev_b16_e32 v6, 3, v3
	v_subrev_u32_e32 v10, 28, v7
	v_and_b32_e32 v6, 15, v6
	v_lshlrev_b32_e32 v3, v10, v3
	v_sub_u32_e32 v7, 29, v7
	v_and_b32_e32 v3, 7, v3
	v_cmp_eq_u16_e32 vcc, 0, v6
	v_cndmask_b32_e32 v2, v2, v3, vcc
	v_cndmask_b32_e32 v3, v6, v7, vcc
	v_lshlrev_b32_e32 v6, 16, v8
	v_mov_b32_e32 v7, 0x3b800000
	v_lshlrev_b32_e32 v2, 20, v2
	v_and_b32_e32 v6, 0x80000000, v6
	v_lshl_add_u32 v3, v3, 23, v7
	v_or3_b32 v2, v6, v3, v2
.LBB32_460:
	s_or_b64 exec, exec, s[6:7]
	v_lshrrev_b32_e32 v3, 8, v4
	s_movk_i32 s4, 0x7f
	v_cmp_gt_i16_sdwa s[6:7], v3, s4 src0_sel:BYTE_0 src1_sel:DWORD
	s_mov_b64 s[4:5], 0
                                        ; implicit-def: $sgpr10
	s_and_saveexec_b64 s[8:9], s[6:7]
	s_xor_b64 s[6:7], exec, s[8:9]
	s_cbranch_execnz .LBB32_2509
; %bb.461:
	s_or_saveexec_b64 s[6:7], s[6:7]
	v_mov_b32_e32 v6, s10
	s_xor_b64 exec, exec, s[6:7]
	s_cbranch_execnz .LBB32_2512
.LBB32_462:
	s_or_b64 exec, exec, s[6:7]
	s_and_saveexec_b64 s[6:7], s[4:5]
	s_cbranch_execz .LBB32_464
.LBB32_463:
	v_bfe_u32 v6, v4, 8, 3
	v_ffbh_u32_e32 v10, v6
	v_min_u32_e32 v10, 32, v10
	v_lshrrev_b16_e32 v7, 3, v3
	v_subrev_u32_e32 v11, 28, v10
	v_and_b32_e32 v7, 15, v7
	v_lshlrev_b32_e32 v3, v11, v3
	v_sub_u32_e32 v10, 29, v10
	v_and_b32_e32 v3, 7, v3
	v_cmp_eq_u16_e32 vcc, 0, v7
	v_cndmask_b32_e32 v3, v6, v3, vcc
	v_cndmask_b32_e32 v6, v7, v10, vcc
	v_lshlrev_b32_e32 v7, 16, v4
	v_mov_b32_e32 v10, 0x3b800000
	v_lshlrev_b32_e32 v3, 20, v3
	v_and_b32_e32 v7, 0x80000000, v7
	v_lshl_add_u32 v6, v6, 23, v10
	v_or3_b32 v6, v7, v6, v3
.LBB32_464:
	s_or_b64 exec, exec, s[6:7]
	s_nop 0
	v_mfma_f32_16x16x4f32 a[0:3], v2, v6, a[0:3]
	s_movk_i32 s4, 0xff
	v_and_b32_sdwa v3, v8, s4 dst_sel:DWORD dst_unused:UNUSED_PAD src0_sel:WORD_1 src1_sel:DWORD
	s_movk_i32 s4, 0x7f
	v_cmp_lt_i16_e32 vcc, s4, v3
	s_mov_b64 s[4:5], 0
                                        ; implicit-def: $sgpr10
	s_and_saveexec_b64 s[6:7], vcc
	s_xor_b64 s[6:7], exec, s[6:7]
	s_cbranch_execnz .LBB32_2513
; %bb.465:
	s_or_saveexec_b64 s[6:7], s[6:7]
	v_mov_b32_e32 v2, s10
	s_xor_b64 exec, exec, s[6:7]
	s_cbranch_execnz .LBB32_2516
.LBB32_466:
	s_or_b64 exec, exec, s[6:7]
	s_and_saveexec_b64 s[6:7], s[4:5]
	s_cbranch_execz .LBB32_468
.LBB32_467:
	v_bfe_u32 v2, v8, 16, 3
	v_ffbh_u32_e32 v7, v2
	v_min_u32_e32 v7, 32, v7
	v_lshrrev_b32_e32 v3, 19, v8
	v_subrev_u32_e32 v10, 28, v7
	v_and_b32_e32 v3, 15, v3
	v_lshlrev_b32_sdwa v10, v10, v8 dst_sel:DWORD dst_unused:UNUSED_PAD src0_sel:DWORD src1_sel:WORD_1
	v_bfe_u32 v6, v8, 19, 4
	v_sub_u32_e32 v7, 29, v7
	v_and_b32_e32 v10, 7, v10
	v_cmp_eq_u16_e32 vcc, 0, v3
	v_cndmask_b32_e32 v2, v2, v10, vcc
	v_cndmask_b32_e32 v3, v6, v7, vcc
	v_lshlrev_b32_e32 v6, 8, v8
	v_mov_b32_e32 v7, 0x3b800000
	v_lshlrev_b32_e32 v2, 20, v2
	v_and_b32_e32 v6, 0x80000000, v6
	v_lshl_add_u32 v3, v3, 23, v7
	v_or3_b32 v2, v6, v3, v2
.LBB32_468:
	s_or_b64 exec, exec, s[6:7]
	s_movk_i32 s4, 0xff
	v_and_b32_sdwa v3, v4, s4 dst_sel:DWORD dst_unused:UNUSED_PAD src0_sel:WORD_1 src1_sel:DWORD
	s_movk_i32 s4, 0x7f
	v_cmp_lt_i16_e32 vcc, s4, v3
	s_mov_b64 s[4:5], 0
                                        ; implicit-def: $sgpr10
	s_and_saveexec_b64 s[6:7], vcc
	s_xor_b64 s[6:7], exec, s[6:7]
	s_cbranch_execnz .LBB32_2517
; %bb.469:
	s_or_saveexec_b64 s[6:7], s[6:7]
	v_mov_b32_e32 v6, s10
	s_xor_b64 exec, exec, s[6:7]
	s_cbranch_execnz .LBB32_2520
.LBB32_470:
	s_or_b64 exec, exec, s[6:7]
	s_and_saveexec_b64 s[6:7], s[4:5]
	s_cbranch_execz .LBB32_472
.LBB32_471:
	v_bfe_u32 v3, v4, 16, 3
	v_ffbh_u32_e32 v10, v3
	v_min_u32_e32 v10, 32, v10
	v_lshrrev_b32_e32 v6, 19, v4
	v_subrev_u32_e32 v11, 28, v10
	v_and_b32_e32 v6, 15, v6
	v_lshlrev_b32_sdwa v11, v11, v4 dst_sel:DWORD dst_unused:UNUSED_PAD src0_sel:DWORD src1_sel:WORD_1
	v_bfe_u32 v7, v4, 19, 4
	v_sub_u32_e32 v10, 29, v10
	v_and_b32_e32 v11, 7, v11
	v_cmp_eq_u16_e32 vcc, 0, v6
	v_cndmask_b32_e32 v3, v3, v11, vcc
	v_cndmask_b32_e32 v6, v7, v10, vcc
	v_lshlrev_b32_e32 v7, 8, v4
	v_mov_b32_e32 v10, 0x3b800000
	v_lshlrev_b32_e32 v3, 20, v3
	v_and_b32_e32 v7, 0x80000000, v7
	v_lshl_add_u32 v6, v6, 23, v10
	v_or3_b32 v6, v7, v6, v3
.LBB32_472:
	s_or_b64 exec, exec, s[6:7]
	s_nop 0
	v_mfma_f32_16x16x4f32 a[0:3], v2, v6, a[0:3]
	s_movk_i32 s4, 0x7f
	v_cmp_gt_i16_sdwa s[6:7], v8, s4 src0_sel:BYTE_3 src1_sel:DWORD
	s_mov_b64 s[4:5], 0
                                        ; implicit-def: $sgpr10
	s_and_saveexec_b64 s[8:9], s[6:7]
	s_xor_b64 s[6:7], exec, s[8:9]
	s_cbranch_execnz .LBB32_2521
; %bb.473:
	s_or_saveexec_b64 s[6:7], s[6:7]
	v_mov_b32_e32 v2, s10
	s_xor_b64 exec, exec, s[6:7]
	s_cbranch_execnz .LBB32_2524
.LBB32_474:
	s_or_b64 exec, exec, s[6:7]
	s_and_saveexec_b64 s[6:7], s[4:5]
	s_cbranch_execz .LBB32_476
.LBB32_475:
	v_bfe_u32 v2, v8, 24, 3
	v_ffbh_u32_e32 v10, v2
	v_min_u32_e32 v10, 32, v10
	v_lshrrev_b32_e32 v6, 27, v8
	v_subrev_u32_e32 v11, 28, v10
	v_and_b32_e32 v3, 0x80000000, v8
	v_and_b32_e32 v6, 15, v6
	v_bfe_u32 v7, v8, 27, 4
	v_lshlrev_b32_sdwa v8, v11, v8 dst_sel:DWORD dst_unused:UNUSED_PAD src0_sel:DWORD src1_sel:BYTE_3
	v_sub_u32_e32 v10, 29, v10
	v_and_b32_e32 v8, 7, v8
	v_cmp_eq_u16_e32 vcc, 0, v6
	v_cndmask_b32_e32 v2, v2, v8, vcc
	v_cndmask_b32_e32 v6, v7, v10, vcc
	v_mov_b32_e32 v7, 0x3b800000
	v_lshlrev_b32_e32 v2, 20, v2
	v_lshl_add_u32 v6, v6, 23, v7
	v_or3_b32 v2, v3, v6, v2
.LBB32_476:
	s_or_b64 exec, exec, s[6:7]
	s_movk_i32 s4, 0x7f
	v_cmp_gt_i16_sdwa s[6:7], v4, s4 src0_sel:BYTE_3 src1_sel:DWORD
	s_mov_b64 s[4:5], 0
                                        ; implicit-def: $sgpr10
	s_and_saveexec_b64 s[8:9], s[6:7]
	s_xor_b64 s[6:7], exec, s[8:9]
	s_cbranch_execnz .LBB32_2525
; %bb.477:
	s_or_saveexec_b64 s[6:7], s[6:7]
	v_mov_b32_e32 v3, s10
	s_xor_b64 exec, exec, s[6:7]
	s_cbranch_execnz .LBB32_2528
.LBB32_478:
	s_or_b64 exec, exec, s[6:7]
	s_and_saveexec_b64 s[6:7], s[4:5]
	s_cbranch_execz .LBB32_480
.LBB32_479:
	v_bfe_u32 v3, v4, 24, 3
	v_ffbh_u32_e32 v10, v3
	v_min_u32_e32 v10, 32, v10
	v_lshrrev_b32_e32 v7, 27, v4
	v_subrev_u32_e32 v11, 28, v10
	v_and_b32_e32 v6, 0x80000000, v4
	v_and_b32_e32 v7, 15, v7
	v_bfe_u32 v8, v4, 27, 4
	v_lshlrev_b32_sdwa v4, v11, v4 dst_sel:DWORD dst_unused:UNUSED_PAD src0_sel:DWORD src1_sel:BYTE_3
	v_sub_u32_e32 v10, 29, v10
	v_and_b32_e32 v4, 7, v4
	v_cmp_eq_u16_e32 vcc, 0, v7
	v_cndmask_b32_e32 v3, v3, v4, vcc
	v_cndmask_b32_e32 v4, v8, v10, vcc
	v_mov_b32_e32 v7, 0x3b800000
	v_lshlrev_b32_e32 v3, 20, v3
	v_lshl_add_u32 v4, v4, 23, v7
	v_or3_b32 v3, v6, v4, v3
.LBB32_480:
	s_or_b64 exec, exec, s[6:7]
	s_nop 0
	v_mfma_f32_16x16x4f32 a[0:3], v2, v3, a[0:3]
	s_movk_i32 s4, 0x7f
	v_cmp_gt_i16_sdwa s[6:7], v9, s4 src0_sel:BYTE_0 src1_sel:DWORD
	s_mov_b64 s[4:5], 0
                                        ; implicit-def: $sgpr10
	s_and_saveexec_b64 s[8:9], s[6:7]
	s_xor_b64 s[6:7], exec, s[8:9]
	s_cbranch_execnz .LBB32_2529
; %bb.481:
	s_or_saveexec_b64 s[6:7], s[6:7]
	v_mov_b32_e32 v2, s10
	s_xor_b64 exec, exec, s[6:7]
	s_cbranch_execnz .LBB32_2532
.LBB32_482:
	s_or_b64 exec, exec, s[6:7]
	s_and_saveexec_b64 s[6:7], s[4:5]
	s_cbranch_execz .LBB32_484
.LBB32_483:
	v_mov_b32_e32 v2, 8
	v_and_b32_e32 v3, 7, v9
	v_lshrrev_b32_sdwa v2, v2, v9 dst_sel:BYTE_1 dst_unused:UNUSED_PAD src0_sel:DWORD src1_sel:DWORD
	v_ffbh_u32_e32 v4, v3
	v_or_b32_sdwa v2, v9, v2 dst_sel:DWORD dst_unused:UNUSED_PAD src0_sel:BYTE_0 src1_sel:DWORD
	v_min_u32_e32 v4, 32, v4
	v_lshrrev_b16_e32 v2, 3, v2
	v_subrev_u32_e32 v6, 28, v4
	v_and_b32_e32 v2, 15, v2
	v_lshlrev_b32_e32 v6, v6, v9
	v_sub_u32_e32 v4, 29, v4
	v_and_b32_e32 v6, 7, v6
	v_cmp_eq_u16_e32 vcc, 0, v2
	v_cndmask_b32_e32 v3, v3, v6, vcc
	v_cndmask_b32_e32 v2, v2, v4, vcc
	v_lshlrev_b32_e32 v4, 24, v9
	v_mov_b32_e32 v6, 0x3b800000
	v_lshlrev_b32_e32 v3, 20, v3
	v_and_b32_e32 v4, 0x80000000, v4
	v_lshl_add_u32 v2, v2, 23, v6
	v_or3_b32 v2, v4, v2, v3
.LBB32_484:
	s_or_b64 exec, exec, s[6:7]
	s_movk_i32 s4, 0x7f
	v_cmp_gt_i16_sdwa s[6:7], v5, s4 src0_sel:BYTE_0 src1_sel:DWORD
	s_mov_b64 s[4:5], 0
                                        ; implicit-def: $sgpr10
	s_and_saveexec_b64 s[8:9], s[6:7]
	s_xor_b64 s[6:7], exec, s[8:9]
	s_cbranch_execnz .LBB32_2533
; %bb.485:
	s_or_saveexec_b64 s[6:7], s[6:7]
	v_mov_b32_e32 v3, s10
	s_xor_b64 exec, exec, s[6:7]
	s_cbranch_execnz .LBB32_2536
.LBB32_486:
	s_or_b64 exec, exec, s[6:7]
	s_and_saveexec_b64 s[6:7], s[4:5]
	s_cbranch_execz .LBB32_488
.LBB32_487:
	v_mov_b32_e32 v3, 8
	v_and_b32_e32 v4, 7, v5
	v_lshrrev_b32_sdwa v3, v3, v5 dst_sel:BYTE_1 dst_unused:UNUSED_PAD src0_sel:DWORD src1_sel:DWORD
	v_ffbh_u32_e32 v6, v4
	v_or_b32_sdwa v3, v5, v3 dst_sel:DWORD dst_unused:UNUSED_PAD src0_sel:BYTE_0 src1_sel:DWORD
	v_min_u32_e32 v6, 32, v6
	v_lshrrev_b16_e32 v3, 3, v3
	v_subrev_u32_e32 v7, 28, v6
	v_and_b32_e32 v3, 15, v3
	v_lshlrev_b32_e32 v7, v7, v5
	v_sub_u32_e32 v6, 29, v6
	v_and_b32_e32 v7, 7, v7
	v_cmp_eq_u16_e32 vcc, 0, v3
	v_cndmask_b32_e32 v4, v4, v7, vcc
	v_cndmask_b32_e32 v3, v3, v6, vcc
	v_lshlrev_b32_e32 v6, 24, v5
	v_mov_b32_e32 v7, 0x3b800000
	v_lshlrev_b32_e32 v4, 20, v4
	v_and_b32_e32 v6, 0x80000000, v6
	v_lshl_add_u32 v3, v3, 23, v7
	v_or3_b32 v3, v6, v3, v4
.LBB32_488:
	s_or_b64 exec, exec, s[6:7]
	s_nop 0
	v_mfma_f32_16x16x4f32 a[0:3], v2, v3, a[0:3]
	v_lshrrev_b32_e32 v3, 8, v9
	s_movk_i32 s4, 0x7f
	v_cmp_gt_i16_sdwa s[6:7], v3, s4 src0_sel:BYTE_0 src1_sel:DWORD
	s_mov_b64 s[4:5], 0
                                        ; implicit-def: $sgpr10
	s_and_saveexec_b64 s[8:9], s[6:7]
	s_xor_b64 s[6:7], exec, s[8:9]
	s_cbranch_execnz .LBB32_2537
; %bb.489:
	s_or_saveexec_b64 s[6:7], s[6:7]
	v_mov_b32_e32 v2, s10
	s_xor_b64 exec, exec, s[6:7]
	s_cbranch_execnz .LBB32_2540
.LBB32_490:
	s_or_b64 exec, exec, s[6:7]
	s_and_saveexec_b64 s[6:7], s[4:5]
	s_cbranch_execz .LBB32_492
.LBB32_491:
	v_bfe_u32 v2, v9, 8, 3
	v_ffbh_u32_e32 v6, v2
	v_min_u32_e32 v6, 32, v6
	v_lshrrev_b16_e32 v4, 3, v3
	v_subrev_u32_e32 v7, 28, v6
	v_and_b32_e32 v4, 15, v4
	v_lshlrev_b32_e32 v3, v7, v3
	v_sub_u32_e32 v6, 29, v6
	v_and_b32_e32 v3, 7, v3
	v_cmp_eq_u16_e32 vcc, 0, v4
	v_cndmask_b32_e32 v2, v2, v3, vcc
	v_cndmask_b32_e32 v3, v4, v6, vcc
	v_lshlrev_b32_e32 v4, 16, v9
	v_mov_b32_e32 v6, 0x3b800000
	v_lshlrev_b32_e32 v2, 20, v2
	v_and_b32_e32 v4, 0x80000000, v4
	v_lshl_add_u32 v3, v3, 23, v6
	v_or3_b32 v2, v4, v3, v2
.LBB32_492:
	s_or_b64 exec, exec, s[6:7]
	v_lshrrev_b32_e32 v3, 8, v5
	s_movk_i32 s4, 0x7f
	v_cmp_gt_i16_sdwa s[6:7], v3, s4 src0_sel:BYTE_0 src1_sel:DWORD
	s_mov_b64 s[4:5], 0
                                        ; implicit-def: $sgpr10
	s_and_saveexec_b64 s[8:9], s[6:7]
	s_xor_b64 s[6:7], exec, s[8:9]
	s_cbranch_execnz .LBB32_2541
; %bb.493:
	s_or_saveexec_b64 s[6:7], s[6:7]
	v_mov_b32_e32 v4, s10
	s_xor_b64 exec, exec, s[6:7]
	s_cbranch_execnz .LBB32_2544
.LBB32_494:
	s_or_b64 exec, exec, s[6:7]
	s_and_saveexec_b64 s[6:7], s[4:5]
	s_cbranch_execz .LBB32_496
.LBB32_495:
	v_bfe_u32 v4, v5, 8, 3
	v_ffbh_u32_e32 v7, v4
	v_min_u32_e32 v7, 32, v7
	v_lshrrev_b16_e32 v6, 3, v3
	v_subrev_u32_e32 v8, 28, v7
	v_and_b32_e32 v6, 15, v6
	v_lshlrev_b32_e32 v3, v8, v3
	v_sub_u32_e32 v7, 29, v7
	v_and_b32_e32 v3, 7, v3
	v_cmp_eq_u16_e32 vcc, 0, v6
	v_cndmask_b32_e32 v3, v4, v3, vcc
	v_cndmask_b32_e32 v4, v6, v7, vcc
	v_lshlrev_b32_e32 v6, 16, v5
	v_mov_b32_e32 v7, 0x3b800000
	v_lshlrev_b32_e32 v3, 20, v3
	v_and_b32_e32 v6, 0x80000000, v6
	v_lshl_add_u32 v4, v4, 23, v7
	v_or3_b32 v4, v6, v4, v3
.LBB32_496:
	s_or_b64 exec, exec, s[6:7]
	s_nop 0
	v_mfma_f32_16x16x4f32 a[0:3], v2, v4, a[0:3]
	s_movk_i32 s4, 0xff
	v_and_b32_sdwa v3, v9, s4 dst_sel:DWORD dst_unused:UNUSED_PAD src0_sel:WORD_1 src1_sel:DWORD
	s_movk_i32 s4, 0x7f
	v_cmp_lt_i16_e32 vcc, s4, v3
	s_mov_b64 s[4:5], 0
                                        ; implicit-def: $sgpr10
	s_and_saveexec_b64 s[6:7], vcc
	s_xor_b64 s[6:7], exec, s[6:7]
	s_cbranch_execnz .LBB32_2545
; %bb.497:
	s_or_saveexec_b64 s[6:7], s[6:7]
	v_mov_b32_e32 v2, s10
	s_xor_b64 exec, exec, s[6:7]
	s_cbranch_execnz .LBB32_2548
.LBB32_498:
	s_or_b64 exec, exec, s[6:7]
	s_and_saveexec_b64 s[6:7], s[4:5]
	s_cbranch_execz .LBB32_500
.LBB32_499:
	v_bfe_u32 v2, v9, 16, 3
	v_ffbh_u32_e32 v6, v2
	v_min_u32_e32 v6, 32, v6
	v_lshrrev_b32_e32 v3, 19, v9
	v_subrev_u32_e32 v7, 28, v6
	v_and_b32_e32 v3, 15, v3
	v_lshlrev_b32_sdwa v7, v7, v9 dst_sel:DWORD dst_unused:UNUSED_PAD src0_sel:DWORD src1_sel:WORD_1
	v_bfe_u32 v4, v9, 19, 4
	v_sub_u32_e32 v6, 29, v6
	v_and_b32_e32 v7, 7, v7
	v_cmp_eq_u16_e32 vcc, 0, v3
	v_cndmask_b32_e32 v2, v2, v7, vcc
	v_cndmask_b32_e32 v3, v4, v6, vcc
	v_lshlrev_b32_e32 v4, 8, v9
	v_mov_b32_e32 v6, 0x3b800000
	v_lshlrev_b32_e32 v2, 20, v2
	v_and_b32_e32 v4, 0x80000000, v4
	v_lshl_add_u32 v3, v3, 23, v6
	v_or3_b32 v2, v4, v3, v2
.LBB32_500:
	s_or_b64 exec, exec, s[6:7]
	s_movk_i32 s4, 0xff
	v_and_b32_sdwa v3, v5, s4 dst_sel:DWORD dst_unused:UNUSED_PAD src0_sel:WORD_1 src1_sel:DWORD
	s_movk_i32 s4, 0x7f
	v_cmp_lt_i16_e32 vcc, s4, v3
	s_mov_b64 s[4:5], 0
                                        ; implicit-def: $sgpr10
	s_and_saveexec_b64 s[6:7], vcc
	s_xor_b64 s[6:7], exec, s[6:7]
	s_cbranch_execnz .LBB32_2549
; %bb.501:
	s_or_saveexec_b64 s[6:7], s[6:7]
	v_mov_b32_e32 v4, s10
	s_xor_b64 exec, exec, s[6:7]
	s_cbranch_execnz .LBB32_2552
.LBB32_502:
	s_or_b64 exec, exec, s[6:7]
	s_and_saveexec_b64 s[6:7], s[4:5]
	s_cbranch_execz .LBB32_504
.LBB32_503:
	v_bfe_u32 v3, v5, 16, 3
	v_ffbh_u32_e32 v7, v3
	v_min_u32_e32 v7, 32, v7
	v_lshrrev_b32_e32 v4, 19, v5
	v_subrev_u32_e32 v8, 28, v7
	v_and_b32_e32 v4, 15, v4
	v_lshlrev_b32_sdwa v8, v8, v5 dst_sel:DWORD dst_unused:UNUSED_PAD src0_sel:DWORD src1_sel:WORD_1
	v_bfe_u32 v6, v5, 19, 4
	v_sub_u32_e32 v7, 29, v7
	v_and_b32_e32 v8, 7, v8
	v_cmp_eq_u16_e32 vcc, 0, v4
	v_cndmask_b32_e32 v3, v3, v8, vcc
	v_cndmask_b32_e32 v4, v6, v7, vcc
	v_lshlrev_b32_e32 v6, 8, v5
	v_mov_b32_e32 v7, 0x3b800000
	v_lshlrev_b32_e32 v3, 20, v3
	v_and_b32_e32 v6, 0x80000000, v6
	v_lshl_add_u32 v4, v4, 23, v7
	v_or3_b32 v4, v6, v4, v3
.LBB32_504:
	s_or_b64 exec, exec, s[6:7]
	s_nop 0
	v_mfma_f32_16x16x4f32 a[0:3], v2, v4, a[0:3]
	s_movk_i32 s4, 0x7f
	v_cmp_gt_i16_sdwa s[6:7], v9, s4 src0_sel:BYTE_3 src1_sel:DWORD
	s_mov_b64 s[4:5], 0
                                        ; implicit-def: $sgpr10
	s_and_saveexec_b64 s[8:9], s[6:7]
	s_xor_b64 s[6:7], exec, s[8:9]
	s_cbranch_execnz .LBB32_2553
; %bb.505:
	s_or_saveexec_b64 s[6:7], s[6:7]
	v_mov_b32_e32 v2, s10
	s_xor_b64 exec, exec, s[6:7]
	s_cbranch_execnz .LBB32_2556
.LBB32_506:
	s_or_b64 exec, exec, s[6:7]
	s_and_saveexec_b64 s[6:7], s[4:5]
	s_cbranch_execz .LBB32_508
.LBB32_507:
	v_bfe_u32 v2, v9, 24, 3
	v_ffbh_u32_e32 v7, v2
	v_min_u32_e32 v7, 32, v7
	v_lshrrev_b32_e32 v4, 27, v9
	v_subrev_u32_e32 v8, 28, v7
	v_and_b32_e32 v4, 15, v4
	v_lshlrev_b32_sdwa v8, v8, v9 dst_sel:DWORD dst_unused:UNUSED_PAD src0_sel:DWORD src1_sel:BYTE_3
	v_bfe_u32 v6, v9, 27, 4
	v_sub_u32_e32 v7, 29, v7
	v_and_b32_e32 v8, 7, v8
	v_cmp_eq_u16_e32 vcc, 0, v4
	v_cndmask_b32_e32 v2, v2, v8, vcc
	v_cndmask_b32_e32 v4, v6, v7, vcc
	v_mov_b32_e32 v6, 0x3b800000
	v_and_b32_e32 v3, 0x80000000, v9
	v_lshlrev_b32_e32 v2, 20, v2
	v_lshl_add_u32 v4, v4, 23, v6
	v_or3_b32 v2, v3, v4, v2
.LBB32_508:
	s_or_b64 exec, exec, s[6:7]
	s_movk_i32 s4, 0x7f
	v_cmp_gt_i16_sdwa s[6:7], v5, s4 src0_sel:BYTE_3 src1_sel:DWORD
	s_mov_b64 s[4:5], 0
                                        ; implicit-def: $sgpr10
	s_and_saveexec_b64 s[8:9], s[6:7]
	s_xor_b64 s[6:7], exec, s[8:9]
	s_cbranch_execnz .LBB32_2557
; %bb.509:
	s_or_saveexec_b64 s[6:7], s[6:7]
	v_mov_b32_e32 v3, s10
	s_xor_b64 exec, exec, s[6:7]
	s_cbranch_execnz .LBB32_2560
.LBB32_510:
	s_or_b64 exec, exec, s[6:7]
	s_and_saveexec_b64 s[6:7], s[4:5]
	s_cbranch_execz .LBB32_512
.LBB32_511:
	v_bfe_u32 v3, v5, 24, 3
	v_ffbh_u32_e32 v8, v3
	v_min_u32_e32 v8, 32, v8
	v_lshrrev_b32_e32 v6, 27, v5
	v_subrev_u32_e32 v9, 28, v8
	v_and_b32_e32 v4, 0x80000000, v5
	v_and_b32_e32 v6, 15, v6
	v_bfe_u32 v7, v5, 27, 4
	v_lshlrev_b32_sdwa v5, v9, v5 dst_sel:DWORD dst_unused:UNUSED_PAD src0_sel:DWORD src1_sel:BYTE_3
	v_sub_u32_e32 v8, 29, v8
	v_and_b32_e32 v5, 7, v5
	v_cmp_eq_u16_e32 vcc, 0, v6
	v_cndmask_b32_e32 v3, v3, v5, vcc
	v_cndmask_b32_e32 v5, v7, v8, vcc
	v_mov_b32_e32 v6, 0x3b800000
	v_lshlrev_b32_e32 v3, 20, v3
	v_lshl_add_u32 v5, v5, 23, v6
	v_or3_b32 v3, v4, v5, v3
.LBB32_512:
	s_or_b64 exec, exec, s[6:7]
	s_nop 0
	v_mfma_f32_16x16x4f32 a[0:3], v2, v3, a[0:3]
	s_movk_i32 s4, 0x7f
                                        ; implicit-def: $sgpr10
	s_nop 7
	s_nop 1
	flat_store_dwordx4 v[18:19], a[0:3] offset:528
	flat_load_dwordx4 v[20:23], v[0:1] offset:16
	s_nop 0
	flat_load_dwordx2 v[18:19], v[0:1] offset:32
	s_waitcnt vmcnt(0) lgkmcnt(0)
	flat_load_dwordx4 v[14:17], v[20:21]
	flat_load_dwordx4 v[6:9], v[20:21] offset:16
	flat_load_dwordx4 v[10:13], v[22:23] offset:64
	;; [unrolled: 1-line block ×3, first 2 shown]
	s_waitcnt vmcnt(0) lgkmcnt(0)
	v_cmp_gt_i16_sdwa s[6:7], v14, s4 src0_sel:BYTE_0 src1_sel:DWORD
	s_mov_b64 s[4:5], 0
	s_and_saveexec_b64 s[8:9], s[6:7]
	s_xor_b64 s[6:7], exec, s[8:9]
	s_cbranch_execnz .LBB32_2561
; %bb.513:
	s_or_saveexec_b64 s[6:7], s[6:7]
	v_mov_b32_e32 v20, s10
	s_xor_b64 exec, exec, s[6:7]
	s_cbranch_execnz .LBB32_2564
.LBB32_514:
	s_or_b64 exec, exec, s[6:7]
	s_and_saveexec_b64 s[6:7], s[4:5]
	s_cbranch_execz .LBB32_516
.LBB32_515:
	v_and_b32_e32 v20, 7, v14
	v_ffbh_u32_e32 v22, v20
	v_min_u32_e32 v22, 32, v22
	v_lshrrev_b16_e32 v21, 3, v14
	v_subrev_u32_e32 v23, 28, v22
	v_and_b32_e32 v21, 15, v21
	v_lshlrev_b32_e32 v23, v23, v14
	v_sub_u32_e32 v22, 29, v22
	v_and_b32_e32 v23, 7, v23
	v_cmp_eq_u16_e32 vcc, 0, v21
	v_cndmask_b32_e32 v20, v20, v23, vcc
	v_cndmask_b32_e32 v21, v21, v22, vcc
	v_lshlrev_b32_e32 v22, 24, v14
	v_mov_b32_e32 v23, 0x3b800000
	v_lshlrev_b32_e32 v20, 20, v20
	v_and_b32_e32 v22, 0x80000000, v22
	v_lshl_add_u32 v21, v21, 23, v23
	v_or3_b32 v20, v22, v21, v20
.LBB32_516:
	s_or_b64 exec, exec, s[6:7]
	s_movk_i32 s4, 0x7f
	v_cmp_gt_i16_sdwa s[6:7], v10, s4 src0_sel:BYTE_0 src1_sel:DWORD
	s_mov_b64 s[4:5], 0
                                        ; implicit-def: $sgpr10
	s_and_saveexec_b64 s[8:9], s[6:7]
	s_xor_b64 s[6:7], exec, s[8:9]
	s_cbranch_execnz .LBB32_2565
; %bb.517:
	s_or_saveexec_b64 s[6:7], s[6:7]
	v_mov_b32_e32 v21, s10
	s_xor_b64 exec, exec, s[6:7]
	s_cbranch_execnz .LBB32_2568
.LBB32_518:
	s_or_b64 exec, exec, s[6:7]
	s_and_saveexec_b64 s[6:7], s[4:5]
	s_cbranch_execz .LBB32_520
.LBB32_519:
	v_and_b32_e32 v21, 7, v10
	v_ffbh_u32_e32 v23, v21
	v_min_u32_e32 v23, 32, v23
	v_lshrrev_b16_e32 v22, 3, v10
	v_subrev_u32_e32 v24, 28, v23
	v_and_b32_e32 v22, 15, v22
	v_lshlrev_b32_e32 v24, v24, v10
	v_sub_u32_e32 v23, 29, v23
	v_and_b32_e32 v24, 7, v24
	v_cmp_eq_u16_e32 vcc, 0, v22
	v_cndmask_b32_e32 v21, v21, v24, vcc
	v_cndmask_b32_e32 v22, v22, v23, vcc
	v_lshlrev_b32_e32 v23, 24, v10
	v_mov_b32_e32 v24, 0x3b800000
	v_lshlrev_b32_e32 v21, 20, v21
	v_and_b32_e32 v23, 0x80000000, v23
	v_lshl_add_u32 v22, v22, 23, v24
	v_or3_b32 v21, v23, v22, v21
.LBB32_520:
	s_or_b64 exec, exec, s[6:7]
	flat_load_dwordx4 a[0:3], v[18:19] offset:544
	s_movk_i32 s4, 0x7f
                                        ; implicit-def: $sgpr10
	s_waitcnt vmcnt(0) lgkmcnt(0)
	v_mfma_f32_16x16x4f32 a[0:3], v20, v21, a[0:3]
	v_lshrrev_b32_e32 v21, 8, v14
	v_cmp_gt_i16_sdwa s[6:7], v21, s4 src0_sel:BYTE_0 src1_sel:DWORD
	s_mov_b64 s[4:5], 0
	s_and_saveexec_b64 s[8:9], s[6:7]
	s_xor_b64 s[6:7], exec, s[8:9]
	s_cbranch_execnz .LBB32_2569
; %bb.521:
	s_or_saveexec_b64 s[6:7], s[6:7]
	v_mov_b32_e32 v20, s10
	s_xor_b64 exec, exec, s[6:7]
	s_cbranch_execnz .LBB32_2572
.LBB32_522:
	s_or_b64 exec, exec, s[6:7]
	s_and_saveexec_b64 s[6:7], s[4:5]
	s_cbranch_execz .LBB32_524
.LBB32_523:
	v_bfe_u32 v20, v14, 8, 3
	v_ffbh_u32_e32 v23, v20
	v_min_u32_e32 v23, 32, v23
	v_lshrrev_b16_e32 v22, 3, v21
	v_subrev_u32_e32 v24, 28, v23
	v_and_b32_e32 v22, 15, v22
	v_lshlrev_b32_e32 v21, v24, v21
	v_sub_u32_e32 v23, 29, v23
	v_and_b32_e32 v21, 7, v21
	v_cmp_eq_u16_e32 vcc, 0, v22
	v_cndmask_b32_e32 v20, v20, v21, vcc
	v_cndmask_b32_e32 v21, v22, v23, vcc
	v_lshlrev_b32_e32 v22, 16, v14
	v_mov_b32_e32 v23, 0x3b800000
	v_lshlrev_b32_e32 v20, 20, v20
	v_and_b32_e32 v22, 0x80000000, v22
	v_lshl_add_u32 v21, v21, 23, v23
	v_or3_b32 v20, v22, v21, v20
.LBB32_524:
	s_or_b64 exec, exec, s[6:7]
	v_lshrrev_b32_e32 v21, 8, v10
	s_movk_i32 s4, 0x7f
	v_cmp_gt_i16_sdwa s[6:7], v21, s4 src0_sel:BYTE_0 src1_sel:DWORD
	s_mov_b64 s[4:5], 0
                                        ; implicit-def: $sgpr10
	s_and_saveexec_b64 s[8:9], s[6:7]
	s_xor_b64 s[6:7], exec, s[8:9]
	s_cbranch_execnz .LBB32_2573
; %bb.525:
	s_or_saveexec_b64 s[6:7], s[6:7]
	v_mov_b32_e32 v22, s10
	s_xor_b64 exec, exec, s[6:7]
	s_cbranch_execnz .LBB32_2576
.LBB32_526:
	s_or_b64 exec, exec, s[6:7]
	s_and_saveexec_b64 s[6:7], s[4:5]
	s_cbranch_execz .LBB32_528
.LBB32_527:
	v_bfe_u32 v22, v10, 8, 3
	v_ffbh_u32_e32 v24, v22
	v_min_u32_e32 v24, 32, v24
	v_lshrrev_b16_e32 v23, 3, v21
	v_subrev_u32_e32 v25, 28, v24
	v_and_b32_e32 v23, 15, v23
	v_lshlrev_b32_e32 v21, v25, v21
	v_sub_u32_e32 v24, 29, v24
	v_and_b32_e32 v21, 7, v21
	v_cmp_eq_u16_e32 vcc, 0, v23
	v_cndmask_b32_e32 v21, v22, v21, vcc
	v_cndmask_b32_e32 v22, v23, v24, vcc
	v_lshlrev_b32_e32 v23, 16, v10
	v_mov_b32_e32 v24, 0x3b800000
	v_lshlrev_b32_e32 v21, 20, v21
	v_and_b32_e32 v23, 0x80000000, v23
	v_lshl_add_u32 v22, v22, 23, v24
	v_or3_b32 v22, v23, v22, v21
.LBB32_528:
	s_or_b64 exec, exec, s[6:7]
	s_nop 0
	v_mfma_f32_16x16x4f32 a[0:3], v20, v22, a[0:3]
	s_movk_i32 s4, 0xff
	v_and_b32_sdwa v21, v14, s4 dst_sel:DWORD dst_unused:UNUSED_PAD src0_sel:WORD_1 src1_sel:DWORD
	s_movk_i32 s4, 0x7f
	v_cmp_lt_i16_e32 vcc, s4, v21
	s_mov_b64 s[4:5], 0
                                        ; implicit-def: $sgpr10
	s_and_saveexec_b64 s[6:7], vcc
	s_xor_b64 s[6:7], exec, s[6:7]
	s_cbranch_execnz .LBB32_2577
; %bb.529:
	s_or_saveexec_b64 s[6:7], s[6:7]
	v_mov_b32_e32 v20, s10
	s_xor_b64 exec, exec, s[6:7]
	s_cbranch_execnz .LBB32_2580
.LBB32_530:
	s_or_b64 exec, exec, s[6:7]
	s_and_saveexec_b64 s[6:7], s[4:5]
	s_cbranch_execz .LBB32_532
.LBB32_531:
	v_bfe_u32 v20, v14, 16, 3
	v_ffbh_u32_e32 v23, v20
	v_min_u32_e32 v23, 32, v23
	v_lshrrev_b32_e32 v21, 19, v14
	v_subrev_u32_e32 v24, 28, v23
	v_and_b32_e32 v21, 15, v21
	v_lshlrev_b32_sdwa v24, v24, v14 dst_sel:DWORD dst_unused:UNUSED_PAD src0_sel:DWORD src1_sel:WORD_1
	v_bfe_u32 v22, v14, 19, 4
	v_sub_u32_e32 v23, 29, v23
	v_and_b32_e32 v24, 7, v24
	v_cmp_eq_u16_e32 vcc, 0, v21
	v_cndmask_b32_e32 v20, v20, v24, vcc
	v_cndmask_b32_e32 v21, v22, v23, vcc
	v_lshlrev_b32_e32 v22, 8, v14
	v_mov_b32_e32 v23, 0x3b800000
	v_lshlrev_b32_e32 v20, 20, v20
	v_and_b32_e32 v22, 0x80000000, v22
	v_lshl_add_u32 v21, v21, 23, v23
	v_or3_b32 v20, v22, v21, v20
.LBB32_532:
	s_or_b64 exec, exec, s[6:7]
	s_movk_i32 s4, 0xff
	v_and_b32_sdwa v21, v10, s4 dst_sel:DWORD dst_unused:UNUSED_PAD src0_sel:WORD_1 src1_sel:DWORD
	s_movk_i32 s4, 0x7f
	v_cmp_lt_i16_e32 vcc, s4, v21
	s_mov_b64 s[4:5], 0
                                        ; implicit-def: $sgpr10
	s_and_saveexec_b64 s[6:7], vcc
	s_xor_b64 s[6:7], exec, s[6:7]
	s_cbranch_execnz .LBB32_2581
; %bb.533:
	s_or_saveexec_b64 s[6:7], s[6:7]
	v_mov_b32_e32 v22, s10
	s_xor_b64 exec, exec, s[6:7]
	s_cbranch_execnz .LBB32_2584
.LBB32_534:
	s_or_b64 exec, exec, s[6:7]
	s_and_saveexec_b64 s[6:7], s[4:5]
	s_cbranch_execz .LBB32_536
.LBB32_535:
	v_bfe_u32 v21, v10, 16, 3
	v_ffbh_u32_e32 v24, v21
	v_min_u32_e32 v24, 32, v24
	v_lshrrev_b32_e32 v22, 19, v10
	v_subrev_u32_e32 v25, 28, v24
	v_and_b32_e32 v22, 15, v22
	v_lshlrev_b32_sdwa v25, v25, v10 dst_sel:DWORD dst_unused:UNUSED_PAD src0_sel:DWORD src1_sel:WORD_1
	v_bfe_u32 v23, v10, 19, 4
	v_sub_u32_e32 v24, 29, v24
	v_and_b32_e32 v25, 7, v25
	v_cmp_eq_u16_e32 vcc, 0, v22
	v_cndmask_b32_e32 v21, v21, v25, vcc
	v_cndmask_b32_e32 v22, v23, v24, vcc
	v_lshlrev_b32_e32 v23, 8, v10
	v_mov_b32_e32 v24, 0x3b800000
	v_lshlrev_b32_e32 v21, 20, v21
	v_and_b32_e32 v23, 0x80000000, v23
	v_lshl_add_u32 v22, v22, 23, v24
	v_or3_b32 v22, v23, v22, v21
.LBB32_536:
	s_or_b64 exec, exec, s[6:7]
	s_nop 0
	v_mfma_f32_16x16x4f32 a[0:3], v20, v22, a[0:3]
	s_movk_i32 s4, 0x7f
	v_cmp_gt_i16_sdwa s[6:7], v14, s4 src0_sel:BYTE_3 src1_sel:DWORD
	s_mov_b64 s[4:5], 0
                                        ; implicit-def: $sgpr10
	s_and_saveexec_b64 s[8:9], s[6:7]
	s_xor_b64 s[6:7], exec, s[8:9]
	s_cbranch_execnz .LBB32_2585
; %bb.537:
	s_or_saveexec_b64 s[6:7], s[6:7]
	v_mov_b32_e32 v20, s10
	s_xor_b64 exec, exec, s[6:7]
	s_cbranch_execnz .LBB32_2588
.LBB32_538:
	s_or_b64 exec, exec, s[6:7]
	s_and_saveexec_b64 s[6:7], s[4:5]
	s_cbranch_execz .LBB32_540
.LBB32_539:
	v_bfe_u32 v20, v14, 24, 3
	v_ffbh_u32_e32 v24, v20
	v_min_u32_e32 v24, 32, v24
	v_lshrrev_b32_e32 v22, 27, v14
	v_subrev_u32_e32 v25, 28, v24
	v_and_b32_e32 v21, 0x80000000, v14
	v_and_b32_e32 v22, 15, v22
	v_bfe_u32 v23, v14, 27, 4
	v_lshlrev_b32_sdwa v14, v25, v14 dst_sel:DWORD dst_unused:UNUSED_PAD src0_sel:DWORD src1_sel:BYTE_3
	v_sub_u32_e32 v24, 29, v24
	v_and_b32_e32 v14, 7, v14
	v_cmp_eq_u16_e32 vcc, 0, v22
	v_cndmask_b32_e32 v14, v20, v14, vcc
	v_cndmask_b32_e32 v20, v23, v24, vcc
	v_mov_b32_e32 v22, 0x3b800000
	v_lshlrev_b32_e32 v14, 20, v14
	v_lshl_add_u32 v20, v20, 23, v22
	v_or3_b32 v20, v21, v20, v14
.LBB32_540:
	s_or_b64 exec, exec, s[6:7]
	s_movk_i32 s4, 0x7f
	v_cmp_gt_i16_sdwa s[6:7], v10, s4 src0_sel:BYTE_3 src1_sel:DWORD
	s_mov_b64 s[4:5], 0
                                        ; implicit-def: $sgpr10
	s_and_saveexec_b64 s[8:9], s[6:7]
	s_xor_b64 s[6:7], exec, s[8:9]
	s_cbranch_execnz .LBB32_2589
; %bb.541:
	s_or_saveexec_b64 s[6:7], s[6:7]
	v_mov_b32_e32 v14, s10
	s_xor_b64 exec, exec, s[6:7]
	s_cbranch_execnz .LBB32_2592
.LBB32_542:
	s_or_b64 exec, exec, s[6:7]
	s_and_saveexec_b64 s[6:7], s[4:5]
	s_cbranch_execz .LBB32_544
.LBB32_543:
	v_bfe_u32 v14, v10, 24, 3
	v_ffbh_u32_e32 v24, v14
	v_min_u32_e32 v24, 32, v24
	v_lshrrev_b32_e32 v22, 27, v10
	v_subrev_u32_e32 v25, 28, v24
	v_and_b32_e32 v21, 0x80000000, v10
	v_and_b32_e32 v22, 15, v22
	v_bfe_u32 v23, v10, 27, 4
	v_lshlrev_b32_sdwa v10, v25, v10 dst_sel:DWORD dst_unused:UNUSED_PAD src0_sel:DWORD src1_sel:BYTE_3
	v_sub_u32_e32 v24, 29, v24
	v_and_b32_e32 v10, 7, v10
	v_cmp_eq_u16_e32 vcc, 0, v22
	v_cndmask_b32_e32 v10, v14, v10, vcc
	v_cndmask_b32_e32 v14, v23, v24, vcc
	v_mov_b32_e32 v22, 0x3b800000
	v_lshlrev_b32_e32 v10, 20, v10
	v_lshl_add_u32 v14, v14, 23, v22
	v_or3_b32 v14, v21, v14, v10
.LBB32_544:
	s_or_b64 exec, exec, s[6:7]
	s_nop 0
	v_mfma_f32_16x16x4f32 a[0:3], v20, v14, a[0:3]
	s_movk_i32 s4, 0x7f
	v_cmp_gt_i16_sdwa s[6:7], v15, s4 src0_sel:BYTE_0 src1_sel:DWORD
	s_mov_b64 s[4:5], 0
                                        ; implicit-def: $sgpr10
	s_and_saveexec_b64 s[8:9], s[6:7]
	s_xor_b64 s[6:7], exec, s[8:9]
	s_cbranch_execnz .LBB32_2593
; %bb.545:
	s_or_saveexec_b64 s[6:7], s[6:7]
	v_mov_b32_e32 v10, s10
	s_xor_b64 exec, exec, s[6:7]
	s_cbranch_execnz .LBB32_2596
.LBB32_546:
	s_or_b64 exec, exec, s[6:7]
	s_and_saveexec_b64 s[6:7], s[4:5]
	s_cbranch_execz .LBB32_548
.LBB32_547:
	v_and_b32_e32 v10, 7, v15
	v_ffbh_u32_e32 v20, v10
	v_min_u32_e32 v20, 32, v20
	v_lshrrev_b16_e32 v14, 3, v15
	v_subrev_u32_e32 v21, 28, v20
	v_and_b32_e32 v14, 15, v14
	v_lshlrev_b32_e32 v21, v21, v15
	v_sub_u32_e32 v20, 29, v20
	v_and_b32_e32 v21, 7, v21
	v_cmp_eq_u16_e32 vcc, 0, v14
	v_cndmask_b32_e32 v10, v10, v21, vcc
	v_cndmask_b32_e32 v14, v14, v20, vcc
	v_lshlrev_b32_e32 v20, 24, v15
	v_mov_b32_e32 v21, 0x3b800000
	v_lshlrev_b32_e32 v10, 20, v10
	v_and_b32_e32 v20, 0x80000000, v20
	v_lshl_add_u32 v14, v14, 23, v21
	v_or3_b32 v10, v20, v14, v10
.LBB32_548:
	s_or_b64 exec, exec, s[6:7]
	s_movk_i32 s4, 0x7f
	v_cmp_gt_i16_sdwa s[6:7], v11, s4 src0_sel:BYTE_0 src1_sel:DWORD
	s_mov_b64 s[4:5], 0
                                        ; implicit-def: $sgpr10
	s_and_saveexec_b64 s[8:9], s[6:7]
	s_xor_b64 s[6:7], exec, s[8:9]
	s_cbranch_execnz .LBB32_2597
; %bb.549:
	s_or_saveexec_b64 s[6:7], s[6:7]
	v_mov_b32_e32 v14, s10
	s_xor_b64 exec, exec, s[6:7]
	s_cbranch_execnz .LBB32_2600
.LBB32_550:
	s_or_b64 exec, exec, s[6:7]
	s_and_saveexec_b64 s[6:7], s[4:5]
	s_cbranch_execz .LBB32_552
.LBB32_551:
	v_and_b32_e32 v14, 7, v11
	v_ffbh_u32_e32 v21, v14
	v_min_u32_e32 v21, 32, v21
	v_lshrrev_b16_e32 v20, 3, v11
	v_subrev_u32_e32 v22, 28, v21
	v_and_b32_e32 v20, 15, v20
	v_lshlrev_b32_e32 v22, v22, v11
	v_sub_u32_e32 v21, 29, v21
	v_and_b32_e32 v22, 7, v22
	v_cmp_eq_u16_e32 vcc, 0, v20
	v_cndmask_b32_e32 v14, v14, v22, vcc
	v_cndmask_b32_e32 v20, v20, v21, vcc
	v_lshlrev_b32_e32 v21, 24, v11
	v_mov_b32_e32 v22, 0x3b800000
	v_lshlrev_b32_e32 v14, 20, v14
	v_and_b32_e32 v21, 0x80000000, v21
	v_lshl_add_u32 v20, v20, 23, v22
	v_or3_b32 v14, v21, v20, v14
.LBB32_552:
	s_or_b64 exec, exec, s[6:7]
	s_nop 0
	v_mfma_f32_16x16x4f32 a[0:3], v10, v14, a[0:3]
	v_lshrrev_b32_e32 v14, 8, v15
	s_movk_i32 s4, 0x7f
	v_cmp_gt_i16_sdwa s[6:7], v14, s4 src0_sel:BYTE_0 src1_sel:DWORD
	s_mov_b64 s[4:5], 0
                                        ; implicit-def: $sgpr10
	s_and_saveexec_b64 s[8:9], s[6:7]
	s_xor_b64 s[6:7], exec, s[8:9]
	s_cbranch_execnz .LBB32_2601
; %bb.553:
	s_or_saveexec_b64 s[6:7], s[6:7]
	v_mov_b32_e32 v10, s10
	s_xor_b64 exec, exec, s[6:7]
	s_cbranch_execnz .LBB32_2604
.LBB32_554:
	s_or_b64 exec, exec, s[6:7]
	s_and_saveexec_b64 s[6:7], s[4:5]
	s_cbranch_execz .LBB32_556
.LBB32_555:
	v_bfe_u32 v10, v15, 8, 3
	v_ffbh_u32_e32 v21, v10
	v_min_u32_e32 v21, 32, v21
	v_lshrrev_b16_e32 v20, 3, v14
	v_subrev_u32_e32 v22, 28, v21
	v_and_b32_e32 v20, 15, v20
	v_lshlrev_b32_e32 v14, v22, v14
	v_sub_u32_e32 v21, 29, v21
	v_and_b32_e32 v14, 7, v14
	v_cmp_eq_u16_e32 vcc, 0, v20
	v_cndmask_b32_e32 v10, v10, v14, vcc
	v_cndmask_b32_e32 v14, v20, v21, vcc
	v_lshlrev_b32_e32 v20, 16, v15
	v_mov_b32_e32 v21, 0x3b800000
	v_lshlrev_b32_e32 v10, 20, v10
	v_and_b32_e32 v20, 0x80000000, v20
	v_lshl_add_u32 v14, v14, 23, v21
	v_or3_b32 v10, v20, v14, v10
.LBB32_556:
	s_or_b64 exec, exec, s[6:7]
	v_lshrrev_b32_e32 v14, 8, v11
	s_movk_i32 s4, 0x7f
	v_cmp_gt_i16_sdwa s[6:7], v14, s4 src0_sel:BYTE_0 src1_sel:DWORD
	s_mov_b64 s[4:5], 0
                                        ; implicit-def: $sgpr10
	s_and_saveexec_b64 s[8:9], s[6:7]
	s_xor_b64 s[6:7], exec, s[8:9]
	s_cbranch_execnz .LBB32_2605
; %bb.557:
	s_or_saveexec_b64 s[6:7], s[6:7]
	v_mov_b32_e32 v20, s10
	s_xor_b64 exec, exec, s[6:7]
	s_cbranch_execnz .LBB32_2608
.LBB32_558:
	s_or_b64 exec, exec, s[6:7]
	s_and_saveexec_b64 s[6:7], s[4:5]
	s_cbranch_execz .LBB32_560
.LBB32_559:
	v_bfe_u32 v20, v11, 8, 3
	v_ffbh_u32_e32 v22, v20
	v_min_u32_e32 v22, 32, v22
	v_lshrrev_b16_e32 v21, 3, v14
	v_subrev_u32_e32 v23, 28, v22
	v_and_b32_e32 v21, 15, v21
	v_lshlrev_b32_e32 v14, v23, v14
	v_sub_u32_e32 v22, 29, v22
	v_and_b32_e32 v14, 7, v14
	v_cmp_eq_u16_e32 vcc, 0, v21
	v_cndmask_b32_e32 v14, v20, v14, vcc
	v_cndmask_b32_e32 v20, v21, v22, vcc
	v_lshlrev_b32_e32 v21, 16, v11
	v_mov_b32_e32 v22, 0x3b800000
	v_lshlrev_b32_e32 v14, 20, v14
	v_and_b32_e32 v21, 0x80000000, v21
	v_lshl_add_u32 v20, v20, 23, v22
	v_or3_b32 v20, v21, v20, v14
.LBB32_560:
	s_or_b64 exec, exec, s[6:7]
	s_nop 0
	v_mfma_f32_16x16x4f32 a[0:3], v10, v20, a[0:3]
	s_movk_i32 s4, 0xff
	v_and_b32_sdwa v14, v15, s4 dst_sel:DWORD dst_unused:UNUSED_PAD src0_sel:WORD_1 src1_sel:DWORD
	s_movk_i32 s4, 0x7f
	v_cmp_lt_i16_e32 vcc, s4, v14
	s_mov_b64 s[4:5], 0
                                        ; implicit-def: $sgpr10
	s_and_saveexec_b64 s[6:7], vcc
	s_xor_b64 s[6:7], exec, s[6:7]
	s_cbranch_execnz .LBB32_2609
; %bb.561:
	s_or_saveexec_b64 s[6:7], s[6:7]
	v_mov_b32_e32 v10, s10
	s_xor_b64 exec, exec, s[6:7]
	s_cbranch_execnz .LBB32_2612
.LBB32_562:
	s_or_b64 exec, exec, s[6:7]
	s_and_saveexec_b64 s[6:7], s[4:5]
	s_cbranch_execz .LBB32_564
.LBB32_563:
	v_bfe_u32 v10, v15, 16, 3
	v_ffbh_u32_e32 v21, v10
	v_min_u32_e32 v21, 32, v21
	v_lshrrev_b32_e32 v14, 19, v15
	v_subrev_u32_e32 v22, 28, v21
	v_and_b32_e32 v14, 15, v14
	v_lshlrev_b32_sdwa v22, v22, v15 dst_sel:DWORD dst_unused:UNUSED_PAD src0_sel:DWORD src1_sel:WORD_1
	v_bfe_u32 v20, v15, 19, 4
	v_sub_u32_e32 v21, 29, v21
	v_and_b32_e32 v22, 7, v22
	v_cmp_eq_u16_e32 vcc, 0, v14
	v_cndmask_b32_e32 v10, v10, v22, vcc
	v_cndmask_b32_e32 v14, v20, v21, vcc
	v_lshlrev_b32_e32 v20, 8, v15
	v_mov_b32_e32 v21, 0x3b800000
	v_lshlrev_b32_e32 v10, 20, v10
	v_and_b32_e32 v20, 0x80000000, v20
	v_lshl_add_u32 v14, v14, 23, v21
	v_or3_b32 v10, v20, v14, v10
.LBB32_564:
	s_or_b64 exec, exec, s[6:7]
	s_movk_i32 s4, 0xff
	v_and_b32_sdwa v14, v11, s4 dst_sel:DWORD dst_unused:UNUSED_PAD src0_sel:WORD_1 src1_sel:DWORD
	s_movk_i32 s4, 0x7f
	v_cmp_lt_i16_e32 vcc, s4, v14
	s_mov_b64 s[4:5], 0
                                        ; implicit-def: $sgpr10
	s_and_saveexec_b64 s[6:7], vcc
	s_xor_b64 s[6:7], exec, s[6:7]
	s_cbranch_execnz .LBB32_2613
; %bb.565:
	s_or_saveexec_b64 s[6:7], s[6:7]
	v_mov_b32_e32 v20, s10
	s_xor_b64 exec, exec, s[6:7]
	s_cbranch_execnz .LBB32_2616
.LBB32_566:
	s_or_b64 exec, exec, s[6:7]
	s_and_saveexec_b64 s[6:7], s[4:5]
	s_cbranch_execz .LBB32_568
.LBB32_567:
	v_bfe_u32 v14, v11, 16, 3
	v_ffbh_u32_e32 v22, v14
	v_min_u32_e32 v22, 32, v22
	v_lshrrev_b32_e32 v20, 19, v11
	v_subrev_u32_e32 v23, 28, v22
	v_and_b32_e32 v20, 15, v20
	v_lshlrev_b32_sdwa v23, v23, v11 dst_sel:DWORD dst_unused:UNUSED_PAD src0_sel:DWORD src1_sel:WORD_1
	v_bfe_u32 v21, v11, 19, 4
	v_sub_u32_e32 v22, 29, v22
	v_and_b32_e32 v23, 7, v23
	v_cmp_eq_u16_e32 vcc, 0, v20
	v_cndmask_b32_e32 v14, v14, v23, vcc
	v_cndmask_b32_e32 v20, v21, v22, vcc
	v_lshlrev_b32_e32 v21, 8, v11
	v_mov_b32_e32 v22, 0x3b800000
	v_lshlrev_b32_e32 v14, 20, v14
	v_and_b32_e32 v21, 0x80000000, v21
	v_lshl_add_u32 v20, v20, 23, v22
	v_or3_b32 v20, v21, v20, v14
.LBB32_568:
	s_or_b64 exec, exec, s[6:7]
	s_nop 0
	v_mfma_f32_16x16x4f32 a[0:3], v10, v20, a[0:3]
	s_movk_i32 s4, 0x7f
	v_cmp_gt_i16_sdwa s[6:7], v15, s4 src0_sel:BYTE_3 src1_sel:DWORD
	s_mov_b64 s[4:5], 0
                                        ; implicit-def: $sgpr10
	s_and_saveexec_b64 s[8:9], s[6:7]
	s_xor_b64 s[6:7], exec, s[8:9]
	s_cbranch_execnz .LBB32_2617
; %bb.569:
	s_or_saveexec_b64 s[6:7], s[6:7]
	v_mov_b32_e32 v10, s10
	s_xor_b64 exec, exec, s[6:7]
	s_cbranch_execnz .LBB32_2620
.LBB32_570:
	s_or_b64 exec, exec, s[6:7]
	s_and_saveexec_b64 s[6:7], s[4:5]
	s_cbranch_execz .LBB32_572
.LBB32_571:
	v_bfe_u32 v10, v15, 24, 3
	v_ffbh_u32_e32 v22, v10
	v_min_u32_e32 v22, 32, v22
	v_lshrrev_b32_e32 v20, 27, v15
	v_subrev_u32_e32 v23, 28, v22
	v_and_b32_e32 v14, 0x80000000, v15
	v_and_b32_e32 v20, 15, v20
	v_bfe_u32 v21, v15, 27, 4
	v_lshlrev_b32_sdwa v15, v23, v15 dst_sel:DWORD dst_unused:UNUSED_PAD src0_sel:DWORD src1_sel:BYTE_3
	v_sub_u32_e32 v22, 29, v22
	v_and_b32_e32 v15, 7, v15
	v_cmp_eq_u16_e32 vcc, 0, v20
	v_cndmask_b32_e32 v10, v10, v15, vcc
	v_cndmask_b32_e32 v15, v21, v22, vcc
	v_mov_b32_e32 v20, 0x3b800000
	v_lshlrev_b32_e32 v10, 20, v10
	v_lshl_add_u32 v15, v15, 23, v20
	v_or3_b32 v10, v14, v15, v10
.LBB32_572:
	s_or_b64 exec, exec, s[6:7]
	s_movk_i32 s4, 0x7f
	v_cmp_gt_i16_sdwa s[6:7], v11, s4 src0_sel:BYTE_3 src1_sel:DWORD
	s_mov_b64 s[4:5], 0
                                        ; implicit-def: $sgpr10
	s_and_saveexec_b64 s[8:9], s[6:7]
	s_xor_b64 s[6:7], exec, s[8:9]
	s_cbranch_execnz .LBB32_2621
; %bb.573:
	s_or_saveexec_b64 s[6:7], s[6:7]
	v_mov_b32_e32 v14, s10
	s_xor_b64 exec, exec, s[6:7]
	s_cbranch_execnz .LBB32_2624
.LBB32_574:
	s_or_b64 exec, exec, s[6:7]
	s_and_saveexec_b64 s[6:7], s[4:5]
	s_cbranch_execz .LBB32_576
.LBB32_575:
	v_bfe_u32 v14, v11, 24, 3
	v_ffbh_u32_e32 v22, v14
	v_min_u32_e32 v22, 32, v22
	v_lshrrev_b32_e32 v20, 27, v11
	v_subrev_u32_e32 v23, 28, v22
	v_and_b32_e32 v15, 0x80000000, v11
	v_and_b32_e32 v20, 15, v20
	v_bfe_u32 v21, v11, 27, 4
	v_lshlrev_b32_sdwa v11, v23, v11 dst_sel:DWORD dst_unused:UNUSED_PAD src0_sel:DWORD src1_sel:BYTE_3
	v_sub_u32_e32 v22, 29, v22
	v_and_b32_e32 v11, 7, v11
	v_cmp_eq_u16_e32 vcc, 0, v20
	v_cndmask_b32_e32 v11, v14, v11, vcc
	v_cndmask_b32_e32 v14, v21, v22, vcc
	v_mov_b32_e32 v20, 0x3b800000
	v_lshlrev_b32_e32 v11, 20, v11
	v_lshl_add_u32 v14, v14, 23, v20
	v_or3_b32 v14, v15, v14, v11
.LBB32_576:
	s_or_b64 exec, exec, s[6:7]
	s_nop 0
	v_mfma_f32_16x16x4f32 a[0:3], v10, v14, a[0:3]
	s_movk_i32 s4, 0x7f
	v_cmp_gt_i16_sdwa s[6:7], v16, s4 src0_sel:BYTE_0 src1_sel:DWORD
	s_mov_b64 s[4:5], 0
                                        ; implicit-def: $sgpr10
	s_and_saveexec_b64 s[8:9], s[6:7]
	s_xor_b64 s[6:7], exec, s[8:9]
	s_cbranch_execnz .LBB32_2625
; %bb.577:
	s_or_saveexec_b64 s[6:7], s[6:7]
	v_mov_b32_e32 v10, s10
	s_xor_b64 exec, exec, s[6:7]
	s_cbranch_execnz .LBB32_2628
.LBB32_578:
	s_or_b64 exec, exec, s[6:7]
	s_and_saveexec_b64 s[6:7], s[4:5]
	s_cbranch_execz .LBB32_580
.LBB32_579:
	v_and_b32_e32 v10, 7, v16
	v_ffbh_u32_e32 v14, v10
	v_min_u32_e32 v14, 32, v14
	v_lshrrev_b16_e32 v11, 3, v16
	v_subrev_u32_e32 v15, 28, v14
	v_and_b32_e32 v11, 15, v11
	v_lshlrev_b32_e32 v15, v15, v16
	v_sub_u32_e32 v14, 29, v14
	v_and_b32_e32 v15, 7, v15
	v_cmp_eq_u16_e32 vcc, 0, v11
	v_cndmask_b32_e32 v10, v10, v15, vcc
	v_cndmask_b32_e32 v11, v11, v14, vcc
	v_lshlrev_b32_e32 v14, 24, v16
	v_mov_b32_e32 v15, 0x3b800000
	v_lshlrev_b32_e32 v10, 20, v10
	v_and_b32_e32 v14, 0x80000000, v14
	v_lshl_add_u32 v11, v11, 23, v15
	v_or3_b32 v10, v14, v11, v10
.LBB32_580:
	s_or_b64 exec, exec, s[6:7]
	s_movk_i32 s4, 0x7f
	v_cmp_gt_i16_sdwa s[6:7], v12, s4 src0_sel:BYTE_0 src1_sel:DWORD
	s_mov_b64 s[4:5], 0
                                        ; implicit-def: $sgpr10
	s_and_saveexec_b64 s[8:9], s[6:7]
	s_xor_b64 s[6:7], exec, s[8:9]
	s_cbranch_execnz .LBB32_2629
; %bb.581:
	s_or_saveexec_b64 s[6:7], s[6:7]
	v_mov_b32_e32 v11, s10
	s_xor_b64 exec, exec, s[6:7]
	s_cbranch_execnz .LBB32_2632
.LBB32_582:
	s_or_b64 exec, exec, s[6:7]
	s_and_saveexec_b64 s[6:7], s[4:5]
	s_cbranch_execz .LBB32_584
.LBB32_583:
	v_and_b32_e32 v11, 7, v12
	v_ffbh_u32_e32 v15, v11
	v_min_u32_e32 v15, 32, v15
	v_lshrrev_b16_e32 v14, 3, v12
	v_subrev_u32_e32 v20, 28, v15
	v_and_b32_e32 v14, 15, v14
	v_lshlrev_b32_e32 v20, v20, v12
	v_sub_u32_e32 v15, 29, v15
	v_and_b32_e32 v20, 7, v20
	v_cmp_eq_u16_e32 vcc, 0, v14
	v_cndmask_b32_e32 v11, v11, v20, vcc
	v_cndmask_b32_e32 v14, v14, v15, vcc
	v_lshlrev_b32_e32 v15, 24, v12
	v_mov_b32_e32 v20, 0x3b800000
	v_lshlrev_b32_e32 v11, 20, v11
	v_and_b32_e32 v15, 0x80000000, v15
	v_lshl_add_u32 v14, v14, 23, v20
	v_or3_b32 v11, v15, v14, v11
.LBB32_584:
	s_or_b64 exec, exec, s[6:7]
	s_nop 0
	v_mfma_f32_16x16x4f32 a[0:3], v10, v11, a[0:3]
	v_lshrrev_b32_e32 v11, 8, v16
	s_movk_i32 s4, 0x7f
	v_cmp_gt_i16_sdwa s[6:7], v11, s4 src0_sel:BYTE_0 src1_sel:DWORD
	s_mov_b64 s[4:5], 0
                                        ; implicit-def: $sgpr10
	s_and_saveexec_b64 s[8:9], s[6:7]
	s_xor_b64 s[6:7], exec, s[8:9]
	s_cbranch_execnz .LBB32_2633
; %bb.585:
	s_or_saveexec_b64 s[6:7], s[6:7]
	v_mov_b32_e32 v10, s10
	s_xor_b64 exec, exec, s[6:7]
	s_cbranch_execnz .LBB32_2636
.LBB32_586:
	s_or_b64 exec, exec, s[6:7]
	s_and_saveexec_b64 s[6:7], s[4:5]
	s_cbranch_execz .LBB32_588
.LBB32_587:
	v_bfe_u32 v10, v16, 8, 3
	v_ffbh_u32_e32 v15, v10
	v_min_u32_e32 v15, 32, v15
	v_lshrrev_b16_e32 v14, 3, v11
	v_subrev_u32_e32 v20, 28, v15
	v_and_b32_e32 v14, 15, v14
	v_lshlrev_b32_e32 v11, v20, v11
	v_sub_u32_e32 v15, 29, v15
	v_and_b32_e32 v11, 7, v11
	v_cmp_eq_u16_e32 vcc, 0, v14
	v_cndmask_b32_e32 v10, v10, v11, vcc
	v_cndmask_b32_e32 v11, v14, v15, vcc
	v_lshlrev_b32_e32 v14, 16, v16
	v_mov_b32_e32 v15, 0x3b800000
	v_lshlrev_b32_e32 v10, 20, v10
	v_and_b32_e32 v14, 0x80000000, v14
	v_lshl_add_u32 v11, v11, 23, v15
	v_or3_b32 v10, v14, v11, v10
.LBB32_588:
	s_or_b64 exec, exec, s[6:7]
	v_lshrrev_b32_e32 v11, 8, v12
	s_movk_i32 s4, 0x7f
	v_cmp_gt_i16_sdwa s[6:7], v11, s4 src0_sel:BYTE_0 src1_sel:DWORD
	s_mov_b64 s[4:5], 0
                                        ; implicit-def: $sgpr10
	s_and_saveexec_b64 s[8:9], s[6:7]
	s_xor_b64 s[6:7], exec, s[8:9]
	s_cbranch_execnz .LBB32_2637
; %bb.589:
	s_or_saveexec_b64 s[6:7], s[6:7]
	v_mov_b32_e32 v14, s10
	s_xor_b64 exec, exec, s[6:7]
	s_cbranch_execnz .LBB32_2640
.LBB32_590:
	s_or_b64 exec, exec, s[6:7]
	s_and_saveexec_b64 s[6:7], s[4:5]
	s_cbranch_execz .LBB32_592
.LBB32_591:
	v_bfe_u32 v14, v12, 8, 3
	v_ffbh_u32_e32 v20, v14
	v_min_u32_e32 v20, 32, v20
	v_lshrrev_b16_e32 v15, 3, v11
	v_subrev_u32_e32 v21, 28, v20
	v_and_b32_e32 v15, 15, v15
	v_lshlrev_b32_e32 v11, v21, v11
	v_sub_u32_e32 v20, 29, v20
	v_and_b32_e32 v11, 7, v11
	v_cmp_eq_u16_e32 vcc, 0, v15
	v_cndmask_b32_e32 v11, v14, v11, vcc
	v_cndmask_b32_e32 v14, v15, v20, vcc
	v_lshlrev_b32_e32 v15, 16, v12
	v_mov_b32_e32 v20, 0x3b800000
	v_lshlrev_b32_e32 v11, 20, v11
	v_and_b32_e32 v15, 0x80000000, v15
	v_lshl_add_u32 v14, v14, 23, v20
	v_or3_b32 v14, v15, v14, v11
.LBB32_592:
	s_or_b64 exec, exec, s[6:7]
	s_nop 0
	v_mfma_f32_16x16x4f32 a[0:3], v10, v14, a[0:3]
	s_movk_i32 s4, 0xff
	v_and_b32_sdwa v11, v16, s4 dst_sel:DWORD dst_unused:UNUSED_PAD src0_sel:WORD_1 src1_sel:DWORD
	s_movk_i32 s4, 0x7f
	v_cmp_lt_i16_e32 vcc, s4, v11
	s_mov_b64 s[4:5], 0
                                        ; implicit-def: $sgpr10
	s_and_saveexec_b64 s[6:7], vcc
	s_xor_b64 s[6:7], exec, s[6:7]
	s_cbranch_execnz .LBB32_2641
; %bb.593:
	s_or_saveexec_b64 s[6:7], s[6:7]
	v_mov_b32_e32 v10, s10
	s_xor_b64 exec, exec, s[6:7]
	s_cbranch_execnz .LBB32_2644
.LBB32_594:
	s_or_b64 exec, exec, s[6:7]
	s_and_saveexec_b64 s[6:7], s[4:5]
	s_cbranch_execz .LBB32_596
.LBB32_595:
	v_bfe_u32 v10, v16, 16, 3
	v_ffbh_u32_e32 v15, v10
	v_min_u32_e32 v15, 32, v15
	v_lshrrev_b32_e32 v11, 19, v16
	v_subrev_u32_e32 v20, 28, v15
	v_and_b32_e32 v11, 15, v11
	v_lshlrev_b32_sdwa v20, v20, v16 dst_sel:DWORD dst_unused:UNUSED_PAD src0_sel:DWORD src1_sel:WORD_1
	v_bfe_u32 v14, v16, 19, 4
	v_sub_u32_e32 v15, 29, v15
	v_and_b32_e32 v20, 7, v20
	v_cmp_eq_u16_e32 vcc, 0, v11
	v_cndmask_b32_e32 v10, v10, v20, vcc
	v_cndmask_b32_e32 v11, v14, v15, vcc
	v_lshlrev_b32_e32 v14, 8, v16
	v_mov_b32_e32 v15, 0x3b800000
	v_lshlrev_b32_e32 v10, 20, v10
	v_and_b32_e32 v14, 0x80000000, v14
	v_lshl_add_u32 v11, v11, 23, v15
	v_or3_b32 v10, v14, v11, v10
.LBB32_596:
	s_or_b64 exec, exec, s[6:7]
	s_movk_i32 s4, 0xff
	v_and_b32_sdwa v11, v12, s4 dst_sel:DWORD dst_unused:UNUSED_PAD src0_sel:WORD_1 src1_sel:DWORD
	s_movk_i32 s4, 0x7f
	v_cmp_lt_i16_e32 vcc, s4, v11
	s_mov_b64 s[4:5], 0
                                        ; implicit-def: $sgpr10
	s_and_saveexec_b64 s[6:7], vcc
	s_xor_b64 s[6:7], exec, s[6:7]
	s_cbranch_execnz .LBB32_2645
; %bb.597:
	s_or_saveexec_b64 s[6:7], s[6:7]
	v_mov_b32_e32 v14, s10
	s_xor_b64 exec, exec, s[6:7]
	s_cbranch_execnz .LBB32_2648
.LBB32_598:
	s_or_b64 exec, exec, s[6:7]
	s_and_saveexec_b64 s[6:7], s[4:5]
	s_cbranch_execz .LBB32_600
.LBB32_599:
	v_bfe_u32 v11, v12, 16, 3
	v_ffbh_u32_e32 v20, v11
	v_min_u32_e32 v20, 32, v20
	v_lshrrev_b32_e32 v14, 19, v12
	v_subrev_u32_e32 v21, 28, v20
	v_and_b32_e32 v14, 15, v14
	v_lshlrev_b32_sdwa v21, v21, v12 dst_sel:DWORD dst_unused:UNUSED_PAD src0_sel:DWORD src1_sel:WORD_1
	v_bfe_u32 v15, v12, 19, 4
	v_sub_u32_e32 v20, 29, v20
	v_and_b32_e32 v21, 7, v21
	v_cmp_eq_u16_e32 vcc, 0, v14
	v_cndmask_b32_e32 v11, v11, v21, vcc
	v_cndmask_b32_e32 v14, v15, v20, vcc
	v_lshlrev_b32_e32 v15, 8, v12
	v_mov_b32_e32 v20, 0x3b800000
	v_lshlrev_b32_e32 v11, 20, v11
	v_and_b32_e32 v15, 0x80000000, v15
	v_lshl_add_u32 v14, v14, 23, v20
	v_or3_b32 v14, v15, v14, v11
.LBB32_600:
	s_or_b64 exec, exec, s[6:7]
	s_nop 0
	v_mfma_f32_16x16x4f32 a[0:3], v10, v14, a[0:3]
	s_movk_i32 s4, 0x7f
	v_cmp_gt_i16_sdwa s[6:7], v16, s4 src0_sel:BYTE_3 src1_sel:DWORD
	s_mov_b64 s[4:5], 0
                                        ; implicit-def: $sgpr10
	s_and_saveexec_b64 s[8:9], s[6:7]
	s_xor_b64 s[6:7], exec, s[8:9]
	s_cbranch_execnz .LBB32_2649
; %bb.601:
	s_or_saveexec_b64 s[6:7], s[6:7]
	v_mov_b32_e32 v10, s10
	s_xor_b64 exec, exec, s[6:7]
	s_cbranch_execnz .LBB32_2652
.LBB32_602:
	s_or_b64 exec, exec, s[6:7]
	s_and_saveexec_b64 s[6:7], s[4:5]
	s_cbranch_execz .LBB32_604
.LBB32_603:
	v_bfe_u32 v10, v16, 24, 3
	v_ffbh_u32_e32 v20, v10
	v_min_u32_e32 v20, 32, v20
	v_lshrrev_b32_e32 v14, 27, v16
	v_subrev_u32_e32 v21, 28, v20
	v_and_b32_e32 v11, 0x80000000, v16
	v_and_b32_e32 v14, 15, v14
	v_bfe_u32 v15, v16, 27, 4
	v_lshlrev_b32_sdwa v16, v21, v16 dst_sel:DWORD dst_unused:UNUSED_PAD src0_sel:DWORD src1_sel:BYTE_3
	v_sub_u32_e32 v20, 29, v20
	v_and_b32_e32 v16, 7, v16
	v_cmp_eq_u16_e32 vcc, 0, v14
	v_cndmask_b32_e32 v10, v10, v16, vcc
	v_cndmask_b32_e32 v14, v15, v20, vcc
	v_mov_b32_e32 v15, 0x3b800000
	v_lshlrev_b32_e32 v10, 20, v10
	v_lshl_add_u32 v14, v14, 23, v15
	v_or3_b32 v10, v11, v14, v10
.LBB32_604:
	s_or_b64 exec, exec, s[6:7]
	s_movk_i32 s4, 0x7f
	v_cmp_gt_i16_sdwa s[6:7], v12, s4 src0_sel:BYTE_3 src1_sel:DWORD
	s_mov_b64 s[4:5], 0
                                        ; implicit-def: $sgpr10
	s_and_saveexec_b64 s[8:9], s[6:7]
	s_xor_b64 s[6:7], exec, s[8:9]
	s_cbranch_execnz .LBB32_2653
; %bb.605:
	s_or_saveexec_b64 s[6:7], s[6:7]
	v_mov_b32_e32 v11, s10
	s_xor_b64 exec, exec, s[6:7]
	s_cbranch_execnz .LBB32_2656
.LBB32_606:
	s_or_b64 exec, exec, s[6:7]
	s_and_saveexec_b64 s[6:7], s[4:5]
	s_cbranch_execz .LBB32_608
.LBB32_607:
	v_bfe_u32 v11, v12, 24, 3
	v_ffbh_u32_e32 v20, v11
	v_min_u32_e32 v20, 32, v20
	v_lshrrev_b32_e32 v15, 27, v12
	v_subrev_u32_e32 v21, 28, v20
	v_and_b32_e32 v14, 0x80000000, v12
	v_and_b32_e32 v15, 15, v15
	v_bfe_u32 v16, v12, 27, 4
	v_lshlrev_b32_sdwa v12, v21, v12 dst_sel:DWORD dst_unused:UNUSED_PAD src0_sel:DWORD src1_sel:BYTE_3
	v_sub_u32_e32 v20, 29, v20
	v_and_b32_e32 v12, 7, v12
	v_cmp_eq_u16_e32 vcc, 0, v15
	v_cndmask_b32_e32 v11, v11, v12, vcc
	v_cndmask_b32_e32 v12, v16, v20, vcc
	v_mov_b32_e32 v15, 0x3b800000
	v_lshlrev_b32_e32 v11, 20, v11
	v_lshl_add_u32 v12, v12, 23, v15
	v_or3_b32 v11, v14, v12, v11
.LBB32_608:
	s_or_b64 exec, exec, s[6:7]
	s_nop 0
	v_mfma_f32_16x16x4f32 a[0:3], v10, v11, a[0:3]
	s_movk_i32 s4, 0x7f
	v_cmp_gt_i16_sdwa s[6:7], v17, s4 src0_sel:BYTE_0 src1_sel:DWORD
	s_mov_b64 s[4:5], 0
                                        ; implicit-def: $sgpr10
	s_and_saveexec_b64 s[8:9], s[6:7]
	s_xor_b64 s[6:7], exec, s[8:9]
	s_cbranch_execnz .LBB32_2657
; %bb.609:
	s_or_saveexec_b64 s[6:7], s[6:7]
	v_mov_b32_e32 v10, s10
	s_xor_b64 exec, exec, s[6:7]
	s_cbranch_execnz .LBB32_2660
.LBB32_610:
	s_or_b64 exec, exec, s[6:7]
	s_and_saveexec_b64 s[6:7], s[4:5]
	s_cbranch_execz .LBB32_612
.LBB32_611:
	v_and_b32_e32 v10, 7, v17
	v_ffbh_u32_e32 v12, v10
	v_min_u32_e32 v12, 32, v12
	v_lshrrev_b16_e32 v11, 3, v17
	v_subrev_u32_e32 v14, 28, v12
	v_and_b32_e32 v11, 15, v11
	v_lshlrev_b32_e32 v14, v14, v17
	v_sub_u32_e32 v12, 29, v12
	v_and_b32_e32 v14, 7, v14
	v_cmp_eq_u16_e32 vcc, 0, v11
	v_cndmask_b32_e32 v10, v10, v14, vcc
	v_cndmask_b32_e32 v11, v11, v12, vcc
	v_lshlrev_b32_e32 v12, 24, v17
	v_mov_b32_e32 v14, 0x3b800000
	v_lshlrev_b32_e32 v10, 20, v10
	v_and_b32_e32 v12, 0x80000000, v12
	v_lshl_add_u32 v11, v11, 23, v14
	v_or3_b32 v10, v12, v11, v10
.LBB32_612:
	s_or_b64 exec, exec, s[6:7]
	s_movk_i32 s4, 0x7f
	v_cmp_gt_i16_sdwa s[6:7], v13, s4 src0_sel:BYTE_0 src1_sel:DWORD
	s_mov_b64 s[4:5], 0
                                        ; implicit-def: $sgpr10
	s_and_saveexec_b64 s[8:9], s[6:7]
	s_xor_b64 s[6:7], exec, s[8:9]
	s_cbranch_execnz .LBB32_2661
; %bb.613:
	s_or_saveexec_b64 s[6:7], s[6:7]
	v_mov_b32_e32 v11, s10
	s_xor_b64 exec, exec, s[6:7]
	s_cbranch_execnz .LBB32_2664
.LBB32_614:
	s_or_b64 exec, exec, s[6:7]
	s_and_saveexec_b64 s[6:7], s[4:5]
	s_cbranch_execz .LBB32_616
.LBB32_615:
	v_and_b32_e32 v11, 7, v13
	v_ffbh_u32_e32 v14, v11
	v_min_u32_e32 v14, 32, v14
	v_lshrrev_b16_e32 v12, 3, v13
	v_subrev_u32_e32 v15, 28, v14
	v_and_b32_e32 v12, 15, v12
	v_lshlrev_b32_e32 v15, v15, v13
	v_sub_u32_e32 v14, 29, v14
	v_and_b32_e32 v15, 7, v15
	v_cmp_eq_u16_e32 vcc, 0, v12
	v_cndmask_b32_e32 v11, v11, v15, vcc
	v_cndmask_b32_e32 v12, v12, v14, vcc
	v_lshlrev_b32_e32 v14, 24, v13
	v_mov_b32_e32 v15, 0x3b800000
	v_lshlrev_b32_e32 v11, 20, v11
	v_and_b32_e32 v14, 0x80000000, v14
	v_lshl_add_u32 v12, v12, 23, v15
	v_or3_b32 v11, v14, v12, v11
.LBB32_616:
	s_or_b64 exec, exec, s[6:7]
	s_nop 0
	v_mfma_f32_16x16x4f32 a[0:3], v10, v11, a[0:3]
	v_lshrrev_b32_e32 v11, 8, v17
	s_movk_i32 s4, 0x7f
	v_cmp_gt_i16_sdwa s[6:7], v11, s4 src0_sel:BYTE_0 src1_sel:DWORD
	s_mov_b64 s[4:5], 0
                                        ; implicit-def: $sgpr10
	s_and_saveexec_b64 s[8:9], s[6:7]
	s_xor_b64 s[6:7], exec, s[8:9]
	s_cbranch_execnz .LBB32_2665
; %bb.617:
	s_or_saveexec_b64 s[6:7], s[6:7]
	v_mov_b32_e32 v10, s10
	s_xor_b64 exec, exec, s[6:7]
	s_cbranch_execnz .LBB32_2668
.LBB32_618:
	s_or_b64 exec, exec, s[6:7]
	s_and_saveexec_b64 s[6:7], s[4:5]
	s_cbranch_execz .LBB32_620
.LBB32_619:
	v_bfe_u32 v10, v17, 8, 3
	v_ffbh_u32_e32 v14, v10
	v_min_u32_e32 v14, 32, v14
	v_lshrrev_b16_e32 v12, 3, v11
	v_subrev_u32_e32 v15, 28, v14
	v_and_b32_e32 v12, 15, v12
	v_lshlrev_b32_e32 v11, v15, v11
	v_sub_u32_e32 v14, 29, v14
	v_and_b32_e32 v11, 7, v11
	v_cmp_eq_u16_e32 vcc, 0, v12
	v_cndmask_b32_e32 v10, v10, v11, vcc
	v_cndmask_b32_e32 v11, v12, v14, vcc
	v_lshlrev_b32_e32 v12, 16, v17
	v_mov_b32_e32 v14, 0x3b800000
	v_lshlrev_b32_e32 v10, 20, v10
	v_and_b32_e32 v12, 0x80000000, v12
	v_lshl_add_u32 v11, v11, 23, v14
	v_or3_b32 v10, v12, v11, v10
.LBB32_620:
	s_or_b64 exec, exec, s[6:7]
	v_lshrrev_b32_e32 v11, 8, v13
	s_movk_i32 s4, 0x7f
	v_cmp_gt_i16_sdwa s[6:7], v11, s4 src0_sel:BYTE_0 src1_sel:DWORD
	s_mov_b64 s[4:5], 0
                                        ; implicit-def: $sgpr10
	s_and_saveexec_b64 s[8:9], s[6:7]
	s_xor_b64 s[6:7], exec, s[8:9]
	s_cbranch_execnz .LBB32_2669
; %bb.621:
	s_or_saveexec_b64 s[6:7], s[6:7]
	v_mov_b32_e32 v12, s10
	s_xor_b64 exec, exec, s[6:7]
	s_cbranch_execnz .LBB32_2672
.LBB32_622:
	s_or_b64 exec, exec, s[6:7]
	s_and_saveexec_b64 s[6:7], s[4:5]
	s_cbranch_execz .LBB32_624
.LBB32_623:
	v_bfe_u32 v12, v13, 8, 3
	v_ffbh_u32_e32 v15, v12
	v_min_u32_e32 v15, 32, v15
	v_lshrrev_b16_e32 v14, 3, v11
	v_subrev_u32_e32 v16, 28, v15
	v_and_b32_e32 v14, 15, v14
	v_lshlrev_b32_e32 v11, v16, v11
	v_sub_u32_e32 v15, 29, v15
	v_and_b32_e32 v11, 7, v11
	v_cmp_eq_u16_e32 vcc, 0, v14
	v_cndmask_b32_e32 v11, v12, v11, vcc
	v_cndmask_b32_e32 v12, v14, v15, vcc
	v_lshlrev_b32_e32 v14, 16, v13
	v_mov_b32_e32 v15, 0x3b800000
	v_lshlrev_b32_e32 v11, 20, v11
	v_and_b32_e32 v14, 0x80000000, v14
	v_lshl_add_u32 v12, v12, 23, v15
	v_or3_b32 v12, v14, v12, v11
.LBB32_624:
	s_or_b64 exec, exec, s[6:7]
	s_nop 0
	v_mfma_f32_16x16x4f32 a[0:3], v10, v12, a[0:3]
	s_movk_i32 s4, 0xff
	v_and_b32_sdwa v11, v17, s4 dst_sel:DWORD dst_unused:UNUSED_PAD src0_sel:WORD_1 src1_sel:DWORD
	s_movk_i32 s4, 0x7f
	v_cmp_lt_i16_e32 vcc, s4, v11
	s_mov_b64 s[4:5], 0
                                        ; implicit-def: $sgpr10
	s_and_saveexec_b64 s[6:7], vcc
	s_xor_b64 s[6:7], exec, s[6:7]
	s_cbranch_execnz .LBB32_2673
; %bb.625:
	s_or_saveexec_b64 s[6:7], s[6:7]
	v_mov_b32_e32 v10, s10
	s_xor_b64 exec, exec, s[6:7]
	s_cbranch_execnz .LBB32_2676
.LBB32_626:
	s_or_b64 exec, exec, s[6:7]
	s_and_saveexec_b64 s[6:7], s[4:5]
	s_cbranch_execz .LBB32_628
.LBB32_627:
	v_bfe_u32 v10, v17, 16, 3
	v_ffbh_u32_e32 v14, v10
	v_min_u32_e32 v14, 32, v14
	v_lshrrev_b32_e32 v11, 19, v17
	v_subrev_u32_e32 v15, 28, v14
	v_and_b32_e32 v11, 15, v11
	v_lshlrev_b32_sdwa v15, v15, v17 dst_sel:DWORD dst_unused:UNUSED_PAD src0_sel:DWORD src1_sel:WORD_1
	v_bfe_u32 v12, v17, 19, 4
	v_sub_u32_e32 v14, 29, v14
	v_and_b32_e32 v15, 7, v15
	v_cmp_eq_u16_e32 vcc, 0, v11
	v_cndmask_b32_e32 v10, v10, v15, vcc
	v_cndmask_b32_e32 v11, v12, v14, vcc
	v_lshlrev_b32_e32 v12, 8, v17
	v_mov_b32_e32 v14, 0x3b800000
	v_lshlrev_b32_e32 v10, 20, v10
	v_and_b32_e32 v12, 0x80000000, v12
	v_lshl_add_u32 v11, v11, 23, v14
	v_or3_b32 v10, v12, v11, v10
.LBB32_628:
	s_or_b64 exec, exec, s[6:7]
	s_movk_i32 s4, 0xff
	v_and_b32_sdwa v11, v13, s4 dst_sel:DWORD dst_unused:UNUSED_PAD src0_sel:WORD_1 src1_sel:DWORD
	s_movk_i32 s4, 0x7f
	v_cmp_lt_i16_e32 vcc, s4, v11
	s_mov_b64 s[4:5], 0
                                        ; implicit-def: $sgpr10
	s_and_saveexec_b64 s[6:7], vcc
	s_xor_b64 s[6:7], exec, s[6:7]
	s_cbranch_execnz .LBB32_2677
; %bb.629:
	s_or_saveexec_b64 s[6:7], s[6:7]
	v_mov_b32_e32 v12, s10
	s_xor_b64 exec, exec, s[6:7]
	s_cbranch_execnz .LBB32_2680
.LBB32_630:
	s_or_b64 exec, exec, s[6:7]
	s_and_saveexec_b64 s[6:7], s[4:5]
	s_cbranch_execz .LBB32_632
.LBB32_631:
	v_bfe_u32 v11, v13, 16, 3
	v_ffbh_u32_e32 v15, v11
	v_min_u32_e32 v15, 32, v15
	v_lshrrev_b32_e32 v12, 19, v13
	v_subrev_u32_e32 v16, 28, v15
	v_and_b32_e32 v12, 15, v12
	v_lshlrev_b32_sdwa v16, v16, v13 dst_sel:DWORD dst_unused:UNUSED_PAD src0_sel:DWORD src1_sel:WORD_1
	v_bfe_u32 v14, v13, 19, 4
	v_sub_u32_e32 v15, 29, v15
	v_and_b32_e32 v16, 7, v16
	v_cmp_eq_u16_e32 vcc, 0, v12
	v_cndmask_b32_e32 v11, v11, v16, vcc
	v_cndmask_b32_e32 v12, v14, v15, vcc
	v_lshlrev_b32_e32 v14, 8, v13
	v_mov_b32_e32 v15, 0x3b800000
	v_lshlrev_b32_e32 v11, 20, v11
	v_and_b32_e32 v14, 0x80000000, v14
	v_lshl_add_u32 v12, v12, 23, v15
	v_or3_b32 v12, v14, v12, v11
.LBB32_632:
	s_or_b64 exec, exec, s[6:7]
	s_nop 0
	v_mfma_f32_16x16x4f32 a[0:3], v10, v12, a[0:3]
	s_movk_i32 s4, 0x7f
	v_cmp_gt_i16_sdwa s[6:7], v17, s4 src0_sel:BYTE_3 src1_sel:DWORD
	s_mov_b64 s[4:5], 0
                                        ; implicit-def: $sgpr10
	s_and_saveexec_b64 s[8:9], s[6:7]
	s_xor_b64 s[6:7], exec, s[8:9]
	s_cbranch_execnz .LBB32_2681
; %bb.633:
	s_or_saveexec_b64 s[6:7], s[6:7]
	v_mov_b32_e32 v10, s10
	s_xor_b64 exec, exec, s[6:7]
	s_cbranch_execnz .LBB32_2684
.LBB32_634:
	s_or_b64 exec, exec, s[6:7]
	s_and_saveexec_b64 s[6:7], s[4:5]
	s_cbranch_execz .LBB32_636
.LBB32_635:
	v_bfe_u32 v10, v17, 24, 3
	v_ffbh_u32_e32 v15, v10
	v_min_u32_e32 v15, 32, v15
	v_lshrrev_b32_e32 v12, 27, v17
	v_subrev_u32_e32 v16, 28, v15
	v_and_b32_e32 v12, 15, v12
	v_lshlrev_b32_sdwa v16, v16, v17 dst_sel:DWORD dst_unused:UNUSED_PAD src0_sel:DWORD src1_sel:BYTE_3
	v_bfe_u32 v14, v17, 27, 4
	v_sub_u32_e32 v15, 29, v15
	v_and_b32_e32 v16, 7, v16
	v_cmp_eq_u16_e32 vcc, 0, v12
	v_cndmask_b32_e32 v10, v10, v16, vcc
	v_cndmask_b32_e32 v12, v14, v15, vcc
	v_mov_b32_e32 v14, 0x3b800000
	v_and_b32_e32 v11, 0x80000000, v17
	v_lshlrev_b32_e32 v10, 20, v10
	v_lshl_add_u32 v12, v12, 23, v14
	v_or3_b32 v10, v11, v12, v10
.LBB32_636:
	s_or_b64 exec, exec, s[6:7]
	s_movk_i32 s4, 0x7f
	v_cmp_gt_i16_sdwa s[6:7], v13, s4 src0_sel:BYTE_3 src1_sel:DWORD
	s_mov_b64 s[4:5], 0
                                        ; implicit-def: $sgpr10
	s_and_saveexec_b64 s[8:9], s[6:7]
	s_xor_b64 s[6:7], exec, s[8:9]
	s_cbranch_execnz .LBB32_2685
; %bb.637:
	s_or_saveexec_b64 s[6:7], s[6:7]
	v_mov_b32_e32 v11, s10
	s_xor_b64 exec, exec, s[6:7]
	s_cbranch_execnz .LBB32_2688
.LBB32_638:
	s_or_b64 exec, exec, s[6:7]
	s_and_saveexec_b64 s[6:7], s[4:5]
	s_cbranch_execz .LBB32_640
.LBB32_639:
	v_bfe_u32 v11, v13, 24, 3
	v_ffbh_u32_e32 v16, v11
	v_min_u32_e32 v16, 32, v16
	v_lshrrev_b32_e32 v14, 27, v13
	v_subrev_u32_e32 v17, 28, v16
	v_and_b32_e32 v12, 0x80000000, v13
	v_and_b32_e32 v14, 15, v14
	v_bfe_u32 v15, v13, 27, 4
	v_lshlrev_b32_sdwa v13, v17, v13 dst_sel:DWORD dst_unused:UNUSED_PAD src0_sel:DWORD src1_sel:BYTE_3
	v_sub_u32_e32 v16, 29, v16
	v_and_b32_e32 v13, 7, v13
	v_cmp_eq_u16_e32 vcc, 0, v14
	v_cndmask_b32_e32 v11, v11, v13, vcc
	v_cndmask_b32_e32 v13, v15, v16, vcc
	v_mov_b32_e32 v14, 0x3b800000
	v_lshlrev_b32_e32 v11, 20, v11
	v_lshl_add_u32 v13, v13, 23, v14
	v_or3_b32 v11, v12, v13, v11
.LBB32_640:
	s_or_b64 exec, exec, s[6:7]
	s_nop 0
	v_mfma_f32_16x16x4f32 a[0:3], v10, v11, a[0:3]
	s_movk_i32 s4, 0x7f
	v_cmp_gt_i16_sdwa s[6:7], v6, s4 src0_sel:BYTE_0 src1_sel:DWORD
	s_mov_b64 s[4:5], 0
                                        ; implicit-def: $sgpr10
	s_and_saveexec_b64 s[8:9], s[6:7]
	s_xor_b64 s[6:7], exec, s[8:9]
	s_cbranch_execnz .LBB32_2689
; %bb.641:
	s_or_saveexec_b64 s[6:7], s[6:7]
	v_mov_b32_e32 v10, s10
	s_xor_b64 exec, exec, s[6:7]
	s_cbranch_execnz .LBB32_2692
.LBB32_642:
	s_or_b64 exec, exec, s[6:7]
	s_and_saveexec_b64 s[6:7], s[4:5]
	s_cbranch_execz .LBB32_644
.LBB32_643:
	v_and_b32_e32 v10, 7, v6
	v_ffbh_u32_e32 v12, v10
	v_min_u32_e32 v12, 32, v12
	v_lshrrev_b16_e32 v11, 3, v6
	v_subrev_u32_e32 v13, 28, v12
	v_and_b32_e32 v11, 15, v11
	v_lshlrev_b32_e32 v13, v13, v6
	v_sub_u32_e32 v12, 29, v12
	v_and_b32_e32 v13, 7, v13
	v_cmp_eq_u16_e32 vcc, 0, v11
	v_cndmask_b32_e32 v10, v10, v13, vcc
	v_cndmask_b32_e32 v11, v11, v12, vcc
	v_lshlrev_b32_e32 v12, 24, v6
	v_mov_b32_e32 v13, 0x3b800000
	v_lshlrev_b32_e32 v10, 20, v10
	v_and_b32_e32 v12, 0x80000000, v12
	v_lshl_add_u32 v11, v11, 23, v13
	v_or3_b32 v10, v12, v11, v10
.LBB32_644:
	s_or_b64 exec, exec, s[6:7]
	s_movk_i32 s4, 0x7f
	v_cmp_gt_i16_sdwa s[6:7], v2, s4 src0_sel:BYTE_0 src1_sel:DWORD
	s_mov_b64 s[4:5], 0
                                        ; implicit-def: $sgpr10
	s_and_saveexec_b64 s[8:9], s[6:7]
	s_xor_b64 s[6:7], exec, s[8:9]
	s_cbranch_execnz .LBB32_2693
; %bb.645:
	s_or_saveexec_b64 s[6:7], s[6:7]
	v_mov_b32_e32 v11, s10
	s_xor_b64 exec, exec, s[6:7]
	s_cbranch_execnz .LBB32_2696
.LBB32_646:
	s_or_b64 exec, exec, s[6:7]
	s_and_saveexec_b64 s[6:7], s[4:5]
	s_cbranch_execz .LBB32_648
.LBB32_647:
	v_and_b32_e32 v11, 7, v2
	v_ffbh_u32_e32 v13, v11
	v_min_u32_e32 v13, 32, v13
	v_lshrrev_b16_e32 v12, 3, v2
	v_subrev_u32_e32 v14, 28, v13
	v_and_b32_e32 v12, 15, v12
	v_lshlrev_b32_e32 v14, v14, v2
	v_sub_u32_e32 v13, 29, v13
	v_and_b32_e32 v14, 7, v14
	v_cmp_eq_u16_e32 vcc, 0, v12
	v_cndmask_b32_e32 v11, v11, v14, vcc
	v_cndmask_b32_e32 v12, v12, v13, vcc
	v_lshlrev_b32_e32 v13, 24, v2
	v_mov_b32_e32 v14, 0x3b800000
	v_lshlrev_b32_e32 v11, 20, v11
	v_and_b32_e32 v13, 0x80000000, v13
	v_lshl_add_u32 v12, v12, 23, v14
	v_or3_b32 v11, v13, v12, v11
.LBB32_648:
	s_or_b64 exec, exec, s[6:7]
	s_nop 0
	v_mfma_f32_16x16x4f32 a[0:3], v10, v11, a[0:3]
	v_lshrrev_b32_e32 v11, 8, v6
	s_movk_i32 s4, 0x7f
	v_cmp_gt_i16_sdwa s[6:7], v11, s4 src0_sel:BYTE_0 src1_sel:DWORD
	s_mov_b64 s[4:5], 0
                                        ; implicit-def: $sgpr10
	s_and_saveexec_b64 s[8:9], s[6:7]
	s_xor_b64 s[6:7], exec, s[8:9]
	s_cbranch_execnz .LBB32_2697
; %bb.649:
	s_or_saveexec_b64 s[6:7], s[6:7]
	v_mov_b32_e32 v10, s10
	s_xor_b64 exec, exec, s[6:7]
	s_cbranch_execnz .LBB32_2700
.LBB32_650:
	s_or_b64 exec, exec, s[6:7]
	s_and_saveexec_b64 s[6:7], s[4:5]
	s_cbranch_execz .LBB32_652
.LBB32_651:
	v_bfe_u32 v10, v6, 8, 3
	v_ffbh_u32_e32 v13, v10
	v_min_u32_e32 v13, 32, v13
	v_lshrrev_b16_e32 v12, 3, v11
	v_subrev_u32_e32 v14, 28, v13
	v_and_b32_e32 v12, 15, v12
	v_lshlrev_b32_e32 v11, v14, v11
	v_sub_u32_e32 v13, 29, v13
	v_and_b32_e32 v11, 7, v11
	v_cmp_eq_u16_e32 vcc, 0, v12
	v_cndmask_b32_e32 v10, v10, v11, vcc
	v_cndmask_b32_e32 v11, v12, v13, vcc
	v_lshlrev_b32_e32 v12, 16, v6
	v_mov_b32_e32 v13, 0x3b800000
	v_lshlrev_b32_e32 v10, 20, v10
	v_and_b32_e32 v12, 0x80000000, v12
	v_lshl_add_u32 v11, v11, 23, v13
	v_or3_b32 v10, v12, v11, v10
.LBB32_652:
	s_or_b64 exec, exec, s[6:7]
	v_lshrrev_b32_e32 v11, 8, v2
	s_movk_i32 s4, 0x7f
	v_cmp_gt_i16_sdwa s[6:7], v11, s4 src0_sel:BYTE_0 src1_sel:DWORD
	s_mov_b64 s[4:5], 0
                                        ; implicit-def: $sgpr10
	s_and_saveexec_b64 s[8:9], s[6:7]
	s_xor_b64 s[6:7], exec, s[8:9]
	s_cbranch_execnz .LBB32_2701
; %bb.653:
	s_or_saveexec_b64 s[6:7], s[6:7]
	v_mov_b32_e32 v12, s10
	s_xor_b64 exec, exec, s[6:7]
	s_cbranch_execnz .LBB32_2704
.LBB32_654:
	s_or_b64 exec, exec, s[6:7]
	s_and_saveexec_b64 s[6:7], s[4:5]
	s_cbranch_execz .LBB32_656
.LBB32_655:
	v_bfe_u32 v12, v2, 8, 3
	v_ffbh_u32_e32 v14, v12
	v_min_u32_e32 v14, 32, v14
	v_lshrrev_b16_e32 v13, 3, v11
	v_subrev_u32_e32 v15, 28, v14
	v_and_b32_e32 v13, 15, v13
	v_lshlrev_b32_e32 v11, v15, v11
	v_sub_u32_e32 v14, 29, v14
	v_and_b32_e32 v11, 7, v11
	v_cmp_eq_u16_e32 vcc, 0, v13
	v_cndmask_b32_e32 v11, v12, v11, vcc
	v_cndmask_b32_e32 v12, v13, v14, vcc
	v_lshlrev_b32_e32 v13, 16, v2
	v_mov_b32_e32 v14, 0x3b800000
	v_lshlrev_b32_e32 v11, 20, v11
	v_and_b32_e32 v13, 0x80000000, v13
	v_lshl_add_u32 v12, v12, 23, v14
	v_or3_b32 v12, v13, v12, v11
.LBB32_656:
	s_or_b64 exec, exec, s[6:7]
	s_nop 0
	v_mfma_f32_16x16x4f32 a[0:3], v10, v12, a[0:3]
	s_movk_i32 s4, 0xff
	v_and_b32_sdwa v11, v6, s4 dst_sel:DWORD dst_unused:UNUSED_PAD src0_sel:WORD_1 src1_sel:DWORD
	s_movk_i32 s4, 0x7f
	v_cmp_lt_i16_e32 vcc, s4, v11
	s_mov_b64 s[4:5], 0
                                        ; implicit-def: $sgpr10
	s_and_saveexec_b64 s[6:7], vcc
	s_xor_b64 s[6:7], exec, s[6:7]
	s_cbranch_execnz .LBB32_2705
; %bb.657:
	s_or_saveexec_b64 s[6:7], s[6:7]
	v_mov_b32_e32 v10, s10
	s_xor_b64 exec, exec, s[6:7]
	s_cbranch_execnz .LBB32_2708
.LBB32_658:
	s_or_b64 exec, exec, s[6:7]
	s_and_saveexec_b64 s[6:7], s[4:5]
	s_cbranch_execz .LBB32_660
.LBB32_659:
	v_bfe_u32 v10, v6, 16, 3
	v_ffbh_u32_e32 v13, v10
	v_min_u32_e32 v13, 32, v13
	v_lshrrev_b32_e32 v11, 19, v6
	v_subrev_u32_e32 v14, 28, v13
	v_and_b32_e32 v11, 15, v11
	v_lshlrev_b32_sdwa v14, v14, v6 dst_sel:DWORD dst_unused:UNUSED_PAD src0_sel:DWORD src1_sel:WORD_1
	v_bfe_u32 v12, v6, 19, 4
	v_sub_u32_e32 v13, 29, v13
	v_and_b32_e32 v14, 7, v14
	v_cmp_eq_u16_e32 vcc, 0, v11
	v_cndmask_b32_e32 v10, v10, v14, vcc
	v_cndmask_b32_e32 v11, v12, v13, vcc
	v_lshlrev_b32_e32 v12, 8, v6
	v_mov_b32_e32 v13, 0x3b800000
	v_lshlrev_b32_e32 v10, 20, v10
	v_and_b32_e32 v12, 0x80000000, v12
	v_lshl_add_u32 v11, v11, 23, v13
	v_or3_b32 v10, v12, v11, v10
.LBB32_660:
	s_or_b64 exec, exec, s[6:7]
	s_movk_i32 s4, 0xff
	v_and_b32_sdwa v11, v2, s4 dst_sel:DWORD dst_unused:UNUSED_PAD src0_sel:WORD_1 src1_sel:DWORD
	s_movk_i32 s4, 0x7f
	v_cmp_lt_i16_e32 vcc, s4, v11
	s_mov_b64 s[4:5], 0
                                        ; implicit-def: $sgpr10
	s_and_saveexec_b64 s[6:7], vcc
	s_xor_b64 s[6:7], exec, s[6:7]
	s_cbranch_execnz .LBB32_2709
; %bb.661:
	s_or_saveexec_b64 s[6:7], s[6:7]
	v_mov_b32_e32 v12, s10
	s_xor_b64 exec, exec, s[6:7]
	s_cbranch_execnz .LBB32_2712
.LBB32_662:
	s_or_b64 exec, exec, s[6:7]
	s_and_saveexec_b64 s[6:7], s[4:5]
	s_cbranch_execz .LBB32_664
.LBB32_663:
	v_bfe_u32 v11, v2, 16, 3
	v_ffbh_u32_e32 v14, v11
	v_min_u32_e32 v14, 32, v14
	v_lshrrev_b32_e32 v12, 19, v2
	v_subrev_u32_e32 v15, 28, v14
	v_and_b32_e32 v12, 15, v12
	v_lshlrev_b32_sdwa v15, v15, v2 dst_sel:DWORD dst_unused:UNUSED_PAD src0_sel:DWORD src1_sel:WORD_1
	v_bfe_u32 v13, v2, 19, 4
	v_sub_u32_e32 v14, 29, v14
	v_and_b32_e32 v15, 7, v15
	v_cmp_eq_u16_e32 vcc, 0, v12
	v_cndmask_b32_e32 v11, v11, v15, vcc
	v_cndmask_b32_e32 v12, v13, v14, vcc
	v_lshlrev_b32_e32 v13, 8, v2
	v_mov_b32_e32 v14, 0x3b800000
	v_lshlrev_b32_e32 v11, 20, v11
	v_and_b32_e32 v13, 0x80000000, v13
	v_lshl_add_u32 v12, v12, 23, v14
	v_or3_b32 v12, v13, v12, v11
.LBB32_664:
	s_or_b64 exec, exec, s[6:7]
	s_nop 0
	v_mfma_f32_16x16x4f32 a[0:3], v10, v12, a[0:3]
	s_movk_i32 s4, 0x7f
	v_cmp_gt_i16_sdwa s[6:7], v6, s4 src0_sel:BYTE_3 src1_sel:DWORD
	s_mov_b64 s[4:5], 0
                                        ; implicit-def: $sgpr10
	s_and_saveexec_b64 s[8:9], s[6:7]
	s_xor_b64 s[6:7], exec, s[8:9]
	s_cbranch_execnz .LBB32_2713
; %bb.665:
	s_or_saveexec_b64 s[6:7], s[6:7]
	v_mov_b32_e32 v10, s10
	s_xor_b64 exec, exec, s[6:7]
	s_cbranch_execnz .LBB32_2716
.LBB32_666:
	s_or_b64 exec, exec, s[6:7]
	s_and_saveexec_b64 s[6:7], s[4:5]
	s_cbranch_execz .LBB32_668
.LBB32_667:
	v_bfe_u32 v10, v6, 24, 3
	v_ffbh_u32_e32 v14, v10
	v_min_u32_e32 v14, 32, v14
	v_lshrrev_b32_e32 v12, 27, v6
	v_subrev_u32_e32 v15, 28, v14
	v_and_b32_e32 v11, 0x80000000, v6
	v_and_b32_e32 v12, 15, v12
	v_bfe_u32 v13, v6, 27, 4
	v_lshlrev_b32_sdwa v6, v15, v6 dst_sel:DWORD dst_unused:UNUSED_PAD src0_sel:DWORD src1_sel:BYTE_3
	v_sub_u32_e32 v14, 29, v14
	v_and_b32_e32 v6, 7, v6
	v_cmp_eq_u16_e32 vcc, 0, v12
	v_cndmask_b32_e32 v6, v10, v6, vcc
	v_cndmask_b32_e32 v10, v13, v14, vcc
	v_mov_b32_e32 v12, 0x3b800000
	v_lshlrev_b32_e32 v6, 20, v6
	v_lshl_add_u32 v10, v10, 23, v12
	v_or3_b32 v10, v11, v10, v6
.LBB32_668:
	s_or_b64 exec, exec, s[6:7]
	s_movk_i32 s4, 0x7f
	v_cmp_gt_i16_sdwa s[6:7], v2, s4 src0_sel:BYTE_3 src1_sel:DWORD
	s_mov_b64 s[4:5], 0
                                        ; implicit-def: $sgpr10
	s_and_saveexec_b64 s[8:9], s[6:7]
	s_xor_b64 s[6:7], exec, s[8:9]
	s_cbranch_execnz .LBB32_2717
; %bb.669:
	s_or_saveexec_b64 s[6:7], s[6:7]
	v_mov_b32_e32 v6, s10
	s_xor_b64 exec, exec, s[6:7]
	s_cbranch_execnz .LBB32_2720
.LBB32_670:
	s_or_b64 exec, exec, s[6:7]
	s_and_saveexec_b64 s[6:7], s[4:5]
	s_cbranch_execz .LBB32_672
.LBB32_671:
	v_bfe_u32 v6, v2, 24, 3
	v_ffbh_u32_e32 v14, v6
	v_min_u32_e32 v14, 32, v14
	v_lshrrev_b32_e32 v12, 27, v2
	v_subrev_u32_e32 v15, 28, v14
	v_and_b32_e32 v11, 0x80000000, v2
	v_and_b32_e32 v12, 15, v12
	v_bfe_u32 v13, v2, 27, 4
	v_lshlrev_b32_sdwa v2, v15, v2 dst_sel:DWORD dst_unused:UNUSED_PAD src0_sel:DWORD src1_sel:BYTE_3
	v_sub_u32_e32 v14, 29, v14
	v_and_b32_e32 v2, 7, v2
	v_cmp_eq_u16_e32 vcc, 0, v12
	v_cndmask_b32_e32 v2, v6, v2, vcc
	v_cndmask_b32_e32 v6, v13, v14, vcc
	v_mov_b32_e32 v12, 0x3b800000
	v_lshlrev_b32_e32 v2, 20, v2
	v_lshl_add_u32 v6, v6, 23, v12
	v_or3_b32 v6, v11, v6, v2
.LBB32_672:
	s_or_b64 exec, exec, s[6:7]
	s_nop 0
	v_mfma_f32_16x16x4f32 a[0:3], v10, v6, a[0:3]
	s_movk_i32 s4, 0x7f
	v_cmp_gt_i16_sdwa s[6:7], v7, s4 src0_sel:BYTE_0 src1_sel:DWORD
	s_mov_b64 s[4:5], 0
                                        ; implicit-def: $sgpr10
	s_and_saveexec_b64 s[8:9], s[6:7]
	s_xor_b64 s[6:7], exec, s[8:9]
	s_cbranch_execnz .LBB32_2721
; %bb.673:
	s_or_saveexec_b64 s[6:7], s[6:7]
	v_mov_b32_e32 v2, s10
	s_xor_b64 exec, exec, s[6:7]
	s_cbranch_execnz .LBB32_2724
.LBB32_674:
	s_or_b64 exec, exec, s[6:7]
	s_and_saveexec_b64 s[6:7], s[4:5]
	s_cbranch_execz .LBB32_676
.LBB32_675:
	v_and_b32_e32 v2, 7, v7
	v_ffbh_u32_e32 v10, v2
	v_min_u32_e32 v10, 32, v10
	v_lshrrev_b16_e32 v6, 3, v7
	v_subrev_u32_e32 v11, 28, v10
	v_and_b32_e32 v6, 15, v6
	v_lshlrev_b32_e32 v11, v11, v7
	v_sub_u32_e32 v10, 29, v10
	v_and_b32_e32 v11, 7, v11
	v_cmp_eq_u16_e32 vcc, 0, v6
	v_cndmask_b32_e32 v2, v2, v11, vcc
	v_cndmask_b32_e32 v6, v6, v10, vcc
	v_lshlrev_b32_e32 v10, 24, v7
	v_mov_b32_e32 v11, 0x3b800000
	v_lshlrev_b32_e32 v2, 20, v2
	v_and_b32_e32 v10, 0x80000000, v10
	v_lshl_add_u32 v6, v6, 23, v11
	v_or3_b32 v2, v10, v6, v2
.LBB32_676:
	s_or_b64 exec, exec, s[6:7]
	s_movk_i32 s4, 0x7f
	v_cmp_gt_i16_sdwa s[6:7], v3, s4 src0_sel:BYTE_0 src1_sel:DWORD
	s_mov_b64 s[4:5], 0
                                        ; implicit-def: $sgpr10
	s_and_saveexec_b64 s[8:9], s[6:7]
	s_xor_b64 s[6:7], exec, s[8:9]
	s_cbranch_execnz .LBB32_2725
; %bb.677:
	s_or_saveexec_b64 s[6:7], s[6:7]
	v_mov_b32_e32 v6, s10
	s_xor_b64 exec, exec, s[6:7]
	s_cbranch_execnz .LBB32_2728
.LBB32_678:
	s_or_b64 exec, exec, s[6:7]
	s_and_saveexec_b64 s[6:7], s[4:5]
	s_cbranch_execz .LBB32_680
.LBB32_679:
	v_and_b32_e32 v6, 7, v3
	v_ffbh_u32_e32 v11, v6
	v_min_u32_e32 v11, 32, v11
	v_lshrrev_b16_e32 v10, 3, v3
	v_subrev_u32_e32 v12, 28, v11
	v_and_b32_e32 v10, 15, v10
	v_lshlrev_b32_e32 v12, v12, v3
	v_sub_u32_e32 v11, 29, v11
	v_and_b32_e32 v12, 7, v12
	v_cmp_eq_u16_e32 vcc, 0, v10
	v_cndmask_b32_e32 v6, v6, v12, vcc
	v_cndmask_b32_e32 v10, v10, v11, vcc
	v_lshlrev_b32_e32 v11, 24, v3
	v_mov_b32_e32 v12, 0x3b800000
	v_lshlrev_b32_e32 v6, 20, v6
	v_and_b32_e32 v11, 0x80000000, v11
	v_lshl_add_u32 v10, v10, 23, v12
	v_or3_b32 v6, v11, v10, v6
.LBB32_680:
	s_or_b64 exec, exec, s[6:7]
	s_nop 0
	v_mfma_f32_16x16x4f32 a[0:3], v2, v6, a[0:3]
	v_lshrrev_b32_e32 v6, 8, v7
	s_movk_i32 s4, 0x7f
	v_cmp_gt_i16_sdwa s[6:7], v6, s4 src0_sel:BYTE_0 src1_sel:DWORD
	s_mov_b64 s[4:5], 0
                                        ; implicit-def: $sgpr10
	s_and_saveexec_b64 s[8:9], s[6:7]
	s_xor_b64 s[6:7], exec, s[8:9]
	s_cbranch_execnz .LBB32_2729
; %bb.681:
	s_or_saveexec_b64 s[6:7], s[6:7]
	v_mov_b32_e32 v2, s10
	s_xor_b64 exec, exec, s[6:7]
	s_cbranch_execnz .LBB32_2732
.LBB32_682:
	s_or_b64 exec, exec, s[6:7]
	s_and_saveexec_b64 s[6:7], s[4:5]
	s_cbranch_execz .LBB32_684
.LBB32_683:
	v_bfe_u32 v2, v7, 8, 3
	v_ffbh_u32_e32 v11, v2
	v_min_u32_e32 v11, 32, v11
	v_lshrrev_b16_e32 v10, 3, v6
	v_subrev_u32_e32 v12, 28, v11
	v_and_b32_e32 v10, 15, v10
	v_lshlrev_b32_e32 v6, v12, v6
	v_sub_u32_e32 v11, 29, v11
	v_and_b32_e32 v6, 7, v6
	v_cmp_eq_u16_e32 vcc, 0, v10
	v_cndmask_b32_e32 v2, v2, v6, vcc
	v_cndmask_b32_e32 v6, v10, v11, vcc
	v_lshlrev_b32_e32 v10, 16, v7
	v_mov_b32_e32 v11, 0x3b800000
	v_lshlrev_b32_e32 v2, 20, v2
	v_and_b32_e32 v10, 0x80000000, v10
	v_lshl_add_u32 v6, v6, 23, v11
	v_or3_b32 v2, v10, v6, v2
.LBB32_684:
	s_or_b64 exec, exec, s[6:7]
	v_lshrrev_b32_e32 v6, 8, v3
	s_movk_i32 s4, 0x7f
	v_cmp_gt_i16_sdwa s[6:7], v6, s4 src0_sel:BYTE_0 src1_sel:DWORD
	s_mov_b64 s[4:5], 0
                                        ; implicit-def: $sgpr10
	s_and_saveexec_b64 s[8:9], s[6:7]
	s_xor_b64 s[6:7], exec, s[8:9]
	s_cbranch_execnz .LBB32_2733
; %bb.685:
	s_or_saveexec_b64 s[6:7], s[6:7]
	v_mov_b32_e32 v10, s10
	s_xor_b64 exec, exec, s[6:7]
	s_cbranch_execnz .LBB32_2736
.LBB32_686:
	s_or_b64 exec, exec, s[6:7]
	s_and_saveexec_b64 s[6:7], s[4:5]
	s_cbranch_execz .LBB32_688
.LBB32_687:
	v_bfe_u32 v10, v3, 8, 3
	v_ffbh_u32_e32 v12, v10
	v_min_u32_e32 v12, 32, v12
	v_lshrrev_b16_e32 v11, 3, v6
	v_subrev_u32_e32 v13, 28, v12
	v_and_b32_e32 v11, 15, v11
	v_lshlrev_b32_e32 v6, v13, v6
	v_sub_u32_e32 v12, 29, v12
	v_and_b32_e32 v6, 7, v6
	v_cmp_eq_u16_e32 vcc, 0, v11
	v_cndmask_b32_e32 v6, v10, v6, vcc
	v_cndmask_b32_e32 v10, v11, v12, vcc
	v_lshlrev_b32_e32 v11, 16, v3
	v_mov_b32_e32 v12, 0x3b800000
	v_lshlrev_b32_e32 v6, 20, v6
	v_and_b32_e32 v11, 0x80000000, v11
	v_lshl_add_u32 v10, v10, 23, v12
	v_or3_b32 v10, v11, v10, v6
.LBB32_688:
	s_or_b64 exec, exec, s[6:7]
	s_nop 0
	v_mfma_f32_16x16x4f32 a[0:3], v2, v10, a[0:3]
	s_movk_i32 s4, 0xff
	v_and_b32_sdwa v6, v7, s4 dst_sel:DWORD dst_unused:UNUSED_PAD src0_sel:WORD_1 src1_sel:DWORD
	s_movk_i32 s4, 0x7f
	v_cmp_lt_i16_e32 vcc, s4, v6
	s_mov_b64 s[4:5], 0
                                        ; implicit-def: $sgpr10
	s_and_saveexec_b64 s[6:7], vcc
	s_xor_b64 s[6:7], exec, s[6:7]
	s_cbranch_execnz .LBB32_2737
; %bb.689:
	s_or_saveexec_b64 s[6:7], s[6:7]
	v_mov_b32_e32 v2, s10
	s_xor_b64 exec, exec, s[6:7]
	s_cbranch_execnz .LBB32_2740
.LBB32_690:
	s_or_b64 exec, exec, s[6:7]
	s_and_saveexec_b64 s[6:7], s[4:5]
	s_cbranch_execz .LBB32_692
.LBB32_691:
	v_bfe_u32 v2, v7, 16, 3
	v_ffbh_u32_e32 v11, v2
	v_min_u32_e32 v11, 32, v11
	v_lshrrev_b32_e32 v6, 19, v7
	v_subrev_u32_e32 v12, 28, v11
	v_and_b32_e32 v6, 15, v6
	v_lshlrev_b32_sdwa v12, v12, v7 dst_sel:DWORD dst_unused:UNUSED_PAD src0_sel:DWORD src1_sel:WORD_1
	v_bfe_u32 v10, v7, 19, 4
	v_sub_u32_e32 v11, 29, v11
	v_and_b32_e32 v12, 7, v12
	v_cmp_eq_u16_e32 vcc, 0, v6
	v_cndmask_b32_e32 v2, v2, v12, vcc
	v_cndmask_b32_e32 v6, v10, v11, vcc
	v_lshlrev_b32_e32 v10, 8, v7
	v_mov_b32_e32 v11, 0x3b800000
	v_lshlrev_b32_e32 v2, 20, v2
	v_and_b32_e32 v10, 0x80000000, v10
	v_lshl_add_u32 v6, v6, 23, v11
	v_or3_b32 v2, v10, v6, v2
.LBB32_692:
	s_or_b64 exec, exec, s[6:7]
	s_movk_i32 s4, 0xff
	v_and_b32_sdwa v6, v3, s4 dst_sel:DWORD dst_unused:UNUSED_PAD src0_sel:WORD_1 src1_sel:DWORD
	s_movk_i32 s4, 0x7f
	v_cmp_lt_i16_e32 vcc, s4, v6
	s_mov_b64 s[4:5], 0
                                        ; implicit-def: $sgpr10
	s_and_saveexec_b64 s[6:7], vcc
	s_xor_b64 s[6:7], exec, s[6:7]
	s_cbranch_execnz .LBB32_2741
; %bb.693:
	s_or_saveexec_b64 s[6:7], s[6:7]
	v_mov_b32_e32 v10, s10
	s_xor_b64 exec, exec, s[6:7]
	s_cbranch_execnz .LBB32_2744
.LBB32_694:
	s_or_b64 exec, exec, s[6:7]
	s_and_saveexec_b64 s[6:7], s[4:5]
	s_cbranch_execz .LBB32_696
.LBB32_695:
	v_bfe_u32 v6, v3, 16, 3
	v_ffbh_u32_e32 v12, v6
	v_min_u32_e32 v12, 32, v12
	v_lshrrev_b32_e32 v10, 19, v3
	v_subrev_u32_e32 v13, 28, v12
	v_and_b32_e32 v10, 15, v10
	v_lshlrev_b32_sdwa v13, v13, v3 dst_sel:DWORD dst_unused:UNUSED_PAD src0_sel:DWORD src1_sel:WORD_1
	v_bfe_u32 v11, v3, 19, 4
	v_sub_u32_e32 v12, 29, v12
	v_and_b32_e32 v13, 7, v13
	v_cmp_eq_u16_e32 vcc, 0, v10
	v_cndmask_b32_e32 v6, v6, v13, vcc
	v_cndmask_b32_e32 v10, v11, v12, vcc
	v_lshlrev_b32_e32 v11, 8, v3
	v_mov_b32_e32 v12, 0x3b800000
	v_lshlrev_b32_e32 v6, 20, v6
	v_and_b32_e32 v11, 0x80000000, v11
	v_lshl_add_u32 v10, v10, 23, v12
	v_or3_b32 v10, v11, v10, v6
.LBB32_696:
	s_or_b64 exec, exec, s[6:7]
	s_nop 0
	v_mfma_f32_16x16x4f32 a[0:3], v2, v10, a[0:3]
	s_movk_i32 s4, 0x7f
	v_cmp_gt_i16_sdwa s[6:7], v7, s4 src0_sel:BYTE_3 src1_sel:DWORD
	s_mov_b64 s[4:5], 0
                                        ; implicit-def: $sgpr10
	s_and_saveexec_b64 s[8:9], s[6:7]
	s_xor_b64 s[6:7], exec, s[8:9]
	s_cbranch_execnz .LBB32_2745
; %bb.697:
	s_or_saveexec_b64 s[6:7], s[6:7]
	v_mov_b32_e32 v2, s10
	s_xor_b64 exec, exec, s[6:7]
	s_cbranch_execnz .LBB32_2748
.LBB32_698:
	s_or_b64 exec, exec, s[6:7]
	s_and_saveexec_b64 s[6:7], s[4:5]
	s_cbranch_execz .LBB32_700
.LBB32_699:
	v_bfe_u32 v2, v7, 24, 3
	v_ffbh_u32_e32 v12, v2
	v_min_u32_e32 v12, 32, v12
	v_lshrrev_b32_e32 v10, 27, v7
	v_subrev_u32_e32 v13, 28, v12
	v_and_b32_e32 v6, 0x80000000, v7
	v_and_b32_e32 v10, 15, v10
	v_bfe_u32 v11, v7, 27, 4
	v_lshlrev_b32_sdwa v7, v13, v7 dst_sel:DWORD dst_unused:UNUSED_PAD src0_sel:DWORD src1_sel:BYTE_3
	v_sub_u32_e32 v12, 29, v12
	v_and_b32_e32 v7, 7, v7
	v_cmp_eq_u16_e32 vcc, 0, v10
	v_cndmask_b32_e32 v2, v2, v7, vcc
	v_cndmask_b32_e32 v7, v11, v12, vcc
	v_mov_b32_e32 v10, 0x3b800000
	v_lshlrev_b32_e32 v2, 20, v2
	v_lshl_add_u32 v7, v7, 23, v10
	v_or3_b32 v2, v6, v7, v2
.LBB32_700:
	s_or_b64 exec, exec, s[6:7]
	s_movk_i32 s4, 0x7f
	v_cmp_gt_i16_sdwa s[6:7], v3, s4 src0_sel:BYTE_3 src1_sel:DWORD
	s_mov_b64 s[4:5], 0
                                        ; implicit-def: $sgpr10
	s_and_saveexec_b64 s[8:9], s[6:7]
	s_xor_b64 s[6:7], exec, s[8:9]
	s_cbranch_execnz .LBB32_2749
; %bb.701:
	s_or_saveexec_b64 s[6:7], s[6:7]
	v_mov_b32_e32 v6, s10
	s_xor_b64 exec, exec, s[6:7]
	s_cbranch_execnz .LBB32_2752
.LBB32_702:
	s_or_b64 exec, exec, s[6:7]
	s_and_saveexec_b64 s[6:7], s[4:5]
	s_cbranch_execz .LBB32_704
.LBB32_703:
	v_bfe_u32 v6, v3, 24, 3
	v_ffbh_u32_e32 v12, v6
	v_min_u32_e32 v12, 32, v12
	v_lshrrev_b32_e32 v10, 27, v3
	v_subrev_u32_e32 v13, 28, v12
	v_and_b32_e32 v7, 0x80000000, v3
	v_and_b32_e32 v10, 15, v10
	v_bfe_u32 v11, v3, 27, 4
	v_lshlrev_b32_sdwa v3, v13, v3 dst_sel:DWORD dst_unused:UNUSED_PAD src0_sel:DWORD src1_sel:BYTE_3
	v_sub_u32_e32 v12, 29, v12
	v_and_b32_e32 v3, 7, v3
	v_cmp_eq_u16_e32 vcc, 0, v10
	v_cndmask_b32_e32 v3, v6, v3, vcc
	v_cndmask_b32_e32 v6, v11, v12, vcc
	v_mov_b32_e32 v10, 0x3b800000
	v_lshlrev_b32_e32 v3, 20, v3
	v_lshl_add_u32 v6, v6, 23, v10
	v_or3_b32 v6, v7, v6, v3
.LBB32_704:
	s_or_b64 exec, exec, s[6:7]
	s_nop 0
	v_mfma_f32_16x16x4f32 a[0:3], v2, v6, a[0:3]
	s_movk_i32 s4, 0x7f
	v_cmp_gt_i16_sdwa s[6:7], v8, s4 src0_sel:BYTE_0 src1_sel:DWORD
	s_mov_b64 s[4:5], 0
                                        ; implicit-def: $sgpr10
	s_and_saveexec_b64 s[8:9], s[6:7]
	s_xor_b64 s[6:7], exec, s[8:9]
	s_cbranch_execnz .LBB32_2753
; %bb.705:
	s_or_saveexec_b64 s[6:7], s[6:7]
	v_mov_b32_e32 v2, s10
	s_xor_b64 exec, exec, s[6:7]
	s_cbranch_execnz .LBB32_2756
.LBB32_706:
	s_or_b64 exec, exec, s[6:7]
	s_and_saveexec_b64 s[6:7], s[4:5]
	s_cbranch_execz .LBB32_708
.LBB32_707:
	v_and_b32_e32 v2, 7, v8
	v_ffbh_u32_e32 v6, v2
	v_min_u32_e32 v6, 32, v6
	v_lshrrev_b16_e32 v3, 3, v8
	v_subrev_u32_e32 v7, 28, v6
	v_and_b32_e32 v3, 15, v3
	v_lshlrev_b32_e32 v7, v7, v8
	v_sub_u32_e32 v6, 29, v6
	v_and_b32_e32 v7, 7, v7
	v_cmp_eq_u16_e32 vcc, 0, v3
	v_cndmask_b32_e32 v2, v2, v7, vcc
	v_cndmask_b32_e32 v3, v3, v6, vcc
	v_lshlrev_b32_e32 v6, 24, v8
	v_mov_b32_e32 v7, 0x3b800000
	v_lshlrev_b32_e32 v2, 20, v2
	v_and_b32_e32 v6, 0x80000000, v6
	v_lshl_add_u32 v3, v3, 23, v7
	v_or3_b32 v2, v6, v3, v2
.LBB32_708:
	s_or_b64 exec, exec, s[6:7]
	s_movk_i32 s4, 0x7f
	v_cmp_gt_i16_sdwa s[6:7], v4, s4 src0_sel:BYTE_0 src1_sel:DWORD
	s_mov_b64 s[4:5], 0
                                        ; implicit-def: $sgpr10
	s_and_saveexec_b64 s[8:9], s[6:7]
	s_xor_b64 s[6:7], exec, s[8:9]
	s_cbranch_execnz .LBB32_2757
; %bb.709:
	s_or_saveexec_b64 s[6:7], s[6:7]
	v_mov_b32_e32 v3, s10
	s_xor_b64 exec, exec, s[6:7]
	s_cbranch_execnz .LBB32_2760
.LBB32_710:
	s_or_b64 exec, exec, s[6:7]
	s_and_saveexec_b64 s[6:7], s[4:5]
	s_cbranch_execz .LBB32_712
.LBB32_711:
	v_and_b32_e32 v3, 7, v4
	v_ffbh_u32_e32 v7, v3
	v_min_u32_e32 v7, 32, v7
	v_lshrrev_b16_e32 v6, 3, v4
	v_subrev_u32_e32 v10, 28, v7
	v_and_b32_e32 v6, 15, v6
	v_lshlrev_b32_e32 v10, v10, v4
	v_sub_u32_e32 v7, 29, v7
	v_and_b32_e32 v10, 7, v10
	v_cmp_eq_u16_e32 vcc, 0, v6
	v_cndmask_b32_e32 v3, v3, v10, vcc
	v_cndmask_b32_e32 v6, v6, v7, vcc
	v_lshlrev_b32_e32 v7, 24, v4
	v_mov_b32_e32 v10, 0x3b800000
	v_lshlrev_b32_e32 v3, 20, v3
	v_and_b32_e32 v7, 0x80000000, v7
	v_lshl_add_u32 v6, v6, 23, v10
	v_or3_b32 v3, v7, v6, v3
.LBB32_712:
	s_or_b64 exec, exec, s[6:7]
	s_nop 0
	v_mfma_f32_16x16x4f32 a[0:3], v2, v3, a[0:3]
	v_lshrrev_b32_e32 v3, 8, v8
	s_movk_i32 s4, 0x7f
	v_cmp_gt_i16_sdwa s[6:7], v3, s4 src0_sel:BYTE_0 src1_sel:DWORD
	s_mov_b64 s[4:5], 0
                                        ; implicit-def: $sgpr10
	s_and_saveexec_b64 s[8:9], s[6:7]
	s_xor_b64 s[6:7], exec, s[8:9]
	s_cbranch_execnz .LBB32_2761
; %bb.713:
	s_or_saveexec_b64 s[6:7], s[6:7]
	v_mov_b32_e32 v2, s10
	s_xor_b64 exec, exec, s[6:7]
	s_cbranch_execnz .LBB32_2764
.LBB32_714:
	s_or_b64 exec, exec, s[6:7]
	s_and_saveexec_b64 s[6:7], s[4:5]
	s_cbranch_execz .LBB32_716
.LBB32_715:
	v_bfe_u32 v2, v8, 8, 3
	v_ffbh_u32_e32 v7, v2
	v_min_u32_e32 v7, 32, v7
	v_lshrrev_b16_e32 v6, 3, v3
	v_subrev_u32_e32 v10, 28, v7
	v_and_b32_e32 v6, 15, v6
	v_lshlrev_b32_e32 v3, v10, v3
	v_sub_u32_e32 v7, 29, v7
	v_and_b32_e32 v3, 7, v3
	v_cmp_eq_u16_e32 vcc, 0, v6
	v_cndmask_b32_e32 v2, v2, v3, vcc
	v_cndmask_b32_e32 v3, v6, v7, vcc
	v_lshlrev_b32_e32 v6, 16, v8
	v_mov_b32_e32 v7, 0x3b800000
	v_lshlrev_b32_e32 v2, 20, v2
	v_and_b32_e32 v6, 0x80000000, v6
	v_lshl_add_u32 v3, v3, 23, v7
	v_or3_b32 v2, v6, v3, v2
.LBB32_716:
	s_or_b64 exec, exec, s[6:7]
	v_lshrrev_b32_e32 v3, 8, v4
	s_movk_i32 s4, 0x7f
	v_cmp_gt_i16_sdwa s[6:7], v3, s4 src0_sel:BYTE_0 src1_sel:DWORD
	s_mov_b64 s[4:5], 0
                                        ; implicit-def: $sgpr10
	s_and_saveexec_b64 s[8:9], s[6:7]
	s_xor_b64 s[6:7], exec, s[8:9]
	s_cbranch_execnz .LBB32_2765
; %bb.717:
	s_or_saveexec_b64 s[6:7], s[6:7]
	v_mov_b32_e32 v6, s10
	s_xor_b64 exec, exec, s[6:7]
	s_cbranch_execnz .LBB32_2768
.LBB32_718:
	s_or_b64 exec, exec, s[6:7]
	s_and_saveexec_b64 s[6:7], s[4:5]
	s_cbranch_execz .LBB32_720
.LBB32_719:
	v_bfe_u32 v6, v4, 8, 3
	v_ffbh_u32_e32 v10, v6
	v_min_u32_e32 v10, 32, v10
	v_lshrrev_b16_e32 v7, 3, v3
	v_subrev_u32_e32 v11, 28, v10
	v_and_b32_e32 v7, 15, v7
	v_lshlrev_b32_e32 v3, v11, v3
	v_sub_u32_e32 v10, 29, v10
	v_and_b32_e32 v3, 7, v3
	v_cmp_eq_u16_e32 vcc, 0, v7
	v_cndmask_b32_e32 v3, v6, v3, vcc
	v_cndmask_b32_e32 v6, v7, v10, vcc
	v_lshlrev_b32_e32 v7, 16, v4
	v_mov_b32_e32 v10, 0x3b800000
	v_lshlrev_b32_e32 v3, 20, v3
	v_and_b32_e32 v7, 0x80000000, v7
	v_lshl_add_u32 v6, v6, 23, v10
	v_or3_b32 v6, v7, v6, v3
.LBB32_720:
	s_or_b64 exec, exec, s[6:7]
	s_nop 0
	v_mfma_f32_16x16x4f32 a[0:3], v2, v6, a[0:3]
	s_movk_i32 s4, 0xff
	v_and_b32_sdwa v3, v8, s4 dst_sel:DWORD dst_unused:UNUSED_PAD src0_sel:WORD_1 src1_sel:DWORD
	s_movk_i32 s4, 0x7f
	v_cmp_lt_i16_e32 vcc, s4, v3
	s_mov_b64 s[4:5], 0
                                        ; implicit-def: $sgpr10
	s_and_saveexec_b64 s[6:7], vcc
	s_xor_b64 s[6:7], exec, s[6:7]
	s_cbranch_execnz .LBB32_2769
; %bb.721:
	s_or_saveexec_b64 s[6:7], s[6:7]
	v_mov_b32_e32 v2, s10
	s_xor_b64 exec, exec, s[6:7]
	s_cbranch_execnz .LBB32_2772
.LBB32_722:
	s_or_b64 exec, exec, s[6:7]
	s_and_saveexec_b64 s[6:7], s[4:5]
	s_cbranch_execz .LBB32_724
.LBB32_723:
	v_bfe_u32 v2, v8, 16, 3
	v_ffbh_u32_e32 v7, v2
	v_min_u32_e32 v7, 32, v7
	v_lshrrev_b32_e32 v3, 19, v8
	v_subrev_u32_e32 v10, 28, v7
	v_and_b32_e32 v3, 15, v3
	v_lshlrev_b32_sdwa v10, v10, v8 dst_sel:DWORD dst_unused:UNUSED_PAD src0_sel:DWORD src1_sel:WORD_1
	v_bfe_u32 v6, v8, 19, 4
	v_sub_u32_e32 v7, 29, v7
	v_and_b32_e32 v10, 7, v10
	v_cmp_eq_u16_e32 vcc, 0, v3
	v_cndmask_b32_e32 v2, v2, v10, vcc
	v_cndmask_b32_e32 v3, v6, v7, vcc
	v_lshlrev_b32_e32 v6, 8, v8
	v_mov_b32_e32 v7, 0x3b800000
	v_lshlrev_b32_e32 v2, 20, v2
	v_and_b32_e32 v6, 0x80000000, v6
	v_lshl_add_u32 v3, v3, 23, v7
	v_or3_b32 v2, v6, v3, v2
.LBB32_724:
	s_or_b64 exec, exec, s[6:7]
	s_movk_i32 s4, 0xff
	v_and_b32_sdwa v3, v4, s4 dst_sel:DWORD dst_unused:UNUSED_PAD src0_sel:WORD_1 src1_sel:DWORD
	s_movk_i32 s4, 0x7f
	v_cmp_lt_i16_e32 vcc, s4, v3
	s_mov_b64 s[4:5], 0
                                        ; implicit-def: $sgpr10
	s_and_saveexec_b64 s[6:7], vcc
	s_xor_b64 s[6:7], exec, s[6:7]
	s_cbranch_execnz .LBB32_2773
; %bb.725:
	s_or_saveexec_b64 s[6:7], s[6:7]
	v_mov_b32_e32 v6, s10
	s_xor_b64 exec, exec, s[6:7]
	s_cbranch_execnz .LBB32_2776
.LBB32_726:
	s_or_b64 exec, exec, s[6:7]
	s_and_saveexec_b64 s[6:7], s[4:5]
	s_cbranch_execz .LBB32_728
.LBB32_727:
	v_bfe_u32 v3, v4, 16, 3
	v_ffbh_u32_e32 v10, v3
	v_min_u32_e32 v10, 32, v10
	v_lshrrev_b32_e32 v6, 19, v4
	v_subrev_u32_e32 v11, 28, v10
	v_and_b32_e32 v6, 15, v6
	v_lshlrev_b32_sdwa v11, v11, v4 dst_sel:DWORD dst_unused:UNUSED_PAD src0_sel:DWORD src1_sel:WORD_1
	v_bfe_u32 v7, v4, 19, 4
	v_sub_u32_e32 v10, 29, v10
	v_and_b32_e32 v11, 7, v11
	v_cmp_eq_u16_e32 vcc, 0, v6
	v_cndmask_b32_e32 v3, v3, v11, vcc
	v_cndmask_b32_e32 v6, v7, v10, vcc
	v_lshlrev_b32_e32 v7, 8, v4
	v_mov_b32_e32 v10, 0x3b800000
	v_lshlrev_b32_e32 v3, 20, v3
	v_and_b32_e32 v7, 0x80000000, v7
	v_lshl_add_u32 v6, v6, 23, v10
	v_or3_b32 v6, v7, v6, v3
.LBB32_728:
	s_or_b64 exec, exec, s[6:7]
	s_nop 0
	v_mfma_f32_16x16x4f32 a[0:3], v2, v6, a[0:3]
	s_movk_i32 s4, 0x7f
	v_cmp_gt_i16_sdwa s[6:7], v8, s4 src0_sel:BYTE_3 src1_sel:DWORD
	s_mov_b64 s[4:5], 0
                                        ; implicit-def: $sgpr10
	s_and_saveexec_b64 s[8:9], s[6:7]
	s_xor_b64 s[6:7], exec, s[8:9]
	s_cbranch_execnz .LBB32_2777
; %bb.729:
	s_or_saveexec_b64 s[6:7], s[6:7]
	v_mov_b32_e32 v2, s10
	s_xor_b64 exec, exec, s[6:7]
	s_cbranch_execnz .LBB32_2780
.LBB32_730:
	s_or_b64 exec, exec, s[6:7]
	s_and_saveexec_b64 s[6:7], s[4:5]
	s_cbranch_execz .LBB32_732
.LBB32_731:
	v_bfe_u32 v2, v8, 24, 3
	v_ffbh_u32_e32 v10, v2
	v_min_u32_e32 v10, 32, v10
	v_lshrrev_b32_e32 v6, 27, v8
	v_subrev_u32_e32 v11, 28, v10
	v_and_b32_e32 v3, 0x80000000, v8
	v_and_b32_e32 v6, 15, v6
	v_bfe_u32 v7, v8, 27, 4
	v_lshlrev_b32_sdwa v8, v11, v8 dst_sel:DWORD dst_unused:UNUSED_PAD src0_sel:DWORD src1_sel:BYTE_3
	v_sub_u32_e32 v10, 29, v10
	v_and_b32_e32 v8, 7, v8
	v_cmp_eq_u16_e32 vcc, 0, v6
	v_cndmask_b32_e32 v2, v2, v8, vcc
	v_cndmask_b32_e32 v6, v7, v10, vcc
	v_mov_b32_e32 v7, 0x3b800000
	v_lshlrev_b32_e32 v2, 20, v2
	v_lshl_add_u32 v6, v6, 23, v7
	v_or3_b32 v2, v3, v6, v2
.LBB32_732:
	s_or_b64 exec, exec, s[6:7]
	s_movk_i32 s4, 0x7f
	v_cmp_gt_i16_sdwa s[6:7], v4, s4 src0_sel:BYTE_3 src1_sel:DWORD
	s_mov_b64 s[4:5], 0
                                        ; implicit-def: $sgpr10
	s_and_saveexec_b64 s[8:9], s[6:7]
	s_xor_b64 s[6:7], exec, s[8:9]
	s_cbranch_execnz .LBB32_2781
; %bb.733:
	s_or_saveexec_b64 s[6:7], s[6:7]
	v_mov_b32_e32 v3, s10
	s_xor_b64 exec, exec, s[6:7]
	s_cbranch_execnz .LBB32_2784
.LBB32_734:
	s_or_b64 exec, exec, s[6:7]
	s_and_saveexec_b64 s[6:7], s[4:5]
	s_cbranch_execz .LBB32_736
.LBB32_735:
	v_bfe_u32 v3, v4, 24, 3
	v_ffbh_u32_e32 v10, v3
	v_min_u32_e32 v10, 32, v10
	v_lshrrev_b32_e32 v7, 27, v4
	v_subrev_u32_e32 v11, 28, v10
	v_and_b32_e32 v6, 0x80000000, v4
	v_and_b32_e32 v7, 15, v7
	v_bfe_u32 v8, v4, 27, 4
	v_lshlrev_b32_sdwa v4, v11, v4 dst_sel:DWORD dst_unused:UNUSED_PAD src0_sel:DWORD src1_sel:BYTE_3
	v_sub_u32_e32 v10, 29, v10
	v_and_b32_e32 v4, 7, v4
	v_cmp_eq_u16_e32 vcc, 0, v7
	v_cndmask_b32_e32 v3, v3, v4, vcc
	v_cndmask_b32_e32 v4, v8, v10, vcc
	v_mov_b32_e32 v7, 0x3b800000
	v_lshlrev_b32_e32 v3, 20, v3
	v_lshl_add_u32 v4, v4, 23, v7
	v_or3_b32 v3, v6, v4, v3
.LBB32_736:
	s_or_b64 exec, exec, s[6:7]
	s_nop 0
	v_mfma_f32_16x16x4f32 a[0:3], v2, v3, a[0:3]
	s_movk_i32 s4, 0x7f
	v_cmp_gt_i16_sdwa s[6:7], v9, s4 src0_sel:BYTE_0 src1_sel:DWORD
	s_mov_b64 s[4:5], 0
                                        ; implicit-def: $sgpr10
	s_and_saveexec_b64 s[8:9], s[6:7]
	s_xor_b64 s[6:7], exec, s[8:9]
	s_cbranch_execnz .LBB32_2785
; %bb.737:
	s_or_saveexec_b64 s[6:7], s[6:7]
	v_mov_b32_e32 v2, s10
	s_xor_b64 exec, exec, s[6:7]
	s_cbranch_execnz .LBB32_2788
.LBB32_738:
	s_or_b64 exec, exec, s[6:7]
	s_and_saveexec_b64 s[6:7], s[4:5]
	s_cbranch_execz .LBB32_740
.LBB32_739:
	v_mov_b32_e32 v2, 8
	v_and_b32_e32 v3, 7, v9
	v_lshrrev_b32_sdwa v2, v2, v9 dst_sel:BYTE_1 dst_unused:UNUSED_PAD src0_sel:DWORD src1_sel:DWORD
	v_ffbh_u32_e32 v4, v3
	v_or_b32_sdwa v2, v9, v2 dst_sel:DWORD dst_unused:UNUSED_PAD src0_sel:BYTE_0 src1_sel:DWORD
	v_min_u32_e32 v4, 32, v4
	v_lshrrev_b16_e32 v2, 3, v2
	v_subrev_u32_e32 v6, 28, v4
	v_and_b32_e32 v2, 15, v2
	v_lshlrev_b32_e32 v6, v6, v9
	v_sub_u32_e32 v4, 29, v4
	v_and_b32_e32 v6, 7, v6
	v_cmp_eq_u16_e32 vcc, 0, v2
	v_cndmask_b32_e32 v3, v3, v6, vcc
	v_cndmask_b32_e32 v2, v2, v4, vcc
	v_lshlrev_b32_e32 v4, 24, v9
	v_mov_b32_e32 v6, 0x3b800000
	v_lshlrev_b32_e32 v3, 20, v3
	v_and_b32_e32 v4, 0x80000000, v4
	v_lshl_add_u32 v2, v2, 23, v6
	v_or3_b32 v2, v4, v2, v3
.LBB32_740:
	s_or_b64 exec, exec, s[6:7]
	s_movk_i32 s4, 0x7f
	v_cmp_gt_i16_sdwa s[6:7], v5, s4 src0_sel:BYTE_0 src1_sel:DWORD
	s_mov_b64 s[4:5], 0
                                        ; implicit-def: $sgpr10
	s_and_saveexec_b64 s[8:9], s[6:7]
	s_xor_b64 s[6:7], exec, s[8:9]
	s_cbranch_execnz .LBB32_2789
; %bb.741:
	s_or_saveexec_b64 s[6:7], s[6:7]
	v_mov_b32_e32 v3, s10
	s_xor_b64 exec, exec, s[6:7]
	s_cbranch_execnz .LBB32_2792
.LBB32_742:
	s_or_b64 exec, exec, s[6:7]
	s_and_saveexec_b64 s[6:7], s[4:5]
	s_cbranch_execz .LBB32_744
.LBB32_743:
	v_mov_b32_e32 v3, 8
	v_and_b32_e32 v4, 7, v5
	v_lshrrev_b32_sdwa v3, v3, v5 dst_sel:BYTE_1 dst_unused:UNUSED_PAD src0_sel:DWORD src1_sel:DWORD
	v_ffbh_u32_e32 v6, v4
	v_or_b32_sdwa v3, v5, v3 dst_sel:DWORD dst_unused:UNUSED_PAD src0_sel:BYTE_0 src1_sel:DWORD
	v_min_u32_e32 v6, 32, v6
	v_lshrrev_b16_e32 v3, 3, v3
	v_subrev_u32_e32 v7, 28, v6
	v_and_b32_e32 v3, 15, v3
	v_lshlrev_b32_e32 v7, v7, v5
	v_sub_u32_e32 v6, 29, v6
	v_and_b32_e32 v7, 7, v7
	v_cmp_eq_u16_e32 vcc, 0, v3
	v_cndmask_b32_e32 v4, v4, v7, vcc
	v_cndmask_b32_e32 v3, v3, v6, vcc
	v_lshlrev_b32_e32 v6, 24, v5
	v_mov_b32_e32 v7, 0x3b800000
	v_lshlrev_b32_e32 v4, 20, v4
	v_and_b32_e32 v6, 0x80000000, v6
	v_lshl_add_u32 v3, v3, 23, v7
	v_or3_b32 v3, v6, v3, v4
.LBB32_744:
	s_or_b64 exec, exec, s[6:7]
	s_nop 0
	v_mfma_f32_16x16x4f32 a[0:3], v2, v3, a[0:3]
	v_lshrrev_b32_e32 v3, 8, v9
	s_movk_i32 s4, 0x7f
	v_cmp_gt_i16_sdwa s[6:7], v3, s4 src0_sel:BYTE_0 src1_sel:DWORD
	s_mov_b64 s[4:5], 0
                                        ; implicit-def: $sgpr10
	s_and_saveexec_b64 s[8:9], s[6:7]
	s_xor_b64 s[6:7], exec, s[8:9]
	s_cbranch_execnz .LBB32_2793
; %bb.745:
	s_or_saveexec_b64 s[6:7], s[6:7]
	v_mov_b32_e32 v2, s10
	s_xor_b64 exec, exec, s[6:7]
	s_cbranch_execnz .LBB32_2796
.LBB32_746:
	s_or_b64 exec, exec, s[6:7]
	s_and_saveexec_b64 s[6:7], s[4:5]
	s_cbranch_execz .LBB32_748
.LBB32_747:
	v_bfe_u32 v2, v9, 8, 3
	v_ffbh_u32_e32 v6, v2
	v_min_u32_e32 v6, 32, v6
	v_lshrrev_b16_e32 v4, 3, v3
	v_subrev_u32_e32 v7, 28, v6
	v_and_b32_e32 v4, 15, v4
	v_lshlrev_b32_e32 v3, v7, v3
	v_sub_u32_e32 v6, 29, v6
	v_and_b32_e32 v3, 7, v3
	v_cmp_eq_u16_e32 vcc, 0, v4
	v_cndmask_b32_e32 v2, v2, v3, vcc
	v_cndmask_b32_e32 v3, v4, v6, vcc
	v_lshlrev_b32_e32 v4, 16, v9
	v_mov_b32_e32 v6, 0x3b800000
	v_lshlrev_b32_e32 v2, 20, v2
	v_and_b32_e32 v4, 0x80000000, v4
	v_lshl_add_u32 v3, v3, 23, v6
	v_or3_b32 v2, v4, v3, v2
.LBB32_748:
	s_or_b64 exec, exec, s[6:7]
	v_lshrrev_b32_e32 v3, 8, v5
	s_movk_i32 s4, 0x7f
	v_cmp_gt_i16_sdwa s[6:7], v3, s4 src0_sel:BYTE_0 src1_sel:DWORD
	s_mov_b64 s[4:5], 0
                                        ; implicit-def: $sgpr10
	s_and_saveexec_b64 s[8:9], s[6:7]
	s_xor_b64 s[6:7], exec, s[8:9]
	s_cbranch_execnz .LBB32_2797
; %bb.749:
	s_or_saveexec_b64 s[6:7], s[6:7]
	v_mov_b32_e32 v4, s10
	s_xor_b64 exec, exec, s[6:7]
	s_cbranch_execnz .LBB32_2800
.LBB32_750:
	s_or_b64 exec, exec, s[6:7]
	s_and_saveexec_b64 s[6:7], s[4:5]
	s_cbranch_execz .LBB32_752
.LBB32_751:
	v_bfe_u32 v4, v5, 8, 3
	v_ffbh_u32_e32 v7, v4
	v_min_u32_e32 v7, 32, v7
	v_lshrrev_b16_e32 v6, 3, v3
	v_subrev_u32_e32 v8, 28, v7
	v_and_b32_e32 v6, 15, v6
	v_lshlrev_b32_e32 v3, v8, v3
	v_sub_u32_e32 v7, 29, v7
	v_and_b32_e32 v3, 7, v3
	v_cmp_eq_u16_e32 vcc, 0, v6
	v_cndmask_b32_e32 v3, v4, v3, vcc
	v_cndmask_b32_e32 v4, v6, v7, vcc
	v_lshlrev_b32_e32 v6, 16, v5
	v_mov_b32_e32 v7, 0x3b800000
	v_lshlrev_b32_e32 v3, 20, v3
	v_and_b32_e32 v6, 0x80000000, v6
	v_lshl_add_u32 v4, v4, 23, v7
	v_or3_b32 v4, v6, v4, v3
.LBB32_752:
	s_or_b64 exec, exec, s[6:7]
	s_nop 0
	v_mfma_f32_16x16x4f32 a[0:3], v2, v4, a[0:3]
	s_movk_i32 s4, 0xff
	v_and_b32_sdwa v3, v9, s4 dst_sel:DWORD dst_unused:UNUSED_PAD src0_sel:WORD_1 src1_sel:DWORD
	s_movk_i32 s4, 0x7f
	v_cmp_lt_i16_e32 vcc, s4, v3
	s_mov_b64 s[4:5], 0
                                        ; implicit-def: $sgpr10
	s_and_saveexec_b64 s[6:7], vcc
	s_xor_b64 s[6:7], exec, s[6:7]
	s_cbranch_execnz .LBB32_2801
; %bb.753:
	s_or_saveexec_b64 s[6:7], s[6:7]
	v_mov_b32_e32 v2, s10
	s_xor_b64 exec, exec, s[6:7]
	s_cbranch_execnz .LBB32_2804
.LBB32_754:
	s_or_b64 exec, exec, s[6:7]
	s_and_saveexec_b64 s[6:7], s[4:5]
	s_cbranch_execz .LBB32_756
.LBB32_755:
	v_bfe_u32 v2, v9, 16, 3
	v_ffbh_u32_e32 v6, v2
	v_min_u32_e32 v6, 32, v6
	v_lshrrev_b32_e32 v3, 19, v9
	v_subrev_u32_e32 v7, 28, v6
	v_and_b32_e32 v3, 15, v3
	v_lshlrev_b32_sdwa v7, v7, v9 dst_sel:DWORD dst_unused:UNUSED_PAD src0_sel:DWORD src1_sel:WORD_1
	v_bfe_u32 v4, v9, 19, 4
	v_sub_u32_e32 v6, 29, v6
	v_and_b32_e32 v7, 7, v7
	v_cmp_eq_u16_e32 vcc, 0, v3
	v_cndmask_b32_e32 v2, v2, v7, vcc
	v_cndmask_b32_e32 v3, v4, v6, vcc
	v_lshlrev_b32_e32 v4, 8, v9
	v_mov_b32_e32 v6, 0x3b800000
	v_lshlrev_b32_e32 v2, 20, v2
	v_and_b32_e32 v4, 0x80000000, v4
	v_lshl_add_u32 v3, v3, 23, v6
	v_or3_b32 v2, v4, v3, v2
.LBB32_756:
	s_or_b64 exec, exec, s[6:7]
	s_movk_i32 s4, 0xff
	v_and_b32_sdwa v3, v5, s4 dst_sel:DWORD dst_unused:UNUSED_PAD src0_sel:WORD_1 src1_sel:DWORD
	s_movk_i32 s4, 0x7f
	v_cmp_lt_i16_e32 vcc, s4, v3
	s_mov_b64 s[4:5], 0
                                        ; implicit-def: $sgpr10
	s_and_saveexec_b64 s[6:7], vcc
	s_xor_b64 s[6:7], exec, s[6:7]
	s_cbranch_execnz .LBB32_2805
; %bb.757:
	s_or_saveexec_b64 s[6:7], s[6:7]
	v_mov_b32_e32 v4, s10
	s_xor_b64 exec, exec, s[6:7]
	s_cbranch_execnz .LBB32_2808
.LBB32_758:
	s_or_b64 exec, exec, s[6:7]
	s_and_saveexec_b64 s[6:7], s[4:5]
	s_cbranch_execz .LBB32_760
.LBB32_759:
	v_bfe_u32 v3, v5, 16, 3
	v_ffbh_u32_e32 v7, v3
	v_min_u32_e32 v7, 32, v7
	v_lshrrev_b32_e32 v4, 19, v5
	v_subrev_u32_e32 v8, 28, v7
	v_and_b32_e32 v4, 15, v4
	v_lshlrev_b32_sdwa v8, v8, v5 dst_sel:DWORD dst_unused:UNUSED_PAD src0_sel:DWORD src1_sel:WORD_1
	v_bfe_u32 v6, v5, 19, 4
	v_sub_u32_e32 v7, 29, v7
	v_and_b32_e32 v8, 7, v8
	v_cmp_eq_u16_e32 vcc, 0, v4
	v_cndmask_b32_e32 v3, v3, v8, vcc
	v_cndmask_b32_e32 v4, v6, v7, vcc
	v_lshlrev_b32_e32 v6, 8, v5
	v_mov_b32_e32 v7, 0x3b800000
	v_lshlrev_b32_e32 v3, 20, v3
	v_and_b32_e32 v6, 0x80000000, v6
	v_lshl_add_u32 v4, v4, 23, v7
	v_or3_b32 v4, v6, v4, v3
.LBB32_760:
	s_or_b64 exec, exec, s[6:7]
	s_nop 0
	v_mfma_f32_16x16x4f32 a[0:3], v2, v4, a[0:3]
	s_movk_i32 s4, 0x7f
	v_cmp_gt_i16_sdwa s[6:7], v9, s4 src0_sel:BYTE_3 src1_sel:DWORD
	s_mov_b64 s[4:5], 0
                                        ; implicit-def: $sgpr10
	s_and_saveexec_b64 s[8:9], s[6:7]
	s_xor_b64 s[6:7], exec, s[8:9]
	s_cbranch_execnz .LBB32_2809
; %bb.761:
	s_or_saveexec_b64 s[6:7], s[6:7]
	v_mov_b32_e32 v2, s10
	s_xor_b64 exec, exec, s[6:7]
	s_cbranch_execnz .LBB32_2812
.LBB32_762:
	s_or_b64 exec, exec, s[6:7]
	s_and_saveexec_b64 s[6:7], s[4:5]
	s_cbranch_execz .LBB32_764
.LBB32_763:
	v_bfe_u32 v2, v9, 24, 3
	v_ffbh_u32_e32 v7, v2
	v_min_u32_e32 v7, 32, v7
	v_lshrrev_b32_e32 v4, 27, v9
	v_subrev_u32_e32 v8, 28, v7
	v_and_b32_e32 v4, 15, v4
	v_lshlrev_b32_sdwa v8, v8, v9 dst_sel:DWORD dst_unused:UNUSED_PAD src0_sel:DWORD src1_sel:BYTE_3
	v_bfe_u32 v6, v9, 27, 4
	v_sub_u32_e32 v7, 29, v7
	v_and_b32_e32 v8, 7, v8
	v_cmp_eq_u16_e32 vcc, 0, v4
	v_cndmask_b32_e32 v2, v2, v8, vcc
	v_cndmask_b32_e32 v4, v6, v7, vcc
	v_mov_b32_e32 v6, 0x3b800000
	v_and_b32_e32 v3, 0x80000000, v9
	v_lshlrev_b32_e32 v2, 20, v2
	v_lshl_add_u32 v4, v4, 23, v6
	v_or3_b32 v2, v3, v4, v2
.LBB32_764:
	s_or_b64 exec, exec, s[6:7]
	s_movk_i32 s4, 0x7f
	v_cmp_gt_i16_sdwa s[6:7], v5, s4 src0_sel:BYTE_3 src1_sel:DWORD
	s_mov_b64 s[4:5], 0
                                        ; implicit-def: $sgpr10
	s_and_saveexec_b64 s[8:9], s[6:7]
	s_xor_b64 s[6:7], exec, s[8:9]
	s_cbranch_execnz .LBB32_2813
; %bb.765:
	s_or_saveexec_b64 s[6:7], s[6:7]
	v_mov_b32_e32 v3, s10
	s_xor_b64 exec, exec, s[6:7]
	s_cbranch_execnz .LBB32_2816
.LBB32_766:
	s_or_b64 exec, exec, s[6:7]
	s_and_saveexec_b64 s[6:7], s[4:5]
	s_cbranch_execz .LBB32_768
.LBB32_767:
	v_bfe_u32 v3, v5, 24, 3
	v_ffbh_u32_e32 v8, v3
	v_min_u32_e32 v8, 32, v8
	v_lshrrev_b32_e32 v6, 27, v5
	v_subrev_u32_e32 v9, 28, v8
	v_and_b32_e32 v4, 0x80000000, v5
	v_and_b32_e32 v6, 15, v6
	v_bfe_u32 v7, v5, 27, 4
	v_lshlrev_b32_sdwa v5, v9, v5 dst_sel:DWORD dst_unused:UNUSED_PAD src0_sel:DWORD src1_sel:BYTE_3
	v_sub_u32_e32 v8, 29, v8
	v_and_b32_e32 v5, 7, v5
	v_cmp_eq_u16_e32 vcc, 0, v6
	v_cndmask_b32_e32 v3, v3, v5, vcc
	v_cndmask_b32_e32 v5, v7, v8, vcc
	v_mov_b32_e32 v6, 0x3b800000
	v_lshlrev_b32_e32 v3, 20, v3
	v_lshl_add_u32 v5, v5, 23, v6
	v_or3_b32 v3, v4, v5, v3
.LBB32_768:
	s_or_b64 exec, exec, s[6:7]
	s_nop 0
	v_mfma_f32_16x16x4f32 a[0:3], v2, v3, a[0:3]
	s_movk_i32 s4, 0x7f
                                        ; implicit-def: $sgpr10
	s_nop 7
	s_nop 1
	flat_store_dwordx4 v[18:19], a[0:3] offset:544
	flat_load_dwordx4 v[20:23], v[0:1] offset:16
	s_nop 0
	flat_load_dwordx2 v[18:19], v[0:1] offset:32
	s_waitcnt vmcnt(0) lgkmcnt(0)
	flat_load_dwordx4 v[14:17], v[20:21]
	flat_load_dwordx4 v[6:9], v[20:21] offset:16
	flat_load_dwordx4 v[10:13], v[22:23] offset:96
	;; [unrolled: 1-line block ×3, first 2 shown]
	s_waitcnt vmcnt(0) lgkmcnt(0)
	v_cmp_gt_i16_sdwa s[6:7], v14, s4 src0_sel:BYTE_0 src1_sel:DWORD
	s_mov_b64 s[4:5], 0
	s_and_saveexec_b64 s[8:9], s[6:7]
	s_xor_b64 s[6:7], exec, s[8:9]
	s_cbranch_execnz .LBB32_2817
; %bb.769:
	s_or_saveexec_b64 s[6:7], s[6:7]
	v_mov_b32_e32 v20, s10
	s_xor_b64 exec, exec, s[6:7]
	s_cbranch_execnz .LBB32_2820
.LBB32_770:
	s_or_b64 exec, exec, s[6:7]
	s_and_saveexec_b64 s[6:7], s[4:5]
	s_cbranch_execz .LBB32_772
.LBB32_771:
	v_and_b32_e32 v20, 7, v14
	v_ffbh_u32_e32 v22, v20
	v_min_u32_e32 v22, 32, v22
	v_lshrrev_b16_e32 v21, 3, v14
	v_subrev_u32_e32 v23, 28, v22
	v_and_b32_e32 v21, 15, v21
	v_lshlrev_b32_e32 v23, v23, v14
	v_sub_u32_e32 v22, 29, v22
	v_and_b32_e32 v23, 7, v23
	v_cmp_eq_u16_e32 vcc, 0, v21
	v_cndmask_b32_e32 v20, v20, v23, vcc
	v_cndmask_b32_e32 v21, v21, v22, vcc
	v_lshlrev_b32_e32 v22, 24, v14
	v_mov_b32_e32 v23, 0x3b800000
	v_lshlrev_b32_e32 v20, 20, v20
	v_and_b32_e32 v22, 0x80000000, v22
	v_lshl_add_u32 v21, v21, 23, v23
	v_or3_b32 v20, v22, v21, v20
.LBB32_772:
	s_or_b64 exec, exec, s[6:7]
	s_movk_i32 s4, 0x7f
	v_cmp_gt_i16_sdwa s[6:7], v10, s4 src0_sel:BYTE_0 src1_sel:DWORD
	s_mov_b64 s[4:5], 0
                                        ; implicit-def: $sgpr10
	s_and_saveexec_b64 s[8:9], s[6:7]
	s_xor_b64 s[6:7], exec, s[8:9]
	s_cbranch_execnz .LBB32_2821
; %bb.773:
	s_or_saveexec_b64 s[6:7], s[6:7]
	v_mov_b32_e32 v21, s10
	s_xor_b64 exec, exec, s[6:7]
	s_cbranch_execnz .LBB32_2824
.LBB32_774:
	s_or_b64 exec, exec, s[6:7]
	s_and_saveexec_b64 s[6:7], s[4:5]
	s_cbranch_execz .LBB32_776
.LBB32_775:
	v_and_b32_e32 v21, 7, v10
	v_ffbh_u32_e32 v23, v21
	v_min_u32_e32 v23, 32, v23
	v_lshrrev_b16_e32 v22, 3, v10
	v_subrev_u32_e32 v24, 28, v23
	v_and_b32_e32 v22, 15, v22
	v_lshlrev_b32_e32 v24, v24, v10
	v_sub_u32_e32 v23, 29, v23
	v_and_b32_e32 v24, 7, v24
	v_cmp_eq_u16_e32 vcc, 0, v22
	v_cndmask_b32_e32 v21, v21, v24, vcc
	v_cndmask_b32_e32 v22, v22, v23, vcc
	v_lshlrev_b32_e32 v23, 24, v10
	v_mov_b32_e32 v24, 0x3b800000
	v_lshlrev_b32_e32 v21, 20, v21
	v_and_b32_e32 v23, 0x80000000, v23
	v_lshl_add_u32 v22, v22, 23, v24
	v_or3_b32 v21, v23, v22, v21
.LBB32_776:
	s_or_b64 exec, exec, s[6:7]
	flat_load_dwordx4 a[0:3], v[18:19] offset:560
	s_movk_i32 s4, 0x7f
                                        ; implicit-def: $sgpr10
	s_waitcnt vmcnt(0) lgkmcnt(0)
	v_mfma_f32_16x16x4f32 a[0:3], v20, v21, a[0:3]
	v_lshrrev_b32_e32 v21, 8, v14
	v_cmp_gt_i16_sdwa s[6:7], v21, s4 src0_sel:BYTE_0 src1_sel:DWORD
	s_mov_b64 s[4:5], 0
	s_and_saveexec_b64 s[8:9], s[6:7]
	s_xor_b64 s[6:7], exec, s[8:9]
	s_cbranch_execnz .LBB32_2825
; %bb.777:
	s_or_saveexec_b64 s[6:7], s[6:7]
	v_mov_b32_e32 v20, s10
	s_xor_b64 exec, exec, s[6:7]
	s_cbranch_execnz .LBB32_2828
.LBB32_778:
	s_or_b64 exec, exec, s[6:7]
	s_and_saveexec_b64 s[6:7], s[4:5]
	s_cbranch_execz .LBB32_780
.LBB32_779:
	v_bfe_u32 v20, v14, 8, 3
	v_ffbh_u32_e32 v23, v20
	v_min_u32_e32 v23, 32, v23
	v_lshrrev_b16_e32 v22, 3, v21
	v_subrev_u32_e32 v24, 28, v23
	v_and_b32_e32 v22, 15, v22
	v_lshlrev_b32_e32 v21, v24, v21
	v_sub_u32_e32 v23, 29, v23
	v_and_b32_e32 v21, 7, v21
	v_cmp_eq_u16_e32 vcc, 0, v22
	v_cndmask_b32_e32 v20, v20, v21, vcc
	v_cndmask_b32_e32 v21, v22, v23, vcc
	v_lshlrev_b32_e32 v22, 16, v14
	v_mov_b32_e32 v23, 0x3b800000
	v_lshlrev_b32_e32 v20, 20, v20
	v_and_b32_e32 v22, 0x80000000, v22
	v_lshl_add_u32 v21, v21, 23, v23
	v_or3_b32 v20, v22, v21, v20
.LBB32_780:
	s_or_b64 exec, exec, s[6:7]
	v_lshrrev_b32_e32 v21, 8, v10
	s_movk_i32 s4, 0x7f
	v_cmp_gt_i16_sdwa s[6:7], v21, s4 src0_sel:BYTE_0 src1_sel:DWORD
	s_mov_b64 s[4:5], 0
                                        ; implicit-def: $sgpr10
	s_and_saveexec_b64 s[8:9], s[6:7]
	s_xor_b64 s[6:7], exec, s[8:9]
	s_cbranch_execnz .LBB32_2829
; %bb.781:
	s_or_saveexec_b64 s[6:7], s[6:7]
	v_mov_b32_e32 v22, s10
	s_xor_b64 exec, exec, s[6:7]
	s_cbranch_execnz .LBB32_2832
.LBB32_782:
	s_or_b64 exec, exec, s[6:7]
	s_and_saveexec_b64 s[6:7], s[4:5]
	s_cbranch_execz .LBB32_784
.LBB32_783:
	v_bfe_u32 v22, v10, 8, 3
	v_ffbh_u32_e32 v24, v22
	v_min_u32_e32 v24, 32, v24
	v_lshrrev_b16_e32 v23, 3, v21
	v_subrev_u32_e32 v25, 28, v24
	v_and_b32_e32 v23, 15, v23
	v_lshlrev_b32_e32 v21, v25, v21
	v_sub_u32_e32 v24, 29, v24
	v_and_b32_e32 v21, 7, v21
	v_cmp_eq_u16_e32 vcc, 0, v23
	v_cndmask_b32_e32 v21, v22, v21, vcc
	v_cndmask_b32_e32 v22, v23, v24, vcc
	v_lshlrev_b32_e32 v23, 16, v10
	v_mov_b32_e32 v24, 0x3b800000
	v_lshlrev_b32_e32 v21, 20, v21
	v_and_b32_e32 v23, 0x80000000, v23
	v_lshl_add_u32 v22, v22, 23, v24
	v_or3_b32 v22, v23, v22, v21
.LBB32_784:
	s_or_b64 exec, exec, s[6:7]
	s_nop 0
	v_mfma_f32_16x16x4f32 a[0:3], v20, v22, a[0:3]
	s_movk_i32 s4, 0xff
	v_and_b32_sdwa v21, v14, s4 dst_sel:DWORD dst_unused:UNUSED_PAD src0_sel:WORD_1 src1_sel:DWORD
	s_movk_i32 s4, 0x7f
	v_cmp_lt_i16_e32 vcc, s4, v21
	s_mov_b64 s[4:5], 0
                                        ; implicit-def: $sgpr10
	s_and_saveexec_b64 s[6:7], vcc
	s_xor_b64 s[6:7], exec, s[6:7]
	s_cbranch_execnz .LBB32_2833
; %bb.785:
	s_or_saveexec_b64 s[6:7], s[6:7]
	v_mov_b32_e32 v20, s10
	s_xor_b64 exec, exec, s[6:7]
	s_cbranch_execnz .LBB32_2836
.LBB32_786:
	s_or_b64 exec, exec, s[6:7]
	s_and_saveexec_b64 s[6:7], s[4:5]
	s_cbranch_execz .LBB32_788
.LBB32_787:
	v_bfe_u32 v20, v14, 16, 3
	v_ffbh_u32_e32 v23, v20
	v_min_u32_e32 v23, 32, v23
	v_lshrrev_b32_e32 v21, 19, v14
	v_subrev_u32_e32 v24, 28, v23
	v_and_b32_e32 v21, 15, v21
	v_lshlrev_b32_sdwa v24, v24, v14 dst_sel:DWORD dst_unused:UNUSED_PAD src0_sel:DWORD src1_sel:WORD_1
	v_bfe_u32 v22, v14, 19, 4
	v_sub_u32_e32 v23, 29, v23
	v_and_b32_e32 v24, 7, v24
	v_cmp_eq_u16_e32 vcc, 0, v21
	v_cndmask_b32_e32 v20, v20, v24, vcc
	v_cndmask_b32_e32 v21, v22, v23, vcc
	v_lshlrev_b32_e32 v22, 8, v14
	v_mov_b32_e32 v23, 0x3b800000
	v_lshlrev_b32_e32 v20, 20, v20
	v_and_b32_e32 v22, 0x80000000, v22
	v_lshl_add_u32 v21, v21, 23, v23
	v_or3_b32 v20, v22, v21, v20
.LBB32_788:
	s_or_b64 exec, exec, s[6:7]
	s_movk_i32 s4, 0xff
	v_and_b32_sdwa v21, v10, s4 dst_sel:DWORD dst_unused:UNUSED_PAD src0_sel:WORD_1 src1_sel:DWORD
	s_movk_i32 s4, 0x7f
	v_cmp_lt_i16_e32 vcc, s4, v21
	s_mov_b64 s[4:5], 0
                                        ; implicit-def: $sgpr10
	s_and_saveexec_b64 s[6:7], vcc
	s_xor_b64 s[6:7], exec, s[6:7]
	s_cbranch_execnz .LBB32_2837
; %bb.789:
	s_or_saveexec_b64 s[6:7], s[6:7]
	v_mov_b32_e32 v22, s10
	s_xor_b64 exec, exec, s[6:7]
	s_cbranch_execnz .LBB32_2840
.LBB32_790:
	s_or_b64 exec, exec, s[6:7]
	s_and_saveexec_b64 s[6:7], s[4:5]
	s_cbranch_execz .LBB32_792
.LBB32_791:
	v_bfe_u32 v21, v10, 16, 3
	v_ffbh_u32_e32 v24, v21
	v_min_u32_e32 v24, 32, v24
	v_lshrrev_b32_e32 v22, 19, v10
	v_subrev_u32_e32 v25, 28, v24
	v_and_b32_e32 v22, 15, v22
	v_lshlrev_b32_sdwa v25, v25, v10 dst_sel:DWORD dst_unused:UNUSED_PAD src0_sel:DWORD src1_sel:WORD_1
	v_bfe_u32 v23, v10, 19, 4
	v_sub_u32_e32 v24, 29, v24
	v_and_b32_e32 v25, 7, v25
	v_cmp_eq_u16_e32 vcc, 0, v22
	v_cndmask_b32_e32 v21, v21, v25, vcc
	v_cndmask_b32_e32 v22, v23, v24, vcc
	v_lshlrev_b32_e32 v23, 8, v10
	v_mov_b32_e32 v24, 0x3b800000
	v_lshlrev_b32_e32 v21, 20, v21
	v_and_b32_e32 v23, 0x80000000, v23
	v_lshl_add_u32 v22, v22, 23, v24
	v_or3_b32 v22, v23, v22, v21
.LBB32_792:
	s_or_b64 exec, exec, s[6:7]
	s_nop 0
	v_mfma_f32_16x16x4f32 a[0:3], v20, v22, a[0:3]
	s_movk_i32 s4, 0x7f
	v_cmp_gt_i16_sdwa s[6:7], v14, s4 src0_sel:BYTE_3 src1_sel:DWORD
	s_mov_b64 s[4:5], 0
                                        ; implicit-def: $sgpr10
	s_and_saveexec_b64 s[8:9], s[6:7]
	s_xor_b64 s[6:7], exec, s[8:9]
	s_cbranch_execnz .LBB32_2841
; %bb.793:
	s_or_saveexec_b64 s[6:7], s[6:7]
	v_mov_b32_e32 v20, s10
	s_xor_b64 exec, exec, s[6:7]
	s_cbranch_execnz .LBB32_2844
.LBB32_794:
	s_or_b64 exec, exec, s[6:7]
	s_and_saveexec_b64 s[6:7], s[4:5]
	s_cbranch_execz .LBB32_796
.LBB32_795:
	v_bfe_u32 v20, v14, 24, 3
	v_ffbh_u32_e32 v24, v20
	v_min_u32_e32 v24, 32, v24
	v_lshrrev_b32_e32 v22, 27, v14
	v_subrev_u32_e32 v25, 28, v24
	v_and_b32_e32 v21, 0x80000000, v14
	v_and_b32_e32 v22, 15, v22
	v_bfe_u32 v23, v14, 27, 4
	v_lshlrev_b32_sdwa v14, v25, v14 dst_sel:DWORD dst_unused:UNUSED_PAD src0_sel:DWORD src1_sel:BYTE_3
	v_sub_u32_e32 v24, 29, v24
	v_and_b32_e32 v14, 7, v14
	v_cmp_eq_u16_e32 vcc, 0, v22
	v_cndmask_b32_e32 v14, v20, v14, vcc
	v_cndmask_b32_e32 v20, v23, v24, vcc
	v_mov_b32_e32 v22, 0x3b800000
	v_lshlrev_b32_e32 v14, 20, v14
	v_lshl_add_u32 v20, v20, 23, v22
	v_or3_b32 v20, v21, v20, v14
.LBB32_796:
	s_or_b64 exec, exec, s[6:7]
	s_movk_i32 s4, 0x7f
	v_cmp_gt_i16_sdwa s[6:7], v10, s4 src0_sel:BYTE_3 src1_sel:DWORD
	s_mov_b64 s[4:5], 0
                                        ; implicit-def: $sgpr10
	s_and_saveexec_b64 s[8:9], s[6:7]
	s_xor_b64 s[6:7], exec, s[8:9]
	s_cbranch_execnz .LBB32_2845
; %bb.797:
	s_or_saveexec_b64 s[6:7], s[6:7]
	v_mov_b32_e32 v14, s10
	s_xor_b64 exec, exec, s[6:7]
	s_cbranch_execnz .LBB32_2848
.LBB32_798:
	s_or_b64 exec, exec, s[6:7]
	s_and_saveexec_b64 s[6:7], s[4:5]
	s_cbranch_execz .LBB32_800
.LBB32_799:
	v_bfe_u32 v14, v10, 24, 3
	v_ffbh_u32_e32 v24, v14
	v_min_u32_e32 v24, 32, v24
	v_lshrrev_b32_e32 v22, 27, v10
	v_subrev_u32_e32 v25, 28, v24
	v_and_b32_e32 v21, 0x80000000, v10
	v_and_b32_e32 v22, 15, v22
	v_bfe_u32 v23, v10, 27, 4
	v_lshlrev_b32_sdwa v10, v25, v10 dst_sel:DWORD dst_unused:UNUSED_PAD src0_sel:DWORD src1_sel:BYTE_3
	v_sub_u32_e32 v24, 29, v24
	v_and_b32_e32 v10, 7, v10
	v_cmp_eq_u16_e32 vcc, 0, v22
	v_cndmask_b32_e32 v10, v14, v10, vcc
	v_cndmask_b32_e32 v14, v23, v24, vcc
	v_mov_b32_e32 v22, 0x3b800000
	v_lshlrev_b32_e32 v10, 20, v10
	v_lshl_add_u32 v14, v14, 23, v22
	v_or3_b32 v14, v21, v14, v10
.LBB32_800:
	s_or_b64 exec, exec, s[6:7]
	s_nop 0
	v_mfma_f32_16x16x4f32 a[0:3], v20, v14, a[0:3]
	s_movk_i32 s4, 0x7f
	v_cmp_gt_i16_sdwa s[6:7], v15, s4 src0_sel:BYTE_0 src1_sel:DWORD
	s_mov_b64 s[4:5], 0
                                        ; implicit-def: $sgpr10
	s_and_saveexec_b64 s[8:9], s[6:7]
	s_xor_b64 s[6:7], exec, s[8:9]
	s_cbranch_execnz .LBB32_2849
; %bb.801:
	s_or_saveexec_b64 s[6:7], s[6:7]
	v_mov_b32_e32 v10, s10
	s_xor_b64 exec, exec, s[6:7]
	s_cbranch_execnz .LBB32_2852
.LBB32_802:
	s_or_b64 exec, exec, s[6:7]
	s_and_saveexec_b64 s[6:7], s[4:5]
	s_cbranch_execz .LBB32_804
.LBB32_803:
	v_and_b32_e32 v10, 7, v15
	v_ffbh_u32_e32 v20, v10
	v_min_u32_e32 v20, 32, v20
	v_lshrrev_b16_e32 v14, 3, v15
	v_subrev_u32_e32 v21, 28, v20
	v_and_b32_e32 v14, 15, v14
	v_lshlrev_b32_e32 v21, v21, v15
	v_sub_u32_e32 v20, 29, v20
	v_and_b32_e32 v21, 7, v21
	v_cmp_eq_u16_e32 vcc, 0, v14
	v_cndmask_b32_e32 v10, v10, v21, vcc
	v_cndmask_b32_e32 v14, v14, v20, vcc
	v_lshlrev_b32_e32 v20, 24, v15
	v_mov_b32_e32 v21, 0x3b800000
	v_lshlrev_b32_e32 v10, 20, v10
	v_and_b32_e32 v20, 0x80000000, v20
	v_lshl_add_u32 v14, v14, 23, v21
	v_or3_b32 v10, v20, v14, v10
.LBB32_804:
	s_or_b64 exec, exec, s[6:7]
	s_movk_i32 s4, 0x7f
	v_cmp_gt_i16_sdwa s[6:7], v11, s4 src0_sel:BYTE_0 src1_sel:DWORD
	s_mov_b64 s[4:5], 0
                                        ; implicit-def: $sgpr10
	s_and_saveexec_b64 s[8:9], s[6:7]
	s_xor_b64 s[6:7], exec, s[8:9]
	s_cbranch_execnz .LBB32_2853
; %bb.805:
	s_or_saveexec_b64 s[6:7], s[6:7]
	v_mov_b32_e32 v14, s10
	s_xor_b64 exec, exec, s[6:7]
	s_cbranch_execnz .LBB32_2856
.LBB32_806:
	s_or_b64 exec, exec, s[6:7]
	s_and_saveexec_b64 s[6:7], s[4:5]
	s_cbranch_execz .LBB32_808
.LBB32_807:
	v_and_b32_e32 v14, 7, v11
	v_ffbh_u32_e32 v21, v14
	v_min_u32_e32 v21, 32, v21
	v_lshrrev_b16_e32 v20, 3, v11
	v_subrev_u32_e32 v22, 28, v21
	v_and_b32_e32 v20, 15, v20
	v_lshlrev_b32_e32 v22, v22, v11
	v_sub_u32_e32 v21, 29, v21
	v_and_b32_e32 v22, 7, v22
	v_cmp_eq_u16_e32 vcc, 0, v20
	v_cndmask_b32_e32 v14, v14, v22, vcc
	v_cndmask_b32_e32 v20, v20, v21, vcc
	v_lshlrev_b32_e32 v21, 24, v11
	v_mov_b32_e32 v22, 0x3b800000
	v_lshlrev_b32_e32 v14, 20, v14
	v_and_b32_e32 v21, 0x80000000, v21
	v_lshl_add_u32 v20, v20, 23, v22
	v_or3_b32 v14, v21, v20, v14
.LBB32_808:
	s_or_b64 exec, exec, s[6:7]
	s_nop 0
	v_mfma_f32_16x16x4f32 a[0:3], v10, v14, a[0:3]
	v_lshrrev_b32_e32 v14, 8, v15
	s_movk_i32 s4, 0x7f
	v_cmp_gt_i16_sdwa s[6:7], v14, s4 src0_sel:BYTE_0 src1_sel:DWORD
	s_mov_b64 s[4:5], 0
                                        ; implicit-def: $sgpr10
	s_and_saveexec_b64 s[8:9], s[6:7]
	s_xor_b64 s[6:7], exec, s[8:9]
	s_cbranch_execnz .LBB32_2857
; %bb.809:
	s_or_saveexec_b64 s[6:7], s[6:7]
	v_mov_b32_e32 v10, s10
	s_xor_b64 exec, exec, s[6:7]
	s_cbranch_execnz .LBB32_2860
.LBB32_810:
	s_or_b64 exec, exec, s[6:7]
	s_and_saveexec_b64 s[6:7], s[4:5]
	s_cbranch_execz .LBB32_812
.LBB32_811:
	v_bfe_u32 v10, v15, 8, 3
	v_ffbh_u32_e32 v21, v10
	v_min_u32_e32 v21, 32, v21
	v_lshrrev_b16_e32 v20, 3, v14
	v_subrev_u32_e32 v22, 28, v21
	v_and_b32_e32 v20, 15, v20
	v_lshlrev_b32_e32 v14, v22, v14
	v_sub_u32_e32 v21, 29, v21
	v_and_b32_e32 v14, 7, v14
	v_cmp_eq_u16_e32 vcc, 0, v20
	v_cndmask_b32_e32 v10, v10, v14, vcc
	v_cndmask_b32_e32 v14, v20, v21, vcc
	v_lshlrev_b32_e32 v20, 16, v15
	v_mov_b32_e32 v21, 0x3b800000
	v_lshlrev_b32_e32 v10, 20, v10
	v_and_b32_e32 v20, 0x80000000, v20
	v_lshl_add_u32 v14, v14, 23, v21
	v_or3_b32 v10, v20, v14, v10
.LBB32_812:
	s_or_b64 exec, exec, s[6:7]
	v_lshrrev_b32_e32 v14, 8, v11
	s_movk_i32 s4, 0x7f
	v_cmp_gt_i16_sdwa s[6:7], v14, s4 src0_sel:BYTE_0 src1_sel:DWORD
	s_mov_b64 s[4:5], 0
                                        ; implicit-def: $sgpr10
	s_and_saveexec_b64 s[8:9], s[6:7]
	s_xor_b64 s[6:7], exec, s[8:9]
	s_cbranch_execnz .LBB32_2861
; %bb.813:
	s_or_saveexec_b64 s[6:7], s[6:7]
	v_mov_b32_e32 v20, s10
	s_xor_b64 exec, exec, s[6:7]
	s_cbranch_execnz .LBB32_2864
.LBB32_814:
	s_or_b64 exec, exec, s[6:7]
	s_and_saveexec_b64 s[6:7], s[4:5]
	s_cbranch_execz .LBB32_816
.LBB32_815:
	v_bfe_u32 v20, v11, 8, 3
	v_ffbh_u32_e32 v22, v20
	v_min_u32_e32 v22, 32, v22
	v_lshrrev_b16_e32 v21, 3, v14
	v_subrev_u32_e32 v23, 28, v22
	v_and_b32_e32 v21, 15, v21
	v_lshlrev_b32_e32 v14, v23, v14
	v_sub_u32_e32 v22, 29, v22
	v_and_b32_e32 v14, 7, v14
	v_cmp_eq_u16_e32 vcc, 0, v21
	v_cndmask_b32_e32 v14, v20, v14, vcc
	v_cndmask_b32_e32 v20, v21, v22, vcc
	v_lshlrev_b32_e32 v21, 16, v11
	v_mov_b32_e32 v22, 0x3b800000
	v_lshlrev_b32_e32 v14, 20, v14
	v_and_b32_e32 v21, 0x80000000, v21
	v_lshl_add_u32 v20, v20, 23, v22
	v_or3_b32 v20, v21, v20, v14
.LBB32_816:
	s_or_b64 exec, exec, s[6:7]
	s_nop 0
	v_mfma_f32_16x16x4f32 a[0:3], v10, v20, a[0:3]
	s_movk_i32 s4, 0xff
	v_and_b32_sdwa v14, v15, s4 dst_sel:DWORD dst_unused:UNUSED_PAD src0_sel:WORD_1 src1_sel:DWORD
	s_movk_i32 s4, 0x7f
	v_cmp_lt_i16_e32 vcc, s4, v14
	s_mov_b64 s[4:5], 0
                                        ; implicit-def: $sgpr10
	s_and_saveexec_b64 s[6:7], vcc
	s_xor_b64 s[6:7], exec, s[6:7]
	s_cbranch_execnz .LBB32_2865
; %bb.817:
	s_or_saveexec_b64 s[6:7], s[6:7]
	v_mov_b32_e32 v10, s10
	s_xor_b64 exec, exec, s[6:7]
	s_cbranch_execnz .LBB32_2868
.LBB32_818:
	s_or_b64 exec, exec, s[6:7]
	s_and_saveexec_b64 s[6:7], s[4:5]
	s_cbranch_execz .LBB32_820
.LBB32_819:
	v_bfe_u32 v10, v15, 16, 3
	v_ffbh_u32_e32 v21, v10
	v_min_u32_e32 v21, 32, v21
	v_lshrrev_b32_e32 v14, 19, v15
	v_subrev_u32_e32 v22, 28, v21
	v_and_b32_e32 v14, 15, v14
	v_lshlrev_b32_sdwa v22, v22, v15 dst_sel:DWORD dst_unused:UNUSED_PAD src0_sel:DWORD src1_sel:WORD_1
	v_bfe_u32 v20, v15, 19, 4
	v_sub_u32_e32 v21, 29, v21
	v_and_b32_e32 v22, 7, v22
	v_cmp_eq_u16_e32 vcc, 0, v14
	v_cndmask_b32_e32 v10, v10, v22, vcc
	v_cndmask_b32_e32 v14, v20, v21, vcc
	v_lshlrev_b32_e32 v20, 8, v15
	v_mov_b32_e32 v21, 0x3b800000
	v_lshlrev_b32_e32 v10, 20, v10
	v_and_b32_e32 v20, 0x80000000, v20
	v_lshl_add_u32 v14, v14, 23, v21
	v_or3_b32 v10, v20, v14, v10
.LBB32_820:
	s_or_b64 exec, exec, s[6:7]
	s_movk_i32 s4, 0xff
	v_and_b32_sdwa v14, v11, s4 dst_sel:DWORD dst_unused:UNUSED_PAD src0_sel:WORD_1 src1_sel:DWORD
	s_movk_i32 s4, 0x7f
	v_cmp_lt_i16_e32 vcc, s4, v14
	s_mov_b64 s[4:5], 0
                                        ; implicit-def: $sgpr10
	s_and_saveexec_b64 s[6:7], vcc
	s_xor_b64 s[6:7], exec, s[6:7]
	s_cbranch_execnz .LBB32_2869
; %bb.821:
	s_or_saveexec_b64 s[6:7], s[6:7]
	v_mov_b32_e32 v20, s10
	s_xor_b64 exec, exec, s[6:7]
	s_cbranch_execnz .LBB32_2872
.LBB32_822:
	s_or_b64 exec, exec, s[6:7]
	s_and_saveexec_b64 s[6:7], s[4:5]
	s_cbranch_execz .LBB32_824
.LBB32_823:
	v_bfe_u32 v14, v11, 16, 3
	v_ffbh_u32_e32 v22, v14
	v_min_u32_e32 v22, 32, v22
	v_lshrrev_b32_e32 v20, 19, v11
	v_subrev_u32_e32 v23, 28, v22
	v_and_b32_e32 v20, 15, v20
	v_lshlrev_b32_sdwa v23, v23, v11 dst_sel:DWORD dst_unused:UNUSED_PAD src0_sel:DWORD src1_sel:WORD_1
	v_bfe_u32 v21, v11, 19, 4
	v_sub_u32_e32 v22, 29, v22
	v_and_b32_e32 v23, 7, v23
	v_cmp_eq_u16_e32 vcc, 0, v20
	v_cndmask_b32_e32 v14, v14, v23, vcc
	v_cndmask_b32_e32 v20, v21, v22, vcc
	v_lshlrev_b32_e32 v21, 8, v11
	v_mov_b32_e32 v22, 0x3b800000
	v_lshlrev_b32_e32 v14, 20, v14
	v_and_b32_e32 v21, 0x80000000, v21
	v_lshl_add_u32 v20, v20, 23, v22
	v_or3_b32 v20, v21, v20, v14
.LBB32_824:
	s_or_b64 exec, exec, s[6:7]
	s_nop 0
	v_mfma_f32_16x16x4f32 a[0:3], v10, v20, a[0:3]
	s_movk_i32 s4, 0x7f
	v_cmp_gt_i16_sdwa s[6:7], v15, s4 src0_sel:BYTE_3 src1_sel:DWORD
	s_mov_b64 s[4:5], 0
                                        ; implicit-def: $sgpr10
	s_and_saveexec_b64 s[8:9], s[6:7]
	s_xor_b64 s[6:7], exec, s[8:9]
	s_cbranch_execnz .LBB32_2873
; %bb.825:
	s_or_saveexec_b64 s[6:7], s[6:7]
	v_mov_b32_e32 v10, s10
	s_xor_b64 exec, exec, s[6:7]
	s_cbranch_execnz .LBB32_2876
.LBB32_826:
	s_or_b64 exec, exec, s[6:7]
	s_and_saveexec_b64 s[6:7], s[4:5]
	s_cbranch_execz .LBB32_828
.LBB32_827:
	v_bfe_u32 v10, v15, 24, 3
	v_ffbh_u32_e32 v22, v10
	v_min_u32_e32 v22, 32, v22
	v_lshrrev_b32_e32 v20, 27, v15
	v_subrev_u32_e32 v23, 28, v22
	v_and_b32_e32 v14, 0x80000000, v15
	v_and_b32_e32 v20, 15, v20
	v_bfe_u32 v21, v15, 27, 4
	v_lshlrev_b32_sdwa v15, v23, v15 dst_sel:DWORD dst_unused:UNUSED_PAD src0_sel:DWORD src1_sel:BYTE_3
	v_sub_u32_e32 v22, 29, v22
	v_and_b32_e32 v15, 7, v15
	v_cmp_eq_u16_e32 vcc, 0, v20
	v_cndmask_b32_e32 v10, v10, v15, vcc
	v_cndmask_b32_e32 v15, v21, v22, vcc
	v_mov_b32_e32 v20, 0x3b800000
	v_lshlrev_b32_e32 v10, 20, v10
	v_lshl_add_u32 v15, v15, 23, v20
	v_or3_b32 v10, v14, v15, v10
.LBB32_828:
	s_or_b64 exec, exec, s[6:7]
	s_movk_i32 s4, 0x7f
	v_cmp_gt_i16_sdwa s[6:7], v11, s4 src0_sel:BYTE_3 src1_sel:DWORD
	s_mov_b64 s[4:5], 0
                                        ; implicit-def: $sgpr10
	s_and_saveexec_b64 s[8:9], s[6:7]
	s_xor_b64 s[6:7], exec, s[8:9]
	s_cbranch_execnz .LBB32_2877
; %bb.829:
	s_or_saveexec_b64 s[6:7], s[6:7]
	v_mov_b32_e32 v14, s10
	s_xor_b64 exec, exec, s[6:7]
	s_cbranch_execnz .LBB32_2880
.LBB32_830:
	s_or_b64 exec, exec, s[6:7]
	s_and_saveexec_b64 s[6:7], s[4:5]
	s_cbranch_execz .LBB32_832
.LBB32_831:
	v_bfe_u32 v14, v11, 24, 3
	v_ffbh_u32_e32 v22, v14
	v_min_u32_e32 v22, 32, v22
	v_lshrrev_b32_e32 v20, 27, v11
	v_subrev_u32_e32 v23, 28, v22
	v_and_b32_e32 v15, 0x80000000, v11
	v_and_b32_e32 v20, 15, v20
	v_bfe_u32 v21, v11, 27, 4
	v_lshlrev_b32_sdwa v11, v23, v11 dst_sel:DWORD dst_unused:UNUSED_PAD src0_sel:DWORD src1_sel:BYTE_3
	v_sub_u32_e32 v22, 29, v22
	v_and_b32_e32 v11, 7, v11
	v_cmp_eq_u16_e32 vcc, 0, v20
	v_cndmask_b32_e32 v11, v14, v11, vcc
	v_cndmask_b32_e32 v14, v21, v22, vcc
	v_mov_b32_e32 v20, 0x3b800000
	v_lshlrev_b32_e32 v11, 20, v11
	v_lshl_add_u32 v14, v14, 23, v20
	v_or3_b32 v14, v15, v14, v11
.LBB32_832:
	s_or_b64 exec, exec, s[6:7]
	s_nop 0
	v_mfma_f32_16x16x4f32 a[0:3], v10, v14, a[0:3]
	s_movk_i32 s4, 0x7f
	v_cmp_gt_i16_sdwa s[6:7], v16, s4 src0_sel:BYTE_0 src1_sel:DWORD
	s_mov_b64 s[4:5], 0
                                        ; implicit-def: $sgpr10
	s_and_saveexec_b64 s[8:9], s[6:7]
	s_xor_b64 s[6:7], exec, s[8:9]
	s_cbranch_execnz .LBB32_2881
; %bb.833:
	s_or_saveexec_b64 s[6:7], s[6:7]
	v_mov_b32_e32 v10, s10
	s_xor_b64 exec, exec, s[6:7]
	s_cbranch_execnz .LBB32_2884
.LBB32_834:
	s_or_b64 exec, exec, s[6:7]
	s_and_saveexec_b64 s[6:7], s[4:5]
	s_cbranch_execz .LBB32_836
.LBB32_835:
	v_and_b32_e32 v10, 7, v16
	v_ffbh_u32_e32 v14, v10
	v_min_u32_e32 v14, 32, v14
	v_lshrrev_b16_e32 v11, 3, v16
	v_subrev_u32_e32 v15, 28, v14
	v_and_b32_e32 v11, 15, v11
	v_lshlrev_b32_e32 v15, v15, v16
	v_sub_u32_e32 v14, 29, v14
	v_and_b32_e32 v15, 7, v15
	v_cmp_eq_u16_e32 vcc, 0, v11
	v_cndmask_b32_e32 v10, v10, v15, vcc
	v_cndmask_b32_e32 v11, v11, v14, vcc
	v_lshlrev_b32_e32 v14, 24, v16
	v_mov_b32_e32 v15, 0x3b800000
	v_lshlrev_b32_e32 v10, 20, v10
	v_and_b32_e32 v14, 0x80000000, v14
	v_lshl_add_u32 v11, v11, 23, v15
	v_or3_b32 v10, v14, v11, v10
.LBB32_836:
	s_or_b64 exec, exec, s[6:7]
	s_movk_i32 s4, 0x7f
	v_cmp_gt_i16_sdwa s[6:7], v12, s4 src0_sel:BYTE_0 src1_sel:DWORD
	s_mov_b64 s[4:5], 0
                                        ; implicit-def: $sgpr10
	s_and_saveexec_b64 s[8:9], s[6:7]
	s_xor_b64 s[6:7], exec, s[8:9]
	s_cbranch_execnz .LBB32_2885
; %bb.837:
	s_or_saveexec_b64 s[6:7], s[6:7]
	v_mov_b32_e32 v11, s10
	s_xor_b64 exec, exec, s[6:7]
	s_cbranch_execnz .LBB32_2888
.LBB32_838:
	s_or_b64 exec, exec, s[6:7]
	s_and_saveexec_b64 s[6:7], s[4:5]
	s_cbranch_execz .LBB32_840
.LBB32_839:
	v_and_b32_e32 v11, 7, v12
	v_ffbh_u32_e32 v15, v11
	v_min_u32_e32 v15, 32, v15
	v_lshrrev_b16_e32 v14, 3, v12
	v_subrev_u32_e32 v20, 28, v15
	v_and_b32_e32 v14, 15, v14
	v_lshlrev_b32_e32 v20, v20, v12
	v_sub_u32_e32 v15, 29, v15
	v_and_b32_e32 v20, 7, v20
	v_cmp_eq_u16_e32 vcc, 0, v14
	v_cndmask_b32_e32 v11, v11, v20, vcc
	v_cndmask_b32_e32 v14, v14, v15, vcc
	v_lshlrev_b32_e32 v15, 24, v12
	v_mov_b32_e32 v20, 0x3b800000
	v_lshlrev_b32_e32 v11, 20, v11
	v_and_b32_e32 v15, 0x80000000, v15
	v_lshl_add_u32 v14, v14, 23, v20
	v_or3_b32 v11, v15, v14, v11
.LBB32_840:
	s_or_b64 exec, exec, s[6:7]
	s_nop 0
	v_mfma_f32_16x16x4f32 a[0:3], v10, v11, a[0:3]
	v_lshrrev_b32_e32 v11, 8, v16
	s_movk_i32 s4, 0x7f
	v_cmp_gt_i16_sdwa s[6:7], v11, s4 src0_sel:BYTE_0 src1_sel:DWORD
	s_mov_b64 s[4:5], 0
                                        ; implicit-def: $sgpr10
	s_and_saveexec_b64 s[8:9], s[6:7]
	s_xor_b64 s[6:7], exec, s[8:9]
	s_cbranch_execnz .LBB32_2889
; %bb.841:
	s_or_saveexec_b64 s[6:7], s[6:7]
	v_mov_b32_e32 v10, s10
	s_xor_b64 exec, exec, s[6:7]
	s_cbranch_execnz .LBB32_2892
.LBB32_842:
	s_or_b64 exec, exec, s[6:7]
	s_and_saveexec_b64 s[6:7], s[4:5]
	s_cbranch_execz .LBB32_844
.LBB32_843:
	v_bfe_u32 v10, v16, 8, 3
	v_ffbh_u32_e32 v15, v10
	v_min_u32_e32 v15, 32, v15
	v_lshrrev_b16_e32 v14, 3, v11
	v_subrev_u32_e32 v20, 28, v15
	v_and_b32_e32 v14, 15, v14
	v_lshlrev_b32_e32 v11, v20, v11
	v_sub_u32_e32 v15, 29, v15
	v_and_b32_e32 v11, 7, v11
	v_cmp_eq_u16_e32 vcc, 0, v14
	v_cndmask_b32_e32 v10, v10, v11, vcc
	v_cndmask_b32_e32 v11, v14, v15, vcc
	v_lshlrev_b32_e32 v14, 16, v16
	v_mov_b32_e32 v15, 0x3b800000
	v_lshlrev_b32_e32 v10, 20, v10
	v_and_b32_e32 v14, 0x80000000, v14
	v_lshl_add_u32 v11, v11, 23, v15
	v_or3_b32 v10, v14, v11, v10
.LBB32_844:
	s_or_b64 exec, exec, s[6:7]
	v_lshrrev_b32_e32 v11, 8, v12
	s_movk_i32 s4, 0x7f
	v_cmp_gt_i16_sdwa s[6:7], v11, s4 src0_sel:BYTE_0 src1_sel:DWORD
	s_mov_b64 s[4:5], 0
                                        ; implicit-def: $sgpr10
	s_and_saveexec_b64 s[8:9], s[6:7]
	s_xor_b64 s[6:7], exec, s[8:9]
	s_cbranch_execnz .LBB32_2893
; %bb.845:
	s_or_saveexec_b64 s[6:7], s[6:7]
	v_mov_b32_e32 v14, s10
	s_xor_b64 exec, exec, s[6:7]
	s_cbranch_execnz .LBB32_2896
.LBB32_846:
	s_or_b64 exec, exec, s[6:7]
	s_and_saveexec_b64 s[6:7], s[4:5]
	s_cbranch_execz .LBB32_848
.LBB32_847:
	v_bfe_u32 v14, v12, 8, 3
	v_ffbh_u32_e32 v20, v14
	v_min_u32_e32 v20, 32, v20
	v_lshrrev_b16_e32 v15, 3, v11
	v_subrev_u32_e32 v21, 28, v20
	v_and_b32_e32 v15, 15, v15
	v_lshlrev_b32_e32 v11, v21, v11
	v_sub_u32_e32 v20, 29, v20
	v_and_b32_e32 v11, 7, v11
	v_cmp_eq_u16_e32 vcc, 0, v15
	v_cndmask_b32_e32 v11, v14, v11, vcc
	v_cndmask_b32_e32 v14, v15, v20, vcc
	v_lshlrev_b32_e32 v15, 16, v12
	v_mov_b32_e32 v20, 0x3b800000
	v_lshlrev_b32_e32 v11, 20, v11
	v_and_b32_e32 v15, 0x80000000, v15
	v_lshl_add_u32 v14, v14, 23, v20
	v_or3_b32 v14, v15, v14, v11
.LBB32_848:
	s_or_b64 exec, exec, s[6:7]
	s_nop 0
	v_mfma_f32_16x16x4f32 a[0:3], v10, v14, a[0:3]
	s_movk_i32 s4, 0xff
	v_and_b32_sdwa v11, v16, s4 dst_sel:DWORD dst_unused:UNUSED_PAD src0_sel:WORD_1 src1_sel:DWORD
	s_movk_i32 s4, 0x7f
	v_cmp_lt_i16_e32 vcc, s4, v11
	s_mov_b64 s[4:5], 0
                                        ; implicit-def: $sgpr10
	s_and_saveexec_b64 s[6:7], vcc
	s_xor_b64 s[6:7], exec, s[6:7]
	s_cbranch_execnz .LBB32_2897
; %bb.849:
	s_or_saveexec_b64 s[6:7], s[6:7]
	v_mov_b32_e32 v10, s10
	s_xor_b64 exec, exec, s[6:7]
	s_cbranch_execnz .LBB32_2900
.LBB32_850:
	s_or_b64 exec, exec, s[6:7]
	s_and_saveexec_b64 s[6:7], s[4:5]
	s_cbranch_execz .LBB32_852
.LBB32_851:
	v_bfe_u32 v10, v16, 16, 3
	v_ffbh_u32_e32 v15, v10
	v_min_u32_e32 v15, 32, v15
	v_lshrrev_b32_e32 v11, 19, v16
	v_subrev_u32_e32 v20, 28, v15
	v_and_b32_e32 v11, 15, v11
	v_lshlrev_b32_sdwa v20, v20, v16 dst_sel:DWORD dst_unused:UNUSED_PAD src0_sel:DWORD src1_sel:WORD_1
	v_bfe_u32 v14, v16, 19, 4
	v_sub_u32_e32 v15, 29, v15
	v_and_b32_e32 v20, 7, v20
	v_cmp_eq_u16_e32 vcc, 0, v11
	v_cndmask_b32_e32 v10, v10, v20, vcc
	v_cndmask_b32_e32 v11, v14, v15, vcc
	v_lshlrev_b32_e32 v14, 8, v16
	v_mov_b32_e32 v15, 0x3b800000
	v_lshlrev_b32_e32 v10, 20, v10
	v_and_b32_e32 v14, 0x80000000, v14
	v_lshl_add_u32 v11, v11, 23, v15
	v_or3_b32 v10, v14, v11, v10
.LBB32_852:
	s_or_b64 exec, exec, s[6:7]
	s_movk_i32 s4, 0xff
	v_and_b32_sdwa v11, v12, s4 dst_sel:DWORD dst_unused:UNUSED_PAD src0_sel:WORD_1 src1_sel:DWORD
	s_movk_i32 s4, 0x7f
	v_cmp_lt_i16_e32 vcc, s4, v11
	s_mov_b64 s[4:5], 0
                                        ; implicit-def: $sgpr10
	s_and_saveexec_b64 s[6:7], vcc
	s_xor_b64 s[6:7], exec, s[6:7]
	s_cbranch_execnz .LBB32_2901
; %bb.853:
	s_or_saveexec_b64 s[6:7], s[6:7]
	v_mov_b32_e32 v14, s10
	s_xor_b64 exec, exec, s[6:7]
	s_cbranch_execnz .LBB32_2904
.LBB32_854:
	s_or_b64 exec, exec, s[6:7]
	s_and_saveexec_b64 s[6:7], s[4:5]
	s_cbranch_execz .LBB32_856
.LBB32_855:
	v_bfe_u32 v11, v12, 16, 3
	v_ffbh_u32_e32 v20, v11
	v_min_u32_e32 v20, 32, v20
	v_lshrrev_b32_e32 v14, 19, v12
	v_subrev_u32_e32 v21, 28, v20
	v_and_b32_e32 v14, 15, v14
	v_lshlrev_b32_sdwa v21, v21, v12 dst_sel:DWORD dst_unused:UNUSED_PAD src0_sel:DWORD src1_sel:WORD_1
	v_bfe_u32 v15, v12, 19, 4
	v_sub_u32_e32 v20, 29, v20
	v_and_b32_e32 v21, 7, v21
	v_cmp_eq_u16_e32 vcc, 0, v14
	v_cndmask_b32_e32 v11, v11, v21, vcc
	v_cndmask_b32_e32 v14, v15, v20, vcc
	v_lshlrev_b32_e32 v15, 8, v12
	v_mov_b32_e32 v20, 0x3b800000
	v_lshlrev_b32_e32 v11, 20, v11
	v_and_b32_e32 v15, 0x80000000, v15
	v_lshl_add_u32 v14, v14, 23, v20
	v_or3_b32 v14, v15, v14, v11
.LBB32_856:
	s_or_b64 exec, exec, s[6:7]
	s_nop 0
	v_mfma_f32_16x16x4f32 a[0:3], v10, v14, a[0:3]
	s_movk_i32 s4, 0x7f
	v_cmp_gt_i16_sdwa s[6:7], v16, s4 src0_sel:BYTE_3 src1_sel:DWORD
	s_mov_b64 s[4:5], 0
                                        ; implicit-def: $sgpr10
	s_and_saveexec_b64 s[8:9], s[6:7]
	s_xor_b64 s[6:7], exec, s[8:9]
	s_cbranch_execnz .LBB32_2905
; %bb.857:
	s_or_saveexec_b64 s[6:7], s[6:7]
	v_mov_b32_e32 v10, s10
	s_xor_b64 exec, exec, s[6:7]
	s_cbranch_execnz .LBB32_2908
.LBB32_858:
	s_or_b64 exec, exec, s[6:7]
	s_and_saveexec_b64 s[6:7], s[4:5]
	s_cbranch_execz .LBB32_860
.LBB32_859:
	v_bfe_u32 v10, v16, 24, 3
	v_ffbh_u32_e32 v20, v10
	v_min_u32_e32 v20, 32, v20
	v_lshrrev_b32_e32 v14, 27, v16
	v_subrev_u32_e32 v21, 28, v20
	v_and_b32_e32 v11, 0x80000000, v16
	v_and_b32_e32 v14, 15, v14
	v_bfe_u32 v15, v16, 27, 4
	v_lshlrev_b32_sdwa v16, v21, v16 dst_sel:DWORD dst_unused:UNUSED_PAD src0_sel:DWORD src1_sel:BYTE_3
	v_sub_u32_e32 v20, 29, v20
	v_and_b32_e32 v16, 7, v16
	v_cmp_eq_u16_e32 vcc, 0, v14
	v_cndmask_b32_e32 v10, v10, v16, vcc
	v_cndmask_b32_e32 v14, v15, v20, vcc
	v_mov_b32_e32 v15, 0x3b800000
	v_lshlrev_b32_e32 v10, 20, v10
	v_lshl_add_u32 v14, v14, 23, v15
	v_or3_b32 v10, v11, v14, v10
.LBB32_860:
	s_or_b64 exec, exec, s[6:7]
	s_movk_i32 s4, 0x7f
	v_cmp_gt_i16_sdwa s[6:7], v12, s4 src0_sel:BYTE_3 src1_sel:DWORD
	s_mov_b64 s[4:5], 0
                                        ; implicit-def: $sgpr10
	s_and_saveexec_b64 s[8:9], s[6:7]
	s_xor_b64 s[6:7], exec, s[8:9]
	s_cbranch_execnz .LBB32_2909
; %bb.861:
	s_or_saveexec_b64 s[6:7], s[6:7]
	v_mov_b32_e32 v11, s10
	s_xor_b64 exec, exec, s[6:7]
	s_cbranch_execnz .LBB32_2912
.LBB32_862:
	s_or_b64 exec, exec, s[6:7]
	s_and_saveexec_b64 s[6:7], s[4:5]
	s_cbranch_execz .LBB32_864
.LBB32_863:
	v_bfe_u32 v11, v12, 24, 3
	v_ffbh_u32_e32 v20, v11
	v_min_u32_e32 v20, 32, v20
	v_lshrrev_b32_e32 v15, 27, v12
	v_subrev_u32_e32 v21, 28, v20
	v_and_b32_e32 v14, 0x80000000, v12
	v_and_b32_e32 v15, 15, v15
	v_bfe_u32 v16, v12, 27, 4
	v_lshlrev_b32_sdwa v12, v21, v12 dst_sel:DWORD dst_unused:UNUSED_PAD src0_sel:DWORD src1_sel:BYTE_3
	v_sub_u32_e32 v20, 29, v20
	v_and_b32_e32 v12, 7, v12
	v_cmp_eq_u16_e32 vcc, 0, v15
	v_cndmask_b32_e32 v11, v11, v12, vcc
	v_cndmask_b32_e32 v12, v16, v20, vcc
	v_mov_b32_e32 v15, 0x3b800000
	v_lshlrev_b32_e32 v11, 20, v11
	v_lshl_add_u32 v12, v12, 23, v15
	v_or3_b32 v11, v14, v12, v11
.LBB32_864:
	s_or_b64 exec, exec, s[6:7]
	s_nop 0
	v_mfma_f32_16x16x4f32 a[0:3], v10, v11, a[0:3]
	s_movk_i32 s4, 0x7f
	v_cmp_gt_i16_sdwa s[6:7], v17, s4 src0_sel:BYTE_0 src1_sel:DWORD
	s_mov_b64 s[4:5], 0
                                        ; implicit-def: $sgpr10
	s_and_saveexec_b64 s[8:9], s[6:7]
	s_xor_b64 s[6:7], exec, s[8:9]
	s_cbranch_execnz .LBB32_2913
; %bb.865:
	s_or_saveexec_b64 s[6:7], s[6:7]
	v_mov_b32_e32 v10, s10
	s_xor_b64 exec, exec, s[6:7]
	s_cbranch_execnz .LBB32_2916
.LBB32_866:
	s_or_b64 exec, exec, s[6:7]
	s_and_saveexec_b64 s[6:7], s[4:5]
	s_cbranch_execz .LBB32_868
.LBB32_867:
	v_and_b32_e32 v10, 7, v17
	v_ffbh_u32_e32 v12, v10
	v_min_u32_e32 v12, 32, v12
	v_lshrrev_b16_e32 v11, 3, v17
	v_subrev_u32_e32 v14, 28, v12
	v_and_b32_e32 v11, 15, v11
	v_lshlrev_b32_e32 v14, v14, v17
	v_sub_u32_e32 v12, 29, v12
	v_and_b32_e32 v14, 7, v14
	v_cmp_eq_u16_e32 vcc, 0, v11
	v_cndmask_b32_e32 v10, v10, v14, vcc
	v_cndmask_b32_e32 v11, v11, v12, vcc
	v_lshlrev_b32_e32 v12, 24, v17
	v_mov_b32_e32 v14, 0x3b800000
	v_lshlrev_b32_e32 v10, 20, v10
	v_and_b32_e32 v12, 0x80000000, v12
	v_lshl_add_u32 v11, v11, 23, v14
	v_or3_b32 v10, v12, v11, v10
.LBB32_868:
	s_or_b64 exec, exec, s[6:7]
	s_movk_i32 s4, 0x7f
	v_cmp_gt_i16_sdwa s[6:7], v13, s4 src0_sel:BYTE_0 src1_sel:DWORD
	s_mov_b64 s[4:5], 0
                                        ; implicit-def: $sgpr10
	s_and_saveexec_b64 s[8:9], s[6:7]
	s_xor_b64 s[6:7], exec, s[8:9]
	s_cbranch_execnz .LBB32_2917
; %bb.869:
	s_or_saveexec_b64 s[6:7], s[6:7]
	v_mov_b32_e32 v11, s10
	s_xor_b64 exec, exec, s[6:7]
	s_cbranch_execnz .LBB32_2920
.LBB32_870:
	s_or_b64 exec, exec, s[6:7]
	s_and_saveexec_b64 s[6:7], s[4:5]
	s_cbranch_execz .LBB32_872
.LBB32_871:
	v_and_b32_e32 v11, 7, v13
	v_ffbh_u32_e32 v14, v11
	v_min_u32_e32 v14, 32, v14
	v_lshrrev_b16_e32 v12, 3, v13
	v_subrev_u32_e32 v15, 28, v14
	v_and_b32_e32 v12, 15, v12
	v_lshlrev_b32_e32 v15, v15, v13
	v_sub_u32_e32 v14, 29, v14
	v_and_b32_e32 v15, 7, v15
	v_cmp_eq_u16_e32 vcc, 0, v12
	v_cndmask_b32_e32 v11, v11, v15, vcc
	v_cndmask_b32_e32 v12, v12, v14, vcc
	v_lshlrev_b32_e32 v14, 24, v13
	v_mov_b32_e32 v15, 0x3b800000
	v_lshlrev_b32_e32 v11, 20, v11
	v_and_b32_e32 v14, 0x80000000, v14
	v_lshl_add_u32 v12, v12, 23, v15
	v_or3_b32 v11, v14, v12, v11
.LBB32_872:
	s_or_b64 exec, exec, s[6:7]
	s_nop 0
	v_mfma_f32_16x16x4f32 a[0:3], v10, v11, a[0:3]
	v_lshrrev_b32_e32 v11, 8, v17
	s_movk_i32 s4, 0x7f
	v_cmp_gt_i16_sdwa s[6:7], v11, s4 src0_sel:BYTE_0 src1_sel:DWORD
	s_mov_b64 s[4:5], 0
                                        ; implicit-def: $sgpr10
	s_and_saveexec_b64 s[8:9], s[6:7]
	s_xor_b64 s[6:7], exec, s[8:9]
	s_cbranch_execnz .LBB32_2921
; %bb.873:
	s_or_saveexec_b64 s[6:7], s[6:7]
	v_mov_b32_e32 v10, s10
	s_xor_b64 exec, exec, s[6:7]
	s_cbranch_execnz .LBB32_2924
.LBB32_874:
	s_or_b64 exec, exec, s[6:7]
	s_and_saveexec_b64 s[6:7], s[4:5]
	s_cbranch_execz .LBB32_876
.LBB32_875:
	v_bfe_u32 v10, v17, 8, 3
	v_ffbh_u32_e32 v14, v10
	v_min_u32_e32 v14, 32, v14
	v_lshrrev_b16_e32 v12, 3, v11
	v_subrev_u32_e32 v15, 28, v14
	v_and_b32_e32 v12, 15, v12
	v_lshlrev_b32_e32 v11, v15, v11
	v_sub_u32_e32 v14, 29, v14
	v_and_b32_e32 v11, 7, v11
	v_cmp_eq_u16_e32 vcc, 0, v12
	v_cndmask_b32_e32 v10, v10, v11, vcc
	v_cndmask_b32_e32 v11, v12, v14, vcc
	v_lshlrev_b32_e32 v12, 16, v17
	v_mov_b32_e32 v14, 0x3b800000
	v_lshlrev_b32_e32 v10, 20, v10
	v_and_b32_e32 v12, 0x80000000, v12
	v_lshl_add_u32 v11, v11, 23, v14
	v_or3_b32 v10, v12, v11, v10
.LBB32_876:
	s_or_b64 exec, exec, s[6:7]
	v_lshrrev_b32_e32 v11, 8, v13
	s_movk_i32 s4, 0x7f
	v_cmp_gt_i16_sdwa s[6:7], v11, s4 src0_sel:BYTE_0 src1_sel:DWORD
	s_mov_b64 s[4:5], 0
                                        ; implicit-def: $sgpr10
	s_and_saveexec_b64 s[8:9], s[6:7]
	s_xor_b64 s[6:7], exec, s[8:9]
	s_cbranch_execnz .LBB32_2925
; %bb.877:
	s_or_saveexec_b64 s[6:7], s[6:7]
	v_mov_b32_e32 v12, s10
	s_xor_b64 exec, exec, s[6:7]
	s_cbranch_execnz .LBB32_2928
.LBB32_878:
	s_or_b64 exec, exec, s[6:7]
	s_and_saveexec_b64 s[6:7], s[4:5]
	s_cbranch_execz .LBB32_880
.LBB32_879:
	v_bfe_u32 v12, v13, 8, 3
	v_ffbh_u32_e32 v15, v12
	v_min_u32_e32 v15, 32, v15
	v_lshrrev_b16_e32 v14, 3, v11
	v_subrev_u32_e32 v16, 28, v15
	v_and_b32_e32 v14, 15, v14
	v_lshlrev_b32_e32 v11, v16, v11
	v_sub_u32_e32 v15, 29, v15
	v_and_b32_e32 v11, 7, v11
	v_cmp_eq_u16_e32 vcc, 0, v14
	v_cndmask_b32_e32 v11, v12, v11, vcc
	v_cndmask_b32_e32 v12, v14, v15, vcc
	v_lshlrev_b32_e32 v14, 16, v13
	v_mov_b32_e32 v15, 0x3b800000
	v_lshlrev_b32_e32 v11, 20, v11
	v_and_b32_e32 v14, 0x80000000, v14
	v_lshl_add_u32 v12, v12, 23, v15
	v_or3_b32 v12, v14, v12, v11
.LBB32_880:
	s_or_b64 exec, exec, s[6:7]
	s_nop 0
	v_mfma_f32_16x16x4f32 a[0:3], v10, v12, a[0:3]
	s_movk_i32 s4, 0xff
	v_and_b32_sdwa v11, v17, s4 dst_sel:DWORD dst_unused:UNUSED_PAD src0_sel:WORD_1 src1_sel:DWORD
	s_movk_i32 s4, 0x7f
	v_cmp_lt_i16_e32 vcc, s4, v11
	s_mov_b64 s[4:5], 0
                                        ; implicit-def: $sgpr10
	s_and_saveexec_b64 s[6:7], vcc
	s_xor_b64 s[6:7], exec, s[6:7]
	s_cbranch_execnz .LBB32_2929
; %bb.881:
	s_or_saveexec_b64 s[6:7], s[6:7]
	v_mov_b32_e32 v10, s10
	s_xor_b64 exec, exec, s[6:7]
	s_cbranch_execnz .LBB32_2932
.LBB32_882:
	s_or_b64 exec, exec, s[6:7]
	s_and_saveexec_b64 s[6:7], s[4:5]
	s_cbranch_execz .LBB32_884
.LBB32_883:
	v_bfe_u32 v10, v17, 16, 3
	v_ffbh_u32_e32 v14, v10
	v_min_u32_e32 v14, 32, v14
	v_lshrrev_b32_e32 v11, 19, v17
	v_subrev_u32_e32 v15, 28, v14
	v_and_b32_e32 v11, 15, v11
	v_lshlrev_b32_sdwa v15, v15, v17 dst_sel:DWORD dst_unused:UNUSED_PAD src0_sel:DWORD src1_sel:WORD_1
	v_bfe_u32 v12, v17, 19, 4
	v_sub_u32_e32 v14, 29, v14
	v_and_b32_e32 v15, 7, v15
	v_cmp_eq_u16_e32 vcc, 0, v11
	v_cndmask_b32_e32 v10, v10, v15, vcc
	v_cndmask_b32_e32 v11, v12, v14, vcc
	v_lshlrev_b32_e32 v12, 8, v17
	v_mov_b32_e32 v14, 0x3b800000
	v_lshlrev_b32_e32 v10, 20, v10
	v_and_b32_e32 v12, 0x80000000, v12
	v_lshl_add_u32 v11, v11, 23, v14
	v_or3_b32 v10, v12, v11, v10
.LBB32_884:
	s_or_b64 exec, exec, s[6:7]
	s_movk_i32 s4, 0xff
	v_and_b32_sdwa v11, v13, s4 dst_sel:DWORD dst_unused:UNUSED_PAD src0_sel:WORD_1 src1_sel:DWORD
	s_movk_i32 s4, 0x7f
	v_cmp_lt_i16_e32 vcc, s4, v11
	s_mov_b64 s[4:5], 0
                                        ; implicit-def: $sgpr10
	s_and_saveexec_b64 s[6:7], vcc
	s_xor_b64 s[6:7], exec, s[6:7]
	s_cbranch_execnz .LBB32_2933
; %bb.885:
	s_or_saveexec_b64 s[6:7], s[6:7]
	v_mov_b32_e32 v12, s10
	s_xor_b64 exec, exec, s[6:7]
	s_cbranch_execnz .LBB32_2936
.LBB32_886:
	s_or_b64 exec, exec, s[6:7]
	s_and_saveexec_b64 s[6:7], s[4:5]
	s_cbranch_execz .LBB32_888
.LBB32_887:
	v_bfe_u32 v11, v13, 16, 3
	v_ffbh_u32_e32 v15, v11
	v_min_u32_e32 v15, 32, v15
	v_lshrrev_b32_e32 v12, 19, v13
	v_subrev_u32_e32 v16, 28, v15
	v_and_b32_e32 v12, 15, v12
	v_lshlrev_b32_sdwa v16, v16, v13 dst_sel:DWORD dst_unused:UNUSED_PAD src0_sel:DWORD src1_sel:WORD_1
	v_bfe_u32 v14, v13, 19, 4
	v_sub_u32_e32 v15, 29, v15
	v_and_b32_e32 v16, 7, v16
	v_cmp_eq_u16_e32 vcc, 0, v12
	v_cndmask_b32_e32 v11, v11, v16, vcc
	v_cndmask_b32_e32 v12, v14, v15, vcc
	v_lshlrev_b32_e32 v14, 8, v13
	v_mov_b32_e32 v15, 0x3b800000
	v_lshlrev_b32_e32 v11, 20, v11
	v_and_b32_e32 v14, 0x80000000, v14
	v_lshl_add_u32 v12, v12, 23, v15
	v_or3_b32 v12, v14, v12, v11
.LBB32_888:
	s_or_b64 exec, exec, s[6:7]
	s_nop 0
	v_mfma_f32_16x16x4f32 a[0:3], v10, v12, a[0:3]
	s_movk_i32 s4, 0x7f
	v_cmp_gt_i16_sdwa s[6:7], v17, s4 src0_sel:BYTE_3 src1_sel:DWORD
	s_mov_b64 s[4:5], 0
                                        ; implicit-def: $sgpr10
	s_and_saveexec_b64 s[8:9], s[6:7]
	s_xor_b64 s[6:7], exec, s[8:9]
	s_cbranch_execnz .LBB32_2937
; %bb.889:
	s_or_saveexec_b64 s[6:7], s[6:7]
	v_mov_b32_e32 v10, s10
	s_xor_b64 exec, exec, s[6:7]
	s_cbranch_execnz .LBB32_2940
.LBB32_890:
	s_or_b64 exec, exec, s[6:7]
	s_and_saveexec_b64 s[6:7], s[4:5]
	s_cbranch_execz .LBB32_892
.LBB32_891:
	v_bfe_u32 v10, v17, 24, 3
	v_ffbh_u32_e32 v15, v10
	v_min_u32_e32 v15, 32, v15
	v_lshrrev_b32_e32 v12, 27, v17
	v_subrev_u32_e32 v16, 28, v15
	v_and_b32_e32 v12, 15, v12
	v_lshlrev_b32_sdwa v16, v16, v17 dst_sel:DWORD dst_unused:UNUSED_PAD src0_sel:DWORD src1_sel:BYTE_3
	v_bfe_u32 v14, v17, 27, 4
	v_sub_u32_e32 v15, 29, v15
	v_and_b32_e32 v16, 7, v16
	v_cmp_eq_u16_e32 vcc, 0, v12
	v_cndmask_b32_e32 v10, v10, v16, vcc
	v_cndmask_b32_e32 v12, v14, v15, vcc
	v_mov_b32_e32 v14, 0x3b800000
	v_and_b32_e32 v11, 0x80000000, v17
	v_lshlrev_b32_e32 v10, 20, v10
	v_lshl_add_u32 v12, v12, 23, v14
	v_or3_b32 v10, v11, v12, v10
.LBB32_892:
	s_or_b64 exec, exec, s[6:7]
	s_movk_i32 s4, 0x7f
	v_cmp_gt_i16_sdwa s[6:7], v13, s4 src0_sel:BYTE_3 src1_sel:DWORD
	s_mov_b64 s[4:5], 0
                                        ; implicit-def: $sgpr10
	s_and_saveexec_b64 s[8:9], s[6:7]
	s_xor_b64 s[6:7], exec, s[8:9]
	s_cbranch_execnz .LBB32_2941
; %bb.893:
	s_or_saveexec_b64 s[6:7], s[6:7]
	v_mov_b32_e32 v11, s10
	s_xor_b64 exec, exec, s[6:7]
	s_cbranch_execnz .LBB32_2944
.LBB32_894:
	s_or_b64 exec, exec, s[6:7]
	s_and_saveexec_b64 s[6:7], s[4:5]
	s_cbranch_execz .LBB32_896
.LBB32_895:
	v_bfe_u32 v11, v13, 24, 3
	v_ffbh_u32_e32 v16, v11
	v_min_u32_e32 v16, 32, v16
	v_lshrrev_b32_e32 v14, 27, v13
	v_subrev_u32_e32 v17, 28, v16
	v_and_b32_e32 v12, 0x80000000, v13
	v_and_b32_e32 v14, 15, v14
	v_bfe_u32 v15, v13, 27, 4
	v_lshlrev_b32_sdwa v13, v17, v13 dst_sel:DWORD dst_unused:UNUSED_PAD src0_sel:DWORD src1_sel:BYTE_3
	v_sub_u32_e32 v16, 29, v16
	v_and_b32_e32 v13, 7, v13
	v_cmp_eq_u16_e32 vcc, 0, v14
	v_cndmask_b32_e32 v11, v11, v13, vcc
	v_cndmask_b32_e32 v13, v15, v16, vcc
	v_mov_b32_e32 v14, 0x3b800000
	v_lshlrev_b32_e32 v11, 20, v11
	v_lshl_add_u32 v13, v13, 23, v14
	v_or3_b32 v11, v12, v13, v11
.LBB32_896:
	s_or_b64 exec, exec, s[6:7]
	s_nop 0
	v_mfma_f32_16x16x4f32 a[0:3], v10, v11, a[0:3]
	s_movk_i32 s4, 0x7f
	v_cmp_gt_i16_sdwa s[6:7], v6, s4 src0_sel:BYTE_0 src1_sel:DWORD
	s_mov_b64 s[4:5], 0
                                        ; implicit-def: $sgpr10
	s_and_saveexec_b64 s[8:9], s[6:7]
	s_xor_b64 s[6:7], exec, s[8:9]
	s_cbranch_execnz .LBB32_2945
; %bb.897:
	s_or_saveexec_b64 s[6:7], s[6:7]
	v_mov_b32_e32 v10, s10
	s_xor_b64 exec, exec, s[6:7]
	s_cbranch_execnz .LBB32_2948
.LBB32_898:
	s_or_b64 exec, exec, s[6:7]
	s_and_saveexec_b64 s[6:7], s[4:5]
	s_cbranch_execz .LBB32_900
.LBB32_899:
	v_and_b32_e32 v10, 7, v6
	v_ffbh_u32_e32 v12, v10
	v_min_u32_e32 v12, 32, v12
	v_lshrrev_b16_e32 v11, 3, v6
	v_subrev_u32_e32 v13, 28, v12
	v_and_b32_e32 v11, 15, v11
	v_lshlrev_b32_e32 v13, v13, v6
	v_sub_u32_e32 v12, 29, v12
	v_and_b32_e32 v13, 7, v13
	v_cmp_eq_u16_e32 vcc, 0, v11
	v_cndmask_b32_e32 v10, v10, v13, vcc
	v_cndmask_b32_e32 v11, v11, v12, vcc
	v_lshlrev_b32_e32 v12, 24, v6
	v_mov_b32_e32 v13, 0x3b800000
	v_lshlrev_b32_e32 v10, 20, v10
	v_and_b32_e32 v12, 0x80000000, v12
	v_lshl_add_u32 v11, v11, 23, v13
	v_or3_b32 v10, v12, v11, v10
.LBB32_900:
	s_or_b64 exec, exec, s[6:7]
	s_movk_i32 s4, 0x7f
	v_cmp_gt_i16_sdwa s[6:7], v2, s4 src0_sel:BYTE_0 src1_sel:DWORD
	s_mov_b64 s[4:5], 0
                                        ; implicit-def: $sgpr10
	s_and_saveexec_b64 s[8:9], s[6:7]
	s_xor_b64 s[6:7], exec, s[8:9]
	s_cbranch_execnz .LBB32_2949
; %bb.901:
	s_or_saveexec_b64 s[6:7], s[6:7]
	v_mov_b32_e32 v11, s10
	s_xor_b64 exec, exec, s[6:7]
	s_cbranch_execnz .LBB32_2952
.LBB32_902:
	s_or_b64 exec, exec, s[6:7]
	s_and_saveexec_b64 s[6:7], s[4:5]
	s_cbranch_execz .LBB32_904
.LBB32_903:
	v_and_b32_e32 v11, 7, v2
	v_ffbh_u32_e32 v13, v11
	v_min_u32_e32 v13, 32, v13
	v_lshrrev_b16_e32 v12, 3, v2
	v_subrev_u32_e32 v14, 28, v13
	v_and_b32_e32 v12, 15, v12
	v_lshlrev_b32_e32 v14, v14, v2
	v_sub_u32_e32 v13, 29, v13
	v_and_b32_e32 v14, 7, v14
	v_cmp_eq_u16_e32 vcc, 0, v12
	v_cndmask_b32_e32 v11, v11, v14, vcc
	v_cndmask_b32_e32 v12, v12, v13, vcc
	v_lshlrev_b32_e32 v13, 24, v2
	v_mov_b32_e32 v14, 0x3b800000
	v_lshlrev_b32_e32 v11, 20, v11
	v_and_b32_e32 v13, 0x80000000, v13
	v_lshl_add_u32 v12, v12, 23, v14
	v_or3_b32 v11, v13, v12, v11
.LBB32_904:
	s_or_b64 exec, exec, s[6:7]
	s_nop 0
	v_mfma_f32_16x16x4f32 a[0:3], v10, v11, a[0:3]
	v_lshrrev_b32_e32 v11, 8, v6
	s_movk_i32 s4, 0x7f
	v_cmp_gt_i16_sdwa s[6:7], v11, s4 src0_sel:BYTE_0 src1_sel:DWORD
	s_mov_b64 s[4:5], 0
                                        ; implicit-def: $sgpr10
	s_and_saveexec_b64 s[8:9], s[6:7]
	s_xor_b64 s[6:7], exec, s[8:9]
	s_cbranch_execnz .LBB32_2953
; %bb.905:
	s_or_saveexec_b64 s[6:7], s[6:7]
	v_mov_b32_e32 v10, s10
	s_xor_b64 exec, exec, s[6:7]
	s_cbranch_execnz .LBB32_2956
.LBB32_906:
	s_or_b64 exec, exec, s[6:7]
	s_and_saveexec_b64 s[6:7], s[4:5]
	s_cbranch_execz .LBB32_908
.LBB32_907:
	v_bfe_u32 v10, v6, 8, 3
	v_ffbh_u32_e32 v13, v10
	v_min_u32_e32 v13, 32, v13
	v_lshrrev_b16_e32 v12, 3, v11
	v_subrev_u32_e32 v14, 28, v13
	v_and_b32_e32 v12, 15, v12
	v_lshlrev_b32_e32 v11, v14, v11
	v_sub_u32_e32 v13, 29, v13
	v_and_b32_e32 v11, 7, v11
	v_cmp_eq_u16_e32 vcc, 0, v12
	v_cndmask_b32_e32 v10, v10, v11, vcc
	v_cndmask_b32_e32 v11, v12, v13, vcc
	v_lshlrev_b32_e32 v12, 16, v6
	v_mov_b32_e32 v13, 0x3b800000
	v_lshlrev_b32_e32 v10, 20, v10
	v_and_b32_e32 v12, 0x80000000, v12
	v_lshl_add_u32 v11, v11, 23, v13
	v_or3_b32 v10, v12, v11, v10
.LBB32_908:
	s_or_b64 exec, exec, s[6:7]
	v_lshrrev_b32_e32 v11, 8, v2
	s_movk_i32 s4, 0x7f
	v_cmp_gt_i16_sdwa s[6:7], v11, s4 src0_sel:BYTE_0 src1_sel:DWORD
	s_mov_b64 s[4:5], 0
                                        ; implicit-def: $sgpr10
	s_and_saveexec_b64 s[8:9], s[6:7]
	s_xor_b64 s[6:7], exec, s[8:9]
	s_cbranch_execnz .LBB32_2957
; %bb.909:
	s_or_saveexec_b64 s[6:7], s[6:7]
	v_mov_b32_e32 v12, s10
	s_xor_b64 exec, exec, s[6:7]
	s_cbranch_execnz .LBB32_2960
.LBB32_910:
	s_or_b64 exec, exec, s[6:7]
	s_and_saveexec_b64 s[6:7], s[4:5]
	s_cbranch_execz .LBB32_912
.LBB32_911:
	v_bfe_u32 v12, v2, 8, 3
	v_ffbh_u32_e32 v14, v12
	v_min_u32_e32 v14, 32, v14
	v_lshrrev_b16_e32 v13, 3, v11
	v_subrev_u32_e32 v15, 28, v14
	v_and_b32_e32 v13, 15, v13
	v_lshlrev_b32_e32 v11, v15, v11
	v_sub_u32_e32 v14, 29, v14
	v_and_b32_e32 v11, 7, v11
	v_cmp_eq_u16_e32 vcc, 0, v13
	v_cndmask_b32_e32 v11, v12, v11, vcc
	v_cndmask_b32_e32 v12, v13, v14, vcc
	v_lshlrev_b32_e32 v13, 16, v2
	v_mov_b32_e32 v14, 0x3b800000
	v_lshlrev_b32_e32 v11, 20, v11
	v_and_b32_e32 v13, 0x80000000, v13
	v_lshl_add_u32 v12, v12, 23, v14
	v_or3_b32 v12, v13, v12, v11
.LBB32_912:
	s_or_b64 exec, exec, s[6:7]
	s_nop 0
	v_mfma_f32_16x16x4f32 a[0:3], v10, v12, a[0:3]
	s_movk_i32 s4, 0xff
	v_and_b32_sdwa v11, v6, s4 dst_sel:DWORD dst_unused:UNUSED_PAD src0_sel:WORD_1 src1_sel:DWORD
	s_movk_i32 s4, 0x7f
	v_cmp_lt_i16_e32 vcc, s4, v11
	s_mov_b64 s[4:5], 0
                                        ; implicit-def: $sgpr10
	s_and_saveexec_b64 s[6:7], vcc
	s_xor_b64 s[6:7], exec, s[6:7]
	s_cbranch_execnz .LBB32_2961
; %bb.913:
	s_or_saveexec_b64 s[6:7], s[6:7]
	v_mov_b32_e32 v10, s10
	s_xor_b64 exec, exec, s[6:7]
	s_cbranch_execnz .LBB32_2964
.LBB32_914:
	s_or_b64 exec, exec, s[6:7]
	s_and_saveexec_b64 s[6:7], s[4:5]
	s_cbranch_execz .LBB32_916
.LBB32_915:
	v_bfe_u32 v10, v6, 16, 3
	v_ffbh_u32_e32 v13, v10
	v_min_u32_e32 v13, 32, v13
	v_lshrrev_b32_e32 v11, 19, v6
	v_subrev_u32_e32 v14, 28, v13
	v_and_b32_e32 v11, 15, v11
	v_lshlrev_b32_sdwa v14, v14, v6 dst_sel:DWORD dst_unused:UNUSED_PAD src0_sel:DWORD src1_sel:WORD_1
	v_bfe_u32 v12, v6, 19, 4
	v_sub_u32_e32 v13, 29, v13
	v_and_b32_e32 v14, 7, v14
	v_cmp_eq_u16_e32 vcc, 0, v11
	v_cndmask_b32_e32 v10, v10, v14, vcc
	v_cndmask_b32_e32 v11, v12, v13, vcc
	v_lshlrev_b32_e32 v12, 8, v6
	v_mov_b32_e32 v13, 0x3b800000
	v_lshlrev_b32_e32 v10, 20, v10
	v_and_b32_e32 v12, 0x80000000, v12
	v_lshl_add_u32 v11, v11, 23, v13
	v_or3_b32 v10, v12, v11, v10
.LBB32_916:
	s_or_b64 exec, exec, s[6:7]
	s_movk_i32 s4, 0xff
	v_and_b32_sdwa v11, v2, s4 dst_sel:DWORD dst_unused:UNUSED_PAD src0_sel:WORD_1 src1_sel:DWORD
	s_movk_i32 s4, 0x7f
	v_cmp_lt_i16_e32 vcc, s4, v11
	s_mov_b64 s[4:5], 0
                                        ; implicit-def: $sgpr10
	s_and_saveexec_b64 s[6:7], vcc
	s_xor_b64 s[6:7], exec, s[6:7]
	s_cbranch_execnz .LBB32_2965
; %bb.917:
	s_or_saveexec_b64 s[6:7], s[6:7]
	v_mov_b32_e32 v12, s10
	s_xor_b64 exec, exec, s[6:7]
	s_cbranch_execnz .LBB32_2968
.LBB32_918:
	s_or_b64 exec, exec, s[6:7]
	s_and_saveexec_b64 s[6:7], s[4:5]
	s_cbranch_execz .LBB32_920
.LBB32_919:
	v_bfe_u32 v11, v2, 16, 3
	v_ffbh_u32_e32 v14, v11
	v_min_u32_e32 v14, 32, v14
	v_lshrrev_b32_e32 v12, 19, v2
	v_subrev_u32_e32 v15, 28, v14
	v_and_b32_e32 v12, 15, v12
	v_lshlrev_b32_sdwa v15, v15, v2 dst_sel:DWORD dst_unused:UNUSED_PAD src0_sel:DWORD src1_sel:WORD_1
	v_bfe_u32 v13, v2, 19, 4
	v_sub_u32_e32 v14, 29, v14
	v_and_b32_e32 v15, 7, v15
	v_cmp_eq_u16_e32 vcc, 0, v12
	v_cndmask_b32_e32 v11, v11, v15, vcc
	v_cndmask_b32_e32 v12, v13, v14, vcc
	v_lshlrev_b32_e32 v13, 8, v2
	v_mov_b32_e32 v14, 0x3b800000
	v_lshlrev_b32_e32 v11, 20, v11
	v_and_b32_e32 v13, 0x80000000, v13
	v_lshl_add_u32 v12, v12, 23, v14
	v_or3_b32 v12, v13, v12, v11
.LBB32_920:
	s_or_b64 exec, exec, s[6:7]
	s_nop 0
	v_mfma_f32_16x16x4f32 a[0:3], v10, v12, a[0:3]
	s_movk_i32 s4, 0x7f
	v_cmp_gt_i16_sdwa s[6:7], v6, s4 src0_sel:BYTE_3 src1_sel:DWORD
	s_mov_b64 s[4:5], 0
                                        ; implicit-def: $sgpr10
	s_and_saveexec_b64 s[8:9], s[6:7]
	s_xor_b64 s[6:7], exec, s[8:9]
	s_cbranch_execnz .LBB32_2969
; %bb.921:
	s_or_saveexec_b64 s[6:7], s[6:7]
	v_mov_b32_e32 v10, s10
	s_xor_b64 exec, exec, s[6:7]
	s_cbranch_execnz .LBB32_2972
.LBB32_922:
	s_or_b64 exec, exec, s[6:7]
	s_and_saveexec_b64 s[6:7], s[4:5]
	s_cbranch_execz .LBB32_924
.LBB32_923:
	v_bfe_u32 v10, v6, 24, 3
	v_ffbh_u32_e32 v14, v10
	v_min_u32_e32 v14, 32, v14
	v_lshrrev_b32_e32 v12, 27, v6
	v_subrev_u32_e32 v15, 28, v14
	v_and_b32_e32 v11, 0x80000000, v6
	v_and_b32_e32 v12, 15, v12
	v_bfe_u32 v13, v6, 27, 4
	v_lshlrev_b32_sdwa v6, v15, v6 dst_sel:DWORD dst_unused:UNUSED_PAD src0_sel:DWORD src1_sel:BYTE_3
	v_sub_u32_e32 v14, 29, v14
	v_and_b32_e32 v6, 7, v6
	v_cmp_eq_u16_e32 vcc, 0, v12
	v_cndmask_b32_e32 v6, v10, v6, vcc
	v_cndmask_b32_e32 v10, v13, v14, vcc
	v_mov_b32_e32 v12, 0x3b800000
	v_lshlrev_b32_e32 v6, 20, v6
	v_lshl_add_u32 v10, v10, 23, v12
	v_or3_b32 v10, v11, v10, v6
.LBB32_924:
	s_or_b64 exec, exec, s[6:7]
	s_movk_i32 s4, 0x7f
	v_cmp_gt_i16_sdwa s[6:7], v2, s4 src0_sel:BYTE_3 src1_sel:DWORD
	s_mov_b64 s[4:5], 0
                                        ; implicit-def: $sgpr10
	s_and_saveexec_b64 s[8:9], s[6:7]
	s_xor_b64 s[6:7], exec, s[8:9]
	s_cbranch_execnz .LBB32_2973
; %bb.925:
	s_or_saveexec_b64 s[6:7], s[6:7]
	v_mov_b32_e32 v6, s10
	s_xor_b64 exec, exec, s[6:7]
	s_cbranch_execnz .LBB32_2976
.LBB32_926:
	s_or_b64 exec, exec, s[6:7]
	s_and_saveexec_b64 s[6:7], s[4:5]
	s_cbranch_execz .LBB32_928
.LBB32_927:
	v_bfe_u32 v6, v2, 24, 3
	v_ffbh_u32_e32 v14, v6
	v_min_u32_e32 v14, 32, v14
	v_lshrrev_b32_e32 v12, 27, v2
	v_subrev_u32_e32 v15, 28, v14
	v_and_b32_e32 v11, 0x80000000, v2
	v_and_b32_e32 v12, 15, v12
	v_bfe_u32 v13, v2, 27, 4
	v_lshlrev_b32_sdwa v2, v15, v2 dst_sel:DWORD dst_unused:UNUSED_PAD src0_sel:DWORD src1_sel:BYTE_3
	v_sub_u32_e32 v14, 29, v14
	v_and_b32_e32 v2, 7, v2
	v_cmp_eq_u16_e32 vcc, 0, v12
	v_cndmask_b32_e32 v2, v6, v2, vcc
	v_cndmask_b32_e32 v6, v13, v14, vcc
	v_mov_b32_e32 v12, 0x3b800000
	v_lshlrev_b32_e32 v2, 20, v2
	v_lshl_add_u32 v6, v6, 23, v12
	v_or3_b32 v6, v11, v6, v2
.LBB32_928:
	s_or_b64 exec, exec, s[6:7]
	s_nop 0
	v_mfma_f32_16x16x4f32 a[0:3], v10, v6, a[0:3]
	s_movk_i32 s4, 0x7f
	v_cmp_gt_i16_sdwa s[6:7], v7, s4 src0_sel:BYTE_0 src1_sel:DWORD
	s_mov_b64 s[4:5], 0
                                        ; implicit-def: $sgpr10
	s_and_saveexec_b64 s[8:9], s[6:7]
	s_xor_b64 s[6:7], exec, s[8:9]
	s_cbranch_execnz .LBB32_2977
; %bb.929:
	s_or_saveexec_b64 s[6:7], s[6:7]
	v_mov_b32_e32 v2, s10
	s_xor_b64 exec, exec, s[6:7]
	s_cbranch_execnz .LBB32_2980
.LBB32_930:
	s_or_b64 exec, exec, s[6:7]
	s_and_saveexec_b64 s[6:7], s[4:5]
	s_cbranch_execz .LBB32_932
.LBB32_931:
	v_and_b32_e32 v2, 7, v7
	v_ffbh_u32_e32 v10, v2
	v_min_u32_e32 v10, 32, v10
	v_lshrrev_b16_e32 v6, 3, v7
	v_subrev_u32_e32 v11, 28, v10
	v_and_b32_e32 v6, 15, v6
	v_lshlrev_b32_e32 v11, v11, v7
	v_sub_u32_e32 v10, 29, v10
	v_and_b32_e32 v11, 7, v11
	v_cmp_eq_u16_e32 vcc, 0, v6
	v_cndmask_b32_e32 v2, v2, v11, vcc
	v_cndmask_b32_e32 v6, v6, v10, vcc
	v_lshlrev_b32_e32 v10, 24, v7
	v_mov_b32_e32 v11, 0x3b800000
	v_lshlrev_b32_e32 v2, 20, v2
	v_and_b32_e32 v10, 0x80000000, v10
	v_lshl_add_u32 v6, v6, 23, v11
	v_or3_b32 v2, v10, v6, v2
.LBB32_932:
	s_or_b64 exec, exec, s[6:7]
	s_movk_i32 s4, 0x7f
	v_cmp_gt_i16_sdwa s[6:7], v3, s4 src0_sel:BYTE_0 src1_sel:DWORD
	s_mov_b64 s[4:5], 0
                                        ; implicit-def: $sgpr10
	s_and_saveexec_b64 s[8:9], s[6:7]
	s_xor_b64 s[6:7], exec, s[8:9]
	s_cbranch_execnz .LBB32_2981
; %bb.933:
	s_or_saveexec_b64 s[6:7], s[6:7]
	v_mov_b32_e32 v6, s10
	s_xor_b64 exec, exec, s[6:7]
	s_cbranch_execnz .LBB32_2984
.LBB32_934:
	s_or_b64 exec, exec, s[6:7]
	s_and_saveexec_b64 s[6:7], s[4:5]
	s_cbranch_execz .LBB32_936
.LBB32_935:
	v_and_b32_e32 v6, 7, v3
	v_ffbh_u32_e32 v11, v6
	v_min_u32_e32 v11, 32, v11
	v_lshrrev_b16_e32 v10, 3, v3
	v_subrev_u32_e32 v12, 28, v11
	v_and_b32_e32 v10, 15, v10
	v_lshlrev_b32_e32 v12, v12, v3
	v_sub_u32_e32 v11, 29, v11
	v_and_b32_e32 v12, 7, v12
	v_cmp_eq_u16_e32 vcc, 0, v10
	v_cndmask_b32_e32 v6, v6, v12, vcc
	v_cndmask_b32_e32 v10, v10, v11, vcc
	v_lshlrev_b32_e32 v11, 24, v3
	v_mov_b32_e32 v12, 0x3b800000
	v_lshlrev_b32_e32 v6, 20, v6
	v_and_b32_e32 v11, 0x80000000, v11
	v_lshl_add_u32 v10, v10, 23, v12
	v_or3_b32 v6, v11, v10, v6
.LBB32_936:
	s_or_b64 exec, exec, s[6:7]
	s_nop 0
	v_mfma_f32_16x16x4f32 a[0:3], v2, v6, a[0:3]
	v_lshrrev_b32_e32 v6, 8, v7
	s_movk_i32 s4, 0x7f
	v_cmp_gt_i16_sdwa s[6:7], v6, s4 src0_sel:BYTE_0 src1_sel:DWORD
	s_mov_b64 s[4:5], 0
                                        ; implicit-def: $sgpr10
	s_and_saveexec_b64 s[8:9], s[6:7]
	s_xor_b64 s[6:7], exec, s[8:9]
	s_cbranch_execnz .LBB32_2985
; %bb.937:
	s_or_saveexec_b64 s[6:7], s[6:7]
	v_mov_b32_e32 v2, s10
	s_xor_b64 exec, exec, s[6:7]
	s_cbranch_execnz .LBB32_2988
.LBB32_938:
	s_or_b64 exec, exec, s[6:7]
	s_and_saveexec_b64 s[6:7], s[4:5]
	s_cbranch_execz .LBB32_940
.LBB32_939:
	v_bfe_u32 v2, v7, 8, 3
	v_ffbh_u32_e32 v11, v2
	v_min_u32_e32 v11, 32, v11
	v_lshrrev_b16_e32 v10, 3, v6
	v_subrev_u32_e32 v12, 28, v11
	v_and_b32_e32 v10, 15, v10
	v_lshlrev_b32_e32 v6, v12, v6
	v_sub_u32_e32 v11, 29, v11
	v_and_b32_e32 v6, 7, v6
	v_cmp_eq_u16_e32 vcc, 0, v10
	v_cndmask_b32_e32 v2, v2, v6, vcc
	v_cndmask_b32_e32 v6, v10, v11, vcc
	v_lshlrev_b32_e32 v10, 16, v7
	v_mov_b32_e32 v11, 0x3b800000
	v_lshlrev_b32_e32 v2, 20, v2
	v_and_b32_e32 v10, 0x80000000, v10
	v_lshl_add_u32 v6, v6, 23, v11
	v_or3_b32 v2, v10, v6, v2
.LBB32_940:
	s_or_b64 exec, exec, s[6:7]
	v_lshrrev_b32_e32 v6, 8, v3
	s_movk_i32 s4, 0x7f
	v_cmp_gt_i16_sdwa s[6:7], v6, s4 src0_sel:BYTE_0 src1_sel:DWORD
	s_mov_b64 s[4:5], 0
                                        ; implicit-def: $sgpr10
	s_and_saveexec_b64 s[8:9], s[6:7]
	s_xor_b64 s[6:7], exec, s[8:9]
	s_cbranch_execnz .LBB32_2989
; %bb.941:
	s_or_saveexec_b64 s[6:7], s[6:7]
	v_mov_b32_e32 v10, s10
	s_xor_b64 exec, exec, s[6:7]
	s_cbranch_execnz .LBB32_2992
.LBB32_942:
	s_or_b64 exec, exec, s[6:7]
	s_and_saveexec_b64 s[6:7], s[4:5]
	s_cbranch_execz .LBB32_944
.LBB32_943:
	v_bfe_u32 v10, v3, 8, 3
	v_ffbh_u32_e32 v12, v10
	v_min_u32_e32 v12, 32, v12
	v_lshrrev_b16_e32 v11, 3, v6
	v_subrev_u32_e32 v13, 28, v12
	v_and_b32_e32 v11, 15, v11
	v_lshlrev_b32_e32 v6, v13, v6
	v_sub_u32_e32 v12, 29, v12
	v_and_b32_e32 v6, 7, v6
	v_cmp_eq_u16_e32 vcc, 0, v11
	v_cndmask_b32_e32 v6, v10, v6, vcc
	v_cndmask_b32_e32 v10, v11, v12, vcc
	v_lshlrev_b32_e32 v11, 16, v3
	v_mov_b32_e32 v12, 0x3b800000
	v_lshlrev_b32_e32 v6, 20, v6
	v_and_b32_e32 v11, 0x80000000, v11
	v_lshl_add_u32 v10, v10, 23, v12
	v_or3_b32 v10, v11, v10, v6
.LBB32_944:
	s_or_b64 exec, exec, s[6:7]
	s_nop 0
	v_mfma_f32_16x16x4f32 a[0:3], v2, v10, a[0:3]
	s_movk_i32 s4, 0xff
	v_and_b32_sdwa v6, v7, s4 dst_sel:DWORD dst_unused:UNUSED_PAD src0_sel:WORD_1 src1_sel:DWORD
	s_movk_i32 s4, 0x7f
	v_cmp_lt_i16_e32 vcc, s4, v6
	s_mov_b64 s[4:5], 0
                                        ; implicit-def: $sgpr10
	s_and_saveexec_b64 s[6:7], vcc
	s_xor_b64 s[6:7], exec, s[6:7]
	s_cbranch_execnz .LBB32_2993
; %bb.945:
	s_or_saveexec_b64 s[6:7], s[6:7]
	v_mov_b32_e32 v2, s10
	s_xor_b64 exec, exec, s[6:7]
	s_cbranch_execnz .LBB32_2996
.LBB32_946:
	s_or_b64 exec, exec, s[6:7]
	s_and_saveexec_b64 s[6:7], s[4:5]
	s_cbranch_execz .LBB32_948
.LBB32_947:
	v_bfe_u32 v2, v7, 16, 3
	v_ffbh_u32_e32 v11, v2
	v_min_u32_e32 v11, 32, v11
	v_lshrrev_b32_e32 v6, 19, v7
	v_subrev_u32_e32 v12, 28, v11
	v_and_b32_e32 v6, 15, v6
	v_lshlrev_b32_sdwa v12, v12, v7 dst_sel:DWORD dst_unused:UNUSED_PAD src0_sel:DWORD src1_sel:WORD_1
	v_bfe_u32 v10, v7, 19, 4
	v_sub_u32_e32 v11, 29, v11
	v_and_b32_e32 v12, 7, v12
	v_cmp_eq_u16_e32 vcc, 0, v6
	v_cndmask_b32_e32 v2, v2, v12, vcc
	v_cndmask_b32_e32 v6, v10, v11, vcc
	v_lshlrev_b32_e32 v10, 8, v7
	v_mov_b32_e32 v11, 0x3b800000
	v_lshlrev_b32_e32 v2, 20, v2
	v_and_b32_e32 v10, 0x80000000, v10
	v_lshl_add_u32 v6, v6, 23, v11
	v_or3_b32 v2, v10, v6, v2
.LBB32_948:
	s_or_b64 exec, exec, s[6:7]
	s_movk_i32 s4, 0xff
	v_and_b32_sdwa v6, v3, s4 dst_sel:DWORD dst_unused:UNUSED_PAD src0_sel:WORD_1 src1_sel:DWORD
	s_movk_i32 s4, 0x7f
	v_cmp_lt_i16_e32 vcc, s4, v6
	s_mov_b64 s[4:5], 0
                                        ; implicit-def: $sgpr10
	s_and_saveexec_b64 s[6:7], vcc
	s_xor_b64 s[6:7], exec, s[6:7]
	s_cbranch_execnz .LBB32_2997
; %bb.949:
	s_or_saveexec_b64 s[6:7], s[6:7]
	v_mov_b32_e32 v10, s10
	s_xor_b64 exec, exec, s[6:7]
	s_cbranch_execnz .LBB32_3000
.LBB32_950:
	s_or_b64 exec, exec, s[6:7]
	s_and_saveexec_b64 s[6:7], s[4:5]
	s_cbranch_execz .LBB32_952
.LBB32_951:
	v_bfe_u32 v6, v3, 16, 3
	v_ffbh_u32_e32 v12, v6
	v_min_u32_e32 v12, 32, v12
	v_lshrrev_b32_e32 v10, 19, v3
	v_subrev_u32_e32 v13, 28, v12
	v_and_b32_e32 v10, 15, v10
	v_lshlrev_b32_sdwa v13, v13, v3 dst_sel:DWORD dst_unused:UNUSED_PAD src0_sel:DWORD src1_sel:WORD_1
	v_bfe_u32 v11, v3, 19, 4
	v_sub_u32_e32 v12, 29, v12
	v_and_b32_e32 v13, 7, v13
	v_cmp_eq_u16_e32 vcc, 0, v10
	v_cndmask_b32_e32 v6, v6, v13, vcc
	v_cndmask_b32_e32 v10, v11, v12, vcc
	v_lshlrev_b32_e32 v11, 8, v3
	v_mov_b32_e32 v12, 0x3b800000
	v_lshlrev_b32_e32 v6, 20, v6
	v_and_b32_e32 v11, 0x80000000, v11
	v_lshl_add_u32 v10, v10, 23, v12
	v_or3_b32 v10, v11, v10, v6
.LBB32_952:
	s_or_b64 exec, exec, s[6:7]
	s_nop 0
	v_mfma_f32_16x16x4f32 a[0:3], v2, v10, a[0:3]
	s_movk_i32 s4, 0x7f
	v_cmp_gt_i16_sdwa s[6:7], v7, s4 src0_sel:BYTE_3 src1_sel:DWORD
	s_mov_b64 s[4:5], 0
                                        ; implicit-def: $sgpr10
	s_and_saveexec_b64 s[8:9], s[6:7]
	s_xor_b64 s[6:7], exec, s[8:9]
	s_cbranch_execnz .LBB32_3001
; %bb.953:
	s_or_saveexec_b64 s[6:7], s[6:7]
	v_mov_b32_e32 v2, s10
	s_xor_b64 exec, exec, s[6:7]
	s_cbranch_execnz .LBB32_3004
.LBB32_954:
	s_or_b64 exec, exec, s[6:7]
	s_and_saveexec_b64 s[6:7], s[4:5]
	s_cbranch_execz .LBB32_956
.LBB32_955:
	v_bfe_u32 v2, v7, 24, 3
	v_ffbh_u32_e32 v12, v2
	v_min_u32_e32 v12, 32, v12
	v_lshrrev_b32_e32 v10, 27, v7
	v_subrev_u32_e32 v13, 28, v12
	v_and_b32_e32 v6, 0x80000000, v7
	v_and_b32_e32 v10, 15, v10
	v_bfe_u32 v11, v7, 27, 4
	v_lshlrev_b32_sdwa v7, v13, v7 dst_sel:DWORD dst_unused:UNUSED_PAD src0_sel:DWORD src1_sel:BYTE_3
	v_sub_u32_e32 v12, 29, v12
	v_and_b32_e32 v7, 7, v7
	v_cmp_eq_u16_e32 vcc, 0, v10
	v_cndmask_b32_e32 v2, v2, v7, vcc
	v_cndmask_b32_e32 v7, v11, v12, vcc
	v_mov_b32_e32 v10, 0x3b800000
	v_lshlrev_b32_e32 v2, 20, v2
	v_lshl_add_u32 v7, v7, 23, v10
	v_or3_b32 v2, v6, v7, v2
.LBB32_956:
	s_or_b64 exec, exec, s[6:7]
	s_movk_i32 s4, 0x7f
	v_cmp_gt_i16_sdwa s[6:7], v3, s4 src0_sel:BYTE_3 src1_sel:DWORD
	s_mov_b64 s[4:5], 0
                                        ; implicit-def: $sgpr10
	s_and_saveexec_b64 s[8:9], s[6:7]
	s_xor_b64 s[6:7], exec, s[8:9]
	s_cbranch_execnz .LBB32_3005
; %bb.957:
	s_or_saveexec_b64 s[6:7], s[6:7]
	v_mov_b32_e32 v6, s10
	s_xor_b64 exec, exec, s[6:7]
	s_cbranch_execnz .LBB32_3008
.LBB32_958:
	s_or_b64 exec, exec, s[6:7]
	s_and_saveexec_b64 s[6:7], s[4:5]
	s_cbranch_execz .LBB32_960
.LBB32_959:
	v_bfe_u32 v6, v3, 24, 3
	v_ffbh_u32_e32 v12, v6
	v_min_u32_e32 v12, 32, v12
	v_lshrrev_b32_e32 v10, 27, v3
	v_subrev_u32_e32 v13, 28, v12
	v_and_b32_e32 v7, 0x80000000, v3
	v_and_b32_e32 v10, 15, v10
	v_bfe_u32 v11, v3, 27, 4
	v_lshlrev_b32_sdwa v3, v13, v3 dst_sel:DWORD dst_unused:UNUSED_PAD src0_sel:DWORD src1_sel:BYTE_3
	v_sub_u32_e32 v12, 29, v12
	v_and_b32_e32 v3, 7, v3
	v_cmp_eq_u16_e32 vcc, 0, v10
	v_cndmask_b32_e32 v3, v6, v3, vcc
	v_cndmask_b32_e32 v6, v11, v12, vcc
	v_mov_b32_e32 v10, 0x3b800000
	v_lshlrev_b32_e32 v3, 20, v3
	v_lshl_add_u32 v6, v6, 23, v10
	v_or3_b32 v6, v7, v6, v3
.LBB32_960:
	s_or_b64 exec, exec, s[6:7]
	s_nop 0
	v_mfma_f32_16x16x4f32 a[0:3], v2, v6, a[0:3]
	s_movk_i32 s4, 0x7f
	v_cmp_gt_i16_sdwa s[6:7], v8, s4 src0_sel:BYTE_0 src1_sel:DWORD
	s_mov_b64 s[4:5], 0
                                        ; implicit-def: $sgpr10
	s_and_saveexec_b64 s[8:9], s[6:7]
	s_xor_b64 s[6:7], exec, s[8:9]
	s_cbranch_execnz .LBB32_3009
; %bb.961:
	s_or_saveexec_b64 s[6:7], s[6:7]
	v_mov_b32_e32 v2, s10
	s_xor_b64 exec, exec, s[6:7]
	s_cbranch_execnz .LBB32_3012
.LBB32_962:
	s_or_b64 exec, exec, s[6:7]
	s_and_saveexec_b64 s[6:7], s[4:5]
	s_cbranch_execz .LBB32_964
.LBB32_963:
	v_and_b32_e32 v2, 7, v8
	v_ffbh_u32_e32 v6, v2
	v_min_u32_e32 v6, 32, v6
	v_lshrrev_b16_e32 v3, 3, v8
	v_subrev_u32_e32 v7, 28, v6
	v_and_b32_e32 v3, 15, v3
	v_lshlrev_b32_e32 v7, v7, v8
	v_sub_u32_e32 v6, 29, v6
	v_and_b32_e32 v7, 7, v7
	v_cmp_eq_u16_e32 vcc, 0, v3
	v_cndmask_b32_e32 v2, v2, v7, vcc
	v_cndmask_b32_e32 v3, v3, v6, vcc
	v_lshlrev_b32_e32 v6, 24, v8
	v_mov_b32_e32 v7, 0x3b800000
	v_lshlrev_b32_e32 v2, 20, v2
	v_and_b32_e32 v6, 0x80000000, v6
	v_lshl_add_u32 v3, v3, 23, v7
	v_or3_b32 v2, v6, v3, v2
.LBB32_964:
	s_or_b64 exec, exec, s[6:7]
	s_movk_i32 s4, 0x7f
	v_cmp_gt_i16_sdwa s[6:7], v4, s4 src0_sel:BYTE_0 src1_sel:DWORD
	s_mov_b64 s[4:5], 0
                                        ; implicit-def: $sgpr10
	s_and_saveexec_b64 s[8:9], s[6:7]
	s_xor_b64 s[6:7], exec, s[8:9]
	s_cbranch_execnz .LBB32_3013
; %bb.965:
	s_or_saveexec_b64 s[6:7], s[6:7]
	v_mov_b32_e32 v3, s10
	s_xor_b64 exec, exec, s[6:7]
	s_cbranch_execnz .LBB32_3016
.LBB32_966:
	s_or_b64 exec, exec, s[6:7]
	s_and_saveexec_b64 s[6:7], s[4:5]
	s_cbranch_execz .LBB32_968
.LBB32_967:
	v_and_b32_e32 v3, 7, v4
	v_ffbh_u32_e32 v7, v3
	v_min_u32_e32 v7, 32, v7
	v_lshrrev_b16_e32 v6, 3, v4
	v_subrev_u32_e32 v10, 28, v7
	v_and_b32_e32 v6, 15, v6
	v_lshlrev_b32_e32 v10, v10, v4
	v_sub_u32_e32 v7, 29, v7
	v_and_b32_e32 v10, 7, v10
	v_cmp_eq_u16_e32 vcc, 0, v6
	v_cndmask_b32_e32 v3, v3, v10, vcc
	v_cndmask_b32_e32 v6, v6, v7, vcc
	v_lshlrev_b32_e32 v7, 24, v4
	v_mov_b32_e32 v10, 0x3b800000
	v_lshlrev_b32_e32 v3, 20, v3
	v_and_b32_e32 v7, 0x80000000, v7
	v_lshl_add_u32 v6, v6, 23, v10
	v_or3_b32 v3, v7, v6, v3
.LBB32_968:
	s_or_b64 exec, exec, s[6:7]
	s_nop 0
	v_mfma_f32_16x16x4f32 a[0:3], v2, v3, a[0:3]
	v_lshrrev_b32_e32 v3, 8, v8
	s_movk_i32 s4, 0x7f
	v_cmp_gt_i16_sdwa s[6:7], v3, s4 src0_sel:BYTE_0 src1_sel:DWORD
	s_mov_b64 s[4:5], 0
                                        ; implicit-def: $sgpr10
	s_and_saveexec_b64 s[8:9], s[6:7]
	s_xor_b64 s[6:7], exec, s[8:9]
	s_cbranch_execnz .LBB32_3017
; %bb.969:
	s_or_saveexec_b64 s[6:7], s[6:7]
	v_mov_b32_e32 v2, s10
	s_xor_b64 exec, exec, s[6:7]
	s_cbranch_execnz .LBB32_3020
.LBB32_970:
	s_or_b64 exec, exec, s[6:7]
	s_and_saveexec_b64 s[6:7], s[4:5]
	s_cbranch_execz .LBB32_972
.LBB32_971:
	v_bfe_u32 v2, v8, 8, 3
	v_ffbh_u32_e32 v7, v2
	v_min_u32_e32 v7, 32, v7
	v_lshrrev_b16_e32 v6, 3, v3
	v_subrev_u32_e32 v10, 28, v7
	v_and_b32_e32 v6, 15, v6
	v_lshlrev_b32_e32 v3, v10, v3
	v_sub_u32_e32 v7, 29, v7
	v_and_b32_e32 v3, 7, v3
	v_cmp_eq_u16_e32 vcc, 0, v6
	v_cndmask_b32_e32 v2, v2, v3, vcc
	v_cndmask_b32_e32 v3, v6, v7, vcc
	v_lshlrev_b32_e32 v6, 16, v8
	v_mov_b32_e32 v7, 0x3b800000
	v_lshlrev_b32_e32 v2, 20, v2
	v_and_b32_e32 v6, 0x80000000, v6
	v_lshl_add_u32 v3, v3, 23, v7
	v_or3_b32 v2, v6, v3, v2
.LBB32_972:
	s_or_b64 exec, exec, s[6:7]
	v_lshrrev_b32_e32 v3, 8, v4
	s_movk_i32 s4, 0x7f
	v_cmp_gt_i16_sdwa s[6:7], v3, s4 src0_sel:BYTE_0 src1_sel:DWORD
	s_mov_b64 s[4:5], 0
                                        ; implicit-def: $sgpr10
	s_and_saveexec_b64 s[8:9], s[6:7]
	s_xor_b64 s[6:7], exec, s[8:9]
	s_cbranch_execnz .LBB32_3021
; %bb.973:
	s_or_saveexec_b64 s[6:7], s[6:7]
	v_mov_b32_e32 v6, s10
	s_xor_b64 exec, exec, s[6:7]
	s_cbranch_execnz .LBB32_3024
.LBB32_974:
	s_or_b64 exec, exec, s[6:7]
	s_and_saveexec_b64 s[6:7], s[4:5]
	s_cbranch_execz .LBB32_976
.LBB32_975:
	v_bfe_u32 v6, v4, 8, 3
	v_ffbh_u32_e32 v10, v6
	v_min_u32_e32 v10, 32, v10
	v_lshrrev_b16_e32 v7, 3, v3
	v_subrev_u32_e32 v11, 28, v10
	v_and_b32_e32 v7, 15, v7
	v_lshlrev_b32_e32 v3, v11, v3
	v_sub_u32_e32 v10, 29, v10
	v_and_b32_e32 v3, 7, v3
	v_cmp_eq_u16_e32 vcc, 0, v7
	v_cndmask_b32_e32 v3, v6, v3, vcc
	v_cndmask_b32_e32 v6, v7, v10, vcc
	v_lshlrev_b32_e32 v7, 16, v4
	v_mov_b32_e32 v10, 0x3b800000
	v_lshlrev_b32_e32 v3, 20, v3
	v_and_b32_e32 v7, 0x80000000, v7
	v_lshl_add_u32 v6, v6, 23, v10
	v_or3_b32 v6, v7, v6, v3
.LBB32_976:
	s_or_b64 exec, exec, s[6:7]
	s_nop 0
	v_mfma_f32_16x16x4f32 a[0:3], v2, v6, a[0:3]
	s_movk_i32 s4, 0xff
	v_and_b32_sdwa v3, v8, s4 dst_sel:DWORD dst_unused:UNUSED_PAD src0_sel:WORD_1 src1_sel:DWORD
	s_movk_i32 s4, 0x7f
	v_cmp_lt_i16_e32 vcc, s4, v3
	s_mov_b64 s[4:5], 0
                                        ; implicit-def: $sgpr10
	s_and_saveexec_b64 s[6:7], vcc
	s_xor_b64 s[6:7], exec, s[6:7]
	s_cbranch_execnz .LBB32_3025
; %bb.977:
	s_or_saveexec_b64 s[6:7], s[6:7]
	v_mov_b32_e32 v2, s10
	s_xor_b64 exec, exec, s[6:7]
	s_cbranch_execnz .LBB32_3028
.LBB32_978:
	s_or_b64 exec, exec, s[6:7]
	s_and_saveexec_b64 s[6:7], s[4:5]
	s_cbranch_execz .LBB32_980
.LBB32_979:
	v_bfe_u32 v2, v8, 16, 3
	v_ffbh_u32_e32 v7, v2
	v_min_u32_e32 v7, 32, v7
	v_lshrrev_b32_e32 v3, 19, v8
	v_subrev_u32_e32 v10, 28, v7
	v_and_b32_e32 v3, 15, v3
	v_lshlrev_b32_sdwa v10, v10, v8 dst_sel:DWORD dst_unused:UNUSED_PAD src0_sel:DWORD src1_sel:WORD_1
	v_bfe_u32 v6, v8, 19, 4
	v_sub_u32_e32 v7, 29, v7
	v_and_b32_e32 v10, 7, v10
	v_cmp_eq_u16_e32 vcc, 0, v3
	v_cndmask_b32_e32 v2, v2, v10, vcc
	v_cndmask_b32_e32 v3, v6, v7, vcc
	v_lshlrev_b32_e32 v6, 8, v8
	v_mov_b32_e32 v7, 0x3b800000
	v_lshlrev_b32_e32 v2, 20, v2
	v_and_b32_e32 v6, 0x80000000, v6
	v_lshl_add_u32 v3, v3, 23, v7
	v_or3_b32 v2, v6, v3, v2
.LBB32_980:
	s_or_b64 exec, exec, s[6:7]
	s_movk_i32 s4, 0xff
	v_and_b32_sdwa v3, v4, s4 dst_sel:DWORD dst_unused:UNUSED_PAD src0_sel:WORD_1 src1_sel:DWORD
	s_movk_i32 s4, 0x7f
	v_cmp_lt_i16_e32 vcc, s4, v3
	s_mov_b64 s[4:5], 0
                                        ; implicit-def: $sgpr10
	s_and_saveexec_b64 s[6:7], vcc
	s_xor_b64 s[6:7], exec, s[6:7]
	s_cbranch_execnz .LBB32_3029
; %bb.981:
	s_or_saveexec_b64 s[6:7], s[6:7]
	v_mov_b32_e32 v6, s10
	s_xor_b64 exec, exec, s[6:7]
	s_cbranch_execnz .LBB32_3032
.LBB32_982:
	s_or_b64 exec, exec, s[6:7]
	s_and_saveexec_b64 s[6:7], s[4:5]
	s_cbranch_execz .LBB32_984
.LBB32_983:
	v_bfe_u32 v3, v4, 16, 3
	v_ffbh_u32_e32 v10, v3
	v_min_u32_e32 v10, 32, v10
	v_lshrrev_b32_e32 v6, 19, v4
	v_subrev_u32_e32 v11, 28, v10
	v_and_b32_e32 v6, 15, v6
	v_lshlrev_b32_sdwa v11, v11, v4 dst_sel:DWORD dst_unused:UNUSED_PAD src0_sel:DWORD src1_sel:WORD_1
	v_bfe_u32 v7, v4, 19, 4
	v_sub_u32_e32 v10, 29, v10
	v_and_b32_e32 v11, 7, v11
	v_cmp_eq_u16_e32 vcc, 0, v6
	v_cndmask_b32_e32 v3, v3, v11, vcc
	v_cndmask_b32_e32 v6, v7, v10, vcc
	v_lshlrev_b32_e32 v7, 8, v4
	v_mov_b32_e32 v10, 0x3b800000
	v_lshlrev_b32_e32 v3, 20, v3
	v_and_b32_e32 v7, 0x80000000, v7
	v_lshl_add_u32 v6, v6, 23, v10
	v_or3_b32 v6, v7, v6, v3
.LBB32_984:
	s_or_b64 exec, exec, s[6:7]
	s_nop 0
	v_mfma_f32_16x16x4f32 a[0:3], v2, v6, a[0:3]
	s_movk_i32 s4, 0x7f
	v_cmp_gt_i16_sdwa s[6:7], v8, s4 src0_sel:BYTE_3 src1_sel:DWORD
	s_mov_b64 s[4:5], 0
                                        ; implicit-def: $sgpr10
	s_and_saveexec_b64 s[8:9], s[6:7]
	s_xor_b64 s[6:7], exec, s[8:9]
	s_cbranch_execnz .LBB32_3033
; %bb.985:
	s_or_saveexec_b64 s[6:7], s[6:7]
	v_mov_b32_e32 v2, s10
	s_xor_b64 exec, exec, s[6:7]
	s_cbranch_execnz .LBB32_3036
.LBB32_986:
	s_or_b64 exec, exec, s[6:7]
	s_and_saveexec_b64 s[6:7], s[4:5]
	s_cbranch_execz .LBB32_988
.LBB32_987:
	v_bfe_u32 v2, v8, 24, 3
	v_ffbh_u32_e32 v10, v2
	v_min_u32_e32 v10, 32, v10
	v_lshrrev_b32_e32 v6, 27, v8
	v_subrev_u32_e32 v11, 28, v10
	v_and_b32_e32 v3, 0x80000000, v8
	v_and_b32_e32 v6, 15, v6
	v_bfe_u32 v7, v8, 27, 4
	v_lshlrev_b32_sdwa v8, v11, v8 dst_sel:DWORD dst_unused:UNUSED_PAD src0_sel:DWORD src1_sel:BYTE_3
	v_sub_u32_e32 v10, 29, v10
	v_and_b32_e32 v8, 7, v8
	v_cmp_eq_u16_e32 vcc, 0, v6
	v_cndmask_b32_e32 v2, v2, v8, vcc
	v_cndmask_b32_e32 v6, v7, v10, vcc
	v_mov_b32_e32 v7, 0x3b800000
	v_lshlrev_b32_e32 v2, 20, v2
	v_lshl_add_u32 v6, v6, 23, v7
	v_or3_b32 v2, v3, v6, v2
.LBB32_988:
	s_or_b64 exec, exec, s[6:7]
	s_movk_i32 s4, 0x7f
	v_cmp_gt_i16_sdwa s[6:7], v4, s4 src0_sel:BYTE_3 src1_sel:DWORD
	s_mov_b64 s[4:5], 0
                                        ; implicit-def: $sgpr10
	s_and_saveexec_b64 s[8:9], s[6:7]
	s_xor_b64 s[6:7], exec, s[8:9]
	s_cbranch_execnz .LBB32_3037
; %bb.989:
	s_or_saveexec_b64 s[6:7], s[6:7]
	v_mov_b32_e32 v3, s10
	s_xor_b64 exec, exec, s[6:7]
	s_cbranch_execnz .LBB32_3040
.LBB32_990:
	s_or_b64 exec, exec, s[6:7]
	s_and_saveexec_b64 s[6:7], s[4:5]
	s_cbranch_execz .LBB32_992
.LBB32_991:
	v_bfe_u32 v3, v4, 24, 3
	v_ffbh_u32_e32 v10, v3
	v_min_u32_e32 v10, 32, v10
	v_lshrrev_b32_e32 v7, 27, v4
	v_subrev_u32_e32 v11, 28, v10
	v_and_b32_e32 v6, 0x80000000, v4
	v_and_b32_e32 v7, 15, v7
	v_bfe_u32 v8, v4, 27, 4
	v_lshlrev_b32_sdwa v4, v11, v4 dst_sel:DWORD dst_unused:UNUSED_PAD src0_sel:DWORD src1_sel:BYTE_3
	v_sub_u32_e32 v10, 29, v10
	v_and_b32_e32 v4, 7, v4
	v_cmp_eq_u16_e32 vcc, 0, v7
	v_cndmask_b32_e32 v3, v3, v4, vcc
	v_cndmask_b32_e32 v4, v8, v10, vcc
	v_mov_b32_e32 v7, 0x3b800000
	v_lshlrev_b32_e32 v3, 20, v3
	v_lshl_add_u32 v4, v4, 23, v7
	v_or3_b32 v3, v6, v4, v3
.LBB32_992:
	s_or_b64 exec, exec, s[6:7]
	s_nop 0
	v_mfma_f32_16x16x4f32 a[0:3], v2, v3, a[0:3]
	s_movk_i32 s4, 0x7f
	v_cmp_gt_i16_sdwa s[6:7], v9, s4 src0_sel:BYTE_0 src1_sel:DWORD
	s_mov_b64 s[4:5], 0
                                        ; implicit-def: $sgpr10
	s_and_saveexec_b64 s[8:9], s[6:7]
	s_xor_b64 s[6:7], exec, s[8:9]
	s_cbranch_execnz .LBB32_3041
; %bb.993:
	s_or_saveexec_b64 s[6:7], s[6:7]
	v_mov_b32_e32 v2, s10
	s_xor_b64 exec, exec, s[6:7]
	s_cbranch_execnz .LBB32_3044
.LBB32_994:
	s_or_b64 exec, exec, s[6:7]
	s_and_saveexec_b64 s[6:7], s[4:5]
	s_cbranch_execz .LBB32_996
.LBB32_995:
	v_mov_b32_e32 v2, 8
	v_and_b32_e32 v3, 7, v9
	v_lshrrev_b32_sdwa v2, v2, v9 dst_sel:BYTE_1 dst_unused:UNUSED_PAD src0_sel:DWORD src1_sel:DWORD
	v_ffbh_u32_e32 v4, v3
	v_or_b32_sdwa v2, v9, v2 dst_sel:DWORD dst_unused:UNUSED_PAD src0_sel:BYTE_0 src1_sel:DWORD
	v_min_u32_e32 v4, 32, v4
	v_lshrrev_b16_e32 v2, 3, v2
	v_subrev_u32_e32 v6, 28, v4
	v_and_b32_e32 v2, 15, v2
	v_lshlrev_b32_e32 v6, v6, v9
	v_sub_u32_e32 v4, 29, v4
	v_and_b32_e32 v6, 7, v6
	v_cmp_eq_u16_e32 vcc, 0, v2
	v_cndmask_b32_e32 v3, v3, v6, vcc
	v_cndmask_b32_e32 v2, v2, v4, vcc
	v_lshlrev_b32_e32 v4, 24, v9
	v_mov_b32_e32 v6, 0x3b800000
	v_lshlrev_b32_e32 v3, 20, v3
	v_and_b32_e32 v4, 0x80000000, v4
	v_lshl_add_u32 v2, v2, 23, v6
	v_or3_b32 v2, v4, v2, v3
.LBB32_996:
	s_or_b64 exec, exec, s[6:7]
	s_movk_i32 s4, 0x7f
	v_cmp_gt_i16_sdwa s[6:7], v5, s4 src0_sel:BYTE_0 src1_sel:DWORD
	s_mov_b64 s[4:5], 0
                                        ; implicit-def: $sgpr10
	s_and_saveexec_b64 s[8:9], s[6:7]
	s_xor_b64 s[6:7], exec, s[8:9]
	s_cbranch_execnz .LBB32_3045
; %bb.997:
	s_or_saveexec_b64 s[6:7], s[6:7]
	v_mov_b32_e32 v3, s10
	s_xor_b64 exec, exec, s[6:7]
	s_cbranch_execnz .LBB32_3048
.LBB32_998:
	s_or_b64 exec, exec, s[6:7]
	s_and_saveexec_b64 s[6:7], s[4:5]
	s_cbranch_execz .LBB32_1000
.LBB32_999:
	v_mov_b32_e32 v3, 8
	v_and_b32_e32 v4, 7, v5
	v_lshrrev_b32_sdwa v3, v3, v5 dst_sel:BYTE_1 dst_unused:UNUSED_PAD src0_sel:DWORD src1_sel:DWORD
	v_ffbh_u32_e32 v6, v4
	v_or_b32_sdwa v3, v5, v3 dst_sel:DWORD dst_unused:UNUSED_PAD src0_sel:BYTE_0 src1_sel:DWORD
	v_min_u32_e32 v6, 32, v6
	v_lshrrev_b16_e32 v3, 3, v3
	v_subrev_u32_e32 v7, 28, v6
	v_and_b32_e32 v3, 15, v3
	v_lshlrev_b32_e32 v7, v7, v5
	v_sub_u32_e32 v6, 29, v6
	v_and_b32_e32 v7, 7, v7
	v_cmp_eq_u16_e32 vcc, 0, v3
	v_cndmask_b32_e32 v4, v4, v7, vcc
	v_cndmask_b32_e32 v3, v3, v6, vcc
	v_lshlrev_b32_e32 v6, 24, v5
	v_mov_b32_e32 v7, 0x3b800000
	v_lshlrev_b32_e32 v4, 20, v4
	v_and_b32_e32 v6, 0x80000000, v6
	v_lshl_add_u32 v3, v3, 23, v7
	v_or3_b32 v3, v6, v3, v4
.LBB32_1000:
	s_or_b64 exec, exec, s[6:7]
	s_nop 0
	v_mfma_f32_16x16x4f32 a[0:3], v2, v3, a[0:3]
	v_lshrrev_b32_e32 v3, 8, v9
	s_movk_i32 s4, 0x7f
	v_cmp_gt_i16_sdwa s[6:7], v3, s4 src0_sel:BYTE_0 src1_sel:DWORD
	s_mov_b64 s[4:5], 0
                                        ; implicit-def: $sgpr10
	s_and_saveexec_b64 s[8:9], s[6:7]
	s_xor_b64 s[6:7], exec, s[8:9]
	s_cbranch_execnz .LBB32_3049
; %bb.1001:
	s_or_saveexec_b64 s[6:7], s[6:7]
	v_mov_b32_e32 v2, s10
	s_xor_b64 exec, exec, s[6:7]
	s_cbranch_execnz .LBB32_3052
.LBB32_1002:
	s_or_b64 exec, exec, s[6:7]
	s_and_saveexec_b64 s[6:7], s[4:5]
	s_cbranch_execz .LBB32_1004
.LBB32_1003:
	v_bfe_u32 v2, v9, 8, 3
	v_ffbh_u32_e32 v6, v2
	v_min_u32_e32 v6, 32, v6
	v_lshrrev_b16_e32 v4, 3, v3
	v_subrev_u32_e32 v7, 28, v6
	v_and_b32_e32 v4, 15, v4
	v_lshlrev_b32_e32 v3, v7, v3
	v_sub_u32_e32 v6, 29, v6
	v_and_b32_e32 v3, 7, v3
	v_cmp_eq_u16_e32 vcc, 0, v4
	v_cndmask_b32_e32 v2, v2, v3, vcc
	v_cndmask_b32_e32 v3, v4, v6, vcc
	v_lshlrev_b32_e32 v4, 16, v9
	v_mov_b32_e32 v6, 0x3b800000
	v_lshlrev_b32_e32 v2, 20, v2
	v_and_b32_e32 v4, 0x80000000, v4
	v_lshl_add_u32 v3, v3, 23, v6
	v_or3_b32 v2, v4, v3, v2
.LBB32_1004:
	s_or_b64 exec, exec, s[6:7]
	v_lshrrev_b32_e32 v3, 8, v5
	s_movk_i32 s4, 0x7f
	v_cmp_gt_i16_sdwa s[6:7], v3, s4 src0_sel:BYTE_0 src1_sel:DWORD
	s_mov_b64 s[4:5], 0
                                        ; implicit-def: $sgpr10
	s_and_saveexec_b64 s[8:9], s[6:7]
	s_xor_b64 s[6:7], exec, s[8:9]
	s_cbranch_execnz .LBB32_3053
; %bb.1005:
	s_or_saveexec_b64 s[6:7], s[6:7]
	v_mov_b32_e32 v4, s10
	s_xor_b64 exec, exec, s[6:7]
	s_cbranch_execnz .LBB32_3056
.LBB32_1006:
	s_or_b64 exec, exec, s[6:7]
	s_and_saveexec_b64 s[6:7], s[4:5]
	s_cbranch_execz .LBB32_1008
.LBB32_1007:
	v_bfe_u32 v4, v5, 8, 3
	v_ffbh_u32_e32 v7, v4
	v_min_u32_e32 v7, 32, v7
	v_lshrrev_b16_e32 v6, 3, v3
	v_subrev_u32_e32 v8, 28, v7
	v_and_b32_e32 v6, 15, v6
	v_lshlrev_b32_e32 v3, v8, v3
	v_sub_u32_e32 v7, 29, v7
	v_and_b32_e32 v3, 7, v3
	v_cmp_eq_u16_e32 vcc, 0, v6
	v_cndmask_b32_e32 v3, v4, v3, vcc
	v_cndmask_b32_e32 v4, v6, v7, vcc
	v_lshlrev_b32_e32 v6, 16, v5
	v_mov_b32_e32 v7, 0x3b800000
	v_lshlrev_b32_e32 v3, 20, v3
	v_and_b32_e32 v6, 0x80000000, v6
	v_lshl_add_u32 v4, v4, 23, v7
	v_or3_b32 v4, v6, v4, v3
.LBB32_1008:
	s_or_b64 exec, exec, s[6:7]
	s_nop 0
	v_mfma_f32_16x16x4f32 a[0:3], v2, v4, a[0:3]
	s_movk_i32 s4, 0xff
	v_and_b32_sdwa v3, v9, s4 dst_sel:DWORD dst_unused:UNUSED_PAD src0_sel:WORD_1 src1_sel:DWORD
	s_movk_i32 s4, 0x7f
	v_cmp_lt_i16_e32 vcc, s4, v3
	s_mov_b64 s[4:5], 0
                                        ; implicit-def: $sgpr10
	s_and_saveexec_b64 s[6:7], vcc
	s_xor_b64 s[6:7], exec, s[6:7]
	s_cbranch_execnz .LBB32_3057
; %bb.1009:
	s_or_saveexec_b64 s[6:7], s[6:7]
	v_mov_b32_e32 v2, s10
	s_xor_b64 exec, exec, s[6:7]
	s_cbranch_execnz .LBB32_3060
.LBB32_1010:
	s_or_b64 exec, exec, s[6:7]
	s_and_saveexec_b64 s[6:7], s[4:5]
	s_cbranch_execz .LBB32_1012
.LBB32_1011:
	v_bfe_u32 v2, v9, 16, 3
	v_ffbh_u32_e32 v6, v2
	v_min_u32_e32 v6, 32, v6
	v_lshrrev_b32_e32 v3, 19, v9
	v_subrev_u32_e32 v7, 28, v6
	v_and_b32_e32 v3, 15, v3
	v_lshlrev_b32_sdwa v7, v7, v9 dst_sel:DWORD dst_unused:UNUSED_PAD src0_sel:DWORD src1_sel:WORD_1
	v_bfe_u32 v4, v9, 19, 4
	v_sub_u32_e32 v6, 29, v6
	v_and_b32_e32 v7, 7, v7
	v_cmp_eq_u16_e32 vcc, 0, v3
	v_cndmask_b32_e32 v2, v2, v7, vcc
	v_cndmask_b32_e32 v3, v4, v6, vcc
	v_lshlrev_b32_e32 v4, 8, v9
	v_mov_b32_e32 v6, 0x3b800000
	v_lshlrev_b32_e32 v2, 20, v2
	v_and_b32_e32 v4, 0x80000000, v4
	v_lshl_add_u32 v3, v3, 23, v6
	v_or3_b32 v2, v4, v3, v2
.LBB32_1012:
	s_or_b64 exec, exec, s[6:7]
	s_movk_i32 s4, 0xff
	v_and_b32_sdwa v3, v5, s4 dst_sel:DWORD dst_unused:UNUSED_PAD src0_sel:WORD_1 src1_sel:DWORD
	s_movk_i32 s4, 0x7f
	v_cmp_lt_i16_e32 vcc, s4, v3
	s_mov_b64 s[4:5], 0
                                        ; implicit-def: $sgpr10
	s_and_saveexec_b64 s[6:7], vcc
	s_xor_b64 s[6:7], exec, s[6:7]
	s_cbranch_execnz .LBB32_3061
; %bb.1013:
	s_or_saveexec_b64 s[6:7], s[6:7]
	v_mov_b32_e32 v4, s10
	s_xor_b64 exec, exec, s[6:7]
	s_cbranch_execnz .LBB32_3064
.LBB32_1014:
	s_or_b64 exec, exec, s[6:7]
	s_and_saveexec_b64 s[6:7], s[4:5]
	s_cbranch_execz .LBB32_1016
.LBB32_1015:
	v_bfe_u32 v3, v5, 16, 3
	v_ffbh_u32_e32 v7, v3
	v_min_u32_e32 v7, 32, v7
	v_lshrrev_b32_e32 v4, 19, v5
	v_subrev_u32_e32 v8, 28, v7
	v_and_b32_e32 v4, 15, v4
	v_lshlrev_b32_sdwa v8, v8, v5 dst_sel:DWORD dst_unused:UNUSED_PAD src0_sel:DWORD src1_sel:WORD_1
	v_bfe_u32 v6, v5, 19, 4
	v_sub_u32_e32 v7, 29, v7
	v_and_b32_e32 v8, 7, v8
	v_cmp_eq_u16_e32 vcc, 0, v4
	v_cndmask_b32_e32 v3, v3, v8, vcc
	v_cndmask_b32_e32 v4, v6, v7, vcc
	v_lshlrev_b32_e32 v6, 8, v5
	v_mov_b32_e32 v7, 0x3b800000
	v_lshlrev_b32_e32 v3, 20, v3
	v_and_b32_e32 v6, 0x80000000, v6
	v_lshl_add_u32 v4, v4, 23, v7
	v_or3_b32 v4, v6, v4, v3
.LBB32_1016:
	s_or_b64 exec, exec, s[6:7]
	s_nop 0
	v_mfma_f32_16x16x4f32 a[0:3], v2, v4, a[0:3]
	s_movk_i32 s4, 0x7f
	v_cmp_gt_i16_sdwa s[6:7], v9, s4 src0_sel:BYTE_3 src1_sel:DWORD
	s_mov_b64 s[4:5], 0
                                        ; implicit-def: $sgpr10
	s_and_saveexec_b64 s[8:9], s[6:7]
	s_xor_b64 s[6:7], exec, s[8:9]
	s_cbranch_execnz .LBB32_3065
; %bb.1017:
	s_or_saveexec_b64 s[6:7], s[6:7]
	v_mov_b32_e32 v2, s10
	s_xor_b64 exec, exec, s[6:7]
	s_cbranch_execnz .LBB32_3068
.LBB32_1018:
	s_or_b64 exec, exec, s[6:7]
	s_and_saveexec_b64 s[6:7], s[4:5]
	s_cbranch_execz .LBB32_1020
.LBB32_1019:
	v_bfe_u32 v2, v9, 24, 3
	v_ffbh_u32_e32 v7, v2
	v_min_u32_e32 v7, 32, v7
	v_lshrrev_b32_e32 v4, 27, v9
	v_subrev_u32_e32 v8, 28, v7
	v_and_b32_e32 v4, 15, v4
	v_lshlrev_b32_sdwa v8, v8, v9 dst_sel:DWORD dst_unused:UNUSED_PAD src0_sel:DWORD src1_sel:BYTE_3
	v_bfe_u32 v6, v9, 27, 4
	v_sub_u32_e32 v7, 29, v7
	v_and_b32_e32 v8, 7, v8
	v_cmp_eq_u16_e32 vcc, 0, v4
	v_cndmask_b32_e32 v2, v2, v8, vcc
	v_cndmask_b32_e32 v4, v6, v7, vcc
	v_mov_b32_e32 v6, 0x3b800000
	v_and_b32_e32 v3, 0x80000000, v9
	v_lshlrev_b32_e32 v2, 20, v2
	v_lshl_add_u32 v4, v4, 23, v6
	v_or3_b32 v2, v3, v4, v2
.LBB32_1020:
	s_or_b64 exec, exec, s[6:7]
	s_movk_i32 s4, 0x7f
	v_cmp_gt_i16_sdwa s[6:7], v5, s4 src0_sel:BYTE_3 src1_sel:DWORD
	s_mov_b64 s[4:5], 0
                                        ; implicit-def: $sgpr10
	s_and_saveexec_b64 s[8:9], s[6:7]
	s_xor_b64 s[6:7], exec, s[8:9]
	s_cbranch_execnz .LBB32_3069
; %bb.1021:
	s_or_saveexec_b64 s[6:7], s[6:7]
	v_mov_b32_e32 v3, s10
	s_xor_b64 exec, exec, s[6:7]
	s_cbranch_execnz .LBB32_3072
.LBB32_1022:
	s_or_b64 exec, exec, s[6:7]
	s_and_saveexec_b64 s[6:7], s[4:5]
	s_cbranch_execz .LBB32_1024
.LBB32_1023:
	v_bfe_u32 v3, v5, 24, 3
	v_ffbh_u32_e32 v8, v3
	v_min_u32_e32 v8, 32, v8
	v_lshrrev_b32_e32 v6, 27, v5
	v_subrev_u32_e32 v9, 28, v8
	v_and_b32_e32 v4, 0x80000000, v5
	v_and_b32_e32 v6, 15, v6
	v_bfe_u32 v7, v5, 27, 4
	v_lshlrev_b32_sdwa v5, v9, v5 dst_sel:DWORD dst_unused:UNUSED_PAD src0_sel:DWORD src1_sel:BYTE_3
	v_sub_u32_e32 v8, 29, v8
	v_and_b32_e32 v5, 7, v5
	v_cmp_eq_u16_e32 vcc, 0, v6
	v_cndmask_b32_e32 v3, v3, v5, vcc
	v_cndmask_b32_e32 v5, v7, v8, vcc
	v_mov_b32_e32 v6, 0x3b800000
	v_lshlrev_b32_e32 v3, 20, v3
	v_lshl_add_u32 v5, v5, 23, v6
	v_or3_b32 v3, v4, v5, v3
.LBB32_1024:
	s_or_b64 exec, exec, s[6:7]
	s_nop 0
	v_mfma_f32_16x16x4f32 a[0:3], v2, v3, a[0:3]
	s_movk_i32 s4, 0x7f
                                        ; implicit-def: $sgpr10
	s_nop 7
	s_nop 1
	flat_store_dwordx4 v[18:19], a[0:3] offset:560
	flat_load_dwordx4 v[20:23], v[0:1] offset:16
	s_nop 0
	flat_load_dwordx2 v[18:19], v[0:1] offset:32
	s_waitcnt vmcnt(0) lgkmcnt(0)
	flat_load_dwordx4 v[14:17], v[20:21]
	flat_load_dwordx4 v[6:9], v[20:21] offset:16
	flat_load_dwordx4 v[10:13], v[22:23] offset:128
	;; [unrolled: 1-line block ×3, first 2 shown]
	s_waitcnt vmcnt(0) lgkmcnt(0)
	v_cmp_gt_i16_sdwa s[6:7], v14, s4 src0_sel:BYTE_0 src1_sel:DWORD
	s_mov_b64 s[4:5], 0
	s_and_saveexec_b64 s[8:9], s[6:7]
	s_xor_b64 s[6:7], exec, s[8:9]
	s_cbranch_execnz .LBB32_3073
; %bb.1025:
	s_or_saveexec_b64 s[6:7], s[6:7]
	v_mov_b32_e32 v20, s10
	s_xor_b64 exec, exec, s[6:7]
	s_cbranch_execnz .LBB32_3076
.LBB32_1026:
	s_or_b64 exec, exec, s[6:7]
	s_and_saveexec_b64 s[6:7], s[4:5]
	s_cbranch_execz .LBB32_1028
.LBB32_1027:
	v_and_b32_e32 v20, 7, v14
	v_ffbh_u32_e32 v22, v20
	v_min_u32_e32 v22, 32, v22
	v_lshrrev_b16_e32 v21, 3, v14
	v_subrev_u32_e32 v23, 28, v22
	v_and_b32_e32 v21, 15, v21
	v_lshlrev_b32_e32 v23, v23, v14
	v_sub_u32_e32 v22, 29, v22
	v_and_b32_e32 v23, 7, v23
	v_cmp_eq_u16_e32 vcc, 0, v21
	v_cndmask_b32_e32 v20, v20, v23, vcc
	v_cndmask_b32_e32 v21, v21, v22, vcc
	v_lshlrev_b32_e32 v22, 24, v14
	v_mov_b32_e32 v23, 0x3b800000
	v_lshlrev_b32_e32 v20, 20, v20
	v_and_b32_e32 v22, 0x80000000, v22
	v_lshl_add_u32 v21, v21, 23, v23
	v_or3_b32 v20, v22, v21, v20
.LBB32_1028:
	s_or_b64 exec, exec, s[6:7]
	s_movk_i32 s4, 0x7f
	v_cmp_gt_i16_sdwa s[6:7], v10, s4 src0_sel:BYTE_0 src1_sel:DWORD
	s_mov_b64 s[4:5], 0
                                        ; implicit-def: $sgpr10
	s_and_saveexec_b64 s[8:9], s[6:7]
	s_xor_b64 s[6:7], exec, s[8:9]
	s_cbranch_execnz .LBB32_3077
; %bb.1029:
	s_or_saveexec_b64 s[6:7], s[6:7]
	v_mov_b32_e32 v21, s10
	s_xor_b64 exec, exec, s[6:7]
	s_cbranch_execnz .LBB32_3080
.LBB32_1030:
	s_or_b64 exec, exec, s[6:7]
	s_and_saveexec_b64 s[6:7], s[4:5]
	s_cbranch_execz .LBB32_1032
.LBB32_1031:
	v_and_b32_e32 v21, 7, v10
	v_ffbh_u32_e32 v23, v21
	v_min_u32_e32 v23, 32, v23
	v_lshrrev_b16_e32 v22, 3, v10
	v_subrev_u32_e32 v24, 28, v23
	v_and_b32_e32 v22, 15, v22
	v_lshlrev_b32_e32 v24, v24, v10
	v_sub_u32_e32 v23, 29, v23
	v_and_b32_e32 v24, 7, v24
	v_cmp_eq_u16_e32 vcc, 0, v22
	v_cndmask_b32_e32 v21, v21, v24, vcc
	v_cndmask_b32_e32 v22, v22, v23, vcc
	v_lshlrev_b32_e32 v23, 24, v10
	v_mov_b32_e32 v24, 0x3b800000
	v_lshlrev_b32_e32 v21, 20, v21
	v_and_b32_e32 v23, 0x80000000, v23
	v_lshl_add_u32 v22, v22, 23, v24
	v_or3_b32 v21, v23, v22, v21
.LBB32_1032:
	s_or_b64 exec, exec, s[6:7]
	flat_load_dwordx4 a[0:3], v[18:19] offset:576
	s_movk_i32 s4, 0x7f
                                        ; implicit-def: $sgpr10
	s_waitcnt vmcnt(0) lgkmcnt(0)
	v_mfma_f32_16x16x4f32 a[0:3], v20, v21, a[0:3]
	v_lshrrev_b32_e32 v21, 8, v14
	v_cmp_gt_i16_sdwa s[6:7], v21, s4 src0_sel:BYTE_0 src1_sel:DWORD
	s_mov_b64 s[4:5], 0
	s_and_saveexec_b64 s[8:9], s[6:7]
	s_xor_b64 s[6:7], exec, s[8:9]
	s_cbranch_execnz .LBB32_3081
; %bb.1033:
	s_or_saveexec_b64 s[6:7], s[6:7]
	v_mov_b32_e32 v20, s10
	s_xor_b64 exec, exec, s[6:7]
	s_cbranch_execnz .LBB32_3084
.LBB32_1034:
	s_or_b64 exec, exec, s[6:7]
	s_and_saveexec_b64 s[6:7], s[4:5]
	s_cbranch_execz .LBB32_1036
.LBB32_1035:
	v_bfe_u32 v20, v14, 8, 3
	v_ffbh_u32_e32 v23, v20
	v_min_u32_e32 v23, 32, v23
	v_lshrrev_b16_e32 v22, 3, v21
	v_subrev_u32_e32 v24, 28, v23
	v_and_b32_e32 v22, 15, v22
	v_lshlrev_b32_e32 v21, v24, v21
	v_sub_u32_e32 v23, 29, v23
	v_and_b32_e32 v21, 7, v21
	v_cmp_eq_u16_e32 vcc, 0, v22
	v_cndmask_b32_e32 v20, v20, v21, vcc
	v_cndmask_b32_e32 v21, v22, v23, vcc
	v_lshlrev_b32_e32 v22, 16, v14
	v_mov_b32_e32 v23, 0x3b800000
	v_lshlrev_b32_e32 v20, 20, v20
	v_and_b32_e32 v22, 0x80000000, v22
	v_lshl_add_u32 v21, v21, 23, v23
	v_or3_b32 v20, v22, v21, v20
.LBB32_1036:
	s_or_b64 exec, exec, s[6:7]
	v_lshrrev_b32_e32 v21, 8, v10
	s_movk_i32 s4, 0x7f
	v_cmp_gt_i16_sdwa s[6:7], v21, s4 src0_sel:BYTE_0 src1_sel:DWORD
	s_mov_b64 s[4:5], 0
                                        ; implicit-def: $sgpr10
	s_and_saveexec_b64 s[8:9], s[6:7]
	s_xor_b64 s[6:7], exec, s[8:9]
	s_cbranch_execnz .LBB32_3085
; %bb.1037:
	s_or_saveexec_b64 s[6:7], s[6:7]
	v_mov_b32_e32 v22, s10
	s_xor_b64 exec, exec, s[6:7]
	s_cbranch_execnz .LBB32_3088
.LBB32_1038:
	s_or_b64 exec, exec, s[6:7]
	s_and_saveexec_b64 s[6:7], s[4:5]
	s_cbranch_execz .LBB32_1040
.LBB32_1039:
	v_bfe_u32 v22, v10, 8, 3
	v_ffbh_u32_e32 v24, v22
	v_min_u32_e32 v24, 32, v24
	v_lshrrev_b16_e32 v23, 3, v21
	v_subrev_u32_e32 v25, 28, v24
	v_and_b32_e32 v23, 15, v23
	v_lshlrev_b32_e32 v21, v25, v21
	v_sub_u32_e32 v24, 29, v24
	v_and_b32_e32 v21, 7, v21
	v_cmp_eq_u16_e32 vcc, 0, v23
	v_cndmask_b32_e32 v21, v22, v21, vcc
	v_cndmask_b32_e32 v22, v23, v24, vcc
	v_lshlrev_b32_e32 v23, 16, v10
	v_mov_b32_e32 v24, 0x3b800000
	v_lshlrev_b32_e32 v21, 20, v21
	v_and_b32_e32 v23, 0x80000000, v23
	v_lshl_add_u32 v22, v22, 23, v24
	v_or3_b32 v22, v23, v22, v21
.LBB32_1040:
	s_or_b64 exec, exec, s[6:7]
	s_nop 0
	v_mfma_f32_16x16x4f32 a[0:3], v20, v22, a[0:3]
	s_movk_i32 s4, 0xff
	v_and_b32_sdwa v21, v14, s4 dst_sel:DWORD dst_unused:UNUSED_PAD src0_sel:WORD_1 src1_sel:DWORD
	s_movk_i32 s4, 0x7f
	v_cmp_lt_i16_e32 vcc, s4, v21
	s_mov_b64 s[4:5], 0
                                        ; implicit-def: $sgpr10
	s_and_saveexec_b64 s[6:7], vcc
	s_xor_b64 s[6:7], exec, s[6:7]
	s_cbranch_execnz .LBB32_3089
; %bb.1041:
	s_or_saveexec_b64 s[6:7], s[6:7]
	v_mov_b32_e32 v20, s10
	s_xor_b64 exec, exec, s[6:7]
	s_cbranch_execnz .LBB32_3092
.LBB32_1042:
	s_or_b64 exec, exec, s[6:7]
	s_and_saveexec_b64 s[6:7], s[4:5]
	s_cbranch_execz .LBB32_1044
.LBB32_1043:
	v_bfe_u32 v20, v14, 16, 3
	v_ffbh_u32_e32 v23, v20
	v_min_u32_e32 v23, 32, v23
	v_lshrrev_b32_e32 v21, 19, v14
	v_subrev_u32_e32 v24, 28, v23
	v_and_b32_e32 v21, 15, v21
	v_lshlrev_b32_sdwa v24, v24, v14 dst_sel:DWORD dst_unused:UNUSED_PAD src0_sel:DWORD src1_sel:WORD_1
	v_bfe_u32 v22, v14, 19, 4
	v_sub_u32_e32 v23, 29, v23
	v_and_b32_e32 v24, 7, v24
	v_cmp_eq_u16_e32 vcc, 0, v21
	v_cndmask_b32_e32 v20, v20, v24, vcc
	v_cndmask_b32_e32 v21, v22, v23, vcc
	v_lshlrev_b32_e32 v22, 8, v14
	v_mov_b32_e32 v23, 0x3b800000
	v_lshlrev_b32_e32 v20, 20, v20
	v_and_b32_e32 v22, 0x80000000, v22
	v_lshl_add_u32 v21, v21, 23, v23
	v_or3_b32 v20, v22, v21, v20
.LBB32_1044:
	s_or_b64 exec, exec, s[6:7]
	s_movk_i32 s4, 0xff
	v_and_b32_sdwa v21, v10, s4 dst_sel:DWORD dst_unused:UNUSED_PAD src0_sel:WORD_1 src1_sel:DWORD
	s_movk_i32 s4, 0x7f
	v_cmp_lt_i16_e32 vcc, s4, v21
	s_mov_b64 s[4:5], 0
                                        ; implicit-def: $sgpr10
	s_and_saveexec_b64 s[6:7], vcc
	s_xor_b64 s[6:7], exec, s[6:7]
	s_cbranch_execnz .LBB32_3093
; %bb.1045:
	s_or_saveexec_b64 s[6:7], s[6:7]
	v_mov_b32_e32 v22, s10
	s_xor_b64 exec, exec, s[6:7]
	s_cbranch_execnz .LBB32_3096
.LBB32_1046:
	s_or_b64 exec, exec, s[6:7]
	s_and_saveexec_b64 s[6:7], s[4:5]
	s_cbranch_execz .LBB32_1048
.LBB32_1047:
	v_bfe_u32 v21, v10, 16, 3
	v_ffbh_u32_e32 v24, v21
	v_min_u32_e32 v24, 32, v24
	v_lshrrev_b32_e32 v22, 19, v10
	v_subrev_u32_e32 v25, 28, v24
	v_and_b32_e32 v22, 15, v22
	v_lshlrev_b32_sdwa v25, v25, v10 dst_sel:DWORD dst_unused:UNUSED_PAD src0_sel:DWORD src1_sel:WORD_1
	v_bfe_u32 v23, v10, 19, 4
	v_sub_u32_e32 v24, 29, v24
	v_and_b32_e32 v25, 7, v25
	v_cmp_eq_u16_e32 vcc, 0, v22
	v_cndmask_b32_e32 v21, v21, v25, vcc
	v_cndmask_b32_e32 v22, v23, v24, vcc
	v_lshlrev_b32_e32 v23, 8, v10
	v_mov_b32_e32 v24, 0x3b800000
	v_lshlrev_b32_e32 v21, 20, v21
	v_and_b32_e32 v23, 0x80000000, v23
	v_lshl_add_u32 v22, v22, 23, v24
	v_or3_b32 v22, v23, v22, v21
.LBB32_1048:
	s_or_b64 exec, exec, s[6:7]
	s_nop 0
	v_mfma_f32_16x16x4f32 a[0:3], v20, v22, a[0:3]
	s_movk_i32 s4, 0x7f
	v_cmp_gt_i16_sdwa s[6:7], v14, s4 src0_sel:BYTE_3 src1_sel:DWORD
	s_mov_b64 s[4:5], 0
                                        ; implicit-def: $sgpr10
	s_and_saveexec_b64 s[8:9], s[6:7]
	s_xor_b64 s[6:7], exec, s[8:9]
	s_cbranch_execnz .LBB32_3097
; %bb.1049:
	s_or_saveexec_b64 s[6:7], s[6:7]
	v_mov_b32_e32 v20, s10
	s_xor_b64 exec, exec, s[6:7]
	s_cbranch_execnz .LBB32_3100
.LBB32_1050:
	s_or_b64 exec, exec, s[6:7]
	s_and_saveexec_b64 s[6:7], s[4:5]
	s_cbranch_execz .LBB32_1052
.LBB32_1051:
	v_bfe_u32 v20, v14, 24, 3
	v_ffbh_u32_e32 v24, v20
	v_min_u32_e32 v24, 32, v24
	v_lshrrev_b32_e32 v22, 27, v14
	v_subrev_u32_e32 v25, 28, v24
	v_and_b32_e32 v21, 0x80000000, v14
	v_and_b32_e32 v22, 15, v22
	v_bfe_u32 v23, v14, 27, 4
	v_lshlrev_b32_sdwa v14, v25, v14 dst_sel:DWORD dst_unused:UNUSED_PAD src0_sel:DWORD src1_sel:BYTE_3
	v_sub_u32_e32 v24, 29, v24
	v_and_b32_e32 v14, 7, v14
	v_cmp_eq_u16_e32 vcc, 0, v22
	v_cndmask_b32_e32 v14, v20, v14, vcc
	v_cndmask_b32_e32 v20, v23, v24, vcc
	v_mov_b32_e32 v22, 0x3b800000
	v_lshlrev_b32_e32 v14, 20, v14
	v_lshl_add_u32 v20, v20, 23, v22
	v_or3_b32 v20, v21, v20, v14
.LBB32_1052:
	s_or_b64 exec, exec, s[6:7]
	s_movk_i32 s4, 0x7f
	v_cmp_gt_i16_sdwa s[6:7], v10, s4 src0_sel:BYTE_3 src1_sel:DWORD
	s_mov_b64 s[4:5], 0
                                        ; implicit-def: $sgpr10
	s_and_saveexec_b64 s[8:9], s[6:7]
	s_xor_b64 s[6:7], exec, s[8:9]
	s_cbranch_execnz .LBB32_3101
; %bb.1053:
	s_or_saveexec_b64 s[6:7], s[6:7]
	v_mov_b32_e32 v14, s10
	s_xor_b64 exec, exec, s[6:7]
	s_cbranch_execnz .LBB32_3104
.LBB32_1054:
	s_or_b64 exec, exec, s[6:7]
	s_and_saveexec_b64 s[6:7], s[4:5]
	s_cbranch_execz .LBB32_1056
.LBB32_1055:
	v_bfe_u32 v14, v10, 24, 3
	v_ffbh_u32_e32 v24, v14
	v_min_u32_e32 v24, 32, v24
	v_lshrrev_b32_e32 v22, 27, v10
	v_subrev_u32_e32 v25, 28, v24
	v_and_b32_e32 v21, 0x80000000, v10
	v_and_b32_e32 v22, 15, v22
	v_bfe_u32 v23, v10, 27, 4
	v_lshlrev_b32_sdwa v10, v25, v10 dst_sel:DWORD dst_unused:UNUSED_PAD src0_sel:DWORD src1_sel:BYTE_3
	v_sub_u32_e32 v24, 29, v24
	v_and_b32_e32 v10, 7, v10
	v_cmp_eq_u16_e32 vcc, 0, v22
	v_cndmask_b32_e32 v10, v14, v10, vcc
	v_cndmask_b32_e32 v14, v23, v24, vcc
	v_mov_b32_e32 v22, 0x3b800000
	v_lshlrev_b32_e32 v10, 20, v10
	v_lshl_add_u32 v14, v14, 23, v22
	v_or3_b32 v14, v21, v14, v10
.LBB32_1056:
	s_or_b64 exec, exec, s[6:7]
	s_nop 0
	v_mfma_f32_16x16x4f32 a[0:3], v20, v14, a[0:3]
	s_movk_i32 s4, 0x7f
	v_cmp_gt_i16_sdwa s[6:7], v15, s4 src0_sel:BYTE_0 src1_sel:DWORD
	s_mov_b64 s[4:5], 0
                                        ; implicit-def: $sgpr10
	s_and_saveexec_b64 s[8:9], s[6:7]
	s_xor_b64 s[6:7], exec, s[8:9]
	s_cbranch_execnz .LBB32_3105
; %bb.1057:
	s_or_saveexec_b64 s[6:7], s[6:7]
	v_mov_b32_e32 v10, s10
	s_xor_b64 exec, exec, s[6:7]
	s_cbranch_execnz .LBB32_3108
.LBB32_1058:
	s_or_b64 exec, exec, s[6:7]
	s_and_saveexec_b64 s[6:7], s[4:5]
	s_cbranch_execz .LBB32_1060
.LBB32_1059:
	v_and_b32_e32 v10, 7, v15
	v_ffbh_u32_e32 v20, v10
	v_min_u32_e32 v20, 32, v20
	v_lshrrev_b16_e32 v14, 3, v15
	v_subrev_u32_e32 v21, 28, v20
	v_and_b32_e32 v14, 15, v14
	v_lshlrev_b32_e32 v21, v21, v15
	v_sub_u32_e32 v20, 29, v20
	v_and_b32_e32 v21, 7, v21
	v_cmp_eq_u16_e32 vcc, 0, v14
	v_cndmask_b32_e32 v10, v10, v21, vcc
	v_cndmask_b32_e32 v14, v14, v20, vcc
	v_lshlrev_b32_e32 v20, 24, v15
	v_mov_b32_e32 v21, 0x3b800000
	v_lshlrev_b32_e32 v10, 20, v10
	v_and_b32_e32 v20, 0x80000000, v20
	v_lshl_add_u32 v14, v14, 23, v21
	v_or3_b32 v10, v20, v14, v10
.LBB32_1060:
	s_or_b64 exec, exec, s[6:7]
	s_movk_i32 s4, 0x7f
	v_cmp_gt_i16_sdwa s[6:7], v11, s4 src0_sel:BYTE_0 src1_sel:DWORD
	s_mov_b64 s[4:5], 0
                                        ; implicit-def: $sgpr10
	s_and_saveexec_b64 s[8:9], s[6:7]
	s_xor_b64 s[6:7], exec, s[8:9]
	s_cbranch_execnz .LBB32_3109
; %bb.1061:
	s_or_saveexec_b64 s[6:7], s[6:7]
	v_mov_b32_e32 v14, s10
	s_xor_b64 exec, exec, s[6:7]
	s_cbranch_execnz .LBB32_3112
.LBB32_1062:
	s_or_b64 exec, exec, s[6:7]
	s_and_saveexec_b64 s[6:7], s[4:5]
	s_cbranch_execz .LBB32_1064
.LBB32_1063:
	v_and_b32_e32 v14, 7, v11
	v_ffbh_u32_e32 v21, v14
	v_min_u32_e32 v21, 32, v21
	v_lshrrev_b16_e32 v20, 3, v11
	v_subrev_u32_e32 v22, 28, v21
	v_and_b32_e32 v20, 15, v20
	v_lshlrev_b32_e32 v22, v22, v11
	v_sub_u32_e32 v21, 29, v21
	v_and_b32_e32 v22, 7, v22
	v_cmp_eq_u16_e32 vcc, 0, v20
	v_cndmask_b32_e32 v14, v14, v22, vcc
	v_cndmask_b32_e32 v20, v20, v21, vcc
	v_lshlrev_b32_e32 v21, 24, v11
	v_mov_b32_e32 v22, 0x3b800000
	v_lshlrev_b32_e32 v14, 20, v14
	v_and_b32_e32 v21, 0x80000000, v21
	v_lshl_add_u32 v20, v20, 23, v22
	v_or3_b32 v14, v21, v20, v14
.LBB32_1064:
	s_or_b64 exec, exec, s[6:7]
	s_nop 0
	v_mfma_f32_16x16x4f32 a[0:3], v10, v14, a[0:3]
	v_lshrrev_b32_e32 v14, 8, v15
	s_movk_i32 s4, 0x7f
	v_cmp_gt_i16_sdwa s[6:7], v14, s4 src0_sel:BYTE_0 src1_sel:DWORD
	s_mov_b64 s[4:5], 0
                                        ; implicit-def: $sgpr10
	s_and_saveexec_b64 s[8:9], s[6:7]
	s_xor_b64 s[6:7], exec, s[8:9]
	s_cbranch_execnz .LBB32_3113
; %bb.1065:
	s_or_saveexec_b64 s[6:7], s[6:7]
	v_mov_b32_e32 v10, s10
	s_xor_b64 exec, exec, s[6:7]
	s_cbranch_execnz .LBB32_3116
.LBB32_1066:
	s_or_b64 exec, exec, s[6:7]
	s_and_saveexec_b64 s[6:7], s[4:5]
	s_cbranch_execz .LBB32_1068
.LBB32_1067:
	v_bfe_u32 v10, v15, 8, 3
	v_ffbh_u32_e32 v21, v10
	v_min_u32_e32 v21, 32, v21
	v_lshrrev_b16_e32 v20, 3, v14
	v_subrev_u32_e32 v22, 28, v21
	v_and_b32_e32 v20, 15, v20
	v_lshlrev_b32_e32 v14, v22, v14
	v_sub_u32_e32 v21, 29, v21
	v_and_b32_e32 v14, 7, v14
	v_cmp_eq_u16_e32 vcc, 0, v20
	v_cndmask_b32_e32 v10, v10, v14, vcc
	v_cndmask_b32_e32 v14, v20, v21, vcc
	v_lshlrev_b32_e32 v20, 16, v15
	v_mov_b32_e32 v21, 0x3b800000
	v_lshlrev_b32_e32 v10, 20, v10
	v_and_b32_e32 v20, 0x80000000, v20
	v_lshl_add_u32 v14, v14, 23, v21
	v_or3_b32 v10, v20, v14, v10
.LBB32_1068:
	s_or_b64 exec, exec, s[6:7]
	v_lshrrev_b32_e32 v14, 8, v11
	s_movk_i32 s4, 0x7f
	v_cmp_gt_i16_sdwa s[6:7], v14, s4 src0_sel:BYTE_0 src1_sel:DWORD
	s_mov_b64 s[4:5], 0
                                        ; implicit-def: $sgpr10
	s_and_saveexec_b64 s[8:9], s[6:7]
	s_xor_b64 s[6:7], exec, s[8:9]
	s_cbranch_execnz .LBB32_3117
; %bb.1069:
	s_or_saveexec_b64 s[6:7], s[6:7]
	v_mov_b32_e32 v20, s10
	s_xor_b64 exec, exec, s[6:7]
	s_cbranch_execnz .LBB32_3120
.LBB32_1070:
	s_or_b64 exec, exec, s[6:7]
	s_and_saveexec_b64 s[6:7], s[4:5]
	s_cbranch_execz .LBB32_1072
.LBB32_1071:
	v_bfe_u32 v20, v11, 8, 3
	v_ffbh_u32_e32 v22, v20
	v_min_u32_e32 v22, 32, v22
	v_lshrrev_b16_e32 v21, 3, v14
	v_subrev_u32_e32 v23, 28, v22
	v_and_b32_e32 v21, 15, v21
	v_lshlrev_b32_e32 v14, v23, v14
	v_sub_u32_e32 v22, 29, v22
	v_and_b32_e32 v14, 7, v14
	v_cmp_eq_u16_e32 vcc, 0, v21
	v_cndmask_b32_e32 v14, v20, v14, vcc
	v_cndmask_b32_e32 v20, v21, v22, vcc
	v_lshlrev_b32_e32 v21, 16, v11
	v_mov_b32_e32 v22, 0x3b800000
	v_lshlrev_b32_e32 v14, 20, v14
	v_and_b32_e32 v21, 0x80000000, v21
	v_lshl_add_u32 v20, v20, 23, v22
	v_or3_b32 v20, v21, v20, v14
.LBB32_1072:
	s_or_b64 exec, exec, s[6:7]
	s_nop 0
	v_mfma_f32_16x16x4f32 a[0:3], v10, v20, a[0:3]
	s_movk_i32 s4, 0xff
	v_and_b32_sdwa v14, v15, s4 dst_sel:DWORD dst_unused:UNUSED_PAD src0_sel:WORD_1 src1_sel:DWORD
	s_movk_i32 s4, 0x7f
	v_cmp_lt_i16_e32 vcc, s4, v14
	s_mov_b64 s[4:5], 0
                                        ; implicit-def: $sgpr10
	s_and_saveexec_b64 s[6:7], vcc
	s_xor_b64 s[6:7], exec, s[6:7]
	s_cbranch_execnz .LBB32_3121
; %bb.1073:
	s_or_saveexec_b64 s[6:7], s[6:7]
	v_mov_b32_e32 v10, s10
	s_xor_b64 exec, exec, s[6:7]
	s_cbranch_execnz .LBB32_3124
.LBB32_1074:
	s_or_b64 exec, exec, s[6:7]
	s_and_saveexec_b64 s[6:7], s[4:5]
	s_cbranch_execz .LBB32_1076
.LBB32_1075:
	v_bfe_u32 v10, v15, 16, 3
	v_ffbh_u32_e32 v21, v10
	v_min_u32_e32 v21, 32, v21
	v_lshrrev_b32_e32 v14, 19, v15
	v_subrev_u32_e32 v22, 28, v21
	v_and_b32_e32 v14, 15, v14
	v_lshlrev_b32_sdwa v22, v22, v15 dst_sel:DWORD dst_unused:UNUSED_PAD src0_sel:DWORD src1_sel:WORD_1
	v_bfe_u32 v20, v15, 19, 4
	v_sub_u32_e32 v21, 29, v21
	v_and_b32_e32 v22, 7, v22
	v_cmp_eq_u16_e32 vcc, 0, v14
	v_cndmask_b32_e32 v10, v10, v22, vcc
	v_cndmask_b32_e32 v14, v20, v21, vcc
	v_lshlrev_b32_e32 v20, 8, v15
	v_mov_b32_e32 v21, 0x3b800000
	v_lshlrev_b32_e32 v10, 20, v10
	v_and_b32_e32 v20, 0x80000000, v20
	v_lshl_add_u32 v14, v14, 23, v21
	v_or3_b32 v10, v20, v14, v10
.LBB32_1076:
	s_or_b64 exec, exec, s[6:7]
	s_movk_i32 s4, 0xff
	v_and_b32_sdwa v14, v11, s4 dst_sel:DWORD dst_unused:UNUSED_PAD src0_sel:WORD_1 src1_sel:DWORD
	s_movk_i32 s4, 0x7f
	v_cmp_lt_i16_e32 vcc, s4, v14
	s_mov_b64 s[4:5], 0
                                        ; implicit-def: $sgpr10
	s_and_saveexec_b64 s[6:7], vcc
	s_xor_b64 s[6:7], exec, s[6:7]
	s_cbranch_execnz .LBB32_3125
; %bb.1077:
	s_or_saveexec_b64 s[6:7], s[6:7]
	v_mov_b32_e32 v20, s10
	s_xor_b64 exec, exec, s[6:7]
	s_cbranch_execnz .LBB32_3128
.LBB32_1078:
	s_or_b64 exec, exec, s[6:7]
	s_and_saveexec_b64 s[6:7], s[4:5]
	s_cbranch_execz .LBB32_1080
.LBB32_1079:
	v_bfe_u32 v14, v11, 16, 3
	v_ffbh_u32_e32 v22, v14
	v_min_u32_e32 v22, 32, v22
	v_lshrrev_b32_e32 v20, 19, v11
	v_subrev_u32_e32 v23, 28, v22
	v_and_b32_e32 v20, 15, v20
	v_lshlrev_b32_sdwa v23, v23, v11 dst_sel:DWORD dst_unused:UNUSED_PAD src0_sel:DWORD src1_sel:WORD_1
	v_bfe_u32 v21, v11, 19, 4
	v_sub_u32_e32 v22, 29, v22
	v_and_b32_e32 v23, 7, v23
	v_cmp_eq_u16_e32 vcc, 0, v20
	v_cndmask_b32_e32 v14, v14, v23, vcc
	v_cndmask_b32_e32 v20, v21, v22, vcc
	v_lshlrev_b32_e32 v21, 8, v11
	v_mov_b32_e32 v22, 0x3b800000
	v_lshlrev_b32_e32 v14, 20, v14
	v_and_b32_e32 v21, 0x80000000, v21
	v_lshl_add_u32 v20, v20, 23, v22
	v_or3_b32 v20, v21, v20, v14
.LBB32_1080:
	s_or_b64 exec, exec, s[6:7]
	s_nop 0
	v_mfma_f32_16x16x4f32 a[0:3], v10, v20, a[0:3]
	s_movk_i32 s4, 0x7f
	v_cmp_gt_i16_sdwa s[6:7], v15, s4 src0_sel:BYTE_3 src1_sel:DWORD
	s_mov_b64 s[4:5], 0
                                        ; implicit-def: $sgpr10
	s_and_saveexec_b64 s[8:9], s[6:7]
	s_xor_b64 s[6:7], exec, s[8:9]
	s_cbranch_execnz .LBB32_3129
; %bb.1081:
	s_or_saveexec_b64 s[6:7], s[6:7]
	v_mov_b32_e32 v10, s10
	s_xor_b64 exec, exec, s[6:7]
	s_cbranch_execnz .LBB32_3132
.LBB32_1082:
	s_or_b64 exec, exec, s[6:7]
	s_and_saveexec_b64 s[6:7], s[4:5]
	s_cbranch_execz .LBB32_1084
.LBB32_1083:
	v_bfe_u32 v10, v15, 24, 3
	v_ffbh_u32_e32 v22, v10
	v_min_u32_e32 v22, 32, v22
	v_lshrrev_b32_e32 v20, 27, v15
	v_subrev_u32_e32 v23, 28, v22
	v_and_b32_e32 v14, 0x80000000, v15
	v_and_b32_e32 v20, 15, v20
	v_bfe_u32 v21, v15, 27, 4
	v_lshlrev_b32_sdwa v15, v23, v15 dst_sel:DWORD dst_unused:UNUSED_PAD src0_sel:DWORD src1_sel:BYTE_3
	v_sub_u32_e32 v22, 29, v22
	v_and_b32_e32 v15, 7, v15
	v_cmp_eq_u16_e32 vcc, 0, v20
	v_cndmask_b32_e32 v10, v10, v15, vcc
	v_cndmask_b32_e32 v15, v21, v22, vcc
	v_mov_b32_e32 v20, 0x3b800000
	v_lshlrev_b32_e32 v10, 20, v10
	v_lshl_add_u32 v15, v15, 23, v20
	v_or3_b32 v10, v14, v15, v10
.LBB32_1084:
	s_or_b64 exec, exec, s[6:7]
	s_movk_i32 s4, 0x7f
	v_cmp_gt_i16_sdwa s[6:7], v11, s4 src0_sel:BYTE_3 src1_sel:DWORD
	s_mov_b64 s[4:5], 0
                                        ; implicit-def: $sgpr10
	s_and_saveexec_b64 s[8:9], s[6:7]
	s_xor_b64 s[6:7], exec, s[8:9]
	s_cbranch_execnz .LBB32_3133
; %bb.1085:
	s_or_saveexec_b64 s[6:7], s[6:7]
	v_mov_b32_e32 v14, s10
	s_xor_b64 exec, exec, s[6:7]
	s_cbranch_execnz .LBB32_3136
.LBB32_1086:
	s_or_b64 exec, exec, s[6:7]
	s_and_saveexec_b64 s[6:7], s[4:5]
	s_cbranch_execz .LBB32_1088
.LBB32_1087:
	v_bfe_u32 v14, v11, 24, 3
	v_ffbh_u32_e32 v22, v14
	v_min_u32_e32 v22, 32, v22
	v_lshrrev_b32_e32 v20, 27, v11
	v_subrev_u32_e32 v23, 28, v22
	v_and_b32_e32 v15, 0x80000000, v11
	v_and_b32_e32 v20, 15, v20
	v_bfe_u32 v21, v11, 27, 4
	v_lshlrev_b32_sdwa v11, v23, v11 dst_sel:DWORD dst_unused:UNUSED_PAD src0_sel:DWORD src1_sel:BYTE_3
	v_sub_u32_e32 v22, 29, v22
	v_and_b32_e32 v11, 7, v11
	v_cmp_eq_u16_e32 vcc, 0, v20
	v_cndmask_b32_e32 v11, v14, v11, vcc
	v_cndmask_b32_e32 v14, v21, v22, vcc
	v_mov_b32_e32 v20, 0x3b800000
	v_lshlrev_b32_e32 v11, 20, v11
	v_lshl_add_u32 v14, v14, 23, v20
	v_or3_b32 v14, v15, v14, v11
.LBB32_1088:
	s_or_b64 exec, exec, s[6:7]
	s_nop 0
	v_mfma_f32_16x16x4f32 a[0:3], v10, v14, a[0:3]
	s_movk_i32 s4, 0x7f
	v_cmp_gt_i16_sdwa s[6:7], v16, s4 src0_sel:BYTE_0 src1_sel:DWORD
	s_mov_b64 s[4:5], 0
                                        ; implicit-def: $sgpr10
	s_and_saveexec_b64 s[8:9], s[6:7]
	s_xor_b64 s[6:7], exec, s[8:9]
	s_cbranch_execnz .LBB32_3137
; %bb.1089:
	s_or_saveexec_b64 s[6:7], s[6:7]
	v_mov_b32_e32 v10, s10
	s_xor_b64 exec, exec, s[6:7]
	s_cbranch_execnz .LBB32_3140
.LBB32_1090:
	s_or_b64 exec, exec, s[6:7]
	s_and_saveexec_b64 s[6:7], s[4:5]
	s_cbranch_execz .LBB32_1092
.LBB32_1091:
	v_and_b32_e32 v10, 7, v16
	v_ffbh_u32_e32 v14, v10
	v_min_u32_e32 v14, 32, v14
	v_lshrrev_b16_e32 v11, 3, v16
	v_subrev_u32_e32 v15, 28, v14
	v_and_b32_e32 v11, 15, v11
	v_lshlrev_b32_e32 v15, v15, v16
	v_sub_u32_e32 v14, 29, v14
	v_and_b32_e32 v15, 7, v15
	v_cmp_eq_u16_e32 vcc, 0, v11
	v_cndmask_b32_e32 v10, v10, v15, vcc
	v_cndmask_b32_e32 v11, v11, v14, vcc
	v_lshlrev_b32_e32 v14, 24, v16
	v_mov_b32_e32 v15, 0x3b800000
	v_lshlrev_b32_e32 v10, 20, v10
	v_and_b32_e32 v14, 0x80000000, v14
	v_lshl_add_u32 v11, v11, 23, v15
	v_or3_b32 v10, v14, v11, v10
.LBB32_1092:
	s_or_b64 exec, exec, s[6:7]
	s_movk_i32 s4, 0x7f
	v_cmp_gt_i16_sdwa s[6:7], v12, s4 src0_sel:BYTE_0 src1_sel:DWORD
	s_mov_b64 s[4:5], 0
                                        ; implicit-def: $sgpr10
	s_and_saveexec_b64 s[8:9], s[6:7]
	s_xor_b64 s[6:7], exec, s[8:9]
	s_cbranch_execnz .LBB32_3141
; %bb.1093:
	s_or_saveexec_b64 s[6:7], s[6:7]
	v_mov_b32_e32 v11, s10
	s_xor_b64 exec, exec, s[6:7]
	s_cbranch_execnz .LBB32_3144
.LBB32_1094:
	s_or_b64 exec, exec, s[6:7]
	s_and_saveexec_b64 s[6:7], s[4:5]
	s_cbranch_execz .LBB32_1096
.LBB32_1095:
	v_and_b32_e32 v11, 7, v12
	v_ffbh_u32_e32 v15, v11
	v_min_u32_e32 v15, 32, v15
	v_lshrrev_b16_e32 v14, 3, v12
	v_subrev_u32_e32 v20, 28, v15
	v_and_b32_e32 v14, 15, v14
	v_lshlrev_b32_e32 v20, v20, v12
	v_sub_u32_e32 v15, 29, v15
	v_and_b32_e32 v20, 7, v20
	v_cmp_eq_u16_e32 vcc, 0, v14
	v_cndmask_b32_e32 v11, v11, v20, vcc
	v_cndmask_b32_e32 v14, v14, v15, vcc
	v_lshlrev_b32_e32 v15, 24, v12
	v_mov_b32_e32 v20, 0x3b800000
	v_lshlrev_b32_e32 v11, 20, v11
	v_and_b32_e32 v15, 0x80000000, v15
	v_lshl_add_u32 v14, v14, 23, v20
	v_or3_b32 v11, v15, v14, v11
.LBB32_1096:
	s_or_b64 exec, exec, s[6:7]
	s_nop 0
	v_mfma_f32_16x16x4f32 a[0:3], v10, v11, a[0:3]
	v_lshrrev_b32_e32 v11, 8, v16
	s_movk_i32 s4, 0x7f
	v_cmp_gt_i16_sdwa s[6:7], v11, s4 src0_sel:BYTE_0 src1_sel:DWORD
	s_mov_b64 s[4:5], 0
                                        ; implicit-def: $sgpr10
	s_and_saveexec_b64 s[8:9], s[6:7]
	s_xor_b64 s[6:7], exec, s[8:9]
	s_cbranch_execnz .LBB32_3145
; %bb.1097:
	s_or_saveexec_b64 s[6:7], s[6:7]
	v_mov_b32_e32 v10, s10
	s_xor_b64 exec, exec, s[6:7]
	s_cbranch_execnz .LBB32_3148
.LBB32_1098:
	s_or_b64 exec, exec, s[6:7]
	s_and_saveexec_b64 s[6:7], s[4:5]
	s_cbranch_execz .LBB32_1100
.LBB32_1099:
	v_bfe_u32 v10, v16, 8, 3
	v_ffbh_u32_e32 v15, v10
	v_min_u32_e32 v15, 32, v15
	v_lshrrev_b16_e32 v14, 3, v11
	v_subrev_u32_e32 v20, 28, v15
	v_and_b32_e32 v14, 15, v14
	v_lshlrev_b32_e32 v11, v20, v11
	v_sub_u32_e32 v15, 29, v15
	v_and_b32_e32 v11, 7, v11
	v_cmp_eq_u16_e32 vcc, 0, v14
	v_cndmask_b32_e32 v10, v10, v11, vcc
	v_cndmask_b32_e32 v11, v14, v15, vcc
	v_lshlrev_b32_e32 v14, 16, v16
	v_mov_b32_e32 v15, 0x3b800000
	v_lshlrev_b32_e32 v10, 20, v10
	v_and_b32_e32 v14, 0x80000000, v14
	v_lshl_add_u32 v11, v11, 23, v15
	v_or3_b32 v10, v14, v11, v10
.LBB32_1100:
	s_or_b64 exec, exec, s[6:7]
	v_lshrrev_b32_e32 v11, 8, v12
	s_movk_i32 s4, 0x7f
	v_cmp_gt_i16_sdwa s[6:7], v11, s4 src0_sel:BYTE_0 src1_sel:DWORD
	s_mov_b64 s[4:5], 0
                                        ; implicit-def: $sgpr10
	s_and_saveexec_b64 s[8:9], s[6:7]
	s_xor_b64 s[6:7], exec, s[8:9]
	s_cbranch_execnz .LBB32_3149
; %bb.1101:
	s_or_saveexec_b64 s[6:7], s[6:7]
	v_mov_b32_e32 v14, s10
	s_xor_b64 exec, exec, s[6:7]
	s_cbranch_execnz .LBB32_3152
.LBB32_1102:
	s_or_b64 exec, exec, s[6:7]
	s_and_saveexec_b64 s[6:7], s[4:5]
	s_cbranch_execz .LBB32_1104
.LBB32_1103:
	v_bfe_u32 v14, v12, 8, 3
	v_ffbh_u32_e32 v20, v14
	v_min_u32_e32 v20, 32, v20
	v_lshrrev_b16_e32 v15, 3, v11
	v_subrev_u32_e32 v21, 28, v20
	v_and_b32_e32 v15, 15, v15
	v_lshlrev_b32_e32 v11, v21, v11
	v_sub_u32_e32 v20, 29, v20
	v_and_b32_e32 v11, 7, v11
	v_cmp_eq_u16_e32 vcc, 0, v15
	v_cndmask_b32_e32 v11, v14, v11, vcc
	v_cndmask_b32_e32 v14, v15, v20, vcc
	v_lshlrev_b32_e32 v15, 16, v12
	v_mov_b32_e32 v20, 0x3b800000
	v_lshlrev_b32_e32 v11, 20, v11
	v_and_b32_e32 v15, 0x80000000, v15
	v_lshl_add_u32 v14, v14, 23, v20
	v_or3_b32 v14, v15, v14, v11
.LBB32_1104:
	s_or_b64 exec, exec, s[6:7]
	s_nop 0
	v_mfma_f32_16x16x4f32 a[0:3], v10, v14, a[0:3]
	s_movk_i32 s4, 0xff
	v_and_b32_sdwa v11, v16, s4 dst_sel:DWORD dst_unused:UNUSED_PAD src0_sel:WORD_1 src1_sel:DWORD
	s_movk_i32 s4, 0x7f
	v_cmp_lt_i16_e32 vcc, s4, v11
	s_mov_b64 s[4:5], 0
                                        ; implicit-def: $sgpr10
	s_and_saveexec_b64 s[6:7], vcc
	s_xor_b64 s[6:7], exec, s[6:7]
	s_cbranch_execnz .LBB32_3153
; %bb.1105:
	s_or_saveexec_b64 s[6:7], s[6:7]
	v_mov_b32_e32 v10, s10
	s_xor_b64 exec, exec, s[6:7]
	s_cbranch_execnz .LBB32_3156
.LBB32_1106:
	s_or_b64 exec, exec, s[6:7]
	s_and_saveexec_b64 s[6:7], s[4:5]
	s_cbranch_execz .LBB32_1108
.LBB32_1107:
	v_bfe_u32 v10, v16, 16, 3
	v_ffbh_u32_e32 v15, v10
	v_min_u32_e32 v15, 32, v15
	v_lshrrev_b32_e32 v11, 19, v16
	v_subrev_u32_e32 v20, 28, v15
	v_and_b32_e32 v11, 15, v11
	v_lshlrev_b32_sdwa v20, v20, v16 dst_sel:DWORD dst_unused:UNUSED_PAD src0_sel:DWORD src1_sel:WORD_1
	v_bfe_u32 v14, v16, 19, 4
	v_sub_u32_e32 v15, 29, v15
	v_and_b32_e32 v20, 7, v20
	v_cmp_eq_u16_e32 vcc, 0, v11
	v_cndmask_b32_e32 v10, v10, v20, vcc
	v_cndmask_b32_e32 v11, v14, v15, vcc
	v_lshlrev_b32_e32 v14, 8, v16
	v_mov_b32_e32 v15, 0x3b800000
	v_lshlrev_b32_e32 v10, 20, v10
	v_and_b32_e32 v14, 0x80000000, v14
	v_lshl_add_u32 v11, v11, 23, v15
	v_or3_b32 v10, v14, v11, v10
.LBB32_1108:
	s_or_b64 exec, exec, s[6:7]
	s_movk_i32 s4, 0xff
	v_and_b32_sdwa v11, v12, s4 dst_sel:DWORD dst_unused:UNUSED_PAD src0_sel:WORD_1 src1_sel:DWORD
	s_movk_i32 s4, 0x7f
	v_cmp_lt_i16_e32 vcc, s4, v11
	s_mov_b64 s[4:5], 0
                                        ; implicit-def: $sgpr10
	s_and_saveexec_b64 s[6:7], vcc
	s_xor_b64 s[6:7], exec, s[6:7]
	s_cbranch_execnz .LBB32_3157
; %bb.1109:
	s_or_saveexec_b64 s[6:7], s[6:7]
	v_mov_b32_e32 v14, s10
	s_xor_b64 exec, exec, s[6:7]
	s_cbranch_execnz .LBB32_3160
.LBB32_1110:
	s_or_b64 exec, exec, s[6:7]
	s_and_saveexec_b64 s[6:7], s[4:5]
	s_cbranch_execz .LBB32_1112
.LBB32_1111:
	v_bfe_u32 v11, v12, 16, 3
	v_ffbh_u32_e32 v20, v11
	v_min_u32_e32 v20, 32, v20
	v_lshrrev_b32_e32 v14, 19, v12
	v_subrev_u32_e32 v21, 28, v20
	v_and_b32_e32 v14, 15, v14
	v_lshlrev_b32_sdwa v21, v21, v12 dst_sel:DWORD dst_unused:UNUSED_PAD src0_sel:DWORD src1_sel:WORD_1
	v_bfe_u32 v15, v12, 19, 4
	v_sub_u32_e32 v20, 29, v20
	v_and_b32_e32 v21, 7, v21
	v_cmp_eq_u16_e32 vcc, 0, v14
	v_cndmask_b32_e32 v11, v11, v21, vcc
	v_cndmask_b32_e32 v14, v15, v20, vcc
	v_lshlrev_b32_e32 v15, 8, v12
	v_mov_b32_e32 v20, 0x3b800000
	v_lshlrev_b32_e32 v11, 20, v11
	v_and_b32_e32 v15, 0x80000000, v15
	v_lshl_add_u32 v14, v14, 23, v20
	v_or3_b32 v14, v15, v14, v11
.LBB32_1112:
	s_or_b64 exec, exec, s[6:7]
	s_nop 0
	v_mfma_f32_16x16x4f32 a[0:3], v10, v14, a[0:3]
	s_movk_i32 s4, 0x7f
	v_cmp_gt_i16_sdwa s[6:7], v16, s4 src0_sel:BYTE_3 src1_sel:DWORD
	s_mov_b64 s[4:5], 0
                                        ; implicit-def: $sgpr10
	s_and_saveexec_b64 s[8:9], s[6:7]
	s_xor_b64 s[6:7], exec, s[8:9]
	s_cbranch_execnz .LBB32_3161
; %bb.1113:
	s_or_saveexec_b64 s[6:7], s[6:7]
	v_mov_b32_e32 v10, s10
	s_xor_b64 exec, exec, s[6:7]
	s_cbranch_execnz .LBB32_3164
.LBB32_1114:
	s_or_b64 exec, exec, s[6:7]
	s_and_saveexec_b64 s[6:7], s[4:5]
	s_cbranch_execz .LBB32_1116
.LBB32_1115:
	v_bfe_u32 v10, v16, 24, 3
	v_ffbh_u32_e32 v20, v10
	v_min_u32_e32 v20, 32, v20
	v_lshrrev_b32_e32 v14, 27, v16
	v_subrev_u32_e32 v21, 28, v20
	v_and_b32_e32 v11, 0x80000000, v16
	v_and_b32_e32 v14, 15, v14
	v_bfe_u32 v15, v16, 27, 4
	v_lshlrev_b32_sdwa v16, v21, v16 dst_sel:DWORD dst_unused:UNUSED_PAD src0_sel:DWORD src1_sel:BYTE_3
	v_sub_u32_e32 v20, 29, v20
	v_and_b32_e32 v16, 7, v16
	v_cmp_eq_u16_e32 vcc, 0, v14
	v_cndmask_b32_e32 v10, v10, v16, vcc
	v_cndmask_b32_e32 v14, v15, v20, vcc
	v_mov_b32_e32 v15, 0x3b800000
	v_lshlrev_b32_e32 v10, 20, v10
	v_lshl_add_u32 v14, v14, 23, v15
	v_or3_b32 v10, v11, v14, v10
.LBB32_1116:
	s_or_b64 exec, exec, s[6:7]
	s_movk_i32 s4, 0x7f
	v_cmp_gt_i16_sdwa s[6:7], v12, s4 src0_sel:BYTE_3 src1_sel:DWORD
	s_mov_b64 s[4:5], 0
                                        ; implicit-def: $sgpr10
	s_and_saveexec_b64 s[8:9], s[6:7]
	s_xor_b64 s[6:7], exec, s[8:9]
	s_cbranch_execnz .LBB32_3165
; %bb.1117:
	s_or_saveexec_b64 s[6:7], s[6:7]
	v_mov_b32_e32 v11, s10
	s_xor_b64 exec, exec, s[6:7]
	s_cbranch_execnz .LBB32_3168
.LBB32_1118:
	s_or_b64 exec, exec, s[6:7]
	s_and_saveexec_b64 s[6:7], s[4:5]
	s_cbranch_execz .LBB32_1120
.LBB32_1119:
	v_bfe_u32 v11, v12, 24, 3
	v_ffbh_u32_e32 v20, v11
	v_min_u32_e32 v20, 32, v20
	v_lshrrev_b32_e32 v15, 27, v12
	v_subrev_u32_e32 v21, 28, v20
	v_and_b32_e32 v14, 0x80000000, v12
	v_and_b32_e32 v15, 15, v15
	v_bfe_u32 v16, v12, 27, 4
	v_lshlrev_b32_sdwa v12, v21, v12 dst_sel:DWORD dst_unused:UNUSED_PAD src0_sel:DWORD src1_sel:BYTE_3
	v_sub_u32_e32 v20, 29, v20
	v_and_b32_e32 v12, 7, v12
	v_cmp_eq_u16_e32 vcc, 0, v15
	v_cndmask_b32_e32 v11, v11, v12, vcc
	v_cndmask_b32_e32 v12, v16, v20, vcc
	v_mov_b32_e32 v15, 0x3b800000
	v_lshlrev_b32_e32 v11, 20, v11
	v_lshl_add_u32 v12, v12, 23, v15
	v_or3_b32 v11, v14, v12, v11
.LBB32_1120:
	s_or_b64 exec, exec, s[6:7]
	s_nop 0
	v_mfma_f32_16x16x4f32 a[0:3], v10, v11, a[0:3]
	s_movk_i32 s4, 0x7f
	v_cmp_gt_i16_sdwa s[6:7], v17, s4 src0_sel:BYTE_0 src1_sel:DWORD
	s_mov_b64 s[4:5], 0
                                        ; implicit-def: $sgpr10
	s_and_saveexec_b64 s[8:9], s[6:7]
	s_xor_b64 s[6:7], exec, s[8:9]
	s_cbranch_execnz .LBB32_3169
; %bb.1121:
	s_or_saveexec_b64 s[6:7], s[6:7]
	v_mov_b32_e32 v10, s10
	s_xor_b64 exec, exec, s[6:7]
	s_cbranch_execnz .LBB32_3172
.LBB32_1122:
	s_or_b64 exec, exec, s[6:7]
	s_and_saveexec_b64 s[6:7], s[4:5]
	s_cbranch_execz .LBB32_1124
.LBB32_1123:
	v_and_b32_e32 v10, 7, v17
	v_ffbh_u32_e32 v12, v10
	v_min_u32_e32 v12, 32, v12
	v_lshrrev_b16_e32 v11, 3, v17
	v_subrev_u32_e32 v14, 28, v12
	v_and_b32_e32 v11, 15, v11
	v_lshlrev_b32_e32 v14, v14, v17
	v_sub_u32_e32 v12, 29, v12
	v_and_b32_e32 v14, 7, v14
	v_cmp_eq_u16_e32 vcc, 0, v11
	v_cndmask_b32_e32 v10, v10, v14, vcc
	v_cndmask_b32_e32 v11, v11, v12, vcc
	v_lshlrev_b32_e32 v12, 24, v17
	v_mov_b32_e32 v14, 0x3b800000
	v_lshlrev_b32_e32 v10, 20, v10
	v_and_b32_e32 v12, 0x80000000, v12
	v_lshl_add_u32 v11, v11, 23, v14
	v_or3_b32 v10, v12, v11, v10
.LBB32_1124:
	s_or_b64 exec, exec, s[6:7]
	s_movk_i32 s4, 0x7f
	v_cmp_gt_i16_sdwa s[6:7], v13, s4 src0_sel:BYTE_0 src1_sel:DWORD
	s_mov_b64 s[4:5], 0
                                        ; implicit-def: $sgpr10
	s_and_saveexec_b64 s[8:9], s[6:7]
	s_xor_b64 s[6:7], exec, s[8:9]
	s_cbranch_execnz .LBB32_3173
; %bb.1125:
	s_or_saveexec_b64 s[6:7], s[6:7]
	v_mov_b32_e32 v11, s10
	s_xor_b64 exec, exec, s[6:7]
	s_cbranch_execnz .LBB32_3176
.LBB32_1126:
	s_or_b64 exec, exec, s[6:7]
	s_and_saveexec_b64 s[6:7], s[4:5]
	s_cbranch_execz .LBB32_1128
.LBB32_1127:
	v_and_b32_e32 v11, 7, v13
	v_ffbh_u32_e32 v14, v11
	v_min_u32_e32 v14, 32, v14
	v_lshrrev_b16_e32 v12, 3, v13
	v_subrev_u32_e32 v15, 28, v14
	v_and_b32_e32 v12, 15, v12
	v_lshlrev_b32_e32 v15, v15, v13
	v_sub_u32_e32 v14, 29, v14
	v_and_b32_e32 v15, 7, v15
	v_cmp_eq_u16_e32 vcc, 0, v12
	v_cndmask_b32_e32 v11, v11, v15, vcc
	v_cndmask_b32_e32 v12, v12, v14, vcc
	v_lshlrev_b32_e32 v14, 24, v13
	v_mov_b32_e32 v15, 0x3b800000
	v_lshlrev_b32_e32 v11, 20, v11
	v_and_b32_e32 v14, 0x80000000, v14
	v_lshl_add_u32 v12, v12, 23, v15
	v_or3_b32 v11, v14, v12, v11
.LBB32_1128:
	s_or_b64 exec, exec, s[6:7]
	s_nop 0
	v_mfma_f32_16x16x4f32 a[0:3], v10, v11, a[0:3]
	v_lshrrev_b32_e32 v11, 8, v17
	s_movk_i32 s4, 0x7f
	v_cmp_gt_i16_sdwa s[6:7], v11, s4 src0_sel:BYTE_0 src1_sel:DWORD
	s_mov_b64 s[4:5], 0
                                        ; implicit-def: $sgpr10
	s_and_saveexec_b64 s[8:9], s[6:7]
	s_xor_b64 s[6:7], exec, s[8:9]
	s_cbranch_execnz .LBB32_3177
; %bb.1129:
	s_or_saveexec_b64 s[6:7], s[6:7]
	v_mov_b32_e32 v10, s10
	s_xor_b64 exec, exec, s[6:7]
	s_cbranch_execnz .LBB32_3180
.LBB32_1130:
	s_or_b64 exec, exec, s[6:7]
	s_and_saveexec_b64 s[6:7], s[4:5]
	s_cbranch_execz .LBB32_1132
.LBB32_1131:
	v_bfe_u32 v10, v17, 8, 3
	v_ffbh_u32_e32 v14, v10
	v_min_u32_e32 v14, 32, v14
	v_lshrrev_b16_e32 v12, 3, v11
	v_subrev_u32_e32 v15, 28, v14
	v_and_b32_e32 v12, 15, v12
	v_lshlrev_b32_e32 v11, v15, v11
	v_sub_u32_e32 v14, 29, v14
	v_and_b32_e32 v11, 7, v11
	v_cmp_eq_u16_e32 vcc, 0, v12
	v_cndmask_b32_e32 v10, v10, v11, vcc
	v_cndmask_b32_e32 v11, v12, v14, vcc
	v_lshlrev_b32_e32 v12, 16, v17
	v_mov_b32_e32 v14, 0x3b800000
	v_lshlrev_b32_e32 v10, 20, v10
	v_and_b32_e32 v12, 0x80000000, v12
	v_lshl_add_u32 v11, v11, 23, v14
	v_or3_b32 v10, v12, v11, v10
.LBB32_1132:
	s_or_b64 exec, exec, s[6:7]
	v_lshrrev_b32_e32 v11, 8, v13
	s_movk_i32 s4, 0x7f
	v_cmp_gt_i16_sdwa s[6:7], v11, s4 src0_sel:BYTE_0 src1_sel:DWORD
	s_mov_b64 s[4:5], 0
                                        ; implicit-def: $sgpr10
	s_and_saveexec_b64 s[8:9], s[6:7]
	s_xor_b64 s[6:7], exec, s[8:9]
	s_cbranch_execnz .LBB32_3181
; %bb.1133:
	s_or_saveexec_b64 s[6:7], s[6:7]
	v_mov_b32_e32 v12, s10
	s_xor_b64 exec, exec, s[6:7]
	s_cbranch_execnz .LBB32_3184
.LBB32_1134:
	s_or_b64 exec, exec, s[6:7]
	s_and_saveexec_b64 s[6:7], s[4:5]
	s_cbranch_execz .LBB32_1136
.LBB32_1135:
	v_bfe_u32 v12, v13, 8, 3
	v_ffbh_u32_e32 v15, v12
	v_min_u32_e32 v15, 32, v15
	v_lshrrev_b16_e32 v14, 3, v11
	v_subrev_u32_e32 v16, 28, v15
	v_and_b32_e32 v14, 15, v14
	v_lshlrev_b32_e32 v11, v16, v11
	v_sub_u32_e32 v15, 29, v15
	v_and_b32_e32 v11, 7, v11
	v_cmp_eq_u16_e32 vcc, 0, v14
	v_cndmask_b32_e32 v11, v12, v11, vcc
	v_cndmask_b32_e32 v12, v14, v15, vcc
	v_lshlrev_b32_e32 v14, 16, v13
	v_mov_b32_e32 v15, 0x3b800000
	v_lshlrev_b32_e32 v11, 20, v11
	v_and_b32_e32 v14, 0x80000000, v14
	v_lshl_add_u32 v12, v12, 23, v15
	v_or3_b32 v12, v14, v12, v11
.LBB32_1136:
	s_or_b64 exec, exec, s[6:7]
	s_nop 0
	v_mfma_f32_16x16x4f32 a[0:3], v10, v12, a[0:3]
	s_movk_i32 s4, 0xff
	v_and_b32_sdwa v11, v17, s4 dst_sel:DWORD dst_unused:UNUSED_PAD src0_sel:WORD_1 src1_sel:DWORD
	s_movk_i32 s4, 0x7f
	v_cmp_lt_i16_e32 vcc, s4, v11
	s_mov_b64 s[4:5], 0
                                        ; implicit-def: $sgpr10
	s_and_saveexec_b64 s[6:7], vcc
	s_xor_b64 s[6:7], exec, s[6:7]
	s_cbranch_execnz .LBB32_3185
; %bb.1137:
	s_or_saveexec_b64 s[6:7], s[6:7]
	v_mov_b32_e32 v10, s10
	s_xor_b64 exec, exec, s[6:7]
	s_cbranch_execnz .LBB32_3188
.LBB32_1138:
	s_or_b64 exec, exec, s[6:7]
	s_and_saveexec_b64 s[6:7], s[4:5]
	s_cbranch_execz .LBB32_1140
.LBB32_1139:
	v_bfe_u32 v10, v17, 16, 3
	v_ffbh_u32_e32 v14, v10
	v_min_u32_e32 v14, 32, v14
	v_lshrrev_b32_e32 v11, 19, v17
	v_subrev_u32_e32 v15, 28, v14
	v_and_b32_e32 v11, 15, v11
	v_lshlrev_b32_sdwa v15, v15, v17 dst_sel:DWORD dst_unused:UNUSED_PAD src0_sel:DWORD src1_sel:WORD_1
	v_bfe_u32 v12, v17, 19, 4
	v_sub_u32_e32 v14, 29, v14
	v_and_b32_e32 v15, 7, v15
	v_cmp_eq_u16_e32 vcc, 0, v11
	v_cndmask_b32_e32 v10, v10, v15, vcc
	v_cndmask_b32_e32 v11, v12, v14, vcc
	v_lshlrev_b32_e32 v12, 8, v17
	v_mov_b32_e32 v14, 0x3b800000
	v_lshlrev_b32_e32 v10, 20, v10
	v_and_b32_e32 v12, 0x80000000, v12
	v_lshl_add_u32 v11, v11, 23, v14
	v_or3_b32 v10, v12, v11, v10
.LBB32_1140:
	s_or_b64 exec, exec, s[6:7]
	s_movk_i32 s4, 0xff
	v_and_b32_sdwa v11, v13, s4 dst_sel:DWORD dst_unused:UNUSED_PAD src0_sel:WORD_1 src1_sel:DWORD
	s_movk_i32 s4, 0x7f
	v_cmp_lt_i16_e32 vcc, s4, v11
	s_mov_b64 s[4:5], 0
                                        ; implicit-def: $sgpr10
	s_and_saveexec_b64 s[6:7], vcc
	s_xor_b64 s[6:7], exec, s[6:7]
	s_cbranch_execnz .LBB32_3189
; %bb.1141:
	s_or_saveexec_b64 s[6:7], s[6:7]
	v_mov_b32_e32 v12, s10
	s_xor_b64 exec, exec, s[6:7]
	s_cbranch_execnz .LBB32_3192
.LBB32_1142:
	s_or_b64 exec, exec, s[6:7]
	s_and_saveexec_b64 s[6:7], s[4:5]
	s_cbranch_execz .LBB32_1144
.LBB32_1143:
	v_bfe_u32 v11, v13, 16, 3
	v_ffbh_u32_e32 v15, v11
	v_min_u32_e32 v15, 32, v15
	v_lshrrev_b32_e32 v12, 19, v13
	v_subrev_u32_e32 v16, 28, v15
	v_and_b32_e32 v12, 15, v12
	v_lshlrev_b32_sdwa v16, v16, v13 dst_sel:DWORD dst_unused:UNUSED_PAD src0_sel:DWORD src1_sel:WORD_1
	v_bfe_u32 v14, v13, 19, 4
	v_sub_u32_e32 v15, 29, v15
	v_and_b32_e32 v16, 7, v16
	v_cmp_eq_u16_e32 vcc, 0, v12
	v_cndmask_b32_e32 v11, v11, v16, vcc
	v_cndmask_b32_e32 v12, v14, v15, vcc
	v_lshlrev_b32_e32 v14, 8, v13
	v_mov_b32_e32 v15, 0x3b800000
	v_lshlrev_b32_e32 v11, 20, v11
	v_and_b32_e32 v14, 0x80000000, v14
	v_lshl_add_u32 v12, v12, 23, v15
	v_or3_b32 v12, v14, v12, v11
.LBB32_1144:
	s_or_b64 exec, exec, s[6:7]
	s_nop 0
	v_mfma_f32_16x16x4f32 a[0:3], v10, v12, a[0:3]
	s_movk_i32 s4, 0x7f
	v_cmp_gt_i16_sdwa s[6:7], v17, s4 src0_sel:BYTE_3 src1_sel:DWORD
	s_mov_b64 s[4:5], 0
                                        ; implicit-def: $sgpr10
	s_and_saveexec_b64 s[8:9], s[6:7]
	s_xor_b64 s[6:7], exec, s[8:9]
	s_cbranch_execnz .LBB32_3193
; %bb.1145:
	s_or_saveexec_b64 s[6:7], s[6:7]
	v_mov_b32_e32 v10, s10
	s_xor_b64 exec, exec, s[6:7]
	s_cbranch_execnz .LBB32_3196
.LBB32_1146:
	s_or_b64 exec, exec, s[6:7]
	s_and_saveexec_b64 s[6:7], s[4:5]
	s_cbranch_execz .LBB32_1148
.LBB32_1147:
	v_bfe_u32 v10, v17, 24, 3
	v_ffbh_u32_e32 v15, v10
	v_min_u32_e32 v15, 32, v15
	v_lshrrev_b32_e32 v12, 27, v17
	v_subrev_u32_e32 v16, 28, v15
	v_and_b32_e32 v12, 15, v12
	v_lshlrev_b32_sdwa v16, v16, v17 dst_sel:DWORD dst_unused:UNUSED_PAD src0_sel:DWORD src1_sel:BYTE_3
	v_bfe_u32 v14, v17, 27, 4
	v_sub_u32_e32 v15, 29, v15
	v_and_b32_e32 v16, 7, v16
	v_cmp_eq_u16_e32 vcc, 0, v12
	v_cndmask_b32_e32 v10, v10, v16, vcc
	v_cndmask_b32_e32 v12, v14, v15, vcc
	v_mov_b32_e32 v14, 0x3b800000
	v_and_b32_e32 v11, 0x80000000, v17
	v_lshlrev_b32_e32 v10, 20, v10
	v_lshl_add_u32 v12, v12, 23, v14
	v_or3_b32 v10, v11, v12, v10
.LBB32_1148:
	s_or_b64 exec, exec, s[6:7]
	s_movk_i32 s4, 0x7f
	v_cmp_gt_i16_sdwa s[6:7], v13, s4 src0_sel:BYTE_3 src1_sel:DWORD
	s_mov_b64 s[4:5], 0
                                        ; implicit-def: $sgpr10
	s_and_saveexec_b64 s[8:9], s[6:7]
	s_xor_b64 s[6:7], exec, s[8:9]
	s_cbranch_execnz .LBB32_3197
; %bb.1149:
	s_or_saveexec_b64 s[6:7], s[6:7]
	v_mov_b32_e32 v11, s10
	s_xor_b64 exec, exec, s[6:7]
	s_cbranch_execnz .LBB32_3200
.LBB32_1150:
	s_or_b64 exec, exec, s[6:7]
	s_and_saveexec_b64 s[6:7], s[4:5]
	s_cbranch_execz .LBB32_1152
.LBB32_1151:
	v_bfe_u32 v11, v13, 24, 3
	v_ffbh_u32_e32 v16, v11
	v_min_u32_e32 v16, 32, v16
	v_lshrrev_b32_e32 v14, 27, v13
	v_subrev_u32_e32 v17, 28, v16
	v_and_b32_e32 v12, 0x80000000, v13
	v_and_b32_e32 v14, 15, v14
	v_bfe_u32 v15, v13, 27, 4
	v_lshlrev_b32_sdwa v13, v17, v13 dst_sel:DWORD dst_unused:UNUSED_PAD src0_sel:DWORD src1_sel:BYTE_3
	v_sub_u32_e32 v16, 29, v16
	v_and_b32_e32 v13, 7, v13
	v_cmp_eq_u16_e32 vcc, 0, v14
	v_cndmask_b32_e32 v11, v11, v13, vcc
	v_cndmask_b32_e32 v13, v15, v16, vcc
	v_mov_b32_e32 v14, 0x3b800000
	v_lshlrev_b32_e32 v11, 20, v11
	v_lshl_add_u32 v13, v13, 23, v14
	v_or3_b32 v11, v12, v13, v11
.LBB32_1152:
	s_or_b64 exec, exec, s[6:7]
	s_nop 0
	v_mfma_f32_16x16x4f32 a[0:3], v10, v11, a[0:3]
	s_movk_i32 s4, 0x7f
	v_cmp_gt_i16_sdwa s[6:7], v6, s4 src0_sel:BYTE_0 src1_sel:DWORD
	s_mov_b64 s[4:5], 0
                                        ; implicit-def: $sgpr10
	s_and_saveexec_b64 s[8:9], s[6:7]
	s_xor_b64 s[6:7], exec, s[8:9]
	s_cbranch_execnz .LBB32_3201
; %bb.1153:
	s_or_saveexec_b64 s[6:7], s[6:7]
	v_mov_b32_e32 v10, s10
	s_xor_b64 exec, exec, s[6:7]
	s_cbranch_execnz .LBB32_3204
.LBB32_1154:
	s_or_b64 exec, exec, s[6:7]
	s_and_saveexec_b64 s[6:7], s[4:5]
	s_cbranch_execz .LBB32_1156
.LBB32_1155:
	v_and_b32_e32 v10, 7, v6
	v_ffbh_u32_e32 v12, v10
	v_min_u32_e32 v12, 32, v12
	v_lshrrev_b16_e32 v11, 3, v6
	v_subrev_u32_e32 v13, 28, v12
	v_and_b32_e32 v11, 15, v11
	v_lshlrev_b32_e32 v13, v13, v6
	v_sub_u32_e32 v12, 29, v12
	v_and_b32_e32 v13, 7, v13
	v_cmp_eq_u16_e32 vcc, 0, v11
	v_cndmask_b32_e32 v10, v10, v13, vcc
	v_cndmask_b32_e32 v11, v11, v12, vcc
	v_lshlrev_b32_e32 v12, 24, v6
	v_mov_b32_e32 v13, 0x3b800000
	v_lshlrev_b32_e32 v10, 20, v10
	v_and_b32_e32 v12, 0x80000000, v12
	v_lshl_add_u32 v11, v11, 23, v13
	v_or3_b32 v10, v12, v11, v10
.LBB32_1156:
	s_or_b64 exec, exec, s[6:7]
	s_movk_i32 s4, 0x7f
	v_cmp_gt_i16_sdwa s[6:7], v2, s4 src0_sel:BYTE_0 src1_sel:DWORD
	s_mov_b64 s[4:5], 0
                                        ; implicit-def: $sgpr10
	s_and_saveexec_b64 s[8:9], s[6:7]
	s_xor_b64 s[6:7], exec, s[8:9]
	s_cbranch_execnz .LBB32_3205
; %bb.1157:
	s_or_saveexec_b64 s[6:7], s[6:7]
	v_mov_b32_e32 v11, s10
	s_xor_b64 exec, exec, s[6:7]
	s_cbranch_execnz .LBB32_3208
.LBB32_1158:
	s_or_b64 exec, exec, s[6:7]
	s_and_saveexec_b64 s[6:7], s[4:5]
	s_cbranch_execz .LBB32_1160
.LBB32_1159:
	v_and_b32_e32 v11, 7, v2
	v_ffbh_u32_e32 v13, v11
	v_min_u32_e32 v13, 32, v13
	v_lshrrev_b16_e32 v12, 3, v2
	v_subrev_u32_e32 v14, 28, v13
	v_and_b32_e32 v12, 15, v12
	v_lshlrev_b32_e32 v14, v14, v2
	v_sub_u32_e32 v13, 29, v13
	v_and_b32_e32 v14, 7, v14
	v_cmp_eq_u16_e32 vcc, 0, v12
	v_cndmask_b32_e32 v11, v11, v14, vcc
	v_cndmask_b32_e32 v12, v12, v13, vcc
	v_lshlrev_b32_e32 v13, 24, v2
	v_mov_b32_e32 v14, 0x3b800000
	v_lshlrev_b32_e32 v11, 20, v11
	v_and_b32_e32 v13, 0x80000000, v13
	v_lshl_add_u32 v12, v12, 23, v14
	v_or3_b32 v11, v13, v12, v11
.LBB32_1160:
	s_or_b64 exec, exec, s[6:7]
	s_nop 0
	v_mfma_f32_16x16x4f32 a[0:3], v10, v11, a[0:3]
	v_lshrrev_b32_e32 v11, 8, v6
	s_movk_i32 s4, 0x7f
	v_cmp_gt_i16_sdwa s[6:7], v11, s4 src0_sel:BYTE_0 src1_sel:DWORD
	s_mov_b64 s[4:5], 0
                                        ; implicit-def: $sgpr10
	s_and_saveexec_b64 s[8:9], s[6:7]
	s_xor_b64 s[6:7], exec, s[8:9]
	s_cbranch_execnz .LBB32_3209
; %bb.1161:
	s_or_saveexec_b64 s[6:7], s[6:7]
	v_mov_b32_e32 v10, s10
	s_xor_b64 exec, exec, s[6:7]
	s_cbranch_execnz .LBB32_3212
.LBB32_1162:
	s_or_b64 exec, exec, s[6:7]
	s_and_saveexec_b64 s[6:7], s[4:5]
	s_cbranch_execz .LBB32_1164
.LBB32_1163:
	v_bfe_u32 v10, v6, 8, 3
	v_ffbh_u32_e32 v13, v10
	v_min_u32_e32 v13, 32, v13
	v_lshrrev_b16_e32 v12, 3, v11
	v_subrev_u32_e32 v14, 28, v13
	v_and_b32_e32 v12, 15, v12
	v_lshlrev_b32_e32 v11, v14, v11
	v_sub_u32_e32 v13, 29, v13
	v_and_b32_e32 v11, 7, v11
	v_cmp_eq_u16_e32 vcc, 0, v12
	v_cndmask_b32_e32 v10, v10, v11, vcc
	v_cndmask_b32_e32 v11, v12, v13, vcc
	v_lshlrev_b32_e32 v12, 16, v6
	v_mov_b32_e32 v13, 0x3b800000
	v_lshlrev_b32_e32 v10, 20, v10
	v_and_b32_e32 v12, 0x80000000, v12
	v_lshl_add_u32 v11, v11, 23, v13
	v_or3_b32 v10, v12, v11, v10
.LBB32_1164:
	s_or_b64 exec, exec, s[6:7]
	v_lshrrev_b32_e32 v11, 8, v2
	s_movk_i32 s4, 0x7f
	v_cmp_gt_i16_sdwa s[6:7], v11, s4 src0_sel:BYTE_0 src1_sel:DWORD
	s_mov_b64 s[4:5], 0
                                        ; implicit-def: $sgpr10
	s_and_saveexec_b64 s[8:9], s[6:7]
	s_xor_b64 s[6:7], exec, s[8:9]
	s_cbranch_execnz .LBB32_3213
; %bb.1165:
	s_or_saveexec_b64 s[6:7], s[6:7]
	v_mov_b32_e32 v12, s10
	s_xor_b64 exec, exec, s[6:7]
	s_cbranch_execnz .LBB32_3216
.LBB32_1166:
	s_or_b64 exec, exec, s[6:7]
	s_and_saveexec_b64 s[6:7], s[4:5]
	s_cbranch_execz .LBB32_1168
.LBB32_1167:
	v_bfe_u32 v12, v2, 8, 3
	v_ffbh_u32_e32 v14, v12
	v_min_u32_e32 v14, 32, v14
	v_lshrrev_b16_e32 v13, 3, v11
	v_subrev_u32_e32 v15, 28, v14
	v_and_b32_e32 v13, 15, v13
	v_lshlrev_b32_e32 v11, v15, v11
	v_sub_u32_e32 v14, 29, v14
	v_and_b32_e32 v11, 7, v11
	v_cmp_eq_u16_e32 vcc, 0, v13
	v_cndmask_b32_e32 v11, v12, v11, vcc
	v_cndmask_b32_e32 v12, v13, v14, vcc
	v_lshlrev_b32_e32 v13, 16, v2
	v_mov_b32_e32 v14, 0x3b800000
	v_lshlrev_b32_e32 v11, 20, v11
	v_and_b32_e32 v13, 0x80000000, v13
	v_lshl_add_u32 v12, v12, 23, v14
	v_or3_b32 v12, v13, v12, v11
.LBB32_1168:
	s_or_b64 exec, exec, s[6:7]
	s_nop 0
	v_mfma_f32_16x16x4f32 a[0:3], v10, v12, a[0:3]
	s_movk_i32 s4, 0xff
	v_and_b32_sdwa v11, v6, s4 dst_sel:DWORD dst_unused:UNUSED_PAD src0_sel:WORD_1 src1_sel:DWORD
	s_movk_i32 s4, 0x7f
	v_cmp_lt_i16_e32 vcc, s4, v11
	s_mov_b64 s[4:5], 0
                                        ; implicit-def: $sgpr10
	s_and_saveexec_b64 s[6:7], vcc
	s_xor_b64 s[6:7], exec, s[6:7]
	s_cbranch_execnz .LBB32_3217
; %bb.1169:
	s_or_saveexec_b64 s[6:7], s[6:7]
	v_mov_b32_e32 v10, s10
	s_xor_b64 exec, exec, s[6:7]
	s_cbranch_execnz .LBB32_3220
.LBB32_1170:
	s_or_b64 exec, exec, s[6:7]
	s_and_saveexec_b64 s[6:7], s[4:5]
	s_cbranch_execz .LBB32_1172
.LBB32_1171:
	v_bfe_u32 v10, v6, 16, 3
	v_ffbh_u32_e32 v13, v10
	v_min_u32_e32 v13, 32, v13
	v_lshrrev_b32_e32 v11, 19, v6
	v_subrev_u32_e32 v14, 28, v13
	v_and_b32_e32 v11, 15, v11
	v_lshlrev_b32_sdwa v14, v14, v6 dst_sel:DWORD dst_unused:UNUSED_PAD src0_sel:DWORD src1_sel:WORD_1
	v_bfe_u32 v12, v6, 19, 4
	v_sub_u32_e32 v13, 29, v13
	v_and_b32_e32 v14, 7, v14
	v_cmp_eq_u16_e32 vcc, 0, v11
	v_cndmask_b32_e32 v10, v10, v14, vcc
	v_cndmask_b32_e32 v11, v12, v13, vcc
	v_lshlrev_b32_e32 v12, 8, v6
	v_mov_b32_e32 v13, 0x3b800000
	v_lshlrev_b32_e32 v10, 20, v10
	v_and_b32_e32 v12, 0x80000000, v12
	v_lshl_add_u32 v11, v11, 23, v13
	v_or3_b32 v10, v12, v11, v10
.LBB32_1172:
	s_or_b64 exec, exec, s[6:7]
	s_movk_i32 s4, 0xff
	v_and_b32_sdwa v11, v2, s4 dst_sel:DWORD dst_unused:UNUSED_PAD src0_sel:WORD_1 src1_sel:DWORD
	s_movk_i32 s4, 0x7f
	v_cmp_lt_i16_e32 vcc, s4, v11
	s_mov_b64 s[4:5], 0
                                        ; implicit-def: $sgpr10
	s_and_saveexec_b64 s[6:7], vcc
	s_xor_b64 s[6:7], exec, s[6:7]
	s_cbranch_execnz .LBB32_3221
; %bb.1173:
	s_or_saveexec_b64 s[6:7], s[6:7]
	v_mov_b32_e32 v12, s10
	s_xor_b64 exec, exec, s[6:7]
	s_cbranch_execnz .LBB32_3224
.LBB32_1174:
	s_or_b64 exec, exec, s[6:7]
	s_and_saveexec_b64 s[6:7], s[4:5]
	s_cbranch_execz .LBB32_1176
.LBB32_1175:
	v_bfe_u32 v11, v2, 16, 3
	v_ffbh_u32_e32 v14, v11
	v_min_u32_e32 v14, 32, v14
	v_lshrrev_b32_e32 v12, 19, v2
	v_subrev_u32_e32 v15, 28, v14
	v_and_b32_e32 v12, 15, v12
	v_lshlrev_b32_sdwa v15, v15, v2 dst_sel:DWORD dst_unused:UNUSED_PAD src0_sel:DWORD src1_sel:WORD_1
	v_bfe_u32 v13, v2, 19, 4
	v_sub_u32_e32 v14, 29, v14
	v_and_b32_e32 v15, 7, v15
	v_cmp_eq_u16_e32 vcc, 0, v12
	v_cndmask_b32_e32 v11, v11, v15, vcc
	v_cndmask_b32_e32 v12, v13, v14, vcc
	v_lshlrev_b32_e32 v13, 8, v2
	v_mov_b32_e32 v14, 0x3b800000
	v_lshlrev_b32_e32 v11, 20, v11
	v_and_b32_e32 v13, 0x80000000, v13
	v_lshl_add_u32 v12, v12, 23, v14
	v_or3_b32 v12, v13, v12, v11
.LBB32_1176:
	s_or_b64 exec, exec, s[6:7]
	s_nop 0
	v_mfma_f32_16x16x4f32 a[0:3], v10, v12, a[0:3]
	s_movk_i32 s4, 0x7f
	v_cmp_gt_i16_sdwa s[6:7], v6, s4 src0_sel:BYTE_3 src1_sel:DWORD
	s_mov_b64 s[4:5], 0
                                        ; implicit-def: $sgpr10
	s_and_saveexec_b64 s[8:9], s[6:7]
	s_xor_b64 s[6:7], exec, s[8:9]
	s_cbranch_execnz .LBB32_3225
; %bb.1177:
	s_or_saveexec_b64 s[6:7], s[6:7]
	v_mov_b32_e32 v10, s10
	s_xor_b64 exec, exec, s[6:7]
	s_cbranch_execnz .LBB32_3228
.LBB32_1178:
	s_or_b64 exec, exec, s[6:7]
	s_and_saveexec_b64 s[6:7], s[4:5]
	s_cbranch_execz .LBB32_1180
.LBB32_1179:
	v_bfe_u32 v10, v6, 24, 3
	v_ffbh_u32_e32 v14, v10
	v_min_u32_e32 v14, 32, v14
	v_lshrrev_b32_e32 v12, 27, v6
	v_subrev_u32_e32 v15, 28, v14
	v_and_b32_e32 v11, 0x80000000, v6
	v_and_b32_e32 v12, 15, v12
	v_bfe_u32 v13, v6, 27, 4
	v_lshlrev_b32_sdwa v6, v15, v6 dst_sel:DWORD dst_unused:UNUSED_PAD src0_sel:DWORD src1_sel:BYTE_3
	v_sub_u32_e32 v14, 29, v14
	v_and_b32_e32 v6, 7, v6
	v_cmp_eq_u16_e32 vcc, 0, v12
	v_cndmask_b32_e32 v6, v10, v6, vcc
	v_cndmask_b32_e32 v10, v13, v14, vcc
	v_mov_b32_e32 v12, 0x3b800000
	v_lshlrev_b32_e32 v6, 20, v6
	v_lshl_add_u32 v10, v10, 23, v12
	v_or3_b32 v10, v11, v10, v6
.LBB32_1180:
	s_or_b64 exec, exec, s[6:7]
	s_movk_i32 s4, 0x7f
	v_cmp_gt_i16_sdwa s[6:7], v2, s4 src0_sel:BYTE_3 src1_sel:DWORD
	s_mov_b64 s[4:5], 0
                                        ; implicit-def: $sgpr10
	s_and_saveexec_b64 s[8:9], s[6:7]
	s_xor_b64 s[6:7], exec, s[8:9]
	s_cbranch_execnz .LBB32_3229
; %bb.1181:
	s_or_saveexec_b64 s[6:7], s[6:7]
	v_mov_b32_e32 v6, s10
	s_xor_b64 exec, exec, s[6:7]
	s_cbranch_execnz .LBB32_3232
.LBB32_1182:
	s_or_b64 exec, exec, s[6:7]
	s_and_saveexec_b64 s[6:7], s[4:5]
	s_cbranch_execz .LBB32_1184
.LBB32_1183:
	v_bfe_u32 v6, v2, 24, 3
	v_ffbh_u32_e32 v14, v6
	v_min_u32_e32 v14, 32, v14
	v_lshrrev_b32_e32 v12, 27, v2
	v_subrev_u32_e32 v15, 28, v14
	v_and_b32_e32 v11, 0x80000000, v2
	v_and_b32_e32 v12, 15, v12
	v_bfe_u32 v13, v2, 27, 4
	v_lshlrev_b32_sdwa v2, v15, v2 dst_sel:DWORD dst_unused:UNUSED_PAD src0_sel:DWORD src1_sel:BYTE_3
	v_sub_u32_e32 v14, 29, v14
	v_and_b32_e32 v2, 7, v2
	v_cmp_eq_u16_e32 vcc, 0, v12
	v_cndmask_b32_e32 v2, v6, v2, vcc
	v_cndmask_b32_e32 v6, v13, v14, vcc
	v_mov_b32_e32 v12, 0x3b800000
	v_lshlrev_b32_e32 v2, 20, v2
	v_lshl_add_u32 v6, v6, 23, v12
	v_or3_b32 v6, v11, v6, v2
.LBB32_1184:
	s_or_b64 exec, exec, s[6:7]
	s_nop 0
	v_mfma_f32_16x16x4f32 a[0:3], v10, v6, a[0:3]
	s_movk_i32 s4, 0x7f
	v_cmp_gt_i16_sdwa s[6:7], v7, s4 src0_sel:BYTE_0 src1_sel:DWORD
	s_mov_b64 s[4:5], 0
                                        ; implicit-def: $sgpr10
	s_and_saveexec_b64 s[8:9], s[6:7]
	s_xor_b64 s[6:7], exec, s[8:9]
	s_cbranch_execnz .LBB32_3233
; %bb.1185:
	s_or_saveexec_b64 s[6:7], s[6:7]
	v_mov_b32_e32 v2, s10
	s_xor_b64 exec, exec, s[6:7]
	s_cbranch_execnz .LBB32_3236
.LBB32_1186:
	s_or_b64 exec, exec, s[6:7]
	s_and_saveexec_b64 s[6:7], s[4:5]
	s_cbranch_execz .LBB32_1188
.LBB32_1187:
	v_and_b32_e32 v2, 7, v7
	v_ffbh_u32_e32 v10, v2
	v_min_u32_e32 v10, 32, v10
	v_lshrrev_b16_e32 v6, 3, v7
	v_subrev_u32_e32 v11, 28, v10
	v_and_b32_e32 v6, 15, v6
	v_lshlrev_b32_e32 v11, v11, v7
	v_sub_u32_e32 v10, 29, v10
	v_and_b32_e32 v11, 7, v11
	v_cmp_eq_u16_e32 vcc, 0, v6
	v_cndmask_b32_e32 v2, v2, v11, vcc
	v_cndmask_b32_e32 v6, v6, v10, vcc
	v_lshlrev_b32_e32 v10, 24, v7
	v_mov_b32_e32 v11, 0x3b800000
	v_lshlrev_b32_e32 v2, 20, v2
	v_and_b32_e32 v10, 0x80000000, v10
	v_lshl_add_u32 v6, v6, 23, v11
	v_or3_b32 v2, v10, v6, v2
.LBB32_1188:
	s_or_b64 exec, exec, s[6:7]
	s_movk_i32 s4, 0x7f
	v_cmp_gt_i16_sdwa s[6:7], v3, s4 src0_sel:BYTE_0 src1_sel:DWORD
	s_mov_b64 s[4:5], 0
                                        ; implicit-def: $sgpr10
	s_and_saveexec_b64 s[8:9], s[6:7]
	s_xor_b64 s[6:7], exec, s[8:9]
	s_cbranch_execnz .LBB32_3237
; %bb.1189:
	s_or_saveexec_b64 s[6:7], s[6:7]
	v_mov_b32_e32 v6, s10
	s_xor_b64 exec, exec, s[6:7]
	s_cbranch_execnz .LBB32_3240
.LBB32_1190:
	s_or_b64 exec, exec, s[6:7]
	s_and_saveexec_b64 s[6:7], s[4:5]
	s_cbranch_execz .LBB32_1192
.LBB32_1191:
	v_and_b32_e32 v6, 7, v3
	v_ffbh_u32_e32 v11, v6
	v_min_u32_e32 v11, 32, v11
	v_lshrrev_b16_e32 v10, 3, v3
	v_subrev_u32_e32 v12, 28, v11
	v_and_b32_e32 v10, 15, v10
	v_lshlrev_b32_e32 v12, v12, v3
	v_sub_u32_e32 v11, 29, v11
	v_and_b32_e32 v12, 7, v12
	v_cmp_eq_u16_e32 vcc, 0, v10
	v_cndmask_b32_e32 v6, v6, v12, vcc
	v_cndmask_b32_e32 v10, v10, v11, vcc
	v_lshlrev_b32_e32 v11, 24, v3
	v_mov_b32_e32 v12, 0x3b800000
	v_lshlrev_b32_e32 v6, 20, v6
	v_and_b32_e32 v11, 0x80000000, v11
	v_lshl_add_u32 v10, v10, 23, v12
	v_or3_b32 v6, v11, v10, v6
.LBB32_1192:
	s_or_b64 exec, exec, s[6:7]
	s_nop 0
	v_mfma_f32_16x16x4f32 a[0:3], v2, v6, a[0:3]
	v_lshrrev_b32_e32 v6, 8, v7
	s_movk_i32 s4, 0x7f
	v_cmp_gt_i16_sdwa s[6:7], v6, s4 src0_sel:BYTE_0 src1_sel:DWORD
	s_mov_b64 s[4:5], 0
                                        ; implicit-def: $sgpr10
	s_and_saveexec_b64 s[8:9], s[6:7]
	s_xor_b64 s[6:7], exec, s[8:9]
	s_cbranch_execnz .LBB32_3241
; %bb.1193:
	s_or_saveexec_b64 s[6:7], s[6:7]
	v_mov_b32_e32 v2, s10
	s_xor_b64 exec, exec, s[6:7]
	s_cbranch_execnz .LBB32_3244
.LBB32_1194:
	s_or_b64 exec, exec, s[6:7]
	s_and_saveexec_b64 s[6:7], s[4:5]
	s_cbranch_execz .LBB32_1196
.LBB32_1195:
	v_bfe_u32 v2, v7, 8, 3
	v_ffbh_u32_e32 v11, v2
	v_min_u32_e32 v11, 32, v11
	v_lshrrev_b16_e32 v10, 3, v6
	v_subrev_u32_e32 v12, 28, v11
	v_and_b32_e32 v10, 15, v10
	v_lshlrev_b32_e32 v6, v12, v6
	v_sub_u32_e32 v11, 29, v11
	v_and_b32_e32 v6, 7, v6
	v_cmp_eq_u16_e32 vcc, 0, v10
	v_cndmask_b32_e32 v2, v2, v6, vcc
	v_cndmask_b32_e32 v6, v10, v11, vcc
	v_lshlrev_b32_e32 v10, 16, v7
	v_mov_b32_e32 v11, 0x3b800000
	v_lshlrev_b32_e32 v2, 20, v2
	v_and_b32_e32 v10, 0x80000000, v10
	v_lshl_add_u32 v6, v6, 23, v11
	v_or3_b32 v2, v10, v6, v2
.LBB32_1196:
	s_or_b64 exec, exec, s[6:7]
	v_lshrrev_b32_e32 v6, 8, v3
	s_movk_i32 s4, 0x7f
	v_cmp_gt_i16_sdwa s[6:7], v6, s4 src0_sel:BYTE_0 src1_sel:DWORD
	s_mov_b64 s[4:5], 0
                                        ; implicit-def: $sgpr10
	s_and_saveexec_b64 s[8:9], s[6:7]
	s_xor_b64 s[6:7], exec, s[8:9]
	s_cbranch_execnz .LBB32_3245
; %bb.1197:
	s_or_saveexec_b64 s[6:7], s[6:7]
	v_mov_b32_e32 v10, s10
	s_xor_b64 exec, exec, s[6:7]
	s_cbranch_execnz .LBB32_3248
.LBB32_1198:
	s_or_b64 exec, exec, s[6:7]
	s_and_saveexec_b64 s[6:7], s[4:5]
	s_cbranch_execz .LBB32_1200
.LBB32_1199:
	v_bfe_u32 v10, v3, 8, 3
	v_ffbh_u32_e32 v12, v10
	v_min_u32_e32 v12, 32, v12
	v_lshrrev_b16_e32 v11, 3, v6
	v_subrev_u32_e32 v13, 28, v12
	v_and_b32_e32 v11, 15, v11
	v_lshlrev_b32_e32 v6, v13, v6
	v_sub_u32_e32 v12, 29, v12
	v_and_b32_e32 v6, 7, v6
	v_cmp_eq_u16_e32 vcc, 0, v11
	v_cndmask_b32_e32 v6, v10, v6, vcc
	v_cndmask_b32_e32 v10, v11, v12, vcc
	v_lshlrev_b32_e32 v11, 16, v3
	v_mov_b32_e32 v12, 0x3b800000
	v_lshlrev_b32_e32 v6, 20, v6
	v_and_b32_e32 v11, 0x80000000, v11
	v_lshl_add_u32 v10, v10, 23, v12
	v_or3_b32 v10, v11, v10, v6
.LBB32_1200:
	s_or_b64 exec, exec, s[6:7]
	s_nop 0
	v_mfma_f32_16x16x4f32 a[0:3], v2, v10, a[0:3]
	s_movk_i32 s4, 0xff
	v_and_b32_sdwa v6, v7, s4 dst_sel:DWORD dst_unused:UNUSED_PAD src0_sel:WORD_1 src1_sel:DWORD
	s_movk_i32 s4, 0x7f
	v_cmp_lt_i16_e32 vcc, s4, v6
	s_mov_b64 s[4:5], 0
                                        ; implicit-def: $sgpr10
	s_and_saveexec_b64 s[6:7], vcc
	s_xor_b64 s[6:7], exec, s[6:7]
	s_cbranch_execnz .LBB32_3249
; %bb.1201:
	s_or_saveexec_b64 s[6:7], s[6:7]
	v_mov_b32_e32 v2, s10
	s_xor_b64 exec, exec, s[6:7]
	s_cbranch_execnz .LBB32_3252
.LBB32_1202:
	s_or_b64 exec, exec, s[6:7]
	s_and_saveexec_b64 s[6:7], s[4:5]
	s_cbranch_execz .LBB32_1204
.LBB32_1203:
	v_bfe_u32 v2, v7, 16, 3
	v_ffbh_u32_e32 v11, v2
	v_min_u32_e32 v11, 32, v11
	v_lshrrev_b32_e32 v6, 19, v7
	v_subrev_u32_e32 v12, 28, v11
	v_and_b32_e32 v6, 15, v6
	v_lshlrev_b32_sdwa v12, v12, v7 dst_sel:DWORD dst_unused:UNUSED_PAD src0_sel:DWORD src1_sel:WORD_1
	v_bfe_u32 v10, v7, 19, 4
	v_sub_u32_e32 v11, 29, v11
	v_and_b32_e32 v12, 7, v12
	v_cmp_eq_u16_e32 vcc, 0, v6
	v_cndmask_b32_e32 v2, v2, v12, vcc
	v_cndmask_b32_e32 v6, v10, v11, vcc
	v_lshlrev_b32_e32 v10, 8, v7
	v_mov_b32_e32 v11, 0x3b800000
	v_lshlrev_b32_e32 v2, 20, v2
	v_and_b32_e32 v10, 0x80000000, v10
	v_lshl_add_u32 v6, v6, 23, v11
	v_or3_b32 v2, v10, v6, v2
.LBB32_1204:
	s_or_b64 exec, exec, s[6:7]
	s_movk_i32 s4, 0xff
	v_and_b32_sdwa v6, v3, s4 dst_sel:DWORD dst_unused:UNUSED_PAD src0_sel:WORD_1 src1_sel:DWORD
	s_movk_i32 s4, 0x7f
	v_cmp_lt_i16_e32 vcc, s4, v6
	s_mov_b64 s[4:5], 0
                                        ; implicit-def: $sgpr10
	s_and_saveexec_b64 s[6:7], vcc
	s_xor_b64 s[6:7], exec, s[6:7]
	s_cbranch_execnz .LBB32_3253
; %bb.1205:
	s_or_saveexec_b64 s[6:7], s[6:7]
	v_mov_b32_e32 v10, s10
	s_xor_b64 exec, exec, s[6:7]
	s_cbranch_execnz .LBB32_3256
.LBB32_1206:
	s_or_b64 exec, exec, s[6:7]
	s_and_saveexec_b64 s[6:7], s[4:5]
	s_cbranch_execz .LBB32_1208
.LBB32_1207:
	v_bfe_u32 v6, v3, 16, 3
	v_ffbh_u32_e32 v12, v6
	v_min_u32_e32 v12, 32, v12
	v_lshrrev_b32_e32 v10, 19, v3
	v_subrev_u32_e32 v13, 28, v12
	v_and_b32_e32 v10, 15, v10
	v_lshlrev_b32_sdwa v13, v13, v3 dst_sel:DWORD dst_unused:UNUSED_PAD src0_sel:DWORD src1_sel:WORD_1
	v_bfe_u32 v11, v3, 19, 4
	v_sub_u32_e32 v12, 29, v12
	v_and_b32_e32 v13, 7, v13
	v_cmp_eq_u16_e32 vcc, 0, v10
	v_cndmask_b32_e32 v6, v6, v13, vcc
	v_cndmask_b32_e32 v10, v11, v12, vcc
	v_lshlrev_b32_e32 v11, 8, v3
	v_mov_b32_e32 v12, 0x3b800000
	v_lshlrev_b32_e32 v6, 20, v6
	v_and_b32_e32 v11, 0x80000000, v11
	v_lshl_add_u32 v10, v10, 23, v12
	v_or3_b32 v10, v11, v10, v6
.LBB32_1208:
	s_or_b64 exec, exec, s[6:7]
	s_nop 0
	v_mfma_f32_16x16x4f32 a[0:3], v2, v10, a[0:3]
	s_movk_i32 s4, 0x7f
	v_cmp_gt_i16_sdwa s[6:7], v7, s4 src0_sel:BYTE_3 src1_sel:DWORD
	s_mov_b64 s[4:5], 0
                                        ; implicit-def: $sgpr10
	s_and_saveexec_b64 s[8:9], s[6:7]
	s_xor_b64 s[6:7], exec, s[8:9]
	s_cbranch_execnz .LBB32_3257
; %bb.1209:
	s_or_saveexec_b64 s[6:7], s[6:7]
	v_mov_b32_e32 v2, s10
	s_xor_b64 exec, exec, s[6:7]
	s_cbranch_execnz .LBB32_3260
.LBB32_1210:
	s_or_b64 exec, exec, s[6:7]
	s_and_saveexec_b64 s[6:7], s[4:5]
	s_cbranch_execz .LBB32_1212
.LBB32_1211:
	v_bfe_u32 v2, v7, 24, 3
	v_ffbh_u32_e32 v12, v2
	v_min_u32_e32 v12, 32, v12
	v_lshrrev_b32_e32 v10, 27, v7
	v_subrev_u32_e32 v13, 28, v12
	v_and_b32_e32 v6, 0x80000000, v7
	v_and_b32_e32 v10, 15, v10
	v_bfe_u32 v11, v7, 27, 4
	v_lshlrev_b32_sdwa v7, v13, v7 dst_sel:DWORD dst_unused:UNUSED_PAD src0_sel:DWORD src1_sel:BYTE_3
	v_sub_u32_e32 v12, 29, v12
	v_and_b32_e32 v7, 7, v7
	v_cmp_eq_u16_e32 vcc, 0, v10
	v_cndmask_b32_e32 v2, v2, v7, vcc
	v_cndmask_b32_e32 v7, v11, v12, vcc
	v_mov_b32_e32 v10, 0x3b800000
	v_lshlrev_b32_e32 v2, 20, v2
	v_lshl_add_u32 v7, v7, 23, v10
	v_or3_b32 v2, v6, v7, v2
.LBB32_1212:
	s_or_b64 exec, exec, s[6:7]
	s_movk_i32 s4, 0x7f
	v_cmp_gt_i16_sdwa s[6:7], v3, s4 src0_sel:BYTE_3 src1_sel:DWORD
	s_mov_b64 s[4:5], 0
                                        ; implicit-def: $sgpr10
	s_and_saveexec_b64 s[8:9], s[6:7]
	s_xor_b64 s[6:7], exec, s[8:9]
	s_cbranch_execnz .LBB32_3261
; %bb.1213:
	s_or_saveexec_b64 s[6:7], s[6:7]
	v_mov_b32_e32 v6, s10
	s_xor_b64 exec, exec, s[6:7]
	s_cbranch_execnz .LBB32_3264
.LBB32_1214:
	s_or_b64 exec, exec, s[6:7]
	s_and_saveexec_b64 s[6:7], s[4:5]
	s_cbranch_execz .LBB32_1216
.LBB32_1215:
	v_bfe_u32 v6, v3, 24, 3
	v_ffbh_u32_e32 v12, v6
	v_min_u32_e32 v12, 32, v12
	v_lshrrev_b32_e32 v10, 27, v3
	v_subrev_u32_e32 v13, 28, v12
	v_and_b32_e32 v7, 0x80000000, v3
	v_and_b32_e32 v10, 15, v10
	v_bfe_u32 v11, v3, 27, 4
	v_lshlrev_b32_sdwa v3, v13, v3 dst_sel:DWORD dst_unused:UNUSED_PAD src0_sel:DWORD src1_sel:BYTE_3
	v_sub_u32_e32 v12, 29, v12
	v_and_b32_e32 v3, 7, v3
	v_cmp_eq_u16_e32 vcc, 0, v10
	v_cndmask_b32_e32 v3, v6, v3, vcc
	v_cndmask_b32_e32 v6, v11, v12, vcc
	v_mov_b32_e32 v10, 0x3b800000
	v_lshlrev_b32_e32 v3, 20, v3
	v_lshl_add_u32 v6, v6, 23, v10
	v_or3_b32 v6, v7, v6, v3
.LBB32_1216:
	s_or_b64 exec, exec, s[6:7]
	s_nop 0
	v_mfma_f32_16x16x4f32 a[0:3], v2, v6, a[0:3]
	s_movk_i32 s4, 0x7f
	v_cmp_gt_i16_sdwa s[6:7], v8, s4 src0_sel:BYTE_0 src1_sel:DWORD
	s_mov_b64 s[4:5], 0
                                        ; implicit-def: $sgpr10
	s_and_saveexec_b64 s[8:9], s[6:7]
	s_xor_b64 s[6:7], exec, s[8:9]
	s_cbranch_execnz .LBB32_3265
; %bb.1217:
	s_or_saveexec_b64 s[6:7], s[6:7]
	v_mov_b32_e32 v2, s10
	s_xor_b64 exec, exec, s[6:7]
	s_cbranch_execnz .LBB32_3268
.LBB32_1218:
	s_or_b64 exec, exec, s[6:7]
	s_and_saveexec_b64 s[6:7], s[4:5]
	s_cbranch_execz .LBB32_1220
.LBB32_1219:
	v_and_b32_e32 v2, 7, v8
	v_ffbh_u32_e32 v6, v2
	v_min_u32_e32 v6, 32, v6
	v_lshrrev_b16_e32 v3, 3, v8
	v_subrev_u32_e32 v7, 28, v6
	v_and_b32_e32 v3, 15, v3
	v_lshlrev_b32_e32 v7, v7, v8
	v_sub_u32_e32 v6, 29, v6
	v_and_b32_e32 v7, 7, v7
	v_cmp_eq_u16_e32 vcc, 0, v3
	v_cndmask_b32_e32 v2, v2, v7, vcc
	v_cndmask_b32_e32 v3, v3, v6, vcc
	v_lshlrev_b32_e32 v6, 24, v8
	v_mov_b32_e32 v7, 0x3b800000
	v_lshlrev_b32_e32 v2, 20, v2
	v_and_b32_e32 v6, 0x80000000, v6
	v_lshl_add_u32 v3, v3, 23, v7
	v_or3_b32 v2, v6, v3, v2
.LBB32_1220:
	s_or_b64 exec, exec, s[6:7]
	s_movk_i32 s4, 0x7f
	v_cmp_gt_i16_sdwa s[6:7], v4, s4 src0_sel:BYTE_0 src1_sel:DWORD
	s_mov_b64 s[4:5], 0
                                        ; implicit-def: $sgpr10
	s_and_saveexec_b64 s[8:9], s[6:7]
	s_xor_b64 s[6:7], exec, s[8:9]
	s_cbranch_execnz .LBB32_3269
; %bb.1221:
	s_or_saveexec_b64 s[6:7], s[6:7]
	v_mov_b32_e32 v3, s10
	s_xor_b64 exec, exec, s[6:7]
	s_cbranch_execnz .LBB32_3272
.LBB32_1222:
	s_or_b64 exec, exec, s[6:7]
	s_and_saveexec_b64 s[6:7], s[4:5]
	s_cbranch_execz .LBB32_1224
.LBB32_1223:
	v_and_b32_e32 v3, 7, v4
	v_ffbh_u32_e32 v7, v3
	v_min_u32_e32 v7, 32, v7
	v_lshrrev_b16_e32 v6, 3, v4
	v_subrev_u32_e32 v10, 28, v7
	v_and_b32_e32 v6, 15, v6
	v_lshlrev_b32_e32 v10, v10, v4
	v_sub_u32_e32 v7, 29, v7
	v_and_b32_e32 v10, 7, v10
	v_cmp_eq_u16_e32 vcc, 0, v6
	v_cndmask_b32_e32 v3, v3, v10, vcc
	v_cndmask_b32_e32 v6, v6, v7, vcc
	v_lshlrev_b32_e32 v7, 24, v4
	v_mov_b32_e32 v10, 0x3b800000
	v_lshlrev_b32_e32 v3, 20, v3
	v_and_b32_e32 v7, 0x80000000, v7
	v_lshl_add_u32 v6, v6, 23, v10
	v_or3_b32 v3, v7, v6, v3
.LBB32_1224:
	s_or_b64 exec, exec, s[6:7]
	s_nop 0
	v_mfma_f32_16x16x4f32 a[0:3], v2, v3, a[0:3]
	v_lshrrev_b32_e32 v3, 8, v8
	s_movk_i32 s4, 0x7f
	v_cmp_gt_i16_sdwa s[6:7], v3, s4 src0_sel:BYTE_0 src1_sel:DWORD
	s_mov_b64 s[4:5], 0
                                        ; implicit-def: $sgpr10
	s_and_saveexec_b64 s[8:9], s[6:7]
	s_xor_b64 s[6:7], exec, s[8:9]
	s_cbranch_execnz .LBB32_3273
; %bb.1225:
	s_or_saveexec_b64 s[6:7], s[6:7]
	v_mov_b32_e32 v2, s10
	s_xor_b64 exec, exec, s[6:7]
	s_cbranch_execnz .LBB32_3276
.LBB32_1226:
	s_or_b64 exec, exec, s[6:7]
	s_and_saveexec_b64 s[6:7], s[4:5]
	s_cbranch_execz .LBB32_1228
.LBB32_1227:
	v_bfe_u32 v2, v8, 8, 3
	v_ffbh_u32_e32 v7, v2
	v_min_u32_e32 v7, 32, v7
	v_lshrrev_b16_e32 v6, 3, v3
	v_subrev_u32_e32 v10, 28, v7
	v_and_b32_e32 v6, 15, v6
	v_lshlrev_b32_e32 v3, v10, v3
	v_sub_u32_e32 v7, 29, v7
	v_and_b32_e32 v3, 7, v3
	v_cmp_eq_u16_e32 vcc, 0, v6
	v_cndmask_b32_e32 v2, v2, v3, vcc
	v_cndmask_b32_e32 v3, v6, v7, vcc
	v_lshlrev_b32_e32 v6, 16, v8
	v_mov_b32_e32 v7, 0x3b800000
	v_lshlrev_b32_e32 v2, 20, v2
	v_and_b32_e32 v6, 0x80000000, v6
	v_lshl_add_u32 v3, v3, 23, v7
	v_or3_b32 v2, v6, v3, v2
.LBB32_1228:
	s_or_b64 exec, exec, s[6:7]
	v_lshrrev_b32_e32 v3, 8, v4
	s_movk_i32 s4, 0x7f
	v_cmp_gt_i16_sdwa s[6:7], v3, s4 src0_sel:BYTE_0 src1_sel:DWORD
	s_mov_b64 s[4:5], 0
                                        ; implicit-def: $sgpr10
	s_and_saveexec_b64 s[8:9], s[6:7]
	s_xor_b64 s[6:7], exec, s[8:9]
	s_cbranch_execnz .LBB32_3277
; %bb.1229:
	s_or_saveexec_b64 s[6:7], s[6:7]
	v_mov_b32_e32 v6, s10
	s_xor_b64 exec, exec, s[6:7]
	s_cbranch_execnz .LBB32_3280
.LBB32_1230:
	s_or_b64 exec, exec, s[6:7]
	s_and_saveexec_b64 s[6:7], s[4:5]
	s_cbranch_execz .LBB32_1232
.LBB32_1231:
	v_bfe_u32 v6, v4, 8, 3
	v_ffbh_u32_e32 v10, v6
	v_min_u32_e32 v10, 32, v10
	v_lshrrev_b16_e32 v7, 3, v3
	v_subrev_u32_e32 v11, 28, v10
	v_and_b32_e32 v7, 15, v7
	v_lshlrev_b32_e32 v3, v11, v3
	v_sub_u32_e32 v10, 29, v10
	v_and_b32_e32 v3, 7, v3
	v_cmp_eq_u16_e32 vcc, 0, v7
	v_cndmask_b32_e32 v3, v6, v3, vcc
	v_cndmask_b32_e32 v6, v7, v10, vcc
	v_lshlrev_b32_e32 v7, 16, v4
	v_mov_b32_e32 v10, 0x3b800000
	v_lshlrev_b32_e32 v3, 20, v3
	v_and_b32_e32 v7, 0x80000000, v7
	v_lshl_add_u32 v6, v6, 23, v10
	v_or3_b32 v6, v7, v6, v3
.LBB32_1232:
	s_or_b64 exec, exec, s[6:7]
	s_nop 0
	v_mfma_f32_16x16x4f32 a[0:3], v2, v6, a[0:3]
	s_movk_i32 s4, 0xff
	v_and_b32_sdwa v3, v8, s4 dst_sel:DWORD dst_unused:UNUSED_PAD src0_sel:WORD_1 src1_sel:DWORD
	s_movk_i32 s4, 0x7f
	v_cmp_lt_i16_e32 vcc, s4, v3
	s_mov_b64 s[4:5], 0
                                        ; implicit-def: $sgpr10
	s_and_saveexec_b64 s[6:7], vcc
	s_xor_b64 s[6:7], exec, s[6:7]
	s_cbranch_execnz .LBB32_3281
; %bb.1233:
	s_or_saveexec_b64 s[6:7], s[6:7]
	v_mov_b32_e32 v2, s10
	s_xor_b64 exec, exec, s[6:7]
	s_cbranch_execnz .LBB32_3284
.LBB32_1234:
	s_or_b64 exec, exec, s[6:7]
	s_and_saveexec_b64 s[6:7], s[4:5]
	s_cbranch_execz .LBB32_1236
.LBB32_1235:
	v_bfe_u32 v2, v8, 16, 3
	v_ffbh_u32_e32 v7, v2
	v_min_u32_e32 v7, 32, v7
	v_lshrrev_b32_e32 v3, 19, v8
	v_subrev_u32_e32 v10, 28, v7
	v_and_b32_e32 v3, 15, v3
	v_lshlrev_b32_sdwa v10, v10, v8 dst_sel:DWORD dst_unused:UNUSED_PAD src0_sel:DWORD src1_sel:WORD_1
	v_bfe_u32 v6, v8, 19, 4
	v_sub_u32_e32 v7, 29, v7
	v_and_b32_e32 v10, 7, v10
	v_cmp_eq_u16_e32 vcc, 0, v3
	v_cndmask_b32_e32 v2, v2, v10, vcc
	v_cndmask_b32_e32 v3, v6, v7, vcc
	v_lshlrev_b32_e32 v6, 8, v8
	v_mov_b32_e32 v7, 0x3b800000
	v_lshlrev_b32_e32 v2, 20, v2
	v_and_b32_e32 v6, 0x80000000, v6
	v_lshl_add_u32 v3, v3, 23, v7
	v_or3_b32 v2, v6, v3, v2
.LBB32_1236:
	s_or_b64 exec, exec, s[6:7]
	s_movk_i32 s4, 0xff
	v_and_b32_sdwa v3, v4, s4 dst_sel:DWORD dst_unused:UNUSED_PAD src0_sel:WORD_1 src1_sel:DWORD
	s_movk_i32 s4, 0x7f
	v_cmp_lt_i16_e32 vcc, s4, v3
	s_mov_b64 s[4:5], 0
                                        ; implicit-def: $sgpr10
	s_and_saveexec_b64 s[6:7], vcc
	s_xor_b64 s[6:7], exec, s[6:7]
	s_cbranch_execnz .LBB32_3285
; %bb.1237:
	s_or_saveexec_b64 s[6:7], s[6:7]
	v_mov_b32_e32 v6, s10
	s_xor_b64 exec, exec, s[6:7]
	s_cbranch_execnz .LBB32_3288
.LBB32_1238:
	s_or_b64 exec, exec, s[6:7]
	s_and_saveexec_b64 s[6:7], s[4:5]
	s_cbranch_execz .LBB32_1240
.LBB32_1239:
	v_bfe_u32 v3, v4, 16, 3
	v_ffbh_u32_e32 v10, v3
	v_min_u32_e32 v10, 32, v10
	v_lshrrev_b32_e32 v6, 19, v4
	v_subrev_u32_e32 v11, 28, v10
	v_and_b32_e32 v6, 15, v6
	v_lshlrev_b32_sdwa v11, v11, v4 dst_sel:DWORD dst_unused:UNUSED_PAD src0_sel:DWORD src1_sel:WORD_1
	v_bfe_u32 v7, v4, 19, 4
	v_sub_u32_e32 v10, 29, v10
	v_and_b32_e32 v11, 7, v11
	v_cmp_eq_u16_e32 vcc, 0, v6
	v_cndmask_b32_e32 v3, v3, v11, vcc
	v_cndmask_b32_e32 v6, v7, v10, vcc
	v_lshlrev_b32_e32 v7, 8, v4
	v_mov_b32_e32 v10, 0x3b800000
	v_lshlrev_b32_e32 v3, 20, v3
	v_and_b32_e32 v7, 0x80000000, v7
	v_lshl_add_u32 v6, v6, 23, v10
	v_or3_b32 v6, v7, v6, v3
.LBB32_1240:
	s_or_b64 exec, exec, s[6:7]
	s_nop 0
	v_mfma_f32_16x16x4f32 a[0:3], v2, v6, a[0:3]
	s_movk_i32 s4, 0x7f
	v_cmp_gt_i16_sdwa s[6:7], v8, s4 src0_sel:BYTE_3 src1_sel:DWORD
	s_mov_b64 s[4:5], 0
                                        ; implicit-def: $sgpr10
	s_and_saveexec_b64 s[8:9], s[6:7]
	s_xor_b64 s[6:7], exec, s[8:9]
	s_cbranch_execnz .LBB32_3289
; %bb.1241:
	s_or_saveexec_b64 s[6:7], s[6:7]
	v_mov_b32_e32 v2, s10
	s_xor_b64 exec, exec, s[6:7]
	s_cbranch_execnz .LBB32_3292
.LBB32_1242:
	s_or_b64 exec, exec, s[6:7]
	s_and_saveexec_b64 s[6:7], s[4:5]
	s_cbranch_execz .LBB32_1244
.LBB32_1243:
	v_bfe_u32 v2, v8, 24, 3
	v_ffbh_u32_e32 v10, v2
	v_min_u32_e32 v10, 32, v10
	v_lshrrev_b32_e32 v6, 27, v8
	v_subrev_u32_e32 v11, 28, v10
	v_and_b32_e32 v3, 0x80000000, v8
	v_and_b32_e32 v6, 15, v6
	v_bfe_u32 v7, v8, 27, 4
	v_lshlrev_b32_sdwa v8, v11, v8 dst_sel:DWORD dst_unused:UNUSED_PAD src0_sel:DWORD src1_sel:BYTE_3
	v_sub_u32_e32 v10, 29, v10
	v_and_b32_e32 v8, 7, v8
	v_cmp_eq_u16_e32 vcc, 0, v6
	v_cndmask_b32_e32 v2, v2, v8, vcc
	v_cndmask_b32_e32 v6, v7, v10, vcc
	v_mov_b32_e32 v7, 0x3b800000
	v_lshlrev_b32_e32 v2, 20, v2
	v_lshl_add_u32 v6, v6, 23, v7
	v_or3_b32 v2, v3, v6, v2
.LBB32_1244:
	s_or_b64 exec, exec, s[6:7]
	s_movk_i32 s4, 0x7f
	v_cmp_gt_i16_sdwa s[6:7], v4, s4 src0_sel:BYTE_3 src1_sel:DWORD
	s_mov_b64 s[4:5], 0
                                        ; implicit-def: $sgpr10
	s_and_saveexec_b64 s[8:9], s[6:7]
	s_xor_b64 s[6:7], exec, s[8:9]
	s_cbranch_execnz .LBB32_3293
; %bb.1245:
	s_or_saveexec_b64 s[6:7], s[6:7]
	v_mov_b32_e32 v3, s10
	s_xor_b64 exec, exec, s[6:7]
	s_cbranch_execnz .LBB32_3296
.LBB32_1246:
	s_or_b64 exec, exec, s[6:7]
	s_and_saveexec_b64 s[6:7], s[4:5]
	s_cbranch_execz .LBB32_1248
.LBB32_1247:
	v_bfe_u32 v3, v4, 24, 3
	v_ffbh_u32_e32 v10, v3
	v_min_u32_e32 v10, 32, v10
	v_lshrrev_b32_e32 v7, 27, v4
	v_subrev_u32_e32 v11, 28, v10
	v_and_b32_e32 v6, 0x80000000, v4
	v_and_b32_e32 v7, 15, v7
	v_bfe_u32 v8, v4, 27, 4
	v_lshlrev_b32_sdwa v4, v11, v4 dst_sel:DWORD dst_unused:UNUSED_PAD src0_sel:DWORD src1_sel:BYTE_3
	v_sub_u32_e32 v10, 29, v10
	v_and_b32_e32 v4, 7, v4
	v_cmp_eq_u16_e32 vcc, 0, v7
	v_cndmask_b32_e32 v3, v3, v4, vcc
	v_cndmask_b32_e32 v4, v8, v10, vcc
	v_mov_b32_e32 v7, 0x3b800000
	v_lshlrev_b32_e32 v3, 20, v3
	v_lshl_add_u32 v4, v4, 23, v7
	v_or3_b32 v3, v6, v4, v3
.LBB32_1248:
	s_or_b64 exec, exec, s[6:7]
	s_nop 0
	v_mfma_f32_16x16x4f32 a[0:3], v2, v3, a[0:3]
	s_movk_i32 s4, 0x7f
	v_cmp_gt_i16_sdwa s[6:7], v9, s4 src0_sel:BYTE_0 src1_sel:DWORD
	s_mov_b64 s[4:5], 0
                                        ; implicit-def: $sgpr10
	s_and_saveexec_b64 s[8:9], s[6:7]
	s_xor_b64 s[6:7], exec, s[8:9]
	s_cbranch_execnz .LBB32_3297
; %bb.1249:
	s_or_saveexec_b64 s[6:7], s[6:7]
	v_mov_b32_e32 v2, s10
	s_xor_b64 exec, exec, s[6:7]
	s_cbranch_execnz .LBB32_3300
.LBB32_1250:
	s_or_b64 exec, exec, s[6:7]
	s_and_saveexec_b64 s[6:7], s[4:5]
	s_cbranch_execz .LBB32_1252
.LBB32_1251:
	v_mov_b32_e32 v2, 8
	v_and_b32_e32 v3, 7, v9
	v_lshrrev_b32_sdwa v2, v2, v9 dst_sel:BYTE_1 dst_unused:UNUSED_PAD src0_sel:DWORD src1_sel:DWORD
	v_ffbh_u32_e32 v4, v3
	v_or_b32_sdwa v2, v9, v2 dst_sel:DWORD dst_unused:UNUSED_PAD src0_sel:BYTE_0 src1_sel:DWORD
	v_min_u32_e32 v4, 32, v4
	v_lshrrev_b16_e32 v2, 3, v2
	v_subrev_u32_e32 v6, 28, v4
	v_and_b32_e32 v2, 15, v2
	v_lshlrev_b32_e32 v6, v6, v9
	v_sub_u32_e32 v4, 29, v4
	v_and_b32_e32 v6, 7, v6
	v_cmp_eq_u16_e32 vcc, 0, v2
	v_cndmask_b32_e32 v3, v3, v6, vcc
	v_cndmask_b32_e32 v2, v2, v4, vcc
	v_lshlrev_b32_e32 v4, 24, v9
	v_mov_b32_e32 v6, 0x3b800000
	v_lshlrev_b32_e32 v3, 20, v3
	v_and_b32_e32 v4, 0x80000000, v4
	v_lshl_add_u32 v2, v2, 23, v6
	v_or3_b32 v2, v4, v2, v3
.LBB32_1252:
	s_or_b64 exec, exec, s[6:7]
	s_movk_i32 s4, 0x7f
	v_cmp_gt_i16_sdwa s[6:7], v5, s4 src0_sel:BYTE_0 src1_sel:DWORD
	s_mov_b64 s[4:5], 0
                                        ; implicit-def: $sgpr10
	s_and_saveexec_b64 s[8:9], s[6:7]
	s_xor_b64 s[6:7], exec, s[8:9]
	s_cbranch_execnz .LBB32_3301
; %bb.1253:
	s_or_saveexec_b64 s[6:7], s[6:7]
	v_mov_b32_e32 v3, s10
	s_xor_b64 exec, exec, s[6:7]
	s_cbranch_execnz .LBB32_3304
.LBB32_1254:
	s_or_b64 exec, exec, s[6:7]
	s_and_saveexec_b64 s[6:7], s[4:5]
	s_cbranch_execz .LBB32_1256
.LBB32_1255:
	v_mov_b32_e32 v3, 8
	v_and_b32_e32 v4, 7, v5
	v_lshrrev_b32_sdwa v3, v3, v5 dst_sel:BYTE_1 dst_unused:UNUSED_PAD src0_sel:DWORD src1_sel:DWORD
	v_ffbh_u32_e32 v6, v4
	v_or_b32_sdwa v3, v5, v3 dst_sel:DWORD dst_unused:UNUSED_PAD src0_sel:BYTE_0 src1_sel:DWORD
	v_min_u32_e32 v6, 32, v6
	v_lshrrev_b16_e32 v3, 3, v3
	v_subrev_u32_e32 v7, 28, v6
	v_and_b32_e32 v3, 15, v3
	v_lshlrev_b32_e32 v7, v7, v5
	v_sub_u32_e32 v6, 29, v6
	v_and_b32_e32 v7, 7, v7
	v_cmp_eq_u16_e32 vcc, 0, v3
	v_cndmask_b32_e32 v4, v4, v7, vcc
	v_cndmask_b32_e32 v3, v3, v6, vcc
	v_lshlrev_b32_e32 v6, 24, v5
	v_mov_b32_e32 v7, 0x3b800000
	v_lshlrev_b32_e32 v4, 20, v4
	v_and_b32_e32 v6, 0x80000000, v6
	v_lshl_add_u32 v3, v3, 23, v7
	v_or3_b32 v3, v6, v3, v4
.LBB32_1256:
	s_or_b64 exec, exec, s[6:7]
	s_nop 0
	v_mfma_f32_16x16x4f32 a[0:3], v2, v3, a[0:3]
	v_lshrrev_b32_e32 v3, 8, v9
	s_movk_i32 s4, 0x7f
	v_cmp_gt_i16_sdwa s[6:7], v3, s4 src0_sel:BYTE_0 src1_sel:DWORD
	s_mov_b64 s[4:5], 0
                                        ; implicit-def: $sgpr10
	s_and_saveexec_b64 s[8:9], s[6:7]
	s_xor_b64 s[6:7], exec, s[8:9]
	s_cbranch_execnz .LBB32_3305
; %bb.1257:
	s_or_saveexec_b64 s[6:7], s[6:7]
	v_mov_b32_e32 v2, s10
	s_xor_b64 exec, exec, s[6:7]
	s_cbranch_execnz .LBB32_3308
.LBB32_1258:
	s_or_b64 exec, exec, s[6:7]
	s_and_saveexec_b64 s[6:7], s[4:5]
	s_cbranch_execz .LBB32_1260
.LBB32_1259:
	v_bfe_u32 v2, v9, 8, 3
	v_ffbh_u32_e32 v6, v2
	v_min_u32_e32 v6, 32, v6
	v_lshrrev_b16_e32 v4, 3, v3
	v_subrev_u32_e32 v7, 28, v6
	v_and_b32_e32 v4, 15, v4
	v_lshlrev_b32_e32 v3, v7, v3
	v_sub_u32_e32 v6, 29, v6
	v_and_b32_e32 v3, 7, v3
	v_cmp_eq_u16_e32 vcc, 0, v4
	v_cndmask_b32_e32 v2, v2, v3, vcc
	v_cndmask_b32_e32 v3, v4, v6, vcc
	v_lshlrev_b32_e32 v4, 16, v9
	v_mov_b32_e32 v6, 0x3b800000
	v_lshlrev_b32_e32 v2, 20, v2
	v_and_b32_e32 v4, 0x80000000, v4
	v_lshl_add_u32 v3, v3, 23, v6
	v_or3_b32 v2, v4, v3, v2
.LBB32_1260:
	s_or_b64 exec, exec, s[6:7]
	v_lshrrev_b32_e32 v3, 8, v5
	s_movk_i32 s4, 0x7f
	v_cmp_gt_i16_sdwa s[6:7], v3, s4 src0_sel:BYTE_0 src1_sel:DWORD
	s_mov_b64 s[4:5], 0
                                        ; implicit-def: $sgpr10
	s_and_saveexec_b64 s[8:9], s[6:7]
	s_xor_b64 s[6:7], exec, s[8:9]
	s_cbranch_execnz .LBB32_3309
; %bb.1261:
	s_or_saveexec_b64 s[6:7], s[6:7]
	v_mov_b32_e32 v4, s10
	s_xor_b64 exec, exec, s[6:7]
	s_cbranch_execnz .LBB32_3312
.LBB32_1262:
	s_or_b64 exec, exec, s[6:7]
	s_and_saveexec_b64 s[6:7], s[4:5]
	s_cbranch_execz .LBB32_1264
.LBB32_1263:
	v_bfe_u32 v4, v5, 8, 3
	v_ffbh_u32_e32 v7, v4
	v_min_u32_e32 v7, 32, v7
	v_lshrrev_b16_e32 v6, 3, v3
	v_subrev_u32_e32 v8, 28, v7
	v_and_b32_e32 v6, 15, v6
	v_lshlrev_b32_e32 v3, v8, v3
	v_sub_u32_e32 v7, 29, v7
	v_and_b32_e32 v3, 7, v3
	v_cmp_eq_u16_e32 vcc, 0, v6
	v_cndmask_b32_e32 v3, v4, v3, vcc
	v_cndmask_b32_e32 v4, v6, v7, vcc
	v_lshlrev_b32_e32 v6, 16, v5
	v_mov_b32_e32 v7, 0x3b800000
	v_lshlrev_b32_e32 v3, 20, v3
	v_and_b32_e32 v6, 0x80000000, v6
	v_lshl_add_u32 v4, v4, 23, v7
	v_or3_b32 v4, v6, v4, v3
.LBB32_1264:
	s_or_b64 exec, exec, s[6:7]
	s_nop 0
	v_mfma_f32_16x16x4f32 a[0:3], v2, v4, a[0:3]
	s_movk_i32 s4, 0xff
	v_and_b32_sdwa v3, v9, s4 dst_sel:DWORD dst_unused:UNUSED_PAD src0_sel:WORD_1 src1_sel:DWORD
	s_movk_i32 s4, 0x7f
	v_cmp_lt_i16_e32 vcc, s4, v3
	s_mov_b64 s[4:5], 0
                                        ; implicit-def: $sgpr10
	s_and_saveexec_b64 s[6:7], vcc
	s_xor_b64 s[6:7], exec, s[6:7]
	s_cbranch_execnz .LBB32_3313
; %bb.1265:
	s_or_saveexec_b64 s[6:7], s[6:7]
	v_mov_b32_e32 v2, s10
	s_xor_b64 exec, exec, s[6:7]
	s_cbranch_execnz .LBB32_3316
.LBB32_1266:
	s_or_b64 exec, exec, s[6:7]
	s_and_saveexec_b64 s[6:7], s[4:5]
	s_cbranch_execz .LBB32_1268
.LBB32_1267:
	v_bfe_u32 v2, v9, 16, 3
	v_ffbh_u32_e32 v6, v2
	v_min_u32_e32 v6, 32, v6
	v_lshrrev_b32_e32 v3, 19, v9
	v_subrev_u32_e32 v7, 28, v6
	v_and_b32_e32 v3, 15, v3
	v_lshlrev_b32_sdwa v7, v7, v9 dst_sel:DWORD dst_unused:UNUSED_PAD src0_sel:DWORD src1_sel:WORD_1
	v_bfe_u32 v4, v9, 19, 4
	v_sub_u32_e32 v6, 29, v6
	v_and_b32_e32 v7, 7, v7
	v_cmp_eq_u16_e32 vcc, 0, v3
	v_cndmask_b32_e32 v2, v2, v7, vcc
	v_cndmask_b32_e32 v3, v4, v6, vcc
	v_lshlrev_b32_e32 v4, 8, v9
	v_mov_b32_e32 v6, 0x3b800000
	v_lshlrev_b32_e32 v2, 20, v2
	v_and_b32_e32 v4, 0x80000000, v4
	v_lshl_add_u32 v3, v3, 23, v6
	v_or3_b32 v2, v4, v3, v2
.LBB32_1268:
	s_or_b64 exec, exec, s[6:7]
	s_movk_i32 s4, 0xff
	v_and_b32_sdwa v3, v5, s4 dst_sel:DWORD dst_unused:UNUSED_PAD src0_sel:WORD_1 src1_sel:DWORD
	s_movk_i32 s4, 0x7f
	v_cmp_lt_i16_e32 vcc, s4, v3
	s_mov_b64 s[4:5], 0
                                        ; implicit-def: $sgpr10
	s_and_saveexec_b64 s[6:7], vcc
	s_xor_b64 s[6:7], exec, s[6:7]
	s_cbranch_execnz .LBB32_3317
; %bb.1269:
	s_or_saveexec_b64 s[6:7], s[6:7]
	v_mov_b32_e32 v4, s10
	s_xor_b64 exec, exec, s[6:7]
	s_cbranch_execnz .LBB32_3320
.LBB32_1270:
	s_or_b64 exec, exec, s[6:7]
	s_and_saveexec_b64 s[6:7], s[4:5]
	s_cbranch_execz .LBB32_1272
.LBB32_1271:
	v_bfe_u32 v3, v5, 16, 3
	v_ffbh_u32_e32 v7, v3
	v_min_u32_e32 v7, 32, v7
	v_lshrrev_b32_e32 v4, 19, v5
	v_subrev_u32_e32 v8, 28, v7
	v_and_b32_e32 v4, 15, v4
	v_lshlrev_b32_sdwa v8, v8, v5 dst_sel:DWORD dst_unused:UNUSED_PAD src0_sel:DWORD src1_sel:WORD_1
	v_bfe_u32 v6, v5, 19, 4
	v_sub_u32_e32 v7, 29, v7
	v_and_b32_e32 v8, 7, v8
	v_cmp_eq_u16_e32 vcc, 0, v4
	v_cndmask_b32_e32 v3, v3, v8, vcc
	v_cndmask_b32_e32 v4, v6, v7, vcc
	v_lshlrev_b32_e32 v6, 8, v5
	v_mov_b32_e32 v7, 0x3b800000
	v_lshlrev_b32_e32 v3, 20, v3
	v_and_b32_e32 v6, 0x80000000, v6
	v_lshl_add_u32 v4, v4, 23, v7
	v_or3_b32 v4, v6, v4, v3
.LBB32_1272:
	s_or_b64 exec, exec, s[6:7]
	s_nop 0
	v_mfma_f32_16x16x4f32 a[0:3], v2, v4, a[0:3]
	s_movk_i32 s4, 0x7f
	v_cmp_gt_i16_sdwa s[6:7], v9, s4 src0_sel:BYTE_3 src1_sel:DWORD
	s_mov_b64 s[4:5], 0
                                        ; implicit-def: $sgpr10
	s_and_saveexec_b64 s[8:9], s[6:7]
	s_xor_b64 s[6:7], exec, s[8:9]
	s_cbranch_execnz .LBB32_3321
; %bb.1273:
	s_or_saveexec_b64 s[6:7], s[6:7]
	v_mov_b32_e32 v2, s10
	s_xor_b64 exec, exec, s[6:7]
	s_cbranch_execnz .LBB32_3324
.LBB32_1274:
	s_or_b64 exec, exec, s[6:7]
	s_and_saveexec_b64 s[6:7], s[4:5]
	s_cbranch_execz .LBB32_1276
.LBB32_1275:
	v_bfe_u32 v2, v9, 24, 3
	v_ffbh_u32_e32 v7, v2
	v_min_u32_e32 v7, 32, v7
	v_lshrrev_b32_e32 v4, 27, v9
	v_subrev_u32_e32 v8, 28, v7
	v_and_b32_e32 v4, 15, v4
	v_lshlrev_b32_sdwa v8, v8, v9 dst_sel:DWORD dst_unused:UNUSED_PAD src0_sel:DWORD src1_sel:BYTE_3
	v_bfe_u32 v6, v9, 27, 4
	v_sub_u32_e32 v7, 29, v7
	v_and_b32_e32 v8, 7, v8
	v_cmp_eq_u16_e32 vcc, 0, v4
	v_cndmask_b32_e32 v2, v2, v8, vcc
	v_cndmask_b32_e32 v4, v6, v7, vcc
	v_mov_b32_e32 v6, 0x3b800000
	v_and_b32_e32 v3, 0x80000000, v9
	v_lshlrev_b32_e32 v2, 20, v2
	v_lshl_add_u32 v4, v4, 23, v6
	v_or3_b32 v2, v3, v4, v2
.LBB32_1276:
	s_or_b64 exec, exec, s[6:7]
	s_movk_i32 s4, 0x7f
	v_cmp_gt_i16_sdwa s[6:7], v5, s4 src0_sel:BYTE_3 src1_sel:DWORD
	s_mov_b64 s[4:5], 0
                                        ; implicit-def: $sgpr10
	s_and_saveexec_b64 s[8:9], s[6:7]
	s_xor_b64 s[6:7], exec, s[8:9]
	s_cbranch_execnz .LBB32_3325
; %bb.1277:
	s_or_saveexec_b64 s[6:7], s[6:7]
	v_mov_b32_e32 v3, s10
	s_xor_b64 exec, exec, s[6:7]
	s_cbranch_execnz .LBB32_3328
.LBB32_1278:
	s_or_b64 exec, exec, s[6:7]
	s_and_saveexec_b64 s[6:7], s[4:5]
	s_cbranch_execz .LBB32_1280
.LBB32_1279:
	v_bfe_u32 v3, v5, 24, 3
	v_ffbh_u32_e32 v8, v3
	v_min_u32_e32 v8, 32, v8
	v_lshrrev_b32_e32 v6, 27, v5
	v_subrev_u32_e32 v9, 28, v8
	v_and_b32_e32 v4, 0x80000000, v5
	v_and_b32_e32 v6, 15, v6
	v_bfe_u32 v7, v5, 27, 4
	v_lshlrev_b32_sdwa v5, v9, v5 dst_sel:DWORD dst_unused:UNUSED_PAD src0_sel:DWORD src1_sel:BYTE_3
	v_sub_u32_e32 v8, 29, v8
	v_and_b32_e32 v5, 7, v5
	v_cmp_eq_u16_e32 vcc, 0, v6
	v_cndmask_b32_e32 v3, v3, v5, vcc
	v_cndmask_b32_e32 v5, v7, v8, vcc
	v_mov_b32_e32 v6, 0x3b800000
	v_lshlrev_b32_e32 v3, 20, v3
	v_lshl_add_u32 v5, v5, 23, v6
	v_or3_b32 v3, v4, v5, v3
.LBB32_1280:
	s_or_b64 exec, exec, s[6:7]
	s_nop 0
	v_mfma_f32_16x16x4f32 a[0:3], v2, v3, a[0:3]
	s_movk_i32 s4, 0x7f
                                        ; implicit-def: $sgpr10
	s_nop 7
	s_nop 1
	flat_store_dwordx4 v[18:19], a[0:3] offset:576
	flat_load_dwordx4 v[20:23], v[0:1] offset:16
	s_nop 0
	flat_load_dwordx2 v[18:19], v[0:1] offset:32
	s_waitcnt vmcnt(0) lgkmcnt(0)
	flat_load_dwordx4 v[14:17], v[20:21]
	flat_load_dwordx4 v[6:9], v[20:21] offset:16
	flat_load_dwordx4 v[10:13], v[22:23] offset:160
	;; [unrolled: 1-line block ×3, first 2 shown]
	s_waitcnt vmcnt(0) lgkmcnt(0)
	v_cmp_gt_i16_sdwa s[6:7], v14, s4 src0_sel:BYTE_0 src1_sel:DWORD
	s_mov_b64 s[4:5], 0
	s_and_saveexec_b64 s[8:9], s[6:7]
	s_xor_b64 s[6:7], exec, s[8:9]
	s_cbranch_execnz .LBB32_3329
; %bb.1281:
	s_or_saveexec_b64 s[6:7], s[6:7]
	v_mov_b32_e32 v20, s10
	s_xor_b64 exec, exec, s[6:7]
	s_cbranch_execnz .LBB32_3332
.LBB32_1282:
	s_or_b64 exec, exec, s[6:7]
	s_and_saveexec_b64 s[6:7], s[4:5]
	s_cbranch_execz .LBB32_1284
.LBB32_1283:
	v_and_b32_e32 v20, 7, v14
	v_ffbh_u32_e32 v22, v20
	v_min_u32_e32 v22, 32, v22
	v_lshrrev_b16_e32 v21, 3, v14
	v_subrev_u32_e32 v23, 28, v22
	v_and_b32_e32 v21, 15, v21
	v_lshlrev_b32_e32 v23, v23, v14
	v_sub_u32_e32 v22, 29, v22
	v_and_b32_e32 v23, 7, v23
	v_cmp_eq_u16_e32 vcc, 0, v21
	v_cndmask_b32_e32 v20, v20, v23, vcc
	v_cndmask_b32_e32 v21, v21, v22, vcc
	v_lshlrev_b32_e32 v22, 24, v14
	v_mov_b32_e32 v23, 0x3b800000
	v_lshlrev_b32_e32 v20, 20, v20
	v_and_b32_e32 v22, 0x80000000, v22
	v_lshl_add_u32 v21, v21, 23, v23
	v_or3_b32 v20, v22, v21, v20
.LBB32_1284:
	s_or_b64 exec, exec, s[6:7]
	s_movk_i32 s4, 0x7f
	v_cmp_gt_i16_sdwa s[6:7], v10, s4 src0_sel:BYTE_0 src1_sel:DWORD
	s_mov_b64 s[4:5], 0
                                        ; implicit-def: $sgpr10
	s_and_saveexec_b64 s[8:9], s[6:7]
	s_xor_b64 s[6:7], exec, s[8:9]
	s_cbranch_execnz .LBB32_3333
; %bb.1285:
	s_or_saveexec_b64 s[6:7], s[6:7]
	v_mov_b32_e32 v21, s10
	s_xor_b64 exec, exec, s[6:7]
	s_cbranch_execnz .LBB32_3336
.LBB32_1286:
	s_or_b64 exec, exec, s[6:7]
	s_and_saveexec_b64 s[6:7], s[4:5]
	s_cbranch_execz .LBB32_1288
.LBB32_1287:
	v_and_b32_e32 v21, 7, v10
	v_ffbh_u32_e32 v23, v21
	v_min_u32_e32 v23, 32, v23
	v_lshrrev_b16_e32 v22, 3, v10
	v_subrev_u32_e32 v24, 28, v23
	v_and_b32_e32 v22, 15, v22
	v_lshlrev_b32_e32 v24, v24, v10
	v_sub_u32_e32 v23, 29, v23
	v_and_b32_e32 v24, 7, v24
	v_cmp_eq_u16_e32 vcc, 0, v22
	v_cndmask_b32_e32 v21, v21, v24, vcc
	v_cndmask_b32_e32 v22, v22, v23, vcc
	v_lshlrev_b32_e32 v23, 24, v10
	v_mov_b32_e32 v24, 0x3b800000
	v_lshlrev_b32_e32 v21, 20, v21
	v_and_b32_e32 v23, 0x80000000, v23
	v_lshl_add_u32 v22, v22, 23, v24
	v_or3_b32 v21, v23, v22, v21
.LBB32_1288:
	s_or_b64 exec, exec, s[6:7]
	flat_load_dwordx4 a[0:3], v[18:19] offset:592
	s_movk_i32 s4, 0x7f
                                        ; implicit-def: $sgpr10
	s_waitcnt vmcnt(0) lgkmcnt(0)
	v_mfma_f32_16x16x4f32 a[0:3], v20, v21, a[0:3]
	v_lshrrev_b32_e32 v21, 8, v14
	v_cmp_gt_i16_sdwa s[6:7], v21, s4 src0_sel:BYTE_0 src1_sel:DWORD
	s_mov_b64 s[4:5], 0
	s_and_saveexec_b64 s[8:9], s[6:7]
	s_xor_b64 s[6:7], exec, s[8:9]
	s_cbranch_execnz .LBB32_3337
; %bb.1289:
	s_or_saveexec_b64 s[6:7], s[6:7]
	v_mov_b32_e32 v20, s10
	s_xor_b64 exec, exec, s[6:7]
	s_cbranch_execnz .LBB32_3340
.LBB32_1290:
	s_or_b64 exec, exec, s[6:7]
	s_and_saveexec_b64 s[6:7], s[4:5]
	s_cbranch_execz .LBB32_1292
.LBB32_1291:
	v_bfe_u32 v20, v14, 8, 3
	v_ffbh_u32_e32 v23, v20
	v_min_u32_e32 v23, 32, v23
	v_lshrrev_b16_e32 v22, 3, v21
	v_subrev_u32_e32 v24, 28, v23
	v_and_b32_e32 v22, 15, v22
	v_lshlrev_b32_e32 v21, v24, v21
	v_sub_u32_e32 v23, 29, v23
	v_and_b32_e32 v21, 7, v21
	v_cmp_eq_u16_e32 vcc, 0, v22
	v_cndmask_b32_e32 v20, v20, v21, vcc
	v_cndmask_b32_e32 v21, v22, v23, vcc
	v_lshlrev_b32_e32 v22, 16, v14
	v_mov_b32_e32 v23, 0x3b800000
	v_lshlrev_b32_e32 v20, 20, v20
	v_and_b32_e32 v22, 0x80000000, v22
	v_lshl_add_u32 v21, v21, 23, v23
	v_or3_b32 v20, v22, v21, v20
.LBB32_1292:
	s_or_b64 exec, exec, s[6:7]
	v_lshrrev_b32_e32 v21, 8, v10
	s_movk_i32 s4, 0x7f
	v_cmp_gt_i16_sdwa s[6:7], v21, s4 src0_sel:BYTE_0 src1_sel:DWORD
	s_mov_b64 s[4:5], 0
                                        ; implicit-def: $sgpr10
	s_and_saveexec_b64 s[8:9], s[6:7]
	s_xor_b64 s[6:7], exec, s[8:9]
	s_cbranch_execnz .LBB32_3341
; %bb.1293:
	s_or_saveexec_b64 s[6:7], s[6:7]
	v_mov_b32_e32 v22, s10
	s_xor_b64 exec, exec, s[6:7]
	s_cbranch_execnz .LBB32_3344
.LBB32_1294:
	s_or_b64 exec, exec, s[6:7]
	s_and_saveexec_b64 s[6:7], s[4:5]
	s_cbranch_execz .LBB32_1296
.LBB32_1295:
	v_bfe_u32 v22, v10, 8, 3
	v_ffbh_u32_e32 v24, v22
	v_min_u32_e32 v24, 32, v24
	v_lshrrev_b16_e32 v23, 3, v21
	v_subrev_u32_e32 v25, 28, v24
	v_and_b32_e32 v23, 15, v23
	v_lshlrev_b32_e32 v21, v25, v21
	v_sub_u32_e32 v24, 29, v24
	v_and_b32_e32 v21, 7, v21
	v_cmp_eq_u16_e32 vcc, 0, v23
	v_cndmask_b32_e32 v21, v22, v21, vcc
	v_cndmask_b32_e32 v22, v23, v24, vcc
	v_lshlrev_b32_e32 v23, 16, v10
	v_mov_b32_e32 v24, 0x3b800000
	v_lshlrev_b32_e32 v21, 20, v21
	v_and_b32_e32 v23, 0x80000000, v23
	v_lshl_add_u32 v22, v22, 23, v24
	v_or3_b32 v22, v23, v22, v21
.LBB32_1296:
	s_or_b64 exec, exec, s[6:7]
	s_nop 0
	v_mfma_f32_16x16x4f32 a[0:3], v20, v22, a[0:3]
	s_movk_i32 s4, 0xff
	v_and_b32_sdwa v21, v14, s4 dst_sel:DWORD dst_unused:UNUSED_PAD src0_sel:WORD_1 src1_sel:DWORD
	s_movk_i32 s4, 0x7f
	v_cmp_lt_i16_e32 vcc, s4, v21
	s_mov_b64 s[4:5], 0
                                        ; implicit-def: $sgpr10
	s_and_saveexec_b64 s[6:7], vcc
	s_xor_b64 s[6:7], exec, s[6:7]
	s_cbranch_execnz .LBB32_3345
; %bb.1297:
	s_or_saveexec_b64 s[6:7], s[6:7]
	v_mov_b32_e32 v20, s10
	s_xor_b64 exec, exec, s[6:7]
	s_cbranch_execnz .LBB32_3348
.LBB32_1298:
	s_or_b64 exec, exec, s[6:7]
	s_and_saveexec_b64 s[6:7], s[4:5]
	s_cbranch_execz .LBB32_1300
.LBB32_1299:
	v_bfe_u32 v20, v14, 16, 3
	v_ffbh_u32_e32 v23, v20
	v_min_u32_e32 v23, 32, v23
	v_lshrrev_b32_e32 v21, 19, v14
	v_subrev_u32_e32 v24, 28, v23
	v_and_b32_e32 v21, 15, v21
	v_lshlrev_b32_sdwa v24, v24, v14 dst_sel:DWORD dst_unused:UNUSED_PAD src0_sel:DWORD src1_sel:WORD_1
	v_bfe_u32 v22, v14, 19, 4
	v_sub_u32_e32 v23, 29, v23
	v_and_b32_e32 v24, 7, v24
	v_cmp_eq_u16_e32 vcc, 0, v21
	v_cndmask_b32_e32 v20, v20, v24, vcc
	v_cndmask_b32_e32 v21, v22, v23, vcc
	v_lshlrev_b32_e32 v22, 8, v14
	v_mov_b32_e32 v23, 0x3b800000
	v_lshlrev_b32_e32 v20, 20, v20
	v_and_b32_e32 v22, 0x80000000, v22
	v_lshl_add_u32 v21, v21, 23, v23
	v_or3_b32 v20, v22, v21, v20
.LBB32_1300:
	s_or_b64 exec, exec, s[6:7]
	s_movk_i32 s4, 0xff
	v_and_b32_sdwa v21, v10, s4 dst_sel:DWORD dst_unused:UNUSED_PAD src0_sel:WORD_1 src1_sel:DWORD
	s_movk_i32 s4, 0x7f
	v_cmp_lt_i16_e32 vcc, s4, v21
	s_mov_b64 s[4:5], 0
                                        ; implicit-def: $sgpr10
	s_and_saveexec_b64 s[6:7], vcc
	s_xor_b64 s[6:7], exec, s[6:7]
	s_cbranch_execnz .LBB32_3349
; %bb.1301:
	s_or_saveexec_b64 s[6:7], s[6:7]
	v_mov_b32_e32 v22, s10
	s_xor_b64 exec, exec, s[6:7]
	s_cbranch_execnz .LBB32_3352
.LBB32_1302:
	s_or_b64 exec, exec, s[6:7]
	s_and_saveexec_b64 s[6:7], s[4:5]
	s_cbranch_execz .LBB32_1304
.LBB32_1303:
	v_bfe_u32 v21, v10, 16, 3
	v_ffbh_u32_e32 v24, v21
	v_min_u32_e32 v24, 32, v24
	v_lshrrev_b32_e32 v22, 19, v10
	v_subrev_u32_e32 v25, 28, v24
	v_and_b32_e32 v22, 15, v22
	v_lshlrev_b32_sdwa v25, v25, v10 dst_sel:DWORD dst_unused:UNUSED_PAD src0_sel:DWORD src1_sel:WORD_1
	v_bfe_u32 v23, v10, 19, 4
	v_sub_u32_e32 v24, 29, v24
	v_and_b32_e32 v25, 7, v25
	v_cmp_eq_u16_e32 vcc, 0, v22
	v_cndmask_b32_e32 v21, v21, v25, vcc
	v_cndmask_b32_e32 v22, v23, v24, vcc
	v_lshlrev_b32_e32 v23, 8, v10
	v_mov_b32_e32 v24, 0x3b800000
	v_lshlrev_b32_e32 v21, 20, v21
	v_and_b32_e32 v23, 0x80000000, v23
	v_lshl_add_u32 v22, v22, 23, v24
	v_or3_b32 v22, v23, v22, v21
.LBB32_1304:
	s_or_b64 exec, exec, s[6:7]
	s_nop 0
	v_mfma_f32_16x16x4f32 a[0:3], v20, v22, a[0:3]
	s_movk_i32 s4, 0x7f
	v_cmp_gt_i16_sdwa s[6:7], v14, s4 src0_sel:BYTE_3 src1_sel:DWORD
	s_mov_b64 s[4:5], 0
                                        ; implicit-def: $sgpr10
	s_and_saveexec_b64 s[8:9], s[6:7]
	s_xor_b64 s[6:7], exec, s[8:9]
	s_cbranch_execnz .LBB32_3353
; %bb.1305:
	s_or_saveexec_b64 s[6:7], s[6:7]
	v_mov_b32_e32 v20, s10
	s_xor_b64 exec, exec, s[6:7]
	s_cbranch_execnz .LBB32_3356
.LBB32_1306:
	s_or_b64 exec, exec, s[6:7]
	s_and_saveexec_b64 s[6:7], s[4:5]
	s_cbranch_execz .LBB32_1308
.LBB32_1307:
	v_bfe_u32 v20, v14, 24, 3
	v_ffbh_u32_e32 v24, v20
	v_min_u32_e32 v24, 32, v24
	v_lshrrev_b32_e32 v22, 27, v14
	v_subrev_u32_e32 v25, 28, v24
	v_and_b32_e32 v21, 0x80000000, v14
	v_and_b32_e32 v22, 15, v22
	v_bfe_u32 v23, v14, 27, 4
	v_lshlrev_b32_sdwa v14, v25, v14 dst_sel:DWORD dst_unused:UNUSED_PAD src0_sel:DWORD src1_sel:BYTE_3
	v_sub_u32_e32 v24, 29, v24
	v_and_b32_e32 v14, 7, v14
	v_cmp_eq_u16_e32 vcc, 0, v22
	v_cndmask_b32_e32 v14, v20, v14, vcc
	v_cndmask_b32_e32 v20, v23, v24, vcc
	v_mov_b32_e32 v22, 0x3b800000
	v_lshlrev_b32_e32 v14, 20, v14
	v_lshl_add_u32 v20, v20, 23, v22
	v_or3_b32 v20, v21, v20, v14
.LBB32_1308:
	s_or_b64 exec, exec, s[6:7]
	s_movk_i32 s4, 0x7f
	v_cmp_gt_i16_sdwa s[6:7], v10, s4 src0_sel:BYTE_3 src1_sel:DWORD
	s_mov_b64 s[4:5], 0
                                        ; implicit-def: $sgpr10
	s_and_saveexec_b64 s[8:9], s[6:7]
	s_xor_b64 s[6:7], exec, s[8:9]
	s_cbranch_execnz .LBB32_3357
; %bb.1309:
	s_or_saveexec_b64 s[6:7], s[6:7]
	v_mov_b32_e32 v14, s10
	s_xor_b64 exec, exec, s[6:7]
	s_cbranch_execnz .LBB32_3360
.LBB32_1310:
	s_or_b64 exec, exec, s[6:7]
	s_and_saveexec_b64 s[6:7], s[4:5]
	s_cbranch_execz .LBB32_1312
.LBB32_1311:
	v_bfe_u32 v14, v10, 24, 3
	v_ffbh_u32_e32 v24, v14
	v_min_u32_e32 v24, 32, v24
	v_lshrrev_b32_e32 v22, 27, v10
	v_subrev_u32_e32 v25, 28, v24
	v_and_b32_e32 v21, 0x80000000, v10
	v_and_b32_e32 v22, 15, v22
	v_bfe_u32 v23, v10, 27, 4
	v_lshlrev_b32_sdwa v10, v25, v10 dst_sel:DWORD dst_unused:UNUSED_PAD src0_sel:DWORD src1_sel:BYTE_3
	v_sub_u32_e32 v24, 29, v24
	v_and_b32_e32 v10, 7, v10
	v_cmp_eq_u16_e32 vcc, 0, v22
	v_cndmask_b32_e32 v10, v14, v10, vcc
	v_cndmask_b32_e32 v14, v23, v24, vcc
	v_mov_b32_e32 v22, 0x3b800000
	v_lshlrev_b32_e32 v10, 20, v10
	v_lshl_add_u32 v14, v14, 23, v22
	v_or3_b32 v14, v21, v14, v10
.LBB32_1312:
	s_or_b64 exec, exec, s[6:7]
	s_nop 0
	v_mfma_f32_16x16x4f32 a[0:3], v20, v14, a[0:3]
	s_movk_i32 s4, 0x7f
	v_cmp_gt_i16_sdwa s[6:7], v15, s4 src0_sel:BYTE_0 src1_sel:DWORD
	s_mov_b64 s[4:5], 0
                                        ; implicit-def: $sgpr10
	s_and_saveexec_b64 s[8:9], s[6:7]
	s_xor_b64 s[6:7], exec, s[8:9]
	s_cbranch_execnz .LBB32_3361
; %bb.1313:
	s_or_saveexec_b64 s[6:7], s[6:7]
	v_mov_b32_e32 v10, s10
	s_xor_b64 exec, exec, s[6:7]
	s_cbranch_execnz .LBB32_3364
.LBB32_1314:
	s_or_b64 exec, exec, s[6:7]
	s_and_saveexec_b64 s[6:7], s[4:5]
	s_cbranch_execz .LBB32_1316
.LBB32_1315:
	v_and_b32_e32 v10, 7, v15
	v_ffbh_u32_e32 v20, v10
	v_min_u32_e32 v20, 32, v20
	v_lshrrev_b16_e32 v14, 3, v15
	v_subrev_u32_e32 v21, 28, v20
	v_and_b32_e32 v14, 15, v14
	v_lshlrev_b32_e32 v21, v21, v15
	v_sub_u32_e32 v20, 29, v20
	v_and_b32_e32 v21, 7, v21
	v_cmp_eq_u16_e32 vcc, 0, v14
	v_cndmask_b32_e32 v10, v10, v21, vcc
	v_cndmask_b32_e32 v14, v14, v20, vcc
	v_lshlrev_b32_e32 v20, 24, v15
	v_mov_b32_e32 v21, 0x3b800000
	v_lshlrev_b32_e32 v10, 20, v10
	v_and_b32_e32 v20, 0x80000000, v20
	v_lshl_add_u32 v14, v14, 23, v21
	v_or3_b32 v10, v20, v14, v10
.LBB32_1316:
	s_or_b64 exec, exec, s[6:7]
	s_movk_i32 s4, 0x7f
	v_cmp_gt_i16_sdwa s[6:7], v11, s4 src0_sel:BYTE_0 src1_sel:DWORD
	s_mov_b64 s[4:5], 0
                                        ; implicit-def: $sgpr10
	s_and_saveexec_b64 s[8:9], s[6:7]
	s_xor_b64 s[6:7], exec, s[8:9]
	s_cbranch_execnz .LBB32_3365
; %bb.1317:
	s_or_saveexec_b64 s[6:7], s[6:7]
	v_mov_b32_e32 v14, s10
	s_xor_b64 exec, exec, s[6:7]
	s_cbranch_execnz .LBB32_3368
.LBB32_1318:
	s_or_b64 exec, exec, s[6:7]
	s_and_saveexec_b64 s[6:7], s[4:5]
	s_cbranch_execz .LBB32_1320
.LBB32_1319:
	v_and_b32_e32 v14, 7, v11
	v_ffbh_u32_e32 v21, v14
	v_min_u32_e32 v21, 32, v21
	v_lshrrev_b16_e32 v20, 3, v11
	v_subrev_u32_e32 v22, 28, v21
	v_and_b32_e32 v20, 15, v20
	v_lshlrev_b32_e32 v22, v22, v11
	v_sub_u32_e32 v21, 29, v21
	v_and_b32_e32 v22, 7, v22
	v_cmp_eq_u16_e32 vcc, 0, v20
	v_cndmask_b32_e32 v14, v14, v22, vcc
	v_cndmask_b32_e32 v20, v20, v21, vcc
	v_lshlrev_b32_e32 v21, 24, v11
	v_mov_b32_e32 v22, 0x3b800000
	v_lshlrev_b32_e32 v14, 20, v14
	v_and_b32_e32 v21, 0x80000000, v21
	v_lshl_add_u32 v20, v20, 23, v22
	v_or3_b32 v14, v21, v20, v14
.LBB32_1320:
	s_or_b64 exec, exec, s[6:7]
	s_nop 0
	v_mfma_f32_16x16x4f32 a[0:3], v10, v14, a[0:3]
	v_lshrrev_b32_e32 v14, 8, v15
	s_movk_i32 s4, 0x7f
	v_cmp_gt_i16_sdwa s[6:7], v14, s4 src0_sel:BYTE_0 src1_sel:DWORD
	s_mov_b64 s[4:5], 0
                                        ; implicit-def: $sgpr10
	s_and_saveexec_b64 s[8:9], s[6:7]
	s_xor_b64 s[6:7], exec, s[8:9]
	s_cbranch_execnz .LBB32_3369
; %bb.1321:
	s_or_saveexec_b64 s[6:7], s[6:7]
	v_mov_b32_e32 v10, s10
	s_xor_b64 exec, exec, s[6:7]
	s_cbranch_execnz .LBB32_3372
.LBB32_1322:
	s_or_b64 exec, exec, s[6:7]
	s_and_saveexec_b64 s[6:7], s[4:5]
	s_cbranch_execz .LBB32_1324
.LBB32_1323:
	v_bfe_u32 v10, v15, 8, 3
	v_ffbh_u32_e32 v21, v10
	v_min_u32_e32 v21, 32, v21
	v_lshrrev_b16_e32 v20, 3, v14
	v_subrev_u32_e32 v22, 28, v21
	v_and_b32_e32 v20, 15, v20
	v_lshlrev_b32_e32 v14, v22, v14
	v_sub_u32_e32 v21, 29, v21
	v_and_b32_e32 v14, 7, v14
	v_cmp_eq_u16_e32 vcc, 0, v20
	v_cndmask_b32_e32 v10, v10, v14, vcc
	v_cndmask_b32_e32 v14, v20, v21, vcc
	v_lshlrev_b32_e32 v20, 16, v15
	v_mov_b32_e32 v21, 0x3b800000
	v_lshlrev_b32_e32 v10, 20, v10
	v_and_b32_e32 v20, 0x80000000, v20
	v_lshl_add_u32 v14, v14, 23, v21
	v_or3_b32 v10, v20, v14, v10
.LBB32_1324:
	s_or_b64 exec, exec, s[6:7]
	v_lshrrev_b32_e32 v14, 8, v11
	s_movk_i32 s4, 0x7f
	v_cmp_gt_i16_sdwa s[6:7], v14, s4 src0_sel:BYTE_0 src1_sel:DWORD
	s_mov_b64 s[4:5], 0
                                        ; implicit-def: $sgpr10
	s_and_saveexec_b64 s[8:9], s[6:7]
	s_xor_b64 s[6:7], exec, s[8:9]
	s_cbranch_execnz .LBB32_3373
; %bb.1325:
	s_or_saveexec_b64 s[6:7], s[6:7]
	v_mov_b32_e32 v20, s10
	s_xor_b64 exec, exec, s[6:7]
	s_cbranch_execnz .LBB32_3376
.LBB32_1326:
	s_or_b64 exec, exec, s[6:7]
	s_and_saveexec_b64 s[6:7], s[4:5]
	s_cbranch_execz .LBB32_1328
.LBB32_1327:
	v_bfe_u32 v20, v11, 8, 3
	v_ffbh_u32_e32 v22, v20
	v_min_u32_e32 v22, 32, v22
	v_lshrrev_b16_e32 v21, 3, v14
	v_subrev_u32_e32 v23, 28, v22
	v_and_b32_e32 v21, 15, v21
	v_lshlrev_b32_e32 v14, v23, v14
	v_sub_u32_e32 v22, 29, v22
	v_and_b32_e32 v14, 7, v14
	v_cmp_eq_u16_e32 vcc, 0, v21
	v_cndmask_b32_e32 v14, v20, v14, vcc
	v_cndmask_b32_e32 v20, v21, v22, vcc
	v_lshlrev_b32_e32 v21, 16, v11
	v_mov_b32_e32 v22, 0x3b800000
	v_lshlrev_b32_e32 v14, 20, v14
	v_and_b32_e32 v21, 0x80000000, v21
	v_lshl_add_u32 v20, v20, 23, v22
	v_or3_b32 v20, v21, v20, v14
.LBB32_1328:
	s_or_b64 exec, exec, s[6:7]
	s_nop 0
	v_mfma_f32_16x16x4f32 a[0:3], v10, v20, a[0:3]
	s_movk_i32 s4, 0xff
	v_and_b32_sdwa v14, v15, s4 dst_sel:DWORD dst_unused:UNUSED_PAD src0_sel:WORD_1 src1_sel:DWORD
	s_movk_i32 s4, 0x7f
	v_cmp_lt_i16_e32 vcc, s4, v14
	s_mov_b64 s[4:5], 0
                                        ; implicit-def: $sgpr10
	s_and_saveexec_b64 s[6:7], vcc
	s_xor_b64 s[6:7], exec, s[6:7]
	s_cbranch_execnz .LBB32_3377
; %bb.1329:
	s_or_saveexec_b64 s[6:7], s[6:7]
	v_mov_b32_e32 v10, s10
	s_xor_b64 exec, exec, s[6:7]
	s_cbranch_execnz .LBB32_3380
.LBB32_1330:
	s_or_b64 exec, exec, s[6:7]
	s_and_saveexec_b64 s[6:7], s[4:5]
	s_cbranch_execz .LBB32_1332
.LBB32_1331:
	v_bfe_u32 v10, v15, 16, 3
	v_ffbh_u32_e32 v21, v10
	v_min_u32_e32 v21, 32, v21
	v_lshrrev_b32_e32 v14, 19, v15
	v_subrev_u32_e32 v22, 28, v21
	v_and_b32_e32 v14, 15, v14
	v_lshlrev_b32_sdwa v22, v22, v15 dst_sel:DWORD dst_unused:UNUSED_PAD src0_sel:DWORD src1_sel:WORD_1
	v_bfe_u32 v20, v15, 19, 4
	v_sub_u32_e32 v21, 29, v21
	v_and_b32_e32 v22, 7, v22
	v_cmp_eq_u16_e32 vcc, 0, v14
	v_cndmask_b32_e32 v10, v10, v22, vcc
	v_cndmask_b32_e32 v14, v20, v21, vcc
	v_lshlrev_b32_e32 v20, 8, v15
	v_mov_b32_e32 v21, 0x3b800000
	v_lshlrev_b32_e32 v10, 20, v10
	v_and_b32_e32 v20, 0x80000000, v20
	v_lshl_add_u32 v14, v14, 23, v21
	v_or3_b32 v10, v20, v14, v10
.LBB32_1332:
	s_or_b64 exec, exec, s[6:7]
	s_movk_i32 s4, 0xff
	v_and_b32_sdwa v14, v11, s4 dst_sel:DWORD dst_unused:UNUSED_PAD src0_sel:WORD_1 src1_sel:DWORD
	s_movk_i32 s4, 0x7f
	v_cmp_lt_i16_e32 vcc, s4, v14
	s_mov_b64 s[4:5], 0
                                        ; implicit-def: $sgpr10
	s_and_saveexec_b64 s[6:7], vcc
	s_xor_b64 s[6:7], exec, s[6:7]
	s_cbranch_execnz .LBB32_3381
; %bb.1333:
	s_or_saveexec_b64 s[6:7], s[6:7]
	v_mov_b32_e32 v20, s10
	s_xor_b64 exec, exec, s[6:7]
	s_cbranch_execnz .LBB32_3384
.LBB32_1334:
	s_or_b64 exec, exec, s[6:7]
	s_and_saveexec_b64 s[6:7], s[4:5]
	s_cbranch_execz .LBB32_1336
.LBB32_1335:
	v_bfe_u32 v14, v11, 16, 3
	v_ffbh_u32_e32 v22, v14
	v_min_u32_e32 v22, 32, v22
	v_lshrrev_b32_e32 v20, 19, v11
	v_subrev_u32_e32 v23, 28, v22
	v_and_b32_e32 v20, 15, v20
	v_lshlrev_b32_sdwa v23, v23, v11 dst_sel:DWORD dst_unused:UNUSED_PAD src0_sel:DWORD src1_sel:WORD_1
	v_bfe_u32 v21, v11, 19, 4
	v_sub_u32_e32 v22, 29, v22
	v_and_b32_e32 v23, 7, v23
	v_cmp_eq_u16_e32 vcc, 0, v20
	v_cndmask_b32_e32 v14, v14, v23, vcc
	v_cndmask_b32_e32 v20, v21, v22, vcc
	v_lshlrev_b32_e32 v21, 8, v11
	v_mov_b32_e32 v22, 0x3b800000
	v_lshlrev_b32_e32 v14, 20, v14
	v_and_b32_e32 v21, 0x80000000, v21
	v_lshl_add_u32 v20, v20, 23, v22
	v_or3_b32 v20, v21, v20, v14
.LBB32_1336:
	s_or_b64 exec, exec, s[6:7]
	s_nop 0
	v_mfma_f32_16x16x4f32 a[0:3], v10, v20, a[0:3]
	s_movk_i32 s4, 0x7f
	v_cmp_gt_i16_sdwa s[6:7], v15, s4 src0_sel:BYTE_3 src1_sel:DWORD
	s_mov_b64 s[4:5], 0
                                        ; implicit-def: $sgpr10
	s_and_saveexec_b64 s[8:9], s[6:7]
	s_xor_b64 s[6:7], exec, s[8:9]
	s_cbranch_execnz .LBB32_3385
; %bb.1337:
	s_or_saveexec_b64 s[6:7], s[6:7]
	v_mov_b32_e32 v10, s10
	s_xor_b64 exec, exec, s[6:7]
	s_cbranch_execnz .LBB32_3388
.LBB32_1338:
	s_or_b64 exec, exec, s[6:7]
	s_and_saveexec_b64 s[6:7], s[4:5]
	s_cbranch_execz .LBB32_1340
.LBB32_1339:
	v_bfe_u32 v10, v15, 24, 3
	v_ffbh_u32_e32 v22, v10
	v_min_u32_e32 v22, 32, v22
	v_lshrrev_b32_e32 v20, 27, v15
	v_subrev_u32_e32 v23, 28, v22
	v_and_b32_e32 v14, 0x80000000, v15
	v_and_b32_e32 v20, 15, v20
	v_bfe_u32 v21, v15, 27, 4
	v_lshlrev_b32_sdwa v15, v23, v15 dst_sel:DWORD dst_unused:UNUSED_PAD src0_sel:DWORD src1_sel:BYTE_3
	v_sub_u32_e32 v22, 29, v22
	v_and_b32_e32 v15, 7, v15
	v_cmp_eq_u16_e32 vcc, 0, v20
	v_cndmask_b32_e32 v10, v10, v15, vcc
	v_cndmask_b32_e32 v15, v21, v22, vcc
	v_mov_b32_e32 v20, 0x3b800000
	v_lshlrev_b32_e32 v10, 20, v10
	v_lshl_add_u32 v15, v15, 23, v20
	v_or3_b32 v10, v14, v15, v10
.LBB32_1340:
	s_or_b64 exec, exec, s[6:7]
	s_movk_i32 s4, 0x7f
	v_cmp_gt_i16_sdwa s[6:7], v11, s4 src0_sel:BYTE_3 src1_sel:DWORD
	s_mov_b64 s[4:5], 0
                                        ; implicit-def: $sgpr10
	s_and_saveexec_b64 s[8:9], s[6:7]
	s_xor_b64 s[6:7], exec, s[8:9]
	s_cbranch_execnz .LBB32_3389
; %bb.1341:
	s_or_saveexec_b64 s[6:7], s[6:7]
	v_mov_b32_e32 v14, s10
	s_xor_b64 exec, exec, s[6:7]
	s_cbranch_execnz .LBB32_3392
.LBB32_1342:
	s_or_b64 exec, exec, s[6:7]
	s_and_saveexec_b64 s[6:7], s[4:5]
	s_cbranch_execz .LBB32_1344
.LBB32_1343:
	v_bfe_u32 v14, v11, 24, 3
	v_ffbh_u32_e32 v22, v14
	v_min_u32_e32 v22, 32, v22
	v_lshrrev_b32_e32 v20, 27, v11
	v_subrev_u32_e32 v23, 28, v22
	v_and_b32_e32 v15, 0x80000000, v11
	v_and_b32_e32 v20, 15, v20
	v_bfe_u32 v21, v11, 27, 4
	v_lshlrev_b32_sdwa v11, v23, v11 dst_sel:DWORD dst_unused:UNUSED_PAD src0_sel:DWORD src1_sel:BYTE_3
	v_sub_u32_e32 v22, 29, v22
	v_and_b32_e32 v11, 7, v11
	v_cmp_eq_u16_e32 vcc, 0, v20
	v_cndmask_b32_e32 v11, v14, v11, vcc
	v_cndmask_b32_e32 v14, v21, v22, vcc
	v_mov_b32_e32 v20, 0x3b800000
	v_lshlrev_b32_e32 v11, 20, v11
	v_lshl_add_u32 v14, v14, 23, v20
	v_or3_b32 v14, v15, v14, v11
.LBB32_1344:
	s_or_b64 exec, exec, s[6:7]
	s_nop 0
	v_mfma_f32_16x16x4f32 a[0:3], v10, v14, a[0:3]
	s_movk_i32 s4, 0x7f
	v_cmp_gt_i16_sdwa s[6:7], v16, s4 src0_sel:BYTE_0 src1_sel:DWORD
	s_mov_b64 s[4:5], 0
                                        ; implicit-def: $sgpr10
	s_and_saveexec_b64 s[8:9], s[6:7]
	s_xor_b64 s[6:7], exec, s[8:9]
	s_cbranch_execnz .LBB32_3393
; %bb.1345:
	s_or_saveexec_b64 s[6:7], s[6:7]
	v_mov_b32_e32 v10, s10
	s_xor_b64 exec, exec, s[6:7]
	s_cbranch_execnz .LBB32_3396
.LBB32_1346:
	s_or_b64 exec, exec, s[6:7]
	s_and_saveexec_b64 s[6:7], s[4:5]
	s_cbranch_execz .LBB32_1348
.LBB32_1347:
	v_and_b32_e32 v10, 7, v16
	v_ffbh_u32_e32 v14, v10
	v_min_u32_e32 v14, 32, v14
	v_lshrrev_b16_e32 v11, 3, v16
	v_subrev_u32_e32 v15, 28, v14
	v_and_b32_e32 v11, 15, v11
	v_lshlrev_b32_e32 v15, v15, v16
	v_sub_u32_e32 v14, 29, v14
	v_and_b32_e32 v15, 7, v15
	v_cmp_eq_u16_e32 vcc, 0, v11
	v_cndmask_b32_e32 v10, v10, v15, vcc
	v_cndmask_b32_e32 v11, v11, v14, vcc
	v_lshlrev_b32_e32 v14, 24, v16
	v_mov_b32_e32 v15, 0x3b800000
	v_lshlrev_b32_e32 v10, 20, v10
	v_and_b32_e32 v14, 0x80000000, v14
	v_lshl_add_u32 v11, v11, 23, v15
	v_or3_b32 v10, v14, v11, v10
.LBB32_1348:
	s_or_b64 exec, exec, s[6:7]
	s_movk_i32 s4, 0x7f
	v_cmp_gt_i16_sdwa s[6:7], v12, s4 src0_sel:BYTE_0 src1_sel:DWORD
	s_mov_b64 s[4:5], 0
                                        ; implicit-def: $sgpr10
	s_and_saveexec_b64 s[8:9], s[6:7]
	s_xor_b64 s[6:7], exec, s[8:9]
	s_cbranch_execnz .LBB32_3397
; %bb.1349:
	s_or_saveexec_b64 s[6:7], s[6:7]
	v_mov_b32_e32 v11, s10
	s_xor_b64 exec, exec, s[6:7]
	s_cbranch_execnz .LBB32_3400
.LBB32_1350:
	s_or_b64 exec, exec, s[6:7]
	s_and_saveexec_b64 s[6:7], s[4:5]
	s_cbranch_execz .LBB32_1352
.LBB32_1351:
	v_and_b32_e32 v11, 7, v12
	v_ffbh_u32_e32 v15, v11
	v_min_u32_e32 v15, 32, v15
	v_lshrrev_b16_e32 v14, 3, v12
	v_subrev_u32_e32 v20, 28, v15
	v_and_b32_e32 v14, 15, v14
	v_lshlrev_b32_e32 v20, v20, v12
	v_sub_u32_e32 v15, 29, v15
	v_and_b32_e32 v20, 7, v20
	v_cmp_eq_u16_e32 vcc, 0, v14
	v_cndmask_b32_e32 v11, v11, v20, vcc
	v_cndmask_b32_e32 v14, v14, v15, vcc
	v_lshlrev_b32_e32 v15, 24, v12
	v_mov_b32_e32 v20, 0x3b800000
	v_lshlrev_b32_e32 v11, 20, v11
	v_and_b32_e32 v15, 0x80000000, v15
	v_lshl_add_u32 v14, v14, 23, v20
	v_or3_b32 v11, v15, v14, v11
.LBB32_1352:
	s_or_b64 exec, exec, s[6:7]
	s_nop 0
	v_mfma_f32_16x16x4f32 a[0:3], v10, v11, a[0:3]
	v_lshrrev_b32_e32 v11, 8, v16
	s_movk_i32 s4, 0x7f
	v_cmp_gt_i16_sdwa s[6:7], v11, s4 src0_sel:BYTE_0 src1_sel:DWORD
	s_mov_b64 s[4:5], 0
                                        ; implicit-def: $sgpr10
	s_and_saveexec_b64 s[8:9], s[6:7]
	s_xor_b64 s[6:7], exec, s[8:9]
	s_cbranch_execnz .LBB32_3401
; %bb.1353:
	s_or_saveexec_b64 s[6:7], s[6:7]
	v_mov_b32_e32 v10, s10
	s_xor_b64 exec, exec, s[6:7]
	s_cbranch_execnz .LBB32_3404
.LBB32_1354:
	s_or_b64 exec, exec, s[6:7]
	s_and_saveexec_b64 s[6:7], s[4:5]
	s_cbranch_execz .LBB32_1356
.LBB32_1355:
	v_bfe_u32 v10, v16, 8, 3
	v_ffbh_u32_e32 v15, v10
	v_min_u32_e32 v15, 32, v15
	v_lshrrev_b16_e32 v14, 3, v11
	v_subrev_u32_e32 v20, 28, v15
	v_and_b32_e32 v14, 15, v14
	v_lshlrev_b32_e32 v11, v20, v11
	v_sub_u32_e32 v15, 29, v15
	v_and_b32_e32 v11, 7, v11
	v_cmp_eq_u16_e32 vcc, 0, v14
	v_cndmask_b32_e32 v10, v10, v11, vcc
	v_cndmask_b32_e32 v11, v14, v15, vcc
	v_lshlrev_b32_e32 v14, 16, v16
	v_mov_b32_e32 v15, 0x3b800000
	v_lshlrev_b32_e32 v10, 20, v10
	v_and_b32_e32 v14, 0x80000000, v14
	v_lshl_add_u32 v11, v11, 23, v15
	v_or3_b32 v10, v14, v11, v10
.LBB32_1356:
	s_or_b64 exec, exec, s[6:7]
	v_lshrrev_b32_e32 v11, 8, v12
	s_movk_i32 s4, 0x7f
	v_cmp_gt_i16_sdwa s[6:7], v11, s4 src0_sel:BYTE_0 src1_sel:DWORD
	s_mov_b64 s[4:5], 0
                                        ; implicit-def: $sgpr10
	s_and_saveexec_b64 s[8:9], s[6:7]
	s_xor_b64 s[6:7], exec, s[8:9]
	s_cbranch_execnz .LBB32_3405
; %bb.1357:
	s_or_saveexec_b64 s[6:7], s[6:7]
	v_mov_b32_e32 v14, s10
	s_xor_b64 exec, exec, s[6:7]
	s_cbranch_execnz .LBB32_3408
.LBB32_1358:
	s_or_b64 exec, exec, s[6:7]
	s_and_saveexec_b64 s[6:7], s[4:5]
	s_cbranch_execz .LBB32_1360
.LBB32_1359:
	v_bfe_u32 v14, v12, 8, 3
	v_ffbh_u32_e32 v20, v14
	v_min_u32_e32 v20, 32, v20
	v_lshrrev_b16_e32 v15, 3, v11
	v_subrev_u32_e32 v21, 28, v20
	v_and_b32_e32 v15, 15, v15
	v_lshlrev_b32_e32 v11, v21, v11
	v_sub_u32_e32 v20, 29, v20
	v_and_b32_e32 v11, 7, v11
	v_cmp_eq_u16_e32 vcc, 0, v15
	v_cndmask_b32_e32 v11, v14, v11, vcc
	v_cndmask_b32_e32 v14, v15, v20, vcc
	v_lshlrev_b32_e32 v15, 16, v12
	v_mov_b32_e32 v20, 0x3b800000
	v_lshlrev_b32_e32 v11, 20, v11
	v_and_b32_e32 v15, 0x80000000, v15
	v_lshl_add_u32 v14, v14, 23, v20
	v_or3_b32 v14, v15, v14, v11
.LBB32_1360:
	s_or_b64 exec, exec, s[6:7]
	s_nop 0
	v_mfma_f32_16x16x4f32 a[0:3], v10, v14, a[0:3]
	s_movk_i32 s4, 0xff
	v_and_b32_sdwa v11, v16, s4 dst_sel:DWORD dst_unused:UNUSED_PAD src0_sel:WORD_1 src1_sel:DWORD
	s_movk_i32 s4, 0x7f
	v_cmp_lt_i16_e32 vcc, s4, v11
	s_mov_b64 s[4:5], 0
                                        ; implicit-def: $sgpr10
	s_and_saveexec_b64 s[6:7], vcc
	s_xor_b64 s[6:7], exec, s[6:7]
	s_cbranch_execnz .LBB32_3409
; %bb.1361:
	s_or_saveexec_b64 s[6:7], s[6:7]
	v_mov_b32_e32 v10, s10
	s_xor_b64 exec, exec, s[6:7]
	s_cbranch_execnz .LBB32_3412
.LBB32_1362:
	s_or_b64 exec, exec, s[6:7]
	s_and_saveexec_b64 s[6:7], s[4:5]
	s_cbranch_execz .LBB32_1364
.LBB32_1363:
	v_bfe_u32 v10, v16, 16, 3
	v_ffbh_u32_e32 v15, v10
	v_min_u32_e32 v15, 32, v15
	v_lshrrev_b32_e32 v11, 19, v16
	v_subrev_u32_e32 v20, 28, v15
	v_and_b32_e32 v11, 15, v11
	v_lshlrev_b32_sdwa v20, v20, v16 dst_sel:DWORD dst_unused:UNUSED_PAD src0_sel:DWORD src1_sel:WORD_1
	v_bfe_u32 v14, v16, 19, 4
	v_sub_u32_e32 v15, 29, v15
	v_and_b32_e32 v20, 7, v20
	v_cmp_eq_u16_e32 vcc, 0, v11
	v_cndmask_b32_e32 v10, v10, v20, vcc
	v_cndmask_b32_e32 v11, v14, v15, vcc
	v_lshlrev_b32_e32 v14, 8, v16
	v_mov_b32_e32 v15, 0x3b800000
	v_lshlrev_b32_e32 v10, 20, v10
	v_and_b32_e32 v14, 0x80000000, v14
	v_lshl_add_u32 v11, v11, 23, v15
	v_or3_b32 v10, v14, v11, v10
.LBB32_1364:
	s_or_b64 exec, exec, s[6:7]
	s_movk_i32 s4, 0xff
	v_and_b32_sdwa v11, v12, s4 dst_sel:DWORD dst_unused:UNUSED_PAD src0_sel:WORD_1 src1_sel:DWORD
	s_movk_i32 s4, 0x7f
	v_cmp_lt_i16_e32 vcc, s4, v11
	s_mov_b64 s[4:5], 0
                                        ; implicit-def: $sgpr10
	s_and_saveexec_b64 s[6:7], vcc
	s_xor_b64 s[6:7], exec, s[6:7]
	s_cbranch_execnz .LBB32_3413
; %bb.1365:
	s_or_saveexec_b64 s[6:7], s[6:7]
	v_mov_b32_e32 v14, s10
	s_xor_b64 exec, exec, s[6:7]
	s_cbranch_execnz .LBB32_3416
.LBB32_1366:
	s_or_b64 exec, exec, s[6:7]
	s_and_saveexec_b64 s[6:7], s[4:5]
	s_cbranch_execz .LBB32_1368
.LBB32_1367:
	v_bfe_u32 v11, v12, 16, 3
	v_ffbh_u32_e32 v20, v11
	v_min_u32_e32 v20, 32, v20
	v_lshrrev_b32_e32 v14, 19, v12
	v_subrev_u32_e32 v21, 28, v20
	v_and_b32_e32 v14, 15, v14
	v_lshlrev_b32_sdwa v21, v21, v12 dst_sel:DWORD dst_unused:UNUSED_PAD src0_sel:DWORD src1_sel:WORD_1
	v_bfe_u32 v15, v12, 19, 4
	v_sub_u32_e32 v20, 29, v20
	v_and_b32_e32 v21, 7, v21
	v_cmp_eq_u16_e32 vcc, 0, v14
	v_cndmask_b32_e32 v11, v11, v21, vcc
	v_cndmask_b32_e32 v14, v15, v20, vcc
	v_lshlrev_b32_e32 v15, 8, v12
	v_mov_b32_e32 v20, 0x3b800000
	v_lshlrev_b32_e32 v11, 20, v11
	v_and_b32_e32 v15, 0x80000000, v15
	v_lshl_add_u32 v14, v14, 23, v20
	v_or3_b32 v14, v15, v14, v11
.LBB32_1368:
	s_or_b64 exec, exec, s[6:7]
	s_nop 0
	v_mfma_f32_16x16x4f32 a[0:3], v10, v14, a[0:3]
	s_movk_i32 s4, 0x7f
	v_cmp_gt_i16_sdwa s[6:7], v16, s4 src0_sel:BYTE_3 src1_sel:DWORD
	s_mov_b64 s[4:5], 0
                                        ; implicit-def: $sgpr10
	s_and_saveexec_b64 s[8:9], s[6:7]
	s_xor_b64 s[6:7], exec, s[8:9]
	s_cbranch_execnz .LBB32_3417
; %bb.1369:
	s_or_saveexec_b64 s[6:7], s[6:7]
	v_mov_b32_e32 v10, s10
	s_xor_b64 exec, exec, s[6:7]
	s_cbranch_execnz .LBB32_3420
.LBB32_1370:
	s_or_b64 exec, exec, s[6:7]
	s_and_saveexec_b64 s[6:7], s[4:5]
	s_cbranch_execz .LBB32_1372
.LBB32_1371:
	v_bfe_u32 v10, v16, 24, 3
	v_ffbh_u32_e32 v20, v10
	v_min_u32_e32 v20, 32, v20
	v_lshrrev_b32_e32 v14, 27, v16
	v_subrev_u32_e32 v21, 28, v20
	v_and_b32_e32 v11, 0x80000000, v16
	v_and_b32_e32 v14, 15, v14
	v_bfe_u32 v15, v16, 27, 4
	v_lshlrev_b32_sdwa v16, v21, v16 dst_sel:DWORD dst_unused:UNUSED_PAD src0_sel:DWORD src1_sel:BYTE_3
	v_sub_u32_e32 v20, 29, v20
	v_and_b32_e32 v16, 7, v16
	v_cmp_eq_u16_e32 vcc, 0, v14
	v_cndmask_b32_e32 v10, v10, v16, vcc
	v_cndmask_b32_e32 v14, v15, v20, vcc
	v_mov_b32_e32 v15, 0x3b800000
	v_lshlrev_b32_e32 v10, 20, v10
	v_lshl_add_u32 v14, v14, 23, v15
	v_or3_b32 v10, v11, v14, v10
.LBB32_1372:
	s_or_b64 exec, exec, s[6:7]
	s_movk_i32 s4, 0x7f
	v_cmp_gt_i16_sdwa s[6:7], v12, s4 src0_sel:BYTE_3 src1_sel:DWORD
	s_mov_b64 s[4:5], 0
                                        ; implicit-def: $sgpr10
	s_and_saveexec_b64 s[8:9], s[6:7]
	s_xor_b64 s[6:7], exec, s[8:9]
	s_cbranch_execnz .LBB32_3421
; %bb.1373:
	s_or_saveexec_b64 s[6:7], s[6:7]
	v_mov_b32_e32 v11, s10
	s_xor_b64 exec, exec, s[6:7]
	s_cbranch_execnz .LBB32_3424
.LBB32_1374:
	s_or_b64 exec, exec, s[6:7]
	s_and_saveexec_b64 s[6:7], s[4:5]
	s_cbranch_execz .LBB32_1376
.LBB32_1375:
	v_bfe_u32 v11, v12, 24, 3
	v_ffbh_u32_e32 v20, v11
	v_min_u32_e32 v20, 32, v20
	v_lshrrev_b32_e32 v15, 27, v12
	v_subrev_u32_e32 v21, 28, v20
	v_and_b32_e32 v14, 0x80000000, v12
	v_and_b32_e32 v15, 15, v15
	v_bfe_u32 v16, v12, 27, 4
	v_lshlrev_b32_sdwa v12, v21, v12 dst_sel:DWORD dst_unused:UNUSED_PAD src0_sel:DWORD src1_sel:BYTE_3
	v_sub_u32_e32 v20, 29, v20
	v_and_b32_e32 v12, 7, v12
	v_cmp_eq_u16_e32 vcc, 0, v15
	v_cndmask_b32_e32 v11, v11, v12, vcc
	v_cndmask_b32_e32 v12, v16, v20, vcc
	v_mov_b32_e32 v15, 0x3b800000
	v_lshlrev_b32_e32 v11, 20, v11
	v_lshl_add_u32 v12, v12, 23, v15
	v_or3_b32 v11, v14, v12, v11
.LBB32_1376:
	s_or_b64 exec, exec, s[6:7]
	s_nop 0
	v_mfma_f32_16x16x4f32 a[0:3], v10, v11, a[0:3]
	s_movk_i32 s4, 0x7f
	v_cmp_gt_i16_sdwa s[6:7], v17, s4 src0_sel:BYTE_0 src1_sel:DWORD
	s_mov_b64 s[4:5], 0
                                        ; implicit-def: $sgpr10
	s_and_saveexec_b64 s[8:9], s[6:7]
	s_xor_b64 s[6:7], exec, s[8:9]
	s_cbranch_execnz .LBB32_3425
; %bb.1377:
	s_or_saveexec_b64 s[6:7], s[6:7]
	v_mov_b32_e32 v10, s10
	s_xor_b64 exec, exec, s[6:7]
	s_cbranch_execnz .LBB32_3428
.LBB32_1378:
	s_or_b64 exec, exec, s[6:7]
	s_and_saveexec_b64 s[6:7], s[4:5]
	s_cbranch_execz .LBB32_1380
.LBB32_1379:
	v_and_b32_e32 v10, 7, v17
	v_ffbh_u32_e32 v12, v10
	v_min_u32_e32 v12, 32, v12
	v_lshrrev_b16_e32 v11, 3, v17
	v_subrev_u32_e32 v14, 28, v12
	v_and_b32_e32 v11, 15, v11
	v_lshlrev_b32_e32 v14, v14, v17
	v_sub_u32_e32 v12, 29, v12
	v_and_b32_e32 v14, 7, v14
	v_cmp_eq_u16_e32 vcc, 0, v11
	v_cndmask_b32_e32 v10, v10, v14, vcc
	v_cndmask_b32_e32 v11, v11, v12, vcc
	v_lshlrev_b32_e32 v12, 24, v17
	v_mov_b32_e32 v14, 0x3b800000
	v_lshlrev_b32_e32 v10, 20, v10
	v_and_b32_e32 v12, 0x80000000, v12
	v_lshl_add_u32 v11, v11, 23, v14
	v_or3_b32 v10, v12, v11, v10
.LBB32_1380:
	s_or_b64 exec, exec, s[6:7]
	s_movk_i32 s4, 0x7f
	v_cmp_gt_i16_sdwa s[6:7], v13, s4 src0_sel:BYTE_0 src1_sel:DWORD
	s_mov_b64 s[4:5], 0
                                        ; implicit-def: $sgpr10
	s_and_saveexec_b64 s[8:9], s[6:7]
	s_xor_b64 s[6:7], exec, s[8:9]
	s_cbranch_execnz .LBB32_3429
; %bb.1381:
	s_or_saveexec_b64 s[6:7], s[6:7]
	v_mov_b32_e32 v11, s10
	s_xor_b64 exec, exec, s[6:7]
	s_cbranch_execnz .LBB32_3432
.LBB32_1382:
	s_or_b64 exec, exec, s[6:7]
	s_and_saveexec_b64 s[6:7], s[4:5]
	s_cbranch_execz .LBB32_1384
.LBB32_1383:
	v_and_b32_e32 v11, 7, v13
	v_ffbh_u32_e32 v14, v11
	v_min_u32_e32 v14, 32, v14
	v_lshrrev_b16_e32 v12, 3, v13
	v_subrev_u32_e32 v15, 28, v14
	v_and_b32_e32 v12, 15, v12
	v_lshlrev_b32_e32 v15, v15, v13
	v_sub_u32_e32 v14, 29, v14
	v_and_b32_e32 v15, 7, v15
	v_cmp_eq_u16_e32 vcc, 0, v12
	v_cndmask_b32_e32 v11, v11, v15, vcc
	v_cndmask_b32_e32 v12, v12, v14, vcc
	v_lshlrev_b32_e32 v14, 24, v13
	v_mov_b32_e32 v15, 0x3b800000
	v_lshlrev_b32_e32 v11, 20, v11
	v_and_b32_e32 v14, 0x80000000, v14
	v_lshl_add_u32 v12, v12, 23, v15
	v_or3_b32 v11, v14, v12, v11
.LBB32_1384:
	s_or_b64 exec, exec, s[6:7]
	s_nop 0
	v_mfma_f32_16x16x4f32 a[0:3], v10, v11, a[0:3]
	v_lshrrev_b32_e32 v11, 8, v17
	s_movk_i32 s4, 0x7f
	v_cmp_gt_i16_sdwa s[6:7], v11, s4 src0_sel:BYTE_0 src1_sel:DWORD
	s_mov_b64 s[4:5], 0
                                        ; implicit-def: $sgpr10
	s_and_saveexec_b64 s[8:9], s[6:7]
	s_xor_b64 s[6:7], exec, s[8:9]
	s_cbranch_execnz .LBB32_3433
; %bb.1385:
	s_or_saveexec_b64 s[6:7], s[6:7]
	v_mov_b32_e32 v10, s10
	s_xor_b64 exec, exec, s[6:7]
	s_cbranch_execnz .LBB32_3436
.LBB32_1386:
	s_or_b64 exec, exec, s[6:7]
	s_and_saveexec_b64 s[6:7], s[4:5]
	s_cbranch_execz .LBB32_1388
.LBB32_1387:
	v_bfe_u32 v10, v17, 8, 3
	v_ffbh_u32_e32 v14, v10
	v_min_u32_e32 v14, 32, v14
	v_lshrrev_b16_e32 v12, 3, v11
	v_subrev_u32_e32 v15, 28, v14
	v_and_b32_e32 v12, 15, v12
	v_lshlrev_b32_e32 v11, v15, v11
	v_sub_u32_e32 v14, 29, v14
	v_and_b32_e32 v11, 7, v11
	v_cmp_eq_u16_e32 vcc, 0, v12
	v_cndmask_b32_e32 v10, v10, v11, vcc
	v_cndmask_b32_e32 v11, v12, v14, vcc
	v_lshlrev_b32_e32 v12, 16, v17
	v_mov_b32_e32 v14, 0x3b800000
	v_lshlrev_b32_e32 v10, 20, v10
	v_and_b32_e32 v12, 0x80000000, v12
	v_lshl_add_u32 v11, v11, 23, v14
	v_or3_b32 v10, v12, v11, v10
.LBB32_1388:
	s_or_b64 exec, exec, s[6:7]
	v_lshrrev_b32_e32 v11, 8, v13
	s_movk_i32 s4, 0x7f
	v_cmp_gt_i16_sdwa s[6:7], v11, s4 src0_sel:BYTE_0 src1_sel:DWORD
	s_mov_b64 s[4:5], 0
                                        ; implicit-def: $sgpr10
	s_and_saveexec_b64 s[8:9], s[6:7]
	s_xor_b64 s[6:7], exec, s[8:9]
	s_cbranch_execnz .LBB32_3437
; %bb.1389:
	s_or_saveexec_b64 s[6:7], s[6:7]
	v_mov_b32_e32 v12, s10
	s_xor_b64 exec, exec, s[6:7]
	s_cbranch_execnz .LBB32_3440
.LBB32_1390:
	s_or_b64 exec, exec, s[6:7]
	s_and_saveexec_b64 s[6:7], s[4:5]
	s_cbranch_execz .LBB32_1392
.LBB32_1391:
	v_bfe_u32 v12, v13, 8, 3
	v_ffbh_u32_e32 v15, v12
	v_min_u32_e32 v15, 32, v15
	v_lshrrev_b16_e32 v14, 3, v11
	v_subrev_u32_e32 v16, 28, v15
	v_and_b32_e32 v14, 15, v14
	v_lshlrev_b32_e32 v11, v16, v11
	v_sub_u32_e32 v15, 29, v15
	v_and_b32_e32 v11, 7, v11
	v_cmp_eq_u16_e32 vcc, 0, v14
	v_cndmask_b32_e32 v11, v12, v11, vcc
	v_cndmask_b32_e32 v12, v14, v15, vcc
	v_lshlrev_b32_e32 v14, 16, v13
	v_mov_b32_e32 v15, 0x3b800000
	v_lshlrev_b32_e32 v11, 20, v11
	v_and_b32_e32 v14, 0x80000000, v14
	v_lshl_add_u32 v12, v12, 23, v15
	v_or3_b32 v12, v14, v12, v11
.LBB32_1392:
	s_or_b64 exec, exec, s[6:7]
	s_nop 0
	v_mfma_f32_16x16x4f32 a[0:3], v10, v12, a[0:3]
	s_movk_i32 s4, 0xff
	v_and_b32_sdwa v11, v17, s4 dst_sel:DWORD dst_unused:UNUSED_PAD src0_sel:WORD_1 src1_sel:DWORD
	s_movk_i32 s4, 0x7f
	v_cmp_lt_i16_e32 vcc, s4, v11
	s_mov_b64 s[4:5], 0
                                        ; implicit-def: $sgpr10
	s_and_saveexec_b64 s[6:7], vcc
	s_xor_b64 s[6:7], exec, s[6:7]
	s_cbranch_execnz .LBB32_3441
; %bb.1393:
	s_or_saveexec_b64 s[6:7], s[6:7]
	v_mov_b32_e32 v10, s10
	s_xor_b64 exec, exec, s[6:7]
	s_cbranch_execnz .LBB32_3444
.LBB32_1394:
	s_or_b64 exec, exec, s[6:7]
	s_and_saveexec_b64 s[6:7], s[4:5]
	s_cbranch_execz .LBB32_1396
.LBB32_1395:
	v_bfe_u32 v10, v17, 16, 3
	v_ffbh_u32_e32 v14, v10
	v_min_u32_e32 v14, 32, v14
	v_lshrrev_b32_e32 v11, 19, v17
	v_subrev_u32_e32 v15, 28, v14
	v_and_b32_e32 v11, 15, v11
	v_lshlrev_b32_sdwa v15, v15, v17 dst_sel:DWORD dst_unused:UNUSED_PAD src0_sel:DWORD src1_sel:WORD_1
	v_bfe_u32 v12, v17, 19, 4
	v_sub_u32_e32 v14, 29, v14
	v_and_b32_e32 v15, 7, v15
	v_cmp_eq_u16_e32 vcc, 0, v11
	v_cndmask_b32_e32 v10, v10, v15, vcc
	v_cndmask_b32_e32 v11, v12, v14, vcc
	v_lshlrev_b32_e32 v12, 8, v17
	v_mov_b32_e32 v14, 0x3b800000
	v_lshlrev_b32_e32 v10, 20, v10
	v_and_b32_e32 v12, 0x80000000, v12
	v_lshl_add_u32 v11, v11, 23, v14
	v_or3_b32 v10, v12, v11, v10
.LBB32_1396:
	s_or_b64 exec, exec, s[6:7]
	s_movk_i32 s4, 0xff
	v_and_b32_sdwa v11, v13, s4 dst_sel:DWORD dst_unused:UNUSED_PAD src0_sel:WORD_1 src1_sel:DWORD
	s_movk_i32 s4, 0x7f
	v_cmp_lt_i16_e32 vcc, s4, v11
	s_mov_b64 s[4:5], 0
                                        ; implicit-def: $sgpr10
	s_and_saveexec_b64 s[6:7], vcc
	s_xor_b64 s[6:7], exec, s[6:7]
	s_cbranch_execnz .LBB32_3445
; %bb.1397:
	s_or_saveexec_b64 s[6:7], s[6:7]
	v_mov_b32_e32 v12, s10
	s_xor_b64 exec, exec, s[6:7]
	s_cbranch_execnz .LBB32_3448
.LBB32_1398:
	s_or_b64 exec, exec, s[6:7]
	s_and_saveexec_b64 s[6:7], s[4:5]
	s_cbranch_execz .LBB32_1400
.LBB32_1399:
	v_bfe_u32 v11, v13, 16, 3
	v_ffbh_u32_e32 v15, v11
	v_min_u32_e32 v15, 32, v15
	v_lshrrev_b32_e32 v12, 19, v13
	v_subrev_u32_e32 v16, 28, v15
	v_and_b32_e32 v12, 15, v12
	v_lshlrev_b32_sdwa v16, v16, v13 dst_sel:DWORD dst_unused:UNUSED_PAD src0_sel:DWORD src1_sel:WORD_1
	v_bfe_u32 v14, v13, 19, 4
	v_sub_u32_e32 v15, 29, v15
	v_and_b32_e32 v16, 7, v16
	v_cmp_eq_u16_e32 vcc, 0, v12
	v_cndmask_b32_e32 v11, v11, v16, vcc
	v_cndmask_b32_e32 v12, v14, v15, vcc
	v_lshlrev_b32_e32 v14, 8, v13
	v_mov_b32_e32 v15, 0x3b800000
	v_lshlrev_b32_e32 v11, 20, v11
	v_and_b32_e32 v14, 0x80000000, v14
	v_lshl_add_u32 v12, v12, 23, v15
	v_or3_b32 v12, v14, v12, v11
.LBB32_1400:
	s_or_b64 exec, exec, s[6:7]
	s_nop 0
	v_mfma_f32_16x16x4f32 a[0:3], v10, v12, a[0:3]
	s_movk_i32 s4, 0x7f
	v_cmp_gt_i16_sdwa s[6:7], v17, s4 src0_sel:BYTE_3 src1_sel:DWORD
	s_mov_b64 s[4:5], 0
                                        ; implicit-def: $sgpr10
	s_and_saveexec_b64 s[8:9], s[6:7]
	s_xor_b64 s[6:7], exec, s[8:9]
	s_cbranch_execnz .LBB32_3449
; %bb.1401:
	s_or_saveexec_b64 s[6:7], s[6:7]
	v_mov_b32_e32 v10, s10
	s_xor_b64 exec, exec, s[6:7]
	s_cbranch_execnz .LBB32_3452
.LBB32_1402:
	s_or_b64 exec, exec, s[6:7]
	s_and_saveexec_b64 s[6:7], s[4:5]
	s_cbranch_execz .LBB32_1404
.LBB32_1403:
	v_bfe_u32 v10, v17, 24, 3
	v_ffbh_u32_e32 v15, v10
	v_min_u32_e32 v15, 32, v15
	v_lshrrev_b32_e32 v12, 27, v17
	v_subrev_u32_e32 v16, 28, v15
	v_and_b32_e32 v12, 15, v12
	v_lshlrev_b32_sdwa v16, v16, v17 dst_sel:DWORD dst_unused:UNUSED_PAD src0_sel:DWORD src1_sel:BYTE_3
	v_bfe_u32 v14, v17, 27, 4
	v_sub_u32_e32 v15, 29, v15
	v_and_b32_e32 v16, 7, v16
	v_cmp_eq_u16_e32 vcc, 0, v12
	v_cndmask_b32_e32 v10, v10, v16, vcc
	v_cndmask_b32_e32 v12, v14, v15, vcc
	v_mov_b32_e32 v14, 0x3b800000
	v_and_b32_e32 v11, 0x80000000, v17
	v_lshlrev_b32_e32 v10, 20, v10
	v_lshl_add_u32 v12, v12, 23, v14
	v_or3_b32 v10, v11, v12, v10
.LBB32_1404:
	s_or_b64 exec, exec, s[6:7]
	s_movk_i32 s4, 0x7f
	v_cmp_gt_i16_sdwa s[6:7], v13, s4 src0_sel:BYTE_3 src1_sel:DWORD
	s_mov_b64 s[4:5], 0
                                        ; implicit-def: $sgpr10
	s_and_saveexec_b64 s[8:9], s[6:7]
	s_xor_b64 s[6:7], exec, s[8:9]
	s_cbranch_execnz .LBB32_3453
; %bb.1405:
	s_or_saveexec_b64 s[6:7], s[6:7]
	v_mov_b32_e32 v11, s10
	s_xor_b64 exec, exec, s[6:7]
	s_cbranch_execnz .LBB32_3456
.LBB32_1406:
	s_or_b64 exec, exec, s[6:7]
	s_and_saveexec_b64 s[6:7], s[4:5]
	s_cbranch_execz .LBB32_1408
.LBB32_1407:
	v_bfe_u32 v11, v13, 24, 3
	v_ffbh_u32_e32 v16, v11
	v_min_u32_e32 v16, 32, v16
	v_lshrrev_b32_e32 v14, 27, v13
	v_subrev_u32_e32 v17, 28, v16
	v_and_b32_e32 v12, 0x80000000, v13
	v_and_b32_e32 v14, 15, v14
	v_bfe_u32 v15, v13, 27, 4
	v_lshlrev_b32_sdwa v13, v17, v13 dst_sel:DWORD dst_unused:UNUSED_PAD src0_sel:DWORD src1_sel:BYTE_3
	v_sub_u32_e32 v16, 29, v16
	v_and_b32_e32 v13, 7, v13
	v_cmp_eq_u16_e32 vcc, 0, v14
	v_cndmask_b32_e32 v11, v11, v13, vcc
	v_cndmask_b32_e32 v13, v15, v16, vcc
	v_mov_b32_e32 v14, 0x3b800000
	v_lshlrev_b32_e32 v11, 20, v11
	v_lshl_add_u32 v13, v13, 23, v14
	v_or3_b32 v11, v12, v13, v11
.LBB32_1408:
	s_or_b64 exec, exec, s[6:7]
	s_nop 0
	v_mfma_f32_16x16x4f32 a[0:3], v10, v11, a[0:3]
	s_movk_i32 s4, 0x7f
	v_cmp_gt_i16_sdwa s[6:7], v6, s4 src0_sel:BYTE_0 src1_sel:DWORD
	s_mov_b64 s[4:5], 0
                                        ; implicit-def: $sgpr10
	s_and_saveexec_b64 s[8:9], s[6:7]
	s_xor_b64 s[6:7], exec, s[8:9]
	s_cbranch_execnz .LBB32_3457
; %bb.1409:
	s_or_saveexec_b64 s[6:7], s[6:7]
	v_mov_b32_e32 v10, s10
	s_xor_b64 exec, exec, s[6:7]
	s_cbranch_execnz .LBB32_3460
.LBB32_1410:
	s_or_b64 exec, exec, s[6:7]
	s_and_saveexec_b64 s[6:7], s[4:5]
	s_cbranch_execz .LBB32_1412
.LBB32_1411:
	v_and_b32_e32 v10, 7, v6
	v_ffbh_u32_e32 v12, v10
	v_min_u32_e32 v12, 32, v12
	v_lshrrev_b16_e32 v11, 3, v6
	v_subrev_u32_e32 v13, 28, v12
	v_and_b32_e32 v11, 15, v11
	v_lshlrev_b32_e32 v13, v13, v6
	v_sub_u32_e32 v12, 29, v12
	v_and_b32_e32 v13, 7, v13
	v_cmp_eq_u16_e32 vcc, 0, v11
	v_cndmask_b32_e32 v10, v10, v13, vcc
	v_cndmask_b32_e32 v11, v11, v12, vcc
	v_lshlrev_b32_e32 v12, 24, v6
	v_mov_b32_e32 v13, 0x3b800000
	v_lshlrev_b32_e32 v10, 20, v10
	v_and_b32_e32 v12, 0x80000000, v12
	v_lshl_add_u32 v11, v11, 23, v13
	v_or3_b32 v10, v12, v11, v10
.LBB32_1412:
	s_or_b64 exec, exec, s[6:7]
	s_movk_i32 s4, 0x7f
	v_cmp_gt_i16_sdwa s[6:7], v2, s4 src0_sel:BYTE_0 src1_sel:DWORD
	s_mov_b64 s[4:5], 0
                                        ; implicit-def: $sgpr10
	s_and_saveexec_b64 s[8:9], s[6:7]
	s_xor_b64 s[6:7], exec, s[8:9]
	s_cbranch_execnz .LBB32_3461
; %bb.1413:
	s_or_saveexec_b64 s[6:7], s[6:7]
	v_mov_b32_e32 v11, s10
	s_xor_b64 exec, exec, s[6:7]
	s_cbranch_execnz .LBB32_3464
.LBB32_1414:
	s_or_b64 exec, exec, s[6:7]
	s_and_saveexec_b64 s[6:7], s[4:5]
	s_cbranch_execz .LBB32_1416
.LBB32_1415:
	v_and_b32_e32 v11, 7, v2
	v_ffbh_u32_e32 v13, v11
	v_min_u32_e32 v13, 32, v13
	v_lshrrev_b16_e32 v12, 3, v2
	v_subrev_u32_e32 v14, 28, v13
	v_and_b32_e32 v12, 15, v12
	v_lshlrev_b32_e32 v14, v14, v2
	v_sub_u32_e32 v13, 29, v13
	v_and_b32_e32 v14, 7, v14
	v_cmp_eq_u16_e32 vcc, 0, v12
	v_cndmask_b32_e32 v11, v11, v14, vcc
	v_cndmask_b32_e32 v12, v12, v13, vcc
	v_lshlrev_b32_e32 v13, 24, v2
	v_mov_b32_e32 v14, 0x3b800000
	v_lshlrev_b32_e32 v11, 20, v11
	v_and_b32_e32 v13, 0x80000000, v13
	v_lshl_add_u32 v12, v12, 23, v14
	v_or3_b32 v11, v13, v12, v11
.LBB32_1416:
	s_or_b64 exec, exec, s[6:7]
	s_nop 0
	v_mfma_f32_16x16x4f32 a[0:3], v10, v11, a[0:3]
	v_lshrrev_b32_e32 v11, 8, v6
	s_movk_i32 s4, 0x7f
	v_cmp_gt_i16_sdwa s[6:7], v11, s4 src0_sel:BYTE_0 src1_sel:DWORD
	s_mov_b64 s[4:5], 0
                                        ; implicit-def: $sgpr10
	s_and_saveexec_b64 s[8:9], s[6:7]
	s_xor_b64 s[6:7], exec, s[8:9]
	s_cbranch_execnz .LBB32_3465
; %bb.1417:
	s_or_saveexec_b64 s[6:7], s[6:7]
	v_mov_b32_e32 v10, s10
	s_xor_b64 exec, exec, s[6:7]
	s_cbranch_execnz .LBB32_3468
.LBB32_1418:
	s_or_b64 exec, exec, s[6:7]
	s_and_saveexec_b64 s[6:7], s[4:5]
	s_cbranch_execz .LBB32_1420
.LBB32_1419:
	v_bfe_u32 v10, v6, 8, 3
	v_ffbh_u32_e32 v13, v10
	v_min_u32_e32 v13, 32, v13
	v_lshrrev_b16_e32 v12, 3, v11
	v_subrev_u32_e32 v14, 28, v13
	v_and_b32_e32 v12, 15, v12
	v_lshlrev_b32_e32 v11, v14, v11
	v_sub_u32_e32 v13, 29, v13
	v_and_b32_e32 v11, 7, v11
	v_cmp_eq_u16_e32 vcc, 0, v12
	v_cndmask_b32_e32 v10, v10, v11, vcc
	v_cndmask_b32_e32 v11, v12, v13, vcc
	v_lshlrev_b32_e32 v12, 16, v6
	v_mov_b32_e32 v13, 0x3b800000
	v_lshlrev_b32_e32 v10, 20, v10
	v_and_b32_e32 v12, 0x80000000, v12
	v_lshl_add_u32 v11, v11, 23, v13
	v_or3_b32 v10, v12, v11, v10
.LBB32_1420:
	s_or_b64 exec, exec, s[6:7]
	v_lshrrev_b32_e32 v11, 8, v2
	s_movk_i32 s4, 0x7f
	v_cmp_gt_i16_sdwa s[6:7], v11, s4 src0_sel:BYTE_0 src1_sel:DWORD
	s_mov_b64 s[4:5], 0
                                        ; implicit-def: $sgpr10
	s_and_saveexec_b64 s[8:9], s[6:7]
	s_xor_b64 s[6:7], exec, s[8:9]
	s_cbranch_execnz .LBB32_3469
; %bb.1421:
	s_or_saveexec_b64 s[6:7], s[6:7]
	v_mov_b32_e32 v12, s10
	s_xor_b64 exec, exec, s[6:7]
	s_cbranch_execnz .LBB32_3472
.LBB32_1422:
	s_or_b64 exec, exec, s[6:7]
	s_and_saveexec_b64 s[6:7], s[4:5]
	s_cbranch_execz .LBB32_1424
.LBB32_1423:
	v_bfe_u32 v12, v2, 8, 3
	v_ffbh_u32_e32 v14, v12
	v_min_u32_e32 v14, 32, v14
	v_lshrrev_b16_e32 v13, 3, v11
	v_subrev_u32_e32 v15, 28, v14
	v_and_b32_e32 v13, 15, v13
	v_lshlrev_b32_e32 v11, v15, v11
	v_sub_u32_e32 v14, 29, v14
	v_and_b32_e32 v11, 7, v11
	v_cmp_eq_u16_e32 vcc, 0, v13
	v_cndmask_b32_e32 v11, v12, v11, vcc
	v_cndmask_b32_e32 v12, v13, v14, vcc
	v_lshlrev_b32_e32 v13, 16, v2
	v_mov_b32_e32 v14, 0x3b800000
	v_lshlrev_b32_e32 v11, 20, v11
	v_and_b32_e32 v13, 0x80000000, v13
	v_lshl_add_u32 v12, v12, 23, v14
	v_or3_b32 v12, v13, v12, v11
.LBB32_1424:
	s_or_b64 exec, exec, s[6:7]
	s_nop 0
	v_mfma_f32_16x16x4f32 a[0:3], v10, v12, a[0:3]
	s_movk_i32 s4, 0xff
	v_and_b32_sdwa v11, v6, s4 dst_sel:DWORD dst_unused:UNUSED_PAD src0_sel:WORD_1 src1_sel:DWORD
	s_movk_i32 s4, 0x7f
	v_cmp_lt_i16_e32 vcc, s4, v11
	s_mov_b64 s[4:5], 0
                                        ; implicit-def: $sgpr10
	s_and_saveexec_b64 s[6:7], vcc
	s_xor_b64 s[6:7], exec, s[6:7]
	s_cbranch_execnz .LBB32_3473
; %bb.1425:
	s_or_saveexec_b64 s[6:7], s[6:7]
	v_mov_b32_e32 v10, s10
	s_xor_b64 exec, exec, s[6:7]
	s_cbranch_execnz .LBB32_3476
.LBB32_1426:
	s_or_b64 exec, exec, s[6:7]
	s_and_saveexec_b64 s[6:7], s[4:5]
	s_cbranch_execz .LBB32_1428
.LBB32_1427:
	v_bfe_u32 v10, v6, 16, 3
	v_ffbh_u32_e32 v13, v10
	v_min_u32_e32 v13, 32, v13
	v_lshrrev_b32_e32 v11, 19, v6
	v_subrev_u32_e32 v14, 28, v13
	v_and_b32_e32 v11, 15, v11
	v_lshlrev_b32_sdwa v14, v14, v6 dst_sel:DWORD dst_unused:UNUSED_PAD src0_sel:DWORD src1_sel:WORD_1
	v_bfe_u32 v12, v6, 19, 4
	v_sub_u32_e32 v13, 29, v13
	v_and_b32_e32 v14, 7, v14
	v_cmp_eq_u16_e32 vcc, 0, v11
	v_cndmask_b32_e32 v10, v10, v14, vcc
	v_cndmask_b32_e32 v11, v12, v13, vcc
	v_lshlrev_b32_e32 v12, 8, v6
	v_mov_b32_e32 v13, 0x3b800000
	v_lshlrev_b32_e32 v10, 20, v10
	v_and_b32_e32 v12, 0x80000000, v12
	v_lshl_add_u32 v11, v11, 23, v13
	v_or3_b32 v10, v12, v11, v10
.LBB32_1428:
	s_or_b64 exec, exec, s[6:7]
	s_movk_i32 s4, 0xff
	v_and_b32_sdwa v11, v2, s4 dst_sel:DWORD dst_unused:UNUSED_PAD src0_sel:WORD_1 src1_sel:DWORD
	s_movk_i32 s4, 0x7f
	v_cmp_lt_i16_e32 vcc, s4, v11
	s_mov_b64 s[4:5], 0
                                        ; implicit-def: $sgpr10
	s_and_saveexec_b64 s[6:7], vcc
	s_xor_b64 s[6:7], exec, s[6:7]
	s_cbranch_execnz .LBB32_3477
; %bb.1429:
	s_or_saveexec_b64 s[6:7], s[6:7]
	v_mov_b32_e32 v12, s10
	s_xor_b64 exec, exec, s[6:7]
	s_cbranch_execnz .LBB32_3480
.LBB32_1430:
	s_or_b64 exec, exec, s[6:7]
	s_and_saveexec_b64 s[6:7], s[4:5]
	s_cbranch_execz .LBB32_1432
.LBB32_1431:
	v_bfe_u32 v11, v2, 16, 3
	v_ffbh_u32_e32 v14, v11
	v_min_u32_e32 v14, 32, v14
	v_lshrrev_b32_e32 v12, 19, v2
	v_subrev_u32_e32 v15, 28, v14
	v_and_b32_e32 v12, 15, v12
	v_lshlrev_b32_sdwa v15, v15, v2 dst_sel:DWORD dst_unused:UNUSED_PAD src0_sel:DWORD src1_sel:WORD_1
	v_bfe_u32 v13, v2, 19, 4
	v_sub_u32_e32 v14, 29, v14
	v_and_b32_e32 v15, 7, v15
	v_cmp_eq_u16_e32 vcc, 0, v12
	v_cndmask_b32_e32 v11, v11, v15, vcc
	v_cndmask_b32_e32 v12, v13, v14, vcc
	v_lshlrev_b32_e32 v13, 8, v2
	v_mov_b32_e32 v14, 0x3b800000
	v_lshlrev_b32_e32 v11, 20, v11
	v_and_b32_e32 v13, 0x80000000, v13
	v_lshl_add_u32 v12, v12, 23, v14
	v_or3_b32 v12, v13, v12, v11
.LBB32_1432:
	s_or_b64 exec, exec, s[6:7]
	s_nop 0
	v_mfma_f32_16x16x4f32 a[0:3], v10, v12, a[0:3]
	s_movk_i32 s4, 0x7f
	v_cmp_gt_i16_sdwa s[6:7], v6, s4 src0_sel:BYTE_3 src1_sel:DWORD
	s_mov_b64 s[4:5], 0
                                        ; implicit-def: $sgpr10
	s_and_saveexec_b64 s[8:9], s[6:7]
	s_xor_b64 s[6:7], exec, s[8:9]
	s_cbranch_execnz .LBB32_3481
; %bb.1433:
	s_or_saveexec_b64 s[6:7], s[6:7]
	v_mov_b32_e32 v10, s10
	s_xor_b64 exec, exec, s[6:7]
	s_cbranch_execnz .LBB32_3484
.LBB32_1434:
	s_or_b64 exec, exec, s[6:7]
	s_and_saveexec_b64 s[6:7], s[4:5]
	s_cbranch_execz .LBB32_1436
.LBB32_1435:
	v_bfe_u32 v10, v6, 24, 3
	v_ffbh_u32_e32 v14, v10
	v_min_u32_e32 v14, 32, v14
	v_lshrrev_b32_e32 v12, 27, v6
	v_subrev_u32_e32 v15, 28, v14
	v_and_b32_e32 v11, 0x80000000, v6
	v_and_b32_e32 v12, 15, v12
	v_bfe_u32 v13, v6, 27, 4
	v_lshlrev_b32_sdwa v6, v15, v6 dst_sel:DWORD dst_unused:UNUSED_PAD src0_sel:DWORD src1_sel:BYTE_3
	v_sub_u32_e32 v14, 29, v14
	v_and_b32_e32 v6, 7, v6
	v_cmp_eq_u16_e32 vcc, 0, v12
	v_cndmask_b32_e32 v6, v10, v6, vcc
	v_cndmask_b32_e32 v10, v13, v14, vcc
	v_mov_b32_e32 v12, 0x3b800000
	v_lshlrev_b32_e32 v6, 20, v6
	v_lshl_add_u32 v10, v10, 23, v12
	v_or3_b32 v10, v11, v10, v6
.LBB32_1436:
	s_or_b64 exec, exec, s[6:7]
	s_movk_i32 s4, 0x7f
	v_cmp_gt_i16_sdwa s[6:7], v2, s4 src0_sel:BYTE_3 src1_sel:DWORD
	s_mov_b64 s[4:5], 0
                                        ; implicit-def: $sgpr10
	s_and_saveexec_b64 s[8:9], s[6:7]
	s_xor_b64 s[6:7], exec, s[8:9]
	s_cbranch_execnz .LBB32_3485
; %bb.1437:
	s_or_saveexec_b64 s[6:7], s[6:7]
	v_mov_b32_e32 v6, s10
	s_xor_b64 exec, exec, s[6:7]
	s_cbranch_execnz .LBB32_3488
.LBB32_1438:
	s_or_b64 exec, exec, s[6:7]
	s_and_saveexec_b64 s[6:7], s[4:5]
	s_cbranch_execz .LBB32_1440
.LBB32_1439:
	v_bfe_u32 v6, v2, 24, 3
	v_ffbh_u32_e32 v14, v6
	v_min_u32_e32 v14, 32, v14
	v_lshrrev_b32_e32 v12, 27, v2
	v_subrev_u32_e32 v15, 28, v14
	v_and_b32_e32 v11, 0x80000000, v2
	v_and_b32_e32 v12, 15, v12
	v_bfe_u32 v13, v2, 27, 4
	v_lshlrev_b32_sdwa v2, v15, v2 dst_sel:DWORD dst_unused:UNUSED_PAD src0_sel:DWORD src1_sel:BYTE_3
	v_sub_u32_e32 v14, 29, v14
	v_and_b32_e32 v2, 7, v2
	v_cmp_eq_u16_e32 vcc, 0, v12
	v_cndmask_b32_e32 v2, v6, v2, vcc
	v_cndmask_b32_e32 v6, v13, v14, vcc
	v_mov_b32_e32 v12, 0x3b800000
	v_lshlrev_b32_e32 v2, 20, v2
	v_lshl_add_u32 v6, v6, 23, v12
	v_or3_b32 v6, v11, v6, v2
.LBB32_1440:
	s_or_b64 exec, exec, s[6:7]
	s_nop 0
	v_mfma_f32_16x16x4f32 a[0:3], v10, v6, a[0:3]
	s_movk_i32 s4, 0x7f
	v_cmp_gt_i16_sdwa s[6:7], v7, s4 src0_sel:BYTE_0 src1_sel:DWORD
	s_mov_b64 s[4:5], 0
                                        ; implicit-def: $sgpr10
	s_and_saveexec_b64 s[8:9], s[6:7]
	s_xor_b64 s[6:7], exec, s[8:9]
	s_cbranch_execnz .LBB32_3489
; %bb.1441:
	s_or_saveexec_b64 s[6:7], s[6:7]
	v_mov_b32_e32 v2, s10
	s_xor_b64 exec, exec, s[6:7]
	s_cbranch_execnz .LBB32_3492
.LBB32_1442:
	s_or_b64 exec, exec, s[6:7]
	s_and_saveexec_b64 s[6:7], s[4:5]
	s_cbranch_execz .LBB32_1444
.LBB32_1443:
	v_and_b32_e32 v2, 7, v7
	v_ffbh_u32_e32 v10, v2
	v_min_u32_e32 v10, 32, v10
	v_lshrrev_b16_e32 v6, 3, v7
	v_subrev_u32_e32 v11, 28, v10
	v_and_b32_e32 v6, 15, v6
	v_lshlrev_b32_e32 v11, v11, v7
	v_sub_u32_e32 v10, 29, v10
	v_and_b32_e32 v11, 7, v11
	v_cmp_eq_u16_e32 vcc, 0, v6
	v_cndmask_b32_e32 v2, v2, v11, vcc
	v_cndmask_b32_e32 v6, v6, v10, vcc
	v_lshlrev_b32_e32 v10, 24, v7
	v_mov_b32_e32 v11, 0x3b800000
	v_lshlrev_b32_e32 v2, 20, v2
	v_and_b32_e32 v10, 0x80000000, v10
	v_lshl_add_u32 v6, v6, 23, v11
	v_or3_b32 v2, v10, v6, v2
.LBB32_1444:
	s_or_b64 exec, exec, s[6:7]
	s_movk_i32 s4, 0x7f
	v_cmp_gt_i16_sdwa s[6:7], v3, s4 src0_sel:BYTE_0 src1_sel:DWORD
	s_mov_b64 s[4:5], 0
                                        ; implicit-def: $sgpr10
	s_and_saveexec_b64 s[8:9], s[6:7]
	s_xor_b64 s[6:7], exec, s[8:9]
	s_cbranch_execnz .LBB32_3493
; %bb.1445:
	s_or_saveexec_b64 s[6:7], s[6:7]
	v_mov_b32_e32 v6, s10
	s_xor_b64 exec, exec, s[6:7]
	s_cbranch_execnz .LBB32_3496
.LBB32_1446:
	s_or_b64 exec, exec, s[6:7]
	s_and_saveexec_b64 s[6:7], s[4:5]
	s_cbranch_execz .LBB32_1448
.LBB32_1447:
	v_and_b32_e32 v6, 7, v3
	v_ffbh_u32_e32 v11, v6
	v_min_u32_e32 v11, 32, v11
	v_lshrrev_b16_e32 v10, 3, v3
	v_subrev_u32_e32 v12, 28, v11
	v_and_b32_e32 v10, 15, v10
	v_lshlrev_b32_e32 v12, v12, v3
	v_sub_u32_e32 v11, 29, v11
	v_and_b32_e32 v12, 7, v12
	v_cmp_eq_u16_e32 vcc, 0, v10
	v_cndmask_b32_e32 v6, v6, v12, vcc
	v_cndmask_b32_e32 v10, v10, v11, vcc
	v_lshlrev_b32_e32 v11, 24, v3
	v_mov_b32_e32 v12, 0x3b800000
	v_lshlrev_b32_e32 v6, 20, v6
	v_and_b32_e32 v11, 0x80000000, v11
	v_lshl_add_u32 v10, v10, 23, v12
	v_or3_b32 v6, v11, v10, v6
.LBB32_1448:
	s_or_b64 exec, exec, s[6:7]
	s_nop 0
	v_mfma_f32_16x16x4f32 a[0:3], v2, v6, a[0:3]
	v_lshrrev_b32_e32 v6, 8, v7
	s_movk_i32 s4, 0x7f
	v_cmp_gt_i16_sdwa s[6:7], v6, s4 src0_sel:BYTE_0 src1_sel:DWORD
	s_mov_b64 s[4:5], 0
                                        ; implicit-def: $sgpr10
	s_and_saveexec_b64 s[8:9], s[6:7]
	s_xor_b64 s[6:7], exec, s[8:9]
	s_cbranch_execnz .LBB32_3497
; %bb.1449:
	s_or_saveexec_b64 s[6:7], s[6:7]
	v_mov_b32_e32 v2, s10
	s_xor_b64 exec, exec, s[6:7]
	s_cbranch_execnz .LBB32_3500
.LBB32_1450:
	s_or_b64 exec, exec, s[6:7]
	s_and_saveexec_b64 s[6:7], s[4:5]
	s_cbranch_execz .LBB32_1452
.LBB32_1451:
	v_bfe_u32 v2, v7, 8, 3
	v_ffbh_u32_e32 v11, v2
	v_min_u32_e32 v11, 32, v11
	v_lshrrev_b16_e32 v10, 3, v6
	v_subrev_u32_e32 v12, 28, v11
	v_and_b32_e32 v10, 15, v10
	v_lshlrev_b32_e32 v6, v12, v6
	v_sub_u32_e32 v11, 29, v11
	v_and_b32_e32 v6, 7, v6
	v_cmp_eq_u16_e32 vcc, 0, v10
	v_cndmask_b32_e32 v2, v2, v6, vcc
	v_cndmask_b32_e32 v6, v10, v11, vcc
	v_lshlrev_b32_e32 v10, 16, v7
	v_mov_b32_e32 v11, 0x3b800000
	v_lshlrev_b32_e32 v2, 20, v2
	v_and_b32_e32 v10, 0x80000000, v10
	v_lshl_add_u32 v6, v6, 23, v11
	v_or3_b32 v2, v10, v6, v2
.LBB32_1452:
	s_or_b64 exec, exec, s[6:7]
	v_lshrrev_b32_e32 v6, 8, v3
	s_movk_i32 s4, 0x7f
	v_cmp_gt_i16_sdwa s[6:7], v6, s4 src0_sel:BYTE_0 src1_sel:DWORD
	s_mov_b64 s[4:5], 0
                                        ; implicit-def: $sgpr10
	s_and_saveexec_b64 s[8:9], s[6:7]
	s_xor_b64 s[6:7], exec, s[8:9]
	s_cbranch_execnz .LBB32_3501
; %bb.1453:
	s_or_saveexec_b64 s[6:7], s[6:7]
	v_mov_b32_e32 v10, s10
	s_xor_b64 exec, exec, s[6:7]
	s_cbranch_execnz .LBB32_3504
.LBB32_1454:
	s_or_b64 exec, exec, s[6:7]
	s_and_saveexec_b64 s[6:7], s[4:5]
	s_cbranch_execz .LBB32_1456
.LBB32_1455:
	v_bfe_u32 v10, v3, 8, 3
	v_ffbh_u32_e32 v12, v10
	v_min_u32_e32 v12, 32, v12
	v_lshrrev_b16_e32 v11, 3, v6
	v_subrev_u32_e32 v13, 28, v12
	v_and_b32_e32 v11, 15, v11
	v_lshlrev_b32_e32 v6, v13, v6
	v_sub_u32_e32 v12, 29, v12
	v_and_b32_e32 v6, 7, v6
	v_cmp_eq_u16_e32 vcc, 0, v11
	v_cndmask_b32_e32 v6, v10, v6, vcc
	v_cndmask_b32_e32 v10, v11, v12, vcc
	v_lshlrev_b32_e32 v11, 16, v3
	v_mov_b32_e32 v12, 0x3b800000
	v_lshlrev_b32_e32 v6, 20, v6
	v_and_b32_e32 v11, 0x80000000, v11
	v_lshl_add_u32 v10, v10, 23, v12
	v_or3_b32 v10, v11, v10, v6
.LBB32_1456:
	s_or_b64 exec, exec, s[6:7]
	s_nop 0
	v_mfma_f32_16x16x4f32 a[0:3], v2, v10, a[0:3]
	s_movk_i32 s4, 0xff
	v_and_b32_sdwa v6, v7, s4 dst_sel:DWORD dst_unused:UNUSED_PAD src0_sel:WORD_1 src1_sel:DWORD
	s_movk_i32 s4, 0x7f
	v_cmp_lt_i16_e32 vcc, s4, v6
	s_mov_b64 s[4:5], 0
                                        ; implicit-def: $sgpr10
	s_and_saveexec_b64 s[6:7], vcc
	s_xor_b64 s[6:7], exec, s[6:7]
	s_cbranch_execnz .LBB32_3505
; %bb.1457:
	s_or_saveexec_b64 s[6:7], s[6:7]
	v_mov_b32_e32 v2, s10
	s_xor_b64 exec, exec, s[6:7]
	s_cbranch_execnz .LBB32_3508
.LBB32_1458:
	s_or_b64 exec, exec, s[6:7]
	s_and_saveexec_b64 s[6:7], s[4:5]
	s_cbranch_execz .LBB32_1460
.LBB32_1459:
	v_bfe_u32 v2, v7, 16, 3
	v_ffbh_u32_e32 v11, v2
	v_min_u32_e32 v11, 32, v11
	v_lshrrev_b32_e32 v6, 19, v7
	v_subrev_u32_e32 v12, 28, v11
	v_and_b32_e32 v6, 15, v6
	v_lshlrev_b32_sdwa v12, v12, v7 dst_sel:DWORD dst_unused:UNUSED_PAD src0_sel:DWORD src1_sel:WORD_1
	v_bfe_u32 v10, v7, 19, 4
	v_sub_u32_e32 v11, 29, v11
	v_and_b32_e32 v12, 7, v12
	v_cmp_eq_u16_e32 vcc, 0, v6
	v_cndmask_b32_e32 v2, v2, v12, vcc
	v_cndmask_b32_e32 v6, v10, v11, vcc
	v_lshlrev_b32_e32 v10, 8, v7
	v_mov_b32_e32 v11, 0x3b800000
	v_lshlrev_b32_e32 v2, 20, v2
	v_and_b32_e32 v10, 0x80000000, v10
	v_lshl_add_u32 v6, v6, 23, v11
	v_or3_b32 v2, v10, v6, v2
.LBB32_1460:
	s_or_b64 exec, exec, s[6:7]
	s_movk_i32 s4, 0xff
	v_and_b32_sdwa v6, v3, s4 dst_sel:DWORD dst_unused:UNUSED_PAD src0_sel:WORD_1 src1_sel:DWORD
	s_movk_i32 s4, 0x7f
	v_cmp_lt_i16_e32 vcc, s4, v6
	s_mov_b64 s[4:5], 0
                                        ; implicit-def: $sgpr10
	s_and_saveexec_b64 s[6:7], vcc
	s_xor_b64 s[6:7], exec, s[6:7]
	s_cbranch_execnz .LBB32_3509
; %bb.1461:
	s_or_saveexec_b64 s[6:7], s[6:7]
	v_mov_b32_e32 v10, s10
	s_xor_b64 exec, exec, s[6:7]
	s_cbranch_execnz .LBB32_3512
.LBB32_1462:
	s_or_b64 exec, exec, s[6:7]
	s_and_saveexec_b64 s[6:7], s[4:5]
	s_cbranch_execz .LBB32_1464
.LBB32_1463:
	v_bfe_u32 v6, v3, 16, 3
	v_ffbh_u32_e32 v12, v6
	v_min_u32_e32 v12, 32, v12
	v_lshrrev_b32_e32 v10, 19, v3
	v_subrev_u32_e32 v13, 28, v12
	v_and_b32_e32 v10, 15, v10
	v_lshlrev_b32_sdwa v13, v13, v3 dst_sel:DWORD dst_unused:UNUSED_PAD src0_sel:DWORD src1_sel:WORD_1
	v_bfe_u32 v11, v3, 19, 4
	v_sub_u32_e32 v12, 29, v12
	v_and_b32_e32 v13, 7, v13
	v_cmp_eq_u16_e32 vcc, 0, v10
	v_cndmask_b32_e32 v6, v6, v13, vcc
	v_cndmask_b32_e32 v10, v11, v12, vcc
	v_lshlrev_b32_e32 v11, 8, v3
	v_mov_b32_e32 v12, 0x3b800000
	v_lshlrev_b32_e32 v6, 20, v6
	v_and_b32_e32 v11, 0x80000000, v11
	v_lshl_add_u32 v10, v10, 23, v12
	v_or3_b32 v10, v11, v10, v6
.LBB32_1464:
	s_or_b64 exec, exec, s[6:7]
	s_nop 0
	v_mfma_f32_16x16x4f32 a[0:3], v2, v10, a[0:3]
	s_movk_i32 s4, 0x7f
	v_cmp_gt_i16_sdwa s[6:7], v7, s4 src0_sel:BYTE_3 src1_sel:DWORD
	s_mov_b64 s[4:5], 0
                                        ; implicit-def: $sgpr10
	s_and_saveexec_b64 s[8:9], s[6:7]
	s_xor_b64 s[6:7], exec, s[8:9]
	s_cbranch_execnz .LBB32_3513
; %bb.1465:
	s_or_saveexec_b64 s[6:7], s[6:7]
	v_mov_b32_e32 v2, s10
	s_xor_b64 exec, exec, s[6:7]
	s_cbranch_execnz .LBB32_3516
.LBB32_1466:
	s_or_b64 exec, exec, s[6:7]
	s_and_saveexec_b64 s[6:7], s[4:5]
	s_cbranch_execz .LBB32_1468
.LBB32_1467:
	v_bfe_u32 v2, v7, 24, 3
	v_ffbh_u32_e32 v12, v2
	v_min_u32_e32 v12, 32, v12
	v_lshrrev_b32_e32 v10, 27, v7
	v_subrev_u32_e32 v13, 28, v12
	v_and_b32_e32 v6, 0x80000000, v7
	v_and_b32_e32 v10, 15, v10
	v_bfe_u32 v11, v7, 27, 4
	v_lshlrev_b32_sdwa v7, v13, v7 dst_sel:DWORD dst_unused:UNUSED_PAD src0_sel:DWORD src1_sel:BYTE_3
	v_sub_u32_e32 v12, 29, v12
	v_and_b32_e32 v7, 7, v7
	v_cmp_eq_u16_e32 vcc, 0, v10
	v_cndmask_b32_e32 v2, v2, v7, vcc
	v_cndmask_b32_e32 v7, v11, v12, vcc
	v_mov_b32_e32 v10, 0x3b800000
	v_lshlrev_b32_e32 v2, 20, v2
	v_lshl_add_u32 v7, v7, 23, v10
	v_or3_b32 v2, v6, v7, v2
.LBB32_1468:
	s_or_b64 exec, exec, s[6:7]
	s_movk_i32 s4, 0x7f
	v_cmp_gt_i16_sdwa s[6:7], v3, s4 src0_sel:BYTE_3 src1_sel:DWORD
	s_mov_b64 s[4:5], 0
                                        ; implicit-def: $sgpr10
	s_and_saveexec_b64 s[8:9], s[6:7]
	s_xor_b64 s[6:7], exec, s[8:9]
	s_cbranch_execnz .LBB32_3517
; %bb.1469:
	s_or_saveexec_b64 s[6:7], s[6:7]
	v_mov_b32_e32 v6, s10
	s_xor_b64 exec, exec, s[6:7]
	s_cbranch_execnz .LBB32_3520
.LBB32_1470:
	s_or_b64 exec, exec, s[6:7]
	s_and_saveexec_b64 s[6:7], s[4:5]
	s_cbranch_execz .LBB32_1472
.LBB32_1471:
	v_bfe_u32 v6, v3, 24, 3
	v_ffbh_u32_e32 v12, v6
	v_min_u32_e32 v12, 32, v12
	v_lshrrev_b32_e32 v10, 27, v3
	v_subrev_u32_e32 v13, 28, v12
	v_and_b32_e32 v7, 0x80000000, v3
	v_and_b32_e32 v10, 15, v10
	v_bfe_u32 v11, v3, 27, 4
	v_lshlrev_b32_sdwa v3, v13, v3 dst_sel:DWORD dst_unused:UNUSED_PAD src0_sel:DWORD src1_sel:BYTE_3
	v_sub_u32_e32 v12, 29, v12
	v_and_b32_e32 v3, 7, v3
	v_cmp_eq_u16_e32 vcc, 0, v10
	v_cndmask_b32_e32 v3, v6, v3, vcc
	v_cndmask_b32_e32 v6, v11, v12, vcc
	v_mov_b32_e32 v10, 0x3b800000
	v_lshlrev_b32_e32 v3, 20, v3
	v_lshl_add_u32 v6, v6, 23, v10
	v_or3_b32 v6, v7, v6, v3
.LBB32_1472:
	s_or_b64 exec, exec, s[6:7]
	s_nop 0
	v_mfma_f32_16x16x4f32 a[0:3], v2, v6, a[0:3]
	s_movk_i32 s4, 0x7f
	v_cmp_gt_i16_sdwa s[6:7], v8, s4 src0_sel:BYTE_0 src1_sel:DWORD
	s_mov_b64 s[4:5], 0
                                        ; implicit-def: $sgpr10
	s_and_saveexec_b64 s[8:9], s[6:7]
	s_xor_b64 s[6:7], exec, s[8:9]
	s_cbranch_execnz .LBB32_3521
; %bb.1473:
	s_or_saveexec_b64 s[6:7], s[6:7]
	v_mov_b32_e32 v2, s10
	s_xor_b64 exec, exec, s[6:7]
	s_cbranch_execnz .LBB32_3524
.LBB32_1474:
	s_or_b64 exec, exec, s[6:7]
	s_and_saveexec_b64 s[6:7], s[4:5]
	s_cbranch_execz .LBB32_1476
.LBB32_1475:
	v_and_b32_e32 v2, 7, v8
	v_ffbh_u32_e32 v6, v2
	v_min_u32_e32 v6, 32, v6
	v_lshrrev_b16_e32 v3, 3, v8
	v_subrev_u32_e32 v7, 28, v6
	v_and_b32_e32 v3, 15, v3
	v_lshlrev_b32_e32 v7, v7, v8
	v_sub_u32_e32 v6, 29, v6
	v_and_b32_e32 v7, 7, v7
	v_cmp_eq_u16_e32 vcc, 0, v3
	v_cndmask_b32_e32 v2, v2, v7, vcc
	v_cndmask_b32_e32 v3, v3, v6, vcc
	v_lshlrev_b32_e32 v6, 24, v8
	v_mov_b32_e32 v7, 0x3b800000
	v_lshlrev_b32_e32 v2, 20, v2
	v_and_b32_e32 v6, 0x80000000, v6
	v_lshl_add_u32 v3, v3, 23, v7
	v_or3_b32 v2, v6, v3, v2
.LBB32_1476:
	s_or_b64 exec, exec, s[6:7]
	s_movk_i32 s4, 0x7f
	v_cmp_gt_i16_sdwa s[6:7], v4, s4 src0_sel:BYTE_0 src1_sel:DWORD
	s_mov_b64 s[4:5], 0
                                        ; implicit-def: $sgpr10
	s_and_saveexec_b64 s[8:9], s[6:7]
	s_xor_b64 s[6:7], exec, s[8:9]
	s_cbranch_execnz .LBB32_3525
; %bb.1477:
	s_or_saveexec_b64 s[6:7], s[6:7]
	v_mov_b32_e32 v3, s10
	s_xor_b64 exec, exec, s[6:7]
	s_cbranch_execnz .LBB32_3528
.LBB32_1478:
	s_or_b64 exec, exec, s[6:7]
	s_and_saveexec_b64 s[6:7], s[4:5]
	s_cbranch_execz .LBB32_1480
.LBB32_1479:
	v_and_b32_e32 v3, 7, v4
	v_ffbh_u32_e32 v7, v3
	v_min_u32_e32 v7, 32, v7
	v_lshrrev_b16_e32 v6, 3, v4
	v_subrev_u32_e32 v10, 28, v7
	v_and_b32_e32 v6, 15, v6
	v_lshlrev_b32_e32 v10, v10, v4
	v_sub_u32_e32 v7, 29, v7
	v_and_b32_e32 v10, 7, v10
	v_cmp_eq_u16_e32 vcc, 0, v6
	v_cndmask_b32_e32 v3, v3, v10, vcc
	v_cndmask_b32_e32 v6, v6, v7, vcc
	v_lshlrev_b32_e32 v7, 24, v4
	v_mov_b32_e32 v10, 0x3b800000
	v_lshlrev_b32_e32 v3, 20, v3
	v_and_b32_e32 v7, 0x80000000, v7
	v_lshl_add_u32 v6, v6, 23, v10
	v_or3_b32 v3, v7, v6, v3
.LBB32_1480:
	s_or_b64 exec, exec, s[6:7]
	s_nop 0
	v_mfma_f32_16x16x4f32 a[0:3], v2, v3, a[0:3]
	v_lshrrev_b32_e32 v3, 8, v8
	s_movk_i32 s4, 0x7f
	v_cmp_gt_i16_sdwa s[6:7], v3, s4 src0_sel:BYTE_0 src1_sel:DWORD
	s_mov_b64 s[4:5], 0
                                        ; implicit-def: $sgpr10
	s_and_saveexec_b64 s[8:9], s[6:7]
	s_xor_b64 s[6:7], exec, s[8:9]
	s_cbranch_execnz .LBB32_3529
; %bb.1481:
	s_or_saveexec_b64 s[6:7], s[6:7]
	v_mov_b32_e32 v2, s10
	s_xor_b64 exec, exec, s[6:7]
	s_cbranch_execnz .LBB32_3532
.LBB32_1482:
	s_or_b64 exec, exec, s[6:7]
	s_and_saveexec_b64 s[6:7], s[4:5]
	s_cbranch_execz .LBB32_1484
.LBB32_1483:
	v_bfe_u32 v2, v8, 8, 3
	v_ffbh_u32_e32 v7, v2
	v_min_u32_e32 v7, 32, v7
	v_lshrrev_b16_e32 v6, 3, v3
	v_subrev_u32_e32 v10, 28, v7
	v_and_b32_e32 v6, 15, v6
	v_lshlrev_b32_e32 v3, v10, v3
	v_sub_u32_e32 v7, 29, v7
	v_and_b32_e32 v3, 7, v3
	v_cmp_eq_u16_e32 vcc, 0, v6
	v_cndmask_b32_e32 v2, v2, v3, vcc
	v_cndmask_b32_e32 v3, v6, v7, vcc
	v_lshlrev_b32_e32 v6, 16, v8
	v_mov_b32_e32 v7, 0x3b800000
	v_lshlrev_b32_e32 v2, 20, v2
	v_and_b32_e32 v6, 0x80000000, v6
	v_lshl_add_u32 v3, v3, 23, v7
	v_or3_b32 v2, v6, v3, v2
.LBB32_1484:
	s_or_b64 exec, exec, s[6:7]
	v_lshrrev_b32_e32 v3, 8, v4
	s_movk_i32 s4, 0x7f
	v_cmp_gt_i16_sdwa s[6:7], v3, s4 src0_sel:BYTE_0 src1_sel:DWORD
	s_mov_b64 s[4:5], 0
                                        ; implicit-def: $sgpr10
	s_and_saveexec_b64 s[8:9], s[6:7]
	s_xor_b64 s[6:7], exec, s[8:9]
	s_cbranch_execnz .LBB32_3533
; %bb.1485:
	s_or_saveexec_b64 s[6:7], s[6:7]
	v_mov_b32_e32 v6, s10
	s_xor_b64 exec, exec, s[6:7]
	s_cbranch_execnz .LBB32_3536
.LBB32_1486:
	s_or_b64 exec, exec, s[6:7]
	s_and_saveexec_b64 s[6:7], s[4:5]
	s_cbranch_execz .LBB32_1488
.LBB32_1487:
	v_bfe_u32 v6, v4, 8, 3
	v_ffbh_u32_e32 v10, v6
	v_min_u32_e32 v10, 32, v10
	v_lshrrev_b16_e32 v7, 3, v3
	v_subrev_u32_e32 v11, 28, v10
	v_and_b32_e32 v7, 15, v7
	v_lshlrev_b32_e32 v3, v11, v3
	v_sub_u32_e32 v10, 29, v10
	v_and_b32_e32 v3, 7, v3
	v_cmp_eq_u16_e32 vcc, 0, v7
	v_cndmask_b32_e32 v3, v6, v3, vcc
	v_cndmask_b32_e32 v6, v7, v10, vcc
	v_lshlrev_b32_e32 v7, 16, v4
	v_mov_b32_e32 v10, 0x3b800000
	v_lshlrev_b32_e32 v3, 20, v3
	v_and_b32_e32 v7, 0x80000000, v7
	v_lshl_add_u32 v6, v6, 23, v10
	v_or3_b32 v6, v7, v6, v3
.LBB32_1488:
	s_or_b64 exec, exec, s[6:7]
	s_nop 0
	v_mfma_f32_16x16x4f32 a[0:3], v2, v6, a[0:3]
	s_movk_i32 s4, 0xff
	v_and_b32_sdwa v3, v8, s4 dst_sel:DWORD dst_unused:UNUSED_PAD src0_sel:WORD_1 src1_sel:DWORD
	s_movk_i32 s4, 0x7f
	v_cmp_lt_i16_e32 vcc, s4, v3
	s_mov_b64 s[4:5], 0
                                        ; implicit-def: $sgpr10
	s_and_saveexec_b64 s[6:7], vcc
	s_xor_b64 s[6:7], exec, s[6:7]
	s_cbranch_execnz .LBB32_3537
; %bb.1489:
	s_or_saveexec_b64 s[6:7], s[6:7]
	v_mov_b32_e32 v2, s10
	s_xor_b64 exec, exec, s[6:7]
	s_cbranch_execnz .LBB32_3540
.LBB32_1490:
	s_or_b64 exec, exec, s[6:7]
	s_and_saveexec_b64 s[6:7], s[4:5]
	s_cbranch_execz .LBB32_1492
.LBB32_1491:
	v_bfe_u32 v2, v8, 16, 3
	v_ffbh_u32_e32 v7, v2
	v_min_u32_e32 v7, 32, v7
	v_lshrrev_b32_e32 v3, 19, v8
	v_subrev_u32_e32 v10, 28, v7
	v_and_b32_e32 v3, 15, v3
	v_lshlrev_b32_sdwa v10, v10, v8 dst_sel:DWORD dst_unused:UNUSED_PAD src0_sel:DWORD src1_sel:WORD_1
	v_bfe_u32 v6, v8, 19, 4
	v_sub_u32_e32 v7, 29, v7
	v_and_b32_e32 v10, 7, v10
	v_cmp_eq_u16_e32 vcc, 0, v3
	v_cndmask_b32_e32 v2, v2, v10, vcc
	v_cndmask_b32_e32 v3, v6, v7, vcc
	v_lshlrev_b32_e32 v6, 8, v8
	v_mov_b32_e32 v7, 0x3b800000
	v_lshlrev_b32_e32 v2, 20, v2
	v_and_b32_e32 v6, 0x80000000, v6
	v_lshl_add_u32 v3, v3, 23, v7
	v_or3_b32 v2, v6, v3, v2
.LBB32_1492:
	s_or_b64 exec, exec, s[6:7]
	s_movk_i32 s4, 0xff
	v_and_b32_sdwa v3, v4, s4 dst_sel:DWORD dst_unused:UNUSED_PAD src0_sel:WORD_1 src1_sel:DWORD
	s_movk_i32 s4, 0x7f
	v_cmp_lt_i16_e32 vcc, s4, v3
	s_mov_b64 s[4:5], 0
                                        ; implicit-def: $sgpr10
	s_and_saveexec_b64 s[6:7], vcc
	s_xor_b64 s[6:7], exec, s[6:7]
	s_cbranch_execnz .LBB32_3541
; %bb.1493:
	s_or_saveexec_b64 s[6:7], s[6:7]
	v_mov_b32_e32 v6, s10
	s_xor_b64 exec, exec, s[6:7]
	s_cbranch_execnz .LBB32_3544
.LBB32_1494:
	s_or_b64 exec, exec, s[6:7]
	s_and_saveexec_b64 s[6:7], s[4:5]
	s_cbranch_execz .LBB32_1496
.LBB32_1495:
	v_bfe_u32 v3, v4, 16, 3
	v_ffbh_u32_e32 v10, v3
	v_min_u32_e32 v10, 32, v10
	v_lshrrev_b32_e32 v6, 19, v4
	v_subrev_u32_e32 v11, 28, v10
	v_and_b32_e32 v6, 15, v6
	v_lshlrev_b32_sdwa v11, v11, v4 dst_sel:DWORD dst_unused:UNUSED_PAD src0_sel:DWORD src1_sel:WORD_1
	v_bfe_u32 v7, v4, 19, 4
	v_sub_u32_e32 v10, 29, v10
	v_and_b32_e32 v11, 7, v11
	v_cmp_eq_u16_e32 vcc, 0, v6
	v_cndmask_b32_e32 v3, v3, v11, vcc
	v_cndmask_b32_e32 v6, v7, v10, vcc
	v_lshlrev_b32_e32 v7, 8, v4
	v_mov_b32_e32 v10, 0x3b800000
	v_lshlrev_b32_e32 v3, 20, v3
	v_and_b32_e32 v7, 0x80000000, v7
	v_lshl_add_u32 v6, v6, 23, v10
	v_or3_b32 v6, v7, v6, v3
.LBB32_1496:
	s_or_b64 exec, exec, s[6:7]
	s_nop 0
	v_mfma_f32_16x16x4f32 a[0:3], v2, v6, a[0:3]
	s_movk_i32 s4, 0x7f
	v_cmp_gt_i16_sdwa s[6:7], v8, s4 src0_sel:BYTE_3 src1_sel:DWORD
	s_mov_b64 s[4:5], 0
                                        ; implicit-def: $sgpr10
	s_and_saveexec_b64 s[8:9], s[6:7]
	s_xor_b64 s[6:7], exec, s[8:9]
	s_cbranch_execnz .LBB32_3545
; %bb.1497:
	s_or_saveexec_b64 s[6:7], s[6:7]
	v_mov_b32_e32 v2, s10
	s_xor_b64 exec, exec, s[6:7]
	s_cbranch_execnz .LBB32_3548
.LBB32_1498:
	s_or_b64 exec, exec, s[6:7]
	s_and_saveexec_b64 s[6:7], s[4:5]
	s_cbranch_execz .LBB32_1500
.LBB32_1499:
	v_bfe_u32 v2, v8, 24, 3
	v_ffbh_u32_e32 v10, v2
	v_min_u32_e32 v10, 32, v10
	v_lshrrev_b32_e32 v6, 27, v8
	v_subrev_u32_e32 v11, 28, v10
	v_and_b32_e32 v3, 0x80000000, v8
	v_and_b32_e32 v6, 15, v6
	v_bfe_u32 v7, v8, 27, 4
	v_lshlrev_b32_sdwa v8, v11, v8 dst_sel:DWORD dst_unused:UNUSED_PAD src0_sel:DWORD src1_sel:BYTE_3
	v_sub_u32_e32 v10, 29, v10
	v_and_b32_e32 v8, 7, v8
	v_cmp_eq_u16_e32 vcc, 0, v6
	v_cndmask_b32_e32 v2, v2, v8, vcc
	v_cndmask_b32_e32 v6, v7, v10, vcc
	v_mov_b32_e32 v7, 0x3b800000
	v_lshlrev_b32_e32 v2, 20, v2
	v_lshl_add_u32 v6, v6, 23, v7
	v_or3_b32 v2, v3, v6, v2
.LBB32_1500:
	s_or_b64 exec, exec, s[6:7]
	s_movk_i32 s4, 0x7f
	v_cmp_gt_i16_sdwa s[6:7], v4, s4 src0_sel:BYTE_3 src1_sel:DWORD
	s_mov_b64 s[4:5], 0
                                        ; implicit-def: $sgpr10
	s_and_saveexec_b64 s[8:9], s[6:7]
	s_xor_b64 s[6:7], exec, s[8:9]
	s_cbranch_execnz .LBB32_3549
; %bb.1501:
	s_or_saveexec_b64 s[6:7], s[6:7]
	v_mov_b32_e32 v3, s10
	s_xor_b64 exec, exec, s[6:7]
	s_cbranch_execnz .LBB32_3552
.LBB32_1502:
	s_or_b64 exec, exec, s[6:7]
	s_and_saveexec_b64 s[6:7], s[4:5]
	s_cbranch_execz .LBB32_1504
.LBB32_1503:
	v_bfe_u32 v3, v4, 24, 3
	v_ffbh_u32_e32 v10, v3
	v_min_u32_e32 v10, 32, v10
	v_lshrrev_b32_e32 v7, 27, v4
	v_subrev_u32_e32 v11, 28, v10
	v_and_b32_e32 v6, 0x80000000, v4
	v_and_b32_e32 v7, 15, v7
	v_bfe_u32 v8, v4, 27, 4
	v_lshlrev_b32_sdwa v4, v11, v4 dst_sel:DWORD dst_unused:UNUSED_PAD src0_sel:DWORD src1_sel:BYTE_3
	v_sub_u32_e32 v10, 29, v10
	v_and_b32_e32 v4, 7, v4
	v_cmp_eq_u16_e32 vcc, 0, v7
	v_cndmask_b32_e32 v3, v3, v4, vcc
	v_cndmask_b32_e32 v4, v8, v10, vcc
	v_mov_b32_e32 v7, 0x3b800000
	v_lshlrev_b32_e32 v3, 20, v3
	v_lshl_add_u32 v4, v4, 23, v7
	v_or3_b32 v3, v6, v4, v3
.LBB32_1504:
	s_or_b64 exec, exec, s[6:7]
	s_nop 0
	v_mfma_f32_16x16x4f32 a[0:3], v2, v3, a[0:3]
	s_movk_i32 s4, 0x7f
	v_cmp_gt_i16_sdwa s[6:7], v9, s4 src0_sel:BYTE_0 src1_sel:DWORD
	s_mov_b64 s[4:5], 0
                                        ; implicit-def: $sgpr10
	s_and_saveexec_b64 s[8:9], s[6:7]
	s_xor_b64 s[6:7], exec, s[8:9]
	s_cbranch_execnz .LBB32_3553
; %bb.1505:
	s_or_saveexec_b64 s[6:7], s[6:7]
	v_mov_b32_e32 v2, s10
	s_xor_b64 exec, exec, s[6:7]
	s_cbranch_execnz .LBB32_3556
.LBB32_1506:
	s_or_b64 exec, exec, s[6:7]
	s_and_saveexec_b64 s[6:7], s[4:5]
	s_cbranch_execz .LBB32_1508
.LBB32_1507:
	v_mov_b32_e32 v2, 8
	v_and_b32_e32 v3, 7, v9
	v_lshrrev_b32_sdwa v2, v2, v9 dst_sel:BYTE_1 dst_unused:UNUSED_PAD src0_sel:DWORD src1_sel:DWORD
	v_ffbh_u32_e32 v4, v3
	v_or_b32_sdwa v2, v9, v2 dst_sel:DWORD dst_unused:UNUSED_PAD src0_sel:BYTE_0 src1_sel:DWORD
	v_min_u32_e32 v4, 32, v4
	v_lshrrev_b16_e32 v2, 3, v2
	v_subrev_u32_e32 v6, 28, v4
	v_and_b32_e32 v2, 15, v2
	v_lshlrev_b32_e32 v6, v6, v9
	v_sub_u32_e32 v4, 29, v4
	v_and_b32_e32 v6, 7, v6
	v_cmp_eq_u16_e32 vcc, 0, v2
	v_cndmask_b32_e32 v3, v3, v6, vcc
	v_cndmask_b32_e32 v2, v2, v4, vcc
	v_lshlrev_b32_e32 v4, 24, v9
	v_mov_b32_e32 v6, 0x3b800000
	v_lshlrev_b32_e32 v3, 20, v3
	v_and_b32_e32 v4, 0x80000000, v4
	v_lshl_add_u32 v2, v2, 23, v6
	v_or3_b32 v2, v4, v2, v3
.LBB32_1508:
	s_or_b64 exec, exec, s[6:7]
	s_movk_i32 s4, 0x7f
	v_cmp_gt_i16_sdwa s[6:7], v5, s4 src0_sel:BYTE_0 src1_sel:DWORD
	s_mov_b64 s[4:5], 0
                                        ; implicit-def: $sgpr10
	s_and_saveexec_b64 s[8:9], s[6:7]
	s_xor_b64 s[6:7], exec, s[8:9]
	s_cbranch_execnz .LBB32_3557
; %bb.1509:
	s_or_saveexec_b64 s[6:7], s[6:7]
	v_mov_b32_e32 v3, s10
	s_xor_b64 exec, exec, s[6:7]
	s_cbranch_execnz .LBB32_3560
.LBB32_1510:
	s_or_b64 exec, exec, s[6:7]
	s_and_saveexec_b64 s[6:7], s[4:5]
	s_cbranch_execz .LBB32_1512
.LBB32_1511:
	v_mov_b32_e32 v3, 8
	v_and_b32_e32 v4, 7, v5
	v_lshrrev_b32_sdwa v3, v3, v5 dst_sel:BYTE_1 dst_unused:UNUSED_PAD src0_sel:DWORD src1_sel:DWORD
	v_ffbh_u32_e32 v6, v4
	v_or_b32_sdwa v3, v5, v3 dst_sel:DWORD dst_unused:UNUSED_PAD src0_sel:BYTE_0 src1_sel:DWORD
	v_min_u32_e32 v6, 32, v6
	v_lshrrev_b16_e32 v3, 3, v3
	v_subrev_u32_e32 v7, 28, v6
	v_and_b32_e32 v3, 15, v3
	v_lshlrev_b32_e32 v7, v7, v5
	v_sub_u32_e32 v6, 29, v6
	v_and_b32_e32 v7, 7, v7
	v_cmp_eq_u16_e32 vcc, 0, v3
	v_cndmask_b32_e32 v4, v4, v7, vcc
	v_cndmask_b32_e32 v3, v3, v6, vcc
	v_lshlrev_b32_e32 v6, 24, v5
	v_mov_b32_e32 v7, 0x3b800000
	v_lshlrev_b32_e32 v4, 20, v4
	v_and_b32_e32 v6, 0x80000000, v6
	v_lshl_add_u32 v3, v3, 23, v7
	v_or3_b32 v3, v6, v3, v4
.LBB32_1512:
	s_or_b64 exec, exec, s[6:7]
	s_nop 0
	v_mfma_f32_16x16x4f32 a[0:3], v2, v3, a[0:3]
	v_lshrrev_b32_e32 v3, 8, v9
	s_movk_i32 s4, 0x7f
	v_cmp_gt_i16_sdwa s[6:7], v3, s4 src0_sel:BYTE_0 src1_sel:DWORD
	s_mov_b64 s[4:5], 0
                                        ; implicit-def: $sgpr10
	s_and_saveexec_b64 s[8:9], s[6:7]
	s_xor_b64 s[6:7], exec, s[8:9]
	s_cbranch_execnz .LBB32_3561
; %bb.1513:
	s_or_saveexec_b64 s[6:7], s[6:7]
	v_mov_b32_e32 v2, s10
	s_xor_b64 exec, exec, s[6:7]
	s_cbranch_execnz .LBB32_3564
.LBB32_1514:
	s_or_b64 exec, exec, s[6:7]
	s_and_saveexec_b64 s[6:7], s[4:5]
	s_cbranch_execz .LBB32_1516
.LBB32_1515:
	v_bfe_u32 v2, v9, 8, 3
	v_ffbh_u32_e32 v6, v2
	v_min_u32_e32 v6, 32, v6
	v_lshrrev_b16_e32 v4, 3, v3
	v_subrev_u32_e32 v7, 28, v6
	v_and_b32_e32 v4, 15, v4
	v_lshlrev_b32_e32 v3, v7, v3
	v_sub_u32_e32 v6, 29, v6
	v_and_b32_e32 v3, 7, v3
	v_cmp_eq_u16_e32 vcc, 0, v4
	v_cndmask_b32_e32 v2, v2, v3, vcc
	v_cndmask_b32_e32 v3, v4, v6, vcc
	v_lshlrev_b32_e32 v4, 16, v9
	v_mov_b32_e32 v6, 0x3b800000
	v_lshlrev_b32_e32 v2, 20, v2
	v_and_b32_e32 v4, 0x80000000, v4
	v_lshl_add_u32 v3, v3, 23, v6
	v_or3_b32 v2, v4, v3, v2
.LBB32_1516:
	s_or_b64 exec, exec, s[6:7]
	v_lshrrev_b32_e32 v3, 8, v5
	s_movk_i32 s4, 0x7f
	v_cmp_gt_i16_sdwa s[6:7], v3, s4 src0_sel:BYTE_0 src1_sel:DWORD
	s_mov_b64 s[4:5], 0
                                        ; implicit-def: $sgpr10
	s_and_saveexec_b64 s[8:9], s[6:7]
	s_xor_b64 s[6:7], exec, s[8:9]
	s_cbranch_execnz .LBB32_3565
; %bb.1517:
	s_or_saveexec_b64 s[6:7], s[6:7]
	v_mov_b32_e32 v4, s10
	s_xor_b64 exec, exec, s[6:7]
	s_cbranch_execnz .LBB32_3568
.LBB32_1518:
	s_or_b64 exec, exec, s[6:7]
	s_and_saveexec_b64 s[6:7], s[4:5]
	s_cbranch_execz .LBB32_1520
.LBB32_1519:
	v_bfe_u32 v4, v5, 8, 3
	v_ffbh_u32_e32 v7, v4
	v_min_u32_e32 v7, 32, v7
	v_lshrrev_b16_e32 v6, 3, v3
	v_subrev_u32_e32 v8, 28, v7
	v_and_b32_e32 v6, 15, v6
	v_lshlrev_b32_e32 v3, v8, v3
	v_sub_u32_e32 v7, 29, v7
	v_and_b32_e32 v3, 7, v3
	v_cmp_eq_u16_e32 vcc, 0, v6
	v_cndmask_b32_e32 v3, v4, v3, vcc
	v_cndmask_b32_e32 v4, v6, v7, vcc
	v_lshlrev_b32_e32 v6, 16, v5
	v_mov_b32_e32 v7, 0x3b800000
	v_lshlrev_b32_e32 v3, 20, v3
	v_and_b32_e32 v6, 0x80000000, v6
	v_lshl_add_u32 v4, v4, 23, v7
	v_or3_b32 v4, v6, v4, v3
.LBB32_1520:
	s_or_b64 exec, exec, s[6:7]
	s_nop 0
	v_mfma_f32_16x16x4f32 a[0:3], v2, v4, a[0:3]
	s_movk_i32 s4, 0xff
	v_and_b32_sdwa v3, v9, s4 dst_sel:DWORD dst_unused:UNUSED_PAD src0_sel:WORD_1 src1_sel:DWORD
	s_movk_i32 s4, 0x7f
	v_cmp_lt_i16_e32 vcc, s4, v3
	s_mov_b64 s[4:5], 0
                                        ; implicit-def: $sgpr10
	s_and_saveexec_b64 s[6:7], vcc
	s_xor_b64 s[6:7], exec, s[6:7]
	s_cbranch_execnz .LBB32_3569
; %bb.1521:
	s_or_saveexec_b64 s[6:7], s[6:7]
	v_mov_b32_e32 v2, s10
	s_xor_b64 exec, exec, s[6:7]
	s_cbranch_execnz .LBB32_3572
.LBB32_1522:
	s_or_b64 exec, exec, s[6:7]
	s_and_saveexec_b64 s[6:7], s[4:5]
	s_cbranch_execz .LBB32_1524
.LBB32_1523:
	v_bfe_u32 v2, v9, 16, 3
	v_ffbh_u32_e32 v6, v2
	v_min_u32_e32 v6, 32, v6
	v_lshrrev_b32_e32 v3, 19, v9
	v_subrev_u32_e32 v7, 28, v6
	v_and_b32_e32 v3, 15, v3
	v_lshlrev_b32_sdwa v7, v7, v9 dst_sel:DWORD dst_unused:UNUSED_PAD src0_sel:DWORD src1_sel:WORD_1
	v_bfe_u32 v4, v9, 19, 4
	v_sub_u32_e32 v6, 29, v6
	v_and_b32_e32 v7, 7, v7
	v_cmp_eq_u16_e32 vcc, 0, v3
	v_cndmask_b32_e32 v2, v2, v7, vcc
	v_cndmask_b32_e32 v3, v4, v6, vcc
	v_lshlrev_b32_e32 v4, 8, v9
	v_mov_b32_e32 v6, 0x3b800000
	v_lshlrev_b32_e32 v2, 20, v2
	v_and_b32_e32 v4, 0x80000000, v4
	v_lshl_add_u32 v3, v3, 23, v6
	v_or3_b32 v2, v4, v3, v2
.LBB32_1524:
	s_or_b64 exec, exec, s[6:7]
	s_movk_i32 s4, 0xff
	v_and_b32_sdwa v3, v5, s4 dst_sel:DWORD dst_unused:UNUSED_PAD src0_sel:WORD_1 src1_sel:DWORD
	s_movk_i32 s4, 0x7f
	v_cmp_lt_i16_e32 vcc, s4, v3
	s_mov_b64 s[4:5], 0
                                        ; implicit-def: $sgpr10
	s_and_saveexec_b64 s[6:7], vcc
	s_xor_b64 s[6:7], exec, s[6:7]
	s_cbranch_execnz .LBB32_3573
; %bb.1525:
	s_or_saveexec_b64 s[6:7], s[6:7]
	v_mov_b32_e32 v4, s10
	s_xor_b64 exec, exec, s[6:7]
	s_cbranch_execnz .LBB32_3576
.LBB32_1526:
	s_or_b64 exec, exec, s[6:7]
	s_and_saveexec_b64 s[6:7], s[4:5]
	s_cbranch_execz .LBB32_1528
.LBB32_1527:
	v_bfe_u32 v3, v5, 16, 3
	v_ffbh_u32_e32 v7, v3
	v_min_u32_e32 v7, 32, v7
	v_lshrrev_b32_e32 v4, 19, v5
	v_subrev_u32_e32 v8, 28, v7
	v_and_b32_e32 v4, 15, v4
	v_lshlrev_b32_sdwa v8, v8, v5 dst_sel:DWORD dst_unused:UNUSED_PAD src0_sel:DWORD src1_sel:WORD_1
	v_bfe_u32 v6, v5, 19, 4
	v_sub_u32_e32 v7, 29, v7
	v_and_b32_e32 v8, 7, v8
	v_cmp_eq_u16_e32 vcc, 0, v4
	v_cndmask_b32_e32 v3, v3, v8, vcc
	v_cndmask_b32_e32 v4, v6, v7, vcc
	v_lshlrev_b32_e32 v6, 8, v5
	v_mov_b32_e32 v7, 0x3b800000
	v_lshlrev_b32_e32 v3, 20, v3
	v_and_b32_e32 v6, 0x80000000, v6
	v_lshl_add_u32 v4, v4, 23, v7
	v_or3_b32 v4, v6, v4, v3
.LBB32_1528:
	s_or_b64 exec, exec, s[6:7]
	s_nop 0
	v_mfma_f32_16x16x4f32 a[0:3], v2, v4, a[0:3]
	s_movk_i32 s4, 0x7f
	v_cmp_gt_i16_sdwa s[6:7], v9, s4 src0_sel:BYTE_3 src1_sel:DWORD
	s_mov_b64 s[4:5], 0
                                        ; implicit-def: $sgpr10
	s_and_saveexec_b64 s[8:9], s[6:7]
	s_xor_b64 s[6:7], exec, s[8:9]
	s_cbranch_execnz .LBB32_3577
; %bb.1529:
	s_or_saveexec_b64 s[6:7], s[6:7]
	v_mov_b32_e32 v2, s10
	s_xor_b64 exec, exec, s[6:7]
	s_cbranch_execnz .LBB32_3580
.LBB32_1530:
	s_or_b64 exec, exec, s[6:7]
	s_and_saveexec_b64 s[6:7], s[4:5]
	s_cbranch_execz .LBB32_1532
.LBB32_1531:
	v_bfe_u32 v2, v9, 24, 3
	v_ffbh_u32_e32 v7, v2
	v_min_u32_e32 v7, 32, v7
	v_lshrrev_b32_e32 v4, 27, v9
	v_subrev_u32_e32 v8, 28, v7
	v_and_b32_e32 v4, 15, v4
	v_lshlrev_b32_sdwa v8, v8, v9 dst_sel:DWORD dst_unused:UNUSED_PAD src0_sel:DWORD src1_sel:BYTE_3
	v_bfe_u32 v6, v9, 27, 4
	v_sub_u32_e32 v7, 29, v7
	v_and_b32_e32 v8, 7, v8
	v_cmp_eq_u16_e32 vcc, 0, v4
	v_cndmask_b32_e32 v2, v2, v8, vcc
	v_cndmask_b32_e32 v4, v6, v7, vcc
	v_mov_b32_e32 v6, 0x3b800000
	v_and_b32_e32 v3, 0x80000000, v9
	v_lshlrev_b32_e32 v2, 20, v2
	v_lshl_add_u32 v4, v4, 23, v6
	v_or3_b32 v2, v3, v4, v2
.LBB32_1532:
	s_or_b64 exec, exec, s[6:7]
	s_movk_i32 s4, 0x7f
	v_cmp_gt_i16_sdwa s[6:7], v5, s4 src0_sel:BYTE_3 src1_sel:DWORD
	s_mov_b64 s[4:5], 0
                                        ; implicit-def: $sgpr10
	s_and_saveexec_b64 s[8:9], s[6:7]
	s_xor_b64 s[6:7], exec, s[8:9]
	s_cbranch_execnz .LBB32_3581
; %bb.1533:
	s_or_saveexec_b64 s[6:7], s[6:7]
	v_mov_b32_e32 v3, s10
	s_xor_b64 exec, exec, s[6:7]
	s_cbranch_execnz .LBB32_3584
.LBB32_1534:
	s_or_b64 exec, exec, s[6:7]
	s_and_saveexec_b64 s[6:7], s[4:5]
	s_cbranch_execz .LBB32_1536
.LBB32_1535:
	v_bfe_u32 v3, v5, 24, 3
	v_ffbh_u32_e32 v8, v3
	v_min_u32_e32 v8, 32, v8
	v_lshrrev_b32_e32 v6, 27, v5
	v_subrev_u32_e32 v9, 28, v8
	v_and_b32_e32 v4, 0x80000000, v5
	v_and_b32_e32 v6, 15, v6
	v_bfe_u32 v7, v5, 27, 4
	v_lshlrev_b32_sdwa v5, v9, v5 dst_sel:DWORD dst_unused:UNUSED_PAD src0_sel:DWORD src1_sel:BYTE_3
	v_sub_u32_e32 v8, 29, v8
	v_and_b32_e32 v5, 7, v5
	v_cmp_eq_u16_e32 vcc, 0, v6
	v_cndmask_b32_e32 v3, v3, v5, vcc
	v_cndmask_b32_e32 v5, v7, v8, vcc
	v_mov_b32_e32 v6, 0x3b800000
	v_lshlrev_b32_e32 v3, 20, v3
	v_lshl_add_u32 v5, v5, 23, v6
	v_or3_b32 v3, v4, v5, v3
.LBB32_1536:
	s_or_b64 exec, exec, s[6:7]
	s_nop 0
	v_mfma_f32_16x16x4f32 a[0:3], v2, v3, a[0:3]
	s_movk_i32 s4, 0x7f
                                        ; implicit-def: $sgpr10
	s_nop 7
	s_nop 1
	flat_store_dwordx4 v[18:19], a[0:3] offset:592
	flat_load_dwordx4 v[20:23], v[0:1] offset:16
	s_nop 0
	flat_load_dwordx2 v[18:19], v[0:1] offset:32
	s_waitcnt vmcnt(0) lgkmcnt(0)
	flat_load_dwordx4 v[14:17], v[20:21]
	flat_load_dwordx4 v[6:9], v[20:21] offset:16
	flat_load_dwordx4 v[10:13], v[22:23] offset:192
	;; [unrolled: 1-line block ×3, first 2 shown]
	s_waitcnt vmcnt(0) lgkmcnt(0)
	v_cmp_gt_i16_sdwa s[6:7], v14, s4 src0_sel:BYTE_0 src1_sel:DWORD
	s_mov_b64 s[4:5], 0
	s_and_saveexec_b64 s[8:9], s[6:7]
	s_xor_b64 s[6:7], exec, s[8:9]
	s_cbranch_execnz .LBB32_3585
; %bb.1537:
	s_or_saveexec_b64 s[6:7], s[6:7]
	v_mov_b32_e32 v20, s10
	s_xor_b64 exec, exec, s[6:7]
	s_cbranch_execnz .LBB32_3588
.LBB32_1538:
	s_or_b64 exec, exec, s[6:7]
	s_and_saveexec_b64 s[6:7], s[4:5]
	s_cbranch_execz .LBB32_1540
.LBB32_1539:
	v_and_b32_e32 v20, 7, v14
	v_ffbh_u32_e32 v22, v20
	v_min_u32_e32 v22, 32, v22
	v_lshrrev_b16_e32 v21, 3, v14
	v_subrev_u32_e32 v23, 28, v22
	v_and_b32_e32 v21, 15, v21
	v_lshlrev_b32_e32 v23, v23, v14
	v_sub_u32_e32 v22, 29, v22
	v_and_b32_e32 v23, 7, v23
	v_cmp_eq_u16_e32 vcc, 0, v21
	v_cndmask_b32_e32 v20, v20, v23, vcc
	v_cndmask_b32_e32 v21, v21, v22, vcc
	v_lshlrev_b32_e32 v22, 24, v14
	v_mov_b32_e32 v23, 0x3b800000
	v_lshlrev_b32_e32 v20, 20, v20
	v_and_b32_e32 v22, 0x80000000, v22
	v_lshl_add_u32 v21, v21, 23, v23
	v_or3_b32 v20, v22, v21, v20
.LBB32_1540:
	s_or_b64 exec, exec, s[6:7]
	s_movk_i32 s4, 0x7f
	v_cmp_gt_i16_sdwa s[6:7], v10, s4 src0_sel:BYTE_0 src1_sel:DWORD
	s_mov_b64 s[4:5], 0
                                        ; implicit-def: $sgpr10
	s_and_saveexec_b64 s[8:9], s[6:7]
	s_xor_b64 s[6:7], exec, s[8:9]
	s_cbranch_execnz .LBB32_3589
; %bb.1541:
	s_or_saveexec_b64 s[6:7], s[6:7]
	v_mov_b32_e32 v21, s10
	s_xor_b64 exec, exec, s[6:7]
	s_cbranch_execnz .LBB32_3592
.LBB32_1542:
	s_or_b64 exec, exec, s[6:7]
	s_and_saveexec_b64 s[6:7], s[4:5]
	s_cbranch_execz .LBB32_1544
.LBB32_1543:
	v_and_b32_e32 v21, 7, v10
	v_ffbh_u32_e32 v23, v21
	v_min_u32_e32 v23, 32, v23
	v_lshrrev_b16_e32 v22, 3, v10
	v_subrev_u32_e32 v24, 28, v23
	v_and_b32_e32 v22, 15, v22
	v_lshlrev_b32_e32 v24, v24, v10
	v_sub_u32_e32 v23, 29, v23
	v_and_b32_e32 v24, 7, v24
	v_cmp_eq_u16_e32 vcc, 0, v22
	v_cndmask_b32_e32 v21, v21, v24, vcc
	v_cndmask_b32_e32 v22, v22, v23, vcc
	v_lshlrev_b32_e32 v23, 24, v10
	v_mov_b32_e32 v24, 0x3b800000
	v_lshlrev_b32_e32 v21, 20, v21
	v_and_b32_e32 v23, 0x80000000, v23
	v_lshl_add_u32 v22, v22, 23, v24
	v_or3_b32 v21, v23, v22, v21
.LBB32_1544:
	s_or_b64 exec, exec, s[6:7]
	flat_load_dwordx4 a[0:3], v[18:19] offset:608
	s_movk_i32 s4, 0x7f
                                        ; implicit-def: $sgpr10
	s_waitcnt vmcnt(0) lgkmcnt(0)
	v_mfma_f32_16x16x4f32 a[0:3], v20, v21, a[0:3]
	v_lshrrev_b32_e32 v21, 8, v14
	v_cmp_gt_i16_sdwa s[6:7], v21, s4 src0_sel:BYTE_0 src1_sel:DWORD
	s_mov_b64 s[4:5], 0
	s_and_saveexec_b64 s[8:9], s[6:7]
	s_xor_b64 s[6:7], exec, s[8:9]
	s_cbranch_execnz .LBB32_3593
; %bb.1545:
	s_or_saveexec_b64 s[6:7], s[6:7]
	v_mov_b32_e32 v20, s10
	s_xor_b64 exec, exec, s[6:7]
	s_cbranch_execnz .LBB32_3596
.LBB32_1546:
	s_or_b64 exec, exec, s[6:7]
	s_and_saveexec_b64 s[6:7], s[4:5]
	s_cbranch_execz .LBB32_1548
.LBB32_1547:
	v_bfe_u32 v20, v14, 8, 3
	v_ffbh_u32_e32 v23, v20
	v_min_u32_e32 v23, 32, v23
	v_lshrrev_b16_e32 v22, 3, v21
	v_subrev_u32_e32 v24, 28, v23
	v_and_b32_e32 v22, 15, v22
	v_lshlrev_b32_e32 v21, v24, v21
	v_sub_u32_e32 v23, 29, v23
	v_and_b32_e32 v21, 7, v21
	v_cmp_eq_u16_e32 vcc, 0, v22
	v_cndmask_b32_e32 v20, v20, v21, vcc
	v_cndmask_b32_e32 v21, v22, v23, vcc
	v_lshlrev_b32_e32 v22, 16, v14
	v_mov_b32_e32 v23, 0x3b800000
	v_lshlrev_b32_e32 v20, 20, v20
	v_and_b32_e32 v22, 0x80000000, v22
	v_lshl_add_u32 v21, v21, 23, v23
	v_or3_b32 v20, v22, v21, v20
.LBB32_1548:
	s_or_b64 exec, exec, s[6:7]
	v_lshrrev_b32_e32 v21, 8, v10
	s_movk_i32 s4, 0x7f
	v_cmp_gt_i16_sdwa s[6:7], v21, s4 src0_sel:BYTE_0 src1_sel:DWORD
	s_mov_b64 s[4:5], 0
                                        ; implicit-def: $sgpr10
	s_and_saveexec_b64 s[8:9], s[6:7]
	s_xor_b64 s[6:7], exec, s[8:9]
	s_cbranch_execnz .LBB32_3597
; %bb.1549:
	s_or_saveexec_b64 s[6:7], s[6:7]
	v_mov_b32_e32 v22, s10
	s_xor_b64 exec, exec, s[6:7]
	s_cbranch_execnz .LBB32_3600
.LBB32_1550:
	s_or_b64 exec, exec, s[6:7]
	s_and_saveexec_b64 s[6:7], s[4:5]
	s_cbranch_execz .LBB32_1552
.LBB32_1551:
	v_bfe_u32 v22, v10, 8, 3
	v_ffbh_u32_e32 v24, v22
	v_min_u32_e32 v24, 32, v24
	v_lshrrev_b16_e32 v23, 3, v21
	v_subrev_u32_e32 v25, 28, v24
	v_and_b32_e32 v23, 15, v23
	v_lshlrev_b32_e32 v21, v25, v21
	v_sub_u32_e32 v24, 29, v24
	v_and_b32_e32 v21, 7, v21
	v_cmp_eq_u16_e32 vcc, 0, v23
	v_cndmask_b32_e32 v21, v22, v21, vcc
	v_cndmask_b32_e32 v22, v23, v24, vcc
	v_lshlrev_b32_e32 v23, 16, v10
	v_mov_b32_e32 v24, 0x3b800000
	v_lshlrev_b32_e32 v21, 20, v21
	v_and_b32_e32 v23, 0x80000000, v23
	v_lshl_add_u32 v22, v22, 23, v24
	v_or3_b32 v22, v23, v22, v21
.LBB32_1552:
	s_or_b64 exec, exec, s[6:7]
	s_nop 0
	v_mfma_f32_16x16x4f32 a[0:3], v20, v22, a[0:3]
	s_movk_i32 s4, 0xff
	v_and_b32_sdwa v21, v14, s4 dst_sel:DWORD dst_unused:UNUSED_PAD src0_sel:WORD_1 src1_sel:DWORD
	s_movk_i32 s4, 0x7f
	v_cmp_lt_i16_e32 vcc, s4, v21
	s_mov_b64 s[4:5], 0
                                        ; implicit-def: $sgpr10
	s_and_saveexec_b64 s[6:7], vcc
	s_xor_b64 s[6:7], exec, s[6:7]
	s_cbranch_execnz .LBB32_3601
; %bb.1553:
	s_or_saveexec_b64 s[6:7], s[6:7]
	v_mov_b32_e32 v20, s10
	s_xor_b64 exec, exec, s[6:7]
	s_cbranch_execnz .LBB32_3604
.LBB32_1554:
	s_or_b64 exec, exec, s[6:7]
	s_and_saveexec_b64 s[6:7], s[4:5]
	s_cbranch_execz .LBB32_1556
.LBB32_1555:
	v_bfe_u32 v20, v14, 16, 3
	v_ffbh_u32_e32 v23, v20
	v_min_u32_e32 v23, 32, v23
	v_lshrrev_b32_e32 v21, 19, v14
	v_subrev_u32_e32 v24, 28, v23
	v_and_b32_e32 v21, 15, v21
	v_lshlrev_b32_sdwa v24, v24, v14 dst_sel:DWORD dst_unused:UNUSED_PAD src0_sel:DWORD src1_sel:WORD_1
	v_bfe_u32 v22, v14, 19, 4
	v_sub_u32_e32 v23, 29, v23
	v_and_b32_e32 v24, 7, v24
	v_cmp_eq_u16_e32 vcc, 0, v21
	v_cndmask_b32_e32 v20, v20, v24, vcc
	v_cndmask_b32_e32 v21, v22, v23, vcc
	v_lshlrev_b32_e32 v22, 8, v14
	v_mov_b32_e32 v23, 0x3b800000
	v_lshlrev_b32_e32 v20, 20, v20
	v_and_b32_e32 v22, 0x80000000, v22
	v_lshl_add_u32 v21, v21, 23, v23
	v_or3_b32 v20, v22, v21, v20
.LBB32_1556:
	s_or_b64 exec, exec, s[6:7]
	s_movk_i32 s4, 0xff
	v_and_b32_sdwa v21, v10, s4 dst_sel:DWORD dst_unused:UNUSED_PAD src0_sel:WORD_1 src1_sel:DWORD
	s_movk_i32 s4, 0x7f
	v_cmp_lt_i16_e32 vcc, s4, v21
	s_mov_b64 s[4:5], 0
                                        ; implicit-def: $sgpr10
	s_and_saveexec_b64 s[6:7], vcc
	s_xor_b64 s[6:7], exec, s[6:7]
	s_cbranch_execnz .LBB32_3605
; %bb.1557:
	s_or_saveexec_b64 s[6:7], s[6:7]
	v_mov_b32_e32 v22, s10
	s_xor_b64 exec, exec, s[6:7]
	s_cbranch_execnz .LBB32_3608
.LBB32_1558:
	s_or_b64 exec, exec, s[6:7]
	s_and_saveexec_b64 s[6:7], s[4:5]
	s_cbranch_execz .LBB32_1560
.LBB32_1559:
	v_bfe_u32 v21, v10, 16, 3
	v_ffbh_u32_e32 v24, v21
	v_min_u32_e32 v24, 32, v24
	v_lshrrev_b32_e32 v22, 19, v10
	v_subrev_u32_e32 v25, 28, v24
	v_and_b32_e32 v22, 15, v22
	v_lshlrev_b32_sdwa v25, v25, v10 dst_sel:DWORD dst_unused:UNUSED_PAD src0_sel:DWORD src1_sel:WORD_1
	v_bfe_u32 v23, v10, 19, 4
	v_sub_u32_e32 v24, 29, v24
	v_and_b32_e32 v25, 7, v25
	v_cmp_eq_u16_e32 vcc, 0, v22
	v_cndmask_b32_e32 v21, v21, v25, vcc
	v_cndmask_b32_e32 v22, v23, v24, vcc
	v_lshlrev_b32_e32 v23, 8, v10
	v_mov_b32_e32 v24, 0x3b800000
	v_lshlrev_b32_e32 v21, 20, v21
	v_and_b32_e32 v23, 0x80000000, v23
	v_lshl_add_u32 v22, v22, 23, v24
	v_or3_b32 v22, v23, v22, v21
.LBB32_1560:
	s_or_b64 exec, exec, s[6:7]
	s_nop 0
	v_mfma_f32_16x16x4f32 a[0:3], v20, v22, a[0:3]
	s_movk_i32 s4, 0x7f
	v_cmp_gt_i16_sdwa s[6:7], v14, s4 src0_sel:BYTE_3 src1_sel:DWORD
	s_mov_b64 s[4:5], 0
                                        ; implicit-def: $sgpr10
	s_and_saveexec_b64 s[8:9], s[6:7]
	s_xor_b64 s[6:7], exec, s[8:9]
	s_cbranch_execnz .LBB32_3609
; %bb.1561:
	s_or_saveexec_b64 s[6:7], s[6:7]
	v_mov_b32_e32 v20, s10
	s_xor_b64 exec, exec, s[6:7]
	s_cbranch_execnz .LBB32_3612
.LBB32_1562:
	s_or_b64 exec, exec, s[6:7]
	s_and_saveexec_b64 s[6:7], s[4:5]
	s_cbranch_execz .LBB32_1564
.LBB32_1563:
	v_bfe_u32 v20, v14, 24, 3
	v_ffbh_u32_e32 v24, v20
	v_min_u32_e32 v24, 32, v24
	v_lshrrev_b32_e32 v22, 27, v14
	v_subrev_u32_e32 v25, 28, v24
	v_and_b32_e32 v21, 0x80000000, v14
	v_and_b32_e32 v22, 15, v22
	v_bfe_u32 v23, v14, 27, 4
	v_lshlrev_b32_sdwa v14, v25, v14 dst_sel:DWORD dst_unused:UNUSED_PAD src0_sel:DWORD src1_sel:BYTE_3
	v_sub_u32_e32 v24, 29, v24
	v_and_b32_e32 v14, 7, v14
	v_cmp_eq_u16_e32 vcc, 0, v22
	v_cndmask_b32_e32 v14, v20, v14, vcc
	v_cndmask_b32_e32 v20, v23, v24, vcc
	v_mov_b32_e32 v22, 0x3b800000
	v_lshlrev_b32_e32 v14, 20, v14
	v_lshl_add_u32 v20, v20, 23, v22
	v_or3_b32 v20, v21, v20, v14
.LBB32_1564:
	s_or_b64 exec, exec, s[6:7]
	s_movk_i32 s4, 0x7f
	v_cmp_gt_i16_sdwa s[6:7], v10, s4 src0_sel:BYTE_3 src1_sel:DWORD
	s_mov_b64 s[4:5], 0
                                        ; implicit-def: $sgpr10
	s_and_saveexec_b64 s[8:9], s[6:7]
	s_xor_b64 s[6:7], exec, s[8:9]
	s_cbranch_execnz .LBB32_3613
; %bb.1565:
	s_or_saveexec_b64 s[6:7], s[6:7]
	v_mov_b32_e32 v14, s10
	s_xor_b64 exec, exec, s[6:7]
	s_cbranch_execnz .LBB32_3616
.LBB32_1566:
	s_or_b64 exec, exec, s[6:7]
	s_and_saveexec_b64 s[6:7], s[4:5]
	s_cbranch_execz .LBB32_1568
.LBB32_1567:
	v_bfe_u32 v14, v10, 24, 3
	v_ffbh_u32_e32 v24, v14
	v_min_u32_e32 v24, 32, v24
	v_lshrrev_b32_e32 v22, 27, v10
	v_subrev_u32_e32 v25, 28, v24
	v_and_b32_e32 v21, 0x80000000, v10
	v_and_b32_e32 v22, 15, v22
	v_bfe_u32 v23, v10, 27, 4
	v_lshlrev_b32_sdwa v10, v25, v10 dst_sel:DWORD dst_unused:UNUSED_PAD src0_sel:DWORD src1_sel:BYTE_3
	v_sub_u32_e32 v24, 29, v24
	v_and_b32_e32 v10, 7, v10
	v_cmp_eq_u16_e32 vcc, 0, v22
	v_cndmask_b32_e32 v10, v14, v10, vcc
	v_cndmask_b32_e32 v14, v23, v24, vcc
	v_mov_b32_e32 v22, 0x3b800000
	v_lshlrev_b32_e32 v10, 20, v10
	v_lshl_add_u32 v14, v14, 23, v22
	v_or3_b32 v14, v21, v14, v10
.LBB32_1568:
	s_or_b64 exec, exec, s[6:7]
	s_nop 0
	v_mfma_f32_16x16x4f32 a[0:3], v20, v14, a[0:3]
	s_movk_i32 s4, 0x7f
	v_cmp_gt_i16_sdwa s[6:7], v15, s4 src0_sel:BYTE_0 src1_sel:DWORD
	s_mov_b64 s[4:5], 0
                                        ; implicit-def: $sgpr10
	s_and_saveexec_b64 s[8:9], s[6:7]
	s_xor_b64 s[6:7], exec, s[8:9]
	s_cbranch_execnz .LBB32_3617
; %bb.1569:
	s_or_saveexec_b64 s[6:7], s[6:7]
	v_mov_b32_e32 v10, s10
	s_xor_b64 exec, exec, s[6:7]
	s_cbranch_execnz .LBB32_3620
.LBB32_1570:
	s_or_b64 exec, exec, s[6:7]
	s_and_saveexec_b64 s[6:7], s[4:5]
	s_cbranch_execz .LBB32_1572
.LBB32_1571:
	v_and_b32_e32 v10, 7, v15
	v_ffbh_u32_e32 v20, v10
	v_min_u32_e32 v20, 32, v20
	v_lshrrev_b16_e32 v14, 3, v15
	v_subrev_u32_e32 v21, 28, v20
	v_and_b32_e32 v14, 15, v14
	v_lshlrev_b32_e32 v21, v21, v15
	v_sub_u32_e32 v20, 29, v20
	v_and_b32_e32 v21, 7, v21
	v_cmp_eq_u16_e32 vcc, 0, v14
	v_cndmask_b32_e32 v10, v10, v21, vcc
	v_cndmask_b32_e32 v14, v14, v20, vcc
	v_lshlrev_b32_e32 v20, 24, v15
	v_mov_b32_e32 v21, 0x3b800000
	v_lshlrev_b32_e32 v10, 20, v10
	v_and_b32_e32 v20, 0x80000000, v20
	v_lshl_add_u32 v14, v14, 23, v21
	v_or3_b32 v10, v20, v14, v10
.LBB32_1572:
	s_or_b64 exec, exec, s[6:7]
	s_movk_i32 s4, 0x7f
	v_cmp_gt_i16_sdwa s[6:7], v11, s4 src0_sel:BYTE_0 src1_sel:DWORD
	s_mov_b64 s[4:5], 0
                                        ; implicit-def: $sgpr10
	s_and_saveexec_b64 s[8:9], s[6:7]
	s_xor_b64 s[6:7], exec, s[8:9]
	s_cbranch_execnz .LBB32_3621
; %bb.1573:
	s_or_saveexec_b64 s[6:7], s[6:7]
	v_mov_b32_e32 v14, s10
	s_xor_b64 exec, exec, s[6:7]
	s_cbranch_execnz .LBB32_3624
.LBB32_1574:
	s_or_b64 exec, exec, s[6:7]
	s_and_saveexec_b64 s[6:7], s[4:5]
	s_cbranch_execz .LBB32_1576
.LBB32_1575:
	v_and_b32_e32 v14, 7, v11
	v_ffbh_u32_e32 v21, v14
	v_min_u32_e32 v21, 32, v21
	v_lshrrev_b16_e32 v20, 3, v11
	v_subrev_u32_e32 v22, 28, v21
	v_and_b32_e32 v20, 15, v20
	v_lshlrev_b32_e32 v22, v22, v11
	v_sub_u32_e32 v21, 29, v21
	v_and_b32_e32 v22, 7, v22
	v_cmp_eq_u16_e32 vcc, 0, v20
	v_cndmask_b32_e32 v14, v14, v22, vcc
	v_cndmask_b32_e32 v20, v20, v21, vcc
	v_lshlrev_b32_e32 v21, 24, v11
	v_mov_b32_e32 v22, 0x3b800000
	v_lshlrev_b32_e32 v14, 20, v14
	v_and_b32_e32 v21, 0x80000000, v21
	v_lshl_add_u32 v20, v20, 23, v22
	v_or3_b32 v14, v21, v20, v14
.LBB32_1576:
	s_or_b64 exec, exec, s[6:7]
	s_nop 0
	v_mfma_f32_16x16x4f32 a[0:3], v10, v14, a[0:3]
	v_lshrrev_b32_e32 v14, 8, v15
	s_movk_i32 s4, 0x7f
	v_cmp_gt_i16_sdwa s[6:7], v14, s4 src0_sel:BYTE_0 src1_sel:DWORD
	s_mov_b64 s[4:5], 0
                                        ; implicit-def: $sgpr10
	s_and_saveexec_b64 s[8:9], s[6:7]
	s_xor_b64 s[6:7], exec, s[8:9]
	s_cbranch_execnz .LBB32_3625
; %bb.1577:
	s_or_saveexec_b64 s[6:7], s[6:7]
	v_mov_b32_e32 v10, s10
	s_xor_b64 exec, exec, s[6:7]
	s_cbranch_execnz .LBB32_3628
.LBB32_1578:
	s_or_b64 exec, exec, s[6:7]
	s_and_saveexec_b64 s[6:7], s[4:5]
	s_cbranch_execz .LBB32_1580
.LBB32_1579:
	v_bfe_u32 v10, v15, 8, 3
	v_ffbh_u32_e32 v21, v10
	v_min_u32_e32 v21, 32, v21
	v_lshrrev_b16_e32 v20, 3, v14
	v_subrev_u32_e32 v22, 28, v21
	v_and_b32_e32 v20, 15, v20
	v_lshlrev_b32_e32 v14, v22, v14
	v_sub_u32_e32 v21, 29, v21
	v_and_b32_e32 v14, 7, v14
	v_cmp_eq_u16_e32 vcc, 0, v20
	v_cndmask_b32_e32 v10, v10, v14, vcc
	v_cndmask_b32_e32 v14, v20, v21, vcc
	v_lshlrev_b32_e32 v20, 16, v15
	v_mov_b32_e32 v21, 0x3b800000
	v_lshlrev_b32_e32 v10, 20, v10
	v_and_b32_e32 v20, 0x80000000, v20
	v_lshl_add_u32 v14, v14, 23, v21
	v_or3_b32 v10, v20, v14, v10
.LBB32_1580:
	s_or_b64 exec, exec, s[6:7]
	v_lshrrev_b32_e32 v14, 8, v11
	s_movk_i32 s4, 0x7f
	v_cmp_gt_i16_sdwa s[6:7], v14, s4 src0_sel:BYTE_0 src1_sel:DWORD
	s_mov_b64 s[4:5], 0
                                        ; implicit-def: $sgpr10
	s_and_saveexec_b64 s[8:9], s[6:7]
	s_xor_b64 s[6:7], exec, s[8:9]
	s_cbranch_execnz .LBB32_3629
; %bb.1581:
	s_or_saveexec_b64 s[6:7], s[6:7]
	v_mov_b32_e32 v20, s10
	s_xor_b64 exec, exec, s[6:7]
	s_cbranch_execnz .LBB32_3632
.LBB32_1582:
	s_or_b64 exec, exec, s[6:7]
	s_and_saveexec_b64 s[6:7], s[4:5]
	s_cbranch_execz .LBB32_1584
.LBB32_1583:
	v_bfe_u32 v20, v11, 8, 3
	v_ffbh_u32_e32 v22, v20
	v_min_u32_e32 v22, 32, v22
	v_lshrrev_b16_e32 v21, 3, v14
	v_subrev_u32_e32 v23, 28, v22
	v_and_b32_e32 v21, 15, v21
	v_lshlrev_b32_e32 v14, v23, v14
	v_sub_u32_e32 v22, 29, v22
	v_and_b32_e32 v14, 7, v14
	v_cmp_eq_u16_e32 vcc, 0, v21
	v_cndmask_b32_e32 v14, v20, v14, vcc
	v_cndmask_b32_e32 v20, v21, v22, vcc
	v_lshlrev_b32_e32 v21, 16, v11
	v_mov_b32_e32 v22, 0x3b800000
	v_lshlrev_b32_e32 v14, 20, v14
	v_and_b32_e32 v21, 0x80000000, v21
	v_lshl_add_u32 v20, v20, 23, v22
	v_or3_b32 v20, v21, v20, v14
.LBB32_1584:
	s_or_b64 exec, exec, s[6:7]
	s_nop 0
	v_mfma_f32_16x16x4f32 a[0:3], v10, v20, a[0:3]
	s_movk_i32 s4, 0xff
	v_and_b32_sdwa v14, v15, s4 dst_sel:DWORD dst_unused:UNUSED_PAD src0_sel:WORD_1 src1_sel:DWORD
	s_movk_i32 s4, 0x7f
	v_cmp_lt_i16_e32 vcc, s4, v14
	s_mov_b64 s[4:5], 0
                                        ; implicit-def: $sgpr10
	s_and_saveexec_b64 s[6:7], vcc
	s_xor_b64 s[6:7], exec, s[6:7]
	s_cbranch_execnz .LBB32_3633
; %bb.1585:
	s_or_saveexec_b64 s[6:7], s[6:7]
	v_mov_b32_e32 v10, s10
	s_xor_b64 exec, exec, s[6:7]
	s_cbranch_execnz .LBB32_3636
.LBB32_1586:
	s_or_b64 exec, exec, s[6:7]
	s_and_saveexec_b64 s[6:7], s[4:5]
	s_cbranch_execz .LBB32_1588
.LBB32_1587:
	v_bfe_u32 v10, v15, 16, 3
	v_ffbh_u32_e32 v21, v10
	v_min_u32_e32 v21, 32, v21
	v_lshrrev_b32_e32 v14, 19, v15
	v_subrev_u32_e32 v22, 28, v21
	v_and_b32_e32 v14, 15, v14
	v_lshlrev_b32_sdwa v22, v22, v15 dst_sel:DWORD dst_unused:UNUSED_PAD src0_sel:DWORD src1_sel:WORD_1
	v_bfe_u32 v20, v15, 19, 4
	v_sub_u32_e32 v21, 29, v21
	v_and_b32_e32 v22, 7, v22
	v_cmp_eq_u16_e32 vcc, 0, v14
	v_cndmask_b32_e32 v10, v10, v22, vcc
	v_cndmask_b32_e32 v14, v20, v21, vcc
	v_lshlrev_b32_e32 v20, 8, v15
	v_mov_b32_e32 v21, 0x3b800000
	v_lshlrev_b32_e32 v10, 20, v10
	v_and_b32_e32 v20, 0x80000000, v20
	v_lshl_add_u32 v14, v14, 23, v21
	v_or3_b32 v10, v20, v14, v10
.LBB32_1588:
	s_or_b64 exec, exec, s[6:7]
	s_movk_i32 s4, 0xff
	v_and_b32_sdwa v14, v11, s4 dst_sel:DWORD dst_unused:UNUSED_PAD src0_sel:WORD_1 src1_sel:DWORD
	s_movk_i32 s4, 0x7f
	v_cmp_lt_i16_e32 vcc, s4, v14
	s_mov_b64 s[4:5], 0
                                        ; implicit-def: $sgpr10
	s_and_saveexec_b64 s[6:7], vcc
	s_xor_b64 s[6:7], exec, s[6:7]
	s_cbranch_execnz .LBB32_3637
; %bb.1589:
	s_or_saveexec_b64 s[6:7], s[6:7]
	v_mov_b32_e32 v20, s10
	s_xor_b64 exec, exec, s[6:7]
	s_cbranch_execnz .LBB32_3640
.LBB32_1590:
	s_or_b64 exec, exec, s[6:7]
	s_and_saveexec_b64 s[6:7], s[4:5]
	s_cbranch_execz .LBB32_1592
.LBB32_1591:
	v_bfe_u32 v14, v11, 16, 3
	v_ffbh_u32_e32 v22, v14
	v_min_u32_e32 v22, 32, v22
	v_lshrrev_b32_e32 v20, 19, v11
	v_subrev_u32_e32 v23, 28, v22
	v_and_b32_e32 v20, 15, v20
	v_lshlrev_b32_sdwa v23, v23, v11 dst_sel:DWORD dst_unused:UNUSED_PAD src0_sel:DWORD src1_sel:WORD_1
	v_bfe_u32 v21, v11, 19, 4
	v_sub_u32_e32 v22, 29, v22
	v_and_b32_e32 v23, 7, v23
	v_cmp_eq_u16_e32 vcc, 0, v20
	v_cndmask_b32_e32 v14, v14, v23, vcc
	v_cndmask_b32_e32 v20, v21, v22, vcc
	v_lshlrev_b32_e32 v21, 8, v11
	v_mov_b32_e32 v22, 0x3b800000
	v_lshlrev_b32_e32 v14, 20, v14
	v_and_b32_e32 v21, 0x80000000, v21
	v_lshl_add_u32 v20, v20, 23, v22
	v_or3_b32 v20, v21, v20, v14
.LBB32_1592:
	s_or_b64 exec, exec, s[6:7]
	s_nop 0
	v_mfma_f32_16x16x4f32 a[0:3], v10, v20, a[0:3]
	s_movk_i32 s4, 0x7f
	v_cmp_gt_i16_sdwa s[6:7], v15, s4 src0_sel:BYTE_3 src1_sel:DWORD
	s_mov_b64 s[4:5], 0
                                        ; implicit-def: $sgpr10
	s_and_saveexec_b64 s[8:9], s[6:7]
	s_xor_b64 s[6:7], exec, s[8:9]
	s_cbranch_execnz .LBB32_3641
; %bb.1593:
	s_or_saveexec_b64 s[6:7], s[6:7]
	v_mov_b32_e32 v10, s10
	s_xor_b64 exec, exec, s[6:7]
	s_cbranch_execnz .LBB32_3644
.LBB32_1594:
	s_or_b64 exec, exec, s[6:7]
	s_and_saveexec_b64 s[6:7], s[4:5]
	s_cbranch_execz .LBB32_1596
.LBB32_1595:
	v_bfe_u32 v10, v15, 24, 3
	v_ffbh_u32_e32 v22, v10
	v_min_u32_e32 v22, 32, v22
	v_lshrrev_b32_e32 v20, 27, v15
	v_subrev_u32_e32 v23, 28, v22
	v_and_b32_e32 v14, 0x80000000, v15
	v_and_b32_e32 v20, 15, v20
	v_bfe_u32 v21, v15, 27, 4
	v_lshlrev_b32_sdwa v15, v23, v15 dst_sel:DWORD dst_unused:UNUSED_PAD src0_sel:DWORD src1_sel:BYTE_3
	v_sub_u32_e32 v22, 29, v22
	v_and_b32_e32 v15, 7, v15
	v_cmp_eq_u16_e32 vcc, 0, v20
	v_cndmask_b32_e32 v10, v10, v15, vcc
	v_cndmask_b32_e32 v15, v21, v22, vcc
	v_mov_b32_e32 v20, 0x3b800000
	v_lshlrev_b32_e32 v10, 20, v10
	v_lshl_add_u32 v15, v15, 23, v20
	v_or3_b32 v10, v14, v15, v10
.LBB32_1596:
	s_or_b64 exec, exec, s[6:7]
	s_movk_i32 s4, 0x7f
	v_cmp_gt_i16_sdwa s[6:7], v11, s4 src0_sel:BYTE_3 src1_sel:DWORD
	s_mov_b64 s[4:5], 0
                                        ; implicit-def: $sgpr10
	s_and_saveexec_b64 s[8:9], s[6:7]
	s_xor_b64 s[6:7], exec, s[8:9]
	s_cbranch_execnz .LBB32_3645
; %bb.1597:
	s_or_saveexec_b64 s[6:7], s[6:7]
	v_mov_b32_e32 v14, s10
	s_xor_b64 exec, exec, s[6:7]
	s_cbranch_execnz .LBB32_3648
.LBB32_1598:
	s_or_b64 exec, exec, s[6:7]
	s_and_saveexec_b64 s[6:7], s[4:5]
	s_cbranch_execz .LBB32_1600
.LBB32_1599:
	v_bfe_u32 v14, v11, 24, 3
	v_ffbh_u32_e32 v22, v14
	v_min_u32_e32 v22, 32, v22
	v_lshrrev_b32_e32 v20, 27, v11
	v_subrev_u32_e32 v23, 28, v22
	v_and_b32_e32 v15, 0x80000000, v11
	v_and_b32_e32 v20, 15, v20
	v_bfe_u32 v21, v11, 27, 4
	v_lshlrev_b32_sdwa v11, v23, v11 dst_sel:DWORD dst_unused:UNUSED_PAD src0_sel:DWORD src1_sel:BYTE_3
	v_sub_u32_e32 v22, 29, v22
	v_and_b32_e32 v11, 7, v11
	v_cmp_eq_u16_e32 vcc, 0, v20
	v_cndmask_b32_e32 v11, v14, v11, vcc
	v_cndmask_b32_e32 v14, v21, v22, vcc
	v_mov_b32_e32 v20, 0x3b800000
	v_lshlrev_b32_e32 v11, 20, v11
	v_lshl_add_u32 v14, v14, 23, v20
	v_or3_b32 v14, v15, v14, v11
.LBB32_1600:
	s_or_b64 exec, exec, s[6:7]
	s_nop 0
	v_mfma_f32_16x16x4f32 a[0:3], v10, v14, a[0:3]
	s_movk_i32 s4, 0x7f
	v_cmp_gt_i16_sdwa s[6:7], v16, s4 src0_sel:BYTE_0 src1_sel:DWORD
	s_mov_b64 s[4:5], 0
                                        ; implicit-def: $sgpr10
	s_and_saveexec_b64 s[8:9], s[6:7]
	s_xor_b64 s[6:7], exec, s[8:9]
	s_cbranch_execnz .LBB32_3649
; %bb.1601:
	s_or_saveexec_b64 s[6:7], s[6:7]
	v_mov_b32_e32 v10, s10
	s_xor_b64 exec, exec, s[6:7]
	s_cbranch_execnz .LBB32_3652
.LBB32_1602:
	s_or_b64 exec, exec, s[6:7]
	s_and_saveexec_b64 s[6:7], s[4:5]
	s_cbranch_execz .LBB32_1604
.LBB32_1603:
	v_and_b32_e32 v10, 7, v16
	v_ffbh_u32_e32 v14, v10
	v_min_u32_e32 v14, 32, v14
	v_lshrrev_b16_e32 v11, 3, v16
	v_subrev_u32_e32 v15, 28, v14
	v_and_b32_e32 v11, 15, v11
	v_lshlrev_b32_e32 v15, v15, v16
	v_sub_u32_e32 v14, 29, v14
	v_and_b32_e32 v15, 7, v15
	v_cmp_eq_u16_e32 vcc, 0, v11
	v_cndmask_b32_e32 v10, v10, v15, vcc
	v_cndmask_b32_e32 v11, v11, v14, vcc
	v_lshlrev_b32_e32 v14, 24, v16
	v_mov_b32_e32 v15, 0x3b800000
	v_lshlrev_b32_e32 v10, 20, v10
	v_and_b32_e32 v14, 0x80000000, v14
	v_lshl_add_u32 v11, v11, 23, v15
	v_or3_b32 v10, v14, v11, v10
.LBB32_1604:
	s_or_b64 exec, exec, s[6:7]
	s_movk_i32 s4, 0x7f
	v_cmp_gt_i16_sdwa s[6:7], v12, s4 src0_sel:BYTE_0 src1_sel:DWORD
	s_mov_b64 s[4:5], 0
                                        ; implicit-def: $sgpr10
	s_and_saveexec_b64 s[8:9], s[6:7]
	s_xor_b64 s[6:7], exec, s[8:9]
	s_cbranch_execnz .LBB32_3653
; %bb.1605:
	s_or_saveexec_b64 s[6:7], s[6:7]
	v_mov_b32_e32 v11, s10
	s_xor_b64 exec, exec, s[6:7]
	s_cbranch_execnz .LBB32_3656
.LBB32_1606:
	s_or_b64 exec, exec, s[6:7]
	s_and_saveexec_b64 s[6:7], s[4:5]
	s_cbranch_execz .LBB32_1608
.LBB32_1607:
	v_and_b32_e32 v11, 7, v12
	v_ffbh_u32_e32 v15, v11
	v_min_u32_e32 v15, 32, v15
	v_lshrrev_b16_e32 v14, 3, v12
	v_subrev_u32_e32 v20, 28, v15
	v_and_b32_e32 v14, 15, v14
	v_lshlrev_b32_e32 v20, v20, v12
	v_sub_u32_e32 v15, 29, v15
	v_and_b32_e32 v20, 7, v20
	v_cmp_eq_u16_e32 vcc, 0, v14
	v_cndmask_b32_e32 v11, v11, v20, vcc
	v_cndmask_b32_e32 v14, v14, v15, vcc
	v_lshlrev_b32_e32 v15, 24, v12
	v_mov_b32_e32 v20, 0x3b800000
	v_lshlrev_b32_e32 v11, 20, v11
	v_and_b32_e32 v15, 0x80000000, v15
	v_lshl_add_u32 v14, v14, 23, v20
	v_or3_b32 v11, v15, v14, v11
.LBB32_1608:
	s_or_b64 exec, exec, s[6:7]
	s_nop 0
	v_mfma_f32_16x16x4f32 a[0:3], v10, v11, a[0:3]
	v_lshrrev_b32_e32 v11, 8, v16
	s_movk_i32 s4, 0x7f
	v_cmp_gt_i16_sdwa s[6:7], v11, s4 src0_sel:BYTE_0 src1_sel:DWORD
	s_mov_b64 s[4:5], 0
                                        ; implicit-def: $sgpr10
	s_and_saveexec_b64 s[8:9], s[6:7]
	s_xor_b64 s[6:7], exec, s[8:9]
	s_cbranch_execnz .LBB32_3657
; %bb.1609:
	s_or_saveexec_b64 s[6:7], s[6:7]
	v_mov_b32_e32 v10, s10
	s_xor_b64 exec, exec, s[6:7]
	s_cbranch_execnz .LBB32_3660
.LBB32_1610:
	s_or_b64 exec, exec, s[6:7]
	s_and_saveexec_b64 s[6:7], s[4:5]
	s_cbranch_execz .LBB32_1612
.LBB32_1611:
	v_bfe_u32 v10, v16, 8, 3
	v_ffbh_u32_e32 v15, v10
	v_min_u32_e32 v15, 32, v15
	v_lshrrev_b16_e32 v14, 3, v11
	v_subrev_u32_e32 v20, 28, v15
	v_and_b32_e32 v14, 15, v14
	v_lshlrev_b32_e32 v11, v20, v11
	v_sub_u32_e32 v15, 29, v15
	v_and_b32_e32 v11, 7, v11
	v_cmp_eq_u16_e32 vcc, 0, v14
	v_cndmask_b32_e32 v10, v10, v11, vcc
	v_cndmask_b32_e32 v11, v14, v15, vcc
	v_lshlrev_b32_e32 v14, 16, v16
	v_mov_b32_e32 v15, 0x3b800000
	v_lshlrev_b32_e32 v10, 20, v10
	v_and_b32_e32 v14, 0x80000000, v14
	v_lshl_add_u32 v11, v11, 23, v15
	v_or3_b32 v10, v14, v11, v10
.LBB32_1612:
	s_or_b64 exec, exec, s[6:7]
	v_lshrrev_b32_e32 v11, 8, v12
	s_movk_i32 s4, 0x7f
	v_cmp_gt_i16_sdwa s[6:7], v11, s4 src0_sel:BYTE_0 src1_sel:DWORD
	s_mov_b64 s[4:5], 0
                                        ; implicit-def: $sgpr10
	s_and_saveexec_b64 s[8:9], s[6:7]
	s_xor_b64 s[6:7], exec, s[8:9]
	s_cbranch_execnz .LBB32_3661
; %bb.1613:
	s_or_saveexec_b64 s[6:7], s[6:7]
	v_mov_b32_e32 v14, s10
	s_xor_b64 exec, exec, s[6:7]
	s_cbranch_execnz .LBB32_3664
.LBB32_1614:
	s_or_b64 exec, exec, s[6:7]
	s_and_saveexec_b64 s[6:7], s[4:5]
	s_cbranch_execz .LBB32_1616
.LBB32_1615:
	v_bfe_u32 v14, v12, 8, 3
	v_ffbh_u32_e32 v20, v14
	v_min_u32_e32 v20, 32, v20
	v_lshrrev_b16_e32 v15, 3, v11
	v_subrev_u32_e32 v21, 28, v20
	v_and_b32_e32 v15, 15, v15
	v_lshlrev_b32_e32 v11, v21, v11
	v_sub_u32_e32 v20, 29, v20
	v_and_b32_e32 v11, 7, v11
	v_cmp_eq_u16_e32 vcc, 0, v15
	v_cndmask_b32_e32 v11, v14, v11, vcc
	v_cndmask_b32_e32 v14, v15, v20, vcc
	v_lshlrev_b32_e32 v15, 16, v12
	v_mov_b32_e32 v20, 0x3b800000
	v_lshlrev_b32_e32 v11, 20, v11
	v_and_b32_e32 v15, 0x80000000, v15
	v_lshl_add_u32 v14, v14, 23, v20
	v_or3_b32 v14, v15, v14, v11
.LBB32_1616:
	s_or_b64 exec, exec, s[6:7]
	s_nop 0
	v_mfma_f32_16x16x4f32 a[0:3], v10, v14, a[0:3]
	s_movk_i32 s4, 0xff
	v_and_b32_sdwa v11, v16, s4 dst_sel:DWORD dst_unused:UNUSED_PAD src0_sel:WORD_1 src1_sel:DWORD
	s_movk_i32 s4, 0x7f
	v_cmp_lt_i16_e32 vcc, s4, v11
	s_mov_b64 s[4:5], 0
                                        ; implicit-def: $sgpr10
	s_and_saveexec_b64 s[6:7], vcc
	s_xor_b64 s[6:7], exec, s[6:7]
	s_cbranch_execnz .LBB32_3665
; %bb.1617:
	s_or_saveexec_b64 s[6:7], s[6:7]
	v_mov_b32_e32 v10, s10
	s_xor_b64 exec, exec, s[6:7]
	s_cbranch_execnz .LBB32_3668
.LBB32_1618:
	s_or_b64 exec, exec, s[6:7]
	s_and_saveexec_b64 s[6:7], s[4:5]
	s_cbranch_execz .LBB32_1620
.LBB32_1619:
	v_bfe_u32 v10, v16, 16, 3
	v_ffbh_u32_e32 v15, v10
	v_min_u32_e32 v15, 32, v15
	v_lshrrev_b32_e32 v11, 19, v16
	v_subrev_u32_e32 v20, 28, v15
	v_and_b32_e32 v11, 15, v11
	v_lshlrev_b32_sdwa v20, v20, v16 dst_sel:DWORD dst_unused:UNUSED_PAD src0_sel:DWORD src1_sel:WORD_1
	v_bfe_u32 v14, v16, 19, 4
	v_sub_u32_e32 v15, 29, v15
	v_and_b32_e32 v20, 7, v20
	v_cmp_eq_u16_e32 vcc, 0, v11
	v_cndmask_b32_e32 v10, v10, v20, vcc
	v_cndmask_b32_e32 v11, v14, v15, vcc
	v_lshlrev_b32_e32 v14, 8, v16
	v_mov_b32_e32 v15, 0x3b800000
	v_lshlrev_b32_e32 v10, 20, v10
	v_and_b32_e32 v14, 0x80000000, v14
	v_lshl_add_u32 v11, v11, 23, v15
	v_or3_b32 v10, v14, v11, v10
.LBB32_1620:
	s_or_b64 exec, exec, s[6:7]
	s_movk_i32 s4, 0xff
	v_and_b32_sdwa v11, v12, s4 dst_sel:DWORD dst_unused:UNUSED_PAD src0_sel:WORD_1 src1_sel:DWORD
	s_movk_i32 s4, 0x7f
	v_cmp_lt_i16_e32 vcc, s4, v11
	s_mov_b64 s[4:5], 0
                                        ; implicit-def: $sgpr10
	s_and_saveexec_b64 s[6:7], vcc
	s_xor_b64 s[6:7], exec, s[6:7]
	s_cbranch_execnz .LBB32_3669
; %bb.1621:
	s_or_saveexec_b64 s[6:7], s[6:7]
	v_mov_b32_e32 v14, s10
	s_xor_b64 exec, exec, s[6:7]
	s_cbranch_execnz .LBB32_3672
.LBB32_1622:
	s_or_b64 exec, exec, s[6:7]
	s_and_saveexec_b64 s[6:7], s[4:5]
	s_cbranch_execz .LBB32_1624
.LBB32_1623:
	v_bfe_u32 v11, v12, 16, 3
	v_ffbh_u32_e32 v20, v11
	v_min_u32_e32 v20, 32, v20
	v_lshrrev_b32_e32 v14, 19, v12
	v_subrev_u32_e32 v21, 28, v20
	v_and_b32_e32 v14, 15, v14
	v_lshlrev_b32_sdwa v21, v21, v12 dst_sel:DWORD dst_unused:UNUSED_PAD src0_sel:DWORD src1_sel:WORD_1
	v_bfe_u32 v15, v12, 19, 4
	v_sub_u32_e32 v20, 29, v20
	v_and_b32_e32 v21, 7, v21
	v_cmp_eq_u16_e32 vcc, 0, v14
	v_cndmask_b32_e32 v11, v11, v21, vcc
	v_cndmask_b32_e32 v14, v15, v20, vcc
	v_lshlrev_b32_e32 v15, 8, v12
	v_mov_b32_e32 v20, 0x3b800000
	v_lshlrev_b32_e32 v11, 20, v11
	v_and_b32_e32 v15, 0x80000000, v15
	v_lshl_add_u32 v14, v14, 23, v20
	v_or3_b32 v14, v15, v14, v11
.LBB32_1624:
	s_or_b64 exec, exec, s[6:7]
	s_nop 0
	v_mfma_f32_16x16x4f32 a[0:3], v10, v14, a[0:3]
	s_movk_i32 s4, 0x7f
	v_cmp_gt_i16_sdwa s[6:7], v16, s4 src0_sel:BYTE_3 src1_sel:DWORD
	s_mov_b64 s[4:5], 0
                                        ; implicit-def: $sgpr10
	s_and_saveexec_b64 s[8:9], s[6:7]
	s_xor_b64 s[6:7], exec, s[8:9]
	s_cbranch_execnz .LBB32_3673
; %bb.1625:
	s_or_saveexec_b64 s[6:7], s[6:7]
	v_mov_b32_e32 v10, s10
	s_xor_b64 exec, exec, s[6:7]
	s_cbranch_execnz .LBB32_3676
.LBB32_1626:
	s_or_b64 exec, exec, s[6:7]
	s_and_saveexec_b64 s[6:7], s[4:5]
	s_cbranch_execz .LBB32_1628
.LBB32_1627:
	v_bfe_u32 v10, v16, 24, 3
	v_ffbh_u32_e32 v20, v10
	v_min_u32_e32 v20, 32, v20
	v_lshrrev_b32_e32 v14, 27, v16
	v_subrev_u32_e32 v21, 28, v20
	v_and_b32_e32 v11, 0x80000000, v16
	v_and_b32_e32 v14, 15, v14
	v_bfe_u32 v15, v16, 27, 4
	v_lshlrev_b32_sdwa v16, v21, v16 dst_sel:DWORD dst_unused:UNUSED_PAD src0_sel:DWORD src1_sel:BYTE_3
	v_sub_u32_e32 v20, 29, v20
	v_and_b32_e32 v16, 7, v16
	v_cmp_eq_u16_e32 vcc, 0, v14
	v_cndmask_b32_e32 v10, v10, v16, vcc
	v_cndmask_b32_e32 v14, v15, v20, vcc
	v_mov_b32_e32 v15, 0x3b800000
	v_lshlrev_b32_e32 v10, 20, v10
	v_lshl_add_u32 v14, v14, 23, v15
	v_or3_b32 v10, v11, v14, v10
.LBB32_1628:
	s_or_b64 exec, exec, s[6:7]
	s_movk_i32 s4, 0x7f
	v_cmp_gt_i16_sdwa s[6:7], v12, s4 src0_sel:BYTE_3 src1_sel:DWORD
	s_mov_b64 s[4:5], 0
                                        ; implicit-def: $sgpr10
	s_and_saveexec_b64 s[8:9], s[6:7]
	s_xor_b64 s[6:7], exec, s[8:9]
	s_cbranch_execnz .LBB32_3677
; %bb.1629:
	s_or_saveexec_b64 s[6:7], s[6:7]
	v_mov_b32_e32 v11, s10
	s_xor_b64 exec, exec, s[6:7]
	s_cbranch_execnz .LBB32_3680
.LBB32_1630:
	s_or_b64 exec, exec, s[6:7]
	s_and_saveexec_b64 s[6:7], s[4:5]
	s_cbranch_execz .LBB32_1632
.LBB32_1631:
	v_bfe_u32 v11, v12, 24, 3
	v_ffbh_u32_e32 v20, v11
	v_min_u32_e32 v20, 32, v20
	v_lshrrev_b32_e32 v15, 27, v12
	v_subrev_u32_e32 v21, 28, v20
	v_and_b32_e32 v14, 0x80000000, v12
	v_and_b32_e32 v15, 15, v15
	v_bfe_u32 v16, v12, 27, 4
	v_lshlrev_b32_sdwa v12, v21, v12 dst_sel:DWORD dst_unused:UNUSED_PAD src0_sel:DWORD src1_sel:BYTE_3
	v_sub_u32_e32 v20, 29, v20
	v_and_b32_e32 v12, 7, v12
	v_cmp_eq_u16_e32 vcc, 0, v15
	v_cndmask_b32_e32 v11, v11, v12, vcc
	v_cndmask_b32_e32 v12, v16, v20, vcc
	v_mov_b32_e32 v15, 0x3b800000
	v_lshlrev_b32_e32 v11, 20, v11
	v_lshl_add_u32 v12, v12, 23, v15
	v_or3_b32 v11, v14, v12, v11
.LBB32_1632:
	s_or_b64 exec, exec, s[6:7]
	s_nop 0
	v_mfma_f32_16x16x4f32 a[0:3], v10, v11, a[0:3]
	s_movk_i32 s4, 0x7f
	v_cmp_gt_i16_sdwa s[6:7], v17, s4 src0_sel:BYTE_0 src1_sel:DWORD
	s_mov_b64 s[4:5], 0
                                        ; implicit-def: $sgpr10
	s_and_saveexec_b64 s[8:9], s[6:7]
	s_xor_b64 s[6:7], exec, s[8:9]
	s_cbranch_execnz .LBB32_3681
; %bb.1633:
	s_or_saveexec_b64 s[6:7], s[6:7]
	v_mov_b32_e32 v10, s10
	s_xor_b64 exec, exec, s[6:7]
	s_cbranch_execnz .LBB32_3684
.LBB32_1634:
	s_or_b64 exec, exec, s[6:7]
	s_and_saveexec_b64 s[6:7], s[4:5]
	s_cbranch_execz .LBB32_1636
.LBB32_1635:
	v_and_b32_e32 v10, 7, v17
	v_ffbh_u32_e32 v12, v10
	v_min_u32_e32 v12, 32, v12
	v_lshrrev_b16_e32 v11, 3, v17
	v_subrev_u32_e32 v14, 28, v12
	v_and_b32_e32 v11, 15, v11
	v_lshlrev_b32_e32 v14, v14, v17
	v_sub_u32_e32 v12, 29, v12
	v_and_b32_e32 v14, 7, v14
	v_cmp_eq_u16_e32 vcc, 0, v11
	v_cndmask_b32_e32 v10, v10, v14, vcc
	v_cndmask_b32_e32 v11, v11, v12, vcc
	v_lshlrev_b32_e32 v12, 24, v17
	v_mov_b32_e32 v14, 0x3b800000
	v_lshlrev_b32_e32 v10, 20, v10
	v_and_b32_e32 v12, 0x80000000, v12
	v_lshl_add_u32 v11, v11, 23, v14
	v_or3_b32 v10, v12, v11, v10
.LBB32_1636:
	s_or_b64 exec, exec, s[6:7]
	s_movk_i32 s4, 0x7f
	v_cmp_gt_i16_sdwa s[6:7], v13, s4 src0_sel:BYTE_0 src1_sel:DWORD
	s_mov_b64 s[4:5], 0
                                        ; implicit-def: $sgpr10
	s_and_saveexec_b64 s[8:9], s[6:7]
	s_xor_b64 s[6:7], exec, s[8:9]
	s_cbranch_execnz .LBB32_3685
; %bb.1637:
	s_or_saveexec_b64 s[6:7], s[6:7]
	v_mov_b32_e32 v11, s10
	s_xor_b64 exec, exec, s[6:7]
	s_cbranch_execnz .LBB32_3688
.LBB32_1638:
	s_or_b64 exec, exec, s[6:7]
	s_and_saveexec_b64 s[6:7], s[4:5]
	s_cbranch_execz .LBB32_1640
.LBB32_1639:
	v_and_b32_e32 v11, 7, v13
	v_ffbh_u32_e32 v14, v11
	v_min_u32_e32 v14, 32, v14
	v_lshrrev_b16_e32 v12, 3, v13
	v_subrev_u32_e32 v15, 28, v14
	v_and_b32_e32 v12, 15, v12
	v_lshlrev_b32_e32 v15, v15, v13
	v_sub_u32_e32 v14, 29, v14
	v_and_b32_e32 v15, 7, v15
	v_cmp_eq_u16_e32 vcc, 0, v12
	v_cndmask_b32_e32 v11, v11, v15, vcc
	v_cndmask_b32_e32 v12, v12, v14, vcc
	v_lshlrev_b32_e32 v14, 24, v13
	v_mov_b32_e32 v15, 0x3b800000
	v_lshlrev_b32_e32 v11, 20, v11
	v_and_b32_e32 v14, 0x80000000, v14
	v_lshl_add_u32 v12, v12, 23, v15
	v_or3_b32 v11, v14, v12, v11
.LBB32_1640:
	s_or_b64 exec, exec, s[6:7]
	s_nop 0
	v_mfma_f32_16x16x4f32 a[0:3], v10, v11, a[0:3]
	v_lshrrev_b32_e32 v11, 8, v17
	s_movk_i32 s4, 0x7f
	v_cmp_gt_i16_sdwa s[6:7], v11, s4 src0_sel:BYTE_0 src1_sel:DWORD
	s_mov_b64 s[4:5], 0
                                        ; implicit-def: $sgpr10
	s_and_saveexec_b64 s[8:9], s[6:7]
	s_xor_b64 s[6:7], exec, s[8:9]
	s_cbranch_execnz .LBB32_3689
; %bb.1641:
	s_or_saveexec_b64 s[6:7], s[6:7]
	v_mov_b32_e32 v10, s10
	s_xor_b64 exec, exec, s[6:7]
	s_cbranch_execnz .LBB32_3692
.LBB32_1642:
	s_or_b64 exec, exec, s[6:7]
	s_and_saveexec_b64 s[6:7], s[4:5]
	s_cbranch_execz .LBB32_1644
.LBB32_1643:
	v_bfe_u32 v10, v17, 8, 3
	v_ffbh_u32_e32 v14, v10
	v_min_u32_e32 v14, 32, v14
	v_lshrrev_b16_e32 v12, 3, v11
	v_subrev_u32_e32 v15, 28, v14
	v_and_b32_e32 v12, 15, v12
	v_lshlrev_b32_e32 v11, v15, v11
	v_sub_u32_e32 v14, 29, v14
	v_and_b32_e32 v11, 7, v11
	v_cmp_eq_u16_e32 vcc, 0, v12
	v_cndmask_b32_e32 v10, v10, v11, vcc
	v_cndmask_b32_e32 v11, v12, v14, vcc
	v_lshlrev_b32_e32 v12, 16, v17
	v_mov_b32_e32 v14, 0x3b800000
	v_lshlrev_b32_e32 v10, 20, v10
	v_and_b32_e32 v12, 0x80000000, v12
	v_lshl_add_u32 v11, v11, 23, v14
	v_or3_b32 v10, v12, v11, v10
.LBB32_1644:
	s_or_b64 exec, exec, s[6:7]
	v_lshrrev_b32_e32 v11, 8, v13
	s_movk_i32 s4, 0x7f
	v_cmp_gt_i16_sdwa s[6:7], v11, s4 src0_sel:BYTE_0 src1_sel:DWORD
	s_mov_b64 s[4:5], 0
                                        ; implicit-def: $sgpr10
	s_and_saveexec_b64 s[8:9], s[6:7]
	s_xor_b64 s[6:7], exec, s[8:9]
	s_cbranch_execnz .LBB32_3693
; %bb.1645:
	s_or_saveexec_b64 s[6:7], s[6:7]
	v_mov_b32_e32 v12, s10
	s_xor_b64 exec, exec, s[6:7]
	s_cbranch_execnz .LBB32_3696
.LBB32_1646:
	s_or_b64 exec, exec, s[6:7]
	s_and_saveexec_b64 s[6:7], s[4:5]
	s_cbranch_execz .LBB32_1648
.LBB32_1647:
	v_bfe_u32 v12, v13, 8, 3
	v_ffbh_u32_e32 v15, v12
	v_min_u32_e32 v15, 32, v15
	v_lshrrev_b16_e32 v14, 3, v11
	v_subrev_u32_e32 v16, 28, v15
	v_and_b32_e32 v14, 15, v14
	v_lshlrev_b32_e32 v11, v16, v11
	v_sub_u32_e32 v15, 29, v15
	v_and_b32_e32 v11, 7, v11
	v_cmp_eq_u16_e32 vcc, 0, v14
	v_cndmask_b32_e32 v11, v12, v11, vcc
	v_cndmask_b32_e32 v12, v14, v15, vcc
	v_lshlrev_b32_e32 v14, 16, v13
	v_mov_b32_e32 v15, 0x3b800000
	v_lshlrev_b32_e32 v11, 20, v11
	v_and_b32_e32 v14, 0x80000000, v14
	v_lshl_add_u32 v12, v12, 23, v15
	v_or3_b32 v12, v14, v12, v11
.LBB32_1648:
	s_or_b64 exec, exec, s[6:7]
	s_nop 0
	v_mfma_f32_16x16x4f32 a[0:3], v10, v12, a[0:3]
	s_movk_i32 s4, 0xff
	v_and_b32_sdwa v11, v17, s4 dst_sel:DWORD dst_unused:UNUSED_PAD src0_sel:WORD_1 src1_sel:DWORD
	s_movk_i32 s4, 0x7f
	v_cmp_lt_i16_e32 vcc, s4, v11
	s_mov_b64 s[4:5], 0
                                        ; implicit-def: $sgpr10
	s_and_saveexec_b64 s[6:7], vcc
	s_xor_b64 s[6:7], exec, s[6:7]
	s_cbranch_execnz .LBB32_3697
; %bb.1649:
	s_or_saveexec_b64 s[6:7], s[6:7]
	v_mov_b32_e32 v10, s10
	s_xor_b64 exec, exec, s[6:7]
	s_cbranch_execnz .LBB32_3700
.LBB32_1650:
	s_or_b64 exec, exec, s[6:7]
	s_and_saveexec_b64 s[6:7], s[4:5]
	s_cbranch_execz .LBB32_1652
.LBB32_1651:
	v_bfe_u32 v10, v17, 16, 3
	v_ffbh_u32_e32 v14, v10
	v_min_u32_e32 v14, 32, v14
	v_lshrrev_b32_e32 v11, 19, v17
	v_subrev_u32_e32 v15, 28, v14
	v_and_b32_e32 v11, 15, v11
	v_lshlrev_b32_sdwa v15, v15, v17 dst_sel:DWORD dst_unused:UNUSED_PAD src0_sel:DWORD src1_sel:WORD_1
	v_bfe_u32 v12, v17, 19, 4
	v_sub_u32_e32 v14, 29, v14
	v_and_b32_e32 v15, 7, v15
	v_cmp_eq_u16_e32 vcc, 0, v11
	v_cndmask_b32_e32 v10, v10, v15, vcc
	v_cndmask_b32_e32 v11, v12, v14, vcc
	v_lshlrev_b32_e32 v12, 8, v17
	v_mov_b32_e32 v14, 0x3b800000
	v_lshlrev_b32_e32 v10, 20, v10
	v_and_b32_e32 v12, 0x80000000, v12
	v_lshl_add_u32 v11, v11, 23, v14
	v_or3_b32 v10, v12, v11, v10
.LBB32_1652:
	s_or_b64 exec, exec, s[6:7]
	s_movk_i32 s4, 0xff
	v_and_b32_sdwa v11, v13, s4 dst_sel:DWORD dst_unused:UNUSED_PAD src0_sel:WORD_1 src1_sel:DWORD
	s_movk_i32 s4, 0x7f
	v_cmp_lt_i16_e32 vcc, s4, v11
	s_mov_b64 s[4:5], 0
                                        ; implicit-def: $sgpr10
	s_and_saveexec_b64 s[6:7], vcc
	s_xor_b64 s[6:7], exec, s[6:7]
	s_cbranch_execnz .LBB32_3701
; %bb.1653:
	s_or_saveexec_b64 s[6:7], s[6:7]
	v_mov_b32_e32 v12, s10
	s_xor_b64 exec, exec, s[6:7]
	s_cbranch_execnz .LBB32_3704
.LBB32_1654:
	s_or_b64 exec, exec, s[6:7]
	s_and_saveexec_b64 s[6:7], s[4:5]
	s_cbranch_execz .LBB32_1656
.LBB32_1655:
	v_bfe_u32 v11, v13, 16, 3
	v_ffbh_u32_e32 v15, v11
	v_min_u32_e32 v15, 32, v15
	v_lshrrev_b32_e32 v12, 19, v13
	v_subrev_u32_e32 v16, 28, v15
	v_and_b32_e32 v12, 15, v12
	v_lshlrev_b32_sdwa v16, v16, v13 dst_sel:DWORD dst_unused:UNUSED_PAD src0_sel:DWORD src1_sel:WORD_1
	v_bfe_u32 v14, v13, 19, 4
	v_sub_u32_e32 v15, 29, v15
	v_and_b32_e32 v16, 7, v16
	v_cmp_eq_u16_e32 vcc, 0, v12
	v_cndmask_b32_e32 v11, v11, v16, vcc
	v_cndmask_b32_e32 v12, v14, v15, vcc
	v_lshlrev_b32_e32 v14, 8, v13
	v_mov_b32_e32 v15, 0x3b800000
	v_lshlrev_b32_e32 v11, 20, v11
	v_and_b32_e32 v14, 0x80000000, v14
	v_lshl_add_u32 v12, v12, 23, v15
	v_or3_b32 v12, v14, v12, v11
.LBB32_1656:
	s_or_b64 exec, exec, s[6:7]
	s_nop 0
	v_mfma_f32_16x16x4f32 a[0:3], v10, v12, a[0:3]
	s_movk_i32 s4, 0x7f
	v_cmp_gt_i16_sdwa s[6:7], v17, s4 src0_sel:BYTE_3 src1_sel:DWORD
	s_mov_b64 s[4:5], 0
                                        ; implicit-def: $sgpr10
	s_and_saveexec_b64 s[8:9], s[6:7]
	s_xor_b64 s[6:7], exec, s[8:9]
	s_cbranch_execnz .LBB32_3705
; %bb.1657:
	s_or_saveexec_b64 s[6:7], s[6:7]
	v_mov_b32_e32 v10, s10
	s_xor_b64 exec, exec, s[6:7]
	s_cbranch_execnz .LBB32_3708
.LBB32_1658:
	s_or_b64 exec, exec, s[6:7]
	s_and_saveexec_b64 s[6:7], s[4:5]
	s_cbranch_execz .LBB32_1660
.LBB32_1659:
	v_bfe_u32 v10, v17, 24, 3
	v_ffbh_u32_e32 v15, v10
	v_min_u32_e32 v15, 32, v15
	v_lshrrev_b32_e32 v12, 27, v17
	v_subrev_u32_e32 v16, 28, v15
	v_and_b32_e32 v12, 15, v12
	v_lshlrev_b32_sdwa v16, v16, v17 dst_sel:DWORD dst_unused:UNUSED_PAD src0_sel:DWORD src1_sel:BYTE_3
	v_bfe_u32 v14, v17, 27, 4
	v_sub_u32_e32 v15, 29, v15
	v_and_b32_e32 v16, 7, v16
	v_cmp_eq_u16_e32 vcc, 0, v12
	v_cndmask_b32_e32 v10, v10, v16, vcc
	v_cndmask_b32_e32 v12, v14, v15, vcc
	v_mov_b32_e32 v14, 0x3b800000
	v_and_b32_e32 v11, 0x80000000, v17
	v_lshlrev_b32_e32 v10, 20, v10
	v_lshl_add_u32 v12, v12, 23, v14
	v_or3_b32 v10, v11, v12, v10
.LBB32_1660:
	s_or_b64 exec, exec, s[6:7]
	s_movk_i32 s4, 0x7f
	v_cmp_gt_i16_sdwa s[6:7], v13, s4 src0_sel:BYTE_3 src1_sel:DWORD
	s_mov_b64 s[4:5], 0
                                        ; implicit-def: $sgpr10
	s_and_saveexec_b64 s[8:9], s[6:7]
	s_xor_b64 s[6:7], exec, s[8:9]
	s_cbranch_execnz .LBB32_3709
; %bb.1661:
	s_or_saveexec_b64 s[6:7], s[6:7]
	v_mov_b32_e32 v11, s10
	s_xor_b64 exec, exec, s[6:7]
	s_cbranch_execnz .LBB32_3712
.LBB32_1662:
	s_or_b64 exec, exec, s[6:7]
	s_and_saveexec_b64 s[6:7], s[4:5]
	s_cbranch_execz .LBB32_1664
.LBB32_1663:
	v_bfe_u32 v11, v13, 24, 3
	v_ffbh_u32_e32 v16, v11
	v_min_u32_e32 v16, 32, v16
	v_lshrrev_b32_e32 v14, 27, v13
	v_subrev_u32_e32 v17, 28, v16
	v_and_b32_e32 v12, 0x80000000, v13
	v_and_b32_e32 v14, 15, v14
	v_bfe_u32 v15, v13, 27, 4
	v_lshlrev_b32_sdwa v13, v17, v13 dst_sel:DWORD dst_unused:UNUSED_PAD src0_sel:DWORD src1_sel:BYTE_3
	v_sub_u32_e32 v16, 29, v16
	v_and_b32_e32 v13, 7, v13
	v_cmp_eq_u16_e32 vcc, 0, v14
	v_cndmask_b32_e32 v11, v11, v13, vcc
	v_cndmask_b32_e32 v13, v15, v16, vcc
	v_mov_b32_e32 v14, 0x3b800000
	v_lshlrev_b32_e32 v11, 20, v11
	v_lshl_add_u32 v13, v13, 23, v14
	v_or3_b32 v11, v12, v13, v11
.LBB32_1664:
	s_or_b64 exec, exec, s[6:7]
	s_nop 0
	v_mfma_f32_16x16x4f32 a[0:3], v10, v11, a[0:3]
	s_movk_i32 s4, 0x7f
	v_cmp_gt_i16_sdwa s[6:7], v6, s4 src0_sel:BYTE_0 src1_sel:DWORD
	s_mov_b64 s[4:5], 0
                                        ; implicit-def: $sgpr10
	s_and_saveexec_b64 s[8:9], s[6:7]
	s_xor_b64 s[6:7], exec, s[8:9]
	s_cbranch_execnz .LBB32_3713
; %bb.1665:
	s_or_saveexec_b64 s[6:7], s[6:7]
	v_mov_b32_e32 v10, s10
	s_xor_b64 exec, exec, s[6:7]
	s_cbranch_execnz .LBB32_3716
.LBB32_1666:
	s_or_b64 exec, exec, s[6:7]
	s_and_saveexec_b64 s[6:7], s[4:5]
	s_cbranch_execz .LBB32_1668
.LBB32_1667:
	v_and_b32_e32 v10, 7, v6
	v_ffbh_u32_e32 v12, v10
	v_min_u32_e32 v12, 32, v12
	v_lshrrev_b16_e32 v11, 3, v6
	v_subrev_u32_e32 v13, 28, v12
	v_and_b32_e32 v11, 15, v11
	v_lshlrev_b32_e32 v13, v13, v6
	v_sub_u32_e32 v12, 29, v12
	v_and_b32_e32 v13, 7, v13
	v_cmp_eq_u16_e32 vcc, 0, v11
	v_cndmask_b32_e32 v10, v10, v13, vcc
	v_cndmask_b32_e32 v11, v11, v12, vcc
	v_lshlrev_b32_e32 v12, 24, v6
	v_mov_b32_e32 v13, 0x3b800000
	v_lshlrev_b32_e32 v10, 20, v10
	v_and_b32_e32 v12, 0x80000000, v12
	v_lshl_add_u32 v11, v11, 23, v13
	v_or3_b32 v10, v12, v11, v10
.LBB32_1668:
	s_or_b64 exec, exec, s[6:7]
	s_movk_i32 s4, 0x7f
	v_cmp_gt_i16_sdwa s[6:7], v2, s4 src0_sel:BYTE_0 src1_sel:DWORD
	s_mov_b64 s[4:5], 0
                                        ; implicit-def: $sgpr10
	s_and_saveexec_b64 s[8:9], s[6:7]
	s_xor_b64 s[6:7], exec, s[8:9]
	s_cbranch_execnz .LBB32_3717
; %bb.1669:
	s_or_saveexec_b64 s[6:7], s[6:7]
	v_mov_b32_e32 v11, s10
	s_xor_b64 exec, exec, s[6:7]
	s_cbranch_execnz .LBB32_3720
.LBB32_1670:
	s_or_b64 exec, exec, s[6:7]
	s_and_saveexec_b64 s[6:7], s[4:5]
	s_cbranch_execz .LBB32_1672
.LBB32_1671:
	v_and_b32_e32 v11, 7, v2
	v_ffbh_u32_e32 v13, v11
	v_min_u32_e32 v13, 32, v13
	v_lshrrev_b16_e32 v12, 3, v2
	v_subrev_u32_e32 v14, 28, v13
	v_and_b32_e32 v12, 15, v12
	v_lshlrev_b32_e32 v14, v14, v2
	v_sub_u32_e32 v13, 29, v13
	v_and_b32_e32 v14, 7, v14
	v_cmp_eq_u16_e32 vcc, 0, v12
	v_cndmask_b32_e32 v11, v11, v14, vcc
	v_cndmask_b32_e32 v12, v12, v13, vcc
	v_lshlrev_b32_e32 v13, 24, v2
	v_mov_b32_e32 v14, 0x3b800000
	v_lshlrev_b32_e32 v11, 20, v11
	v_and_b32_e32 v13, 0x80000000, v13
	v_lshl_add_u32 v12, v12, 23, v14
	v_or3_b32 v11, v13, v12, v11
.LBB32_1672:
	s_or_b64 exec, exec, s[6:7]
	s_nop 0
	v_mfma_f32_16x16x4f32 a[0:3], v10, v11, a[0:3]
	v_lshrrev_b32_e32 v11, 8, v6
	s_movk_i32 s4, 0x7f
	v_cmp_gt_i16_sdwa s[6:7], v11, s4 src0_sel:BYTE_0 src1_sel:DWORD
	s_mov_b64 s[4:5], 0
                                        ; implicit-def: $sgpr10
	s_and_saveexec_b64 s[8:9], s[6:7]
	s_xor_b64 s[6:7], exec, s[8:9]
	s_cbranch_execnz .LBB32_3721
; %bb.1673:
	s_or_saveexec_b64 s[6:7], s[6:7]
	v_mov_b32_e32 v10, s10
	s_xor_b64 exec, exec, s[6:7]
	s_cbranch_execnz .LBB32_3724
.LBB32_1674:
	s_or_b64 exec, exec, s[6:7]
	s_and_saveexec_b64 s[6:7], s[4:5]
	s_cbranch_execz .LBB32_1676
.LBB32_1675:
	v_bfe_u32 v10, v6, 8, 3
	v_ffbh_u32_e32 v13, v10
	v_min_u32_e32 v13, 32, v13
	v_lshrrev_b16_e32 v12, 3, v11
	v_subrev_u32_e32 v14, 28, v13
	v_and_b32_e32 v12, 15, v12
	v_lshlrev_b32_e32 v11, v14, v11
	v_sub_u32_e32 v13, 29, v13
	v_and_b32_e32 v11, 7, v11
	v_cmp_eq_u16_e32 vcc, 0, v12
	v_cndmask_b32_e32 v10, v10, v11, vcc
	v_cndmask_b32_e32 v11, v12, v13, vcc
	v_lshlrev_b32_e32 v12, 16, v6
	v_mov_b32_e32 v13, 0x3b800000
	v_lshlrev_b32_e32 v10, 20, v10
	v_and_b32_e32 v12, 0x80000000, v12
	v_lshl_add_u32 v11, v11, 23, v13
	v_or3_b32 v10, v12, v11, v10
.LBB32_1676:
	s_or_b64 exec, exec, s[6:7]
	v_lshrrev_b32_e32 v11, 8, v2
	s_movk_i32 s4, 0x7f
	v_cmp_gt_i16_sdwa s[6:7], v11, s4 src0_sel:BYTE_0 src1_sel:DWORD
	s_mov_b64 s[4:5], 0
                                        ; implicit-def: $sgpr10
	s_and_saveexec_b64 s[8:9], s[6:7]
	s_xor_b64 s[6:7], exec, s[8:9]
	s_cbranch_execnz .LBB32_3725
; %bb.1677:
	s_or_saveexec_b64 s[6:7], s[6:7]
	v_mov_b32_e32 v12, s10
	s_xor_b64 exec, exec, s[6:7]
	s_cbranch_execnz .LBB32_3728
.LBB32_1678:
	s_or_b64 exec, exec, s[6:7]
	s_and_saveexec_b64 s[6:7], s[4:5]
	s_cbranch_execz .LBB32_1680
.LBB32_1679:
	v_bfe_u32 v12, v2, 8, 3
	v_ffbh_u32_e32 v14, v12
	v_min_u32_e32 v14, 32, v14
	v_lshrrev_b16_e32 v13, 3, v11
	v_subrev_u32_e32 v15, 28, v14
	v_and_b32_e32 v13, 15, v13
	v_lshlrev_b32_e32 v11, v15, v11
	v_sub_u32_e32 v14, 29, v14
	v_and_b32_e32 v11, 7, v11
	v_cmp_eq_u16_e32 vcc, 0, v13
	v_cndmask_b32_e32 v11, v12, v11, vcc
	v_cndmask_b32_e32 v12, v13, v14, vcc
	v_lshlrev_b32_e32 v13, 16, v2
	v_mov_b32_e32 v14, 0x3b800000
	v_lshlrev_b32_e32 v11, 20, v11
	v_and_b32_e32 v13, 0x80000000, v13
	v_lshl_add_u32 v12, v12, 23, v14
	v_or3_b32 v12, v13, v12, v11
.LBB32_1680:
	s_or_b64 exec, exec, s[6:7]
	s_nop 0
	v_mfma_f32_16x16x4f32 a[0:3], v10, v12, a[0:3]
	s_movk_i32 s4, 0xff
	v_and_b32_sdwa v11, v6, s4 dst_sel:DWORD dst_unused:UNUSED_PAD src0_sel:WORD_1 src1_sel:DWORD
	s_movk_i32 s4, 0x7f
	v_cmp_lt_i16_e32 vcc, s4, v11
	s_mov_b64 s[4:5], 0
                                        ; implicit-def: $sgpr10
	s_and_saveexec_b64 s[6:7], vcc
	s_xor_b64 s[6:7], exec, s[6:7]
	s_cbranch_execnz .LBB32_3729
; %bb.1681:
	s_or_saveexec_b64 s[6:7], s[6:7]
	v_mov_b32_e32 v10, s10
	s_xor_b64 exec, exec, s[6:7]
	s_cbranch_execnz .LBB32_3732
.LBB32_1682:
	s_or_b64 exec, exec, s[6:7]
	s_and_saveexec_b64 s[6:7], s[4:5]
	s_cbranch_execz .LBB32_1684
.LBB32_1683:
	v_bfe_u32 v10, v6, 16, 3
	v_ffbh_u32_e32 v13, v10
	v_min_u32_e32 v13, 32, v13
	v_lshrrev_b32_e32 v11, 19, v6
	v_subrev_u32_e32 v14, 28, v13
	v_and_b32_e32 v11, 15, v11
	v_lshlrev_b32_sdwa v14, v14, v6 dst_sel:DWORD dst_unused:UNUSED_PAD src0_sel:DWORD src1_sel:WORD_1
	v_bfe_u32 v12, v6, 19, 4
	v_sub_u32_e32 v13, 29, v13
	v_and_b32_e32 v14, 7, v14
	v_cmp_eq_u16_e32 vcc, 0, v11
	v_cndmask_b32_e32 v10, v10, v14, vcc
	v_cndmask_b32_e32 v11, v12, v13, vcc
	v_lshlrev_b32_e32 v12, 8, v6
	v_mov_b32_e32 v13, 0x3b800000
	v_lshlrev_b32_e32 v10, 20, v10
	v_and_b32_e32 v12, 0x80000000, v12
	v_lshl_add_u32 v11, v11, 23, v13
	v_or3_b32 v10, v12, v11, v10
.LBB32_1684:
	s_or_b64 exec, exec, s[6:7]
	s_movk_i32 s4, 0xff
	v_and_b32_sdwa v11, v2, s4 dst_sel:DWORD dst_unused:UNUSED_PAD src0_sel:WORD_1 src1_sel:DWORD
	s_movk_i32 s4, 0x7f
	v_cmp_lt_i16_e32 vcc, s4, v11
	s_mov_b64 s[4:5], 0
                                        ; implicit-def: $sgpr10
	s_and_saveexec_b64 s[6:7], vcc
	s_xor_b64 s[6:7], exec, s[6:7]
	s_cbranch_execnz .LBB32_3733
; %bb.1685:
	s_or_saveexec_b64 s[6:7], s[6:7]
	v_mov_b32_e32 v12, s10
	s_xor_b64 exec, exec, s[6:7]
	s_cbranch_execnz .LBB32_3736
.LBB32_1686:
	s_or_b64 exec, exec, s[6:7]
	s_and_saveexec_b64 s[6:7], s[4:5]
	s_cbranch_execz .LBB32_1688
.LBB32_1687:
	v_bfe_u32 v11, v2, 16, 3
	v_ffbh_u32_e32 v14, v11
	v_min_u32_e32 v14, 32, v14
	v_lshrrev_b32_e32 v12, 19, v2
	v_subrev_u32_e32 v15, 28, v14
	v_and_b32_e32 v12, 15, v12
	v_lshlrev_b32_sdwa v15, v15, v2 dst_sel:DWORD dst_unused:UNUSED_PAD src0_sel:DWORD src1_sel:WORD_1
	v_bfe_u32 v13, v2, 19, 4
	v_sub_u32_e32 v14, 29, v14
	v_and_b32_e32 v15, 7, v15
	v_cmp_eq_u16_e32 vcc, 0, v12
	v_cndmask_b32_e32 v11, v11, v15, vcc
	v_cndmask_b32_e32 v12, v13, v14, vcc
	v_lshlrev_b32_e32 v13, 8, v2
	v_mov_b32_e32 v14, 0x3b800000
	v_lshlrev_b32_e32 v11, 20, v11
	v_and_b32_e32 v13, 0x80000000, v13
	v_lshl_add_u32 v12, v12, 23, v14
	v_or3_b32 v12, v13, v12, v11
.LBB32_1688:
	s_or_b64 exec, exec, s[6:7]
	s_nop 0
	v_mfma_f32_16x16x4f32 a[0:3], v10, v12, a[0:3]
	s_movk_i32 s4, 0x7f
	v_cmp_gt_i16_sdwa s[6:7], v6, s4 src0_sel:BYTE_3 src1_sel:DWORD
	s_mov_b64 s[4:5], 0
                                        ; implicit-def: $sgpr10
	s_and_saveexec_b64 s[8:9], s[6:7]
	s_xor_b64 s[6:7], exec, s[8:9]
	s_cbranch_execnz .LBB32_3737
; %bb.1689:
	s_or_saveexec_b64 s[6:7], s[6:7]
	v_mov_b32_e32 v10, s10
	s_xor_b64 exec, exec, s[6:7]
	s_cbranch_execnz .LBB32_3740
.LBB32_1690:
	s_or_b64 exec, exec, s[6:7]
	s_and_saveexec_b64 s[6:7], s[4:5]
	s_cbranch_execz .LBB32_1692
.LBB32_1691:
	v_bfe_u32 v10, v6, 24, 3
	v_ffbh_u32_e32 v14, v10
	v_min_u32_e32 v14, 32, v14
	v_lshrrev_b32_e32 v12, 27, v6
	v_subrev_u32_e32 v15, 28, v14
	v_and_b32_e32 v11, 0x80000000, v6
	v_and_b32_e32 v12, 15, v12
	v_bfe_u32 v13, v6, 27, 4
	v_lshlrev_b32_sdwa v6, v15, v6 dst_sel:DWORD dst_unused:UNUSED_PAD src0_sel:DWORD src1_sel:BYTE_3
	v_sub_u32_e32 v14, 29, v14
	v_and_b32_e32 v6, 7, v6
	v_cmp_eq_u16_e32 vcc, 0, v12
	v_cndmask_b32_e32 v6, v10, v6, vcc
	v_cndmask_b32_e32 v10, v13, v14, vcc
	v_mov_b32_e32 v12, 0x3b800000
	v_lshlrev_b32_e32 v6, 20, v6
	v_lshl_add_u32 v10, v10, 23, v12
	v_or3_b32 v10, v11, v10, v6
.LBB32_1692:
	s_or_b64 exec, exec, s[6:7]
	s_movk_i32 s4, 0x7f
	v_cmp_gt_i16_sdwa s[6:7], v2, s4 src0_sel:BYTE_3 src1_sel:DWORD
	s_mov_b64 s[4:5], 0
                                        ; implicit-def: $sgpr10
	s_and_saveexec_b64 s[8:9], s[6:7]
	s_xor_b64 s[6:7], exec, s[8:9]
	s_cbranch_execnz .LBB32_3741
; %bb.1693:
	s_or_saveexec_b64 s[6:7], s[6:7]
	v_mov_b32_e32 v6, s10
	s_xor_b64 exec, exec, s[6:7]
	s_cbranch_execnz .LBB32_3744
.LBB32_1694:
	s_or_b64 exec, exec, s[6:7]
	s_and_saveexec_b64 s[6:7], s[4:5]
	s_cbranch_execz .LBB32_1696
.LBB32_1695:
	v_bfe_u32 v6, v2, 24, 3
	v_ffbh_u32_e32 v14, v6
	v_min_u32_e32 v14, 32, v14
	v_lshrrev_b32_e32 v12, 27, v2
	v_subrev_u32_e32 v15, 28, v14
	v_and_b32_e32 v11, 0x80000000, v2
	v_and_b32_e32 v12, 15, v12
	v_bfe_u32 v13, v2, 27, 4
	v_lshlrev_b32_sdwa v2, v15, v2 dst_sel:DWORD dst_unused:UNUSED_PAD src0_sel:DWORD src1_sel:BYTE_3
	v_sub_u32_e32 v14, 29, v14
	v_and_b32_e32 v2, 7, v2
	v_cmp_eq_u16_e32 vcc, 0, v12
	v_cndmask_b32_e32 v2, v6, v2, vcc
	v_cndmask_b32_e32 v6, v13, v14, vcc
	v_mov_b32_e32 v12, 0x3b800000
	v_lshlrev_b32_e32 v2, 20, v2
	v_lshl_add_u32 v6, v6, 23, v12
	v_or3_b32 v6, v11, v6, v2
.LBB32_1696:
	s_or_b64 exec, exec, s[6:7]
	s_nop 0
	v_mfma_f32_16x16x4f32 a[0:3], v10, v6, a[0:3]
	s_movk_i32 s4, 0x7f
	v_cmp_gt_i16_sdwa s[6:7], v7, s4 src0_sel:BYTE_0 src1_sel:DWORD
	s_mov_b64 s[4:5], 0
                                        ; implicit-def: $sgpr10
	s_and_saveexec_b64 s[8:9], s[6:7]
	s_xor_b64 s[6:7], exec, s[8:9]
	s_cbranch_execnz .LBB32_3745
; %bb.1697:
	s_or_saveexec_b64 s[6:7], s[6:7]
	v_mov_b32_e32 v2, s10
	s_xor_b64 exec, exec, s[6:7]
	s_cbranch_execnz .LBB32_3748
.LBB32_1698:
	s_or_b64 exec, exec, s[6:7]
	s_and_saveexec_b64 s[6:7], s[4:5]
	s_cbranch_execz .LBB32_1700
.LBB32_1699:
	v_and_b32_e32 v2, 7, v7
	v_ffbh_u32_e32 v10, v2
	v_min_u32_e32 v10, 32, v10
	v_lshrrev_b16_e32 v6, 3, v7
	v_subrev_u32_e32 v11, 28, v10
	v_and_b32_e32 v6, 15, v6
	v_lshlrev_b32_e32 v11, v11, v7
	v_sub_u32_e32 v10, 29, v10
	v_and_b32_e32 v11, 7, v11
	v_cmp_eq_u16_e32 vcc, 0, v6
	v_cndmask_b32_e32 v2, v2, v11, vcc
	v_cndmask_b32_e32 v6, v6, v10, vcc
	v_lshlrev_b32_e32 v10, 24, v7
	v_mov_b32_e32 v11, 0x3b800000
	v_lshlrev_b32_e32 v2, 20, v2
	v_and_b32_e32 v10, 0x80000000, v10
	v_lshl_add_u32 v6, v6, 23, v11
	v_or3_b32 v2, v10, v6, v2
.LBB32_1700:
	s_or_b64 exec, exec, s[6:7]
	s_movk_i32 s4, 0x7f
	v_cmp_gt_i16_sdwa s[6:7], v3, s4 src0_sel:BYTE_0 src1_sel:DWORD
	s_mov_b64 s[4:5], 0
                                        ; implicit-def: $sgpr10
	s_and_saveexec_b64 s[8:9], s[6:7]
	s_xor_b64 s[6:7], exec, s[8:9]
	s_cbranch_execnz .LBB32_3749
; %bb.1701:
	s_or_saveexec_b64 s[6:7], s[6:7]
	v_mov_b32_e32 v6, s10
	s_xor_b64 exec, exec, s[6:7]
	s_cbranch_execnz .LBB32_3752
.LBB32_1702:
	s_or_b64 exec, exec, s[6:7]
	s_and_saveexec_b64 s[6:7], s[4:5]
	s_cbranch_execz .LBB32_1704
.LBB32_1703:
	v_and_b32_e32 v6, 7, v3
	v_ffbh_u32_e32 v11, v6
	v_min_u32_e32 v11, 32, v11
	v_lshrrev_b16_e32 v10, 3, v3
	v_subrev_u32_e32 v12, 28, v11
	v_and_b32_e32 v10, 15, v10
	v_lshlrev_b32_e32 v12, v12, v3
	v_sub_u32_e32 v11, 29, v11
	v_and_b32_e32 v12, 7, v12
	v_cmp_eq_u16_e32 vcc, 0, v10
	v_cndmask_b32_e32 v6, v6, v12, vcc
	v_cndmask_b32_e32 v10, v10, v11, vcc
	v_lshlrev_b32_e32 v11, 24, v3
	v_mov_b32_e32 v12, 0x3b800000
	v_lshlrev_b32_e32 v6, 20, v6
	v_and_b32_e32 v11, 0x80000000, v11
	v_lshl_add_u32 v10, v10, 23, v12
	v_or3_b32 v6, v11, v10, v6
.LBB32_1704:
	s_or_b64 exec, exec, s[6:7]
	s_nop 0
	v_mfma_f32_16x16x4f32 a[0:3], v2, v6, a[0:3]
	v_lshrrev_b32_e32 v6, 8, v7
	s_movk_i32 s4, 0x7f
	v_cmp_gt_i16_sdwa s[6:7], v6, s4 src0_sel:BYTE_0 src1_sel:DWORD
	s_mov_b64 s[4:5], 0
                                        ; implicit-def: $sgpr10
	s_and_saveexec_b64 s[8:9], s[6:7]
	s_xor_b64 s[6:7], exec, s[8:9]
	s_cbranch_execnz .LBB32_3753
; %bb.1705:
	s_or_saveexec_b64 s[6:7], s[6:7]
	v_mov_b32_e32 v2, s10
	s_xor_b64 exec, exec, s[6:7]
	s_cbranch_execnz .LBB32_3756
.LBB32_1706:
	s_or_b64 exec, exec, s[6:7]
	s_and_saveexec_b64 s[6:7], s[4:5]
	s_cbranch_execz .LBB32_1708
.LBB32_1707:
	v_bfe_u32 v2, v7, 8, 3
	v_ffbh_u32_e32 v11, v2
	v_min_u32_e32 v11, 32, v11
	v_lshrrev_b16_e32 v10, 3, v6
	v_subrev_u32_e32 v12, 28, v11
	v_and_b32_e32 v10, 15, v10
	v_lshlrev_b32_e32 v6, v12, v6
	v_sub_u32_e32 v11, 29, v11
	v_and_b32_e32 v6, 7, v6
	v_cmp_eq_u16_e32 vcc, 0, v10
	v_cndmask_b32_e32 v2, v2, v6, vcc
	v_cndmask_b32_e32 v6, v10, v11, vcc
	v_lshlrev_b32_e32 v10, 16, v7
	v_mov_b32_e32 v11, 0x3b800000
	v_lshlrev_b32_e32 v2, 20, v2
	v_and_b32_e32 v10, 0x80000000, v10
	v_lshl_add_u32 v6, v6, 23, v11
	v_or3_b32 v2, v10, v6, v2
.LBB32_1708:
	s_or_b64 exec, exec, s[6:7]
	v_lshrrev_b32_e32 v6, 8, v3
	s_movk_i32 s4, 0x7f
	v_cmp_gt_i16_sdwa s[6:7], v6, s4 src0_sel:BYTE_0 src1_sel:DWORD
	s_mov_b64 s[4:5], 0
                                        ; implicit-def: $sgpr10
	s_and_saveexec_b64 s[8:9], s[6:7]
	s_xor_b64 s[6:7], exec, s[8:9]
	s_cbranch_execnz .LBB32_3757
; %bb.1709:
	s_or_saveexec_b64 s[6:7], s[6:7]
	v_mov_b32_e32 v10, s10
	s_xor_b64 exec, exec, s[6:7]
	s_cbranch_execnz .LBB32_3760
.LBB32_1710:
	s_or_b64 exec, exec, s[6:7]
	s_and_saveexec_b64 s[6:7], s[4:5]
	s_cbranch_execz .LBB32_1712
.LBB32_1711:
	v_bfe_u32 v10, v3, 8, 3
	v_ffbh_u32_e32 v12, v10
	v_min_u32_e32 v12, 32, v12
	v_lshrrev_b16_e32 v11, 3, v6
	v_subrev_u32_e32 v13, 28, v12
	v_and_b32_e32 v11, 15, v11
	v_lshlrev_b32_e32 v6, v13, v6
	v_sub_u32_e32 v12, 29, v12
	v_and_b32_e32 v6, 7, v6
	v_cmp_eq_u16_e32 vcc, 0, v11
	v_cndmask_b32_e32 v6, v10, v6, vcc
	v_cndmask_b32_e32 v10, v11, v12, vcc
	v_lshlrev_b32_e32 v11, 16, v3
	v_mov_b32_e32 v12, 0x3b800000
	v_lshlrev_b32_e32 v6, 20, v6
	v_and_b32_e32 v11, 0x80000000, v11
	v_lshl_add_u32 v10, v10, 23, v12
	v_or3_b32 v10, v11, v10, v6
.LBB32_1712:
	s_or_b64 exec, exec, s[6:7]
	s_nop 0
	v_mfma_f32_16x16x4f32 a[0:3], v2, v10, a[0:3]
	s_movk_i32 s4, 0xff
	v_and_b32_sdwa v6, v7, s4 dst_sel:DWORD dst_unused:UNUSED_PAD src0_sel:WORD_1 src1_sel:DWORD
	s_movk_i32 s4, 0x7f
	v_cmp_lt_i16_e32 vcc, s4, v6
	s_mov_b64 s[4:5], 0
                                        ; implicit-def: $sgpr10
	s_and_saveexec_b64 s[6:7], vcc
	s_xor_b64 s[6:7], exec, s[6:7]
	s_cbranch_execnz .LBB32_3761
; %bb.1713:
	s_or_saveexec_b64 s[6:7], s[6:7]
	v_mov_b32_e32 v2, s10
	s_xor_b64 exec, exec, s[6:7]
	s_cbranch_execnz .LBB32_3764
.LBB32_1714:
	s_or_b64 exec, exec, s[6:7]
	s_and_saveexec_b64 s[6:7], s[4:5]
	s_cbranch_execz .LBB32_1716
.LBB32_1715:
	v_bfe_u32 v2, v7, 16, 3
	v_ffbh_u32_e32 v11, v2
	v_min_u32_e32 v11, 32, v11
	v_lshrrev_b32_e32 v6, 19, v7
	v_subrev_u32_e32 v12, 28, v11
	v_and_b32_e32 v6, 15, v6
	v_lshlrev_b32_sdwa v12, v12, v7 dst_sel:DWORD dst_unused:UNUSED_PAD src0_sel:DWORD src1_sel:WORD_1
	v_bfe_u32 v10, v7, 19, 4
	v_sub_u32_e32 v11, 29, v11
	v_and_b32_e32 v12, 7, v12
	v_cmp_eq_u16_e32 vcc, 0, v6
	v_cndmask_b32_e32 v2, v2, v12, vcc
	v_cndmask_b32_e32 v6, v10, v11, vcc
	v_lshlrev_b32_e32 v10, 8, v7
	v_mov_b32_e32 v11, 0x3b800000
	v_lshlrev_b32_e32 v2, 20, v2
	v_and_b32_e32 v10, 0x80000000, v10
	v_lshl_add_u32 v6, v6, 23, v11
	v_or3_b32 v2, v10, v6, v2
.LBB32_1716:
	s_or_b64 exec, exec, s[6:7]
	s_movk_i32 s4, 0xff
	v_and_b32_sdwa v6, v3, s4 dst_sel:DWORD dst_unused:UNUSED_PAD src0_sel:WORD_1 src1_sel:DWORD
	s_movk_i32 s4, 0x7f
	v_cmp_lt_i16_e32 vcc, s4, v6
	s_mov_b64 s[4:5], 0
                                        ; implicit-def: $sgpr10
	s_and_saveexec_b64 s[6:7], vcc
	s_xor_b64 s[6:7], exec, s[6:7]
	s_cbranch_execnz .LBB32_3765
; %bb.1717:
	s_or_saveexec_b64 s[6:7], s[6:7]
	v_mov_b32_e32 v10, s10
	s_xor_b64 exec, exec, s[6:7]
	s_cbranch_execnz .LBB32_3768
.LBB32_1718:
	s_or_b64 exec, exec, s[6:7]
	s_and_saveexec_b64 s[6:7], s[4:5]
	s_cbranch_execz .LBB32_1720
.LBB32_1719:
	v_bfe_u32 v6, v3, 16, 3
	v_ffbh_u32_e32 v12, v6
	v_min_u32_e32 v12, 32, v12
	v_lshrrev_b32_e32 v10, 19, v3
	v_subrev_u32_e32 v13, 28, v12
	v_and_b32_e32 v10, 15, v10
	v_lshlrev_b32_sdwa v13, v13, v3 dst_sel:DWORD dst_unused:UNUSED_PAD src0_sel:DWORD src1_sel:WORD_1
	v_bfe_u32 v11, v3, 19, 4
	v_sub_u32_e32 v12, 29, v12
	v_and_b32_e32 v13, 7, v13
	v_cmp_eq_u16_e32 vcc, 0, v10
	v_cndmask_b32_e32 v6, v6, v13, vcc
	v_cndmask_b32_e32 v10, v11, v12, vcc
	v_lshlrev_b32_e32 v11, 8, v3
	v_mov_b32_e32 v12, 0x3b800000
	v_lshlrev_b32_e32 v6, 20, v6
	v_and_b32_e32 v11, 0x80000000, v11
	v_lshl_add_u32 v10, v10, 23, v12
	v_or3_b32 v10, v11, v10, v6
.LBB32_1720:
	s_or_b64 exec, exec, s[6:7]
	s_nop 0
	v_mfma_f32_16x16x4f32 a[0:3], v2, v10, a[0:3]
	s_movk_i32 s4, 0x7f
	v_cmp_gt_i16_sdwa s[6:7], v7, s4 src0_sel:BYTE_3 src1_sel:DWORD
	s_mov_b64 s[4:5], 0
                                        ; implicit-def: $sgpr10
	s_and_saveexec_b64 s[8:9], s[6:7]
	s_xor_b64 s[6:7], exec, s[8:9]
	s_cbranch_execnz .LBB32_3769
; %bb.1721:
	s_or_saveexec_b64 s[6:7], s[6:7]
	v_mov_b32_e32 v2, s10
	s_xor_b64 exec, exec, s[6:7]
	s_cbranch_execnz .LBB32_3772
.LBB32_1722:
	s_or_b64 exec, exec, s[6:7]
	s_and_saveexec_b64 s[6:7], s[4:5]
	s_cbranch_execz .LBB32_1724
.LBB32_1723:
	v_bfe_u32 v2, v7, 24, 3
	v_ffbh_u32_e32 v12, v2
	v_min_u32_e32 v12, 32, v12
	v_lshrrev_b32_e32 v10, 27, v7
	v_subrev_u32_e32 v13, 28, v12
	v_and_b32_e32 v6, 0x80000000, v7
	v_and_b32_e32 v10, 15, v10
	v_bfe_u32 v11, v7, 27, 4
	v_lshlrev_b32_sdwa v7, v13, v7 dst_sel:DWORD dst_unused:UNUSED_PAD src0_sel:DWORD src1_sel:BYTE_3
	v_sub_u32_e32 v12, 29, v12
	v_and_b32_e32 v7, 7, v7
	v_cmp_eq_u16_e32 vcc, 0, v10
	v_cndmask_b32_e32 v2, v2, v7, vcc
	v_cndmask_b32_e32 v7, v11, v12, vcc
	v_mov_b32_e32 v10, 0x3b800000
	v_lshlrev_b32_e32 v2, 20, v2
	v_lshl_add_u32 v7, v7, 23, v10
	v_or3_b32 v2, v6, v7, v2
.LBB32_1724:
	s_or_b64 exec, exec, s[6:7]
	s_movk_i32 s4, 0x7f
	v_cmp_gt_i16_sdwa s[6:7], v3, s4 src0_sel:BYTE_3 src1_sel:DWORD
	s_mov_b64 s[4:5], 0
                                        ; implicit-def: $sgpr10
	s_and_saveexec_b64 s[8:9], s[6:7]
	s_xor_b64 s[6:7], exec, s[8:9]
	s_cbranch_execnz .LBB32_3773
; %bb.1725:
	s_or_saveexec_b64 s[6:7], s[6:7]
	v_mov_b32_e32 v6, s10
	s_xor_b64 exec, exec, s[6:7]
	s_cbranch_execnz .LBB32_3776
.LBB32_1726:
	s_or_b64 exec, exec, s[6:7]
	s_and_saveexec_b64 s[6:7], s[4:5]
	s_cbranch_execz .LBB32_1728
.LBB32_1727:
	v_bfe_u32 v6, v3, 24, 3
	v_ffbh_u32_e32 v12, v6
	v_min_u32_e32 v12, 32, v12
	v_lshrrev_b32_e32 v10, 27, v3
	v_subrev_u32_e32 v13, 28, v12
	v_and_b32_e32 v7, 0x80000000, v3
	v_and_b32_e32 v10, 15, v10
	v_bfe_u32 v11, v3, 27, 4
	v_lshlrev_b32_sdwa v3, v13, v3 dst_sel:DWORD dst_unused:UNUSED_PAD src0_sel:DWORD src1_sel:BYTE_3
	v_sub_u32_e32 v12, 29, v12
	v_and_b32_e32 v3, 7, v3
	v_cmp_eq_u16_e32 vcc, 0, v10
	v_cndmask_b32_e32 v3, v6, v3, vcc
	v_cndmask_b32_e32 v6, v11, v12, vcc
	v_mov_b32_e32 v10, 0x3b800000
	v_lshlrev_b32_e32 v3, 20, v3
	v_lshl_add_u32 v6, v6, 23, v10
	v_or3_b32 v6, v7, v6, v3
.LBB32_1728:
	s_or_b64 exec, exec, s[6:7]
	s_nop 0
	v_mfma_f32_16x16x4f32 a[0:3], v2, v6, a[0:3]
	s_movk_i32 s4, 0x7f
	v_cmp_gt_i16_sdwa s[6:7], v8, s4 src0_sel:BYTE_0 src1_sel:DWORD
	s_mov_b64 s[4:5], 0
                                        ; implicit-def: $sgpr10
	s_and_saveexec_b64 s[8:9], s[6:7]
	s_xor_b64 s[6:7], exec, s[8:9]
	s_cbranch_execnz .LBB32_3777
; %bb.1729:
	s_or_saveexec_b64 s[6:7], s[6:7]
	v_mov_b32_e32 v2, s10
	s_xor_b64 exec, exec, s[6:7]
	s_cbranch_execnz .LBB32_3780
.LBB32_1730:
	s_or_b64 exec, exec, s[6:7]
	s_and_saveexec_b64 s[6:7], s[4:5]
	s_cbranch_execz .LBB32_1732
.LBB32_1731:
	v_and_b32_e32 v2, 7, v8
	v_ffbh_u32_e32 v6, v2
	v_min_u32_e32 v6, 32, v6
	v_lshrrev_b16_e32 v3, 3, v8
	v_subrev_u32_e32 v7, 28, v6
	v_and_b32_e32 v3, 15, v3
	v_lshlrev_b32_e32 v7, v7, v8
	v_sub_u32_e32 v6, 29, v6
	v_and_b32_e32 v7, 7, v7
	v_cmp_eq_u16_e32 vcc, 0, v3
	v_cndmask_b32_e32 v2, v2, v7, vcc
	v_cndmask_b32_e32 v3, v3, v6, vcc
	v_lshlrev_b32_e32 v6, 24, v8
	v_mov_b32_e32 v7, 0x3b800000
	v_lshlrev_b32_e32 v2, 20, v2
	v_and_b32_e32 v6, 0x80000000, v6
	v_lshl_add_u32 v3, v3, 23, v7
	v_or3_b32 v2, v6, v3, v2
.LBB32_1732:
	s_or_b64 exec, exec, s[6:7]
	s_movk_i32 s4, 0x7f
	v_cmp_gt_i16_sdwa s[6:7], v4, s4 src0_sel:BYTE_0 src1_sel:DWORD
	s_mov_b64 s[4:5], 0
                                        ; implicit-def: $sgpr10
	s_and_saveexec_b64 s[8:9], s[6:7]
	s_xor_b64 s[6:7], exec, s[8:9]
	s_cbranch_execnz .LBB32_3781
; %bb.1733:
	s_or_saveexec_b64 s[6:7], s[6:7]
	v_mov_b32_e32 v3, s10
	s_xor_b64 exec, exec, s[6:7]
	s_cbranch_execnz .LBB32_3784
.LBB32_1734:
	s_or_b64 exec, exec, s[6:7]
	s_and_saveexec_b64 s[6:7], s[4:5]
	s_cbranch_execz .LBB32_1736
.LBB32_1735:
	v_and_b32_e32 v3, 7, v4
	v_ffbh_u32_e32 v7, v3
	v_min_u32_e32 v7, 32, v7
	v_lshrrev_b16_e32 v6, 3, v4
	v_subrev_u32_e32 v10, 28, v7
	v_and_b32_e32 v6, 15, v6
	v_lshlrev_b32_e32 v10, v10, v4
	v_sub_u32_e32 v7, 29, v7
	v_and_b32_e32 v10, 7, v10
	v_cmp_eq_u16_e32 vcc, 0, v6
	v_cndmask_b32_e32 v3, v3, v10, vcc
	v_cndmask_b32_e32 v6, v6, v7, vcc
	v_lshlrev_b32_e32 v7, 24, v4
	v_mov_b32_e32 v10, 0x3b800000
	v_lshlrev_b32_e32 v3, 20, v3
	v_and_b32_e32 v7, 0x80000000, v7
	v_lshl_add_u32 v6, v6, 23, v10
	v_or3_b32 v3, v7, v6, v3
.LBB32_1736:
	s_or_b64 exec, exec, s[6:7]
	s_nop 0
	v_mfma_f32_16x16x4f32 a[0:3], v2, v3, a[0:3]
	v_lshrrev_b32_e32 v3, 8, v8
	s_movk_i32 s4, 0x7f
	v_cmp_gt_i16_sdwa s[6:7], v3, s4 src0_sel:BYTE_0 src1_sel:DWORD
	s_mov_b64 s[4:5], 0
                                        ; implicit-def: $sgpr10
	s_and_saveexec_b64 s[8:9], s[6:7]
	s_xor_b64 s[6:7], exec, s[8:9]
	s_cbranch_execnz .LBB32_3785
; %bb.1737:
	s_or_saveexec_b64 s[6:7], s[6:7]
	v_mov_b32_e32 v2, s10
	s_xor_b64 exec, exec, s[6:7]
	s_cbranch_execnz .LBB32_3788
.LBB32_1738:
	s_or_b64 exec, exec, s[6:7]
	s_and_saveexec_b64 s[6:7], s[4:5]
	s_cbranch_execz .LBB32_1740
.LBB32_1739:
	v_bfe_u32 v2, v8, 8, 3
	v_ffbh_u32_e32 v7, v2
	v_min_u32_e32 v7, 32, v7
	v_lshrrev_b16_e32 v6, 3, v3
	v_subrev_u32_e32 v10, 28, v7
	v_and_b32_e32 v6, 15, v6
	v_lshlrev_b32_e32 v3, v10, v3
	v_sub_u32_e32 v7, 29, v7
	v_and_b32_e32 v3, 7, v3
	v_cmp_eq_u16_e32 vcc, 0, v6
	v_cndmask_b32_e32 v2, v2, v3, vcc
	v_cndmask_b32_e32 v3, v6, v7, vcc
	v_lshlrev_b32_e32 v6, 16, v8
	v_mov_b32_e32 v7, 0x3b800000
	v_lshlrev_b32_e32 v2, 20, v2
	v_and_b32_e32 v6, 0x80000000, v6
	v_lshl_add_u32 v3, v3, 23, v7
	v_or3_b32 v2, v6, v3, v2
.LBB32_1740:
	s_or_b64 exec, exec, s[6:7]
	v_lshrrev_b32_e32 v3, 8, v4
	s_movk_i32 s4, 0x7f
	v_cmp_gt_i16_sdwa s[6:7], v3, s4 src0_sel:BYTE_0 src1_sel:DWORD
	s_mov_b64 s[4:5], 0
                                        ; implicit-def: $sgpr10
	s_and_saveexec_b64 s[8:9], s[6:7]
	s_xor_b64 s[6:7], exec, s[8:9]
	s_cbranch_execnz .LBB32_3789
; %bb.1741:
	s_or_saveexec_b64 s[6:7], s[6:7]
	v_mov_b32_e32 v6, s10
	s_xor_b64 exec, exec, s[6:7]
	s_cbranch_execnz .LBB32_3792
.LBB32_1742:
	s_or_b64 exec, exec, s[6:7]
	s_and_saveexec_b64 s[6:7], s[4:5]
	s_cbranch_execz .LBB32_1744
.LBB32_1743:
	v_bfe_u32 v6, v4, 8, 3
	v_ffbh_u32_e32 v10, v6
	v_min_u32_e32 v10, 32, v10
	v_lshrrev_b16_e32 v7, 3, v3
	v_subrev_u32_e32 v11, 28, v10
	v_and_b32_e32 v7, 15, v7
	v_lshlrev_b32_e32 v3, v11, v3
	v_sub_u32_e32 v10, 29, v10
	v_and_b32_e32 v3, 7, v3
	v_cmp_eq_u16_e32 vcc, 0, v7
	v_cndmask_b32_e32 v3, v6, v3, vcc
	v_cndmask_b32_e32 v6, v7, v10, vcc
	v_lshlrev_b32_e32 v7, 16, v4
	v_mov_b32_e32 v10, 0x3b800000
	v_lshlrev_b32_e32 v3, 20, v3
	v_and_b32_e32 v7, 0x80000000, v7
	v_lshl_add_u32 v6, v6, 23, v10
	v_or3_b32 v6, v7, v6, v3
.LBB32_1744:
	s_or_b64 exec, exec, s[6:7]
	s_nop 0
	v_mfma_f32_16x16x4f32 a[0:3], v2, v6, a[0:3]
	s_movk_i32 s4, 0xff
	v_and_b32_sdwa v3, v8, s4 dst_sel:DWORD dst_unused:UNUSED_PAD src0_sel:WORD_1 src1_sel:DWORD
	s_movk_i32 s4, 0x7f
	v_cmp_lt_i16_e32 vcc, s4, v3
	s_mov_b64 s[4:5], 0
                                        ; implicit-def: $sgpr10
	s_and_saveexec_b64 s[6:7], vcc
	s_xor_b64 s[6:7], exec, s[6:7]
	s_cbranch_execnz .LBB32_3793
; %bb.1745:
	s_or_saveexec_b64 s[6:7], s[6:7]
	v_mov_b32_e32 v2, s10
	s_xor_b64 exec, exec, s[6:7]
	s_cbranch_execnz .LBB32_3796
.LBB32_1746:
	s_or_b64 exec, exec, s[6:7]
	s_and_saveexec_b64 s[6:7], s[4:5]
	s_cbranch_execz .LBB32_1748
.LBB32_1747:
	v_bfe_u32 v2, v8, 16, 3
	v_ffbh_u32_e32 v7, v2
	v_min_u32_e32 v7, 32, v7
	v_lshrrev_b32_e32 v3, 19, v8
	v_subrev_u32_e32 v10, 28, v7
	v_and_b32_e32 v3, 15, v3
	v_lshlrev_b32_sdwa v10, v10, v8 dst_sel:DWORD dst_unused:UNUSED_PAD src0_sel:DWORD src1_sel:WORD_1
	v_bfe_u32 v6, v8, 19, 4
	v_sub_u32_e32 v7, 29, v7
	v_and_b32_e32 v10, 7, v10
	v_cmp_eq_u16_e32 vcc, 0, v3
	v_cndmask_b32_e32 v2, v2, v10, vcc
	v_cndmask_b32_e32 v3, v6, v7, vcc
	v_lshlrev_b32_e32 v6, 8, v8
	v_mov_b32_e32 v7, 0x3b800000
	v_lshlrev_b32_e32 v2, 20, v2
	v_and_b32_e32 v6, 0x80000000, v6
	v_lshl_add_u32 v3, v3, 23, v7
	v_or3_b32 v2, v6, v3, v2
.LBB32_1748:
	s_or_b64 exec, exec, s[6:7]
	s_movk_i32 s4, 0xff
	v_and_b32_sdwa v3, v4, s4 dst_sel:DWORD dst_unused:UNUSED_PAD src0_sel:WORD_1 src1_sel:DWORD
	s_movk_i32 s4, 0x7f
	v_cmp_lt_i16_e32 vcc, s4, v3
	s_mov_b64 s[4:5], 0
                                        ; implicit-def: $sgpr10
	s_and_saveexec_b64 s[6:7], vcc
	s_xor_b64 s[6:7], exec, s[6:7]
	s_cbranch_execnz .LBB32_3797
; %bb.1749:
	s_or_saveexec_b64 s[6:7], s[6:7]
	v_mov_b32_e32 v6, s10
	s_xor_b64 exec, exec, s[6:7]
	s_cbranch_execnz .LBB32_3800
.LBB32_1750:
	s_or_b64 exec, exec, s[6:7]
	s_and_saveexec_b64 s[6:7], s[4:5]
	s_cbranch_execz .LBB32_1752
.LBB32_1751:
	v_bfe_u32 v3, v4, 16, 3
	v_ffbh_u32_e32 v10, v3
	v_min_u32_e32 v10, 32, v10
	v_lshrrev_b32_e32 v6, 19, v4
	v_subrev_u32_e32 v11, 28, v10
	v_and_b32_e32 v6, 15, v6
	v_lshlrev_b32_sdwa v11, v11, v4 dst_sel:DWORD dst_unused:UNUSED_PAD src0_sel:DWORD src1_sel:WORD_1
	v_bfe_u32 v7, v4, 19, 4
	v_sub_u32_e32 v10, 29, v10
	v_and_b32_e32 v11, 7, v11
	v_cmp_eq_u16_e32 vcc, 0, v6
	v_cndmask_b32_e32 v3, v3, v11, vcc
	v_cndmask_b32_e32 v6, v7, v10, vcc
	v_lshlrev_b32_e32 v7, 8, v4
	v_mov_b32_e32 v10, 0x3b800000
	v_lshlrev_b32_e32 v3, 20, v3
	v_and_b32_e32 v7, 0x80000000, v7
	v_lshl_add_u32 v6, v6, 23, v10
	v_or3_b32 v6, v7, v6, v3
.LBB32_1752:
	s_or_b64 exec, exec, s[6:7]
	s_nop 0
	v_mfma_f32_16x16x4f32 a[0:3], v2, v6, a[0:3]
	s_movk_i32 s4, 0x7f
	v_cmp_gt_i16_sdwa s[6:7], v8, s4 src0_sel:BYTE_3 src1_sel:DWORD
	s_mov_b64 s[4:5], 0
                                        ; implicit-def: $sgpr10
	s_and_saveexec_b64 s[8:9], s[6:7]
	s_xor_b64 s[6:7], exec, s[8:9]
	s_cbranch_execnz .LBB32_3801
; %bb.1753:
	s_or_saveexec_b64 s[6:7], s[6:7]
	v_mov_b32_e32 v2, s10
	s_xor_b64 exec, exec, s[6:7]
	s_cbranch_execnz .LBB32_3804
.LBB32_1754:
	s_or_b64 exec, exec, s[6:7]
	s_and_saveexec_b64 s[6:7], s[4:5]
	s_cbranch_execz .LBB32_1756
.LBB32_1755:
	v_bfe_u32 v2, v8, 24, 3
	v_ffbh_u32_e32 v10, v2
	v_min_u32_e32 v10, 32, v10
	v_lshrrev_b32_e32 v6, 27, v8
	v_subrev_u32_e32 v11, 28, v10
	v_and_b32_e32 v3, 0x80000000, v8
	v_and_b32_e32 v6, 15, v6
	v_bfe_u32 v7, v8, 27, 4
	v_lshlrev_b32_sdwa v8, v11, v8 dst_sel:DWORD dst_unused:UNUSED_PAD src0_sel:DWORD src1_sel:BYTE_3
	v_sub_u32_e32 v10, 29, v10
	v_and_b32_e32 v8, 7, v8
	v_cmp_eq_u16_e32 vcc, 0, v6
	v_cndmask_b32_e32 v2, v2, v8, vcc
	v_cndmask_b32_e32 v6, v7, v10, vcc
	v_mov_b32_e32 v7, 0x3b800000
	v_lshlrev_b32_e32 v2, 20, v2
	v_lshl_add_u32 v6, v6, 23, v7
	v_or3_b32 v2, v3, v6, v2
.LBB32_1756:
	s_or_b64 exec, exec, s[6:7]
	s_movk_i32 s4, 0x7f
	v_cmp_gt_i16_sdwa s[6:7], v4, s4 src0_sel:BYTE_3 src1_sel:DWORD
	s_mov_b64 s[4:5], 0
                                        ; implicit-def: $sgpr10
	s_and_saveexec_b64 s[8:9], s[6:7]
	s_xor_b64 s[6:7], exec, s[8:9]
	s_cbranch_execnz .LBB32_3805
; %bb.1757:
	s_or_saveexec_b64 s[6:7], s[6:7]
	v_mov_b32_e32 v3, s10
	s_xor_b64 exec, exec, s[6:7]
	s_cbranch_execnz .LBB32_3808
.LBB32_1758:
	s_or_b64 exec, exec, s[6:7]
	s_and_saveexec_b64 s[6:7], s[4:5]
	s_cbranch_execz .LBB32_1760
.LBB32_1759:
	v_bfe_u32 v3, v4, 24, 3
	v_ffbh_u32_e32 v10, v3
	v_min_u32_e32 v10, 32, v10
	v_lshrrev_b32_e32 v7, 27, v4
	v_subrev_u32_e32 v11, 28, v10
	v_and_b32_e32 v6, 0x80000000, v4
	v_and_b32_e32 v7, 15, v7
	v_bfe_u32 v8, v4, 27, 4
	v_lshlrev_b32_sdwa v4, v11, v4 dst_sel:DWORD dst_unused:UNUSED_PAD src0_sel:DWORD src1_sel:BYTE_3
	v_sub_u32_e32 v10, 29, v10
	v_and_b32_e32 v4, 7, v4
	v_cmp_eq_u16_e32 vcc, 0, v7
	v_cndmask_b32_e32 v3, v3, v4, vcc
	v_cndmask_b32_e32 v4, v8, v10, vcc
	v_mov_b32_e32 v7, 0x3b800000
	v_lshlrev_b32_e32 v3, 20, v3
	v_lshl_add_u32 v4, v4, 23, v7
	v_or3_b32 v3, v6, v4, v3
.LBB32_1760:
	s_or_b64 exec, exec, s[6:7]
	s_nop 0
	v_mfma_f32_16x16x4f32 a[0:3], v2, v3, a[0:3]
	s_movk_i32 s4, 0x7f
	v_cmp_gt_i16_sdwa s[6:7], v9, s4 src0_sel:BYTE_0 src1_sel:DWORD
	s_mov_b64 s[4:5], 0
                                        ; implicit-def: $sgpr10
	s_and_saveexec_b64 s[8:9], s[6:7]
	s_xor_b64 s[6:7], exec, s[8:9]
	s_cbranch_execnz .LBB32_3809
; %bb.1761:
	s_or_saveexec_b64 s[6:7], s[6:7]
	v_mov_b32_e32 v2, s10
	s_xor_b64 exec, exec, s[6:7]
	s_cbranch_execnz .LBB32_3812
.LBB32_1762:
	s_or_b64 exec, exec, s[6:7]
	s_and_saveexec_b64 s[6:7], s[4:5]
	s_cbranch_execz .LBB32_1764
.LBB32_1763:
	v_mov_b32_e32 v2, 8
	v_and_b32_e32 v3, 7, v9
	v_lshrrev_b32_sdwa v2, v2, v9 dst_sel:BYTE_1 dst_unused:UNUSED_PAD src0_sel:DWORD src1_sel:DWORD
	v_ffbh_u32_e32 v4, v3
	v_or_b32_sdwa v2, v9, v2 dst_sel:DWORD dst_unused:UNUSED_PAD src0_sel:BYTE_0 src1_sel:DWORD
	v_min_u32_e32 v4, 32, v4
	v_lshrrev_b16_e32 v2, 3, v2
	v_subrev_u32_e32 v6, 28, v4
	v_and_b32_e32 v2, 15, v2
	v_lshlrev_b32_e32 v6, v6, v9
	v_sub_u32_e32 v4, 29, v4
	v_and_b32_e32 v6, 7, v6
	v_cmp_eq_u16_e32 vcc, 0, v2
	v_cndmask_b32_e32 v3, v3, v6, vcc
	v_cndmask_b32_e32 v2, v2, v4, vcc
	v_lshlrev_b32_e32 v4, 24, v9
	v_mov_b32_e32 v6, 0x3b800000
	v_lshlrev_b32_e32 v3, 20, v3
	v_and_b32_e32 v4, 0x80000000, v4
	v_lshl_add_u32 v2, v2, 23, v6
	v_or3_b32 v2, v4, v2, v3
.LBB32_1764:
	s_or_b64 exec, exec, s[6:7]
	s_movk_i32 s4, 0x7f
	v_cmp_gt_i16_sdwa s[6:7], v5, s4 src0_sel:BYTE_0 src1_sel:DWORD
	s_mov_b64 s[4:5], 0
                                        ; implicit-def: $sgpr10
	s_and_saveexec_b64 s[8:9], s[6:7]
	s_xor_b64 s[6:7], exec, s[8:9]
	s_cbranch_execnz .LBB32_3813
; %bb.1765:
	s_or_saveexec_b64 s[6:7], s[6:7]
	v_mov_b32_e32 v3, s10
	s_xor_b64 exec, exec, s[6:7]
	s_cbranch_execnz .LBB32_3816
.LBB32_1766:
	s_or_b64 exec, exec, s[6:7]
	s_and_saveexec_b64 s[6:7], s[4:5]
	s_cbranch_execz .LBB32_1768
.LBB32_1767:
	v_mov_b32_e32 v3, 8
	v_and_b32_e32 v4, 7, v5
	v_lshrrev_b32_sdwa v3, v3, v5 dst_sel:BYTE_1 dst_unused:UNUSED_PAD src0_sel:DWORD src1_sel:DWORD
	v_ffbh_u32_e32 v6, v4
	v_or_b32_sdwa v3, v5, v3 dst_sel:DWORD dst_unused:UNUSED_PAD src0_sel:BYTE_0 src1_sel:DWORD
	v_min_u32_e32 v6, 32, v6
	v_lshrrev_b16_e32 v3, 3, v3
	v_subrev_u32_e32 v7, 28, v6
	v_and_b32_e32 v3, 15, v3
	v_lshlrev_b32_e32 v7, v7, v5
	v_sub_u32_e32 v6, 29, v6
	v_and_b32_e32 v7, 7, v7
	v_cmp_eq_u16_e32 vcc, 0, v3
	v_cndmask_b32_e32 v4, v4, v7, vcc
	v_cndmask_b32_e32 v3, v3, v6, vcc
	v_lshlrev_b32_e32 v6, 24, v5
	v_mov_b32_e32 v7, 0x3b800000
	v_lshlrev_b32_e32 v4, 20, v4
	v_and_b32_e32 v6, 0x80000000, v6
	v_lshl_add_u32 v3, v3, 23, v7
	v_or3_b32 v3, v6, v3, v4
.LBB32_1768:
	s_or_b64 exec, exec, s[6:7]
	s_nop 0
	v_mfma_f32_16x16x4f32 a[0:3], v2, v3, a[0:3]
	v_lshrrev_b32_e32 v3, 8, v9
	s_movk_i32 s4, 0x7f
	v_cmp_gt_i16_sdwa s[6:7], v3, s4 src0_sel:BYTE_0 src1_sel:DWORD
	s_mov_b64 s[4:5], 0
                                        ; implicit-def: $sgpr10
	s_and_saveexec_b64 s[8:9], s[6:7]
	s_xor_b64 s[6:7], exec, s[8:9]
	s_cbranch_execnz .LBB32_3817
; %bb.1769:
	s_or_saveexec_b64 s[6:7], s[6:7]
	v_mov_b32_e32 v2, s10
	s_xor_b64 exec, exec, s[6:7]
	s_cbranch_execnz .LBB32_3820
.LBB32_1770:
	s_or_b64 exec, exec, s[6:7]
	s_and_saveexec_b64 s[6:7], s[4:5]
	s_cbranch_execz .LBB32_1772
.LBB32_1771:
	v_bfe_u32 v2, v9, 8, 3
	v_ffbh_u32_e32 v6, v2
	v_min_u32_e32 v6, 32, v6
	v_lshrrev_b16_e32 v4, 3, v3
	v_subrev_u32_e32 v7, 28, v6
	v_and_b32_e32 v4, 15, v4
	v_lshlrev_b32_e32 v3, v7, v3
	v_sub_u32_e32 v6, 29, v6
	v_and_b32_e32 v3, 7, v3
	v_cmp_eq_u16_e32 vcc, 0, v4
	v_cndmask_b32_e32 v2, v2, v3, vcc
	v_cndmask_b32_e32 v3, v4, v6, vcc
	v_lshlrev_b32_e32 v4, 16, v9
	v_mov_b32_e32 v6, 0x3b800000
	v_lshlrev_b32_e32 v2, 20, v2
	v_and_b32_e32 v4, 0x80000000, v4
	v_lshl_add_u32 v3, v3, 23, v6
	v_or3_b32 v2, v4, v3, v2
.LBB32_1772:
	s_or_b64 exec, exec, s[6:7]
	v_lshrrev_b32_e32 v3, 8, v5
	s_movk_i32 s4, 0x7f
	v_cmp_gt_i16_sdwa s[6:7], v3, s4 src0_sel:BYTE_0 src1_sel:DWORD
	s_mov_b64 s[4:5], 0
                                        ; implicit-def: $sgpr10
	s_and_saveexec_b64 s[8:9], s[6:7]
	s_xor_b64 s[6:7], exec, s[8:9]
	s_cbranch_execnz .LBB32_3821
; %bb.1773:
	s_or_saveexec_b64 s[6:7], s[6:7]
	v_mov_b32_e32 v4, s10
	s_xor_b64 exec, exec, s[6:7]
	s_cbranch_execnz .LBB32_3824
.LBB32_1774:
	s_or_b64 exec, exec, s[6:7]
	s_and_saveexec_b64 s[6:7], s[4:5]
	s_cbranch_execz .LBB32_1776
.LBB32_1775:
	v_bfe_u32 v4, v5, 8, 3
	v_ffbh_u32_e32 v7, v4
	v_min_u32_e32 v7, 32, v7
	v_lshrrev_b16_e32 v6, 3, v3
	v_subrev_u32_e32 v8, 28, v7
	v_and_b32_e32 v6, 15, v6
	v_lshlrev_b32_e32 v3, v8, v3
	v_sub_u32_e32 v7, 29, v7
	v_and_b32_e32 v3, 7, v3
	v_cmp_eq_u16_e32 vcc, 0, v6
	v_cndmask_b32_e32 v3, v4, v3, vcc
	v_cndmask_b32_e32 v4, v6, v7, vcc
	v_lshlrev_b32_e32 v6, 16, v5
	v_mov_b32_e32 v7, 0x3b800000
	v_lshlrev_b32_e32 v3, 20, v3
	v_and_b32_e32 v6, 0x80000000, v6
	v_lshl_add_u32 v4, v4, 23, v7
	v_or3_b32 v4, v6, v4, v3
.LBB32_1776:
	s_or_b64 exec, exec, s[6:7]
	s_nop 0
	v_mfma_f32_16x16x4f32 a[0:3], v2, v4, a[0:3]
	s_movk_i32 s4, 0xff
	v_and_b32_sdwa v3, v9, s4 dst_sel:DWORD dst_unused:UNUSED_PAD src0_sel:WORD_1 src1_sel:DWORD
	s_movk_i32 s4, 0x7f
	v_cmp_lt_i16_e32 vcc, s4, v3
	s_mov_b64 s[4:5], 0
                                        ; implicit-def: $sgpr10
	s_and_saveexec_b64 s[6:7], vcc
	s_xor_b64 s[6:7], exec, s[6:7]
	s_cbranch_execnz .LBB32_3825
; %bb.1777:
	s_or_saveexec_b64 s[6:7], s[6:7]
	v_mov_b32_e32 v2, s10
	s_xor_b64 exec, exec, s[6:7]
	s_cbranch_execnz .LBB32_3828
.LBB32_1778:
	s_or_b64 exec, exec, s[6:7]
	s_and_saveexec_b64 s[6:7], s[4:5]
	s_cbranch_execz .LBB32_1780
.LBB32_1779:
	v_bfe_u32 v2, v9, 16, 3
	v_ffbh_u32_e32 v6, v2
	v_min_u32_e32 v6, 32, v6
	v_lshrrev_b32_e32 v3, 19, v9
	v_subrev_u32_e32 v7, 28, v6
	v_and_b32_e32 v3, 15, v3
	v_lshlrev_b32_sdwa v7, v7, v9 dst_sel:DWORD dst_unused:UNUSED_PAD src0_sel:DWORD src1_sel:WORD_1
	v_bfe_u32 v4, v9, 19, 4
	v_sub_u32_e32 v6, 29, v6
	v_and_b32_e32 v7, 7, v7
	v_cmp_eq_u16_e32 vcc, 0, v3
	v_cndmask_b32_e32 v2, v2, v7, vcc
	v_cndmask_b32_e32 v3, v4, v6, vcc
	v_lshlrev_b32_e32 v4, 8, v9
	v_mov_b32_e32 v6, 0x3b800000
	v_lshlrev_b32_e32 v2, 20, v2
	v_and_b32_e32 v4, 0x80000000, v4
	v_lshl_add_u32 v3, v3, 23, v6
	v_or3_b32 v2, v4, v3, v2
.LBB32_1780:
	s_or_b64 exec, exec, s[6:7]
	s_movk_i32 s4, 0xff
	v_and_b32_sdwa v3, v5, s4 dst_sel:DWORD dst_unused:UNUSED_PAD src0_sel:WORD_1 src1_sel:DWORD
	s_movk_i32 s4, 0x7f
	v_cmp_lt_i16_e32 vcc, s4, v3
	s_mov_b64 s[4:5], 0
                                        ; implicit-def: $sgpr10
	s_and_saveexec_b64 s[6:7], vcc
	s_xor_b64 s[6:7], exec, s[6:7]
	s_cbranch_execnz .LBB32_3829
; %bb.1781:
	s_or_saveexec_b64 s[6:7], s[6:7]
	v_mov_b32_e32 v4, s10
	s_xor_b64 exec, exec, s[6:7]
	s_cbranch_execnz .LBB32_3832
.LBB32_1782:
	s_or_b64 exec, exec, s[6:7]
	s_and_saveexec_b64 s[6:7], s[4:5]
	s_cbranch_execz .LBB32_1784
.LBB32_1783:
	v_bfe_u32 v3, v5, 16, 3
	v_ffbh_u32_e32 v7, v3
	v_min_u32_e32 v7, 32, v7
	v_lshrrev_b32_e32 v4, 19, v5
	v_subrev_u32_e32 v8, 28, v7
	v_and_b32_e32 v4, 15, v4
	v_lshlrev_b32_sdwa v8, v8, v5 dst_sel:DWORD dst_unused:UNUSED_PAD src0_sel:DWORD src1_sel:WORD_1
	v_bfe_u32 v6, v5, 19, 4
	v_sub_u32_e32 v7, 29, v7
	v_and_b32_e32 v8, 7, v8
	v_cmp_eq_u16_e32 vcc, 0, v4
	v_cndmask_b32_e32 v3, v3, v8, vcc
	v_cndmask_b32_e32 v4, v6, v7, vcc
	v_lshlrev_b32_e32 v6, 8, v5
	v_mov_b32_e32 v7, 0x3b800000
	v_lshlrev_b32_e32 v3, 20, v3
	v_and_b32_e32 v6, 0x80000000, v6
	v_lshl_add_u32 v4, v4, 23, v7
	v_or3_b32 v4, v6, v4, v3
.LBB32_1784:
	s_or_b64 exec, exec, s[6:7]
	s_nop 0
	v_mfma_f32_16x16x4f32 a[0:3], v2, v4, a[0:3]
	s_movk_i32 s4, 0x7f
	v_cmp_gt_i16_sdwa s[6:7], v9, s4 src0_sel:BYTE_3 src1_sel:DWORD
	s_mov_b64 s[4:5], 0
                                        ; implicit-def: $sgpr10
	s_and_saveexec_b64 s[8:9], s[6:7]
	s_xor_b64 s[6:7], exec, s[8:9]
	s_cbranch_execnz .LBB32_3833
; %bb.1785:
	s_or_saveexec_b64 s[6:7], s[6:7]
	v_mov_b32_e32 v2, s10
	s_xor_b64 exec, exec, s[6:7]
	s_cbranch_execnz .LBB32_3836
.LBB32_1786:
	s_or_b64 exec, exec, s[6:7]
	s_and_saveexec_b64 s[6:7], s[4:5]
	s_cbranch_execz .LBB32_1788
.LBB32_1787:
	v_bfe_u32 v2, v9, 24, 3
	v_ffbh_u32_e32 v7, v2
	v_min_u32_e32 v7, 32, v7
	v_lshrrev_b32_e32 v4, 27, v9
	v_subrev_u32_e32 v8, 28, v7
	v_and_b32_e32 v4, 15, v4
	v_lshlrev_b32_sdwa v8, v8, v9 dst_sel:DWORD dst_unused:UNUSED_PAD src0_sel:DWORD src1_sel:BYTE_3
	v_bfe_u32 v6, v9, 27, 4
	v_sub_u32_e32 v7, 29, v7
	v_and_b32_e32 v8, 7, v8
	v_cmp_eq_u16_e32 vcc, 0, v4
	v_cndmask_b32_e32 v2, v2, v8, vcc
	v_cndmask_b32_e32 v4, v6, v7, vcc
	v_mov_b32_e32 v6, 0x3b800000
	v_and_b32_e32 v3, 0x80000000, v9
	v_lshlrev_b32_e32 v2, 20, v2
	v_lshl_add_u32 v4, v4, 23, v6
	v_or3_b32 v2, v3, v4, v2
.LBB32_1788:
	s_or_b64 exec, exec, s[6:7]
	s_movk_i32 s4, 0x7f
	v_cmp_gt_i16_sdwa s[6:7], v5, s4 src0_sel:BYTE_3 src1_sel:DWORD
	s_mov_b64 s[4:5], 0
                                        ; implicit-def: $sgpr10
	s_and_saveexec_b64 s[8:9], s[6:7]
	s_xor_b64 s[6:7], exec, s[8:9]
	s_cbranch_execnz .LBB32_3837
; %bb.1789:
	s_or_saveexec_b64 s[6:7], s[6:7]
	v_mov_b32_e32 v3, s10
	s_xor_b64 exec, exec, s[6:7]
	s_cbranch_execnz .LBB32_3840
.LBB32_1790:
	s_or_b64 exec, exec, s[6:7]
	s_and_saveexec_b64 s[6:7], s[4:5]
	s_cbranch_execz .LBB32_1792
.LBB32_1791:
	v_bfe_u32 v3, v5, 24, 3
	v_ffbh_u32_e32 v8, v3
	v_min_u32_e32 v8, 32, v8
	v_lshrrev_b32_e32 v6, 27, v5
	v_subrev_u32_e32 v9, 28, v8
	v_and_b32_e32 v4, 0x80000000, v5
	v_and_b32_e32 v6, 15, v6
	v_bfe_u32 v7, v5, 27, 4
	v_lshlrev_b32_sdwa v5, v9, v5 dst_sel:DWORD dst_unused:UNUSED_PAD src0_sel:DWORD src1_sel:BYTE_3
	v_sub_u32_e32 v8, 29, v8
	v_and_b32_e32 v5, 7, v5
	v_cmp_eq_u16_e32 vcc, 0, v6
	v_cndmask_b32_e32 v3, v3, v5, vcc
	v_cndmask_b32_e32 v5, v7, v8, vcc
	v_mov_b32_e32 v6, 0x3b800000
	v_lshlrev_b32_e32 v3, 20, v3
	v_lshl_add_u32 v5, v5, 23, v6
	v_or3_b32 v3, v4, v5, v3
.LBB32_1792:
	s_or_b64 exec, exec, s[6:7]
	s_nop 0
	v_mfma_f32_16x16x4f32 a[0:3], v2, v3, a[0:3]
	s_movk_i32 s4, 0x7f
                                        ; implicit-def: $sgpr10
	s_nop 7
	s_nop 1
	flat_store_dwordx4 v[18:19], a[0:3] offset:608
	flat_load_dwordx4 v[18:21], v[0:1] offset:16
	s_nop 0
	flat_load_dwordx2 v[16:17], v[0:1] offset:32
	s_waitcnt vmcnt(0) lgkmcnt(0)
	flat_load_dwordx4 v[12:15], v[18:19]
	flat_load_dwordx4 v[4:7], v[18:19] offset:16
	flat_load_dwordx4 v[8:11], v[20:21] offset:224
	;; [unrolled: 1-line block ×3, first 2 shown]
	s_waitcnt vmcnt(0) lgkmcnt(0)
	v_cmp_gt_i16_sdwa s[6:7], v12, s4 src0_sel:BYTE_0 src1_sel:DWORD
	s_mov_b64 s[4:5], 0
	s_and_saveexec_b64 s[8:9], s[6:7]
	s_xor_b64 s[6:7], exec, s[8:9]
	s_cbranch_execnz .LBB32_3841
; %bb.1793:
	s_or_saveexec_b64 s[6:7], s[6:7]
	v_mov_b32_e32 v18, s10
	s_xor_b64 exec, exec, s[6:7]
	s_cbranch_execnz .LBB32_3844
.LBB32_1794:
	s_or_b64 exec, exec, s[6:7]
	s_and_saveexec_b64 s[6:7], s[4:5]
	s_cbranch_execz .LBB32_1796
.LBB32_1795:
	v_and_b32_e32 v18, 7, v12
	v_ffbh_u32_e32 v20, v18
	v_min_u32_e32 v20, 32, v20
	v_lshrrev_b16_e32 v19, 3, v12
	v_subrev_u32_e32 v21, 28, v20
	v_and_b32_e32 v19, 15, v19
	v_lshlrev_b32_e32 v21, v21, v12
	v_sub_u32_e32 v20, 29, v20
	v_and_b32_e32 v21, 7, v21
	v_cmp_eq_u16_e32 vcc, 0, v19
	v_cndmask_b32_e32 v18, v18, v21, vcc
	v_cndmask_b32_e32 v19, v19, v20, vcc
	v_lshlrev_b32_e32 v20, 24, v12
	v_mov_b32_e32 v21, 0x3b800000
	v_lshlrev_b32_e32 v18, 20, v18
	v_and_b32_e32 v20, 0x80000000, v20
	v_lshl_add_u32 v19, v19, 23, v21
	v_or3_b32 v18, v20, v19, v18
.LBB32_1796:
	s_or_b64 exec, exec, s[6:7]
	s_movk_i32 s4, 0x7f
	v_cmp_gt_i16_sdwa s[6:7], v8, s4 src0_sel:BYTE_0 src1_sel:DWORD
	s_mov_b64 s[4:5], 0
                                        ; implicit-def: $sgpr10
	s_and_saveexec_b64 s[8:9], s[6:7]
	s_xor_b64 s[6:7], exec, s[8:9]
	s_cbranch_execnz .LBB32_3845
; %bb.1797:
	s_or_saveexec_b64 s[6:7], s[6:7]
	v_mov_b32_e32 v19, s10
	s_xor_b64 exec, exec, s[6:7]
	s_cbranch_execnz .LBB32_3848
.LBB32_1798:
	s_or_b64 exec, exec, s[6:7]
	s_and_saveexec_b64 s[6:7], s[4:5]
	s_cbranch_execz .LBB32_1800
.LBB32_1799:
	v_and_b32_e32 v19, 7, v8
	v_ffbh_u32_e32 v21, v19
	v_min_u32_e32 v21, 32, v21
	v_lshrrev_b16_e32 v20, 3, v8
	v_subrev_u32_e32 v22, 28, v21
	v_and_b32_e32 v20, 15, v20
	v_lshlrev_b32_e32 v22, v22, v8
	v_sub_u32_e32 v21, 29, v21
	v_and_b32_e32 v22, 7, v22
	v_cmp_eq_u16_e32 vcc, 0, v20
	v_cndmask_b32_e32 v19, v19, v22, vcc
	v_cndmask_b32_e32 v20, v20, v21, vcc
	v_lshlrev_b32_e32 v21, 24, v8
	v_mov_b32_e32 v22, 0x3b800000
	v_lshlrev_b32_e32 v19, 20, v19
	v_and_b32_e32 v21, 0x80000000, v21
	v_lshl_add_u32 v20, v20, 23, v22
	v_or3_b32 v19, v21, v20, v19
.LBB32_1800:
	s_or_b64 exec, exec, s[6:7]
	flat_load_dwordx4 a[0:3], v[16:17] offset:624
	s_movk_i32 s4, 0x7f
                                        ; implicit-def: $sgpr10
	s_waitcnt vmcnt(0) lgkmcnt(0)
	v_mfma_f32_16x16x4f32 a[0:3], v18, v19, a[0:3]
	v_lshrrev_b32_e32 v19, 8, v12
	v_cmp_gt_i16_sdwa s[6:7], v19, s4 src0_sel:BYTE_0 src1_sel:DWORD
	s_mov_b64 s[4:5], 0
	s_and_saveexec_b64 s[8:9], s[6:7]
	s_xor_b64 s[6:7], exec, s[8:9]
	s_cbranch_execnz .LBB32_3849
; %bb.1801:
	s_or_saveexec_b64 s[6:7], s[6:7]
	v_mov_b32_e32 v18, s10
	s_xor_b64 exec, exec, s[6:7]
	s_cbranch_execnz .LBB32_3852
.LBB32_1802:
	s_or_b64 exec, exec, s[6:7]
	s_and_saveexec_b64 s[6:7], s[4:5]
	s_cbranch_execz .LBB32_1804
.LBB32_1803:
	v_bfe_u32 v18, v12, 8, 3
	v_ffbh_u32_e32 v21, v18
	v_min_u32_e32 v21, 32, v21
	v_lshrrev_b16_e32 v20, 3, v19
	v_subrev_u32_e32 v22, 28, v21
	v_and_b32_e32 v20, 15, v20
	v_lshlrev_b32_e32 v19, v22, v19
	v_sub_u32_e32 v21, 29, v21
	v_and_b32_e32 v19, 7, v19
	v_cmp_eq_u16_e32 vcc, 0, v20
	v_cndmask_b32_e32 v18, v18, v19, vcc
	v_cndmask_b32_e32 v19, v20, v21, vcc
	v_lshlrev_b32_e32 v20, 16, v12
	v_mov_b32_e32 v21, 0x3b800000
	v_lshlrev_b32_e32 v18, 20, v18
	v_and_b32_e32 v20, 0x80000000, v20
	v_lshl_add_u32 v19, v19, 23, v21
	v_or3_b32 v18, v20, v19, v18
.LBB32_1804:
	s_or_b64 exec, exec, s[6:7]
	v_lshrrev_b32_e32 v19, 8, v8
	s_movk_i32 s4, 0x7f
	v_cmp_gt_i16_sdwa s[6:7], v19, s4 src0_sel:BYTE_0 src1_sel:DWORD
	s_mov_b64 s[4:5], 0
                                        ; implicit-def: $sgpr10
	s_and_saveexec_b64 s[8:9], s[6:7]
	s_xor_b64 s[6:7], exec, s[8:9]
	s_cbranch_execnz .LBB32_3853
; %bb.1805:
	s_or_saveexec_b64 s[6:7], s[6:7]
	v_mov_b32_e32 v20, s10
	s_xor_b64 exec, exec, s[6:7]
	s_cbranch_execnz .LBB32_3856
.LBB32_1806:
	s_or_b64 exec, exec, s[6:7]
	s_and_saveexec_b64 s[6:7], s[4:5]
	s_cbranch_execz .LBB32_1808
.LBB32_1807:
	v_bfe_u32 v20, v8, 8, 3
	v_ffbh_u32_e32 v22, v20
	v_min_u32_e32 v22, 32, v22
	v_lshrrev_b16_e32 v21, 3, v19
	v_subrev_u32_e32 v23, 28, v22
	v_and_b32_e32 v21, 15, v21
	v_lshlrev_b32_e32 v19, v23, v19
	v_sub_u32_e32 v22, 29, v22
	v_and_b32_e32 v19, 7, v19
	v_cmp_eq_u16_e32 vcc, 0, v21
	v_cndmask_b32_e32 v19, v20, v19, vcc
	v_cndmask_b32_e32 v20, v21, v22, vcc
	v_lshlrev_b32_e32 v21, 16, v8
	v_mov_b32_e32 v22, 0x3b800000
	v_lshlrev_b32_e32 v19, 20, v19
	v_and_b32_e32 v21, 0x80000000, v21
	v_lshl_add_u32 v20, v20, 23, v22
	v_or3_b32 v20, v21, v20, v19
.LBB32_1808:
	s_or_b64 exec, exec, s[6:7]
	s_nop 0
	v_mfma_f32_16x16x4f32 a[0:3], v18, v20, a[0:3]
	s_movk_i32 s4, 0xff
	v_and_b32_sdwa v19, v12, s4 dst_sel:DWORD dst_unused:UNUSED_PAD src0_sel:WORD_1 src1_sel:DWORD
	s_movk_i32 s4, 0x7f
	v_cmp_lt_i16_e32 vcc, s4, v19
	s_mov_b64 s[4:5], 0
                                        ; implicit-def: $sgpr10
	s_and_saveexec_b64 s[6:7], vcc
	s_xor_b64 s[6:7], exec, s[6:7]
	s_cbranch_execnz .LBB32_3857
; %bb.1809:
	s_or_saveexec_b64 s[6:7], s[6:7]
	v_mov_b32_e32 v18, s10
	s_xor_b64 exec, exec, s[6:7]
	s_cbranch_execnz .LBB32_3860
.LBB32_1810:
	s_or_b64 exec, exec, s[6:7]
	s_and_saveexec_b64 s[6:7], s[4:5]
	s_cbranch_execz .LBB32_1812
.LBB32_1811:
	v_bfe_u32 v18, v12, 16, 3
	v_ffbh_u32_e32 v21, v18
	v_min_u32_e32 v21, 32, v21
	v_lshrrev_b32_e32 v19, 19, v12
	v_subrev_u32_e32 v22, 28, v21
	v_and_b32_e32 v19, 15, v19
	v_lshlrev_b32_sdwa v22, v22, v12 dst_sel:DWORD dst_unused:UNUSED_PAD src0_sel:DWORD src1_sel:WORD_1
	v_bfe_u32 v20, v12, 19, 4
	v_sub_u32_e32 v21, 29, v21
	v_and_b32_e32 v22, 7, v22
	v_cmp_eq_u16_e32 vcc, 0, v19
	v_cndmask_b32_e32 v18, v18, v22, vcc
	v_cndmask_b32_e32 v19, v20, v21, vcc
	v_lshlrev_b32_e32 v20, 8, v12
	v_mov_b32_e32 v21, 0x3b800000
	v_lshlrev_b32_e32 v18, 20, v18
	v_and_b32_e32 v20, 0x80000000, v20
	v_lshl_add_u32 v19, v19, 23, v21
	v_or3_b32 v18, v20, v19, v18
.LBB32_1812:
	s_or_b64 exec, exec, s[6:7]
	s_movk_i32 s4, 0xff
	v_and_b32_sdwa v19, v8, s4 dst_sel:DWORD dst_unused:UNUSED_PAD src0_sel:WORD_1 src1_sel:DWORD
	s_movk_i32 s4, 0x7f
	v_cmp_lt_i16_e32 vcc, s4, v19
	s_mov_b64 s[4:5], 0
                                        ; implicit-def: $sgpr10
	s_and_saveexec_b64 s[6:7], vcc
	s_xor_b64 s[6:7], exec, s[6:7]
	s_cbranch_execnz .LBB32_3861
; %bb.1813:
	s_or_saveexec_b64 s[6:7], s[6:7]
	v_mov_b32_e32 v20, s10
	s_xor_b64 exec, exec, s[6:7]
	s_cbranch_execnz .LBB32_3864
.LBB32_1814:
	s_or_b64 exec, exec, s[6:7]
	s_and_saveexec_b64 s[6:7], s[4:5]
	s_cbranch_execz .LBB32_1816
.LBB32_1815:
	v_bfe_u32 v19, v8, 16, 3
	v_ffbh_u32_e32 v22, v19
	v_min_u32_e32 v22, 32, v22
	v_lshrrev_b32_e32 v20, 19, v8
	v_subrev_u32_e32 v23, 28, v22
	v_and_b32_e32 v20, 15, v20
	v_lshlrev_b32_sdwa v23, v23, v8 dst_sel:DWORD dst_unused:UNUSED_PAD src0_sel:DWORD src1_sel:WORD_1
	v_bfe_u32 v21, v8, 19, 4
	v_sub_u32_e32 v22, 29, v22
	v_and_b32_e32 v23, 7, v23
	v_cmp_eq_u16_e32 vcc, 0, v20
	v_cndmask_b32_e32 v19, v19, v23, vcc
	v_cndmask_b32_e32 v20, v21, v22, vcc
	v_lshlrev_b32_e32 v21, 8, v8
	v_mov_b32_e32 v22, 0x3b800000
	v_lshlrev_b32_e32 v19, 20, v19
	v_and_b32_e32 v21, 0x80000000, v21
	v_lshl_add_u32 v20, v20, 23, v22
	v_or3_b32 v20, v21, v20, v19
.LBB32_1816:
	s_or_b64 exec, exec, s[6:7]
	s_nop 0
	v_mfma_f32_16x16x4f32 a[0:3], v18, v20, a[0:3]
	s_movk_i32 s4, 0x7f
	v_cmp_gt_i16_sdwa s[6:7], v12, s4 src0_sel:BYTE_3 src1_sel:DWORD
	s_mov_b64 s[4:5], 0
                                        ; implicit-def: $sgpr10
	s_and_saveexec_b64 s[8:9], s[6:7]
	s_xor_b64 s[6:7], exec, s[8:9]
	s_cbranch_execnz .LBB32_3865
; %bb.1817:
	s_or_saveexec_b64 s[6:7], s[6:7]
	v_mov_b32_e32 v18, s10
	s_xor_b64 exec, exec, s[6:7]
	s_cbranch_execnz .LBB32_3868
.LBB32_1818:
	s_or_b64 exec, exec, s[6:7]
	s_and_saveexec_b64 s[6:7], s[4:5]
	s_cbranch_execz .LBB32_1820
.LBB32_1819:
	v_bfe_u32 v18, v12, 24, 3
	v_ffbh_u32_e32 v22, v18
	v_min_u32_e32 v22, 32, v22
	v_lshrrev_b32_e32 v20, 27, v12
	v_subrev_u32_e32 v23, 28, v22
	v_and_b32_e32 v19, 0x80000000, v12
	v_and_b32_e32 v20, 15, v20
	v_bfe_u32 v21, v12, 27, 4
	v_lshlrev_b32_sdwa v12, v23, v12 dst_sel:DWORD dst_unused:UNUSED_PAD src0_sel:DWORD src1_sel:BYTE_3
	v_sub_u32_e32 v22, 29, v22
	v_and_b32_e32 v12, 7, v12
	v_cmp_eq_u16_e32 vcc, 0, v20
	v_cndmask_b32_e32 v12, v18, v12, vcc
	v_cndmask_b32_e32 v18, v21, v22, vcc
	v_mov_b32_e32 v20, 0x3b800000
	v_lshlrev_b32_e32 v12, 20, v12
	v_lshl_add_u32 v18, v18, 23, v20
	v_or3_b32 v18, v19, v18, v12
.LBB32_1820:
	s_or_b64 exec, exec, s[6:7]
	s_movk_i32 s4, 0x7f
	v_cmp_gt_i16_sdwa s[6:7], v8, s4 src0_sel:BYTE_3 src1_sel:DWORD
	s_mov_b64 s[4:5], 0
                                        ; implicit-def: $sgpr10
	s_and_saveexec_b64 s[8:9], s[6:7]
	s_xor_b64 s[6:7], exec, s[8:9]
	s_cbranch_execnz .LBB32_3869
; %bb.1821:
	s_or_saveexec_b64 s[6:7], s[6:7]
	v_mov_b32_e32 v12, s10
	s_xor_b64 exec, exec, s[6:7]
	s_cbranch_execnz .LBB32_3872
.LBB32_1822:
	s_or_b64 exec, exec, s[6:7]
	s_and_saveexec_b64 s[6:7], s[4:5]
	s_cbranch_execz .LBB32_1824
.LBB32_1823:
	v_bfe_u32 v12, v8, 24, 3
	v_ffbh_u32_e32 v22, v12
	v_min_u32_e32 v22, 32, v22
	v_lshrrev_b32_e32 v20, 27, v8
	v_subrev_u32_e32 v23, 28, v22
	v_and_b32_e32 v19, 0x80000000, v8
	v_and_b32_e32 v20, 15, v20
	v_bfe_u32 v21, v8, 27, 4
	v_lshlrev_b32_sdwa v8, v23, v8 dst_sel:DWORD dst_unused:UNUSED_PAD src0_sel:DWORD src1_sel:BYTE_3
	v_sub_u32_e32 v22, 29, v22
	v_and_b32_e32 v8, 7, v8
	v_cmp_eq_u16_e32 vcc, 0, v20
	v_cndmask_b32_e32 v8, v12, v8, vcc
	v_cndmask_b32_e32 v12, v21, v22, vcc
	v_mov_b32_e32 v20, 0x3b800000
	v_lshlrev_b32_e32 v8, 20, v8
	v_lshl_add_u32 v12, v12, 23, v20
	v_or3_b32 v12, v19, v12, v8
.LBB32_1824:
	s_or_b64 exec, exec, s[6:7]
	s_nop 0
	v_mfma_f32_16x16x4f32 a[0:3], v18, v12, a[0:3]
	s_movk_i32 s4, 0x7f
	v_cmp_gt_i16_sdwa s[6:7], v13, s4 src0_sel:BYTE_0 src1_sel:DWORD
	s_mov_b64 s[4:5], 0
                                        ; implicit-def: $sgpr10
	s_and_saveexec_b64 s[8:9], s[6:7]
	s_xor_b64 s[6:7], exec, s[8:9]
	s_cbranch_execnz .LBB32_3873
; %bb.1825:
	s_or_saveexec_b64 s[6:7], s[6:7]
	v_mov_b32_e32 v8, s10
	s_xor_b64 exec, exec, s[6:7]
	s_cbranch_execnz .LBB32_3876
.LBB32_1826:
	s_or_b64 exec, exec, s[6:7]
	s_and_saveexec_b64 s[6:7], s[4:5]
	s_cbranch_execz .LBB32_1828
.LBB32_1827:
	v_and_b32_e32 v8, 7, v13
	v_ffbh_u32_e32 v18, v8
	v_min_u32_e32 v18, 32, v18
	v_lshrrev_b16_e32 v12, 3, v13
	v_subrev_u32_e32 v19, 28, v18
	v_and_b32_e32 v12, 15, v12
	v_lshlrev_b32_e32 v19, v19, v13
	v_sub_u32_e32 v18, 29, v18
	v_and_b32_e32 v19, 7, v19
	v_cmp_eq_u16_e32 vcc, 0, v12
	v_cndmask_b32_e32 v8, v8, v19, vcc
	v_cndmask_b32_e32 v12, v12, v18, vcc
	v_lshlrev_b32_e32 v18, 24, v13
	v_mov_b32_e32 v19, 0x3b800000
	v_lshlrev_b32_e32 v8, 20, v8
	v_and_b32_e32 v18, 0x80000000, v18
	v_lshl_add_u32 v12, v12, 23, v19
	v_or3_b32 v8, v18, v12, v8
.LBB32_1828:
	s_or_b64 exec, exec, s[6:7]
	s_movk_i32 s4, 0x7f
	v_cmp_gt_i16_sdwa s[6:7], v9, s4 src0_sel:BYTE_0 src1_sel:DWORD
	s_mov_b64 s[4:5], 0
                                        ; implicit-def: $sgpr10
	s_and_saveexec_b64 s[8:9], s[6:7]
	s_xor_b64 s[6:7], exec, s[8:9]
	s_cbranch_execnz .LBB32_3877
; %bb.1829:
	s_or_saveexec_b64 s[6:7], s[6:7]
	v_mov_b32_e32 v12, s10
	s_xor_b64 exec, exec, s[6:7]
	s_cbranch_execnz .LBB32_3880
.LBB32_1830:
	s_or_b64 exec, exec, s[6:7]
	s_and_saveexec_b64 s[6:7], s[4:5]
	s_cbranch_execz .LBB32_1832
.LBB32_1831:
	v_and_b32_e32 v12, 7, v9
	v_ffbh_u32_e32 v19, v12
	v_min_u32_e32 v19, 32, v19
	v_lshrrev_b16_e32 v18, 3, v9
	v_subrev_u32_e32 v20, 28, v19
	v_and_b32_e32 v18, 15, v18
	v_lshlrev_b32_e32 v20, v20, v9
	v_sub_u32_e32 v19, 29, v19
	v_and_b32_e32 v20, 7, v20
	v_cmp_eq_u16_e32 vcc, 0, v18
	v_cndmask_b32_e32 v12, v12, v20, vcc
	v_cndmask_b32_e32 v18, v18, v19, vcc
	v_lshlrev_b32_e32 v19, 24, v9
	v_mov_b32_e32 v20, 0x3b800000
	v_lshlrev_b32_e32 v12, 20, v12
	v_and_b32_e32 v19, 0x80000000, v19
	v_lshl_add_u32 v18, v18, 23, v20
	v_or3_b32 v12, v19, v18, v12
.LBB32_1832:
	s_or_b64 exec, exec, s[6:7]
	s_nop 0
	v_mfma_f32_16x16x4f32 a[0:3], v8, v12, a[0:3]
	v_lshrrev_b32_e32 v12, 8, v13
	s_movk_i32 s4, 0x7f
	v_cmp_gt_i16_sdwa s[6:7], v12, s4 src0_sel:BYTE_0 src1_sel:DWORD
	s_mov_b64 s[4:5], 0
                                        ; implicit-def: $sgpr10
	s_and_saveexec_b64 s[8:9], s[6:7]
	s_xor_b64 s[6:7], exec, s[8:9]
	s_cbranch_execnz .LBB32_3881
; %bb.1833:
	s_or_saveexec_b64 s[6:7], s[6:7]
	v_mov_b32_e32 v8, s10
	s_xor_b64 exec, exec, s[6:7]
	s_cbranch_execnz .LBB32_3884
.LBB32_1834:
	s_or_b64 exec, exec, s[6:7]
	s_and_saveexec_b64 s[6:7], s[4:5]
	s_cbranch_execz .LBB32_1836
.LBB32_1835:
	v_bfe_u32 v8, v13, 8, 3
	v_ffbh_u32_e32 v19, v8
	v_min_u32_e32 v19, 32, v19
	v_lshrrev_b16_e32 v18, 3, v12
	v_subrev_u32_e32 v20, 28, v19
	v_and_b32_e32 v18, 15, v18
	v_lshlrev_b32_e32 v12, v20, v12
	v_sub_u32_e32 v19, 29, v19
	v_and_b32_e32 v12, 7, v12
	v_cmp_eq_u16_e32 vcc, 0, v18
	v_cndmask_b32_e32 v8, v8, v12, vcc
	v_cndmask_b32_e32 v12, v18, v19, vcc
	v_lshlrev_b32_e32 v18, 16, v13
	v_mov_b32_e32 v19, 0x3b800000
	v_lshlrev_b32_e32 v8, 20, v8
	v_and_b32_e32 v18, 0x80000000, v18
	v_lshl_add_u32 v12, v12, 23, v19
	v_or3_b32 v8, v18, v12, v8
.LBB32_1836:
	s_or_b64 exec, exec, s[6:7]
	v_lshrrev_b32_e32 v12, 8, v9
	s_movk_i32 s4, 0x7f
	v_cmp_gt_i16_sdwa s[6:7], v12, s4 src0_sel:BYTE_0 src1_sel:DWORD
	s_mov_b64 s[4:5], 0
                                        ; implicit-def: $sgpr10
	s_and_saveexec_b64 s[8:9], s[6:7]
	s_xor_b64 s[6:7], exec, s[8:9]
	s_cbranch_execnz .LBB32_3885
; %bb.1837:
	s_or_saveexec_b64 s[6:7], s[6:7]
	v_mov_b32_e32 v18, s10
	s_xor_b64 exec, exec, s[6:7]
	s_cbranch_execnz .LBB32_3888
.LBB32_1838:
	s_or_b64 exec, exec, s[6:7]
	s_and_saveexec_b64 s[6:7], s[4:5]
	s_cbranch_execz .LBB32_1840
.LBB32_1839:
	v_bfe_u32 v18, v9, 8, 3
	v_ffbh_u32_e32 v20, v18
	v_min_u32_e32 v20, 32, v20
	v_lshrrev_b16_e32 v19, 3, v12
	v_subrev_u32_e32 v21, 28, v20
	v_and_b32_e32 v19, 15, v19
	v_lshlrev_b32_e32 v12, v21, v12
	v_sub_u32_e32 v20, 29, v20
	v_and_b32_e32 v12, 7, v12
	v_cmp_eq_u16_e32 vcc, 0, v19
	v_cndmask_b32_e32 v12, v18, v12, vcc
	v_cndmask_b32_e32 v18, v19, v20, vcc
	v_lshlrev_b32_e32 v19, 16, v9
	v_mov_b32_e32 v20, 0x3b800000
	v_lshlrev_b32_e32 v12, 20, v12
	v_and_b32_e32 v19, 0x80000000, v19
	v_lshl_add_u32 v18, v18, 23, v20
	v_or3_b32 v18, v19, v18, v12
.LBB32_1840:
	s_or_b64 exec, exec, s[6:7]
	s_nop 0
	v_mfma_f32_16x16x4f32 a[0:3], v8, v18, a[0:3]
	s_movk_i32 s4, 0xff
	v_and_b32_sdwa v12, v13, s4 dst_sel:DWORD dst_unused:UNUSED_PAD src0_sel:WORD_1 src1_sel:DWORD
	s_movk_i32 s4, 0x7f
	v_cmp_lt_i16_e32 vcc, s4, v12
	s_mov_b64 s[4:5], 0
                                        ; implicit-def: $sgpr10
	s_and_saveexec_b64 s[6:7], vcc
	s_xor_b64 s[6:7], exec, s[6:7]
	s_cbranch_execnz .LBB32_3889
; %bb.1841:
	s_or_saveexec_b64 s[6:7], s[6:7]
	v_mov_b32_e32 v8, s10
	s_xor_b64 exec, exec, s[6:7]
	s_cbranch_execnz .LBB32_3892
.LBB32_1842:
	s_or_b64 exec, exec, s[6:7]
	s_and_saveexec_b64 s[6:7], s[4:5]
	s_cbranch_execz .LBB32_1844
.LBB32_1843:
	v_bfe_u32 v8, v13, 16, 3
	v_ffbh_u32_e32 v19, v8
	v_min_u32_e32 v19, 32, v19
	v_lshrrev_b32_e32 v12, 19, v13
	v_subrev_u32_e32 v20, 28, v19
	v_and_b32_e32 v12, 15, v12
	v_lshlrev_b32_sdwa v20, v20, v13 dst_sel:DWORD dst_unused:UNUSED_PAD src0_sel:DWORD src1_sel:WORD_1
	v_bfe_u32 v18, v13, 19, 4
	v_sub_u32_e32 v19, 29, v19
	v_and_b32_e32 v20, 7, v20
	v_cmp_eq_u16_e32 vcc, 0, v12
	v_cndmask_b32_e32 v8, v8, v20, vcc
	v_cndmask_b32_e32 v12, v18, v19, vcc
	v_lshlrev_b32_e32 v18, 8, v13
	v_mov_b32_e32 v19, 0x3b800000
	v_lshlrev_b32_e32 v8, 20, v8
	v_and_b32_e32 v18, 0x80000000, v18
	v_lshl_add_u32 v12, v12, 23, v19
	v_or3_b32 v8, v18, v12, v8
.LBB32_1844:
	s_or_b64 exec, exec, s[6:7]
	s_movk_i32 s4, 0xff
	v_and_b32_sdwa v12, v9, s4 dst_sel:DWORD dst_unused:UNUSED_PAD src0_sel:WORD_1 src1_sel:DWORD
	s_movk_i32 s4, 0x7f
	v_cmp_lt_i16_e32 vcc, s4, v12
	s_mov_b64 s[4:5], 0
                                        ; implicit-def: $sgpr10
	s_and_saveexec_b64 s[6:7], vcc
	s_xor_b64 s[6:7], exec, s[6:7]
	s_cbranch_execnz .LBB32_3893
; %bb.1845:
	s_or_saveexec_b64 s[6:7], s[6:7]
	v_mov_b32_e32 v18, s10
	s_xor_b64 exec, exec, s[6:7]
	s_cbranch_execnz .LBB32_3896
.LBB32_1846:
	s_or_b64 exec, exec, s[6:7]
	s_and_saveexec_b64 s[6:7], s[4:5]
	s_cbranch_execz .LBB32_1848
.LBB32_1847:
	v_bfe_u32 v12, v9, 16, 3
	v_ffbh_u32_e32 v20, v12
	v_min_u32_e32 v20, 32, v20
	v_lshrrev_b32_e32 v18, 19, v9
	v_subrev_u32_e32 v21, 28, v20
	v_and_b32_e32 v18, 15, v18
	v_lshlrev_b32_sdwa v21, v21, v9 dst_sel:DWORD dst_unused:UNUSED_PAD src0_sel:DWORD src1_sel:WORD_1
	v_bfe_u32 v19, v9, 19, 4
	v_sub_u32_e32 v20, 29, v20
	v_and_b32_e32 v21, 7, v21
	v_cmp_eq_u16_e32 vcc, 0, v18
	v_cndmask_b32_e32 v12, v12, v21, vcc
	v_cndmask_b32_e32 v18, v19, v20, vcc
	v_lshlrev_b32_e32 v19, 8, v9
	v_mov_b32_e32 v20, 0x3b800000
	v_lshlrev_b32_e32 v12, 20, v12
	v_and_b32_e32 v19, 0x80000000, v19
	v_lshl_add_u32 v18, v18, 23, v20
	v_or3_b32 v18, v19, v18, v12
.LBB32_1848:
	s_or_b64 exec, exec, s[6:7]
	s_nop 0
	v_mfma_f32_16x16x4f32 a[0:3], v8, v18, a[0:3]
	s_movk_i32 s4, 0x7f
	v_cmp_gt_i16_sdwa s[6:7], v13, s4 src0_sel:BYTE_3 src1_sel:DWORD
	s_mov_b64 s[4:5], 0
                                        ; implicit-def: $sgpr10
	s_and_saveexec_b64 s[8:9], s[6:7]
	s_xor_b64 s[6:7], exec, s[8:9]
	s_cbranch_execnz .LBB32_3897
; %bb.1849:
	s_or_saveexec_b64 s[6:7], s[6:7]
	v_mov_b32_e32 v8, s10
	s_xor_b64 exec, exec, s[6:7]
	s_cbranch_execnz .LBB32_3900
.LBB32_1850:
	s_or_b64 exec, exec, s[6:7]
	s_and_saveexec_b64 s[6:7], s[4:5]
	s_cbranch_execz .LBB32_1852
.LBB32_1851:
	v_bfe_u32 v8, v13, 24, 3
	v_ffbh_u32_e32 v20, v8
	v_min_u32_e32 v20, 32, v20
	v_lshrrev_b32_e32 v18, 27, v13
	v_subrev_u32_e32 v21, 28, v20
	v_and_b32_e32 v12, 0x80000000, v13
	v_and_b32_e32 v18, 15, v18
	v_bfe_u32 v19, v13, 27, 4
	v_lshlrev_b32_sdwa v13, v21, v13 dst_sel:DWORD dst_unused:UNUSED_PAD src0_sel:DWORD src1_sel:BYTE_3
	v_sub_u32_e32 v20, 29, v20
	v_and_b32_e32 v13, 7, v13
	v_cmp_eq_u16_e32 vcc, 0, v18
	v_cndmask_b32_e32 v8, v8, v13, vcc
	v_cndmask_b32_e32 v13, v19, v20, vcc
	v_mov_b32_e32 v18, 0x3b800000
	v_lshlrev_b32_e32 v8, 20, v8
	v_lshl_add_u32 v13, v13, 23, v18
	v_or3_b32 v8, v12, v13, v8
.LBB32_1852:
	s_or_b64 exec, exec, s[6:7]
	s_movk_i32 s4, 0x7f
	v_cmp_gt_i16_sdwa s[6:7], v9, s4 src0_sel:BYTE_3 src1_sel:DWORD
	s_mov_b64 s[4:5], 0
                                        ; implicit-def: $sgpr10
	s_and_saveexec_b64 s[8:9], s[6:7]
	s_xor_b64 s[6:7], exec, s[8:9]
	s_cbranch_execnz .LBB32_3901
; %bb.1853:
	s_or_saveexec_b64 s[6:7], s[6:7]
	v_mov_b32_e32 v12, s10
	s_xor_b64 exec, exec, s[6:7]
	s_cbranch_execnz .LBB32_3904
.LBB32_1854:
	s_or_b64 exec, exec, s[6:7]
	s_and_saveexec_b64 s[6:7], s[4:5]
	s_cbranch_execz .LBB32_1856
.LBB32_1855:
	v_bfe_u32 v12, v9, 24, 3
	v_ffbh_u32_e32 v20, v12
	v_min_u32_e32 v20, 32, v20
	v_lshrrev_b32_e32 v18, 27, v9
	v_subrev_u32_e32 v21, 28, v20
	v_and_b32_e32 v13, 0x80000000, v9
	v_and_b32_e32 v18, 15, v18
	v_bfe_u32 v19, v9, 27, 4
	v_lshlrev_b32_sdwa v9, v21, v9 dst_sel:DWORD dst_unused:UNUSED_PAD src0_sel:DWORD src1_sel:BYTE_3
	v_sub_u32_e32 v20, 29, v20
	v_and_b32_e32 v9, 7, v9
	v_cmp_eq_u16_e32 vcc, 0, v18
	v_cndmask_b32_e32 v9, v12, v9, vcc
	v_cndmask_b32_e32 v12, v19, v20, vcc
	v_mov_b32_e32 v18, 0x3b800000
	v_lshlrev_b32_e32 v9, 20, v9
	v_lshl_add_u32 v12, v12, 23, v18
	v_or3_b32 v12, v13, v12, v9
.LBB32_1856:
	s_or_b64 exec, exec, s[6:7]
	s_nop 0
	v_mfma_f32_16x16x4f32 a[0:3], v8, v12, a[0:3]
	s_movk_i32 s4, 0x7f
	v_cmp_gt_i16_sdwa s[6:7], v14, s4 src0_sel:BYTE_0 src1_sel:DWORD
	s_mov_b64 s[4:5], 0
                                        ; implicit-def: $sgpr10
	s_and_saveexec_b64 s[8:9], s[6:7]
	s_xor_b64 s[6:7], exec, s[8:9]
	s_cbranch_execnz .LBB32_3905
; %bb.1857:
	s_or_saveexec_b64 s[6:7], s[6:7]
	v_mov_b32_e32 v8, s10
	s_xor_b64 exec, exec, s[6:7]
	s_cbranch_execnz .LBB32_3908
.LBB32_1858:
	s_or_b64 exec, exec, s[6:7]
	s_and_saveexec_b64 s[6:7], s[4:5]
	s_cbranch_execz .LBB32_1860
.LBB32_1859:
	v_and_b32_e32 v8, 7, v14
	v_ffbh_u32_e32 v12, v8
	v_min_u32_e32 v12, 32, v12
	v_lshrrev_b16_e32 v9, 3, v14
	v_subrev_u32_e32 v13, 28, v12
	v_and_b32_e32 v9, 15, v9
	v_lshlrev_b32_e32 v13, v13, v14
	v_sub_u32_e32 v12, 29, v12
	v_and_b32_e32 v13, 7, v13
	v_cmp_eq_u16_e32 vcc, 0, v9
	v_cndmask_b32_e32 v8, v8, v13, vcc
	v_cndmask_b32_e32 v9, v9, v12, vcc
	v_lshlrev_b32_e32 v12, 24, v14
	v_mov_b32_e32 v13, 0x3b800000
	v_lshlrev_b32_e32 v8, 20, v8
	v_and_b32_e32 v12, 0x80000000, v12
	v_lshl_add_u32 v9, v9, 23, v13
	v_or3_b32 v8, v12, v9, v8
.LBB32_1860:
	s_or_b64 exec, exec, s[6:7]
	s_movk_i32 s4, 0x7f
	v_cmp_gt_i16_sdwa s[6:7], v10, s4 src0_sel:BYTE_0 src1_sel:DWORD
	s_mov_b64 s[4:5], 0
                                        ; implicit-def: $sgpr10
	s_and_saveexec_b64 s[8:9], s[6:7]
	s_xor_b64 s[6:7], exec, s[8:9]
	s_cbranch_execnz .LBB32_3909
; %bb.1861:
	s_or_saveexec_b64 s[6:7], s[6:7]
	v_mov_b32_e32 v9, s10
	s_xor_b64 exec, exec, s[6:7]
	s_cbranch_execnz .LBB32_3912
.LBB32_1862:
	s_or_b64 exec, exec, s[6:7]
	s_and_saveexec_b64 s[6:7], s[4:5]
	s_cbranch_execz .LBB32_1864
.LBB32_1863:
	v_and_b32_e32 v9, 7, v10
	v_ffbh_u32_e32 v13, v9
	v_min_u32_e32 v13, 32, v13
	v_lshrrev_b16_e32 v12, 3, v10
	v_subrev_u32_e32 v18, 28, v13
	v_and_b32_e32 v12, 15, v12
	v_lshlrev_b32_e32 v18, v18, v10
	v_sub_u32_e32 v13, 29, v13
	v_and_b32_e32 v18, 7, v18
	v_cmp_eq_u16_e32 vcc, 0, v12
	v_cndmask_b32_e32 v9, v9, v18, vcc
	v_cndmask_b32_e32 v12, v12, v13, vcc
	v_lshlrev_b32_e32 v13, 24, v10
	v_mov_b32_e32 v18, 0x3b800000
	v_lshlrev_b32_e32 v9, 20, v9
	v_and_b32_e32 v13, 0x80000000, v13
	v_lshl_add_u32 v12, v12, 23, v18
	v_or3_b32 v9, v13, v12, v9
.LBB32_1864:
	s_or_b64 exec, exec, s[6:7]
	s_nop 0
	v_mfma_f32_16x16x4f32 a[0:3], v8, v9, a[0:3]
	v_lshrrev_b32_e32 v9, 8, v14
	s_movk_i32 s4, 0x7f
	v_cmp_gt_i16_sdwa s[6:7], v9, s4 src0_sel:BYTE_0 src1_sel:DWORD
	s_mov_b64 s[4:5], 0
                                        ; implicit-def: $sgpr10
	s_and_saveexec_b64 s[8:9], s[6:7]
	s_xor_b64 s[6:7], exec, s[8:9]
	s_cbranch_execnz .LBB32_3913
; %bb.1865:
	s_or_saveexec_b64 s[6:7], s[6:7]
	v_mov_b32_e32 v8, s10
	s_xor_b64 exec, exec, s[6:7]
	s_cbranch_execnz .LBB32_3916
.LBB32_1866:
	s_or_b64 exec, exec, s[6:7]
	s_and_saveexec_b64 s[6:7], s[4:5]
	s_cbranch_execz .LBB32_1868
.LBB32_1867:
	v_bfe_u32 v8, v14, 8, 3
	v_ffbh_u32_e32 v13, v8
	v_min_u32_e32 v13, 32, v13
	v_lshrrev_b16_e32 v12, 3, v9
	v_subrev_u32_e32 v18, 28, v13
	v_and_b32_e32 v12, 15, v12
	v_lshlrev_b32_e32 v9, v18, v9
	v_sub_u32_e32 v13, 29, v13
	v_and_b32_e32 v9, 7, v9
	v_cmp_eq_u16_e32 vcc, 0, v12
	v_cndmask_b32_e32 v8, v8, v9, vcc
	v_cndmask_b32_e32 v9, v12, v13, vcc
	v_lshlrev_b32_e32 v12, 16, v14
	v_mov_b32_e32 v13, 0x3b800000
	v_lshlrev_b32_e32 v8, 20, v8
	v_and_b32_e32 v12, 0x80000000, v12
	v_lshl_add_u32 v9, v9, 23, v13
	v_or3_b32 v8, v12, v9, v8
.LBB32_1868:
	s_or_b64 exec, exec, s[6:7]
	v_lshrrev_b32_e32 v9, 8, v10
	s_movk_i32 s4, 0x7f
	v_cmp_gt_i16_sdwa s[6:7], v9, s4 src0_sel:BYTE_0 src1_sel:DWORD
	s_mov_b64 s[4:5], 0
                                        ; implicit-def: $sgpr10
	s_and_saveexec_b64 s[8:9], s[6:7]
	s_xor_b64 s[6:7], exec, s[8:9]
	s_cbranch_execnz .LBB32_3917
; %bb.1869:
	s_or_saveexec_b64 s[6:7], s[6:7]
	v_mov_b32_e32 v12, s10
	s_xor_b64 exec, exec, s[6:7]
	s_cbranch_execnz .LBB32_3920
.LBB32_1870:
	s_or_b64 exec, exec, s[6:7]
	s_and_saveexec_b64 s[6:7], s[4:5]
	s_cbranch_execz .LBB32_1872
.LBB32_1871:
	v_bfe_u32 v12, v10, 8, 3
	v_ffbh_u32_e32 v18, v12
	v_min_u32_e32 v18, 32, v18
	v_lshrrev_b16_e32 v13, 3, v9
	v_subrev_u32_e32 v19, 28, v18
	v_and_b32_e32 v13, 15, v13
	v_lshlrev_b32_e32 v9, v19, v9
	v_sub_u32_e32 v18, 29, v18
	v_and_b32_e32 v9, 7, v9
	v_cmp_eq_u16_e32 vcc, 0, v13
	v_cndmask_b32_e32 v9, v12, v9, vcc
	v_cndmask_b32_e32 v12, v13, v18, vcc
	v_lshlrev_b32_e32 v13, 16, v10
	v_mov_b32_e32 v18, 0x3b800000
	v_lshlrev_b32_e32 v9, 20, v9
	v_and_b32_e32 v13, 0x80000000, v13
	v_lshl_add_u32 v12, v12, 23, v18
	v_or3_b32 v12, v13, v12, v9
.LBB32_1872:
	s_or_b64 exec, exec, s[6:7]
	s_nop 0
	v_mfma_f32_16x16x4f32 a[0:3], v8, v12, a[0:3]
	s_movk_i32 s4, 0xff
	v_and_b32_sdwa v9, v14, s4 dst_sel:DWORD dst_unused:UNUSED_PAD src0_sel:WORD_1 src1_sel:DWORD
	s_movk_i32 s4, 0x7f
	v_cmp_lt_i16_e32 vcc, s4, v9
	s_mov_b64 s[4:5], 0
                                        ; implicit-def: $sgpr10
	s_and_saveexec_b64 s[6:7], vcc
	s_xor_b64 s[6:7], exec, s[6:7]
	s_cbranch_execnz .LBB32_3921
; %bb.1873:
	s_or_saveexec_b64 s[6:7], s[6:7]
	v_mov_b32_e32 v8, s10
	s_xor_b64 exec, exec, s[6:7]
	s_cbranch_execnz .LBB32_3924
.LBB32_1874:
	s_or_b64 exec, exec, s[6:7]
	s_and_saveexec_b64 s[6:7], s[4:5]
	s_cbranch_execz .LBB32_1876
.LBB32_1875:
	v_bfe_u32 v8, v14, 16, 3
	v_ffbh_u32_e32 v13, v8
	v_min_u32_e32 v13, 32, v13
	v_lshrrev_b32_e32 v9, 19, v14
	v_subrev_u32_e32 v18, 28, v13
	v_and_b32_e32 v9, 15, v9
	v_lshlrev_b32_sdwa v18, v18, v14 dst_sel:DWORD dst_unused:UNUSED_PAD src0_sel:DWORD src1_sel:WORD_1
	v_bfe_u32 v12, v14, 19, 4
	v_sub_u32_e32 v13, 29, v13
	v_and_b32_e32 v18, 7, v18
	v_cmp_eq_u16_e32 vcc, 0, v9
	v_cndmask_b32_e32 v8, v8, v18, vcc
	v_cndmask_b32_e32 v9, v12, v13, vcc
	v_lshlrev_b32_e32 v12, 8, v14
	v_mov_b32_e32 v13, 0x3b800000
	v_lshlrev_b32_e32 v8, 20, v8
	v_and_b32_e32 v12, 0x80000000, v12
	v_lshl_add_u32 v9, v9, 23, v13
	v_or3_b32 v8, v12, v9, v8
.LBB32_1876:
	s_or_b64 exec, exec, s[6:7]
	s_movk_i32 s4, 0xff
	v_and_b32_sdwa v9, v10, s4 dst_sel:DWORD dst_unused:UNUSED_PAD src0_sel:WORD_1 src1_sel:DWORD
	s_movk_i32 s4, 0x7f
	v_cmp_lt_i16_e32 vcc, s4, v9
	s_mov_b64 s[4:5], 0
                                        ; implicit-def: $sgpr10
	s_and_saveexec_b64 s[6:7], vcc
	s_xor_b64 s[6:7], exec, s[6:7]
	s_cbranch_execnz .LBB32_3925
; %bb.1877:
	s_or_saveexec_b64 s[6:7], s[6:7]
	v_mov_b32_e32 v12, s10
	s_xor_b64 exec, exec, s[6:7]
	s_cbranch_execnz .LBB32_3928
.LBB32_1878:
	s_or_b64 exec, exec, s[6:7]
	s_and_saveexec_b64 s[6:7], s[4:5]
	s_cbranch_execz .LBB32_1880
.LBB32_1879:
	v_bfe_u32 v9, v10, 16, 3
	v_ffbh_u32_e32 v18, v9
	v_min_u32_e32 v18, 32, v18
	v_lshrrev_b32_e32 v12, 19, v10
	v_subrev_u32_e32 v19, 28, v18
	v_and_b32_e32 v12, 15, v12
	v_lshlrev_b32_sdwa v19, v19, v10 dst_sel:DWORD dst_unused:UNUSED_PAD src0_sel:DWORD src1_sel:WORD_1
	v_bfe_u32 v13, v10, 19, 4
	v_sub_u32_e32 v18, 29, v18
	v_and_b32_e32 v19, 7, v19
	v_cmp_eq_u16_e32 vcc, 0, v12
	v_cndmask_b32_e32 v9, v9, v19, vcc
	v_cndmask_b32_e32 v12, v13, v18, vcc
	v_lshlrev_b32_e32 v13, 8, v10
	v_mov_b32_e32 v18, 0x3b800000
	v_lshlrev_b32_e32 v9, 20, v9
	v_and_b32_e32 v13, 0x80000000, v13
	v_lshl_add_u32 v12, v12, 23, v18
	v_or3_b32 v12, v13, v12, v9
.LBB32_1880:
	s_or_b64 exec, exec, s[6:7]
	s_nop 0
	v_mfma_f32_16x16x4f32 a[0:3], v8, v12, a[0:3]
	s_movk_i32 s4, 0x7f
	v_cmp_gt_i16_sdwa s[6:7], v14, s4 src0_sel:BYTE_3 src1_sel:DWORD
	s_mov_b64 s[4:5], 0
                                        ; implicit-def: $sgpr10
	s_and_saveexec_b64 s[8:9], s[6:7]
	s_xor_b64 s[6:7], exec, s[8:9]
	s_cbranch_execnz .LBB32_3929
; %bb.1881:
	s_or_saveexec_b64 s[6:7], s[6:7]
	v_mov_b32_e32 v8, s10
	s_xor_b64 exec, exec, s[6:7]
	s_cbranch_execnz .LBB32_3932
.LBB32_1882:
	s_or_b64 exec, exec, s[6:7]
	s_and_saveexec_b64 s[6:7], s[4:5]
	s_cbranch_execz .LBB32_1884
.LBB32_1883:
	v_bfe_u32 v8, v14, 24, 3
	v_ffbh_u32_e32 v18, v8
	v_min_u32_e32 v18, 32, v18
	v_lshrrev_b32_e32 v12, 27, v14
	v_subrev_u32_e32 v19, 28, v18
	v_and_b32_e32 v9, 0x80000000, v14
	v_and_b32_e32 v12, 15, v12
	v_bfe_u32 v13, v14, 27, 4
	v_lshlrev_b32_sdwa v14, v19, v14 dst_sel:DWORD dst_unused:UNUSED_PAD src0_sel:DWORD src1_sel:BYTE_3
	v_sub_u32_e32 v18, 29, v18
	v_and_b32_e32 v14, 7, v14
	v_cmp_eq_u16_e32 vcc, 0, v12
	v_cndmask_b32_e32 v8, v8, v14, vcc
	v_cndmask_b32_e32 v12, v13, v18, vcc
	v_mov_b32_e32 v13, 0x3b800000
	v_lshlrev_b32_e32 v8, 20, v8
	v_lshl_add_u32 v12, v12, 23, v13
	v_or3_b32 v8, v9, v12, v8
.LBB32_1884:
	s_or_b64 exec, exec, s[6:7]
	s_movk_i32 s4, 0x7f
	v_cmp_gt_i16_sdwa s[6:7], v10, s4 src0_sel:BYTE_3 src1_sel:DWORD
	s_mov_b64 s[4:5], 0
                                        ; implicit-def: $sgpr10
	s_and_saveexec_b64 s[8:9], s[6:7]
	s_xor_b64 s[6:7], exec, s[8:9]
	s_cbranch_execnz .LBB32_3933
; %bb.1885:
	s_or_saveexec_b64 s[6:7], s[6:7]
	v_mov_b32_e32 v9, s10
	s_xor_b64 exec, exec, s[6:7]
	s_cbranch_execnz .LBB32_3936
.LBB32_1886:
	s_or_b64 exec, exec, s[6:7]
	s_and_saveexec_b64 s[6:7], s[4:5]
	s_cbranch_execz .LBB32_1888
.LBB32_1887:
	v_bfe_u32 v9, v10, 24, 3
	v_ffbh_u32_e32 v18, v9
	v_min_u32_e32 v18, 32, v18
	v_lshrrev_b32_e32 v13, 27, v10
	v_subrev_u32_e32 v19, 28, v18
	v_and_b32_e32 v12, 0x80000000, v10
	v_and_b32_e32 v13, 15, v13
	v_bfe_u32 v14, v10, 27, 4
	v_lshlrev_b32_sdwa v10, v19, v10 dst_sel:DWORD dst_unused:UNUSED_PAD src0_sel:DWORD src1_sel:BYTE_3
	v_sub_u32_e32 v18, 29, v18
	v_and_b32_e32 v10, 7, v10
	v_cmp_eq_u16_e32 vcc, 0, v13
	v_cndmask_b32_e32 v9, v9, v10, vcc
	v_cndmask_b32_e32 v10, v14, v18, vcc
	v_mov_b32_e32 v13, 0x3b800000
	v_lshlrev_b32_e32 v9, 20, v9
	v_lshl_add_u32 v10, v10, 23, v13
	v_or3_b32 v9, v12, v10, v9
.LBB32_1888:
	s_or_b64 exec, exec, s[6:7]
	s_nop 0
	v_mfma_f32_16x16x4f32 a[0:3], v8, v9, a[0:3]
	s_movk_i32 s4, 0x7f
	v_cmp_gt_i16_sdwa s[6:7], v15, s4 src0_sel:BYTE_0 src1_sel:DWORD
	s_mov_b64 s[4:5], 0
                                        ; implicit-def: $sgpr10
	s_and_saveexec_b64 s[8:9], s[6:7]
	s_xor_b64 s[6:7], exec, s[8:9]
	s_cbranch_execnz .LBB32_3937
; %bb.1889:
	s_or_saveexec_b64 s[6:7], s[6:7]
	v_mov_b32_e32 v8, s10
	s_xor_b64 exec, exec, s[6:7]
	s_cbranch_execnz .LBB32_3940
.LBB32_1890:
	s_or_b64 exec, exec, s[6:7]
	s_and_saveexec_b64 s[6:7], s[4:5]
	s_cbranch_execz .LBB32_1892
.LBB32_1891:
	v_and_b32_e32 v8, 7, v15
	v_ffbh_u32_e32 v10, v8
	v_min_u32_e32 v10, 32, v10
	v_lshrrev_b16_e32 v9, 3, v15
	v_subrev_u32_e32 v12, 28, v10
	v_and_b32_e32 v9, 15, v9
	v_lshlrev_b32_e32 v12, v12, v15
	v_sub_u32_e32 v10, 29, v10
	v_and_b32_e32 v12, 7, v12
	v_cmp_eq_u16_e32 vcc, 0, v9
	v_cndmask_b32_e32 v8, v8, v12, vcc
	v_cndmask_b32_e32 v9, v9, v10, vcc
	v_lshlrev_b32_e32 v10, 24, v15
	v_mov_b32_e32 v12, 0x3b800000
	v_lshlrev_b32_e32 v8, 20, v8
	v_and_b32_e32 v10, 0x80000000, v10
	v_lshl_add_u32 v9, v9, 23, v12
	v_or3_b32 v8, v10, v9, v8
.LBB32_1892:
	s_or_b64 exec, exec, s[6:7]
	s_movk_i32 s4, 0x7f
	v_cmp_gt_i16_sdwa s[6:7], v11, s4 src0_sel:BYTE_0 src1_sel:DWORD
	s_mov_b64 s[4:5], 0
                                        ; implicit-def: $sgpr10
	s_and_saveexec_b64 s[8:9], s[6:7]
	s_xor_b64 s[6:7], exec, s[8:9]
	s_cbranch_execnz .LBB32_3941
; %bb.1893:
	s_or_saveexec_b64 s[6:7], s[6:7]
	v_mov_b32_e32 v9, s10
	s_xor_b64 exec, exec, s[6:7]
	s_cbranch_execnz .LBB32_3944
.LBB32_1894:
	s_or_b64 exec, exec, s[6:7]
	s_and_saveexec_b64 s[6:7], s[4:5]
	s_cbranch_execz .LBB32_1896
.LBB32_1895:
	v_and_b32_e32 v9, 7, v11
	v_ffbh_u32_e32 v12, v9
	v_min_u32_e32 v12, 32, v12
	v_lshrrev_b16_e32 v10, 3, v11
	v_subrev_u32_e32 v13, 28, v12
	v_and_b32_e32 v10, 15, v10
	v_lshlrev_b32_e32 v13, v13, v11
	v_sub_u32_e32 v12, 29, v12
	v_and_b32_e32 v13, 7, v13
	v_cmp_eq_u16_e32 vcc, 0, v10
	v_cndmask_b32_e32 v9, v9, v13, vcc
	v_cndmask_b32_e32 v10, v10, v12, vcc
	v_lshlrev_b32_e32 v12, 24, v11
	v_mov_b32_e32 v13, 0x3b800000
	v_lshlrev_b32_e32 v9, 20, v9
	v_and_b32_e32 v12, 0x80000000, v12
	v_lshl_add_u32 v10, v10, 23, v13
	v_or3_b32 v9, v12, v10, v9
.LBB32_1896:
	s_or_b64 exec, exec, s[6:7]
	s_nop 0
	v_mfma_f32_16x16x4f32 a[0:3], v8, v9, a[0:3]
	v_lshrrev_b32_e32 v9, 8, v15
	s_movk_i32 s4, 0x7f
	v_cmp_gt_i16_sdwa s[6:7], v9, s4 src0_sel:BYTE_0 src1_sel:DWORD
	s_mov_b64 s[4:5], 0
                                        ; implicit-def: $sgpr10
	s_and_saveexec_b64 s[8:9], s[6:7]
	s_xor_b64 s[6:7], exec, s[8:9]
	s_cbranch_execnz .LBB32_3945
; %bb.1897:
	s_or_saveexec_b64 s[6:7], s[6:7]
	v_mov_b32_e32 v8, s10
	s_xor_b64 exec, exec, s[6:7]
	s_cbranch_execnz .LBB32_3948
.LBB32_1898:
	s_or_b64 exec, exec, s[6:7]
	s_and_saveexec_b64 s[6:7], s[4:5]
	s_cbranch_execz .LBB32_1900
.LBB32_1899:
	v_bfe_u32 v8, v15, 8, 3
	v_ffbh_u32_e32 v12, v8
	v_min_u32_e32 v12, 32, v12
	v_lshrrev_b16_e32 v10, 3, v9
	v_subrev_u32_e32 v13, 28, v12
	v_and_b32_e32 v10, 15, v10
	v_lshlrev_b32_e32 v9, v13, v9
	v_sub_u32_e32 v12, 29, v12
	v_and_b32_e32 v9, 7, v9
	v_cmp_eq_u16_e32 vcc, 0, v10
	v_cndmask_b32_e32 v8, v8, v9, vcc
	v_cndmask_b32_e32 v9, v10, v12, vcc
	v_lshlrev_b32_e32 v10, 16, v15
	v_mov_b32_e32 v12, 0x3b800000
	v_lshlrev_b32_e32 v8, 20, v8
	v_and_b32_e32 v10, 0x80000000, v10
	v_lshl_add_u32 v9, v9, 23, v12
	v_or3_b32 v8, v10, v9, v8
.LBB32_1900:
	s_or_b64 exec, exec, s[6:7]
	v_lshrrev_b32_e32 v9, 8, v11
	s_movk_i32 s4, 0x7f
	v_cmp_gt_i16_sdwa s[6:7], v9, s4 src0_sel:BYTE_0 src1_sel:DWORD
	s_mov_b64 s[4:5], 0
                                        ; implicit-def: $sgpr10
	s_and_saveexec_b64 s[8:9], s[6:7]
	s_xor_b64 s[6:7], exec, s[8:9]
	s_cbranch_execnz .LBB32_3949
; %bb.1901:
	s_or_saveexec_b64 s[6:7], s[6:7]
	v_mov_b32_e32 v10, s10
	s_xor_b64 exec, exec, s[6:7]
	s_cbranch_execnz .LBB32_3952
.LBB32_1902:
	s_or_b64 exec, exec, s[6:7]
	s_and_saveexec_b64 s[6:7], s[4:5]
	s_cbranch_execz .LBB32_1904
.LBB32_1903:
	v_bfe_u32 v10, v11, 8, 3
	v_ffbh_u32_e32 v13, v10
	v_min_u32_e32 v13, 32, v13
	v_lshrrev_b16_e32 v12, 3, v9
	v_subrev_u32_e32 v14, 28, v13
	v_and_b32_e32 v12, 15, v12
	v_lshlrev_b32_e32 v9, v14, v9
	v_sub_u32_e32 v13, 29, v13
	v_and_b32_e32 v9, 7, v9
	v_cmp_eq_u16_e32 vcc, 0, v12
	v_cndmask_b32_e32 v9, v10, v9, vcc
	v_cndmask_b32_e32 v10, v12, v13, vcc
	v_lshlrev_b32_e32 v12, 16, v11
	v_mov_b32_e32 v13, 0x3b800000
	v_lshlrev_b32_e32 v9, 20, v9
	v_and_b32_e32 v12, 0x80000000, v12
	v_lshl_add_u32 v10, v10, 23, v13
	v_or3_b32 v10, v12, v10, v9
.LBB32_1904:
	s_or_b64 exec, exec, s[6:7]
	s_nop 0
	v_mfma_f32_16x16x4f32 a[0:3], v8, v10, a[0:3]
	s_movk_i32 s4, 0xff
	v_and_b32_sdwa v9, v15, s4 dst_sel:DWORD dst_unused:UNUSED_PAD src0_sel:WORD_1 src1_sel:DWORD
	s_movk_i32 s4, 0x7f
	v_cmp_lt_i16_e32 vcc, s4, v9
	s_mov_b64 s[4:5], 0
                                        ; implicit-def: $sgpr10
	s_and_saveexec_b64 s[6:7], vcc
	s_xor_b64 s[6:7], exec, s[6:7]
	s_cbranch_execnz .LBB32_3953
; %bb.1905:
	s_or_saveexec_b64 s[6:7], s[6:7]
	v_mov_b32_e32 v8, s10
	s_xor_b64 exec, exec, s[6:7]
	s_cbranch_execnz .LBB32_3956
.LBB32_1906:
	s_or_b64 exec, exec, s[6:7]
	s_and_saveexec_b64 s[6:7], s[4:5]
	s_cbranch_execz .LBB32_1908
.LBB32_1907:
	v_bfe_u32 v8, v15, 16, 3
	v_ffbh_u32_e32 v12, v8
	v_min_u32_e32 v12, 32, v12
	v_lshrrev_b32_e32 v9, 19, v15
	v_subrev_u32_e32 v13, 28, v12
	v_and_b32_e32 v9, 15, v9
	v_lshlrev_b32_sdwa v13, v13, v15 dst_sel:DWORD dst_unused:UNUSED_PAD src0_sel:DWORD src1_sel:WORD_1
	v_bfe_u32 v10, v15, 19, 4
	v_sub_u32_e32 v12, 29, v12
	v_and_b32_e32 v13, 7, v13
	v_cmp_eq_u16_e32 vcc, 0, v9
	v_cndmask_b32_e32 v8, v8, v13, vcc
	v_cndmask_b32_e32 v9, v10, v12, vcc
	v_lshlrev_b32_e32 v10, 8, v15
	v_mov_b32_e32 v12, 0x3b800000
	v_lshlrev_b32_e32 v8, 20, v8
	v_and_b32_e32 v10, 0x80000000, v10
	v_lshl_add_u32 v9, v9, 23, v12
	v_or3_b32 v8, v10, v9, v8
.LBB32_1908:
	s_or_b64 exec, exec, s[6:7]
	s_movk_i32 s4, 0xff
	v_and_b32_sdwa v9, v11, s4 dst_sel:DWORD dst_unused:UNUSED_PAD src0_sel:WORD_1 src1_sel:DWORD
	s_movk_i32 s4, 0x7f
	v_cmp_lt_i16_e32 vcc, s4, v9
	s_mov_b64 s[4:5], 0
                                        ; implicit-def: $sgpr10
	s_and_saveexec_b64 s[6:7], vcc
	s_xor_b64 s[6:7], exec, s[6:7]
	s_cbranch_execnz .LBB32_3957
; %bb.1909:
	s_or_saveexec_b64 s[6:7], s[6:7]
	v_mov_b32_e32 v10, s10
	s_xor_b64 exec, exec, s[6:7]
	s_cbranch_execnz .LBB32_3960
.LBB32_1910:
	s_or_b64 exec, exec, s[6:7]
	s_and_saveexec_b64 s[6:7], s[4:5]
	s_cbranch_execz .LBB32_1912
.LBB32_1911:
	v_bfe_u32 v9, v11, 16, 3
	v_ffbh_u32_e32 v13, v9
	v_min_u32_e32 v13, 32, v13
	v_lshrrev_b32_e32 v10, 19, v11
	v_subrev_u32_e32 v14, 28, v13
	v_and_b32_e32 v10, 15, v10
	v_lshlrev_b32_sdwa v14, v14, v11 dst_sel:DWORD dst_unused:UNUSED_PAD src0_sel:DWORD src1_sel:WORD_1
	v_bfe_u32 v12, v11, 19, 4
	v_sub_u32_e32 v13, 29, v13
	v_and_b32_e32 v14, 7, v14
	v_cmp_eq_u16_e32 vcc, 0, v10
	v_cndmask_b32_e32 v9, v9, v14, vcc
	v_cndmask_b32_e32 v10, v12, v13, vcc
	v_lshlrev_b32_e32 v12, 8, v11
	v_mov_b32_e32 v13, 0x3b800000
	v_lshlrev_b32_e32 v9, 20, v9
	v_and_b32_e32 v12, 0x80000000, v12
	v_lshl_add_u32 v10, v10, 23, v13
	v_or3_b32 v10, v12, v10, v9
.LBB32_1912:
	s_or_b64 exec, exec, s[6:7]
	s_nop 0
	v_mfma_f32_16x16x4f32 a[0:3], v8, v10, a[0:3]
	s_movk_i32 s4, 0x7f
	v_cmp_gt_i16_sdwa s[6:7], v15, s4 src0_sel:BYTE_3 src1_sel:DWORD
	s_mov_b64 s[4:5], 0
                                        ; implicit-def: $sgpr10
	s_and_saveexec_b64 s[8:9], s[6:7]
	s_xor_b64 s[6:7], exec, s[8:9]
	s_cbranch_execnz .LBB32_3961
; %bb.1913:
	s_or_saveexec_b64 s[6:7], s[6:7]
	v_mov_b32_e32 v8, s10
	s_xor_b64 exec, exec, s[6:7]
	s_cbranch_execnz .LBB32_3964
.LBB32_1914:
	s_or_b64 exec, exec, s[6:7]
	s_and_saveexec_b64 s[6:7], s[4:5]
	s_cbranch_execz .LBB32_1916
.LBB32_1915:
	v_bfe_u32 v8, v15, 24, 3
	v_ffbh_u32_e32 v13, v8
	v_min_u32_e32 v13, 32, v13
	v_lshrrev_b32_e32 v10, 27, v15
	v_subrev_u32_e32 v14, 28, v13
	v_and_b32_e32 v10, 15, v10
	v_lshlrev_b32_sdwa v14, v14, v15 dst_sel:DWORD dst_unused:UNUSED_PAD src0_sel:DWORD src1_sel:BYTE_3
	v_bfe_u32 v12, v15, 27, 4
	v_sub_u32_e32 v13, 29, v13
	v_and_b32_e32 v14, 7, v14
	v_cmp_eq_u16_e32 vcc, 0, v10
	v_cndmask_b32_e32 v8, v8, v14, vcc
	v_cndmask_b32_e32 v10, v12, v13, vcc
	v_mov_b32_e32 v12, 0x3b800000
	v_and_b32_e32 v9, 0x80000000, v15
	v_lshlrev_b32_e32 v8, 20, v8
	v_lshl_add_u32 v10, v10, 23, v12
	v_or3_b32 v8, v9, v10, v8
.LBB32_1916:
	s_or_b64 exec, exec, s[6:7]
	s_movk_i32 s4, 0x7f
	v_cmp_gt_i16_sdwa s[6:7], v11, s4 src0_sel:BYTE_3 src1_sel:DWORD
	s_mov_b64 s[4:5], 0
                                        ; implicit-def: $sgpr10
	s_and_saveexec_b64 s[8:9], s[6:7]
	s_xor_b64 s[6:7], exec, s[8:9]
	s_cbranch_execnz .LBB32_3965
; %bb.1917:
	s_or_saveexec_b64 s[6:7], s[6:7]
	v_mov_b32_e32 v9, s10
	s_xor_b64 exec, exec, s[6:7]
	s_cbranch_execnz .LBB32_3968
.LBB32_1918:
	s_or_b64 exec, exec, s[6:7]
	s_and_saveexec_b64 s[6:7], s[4:5]
	s_cbranch_execz .LBB32_1920
.LBB32_1919:
	v_bfe_u32 v9, v11, 24, 3
	v_ffbh_u32_e32 v14, v9
	v_min_u32_e32 v14, 32, v14
	v_lshrrev_b32_e32 v12, 27, v11
	v_subrev_u32_e32 v15, 28, v14
	v_and_b32_e32 v10, 0x80000000, v11
	v_and_b32_e32 v12, 15, v12
	v_bfe_u32 v13, v11, 27, 4
	v_lshlrev_b32_sdwa v11, v15, v11 dst_sel:DWORD dst_unused:UNUSED_PAD src0_sel:DWORD src1_sel:BYTE_3
	v_sub_u32_e32 v14, 29, v14
	v_and_b32_e32 v11, 7, v11
	v_cmp_eq_u16_e32 vcc, 0, v12
	v_cndmask_b32_e32 v9, v9, v11, vcc
	v_cndmask_b32_e32 v11, v13, v14, vcc
	v_mov_b32_e32 v12, 0x3b800000
	v_lshlrev_b32_e32 v9, 20, v9
	v_lshl_add_u32 v11, v11, 23, v12
	v_or3_b32 v9, v10, v11, v9
.LBB32_1920:
	s_or_b64 exec, exec, s[6:7]
	s_nop 0
	v_mfma_f32_16x16x4f32 a[0:3], v8, v9, a[0:3]
	s_movk_i32 s4, 0x7f
	v_cmp_gt_i16_sdwa s[6:7], v4, s4 src0_sel:BYTE_0 src1_sel:DWORD
	s_mov_b64 s[4:5], 0
                                        ; implicit-def: $sgpr10
	s_and_saveexec_b64 s[8:9], s[6:7]
	s_xor_b64 s[6:7], exec, s[8:9]
	s_cbranch_execnz .LBB32_3969
; %bb.1921:
	s_or_saveexec_b64 s[6:7], s[6:7]
	v_mov_b32_e32 v8, s10
	s_xor_b64 exec, exec, s[6:7]
	s_cbranch_execnz .LBB32_3972
.LBB32_1922:
	s_or_b64 exec, exec, s[6:7]
	s_and_saveexec_b64 s[6:7], s[4:5]
	s_cbranch_execz .LBB32_1924
.LBB32_1923:
	v_and_b32_e32 v8, 7, v4
	v_ffbh_u32_e32 v10, v8
	v_min_u32_e32 v10, 32, v10
	v_lshrrev_b16_e32 v9, 3, v4
	v_subrev_u32_e32 v11, 28, v10
	v_and_b32_e32 v9, 15, v9
	v_lshlrev_b32_e32 v11, v11, v4
	v_sub_u32_e32 v10, 29, v10
	v_and_b32_e32 v11, 7, v11
	v_cmp_eq_u16_e32 vcc, 0, v9
	v_cndmask_b32_e32 v8, v8, v11, vcc
	v_cndmask_b32_e32 v9, v9, v10, vcc
	v_lshlrev_b32_e32 v10, 24, v4
	v_mov_b32_e32 v11, 0x3b800000
	v_lshlrev_b32_e32 v8, 20, v8
	v_and_b32_e32 v10, 0x80000000, v10
	v_lshl_add_u32 v9, v9, 23, v11
	v_or3_b32 v8, v10, v9, v8
.LBB32_1924:
	s_or_b64 exec, exec, s[6:7]
	s_movk_i32 s4, 0x7f
	v_cmp_gt_i16_sdwa s[6:7], v0, s4 src0_sel:BYTE_0 src1_sel:DWORD
	s_mov_b64 s[4:5], 0
                                        ; implicit-def: $sgpr10
	s_and_saveexec_b64 s[8:9], s[6:7]
	s_xor_b64 s[6:7], exec, s[8:9]
	s_cbranch_execnz .LBB32_3973
; %bb.1925:
	s_or_saveexec_b64 s[6:7], s[6:7]
	v_mov_b32_e32 v9, s10
	s_xor_b64 exec, exec, s[6:7]
	s_cbranch_execnz .LBB32_3976
.LBB32_1926:
	s_or_b64 exec, exec, s[6:7]
	s_and_saveexec_b64 s[6:7], s[4:5]
	s_cbranch_execz .LBB32_1928
.LBB32_1927:
	v_and_b32_e32 v9, 7, v0
	v_ffbh_u32_e32 v11, v9
	v_min_u32_e32 v11, 32, v11
	v_lshrrev_b16_e32 v10, 3, v0
	v_subrev_u32_e32 v12, 28, v11
	v_and_b32_e32 v10, 15, v10
	v_lshlrev_b32_e32 v12, v12, v0
	v_sub_u32_e32 v11, 29, v11
	v_and_b32_e32 v12, 7, v12
	v_cmp_eq_u16_e32 vcc, 0, v10
	v_cndmask_b32_e32 v9, v9, v12, vcc
	v_cndmask_b32_e32 v10, v10, v11, vcc
	v_lshlrev_b32_e32 v11, 24, v0
	v_mov_b32_e32 v12, 0x3b800000
	v_lshlrev_b32_e32 v9, 20, v9
	v_and_b32_e32 v11, 0x80000000, v11
	v_lshl_add_u32 v10, v10, 23, v12
	v_or3_b32 v9, v11, v10, v9
.LBB32_1928:
	s_or_b64 exec, exec, s[6:7]
	s_nop 0
	v_mfma_f32_16x16x4f32 a[0:3], v8, v9, a[0:3]
	v_lshrrev_b32_e32 v9, 8, v4
	s_movk_i32 s4, 0x7f
	v_cmp_gt_i16_sdwa s[6:7], v9, s4 src0_sel:BYTE_0 src1_sel:DWORD
	s_mov_b64 s[4:5], 0
                                        ; implicit-def: $sgpr10
	s_and_saveexec_b64 s[8:9], s[6:7]
	s_xor_b64 s[6:7], exec, s[8:9]
	s_cbranch_execnz .LBB32_3977
; %bb.1929:
	s_or_saveexec_b64 s[6:7], s[6:7]
	v_mov_b32_e32 v8, s10
	s_xor_b64 exec, exec, s[6:7]
	s_cbranch_execnz .LBB32_3980
.LBB32_1930:
	s_or_b64 exec, exec, s[6:7]
	s_and_saveexec_b64 s[6:7], s[4:5]
	s_cbranch_execz .LBB32_1932
.LBB32_1931:
	v_bfe_u32 v8, v4, 8, 3
	v_ffbh_u32_e32 v11, v8
	v_min_u32_e32 v11, 32, v11
	v_lshrrev_b16_e32 v10, 3, v9
	v_subrev_u32_e32 v12, 28, v11
	v_and_b32_e32 v10, 15, v10
	v_lshlrev_b32_e32 v9, v12, v9
	v_sub_u32_e32 v11, 29, v11
	v_and_b32_e32 v9, 7, v9
	v_cmp_eq_u16_e32 vcc, 0, v10
	v_cndmask_b32_e32 v8, v8, v9, vcc
	v_cndmask_b32_e32 v9, v10, v11, vcc
	v_lshlrev_b32_e32 v10, 16, v4
	v_mov_b32_e32 v11, 0x3b800000
	v_lshlrev_b32_e32 v8, 20, v8
	v_and_b32_e32 v10, 0x80000000, v10
	v_lshl_add_u32 v9, v9, 23, v11
	v_or3_b32 v8, v10, v9, v8
.LBB32_1932:
	s_or_b64 exec, exec, s[6:7]
	v_lshrrev_b32_e32 v9, 8, v0
	s_movk_i32 s4, 0x7f
	v_cmp_gt_i16_sdwa s[6:7], v9, s4 src0_sel:BYTE_0 src1_sel:DWORD
	s_mov_b64 s[4:5], 0
                                        ; implicit-def: $sgpr10
	s_and_saveexec_b64 s[8:9], s[6:7]
	s_xor_b64 s[6:7], exec, s[8:9]
	s_cbranch_execnz .LBB32_3981
; %bb.1933:
	s_or_saveexec_b64 s[6:7], s[6:7]
	v_mov_b32_e32 v10, s10
	s_xor_b64 exec, exec, s[6:7]
	s_cbranch_execnz .LBB32_3984
.LBB32_1934:
	s_or_b64 exec, exec, s[6:7]
	s_and_saveexec_b64 s[6:7], s[4:5]
	s_cbranch_execz .LBB32_1936
.LBB32_1935:
	v_bfe_u32 v10, v0, 8, 3
	v_ffbh_u32_e32 v12, v10
	v_min_u32_e32 v12, 32, v12
	v_lshrrev_b16_e32 v11, 3, v9
	v_subrev_u32_e32 v13, 28, v12
	v_and_b32_e32 v11, 15, v11
	v_lshlrev_b32_e32 v9, v13, v9
	v_sub_u32_e32 v12, 29, v12
	v_and_b32_e32 v9, 7, v9
	v_cmp_eq_u16_e32 vcc, 0, v11
	v_cndmask_b32_e32 v9, v10, v9, vcc
	v_cndmask_b32_e32 v10, v11, v12, vcc
	v_lshlrev_b32_e32 v11, 16, v0
	v_mov_b32_e32 v12, 0x3b800000
	v_lshlrev_b32_e32 v9, 20, v9
	v_and_b32_e32 v11, 0x80000000, v11
	v_lshl_add_u32 v10, v10, 23, v12
	v_or3_b32 v10, v11, v10, v9
.LBB32_1936:
	s_or_b64 exec, exec, s[6:7]
	s_nop 0
	v_mfma_f32_16x16x4f32 a[0:3], v8, v10, a[0:3]
	s_movk_i32 s4, 0xff
	v_and_b32_sdwa v9, v4, s4 dst_sel:DWORD dst_unused:UNUSED_PAD src0_sel:WORD_1 src1_sel:DWORD
	s_movk_i32 s4, 0x7f
	v_cmp_lt_i16_e32 vcc, s4, v9
	s_mov_b64 s[4:5], 0
                                        ; implicit-def: $sgpr10
	s_and_saveexec_b64 s[6:7], vcc
	s_xor_b64 s[6:7], exec, s[6:7]
	s_cbranch_execnz .LBB32_3985
; %bb.1937:
	s_or_saveexec_b64 s[6:7], s[6:7]
	v_mov_b32_e32 v8, s10
	s_xor_b64 exec, exec, s[6:7]
	s_cbranch_execnz .LBB32_3988
.LBB32_1938:
	s_or_b64 exec, exec, s[6:7]
	s_and_saveexec_b64 s[6:7], s[4:5]
	s_cbranch_execz .LBB32_1940
.LBB32_1939:
	v_bfe_u32 v8, v4, 16, 3
	v_ffbh_u32_e32 v11, v8
	v_min_u32_e32 v11, 32, v11
	v_lshrrev_b32_e32 v9, 19, v4
	v_subrev_u32_e32 v12, 28, v11
	v_and_b32_e32 v9, 15, v9
	v_lshlrev_b32_sdwa v12, v12, v4 dst_sel:DWORD dst_unused:UNUSED_PAD src0_sel:DWORD src1_sel:WORD_1
	v_bfe_u32 v10, v4, 19, 4
	v_sub_u32_e32 v11, 29, v11
	v_and_b32_e32 v12, 7, v12
	v_cmp_eq_u16_e32 vcc, 0, v9
	v_cndmask_b32_e32 v8, v8, v12, vcc
	v_cndmask_b32_e32 v9, v10, v11, vcc
	v_lshlrev_b32_e32 v10, 8, v4
	v_mov_b32_e32 v11, 0x3b800000
	v_lshlrev_b32_e32 v8, 20, v8
	v_and_b32_e32 v10, 0x80000000, v10
	v_lshl_add_u32 v9, v9, 23, v11
	v_or3_b32 v8, v10, v9, v8
.LBB32_1940:
	s_or_b64 exec, exec, s[6:7]
	s_movk_i32 s4, 0xff
	v_and_b32_sdwa v9, v0, s4 dst_sel:DWORD dst_unused:UNUSED_PAD src0_sel:WORD_1 src1_sel:DWORD
	s_movk_i32 s4, 0x7f
	v_cmp_lt_i16_e32 vcc, s4, v9
	s_mov_b64 s[4:5], 0
                                        ; implicit-def: $sgpr10
	s_and_saveexec_b64 s[6:7], vcc
	s_xor_b64 s[6:7], exec, s[6:7]
	s_cbranch_execnz .LBB32_3989
; %bb.1941:
	s_or_saveexec_b64 s[6:7], s[6:7]
	v_mov_b32_e32 v10, s10
	s_xor_b64 exec, exec, s[6:7]
	s_cbranch_execnz .LBB32_3992
.LBB32_1942:
	s_or_b64 exec, exec, s[6:7]
	s_and_saveexec_b64 s[6:7], s[4:5]
	s_cbranch_execz .LBB32_1944
.LBB32_1943:
	v_bfe_u32 v9, v0, 16, 3
	v_ffbh_u32_e32 v12, v9
	v_min_u32_e32 v12, 32, v12
	v_lshrrev_b32_e32 v10, 19, v0
	v_subrev_u32_e32 v13, 28, v12
	v_and_b32_e32 v10, 15, v10
	v_lshlrev_b32_sdwa v13, v13, v0 dst_sel:DWORD dst_unused:UNUSED_PAD src0_sel:DWORD src1_sel:WORD_1
	v_bfe_u32 v11, v0, 19, 4
	v_sub_u32_e32 v12, 29, v12
	v_and_b32_e32 v13, 7, v13
	v_cmp_eq_u16_e32 vcc, 0, v10
	v_cndmask_b32_e32 v9, v9, v13, vcc
	v_cndmask_b32_e32 v10, v11, v12, vcc
	v_lshlrev_b32_e32 v11, 8, v0
	v_mov_b32_e32 v12, 0x3b800000
	v_lshlrev_b32_e32 v9, 20, v9
	v_and_b32_e32 v11, 0x80000000, v11
	v_lshl_add_u32 v10, v10, 23, v12
	v_or3_b32 v10, v11, v10, v9
.LBB32_1944:
	s_or_b64 exec, exec, s[6:7]
	s_nop 0
	v_mfma_f32_16x16x4f32 a[0:3], v8, v10, a[0:3]
	s_movk_i32 s4, 0x7f
	v_cmp_gt_i16_sdwa s[6:7], v4, s4 src0_sel:BYTE_3 src1_sel:DWORD
	s_mov_b64 s[4:5], 0
                                        ; implicit-def: $sgpr10
	s_and_saveexec_b64 s[8:9], s[6:7]
	s_xor_b64 s[6:7], exec, s[8:9]
	s_cbranch_execnz .LBB32_3993
; %bb.1945:
	s_or_saveexec_b64 s[6:7], s[6:7]
	v_mov_b32_e32 v8, s10
	s_xor_b64 exec, exec, s[6:7]
	s_cbranch_execnz .LBB32_3996
.LBB32_1946:
	s_or_b64 exec, exec, s[6:7]
	s_and_saveexec_b64 s[6:7], s[4:5]
	s_cbranch_execz .LBB32_1948
.LBB32_1947:
	v_bfe_u32 v8, v4, 24, 3
	v_ffbh_u32_e32 v12, v8
	v_min_u32_e32 v12, 32, v12
	v_lshrrev_b32_e32 v10, 27, v4
	v_subrev_u32_e32 v13, 28, v12
	v_and_b32_e32 v9, 0x80000000, v4
	v_and_b32_e32 v10, 15, v10
	v_bfe_u32 v11, v4, 27, 4
	v_lshlrev_b32_sdwa v4, v13, v4 dst_sel:DWORD dst_unused:UNUSED_PAD src0_sel:DWORD src1_sel:BYTE_3
	v_sub_u32_e32 v12, 29, v12
	v_and_b32_e32 v4, 7, v4
	v_cmp_eq_u16_e32 vcc, 0, v10
	v_cndmask_b32_e32 v4, v8, v4, vcc
	v_cndmask_b32_e32 v8, v11, v12, vcc
	v_mov_b32_e32 v10, 0x3b800000
	v_lshlrev_b32_e32 v4, 20, v4
	v_lshl_add_u32 v8, v8, 23, v10
	v_or3_b32 v8, v9, v8, v4
.LBB32_1948:
	s_or_b64 exec, exec, s[6:7]
	s_movk_i32 s4, 0x7f
	v_cmp_gt_i16_sdwa s[6:7], v0, s4 src0_sel:BYTE_3 src1_sel:DWORD
	s_mov_b64 s[4:5], 0
                                        ; implicit-def: $sgpr10
	s_and_saveexec_b64 s[8:9], s[6:7]
	s_xor_b64 s[6:7], exec, s[8:9]
	s_cbranch_execnz .LBB32_3997
; %bb.1949:
	s_or_saveexec_b64 s[6:7], s[6:7]
	v_mov_b32_e32 v4, s10
	s_xor_b64 exec, exec, s[6:7]
	s_cbranch_execnz .LBB32_4000
.LBB32_1950:
	s_or_b64 exec, exec, s[6:7]
	s_and_saveexec_b64 s[6:7], s[4:5]
	s_cbranch_execz .LBB32_1952
.LBB32_1951:
	v_bfe_u32 v4, v0, 24, 3
	v_ffbh_u32_e32 v12, v4
	v_min_u32_e32 v12, 32, v12
	v_lshrrev_b32_e32 v10, 27, v0
	v_subrev_u32_e32 v13, 28, v12
	v_and_b32_e32 v9, 0x80000000, v0
	v_and_b32_e32 v10, 15, v10
	v_bfe_u32 v11, v0, 27, 4
	v_lshlrev_b32_sdwa v0, v13, v0 dst_sel:DWORD dst_unused:UNUSED_PAD src0_sel:DWORD src1_sel:BYTE_3
	v_sub_u32_e32 v12, 29, v12
	v_and_b32_e32 v0, 7, v0
	v_cmp_eq_u16_e32 vcc, 0, v10
	v_cndmask_b32_e32 v0, v4, v0, vcc
	v_cndmask_b32_e32 v4, v11, v12, vcc
	v_mov_b32_e32 v10, 0x3b800000
	v_lshlrev_b32_e32 v0, 20, v0
	v_lshl_add_u32 v4, v4, 23, v10
	v_or3_b32 v4, v9, v4, v0
.LBB32_1952:
	s_or_b64 exec, exec, s[6:7]
	s_nop 0
	v_mfma_f32_16x16x4f32 a[0:3], v8, v4, a[0:3]
	s_movk_i32 s4, 0x7f
	v_cmp_gt_i16_sdwa s[6:7], v5, s4 src0_sel:BYTE_0 src1_sel:DWORD
	s_mov_b64 s[4:5], 0
                                        ; implicit-def: $sgpr10
	s_and_saveexec_b64 s[8:9], s[6:7]
	s_xor_b64 s[6:7], exec, s[8:9]
	s_cbranch_execnz .LBB32_4001
; %bb.1953:
	s_or_saveexec_b64 s[6:7], s[6:7]
	v_mov_b32_e32 v0, s10
	s_xor_b64 exec, exec, s[6:7]
	s_cbranch_execnz .LBB32_4004
.LBB32_1954:
	s_or_b64 exec, exec, s[6:7]
	s_and_saveexec_b64 s[6:7], s[4:5]
	s_cbranch_execz .LBB32_1956
.LBB32_1955:
	v_and_b32_e32 v0, 7, v5
	v_ffbh_u32_e32 v8, v0
	v_min_u32_e32 v8, 32, v8
	v_lshrrev_b16_e32 v4, 3, v5
	v_subrev_u32_e32 v9, 28, v8
	v_and_b32_e32 v4, 15, v4
	v_lshlrev_b32_e32 v9, v9, v5
	v_sub_u32_e32 v8, 29, v8
	v_and_b32_e32 v9, 7, v9
	v_cmp_eq_u16_e32 vcc, 0, v4
	v_cndmask_b32_e32 v0, v0, v9, vcc
	v_cndmask_b32_e32 v4, v4, v8, vcc
	v_lshlrev_b32_e32 v8, 24, v5
	v_mov_b32_e32 v9, 0x3b800000
	v_lshlrev_b32_e32 v0, 20, v0
	v_and_b32_e32 v8, 0x80000000, v8
	v_lshl_add_u32 v4, v4, 23, v9
	v_or3_b32 v0, v8, v4, v0
.LBB32_1956:
	s_or_b64 exec, exec, s[6:7]
	s_movk_i32 s4, 0x7f
	v_cmp_gt_i16_sdwa s[6:7], v1, s4 src0_sel:BYTE_0 src1_sel:DWORD
	s_mov_b64 s[4:5], 0
                                        ; implicit-def: $sgpr10
	s_and_saveexec_b64 s[8:9], s[6:7]
	s_xor_b64 s[6:7], exec, s[8:9]
	s_cbranch_execnz .LBB32_4005
; %bb.1957:
	s_or_saveexec_b64 s[6:7], s[6:7]
	v_mov_b32_e32 v4, s10
	s_xor_b64 exec, exec, s[6:7]
	s_cbranch_execnz .LBB32_4008
.LBB32_1958:
	s_or_b64 exec, exec, s[6:7]
	s_and_saveexec_b64 s[6:7], s[4:5]
	s_cbranch_execz .LBB32_1960
.LBB32_1959:
	v_and_b32_e32 v4, 7, v1
	v_ffbh_u32_e32 v9, v4
	v_min_u32_e32 v9, 32, v9
	v_lshrrev_b16_e32 v8, 3, v1
	v_subrev_u32_e32 v10, 28, v9
	v_and_b32_e32 v8, 15, v8
	v_lshlrev_b32_e32 v10, v10, v1
	v_sub_u32_e32 v9, 29, v9
	v_and_b32_e32 v10, 7, v10
	v_cmp_eq_u16_e32 vcc, 0, v8
	v_cndmask_b32_e32 v4, v4, v10, vcc
	v_cndmask_b32_e32 v8, v8, v9, vcc
	v_lshlrev_b32_e32 v9, 24, v1
	v_mov_b32_e32 v10, 0x3b800000
	v_lshlrev_b32_e32 v4, 20, v4
	v_and_b32_e32 v9, 0x80000000, v9
	v_lshl_add_u32 v8, v8, 23, v10
	v_or3_b32 v4, v9, v8, v4
.LBB32_1960:
	s_or_b64 exec, exec, s[6:7]
	s_nop 0
	v_mfma_f32_16x16x4f32 a[0:3], v0, v4, a[0:3]
	v_lshrrev_b32_e32 v4, 8, v5
	s_movk_i32 s4, 0x7f
	v_cmp_gt_i16_sdwa s[6:7], v4, s4 src0_sel:BYTE_0 src1_sel:DWORD
	s_mov_b64 s[4:5], 0
                                        ; implicit-def: $sgpr10
	s_and_saveexec_b64 s[8:9], s[6:7]
	s_xor_b64 s[6:7], exec, s[8:9]
	s_cbranch_execnz .LBB32_4009
; %bb.1961:
	s_or_saveexec_b64 s[6:7], s[6:7]
	v_mov_b32_e32 v0, s10
	s_xor_b64 exec, exec, s[6:7]
	s_cbranch_execnz .LBB32_4012
.LBB32_1962:
	s_or_b64 exec, exec, s[6:7]
	s_and_saveexec_b64 s[6:7], s[4:5]
	s_cbranch_execz .LBB32_1964
.LBB32_1963:
	v_bfe_u32 v0, v5, 8, 3
	v_ffbh_u32_e32 v9, v0
	v_min_u32_e32 v9, 32, v9
	v_lshrrev_b16_e32 v8, 3, v4
	v_subrev_u32_e32 v10, 28, v9
	v_and_b32_e32 v8, 15, v8
	v_lshlrev_b32_e32 v4, v10, v4
	v_sub_u32_e32 v9, 29, v9
	v_and_b32_e32 v4, 7, v4
	v_cmp_eq_u16_e32 vcc, 0, v8
	v_cndmask_b32_e32 v0, v0, v4, vcc
	v_cndmask_b32_e32 v4, v8, v9, vcc
	v_lshlrev_b32_e32 v8, 16, v5
	v_mov_b32_e32 v9, 0x3b800000
	v_lshlrev_b32_e32 v0, 20, v0
	v_and_b32_e32 v8, 0x80000000, v8
	v_lshl_add_u32 v4, v4, 23, v9
	v_or3_b32 v0, v8, v4, v0
.LBB32_1964:
	s_or_b64 exec, exec, s[6:7]
	v_lshrrev_b32_e32 v4, 8, v1
	s_movk_i32 s4, 0x7f
	v_cmp_gt_i16_sdwa s[6:7], v4, s4 src0_sel:BYTE_0 src1_sel:DWORD
	s_mov_b64 s[4:5], 0
                                        ; implicit-def: $sgpr10
	s_and_saveexec_b64 s[8:9], s[6:7]
	s_xor_b64 s[6:7], exec, s[8:9]
	s_cbranch_execnz .LBB32_4013
; %bb.1965:
	s_or_saveexec_b64 s[6:7], s[6:7]
	v_mov_b32_e32 v8, s10
	s_xor_b64 exec, exec, s[6:7]
	s_cbranch_execnz .LBB32_4016
.LBB32_1966:
	s_or_b64 exec, exec, s[6:7]
	s_and_saveexec_b64 s[6:7], s[4:5]
	s_cbranch_execz .LBB32_1968
.LBB32_1967:
	v_bfe_u32 v8, v1, 8, 3
	v_ffbh_u32_e32 v10, v8
	v_min_u32_e32 v10, 32, v10
	v_lshrrev_b16_e32 v9, 3, v4
	v_subrev_u32_e32 v11, 28, v10
	v_and_b32_e32 v9, 15, v9
	v_lshlrev_b32_e32 v4, v11, v4
	v_sub_u32_e32 v10, 29, v10
	v_and_b32_e32 v4, 7, v4
	v_cmp_eq_u16_e32 vcc, 0, v9
	v_cndmask_b32_e32 v4, v8, v4, vcc
	v_cndmask_b32_e32 v8, v9, v10, vcc
	v_lshlrev_b32_e32 v9, 16, v1
	v_mov_b32_e32 v10, 0x3b800000
	v_lshlrev_b32_e32 v4, 20, v4
	v_and_b32_e32 v9, 0x80000000, v9
	v_lshl_add_u32 v8, v8, 23, v10
	v_or3_b32 v8, v9, v8, v4
.LBB32_1968:
	s_or_b64 exec, exec, s[6:7]
	s_nop 0
	v_mfma_f32_16x16x4f32 a[0:3], v0, v8, a[0:3]
	s_movk_i32 s4, 0xff
	v_and_b32_sdwa v4, v5, s4 dst_sel:DWORD dst_unused:UNUSED_PAD src0_sel:WORD_1 src1_sel:DWORD
	s_movk_i32 s4, 0x7f
	v_cmp_lt_i16_e32 vcc, s4, v4
	s_mov_b64 s[4:5], 0
                                        ; implicit-def: $sgpr10
	s_and_saveexec_b64 s[6:7], vcc
	s_xor_b64 s[6:7], exec, s[6:7]
	s_cbranch_execnz .LBB32_4017
; %bb.1969:
	s_or_saveexec_b64 s[6:7], s[6:7]
	v_mov_b32_e32 v0, s10
	s_xor_b64 exec, exec, s[6:7]
	s_cbranch_execnz .LBB32_4020
.LBB32_1970:
	s_or_b64 exec, exec, s[6:7]
	s_and_saveexec_b64 s[6:7], s[4:5]
	s_cbranch_execz .LBB32_1972
.LBB32_1971:
	v_bfe_u32 v0, v5, 16, 3
	v_ffbh_u32_e32 v9, v0
	v_min_u32_e32 v9, 32, v9
	v_lshrrev_b32_e32 v4, 19, v5
	v_subrev_u32_e32 v10, 28, v9
	v_and_b32_e32 v4, 15, v4
	v_lshlrev_b32_sdwa v10, v10, v5 dst_sel:DWORD dst_unused:UNUSED_PAD src0_sel:DWORD src1_sel:WORD_1
	v_bfe_u32 v8, v5, 19, 4
	v_sub_u32_e32 v9, 29, v9
	v_and_b32_e32 v10, 7, v10
	v_cmp_eq_u16_e32 vcc, 0, v4
	v_cndmask_b32_e32 v0, v0, v10, vcc
	v_cndmask_b32_e32 v4, v8, v9, vcc
	v_lshlrev_b32_e32 v8, 8, v5
	v_mov_b32_e32 v9, 0x3b800000
	v_lshlrev_b32_e32 v0, 20, v0
	v_and_b32_e32 v8, 0x80000000, v8
	v_lshl_add_u32 v4, v4, 23, v9
	v_or3_b32 v0, v8, v4, v0
.LBB32_1972:
	s_or_b64 exec, exec, s[6:7]
	s_movk_i32 s4, 0xff
	v_and_b32_sdwa v4, v1, s4 dst_sel:DWORD dst_unused:UNUSED_PAD src0_sel:WORD_1 src1_sel:DWORD
	s_movk_i32 s4, 0x7f
	v_cmp_lt_i16_e32 vcc, s4, v4
	s_mov_b64 s[4:5], 0
                                        ; implicit-def: $sgpr10
	s_and_saveexec_b64 s[6:7], vcc
	s_xor_b64 s[6:7], exec, s[6:7]
	s_cbranch_execnz .LBB32_4021
; %bb.1973:
	s_or_saveexec_b64 s[6:7], s[6:7]
	v_mov_b32_e32 v8, s10
	s_xor_b64 exec, exec, s[6:7]
	s_cbranch_execnz .LBB32_4024
.LBB32_1974:
	s_or_b64 exec, exec, s[6:7]
	s_and_saveexec_b64 s[6:7], s[4:5]
	s_cbranch_execz .LBB32_1976
.LBB32_1975:
	v_bfe_u32 v4, v1, 16, 3
	v_ffbh_u32_e32 v10, v4
	v_min_u32_e32 v10, 32, v10
	v_lshrrev_b32_e32 v8, 19, v1
	v_subrev_u32_e32 v11, 28, v10
	v_and_b32_e32 v8, 15, v8
	v_lshlrev_b32_sdwa v11, v11, v1 dst_sel:DWORD dst_unused:UNUSED_PAD src0_sel:DWORD src1_sel:WORD_1
	v_bfe_u32 v9, v1, 19, 4
	v_sub_u32_e32 v10, 29, v10
	v_and_b32_e32 v11, 7, v11
	v_cmp_eq_u16_e32 vcc, 0, v8
	v_cndmask_b32_e32 v4, v4, v11, vcc
	v_cndmask_b32_e32 v8, v9, v10, vcc
	v_lshlrev_b32_e32 v9, 8, v1
	v_mov_b32_e32 v10, 0x3b800000
	v_lshlrev_b32_e32 v4, 20, v4
	v_and_b32_e32 v9, 0x80000000, v9
	v_lshl_add_u32 v8, v8, 23, v10
	v_or3_b32 v8, v9, v8, v4
.LBB32_1976:
	s_or_b64 exec, exec, s[6:7]
	s_nop 0
	v_mfma_f32_16x16x4f32 a[0:3], v0, v8, a[0:3]
	s_movk_i32 s4, 0x7f
	v_cmp_gt_i16_sdwa s[6:7], v5, s4 src0_sel:BYTE_3 src1_sel:DWORD
	s_mov_b64 s[4:5], 0
                                        ; implicit-def: $sgpr10
	s_and_saveexec_b64 s[8:9], s[6:7]
	s_xor_b64 s[6:7], exec, s[8:9]
	s_cbranch_execnz .LBB32_4025
; %bb.1977:
	s_or_saveexec_b64 s[6:7], s[6:7]
	v_mov_b32_e32 v0, s10
	s_xor_b64 exec, exec, s[6:7]
	s_cbranch_execnz .LBB32_4028
.LBB32_1978:
	s_or_b64 exec, exec, s[6:7]
	s_and_saveexec_b64 s[6:7], s[4:5]
	s_cbranch_execz .LBB32_1980
.LBB32_1979:
	v_bfe_u32 v0, v5, 24, 3
	v_ffbh_u32_e32 v10, v0
	v_min_u32_e32 v10, 32, v10
	v_lshrrev_b32_e32 v8, 27, v5
	v_subrev_u32_e32 v11, 28, v10
	v_and_b32_e32 v4, 0x80000000, v5
	v_and_b32_e32 v8, 15, v8
	v_bfe_u32 v9, v5, 27, 4
	v_lshlrev_b32_sdwa v5, v11, v5 dst_sel:DWORD dst_unused:UNUSED_PAD src0_sel:DWORD src1_sel:BYTE_3
	v_sub_u32_e32 v10, 29, v10
	v_and_b32_e32 v5, 7, v5
	v_cmp_eq_u16_e32 vcc, 0, v8
	v_cndmask_b32_e32 v0, v0, v5, vcc
	v_cndmask_b32_e32 v5, v9, v10, vcc
	v_mov_b32_e32 v8, 0x3b800000
	v_lshlrev_b32_e32 v0, 20, v0
	v_lshl_add_u32 v5, v5, 23, v8
	v_or3_b32 v0, v4, v5, v0
.LBB32_1980:
	s_or_b64 exec, exec, s[6:7]
	s_movk_i32 s4, 0x7f
	v_cmp_gt_i16_sdwa s[6:7], v1, s4 src0_sel:BYTE_3 src1_sel:DWORD
	s_mov_b64 s[4:5], 0
                                        ; implicit-def: $sgpr10
	s_and_saveexec_b64 s[8:9], s[6:7]
	s_xor_b64 s[6:7], exec, s[8:9]
	s_cbranch_execnz .LBB32_4029
; %bb.1981:
	s_or_saveexec_b64 s[6:7], s[6:7]
	v_mov_b32_e32 v4, s10
	s_xor_b64 exec, exec, s[6:7]
	s_cbranch_execnz .LBB32_4032
.LBB32_1982:
	s_or_b64 exec, exec, s[6:7]
	s_and_saveexec_b64 s[6:7], s[4:5]
	s_cbranch_execz .LBB32_1984
.LBB32_1983:
	v_bfe_u32 v4, v1, 24, 3
	v_ffbh_u32_e32 v10, v4
	v_min_u32_e32 v10, 32, v10
	v_lshrrev_b32_e32 v8, 27, v1
	v_subrev_u32_e32 v11, 28, v10
	v_and_b32_e32 v5, 0x80000000, v1
	v_and_b32_e32 v8, 15, v8
	v_bfe_u32 v9, v1, 27, 4
	v_lshlrev_b32_sdwa v1, v11, v1 dst_sel:DWORD dst_unused:UNUSED_PAD src0_sel:DWORD src1_sel:BYTE_3
	v_sub_u32_e32 v10, 29, v10
	v_and_b32_e32 v1, 7, v1
	v_cmp_eq_u16_e32 vcc, 0, v8
	v_cndmask_b32_e32 v1, v4, v1, vcc
	v_cndmask_b32_e32 v4, v9, v10, vcc
	v_mov_b32_e32 v8, 0x3b800000
	v_lshlrev_b32_e32 v1, 20, v1
	v_lshl_add_u32 v4, v4, 23, v8
	v_or3_b32 v4, v5, v4, v1
.LBB32_1984:
	s_or_b64 exec, exec, s[6:7]
	s_nop 0
	v_mfma_f32_16x16x4f32 a[0:3], v0, v4, a[0:3]
	s_movk_i32 s4, 0x7f
	v_cmp_gt_i16_sdwa s[6:7], v6, s4 src0_sel:BYTE_0 src1_sel:DWORD
	s_mov_b64 s[4:5], 0
                                        ; implicit-def: $sgpr10
	s_and_saveexec_b64 s[8:9], s[6:7]
	s_xor_b64 s[6:7], exec, s[8:9]
	s_cbranch_execnz .LBB32_4033
; %bb.1985:
	s_or_saveexec_b64 s[6:7], s[6:7]
	v_mov_b32_e32 v0, s10
	s_xor_b64 exec, exec, s[6:7]
	s_cbranch_execnz .LBB32_4036
.LBB32_1986:
	s_or_b64 exec, exec, s[6:7]
	s_and_saveexec_b64 s[6:7], s[4:5]
	s_cbranch_execz .LBB32_1988
.LBB32_1987:
	v_and_b32_e32 v0, 7, v6
	v_ffbh_u32_e32 v4, v0
	v_min_u32_e32 v4, 32, v4
	v_lshrrev_b16_e32 v1, 3, v6
	v_subrev_u32_e32 v5, 28, v4
	v_and_b32_e32 v1, 15, v1
	v_lshlrev_b32_e32 v5, v5, v6
	v_sub_u32_e32 v4, 29, v4
	v_and_b32_e32 v5, 7, v5
	v_cmp_eq_u16_e32 vcc, 0, v1
	v_cndmask_b32_e32 v0, v0, v5, vcc
	v_cndmask_b32_e32 v1, v1, v4, vcc
	v_lshlrev_b32_e32 v4, 24, v6
	v_mov_b32_e32 v5, 0x3b800000
	v_lshlrev_b32_e32 v0, 20, v0
	v_and_b32_e32 v4, 0x80000000, v4
	v_lshl_add_u32 v1, v1, 23, v5
	v_or3_b32 v0, v4, v1, v0
.LBB32_1988:
	s_or_b64 exec, exec, s[6:7]
	s_movk_i32 s4, 0x7f
	v_cmp_gt_i16_sdwa s[6:7], v2, s4 src0_sel:BYTE_0 src1_sel:DWORD
	s_mov_b64 s[4:5], 0
                                        ; implicit-def: $sgpr10
	s_and_saveexec_b64 s[8:9], s[6:7]
	s_xor_b64 s[6:7], exec, s[8:9]
	s_cbranch_execnz .LBB32_4037
; %bb.1989:
	s_or_saveexec_b64 s[6:7], s[6:7]
	v_mov_b32_e32 v1, s10
	s_xor_b64 exec, exec, s[6:7]
	s_cbranch_execnz .LBB32_4040
.LBB32_1990:
	s_or_b64 exec, exec, s[6:7]
	s_and_saveexec_b64 s[6:7], s[4:5]
	s_cbranch_execz .LBB32_1992
.LBB32_1991:
	v_and_b32_e32 v1, 7, v2
	v_ffbh_u32_e32 v5, v1
	v_min_u32_e32 v5, 32, v5
	v_lshrrev_b16_e32 v4, 3, v2
	v_subrev_u32_e32 v8, 28, v5
	v_and_b32_e32 v4, 15, v4
	v_lshlrev_b32_e32 v8, v8, v2
	v_sub_u32_e32 v5, 29, v5
	v_and_b32_e32 v8, 7, v8
	v_cmp_eq_u16_e32 vcc, 0, v4
	v_cndmask_b32_e32 v1, v1, v8, vcc
	v_cndmask_b32_e32 v4, v4, v5, vcc
	v_lshlrev_b32_e32 v5, 24, v2
	v_mov_b32_e32 v8, 0x3b800000
	v_lshlrev_b32_e32 v1, 20, v1
	v_and_b32_e32 v5, 0x80000000, v5
	v_lshl_add_u32 v4, v4, 23, v8
	v_or3_b32 v1, v5, v4, v1
.LBB32_1992:
	s_or_b64 exec, exec, s[6:7]
	s_nop 0
	v_mfma_f32_16x16x4f32 a[0:3], v0, v1, a[0:3]
	v_lshrrev_b32_e32 v1, 8, v6
	s_movk_i32 s4, 0x7f
	v_cmp_gt_i16_sdwa s[6:7], v1, s4 src0_sel:BYTE_0 src1_sel:DWORD
	s_mov_b64 s[4:5], 0
                                        ; implicit-def: $sgpr10
	s_and_saveexec_b64 s[8:9], s[6:7]
	s_xor_b64 s[6:7], exec, s[8:9]
	s_cbranch_execnz .LBB32_4041
; %bb.1993:
	s_or_saveexec_b64 s[6:7], s[6:7]
	v_mov_b32_e32 v0, s10
	s_xor_b64 exec, exec, s[6:7]
	s_cbranch_execnz .LBB32_4044
.LBB32_1994:
	s_or_b64 exec, exec, s[6:7]
	s_and_saveexec_b64 s[6:7], s[4:5]
	s_cbranch_execz .LBB32_1996
.LBB32_1995:
	v_bfe_u32 v0, v6, 8, 3
	v_ffbh_u32_e32 v5, v0
	v_min_u32_e32 v5, 32, v5
	v_lshrrev_b16_e32 v4, 3, v1
	v_subrev_u32_e32 v8, 28, v5
	v_and_b32_e32 v4, 15, v4
	v_lshlrev_b32_e32 v1, v8, v1
	v_sub_u32_e32 v5, 29, v5
	v_and_b32_e32 v1, 7, v1
	v_cmp_eq_u16_e32 vcc, 0, v4
	v_cndmask_b32_e32 v0, v0, v1, vcc
	v_cndmask_b32_e32 v1, v4, v5, vcc
	v_lshlrev_b32_e32 v4, 16, v6
	v_mov_b32_e32 v5, 0x3b800000
	v_lshlrev_b32_e32 v0, 20, v0
	v_and_b32_e32 v4, 0x80000000, v4
	v_lshl_add_u32 v1, v1, 23, v5
	v_or3_b32 v0, v4, v1, v0
.LBB32_1996:
	s_or_b64 exec, exec, s[6:7]
	v_lshrrev_b32_e32 v1, 8, v2
	s_movk_i32 s4, 0x7f
	v_cmp_gt_i16_sdwa s[6:7], v1, s4 src0_sel:BYTE_0 src1_sel:DWORD
	s_mov_b64 s[4:5], 0
                                        ; implicit-def: $sgpr10
	s_and_saveexec_b64 s[8:9], s[6:7]
	s_xor_b64 s[6:7], exec, s[8:9]
	s_cbranch_execnz .LBB32_4045
; %bb.1997:
	s_or_saveexec_b64 s[6:7], s[6:7]
	v_mov_b32_e32 v4, s10
	s_xor_b64 exec, exec, s[6:7]
	s_cbranch_execnz .LBB32_4048
.LBB32_1998:
	s_or_b64 exec, exec, s[6:7]
	s_and_saveexec_b64 s[6:7], s[4:5]
	s_cbranch_execz .LBB32_2000
.LBB32_1999:
	v_bfe_u32 v4, v2, 8, 3
	v_ffbh_u32_e32 v8, v4
	v_min_u32_e32 v8, 32, v8
	v_lshrrev_b16_e32 v5, 3, v1
	v_subrev_u32_e32 v9, 28, v8
	v_and_b32_e32 v5, 15, v5
	v_lshlrev_b32_e32 v1, v9, v1
	v_sub_u32_e32 v8, 29, v8
	v_and_b32_e32 v1, 7, v1
	v_cmp_eq_u16_e32 vcc, 0, v5
	v_cndmask_b32_e32 v1, v4, v1, vcc
	v_cndmask_b32_e32 v4, v5, v8, vcc
	v_lshlrev_b32_e32 v5, 16, v2
	v_mov_b32_e32 v8, 0x3b800000
	v_lshlrev_b32_e32 v1, 20, v1
	v_and_b32_e32 v5, 0x80000000, v5
	v_lshl_add_u32 v4, v4, 23, v8
	v_or3_b32 v4, v5, v4, v1
.LBB32_2000:
	s_or_b64 exec, exec, s[6:7]
	s_nop 0
	v_mfma_f32_16x16x4f32 a[0:3], v0, v4, a[0:3]
	s_movk_i32 s4, 0xff
	v_and_b32_sdwa v1, v6, s4 dst_sel:DWORD dst_unused:UNUSED_PAD src0_sel:WORD_1 src1_sel:DWORD
	s_movk_i32 s4, 0x7f
	v_cmp_lt_i16_e32 vcc, s4, v1
	s_mov_b64 s[4:5], 0
                                        ; implicit-def: $sgpr10
	s_and_saveexec_b64 s[6:7], vcc
	s_xor_b64 s[6:7], exec, s[6:7]
	s_cbranch_execnz .LBB32_4049
; %bb.2001:
	s_or_saveexec_b64 s[6:7], s[6:7]
	v_mov_b32_e32 v0, s10
	s_xor_b64 exec, exec, s[6:7]
	s_cbranch_execnz .LBB32_4052
.LBB32_2002:
	s_or_b64 exec, exec, s[6:7]
	s_and_saveexec_b64 s[6:7], s[4:5]
	s_cbranch_execz .LBB32_2004
.LBB32_2003:
	v_bfe_u32 v0, v6, 16, 3
	v_ffbh_u32_e32 v5, v0
	v_min_u32_e32 v5, 32, v5
	v_lshrrev_b32_e32 v1, 19, v6
	v_subrev_u32_e32 v8, 28, v5
	v_and_b32_e32 v1, 15, v1
	v_lshlrev_b32_sdwa v8, v8, v6 dst_sel:DWORD dst_unused:UNUSED_PAD src0_sel:DWORD src1_sel:WORD_1
	v_bfe_u32 v4, v6, 19, 4
	v_sub_u32_e32 v5, 29, v5
	v_and_b32_e32 v8, 7, v8
	v_cmp_eq_u16_e32 vcc, 0, v1
	v_cndmask_b32_e32 v0, v0, v8, vcc
	v_cndmask_b32_e32 v1, v4, v5, vcc
	v_lshlrev_b32_e32 v4, 8, v6
	v_mov_b32_e32 v5, 0x3b800000
	v_lshlrev_b32_e32 v0, 20, v0
	v_and_b32_e32 v4, 0x80000000, v4
	v_lshl_add_u32 v1, v1, 23, v5
	v_or3_b32 v0, v4, v1, v0
.LBB32_2004:
	s_or_b64 exec, exec, s[6:7]
	s_movk_i32 s4, 0xff
	v_and_b32_sdwa v1, v2, s4 dst_sel:DWORD dst_unused:UNUSED_PAD src0_sel:WORD_1 src1_sel:DWORD
	s_movk_i32 s4, 0x7f
	v_cmp_lt_i16_e32 vcc, s4, v1
	s_mov_b64 s[4:5], 0
                                        ; implicit-def: $sgpr10
	s_and_saveexec_b64 s[6:7], vcc
	s_xor_b64 s[6:7], exec, s[6:7]
	s_cbranch_execnz .LBB32_4053
; %bb.2005:
	s_or_saveexec_b64 s[6:7], s[6:7]
	v_mov_b32_e32 v4, s10
	s_xor_b64 exec, exec, s[6:7]
	s_cbranch_execnz .LBB32_4056
.LBB32_2006:
	s_or_b64 exec, exec, s[6:7]
	s_and_saveexec_b64 s[6:7], s[4:5]
	s_cbranch_execz .LBB32_2008
.LBB32_2007:
	v_bfe_u32 v1, v2, 16, 3
	v_ffbh_u32_e32 v8, v1
	v_min_u32_e32 v8, 32, v8
	v_lshrrev_b32_e32 v4, 19, v2
	v_subrev_u32_e32 v9, 28, v8
	v_and_b32_e32 v4, 15, v4
	v_lshlrev_b32_sdwa v9, v9, v2 dst_sel:DWORD dst_unused:UNUSED_PAD src0_sel:DWORD src1_sel:WORD_1
	v_bfe_u32 v5, v2, 19, 4
	v_sub_u32_e32 v8, 29, v8
	v_and_b32_e32 v9, 7, v9
	v_cmp_eq_u16_e32 vcc, 0, v4
	v_cndmask_b32_e32 v1, v1, v9, vcc
	v_cndmask_b32_e32 v4, v5, v8, vcc
	v_lshlrev_b32_e32 v5, 8, v2
	v_mov_b32_e32 v8, 0x3b800000
	v_lshlrev_b32_e32 v1, 20, v1
	v_and_b32_e32 v5, 0x80000000, v5
	v_lshl_add_u32 v4, v4, 23, v8
	v_or3_b32 v4, v5, v4, v1
.LBB32_2008:
	s_or_b64 exec, exec, s[6:7]
	s_nop 0
	v_mfma_f32_16x16x4f32 a[0:3], v0, v4, a[0:3]
	s_movk_i32 s4, 0x7f
	v_cmp_gt_i16_sdwa s[6:7], v6, s4 src0_sel:BYTE_3 src1_sel:DWORD
	s_mov_b64 s[4:5], 0
                                        ; implicit-def: $sgpr10
	s_and_saveexec_b64 s[8:9], s[6:7]
	s_xor_b64 s[6:7], exec, s[8:9]
	s_cbranch_execnz .LBB32_4057
; %bb.2009:
	s_or_saveexec_b64 s[6:7], s[6:7]
	v_mov_b32_e32 v0, s10
	s_xor_b64 exec, exec, s[6:7]
	s_cbranch_execnz .LBB32_4060
.LBB32_2010:
	s_or_b64 exec, exec, s[6:7]
	s_and_saveexec_b64 s[6:7], s[4:5]
	s_cbranch_execz .LBB32_2012
.LBB32_2011:
	v_bfe_u32 v0, v6, 24, 3
	v_ffbh_u32_e32 v8, v0
	v_min_u32_e32 v8, 32, v8
	v_lshrrev_b32_e32 v4, 27, v6
	v_subrev_u32_e32 v9, 28, v8
	v_and_b32_e32 v1, 0x80000000, v6
	v_and_b32_e32 v4, 15, v4
	v_bfe_u32 v5, v6, 27, 4
	v_lshlrev_b32_sdwa v6, v9, v6 dst_sel:DWORD dst_unused:UNUSED_PAD src0_sel:DWORD src1_sel:BYTE_3
	v_sub_u32_e32 v8, 29, v8
	v_and_b32_e32 v6, 7, v6
	v_cmp_eq_u16_e32 vcc, 0, v4
	v_cndmask_b32_e32 v0, v0, v6, vcc
	v_cndmask_b32_e32 v4, v5, v8, vcc
	v_mov_b32_e32 v5, 0x3b800000
	v_lshlrev_b32_e32 v0, 20, v0
	v_lshl_add_u32 v4, v4, 23, v5
	v_or3_b32 v0, v1, v4, v0
.LBB32_2012:
	s_or_b64 exec, exec, s[6:7]
	s_movk_i32 s4, 0x7f
	v_cmp_gt_i16_sdwa s[6:7], v2, s4 src0_sel:BYTE_3 src1_sel:DWORD
	s_mov_b64 s[4:5], 0
                                        ; implicit-def: $sgpr10
	s_and_saveexec_b64 s[8:9], s[6:7]
	s_xor_b64 s[6:7], exec, s[8:9]
	s_cbranch_execnz .LBB32_4061
; %bb.2013:
	s_or_saveexec_b64 s[6:7], s[6:7]
	v_mov_b32_e32 v1, s10
	s_xor_b64 exec, exec, s[6:7]
	s_cbranch_execnz .LBB32_4064
.LBB32_2014:
	s_or_b64 exec, exec, s[6:7]
	s_and_saveexec_b64 s[6:7], s[4:5]
	s_cbranch_execz .LBB32_2016
.LBB32_2015:
	v_bfe_u32 v1, v2, 24, 3
	v_ffbh_u32_e32 v8, v1
	v_min_u32_e32 v8, 32, v8
	v_lshrrev_b32_e32 v5, 27, v2
	v_subrev_u32_e32 v9, 28, v8
	v_and_b32_e32 v4, 0x80000000, v2
	v_and_b32_e32 v5, 15, v5
	v_bfe_u32 v6, v2, 27, 4
	v_lshlrev_b32_sdwa v2, v9, v2 dst_sel:DWORD dst_unused:UNUSED_PAD src0_sel:DWORD src1_sel:BYTE_3
	v_sub_u32_e32 v8, 29, v8
	v_and_b32_e32 v2, 7, v2
	v_cmp_eq_u16_e32 vcc, 0, v5
	v_cndmask_b32_e32 v1, v1, v2, vcc
	v_cndmask_b32_e32 v2, v6, v8, vcc
	v_mov_b32_e32 v5, 0x3b800000
	v_lshlrev_b32_e32 v1, 20, v1
	v_lshl_add_u32 v2, v2, 23, v5
	v_or3_b32 v1, v4, v2, v1
.LBB32_2016:
	s_or_b64 exec, exec, s[6:7]
	s_nop 0
	v_mfma_f32_16x16x4f32 a[0:3], v0, v1, a[0:3]
	s_movk_i32 s4, 0x7f
	v_cmp_gt_i16_sdwa s[6:7], v7, s4 src0_sel:BYTE_0 src1_sel:DWORD
	s_mov_b64 s[4:5], 0
                                        ; implicit-def: $sgpr10
	s_and_saveexec_b64 s[8:9], s[6:7]
	s_xor_b64 s[6:7], exec, s[8:9]
	s_cbranch_execnz .LBB32_4065
; %bb.2017:
	s_or_saveexec_b64 s[6:7], s[6:7]
	v_mov_b32_e32 v0, s10
	s_xor_b64 exec, exec, s[6:7]
	s_cbranch_execnz .LBB32_4068
.LBB32_2018:
	s_or_b64 exec, exec, s[6:7]
	s_and_saveexec_b64 s[6:7], s[4:5]
	s_cbranch_execz .LBB32_2020
.LBB32_2019:
	v_mov_b32_e32 v0, 8
	v_and_b32_e32 v1, 7, v7
	v_lshrrev_b32_sdwa v0, v0, v7 dst_sel:BYTE_1 dst_unused:UNUSED_PAD src0_sel:DWORD src1_sel:DWORD
	v_ffbh_u32_e32 v2, v1
	v_or_b32_sdwa v0, v7, v0 dst_sel:DWORD dst_unused:UNUSED_PAD src0_sel:BYTE_0 src1_sel:DWORD
	v_min_u32_e32 v2, 32, v2
	v_lshrrev_b16_e32 v0, 3, v0
	v_subrev_u32_e32 v4, 28, v2
	v_and_b32_e32 v0, 15, v0
	v_lshlrev_b32_e32 v4, v4, v7
	v_sub_u32_e32 v2, 29, v2
	v_and_b32_e32 v4, 7, v4
	v_cmp_eq_u16_e32 vcc, 0, v0
	v_cndmask_b32_e32 v1, v1, v4, vcc
	v_cndmask_b32_e32 v0, v0, v2, vcc
	v_lshlrev_b32_e32 v2, 24, v7
	v_mov_b32_e32 v4, 0x3b800000
	v_lshlrev_b32_e32 v1, 20, v1
	v_and_b32_e32 v2, 0x80000000, v2
	v_lshl_add_u32 v0, v0, 23, v4
	v_or3_b32 v0, v2, v0, v1
.LBB32_2020:
	s_or_b64 exec, exec, s[6:7]
	s_movk_i32 s4, 0x7f
	v_cmp_gt_i16_sdwa s[6:7], v3, s4 src0_sel:BYTE_0 src1_sel:DWORD
	s_mov_b64 s[4:5], 0
                                        ; implicit-def: $sgpr10
	s_and_saveexec_b64 s[8:9], s[6:7]
	s_xor_b64 s[6:7], exec, s[8:9]
	s_cbranch_execnz .LBB32_4069
; %bb.2021:
	s_or_saveexec_b64 s[6:7], s[6:7]
	v_mov_b32_e32 v1, s10
	s_xor_b64 exec, exec, s[6:7]
	s_cbranch_execnz .LBB32_4072
.LBB32_2022:
	s_or_b64 exec, exec, s[6:7]
	s_and_saveexec_b64 s[6:7], s[4:5]
	s_cbranch_execz .LBB32_2024
.LBB32_2023:
	v_mov_b32_e32 v1, 8
	v_and_b32_e32 v2, 7, v3
	v_lshrrev_b32_sdwa v1, v1, v3 dst_sel:BYTE_1 dst_unused:UNUSED_PAD src0_sel:DWORD src1_sel:DWORD
	v_ffbh_u32_e32 v4, v2
	v_or_b32_sdwa v1, v3, v1 dst_sel:DWORD dst_unused:UNUSED_PAD src0_sel:BYTE_0 src1_sel:DWORD
	v_min_u32_e32 v4, 32, v4
	v_lshrrev_b16_e32 v1, 3, v1
	v_subrev_u32_e32 v5, 28, v4
	v_and_b32_e32 v1, 15, v1
	v_lshlrev_b32_e32 v5, v5, v3
	v_sub_u32_e32 v4, 29, v4
	v_and_b32_e32 v5, 7, v5
	v_cmp_eq_u16_e32 vcc, 0, v1
	v_cndmask_b32_e32 v2, v2, v5, vcc
	v_cndmask_b32_e32 v1, v1, v4, vcc
	v_lshlrev_b32_e32 v4, 24, v3
	v_mov_b32_e32 v5, 0x3b800000
	v_lshlrev_b32_e32 v2, 20, v2
	v_and_b32_e32 v4, 0x80000000, v4
	v_lshl_add_u32 v1, v1, 23, v5
	v_or3_b32 v1, v4, v1, v2
.LBB32_2024:
	s_or_b64 exec, exec, s[6:7]
	s_nop 0
	v_mfma_f32_16x16x4f32 a[0:3], v0, v1, a[0:3]
	v_lshrrev_b32_e32 v1, 8, v7
	s_movk_i32 s4, 0x7f
	v_cmp_gt_i16_sdwa s[6:7], v1, s4 src0_sel:BYTE_0 src1_sel:DWORD
	s_mov_b64 s[4:5], 0
                                        ; implicit-def: $sgpr10
	s_and_saveexec_b64 s[8:9], s[6:7]
	s_xor_b64 s[6:7], exec, s[8:9]
	s_cbranch_execnz .LBB32_4073
; %bb.2025:
	s_or_saveexec_b64 s[6:7], s[6:7]
	v_mov_b32_e32 v0, s10
	s_xor_b64 exec, exec, s[6:7]
	s_cbranch_execnz .LBB32_4076
.LBB32_2026:
	s_or_b64 exec, exec, s[6:7]
	s_and_saveexec_b64 s[6:7], s[4:5]
	s_cbranch_execz .LBB32_2028
.LBB32_2027:
	v_bfe_u32 v0, v7, 8, 3
	v_ffbh_u32_e32 v4, v0
	v_min_u32_e32 v4, 32, v4
	v_lshrrev_b16_e32 v2, 3, v1
	v_subrev_u32_e32 v5, 28, v4
	v_and_b32_e32 v2, 15, v2
	v_lshlrev_b32_e32 v1, v5, v1
	v_sub_u32_e32 v4, 29, v4
	v_and_b32_e32 v1, 7, v1
	v_cmp_eq_u16_e32 vcc, 0, v2
	v_cndmask_b32_e32 v0, v0, v1, vcc
	v_cndmask_b32_e32 v1, v2, v4, vcc
	v_lshlrev_b32_e32 v2, 16, v7
	v_mov_b32_e32 v4, 0x3b800000
	v_lshlrev_b32_e32 v0, 20, v0
	v_and_b32_e32 v2, 0x80000000, v2
	v_lshl_add_u32 v1, v1, 23, v4
	v_or3_b32 v0, v2, v1, v0
.LBB32_2028:
	s_or_b64 exec, exec, s[6:7]
	v_lshrrev_b32_e32 v1, 8, v3
	s_movk_i32 s4, 0x7f
	v_cmp_gt_i16_sdwa s[6:7], v1, s4 src0_sel:BYTE_0 src1_sel:DWORD
	s_mov_b64 s[4:5], 0
                                        ; implicit-def: $sgpr10
	s_and_saveexec_b64 s[8:9], s[6:7]
	s_xor_b64 s[6:7], exec, s[8:9]
	s_cbranch_execnz .LBB32_4077
; %bb.2029:
	s_or_saveexec_b64 s[6:7], s[6:7]
	v_mov_b32_e32 v2, s10
	s_xor_b64 exec, exec, s[6:7]
	s_cbranch_execnz .LBB32_4080
.LBB32_2030:
	s_or_b64 exec, exec, s[6:7]
	s_and_saveexec_b64 s[6:7], s[4:5]
	s_cbranch_execz .LBB32_2032
.LBB32_2031:
	v_bfe_u32 v2, v3, 8, 3
	v_ffbh_u32_e32 v5, v2
	v_min_u32_e32 v5, 32, v5
	v_lshrrev_b16_e32 v4, 3, v1
	v_subrev_u32_e32 v6, 28, v5
	v_and_b32_e32 v4, 15, v4
	v_lshlrev_b32_e32 v1, v6, v1
	v_sub_u32_e32 v5, 29, v5
	v_and_b32_e32 v1, 7, v1
	v_cmp_eq_u16_e32 vcc, 0, v4
	v_cndmask_b32_e32 v1, v2, v1, vcc
	v_cndmask_b32_e32 v2, v4, v5, vcc
	v_lshlrev_b32_e32 v4, 16, v3
	v_mov_b32_e32 v5, 0x3b800000
	v_lshlrev_b32_e32 v1, 20, v1
	v_and_b32_e32 v4, 0x80000000, v4
	v_lshl_add_u32 v2, v2, 23, v5
	v_or3_b32 v2, v4, v2, v1
.LBB32_2032:
	s_or_b64 exec, exec, s[6:7]
	s_nop 0
	v_mfma_f32_16x16x4f32 a[0:3], v0, v2, a[0:3]
	s_movk_i32 s4, 0xff
	v_and_b32_sdwa v1, v7, s4 dst_sel:DWORD dst_unused:UNUSED_PAD src0_sel:WORD_1 src1_sel:DWORD
	s_movk_i32 s4, 0x7f
	v_cmp_lt_i16_e32 vcc, s4, v1
	s_mov_b64 s[4:5], 0
                                        ; implicit-def: $sgpr10
	s_and_saveexec_b64 s[6:7], vcc
	s_xor_b64 s[6:7], exec, s[6:7]
	s_cbranch_execnz .LBB32_4081
; %bb.2033:
	s_or_saveexec_b64 s[6:7], s[6:7]
	v_mov_b32_e32 v0, s10
	s_xor_b64 exec, exec, s[6:7]
	s_cbranch_execnz .LBB32_4084
.LBB32_2034:
	s_or_b64 exec, exec, s[6:7]
	s_and_saveexec_b64 s[6:7], s[4:5]
	s_cbranch_execz .LBB32_2036
.LBB32_2035:
	v_bfe_u32 v0, v7, 16, 3
	v_ffbh_u32_e32 v4, v0
	v_min_u32_e32 v4, 32, v4
	v_lshrrev_b32_e32 v1, 19, v7
	v_subrev_u32_e32 v5, 28, v4
	v_and_b32_e32 v1, 15, v1
	v_lshlrev_b32_sdwa v5, v5, v7 dst_sel:DWORD dst_unused:UNUSED_PAD src0_sel:DWORD src1_sel:WORD_1
	v_bfe_u32 v2, v7, 19, 4
	v_sub_u32_e32 v4, 29, v4
	v_and_b32_e32 v5, 7, v5
	v_cmp_eq_u16_e32 vcc, 0, v1
	v_cndmask_b32_e32 v0, v0, v5, vcc
	v_cndmask_b32_e32 v1, v2, v4, vcc
	v_lshlrev_b32_e32 v2, 8, v7
	v_mov_b32_e32 v4, 0x3b800000
	v_lshlrev_b32_e32 v0, 20, v0
	v_and_b32_e32 v2, 0x80000000, v2
	v_lshl_add_u32 v1, v1, 23, v4
	v_or3_b32 v0, v2, v1, v0
.LBB32_2036:
	s_or_b64 exec, exec, s[6:7]
	s_movk_i32 s4, 0xff
	v_and_b32_sdwa v1, v3, s4 dst_sel:DWORD dst_unused:UNUSED_PAD src0_sel:WORD_1 src1_sel:DWORD
	s_movk_i32 s4, 0x7f
	v_cmp_lt_i16_e32 vcc, s4, v1
	s_mov_b64 s[4:5], 0
                                        ; implicit-def: $sgpr10
	s_and_saveexec_b64 s[6:7], vcc
	s_xor_b64 s[6:7], exec, s[6:7]
	s_cbranch_execnz .LBB32_4085
; %bb.2037:
	s_or_saveexec_b64 s[6:7], s[6:7]
	v_mov_b32_e32 v2, s10
	s_xor_b64 exec, exec, s[6:7]
	s_cbranch_execnz .LBB32_4088
.LBB32_2038:
	s_or_b64 exec, exec, s[6:7]
	s_and_saveexec_b64 s[6:7], s[4:5]
	s_cbranch_execz .LBB32_2040
.LBB32_2039:
	v_bfe_u32 v1, v3, 16, 3
	v_ffbh_u32_e32 v5, v1
	v_min_u32_e32 v5, 32, v5
	v_lshrrev_b32_e32 v2, 19, v3
	v_subrev_u32_e32 v6, 28, v5
	v_and_b32_e32 v2, 15, v2
	v_lshlrev_b32_sdwa v6, v6, v3 dst_sel:DWORD dst_unused:UNUSED_PAD src0_sel:DWORD src1_sel:WORD_1
	v_bfe_u32 v4, v3, 19, 4
	v_sub_u32_e32 v5, 29, v5
	v_and_b32_e32 v6, 7, v6
	v_cmp_eq_u16_e32 vcc, 0, v2
	v_cndmask_b32_e32 v1, v1, v6, vcc
	v_cndmask_b32_e32 v2, v4, v5, vcc
	v_lshlrev_b32_e32 v4, 8, v3
	v_mov_b32_e32 v5, 0x3b800000
	v_lshlrev_b32_e32 v1, 20, v1
	v_and_b32_e32 v4, 0x80000000, v4
	v_lshl_add_u32 v2, v2, 23, v5
	v_or3_b32 v2, v4, v2, v1
.LBB32_2040:
	s_or_b64 exec, exec, s[6:7]
	s_nop 0
	v_mfma_f32_16x16x4f32 a[0:3], v0, v2, a[0:3]
	s_movk_i32 s4, 0x7f
	v_cmp_gt_i16_sdwa s[6:7], v7, s4 src0_sel:BYTE_3 src1_sel:DWORD
	s_mov_b64 s[4:5], 0
                                        ; implicit-def: $sgpr10
	s_and_saveexec_b64 s[8:9], s[6:7]
	s_xor_b64 s[6:7], exec, s[8:9]
	s_cbranch_execnz .LBB32_4089
; %bb.2041:
	s_or_saveexec_b64 s[6:7], s[6:7]
	v_mov_b32_e32 v0, s10
	s_xor_b64 exec, exec, s[6:7]
	s_cbranch_execnz .LBB32_4092
.LBB32_2042:
	s_or_b64 exec, exec, s[6:7]
	s_and_saveexec_b64 s[6:7], s[4:5]
	s_cbranch_execz .LBB32_2044
.LBB32_2043:
	v_bfe_u32 v0, v7, 24, 3
	v_ffbh_u32_e32 v5, v0
	v_min_u32_e32 v5, 32, v5
	v_lshrrev_b32_e32 v2, 27, v7
	v_subrev_u32_e32 v6, 28, v5
	v_and_b32_e32 v2, 15, v2
	v_lshlrev_b32_sdwa v6, v6, v7 dst_sel:DWORD dst_unused:UNUSED_PAD src0_sel:DWORD src1_sel:BYTE_3
	v_bfe_u32 v4, v7, 27, 4
	v_sub_u32_e32 v5, 29, v5
	v_and_b32_e32 v6, 7, v6
	v_cmp_eq_u16_e32 vcc, 0, v2
	v_cndmask_b32_e32 v0, v0, v6, vcc
	v_cndmask_b32_e32 v2, v4, v5, vcc
	v_mov_b32_e32 v4, 0x3b800000
	v_and_b32_e32 v1, 0x80000000, v7
	v_lshlrev_b32_e32 v0, 20, v0
	v_lshl_add_u32 v2, v2, 23, v4
	v_or3_b32 v0, v1, v2, v0
.LBB32_2044:
	s_or_b64 exec, exec, s[6:7]
	s_movk_i32 s4, 0x7f
	v_cmp_gt_i16_sdwa s[6:7], v3, s4 src0_sel:BYTE_3 src1_sel:DWORD
	s_mov_b64 s[4:5], 0
                                        ; implicit-def: $sgpr10
	s_and_saveexec_b64 s[8:9], s[6:7]
	s_xor_b64 s[6:7], exec, s[8:9]
	s_cbranch_execnz .LBB32_4093
; %bb.2045:
	s_or_saveexec_b64 s[6:7], s[6:7]
	v_mov_b32_e32 v1, s10
	s_xor_b64 exec, exec, s[6:7]
	s_cbranch_execnz .LBB32_4096
.LBB32_2046:
	s_or_b64 exec, exec, s[6:7]
	s_and_saveexec_b64 s[6:7], s[4:5]
	s_cbranch_execz .LBB32_2048
.LBB32_2047:
	v_bfe_u32 v1, v3, 24, 3
	v_ffbh_u32_e32 v6, v1
	v_min_u32_e32 v6, 32, v6
	v_lshrrev_b32_e32 v4, 27, v3
	v_subrev_u32_e32 v7, 28, v6
	v_and_b32_e32 v2, 0x80000000, v3
	v_and_b32_e32 v4, 15, v4
	v_bfe_u32 v5, v3, 27, 4
	v_lshlrev_b32_sdwa v3, v7, v3 dst_sel:DWORD dst_unused:UNUSED_PAD src0_sel:DWORD src1_sel:BYTE_3
	v_sub_u32_e32 v6, 29, v6
	v_and_b32_e32 v3, 7, v3
	v_cmp_eq_u16_e32 vcc, 0, v4
	v_cndmask_b32_e32 v1, v1, v3, vcc
	v_cndmask_b32_e32 v3, v5, v6, vcc
	v_mov_b32_e32 v4, 0x3b800000
	v_lshlrev_b32_e32 v1, 20, v1
	v_lshl_add_u32 v3, v3, 23, v4
	v_or3_b32 v1, v2, v3, v1
.LBB32_2048:
	s_or_b64 exec, exec, s[6:7]
	s_nop 0
	v_mfma_f32_16x16x4f32 a[0:3], v0, v1, a[0:3]
	s_nop 7
	s_nop 2
	flat_store_dwordx4 v[16:17], a[0:3] offset:624
	s_waitcnt vmcnt(0) lgkmcnt(0)
	s_setpc_b64 s[30:31]
.LBB32_2049:
	s_movk_i32 s4, 0x80
	v_cmp_eq_u16_sdwa s[12:13], v14, s4 src0_sel:BYTE_0 src1_sel:DWORD
	s_mov_b64 s[4:5], -1
                                        ; implicit-def: $sgpr10
	s_and_saveexec_b64 s[8:9], s[12:13]
; %bb.2050:
	s_mov_b32 s10, 0x7f800001
	s_xor_b64 s[4:5], exec, -1
; %bb.2051:
	s_or_b64 exec, exec, s[8:9]
	s_and_b64 s[4:5], s[4:5], exec
	s_or_saveexec_b64 s[6:7], s[6:7]
	v_mov_b32_e32 v20, s10
	s_xor_b64 exec, exec, s[6:7]
	s_cbranch_execz .LBB32_2
.LBB32_2052:
	v_mov_b32_e32 v20, 0
	v_cmp_ne_u16_sdwa s[8:9], v14, v20 src0_sel:BYTE_0 src1_sel:DWORD
	s_andn2_b64 s[4:5], s[4:5], exec
	s_and_b64 s[8:9], s[8:9], exec
	s_or_b64 s[4:5], s[4:5], s[8:9]
	s_or_b64 exec, exec, s[6:7]
	s_and_saveexec_b64 s[6:7], s[4:5]
	s_cbranch_execnz .LBB32_3
	s_branch .LBB32_4
.LBB32_2053:
	s_movk_i32 s4, 0x80
	v_cmp_eq_u16_sdwa s[12:13], v10, s4 src0_sel:BYTE_0 src1_sel:DWORD
	s_mov_b64 s[4:5], -1
                                        ; implicit-def: $sgpr10
	s_and_saveexec_b64 s[8:9], s[12:13]
; %bb.2054:
	s_mov_b32 s10, 0x7f800001
	s_xor_b64 s[4:5], exec, -1
; %bb.2055:
	s_or_b64 exec, exec, s[8:9]
	s_and_b64 s[4:5], s[4:5], exec
	s_or_saveexec_b64 s[6:7], s[6:7]
	v_mov_b32_e32 v21, s10
	s_xor_b64 exec, exec, s[6:7]
	s_cbranch_execz .LBB32_6
.LBB32_2056:
	v_mov_b32_e32 v21, 0
	v_cmp_ne_u16_sdwa s[8:9], v10, v21 src0_sel:BYTE_0 src1_sel:DWORD
	s_andn2_b64 s[4:5], s[4:5], exec
	s_and_b64 s[8:9], s[8:9], exec
	s_or_b64 s[4:5], s[4:5], s[8:9]
	s_or_b64 exec, exec, s[6:7]
	s_and_saveexec_b64 s[6:7], s[4:5]
	s_cbranch_execnz .LBB32_7
	s_branch .LBB32_8
.LBB32_2057:
	s_movk_i32 s4, 0x80
	v_cmp_eq_u16_sdwa s[12:13], v21, s4 src0_sel:BYTE_0 src1_sel:DWORD
	s_mov_b64 s[4:5], -1
                                        ; implicit-def: $sgpr10
	s_and_saveexec_b64 s[8:9], s[12:13]
; %bb.2058:
	s_mov_b32 s10, 0x7f800001
	s_xor_b64 s[4:5], exec, -1
; %bb.2059:
	s_or_b64 exec, exec, s[8:9]
	s_and_b64 s[4:5], s[4:5], exec
	s_or_saveexec_b64 s[6:7], s[6:7]
	v_mov_b32_e32 v20, s10
	s_xor_b64 exec, exec, s[6:7]
	s_cbranch_execz .LBB32_10
.LBB32_2060:
	v_mov_b32_e32 v20, 0
	v_cmp_ne_u16_sdwa s[8:9], v21, v20 src0_sel:BYTE_0 src1_sel:DWORD
	s_andn2_b64 s[4:5], s[4:5], exec
	s_and_b64 s[8:9], s[8:9], exec
	s_or_b64 s[4:5], s[4:5], s[8:9]
	s_or_b64 exec, exec, s[6:7]
	s_and_saveexec_b64 s[6:7], s[4:5]
	s_cbranch_execnz .LBB32_11
	s_branch .LBB32_12
.LBB32_2061:
	s_movk_i32 s4, 0x80
	v_cmp_eq_u16_sdwa s[12:13], v21, s4 src0_sel:BYTE_0 src1_sel:DWORD
	s_mov_b64 s[4:5], -1
                                        ; implicit-def: $sgpr10
	s_and_saveexec_b64 s[8:9], s[12:13]
; %bb.2062:
	s_mov_b32 s10, 0x7f800001
	s_xor_b64 s[4:5], exec, -1
; %bb.2063:
	s_or_b64 exec, exec, s[8:9]
	s_and_b64 s[4:5], s[4:5], exec
	s_or_saveexec_b64 s[6:7], s[6:7]
	v_mov_b32_e32 v22, s10
	s_xor_b64 exec, exec, s[6:7]
	s_cbranch_execz .LBB32_14
.LBB32_2064:
	v_mov_b32_e32 v22, 0
	v_cmp_ne_u16_sdwa s[8:9], v21, v22 src0_sel:BYTE_0 src1_sel:DWORD
	s_andn2_b64 s[4:5], s[4:5], exec
	s_and_b64 s[8:9], s[8:9], exec
	s_or_b64 s[4:5], s[4:5], s[8:9]
	s_or_b64 exec, exec, s[6:7]
	s_and_saveexec_b64 s[6:7], s[4:5]
	s_cbranch_execnz .LBB32_15
	s_branch .LBB32_16
.LBB32_2065:
	s_movk_i32 s4, 0x80
	v_cmp_eq_u16_e32 vcc, s4, v21
	s_mov_b64 s[4:5], -1
                                        ; implicit-def: $sgpr10
	s_and_saveexec_b64 s[8:9], vcc
; %bb.2066:
	s_mov_b32 s10, 0x7f800001
	s_xor_b64 s[4:5], exec, -1
; %bb.2067:
	s_or_b64 exec, exec, s[8:9]
	s_and_b64 s[4:5], s[4:5], exec
                                        ; implicit-def: $vgpr21
	s_or_saveexec_b64 s[6:7], s[6:7]
	v_mov_b32_e32 v20, s10
	s_xor_b64 exec, exec, s[6:7]
	s_cbranch_execz .LBB32_18
.LBB32_2068:
	v_cmp_ne_u16_e32 vcc, 0, v21
	s_andn2_b64 s[4:5], s[4:5], exec
	s_and_b64 s[8:9], vcc, exec
	v_mov_b32_e32 v20, 0
	s_or_b64 s[4:5], s[4:5], s[8:9]
	s_or_b64 exec, exec, s[6:7]
	s_and_saveexec_b64 s[6:7], s[4:5]
	s_cbranch_execnz .LBB32_19
	s_branch .LBB32_20
.LBB32_2069:
	s_movk_i32 s4, 0x80
	v_cmp_eq_u16_e32 vcc, s4, v21
	s_mov_b64 s[4:5], -1
                                        ; implicit-def: $sgpr10
	s_and_saveexec_b64 s[8:9], vcc
; %bb.2070:
	s_mov_b32 s10, 0x7f800001
	s_xor_b64 s[4:5], exec, -1
; %bb.2071:
	s_or_b64 exec, exec, s[8:9]
	s_and_b64 s[4:5], s[4:5], exec
                                        ; implicit-def: $vgpr21
	s_or_saveexec_b64 s[6:7], s[6:7]
	v_mov_b32_e32 v22, s10
	s_xor_b64 exec, exec, s[6:7]
	s_cbranch_execz .LBB32_22
.LBB32_2072:
	v_cmp_ne_u16_e32 vcc, 0, v21
	s_andn2_b64 s[4:5], s[4:5], exec
	s_and_b64 s[8:9], vcc, exec
	v_mov_b32_e32 v22, 0
	s_or_b64 s[4:5], s[4:5], s[8:9]
	s_or_b64 exec, exec, s[6:7]
	s_and_saveexec_b64 s[6:7], s[4:5]
	s_cbranch_execnz .LBB32_23
	s_branch .LBB32_24
.LBB32_2073:
	s_movk_i32 s4, 0x80
	v_cmp_eq_u16_sdwa s[12:13], v14, s4 src0_sel:BYTE_3 src1_sel:DWORD
	s_mov_b64 s[4:5], -1
                                        ; implicit-def: $sgpr10
	s_and_saveexec_b64 s[8:9], s[12:13]
; %bb.2074:
	s_mov_b32 s10, 0x7f800001
	s_xor_b64 s[4:5], exec, -1
; %bb.2075:
	s_or_b64 exec, exec, s[8:9]
	s_and_b64 s[4:5], s[4:5], exec
	s_or_saveexec_b64 s[6:7], s[6:7]
	v_mov_b32_e32 v20, s10
	s_xor_b64 exec, exec, s[6:7]
	s_cbranch_execz .LBB32_26
.LBB32_2076:
	v_mov_b32_e32 v20, 0
	v_cmp_ne_u16_sdwa s[8:9], v14, v20 src0_sel:BYTE_3 src1_sel:DWORD
	s_andn2_b64 s[4:5], s[4:5], exec
	s_and_b64 s[8:9], s[8:9], exec
	s_or_b64 s[4:5], s[4:5], s[8:9]
	s_or_b64 exec, exec, s[6:7]
	s_and_saveexec_b64 s[6:7], s[4:5]
	s_cbranch_execnz .LBB32_27
	s_branch .LBB32_28
.LBB32_2077:
	s_movk_i32 s4, 0x80
	v_cmp_eq_u16_sdwa s[12:13], v10, s4 src0_sel:BYTE_3 src1_sel:DWORD
	s_mov_b64 s[4:5], -1
                                        ; implicit-def: $sgpr10
	s_and_saveexec_b64 s[8:9], s[12:13]
; %bb.2078:
	s_mov_b32 s10, 0x7f800001
	s_xor_b64 s[4:5], exec, -1
; %bb.2079:
	s_or_b64 exec, exec, s[8:9]
	s_and_b64 s[4:5], s[4:5], exec
	s_or_saveexec_b64 s[6:7], s[6:7]
	v_mov_b32_e32 v14, s10
	s_xor_b64 exec, exec, s[6:7]
	s_cbranch_execz .LBB32_30
.LBB32_2080:
	v_mov_b32_e32 v14, 0
	v_cmp_ne_u16_sdwa s[8:9], v10, v14 src0_sel:BYTE_3 src1_sel:DWORD
	s_andn2_b64 s[4:5], s[4:5], exec
	s_and_b64 s[8:9], s[8:9], exec
	s_or_b64 s[4:5], s[4:5], s[8:9]
	s_or_b64 exec, exec, s[6:7]
	s_and_saveexec_b64 s[6:7], s[4:5]
	s_cbranch_execnz .LBB32_31
	s_branch .LBB32_32
.LBB32_2081:
	s_movk_i32 s4, 0x80
	v_cmp_eq_u16_sdwa s[12:13], v15, s4 src0_sel:BYTE_0 src1_sel:DWORD
	s_mov_b64 s[4:5], -1
                                        ; implicit-def: $sgpr10
	s_and_saveexec_b64 s[8:9], s[12:13]
; %bb.2082:
	s_mov_b32 s10, 0x7f800001
	s_xor_b64 s[4:5], exec, -1
; %bb.2083:
	s_or_b64 exec, exec, s[8:9]
	s_and_b64 s[4:5], s[4:5], exec
	s_or_saveexec_b64 s[6:7], s[6:7]
	v_mov_b32_e32 v10, s10
	s_xor_b64 exec, exec, s[6:7]
	s_cbranch_execz .LBB32_34
.LBB32_2084:
	v_mov_b32_e32 v10, 0
	v_cmp_ne_u16_sdwa s[8:9], v15, v10 src0_sel:BYTE_0 src1_sel:DWORD
	s_andn2_b64 s[4:5], s[4:5], exec
	s_and_b64 s[8:9], s[8:9], exec
	s_or_b64 s[4:5], s[4:5], s[8:9]
	s_or_b64 exec, exec, s[6:7]
	s_and_saveexec_b64 s[6:7], s[4:5]
	s_cbranch_execnz .LBB32_35
	s_branch .LBB32_36
.LBB32_2085:
	s_movk_i32 s4, 0x80
	v_cmp_eq_u16_sdwa s[12:13], v11, s4 src0_sel:BYTE_0 src1_sel:DWORD
	s_mov_b64 s[4:5], -1
                                        ; implicit-def: $sgpr10
	s_and_saveexec_b64 s[8:9], s[12:13]
; %bb.2086:
	s_mov_b32 s10, 0x7f800001
	s_xor_b64 s[4:5], exec, -1
; %bb.2087:
	s_or_b64 exec, exec, s[8:9]
	s_and_b64 s[4:5], s[4:5], exec
	s_or_saveexec_b64 s[6:7], s[6:7]
	v_mov_b32_e32 v14, s10
	s_xor_b64 exec, exec, s[6:7]
	s_cbranch_execz .LBB32_38
.LBB32_2088:
	v_mov_b32_e32 v14, 0
	v_cmp_ne_u16_sdwa s[8:9], v11, v14 src0_sel:BYTE_0 src1_sel:DWORD
	s_andn2_b64 s[4:5], s[4:5], exec
	s_and_b64 s[8:9], s[8:9], exec
	s_or_b64 s[4:5], s[4:5], s[8:9]
	s_or_b64 exec, exec, s[6:7]
	s_and_saveexec_b64 s[6:7], s[4:5]
	s_cbranch_execnz .LBB32_39
	s_branch .LBB32_40
.LBB32_2089:
	s_movk_i32 s4, 0x80
	v_cmp_eq_u16_sdwa s[12:13], v14, s4 src0_sel:BYTE_0 src1_sel:DWORD
	s_mov_b64 s[4:5], -1
                                        ; implicit-def: $sgpr10
	s_and_saveexec_b64 s[8:9], s[12:13]
; %bb.2090:
	s_mov_b32 s10, 0x7f800001
	s_xor_b64 s[4:5], exec, -1
; %bb.2091:
	s_or_b64 exec, exec, s[8:9]
	s_and_b64 s[4:5], s[4:5], exec
	s_or_saveexec_b64 s[6:7], s[6:7]
	v_mov_b32_e32 v10, s10
	s_xor_b64 exec, exec, s[6:7]
	s_cbranch_execz .LBB32_42
.LBB32_2092:
	v_mov_b32_e32 v10, 0
	v_cmp_ne_u16_sdwa s[8:9], v14, v10 src0_sel:BYTE_0 src1_sel:DWORD
	s_andn2_b64 s[4:5], s[4:5], exec
	s_and_b64 s[8:9], s[8:9], exec
	s_or_b64 s[4:5], s[4:5], s[8:9]
	s_or_b64 exec, exec, s[6:7]
	s_and_saveexec_b64 s[6:7], s[4:5]
	s_cbranch_execnz .LBB32_43
	s_branch .LBB32_44
.LBB32_2093:
	s_movk_i32 s4, 0x80
	v_cmp_eq_u16_sdwa s[12:13], v14, s4 src0_sel:BYTE_0 src1_sel:DWORD
	s_mov_b64 s[4:5], -1
                                        ; implicit-def: $sgpr10
	s_and_saveexec_b64 s[8:9], s[12:13]
; %bb.2094:
	s_mov_b32 s10, 0x7f800001
	s_xor_b64 s[4:5], exec, -1
; %bb.2095:
	s_or_b64 exec, exec, s[8:9]
	s_and_b64 s[4:5], s[4:5], exec
	s_or_saveexec_b64 s[6:7], s[6:7]
	v_mov_b32_e32 v20, s10
	s_xor_b64 exec, exec, s[6:7]
	s_cbranch_execz .LBB32_46
.LBB32_2096:
	v_mov_b32_e32 v20, 0
	v_cmp_ne_u16_sdwa s[8:9], v14, v20 src0_sel:BYTE_0 src1_sel:DWORD
	s_andn2_b64 s[4:5], s[4:5], exec
	s_and_b64 s[8:9], s[8:9], exec
	s_or_b64 s[4:5], s[4:5], s[8:9]
	s_or_b64 exec, exec, s[6:7]
	s_and_saveexec_b64 s[6:7], s[4:5]
	s_cbranch_execnz .LBB32_47
	s_branch .LBB32_48
.LBB32_2097:
	s_movk_i32 s4, 0x80
	v_cmp_eq_u16_e32 vcc, s4, v14
	s_mov_b64 s[4:5], -1
                                        ; implicit-def: $sgpr10
	s_and_saveexec_b64 s[8:9], vcc
; %bb.2098:
	s_mov_b32 s10, 0x7f800001
	s_xor_b64 s[4:5], exec, -1
; %bb.2099:
	s_or_b64 exec, exec, s[8:9]
	s_and_b64 s[4:5], s[4:5], exec
                                        ; implicit-def: $vgpr14
	s_or_saveexec_b64 s[6:7], s[6:7]
	v_mov_b32_e32 v10, s10
	s_xor_b64 exec, exec, s[6:7]
	s_cbranch_execz .LBB32_50
.LBB32_2100:
	v_cmp_ne_u16_e32 vcc, 0, v14
	s_andn2_b64 s[4:5], s[4:5], exec
	s_and_b64 s[8:9], vcc, exec
	v_mov_b32_e32 v10, 0
	s_or_b64 s[4:5], s[4:5], s[8:9]
	s_or_b64 exec, exec, s[6:7]
	s_and_saveexec_b64 s[6:7], s[4:5]
	s_cbranch_execnz .LBB32_51
	s_branch .LBB32_52
.LBB32_2101:
	s_movk_i32 s4, 0x80
	v_cmp_eq_u16_e32 vcc, s4, v14
	s_mov_b64 s[4:5], -1
                                        ; implicit-def: $sgpr10
	s_and_saveexec_b64 s[8:9], vcc
; %bb.2102:
	s_mov_b32 s10, 0x7f800001
	s_xor_b64 s[4:5], exec, -1
; %bb.2103:
	s_or_b64 exec, exec, s[8:9]
	s_and_b64 s[4:5], s[4:5], exec
                                        ; implicit-def: $vgpr14
	s_or_saveexec_b64 s[6:7], s[6:7]
	v_mov_b32_e32 v20, s10
	s_xor_b64 exec, exec, s[6:7]
	s_cbranch_execz .LBB32_54
.LBB32_2104:
	v_cmp_ne_u16_e32 vcc, 0, v14
	s_andn2_b64 s[4:5], s[4:5], exec
	s_and_b64 s[8:9], vcc, exec
	v_mov_b32_e32 v20, 0
	s_or_b64 s[4:5], s[4:5], s[8:9]
	s_or_b64 exec, exec, s[6:7]
	s_and_saveexec_b64 s[6:7], s[4:5]
	s_cbranch_execnz .LBB32_55
	s_branch .LBB32_56
.LBB32_2105:
	s_movk_i32 s4, 0x80
	v_cmp_eq_u16_sdwa s[12:13], v15, s4 src0_sel:BYTE_3 src1_sel:DWORD
	s_mov_b64 s[4:5], -1
                                        ; implicit-def: $sgpr10
	s_and_saveexec_b64 s[8:9], s[12:13]
; %bb.2106:
	s_mov_b32 s10, 0x7f800001
	s_xor_b64 s[4:5], exec, -1
; %bb.2107:
	s_or_b64 exec, exec, s[8:9]
	s_and_b64 s[4:5], s[4:5], exec
	s_or_saveexec_b64 s[6:7], s[6:7]
	v_mov_b32_e32 v10, s10
	s_xor_b64 exec, exec, s[6:7]
	s_cbranch_execz .LBB32_58
.LBB32_2108:
	v_mov_b32_e32 v10, 0
	v_cmp_ne_u16_sdwa s[8:9], v15, v10 src0_sel:BYTE_3 src1_sel:DWORD
	s_andn2_b64 s[4:5], s[4:5], exec
	s_and_b64 s[8:9], s[8:9], exec
	s_or_b64 s[4:5], s[4:5], s[8:9]
	s_or_b64 exec, exec, s[6:7]
	s_and_saveexec_b64 s[6:7], s[4:5]
	s_cbranch_execnz .LBB32_59
	s_branch .LBB32_60
.LBB32_2109:
	s_movk_i32 s4, 0x80
	v_cmp_eq_u16_sdwa s[12:13], v11, s4 src0_sel:BYTE_3 src1_sel:DWORD
	s_mov_b64 s[4:5], -1
                                        ; implicit-def: $sgpr10
	s_and_saveexec_b64 s[8:9], s[12:13]
; %bb.2110:
	s_mov_b32 s10, 0x7f800001
	s_xor_b64 s[4:5], exec, -1
; %bb.2111:
	s_or_b64 exec, exec, s[8:9]
	s_and_b64 s[4:5], s[4:5], exec
	s_or_saveexec_b64 s[6:7], s[6:7]
	v_mov_b32_e32 v14, s10
	s_xor_b64 exec, exec, s[6:7]
	s_cbranch_execz .LBB32_62
.LBB32_2112:
	v_mov_b32_e32 v14, 0
	v_cmp_ne_u16_sdwa s[8:9], v11, v14 src0_sel:BYTE_3 src1_sel:DWORD
	s_andn2_b64 s[4:5], s[4:5], exec
	s_and_b64 s[8:9], s[8:9], exec
	s_or_b64 s[4:5], s[4:5], s[8:9]
	s_or_b64 exec, exec, s[6:7]
	s_and_saveexec_b64 s[6:7], s[4:5]
	s_cbranch_execnz .LBB32_63
	s_branch .LBB32_64
.LBB32_2113:
	s_movk_i32 s4, 0x80
	v_cmp_eq_u16_sdwa s[12:13], v16, s4 src0_sel:BYTE_0 src1_sel:DWORD
	s_mov_b64 s[4:5], -1
                                        ; implicit-def: $sgpr10
	s_and_saveexec_b64 s[8:9], s[12:13]
; %bb.2114:
	s_mov_b32 s10, 0x7f800001
	s_xor_b64 s[4:5], exec, -1
; %bb.2115:
	s_or_b64 exec, exec, s[8:9]
	s_and_b64 s[4:5], s[4:5], exec
	s_or_saveexec_b64 s[6:7], s[6:7]
	v_mov_b32_e32 v10, s10
	s_xor_b64 exec, exec, s[6:7]
	s_cbranch_execz .LBB32_66
.LBB32_2116:
	v_mov_b32_e32 v10, 0
	v_cmp_ne_u16_sdwa s[8:9], v16, v10 src0_sel:BYTE_0 src1_sel:DWORD
	s_andn2_b64 s[4:5], s[4:5], exec
	s_and_b64 s[8:9], s[8:9], exec
	s_or_b64 s[4:5], s[4:5], s[8:9]
	s_or_b64 exec, exec, s[6:7]
	s_and_saveexec_b64 s[6:7], s[4:5]
	s_cbranch_execnz .LBB32_67
	s_branch .LBB32_68
.LBB32_2117:
	s_movk_i32 s4, 0x80
	v_cmp_eq_u16_sdwa s[12:13], v12, s4 src0_sel:BYTE_0 src1_sel:DWORD
	s_mov_b64 s[4:5], -1
                                        ; implicit-def: $sgpr10
	s_and_saveexec_b64 s[8:9], s[12:13]
; %bb.2118:
	s_mov_b32 s10, 0x7f800001
	s_xor_b64 s[4:5], exec, -1
; %bb.2119:
	s_or_b64 exec, exec, s[8:9]
	s_and_b64 s[4:5], s[4:5], exec
	s_or_saveexec_b64 s[6:7], s[6:7]
	v_mov_b32_e32 v11, s10
	s_xor_b64 exec, exec, s[6:7]
	s_cbranch_execz .LBB32_70
.LBB32_2120:
	v_mov_b32_e32 v11, 0
	v_cmp_ne_u16_sdwa s[8:9], v12, v11 src0_sel:BYTE_0 src1_sel:DWORD
	s_andn2_b64 s[4:5], s[4:5], exec
	s_and_b64 s[8:9], s[8:9], exec
	s_or_b64 s[4:5], s[4:5], s[8:9]
	s_or_b64 exec, exec, s[6:7]
	s_and_saveexec_b64 s[6:7], s[4:5]
	s_cbranch_execnz .LBB32_71
	s_branch .LBB32_72
.LBB32_2121:
	s_movk_i32 s4, 0x80
	v_cmp_eq_u16_sdwa s[12:13], v11, s4 src0_sel:BYTE_0 src1_sel:DWORD
	s_mov_b64 s[4:5], -1
                                        ; implicit-def: $sgpr10
	s_and_saveexec_b64 s[8:9], s[12:13]
; %bb.2122:
	s_mov_b32 s10, 0x7f800001
	s_xor_b64 s[4:5], exec, -1
; %bb.2123:
	s_or_b64 exec, exec, s[8:9]
	s_and_b64 s[4:5], s[4:5], exec
	s_or_saveexec_b64 s[6:7], s[6:7]
	v_mov_b32_e32 v10, s10
	s_xor_b64 exec, exec, s[6:7]
	s_cbranch_execz .LBB32_74
.LBB32_2124:
	v_mov_b32_e32 v10, 0
	v_cmp_ne_u16_sdwa s[8:9], v11, v10 src0_sel:BYTE_0 src1_sel:DWORD
	s_andn2_b64 s[4:5], s[4:5], exec
	s_and_b64 s[8:9], s[8:9], exec
	s_or_b64 s[4:5], s[4:5], s[8:9]
	s_or_b64 exec, exec, s[6:7]
	s_and_saveexec_b64 s[6:7], s[4:5]
	s_cbranch_execnz .LBB32_75
	s_branch .LBB32_76
.LBB32_2125:
	s_movk_i32 s4, 0x80
	v_cmp_eq_u16_sdwa s[12:13], v11, s4 src0_sel:BYTE_0 src1_sel:DWORD
	s_mov_b64 s[4:5], -1
                                        ; implicit-def: $sgpr10
	s_and_saveexec_b64 s[8:9], s[12:13]
; %bb.2126:
	s_mov_b32 s10, 0x7f800001
	s_xor_b64 s[4:5], exec, -1
; %bb.2127:
	s_or_b64 exec, exec, s[8:9]
	s_and_b64 s[4:5], s[4:5], exec
	s_or_saveexec_b64 s[6:7], s[6:7]
	v_mov_b32_e32 v14, s10
	s_xor_b64 exec, exec, s[6:7]
	s_cbranch_execz .LBB32_78
.LBB32_2128:
	v_mov_b32_e32 v14, 0
	v_cmp_ne_u16_sdwa s[8:9], v11, v14 src0_sel:BYTE_0 src1_sel:DWORD
	s_andn2_b64 s[4:5], s[4:5], exec
	s_and_b64 s[8:9], s[8:9], exec
	s_or_b64 s[4:5], s[4:5], s[8:9]
	s_or_b64 exec, exec, s[6:7]
	s_and_saveexec_b64 s[6:7], s[4:5]
	s_cbranch_execnz .LBB32_79
	s_branch .LBB32_80
.LBB32_2129:
	s_movk_i32 s4, 0x80
	v_cmp_eq_u16_e32 vcc, s4, v11
	s_mov_b64 s[4:5], -1
                                        ; implicit-def: $sgpr10
	s_and_saveexec_b64 s[8:9], vcc
; %bb.2130:
	s_mov_b32 s10, 0x7f800001
	s_xor_b64 s[4:5], exec, -1
; %bb.2131:
	s_or_b64 exec, exec, s[8:9]
	s_and_b64 s[4:5], s[4:5], exec
                                        ; implicit-def: $vgpr11
	s_or_saveexec_b64 s[6:7], s[6:7]
	v_mov_b32_e32 v10, s10
	s_xor_b64 exec, exec, s[6:7]
	s_cbranch_execz .LBB32_82
.LBB32_2132:
	v_cmp_ne_u16_e32 vcc, 0, v11
	s_andn2_b64 s[4:5], s[4:5], exec
	s_and_b64 s[8:9], vcc, exec
	v_mov_b32_e32 v10, 0
	s_or_b64 s[4:5], s[4:5], s[8:9]
	s_or_b64 exec, exec, s[6:7]
	s_and_saveexec_b64 s[6:7], s[4:5]
	s_cbranch_execnz .LBB32_83
	s_branch .LBB32_84
.LBB32_2133:
	s_movk_i32 s4, 0x80
	v_cmp_eq_u16_e32 vcc, s4, v11
	s_mov_b64 s[4:5], -1
                                        ; implicit-def: $sgpr10
	s_and_saveexec_b64 s[8:9], vcc
; %bb.2134:
	s_mov_b32 s10, 0x7f800001
	s_xor_b64 s[4:5], exec, -1
; %bb.2135:
	s_or_b64 exec, exec, s[8:9]
	s_and_b64 s[4:5], s[4:5], exec
                                        ; implicit-def: $vgpr11
	s_or_saveexec_b64 s[6:7], s[6:7]
	v_mov_b32_e32 v14, s10
	s_xor_b64 exec, exec, s[6:7]
	s_cbranch_execz .LBB32_86
.LBB32_2136:
	v_cmp_ne_u16_e32 vcc, 0, v11
	s_andn2_b64 s[4:5], s[4:5], exec
	s_and_b64 s[8:9], vcc, exec
	v_mov_b32_e32 v14, 0
	s_or_b64 s[4:5], s[4:5], s[8:9]
	s_or_b64 exec, exec, s[6:7]
	s_and_saveexec_b64 s[6:7], s[4:5]
	s_cbranch_execnz .LBB32_87
	s_branch .LBB32_88
.LBB32_2137:
	s_movk_i32 s4, 0x80
	v_cmp_eq_u16_sdwa s[12:13], v16, s4 src0_sel:BYTE_3 src1_sel:DWORD
	s_mov_b64 s[4:5], -1
                                        ; implicit-def: $sgpr10
	s_and_saveexec_b64 s[8:9], s[12:13]
; %bb.2138:
	s_mov_b32 s10, 0x7f800001
	s_xor_b64 s[4:5], exec, -1
; %bb.2139:
	s_or_b64 exec, exec, s[8:9]
	s_and_b64 s[4:5], s[4:5], exec
	s_or_saveexec_b64 s[6:7], s[6:7]
	v_mov_b32_e32 v10, s10
	s_xor_b64 exec, exec, s[6:7]
	s_cbranch_execz .LBB32_90
.LBB32_2140:
	v_mov_b32_e32 v10, 0
	v_cmp_ne_u16_sdwa s[8:9], v16, v10 src0_sel:BYTE_3 src1_sel:DWORD
	s_andn2_b64 s[4:5], s[4:5], exec
	s_and_b64 s[8:9], s[8:9], exec
	s_or_b64 s[4:5], s[4:5], s[8:9]
	s_or_b64 exec, exec, s[6:7]
	s_and_saveexec_b64 s[6:7], s[4:5]
	s_cbranch_execnz .LBB32_91
	s_branch .LBB32_92
.LBB32_2141:
	s_movk_i32 s4, 0x80
	v_cmp_eq_u16_sdwa s[12:13], v12, s4 src0_sel:BYTE_3 src1_sel:DWORD
	s_mov_b64 s[4:5], -1
                                        ; implicit-def: $sgpr10
	s_and_saveexec_b64 s[8:9], s[12:13]
; %bb.2142:
	s_mov_b32 s10, 0x7f800001
	s_xor_b64 s[4:5], exec, -1
; %bb.2143:
	s_or_b64 exec, exec, s[8:9]
	s_and_b64 s[4:5], s[4:5], exec
	s_or_saveexec_b64 s[6:7], s[6:7]
	v_mov_b32_e32 v11, s10
	s_xor_b64 exec, exec, s[6:7]
	s_cbranch_execz .LBB32_94
.LBB32_2144:
	v_mov_b32_e32 v11, 0
	v_cmp_ne_u16_sdwa s[8:9], v12, v11 src0_sel:BYTE_3 src1_sel:DWORD
	s_andn2_b64 s[4:5], s[4:5], exec
	s_and_b64 s[8:9], s[8:9], exec
	s_or_b64 s[4:5], s[4:5], s[8:9]
	s_or_b64 exec, exec, s[6:7]
	s_and_saveexec_b64 s[6:7], s[4:5]
	s_cbranch_execnz .LBB32_95
	s_branch .LBB32_96
.LBB32_2145:
	s_movk_i32 s4, 0x80
	v_cmp_eq_u16_sdwa s[12:13], v17, s4 src0_sel:BYTE_0 src1_sel:DWORD
	s_mov_b64 s[4:5], -1
                                        ; implicit-def: $sgpr10
	s_and_saveexec_b64 s[8:9], s[12:13]
; %bb.2146:
	s_mov_b32 s10, 0x7f800001
	s_xor_b64 s[4:5], exec, -1
; %bb.2147:
	s_or_b64 exec, exec, s[8:9]
	s_and_b64 s[4:5], s[4:5], exec
	s_or_saveexec_b64 s[6:7], s[6:7]
	v_mov_b32_e32 v10, s10
	s_xor_b64 exec, exec, s[6:7]
	s_cbranch_execz .LBB32_98
.LBB32_2148:
	v_mov_b32_e32 v10, 0
	v_cmp_ne_u16_sdwa s[8:9], v17, v10 src0_sel:BYTE_0 src1_sel:DWORD
	s_andn2_b64 s[4:5], s[4:5], exec
	s_and_b64 s[8:9], s[8:9], exec
	s_or_b64 s[4:5], s[4:5], s[8:9]
	s_or_b64 exec, exec, s[6:7]
	s_and_saveexec_b64 s[6:7], s[4:5]
	s_cbranch_execnz .LBB32_99
	s_branch .LBB32_100
.LBB32_2149:
	s_movk_i32 s4, 0x80
	v_cmp_eq_u16_sdwa s[12:13], v13, s4 src0_sel:BYTE_0 src1_sel:DWORD
	s_mov_b64 s[4:5], -1
                                        ; implicit-def: $sgpr10
	s_and_saveexec_b64 s[8:9], s[12:13]
; %bb.2150:
	s_mov_b32 s10, 0x7f800001
	s_xor_b64 s[4:5], exec, -1
; %bb.2151:
	s_or_b64 exec, exec, s[8:9]
	s_and_b64 s[4:5], s[4:5], exec
	s_or_saveexec_b64 s[6:7], s[6:7]
	v_mov_b32_e32 v11, s10
	s_xor_b64 exec, exec, s[6:7]
	s_cbranch_execz .LBB32_102
.LBB32_2152:
	v_mov_b32_e32 v11, 0
	v_cmp_ne_u16_sdwa s[8:9], v13, v11 src0_sel:BYTE_0 src1_sel:DWORD
	s_andn2_b64 s[4:5], s[4:5], exec
	s_and_b64 s[8:9], s[8:9], exec
	s_or_b64 s[4:5], s[4:5], s[8:9]
	s_or_b64 exec, exec, s[6:7]
	s_and_saveexec_b64 s[6:7], s[4:5]
	s_cbranch_execnz .LBB32_103
	s_branch .LBB32_104
.LBB32_2153:
	s_movk_i32 s4, 0x80
	v_cmp_eq_u16_sdwa s[12:13], v11, s4 src0_sel:BYTE_0 src1_sel:DWORD
	s_mov_b64 s[4:5], -1
                                        ; implicit-def: $sgpr10
	s_and_saveexec_b64 s[8:9], s[12:13]
; %bb.2154:
	s_mov_b32 s10, 0x7f800001
	s_xor_b64 s[4:5], exec, -1
; %bb.2155:
	s_or_b64 exec, exec, s[8:9]
	s_and_b64 s[4:5], s[4:5], exec
	s_or_saveexec_b64 s[6:7], s[6:7]
	v_mov_b32_e32 v10, s10
	s_xor_b64 exec, exec, s[6:7]
	s_cbranch_execz .LBB32_106
.LBB32_2156:
	v_mov_b32_e32 v10, 0
	v_cmp_ne_u16_sdwa s[8:9], v11, v10 src0_sel:BYTE_0 src1_sel:DWORD
	s_andn2_b64 s[4:5], s[4:5], exec
	s_and_b64 s[8:9], s[8:9], exec
	s_or_b64 s[4:5], s[4:5], s[8:9]
	s_or_b64 exec, exec, s[6:7]
	s_and_saveexec_b64 s[6:7], s[4:5]
	s_cbranch_execnz .LBB32_107
	s_branch .LBB32_108
.LBB32_2157:
	s_movk_i32 s4, 0x80
	v_cmp_eq_u16_sdwa s[12:13], v11, s4 src0_sel:BYTE_0 src1_sel:DWORD
	s_mov_b64 s[4:5], -1
                                        ; implicit-def: $sgpr10
	s_and_saveexec_b64 s[8:9], s[12:13]
; %bb.2158:
	s_mov_b32 s10, 0x7f800001
	s_xor_b64 s[4:5], exec, -1
; %bb.2159:
	s_or_b64 exec, exec, s[8:9]
	s_and_b64 s[4:5], s[4:5], exec
	s_or_saveexec_b64 s[6:7], s[6:7]
	v_mov_b32_e32 v12, s10
	s_xor_b64 exec, exec, s[6:7]
	s_cbranch_execz .LBB32_110
.LBB32_2160:
	v_mov_b32_e32 v12, 0
	v_cmp_ne_u16_sdwa s[8:9], v11, v12 src0_sel:BYTE_0 src1_sel:DWORD
	s_andn2_b64 s[4:5], s[4:5], exec
	s_and_b64 s[8:9], s[8:9], exec
	s_or_b64 s[4:5], s[4:5], s[8:9]
	s_or_b64 exec, exec, s[6:7]
	s_and_saveexec_b64 s[6:7], s[4:5]
	s_cbranch_execnz .LBB32_111
	s_branch .LBB32_112
.LBB32_2161:
	s_movk_i32 s4, 0x80
	v_cmp_eq_u16_e32 vcc, s4, v11
	s_mov_b64 s[4:5], -1
                                        ; implicit-def: $sgpr10
	s_and_saveexec_b64 s[8:9], vcc
; %bb.2162:
	s_mov_b32 s10, 0x7f800001
	s_xor_b64 s[4:5], exec, -1
; %bb.2163:
	s_or_b64 exec, exec, s[8:9]
	s_and_b64 s[4:5], s[4:5], exec
                                        ; implicit-def: $vgpr11
	s_or_saveexec_b64 s[6:7], s[6:7]
	v_mov_b32_e32 v10, s10
	s_xor_b64 exec, exec, s[6:7]
	s_cbranch_execz .LBB32_114
.LBB32_2164:
	v_cmp_ne_u16_e32 vcc, 0, v11
	s_andn2_b64 s[4:5], s[4:5], exec
	s_and_b64 s[8:9], vcc, exec
	v_mov_b32_e32 v10, 0
	s_or_b64 s[4:5], s[4:5], s[8:9]
	s_or_b64 exec, exec, s[6:7]
	s_and_saveexec_b64 s[6:7], s[4:5]
	s_cbranch_execnz .LBB32_115
	s_branch .LBB32_116
.LBB32_2165:
	s_movk_i32 s4, 0x80
	v_cmp_eq_u16_e32 vcc, s4, v11
	s_mov_b64 s[4:5], -1
                                        ; implicit-def: $sgpr10
	s_and_saveexec_b64 s[8:9], vcc
; %bb.2166:
	s_mov_b32 s10, 0x7f800001
	s_xor_b64 s[4:5], exec, -1
; %bb.2167:
	s_or_b64 exec, exec, s[8:9]
	s_and_b64 s[4:5], s[4:5], exec
                                        ; implicit-def: $vgpr11
	s_or_saveexec_b64 s[6:7], s[6:7]
	v_mov_b32_e32 v12, s10
	s_xor_b64 exec, exec, s[6:7]
	s_cbranch_execz .LBB32_118
.LBB32_2168:
	v_cmp_ne_u16_e32 vcc, 0, v11
	s_andn2_b64 s[4:5], s[4:5], exec
	s_and_b64 s[8:9], vcc, exec
	v_mov_b32_e32 v12, 0
	s_or_b64 s[4:5], s[4:5], s[8:9]
	s_or_b64 exec, exec, s[6:7]
	s_and_saveexec_b64 s[6:7], s[4:5]
	s_cbranch_execnz .LBB32_119
	s_branch .LBB32_120
.LBB32_2169:
	s_movk_i32 s4, 0x80
	v_cmp_eq_u16_sdwa s[12:13], v17, s4 src0_sel:BYTE_3 src1_sel:DWORD
	s_mov_b64 s[4:5], -1
                                        ; implicit-def: $sgpr10
	s_and_saveexec_b64 s[8:9], s[12:13]
; %bb.2170:
	s_mov_b32 s10, 0x7f800001
	s_xor_b64 s[4:5], exec, -1
; %bb.2171:
	s_or_b64 exec, exec, s[8:9]
	s_and_b64 s[4:5], s[4:5], exec
	s_or_saveexec_b64 s[6:7], s[6:7]
	v_mov_b32_e32 v10, s10
	s_xor_b64 exec, exec, s[6:7]
	s_cbranch_execz .LBB32_122
.LBB32_2172:
	v_mov_b32_e32 v10, 0
	v_cmp_ne_u16_sdwa s[8:9], v17, v10 src0_sel:BYTE_3 src1_sel:DWORD
	s_andn2_b64 s[4:5], s[4:5], exec
	s_and_b64 s[8:9], s[8:9], exec
	s_or_b64 s[4:5], s[4:5], s[8:9]
	s_or_b64 exec, exec, s[6:7]
	s_and_saveexec_b64 s[6:7], s[4:5]
	s_cbranch_execnz .LBB32_123
	s_branch .LBB32_124
.LBB32_2173:
	s_movk_i32 s4, 0x80
	v_cmp_eq_u16_sdwa s[12:13], v13, s4 src0_sel:BYTE_3 src1_sel:DWORD
	s_mov_b64 s[4:5], -1
                                        ; implicit-def: $sgpr10
	s_and_saveexec_b64 s[8:9], s[12:13]
; %bb.2174:
	s_mov_b32 s10, 0x7f800001
	s_xor_b64 s[4:5], exec, -1
; %bb.2175:
	s_or_b64 exec, exec, s[8:9]
	s_and_b64 s[4:5], s[4:5], exec
	s_or_saveexec_b64 s[6:7], s[6:7]
	v_mov_b32_e32 v11, s10
	s_xor_b64 exec, exec, s[6:7]
	s_cbranch_execz .LBB32_126
.LBB32_2176:
	v_mov_b32_e32 v11, 0
	v_cmp_ne_u16_sdwa s[8:9], v13, v11 src0_sel:BYTE_3 src1_sel:DWORD
	s_andn2_b64 s[4:5], s[4:5], exec
	s_and_b64 s[8:9], s[8:9], exec
	s_or_b64 s[4:5], s[4:5], s[8:9]
	s_or_b64 exec, exec, s[6:7]
	s_and_saveexec_b64 s[6:7], s[4:5]
	s_cbranch_execnz .LBB32_127
	s_branch .LBB32_128
.LBB32_2177:
	s_movk_i32 s4, 0x80
	v_cmp_eq_u16_sdwa s[12:13], v6, s4 src0_sel:BYTE_0 src1_sel:DWORD
	s_mov_b64 s[4:5], -1
                                        ; implicit-def: $sgpr10
	s_and_saveexec_b64 s[8:9], s[12:13]
; %bb.2178:
	s_mov_b32 s10, 0x7f800001
	s_xor_b64 s[4:5], exec, -1
; %bb.2179:
	s_or_b64 exec, exec, s[8:9]
	s_and_b64 s[4:5], s[4:5], exec
	s_or_saveexec_b64 s[6:7], s[6:7]
	v_mov_b32_e32 v10, s10
	s_xor_b64 exec, exec, s[6:7]
	s_cbranch_execz .LBB32_130
.LBB32_2180:
	v_mov_b32_e32 v10, 0
	v_cmp_ne_u16_sdwa s[8:9], v6, v10 src0_sel:BYTE_0 src1_sel:DWORD
	s_andn2_b64 s[4:5], s[4:5], exec
	s_and_b64 s[8:9], s[8:9], exec
	s_or_b64 s[4:5], s[4:5], s[8:9]
	s_or_b64 exec, exec, s[6:7]
	s_and_saveexec_b64 s[6:7], s[4:5]
	s_cbranch_execnz .LBB32_131
	s_branch .LBB32_132
.LBB32_2181:
	s_movk_i32 s4, 0x80
	v_cmp_eq_u16_sdwa s[12:13], v2, s4 src0_sel:BYTE_0 src1_sel:DWORD
	s_mov_b64 s[4:5], -1
                                        ; implicit-def: $sgpr10
	s_and_saveexec_b64 s[8:9], s[12:13]
; %bb.2182:
	s_mov_b32 s10, 0x7f800001
	s_xor_b64 s[4:5], exec, -1
; %bb.2183:
	s_or_b64 exec, exec, s[8:9]
	s_and_b64 s[4:5], s[4:5], exec
	s_or_saveexec_b64 s[6:7], s[6:7]
	v_mov_b32_e32 v11, s10
	s_xor_b64 exec, exec, s[6:7]
	s_cbranch_execz .LBB32_134
.LBB32_2184:
	v_mov_b32_e32 v11, 0
	v_cmp_ne_u16_sdwa s[8:9], v2, v11 src0_sel:BYTE_0 src1_sel:DWORD
	s_andn2_b64 s[4:5], s[4:5], exec
	s_and_b64 s[8:9], s[8:9], exec
	s_or_b64 s[4:5], s[4:5], s[8:9]
	s_or_b64 exec, exec, s[6:7]
	s_and_saveexec_b64 s[6:7], s[4:5]
	s_cbranch_execnz .LBB32_135
	s_branch .LBB32_136
.LBB32_2185:
	s_movk_i32 s4, 0x80
	v_cmp_eq_u16_sdwa s[12:13], v11, s4 src0_sel:BYTE_0 src1_sel:DWORD
	s_mov_b64 s[4:5], -1
                                        ; implicit-def: $sgpr10
	s_and_saveexec_b64 s[8:9], s[12:13]
; %bb.2186:
	s_mov_b32 s10, 0x7f800001
	s_xor_b64 s[4:5], exec, -1
; %bb.2187:
	s_or_b64 exec, exec, s[8:9]
	s_and_b64 s[4:5], s[4:5], exec
	s_or_saveexec_b64 s[6:7], s[6:7]
	v_mov_b32_e32 v10, s10
	s_xor_b64 exec, exec, s[6:7]
	s_cbranch_execz .LBB32_138
.LBB32_2188:
	v_mov_b32_e32 v10, 0
	v_cmp_ne_u16_sdwa s[8:9], v11, v10 src0_sel:BYTE_0 src1_sel:DWORD
	s_andn2_b64 s[4:5], s[4:5], exec
	s_and_b64 s[8:9], s[8:9], exec
	s_or_b64 s[4:5], s[4:5], s[8:9]
	s_or_b64 exec, exec, s[6:7]
	s_and_saveexec_b64 s[6:7], s[4:5]
	s_cbranch_execnz .LBB32_139
	s_branch .LBB32_140
.LBB32_2189:
	s_movk_i32 s4, 0x80
	v_cmp_eq_u16_sdwa s[12:13], v11, s4 src0_sel:BYTE_0 src1_sel:DWORD
	s_mov_b64 s[4:5], -1
                                        ; implicit-def: $sgpr10
	s_and_saveexec_b64 s[8:9], s[12:13]
; %bb.2190:
	s_mov_b32 s10, 0x7f800001
	s_xor_b64 s[4:5], exec, -1
; %bb.2191:
	s_or_b64 exec, exec, s[8:9]
	s_and_b64 s[4:5], s[4:5], exec
	s_or_saveexec_b64 s[6:7], s[6:7]
	v_mov_b32_e32 v12, s10
	s_xor_b64 exec, exec, s[6:7]
	s_cbranch_execz .LBB32_142
.LBB32_2192:
	v_mov_b32_e32 v12, 0
	v_cmp_ne_u16_sdwa s[8:9], v11, v12 src0_sel:BYTE_0 src1_sel:DWORD
	s_andn2_b64 s[4:5], s[4:5], exec
	s_and_b64 s[8:9], s[8:9], exec
	s_or_b64 s[4:5], s[4:5], s[8:9]
	s_or_b64 exec, exec, s[6:7]
	s_and_saveexec_b64 s[6:7], s[4:5]
	s_cbranch_execnz .LBB32_143
	s_branch .LBB32_144
.LBB32_2193:
	s_movk_i32 s4, 0x80
	v_cmp_eq_u16_e32 vcc, s4, v11
	s_mov_b64 s[4:5], -1
                                        ; implicit-def: $sgpr10
	s_and_saveexec_b64 s[8:9], vcc
; %bb.2194:
	s_mov_b32 s10, 0x7f800001
	s_xor_b64 s[4:5], exec, -1
; %bb.2195:
	s_or_b64 exec, exec, s[8:9]
	s_and_b64 s[4:5], s[4:5], exec
                                        ; implicit-def: $vgpr11
	s_or_saveexec_b64 s[6:7], s[6:7]
	v_mov_b32_e32 v10, s10
	s_xor_b64 exec, exec, s[6:7]
	s_cbranch_execz .LBB32_146
.LBB32_2196:
	v_cmp_ne_u16_e32 vcc, 0, v11
	s_andn2_b64 s[4:5], s[4:5], exec
	s_and_b64 s[8:9], vcc, exec
	v_mov_b32_e32 v10, 0
	s_or_b64 s[4:5], s[4:5], s[8:9]
	s_or_b64 exec, exec, s[6:7]
	s_and_saveexec_b64 s[6:7], s[4:5]
	s_cbranch_execnz .LBB32_147
	s_branch .LBB32_148
.LBB32_2197:
	s_movk_i32 s4, 0x80
	v_cmp_eq_u16_e32 vcc, s4, v11
	s_mov_b64 s[4:5], -1
                                        ; implicit-def: $sgpr10
	s_and_saveexec_b64 s[8:9], vcc
; %bb.2198:
	s_mov_b32 s10, 0x7f800001
	s_xor_b64 s[4:5], exec, -1
; %bb.2199:
	s_or_b64 exec, exec, s[8:9]
	s_and_b64 s[4:5], s[4:5], exec
                                        ; implicit-def: $vgpr11
	s_or_saveexec_b64 s[6:7], s[6:7]
	v_mov_b32_e32 v12, s10
	s_xor_b64 exec, exec, s[6:7]
	s_cbranch_execz .LBB32_150
.LBB32_2200:
	v_cmp_ne_u16_e32 vcc, 0, v11
	s_andn2_b64 s[4:5], s[4:5], exec
	s_and_b64 s[8:9], vcc, exec
	v_mov_b32_e32 v12, 0
	s_or_b64 s[4:5], s[4:5], s[8:9]
	s_or_b64 exec, exec, s[6:7]
	s_and_saveexec_b64 s[6:7], s[4:5]
	s_cbranch_execnz .LBB32_151
	s_branch .LBB32_152
.LBB32_2201:
	s_movk_i32 s4, 0x80
	v_cmp_eq_u16_sdwa s[12:13], v6, s4 src0_sel:BYTE_3 src1_sel:DWORD
	s_mov_b64 s[4:5], -1
                                        ; implicit-def: $sgpr10
	s_and_saveexec_b64 s[8:9], s[12:13]
; %bb.2202:
	s_mov_b32 s10, 0x7f800001
	s_xor_b64 s[4:5], exec, -1
; %bb.2203:
	s_or_b64 exec, exec, s[8:9]
	s_and_b64 s[4:5], s[4:5], exec
	s_or_saveexec_b64 s[6:7], s[6:7]
	v_mov_b32_e32 v10, s10
	s_xor_b64 exec, exec, s[6:7]
	s_cbranch_execz .LBB32_154
.LBB32_2204:
	v_mov_b32_e32 v10, 0
	v_cmp_ne_u16_sdwa s[8:9], v6, v10 src0_sel:BYTE_3 src1_sel:DWORD
	s_andn2_b64 s[4:5], s[4:5], exec
	s_and_b64 s[8:9], s[8:9], exec
	s_or_b64 s[4:5], s[4:5], s[8:9]
	s_or_b64 exec, exec, s[6:7]
	s_and_saveexec_b64 s[6:7], s[4:5]
	s_cbranch_execnz .LBB32_155
	s_branch .LBB32_156
.LBB32_2205:
	s_movk_i32 s4, 0x80
	v_cmp_eq_u16_sdwa s[12:13], v2, s4 src0_sel:BYTE_3 src1_sel:DWORD
	s_mov_b64 s[4:5], -1
                                        ; implicit-def: $sgpr10
	s_and_saveexec_b64 s[8:9], s[12:13]
; %bb.2206:
	s_mov_b32 s10, 0x7f800001
	s_xor_b64 s[4:5], exec, -1
; %bb.2207:
	s_or_b64 exec, exec, s[8:9]
	s_and_b64 s[4:5], s[4:5], exec
	s_or_saveexec_b64 s[6:7], s[6:7]
	v_mov_b32_e32 v6, s10
	s_xor_b64 exec, exec, s[6:7]
	s_cbranch_execz .LBB32_158
.LBB32_2208:
	v_mov_b32_e32 v6, 0
	v_cmp_ne_u16_sdwa s[8:9], v2, v6 src0_sel:BYTE_3 src1_sel:DWORD
	s_andn2_b64 s[4:5], s[4:5], exec
	s_and_b64 s[8:9], s[8:9], exec
	s_or_b64 s[4:5], s[4:5], s[8:9]
	s_or_b64 exec, exec, s[6:7]
	s_and_saveexec_b64 s[6:7], s[4:5]
	s_cbranch_execnz .LBB32_159
	s_branch .LBB32_160
.LBB32_2209:
	s_movk_i32 s4, 0x80
	v_cmp_eq_u16_sdwa s[12:13], v7, s4 src0_sel:BYTE_0 src1_sel:DWORD
	s_mov_b64 s[4:5], -1
                                        ; implicit-def: $sgpr10
	s_and_saveexec_b64 s[8:9], s[12:13]
; %bb.2210:
	s_mov_b32 s10, 0x7f800001
	s_xor_b64 s[4:5], exec, -1
; %bb.2211:
	s_or_b64 exec, exec, s[8:9]
	s_and_b64 s[4:5], s[4:5], exec
	s_or_saveexec_b64 s[6:7], s[6:7]
	v_mov_b32_e32 v2, s10
	s_xor_b64 exec, exec, s[6:7]
	s_cbranch_execz .LBB32_162
.LBB32_2212:
	v_mov_b32_e32 v2, 0
	v_cmp_ne_u16_sdwa s[8:9], v7, v2 src0_sel:BYTE_0 src1_sel:DWORD
	s_andn2_b64 s[4:5], s[4:5], exec
	s_and_b64 s[8:9], s[8:9], exec
	s_or_b64 s[4:5], s[4:5], s[8:9]
	s_or_b64 exec, exec, s[6:7]
	s_and_saveexec_b64 s[6:7], s[4:5]
	s_cbranch_execnz .LBB32_163
	s_branch .LBB32_164
.LBB32_2213:
	s_movk_i32 s4, 0x80
	v_cmp_eq_u16_sdwa s[12:13], v3, s4 src0_sel:BYTE_0 src1_sel:DWORD
	s_mov_b64 s[4:5], -1
                                        ; implicit-def: $sgpr10
	s_and_saveexec_b64 s[8:9], s[12:13]
; %bb.2214:
	s_mov_b32 s10, 0x7f800001
	s_xor_b64 s[4:5], exec, -1
; %bb.2215:
	s_or_b64 exec, exec, s[8:9]
	s_and_b64 s[4:5], s[4:5], exec
	s_or_saveexec_b64 s[6:7], s[6:7]
	v_mov_b32_e32 v6, s10
	s_xor_b64 exec, exec, s[6:7]
	s_cbranch_execz .LBB32_166
.LBB32_2216:
	v_mov_b32_e32 v6, 0
	v_cmp_ne_u16_sdwa s[8:9], v3, v6 src0_sel:BYTE_0 src1_sel:DWORD
	s_andn2_b64 s[4:5], s[4:5], exec
	s_and_b64 s[8:9], s[8:9], exec
	s_or_b64 s[4:5], s[4:5], s[8:9]
	s_or_b64 exec, exec, s[6:7]
	s_and_saveexec_b64 s[6:7], s[4:5]
	s_cbranch_execnz .LBB32_167
	s_branch .LBB32_168
.LBB32_2217:
	s_movk_i32 s4, 0x80
	v_cmp_eq_u16_sdwa s[12:13], v6, s4 src0_sel:BYTE_0 src1_sel:DWORD
	s_mov_b64 s[4:5], -1
                                        ; implicit-def: $sgpr10
	s_and_saveexec_b64 s[8:9], s[12:13]
; %bb.2218:
	s_mov_b32 s10, 0x7f800001
	s_xor_b64 s[4:5], exec, -1
; %bb.2219:
	s_or_b64 exec, exec, s[8:9]
	s_and_b64 s[4:5], s[4:5], exec
	s_or_saveexec_b64 s[6:7], s[6:7]
	v_mov_b32_e32 v2, s10
	s_xor_b64 exec, exec, s[6:7]
	s_cbranch_execz .LBB32_170
.LBB32_2220:
	v_mov_b32_e32 v2, 0
	v_cmp_ne_u16_sdwa s[8:9], v6, v2 src0_sel:BYTE_0 src1_sel:DWORD
	s_andn2_b64 s[4:5], s[4:5], exec
	s_and_b64 s[8:9], s[8:9], exec
	s_or_b64 s[4:5], s[4:5], s[8:9]
	s_or_b64 exec, exec, s[6:7]
	s_and_saveexec_b64 s[6:7], s[4:5]
	s_cbranch_execnz .LBB32_171
	s_branch .LBB32_172
.LBB32_2221:
	s_movk_i32 s4, 0x80
	v_cmp_eq_u16_sdwa s[12:13], v6, s4 src0_sel:BYTE_0 src1_sel:DWORD
	s_mov_b64 s[4:5], -1
                                        ; implicit-def: $sgpr10
	s_and_saveexec_b64 s[8:9], s[12:13]
; %bb.2222:
	s_mov_b32 s10, 0x7f800001
	s_xor_b64 s[4:5], exec, -1
; %bb.2223:
	s_or_b64 exec, exec, s[8:9]
	s_and_b64 s[4:5], s[4:5], exec
	s_or_saveexec_b64 s[6:7], s[6:7]
	v_mov_b32_e32 v10, s10
	s_xor_b64 exec, exec, s[6:7]
	s_cbranch_execz .LBB32_174
.LBB32_2224:
	v_mov_b32_e32 v10, 0
	v_cmp_ne_u16_sdwa s[8:9], v6, v10 src0_sel:BYTE_0 src1_sel:DWORD
	s_andn2_b64 s[4:5], s[4:5], exec
	s_and_b64 s[8:9], s[8:9], exec
	s_or_b64 s[4:5], s[4:5], s[8:9]
	s_or_b64 exec, exec, s[6:7]
	s_and_saveexec_b64 s[6:7], s[4:5]
	s_cbranch_execnz .LBB32_175
	s_branch .LBB32_176
.LBB32_2225:
	s_movk_i32 s4, 0x80
	v_cmp_eq_u16_e32 vcc, s4, v6
	s_mov_b64 s[4:5], -1
                                        ; implicit-def: $sgpr10
	s_and_saveexec_b64 s[8:9], vcc
; %bb.2226:
	s_mov_b32 s10, 0x7f800001
	s_xor_b64 s[4:5], exec, -1
; %bb.2227:
	s_or_b64 exec, exec, s[8:9]
	s_and_b64 s[4:5], s[4:5], exec
                                        ; implicit-def: $vgpr6
	s_or_saveexec_b64 s[6:7], s[6:7]
	v_mov_b32_e32 v2, s10
	s_xor_b64 exec, exec, s[6:7]
	s_cbranch_execz .LBB32_178
.LBB32_2228:
	v_cmp_ne_u16_e32 vcc, 0, v6
	s_andn2_b64 s[4:5], s[4:5], exec
	s_and_b64 s[8:9], vcc, exec
	v_mov_b32_e32 v2, 0
	s_or_b64 s[4:5], s[4:5], s[8:9]
	s_or_b64 exec, exec, s[6:7]
	s_and_saveexec_b64 s[6:7], s[4:5]
	s_cbranch_execnz .LBB32_179
	s_branch .LBB32_180
.LBB32_2229:
	s_movk_i32 s4, 0x80
	v_cmp_eq_u16_e32 vcc, s4, v6
	s_mov_b64 s[4:5], -1
                                        ; implicit-def: $sgpr10
	s_and_saveexec_b64 s[8:9], vcc
; %bb.2230:
	s_mov_b32 s10, 0x7f800001
	s_xor_b64 s[4:5], exec, -1
; %bb.2231:
	s_or_b64 exec, exec, s[8:9]
	s_and_b64 s[4:5], s[4:5], exec
                                        ; implicit-def: $vgpr6
	s_or_saveexec_b64 s[6:7], s[6:7]
	v_mov_b32_e32 v10, s10
	s_xor_b64 exec, exec, s[6:7]
	s_cbranch_execz .LBB32_182
.LBB32_2232:
	v_cmp_ne_u16_e32 vcc, 0, v6
	s_andn2_b64 s[4:5], s[4:5], exec
	s_and_b64 s[8:9], vcc, exec
	v_mov_b32_e32 v10, 0
	s_or_b64 s[4:5], s[4:5], s[8:9]
	s_or_b64 exec, exec, s[6:7]
	s_and_saveexec_b64 s[6:7], s[4:5]
	s_cbranch_execnz .LBB32_183
	s_branch .LBB32_184
.LBB32_2233:
	s_movk_i32 s4, 0x80
	v_cmp_eq_u16_sdwa s[12:13], v7, s4 src0_sel:BYTE_3 src1_sel:DWORD
	s_mov_b64 s[4:5], -1
                                        ; implicit-def: $sgpr10
	s_and_saveexec_b64 s[8:9], s[12:13]
; %bb.2234:
	s_mov_b32 s10, 0x7f800001
	s_xor_b64 s[4:5], exec, -1
; %bb.2235:
	s_or_b64 exec, exec, s[8:9]
	s_and_b64 s[4:5], s[4:5], exec
	s_or_saveexec_b64 s[6:7], s[6:7]
	v_mov_b32_e32 v2, s10
	s_xor_b64 exec, exec, s[6:7]
	s_cbranch_execz .LBB32_186
.LBB32_2236:
	v_mov_b32_e32 v2, 0
	v_cmp_ne_u16_sdwa s[8:9], v7, v2 src0_sel:BYTE_3 src1_sel:DWORD
	s_andn2_b64 s[4:5], s[4:5], exec
	s_and_b64 s[8:9], s[8:9], exec
	s_or_b64 s[4:5], s[4:5], s[8:9]
	s_or_b64 exec, exec, s[6:7]
	s_and_saveexec_b64 s[6:7], s[4:5]
	s_cbranch_execnz .LBB32_187
	s_branch .LBB32_188
.LBB32_2237:
	s_movk_i32 s4, 0x80
	v_cmp_eq_u16_sdwa s[12:13], v3, s4 src0_sel:BYTE_3 src1_sel:DWORD
	s_mov_b64 s[4:5], -1
                                        ; implicit-def: $sgpr10
	s_and_saveexec_b64 s[8:9], s[12:13]
; %bb.2238:
	s_mov_b32 s10, 0x7f800001
	s_xor_b64 s[4:5], exec, -1
; %bb.2239:
	s_or_b64 exec, exec, s[8:9]
	s_and_b64 s[4:5], s[4:5], exec
	s_or_saveexec_b64 s[6:7], s[6:7]
	v_mov_b32_e32 v6, s10
	s_xor_b64 exec, exec, s[6:7]
	s_cbranch_execz .LBB32_190
.LBB32_2240:
	v_mov_b32_e32 v6, 0
	v_cmp_ne_u16_sdwa s[8:9], v3, v6 src0_sel:BYTE_3 src1_sel:DWORD
	s_andn2_b64 s[4:5], s[4:5], exec
	s_and_b64 s[8:9], s[8:9], exec
	s_or_b64 s[4:5], s[4:5], s[8:9]
	s_or_b64 exec, exec, s[6:7]
	s_and_saveexec_b64 s[6:7], s[4:5]
	s_cbranch_execnz .LBB32_191
	s_branch .LBB32_192
.LBB32_2241:
	s_movk_i32 s4, 0x80
	v_cmp_eq_u16_sdwa s[12:13], v8, s4 src0_sel:BYTE_0 src1_sel:DWORD
	s_mov_b64 s[4:5], -1
                                        ; implicit-def: $sgpr10
	s_and_saveexec_b64 s[8:9], s[12:13]
; %bb.2242:
	s_mov_b32 s10, 0x7f800001
	s_xor_b64 s[4:5], exec, -1
; %bb.2243:
	s_or_b64 exec, exec, s[8:9]
	s_and_b64 s[4:5], s[4:5], exec
	s_or_saveexec_b64 s[6:7], s[6:7]
	v_mov_b32_e32 v2, s10
	s_xor_b64 exec, exec, s[6:7]
	s_cbranch_execz .LBB32_194
.LBB32_2244:
	v_mov_b32_e32 v2, 0
	v_cmp_ne_u16_sdwa s[8:9], v8, v2 src0_sel:BYTE_0 src1_sel:DWORD
	s_andn2_b64 s[4:5], s[4:5], exec
	s_and_b64 s[8:9], s[8:9], exec
	s_or_b64 s[4:5], s[4:5], s[8:9]
	s_or_b64 exec, exec, s[6:7]
	s_and_saveexec_b64 s[6:7], s[4:5]
	s_cbranch_execnz .LBB32_195
	s_branch .LBB32_196
.LBB32_2245:
	s_movk_i32 s4, 0x80
	v_cmp_eq_u16_sdwa s[12:13], v4, s4 src0_sel:BYTE_0 src1_sel:DWORD
	s_mov_b64 s[4:5], -1
                                        ; implicit-def: $sgpr10
	s_and_saveexec_b64 s[8:9], s[12:13]
; %bb.2246:
	s_mov_b32 s10, 0x7f800001
	s_xor_b64 s[4:5], exec, -1
; %bb.2247:
	s_or_b64 exec, exec, s[8:9]
	s_and_b64 s[4:5], s[4:5], exec
	s_or_saveexec_b64 s[6:7], s[6:7]
	v_mov_b32_e32 v3, s10
	s_xor_b64 exec, exec, s[6:7]
	s_cbranch_execz .LBB32_198
.LBB32_2248:
	v_mov_b32_e32 v3, 0
	v_cmp_ne_u16_sdwa s[8:9], v4, v3 src0_sel:BYTE_0 src1_sel:DWORD
	s_andn2_b64 s[4:5], s[4:5], exec
	s_and_b64 s[8:9], s[8:9], exec
	s_or_b64 s[4:5], s[4:5], s[8:9]
	s_or_b64 exec, exec, s[6:7]
	s_and_saveexec_b64 s[6:7], s[4:5]
	s_cbranch_execnz .LBB32_199
	s_branch .LBB32_200
.LBB32_2249:
	s_movk_i32 s4, 0x80
	v_cmp_eq_u16_sdwa s[12:13], v3, s4 src0_sel:BYTE_0 src1_sel:DWORD
	s_mov_b64 s[4:5], -1
                                        ; implicit-def: $sgpr10
	s_and_saveexec_b64 s[8:9], s[12:13]
; %bb.2250:
	s_mov_b32 s10, 0x7f800001
	s_xor_b64 s[4:5], exec, -1
; %bb.2251:
	s_or_b64 exec, exec, s[8:9]
	s_and_b64 s[4:5], s[4:5], exec
	s_or_saveexec_b64 s[6:7], s[6:7]
	v_mov_b32_e32 v2, s10
	s_xor_b64 exec, exec, s[6:7]
	s_cbranch_execz .LBB32_202
.LBB32_2252:
	v_mov_b32_e32 v2, 0
	v_cmp_ne_u16_sdwa s[8:9], v3, v2 src0_sel:BYTE_0 src1_sel:DWORD
	s_andn2_b64 s[4:5], s[4:5], exec
	s_and_b64 s[8:9], s[8:9], exec
	s_or_b64 s[4:5], s[4:5], s[8:9]
	s_or_b64 exec, exec, s[6:7]
	s_and_saveexec_b64 s[6:7], s[4:5]
	s_cbranch_execnz .LBB32_203
	s_branch .LBB32_204
.LBB32_2253:
	s_movk_i32 s4, 0x80
	v_cmp_eq_u16_sdwa s[12:13], v3, s4 src0_sel:BYTE_0 src1_sel:DWORD
	s_mov_b64 s[4:5], -1
                                        ; implicit-def: $sgpr10
	s_and_saveexec_b64 s[8:9], s[12:13]
; %bb.2254:
	s_mov_b32 s10, 0x7f800001
	s_xor_b64 s[4:5], exec, -1
; %bb.2255:
	s_or_b64 exec, exec, s[8:9]
	s_and_b64 s[4:5], s[4:5], exec
	s_or_saveexec_b64 s[6:7], s[6:7]
	v_mov_b32_e32 v6, s10
	s_xor_b64 exec, exec, s[6:7]
	s_cbranch_execz .LBB32_206
.LBB32_2256:
	v_mov_b32_e32 v6, 0
	v_cmp_ne_u16_sdwa s[8:9], v3, v6 src0_sel:BYTE_0 src1_sel:DWORD
	s_andn2_b64 s[4:5], s[4:5], exec
	s_and_b64 s[8:9], s[8:9], exec
	s_or_b64 s[4:5], s[4:5], s[8:9]
	s_or_b64 exec, exec, s[6:7]
	s_and_saveexec_b64 s[6:7], s[4:5]
	s_cbranch_execnz .LBB32_207
	s_branch .LBB32_208
.LBB32_2257:
	s_movk_i32 s4, 0x80
	v_cmp_eq_u16_e32 vcc, s4, v3
	s_mov_b64 s[4:5], -1
                                        ; implicit-def: $sgpr10
	s_and_saveexec_b64 s[8:9], vcc
; %bb.2258:
	s_mov_b32 s10, 0x7f800001
	s_xor_b64 s[4:5], exec, -1
; %bb.2259:
	s_or_b64 exec, exec, s[8:9]
	s_and_b64 s[4:5], s[4:5], exec
                                        ; implicit-def: $vgpr3
	s_or_saveexec_b64 s[6:7], s[6:7]
	v_mov_b32_e32 v2, s10
	s_xor_b64 exec, exec, s[6:7]
	s_cbranch_execz .LBB32_210
.LBB32_2260:
	v_cmp_ne_u16_e32 vcc, 0, v3
	s_andn2_b64 s[4:5], s[4:5], exec
	s_and_b64 s[8:9], vcc, exec
	v_mov_b32_e32 v2, 0
	s_or_b64 s[4:5], s[4:5], s[8:9]
	s_or_b64 exec, exec, s[6:7]
	s_and_saveexec_b64 s[6:7], s[4:5]
	s_cbranch_execnz .LBB32_211
	s_branch .LBB32_212
.LBB32_2261:
	s_movk_i32 s4, 0x80
	v_cmp_eq_u16_e32 vcc, s4, v3
	s_mov_b64 s[4:5], -1
                                        ; implicit-def: $sgpr10
	s_and_saveexec_b64 s[8:9], vcc
; %bb.2262:
	s_mov_b32 s10, 0x7f800001
	s_xor_b64 s[4:5], exec, -1
; %bb.2263:
	s_or_b64 exec, exec, s[8:9]
	s_and_b64 s[4:5], s[4:5], exec
                                        ; implicit-def: $vgpr3
	s_or_saveexec_b64 s[6:7], s[6:7]
	v_mov_b32_e32 v6, s10
	s_xor_b64 exec, exec, s[6:7]
	s_cbranch_execz .LBB32_214
.LBB32_2264:
	v_cmp_ne_u16_e32 vcc, 0, v3
	s_andn2_b64 s[4:5], s[4:5], exec
	s_and_b64 s[8:9], vcc, exec
	v_mov_b32_e32 v6, 0
	s_or_b64 s[4:5], s[4:5], s[8:9]
	s_or_b64 exec, exec, s[6:7]
	s_and_saveexec_b64 s[6:7], s[4:5]
	s_cbranch_execnz .LBB32_215
	s_branch .LBB32_216
.LBB32_2265:
	s_movk_i32 s4, 0x80
	v_cmp_eq_u16_sdwa s[12:13], v8, s4 src0_sel:BYTE_3 src1_sel:DWORD
	s_mov_b64 s[4:5], -1
                                        ; implicit-def: $sgpr10
	s_and_saveexec_b64 s[8:9], s[12:13]
; %bb.2266:
	s_mov_b32 s10, 0x7f800001
	s_xor_b64 s[4:5], exec, -1
; %bb.2267:
	s_or_b64 exec, exec, s[8:9]
	s_and_b64 s[4:5], s[4:5], exec
	s_or_saveexec_b64 s[6:7], s[6:7]
	v_mov_b32_e32 v2, s10
	s_xor_b64 exec, exec, s[6:7]
	s_cbranch_execz .LBB32_218
.LBB32_2268:
	v_mov_b32_e32 v2, 0
	v_cmp_ne_u16_sdwa s[8:9], v8, v2 src0_sel:BYTE_3 src1_sel:DWORD
	s_andn2_b64 s[4:5], s[4:5], exec
	s_and_b64 s[8:9], s[8:9], exec
	s_or_b64 s[4:5], s[4:5], s[8:9]
	s_or_b64 exec, exec, s[6:7]
	s_and_saveexec_b64 s[6:7], s[4:5]
	s_cbranch_execnz .LBB32_219
	s_branch .LBB32_220
.LBB32_2269:
	s_movk_i32 s4, 0x80
	v_cmp_eq_u16_sdwa s[12:13], v4, s4 src0_sel:BYTE_3 src1_sel:DWORD
	s_mov_b64 s[4:5], -1
                                        ; implicit-def: $sgpr10
	s_and_saveexec_b64 s[8:9], s[12:13]
; %bb.2270:
	s_mov_b32 s10, 0x7f800001
	s_xor_b64 s[4:5], exec, -1
; %bb.2271:
	s_or_b64 exec, exec, s[8:9]
	s_and_b64 s[4:5], s[4:5], exec
	s_or_saveexec_b64 s[6:7], s[6:7]
	v_mov_b32_e32 v3, s10
	s_xor_b64 exec, exec, s[6:7]
	s_cbranch_execz .LBB32_222
.LBB32_2272:
	v_mov_b32_e32 v3, 0
	v_cmp_ne_u16_sdwa s[8:9], v4, v3 src0_sel:BYTE_3 src1_sel:DWORD
	s_andn2_b64 s[4:5], s[4:5], exec
	s_and_b64 s[8:9], s[8:9], exec
	s_or_b64 s[4:5], s[4:5], s[8:9]
	s_or_b64 exec, exec, s[6:7]
	s_and_saveexec_b64 s[6:7], s[4:5]
	s_cbranch_execnz .LBB32_223
	s_branch .LBB32_224
.LBB32_2273:
	s_movk_i32 s4, 0x80
	v_cmp_eq_u16_sdwa s[12:13], v9, s4 src0_sel:BYTE_0 src1_sel:DWORD
	s_mov_b64 s[4:5], -1
                                        ; implicit-def: $sgpr10
	s_and_saveexec_b64 s[8:9], s[12:13]
; %bb.2274:
	s_mov_b32 s10, 0x7f800001
	s_xor_b64 s[4:5], exec, -1
; %bb.2275:
	s_or_b64 exec, exec, s[8:9]
	s_and_b64 s[4:5], s[4:5], exec
	s_or_saveexec_b64 s[6:7], s[6:7]
	v_mov_b32_e32 v2, s10
	s_xor_b64 exec, exec, s[6:7]
	s_cbranch_execz .LBB32_226
.LBB32_2276:
	v_mov_b32_e32 v2, 0
	v_cmp_ne_u16_sdwa s[8:9], v9, v2 src0_sel:BYTE_0 src1_sel:DWORD
	s_andn2_b64 s[4:5], s[4:5], exec
	s_and_b64 s[8:9], s[8:9], exec
	s_or_b64 s[4:5], s[4:5], s[8:9]
	s_or_b64 exec, exec, s[6:7]
	s_and_saveexec_b64 s[6:7], s[4:5]
	s_cbranch_execnz .LBB32_227
	s_branch .LBB32_228
.LBB32_2277:
	s_movk_i32 s4, 0x80
	v_cmp_eq_u16_sdwa s[12:13], v5, s4 src0_sel:BYTE_0 src1_sel:DWORD
	s_mov_b64 s[4:5], -1
                                        ; implicit-def: $sgpr10
	s_and_saveexec_b64 s[8:9], s[12:13]
; %bb.2278:
	s_mov_b32 s10, 0x7f800001
	s_xor_b64 s[4:5], exec, -1
; %bb.2279:
	s_or_b64 exec, exec, s[8:9]
	s_and_b64 s[4:5], s[4:5], exec
	s_or_saveexec_b64 s[6:7], s[6:7]
	v_mov_b32_e32 v3, s10
	s_xor_b64 exec, exec, s[6:7]
	s_cbranch_execz .LBB32_230
.LBB32_2280:
	v_mov_b32_e32 v3, 0
	v_cmp_ne_u16_sdwa s[8:9], v5, v3 src0_sel:BYTE_0 src1_sel:DWORD
	s_andn2_b64 s[4:5], s[4:5], exec
	s_and_b64 s[8:9], s[8:9], exec
	s_or_b64 s[4:5], s[4:5], s[8:9]
	s_or_b64 exec, exec, s[6:7]
	s_and_saveexec_b64 s[6:7], s[4:5]
	s_cbranch_execnz .LBB32_231
	s_branch .LBB32_232
.LBB32_2281:
	s_movk_i32 s4, 0x80
	v_cmp_eq_u16_sdwa s[12:13], v3, s4 src0_sel:BYTE_0 src1_sel:DWORD
	s_mov_b64 s[4:5], -1
                                        ; implicit-def: $sgpr10
	s_and_saveexec_b64 s[8:9], s[12:13]
; %bb.2282:
	s_mov_b32 s10, 0x7f800001
	s_xor_b64 s[4:5], exec, -1
; %bb.2283:
	s_or_b64 exec, exec, s[8:9]
	s_and_b64 s[4:5], s[4:5], exec
	s_or_saveexec_b64 s[6:7], s[6:7]
	v_mov_b32_e32 v2, s10
	s_xor_b64 exec, exec, s[6:7]
	s_cbranch_execz .LBB32_234
.LBB32_2284:
	v_mov_b32_e32 v2, 0
	v_cmp_ne_u16_sdwa s[8:9], v3, v2 src0_sel:BYTE_0 src1_sel:DWORD
	s_andn2_b64 s[4:5], s[4:5], exec
	s_and_b64 s[8:9], s[8:9], exec
	s_or_b64 s[4:5], s[4:5], s[8:9]
	s_or_b64 exec, exec, s[6:7]
	s_and_saveexec_b64 s[6:7], s[4:5]
	s_cbranch_execnz .LBB32_235
	s_branch .LBB32_236
.LBB32_2285:
	s_movk_i32 s4, 0x80
	v_cmp_eq_u16_sdwa s[12:13], v3, s4 src0_sel:BYTE_0 src1_sel:DWORD
	s_mov_b64 s[4:5], -1
                                        ; implicit-def: $sgpr10
	s_and_saveexec_b64 s[8:9], s[12:13]
; %bb.2286:
	s_mov_b32 s10, 0x7f800001
	s_xor_b64 s[4:5], exec, -1
; %bb.2287:
	s_or_b64 exec, exec, s[8:9]
	s_and_b64 s[4:5], s[4:5], exec
	s_or_saveexec_b64 s[6:7], s[6:7]
	v_mov_b32_e32 v4, s10
	s_xor_b64 exec, exec, s[6:7]
	s_cbranch_execz .LBB32_238
.LBB32_2288:
	v_mov_b32_e32 v4, 0
	v_cmp_ne_u16_sdwa s[8:9], v3, v4 src0_sel:BYTE_0 src1_sel:DWORD
	s_andn2_b64 s[4:5], s[4:5], exec
	s_and_b64 s[8:9], s[8:9], exec
	s_or_b64 s[4:5], s[4:5], s[8:9]
	s_or_b64 exec, exec, s[6:7]
	s_and_saveexec_b64 s[6:7], s[4:5]
	s_cbranch_execnz .LBB32_239
	s_branch .LBB32_240
.LBB32_2289:
	s_movk_i32 s4, 0x80
	v_cmp_eq_u16_e32 vcc, s4, v3
	s_mov_b64 s[4:5], -1
                                        ; implicit-def: $sgpr10
	s_and_saveexec_b64 s[8:9], vcc
; %bb.2290:
	s_mov_b32 s10, 0x7f800001
	s_xor_b64 s[4:5], exec, -1
; %bb.2291:
	s_or_b64 exec, exec, s[8:9]
	s_and_b64 s[4:5], s[4:5], exec
                                        ; implicit-def: $vgpr3
	s_or_saveexec_b64 s[6:7], s[6:7]
	v_mov_b32_e32 v2, s10
	s_xor_b64 exec, exec, s[6:7]
	s_cbranch_execz .LBB32_242
.LBB32_2292:
	v_cmp_ne_u16_e32 vcc, 0, v3
	s_andn2_b64 s[4:5], s[4:5], exec
	s_and_b64 s[8:9], vcc, exec
	v_mov_b32_e32 v2, 0
	s_or_b64 s[4:5], s[4:5], s[8:9]
	s_or_b64 exec, exec, s[6:7]
	s_and_saveexec_b64 s[6:7], s[4:5]
	s_cbranch_execnz .LBB32_243
	s_branch .LBB32_244
.LBB32_2293:
	s_movk_i32 s4, 0x80
	v_cmp_eq_u16_e32 vcc, s4, v3
	s_mov_b64 s[4:5], -1
                                        ; implicit-def: $sgpr10
	s_and_saveexec_b64 s[8:9], vcc
; %bb.2294:
	s_mov_b32 s10, 0x7f800001
	s_xor_b64 s[4:5], exec, -1
; %bb.2295:
	s_or_b64 exec, exec, s[8:9]
	s_and_b64 s[4:5], s[4:5], exec
                                        ; implicit-def: $vgpr3
	s_or_saveexec_b64 s[6:7], s[6:7]
	v_mov_b32_e32 v4, s10
	s_xor_b64 exec, exec, s[6:7]
	s_cbranch_execz .LBB32_246
.LBB32_2296:
	v_cmp_ne_u16_e32 vcc, 0, v3
	s_andn2_b64 s[4:5], s[4:5], exec
	s_and_b64 s[8:9], vcc, exec
	v_mov_b32_e32 v4, 0
	s_or_b64 s[4:5], s[4:5], s[8:9]
	s_or_b64 exec, exec, s[6:7]
	s_and_saveexec_b64 s[6:7], s[4:5]
	s_cbranch_execnz .LBB32_247
	s_branch .LBB32_248
.LBB32_2297:
	s_movk_i32 s4, 0x80
	v_cmp_eq_u16_sdwa s[12:13], v9, s4 src0_sel:BYTE_3 src1_sel:DWORD
	s_mov_b64 s[4:5], -1
                                        ; implicit-def: $sgpr10
	s_and_saveexec_b64 s[8:9], s[12:13]
; %bb.2298:
	s_mov_b32 s10, 0x7f800001
	s_xor_b64 s[4:5], exec, -1
; %bb.2299:
	s_or_b64 exec, exec, s[8:9]
	s_and_b64 s[4:5], s[4:5], exec
	s_or_saveexec_b64 s[6:7], s[6:7]
	v_mov_b32_e32 v2, s10
	s_xor_b64 exec, exec, s[6:7]
	s_cbranch_execz .LBB32_250
.LBB32_2300:
	v_mov_b32_e32 v2, 0
	v_cmp_ne_u16_sdwa s[8:9], v9, v2 src0_sel:BYTE_3 src1_sel:DWORD
	s_andn2_b64 s[4:5], s[4:5], exec
	s_and_b64 s[8:9], s[8:9], exec
	s_or_b64 s[4:5], s[4:5], s[8:9]
	s_or_b64 exec, exec, s[6:7]
	s_and_saveexec_b64 s[6:7], s[4:5]
	s_cbranch_execnz .LBB32_251
	s_branch .LBB32_252
.LBB32_2301:
	s_movk_i32 s4, 0x80
	v_cmp_eq_u16_sdwa s[12:13], v5, s4 src0_sel:BYTE_3 src1_sel:DWORD
	s_mov_b64 s[4:5], -1
                                        ; implicit-def: $sgpr10
	s_and_saveexec_b64 s[8:9], s[12:13]
; %bb.2302:
	s_mov_b32 s10, 0x7f800001
	s_xor_b64 s[4:5], exec, -1
; %bb.2303:
	s_or_b64 exec, exec, s[8:9]
	s_and_b64 s[4:5], s[4:5], exec
	s_or_saveexec_b64 s[6:7], s[6:7]
	v_mov_b32_e32 v3, s10
	s_xor_b64 exec, exec, s[6:7]
	s_cbranch_execz .LBB32_254
.LBB32_2304:
	v_mov_b32_e32 v3, 0
	v_cmp_ne_u16_sdwa s[8:9], v5, v3 src0_sel:BYTE_3 src1_sel:DWORD
	s_andn2_b64 s[4:5], s[4:5], exec
	s_and_b64 s[8:9], s[8:9], exec
	s_or_b64 s[4:5], s[4:5], s[8:9]
	s_or_b64 exec, exec, s[6:7]
	s_and_saveexec_b64 s[6:7], s[4:5]
	s_cbranch_execnz .LBB32_255
	s_branch .LBB32_256
.LBB32_2305:
	s_movk_i32 s4, 0x80
	v_cmp_eq_u16_sdwa s[12:13], v14, s4 src0_sel:BYTE_0 src1_sel:DWORD
	s_mov_b64 s[4:5], -1
                                        ; implicit-def: $sgpr10
	s_and_saveexec_b64 s[8:9], s[12:13]
; %bb.2306:
	s_mov_b32 s10, 0x7f800001
	s_xor_b64 s[4:5], exec, -1
; %bb.2307:
	s_or_b64 exec, exec, s[8:9]
	s_and_b64 s[4:5], s[4:5], exec
	s_or_saveexec_b64 s[6:7], s[6:7]
	v_mov_b32_e32 v20, s10
	s_xor_b64 exec, exec, s[6:7]
	s_cbranch_execz .LBB32_258
.LBB32_2308:
	v_mov_b32_e32 v20, 0
	v_cmp_ne_u16_sdwa s[8:9], v14, v20 src0_sel:BYTE_0 src1_sel:DWORD
	s_andn2_b64 s[4:5], s[4:5], exec
	s_and_b64 s[8:9], s[8:9], exec
	s_or_b64 s[4:5], s[4:5], s[8:9]
	s_or_b64 exec, exec, s[6:7]
	s_and_saveexec_b64 s[6:7], s[4:5]
	s_cbranch_execnz .LBB32_259
	s_branch .LBB32_260
.LBB32_2309:
	s_movk_i32 s4, 0x80
	v_cmp_eq_u16_sdwa s[12:13], v10, s4 src0_sel:BYTE_0 src1_sel:DWORD
	s_mov_b64 s[4:5], -1
                                        ; implicit-def: $sgpr10
	s_and_saveexec_b64 s[8:9], s[12:13]
; %bb.2310:
	s_mov_b32 s10, 0x7f800001
	s_xor_b64 s[4:5], exec, -1
; %bb.2311:
	s_or_b64 exec, exec, s[8:9]
	s_and_b64 s[4:5], s[4:5], exec
	s_or_saveexec_b64 s[6:7], s[6:7]
	v_mov_b32_e32 v21, s10
	s_xor_b64 exec, exec, s[6:7]
	s_cbranch_execz .LBB32_262
.LBB32_2312:
	v_mov_b32_e32 v21, 0
	v_cmp_ne_u16_sdwa s[8:9], v10, v21 src0_sel:BYTE_0 src1_sel:DWORD
	s_andn2_b64 s[4:5], s[4:5], exec
	s_and_b64 s[8:9], s[8:9], exec
	s_or_b64 s[4:5], s[4:5], s[8:9]
	s_or_b64 exec, exec, s[6:7]
	s_and_saveexec_b64 s[6:7], s[4:5]
	s_cbranch_execnz .LBB32_263
	s_branch .LBB32_264
.LBB32_2313:
	s_movk_i32 s4, 0x80
	v_cmp_eq_u16_sdwa s[12:13], v21, s4 src0_sel:BYTE_0 src1_sel:DWORD
	s_mov_b64 s[4:5], -1
                                        ; implicit-def: $sgpr10
	s_and_saveexec_b64 s[8:9], s[12:13]
; %bb.2314:
	s_mov_b32 s10, 0x7f800001
	s_xor_b64 s[4:5], exec, -1
; %bb.2315:
	s_or_b64 exec, exec, s[8:9]
	s_and_b64 s[4:5], s[4:5], exec
	s_or_saveexec_b64 s[6:7], s[6:7]
	v_mov_b32_e32 v20, s10
	s_xor_b64 exec, exec, s[6:7]
	s_cbranch_execz .LBB32_266
.LBB32_2316:
	v_mov_b32_e32 v20, 0
	v_cmp_ne_u16_sdwa s[8:9], v21, v20 src0_sel:BYTE_0 src1_sel:DWORD
	s_andn2_b64 s[4:5], s[4:5], exec
	s_and_b64 s[8:9], s[8:9], exec
	s_or_b64 s[4:5], s[4:5], s[8:9]
	s_or_b64 exec, exec, s[6:7]
	s_and_saveexec_b64 s[6:7], s[4:5]
	s_cbranch_execnz .LBB32_267
	s_branch .LBB32_268
.LBB32_2317:
	s_movk_i32 s4, 0x80
	v_cmp_eq_u16_sdwa s[12:13], v21, s4 src0_sel:BYTE_0 src1_sel:DWORD
	s_mov_b64 s[4:5], -1
                                        ; implicit-def: $sgpr10
	s_and_saveexec_b64 s[8:9], s[12:13]
; %bb.2318:
	s_mov_b32 s10, 0x7f800001
	s_xor_b64 s[4:5], exec, -1
; %bb.2319:
	s_or_b64 exec, exec, s[8:9]
	s_and_b64 s[4:5], s[4:5], exec
	s_or_saveexec_b64 s[6:7], s[6:7]
	v_mov_b32_e32 v22, s10
	s_xor_b64 exec, exec, s[6:7]
	s_cbranch_execz .LBB32_270
.LBB32_2320:
	v_mov_b32_e32 v22, 0
	v_cmp_ne_u16_sdwa s[8:9], v21, v22 src0_sel:BYTE_0 src1_sel:DWORD
	s_andn2_b64 s[4:5], s[4:5], exec
	s_and_b64 s[8:9], s[8:9], exec
	s_or_b64 s[4:5], s[4:5], s[8:9]
	s_or_b64 exec, exec, s[6:7]
	s_and_saveexec_b64 s[6:7], s[4:5]
	s_cbranch_execnz .LBB32_271
	s_branch .LBB32_272
.LBB32_2321:
	s_movk_i32 s4, 0x80
	v_cmp_eq_u16_e32 vcc, s4, v21
	s_mov_b64 s[4:5], -1
                                        ; implicit-def: $sgpr10
	s_and_saveexec_b64 s[8:9], vcc
; %bb.2322:
	s_mov_b32 s10, 0x7f800001
	s_xor_b64 s[4:5], exec, -1
; %bb.2323:
	s_or_b64 exec, exec, s[8:9]
	s_and_b64 s[4:5], s[4:5], exec
                                        ; implicit-def: $vgpr21
	s_or_saveexec_b64 s[6:7], s[6:7]
	v_mov_b32_e32 v20, s10
	s_xor_b64 exec, exec, s[6:7]
	s_cbranch_execz .LBB32_274
.LBB32_2324:
	v_cmp_ne_u16_e32 vcc, 0, v21
	s_andn2_b64 s[4:5], s[4:5], exec
	s_and_b64 s[8:9], vcc, exec
	v_mov_b32_e32 v20, 0
	s_or_b64 s[4:5], s[4:5], s[8:9]
	s_or_b64 exec, exec, s[6:7]
	s_and_saveexec_b64 s[6:7], s[4:5]
	s_cbranch_execnz .LBB32_275
	s_branch .LBB32_276
.LBB32_2325:
	s_movk_i32 s4, 0x80
	v_cmp_eq_u16_e32 vcc, s4, v21
	s_mov_b64 s[4:5], -1
                                        ; implicit-def: $sgpr10
	s_and_saveexec_b64 s[8:9], vcc
; %bb.2326:
	s_mov_b32 s10, 0x7f800001
	s_xor_b64 s[4:5], exec, -1
; %bb.2327:
	s_or_b64 exec, exec, s[8:9]
	s_and_b64 s[4:5], s[4:5], exec
                                        ; implicit-def: $vgpr21
	s_or_saveexec_b64 s[6:7], s[6:7]
	v_mov_b32_e32 v22, s10
	s_xor_b64 exec, exec, s[6:7]
	s_cbranch_execz .LBB32_278
.LBB32_2328:
	v_cmp_ne_u16_e32 vcc, 0, v21
	s_andn2_b64 s[4:5], s[4:5], exec
	s_and_b64 s[8:9], vcc, exec
	v_mov_b32_e32 v22, 0
	s_or_b64 s[4:5], s[4:5], s[8:9]
	s_or_b64 exec, exec, s[6:7]
	s_and_saveexec_b64 s[6:7], s[4:5]
	s_cbranch_execnz .LBB32_279
	s_branch .LBB32_280
.LBB32_2329:
	s_movk_i32 s4, 0x80
	v_cmp_eq_u16_sdwa s[12:13], v14, s4 src0_sel:BYTE_3 src1_sel:DWORD
	s_mov_b64 s[4:5], -1
                                        ; implicit-def: $sgpr10
	s_and_saveexec_b64 s[8:9], s[12:13]
; %bb.2330:
	s_mov_b32 s10, 0x7f800001
	s_xor_b64 s[4:5], exec, -1
; %bb.2331:
	s_or_b64 exec, exec, s[8:9]
	s_and_b64 s[4:5], s[4:5], exec
	s_or_saveexec_b64 s[6:7], s[6:7]
	v_mov_b32_e32 v20, s10
	s_xor_b64 exec, exec, s[6:7]
	s_cbranch_execz .LBB32_282
.LBB32_2332:
	v_mov_b32_e32 v20, 0
	v_cmp_ne_u16_sdwa s[8:9], v14, v20 src0_sel:BYTE_3 src1_sel:DWORD
	s_andn2_b64 s[4:5], s[4:5], exec
	s_and_b64 s[8:9], s[8:9], exec
	s_or_b64 s[4:5], s[4:5], s[8:9]
	s_or_b64 exec, exec, s[6:7]
	s_and_saveexec_b64 s[6:7], s[4:5]
	s_cbranch_execnz .LBB32_283
	s_branch .LBB32_284
.LBB32_2333:
	s_movk_i32 s4, 0x80
	v_cmp_eq_u16_sdwa s[12:13], v10, s4 src0_sel:BYTE_3 src1_sel:DWORD
	s_mov_b64 s[4:5], -1
                                        ; implicit-def: $sgpr10
	s_and_saveexec_b64 s[8:9], s[12:13]
; %bb.2334:
	s_mov_b32 s10, 0x7f800001
	s_xor_b64 s[4:5], exec, -1
; %bb.2335:
	s_or_b64 exec, exec, s[8:9]
	s_and_b64 s[4:5], s[4:5], exec
	s_or_saveexec_b64 s[6:7], s[6:7]
	v_mov_b32_e32 v14, s10
	s_xor_b64 exec, exec, s[6:7]
	s_cbranch_execz .LBB32_286
.LBB32_2336:
	v_mov_b32_e32 v14, 0
	v_cmp_ne_u16_sdwa s[8:9], v10, v14 src0_sel:BYTE_3 src1_sel:DWORD
	s_andn2_b64 s[4:5], s[4:5], exec
	s_and_b64 s[8:9], s[8:9], exec
	s_or_b64 s[4:5], s[4:5], s[8:9]
	s_or_b64 exec, exec, s[6:7]
	s_and_saveexec_b64 s[6:7], s[4:5]
	s_cbranch_execnz .LBB32_287
	s_branch .LBB32_288
.LBB32_2337:
	s_movk_i32 s4, 0x80
	v_cmp_eq_u16_sdwa s[12:13], v15, s4 src0_sel:BYTE_0 src1_sel:DWORD
	s_mov_b64 s[4:5], -1
                                        ; implicit-def: $sgpr10
	s_and_saveexec_b64 s[8:9], s[12:13]
; %bb.2338:
	s_mov_b32 s10, 0x7f800001
	s_xor_b64 s[4:5], exec, -1
; %bb.2339:
	s_or_b64 exec, exec, s[8:9]
	s_and_b64 s[4:5], s[4:5], exec
	s_or_saveexec_b64 s[6:7], s[6:7]
	v_mov_b32_e32 v10, s10
	s_xor_b64 exec, exec, s[6:7]
	s_cbranch_execz .LBB32_290
.LBB32_2340:
	v_mov_b32_e32 v10, 0
	v_cmp_ne_u16_sdwa s[8:9], v15, v10 src0_sel:BYTE_0 src1_sel:DWORD
	s_andn2_b64 s[4:5], s[4:5], exec
	s_and_b64 s[8:9], s[8:9], exec
	s_or_b64 s[4:5], s[4:5], s[8:9]
	s_or_b64 exec, exec, s[6:7]
	s_and_saveexec_b64 s[6:7], s[4:5]
	s_cbranch_execnz .LBB32_291
	s_branch .LBB32_292
.LBB32_2341:
	s_movk_i32 s4, 0x80
	v_cmp_eq_u16_sdwa s[12:13], v11, s4 src0_sel:BYTE_0 src1_sel:DWORD
	s_mov_b64 s[4:5], -1
                                        ; implicit-def: $sgpr10
	s_and_saveexec_b64 s[8:9], s[12:13]
; %bb.2342:
	s_mov_b32 s10, 0x7f800001
	s_xor_b64 s[4:5], exec, -1
; %bb.2343:
	s_or_b64 exec, exec, s[8:9]
	s_and_b64 s[4:5], s[4:5], exec
	s_or_saveexec_b64 s[6:7], s[6:7]
	v_mov_b32_e32 v14, s10
	s_xor_b64 exec, exec, s[6:7]
	s_cbranch_execz .LBB32_294
.LBB32_2344:
	v_mov_b32_e32 v14, 0
	v_cmp_ne_u16_sdwa s[8:9], v11, v14 src0_sel:BYTE_0 src1_sel:DWORD
	s_andn2_b64 s[4:5], s[4:5], exec
	s_and_b64 s[8:9], s[8:9], exec
	s_or_b64 s[4:5], s[4:5], s[8:9]
	s_or_b64 exec, exec, s[6:7]
	s_and_saveexec_b64 s[6:7], s[4:5]
	s_cbranch_execnz .LBB32_295
	s_branch .LBB32_296
.LBB32_2345:
	s_movk_i32 s4, 0x80
	v_cmp_eq_u16_sdwa s[12:13], v14, s4 src0_sel:BYTE_0 src1_sel:DWORD
	s_mov_b64 s[4:5], -1
                                        ; implicit-def: $sgpr10
	s_and_saveexec_b64 s[8:9], s[12:13]
; %bb.2346:
	s_mov_b32 s10, 0x7f800001
	s_xor_b64 s[4:5], exec, -1
; %bb.2347:
	s_or_b64 exec, exec, s[8:9]
	s_and_b64 s[4:5], s[4:5], exec
	s_or_saveexec_b64 s[6:7], s[6:7]
	v_mov_b32_e32 v10, s10
	s_xor_b64 exec, exec, s[6:7]
	s_cbranch_execz .LBB32_298
.LBB32_2348:
	v_mov_b32_e32 v10, 0
	v_cmp_ne_u16_sdwa s[8:9], v14, v10 src0_sel:BYTE_0 src1_sel:DWORD
	s_andn2_b64 s[4:5], s[4:5], exec
	s_and_b64 s[8:9], s[8:9], exec
	s_or_b64 s[4:5], s[4:5], s[8:9]
	s_or_b64 exec, exec, s[6:7]
	s_and_saveexec_b64 s[6:7], s[4:5]
	s_cbranch_execnz .LBB32_299
	s_branch .LBB32_300
.LBB32_2349:
	s_movk_i32 s4, 0x80
	v_cmp_eq_u16_sdwa s[12:13], v14, s4 src0_sel:BYTE_0 src1_sel:DWORD
	s_mov_b64 s[4:5], -1
                                        ; implicit-def: $sgpr10
	s_and_saveexec_b64 s[8:9], s[12:13]
; %bb.2350:
	s_mov_b32 s10, 0x7f800001
	s_xor_b64 s[4:5], exec, -1
; %bb.2351:
	s_or_b64 exec, exec, s[8:9]
	s_and_b64 s[4:5], s[4:5], exec
	s_or_saveexec_b64 s[6:7], s[6:7]
	v_mov_b32_e32 v20, s10
	s_xor_b64 exec, exec, s[6:7]
	s_cbranch_execz .LBB32_302
.LBB32_2352:
	v_mov_b32_e32 v20, 0
	v_cmp_ne_u16_sdwa s[8:9], v14, v20 src0_sel:BYTE_0 src1_sel:DWORD
	s_andn2_b64 s[4:5], s[4:5], exec
	s_and_b64 s[8:9], s[8:9], exec
	s_or_b64 s[4:5], s[4:5], s[8:9]
	s_or_b64 exec, exec, s[6:7]
	s_and_saveexec_b64 s[6:7], s[4:5]
	s_cbranch_execnz .LBB32_303
	s_branch .LBB32_304
.LBB32_2353:
	s_movk_i32 s4, 0x80
	v_cmp_eq_u16_e32 vcc, s4, v14
	s_mov_b64 s[4:5], -1
                                        ; implicit-def: $sgpr10
	s_and_saveexec_b64 s[8:9], vcc
; %bb.2354:
	s_mov_b32 s10, 0x7f800001
	s_xor_b64 s[4:5], exec, -1
; %bb.2355:
	s_or_b64 exec, exec, s[8:9]
	s_and_b64 s[4:5], s[4:5], exec
                                        ; implicit-def: $vgpr14
	s_or_saveexec_b64 s[6:7], s[6:7]
	v_mov_b32_e32 v10, s10
	s_xor_b64 exec, exec, s[6:7]
	s_cbranch_execz .LBB32_306
.LBB32_2356:
	v_cmp_ne_u16_e32 vcc, 0, v14
	s_andn2_b64 s[4:5], s[4:5], exec
	s_and_b64 s[8:9], vcc, exec
	v_mov_b32_e32 v10, 0
	s_or_b64 s[4:5], s[4:5], s[8:9]
	s_or_b64 exec, exec, s[6:7]
	s_and_saveexec_b64 s[6:7], s[4:5]
	s_cbranch_execnz .LBB32_307
	s_branch .LBB32_308
.LBB32_2357:
	s_movk_i32 s4, 0x80
	v_cmp_eq_u16_e32 vcc, s4, v14
	s_mov_b64 s[4:5], -1
                                        ; implicit-def: $sgpr10
	s_and_saveexec_b64 s[8:9], vcc
; %bb.2358:
	s_mov_b32 s10, 0x7f800001
	s_xor_b64 s[4:5], exec, -1
; %bb.2359:
	s_or_b64 exec, exec, s[8:9]
	s_and_b64 s[4:5], s[4:5], exec
                                        ; implicit-def: $vgpr14
	s_or_saveexec_b64 s[6:7], s[6:7]
	v_mov_b32_e32 v20, s10
	s_xor_b64 exec, exec, s[6:7]
	s_cbranch_execz .LBB32_310
.LBB32_2360:
	v_cmp_ne_u16_e32 vcc, 0, v14
	s_andn2_b64 s[4:5], s[4:5], exec
	s_and_b64 s[8:9], vcc, exec
	v_mov_b32_e32 v20, 0
	s_or_b64 s[4:5], s[4:5], s[8:9]
	s_or_b64 exec, exec, s[6:7]
	s_and_saveexec_b64 s[6:7], s[4:5]
	s_cbranch_execnz .LBB32_311
	s_branch .LBB32_312
.LBB32_2361:
	s_movk_i32 s4, 0x80
	v_cmp_eq_u16_sdwa s[12:13], v15, s4 src0_sel:BYTE_3 src1_sel:DWORD
	s_mov_b64 s[4:5], -1
                                        ; implicit-def: $sgpr10
	s_and_saveexec_b64 s[8:9], s[12:13]
; %bb.2362:
	s_mov_b32 s10, 0x7f800001
	s_xor_b64 s[4:5], exec, -1
; %bb.2363:
	s_or_b64 exec, exec, s[8:9]
	s_and_b64 s[4:5], s[4:5], exec
	s_or_saveexec_b64 s[6:7], s[6:7]
	v_mov_b32_e32 v10, s10
	s_xor_b64 exec, exec, s[6:7]
	s_cbranch_execz .LBB32_314
.LBB32_2364:
	v_mov_b32_e32 v10, 0
	v_cmp_ne_u16_sdwa s[8:9], v15, v10 src0_sel:BYTE_3 src1_sel:DWORD
	s_andn2_b64 s[4:5], s[4:5], exec
	s_and_b64 s[8:9], s[8:9], exec
	s_or_b64 s[4:5], s[4:5], s[8:9]
	s_or_b64 exec, exec, s[6:7]
	s_and_saveexec_b64 s[6:7], s[4:5]
	s_cbranch_execnz .LBB32_315
	s_branch .LBB32_316
.LBB32_2365:
	s_movk_i32 s4, 0x80
	v_cmp_eq_u16_sdwa s[12:13], v11, s4 src0_sel:BYTE_3 src1_sel:DWORD
	s_mov_b64 s[4:5], -1
                                        ; implicit-def: $sgpr10
	s_and_saveexec_b64 s[8:9], s[12:13]
; %bb.2366:
	s_mov_b32 s10, 0x7f800001
	s_xor_b64 s[4:5], exec, -1
; %bb.2367:
	s_or_b64 exec, exec, s[8:9]
	s_and_b64 s[4:5], s[4:5], exec
	s_or_saveexec_b64 s[6:7], s[6:7]
	v_mov_b32_e32 v14, s10
	s_xor_b64 exec, exec, s[6:7]
	s_cbranch_execz .LBB32_318
.LBB32_2368:
	v_mov_b32_e32 v14, 0
	v_cmp_ne_u16_sdwa s[8:9], v11, v14 src0_sel:BYTE_3 src1_sel:DWORD
	s_andn2_b64 s[4:5], s[4:5], exec
	s_and_b64 s[8:9], s[8:9], exec
	s_or_b64 s[4:5], s[4:5], s[8:9]
	s_or_b64 exec, exec, s[6:7]
	s_and_saveexec_b64 s[6:7], s[4:5]
	s_cbranch_execnz .LBB32_319
	s_branch .LBB32_320
.LBB32_2369:
	s_movk_i32 s4, 0x80
	v_cmp_eq_u16_sdwa s[12:13], v16, s4 src0_sel:BYTE_0 src1_sel:DWORD
	s_mov_b64 s[4:5], -1
                                        ; implicit-def: $sgpr10
	s_and_saveexec_b64 s[8:9], s[12:13]
; %bb.2370:
	s_mov_b32 s10, 0x7f800001
	s_xor_b64 s[4:5], exec, -1
; %bb.2371:
	s_or_b64 exec, exec, s[8:9]
	s_and_b64 s[4:5], s[4:5], exec
	s_or_saveexec_b64 s[6:7], s[6:7]
	v_mov_b32_e32 v10, s10
	s_xor_b64 exec, exec, s[6:7]
	s_cbranch_execz .LBB32_322
.LBB32_2372:
	v_mov_b32_e32 v10, 0
	v_cmp_ne_u16_sdwa s[8:9], v16, v10 src0_sel:BYTE_0 src1_sel:DWORD
	s_andn2_b64 s[4:5], s[4:5], exec
	s_and_b64 s[8:9], s[8:9], exec
	s_or_b64 s[4:5], s[4:5], s[8:9]
	s_or_b64 exec, exec, s[6:7]
	s_and_saveexec_b64 s[6:7], s[4:5]
	s_cbranch_execnz .LBB32_323
	s_branch .LBB32_324
.LBB32_2373:
	s_movk_i32 s4, 0x80
	v_cmp_eq_u16_sdwa s[12:13], v12, s4 src0_sel:BYTE_0 src1_sel:DWORD
	s_mov_b64 s[4:5], -1
                                        ; implicit-def: $sgpr10
	s_and_saveexec_b64 s[8:9], s[12:13]
; %bb.2374:
	s_mov_b32 s10, 0x7f800001
	s_xor_b64 s[4:5], exec, -1
; %bb.2375:
	s_or_b64 exec, exec, s[8:9]
	s_and_b64 s[4:5], s[4:5], exec
	s_or_saveexec_b64 s[6:7], s[6:7]
	v_mov_b32_e32 v11, s10
	s_xor_b64 exec, exec, s[6:7]
	s_cbranch_execz .LBB32_326
.LBB32_2376:
	v_mov_b32_e32 v11, 0
	v_cmp_ne_u16_sdwa s[8:9], v12, v11 src0_sel:BYTE_0 src1_sel:DWORD
	s_andn2_b64 s[4:5], s[4:5], exec
	s_and_b64 s[8:9], s[8:9], exec
	s_or_b64 s[4:5], s[4:5], s[8:9]
	s_or_b64 exec, exec, s[6:7]
	s_and_saveexec_b64 s[6:7], s[4:5]
	s_cbranch_execnz .LBB32_327
	s_branch .LBB32_328
.LBB32_2377:
	s_movk_i32 s4, 0x80
	v_cmp_eq_u16_sdwa s[12:13], v11, s4 src0_sel:BYTE_0 src1_sel:DWORD
	s_mov_b64 s[4:5], -1
                                        ; implicit-def: $sgpr10
	s_and_saveexec_b64 s[8:9], s[12:13]
; %bb.2378:
	s_mov_b32 s10, 0x7f800001
	s_xor_b64 s[4:5], exec, -1
; %bb.2379:
	s_or_b64 exec, exec, s[8:9]
	s_and_b64 s[4:5], s[4:5], exec
	s_or_saveexec_b64 s[6:7], s[6:7]
	v_mov_b32_e32 v10, s10
	s_xor_b64 exec, exec, s[6:7]
	s_cbranch_execz .LBB32_330
.LBB32_2380:
	v_mov_b32_e32 v10, 0
	v_cmp_ne_u16_sdwa s[8:9], v11, v10 src0_sel:BYTE_0 src1_sel:DWORD
	s_andn2_b64 s[4:5], s[4:5], exec
	s_and_b64 s[8:9], s[8:9], exec
	s_or_b64 s[4:5], s[4:5], s[8:9]
	s_or_b64 exec, exec, s[6:7]
	s_and_saveexec_b64 s[6:7], s[4:5]
	s_cbranch_execnz .LBB32_331
	s_branch .LBB32_332
.LBB32_2381:
	s_movk_i32 s4, 0x80
	v_cmp_eq_u16_sdwa s[12:13], v11, s4 src0_sel:BYTE_0 src1_sel:DWORD
	s_mov_b64 s[4:5], -1
                                        ; implicit-def: $sgpr10
	s_and_saveexec_b64 s[8:9], s[12:13]
; %bb.2382:
	s_mov_b32 s10, 0x7f800001
	s_xor_b64 s[4:5], exec, -1
; %bb.2383:
	s_or_b64 exec, exec, s[8:9]
	s_and_b64 s[4:5], s[4:5], exec
	s_or_saveexec_b64 s[6:7], s[6:7]
	v_mov_b32_e32 v14, s10
	s_xor_b64 exec, exec, s[6:7]
	s_cbranch_execz .LBB32_334
.LBB32_2384:
	v_mov_b32_e32 v14, 0
	v_cmp_ne_u16_sdwa s[8:9], v11, v14 src0_sel:BYTE_0 src1_sel:DWORD
	s_andn2_b64 s[4:5], s[4:5], exec
	s_and_b64 s[8:9], s[8:9], exec
	s_or_b64 s[4:5], s[4:5], s[8:9]
	s_or_b64 exec, exec, s[6:7]
	s_and_saveexec_b64 s[6:7], s[4:5]
	s_cbranch_execnz .LBB32_335
	s_branch .LBB32_336
.LBB32_2385:
	s_movk_i32 s4, 0x80
	v_cmp_eq_u16_e32 vcc, s4, v11
	s_mov_b64 s[4:5], -1
                                        ; implicit-def: $sgpr10
	s_and_saveexec_b64 s[8:9], vcc
; %bb.2386:
	s_mov_b32 s10, 0x7f800001
	s_xor_b64 s[4:5], exec, -1
; %bb.2387:
	s_or_b64 exec, exec, s[8:9]
	s_and_b64 s[4:5], s[4:5], exec
                                        ; implicit-def: $vgpr11
	s_or_saveexec_b64 s[6:7], s[6:7]
	v_mov_b32_e32 v10, s10
	s_xor_b64 exec, exec, s[6:7]
	s_cbranch_execz .LBB32_338
.LBB32_2388:
	v_cmp_ne_u16_e32 vcc, 0, v11
	s_andn2_b64 s[4:5], s[4:5], exec
	s_and_b64 s[8:9], vcc, exec
	v_mov_b32_e32 v10, 0
	s_or_b64 s[4:5], s[4:5], s[8:9]
	s_or_b64 exec, exec, s[6:7]
	s_and_saveexec_b64 s[6:7], s[4:5]
	s_cbranch_execnz .LBB32_339
	s_branch .LBB32_340
.LBB32_2389:
	s_movk_i32 s4, 0x80
	v_cmp_eq_u16_e32 vcc, s4, v11
	s_mov_b64 s[4:5], -1
                                        ; implicit-def: $sgpr10
	s_and_saveexec_b64 s[8:9], vcc
; %bb.2390:
	s_mov_b32 s10, 0x7f800001
	s_xor_b64 s[4:5], exec, -1
; %bb.2391:
	s_or_b64 exec, exec, s[8:9]
	s_and_b64 s[4:5], s[4:5], exec
                                        ; implicit-def: $vgpr11
	s_or_saveexec_b64 s[6:7], s[6:7]
	v_mov_b32_e32 v14, s10
	s_xor_b64 exec, exec, s[6:7]
	s_cbranch_execz .LBB32_342
.LBB32_2392:
	v_cmp_ne_u16_e32 vcc, 0, v11
	s_andn2_b64 s[4:5], s[4:5], exec
	s_and_b64 s[8:9], vcc, exec
	v_mov_b32_e32 v14, 0
	s_or_b64 s[4:5], s[4:5], s[8:9]
	s_or_b64 exec, exec, s[6:7]
	s_and_saveexec_b64 s[6:7], s[4:5]
	s_cbranch_execnz .LBB32_343
	s_branch .LBB32_344
.LBB32_2393:
	s_movk_i32 s4, 0x80
	v_cmp_eq_u16_sdwa s[12:13], v16, s4 src0_sel:BYTE_3 src1_sel:DWORD
	s_mov_b64 s[4:5], -1
                                        ; implicit-def: $sgpr10
	s_and_saveexec_b64 s[8:9], s[12:13]
; %bb.2394:
	s_mov_b32 s10, 0x7f800001
	s_xor_b64 s[4:5], exec, -1
; %bb.2395:
	s_or_b64 exec, exec, s[8:9]
	s_and_b64 s[4:5], s[4:5], exec
	s_or_saveexec_b64 s[6:7], s[6:7]
	v_mov_b32_e32 v10, s10
	s_xor_b64 exec, exec, s[6:7]
	s_cbranch_execz .LBB32_346
.LBB32_2396:
	v_mov_b32_e32 v10, 0
	v_cmp_ne_u16_sdwa s[8:9], v16, v10 src0_sel:BYTE_3 src1_sel:DWORD
	s_andn2_b64 s[4:5], s[4:5], exec
	s_and_b64 s[8:9], s[8:9], exec
	s_or_b64 s[4:5], s[4:5], s[8:9]
	s_or_b64 exec, exec, s[6:7]
	s_and_saveexec_b64 s[6:7], s[4:5]
	s_cbranch_execnz .LBB32_347
	s_branch .LBB32_348
.LBB32_2397:
	s_movk_i32 s4, 0x80
	v_cmp_eq_u16_sdwa s[12:13], v12, s4 src0_sel:BYTE_3 src1_sel:DWORD
	s_mov_b64 s[4:5], -1
                                        ; implicit-def: $sgpr10
	s_and_saveexec_b64 s[8:9], s[12:13]
; %bb.2398:
	s_mov_b32 s10, 0x7f800001
	s_xor_b64 s[4:5], exec, -1
; %bb.2399:
	s_or_b64 exec, exec, s[8:9]
	s_and_b64 s[4:5], s[4:5], exec
	s_or_saveexec_b64 s[6:7], s[6:7]
	v_mov_b32_e32 v11, s10
	s_xor_b64 exec, exec, s[6:7]
	s_cbranch_execz .LBB32_350
.LBB32_2400:
	v_mov_b32_e32 v11, 0
	v_cmp_ne_u16_sdwa s[8:9], v12, v11 src0_sel:BYTE_3 src1_sel:DWORD
	s_andn2_b64 s[4:5], s[4:5], exec
	s_and_b64 s[8:9], s[8:9], exec
	s_or_b64 s[4:5], s[4:5], s[8:9]
	s_or_b64 exec, exec, s[6:7]
	s_and_saveexec_b64 s[6:7], s[4:5]
	s_cbranch_execnz .LBB32_351
	s_branch .LBB32_352
.LBB32_2401:
	s_movk_i32 s4, 0x80
	v_cmp_eq_u16_sdwa s[12:13], v17, s4 src0_sel:BYTE_0 src1_sel:DWORD
	s_mov_b64 s[4:5], -1
                                        ; implicit-def: $sgpr10
	s_and_saveexec_b64 s[8:9], s[12:13]
; %bb.2402:
	s_mov_b32 s10, 0x7f800001
	s_xor_b64 s[4:5], exec, -1
; %bb.2403:
	s_or_b64 exec, exec, s[8:9]
	s_and_b64 s[4:5], s[4:5], exec
	s_or_saveexec_b64 s[6:7], s[6:7]
	v_mov_b32_e32 v10, s10
	s_xor_b64 exec, exec, s[6:7]
	s_cbranch_execz .LBB32_354
.LBB32_2404:
	v_mov_b32_e32 v10, 0
	v_cmp_ne_u16_sdwa s[8:9], v17, v10 src0_sel:BYTE_0 src1_sel:DWORD
	s_andn2_b64 s[4:5], s[4:5], exec
	s_and_b64 s[8:9], s[8:9], exec
	s_or_b64 s[4:5], s[4:5], s[8:9]
	s_or_b64 exec, exec, s[6:7]
	s_and_saveexec_b64 s[6:7], s[4:5]
	s_cbranch_execnz .LBB32_355
	s_branch .LBB32_356
.LBB32_2405:
	s_movk_i32 s4, 0x80
	v_cmp_eq_u16_sdwa s[12:13], v13, s4 src0_sel:BYTE_0 src1_sel:DWORD
	s_mov_b64 s[4:5], -1
                                        ; implicit-def: $sgpr10
	s_and_saveexec_b64 s[8:9], s[12:13]
; %bb.2406:
	s_mov_b32 s10, 0x7f800001
	s_xor_b64 s[4:5], exec, -1
; %bb.2407:
	s_or_b64 exec, exec, s[8:9]
	s_and_b64 s[4:5], s[4:5], exec
	s_or_saveexec_b64 s[6:7], s[6:7]
	v_mov_b32_e32 v11, s10
	s_xor_b64 exec, exec, s[6:7]
	s_cbranch_execz .LBB32_358
.LBB32_2408:
	v_mov_b32_e32 v11, 0
	v_cmp_ne_u16_sdwa s[8:9], v13, v11 src0_sel:BYTE_0 src1_sel:DWORD
	s_andn2_b64 s[4:5], s[4:5], exec
	s_and_b64 s[8:9], s[8:9], exec
	s_or_b64 s[4:5], s[4:5], s[8:9]
	s_or_b64 exec, exec, s[6:7]
	s_and_saveexec_b64 s[6:7], s[4:5]
	s_cbranch_execnz .LBB32_359
	s_branch .LBB32_360
.LBB32_2409:
	s_movk_i32 s4, 0x80
	v_cmp_eq_u16_sdwa s[12:13], v11, s4 src0_sel:BYTE_0 src1_sel:DWORD
	s_mov_b64 s[4:5], -1
                                        ; implicit-def: $sgpr10
	s_and_saveexec_b64 s[8:9], s[12:13]
; %bb.2410:
	s_mov_b32 s10, 0x7f800001
	s_xor_b64 s[4:5], exec, -1
; %bb.2411:
	s_or_b64 exec, exec, s[8:9]
	s_and_b64 s[4:5], s[4:5], exec
	s_or_saveexec_b64 s[6:7], s[6:7]
	v_mov_b32_e32 v10, s10
	s_xor_b64 exec, exec, s[6:7]
	s_cbranch_execz .LBB32_362
.LBB32_2412:
	v_mov_b32_e32 v10, 0
	v_cmp_ne_u16_sdwa s[8:9], v11, v10 src0_sel:BYTE_0 src1_sel:DWORD
	s_andn2_b64 s[4:5], s[4:5], exec
	s_and_b64 s[8:9], s[8:9], exec
	s_or_b64 s[4:5], s[4:5], s[8:9]
	s_or_b64 exec, exec, s[6:7]
	s_and_saveexec_b64 s[6:7], s[4:5]
	s_cbranch_execnz .LBB32_363
	s_branch .LBB32_364
.LBB32_2413:
	s_movk_i32 s4, 0x80
	v_cmp_eq_u16_sdwa s[12:13], v11, s4 src0_sel:BYTE_0 src1_sel:DWORD
	s_mov_b64 s[4:5], -1
                                        ; implicit-def: $sgpr10
	s_and_saveexec_b64 s[8:9], s[12:13]
; %bb.2414:
	s_mov_b32 s10, 0x7f800001
	s_xor_b64 s[4:5], exec, -1
; %bb.2415:
	s_or_b64 exec, exec, s[8:9]
	s_and_b64 s[4:5], s[4:5], exec
	s_or_saveexec_b64 s[6:7], s[6:7]
	v_mov_b32_e32 v12, s10
	s_xor_b64 exec, exec, s[6:7]
	s_cbranch_execz .LBB32_366
.LBB32_2416:
	v_mov_b32_e32 v12, 0
	v_cmp_ne_u16_sdwa s[8:9], v11, v12 src0_sel:BYTE_0 src1_sel:DWORD
	s_andn2_b64 s[4:5], s[4:5], exec
	s_and_b64 s[8:9], s[8:9], exec
	s_or_b64 s[4:5], s[4:5], s[8:9]
	s_or_b64 exec, exec, s[6:7]
	s_and_saveexec_b64 s[6:7], s[4:5]
	s_cbranch_execnz .LBB32_367
	s_branch .LBB32_368
.LBB32_2417:
	s_movk_i32 s4, 0x80
	v_cmp_eq_u16_e32 vcc, s4, v11
	s_mov_b64 s[4:5], -1
                                        ; implicit-def: $sgpr10
	s_and_saveexec_b64 s[8:9], vcc
; %bb.2418:
	s_mov_b32 s10, 0x7f800001
	s_xor_b64 s[4:5], exec, -1
; %bb.2419:
	s_or_b64 exec, exec, s[8:9]
	s_and_b64 s[4:5], s[4:5], exec
                                        ; implicit-def: $vgpr11
	s_or_saveexec_b64 s[6:7], s[6:7]
	v_mov_b32_e32 v10, s10
	s_xor_b64 exec, exec, s[6:7]
	s_cbranch_execz .LBB32_370
.LBB32_2420:
	v_cmp_ne_u16_e32 vcc, 0, v11
	s_andn2_b64 s[4:5], s[4:5], exec
	s_and_b64 s[8:9], vcc, exec
	v_mov_b32_e32 v10, 0
	s_or_b64 s[4:5], s[4:5], s[8:9]
	s_or_b64 exec, exec, s[6:7]
	s_and_saveexec_b64 s[6:7], s[4:5]
	s_cbranch_execnz .LBB32_371
	s_branch .LBB32_372
.LBB32_2421:
	s_movk_i32 s4, 0x80
	v_cmp_eq_u16_e32 vcc, s4, v11
	s_mov_b64 s[4:5], -1
                                        ; implicit-def: $sgpr10
	s_and_saveexec_b64 s[8:9], vcc
; %bb.2422:
	s_mov_b32 s10, 0x7f800001
	s_xor_b64 s[4:5], exec, -1
; %bb.2423:
	s_or_b64 exec, exec, s[8:9]
	s_and_b64 s[4:5], s[4:5], exec
                                        ; implicit-def: $vgpr11
	s_or_saveexec_b64 s[6:7], s[6:7]
	v_mov_b32_e32 v12, s10
	s_xor_b64 exec, exec, s[6:7]
	s_cbranch_execz .LBB32_374
.LBB32_2424:
	v_cmp_ne_u16_e32 vcc, 0, v11
	s_andn2_b64 s[4:5], s[4:5], exec
	s_and_b64 s[8:9], vcc, exec
	v_mov_b32_e32 v12, 0
	s_or_b64 s[4:5], s[4:5], s[8:9]
	s_or_b64 exec, exec, s[6:7]
	s_and_saveexec_b64 s[6:7], s[4:5]
	s_cbranch_execnz .LBB32_375
	s_branch .LBB32_376
.LBB32_2425:
	s_movk_i32 s4, 0x80
	v_cmp_eq_u16_sdwa s[12:13], v17, s4 src0_sel:BYTE_3 src1_sel:DWORD
	s_mov_b64 s[4:5], -1
                                        ; implicit-def: $sgpr10
	s_and_saveexec_b64 s[8:9], s[12:13]
; %bb.2426:
	s_mov_b32 s10, 0x7f800001
	s_xor_b64 s[4:5], exec, -1
; %bb.2427:
	s_or_b64 exec, exec, s[8:9]
	s_and_b64 s[4:5], s[4:5], exec
	s_or_saveexec_b64 s[6:7], s[6:7]
	v_mov_b32_e32 v10, s10
	s_xor_b64 exec, exec, s[6:7]
	s_cbranch_execz .LBB32_378
.LBB32_2428:
	v_mov_b32_e32 v10, 0
	v_cmp_ne_u16_sdwa s[8:9], v17, v10 src0_sel:BYTE_3 src1_sel:DWORD
	s_andn2_b64 s[4:5], s[4:5], exec
	s_and_b64 s[8:9], s[8:9], exec
	s_or_b64 s[4:5], s[4:5], s[8:9]
	s_or_b64 exec, exec, s[6:7]
	s_and_saveexec_b64 s[6:7], s[4:5]
	s_cbranch_execnz .LBB32_379
	s_branch .LBB32_380
.LBB32_2429:
	s_movk_i32 s4, 0x80
	v_cmp_eq_u16_sdwa s[12:13], v13, s4 src0_sel:BYTE_3 src1_sel:DWORD
	s_mov_b64 s[4:5], -1
                                        ; implicit-def: $sgpr10
	s_and_saveexec_b64 s[8:9], s[12:13]
; %bb.2430:
	s_mov_b32 s10, 0x7f800001
	s_xor_b64 s[4:5], exec, -1
; %bb.2431:
	s_or_b64 exec, exec, s[8:9]
	s_and_b64 s[4:5], s[4:5], exec
	s_or_saveexec_b64 s[6:7], s[6:7]
	v_mov_b32_e32 v11, s10
	s_xor_b64 exec, exec, s[6:7]
	s_cbranch_execz .LBB32_382
.LBB32_2432:
	v_mov_b32_e32 v11, 0
	v_cmp_ne_u16_sdwa s[8:9], v13, v11 src0_sel:BYTE_3 src1_sel:DWORD
	s_andn2_b64 s[4:5], s[4:5], exec
	s_and_b64 s[8:9], s[8:9], exec
	s_or_b64 s[4:5], s[4:5], s[8:9]
	s_or_b64 exec, exec, s[6:7]
	s_and_saveexec_b64 s[6:7], s[4:5]
	s_cbranch_execnz .LBB32_383
	s_branch .LBB32_384
.LBB32_2433:
	s_movk_i32 s4, 0x80
	v_cmp_eq_u16_sdwa s[12:13], v6, s4 src0_sel:BYTE_0 src1_sel:DWORD
	s_mov_b64 s[4:5], -1
                                        ; implicit-def: $sgpr10
	s_and_saveexec_b64 s[8:9], s[12:13]
; %bb.2434:
	s_mov_b32 s10, 0x7f800001
	s_xor_b64 s[4:5], exec, -1
; %bb.2435:
	s_or_b64 exec, exec, s[8:9]
	s_and_b64 s[4:5], s[4:5], exec
	s_or_saveexec_b64 s[6:7], s[6:7]
	v_mov_b32_e32 v10, s10
	s_xor_b64 exec, exec, s[6:7]
	s_cbranch_execz .LBB32_386
.LBB32_2436:
	v_mov_b32_e32 v10, 0
	v_cmp_ne_u16_sdwa s[8:9], v6, v10 src0_sel:BYTE_0 src1_sel:DWORD
	s_andn2_b64 s[4:5], s[4:5], exec
	s_and_b64 s[8:9], s[8:9], exec
	s_or_b64 s[4:5], s[4:5], s[8:9]
	s_or_b64 exec, exec, s[6:7]
	s_and_saveexec_b64 s[6:7], s[4:5]
	s_cbranch_execnz .LBB32_387
	s_branch .LBB32_388
.LBB32_2437:
	s_movk_i32 s4, 0x80
	v_cmp_eq_u16_sdwa s[12:13], v2, s4 src0_sel:BYTE_0 src1_sel:DWORD
	s_mov_b64 s[4:5], -1
                                        ; implicit-def: $sgpr10
	s_and_saveexec_b64 s[8:9], s[12:13]
; %bb.2438:
	s_mov_b32 s10, 0x7f800001
	s_xor_b64 s[4:5], exec, -1
; %bb.2439:
	s_or_b64 exec, exec, s[8:9]
	s_and_b64 s[4:5], s[4:5], exec
	s_or_saveexec_b64 s[6:7], s[6:7]
	v_mov_b32_e32 v11, s10
	s_xor_b64 exec, exec, s[6:7]
	s_cbranch_execz .LBB32_390
.LBB32_2440:
	v_mov_b32_e32 v11, 0
	v_cmp_ne_u16_sdwa s[8:9], v2, v11 src0_sel:BYTE_0 src1_sel:DWORD
	s_andn2_b64 s[4:5], s[4:5], exec
	s_and_b64 s[8:9], s[8:9], exec
	s_or_b64 s[4:5], s[4:5], s[8:9]
	s_or_b64 exec, exec, s[6:7]
	s_and_saveexec_b64 s[6:7], s[4:5]
	s_cbranch_execnz .LBB32_391
	s_branch .LBB32_392
.LBB32_2441:
	s_movk_i32 s4, 0x80
	v_cmp_eq_u16_sdwa s[12:13], v11, s4 src0_sel:BYTE_0 src1_sel:DWORD
	s_mov_b64 s[4:5], -1
                                        ; implicit-def: $sgpr10
	s_and_saveexec_b64 s[8:9], s[12:13]
; %bb.2442:
	s_mov_b32 s10, 0x7f800001
	s_xor_b64 s[4:5], exec, -1
; %bb.2443:
	s_or_b64 exec, exec, s[8:9]
	s_and_b64 s[4:5], s[4:5], exec
	s_or_saveexec_b64 s[6:7], s[6:7]
	v_mov_b32_e32 v10, s10
	s_xor_b64 exec, exec, s[6:7]
	s_cbranch_execz .LBB32_394
.LBB32_2444:
	v_mov_b32_e32 v10, 0
	v_cmp_ne_u16_sdwa s[8:9], v11, v10 src0_sel:BYTE_0 src1_sel:DWORD
	s_andn2_b64 s[4:5], s[4:5], exec
	s_and_b64 s[8:9], s[8:9], exec
	s_or_b64 s[4:5], s[4:5], s[8:9]
	s_or_b64 exec, exec, s[6:7]
	s_and_saveexec_b64 s[6:7], s[4:5]
	s_cbranch_execnz .LBB32_395
	s_branch .LBB32_396
.LBB32_2445:
	s_movk_i32 s4, 0x80
	v_cmp_eq_u16_sdwa s[12:13], v11, s4 src0_sel:BYTE_0 src1_sel:DWORD
	s_mov_b64 s[4:5], -1
                                        ; implicit-def: $sgpr10
	s_and_saveexec_b64 s[8:9], s[12:13]
; %bb.2446:
	s_mov_b32 s10, 0x7f800001
	s_xor_b64 s[4:5], exec, -1
; %bb.2447:
	s_or_b64 exec, exec, s[8:9]
	s_and_b64 s[4:5], s[4:5], exec
	s_or_saveexec_b64 s[6:7], s[6:7]
	v_mov_b32_e32 v12, s10
	s_xor_b64 exec, exec, s[6:7]
	s_cbranch_execz .LBB32_398
.LBB32_2448:
	v_mov_b32_e32 v12, 0
	v_cmp_ne_u16_sdwa s[8:9], v11, v12 src0_sel:BYTE_0 src1_sel:DWORD
	s_andn2_b64 s[4:5], s[4:5], exec
	s_and_b64 s[8:9], s[8:9], exec
	s_or_b64 s[4:5], s[4:5], s[8:9]
	s_or_b64 exec, exec, s[6:7]
	s_and_saveexec_b64 s[6:7], s[4:5]
	s_cbranch_execnz .LBB32_399
	s_branch .LBB32_400
.LBB32_2449:
	s_movk_i32 s4, 0x80
	v_cmp_eq_u16_e32 vcc, s4, v11
	s_mov_b64 s[4:5], -1
                                        ; implicit-def: $sgpr10
	s_and_saveexec_b64 s[8:9], vcc
; %bb.2450:
	s_mov_b32 s10, 0x7f800001
	s_xor_b64 s[4:5], exec, -1
; %bb.2451:
	s_or_b64 exec, exec, s[8:9]
	s_and_b64 s[4:5], s[4:5], exec
                                        ; implicit-def: $vgpr11
	s_or_saveexec_b64 s[6:7], s[6:7]
	v_mov_b32_e32 v10, s10
	s_xor_b64 exec, exec, s[6:7]
	s_cbranch_execz .LBB32_402
.LBB32_2452:
	v_cmp_ne_u16_e32 vcc, 0, v11
	s_andn2_b64 s[4:5], s[4:5], exec
	s_and_b64 s[8:9], vcc, exec
	v_mov_b32_e32 v10, 0
	s_or_b64 s[4:5], s[4:5], s[8:9]
	s_or_b64 exec, exec, s[6:7]
	s_and_saveexec_b64 s[6:7], s[4:5]
	s_cbranch_execnz .LBB32_403
	s_branch .LBB32_404
.LBB32_2453:
	s_movk_i32 s4, 0x80
	v_cmp_eq_u16_e32 vcc, s4, v11
	s_mov_b64 s[4:5], -1
                                        ; implicit-def: $sgpr10
	s_and_saveexec_b64 s[8:9], vcc
; %bb.2454:
	s_mov_b32 s10, 0x7f800001
	s_xor_b64 s[4:5], exec, -1
; %bb.2455:
	s_or_b64 exec, exec, s[8:9]
	s_and_b64 s[4:5], s[4:5], exec
                                        ; implicit-def: $vgpr11
	s_or_saveexec_b64 s[6:7], s[6:7]
	v_mov_b32_e32 v12, s10
	s_xor_b64 exec, exec, s[6:7]
	s_cbranch_execz .LBB32_406
.LBB32_2456:
	v_cmp_ne_u16_e32 vcc, 0, v11
	s_andn2_b64 s[4:5], s[4:5], exec
	s_and_b64 s[8:9], vcc, exec
	v_mov_b32_e32 v12, 0
	s_or_b64 s[4:5], s[4:5], s[8:9]
	s_or_b64 exec, exec, s[6:7]
	s_and_saveexec_b64 s[6:7], s[4:5]
	s_cbranch_execnz .LBB32_407
	s_branch .LBB32_408
.LBB32_2457:
	s_movk_i32 s4, 0x80
	v_cmp_eq_u16_sdwa s[12:13], v6, s4 src0_sel:BYTE_3 src1_sel:DWORD
	s_mov_b64 s[4:5], -1
                                        ; implicit-def: $sgpr10
	s_and_saveexec_b64 s[8:9], s[12:13]
; %bb.2458:
	s_mov_b32 s10, 0x7f800001
	s_xor_b64 s[4:5], exec, -1
; %bb.2459:
	s_or_b64 exec, exec, s[8:9]
	s_and_b64 s[4:5], s[4:5], exec
	s_or_saveexec_b64 s[6:7], s[6:7]
	v_mov_b32_e32 v10, s10
	s_xor_b64 exec, exec, s[6:7]
	s_cbranch_execz .LBB32_410
.LBB32_2460:
	v_mov_b32_e32 v10, 0
	v_cmp_ne_u16_sdwa s[8:9], v6, v10 src0_sel:BYTE_3 src1_sel:DWORD
	s_andn2_b64 s[4:5], s[4:5], exec
	s_and_b64 s[8:9], s[8:9], exec
	s_or_b64 s[4:5], s[4:5], s[8:9]
	s_or_b64 exec, exec, s[6:7]
	s_and_saveexec_b64 s[6:7], s[4:5]
	s_cbranch_execnz .LBB32_411
	s_branch .LBB32_412
.LBB32_2461:
	s_movk_i32 s4, 0x80
	v_cmp_eq_u16_sdwa s[12:13], v2, s4 src0_sel:BYTE_3 src1_sel:DWORD
	s_mov_b64 s[4:5], -1
                                        ; implicit-def: $sgpr10
	s_and_saveexec_b64 s[8:9], s[12:13]
; %bb.2462:
	s_mov_b32 s10, 0x7f800001
	s_xor_b64 s[4:5], exec, -1
; %bb.2463:
	s_or_b64 exec, exec, s[8:9]
	s_and_b64 s[4:5], s[4:5], exec
	s_or_saveexec_b64 s[6:7], s[6:7]
	v_mov_b32_e32 v6, s10
	s_xor_b64 exec, exec, s[6:7]
	s_cbranch_execz .LBB32_414
.LBB32_2464:
	v_mov_b32_e32 v6, 0
	v_cmp_ne_u16_sdwa s[8:9], v2, v6 src0_sel:BYTE_3 src1_sel:DWORD
	s_andn2_b64 s[4:5], s[4:5], exec
	s_and_b64 s[8:9], s[8:9], exec
	s_or_b64 s[4:5], s[4:5], s[8:9]
	s_or_b64 exec, exec, s[6:7]
	s_and_saveexec_b64 s[6:7], s[4:5]
	s_cbranch_execnz .LBB32_415
	s_branch .LBB32_416
.LBB32_2465:
	s_movk_i32 s4, 0x80
	v_cmp_eq_u16_sdwa s[12:13], v7, s4 src0_sel:BYTE_0 src1_sel:DWORD
	s_mov_b64 s[4:5], -1
                                        ; implicit-def: $sgpr10
	s_and_saveexec_b64 s[8:9], s[12:13]
; %bb.2466:
	s_mov_b32 s10, 0x7f800001
	s_xor_b64 s[4:5], exec, -1
; %bb.2467:
	s_or_b64 exec, exec, s[8:9]
	s_and_b64 s[4:5], s[4:5], exec
	s_or_saveexec_b64 s[6:7], s[6:7]
	v_mov_b32_e32 v2, s10
	s_xor_b64 exec, exec, s[6:7]
	s_cbranch_execz .LBB32_418
.LBB32_2468:
	v_mov_b32_e32 v2, 0
	v_cmp_ne_u16_sdwa s[8:9], v7, v2 src0_sel:BYTE_0 src1_sel:DWORD
	s_andn2_b64 s[4:5], s[4:5], exec
	s_and_b64 s[8:9], s[8:9], exec
	s_or_b64 s[4:5], s[4:5], s[8:9]
	s_or_b64 exec, exec, s[6:7]
	s_and_saveexec_b64 s[6:7], s[4:5]
	s_cbranch_execnz .LBB32_419
	s_branch .LBB32_420
.LBB32_2469:
	s_movk_i32 s4, 0x80
	v_cmp_eq_u16_sdwa s[12:13], v3, s4 src0_sel:BYTE_0 src1_sel:DWORD
	s_mov_b64 s[4:5], -1
                                        ; implicit-def: $sgpr10
	s_and_saveexec_b64 s[8:9], s[12:13]
; %bb.2470:
	s_mov_b32 s10, 0x7f800001
	s_xor_b64 s[4:5], exec, -1
; %bb.2471:
	s_or_b64 exec, exec, s[8:9]
	s_and_b64 s[4:5], s[4:5], exec
	s_or_saveexec_b64 s[6:7], s[6:7]
	v_mov_b32_e32 v6, s10
	s_xor_b64 exec, exec, s[6:7]
	s_cbranch_execz .LBB32_422
.LBB32_2472:
	v_mov_b32_e32 v6, 0
	v_cmp_ne_u16_sdwa s[8:9], v3, v6 src0_sel:BYTE_0 src1_sel:DWORD
	s_andn2_b64 s[4:5], s[4:5], exec
	s_and_b64 s[8:9], s[8:9], exec
	s_or_b64 s[4:5], s[4:5], s[8:9]
	s_or_b64 exec, exec, s[6:7]
	s_and_saveexec_b64 s[6:7], s[4:5]
	s_cbranch_execnz .LBB32_423
	s_branch .LBB32_424
.LBB32_2473:
	s_movk_i32 s4, 0x80
	v_cmp_eq_u16_sdwa s[12:13], v6, s4 src0_sel:BYTE_0 src1_sel:DWORD
	s_mov_b64 s[4:5], -1
                                        ; implicit-def: $sgpr10
	s_and_saveexec_b64 s[8:9], s[12:13]
; %bb.2474:
	s_mov_b32 s10, 0x7f800001
	s_xor_b64 s[4:5], exec, -1
; %bb.2475:
	s_or_b64 exec, exec, s[8:9]
	s_and_b64 s[4:5], s[4:5], exec
	s_or_saveexec_b64 s[6:7], s[6:7]
	v_mov_b32_e32 v2, s10
	s_xor_b64 exec, exec, s[6:7]
	s_cbranch_execz .LBB32_426
.LBB32_2476:
	v_mov_b32_e32 v2, 0
	v_cmp_ne_u16_sdwa s[8:9], v6, v2 src0_sel:BYTE_0 src1_sel:DWORD
	s_andn2_b64 s[4:5], s[4:5], exec
	s_and_b64 s[8:9], s[8:9], exec
	s_or_b64 s[4:5], s[4:5], s[8:9]
	s_or_b64 exec, exec, s[6:7]
	s_and_saveexec_b64 s[6:7], s[4:5]
	s_cbranch_execnz .LBB32_427
	s_branch .LBB32_428
.LBB32_2477:
	s_movk_i32 s4, 0x80
	v_cmp_eq_u16_sdwa s[12:13], v6, s4 src0_sel:BYTE_0 src1_sel:DWORD
	s_mov_b64 s[4:5], -1
                                        ; implicit-def: $sgpr10
	s_and_saveexec_b64 s[8:9], s[12:13]
; %bb.2478:
	s_mov_b32 s10, 0x7f800001
	s_xor_b64 s[4:5], exec, -1
; %bb.2479:
	s_or_b64 exec, exec, s[8:9]
	s_and_b64 s[4:5], s[4:5], exec
	s_or_saveexec_b64 s[6:7], s[6:7]
	v_mov_b32_e32 v10, s10
	s_xor_b64 exec, exec, s[6:7]
	s_cbranch_execz .LBB32_430
.LBB32_2480:
	v_mov_b32_e32 v10, 0
	v_cmp_ne_u16_sdwa s[8:9], v6, v10 src0_sel:BYTE_0 src1_sel:DWORD
	s_andn2_b64 s[4:5], s[4:5], exec
	s_and_b64 s[8:9], s[8:9], exec
	s_or_b64 s[4:5], s[4:5], s[8:9]
	s_or_b64 exec, exec, s[6:7]
	s_and_saveexec_b64 s[6:7], s[4:5]
	s_cbranch_execnz .LBB32_431
	s_branch .LBB32_432
.LBB32_2481:
	s_movk_i32 s4, 0x80
	v_cmp_eq_u16_e32 vcc, s4, v6
	s_mov_b64 s[4:5], -1
                                        ; implicit-def: $sgpr10
	s_and_saveexec_b64 s[8:9], vcc
; %bb.2482:
	s_mov_b32 s10, 0x7f800001
	s_xor_b64 s[4:5], exec, -1
; %bb.2483:
	s_or_b64 exec, exec, s[8:9]
	s_and_b64 s[4:5], s[4:5], exec
                                        ; implicit-def: $vgpr6
	s_or_saveexec_b64 s[6:7], s[6:7]
	v_mov_b32_e32 v2, s10
	s_xor_b64 exec, exec, s[6:7]
	s_cbranch_execz .LBB32_434
.LBB32_2484:
	v_cmp_ne_u16_e32 vcc, 0, v6
	s_andn2_b64 s[4:5], s[4:5], exec
	s_and_b64 s[8:9], vcc, exec
	v_mov_b32_e32 v2, 0
	s_or_b64 s[4:5], s[4:5], s[8:9]
	s_or_b64 exec, exec, s[6:7]
	s_and_saveexec_b64 s[6:7], s[4:5]
	s_cbranch_execnz .LBB32_435
	s_branch .LBB32_436
.LBB32_2485:
	s_movk_i32 s4, 0x80
	v_cmp_eq_u16_e32 vcc, s4, v6
	s_mov_b64 s[4:5], -1
                                        ; implicit-def: $sgpr10
	s_and_saveexec_b64 s[8:9], vcc
; %bb.2486:
	s_mov_b32 s10, 0x7f800001
	s_xor_b64 s[4:5], exec, -1
; %bb.2487:
	s_or_b64 exec, exec, s[8:9]
	s_and_b64 s[4:5], s[4:5], exec
                                        ; implicit-def: $vgpr6
	s_or_saveexec_b64 s[6:7], s[6:7]
	v_mov_b32_e32 v10, s10
	s_xor_b64 exec, exec, s[6:7]
	s_cbranch_execz .LBB32_438
.LBB32_2488:
	v_cmp_ne_u16_e32 vcc, 0, v6
	s_andn2_b64 s[4:5], s[4:5], exec
	s_and_b64 s[8:9], vcc, exec
	v_mov_b32_e32 v10, 0
	s_or_b64 s[4:5], s[4:5], s[8:9]
	s_or_b64 exec, exec, s[6:7]
	s_and_saveexec_b64 s[6:7], s[4:5]
	s_cbranch_execnz .LBB32_439
	s_branch .LBB32_440
.LBB32_2489:
	s_movk_i32 s4, 0x80
	v_cmp_eq_u16_sdwa s[12:13], v7, s4 src0_sel:BYTE_3 src1_sel:DWORD
	s_mov_b64 s[4:5], -1
                                        ; implicit-def: $sgpr10
	s_and_saveexec_b64 s[8:9], s[12:13]
; %bb.2490:
	s_mov_b32 s10, 0x7f800001
	s_xor_b64 s[4:5], exec, -1
; %bb.2491:
	s_or_b64 exec, exec, s[8:9]
	s_and_b64 s[4:5], s[4:5], exec
	s_or_saveexec_b64 s[6:7], s[6:7]
	v_mov_b32_e32 v2, s10
	s_xor_b64 exec, exec, s[6:7]
	s_cbranch_execz .LBB32_442
.LBB32_2492:
	v_mov_b32_e32 v2, 0
	v_cmp_ne_u16_sdwa s[8:9], v7, v2 src0_sel:BYTE_3 src1_sel:DWORD
	s_andn2_b64 s[4:5], s[4:5], exec
	s_and_b64 s[8:9], s[8:9], exec
	s_or_b64 s[4:5], s[4:5], s[8:9]
	s_or_b64 exec, exec, s[6:7]
	s_and_saveexec_b64 s[6:7], s[4:5]
	s_cbranch_execnz .LBB32_443
	s_branch .LBB32_444
.LBB32_2493:
	s_movk_i32 s4, 0x80
	v_cmp_eq_u16_sdwa s[12:13], v3, s4 src0_sel:BYTE_3 src1_sel:DWORD
	s_mov_b64 s[4:5], -1
                                        ; implicit-def: $sgpr10
	s_and_saveexec_b64 s[8:9], s[12:13]
; %bb.2494:
	s_mov_b32 s10, 0x7f800001
	s_xor_b64 s[4:5], exec, -1
; %bb.2495:
	s_or_b64 exec, exec, s[8:9]
	s_and_b64 s[4:5], s[4:5], exec
	s_or_saveexec_b64 s[6:7], s[6:7]
	v_mov_b32_e32 v6, s10
	s_xor_b64 exec, exec, s[6:7]
	s_cbranch_execz .LBB32_446
.LBB32_2496:
	v_mov_b32_e32 v6, 0
	v_cmp_ne_u16_sdwa s[8:9], v3, v6 src0_sel:BYTE_3 src1_sel:DWORD
	s_andn2_b64 s[4:5], s[4:5], exec
	s_and_b64 s[8:9], s[8:9], exec
	s_or_b64 s[4:5], s[4:5], s[8:9]
	s_or_b64 exec, exec, s[6:7]
	s_and_saveexec_b64 s[6:7], s[4:5]
	s_cbranch_execnz .LBB32_447
	s_branch .LBB32_448
.LBB32_2497:
	s_movk_i32 s4, 0x80
	v_cmp_eq_u16_sdwa s[12:13], v8, s4 src0_sel:BYTE_0 src1_sel:DWORD
	s_mov_b64 s[4:5], -1
                                        ; implicit-def: $sgpr10
	s_and_saveexec_b64 s[8:9], s[12:13]
; %bb.2498:
	s_mov_b32 s10, 0x7f800001
	s_xor_b64 s[4:5], exec, -1
; %bb.2499:
	s_or_b64 exec, exec, s[8:9]
	s_and_b64 s[4:5], s[4:5], exec
	s_or_saveexec_b64 s[6:7], s[6:7]
	v_mov_b32_e32 v2, s10
	s_xor_b64 exec, exec, s[6:7]
	s_cbranch_execz .LBB32_450
.LBB32_2500:
	v_mov_b32_e32 v2, 0
	v_cmp_ne_u16_sdwa s[8:9], v8, v2 src0_sel:BYTE_0 src1_sel:DWORD
	s_andn2_b64 s[4:5], s[4:5], exec
	s_and_b64 s[8:9], s[8:9], exec
	s_or_b64 s[4:5], s[4:5], s[8:9]
	s_or_b64 exec, exec, s[6:7]
	s_and_saveexec_b64 s[6:7], s[4:5]
	s_cbranch_execnz .LBB32_451
	s_branch .LBB32_452
.LBB32_2501:
	s_movk_i32 s4, 0x80
	v_cmp_eq_u16_sdwa s[12:13], v4, s4 src0_sel:BYTE_0 src1_sel:DWORD
	s_mov_b64 s[4:5], -1
                                        ; implicit-def: $sgpr10
	s_and_saveexec_b64 s[8:9], s[12:13]
; %bb.2502:
	s_mov_b32 s10, 0x7f800001
	s_xor_b64 s[4:5], exec, -1
; %bb.2503:
	s_or_b64 exec, exec, s[8:9]
	s_and_b64 s[4:5], s[4:5], exec
	s_or_saveexec_b64 s[6:7], s[6:7]
	v_mov_b32_e32 v3, s10
	s_xor_b64 exec, exec, s[6:7]
	s_cbranch_execz .LBB32_454
.LBB32_2504:
	v_mov_b32_e32 v3, 0
	v_cmp_ne_u16_sdwa s[8:9], v4, v3 src0_sel:BYTE_0 src1_sel:DWORD
	s_andn2_b64 s[4:5], s[4:5], exec
	s_and_b64 s[8:9], s[8:9], exec
	s_or_b64 s[4:5], s[4:5], s[8:9]
	s_or_b64 exec, exec, s[6:7]
	s_and_saveexec_b64 s[6:7], s[4:5]
	s_cbranch_execnz .LBB32_455
	s_branch .LBB32_456
.LBB32_2505:
	s_movk_i32 s4, 0x80
	v_cmp_eq_u16_sdwa s[12:13], v3, s4 src0_sel:BYTE_0 src1_sel:DWORD
	s_mov_b64 s[4:5], -1
                                        ; implicit-def: $sgpr10
	s_and_saveexec_b64 s[8:9], s[12:13]
; %bb.2506:
	s_mov_b32 s10, 0x7f800001
	s_xor_b64 s[4:5], exec, -1
; %bb.2507:
	s_or_b64 exec, exec, s[8:9]
	s_and_b64 s[4:5], s[4:5], exec
	s_or_saveexec_b64 s[6:7], s[6:7]
	v_mov_b32_e32 v2, s10
	s_xor_b64 exec, exec, s[6:7]
	s_cbranch_execz .LBB32_458
.LBB32_2508:
	v_mov_b32_e32 v2, 0
	v_cmp_ne_u16_sdwa s[8:9], v3, v2 src0_sel:BYTE_0 src1_sel:DWORD
	s_andn2_b64 s[4:5], s[4:5], exec
	s_and_b64 s[8:9], s[8:9], exec
	s_or_b64 s[4:5], s[4:5], s[8:9]
	s_or_b64 exec, exec, s[6:7]
	s_and_saveexec_b64 s[6:7], s[4:5]
	s_cbranch_execnz .LBB32_459
	s_branch .LBB32_460
.LBB32_2509:
	s_movk_i32 s4, 0x80
	v_cmp_eq_u16_sdwa s[12:13], v3, s4 src0_sel:BYTE_0 src1_sel:DWORD
	s_mov_b64 s[4:5], -1
                                        ; implicit-def: $sgpr10
	s_and_saveexec_b64 s[8:9], s[12:13]
; %bb.2510:
	s_mov_b32 s10, 0x7f800001
	s_xor_b64 s[4:5], exec, -1
; %bb.2511:
	s_or_b64 exec, exec, s[8:9]
	s_and_b64 s[4:5], s[4:5], exec
	s_or_saveexec_b64 s[6:7], s[6:7]
	v_mov_b32_e32 v6, s10
	s_xor_b64 exec, exec, s[6:7]
	s_cbranch_execz .LBB32_462
.LBB32_2512:
	v_mov_b32_e32 v6, 0
	v_cmp_ne_u16_sdwa s[8:9], v3, v6 src0_sel:BYTE_0 src1_sel:DWORD
	s_andn2_b64 s[4:5], s[4:5], exec
	s_and_b64 s[8:9], s[8:9], exec
	s_or_b64 s[4:5], s[4:5], s[8:9]
	s_or_b64 exec, exec, s[6:7]
	s_and_saveexec_b64 s[6:7], s[4:5]
	s_cbranch_execnz .LBB32_463
	s_branch .LBB32_464
.LBB32_2513:
	s_movk_i32 s4, 0x80
	v_cmp_eq_u16_e32 vcc, s4, v3
	s_mov_b64 s[4:5], -1
                                        ; implicit-def: $sgpr10
	s_and_saveexec_b64 s[8:9], vcc
; %bb.2514:
	s_mov_b32 s10, 0x7f800001
	s_xor_b64 s[4:5], exec, -1
; %bb.2515:
	s_or_b64 exec, exec, s[8:9]
	s_and_b64 s[4:5], s[4:5], exec
                                        ; implicit-def: $vgpr3
	s_or_saveexec_b64 s[6:7], s[6:7]
	v_mov_b32_e32 v2, s10
	s_xor_b64 exec, exec, s[6:7]
	s_cbranch_execz .LBB32_466
.LBB32_2516:
	v_cmp_ne_u16_e32 vcc, 0, v3
	s_andn2_b64 s[4:5], s[4:5], exec
	s_and_b64 s[8:9], vcc, exec
	v_mov_b32_e32 v2, 0
	s_or_b64 s[4:5], s[4:5], s[8:9]
	s_or_b64 exec, exec, s[6:7]
	s_and_saveexec_b64 s[6:7], s[4:5]
	s_cbranch_execnz .LBB32_467
	s_branch .LBB32_468
.LBB32_2517:
	s_movk_i32 s4, 0x80
	v_cmp_eq_u16_e32 vcc, s4, v3
	s_mov_b64 s[4:5], -1
                                        ; implicit-def: $sgpr10
	s_and_saveexec_b64 s[8:9], vcc
; %bb.2518:
	s_mov_b32 s10, 0x7f800001
	s_xor_b64 s[4:5], exec, -1
; %bb.2519:
	s_or_b64 exec, exec, s[8:9]
	s_and_b64 s[4:5], s[4:5], exec
                                        ; implicit-def: $vgpr3
	s_or_saveexec_b64 s[6:7], s[6:7]
	v_mov_b32_e32 v6, s10
	s_xor_b64 exec, exec, s[6:7]
	s_cbranch_execz .LBB32_470
.LBB32_2520:
	v_cmp_ne_u16_e32 vcc, 0, v3
	s_andn2_b64 s[4:5], s[4:5], exec
	s_and_b64 s[8:9], vcc, exec
	v_mov_b32_e32 v6, 0
	s_or_b64 s[4:5], s[4:5], s[8:9]
	s_or_b64 exec, exec, s[6:7]
	s_and_saveexec_b64 s[6:7], s[4:5]
	s_cbranch_execnz .LBB32_471
	s_branch .LBB32_472
.LBB32_2521:
	s_movk_i32 s4, 0x80
	v_cmp_eq_u16_sdwa s[12:13], v8, s4 src0_sel:BYTE_3 src1_sel:DWORD
	s_mov_b64 s[4:5], -1
                                        ; implicit-def: $sgpr10
	s_and_saveexec_b64 s[8:9], s[12:13]
; %bb.2522:
	s_mov_b32 s10, 0x7f800001
	s_xor_b64 s[4:5], exec, -1
; %bb.2523:
	s_or_b64 exec, exec, s[8:9]
	s_and_b64 s[4:5], s[4:5], exec
	s_or_saveexec_b64 s[6:7], s[6:7]
	v_mov_b32_e32 v2, s10
	s_xor_b64 exec, exec, s[6:7]
	s_cbranch_execz .LBB32_474
.LBB32_2524:
	v_mov_b32_e32 v2, 0
	v_cmp_ne_u16_sdwa s[8:9], v8, v2 src0_sel:BYTE_3 src1_sel:DWORD
	s_andn2_b64 s[4:5], s[4:5], exec
	s_and_b64 s[8:9], s[8:9], exec
	s_or_b64 s[4:5], s[4:5], s[8:9]
	s_or_b64 exec, exec, s[6:7]
	s_and_saveexec_b64 s[6:7], s[4:5]
	s_cbranch_execnz .LBB32_475
	s_branch .LBB32_476
.LBB32_2525:
	s_movk_i32 s4, 0x80
	v_cmp_eq_u16_sdwa s[12:13], v4, s4 src0_sel:BYTE_3 src1_sel:DWORD
	s_mov_b64 s[4:5], -1
                                        ; implicit-def: $sgpr10
	s_and_saveexec_b64 s[8:9], s[12:13]
; %bb.2526:
	s_mov_b32 s10, 0x7f800001
	s_xor_b64 s[4:5], exec, -1
; %bb.2527:
	s_or_b64 exec, exec, s[8:9]
	s_and_b64 s[4:5], s[4:5], exec
	s_or_saveexec_b64 s[6:7], s[6:7]
	v_mov_b32_e32 v3, s10
	s_xor_b64 exec, exec, s[6:7]
	s_cbranch_execz .LBB32_478
.LBB32_2528:
	v_mov_b32_e32 v3, 0
	v_cmp_ne_u16_sdwa s[8:9], v4, v3 src0_sel:BYTE_3 src1_sel:DWORD
	s_andn2_b64 s[4:5], s[4:5], exec
	s_and_b64 s[8:9], s[8:9], exec
	s_or_b64 s[4:5], s[4:5], s[8:9]
	s_or_b64 exec, exec, s[6:7]
	s_and_saveexec_b64 s[6:7], s[4:5]
	s_cbranch_execnz .LBB32_479
	s_branch .LBB32_480
.LBB32_2529:
	s_movk_i32 s4, 0x80
	v_cmp_eq_u16_sdwa s[12:13], v9, s4 src0_sel:BYTE_0 src1_sel:DWORD
	s_mov_b64 s[4:5], -1
                                        ; implicit-def: $sgpr10
	s_and_saveexec_b64 s[8:9], s[12:13]
; %bb.2530:
	s_mov_b32 s10, 0x7f800001
	s_xor_b64 s[4:5], exec, -1
; %bb.2531:
	s_or_b64 exec, exec, s[8:9]
	s_and_b64 s[4:5], s[4:5], exec
	s_or_saveexec_b64 s[6:7], s[6:7]
	v_mov_b32_e32 v2, s10
	s_xor_b64 exec, exec, s[6:7]
	s_cbranch_execz .LBB32_482
.LBB32_2532:
	v_mov_b32_e32 v2, 0
	v_cmp_ne_u16_sdwa s[8:9], v9, v2 src0_sel:BYTE_0 src1_sel:DWORD
	s_andn2_b64 s[4:5], s[4:5], exec
	s_and_b64 s[8:9], s[8:9], exec
	s_or_b64 s[4:5], s[4:5], s[8:9]
	s_or_b64 exec, exec, s[6:7]
	s_and_saveexec_b64 s[6:7], s[4:5]
	s_cbranch_execnz .LBB32_483
	s_branch .LBB32_484
.LBB32_2533:
	s_movk_i32 s4, 0x80
	v_cmp_eq_u16_sdwa s[12:13], v5, s4 src0_sel:BYTE_0 src1_sel:DWORD
	s_mov_b64 s[4:5], -1
                                        ; implicit-def: $sgpr10
	s_and_saveexec_b64 s[8:9], s[12:13]
; %bb.2534:
	s_mov_b32 s10, 0x7f800001
	s_xor_b64 s[4:5], exec, -1
; %bb.2535:
	s_or_b64 exec, exec, s[8:9]
	s_and_b64 s[4:5], s[4:5], exec
	s_or_saveexec_b64 s[6:7], s[6:7]
	v_mov_b32_e32 v3, s10
	s_xor_b64 exec, exec, s[6:7]
	s_cbranch_execz .LBB32_486
.LBB32_2536:
	v_mov_b32_e32 v3, 0
	v_cmp_ne_u16_sdwa s[8:9], v5, v3 src0_sel:BYTE_0 src1_sel:DWORD
	s_andn2_b64 s[4:5], s[4:5], exec
	s_and_b64 s[8:9], s[8:9], exec
	s_or_b64 s[4:5], s[4:5], s[8:9]
	s_or_b64 exec, exec, s[6:7]
	s_and_saveexec_b64 s[6:7], s[4:5]
	s_cbranch_execnz .LBB32_487
	s_branch .LBB32_488
.LBB32_2537:
	s_movk_i32 s4, 0x80
	v_cmp_eq_u16_sdwa s[12:13], v3, s4 src0_sel:BYTE_0 src1_sel:DWORD
	s_mov_b64 s[4:5], -1
                                        ; implicit-def: $sgpr10
	s_and_saveexec_b64 s[8:9], s[12:13]
; %bb.2538:
	s_mov_b32 s10, 0x7f800001
	s_xor_b64 s[4:5], exec, -1
; %bb.2539:
	s_or_b64 exec, exec, s[8:9]
	s_and_b64 s[4:5], s[4:5], exec
	s_or_saveexec_b64 s[6:7], s[6:7]
	v_mov_b32_e32 v2, s10
	s_xor_b64 exec, exec, s[6:7]
	s_cbranch_execz .LBB32_490
.LBB32_2540:
	v_mov_b32_e32 v2, 0
	v_cmp_ne_u16_sdwa s[8:9], v3, v2 src0_sel:BYTE_0 src1_sel:DWORD
	s_andn2_b64 s[4:5], s[4:5], exec
	s_and_b64 s[8:9], s[8:9], exec
	s_or_b64 s[4:5], s[4:5], s[8:9]
	s_or_b64 exec, exec, s[6:7]
	s_and_saveexec_b64 s[6:7], s[4:5]
	s_cbranch_execnz .LBB32_491
	s_branch .LBB32_492
.LBB32_2541:
	s_movk_i32 s4, 0x80
	v_cmp_eq_u16_sdwa s[12:13], v3, s4 src0_sel:BYTE_0 src1_sel:DWORD
	s_mov_b64 s[4:5], -1
                                        ; implicit-def: $sgpr10
	s_and_saveexec_b64 s[8:9], s[12:13]
; %bb.2542:
	s_mov_b32 s10, 0x7f800001
	s_xor_b64 s[4:5], exec, -1
; %bb.2543:
	s_or_b64 exec, exec, s[8:9]
	s_and_b64 s[4:5], s[4:5], exec
	s_or_saveexec_b64 s[6:7], s[6:7]
	v_mov_b32_e32 v4, s10
	s_xor_b64 exec, exec, s[6:7]
	s_cbranch_execz .LBB32_494
.LBB32_2544:
	v_mov_b32_e32 v4, 0
	v_cmp_ne_u16_sdwa s[8:9], v3, v4 src0_sel:BYTE_0 src1_sel:DWORD
	s_andn2_b64 s[4:5], s[4:5], exec
	s_and_b64 s[8:9], s[8:9], exec
	s_or_b64 s[4:5], s[4:5], s[8:9]
	s_or_b64 exec, exec, s[6:7]
	s_and_saveexec_b64 s[6:7], s[4:5]
	s_cbranch_execnz .LBB32_495
	s_branch .LBB32_496
.LBB32_2545:
	s_movk_i32 s4, 0x80
	v_cmp_eq_u16_e32 vcc, s4, v3
	s_mov_b64 s[4:5], -1
                                        ; implicit-def: $sgpr10
	s_and_saveexec_b64 s[8:9], vcc
; %bb.2546:
	s_mov_b32 s10, 0x7f800001
	s_xor_b64 s[4:5], exec, -1
; %bb.2547:
	s_or_b64 exec, exec, s[8:9]
	s_and_b64 s[4:5], s[4:5], exec
                                        ; implicit-def: $vgpr3
	s_or_saveexec_b64 s[6:7], s[6:7]
	v_mov_b32_e32 v2, s10
	s_xor_b64 exec, exec, s[6:7]
	s_cbranch_execz .LBB32_498
.LBB32_2548:
	v_cmp_ne_u16_e32 vcc, 0, v3
	s_andn2_b64 s[4:5], s[4:5], exec
	s_and_b64 s[8:9], vcc, exec
	v_mov_b32_e32 v2, 0
	s_or_b64 s[4:5], s[4:5], s[8:9]
	s_or_b64 exec, exec, s[6:7]
	s_and_saveexec_b64 s[6:7], s[4:5]
	s_cbranch_execnz .LBB32_499
	s_branch .LBB32_500
.LBB32_2549:
	s_movk_i32 s4, 0x80
	v_cmp_eq_u16_e32 vcc, s4, v3
	s_mov_b64 s[4:5], -1
                                        ; implicit-def: $sgpr10
	s_and_saveexec_b64 s[8:9], vcc
; %bb.2550:
	s_mov_b32 s10, 0x7f800001
	s_xor_b64 s[4:5], exec, -1
; %bb.2551:
	s_or_b64 exec, exec, s[8:9]
	s_and_b64 s[4:5], s[4:5], exec
                                        ; implicit-def: $vgpr3
	s_or_saveexec_b64 s[6:7], s[6:7]
	v_mov_b32_e32 v4, s10
	s_xor_b64 exec, exec, s[6:7]
	s_cbranch_execz .LBB32_502
.LBB32_2552:
	v_cmp_ne_u16_e32 vcc, 0, v3
	s_andn2_b64 s[4:5], s[4:5], exec
	s_and_b64 s[8:9], vcc, exec
	v_mov_b32_e32 v4, 0
	s_or_b64 s[4:5], s[4:5], s[8:9]
	s_or_b64 exec, exec, s[6:7]
	s_and_saveexec_b64 s[6:7], s[4:5]
	s_cbranch_execnz .LBB32_503
	s_branch .LBB32_504
.LBB32_2553:
	s_movk_i32 s4, 0x80
	v_cmp_eq_u16_sdwa s[12:13], v9, s4 src0_sel:BYTE_3 src1_sel:DWORD
	s_mov_b64 s[4:5], -1
                                        ; implicit-def: $sgpr10
	s_and_saveexec_b64 s[8:9], s[12:13]
; %bb.2554:
	s_mov_b32 s10, 0x7f800001
	s_xor_b64 s[4:5], exec, -1
; %bb.2555:
	s_or_b64 exec, exec, s[8:9]
	s_and_b64 s[4:5], s[4:5], exec
	s_or_saveexec_b64 s[6:7], s[6:7]
	v_mov_b32_e32 v2, s10
	s_xor_b64 exec, exec, s[6:7]
	s_cbranch_execz .LBB32_506
.LBB32_2556:
	v_mov_b32_e32 v2, 0
	v_cmp_ne_u16_sdwa s[8:9], v9, v2 src0_sel:BYTE_3 src1_sel:DWORD
	s_andn2_b64 s[4:5], s[4:5], exec
	s_and_b64 s[8:9], s[8:9], exec
	s_or_b64 s[4:5], s[4:5], s[8:9]
	s_or_b64 exec, exec, s[6:7]
	s_and_saveexec_b64 s[6:7], s[4:5]
	s_cbranch_execnz .LBB32_507
	s_branch .LBB32_508
.LBB32_2557:
	s_movk_i32 s4, 0x80
	v_cmp_eq_u16_sdwa s[12:13], v5, s4 src0_sel:BYTE_3 src1_sel:DWORD
	s_mov_b64 s[4:5], -1
                                        ; implicit-def: $sgpr10
	s_and_saveexec_b64 s[8:9], s[12:13]
; %bb.2558:
	s_mov_b32 s10, 0x7f800001
	s_xor_b64 s[4:5], exec, -1
; %bb.2559:
	s_or_b64 exec, exec, s[8:9]
	s_and_b64 s[4:5], s[4:5], exec
	s_or_saveexec_b64 s[6:7], s[6:7]
	v_mov_b32_e32 v3, s10
	s_xor_b64 exec, exec, s[6:7]
	s_cbranch_execz .LBB32_510
.LBB32_2560:
	v_mov_b32_e32 v3, 0
	v_cmp_ne_u16_sdwa s[8:9], v5, v3 src0_sel:BYTE_3 src1_sel:DWORD
	s_andn2_b64 s[4:5], s[4:5], exec
	s_and_b64 s[8:9], s[8:9], exec
	s_or_b64 s[4:5], s[4:5], s[8:9]
	s_or_b64 exec, exec, s[6:7]
	s_and_saveexec_b64 s[6:7], s[4:5]
	s_cbranch_execnz .LBB32_511
	s_branch .LBB32_512
.LBB32_2561:
	s_movk_i32 s4, 0x80
	v_cmp_eq_u16_sdwa s[12:13], v14, s4 src0_sel:BYTE_0 src1_sel:DWORD
	s_mov_b64 s[4:5], -1
                                        ; implicit-def: $sgpr10
	s_and_saveexec_b64 s[8:9], s[12:13]
; %bb.2562:
	s_mov_b32 s10, 0x7f800001
	s_xor_b64 s[4:5], exec, -1
; %bb.2563:
	s_or_b64 exec, exec, s[8:9]
	s_and_b64 s[4:5], s[4:5], exec
	s_or_saveexec_b64 s[6:7], s[6:7]
	v_mov_b32_e32 v20, s10
	s_xor_b64 exec, exec, s[6:7]
	s_cbranch_execz .LBB32_514
.LBB32_2564:
	v_mov_b32_e32 v20, 0
	v_cmp_ne_u16_sdwa s[8:9], v14, v20 src0_sel:BYTE_0 src1_sel:DWORD
	s_andn2_b64 s[4:5], s[4:5], exec
	s_and_b64 s[8:9], s[8:9], exec
	s_or_b64 s[4:5], s[4:5], s[8:9]
	s_or_b64 exec, exec, s[6:7]
	s_and_saveexec_b64 s[6:7], s[4:5]
	s_cbranch_execnz .LBB32_515
	s_branch .LBB32_516
.LBB32_2565:
	s_movk_i32 s4, 0x80
	v_cmp_eq_u16_sdwa s[12:13], v10, s4 src0_sel:BYTE_0 src1_sel:DWORD
	s_mov_b64 s[4:5], -1
                                        ; implicit-def: $sgpr10
	s_and_saveexec_b64 s[8:9], s[12:13]
; %bb.2566:
	s_mov_b32 s10, 0x7f800001
	s_xor_b64 s[4:5], exec, -1
; %bb.2567:
	s_or_b64 exec, exec, s[8:9]
	s_and_b64 s[4:5], s[4:5], exec
	s_or_saveexec_b64 s[6:7], s[6:7]
	v_mov_b32_e32 v21, s10
	s_xor_b64 exec, exec, s[6:7]
	s_cbranch_execz .LBB32_518
.LBB32_2568:
	v_mov_b32_e32 v21, 0
	v_cmp_ne_u16_sdwa s[8:9], v10, v21 src0_sel:BYTE_0 src1_sel:DWORD
	s_andn2_b64 s[4:5], s[4:5], exec
	s_and_b64 s[8:9], s[8:9], exec
	s_or_b64 s[4:5], s[4:5], s[8:9]
	s_or_b64 exec, exec, s[6:7]
	s_and_saveexec_b64 s[6:7], s[4:5]
	s_cbranch_execnz .LBB32_519
	s_branch .LBB32_520
.LBB32_2569:
	s_movk_i32 s4, 0x80
	v_cmp_eq_u16_sdwa s[12:13], v21, s4 src0_sel:BYTE_0 src1_sel:DWORD
	s_mov_b64 s[4:5], -1
                                        ; implicit-def: $sgpr10
	s_and_saveexec_b64 s[8:9], s[12:13]
; %bb.2570:
	s_mov_b32 s10, 0x7f800001
	s_xor_b64 s[4:5], exec, -1
; %bb.2571:
	s_or_b64 exec, exec, s[8:9]
	s_and_b64 s[4:5], s[4:5], exec
	s_or_saveexec_b64 s[6:7], s[6:7]
	v_mov_b32_e32 v20, s10
	s_xor_b64 exec, exec, s[6:7]
	s_cbranch_execz .LBB32_522
.LBB32_2572:
	v_mov_b32_e32 v20, 0
	v_cmp_ne_u16_sdwa s[8:9], v21, v20 src0_sel:BYTE_0 src1_sel:DWORD
	s_andn2_b64 s[4:5], s[4:5], exec
	s_and_b64 s[8:9], s[8:9], exec
	s_or_b64 s[4:5], s[4:5], s[8:9]
	s_or_b64 exec, exec, s[6:7]
	s_and_saveexec_b64 s[6:7], s[4:5]
	s_cbranch_execnz .LBB32_523
	s_branch .LBB32_524
.LBB32_2573:
	s_movk_i32 s4, 0x80
	v_cmp_eq_u16_sdwa s[12:13], v21, s4 src0_sel:BYTE_0 src1_sel:DWORD
	s_mov_b64 s[4:5], -1
                                        ; implicit-def: $sgpr10
	s_and_saveexec_b64 s[8:9], s[12:13]
; %bb.2574:
	s_mov_b32 s10, 0x7f800001
	s_xor_b64 s[4:5], exec, -1
; %bb.2575:
	s_or_b64 exec, exec, s[8:9]
	s_and_b64 s[4:5], s[4:5], exec
	s_or_saveexec_b64 s[6:7], s[6:7]
	v_mov_b32_e32 v22, s10
	s_xor_b64 exec, exec, s[6:7]
	s_cbranch_execz .LBB32_526
.LBB32_2576:
	v_mov_b32_e32 v22, 0
	v_cmp_ne_u16_sdwa s[8:9], v21, v22 src0_sel:BYTE_0 src1_sel:DWORD
	s_andn2_b64 s[4:5], s[4:5], exec
	s_and_b64 s[8:9], s[8:9], exec
	s_or_b64 s[4:5], s[4:5], s[8:9]
	s_or_b64 exec, exec, s[6:7]
	s_and_saveexec_b64 s[6:7], s[4:5]
	s_cbranch_execnz .LBB32_527
	s_branch .LBB32_528
.LBB32_2577:
	s_movk_i32 s4, 0x80
	v_cmp_eq_u16_e32 vcc, s4, v21
	s_mov_b64 s[4:5], -1
                                        ; implicit-def: $sgpr10
	s_and_saveexec_b64 s[8:9], vcc
; %bb.2578:
	s_mov_b32 s10, 0x7f800001
	s_xor_b64 s[4:5], exec, -1
; %bb.2579:
	s_or_b64 exec, exec, s[8:9]
	s_and_b64 s[4:5], s[4:5], exec
                                        ; implicit-def: $vgpr21
	s_or_saveexec_b64 s[6:7], s[6:7]
	v_mov_b32_e32 v20, s10
	s_xor_b64 exec, exec, s[6:7]
	s_cbranch_execz .LBB32_530
.LBB32_2580:
	v_cmp_ne_u16_e32 vcc, 0, v21
	s_andn2_b64 s[4:5], s[4:5], exec
	s_and_b64 s[8:9], vcc, exec
	v_mov_b32_e32 v20, 0
	s_or_b64 s[4:5], s[4:5], s[8:9]
	s_or_b64 exec, exec, s[6:7]
	s_and_saveexec_b64 s[6:7], s[4:5]
	s_cbranch_execnz .LBB32_531
	s_branch .LBB32_532
.LBB32_2581:
	s_movk_i32 s4, 0x80
	v_cmp_eq_u16_e32 vcc, s4, v21
	s_mov_b64 s[4:5], -1
                                        ; implicit-def: $sgpr10
	s_and_saveexec_b64 s[8:9], vcc
; %bb.2582:
	s_mov_b32 s10, 0x7f800001
	s_xor_b64 s[4:5], exec, -1
; %bb.2583:
	s_or_b64 exec, exec, s[8:9]
	s_and_b64 s[4:5], s[4:5], exec
                                        ; implicit-def: $vgpr21
	s_or_saveexec_b64 s[6:7], s[6:7]
	v_mov_b32_e32 v22, s10
	s_xor_b64 exec, exec, s[6:7]
	s_cbranch_execz .LBB32_534
.LBB32_2584:
	v_cmp_ne_u16_e32 vcc, 0, v21
	s_andn2_b64 s[4:5], s[4:5], exec
	s_and_b64 s[8:9], vcc, exec
	v_mov_b32_e32 v22, 0
	s_or_b64 s[4:5], s[4:5], s[8:9]
	s_or_b64 exec, exec, s[6:7]
	s_and_saveexec_b64 s[6:7], s[4:5]
	s_cbranch_execnz .LBB32_535
	s_branch .LBB32_536
.LBB32_2585:
	s_movk_i32 s4, 0x80
	v_cmp_eq_u16_sdwa s[12:13], v14, s4 src0_sel:BYTE_3 src1_sel:DWORD
	s_mov_b64 s[4:5], -1
                                        ; implicit-def: $sgpr10
	s_and_saveexec_b64 s[8:9], s[12:13]
; %bb.2586:
	s_mov_b32 s10, 0x7f800001
	s_xor_b64 s[4:5], exec, -1
; %bb.2587:
	s_or_b64 exec, exec, s[8:9]
	s_and_b64 s[4:5], s[4:5], exec
	s_or_saveexec_b64 s[6:7], s[6:7]
	v_mov_b32_e32 v20, s10
	s_xor_b64 exec, exec, s[6:7]
	s_cbranch_execz .LBB32_538
.LBB32_2588:
	v_mov_b32_e32 v20, 0
	v_cmp_ne_u16_sdwa s[8:9], v14, v20 src0_sel:BYTE_3 src1_sel:DWORD
	s_andn2_b64 s[4:5], s[4:5], exec
	s_and_b64 s[8:9], s[8:9], exec
	s_or_b64 s[4:5], s[4:5], s[8:9]
	s_or_b64 exec, exec, s[6:7]
	s_and_saveexec_b64 s[6:7], s[4:5]
	s_cbranch_execnz .LBB32_539
	s_branch .LBB32_540
.LBB32_2589:
	s_movk_i32 s4, 0x80
	v_cmp_eq_u16_sdwa s[12:13], v10, s4 src0_sel:BYTE_3 src1_sel:DWORD
	s_mov_b64 s[4:5], -1
                                        ; implicit-def: $sgpr10
	s_and_saveexec_b64 s[8:9], s[12:13]
; %bb.2590:
	s_mov_b32 s10, 0x7f800001
	s_xor_b64 s[4:5], exec, -1
; %bb.2591:
	s_or_b64 exec, exec, s[8:9]
	s_and_b64 s[4:5], s[4:5], exec
	s_or_saveexec_b64 s[6:7], s[6:7]
	v_mov_b32_e32 v14, s10
	s_xor_b64 exec, exec, s[6:7]
	s_cbranch_execz .LBB32_542
.LBB32_2592:
	v_mov_b32_e32 v14, 0
	v_cmp_ne_u16_sdwa s[8:9], v10, v14 src0_sel:BYTE_3 src1_sel:DWORD
	s_andn2_b64 s[4:5], s[4:5], exec
	s_and_b64 s[8:9], s[8:9], exec
	s_or_b64 s[4:5], s[4:5], s[8:9]
	s_or_b64 exec, exec, s[6:7]
	s_and_saveexec_b64 s[6:7], s[4:5]
	s_cbranch_execnz .LBB32_543
	s_branch .LBB32_544
.LBB32_2593:
	s_movk_i32 s4, 0x80
	v_cmp_eq_u16_sdwa s[12:13], v15, s4 src0_sel:BYTE_0 src1_sel:DWORD
	s_mov_b64 s[4:5], -1
                                        ; implicit-def: $sgpr10
	s_and_saveexec_b64 s[8:9], s[12:13]
; %bb.2594:
	s_mov_b32 s10, 0x7f800001
	s_xor_b64 s[4:5], exec, -1
; %bb.2595:
	s_or_b64 exec, exec, s[8:9]
	s_and_b64 s[4:5], s[4:5], exec
	s_or_saveexec_b64 s[6:7], s[6:7]
	v_mov_b32_e32 v10, s10
	s_xor_b64 exec, exec, s[6:7]
	s_cbranch_execz .LBB32_546
.LBB32_2596:
	v_mov_b32_e32 v10, 0
	v_cmp_ne_u16_sdwa s[8:9], v15, v10 src0_sel:BYTE_0 src1_sel:DWORD
	s_andn2_b64 s[4:5], s[4:5], exec
	s_and_b64 s[8:9], s[8:9], exec
	s_or_b64 s[4:5], s[4:5], s[8:9]
	s_or_b64 exec, exec, s[6:7]
	s_and_saveexec_b64 s[6:7], s[4:5]
	s_cbranch_execnz .LBB32_547
	s_branch .LBB32_548
.LBB32_2597:
	s_movk_i32 s4, 0x80
	v_cmp_eq_u16_sdwa s[12:13], v11, s4 src0_sel:BYTE_0 src1_sel:DWORD
	s_mov_b64 s[4:5], -1
                                        ; implicit-def: $sgpr10
	s_and_saveexec_b64 s[8:9], s[12:13]
; %bb.2598:
	s_mov_b32 s10, 0x7f800001
	s_xor_b64 s[4:5], exec, -1
; %bb.2599:
	s_or_b64 exec, exec, s[8:9]
	s_and_b64 s[4:5], s[4:5], exec
	s_or_saveexec_b64 s[6:7], s[6:7]
	v_mov_b32_e32 v14, s10
	s_xor_b64 exec, exec, s[6:7]
	s_cbranch_execz .LBB32_550
.LBB32_2600:
	v_mov_b32_e32 v14, 0
	v_cmp_ne_u16_sdwa s[8:9], v11, v14 src0_sel:BYTE_0 src1_sel:DWORD
	s_andn2_b64 s[4:5], s[4:5], exec
	s_and_b64 s[8:9], s[8:9], exec
	s_or_b64 s[4:5], s[4:5], s[8:9]
	s_or_b64 exec, exec, s[6:7]
	s_and_saveexec_b64 s[6:7], s[4:5]
	s_cbranch_execnz .LBB32_551
	s_branch .LBB32_552
.LBB32_2601:
	s_movk_i32 s4, 0x80
	v_cmp_eq_u16_sdwa s[12:13], v14, s4 src0_sel:BYTE_0 src1_sel:DWORD
	s_mov_b64 s[4:5], -1
                                        ; implicit-def: $sgpr10
	s_and_saveexec_b64 s[8:9], s[12:13]
; %bb.2602:
	s_mov_b32 s10, 0x7f800001
	s_xor_b64 s[4:5], exec, -1
; %bb.2603:
	s_or_b64 exec, exec, s[8:9]
	s_and_b64 s[4:5], s[4:5], exec
	s_or_saveexec_b64 s[6:7], s[6:7]
	v_mov_b32_e32 v10, s10
	s_xor_b64 exec, exec, s[6:7]
	s_cbranch_execz .LBB32_554
.LBB32_2604:
	v_mov_b32_e32 v10, 0
	v_cmp_ne_u16_sdwa s[8:9], v14, v10 src0_sel:BYTE_0 src1_sel:DWORD
	s_andn2_b64 s[4:5], s[4:5], exec
	s_and_b64 s[8:9], s[8:9], exec
	s_or_b64 s[4:5], s[4:5], s[8:9]
	s_or_b64 exec, exec, s[6:7]
	s_and_saveexec_b64 s[6:7], s[4:5]
	s_cbranch_execnz .LBB32_555
	s_branch .LBB32_556
.LBB32_2605:
	s_movk_i32 s4, 0x80
	v_cmp_eq_u16_sdwa s[12:13], v14, s4 src0_sel:BYTE_0 src1_sel:DWORD
	s_mov_b64 s[4:5], -1
                                        ; implicit-def: $sgpr10
	s_and_saveexec_b64 s[8:9], s[12:13]
; %bb.2606:
	s_mov_b32 s10, 0x7f800001
	s_xor_b64 s[4:5], exec, -1
; %bb.2607:
	s_or_b64 exec, exec, s[8:9]
	s_and_b64 s[4:5], s[4:5], exec
	s_or_saveexec_b64 s[6:7], s[6:7]
	v_mov_b32_e32 v20, s10
	s_xor_b64 exec, exec, s[6:7]
	s_cbranch_execz .LBB32_558
.LBB32_2608:
	v_mov_b32_e32 v20, 0
	v_cmp_ne_u16_sdwa s[8:9], v14, v20 src0_sel:BYTE_0 src1_sel:DWORD
	s_andn2_b64 s[4:5], s[4:5], exec
	s_and_b64 s[8:9], s[8:9], exec
	s_or_b64 s[4:5], s[4:5], s[8:9]
	s_or_b64 exec, exec, s[6:7]
	s_and_saveexec_b64 s[6:7], s[4:5]
	s_cbranch_execnz .LBB32_559
	s_branch .LBB32_560
.LBB32_2609:
	s_movk_i32 s4, 0x80
	v_cmp_eq_u16_e32 vcc, s4, v14
	s_mov_b64 s[4:5], -1
                                        ; implicit-def: $sgpr10
	s_and_saveexec_b64 s[8:9], vcc
; %bb.2610:
	s_mov_b32 s10, 0x7f800001
	s_xor_b64 s[4:5], exec, -1
; %bb.2611:
	s_or_b64 exec, exec, s[8:9]
	s_and_b64 s[4:5], s[4:5], exec
                                        ; implicit-def: $vgpr14
	s_or_saveexec_b64 s[6:7], s[6:7]
	v_mov_b32_e32 v10, s10
	s_xor_b64 exec, exec, s[6:7]
	s_cbranch_execz .LBB32_562
.LBB32_2612:
	v_cmp_ne_u16_e32 vcc, 0, v14
	s_andn2_b64 s[4:5], s[4:5], exec
	s_and_b64 s[8:9], vcc, exec
	v_mov_b32_e32 v10, 0
	s_or_b64 s[4:5], s[4:5], s[8:9]
	s_or_b64 exec, exec, s[6:7]
	s_and_saveexec_b64 s[6:7], s[4:5]
	s_cbranch_execnz .LBB32_563
	s_branch .LBB32_564
.LBB32_2613:
	s_movk_i32 s4, 0x80
	v_cmp_eq_u16_e32 vcc, s4, v14
	s_mov_b64 s[4:5], -1
                                        ; implicit-def: $sgpr10
	s_and_saveexec_b64 s[8:9], vcc
; %bb.2614:
	s_mov_b32 s10, 0x7f800001
	s_xor_b64 s[4:5], exec, -1
; %bb.2615:
	s_or_b64 exec, exec, s[8:9]
	s_and_b64 s[4:5], s[4:5], exec
                                        ; implicit-def: $vgpr14
	s_or_saveexec_b64 s[6:7], s[6:7]
	v_mov_b32_e32 v20, s10
	s_xor_b64 exec, exec, s[6:7]
	s_cbranch_execz .LBB32_566
.LBB32_2616:
	v_cmp_ne_u16_e32 vcc, 0, v14
	s_andn2_b64 s[4:5], s[4:5], exec
	s_and_b64 s[8:9], vcc, exec
	v_mov_b32_e32 v20, 0
	s_or_b64 s[4:5], s[4:5], s[8:9]
	s_or_b64 exec, exec, s[6:7]
	s_and_saveexec_b64 s[6:7], s[4:5]
	s_cbranch_execnz .LBB32_567
	s_branch .LBB32_568
.LBB32_2617:
	s_movk_i32 s4, 0x80
	v_cmp_eq_u16_sdwa s[12:13], v15, s4 src0_sel:BYTE_3 src1_sel:DWORD
	s_mov_b64 s[4:5], -1
                                        ; implicit-def: $sgpr10
	s_and_saveexec_b64 s[8:9], s[12:13]
; %bb.2618:
	s_mov_b32 s10, 0x7f800001
	s_xor_b64 s[4:5], exec, -1
; %bb.2619:
	s_or_b64 exec, exec, s[8:9]
	s_and_b64 s[4:5], s[4:5], exec
	s_or_saveexec_b64 s[6:7], s[6:7]
	v_mov_b32_e32 v10, s10
	s_xor_b64 exec, exec, s[6:7]
	s_cbranch_execz .LBB32_570
.LBB32_2620:
	v_mov_b32_e32 v10, 0
	v_cmp_ne_u16_sdwa s[8:9], v15, v10 src0_sel:BYTE_3 src1_sel:DWORD
	s_andn2_b64 s[4:5], s[4:5], exec
	s_and_b64 s[8:9], s[8:9], exec
	s_or_b64 s[4:5], s[4:5], s[8:9]
	s_or_b64 exec, exec, s[6:7]
	s_and_saveexec_b64 s[6:7], s[4:5]
	s_cbranch_execnz .LBB32_571
	s_branch .LBB32_572
.LBB32_2621:
	s_movk_i32 s4, 0x80
	v_cmp_eq_u16_sdwa s[12:13], v11, s4 src0_sel:BYTE_3 src1_sel:DWORD
	s_mov_b64 s[4:5], -1
                                        ; implicit-def: $sgpr10
	s_and_saveexec_b64 s[8:9], s[12:13]
; %bb.2622:
	s_mov_b32 s10, 0x7f800001
	s_xor_b64 s[4:5], exec, -1
; %bb.2623:
	s_or_b64 exec, exec, s[8:9]
	s_and_b64 s[4:5], s[4:5], exec
	s_or_saveexec_b64 s[6:7], s[6:7]
	v_mov_b32_e32 v14, s10
	s_xor_b64 exec, exec, s[6:7]
	s_cbranch_execz .LBB32_574
.LBB32_2624:
	v_mov_b32_e32 v14, 0
	v_cmp_ne_u16_sdwa s[8:9], v11, v14 src0_sel:BYTE_3 src1_sel:DWORD
	s_andn2_b64 s[4:5], s[4:5], exec
	s_and_b64 s[8:9], s[8:9], exec
	s_or_b64 s[4:5], s[4:5], s[8:9]
	s_or_b64 exec, exec, s[6:7]
	s_and_saveexec_b64 s[6:7], s[4:5]
	s_cbranch_execnz .LBB32_575
	s_branch .LBB32_576
.LBB32_2625:
	s_movk_i32 s4, 0x80
	v_cmp_eq_u16_sdwa s[12:13], v16, s4 src0_sel:BYTE_0 src1_sel:DWORD
	s_mov_b64 s[4:5], -1
                                        ; implicit-def: $sgpr10
	s_and_saveexec_b64 s[8:9], s[12:13]
; %bb.2626:
	s_mov_b32 s10, 0x7f800001
	s_xor_b64 s[4:5], exec, -1
; %bb.2627:
	s_or_b64 exec, exec, s[8:9]
	s_and_b64 s[4:5], s[4:5], exec
	s_or_saveexec_b64 s[6:7], s[6:7]
	v_mov_b32_e32 v10, s10
	s_xor_b64 exec, exec, s[6:7]
	s_cbranch_execz .LBB32_578
.LBB32_2628:
	v_mov_b32_e32 v10, 0
	v_cmp_ne_u16_sdwa s[8:9], v16, v10 src0_sel:BYTE_0 src1_sel:DWORD
	s_andn2_b64 s[4:5], s[4:5], exec
	s_and_b64 s[8:9], s[8:9], exec
	s_or_b64 s[4:5], s[4:5], s[8:9]
	s_or_b64 exec, exec, s[6:7]
	s_and_saveexec_b64 s[6:7], s[4:5]
	s_cbranch_execnz .LBB32_579
	s_branch .LBB32_580
.LBB32_2629:
	s_movk_i32 s4, 0x80
	v_cmp_eq_u16_sdwa s[12:13], v12, s4 src0_sel:BYTE_0 src1_sel:DWORD
	s_mov_b64 s[4:5], -1
                                        ; implicit-def: $sgpr10
	s_and_saveexec_b64 s[8:9], s[12:13]
; %bb.2630:
	s_mov_b32 s10, 0x7f800001
	s_xor_b64 s[4:5], exec, -1
; %bb.2631:
	s_or_b64 exec, exec, s[8:9]
	s_and_b64 s[4:5], s[4:5], exec
	s_or_saveexec_b64 s[6:7], s[6:7]
	v_mov_b32_e32 v11, s10
	s_xor_b64 exec, exec, s[6:7]
	s_cbranch_execz .LBB32_582
.LBB32_2632:
	v_mov_b32_e32 v11, 0
	v_cmp_ne_u16_sdwa s[8:9], v12, v11 src0_sel:BYTE_0 src1_sel:DWORD
	s_andn2_b64 s[4:5], s[4:5], exec
	s_and_b64 s[8:9], s[8:9], exec
	s_or_b64 s[4:5], s[4:5], s[8:9]
	s_or_b64 exec, exec, s[6:7]
	s_and_saveexec_b64 s[6:7], s[4:5]
	s_cbranch_execnz .LBB32_583
	s_branch .LBB32_584
.LBB32_2633:
	s_movk_i32 s4, 0x80
	v_cmp_eq_u16_sdwa s[12:13], v11, s4 src0_sel:BYTE_0 src1_sel:DWORD
	s_mov_b64 s[4:5], -1
                                        ; implicit-def: $sgpr10
	s_and_saveexec_b64 s[8:9], s[12:13]
; %bb.2634:
	s_mov_b32 s10, 0x7f800001
	s_xor_b64 s[4:5], exec, -1
; %bb.2635:
	s_or_b64 exec, exec, s[8:9]
	s_and_b64 s[4:5], s[4:5], exec
	s_or_saveexec_b64 s[6:7], s[6:7]
	v_mov_b32_e32 v10, s10
	s_xor_b64 exec, exec, s[6:7]
	s_cbranch_execz .LBB32_586
.LBB32_2636:
	v_mov_b32_e32 v10, 0
	v_cmp_ne_u16_sdwa s[8:9], v11, v10 src0_sel:BYTE_0 src1_sel:DWORD
	s_andn2_b64 s[4:5], s[4:5], exec
	s_and_b64 s[8:9], s[8:9], exec
	s_or_b64 s[4:5], s[4:5], s[8:9]
	s_or_b64 exec, exec, s[6:7]
	s_and_saveexec_b64 s[6:7], s[4:5]
	s_cbranch_execnz .LBB32_587
	s_branch .LBB32_588
.LBB32_2637:
	s_movk_i32 s4, 0x80
	v_cmp_eq_u16_sdwa s[12:13], v11, s4 src0_sel:BYTE_0 src1_sel:DWORD
	s_mov_b64 s[4:5], -1
                                        ; implicit-def: $sgpr10
	s_and_saveexec_b64 s[8:9], s[12:13]
; %bb.2638:
	s_mov_b32 s10, 0x7f800001
	s_xor_b64 s[4:5], exec, -1
; %bb.2639:
	s_or_b64 exec, exec, s[8:9]
	s_and_b64 s[4:5], s[4:5], exec
	s_or_saveexec_b64 s[6:7], s[6:7]
	v_mov_b32_e32 v14, s10
	s_xor_b64 exec, exec, s[6:7]
	s_cbranch_execz .LBB32_590
.LBB32_2640:
	v_mov_b32_e32 v14, 0
	v_cmp_ne_u16_sdwa s[8:9], v11, v14 src0_sel:BYTE_0 src1_sel:DWORD
	s_andn2_b64 s[4:5], s[4:5], exec
	s_and_b64 s[8:9], s[8:9], exec
	s_or_b64 s[4:5], s[4:5], s[8:9]
	s_or_b64 exec, exec, s[6:7]
	s_and_saveexec_b64 s[6:7], s[4:5]
	s_cbranch_execnz .LBB32_591
	s_branch .LBB32_592
.LBB32_2641:
	s_movk_i32 s4, 0x80
	v_cmp_eq_u16_e32 vcc, s4, v11
	s_mov_b64 s[4:5], -1
                                        ; implicit-def: $sgpr10
	s_and_saveexec_b64 s[8:9], vcc
; %bb.2642:
	s_mov_b32 s10, 0x7f800001
	s_xor_b64 s[4:5], exec, -1
; %bb.2643:
	s_or_b64 exec, exec, s[8:9]
	s_and_b64 s[4:5], s[4:5], exec
                                        ; implicit-def: $vgpr11
	s_or_saveexec_b64 s[6:7], s[6:7]
	v_mov_b32_e32 v10, s10
	s_xor_b64 exec, exec, s[6:7]
	s_cbranch_execz .LBB32_594
.LBB32_2644:
	v_cmp_ne_u16_e32 vcc, 0, v11
	s_andn2_b64 s[4:5], s[4:5], exec
	s_and_b64 s[8:9], vcc, exec
	v_mov_b32_e32 v10, 0
	s_or_b64 s[4:5], s[4:5], s[8:9]
	s_or_b64 exec, exec, s[6:7]
	s_and_saveexec_b64 s[6:7], s[4:5]
	s_cbranch_execnz .LBB32_595
	s_branch .LBB32_596
.LBB32_2645:
	s_movk_i32 s4, 0x80
	v_cmp_eq_u16_e32 vcc, s4, v11
	s_mov_b64 s[4:5], -1
                                        ; implicit-def: $sgpr10
	s_and_saveexec_b64 s[8:9], vcc
; %bb.2646:
	s_mov_b32 s10, 0x7f800001
	s_xor_b64 s[4:5], exec, -1
; %bb.2647:
	s_or_b64 exec, exec, s[8:9]
	s_and_b64 s[4:5], s[4:5], exec
                                        ; implicit-def: $vgpr11
	s_or_saveexec_b64 s[6:7], s[6:7]
	v_mov_b32_e32 v14, s10
	s_xor_b64 exec, exec, s[6:7]
	s_cbranch_execz .LBB32_598
.LBB32_2648:
	v_cmp_ne_u16_e32 vcc, 0, v11
	s_andn2_b64 s[4:5], s[4:5], exec
	s_and_b64 s[8:9], vcc, exec
	v_mov_b32_e32 v14, 0
	s_or_b64 s[4:5], s[4:5], s[8:9]
	s_or_b64 exec, exec, s[6:7]
	s_and_saveexec_b64 s[6:7], s[4:5]
	s_cbranch_execnz .LBB32_599
	s_branch .LBB32_600
.LBB32_2649:
	s_movk_i32 s4, 0x80
	v_cmp_eq_u16_sdwa s[12:13], v16, s4 src0_sel:BYTE_3 src1_sel:DWORD
	s_mov_b64 s[4:5], -1
                                        ; implicit-def: $sgpr10
	s_and_saveexec_b64 s[8:9], s[12:13]
; %bb.2650:
	s_mov_b32 s10, 0x7f800001
	s_xor_b64 s[4:5], exec, -1
; %bb.2651:
	s_or_b64 exec, exec, s[8:9]
	s_and_b64 s[4:5], s[4:5], exec
	s_or_saveexec_b64 s[6:7], s[6:7]
	v_mov_b32_e32 v10, s10
	s_xor_b64 exec, exec, s[6:7]
	s_cbranch_execz .LBB32_602
.LBB32_2652:
	v_mov_b32_e32 v10, 0
	v_cmp_ne_u16_sdwa s[8:9], v16, v10 src0_sel:BYTE_3 src1_sel:DWORD
	s_andn2_b64 s[4:5], s[4:5], exec
	s_and_b64 s[8:9], s[8:9], exec
	s_or_b64 s[4:5], s[4:5], s[8:9]
	s_or_b64 exec, exec, s[6:7]
	s_and_saveexec_b64 s[6:7], s[4:5]
	s_cbranch_execnz .LBB32_603
	s_branch .LBB32_604
.LBB32_2653:
	s_movk_i32 s4, 0x80
	v_cmp_eq_u16_sdwa s[12:13], v12, s4 src0_sel:BYTE_3 src1_sel:DWORD
	s_mov_b64 s[4:5], -1
                                        ; implicit-def: $sgpr10
	s_and_saveexec_b64 s[8:9], s[12:13]
; %bb.2654:
	s_mov_b32 s10, 0x7f800001
	s_xor_b64 s[4:5], exec, -1
; %bb.2655:
	s_or_b64 exec, exec, s[8:9]
	s_and_b64 s[4:5], s[4:5], exec
	s_or_saveexec_b64 s[6:7], s[6:7]
	v_mov_b32_e32 v11, s10
	s_xor_b64 exec, exec, s[6:7]
	s_cbranch_execz .LBB32_606
.LBB32_2656:
	v_mov_b32_e32 v11, 0
	v_cmp_ne_u16_sdwa s[8:9], v12, v11 src0_sel:BYTE_3 src1_sel:DWORD
	s_andn2_b64 s[4:5], s[4:5], exec
	s_and_b64 s[8:9], s[8:9], exec
	s_or_b64 s[4:5], s[4:5], s[8:9]
	s_or_b64 exec, exec, s[6:7]
	s_and_saveexec_b64 s[6:7], s[4:5]
	s_cbranch_execnz .LBB32_607
	s_branch .LBB32_608
.LBB32_2657:
	s_movk_i32 s4, 0x80
	v_cmp_eq_u16_sdwa s[12:13], v17, s4 src0_sel:BYTE_0 src1_sel:DWORD
	s_mov_b64 s[4:5], -1
                                        ; implicit-def: $sgpr10
	s_and_saveexec_b64 s[8:9], s[12:13]
; %bb.2658:
	s_mov_b32 s10, 0x7f800001
	s_xor_b64 s[4:5], exec, -1
; %bb.2659:
	s_or_b64 exec, exec, s[8:9]
	s_and_b64 s[4:5], s[4:5], exec
	s_or_saveexec_b64 s[6:7], s[6:7]
	v_mov_b32_e32 v10, s10
	s_xor_b64 exec, exec, s[6:7]
	s_cbranch_execz .LBB32_610
.LBB32_2660:
	v_mov_b32_e32 v10, 0
	v_cmp_ne_u16_sdwa s[8:9], v17, v10 src0_sel:BYTE_0 src1_sel:DWORD
	s_andn2_b64 s[4:5], s[4:5], exec
	s_and_b64 s[8:9], s[8:9], exec
	s_or_b64 s[4:5], s[4:5], s[8:9]
	s_or_b64 exec, exec, s[6:7]
	s_and_saveexec_b64 s[6:7], s[4:5]
	s_cbranch_execnz .LBB32_611
	s_branch .LBB32_612
.LBB32_2661:
	s_movk_i32 s4, 0x80
	v_cmp_eq_u16_sdwa s[12:13], v13, s4 src0_sel:BYTE_0 src1_sel:DWORD
	s_mov_b64 s[4:5], -1
                                        ; implicit-def: $sgpr10
	s_and_saveexec_b64 s[8:9], s[12:13]
; %bb.2662:
	s_mov_b32 s10, 0x7f800001
	s_xor_b64 s[4:5], exec, -1
; %bb.2663:
	s_or_b64 exec, exec, s[8:9]
	s_and_b64 s[4:5], s[4:5], exec
	s_or_saveexec_b64 s[6:7], s[6:7]
	v_mov_b32_e32 v11, s10
	s_xor_b64 exec, exec, s[6:7]
	s_cbranch_execz .LBB32_614
.LBB32_2664:
	v_mov_b32_e32 v11, 0
	v_cmp_ne_u16_sdwa s[8:9], v13, v11 src0_sel:BYTE_0 src1_sel:DWORD
	s_andn2_b64 s[4:5], s[4:5], exec
	s_and_b64 s[8:9], s[8:9], exec
	s_or_b64 s[4:5], s[4:5], s[8:9]
	s_or_b64 exec, exec, s[6:7]
	s_and_saveexec_b64 s[6:7], s[4:5]
	s_cbranch_execnz .LBB32_615
	s_branch .LBB32_616
.LBB32_2665:
	s_movk_i32 s4, 0x80
	v_cmp_eq_u16_sdwa s[12:13], v11, s4 src0_sel:BYTE_0 src1_sel:DWORD
	s_mov_b64 s[4:5], -1
                                        ; implicit-def: $sgpr10
	s_and_saveexec_b64 s[8:9], s[12:13]
; %bb.2666:
	s_mov_b32 s10, 0x7f800001
	s_xor_b64 s[4:5], exec, -1
; %bb.2667:
	s_or_b64 exec, exec, s[8:9]
	s_and_b64 s[4:5], s[4:5], exec
	s_or_saveexec_b64 s[6:7], s[6:7]
	v_mov_b32_e32 v10, s10
	s_xor_b64 exec, exec, s[6:7]
	s_cbranch_execz .LBB32_618
.LBB32_2668:
	v_mov_b32_e32 v10, 0
	v_cmp_ne_u16_sdwa s[8:9], v11, v10 src0_sel:BYTE_0 src1_sel:DWORD
	s_andn2_b64 s[4:5], s[4:5], exec
	s_and_b64 s[8:9], s[8:9], exec
	s_or_b64 s[4:5], s[4:5], s[8:9]
	s_or_b64 exec, exec, s[6:7]
	s_and_saveexec_b64 s[6:7], s[4:5]
	s_cbranch_execnz .LBB32_619
	s_branch .LBB32_620
.LBB32_2669:
	s_movk_i32 s4, 0x80
	v_cmp_eq_u16_sdwa s[12:13], v11, s4 src0_sel:BYTE_0 src1_sel:DWORD
	s_mov_b64 s[4:5], -1
                                        ; implicit-def: $sgpr10
	s_and_saveexec_b64 s[8:9], s[12:13]
; %bb.2670:
	s_mov_b32 s10, 0x7f800001
	s_xor_b64 s[4:5], exec, -1
; %bb.2671:
	s_or_b64 exec, exec, s[8:9]
	s_and_b64 s[4:5], s[4:5], exec
	s_or_saveexec_b64 s[6:7], s[6:7]
	v_mov_b32_e32 v12, s10
	s_xor_b64 exec, exec, s[6:7]
	s_cbranch_execz .LBB32_622
.LBB32_2672:
	v_mov_b32_e32 v12, 0
	v_cmp_ne_u16_sdwa s[8:9], v11, v12 src0_sel:BYTE_0 src1_sel:DWORD
	s_andn2_b64 s[4:5], s[4:5], exec
	s_and_b64 s[8:9], s[8:9], exec
	s_or_b64 s[4:5], s[4:5], s[8:9]
	s_or_b64 exec, exec, s[6:7]
	s_and_saveexec_b64 s[6:7], s[4:5]
	s_cbranch_execnz .LBB32_623
	s_branch .LBB32_624
.LBB32_2673:
	s_movk_i32 s4, 0x80
	v_cmp_eq_u16_e32 vcc, s4, v11
	s_mov_b64 s[4:5], -1
                                        ; implicit-def: $sgpr10
	s_and_saveexec_b64 s[8:9], vcc
; %bb.2674:
	s_mov_b32 s10, 0x7f800001
	s_xor_b64 s[4:5], exec, -1
; %bb.2675:
	s_or_b64 exec, exec, s[8:9]
	s_and_b64 s[4:5], s[4:5], exec
                                        ; implicit-def: $vgpr11
	s_or_saveexec_b64 s[6:7], s[6:7]
	v_mov_b32_e32 v10, s10
	s_xor_b64 exec, exec, s[6:7]
	s_cbranch_execz .LBB32_626
.LBB32_2676:
	v_cmp_ne_u16_e32 vcc, 0, v11
	s_andn2_b64 s[4:5], s[4:5], exec
	s_and_b64 s[8:9], vcc, exec
	v_mov_b32_e32 v10, 0
	s_or_b64 s[4:5], s[4:5], s[8:9]
	s_or_b64 exec, exec, s[6:7]
	s_and_saveexec_b64 s[6:7], s[4:5]
	s_cbranch_execnz .LBB32_627
	s_branch .LBB32_628
.LBB32_2677:
	s_movk_i32 s4, 0x80
	v_cmp_eq_u16_e32 vcc, s4, v11
	s_mov_b64 s[4:5], -1
                                        ; implicit-def: $sgpr10
	s_and_saveexec_b64 s[8:9], vcc
; %bb.2678:
	s_mov_b32 s10, 0x7f800001
	s_xor_b64 s[4:5], exec, -1
; %bb.2679:
	s_or_b64 exec, exec, s[8:9]
	s_and_b64 s[4:5], s[4:5], exec
                                        ; implicit-def: $vgpr11
	s_or_saveexec_b64 s[6:7], s[6:7]
	v_mov_b32_e32 v12, s10
	s_xor_b64 exec, exec, s[6:7]
	s_cbranch_execz .LBB32_630
.LBB32_2680:
	v_cmp_ne_u16_e32 vcc, 0, v11
	s_andn2_b64 s[4:5], s[4:5], exec
	s_and_b64 s[8:9], vcc, exec
	v_mov_b32_e32 v12, 0
	s_or_b64 s[4:5], s[4:5], s[8:9]
	s_or_b64 exec, exec, s[6:7]
	s_and_saveexec_b64 s[6:7], s[4:5]
	s_cbranch_execnz .LBB32_631
	s_branch .LBB32_632
.LBB32_2681:
	s_movk_i32 s4, 0x80
	v_cmp_eq_u16_sdwa s[12:13], v17, s4 src0_sel:BYTE_3 src1_sel:DWORD
	s_mov_b64 s[4:5], -1
                                        ; implicit-def: $sgpr10
	s_and_saveexec_b64 s[8:9], s[12:13]
; %bb.2682:
	s_mov_b32 s10, 0x7f800001
	s_xor_b64 s[4:5], exec, -1
; %bb.2683:
	s_or_b64 exec, exec, s[8:9]
	s_and_b64 s[4:5], s[4:5], exec
	s_or_saveexec_b64 s[6:7], s[6:7]
	v_mov_b32_e32 v10, s10
	s_xor_b64 exec, exec, s[6:7]
	s_cbranch_execz .LBB32_634
.LBB32_2684:
	v_mov_b32_e32 v10, 0
	v_cmp_ne_u16_sdwa s[8:9], v17, v10 src0_sel:BYTE_3 src1_sel:DWORD
	s_andn2_b64 s[4:5], s[4:5], exec
	s_and_b64 s[8:9], s[8:9], exec
	s_or_b64 s[4:5], s[4:5], s[8:9]
	s_or_b64 exec, exec, s[6:7]
	s_and_saveexec_b64 s[6:7], s[4:5]
	s_cbranch_execnz .LBB32_635
	s_branch .LBB32_636
.LBB32_2685:
	s_movk_i32 s4, 0x80
	v_cmp_eq_u16_sdwa s[12:13], v13, s4 src0_sel:BYTE_3 src1_sel:DWORD
	s_mov_b64 s[4:5], -1
                                        ; implicit-def: $sgpr10
	s_and_saveexec_b64 s[8:9], s[12:13]
; %bb.2686:
	s_mov_b32 s10, 0x7f800001
	s_xor_b64 s[4:5], exec, -1
; %bb.2687:
	s_or_b64 exec, exec, s[8:9]
	s_and_b64 s[4:5], s[4:5], exec
	s_or_saveexec_b64 s[6:7], s[6:7]
	v_mov_b32_e32 v11, s10
	s_xor_b64 exec, exec, s[6:7]
	s_cbranch_execz .LBB32_638
.LBB32_2688:
	v_mov_b32_e32 v11, 0
	v_cmp_ne_u16_sdwa s[8:9], v13, v11 src0_sel:BYTE_3 src1_sel:DWORD
	s_andn2_b64 s[4:5], s[4:5], exec
	s_and_b64 s[8:9], s[8:9], exec
	s_or_b64 s[4:5], s[4:5], s[8:9]
	s_or_b64 exec, exec, s[6:7]
	s_and_saveexec_b64 s[6:7], s[4:5]
	s_cbranch_execnz .LBB32_639
	s_branch .LBB32_640
.LBB32_2689:
	s_movk_i32 s4, 0x80
	v_cmp_eq_u16_sdwa s[12:13], v6, s4 src0_sel:BYTE_0 src1_sel:DWORD
	s_mov_b64 s[4:5], -1
                                        ; implicit-def: $sgpr10
	s_and_saveexec_b64 s[8:9], s[12:13]
; %bb.2690:
	s_mov_b32 s10, 0x7f800001
	s_xor_b64 s[4:5], exec, -1
; %bb.2691:
	s_or_b64 exec, exec, s[8:9]
	s_and_b64 s[4:5], s[4:5], exec
	s_or_saveexec_b64 s[6:7], s[6:7]
	v_mov_b32_e32 v10, s10
	s_xor_b64 exec, exec, s[6:7]
	s_cbranch_execz .LBB32_642
.LBB32_2692:
	v_mov_b32_e32 v10, 0
	v_cmp_ne_u16_sdwa s[8:9], v6, v10 src0_sel:BYTE_0 src1_sel:DWORD
	s_andn2_b64 s[4:5], s[4:5], exec
	s_and_b64 s[8:9], s[8:9], exec
	s_or_b64 s[4:5], s[4:5], s[8:9]
	s_or_b64 exec, exec, s[6:7]
	s_and_saveexec_b64 s[6:7], s[4:5]
	s_cbranch_execnz .LBB32_643
	s_branch .LBB32_644
.LBB32_2693:
	s_movk_i32 s4, 0x80
	v_cmp_eq_u16_sdwa s[12:13], v2, s4 src0_sel:BYTE_0 src1_sel:DWORD
	s_mov_b64 s[4:5], -1
                                        ; implicit-def: $sgpr10
	s_and_saveexec_b64 s[8:9], s[12:13]
; %bb.2694:
	s_mov_b32 s10, 0x7f800001
	s_xor_b64 s[4:5], exec, -1
; %bb.2695:
	s_or_b64 exec, exec, s[8:9]
	s_and_b64 s[4:5], s[4:5], exec
	s_or_saveexec_b64 s[6:7], s[6:7]
	v_mov_b32_e32 v11, s10
	s_xor_b64 exec, exec, s[6:7]
	s_cbranch_execz .LBB32_646
.LBB32_2696:
	v_mov_b32_e32 v11, 0
	v_cmp_ne_u16_sdwa s[8:9], v2, v11 src0_sel:BYTE_0 src1_sel:DWORD
	s_andn2_b64 s[4:5], s[4:5], exec
	s_and_b64 s[8:9], s[8:9], exec
	s_or_b64 s[4:5], s[4:5], s[8:9]
	s_or_b64 exec, exec, s[6:7]
	s_and_saveexec_b64 s[6:7], s[4:5]
	s_cbranch_execnz .LBB32_647
	s_branch .LBB32_648
.LBB32_2697:
	s_movk_i32 s4, 0x80
	v_cmp_eq_u16_sdwa s[12:13], v11, s4 src0_sel:BYTE_0 src1_sel:DWORD
	s_mov_b64 s[4:5], -1
                                        ; implicit-def: $sgpr10
	s_and_saveexec_b64 s[8:9], s[12:13]
; %bb.2698:
	s_mov_b32 s10, 0x7f800001
	s_xor_b64 s[4:5], exec, -1
; %bb.2699:
	s_or_b64 exec, exec, s[8:9]
	s_and_b64 s[4:5], s[4:5], exec
	s_or_saveexec_b64 s[6:7], s[6:7]
	v_mov_b32_e32 v10, s10
	s_xor_b64 exec, exec, s[6:7]
	s_cbranch_execz .LBB32_650
.LBB32_2700:
	v_mov_b32_e32 v10, 0
	v_cmp_ne_u16_sdwa s[8:9], v11, v10 src0_sel:BYTE_0 src1_sel:DWORD
	s_andn2_b64 s[4:5], s[4:5], exec
	s_and_b64 s[8:9], s[8:9], exec
	s_or_b64 s[4:5], s[4:5], s[8:9]
	s_or_b64 exec, exec, s[6:7]
	s_and_saveexec_b64 s[6:7], s[4:5]
	s_cbranch_execnz .LBB32_651
	s_branch .LBB32_652
.LBB32_2701:
	s_movk_i32 s4, 0x80
	v_cmp_eq_u16_sdwa s[12:13], v11, s4 src0_sel:BYTE_0 src1_sel:DWORD
	s_mov_b64 s[4:5], -1
                                        ; implicit-def: $sgpr10
	s_and_saveexec_b64 s[8:9], s[12:13]
; %bb.2702:
	s_mov_b32 s10, 0x7f800001
	s_xor_b64 s[4:5], exec, -1
; %bb.2703:
	s_or_b64 exec, exec, s[8:9]
	s_and_b64 s[4:5], s[4:5], exec
	s_or_saveexec_b64 s[6:7], s[6:7]
	v_mov_b32_e32 v12, s10
	s_xor_b64 exec, exec, s[6:7]
	s_cbranch_execz .LBB32_654
.LBB32_2704:
	v_mov_b32_e32 v12, 0
	v_cmp_ne_u16_sdwa s[8:9], v11, v12 src0_sel:BYTE_0 src1_sel:DWORD
	s_andn2_b64 s[4:5], s[4:5], exec
	s_and_b64 s[8:9], s[8:9], exec
	s_or_b64 s[4:5], s[4:5], s[8:9]
	s_or_b64 exec, exec, s[6:7]
	s_and_saveexec_b64 s[6:7], s[4:5]
	s_cbranch_execnz .LBB32_655
	s_branch .LBB32_656
.LBB32_2705:
	s_movk_i32 s4, 0x80
	v_cmp_eq_u16_e32 vcc, s4, v11
	s_mov_b64 s[4:5], -1
                                        ; implicit-def: $sgpr10
	s_and_saveexec_b64 s[8:9], vcc
; %bb.2706:
	s_mov_b32 s10, 0x7f800001
	s_xor_b64 s[4:5], exec, -1
; %bb.2707:
	s_or_b64 exec, exec, s[8:9]
	s_and_b64 s[4:5], s[4:5], exec
                                        ; implicit-def: $vgpr11
	s_or_saveexec_b64 s[6:7], s[6:7]
	v_mov_b32_e32 v10, s10
	s_xor_b64 exec, exec, s[6:7]
	s_cbranch_execz .LBB32_658
.LBB32_2708:
	v_cmp_ne_u16_e32 vcc, 0, v11
	s_andn2_b64 s[4:5], s[4:5], exec
	s_and_b64 s[8:9], vcc, exec
	v_mov_b32_e32 v10, 0
	s_or_b64 s[4:5], s[4:5], s[8:9]
	s_or_b64 exec, exec, s[6:7]
	s_and_saveexec_b64 s[6:7], s[4:5]
	s_cbranch_execnz .LBB32_659
	s_branch .LBB32_660
.LBB32_2709:
	s_movk_i32 s4, 0x80
	v_cmp_eq_u16_e32 vcc, s4, v11
	s_mov_b64 s[4:5], -1
                                        ; implicit-def: $sgpr10
	s_and_saveexec_b64 s[8:9], vcc
; %bb.2710:
	s_mov_b32 s10, 0x7f800001
	s_xor_b64 s[4:5], exec, -1
; %bb.2711:
	s_or_b64 exec, exec, s[8:9]
	s_and_b64 s[4:5], s[4:5], exec
                                        ; implicit-def: $vgpr11
	s_or_saveexec_b64 s[6:7], s[6:7]
	v_mov_b32_e32 v12, s10
	s_xor_b64 exec, exec, s[6:7]
	s_cbranch_execz .LBB32_662
.LBB32_2712:
	v_cmp_ne_u16_e32 vcc, 0, v11
	s_andn2_b64 s[4:5], s[4:5], exec
	s_and_b64 s[8:9], vcc, exec
	v_mov_b32_e32 v12, 0
	s_or_b64 s[4:5], s[4:5], s[8:9]
	s_or_b64 exec, exec, s[6:7]
	s_and_saveexec_b64 s[6:7], s[4:5]
	s_cbranch_execnz .LBB32_663
	s_branch .LBB32_664
.LBB32_2713:
	s_movk_i32 s4, 0x80
	v_cmp_eq_u16_sdwa s[12:13], v6, s4 src0_sel:BYTE_3 src1_sel:DWORD
	s_mov_b64 s[4:5], -1
                                        ; implicit-def: $sgpr10
	s_and_saveexec_b64 s[8:9], s[12:13]
; %bb.2714:
	s_mov_b32 s10, 0x7f800001
	s_xor_b64 s[4:5], exec, -1
; %bb.2715:
	s_or_b64 exec, exec, s[8:9]
	s_and_b64 s[4:5], s[4:5], exec
	s_or_saveexec_b64 s[6:7], s[6:7]
	v_mov_b32_e32 v10, s10
	s_xor_b64 exec, exec, s[6:7]
	s_cbranch_execz .LBB32_666
.LBB32_2716:
	v_mov_b32_e32 v10, 0
	v_cmp_ne_u16_sdwa s[8:9], v6, v10 src0_sel:BYTE_3 src1_sel:DWORD
	s_andn2_b64 s[4:5], s[4:5], exec
	s_and_b64 s[8:9], s[8:9], exec
	s_or_b64 s[4:5], s[4:5], s[8:9]
	s_or_b64 exec, exec, s[6:7]
	s_and_saveexec_b64 s[6:7], s[4:5]
	s_cbranch_execnz .LBB32_667
	s_branch .LBB32_668
.LBB32_2717:
	s_movk_i32 s4, 0x80
	v_cmp_eq_u16_sdwa s[12:13], v2, s4 src0_sel:BYTE_3 src1_sel:DWORD
	s_mov_b64 s[4:5], -1
                                        ; implicit-def: $sgpr10
	s_and_saveexec_b64 s[8:9], s[12:13]
; %bb.2718:
	s_mov_b32 s10, 0x7f800001
	s_xor_b64 s[4:5], exec, -1
; %bb.2719:
	s_or_b64 exec, exec, s[8:9]
	s_and_b64 s[4:5], s[4:5], exec
	s_or_saveexec_b64 s[6:7], s[6:7]
	v_mov_b32_e32 v6, s10
	s_xor_b64 exec, exec, s[6:7]
	s_cbranch_execz .LBB32_670
.LBB32_2720:
	v_mov_b32_e32 v6, 0
	v_cmp_ne_u16_sdwa s[8:9], v2, v6 src0_sel:BYTE_3 src1_sel:DWORD
	s_andn2_b64 s[4:5], s[4:5], exec
	s_and_b64 s[8:9], s[8:9], exec
	s_or_b64 s[4:5], s[4:5], s[8:9]
	s_or_b64 exec, exec, s[6:7]
	s_and_saveexec_b64 s[6:7], s[4:5]
	s_cbranch_execnz .LBB32_671
	s_branch .LBB32_672
.LBB32_2721:
	s_movk_i32 s4, 0x80
	v_cmp_eq_u16_sdwa s[12:13], v7, s4 src0_sel:BYTE_0 src1_sel:DWORD
	s_mov_b64 s[4:5], -1
                                        ; implicit-def: $sgpr10
	s_and_saveexec_b64 s[8:9], s[12:13]
; %bb.2722:
	s_mov_b32 s10, 0x7f800001
	s_xor_b64 s[4:5], exec, -1
; %bb.2723:
	s_or_b64 exec, exec, s[8:9]
	s_and_b64 s[4:5], s[4:5], exec
	s_or_saveexec_b64 s[6:7], s[6:7]
	v_mov_b32_e32 v2, s10
	s_xor_b64 exec, exec, s[6:7]
	s_cbranch_execz .LBB32_674
.LBB32_2724:
	v_mov_b32_e32 v2, 0
	v_cmp_ne_u16_sdwa s[8:9], v7, v2 src0_sel:BYTE_0 src1_sel:DWORD
	s_andn2_b64 s[4:5], s[4:5], exec
	s_and_b64 s[8:9], s[8:9], exec
	s_or_b64 s[4:5], s[4:5], s[8:9]
	s_or_b64 exec, exec, s[6:7]
	s_and_saveexec_b64 s[6:7], s[4:5]
	s_cbranch_execnz .LBB32_675
	s_branch .LBB32_676
.LBB32_2725:
	s_movk_i32 s4, 0x80
	v_cmp_eq_u16_sdwa s[12:13], v3, s4 src0_sel:BYTE_0 src1_sel:DWORD
	s_mov_b64 s[4:5], -1
                                        ; implicit-def: $sgpr10
	s_and_saveexec_b64 s[8:9], s[12:13]
; %bb.2726:
	s_mov_b32 s10, 0x7f800001
	s_xor_b64 s[4:5], exec, -1
; %bb.2727:
	s_or_b64 exec, exec, s[8:9]
	s_and_b64 s[4:5], s[4:5], exec
	s_or_saveexec_b64 s[6:7], s[6:7]
	v_mov_b32_e32 v6, s10
	s_xor_b64 exec, exec, s[6:7]
	s_cbranch_execz .LBB32_678
.LBB32_2728:
	v_mov_b32_e32 v6, 0
	v_cmp_ne_u16_sdwa s[8:9], v3, v6 src0_sel:BYTE_0 src1_sel:DWORD
	s_andn2_b64 s[4:5], s[4:5], exec
	s_and_b64 s[8:9], s[8:9], exec
	s_or_b64 s[4:5], s[4:5], s[8:9]
	s_or_b64 exec, exec, s[6:7]
	s_and_saveexec_b64 s[6:7], s[4:5]
	s_cbranch_execnz .LBB32_679
	s_branch .LBB32_680
.LBB32_2729:
	s_movk_i32 s4, 0x80
	v_cmp_eq_u16_sdwa s[12:13], v6, s4 src0_sel:BYTE_0 src1_sel:DWORD
	s_mov_b64 s[4:5], -1
                                        ; implicit-def: $sgpr10
	s_and_saveexec_b64 s[8:9], s[12:13]
; %bb.2730:
	s_mov_b32 s10, 0x7f800001
	s_xor_b64 s[4:5], exec, -1
; %bb.2731:
	s_or_b64 exec, exec, s[8:9]
	s_and_b64 s[4:5], s[4:5], exec
	s_or_saveexec_b64 s[6:7], s[6:7]
	v_mov_b32_e32 v2, s10
	s_xor_b64 exec, exec, s[6:7]
	s_cbranch_execz .LBB32_682
.LBB32_2732:
	v_mov_b32_e32 v2, 0
	v_cmp_ne_u16_sdwa s[8:9], v6, v2 src0_sel:BYTE_0 src1_sel:DWORD
	s_andn2_b64 s[4:5], s[4:5], exec
	s_and_b64 s[8:9], s[8:9], exec
	s_or_b64 s[4:5], s[4:5], s[8:9]
	s_or_b64 exec, exec, s[6:7]
	s_and_saveexec_b64 s[6:7], s[4:5]
	s_cbranch_execnz .LBB32_683
	s_branch .LBB32_684
.LBB32_2733:
	s_movk_i32 s4, 0x80
	v_cmp_eq_u16_sdwa s[12:13], v6, s4 src0_sel:BYTE_0 src1_sel:DWORD
	s_mov_b64 s[4:5], -1
                                        ; implicit-def: $sgpr10
	s_and_saveexec_b64 s[8:9], s[12:13]
; %bb.2734:
	s_mov_b32 s10, 0x7f800001
	s_xor_b64 s[4:5], exec, -1
; %bb.2735:
	s_or_b64 exec, exec, s[8:9]
	s_and_b64 s[4:5], s[4:5], exec
	s_or_saveexec_b64 s[6:7], s[6:7]
	v_mov_b32_e32 v10, s10
	s_xor_b64 exec, exec, s[6:7]
	s_cbranch_execz .LBB32_686
.LBB32_2736:
	v_mov_b32_e32 v10, 0
	v_cmp_ne_u16_sdwa s[8:9], v6, v10 src0_sel:BYTE_0 src1_sel:DWORD
	s_andn2_b64 s[4:5], s[4:5], exec
	s_and_b64 s[8:9], s[8:9], exec
	s_or_b64 s[4:5], s[4:5], s[8:9]
	s_or_b64 exec, exec, s[6:7]
	s_and_saveexec_b64 s[6:7], s[4:5]
	s_cbranch_execnz .LBB32_687
	s_branch .LBB32_688
.LBB32_2737:
	s_movk_i32 s4, 0x80
	v_cmp_eq_u16_e32 vcc, s4, v6
	s_mov_b64 s[4:5], -1
                                        ; implicit-def: $sgpr10
	s_and_saveexec_b64 s[8:9], vcc
; %bb.2738:
	s_mov_b32 s10, 0x7f800001
	s_xor_b64 s[4:5], exec, -1
; %bb.2739:
	s_or_b64 exec, exec, s[8:9]
	s_and_b64 s[4:5], s[4:5], exec
                                        ; implicit-def: $vgpr6
	s_or_saveexec_b64 s[6:7], s[6:7]
	v_mov_b32_e32 v2, s10
	s_xor_b64 exec, exec, s[6:7]
	s_cbranch_execz .LBB32_690
.LBB32_2740:
	v_cmp_ne_u16_e32 vcc, 0, v6
	s_andn2_b64 s[4:5], s[4:5], exec
	s_and_b64 s[8:9], vcc, exec
	v_mov_b32_e32 v2, 0
	s_or_b64 s[4:5], s[4:5], s[8:9]
	s_or_b64 exec, exec, s[6:7]
	s_and_saveexec_b64 s[6:7], s[4:5]
	s_cbranch_execnz .LBB32_691
	s_branch .LBB32_692
.LBB32_2741:
	s_movk_i32 s4, 0x80
	v_cmp_eq_u16_e32 vcc, s4, v6
	s_mov_b64 s[4:5], -1
                                        ; implicit-def: $sgpr10
	s_and_saveexec_b64 s[8:9], vcc
; %bb.2742:
	s_mov_b32 s10, 0x7f800001
	s_xor_b64 s[4:5], exec, -1
; %bb.2743:
	s_or_b64 exec, exec, s[8:9]
	s_and_b64 s[4:5], s[4:5], exec
                                        ; implicit-def: $vgpr6
	s_or_saveexec_b64 s[6:7], s[6:7]
	v_mov_b32_e32 v10, s10
	s_xor_b64 exec, exec, s[6:7]
	s_cbranch_execz .LBB32_694
.LBB32_2744:
	v_cmp_ne_u16_e32 vcc, 0, v6
	s_andn2_b64 s[4:5], s[4:5], exec
	s_and_b64 s[8:9], vcc, exec
	v_mov_b32_e32 v10, 0
	s_or_b64 s[4:5], s[4:5], s[8:9]
	s_or_b64 exec, exec, s[6:7]
	s_and_saveexec_b64 s[6:7], s[4:5]
	s_cbranch_execnz .LBB32_695
	s_branch .LBB32_696
.LBB32_2745:
	s_movk_i32 s4, 0x80
	v_cmp_eq_u16_sdwa s[12:13], v7, s4 src0_sel:BYTE_3 src1_sel:DWORD
	s_mov_b64 s[4:5], -1
                                        ; implicit-def: $sgpr10
	s_and_saveexec_b64 s[8:9], s[12:13]
; %bb.2746:
	s_mov_b32 s10, 0x7f800001
	s_xor_b64 s[4:5], exec, -1
; %bb.2747:
	s_or_b64 exec, exec, s[8:9]
	s_and_b64 s[4:5], s[4:5], exec
	s_or_saveexec_b64 s[6:7], s[6:7]
	v_mov_b32_e32 v2, s10
	s_xor_b64 exec, exec, s[6:7]
	s_cbranch_execz .LBB32_698
.LBB32_2748:
	v_mov_b32_e32 v2, 0
	v_cmp_ne_u16_sdwa s[8:9], v7, v2 src0_sel:BYTE_3 src1_sel:DWORD
	s_andn2_b64 s[4:5], s[4:5], exec
	s_and_b64 s[8:9], s[8:9], exec
	s_or_b64 s[4:5], s[4:5], s[8:9]
	s_or_b64 exec, exec, s[6:7]
	s_and_saveexec_b64 s[6:7], s[4:5]
	s_cbranch_execnz .LBB32_699
	s_branch .LBB32_700
.LBB32_2749:
	s_movk_i32 s4, 0x80
	v_cmp_eq_u16_sdwa s[12:13], v3, s4 src0_sel:BYTE_3 src1_sel:DWORD
	s_mov_b64 s[4:5], -1
                                        ; implicit-def: $sgpr10
	s_and_saveexec_b64 s[8:9], s[12:13]
; %bb.2750:
	s_mov_b32 s10, 0x7f800001
	s_xor_b64 s[4:5], exec, -1
; %bb.2751:
	s_or_b64 exec, exec, s[8:9]
	s_and_b64 s[4:5], s[4:5], exec
	s_or_saveexec_b64 s[6:7], s[6:7]
	v_mov_b32_e32 v6, s10
	s_xor_b64 exec, exec, s[6:7]
	s_cbranch_execz .LBB32_702
.LBB32_2752:
	v_mov_b32_e32 v6, 0
	v_cmp_ne_u16_sdwa s[8:9], v3, v6 src0_sel:BYTE_3 src1_sel:DWORD
	s_andn2_b64 s[4:5], s[4:5], exec
	s_and_b64 s[8:9], s[8:9], exec
	s_or_b64 s[4:5], s[4:5], s[8:9]
	s_or_b64 exec, exec, s[6:7]
	s_and_saveexec_b64 s[6:7], s[4:5]
	s_cbranch_execnz .LBB32_703
	s_branch .LBB32_704
.LBB32_2753:
	s_movk_i32 s4, 0x80
	v_cmp_eq_u16_sdwa s[12:13], v8, s4 src0_sel:BYTE_0 src1_sel:DWORD
	s_mov_b64 s[4:5], -1
                                        ; implicit-def: $sgpr10
	s_and_saveexec_b64 s[8:9], s[12:13]
; %bb.2754:
	s_mov_b32 s10, 0x7f800001
	s_xor_b64 s[4:5], exec, -1
; %bb.2755:
	s_or_b64 exec, exec, s[8:9]
	s_and_b64 s[4:5], s[4:5], exec
	s_or_saveexec_b64 s[6:7], s[6:7]
	v_mov_b32_e32 v2, s10
	s_xor_b64 exec, exec, s[6:7]
	s_cbranch_execz .LBB32_706
.LBB32_2756:
	v_mov_b32_e32 v2, 0
	v_cmp_ne_u16_sdwa s[8:9], v8, v2 src0_sel:BYTE_0 src1_sel:DWORD
	s_andn2_b64 s[4:5], s[4:5], exec
	s_and_b64 s[8:9], s[8:9], exec
	s_or_b64 s[4:5], s[4:5], s[8:9]
	s_or_b64 exec, exec, s[6:7]
	s_and_saveexec_b64 s[6:7], s[4:5]
	s_cbranch_execnz .LBB32_707
	s_branch .LBB32_708
.LBB32_2757:
	s_movk_i32 s4, 0x80
	v_cmp_eq_u16_sdwa s[12:13], v4, s4 src0_sel:BYTE_0 src1_sel:DWORD
	s_mov_b64 s[4:5], -1
                                        ; implicit-def: $sgpr10
	s_and_saveexec_b64 s[8:9], s[12:13]
; %bb.2758:
	s_mov_b32 s10, 0x7f800001
	s_xor_b64 s[4:5], exec, -1
; %bb.2759:
	s_or_b64 exec, exec, s[8:9]
	s_and_b64 s[4:5], s[4:5], exec
	s_or_saveexec_b64 s[6:7], s[6:7]
	v_mov_b32_e32 v3, s10
	s_xor_b64 exec, exec, s[6:7]
	s_cbranch_execz .LBB32_710
.LBB32_2760:
	v_mov_b32_e32 v3, 0
	v_cmp_ne_u16_sdwa s[8:9], v4, v3 src0_sel:BYTE_0 src1_sel:DWORD
	s_andn2_b64 s[4:5], s[4:5], exec
	s_and_b64 s[8:9], s[8:9], exec
	s_or_b64 s[4:5], s[4:5], s[8:9]
	s_or_b64 exec, exec, s[6:7]
	s_and_saveexec_b64 s[6:7], s[4:5]
	s_cbranch_execnz .LBB32_711
	s_branch .LBB32_712
.LBB32_2761:
	s_movk_i32 s4, 0x80
	v_cmp_eq_u16_sdwa s[12:13], v3, s4 src0_sel:BYTE_0 src1_sel:DWORD
	s_mov_b64 s[4:5], -1
                                        ; implicit-def: $sgpr10
	s_and_saveexec_b64 s[8:9], s[12:13]
; %bb.2762:
	s_mov_b32 s10, 0x7f800001
	s_xor_b64 s[4:5], exec, -1
; %bb.2763:
	s_or_b64 exec, exec, s[8:9]
	s_and_b64 s[4:5], s[4:5], exec
	s_or_saveexec_b64 s[6:7], s[6:7]
	v_mov_b32_e32 v2, s10
	s_xor_b64 exec, exec, s[6:7]
	s_cbranch_execz .LBB32_714
.LBB32_2764:
	v_mov_b32_e32 v2, 0
	v_cmp_ne_u16_sdwa s[8:9], v3, v2 src0_sel:BYTE_0 src1_sel:DWORD
	s_andn2_b64 s[4:5], s[4:5], exec
	s_and_b64 s[8:9], s[8:9], exec
	s_or_b64 s[4:5], s[4:5], s[8:9]
	s_or_b64 exec, exec, s[6:7]
	s_and_saveexec_b64 s[6:7], s[4:5]
	s_cbranch_execnz .LBB32_715
	s_branch .LBB32_716
.LBB32_2765:
	s_movk_i32 s4, 0x80
	v_cmp_eq_u16_sdwa s[12:13], v3, s4 src0_sel:BYTE_0 src1_sel:DWORD
	s_mov_b64 s[4:5], -1
                                        ; implicit-def: $sgpr10
	s_and_saveexec_b64 s[8:9], s[12:13]
; %bb.2766:
	s_mov_b32 s10, 0x7f800001
	s_xor_b64 s[4:5], exec, -1
; %bb.2767:
	s_or_b64 exec, exec, s[8:9]
	s_and_b64 s[4:5], s[4:5], exec
	s_or_saveexec_b64 s[6:7], s[6:7]
	v_mov_b32_e32 v6, s10
	s_xor_b64 exec, exec, s[6:7]
	s_cbranch_execz .LBB32_718
.LBB32_2768:
	v_mov_b32_e32 v6, 0
	v_cmp_ne_u16_sdwa s[8:9], v3, v6 src0_sel:BYTE_0 src1_sel:DWORD
	s_andn2_b64 s[4:5], s[4:5], exec
	s_and_b64 s[8:9], s[8:9], exec
	s_or_b64 s[4:5], s[4:5], s[8:9]
	s_or_b64 exec, exec, s[6:7]
	s_and_saveexec_b64 s[6:7], s[4:5]
	s_cbranch_execnz .LBB32_719
	s_branch .LBB32_720
.LBB32_2769:
	s_movk_i32 s4, 0x80
	v_cmp_eq_u16_e32 vcc, s4, v3
	s_mov_b64 s[4:5], -1
                                        ; implicit-def: $sgpr10
	s_and_saveexec_b64 s[8:9], vcc
; %bb.2770:
	s_mov_b32 s10, 0x7f800001
	s_xor_b64 s[4:5], exec, -1
; %bb.2771:
	s_or_b64 exec, exec, s[8:9]
	s_and_b64 s[4:5], s[4:5], exec
                                        ; implicit-def: $vgpr3
	s_or_saveexec_b64 s[6:7], s[6:7]
	v_mov_b32_e32 v2, s10
	s_xor_b64 exec, exec, s[6:7]
	s_cbranch_execz .LBB32_722
.LBB32_2772:
	v_cmp_ne_u16_e32 vcc, 0, v3
	s_andn2_b64 s[4:5], s[4:5], exec
	s_and_b64 s[8:9], vcc, exec
	v_mov_b32_e32 v2, 0
	s_or_b64 s[4:5], s[4:5], s[8:9]
	s_or_b64 exec, exec, s[6:7]
	s_and_saveexec_b64 s[6:7], s[4:5]
	s_cbranch_execnz .LBB32_723
	s_branch .LBB32_724
.LBB32_2773:
	s_movk_i32 s4, 0x80
	v_cmp_eq_u16_e32 vcc, s4, v3
	s_mov_b64 s[4:5], -1
                                        ; implicit-def: $sgpr10
	s_and_saveexec_b64 s[8:9], vcc
; %bb.2774:
	s_mov_b32 s10, 0x7f800001
	s_xor_b64 s[4:5], exec, -1
; %bb.2775:
	s_or_b64 exec, exec, s[8:9]
	s_and_b64 s[4:5], s[4:5], exec
                                        ; implicit-def: $vgpr3
	s_or_saveexec_b64 s[6:7], s[6:7]
	v_mov_b32_e32 v6, s10
	s_xor_b64 exec, exec, s[6:7]
	s_cbranch_execz .LBB32_726
.LBB32_2776:
	v_cmp_ne_u16_e32 vcc, 0, v3
	s_andn2_b64 s[4:5], s[4:5], exec
	s_and_b64 s[8:9], vcc, exec
	v_mov_b32_e32 v6, 0
	s_or_b64 s[4:5], s[4:5], s[8:9]
	s_or_b64 exec, exec, s[6:7]
	s_and_saveexec_b64 s[6:7], s[4:5]
	s_cbranch_execnz .LBB32_727
	s_branch .LBB32_728
.LBB32_2777:
	s_movk_i32 s4, 0x80
	v_cmp_eq_u16_sdwa s[12:13], v8, s4 src0_sel:BYTE_3 src1_sel:DWORD
	s_mov_b64 s[4:5], -1
                                        ; implicit-def: $sgpr10
	s_and_saveexec_b64 s[8:9], s[12:13]
; %bb.2778:
	s_mov_b32 s10, 0x7f800001
	s_xor_b64 s[4:5], exec, -1
; %bb.2779:
	s_or_b64 exec, exec, s[8:9]
	s_and_b64 s[4:5], s[4:5], exec
	s_or_saveexec_b64 s[6:7], s[6:7]
	v_mov_b32_e32 v2, s10
	s_xor_b64 exec, exec, s[6:7]
	s_cbranch_execz .LBB32_730
.LBB32_2780:
	v_mov_b32_e32 v2, 0
	v_cmp_ne_u16_sdwa s[8:9], v8, v2 src0_sel:BYTE_3 src1_sel:DWORD
	s_andn2_b64 s[4:5], s[4:5], exec
	s_and_b64 s[8:9], s[8:9], exec
	s_or_b64 s[4:5], s[4:5], s[8:9]
	s_or_b64 exec, exec, s[6:7]
	s_and_saveexec_b64 s[6:7], s[4:5]
	s_cbranch_execnz .LBB32_731
	s_branch .LBB32_732
.LBB32_2781:
	s_movk_i32 s4, 0x80
	v_cmp_eq_u16_sdwa s[12:13], v4, s4 src0_sel:BYTE_3 src1_sel:DWORD
	s_mov_b64 s[4:5], -1
                                        ; implicit-def: $sgpr10
	s_and_saveexec_b64 s[8:9], s[12:13]
; %bb.2782:
	s_mov_b32 s10, 0x7f800001
	s_xor_b64 s[4:5], exec, -1
; %bb.2783:
	s_or_b64 exec, exec, s[8:9]
	s_and_b64 s[4:5], s[4:5], exec
	s_or_saveexec_b64 s[6:7], s[6:7]
	v_mov_b32_e32 v3, s10
	s_xor_b64 exec, exec, s[6:7]
	s_cbranch_execz .LBB32_734
.LBB32_2784:
	v_mov_b32_e32 v3, 0
	v_cmp_ne_u16_sdwa s[8:9], v4, v3 src0_sel:BYTE_3 src1_sel:DWORD
	s_andn2_b64 s[4:5], s[4:5], exec
	s_and_b64 s[8:9], s[8:9], exec
	s_or_b64 s[4:5], s[4:5], s[8:9]
	s_or_b64 exec, exec, s[6:7]
	s_and_saveexec_b64 s[6:7], s[4:5]
	s_cbranch_execnz .LBB32_735
	s_branch .LBB32_736
.LBB32_2785:
	s_movk_i32 s4, 0x80
	v_cmp_eq_u16_sdwa s[12:13], v9, s4 src0_sel:BYTE_0 src1_sel:DWORD
	s_mov_b64 s[4:5], -1
                                        ; implicit-def: $sgpr10
	s_and_saveexec_b64 s[8:9], s[12:13]
; %bb.2786:
	s_mov_b32 s10, 0x7f800001
	s_xor_b64 s[4:5], exec, -1
; %bb.2787:
	s_or_b64 exec, exec, s[8:9]
	s_and_b64 s[4:5], s[4:5], exec
	s_or_saveexec_b64 s[6:7], s[6:7]
	v_mov_b32_e32 v2, s10
	s_xor_b64 exec, exec, s[6:7]
	s_cbranch_execz .LBB32_738
.LBB32_2788:
	v_mov_b32_e32 v2, 0
	v_cmp_ne_u16_sdwa s[8:9], v9, v2 src0_sel:BYTE_0 src1_sel:DWORD
	s_andn2_b64 s[4:5], s[4:5], exec
	s_and_b64 s[8:9], s[8:9], exec
	s_or_b64 s[4:5], s[4:5], s[8:9]
	s_or_b64 exec, exec, s[6:7]
	s_and_saveexec_b64 s[6:7], s[4:5]
	s_cbranch_execnz .LBB32_739
	s_branch .LBB32_740
.LBB32_2789:
	s_movk_i32 s4, 0x80
	v_cmp_eq_u16_sdwa s[12:13], v5, s4 src0_sel:BYTE_0 src1_sel:DWORD
	s_mov_b64 s[4:5], -1
                                        ; implicit-def: $sgpr10
	s_and_saveexec_b64 s[8:9], s[12:13]
; %bb.2790:
	s_mov_b32 s10, 0x7f800001
	s_xor_b64 s[4:5], exec, -1
; %bb.2791:
	s_or_b64 exec, exec, s[8:9]
	s_and_b64 s[4:5], s[4:5], exec
	s_or_saveexec_b64 s[6:7], s[6:7]
	v_mov_b32_e32 v3, s10
	s_xor_b64 exec, exec, s[6:7]
	s_cbranch_execz .LBB32_742
.LBB32_2792:
	v_mov_b32_e32 v3, 0
	v_cmp_ne_u16_sdwa s[8:9], v5, v3 src0_sel:BYTE_0 src1_sel:DWORD
	s_andn2_b64 s[4:5], s[4:5], exec
	s_and_b64 s[8:9], s[8:9], exec
	s_or_b64 s[4:5], s[4:5], s[8:9]
	s_or_b64 exec, exec, s[6:7]
	s_and_saveexec_b64 s[6:7], s[4:5]
	s_cbranch_execnz .LBB32_743
	s_branch .LBB32_744
.LBB32_2793:
	s_movk_i32 s4, 0x80
	v_cmp_eq_u16_sdwa s[12:13], v3, s4 src0_sel:BYTE_0 src1_sel:DWORD
	s_mov_b64 s[4:5], -1
                                        ; implicit-def: $sgpr10
	s_and_saveexec_b64 s[8:9], s[12:13]
; %bb.2794:
	s_mov_b32 s10, 0x7f800001
	s_xor_b64 s[4:5], exec, -1
; %bb.2795:
	s_or_b64 exec, exec, s[8:9]
	s_and_b64 s[4:5], s[4:5], exec
	s_or_saveexec_b64 s[6:7], s[6:7]
	v_mov_b32_e32 v2, s10
	s_xor_b64 exec, exec, s[6:7]
	s_cbranch_execz .LBB32_746
.LBB32_2796:
	v_mov_b32_e32 v2, 0
	v_cmp_ne_u16_sdwa s[8:9], v3, v2 src0_sel:BYTE_0 src1_sel:DWORD
	s_andn2_b64 s[4:5], s[4:5], exec
	s_and_b64 s[8:9], s[8:9], exec
	s_or_b64 s[4:5], s[4:5], s[8:9]
	s_or_b64 exec, exec, s[6:7]
	s_and_saveexec_b64 s[6:7], s[4:5]
	s_cbranch_execnz .LBB32_747
	s_branch .LBB32_748
.LBB32_2797:
	s_movk_i32 s4, 0x80
	v_cmp_eq_u16_sdwa s[12:13], v3, s4 src0_sel:BYTE_0 src1_sel:DWORD
	s_mov_b64 s[4:5], -1
                                        ; implicit-def: $sgpr10
	s_and_saveexec_b64 s[8:9], s[12:13]
; %bb.2798:
	s_mov_b32 s10, 0x7f800001
	s_xor_b64 s[4:5], exec, -1
; %bb.2799:
	s_or_b64 exec, exec, s[8:9]
	s_and_b64 s[4:5], s[4:5], exec
	s_or_saveexec_b64 s[6:7], s[6:7]
	v_mov_b32_e32 v4, s10
	s_xor_b64 exec, exec, s[6:7]
	s_cbranch_execz .LBB32_750
.LBB32_2800:
	v_mov_b32_e32 v4, 0
	v_cmp_ne_u16_sdwa s[8:9], v3, v4 src0_sel:BYTE_0 src1_sel:DWORD
	s_andn2_b64 s[4:5], s[4:5], exec
	s_and_b64 s[8:9], s[8:9], exec
	s_or_b64 s[4:5], s[4:5], s[8:9]
	s_or_b64 exec, exec, s[6:7]
	s_and_saveexec_b64 s[6:7], s[4:5]
	s_cbranch_execnz .LBB32_751
	s_branch .LBB32_752
.LBB32_2801:
	s_movk_i32 s4, 0x80
	v_cmp_eq_u16_e32 vcc, s4, v3
	s_mov_b64 s[4:5], -1
                                        ; implicit-def: $sgpr10
	s_and_saveexec_b64 s[8:9], vcc
; %bb.2802:
	s_mov_b32 s10, 0x7f800001
	s_xor_b64 s[4:5], exec, -1
; %bb.2803:
	s_or_b64 exec, exec, s[8:9]
	s_and_b64 s[4:5], s[4:5], exec
                                        ; implicit-def: $vgpr3
	s_or_saveexec_b64 s[6:7], s[6:7]
	v_mov_b32_e32 v2, s10
	s_xor_b64 exec, exec, s[6:7]
	s_cbranch_execz .LBB32_754
.LBB32_2804:
	v_cmp_ne_u16_e32 vcc, 0, v3
	s_andn2_b64 s[4:5], s[4:5], exec
	s_and_b64 s[8:9], vcc, exec
	v_mov_b32_e32 v2, 0
	s_or_b64 s[4:5], s[4:5], s[8:9]
	s_or_b64 exec, exec, s[6:7]
	s_and_saveexec_b64 s[6:7], s[4:5]
	s_cbranch_execnz .LBB32_755
	s_branch .LBB32_756
.LBB32_2805:
	s_movk_i32 s4, 0x80
	v_cmp_eq_u16_e32 vcc, s4, v3
	s_mov_b64 s[4:5], -1
                                        ; implicit-def: $sgpr10
	s_and_saveexec_b64 s[8:9], vcc
; %bb.2806:
	s_mov_b32 s10, 0x7f800001
	s_xor_b64 s[4:5], exec, -1
; %bb.2807:
	s_or_b64 exec, exec, s[8:9]
	s_and_b64 s[4:5], s[4:5], exec
                                        ; implicit-def: $vgpr3
	s_or_saveexec_b64 s[6:7], s[6:7]
	v_mov_b32_e32 v4, s10
	s_xor_b64 exec, exec, s[6:7]
	s_cbranch_execz .LBB32_758
.LBB32_2808:
	v_cmp_ne_u16_e32 vcc, 0, v3
	s_andn2_b64 s[4:5], s[4:5], exec
	s_and_b64 s[8:9], vcc, exec
	v_mov_b32_e32 v4, 0
	s_or_b64 s[4:5], s[4:5], s[8:9]
	s_or_b64 exec, exec, s[6:7]
	s_and_saveexec_b64 s[6:7], s[4:5]
	s_cbranch_execnz .LBB32_759
	s_branch .LBB32_760
.LBB32_2809:
	s_movk_i32 s4, 0x80
	v_cmp_eq_u16_sdwa s[12:13], v9, s4 src0_sel:BYTE_3 src1_sel:DWORD
	s_mov_b64 s[4:5], -1
                                        ; implicit-def: $sgpr10
	s_and_saveexec_b64 s[8:9], s[12:13]
; %bb.2810:
	s_mov_b32 s10, 0x7f800001
	s_xor_b64 s[4:5], exec, -1
; %bb.2811:
	s_or_b64 exec, exec, s[8:9]
	s_and_b64 s[4:5], s[4:5], exec
	s_or_saveexec_b64 s[6:7], s[6:7]
	v_mov_b32_e32 v2, s10
	s_xor_b64 exec, exec, s[6:7]
	s_cbranch_execz .LBB32_762
.LBB32_2812:
	v_mov_b32_e32 v2, 0
	v_cmp_ne_u16_sdwa s[8:9], v9, v2 src0_sel:BYTE_3 src1_sel:DWORD
	s_andn2_b64 s[4:5], s[4:5], exec
	s_and_b64 s[8:9], s[8:9], exec
	s_or_b64 s[4:5], s[4:5], s[8:9]
	s_or_b64 exec, exec, s[6:7]
	s_and_saveexec_b64 s[6:7], s[4:5]
	s_cbranch_execnz .LBB32_763
	s_branch .LBB32_764
.LBB32_2813:
	s_movk_i32 s4, 0x80
	v_cmp_eq_u16_sdwa s[12:13], v5, s4 src0_sel:BYTE_3 src1_sel:DWORD
	s_mov_b64 s[4:5], -1
                                        ; implicit-def: $sgpr10
	s_and_saveexec_b64 s[8:9], s[12:13]
; %bb.2814:
	s_mov_b32 s10, 0x7f800001
	s_xor_b64 s[4:5], exec, -1
; %bb.2815:
	s_or_b64 exec, exec, s[8:9]
	s_and_b64 s[4:5], s[4:5], exec
	s_or_saveexec_b64 s[6:7], s[6:7]
	v_mov_b32_e32 v3, s10
	s_xor_b64 exec, exec, s[6:7]
	s_cbranch_execz .LBB32_766
.LBB32_2816:
	v_mov_b32_e32 v3, 0
	v_cmp_ne_u16_sdwa s[8:9], v5, v3 src0_sel:BYTE_3 src1_sel:DWORD
	s_andn2_b64 s[4:5], s[4:5], exec
	s_and_b64 s[8:9], s[8:9], exec
	s_or_b64 s[4:5], s[4:5], s[8:9]
	s_or_b64 exec, exec, s[6:7]
	s_and_saveexec_b64 s[6:7], s[4:5]
	s_cbranch_execnz .LBB32_767
	s_branch .LBB32_768
.LBB32_2817:
	s_movk_i32 s4, 0x80
	v_cmp_eq_u16_sdwa s[12:13], v14, s4 src0_sel:BYTE_0 src1_sel:DWORD
	s_mov_b64 s[4:5], -1
                                        ; implicit-def: $sgpr10
	s_and_saveexec_b64 s[8:9], s[12:13]
; %bb.2818:
	s_mov_b32 s10, 0x7f800001
	s_xor_b64 s[4:5], exec, -1
; %bb.2819:
	s_or_b64 exec, exec, s[8:9]
	s_and_b64 s[4:5], s[4:5], exec
	s_or_saveexec_b64 s[6:7], s[6:7]
	v_mov_b32_e32 v20, s10
	s_xor_b64 exec, exec, s[6:7]
	s_cbranch_execz .LBB32_770
.LBB32_2820:
	v_mov_b32_e32 v20, 0
	v_cmp_ne_u16_sdwa s[8:9], v14, v20 src0_sel:BYTE_0 src1_sel:DWORD
	s_andn2_b64 s[4:5], s[4:5], exec
	s_and_b64 s[8:9], s[8:9], exec
	s_or_b64 s[4:5], s[4:5], s[8:9]
	s_or_b64 exec, exec, s[6:7]
	s_and_saveexec_b64 s[6:7], s[4:5]
	s_cbranch_execnz .LBB32_771
	s_branch .LBB32_772
.LBB32_2821:
	s_movk_i32 s4, 0x80
	v_cmp_eq_u16_sdwa s[12:13], v10, s4 src0_sel:BYTE_0 src1_sel:DWORD
	s_mov_b64 s[4:5], -1
                                        ; implicit-def: $sgpr10
	s_and_saveexec_b64 s[8:9], s[12:13]
; %bb.2822:
	s_mov_b32 s10, 0x7f800001
	s_xor_b64 s[4:5], exec, -1
; %bb.2823:
	s_or_b64 exec, exec, s[8:9]
	s_and_b64 s[4:5], s[4:5], exec
	s_or_saveexec_b64 s[6:7], s[6:7]
	v_mov_b32_e32 v21, s10
	s_xor_b64 exec, exec, s[6:7]
	s_cbranch_execz .LBB32_774
.LBB32_2824:
	v_mov_b32_e32 v21, 0
	v_cmp_ne_u16_sdwa s[8:9], v10, v21 src0_sel:BYTE_0 src1_sel:DWORD
	s_andn2_b64 s[4:5], s[4:5], exec
	s_and_b64 s[8:9], s[8:9], exec
	s_or_b64 s[4:5], s[4:5], s[8:9]
	s_or_b64 exec, exec, s[6:7]
	s_and_saveexec_b64 s[6:7], s[4:5]
	s_cbranch_execnz .LBB32_775
	s_branch .LBB32_776
.LBB32_2825:
	s_movk_i32 s4, 0x80
	v_cmp_eq_u16_sdwa s[12:13], v21, s4 src0_sel:BYTE_0 src1_sel:DWORD
	s_mov_b64 s[4:5], -1
                                        ; implicit-def: $sgpr10
	s_and_saveexec_b64 s[8:9], s[12:13]
; %bb.2826:
	s_mov_b32 s10, 0x7f800001
	s_xor_b64 s[4:5], exec, -1
; %bb.2827:
	s_or_b64 exec, exec, s[8:9]
	s_and_b64 s[4:5], s[4:5], exec
	s_or_saveexec_b64 s[6:7], s[6:7]
	v_mov_b32_e32 v20, s10
	s_xor_b64 exec, exec, s[6:7]
	s_cbranch_execz .LBB32_778
.LBB32_2828:
	v_mov_b32_e32 v20, 0
	v_cmp_ne_u16_sdwa s[8:9], v21, v20 src0_sel:BYTE_0 src1_sel:DWORD
	s_andn2_b64 s[4:5], s[4:5], exec
	s_and_b64 s[8:9], s[8:9], exec
	s_or_b64 s[4:5], s[4:5], s[8:9]
	s_or_b64 exec, exec, s[6:7]
	s_and_saveexec_b64 s[6:7], s[4:5]
	s_cbranch_execnz .LBB32_779
	s_branch .LBB32_780
.LBB32_2829:
	s_movk_i32 s4, 0x80
	v_cmp_eq_u16_sdwa s[12:13], v21, s4 src0_sel:BYTE_0 src1_sel:DWORD
	s_mov_b64 s[4:5], -1
                                        ; implicit-def: $sgpr10
	s_and_saveexec_b64 s[8:9], s[12:13]
; %bb.2830:
	s_mov_b32 s10, 0x7f800001
	s_xor_b64 s[4:5], exec, -1
; %bb.2831:
	s_or_b64 exec, exec, s[8:9]
	s_and_b64 s[4:5], s[4:5], exec
	s_or_saveexec_b64 s[6:7], s[6:7]
	v_mov_b32_e32 v22, s10
	s_xor_b64 exec, exec, s[6:7]
	s_cbranch_execz .LBB32_782
.LBB32_2832:
	v_mov_b32_e32 v22, 0
	v_cmp_ne_u16_sdwa s[8:9], v21, v22 src0_sel:BYTE_0 src1_sel:DWORD
	s_andn2_b64 s[4:5], s[4:5], exec
	s_and_b64 s[8:9], s[8:9], exec
	s_or_b64 s[4:5], s[4:5], s[8:9]
	s_or_b64 exec, exec, s[6:7]
	s_and_saveexec_b64 s[6:7], s[4:5]
	s_cbranch_execnz .LBB32_783
	s_branch .LBB32_784
.LBB32_2833:
	s_movk_i32 s4, 0x80
	v_cmp_eq_u16_e32 vcc, s4, v21
	s_mov_b64 s[4:5], -1
                                        ; implicit-def: $sgpr10
	s_and_saveexec_b64 s[8:9], vcc
; %bb.2834:
	s_mov_b32 s10, 0x7f800001
	s_xor_b64 s[4:5], exec, -1
; %bb.2835:
	s_or_b64 exec, exec, s[8:9]
	s_and_b64 s[4:5], s[4:5], exec
                                        ; implicit-def: $vgpr21
	s_or_saveexec_b64 s[6:7], s[6:7]
	v_mov_b32_e32 v20, s10
	s_xor_b64 exec, exec, s[6:7]
	s_cbranch_execz .LBB32_786
.LBB32_2836:
	v_cmp_ne_u16_e32 vcc, 0, v21
	s_andn2_b64 s[4:5], s[4:5], exec
	s_and_b64 s[8:9], vcc, exec
	v_mov_b32_e32 v20, 0
	s_or_b64 s[4:5], s[4:5], s[8:9]
	s_or_b64 exec, exec, s[6:7]
	s_and_saveexec_b64 s[6:7], s[4:5]
	s_cbranch_execnz .LBB32_787
	s_branch .LBB32_788
.LBB32_2837:
	s_movk_i32 s4, 0x80
	v_cmp_eq_u16_e32 vcc, s4, v21
	s_mov_b64 s[4:5], -1
                                        ; implicit-def: $sgpr10
	s_and_saveexec_b64 s[8:9], vcc
; %bb.2838:
	s_mov_b32 s10, 0x7f800001
	s_xor_b64 s[4:5], exec, -1
; %bb.2839:
	s_or_b64 exec, exec, s[8:9]
	s_and_b64 s[4:5], s[4:5], exec
                                        ; implicit-def: $vgpr21
	s_or_saveexec_b64 s[6:7], s[6:7]
	v_mov_b32_e32 v22, s10
	s_xor_b64 exec, exec, s[6:7]
	s_cbranch_execz .LBB32_790
.LBB32_2840:
	v_cmp_ne_u16_e32 vcc, 0, v21
	s_andn2_b64 s[4:5], s[4:5], exec
	s_and_b64 s[8:9], vcc, exec
	v_mov_b32_e32 v22, 0
	s_or_b64 s[4:5], s[4:5], s[8:9]
	s_or_b64 exec, exec, s[6:7]
	s_and_saveexec_b64 s[6:7], s[4:5]
	s_cbranch_execnz .LBB32_791
	s_branch .LBB32_792
.LBB32_2841:
	s_movk_i32 s4, 0x80
	v_cmp_eq_u16_sdwa s[12:13], v14, s4 src0_sel:BYTE_3 src1_sel:DWORD
	s_mov_b64 s[4:5], -1
                                        ; implicit-def: $sgpr10
	s_and_saveexec_b64 s[8:9], s[12:13]
; %bb.2842:
	s_mov_b32 s10, 0x7f800001
	s_xor_b64 s[4:5], exec, -1
; %bb.2843:
	s_or_b64 exec, exec, s[8:9]
	s_and_b64 s[4:5], s[4:5], exec
	s_or_saveexec_b64 s[6:7], s[6:7]
	v_mov_b32_e32 v20, s10
	s_xor_b64 exec, exec, s[6:7]
	s_cbranch_execz .LBB32_794
.LBB32_2844:
	v_mov_b32_e32 v20, 0
	v_cmp_ne_u16_sdwa s[8:9], v14, v20 src0_sel:BYTE_3 src1_sel:DWORD
	s_andn2_b64 s[4:5], s[4:5], exec
	s_and_b64 s[8:9], s[8:9], exec
	s_or_b64 s[4:5], s[4:5], s[8:9]
	s_or_b64 exec, exec, s[6:7]
	s_and_saveexec_b64 s[6:7], s[4:5]
	s_cbranch_execnz .LBB32_795
	s_branch .LBB32_796
.LBB32_2845:
	s_movk_i32 s4, 0x80
	v_cmp_eq_u16_sdwa s[12:13], v10, s4 src0_sel:BYTE_3 src1_sel:DWORD
	s_mov_b64 s[4:5], -1
                                        ; implicit-def: $sgpr10
	s_and_saveexec_b64 s[8:9], s[12:13]
; %bb.2846:
	s_mov_b32 s10, 0x7f800001
	s_xor_b64 s[4:5], exec, -1
; %bb.2847:
	s_or_b64 exec, exec, s[8:9]
	s_and_b64 s[4:5], s[4:5], exec
	s_or_saveexec_b64 s[6:7], s[6:7]
	v_mov_b32_e32 v14, s10
	s_xor_b64 exec, exec, s[6:7]
	s_cbranch_execz .LBB32_798
.LBB32_2848:
	v_mov_b32_e32 v14, 0
	v_cmp_ne_u16_sdwa s[8:9], v10, v14 src0_sel:BYTE_3 src1_sel:DWORD
	s_andn2_b64 s[4:5], s[4:5], exec
	s_and_b64 s[8:9], s[8:9], exec
	s_or_b64 s[4:5], s[4:5], s[8:9]
	s_or_b64 exec, exec, s[6:7]
	s_and_saveexec_b64 s[6:7], s[4:5]
	s_cbranch_execnz .LBB32_799
	s_branch .LBB32_800
.LBB32_2849:
	s_movk_i32 s4, 0x80
	v_cmp_eq_u16_sdwa s[12:13], v15, s4 src0_sel:BYTE_0 src1_sel:DWORD
	s_mov_b64 s[4:5], -1
                                        ; implicit-def: $sgpr10
	s_and_saveexec_b64 s[8:9], s[12:13]
; %bb.2850:
	s_mov_b32 s10, 0x7f800001
	s_xor_b64 s[4:5], exec, -1
; %bb.2851:
	s_or_b64 exec, exec, s[8:9]
	s_and_b64 s[4:5], s[4:5], exec
	s_or_saveexec_b64 s[6:7], s[6:7]
	v_mov_b32_e32 v10, s10
	s_xor_b64 exec, exec, s[6:7]
	s_cbranch_execz .LBB32_802
.LBB32_2852:
	v_mov_b32_e32 v10, 0
	v_cmp_ne_u16_sdwa s[8:9], v15, v10 src0_sel:BYTE_0 src1_sel:DWORD
	s_andn2_b64 s[4:5], s[4:5], exec
	s_and_b64 s[8:9], s[8:9], exec
	s_or_b64 s[4:5], s[4:5], s[8:9]
	s_or_b64 exec, exec, s[6:7]
	s_and_saveexec_b64 s[6:7], s[4:5]
	s_cbranch_execnz .LBB32_803
	s_branch .LBB32_804
.LBB32_2853:
	s_movk_i32 s4, 0x80
	v_cmp_eq_u16_sdwa s[12:13], v11, s4 src0_sel:BYTE_0 src1_sel:DWORD
	s_mov_b64 s[4:5], -1
                                        ; implicit-def: $sgpr10
	s_and_saveexec_b64 s[8:9], s[12:13]
; %bb.2854:
	s_mov_b32 s10, 0x7f800001
	s_xor_b64 s[4:5], exec, -1
; %bb.2855:
	s_or_b64 exec, exec, s[8:9]
	s_and_b64 s[4:5], s[4:5], exec
	s_or_saveexec_b64 s[6:7], s[6:7]
	v_mov_b32_e32 v14, s10
	s_xor_b64 exec, exec, s[6:7]
	s_cbranch_execz .LBB32_806
.LBB32_2856:
	v_mov_b32_e32 v14, 0
	v_cmp_ne_u16_sdwa s[8:9], v11, v14 src0_sel:BYTE_0 src1_sel:DWORD
	s_andn2_b64 s[4:5], s[4:5], exec
	s_and_b64 s[8:9], s[8:9], exec
	s_or_b64 s[4:5], s[4:5], s[8:9]
	s_or_b64 exec, exec, s[6:7]
	s_and_saveexec_b64 s[6:7], s[4:5]
	s_cbranch_execnz .LBB32_807
	s_branch .LBB32_808
.LBB32_2857:
	s_movk_i32 s4, 0x80
	v_cmp_eq_u16_sdwa s[12:13], v14, s4 src0_sel:BYTE_0 src1_sel:DWORD
	s_mov_b64 s[4:5], -1
                                        ; implicit-def: $sgpr10
	s_and_saveexec_b64 s[8:9], s[12:13]
; %bb.2858:
	s_mov_b32 s10, 0x7f800001
	s_xor_b64 s[4:5], exec, -1
; %bb.2859:
	s_or_b64 exec, exec, s[8:9]
	s_and_b64 s[4:5], s[4:5], exec
	s_or_saveexec_b64 s[6:7], s[6:7]
	v_mov_b32_e32 v10, s10
	s_xor_b64 exec, exec, s[6:7]
	s_cbranch_execz .LBB32_810
.LBB32_2860:
	v_mov_b32_e32 v10, 0
	v_cmp_ne_u16_sdwa s[8:9], v14, v10 src0_sel:BYTE_0 src1_sel:DWORD
	s_andn2_b64 s[4:5], s[4:5], exec
	s_and_b64 s[8:9], s[8:9], exec
	s_or_b64 s[4:5], s[4:5], s[8:9]
	s_or_b64 exec, exec, s[6:7]
	s_and_saveexec_b64 s[6:7], s[4:5]
	s_cbranch_execnz .LBB32_811
	s_branch .LBB32_812
.LBB32_2861:
	s_movk_i32 s4, 0x80
	v_cmp_eq_u16_sdwa s[12:13], v14, s4 src0_sel:BYTE_0 src1_sel:DWORD
	s_mov_b64 s[4:5], -1
                                        ; implicit-def: $sgpr10
	s_and_saveexec_b64 s[8:9], s[12:13]
; %bb.2862:
	s_mov_b32 s10, 0x7f800001
	s_xor_b64 s[4:5], exec, -1
; %bb.2863:
	s_or_b64 exec, exec, s[8:9]
	s_and_b64 s[4:5], s[4:5], exec
	s_or_saveexec_b64 s[6:7], s[6:7]
	v_mov_b32_e32 v20, s10
	s_xor_b64 exec, exec, s[6:7]
	s_cbranch_execz .LBB32_814
.LBB32_2864:
	v_mov_b32_e32 v20, 0
	v_cmp_ne_u16_sdwa s[8:9], v14, v20 src0_sel:BYTE_0 src1_sel:DWORD
	s_andn2_b64 s[4:5], s[4:5], exec
	s_and_b64 s[8:9], s[8:9], exec
	s_or_b64 s[4:5], s[4:5], s[8:9]
	s_or_b64 exec, exec, s[6:7]
	s_and_saveexec_b64 s[6:7], s[4:5]
	s_cbranch_execnz .LBB32_815
	s_branch .LBB32_816
.LBB32_2865:
	s_movk_i32 s4, 0x80
	v_cmp_eq_u16_e32 vcc, s4, v14
	s_mov_b64 s[4:5], -1
                                        ; implicit-def: $sgpr10
	s_and_saveexec_b64 s[8:9], vcc
; %bb.2866:
	s_mov_b32 s10, 0x7f800001
	s_xor_b64 s[4:5], exec, -1
; %bb.2867:
	s_or_b64 exec, exec, s[8:9]
	s_and_b64 s[4:5], s[4:5], exec
                                        ; implicit-def: $vgpr14
	s_or_saveexec_b64 s[6:7], s[6:7]
	v_mov_b32_e32 v10, s10
	s_xor_b64 exec, exec, s[6:7]
	s_cbranch_execz .LBB32_818
.LBB32_2868:
	v_cmp_ne_u16_e32 vcc, 0, v14
	s_andn2_b64 s[4:5], s[4:5], exec
	s_and_b64 s[8:9], vcc, exec
	v_mov_b32_e32 v10, 0
	s_or_b64 s[4:5], s[4:5], s[8:9]
	s_or_b64 exec, exec, s[6:7]
	s_and_saveexec_b64 s[6:7], s[4:5]
	s_cbranch_execnz .LBB32_819
	s_branch .LBB32_820
.LBB32_2869:
	s_movk_i32 s4, 0x80
	v_cmp_eq_u16_e32 vcc, s4, v14
	s_mov_b64 s[4:5], -1
                                        ; implicit-def: $sgpr10
	s_and_saveexec_b64 s[8:9], vcc
; %bb.2870:
	s_mov_b32 s10, 0x7f800001
	s_xor_b64 s[4:5], exec, -1
; %bb.2871:
	s_or_b64 exec, exec, s[8:9]
	s_and_b64 s[4:5], s[4:5], exec
                                        ; implicit-def: $vgpr14
	s_or_saveexec_b64 s[6:7], s[6:7]
	v_mov_b32_e32 v20, s10
	s_xor_b64 exec, exec, s[6:7]
	s_cbranch_execz .LBB32_822
.LBB32_2872:
	v_cmp_ne_u16_e32 vcc, 0, v14
	s_andn2_b64 s[4:5], s[4:5], exec
	s_and_b64 s[8:9], vcc, exec
	v_mov_b32_e32 v20, 0
	s_or_b64 s[4:5], s[4:5], s[8:9]
	s_or_b64 exec, exec, s[6:7]
	s_and_saveexec_b64 s[6:7], s[4:5]
	s_cbranch_execnz .LBB32_823
	s_branch .LBB32_824
.LBB32_2873:
	s_movk_i32 s4, 0x80
	v_cmp_eq_u16_sdwa s[12:13], v15, s4 src0_sel:BYTE_3 src1_sel:DWORD
	s_mov_b64 s[4:5], -1
                                        ; implicit-def: $sgpr10
	s_and_saveexec_b64 s[8:9], s[12:13]
; %bb.2874:
	s_mov_b32 s10, 0x7f800001
	s_xor_b64 s[4:5], exec, -1
; %bb.2875:
	s_or_b64 exec, exec, s[8:9]
	s_and_b64 s[4:5], s[4:5], exec
	s_or_saveexec_b64 s[6:7], s[6:7]
	v_mov_b32_e32 v10, s10
	s_xor_b64 exec, exec, s[6:7]
	s_cbranch_execz .LBB32_826
.LBB32_2876:
	v_mov_b32_e32 v10, 0
	v_cmp_ne_u16_sdwa s[8:9], v15, v10 src0_sel:BYTE_3 src1_sel:DWORD
	s_andn2_b64 s[4:5], s[4:5], exec
	s_and_b64 s[8:9], s[8:9], exec
	s_or_b64 s[4:5], s[4:5], s[8:9]
	s_or_b64 exec, exec, s[6:7]
	s_and_saveexec_b64 s[6:7], s[4:5]
	s_cbranch_execnz .LBB32_827
	s_branch .LBB32_828
.LBB32_2877:
	s_movk_i32 s4, 0x80
	v_cmp_eq_u16_sdwa s[12:13], v11, s4 src0_sel:BYTE_3 src1_sel:DWORD
	s_mov_b64 s[4:5], -1
                                        ; implicit-def: $sgpr10
	s_and_saveexec_b64 s[8:9], s[12:13]
; %bb.2878:
	s_mov_b32 s10, 0x7f800001
	s_xor_b64 s[4:5], exec, -1
; %bb.2879:
	s_or_b64 exec, exec, s[8:9]
	s_and_b64 s[4:5], s[4:5], exec
	s_or_saveexec_b64 s[6:7], s[6:7]
	v_mov_b32_e32 v14, s10
	s_xor_b64 exec, exec, s[6:7]
	s_cbranch_execz .LBB32_830
.LBB32_2880:
	v_mov_b32_e32 v14, 0
	v_cmp_ne_u16_sdwa s[8:9], v11, v14 src0_sel:BYTE_3 src1_sel:DWORD
	s_andn2_b64 s[4:5], s[4:5], exec
	s_and_b64 s[8:9], s[8:9], exec
	s_or_b64 s[4:5], s[4:5], s[8:9]
	s_or_b64 exec, exec, s[6:7]
	s_and_saveexec_b64 s[6:7], s[4:5]
	s_cbranch_execnz .LBB32_831
	s_branch .LBB32_832
.LBB32_2881:
	s_movk_i32 s4, 0x80
	v_cmp_eq_u16_sdwa s[12:13], v16, s4 src0_sel:BYTE_0 src1_sel:DWORD
	s_mov_b64 s[4:5], -1
                                        ; implicit-def: $sgpr10
	s_and_saveexec_b64 s[8:9], s[12:13]
; %bb.2882:
	s_mov_b32 s10, 0x7f800001
	s_xor_b64 s[4:5], exec, -1
; %bb.2883:
	s_or_b64 exec, exec, s[8:9]
	s_and_b64 s[4:5], s[4:5], exec
	s_or_saveexec_b64 s[6:7], s[6:7]
	v_mov_b32_e32 v10, s10
	s_xor_b64 exec, exec, s[6:7]
	s_cbranch_execz .LBB32_834
.LBB32_2884:
	v_mov_b32_e32 v10, 0
	v_cmp_ne_u16_sdwa s[8:9], v16, v10 src0_sel:BYTE_0 src1_sel:DWORD
	s_andn2_b64 s[4:5], s[4:5], exec
	s_and_b64 s[8:9], s[8:9], exec
	s_or_b64 s[4:5], s[4:5], s[8:9]
	s_or_b64 exec, exec, s[6:7]
	s_and_saveexec_b64 s[6:7], s[4:5]
	s_cbranch_execnz .LBB32_835
	s_branch .LBB32_836
.LBB32_2885:
	s_movk_i32 s4, 0x80
	v_cmp_eq_u16_sdwa s[12:13], v12, s4 src0_sel:BYTE_0 src1_sel:DWORD
	s_mov_b64 s[4:5], -1
                                        ; implicit-def: $sgpr10
	s_and_saveexec_b64 s[8:9], s[12:13]
; %bb.2886:
	s_mov_b32 s10, 0x7f800001
	s_xor_b64 s[4:5], exec, -1
; %bb.2887:
	s_or_b64 exec, exec, s[8:9]
	s_and_b64 s[4:5], s[4:5], exec
	s_or_saveexec_b64 s[6:7], s[6:7]
	v_mov_b32_e32 v11, s10
	s_xor_b64 exec, exec, s[6:7]
	s_cbranch_execz .LBB32_838
.LBB32_2888:
	v_mov_b32_e32 v11, 0
	v_cmp_ne_u16_sdwa s[8:9], v12, v11 src0_sel:BYTE_0 src1_sel:DWORD
	s_andn2_b64 s[4:5], s[4:5], exec
	s_and_b64 s[8:9], s[8:9], exec
	s_or_b64 s[4:5], s[4:5], s[8:9]
	s_or_b64 exec, exec, s[6:7]
	s_and_saveexec_b64 s[6:7], s[4:5]
	s_cbranch_execnz .LBB32_839
	s_branch .LBB32_840
.LBB32_2889:
	s_movk_i32 s4, 0x80
	v_cmp_eq_u16_sdwa s[12:13], v11, s4 src0_sel:BYTE_0 src1_sel:DWORD
	s_mov_b64 s[4:5], -1
                                        ; implicit-def: $sgpr10
	s_and_saveexec_b64 s[8:9], s[12:13]
; %bb.2890:
	s_mov_b32 s10, 0x7f800001
	s_xor_b64 s[4:5], exec, -1
; %bb.2891:
	s_or_b64 exec, exec, s[8:9]
	s_and_b64 s[4:5], s[4:5], exec
	s_or_saveexec_b64 s[6:7], s[6:7]
	v_mov_b32_e32 v10, s10
	s_xor_b64 exec, exec, s[6:7]
	s_cbranch_execz .LBB32_842
.LBB32_2892:
	v_mov_b32_e32 v10, 0
	v_cmp_ne_u16_sdwa s[8:9], v11, v10 src0_sel:BYTE_0 src1_sel:DWORD
	s_andn2_b64 s[4:5], s[4:5], exec
	s_and_b64 s[8:9], s[8:9], exec
	s_or_b64 s[4:5], s[4:5], s[8:9]
	s_or_b64 exec, exec, s[6:7]
	s_and_saveexec_b64 s[6:7], s[4:5]
	s_cbranch_execnz .LBB32_843
	s_branch .LBB32_844
.LBB32_2893:
	s_movk_i32 s4, 0x80
	v_cmp_eq_u16_sdwa s[12:13], v11, s4 src0_sel:BYTE_0 src1_sel:DWORD
	s_mov_b64 s[4:5], -1
                                        ; implicit-def: $sgpr10
	s_and_saveexec_b64 s[8:9], s[12:13]
; %bb.2894:
	s_mov_b32 s10, 0x7f800001
	s_xor_b64 s[4:5], exec, -1
; %bb.2895:
	s_or_b64 exec, exec, s[8:9]
	s_and_b64 s[4:5], s[4:5], exec
	s_or_saveexec_b64 s[6:7], s[6:7]
	v_mov_b32_e32 v14, s10
	s_xor_b64 exec, exec, s[6:7]
	s_cbranch_execz .LBB32_846
.LBB32_2896:
	v_mov_b32_e32 v14, 0
	v_cmp_ne_u16_sdwa s[8:9], v11, v14 src0_sel:BYTE_0 src1_sel:DWORD
	s_andn2_b64 s[4:5], s[4:5], exec
	s_and_b64 s[8:9], s[8:9], exec
	s_or_b64 s[4:5], s[4:5], s[8:9]
	s_or_b64 exec, exec, s[6:7]
	s_and_saveexec_b64 s[6:7], s[4:5]
	s_cbranch_execnz .LBB32_847
	s_branch .LBB32_848
.LBB32_2897:
	s_movk_i32 s4, 0x80
	v_cmp_eq_u16_e32 vcc, s4, v11
	s_mov_b64 s[4:5], -1
                                        ; implicit-def: $sgpr10
	s_and_saveexec_b64 s[8:9], vcc
; %bb.2898:
	s_mov_b32 s10, 0x7f800001
	s_xor_b64 s[4:5], exec, -1
; %bb.2899:
	s_or_b64 exec, exec, s[8:9]
	s_and_b64 s[4:5], s[4:5], exec
                                        ; implicit-def: $vgpr11
	s_or_saveexec_b64 s[6:7], s[6:7]
	v_mov_b32_e32 v10, s10
	s_xor_b64 exec, exec, s[6:7]
	s_cbranch_execz .LBB32_850
.LBB32_2900:
	v_cmp_ne_u16_e32 vcc, 0, v11
	s_andn2_b64 s[4:5], s[4:5], exec
	s_and_b64 s[8:9], vcc, exec
	v_mov_b32_e32 v10, 0
	s_or_b64 s[4:5], s[4:5], s[8:9]
	s_or_b64 exec, exec, s[6:7]
	s_and_saveexec_b64 s[6:7], s[4:5]
	s_cbranch_execnz .LBB32_851
	s_branch .LBB32_852
.LBB32_2901:
	s_movk_i32 s4, 0x80
	v_cmp_eq_u16_e32 vcc, s4, v11
	s_mov_b64 s[4:5], -1
                                        ; implicit-def: $sgpr10
	s_and_saveexec_b64 s[8:9], vcc
; %bb.2902:
	s_mov_b32 s10, 0x7f800001
	s_xor_b64 s[4:5], exec, -1
; %bb.2903:
	s_or_b64 exec, exec, s[8:9]
	s_and_b64 s[4:5], s[4:5], exec
                                        ; implicit-def: $vgpr11
	s_or_saveexec_b64 s[6:7], s[6:7]
	v_mov_b32_e32 v14, s10
	s_xor_b64 exec, exec, s[6:7]
	s_cbranch_execz .LBB32_854
.LBB32_2904:
	v_cmp_ne_u16_e32 vcc, 0, v11
	s_andn2_b64 s[4:5], s[4:5], exec
	s_and_b64 s[8:9], vcc, exec
	v_mov_b32_e32 v14, 0
	s_or_b64 s[4:5], s[4:5], s[8:9]
	s_or_b64 exec, exec, s[6:7]
	s_and_saveexec_b64 s[6:7], s[4:5]
	s_cbranch_execnz .LBB32_855
	s_branch .LBB32_856
.LBB32_2905:
	s_movk_i32 s4, 0x80
	v_cmp_eq_u16_sdwa s[12:13], v16, s4 src0_sel:BYTE_3 src1_sel:DWORD
	s_mov_b64 s[4:5], -1
                                        ; implicit-def: $sgpr10
	s_and_saveexec_b64 s[8:9], s[12:13]
; %bb.2906:
	s_mov_b32 s10, 0x7f800001
	s_xor_b64 s[4:5], exec, -1
; %bb.2907:
	s_or_b64 exec, exec, s[8:9]
	s_and_b64 s[4:5], s[4:5], exec
	s_or_saveexec_b64 s[6:7], s[6:7]
	v_mov_b32_e32 v10, s10
	s_xor_b64 exec, exec, s[6:7]
	s_cbranch_execz .LBB32_858
.LBB32_2908:
	v_mov_b32_e32 v10, 0
	v_cmp_ne_u16_sdwa s[8:9], v16, v10 src0_sel:BYTE_3 src1_sel:DWORD
	s_andn2_b64 s[4:5], s[4:5], exec
	s_and_b64 s[8:9], s[8:9], exec
	s_or_b64 s[4:5], s[4:5], s[8:9]
	s_or_b64 exec, exec, s[6:7]
	s_and_saveexec_b64 s[6:7], s[4:5]
	s_cbranch_execnz .LBB32_859
	s_branch .LBB32_860
.LBB32_2909:
	s_movk_i32 s4, 0x80
	v_cmp_eq_u16_sdwa s[12:13], v12, s4 src0_sel:BYTE_3 src1_sel:DWORD
	s_mov_b64 s[4:5], -1
                                        ; implicit-def: $sgpr10
	s_and_saveexec_b64 s[8:9], s[12:13]
; %bb.2910:
	s_mov_b32 s10, 0x7f800001
	s_xor_b64 s[4:5], exec, -1
; %bb.2911:
	s_or_b64 exec, exec, s[8:9]
	s_and_b64 s[4:5], s[4:5], exec
	s_or_saveexec_b64 s[6:7], s[6:7]
	v_mov_b32_e32 v11, s10
	s_xor_b64 exec, exec, s[6:7]
	s_cbranch_execz .LBB32_862
.LBB32_2912:
	v_mov_b32_e32 v11, 0
	v_cmp_ne_u16_sdwa s[8:9], v12, v11 src0_sel:BYTE_3 src1_sel:DWORD
	s_andn2_b64 s[4:5], s[4:5], exec
	s_and_b64 s[8:9], s[8:9], exec
	s_or_b64 s[4:5], s[4:5], s[8:9]
	s_or_b64 exec, exec, s[6:7]
	s_and_saveexec_b64 s[6:7], s[4:5]
	s_cbranch_execnz .LBB32_863
	s_branch .LBB32_864
.LBB32_2913:
	s_movk_i32 s4, 0x80
	v_cmp_eq_u16_sdwa s[12:13], v17, s4 src0_sel:BYTE_0 src1_sel:DWORD
	s_mov_b64 s[4:5], -1
                                        ; implicit-def: $sgpr10
	s_and_saveexec_b64 s[8:9], s[12:13]
; %bb.2914:
	s_mov_b32 s10, 0x7f800001
	s_xor_b64 s[4:5], exec, -1
; %bb.2915:
	s_or_b64 exec, exec, s[8:9]
	s_and_b64 s[4:5], s[4:5], exec
	s_or_saveexec_b64 s[6:7], s[6:7]
	v_mov_b32_e32 v10, s10
	s_xor_b64 exec, exec, s[6:7]
	s_cbranch_execz .LBB32_866
.LBB32_2916:
	v_mov_b32_e32 v10, 0
	v_cmp_ne_u16_sdwa s[8:9], v17, v10 src0_sel:BYTE_0 src1_sel:DWORD
	s_andn2_b64 s[4:5], s[4:5], exec
	s_and_b64 s[8:9], s[8:9], exec
	s_or_b64 s[4:5], s[4:5], s[8:9]
	s_or_b64 exec, exec, s[6:7]
	s_and_saveexec_b64 s[6:7], s[4:5]
	s_cbranch_execnz .LBB32_867
	s_branch .LBB32_868
.LBB32_2917:
	s_movk_i32 s4, 0x80
	v_cmp_eq_u16_sdwa s[12:13], v13, s4 src0_sel:BYTE_0 src1_sel:DWORD
	s_mov_b64 s[4:5], -1
                                        ; implicit-def: $sgpr10
	s_and_saveexec_b64 s[8:9], s[12:13]
; %bb.2918:
	s_mov_b32 s10, 0x7f800001
	s_xor_b64 s[4:5], exec, -1
; %bb.2919:
	s_or_b64 exec, exec, s[8:9]
	s_and_b64 s[4:5], s[4:5], exec
	s_or_saveexec_b64 s[6:7], s[6:7]
	v_mov_b32_e32 v11, s10
	s_xor_b64 exec, exec, s[6:7]
	s_cbranch_execz .LBB32_870
.LBB32_2920:
	v_mov_b32_e32 v11, 0
	v_cmp_ne_u16_sdwa s[8:9], v13, v11 src0_sel:BYTE_0 src1_sel:DWORD
	s_andn2_b64 s[4:5], s[4:5], exec
	s_and_b64 s[8:9], s[8:9], exec
	s_or_b64 s[4:5], s[4:5], s[8:9]
	s_or_b64 exec, exec, s[6:7]
	s_and_saveexec_b64 s[6:7], s[4:5]
	s_cbranch_execnz .LBB32_871
	s_branch .LBB32_872
.LBB32_2921:
	s_movk_i32 s4, 0x80
	v_cmp_eq_u16_sdwa s[12:13], v11, s4 src0_sel:BYTE_0 src1_sel:DWORD
	s_mov_b64 s[4:5], -1
                                        ; implicit-def: $sgpr10
	s_and_saveexec_b64 s[8:9], s[12:13]
; %bb.2922:
	s_mov_b32 s10, 0x7f800001
	s_xor_b64 s[4:5], exec, -1
; %bb.2923:
	s_or_b64 exec, exec, s[8:9]
	s_and_b64 s[4:5], s[4:5], exec
	s_or_saveexec_b64 s[6:7], s[6:7]
	v_mov_b32_e32 v10, s10
	s_xor_b64 exec, exec, s[6:7]
	s_cbranch_execz .LBB32_874
.LBB32_2924:
	v_mov_b32_e32 v10, 0
	v_cmp_ne_u16_sdwa s[8:9], v11, v10 src0_sel:BYTE_0 src1_sel:DWORD
	s_andn2_b64 s[4:5], s[4:5], exec
	s_and_b64 s[8:9], s[8:9], exec
	s_or_b64 s[4:5], s[4:5], s[8:9]
	s_or_b64 exec, exec, s[6:7]
	s_and_saveexec_b64 s[6:7], s[4:5]
	s_cbranch_execnz .LBB32_875
	s_branch .LBB32_876
.LBB32_2925:
	s_movk_i32 s4, 0x80
	v_cmp_eq_u16_sdwa s[12:13], v11, s4 src0_sel:BYTE_0 src1_sel:DWORD
	s_mov_b64 s[4:5], -1
                                        ; implicit-def: $sgpr10
	s_and_saveexec_b64 s[8:9], s[12:13]
; %bb.2926:
	s_mov_b32 s10, 0x7f800001
	s_xor_b64 s[4:5], exec, -1
; %bb.2927:
	s_or_b64 exec, exec, s[8:9]
	s_and_b64 s[4:5], s[4:5], exec
	s_or_saveexec_b64 s[6:7], s[6:7]
	v_mov_b32_e32 v12, s10
	s_xor_b64 exec, exec, s[6:7]
	s_cbranch_execz .LBB32_878
.LBB32_2928:
	v_mov_b32_e32 v12, 0
	v_cmp_ne_u16_sdwa s[8:9], v11, v12 src0_sel:BYTE_0 src1_sel:DWORD
	s_andn2_b64 s[4:5], s[4:5], exec
	s_and_b64 s[8:9], s[8:9], exec
	s_or_b64 s[4:5], s[4:5], s[8:9]
	s_or_b64 exec, exec, s[6:7]
	s_and_saveexec_b64 s[6:7], s[4:5]
	s_cbranch_execnz .LBB32_879
	s_branch .LBB32_880
.LBB32_2929:
	s_movk_i32 s4, 0x80
	v_cmp_eq_u16_e32 vcc, s4, v11
	s_mov_b64 s[4:5], -1
                                        ; implicit-def: $sgpr10
	s_and_saveexec_b64 s[8:9], vcc
; %bb.2930:
	s_mov_b32 s10, 0x7f800001
	s_xor_b64 s[4:5], exec, -1
; %bb.2931:
	s_or_b64 exec, exec, s[8:9]
	s_and_b64 s[4:5], s[4:5], exec
                                        ; implicit-def: $vgpr11
	s_or_saveexec_b64 s[6:7], s[6:7]
	v_mov_b32_e32 v10, s10
	s_xor_b64 exec, exec, s[6:7]
	s_cbranch_execz .LBB32_882
.LBB32_2932:
	v_cmp_ne_u16_e32 vcc, 0, v11
	s_andn2_b64 s[4:5], s[4:5], exec
	s_and_b64 s[8:9], vcc, exec
	v_mov_b32_e32 v10, 0
	s_or_b64 s[4:5], s[4:5], s[8:9]
	s_or_b64 exec, exec, s[6:7]
	s_and_saveexec_b64 s[6:7], s[4:5]
	s_cbranch_execnz .LBB32_883
	s_branch .LBB32_884
.LBB32_2933:
	s_movk_i32 s4, 0x80
	v_cmp_eq_u16_e32 vcc, s4, v11
	s_mov_b64 s[4:5], -1
                                        ; implicit-def: $sgpr10
	s_and_saveexec_b64 s[8:9], vcc
; %bb.2934:
	s_mov_b32 s10, 0x7f800001
	s_xor_b64 s[4:5], exec, -1
; %bb.2935:
	s_or_b64 exec, exec, s[8:9]
	s_and_b64 s[4:5], s[4:5], exec
                                        ; implicit-def: $vgpr11
	s_or_saveexec_b64 s[6:7], s[6:7]
	v_mov_b32_e32 v12, s10
	s_xor_b64 exec, exec, s[6:7]
	s_cbranch_execz .LBB32_886
.LBB32_2936:
	v_cmp_ne_u16_e32 vcc, 0, v11
	s_andn2_b64 s[4:5], s[4:5], exec
	s_and_b64 s[8:9], vcc, exec
	v_mov_b32_e32 v12, 0
	s_or_b64 s[4:5], s[4:5], s[8:9]
	s_or_b64 exec, exec, s[6:7]
	s_and_saveexec_b64 s[6:7], s[4:5]
	s_cbranch_execnz .LBB32_887
	s_branch .LBB32_888
.LBB32_2937:
	s_movk_i32 s4, 0x80
	v_cmp_eq_u16_sdwa s[12:13], v17, s4 src0_sel:BYTE_3 src1_sel:DWORD
	s_mov_b64 s[4:5], -1
                                        ; implicit-def: $sgpr10
	s_and_saveexec_b64 s[8:9], s[12:13]
; %bb.2938:
	s_mov_b32 s10, 0x7f800001
	s_xor_b64 s[4:5], exec, -1
; %bb.2939:
	s_or_b64 exec, exec, s[8:9]
	s_and_b64 s[4:5], s[4:5], exec
	s_or_saveexec_b64 s[6:7], s[6:7]
	v_mov_b32_e32 v10, s10
	s_xor_b64 exec, exec, s[6:7]
	s_cbranch_execz .LBB32_890
.LBB32_2940:
	v_mov_b32_e32 v10, 0
	v_cmp_ne_u16_sdwa s[8:9], v17, v10 src0_sel:BYTE_3 src1_sel:DWORD
	s_andn2_b64 s[4:5], s[4:5], exec
	s_and_b64 s[8:9], s[8:9], exec
	s_or_b64 s[4:5], s[4:5], s[8:9]
	s_or_b64 exec, exec, s[6:7]
	s_and_saveexec_b64 s[6:7], s[4:5]
	s_cbranch_execnz .LBB32_891
	s_branch .LBB32_892
.LBB32_2941:
	s_movk_i32 s4, 0x80
	v_cmp_eq_u16_sdwa s[12:13], v13, s4 src0_sel:BYTE_3 src1_sel:DWORD
	s_mov_b64 s[4:5], -1
                                        ; implicit-def: $sgpr10
	s_and_saveexec_b64 s[8:9], s[12:13]
; %bb.2942:
	s_mov_b32 s10, 0x7f800001
	s_xor_b64 s[4:5], exec, -1
; %bb.2943:
	s_or_b64 exec, exec, s[8:9]
	s_and_b64 s[4:5], s[4:5], exec
	s_or_saveexec_b64 s[6:7], s[6:7]
	v_mov_b32_e32 v11, s10
	s_xor_b64 exec, exec, s[6:7]
	s_cbranch_execz .LBB32_894
.LBB32_2944:
	v_mov_b32_e32 v11, 0
	v_cmp_ne_u16_sdwa s[8:9], v13, v11 src0_sel:BYTE_3 src1_sel:DWORD
	s_andn2_b64 s[4:5], s[4:5], exec
	s_and_b64 s[8:9], s[8:9], exec
	s_or_b64 s[4:5], s[4:5], s[8:9]
	s_or_b64 exec, exec, s[6:7]
	s_and_saveexec_b64 s[6:7], s[4:5]
	s_cbranch_execnz .LBB32_895
	s_branch .LBB32_896
.LBB32_2945:
	s_movk_i32 s4, 0x80
	v_cmp_eq_u16_sdwa s[12:13], v6, s4 src0_sel:BYTE_0 src1_sel:DWORD
	s_mov_b64 s[4:5], -1
                                        ; implicit-def: $sgpr10
	s_and_saveexec_b64 s[8:9], s[12:13]
; %bb.2946:
	s_mov_b32 s10, 0x7f800001
	s_xor_b64 s[4:5], exec, -1
; %bb.2947:
	s_or_b64 exec, exec, s[8:9]
	s_and_b64 s[4:5], s[4:5], exec
	s_or_saveexec_b64 s[6:7], s[6:7]
	v_mov_b32_e32 v10, s10
	s_xor_b64 exec, exec, s[6:7]
	s_cbranch_execz .LBB32_898
.LBB32_2948:
	v_mov_b32_e32 v10, 0
	v_cmp_ne_u16_sdwa s[8:9], v6, v10 src0_sel:BYTE_0 src1_sel:DWORD
	s_andn2_b64 s[4:5], s[4:5], exec
	s_and_b64 s[8:9], s[8:9], exec
	s_or_b64 s[4:5], s[4:5], s[8:9]
	s_or_b64 exec, exec, s[6:7]
	s_and_saveexec_b64 s[6:7], s[4:5]
	s_cbranch_execnz .LBB32_899
	s_branch .LBB32_900
.LBB32_2949:
	s_movk_i32 s4, 0x80
	v_cmp_eq_u16_sdwa s[12:13], v2, s4 src0_sel:BYTE_0 src1_sel:DWORD
	s_mov_b64 s[4:5], -1
                                        ; implicit-def: $sgpr10
	s_and_saveexec_b64 s[8:9], s[12:13]
; %bb.2950:
	s_mov_b32 s10, 0x7f800001
	s_xor_b64 s[4:5], exec, -1
; %bb.2951:
	s_or_b64 exec, exec, s[8:9]
	s_and_b64 s[4:5], s[4:5], exec
	s_or_saveexec_b64 s[6:7], s[6:7]
	v_mov_b32_e32 v11, s10
	s_xor_b64 exec, exec, s[6:7]
	s_cbranch_execz .LBB32_902
.LBB32_2952:
	v_mov_b32_e32 v11, 0
	v_cmp_ne_u16_sdwa s[8:9], v2, v11 src0_sel:BYTE_0 src1_sel:DWORD
	s_andn2_b64 s[4:5], s[4:5], exec
	s_and_b64 s[8:9], s[8:9], exec
	s_or_b64 s[4:5], s[4:5], s[8:9]
	s_or_b64 exec, exec, s[6:7]
	s_and_saveexec_b64 s[6:7], s[4:5]
	s_cbranch_execnz .LBB32_903
	s_branch .LBB32_904
.LBB32_2953:
	s_movk_i32 s4, 0x80
	v_cmp_eq_u16_sdwa s[12:13], v11, s4 src0_sel:BYTE_0 src1_sel:DWORD
	s_mov_b64 s[4:5], -1
                                        ; implicit-def: $sgpr10
	s_and_saveexec_b64 s[8:9], s[12:13]
; %bb.2954:
	s_mov_b32 s10, 0x7f800001
	s_xor_b64 s[4:5], exec, -1
; %bb.2955:
	s_or_b64 exec, exec, s[8:9]
	s_and_b64 s[4:5], s[4:5], exec
	s_or_saveexec_b64 s[6:7], s[6:7]
	v_mov_b32_e32 v10, s10
	s_xor_b64 exec, exec, s[6:7]
	s_cbranch_execz .LBB32_906
.LBB32_2956:
	v_mov_b32_e32 v10, 0
	v_cmp_ne_u16_sdwa s[8:9], v11, v10 src0_sel:BYTE_0 src1_sel:DWORD
	s_andn2_b64 s[4:5], s[4:5], exec
	s_and_b64 s[8:9], s[8:9], exec
	s_or_b64 s[4:5], s[4:5], s[8:9]
	s_or_b64 exec, exec, s[6:7]
	s_and_saveexec_b64 s[6:7], s[4:5]
	s_cbranch_execnz .LBB32_907
	s_branch .LBB32_908
.LBB32_2957:
	s_movk_i32 s4, 0x80
	v_cmp_eq_u16_sdwa s[12:13], v11, s4 src0_sel:BYTE_0 src1_sel:DWORD
	s_mov_b64 s[4:5], -1
                                        ; implicit-def: $sgpr10
	s_and_saveexec_b64 s[8:9], s[12:13]
; %bb.2958:
	s_mov_b32 s10, 0x7f800001
	s_xor_b64 s[4:5], exec, -1
; %bb.2959:
	s_or_b64 exec, exec, s[8:9]
	s_and_b64 s[4:5], s[4:5], exec
	s_or_saveexec_b64 s[6:7], s[6:7]
	v_mov_b32_e32 v12, s10
	s_xor_b64 exec, exec, s[6:7]
	s_cbranch_execz .LBB32_910
.LBB32_2960:
	v_mov_b32_e32 v12, 0
	v_cmp_ne_u16_sdwa s[8:9], v11, v12 src0_sel:BYTE_0 src1_sel:DWORD
	s_andn2_b64 s[4:5], s[4:5], exec
	s_and_b64 s[8:9], s[8:9], exec
	s_or_b64 s[4:5], s[4:5], s[8:9]
	s_or_b64 exec, exec, s[6:7]
	s_and_saveexec_b64 s[6:7], s[4:5]
	s_cbranch_execnz .LBB32_911
	s_branch .LBB32_912
.LBB32_2961:
	s_movk_i32 s4, 0x80
	v_cmp_eq_u16_e32 vcc, s4, v11
	s_mov_b64 s[4:5], -1
                                        ; implicit-def: $sgpr10
	s_and_saveexec_b64 s[8:9], vcc
; %bb.2962:
	s_mov_b32 s10, 0x7f800001
	s_xor_b64 s[4:5], exec, -1
; %bb.2963:
	s_or_b64 exec, exec, s[8:9]
	s_and_b64 s[4:5], s[4:5], exec
                                        ; implicit-def: $vgpr11
	s_or_saveexec_b64 s[6:7], s[6:7]
	v_mov_b32_e32 v10, s10
	s_xor_b64 exec, exec, s[6:7]
	s_cbranch_execz .LBB32_914
.LBB32_2964:
	v_cmp_ne_u16_e32 vcc, 0, v11
	s_andn2_b64 s[4:5], s[4:5], exec
	s_and_b64 s[8:9], vcc, exec
	v_mov_b32_e32 v10, 0
	s_or_b64 s[4:5], s[4:5], s[8:9]
	s_or_b64 exec, exec, s[6:7]
	s_and_saveexec_b64 s[6:7], s[4:5]
	s_cbranch_execnz .LBB32_915
	s_branch .LBB32_916
.LBB32_2965:
	s_movk_i32 s4, 0x80
	v_cmp_eq_u16_e32 vcc, s4, v11
	s_mov_b64 s[4:5], -1
                                        ; implicit-def: $sgpr10
	s_and_saveexec_b64 s[8:9], vcc
; %bb.2966:
	s_mov_b32 s10, 0x7f800001
	s_xor_b64 s[4:5], exec, -1
; %bb.2967:
	s_or_b64 exec, exec, s[8:9]
	s_and_b64 s[4:5], s[4:5], exec
                                        ; implicit-def: $vgpr11
	s_or_saveexec_b64 s[6:7], s[6:7]
	v_mov_b32_e32 v12, s10
	s_xor_b64 exec, exec, s[6:7]
	s_cbranch_execz .LBB32_918
.LBB32_2968:
	v_cmp_ne_u16_e32 vcc, 0, v11
	s_andn2_b64 s[4:5], s[4:5], exec
	s_and_b64 s[8:9], vcc, exec
	v_mov_b32_e32 v12, 0
	s_or_b64 s[4:5], s[4:5], s[8:9]
	s_or_b64 exec, exec, s[6:7]
	s_and_saveexec_b64 s[6:7], s[4:5]
	s_cbranch_execnz .LBB32_919
	s_branch .LBB32_920
.LBB32_2969:
	s_movk_i32 s4, 0x80
	v_cmp_eq_u16_sdwa s[12:13], v6, s4 src0_sel:BYTE_3 src1_sel:DWORD
	s_mov_b64 s[4:5], -1
                                        ; implicit-def: $sgpr10
	s_and_saveexec_b64 s[8:9], s[12:13]
; %bb.2970:
	s_mov_b32 s10, 0x7f800001
	s_xor_b64 s[4:5], exec, -1
; %bb.2971:
	s_or_b64 exec, exec, s[8:9]
	s_and_b64 s[4:5], s[4:5], exec
	s_or_saveexec_b64 s[6:7], s[6:7]
	v_mov_b32_e32 v10, s10
	s_xor_b64 exec, exec, s[6:7]
	s_cbranch_execz .LBB32_922
.LBB32_2972:
	v_mov_b32_e32 v10, 0
	v_cmp_ne_u16_sdwa s[8:9], v6, v10 src0_sel:BYTE_3 src1_sel:DWORD
	s_andn2_b64 s[4:5], s[4:5], exec
	s_and_b64 s[8:9], s[8:9], exec
	s_or_b64 s[4:5], s[4:5], s[8:9]
	s_or_b64 exec, exec, s[6:7]
	s_and_saveexec_b64 s[6:7], s[4:5]
	s_cbranch_execnz .LBB32_923
	s_branch .LBB32_924
.LBB32_2973:
	s_movk_i32 s4, 0x80
	v_cmp_eq_u16_sdwa s[12:13], v2, s4 src0_sel:BYTE_3 src1_sel:DWORD
	s_mov_b64 s[4:5], -1
                                        ; implicit-def: $sgpr10
	s_and_saveexec_b64 s[8:9], s[12:13]
; %bb.2974:
	s_mov_b32 s10, 0x7f800001
	s_xor_b64 s[4:5], exec, -1
; %bb.2975:
	s_or_b64 exec, exec, s[8:9]
	s_and_b64 s[4:5], s[4:5], exec
	s_or_saveexec_b64 s[6:7], s[6:7]
	v_mov_b32_e32 v6, s10
	s_xor_b64 exec, exec, s[6:7]
	s_cbranch_execz .LBB32_926
.LBB32_2976:
	v_mov_b32_e32 v6, 0
	v_cmp_ne_u16_sdwa s[8:9], v2, v6 src0_sel:BYTE_3 src1_sel:DWORD
	s_andn2_b64 s[4:5], s[4:5], exec
	s_and_b64 s[8:9], s[8:9], exec
	s_or_b64 s[4:5], s[4:5], s[8:9]
	s_or_b64 exec, exec, s[6:7]
	s_and_saveexec_b64 s[6:7], s[4:5]
	s_cbranch_execnz .LBB32_927
	s_branch .LBB32_928
.LBB32_2977:
	s_movk_i32 s4, 0x80
	v_cmp_eq_u16_sdwa s[12:13], v7, s4 src0_sel:BYTE_0 src1_sel:DWORD
	s_mov_b64 s[4:5], -1
                                        ; implicit-def: $sgpr10
	s_and_saveexec_b64 s[8:9], s[12:13]
; %bb.2978:
	s_mov_b32 s10, 0x7f800001
	s_xor_b64 s[4:5], exec, -1
; %bb.2979:
	s_or_b64 exec, exec, s[8:9]
	s_and_b64 s[4:5], s[4:5], exec
	s_or_saveexec_b64 s[6:7], s[6:7]
	v_mov_b32_e32 v2, s10
	s_xor_b64 exec, exec, s[6:7]
	s_cbranch_execz .LBB32_930
.LBB32_2980:
	v_mov_b32_e32 v2, 0
	v_cmp_ne_u16_sdwa s[8:9], v7, v2 src0_sel:BYTE_0 src1_sel:DWORD
	s_andn2_b64 s[4:5], s[4:5], exec
	s_and_b64 s[8:9], s[8:9], exec
	s_or_b64 s[4:5], s[4:5], s[8:9]
	s_or_b64 exec, exec, s[6:7]
	s_and_saveexec_b64 s[6:7], s[4:5]
	s_cbranch_execnz .LBB32_931
	s_branch .LBB32_932
.LBB32_2981:
	s_movk_i32 s4, 0x80
	v_cmp_eq_u16_sdwa s[12:13], v3, s4 src0_sel:BYTE_0 src1_sel:DWORD
	s_mov_b64 s[4:5], -1
                                        ; implicit-def: $sgpr10
	s_and_saveexec_b64 s[8:9], s[12:13]
; %bb.2982:
	s_mov_b32 s10, 0x7f800001
	s_xor_b64 s[4:5], exec, -1
; %bb.2983:
	s_or_b64 exec, exec, s[8:9]
	s_and_b64 s[4:5], s[4:5], exec
	s_or_saveexec_b64 s[6:7], s[6:7]
	v_mov_b32_e32 v6, s10
	s_xor_b64 exec, exec, s[6:7]
	s_cbranch_execz .LBB32_934
.LBB32_2984:
	v_mov_b32_e32 v6, 0
	v_cmp_ne_u16_sdwa s[8:9], v3, v6 src0_sel:BYTE_0 src1_sel:DWORD
	s_andn2_b64 s[4:5], s[4:5], exec
	s_and_b64 s[8:9], s[8:9], exec
	s_or_b64 s[4:5], s[4:5], s[8:9]
	s_or_b64 exec, exec, s[6:7]
	s_and_saveexec_b64 s[6:7], s[4:5]
	s_cbranch_execnz .LBB32_935
	s_branch .LBB32_936
.LBB32_2985:
	s_movk_i32 s4, 0x80
	v_cmp_eq_u16_sdwa s[12:13], v6, s4 src0_sel:BYTE_0 src1_sel:DWORD
	s_mov_b64 s[4:5], -1
                                        ; implicit-def: $sgpr10
	s_and_saveexec_b64 s[8:9], s[12:13]
; %bb.2986:
	s_mov_b32 s10, 0x7f800001
	s_xor_b64 s[4:5], exec, -1
; %bb.2987:
	s_or_b64 exec, exec, s[8:9]
	s_and_b64 s[4:5], s[4:5], exec
	s_or_saveexec_b64 s[6:7], s[6:7]
	v_mov_b32_e32 v2, s10
	s_xor_b64 exec, exec, s[6:7]
	s_cbranch_execz .LBB32_938
.LBB32_2988:
	v_mov_b32_e32 v2, 0
	v_cmp_ne_u16_sdwa s[8:9], v6, v2 src0_sel:BYTE_0 src1_sel:DWORD
	s_andn2_b64 s[4:5], s[4:5], exec
	s_and_b64 s[8:9], s[8:9], exec
	s_or_b64 s[4:5], s[4:5], s[8:9]
	s_or_b64 exec, exec, s[6:7]
	s_and_saveexec_b64 s[6:7], s[4:5]
	s_cbranch_execnz .LBB32_939
	s_branch .LBB32_940
.LBB32_2989:
	s_movk_i32 s4, 0x80
	v_cmp_eq_u16_sdwa s[12:13], v6, s4 src0_sel:BYTE_0 src1_sel:DWORD
	s_mov_b64 s[4:5], -1
                                        ; implicit-def: $sgpr10
	s_and_saveexec_b64 s[8:9], s[12:13]
; %bb.2990:
	s_mov_b32 s10, 0x7f800001
	s_xor_b64 s[4:5], exec, -1
; %bb.2991:
	s_or_b64 exec, exec, s[8:9]
	s_and_b64 s[4:5], s[4:5], exec
	s_or_saveexec_b64 s[6:7], s[6:7]
	v_mov_b32_e32 v10, s10
	s_xor_b64 exec, exec, s[6:7]
	s_cbranch_execz .LBB32_942
.LBB32_2992:
	v_mov_b32_e32 v10, 0
	v_cmp_ne_u16_sdwa s[8:9], v6, v10 src0_sel:BYTE_0 src1_sel:DWORD
	s_andn2_b64 s[4:5], s[4:5], exec
	s_and_b64 s[8:9], s[8:9], exec
	s_or_b64 s[4:5], s[4:5], s[8:9]
	s_or_b64 exec, exec, s[6:7]
	s_and_saveexec_b64 s[6:7], s[4:5]
	s_cbranch_execnz .LBB32_943
	s_branch .LBB32_944
.LBB32_2993:
	s_movk_i32 s4, 0x80
	v_cmp_eq_u16_e32 vcc, s4, v6
	s_mov_b64 s[4:5], -1
                                        ; implicit-def: $sgpr10
	s_and_saveexec_b64 s[8:9], vcc
; %bb.2994:
	s_mov_b32 s10, 0x7f800001
	s_xor_b64 s[4:5], exec, -1
; %bb.2995:
	s_or_b64 exec, exec, s[8:9]
	s_and_b64 s[4:5], s[4:5], exec
                                        ; implicit-def: $vgpr6
	s_or_saveexec_b64 s[6:7], s[6:7]
	v_mov_b32_e32 v2, s10
	s_xor_b64 exec, exec, s[6:7]
	s_cbranch_execz .LBB32_946
.LBB32_2996:
	v_cmp_ne_u16_e32 vcc, 0, v6
	s_andn2_b64 s[4:5], s[4:5], exec
	s_and_b64 s[8:9], vcc, exec
	v_mov_b32_e32 v2, 0
	s_or_b64 s[4:5], s[4:5], s[8:9]
	s_or_b64 exec, exec, s[6:7]
	s_and_saveexec_b64 s[6:7], s[4:5]
	s_cbranch_execnz .LBB32_947
	s_branch .LBB32_948
.LBB32_2997:
	s_movk_i32 s4, 0x80
	v_cmp_eq_u16_e32 vcc, s4, v6
	s_mov_b64 s[4:5], -1
                                        ; implicit-def: $sgpr10
	s_and_saveexec_b64 s[8:9], vcc
; %bb.2998:
	s_mov_b32 s10, 0x7f800001
	s_xor_b64 s[4:5], exec, -1
; %bb.2999:
	s_or_b64 exec, exec, s[8:9]
	s_and_b64 s[4:5], s[4:5], exec
                                        ; implicit-def: $vgpr6
	s_or_saveexec_b64 s[6:7], s[6:7]
	v_mov_b32_e32 v10, s10
	s_xor_b64 exec, exec, s[6:7]
	s_cbranch_execz .LBB32_950
.LBB32_3000:
	v_cmp_ne_u16_e32 vcc, 0, v6
	s_andn2_b64 s[4:5], s[4:5], exec
	s_and_b64 s[8:9], vcc, exec
	v_mov_b32_e32 v10, 0
	s_or_b64 s[4:5], s[4:5], s[8:9]
	s_or_b64 exec, exec, s[6:7]
	s_and_saveexec_b64 s[6:7], s[4:5]
	s_cbranch_execnz .LBB32_951
	s_branch .LBB32_952
.LBB32_3001:
	s_movk_i32 s4, 0x80
	v_cmp_eq_u16_sdwa s[12:13], v7, s4 src0_sel:BYTE_3 src1_sel:DWORD
	s_mov_b64 s[4:5], -1
                                        ; implicit-def: $sgpr10
	s_and_saveexec_b64 s[8:9], s[12:13]
; %bb.3002:
	s_mov_b32 s10, 0x7f800001
	s_xor_b64 s[4:5], exec, -1
; %bb.3003:
	s_or_b64 exec, exec, s[8:9]
	s_and_b64 s[4:5], s[4:5], exec
	s_or_saveexec_b64 s[6:7], s[6:7]
	v_mov_b32_e32 v2, s10
	s_xor_b64 exec, exec, s[6:7]
	s_cbranch_execz .LBB32_954
.LBB32_3004:
	v_mov_b32_e32 v2, 0
	v_cmp_ne_u16_sdwa s[8:9], v7, v2 src0_sel:BYTE_3 src1_sel:DWORD
	s_andn2_b64 s[4:5], s[4:5], exec
	s_and_b64 s[8:9], s[8:9], exec
	s_or_b64 s[4:5], s[4:5], s[8:9]
	s_or_b64 exec, exec, s[6:7]
	s_and_saveexec_b64 s[6:7], s[4:5]
	s_cbranch_execnz .LBB32_955
	s_branch .LBB32_956
.LBB32_3005:
	s_movk_i32 s4, 0x80
	v_cmp_eq_u16_sdwa s[12:13], v3, s4 src0_sel:BYTE_3 src1_sel:DWORD
	s_mov_b64 s[4:5], -1
                                        ; implicit-def: $sgpr10
	s_and_saveexec_b64 s[8:9], s[12:13]
; %bb.3006:
	s_mov_b32 s10, 0x7f800001
	s_xor_b64 s[4:5], exec, -1
; %bb.3007:
	s_or_b64 exec, exec, s[8:9]
	s_and_b64 s[4:5], s[4:5], exec
	s_or_saveexec_b64 s[6:7], s[6:7]
	v_mov_b32_e32 v6, s10
	s_xor_b64 exec, exec, s[6:7]
	s_cbranch_execz .LBB32_958
.LBB32_3008:
	v_mov_b32_e32 v6, 0
	v_cmp_ne_u16_sdwa s[8:9], v3, v6 src0_sel:BYTE_3 src1_sel:DWORD
	s_andn2_b64 s[4:5], s[4:5], exec
	s_and_b64 s[8:9], s[8:9], exec
	s_or_b64 s[4:5], s[4:5], s[8:9]
	s_or_b64 exec, exec, s[6:7]
	s_and_saveexec_b64 s[6:7], s[4:5]
	s_cbranch_execnz .LBB32_959
	s_branch .LBB32_960
.LBB32_3009:
	s_movk_i32 s4, 0x80
	v_cmp_eq_u16_sdwa s[12:13], v8, s4 src0_sel:BYTE_0 src1_sel:DWORD
	s_mov_b64 s[4:5], -1
                                        ; implicit-def: $sgpr10
	s_and_saveexec_b64 s[8:9], s[12:13]
; %bb.3010:
	s_mov_b32 s10, 0x7f800001
	s_xor_b64 s[4:5], exec, -1
; %bb.3011:
	s_or_b64 exec, exec, s[8:9]
	s_and_b64 s[4:5], s[4:5], exec
	s_or_saveexec_b64 s[6:7], s[6:7]
	v_mov_b32_e32 v2, s10
	s_xor_b64 exec, exec, s[6:7]
	s_cbranch_execz .LBB32_962
.LBB32_3012:
	v_mov_b32_e32 v2, 0
	v_cmp_ne_u16_sdwa s[8:9], v8, v2 src0_sel:BYTE_0 src1_sel:DWORD
	s_andn2_b64 s[4:5], s[4:5], exec
	s_and_b64 s[8:9], s[8:9], exec
	s_or_b64 s[4:5], s[4:5], s[8:9]
	s_or_b64 exec, exec, s[6:7]
	s_and_saveexec_b64 s[6:7], s[4:5]
	s_cbranch_execnz .LBB32_963
	s_branch .LBB32_964
.LBB32_3013:
	s_movk_i32 s4, 0x80
	v_cmp_eq_u16_sdwa s[12:13], v4, s4 src0_sel:BYTE_0 src1_sel:DWORD
	s_mov_b64 s[4:5], -1
                                        ; implicit-def: $sgpr10
	s_and_saveexec_b64 s[8:9], s[12:13]
; %bb.3014:
	s_mov_b32 s10, 0x7f800001
	s_xor_b64 s[4:5], exec, -1
; %bb.3015:
	s_or_b64 exec, exec, s[8:9]
	s_and_b64 s[4:5], s[4:5], exec
	s_or_saveexec_b64 s[6:7], s[6:7]
	v_mov_b32_e32 v3, s10
	s_xor_b64 exec, exec, s[6:7]
	s_cbranch_execz .LBB32_966
.LBB32_3016:
	v_mov_b32_e32 v3, 0
	v_cmp_ne_u16_sdwa s[8:9], v4, v3 src0_sel:BYTE_0 src1_sel:DWORD
	s_andn2_b64 s[4:5], s[4:5], exec
	s_and_b64 s[8:9], s[8:9], exec
	s_or_b64 s[4:5], s[4:5], s[8:9]
	s_or_b64 exec, exec, s[6:7]
	s_and_saveexec_b64 s[6:7], s[4:5]
	s_cbranch_execnz .LBB32_967
	s_branch .LBB32_968
.LBB32_3017:
	s_movk_i32 s4, 0x80
	v_cmp_eq_u16_sdwa s[12:13], v3, s4 src0_sel:BYTE_0 src1_sel:DWORD
	s_mov_b64 s[4:5], -1
                                        ; implicit-def: $sgpr10
	s_and_saveexec_b64 s[8:9], s[12:13]
; %bb.3018:
	s_mov_b32 s10, 0x7f800001
	s_xor_b64 s[4:5], exec, -1
; %bb.3019:
	s_or_b64 exec, exec, s[8:9]
	s_and_b64 s[4:5], s[4:5], exec
	s_or_saveexec_b64 s[6:7], s[6:7]
	v_mov_b32_e32 v2, s10
	s_xor_b64 exec, exec, s[6:7]
	s_cbranch_execz .LBB32_970
.LBB32_3020:
	v_mov_b32_e32 v2, 0
	v_cmp_ne_u16_sdwa s[8:9], v3, v2 src0_sel:BYTE_0 src1_sel:DWORD
	s_andn2_b64 s[4:5], s[4:5], exec
	s_and_b64 s[8:9], s[8:9], exec
	s_or_b64 s[4:5], s[4:5], s[8:9]
	s_or_b64 exec, exec, s[6:7]
	s_and_saveexec_b64 s[6:7], s[4:5]
	s_cbranch_execnz .LBB32_971
	s_branch .LBB32_972
.LBB32_3021:
	s_movk_i32 s4, 0x80
	v_cmp_eq_u16_sdwa s[12:13], v3, s4 src0_sel:BYTE_0 src1_sel:DWORD
	s_mov_b64 s[4:5], -1
                                        ; implicit-def: $sgpr10
	s_and_saveexec_b64 s[8:9], s[12:13]
; %bb.3022:
	s_mov_b32 s10, 0x7f800001
	s_xor_b64 s[4:5], exec, -1
; %bb.3023:
	s_or_b64 exec, exec, s[8:9]
	s_and_b64 s[4:5], s[4:5], exec
	s_or_saveexec_b64 s[6:7], s[6:7]
	v_mov_b32_e32 v6, s10
	s_xor_b64 exec, exec, s[6:7]
	s_cbranch_execz .LBB32_974
.LBB32_3024:
	v_mov_b32_e32 v6, 0
	v_cmp_ne_u16_sdwa s[8:9], v3, v6 src0_sel:BYTE_0 src1_sel:DWORD
	s_andn2_b64 s[4:5], s[4:5], exec
	s_and_b64 s[8:9], s[8:9], exec
	s_or_b64 s[4:5], s[4:5], s[8:9]
	s_or_b64 exec, exec, s[6:7]
	s_and_saveexec_b64 s[6:7], s[4:5]
	s_cbranch_execnz .LBB32_975
	s_branch .LBB32_976
.LBB32_3025:
	s_movk_i32 s4, 0x80
	v_cmp_eq_u16_e32 vcc, s4, v3
	s_mov_b64 s[4:5], -1
                                        ; implicit-def: $sgpr10
	s_and_saveexec_b64 s[8:9], vcc
; %bb.3026:
	s_mov_b32 s10, 0x7f800001
	s_xor_b64 s[4:5], exec, -1
; %bb.3027:
	s_or_b64 exec, exec, s[8:9]
	s_and_b64 s[4:5], s[4:5], exec
                                        ; implicit-def: $vgpr3
	s_or_saveexec_b64 s[6:7], s[6:7]
	v_mov_b32_e32 v2, s10
	s_xor_b64 exec, exec, s[6:7]
	s_cbranch_execz .LBB32_978
.LBB32_3028:
	v_cmp_ne_u16_e32 vcc, 0, v3
	s_andn2_b64 s[4:5], s[4:5], exec
	s_and_b64 s[8:9], vcc, exec
	v_mov_b32_e32 v2, 0
	s_or_b64 s[4:5], s[4:5], s[8:9]
	s_or_b64 exec, exec, s[6:7]
	s_and_saveexec_b64 s[6:7], s[4:5]
	s_cbranch_execnz .LBB32_979
	s_branch .LBB32_980
.LBB32_3029:
	s_movk_i32 s4, 0x80
	v_cmp_eq_u16_e32 vcc, s4, v3
	s_mov_b64 s[4:5], -1
                                        ; implicit-def: $sgpr10
	s_and_saveexec_b64 s[8:9], vcc
; %bb.3030:
	s_mov_b32 s10, 0x7f800001
	s_xor_b64 s[4:5], exec, -1
; %bb.3031:
	s_or_b64 exec, exec, s[8:9]
	s_and_b64 s[4:5], s[4:5], exec
                                        ; implicit-def: $vgpr3
	s_or_saveexec_b64 s[6:7], s[6:7]
	v_mov_b32_e32 v6, s10
	s_xor_b64 exec, exec, s[6:7]
	s_cbranch_execz .LBB32_982
.LBB32_3032:
	v_cmp_ne_u16_e32 vcc, 0, v3
	s_andn2_b64 s[4:5], s[4:5], exec
	s_and_b64 s[8:9], vcc, exec
	v_mov_b32_e32 v6, 0
	s_or_b64 s[4:5], s[4:5], s[8:9]
	s_or_b64 exec, exec, s[6:7]
	s_and_saveexec_b64 s[6:7], s[4:5]
	s_cbranch_execnz .LBB32_983
	s_branch .LBB32_984
.LBB32_3033:
	s_movk_i32 s4, 0x80
	v_cmp_eq_u16_sdwa s[12:13], v8, s4 src0_sel:BYTE_3 src1_sel:DWORD
	s_mov_b64 s[4:5], -1
                                        ; implicit-def: $sgpr10
	s_and_saveexec_b64 s[8:9], s[12:13]
; %bb.3034:
	s_mov_b32 s10, 0x7f800001
	s_xor_b64 s[4:5], exec, -1
; %bb.3035:
	s_or_b64 exec, exec, s[8:9]
	s_and_b64 s[4:5], s[4:5], exec
	s_or_saveexec_b64 s[6:7], s[6:7]
	v_mov_b32_e32 v2, s10
	s_xor_b64 exec, exec, s[6:7]
	s_cbranch_execz .LBB32_986
.LBB32_3036:
	v_mov_b32_e32 v2, 0
	v_cmp_ne_u16_sdwa s[8:9], v8, v2 src0_sel:BYTE_3 src1_sel:DWORD
	s_andn2_b64 s[4:5], s[4:5], exec
	s_and_b64 s[8:9], s[8:9], exec
	s_or_b64 s[4:5], s[4:5], s[8:9]
	s_or_b64 exec, exec, s[6:7]
	s_and_saveexec_b64 s[6:7], s[4:5]
	s_cbranch_execnz .LBB32_987
	s_branch .LBB32_988
.LBB32_3037:
	s_movk_i32 s4, 0x80
	v_cmp_eq_u16_sdwa s[12:13], v4, s4 src0_sel:BYTE_3 src1_sel:DWORD
	s_mov_b64 s[4:5], -1
                                        ; implicit-def: $sgpr10
	s_and_saveexec_b64 s[8:9], s[12:13]
; %bb.3038:
	s_mov_b32 s10, 0x7f800001
	s_xor_b64 s[4:5], exec, -1
; %bb.3039:
	s_or_b64 exec, exec, s[8:9]
	s_and_b64 s[4:5], s[4:5], exec
	s_or_saveexec_b64 s[6:7], s[6:7]
	v_mov_b32_e32 v3, s10
	s_xor_b64 exec, exec, s[6:7]
	s_cbranch_execz .LBB32_990
.LBB32_3040:
	v_mov_b32_e32 v3, 0
	v_cmp_ne_u16_sdwa s[8:9], v4, v3 src0_sel:BYTE_3 src1_sel:DWORD
	s_andn2_b64 s[4:5], s[4:5], exec
	s_and_b64 s[8:9], s[8:9], exec
	s_or_b64 s[4:5], s[4:5], s[8:9]
	s_or_b64 exec, exec, s[6:7]
	s_and_saveexec_b64 s[6:7], s[4:5]
	s_cbranch_execnz .LBB32_991
	s_branch .LBB32_992
.LBB32_3041:
	s_movk_i32 s4, 0x80
	v_cmp_eq_u16_sdwa s[12:13], v9, s4 src0_sel:BYTE_0 src1_sel:DWORD
	s_mov_b64 s[4:5], -1
                                        ; implicit-def: $sgpr10
	s_and_saveexec_b64 s[8:9], s[12:13]
; %bb.3042:
	s_mov_b32 s10, 0x7f800001
	s_xor_b64 s[4:5], exec, -1
; %bb.3043:
	s_or_b64 exec, exec, s[8:9]
	s_and_b64 s[4:5], s[4:5], exec
	s_or_saveexec_b64 s[6:7], s[6:7]
	v_mov_b32_e32 v2, s10
	s_xor_b64 exec, exec, s[6:7]
	s_cbranch_execz .LBB32_994
.LBB32_3044:
	v_mov_b32_e32 v2, 0
	v_cmp_ne_u16_sdwa s[8:9], v9, v2 src0_sel:BYTE_0 src1_sel:DWORD
	s_andn2_b64 s[4:5], s[4:5], exec
	s_and_b64 s[8:9], s[8:9], exec
	s_or_b64 s[4:5], s[4:5], s[8:9]
	s_or_b64 exec, exec, s[6:7]
	s_and_saveexec_b64 s[6:7], s[4:5]
	s_cbranch_execnz .LBB32_995
	s_branch .LBB32_996
.LBB32_3045:
	s_movk_i32 s4, 0x80
	v_cmp_eq_u16_sdwa s[12:13], v5, s4 src0_sel:BYTE_0 src1_sel:DWORD
	s_mov_b64 s[4:5], -1
                                        ; implicit-def: $sgpr10
	s_and_saveexec_b64 s[8:9], s[12:13]
; %bb.3046:
	s_mov_b32 s10, 0x7f800001
	s_xor_b64 s[4:5], exec, -1
; %bb.3047:
	s_or_b64 exec, exec, s[8:9]
	s_and_b64 s[4:5], s[4:5], exec
	s_or_saveexec_b64 s[6:7], s[6:7]
	v_mov_b32_e32 v3, s10
	s_xor_b64 exec, exec, s[6:7]
	s_cbranch_execz .LBB32_998
.LBB32_3048:
	v_mov_b32_e32 v3, 0
	v_cmp_ne_u16_sdwa s[8:9], v5, v3 src0_sel:BYTE_0 src1_sel:DWORD
	s_andn2_b64 s[4:5], s[4:5], exec
	s_and_b64 s[8:9], s[8:9], exec
	s_or_b64 s[4:5], s[4:5], s[8:9]
	s_or_b64 exec, exec, s[6:7]
	s_and_saveexec_b64 s[6:7], s[4:5]
	s_cbranch_execnz .LBB32_999
	s_branch .LBB32_1000
.LBB32_3049:
	s_movk_i32 s4, 0x80
	v_cmp_eq_u16_sdwa s[12:13], v3, s4 src0_sel:BYTE_0 src1_sel:DWORD
	s_mov_b64 s[4:5], -1
                                        ; implicit-def: $sgpr10
	s_and_saveexec_b64 s[8:9], s[12:13]
; %bb.3050:
	s_mov_b32 s10, 0x7f800001
	s_xor_b64 s[4:5], exec, -1
; %bb.3051:
	s_or_b64 exec, exec, s[8:9]
	s_and_b64 s[4:5], s[4:5], exec
	s_or_saveexec_b64 s[6:7], s[6:7]
	v_mov_b32_e32 v2, s10
	s_xor_b64 exec, exec, s[6:7]
	s_cbranch_execz .LBB32_1002
.LBB32_3052:
	v_mov_b32_e32 v2, 0
	v_cmp_ne_u16_sdwa s[8:9], v3, v2 src0_sel:BYTE_0 src1_sel:DWORD
	s_andn2_b64 s[4:5], s[4:5], exec
	s_and_b64 s[8:9], s[8:9], exec
	s_or_b64 s[4:5], s[4:5], s[8:9]
	s_or_b64 exec, exec, s[6:7]
	s_and_saveexec_b64 s[6:7], s[4:5]
	s_cbranch_execnz .LBB32_1003
	s_branch .LBB32_1004
.LBB32_3053:
	s_movk_i32 s4, 0x80
	v_cmp_eq_u16_sdwa s[12:13], v3, s4 src0_sel:BYTE_0 src1_sel:DWORD
	s_mov_b64 s[4:5], -1
                                        ; implicit-def: $sgpr10
	s_and_saveexec_b64 s[8:9], s[12:13]
; %bb.3054:
	s_mov_b32 s10, 0x7f800001
	s_xor_b64 s[4:5], exec, -1
; %bb.3055:
	s_or_b64 exec, exec, s[8:9]
	s_and_b64 s[4:5], s[4:5], exec
	s_or_saveexec_b64 s[6:7], s[6:7]
	v_mov_b32_e32 v4, s10
	s_xor_b64 exec, exec, s[6:7]
	s_cbranch_execz .LBB32_1006
.LBB32_3056:
	v_mov_b32_e32 v4, 0
	v_cmp_ne_u16_sdwa s[8:9], v3, v4 src0_sel:BYTE_0 src1_sel:DWORD
	s_andn2_b64 s[4:5], s[4:5], exec
	s_and_b64 s[8:9], s[8:9], exec
	s_or_b64 s[4:5], s[4:5], s[8:9]
	s_or_b64 exec, exec, s[6:7]
	s_and_saveexec_b64 s[6:7], s[4:5]
	s_cbranch_execnz .LBB32_1007
	s_branch .LBB32_1008
.LBB32_3057:
	s_movk_i32 s4, 0x80
	v_cmp_eq_u16_e32 vcc, s4, v3
	s_mov_b64 s[4:5], -1
                                        ; implicit-def: $sgpr10
	s_and_saveexec_b64 s[8:9], vcc
; %bb.3058:
	s_mov_b32 s10, 0x7f800001
	s_xor_b64 s[4:5], exec, -1
; %bb.3059:
	s_or_b64 exec, exec, s[8:9]
	s_and_b64 s[4:5], s[4:5], exec
                                        ; implicit-def: $vgpr3
	s_or_saveexec_b64 s[6:7], s[6:7]
	v_mov_b32_e32 v2, s10
	s_xor_b64 exec, exec, s[6:7]
	s_cbranch_execz .LBB32_1010
.LBB32_3060:
	v_cmp_ne_u16_e32 vcc, 0, v3
	s_andn2_b64 s[4:5], s[4:5], exec
	s_and_b64 s[8:9], vcc, exec
	v_mov_b32_e32 v2, 0
	s_or_b64 s[4:5], s[4:5], s[8:9]
	s_or_b64 exec, exec, s[6:7]
	s_and_saveexec_b64 s[6:7], s[4:5]
	s_cbranch_execnz .LBB32_1011
	s_branch .LBB32_1012
.LBB32_3061:
	s_movk_i32 s4, 0x80
	v_cmp_eq_u16_e32 vcc, s4, v3
	s_mov_b64 s[4:5], -1
                                        ; implicit-def: $sgpr10
	s_and_saveexec_b64 s[8:9], vcc
; %bb.3062:
	s_mov_b32 s10, 0x7f800001
	s_xor_b64 s[4:5], exec, -1
; %bb.3063:
	s_or_b64 exec, exec, s[8:9]
	s_and_b64 s[4:5], s[4:5], exec
                                        ; implicit-def: $vgpr3
	s_or_saveexec_b64 s[6:7], s[6:7]
	v_mov_b32_e32 v4, s10
	s_xor_b64 exec, exec, s[6:7]
	s_cbranch_execz .LBB32_1014
.LBB32_3064:
	v_cmp_ne_u16_e32 vcc, 0, v3
	s_andn2_b64 s[4:5], s[4:5], exec
	s_and_b64 s[8:9], vcc, exec
	v_mov_b32_e32 v4, 0
	s_or_b64 s[4:5], s[4:5], s[8:9]
	s_or_b64 exec, exec, s[6:7]
	s_and_saveexec_b64 s[6:7], s[4:5]
	s_cbranch_execnz .LBB32_1015
	s_branch .LBB32_1016
.LBB32_3065:
	s_movk_i32 s4, 0x80
	v_cmp_eq_u16_sdwa s[12:13], v9, s4 src0_sel:BYTE_3 src1_sel:DWORD
	s_mov_b64 s[4:5], -1
                                        ; implicit-def: $sgpr10
	s_and_saveexec_b64 s[8:9], s[12:13]
; %bb.3066:
	s_mov_b32 s10, 0x7f800001
	s_xor_b64 s[4:5], exec, -1
; %bb.3067:
	s_or_b64 exec, exec, s[8:9]
	s_and_b64 s[4:5], s[4:5], exec
	s_or_saveexec_b64 s[6:7], s[6:7]
	v_mov_b32_e32 v2, s10
	s_xor_b64 exec, exec, s[6:7]
	s_cbranch_execz .LBB32_1018
.LBB32_3068:
	v_mov_b32_e32 v2, 0
	v_cmp_ne_u16_sdwa s[8:9], v9, v2 src0_sel:BYTE_3 src1_sel:DWORD
	s_andn2_b64 s[4:5], s[4:5], exec
	s_and_b64 s[8:9], s[8:9], exec
	s_or_b64 s[4:5], s[4:5], s[8:9]
	s_or_b64 exec, exec, s[6:7]
	s_and_saveexec_b64 s[6:7], s[4:5]
	s_cbranch_execnz .LBB32_1019
	s_branch .LBB32_1020
.LBB32_3069:
	s_movk_i32 s4, 0x80
	v_cmp_eq_u16_sdwa s[12:13], v5, s4 src0_sel:BYTE_3 src1_sel:DWORD
	s_mov_b64 s[4:5], -1
                                        ; implicit-def: $sgpr10
	s_and_saveexec_b64 s[8:9], s[12:13]
; %bb.3070:
	s_mov_b32 s10, 0x7f800001
	s_xor_b64 s[4:5], exec, -1
; %bb.3071:
	s_or_b64 exec, exec, s[8:9]
	s_and_b64 s[4:5], s[4:5], exec
	s_or_saveexec_b64 s[6:7], s[6:7]
	v_mov_b32_e32 v3, s10
	s_xor_b64 exec, exec, s[6:7]
	s_cbranch_execz .LBB32_1022
.LBB32_3072:
	v_mov_b32_e32 v3, 0
	v_cmp_ne_u16_sdwa s[8:9], v5, v3 src0_sel:BYTE_3 src1_sel:DWORD
	s_andn2_b64 s[4:5], s[4:5], exec
	s_and_b64 s[8:9], s[8:9], exec
	s_or_b64 s[4:5], s[4:5], s[8:9]
	s_or_b64 exec, exec, s[6:7]
	s_and_saveexec_b64 s[6:7], s[4:5]
	s_cbranch_execnz .LBB32_1023
	s_branch .LBB32_1024
.LBB32_3073:
	s_movk_i32 s4, 0x80
	v_cmp_eq_u16_sdwa s[12:13], v14, s4 src0_sel:BYTE_0 src1_sel:DWORD
	s_mov_b64 s[4:5], -1
                                        ; implicit-def: $sgpr10
	s_and_saveexec_b64 s[8:9], s[12:13]
; %bb.3074:
	s_mov_b32 s10, 0x7f800001
	s_xor_b64 s[4:5], exec, -1
; %bb.3075:
	s_or_b64 exec, exec, s[8:9]
	s_and_b64 s[4:5], s[4:5], exec
	s_or_saveexec_b64 s[6:7], s[6:7]
	v_mov_b32_e32 v20, s10
	s_xor_b64 exec, exec, s[6:7]
	s_cbranch_execz .LBB32_1026
.LBB32_3076:
	v_mov_b32_e32 v20, 0
	v_cmp_ne_u16_sdwa s[8:9], v14, v20 src0_sel:BYTE_0 src1_sel:DWORD
	s_andn2_b64 s[4:5], s[4:5], exec
	s_and_b64 s[8:9], s[8:9], exec
	s_or_b64 s[4:5], s[4:5], s[8:9]
	s_or_b64 exec, exec, s[6:7]
	s_and_saveexec_b64 s[6:7], s[4:5]
	s_cbranch_execnz .LBB32_1027
	s_branch .LBB32_1028
.LBB32_3077:
	s_movk_i32 s4, 0x80
	v_cmp_eq_u16_sdwa s[12:13], v10, s4 src0_sel:BYTE_0 src1_sel:DWORD
	s_mov_b64 s[4:5], -1
                                        ; implicit-def: $sgpr10
	s_and_saveexec_b64 s[8:9], s[12:13]
; %bb.3078:
	s_mov_b32 s10, 0x7f800001
	s_xor_b64 s[4:5], exec, -1
; %bb.3079:
	s_or_b64 exec, exec, s[8:9]
	s_and_b64 s[4:5], s[4:5], exec
	s_or_saveexec_b64 s[6:7], s[6:7]
	v_mov_b32_e32 v21, s10
	s_xor_b64 exec, exec, s[6:7]
	s_cbranch_execz .LBB32_1030
.LBB32_3080:
	v_mov_b32_e32 v21, 0
	v_cmp_ne_u16_sdwa s[8:9], v10, v21 src0_sel:BYTE_0 src1_sel:DWORD
	s_andn2_b64 s[4:5], s[4:5], exec
	s_and_b64 s[8:9], s[8:9], exec
	s_or_b64 s[4:5], s[4:5], s[8:9]
	s_or_b64 exec, exec, s[6:7]
	s_and_saveexec_b64 s[6:7], s[4:5]
	s_cbranch_execnz .LBB32_1031
	s_branch .LBB32_1032
.LBB32_3081:
	s_movk_i32 s4, 0x80
	v_cmp_eq_u16_sdwa s[12:13], v21, s4 src0_sel:BYTE_0 src1_sel:DWORD
	s_mov_b64 s[4:5], -1
                                        ; implicit-def: $sgpr10
	s_and_saveexec_b64 s[8:9], s[12:13]
; %bb.3082:
	s_mov_b32 s10, 0x7f800001
	s_xor_b64 s[4:5], exec, -1
; %bb.3083:
	s_or_b64 exec, exec, s[8:9]
	s_and_b64 s[4:5], s[4:5], exec
	s_or_saveexec_b64 s[6:7], s[6:7]
	v_mov_b32_e32 v20, s10
	s_xor_b64 exec, exec, s[6:7]
	s_cbranch_execz .LBB32_1034
.LBB32_3084:
	v_mov_b32_e32 v20, 0
	v_cmp_ne_u16_sdwa s[8:9], v21, v20 src0_sel:BYTE_0 src1_sel:DWORD
	s_andn2_b64 s[4:5], s[4:5], exec
	s_and_b64 s[8:9], s[8:9], exec
	s_or_b64 s[4:5], s[4:5], s[8:9]
	s_or_b64 exec, exec, s[6:7]
	s_and_saveexec_b64 s[6:7], s[4:5]
	s_cbranch_execnz .LBB32_1035
	s_branch .LBB32_1036
.LBB32_3085:
	s_movk_i32 s4, 0x80
	v_cmp_eq_u16_sdwa s[12:13], v21, s4 src0_sel:BYTE_0 src1_sel:DWORD
	s_mov_b64 s[4:5], -1
                                        ; implicit-def: $sgpr10
	s_and_saveexec_b64 s[8:9], s[12:13]
; %bb.3086:
	s_mov_b32 s10, 0x7f800001
	s_xor_b64 s[4:5], exec, -1
; %bb.3087:
	s_or_b64 exec, exec, s[8:9]
	s_and_b64 s[4:5], s[4:5], exec
	s_or_saveexec_b64 s[6:7], s[6:7]
	v_mov_b32_e32 v22, s10
	s_xor_b64 exec, exec, s[6:7]
	s_cbranch_execz .LBB32_1038
.LBB32_3088:
	v_mov_b32_e32 v22, 0
	v_cmp_ne_u16_sdwa s[8:9], v21, v22 src0_sel:BYTE_0 src1_sel:DWORD
	s_andn2_b64 s[4:5], s[4:5], exec
	s_and_b64 s[8:9], s[8:9], exec
	s_or_b64 s[4:5], s[4:5], s[8:9]
	s_or_b64 exec, exec, s[6:7]
	s_and_saveexec_b64 s[6:7], s[4:5]
	s_cbranch_execnz .LBB32_1039
	s_branch .LBB32_1040
.LBB32_3089:
	s_movk_i32 s4, 0x80
	v_cmp_eq_u16_e32 vcc, s4, v21
	s_mov_b64 s[4:5], -1
                                        ; implicit-def: $sgpr10
	s_and_saveexec_b64 s[8:9], vcc
; %bb.3090:
	s_mov_b32 s10, 0x7f800001
	s_xor_b64 s[4:5], exec, -1
; %bb.3091:
	s_or_b64 exec, exec, s[8:9]
	s_and_b64 s[4:5], s[4:5], exec
                                        ; implicit-def: $vgpr21
	s_or_saveexec_b64 s[6:7], s[6:7]
	v_mov_b32_e32 v20, s10
	s_xor_b64 exec, exec, s[6:7]
	s_cbranch_execz .LBB32_1042
.LBB32_3092:
	v_cmp_ne_u16_e32 vcc, 0, v21
	s_andn2_b64 s[4:5], s[4:5], exec
	s_and_b64 s[8:9], vcc, exec
	v_mov_b32_e32 v20, 0
	s_or_b64 s[4:5], s[4:5], s[8:9]
	s_or_b64 exec, exec, s[6:7]
	s_and_saveexec_b64 s[6:7], s[4:5]
	s_cbranch_execnz .LBB32_1043
	s_branch .LBB32_1044
.LBB32_3093:
	s_movk_i32 s4, 0x80
	v_cmp_eq_u16_e32 vcc, s4, v21
	s_mov_b64 s[4:5], -1
                                        ; implicit-def: $sgpr10
	s_and_saveexec_b64 s[8:9], vcc
; %bb.3094:
	s_mov_b32 s10, 0x7f800001
	s_xor_b64 s[4:5], exec, -1
; %bb.3095:
	s_or_b64 exec, exec, s[8:9]
	s_and_b64 s[4:5], s[4:5], exec
                                        ; implicit-def: $vgpr21
	s_or_saveexec_b64 s[6:7], s[6:7]
	v_mov_b32_e32 v22, s10
	s_xor_b64 exec, exec, s[6:7]
	s_cbranch_execz .LBB32_1046
.LBB32_3096:
	v_cmp_ne_u16_e32 vcc, 0, v21
	s_andn2_b64 s[4:5], s[4:5], exec
	s_and_b64 s[8:9], vcc, exec
	v_mov_b32_e32 v22, 0
	s_or_b64 s[4:5], s[4:5], s[8:9]
	s_or_b64 exec, exec, s[6:7]
	s_and_saveexec_b64 s[6:7], s[4:5]
	s_cbranch_execnz .LBB32_1047
	s_branch .LBB32_1048
.LBB32_3097:
	s_movk_i32 s4, 0x80
	v_cmp_eq_u16_sdwa s[12:13], v14, s4 src0_sel:BYTE_3 src1_sel:DWORD
	s_mov_b64 s[4:5], -1
                                        ; implicit-def: $sgpr10
	s_and_saveexec_b64 s[8:9], s[12:13]
; %bb.3098:
	s_mov_b32 s10, 0x7f800001
	s_xor_b64 s[4:5], exec, -1
; %bb.3099:
	s_or_b64 exec, exec, s[8:9]
	s_and_b64 s[4:5], s[4:5], exec
	s_or_saveexec_b64 s[6:7], s[6:7]
	v_mov_b32_e32 v20, s10
	s_xor_b64 exec, exec, s[6:7]
	s_cbranch_execz .LBB32_1050
.LBB32_3100:
	v_mov_b32_e32 v20, 0
	v_cmp_ne_u16_sdwa s[8:9], v14, v20 src0_sel:BYTE_3 src1_sel:DWORD
	s_andn2_b64 s[4:5], s[4:5], exec
	s_and_b64 s[8:9], s[8:9], exec
	s_or_b64 s[4:5], s[4:5], s[8:9]
	s_or_b64 exec, exec, s[6:7]
	s_and_saveexec_b64 s[6:7], s[4:5]
	s_cbranch_execnz .LBB32_1051
	s_branch .LBB32_1052
.LBB32_3101:
	s_movk_i32 s4, 0x80
	v_cmp_eq_u16_sdwa s[12:13], v10, s4 src0_sel:BYTE_3 src1_sel:DWORD
	s_mov_b64 s[4:5], -1
                                        ; implicit-def: $sgpr10
	s_and_saveexec_b64 s[8:9], s[12:13]
; %bb.3102:
	s_mov_b32 s10, 0x7f800001
	s_xor_b64 s[4:5], exec, -1
; %bb.3103:
	s_or_b64 exec, exec, s[8:9]
	s_and_b64 s[4:5], s[4:5], exec
	s_or_saveexec_b64 s[6:7], s[6:7]
	v_mov_b32_e32 v14, s10
	s_xor_b64 exec, exec, s[6:7]
	s_cbranch_execz .LBB32_1054
.LBB32_3104:
	v_mov_b32_e32 v14, 0
	v_cmp_ne_u16_sdwa s[8:9], v10, v14 src0_sel:BYTE_3 src1_sel:DWORD
	s_andn2_b64 s[4:5], s[4:5], exec
	s_and_b64 s[8:9], s[8:9], exec
	s_or_b64 s[4:5], s[4:5], s[8:9]
	s_or_b64 exec, exec, s[6:7]
	s_and_saveexec_b64 s[6:7], s[4:5]
	s_cbranch_execnz .LBB32_1055
	s_branch .LBB32_1056
.LBB32_3105:
	s_movk_i32 s4, 0x80
	v_cmp_eq_u16_sdwa s[12:13], v15, s4 src0_sel:BYTE_0 src1_sel:DWORD
	s_mov_b64 s[4:5], -1
                                        ; implicit-def: $sgpr10
	s_and_saveexec_b64 s[8:9], s[12:13]
; %bb.3106:
	s_mov_b32 s10, 0x7f800001
	s_xor_b64 s[4:5], exec, -1
; %bb.3107:
	s_or_b64 exec, exec, s[8:9]
	s_and_b64 s[4:5], s[4:5], exec
	s_or_saveexec_b64 s[6:7], s[6:7]
	v_mov_b32_e32 v10, s10
	s_xor_b64 exec, exec, s[6:7]
	s_cbranch_execz .LBB32_1058
.LBB32_3108:
	v_mov_b32_e32 v10, 0
	v_cmp_ne_u16_sdwa s[8:9], v15, v10 src0_sel:BYTE_0 src1_sel:DWORD
	s_andn2_b64 s[4:5], s[4:5], exec
	s_and_b64 s[8:9], s[8:9], exec
	s_or_b64 s[4:5], s[4:5], s[8:9]
	s_or_b64 exec, exec, s[6:7]
	s_and_saveexec_b64 s[6:7], s[4:5]
	s_cbranch_execnz .LBB32_1059
	s_branch .LBB32_1060
.LBB32_3109:
	s_movk_i32 s4, 0x80
	v_cmp_eq_u16_sdwa s[12:13], v11, s4 src0_sel:BYTE_0 src1_sel:DWORD
	s_mov_b64 s[4:5], -1
                                        ; implicit-def: $sgpr10
	s_and_saveexec_b64 s[8:9], s[12:13]
; %bb.3110:
	s_mov_b32 s10, 0x7f800001
	s_xor_b64 s[4:5], exec, -1
; %bb.3111:
	s_or_b64 exec, exec, s[8:9]
	s_and_b64 s[4:5], s[4:5], exec
	s_or_saveexec_b64 s[6:7], s[6:7]
	v_mov_b32_e32 v14, s10
	s_xor_b64 exec, exec, s[6:7]
	s_cbranch_execz .LBB32_1062
.LBB32_3112:
	v_mov_b32_e32 v14, 0
	v_cmp_ne_u16_sdwa s[8:9], v11, v14 src0_sel:BYTE_0 src1_sel:DWORD
	s_andn2_b64 s[4:5], s[4:5], exec
	s_and_b64 s[8:9], s[8:9], exec
	s_or_b64 s[4:5], s[4:5], s[8:9]
	s_or_b64 exec, exec, s[6:7]
	s_and_saveexec_b64 s[6:7], s[4:5]
	s_cbranch_execnz .LBB32_1063
	s_branch .LBB32_1064
.LBB32_3113:
	s_movk_i32 s4, 0x80
	v_cmp_eq_u16_sdwa s[12:13], v14, s4 src0_sel:BYTE_0 src1_sel:DWORD
	s_mov_b64 s[4:5], -1
                                        ; implicit-def: $sgpr10
	s_and_saveexec_b64 s[8:9], s[12:13]
; %bb.3114:
	s_mov_b32 s10, 0x7f800001
	s_xor_b64 s[4:5], exec, -1
; %bb.3115:
	s_or_b64 exec, exec, s[8:9]
	s_and_b64 s[4:5], s[4:5], exec
	s_or_saveexec_b64 s[6:7], s[6:7]
	v_mov_b32_e32 v10, s10
	s_xor_b64 exec, exec, s[6:7]
	s_cbranch_execz .LBB32_1066
.LBB32_3116:
	v_mov_b32_e32 v10, 0
	v_cmp_ne_u16_sdwa s[8:9], v14, v10 src0_sel:BYTE_0 src1_sel:DWORD
	s_andn2_b64 s[4:5], s[4:5], exec
	s_and_b64 s[8:9], s[8:9], exec
	s_or_b64 s[4:5], s[4:5], s[8:9]
	s_or_b64 exec, exec, s[6:7]
	s_and_saveexec_b64 s[6:7], s[4:5]
	s_cbranch_execnz .LBB32_1067
	s_branch .LBB32_1068
.LBB32_3117:
	s_movk_i32 s4, 0x80
	v_cmp_eq_u16_sdwa s[12:13], v14, s4 src0_sel:BYTE_0 src1_sel:DWORD
	s_mov_b64 s[4:5], -1
                                        ; implicit-def: $sgpr10
	s_and_saveexec_b64 s[8:9], s[12:13]
; %bb.3118:
	s_mov_b32 s10, 0x7f800001
	s_xor_b64 s[4:5], exec, -1
; %bb.3119:
	s_or_b64 exec, exec, s[8:9]
	s_and_b64 s[4:5], s[4:5], exec
	s_or_saveexec_b64 s[6:7], s[6:7]
	v_mov_b32_e32 v20, s10
	s_xor_b64 exec, exec, s[6:7]
	s_cbranch_execz .LBB32_1070
.LBB32_3120:
	v_mov_b32_e32 v20, 0
	v_cmp_ne_u16_sdwa s[8:9], v14, v20 src0_sel:BYTE_0 src1_sel:DWORD
	s_andn2_b64 s[4:5], s[4:5], exec
	s_and_b64 s[8:9], s[8:9], exec
	s_or_b64 s[4:5], s[4:5], s[8:9]
	s_or_b64 exec, exec, s[6:7]
	s_and_saveexec_b64 s[6:7], s[4:5]
	s_cbranch_execnz .LBB32_1071
	s_branch .LBB32_1072
.LBB32_3121:
	s_movk_i32 s4, 0x80
	v_cmp_eq_u16_e32 vcc, s4, v14
	s_mov_b64 s[4:5], -1
                                        ; implicit-def: $sgpr10
	s_and_saveexec_b64 s[8:9], vcc
; %bb.3122:
	s_mov_b32 s10, 0x7f800001
	s_xor_b64 s[4:5], exec, -1
; %bb.3123:
	s_or_b64 exec, exec, s[8:9]
	s_and_b64 s[4:5], s[4:5], exec
                                        ; implicit-def: $vgpr14
	s_or_saveexec_b64 s[6:7], s[6:7]
	v_mov_b32_e32 v10, s10
	s_xor_b64 exec, exec, s[6:7]
	s_cbranch_execz .LBB32_1074
.LBB32_3124:
	v_cmp_ne_u16_e32 vcc, 0, v14
	s_andn2_b64 s[4:5], s[4:5], exec
	s_and_b64 s[8:9], vcc, exec
	v_mov_b32_e32 v10, 0
	s_or_b64 s[4:5], s[4:5], s[8:9]
	s_or_b64 exec, exec, s[6:7]
	s_and_saveexec_b64 s[6:7], s[4:5]
	s_cbranch_execnz .LBB32_1075
	s_branch .LBB32_1076
.LBB32_3125:
	s_movk_i32 s4, 0x80
	v_cmp_eq_u16_e32 vcc, s4, v14
	s_mov_b64 s[4:5], -1
                                        ; implicit-def: $sgpr10
	s_and_saveexec_b64 s[8:9], vcc
; %bb.3126:
	s_mov_b32 s10, 0x7f800001
	s_xor_b64 s[4:5], exec, -1
; %bb.3127:
	s_or_b64 exec, exec, s[8:9]
	s_and_b64 s[4:5], s[4:5], exec
                                        ; implicit-def: $vgpr14
	s_or_saveexec_b64 s[6:7], s[6:7]
	v_mov_b32_e32 v20, s10
	s_xor_b64 exec, exec, s[6:7]
	s_cbranch_execz .LBB32_1078
.LBB32_3128:
	v_cmp_ne_u16_e32 vcc, 0, v14
	s_andn2_b64 s[4:5], s[4:5], exec
	s_and_b64 s[8:9], vcc, exec
	v_mov_b32_e32 v20, 0
	s_or_b64 s[4:5], s[4:5], s[8:9]
	s_or_b64 exec, exec, s[6:7]
	s_and_saveexec_b64 s[6:7], s[4:5]
	s_cbranch_execnz .LBB32_1079
	s_branch .LBB32_1080
.LBB32_3129:
	s_movk_i32 s4, 0x80
	v_cmp_eq_u16_sdwa s[12:13], v15, s4 src0_sel:BYTE_3 src1_sel:DWORD
	s_mov_b64 s[4:5], -1
                                        ; implicit-def: $sgpr10
	s_and_saveexec_b64 s[8:9], s[12:13]
; %bb.3130:
	s_mov_b32 s10, 0x7f800001
	s_xor_b64 s[4:5], exec, -1
; %bb.3131:
	s_or_b64 exec, exec, s[8:9]
	s_and_b64 s[4:5], s[4:5], exec
	s_or_saveexec_b64 s[6:7], s[6:7]
	v_mov_b32_e32 v10, s10
	s_xor_b64 exec, exec, s[6:7]
	s_cbranch_execz .LBB32_1082
.LBB32_3132:
	v_mov_b32_e32 v10, 0
	v_cmp_ne_u16_sdwa s[8:9], v15, v10 src0_sel:BYTE_3 src1_sel:DWORD
	s_andn2_b64 s[4:5], s[4:5], exec
	s_and_b64 s[8:9], s[8:9], exec
	s_or_b64 s[4:5], s[4:5], s[8:9]
	s_or_b64 exec, exec, s[6:7]
	s_and_saveexec_b64 s[6:7], s[4:5]
	s_cbranch_execnz .LBB32_1083
	s_branch .LBB32_1084
.LBB32_3133:
	s_movk_i32 s4, 0x80
	v_cmp_eq_u16_sdwa s[12:13], v11, s4 src0_sel:BYTE_3 src1_sel:DWORD
	s_mov_b64 s[4:5], -1
                                        ; implicit-def: $sgpr10
	s_and_saveexec_b64 s[8:9], s[12:13]
; %bb.3134:
	s_mov_b32 s10, 0x7f800001
	s_xor_b64 s[4:5], exec, -1
; %bb.3135:
	s_or_b64 exec, exec, s[8:9]
	s_and_b64 s[4:5], s[4:5], exec
	s_or_saveexec_b64 s[6:7], s[6:7]
	v_mov_b32_e32 v14, s10
	s_xor_b64 exec, exec, s[6:7]
	s_cbranch_execz .LBB32_1086
.LBB32_3136:
	v_mov_b32_e32 v14, 0
	v_cmp_ne_u16_sdwa s[8:9], v11, v14 src0_sel:BYTE_3 src1_sel:DWORD
	s_andn2_b64 s[4:5], s[4:5], exec
	s_and_b64 s[8:9], s[8:9], exec
	s_or_b64 s[4:5], s[4:5], s[8:9]
	s_or_b64 exec, exec, s[6:7]
	s_and_saveexec_b64 s[6:7], s[4:5]
	s_cbranch_execnz .LBB32_1087
	s_branch .LBB32_1088
.LBB32_3137:
	s_movk_i32 s4, 0x80
	v_cmp_eq_u16_sdwa s[12:13], v16, s4 src0_sel:BYTE_0 src1_sel:DWORD
	s_mov_b64 s[4:5], -1
                                        ; implicit-def: $sgpr10
	s_and_saveexec_b64 s[8:9], s[12:13]
; %bb.3138:
	s_mov_b32 s10, 0x7f800001
	s_xor_b64 s[4:5], exec, -1
; %bb.3139:
	s_or_b64 exec, exec, s[8:9]
	s_and_b64 s[4:5], s[4:5], exec
	s_or_saveexec_b64 s[6:7], s[6:7]
	v_mov_b32_e32 v10, s10
	s_xor_b64 exec, exec, s[6:7]
	s_cbranch_execz .LBB32_1090
.LBB32_3140:
	v_mov_b32_e32 v10, 0
	v_cmp_ne_u16_sdwa s[8:9], v16, v10 src0_sel:BYTE_0 src1_sel:DWORD
	s_andn2_b64 s[4:5], s[4:5], exec
	s_and_b64 s[8:9], s[8:9], exec
	s_or_b64 s[4:5], s[4:5], s[8:9]
	s_or_b64 exec, exec, s[6:7]
	s_and_saveexec_b64 s[6:7], s[4:5]
	s_cbranch_execnz .LBB32_1091
	s_branch .LBB32_1092
.LBB32_3141:
	s_movk_i32 s4, 0x80
	v_cmp_eq_u16_sdwa s[12:13], v12, s4 src0_sel:BYTE_0 src1_sel:DWORD
	s_mov_b64 s[4:5], -1
                                        ; implicit-def: $sgpr10
	s_and_saveexec_b64 s[8:9], s[12:13]
; %bb.3142:
	s_mov_b32 s10, 0x7f800001
	s_xor_b64 s[4:5], exec, -1
; %bb.3143:
	s_or_b64 exec, exec, s[8:9]
	s_and_b64 s[4:5], s[4:5], exec
	s_or_saveexec_b64 s[6:7], s[6:7]
	v_mov_b32_e32 v11, s10
	s_xor_b64 exec, exec, s[6:7]
	s_cbranch_execz .LBB32_1094
.LBB32_3144:
	v_mov_b32_e32 v11, 0
	v_cmp_ne_u16_sdwa s[8:9], v12, v11 src0_sel:BYTE_0 src1_sel:DWORD
	s_andn2_b64 s[4:5], s[4:5], exec
	s_and_b64 s[8:9], s[8:9], exec
	s_or_b64 s[4:5], s[4:5], s[8:9]
	s_or_b64 exec, exec, s[6:7]
	s_and_saveexec_b64 s[6:7], s[4:5]
	s_cbranch_execnz .LBB32_1095
	s_branch .LBB32_1096
.LBB32_3145:
	s_movk_i32 s4, 0x80
	v_cmp_eq_u16_sdwa s[12:13], v11, s4 src0_sel:BYTE_0 src1_sel:DWORD
	s_mov_b64 s[4:5], -1
                                        ; implicit-def: $sgpr10
	s_and_saveexec_b64 s[8:9], s[12:13]
; %bb.3146:
	s_mov_b32 s10, 0x7f800001
	s_xor_b64 s[4:5], exec, -1
; %bb.3147:
	s_or_b64 exec, exec, s[8:9]
	s_and_b64 s[4:5], s[4:5], exec
	s_or_saveexec_b64 s[6:7], s[6:7]
	v_mov_b32_e32 v10, s10
	s_xor_b64 exec, exec, s[6:7]
	s_cbranch_execz .LBB32_1098
.LBB32_3148:
	v_mov_b32_e32 v10, 0
	v_cmp_ne_u16_sdwa s[8:9], v11, v10 src0_sel:BYTE_0 src1_sel:DWORD
	s_andn2_b64 s[4:5], s[4:5], exec
	s_and_b64 s[8:9], s[8:9], exec
	s_or_b64 s[4:5], s[4:5], s[8:9]
	s_or_b64 exec, exec, s[6:7]
	s_and_saveexec_b64 s[6:7], s[4:5]
	s_cbranch_execnz .LBB32_1099
	s_branch .LBB32_1100
.LBB32_3149:
	s_movk_i32 s4, 0x80
	v_cmp_eq_u16_sdwa s[12:13], v11, s4 src0_sel:BYTE_0 src1_sel:DWORD
	s_mov_b64 s[4:5], -1
                                        ; implicit-def: $sgpr10
	s_and_saveexec_b64 s[8:9], s[12:13]
; %bb.3150:
	s_mov_b32 s10, 0x7f800001
	s_xor_b64 s[4:5], exec, -1
; %bb.3151:
	s_or_b64 exec, exec, s[8:9]
	s_and_b64 s[4:5], s[4:5], exec
	s_or_saveexec_b64 s[6:7], s[6:7]
	v_mov_b32_e32 v14, s10
	s_xor_b64 exec, exec, s[6:7]
	s_cbranch_execz .LBB32_1102
.LBB32_3152:
	v_mov_b32_e32 v14, 0
	v_cmp_ne_u16_sdwa s[8:9], v11, v14 src0_sel:BYTE_0 src1_sel:DWORD
	s_andn2_b64 s[4:5], s[4:5], exec
	s_and_b64 s[8:9], s[8:9], exec
	s_or_b64 s[4:5], s[4:5], s[8:9]
	s_or_b64 exec, exec, s[6:7]
	s_and_saveexec_b64 s[6:7], s[4:5]
	s_cbranch_execnz .LBB32_1103
	s_branch .LBB32_1104
.LBB32_3153:
	s_movk_i32 s4, 0x80
	v_cmp_eq_u16_e32 vcc, s4, v11
	s_mov_b64 s[4:5], -1
                                        ; implicit-def: $sgpr10
	s_and_saveexec_b64 s[8:9], vcc
; %bb.3154:
	s_mov_b32 s10, 0x7f800001
	s_xor_b64 s[4:5], exec, -1
; %bb.3155:
	s_or_b64 exec, exec, s[8:9]
	s_and_b64 s[4:5], s[4:5], exec
                                        ; implicit-def: $vgpr11
	s_or_saveexec_b64 s[6:7], s[6:7]
	v_mov_b32_e32 v10, s10
	s_xor_b64 exec, exec, s[6:7]
	s_cbranch_execz .LBB32_1106
.LBB32_3156:
	v_cmp_ne_u16_e32 vcc, 0, v11
	s_andn2_b64 s[4:5], s[4:5], exec
	s_and_b64 s[8:9], vcc, exec
	v_mov_b32_e32 v10, 0
	s_or_b64 s[4:5], s[4:5], s[8:9]
	s_or_b64 exec, exec, s[6:7]
	s_and_saveexec_b64 s[6:7], s[4:5]
	s_cbranch_execnz .LBB32_1107
	s_branch .LBB32_1108
.LBB32_3157:
	s_movk_i32 s4, 0x80
	v_cmp_eq_u16_e32 vcc, s4, v11
	s_mov_b64 s[4:5], -1
                                        ; implicit-def: $sgpr10
	s_and_saveexec_b64 s[8:9], vcc
; %bb.3158:
	s_mov_b32 s10, 0x7f800001
	s_xor_b64 s[4:5], exec, -1
; %bb.3159:
	s_or_b64 exec, exec, s[8:9]
	s_and_b64 s[4:5], s[4:5], exec
                                        ; implicit-def: $vgpr11
	s_or_saveexec_b64 s[6:7], s[6:7]
	v_mov_b32_e32 v14, s10
	s_xor_b64 exec, exec, s[6:7]
	s_cbranch_execz .LBB32_1110
.LBB32_3160:
	v_cmp_ne_u16_e32 vcc, 0, v11
	s_andn2_b64 s[4:5], s[4:5], exec
	s_and_b64 s[8:9], vcc, exec
	v_mov_b32_e32 v14, 0
	s_or_b64 s[4:5], s[4:5], s[8:9]
	s_or_b64 exec, exec, s[6:7]
	s_and_saveexec_b64 s[6:7], s[4:5]
	s_cbranch_execnz .LBB32_1111
	s_branch .LBB32_1112
.LBB32_3161:
	s_movk_i32 s4, 0x80
	v_cmp_eq_u16_sdwa s[12:13], v16, s4 src0_sel:BYTE_3 src1_sel:DWORD
	s_mov_b64 s[4:5], -1
                                        ; implicit-def: $sgpr10
	s_and_saveexec_b64 s[8:9], s[12:13]
; %bb.3162:
	s_mov_b32 s10, 0x7f800001
	s_xor_b64 s[4:5], exec, -1
; %bb.3163:
	s_or_b64 exec, exec, s[8:9]
	s_and_b64 s[4:5], s[4:5], exec
	s_or_saveexec_b64 s[6:7], s[6:7]
	v_mov_b32_e32 v10, s10
	s_xor_b64 exec, exec, s[6:7]
	s_cbranch_execz .LBB32_1114
.LBB32_3164:
	v_mov_b32_e32 v10, 0
	v_cmp_ne_u16_sdwa s[8:9], v16, v10 src0_sel:BYTE_3 src1_sel:DWORD
	s_andn2_b64 s[4:5], s[4:5], exec
	s_and_b64 s[8:9], s[8:9], exec
	s_or_b64 s[4:5], s[4:5], s[8:9]
	s_or_b64 exec, exec, s[6:7]
	s_and_saveexec_b64 s[6:7], s[4:5]
	s_cbranch_execnz .LBB32_1115
	s_branch .LBB32_1116
.LBB32_3165:
	s_movk_i32 s4, 0x80
	v_cmp_eq_u16_sdwa s[12:13], v12, s4 src0_sel:BYTE_3 src1_sel:DWORD
	s_mov_b64 s[4:5], -1
                                        ; implicit-def: $sgpr10
	s_and_saveexec_b64 s[8:9], s[12:13]
; %bb.3166:
	s_mov_b32 s10, 0x7f800001
	s_xor_b64 s[4:5], exec, -1
; %bb.3167:
	s_or_b64 exec, exec, s[8:9]
	s_and_b64 s[4:5], s[4:5], exec
	s_or_saveexec_b64 s[6:7], s[6:7]
	v_mov_b32_e32 v11, s10
	s_xor_b64 exec, exec, s[6:7]
	s_cbranch_execz .LBB32_1118
.LBB32_3168:
	v_mov_b32_e32 v11, 0
	v_cmp_ne_u16_sdwa s[8:9], v12, v11 src0_sel:BYTE_3 src1_sel:DWORD
	s_andn2_b64 s[4:5], s[4:5], exec
	s_and_b64 s[8:9], s[8:9], exec
	s_or_b64 s[4:5], s[4:5], s[8:9]
	s_or_b64 exec, exec, s[6:7]
	s_and_saveexec_b64 s[6:7], s[4:5]
	s_cbranch_execnz .LBB32_1119
	s_branch .LBB32_1120
.LBB32_3169:
	s_movk_i32 s4, 0x80
	v_cmp_eq_u16_sdwa s[12:13], v17, s4 src0_sel:BYTE_0 src1_sel:DWORD
	s_mov_b64 s[4:5], -1
                                        ; implicit-def: $sgpr10
	s_and_saveexec_b64 s[8:9], s[12:13]
; %bb.3170:
	s_mov_b32 s10, 0x7f800001
	s_xor_b64 s[4:5], exec, -1
; %bb.3171:
	s_or_b64 exec, exec, s[8:9]
	s_and_b64 s[4:5], s[4:5], exec
	s_or_saveexec_b64 s[6:7], s[6:7]
	v_mov_b32_e32 v10, s10
	s_xor_b64 exec, exec, s[6:7]
	s_cbranch_execz .LBB32_1122
.LBB32_3172:
	v_mov_b32_e32 v10, 0
	v_cmp_ne_u16_sdwa s[8:9], v17, v10 src0_sel:BYTE_0 src1_sel:DWORD
	s_andn2_b64 s[4:5], s[4:5], exec
	s_and_b64 s[8:9], s[8:9], exec
	s_or_b64 s[4:5], s[4:5], s[8:9]
	s_or_b64 exec, exec, s[6:7]
	s_and_saveexec_b64 s[6:7], s[4:5]
	s_cbranch_execnz .LBB32_1123
	s_branch .LBB32_1124
.LBB32_3173:
	s_movk_i32 s4, 0x80
	v_cmp_eq_u16_sdwa s[12:13], v13, s4 src0_sel:BYTE_0 src1_sel:DWORD
	s_mov_b64 s[4:5], -1
                                        ; implicit-def: $sgpr10
	s_and_saveexec_b64 s[8:9], s[12:13]
; %bb.3174:
	s_mov_b32 s10, 0x7f800001
	s_xor_b64 s[4:5], exec, -1
; %bb.3175:
	s_or_b64 exec, exec, s[8:9]
	s_and_b64 s[4:5], s[4:5], exec
	s_or_saveexec_b64 s[6:7], s[6:7]
	v_mov_b32_e32 v11, s10
	s_xor_b64 exec, exec, s[6:7]
	s_cbranch_execz .LBB32_1126
.LBB32_3176:
	v_mov_b32_e32 v11, 0
	v_cmp_ne_u16_sdwa s[8:9], v13, v11 src0_sel:BYTE_0 src1_sel:DWORD
	s_andn2_b64 s[4:5], s[4:5], exec
	s_and_b64 s[8:9], s[8:9], exec
	s_or_b64 s[4:5], s[4:5], s[8:9]
	s_or_b64 exec, exec, s[6:7]
	s_and_saveexec_b64 s[6:7], s[4:5]
	s_cbranch_execnz .LBB32_1127
	s_branch .LBB32_1128
.LBB32_3177:
	s_movk_i32 s4, 0x80
	v_cmp_eq_u16_sdwa s[12:13], v11, s4 src0_sel:BYTE_0 src1_sel:DWORD
	s_mov_b64 s[4:5], -1
                                        ; implicit-def: $sgpr10
	s_and_saveexec_b64 s[8:9], s[12:13]
; %bb.3178:
	s_mov_b32 s10, 0x7f800001
	s_xor_b64 s[4:5], exec, -1
; %bb.3179:
	s_or_b64 exec, exec, s[8:9]
	s_and_b64 s[4:5], s[4:5], exec
	s_or_saveexec_b64 s[6:7], s[6:7]
	v_mov_b32_e32 v10, s10
	s_xor_b64 exec, exec, s[6:7]
	s_cbranch_execz .LBB32_1130
.LBB32_3180:
	v_mov_b32_e32 v10, 0
	v_cmp_ne_u16_sdwa s[8:9], v11, v10 src0_sel:BYTE_0 src1_sel:DWORD
	s_andn2_b64 s[4:5], s[4:5], exec
	s_and_b64 s[8:9], s[8:9], exec
	s_or_b64 s[4:5], s[4:5], s[8:9]
	s_or_b64 exec, exec, s[6:7]
	s_and_saveexec_b64 s[6:7], s[4:5]
	s_cbranch_execnz .LBB32_1131
	s_branch .LBB32_1132
.LBB32_3181:
	s_movk_i32 s4, 0x80
	v_cmp_eq_u16_sdwa s[12:13], v11, s4 src0_sel:BYTE_0 src1_sel:DWORD
	s_mov_b64 s[4:5], -1
                                        ; implicit-def: $sgpr10
	s_and_saveexec_b64 s[8:9], s[12:13]
; %bb.3182:
	s_mov_b32 s10, 0x7f800001
	s_xor_b64 s[4:5], exec, -1
; %bb.3183:
	s_or_b64 exec, exec, s[8:9]
	s_and_b64 s[4:5], s[4:5], exec
	s_or_saveexec_b64 s[6:7], s[6:7]
	v_mov_b32_e32 v12, s10
	s_xor_b64 exec, exec, s[6:7]
	s_cbranch_execz .LBB32_1134
.LBB32_3184:
	v_mov_b32_e32 v12, 0
	v_cmp_ne_u16_sdwa s[8:9], v11, v12 src0_sel:BYTE_0 src1_sel:DWORD
	s_andn2_b64 s[4:5], s[4:5], exec
	s_and_b64 s[8:9], s[8:9], exec
	s_or_b64 s[4:5], s[4:5], s[8:9]
	s_or_b64 exec, exec, s[6:7]
	s_and_saveexec_b64 s[6:7], s[4:5]
	s_cbranch_execnz .LBB32_1135
	s_branch .LBB32_1136
.LBB32_3185:
	s_movk_i32 s4, 0x80
	v_cmp_eq_u16_e32 vcc, s4, v11
	s_mov_b64 s[4:5], -1
                                        ; implicit-def: $sgpr10
	s_and_saveexec_b64 s[8:9], vcc
; %bb.3186:
	s_mov_b32 s10, 0x7f800001
	s_xor_b64 s[4:5], exec, -1
; %bb.3187:
	s_or_b64 exec, exec, s[8:9]
	s_and_b64 s[4:5], s[4:5], exec
                                        ; implicit-def: $vgpr11
	s_or_saveexec_b64 s[6:7], s[6:7]
	v_mov_b32_e32 v10, s10
	s_xor_b64 exec, exec, s[6:7]
	s_cbranch_execz .LBB32_1138
.LBB32_3188:
	v_cmp_ne_u16_e32 vcc, 0, v11
	s_andn2_b64 s[4:5], s[4:5], exec
	s_and_b64 s[8:9], vcc, exec
	v_mov_b32_e32 v10, 0
	s_or_b64 s[4:5], s[4:5], s[8:9]
	s_or_b64 exec, exec, s[6:7]
	s_and_saveexec_b64 s[6:7], s[4:5]
	s_cbranch_execnz .LBB32_1139
	s_branch .LBB32_1140
.LBB32_3189:
	s_movk_i32 s4, 0x80
	v_cmp_eq_u16_e32 vcc, s4, v11
	s_mov_b64 s[4:5], -1
                                        ; implicit-def: $sgpr10
	s_and_saveexec_b64 s[8:9], vcc
; %bb.3190:
	s_mov_b32 s10, 0x7f800001
	s_xor_b64 s[4:5], exec, -1
; %bb.3191:
	s_or_b64 exec, exec, s[8:9]
	s_and_b64 s[4:5], s[4:5], exec
                                        ; implicit-def: $vgpr11
	s_or_saveexec_b64 s[6:7], s[6:7]
	v_mov_b32_e32 v12, s10
	s_xor_b64 exec, exec, s[6:7]
	s_cbranch_execz .LBB32_1142
.LBB32_3192:
	v_cmp_ne_u16_e32 vcc, 0, v11
	s_andn2_b64 s[4:5], s[4:5], exec
	s_and_b64 s[8:9], vcc, exec
	v_mov_b32_e32 v12, 0
	s_or_b64 s[4:5], s[4:5], s[8:9]
	s_or_b64 exec, exec, s[6:7]
	s_and_saveexec_b64 s[6:7], s[4:5]
	s_cbranch_execnz .LBB32_1143
	s_branch .LBB32_1144
.LBB32_3193:
	s_movk_i32 s4, 0x80
	v_cmp_eq_u16_sdwa s[12:13], v17, s4 src0_sel:BYTE_3 src1_sel:DWORD
	s_mov_b64 s[4:5], -1
                                        ; implicit-def: $sgpr10
	s_and_saveexec_b64 s[8:9], s[12:13]
; %bb.3194:
	s_mov_b32 s10, 0x7f800001
	s_xor_b64 s[4:5], exec, -1
; %bb.3195:
	s_or_b64 exec, exec, s[8:9]
	s_and_b64 s[4:5], s[4:5], exec
	s_or_saveexec_b64 s[6:7], s[6:7]
	v_mov_b32_e32 v10, s10
	s_xor_b64 exec, exec, s[6:7]
	s_cbranch_execz .LBB32_1146
.LBB32_3196:
	v_mov_b32_e32 v10, 0
	v_cmp_ne_u16_sdwa s[8:9], v17, v10 src0_sel:BYTE_3 src1_sel:DWORD
	s_andn2_b64 s[4:5], s[4:5], exec
	s_and_b64 s[8:9], s[8:9], exec
	s_or_b64 s[4:5], s[4:5], s[8:9]
	s_or_b64 exec, exec, s[6:7]
	s_and_saveexec_b64 s[6:7], s[4:5]
	s_cbranch_execnz .LBB32_1147
	s_branch .LBB32_1148
.LBB32_3197:
	s_movk_i32 s4, 0x80
	v_cmp_eq_u16_sdwa s[12:13], v13, s4 src0_sel:BYTE_3 src1_sel:DWORD
	s_mov_b64 s[4:5], -1
                                        ; implicit-def: $sgpr10
	s_and_saveexec_b64 s[8:9], s[12:13]
; %bb.3198:
	s_mov_b32 s10, 0x7f800001
	s_xor_b64 s[4:5], exec, -1
; %bb.3199:
	s_or_b64 exec, exec, s[8:9]
	s_and_b64 s[4:5], s[4:5], exec
	s_or_saveexec_b64 s[6:7], s[6:7]
	v_mov_b32_e32 v11, s10
	s_xor_b64 exec, exec, s[6:7]
	s_cbranch_execz .LBB32_1150
.LBB32_3200:
	v_mov_b32_e32 v11, 0
	v_cmp_ne_u16_sdwa s[8:9], v13, v11 src0_sel:BYTE_3 src1_sel:DWORD
	s_andn2_b64 s[4:5], s[4:5], exec
	s_and_b64 s[8:9], s[8:9], exec
	s_or_b64 s[4:5], s[4:5], s[8:9]
	s_or_b64 exec, exec, s[6:7]
	s_and_saveexec_b64 s[6:7], s[4:5]
	s_cbranch_execnz .LBB32_1151
	s_branch .LBB32_1152
.LBB32_3201:
	s_movk_i32 s4, 0x80
	v_cmp_eq_u16_sdwa s[12:13], v6, s4 src0_sel:BYTE_0 src1_sel:DWORD
	s_mov_b64 s[4:5], -1
                                        ; implicit-def: $sgpr10
	s_and_saveexec_b64 s[8:9], s[12:13]
; %bb.3202:
	s_mov_b32 s10, 0x7f800001
	s_xor_b64 s[4:5], exec, -1
; %bb.3203:
	s_or_b64 exec, exec, s[8:9]
	s_and_b64 s[4:5], s[4:5], exec
	s_or_saveexec_b64 s[6:7], s[6:7]
	v_mov_b32_e32 v10, s10
	s_xor_b64 exec, exec, s[6:7]
	s_cbranch_execz .LBB32_1154
.LBB32_3204:
	v_mov_b32_e32 v10, 0
	v_cmp_ne_u16_sdwa s[8:9], v6, v10 src0_sel:BYTE_0 src1_sel:DWORD
	s_andn2_b64 s[4:5], s[4:5], exec
	s_and_b64 s[8:9], s[8:9], exec
	s_or_b64 s[4:5], s[4:5], s[8:9]
	s_or_b64 exec, exec, s[6:7]
	s_and_saveexec_b64 s[6:7], s[4:5]
	s_cbranch_execnz .LBB32_1155
	s_branch .LBB32_1156
.LBB32_3205:
	s_movk_i32 s4, 0x80
	v_cmp_eq_u16_sdwa s[12:13], v2, s4 src0_sel:BYTE_0 src1_sel:DWORD
	s_mov_b64 s[4:5], -1
                                        ; implicit-def: $sgpr10
	s_and_saveexec_b64 s[8:9], s[12:13]
; %bb.3206:
	s_mov_b32 s10, 0x7f800001
	s_xor_b64 s[4:5], exec, -1
; %bb.3207:
	s_or_b64 exec, exec, s[8:9]
	s_and_b64 s[4:5], s[4:5], exec
	s_or_saveexec_b64 s[6:7], s[6:7]
	v_mov_b32_e32 v11, s10
	s_xor_b64 exec, exec, s[6:7]
	s_cbranch_execz .LBB32_1158
.LBB32_3208:
	v_mov_b32_e32 v11, 0
	v_cmp_ne_u16_sdwa s[8:9], v2, v11 src0_sel:BYTE_0 src1_sel:DWORD
	s_andn2_b64 s[4:5], s[4:5], exec
	s_and_b64 s[8:9], s[8:9], exec
	s_or_b64 s[4:5], s[4:5], s[8:9]
	s_or_b64 exec, exec, s[6:7]
	s_and_saveexec_b64 s[6:7], s[4:5]
	s_cbranch_execnz .LBB32_1159
	s_branch .LBB32_1160
.LBB32_3209:
	s_movk_i32 s4, 0x80
	v_cmp_eq_u16_sdwa s[12:13], v11, s4 src0_sel:BYTE_0 src1_sel:DWORD
	s_mov_b64 s[4:5], -1
                                        ; implicit-def: $sgpr10
	s_and_saveexec_b64 s[8:9], s[12:13]
; %bb.3210:
	s_mov_b32 s10, 0x7f800001
	s_xor_b64 s[4:5], exec, -1
; %bb.3211:
	s_or_b64 exec, exec, s[8:9]
	s_and_b64 s[4:5], s[4:5], exec
	s_or_saveexec_b64 s[6:7], s[6:7]
	v_mov_b32_e32 v10, s10
	s_xor_b64 exec, exec, s[6:7]
	s_cbranch_execz .LBB32_1162
.LBB32_3212:
	v_mov_b32_e32 v10, 0
	v_cmp_ne_u16_sdwa s[8:9], v11, v10 src0_sel:BYTE_0 src1_sel:DWORD
	s_andn2_b64 s[4:5], s[4:5], exec
	s_and_b64 s[8:9], s[8:9], exec
	s_or_b64 s[4:5], s[4:5], s[8:9]
	s_or_b64 exec, exec, s[6:7]
	s_and_saveexec_b64 s[6:7], s[4:5]
	s_cbranch_execnz .LBB32_1163
	s_branch .LBB32_1164
.LBB32_3213:
	s_movk_i32 s4, 0x80
	v_cmp_eq_u16_sdwa s[12:13], v11, s4 src0_sel:BYTE_0 src1_sel:DWORD
	s_mov_b64 s[4:5], -1
                                        ; implicit-def: $sgpr10
	s_and_saveexec_b64 s[8:9], s[12:13]
; %bb.3214:
	s_mov_b32 s10, 0x7f800001
	s_xor_b64 s[4:5], exec, -1
; %bb.3215:
	s_or_b64 exec, exec, s[8:9]
	s_and_b64 s[4:5], s[4:5], exec
	s_or_saveexec_b64 s[6:7], s[6:7]
	v_mov_b32_e32 v12, s10
	s_xor_b64 exec, exec, s[6:7]
	s_cbranch_execz .LBB32_1166
.LBB32_3216:
	v_mov_b32_e32 v12, 0
	v_cmp_ne_u16_sdwa s[8:9], v11, v12 src0_sel:BYTE_0 src1_sel:DWORD
	s_andn2_b64 s[4:5], s[4:5], exec
	s_and_b64 s[8:9], s[8:9], exec
	s_or_b64 s[4:5], s[4:5], s[8:9]
	s_or_b64 exec, exec, s[6:7]
	s_and_saveexec_b64 s[6:7], s[4:5]
	s_cbranch_execnz .LBB32_1167
	s_branch .LBB32_1168
.LBB32_3217:
	s_movk_i32 s4, 0x80
	v_cmp_eq_u16_e32 vcc, s4, v11
	s_mov_b64 s[4:5], -1
                                        ; implicit-def: $sgpr10
	s_and_saveexec_b64 s[8:9], vcc
; %bb.3218:
	s_mov_b32 s10, 0x7f800001
	s_xor_b64 s[4:5], exec, -1
; %bb.3219:
	s_or_b64 exec, exec, s[8:9]
	s_and_b64 s[4:5], s[4:5], exec
                                        ; implicit-def: $vgpr11
	s_or_saveexec_b64 s[6:7], s[6:7]
	v_mov_b32_e32 v10, s10
	s_xor_b64 exec, exec, s[6:7]
	s_cbranch_execz .LBB32_1170
.LBB32_3220:
	v_cmp_ne_u16_e32 vcc, 0, v11
	s_andn2_b64 s[4:5], s[4:5], exec
	s_and_b64 s[8:9], vcc, exec
	v_mov_b32_e32 v10, 0
	s_or_b64 s[4:5], s[4:5], s[8:9]
	s_or_b64 exec, exec, s[6:7]
	s_and_saveexec_b64 s[6:7], s[4:5]
	s_cbranch_execnz .LBB32_1171
	s_branch .LBB32_1172
.LBB32_3221:
	s_movk_i32 s4, 0x80
	v_cmp_eq_u16_e32 vcc, s4, v11
	s_mov_b64 s[4:5], -1
                                        ; implicit-def: $sgpr10
	s_and_saveexec_b64 s[8:9], vcc
; %bb.3222:
	s_mov_b32 s10, 0x7f800001
	s_xor_b64 s[4:5], exec, -1
; %bb.3223:
	s_or_b64 exec, exec, s[8:9]
	s_and_b64 s[4:5], s[4:5], exec
                                        ; implicit-def: $vgpr11
	s_or_saveexec_b64 s[6:7], s[6:7]
	v_mov_b32_e32 v12, s10
	s_xor_b64 exec, exec, s[6:7]
	s_cbranch_execz .LBB32_1174
.LBB32_3224:
	v_cmp_ne_u16_e32 vcc, 0, v11
	s_andn2_b64 s[4:5], s[4:5], exec
	s_and_b64 s[8:9], vcc, exec
	v_mov_b32_e32 v12, 0
	s_or_b64 s[4:5], s[4:5], s[8:9]
	s_or_b64 exec, exec, s[6:7]
	s_and_saveexec_b64 s[6:7], s[4:5]
	s_cbranch_execnz .LBB32_1175
	s_branch .LBB32_1176
.LBB32_3225:
	s_movk_i32 s4, 0x80
	v_cmp_eq_u16_sdwa s[12:13], v6, s4 src0_sel:BYTE_3 src1_sel:DWORD
	s_mov_b64 s[4:5], -1
                                        ; implicit-def: $sgpr10
	s_and_saveexec_b64 s[8:9], s[12:13]
; %bb.3226:
	s_mov_b32 s10, 0x7f800001
	s_xor_b64 s[4:5], exec, -1
; %bb.3227:
	s_or_b64 exec, exec, s[8:9]
	s_and_b64 s[4:5], s[4:5], exec
	s_or_saveexec_b64 s[6:7], s[6:7]
	v_mov_b32_e32 v10, s10
	s_xor_b64 exec, exec, s[6:7]
	s_cbranch_execz .LBB32_1178
.LBB32_3228:
	v_mov_b32_e32 v10, 0
	v_cmp_ne_u16_sdwa s[8:9], v6, v10 src0_sel:BYTE_3 src1_sel:DWORD
	s_andn2_b64 s[4:5], s[4:5], exec
	s_and_b64 s[8:9], s[8:9], exec
	s_or_b64 s[4:5], s[4:5], s[8:9]
	s_or_b64 exec, exec, s[6:7]
	s_and_saveexec_b64 s[6:7], s[4:5]
	s_cbranch_execnz .LBB32_1179
	s_branch .LBB32_1180
.LBB32_3229:
	s_movk_i32 s4, 0x80
	v_cmp_eq_u16_sdwa s[12:13], v2, s4 src0_sel:BYTE_3 src1_sel:DWORD
	s_mov_b64 s[4:5], -1
                                        ; implicit-def: $sgpr10
	s_and_saveexec_b64 s[8:9], s[12:13]
; %bb.3230:
	s_mov_b32 s10, 0x7f800001
	s_xor_b64 s[4:5], exec, -1
; %bb.3231:
	s_or_b64 exec, exec, s[8:9]
	s_and_b64 s[4:5], s[4:5], exec
	s_or_saveexec_b64 s[6:7], s[6:7]
	v_mov_b32_e32 v6, s10
	s_xor_b64 exec, exec, s[6:7]
	s_cbranch_execz .LBB32_1182
.LBB32_3232:
	v_mov_b32_e32 v6, 0
	v_cmp_ne_u16_sdwa s[8:9], v2, v6 src0_sel:BYTE_3 src1_sel:DWORD
	s_andn2_b64 s[4:5], s[4:5], exec
	s_and_b64 s[8:9], s[8:9], exec
	s_or_b64 s[4:5], s[4:5], s[8:9]
	s_or_b64 exec, exec, s[6:7]
	s_and_saveexec_b64 s[6:7], s[4:5]
	s_cbranch_execnz .LBB32_1183
	s_branch .LBB32_1184
.LBB32_3233:
	s_movk_i32 s4, 0x80
	v_cmp_eq_u16_sdwa s[12:13], v7, s4 src0_sel:BYTE_0 src1_sel:DWORD
	s_mov_b64 s[4:5], -1
                                        ; implicit-def: $sgpr10
	s_and_saveexec_b64 s[8:9], s[12:13]
; %bb.3234:
	s_mov_b32 s10, 0x7f800001
	s_xor_b64 s[4:5], exec, -1
; %bb.3235:
	s_or_b64 exec, exec, s[8:9]
	s_and_b64 s[4:5], s[4:5], exec
	s_or_saveexec_b64 s[6:7], s[6:7]
	v_mov_b32_e32 v2, s10
	s_xor_b64 exec, exec, s[6:7]
	s_cbranch_execz .LBB32_1186
.LBB32_3236:
	v_mov_b32_e32 v2, 0
	v_cmp_ne_u16_sdwa s[8:9], v7, v2 src0_sel:BYTE_0 src1_sel:DWORD
	s_andn2_b64 s[4:5], s[4:5], exec
	s_and_b64 s[8:9], s[8:9], exec
	s_or_b64 s[4:5], s[4:5], s[8:9]
	s_or_b64 exec, exec, s[6:7]
	s_and_saveexec_b64 s[6:7], s[4:5]
	s_cbranch_execnz .LBB32_1187
	s_branch .LBB32_1188
.LBB32_3237:
	s_movk_i32 s4, 0x80
	v_cmp_eq_u16_sdwa s[12:13], v3, s4 src0_sel:BYTE_0 src1_sel:DWORD
	s_mov_b64 s[4:5], -1
                                        ; implicit-def: $sgpr10
	s_and_saveexec_b64 s[8:9], s[12:13]
; %bb.3238:
	s_mov_b32 s10, 0x7f800001
	s_xor_b64 s[4:5], exec, -1
; %bb.3239:
	s_or_b64 exec, exec, s[8:9]
	s_and_b64 s[4:5], s[4:5], exec
	s_or_saveexec_b64 s[6:7], s[6:7]
	v_mov_b32_e32 v6, s10
	s_xor_b64 exec, exec, s[6:7]
	s_cbranch_execz .LBB32_1190
.LBB32_3240:
	v_mov_b32_e32 v6, 0
	v_cmp_ne_u16_sdwa s[8:9], v3, v6 src0_sel:BYTE_0 src1_sel:DWORD
	s_andn2_b64 s[4:5], s[4:5], exec
	s_and_b64 s[8:9], s[8:9], exec
	s_or_b64 s[4:5], s[4:5], s[8:9]
	s_or_b64 exec, exec, s[6:7]
	s_and_saveexec_b64 s[6:7], s[4:5]
	s_cbranch_execnz .LBB32_1191
	s_branch .LBB32_1192
.LBB32_3241:
	s_movk_i32 s4, 0x80
	v_cmp_eq_u16_sdwa s[12:13], v6, s4 src0_sel:BYTE_0 src1_sel:DWORD
	s_mov_b64 s[4:5], -1
                                        ; implicit-def: $sgpr10
	s_and_saveexec_b64 s[8:9], s[12:13]
; %bb.3242:
	s_mov_b32 s10, 0x7f800001
	s_xor_b64 s[4:5], exec, -1
; %bb.3243:
	s_or_b64 exec, exec, s[8:9]
	s_and_b64 s[4:5], s[4:5], exec
	s_or_saveexec_b64 s[6:7], s[6:7]
	v_mov_b32_e32 v2, s10
	s_xor_b64 exec, exec, s[6:7]
	s_cbranch_execz .LBB32_1194
.LBB32_3244:
	v_mov_b32_e32 v2, 0
	v_cmp_ne_u16_sdwa s[8:9], v6, v2 src0_sel:BYTE_0 src1_sel:DWORD
	s_andn2_b64 s[4:5], s[4:5], exec
	s_and_b64 s[8:9], s[8:9], exec
	s_or_b64 s[4:5], s[4:5], s[8:9]
	s_or_b64 exec, exec, s[6:7]
	s_and_saveexec_b64 s[6:7], s[4:5]
	s_cbranch_execnz .LBB32_1195
	s_branch .LBB32_1196
.LBB32_3245:
	s_movk_i32 s4, 0x80
	v_cmp_eq_u16_sdwa s[12:13], v6, s4 src0_sel:BYTE_0 src1_sel:DWORD
	s_mov_b64 s[4:5], -1
                                        ; implicit-def: $sgpr10
	s_and_saveexec_b64 s[8:9], s[12:13]
; %bb.3246:
	s_mov_b32 s10, 0x7f800001
	s_xor_b64 s[4:5], exec, -1
; %bb.3247:
	s_or_b64 exec, exec, s[8:9]
	s_and_b64 s[4:5], s[4:5], exec
	s_or_saveexec_b64 s[6:7], s[6:7]
	v_mov_b32_e32 v10, s10
	s_xor_b64 exec, exec, s[6:7]
	s_cbranch_execz .LBB32_1198
.LBB32_3248:
	v_mov_b32_e32 v10, 0
	v_cmp_ne_u16_sdwa s[8:9], v6, v10 src0_sel:BYTE_0 src1_sel:DWORD
	s_andn2_b64 s[4:5], s[4:5], exec
	s_and_b64 s[8:9], s[8:9], exec
	s_or_b64 s[4:5], s[4:5], s[8:9]
	s_or_b64 exec, exec, s[6:7]
	s_and_saveexec_b64 s[6:7], s[4:5]
	s_cbranch_execnz .LBB32_1199
	s_branch .LBB32_1200
.LBB32_3249:
	s_movk_i32 s4, 0x80
	v_cmp_eq_u16_e32 vcc, s4, v6
	s_mov_b64 s[4:5], -1
                                        ; implicit-def: $sgpr10
	s_and_saveexec_b64 s[8:9], vcc
; %bb.3250:
	s_mov_b32 s10, 0x7f800001
	s_xor_b64 s[4:5], exec, -1
; %bb.3251:
	s_or_b64 exec, exec, s[8:9]
	s_and_b64 s[4:5], s[4:5], exec
                                        ; implicit-def: $vgpr6
	s_or_saveexec_b64 s[6:7], s[6:7]
	v_mov_b32_e32 v2, s10
	s_xor_b64 exec, exec, s[6:7]
	s_cbranch_execz .LBB32_1202
.LBB32_3252:
	v_cmp_ne_u16_e32 vcc, 0, v6
	s_andn2_b64 s[4:5], s[4:5], exec
	s_and_b64 s[8:9], vcc, exec
	v_mov_b32_e32 v2, 0
	s_or_b64 s[4:5], s[4:5], s[8:9]
	s_or_b64 exec, exec, s[6:7]
	s_and_saveexec_b64 s[6:7], s[4:5]
	s_cbranch_execnz .LBB32_1203
	s_branch .LBB32_1204
.LBB32_3253:
	s_movk_i32 s4, 0x80
	v_cmp_eq_u16_e32 vcc, s4, v6
	s_mov_b64 s[4:5], -1
                                        ; implicit-def: $sgpr10
	s_and_saveexec_b64 s[8:9], vcc
; %bb.3254:
	s_mov_b32 s10, 0x7f800001
	s_xor_b64 s[4:5], exec, -1
; %bb.3255:
	s_or_b64 exec, exec, s[8:9]
	s_and_b64 s[4:5], s[4:5], exec
                                        ; implicit-def: $vgpr6
	s_or_saveexec_b64 s[6:7], s[6:7]
	v_mov_b32_e32 v10, s10
	s_xor_b64 exec, exec, s[6:7]
	s_cbranch_execz .LBB32_1206
.LBB32_3256:
	v_cmp_ne_u16_e32 vcc, 0, v6
	s_andn2_b64 s[4:5], s[4:5], exec
	s_and_b64 s[8:9], vcc, exec
	v_mov_b32_e32 v10, 0
	s_or_b64 s[4:5], s[4:5], s[8:9]
	s_or_b64 exec, exec, s[6:7]
	s_and_saveexec_b64 s[6:7], s[4:5]
	s_cbranch_execnz .LBB32_1207
	s_branch .LBB32_1208
.LBB32_3257:
	s_movk_i32 s4, 0x80
	v_cmp_eq_u16_sdwa s[12:13], v7, s4 src0_sel:BYTE_3 src1_sel:DWORD
	s_mov_b64 s[4:5], -1
                                        ; implicit-def: $sgpr10
	s_and_saveexec_b64 s[8:9], s[12:13]
; %bb.3258:
	s_mov_b32 s10, 0x7f800001
	s_xor_b64 s[4:5], exec, -1
; %bb.3259:
	s_or_b64 exec, exec, s[8:9]
	s_and_b64 s[4:5], s[4:5], exec
	s_or_saveexec_b64 s[6:7], s[6:7]
	v_mov_b32_e32 v2, s10
	s_xor_b64 exec, exec, s[6:7]
	s_cbranch_execz .LBB32_1210
.LBB32_3260:
	v_mov_b32_e32 v2, 0
	v_cmp_ne_u16_sdwa s[8:9], v7, v2 src0_sel:BYTE_3 src1_sel:DWORD
	s_andn2_b64 s[4:5], s[4:5], exec
	s_and_b64 s[8:9], s[8:9], exec
	s_or_b64 s[4:5], s[4:5], s[8:9]
	s_or_b64 exec, exec, s[6:7]
	s_and_saveexec_b64 s[6:7], s[4:5]
	s_cbranch_execnz .LBB32_1211
	s_branch .LBB32_1212
.LBB32_3261:
	s_movk_i32 s4, 0x80
	v_cmp_eq_u16_sdwa s[12:13], v3, s4 src0_sel:BYTE_3 src1_sel:DWORD
	s_mov_b64 s[4:5], -1
                                        ; implicit-def: $sgpr10
	s_and_saveexec_b64 s[8:9], s[12:13]
; %bb.3262:
	s_mov_b32 s10, 0x7f800001
	s_xor_b64 s[4:5], exec, -1
; %bb.3263:
	s_or_b64 exec, exec, s[8:9]
	s_and_b64 s[4:5], s[4:5], exec
	s_or_saveexec_b64 s[6:7], s[6:7]
	v_mov_b32_e32 v6, s10
	s_xor_b64 exec, exec, s[6:7]
	s_cbranch_execz .LBB32_1214
.LBB32_3264:
	v_mov_b32_e32 v6, 0
	v_cmp_ne_u16_sdwa s[8:9], v3, v6 src0_sel:BYTE_3 src1_sel:DWORD
	s_andn2_b64 s[4:5], s[4:5], exec
	s_and_b64 s[8:9], s[8:9], exec
	s_or_b64 s[4:5], s[4:5], s[8:9]
	s_or_b64 exec, exec, s[6:7]
	s_and_saveexec_b64 s[6:7], s[4:5]
	s_cbranch_execnz .LBB32_1215
	s_branch .LBB32_1216
.LBB32_3265:
	s_movk_i32 s4, 0x80
	v_cmp_eq_u16_sdwa s[12:13], v8, s4 src0_sel:BYTE_0 src1_sel:DWORD
	s_mov_b64 s[4:5], -1
                                        ; implicit-def: $sgpr10
	s_and_saveexec_b64 s[8:9], s[12:13]
; %bb.3266:
	s_mov_b32 s10, 0x7f800001
	s_xor_b64 s[4:5], exec, -1
; %bb.3267:
	s_or_b64 exec, exec, s[8:9]
	s_and_b64 s[4:5], s[4:5], exec
	s_or_saveexec_b64 s[6:7], s[6:7]
	v_mov_b32_e32 v2, s10
	s_xor_b64 exec, exec, s[6:7]
	s_cbranch_execz .LBB32_1218
.LBB32_3268:
	v_mov_b32_e32 v2, 0
	v_cmp_ne_u16_sdwa s[8:9], v8, v2 src0_sel:BYTE_0 src1_sel:DWORD
	s_andn2_b64 s[4:5], s[4:5], exec
	s_and_b64 s[8:9], s[8:9], exec
	s_or_b64 s[4:5], s[4:5], s[8:9]
	s_or_b64 exec, exec, s[6:7]
	s_and_saveexec_b64 s[6:7], s[4:5]
	s_cbranch_execnz .LBB32_1219
	s_branch .LBB32_1220
.LBB32_3269:
	s_movk_i32 s4, 0x80
	v_cmp_eq_u16_sdwa s[12:13], v4, s4 src0_sel:BYTE_0 src1_sel:DWORD
	s_mov_b64 s[4:5], -1
                                        ; implicit-def: $sgpr10
	s_and_saveexec_b64 s[8:9], s[12:13]
; %bb.3270:
	s_mov_b32 s10, 0x7f800001
	s_xor_b64 s[4:5], exec, -1
; %bb.3271:
	s_or_b64 exec, exec, s[8:9]
	s_and_b64 s[4:5], s[4:5], exec
	s_or_saveexec_b64 s[6:7], s[6:7]
	v_mov_b32_e32 v3, s10
	s_xor_b64 exec, exec, s[6:7]
	s_cbranch_execz .LBB32_1222
.LBB32_3272:
	v_mov_b32_e32 v3, 0
	v_cmp_ne_u16_sdwa s[8:9], v4, v3 src0_sel:BYTE_0 src1_sel:DWORD
	s_andn2_b64 s[4:5], s[4:5], exec
	s_and_b64 s[8:9], s[8:9], exec
	s_or_b64 s[4:5], s[4:5], s[8:9]
	s_or_b64 exec, exec, s[6:7]
	s_and_saveexec_b64 s[6:7], s[4:5]
	s_cbranch_execnz .LBB32_1223
	s_branch .LBB32_1224
.LBB32_3273:
	s_movk_i32 s4, 0x80
	v_cmp_eq_u16_sdwa s[12:13], v3, s4 src0_sel:BYTE_0 src1_sel:DWORD
	s_mov_b64 s[4:5], -1
                                        ; implicit-def: $sgpr10
	s_and_saveexec_b64 s[8:9], s[12:13]
; %bb.3274:
	s_mov_b32 s10, 0x7f800001
	s_xor_b64 s[4:5], exec, -1
; %bb.3275:
	s_or_b64 exec, exec, s[8:9]
	s_and_b64 s[4:5], s[4:5], exec
	s_or_saveexec_b64 s[6:7], s[6:7]
	v_mov_b32_e32 v2, s10
	s_xor_b64 exec, exec, s[6:7]
	s_cbranch_execz .LBB32_1226
.LBB32_3276:
	v_mov_b32_e32 v2, 0
	v_cmp_ne_u16_sdwa s[8:9], v3, v2 src0_sel:BYTE_0 src1_sel:DWORD
	s_andn2_b64 s[4:5], s[4:5], exec
	s_and_b64 s[8:9], s[8:9], exec
	s_or_b64 s[4:5], s[4:5], s[8:9]
	s_or_b64 exec, exec, s[6:7]
	s_and_saveexec_b64 s[6:7], s[4:5]
	s_cbranch_execnz .LBB32_1227
	s_branch .LBB32_1228
.LBB32_3277:
	s_movk_i32 s4, 0x80
	v_cmp_eq_u16_sdwa s[12:13], v3, s4 src0_sel:BYTE_0 src1_sel:DWORD
	s_mov_b64 s[4:5], -1
                                        ; implicit-def: $sgpr10
	s_and_saveexec_b64 s[8:9], s[12:13]
; %bb.3278:
	s_mov_b32 s10, 0x7f800001
	s_xor_b64 s[4:5], exec, -1
; %bb.3279:
	s_or_b64 exec, exec, s[8:9]
	s_and_b64 s[4:5], s[4:5], exec
	s_or_saveexec_b64 s[6:7], s[6:7]
	v_mov_b32_e32 v6, s10
	s_xor_b64 exec, exec, s[6:7]
	s_cbranch_execz .LBB32_1230
.LBB32_3280:
	v_mov_b32_e32 v6, 0
	v_cmp_ne_u16_sdwa s[8:9], v3, v6 src0_sel:BYTE_0 src1_sel:DWORD
	s_andn2_b64 s[4:5], s[4:5], exec
	s_and_b64 s[8:9], s[8:9], exec
	s_or_b64 s[4:5], s[4:5], s[8:9]
	s_or_b64 exec, exec, s[6:7]
	s_and_saveexec_b64 s[6:7], s[4:5]
	s_cbranch_execnz .LBB32_1231
	s_branch .LBB32_1232
.LBB32_3281:
	s_movk_i32 s4, 0x80
	v_cmp_eq_u16_e32 vcc, s4, v3
	s_mov_b64 s[4:5], -1
                                        ; implicit-def: $sgpr10
	s_and_saveexec_b64 s[8:9], vcc
; %bb.3282:
	s_mov_b32 s10, 0x7f800001
	s_xor_b64 s[4:5], exec, -1
; %bb.3283:
	s_or_b64 exec, exec, s[8:9]
	s_and_b64 s[4:5], s[4:5], exec
                                        ; implicit-def: $vgpr3
	s_or_saveexec_b64 s[6:7], s[6:7]
	v_mov_b32_e32 v2, s10
	s_xor_b64 exec, exec, s[6:7]
	s_cbranch_execz .LBB32_1234
.LBB32_3284:
	v_cmp_ne_u16_e32 vcc, 0, v3
	s_andn2_b64 s[4:5], s[4:5], exec
	s_and_b64 s[8:9], vcc, exec
	v_mov_b32_e32 v2, 0
	s_or_b64 s[4:5], s[4:5], s[8:9]
	s_or_b64 exec, exec, s[6:7]
	s_and_saveexec_b64 s[6:7], s[4:5]
	s_cbranch_execnz .LBB32_1235
	s_branch .LBB32_1236
.LBB32_3285:
	s_movk_i32 s4, 0x80
	v_cmp_eq_u16_e32 vcc, s4, v3
	s_mov_b64 s[4:5], -1
                                        ; implicit-def: $sgpr10
	s_and_saveexec_b64 s[8:9], vcc
; %bb.3286:
	s_mov_b32 s10, 0x7f800001
	s_xor_b64 s[4:5], exec, -1
; %bb.3287:
	s_or_b64 exec, exec, s[8:9]
	s_and_b64 s[4:5], s[4:5], exec
                                        ; implicit-def: $vgpr3
	s_or_saveexec_b64 s[6:7], s[6:7]
	v_mov_b32_e32 v6, s10
	s_xor_b64 exec, exec, s[6:7]
	s_cbranch_execz .LBB32_1238
.LBB32_3288:
	v_cmp_ne_u16_e32 vcc, 0, v3
	s_andn2_b64 s[4:5], s[4:5], exec
	s_and_b64 s[8:9], vcc, exec
	v_mov_b32_e32 v6, 0
	s_or_b64 s[4:5], s[4:5], s[8:9]
	s_or_b64 exec, exec, s[6:7]
	s_and_saveexec_b64 s[6:7], s[4:5]
	s_cbranch_execnz .LBB32_1239
	s_branch .LBB32_1240
.LBB32_3289:
	s_movk_i32 s4, 0x80
	v_cmp_eq_u16_sdwa s[12:13], v8, s4 src0_sel:BYTE_3 src1_sel:DWORD
	s_mov_b64 s[4:5], -1
                                        ; implicit-def: $sgpr10
	s_and_saveexec_b64 s[8:9], s[12:13]
; %bb.3290:
	s_mov_b32 s10, 0x7f800001
	s_xor_b64 s[4:5], exec, -1
; %bb.3291:
	s_or_b64 exec, exec, s[8:9]
	s_and_b64 s[4:5], s[4:5], exec
	s_or_saveexec_b64 s[6:7], s[6:7]
	v_mov_b32_e32 v2, s10
	s_xor_b64 exec, exec, s[6:7]
	s_cbranch_execz .LBB32_1242
.LBB32_3292:
	v_mov_b32_e32 v2, 0
	v_cmp_ne_u16_sdwa s[8:9], v8, v2 src0_sel:BYTE_3 src1_sel:DWORD
	s_andn2_b64 s[4:5], s[4:5], exec
	s_and_b64 s[8:9], s[8:9], exec
	s_or_b64 s[4:5], s[4:5], s[8:9]
	s_or_b64 exec, exec, s[6:7]
	s_and_saveexec_b64 s[6:7], s[4:5]
	s_cbranch_execnz .LBB32_1243
	s_branch .LBB32_1244
.LBB32_3293:
	s_movk_i32 s4, 0x80
	v_cmp_eq_u16_sdwa s[12:13], v4, s4 src0_sel:BYTE_3 src1_sel:DWORD
	s_mov_b64 s[4:5], -1
                                        ; implicit-def: $sgpr10
	s_and_saveexec_b64 s[8:9], s[12:13]
; %bb.3294:
	s_mov_b32 s10, 0x7f800001
	s_xor_b64 s[4:5], exec, -1
; %bb.3295:
	s_or_b64 exec, exec, s[8:9]
	s_and_b64 s[4:5], s[4:5], exec
	s_or_saveexec_b64 s[6:7], s[6:7]
	v_mov_b32_e32 v3, s10
	s_xor_b64 exec, exec, s[6:7]
	s_cbranch_execz .LBB32_1246
.LBB32_3296:
	v_mov_b32_e32 v3, 0
	v_cmp_ne_u16_sdwa s[8:9], v4, v3 src0_sel:BYTE_3 src1_sel:DWORD
	s_andn2_b64 s[4:5], s[4:5], exec
	s_and_b64 s[8:9], s[8:9], exec
	s_or_b64 s[4:5], s[4:5], s[8:9]
	s_or_b64 exec, exec, s[6:7]
	s_and_saveexec_b64 s[6:7], s[4:5]
	s_cbranch_execnz .LBB32_1247
	s_branch .LBB32_1248
.LBB32_3297:
	s_movk_i32 s4, 0x80
	v_cmp_eq_u16_sdwa s[12:13], v9, s4 src0_sel:BYTE_0 src1_sel:DWORD
	s_mov_b64 s[4:5], -1
                                        ; implicit-def: $sgpr10
	s_and_saveexec_b64 s[8:9], s[12:13]
; %bb.3298:
	s_mov_b32 s10, 0x7f800001
	s_xor_b64 s[4:5], exec, -1
; %bb.3299:
	s_or_b64 exec, exec, s[8:9]
	s_and_b64 s[4:5], s[4:5], exec
	s_or_saveexec_b64 s[6:7], s[6:7]
	v_mov_b32_e32 v2, s10
	s_xor_b64 exec, exec, s[6:7]
	s_cbranch_execz .LBB32_1250
.LBB32_3300:
	v_mov_b32_e32 v2, 0
	v_cmp_ne_u16_sdwa s[8:9], v9, v2 src0_sel:BYTE_0 src1_sel:DWORD
	s_andn2_b64 s[4:5], s[4:5], exec
	s_and_b64 s[8:9], s[8:9], exec
	s_or_b64 s[4:5], s[4:5], s[8:9]
	s_or_b64 exec, exec, s[6:7]
	s_and_saveexec_b64 s[6:7], s[4:5]
	s_cbranch_execnz .LBB32_1251
	s_branch .LBB32_1252
.LBB32_3301:
	s_movk_i32 s4, 0x80
	v_cmp_eq_u16_sdwa s[12:13], v5, s4 src0_sel:BYTE_0 src1_sel:DWORD
	s_mov_b64 s[4:5], -1
                                        ; implicit-def: $sgpr10
	s_and_saveexec_b64 s[8:9], s[12:13]
; %bb.3302:
	s_mov_b32 s10, 0x7f800001
	s_xor_b64 s[4:5], exec, -1
; %bb.3303:
	s_or_b64 exec, exec, s[8:9]
	s_and_b64 s[4:5], s[4:5], exec
	s_or_saveexec_b64 s[6:7], s[6:7]
	v_mov_b32_e32 v3, s10
	s_xor_b64 exec, exec, s[6:7]
	s_cbranch_execz .LBB32_1254
.LBB32_3304:
	v_mov_b32_e32 v3, 0
	v_cmp_ne_u16_sdwa s[8:9], v5, v3 src0_sel:BYTE_0 src1_sel:DWORD
	s_andn2_b64 s[4:5], s[4:5], exec
	s_and_b64 s[8:9], s[8:9], exec
	s_or_b64 s[4:5], s[4:5], s[8:9]
	s_or_b64 exec, exec, s[6:7]
	s_and_saveexec_b64 s[6:7], s[4:5]
	s_cbranch_execnz .LBB32_1255
	s_branch .LBB32_1256
.LBB32_3305:
	s_movk_i32 s4, 0x80
	v_cmp_eq_u16_sdwa s[12:13], v3, s4 src0_sel:BYTE_0 src1_sel:DWORD
	s_mov_b64 s[4:5], -1
                                        ; implicit-def: $sgpr10
	s_and_saveexec_b64 s[8:9], s[12:13]
; %bb.3306:
	s_mov_b32 s10, 0x7f800001
	s_xor_b64 s[4:5], exec, -1
; %bb.3307:
	s_or_b64 exec, exec, s[8:9]
	s_and_b64 s[4:5], s[4:5], exec
	s_or_saveexec_b64 s[6:7], s[6:7]
	v_mov_b32_e32 v2, s10
	s_xor_b64 exec, exec, s[6:7]
	s_cbranch_execz .LBB32_1258
.LBB32_3308:
	v_mov_b32_e32 v2, 0
	v_cmp_ne_u16_sdwa s[8:9], v3, v2 src0_sel:BYTE_0 src1_sel:DWORD
	s_andn2_b64 s[4:5], s[4:5], exec
	s_and_b64 s[8:9], s[8:9], exec
	s_or_b64 s[4:5], s[4:5], s[8:9]
	s_or_b64 exec, exec, s[6:7]
	s_and_saveexec_b64 s[6:7], s[4:5]
	s_cbranch_execnz .LBB32_1259
	s_branch .LBB32_1260
.LBB32_3309:
	s_movk_i32 s4, 0x80
	v_cmp_eq_u16_sdwa s[12:13], v3, s4 src0_sel:BYTE_0 src1_sel:DWORD
	s_mov_b64 s[4:5], -1
                                        ; implicit-def: $sgpr10
	s_and_saveexec_b64 s[8:9], s[12:13]
; %bb.3310:
	s_mov_b32 s10, 0x7f800001
	s_xor_b64 s[4:5], exec, -1
; %bb.3311:
	s_or_b64 exec, exec, s[8:9]
	s_and_b64 s[4:5], s[4:5], exec
	s_or_saveexec_b64 s[6:7], s[6:7]
	v_mov_b32_e32 v4, s10
	s_xor_b64 exec, exec, s[6:7]
	s_cbranch_execz .LBB32_1262
.LBB32_3312:
	v_mov_b32_e32 v4, 0
	v_cmp_ne_u16_sdwa s[8:9], v3, v4 src0_sel:BYTE_0 src1_sel:DWORD
	s_andn2_b64 s[4:5], s[4:5], exec
	s_and_b64 s[8:9], s[8:9], exec
	s_or_b64 s[4:5], s[4:5], s[8:9]
	s_or_b64 exec, exec, s[6:7]
	s_and_saveexec_b64 s[6:7], s[4:5]
	s_cbranch_execnz .LBB32_1263
	s_branch .LBB32_1264
.LBB32_3313:
	s_movk_i32 s4, 0x80
	v_cmp_eq_u16_e32 vcc, s4, v3
	s_mov_b64 s[4:5], -1
                                        ; implicit-def: $sgpr10
	s_and_saveexec_b64 s[8:9], vcc
; %bb.3314:
	s_mov_b32 s10, 0x7f800001
	s_xor_b64 s[4:5], exec, -1
; %bb.3315:
	s_or_b64 exec, exec, s[8:9]
	s_and_b64 s[4:5], s[4:5], exec
                                        ; implicit-def: $vgpr3
	s_or_saveexec_b64 s[6:7], s[6:7]
	v_mov_b32_e32 v2, s10
	s_xor_b64 exec, exec, s[6:7]
	s_cbranch_execz .LBB32_1266
.LBB32_3316:
	v_cmp_ne_u16_e32 vcc, 0, v3
	s_andn2_b64 s[4:5], s[4:5], exec
	s_and_b64 s[8:9], vcc, exec
	v_mov_b32_e32 v2, 0
	s_or_b64 s[4:5], s[4:5], s[8:9]
	s_or_b64 exec, exec, s[6:7]
	s_and_saveexec_b64 s[6:7], s[4:5]
	s_cbranch_execnz .LBB32_1267
	s_branch .LBB32_1268
.LBB32_3317:
	s_movk_i32 s4, 0x80
	v_cmp_eq_u16_e32 vcc, s4, v3
	s_mov_b64 s[4:5], -1
                                        ; implicit-def: $sgpr10
	s_and_saveexec_b64 s[8:9], vcc
; %bb.3318:
	s_mov_b32 s10, 0x7f800001
	s_xor_b64 s[4:5], exec, -1
; %bb.3319:
	s_or_b64 exec, exec, s[8:9]
	s_and_b64 s[4:5], s[4:5], exec
                                        ; implicit-def: $vgpr3
	s_or_saveexec_b64 s[6:7], s[6:7]
	v_mov_b32_e32 v4, s10
	s_xor_b64 exec, exec, s[6:7]
	s_cbranch_execz .LBB32_1270
.LBB32_3320:
	v_cmp_ne_u16_e32 vcc, 0, v3
	s_andn2_b64 s[4:5], s[4:5], exec
	s_and_b64 s[8:9], vcc, exec
	v_mov_b32_e32 v4, 0
	s_or_b64 s[4:5], s[4:5], s[8:9]
	s_or_b64 exec, exec, s[6:7]
	s_and_saveexec_b64 s[6:7], s[4:5]
	s_cbranch_execnz .LBB32_1271
	s_branch .LBB32_1272
.LBB32_3321:
	s_movk_i32 s4, 0x80
	v_cmp_eq_u16_sdwa s[12:13], v9, s4 src0_sel:BYTE_3 src1_sel:DWORD
	s_mov_b64 s[4:5], -1
                                        ; implicit-def: $sgpr10
	s_and_saveexec_b64 s[8:9], s[12:13]
; %bb.3322:
	s_mov_b32 s10, 0x7f800001
	s_xor_b64 s[4:5], exec, -1
; %bb.3323:
	s_or_b64 exec, exec, s[8:9]
	s_and_b64 s[4:5], s[4:5], exec
	s_or_saveexec_b64 s[6:7], s[6:7]
	v_mov_b32_e32 v2, s10
	s_xor_b64 exec, exec, s[6:7]
	s_cbranch_execz .LBB32_1274
.LBB32_3324:
	v_mov_b32_e32 v2, 0
	v_cmp_ne_u16_sdwa s[8:9], v9, v2 src0_sel:BYTE_3 src1_sel:DWORD
	s_andn2_b64 s[4:5], s[4:5], exec
	s_and_b64 s[8:9], s[8:9], exec
	s_or_b64 s[4:5], s[4:5], s[8:9]
	s_or_b64 exec, exec, s[6:7]
	s_and_saveexec_b64 s[6:7], s[4:5]
	s_cbranch_execnz .LBB32_1275
	s_branch .LBB32_1276
.LBB32_3325:
	s_movk_i32 s4, 0x80
	v_cmp_eq_u16_sdwa s[12:13], v5, s4 src0_sel:BYTE_3 src1_sel:DWORD
	s_mov_b64 s[4:5], -1
                                        ; implicit-def: $sgpr10
	s_and_saveexec_b64 s[8:9], s[12:13]
; %bb.3326:
	s_mov_b32 s10, 0x7f800001
	s_xor_b64 s[4:5], exec, -1
; %bb.3327:
	s_or_b64 exec, exec, s[8:9]
	s_and_b64 s[4:5], s[4:5], exec
	s_or_saveexec_b64 s[6:7], s[6:7]
	v_mov_b32_e32 v3, s10
	s_xor_b64 exec, exec, s[6:7]
	s_cbranch_execz .LBB32_1278
.LBB32_3328:
	v_mov_b32_e32 v3, 0
	v_cmp_ne_u16_sdwa s[8:9], v5, v3 src0_sel:BYTE_3 src1_sel:DWORD
	s_andn2_b64 s[4:5], s[4:5], exec
	s_and_b64 s[8:9], s[8:9], exec
	s_or_b64 s[4:5], s[4:5], s[8:9]
	s_or_b64 exec, exec, s[6:7]
	s_and_saveexec_b64 s[6:7], s[4:5]
	s_cbranch_execnz .LBB32_1279
	s_branch .LBB32_1280
.LBB32_3329:
	s_movk_i32 s4, 0x80
	v_cmp_eq_u16_sdwa s[12:13], v14, s4 src0_sel:BYTE_0 src1_sel:DWORD
	s_mov_b64 s[4:5], -1
                                        ; implicit-def: $sgpr10
	s_and_saveexec_b64 s[8:9], s[12:13]
; %bb.3330:
	s_mov_b32 s10, 0x7f800001
	s_xor_b64 s[4:5], exec, -1
; %bb.3331:
	s_or_b64 exec, exec, s[8:9]
	s_and_b64 s[4:5], s[4:5], exec
	s_or_saveexec_b64 s[6:7], s[6:7]
	v_mov_b32_e32 v20, s10
	s_xor_b64 exec, exec, s[6:7]
	s_cbranch_execz .LBB32_1282
.LBB32_3332:
	v_mov_b32_e32 v20, 0
	v_cmp_ne_u16_sdwa s[8:9], v14, v20 src0_sel:BYTE_0 src1_sel:DWORD
	s_andn2_b64 s[4:5], s[4:5], exec
	s_and_b64 s[8:9], s[8:9], exec
	s_or_b64 s[4:5], s[4:5], s[8:9]
	s_or_b64 exec, exec, s[6:7]
	s_and_saveexec_b64 s[6:7], s[4:5]
	s_cbranch_execnz .LBB32_1283
	s_branch .LBB32_1284
.LBB32_3333:
	s_movk_i32 s4, 0x80
	v_cmp_eq_u16_sdwa s[12:13], v10, s4 src0_sel:BYTE_0 src1_sel:DWORD
	s_mov_b64 s[4:5], -1
                                        ; implicit-def: $sgpr10
	s_and_saveexec_b64 s[8:9], s[12:13]
; %bb.3334:
	s_mov_b32 s10, 0x7f800001
	s_xor_b64 s[4:5], exec, -1
; %bb.3335:
	s_or_b64 exec, exec, s[8:9]
	s_and_b64 s[4:5], s[4:5], exec
	s_or_saveexec_b64 s[6:7], s[6:7]
	v_mov_b32_e32 v21, s10
	s_xor_b64 exec, exec, s[6:7]
	s_cbranch_execz .LBB32_1286
.LBB32_3336:
	v_mov_b32_e32 v21, 0
	v_cmp_ne_u16_sdwa s[8:9], v10, v21 src0_sel:BYTE_0 src1_sel:DWORD
	s_andn2_b64 s[4:5], s[4:5], exec
	s_and_b64 s[8:9], s[8:9], exec
	s_or_b64 s[4:5], s[4:5], s[8:9]
	s_or_b64 exec, exec, s[6:7]
	s_and_saveexec_b64 s[6:7], s[4:5]
	s_cbranch_execnz .LBB32_1287
	s_branch .LBB32_1288
.LBB32_3337:
	s_movk_i32 s4, 0x80
	v_cmp_eq_u16_sdwa s[12:13], v21, s4 src0_sel:BYTE_0 src1_sel:DWORD
	s_mov_b64 s[4:5], -1
                                        ; implicit-def: $sgpr10
	s_and_saveexec_b64 s[8:9], s[12:13]
; %bb.3338:
	s_mov_b32 s10, 0x7f800001
	s_xor_b64 s[4:5], exec, -1
; %bb.3339:
	s_or_b64 exec, exec, s[8:9]
	s_and_b64 s[4:5], s[4:5], exec
	s_or_saveexec_b64 s[6:7], s[6:7]
	v_mov_b32_e32 v20, s10
	s_xor_b64 exec, exec, s[6:7]
	s_cbranch_execz .LBB32_1290
.LBB32_3340:
	v_mov_b32_e32 v20, 0
	v_cmp_ne_u16_sdwa s[8:9], v21, v20 src0_sel:BYTE_0 src1_sel:DWORD
	s_andn2_b64 s[4:5], s[4:5], exec
	s_and_b64 s[8:9], s[8:9], exec
	s_or_b64 s[4:5], s[4:5], s[8:9]
	s_or_b64 exec, exec, s[6:7]
	s_and_saveexec_b64 s[6:7], s[4:5]
	s_cbranch_execnz .LBB32_1291
	s_branch .LBB32_1292
.LBB32_3341:
	s_movk_i32 s4, 0x80
	v_cmp_eq_u16_sdwa s[12:13], v21, s4 src0_sel:BYTE_0 src1_sel:DWORD
	s_mov_b64 s[4:5], -1
                                        ; implicit-def: $sgpr10
	s_and_saveexec_b64 s[8:9], s[12:13]
; %bb.3342:
	s_mov_b32 s10, 0x7f800001
	s_xor_b64 s[4:5], exec, -1
; %bb.3343:
	s_or_b64 exec, exec, s[8:9]
	s_and_b64 s[4:5], s[4:5], exec
	s_or_saveexec_b64 s[6:7], s[6:7]
	v_mov_b32_e32 v22, s10
	s_xor_b64 exec, exec, s[6:7]
	s_cbranch_execz .LBB32_1294
.LBB32_3344:
	v_mov_b32_e32 v22, 0
	v_cmp_ne_u16_sdwa s[8:9], v21, v22 src0_sel:BYTE_0 src1_sel:DWORD
	s_andn2_b64 s[4:5], s[4:5], exec
	s_and_b64 s[8:9], s[8:9], exec
	s_or_b64 s[4:5], s[4:5], s[8:9]
	s_or_b64 exec, exec, s[6:7]
	s_and_saveexec_b64 s[6:7], s[4:5]
	s_cbranch_execnz .LBB32_1295
	s_branch .LBB32_1296
.LBB32_3345:
	s_movk_i32 s4, 0x80
	v_cmp_eq_u16_e32 vcc, s4, v21
	s_mov_b64 s[4:5], -1
                                        ; implicit-def: $sgpr10
	s_and_saveexec_b64 s[8:9], vcc
; %bb.3346:
	s_mov_b32 s10, 0x7f800001
	s_xor_b64 s[4:5], exec, -1
; %bb.3347:
	s_or_b64 exec, exec, s[8:9]
	s_and_b64 s[4:5], s[4:5], exec
                                        ; implicit-def: $vgpr21
	s_or_saveexec_b64 s[6:7], s[6:7]
	v_mov_b32_e32 v20, s10
	s_xor_b64 exec, exec, s[6:7]
	s_cbranch_execz .LBB32_1298
.LBB32_3348:
	v_cmp_ne_u16_e32 vcc, 0, v21
	s_andn2_b64 s[4:5], s[4:5], exec
	s_and_b64 s[8:9], vcc, exec
	v_mov_b32_e32 v20, 0
	s_or_b64 s[4:5], s[4:5], s[8:9]
	s_or_b64 exec, exec, s[6:7]
	s_and_saveexec_b64 s[6:7], s[4:5]
	s_cbranch_execnz .LBB32_1299
	s_branch .LBB32_1300
.LBB32_3349:
	s_movk_i32 s4, 0x80
	v_cmp_eq_u16_e32 vcc, s4, v21
	s_mov_b64 s[4:5], -1
                                        ; implicit-def: $sgpr10
	s_and_saveexec_b64 s[8:9], vcc
; %bb.3350:
	s_mov_b32 s10, 0x7f800001
	s_xor_b64 s[4:5], exec, -1
; %bb.3351:
	s_or_b64 exec, exec, s[8:9]
	s_and_b64 s[4:5], s[4:5], exec
                                        ; implicit-def: $vgpr21
	s_or_saveexec_b64 s[6:7], s[6:7]
	v_mov_b32_e32 v22, s10
	s_xor_b64 exec, exec, s[6:7]
	s_cbranch_execz .LBB32_1302
.LBB32_3352:
	v_cmp_ne_u16_e32 vcc, 0, v21
	s_andn2_b64 s[4:5], s[4:5], exec
	s_and_b64 s[8:9], vcc, exec
	v_mov_b32_e32 v22, 0
	s_or_b64 s[4:5], s[4:5], s[8:9]
	s_or_b64 exec, exec, s[6:7]
	s_and_saveexec_b64 s[6:7], s[4:5]
	s_cbranch_execnz .LBB32_1303
	s_branch .LBB32_1304
.LBB32_3353:
	s_movk_i32 s4, 0x80
	v_cmp_eq_u16_sdwa s[12:13], v14, s4 src0_sel:BYTE_3 src1_sel:DWORD
	s_mov_b64 s[4:5], -1
                                        ; implicit-def: $sgpr10
	s_and_saveexec_b64 s[8:9], s[12:13]
; %bb.3354:
	s_mov_b32 s10, 0x7f800001
	s_xor_b64 s[4:5], exec, -1
; %bb.3355:
	s_or_b64 exec, exec, s[8:9]
	s_and_b64 s[4:5], s[4:5], exec
	s_or_saveexec_b64 s[6:7], s[6:7]
	v_mov_b32_e32 v20, s10
	s_xor_b64 exec, exec, s[6:7]
	s_cbranch_execz .LBB32_1306
.LBB32_3356:
	v_mov_b32_e32 v20, 0
	v_cmp_ne_u16_sdwa s[8:9], v14, v20 src0_sel:BYTE_3 src1_sel:DWORD
	s_andn2_b64 s[4:5], s[4:5], exec
	s_and_b64 s[8:9], s[8:9], exec
	s_or_b64 s[4:5], s[4:5], s[8:9]
	s_or_b64 exec, exec, s[6:7]
	s_and_saveexec_b64 s[6:7], s[4:5]
	s_cbranch_execnz .LBB32_1307
	s_branch .LBB32_1308
.LBB32_3357:
	s_movk_i32 s4, 0x80
	v_cmp_eq_u16_sdwa s[12:13], v10, s4 src0_sel:BYTE_3 src1_sel:DWORD
	s_mov_b64 s[4:5], -1
                                        ; implicit-def: $sgpr10
	s_and_saveexec_b64 s[8:9], s[12:13]
; %bb.3358:
	s_mov_b32 s10, 0x7f800001
	s_xor_b64 s[4:5], exec, -1
; %bb.3359:
	s_or_b64 exec, exec, s[8:9]
	s_and_b64 s[4:5], s[4:5], exec
	s_or_saveexec_b64 s[6:7], s[6:7]
	v_mov_b32_e32 v14, s10
	s_xor_b64 exec, exec, s[6:7]
	s_cbranch_execz .LBB32_1310
.LBB32_3360:
	v_mov_b32_e32 v14, 0
	v_cmp_ne_u16_sdwa s[8:9], v10, v14 src0_sel:BYTE_3 src1_sel:DWORD
	s_andn2_b64 s[4:5], s[4:5], exec
	s_and_b64 s[8:9], s[8:9], exec
	s_or_b64 s[4:5], s[4:5], s[8:9]
	s_or_b64 exec, exec, s[6:7]
	s_and_saveexec_b64 s[6:7], s[4:5]
	s_cbranch_execnz .LBB32_1311
	s_branch .LBB32_1312
.LBB32_3361:
	s_movk_i32 s4, 0x80
	v_cmp_eq_u16_sdwa s[12:13], v15, s4 src0_sel:BYTE_0 src1_sel:DWORD
	s_mov_b64 s[4:5], -1
                                        ; implicit-def: $sgpr10
	s_and_saveexec_b64 s[8:9], s[12:13]
; %bb.3362:
	s_mov_b32 s10, 0x7f800001
	s_xor_b64 s[4:5], exec, -1
; %bb.3363:
	s_or_b64 exec, exec, s[8:9]
	s_and_b64 s[4:5], s[4:5], exec
	s_or_saveexec_b64 s[6:7], s[6:7]
	v_mov_b32_e32 v10, s10
	s_xor_b64 exec, exec, s[6:7]
	s_cbranch_execz .LBB32_1314
.LBB32_3364:
	v_mov_b32_e32 v10, 0
	v_cmp_ne_u16_sdwa s[8:9], v15, v10 src0_sel:BYTE_0 src1_sel:DWORD
	s_andn2_b64 s[4:5], s[4:5], exec
	s_and_b64 s[8:9], s[8:9], exec
	s_or_b64 s[4:5], s[4:5], s[8:9]
	s_or_b64 exec, exec, s[6:7]
	s_and_saveexec_b64 s[6:7], s[4:5]
	s_cbranch_execnz .LBB32_1315
	s_branch .LBB32_1316
.LBB32_3365:
	s_movk_i32 s4, 0x80
	v_cmp_eq_u16_sdwa s[12:13], v11, s4 src0_sel:BYTE_0 src1_sel:DWORD
	s_mov_b64 s[4:5], -1
                                        ; implicit-def: $sgpr10
	s_and_saveexec_b64 s[8:9], s[12:13]
; %bb.3366:
	s_mov_b32 s10, 0x7f800001
	s_xor_b64 s[4:5], exec, -1
; %bb.3367:
	s_or_b64 exec, exec, s[8:9]
	s_and_b64 s[4:5], s[4:5], exec
	s_or_saveexec_b64 s[6:7], s[6:7]
	v_mov_b32_e32 v14, s10
	s_xor_b64 exec, exec, s[6:7]
	s_cbranch_execz .LBB32_1318
.LBB32_3368:
	v_mov_b32_e32 v14, 0
	v_cmp_ne_u16_sdwa s[8:9], v11, v14 src0_sel:BYTE_0 src1_sel:DWORD
	s_andn2_b64 s[4:5], s[4:5], exec
	s_and_b64 s[8:9], s[8:9], exec
	s_or_b64 s[4:5], s[4:5], s[8:9]
	s_or_b64 exec, exec, s[6:7]
	s_and_saveexec_b64 s[6:7], s[4:5]
	s_cbranch_execnz .LBB32_1319
	s_branch .LBB32_1320
.LBB32_3369:
	s_movk_i32 s4, 0x80
	v_cmp_eq_u16_sdwa s[12:13], v14, s4 src0_sel:BYTE_0 src1_sel:DWORD
	s_mov_b64 s[4:5], -1
                                        ; implicit-def: $sgpr10
	s_and_saveexec_b64 s[8:9], s[12:13]
; %bb.3370:
	s_mov_b32 s10, 0x7f800001
	s_xor_b64 s[4:5], exec, -1
; %bb.3371:
	s_or_b64 exec, exec, s[8:9]
	s_and_b64 s[4:5], s[4:5], exec
	s_or_saveexec_b64 s[6:7], s[6:7]
	v_mov_b32_e32 v10, s10
	s_xor_b64 exec, exec, s[6:7]
	s_cbranch_execz .LBB32_1322
.LBB32_3372:
	v_mov_b32_e32 v10, 0
	v_cmp_ne_u16_sdwa s[8:9], v14, v10 src0_sel:BYTE_0 src1_sel:DWORD
	s_andn2_b64 s[4:5], s[4:5], exec
	s_and_b64 s[8:9], s[8:9], exec
	s_or_b64 s[4:5], s[4:5], s[8:9]
	s_or_b64 exec, exec, s[6:7]
	s_and_saveexec_b64 s[6:7], s[4:5]
	s_cbranch_execnz .LBB32_1323
	s_branch .LBB32_1324
.LBB32_3373:
	s_movk_i32 s4, 0x80
	v_cmp_eq_u16_sdwa s[12:13], v14, s4 src0_sel:BYTE_0 src1_sel:DWORD
	s_mov_b64 s[4:5], -1
                                        ; implicit-def: $sgpr10
	s_and_saveexec_b64 s[8:9], s[12:13]
; %bb.3374:
	s_mov_b32 s10, 0x7f800001
	s_xor_b64 s[4:5], exec, -1
; %bb.3375:
	s_or_b64 exec, exec, s[8:9]
	s_and_b64 s[4:5], s[4:5], exec
	s_or_saveexec_b64 s[6:7], s[6:7]
	v_mov_b32_e32 v20, s10
	s_xor_b64 exec, exec, s[6:7]
	s_cbranch_execz .LBB32_1326
.LBB32_3376:
	v_mov_b32_e32 v20, 0
	v_cmp_ne_u16_sdwa s[8:9], v14, v20 src0_sel:BYTE_0 src1_sel:DWORD
	s_andn2_b64 s[4:5], s[4:5], exec
	s_and_b64 s[8:9], s[8:9], exec
	s_or_b64 s[4:5], s[4:5], s[8:9]
	s_or_b64 exec, exec, s[6:7]
	s_and_saveexec_b64 s[6:7], s[4:5]
	s_cbranch_execnz .LBB32_1327
	s_branch .LBB32_1328
.LBB32_3377:
	s_movk_i32 s4, 0x80
	v_cmp_eq_u16_e32 vcc, s4, v14
	s_mov_b64 s[4:5], -1
                                        ; implicit-def: $sgpr10
	s_and_saveexec_b64 s[8:9], vcc
; %bb.3378:
	s_mov_b32 s10, 0x7f800001
	s_xor_b64 s[4:5], exec, -1
; %bb.3379:
	s_or_b64 exec, exec, s[8:9]
	s_and_b64 s[4:5], s[4:5], exec
                                        ; implicit-def: $vgpr14
	s_or_saveexec_b64 s[6:7], s[6:7]
	v_mov_b32_e32 v10, s10
	s_xor_b64 exec, exec, s[6:7]
	s_cbranch_execz .LBB32_1330
.LBB32_3380:
	v_cmp_ne_u16_e32 vcc, 0, v14
	s_andn2_b64 s[4:5], s[4:5], exec
	s_and_b64 s[8:9], vcc, exec
	v_mov_b32_e32 v10, 0
	s_or_b64 s[4:5], s[4:5], s[8:9]
	s_or_b64 exec, exec, s[6:7]
	s_and_saveexec_b64 s[6:7], s[4:5]
	s_cbranch_execnz .LBB32_1331
	s_branch .LBB32_1332
.LBB32_3381:
	s_movk_i32 s4, 0x80
	v_cmp_eq_u16_e32 vcc, s4, v14
	s_mov_b64 s[4:5], -1
                                        ; implicit-def: $sgpr10
	s_and_saveexec_b64 s[8:9], vcc
; %bb.3382:
	s_mov_b32 s10, 0x7f800001
	s_xor_b64 s[4:5], exec, -1
; %bb.3383:
	s_or_b64 exec, exec, s[8:9]
	s_and_b64 s[4:5], s[4:5], exec
                                        ; implicit-def: $vgpr14
	s_or_saveexec_b64 s[6:7], s[6:7]
	v_mov_b32_e32 v20, s10
	s_xor_b64 exec, exec, s[6:7]
	s_cbranch_execz .LBB32_1334
.LBB32_3384:
	v_cmp_ne_u16_e32 vcc, 0, v14
	s_andn2_b64 s[4:5], s[4:5], exec
	s_and_b64 s[8:9], vcc, exec
	v_mov_b32_e32 v20, 0
	s_or_b64 s[4:5], s[4:5], s[8:9]
	s_or_b64 exec, exec, s[6:7]
	s_and_saveexec_b64 s[6:7], s[4:5]
	s_cbranch_execnz .LBB32_1335
	s_branch .LBB32_1336
.LBB32_3385:
	s_movk_i32 s4, 0x80
	v_cmp_eq_u16_sdwa s[12:13], v15, s4 src0_sel:BYTE_3 src1_sel:DWORD
	s_mov_b64 s[4:5], -1
                                        ; implicit-def: $sgpr10
	s_and_saveexec_b64 s[8:9], s[12:13]
; %bb.3386:
	s_mov_b32 s10, 0x7f800001
	s_xor_b64 s[4:5], exec, -1
; %bb.3387:
	s_or_b64 exec, exec, s[8:9]
	s_and_b64 s[4:5], s[4:5], exec
	s_or_saveexec_b64 s[6:7], s[6:7]
	v_mov_b32_e32 v10, s10
	s_xor_b64 exec, exec, s[6:7]
	s_cbranch_execz .LBB32_1338
.LBB32_3388:
	v_mov_b32_e32 v10, 0
	v_cmp_ne_u16_sdwa s[8:9], v15, v10 src0_sel:BYTE_3 src1_sel:DWORD
	s_andn2_b64 s[4:5], s[4:5], exec
	s_and_b64 s[8:9], s[8:9], exec
	s_or_b64 s[4:5], s[4:5], s[8:9]
	s_or_b64 exec, exec, s[6:7]
	s_and_saveexec_b64 s[6:7], s[4:5]
	s_cbranch_execnz .LBB32_1339
	s_branch .LBB32_1340
.LBB32_3389:
	s_movk_i32 s4, 0x80
	v_cmp_eq_u16_sdwa s[12:13], v11, s4 src0_sel:BYTE_3 src1_sel:DWORD
	s_mov_b64 s[4:5], -1
                                        ; implicit-def: $sgpr10
	s_and_saveexec_b64 s[8:9], s[12:13]
; %bb.3390:
	s_mov_b32 s10, 0x7f800001
	s_xor_b64 s[4:5], exec, -1
; %bb.3391:
	s_or_b64 exec, exec, s[8:9]
	s_and_b64 s[4:5], s[4:5], exec
	s_or_saveexec_b64 s[6:7], s[6:7]
	v_mov_b32_e32 v14, s10
	s_xor_b64 exec, exec, s[6:7]
	s_cbranch_execz .LBB32_1342
.LBB32_3392:
	v_mov_b32_e32 v14, 0
	v_cmp_ne_u16_sdwa s[8:9], v11, v14 src0_sel:BYTE_3 src1_sel:DWORD
	s_andn2_b64 s[4:5], s[4:5], exec
	s_and_b64 s[8:9], s[8:9], exec
	s_or_b64 s[4:5], s[4:5], s[8:9]
	s_or_b64 exec, exec, s[6:7]
	s_and_saveexec_b64 s[6:7], s[4:5]
	s_cbranch_execnz .LBB32_1343
	s_branch .LBB32_1344
.LBB32_3393:
	s_movk_i32 s4, 0x80
	v_cmp_eq_u16_sdwa s[12:13], v16, s4 src0_sel:BYTE_0 src1_sel:DWORD
	s_mov_b64 s[4:5], -1
                                        ; implicit-def: $sgpr10
	s_and_saveexec_b64 s[8:9], s[12:13]
; %bb.3394:
	s_mov_b32 s10, 0x7f800001
	s_xor_b64 s[4:5], exec, -1
; %bb.3395:
	s_or_b64 exec, exec, s[8:9]
	s_and_b64 s[4:5], s[4:5], exec
	s_or_saveexec_b64 s[6:7], s[6:7]
	v_mov_b32_e32 v10, s10
	s_xor_b64 exec, exec, s[6:7]
	s_cbranch_execz .LBB32_1346
.LBB32_3396:
	v_mov_b32_e32 v10, 0
	v_cmp_ne_u16_sdwa s[8:9], v16, v10 src0_sel:BYTE_0 src1_sel:DWORD
	s_andn2_b64 s[4:5], s[4:5], exec
	s_and_b64 s[8:9], s[8:9], exec
	s_or_b64 s[4:5], s[4:5], s[8:9]
	s_or_b64 exec, exec, s[6:7]
	s_and_saveexec_b64 s[6:7], s[4:5]
	s_cbranch_execnz .LBB32_1347
	s_branch .LBB32_1348
.LBB32_3397:
	s_movk_i32 s4, 0x80
	v_cmp_eq_u16_sdwa s[12:13], v12, s4 src0_sel:BYTE_0 src1_sel:DWORD
	s_mov_b64 s[4:5], -1
                                        ; implicit-def: $sgpr10
	s_and_saveexec_b64 s[8:9], s[12:13]
; %bb.3398:
	s_mov_b32 s10, 0x7f800001
	s_xor_b64 s[4:5], exec, -1
; %bb.3399:
	s_or_b64 exec, exec, s[8:9]
	s_and_b64 s[4:5], s[4:5], exec
	s_or_saveexec_b64 s[6:7], s[6:7]
	v_mov_b32_e32 v11, s10
	s_xor_b64 exec, exec, s[6:7]
	s_cbranch_execz .LBB32_1350
.LBB32_3400:
	v_mov_b32_e32 v11, 0
	v_cmp_ne_u16_sdwa s[8:9], v12, v11 src0_sel:BYTE_0 src1_sel:DWORD
	s_andn2_b64 s[4:5], s[4:5], exec
	s_and_b64 s[8:9], s[8:9], exec
	s_or_b64 s[4:5], s[4:5], s[8:9]
	s_or_b64 exec, exec, s[6:7]
	s_and_saveexec_b64 s[6:7], s[4:5]
	s_cbranch_execnz .LBB32_1351
	s_branch .LBB32_1352
.LBB32_3401:
	s_movk_i32 s4, 0x80
	v_cmp_eq_u16_sdwa s[12:13], v11, s4 src0_sel:BYTE_0 src1_sel:DWORD
	s_mov_b64 s[4:5], -1
                                        ; implicit-def: $sgpr10
	s_and_saveexec_b64 s[8:9], s[12:13]
; %bb.3402:
	s_mov_b32 s10, 0x7f800001
	s_xor_b64 s[4:5], exec, -1
; %bb.3403:
	s_or_b64 exec, exec, s[8:9]
	s_and_b64 s[4:5], s[4:5], exec
	s_or_saveexec_b64 s[6:7], s[6:7]
	v_mov_b32_e32 v10, s10
	s_xor_b64 exec, exec, s[6:7]
	s_cbranch_execz .LBB32_1354
.LBB32_3404:
	v_mov_b32_e32 v10, 0
	v_cmp_ne_u16_sdwa s[8:9], v11, v10 src0_sel:BYTE_0 src1_sel:DWORD
	s_andn2_b64 s[4:5], s[4:5], exec
	s_and_b64 s[8:9], s[8:9], exec
	s_or_b64 s[4:5], s[4:5], s[8:9]
	s_or_b64 exec, exec, s[6:7]
	s_and_saveexec_b64 s[6:7], s[4:5]
	s_cbranch_execnz .LBB32_1355
	s_branch .LBB32_1356
.LBB32_3405:
	s_movk_i32 s4, 0x80
	v_cmp_eq_u16_sdwa s[12:13], v11, s4 src0_sel:BYTE_0 src1_sel:DWORD
	s_mov_b64 s[4:5], -1
                                        ; implicit-def: $sgpr10
	s_and_saveexec_b64 s[8:9], s[12:13]
; %bb.3406:
	s_mov_b32 s10, 0x7f800001
	s_xor_b64 s[4:5], exec, -1
; %bb.3407:
	s_or_b64 exec, exec, s[8:9]
	s_and_b64 s[4:5], s[4:5], exec
	s_or_saveexec_b64 s[6:7], s[6:7]
	v_mov_b32_e32 v14, s10
	s_xor_b64 exec, exec, s[6:7]
	s_cbranch_execz .LBB32_1358
.LBB32_3408:
	v_mov_b32_e32 v14, 0
	v_cmp_ne_u16_sdwa s[8:9], v11, v14 src0_sel:BYTE_0 src1_sel:DWORD
	s_andn2_b64 s[4:5], s[4:5], exec
	s_and_b64 s[8:9], s[8:9], exec
	s_or_b64 s[4:5], s[4:5], s[8:9]
	s_or_b64 exec, exec, s[6:7]
	s_and_saveexec_b64 s[6:7], s[4:5]
	s_cbranch_execnz .LBB32_1359
	s_branch .LBB32_1360
.LBB32_3409:
	s_movk_i32 s4, 0x80
	v_cmp_eq_u16_e32 vcc, s4, v11
	s_mov_b64 s[4:5], -1
                                        ; implicit-def: $sgpr10
	s_and_saveexec_b64 s[8:9], vcc
; %bb.3410:
	s_mov_b32 s10, 0x7f800001
	s_xor_b64 s[4:5], exec, -1
; %bb.3411:
	s_or_b64 exec, exec, s[8:9]
	s_and_b64 s[4:5], s[4:5], exec
                                        ; implicit-def: $vgpr11
	s_or_saveexec_b64 s[6:7], s[6:7]
	v_mov_b32_e32 v10, s10
	s_xor_b64 exec, exec, s[6:7]
	s_cbranch_execz .LBB32_1362
.LBB32_3412:
	v_cmp_ne_u16_e32 vcc, 0, v11
	s_andn2_b64 s[4:5], s[4:5], exec
	s_and_b64 s[8:9], vcc, exec
	v_mov_b32_e32 v10, 0
	s_or_b64 s[4:5], s[4:5], s[8:9]
	s_or_b64 exec, exec, s[6:7]
	s_and_saveexec_b64 s[6:7], s[4:5]
	s_cbranch_execnz .LBB32_1363
	s_branch .LBB32_1364
.LBB32_3413:
	s_movk_i32 s4, 0x80
	v_cmp_eq_u16_e32 vcc, s4, v11
	s_mov_b64 s[4:5], -1
                                        ; implicit-def: $sgpr10
	s_and_saveexec_b64 s[8:9], vcc
; %bb.3414:
	s_mov_b32 s10, 0x7f800001
	s_xor_b64 s[4:5], exec, -1
; %bb.3415:
	s_or_b64 exec, exec, s[8:9]
	s_and_b64 s[4:5], s[4:5], exec
                                        ; implicit-def: $vgpr11
	s_or_saveexec_b64 s[6:7], s[6:7]
	v_mov_b32_e32 v14, s10
	s_xor_b64 exec, exec, s[6:7]
	s_cbranch_execz .LBB32_1366
.LBB32_3416:
	v_cmp_ne_u16_e32 vcc, 0, v11
	s_andn2_b64 s[4:5], s[4:5], exec
	s_and_b64 s[8:9], vcc, exec
	v_mov_b32_e32 v14, 0
	s_or_b64 s[4:5], s[4:5], s[8:9]
	s_or_b64 exec, exec, s[6:7]
	s_and_saveexec_b64 s[6:7], s[4:5]
	s_cbranch_execnz .LBB32_1367
	s_branch .LBB32_1368
.LBB32_3417:
	s_movk_i32 s4, 0x80
	v_cmp_eq_u16_sdwa s[12:13], v16, s4 src0_sel:BYTE_3 src1_sel:DWORD
	s_mov_b64 s[4:5], -1
                                        ; implicit-def: $sgpr10
	s_and_saveexec_b64 s[8:9], s[12:13]
; %bb.3418:
	s_mov_b32 s10, 0x7f800001
	s_xor_b64 s[4:5], exec, -1
; %bb.3419:
	s_or_b64 exec, exec, s[8:9]
	s_and_b64 s[4:5], s[4:5], exec
	s_or_saveexec_b64 s[6:7], s[6:7]
	v_mov_b32_e32 v10, s10
	s_xor_b64 exec, exec, s[6:7]
	s_cbranch_execz .LBB32_1370
.LBB32_3420:
	v_mov_b32_e32 v10, 0
	v_cmp_ne_u16_sdwa s[8:9], v16, v10 src0_sel:BYTE_3 src1_sel:DWORD
	s_andn2_b64 s[4:5], s[4:5], exec
	s_and_b64 s[8:9], s[8:9], exec
	s_or_b64 s[4:5], s[4:5], s[8:9]
	s_or_b64 exec, exec, s[6:7]
	s_and_saveexec_b64 s[6:7], s[4:5]
	s_cbranch_execnz .LBB32_1371
	s_branch .LBB32_1372
.LBB32_3421:
	s_movk_i32 s4, 0x80
	v_cmp_eq_u16_sdwa s[12:13], v12, s4 src0_sel:BYTE_3 src1_sel:DWORD
	s_mov_b64 s[4:5], -1
                                        ; implicit-def: $sgpr10
	s_and_saveexec_b64 s[8:9], s[12:13]
; %bb.3422:
	s_mov_b32 s10, 0x7f800001
	s_xor_b64 s[4:5], exec, -1
; %bb.3423:
	s_or_b64 exec, exec, s[8:9]
	s_and_b64 s[4:5], s[4:5], exec
	s_or_saveexec_b64 s[6:7], s[6:7]
	v_mov_b32_e32 v11, s10
	s_xor_b64 exec, exec, s[6:7]
	s_cbranch_execz .LBB32_1374
.LBB32_3424:
	v_mov_b32_e32 v11, 0
	v_cmp_ne_u16_sdwa s[8:9], v12, v11 src0_sel:BYTE_3 src1_sel:DWORD
	s_andn2_b64 s[4:5], s[4:5], exec
	s_and_b64 s[8:9], s[8:9], exec
	s_or_b64 s[4:5], s[4:5], s[8:9]
	s_or_b64 exec, exec, s[6:7]
	s_and_saveexec_b64 s[6:7], s[4:5]
	s_cbranch_execnz .LBB32_1375
	s_branch .LBB32_1376
.LBB32_3425:
	s_movk_i32 s4, 0x80
	v_cmp_eq_u16_sdwa s[12:13], v17, s4 src0_sel:BYTE_0 src1_sel:DWORD
	s_mov_b64 s[4:5], -1
                                        ; implicit-def: $sgpr10
	s_and_saveexec_b64 s[8:9], s[12:13]
; %bb.3426:
	s_mov_b32 s10, 0x7f800001
	s_xor_b64 s[4:5], exec, -1
; %bb.3427:
	s_or_b64 exec, exec, s[8:9]
	s_and_b64 s[4:5], s[4:5], exec
	s_or_saveexec_b64 s[6:7], s[6:7]
	v_mov_b32_e32 v10, s10
	s_xor_b64 exec, exec, s[6:7]
	s_cbranch_execz .LBB32_1378
.LBB32_3428:
	v_mov_b32_e32 v10, 0
	v_cmp_ne_u16_sdwa s[8:9], v17, v10 src0_sel:BYTE_0 src1_sel:DWORD
	s_andn2_b64 s[4:5], s[4:5], exec
	s_and_b64 s[8:9], s[8:9], exec
	s_or_b64 s[4:5], s[4:5], s[8:9]
	s_or_b64 exec, exec, s[6:7]
	s_and_saveexec_b64 s[6:7], s[4:5]
	s_cbranch_execnz .LBB32_1379
	s_branch .LBB32_1380
.LBB32_3429:
	s_movk_i32 s4, 0x80
	v_cmp_eq_u16_sdwa s[12:13], v13, s4 src0_sel:BYTE_0 src1_sel:DWORD
	s_mov_b64 s[4:5], -1
                                        ; implicit-def: $sgpr10
	s_and_saveexec_b64 s[8:9], s[12:13]
; %bb.3430:
	s_mov_b32 s10, 0x7f800001
	s_xor_b64 s[4:5], exec, -1
; %bb.3431:
	s_or_b64 exec, exec, s[8:9]
	s_and_b64 s[4:5], s[4:5], exec
	s_or_saveexec_b64 s[6:7], s[6:7]
	v_mov_b32_e32 v11, s10
	s_xor_b64 exec, exec, s[6:7]
	s_cbranch_execz .LBB32_1382
.LBB32_3432:
	v_mov_b32_e32 v11, 0
	v_cmp_ne_u16_sdwa s[8:9], v13, v11 src0_sel:BYTE_0 src1_sel:DWORD
	s_andn2_b64 s[4:5], s[4:5], exec
	s_and_b64 s[8:9], s[8:9], exec
	s_or_b64 s[4:5], s[4:5], s[8:9]
	s_or_b64 exec, exec, s[6:7]
	s_and_saveexec_b64 s[6:7], s[4:5]
	s_cbranch_execnz .LBB32_1383
	s_branch .LBB32_1384
.LBB32_3433:
	s_movk_i32 s4, 0x80
	v_cmp_eq_u16_sdwa s[12:13], v11, s4 src0_sel:BYTE_0 src1_sel:DWORD
	s_mov_b64 s[4:5], -1
                                        ; implicit-def: $sgpr10
	s_and_saveexec_b64 s[8:9], s[12:13]
; %bb.3434:
	s_mov_b32 s10, 0x7f800001
	s_xor_b64 s[4:5], exec, -1
; %bb.3435:
	s_or_b64 exec, exec, s[8:9]
	s_and_b64 s[4:5], s[4:5], exec
	s_or_saveexec_b64 s[6:7], s[6:7]
	v_mov_b32_e32 v10, s10
	s_xor_b64 exec, exec, s[6:7]
	s_cbranch_execz .LBB32_1386
.LBB32_3436:
	v_mov_b32_e32 v10, 0
	v_cmp_ne_u16_sdwa s[8:9], v11, v10 src0_sel:BYTE_0 src1_sel:DWORD
	s_andn2_b64 s[4:5], s[4:5], exec
	s_and_b64 s[8:9], s[8:9], exec
	s_or_b64 s[4:5], s[4:5], s[8:9]
	s_or_b64 exec, exec, s[6:7]
	s_and_saveexec_b64 s[6:7], s[4:5]
	s_cbranch_execnz .LBB32_1387
	s_branch .LBB32_1388
.LBB32_3437:
	s_movk_i32 s4, 0x80
	v_cmp_eq_u16_sdwa s[12:13], v11, s4 src0_sel:BYTE_0 src1_sel:DWORD
	s_mov_b64 s[4:5], -1
                                        ; implicit-def: $sgpr10
	s_and_saveexec_b64 s[8:9], s[12:13]
; %bb.3438:
	s_mov_b32 s10, 0x7f800001
	s_xor_b64 s[4:5], exec, -1
; %bb.3439:
	s_or_b64 exec, exec, s[8:9]
	s_and_b64 s[4:5], s[4:5], exec
	s_or_saveexec_b64 s[6:7], s[6:7]
	v_mov_b32_e32 v12, s10
	s_xor_b64 exec, exec, s[6:7]
	s_cbranch_execz .LBB32_1390
.LBB32_3440:
	v_mov_b32_e32 v12, 0
	v_cmp_ne_u16_sdwa s[8:9], v11, v12 src0_sel:BYTE_0 src1_sel:DWORD
	s_andn2_b64 s[4:5], s[4:5], exec
	s_and_b64 s[8:9], s[8:9], exec
	s_or_b64 s[4:5], s[4:5], s[8:9]
	s_or_b64 exec, exec, s[6:7]
	s_and_saveexec_b64 s[6:7], s[4:5]
	s_cbranch_execnz .LBB32_1391
	s_branch .LBB32_1392
.LBB32_3441:
	s_movk_i32 s4, 0x80
	v_cmp_eq_u16_e32 vcc, s4, v11
	s_mov_b64 s[4:5], -1
                                        ; implicit-def: $sgpr10
	s_and_saveexec_b64 s[8:9], vcc
; %bb.3442:
	s_mov_b32 s10, 0x7f800001
	s_xor_b64 s[4:5], exec, -1
; %bb.3443:
	s_or_b64 exec, exec, s[8:9]
	s_and_b64 s[4:5], s[4:5], exec
                                        ; implicit-def: $vgpr11
	s_or_saveexec_b64 s[6:7], s[6:7]
	v_mov_b32_e32 v10, s10
	s_xor_b64 exec, exec, s[6:7]
	s_cbranch_execz .LBB32_1394
.LBB32_3444:
	v_cmp_ne_u16_e32 vcc, 0, v11
	s_andn2_b64 s[4:5], s[4:5], exec
	s_and_b64 s[8:9], vcc, exec
	v_mov_b32_e32 v10, 0
	s_or_b64 s[4:5], s[4:5], s[8:9]
	s_or_b64 exec, exec, s[6:7]
	s_and_saveexec_b64 s[6:7], s[4:5]
	s_cbranch_execnz .LBB32_1395
	s_branch .LBB32_1396
.LBB32_3445:
	s_movk_i32 s4, 0x80
	v_cmp_eq_u16_e32 vcc, s4, v11
	s_mov_b64 s[4:5], -1
                                        ; implicit-def: $sgpr10
	s_and_saveexec_b64 s[8:9], vcc
; %bb.3446:
	s_mov_b32 s10, 0x7f800001
	s_xor_b64 s[4:5], exec, -1
; %bb.3447:
	s_or_b64 exec, exec, s[8:9]
	s_and_b64 s[4:5], s[4:5], exec
                                        ; implicit-def: $vgpr11
	s_or_saveexec_b64 s[6:7], s[6:7]
	v_mov_b32_e32 v12, s10
	s_xor_b64 exec, exec, s[6:7]
	s_cbranch_execz .LBB32_1398
.LBB32_3448:
	v_cmp_ne_u16_e32 vcc, 0, v11
	s_andn2_b64 s[4:5], s[4:5], exec
	s_and_b64 s[8:9], vcc, exec
	v_mov_b32_e32 v12, 0
	s_or_b64 s[4:5], s[4:5], s[8:9]
	s_or_b64 exec, exec, s[6:7]
	s_and_saveexec_b64 s[6:7], s[4:5]
	s_cbranch_execnz .LBB32_1399
	s_branch .LBB32_1400
.LBB32_3449:
	s_movk_i32 s4, 0x80
	v_cmp_eq_u16_sdwa s[12:13], v17, s4 src0_sel:BYTE_3 src1_sel:DWORD
	s_mov_b64 s[4:5], -1
                                        ; implicit-def: $sgpr10
	s_and_saveexec_b64 s[8:9], s[12:13]
; %bb.3450:
	s_mov_b32 s10, 0x7f800001
	s_xor_b64 s[4:5], exec, -1
; %bb.3451:
	s_or_b64 exec, exec, s[8:9]
	s_and_b64 s[4:5], s[4:5], exec
	s_or_saveexec_b64 s[6:7], s[6:7]
	v_mov_b32_e32 v10, s10
	s_xor_b64 exec, exec, s[6:7]
	s_cbranch_execz .LBB32_1402
.LBB32_3452:
	v_mov_b32_e32 v10, 0
	v_cmp_ne_u16_sdwa s[8:9], v17, v10 src0_sel:BYTE_3 src1_sel:DWORD
	s_andn2_b64 s[4:5], s[4:5], exec
	s_and_b64 s[8:9], s[8:9], exec
	s_or_b64 s[4:5], s[4:5], s[8:9]
	s_or_b64 exec, exec, s[6:7]
	s_and_saveexec_b64 s[6:7], s[4:5]
	s_cbranch_execnz .LBB32_1403
	s_branch .LBB32_1404
.LBB32_3453:
	s_movk_i32 s4, 0x80
	v_cmp_eq_u16_sdwa s[12:13], v13, s4 src0_sel:BYTE_3 src1_sel:DWORD
	s_mov_b64 s[4:5], -1
                                        ; implicit-def: $sgpr10
	s_and_saveexec_b64 s[8:9], s[12:13]
; %bb.3454:
	s_mov_b32 s10, 0x7f800001
	s_xor_b64 s[4:5], exec, -1
; %bb.3455:
	s_or_b64 exec, exec, s[8:9]
	s_and_b64 s[4:5], s[4:5], exec
	s_or_saveexec_b64 s[6:7], s[6:7]
	v_mov_b32_e32 v11, s10
	s_xor_b64 exec, exec, s[6:7]
	s_cbranch_execz .LBB32_1406
.LBB32_3456:
	v_mov_b32_e32 v11, 0
	v_cmp_ne_u16_sdwa s[8:9], v13, v11 src0_sel:BYTE_3 src1_sel:DWORD
	s_andn2_b64 s[4:5], s[4:5], exec
	s_and_b64 s[8:9], s[8:9], exec
	s_or_b64 s[4:5], s[4:5], s[8:9]
	s_or_b64 exec, exec, s[6:7]
	s_and_saveexec_b64 s[6:7], s[4:5]
	s_cbranch_execnz .LBB32_1407
	s_branch .LBB32_1408
.LBB32_3457:
	s_movk_i32 s4, 0x80
	v_cmp_eq_u16_sdwa s[12:13], v6, s4 src0_sel:BYTE_0 src1_sel:DWORD
	s_mov_b64 s[4:5], -1
                                        ; implicit-def: $sgpr10
	s_and_saveexec_b64 s[8:9], s[12:13]
; %bb.3458:
	s_mov_b32 s10, 0x7f800001
	s_xor_b64 s[4:5], exec, -1
; %bb.3459:
	s_or_b64 exec, exec, s[8:9]
	s_and_b64 s[4:5], s[4:5], exec
	s_or_saveexec_b64 s[6:7], s[6:7]
	v_mov_b32_e32 v10, s10
	s_xor_b64 exec, exec, s[6:7]
	s_cbranch_execz .LBB32_1410
.LBB32_3460:
	v_mov_b32_e32 v10, 0
	v_cmp_ne_u16_sdwa s[8:9], v6, v10 src0_sel:BYTE_0 src1_sel:DWORD
	s_andn2_b64 s[4:5], s[4:5], exec
	s_and_b64 s[8:9], s[8:9], exec
	s_or_b64 s[4:5], s[4:5], s[8:9]
	s_or_b64 exec, exec, s[6:7]
	s_and_saveexec_b64 s[6:7], s[4:5]
	s_cbranch_execnz .LBB32_1411
	s_branch .LBB32_1412
.LBB32_3461:
	s_movk_i32 s4, 0x80
	v_cmp_eq_u16_sdwa s[12:13], v2, s4 src0_sel:BYTE_0 src1_sel:DWORD
	s_mov_b64 s[4:5], -1
                                        ; implicit-def: $sgpr10
	s_and_saveexec_b64 s[8:9], s[12:13]
; %bb.3462:
	s_mov_b32 s10, 0x7f800001
	s_xor_b64 s[4:5], exec, -1
; %bb.3463:
	s_or_b64 exec, exec, s[8:9]
	s_and_b64 s[4:5], s[4:5], exec
	s_or_saveexec_b64 s[6:7], s[6:7]
	v_mov_b32_e32 v11, s10
	s_xor_b64 exec, exec, s[6:7]
	s_cbranch_execz .LBB32_1414
.LBB32_3464:
	v_mov_b32_e32 v11, 0
	v_cmp_ne_u16_sdwa s[8:9], v2, v11 src0_sel:BYTE_0 src1_sel:DWORD
	s_andn2_b64 s[4:5], s[4:5], exec
	s_and_b64 s[8:9], s[8:9], exec
	s_or_b64 s[4:5], s[4:5], s[8:9]
	s_or_b64 exec, exec, s[6:7]
	s_and_saveexec_b64 s[6:7], s[4:5]
	s_cbranch_execnz .LBB32_1415
	s_branch .LBB32_1416
.LBB32_3465:
	s_movk_i32 s4, 0x80
	v_cmp_eq_u16_sdwa s[12:13], v11, s4 src0_sel:BYTE_0 src1_sel:DWORD
	s_mov_b64 s[4:5], -1
                                        ; implicit-def: $sgpr10
	s_and_saveexec_b64 s[8:9], s[12:13]
; %bb.3466:
	s_mov_b32 s10, 0x7f800001
	s_xor_b64 s[4:5], exec, -1
; %bb.3467:
	s_or_b64 exec, exec, s[8:9]
	s_and_b64 s[4:5], s[4:5], exec
	s_or_saveexec_b64 s[6:7], s[6:7]
	v_mov_b32_e32 v10, s10
	s_xor_b64 exec, exec, s[6:7]
	s_cbranch_execz .LBB32_1418
.LBB32_3468:
	v_mov_b32_e32 v10, 0
	v_cmp_ne_u16_sdwa s[8:9], v11, v10 src0_sel:BYTE_0 src1_sel:DWORD
	s_andn2_b64 s[4:5], s[4:5], exec
	s_and_b64 s[8:9], s[8:9], exec
	s_or_b64 s[4:5], s[4:5], s[8:9]
	s_or_b64 exec, exec, s[6:7]
	s_and_saveexec_b64 s[6:7], s[4:5]
	s_cbranch_execnz .LBB32_1419
	s_branch .LBB32_1420
.LBB32_3469:
	s_movk_i32 s4, 0x80
	v_cmp_eq_u16_sdwa s[12:13], v11, s4 src0_sel:BYTE_0 src1_sel:DWORD
	s_mov_b64 s[4:5], -1
                                        ; implicit-def: $sgpr10
	s_and_saveexec_b64 s[8:9], s[12:13]
; %bb.3470:
	s_mov_b32 s10, 0x7f800001
	s_xor_b64 s[4:5], exec, -1
; %bb.3471:
	s_or_b64 exec, exec, s[8:9]
	s_and_b64 s[4:5], s[4:5], exec
	s_or_saveexec_b64 s[6:7], s[6:7]
	v_mov_b32_e32 v12, s10
	s_xor_b64 exec, exec, s[6:7]
	s_cbranch_execz .LBB32_1422
.LBB32_3472:
	v_mov_b32_e32 v12, 0
	v_cmp_ne_u16_sdwa s[8:9], v11, v12 src0_sel:BYTE_0 src1_sel:DWORD
	s_andn2_b64 s[4:5], s[4:5], exec
	s_and_b64 s[8:9], s[8:9], exec
	s_or_b64 s[4:5], s[4:5], s[8:9]
	s_or_b64 exec, exec, s[6:7]
	s_and_saveexec_b64 s[6:7], s[4:5]
	s_cbranch_execnz .LBB32_1423
	s_branch .LBB32_1424
.LBB32_3473:
	s_movk_i32 s4, 0x80
	v_cmp_eq_u16_e32 vcc, s4, v11
	s_mov_b64 s[4:5], -1
                                        ; implicit-def: $sgpr10
	s_and_saveexec_b64 s[8:9], vcc
; %bb.3474:
	s_mov_b32 s10, 0x7f800001
	s_xor_b64 s[4:5], exec, -1
; %bb.3475:
	s_or_b64 exec, exec, s[8:9]
	s_and_b64 s[4:5], s[4:5], exec
                                        ; implicit-def: $vgpr11
	s_or_saveexec_b64 s[6:7], s[6:7]
	v_mov_b32_e32 v10, s10
	s_xor_b64 exec, exec, s[6:7]
	s_cbranch_execz .LBB32_1426
.LBB32_3476:
	v_cmp_ne_u16_e32 vcc, 0, v11
	s_andn2_b64 s[4:5], s[4:5], exec
	s_and_b64 s[8:9], vcc, exec
	v_mov_b32_e32 v10, 0
	s_or_b64 s[4:5], s[4:5], s[8:9]
	s_or_b64 exec, exec, s[6:7]
	s_and_saveexec_b64 s[6:7], s[4:5]
	s_cbranch_execnz .LBB32_1427
	s_branch .LBB32_1428
.LBB32_3477:
	s_movk_i32 s4, 0x80
	v_cmp_eq_u16_e32 vcc, s4, v11
	s_mov_b64 s[4:5], -1
                                        ; implicit-def: $sgpr10
	s_and_saveexec_b64 s[8:9], vcc
; %bb.3478:
	s_mov_b32 s10, 0x7f800001
	s_xor_b64 s[4:5], exec, -1
; %bb.3479:
	s_or_b64 exec, exec, s[8:9]
	s_and_b64 s[4:5], s[4:5], exec
                                        ; implicit-def: $vgpr11
	s_or_saveexec_b64 s[6:7], s[6:7]
	v_mov_b32_e32 v12, s10
	s_xor_b64 exec, exec, s[6:7]
	s_cbranch_execz .LBB32_1430
.LBB32_3480:
	v_cmp_ne_u16_e32 vcc, 0, v11
	s_andn2_b64 s[4:5], s[4:5], exec
	s_and_b64 s[8:9], vcc, exec
	v_mov_b32_e32 v12, 0
	s_or_b64 s[4:5], s[4:5], s[8:9]
	s_or_b64 exec, exec, s[6:7]
	s_and_saveexec_b64 s[6:7], s[4:5]
	s_cbranch_execnz .LBB32_1431
	s_branch .LBB32_1432
.LBB32_3481:
	s_movk_i32 s4, 0x80
	v_cmp_eq_u16_sdwa s[12:13], v6, s4 src0_sel:BYTE_3 src1_sel:DWORD
	s_mov_b64 s[4:5], -1
                                        ; implicit-def: $sgpr10
	s_and_saveexec_b64 s[8:9], s[12:13]
; %bb.3482:
	s_mov_b32 s10, 0x7f800001
	s_xor_b64 s[4:5], exec, -1
; %bb.3483:
	s_or_b64 exec, exec, s[8:9]
	s_and_b64 s[4:5], s[4:5], exec
	s_or_saveexec_b64 s[6:7], s[6:7]
	v_mov_b32_e32 v10, s10
	s_xor_b64 exec, exec, s[6:7]
	s_cbranch_execz .LBB32_1434
.LBB32_3484:
	v_mov_b32_e32 v10, 0
	v_cmp_ne_u16_sdwa s[8:9], v6, v10 src0_sel:BYTE_3 src1_sel:DWORD
	s_andn2_b64 s[4:5], s[4:5], exec
	s_and_b64 s[8:9], s[8:9], exec
	s_or_b64 s[4:5], s[4:5], s[8:9]
	s_or_b64 exec, exec, s[6:7]
	s_and_saveexec_b64 s[6:7], s[4:5]
	s_cbranch_execnz .LBB32_1435
	s_branch .LBB32_1436
.LBB32_3485:
	s_movk_i32 s4, 0x80
	v_cmp_eq_u16_sdwa s[12:13], v2, s4 src0_sel:BYTE_3 src1_sel:DWORD
	s_mov_b64 s[4:5], -1
                                        ; implicit-def: $sgpr10
	s_and_saveexec_b64 s[8:9], s[12:13]
; %bb.3486:
	s_mov_b32 s10, 0x7f800001
	s_xor_b64 s[4:5], exec, -1
; %bb.3487:
	s_or_b64 exec, exec, s[8:9]
	s_and_b64 s[4:5], s[4:5], exec
	s_or_saveexec_b64 s[6:7], s[6:7]
	v_mov_b32_e32 v6, s10
	s_xor_b64 exec, exec, s[6:7]
	s_cbranch_execz .LBB32_1438
.LBB32_3488:
	v_mov_b32_e32 v6, 0
	v_cmp_ne_u16_sdwa s[8:9], v2, v6 src0_sel:BYTE_3 src1_sel:DWORD
	s_andn2_b64 s[4:5], s[4:5], exec
	s_and_b64 s[8:9], s[8:9], exec
	s_or_b64 s[4:5], s[4:5], s[8:9]
	s_or_b64 exec, exec, s[6:7]
	s_and_saveexec_b64 s[6:7], s[4:5]
	s_cbranch_execnz .LBB32_1439
	s_branch .LBB32_1440
.LBB32_3489:
	s_movk_i32 s4, 0x80
	v_cmp_eq_u16_sdwa s[12:13], v7, s4 src0_sel:BYTE_0 src1_sel:DWORD
	s_mov_b64 s[4:5], -1
                                        ; implicit-def: $sgpr10
	s_and_saveexec_b64 s[8:9], s[12:13]
; %bb.3490:
	s_mov_b32 s10, 0x7f800001
	s_xor_b64 s[4:5], exec, -1
; %bb.3491:
	s_or_b64 exec, exec, s[8:9]
	s_and_b64 s[4:5], s[4:5], exec
	s_or_saveexec_b64 s[6:7], s[6:7]
	v_mov_b32_e32 v2, s10
	s_xor_b64 exec, exec, s[6:7]
	s_cbranch_execz .LBB32_1442
.LBB32_3492:
	v_mov_b32_e32 v2, 0
	v_cmp_ne_u16_sdwa s[8:9], v7, v2 src0_sel:BYTE_0 src1_sel:DWORD
	s_andn2_b64 s[4:5], s[4:5], exec
	s_and_b64 s[8:9], s[8:9], exec
	s_or_b64 s[4:5], s[4:5], s[8:9]
	s_or_b64 exec, exec, s[6:7]
	s_and_saveexec_b64 s[6:7], s[4:5]
	s_cbranch_execnz .LBB32_1443
	s_branch .LBB32_1444
.LBB32_3493:
	s_movk_i32 s4, 0x80
	v_cmp_eq_u16_sdwa s[12:13], v3, s4 src0_sel:BYTE_0 src1_sel:DWORD
	s_mov_b64 s[4:5], -1
                                        ; implicit-def: $sgpr10
	s_and_saveexec_b64 s[8:9], s[12:13]
; %bb.3494:
	s_mov_b32 s10, 0x7f800001
	s_xor_b64 s[4:5], exec, -1
; %bb.3495:
	s_or_b64 exec, exec, s[8:9]
	s_and_b64 s[4:5], s[4:5], exec
	s_or_saveexec_b64 s[6:7], s[6:7]
	v_mov_b32_e32 v6, s10
	s_xor_b64 exec, exec, s[6:7]
	s_cbranch_execz .LBB32_1446
.LBB32_3496:
	v_mov_b32_e32 v6, 0
	v_cmp_ne_u16_sdwa s[8:9], v3, v6 src0_sel:BYTE_0 src1_sel:DWORD
	s_andn2_b64 s[4:5], s[4:5], exec
	s_and_b64 s[8:9], s[8:9], exec
	s_or_b64 s[4:5], s[4:5], s[8:9]
	s_or_b64 exec, exec, s[6:7]
	s_and_saveexec_b64 s[6:7], s[4:5]
	s_cbranch_execnz .LBB32_1447
	s_branch .LBB32_1448
.LBB32_3497:
	s_movk_i32 s4, 0x80
	v_cmp_eq_u16_sdwa s[12:13], v6, s4 src0_sel:BYTE_0 src1_sel:DWORD
	s_mov_b64 s[4:5], -1
                                        ; implicit-def: $sgpr10
	s_and_saveexec_b64 s[8:9], s[12:13]
; %bb.3498:
	s_mov_b32 s10, 0x7f800001
	s_xor_b64 s[4:5], exec, -1
; %bb.3499:
	s_or_b64 exec, exec, s[8:9]
	s_and_b64 s[4:5], s[4:5], exec
	s_or_saveexec_b64 s[6:7], s[6:7]
	v_mov_b32_e32 v2, s10
	s_xor_b64 exec, exec, s[6:7]
	s_cbranch_execz .LBB32_1450
.LBB32_3500:
	v_mov_b32_e32 v2, 0
	v_cmp_ne_u16_sdwa s[8:9], v6, v2 src0_sel:BYTE_0 src1_sel:DWORD
	s_andn2_b64 s[4:5], s[4:5], exec
	s_and_b64 s[8:9], s[8:9], exec
	s_or_b64 s[4:5], s[4:5], s[8:9]
	s_or_b64 exec, exec, s[6:7]
	s_and_saveexec_b64 s[6:7], s[4:5]
	s_cbranch_execnz .LBB32_1451
	s_branch .LBB32_1452
.LBB32_3501:
	s_movk_i32 s4, 0x80
	v_cmp_eq_u16_sdwa s[12:13], v6, s4 src0_sel:BYTE_0 src1_sel:DWORD
	s_mov_b64 s[4:5], -1
                                        ; implicit-def: $sgpr10
	s_and_saveexec_b64 s[8:9], s[12:13]
; %bb.3502:
	s_mov_b32 s10, 0x7f800001
	s_xor_b64 s[4:5], exec, -1
; %bb.3503:
	s_or_b64 exec, exec, s[8:9]
	s_and_b64 s[4:5], s[4:5], exec
	s_or_saveexec_b64 s[6:7], s[6:7]
	v_mov_b32_e32 v10, s10
	s_xor_b64 exec, exec, s[6:7]
	s_cbranch_execz .LBB32_1454
.LBB32_3504:
	v_mov_b32_e32 v10, 0
	v_cmp_ne_u16_sdwa s[8:9], v6, v10 src0_sel:BYTE_0 src1_sel:DWORD
	s_andn2_b64 s[4:5], s[4:5], exec
	s_and_b64 s[8:9], s[8:9], exec
	s_or_b64 s[4:5], s[4:5], s[8:9]
	s_or_b64 exec, exec, s[6:7]
	s_and_saveexec_b64 s[6:7], s[4:5]
	s_cbranch_execnz .LBB32_1455
	s_branch .LBB32_1456
.LBB32_3505:
	s_movk_i32 s4, 0x80
	v_cmp_eq_u16_e32 vcc, s4, v6
	s_mov_b64 s[4:5], -1
                                        ; implicit-def: $sgpr10
	s_and_saveexec_b64 s[8:9], vcc
; %bb.3506:
	s_mov_b32 s10, 0x7f800001
	s_xor_b64 s[4:5], exec, -1
; %bb.3507:
	s_or_b64 exec, exec, s[8:9]
	s_and_b64 s[4:5], s[4:5], exec
                                        ; implicit-def: $vgpr6
	s_or_saveexec_b64 s[6:7], s[6:7]
	v_mov_b32_e32 v2, s10
	s_xor_b64 exec, exec, s[6:7]
	s_cbranch_execz .LBB32_1458
.LBB32_3508:
	v_cmp_ne_u16_e32 vcc, 0, v6
	s_andn2_b64 s[4:5], s[4:5], exec
	s_and_b64 s[8:9], vcc, exec
	v_mov_b32_e32 v2, 0
	s_or_b64 s[4:5], s[4:5], s[8:9]
	s_or_b64 exec, exec, s[6:7]
	s_and_saveexec_b64 s[6:7], s[4:5]
	s_cbranch_execnz .LBB32_1459
	s_branch .LBB32_1460
.LBB32_3509:
	s_movk_i32 s4, 0x80
	v_cmp_eq_u16_e32 vcc, s4, v6
	s_mov_b64 s[4:5], -1
                                        ; implicit-def: $sgpr10
	s_and_saveexec_b64 s[8:9], vcc
; %bb.3510:
	s_mov_b32 s10, 0x7f800001
	s_xor_b64 s[4:5], exec, -1
; %bb.3511:
	s_or_b64 exec, exec, s[8:9]
	s_and_b64 s[4:5], s[4:5], exec
                                        ; implicit-def: $vgpr6
	s_or_saveexec_b64 s[6:7], s[6:7]
	v_mov_b32_e32 v10, s10
	s_xor_b64 exec, exec, s[6:7]
	s_cbranch_execz .LBB32_1462
.LBB32_3512:
	v_cmp_ne_u16_e32 vcc, 0, v6
	s_andn2_b64 s[4:5], s[4:5], exec
	s_and_b64 s[8:9], vcc, exec
	v_mov_b32_e32 v10, 0
	s_or_b64 s[4:5], s[4:5], s[8:9]
	s_or_b64 exec, exec, s[6:7]
	s_and_saveexec_b64 s[6:7], s[4:5]
	s_cbranch_execnz .LBB32_1463
	s_branch .LBB32_1464
.LBB32_3513:
	s_movk_i32 s4, 0x80
	v_cmp_eq_u16_sdwa s[12:13], v7, s4 src0_sel:BYTE_3 src1_sel:DWORD
	s_mov_b64 s[4:5], -1
                                        ; implicit-def: $sgpr10
	s_and_saveexec_b64 s[8:9], s[12:13]
; %bb.3514:
	s_mov_b32 s10, 0x7f800001
	s_xor_b64 s[4:5], exec, -1
; %bb.3515:
	s_or_b64 exec, exec, s[8:9]
	s_and_b64 s[4:5], s[4:5], exec
	s_or_saveexec_b64 s[6:7], s[6:7]
	v_mov_b32_e32 v2, s10
	s_xor_b64 exec, exec, s[6:7]
	s_cbranch_execz .LBB32_1466
.LBB32_3516:
	v_mov_b32_e32 v2, 0
	v_cmp_ne_u16_sdwa s[8:9], v7, v2 src0_sel:BYTE_3 src1_sel:DWORD
	s_andn2_b64 s[4:5], s[4:5], exec
	s_and_b64 s[8:9], s[8:9], exec
	s_or_b64 s[4:5], s[4:5], s[8:9]
	s_or_b64 exec, exec, s[6:7]
	s_and_saveexec_b64 s[6:7], s[4:5]
	s_cbranch_execnz .LBB32_1467
	s_branch .LBB32_1468
.LBB32_3517:
	s_movk_i32 s4, 0x80
	v_cmp_eq_u16_sdwa s[12:13], v3, s4 src0_sel:BYTE_3 src1_sel:DWORD
	s_mov_b64 s[4:5], -1
                                        ; implicit-def: $sgpr10
	s_and_saveexec_b64 s[8:9], s[12:13]
; %bb.3518:
	s_mov_b32 s10, 0x7f800001
	s_xor_b64 s[4:5], exec, -1
; %bb.3519:
	s_or_b64 exec, exec, s[8:9]
	s_and_b64 s[4:5], s[4:5], exec
	s_or_saveexec_b64 s[6:7], s[6:7]
	v_mov_b32_e32 v6, s10
	s_xor_b64 exec, exec, s[6:7]
	s_cbranch_execz .LBB32_1470
.LBB32_3520:
	v_mov_b32_e32 v6, 0
	v_cmp_ne_u16_sdwa s[8:9], v3, v6 src0_sel:BYTE_3 src1_sel:DWORD
	s_andn2_b64 s[4:5], s[4:5], exec
	s_and_b64 s[8:9], s[8:9], exec
	s_or_b64 s[4:5], s[4:5], s[8:9]
	s_or_b64 exec, exec, s[6:7]
	s_and_saveexec_b64 s[6:7], s[4:5]
	s_cbranch_execnz .LBB32_1471
	s_branch .LBB32_1472
.LBB32_3521:
	s_movk_i32 s4, 0x80
	v_cmp_eq_u16_sdwa s[12:13], v8, s4 src0_sel:BYTE_0 src1_sel:DWORD
	s_mov_b64 s[4:5], -1
                                        ; implicit-def: $sgpr10
	s_and_saveexec_b64 s[8:9], s[12:13]
; %bb.3522:
	s_mov_b32 s10, 0x7f800001
	s_xor_b64 s[4:5], exec, -1
; %bb.3523:
	s_or_b64 exec, exec, s[8:9]
	s_and_b64 s[4:5], s[4:5], exec
	s_or_saveexec_b64 s[6:7], s[6:7]
	v_mov_b32_e32 v2, s10
	s_xor_b64 exec, exec, s[6:7]
	s_cbranch_execz .LBB32_1474
.LBB32_3524:
	v_mov_b32_e32 v2, 0
	v_cmp_ne_u16_sdwa s[8:9], v8, v2 src0_sel:BYTE_0 src1_sel:DWORD
	s_andn2_b64 s[4:5], s[4:5], exec
	s_and_b64 s[8:9], s[8:9], exec
	s_or_b64 s[4:5], s[4:5], s[8:9]
	s_or_b64 exec, exec, s[6:7]
	s_and_saveexec_b64 s[6:7], s[4:5]
	s_cbranch_execnz .LBB32_1475
	s_branch .LBB32_1476
.LBB32_3525:
	s_movk_i32 s4, 0x80
	v_cmp_eq_u16_sdwa s[12:13], v4, s4 src0_sel:BYTE_0 src1_sel:DWORD
	s_mov_b64 s[4:5], -1
                                        ; implicit-def: $sgpr10
	s_and_saveexec_b64 s[8:9], s[12:13]
; %bb.3526:
	s_mov_b32 s10, 0x7f800001
	s_xor_b64 s[4:5], exec, -1
; %bb.3527:
	s_or_b64 exec, exec, s[8:9]
	s_and_b64 s[4:5], s[4:5], exec
	s_or_saveexec_b64 s[6:7], s[6:7]
	v_mov_b32_e32 v3, s10
	s_xor_b64 exec, exec, s[6:7]
	s_cbranch_execz .LBB32_1478
.LBB32_3528:
	v_mov_b32_e32 v3, 0
	v_cmp_ne_u16_sdwa s[8:9], v4, v3 src0_sel:BYTE_0 src1_sel:DWORD
	s_andn2_b64 s[4:5], s[4:5], exec
	s_and_b64 s[8:9], s[8:9], exec
	s_or_b64 s[4:5], s[4:5], s[8:9]
	s_or_b64 exec, exec, s[6:7]
	s_and_saveexec_b64 s[6:7], s[4:5]
	s_cbranch_execnz .LBB32_1479
	s_branch .LBB32_1480
.LBB32_3529:
	s_movk_i32 s4, 0x80
	v_cmp_eq_u16_sdwa s[12:13], v3, s4 src0_sel:BYTE_0 src1_sel:DWORD
	s_mov_b64 s[4:5], -1
                                        ; implicit-def: $sgpr10
	s_and_saveexec_b64 s[8:9], s[12:13]
; %bb.3530:
	s_mov_b32 s10, 0x7f800001
	s_xor_b64 s[4:5], exec, -1
; %bb.3531:
	s_or_b64 exec, exec, s[8:9]
	s_and_b64 s[4:5], s[4:5], exec
	s_or_saveexec_b64 s[6:7], s[6:7]
	v_mov_b32_e32 v2, s10
	s_xor_b64 exec, exec, s[6:7]
	s_cbranch_execz .LBB32_1482
.LBB32_3532:
	v_mov_b32_e32 v2, 0
	v_cmp_ne_u16_sdwa s[8:9], v3, v2 src0_sel:BYTE_0 src1_sel:DWORD
	s_andn2_b64 s[4:5], s[4:5], exec
	s_and_b64 s[8:9], s[8:9], exec
	s_or_b64 s[4:5], s[4:5], s[8:9]
	s_or_b64 exec, exec, s[6:7]
	s_and_saveexec_b64 s[6:7], s[4:5]
	s_cbranch_execnz .LBB32_1483
	s_branch .LBB32_1484
.LBB32_3533:
	s_movk_i32 s4, 0x80
	v_cmp_eq_u16_sdwa s[12:13], v3, s4 src0_sel:BYTE_0 src1_sel:DWORD
	s_mov_b64 s[4:5], -1
                                        ; implicit-def: $sgpr10
	s_and_saveexec_b64 s[8:9], s[12:13]
; %bb.3534:
	s_mov_b32 s10, 0x7f800001
	s_xor_b64 s[4:5], exec, -1
; %bb.3535:
	s_or_b64 exec, exec, s[8:9]
	s_and_b64 s[4:5], s[4:5], exec
	s_or_saveexec_b64 s[6:7], s[6:7]
	v_mov_b32_e32 v6, s10
	s_xor_b64 exec, exec, s[6:7]
	s_cbranch_execz .LBB32_1486
.LBB32_3536:
	v_mov_b32_e32 v6, 0
	v_cmp_ne_u16_sdwa s[8:9], v3, v6 src0_sel:BYTE_0 src1_sel:DWORD
	s_andn2_b64 s[4:5], s[4:5], exec
	s_and_b64 s[8:9], s[8:9], exec
	s_or_b64 s[4:5], s[4:5], s[8:9]
	s_or_b64 exec, exec, s[6:7]
	s_and_saveexec_b64 s[6:7], s[4:5]
	s_cbranch_execnz .LBB32_1487
	s_branch .LBB32_1488
.LBB32_3537:
	s_movk_i32 s4, 0x80
	v_cmp_eq_u16_e32 vcc, s4, v3
	s_mov_b64 s[4:5], -1
                                        ; implicit-def: $sgpr10
	s_and_saveexec_b64 s[8:9], vcc
; %bb.3538:
	s_mov_b32 s10, 0x7f800001
	s_xor_b64 s[4:5], exec, -1
; %bb.3539:
	s_or_b64 exec, exec, s[8:9]
	s_and_b64 s[4:5], s[4:5], exec
                                        ; implicit-def: $vgpr3
	s_or_saveexec_b64 s[6:7], s[6:7]
	v_mov_b32_e32 v2, s10
	s_xor_b64 exec, exec, s[6:7]
	s_cbranch_execz .LBB32_1490
.LBB32_3540:
	v_cmp_ne_u16_e32 vcc, 0, v3
	s_andn2_b64 s[4:5], s[4:5], exec
	s_and_b64 s[8:9], vcc, exec
	v_mov_b32_e32 v2, 0
	s_or_b64 s[4:5], s[4:5], s[8:9]
	s_or_b64 exec, exec, s[6:7]
	s_and_saveexec_b64 s[6:7], s[4:5]
	s_cbranch_execnz .LBB32_1491
	s_branch .LBB32_1492
.LBB32_3541:
	s_movk_i32 s4, 0x80
	v_cmp_eq_u16_e32 vcc, s4, v3
	s_mov_b64 s[4:5], -1
                                        ; implicit-def: $sgpr10
	s_and_saveexec_b64 s[8:9], vcc
; %bb.3542:
	s_mov_b32 s10, 0x7f800001
	s_xor_b64 s[4:5], exec, -1
; %bb.3543:
	s_or_b64 exec, exec, s[8:9]
	s_and_b64 s[4:5], s[4:5], exec
                                        ; implicit-def: $vgpr3
	s_or_saveexec_b64 s[6:7], s[6:7]
	v_mov_b32_e32 v6, s10
	s_xor_b64 exec, exec, s[6:7]
	s_cbranch_execz .LBB32_1494
.LBB32_3544:
	v_cmp_ne_u16_e32 vcc, 0, v3
	s_andn2_b64 s[4:5], s[4:5], exec
	s_and_b64 s[8:9], vcc, exec
	v_mov_b32_e32 v6, 0
	s_or_b64 s[4:5], s[4:5], s[8:9]
	s_or_b64 exec, exec, s[6:7]
	s_and_saveexec_b64 s[6:7], s[4:5]
	s_cbranch_execnz .LBB32_1495
	s_branch .LBB32_1496
.LBB32_3545:
	s_movk_i32 s4, 0x80
	v_cmp_eq_u16_sdwa s[12:13], v8, s4 src0_sel:BYTE_3 src1_sel:DWORD
	s_mov_b64 s[4:5], -1
                                        ; implicit-def: $sgpr10
	s_and_saveexec_b64 s[8:9], s[12:13]
; %bb.3546:
	s_mov_b32 s10, 0x7f800001
	s_xor_b64 s[4:5], exec, -1
; %bb.3547:
	s_or_b64 exec, exec, s[8:9]
	s_and_b64 s[4:5], s[4:5], exec
	s_or_saveexec_b64 s[6:7], s[6:7]
	v_mov_b32_e32 v2, s10
	s_xor_b64 exec, exec, s[6:7]
	s_cbranch_execz .LBB32_1498
.LBB32_3548:
	v_mov_b32_e32 v2, 0
	v_cmp_ne_u16_sdwa s[8:9], v8, v2 src0_sel:BYTE_3 src1_sel:DWORD
	s_andn2_b64 s[4:5], s[4:5], exec
	s_and_b64 s[8:9], s[8:9], exec
	s_or_b64 s[4:5], s[4:5], s[8:9]
	s_or_b64 exec, exec, s[6:7]
	s_and_saveexec_b64 s[6:7], s[4:5]
	s_cbranch_execnz .LBB32_1499
	s_branch .LBB32_1500
.LBB32_3549:
	s_movk_i32 s4, 0x80
	v_cmp_eq_u16_sdwa s[12:13], v4, s4 src0_sel:BYTE_3 src1_sel:DWORD
	s_mov_b64 s[4:5], -1
                                        ; implicit-def: $sgpr10
	s_and_saveexec_b64 s[8:9], s[12:13]
; %bb.3550:
	s_mov_b32 s10, 0x7f800001
	s_xor_b64 s[4:5], exec, -1
; %bb.3551:
	s_or_b64 exec, exec, s[8:9]
	s_and_b64 s[4:5], s[4:5], exec
	s_or_saveexec_b64 s[6:7], s[6:7]
	v_mov_b32_e32 v3, s10
	s_xor_b64 exec, exec, s[6:7]
	s_cbranch_execz .LBB32_1502
.LBB32_3552:
	v_mov_b32_e32 v3, 0
	v_cmp_ne_u16_sdwa s[8:9], v4, v3 src0_sel:BYTE_3 src1_sel:DWORD
	s_andn2_b64 s[4:5], s[4:5], exec
	s_and_b64 s[8:9], s[8:9], exec
	s_or_b64 s[4:5], s[4:5], s[8:9]
	s_or_b64 exec, exec, s[6:7]
	s_and_saveexec_b64 s[6:7], s[4:5]
	s_cbranch_execnz .LBB32_1503
	s_branch .LBB32_1504
.LBB32_3553:
	s_movk_i32 s4, 0x80
	v_cmp_eq_u16_sdwa s[12:13], v9, s4 src0_sel:BYTE_0 src1_sel:DWORD
	s_mov_b64 s[4:5], -1
                                        ; implicit-def: $sgpr10
	s_and_saveexec_b64 s[8:9], s[12:13]
; %bb.3554:
	s_mov_b32 s10, 0x7f800001
	s_xor_b64 s[4:5], exec, -1
; %bb.3555:
	s_or_b64 exec, exec, s[8:9]
	s_and_b64 s[4:5], s[4:5], exec
	s_or_saveexec_b64 s[6:7], s[6:7]
	v_mov_b32_e32 v2, s10
	s_xor_b64 exec, exec, s[6:7]
	s_cbranch_execz .LBB32_1506
.LBB32_3556:
	v_mov_b32_e32 v2, 0
	v_cmp_ne_u16_sdwa s[8:9], v9, v2 src0_sel:BYTE_0 src1_sel:DWORD
	s_andn2_b64 s[4:5], s[4:5], exec
	s_and_b64 s[8:9], s[8:9], exec
	s_or_b64 s[4:5], s[4:5], s[8:9]
	s_or_b64 exec, exec, s[6:7]
	s_and_saveexec_b64 s[6:7], s[4:5]
	s_cbranch_execnz .LBB32_1507
	s_branch .LBB32_1508
.LBB32_3557:
	s_movk_i32 s4, 0x80
	v_cmp_eq_u16_sdwa s[12:13], v5, s4 src0_sel:BYTE_0 src1_sel:DWORD
	s_mov_b64 s[4:5], -1
                                        ; implicit-def: $sgpr10
	s_and_saveexec_b64 s[8:9], s[12:13]
; %bb.3558:
	s_mov_b32 s10, 0x7f800001
	s_xor_b64 s[4:5], exec, -1
; %bb.3559:
	s_or_b64 exec, exec, s[8:9]
	s_and_b64 s[4:5], s[4:5], exec
	s_or_saveexec_b64 s[6:7], s[6:7]
	v_mov_b32_e32 v3, s10
	s_xor_b64 exec, exec, s[6:7]
	s_cbranch_execz .LBB32_1510
.LBB32_3560:
	v_mov_b32_e32 v3, 0
	v_cmp_ne_u16_sdwa s[8:9], v5, v3 src0_sel:BYTE_0 src1_sel:DWORD
	s_andn2_b64 s[4:5], s[4:5], exec
	s_and_b64 s[8:9], s[8:9], exec
	s_or_b64 s[4:5], s[4:5], s[8:9]
	s_or_b64 exec, exec, s[6:7]
	s_and_saveexec_b64 s[6:7], s[4:5]
	s_cbranch_execnz .LBB32_1511
	s_branch .LBB32_1512
.LBB32_3561:
	s_movk_i32 s4, 0x80
	v_cmp_eq_u16_sdwa s[12:13], v3, s4 src0_sel:BYTE_0 src1_sel:DWORD
	s_mov_b64 s[4:5], -1
                                        ; implicit-def: $sgpr10
	s_and_saveexec_b64 s[8:9], s[12:13]
; %bb.3562:
	s_mov_b32 s10, 0x7f800001
	s_xor_b64 s[4:5], exec, -1
; %bb.3563:
	s_or_b64 exec, exec, s[8:9]
	s_and_b64 s[4:5], s[4:5], exec
	s_or_saveexec_b64 s[6:7], s[6:7]
	v_mov_b32_e32 v2, s10
	s_xor_b64 exec, exec, s[6:7]
	s_cbranch_execz .LBB32_1514
.LBB32_3564:
	v_mov_b32_e32 v2, 0
	v_cmp_ne_u16_sdwa s[8:9], v3, v2 src0_sel:BYTE_0 src1_sel:DWORD
	s_andn2_b64 s[4:5], s[4:5], exec
	s_and_b64 s[8:9], s[8:9], exec
	s_or_b64 s[4:5], s[4:5], s[8:9]
	s_or_b64 exec, exec, s[6:7]
	s_and_saveexec_b64 s[6:7], s[4:5]
	s_cbranch_execnz .LBB32_1515
	s_branch .LBB32_1516
.LBB32_3565:
	s_movk_i32 s4, 0x80
	v_cmp_eq_u16_sdwa s[12:13], v3, s4 src0_sel:BYTE_0 src1_sel:DWORD
	s_mov_b64 s[4:5], -1
                                        ; implicit-def: $sgpr10
	s_and_saveexec_b64 s[8:9], s[12:13]
; %bb.3566:
	s_mov_b32 s10, 0x7f800001
	s_xor_b64 s[4:5], exec, -1
; %bb.3567:
	s_or_b64 exec, exec, s[8:9]
	s_and_b64 s[4:5], s[4:5], exec
	s_or_saveexec_b64 s[6:7], s[6:7]
	v_mov_b32_e32 v4, s10
	s_xor_b64 exec, exec, s[6:7]
	s_cbranch_execz .LBB32_1518
.LBB32_3568:
	v_mov_b32_e32 v4, 0
	v_cmp_ne_u16_sdwa s[8:9], v3, v4 src0_sel:BYTE_0 src1_sel:DWORD
	s_andn2_b64 s[4:5], s[4:5], exec
	s_and_b64 s[8:9], s[8:9], exec
	s_or_b64 s[4:5], s[4:5], s[8:9]
	s_or_b64 exec, exec, s[6:7]
	s_and_saveexec_b64 s[6:7], s[4:5]
	s_cbranch_execnz .LBB32_1519
	s_branch .LBB32_1520
.LBB32_3569:
	s_movk_i32 s4, 0x80
	v_cmp_eq_u16_e32 vcc, s4, v3
	s_mov_b64 s[4:5], -1
                                        ; implicit-def: $sgpr10
	s_and_saveexec_b64 s[8:9], vcc
; %bb.3570:
	s_mov_b32 s10, 0x7f800001
	s_xor_b64 s[4:5], exec, -1
; %bb.3571:
	s_or_b64 exec, exec, s[8:9]
	s_and_b64 s[4:5], s[4:5], exec
                                        ; implicit-def: $vgpr3
	s_or_saveexec_b64 s[6:7], s[6:7]
	v_mov_b32_e32 v2, s10
	s_xor_b64 exec, exec, s[6:7]
	s_cbranch_execz .LBB32_1522
.LBB32_3572:
	v_cmp_ne_u16_e32 vcc, 0, v3
	s_andn2_b64 s[4:5], s[4:5], exec
	s_and_b64 s[8:9], vcc, exec
	v_mov_b32_e32 v2, 0
	s_or_b64 s[4:5], s[4:5], s[8:9]
	s_or_b64 exec, exec, s[6:7]
	s_and_saveexec_b64 s[6:7], s[4:5]
	s_cbranch_execnz .LBB32_1523
	s_branch .LBB32_1524
.LBB32_3573:
	s_movk_i32 s4, 0x80
	v_cmp_eq_u16_e32 vcc, s4, v3
	s_mov_b64 s[4:5], -1
                                        ; implicit-def: $sgpr10
	s_and_saveexec_b64 s[8:9], vcc
; %bb.3574:
	s_mov_b32 s10, 0x7f800001
	s_xor_b64 s[4:5], exec, -1
; %bb.3575:
	s_or_b64 exec, exec, s[8:9]
	s_and_b64 s[4:5], s[4:5], exec
                                        ; implicit-def: $vgpr3
	s_or_saveexec_b64 s[6:7], s[6:7]
	v_mov_b32_e32 v4, s10
	s_xor_b64 exec, exec, s[6:7]
	s_cbranch_execz .LBB32_1526
.LBB32_3576:
	v_cmp_ne_u16_e32 vcc, 0, v3
	s_andn2_b64 s[4:5], s[4:5], exec
	s_and_b64 s[8:9], vcc, exec
	v_mov_b32_e32 v4, 0
	s_or_b64 s[4:5], s[4:5], s[8:9]
	s_or_b64 exec, exec, s[6:7]
	s_and_saveexec_b64 s[6:7], s[4:5]
	s_cbranch_execnz .LBB32_1527
	s_branch .LBB32_1528
.LBB32_3577:
	s_movk_i32 s4, 0x80
	v_cmp_eq_u16_sdwa s[12:13], v9, s4 src0_sel:BYTE_3 src1_sel:DWORD
	s_mov_b64 s[4:5], -1
                                        ; implicit-def: $sgpr10
	s_and_saveexec_b64 s[8:9], s[12:13]
; %bb.3578:
	s_mov_b32 s10, 0x7f800001
	s_xor_b64 s[4:5], exec, -1
; %bb.3579:
	s_or_b64 exec, exec, s[8:9]
	s_and_b64 s[4:5], s[4:5], exec
	s_or_saveexec_b64 s[6:7], s[6:7]
	v_mov_b32_e32 v2, s10
	s_xor_b64 exec, exec, s[6:7]
	s_cbranch_execz .LBB32_1530
.LBB32_3580:
	v_mov_b32_e32 v2, 0
	v_cmp_ne_u16_sdwa s[8:9], v9, v2 src0_sel:BYTE_3 src1_sel:DWORD
	s_andn2_b64 s[4:5], s[4:5], exec
	s_and_b64 s[8:9], s[8:9], exec
	s_or_b64 s[4:5], s[4:5], s[8:9]
	s_or_b64 exec, exec, s[6:7]
	s_and_saveexec_b64 s[6:7], s[4:5]
	s_cbranch_execnz .LBB32_1531
	s_branch .LBB32_1532
.LBB32_3581:
	s_movk_i32 s4, 0x80
	v_cmp_eq_u16_sdwa s[12:13], v5, s4 src0_sel:BYTE_3 src1_sel:DWORD
	s_mov_b64 s[4:5], -1
                                        ; implicit-def: $sgpr10
	s_and_saveexec_b64 s[8:9], s[12:13]
; %bb.3582:
	s_mov_b32 s10, 0x7f800001
	s_xor_b64 s[4:5], exec, -1
; %bb.3583:
	s_or_b64 exec, exec, s[8:9]
	s_and_b64 s[4:5], s[4:5], exec
	s_or_saveexec_b64 s[6:7], s[6:7]
	v_mov_b32_e32 v3, s10
	s_xor_b64 exec, exec, s[6:7]
	s_cbranch_execz .LBB32_1534
.LBB32_3584:
	v_mov_b32_e32 v3, 0
	v_cmp_ne_u16_sdwa s[8:9], v5, v3 src0_sel:BYTE_3 src1_sel:DWORD
	s_andn2_b64 s[4:5], s[4:5], exec
	s_and_b64 s[8:9], s[8:9], exec
	s_or_b64 s[4:5], s[4:5], s[8:9]
	s_or_b64 exec, exec, s[6:7]
	s_and_saveexec_b64 s[6:7], s[4:5]
	s_cbranch_execnz .LBB32_1535
	s_branch .LBB32_1536
.LBB32_3585:
	s_movk_i32 s4, 0x80
	v_cmp_eq_u16_sdwa s[12:13], v14, s4 src0_sel:BYTE_0 src1_sel:DWORD
	s_mov_b64 s[4:5], -1
                                        ; implicit-def: $sgpr10
	s_and_saveexec_b64 s[8:9], s[12:13]
; %bb.3586:
	s_mov_b32 s10, 0x7f800001
	s_xor_b64 s[4:5], exec, -1
; %bb.3587:
	s_or_b64 exec, exec, s[8:9]
	s_and_b64 s[4:5], s[4:5], exec
	s_or_saveexec_b64 s[6:7], s[6:7]
	v_mov_b32_e32 v20, s10
	s_xor_b64 exec, exec, s[6:7]
	s_cbranch_execz .LBB32_1538
.LBB32_3588:
	v_mov_b32_e32 v20, 0
	v_cmp_ne_u16_sdwa s[8:9], v14, v20 src0_sel:BYTE_0 src1_sel:DWORD
	s_andn2_b64 s[4:5], s[4:5], exec
	s_and_b64 s[8:9], s[8:9], exec
	s_or_b64 s[4:5], s[4:5], s[8:9]
	s_or_b64 exec, exec, s[6:7]
	s_and_saveexec_b64 s[6:7], s[4:5]
	s_cbranch_execnz .LBB32_1539
	s_branch .LBB32_1540
.LBB32_3589:
	s_movk_i32 s4, 0x80
	v_cmp_eq_u16_sdwa s[12:13], v10, s4 src0_sel:BYTE_0 src1_sel:DWORD
	s_mov_b64 s[4:5], -1
                                        ; implicit-def: $sgpr10
	s_and_saveexec_b64 s[8:9], s[12:13]
; %bb.3590:
	s_mov_b32 s10, 0x7f800001
	s_xor_b64 s[4:5], exec, -1
; %bb.3591:
	s_or_b64 exec, exec, s[8:9]
	s_and_b64 s[4:5], s[4:5], exec
	s_or_saveexec_b64 s[6:7], s[6:7]
	v_mov_b32_e32 v21, s10
	s_xor_b64 exec, exec, s[6:7]
	s_cbranch_execz .LBB32_1542
.LBB32_3592:
	v_mov_b32_e32 v21, 0
	v_cmp_ne_u16_sdwa s[8:9], v10, v21 src0_sel:BYTE_0 src1_sel:DWORD
	s_andn2_b64 s[4:5], s[4:5], exec
	s_and_b64 s[8:9], s[8:9], exec
	s_or_b64 s[4:5], s[4:5], s[8:9]
	s_or_b64 exec, exec, s[6:7]
	s_and_saveexec_b64 s[6:7], s[4:5]
	s_cbranch_execnz .LBB32_1543
	s_branch .LBB32_1544
.LBB32_3593:
	s_movk_i32 s4, 0x80
	v_cmp_eq_u16_sdwa s[12:13], v21, s4 src0_sel:BYTE_0 src1_sel:DWORD
	s_mov_b64 s[4:5], -1
                                        ; implicit-def: $sgpr10
	s_and_saveexec_b64 s[8:9], s[12:13]
; %bb.3594:
	s_mov_b32 s10, 0x7f800001
	s_xor_b64 s[4:5], exec, -1
; %bb.3595:
	s_or_b64 exec, exec, s[8:9]
	s_and_b64 s[4:5], s[4:5], exec
	s_or_saveexec_b64 s[6:7], s[6:7]
	v_mov_b32_e32 v20, s10
	s_xor_b64 exec, exec, s[6:7]
	s_cbranch_execz .LBB32_1546
.LBB32_3596:
	v_mov_b32_e32 v20, 0
	v_cmp_ne_u16_sdwa s[8:9], v21, v20 src0_sel:BYTE_0 src1_sel:DWORD
	s_andn2_b64 s[4:5], s[4:5], exec
	s_and_b64 s[8:9], s[8:9], exec
	s_or_b64 s[4:5], s[4:5], s[8:9]
	s_or_b64 exec, exec, s[6:7]
	s_and_saveexec_b64 s[6:7], s[4:5]
	s_cbranch_execnz .LBB32_1547
	s_branch .LBB32_1548
.LBB32_3597:
	s_movk_i32 s4, 0x80
	v_cmp_eq_u16_sdwa s[12:13], v21, s4 src0_sel:BYTE_0 src1_sel:DWORD
	s_mov_b64 s[4:5], -1
                                        ; implicit-def: $sgpr10
	s_and_saveexec_b64 s[8:9], s[12:13]
; %bb.3598:
	s_mov_b32 s10, 0x7f800001
	s_xor_b64 s[4:5], exec, -1
; %bb.3599:
	s_or_b64 exec, exec, s[8:9]
	s_and_b64 s[4:5], s[4:5], exec
	s_or_saveexec_b64 s[6:7], s[6:7]
	v_mov_b32_e32 v22, s10
	s_xor_b64 exec, exec, s[6:7]
	s_cbranch_execz .LBB32_1550
.LBB32_3600:
	v_mov_b32_e32 v22, 0
	v_cmp_ne_u16_sdwa s[8:9], v21, v22 src0_sel:BYTE_0 src1_sel:DWORD
	s_andn2_b64 s[4:5], s[4:5], exec
	s_and_b64 s[8:9], s[8:9], exec
	s_or_b64 s[4:5], s[4:5], s[8:9]
	s_or_b64 exec, exec, s[6:7]
	s_and_saveexec_b64 s[6:7], s[4:5]
	s_cbranch_execnz .LBB32_1551
	s_branch .LBB32_1552
.LBB32_3601:
	s_movk_i32 s4, 0x80
	v_cmp_eq_u16_e32 vcc, s4, v21
	s_mov_b64 s[4:5], -1
                                        ; implicit-def: $sgpr10
	s_and_saveexec_b64 s[8:9], vcc
; %bb.3602:
	s_mov_b32 s10, 0x7f800001
	s_xor_b64 s[4:5], exec, -1
; %bb.3603:
	s_or_b64 exec, exec, s[8:9]
	s_and_b64 s[4:5], s[4:5], exec
                                        ; implicit-def: $vgpr21
	s_or_saveexec_b64 s[6:7], s[6:7]
	v_mov_b32_e32 v20, s10
	s_xor_b64 exec, exec, s[6:7]
	s_cbranch_execz .LBB32_1554
.LBB32_3604:
	v_cmp_ne_u16_e32 vcc, 0, v21
	s_andn2_b64 s[4:5], s[4:5], exec
	s_and_b64 s[8:9], vcc, exec
	v_mov_b32_e32 v20, 0
	s_or_b64 s[4:5], s[4:5], s[8:9]
	s_or_b64 exec, exec, s[6:7]
	s_and_saveexec_b64 s[6:7], s[4:5]
	s_cbranch_execnz .LBB32_1555
	s_branch .LBB32_1556
.LBB32_3605:
	s_movk_i32 s4, 0x80
	v_cmp_eq_u16_e32 vcc, s4, v21
	s_mov_b64 s[4:5], -1
                                        ; implicit-def: $sgpr10
	s_and_saveexec_b64 s[8:9], vcc
; %bb.3606:
	s_mov_b32 s10, 0x7f800001
	s_xor_b64 s[4:5], exec, -1
; %bb.3607:
	s_or_b64 exec, exec, s[8:9]
	s_and_b64 s[4:5], s[4:5], exec
                                        ; implicit-def: $vgpr21
	s_or_saveexec_b64 s[6:7], s[6:7]
	v_mov_b32_e32 v22, s10
	s_xor_b64 exec, exec, s[6:7]
	s_cbranch_execz .LBB32_1558
.LBB32_3608:
	v_cmp_ne_u16_e32 vcc, 0, v21
	s_andn2_b64 s[4:5], s[4:5], exec
	s_and_b64 s[8:9], vcc, exec
	v_mov_b32_e32 v22, 0
	s_or_b64 s[4:5], s[4:5], s[8:9]
	s_or_b64 exec, exec, s[6:7]
	s_and_saveexec_b64 s[6:7], s[4:5]
	s_cbranch_execnz .LBB32_1559
	s_branch .LBB32_1560
.LBB32_3609:
	s_movk_i32 s4, 0x80
	v_cmp_eq_u16_sdwa s[12:13], v14, s4 src0_sel:BYTE_3 src1_sel:DWORD
	s_mov_b64 s[4:5], -1
                                        ; implicit-def: $sgpr10
	s_and_saveexec_b64 s[8:9], s[12:13]
; %bb.3610:
	s_mov_b32 s10, 0x7f800001
	s_xor_b64 s[4:5], exec, -1
; %bb.3611:
	s_or_b64 exec, exec, s[8:9]
	s_and_b64 s[4:5], s[4:5], exec
	s_or_saveexec_b64 s[6:7], s[6:7]
	v_mov_b32_e32 v20, s10
	s_xor_b64 exec, exec, s[6:7]
	s_cbranch_execz .LBB32_1562
.LBB32_3612:
	v_mov_b32_e32 v20, 0
	v_cmp_ne_u16_sdwa s[8:9], v14, v20 src0_sel:BYTE_3 src1_sel:DWORD
	s_andn2_b64 s[4:5], s[4:5], exec
	s_and_b64 s[8:9], s[8:9], exec
	s_or_b64 s[4:5], s[4:5], s[8:9]
	s_or_b64 exec, exec, s[6:7]
	s_and_saveexec_b64 s[6:7], s[4:5]
	s_cbranch_execnz .LBB32_1563
	s_branch .LBB32_1564
.LBB32_3613:
	s_movk_i32 s4, 0x80
	v_cmp_eq_u16_sdwa s[12:13], v10, s4 src0_sel:BYTE_3 src1_sel:DWORD
	s_mov_b64 s[4:5], -1
                                        ; implicit-def: $sgpr10
	s_and_saveexec_b64 s[8:9], s[12:13]
; %bb.3614:
	s_mov_b32 s10, 0x7f800001
	s_xor_b64 s[4:5], exec, -1
; %bb.3615:
	s_or_b64 exec, exec, s[8:9]
	s_and_b64 s[4:5], s[4:5], exec
	s_or_saveexec_b64 s[6:7], s[6:7]
	v_mov_b32_e32 v14, s10
	s_xor_b64 exec, exec, s[6:7]
	s_cbranch_execz .LBB32_1566
.LBB32_3616:
	v_mov_b32_e32 v14, 0
	v_cmp_ne_u16_sdwa s[8:9], v10, v14 src0_sel:BYTE_3 src1_sel:DWORD
	s_andn2_b64 s[4:5], s[4:5], exec
	s_and_b64 s[8:9], s[8:9], exec
	s_or_b64 s[4:5], s[4:5], s[8:9]
	s_or_b64 exec, exec, s[6:7]
	s_and_saveexec_b64 s[6:7], s[4:5]
	s_cbranch_execnz .LBB32_1567
	s_branch .LBB32_1568
.LBB32_3617:
	s_movk_i32 s4, 0x80
	v_cmp_eq_u16_sdwa s[12:13], v15, s4 src0_sel:BYTE_0 src1_sel:DWORD
	s_mov_b64 s[4:5], -1
                                        ; implicit-def: $sgpr10
	s_and_saveexec_b64 s[8:9], s[12:13]
; %bb.3618:
	s_mov_b32 s10, 0x7f800001
	s_xor_b64 s[4:5], exec, -1
; %bb.3619:
	s_or_b64 exec, exec, s[8:9]
	s_and_b64 s[4:5], s[4:5], exec
	s_or_saveexec_b64 s[6:7], s[6:7]
	v_mov_b32_e32 v10, s10
	s_xor_b64 exec, exec, s[6:7]
	s_cbranch_execz .LBB32_1570
.LBB32_3620:
	v_mov_b32_e32 v10, 0
	v_cmp_ne_u16_sdwa s[8:9], v15, v10 src0_sel:BYTE_0 src1_sel:DWORD
	s_andn2_b64 s[4:5], s[4:5], exec
	s_and_b64 s[8:9], s[8:9], exec
	s_or_b64 s[4:5], s[4:5], s[8:9]
	s_or_b64 exec, exec, s[6:7]
	s_and_saveexec_b64 s[6:7], s[4:5]
	s_cbranch_execnz .LBB32_1571
	s_branch .LBB32_1572
.LBB32_3621:
	s_movk_i32 s4, 0x80
	v_cmp_eq_u16_sdwa s[12:13], v11, s4 src0_sel:BYTE_0 src1_sel:DWORD
	s_mov_b64 s[4:5], -1
                                        ; implicit-def: $sgpr10
	s_and_saveexec_b64 s[8:9], s[12:13]
; %bb.3622:
	s_mov_b32 s10, 0x7f800001
	s_xor_b64 s[4:5], exec, -1
; %bb.3623:
	s_or_b64 exec, exec, s[8:9]
	s_and_b64 s[4:5], s[4:5], exec
	s_or_saveexec_b64 s[6:7], s[6:7]
	v_mov_b32_e32 v14, s10
	s_xor_b64 exec, exec, s[6:7]
	s_cbranch_execz .LBB32_1574
.LBB32_3624:
	v_mov_b32_e32 v14, 0
	v_cmp_ne_u16_sdwa s[8:9], v11, v14 src0_sel:BYTE_0 src1_sel:DWORD
	s_andn2_b64 s[4:5], s[4:5], exec
	s_and_b64 s[8:9], s[8:9], exec
	s_or_b64 s[4:5], s[4:5], s[8:9]
	s_or_b64 exec, exec, s[6:7]
	s_and_saveexec_b64 s[6:7], s[4:5]
	s_cbranch_execnz .LBB32_1575
	s_branch .LBB32_1576
.LBB32_3625:
	s_movk_i32 s4, 0x80
	v_cmp_eq_u16_sdwa s[12:13], v14, s4 src0_sel:BYTE_0 src1_sel:DWORD
	s_mov_b64 s[4:5], -1
                                        ; implicit-def: $sgpr10
	s_and_saveexec_b64 s[8:9], s[12:13]
; %bb.3626:
	s_mov_b32 s10, 0x7f800001
	s_xor_b64 s[4:5], exec, -1
; %bb.3627:
	s_or_b64 exec, exec, s[8:9]
	s_and_b64 s[4:5], s[4:5], exec
	s_or_saveexec_b64 s[6:7], s[6:7]
	v_mov_b32_e32 v10, s10
	s_xor_b64 exec, exec, s[6:7]
	s_cbranch_execz .LBB32_1578
.LBB32_3628:
	v_mov_b32_e32 v10, 0
	v_cmp_ne_u16_sdwa s[8:9], v14, v10 src0_sel:BYTE_0 src1_sel:DWORD
	s_andn2_b64 s[4:5], s[4:5], exec
	s_and_b64 s[8:9], s[8:9], exec
	s_or_b64 s[4:5], s[4:5], s[8:9]
	s_or_b64 exec, exec, s[6:7]
	s_and_saveexec_b64 s[6:7], s[4:5]
	s_cbranch_execnz .LBB32_1579
	s_branch .LBB32_1580
.LBB32_3629:
	s_movk_i32 s4, 0x80
	v_cmp_eq_u16_sdwa s[12:13], v14, s4 src0_sel:BYTE_0 src1_sel:DWORD
	s_mov_b64 s[4:5], -1
                                        ; implicit-def: $sgpr10
	s_and_saveexec_b64 s[8:9], s[12:13]
; %bb.3630:
	s_mov_b32 s10, 0x7f800001
	s_xor_b64 s[4:5], exec, -1
; %bb.3631:
	s_or_b64 exec, exec, s[8:9]
	s_and_b64 s[4:5], s[4:5], exec
	s_or_saveexec_b64 s[6:7], s[6:7]
	v_mov_b32_e32 v20, s10
	s_xor_b64 exec, exec, s[6:7]
	s_cbranch_execz .LBB32_1582
.LBB32_3632:
	v_mov_b32_e32 v20, 0
	v_cmp_ne_u16_sdwa s[8:9], v14, v20 src0_sel:BYTE_0 src1_sel:DWORD
	s_andn2_b64 s[4:5], s[4:5], exec
	s_and_b64 s[8:9], s[8:9], exec
	s_or_b64 s[4:5], s[4:5], s[8:9]
	s_or_b64 exec, exec, s[6:7]
	s_and_saveexec_b64 s[6:7], s[4:5]
	s_cbranch_execnz .LBB32_1583
	s_branch .LBB32_1584
.LBB32_3633:
	s_movk_i32 s4, 0x80
	v_cmp_eq_u16_e32 vcc, s4, v14
	s_mov_b64 s[4:5], -1
                                        ; implicit-def: $sgpr10
	s_and_saveexec_b64 s[8:9], vcc
; %bb.3634:
	s_mov_b32 s10, 0x7f800001
	s_xor_b64 s[4:5], exec, -1
; %bb.3635:
	s_or_b64 exec, exec, s[8:9]
	s_and_b64 s[4:5], s[4:5], exec
                                        ; implicit-def: $vgpr14
	s_or_saveexec_b64 s[6:7], s[6:7]
	v_mov_b32_e32 v10, s10
	s_xor_b64 exec, exec, s[6:7]
	s_cbranch_execz .LBB32_1586
.LBB32_3636:
	v_cmp_ne_u16_e32 vcc, 0, v14
	s_andn2_b64 s[4:5], s[4:5], exec
	s_and_b64 s[8:9], vcc, exec
	v_mov_b32_e32 v10, 0
	s_or_b64 s[4:5], s[4:5], s[8:9]
	s_or_b64 exec, exec, s[6:7]
	s_and_saveexec_b64 s[6:7], s[4:5]
	s_cbranch_execnz .LBB32_1587
	s_branch .LBB32_1588
.LBB32_3637:
	s_movk_i32 s4, 0x80
	v_cmp_eq_u16_e32 vcc, s4, v14
	s_mov_b64 s[4:5], -1
                                        ; implicit-def: $sgpr10
	s_and_saveexec_b64 s[8:9], vcc
; %bb.3638:
	s_mov_b32 s10, 0x7f800001
	s_xor_b64 s[4:5], exec, -1
; %bb.3639:
	s_or_b64 exec, exec, s[8:9]
	s_and_b64 s[4:5], s[4:5], exec
                                        ; implicit-def: $vgpr14
	s_or_saveexec_b64 s[6:7], s[6:7]
	v_mov_b32_e32 v20, s10
	s_xor_b64 exec, exec, s[6:7]
	s_cbranch_execz .LBB32_1590
.LBB32_3640:
	v_cmp_ne_u16_e32 vcc, 0, v14
	s_andn2_b64 s[4:5], s[4:5], exec
	s_and_b64 s[8:9], vcc, exec
	v_mov_b32_e32 v20, 0
	s_or_b64 s[4:5], s[4:5], s[8:9]
	s_or_b64 exec, exec, s[6:7]
	s_and_saveexec_b64 s[6:7], s[4:5]
	s_cbranch_execnz .LBB32_1591
	s_branch .LBB32_1592
.LBB32_3641:
	s_movk_i32 s4, 0x80
	v_cmp_eq_u16_sdwa s[12:13], v15, s4 src0_sel:BYTE_3 src1_sel:DWORD
	s_mov_b64 s[4:5], -1
                                        ; implicit-def: $sgpr10
	s_and_saveexec_b64 s[8:9], s[12:13]
; %bb.3642:
	s_mov_b32 s10, 0x7f800001
	s_xor_b64 s[4:5], exec, -1
; %bb.3643:
	s_or_b64 exec, exec, s[8:9]
	s_and_b64 s[4:5], s[4:5], exec
	s_or_saveexec_b64 s[6:7], s[6:7]
	v_mov_b32_e32 v10, s10
	s_xor_b64 exec, exec, s[6:7]
	s_cbranch_execz .LBB32_1594
.LBB32_3644:
	v_mov_b32_e32 v10, 0
	v_cmp_ne_u16_sdwa s[8:9], v15, v10 src0_sel:BYTE_3 src1_sel:DWORD
	s_andn2_b64 s[4:5], s[4:5], exec
	s_and_b64 s[8:9], s[8:9], exec
	s_or_b64 s[4:5], s[4:5], s[8:9]
	s_or_b64 exec, exec, s[6:7]
	s_and_saveexec_b64 s[6:7], s[4:5]
	s_cbranch_execnz .LBB32_1595
	s_branch .LBB32_1596
.LBB32_3645:
	s_movk_i32 s4, 0x80
	v_cmp_eq_u16_sdwa s[12:13], v11, s4 src0_sel:BYTE_3 src1_sel:DWORD
	s_mov_b64 s[4:5], -1
                                        ; implicit-def: $sgpr10
	s_and_saveexec_b64 s[8:9], s[12:13]
; %bb.3646:
	s_mov_b32 s10, 0x7f800001
	s_xor_b64 s[4:5], exec, -1
; %bb.3647:
	s_or_b64 exec, exec, s[8:9]
	s_and_b64 s[4:5], s[4:5], exec
	s_or_saveexec_b64 s[6:7], s[6:7]
	v_mov_b32_e32 v14, s10
	s_xor_b64 exec, exec, s[6:7]
	s_cbranch_execz .LBB32_1598
.LBB32_3648:
	v_mov_b32_e32 v14, 0
	v_cmp_ne_u16_sdwa s[8:9], v11, v14 src0_sel:BYTE_3 src1_sel:DWORD
	s_andn2_b64 s[4:5], s[4:5], exec
	s_and_b64 s[8:9], s[8:9], exec
	s_or_b64 s[4:5], s[4:5], s[8:9]
	s_or_b64 exec, exec, s[6:7]
	s_and_saveexec_b64 s[6:7], s[4:5]
	s_cbranch_execnz .LBB32_1599
	s_branch .LBB32_1600
.LBB32_3649:
	s_movk_i32 s4, 0x80
	v_cmp_eq_u16_sdwa s[12:13], v16, s4 src0_sel:BYTE_0 src1_sel:DWORD
	s_mov_b64 s[4:5], -1
                                        ; implicit-def: $sgpr10
	s_and_saveexec_b64 s[8:9], s[12:13]
; %bb.3650:
	s_mov_b32 s10, 0x7f800001
	s_xor_b64 s[4:5], exec, -1
; %bb.3651:
	s_or_b64 exec, exec, s[8:9]
	s_and_b64 s[4:5], s[4:5], exec
	s_or_saveexec_b64 s[6:7], s[6:7]
	v_mov_b32_e32 v10, s10
	s_xor_b64 exec, exec, s[6:7]
	s_cbranch_execz .LBB32_1602
.LBB32_3652:
	v_mov_b32_e32 v10, 0
	v_cmp_ne_u16_sdwa s[8:9], v16, v10 src0_sel:BYTE_0 src1_sel:DWORD
	s_andn2_b64 s[4:5], s[4:5], exec
	s_and_b64 s[8:9], s[8:9], exec
	s_or_b64 s[4:5], s[4:5], s[8:9]
	s_or_b64 exec, exec, s[6:7]
	s_and_saveexec_b64 s[6:7], s[4:5]
	s_cbranch_execnz .LBB32_1603
	s_branch .LBB32_1604
.LBB32_3653:
	s_movk_i32 s4, 0x80
	v_cmp_eq_u16_sdwa s[12:13], v12, s4 src0_sel:BYTE_0 src1_sel:DWORD
	s_mov_b64 s[4:5], -1
                                        ; implicit-def: $sgpr10
	s_and_saveexec_b64 s[8:9], s[12:13]
; %bb.3654:
	s_mov_b32 s10, 0x7f800001
	s_xor_b64 s[4:5], exec, -1
; %bb.3655:
	s_or_b64 exec, exec, s[8:9]
	s_and_b64 s[4:5], s[4:5], exec
	s_or_saveexec_b64 s[6:7], s[6:7]
	v_mov_b32_e32 v11, s10
	s_xor_b64 exec, exec, s[6:7]
	s_cbranch_execz .LBB32_1606
.LBB32_3656:
	v_mov_b32_e32 v11, 0
	v_cmp_ne_u16_sdwa s[8:9], v12, v11 src0_sel:BYTE_0 src1_sel:DWORD
	s_andn2_b64 s[4:5], s[4:5], exec
	s_and_b64 s[8:9], s[8:9], exec
	s_or_b64 s[4:5], s[4:5], s[8:9]
	s_or_b64 exec, exec, s[6:7]
	s_and_saveexec_b64 s[6:7], s[4:5]
	s_cbranch_execnz .LBB32_1607
	s_branch .LBB32_1608
.LBB32_3657:
	s_movk_i32 s4, 0x80
	v_cmp_eq_u16_sdwa s[12:13], v11, s4 src0_sel:BYTE_0 src1_sel:DWORD
	s_mov_b64 s[4:5], -1
                                        ; implicit-def: $sgpr10
	s_and_saveexec_b64 s[8:9], s[12:13]
; %bb.3658:
	s_mov_b32 s10, 0x7f800001
	s_xor_b64 s[4:5], exec, -1
; %bb.3659:
	s_or_b64 exec, exec, s[8:9]
	s_and_b64 s[4:5], s[4:5], exec
	s_or_saveexec_b64 s[6:7], s[6:7]
	v_mov_b32_e32 v10, s10
	s_xor_b64 exec, exec, s[6:7]
	s_cbranch_execz .LBB32_1610
.LBB32_3660:
	v_mov_b32_e32 v10, 0
	v_cmp_ne_u16_sdwa s[8:9], v11, v10 src0_sel:BYTE_0 src1_sel:DWORD
	s_andn2_b64 s[4:5], s[4:5], exec
	s_and_b64 s[8:9], s[8:9], exec
	s_or_b64 s[4:5], s[4:5], s[8:9]
	s_or_b64 exec, exec, s[6:7]
	s_and_saveexec_b64 s[6:7], s[4:5]
	s_cbranch_execnz .LBB32_1611
	s_branch .LBB32_1612
.LBB32_3661:
	s_movk_i32 s4, 0x80
	v_cmp_eq_u16_sdwa s[12:13], v11, s4 src0_sel:BYTE_0 src1_sel:DWORD
	s_mov_b64 s[4:5], -1
                                        ; implicit-def: $sgpr10
	s_and_saveexec_b64 s[8:9], s[12:13]
; %bb.3662:
	s_mov_b32 s10, 0x7f800001
	s_xor_b64 s[4:5], exec, -1
; %bb.3663:
	s_or_b64 exec, exec, s[8:9]
	s_and_b64 s[4:5], s[4:5], exec
	s_or_saveexec_b64 s[6:7], s[6:7]
	v_mov_b32_e32 v14, s10
	s_xor_b64 exec, exec, s[6:7]
	s_cbranch_execz .LBB32_1614
.LBB32_3664:
	v_mov_b32_e32 v14, 0
	v_cmp_ne_u16_sdwa s[8:9], v11, v14 src0_sel:BYTE_0 src1_sel:DWORD
	s_andn2_b64 s[4:5], s[4:5], exec
	s_and_b64 s[8:9], s[8:9], exec
	s_or_b64 s[4:5], s[4:5], s[8:9]
	s_or_b64 exec, exec, s[6:7]
	s_and_saveexec_b64 s[6:7], s[4:5]
	s_cbranch_execnz .LBB32_1615
	s_branch .LBB32_1616
.LBB32_3665:
	s_movk_i32 s4, 0x80
	v_cmp_eq_u16_e32 vcc, s4, v11
	s_mov_b64 s[4:5], -1
                                        ; implicit-def: $sgpr10
	s_and_saveexec_b64 s[8:9], vcc
; %bb.3666:
	s_mov_b32 s10, 0x7f800001
	s_xor_b64 s[4:5], exec, -1
; %bb.3667:
	s_or_b64 exec, exec, s[8:9]
	s_and_b64 s[4:5], s[4:5], exec
                                        ; implicit-def: $vgpr11
	s_or_saveexec_b64 s[6:7], s[6:7]
	v_mov_b32_e32 v10, s10
	s_xor_b64 exec, exec, s[6:7]
	s_cbranch_execz .LBB32_1618
.LBB32_3668:
	v_cmp_ne_u16_e32 vcc, 0, v11
	s_andn2_b64 s[4:5], s[4:5], exec
	s_and_b64 s[8:9], vcc, exec
	v_mov_b32_e32 v10, 0
	s_or_b64 s[4:5], s[4:5], s[8:9]
	s_or_b64 exec, exec, s[6:7]
	s_and_saveexec_b64 s[6:7], s[4:5]
	s_cbranch_execnz .LBB32_1619
	s_branch .LBB32_1620
.LBB32_3669:
	s_movk_i32 s4, 0x80
	v_cmp_eq_u16_e32 vcc, s4, v11
	s_mov_b64 s[4:5], -1
                                        ; implicit-def: $sgpr10
	s_and_saveexec_b64 s[8:9], vcc
; %bb.3670:
	s_mov_b32 s10, 0x7f800001
	s_xor_b64 s[4:5], exec, -1
; %bb.3671:
	s_or_b64 exec, exec, s[8:9]
	s_and_b64 s[4:5], s[4:5], exec
                                        ; implicit-def: $vgpr11
	s_or_saveexec_b64 s[6:7], s[6:7]
	v_mov_b32_e32 v14, s10
	s_xor_b64 exec, exec, s[6:7]
	s_cbranch_execz .LBB32_1622
.LBB32_3672:
	v_cmp_ne_u16_e32 vcc, 0, v11
	s_andn2_b64 s[4:5], s[4:5], exec
	s_and_b64 s[8:9], vcc, exec
	v_mov_b32_e32 v14, 0
	s_or_b64 s[4:5], s[4:5], s[8:9]
	s_or_b64 exec, exec, s[6:7]
	s_and_saveexec_b64 s[6:7], s[4:5]
	s_cbranch_execnz .LBB32_1623
	s_branch .LBB32_1624
.LBB32_3673:
	s_movk_i32 s4, 0x80
	v_cmp_eq_u16_sdwa s[12:13], v16, s4 src0_sel:BYTE_3 src1_sel:DWORD
	s_mov_b64 s[4:5], -1
                                        ; implicit-def: $sgpr10
	s_and_saveexec_b64 s[8:9], s[12:13]
; %bb.3674:
	s_mov_b32 s10, 0x7f800001
	s_xor_b64 s[4:5], exec, -1
; %bb.3675:
	s_or_b64 exec, exec, s[8:9]
	s_and_b64 s[4:5], s[4:5], exec
	s_or_saveexec_b64 s[6:7], s[6:7]
	v_mov_b32_e32 v10, s10
	s_xor_b64 exec, exec, s[6:7]
	s_cbranch_execz .LBB32_1626
.LBB32_3676:
	v_mov_b32_e32 v10, 0
	v_cmp_ne_u16_sdwa s[8:9], v16, v10 src0_sel:BYTE_3 src1_sel:DWORD
	s_andn2_b64 s[4:5], s[4:5], exec
	s_and_b64 s[8:9], s[8:9], exec
	s_or_b64 s[4:5], s[4:5], s[8:9]
	s_or_b64 exec, exec, s[6:7]
	s_and_saveexec_b64 s[6:7], s[4:5]
	s_cbranch_execnz .LBB32_1627
	s_branch .LBB32_1628
.LBB32_3677:
	s_movk_i32 s4, 0x80
	v_cmp_eq_u16_sdwa s[12:13], v12, s4 src0_sel:BYTE_3 src1_sel:DWORD
	s_mov_b64 s[4:5], -1
                                        ; implicit-def: $sgpr10
	s_and_saveexec_b64 s[8:9], s[12:13]
; %bb.3678:
	s_mov_b32 s10, 0x7f800001
	s_xor_b64 s[4:5], exec, -1
; %bb.3679:
	s_or_b64 exec, exec, s[8:9]
	s_and_b64 s[4:5], s[4:5], exec
	s_or_saveexec_b64 s[6:7], s[6:7]
	v_mov_b32_e32 v11, s10
	s_xor_b64 exec, exec, s[6:7]
	s_cbranch_execz .LBB32_1630
.LBB32_3680:
	v_mov_b32_e32 v11, 0
	v_cmp_ne_u16_sdwa s[8:9], v12, v11 src0_sel:BYTE_3 src1_sel:DWORD
	s_andn2_b64 s[4:5], s[4:5], exec
	s_and_b64 s[8:9], s[8:9], exec
	s_or_b64 s[4:5], s[4:5], s[8:9]
	s_or_b64 exec, exec, s[6:7]
	s_and_saveexec_b64 s[6:7], s[4:5]
	s_cbranch_execnz .LBB32_1631
	s_branch .LBB32_1632
.LBB32_3681:
	s_movk_i32 s4, 0x80
	v_cmp_eq_u16_sdwa s[12:13], v17, s4 src0_sel:BYTE_0 src1_sel:DWORD
	s_mov_b64 s[4:5], -1
                                        ; implicit-def: $sgpr10
	s_and_saveexec_b64 s[8:9], s[12:13]
; %bb.3682:
	s_mov_b32 s10, 0x7f800001
	s_xor_b64 s[4:5], exec, -1
; %bb.3683:
	s_or_b64 exec, exec, s[8:9]
	s_and_b64 s[4:5], s[4:5], exec
	s_or_saveexec_b64 s[6:7], s[6:7]
	v_mov_b32_e32 v10, s10
	s_xor_b64 exec, exec, s[6:7]
	s_cbranch_execz .LBB32_1634
.LBB32_3684:
	v_mov_b32_e32 v10, 0
	v_cmp_ne_u16_sdwa s[8:9], v17, v10 src0_sel:BYTE_0 src1_sel:DWORD
	s_andn2_b64 s[4:5], s[4:5], exec
	s_and_b64 s[8:9], s[8:9], exec
	s_or_b64 s[4:5], s[4:5], s[8:9]
	s_or_b64 exec, exec, s[6:7]
	s_and_saveexec_b64 s[6:7], s[4:5]
	s_cbranch_execnz .LBB32_1635
	s_branch .LBB32_1636
.LBB32_3685:
	s_movk_i32 s4, 0x80
	v_cmp_eq_u16_sdwa s[12:13], v13, s4 src0_sel:BYTE_0 src1_sel:DWORD
	s_mov_b64 s[4:5], -1
                                        ; implicit-def: $sgpr10
	s_and_saveexec_b64 s[8:9], s[12:13]
; %bb.3686:
	s_mov_b32 s10, 0x7f800001
	s_xor_b64 s[4:5], exec, -1
; %bb.3687:
	s_or_b64 exec, exec, s[8:9]
	s_and_b64 s[4:5], s[4:5], exec
	s_or_saveexec_b64 s[6:7], s[6:7]
	v_mov_b32_e32 v11, s10
	s_xor_b64 exec, exec, s[6:7]
	s_cbranch_execz .LBB32_1638
.LBB32_3688:
	v_mov_b32_e32 v11, 0
	v_cmp_ne_u16_sdwa s[8:9], v13, v11 src0_sel:BYTE_0 src1_sel:DWORD
	s_andn2_b64 s[4:5], s[4:5], exec
	s_and_b64 s[8:9], s[8:9], exec
	s_or_b64 s[4:5], s[4:5], s[8:9]
	s_or_b64 exec, exec, s[6:7]
	s_and_saveexec_b64 s[6:7], s[4:5]
	s_cbranch_execnz .LBB32_1639
	s_branch .LBB32_1640
.LBB32_3689:
	s_movk_i32 s4, 0x80
	v_cmp_eq_u16_sdwa s[12:13], v11, s4 src0_sel:BYTE_0 src1_sel:DWORD
	s_mov_b64 s[4:5], -1
                                        ; implicit-def: $sgpr10
	s_and_saveexec_b64 s[8:9], s[12:13]
; %bb.3690:
	s_mov_b32 s10, 0x7f800001
	s_xor_b64 s[4:5], exec, -1
; %bb.3691:
	s_or_b64 exec, exec, s[8:9]
	s_and_b64 s[4:5], s[4:5], exec
	s_or_saveexec_b64 s[6:7], s[6:7]
	v_mov_b32_e32 v10, s10
	s_xor_b64 exec, exec, s[6:7]
	s_cbranch_execz .LBB32_1642
.LBB32_3692:
	v_mov_b32_e32 v10, 0
	v_cmp_ne_u16_sdwa s[8:9], v11, v10 src0_sel:BYTE_0 src1_sel:DWORD
	s_andn2_b64 s[4:5], s[4:5], exec
	s_and_b64 s[8:9], s[8:9], exec
	s_or_b64 s[4:5], s[4:5], s[8:9]
	s_or_b64 exec, exec, s[6:7]
	s_and_saveexec_b64 s[6:7], s[4:5]
	s_cbranch_execnz .LBB32_1643
	s_branch .LBB32_1644
.LBB32_3693:
	s_movk_i32 s4, 0x80
	v_cmp_eq_u16_sdwa s[12:13], v11, s4 src0_sel:BYTE_0 src1_sel:DWORD
	s_mov_b64 s[4:5], -1
                                        ; implicit-def: $sgpr10
	s_and_saveexec_b64 s[8:9], s[12:13]
; %bb.3694:
	s_mov_b32 s10, 0x7f800001
	s_xor_b64 s[4:5], exec, -1
; %bb.3695:
	s_or_b64 exec, exec, s[8:9]
	s_and_b64 s[4:5], s[4:5], exec
	s_or_saveexec_b64 s[6:7], s[6:7]
	v_mov_b32_e32 v12, s10
	s_xor_b64 exec, exec, s[6:7]
	s_cbranch_execz .LBB32_1646
.LBB32_3696:
	v_mov_b32_e32 v12, 0
	v_cmp_ne_u16_sdwa s[8:9], v11, v12 src0_sel:BYTE_0 src1_sel:DWORD
	s_andn2_b64 s[4:5], s[4:5], exec
	s_and_b64 s[8:9], s[8:9], exec
	s_or_b64 s[4:5], s[4:5], s[8:9]
	s_or_b64 exec, exec, s[6:7]
	s_and_saveexec_b64 s[6:7], s[4:5]
	s_cbranch_execnz .LBB32_1647
	s_branch .LBB32_1648
.LBB32_3697:
	s_movk_i32 s4, 0x80
	v_cmp_eq_u16_e32 vcc, s4, v11
	s_mov_b64 s[4:5], -1
                                        ; implicit-def: $sgpr10
	s_and_saveexec_b64 s[8:9], vcc
; %bb.3698:
	s_mov_b32 s10, 0x7f800001
	s_xor_b64 s[4:5], exec, -1
; %bb.3699:
	s_or_b64 exec, exec, s[8:9]
	s_and_b64 s[4:5], s[4:5], exec
                                        ; implicit-def: $vgpr11
	s_or_saveexec_b64 s[6:7], s[6:7]
	v_mov_b32_e32 v10, s10
	s_xor_b64 exec, exec, s[6:7]
	s_cbranch_execz .LBB32_1650
.LBB32_3700:
	v_cmp_ne_u16_e32 vcc, 0, v11
	s_andn2_b64 s[4:5], s[4:5], exec
	s_and_b64 s[8:9], vcc, exec
	v_mov_b32_e32 v10, 0
	s_or_b64 s[4:5], s[4:5], s[8:9]
	s_or_b64 exec, exec, s[6:7]
	s_and_saveexec_b64 s[6:7], s[4:5]
	s_cbranch_execnz .LBB32_1651
	s_branch .LBB32_1652
.LBB32_3701:
	s_movk_i32 s4, 0x80
	v_cmp_eq_u16_e32 vcc, s4, v11
	s_mov_b64 s[4:5], -1
                                        ; implicit-def: $sgpr10
	s_and_saveexec_b64 s[8:9], vcc
; %bb.3702:
	s_mov_b32 s10, 0x7f800001
	s_xor_b64 s[4:5], exec, -1
; %bb.3703:
	s_or_b64 exec, exec, s[8:9]
	s_and_b64 s[4:5], s[4:5], exec
                                        ; implicit-def: $vgpr11
	s_or_saveexec_b64 s[6:7], s[6:7]
	v_mov_b32_e32 v12, s10
	s_xor_b64 exec, exec, s[6:7]
	s_cbranch_execz .LBB32_1654
.LBB32_3704:
	v_cmp_ne_u16_e32 vcc, 0, v11
	s_andn2_b64 s[4:5], s[4:5], exec
	s_and_b64 s[8:9], vcc, exec
	v_mov_b32_e32 v12, 0
	s_or_b64 s[4:5], s[4:5], s[8:9]
	s_or_b64 exec, exec, s[6:7]
	s_and_saveexec_b64 s[6:7], s[4:5]
	s_cbranch_execnz .LBB32_1655
	s_branch .LBB32_1656
.LBB32_3705:
	s_movk_i32 s4, 0x80
	v_cmp_eq_u16_sdwa s[12:13], v17, s4 src0_sel:BYTE_3 src1_sel:DWORD
	s_mov_b64 s[4:5], -1
                                        ; implicit-def: $sgpr10
	s_and_saveexec_b64 s[8:9], s[12:13]
; %bb.3706:
	s_mov_b32 s10, 0x7f800001
	s_xor_b64 s[4:5], exec, -1
; %bb.3707:
	s_or_b64 exec, exec, s[8:9]
	s_and_b64 s[4:5], s[4:5], exec
	s_or_saveexec_b64 s[6:7], s[6:7]
	v_mov_b32_e32 v10, s10
	s_xor_b64 exec, exec, s[6:7]
	s_cbranch_execz .LBB32_1658
.LBB32_3708:
	v_mov_b32_e32 v10, 0
	v_cmp_ne_u16_sdwa s[8:9], v17, v10 src0_sel:BYTE_3 src1_sel:DWORD
	s_andn2_b64 s[4:5], s[4:5], exec
	s_and_b64 s[8:9], s[8:9], exec
	s_or_b64 s[4:5], s[4:5], s[8:9]
	s_or_b64 exec, exec, s[6:7]
	s_and_saveexec_b64 s[6:7], s[4:5]
	s_cbranch_execnz .LBB32_1659
	s_branch .LBB32_1660
.LBB32_3709:
	s_movk_i32 s4, 0x80
	v_cmp_eq_u16_sdwa s[12:13], v13, s4 src0_sel:BYTE_3 src1_sel:DWORD
	s_mov_b64 s[4:5], -1
                                        ; implicit-def: $sgpr10
	s_and_saveexec_b64 s[8:9], s[12:13]
; %bb.3710:
	s_mov_b32 s10, 0x7f800001
	s_xor_b64 s[4:5], exec, -1
; %bb.3711:
	s_or_b64 exec, exec, s[8:9]
	s_and_b64 s[4:5], s[4:5], exec
	s_or_saveexec_b64 s[6:7], s[6:7]
	v_mov_b32_e32 v11, s10
	s_xor_b64 exec, exec, s[6:7]
	s_cbranch_execz .LBB32_1662
.LBB32_3712:
	v_mov_b32_e32 v11, 0
	v_cmp_ne_u16_sdwa s[8:9], v13, v11 src0_sel:BYTE_3 src1_sel:DWORD
	s_andn2_b64 s[4:5], s[4:5], exec
	s_and_b64 s[8:9], s[8:9], exec
	s_or_b64 s[4:5], s[4:5], s[8:9]
	s_or_b64 exec, exec, s[6:7]
	s_and_saveexec_b64 s[6:7], s[4:5]
	s_cbranch_execnz .LBB32_1663
	s_branch .LBB32_1664
.LBB32_3713:
	s_movk_i32 s4, 0x80
	v_cmp_eq_u16_sdwa s[12:13], v6, s4 src0_sel:BYTE_0 src1_sel:DWORD
	s_mov_b64 s[4:5], -1
                                        ; implicit-def: $sgpr10
	s_and_saveexec_b64 s[8:9], s[12:13]
; %bb.3714:
	s_mov_b32 s10, 0x7f800001
	s_xor_b64 s[4:5], exec, -1
; %bb.3715:
	s_or_b64 exec, exec, s[8:9]
	s_and_b64 s[4:5], s[4:5], exec
	s_or_saveexec_b64 s[6:7], s[6:7]
	v_mov_b32_e32 v10, s10
	s_xor_b64 exec, exec, s[6:7]
	s_cbranch_execz .LBB32_1666
.LBB32_3716:
	v_mov_b32_e32 v10, 0
	v_cmp_ne_u16_sdwa s[8:9], v6, v10 src0_sel:BYTE_0 src1_sel:DWORD
	s_andn2_b64 s[4:5], s[4:5], exec
	s_and_b64 s[8:9], s[8:9], exec
	s_or_b64 s[4:5], s[4:5], s[8:9]
	s_or_b64 exec, exec, s[6:7]
	s_and_saveexec_b64 s[6:7], s[4:5]
	s_cbranch_execnz .LBB32_1667
	s_branch .LBB32_1668
.LBB32_3717:
	s_movk_i32 s4, 0x80
	v_cmp_eq_u16_sdwa s[12:13], v2, s4 src0_sel:BYTE_0 src1_sel:DWORD
	s_mov_b64 s[4:5], -1
                                        ; implicit-def: $sgpr10
	s_and_saveexec_b64 s[8:9], s[12:13]
; %bb.3718:
	s_mov_b32 s10, 0x7f800001
	s_xor_b64 s[4:5], exec, -1
; %bb.3719:
	s_or_b64 exec, exec, s[8:9]
	s_and_b64 s[4:5], s[4:5], exec
	s_or_saveexec_b64 s[6:7], s[6:7]
	v_mov_b32_e32 v11, s10
	s_xor_b64 exec, exec, s[6:7]
	s_cbranch_execz .LBB32_1670
.LBB32_3720:
	v_mov_b32_e32 v11, 0
	v_cmp_ne_u16_sdwa s[8:9], v2, v11 src0_sel:BYTE_0 src1_sel:DWORD
	s_andn2_b64 s[4:5], s[4:5], exec
	s_and_b64 s[8:9], s[8:9], exec
	s_or_b64 s[4:5], s[4:5], s[8:9]
	s_or_b64 exec, exec, s[6:7]
	s_and_saveexec_b64 s[6:7], s[4:5]
	s_cbranch_execnz .LBB32_1671
	s_branch .LBB32_1672
.LBB32_3721:
	s_movk_i32 s4, 0x80
	v_cmp_eq_u16_sdwa s[12:13], v11, s4 src0_sel:BYTE_0 src1_sel:DWORD
	s_mov_b64 s[4:5], -1
                                        ; implicit-def: $sgpr10
	s_and_saveexec_b64 s[8:9], s[12:13]
; %bb.3722:
	s_mov_b32 s10, 0x7f800001
	s_xor_b64 s[4:5], exec, -1
; %bb.3723:
	s_or_b64 exec, exec, s[8:9]
	s_and_b64 s[4:5], s[4:5], exec
	s_or_saveexec_b64 s[6:7], s[6:7]
	v_mov_b32_e32 v10, s10
	s_xor_b64 exec, exec, s[6:7]
	s_cbranch_execz .LBB32_1674
.LBB32_3724:
	v_mov_b32_e32 v10, 0
	v_cmp_ne_u16_sdwa s[8:9], v11, v10 src0_sel:BYTE_0 src1_sel:DWORD
	s_andn2_b64 s[4:5], s[4:5], exec
	s_and_b64 s[8:9], s[8:9], exec
	s_or_b64 s[4:5], s[4:5], s[8:9]
	s_or_b64 exec, exec, s[6:7]
	s_and_saveexec_b64 s[6:7], s[4:5]
	s_cbranch_execnz .LBB32_1675
	s_branch .LBB32_1676
.LBB32_3725:
	s_movk_i32 s4, 0x80
	v_cmp_eq_u16_sdwa s[12:13], v11, s4 src0_sel:BYTE_0 src1_sel:DWORD
	s_mov_b64 s[4:5], -1
                                        ; implicit-def: $sgpr10
	s_and_saveexec_b64 s[8:9], s[12:13]
; %bb.3726:
	s_mov_b32 s10, 0x7f800001
	s_xor_b64 s[4:5], exec, -1
; %bb.3727:
	s_or_b64 exec, exec, s[8:9]
	s_and_b64 s[4:5], s[4:5], exec
	s_or_saveexec_b64 s[6:7], s[6:7]
	v_mov_b32_e32 v12, s10
	s_xor_b64 exec, exec, s[6:7]
	s_cbranch_execz .LBB32_1678
.LBB32_3728:
	v_mov_b32_e32 v12, 0
	v_cmp_ne_u16_sdwa s[8:9], v11, v12 src0_sel:BYTE_0 src1_sel:DWORD
	s_andn2_b64 s[4:5], s[4:5], exec
	s_and_b64 s[8:9], s[8:9], exec
	s_or_b64 s[4:5], s[4:5], s[8:9]
	s_or_b64 exec, exec, s[6:7]
	s_and_saveexec_b64 s[6:7], s[4:5]
	s_cbranch_execnz .LBB32_1679
	s_branch .LBB32_1680
.LBB32_3729:
	s_movk_i32 s4, 0x80
	v_cmp_eq_u16_e32 vcc, s4, v11
	s_mov_b64 s[4:5], -1
                                        ; implicit-def: $sgpr10
	s_and_saveexec_b64 s[8:9], vcc
; %bb.3730:
	s_mov_b32 s10, 0x7f800001
	s_xor_b64 s[4:5], exec, -1
; %bb.3731:
	s_or_b64 exec, exec, s[8:9]
	s_and_b64 s[4:5], s[4:5], exec
                                        ; implicit-def: $vgpr11
	s_or_saveexec_b64 s[6:7], s[6:7]
	v_mov_b32_e32 v10, s10
	s_xor_b64 exec, exec, s[6:7]
	s_cbranch_execz .LBB32_1682
.LBB32_3732:
	v_cmp_ne_u16_e32 vcc, 0, v11
	s_andn2_b64 s[4:5], s[4:5], exec
	s_and_b64 s[8:9], vcc, exec
	v_mov_b32_e32 v10, 0
	s_or_b64 s[4:5], s[4:5], s[8:9]
	s_or_b64 exec, exec, s[6:7]
	s_and_saveexec_b64 s[6:7], s[4:5]
	s_cbranch_execnz .LBB32_1683
	s_branch .LBB32_1684
.LBB32_3733:
	s_movk_i32 s4, 0x80
	v_cmp_eq_u16_e32 vcc, s4, v11
	s_mov_b64 s[4:5], -1
                                        ; implicit-def: $sgpr10
	s_and_saveexec_b64 s[8:9], vcc
; %bb.3734:
	s_mov_b32 s10, 0x7f800001
	s_xor_b64 s[4:5], exec, -1
; %bb.3735:
	s_or_b64 exec, exec, s[8:9]
	s_and_b64 s[4:5], s[4:5], exec
                                        ; implicit-def: $vgpr11
	s_or_saveexec_b64 s[6:7], s[6:7]
	v_mov_b32_e32 v12, s10
	s_xor_b64 exec, exec, s[6:7]
	s_cbranch_execz .LBB32_1686
.LBB32_3736:
	v_cmp_ne_u16_e32 vcc, 0, v11
	s_andn2_b64 s[4:5], s[4:5], exec
	s_and_b64 s[8:9], vcc, exec
	v_mov_b32_e32 v12, 0
	s_or_b64 s[4:5], s[4:5], s[8:9]
	s_or_b64 exec, exec, s[6:7]
	s_and_saveexec_b64 s[6:7], s[4:5]
	s_cbranch_execnz .LBB32_1687
	s_branch .LBB32_1688
.LBB32_3737:
	s_movk_i32 s4, 0x80
	v_cmp_eq_u16_sdwa s[12:13], v6, s4 src0_sel:BYTE_3 src1_sel:DWORD
	s_mov_b64 s[4:5], -1
                                        ; implicit-def: $sgpr10
	s_and_saveexec_b64 s[8:9], s[12:13]
; %bb.3738:
	s_mov_b32 s10, 0x7f800001
	s_xor_b64 s[4:5], exec, -1
; %bb.3739:
	s_or_b64 exec, exec, s[8:9]
	s_and_b64 s[4:5], s[4:5], exec
	s_or_saveexec_b64 s[6:7], s[6:7]
	v_mov_b32_e32 v10, s10
	s_xor_b64 exec, exec, s[6:7]
	s_cbranch_execz .LBB32_1690
.LBB32_3740:
	v_mov_b32_e32 v10, 0
	v_cmp_ne_u16_sdwa s[8:9], v6, v10 src0_sel:BYTE_3 src1_sel:DWORD
	s_andn2_b64 s[4:5], s[4:5], exec
	s_and_b64 s[8:9], s[8:9], exec
	s_or_b64 s[4:5], s[4:5], s[8:9]
	s_or_b64 exec, exec, s[6:7]
	s_and_saveexec_b64 s[6:7], s[4:5]
	s_cbranch_execnz .LBB32_1691
	s_branch .LBB32_1692
.LBB32_3741:
	s_movk_i32 s4, 0x80
	v_cmp_eq_u16_sdwa s[12:13], v2, s4 src0_sel:BYTE_3 src1_sel:DWORD
	s_mov_b64 s[4:5], -1
                                        ; implicit-def: $sgpr10
	s_and_saveexec_b64 s[8:9], s[12:13]
; %bb.3742:
	s_mov_b32 s10, 0x7f800001
	s_xor_b64 s[4:5], exec, -1
; %bb.3743:
	s_or_b64 exec, exec, s[8:9]
	s_and_b64 s[4:5], s[4:5], exec
	s_or_saveexec_b64 s[6:7], s[6:7]
	v_mov_b32_e32 v6, s10
	s_xor_b64 exec, exec, s[6:7]
	s_cbranch_execz .LBB32_1694
.LBB32_3744:
	v_mov_b32_e32 v6, 0
	v_cmp_ne_u16_sdwa s[8:9], v2, v6 src0_sel:BYTE_3 src1_sel:DWORD
	s_andn2_b64 s[4:5], s[4:5], exec
	s_and_b64 s[8:9], s[8:9], exec
	s_or_b64 s[4:5], s[4:5], s[8:9]
	s_or_b64 exec, exec, s[6:7]
	s_and_saveexec_b64 s[6:7], s[4:5]
	s_cbranch_execnz .LBB32_1695
	s_branch .LBB32_1696
.LBB32_3745:
	s_movk_i32 s4, 0x80
	v_cmp_eq_u16_sdwa s[12:13], v7, s4 src0_sel:BYTE_0 src1_sel:DWORD
	s_mov_b64 s[4:5], -1
                                        ; implicit-def: $sgpr10
	s_and_saveexec_b64 s[8:9], s[12:13]
; %bb.3746:
	s_mov_b32 s10, 0x7f800001
	s_xor_b64 s[4:5], exec, -1
; %bb.3747:
	s_or_b64 exec, exec, s[8:9]
	s_and_b64 s[4:5], s[4:5], exec
	s_or_saveexec_b64 s[6:7], s[6:7]
	v_mov_b32_e32 v2, s10
	s_xor_b64 exec, exec, s[6:7]
	s_cbranch_execz .LBB32_1698
.LBB32_3748:
	v_mov_b32_e32 v2, 0
	v_cmp_ne_u16_sdwa s[8:9], v7, v2 src0_sel:BYTE_0 src1_sel:DWORD
	s_andn2_b64 s[4:5], s[4:5], exec
	s_and_b64 s[8:9], s[8:9], exec
	s_or_b64 s[4:5], s[4:5], s[8:9]
	s_or_b64 exec, exec, s[6:7]
	s_and_saveexec_b64 s[6:7], s[4:5]
	s_cbranch_execnz .LBB32_1699
	s_branch .LBB32_1700
.LBB32_3749:
	s_movk_i32 s4, 0x80
	v_cmp_eq_u16_sdwa s[12:13], v3, s4 src0_sel:BYTE_0 src1_sel:DWORD
	s_mov_b64 s[4:5], -1
                                        ; implicit-def: $sgpr10
	s_and_saveexec_b64 s[8:9], s[12:13]
; %bb.3750:
	s_mov_b32 s10, 0x7f800001
	s_xor_b64 s[4:5], exec, -1
; %bb.3751:
	s_or_b64 exec, exec, s[8:9]
	s_and_b64 s[4:5], s[4:5], exec
	s_or_saveexec_b64 s[6:7], s[6:7]
	v_mov_b32_e32 v6, s10
	s_xor_b64 exec, exec, s[6:7]
	s_cbranch_execz .LBB32_1702
.LBB32_3752:
	v_mov_b32_e32 v6, 0
	v_cmp_ne_u16_sdwa s[8:9], v3, v6 src0_sel:BYTE_0 src1_sel:DWORD
	s_andn2_b64 s[4:5], s[4:5], exec
	s_and_b64 s[8:9], s[8:9], exec
	s_or_b64 s[4:5], s[4:5], s[8:9]
	s_or_b64 exec, exec, s[6:7]
	s_and_saveexec_b64 s[6:7], s[4:5]
	s_cbranch_execnz .LBB32_1703
	s_branch .LBB32_1704
.LBB32_3753:
	s_movk_i32 s4, 0x80
	v_cmp_eq_u16_sdwa s[12:13], v6, s4 src0_sel:BYTE_0 src1_sel:DWORD
	s_mov_b64 s[4:5], -1
                                        ; implicit-def: $sgpr10
	s_and_saveexec_b64 s[8:9], s[12:13]
; %bb.3754:
	s_mov_b32 s10, 0x7f800001
	s_xor_b64 s[4:5], exec, -1
; %bb.3755:
	s_or_b64 exec, exec, s[8:9]
	s_and_b64 s[4:5], s[4:5], exec
	s_or_saveexec_b64 s[6:7], s[6:7]
	v_mov_b32_e32 v2, s10
	s_xor_b64 exec, exec, s[6:7]
	s_cbranch_execz .LBB32_1706
.LBB32_3756:
	v_mov_b32_e32 v2, 0
	v_cmp_ne_u16_sdwa s[8:9], v6, v2 src0_sel:BYTE_0 src1_sel:DWORD
	s_andn2_b64 s[4:5], s[4:5], exec
	s_and_b64 s[8:9], s[8:9], exec
	s_or_b64 s[4:5], s[4:5], s[8:9]
	s_or_b64 exec, exec, s[6:7]
	s_and_saveexec_b64 s[6:7], s[4:5]
	s_cbranch_execnz .LBB32_1707
	s_branch .LBB32_1708
.LBB32_3757:
	s_movk_i32 s4, 0x80
	v_cmp_eq_u16_sdwa s[12:13], v6, s4 src0_sel:BYTE_0 src1_sel:DWORD
	s_mov_b64 s[4:5], -1
                                        ; implicit-def: $sgpr10
	s_and_saveexec_b64 s[8:9], s[12:13]
; %bb.3758:
	s_mov_b32 s10, 0x7f800001
	s_xor_b64 s[4:5], exec, -1
; %bb.3759:
	s_or_b64 exec, exec, s[8:9]
	s_and_b64 s[4:5], s[4:5], exec
	s_or_saveexec_b64 s[6:7], s[6:7]
	v_mov_b32_e32 v10, s10
	s_xor_b64 exec, exec, s[6:7]
	s_cbranch_execz .LBB32_1710
.LBB32_3760:
	v_mov_b32_e32 v10, 0
	v_cmp_ne_u16_sdwa s[8:9], v6, v10 src0_sel:BYTE_0 src1_sel:DWORD
	s_andn2_b64 s[4:5], s[4:5], exec
	s_and_b64 s[8:9], s[8:9], exec
	s_or_b64 s[4:5], s[4:5], s[8:9]
	s_or_b64 exec, exec, s[6:7]
	s_and_saveexec_b64 s[6:7], s[4:5]
	s_cbranch_execnz .LBB32_1711
	s_branch .LBB32_1712
.LBB32_3761:
	s_movk_i32 s4, 0x80
	v_cmp_eq_u16_e32 vcc, s4, v6
	s_mov_b64 s[4:5], -1
                                        ; implicit-def: $sgpr10
	s_and_saveexec_b64 s[8:9], vcc
; %bb.3762:
	s_mov_b32 s10, 0x7f800001
	s_xor_b64 s[4:5], exec, -1
; %bb.3763:
	s_or_b64 exec, exec, s[8:9]
	s_and_b64 s[4:5], s[4:5], exec
                                        ; implicit-def: $vgpr6
	s_or_saveexec_b64 s[6:7], s[6:7]
	v_mov_b32_e32 v2, s10
	s_xor_b64 exec, exec, s[6:7]
	s_cbranch_execz .LBB32_1714
.LBB32_3764:
	v_cmp_ne_u16_e32 vcc, 0, v6
	s_andn2_b64 s[4:5], s[4:5], exec
	s_and_b64 s[8:9], vcc, exec
	v_mov_b32_e32 v2, 0
	s_or_b64 s[4:5], s[4:5], s[8:9]
	s_or_b64 exec, exec, s[6:7]
	s_and_saveexec_b64 s[6:7], s[4:5]
	s_cbranch_execnz .LBB32_1715
	s_branch .LBB32_1716
.LBB32_3765:
	s_movk_i32 s4, 0x80
	v_cmp_eq_u16_e32 vcc, s4, v6
	s_mov_b64 s[4:5], -1
                                        ; implicit-def: $sgpr10
	s_and_saveexec_b64 s[8:9], vcc
; %bb.3766:
	s_mov_b32 s10, 0x7f800001
	s_xor_b64 s[4:5], exec, -1
; %bb.3767:
	s_or_b64 exec, exec, s[8:9]
	s_and_b64 s[4:5], s[4:5], exec
                                        ; implicit-def: $vgpr6
	s_or_saveexec_b64 s[6:7], s[6:7]
	v_mov_b32_e32 v10, s10
	s_xor_b64 exec, exec, s[6:7]
	s_cbranch_execz .LBB32_1718
.LBB32_3768:
	v_cmp_ne_u16_e32 vcc, 0, v6
	s_andn2_b64 s[4:5], s[4:5], exec
	s_and_b64 s[8:9], vcc, exec
	v_mov_b32_e32 v10, 0
	s_or_b64 s[4:5], s[4:5], s[8:9]
	s_or_b64 exec, exec, s[6:7]
	s_and_saveexec_b64 s[6:7], s[4:5]
	s_cbranch_execnz .LBB32_1719
	s_branch .LBB32_1720
.LBB32_3769:
	s_movk_i32 s4, 0x80
	v_cmp_eq_u16_sdwa s[12:13], v7, s4 src0_sel:BYTE_3 src1_sel:DWORD
	s_mov_b64 s[4:5], -1
                                        ; implicit-def: $sgpr10
	s_and_saveexec_b64 s[8:9], s[12:13]
; %bb.3770:
	s_mov_b32 s10, 0x7f800001
	s_xor_b64 s[4:5], exec, -1
; %bb.3771:
	s_or_b64 exec, exec, s[8:9]
	s_and_b64 s[4:5], s[4:5], exec
	s_or_saveexec_b64 s[6:7], s[6:7]
	v_mov_b32_e32 v2, s10
	s_xor_b64 exec, exec, s[6:7]
	s_cbranch_execz .LBB32_1722
.LBB32_3772:
	v_mov_b32_e32 v2, 0
	v_cmp_ne_u16_sdwa s[8:9], v7, v2 src0_sel:BYTE_3 src1_sel:DWORD
	s_andn2_b64 s[4:5], s[4:5], exec
	s_and_b64 s[8:9], s[8:9], exec
	s_or_b64 s[4:5], s[4:5], s[8:9]
	s_or_b64 exec, exec, s[6:7]
	s_and_saveexec_b64 s[6:7], s[4:5]
	s_cbranch_execnz .LBB32_1723
	s_branch .LBB32_1724
.LBB32_3773:
	s_movk_i32 s4, 0x80
	v_cmp_eq_u16_sdwa s[12:13], v3, s4 src0_sel:BYTE_3 src1_sel:DWORD
	s_mov_b64 s[4:5], -1
                                        ; implicit-def: $sgpr10
	s_and_saveexec_b64 s[8:9], s[12:13]
; %bb.3774:
	s_mov_b32 s10, 0x7f800001
	s_xor_b64 s[4:5], exec, -1
; %bb.3775:
	s_or_b64 exec, exec, s[8:9]
	s_and_b64 s[4:5], s[4:5], exec
	s_or_saveexec_b64 s[6:7], s[6:7]
	v_mov_b32_e32 v6, s10
	s_xor_b64 exec, exec, s[6:7]
	s_cbranch_execz .LBB32_1726
.LBB32_3776:
	v_mov_b32_e32 v6, 0
	v_cmp_ne_u16_sdwa s[8:9], v3, v6 src0_sel:BYTE_3 src1_sel:DWORD
	s_andn2_b64 s[4:5], s[4:5], exec
	s_and_b64 s[8:9], s[8:9], exec
	s_or_b64 s[4:5], s[4:5], s[8:9]
	s_or_b64 exec, exec, s[6:7]
	s_and_saveexec_b64 s[6:7], s[4:5]
	s_cbranch_execnz .LBB32_1727
	s_branch .LBB32_1728
.LBB32_3777:
	s_movk_i32 s4, 0x80
	v_cmp_eq_u16_sdwa s[12:13], v8, s4 src0_sel:BYTE_0 src1_sel:DWORD
	s_mov_b64 s[4:5], -1
                                        ; implicit-def: $sgpr10
	s_and_saveexec_b64 s[8:9], s[12:13]
; %bb.3778:
	s_mov_b32 s10, 0x7f800001
	s_xor_b64 s[4:5], exec, -1
; %bb.3779:
	s_or_b64 exec, exec, s[8:9]
	s_and_b64 s[4:5], s[4:5], exec
	s_or_saveexec_b64 s[6:7], s[6:7]
	v_mov_b32_e32 v2, s10
	s_xor_b64 exec, exec, s[6:7]
	s_cbranch_execz .LBB32_1730
.LBB32_3780:
	v_mov_b32_e32 v2, 0
	v_cmp_ne_u16_sdwa s[8:9], v8, v2 src0_sel:BYTE_0 src1_sel:DWORD
	s_andn2_b64 s[4:5], s[4:5], exec
	s_and_b64 s[8:9], s[8:9], exec
	s_or_b64 s[4:5], s[4:5], s[8:9]
	s_or_b64 exec, exec, s[6:7]
	s_and_saveexec_b64 s[6:7], s[4:5]
	s_cbranch_execnz .LBB32_1731
	s_branch .LBB32_1732
.LBB32_3781:
	s_movk_i32 s4, 0x80
	v_cmp_eq_u16_sdwa s[12:13], v4, s4 src0_sel:BYTE_0 src1_sel:DWORD
	s_mov_b64 s[4:5], -1
                                        ; implicit-def: $sgpr10
	s_and_saveexec_b64 s[8:9], s[12:13]
; %bb.3782:
	s_mov_b32 s10, 0x7f800001
	s_xor_b64 s[4:5], exec, -1
; %bb.3783:
	s_or_b64 exec, exec, s[8:9]
	s_and_b64 s[4:5], s[4:5], exec
	s_or_saveexec_b64 s[6:7], s[6:7]
	v_mov_b32_e32 v3, s10
	s_xor_b64 exec, exec, s[6:7]
	s_cbranch_execz .LBB32_1734
.LBB32_3784:
	v_mov_b32_e32 v3, 0
	v_cmp_ne_u16_sdwa s[8:9], v4, v3 src0_sel:BYTE_0 src1_sel:DWORD
	s_andn2_b64 s[4:5], s[4:5], exec
	s_and_b64 s[8:9], s[8:9], exec
	s_or_b64 s[4:5], s[4:5], s[8:9]
	s_or_b64 exec, exec, s[6:7]
	s_and_saveexec_b64 s[6:7], s[4:5]
	s_cbranch_execnz .LBB32_1735
	s_branch .LBB32_1736
.LBB32_3785:
	s_movk_i32 s4, 0x80
	v_cmp_eq_u16_sdwa s[12:13], v3, s4 src0_sel:BYTE_0 src1_sel:DWORD
	s_mov_b64 s[4:5], -1
                                        ; implicit-def: $sgpr10
	s_and_saveexec_b64 s[8:9], s[12:13]
; %bb.3786:
	s_mov_b32 s10, 0x7f800001
	s_xor_b64 s[4:5], exec, -1
; %bb.3787:
	s_or_b64 exec, exec, s[8:9]
	s_and_b64 s[4:5], s[4:5], exec
	s_or_saveexec_b64 s[6:7], s[6:7]
	v_mov_b32_e32 v2, s10
	s_xor_b64 exec, exec, s[6:7]
	s_cbranch_execz .LBB32_1738
.LBB32_3788:
	v_mov_b32_e32 v2, 0
	v_cmp_ne_u16_sdwa s[8:9], v3, v2 src0_sel:BYTE_0 src1_sel:DWORD
	s_andn2_b64 s[4:5], s[4:5], exec
	s_and_b64 s[8:9], s[8:9], exec
	s_or_b64 s[4:5], s[4:5], s[8:9]
	s_or_b64 exec, exec, s[6:7]
	s_and_saveexec_b64 s[6:7], s[4:5]
	s_cbranch_execnz .LBB32_1739
	s_branch .LBB32_1740
.LBB32_3789:
	s_movk_i32 s4, 0x80
	v_cmp_eq_u16_sdwa s[12:13], v3, s4 src0_sel:BYTE_0 src1_sel:DWORD
	s_mov_b64 s[4:5], -1
                                        ; implicit-def: $sgpr10
	s_and_saveexec_b64 s[8:9], s[12:13]
; %bb.3790:
	s_mov_b32 s10, 0x7f800001
	s_xor_b64 s[4:5], exec, -1
; %bb.3791:
	s_or_b64 exec, exec, s[8:9]
	s_and_b64 s[4:5], s[4:5], exec
	s_or_saveexec_b64 s[6:7], s[6:7]
	v_mov_b32_e32 v6, s10
	s_xor_b64 exec, exec, s[6:7]
	s_cbranch_execz .LBB32_1742
.LBB32_3792:
	v_mov_b32_e32 v6, 0
	v_cmp_ne_u16_sdwa s[8:9], v3, v6 src0_sel:BYTE_0 src1_sel:DWORD
	s_andn2_b64 s[4:5], s[4:5], exec
	s_and_b64 s[8:9], s[8:9], exec
	s_or_b64 s[4:5], s[4:5], s[8:9]
	s_or_b64 exec, exec, s[6:7]
	s_and_saveexec_b64 s[6:7], s[4:5]
	s_cbranch_execnz .LBB32_1743
	s_branch .LBB32_1744
.LBB32_3793:
	s_movk_i32 s4, 0x80
	v_cmp_eq_u16_e32 vcc, s4, v3
	s_mov_b64 s[4:5], -1
                                        ; implicit-def: $sgpr10
	s_and_saveexec_b64 s[8:9], vcc
; %bb.3794:
	s_mov_b32 s10, 0x7f800001
	s_xor_b64 s[4:5], exec, -1
; %bb.3795:
	s_or_b64 exec, exec, s[8:9]
	s_and_b64 s[4:5], s[4:5], exec
                                        ; implicit-def: $vgpr3
	s_or_saveexec_b64 s[6:7], s[6:7]
	v_mov_b32_e32 v2, s10
	s_xor_b64 exec, exec, s[6:7]
	s_cbranch_execz .LBB32_1746
.LBB32_3796:
	v_cmp_ne_u16_e32 vcc, 0, v3
	s_andn2_b64 s[4:5], s[4:5], exec
	s_and_b64 s[8:9], vcc, exec
	v_mov_b32_e32 v2, 0
	s_or_b64 s[4:5], s[4:5], s[8:9]
	s_or_b64 exec, exec, s[6:7]
	s_and_saveexec_b64 s[6:7], s[4:5]
	s_cbranch_execnz .LBB32_1747
	s_branch .LBB32_1748
.LBB32_3797:
	s_movk_i32 s4, 0x80
	v_cmp_eq_u16_e32 vcc, s4, v3
	s_mov_b64 s[4:5], -1
                                        ; implicit-def: $sgpr10
	s_and_saveexec_b64 s[8:9], vcc
; %bb.3798:
	s_mov_b32 s10, 0x7f800001
	s_xor_b64 s[4:5], exec, -1
; %bb.3799:
	s_or_b64 exec, exec, s[8:9]
	s_and_b64 s[4:5], s[4:5], exec
                                        ; implicit-def: $vgpr3
	s_or_saveexec_b64 s[6:7], s[6:7]
	v_mov_b32_e32 v6, s10
	s_xor_b64 exec, exec, s[6:7]
	s_cbranch_execz .LBB32_1750
.LBB32_3800:
	v_cmp_ne_u16_e32 vcc, 0, v3
	s_andn2_b64 s[4:5], s[4:5], exec
	s_and_b64 s[8:9], vcc, exec
	v_mov_b32_e32 v6, 0
	s_or_b64 s[4:5], s[4:5], s[8:9]
	s_or_b64 exec, exec, s[6:7]
	s_and_saveexec_b64 s[6:7], s[4:5]
	s_cbranch_execnz .LBB32_1751
	s_branch .LBB32_1752
.LBB32_3801:
	s_movk_i32 s4, 0x80
	v_cmp_eq_u16_sdwa s[12:13], v8, s4 src0_sel:BYTE_3 src1_sel:DWORD
	s_mov_b64 s[4:5], -1
                                        ; implicit-def: $sgpr10
	s_and_saveexec_b64 s[8:9], s[12:13]
; %bb.3802:
	s_mov_b32 s10, 0x7f800001
	s_xor_b64 s[4:5], exec, -1
; %bb.3803:
	s_or_b64 exec, exec, s[8:9]
	s_and_b64 s[4:5], s[4:5], exec
	s_or_saveexec_b64 s[6:7], s[6:7]
	v_mov_b32_e32 v2, s10
	s_xor_b64 exec, exec, s[6:7]
	s_cbranch_execz .LBB32_1754
.LBB32_3804:
	v_mov_b32_e32 v2, 0
	v_cmp_ne_u16_sdwa s[8:9], v8, v2 src0_sel:BYTE_3 src1_sel:DWORD
	s_andn2_b64 s[4:5], s[4:5], exec
	s_and_b64 s[8:9], s[8:9], exec
	s_or_b64 s[4:5], s[4:5], s[8:9]
	s_or_b64 exec, exec, s[6:7]
	s_and_saveexec_b64 s[6:7], s[4:5]
	s_cbranch_execnz .LBB32_1755
	s_branch .LBB32_1756
.LBB32_3805:
	s_movk_i32 s4, 0x80
	v_cmp_eq_u16_sdwa s[12:13], v4, s4 src0_sel:BYTE_3 src1_sel:DWORD
	s_mov_b64 s[4:5], -1
                                        ; implicit-def: $sgpr10
	s_and_saveexec_b64 s[8:9], s[12:13]
; %bb.3806:
	s_mov_b32 s10, 0x7f800001
	s_xor_b64 s[4:5], exec, -1
; %bb.3807:
	s_or_b64 exec, exec, s[8:9]
	s_and_b64 s[4:5], s[4:5], exec
	s_or_saveexec_b64 s[6:7], s[6:7]
	v_mov_b32_e32 v3, s10
	s_xor_b64 exec, exec, s[6:7]
	s_cbranch_execz .LBB32_1758
.LBB32_3808:
	v_mov_b32_e32 v3, 0
	v_cmp_ne_u16_sdwa s[8:9], v4, v3 src0_sel:BYTE_3 src1_sel:DWORD
	s_andn2_b64 s[4:5], s[4:5], exec
	s_and_b64 s[8:9], s[8:9], exec
	s_or_b64 s[4:5], s[4:5], s[8:9]
	s_or_b64 exec, exec, s[6:7]
	s_and_saveexec_b64 s[6:7], s[4:5]
	s_cbranch_execnz .LBB32_1759
	s_branch .LBB32_1760
.LBB32_3809:
	s_movk_i32 s4, 0x80
	v_cmp_eq_u16_sdwa s[12:13], v9, s4 src0_sel:BYTE_0 src1_sel:DWORD
	s_mov_b64 s[4:5], -1
                                        ; implicit-def: $sgpr10
	s_and_saveexec_b64 s[8:9], s[12:13]
; %bb.3810:
	s_mov_b32 s10, 0x7f800001
	s_xor_b64 s[4:5], exec, -1
; %bb.3811:
	s_or_b64 exec, exec, s[8:9]
	s_and_b64 s[4:5], s[4:5], exec
	s_or_saveexec_b64 s[6:7], s[6:7]
	v_mov_b32_e32 v2, s10
	s_xor_b64 exec, exec, s[6:7]
	s_cbranch_execz .LBB32_1762
.LBB32_3812:
	v_mov_b32_e32 v2, 0
	v_cmp_ne_u16_sdwa s[8:9], v9, v2 src0_sel:BYTE_0 src1_sel:DWORD
	s_andn2_b64 s[4:5], s[4:5], exec
	s_and_b64 s[8:9], s[8:9], exec
	s_or_b64 s[4:5], s[4:5], s[8:9]
	s_or_b64 exec, exec, s[6:7]
	s_and_saveexec_b64 s[6:7], s[4:5]
	s_cbranch_execnz .LBB32_1763
	s_branch .LBB32_1764
.LBB32_3813:
	s_movk_i32 s4, 0x80
	v_cmp_eq_u16_sdwa s[12:13], v5, s4 src0_sel:BYTE_0 src1_sel:DWORD
	s_mov_b64 s[4:5], -1
                                        ; implicit-def: $sgpr10
	s_and_saveexec_b64 s[8:9], s[12:13]
; %bb.3814:
	s_mov_b32 s10, 0x7f800001
	s_xor_b64 s[4:5], exec, -1
; %bb.3815:
	s_or_b64 exec, exec, s[8:9]
	s_and_b64 s[4:5], s[4:5], exec
	s_or_saveexec_b64 s[6:7], s[6:7]
	v_mov_b32_e32 v3, s10
	s_xor_b64 exec, exec, s[6:7]
	s_cbranch_execz .LBB32_1766
.LBB32_3816:
	v_mov_b32_e32 v3, 0
	v_cmp_ne_u16_sdwa s[8:9], v5, v3 src0_sel:BYTE_0 src1_sel:DWORD
	s_andn2_b64 s[4:5], s[4:5], exec
	s_and_b64 s[8:9], s[8:9], exec
	s_or_b64 s[4:5], s[4:5], s[8:9]
	s_or_b64 exec, exec, s[6:7]
	s_and_saveexec_b64 s[6:7], s[4:5]
	s_cbranch_execnz .LBB32_1767
	s_branch .LBB32_1768
.LBB32_3817:
	s_movk_i32 s4, 0x80
	v_cmp_eq_u16_sdwa s[12:13], v3, s4 src0_sel:BYTE_0 src1_sel:DWORD
	s_mov_b64 s[4:5], -1
                                        ; implicit-def: $sgpr10
	s_and_saveexec_b64 s[8:9], s[12:13]
; %bb.3818:
	s_mov_b32 s10, 0x7f800001
	s_xor_b64 s[4:5], exec, -1
; %bb.3819:
	s_or_b64 exec, exec, s[8:9]
	s_and_b64 s[4:5], s[4:5], exec
	s_or_saveexec_b64 s[6:7], s[6:7]
	v_mov_b32_e32 v2, s10
	s_xor_b64 exec, exec, s[6:7]
	s_cbranch_execz .LBB32_1770
.LBB32_3820:
	v_mov_b32_e32 v2, 0
	v_cmp_ne_u16_sdwa s[8:9], v3, v2 src0_sel:BYTE_0 src1_sel:DWORD
	s_andn2_b64 s[4:5], s[4:5], exec
	s_and_b64 s[8:9], s[8:9], exec
	s_or_b64 s[4:5], s[4:5], s[8:9]
	s_or_b64 exec, exec, s[6:7]
	s_and_saveexec_b64 s[6:7], s[4:5]
	s_cbranch_execnz .LBB32_1771
	s_branch .LBB32_1772
.LBB32_3821:
	s_movk_i32 s4, 0x80
	v_cmp_eq_u16_sdwa s[12:13], v3, s4 src0_sel:BYTE_0 src1_sel:DWORD
	s_mov_b64 s[4:5], -1
                                        ; implicit-def: $sgpr10
	s_and_saveexec_b64 s[8:9], s[12:13]
; %bb.3822:
	s_mov_b32 s10, 0x7f800001
	s_xor_b64 s[4:5], exec, -1
; %bb.3823:
	s_or_b64 exec, exec, s[8:9]
	s_and_b64 s[4:5], s[4:5], exec
	s_or_saveexec_b64 s[6:7], s[6:7]
	v_mov_b32_e32 v4, s10
	s_xor_b64 exec, exec, s[6:7]
	s_cbranch_execz .LBB32_1774
.LBB32_3824:
	v_mov_b32_e32 v4, 0
	v_cmp_ne_u16_sdwa s[8:9], v3, v4 src0_sel:BYTE_0 src1_sel:DWORD
	s_andn2_b64 s[4:5], s[4:5], exec
	s_and_b64 s[8:9], s[8:9], exec
	s_or_b64 s[4:5], s[4:5], s[8:9]
	s_or_b64 exec, exec, s[6:7]
	s_and_saveexec_b64 s[6:7], s[4:5]
	s_cbranch_execnz .LBB32_1775
	s_branch .LBB32_1776
.LBB32_3825:
	s_movk_i32 s4, 0x80
	v_cmp_eq_u16_e32 vcc, s4, v3
	s_mov_b64 s[4:5], -1
                                        ; implicit-def: $sgpr10
	s_and_saveexec_b64 s[8:9], vcc
; %bb.3826:
	s_mov_b32 s10, 0x7f800001
	s_xor_b64 s[4:5], exec, -1
; %bb.3827:
	s_or_b64 exec, exec, s[8:9]
	s_and_b64 s[4:5], s[4:5], exec
                                        ; implicit-def: $vgpr3
	s_or_saveexec_b64 s[6:7], s[6:7]
	v_mov_b32_e32 v2, s10
	s_xor_b64 exec, exec, s[6:7]
	s_cbranch_execz .LBB32_1778
.LBB32_3828:
	v_cmp_ne_u16_e32 vcc, 0, v3
	s_andn2_b64 s[4:5], s[4:5], exec
	s_and_b64 s[8:9], vcc, exec
	v_mov_b32_e32 v2, 0
	s_or_b64 s[4:5], s[4:5], s[8:9]
	s_or_b64 exec, exec, s[6:7]
	s_and_saveexec_b64 s[6:7], s[4:5]
	s_cbranch_execnz .LBB32_1779
	s_branch .LBB32_1780
.LBB32_3829:
	s_movk_i32 s4, 0x80
	v_cmp_eq_u16_e32 vcc, s4, v3
	s_mov_b64 s[4:5], -1
                                        ; implicit-def: $sgpr10
	s_and_saveexec_b64 s[8:9], vcc
; %bb.3830:
	s_mov_b32 s10, 0x7f800001
	s_xor_b64 s[4:5], exec, -1
; %bb.3831:
	s_or_b64 exec, exec, s[8:9]
	s_and_b64 s[4:5], s[4:5], exec
                                        ; implicit-def: $vgpr3
	s_or_saveexec_b64 s[6:7], s[6:7]
	v_mov_b32_e32 v4, s10
	s_xor_b64 exec, exec, s[6:7]
	s_cbranch_execz .LBB32_1782
.LBB32_3832:
	v_cmp_ne_u16_e32 vcc, 0, v3
	s_andn2_b64 s[4:5], s[4:5], exec
	s_and_b64 s[8:9], vcc, exec
	v_mov_b32_e32 v4, 0
	s_or_b64 s[4:5], s[4:5], s[8:9]
	s_or_b64 exec, exec, s[6:7]
	s_and_saveexec_b64 s[6:7], s[4:5]
	s_cbranch_execnz .LBB32_1783
	s_branch .LBB32_1784
.LBB32_3833:
	s_movk_i32 s4, 0x80
	v_cmp_eq_u16_sdwa s[12:13], v9, s4 src0_sel:BYTE_3 src1_sel:DWORD
	s_mov_b64 s[4:5], -1
                                        ; implicit-def: $sgpr10
	s_and_saveexec_b64 s[8:9], s[12:13]
; %bb.3834:
	s_mov_b32 s10, 0x7f800001
	s_xor_b64 s[4:5], exec, -1
; %bb.3835:
	s_or_b64 exec, exec, s[8:9]
	s_and_b64 s[4:5], s[4:5], exec
	s_or_saveexec_b64 s[6:7], s[6:7]
	v_mov_b32_e32 v2, s10
	s_xor_b64 exec, exec, s[6:7]
	s_cbranch_execz .LBB32_1786
.LBB32_3836:
	v_mov_b32_e32 v2, 0
	v_cmp_ne_u16_sdwa s[8:9], v9, v2 src0_sel:BYTE_3 src1_sel:DWORD
	s_andn2_b64 s[4:5], s[4:5], exec
	s_and_b64 s[8:9], s[8:9], exec
	s_or_b64 s[4:5], s[4:5], s[8:9]
	s_or_b64 exec, exec, s[6:7]
	s_and_saveexec_b64 s[6:7], s[4:5]
	s_cbranch_execnz .LBB32_1787
	s_branch .LBB32_1788
.LBB32_3837:
	s_movk_i32 s4, 0x80
	v_cmp_eq_u16_sdwa s[12:13], v5, s4 src0_sel:BYTE_3 src1_sel:DWORD
	s_mov_b64 s[4:5], -1
                                        ; implicit-def: $sgpr10
	s_and_saveexec_b64 s[8:9], s[12:13]
; %bb.3838:
	s_mov_b32 s10, 0x7f800001
	s_xor_b64 s[4:5], exec, -1
; %bb.3839:
	s_or_b64 exec, exec, s[8:9]
	s_and_b64 s[4:5], s[4:5], exec
	s_or_saveexec_b64 s[6:7], s[6:7]
	v_mov_b32_e32 v3, s10
	s_xor_b64 exec, exec, s[6:7]
	s_cbranch_execz .LBB32_1790
.LBB32_3840:
	v_mov_b32_e32 v3, 0
	v_cmp_ne_u16_sdwa s[8:9], v5, v3 src0_sel:BYTE_3 src1_sel:DWORD
	s_andn2_b64 s[4:5], s[4:5], exec
	s_and_b64 s[8:9], s[8:9], exec
	s_or_b64 s[4:5], s[4:5], s[8:9]
	s_or_b64 exec, exec, s[6:7]
	s_and_saveexec_b64 s[6:7], s[4:5]
	s_cbranch_execnz .LBB32_1791
	s_branch .LBB32_1792
.LBB32_3841:
	s_movk_i32 s4, 0x80
	v_cmp_eq_u16_sdwa s[12:13], v12, s4 src0_sel:BYTE_0 src1_sel:DWORD
	s_mov_b64 s[4:5], -1
                                        ; implicit-def: $sgpr10
	s_and_saveexec_b64 s[8:9], s[12:13]
; %bb.3842:
	s_mov_b32 s10, 0x7f800001
	s_xor_b64 s[4:5], exec, -1
; %bb.3843:
	s_or_b64 exec, exec, s[8:9]
	s_and_b64 s[4:5], s[4:5], exec
	s_or_saveexec_b64 s[6:7], s[6:7]
	v_mov_b32_e32 v18, s10
	s_xor_b64 exec, exec, s[6:7]
	s_cbranch_execz .LBB32_1794
.LBB32_3844:
	v_mov_b32_e32 v18, 0
	v_cmp_ne_u16_sdwa s[8:9], v12, v18 src0_sel:BYTE_0 src1_sel:DWORD
	s_andn2_b64 s[4:5], s[4:5], exec
	s_and_b64 s[8:9], s[8:9], exec
	s_or_b64 s[4:5], s[4:5], s[8:9]
	s_or_b64 exec, exec, s[6:7]
	s_and_saveexec_b64 s[6:7], s[4:5]
	s_cbranch_execnz .LBB32_1795
	s_branch .LBB32_1796
.LBB32_3845:
	s_movk_i32 s4, 0x80
	v_cmp_eq_u16_sdwa s[12:13], v8, s4 src0_sel:BYTE_0 src1_sel:DWORD
	s_mov_b64 s[4:5], -1
                                        ; implicit-def: $sgpr10
	s_and_saveexec_b64 s[8:9], s[12:13]
; %bb.3846:
	s_mov_b32 s10, 0x7f800001
	s_xor_b64 s[4:5], exec, -1
; %bb.3847:
	s_or_b64 exec, exec, s[8:9]
	s_and_b64 s[4:5], s[4:5], exec
	s_or_saveexec_b64 s[6:7], s[6:7]
	v_mov_b32_e32 v19, s10
	s_xor_b64 exec, exec, s[6:7]
	s_cbranch_execz .LBB32_1798
.LBB32_3848:
	v_mov_b32_e32 v19, 0
	v_cmp_ne_u16_sdwa s[8:9], v8, v19 src0_sel:BYTE_0 src1_sel:DWORD
	s_andn2_b64 s[4:5], s[4:5], exec
	s_and_b64 s[8:9], s[8:9], exec
	s_or_b64 s[4:5], s[4:5], s[8:9]
	s_or_b64 exec, exec, s[6:7]
	s_and_saveexec_b64 s[6:7], s[4:5]
	s_cbranch_execnz .LBB32_1799
	s_branch .LBB32_1800
.LBB32_3849:
	s_movk_i32 s4, 0x80
	v_cmp_eq_u16_sdwa s[12:13], v19, s4 src0_sel:BYTE_0 src1_sel:DWORD
	s_mov_b64 s[4:5], -1
                                        ; implicit-def: $sgpr10
	s_and_saveexec_b64 s[8:9], s[12:13]
; %bb.3850:
	s_mov_b32 s10, 0x7f800001
	s_xor_b64 s[4:5], exec, -1
; %bb.3851:
	s_or_b64 exec, exec, s[8:9]
	s_and_b64 s[4:5], s[4:5], exec
	s_or_saveexec_b64 s[6:7], s[6:7]
	v_mov_b32_e32 v18, s10
	s_xor_b64 exec, exec, s[6:7]
	s_cbranch_execz .LBB32_1802
.LBB32_3852:
	v_mov_b32_e32 v18, 0
	v_cmp_ne_u16_sdwa s[8:9], v19, v18 src0_sel:BYTE_0 src1_sel:DWORD
	s_andn2_b64 s[4:5], s[4:5], exec
	s_and_b64 s[8:9], s[8:9], exec
	s_or_b64 s[4:5], s[4:5], s[8:9]
	s_or_b64 exec, exec, s[6:7]
	s_and_saveexec_b64 s[6:7], s[4:5]
	s_cbranch_execnz .LBB32_1803
	s_branch .LBB32_1804
.LBB32_3853:
	s_movk_i32 s4, 0x80
	v_cmp_eq_u16_sdwa s[12:13], v19, s4 src0_sel:BYTE_0 src1_sel:DWORD
	s_mov_b64 s[4:5], -1
                                        ; implicit-def: $sgpr10
	s_and_saveexec_b64 s[8:9], s[12:13]
; %bb.3854:
	s_mov_b32 s10, 0x7f800001
	s_xor_b64 s[4:5], exec, -1
; %bb.3855:
	s_or_b64 exec, exec, s[8:9]
	s_and_b64 s[4:5], s[4:5], exec
	s_or_saveexec_b64 s[6:7], s[6:7]
	v_mov_b32_e32 v20, s10
	s_xor_b64 exec, exec, s[6:7]
	s_cbranch_execz .LBB32_1806
.LBB32_3856:
	v_mov_b32_e32 v20, 0
	v_cmp_ne_u16_sdwa s[8:9], v19, v20 src0_sel:BYTE_0 src1_sel:DWORD
	s_andn2_b64 s[4:5], s[4:5], exec
	s_and_b64 s[8:9], s[8:9], exec
	s_or_b64 s[4:5], s[4:5], s[8:9]
	s_or_b64 exec, exec, s[6:7]
	s_and_saveexec_b64 s[6:7], s[4:5]
	s_cbranch_execnz .LBB32_1807
	s_branch .LBB32_1808
.LBB32_3857:
	s_movk_i32 s4, 0x80
	v_cmp_eq_u16_e32 vcc, s4, v19
	s_mov_b64 s[4:5], -1
                                        ; implicit-def: $sgpr10
	s_and_saveexec_b64 s[8:9], vcc
; %bb.3858:
	s_mov_b32 s10, 0x7f800001
	s_xor_b64 s[4:5], exec, -1
; %bb.3859:
	s_or_b64 exec, exec, s[8:9]
	s_and_b64 s[4:5], s[4:5], exec
                                        ; implicit-def: $vgpr19
	s_or_saveexec_b64 s[6:7], s[6:7]
	v_mov_b32_e32 v18, s10
	s_xor_b64 exec, exec, s[6:7]
	s_cbranch_execz .LBB32_1810
.LBB32_3860:
	v_cmp_ne_u16_e32 vcc, 0, v19
	s_andn2_b64 s[4:5], s[4:5], exec
	s_and_b64 s[8:9], vcc, exec
	v_mov_b32_e32 v18, 0
	s_or_b64 s[4:5], s[4:5], s[8:9]
	s_or_b64 exec, exec, s[6:7]
	s_and_saveexec_b64 s[6:7], s[4:5]
	s_cbranch_execnz .LBB32_1811
	s_branch .LBB32_1812
.LBB32_3861:
	s_movk_i32 s4, 0x80
	v_cmp_eq_u16_e32 vcc, s4, v19
	s_mov_b64 s[4:5], -1
                                        ; implicit-def: $sgpr10
	s_and_saveexec_b64 s[8:9], vcc
; %bb.3862:
	s_mov_b32 s10, 0x7f800001
	s_xor_b64 s[4:5], exec, -1
; %bb.3863:
	s_or_b64 exec, exec, s[8:9]
	s_and_b64 s[4:5], s[4:5], exec
                                        ; implicit-def: $vgpr19
	s_or_saveexec_b64 s[6:7], s[6:7]
	v_mov_b32_e32 v20, s10
	s_xor_b64 exec, exec, s[6:7]
	s_cbranch_execz .LBB32_1814
.LBB32_3864:
	v_cmp_ne_u16_e32 vcc, 0, v19
	s_andn2_b64 s[4:5], s[4:5], exec
	s_and_b64 s[8:9], vcc, exec
	v_mov_b32_e32 v20, 0
	s_or_b64 s[4:5], s[4:5], s[8:9]
	s_or_b64 exec, exec, s[6:7]
	s_and_saveexec_b64 s[6:7], s[4:5]
	s_cbranch_execnz .LBB32_1815
	s_branch .LBB32_1816
.LBB32_3865:
	s_movk_i32 s4, 0x80
	v_cmp_eq_u16_sdwa s[12:13], v12, s4 src0_sel:BYTE_3 src1_sel:DWORD
	s_mov_b64 s[4:5], -1
                                        ; implicit-def: $sgpr10
	s_and_saveexec_b64 s[8:9], s[12:13]
; %bb.3866:
	s_mov_b32 s10, 0x7f800001
	s_xor_b64 s[4:5], exec, -1
; %bb.3867:
	s_or_b64 exec, exec, s[8:9]
	s_and_b64 s[4:5], s[4:5], exec
	s_or_saveexec_b64 s[6:7], s[6:7]
	v_mov_b32_e32 v18, s10
	s_xor_b64 exec, exec, s[6:7]
	s_cbranch_execz .LBB32_1818
.LBB32_3868:
	v_mov_b32_e32 v18, 0
	v_cmp_ne_u16_sdwa s[8:9], v12, v18 src0_sel:BYTE_3 src1_sel:DWORD
	s_andn2_b64 s[4:5], s[4:5], exec
	s_and_b64 s[8:9], s[8:9], exec
	s_or_b64 s[4:5], s[4:5], s[8:9]
	s_or_b64 exec, exec, s[6:7]
	s_and_saveexec_b64 s[6:7], s[4:5]
	s_cbranch_execnz .LBB32_1819
	s_branch .LBB32_1820
.LBB32_3869:
	s_movk_i32 s4, 0x80
	v_cmp_eq_u16_sdwa s[12:13], v8, s4 src0_sel:BYTE_3 src1_sel:DWORD
	s_mov_b64 s[4:5], -1
                                        ; implicit-def: $sgpr10
	s_and_saveexec_b64 s[8:9], s[12:13]
; %bb.3870:
	s_mov_b32 s10, 0x7f800001
	s_xor_b64 s[4:5], exec, -1
; %bb.3871:
	s_or_b64 exec, exec, s[8:9]
	s_and_b64 s[4:5], s[4:5], exec
	s_or_saveexec_b64 s[6:7], s[6:7]
	v_mov_b32_e32 v12, s10
	s_xor_b64 exec, exec, s[6:7]
	s_cbranch_execz .LBB32_1822
.LBB32_3872:
	v_mov_b32_e32 v12, 0
	v_cmp_ne_u16_sdwa s[8:9], v8, v12 src0_sel:BYTE_3 src1_sel:DWORD
	s_andn2_b64 s[4:5], s[4:5], exec
	s_and_b64 s[8:9], s[8:9], exec
	s_or_b64 s[4:5], s[4:5], s[8:9]
	s_or_b64 exec, exec, s[6:7]
	s_and_saveexec_b64 s[6:7], s[4:5]
	s_cbranch_execnz .LBB32_1823
	s_branch .LBB32_1824
.LBB32_3873:
	s_movk_i32 s4, 0x80
	v_cmp_eq_u16_sdwa s[12:13], v13, s4 src0_sel:BYTE_0 src1_sel:DWORD
	s_mov_b64 s[4:5], -1
                                        ; implicit-def: $sgpr10
	s_and_saveexec_b64 s[8:9], s[12:13]
; %bb.3874:
	s_mov_b32 s10, 0x7f800001
	s_xor_b64 s[4:5], exec, -1
; %bb.3875:
	s_or_b64 exec, exec, s[8:9]
	s_and_b64 s[4:5], s[4:5], exec
	s_or_saveexec_b64 s[6:7], s[6:7]
	v_mov_b32_e32 v8, s10
	s_xor_b64 exec, exec, s[6:7]
	s_cbranch_execz .LBB32_1826
.LBB32_3876:
	v_mov_b32_e32 v8, 0
	v_cmp_ne_u16_sdwa s[8:9], v13, v8 src0_sel:BYTE_0 src1_sel:DWORD
	s_andn2_b64 s[4:5], s[4:5], exec
	s_and_b64 s[8:9], s[8:9], exec
	s_or_b64 s[4:5], s[4:5], s[8:9]
	s_or_b64 exec, exec, s[6:7]
	s_and_saveexec_b64 s[6:7], s[4:5]
	s_cbranch_execnz .LBB32_1827
	s_branch .LBB32_1828
.LBB32_3877:
	s_movk_i32 s4, 0x80
	v_cmp_eq_u16_sdwa s[12:13], v9, s4 src0_sel:BYTE_0 src1_sel:DWORD
	s_mov_b64 s[4:5], -1
                                        ; implicit-def: $sgpr10
	s_and_saveexec_b64 s[8:9], s[12:13]
; %bb.3878:
	s_mov_b32 s10, 0x7f800001
	s_xor_b64 s[4:5], exec, -1
; %bb.3879:
	s_or_b64 exec, exec, s[8:9]
	s_and_b64 s[4:5], s[4:5], exec
	s_or_saveexec_b64 s[6:7], s[6:7]
	v_mov_b32_e32 v12, s10
	s_xor_b64 exec, exec, s[6:7]
	s_cbranch_execz .LBB32_1830
.LBB32_3880:
	v_mov_b32_e32 v12, 0
	v_cmp_ne_u16_sdwa s[8:9], v9, v12 src0_sel:BYTE_0 src1_sel:DWORD
	s_andn2_b64 s[4:5], s[4:5], exec
	s_and_b64 s[8:9], s[8:9], exec
	s_or_b64 s[4:5], s[4:5], s[8:9]
	s_or_b64 exec, exec, s[6:7]
	s_and_saveexec_b64 s[6:7], s[4:5]
	s_cbranch_execnz .LBB32_1831
	s_branch .LBB32_1832
.LBB32_3881:
	s_movk_i32 s4, 0x80
	v_cmp_eq_u16_sdwa s[12:13], v12, s4 src0_sel:BYTE_0 src1_sel:DWORD
	s_mov_b64 s[4:5], -1
                                        ; implicit-def: $sgpr10
	s_and_saveexec_b64 s[8:9], s[12:13]
; %bb.3882:
	s_mov_b32 s10, 0x7f800001
	s_xor_b64 s[4:5], exec, -1
; %bb.3883:
	s_or_b64 exec, exec, s[8:9]
	s_and_b64 s[4:5], s[4:5], exec
	s_or_saveexec_b64 s[6:7], s[6:7]
	v_mov_b32_e32 v8, s10
	s_xor_b64 exec, exec, s[6:7]
	s_cbranch_execz .LBB32_1834
.LBB32_3884:
	v_mov_b32_e32 v8, 0
	v_cmp_ne_u16_sdwa s[8:9], v12, v8 src0_sel:BYTE_0 src1_sel:DWORD
	s_andn2_b64 s[4:5], s[4:5], exec
	s_and_b64 s[8:9], s[8:9], exec
	s_or_b64 s[4:5], s[4:5], s[8:9]
	s_or_b64 exec, exec, s[6:7]
	s_and_saveexec_b64 s[6:7], s[4:5]
	s_cbranch_execnz .LBB32_1835
	s_branch .LBB32_1836
.LBB32_3885:
	s_movk_i32 s4, 0x80
	v_cmp_eq_u16_sdwa s[12:13], v12, s4 src0_sel:BYTE_0 src1_sel:DWORD
	s_mov_b64 s[4:5], -1
                                        ; implicit-def: $sgpr10
	s_and_saveexec_b64 s[8:9], s[12:13]
; %bb.3886:
	s_mov_b32 s10, 0x7f800001
	s_xor_b64 s[4:5], exec, -1
; %bb.3887:
	s_or_b64 exec, exec, s[8:9]
	s_and_b64 s[4:5], s[4:5], exec
	s_or_saveexec_b64 s[6:7], s[6:7]
	v_mov_b32_e32 v18, s10
	s_xor_b64 exec, exec, s[6:7]
	s_cbranch_execz .LBB32_1838
.LBB32_3888:
	v_mov_b32_e32 v18, 0
	v_cmp_ne_u16_sdwa s[8:9], v12, v18 src0_sel:BYTE_0 src1_sel:DWORD
	s_andn2_b64 s[4:5], s[4:5], exec
	s_and_b64 s[8:9], s[8:9], exec
	s_or_b64 s[4:5], s[4:5], s[8:9]
	s_or_b64 exec, exec, s[6:7]
	s_and_saveexec_b64 s[6:7], s[4:5]
	s_cbranch_execnz .LBB32_1839
	s_branch .LBB32_1840
.LBB32_3889:
	s_movk_i32 s4, 0x80
	v_cmp_eq_u16_e32 vcc, s4, v12
	s_mov_b64 s[4:5], -1
                                        ; implicit-def: $sgpr10
	s_and_saveexec_b64 s[8:9], vcc
; %bb.3890:
	s_mov_b32 s10, 0x7f800001
	s_xor_b64 s[4:5], exec, -1
; %bb.3891:
	s_or_b64 exec, exec, s[8:9]
	s_and_b64 s[4:5], s[4:5], exec
                                        ; implicit-def: $vgpr12
	s_or_saveexec_b64 s[6:7], s[6:7]
	v_mov_b32_e32 v8, s10
	s_xor_b64 exec, exec, s[6:7]
	s_cbranch_execz .LBB32_1842
.LBB32_3892:
	v_cmp_ne_u16_e32 vcc, 0, v12
	s_andn2_b64 s[4:5], s[4:5], exec
	s_and_b64 s[8:9], vcc, exec
	v_mov_b32_e32 v8, 0
	s_or_b64 s[4:5], s[4:5], s[8:9]
	s_or_b64 exec, exec, s[6:7]
	s_and_saveexec_b64 s[6:7], s[4:5]
	s_cbranch_execnz .LBB32_1843
	s_branch .LBB32_1844
.LBB32_3893:
	s_movk_i32 s4, 0x80
	v_cmp_eq_u16_e32 vcc, s4, v12
	s_mov_b64 s[4:5], -1
                                        ; implicit-def: $sgpr10
	s_and_saveexec_b64 s[8:9], vcc
; %bb.3894:
	s_mov_b32 s10, 0x7f800001
	s_xor_b64 s[4:5], exec, -1
; %bb.3895:
	s_or_b64 exec, exec, s[8:9]
	s_and_b64 s[4:5], s[4:5], exec
                                        ; implicit-def: $vgpr12
	s_or_saveexec_b64 s[6:7], s[6:7]
	v_mov_b32_e32 v18, s10
	s_xor_b64 exec, exec, s[6:7]
	s_cbranch_execz .LBB32_1846
.LBB32_3896:
	v_cmp_ne_u16_e32 vcc, 0, v12
	s_andn2_b64 s[4:5], s[4:5], exec
	s_and_b64 s[8:9], vcc, exec
	v_mov_b32_e32 v18, 0
	s_or_b64 s[4:5], s[4:5], s[8:9]
	s_or_b64 exec, exec, s[6:7]
	s_and_saveexec_b64 s[6:7], s[4:5]
	s_cbranch_execnz .LBB32_1847
	s_branch .LBB32_1848
.LBB32_3897:
	s_movk_i32 s4, 0x80
	v_cmp_eq_u16_sdwa s[12:13], v13, s4 src0_sel:BYTE_3 src1_sel:DWORD
	s_mov_b64 s[4:5], -1
                                        ; implicit-def: $sgpr10
	s_and_saveexec_b64 s[8:9], s[12:13]
; %bb.3898:
	s_mov_b32 s10, 0x7f800001
	s_xor_b64 s[4:5], exec, -1
; %bb.3899:
	s_or_b64 exec, exec, s[8:9]
	s_and_b64 s[4:5], s[4:5], exec
	s_or_saveexec_b64 s[6:7], s[6:7]
	v_mov_b32_e32 v8, s10
	s_xor_b64 exec, exec, s[6:7]
	s_cbranch_execz .LBB32_1850
.LBB32_3900:
	v_mov_b32_e32 v8, 0
	v_cmp_ne_u16_sdwa s[8:9], v13, v8 src0_sel:BYTE_3 src1_sel:DWORD
	s_andn2_b64 s[4:5], s[4:5], exec
	s_and_b64 s[8:9], s[8:9], exec
	s_or_b64 s[4:5], s[4:5], s[8:9]
	s_or_b64 exec, exec, s[6:7]
	s_and_saveexec_b64 s[6:7], s[4:5]
	s_cbranch_execnz .LBB32_1851
	s_branch .LBB32_1852
.LBB32_3901:
	s_movk_i32 s4, 0x80
	v_cmp_eq_u16_sdwa s[12:13], v9, s4 src0_sel:BYTE_3 src1_sel:DWORD
	s_mov_b64 s[4:5], -1
                                        ; implicit-def: $sgpr10
	s_and_saveexec_b64 s[8:9], s[12:13]
; %bb.3902:
	s_mov_b32 s10, 0x7f800001
	s_xor_b64 s[4:5], exec, -1
; %bb.3903:
	s_or_b64 exec, exec, s[8:9]
	s_and_b64 s[4:5], s[4:5], exec
	s_or_saveexec_b64 s[6:7], s[6:7]
	v_mov_b32_e32 v12, s10
	s_xor_b64 exec, exec, s[6:7]
	s_cbranch_execz .LBB32_1854
.LBB32_3904:
	v_mov_b32_e32 v12, 0
	v_cmp_ne_u16_sdwa s[8:9], v9, v12 src0_sel:BYTE_3 src1_sel:DWORD
	s_andn2_b64 s[4:5], s[4:5], exec
	s_and_b64 s[8:9], s[8:9], exec
	s_or_b64 s[4:5], s[4:5], s[8:9]
	s_or_b64 exec, exec, s[6:7]
	s_and_saveexec_b64 s[6:7], s[4:5]
	s_cbranch_execnz .LBB32_1855
	s_branch .LBB32_1856
.LBB32_3905:
	s_movk_i32 s4, 0x80
	v_cmp_eq_u16_sdwa s[12:13], v14, s4 src0_sel:BYTE_0 src1_sel:DWORD
	s_mov_b64 s[4:5], -1
                                        ; implicit-def: $sgpr10
	s_and_saveexec_b64 s[8:9], s[12:13]
; %bb.3906:
	s_mov_b32 s10, 0x7f800001
	s_xor_b64 s[4:5], exec, -1
; %bb.3907:
	s_or_b64 exec, exec, s[8:9]
	s_and_b64 s[4:5], s[4:5], exec
	s_or_saveexec_b64 s[6:7], s[6:7]
	v_mov_b32_e32 v8, s10
	s_xor_b64 exec, exec, s[6:7]
	s_cbranch_execz .LBB32_1858
.LBB32_3908:
	v_mov_b32_e32 v8, 0
	v_cmp_ne_u16_sdwa s[8:9], v14, v8 src0_sel:BYTE_0 src1_sel:DWORD
	s_andn2_b64 s[4:5], s[4:5], exec
	s_and_b64 s[8:9], s[8:9], exec
	s_or_b64 s[4:5], s[4:5], s[8:9]
	s_or_b64 exec, exec, s[6:7]
	s_and_saveexec_b64 s[6:7], s[4:5]
	s_cbranch_execnz .LBB32_1859
	s_branch .LBB32_1860
.LBB32_3909:
	s_movk_i32 s4, 0x80
	v_cmp_eq_u16_sdwa s[12:13], v10, s4 src0_sel:BYTE_0 src1_sel:DWORD
	s_mov_b64 s[4:5], -1
                                        ; implicit-def: $sgpr10
	s_and_saveexec_b64 s[8:9], s[12:13]
; %bb.3910:
	s_mov_b32 s10, 0x7f800001
	s_xor_b64 s[4:5], exec, -1
; %bb.3911:
	s_or_b64 exec, exec, s[8:9]
	s_and_b64 s[4:5], s[4:5], exec
	s_or_saveexec_b64 s[6:7], s[6:7]
	v_mov_b32_e32 v9, s10
	s_xor_b64 exec, exec, s[6:7]
	s_cbranch_execz .LBB32_1862
.LBB32_3912:
	v_mov_b32_e32 v9, 0
	v_cmp_ne_u16_sdwa s[8:9], v10, v9 src0_sel:BYTE_0 src1_sel:DWORD
	s_andn2_b64 s[4:5], s[4:5], exec
	s_and_b64 s[8:9], s[8:9], exec
	s_or_b64 s[4:5], s[4:5], s[8:9]
	s_or_b64 exec, exec, s[6:7]
	s_and_saveexec_b64 s[6:7], s[4:5]
	s_cbranch_execnz .LBB32_1863
	s_branch .LBB32_1864
.LBB32_3913:
	s_movk_i32 s4, 0x80
	v_cmp_eq_u16_sdwa s[12:13], v9, s4 src0_sel:BYTE_0 src1_sel:DWORD
	s_mov_b64 s[4:5], -1
                                        ; implicit-def: $sgpr10
	s_and_saveexec_b64 s[8:9], s[12:13]
; %bb.3914:
	s_mov_b32 s10, 0x7f800001
	s_xor_b64 s[4:5], exec, -1
; %bb.3915:
	s_or_b64 exec, exec, s[8:9]
	s_and_b64 s[4:5], s[4:5], exec
	s_or_saveexec_b64 s[6:7], s[6:7]
	v_mov_b32_e32 v8, s10
	s_xor_b64 exec, exec, s[6:7]
	s_cbranch_execz .LBB32_1866
.LBB32_3916:
	v_mov_b32_e32 v8, 0
	v_cmp_ne_u16_sdwa s[8:9], v9, v8 src0_sel:BYTE_0 src1_sel:DWORD
	s_andn2_b64 s[4:5], s[4:5], exec
	s_and_b64 s[8:9], s[8:9], exec
	s_or_b64 s[4:5], s[4:5], s[8:9]
	s_or_b64 exec, exec, s[6:7]
	s_and_saveexec_b64 s[6:7], s[4:5]
	s_cbranch_execnz .LBB32_1867
	s_branch .LBB32_1868
.LBB32_3917:
	s_movk_i32 s4, 0x80
	v_cmp_eq_u16_sdwa s[12:13], v9, s4 src0_sel:BYTE_0 src1_sel:DWORD
	s_mov_b64 s[4:5], -1
                                        ; implicit-def: $sgpr10
	s_and_saveexec_b64 s[8:9], s[12:13]
; %bb.3918:
	s_mov_b32 s10, 0x7f800001
	s_xor_b64 s[4:5], exec, -1
; %bb.3919:
	s_or_b64 exec, exec, s[8:9]
	s_and_b64 s[4:5], s[4:5], exec
	s_or_saveexec_b64 s[6:7], s[6:7]
	v_mov_b32_e32 v12, s10
	s_xor_b64 exec, exec, s[6:7]
	s_cbranch_execz .LBB32_1870
.LBB32_3920:
	v_mov_b32_e32 v12, 0
	v_cmp_ne_u16_sdwa s[8:9], v9, v12 src0_sel:BYTE_0 src1_sel:DWORD
	s_andn2_b64 s[4:5], s[4:5], exec
	s_and_b64 s[8:9], s[8:9], exec
	s_or_b64 s[4:5], s[4:5], s[8:9]
	s_or_b64 exec, exec, s[6:7]
	s_and_saveexec_b64 s[6:7], s[4:5]
	s_cbranch_execnz .LBB32_1871
	s_branch .LBB32_1872
.LBB32_3921:
	s_movk_i32 s4, 0x80
	v_cmp_eq_u16_e32 vcc, s4, v9
	s_mov_b64 s[4:5], -1
                                        ; implicit-def: $sgpr10
	s_and_saveexec_b64 s[8:9], vcc
; %bb.3922:
	s_mov_b32 s10, 0x7f800001
	s_xor_b64 s[4:5], exec, -1
; %bb.3923:
	s_or_b64 exec, exec, s[8:9]
	s_and_b64 s[4:5], s[4:5], exec
                                        ; implicit-def: $vgpr9
	s_or_saveexec_b64 s[6:7], s[6:7]
	v_mov_b32_e32 v8, s10
	s_xor_b64 exec, exec, s[6:7]
	s_cbranch_execz .LBB32_1874
.LBB32_3924:
	v_cmp_ne_u16_e32 vcc, 0, v9
	s_andn2_b64 s[4:5], s[4:5], exec
	s_and_b64 s[8:9], vcc, exec
	v_mov_b32_e32 v8, 0
	s_or_b64 s[4:5], s[4:5], s[8:9]
	s_or_b64 exec, exec, s[6:7]
	s_and_saveexec_b64 s[6:7], s[4:5]
	s_cbranch_execnz .LBB32_1875
	s_branch .LBB32_1876
.LBB32_3925:
	s_movk_i32 s4, 0x80
	v_cmp_eq_u16_e32 vcc, s4, v9
	s_mov_b64 s[4:5], -1
                                        ; implicit-def: $sgpr10
	s_and_saveexec_b64 s[8:9], vcc
; %bb.3926:
	s_mov_b32 s10, 0x7f800001
	s_xor_b64 s[4:5], exec, -1
; %bb.3927:
	s_or_b64 exec, exec, s[8:9]
	s_and_b64 s[4:5], s[4:5], exec
                                        ; implicit-def: $vgpr9
	s_or_saveexec_b64 s[6:7], s[6:7]
	v_mov_b32_e32 v12, s10
	s_xor_b64 exec, exec, s[6:7]
	s_cbranch_execz .LBB32_1878
.LBB32_3928:
	v_cmp_ne_u16_e32 vcc, 0, v9
	s_andn2_b64 s[4:5], s[4:5], exec
	s_and_b64 s[8:9], vcc, exec
	v_mov_b32_e32 v12, 0
	s_or_b64 s[4:5], s[4:5], s[8:9]
	s_or_b64 exec, exec, s[6:7]
	s_and_saveexec_b64 s[6:7], s[4:5]
	s_cbranch_execnz .LBB32_1879
	s_branch .LBB32_1880
.LBB32_3929:
	s_movk_i32 s4, 0x80
	v_cmp_eq_u16_sdwa s[12:13], v14, s4 src0_sel:BYTE_3 src1_sel:DWORD
	s_mov_b64 s[4:5], -1
                                        ; implicit-def: $sgpr10
	s_and_saveexec_b64 s[8:9], s[12:13]
; %bb.3930:
	s_mov_b32 s10, 0x7f800001
	s_xor_b64 s[4:5], exec, -1
; %bb.3931:
	s_or_b64 exec, exec, s[8:9]
	s_and_b64 s[4:5], s[4:5], exec
	s_or_saveexec_b64 s[6:7], s[6:7]
	v_mov_b32_e32 v8, s10
	s_xor_b64 exec, exec, s[6:7]
	s_cbranch_execz .LBB32_1882
.LBB32_3932:
	v_mov_b32_e32 v8, 0
	v_cmp_ne_u16_sdwa s[8:9], v14, v8 src0_sel:BYTE_3 src1_sel:DWORD
	s_andn2_b64 s[4:5], s[4:5], exec
	s_and_b64 s[8:9], s[8:9], exec
	s_or_b64 s[4:5], s[4:5], s[8:9]
	s_or_b64 exec, exec, s[6:7]
	s_and_saveexec_b64 s[6:7], s[4:5]
	s_cbranch_execnz .LBB32_1883
	s_branch .LBB32_1884
.LBB32_3933:
	s_movk_i32 s4, 0x80
	v_cmp_eq_u16_sdwa s[12:13], v10, s4 src0_sel:BYTE_3 src1_sel:DWORD
	s_mov_b64 s[4:5], -1
                                        ; implicit-def: $sgpr10
	s_and_saveexec_b64 s[8:9], s[12:13]
; %bb.3934:
	s_mov_b32 s10, 0x7f800001
	s_xor_b64 s[4:5], exec, -1
; %bb.3935:
	s_or_b64 exec, exec, s[8:9]
	s_and_b64 s[4:5], s[4:5], exec
	s_or_saveexec_b64 s[6:7], s[6:7]
	v_mov_b32_e32 v9, s10
	s_xor_b64 exec, exec, s[6:7]
	s_cbranch_execz .LBB32_1886
.LBB32_3936:
	v_mov_b32_e32 v9, 0
	v_cmp_ne_u16_sdwa s[8:9], v10, v9 src0_sel:BYTE_3 src1_sel:DWORD
	s_andn2_b64 s[4:5], s[4:5], exec
	s_and_b64 s[8:9], s[8:9], exec
	s_or_b64 s[4:5], s[4:5], s[8:9]
	s_or_b64 exec, exec, s[6:7]
	s_and_saveexec_b64 s[6:7], s[4:5]
	s_cbranch_execnz .LBB32_1887
	s_branch .LBB32_1888
.LBB32_3937:
	s_movk_i32 s4, 0x80
	v_cmp_eq_u16_sdwa s[12:13], v15, s4 src0_sel:BYTE_0 src1_sel:DWORD
	s_mov_b64 s[4:5], -1
                                        ; implicit-def: $sgpr10
	s_and_saveexec_b64 s[8:9], s[12:13]
; %bb.3938:
	s_mov_b32 s10, 0x7f800001
	s_xor_b64 s[4:5], exec, -1
; %bb.3939:
	s_or_b64 exec, exec, s[8:9]
	s_and_b64 s[4:5], s[4:5], exec
	s_or_saveexec_b64 s[6:7], s[6:7]
	v_mov_b32_e32 v8, s10
	s_xor_b64 exec, exec, s[6:7]
	s_cbranch_execz .LBB32_1890
.LBB32_3940:
	v_mov_b32_e32 v8, 0
	v_cmp_ne_u16_sdwa s[8:9], v15, v8 src0_sel:BYTE_0 src1_sel:DWORD
	s_andn2_b64 s[4:5], s[4:5], exec
	s_and_b64 s[8:9], s[8:9], exec
	s_or_b64 s[4:5], s[4:5], s[8:9]
	s_or_b64 exec, exec, s[6:7]
	s_and_saveexec_b64 s[6:7], s[4:5]
	s_cbranch_execnz .LBB32_1891
	s_branch .LBB32_1892
.LBB32_3941:
	s_movk_i32 s4, 0x80
	v_cmp_eq_u16_sdwa s[12:13], v11, s4 src0_sel:BYTE_0 src1_sel:DWORD
	s_mov_b64 s[4:5], -1
                                        ; implicit-def: $sgpr10
	s_and_saveexec_b64 s[8:9], s[12:13]
; %bb.3942:
	s_mov_b32 s10, 0x7f800001
	s_xor_b64 s[4:5], exec, -1
; %bb.3943:
	s_or_b64 exec, exec, s[8:9]
	s_and_b64 s[4:5], s[4:5], exec
	s_or_saveexec_b64 s[6:7], s[6:7]
	v_mov_b32_e32 v9, s10
	s_xor_b64 exec, exec, s[6:7]
	s_cbranch_execz .LBB32_1894
.LBB32_3944:
	v_mov_b32_e32 v9, 0
	v_cmp_ne_u16_sdwa s[8:9], v11, v9 src0_sel:BYTE_0 src1_sel:DWORD
	s_andn2_b64 s[4:5], s[4:5], exec
	s_and_b64 s[8:9], s[8:9], exec
	s_or_b64 s[4:5], s[4:5], s[8:9]
	s_or_b64 exec, exec, s[6:7]
	s_and_saveexec_b64 s[6:7], s[4:5]
	s_cbranch_execnz .LBB32_1895
	s_branch .LBB32_1896
.LBB32_3945:
	s_movk_i32 s4, 0x80
	v_cmp_eq_u16_sdwa s[12:13], v9, s4 src0_sel:BYTE_0 src1_sel:DWORD
	s_mov_b64 s[4:5], -1
                                        ; implicit-def: $sgpr10
	s_and_saveexec_b64 s[8:9], s[12:13]
; %bb.3946:
	s_mov_b32 s10, 0x7f800001
	s_xor_b64 s[4:5], exec, -1
; %bb.3947:
	s_or_b64 exec, exec, s[8:9]
	s_and_b64 s[4:5], s[4:5], exec
	s_or_saveexec_b64 s[6:7], s[6:7]
	v_mov_b32_e32 v8, s10
	s_xor_b64 exec, exec, s[6:7]
	s_cbranch_execz .LBB32_1898
.LBB32_3948:
	v_mov_b32_e32 v8, 0
	v_cmp_ne_u16_sdwa s[8:9], v9, v8 src0_sel:BYTE_0 src1_sel:DWORD
	s_andn2_b64 s[4:5], s[4:5], exec
	s_and_b64 s[8:9], s[8:9], exec
	s_or_b64 s[4:5], s[4:5], s[8:9]
	s_or_b64 exec, exec, s[6:7]
	s_and_saveexec_b64 s[6:7], s[4:5]
	s_cbranch_execnz .LBB32_1899
	s_branch .LBB32_1900
.LBB32_3949:
	s_movk_i32 s4, 0x80
	v_cmp_eq_u16_sdwa s[12:13], v9, s4 src0_sel:BYTE_0 src1_sel:DWORD
	s_mov_b64 s[4:5], -1
                                        ; implicit-def: $sgpr10
	s_and_saveexec_b64 s[8:9], s[12:13]
; %bb.3950:
	s_mov_b32 s10, 0x7f800001
	s_xor_b64 s[4:5], exec, -1
; %bb.3951:
	s_or_b64 exec, exec, s[8:9]
	s_and_b64 s[4:5], s[4:5], exec
	s_or_saveexec_b64 s[6:7], s[6:7]
	v_mov_b32_e32 v10, s10
	s_xor_b64 exec, exec, s[6:7]
	s_cbranch_execz .LBB32_1902
.LBB32_3952:
	v_mov_b32_e32 v10, 0
	v_cmp_ne_u16_sdwa s[8:9], v9, v10 src0_sel:BYTE_0 src1_sel:DWORD
	s_andn2_b64 s[4:5], s[4:5], exec
	s_and_b64 s[8:9], s[8:9], exec
	s_or_b64 s[4:5], s[4:5], s[8:9]
	s_or_b64 exec, exec, s[6:7]
	s_and_saveexec_b64 s[6:7], s[4:5]
	s_cbranch_execnz .LBB32_1903
	s_branch .LBB32_1904
.LBB32_3953:
	s_movk_i32 s4, 0x80
	v_cmp_eq_u16_e32 vcc, s4, v9
	s_mov_b64 s[4:5], -1
                                        ; implicit-def: $sgpr10
	s_and_saveexec_b64 s[8:9], vcc
; %bb.3954:
	s_mov_b32 s10, 0x7f800001
	s_xor_b64 s[4:5], exec, -1
; %bb.3955:
	s_or_b64 exec, exec, s[8:9]
	s_and_b64 s[4:5], s[4:5], exec
                                        ; implicit-def: $vgpr9
	s_or_saveexec_b64 s[6:7], s[6:7]
	v_mov_b32_e32 v8, s10
	s_xor_b64 exec, exec, s[6:7]
	s_cbranch_execz .LBB32_1906
.LBB32_3956:
	v_cmp_ne_u16_e32 vcc, 0, v9
	s_andn2_b64 s[4:5], s[4:5], exec
	s_and_b64 s[8:9], vcc, exec
	v_mov_b32_e32 v8, 0
	s_or_b64 s[4:5], s[4:5], s[8:9]
	s_or_b64 exec, exec, s[6:7]
	s_and_saveexec_b64 s[6:7], s[4:5]
	s_cbranch_execnz .LBB32_1907
	s_branch .LBB32_1908
.LBB32_3957:
	s_movk_i32 s4, 0x80
	v_cmp_eq_u16_e32 vcc, s4, v9
	s_mov_b64 s[4:5], -1
                                        ; implicit-def: $sgpr10
	s_and_saveexec_b64 s[8:9], vcc
; %bb.3958:
	s_mov_b32 s10, 0x7f800001
	s_xor_b64 s[4:5], exec, -1
; %bb.3959:
	s_or_b64 exec, exec, s[8:9]
	s_and_b64 s[4:5], s[4:5], exec
                                        ; implicit-def: $vgpr9
	s_or_saveexec_b64 s[6:7], s[6:7]
	v_mov_b32_e32 v10, s10
	s_xor_b64 exec, exec, s[6:7]
	s_cbranch_execz .LBB32_1910
.LBB32_3960:
	v_cmp_ne_u16_e32 vcc, 0, v9
	s_andn2_b64 s[4:5], s[4:5], exec
	s_and_b64 s[8:9], vcc, exec
	v_mov_b32_e32 v10, 0
	s_or_b64 s[4:5], s[4:5], s[8:9]
	s_or_b64 exec, exec, s[6:7]
	s_and_saveexec_b64 s[6:7], s[4:5]
	s_cbranch_execnz .LBB32_1911
	s_branch .LBB32_1912
.LBB32_3961:
	s_movk_i32 s4, 0x80
	v_cmp_eq_u16_sdwa s[12:13], v15, s4 src0_sel:BYTE_3 src1_sel:DWORD
	s_mov_b64 s[4:5], -1
                                        ; implicit-def: $sgpr10
	s_and_saveexec_b64 s[8:9], s[12:13]
; %bb.3962:
	s_mov_b32 s10, 0x7f800001
	s_xor_b64 s[4:5], exec, -1
; %bb.3963:
	s_or_b64 exec, exec, s[8:9]
	s_and_b64 s[4:5], s[4:5], exec
	s_or_saveexec_b64 s[6:7], s[6:7]
	v_mov_b32_e32 v8, s10
	s_xor_b64 exec, exec, s[6:7]
	s_cbranch_execz .LBB32_1914
.LBB32_3964:
	v_mov_b32_e32 v8, 0
	v_cmp_ne_u16_sdwa s[8:9], v15, v8 src0_sel:BYTE_3 src1_sel:DWORD
	s_andn2_b64 s[4:5], s[4:5], exec
	s_and_b64 s[8:9], s[8:9], exec
	s_or_b64 s[4:5], s[4:5], s[8:9]
	s_or_b64 exec, exec, s[6:7]
	s_and_saveexec_b64 s[6:7], s[4:5]
	s_cbranch_execnz .LBB32_1915
	s_branch .LBB32_1916
.LBB32_3965:
	s_movk_i32 s4, 0x80
	v_cmp_eq_u16_sdwa s[12:13], v11, s4 src0_sel:BYTE_3 src1_sel:DWORD
	s_mov_b64 s[4:5], -1
                                        ; implicit-def: $sgpr10
	s_and_saveexec_b64 s[8:9], s[12:13]
; %bb.3966:
	s_mov_b32 s10, 0x7f800001
	s_xor_b64 s[4:5], exec, -1
; %bb.3967:
	s_or_b64 exec, exec, s[8:9]
	s_and_b64 s[4:5], s[4:5], exec
	s_or_saveexec_b64 s[6:7], s[6:7]
	v_mov_b32_e32 v9, s10
	s_xor_b64 exec, exec, s[6:7]
	s_cbranch_execz .LBB32_1918
.LBB32_3968:
	v_mov_b32_e32 v9, 0
	v_cmp_ne_u16_sdwa s[8:9], v11, v9 src0_sel:BYTE_3 src1_sel:DWORD
	s_andn2_b64 s[4:5], s[4:5], exec
	s_and_b64 s[8:9], s[8:9], exec
	s_or_b64 s[4:5], s[4:5], s[8:9]
	s_or_b64 exec, exec, s[6:7]
	s_and_saveexec_b64 s[6:7], s[4:5]
	s_cbranch_execnz .LBB32_1919
	s_branch .LBB32_1920
.LBB32_3969:
	s_movk_i32 s4, 0x80
	v_cmp_eq_u16_sdwa s[12:13], v4, s4 src0_sel:BYTE_0 src1_sel:DWORD
	s_mov_b64 s[4:5], -1
                                        ; implicit-def: $sgpr10
	s_and_saveexec_b64 s[8:9], s[12:13]
; %bb.3970:
	s_mov_b32 s10, 0x7f800001
	s_xor_b64 s[4:5], exec, -1
; %bb.3971:
	s_or_b64 exec, exec, s[8:9]
	s_and_b64 s[4:5], s[4:5], exec
	s_or_saveexec_b64 s[6:7], s[6:7]
	v_mov_b32_e32 v8, s10
	s_xor_b64 exec, exec, s[6:7]
	s_cbranch_execz .LBB32_1922
.LBB32_3972:
	v_mov_b32_e32 v8, 0
	v_cmp_ne_u16_sdwa s[8:9], v4, v8 src0_sel:BYTE_0 src1_sel:DWORD
	s_andn2_b64 s[4:5], s[4:5], exec
	s_and_b64 s[8:9], s[8:9], exec
	s_or_b64 s[4:5], s[4:5], s[8:9]
	s_or_b64 exec, exec, s[6:7]
	s_and_saveexec_b64 s[6:7], s[4:5]
	s_cbranch_execnz .LBB32_1923
	s_branch .LBB32_1924
.LBB32_3973:
	s_movk_i32 s4, 0x80
	v_cmp_eq_u16_sdwa s[12:13], v0, s4 src0_sel:BYTE_0 src1_sel:DWORD
	s_mov_b64 s[4:5], -1
                                        ; implicit-def: $sgpr10
	s_and_saveexec_b64 s[8:9], s[12:13]
; %bb.3974:
	s_mov_b32 s10, 0x7f800001
	s_xor_b64 s[4:5], exec, -1
; %bb.3975:
	s_or_b64 exec, exec, s[8:9]
	s_and_b64 s[4:5], s[4:5], exec
	s_or_saveexec_b64 s[6:7], s[6:7]
	v_mov_b32_e32 v9, s10
	s_xor_b64 exec, exec, s[6:7]
	s_cbranch_execz .LBB32_1926
.LBB32_3976:
	v_mov_b32_e32 v9, 0
	v_cmp_ne_u16_sdwa s[8:9], v0, v9 src0_sel:BYTE_0 src1_sel:DWORD
	s_andn2_b64 s[4:5], s[4:5], exec
	s_and_b64 s[8:9], s[8:9], exec
	s_or_b64 s[4:5], s[4:5], s[8:9]
	s_or_b64 exec, exec, s[6:7]
	s_and_saveexec_b64 s[6:7], s[4:5]
	s_cbranch_execnz .LBB32_1927
	s_branch .LBB32_1928
.LBB32_3977:
	s_movk_i32 s4, 0x80
	v_cmp_eq_u16_sdwa s[12:13], v9, s4 src0_sel:BYTE_0 src1_sel:DWORD
	s_mov_b64 s[4:5], -1
                                        ; implicit-def: $sgpr10
	s_and_saveexec_b64 s[8:9], s[12:13]
; %bb.3978:
	s_mov_b32 s10, 0x7f800001
	s_xor_b64 s[4:5], exec, -1
; %bb.3979:
	s_or_b64 exec, exec, s[8:9]
	s_and_b64 s[4:5], s[4:5], exec
	s_or_saveexec_b64 s[6:7], s[6:7]
	v_mov_b32_e32 v8, s10
	s_xor_b64 exec, exec, s[6:7]
	s_cbranch_execz .LBB32_1930
.LBB32_3980:
	v_mov_b32_e32 v8, 0
	v_cmp_ne_u16_sdwa s[8:9], v9, v8 src0_sel:BYTE_0 src1_sel:DWORD
	s_andn2_b64 s[4:5], s[4:5], exec
	s_and_b64 s[8:9], s[8:9], exec
	s_or_b64 s[4:5], s[4:5], s[8:9]
	s_or_b64 exec, exec, s[6:7]
	s_and_saveexec_b64 s[6:7], s[4:5]
	s_cbranch_execnz .LBB32_1931
	s_branch .LBB32_1932
.LBB32_3981:
	s_movk_i32 s4, 0x80
	v_cmp_eq_u16_sdwa s[12:13], v9, s4 src0_sel:BYTE_0 src1_sel:DWORD
	s_mov_b64 s[4:5], -1
                                        ; implicit-def: $sgpr10
	s_and_saveexec_b64 s[8:9], s[12:13]
; %bb.3982:
	s_mov_b32 s10, 0x7f800001
	s_xor_b64 s[4:5], exec, -1
; %bb.3983:
	s_or_b64 exec, exec, s[8:9]
	s_and_b64 s[4:5], s[4:5], exec
	s_or_saveexec_b64 s[6:7], s[6:7]
	v_mov_b32_e32 v10, s10
	s_xor_b64 exec, exec, s[6:7]
	s_cbranch_execz .LBB32_1934
.LBB32_3984:
	v_mov_b32_e32 v10, 0
	v_cmp_ne_u16_sdwa s[8:9], v9, v10 src0_sel:BYTE_0 src1_sel:DWORD
	s_andn2_b64 s[4:5], s[4:5], exec
	s_and_b64 s[8:9], s[8:9], exec
	s_or_b64 s[4:5], s[4:5], s[8:9]
	s_or_b64 exec, exec, s[6:7]
	s_and_saveexec_b64 s[6:7], s[4:5]
	s_cbranch_execnz .LBB32_1935
	s_branch .LBB32_1936
.LBB32_3985:
	s_movk_i32 s4, 0x80
	v_cmp_eq_u16_e32 vcc, s4, v9
	s_mov_b64 s[4:5], -1
                                        ; implicit-def: $sgpr10
	s_and_saveexec_b64 s[8:9], vcc
; %bb.3986:
	s_mov_b32 s10, 0x7f800001
	s_xor_b64 s[4:5], exec, -1
; %bb.3987:
	s_or_b64 exec, exec, s[8:9]
	s_and_b64 s[4:5], s[4:5], exec
                                        ; implicit-def: $vgpr9
	s_or_saveexec_b64 s[6:7], s[6:7]
	v_mov_b32_e32 v8, s10
	s_xor_b64 exec, exec, s[6:7]
	s_cbranch_execz .LBB32_1938
.LBB32_3988:
	v_cmp_ne_u16_e32 vcc, 0, v9
	s_andn2_b64 s[4:5], s[4:5], exec
	s_and_b64 s[8:9], vcc, exec
	v_mov_b32_e32 v8, 0
	s_or_b64 s[4:5], s[4:5], s[8:9]
	s_or_b64 exec, exec, s[6:7]
	s_and_saveexec_b64 s[6:7], s[4:5]
	s_cbranch_execnz .LBB32_1939
	s_branch .LBB32_1940
.LBB32_3989:
	s_movk_i32 s4, 0x80
	v_cmp_eq_u16_e32 vcc, s4, v9
	s_mov_b64 s[4:5], -1
                                        ; implicit-def: $sgpr10
	s_and_saveexec_b64 s[8:9], vcc
; %bb.3990:
	s_mov_b32 s10, 0x7f800001
	s_xor_b64 s[4:5], exec, -1
; %bb.3991:
	s_or_b64 exec, exec, s[8:9]
	s_and_b64 s[4:5], s[4:5], exec
                                        ; implicit-def: $vgpr9
	s_or_saveexec_b64 s[6:7], s[6:7]
	v_mov_b32_e32 v10, s10
	s_xor_b64 exec, exec, s[6:7]
	s_cbranch_execz .LBB32_1942
.LBB32_3992:
	v_cmp_ne_u16_e32 vcc, 0, v9
	s_andn2_b64 s[4:5], s[4:5], exec
	s_and_b64 s[8:9], vcc, exec
	v_mov_b32_e32 v10, 0
	s_or_b64 s[4:5], s[4:5], s[8:9]
	s_or_b64 exec, exec, s[6:7]
	s_and_saveexec_b64 s[6:7], s[4:5]
	s_cbranch_execnz .LBB32_1943
	s_branch .LBB32_1944
.LBB32_3993:
	s_movk_i32 s4, 0x80
	v_cmp_eq_u16_sdwa s[12:13], v4, s4 src0_sel:BYTE_3 src1_sel:DWORD
	s_mov_b64 s[4:5], -1
                                        ; implicit-def: $sgpr10
	s_and_saveexec_b64 s[8:9], s[12:13]
; %bb.3994:
	s_mov_b32 s10, 0x7f800001
	s_xor_b64 s[4:5], exec, -1
; %bb.3995:
	s_or_b64 exec, exec, s[8:9]
	s_and_b64 s[4:5], s[4:5], exec
	s_or_saveexec_b64 s[6:7], s[6:7]
	v_mov_b32_e32 v8, s10
	s_xor_b64 exec, exec, s[6:7]
	s_cbranch_execz .LBB32_1946
.LBB32_3996:
	v_mov_b32_e32 v8, 0
	v_cmp_ne_u16_sdwa s[8:9], v4, v8 src0_sel:BYTE_3 src1_sel:DWORD
	s_andn2_b64 s[4:5], s[4:5], exec
	s_and_b64 s[8:9], s[8:9], exec
	s_or_b64 s[4:5], s[4:5], s[8:9]
	s_or_b64 exec, exec, s[6:7]
	s_and_saveexec_b64 s[6:7], s[4:5]
	s_cbranch_execnz .LBB32_1947
	s_branch .LBB32_1948
.LBB32_3997:
	s_movk_i32 s4, 0x80
	v_cmp_eq_u16_sdwa s[12:13], v0, s4 src0_sel:BYTE_3 src1_sel:DWORD
	s_mov_b64 s[4:5], -1
                                        ; implicit-def: $sgpr10
	s_and_saveexec_b64 s[8:9], s[12:13]
; %bb.3998:
	s_mov_b32 s10, 0x7f800001
	s_xor_b64 s[4:5], exec, -1
; %bb.3999:
	s_or_b64 exec, exec, s[8:9]
	s_and_b64 s[4:5], s[4:5], exec
	s_or_saveexec_b64 s[6:7], s[6:7]
	v_mov_b32_e32 v4, s10
	s_xor_b64 exec, exec, s[6:7]
	s_cbranch_execz .LBB32_1950
.LBB32_4000:
	v_mov_b32_e32 v4, 0
	v_cmp_ne_u16_sdwa s[8:9], v0, v4 src0_sel:BYTE_3 src1_sel:DWORD
	s_andn2_b64 s[4:5], s[4:5], exec
	s_and_b64 s[8:9], s[8:9], exec
	s_or_b64 s[4:5], s[4:5], s[8:9]
	s_or_b64 exec, exec, s[6:7]
	s_and_saveexec_b64 s[6:7], s[4:5]
	s_cbranch_execnz .LBB32_1951
	s_branch .LBB32_1952
.LBB32_4001:
	s_movk_i32 s4, 0x80
	v_cmp_eq_u16_sdwa s[12:13], v5, s4 src0_sel:BYTE_0 src1_sel:DWORD
	s_mov_b64 s[4:5], -1
                                        ; implicit-def: $sgpr10
	s_and_saveexec_b64 s[8:9], s[12:13]
; %bb.4002:
	s_mov_b32 s10, 0x7f800001
	s_xor_b64 s[4:5], exec, -1
; %bb.4003:
	s_or_b64 exec, exec, s[8:9]
	s_and_b64 s[4:5], s[4:5], exec
	s_or_saveexec_b64 s[6:7], s[6:7]
	v_mov_b32_e32 v0, s10
	s_xor_b64 exec, exec, s[6:7]
	s_cbranch_execz .LBB32_1954
.LBB32_4004:
	v_mov_b32_e32 v0, 0
	v_cmp_ne_u16_sdwa s[8:9], v5, v0 src0_sel:BYTE_0 src1_sel:DWORD
	s_andn2_b64 s[4:5], s[4:5], exec
	s_and_b64 s[8:9], s[8:9], exec
	s_or_b64 s[4:5], s[4:5], s[8:9]
	s_or_b64 exec, exec, s[6:7]
	s_and_saveexec_b64 s[6:7], s[4:5]
	s_cbranch_execnz .LBB32_1955
	s_branch .LBB32_1956
.LBB32_4005:
	s_movk_i32 s4, 0x80
	v_cmp_eq_u16_sdwa s[12:13], v1, s4 src0_sel:BYTE_0 src1_sel:DWORD
	s_mov_b64 s[4:5], -1
                                        ; implicit-def: $sgpr10
	s_and_saveexec_b64 s[8:9], s[12:13]
; %bb.4006:
	s_mov_b32 s10, 0x7f800001
	s_xor_b64 s[4:5], exec, -1
; %bb.4007:
	s_or_b64 exec, exec, s[8:9]
	s_and_b64 s[4:5], s[4:5], exec
	s_or_saveexec_b64 s[6:7], s[6:7]
	v_mov_b32_e32 v4, s10
	s_xor_b64 exec, exec, s[6:7]
	s_cbranch_execz .LBB32_1958
.LBB32_4008:
	v_mov_b32_e32 v4, 0
	v_cmp_ne_u16_sdwa s[8:9], v1, v4 src0_sel:BYTE_0 src1_sel:DWORD
	s_andn2_b64 s[4:5], s[4:5], exec
	s_and_b64 s[8:9], s[8:9], exec
	s_or_b64 s[4:5], s[4:5], s[8:9]
	s_or_b64 exec, exec, s[6:7]
	s_and_saveexec_b64 s[6:7], s[4:5]
	s_cbranch_execnz .LBB32_1959
	s_branch .LBB32_1960
.LBB32_4009:
	s_movk_i32 s4, 0x80
	v_cmp_eq_u16_sdwa s[12:13], v4, s4 src0_sel:BYTE_0 src1_sel:DWORD
	s_mov_b64 s[4:5], -1
                                        ; implicit-def: $sgpr10
	s_and_saveexec_b64 s[8:9], s[12:13]
; %bb.4010:
	s_mov_b32 s10, 0x7f800001
	s_xor_b64 s[4:5], exec, -1
; %bb.4011:
	s_or_b64 exec, exec, s[8:9]
	s_and_b64 s[4:5], s[4:5], exec
	s_or_saveexec_b64 s[6:7], s[6:7]
	v_mov_b32_e32 v0, s10
	s_xor_b64 exec, exec, s[6:7]
	s_cbranch_execz .LBB32_1962
.LBB32_4012:
	v_mov_b32_e32 v0, 0
	v_cmp_ne_u16_sdwa s[8:9], v4, v0 src0_sel:BYTE_0 src1_sel:DWORD
	s_andn2_b64 s[4:5], s[4:5], exec
	s_and_b64 s[8:9], s[8:9], exec
	s_or_b64 s[4:5], s[4:5], s[8:9]
	s_or_b64 exec, exec, s[6:7]
	s_and_saveexec_b64 s[6:7], s[4:5]
	s_cbranch_execnz .LBB32_1963
	s_branch .LBB32_1964
.LBB32_4013:
	s_movk_i32 s4, 0x80
	v_cmp_eq_u16_sdwa s[12:13], v4, s4 src0_sel:BYTE_0 src1_sel:DWORD
	s_mov_b64 s[4:5], -1
                                        ; implicit-def: $sgpr10
	s_and_saveexec_b64 s[8:9], s[12:13]
; %bb.4014:
	s_mov_b32 s10, 0x7f800001
	s_xor_b64 s[4:5], exec, -1
; %bb.4015:
	s_or_b64 exec, exec, s[8:9]
	s_and_b64 s[4:5], s[4:5], exec
	s_or_saveexec_b64 s[6:7], s[6:7]
	v_mov_b32_e32 v8, s10
	s_xor_b64 exec, exec, s[6:7]
	s_cbranch_execz .LBB32_1966
.LBB32_4016:
	v_mov_b32_e32 v8, 0
	v_cmp_ne_u16_sdwa s[8:9], v4, v8 src0_sel:BYTE_0 src1_sel:DWORD
	s_andn2_b64 s[4:5], s[4:5], exec
	s_and_b64 s[8:9], s[8:9], exec
	s_or_b64 s[4:5], s[4:5], s[8:9]
	s_or_b64 exec, exec, s[6:7]
	s_and_saveexec_b64 s[6:7], s[4:5]
	s_cbranch_execnz .LBB32_1967
	s_branch .LBB32_1968
.LBB32_4017:
	s_movk_i32 s4, 0x80
	v_cmp_eq_u16_e32 vcc, s4, v4
	s_mov_b64 s[4:5], -1
                                        ; implicit-def: $sgpr10
	s_and_saveexec_b64 s[8:9], vcc
; %bb.4018:
	s_mov_b32 s10, 0x7f800001
	s_xor_b64 s[4:5], exec, -1
; %bb.4019:
	s_or_b64 exec, exec, s[8:9]
	s_and_b64 s[4:5], s[4:5], exec
                                        ; implicit-def: $vgpr4
	s_or_saveexec_b64 s[6:7], s[6:7]
	v_mov_b32_e32 v0, s10
	s_xor_b64 exec, exec, s[6:7]
	s_cbranch_execz .LBB32_1970
.LBB32_4020:
	v_cmp_ne_u16_e32 vcc, 0, v4
	s_andn2_b64 s[4:5], s[4:5], exec
	s_and_b64 s[8:9], vcc, exec
	v_mov_b32_e32 v0, 0
	s_or_b64 s[4:5], s[4:5], s[8:9]
	s_or_b64 exec, exec, s[6:7]
	s_and_saveexec_b64 s[6:7], s[4:5]
	s_cbranch_execnz .LBB32_1971
	s_branch .LBB32_1972
.LBB32_4021:
	s_movk_i32 s4, 0x80
	v_cmp_eq_u16_e32 vcc, s4, v4
	s_mov_b64 s[4:5], -1
                                        ; implicit-def: $sgpr10
	s_and_saveexec_b64 s[8:9], vcc
; %bb.4022:
	s_mov_b32 s10, 0x7f800001
	s_xor_b64 s[4:5], exec, -1
; %bb.4023:
	s_or_b64 exec, exec, s[8:9]
	s_and_b64 s[4:5], s[4:5], exec
                                        ; implicit-def: $vgpr4
	s_or_saveexec_b64 s[6:7], s[6:7]
	v_mov_b32_e32 v8, s10
	s_xor_b64 exec, exec, s[6:7]
	s_cbranch_execz .LBB32_1974
.LBB32_4024:
	v_cmp_ne_u16_e32 vcc, 0, v4
	s_andn2_b64 s[4:5], s[4:5], exec
	s_and_b64 s[8:9], vcc, exec
	v_mov_b32_e32 v8, 0
	s_or_b64 s[4:5], s[4:5], s[8:9]
	s_or_b64 exec, exec, s[6:7]
	s_and_saveexec_b64 s[6:7], s[4:5]
	s_cbranch_execnz .LBB32_1975
	s_branch .LBB32_1976
.LBB32_4025:
	s_movk_i32 s4, 0x80
	v_cmp_eq_u16_sdwa s[12:13], v5, s4 src0_sel:BYTE_3 src1_sel:DWORD
	s_mov_b64 s[4:5], -1
                                        ; implicit-def: $sgpr10
	s_and_saveexec_b64 s[8:9], s[12:13]
; %bb.4026:
	s_mov_b32 s10, 0x7f800001
	s_xor_b64 s[4:5], exec, -1
; %bb.4027:
	s_or_b64 exec, exec, s[8:9]
	s_and_b64 s[4:5], s[4:5], exec
	s_or_saveexec_b64 s[6:7], s[6:7]
	v_mov_b32_e32 v0, s10
	s_xor_b64 exec, exec, s[6:7]
	s_cbranch_execz .LBB32_1978
.LBB32_4028:
	v_mov_b32_e32 v0, 0
	v_cmp_ne_u16_sdwa s[8:9], v5, v0 src0_sel:BYTE_3 src1_sel:DWORD
	s_andn2_b64 s[4:5], s[4:5], exec
	s_and_b64 s[8:9], s[8:9], exec
	s_or_b64 s[4:5], s[4:5], s[8:9]
	s_or_b64 exec, exec, s[6:7]
	s_and_saveexec_b64 s[6:7], s[4:5]
	s_cbranch_execnz .LBB32_1979
	s_branch .LBB32_1980
.LBB32_4029:
	s_movk_i32 s4, 0x80
	v_cmp_eq_u16_sdwa s[12:13], v1, s4 src0_sel:BYTE_3 src1_sel:DWORD
	s_mov_b64 s[4:5], -1
                                        ; implicit-def: $sgpr10
	s_and_saveexec_b64 s[8:9], s[12:13]
; %bb.4030:
	s_mov_b32 s10, 0x7f800001
	s_xor_b64 s[4:5], exec, -1
; %bb.4031:
	s_or_b64 exec, exec, s[8:9]
	s_and_b64 s[4:5], s[4:5], exec
	s_or_saveexec_b64 s[6:7], s[6:7]
	v_mov_b32_e32 v4, s10
	s_xor_b64 exec, exec, s[6:7]
	s_cbranch_execz .LBB32_1982
.LBB32_4032:
	v_mov_b32_e32 v4, 0
	v_cmp_ne_u16_sdwa s[8:9], v1, v4 src0_sel:BYTE_3 src1_sel:DWORD
	s_andn2_b64 s[4:5], s[4:5], exec
	s_and_b64 s[8:9], s[8:9], exec
	s_or_b64 s[4:5], s[4:5], s[8:9]
	s_or_b64 exec, exec, s[6:7]
	s_and_saveexec_b64 s[6:7], s[4:5]
	s_cbranch_execnz .LBB32_1983
	s_branch .LBB32_1984
.LBB32_4033:
	s_movk_i32 s4, 0x80
	v_cmp_eq_u16_sdwa s[12:13], v6, s4 src0_sel:BYTE_0 src1_sel:DWORD
	s_mov_b64 s[4:5], -1
                                        ; implicit-def: $sgpr10
	s_and_saveexec_b64 s[8:9], s[12:13]
; %bb.4034:
	s_mov_b32 s10, 0x7f800001
	s_xor_b64 s[4:5], exec, -1
; %bb.4035:
	s_or_b64 exec, exec, s[8:9]
	s_and_b64 s[4:5], s[4:5], exec
	s_or_saveexec_b64 s[6:7], s[6:7]
	v_mov_b32_e32 v0, s10
	s_xor_b64 exec, exec, s[6:7]
	s_cbranch_execz .LBB32_1986
.LBB32_4036:
	v_mov_b32_e32 v0, 0
	v_cmp_ne_u16_sdwa s[8:9], v6, v0 src0_sel:BYTE_0 src1_sel:DWORD
	s_andn2_b64 s[4:5], s[4:5], exec
	s_and_b64 s[8:9], s[8:9], exec
	s_or_b64 s[4:5], s[4:5], s[8:9]
	s_or_b64 exec, exec, s[6:7]
	s_and_saveexec_b64 s[6:7], s[4:5]
	s_cbranch_execnz .LBB32_1987
	s_branch .LBB32_1988
.LBB32_4037:
	s_movk_i32 s4, 0x80
	v_cmp_eq_u16_sdwa s[12:13], v2, s4 src0_sel:BYTE_0 src1_sel:DWORD
	s_mov_b64 s[4:5], -1
                                        ; implicit-def: $sgpr10
	s_and_saveexec_b64 s[8:9], s[12:13]
; %bb.4038:
	s_mov_b32 s10, 0x7f800001
	s_xor_b64 s[4:5], exec, -1
; %bb.4039:
	s_or_b64 exec, exec, s[8:9]
	s_and_b64 s[4:5], s[4:5], exec
	s_or_saveexec_b64 s[6:7], s[6:7]
	v_mov_b32_e32 v1, s10
	s_xor_b64 exec, exec, s[6:7]
	s_cbranch_execz .LBB32_1990
.LBB32_4040:
	v_mov_b32_e32 v1, 0
	v_cmp_ne_u16_sdwa s[8:9], v2, v1 src0_sel:BYTE_0 src1_sel:DWORD
	s_andn2_b64 s[4:5], s[4:5], exec
	s_and_b64 s[8:9], s[8:9], exec
	s_or_b64 s[4:5], s[4:5], s[8:9]
	s_or_b64 exec, exec, s[6:7]
	s_and_saveexec_b64 s[6:7], s[4:5]
	s_cbranch_execnz .LBB32_1991
	s_branch .LBB32_1992
.LBB32_4041:
	s_movk_i32 s4, 0x80
	v_cmp_eq_u16_sdwa s[12:13], v1, s4 src0_sel:BYTE_0 src1_sel:DWORD
	s_mov_b64 s[4:5], -1
                                        ; implicit-def: $sgpr10
	s_and_saveexec_b64 s[8:9], s[12:13]
; %bb.4042:
	s_mov_b32 s10, 0x7f800001
	s_xor_b64 s[4:5], exec, -1
; %bb.4043:
	s_or_b64 exec, exec, s[8:9]
	s_and_b64 s[4:5], s[4:5], exec
	s_or_saveexec_b64 s[6:7], s[6:7]
	v_mov_b32_e32 v0, s10
	s_xor_b64 exec, exec, s[6:7]
	s_cbranch_execz .LBB32_1994
.LBB32_4044:
	v_mov_b32_e32 v0, 0
	v_cmp_ne_u16_sdwa s[8:9], v1, v0 src0_sel:BYTE_0 src1_sel:DWORD
	s_andn2_b64 s[4:5], s[4:5], exec
	s_and_b64 s[8:9], s[8:9], exec
	s_or_b64 s[4:5], s[4:5], s[8:9]
	s_or_b64 exec, exec, s[6:7]
	s_and_saveexec_b64 s[6:7], s[4:5]
	s_cbranch_execnz .LBB32_1995
	s_branch .LBB32_1996
.LBB32_4045:
	s_movk_i32 s4, 0x80
	v_cmp_eq_u16_sdwa s[12:13], v1, s4 src0_sel:BYTE_0 src1_sel:DWORD
	s_mov_b64 s[4:5], -1
                                        ; implicit-def: $sgpr10
	s_and_saveexec_b64 s[8:9], s[12:13]
; %bb.4046:
	s_mov_b32 s10, 0x7f800001
	s_xor_b64 s[4:5], exec, -1
; %bb.4047:
	s_or_b64 exec, exec, s[8:9]
	s_and_b64 s[4:5], s[4:5], exec
	s_or_saveexec_b64 s[6:7], s[6:7]
	v_mov_b32_e32 v4, s10
	s_xor_b64 exec, exec, s[6:7]
	s_cbranch_execz .LBB32_1998
.LBB32_4048:
	v_mov_b32_e32 v4, 0
	v_cmp_ne_u16_sdwa s[8:9], v1, v4 src0_sel:BYTE_0 src1_sel:DWORD
	s_andn2_b64 s[4:5], s[4:5], exec
	s_and_b64 s[8:9], s[8:9], exec
	s_or_b64 s[4:5], s[4:5], s[8:9]
	s_or_b64 exec, exec, s[6:7]
	s_and_saveexec_b64 s[6:7], s[4:5]
	s_cbranch_execnz .LBB32_1999
	s_branch .LBB32_2000
.LBB32_4049:
	s_movk_i32 s4, 0x80
	v_cmp_eq_u16_e32 vcc, s4, v1
	s_mov_b64 s[4:5], -1
                                        ; implicit-def: $sgpr10
	s_and_saveexec_b64 s[8:9], vcc
; %bb.4050:
	s_mov_b32 s10, 0x7f800001
	s_xor_b64 s[4:5], exec, -1
; %bb.4051:
	s_or_b64 exec, exec, s[8:9]
	s_and_b64 s[4:5], s[4:5], exec
                                        ; implicit-def: $vgpr1
	s_or_saveexec_b64 s[6:7], s[6:7]
	v_mov_b32_e32 v0, s10
	s_xor_b64 exec, exec, s[6:7]
	s_cbranch_execz .LBB32_2002
.LBB32_4052:
	v_cmp_ne_u16_e32 vcc, 0, v1
	s_andn2_b64 s[4:5], s[4:5], exec
	s_and_b64 s[8:9], vcc, exec
	v_mov_b32_e32 v0, 0
	s_or_b64 s[4:5], s[4:5], s[8:9]
	s_or_b64 exec, exec, s[6:7]
	s_and_saveexec_b64 s[6:7], s[4:5]
	s_cbranch_execnz .LBB32_2003
	s_branch .LBB32_2004
.LBB32_4053:
	s_movk_i32 s4, 0x80
	v_cmp_eq_u16_e32 vcc, s4, v1
	s_mov_b64 s[4:5], -1
                                        ; implicit-def: $sgpr10
	s_and_saveexec_b64 s[8:9], vcc
; %bb.4054:
	s_mov_b32 s10, 0x7f800001
	s_xor_b64 s[4:5], exec, -1
; %bb.4055:
	s_or_b64 exec, exec, s[8:9]
	s_and_b64 s[4:5], s[4:5], exec
                                        ; implicit-def: $vgpr1
	s_or_saveexec_b64 s[6:7], s[6:7]
	v_mov_b32_e32 v4, s10
	s_xor_b64 exec, exec, s[6:7]
	s_cbranch_execz .LBB32_2006
.LBB32_4056:
	v_cmp_ne_u16_e32 vcc, 0, v1
	s_andn2_b64 s[4:5], s[4:5], exec
	s_and_b64 s[8:9], vcc, exec
	v_mov_b32_e32 v4, 0
	s_or_b64 s[4:5], s[4:5], s[8:9]
	s_or_b64 exec, exec, s[6:7]
	s_and_saveexec_b64 s[6:7], s[4:5]
	s_cbranch_execnz .LBB32_2007
	s_branch .LBB32_2008
.LBB32_4057:
	s_movk_i32 s4, 0x80
	v_cmp_eq_u16_sdwa s[12:13], v6, s4 src0_sel:BYTE_3 src1_sel:DWORD
	s_mov_b64 s[4:5], -1
                                        ; implicit-def: $sgpr10
	s_and_saveexec_b64 s[8:9], s[12:13]
; %bb.4058:
	s_mov_b32 s10, 0x7f800001
	s_xor_b64 s[4:5], exec, -1
; %bb.4059:
	s_or_b64 exec, exec, s[8:9]
	s_and_b64 s[4:5], s[4:5], exec
	s_or_saveexec_b64 s[6:7], s[6:7]
	v_mov_b32_e32 v0, s10
	s_xor_b64 exec, exec, s[6:7]
	s_cbranch_execz .LBB32_2010
.LBB32_4060:
	v_mov_b32_e32 v0, 0
	v_cmp_ne_u16_sdwa s[8:9], v6, v0 src0_sel:BYTE_3 src1_sel:DWORD
	s_andn2_b64 s[4:5], s[4:5], exec
	s_and_b64 s[8:9], s[8:9], exec
	s_or_b64 s[4:5], s[4:5], s[8:9]
	s_or_b64 exec, exec, s[6:7]
	s_and_saveexec_b64 s[6:7], s[4:5]
	s_cbranch_execnz .LBB32_2011
	s_branch .LBB32_2012
.LBB32_4061:
	s_movk_i32 s4, 0x80
	v_cmp_eq_u16_sdwa s[12:13], v2, s4 src0_sel:BYTE_3 src1_sel:DWORD
	s_mov_b64 s[4:5], -1
                                        ; implicit-def: $sgpr10
	s_and_saveexec_b64 s[8:9], s[12:13]
; %bb.4062:
	s_mov_b32 s10, 0x7f800001
	s_xor_b64 s[4:5], exec, -1
; %bb.4063:
	s_or_b64 exec, exec, s[8:9]
	s_and_b64 s[4:5], s[4:5], exec
	s_or_saveexec_b64 s[6:7], s[6:7]
	v_mov_b32_e32 v1, s10
	s_xor_b64 exec, exec, s[6:7]
	s_cbranch_execz .LBB32_2014
.LBB32_4064:
	v_mov_b32_e32 v1, 0
	v_cmp_ne_u16_sdwa s[8:9], v2, v1 src0_sel:BYTE_3 src1_sel:DWORD
	s_andn2_b64 s[4:5], s[4:5], exec
	s_and_b64 s[8:9], s[8:9], exec
	s_or_b64 s[4:5], s[4:5], s[8:9]
	s_or_b64 exec, exec, s[6:7]
	s_and_saveexec_b64 s[6:7], s[4:5]
	s_cbranch_execnz .LBB32_2015
	s_branch .LBB32_2016
.LBB32_4065:
	s_movk_i32 s4, 0x80
	v_cmp_eq_u16_sdwa s[12:13], v7, s4 src0_sel:BYTE_0 src1_sel:DWORD
	s_mov_b64 s[4:5], -1
                                        ; implicit-def: $sgpr10
	s_and_saveexec_b64 s[8:9], s[12:13]
; %bb.4066:
	s_mov_b32 s10, 0x7f800001
	s_xor_b64 s[4:5], exec, -1
; %bb.4067:
	s_or_b64 exec, exec, s[8:9]
	s_and_b64 s[4:5], s[4:5], exec
	s_or_saveexec_b64 s[6:7], s[6:7]
	v_mov_b32_e32 v0, s10
	s_xor_b64 exec, exec, s[6:7]
	s_cbranch_execz .LBB32_2018
.LBB32_4068:
	v_mov_b32_e32 v0, 0
	v_cmp_ne_u16_sdwa s[8:9], v7, v0 src0_sel:BYTE_0 src1_sel:DWORD
	s_andn2_b64 s[4:5], s[4:5], exec
	s_and_b64 s[8:9], s[8:9], exec
	s_or_b64 s[4:5], s[4:5], s[8:9]
	s_or_b64 exec, exec, s[6:7]
	s_and_saveexec_b64 s[6:7], s[4:5]
	s_cbranch_execnz .LBB32_2019
	s_branch .LBB32_2020
.LBB32_4069:
	s_movk_i32 s4, 0x80
	v_cmp_eq_u16_sdwa s[12:13], v3, s4 src0_sel:BYTE_0 src1_sel:DWORD
	s_mov_b64 s[4:5], -1
                                        ; implicit-def: $sgpr10
	s_and_saveexec_b64 s[8:9], s[12:13]
; %bb.4070:
	s_mov_b32 s10, 0x7f800001
	s_xor_b64 s[4:5], exec, -1
; %bb.4071:
	s_or_b64 exec, exec, s[8:9]
	s_and_b64 s[4:5], s[4:5], exec
	s_or_saveexec_b64 s[6:7], s[6:7]
	v_mov_b32_e32 v1, s10
	s_xor_b64 exec, exec, s[6:7]
	s_cbranch_execz .LBB32_2022
.LBB32_4072:
	v_mov_b32_e32 v1, 0
	v_cmp_ne_u16_sdwa s[8:9], v3, v1 src0_sel:BYTE_0 src1_sel:DWORD
	s_andn2_b64 s[4:5], s[4:5], exec
	s_and_b64 s[8:9], s[8:9], exec
	s_or_b64 s[4:5], s[4:5], s[8:9]
	s_or_b64 exec, exec, s[6:7]
	s_and_saveexec_b64 s[6:7], s[4:5]
	s_cbranch_execnz .LBB32_2023
	s_branch .LBB32_2024
.LBB32_4073:
	s_movk_i32 s4, 0x80
	v_cmp_eq_u16_sdwa s[12:13], v1, s4 src0_sel:BYTE_0 src1_sel:DWORD
	s_mov_b64 s[4:5], -1
                                        ; implicit-def: $sgpr10
	s_and_saveexec_b64 s[8:9], s[12:13]
; %bb.4074:
	s_mov_b32 s10, 0x7f800001
	s_xor_b64 s[4:5], exec, -1
; %bb.4075:
	s_or_b64 exec, exec, s[8:9]
	s_and_b64 s[4:5], s[4:5], exec
	s_or_saveexec_b64 s[6:7], s[6:7]
	v_mov_b32_e32 v0, s10
	s_xor_b64 exec, exec, s[6:7]
	s_cbranch_execz .LBB32_2026
.LBB32_4076:
	v_mov_b32_e32 v0, 0
	v_cmp_ne_u16_sdwa s[8:9], v1, v0 src0_sel:BYTE_0 src1_sel:DWORD
	s_andn2_b64 s[4:5], s[4:5], exec
	s_and_b64 s[8:9], s[8:9], exec
	s_or_b64 s[4:5], s[4:5], s[8:9]
	s_or_b64 exec, exec, s[6:7]
	s_and_saveexec_b64 s[6:7], s[4:5]
	s_cbranch_execnz .LBB32_2027
	s_branch .LBB32_2028
.LBB32_4077:
	s_movk_i32 s4, 0x80
	v_cmp_eq_u16_sdwa s[12:13], v1, s4 src0_sel:BYTE_0 src1_sel:DWORD
	s_mov_b64 s[4:5], -1
                                        ; implicit-def: $sgpr10
	s_and_saveexec_b64 s[8:9], s[12:13]
; %bb.4078:
	s_mov_b32 s10, 0x7f800001
	s_xor_b64 s[4:5], exec, -1
; %bb.4079:
	s_or_b64 exec, exec, s[8:9]
	s_and_b64 s[4:5], s[4:5], exec
	s_or_saveexec_b64 s[6:7], s[6:7]
	v_mov_b32_e32 v2, s10
	s_xor_b64 exec, exec, s[6:7]
	s_cbranch_execz .LBB32_2030
.LBB32_4080:
	v_mov_b32_e32 v2, 0
	v_cmp_ne_u16_sdwa s[8:9], v1, v2 src0_sel:BYTE_0 src1_sel:DWORD
	s_andn2_b64 s[4:5], s[4:5], exec
	s_and_b64 s[8:9], s[8:9], exec
	s_or_b64 s[4:5], s[4:5], s[8:9]
	s_or_b64 exec, exec, s[6:7]
	s_and_saveexec_b64 s[6:7], s[4:5]
	s_cbranch_execnz .LBB32_2031
	s_branch .LBB32_2032
.LBB32_4081:
	s_movk_i32 s4, 0x80
	v_cmp_eq_u16_e32 vcc, s4, v1
	s_mov_b64 s[4:5], -1
                                        ; implicit-def: $sgpr10
	s_and_saveexec_b64 s[8:9], vcc
; %bb.4082:
	s_mov_b32 s10, 0x7f800001
	s_xor_b64 s[4:5], exec, -1
; %bb.4083:
	s_or_b64 exec, exec, s[8:9]
	s_and_b64 s[4:5], s[4:5], exec
                                        ; implicit-def: $vgpr1
	s_or_saveexec_b64 s[6:7], s[6:7]
	v_mov_b32_e32 v0, s10
	s_xor_b64 exec, exec, s[6:7]
	s_cbranch_execz .LBB32_2034
.LBB32_4084:
	v_cmp_ne_u16_e32 vcc, 0, v1
	s_andn2_b64 s[4:5], s[4:5], exec
	s_and_b64 s[8:9], vcc, exec
	v_mov_b32_e32 v0, 0
	s_or_b64 s[4:5], s[4:5], s[8:9]
	s_or_b64 exec, exec, s[6:7]
	s_and_saveexec_b64 s[6:7], s[4:5]
	s_cbranch_execnz .LBB32_2035
	s_branch .LBB32_2036
.LBB32_4085:
	s_movk_i32 s4, 0x80
	v_cmp_eq_u16_e32 vcc, s4, v1
	s_mov_b64 s[4:5], -1
                                        ; implicit-def: $sgpr10
	s_and_saveexec_b64 s[8:9], vcc
; %bb.4086:
	s_mov_b32 s10, 0x7f800001
	s_xor_b64 s[4:5], exec, -1
; %bb.4087:
	s_or_b64 exec, exec, s[8:9]
	s_and_b64 s[4:5], s[4:5], exec
                                        ; implicit-def: $vgpr1
	s_or_saveexec_b64 s[6:7], s[6:7]
	v_mov_b32_e32 v2, s10
	s_xor_b64 exec, exec, s[6:7]
	s_cbranch_execz .LBB32_2038
.LBB32_4088:
	v_cmp_ne_u16_e32 vcc, 0, v1
	s_andn2_b64 s[4:5], s[4:5], exec
	s_and_b64 s[8:9], vcc, exec
	v_mov_b32_e32 v2, 0
	s_or_b64 s[4:5], s[4:5], s[8:9]
	s_or_b64 exec, exec, s[6:7]
	s_and_saveexec_b64 s[6:7], s[4:5]
	s_cbranch_execnz .LBB32_2039
	s_branch .LBB32_2040
.LBB32_4089:
	s_movk_i32 s4, 0x80
	v_cmp_eq_u16_sdwa s[12:13], v7, s4 src0_sel:BYTE_3 src1_sel:DWORD
	s_mov_b64 s[4:5], -1
                                        ; implicit-def: $sgpr10
	s_and_saveexec_b64 s[8:9], s[12:13]
; %bb.4090:
	s_mov_b32 s10, 0x7f800001
	s_xor_b64 s[4:5], exec, -1
; %bb.4091:
	s_or_b64 exec, exec, s[8:9]
	s_and_b64 s[4:5], s[4:5], exec
	s_or_saveexec_b64 s[6:7], s[6:7]
	v_mov_b32_e32 v0, s10
	s_xor_b64 exec, exec, s[6:7]
	s_cbranch_execz .LBB32_2042
.LBB32_4092:
	v_mov_b32_e32 v0, 0
	v_cmp_ne_u16_sdwa s[8:9], v7, v0 src0_sel:BYTE_3 src1_sel:DWORD
	s_andn2_b64 s[4:5], s[4:5], exec
	s_and_b64 s[8:9], s[8:9], exec
	s_or_b64 s[4:5], s[4:5], s[8:9]
	s_or_b64 exec, exec, s[6:7]
	s_and_saveexec_b64 s[6:7], s[4:5]
	s_cbranch_execnz .LBB32_2043
	s_branch .LBB32_2044
.LBB32_4093:
	s_movk_i32 s4, 0x80
	v_cmp_eq_u16_sdwa s[12:13], v3, s4 src0_sel:BYTE_3 src1_sel:DWORD
	s_mov_b64 s[4:5], -1
                                        ; implicit-def: $sgpr10
	s_and_saveexec_b64 s[8:9], s[12:13]
; %bb.4094:
	s_mov_b32 s10, 0x7f800001
	s_xor_b64 s[4:5], exec, -1
; %bb.4095:
	s_or_b64 exec, exec, s[8:9]
	s_and_b64 s[4:5], s[4:5], exec
	s_or_saveexec_b64 s[6:7], s[6:7]
	v_mov_b32_e32 v1, s10
	s_xor_b64 exec, exec, s[6:7]
	s_cbranch_execz .LBB32_2046
.LBB32_4096:
	v_mov_b32_e32 v1, 0
	v_cmp_ne_u16_sdwa s[8:9], v3, v1 src0_sel:BYTE_3 src1_sel:DWORD
	s_andn2_b64 s[4:5], s[4:5], exec
	s_and_b64 s[8:9], s[8:9], exec
	s_or_b64 s[4:5], s[4:5], s[8:9]
	s_or_b64 exec, exec, s[6:7]
	s_and_saveexec_b64 s[6:7], s[4:5]
	s_cbranch_execnz .LBB32_2047
	s_branch .LBB32_2048
.Lfunc_end32:
	.size	_ZNK2ck6detail7applierIiJLi0ELi1ELi2ELi3ELi4ELi5ELi6ELi7EEEclIZNKS_11static_fordINS_8SequenceIJLi1ELi8EEEENS5_IJLi0ELi1EEEEEclIZZZNKS_52BlockwiseGemmXdlops_pipeline_bpreshuffle_bdequant_v3ILNS_26BlockGemmPipelineSchedulerE0ELi256ENS_9f8_fnuz_tENS_7pk_i4_tESC_fNS_16TensorDescriptorINS_5TupleIJNS_5EmbedINSF_IJNS_17integral_constantIiLi8EEENSH_IiLi256EEENSH_IiLi16EEEEEENSF_IJSK_NSH_IiLi128EEENSH_IiLi1EEEEEELb0EEENS_3XorINSF_IJSJ_SI_EEELb1EEENS_11PassThroughISK_EENS_7UnMergeINSF_IJSI_SN_EEELb0EEENST_ISJ_EESU_NST_ISI_EENS_21Merge_v3_division_modINSF_IJSJ_SN_EEEEESU_EEENSF_IJNS5_IJLi0EEEENS5_IJLi2ELi1EEEENS5_IJLi3EEEENS5_IJLi5EEEENS5_IJLi4EEEENS5_IJLi6EEEENS5_IJLi7EEEENS5_IJLi9ELi8EEEENS5_IJLi10EEEEEEENSF_IJNS5_IJLi1ELi2ELi3EEEENS5_IJLi4ELi5EEEES19_NS5_IJLi7ELi8EEEENS5_IJLi9EEEES1C_NS5_IJLi11EEEENS5_IJLi12EEEENS5_IJLi13EEEEEEENS5_IJLi11ELi12ELi13EEEENSH_IlLl32768EEEEENSE_INSF_IJNSV_INSF_IJSI_SN_SN_NSH_IiLi32EEEEEELb0EEEEEENSF_IJS14_EEENSF_IJNS5_IJLi1ELi2ELi3ELi4EEEEEEES1U_NSH_IlLl256EEEEENSE_INSF_IJSP_SS_SU_SX_SY_SU_SZ_S12_SU_NS10_INSF_IJSI_SK_EEEEENSV_INSF_IJSI_NSH_IiLi2EEESK_EEELb0EEEEEENSF_IJS14_S15_S16_S17_S18_S19_S1A_S1B_S1C_NS5_IJLi11ELi13EEEES1J_EEENSF_IJS1E_S1F_S19_S1G_S1H_S1C_S1I_S1J_S1K_NS5_IJLi14EEEENS5_IJLi15ELi16ELi17EEEEEEENS5_IJLi15ELi16ELi17ELi14EEEES1N_EENSE_INSF_IJS1R_NS10_ISW_EES22_EEENSF_IJS14_NS5_IJLi1ELi3EEEENS5_IJLi2EEEEEEENSF_IJS1U_S17_NS5_IJLi6ELi7ELi8EEEEEEENS5_IJLi6ELi7ELi8ELi5EEEES1W_EELi16ELi32ELi256ELi256ELi128ELi16ELi16ELi8ELi8ELi32ELb0EE3RunILb1ELNS_10TailNumberE1ENSE_INSF_IJNSG_INSF_IJiiEEENSF_IJiSN_EEELb0EEENSV_IS2N_Lb0EEENST_IiEEEEENSF_IJS14_S2E_NS5_IJLi1EEEEEEENSF_IJNS5_IJLi1ELi2EEEENS5_IJLi3ELi4EEEES17_EEENS5_IJLi3ELi5ELi4EEEElEES1O_NS_35ThreadGroupTensorSliceTransfer_v4r1INS_15ThisThreadBlockILi256EEENS_16tensor_operation12element_wise11PassThroughES35_LNS_25InMemoryDataOperationEnumE0ENS5_IJLi8ELi256ELi16EEEENS5_IJLi8ELi32ELi1EEEENS5_IJLi1ELi0ELi2EEEESC_SC_RKS2Z_KS1O_S39_NS5_IJLi0ELi1ELi2EEEELi2ELi2ELi16ELi16ELi1ELi1ELb0ELb1ELi2EiEENS_13DynamicBufferILNS_16AddressSpaceEnumE1EKSC_lLb1ELNS_22AmdBufferCoherenceEnumE0EiEENSF_IJNS3F_ILS3G_2ESC_S1N_Lb1ELS3I_0EiEES3K_EEENSF_IJiiiEEENSE_INSF_IJNSG_INSF_IJiiiiEEENSF_IJiiiSN_EEELb0EEEEEES1T_S1V_S1U_lEENS_32ThreadwiseTensorSliceTransfer_v2ISD_SD_RKS3R_KS1X_NS5_IJLi8ELi1ELi1ELi32EEEENS5_IJLi1ELi2ELi0ELi3EEEELi3ELi32ELi0ELb1ELb0ELb0EEENS3F_ILS3G_1EKSD_lLb1ELS3I_0EiEENSF_IJNS_12StaticBufferILS3G_4ESD_Li256ELb1EEES42_EEES3N_NS_25StaticBufferTupleOfVectorILS3G_4EfLi64ELi4ELb1ELb0EEEEEvRKT1_RKT2_RT3_RKT4_RT5_RKT6_RKT7_RT8_RKT9_RT10_RKT11_RT12_iENKUlT_T0_E_clINSH_IiLi0EEESN_EEDaS51_S52_ENKUlS51_E_clINSH_IiLi4EEEEEDaS51_EUlS51_E_EEvS51_EUlS51_E_EEvS51_, .Lfunc_end32-_ZNK2ck6detail7applierIiJLi0ELi1ELi2ELi3ELi4ELi5ELi6ELi7EEEclIZNKS_11static_fordINS_8SequenceIJLi1ELi8EEEENS5_IJLi0ELi1EEEEEclIZZZNKS_52BlockwiseGemmXdlops_pipeline_bpreshuffle_bdequant_v3ILNS_26BlockGemmPipelineSchedulerE0ELi256ENS_9f8_fnuz_tENS_7pk_i4_tESC_fNS_16TensorDescriptorINS_5TupleIJNS_5EmbedINSF_IJNS_17integral_constantIiLi8EEENSH_IiLi256EEENSH_IiLi16EEEEEENSF_IJSK_NSH_IiLi128EEENSH_IiLi1EEEEEELb0EEENS_3XorINSF_IJSJ_SI_EEELb1EEENS_11PassThroughISK_EENS_7UnMergeINSF_IJSI_SN_EEELb0EEENST_ISJ_EESU_NST_ISI_EENS_21Merge_v3_division_modINSF_IJSJ_SN_EEEEESU_EEENSF_IJNS5_IJLi0EEEENS5_IJLi2ELi1EEEENS5_IJLi3EEEENS5_IJLi5EEEENS5_IJLi4EEEENS5_IJLi6EEEENS5_IJLi7EEEENS5_IJLi9ELi8EEEENS5_IJLi10EEEEEEENSF_IJNS5_IJLi1ELi2ELi3EEEENS5_IJLi4ELi5EEEES19_NS5_IJLi7ELi8EEEENS5_IJLi9EEEES1C_NS5_IJLi11EEEENS5_IJLi12EEEENS5_IJLi13EEEEEEENS5_IJLi11ELi12ELi13EEEENSH_IlLl32768EEEEENSE_INSF_IJNSV_INSF_IJSI_SN_SN_NSH_IiLi32EEEEEELb0EEEEEENSF_IJS14_EEENSF_IJNS5_IJLi1ELi2ELi3ELi4EEEEEEES1U_NSH_IlLl256EEEEENSE_INSF_IJSP_SS_SU_SX_SY_SU_SZ_S12_SU_NS10_INSF_IJSI_SK_EEEEENSV_INSF_IJSI_NSH_IiLi2EEESK_EEELb0EEEEEENSF_IJS14_S15_S16_S17_S18_S19_S1A_S1B_S1C_NS5_IJLi11ELi13EEEES1J_EEENSF_IJS1E_S1F_S19_S1G_S1H_S1C_S1I_S1J_S1K_NS5_IJLi14EEEENS5_IJLi15ELi16ELi17EEEEEEENS5_IJLi15ELi16ELi17ELi14EEEES1N_EENSE_INSF_IJS1R_NS10_ISW_EES22_EEENSF_IJS14_NS5_IJLi1ELi3EEEENS5_IJLi2EEEEEEENSF_IJS1U_S17_NS5_IJLi6ELi7ELi8EEEEEEENS5_IJLi6ELi7ELi8ELi5EEEES1W_EELi16ELi32ELi256ELi256ELi128ELi16ELi16ELi8ELi8ELi32ELb0EE3RunILb1ELNS_10TailNumberE1ENSE_INSF_IJNSG_INSF_IJiiEEENSF_IJiSN_EEELb0EEENSV_IS2N_Lb0EEENST_IiEEEEENSF_IJS14_S2E_NS5_IJLi1EEEEEEENSF_IJNS5_IJLi1ELi2EEEENS5_IJLi3ELi4EEEES17_EEENS5_IJLi3ELi5ELi4EEEElEES1O_NS_35ThreadGroupTensorSliceTransfer_v4r1INS_15ThisThreadBlockILi256EEENS_16tensor_operation12element_wise11PassThroughES35_LNS_25InMemoryDataOperationEnumE0ENS5_IJLi8ELi256ELi16EEEENS5_IJLi8ELi32ELi1EEEENS5_IJLi1ELi0ELi2EEEESC_SC_RKS2Z_KS1O_S39_NS5_IJLi0ELi1ELi2EEEELi2ELi2ELi16ELi16ELi1ELi1ELb0ELb1ELi2EiEENS_13DynamicBufferILNS_16AddressSpaceEnumE1EKSC_lLb1ELNS_22AmdBufferCoherenceEnumE0EiEENSF_IJNS3F_ILS3G_2ESC_S1N_Lb1ELS3I_0EiEES3K_EEENSF_IJiiiEEENSE_INSF_IJNSG_INSF_IJiiiiEEENSF_IJiiiSN_EEELb0EEEEEES1T_S1V_S1U_lEENS_32ThreadwiseTensorSliceTransfer_v2ISD_SD_RKS3R_KS1X_NS5_IJLi8ELi1ELi1ELi32EEEENS5_IJLi1ELi2ELi0ELi3EEEELi3ELi32ELi0ELb1ELb0ELb0EEENS3F_ILS3G_1EKSD_lLb1ELS3I_0EiEENSF_IJNS_12StaticBufferILS3G_4ESD_Li256ELb1EEES42_EEES3N_NS_25StaticBufferTupleOfVectorILS3G_4EfLi64ELi4ELb1ELb0EEEEEvRKT1_RKT2_RT3_RKT4_RT5_RKT6_RKT7_RT8_RKT9_RT10_RKT11_RT12_iENKUlT_T0_E_clINSH_IiLi0EEESN_EEDaS51_S52_ENKUlS51_E_clINSH_IiLi4EEEEEDaS51_EUlS51_E_EEvS51_EUlS51_E_EEvS51_
                                        ; -- End function
	.section	.AMDGPU.csdata,"",@progbits
; Function info:
; codeLenInByte = 133608
; NumSgprs: 36
; NumVgprs: 26
; NumAgprs: 4
; TotalNumVgprs: 32
; ScratchSize: 0
; MemoryBound: 1
	.text
	.p2align	2                               ; -- Begin function _ZNK2ck6detail7applierIiJLi0ELi1ELi2ELi3ELi4ELi5ELi6ELi7EEEclIZNKS_11static_fordINS_8SequenceIJLi1ELi8EEEENS5_IJLi0ELi1EEEEEclIZZZNKS_52BlockwiseGemmXdlops_pipeline_bpreshuffle_bdequant_v3ILNS_26BlockGemmPipelineSchedulerE0ELi256ENS_9f8_fnuz_tENS_7pk_i4_tESC_fNS_16TensorDescriptorINS_5TupleIJNS_5EmbedINSF_IJNS_17integral_constantIiLi8EEENSH_IiLi256EEENSH_IiLi16EEEEEENSF_IJSK_NSH_IiLi128EEENSH_IiLi1EEEEEELb0EEENS_3XorINSF_IJSJ_SI_EEELb1EEENS_11PassThroughISK_EENS_7UnMergeINSF_IJSI_SN_EEELb0EEENST_ISJ_EESU_NST_ISI_EENS_21Merge_v3_division_modINSF_IJSJ_SN_EEEEESU_EEENSF_IJNS5_IJLi0EEEENS5_IJLi2ELi1EEEENS5_IJLi3EEEENS5_IJLi5EEEENS5_IJLi4EEEENS5_IJLi6EEEENS5_IJLi7EEEENS5_IJLi9ELi8EEEENS5_IJLi10EEEEEEENSF_IJNS5_IJLi1ELi2ELi3EEEENS5_IJLi4ELi5EEEES19_NS5_IJLi7ELi8EEEENS5_IJLi9EEEES1C_NS5_IJLi11EEEENS5_IJLi12EEEENS5_IJLi13EEEEEEENS5_IJLi11ELi12ELi13EEEENSH_IlLl32768EEEEENSE_INSF_IJNSV_INSF_IJSI_SN_SN_NSH_IiLi32EEEEEELb0EEEEEENSF_IJS14_EEENSF_IJNS5_IJLi1ELi2ELi3ELi4EEEEEEES1U_NSH_IlLl256EEEEENSE_INSF_IJSP_SS_SU_SX_SY_SU_SZ_S12_SU_NS10_INSF_IJSI_SK_EEEEENSV_INSF_IJSI_NSH_IiLi2EEESK_EEELb0EEEEEENSF_IJS14_S15_S16_S17_S18_S19_S1A_S1B_S1C_NS5_IJLi11ELi13EEEES1J_EEENSF_IJS1E_S1F_S19_S1G_S1H_S1C_S1I_S1J_S1K_NS5_IJLi14EEEENS5_IJLi15ELi16ELi17EEEEEEENS5_IJLi15ELi16ELi17ELi14EEEES1N_EENSE_INSF_IJS1R_NS10_ISW_EES22_EEENSF_IJS14_NS5_IJLi1ELi3EEEENS5_IJLi2EEEEEEENSF_IJS1U_S17_NS5_IJLi6ELi7ELi8EEEEEEENS5_IJLi6ELi7ELi8ELi5EEEES1W_EELi16ELi32ELi256ELi256ELi128ELi16ELi16ELi8ELi8ELi32ELb0EE3RunILb1ELNS_10TailNumberE1ENSE_INSF_IJNSG_INSF_IJiiEEENSF_IJiSN_EEELb0EEENSV_IS2N_Lb0EEENST_IiEEEEENSF_IJS14_S2E_NS5_IJLi1EEEEEEENSF_IJNS5_IJLi1ELi2EEEENS5_IJLi3ELi4EEEES17_EEENS5_IJLi3ELi5ELi4EEEElEES1O_NS_35ThreadGroupTensorSliceTransfer_v4r1INS_15ThisThreadBlockILi256EEENS_16tensor_operation12element_wise11PassThroughES35_LNS_25InMemoryDataOperationEnumE0ENS5_IJLi8ELi256ELi16EEEENS5_IJLi8ELi32ELi1EEEENS5_IJLi1ELi0ELi2EEEESC_SC_RKS2Z_KS1O_S39_NS5_IJLi0ELi1ELi2EEEELi2ELi2ELi16ELi16ELi1ELi1ELb0ELb1ELi2EiEENS_13DynamicBufferILNS_16AddressSpaceEnumE1EKSC_lLb1ELNS_22AmdBufferCoherenceEnumE0EiEENSF_IJNS3F_ILS3G_2ESC_S1N_Lb1ELS3I_0EiEES3K_EEENSF_IJiiiEEENSE_INSF_IJNSG_INSF_IJiiiiEEENSF_IJiiiSN_EEELb0EEEEEES1T_S1V_S1U_lEENS_32ThreadwiseTensorSliceTransfer_v2ISD_SD_RKS3R_KS1X_NS5_IJLi8ELi1ELi1ELi32EEEENS5_IJLi1ELi2ELi0ELi3EEEELi3ELi32ELi0ELb1ELb0ELb0EEENS3F_ILS3G_1EKSD_lLb1ELS3I_0EiEENSF_IJNS_12StaticBufferILS3G_4ESD_Li256ELb1EEES42_EEES3N_NS_25StaticBufferTupleOfVectorILS3G_4EfLi64ELi4ELb1ELb0EEEEEvRKT1_RKT2_RT3_RKT4_RT5_RKT6_RKT7_RT8_RKT9_RT10_RKT11_RT12_iENKUlT_T0_E_clINSH_IiLi0EEESN_EEDaS51_S52_ENKUlS51_E_clINSH_IiLi5EEEEEDaS51_EUlS51_E_EEvS51_EUlS51_E_EEvS51_
	.type	_ZNK2ck6detail7applierIiJLi0ELi1ELi2ELi3ELi4ELi5ELi6ELi7EEEclIZNKS_11static_fordINS_8SequenceIJLi1ELi8EEEENS5_IJLi0ELi1EEEEEclIZZZNKS_52BlockwiseGemmXdlops_pipeline_bpreshuffle_bdequant_v3ILNS_26BlockGemmPipelineSchedulerE0ELi256ENS_9f8_fnuz_tENS_7pk_i4_tESC_fNS_16TensorDescriptorINS_5TupleIJNS_5EmbedINSF_IJNS_17integral_constantIiLi8EEENSH_IiLi256EEENSH_IiLi16EEEEEENSF_IJSK_NSH_IiLi128EEENSH_IiLi1EEEEEELb0EEENS_3XorINSF_IJSJ_SI_EEELb1EEENS_11PassThroughISK_EENS_7UnMergeINSF_IJSI_SN_EEELb0EEENST_ISJ_EESU_NST_ISI_EENS_21Merge_v3_division_modINSF_IJSJ_SN_EEEEESU_EEENSF_IJNS5_IJLi0EEEENS5_IJLi2ELi1EEEENS5_IJLi3EEEENS5_IJLi5EEEENS5_IJLi4EEEENS5_IJLi6EEEENS5_IJLi7EEEENS5_IJLi9ELi8EEEENS5_IJLi10EEEEEEENSF_IJNS5_IJLi1ELi2ELi3EEEENS5_IJLi4ELi5EEEES19_NS5_IJLi7ELi8EEEENS5_IJLi9EEEES1C_NS5_IJLi11EEEENS5_IJLi12EEEENS5_IJLi13EEEEEEENS5_IJLi11ELi12ELi13EEEENSH_IlLl32768EEEEENSE_INSF_IJNSV_INSF_IJSI_SN_SN_NSH_IiLi32EEEEEELb0EEEEEENSF_IJS14_EEENSF_IJNS5_IJLi1ELi2ELi3ELi4EEEEEEES1U_NSH_IlLl256EEEEENSE_INSF_IJSP_SS_SU_SX_SY_SU_SZ_S12_SU_NS10_INSF_IJSI_SK_EEEEENSV_INSF_IJSI_NSH_IiLi2EEESK_EEELb0EEEEEENSF_IJS14_S15_S16_S17_S18_S19_S1A_S1B_S1C_NS5_IJLi11ELi13EEEES1J_EEENSF_IJS1E_S1F_S19_S1G_S1H_S1C_S1I_S1J_S1K_NS5_IJLi14EEEENS5_IJLi15ELi16ELi17EEEEEEENS5_IJLi15ELi16ELi17ELi14EEEES1N_EENSE_INSF_IJS1R_NS10_ISW_EES22_EEENSF_IJS14_NS5_IJLi1ELi3EEEENS5_IJLi2EEEEEEENSF_IJS1U_S17_NS5_IJLi6ELi7ELi8EEEEEEENS5_IJLi6ELi7ELi8ELi5EEEES1W_EELi16ELi32ELi256ELi256ELi128ELi16ELi16ELi8ELi8ELi32ELb0EE3RunILb1ELNS_10TailNumberE1ENSE_INSF_IJNSG_INSF_IJiiEEENSF_IJiSN_EEELb0EEENSV_IS2N_Lb0EEENST_IiEEEEENSF_IJS14_S2E_NS5_IJLi1EEEEEEENSF_IJNS5_IJLi1ELi2EEEENS5_IJLi3ELi4EEEES17_EEENS5_IJLi3ELi5ELi4EEEElEES1O_NS_35ThreadGroupTensorSliceTransfer_v4r1INS_15ThisThreadBlockILi256EEENS_16tensor_operation12element_wise11PassThroughES35_LNS_25InMemoryDataOperationEnumE0ENS5_IJLi8ELi256ELi16EEEENS5_IJLi8ELi32ELi1EEEENS5_IJLi1ELi0ELi2EEEESC_SC_RKS2Z_KS1O_S39_NS5_IJLi0ELi1ELi2EEEELi2ELi2ELi16ELi16ELi1ELi1ELb0ELb1ELi2EiEENS_13DynamicBufferILNS_16AddressSpaceEnumE1EKSC_lLb1ELNS_22AmdBufferCoherenceEnumE0EiEENSF_IJNS3F_ILS3G_2ESC_S1N_Lb1ELS3I_0EiEES3K_EEENSF_IJiiiEEENSE_INSF_IJNSG_INSF_IJiiiiEEENSF_IJiiiSN_EEELb0EEEEEES1T_S1V_S1U_lEENS_32ThreadwiseTensorSliceTransfer_v2ISD_SD_RKS3R_KS1X_NS5_IJLi8ELi1ELi1ELi32EEEENS5_IJLi1ELi2ELi0ELi3EEEELi3ELi32ELi0ELb1ELb0ELb0EEENS3F_ILS3G_1EKSD_lLb1ELS3I_0EiEENSF_IJNS_12StaticBufferILS3G_4ESD_Li256ELb1EEES42_EEES3N_NS_25StaticBufferTupleOfVectorILS3G_4EfLi64ELi4ELb1ELb0EEEEEvRKT1_RKT2_RT3_RKT4_RT5_RKT6_RKT7_RT8_RKT9_RT10_RKT11_RT12_iENKUlT_T0_E_clINSH_IiLi0EEESN_EEDaS51_S52_ENKUlS51_E_clINSH_IiLi5EEEEEDaS51_EUlS51_E_EEvS51_EUlS51_E_EEvS51_,@function
_ZNK2ck6detail7applierIiJLi0ELi1ELi2ELi3ELi4ELi5ELi6ELi7EEEclIZNKS_11static_fordINS_8SequenceIJLi1ELi8EEEENS5_IJLi0ELi1EEEEEclIZZZNKS_52BlockwiseGemmXdlops_pipeline_bpreshuffle_bdequant_v3ILNS_26BlockGemmPipelineSchedulerE0ELi256ENS_9f8_fnuz_tENS_7pk_i4_tESC_fNS_16TensorDescriptorINS_5TupleIJNS_5EmbedINSF_IJNS_17integral_constantIiLi8EEENSH_IiLi256EEENSH_IiLi16EEEEEENSF_IJSK_NSH_IiLi128EEENSH_IiLi1EEEEEELb0EEENS_3XorINSF_IJSJ_SI_EEELb1EEENS_11PassThroughISK_EENS_7UnMergeINSF_IJSI_SN_EEELb0EEENST_ISJ_EESU_NST_ISI_EENS_21Merge_v3_division_modINSF_IJSJ_SN_EEEEESU_EEENSF_IJNS5_IJLi0EEEENS5_IJLi2ELi1EEEENS5_IJLi3EEEENS5_IJLi5EEEENS5_IJLi4EEEENS5_IJLi6EEEENS5_IJLi7EEEENS5_IJLi9ELi8EEEENS5_IJLi10EEEEEEENSF_IJNS5_IJLi1ELi2ELi3EEEENS5_IJLi4ELi5EEEES19_NS5_IJLi7ELi8EEEENS5_IJLi9EEEES1C_NS5_IJLi11EEEENS5_IJLi12EEEENS5_IJLi13EEEEEEENS5_IJLi11ELi12ELi13EEEENSH_IlLl32768EEEEENSE_INSF_IJNSV_INSF_IJSI_SN_SN_NSH_IiLi32EEEEEELb0EEEEEENSF_IJS14_EEENSF_IJNS5_IJLi1ELi2ELi3ELi4EEEEEEES1U_NSH_IlLl256EEEEENSE_INSF_IJSP_SS_SU_SX_SY_SU_SZ_S12_SU_NS10_INSF_IJSI_SK_EEEEENSV_INSF_IJSI_NSH_IiLi2EEESK_EEELb0EEEEEENSF_IJS14_S15_S16_S17_S18_S19_S1A_S1B_S1C_NS5_IJLi11ELi13EEEES1J_EEENSF_IJS1E_S1F_S19_S1G_S1H_S1C_S1I_S1J_S1K_NS5_IJLi14EEEENS5_IJLi15ELi16ELi17EEEEEEENS5_IJLi15ELi16ELi17ELi14EEEES1N_EENSE_INSF_IJS1R_NS10_ISW_EES22_EEENSF_IJS14_NS5_IJLi1ELi3EEEENS5_IJLi2EEEEEEENSF_IJS1U_S17_NS5_IJLi6ELi7ELi8EEEEEEENS5_IJLi6ELi7ELi8ELi5EEEES1W_EELi16ELi32ELi256ELi256ELi128ELi16ELi16ELi8ELi8ELi32ELb0EE3RunILb1ELNS_10TailNumberE1ENSE_INSF_IJNSG_INSF_IJiiEEENSF_IJiSN_EEELb0EEENSV_IS2N_Lb0EEENST_IiEEEEENSF_IJS14_S2E_NS5_IJLi1EEEEEEENSF_IJNS5_IJLi1ELi2EEEENS5_IJLi3ELi4EEEES17_EEENS5_IJLi3ELi5ELi4EEEElEES1O_NS_35ThreadGroupTensorSliceTransfer_v4r1INS_15ThisThreadBlockILi256EEENS_16tensor_operation12element_wise11PassThroughES35_LNS_25InMemoryDataOperationEnumE0ENS5_IJLi8ELi256ELi16EEEENS5_IJLi8ELi32ELi1EEEENS5_IJLi1ELi0ELi2EEEESC_SC_RKS2Z_KS1O_S39_NS5_IJLi0ELi1ELi2EEEELi2ELi2ELi16ELi16ELi1ELi1ELb0ELb1ELi2EiEENS_13DynamicBufferILNS_16AddressSpaceEnumE1EKSC_lLb1ELNS_22AmdBufferCoherenceEnumE0EiEENSF_IJNS3F_ILS3G_2ESC_S1N_Lb1ELS3I_0EiEES3K_EEENSF_IJiiiEEENSE_INSF_IJNSG_INSF_IJiiiiEEENSF_IJiiiSN_EEELb0EEEEEES1T_S1V_S1U_lEENS_32ThreadwiseTensorSliceTransfer_v2ISD_SD_RKS3R_KS1X_NS5_IJLi8ELi1ELi1ELi32EEEENS5_IJLi1ELi2ELi0ELi3EEEELi3ELi32ELi0ELb1ELb0ELb0EEENS3F_ILS3G_1EKSD_lLb1ELS3I_0EiEENSF_IJNS_12StaticBufferILS3G_4ESD_Li256ELb1EEES42_EEES3N_NS_25StaticBufferTupleOfVectorILS3G_4EfLi64ELi4ELb1ELb0EEEEEvRKT1_RKT2_RT3_RKT4_RT5_RKT6_RKT7_RT8_RKT9_RT10_RKT11_RT12_iENKUlT_T0_E_clINSH_IiLi0EEESN_EEDaS51_S52_ENKUlS51_E_clINSH_IiLi5EEEEEDaS51_EUlS51_E_EEvS51_EUlS51_E_EEvS51_: ; @_ZNK2ck6detail7applierIiJLi0ELi1ELi2ELi3ELi4ELi5ELi6ELi7EEEclIZNKS_11static_fordINS_8SequenceIJLi1ELi8EEEENS5_IJLi0ELi1EEEEEclIZZZNKS_52BlockwiseGemmXdlops_pipeline_bpreshuffle_bdequant_v3ILNS_26BlockGemmPipelineSchedulerE0ELi256ENS_9f8_fnuz_tENS_7pk_i4_tESC_fNS_16TensorDescriptorINS_5TupleIJNS_5EmbedINSF_IJNS_17integral_constantIiLi8EEENSH_IiLi256EEENSH_IiLi16EEEEEENSF_IJSK_NSH_IiLi128EEENSH_IiLi1EEEEEELb0EEENS_3XorINSF_IJSJ_SI_EEELb1EEENS_11PassThroughISK_EENS_7UnMergeINSF_IJSI_SN_EEELb0EEENST_ISJ_EESU_NST_ISI_EENS_21Merge_v3_division_modINSF_IJSJ_SN_EEEEESU_EEENSF_IJNS5_IJLi0EEEENS5_IJLi2ELi1EEEENS5_IJLi3EEEENS5_IJLi5EEEENS5_IJLi4EEEENS5_IJLi6EEEENS5_IJLi7EEEENS5_IJLi9ELi8EEEENS5_IJLi10EEEEEEENSF_IJNS5_IJLi1ELi2ELi3EEEENS5_IJLi4ELi5EEEES19_NS5_IJLi7ELi8EEEENS5_IJLi9EEEES1C_NS5_IJLi11EEEENS5_IJLi12EEEENS5_IJLi13EEEEEEENS5_IJLi11ELi12ELi13EEEENSH_IlLl32768EEEEENSE_INSF_IJNSV_INSF_IJSI_SN_SN_NSH_IiLi32EEEEEELb0EEEEEENSF_IJS14_EEENSF_IJNS5_IJLi1ELi2ELi3ELi4EEEEEEES1U_NSH_IlLl256EEEEENSE_INSF_IJSP_SS_SU_SX_SY_SU_SZ_S12_SU_NS10_INSF_IJSI_SK_EEEEENSV_INSF_IJSI_NSH_IiLi2EEESK_EEELb0EEEEEENSF_IJS14_S15_S16_S17_S18_S19_S1A_S1B_S1C_NS5_IJLi11ELi13EEEES1J_EEENSF_IJS1E_S1F_S19_S1G_S1H_S1C_S1I_S1J_S1K_NS5_IJLi14EEEENS5_IJLi15ELi16ELi17EEEEEEENS5_IJLi15ELi16ELi17ELi14EEEES1N_EENSE_INSF_IJS1R_NS10_ISW_EES22_EEENSF_IJS14_NS5_IJLi1ELi3EEEENS5_IJLi2EEEEEEENSF_IJS1U_S17_NS5_IJLi6ELi7ELi8EEEEEEENS5_IJLi6ELi7ELi8ELi5EEEES1W_EELi16ELi32ELi256ELi256ELi128ELi16ELi16ELi8ELi8ELi32ELb0EE3RunILb1ELNS_10TailNumberE1ENSE_INSF_IJNSG_INSF_IJiiEEENSF_IJiSN_EEELb0EEENSV_IS2N_Lb0EEENST_IiEEEEENSF_IJS14_S2E_NS5_IJLi1EEEEEEENSF_IJNS5_IJLi1ELi2EEEENS5_IJLi3ELi4EEEES17_EEENS5_IJLi3ELi5ELi4EEEElEES1O_NS_35ThreadGroupTensorSliceTransfer_v4r1INS_15ThisThreadBlockILi256EEENS_16tensor_operation12element_wise11PassThroughES35_LNS_25InMemoryDataOperationEnumE0ENS5_IJLi8ELi256ELi16EEEENS5_IJLi8ELi32ELi1EEEENS5_IJLi1ELi0ELi2EEEESC_SC_RKS2Z_KS1O_S39_NS5_IJLi0ELi1ELi2EEEELi2ELi2ELi16ELi16ELi1ELi1ELb0ELb1ELi2EiEENS_13DynamicBufferILNS_16AddressSpaceEnumE1EKSC_lLb1ELNS_22AmdBufferCoherenceEnumE0EiEENSF_IJNS3F_ILS3G_2ESC_S1N_Lb1ELS3I_0EiEES3K_EEENSF_IJiiiEEENSE_INSF_IJNSG_INSF_IJiiiiEEENSF_IJiiiSN_EEELb0EEEEEES1T_S1V_S1U_lEENS_32ThreadwiseTensorSliceTransfer_v2ISD_SD_RKS3R_KS1X_NS5_IJLi8ELi1ELi1ELi32EEEENS5_IJLi1ELi2ELi0ELi3EEEELi3ELi32ELi0ELb1ELb0ELb0EEENS3F_ILS3G_1EKSD_lLb1ELS3I_0EiEENSF_IJNS_12StaticBufferILS3G_4ESD_Li256ELb1EEES42_EEES3N_NS_25StaticBufferTupleOfVectorILS3G_4EfLi64ELi4ELb1ELb0EEEEEvRKT1_RKT2_RT3_RKT4_RT5_RKT6_RKT7_RT8_RKT9_RT10_RKT11_RT12_iENKUlT_T0_E_clINSH_IiLi0EEESN_EEDaS51_S52_ENKUlS51_E_clINSH_IiLi5EEEEEDaS51_EUlS51_E_EEvS51_EUlS51_E_EEvS51_
; %bb.0:
	s_waitcnt vmcnt(0) expcnt(0) lgkmcnt(0)
	flat_load_dwordx4 v[20:23], v[0:1] offset:16
	flat_load_dwordx2 v[18:19], v[0:1] offset:32
	s_movk_i32 s4, 0x7f
                                        ; implicit-def: $sgpr10
	s_waitcnt vmcnt(0) lgkmcnt(0)
	flat_load_dwordx4 v[14:17], v[20:21] offset:32
	flat_load_dwordx4 v[6:9], v[20:21] offset:48
	flat_load_dwordx4 v[10:13], v[22:23]
	flat_load_dwordx4 v[2:5], v[22:23] offset:16
	s_waitcnt vmcnt(0) lgkmcnt(0)
	v_cmp_gt_i16_sdwa s[6:7], v14, s4 src0_sel:BYTE_0 src1_sel:DWORD
	s_mov_b64 s[4:5], 0
	s_and_saveexec_b64 s[8:9], s[6:7]
	s_xor_b64 s[6:7], exec, s[8:9]
	s_cbranch_execnz .LBB33_2049
; %bb.1:
	s_or_saveexec_b64 s[6:7], s[6:7]
	v_mov_b32_e32 v20, s10
	s_xor_b64 exec, exec, s[6:7]
	s_cbranch_execnz .LBB33_2052
.LBB33_2:
	s_or_b64 exec, exec, s[6:7]
	s_and_saveexec_b64 s[6:7], s[4:5]
	s_cbranch_execz .LBB33_4
.LBB33_3:
	v_and_b32_e32 v20, 7, v14
	v_ffbh_u32_e32 v22, v20
	v_min_u32_e32 v22, 32, v22
	v_lshrrev_b16_e32 v21, 3, v14
	v_subrev_u32_e32 v23, 28, v22
	v_and_b32_e32 v21, 15, v21
	v_lshlrev_b32_e32 v23, v23, v14
	v_sub_u32_e32 v22, 29, v22
	v_and_b32_e32 v23, 7, v23
	v_cmp_eq_u16_e32 vcc, 0, v21
	v_cndmask_b32_e32 v20, v20, v23, vcc
	v_cndmask_b32_e32 v21, v21, v22, vcc
	v_lshlrev_b32_e32 v22, 24, v14
	v_mov_b32_e32 v23, 0x3b800000
	v_lshlrev_b32_e32 v20, 20, v20
	v_and_b32_e32 v22, 0x80000000, v22
	v_lshl_add_u32 v21, v21, 23, v23
	v_or3_b32 v20, v22, v21, v20
.LBB33_4:
	s_or_b64 exec, exec, s[6:7]
	s_movk_i32 s4, 0x7f
	v_cmp_gt_i16_sdwa s[6:7], v10, s4 src0_sel:BYTE_0 src1_sel:DWORD
	s_mov_b64 s[4:5], 0
                                        ; implicit-def: $sgpr10
	s_and_saveexec_b64 s[8:9], s[6:7]
	s_xor_b64 s[6:7], exec, s[8:9]
	s_cbranch_execnz .LBB33_2053
; %bb.5:
	s_or_saveexec_b64 s[6:7], s[6:7]
	v_mov_b32_e32 v21, s10
	s_xor_b64 exec, exec, s[6:7]
	s_cbranch_execnz .LBB33_2056
.LBB33_6:
	s_or_b64 exec, exec, s[6:7]
	s_and_saveexec_b64 s[6:7], s[4:5]
	s_cbranch_execz .LBB33_8
.LBB33_7:
	v_and_b32_e32 v21, 7, v10
	v_ffbh_u32_e32 v23, v21
	v_min_u32_e32 v23, 32, v23
	v_lshrrev_b16_e32 v22, 3, v10
	v_subrev_u32_e32 v24, 28, v23
	v_and_b32_e32 v22, 15, v22
	v_lshlrev_b32_e32 v24, v24, v10
	v_sub_u32_e32 v23, 29, v23
	v_and_b32_e32 v24, 7, v24
	v_cmp_eq_u16_e32 vcc, 0, v22
	v_cndmask_b32_e32 v21, v21, v24, vcc
	v_cndmask_b32_e32 v22, v22, v23, vcc
	v_lshlrev_b32_e32 v23, 24, v10
	v_mov_b32_e32 v24, 0x3b800000
	v_lshlrev_b32_e32 v21, 20, v21
	v_and_b32_e32 v23, 0x80000000, v23
	v_lshl_add_u32 v22, v22, 23, v24
	v_or3_b32 v21, v23, v22, v21
.LBB33_8:
	s_or_b64 exec, exec, s[6:7]
	flat_load_dwordx4 a[0:3], v[18:19] offset:640
	s_movk_i32 s4, 0x7f
                                        ; implicit-def: $sgpr10
	s_waitcnt vmcnt(0) lgkmcnt(0)
	v_mfma_f32_16x16x4f32 a[0:3], v20, v21, a[0:3]
	v_lshrrev_b32_e32 v21, 8, v14
	v_cmp_gt_i16_sdwa s[6:7], v21, s4 src0_sel:BYTE_0 src1_sel:DWORD
	s_mov_b64 s[4:5], 0
	s_and_saveexec_b64 s[8:9], s[6:7]
	s_xor_b64 s[6:7], exec, s[8:9]
	s_cbranch_execnz .LBB33_2057
; %bb.9:
	s_or_saveexec_b64 s[6:7], s[6:7]
	v_mov_b32_e32 v20, s10
	s_xor_b64 exec, exec, s[6:7]
	s_cbranch_execnz .LBB33_2060
.LBB33_10:
	s_or_b64 exec, exec, s[6:7]
	s_and_saveexec_b64 s[6:7], s[4:5]
	s_cbranch_execz .LBB33_12
.LBB33_11:
	v_bfe_u32 v20, v14, 8, 3
	v_ffbh_u32_e32 v23, v20
	v_min_u32_e32 v23, 32, v23
	v_lshrrev_b16_e32 v22, 3, v21
	v_subrev_u32_e32 v24, 28, v23
	v_and_b32_e32 v22, 15, v22
	v_lshlrev_b32_e32 v21, v24, v21
	v_sub_u32_e32 v23, 29, v23
	v_and_b32_e32 v21, 7, v21
	v_cmp_eq_u16_e32 vcc, 0, v22
	v_cndmask_b32_e32 v20, v20, v21, vcc
	v_cndmask_b32_e32 v21, v22, v23, vcc
	v_lshlrev_b32_e32 v22, 16, v14
	v_mov_b32_e32 v23, 0x3b800000
	v_lshlrev_b32_e32 v20, 20, v20
	v_and_b32_e32 v22, 0x80000000, v22
	v_lshl_add_u32 v21, v21, 23, v23
	v_or3_b32 v20, v22, v21, v20
.LBB33_12:
	s_or_b64 exec, exec, s[6:7]
	v_lshrrev_b32_e32 v21, 8, v10
	s_movk_i32 s4, 0x7f
	v_cmp_gt_i16_sdwa s[6:7], v21, s4 src0_sel:BYTE_0 src1_sel:DWORD
	s_mov_b64 s[4:5], 0
                                        ; implicit-def: $sgpr10
	s_and_saveexec_b64 s[8:9], s[6:7]
	s_xor_b64 s[6:7], exec, s[8:9]
	s_cbranch_execnz .LBB33_2061
; %bb.13:
	s_or_saveexec_b64 s[6:7], s[6:7]
	v_mov_b32_e32 v22, s10
	s_xor_b64 exec, exec, s[6:7]
	s_cbranch_execnz .LBB33_2064
.LBB33_14:
	s_or_b64 exec, exec, s[6:7]
	s_and_saveexec_b64 s[6:7], s[4:5]
	s_cbranch_execz .LBB33_16
.LBB33_15:
	v_bfe_u32 v22, v10, 8, 3
	v_ffbh_u32_e32 v24, v22
	v_min_u32_e32 v24, 32, v24
	v_lshrrev_b16_e32 v23, 3, v21
	v_subrev_u32_e32 v25, 28, v24
	v_and_b32_e32 v23, 15, v23
	v_lshlrev_b32_e32 v21, v25, v21
	v_sub_u32_e32 v24, 29, v24
	v_and_b32_e32 v21, 7, v21
	v_cmp_eq_u16_e32 vcc, 0, v23
	v_cndmask_b32_e32 v21, v22, v21, vcc
	v_cndmask_b32_e32 v22, v23, v24, vcc
	v_lshlrev_b32_e32 v23, 16, v10
	v_mov_b32_e32 v24, 0x3b800000
	v_lshlrev_b32_e32 v21, 20, v21
	v_and_b32_e32 v23, 0x80000000, v23
	v_lshl_add_u32 v22, v22, 23, v24
	v_or3_b32 v22, v23, v22, v21
.LBB33_16:
	s_or_b64 exec, exec, s[6:7]
	s_nop 0
	v_mfma_f32_16x16x4f32 a[0:3], v20, v22, a[0:3]
	s_movk_i32 s4, 0xff
	v_and_b32_sdwa v21, v14, s4 dst_sel:DWORD dst_unused:UNUSED_PAD src0_sel:WORD_1 src1_sel:DWORD
	s_movk_i32 s4, 0x7f
	v_cmp_lt_i16_e32 vcc, s4, v21
	s_mov_b64 s[4:5], 0
                                        ; implicit-def: $sgpr10
	s_and_saveexec_b64 s[6:7], vcc
	s_xor_b64 s[6:7], exec, s[6:7]
	s_cbranch_execnz .LBB33_2065
; %bb.17:
	s_or_saveexec_b64 s[6:7], s[6:7]
	v_mov_b32_e32 v20, s10
	s_xor_b64 exec, exec, s[6:7]
	s_cbranch_execnz .LBB33_2068
.LBB33_18:
	s_or_b64 exec, exec, s[6:7]
	s_and_saveexec_b64 s[6:7], s[4:5]
	s_cbranch_execz .LBB33_20
.LBB33_19:
	v_bfe_u32 v20, v14, 16, 3
	v_ffbh_u32_e32 v23, v20
	v_min_u32_e32 v23, 32, v23
	v_lshrrev_b32_e32 v21, 19, v14
	v_subrev_u32_e32 v24, 28, v23
	v_and_b32_e32 v21, 15, v21
	v_lshlrev_b32_sdwa v24, v24, v14 dst_sel:DWORD dst_unused:UNUSED_PAD src0_sel:DWORD src1_sel:WORD_1
	v_bfe_u32 v22, v14, 19, 4
	v_sub_u32_e32 v23, 29, v23
	v_and_b32_e32 v24, 7, v24
	v_cmp_eq_u16_e32 vcc, 0, v21
	v_cndmask_b32_e32 v20, v20, v24, vcc
	v_cndmask_b32_e32 v21, v22, v23, vcc
	v_lshlrev_b32_e32 v22, 8, v14
	v_mov_b32_e32 v23, 0x3b800000
	v_lshlrev_b32_e32 v20, 20, v20
	v_and_b32_e32 v22, 0x80000000, v22
	v_lshl_add_u32 v21, v21, 23, v23
	v_or3_b32 v20, v22, v21, v20
.LBB33_20:
	s_or_b64 exec, exec, s[6:7]
	s_movk_i32 s4, 0xff
	v_and_b32_sdwa v21, v10, s4 dst_sel:DWORD dst_unused:UNUSED_PAD src0_sel:WORD_1 src1_sel:DWORD
	s_movk_i32 s4, 0x7f
	v_cmp_lt_i16_e32 vcc, s4, v21
	s_mov_b64 s[4:5], 0
                                        ; implicit-def: $sgpr10
	s_and_saveexec_b64 s[6:7], vcc
	s_xor_b64 s[6:7], exec, s[6:7]
	s_cbranch_execnz .LBB33_2069
; %bb.21:
	s_or_saveexec_b64 s[6:7], s[6:7]
	v_mov_b32_e32 v22, s10
	s_xor_b64 exec, exec, s[6:7]
	s_cbranch_execnz .LBB33_2072
.LBB33_22:
	s_or_b64 exec, exec, s[6:7]
	s_and_saveexec_b64 s[6:7], s[4:5]
	s_cbranch_execz .LBB33_24
.LBB33_23:
	v_bfe_u32 v21, v10, 16, 3
	v_ffbh_u32_e32 v24, v21
	v_min_u32_e32 v24, 32, v24
	v_lshrrev_b32_e32 v22, 19, v10
	v_subrev_u32_e32 v25, 28, v24
	v_and_b32_e32 v22, 15, v22
	v_lshlrev_b32_sdwa v25, v25, v10 dst_sel:DWORD dst_unused:UNUSED_PAD src0_sel:DWORD src1_sel:WORD_1
	v_bfe_u32 v23, v10, 19, 4
	v_sub_u32_e32 v24, 29, v24
	v_and_b32_e32 v25, 7, v25
	v_cmp_eq_u16_e32 vcc, 0, v22
	v_cndmask_b32_e32 v21, v21, v25, vcc
	v_cndmask_b32_e32 v22, v23, v24, vcc
	v_lshlrev_b32_e32 v23, 8, v10
	v_mov_b32_e32 v24, 0x3b800000
	v_lshlrev_b32_e32 v21, 20, v21
	v_and_b32_e32 v23, 0x80000000, v23
	v_lshl_add_u32 v22, v22, 23, v24
	v_or3_b32 v22, v23, v22, v21
.LBB33_24:
	s_or_b64 exec, exec, s[6:7]
	s_nop 0
	v_mfma_f32_16x16x4f32 a[0:3], v20, v22, a[0:3]
	s_movk_i32 s4, 0x7f
	v_cmp_gt_i16_sdwa s[6:7], v14, s4 src0_sel:BYTE_3 src1_sel:DWORD
	s_mov_b64 s[4:5], 0
                                        ; implicit-def: $sgpr10
	s_and_saveexec_b64 s[8:9], s[6:7]
	s_xor_b64 s[6:7], exec, s[8:9]
	s_cbranch_execnz .LBB33_2073
; %bb.25:
	s_or_saveexec_b64 s[6:7], s[6:7]
	v_mov_b32_e32 v20, s10
	s_xor_b64 exec, exec, s[6:7]
	s_cbranch_execnz .LBB33_2076
.LBB33_26:
	s_or_b64 exec, exec, s[6:7]
	s_and_saveexec_b64 s[6:7], s[4:5]
	s_cbranch_execz .LBB33_28
.LBB33_27:
	v_bfe_u32 v20, v14, 24, 3
	v_ffbh_u32_e32 v24, v20
	v_min_u32_e32 v24, 32, v24
	v_lshrrev_b32_e32 v22, 27, v14
	v_subrev_u32_e32 v25, 28, v24
	v_and_b32_e32 v21, 0x80000000, v14
	v_and_b32_e32 v22, 15, v22
	v_bfe_u32 v23, v14, 27, 4
	v_lshlrev_b32_sdwa v14, v25, v14 dst_sel:DWORD dst_unused:UNUSED_PAD src0_sel:DWORD src1_sel:BYTE_3
	v_sub_u32_e32 v24, 29, v24
	v_and_b32_e32 v14, 7, v14
	v_cmp_eq_u16_e32 vcc, 0, v22
	v_cndmask_b32_e32 v14, v20, v14, vcc
	v_cndmask_b32_e32 v20, v23, v24, vcc
	v_mov_b32_e32 v22, 0x3b800000
	v_lshlrev_b32_e32 v14, 20, v14
	v_lshl_add_u32 v20, v20, 23, v22
	v_or3_b32 v20, v21, v20, v14
.LBB33_28:
	s_or_b64 exec, exec, s[6:7]
	s_movk_i32 s4, 0x7f
	v_cmp_gt_i16_sdwa s[6:7], v10, s4 src0_sel:BYTE_3 src1_sel:DWORD
	s_mov_b64 s[4:5], 0
                                        ; implicit-def: $sgpr10
	s_and_saveexec_b64 s[8:9], s[6:7]
	s_xor_b64 s[6:7], exec, s[8:9]
	s_cbranch_execnz .LBB33_2077
; %bb.29:
	s_or_saveexec_b64 s[6:7], s[6:7]
	v_mov_b32_e32 v14, s10
	s_xor_b64 exec, exec, s[6:7]
	s_cbranch_execnz .LBB33_2080
.LBB33_30:
	s_or_b64 exec, exec, s[6:7]
	s_and_saveexec_b64 s[6:7], s[4:5]
	s_cbranch_execz .LBB33_32
.LBB33_31:
	v_bfe_u32 v14, v10, 24, 3
	v_ffbh_u32_e32 v24, v14
	v_min_u32_e32 v24, 32, v24
	v_lshrrev_b32_e32 v22, 27, v10
	v_subrev_u32_e32 v25, 28, v24
	v_and_b32_e32 v21, 0x80000000, v10
	v_and_b32_e32 v22, 15, v22
	v_bfe_u32 v23, v10, 27, 4
	v_lshlrev_b32_sdwa v10, v25, v10 dst_sel:DWORD dst_unused:UNUSED_PAD src0_sel:DWORD src1_sel:BYTE_3
	v_sub_u32_e32 v24, 29, v24
	v_and_b32_e32 v10, 7, v10
	v_cmp_eq_u16_e32 vcc, 0, v22
	v_cndmask_b32_e32 v10, v14, v10, vcc
	v_cndmask_b32_e32 v14, v23, v24, vcc
	v_mov_b32_e32 v22, 0x3b800000
	v_lshlrev_b32_e32 v10, 20, v10
	v_lshl_add_u32 v14, v14, 23, v22
	v_or3_b32 v14, v21, v14, v10
.LBB33_32:
	s_or_b64 exec, exec, s[6:7]
	s_nop 0
	v_mfma_f32_16x16x4f32 a[0:3], v20, v14, a[0:3]
	s_movk_i32 s4, 0x7f
	v_cmp_gt_i16_sdwa s[6:7], v15, s4 src0_sel:BYTE_0 src1_sel:DWORD
	s_mov_b64 s[4:5], 0
                                        ; implicit-def: $sgpr10
	s_and_saveexec_b64 s[8:9], s[6:7]
	s_xor_b64 s[6:7], exec, s[8:9]
	s_cbranch_execnz .LBB33_2081
; %bb.33:
	s_or_saveexec_b64 s[6:7], s[6:7]
	v_mov_b32_e32 v10, s10
	s_xor_b64 exec, exec, s[6:7]
	s_cbranch_execnz .LBB33_2084
.LBB33_34:
	s_or_b64 exec, exec, s[6:7]
	s_and_saveexec_b64 s[6:7], s[4:5]
	s_cbranch_execz .LBB33_36
.LBB33_35:
	v_and_b32_e32 v10, 7, v15
	v_ffbh_u32_e32 v20, v10
	v_min_u32_e32 v20, 32, v20
	v_lshrrev_b16_e32 v14, 3, v15
	v_subrev_u32_e32 v21, 28, v20
	v_and_b32_e32 v14, 15, v14
	v_lshlrev_b32_e32 v21, v21, v15
	v_sub_u32_e32 v20, 29, v20
	v_and_b32_e32 v21, 7, v21
	v_cmp_eq_u16_e32 vcc, 0, v14
	v_cndmask_b32_e32 v10, v10, v21, vcc
	v_cndmask_b32_e32 v14, v14, v20, vcc
	v_lshlrev_b32_e32 v20, 24, v15
	v_mov_b32_e32 v21, 0x3b800000
	v_lshlrev_b32_e32 v10, 20, v10
	v_and_b32_e32 v20, 0x80000000, v20
	v_lshl_add_u32 v14, v14, 23, v21
	v_or3_b32 v10, v20, v14, v10
.LBB33_36:
	s_or_b64 exec, exec, s[6:7]
	s_movk_i32 s4, 0x7f
	v_cmp_gt_i16_sdwa s[6:7], v11, s4 src0_sel:BYTE_0 src1_sel:DWORD
	s_mov_b64 s[4:5], 0
                                        ; implicit-def: $sgpr10
	s_and_saveexec_b64 s[8:9], s[6:7]
	s_xor_b64 s[6:7], exec, s[8:9]
	s_cbranch_execnz .LBB33_2085
; %bb.37:
	s_or_saveexec_b64 s[6:7], s[6:7]
	v_mov_b32_e32 v14, s10
	s_xor_b64 exec, exec, s[6:7]
	s_cbranch_execnz .LBB33_2088
.LBB33_38:
	s_or_b64 exec, exec, s[6:7]
	s_and_saveexec_b64 s[6:7], s[4:5]
	s_cbranch_execz .LBB33_40
.LBB33_39:
	v_and_b32_e32 v14, 7, v11
	v_ffbh_u32_e32 v21, v14
	v_min_u32_e32 v21, 32, v21
	v_lshrrev_b16_e32 v20, 3, v11
	v_subrev_u32_e32 v22, 28, v21
	v_and_b32_e32 v20, 15, v20
	v_lshlrev_b32_e32 v22, v22, v11
	v_sub_u32_e32 v21, 29, v21
	v_and_b32_e32 v22, 7, v22
	v_cmp_eq_u16_e32 vcc, 0, v20
	v_cndmask_b32_e32 v14, v14, v22, vcc
	v_cndmask_b32_e32 v20, v20, v21, vcc
	v_lshlrev_b32_e32 v21, 24, v11
	v_mov_b32_e32 v22, 0x3b800000
	v_lshlrev_b32_e32 v14, 20, v14
	v_and_b32_e32 v21, 0x80000000, v21
	v_lshl_add_u32 v20, v20, 23, v22
	v_or3_b32 v14, v21, v20, v14
.LBB33_40:
	s_or_b64 exec, exec, s[6:7]
	s_nop 0
	v_mfma_f32_16x16x4f32 a[0:3], v10, v14, a[0:3]
	v_lshrrev_b32_e32 v14, 8, v15
	s_movk_i32 s4, 0x7f
	v_cmp_gt_i16_sdwa s[6:7], v14, s4 src0_sel:BYTE_0 src1_sel:DWORD
	s_mov_b64 s[4:5], 0
                                        ; implicit-def: $sgpr10
	s_and_saveexec_b64 s[8:9], s[6:7]
	s_xor_b64 s[6:7], exec, s[8:9]
	s_cbranch_execnz .LBB33_2089
; %bb.41:
	s_or_saveexec_b64 s[6:7], s[6:7]
	v_mov_b32_e32 v10, s10
	s_xor_b64 exec, exec, s[6:7]
	s_cbranch_execnz .LBB33_2092
.LBB33_42:
	s_or_b64 exec, exec, s[6:7]
	s_and_saveexec_b64 s[6:7], s[4:5]
	s_cbranch_execz .LBB33_44
.LBB33_43:
	v_bfe_u32 v10, v15, 8, 3
	v_ffbh_u32_e32 v21, v10
	v_min_u32_e32 v21, 32, v21
	v_lshrrev_b16_e32 v20, 3, v14
	v_subrev_u32_e32 v22, 28, v21
	v_and_b32_e32 v20, 15, v20
	v_lshlrev_b32_e32 v14, v22, v14
	v_sub_u32_e32 v21, 29, v21
	v_and_b32_e32 v14, 7, v14
	v_cmp_eq_u16_e32 vcc, 0, v20
	v_cndmask_b32_e32 v10, v10, v14, vcc
	v_cndmask_b32_e32 v14, v20, v21, vcc
	v_lshlrev_b32_e32 v20, 16, v15
	v_mov_b32_e32 v21, 0x3b800000
	v_lshlrev_b32_e32 v10, 20, v10
	v_and_b32_e32 v20, 0x80000000, v20
	v_lshl_add_u32 v14, v14, 23, v21
	v_or3_b32 v10, v20, v14, v10
.LBB33_44:
	s_or_b64 exec, exec, s[6:7]
	v_lshrrev_b32_e32 v14, 8, v11
	s_movk_i32 s4, 0x7f
	v_cmp_gt_i16_sdwa s[6:7], v14, s4 src0_sel:BYTE_0 src1_sel:DWORD
	s_mov_b64 s[4:5], 0
                                        ; implicit-def: $sgpr10
	s_and_saveexec_b64 s[8:9], s[6:7]
	s_xor_b64 s[6:7], exec, s[8:9]
	s_cbranch_execnz .LBB33_2093
; %bb.45:
	s_or_saveexec_b64 s[6:7], s[6:7]
	v_mov_b32_e32 v20, s10
	s_xor_b64 exec, exec, s[6:7]
	s_cbranch_execnz .LBB33_2096
.LBB33_46:
	s_or_b64 exec, exec, s[6:7]
	s_and_saveexec_b64 s[6:7], s[4:5]
	s_cbranch_execz .LBB33_48
.LBB33_47:
	v_bfe_u32 v20, v11, 8, 3
	v_ffbh_u32_e32 v22, v20
	v_min_u32_e32 v22, 32, v22
	v_lshrrev_b16_e32 v21, 3, v14
	v_subrev_u32_e32 v23, 28, v22
	v_and_b32_e32 v21, 15, v21
	v_lshlrev_b32_e32 v14, v23, v14
	v_sub_u32_e32 v22, 29, v22
	v_and_b32_e32 v14, 7, v14
	v_cmp_eq_u16_e32 vcc, 0, v21
	v_cndmask_b32_e32 v14, v20, v14, vcc
	v_cndmask_b32_e32 v20, v21, v22, vcc
	v_lshlrev_b32_e32 v21, 16, v11
	v_mov_b32_e32 v22, 0x3b800000
	v_lshlrev_b32_e32 v14, 20, v14
	v_and_b32_e32 v21, 0x80000000, v21
	v_lshl_add_u32 v20, v20, 23, v22
	v_or3_b32 v20, v21, v20, v14
.LBB33_48:
	s_or_b64 exec, exec, s[6:7]
	s_nop 0
	v_mfma_f32_16x16x4f32 a[0:3], v10, v20, a[0:3]
	s_movk_i32 s4, 0xff
	v_and_b32_sdwa v14, v15, s4 dst_sel:DWORD dst_unused:UNUSED_PAD src0_sel:WORD_1 src1_sel:DWORD
	s_movk_i32 s4, 0x7f
	v_cmp_lt_i16_e32 vcc, s4, v14
	s_mov_b64 s[4:5], 0
                                        ; implicit-def: $sgpr10
	s_and_saveexec_b64 s[6:7], vcc
	s_xor_b64 s[6:7], exec, s[6:7]
	s_cbranch_execnz .LBB33_2097
; %bb.49:
	s_or_saveexec_b64 s[6:7], s[6:7]
	v_mov_b32_e32 v10, s10
	s_xor_b64 exec, exec, s[6:7]
	s_cbranch_execnz .LBB33_2100
.LBB33_50:
	s_or_b64 exec, exec, s[6:7]
	s_and_saveexec_b64 s[6:7], s[4:5]
	s_cbranch_execz .LBB33_52
.LBB33_51:
	v_bfe_u32 v10, v15, 16, 3
	v_ffbh_u32_e32 v21, v10
	v_min_u32_e32 v21, 32, v21
	v_lshrrev_b32_e32 v14, 19, v15
	v_subrev_u32_e32 v22, 28, v21
	v_and_b32_e32 v14, 15, v14
	v_lshlrev_b32_sdwa v22, v22, v15 dst_sel:DWORD dst_unused:UNUSED_PAD src0_sel:DWORD src1_sel:WORD_1
	v_bfe_u32 v20, v15, 19, 4
	v_sub_u32_e32 v21, 29, v21
	v_and_b32_e32 v22, 7, v22
	v_cmp_eq_u16_e32 vcc, 0, v14
	v_cndmask_b32_e32 v10, v10, v22, vcc
	v_cndmask_b32_e32 v14, v20, v21, vcc
	v_lshlrev_b32_e32 v20, 8, v15
	v_mov_b32_e32 v21, 0x3b800000
	v_lshlrev_b32_e32 v10, 20, v10
	v_and_b32_e32 v20, 0x80000000, v20
	v_lshl_add_u32 v14, v14, 23, v21
	v_or3_b32 v10, v20, v14, v10
.LBB33_52:
	s_or_b64 exec, exec, s[6:7]
	s_movk_i32 s4, 0xff
	v_and_b32_sdwa v14, v11, s4 dst_sel:DWORD dst_unused:UNUSED_PAD src0_sel:WORD_1 src1_sel:DWORD
	s_movk_i32 s4, 0x7f
	v_cmp_lt_i16_e32 vcc, s4, v14
	s_mov_b64 s[4:5], 0
                                        ; implicit-def: $sgpr10
	s_and_saveexec_b64 s[6:7], vcc
	s_xor_b64 s[6:7], exec, s[6:7]
	s_cbranch_execnz .LBB33_2101
; %bb.53:
	s_or_saveexec_b64 s[6:7], s[6:7]
	v_mov_b32_e32 v20, s10
	s_xor_b64 exec, exec, s[6:7]
	s_cbranch_execnz .LBB33_2104
.LBB33_54:
	s_or_b64 exec, exec, s[6:7]
	s_and_saveexec_b64 s[6:7], s[4:5]
	s_cbranch_execz .LBB33_56
.LBB33_55:
	v_bfe_u32 v14, v11, 16, 3
	v_ffbh_u32_e32 v22, v14
	v_min_u32_e32 v22, 32, v22
	v_lshrrev_b32_e32 v20, 19, v11
	v_subrev_u32_e32 v23, 28, v22
	v_and_b32_e32 v20, 15, v20
	v_lshlrev_b32_sdwa v23, v23, v11 dst_sel:DWORD dst_unused:UNUSED_PAD src0_sel:DWORD src1_sel:WORD_1
	v_bfe_u32 v21, v11, 19, 4
	v_sub_u32_e32 v22, 29, v22
	v_and_b32_e32 v23, 7, v23
	v_cmp_eq_u16_e32 vcc, 0, v20
	v_cndmask_b32_e32 v14, v14, v23, vcc
	v_cndmask_b32_e32 v20, v21, v22, vcc
	v_lshlrev_b32_e32 v21, 8, v11
	v_mov_b32_e32 v22, 0x3b800000
	v_lshlrev_b32_e32 v14, 20, v14
	v_and_b32_e32 v21, 0x80000000, v21
	v_lshl_add_u32 v20, v20, 23, v22
	v_or3_b32 v20, v21, v20, v14
.LBB33_56:
	s_or_b64 exec, exec, s[6:7]
	s_nop 0
	v_mfma_f32_16x16x4f32 a[0:3], v10, v20, a[0:3]
	s_movk_i32 s4, 0x7f
	v_cmp_gt_i16_sdwa s[6:7], v15, s4 src0_sel:BYTE_3 src1_sel:DWORD
	s_mov_b64 s[4:5], 0
                                        ; implicit-def: $sgpr10
	s_and_saveexec_b64 s[8:9], s[6:7]
	s_xor_b64 s[6:7], exec, s[8:9]
	s_cbranch_execnz .LBB33_2105
; %bb.57:
	s_or_saveexec_b64 s[6:7], s[6:7]
	v_mov_b32_e32 v10, s10
	s_xor_b64 exec, exec, s[6:7]
	s_cbranch_execnz .LBB33_2108
.LBB33_58:
	s_or_b64 exec, exec, s[6:7]
	s_and_saveexec_b64 s[6:7], s[4:5]
	s_cbranch_execz .LBB33_60
.LBB33_59:
	v_bfe_u32 v10, v15, 24, 3
	v_ffbh_u32_e32 v22, v10
	v_min_u32_e32 v22, 32, v22
	v_lshrrev_b32_e32 v20, 27, v15
	v_subrev_u32_e32 v23, 28, v22
	v_and_b32_e32 v14, 0x80000000, v15
	v_and_b32_e32 v20, 15, v20
	v_bfe_u32 v21, v15, 27, 4
	v_lshlrev_b32_sdwa v15, v23, v15 dst_sel:DWORD dst_unused:UNUSED_PAD src0_sel:DWORD src1_sel:BYTE_3
	v_sub_u32_e32 v22, 29, v22
	v_and_b32_e32 v15, 7, v15
	v_cmp_eq_u16_e32 vcc, 0, v20
	v_cndmask_b32_e32 v10, v10, v15, vcc
	v_cndmask_b32_e32 v15, v21, v22, vcc
	v_mov_b32_e32 v20, 0x3b800000
	v_lshlrev_b32_e32 v10, 20, v10
	v_lshl_add_u32 v15, v15, 23, v20
	v_or3_b32 v10, v14, v15, v10
.LBB33_60:
	s_or_b64 exec, exec, s[6:7]
	s_movk_i32 s4, 0x7f
	v_cmp_gt_i16_sdwa s[6:7], v11, s4 src0_sel:BYTE_3 src1_sel:DWORD
	s_mov_b64 s[4:5], 0
                                        ; implicit-def: $sgpr10
	s_and_saveexec_b64 s[8:9], s[6:7]
	s_xor_b64 s[6:7], exec, s[8:9]
	s_cbranch_execnz .LBB33_2109
; %bb.61:
	s_or_saveexec_b64 s[6:7], s[6:7]
	v_mov_b32_e32 v14, s10
	s_xor_b64 exec, exec, s[6:7]
	s_cbranch_execnz .LBB33_2112
.LBB33_62:
	s_or_b64 exec, exec, s[6:7]
	s_and_saveexec_b64 s[6:7], s[4:5]
	s_cbranch_execz .LBB33_64
.LBB33_63:
	v_bfe_u32 v14, v11, 24, 3
	v_ffbh_u32_e32 v22, v14
	v_min_u32_e32 v22, 32, v22
	v_lshrrev_b32_e32 v20, 27, v11
	v_subrev_u32_e32 v23, 28, v22
	v_and_b32_e32 v15, 0x80000000, v11
	v_and_b32_e32 v20, 15, v20
	v_bfe_u32 v21, v11, 27, 4
	v_lshlrev_b32_sdwa v11, v23, v11 dst_sel:DWORD dst_unused:UNUSED_PAD src0_sel:DWORD src1_sel:BYTE_3
	v_sub_u32_e32 v22, 29, v22
	v_and_b32_e32 v11, 7, v11
	v_cmp_eq_u16_e32 vcc, 0, v20
	v_cndmask_b32_e32 v11, v14, v11, vcc
	v_cndmask_b32_e32 v14, v21, v22, vcc
	v_mov_b32_e32 v20, 0x3b800000
	v_lshlrev_b32_e32 v11, 20, v11
	v_lshl_add_u32 v14, v14, 23, v20
	v_or3_b32 v14, v15, v14, v11
.LBB33_64:
	s_or_b64 exec, exec, s[6:7]
	s_nop 0
	v_mfma_f32_16x16x4f32 a[0:3], v10, v14, a[0:3]
	s_movk_i32 s4, 0x7f
	v_cmp_gt_i16_sdwa s[6:7], v16, s4 src0_sel:BYTE_0 src1_sel:DWORD
	s_mov_b64 s[4:5], 0
                                        ; implicit-def: $sgpr10
	s_and_saveexec_b64 s[8:9], s[6:7]
	s_xor_b64 s[6:7], exec, s[8:9]
	s_cbranch_execnz .LBB33_2113
; %bb.65:
	s_or_saveexec_b64 s[6:7], s[6:7]
	v_mov_b32_e32 v10, s10
	s_xor_b64 exec, exec, s[6:7]
	s_cbranch_execnz .LBB33_2116
.LBB33_66:
	s_or_b64 exec, exec, s[6:7]
	s_and_saveexec_b64 s[6:7], s[4:5]
	s_cbranch_execz .LBB33_68
.LBB33_67:
	v_and_b32_e32 v10, 7, v16
	v_ffbh_u32_e32 v14, v10
	v_min_u32_e32 v14, 32, v14
	v_lshrrev_b16_e32 v11, 3, v16
	v_subrev_u32_e32 v15, 28, v14
	v_and_b32_e32 v11, 15, v11
	v_lshlrev_b32_e32 v15, v15, v16
	v_sub_u32_e32 v14, 29, v14
	v_and_b32_e32 v15, 7, v15
	v_cmp_eq_u16_e32 vcc, 0, v11
	v_cndmask_b32_e32 v10, v10, v15, vcc
	v_cndmask_b32_e32 v11, v11, v14, vcc
	v_lshlrev_b32_e32 v14, 24, v16
	v_mov_b32_e32 v15, 0x3b800000
	v_lshlrev_b32_e32 v10, 20, v10
	v_and_b32_e32 v14, 0x80000000, v14
	v_lshl_add_u32 v11, v11, 23, v15
	v_or3_b32 v10, v14, v11, v10
.LBB33_68:
	s_or_b64 exec, exec, s[6:7]
	s_movk_i32 s4, 0x7f
	v_cmp_gt_i16_sdwa s[6:7], v12, s4 src0_sel:BYTE_0 src1_sel:DWORD
	s_mov_b64 s[4:5], 0
                                        ; implicit-def: $sgpr10
	s_and_saveexec_b64 s[8:9], s[6:7]
	s_xor_b64 s[6:7], exec, s[8:9]
	s_cbranch_execnz .LBB33_2117
; %bb.69:
	s_or_saveexec_b64 s[6:7], s[6:7]
	v_mov_b32_e32 v11, s10
	s_xor_b64 exec, exec, s[6:7]
	s_cbranch_execnz .LBB33_2120
.LBB33_70:
	s_or_b64 exec, exec, s[6:7]
	s_and_saveexec_b64 s[6:7], s[4:5]
	s_cbranch_execz .LBB33_72
.LBB33_71:
	v_and_b32_e32 v11, 7, v12
	v_ffbh_u32_e32 v15, v11
	v_min_u32_e32 v15, 32, v15
	v_lshrrev_b16_e32 v14, 3, v12
	v_subrev_u32_e32 v20, 28, v15
	v_and_b32_e32 v14, 15, v14
	v_lshlrev_b32_e32 v20, v20, v12
	v_sub_u32_e32 v15, 29, v15
	v_and_b32_e32 v20, 7, v20
	v_cmp_eq_u16_e32 vcc, 0, v14
	v_cndmask_b32_e32 v11, v11, v20, vcc
	v_cndmask_b32_e32 v14, v14, v15, vcc
	v_lshlrev_b32_e32 v15, 24, v12
	v_mov_b32_e32 v20, 0x3b800000
	v_lshlrev_b32_e32 v11, 20, v11
	v_and_b32_e32 v15, 0x80000000, v15
	v_lshl_add_u32 v14, v14, 23, v20
	v_or3_b32 v11, v15, v14, v11
.LBB33_72:
	s_or_b64 exec, exec, s[6:7]
	s_nop 0
	v_mfma_f32_16x16x4f32 a[0:3], v10, v11, a[0:3]
	v_lshrrev_b32_e32 v11, 8, v16
	s_movk_i32 s4, 0x7f
	v_cmp_gt_i16_sdwa s[6:7], v11, s4 src0_sel:BYTE_0 src1_sel:DWORD
	s_mov_b64 s[4:5], 0
                                        ; implicit-def: $sgpr10
	s_and_saveexec_b64 s[8:9], s[6:7]
	s_xor_b64 s[6:7], exec, s[8:9]
	s_cbranch_execnz .LBB33_2121
; %bb.73:
	s_or_saveexec_b64 s[6:7], s[6:7]
	v_mov_b32_e32 v10, s10
	s_xor_b64 exec, exec, s[6:7]
	s_cbranch_execnz .LBB33_2124
.LBB33_74:
	s_or_b64 exec, exec, s[6:7]
	s_and_saveexec_b64 s[6:7], s[4:5]
	s_cbranch_execz .LBB33_76
.LBB33_75:
	v_bfe_u32 v10, v16, 8, 3
	v_ffbh_u32_e32 v15, v10
	v_min_u32_e32 v15, 32, v15
	v_lshrrev_b16_e32 v14, 3, v11
	v_subrev_u32_e32 v20, 28, v15
	v_and_b32_e32 v14, 15, v14
	v_lshlrev_b32_e32 v11, v20, v11
	v_sub_u32_e32 v15, 29, v15
	v_and_b32_e32 v11, 7, v11
	v_cmp_eq_u16_e32 vcc, 0, v14
	v_cndmask_b32_e32 v10, v10, v11, vcc
	v_cndmask_b32_e32 v11, v14, v15, vcc
	v_lshlrev_b32_e32 v14, 16, v16
	v_mov_b32_e32 v15, 0x3b800000
	v_lshlrev_b32_e32 v10, 20, v10
	v_and_b32_e32 v14, 0x80000000, v14
	v_lshl_add_u32 v11, v11, 23, v15
	v_or3_b32 v10, v14, v11, v10
.LBB33_76:
	s_or_b64 exec, exec, s[6:7]
	v_lshrrev_b32_e32 v11, 8, v12
	s_movk_i32 s4, 0x7f
	v_cmp_gt_i16_sdwa s[6:7], v11, s4 src0_sel:BYTE_0 src1_sel:DWORD
	s_mov_b64 s[4:5], 0
                                        ; implicit-def: $sgpr10
	s_and_saveexec_b64 s[8:9], s[6:7]
	s_xor_b64 s[6:7], exec, s[8:9]
	s_cbranch_execnz .LBB33_2125
; %bb.77:
	s_or_saveexec_b64 s[6:7], s[6:7]
	v_mov_b32_e32 v14, s10
	s_xor_b64 exec, exec, s[6:7]
	s_cbranch_execnz .LBB33_2128
.LBB33_78:
	s_or_b64 exec, exec, s[6:7]
	s_and_saveexec_b64 s[6:7], s[4:5]
	s_cbranch_execz .LBB33_80
.LBB33_79:
	v_bfe_u32 v14, v12, 8, 3
	v_ffbh_u32_e32 v20, v14
	v_min_u32_e32 v20, 32, v20
	v_lshrrev_b16_e32 v15, 3, v11
	v_subrev_u32_e32 v21, 28, v20
	v_and_b32_e32 v15, 15, v15
	v_lshlrev_b32_e32 v11, v21, v11
	v_sub_u32_e32 v20, 29, v20
	v_and_b32_e32 v11, 7, v11
	v_cmp_eq_u16_e32 vcc, 0, v15
	v_cndmask_b32_e32 v11, v14, v11, vcc
	v_cndmask_b32_e32 v14, v15, v20, vcc
	v_lshlrev_b32_e32 v15, 16, v12
	v_mov_b32_e32 v20, 0x3b800000
	v_lshlrev_b32_e32 v11, 20, v11
	v_and_b32_e32 v15, 0x80000000, v15
	v_lshl_add_u32 v14, v14, 23, v20
	v_or3_b32 v14, v15, v14, v11
.LBB33_80:
	s_or_b64 exec, exec, s[6:7]
	s_nop 0
	v_mfma_f32_16x16x4f32 a[0:3], v10, v14, a[0:3]
	s_movk_i32 s4, 0xff
	v_and_b32_sdwa v11, v16, s4 dst_sel:DWORD dst_unused:UNUSED_PAD src0_sel:WORD_1 src1_sel:DWORD
	s_movk_i32 s4, 0x7f
	v_cmp_lt_i16_e32 vcc, s4, v11
	s_mov_b64 s[4:5], 0
                                        ; implicit-def: $sgpr10
	s_and_saveexec_b64 s[6:7], vcc
	s_xor_b64 s[6:7], exec, s[6:7]
	s_cbranch_execnz .LBB33_2129
; %bb.81:
	s_or_saveexec_b64 s[6:7], s[6:7]
	v_mov_b32_e32 v10, s10
	s_xor_b64 exec, exec, s[6:7]
	s_cbranch_execnz .LBB33_2132
.LBB33_82:
	s_or_b64 exec, exec, s[6:7]
	s_and_saveexec_b64 s[6:7], s[4:5]
	s_cbranch_execz .LBB33_84
.LBB33_83:
	v_bfe_u32 v10, v16, 16, 3
	v_ffbh_u32_e32 v15, v10
	v_min_u32_e32 v15, 32, v15
	v_lshrrev_b32_e32 v11, 19, v16
	v_subrev_u32_e32 v20, 28, v15
	v_and_b32_e32 v11, 15, v11
	v_lshlrev_b32_sdwa v20, v20, v16 dst_sel:DWORD dst_unused:UNUSED_PAD src0_sel:DWORD src1_sel:WORD_1
	v_bfe_u32 v14, v16, 19, 4
	v_sub_u32_e32 v15, 29, v15
	v_and_b32_e32 v20, 7, v20
	v_cmp_eq_u16_e32 vcc, 0, v11
	v_cndmask_b32_e32 v10, v10, v20, vcc
	v_cndmask_b32_e32 v11, v14, v15, vcc
	v_lshlrev_b32_e32 v14, 8, v16
	v_mov_b32_e32 v15, 0x3b800000
	v_lshlrev_b32_e32 v10, 20, v10
	v_and_b32_e32 v14, 0x80000000, v14
	v_lshl_add_u32 v11, v11, 23, v15
	v_or3_b32 v10, v14, v11, v10
.LBB33_84:
	s_or_b64 exec, exec, s[6:7]
	s_movk_i32 s4, 0xff
	v_and_b32_sdwa v11, v12, s4 dst_sel:DWORD dst_unused:UNUSED_PAD src0_sel:WORD_1 src1_sel:DWORD
	s_movk_i32 s4, 0x7f
	v_cmp_lt_i16_e32 vcc, s4, v11
	s_mov_b64 s[4:5], 0
                                        ; implicit-def: $sgpr10
	s_and_saveexec_b64 s[6:7], vcc
	s_xor_b64 s[6:7], exec, s[6:7]
	s_cbranch_execnz .LBB33_2133
; %bb.85:
	s_or_saveexec_b64 s[6:7], s[6:7]
	v_mov_b32_e32 v14, s10
	s_xor_b64 exec, exec, s[6:7]
	s_cbranch_execnz .LBB33_2136
.LBB33_86:
	s_or_b64 exec, exec, s[6:7]
	s_and_saveexec_b64 s[6:7], s[4:5]
	s_cbranch_execz .LBB33_88
.LBB33_87:
	v_bfe_u32 v11, v12, 16, 3
	v_ffbh_u32_e32 v20, v11
	v_min_u32_e32 v20, 32, v20
	v_lshrrev_b32_e32 v14, 19, v12
	v_subrev_u32_e32 v21, 28, v20
	v_and_b32_e32 v14, 15, v14
	v_lshlrev_b32_sdwa v21, v21, v12 dst_sel:DWORD dst_unused:UNUSED_PAD src0_sel:DWORD src1_sel:WORD_1
	v_bfe_u32 v15, v12, 19, 4
	v_sub_u32_e32 v20, 29, v20
	v_and_b32_e32 v21, 7, v21
	v_cmp_eq_u16_e32 vcc, 0, v14
	v_cndmask_b32_e32 v11, v11, v21, vcc
	v_cndmask_b32_e32 v14, v15, v20, vcc
	v_lshlrev_b32_e32 v15, 8, v12
	v_mov_b32_e32 v20, 0x3b800000
	v_lshlrev_b32_e32 v11, 20, v11
	v_and_b32_e32 v15, 0x80000000, v15
	v_lshl_add_u32 v14, v14, 23, v20
	v_or3_b32 v14, v15, v14, v11
.LBB33_88:
	s_or_b64 exec, exec, s[6:7]
	s_nop 0
	v_mfma_f32_16x16x4f32 a[0:3], v10, v14, a[0:3]
	s_movk_i32 s4, 0x7f
	v_cmp_gt_i16_sdwa s[6:7], v16, s4 src0_sel:BYTE_3 src1_sel:DWORD
	s_mov_b64 s[4:5], 0
                                        ; implicit-def: $sgpr10
	s_and_saveexec_b64 s[8:9], s[6:7]
	s_xor_b64 s[6:7], exec, s[8:9]
	s_cbranch_execnz .LBB33_2137
; %bb.89:
	s_or_saveexec_b64 s[6:7], s[6:7]
	v_mov_b32_e32 v10, s10
	s_xor_b64 exec, exec, s[6:7]
	s_cbranch_execnz .LBB33_2140
.LBB33_90:
	s_or_b64 exec, exec, s[6:7]
	s_and_saveexec_b64 s[6:7], s[4:5]
	s_cbranch_execz .LBB33_92
.LBB33_91:
	v_bfe_u32 v10, v16, 24, 3
	v_ffbh_u32_e32 v20, v10
	v_min_u32_e32 v20, 32, v20
	v_lshrrev_b32_e32 v14, 27, v16
	v_subrev_u32_e32 v21, 28, v20
	v_and_b32_e32 v11, 0x80000000, v16
	v_and_b32_e32 v14, 15, v14
	v_bfe_u32 v15, v16, 27, 4
	v_lshlrev_b32_sdwa v16, v21, v16 dst_sel:DWORD dst_unused:UNUSED_PAD src0_sel:DWORD src1_sel:BYTE_3
	v_sub_u32_e32 v20, 29, v20
	v_and_b32_e32 v16, 7, v16
	v_cmp_eq_u16_e32 vcc, 0, v14
	v_cndmask_b32_e32 v10, v10, v16, vcc
	v_cndmask_b32_e32 v14, v15, v20, vcc
	v_mov_b32_e32 v15, 0x3b800000
	v_lshlrev_b32_e32 v10, 20, v10
	v_lshl_add_u32 v14, v14, 23, v15
	v_or3_b32 v10, v11, v14, v10
.LBB33_92:
	s_or_b64 exec, exec, s[6:7]
	s_movk_i32 s4, 0x7f
	v_cmp_gt_i16_sdwa s[6:7], v12, s4 src0_sel:BYTE_3 src1_sel:DWORD
	s_mov_b64 s[4:5], 0
                                        ; implicit-def: $sgpr10
	s_and_saveexec_b64 s[8:9], s[6:7]
	s_xor_b64 s[6:7], exec, s[8:9]
	s_cbranch_execnz .LBB33_2141
; %bb.93:
	s_or_saveexec_b64 s[6:7], s[6:7]
	v_mov_b32_e32 v11, s10
	s_xor_b64 exec, exec, s[6:7]
	s_cbranch_execnz .LBB33_2144
.LBB33_94:
	s_or_b64 exec, exec, s[6:7]
	s_and_saveexec_b64 s[6:7], s[4:5]
	s_cbranch_execz .LBB33_96
.LBB33_95:
	v_bfe_u32 v11, v12, 24, 3
	v_ffbh_u32_e32 v20, v11
	v_min_u32_e32 v20, 32, v20
	v_lshrrev_b32_e32 v15, 27, v12
	v_subrev_u32_e32 v21, 28, v20
	v_and_b32_e32 v14, 0x80000000, v12
	v_and_b32_e32 v15, 15, v15
	v_bfe_u32 v16, v12, 27, 4
	v_lshlrev_b32_sdwa v12, v21, v12 dst_sel:DWORD dst_unused:UNUSED_PAD src0_sel:DWORD src1_sel:BYTE_3
	v_sub_u32_e32 v20, 29, v20
	v_and_b32_e32 v12, 7, v12
	v_cmp_eq_u16_e32 vcc, 0, v15
	v_cndmask_b32_e32 v11, v11, v12, vcc
	v_cndmask_b32_e32 v12, v16, v20, vcc
	v_mov_b32_e32 v15, 0x3b800000
	v_lshlrev_b32_e32 v11, 20, v11
	v_lshl_add_u32 v12, v12, 23, v15
	v_or3_b32 v11, v14, v12, v11
.LBB33_96:
	s_or_b64 exec, exec, s[6:7]
	s_nop 0
	v_mfma_f32_16x16x4f32 a[0:3], v10, v11, a[0:3]
	s_movk_i32 s4, 0x7f
	v_cmp_gt_i16_sdwa s[6:7], v17, s4 src0_sel:BYTE_0 src1_sel:DWORD
	s_mov_b64 s[4:5], 0
                                        ; implicit-def: $sgpr10
	s_and_saveexec_b64 s[8:9], s[6:7]
	s_xor_b64 s[6:7], exec, s[8:9]
	s_cbranch_execnz .LBB33_2145
; %bb.97:
	s_or_saveexec_b64 s[6:7], s[6:7]
	v_mov_b32_e32 v10, s10
	s_xor_b64 exec, exec, s[6:7]
	s_cbranch_execnz .LBB33_2148
.LBB33_98:
	s_or_b64 exec, exec, s[6:7]
	s_and_saveexec_b64 s[6:7], s[4:5]
	s_cbranch_execz .LBB33_100
.LBB33_99:
	v_and_b32_e32 v10, 7, v17
	v_ffbh_u32_e32 v12, v10
	v_min_u32_e32 v12, 32, v12
	v_lshrrev_b16_e32 v11, 3, v17
	v_subrev_u32_e32 v14, 28, v12
	v_and_b32_e32 v11, 15, v11
	v_lshlrev_b32_e32 v14, v14, v17
	v_sub_u32_e32 v12, 29, v12
	v_and_b32_e32 v14, 7, v14
	v_cmp_eq_u16_e32 vcc, 0, v11
	v_cndmask_b32_e32 v10, v10, v14, vcc
	v_cndmask_b32_e32 v11, v11, v12, vcc
	v_lshlrev_b32_e32 v12, 24, v17
	v_mov_b32_e32 v14, 0x3b800000
	v_lshlrev_b32_e32 v10, 20, v10
	v_and_b32_e32 v12, 0x80000000, v12
	v_lshl_add_u32 v11, v11, 23, v14
	v_or3_b32 v10, v12, v11, v10
.LBB33_100:
	s_or_b64 exec, exec, s[6:7]
	s_movk_i32 s4, 0x7f
	v_cmp_gt_i16_sdwa s[6:7], v13, s4 src0_sel:BYTE_0 src1_sel:DWORD
	s_mov_b64 s[4:5], 0
                                        ; implicit-def: $sgpr10
	s_and_saveexec_b64 s[8:9], s[6:7]
	s_xor_b64 s[6:7], exec, s[8:9]
	s_cbranch_execnz .LBB33_2149
; %bb.101:
	s_or_saveexec_b64 s[6:7], s[6:7]
	v_mov_b32_e32 v11, s10
	s_xor_b64 exec, exec, s[6:7]
	s_cbranch_execnz .LBB33_2152
.LBB33_102:
	s_or_b64 exec, exec, s[6:7]
	s_and_saveexec_b64 s[6:7], s[4:5]
	s_cbranch_execz .LBB33_104
.LBB33_103:
	v_and_b32_e32 v11, 7, v13
	v_ffbh_u32_e32 v14, v11
	v_min_u32_e32 v14, 32, v14
	v_lshrrev_b16_e32 v12, 3, v13
	v_subrev_u32_e32 v15, 28, v14
	v_and_b32_e32 v12, 15, v12
	v_lshlrev_b32_e32 v15, v15, v13
	v_sub_u32_e32 v14, 29, v14
	v_and_b32_e32 v15, 7, v15
	v_cmp_eq_u16_e32 vcc, 0, v12
	v_cndmask_b32_e32 v11, v11, v15, vcc
	v_cndmask_b32_e32 v12, v12, v14, vcc
	v_lshlrev_b32_e32 v14, 24, v13
	v_mov_b32_e32 v15, 0x3b800000
	v_lshlrev_b32_e32 v11, 20, v11
	v_and_b32_e32 v14, 0x80000000, v14
	v_lshl_add_u32 v12, v12, 23, v15
	v_or3_b32 v11, v14, v12, v11
.LBB33_104:
	s_or_b64 exec, exec, s[6:7]
	s_nop 0
	v_mfma_f32_16x16x4f32 a[0:3], v10, v11, a[0:3]
	v_lshrrev_b32_e32 v11, 8, v17
	s_movk_i32 s4, 0x7f
	v_cmp_gt_i16_sdwa s[6:7], v11, s4 src0_sel:BYTE_0 src1_sel:DWORD
	s_mov_b64 s[4:5], 0
                                        ; implicit-def: $sgpr10
	s_and_saveexec_b64 s[8:9], s[6:7]
	s_xor_b64 s[6:7], exec, s[8:9]
	s_cbranch_execnz .LBB33_2153
; %bb.105:
	s_or_saveexec_b64 s[6:7], s[6:7]
	v_mov_b32_e32 v10, s10
	s_xor_b64 exec, exec, s[6:7]
	s_cbranch_execnz .LBB33_2156
.LBB33_106:
	s_or_b64 exec, exec, s[6:7]
	s_and_saveexec_b64 s[6:7], s[4:5]
	s_cbranch_execz .LBB33_108
.LBB33_107:
	v_bfe_u32 v10, v17, 8, 3
	v_ffbh_u32_e32 v14, v10
	v_min_u32_e32 v14, 32, v14
	v_lshrrev_b16_e32 v12, 3, v11
	v_subrev_u32_e32 v15, 28, v14
	v_and_b32_e32 v12, 15, v12
	v_lshlrev_b32_e32 v11, v15, v11
	v_sub_u32_e32 v14, 29, v14
	v_and_b32_e32 v11, 7, v11
	v_cmp_eq_u16_e32 vcc, 0, v12
	v_cndmask_b32_e32 v10, v10, v11, vcc
	v_cndmask_b32_e32 v11, v12, v14, vcc
	v_lshlrev_b32_e32 v12, 16, v17
	v_mov_b32_e32 v14, 0x3b800000
	v_lshlrev_b32_e32 v10, 20, v10
	v_and_b32_e32 v12, 0x80000000, v12
	v_lshl_add_u32 v11, v11, 23, v14
	v_or3_b32 v10, v12, v11, v10
.LBB33_108:
	s_or_b64 exec, exec, s[6:7]
	v_lshrrev_b32_e32 v11, 8, v13
	s_movk_i32 s4, 0x7f
	v_cmp_gt_i16_sdwa s[6:7], v11, s4 src0_sel:BYTE_0 src1_sel:DWORD
	s_mov_b64 s[4:5], 0
                                        ; implicit-def: $sgpr10
	s_and_saveexec_b64 s[8:9], s[6:7]
	s_xor_b64 s[6:7], exec, s[8:9]
	s_cbranch_execnz .LBB33_2157
; %bb.109:
	s_or_saveexec_b64 s[6:7], s[6:7]
	v_mov_b32_e32 v12, s10
	s_xor_b64 exec, exec, s[6:7]
	s_cbranch_execnz .LBB33_2160
.LBB33_110:
	s_or_b64 exec, exec, s[6:7]
	s_and_saveexec_b64 s[6:7], s[4:5]
	s_cbranch_execz .LBB33_112
.LBB33_111:
	v_bfe_u32 v12, v13, 8, 3
	v_ffbh_u32_e32 v15, v12
	v_min_u32_e32 v15, 32, v15
	v_lshrrev_b16_e32 v14, 3, v11
	v_subrev_u32_e32 v16, 28, v15
	v_and_b32_e32 v14, 15, v14
	v_lshlrev_b32_e32 v11, v16, v11
	v_sub_u32_e32 v15, 29, v15
	v_and_b32_e32 v11, 7, v11
	v_cmp_eq_u16_e32 vcc, 0, v14
	v_cndmask_b32_e32 v11, v12, v11, vcc
	v_cndmask_b32_e32 v12, v14, v15, vcc
	v_lshlrev_b32_e32 v14, 16, v13
	v_mov_b32_e32 v15, 0x3b800000
	v_lshlrev_b32_e32 v11, 20, v11
	v_and_b32_e32 v14, 0x80000000, v14
	v_lshl_add_u32 v12, v12, 23, v15
	v_or3_b32 v12, v14, v12, v11
.LBB33_112:
	s_or_b64 exec, exec, s[6:7]
	s_nop 0
	v_mfma_f32_16x16x4f32 a[0:3], v10, v12, a[0:3]
	s_movk_i32 s4, 0xff
	v_and_b32_sdwa v11, v17, s4 dst_sel:DWORD dst_unused:UNUSED_PAD src0_sel:WORD_1 src1_sel:DWORD
	s_movk_i32 s4, 0x7f
	v_cmp_lt_i16_e32 vcc, s4, v11
	s_mov_b64 s[4:5], 0
                                        ; implicit-def: $sgpr10
	s_and_saveexec_b64 s[6:7], vcc
	s_xor_b64 s[6:7], exec, s[6:7]
	s_cbranch_execnz .LBB33_2161
; %bb.113:
	s_or_saveexec_b64 s[6:7], s[6:7]
	v_mov_b32_e32 v10, s10
	s_xor_b64 exec, exec, s[6:7]
	s_cbranch_execnz .LBB33_2164
.LBB33_114:
	s_or_b64 exec, exec, s[6:7]
	s_and_saveexec_b64 s[6:7], s[4:5]
	s_cbranch_execz .LBB33_116
.LBB33_115:
	v_bfe_u32 v10, v17, 16, 3
	v_ffbh_u32_e32 v14, v10
	v_min_u32_e32 v14, 32, v14
	v_lshrrev_b32_e32 v11, 19, v17
	v_subrev_u32_e32 v15, 28, v14
	v_and_b32_e32 v11, 15, v11
	v_lshlrev_b32_sdwa v15, v15, v17 dst_sel:DWORD dst_unused:UNUSED_PAD src0_sel:DWORD src1_sel:WORD_1
	v_bfe_u32 v12, v17, 19, 4
	v_sub_u32_e32 v14, 29, v14
	v_and_b32_e32 v15, 7, v15
	v_cmp_eq_u16_e32 vcc, 0, v11
	v_cndmask_b32_e32 v10, v10, v15, vcc
	v_cndmask_b32_e32 v11, v12, v14, vcc
	v_lshlrev_b32_e32 v12, 8, v17
	v_mov_b32_e32 v14, 0x3b800000
	v_lshlrev_b32_e32 v10, 20, v10
	v_and_b32_e32 v12, 0x80000000, v12
	v_lshl_add_u32 v11, v11, 23, v14
	v_or3_b32 v10, v12, v11, v10
.LBB33_116:
	s_or_b64 exec, exec, s[6:7]
	s_movk_i32 s4, 0xff
	v_and_b32_sdwa v11, v13, s4 dst_sel:DWORD dst_unused:UNUSED_PAD src0_sel:WORD_1 src1_sel:DWORD
	s_movk_i32 s4, 0x7f
	v_cmp_lt_i16_e32 vcc, s4, v11
	s_mov_b64 s[4:5], 0
                                        ; implicit-def: $sgpr10
	s_and_saveexec_b64 s[6:7], vcc
	s_xor_b64 s[6:7], exec, s[6:7]
	s_cbranch_execnz .LBB33_2165
; %bb.117:
	s_or_saveexec_b64 s[6:7], s[6:7]
	v_mov_b32_e32 v12, s10
	s_xor_b64 exec, exec, s[6:7]
	s_cbranch_execnz .LBB33_2168
.LBB33_118:
	s_or_b64 exec, exec, s[6:7]
	s_and_saveexec_b64 s[6:7], s[4:5]
	s_cbranch_execz .LBB33_120
.LBB33_119:
	v_bfe_u32 v11, v13, 16, 3
	v_ffbh_u32_e32 v15, v11
	v_min_u32_e32 v15, 32, v15
	v_lshrrev_b32_e32 v12, 19, v13
	v_subrev_u32_e32 v16, 28, v15
	v_and_b32_e32 v12, 15, v12
	v_lshlrev_b32_sdwa v16, v16, v13 dst_sel:DWORD dst_unused:UNUSED_PAD src0_sel:DWORD src1_sel:WORD_1
	v_bfe_u32 v14, v13, 19, 4
	v_sub_u32_e32 v15, 29, v15
	v_and_b32_e32 v16, 7, v16
	v_cmp_eq_u16_e32 vcc, 0, v12
	v_cndmask_b32_e32 v11, v11, v16, vcc
	v_cndmask_b32_e32 v12, v14, v15, vcc
	v_lshlrev_b32_e32 v14, 8, v13
	v_mov_b32_e32 v15, 0x3b800000
	v_lshlrev_b32_e32 v11, 20, v11
	v_and_b32_e32 v14, 0x80000000, v14
	v_lshl_add_u32 v12, v12, 23, v15
	v_or3_b32 v12, v14, v12, v11
.LBB33_120:
	s_or_b64 exec, exec, s[6:7]
	s_nop 0
	v_mfma_f32_16x16x4f32 a[0:3], v10, v12, a[0:3]
	s_movk_i32 s4, 0x7f
	v_cmp_gt_i16_sdwa s[6:7], v17, s4 src0_sel:BYTE_3 src1_sel:DWORD
	s_mov_b64 s[4:5], 0
                                        ; implicit-def: $sgpr10
	s_and_saveexec_b64 s[8:9], s[6:7]
	s_xor_b64 s[6:7], exec, s[8:9]
	s_cbranch_execnz .LBB33_2169
; %bb.121:
	s_or_saveexec_b64 s[6:7], s[6:7]
	v_mov_b32_e32 v10, s10
	s_xor_b64 exec, exec, s[6:7]
	s_cbranch_execnz .LBB33_2172
.LBB33_122:
	s_or_b64 exec, exec, s[6:7]
	s_and_saveexec_b64 s[6:7], s[4:5]
	s_cbranch_execz .LBB33_124
.LBB33_123:
	v_bfe_u32 v10, v17, 24, 3
	v_ffbh_u32_e32 v15, v10
	v_min_u32_e32 v15, 32, v15
	v_lshrrev_b32_e32 v12, 27, v17
	v_subrev_u32_e32 v16, 28, v15
	v_and_b32_e32 v12, 15, v12
	v_lshlrev_b32_sdwa v16, v16, v17 dst_sel:DWORD dst_unused:UNUSED_PAD src0_sel:DWORD src1_sel:BYTE_3
	v_bfe_u32 v14, v17, 27, 4
	v_sub_u32_e32 v15, 29, v15
	v_and_b32_e32 v16, 7, v16
	v_cmp_eq_u16_e32 vcc, 0, v12
	v_cndmask_b32_e32 v10, v10, v16, vcc
	v_cndmask_b32_e32 v12, v14, v15, vcc
	v_mov_b32_e32 v14, 0x3b800000
	v_and_b32_e32 v11, 0x80000000, v17
	v_lshlrev_b32_e32 v10, 20, v10
	v_lshl_add_u32 v12, v12, 23, v14
	v_or3_b32 v10, v11, v12, v10
.LBB33_124:
	s_or_b64 exec, exec, s[6:7]
	s_movk_i32 s4, 0x7f
	v_cmp_gt_i16_sdwa s[6:7], v13, s4 src0_sel:BYTE_3 src1_sel:DWORD
	s_mov_b64 s[4:5], 0
                                        ; implicit-def: $sgpr10
	s_and_saveexec_b64 s[8:9], s[6:7]
	s_xor_b64 s[6:7], exec, s[8:9]
	s_cbranch_execnz .LBB33_2173
; %bb.125:
	s_or_saveexec_b64 s[6:7], s[6:7]
	v_mov_b32_e32 v11, s10
	s_xor_b64 exec, exec, s[6:7]
	s_cbranch_execnz .LBB33_2176
.LBB33_126:
	s_or_b64 exec, exec, s[6:7]
	s_and_saveexec_b64 s[6:7], s[4:5]
	s_cbranch_execz .LBB33_128
.LBB33_127:
	v_bfe_u32 v11, v13, 24, 3
	v_ffbh_u32_e32 v16, v11
	v_min_u32_e32 v16, 32, v16
	v_lshrrev_b32_e32 v14, 27, v13
	v_subrev_u32_e32 v17, 28, v16
	v_and_b32_e32 v12, 0x80000000, v13
	v_and_b32_e32 v14, 15, v14
	v_bfe_u32 v15, v13, 27, 4
	v_lshlrev_b32_sdwa v13, v17, v13 dst_sel:DWORD dst_unused:UNUSED_PAD src0_sel:DWORD src1_sel:BYTE_3
	v_sub_u32_e32 v16, 29, v16
	v_and_b32_e32 v13, 7, v13
	v_cmp_eq_u16_e32 vcc, 0, v14
	v_cndmask_b32_e32 v11, v11, v13, vcc
	v_cndmask_b32_e32 v13, v15, v16, vcc
	v_mov_b32_e32 v14, 0x3b800000
	v_lshlrev_b32_e32 v11, 20, v11
	v_lshl_add_u32 v13, v13, 23, v14
	v_or3_b32 v11, v12, v13, v11
.LBB33_128:
	s_or_b64 exec, exec, s[6:7]
	s_nop 0
	v_mfma_f32_16x16x4f32 a[0:3], v10, v11, a[0:3]
	s_movk_i32 s4, 0x7f
	v_cmp_gt_i16_sdwa s[6:7], v6, s4 src0_sel:BYTE_0 src1_sel:DWORD
	s_mov_b64 s[4:5], 0
                                        ; implicit-def: $sgpr10
	s_and_saveexec_b64 s[8:9], s[6:7]
	s_xor_b64 s[6:7], exec, s[8:9]
	s_cbranch_execnz .LBB33_2177
; %bb.129:
	s_or_saveexec_b64 s[6:7], s[6:7]
	v_mov_b32_e32 v10, s10
	s_xor_b64 exec, exec, s[6:7]
	s_cbranch_execnz .LBB33_2180
.LBB33_130:
	s_or_b64 exec, exec, s[6:7]
	s_and_saveexec_b64 s[6:7], s[4:5]
	s_cbranch_execz .LBB33_132
.LBB33_131:
	v_and_b32_e32 v10, 7, v6
	v_ffbh_u32_e32 v12, v10
	v_min_u32_e32 v12, 32, v12
	v_lshrrev_b16_e32 v11, 3, v6
	v_subrev_u32_e32 v13, 28, v12
	v_and_b32_e32 v11, 15, v11
	v_lshlrev_b32_e32 v13, v13, v6
	v_sub_u32_e32 v12, 29, v12
	v_and_b32_e32 v13, 7, v13
	v_cmp_eq_u16_e32 vcc, 0, v11
	v_cndmask_b32_e32 v10, v10, v13, vcc
	v_cndmask_b32_e32 v11, v11, v12, vcc
	v_lshlrev_b32_e32 v12, 24, v6
	v_mov_b32_e32 v13, 0x3b800000
	v_lshlrev_b32_e32 v10, 20, v10
	v_and_b32_e32 v12, 0x80000000, v12
	v_lshl_add_u32 v11, v11, 23, v13
	v_or3_b32 v10, v12, v11, v10
.LBB33_132:
	s_or_b64 exec, exec, s[6:7]
	s_movk_i32 s4, 0x7f
	v_cmp_gt_i16_sdwa s[6:7], v2, s4 src0_sel:BYTE_0 src1_sel:DWORD
	s_mov_b64 s[4:5], 0
                                        ; implicit-def: $sgpr10
	s_and_saveexec_b64 s[8:9], s[6:7]
	s_xor_b64 s[6:7], exec, s[8:9]
	s_cbranch_execnz .LBB33_2181
; %bb.133:
	s_or_saveexec_b64 s[6:7], s[6:7]
	v_mov_b32_e32 v11, s10
	s_xor_b64 exec, exec, s[6:7]
	s_cbranch_execnz .LBB33_2184
.LBB33_134:
	s_or_b64 exec, exec, s[6:7]
	s_and_saveexec_b64 s[6:7], s[4:5]
	s_cbranch_execz .LBB33_136
.LBB33_135:
	v_and_b32_e32 v11, 7, v2
	v_ffbh_u32_e32 v13, v11
	v_min_u32_e32 v13, 32, v13
	v_lshrrev_b16_e32 v12, 3, v2
	v_subrev_u32_e32 v14, 28, v13
	v_and_b32_e32 v12, 15, v12
	v_lshlrev_b32_e32 v14, v14, v2
	v_sub_u32_e32 v13, 29, v13
	v_and_b32_e32 v14, 7, v14
	v_cmp_eq_u16_e32 vcc, 0, v12
	v_cndmask_b32_e32 v11, v11, v14, vcc
	v_cndmask_b32_e32 v12, v12, v13, vcc
	v_lshlrev_b32_e32 v13, 24, v2
	v_mov_b32_e32 v14, 0x3b800000
	v_lshlrev_b32_e32 v11, 20, v11
	v_and_b32_e32 v13, 0x80000000, v13
	v_lshl_add_u32 v12, v12, 23, v14
	v_or3_b32 v11, v13, v12, v11
.LBB33_136:
	s_or_b64 exec, exec, s[6:7]
	s_nop 0
	v_mfma_f32_16x16x4f32 a[0:3], v10, v11, a[0:3]
	v_lshrrev_b32_e32 v11, 8, v6
	s_movk_i32 s4, 0x7f
	v_cmp_gt_i16_sdwa s[6:7], v11, s4 src0_sel:BYTE_0 src1_sel:DWORD
	s_mov_b64 s[4:5], 0
                                        ; implicit-def: $sgpr10
	s_and_saveexec_b64 s[8:9], s[6:7]
	s_xor_b64 s[6:7], exec, s[8:9]
	s_cbranch_execnz .LBB33_2185
; %bb.137:
	s_or_saveexec_b64 s[6:7], s[6:7]
	v_mov_b32_e32 v10, s10
	s_xor_b64 exec, exec, s[6:7]
	s_cbranch_execnz .LBB33_2188
.LBB33_138:
	s_or_b64 exec, exec, s[6:7]
	s_and_saveexec_b64 s[6:7], s[4:5]
	s_cbranch_execz .LBB33_140
.LBB33_139:
	v_bfe_u32 v10, v6, 8, 3
	v_ffbh_u32_e32 v13, v10
	v_min_u32_e32 v13, 32, v13
	v_lshrrev_b16_e32 v12, 3, v11
	v_subrev_u32_e32 v14, 28, v13
	v_and_b32_e32 v12, 15, v12
	v_lshlrev_b32_e32 v11, v14, v11
	v_sub_u32_e32 v13, 29, v13
	v_and_b32_e32 v11, 7, v11
	v_cmp_eq_u16_e32 vcc, 0, v12
	v_cndmask_b32_e32 v10, v10, v11, vcc
	v_cndmask_b32_e32 v11, v12, v13, vcc
	v_lshlrev_b32_e32 v12, 16, v6
	v_mov_b32_e32 v13, 0x3b800000
	v_lshlrev_b32_e32 v10, 20, v10
	v_and_b32_e32 v12, 0x80000000, v12
	v_lshl_add_u32 v11, v11, 23, v13
	v_or3_b32 v10, v12, v11, v10
.LBB33_140:
	s_or_b64 exec, exec, s[6:7]
	v_lshrrev_b32_e32 v11, 8, v2
	s_movk_i32 s4, 0x7f
	v_cmp_gt_i16_sdwa s[6:7], v11, s4 src0_sel:BYTE_0 src1_sel:DWORD
	s_mov_b64 s[4:5], 0
                                        ; implicit-def: $sgpr10
	s_and_saveexec_b64 s[8:9], s[6:7]
	s_xor_b64 s[6:7], exec, s[8:9]
	s_cbranch_execnz .LBB33_2189
; %bb.141:
	s_or_saveexec_b64 s[6:7], s[6:7]
	v_mov_b32_e32 v12, s10
	s_xor_b64 exec, exec, s[6:7]
	s_cbranch_execnz .LBB33_2192
.LBB33_142:
	s_or_b64 exec, exec, s[6:7]
	s_and_saveexec_b64 s[6:7], s[4:5]
	s_cbranch_execz .LBB33_144
.LBB33_143:
	v_bfe_u32 v12, v2, 8, 3
	v_ffbh_u32_e32 v14, v12
	v_min_u32_e32 v14, 32, v14
	v_lshrrev_b16_e32 v13, 3, v11
	v_subrev_u32_e32 v15, 28, v14
	v_and_b32_e32 v13, 15, v13
	v_lshlrev_b32_e32 v11, v15, v11
	v_sub_u32_e32 v14, 29, v14
	v_and_b32_e32 v11, 7, v11
	v_cmp_eq_u16_e32 vcc, 0, v13
	v_cndmask_b32_e32 v11, v12, v11, vcc
	v_cndmask_b32_e32 v12, v13, v14, vcc
	v_lshlrev_b32_e32 v13, 16, v2
	v_mov_b32_e32 v14, 0x3b800000
	v_lshlrev_b32_e32 v11, 20, v11
	v_and_b32_e32 v13, 0x80000000, v13
	v_lshl_add_u32 v12, v12, 23, v14
	v_or3_b32 v12, v13, v12, v11
.LBB33_144:
	s_or_b64 exec, exec, s[6:7]
	s_nop 0
	v_mfma_f32_16x16x4f32 a[0:3], v10, v12, a[0:3]
	s_movk_i32 s4, 0xff
	v_and_b32_sdwa v11, v6, s4 dst_sel:DWORD dst_unused:UNUSED_PAD src0_sel:WORD_1 src1_sel:DWORD
	s_movk_i32 s4, 0x7f
	v_cmp_lt_i16_e32 vcc, s4, v11
	s_mov_b64 s[4:5], 0
                                        ; implicit-def: $sgpr10
	s_and_saveexec_b64 s[6:7], vcc
	s_xor_b64 s[6:7], exec, s[6:7]
	s_cbranch_execnz .LBB33_2193
; %bb.145:
	s_or_saveexec_b64 s[6:7], s[6:7]
	v_mov_b32_e32 v10, s10
	s_xor_b64 exec, exec, s[6:7]
	s_cbranch_execnz .LBB33_2196
.LBB33_146:
	s_or_b64 exec, exec, s[6:7]
	s_and_saveexec_b64 s[6:7], s[4:5]
	s_cbranch_execz .LBB33_148
.LBB33_147:
	v_bfe_u32 v10, v6, 16, 3
	v_ffbh_u32_e32 v13, v10
	v_min_u32_e32 v13, 32, v13
	v_lshrrev_b32_e32 v11, 19, v6
	v_subrev_u32_e32 v14, 28, v13
	v_and_b32_e32 v11, 15, v11
	v_lshlrev_b32_sdwa v14, v14, v6 dst_sel:DWORD dst_unused:UNUSED_PAD src0_sel:DWORD src1_sel:WORD_1
	v_bfe_u32 v12, v6, 19, 4
	v_sub_u32_e32 v13, 29, v13
	v_and_b32_e32 v14, 7, v14
	v_cmp_eq_u16_e32 vcc, 0, v11
	v_cndmask_b32_e32 v10, v10, v14, vcc
	v_cndmask_b32_e32 v11, v12, v13, vcc
	v_lshlrev_b32_e32 v12, 8, v6
	v_mov_b32_e32 v13, 0x3b800000
	v_lshlrev_b32_e32 v10, 20, v10
	v_and_b32_e32 v12, 0x80000000, v12
	v_lshl_add_u32 v11, v11, 23, v13
	v_or3_b32 v10, v12, v11, v10
.LBB33_148:
	s_or_b64 exec, exec, s[6:7]
	s_movk_i32 s4, 0xff
	v_and_b32_sdwa v11, v2, s4 dst_sel:DWORD dst_unused:UNUSED_PAD src0_sel:WORD_1 src1_sel:DWORD
	s_movk_i32 s4, 0x7f
	v_cmp_lt_i16_e32 vcc, s4, v11
	s_mov_b64 s[4:5], 0
                                        ; implicit-def: $sgpr10
	s_and_saveexec_b64 s[6:7], vcc
	s_xor_b64 s[6:7], exec, s[6:7]
	s_cbranch_execnz .LBB33_2197
; %bb.149:
	s_or_saveexec_b64 s[6:7], s[6:7]
	v_mov_b32_e32 v12, s10
	s_xor_b64 exec, exec, s[6:7]
	s_cbranch_execnz .LBB33_2200
.LBB33_150:
	s_or_b64 exec, exec, s[6:7]
	s_and_saveexec_b64 s[6:7], s[4:5]
	s_cbranch_execz .LBB33_152
.LBB33_151:
	v_bfe_u32 v11, v2, 16, 3
	v_ffbh_u32_e32 v14, v11
	v_min_u32_e32 v14, 32, v14
	v_lshrrev_b32_e32 v12, 19, v2
	v_subrev_u32_e32 v15, 28, v14
	v_and_b32_e32 v12, 15, v12
	v_lshlrev_b32_sdwa v15, v15, v2 dst_sel:DWORD dst_unused:UNUSED_PAD src0_sel:DWORD src1_sel:WORD_1
	v_bfe_u32 v13, v2, 19, 4
	v_sub_u32_e32 v14, 29, v14
	v_and_b32_e32 v15, 7, v15
	v_cmp_eq_u16_e32 vcc, 0, v12
	v_cndmask_b32_e32 v11, v11, v15, vcc
	v_cndmask_b32_e32 v12, v13, v14, vcc
	v_lshlrev_b32_e32 v13, 8, v2
	v_mov_b32_e32 v14, 0x3b800000
	v_lshlrev_b32_e32 v11, 20, v11
	v_and_b32_e32 v13, 0x80000000, v13
	v_lshl_add_u32 v12, v12, 23, v14
	v_or3_b32 v12, v13, v12, v11
.LBB33_152:
	s_or_b64 exec, exec, s[6:7]
	s_nop 0
	v_mfma_f32_16x16x4f32 a[0:3], v10, v12, a[0:3]
	s_movk_i32 s4, 0x7f
	v_cmp_gt_i16_sdwa s[6:7], v6, s4 src0_sel:BYTE_3 src1_sel:DWORD
	s_mov_b64 s[4:5], 0
                                        ; implicit-def: $sgpr10
	s_and_saveexec_b64 s[8:9], s[6:7]
	s_xor_b64 s[6:7], exec, s[8:9]
	s_cbranch_execnz .LBB33_2201
; %bb.153:
	s_or_saveexec_b64 s[6:7], s[6:7]
	v_mov_b32_e32 v10, s10
	s_xor_b64 exec, exec, s[6:7]
	s_cbranch_execnz .LBB33_2204
.LBB33_154:
	s_or_b64 exec, exec, s[6:7]
	s_and_saveexec_b64 s[6:7], s[4:5]
	s_cbranch_execz .LBB33_156
.LBB33_155:
	v_bfe_u32 v10, v6, 24, 3
	v_ffbh_u32_e32 v14, v10
	v_min_u32_e32 v14, 32, v14
	v_lshrrev_b32_e32 v12, 27, v6
	v_subrev_u32_e32 v15, 28, v14
	v_and_b32_e32 v11, 0x80000000, v6
	v_and_b32_e32 v12, 15, v12
	v_bfe_u32 v13, v6, 27, 4
	v_lshlrev_b32_sdwa v6, v15, v6 dst_sel:DWORD dst_unused:UNUSED_PAD src0_sel:DWORD src1_sel:BYTE_3
	v_sub_u32_e32 v14, 29, v14
	v_and_b32_e32 v6, 7, v6
	v_cmp_eq_u16_e32 vcc, 0, v12
	v_cndmask_b32_e32 v6, v10, v6, vcc
	v_cndmask_b32_e32 v10, v13, v14, vcc
	v_mov_b32_e32 v12, 0x3b800000
	v_lshlrev_b32_e32 v6, 20, v6
	v_lshl_add_u32 v10, v10, 23, v12
	v_or3_b32 v10, v11, v10, v6
.LBB33_156:
	s_or_b64 exec, exec, s[6:7]
	s_movk_i32 s4, 0x7f
	v_cmp_gt_i16_sdwa s[6:7], v2, s4 src0_sel:BYTE_3 src1_sel:DWORD
	s_mov_b64 s[4:5], 0
                                        ; implicit-def: $sgpr10
	s_and_saveexec_b64 s[8:9], s[6:7]
	s_xor_b64 s[6:7], exec, s[8:9]
	s_cbranch_execnz .LBB33_2205
; %bb.157:
	s_or_saveexec_b64 s[6:7], s[6:7]
	v_mov_b32_e32 v6, s10
	s_xor_b64 exec, exec, s[6:7]
	s_cbranch_execnz .LBB33_2208
.LBB33_158:
	s_or_b64 exec, exec, s[6:7]
	s_and_saveexec_b64 s[6:7], s[4:5]
	s_cbranch_execz .LBB33_160
.LBB33_159:
	v_bfe_u32 v6, v2, 24, 3
	v_ffbh_u32_e32 v14, v6
	v_min_u32_e32 v14, 32, v14
	v_lshrrev_b32_e32 v12, 27, v2
	v_subrev_u32_e32 v15, 28, v14
	v_and_b32_e32 v11, 0x80000000, v2
	v_and_b32_e32 v12, 15, v12
	v_bfe_u32 v13, v2, 27, 4
	v_lshlrev_b32_sdwa v2, v15, v2 dst_sel:DWORD dst_unused:UNUSED_PAD src0_sel:DWORD src1_sel:BYTE_3
	v_sub_u32_e32 v14, 29, v14
	v_and_b32_e32 v2, 7, v2
	v_cmp_eq_u16_e32 vcc, 0, v12
	v_cndmask_b32_e32 v2, v6, v2, vcc
	v_cndmask_b32_e32 v6, v13, v14, vcc
	v_mov_b32_e32 v12, 0x3b800000
	v_lshlrev_b32_e32 v2, 20, v2
	v_lshl_add_u32 v6, v6, 23, v12
	v_or3_b32 v6, v11, v6, v2
.LBB33_160:
	s_or_b64 exec, exec, s[6:7]
	s_nop 0
	v_mfma_f32_16x16x4f32 a[0:3], v10, v6, a[0:3]
	s_movk_i32 s4, 0x7f
	v_cmp_gt_i16_sdwa s[6:7], v7, s4 src0_sel:BYTE_0 src1_sel:DWORD
	s_mov_b64 s[4:5], 0
                                        ; implicit-def: $sgpr10
	s_and_saveexec_b64 s[8:9], s[6:7]
	s_xor_b64 s[6:7], exec, s[8:9]
	s_cbranch_execnz .LBB33_2209
; %bb.161:
	s_or_saveexec_b64 s[6:7], s[6:7]
	v_mov_b32_e32 v2, s10
	s_xor_b64 exec, exec, s[6:7]
	s_cbranch_execnz .LBB33_2212
.LBB33_162:
	s_or_b64 exec, exec, s[6:7]
	s_and_saveexec_b64 s[6:7], s[4:5]
	s_cbranch_execz .LBB33_164
.LBB33_163:
	v_and_b32_e32 v2, 7, v7
	v_ffbh_u32_e32 v10, v2
	v_min_u32_e32 v10, 32, v10
	v_lshrrev_b16_e32 v6, 3, v7
	v_subrev_u32_e32 v11, 28, v10
	v_and_b32_e32 v6, 15, v6
	v_lshlrev_b32_e32 v11, v11, v7
	v_sub_u32_e32 v10, 29, v10
	v_and_b32_e32 v11, 7, v11
	v_cmp_eq_u16_e32 vcc, 0, v6
	v_cndmask_b32_e32 v2, v2, v11, vcc
	v_cndmask_b32_e32 v6, v6, v10, vcc
	v_lshlrev_b32_e32 v10, 24, v7
	v_mov_b32_e32 v11, 0x3b800000
	v_lshlrev_b32_e32 v2, 20, v2
	v_and_b32_e32 v10, 0x80000000, v10
	v_lshl_add_u32 v6, v6, 23, v11
	v_or3_b32 v2, v10, v6, v2
.LBB33_164:
	s_or_b64 exec, exec, s[6:7]
	s_movk_i32 s4, 0x7f
	v_cmp_gt_i16_sdwa s[6:7], v3, s4 src0_sel:BYTE_0 src1_sel:DWORD
	s_mov_b64 s[4:5], 0
                                        ; implicit-def: $sgpr10
	s_and_saveexec_b64 s[8:9], s[6:7]
	s_xor_b64 s[6:7], exec, s[8:9]
	s_cbranch_execnz .LBB33_2213
; %bb.165:
	s_or_saveexec_b64 s[6:7], s[6:7]
	v_mov_b32_e32 v6, s10
	s_xor_b64 exec, exec, s[6:7]
	s_cbranch_execnz .LBB33_2216
.LBB33_166:
	s_or_b64 exec, exec, s[6:7]
	s_and_saveexec_b64 s[6:7], s[4:5]
	s_cbranch_execz .LBB33_168
.LBB33_167:
	v_and_b32_e32 v6, 7, v3
	v_ffbh_u32_e32 v11, v6
	v_min_u32_e32 v11, 32, v11
	v_lshrrev_b16_e32 v10, 3, v3
	v_subrev_u32_e32 v12, 28, v11
	v_and_b32_e32 v10, 15, v10
	v_lshlrev_b32_e32 v12, v12, v3
	v_sub_u32_e32 v11, 29, v11
	v_and_b32_e32 v12, 7, v12
	v_cmp_eq_u16_e32 vcc, 0, v10
	v_cndmask_b32_e32 v6, v6, v12, vcc
	v_cndmask_b32_e32 v10, v10, v11, vcc
	v_lshlrev_b32_e32 v11, 24, v3
	v_mov_b32_e32 v12, 0x3b800000
	v_lshlrev_b32_e32 v6, 20, v6
	v_and_b32_e32 v11, 0x80000000, v11
	v_lshl_add_u32 v10, v10, 23, v12
	v_or3_b32 v6, v11, v10, v6
.LBB33_168:
	s_or_b64 exec, exec, s[6:7]
	s_nop 0
	v_mfma_f32_16x16x4f32 a[0:3], v2, v6, a[0:3]
	v_lshrrev_b32_e32 v6, 8, v7
	s_movk_i32 s4, 0x7f
	v_cmp_gt_i16_sdwa s[6:7], v6, s4 src0_sel:BYTE_0 src1_sel:DWORD
	s_mov_b64 s[4:5], 0
                                        ; implicit-def: $sgpr10
	s_and_saveexec_b64 s[8:9], s[6:7]
	s_xor_b64 s[6:7], exec, s[8:9]
	s_cbranch_execnz .LBB33_2217
; %bb.169:
	s_or_saveexec_b64 s[6:7], s[6:7]
	v_mov_b32_e32 v2, s10
	s_xor_b64 exec, exec, s[6:7]
	s_cbranch_execnz .LBB33_2220
.LBB33_170:
	s_or_b64 exec, exec, s[6:7]
	s_and_saveexec_b64 s[6:7], s[4:5]
	s_cbranch_execz .LBB33_172
.LBB33_171:
	v_bfe_u32 v2, v7, 8, 3
	v_ffbh_u32_e32 v11, v2
	v_min_u32_e32 v11, 32, v11
	v_lshrrev_b16_e32 v10, 3, v6
	v_subrev_u32_e32 v12, 28, v11
	v_and_b32_e32 v10, 15, v10
	v_lshlrev_b32_e32 v6, v12, v6
	v_sub_u32_e32 v11, 29, v11
	v_and_b32_e32 v6, 7, v6
	v_cmp_eq_u16_e32 vcc, 0, v10
	v_cndmask_b32_e32 v2, v2, v6, vcc
	v_cndmask_b32_e32 v6, v10, v11, vcc
	v_lshlrev_b32_e32 v10, 16, v7
	v_mov_b32_e32 v11, 0x3b800000
	v_lshlrev_b32_e32 v2, 20, v2
	v_and_b32_e32 v10, 0x80000000, v10
	v_lshl_add_u32 v6, v6, 23, v11
	v_or3_b32 v2, v10, v6, v2
.LBB33_172:
	s_or_b64 exec, exec, s[6:7]
	v_lshrrev_b32_e32 v6, 8, v3
	s_movk_i32 s4, 0x7f
	v_cmp_gt_i16_sdwa s[6:7], v6, s4 src0_sel:BYTE_0 src1_sel:DWORD
	s_mov_b64 s[4:5], 0
                                        ; implicit-def: $sgpr10
	s_and_saveexec_b64 s[8:9], s[6:7]
	s_xor_b64 s[6:7], exec, s[8:9]
	s_cbranch_execnz .LBB33_2221
; %bb.173:
	s_or_saveexec_b64 s[6:7], s[6:7]
	v_mov_b32_e32 v10, s10
	s_xor_b64 exec, exec, s[6:7]
	s_cbranch_execnz .LBB33_2224
.LBB33_174:
	s_or_b64 exec, exec, s[6:7]
	s_and_saveexec_b64 s[6:7], s[4:5]
	s_cbranch_execz .LBB33_176
.LBB33_175:
	v_bfe_u32 v10, v3, 8, 3
	v_ffbh_u32_e32 v12, v10
	v_min_u32_e32 v12, 32, v12
	v_lshrrev_b16_e32 v11, 3, v6
	v_subrev_u32_e32 v13, 28, v12
	v_and_b32_e32 v11, 15, v11
	v_lshlrev_b32_e32 v6, v13, v6
	v_sub_u32_e32 v12, 29, v12
	v_and_b32_e32 v6, 7, v6
	v_cmp_eq_u16_e32 vcc, 0, v11
	v_cndmask_b32_e32 v6, v10, v6, vcc
	v_cndmask_b32_e32 v10, v11, v12, vcc
	v_lshlrev_b32_e32 v11, 16, v3
	v_mov_b32_e32 v12, 0x3b800000
	v_lshlrev_b32_e32 v6, 20, v6
	v_and_b32_e32 v11, 0x80000000, v11
	v_lshl_add_u32 v10, v10, 23, v12
	v_or3_b32 v10, v11, v10, v6
.LBB33_176:
	s_or_b64 exec, exec, s[6:7]
	s_nop 0
	v_mfma_f32_16x16x4f32 a[0:3], v2, v10, a[0:3]
	s_movk_i32 s4, 0xff
	v_and_b32_sdwa v6, v7, s4 dst_sel:DWORD dst_unused:UNUSED_PAD src0_sel:WORD_1 src1_sel:DWORD
	s_movk_i32 s4, 0x7f
	v_cmp_lt_i16_e32 vcc, s4, v6
	s_mov_b64 s[4:5], 0
                                        ; implicit-def: $sgpr10
	s_and_saveexec_b64 s[6:7], vcc
	s_xor_b64 s[6:7], exec, s[6:7]
	s_cbranch_execnz .LBB33_2225
; %bb.177:
	s_or_saveexec_b64 s[6:7], s[6:7]
	v_mov_b32_e32 v2, s10
	s_xor_b64 exec, exec, s[6:7]
	s_cbranch_execnz .LBB33_2228
.LBB33_178:
	s_or_b64 exec, exec, s[6:7]
	s_and_saveexec_b64 s[6:7], s[4:5]
	s_cbranch_execz .LBB33_180
.LBB33_179:
	v_bfe_u32 v2, v7, 16, 3
	v_ffbh_u32_e32 v11, v2
	v_min_u32_e32 v11, 32, v11
	v_lshrrev_b32_e32 v6, 19, v7
	v_subrev_u32_e32 v12, 28, v11
	v_and_b32_e32 v6, 15, v6
	v_lshlrev_b32_sdwa v12, v12, v7 dst_sel:DWORD dst_unused:UNUSED_PAD src0_sel:DWORD src1_sel:WORD_1
	v_bfe_u32 v10, v7, 19, 4
	v_sub_u32_e32 v11, 29, v11
	v_and_b32_e32 v12, 7, v12
	v_cmp_eq_u16_e32 vcc, 0, v6
	v_cndmask_b32_e32 v2, v2, v12, vcc
	v_cndmask_b32_e32 v6, v10, v11, vcc
	v_lshlrev_b32_e32 v10, 8, v7
	v_mov_b32_e32 v11, 0x3b800000
	v_lshlrev_b32_e32 v2, 20, v2
	v_and_b32_e32 v10, 0x80000000, v10
	v_lshl_add_u32 v6, v6, 23, v11
	v_or3_b32 v2, v10, v6, v2
.LBB33_180:
	s_or_b64 exec, exec, s[6:7]
	s_movk_i32 s4, 0xff
	v_and_b32_sdwa v6, v3, s4 dst_sel:DWORD dst_unused:UNUSED_PAD src0_sel:WORD_1 src1_sel:DWORD
	s_movk_i32 s4, 0x7f
	v_cmp_lt_i16_e32 vcc, s4, v6
	s_mov_b64 s[4:5], 0
                                        ; implicit-def: $sgpr10
	s_and_saveexec_b64 s[6:7], vcc
	s_xor_b64 s[6:7], exec, s[6:7]
	s_cbranch_execnz .LBB33_2229
; %bb.181:
	s_or_saveexec_b64 s[6:7], s[6:7]
	v_mov_b32_e32 v10, s10
	s_xor_b64 exec, exec, s[6:7]
	s_cbranch_execnz .LBB33_2232
.LBB33_182:
	s_or_b64 exec, exec, s[6:7]
	s_and_saveexec_b64 s[6:7], s[4:5]
	s_cbranch_execz .LBB33_184
.LBB33_183:
	v_bfe_u32 v6, v3, 16, 3
	v_ffbh_u32_e32 v12, v6
	v_min_u32_e32 v12, 32, v12
	v_lshrrev_b32_e32 v10, 19, v3
	v_subrev_u32_e32 v13, 28, v12
	v_and_b32_e32 v10, 15, v10
	v_lshlrev_b32_sdwa v13, v13, v3 dst_sel:DWORD dst_unused:UNUSED_PAD src0_sel:DWORD src1_sel:WORD_1
	v_bfe_u32 v11, v3, 19, 4
	v_sub_u32_e32 v12, 29, v12
	v_and_b32_e32 v13, 7, v13
	v_cmp_eq_u16_e32 vcc, 0, v10
	v_cndmask_b32_e32 v6, v6, v13, vcc
	v_cndmask_b32_e32 v10, v11, v12, vcc
	v_lshlrev_b32_e32 v11, 8, v3
	v_mov_b32_e32 v12, 0x3b800000
	v_lshlrev_b32_e32 v6, 20, v6
	v_and_b32_e32 v11, 0x80000000, v11
	v_lshl_add_u32 v10, v10, 23, v12
	v_or3_b32 v10, v11, v10, v6
.LBB33_184:
	s_or_b64 exec, exec, s[6:7]
	s_nop 0
	v_mfma_f32_16x16x4f32 a[0:3], v2, v10, a[0:3]
	s_movk_i32 s4, 0x7f
	v_cmp_gt_i16_sdwa s[6:7], v7, s4 src0_sel:BYTE_3 src1_sel:DWORD
	s_mov_b64 s[4:5], 0
                                        ; implicit-def: $sgpr10
	s_and_saveexec_b64 s[8:9], s[6:7]
	s_xor_b64 s[6:7], exec, s[8:9]
	s_cbranch_execnz .LBB33_2233
; %bb.185:
	s_or_saveexec_b64 s[6:7], s[6:7]
	v_mov_b32_e32 v2, s10
	s_xor_b64 exec, exec, s[6:7]
	s_cbranch_execnz .LBB33_2236
.LBB33_186:
	s_or_b64 exec, exec, s[6:7]
	s_and_saveexec_b64 s[6:7], s[4:5]
	s_cbranch_execz .LBB33_188
.LBB33_187:
	v_bfe_u32 v2, v7, 24, 3
	v_ffbh_u32_e32 v12, v2
	v_min_u32_e32 v12, 32, v12
	v_lshrrev_b32_e32 v10, 27, v7
	v_subrev_u32_e32 v13, 28, v12
	v_and_b32_e32 v6, 0x80000000, v7
	v_and_b32_e32 v10, 15, v10
	v_bfe_u32 v11, v7, 27, 4
	v_lshlrev_b32_sdwa v7, v13, v7 dst_sel:DWORD dst_unused:UNUSED_PAD src0_sel:DWORD src1_sel:BYTE_3
	v_sub_u32_e32 v12, 29, v12
	v_and_b32_e32 v7, 7, v7
	v_cmp_eq_u16_e32 vcc, 0, v10
	v_cndmask_b32_e32 v2, v2, v7, vcc
	v_cndmask_b32_e32 v7, v11, v12, vcc
	v_mov_b32_e32 v10, 0x3b800000
	v_lshlrev_b32_e32 v2, 20, v2
	v_lshl_add_u32 v7, v7, 23, v10
	v_or3_b32 v2, v6, v7, v2
.LBB33_188:
	s_or_b64 exec, exec, s[6:7]
	s_movk_i32 s4, 0x7f
	v_cmp_gt_i16_sdwa s[6:7], v3, s4 src0_sel:BYTE_3 src1_sel:DWORD
	s_mov_b64 s[4:5], 0
                                        ; implicit-def: $sgpr10
	s_and_saveexec_b64 s[8:9], s[6:7]
	s_xor_b64 s[6:7], exec, s[8:9]
	s_cbranch_execnz .LBB33_2237
; %bb.189:
	s_or_saveexec_b64 s[6:7], s[6:7]
	v_mov_b32_e32 v6, s10
	s_xor_b64 exec, exec, s[6:7]
	s_cbranch_execnz .LBB33_2240
.LBB33_190:
	s_or_b64 exec, exec, s[6:7]
	s_and_saveexec_b64 s[6:7], s[4:5]
	s_cbranch_execz .LBB33_192
.LBB33_191:
	v_bfe_u32 v6, v3, 24, 3
	v_ffbh_u32_e32 v12, v6
	v_min_u32_e32 v12, 32, v12
	v_lshrrev_b32_e32 v10, 27, v3
	v_subrev_u32_e32 v13, 28, v12
	v_and_b32_e32 v7, 0x80000000, v3
	v_and_b32_e32 v10, 15, v10
	v_bfe_u32 v11, v3, 27, 4
	v_lshlrev_b32_sdwa v3, v13, v3 dst_sel:DWORD dst_unused:UNUSED_PAD src0_sel:DWORD src1_sel:BYTE_3
	v_sub_u32_e32 v12, 29, v12
	v_and_b32_e32 v3, 7, v3
	v_cmp_eq_u16_e32 vcc, 0, v10
	v_cndmask_b32_e32 v3, v6, v3, vcc
	v_cndmask_b32_e32 v6, v11, v12, vcc
	v_mov_b32_e32 v10, 0x3b800000
	v_lshlrev_b32_e32 v3, 20, v3
	v_lshl_add_u32 v6, v6, 23, v10
	v_or3_b32 v6, v7, v6, v3
.LBB33_192:
	s_or_b64 exec, exec, s[6:7]
	s_nop 0
	v_mfma_f32_16x16x4f32 a[0:3], v2, v6, a[0:3]
	s_movk_i32 s4, 0x7f
	v_cmp_gt_i16_sdwa s[6:7], v8, s4 src0_sel:BYTE_0 src1_sel:DWORD
	s_mov_b64 s[4:5], 0
                                        ; implicit-def: $sgpr10
	s_and_saveexec_b64 s[8:9], s[6:7]
	s_xor_b64 s[6:7], exec, s[8:9]
	s_cbranch_execnz .LBB33_2241
; %bb.193:
	s_or_saveexec_b64 s[6:7], s[6:7]
	v_mov_b32_e32 v2, s10
	s_xor_b64 exec, exec, s[6:7]
	s_cbranch_execnz .LBB33_2244
.LBB33_194:
	s_or_b64 exec, exec, s[6:7]
	s_and_saveexec_b64 s[6:7], s[4:5]
	s_cbranch_execz .LBB33_196
.LBB33_195:
	v_and_b32_e32 v2, 7, v8
	v_ffbh_u32_e32 v6, v2
	v_min_u32_e32 v6, 32, v6
	v_lshrrev_b16_e32 v3, 3, v8
	v_subrev_u32_e32 v7, 28, v6
	v_and_b32_e32 v3, 15, v3
	v_lshlrev_b32_e32 v7, v7, v8
	v_sub_u32_e32 v6, 29, v6
	v_and_b32_e32 v7, 7, v7
	v_cmp_eq_u16_e32 vcc, 0, v3
	v_cndmask_b32_e32 v2, v2, v7, vcc
	v_cndmask_b32_e32 v3, v3, v6, vcc
	v_lshlrev_b32_e32 v6, 24, v8
	v_mov_b32_e32 v7, 0x3b800000
	v_lshlrev_b32_e32 v2, 20, v2
	v_and_b32_e32 v6, 0x80000000, v6
	v_lshl_add_u32 v3, v3, 23, v7
	v_or3_b32 v2, v6, v3, v2
.LBB33_196:
	s_or_b64 exec, exec, s[6:7]
	s_movk_i32 s4, 0x7f
	v_cmp_gt_i16_sdwa s[6:7], v4, s4 src0_sel:BYTE_0 src1_sel:DWORD
	s_mov_b64 s[4:5], 0
                                        ; implicit-def: $sgpr10
	s_and_saveexec_b64 s[8:9], s[6:7]
	s_xor_b64 s[6:7], exec, s[8:9]
	s_cbranch_execnz .LBB33_2245
; %bb.197:
	s_or_saveexec_b64 s[6:7], s[6:7]
	v_mov_b32_e32 v3, s10
	s_xor_b64 exec, exec, s[6:7]
	s_cbranch_execnz .LBB33_2248
.LBB33_198:
	s_or_b64 exec, exec, s[6:7]
	s_and_saveexec_b64 s[6:7], s[4:5]
	s_cbranch_execz .LBB33_200
.LBB33_199:
	v_and_b32_e32 v3, 7, v4
	v_ffbh_u32_e32 v7, v3
	v_min_u32_e32 v7, 32, v7
	v_lshrrev_b16_e32 v6, 3, v4
	v_subrev_u32_e32 v10, 28, v7
	v_and_b32_e32 v6, 15, v6
	v_lshlrev_b32_e32 v10, v10, v4
	v_sub_u32_e32 v7, 29, v7
	v_and_b32_e32 v10, 7, v10
	v_cmp_eq_u16_e32 vcc, 0, v6
	v_cndmask_b32_e32 v3, v3, v10, vcc
	v_cndmask_b32_e32 v6, v6, v7, vcc
	v_lshlrev_b32_e32 v7, 24, v4
	v_mov_b32_e32 v10, 0x3b800000
	v_lshlrev_b32_e32 v3, 20, v3
	v_and_b32_e32 v7, 0x80000000, v7
	v_lshl_add_u32 v6, v6, 23, v10
	v_or3_b32 v3, v7, v6, v3
.LBB33_200:
	s_or_b64 exec, exec, s[6:7]
	s_nop 0
	v_mfma_f32_16x16x4f32 a[0:3], v2, v3, a[0:3]
	v_lshrrev_b32_e32 v3, 8, v8
	s_movk_i32 s4, 0x7f
	v_cmp_gt_i16_sdwa s[6:7], v3, s4 src0_sel:BYTE_0 src1_sel:DWORD
	s_mov_b64 s[4:5], 0
                                        ; implicit-def: $sgpr10
	s_and_saveexec_b64 s[8:9], s[6:7]
	s_xor_b64 s[6:7], exec, s[8:9]
	s_cbranch_execnz .LBB33_2249
; %bb.201:
	s_or_saveexec_b64 s[6:7], s[6:7]
	v_mov_b32_e32 v2, s10
	s_xor_b64 exec, exec, s[6:7]
	s_cbranch_execnz .LBB33_2252
.LBB33_202:
	s_or_b64 exec, exec, s[6:7]
	s_and_saveexec_b64 s[6:7], s[4:5]
	s_cbranch_execz .LBB33_204
.LBB33_203:
	v_bfe_u32 v2, v8, 8, 3
	v_ffbh_u32_e32 v7, v2
	v_min_u32_e32 v7, 32, v7
	v_lshrrev_b16_e32 v6, 3, v3
	v_subrev_u32_e32 v10, 28, v7
	v_and_b32_e32 v6, 15, v6
	v_lshlrev_b32_e32 v3, v10, v3
	v_sub_u32_e32 v7, 29, v7
	v_and_b32_e32 v3, 7, v3
	v_cmp_eq_u16_e32 vcc, 0, v6
	v_cndmask_b32_e32 v2, v2, v3, vcc
	v_cndmask_b32_e32 v3, v6, v7, vcc
	v_lshlrev_b32_e32 v6, 16, v8
	v_mov_b32_e32 v7, 0x3b800000
	v_lshlrev_b32_e32 v2, 20, v2
	v_and_b32_e32 v6, 0x80000000, v6
	v_lshl_add_u32 v3, v3, 23, v7
	v_or3_b32 v2, v6, v3, v2
.LBB33_204:
	s_or_b64 exec, exec, s[6:7]
	v_lshrrev_b32_e32 v3, 8, v4
	s_movk_i32 s4, 0x7f
	v_cmp_gt_i16_sdwa s[6:7], v3, s4 src0_sel:BYTE_0 src1_sel:DWORD
	s_mov_b64 s[4:5], 0
                                        ; implicit-def: $sgpr10
	s_and_saveexec_b64 s[8:9], s[6:7]
	s_xor_b64 s[6:7], exec, s[8:9]
	s_cbranch_execnz .LBB33_2253
; %bb.205:
	s_or_saveexec_b64 s[6:7], s[6:7]
	v_mov_b32_e32 v6, s10
	s_xor_b64 exec, exec, s[6:7]
	s_cbranch_execnz .LBB33_2256
.LBB33_206:
	s_or_b64 exec, exec, s[6:7]
	s_and_saveexec_b64 s[6:7], s[4:5]
	s_cbranch_execz .LBB33_208
.LBB33_207:
	v_bfe_u32 v6, v4, 8, 3
	v_ffbh_u32_e32 v10, v6
	v_min_u32_e32 v10, 32, v10
	v_lshrrev_b16_e32 v7, 3, v3
	v_subrev_u32_e32 v11, 28, v10
	v_and_b32_e32 v7, 15, v7
	v_lshlrev_b32_e32 v3, v11, v3
	v_sub_u32_e32 v10, 29, v10
	v_and_b32_e32 v3, 7, v3
	v_cmp_eq_u16_e32 vcc, 0, v7
	v_cndmask_b32_e32 v3, v6, v3, vcc
	v_cndmask_b32_e32 v6, v7, v10, vcc
	v_lshlrev_b32_e32 v7, 16, v4
	v_mov_b32_e32 v10, 0x3b800000
	v_lshlrev_b32_e32 v3, 20, v3
	v_and_b32_e32 v7, 0x80000000, v7
	v_lshl_add_u32 v6, v6, 23, v10
	v_or3_b32 v6, v7, v6, v3
.LBB33_208:
	s_or_b64 exec, exec, s[6:7]
	s_nop 0
	v_mfma_f32_16x16x4f32 a[0:3], v2, v6, a[0:3]
	s_movk_i32 s4, 0xff
	v_and_b32_sdwa v3, v8, s4 dst_sel:DWORD dst_unused:UNUSED_PAD src0_sel:WORD_1 src1_sel:DWORD
	s_movk_i32 s4, 0x7f
	v_cmp_lt_i16_e32 vcc, s4, v3
	s_mov_b64 s[4:5], 0
                                        ; implicit-def: $sgpr10
	s_and_saveexec_b64 s[6:7], vcc
	s_xor_b64 s[6:7], exec, s[6:7]
	s_cbranch_execnz .LBB33_2257
; %bb.209:
	s_or_saveexec_b64 s[6:7], s[6:7]
	v_mov_b32_e32 v2, s10
	s_xor_b64 exec, exec, s[6:7]
	s_cbranch_execnz .LBB33_2260
.LBB33_210:
	s_or_b64 exec, exec, s[6:7]
	s_and_saveexec_b64 s[6:7], s[4:5]
	s_cbranch_execz .LBB33_212
.LBB33_211:
	v_bfe_u32 v2, v8, 16, 3
	v_ffbh_u32_e32 v7, v2
	v_min_u32_e32 v7, 32, v7
	v_lshrrev_b32_e32 v3, 19, v8
	v_subrev_u32_e32 v10, 28, v7
	v_and_b32_e32 v3, 15, v3
	v_lshlrev_b32_sdwa v10, v10, v8 dst_sel:DWORD dst_unused:UNUSED_PAD src0_sel:DWORD src1_sel:WORD_1
	v_bfe_u32 v6, v8, 19, 4
	v_sub_u32_e32 v7, 29, v7
	v_and_b32_e32 v10, 7, v10
	v_cmp_eq_u16_e32 vcc, 0, v3
	v_cndmask_b32_e32 v2, v2, v10, vcc
	v_cndmask_b32_e32 v3, v6, v7, vcc
	v_lshlrev_b32_e32 v6, 8, v8
	v_mov_b32_e32 v7, 0x3b800000
	v_lshlrev_b32_e32 v2, 20, v2
	v_and_b32_e32 v6, 0x80000000, v6
	v_lshl_add_u32 v3, v3, 23, v7
	v_or3_b32 v2, v6, v3, v2
.LBB33_212:
	s_or_b64 exec, exec, s[6:7]
	s_movk_i32 s4, 0xff
	v_and_b32_sdwa v3, v4, s4 dst_sel:DWORD dst_unused:UNUSED_PAD src0_sel:WORD_1 src1_sel:DWORD
	s_movk_i32 s4, 0x7f
	v_cmp_lt_i16_e32 vcc, s4, v3
	s_mov_b64 s[4:5], 0
                                        ; implicit-def: $sgpr10
	s_and_saveexec_b64 s[6:7], vcc
	s_xor_b64 s[6:7], exec, s[6:7]
	s_cbranch_execnz .LBB33_2261
; %bb.213:
	s_or_saveexec_b64 s[6:7], s[6:7]
	v_mov_b32_e32 v6, s10
	s_xor_b64 exec, exec, s[6:7]
	s_cbranch_execnz .LBB33_2264
.LBB33_214:
	s_or_b64 exec, exec, s[6:7]
	s_and_saveexec_b64 s[6:7], s[4:5]
	s_cbranch_execz .LBB33_216
.LBB33_215:
	v_bfe_u32 v3, v4, 16, 3
	v_ffbh_u32_e32 v10, v3
	v_min_u32_e32 v10, 32, v10
	v_lshrrev_b32_e32 v6, 19, v4
	v_subrev_u32_e32 v11, 28, v10
	v_and_b32_e32 v6, 15, v6
	v_lshlrev_b32_sdwa v11, v11, v4 dst_sel:DWORD dst_unused:UNUSED_PAD src0_sel:DWORD src1_sel:WORD_1
	v_bfe_u32 v7, v4, 19, 4
	v_sub_u32_e32 v10, 29, v10
	v_and_b32_e32 v11, 7, v11
	v_cmp_eq_u16_e32 vcc, 0, v6
	v_cndmask_b32_e32 v3, v3, v11, vcc
	v_cndmask_b32_e32 v6, v7, v10, vcc
	v_lshlrev_b32_e32 v7, 8, v4
	v_mov_b32_e32 v10, 0x3b800000
	v_lshlrev_b32_e32 v3, 20, v3
	v_and_b32_e32 v7, 0x80000000, v7
	v_lshl_add_u32 v6, v6, 23, v10
	v_or3_b32 v6, v7, v6, v3
.LBB33_216:
	s_or_b64 exec, exec, s[6:7]
	s_nop 0
	v_mfma_f32_16x16x4f32 a[0:3], v2, v6, a[0:3]
	s_movk_i32 s4, 0x7f
	v_cmp_gt_i16_sdwa s[6:7], v8, s4 src0_sel:BYTE_3 src1_sel:DWORD
	s_mov_b64 s[4:5], 0
                                        ; implicit-def: $sgpr10
	s_and_saveexec_b64 s[8:9], s[6:7]
	s_xor_b64 s[6:7], exec, s[8:9]
	s_cbranch_execnz .LBB33_2265
; %bb.217:
	s_or_saveexec_b64 s[6:7], s[6:7]
	v_mov_b32_e32 v2, s10
	s_xor_b64 exec, exec, s[6:7]
	s_cbranch_execnz .LBB33_2268
.LBB33_218:
	s_or_b64 exec, exec, s[6:7]
	s_and_saveexec_b64 s[6:7], s[4:5]
	s_cbranch_execz .LBB33_220
.LBB33_219:
	v_bfe_u32 v2, v8, 24, 3
	v_ffbh_u32_e32 v10, v2
	v_min_u32_e32 v10, 32, v10
	v_lshrrev_b32_e32 v6, 27, v8
	v_subrev_u32_e32 v11, 28, v10
	v_and_b32_e32 v3, 0x80000000, v8
	v_and_b32_e32 v6, 15, v6
	v_bfe_u32 v7, v8, 27, 4
	v_lshlrev_b32_sdwa v8, v11, v8 dst_sel:DWORD dst_unused:UNUSED_PAD src0_sel:DWORD src1_sel:BYTE_3
	v_sub_u32_e32 v10, 29, v10
	v_and_b32_e32 v8, 7, v8
	v_cmp_eq_u16_e32 vcc, 0, v6
	v_cndmask_b32_e32 v2, v2, v8, vcc
	v_cndmask_b32_e32 v6, v7, v10, vcc
	v_mov_b32_e32 v7, 0x3b800000
	v_lshlrev_b32_e32 v2, 20, v2
	v_lshl_add_u32 v6, v6, 23, v7
	v_or3_b32 v2, v3, v6, v2
.LBB33_220:
	s_or_b64 exec, exec, s[6:7]
	s_movk_i32 s4, 0x7f
	v_cmp_gt_i16_sdwa s[6:7], v4, s4 src0_sel:BYTE_3 src1_sel:DWORD
	s_mov_b64 s[4:5], 0
                                        ; implicit-def: $sgpr10
	s_and_saveexec_b64 s[8:9], s[6:7]
	s_xor_b64 s[6:7], exec, s[8:9]
	s_cbranch_execnz .LBB33_2269
; %bb.221:
	s_or_saveexec_b64 s[6:7], s[6:7]
	v_mov_b32_e32 v3, s10
	s_xor_b64 exec, exec, s[6:7]
	s_cbranch_execnz .LBB33_2272
.LBB33_222:
	s_or_b64 exec, exec, s[6:7]
	s_and_saveexec_b64 s[6:7], s[4:5]
	s_cbranch_execz .LBB33_224
.LBB33_223:
	v_bfe_u32 v3, v4, 24, 3
	v_ffbh_u32_e32 v10, v3
	v_min_u32_e32 v10, 32, v10
	v_lshrrev_b32_e32 v7, 27, v4
	v_subrev_u32_e32 v11, 28, v10
	v_and_b32_e32 v6, 0x80000000, v4
	v_and_b32_e32 v7, 15, v7
	v_bfe_u32 v8, v4, 27, 4
	v_lshlrev_b32_sdwa v4, v11, v4 dst_sel:DWORD dst_unused:UNUSED_PAD src0_sel:DWORD src1_sel:BYTE_3
	v_sub_u32_e32 v10, 29, v10
	v_and_b32_e32 v4, 7, v4
	v_cmp_eq_u16_e32 vcc, 0, v7
	v_cndmask_b32_e32 v3, v3, v4, vcc
	v_cndmask_b32_e32 v4, v8, v10, vcc
	v_mov_b32_e32 v7, 0x3b800000
	v_lshlrev_b32_e32 v3, 20, v3
	v_lshl_add_u32 v4, v4, 23, v7
	v_or3_b32 v3, v6, v4, v3
.LBB33_224:
	s_or_b64 exec, exec, s[6:7]
	s_nop 0
	v_mfma_f32_16x16x4f32 a[0:3], v2, v3, a[0:3]
	s_movk_i32 s4, 0x7f
	v_cmp_gt_i16_sdwa s[6:7], v9, s4 src0_sel:BYTE_0 src1_sel:DWORD
	s_mov_b64 s[4:5], 0
                                        ; implicit-def: $sgpr10
	s_and_saveexec_b64 s[8:9], s[6:7]
	s_xor_b64 s[6:7], exec, s[8:9]
	s_cbranch_execnz .LBB33_2273
; %bb.225:
	s_or_saveexec_b64 s[6:7], s[6:7]
	v_mov_b32_e32 v2, s10
	s_xor_b64 exec, exec, s[6:7]
	s_cbranch_execnz .LBB33_2276
.LBB33_226:
	s_or_b64 exec, exec, s[6:7]
	s_and_saveexec_b64 s[6:7], s[4:5]
	s_cbranch_execz .LBB33_228
.LBB33_227:
	v_mov_b32_e32 v2, 8
	v_and_b32_e32 v3, 7, v9
	v_lshrrev_b32_sdwa v2, v2, v9 dst_sel:BYTE_1 dst_unused:UNUSED_PAD src0_sel:DWORD src1_sel:DWORD
	v_ffbh_u32_e32 v4, v3
	v_or_b32_sdwa v2, v9, v2 dst_sel:DWORD dst_unused:UNUSED_PAD src0_sel:BYTE_0 src1_sel:DWORD
	v_min_u32_e32 v4, 32, v4
	v_lshrrev_b16_e32 v2, 3, v2
	v_subrev_u32_e32 v6, 28, v4
	v_and_b32_e32 v2, 15, v2
	v_lshlrev_b32_e32 v6, v6, v9
	v_sub_u32_e32 v4, 29, v4
	v_and_b32_e32 v6, 7, v6
	v_cmp_eq_u16_e32 vcc, 0, v2
	v_cndmask_b32_e32 v3, v3, v6, vcc
	v_cndmask_b32_e32 v2, v2, v4, vcc
	v_lshlrev_b32_e32 v4, 24, v9
	v_mov_b32_e32 v6, 0x3b800000
	v_lshlrev_b32_e32 v3, 20, v3
	v_and_b32_e32 v4, 0x80000000, v4
	v_lshl_add_u32 v2, v2, 23, v6
	v_or3_b32 v2, v4, v2, v3
.LBB33_228:
	s_or_b64 exec, exec, s[6:7]
	s_movk_i32 s4, 0x7f
	v_cmp_gt_i16_sdwa s[6:7], v5, s4 src0_sel:BYTE_0 src1_sel:DWORD
	s_mov_b64 s[4:5], 0
                                        ; implicit-def: $sgpr10
	s_and_saveexec_b64 s[8:9], s[6:7]
	s_xor_b64 s[6:7], exec, s[8:9]
	s_cbranch_execnz .LBB33_2277
; %bb.229:
	s_or_saveexec_b64 s[6:7], s[6:7]
	v_mov_b32_e32 v3, s10
	s_xor_b64 exec, exec, s[6:7]
	s_cbranch_execnz .LBB33_2280
.LBB33_230:
	s_or_b64 exec, exec, s[6:7]
	s_and_saveexec_b64 s[6:7], s[4:5]
	s_cbranch_execz .LBB33_232
.LBB33_231:
	v_mov_b32_e32 v3, 8
	v_and_b32_e32 v4, 7, v5
	v_lshrrev_b32_sdwa v3, v3, v5 dst_sel:BYTE_1 dst_unused:UNUSED_PAD src0_sel:DWORD src1_sel:DWORD
	v_ffbh_u32_e32 v6, v4
	v_or_b32_sdwa v3, v5, v3 dst_sel:DWORD dst_unused:UNUSED_PAD src0_sel:BYTE_0 src1_sel:DWORD
	v_min_u32_e32 v6, 32, v6
	v_lshrrev_b16_e32 v3, 3, v3
	v_subrev_u32_e32 v7, 28, v6
	v_and_b32_e32 v3, 15, v3
	v_lshlrev_b32_e32 v7, v7, v5
	v_sub_u32_e32 v6, 29, v6
	v_and_b32_e32 v7, 7, v7
	v_cmp_eq_u16_e32 vcc, 0, v3
	v_cndmask_b32_e32 v4, v4, v7, vcc
	v_cndmask_b32_e32 v3, v3, v6, vcc
	v_lshlrev_b32_e32 v6, 24, v5
	v_mov_b32_e32 v7, 0x3b800000
	v_lshlrev_b32_e32 v4, 20, v4
	v_and_b32_e32 v6, 0x80000000, v6
	v_lshl_add_u32 v3, v3, 23, v7
	v_or3_b32 v3, v6, v3, v4
.LBB33_232:
	s_or_b64 exec, exec, s[6:7]
	s_nop 0
	v_mfma_f32_16x16x4f32 a[0:3], v2, v3, a[0:3]
	v_lshrrev_b32_e32 v3, 8, v9
	s_movk_i32 s4, 0x7f
	v_cmp_gt_i16_sdwa s[6:7], v3, s4 src0_sel:BYTE_0 src1_sel:DWORD
	s_mov_b64 s[4:5], 0
                                        ; implicit-def: $sgpr10
	s_and_saveexec_b64 s[8:9], s[6:7]
	s_xor_b64 s[6:7], exec, s[8:9]
	s_cbranch_execnz .LBB33_2281
; %bb.233:
	s_or_saveexec_b64 s[6:7], s[6:7]
	v_mov_b32_e32 v2, s10
	s_xor_b64 exec, exec, s[6:7]
	s_cbranch_execnz .LBB33_2284
.LBB33_234:
	s_or_b64 exec, exec, s[6:7]
	s_and_saveexec_b64 s[6:7], s[4:5]
	s_cbranch_execz .LBB33_236
.LBB33_235:
	v_bfe_u32 v2, v9, 8, 3
	v_ffbh_u32_e32 v6, v2
	v_min_u32_e32 v6, 32, v6
	v_lshrrev_b16_e32 v4, 3, v3
	v_subrev_u32_e32 v7, 28, v6
	v_and_b32_e32 v4, 15, v4
	v_lshlrev_b32_e32 v3, v7, v3
	v_sub_u32_e32 v6, 29, v6
	v_and_b32_e32 v3, 7, v3
	v_cmp_eq_u16_e32 vcc, 0, v4
	v_cndmask_b32_e32 v2, v2, v3, vcc
	v_cndmask_b32_e32 v3, v4, v6, vcc
	v_lshlrev_b32_e32 v4, 16, v9
	v_mov_b32_e32 v6, 0x3b800000
	v_lshlrev_b32_e32 v2, 20, v2
	v_and_b32_e32 v4, 0x80000000, v4
	v_lshl_add_u32 v3, v3, 23, v6
	v_or3_b32 v2, v4, v3, v2
.LBB33_236:
	s_or_b64 exec, exec, s[6:7]
	v_lshrrev_b32_e32 v3, 8, v5
	s_movk_i32 s4, 0x7f
	v_cmp_gt_i16_sdwa s[6:7], v3, s4 src0_sel:BYTE_0 src1_sel:DWORD
	s_mov_b64 s[4:5], 0
                                        ; implicit-def: $sgpr10
	s_and_saveexec_b64 s[8:9], s[6:7]
	s_xor_b64 s[6:7], exec, s[8:9]
	s_cbranch_execnz .LBB33_2285
; %bb.237:
	s_or_saveexec_b64 s[6:7], s[6:7]
	v_mov_b32_e32 v4, s10
	s_xor_b64 exec, exec, s[6:7]
	s_cbranch_execnz .LBB33_2288
.LBB33_238:
	s_or_b64 exec, exec, s[6:7]
	s_and_saveexec_b64 s[6:7], s[4:5]
	s_cbranch_execz .LBB33_240
.LBB33_239:
	v_bfe_u32 v4, v5, 8, 3
	v_ffbh_u32_e32 v7, v4
	v_min_u32_e32 v7, 32, v7
	v_lshrrev_b16_e32 v6, 3, v3
	v_subrev_u32_e32 v8, 28, v7
	v_and_b32_e32 v6, 15, v6
	v_lshlrev_b32_e32 v3, v8, v3
	v_sub_u32_e32 v7, 29, v7
	v_and_b32_e32 v3, 7, v3
	v_cmp_eq_u16_e32 vcc, 0, v6
	v_cndmask_b32_e32 v3, v4, v3, vcc
	v_cndmask_b32_e32 v4, v6, v7, vcc
	v_lshlrev_b32_e32 v6, 16, v5
	v_mov_b32_e32 v7, 0x3b800000
	v_lshlrev_b32_e32 v3, 20, v3
	v_and_b32_e32 v6, 0x80000000, v6
	v_lshl_add_u32 v4, v4, 23, v7
	v_or3_b32 v4, v6, v4, v3
.LBB33_240:
	s_or_b64 exec, exec, s[6:7]
	s_nop 0
	v_mfma_f32_16x16x4f32 a[0:3], v2, v4, a[0:3]
	s_movk_i32 s4, 0xff
	v_and_b32_sdwa v3, v9, s4 dst_sel:DWORD dst_unused:UNUSED_PAD src0_sel:WORD_1 src1_sel:DWORD
	s_movk_i32 s4, 0x7f
	v_cmp_lt_i16_e32 vcc, s4, v3
	s_mov_b64 s[4:5], 0
                                        ; implicit-def: $sgpr10
	s_and_saveexec_b64 s[6:7], vcc
	s_xor_b64 s[6:7], exec, s[6:7]
	s_cbranch_execnz .LBB33_2289
; %bb.241:
	s_or_saveexec_b64 s[6:7], s[6:7]
	v_mov_b32_e32 v2, s10
	s_xor_b64 exec, exec, s[6:7]
	s_cbranch_execnz .LBB33_2292
.LBB33_242:
	s_or_b64 exec, exec, s[6:7]
	s_and_saveexec_b64 s[6:7], s[4:5]
	s_cbranch_execz .LBB33_244
.LBB33_243:
	v_bfe_u32 v2, v9, 16, 3
	v_ffbh_u32_e32 v6, v2
	v_min_u32_e32 v6, 32, v6
	v_lshrrev_b32_e32 v3, 19, v9
	v_subrev_u32_e32 v7, 28, v6
	v_and_b32_e32 v3, 15, v3
	v_lshlrev_b32_sdwa v7, v7, v9 dst_sel:DWORD dst_unused:UNUSED_PAD src0_sel:DWORD src1_sel:WORD_1
	v_bfe_u32 v4, v9, 19, 4
	v_sub_u32_e32 v6, 29, v6
	v_and_b32_e32 v7, 7, v7
	v_cmp_eq_u16_e32 vcc, 0, v3
	v_cndmask_b32_e32 v2, v2, v7, vcc
	v_cndmask_b32_e32 v3, v4, v6, vcc
	v_lshlrev_b32_e32 v4, 8, v9
	v_mov_b32_e32 v6, 0x3b800000
	v_lshlrev_b32_e32 v2, 20, v2
	v_and_b32_e32 v4, 0x80000000, v4
	v_lshl_add_u32 v3, v3, 23, v6
	v_or3_b32 v2, v4, v3, v2
.LBB33_244:
	s_or_b64 exec, exec, s[6:7]
	s_movk_i32 s4, 0xff
	v_and_b32_sdwa v3, v5, s4 dst_sel:DWORD dst_unused:UNUSED_PAD src0_sel:WORD_1 src1_sel:DWORD
	s_movk_i32 s4, 0x7f
	v_cmp_lt_i16_e32 vcc, s4, v3
	s_mov_b64 s[4:5], 0
                                        ; implicit-def: $sgpr10
	s_and_saveexec_b64 s[6:7], vcc
	s_xor_b64 s[6:7], exec, s[6:7]
	s_cbranch_execnz .LBB33_2293
; %bb.245:
	s_or_saveexec_b64 s[6:7], s[6:7]
	v_mov_b32_e32 v4, s10
	s_xor_b64 exec, exec, s[6:7]
	s_cbranch_execnz .LBB33_2296
.LBB33_246:
	s_or_b64 exec, exec, s[6:7]
	s_and_saveexec_b64 s[6:7], s[4:5]
	s_cbranch_execz .LBB33_248
.LBB33_247:
	v_bfe_u32 v3, v5, 16, 3
	v_ffbh_u32_e32 v7, v3
	v_min_u32_e32 v7, 32, v7
	v_lshrrev_b32_e32 v4, 19, v5
	v_subrev_u32_e32 v8, 28, v7
	v_and_b32_e32 v4, 15, v4
	v_lshlrev_b32_sdwa v8, v8, v5 dst_sel:DWORD dst_unused:UNUSED_PAD src0_sel:DWORD src1_sel:WORD_1
	v_bfe_u32 v6, v5, 19, 4
	v_sub_u32_e32 v7, 29, v7
	v_and_b32_e32 v8, 7, v8
	v_cmp_eq_u16_e32 vcc, 0, v4
	v_cndmask_b32_e32 v3, v3, v8, vcc
	v_cndmask_b32_e32 v4, v6, v7, vcc
	v_lshlrev_b32_e32 v6, 8, v5
	v_mov_b32_e32 v7, 0x3b800000
	v_lshlrev_b32_e32 v3, 20, v3
	v_and_b32_e32 v6, 0x80000000, v6
	v_lshl_add_u32 v4, v4, 23, v7
	v_or3_b32 v4, v6, v4, v3
.LBB33_248:
	s_or_b64 exec, exec, s[6:7]
	s_nop 0
	v_mfma_f32_16x16x4f32 a[0:3], v2, v4, a[0:3]
	s_movk_i32 s4, 0x7f
	v_cmp_gt_i16_sdwa s[6:7], v9, s4 src0_sel:BYTE_3 src1_sel:DWORD
	s_mov_b64 s[4:5], 0
                                        ; implicit-def: $sgpr10
	s_and_saveexec_b64 s[8:9], s[6:7]
	s_xor_b64 s[6:7], exec, s[8:9]
	s_cbranch_execnz .LBB33_2297
; %bb.249:
	s_or_saveexec_b64 s[6:7], s[6:7]
	v_mov_b32_e32 v2, s10
	s_xor_b64 exec, exec, s[6:7]
	s_cbranch_execnz .LBB33_2300
.LBB33_250:
	s_or_b64 exec, exec, s[6:7]
	s_and_saveexec_b64 s[6:7], s[4:5]
	s_cbranch_execz .LBB33_252
.LBB33_251:
	v_bfe_u32 v2, v9, 24, 3
	v_ffbh_u32_e32 v7, v2
	v_min_u32_e32 v7, 32, v7
	v_lshrrev_b32_e32 v4, 27, v9
	v_subrev_u32_e32 v8, 28, v7
	v_and_b32_e32 v4, 15, v4
	v_lshlrev_b32_sdwa v8, v8, v9 dst_sel:DWORD dst_unused:UNUSED_PAD src0_sel:DWORD src1_sel:BYTE_3
	v_bfe_u32 v6, v9, 27, 4
	v_sub_u32_e32 v7, 29, v7
	v_and_b32_e32 v8, 7, v8
	v_cmp_eq_u16_e32 vcc, 0, v4
	v_cndmask_b32_e32 v2, v2, v8, vcc
	v_cndmask_b32_e32 v4, v6, v7, vcc
	v_mov_b32_e32 v6, 0x3b800000
	v_and_b32_e32 v3, 0x80000000, v9
	v_lshlrev_b32_e32 v2, 20, v2
	v_lshl_add_u32 v4, v4, 23, v6
	v_or3_b32 v2, v3, v4, v2
.LBB33_252:
	s_or_b64 exec, exec, s[6:7]
	s_movk_i32 s4, 0x7f
	v_cmp_gt_i16_sdwa s[6:7], v5, s4 src0_sel:BYTE_3 src1_sel:DWORD
	s_mov_b64 s[4:5], 0
                                        ; implicit-def: $sgpr10
	s_and_saveexec_b64 s[8:9], s[6:7]
	s_xor_b64 s[6:7], exec, s[8:9]
	s_cbranch_execnz .LBB33_2301
; %bb.253:
	s_or_saveexec_b64 s[6:7], s[6:7]
	v_mov_b32_e32 v3, s10
	s_xor_b64 exec, exec, s[6:7]
	s_cbranch_execnz .LBB33_2304
.LBB33_254:
	s_or_b64 exec, exec, s[6:7]
	s_and_saveexec_b64 s[6:7], s[4:5]
	s_cbranch_execz .LBB33_256
.LBB33_255:
	v_bfe_u32 v3, v5, 24, 3
	v_ffbh_u32_e32 v8, v3
	v_min_u32_e32 v8, 32, v8
	v_lshrrev_b32_e32 v6, 27, v5
	v_subrev_u32_e32 v9, 28, v8
	v_and_b32_e32 v4, 0x80000000, v5
	v_and_b32_e32 v6, 15, v6
	v_bfe_u32 v7, v5, 27, 4
	v_lshlrev_b32_sdwa v5, v9, v5 dst_sel:DWORD dst_unused:UNUSED_PAD src0_sel:DWORD src1_sel:BYTE_3
	v_sub_u32_e32 v8, 29, v8
	v_and_b32_e32 v5, 7, v5
	v_cmp_eq_u16_e32 vcc, 0, v6
	v_cndmask_b32_e32 v3, v3, v5, vcc
	v_cndmask_b32_e32 v5, v7, v8, vcc
	v_mov_b32_e32 v6, 0x3b800000
	v_lshlrev_b32_e32 v3, 20, v3
	v_lshl_add_u32 v5, v5, 23, v6
	v_or3_b32 v3, v4, v5, v3
.LBB33_256:
	s_or_b64 exec, exec, s[6:7]
	s_nop 0
	v_mfma_f32_16x16x4f32 a[0:3], v2, v3, a[0:3]
	s_movk_i32 s4, 0x7f
                                        ; implicit-def: $sgpr10
	s_nop 7
	s_nop 1
	flat_store_dwordx4 v[18:19], a[0:3] offset:640
	flat_load_dwordx4 v[20:23], v[0:1] offset:16
	s_nop 0
	flat_load_dwordx2 v[18:19], v[0:1] offset:32
	s_waitcnt vmcnt(0) lgkmcnt(0)
	flat_load_dwordx4 v[14:17], v[20:21] offset:32
	flat_load_dwordx4 v[10:13], v[22:23] offset:32
	;; [unrolled: 1-line block ×4, first 2 shown]
	s_waitcnt vmcnt(0) lgkmcnt(0)
	v_cmp_gt_i16_sdwa s[6:7], v14, s4 src0_sel:BYTE_0 src1_sel:DWORD
	s_mov_b64 s[4:5], 0
	s_and_saveexec_b64 s[8:9], s[6:7]
	s_xor_b64 s[6:7], exec, s[8:9]
	s_cbranch_execnz .LBB33_2305
; %bb.257:
	s_or_saveexec_b64 s[6:7], s[6:7]
	v_mov_b32_e32 v20, s10
	s_xor_b64 exec, exec, s[6:7]
	s_cbranch_execnz .LBB33_2308
.LBB33_258:
	s_or_b64 exec, exec, s[6:7]
	s_and_saveexec_b64 s[6:7], s[4:5]
	s_cbranch_execz .LBB33_260
.LBB33_259:
	v_and_b32_e32 v20, 7, v14
	v_ffbh_u32_e32 v22, v20
	v_min_u32_e32 v22, 32, v22
	v_lshrrev_b16_e32 v21, 3, v14
	v_subrev_u32_e32 v23, 28, v22
	v_and_b32_e32 v21, 15, v21
	v_lshlrev_b32_e32 v23, v23, v14
	v_sub_u32_e32 v22, 29, v22
	v_and_b32_e32 v23, 7, v23
	v_cmp_eq_u16_e32 vcc, 0, v21
	v_cndmask_b32_e32 v20, v20, v23, vcc
	v_cndmask_b32_e32 v21, v21, v22, vcc
	v_lshlrev_b32_e32 v22, 24, v14
	v_mov_b32_e32 v23, 0x3b800000
	v_lshlrev_b32_e32 v20, 20, v20
	v_and_b32_e32 v22, 0x80000000, v22
	v_lshl_add_u32 v21, v21, 23, v23
	v_or3_b32 v20, v22, v21, v20
.LBB33_260:
	s_or_b64 exec, exec, s[6:7]
	s_movk_i32 s4, 0x7f
	v_cmp_gt_i16_sdwa s[6:7], v10, s4 src0_sel:BYTE_0 src1_sel:DWORD
	s_mov_b64 s[4:5], 0
                                        ; implicit-def: $sgpr10
	s_and_saveexec_b64 s[8:9], s[6:7]
	s_xor_b64 s[6:7], exec, s[8:9]
	s_cbranch_execnz .LBB33_2309
; %bb.261:
	s_or_saveexec_b64 s[6:7], s[6:7]
	v_mov_b32_e32 v21, s10
	s_xor_b64 exec, exec, s[6:7]
	s_cbranch_execnz .LBB33_2312
.LBB33_262:
	s_or_b64 exec, exec, s[6:7]
	s_and_saveexec_b64 s[6:7], s[4:5]
	s_cbranch_execz .LBB33_264
.LBB33_263:
	v_and_b32_e32 v21, 7, v10
	v_ffbh_u32_e32 v23, v21
	v_min_u32_e32 v23, 32, v23
	v_lshrrev_b16_e32 v22, 3, v10
	v_subrev_u32_e32 v24, 28, v23
	v_and_b32_e32 v22, 15, v22
	v_lshlrev_b32_e32 v24, v24, v10
	v_sub_u32_e32 v23, 29, v23
	v_and_b32_e32 v24, 7, v24
	v_cmp_eq_u16_e32 vcc, 0, v22
	v_cndmask_b32_e32 v21, v21, v24, vcc
	v_cndmask_b32_e32 v22, v22, v23, vcc
	v_lshlrev_b32_e32 v23, 24, v10
	v_mov_b32_e32 v24, 0x3b800000
	v_lshlrev_b32_e32 v21, 20, v21
	v_and_b32_e32 v23, 0x80000000, v23
	v_lshl_add_u32 v22, v22, 23, v24
	v_or3_b32 v21, v23, v22, v21
.LBB33_264:
	s_or_b64 exec, exec, s[6:7]
	flat_load_dwordx4 a[0:3], v[18:19] offset:656
	s_movk_i32 s4, 0x7f
                                        ; implicit-def: $sgpr10
	s_waitcnt vmcnt(0) lgkmcnt(0)
	v_mfma_f32_16x16x4f32 a[0:3], v20, v21, a[0:3]
	v_lshrrev_b32_e32 v21, 8, v14
	v_cmp_gt_i16_sdwa s[6:7], v21, s4 src0_sel:BYTE_0 src1_sel:DWORD
	s_mov_b64 s[4:5], 0
	s_and_saveexec_b64 s[8:9], s[6:7]
	s_xor_b64 s[6:7], exec, s[8:9]
	s_cbranch_execnz .LBB33_2313
; %bb.265:
	s_or_saveexec_b64 s[6:7], s[6:7]
	v_mov_b32_e32 v20, s10
	s_xor_b64 exec, exec, s[6:7]
	s_cbranch_execnz .LBB33_2316
.LBB33_266:
	s_or_b64 exec, exec, s[6:7]
	s_and_saveexec_b64 s[6:7], s[4:5]
	s_cbranch_execz .LBB33_268
.LBB33_267:
	v_bfe_u32 v20, v14, 8, 3
	v_ffbh_u32_e32 v23, v20
	v_min_u32_e32 v23, 32, v23
	v_lshrrev_b16_e32 v22, 3, v21
	v_subrev_u32_e32 v24, 28, v23
	v_and_b32_e32 v22, 15, v22
	v_lshlrev_b32_e32 v21, v24, v21
	v_sub_u32_e32 v23, 29, v23
	v_and_b32_e32 v21, 7, v21
	v_cmp_eq_u16_e32 vcc, 0, v22
	v_cndmask_b32_e32 v20, v20, v21, vcc
	v_cndmask_b32_e32 v21, v22, v23, vcc
	v_lshlrev_b32_e32 v22, 16, v14
	v_mov_b32_e32 v23, 0x3b800000
	v_lshlrev_b32_e32 v20, 20, v20
	v_and_b32_e32 v22, 0x80000000, v22
	v_lshl_add_u32 v21, v21, 23, v23
	v_or3_b32 v20, v22, v21, v20
.LBB33_268:
	s_or_b64 exec, exec, s[6:7]
	v_lshrrev_b32_e32 v21, 8, v10
	s_movk_i32 s4, 0x7f
	v_cmp_gt_i16_sdwa s[6:7], v21, s4 src0_sel:BYTE_0 src1_sel:DWORD
	s_mov_b64 s[4:5], 0
                                        ; implicit-def: $sgpr10
	s_and_saveexec_b64 s[8:9], s[6:7]
	s_xor_b64 s[6:7], exec, s[8:9]
	s_cbranch_execnz .LBB33_2317
; %bb.269:
	s_or_saveexec_b64 s[6:7], s[6:7]
	v_mov_b32_e32 v22, s10
	s_xor_b64 exec, exec, s[6:7]
	s_cbranch_execnz .LBB33_2320
.LBB33_270:
	s_or_b64 exec, exec, s[6:7]
	s_and_saveexec_b64 s[6:7], s[4:5]
	s_cbranch_execz .LBB33_272
.LBB33_271:
	v_bfe_u32 v22, v10, 8, 3
	v_ffbh_u32_e32 v24, v22
	v_min_u32_e32 v24, 32, v24
	v_lshrrev_b16_e32 v23, 3, v21
	v_subrev_u32_e32 v25, 28, v24
	v_and_b32_e32 v23, 15, v23
	v_lshlrev_b32_e32 v21, v25, v21
	v_sub_u32_e32 v24, 29, v24
	v_and_b32_e32 v21, 7, v21
	v_cmp_eq_u16_e32 vcc, 0, v23
	v_cndmask_b32_e32 v21, v22, v21, vcc
	v_cndmask_b32_e32 v22, v23, v24, vcc
	v_lshlrev_b32_e32 v23, 16, v10
	v_mov_b32_e32 v24, 0x3b800000
	v_lshlrev_b32_e32 v21, 20, v21
	v_and_b32_e32 v23, 0x80000000, v23
	v_lshl_add_u32 v22, v22, 23, v24
	v_or3_b32 v22, v23, v22, v21
.LBB33_272:
	s_or_b64 exec, exec, s[6:7]
	s_nop 0
	v_mfma_f32_16x16x4f32 a[0:3], v20, v22, a[0:3]
	s_movk_i32 s4, 0xff
	v_and_b32_sdwa v21, v14, s4 dst_sel:DWORD dst_unused:UNUSED_PAD src0_sel:WORD_1 src1_sel:DWORD
	s_movk_i32 s4, 0x7f
	v_cmp_lt_i16_e32 vcc, s4, v21
	s_mov_b64 s[4:5], 0
                                        ; implicit-def: $sgpr10
	s_and_saveexec_b64 s[6:7], vcc
	s_xor_b64 s[6:7], exec, s[6:7]
	s_cbranch_execnz .LBB33_2321
; %bb.273:
	s_or_saveexec_b64 s[6:7], s[6:7]
	v_mov_b32_e32 v20, s10
	s_xor_b64 exec, exec, s[6:7]
	s_cbranch_execnz .LBB33_2324
.LBB33_274:
	s_or_b64 exec, exec, s[6:7]
	s_and_saveexec_b64 s[6:7], s[4:5]
	s_cbranch_execz .LBB33_276
.LBB33_275:
	v_bfe_u32 v20, v14, 16, 3
	v_ffbh_u32_e32 v23, v20
	v_min_u32_e32 v23, 32, v23
	v_lshrrev_b32_e32 v21, 19, v14
	v_subrev_u32_e32 v24, 28, v23
	v_and_b32_e32 v21, 15, v21
	v_lshlrev_b32_sdwa v24, v24, v14 dst_sel:DWORD dst_unused:UNUSED_PAD src0_sel:DWORD src1_sel:WORD_1
	v_bfe_u32 v22, v14, 19, 4
	v_sub_u32_e32 v23, 29, v23
	v_and_b32_e32 v24, 7, v24
	v_cmp_eq_u16_e32 vcc, 0, v21
	v_cndmask_b32_e32 v20, v20, v24, vcc
	v_cndmask_b32_e32 v21, v22, v23, vcc
	v_lshlrev_b32_e32 v22, 8, v14
	v_mov_b32_e32 v23, 0x3b800000
	v_lshlrev_b32_e32 v20, 20, v20
	v_and_b32_e32 v22, 0x80000000, v22
	v_lshl_add_u32 v21, v21, 23, v23
	v_or3_b32 v20, v22, v21, v20
.LBB33_276:
	s_or_b64 exec, exec, s[6:7]
	s_movk_i32 s4, 0xff
	v_and_b32_sdwa v21, v10, s4 dst_sel:DWORD dst_unused:UNUSED_PAD src0_sel:WORD_1 src1_sel:DWORD
	s_movk_i32 s4, 0x7f
	v_cmp_lt_i16_e32 vcc, s4, v21
	s_mov_b64 s[4:5], 0
                                        ; implicit-def: $sgpr10
	s_and_saveexec_b64 s[6:7], vcc
	s_xor_b64 s[6:7], exec, s[6:7]
	s_cbranch_execnz .LBB33_2325
; %bb.277:
	s_or_saveexec_b64 s[6:7], s[6:7]
	v_mov_b32_e32 v22, s10
	s_xor_b64 exec, exec, s[6:7]
	s_cbranch_execnz .LBB33_2328
.LBB33_278:
	s_or_b64 exec, exec, s[6:7]
	s_and_saveexec_b64 s[6:7], s[4:5]
	s_cbranch_execz .LBB33_280
.LBB33_279:
	v_bfe_u32 v21, v10, 16, 3
	v_ffbh_u32_e32 v24, v21
	v_min_u32_e32 v24, 32, v24
	v_lshrrev_b32_e32 v22, 19, v10
	v_subrev_u32_e32 v25, 28, v24
	v_and_b32_e32 v22, 15, v22
	v_lshlrev_b32_sdwa v25, v25, v10 dst_sel:DWORD dst_unused:UNUSED_PAD src0_sel:DWORD src1_sel:WORD_1
	v_bfe_u32 v23, v10, 19, 4
	v_sub_u32_e32 v24, 29, v24
	v_and_b32_e32 v25, 7, v25
	v_cmp_eq_u16_e32 vcc, 0, v22
	v_cndmask_b32_e32 v21, v21, v25, vcc
	v_cndmask_b32_e32 v22, v23, v24, vcc
	v_lshlrev_b32_e32 v23, 8, v10
	v_mov_b32_e32 v24, 0x3b800000
	v_lshlrev_b32_e32 v21, 20, v21
	v_and_b32_e32 v23, 0x80000000, v23
	v_lshl_add_u32 v22, v22, 23, v24
	v_or3_b32 v22, v23, v22, v21
.LBB33_280:
	s_or_b64 exec, exec, s[6:7]
	s_nop 0
	v_mfma_f32_16x16x4f32 a[0:3], v20, v22, a[0:3]
	s_movk_i32 s4, 0x7f
	v_cmp_gt_i16_sdwa s[6:7], v14, s4 src0_sel:BYTE_3 src1_sel:DWORD
	s_mov_b64 s[4:5], 0
                                        ; implicit-def: $sgpr10
	s_and_saveexec_b64 s[8:9], s[6:7]
	s_xor_b64 s[6:7], exec, s[8:9]
	s_cbranch_execnz .LBB33_2329
; %bb.281:
	s_or_saveexec_b64 s[6:7], s[6:7]
	v_mov_b32_e32 v20, s10
	s_xor_b64 exec, exec, s[6:7]
	s_cbranch_execnz .LBB33_2332
.LBB33_282:
	s_or_b64 exec, exec, s[6:7]
	s_and_saveexec_b64 s[6:7], s[4:5]
	s_cbranch_execz .LBB33_284
.LBB33_283:
	v_bfe_u32 v20, v14, 24, 3
	v_ffbh_u32_e32 v24, v20
	v_min_u32_e32 v24, 32, v24
	v_lshrrev_b32_e32 v22, 27, v14
	v_subrev_u32_e32 v25, 28, v24
	v_and_b32_e32 v21, 0x80000000, v14
	v_and_b32_e32 v22, 15, v22
	v_bfe_u32 v23, v14, 27, 4
	v_lshlrev_b32_sdwa v14, v25, v14 dst_sel:DWORD dst_unused:UNUSED_PAD src0_sel:DWORD src1_sel:BYTE_3
	v_sub_u32_e32 v24, 29, v24
	v_and_b32_e32 v14, 7, v14
	v_cmp_eq_u16_e32 vcc, 0, v22
	v_cndmask_b32_e32 v14, v20, v14, vcc
	v_cndmask_b32_e32 v20, v23, v24, vcc
	v_mov_b32_e32 v22, 0x3b800000
	v_lshlrev_b32_e32 v14, 20, v14
	v_lshl_add_u32 v20, v20, 23, v22
	v_or3_b32 v20, v21, v20, v14
.LBB33_284:
	s_or_b64 exec, exec, s[6:7]
	s_movk_i32 s4, 0x7f
	v_cmp_gt_i16_sdwa s[6:7], v10, s4 src0_sel:BYTE_3 src1_sel:DWORD
	s_mov_b64 s[4:5], 0
                                        ; implicit-def: $sgpr10
	s_and_saveexec_b64 s[8:9], s[6:7]
	s_xor_b64 s[6:7], exec, s[8:9]
	s_cbranch_execnz .LBB33_2333
; %bb.285:
	s_or_saveexec_b64 s[6:7], s[6:7]
	v_mov_b32_e32 v14, s10
	s_xor_b64 exec, exec, s[6:7]
	s_cbranch_execnz .LBB33_2336
.LBB33_286:
	s_or_b64 exec, exec, s[6:7]
	s_and_saveexec_b64 s[6:7], s[4:5]
	s_cbranch_execz .LBB33_288
.LBB33_287:
	v_bfe_u32 v14, v10, 24, 3
	v_ffbh_u32_e32 v24, v14
	v_min_u32_e32 v24, 32, v24
	v_lshrrev_b32_e32 v22, 27, v10
	v_subrev_u32_e32 v25, 28, v24
	v_and_b32_e32 v21, 0x80000000, v10
	v_and_b32_e32 v22, 15, v22
	v_bfe_u32 v23, v10, 27, 4
	v_lshlrev_b32_sdwa v10, v25, v10 dst_sel:DWORD dst_unused:UNUSED_PAD src0_sel:DWORD src1_sel:BYTE_3
	v_sub_u32_e32 v24, 29, v24
	v_and_b32_e32 v10, 7, v10
	v_cmp_eq_u16_e32 vcc, 0, v22
	v_cndmask_b32_e32 v10, v14, v10, vcc
	v_cndmask_b32_e32 v14, v23, v24, vcc
	v_mov_b32_e32 v22, 0x3b800000
	v_lshlrev_b32_e32 v10, 20, v10
	v_lshl_add_u32 v14, v14, 23, v22
	v_or3_b32 v14, v21, v14, v10
.LBB33_288:
	s_or_b64 exec, exec, s[6:7]
	s_nop 0
	v_mfma_f32_16x16x4f32 a[0:3], v20, v14, a[0:3]
	s_movk_i32 s4, 0x7f
	v_cmp_gt_i16_sdwa s[6:7], v15, s4 src0_sel:BYTE_0 src1_sel:DWORD
	s_mov_b64 s[4:5], 0
                                        ; implicit-def: $sgpr10
	s_and_saveexec_b64 s[8:9], s[6:7]
	s_xor_b64 s[6:7], exec, s[8:9]
	s_cbranch_execnz .LBB33_2337
; %bb.289:
	s_or_saveexec_b64 s[6:7], s[6:7]
	v_mov_b32_e32 v10, s10
	s_xor_b64 exec, exec, s[6:7]
	s_cbranch_execnz .LBB33_2340
.LBB33_290:
	s_or_b64 exec, exec, s[6:7]
	s_and_saveexec_b64 s[6:7], s[4:5]
	s_cbranch_execz .LBB33_292
.LBB33_291:
	v_and_b32_e32 v10, 7, v15
	v_ffbh_u32_e32 v20, v10
	v_min_u32_e32 v20, 32, v20
	v_lshrrev_b16_e32 v14, 3, v15
	v_subrev_u32_e32 v21, 28, v20
	v_and_b32_e32 v14, 15, v14
	v_lshlrev_b32_e32 v21, v21, v15
	v_sub_u32_e32 v20, 29, v20
	v_and_b32_e32 v21, 7, v21
	v_cmp_eq_u16_e32 vcc, 0, v14
	v_cndmask_b32_e32 v10, v10, v21, vcc
	v_cndmask_b32_e32 v14, v14, v20, vcc
	v_lshlrev_b32_e32 v20, 24, v15
	v_mov_b32_e32 v21, 0x3b800000
	v_lshlrev_b32_e32 v10, 20, v10
	v_and_b32_e32 v20, 0x80000000, v20
	v_lshl_add_u32 v14, v14, 23, v21
	v_or3_b32 v10, v20, v14, v10
.LBB33_292:
	s_or_b64 exec, exec, s[6:7]
	s_movk_i32 s4, 0x7f
	v_cmp_gt_i16_sdwa s[6:7], v11, s4 src0_sel:BYTE_0 src1_sel:DWORD
	s_mov_b64 s[4:5], 0
                                        ; implicit-def: $sgpr10
	s_and_saveexec_b64 s[8:9], s[6:7]
	s_xor_b64 s[6:7], exec, s[8:9]
	s_cbranch_execnz .LBB33_2341
; %bb.293:
	s_or_saveexec_b64 s[6:7], s[6:7]
	v_mov_b32_e32 v14, s10
	s_xor_b64 exec, exec, s[6:7]
	s_cbranch_execnz .LBB33_2344
.LBB33_294:
	s_or_b64 exec, exec, s[6:7]
	s_and_saveexec_b64 s[6:7], s[4:5]
	s_cbranch_execz .LBB33_296
.LBB33_295:
	v_and_b32_e32 v14, 7, v11
	v_ffbh_u32_e32 v21, v14
	v_min_u32_e32 v21, 32, v21
	v_lshrrev_b16_e32 v20, 3, v11
	v_subrev_u32_e32 v22, 28, v21
	v_and_b32_e32 v20, 15, v20
	v_lshlrev_b32_e32 v22, v22, v11
	v_sub_u32_e32 v21, 29, v21
	v_and_b32_e32 v22, 7, v22
	v_cmp_eq_u16_e32 vcc, 0, v20
	v_cndmask_b32_e32 v14, v14, v22, vcc
	v_cndmask_b32_e32 v20, v20, v21, vcc
	v_lshlrev_b32_e32 v21, 24, v11
	v_mov_b32_e32 v22, 0x3b800000
	v_lshlrev_b32_e32 v14, 20, v14
	v_and_b32_e32 v21, 0x80000000, v21
	v_lshl_add_u32 v20, v20, 23, v22
	v_or3_b32 v14, v21, v20, v14
.LBB33_296:
	s_or_b64 exec, exec, s[6:7]
	s_nop 0
	v_mfma_f32_16x16x4f32 a[0:3], v10, v14, a[0:3]
	v_lshrrev_b32_e32 v14, 8, v15
	s_movk_i32 s4, 0x7f
	v_cmp_gt_i16_sdwa s[6:7], v14, s4 src0_sel:BYTE_0 src1_sel:DWORD
	s_mov_b64 s[4:5], 0
                                        ; implicit-def: $sgpr10
	s_and_saveexec_b64 s[8:9], s[6:7]
	s_xor_b64 s[6:7], exec, s[8:9]
	s_cbranch_execnz .LBB33_2345
; %bb.297:
	s_or_saveexec_b64 s[6:7], s[6:7]
	v_mov_b32_e32 v10, s10
	s_xor_b64 exec, exec, s[6:7]
	s_cbranch_execnz .LBB33_2348
.LBB33_298:
	s_or_b64 exec, exec, s[6:7]
	s_and_saveexec_b64 s[6:7], s[4:5]
	s_cbranch_execz .LBB33_300
.LBB33_299:
	v_bfe_u32 v10, v15, 8, 3
	v_ffbh_u32_e32 v21, v10
	v_min_u32_e32 v21, 32, v21
	v_lshrrev_b16_e32 v20, 3, v14
	v_subrev_u32_e32 v22, 28, v21
	v_and_b32_e32 v20, 15, v20
	v_lshlrev_b32_e32 v14, v22, v14
	v_sub_u32_e32 v21, 29, v21
	v_and_b32_e32 v14, 7, v14
	v_cmp_eq_u16_e32 vcc, 0, v20
	v_cndmask_b32_e32 v10, v10, v14, vcc
	v_cndmask_b32_e32 v14, v20, v21, vcc
	v_lshlrev_b32_e32 v20, 16, v15
	v_mov_b32_e32 v21, 0x3b800000
	v_lshlrev_b32_e32 v10, 20, v10
	v_and_b32_e32 v20, 0x80000000, v20
	v_lshl_add_u32 v14, v14, 23, v21
	v_or3_b32 v10, v20, v14, v10
.LBB33_300:
	s_or_b64 exec, exec, s[6:7]
	v_lshrrev_b32_e32 v14, 8, v11
	s_movk_i32 s4, 0x7f
	v_cmp_gt_i16_sdwa s[6:7], v14, s4 src0_sel:BYTE_0 src1_sel:DWORD
	s_mov_b64 s[4:5], 0
                                        ; implicit-def: $sgpr10
	s_and_saveexec_b64 s[8:9], s[6:7]
	s_xor_b64 s[6:7], exec, s[8:9]
	s_cbranch_execnz .LBB33_2349
; %bb.301:
	s_or_saveexec_b64 s[6:7], s[6:7]
	v_mov_b32_e32 v20, s10
	s_xor_b64 exec, exec, s[6:7]
	s_cbranch_execnz .LBB33_2352
.LBB33_302:
	s_or_b64 exec, exec, s[6:7]
	s_and_saveexec_b64 s[6:7], s[4:5]
	s_cbranch_execz .LBB33_304
.LBB33_303:
	v_bfe_u32 v20, v11, 8, 3
	v_ffbh_u32_e32 v22, v20
	v_min_u32_e32 v22, 32, v22
	v_lshrrev_b16_e32 v21, 3, v14
	v_subrev_u32_e32 v23, 28, v22
	v_and_b32_e32 v21, 15, v21
	v_lshlrev_b32_e32 v14, v23, v14
	v_sub_u32_e32 v22, 29, v22
	v_and_b32_e32 v14, 7, v14
	v_cmp_eq_u16_e32 vcc, 0, v21
	v_cndmask_b32_e32 v14, v20, v14, vcc
	v_cndmask_b32_e32 v20, v21, v22, vcc
	v_lshlrev_b32_e32 v21, 16, v11
	v_mov_b32_e32 v22, 0x3b800000
	v_lshlrev_b32_e32 v14, 20, v14
	v_and_b32_e32 v21, 0x80000000, v21
	v_lshl_add_u32 v20, v20, 23, v22
	v_or3_b32 v20, v21, v20, v14
.LBB33_304:
	s_or_b64 exec, exec, s[6:7]
	s_nop 0
	v_mfma_f32_16x16x4f32 a[0:3], v10, v20, a[0:3]
	s_movk_i32 s4, 0xff
	v_and_b32_sdwa v14, v15, s4 dst_sel:DWORD dst_unused:UNUSED_PAD src0_sel:WORD_1 src1_sel:DWORD
	s_movk_i32 s4, 0x7f
	v_cmp_lt_i16_e32 vcc, s4, v14
	s_mov_b64 s[4:5], 0
                                        ; implicit-def: $sgpr10
	s_and_saveexec_b64 s[6:7], vcc
	s_xor_b64 s[6:7], exec, s[6:7]
	s_cbranch_execnz .LBB33_2353
; %bb.305:
	s_or_saveexec_b64 s[6:7], s[6:7]
	v_mov_b32_e32 v10, s10
	s_xor_b64 exec, exec, s[6:7]
	s_cbranch_execnz .LBB33_2356
.LBB33_306:
	s_or_b64 exec, exec, s[6:7]
	s_and_saveexec_b64 s[6:7], s[4:5]
	s_cbranch_execz .LBB33_308
.LBB33_307:
	v_bfe_u32 v10, v15, 16, 3
	v_ffbh_u32_e32 v21, v10
	v_min_u32_e32 v21, 32, v21
	v_lshrrev_b32_e32 v14, 19, v15
	v_subrev_u32_e32 v22, 28, v21
	v_and_b32_e32 v14, 15, v14
	v_lshlrev_b32_sdwa v22, v22, v15 dst_sel:DWORD dst_unused:UNUSED_PAD src0_sel:DWORD src1_sel:WORD_1
	v_bfe_u32 v20, v15, 19, 4
	v_sub_u32_e32 v21, 29, v21
	v_and_b32_e32 v22, 7, v22
	v_cmp_eq_u16_e32 vcc, 0, v14
	v_cndmask_b32_e32 v10, v10, v22, vcc
	v_cndmask_b32_e32 v14, v20, v21, vcc
	v_lshlrev_b32_e32 v20, 8, v15
	v_mov_b32_e32 v21, 0x3b800000
	v_lshlrev_b32_e32 v10, 20, v10
	v_and_b32_e32 v20, 0x80000000, v20
	v_lshl_add_u32 v14, v14, 23, v21
	v_or3_b32 v10, v20, v14, v10
.LBB33_308:
	s_or_b64 exec, exec, s[6:7]
	s_movk_i32 s4, 0xff
	v_and_b32_sdwa v14, v11, s4 dst_sel:DWORD dst_unused:UNUSED_PAD src0_sel:WORD_1 src1_sel:DWORD
	s_movk_i32 s4, 0x7f
	v_cmp_lt_i16_e32 vcc, s4, v14
	s_mov_b64 s[4:5], 0
                                        ; implicit-def: $sgpr10
	s_and_saveexec_b64 s[6:7], vcc
	s_xor_b64 s[6:7], exec, s[6:7]
	s_cbranch_execnz .LBB33_2357
; %bb.309:
	s_or_saveexec_b64 s[6:7], s[6:7]
	v_mov_b32_e32 v20, s10
	s_xor_b64 exec, exec, s[6:7]
	s_cbranch_execnz .LBB33_2360
.LBB33_310:
	s_or_b64 exec, exec, s[6:7]
	s_and_saveexec_b64 s[6:7], s[4:5]
	s_cbranch_execz .LBB33_312
.LBB33_311:
	v_bfe_u32 v14, v11, 16, 3
	v_ffbh_u32_e32 v22, v14
	v_min_u32_e32 v22, 32, v22
	v_lshrrev_b32_e32 v20, 19, v11
	v_subrev_u32_e32 v23, 28, v22
	v_and_b32_e32 v20, 15, v20
	v_lshlrev_b32_sdwa v23, v23, v11 dst_sel:DWORD dst_unused:UNUSED_PAD src0_sel:DWORD src1_sel:WORD_1
	v_bfe_u32 v21, v11, 19, 4
	v_sub_u32_e32 v22, 29, v22
	v_and_b32_e32 v23, 7, v23
	v_cmp_eq_u16_e32 vcc, 0, v20
	v_cndmask_b32_e32 v14, v14, v23, vcc
	v_cndmask_b32_e32 v20, v21, v22, vcc
	v_lshlrev_b32_e32 v21, 8, v11
	v_mov_b32_e32 v22, 0x3b800000
	v_lshlrev_b32_e32 v14, 20, v14
	v_and_b32_e32 v21, 0x80000000, v21
	v_lshl_add_u32 v20, v20, 23, v22
	v_or3_b32 v20, v21, v20, v14
.LBB33_312:
	s_or_b64 exec, exec, s[6:7]
	s_nop 0
	v_mfma_f32_16x16x4f32 a[0:3], v10, v20, a[0:3]
	s_movk_i32 s4, 0x7f
	v_cmp_gt_i16_sdwa s[6:7], v15, s4 src0_sel:BYTE_3 src1_sel:DWORD
	s_mov_b64 s[4:5], 0
                                        ; implicit-def: $sgpr10
	s_and_saveexec_b64 s[8:9], s[6:7]
	s_xor_b64 s[6:7], exec, s[8:9]
	s_cbranch_execnz .LBB33_2361
; %bb.313:
	s_or_saveexec_b64 s[6:7], s[6:7]
	v_mov_b32_e32 v10, s10
	s_xor_b64 exec, exec, s[6:7]
	s_cbranch_execnz .LBB33_2364
.LBB33_314:
	s_or_b64 exec, exec, s[6:7]
	s_and_saveexec_b64 s[6:7], s[4:5]
	s_cbranch_execz .LBB33_316
.LBB33_315:
	v_bfe_u32 v10, v15, 24, 3
	v_ffbh_u32_e32 v22, v10
	v_min_u32_e32 v22, 32, v22
	v_lshrrev_b32_e32 v20, 27, v15
	v_subrev_u32_e32 v23, 28, v22
	v_and_b32_e32 v14, 0x80000000, v15
	v_and_b32_e32 v20, 15, v20
	v_bfe_u32 v21, v15, 27, 4
	v_lshlrev_b32_sdwa v15, v23, v15 dst_sel:DWORD dst_unused:UNUSED_PAD src0_sel:DWORD src1_sel:BYTE_3
	v_sub_u32_e32 v22, 29, v22
	v_and_b32_e32 v15, 7, v15
	v_cmp_eq_u16_e32 vcc, 0, v20
	v_cndmask_b32_e32 v10, v10, v15, vcc
	v_cndmask_b32_e32 v15, v21, v22, vcc
	v_mov_b32_e32 v20, 0x3b800000
	v_lshlrev_b32_e32 v10, 20, v10
	v_lshl_add_u32 v15, v15, 23, v20
	v_or3_b32 v10, v14, v15, v10
.LBB33_316:
	s_or_b64 exec, exec, s[6:7]
	s_movk_i32 s4, 0x7f
	v_cmp_gt_i16_sdwa s[6:7], v11, s4 src0_sel:BYTE_3 src1_sel:DWORD
	s_mov_b64 s[4:5], 0
                                        ; implicit-def: $sgpr10
	s_and_saveexec_b64 s[8:9], s[6:7]
	s_xor_b64 s[6:7], exec, s[8:9]
	s_cbranch_execnz .LBB33_2365
; %bb.317:
	s_or_saveexec_b64 s[6:7], s[6:7]
	v_mov_b32_e32 v14, s10
	s_xor_b64 exec, exec, s[6:7]
	s_cbranch_execnz .LBB33_2368
.LBB33_318:
	s_or_b64 exec, exec, s[6:7]
	s_and_saveexec_b64 s[6:7], s[4:5]
	s_cbranch_execz .LBB33_320
.LBB33_319:
	v_bfe_u32 v14, v11, 24, 3
	v_ffbh_u32_e32 v22, v14
	v_min_u32_e32 v22, 32, v22
	v_lshrrev_b32_e32 v20, 27, v11
	v_subrev_u32_e32 v23, 28, v22
	v_and_b32_e32 v15, 0x80000000, v11
	v_and_b32_e32 v20, 15, v20
	v_bfe_u32 v21, v11, 27, 4
	v_lshlrev_b32_sdwa v11, v23, v11 dst_sel:DWORD dst_unused:UNUSED_PAD src0_sel:DWORD src1_sel:BYTE_3
	v_sub_u32_e32 v22, 29, v22
	v_and_b32_e32 v11, 7, v11
	v_cmp_eq_u16_e32 vcc, 0, v20
	v_cndmask_b32_e32 v11, v14, v11, vcc
	v_cndmask_b32_e32 v14, v21, v22, vcc
	v_mov_b32_e32 v20, 0x3b800000
	v_lshlrev_b32_e32 v11, 20, v11
	v_lshl_add_u32 v14, v14, 23, v20
	v_or3_b32 v14, v15, v14, v11
.LBB33_320:
	s_or_b64 exec, exec, s[6:7]
	s_nop 0
	v_mfma_f32_16x16x4f32 a[0:3], v10, v14, a[0:3]
	s_movk_i32 s4, 0x7f
	v_cmp_gt_i16_sdwa s[6:7], v16, s4 src0_sel:BYTE_0 src1_sel:DWORD
	s_mov_b64 s[4:5], 0
                                        ; implicit-def: $sgpr10
	s_and_saveexec_b64 s[8:9], s[6:7]
	s_xor_b64 s[6:7], exec, s[8:9]
	s_cbranch_execnz .LBB33_2369
; %bb.321:
	s_or_saveexec_b64 s[6:7], s[6:7]
	v_mov_b32_e32 v10, s10
	s_xor_b64 exec, exec, s[6:7]
	s_cbranch_execnz .LBB33_2372
.LBB33_322:
	s_or_b64 exec, exec, s[6:7]
	s_and_saveexec_b64 s[6:7], s[4:5]
	s_cbranch_execz .LBB33_324
.LBB33_323:
	v_and_b32_e32 v10, 7, v16
	v_ffbh_u32_e32 v14, v10
	v_min_u32_e32 v14, 32, v14
	v_lshrrev_b16_e32 v11, 3, v16
	v_subrev_u32_e32 v15, 28, v14
	v_and_b32_e32 v11, 15, v11
	v_lshlrev_b32_e32 v15, v15, v16
	v_sub_u32_e32 v14, 29, v14
	v_and_b32_e32 v15, 7, v15
	v_cmp_eq_u16_e32 vcc, 0, v11
	v_cndmask_b32_e32 v10, v10, v15, vcc
	v_cndmask_b32_e32 v11, v11, v14, vcc
	v_lshlrev_b32_e32 v14, 24, v16
	v_mov_b32_e32 v15, 0x3b800000
	v_lshlrev_b32_e32 v10, 20, v10
	v_and_b32_e32 v14, 0x80000000, v14
	v_lshl_add_u32 v11, v11, 23, v15
	v_or3_b32 v10, v14, v11, v10
.LBB33_324:
	s_or_b64 exec, exec, s[6:7]
	s_movk_i32 s4, 0x7f
	v_cmp_gt_i16_sdwa s[6:7], v12, s4 src0_sel:BYTE_0 src1_sel:DWORD
	s_mov_b64 s[4:5], 0
                                        ; implicit-def: $sgpr10
	s_and_saveexec_b64 s[8:9], s[6:7]
	s_xor_b64 s[6:7], exec, s[8:9]
	s_cbranch_execnz .LBB33_2373
; %bb.325:
	s_or_saveexec_b64 s[6:7], s[6:7]
	v_mov_b32_e32 v11, s10
	s_xor_b64 exec, exec, s[6:7]
	s_cbranch_execnz .LBB33_2376
.LBB33_326:
	s_or_b64 exec, exec, s[6:7]
	s_and_saveexec_b64 s[6:7], s[4:5]
	s_cbranch_execz .LBB33_328
.LBB33_327:
	v_and_b32_e32 v11, 7, v12
	v_ffbh_u32_e32 v15, v11
	v_min_u32_e32 v15, 32, v15
	v_lshrrev_b16_e32 v14, 3, v12
	v_subrev_u32_e32 v20, 28, v15
	v_and_b32_e32 v14, 15, v14
	v_lshlrev_b32_e32 v20, v20, v12
	v_sub_u32_e32 v15, 29, v15
	v_and_b32_e32 v20, 7, v20
	v_cmp_eq_u16_e32 vcc, 0, v14
	v_cndmask_b32_e32 v11, v11, v20, vcc
	v_cndmask_b32_e32 v14, v14, v15, vcc
	v_lshlrev_b32_e32 v15, 24, v12
	v_mov_b32_e32 v20, 0x3b800000
	v_lshlrev_b32_e32 v11, 20, v11
	v_and_b32_e32 v15, 0x80000000, v15
	v_lshl_add_u32 v14, v14, 23, v20
	v_or3_b32 v11, v15, v14, v11
.LBB33_328:
	s_or_b64 exec, exec, s[6:7]
	s_nop 0
	v_mfma_f32_16x16x4f32 a[0:3], v10, v11, a[0:3]
	v_lshrrev_b32_e32 v11, 8, v16
	s_movk_i32 s4, 0x7f
	v_cmp_gt_i16_sdwa s[6:7], v11, s4 src0_sel:BYTE_0 src1_sel:DWORD
	s_mov_b64 s[4:5], 0
                                        ; implicit-def: $sgpr10
	s_and_saveexec_b64 s[8:9], s[6:7]
	s_xor_b64 s[6:7], exec, s[8:9]
	s_cbranch_execnz .LBB33_2377
; %bb.329:
	s_or_saveexec_b64 s[6:7], s[6:7]
	v_mov_b32_e32 v10, s10
	s_xor_b64 exec, exec, s[6:7]
	s_cbranch_execnz .LBB33_2380
.LBB33_330:
	s_or_b64 exec, exec, s[6:7]
	s_and_saveexec_b64 s[6:7], s[4:5]
	s_cbranch_execz .LBB33_332
.LBB33_331:
	v_bfe_u32 v10, v16, 8, 3
	v_ffbh_u32_e32 v15, v10
	v_min_u32_e32 v15, 32, v15
	v_lshrrev_b16_e32 v14, 3, v11
	v_subrev_u32_e32 v20, 28, v15
	v_and_b32_e32 v14, 15, v14
	v_lshlrev_b32_e32 v11, v20, v11
	v_sub_u32_e32 v15, 29, v15
	v_and_b32_e32 v11, 7, v11
	v_cmp_eq_u16_e32 vcc, 0, v14
	v_cndmask_b32_e32 v10, v10, v11, vcc
	v_cndmask_b32_e32 v11, v14, v15, vcc
	v_lshlrev_b32_e32 v14, 16, v16
	v_mov_b32_e32 v15, 0x3b800000
	v_lshlrev_b32_e32 v10, 20, v10
	v_and_b32_e32 v14, 0x80000000, v14
	v_lshl_add_u32 v11, v11, 23, v15
	v_or3_b32 v10, v14, v11, v10
.LBB33_332:
	s_or_b64 exec, exec, s[6:7]
	v_lshrrev_b32_e32 v11, 8, v12
	s_movk_i32 s4, 0x7f
	v_cmp_gt_i16_sdwa s[6:7], v11, s4 src0_sel:BYTE_0 src1_sel:DWORD
	s_mov_b64 s[4:5], 0
                                        ; implicit-def: $sgpr10
	s_and_saveexec_b64 s[8:9], s[6:7]
	s_xor_b64 s[6:7], exec, s[8:9]
	s_cbranch_execnz .LBB33_2381
; %bb.333:
	s_or_saveexec_b64 s[6:7], s[6:7]
	v_mov_b32_e32 v14, s10
	s_xor_b64 exec, exec, s[6:7]
	s_cbranch_execnz .LBB33_2384
.LBB33_334:
	s_or_b64 exec, exec, s[6:7]
	s_and_saveexec_b64 s[6:7], s[4:5]
	s_cbranch_execz .LBB33_336
.LBB33_335:
	v_bfe_u32 v14, v12, 8, 3
	v_ffbh_u32_e32 v20, v14
	v_min_u32_e32 v20, 32, v20
	v_lshrrev_b16_e32 v15, 3, v11
	v_subrev_u32_e32 v21, 28, v20
	v_and_b32_e32 v15, 15, v15
	v_lshlrev_b32_e32 v11, v21, v11
	v_sub_u32_e32 v20, 29, v20
	v_and_b32_e32 v11, 7, v11
	v_cmp_eq_u16_e32 vcc, 0, v15
	v_cndmask_b32_e32 v11, v14, v11, vcc
	v_cndmask_b32_e32 v14, v15, v20, vcc
	v_lshlrev_b32_e32 v15, 16, v12
	v_mov_b32_e32 v20, 0x3b800000
	v_lshlrev_b32_e32 v11, 20, v11
	v_and_b32_e32 v15, 0x80000000, v15
	v_lshl_add_u32 v14, v14, 23, v20
	v_or3_b32 v14, v15, v14, v11
.LBB33_336:
	s_or_b64 exec, exec, s[6:7]
	s_nop 0
	v_mfma_f32_16x16x4f32 a[0:3], v10, v14, a[0:3]
	s_movk_i32 s4, 0xff
	v_and_b32_sdwa v11, v16, s4 dst_sel:DWORD dst_unused:UNUSED_PAD src0_sel:WORD_1 src1_sel:DWORD
	s_movk_i32 s4, 0x7f
	v_cmp_lt_i16_e32 vcc, s4, v11
	s_mov_b64 s[4:5], 0
                                        ; implicit-def: $sgpr10
	s_and_saveexec_b64 s[6:7], vcc
	s_xor_b64 s[6:7], exec, s[6:7]
	s_cbranch_execnz .LBB33_2385
; %bb.337:
	s_or_saveexec_b64 s[6:7], s[6:7]
	v_mov_b32_e32 v10, s10
	s_xor_b64 exec, exec, s[6:7]
	s_cbranch_execnz .LBB33_2388
.LBB33_338:
	s_or_b64 exec, exec, s[6:7]
	s_and_saveexec_b64 s[6:7], s[4:5]
	s_cbranch_execz .LBB33_340
.LBB33_339:
	v_bfe_u32 v10, v16, 16, 3
	v_ffbh_u32_e32 v15, v10
	v_min_u32_e32 v15, 32, v15
	v_lshrrev_b32_e32 v11, 19, v16
	v_subrev_u32_e32 v20, 28, v15
	v_and_b32_e32 v11, 15, v11
	v_lshlrev_b32_sdwa v20, v20, v16 dst_sel:DWORD dst_unused:UNUSED_PAD src0_sel:DWORD src1_sel:WORD_1
	v_bfe_u32 v14, v16, 19, 4
	v_sub_u32_e32 v15, 29, v15
	v_and_b32_e32 v20, 7, v20
	v_cmp_eq_u16_e32 vcc, 0, v11
	v_cndmask_b32_e32 v10, v10, v20, vcc
	v_cndmask_b32_e32 v11, v14, v15, vcc
	v_lshlrev_b32_e32 v14, 8, v16
	v_mov_b32_e32 v15, 0x3b800000
	v_lshlrev_b32_e32 v10, 20, v10
	v_and_b32_e32 v14, 0x80000000, v14
	v_lshl_add_u32 v11, v11, 23, v15
	v_or3_b32 v10, v14, v11, v10
.LBB33_340:
	s_or_b64 exec, exec, s[6:7]
	s_movk_i32 s4, 0xff
	v_and_b32_sdwa v11, v12, s4 dst_sel:DWORD dst_unused:UNUSED_PAD src0_sel:WORD_1 src1_sel:DWORD
	s_movk_i32 s4, 0x7f
	v_cmp_lt_i16_e32 vcc, s4, v11
	s_mov_b64 s[4:5], 0
                                        ; implicit-def: $sgpr10
	s_and_saveexec_b64 s[6:7], vcc
	s_xor_b64 s[6:7], exec, s[6:7]
	s_cbranch_execnz .LBB33_2389
; %bb.341:
	s_or_saveexec_b64 s[6:7], s[6:7]
	v_mov_b32_e32 v14, s10
	s_xor_b64 exec, exec, s[6:7]
	s_cbranch_execnz .LBB33_2392
.LBB33_342:
	s_or_b64 exec, exec, s[6:7]
	s_and_saveexec_b64 s[6:7], s[4:5]
	s_cbranch_execz .LBB33_344
.LBB33_343:
	v_bfe_u32 v11, v12, 16, 3
	v_ffbh_u32_e32 v20, v11
	v_min_u32_e32 v20, 32, v20
	v_lshrrev_b32_e32 v14, 19, v12
	v_subrev_u32_e32 v21, 28, v20
	v_and_b32_e32 v14, 15, v14
	v_lshlrev_b32_sdwa v21, v21, v12 dst_sel:DWORD dst_unused:UNUSED_PAD src0_sel:DWORD src1_sel:WORD_1
	v_bfe_u32 v15, v12, 19, 4
	v_sub_u32_e32 v20, 29, v20
	v_and_b32_e32 v21, 7, v21
	v_cmp_eq_u16_e32 vcc, 0, v14
	v_cndmask_b32_e32 v11, v11, v21, vcc
	v_cndmask_b32_e32 v14, v15, v20, vcc
	v_lshlrev_b32_e32 v15, 8, v12
	v_mov_b32_e32 v20, 0x3b800000
	v_lshlrev_b32_e32 v11, 20, v11
	v_and_b32_e32 v15, 0x80000000, v15
	v_lshl_add_u32 v14, v14, 23, v20
	v_or3_b32 v14, v15, v14, v11
.LBB33_344:
	s_or_b64 exec, exec, s[6:7]
	s_nop 0
	v_mfma_f32_16x16x4f32 a[0:3], v10, v14, a[0:3]
	s_movk_i32 s4, 0x7f
	v_cmp_gt_i16_sdwa s[6:7], v16, s4 src0_sel:BYTE_3 src1_sel:DWORD
	s_mov_b64 s[4:5], 0
                                        ; implicit-def: $sgpr10
	s_and_saveexec_b64 s[8:9], s[6:7]
	s_xor_b64 s[6:7], exec, s[8:9]
	s_cbranch_execnz .LBB33_2393
; %bb.345:
	s_or_saveexec_b64 s[6:7], s[6:7]
	v_mov_b32_e32 v10, s10
	s_xor_b64 exec, exec, s[6:7]
	s_cbranch_execnz .LBB33_2396
.LBB33_346:
	s_or_b64 exec, exec, s[6:7]
	s_and_saveexec_b64 s[6:7], s[4:5]
	s_cbranch_execz .LBB33_348
.LBB33_347:
	v_bfe_u32 v10, v16, 24, 3
	v_ffbh_u32_e32 v20, v10
	v_min_u32_e32 v20, 32, v20
	v_lshrrev_b32_e32 v14, 27, v16
	v_subrev_u32_e32 v21, 28, v20
	v_and_b32_e32 v11, 0x80000000, v16
	v_and_b32_e32 v14, 15, v14
	v_bfe_u32 v15, v16, 27, 4
	v_lshlrev_b32_sdwa v16, v21, v16 dst_sel:DWORD dst_unused:UNUSED_PAD src0_sel:DWORD src1_sel:BYTE_3
	v_sub_u32_e32 v20, 29, v20
	v_and_b32_e32 v16, 7, v16
	v_cmp_eq_u16_e32 vcc, 0, v14
	v_cndmask_b32_e32 v10, v10, v16, vcc
	v_cndmask_b32_e32 v14, v15, v20, vcc
	v_mov_b32_e32 v15, 0x3b800000
	v_lshlrev_b32_e32 v10, 20, v10
	v_lshl_add_u32 v14, v14, 23, v15
	v_or3_b32 v10, v11, v14, v10
.LBB33_348:
	s_or_b64 exec, exec, s[6:7]
	s_movk_i32 s4, 0x7f
	v_cmp_gt_i16_sdwa s[6:7], v12, s4 src0_sel:BYTE_3 src1_sel:DWORD
	s_mov_b64 s[4:5], 0
                                        ; implicit-def: $sgpr10
	s_and_saveexec_b64 s[8:9], s[6:7]
	s_xor_b64 s[6:7], exec, s[8:9]
	s_cbranch_execnz .LBB33_2397
; %bb.349:
	s_or_saveexec_b64 s[6:7], s[6:7]
	v_mov_b32_e32 v11, s10
	s_xor_b64 exec, exec, s[6:7]
	s_cbranch_execnz .LBB33_2400
.LBB33_350:
	s_or_b64 exec, exec, s[6:7]
	s_and_saveexec_b64 s[6:7], s[4:5]
	s_cbranch_execz .LBB33_352
.LBB33_351:
	v_bfe_u32 v11, v12, 24, 3
	v_ffbh_u32_e32 v20, v11
	v_min_u32_e32 v20, 32, v20
	v_lshrrev_b32_e32 v15, 27, v12
	v_subrev_u32_e32 v21, 28, v20
	v_and_b32_e32 v14, 0x80000000, v12
	v_and_b32_e32 v15, 15, v15
	v_bfe_u32 v16, v12, 27, 4
	v_lshlrev_b32_sdwa v12, v21, v12 dst_sel:DWORD dst_unused:UNUSED_PAD src0_sel:DWORD src1_sel:BYTE_3
	v_sub_u32_e32 v20, 29, v20
	v_and_b32_e32 v12, 7, v12
	v_cmp_eq_u16_e32 vcc, 0, v15
	v_cndmask_b32_e32 v11, v11, v12, vcc
	v_cndmask_b32_e32 v12, v16, v20, vcc
	v_mov_b32_e32 v15, 0x3b800000
	v_lshlrev_b32_e32 v11, 20, v11
	v_lshl_add_u32 v12, v12, 23, v15
	v_or3_b32 v11, v14, v12, v11
.LBB33_352:
	s_or_b64 exec, exec, s[6:7]
	s_nop 0
	v_mfma_f32_16x16x4f32 a[0:3], v10, v11, a[0:3]
	s_movk_i32 s4, 0x7f
	v_cmp_gt_i16_sdwa s[6:7], v17, s4 src0_sel:BYTE_0 src1_sel:DWORD
	s_mov_b64 s[4:5], 0
                                        ; implicit-def: $sgpr10
	s_and_saveexec_b64 s[8:9], s[6:7]
	s_xor_b64 s[6:7], exec, s[8:9]
	s_cbranch_execnz .LBB33_2401
; %bb.353:
	s_or_saveexec_b64 s[6:7], s[6:7]
	v_mov_b32_e32 v10, s10
	s_xor_b64 exec, exec, s[6:7]
	s_cbranch_execnz .LBB33_2404
.LBB33_354:
	s_or_b64 exec, exec, s[6:7]
	s_and_saveexec_b64 s[6:7], s[4:5]
	s_cbranch_execz .LBB33_356
.LBB33_355:
	v_and_b32_e32 v10, 7, v17
	v_ffbh_u32_e32 v12, v10
	v_min_u32_e32 v12, 32, v12
	v_lshrrev_b16_e32 v11, 3, v17
	v_subrev_u32_e32 v14, 28, v12
	v_and_b32_e32 v11, 15, v11
	v_lshlrev_b32_e32 v14, v14, v17
	v_sub_u32_e32 v12, 29, v12
	v_and_b32_e32 v14, 7, v14
	v_cmp_eq_u16_e32 vcc, 0, v11
	v_cndmask_b32_e32 v10, v10, v14, vcc
	v_cndmask_b32_e32 v11, v11, v12, vcc
	v_lshlrev_b32_e32 v12, 24, v17
	v_mov_b32_e32 v14, 0x3b800000
	v_lshlrev_b32_e32 v10, 20, v10
	v_and_b32_e32 v12, 0x80000000, v12
	v_lshl_add_u32 v11, v11, 23, v14
	v_or3_b32 v10, v12, v11, v10
.LBB33_356:
	s_or_b64 exec, exec, s[6:7]
	s_movk_i32 s4, 0x7f
	v_cmp_gt_i16_sdwa s[6:7], v13, s4 src0_sel:BYTE_0 src1_sel:DWORD
	s_mov_b64 s[4:5], 0
                                        ; implicit-def: $sgpr10
	s_and_saveexec_b64 s[8:9], s[6:7]
	s_xor_b64 s[6:7], exec, s[8:9]
	s_cbranch_execnz .LBB33_2405
; %bb.357:
	s_or_saveexec_b64 s[6:7], s[6:7]
	v_mov_b32_e32 v11, s10
	s_xor_b64 exec, exec, s[6:7]
	s_cbranch_execnz .LBB33_2408
.LBB33_358:
	s_or_b64 exec, exec, s[6:7]
	s_and_saveexec_b64 s[6:7], s[4:5]
	s_cbranch_execz .LBB33_360
.LBB33_359:
	v_and_b32_e32 v11, 7, v13
	v_ffbh_u32_e32 v14, v11
	v_min_u32_e32 v14, 32, v14
	v_lshrrev_b16_e32 v12, 3, v13
	v_subrev_u32_e32 v15, 28, v14
	v_and_b32_e32 v12, 15, v12
	v_lshlrev_b32_e32 v15, v15, v13
	v_sub_u32_e32 v14, 29, v14
	v_and_b32_e32 v15, 7, v15
	v_cmp_eq_u16_e32 vcc, 0, v12
	v_cndmask_b32_e32 v11, v11, v15, vcc
	v_cndmask_b32_e32 v12, v12, v14, vcc
	v_lshlrev_b32_e32 v14, 24, v13
	v_mov_b32_e32 v15, 0x3b800000
	v_lshlrev_b32_e32 v11, 20, v11
	v_and_b32_e32 v14, 0x80000000, v14
	v_lshl_add_u32 v12, v12, 23, v15
	v_or3_b32 v11, v14, v12, v11
.LBB33_360:
	s_or_b64 exec, exec, s[6:7]
	s_nop 0
	v_mfma_f32_16x16x4f32 a[0:3], v10, v11, a[0:3]
	v_lshrrev_b32_e32 v11, 8, v17
	s_movk_i32 s4, 0x7f
	v_cmp_gt_i16_sdwa s[6:7], v11, s4 src0_sel:BYTE_0 src1_sel:DWORD
	s_mov_b64 s[4:5], 0
                                        ; implicit-def: $sgpr10
	s_and_saveexec_b64 s[8:9], s[6:7]
	s_xor_b64 s[6:7], exec, s[8:9]
	s_cbranch_execnz .LBB33_2409
; %bb.361:
	s_or_saveexec_b64 s[6:7], s[6:7]
	v_mov_b32_e32 v10, s10
	s_xor_b64 exec, exec, s[6:7]
	s_cbranch_execnz .LBB33_2412
.LBB33_362:
	s_or_b64 exec, exec, s[6:7]
	s_and_saveexec_b64 s[6:7], s[4:5]
	s_cbranch_execz .LBB33_364
.LBB33_363:
	v_bfe_u32 v10, v17, 8, 3
	v_ffbh_u32_e32 v14, v10
	v_min_u32_e32 v14, 32, v14
	v_lshrrev_b16_e32 v12, 3, v11
	v_subrev_u32_e32 v15, 28, v14
	v_and_b32_e32 v12, 15, v12
	v_lshlrev_b32_e32 v11, v15, v11
	v_sub_u32_e32 v14, 29, v14
	v_and_b32_e32 v11, 7, v11
	v_cmp_eq_u16_e32 vcc, 0, v12
	v_cndmask_b32_e32 v10, v10, v11, vcc
	v_cndmask_b32_e32 v11, v12, v14, vcc
	v_lshlrev_b32_e32 v12, 16, v17
	v_mov_b32_e32 v14, 0x3b800000
	v_lshlrev_b32_e32 v10, 20, v10
	v_and_b32_e32 v12, 0x80000000, v12
	v_lshl_add_u32 v11, v11, 23, v14
	v_or3_b32 v10, v12, v11, v10
.LBB33_364:
	s_or_b64 exec, exec, s[6:7]
	v_lshrrev_b32_e32 v11, 8, v13
	s_movk_i32 s4, 0x7f
	v_cmp_gt_i16_sdwa s[6:7], v11, s4 src0_sel:BYTE_0 src1_sel:DWORD
	s_mov_b64 s[4:5], 0
                                        ; implicit-def: $sgpr10
	s_and_saveexec_b64 s[8:9], s[6:7]
	s_xor_b64 s[6:7], exec, s[8:9]
	s_cbranch_execnz .LBB33_2413
; %bb.365:
	s_or_saveexec_b64 s[6:7], s[6:7]
	v_mov_b32_e32 v12, s10
	s_xor_b64 exec, exec, s[6:7]
	s_cbranch_execnz .LBB33_2416
.LBB33_366:
	s_or_b64 exec, exec, s[6:7]
	s_and_saveexec_b64 s[6:7], s[4:5]
	s_cbranch_execz .LBB33_368
.LBB33_367:
	v_bfe_u32 v12, v13, 8, 3
	v_ffbh_u32_e32 v15, v12
	v_min_u32_e32 v15, 32, v15
	v_lshrrev_b16_e32 v14, 3, v11
	v_subrev_u32_e32 v16, 28, v15
	v_and_b32_e32 v14, 15, v14
	v_lshlrev_b32_e32 v11, v16, v11
	v_sub_u32_e32 v15, 29, v15
	v_and_b32_e32 v11, 7, v11
	v_cmp_eq_u16_e32 vcc, 0, v14
	v_cndmask_b32_e32 v11, v12, v11, vcc
	v_cndmask_b32_e32 v12, v14, v15, vcc
	v_lshlrev_b32_e32 v14, 16, v13
	v_mov_b32_e32 v15, 0x3b800000
	v_lshlrev_b32_e32 v11, 20, v11
	v_and_b32_e32 v14, 0x80000000, v14
	v_lshl_add_u32 v12, v12, 23, v15
	v_or3_b32 v12, v14, v12, v11
.LBB33_368:
	s_or_b64 exec, exec, s[6:7]
	s_nop 0
	v_mfma_f32_16x16x4f32 a[0:3], v10, v12, a[0:3]
	s_movk_i32 s4, 0xff
	v_and_b32_sdwa v11, v17, s4 dst_sel:DWORD dst_unused:UNUSED_PAD src0_sel:WORD_1 src1_sel:DWORD
	s_movk_i32 s4, 0x7f
	v_cmp_lt_i16_e32 vcc, s4, v11
	s_mov_b64 s[4:5], 0
                                        ; implicit-def: $sgpr10
	s_and_saveexec_b64 s[6:7], vcc
	s_xor_b64 s[6:7], exec, s[6:7]
	s_cbranch_execnz .LBB33_2417
; %bb.369:
	s_or_saveexec_b64 s[6:7], s[6:7]
	v_mov_b32_e32 v10, s10
	s_xor_b64 exec, exec, s[6:7]
	s_cbranch_execnz .LBB33_2420
.LBB33_370:
	s_or_b64 exec, exec, s[6:7]
	s_and_saveexec_b64 s[6:7], s[4:5]
	s_cbranch_execz .LBB33_372
.LBB33_371:
	v_bfe_u32 v10, v17, 16, 3
	v_ffbh_u32_e32 v14, v10
	v_min_u32_e32 v14, 32, v14
	v_lshrrev_b32_e32 v11, 19, v17
	v_subrev_u32_e32 v15, 28, v14
	v_and_b32_e32 v11, 15, v11
	v_lshlrev_b32_sdwa v15, v15, v17 dst_sel:DWORD dst_unused:UNUSED_PAD src0_sel:DWORD src1_sel:WORD_1
	v_bfe_u32 v12, v17, 19, 4
	v_sub_u32_e32 v14, 29, v14
	v_and_b32_e32 v15, 7, v15
	v_cmp_eq_u16_e32 vcc, 0, v11
	v_cndmask_b32_e32 v10, v10, v15, vcc
	v_cndmask_b32_e32 v11, v12, v14, vcc
	v_lshlrev_b32_e32 v12, 8, v17
	v_mov_b32_e32 v14, 0x3b800000
	v_lshlrev_b32_e32 v10, 20, v10
	v_and_b32_e32 v12, 0x80000000, v12
	v_lshl_add_u32 v11, v11, 23, v14
	v_or3_b32 v10, v12, v11, v10
.LBB33_372:
	s_or_b64 exec, exec, s[6:7]
	s_movk_i32 s4, 0xff
	v_and_b32_sdwa v11, v13, s4 dst_sel:DWORD dst_unused:UNUSED_PAD src0_sel:WORD_1 src1_sel:DWORD
	s_movk_i32 s4, 0x7f
	v_cmp_lt_i16_e32 vcc, s4, v11
	s_mov_b64 s[4:5], 0
                                        ; implicit-def: $sgpr10
	s_and_saveexec_b64 s[6:7], vcc
	s_xor_b64 s[6:7], exec, s[6:7]
	s_cbranch_execnz .LBB33_2421
; %bb.373:
	s_or_saveexec_b64 s[6:7], s[6:7]
	v_mov_b32_e32 v12, s10
	s_xor_b64 exec, exec, s[6:7]
	s_cbranch_execnz .LBB33_2424
.LBB33_374:
	s_or_b64 exec, exec, s[6:7]
	s_and_saveexec_b64 s[6:7], s[4:5]
	s_cbranch_execz .LBB33_376
.LBB33_375:
	v_bfe_u32 v11, v13, 16, 3
	v_ffbh_u32_e32 v15, v11
	v_min_u32_e32 v15, 32, v15
	v_lshrrev_b32_e32 v12, 19, v13
	v_subrev_u32_e32 v16, 28, v15
	v_and_b32_e32 v12, 15, v12
	v_lshlrev_b32_sdwa v16, v16, v13 dst_sel:DWORD dst_unused:UNUSED_PAD src0_sel:DWORD src1_sel:WORD_1
	v_bfe_u32 v14, v13, 19, 4
	v_sub_u32_e32 v15, 29, v15
	v_and_b32_e32 v16, 7, v16
	v_cmp_eq_u16_e32 vcc, 0, v12
	v_cndmask_b32_e32 v11, v11, v16, vcc
	v_cndmask_b32_e32 v12, v14, v15, vcc
	v_lshlrev_b32_e32 v14, 8, v13
	v_mov_b32_e32 v15, 0x3b800000
	v_lshlrev_b32_e32 v11, 20, v11
	v_and_b32_e32 v14, 0x80000000, v14
	v_lshl_add_u32 v12, v12, 23, v15
	v_or3_b32 v12, v14, v12, v11
.LBB33_376:
	s_or_b64 exec, exec, s[6:7]
	s_nop 0
	v_mfma_f32_16x16x4f32 a[0:3], v10, v12, a[0:3]
	s_movk_i32 s4, 0x7f
	v_cmp_gt_i16_sdwa s[6:7], v17, s4 src0_sel:BYTE_3 src1_sel:DWORD
	s_mov_b64 s[4:5], 0
                                        ; implicit-def: $sgpr10
	s_and_saveexec_b64 s[8:9], s[6:7]
	s_xor_b64 s[6:7], exec, s[8:9]
	s_cbranch_execnz .LBB33_2425
; %bb.377:
	s_or_saveexec_b64 s[6:7], s[6:7]
	v_mov_b32_e32 v10, s10
	s_xor_b64 exec, exec, s[6:7]
	s_cbranch_execnz .LBB33_2428
.LBB33_378:
	s_or_b64 exec, exec, s[6:7]
	s_and_saveexec_b64 s[6:7], s[4:5]
	s_cbranch_execz .LBB33_380
.LBB33_379:
	v_bfe_u32 v10, v17, 24, 3
	v_ffbh_u32_e32 v15, v10
	v_min_u32_e32 v15, 32, v15
	v_lshrrev_b32_e32 v12, 27, v17
	v_subrev_u32_e32 v16, 28, v15
	v_and_b32_e32 v12, 15, v12
	v_lshlrev_b32_sdwa v16, v16, v17 dst_sel:DWORD dst_unused:UNUSED_PAD src0_sel:DWORD src1_sel:BYTE_3
	v_bfe_u32 v14, v17, 27, 4
	v_sub_u32_e32 v15, 29, v15
	v_and_b32_e32 v16, 7, v16
	v_cmp_eq_u16_e32 vcc, 0, v12
	v_cndmask_b32_e32 v10, v10, v16, vcc
	v_cndmask_b32_e32 v12, v14, v15, vcc
	v_mov_b32_e32 v14, 0x3b800000
	v_and_b32_e32 v11, 0x80000000, v17
	v_lshlrev_b32_e32 v10, 20, v10
	v_lshl_add_u32 v12, v12, 23, v14
	v_or3_b32 v10, v11, v12, v10
.LBB33_380:
	s_or_b64 exec, exec, s[6:7]
	s_movk_i32 s4, 0x7f
	v_cmp_gt_i16_sdwa s[6:7], v13, s4 src0_sel:BYTE_3 src1_sel:DWORD
	s_mov_b64 s[4:5], 0
                                        ; implicit-def: $sgpr10
	s_and_saveexec_b64 s[8:9], s[6:7]
	s_xor_b64 s[6:7], exec, s[8:9]
	s_cbranch_execnz .LBB33_2429
; %bb.381:
	s_or_saveexec_b64 s[6:7], s[6:7]
	v_mov_b32_e32 v11, s10
	s_xor_b64 exec, exec, s[6:7]
	s_cbranch_execnz .LBB33_2432
.LBB33_382:
	s_or_b64 exec, exec, s[6:7]
	s_and_saveexec_b64 s[6:7], s[4:5]
	s_cbranch_execz .LBB33_384
.LBB33_383:
	v_bfe_u32 v11, v13, 24, 3
	v_ffbh_u32_e32 v16, v11
	v_min_u32_e32 v16, 32, v16
	v_lshrrev_b32_e32 v14, 27, v13
	v_subrev_u32_e32 v17, 28, v16
	v_and_b32_e32 v12, 0x80000000, v13
	v_and_b32_e32 v14, 15, v14
	v_bfe_u32 v15, v13, 27, 4
	v_lshlrev_b32_sdwa v13, v17, v13 dst_sel:DWORD dst_unused:UNUSED_PAD src0_sel:DWORD src1_sel:BYTE_3
	v_sub_u32_e32 v16, 29, v16
	v_and_b32_e32 v13, 7, v13
	v_cmp_eq_u16_e32 vcc, 0, v14
	v_cndmask_b32_e32 v11, v11, v13, vcc
	v_cndmask_b32_e32 v13, v15, v16, vcc
	v_mov_b32_e32 v14, 0x3b800000
	v_lshlrev_b32_e32 v11, 20, v11
	v_lshl_add_u32 v13, v13, 23, v14
	v_or3_b32 v11, v12, v13, v11
.LBB33_384:
	s_or_b64 exec, exec, s[6:7]
	s_nop 0
	v_mfma_f32_16x16x4f32 a[0:3], v10, v11, a[0:3]
	s_movk_i32 s4, 0x7f
	v_cmp_gt_i16_sdwa s[6:7], v6, s4 src0_sel:BYTE_0 src1_sel:DWORD
	s_mov_b64 s[4:5], 0
                                        ; implicit-def: $sgpr10
	s_and_saveexec_b64 s[8:9], s[6:7]
	s_xor_b64 s[6:7], exec, s[8:9]
	s_cbranch_execnz .LBB33_2433
; %bb.385:
	s_or_saveexec_b64 s[6:7], s[6:7]
	v_mov_b32_e32 v10, s10
	s_xor_b64 exec, exec, s[6:7]
	s_cbranch_execnz .LBB33_2436
.LBB33_386:
	s_or_b64 exec, exec, s[6:7]
	s_and_saveexec_b64 s[6:7], s[4:5]
	s_cbranch_execz .LBB33_388
.LBB33_387:
	v_and_b32_e32 v10, 7, v6
	v_ffbh_u32_e32 v12, v10
	v_min_u32_e32 v12, 32, v12
	v_lshrrev_b16_e32 v11, 3, v6
	v_subrev_u32_e32 v13, 28, v12
	v_and_b32_e32 v11, 15, v11
	v_lshlrev_b32_e32 v13, v13, v6
	v_sub_u32_e32 v12, 29, v12
	v_and_b32_e32 v13, 7, v13
	v_cmp_eq_u16_e32 vcc, 0, v11
	v_cndmask_b32_e32 v10, v10, v13, vcc
	v_cndmask_b32_e32 v11, v11, v12, vcc
	v_lshlrev_b32_e32 v12, 24, v6
	v_mov_b32_e32 v13, 0x3b800000
	v_lshlrev_b32_e32 v10, 20, v10
	v_and_b32_e32 v12, 0x80000000, v12
	v_lshl_add_u32 v11, v11, 23, v13
	v_or3_b32 v10, v12, v11, v10
.LBB33_388:
	s_or_b64 exec, exec, s[6:7]
	s_movk_i32 s4, 0x7f
	v_cmp_gt_i16_sdwa s[6:7], v2, s4 src0_sel:BYTE_0 src1_sel:DWORD
	s_mov_b64 s[4:5], 0
                                        ; implicit-def: $sgpr10
	s_and_saveexec_b64 s[8:9], s[6:7]
	s_xor_b64 s[6:7], exec, s[8:9]
	s_cbranch_execnz .LBB33_2437
; %bb.389:
	s_or_saveexec_b64 s[6:7], s[6:7]
	v_mov_b32_e32 v11, s10
	s_xor_b64 exec, exec, s[6:7]
	s_cbranch_execnz .LBB33_2440
.LBB33_390:
	s_or_b64 exec, exec, s[6:7]
	s_and_saveexec_b64 s[6:7], s[4:5]
	s_cbranch_execz .LBB33_392
.LBB33_391:
	v_and_b32_e32 v11, 7, v2
	v_ffbh_u32_e32 v13, v11
	v_min_u32_e32 v13, 32, v13
	v_lshrrev_b16_e32 v12, 3, v2
	v_subrev_u32_e32 v14, 28, v13
	v_and_b32_e32 v12, 15, v12
	v_lshlrev_b32_e32 v14, v14, v2
	v_sub_u32_e32 v13, 29, v13
	v_and_b32_e32 v14, 7, v14
	v_cmp_eq_u16_e32 vcc, 0, v12
	v_cndmask_b32_e32 v11, v11, v14, vcc
	v_cndmask_b32_e32 v12, v12, v13, vcc
	v_lshlrev_b32_e32 v13, 24, v2
	v_mov_b32_e32 v14, 0x3b800000
	v_lshlrev_b32_e32 v11, 20, v11
	v_and_b32_e32 v13, 0x80000000, v13
	v_lshl_add_u32 v12, v12, 23, v14
	v_or3_b32 v11, v13, v12, v11
.LBB33_392:
	s_or_b64 exec, exec, s[6:7]
	s_nop 0
	v_mfma_f32_16x16x4f32 a[0:3], v10, v11, a[0:3]
	v_lshrrev_b32_e32 v11, 8, v6
	s_movk_i32 s4, 0x7f
	v_cmp_gt_i16_sdwa s[6:7], v11, s4 src0_sel:BYTE_0 src1_sel:DWORD
	s_mov_b64 s[4:5], 0
                                        ; implicit-def: $sgpr10
	s_and_saveexec_b64 s[8:9], s[6:7]
	s_xor_b64 s[6:7], exec, s[8:9]
	s_cbranch_execnz .LBB33_2441
; %bb.393:
	s_or_saveexec_b64 s[6:7], s[6:7]
	v_mov_b32_e32 v10, s10
	s_xor_b64 exec, exec, s[6:7]
	s_cbranch_execnz .LBB33_2444
.LBB33_394:
	s_or_b64 exec, exec, s[6:7]
	s_and_saveexec_b64 s[6:7], s[4:5]
	s_cbranch_execz .LBB33_396
.LBB33_395:
	v_bfe_u32 v10, v6, 8, 3
	v_ffbh_u32_e32 v13, v10
	v_min_u32_e32 v13, 32, v13
	v_lshrrev_b16_e32 v12, 3, v11
	v_subrev_u32_e32 v14, 28, v13
	v_and_b32_e32 v12, 15, v12
	v_lshlrev_b32_e32 v11, v14, v11
	v_sub_u32_e32 v13, 29, v13
	v_and_b32_e32 v11, 7, v11
	v_cmp_eq_u16_e32 vcc, 0, v12
	v_cndmask_b32_e32 v10, v10, v11, vcc
	v_cndmask_b32_e32 v11, v12, v13, vcc
	v_lshlrev_b32_e32 v12, 16, v6
	v_mov_b32_e32 v13, 0x3b800000
	v_lshlrev_b32_e32 v10, 20, v10
	v_and_b32_e32 v12, 0x80000000, v12
	v_lshl_add_u32 v11, v11, 23, v13
	v_or3_b32 v10, v12, v11, v10
.LBB33_396:
	s_or_b64 exec, exec, s[6:7]
	v_lshrrev_b32_e32 v11, 8, v2
	s_movk_i32 s4, 0x7f
	v_cmp_gt_i16_sdwa s[6:7], v11, s4 src0_sel:BYTE_0 src1_sel:DWORD
	s_mov_b64 s[4:5], 0
                                        ; implicit-def: $sgpr10
	s_and_saveexec_b64 s[8:9], s[6:7]
	s_xor_b64 s[6:7], exec, s[8:9]
	s_cbranch_execnz .LBB33_2445
; %bb.397:
	s_or_saveexec_b64 s[6:7], s[6:7]
	v_mov_b32_e32 v12, s10
	s_xor_b64 exec, exec, s[6:7]
	s_cbranch_execnz .LBB33_2448
.LBB33_398:
	s_or_b64 exec, exec, s[6:7]
	s_and_saveexec_b64 s[6:7], s[4:5]
	s_cbranch_execz .LBB33_400
.LBB33_399:
	v_bfe_u32 v12, v2, 8, 3
	v_ffbh_u32_e32 v14, v12
	v_min_u32_e32 v14, 32, v14
	v_lshrrev_b16_e32 v13, 3, v11
	v_subrev_u32_e32 v15, 28, v14
	v_and_b32_e32 v13, 15, v13
	v_lshlrev_b32_e32 v11, v15, v11
	v_sub_u32_e32 v14, 29, v14
	v_and_b32_e32 v11, 7, v11
	v_cmp_eq_u16_e32 vcc, 0, v13
	v_cndmask_b32_e32 v11, v12, v11, vcc
	v_cndmask_b32_e32 v12, v13, v14, vcc
	v_lshlrev_b32_e32 v13, 16, v2
	v_mov_b32_e32 v14, 0x3b800000
	v_lshlrev_b32_e32 v11, 20, v11
	v_and_b32_e32 v13, 0x80000000, v13
	v_lshl_add_u32 v12, v12, 23, v14
	v_or3_b32 v12, v13, v12, v11
.LBB33_400:
	s_or_b64 exec, exec, s[6:7]
	s_nop 0
	v_mfma_f32_16x16x4f32 a[0:3], v10, v12, a[0:3]
	s_movk_i32 s4, 0xff
	v_and_b32_sdwa v11, v6, s4 dst_sel:DWORD dst_unused:UNUSED_PAD src0_sel:WORD_1 src1_sel:DWORD
	s_movk_i32 s4, 0x7f
	v_cmp_lt_i16_e32 vcc, s4, v11
	s_mov_b64 s[4:5], 0
                                        ; implicit-def: $sgpr10
	s_and_saveexec_b64 s[6:7], vcc
	s_xor_b64 s[6:7], exec, s[6:7]
	s_cbranch_execnz .LBB33_2449
; %bb.401:
	s_or_saveexec_b64 s[6:7], s[6:7]
	v_mov_b32_e32 v10, s10
	s_xor_b64 exec, exec, s[6:7]
	s_cbranch_execnz .LBB33_2452
.LBB33_402:
	s_or_b64 exec, exec, s[6:7]
	s_and_saveexec_b64 s[6:7], s[4:5]
	s_cbranch_execz .LBB33_404
.LBB33_403:
	v_bfe_u32 v10, v6, 16, 3
	v_ffbh_u32_e32 v13, v10
	v_min_u32_e32 v13, 32, v13
	v_lshrrev_b32_e32 v11, 19, v6
	v_subrev_u32_e32 v14, 28, v13
	v_and_b32_e32 v11, 15, v11
	v_lshlrev_b32_sdwa v14, v14, v6 dst_sel:DWORD dst_unused:UNUSED_PAD src0_sel:DWORD src1_sel:WORD_1
	v_bfe_u32 v12, v6, 19, 4
	v_sub_u32_e32 v13, 29, v13
	v_and_b32_e32 v14, 7, v14
	v_cmp_eq_u16_e32 vcc, 0, v11
	v_cndmask_b32_e32 v10, v10, v14, vcc
	v_cndmask_b32_e32 v11, v12, v13, vcc
	v_lshlrev_b32_e32 v12, 8, v6
	v_mov_b32_e32 v13, 0x3b800000
	v_lshlrev_b32_e32 v10, 20, v10
	v_and_b32_e32 v12, 0x80000000, v12
	v_lshl_add_u32 v11, v11, 23, v13
	v_or3_b32 v10, v12, v11, v10
.LBB33_404:
	s_or_b64 exec, exec, s[6:7]
	s_movk_i32 s4, 0xff
	v_and_b32_sdwa v11, v2, s4 dst_sel:DWORD dst_unused:UNUSED_PAD src0_sel:WORD_1 src1_sel:DWORD
	s_movk_i32 s4, 0x7f
	v_cmp_lt_i16_e32 vcc, s4, v11
	s_mov_b64 s[4:5], 0
                                        ; implicit-def: $sgpr10
	s_and_saveexec_b64 s[6:7], vcc
	s_xor_b64 s[6:7], exec, s[6:7]
	s_cbranch_execnz .LBB33_2453
; %bb.405:
	s_or_saveexec_b64 s[6:7], s[6:7]
	v_mov_b32_e32 v12, s10
	s_xor_b64 exec, exec, s[6:7]
	s_cbranch_execnz .LBB33_2456
.LBB33_406:
	s_or_b64 exec, exec, s[6:7]
	s_and_saveexec_b64 s[6:7], s[4:5]
	s_cbranch_execz .LBB33_408
.LBB33_407:
	v_bfe_u32 v11, v2, 16, 3
	v_ffbh_u32_e32 v14, v11
	v_min_u32_e32 v14, 32, v14
	v_lshrrev_b32_e32 v12, 19, v2
	v_subrev_u32_e32 v15, 28, v14
	v_and_b32_e32 v12, 15, v12
	v_lshlrev_b32_sdwa v15, v15, v2 dst_sel:DWORD dst_unused:UNUSED_PAD src0_sel:DWORD src1_sel:WORD_1
	v_bfe_u32 v13, v2, 19, 4
	v_sub_u32_e32 v14, 29, v14
	v_and_b32_e32 v15, 7, v15
	v_cmp_eq_u16_e32 vcc, 0, v12
	v_cndmask_b32_e32 v11, v11, v15, vcc
	v_cndmask_b32_e32 v12, v13, v14, vcc
	v_lshlrev_b32_e32 v13, 8, v2
	v_mov_b32_e32 v14, 0x3b800000
	v_lshlrev_b32_e32 v11, 20, v11
	v_and_b32_e32 v13, 0x80000000, v13
	v_lshl_add_u32 v12, v12, 23, v14
	v_or3_b32 v12, v13, v12, v11
.LBB33_408:
	s_or_b64 exec, exec, s[6:7]
	s_nop 0
	v_mfma_f32_16x16x4f32 a[0:3], v10, v12, a[0:3]
	s_movk_i32 s4, 0x7f
	v_cmp_gt_i16_sdwa s[6:7], v6, s4 src0_sel:BYTE_3 src1_sel:DWORD
	s_mov_b64 s[4:5], 0
                                        ; implicit-def: $sgpr10
	s_and_saveexec_b64 s[8:9], s[6:7]
	s_xor_b64 s[6:7], exec, s[8:9]
	s_cbranch_execnz .LBB33_2457
; %bb.409:
	s_or_saveexec_b64 s[6:7], s[6:7]
	v_mov_b32_e32 v10, s10
	s_xor_b64 exec, exec, s[6:7]
	s_cbranch_execnz .LBB33_2460
.LBB33_410:
	s_or_b64 exec, exec, s[6:7]
	s_and_saveexec_b64 s[6:7], s[4:5]
	s_cbranch_execz .LBB33_412
.LBB33_411:
	v_bfe_u32 v10, v6, 24, 3
	v_ffbh_u32_e32 v14, v10
	v_min_u32_e32 v14, 32, v14
	v_lshrrev_b32_e32 v12, 27, v6
	v_subrev_u32_e32 v15, 28, v14
	v_and_b32_e32 v11, 0x80000000, v6
	v_and_b32_e32 v12, 15, v12
	v_bfe_u32 v13, v6, 27, 4
	v_lshlrev_b32_sdwa v6, v15, v6 dst_sel:DWORD dst_unused:UNUSED_PAD src0_sel:DWORD src1_sel:BYTE_3
	v_sub_u32_e32 v14, 29, v14
	v_and_b32_e32 v6, 7, v6
	v_cmp_eq_u16_e32 vcc, 0, v12
	v_cndmask_b32_e32 v6, v10, v6, vcc
	v_cndmask_b32_e32 v10, v13, v14, vcc
	v_mov_b32_e32 v12, 0x3b800000
	v_lshlrev_b32_e32 v6, 20, v6
	v_lshl_add_u32 v10, v10, 23, v12
	v_or3_b32 v10, v11, v10, v6
.LBB33_412:
	s_or_b64 exec, exec, s[6:7]
	s_movk_i32 s4, 0x7f
	v_cmp_gt_i16_sdwa s[6:7], v2, s4 src0_sel:BYTE_3 src1_sel:DWORD
	s_mov_b64 s[4:5], 0
                                        ; implicit-def: $sgpr10
	s_and_saveexec_b64 s[8:9], s[6:7]
	s_xor_b64 s[6:7], exec, s[8:9]
	s_cbranch_execnz .LBB33_2461
; %bb.413:
	s_or_saveexec_b64 s[6:7], s[6:7]
	v_mov_b32_e32 v6, s10
	s_xor_b64 exec, exec, s[6:7]
	s_cbranch_execnz .LBB33_2464
.LBB33_414:
	s_or_b64 exec, exec, s[6:7]
	s_and_saveexec_b64 s[6:7], s[4:5]
	s_cbranch_execz .LBB33_416
.LBB33_415:
	v_bfe_u32 v6, v2, 24, 3
	v_ffbh_u32_e32 v14, v6
	v_min_u32_e32 v14, 32, v14
	v_lshrrev_b32_e32 v12, 27, v2
	v_subrev_u32_e32 v15, 28, v14
	v_and_b32_e32 v11, 0x80000000, v2
	v_and_b32_e32 v12, 15, v12
	v_bfe_u32 v13, v2, 27, 4
	v_lshlrev_b32_sdwa v2, v15, v2 dst_sel:DWORD dst_unused:UNUSED_PAD src0_sel:DWORD src1_sel:BYTE_3
	v_sub_u32_e32 v14, 29, v14
	v_and_b32_e32 v2, 7, v2
	v_cmp_eq_u16_e32 vcc, 0, v12
	v_cndmask_b32_e32 v2, v6, v2, vcc
	v_cndmask_b32_e32 v6, v13, v14, vcc
	v_mov_b32_e32 v12, 0x3b800000
	v_lshlrev_b32_e32 v2, 20, v2
	v_lshl_add_u32 v6, v6, 23, v12
	v_or3_b32 v6, v11, v6, v2
.LBB33_416:
	s_or_b64 exec, exec, s[6:7]
	s_nop 0
	v_mfma_f32_16x16x4f32 a[0:3], v10, v6, a[0:3]
	s_movk_i32 s4, 0x7f
	v_cmp_gt_i16_sdwa s[6:7], v7, s4 src0_sel:BYTE_0 src1_sel:DWORD
	s_mov_b64 s[4:5], 0
                                        ; implicit-def: $sgpr10
	s_and_saveexec_b64 s[8:9], s[6:7]
	s_xor_b64 s[6:7], exec, s[8:9]
	s_cbranch_execnz .LBB33_2465
; %bb.417:
	s_or_saveexec_b64 s[6:7], s[6:7]
	v_mov_b32_e32 v2, s10
	s_xor_b64 exec, exec, s[6:7]
	s_cbranch_execnz .LBB33_2468
.LBB33_418:
	s_or_b64 exec, exec, s[6:7]
	s_and_saveexec_b64 s[6:7], s[4:5]
	s_cbranch_execz .LBB33_420
.LBB33_419:
	v_and_b32_e32 v2, 7, v7
	v_ffbh_u32_e32 v10, v2
	v_min_u32_e32 v10, 32, v10
	v_lshrrev_b16_e32 v6, 3, v7
	v_subrev_u32_e32 v11, 28, v10
	v_and_b32_e32 v6, 15, v6
	v_lshlrev_b32_e32 v11, v11, v7
	v_sub_u32_e32 v10, 29, v10
	v_and_b32_e32 v11, 7, v11
	v_cmp_eq_u16_e32 vcc, 0, v6
	v_cndmask_b32_e32 v2, v2, v11, vcc
	v_cndmask_b32_e32 v6, v6, v10, vcc
	v_lshlrev_b32_e32 v10, 24, v7
	v_mov_b32_e32 v11, 0x3b800000
	v_lshlrev_b32_e32 v2, 20, v2
	v_and_b32_e32 v10, 0x80000000, v10
	v_lshl_add_u32 v6, v6, 23, v11
	v_or3_b32 v2, v10, v6, v2
.LBB33_420:
	s_or_b64 exec, exec, s[6:7]
	s_movk_i32 s4, 0x7f
	v_cmp_gt_i16_sdwa s[6:7], v3, s4 src0_sel:BYTE_0 src1_sel:DWORD
	s_mov_b64 s[4:5], 0
                                        ; implicit-def: $sgpr10
	s_and_saveexec_b64 s[8:9], s[6:7]
	s_xor_b64 s[6:7], exec, s[8:9]
	s_cbranch_execnz .LBB33_2469
; %bb.421:
	s_or_saveexec_b64 s[6:7], s[6:7]
	v_mov_b32_e32 v6, s10
	s_xor_b64 exec, exec, s[6:7]
	s_cbranch_execnz .LBB33_2472
.LBB33_422:
	s_or_b64 exec, exec, s[6:7]
	s_and_saveexec_b64 s[6:7], s[4:5]
	s_cbranch_execz .LBB33_424
.LBB33_423:
	v_and_b32_e32 v6, 7, v3
	v_ffbh_u32_e32 v11, v6
	v_min_u32_e32 v11, 32, v11
	v_lshrrev_b16_e32 v10, 3, v3
	v_subrev_u32_e32 v12, 28, v11
	v_and_b32_e32 v10, 15, v10
	v_lshlrev_b32_e32 v12, v12, v3
	v_sub_u32_e32 v11, 29, v11
	v_and_b32_e32 v12, 7, v12
	v_cmp_eq_u16_e32 vcc, 0, v10
	v_cndmask_b32_e32 v6, v6, v12, vcc
	v_cndmask_b32_e32 v10, v10, v11, vcc
	v_lshlrev_b32_e32 v11, 24, v3
	v_mov_b32_e32 v12, 0x3b800000
	v_lshlrev_b32_e32 v6, 20, v6
	v_and_b32_e32 v11, 0x80000000, v11
	v_lshl_add_u32 v10, v10, 23, v12
	v_or3_b32 v6, v11, v10, v6
.LBB33_424:
	s_or_b64 exec, exec, s[6:7]
	s_nop 0
	v_mfma_f32_16x16x4f32 a[0:3], v2, v6, a[0:3]
	v_lshrrev_b32_e32 v6, 8, v7
	s_movk_i32 s4, 0x7f
	v_cmp_gt_i16_sdwa s[6:7], v6, s4 src0_sel:BYTE_0 src1_sel:DWORD
	s_mov_b64 s[4:5], 0
                                        ; implicit-def: $sgpr10
	s_and_saveexec_b64 s[8:9], s[6:7]
	s_xor_b64 s[6:7], exec, s[8:9]
	s_cbranch_execnz .LBB33_2473
; %bb.425:
	s_or_saveexec_b64 s[6:7], s[6:7]
	v_mov_b32_e32 v2, s10
	s_xor_b64 exec, exec, s[6:7]
	s_cbranch_execnz .LBB33_2476
.LBB33_426:
	s_or_b64 exec, exec, s[6:7]
	s_and_saveexec_b64 s[6:7], s[4:5]
	s_cbranch_execz .LBB33_428
.LBB33_427:
	v_bfe_u32 v2, v7, 8, 3
	v_ffbh_u32_e32 v11, v2
	v_min_u32_e32 v11, 32, v11
	v_lshrrev_b16_e32 v10, 3, v6
	v_subrev_u32_e32 v12, 28, v11
	v_and_b32_e32 v10, 15, v10
	v_lshlrev_b32_e32 v6, v12, v6
	v_sub_u32_e32 v11, 29, v11
	v_and_b32_e32 v6, 7, v6
	v_cmp_eq_u16_e32 vcc, 0, v10
	v_cndmask_b32_e32 v2, v2, v6, vcc
	v_cndmask_b32_e32 v6, v10, v11, vcc
	v_lshlrev_b32_e32 v10, 16, v7
	v_mov_b32_e32 v11, 0x3b800000
	v_lshlrev_b32_e32 v2, 20, v2
	v_and_b32_e32 v10, 0x80000000, v10
	v_lshl_add_u32 v6, v6, 23, v11
	v_or3_b32 v2, v10, v6, v2
.LBB33_428:
	s_or_b64 exec, exec, s[6:7]
	v_lshrrev_b32_e32 v6, 8, v3
	s_movk_i32 s4, 0x7f
	v_cmp_gt_i16_sdwa s[6:7], v6, s4 src0_sel:BYTE_0 src1_sel:DWORD
	s_mov_b64 s[4:5], 0
                                        ; implicit-def: $sgpr10
	s_and_saveexec_b64 s[8:9], s[6:7]
	s_xor_b64 s[6:7], exec, s[8:9]
	s_cbranch_execnz .LBB33_2477
; %bb.429:
	s_or_saveexec_b64 s[6:7], s[6:7]
	v_mov_b32_e32 v10, s10
	s_xor_b64 exec, exec, s[6:7]
	s_cbranch_execnz .LBB33_2480
.LBB33_430:
	s_or_b64 exec, exec, s[6:7]
	s_and_saveexec_b64 s[6:7], s[4:5]
	s_cbranch_execz .LBB33_432
.LBB33_431:
	v_bfe_u32 v10, v3, 8, 3
	v_ffbh_u32_e32 v12, v10
	v_min_u32_e32 v12, 32, v12
	v_lshrrev_b16_e32 v11, 3, v6
	v_subrev_u32_e32 v13, 28, v12
	v_and_b32_e32 v11, 15, v11
	v_lshlrev_b32_e32 v6, v13, v6
	v_sub_u32_e32 v12, 29, v12
	v_and_b32_e32 v6, 7, v6
	v_cmp_eq_u16_e32 vcc, 0, v11
	v_cndmask_b32_e32 v6, v10, v6, vcc
	v_cndmask_b32_e32 v10, v11, v12, vcc
	v_lshlrev_b32_e32 v11, 16, v3
	v_mov_b32_e32 v12, 0x3b800000
	v_lshlrev_b32_e32 v6, 20, v6
	v_and_b32_e32 v11, 0x80000000, v11
	v_lshl_add_u32 v10, v10, 23, v12
	v_or3_b32 v10, v11, v10, v6
.LBB33_432:
	s_or_b64 exec, exec, s[6:7]
	s_nop 0
	v_mfma_f32_16x16x4f32 a[0:3], v2, v10, a[0:3]
	s_movk_i32 s4, 0xff
	v_and_b32_sdwa v6, v7, s4 dst_sel:DWORD dst_unused:UNUSED_PAD src0_sel:WORD_1 src1_sel:DWORD
	s_movk_i32 s4, 0x7f
	v_cmp_lt_i16_e32 vcc, s4, v6
	s_mov_b64 s[4:5], 0
                                        ; implicit-def: $sgpr10
	s_and_saveexec_b64 s[6:7], vcc
	s_xor_b64 s[6:7], exec, s[6:7]
	s_cbranch_execnz .LBB33_2481
; %bb.433:
	s_or_saveexec_b64 s[6:7], s[6:7]
	v_mov_b32_e32 v2, s10
	s_xor_b64 exec, exec, s[6:7]
	s_cbranch_execnz .LBB33_2484
.LBB33_434:
	s_or_b64 exec, exec, s[6:7]
	s_and_saveexec_b64 s[6:7], s[4:5]
	s_cbranch_execz .LBB33_436
.LBB33_435:
	v_bfe_u32 v2, v7, 16, 3
	v_ffbh_u32_e32 v11, v2
	v_min_u32_e32 v11, 32, v11
	v_lshrrev_b32_e32 v6, 19, v7
	v_subrev_u32_e32 v12, 28, v11
	v_and_b32_e32 v6, 15, v6
	v_lshlrev_b32_sdwa v12, v12, v7 dst_sel:DWORD dst_unused:UNUSED_PAD src0_sel:DWORD src1_sel:WORD_1
	v_bfe_u32 v10, v7, 19, 4
	v_sub_u32_e32 v11, 29, v11
	v_and_b32_e32 v12, 7, v12
	v_cmp_eq_u16_e32 vcc, 0, v6
	v_cndmask_b32_e32 v2, v2, v12, vcc
	v_cndmask_b32_e32 v6, v10, v11, vcc
	v_lshlrev_b32_e32 v10, 8, v7
	v_mov_b32_e32 v11, 0x3b800000
	v_lshlrev_b32_e32 v2, 20, v2
	v_and_b32_e32 v10, 0x80000000, v10
	v_lshl_add_u32 v6, v6, 23, v11
	v_or3_b32 v2, v10, v6, v2
.LBB33_436:
	s_or_b64 exec, exec, s[6:7]
	s_movk_i32 s4, 0xff
	v_and_b32_sdwa v6, v3, s4 dst_sel:DWORD dst_unused:UNUSED_PAD src0_sel:WORD_1 src1_sel:DWORD
	s_movk_i32 s4, 0x7f
	v_cmp_lt_i16_e32 vcc, s4, v6
	s_mov_b64 s[4:5], 0
                                        ; implicit-def: $sgpr10
	s_and_saveexec_b64 s[6:7], vcc
	s_xor_b64 s[6:7], exec, s[6:7]
	s_cbranch_execnz .LBB33_2485
; %bb.437:
	s_or_saveexec_b64 s[6:7], s[6:7]
	v_mov_b32_e32 v10, s10
	s_xor_b64 exec, exec, s[6:7]
	s_cbranch_execnz .LBB33_2488
.LBB33_438:
	s_or_b64 exec, exec, s[6:7]
	s_and_saveexec_b64 s[6:7], s[4:5]
	s_cbranch_execz .LBB33_440
.LBB33_439:
	v_bfe_u32 v6, v3, 16, 3
	v_ffbh_u32_e32 v12, v6
	v_min_u32_e32 v12, 32, v12
	v_lshrrev_b32_e32 v10, 19, v3
	v_subrev_u32_e32 v13, 28, v12
	v_and_b32_e32 v10, 15, v10
	v_lshlrev_b32_sdwa v13, v13, v3 dst_sel:DWORD dst_unused:UNUSED_PAD src0_sel:DWORD src1_sel:WORD_1
	v_bfe_u32 v11, v3, 19, 4
	v_sub_u32_e32 v12, 29, v12
	v_and_b32_e32 v13, 7, v13
	v_cmp_eq_u16_e32 vcc, 0, v10
	v_cndmask_b32_e32 v6, v6, v13, vcc
	v_cndmask_b32_e32 v10, v11, v12, vcc
	v_lshlrev_b32_e32 v11, 8, v3
	v_mov_b32_e32 v12, 0x3b800000
	v_lshlrev_b32_e32 v6, 20, v6
	v_and_b32_e32 v11, 0x80000000, v11
	v_lshl_add_u32 v10, v10, 23, v12
	v_or3_b32 v10, v11, v10, v6
.LBB33_440:
	s_or_b64 exec, exec, s[6:7]
	s_nop 0
	v_mfma_f32_16x16x4f32 a[0:3], v2, v10, a[0:3]
	s_movk_i32 s4, 0x7f
	v_cmp_gt_i16_sdwa s[6:7], v7, s4 src0_sel:BYTE_3 src1_sel:DWORD
	s_mov_b64 s[4:5], 0
                                        ; implicit-def: $sgpr10
	s_and_saveexec_b64 s[8:9], s[6:7]
	s_xor_b64 s[6:7], exec, s[8:9]
	s_cbranch_execnz .LBB33_2489
; %bb.441:
	s_or_saveexec_b64 s[6:7], s[6:7]
	v_mov_b32_e32 v2, s10
	s_xor_b64 exec, exec, s[6:7]
	s_cbranch_execnz .LBB33_2492
.LBB33_442:
	s_or_b64 exec, exec, s[6:7]
	s_and_saveexec_b64 s[6:7], s[4:5]
	s_cbranch_execz .LBB33_444
.LBB33_443:
	v_bfe_u32 v2, v7, 24, 3
	v_ffbh_u32_e32 v12, v2
	v_min_u32_e32 v12, 32, v12
	v_lshrrev_b32_e32 v10, 27, v7
	v_subrev_u32_e32 v13, 28, v12
	v_and_b32_e32 v6, 0x80000000, v7
	v_and_b32_e32 v10, 15, v10
	v_bfe_u32 v11, v7, 27, 4
	v_lshlrev_b32_sdwa v7, v13, v7 dst_sel:DWORD dst_unused:UNUSED_PAD src0_sel:DWORD src1_sel:BYTE_3
	v_sub_u32_e32 v12, 29, v12
	v_and_b32_e32 v7, 7, v7
	v_cmp_eq_u16_e32 vcc, 0, v10
	v_cndmask_b32_e32 v2, v2, v7, vcc
	v_cndmask_b32_e32 v7, v11, v12, vcc
	v_mov_b32_e32 v10, 0x3b800000
	v_lshlrev_b32_e32 v2, 20, v2
	v_lshl_add_u32 v7, v7, 23, v10
	v_or3_b32 v2, v6, v7, v2
.LBB33_444:
	s_or_b64 exec, exec, s[6:7]
	s_movk_i32 s4, 0x7f
	v_cmp_gt_i16_sdwa s[6:7], v3, s4 src0_sel:BYTE_3 src1_sel:DWORD
	s_mov_b64 s[4:5], 0
                                        ; implicit-def: $sgpr10
	s_and_saveexec_b64 s[8:9], s[6:7]
	s_xor_b64 s[6:7], exec, s[8:9]
	s_cbranch_execnz .LBB33_2493
; %bb.445:
	s_or_saveexec_b64 s[6:7], s[6:7]
	v_mov_b32_e32 v6, s10
	s_xor_b64 exec, exec, s[6:7]
	s_cbranch_execnz .LBB33_2496
.LBB33_446:
	s_or_b64 exec, exec, s[6:7]
	s_and_saveexec_b64 s[6:7], s[4:5]
	s_cbranch_execz .LBB33_448
.LBB33_447:
	v_bfe_u32 v6, v3, 24, 3
	v_ffbh_u32_e32 v12, v6
	v_min_u32_e32 v12, 32, v12
	v_lshrrev_b32_e32 v10, 27, v3
	v_subrev_u32_e32 v13, 28, v12
	v_and_b32_e32 v7, 0x80000000, v3
	v_and_b32_e32 v10, 15, v10
	v_bfe_u32 v11, v3, 27, 4
	v_lshlrev_b32_sdwa v3, v13, v3 dst_sel:DWORD dst_unused:UNUSED_PAD src0_sel:DWORD src1_sel:BYTE_3
	v_sub_u32_e32 v12, 29, v12
	v_and_b32_e32 v3, 7, v3
	v_cmp_eq_u16_e32 vcc, 0, v10
	v_cndmask_b32_e32 v3, v6, v3, vcc
	v_cndmask_b32_e32 v6, v11, v12, vcc
	v_mov_b32_e32 v10, 0x3b800000
	v_lshlrev_b32_e32 v3, 20, v3
	v_lshl_add_u32 v6, v6, 23, v10
	v_or3_b32 v6, v7, v6, v3
.LBB33_448:
	s_or_b64 exec, exec, s[6:7]
	s_nop 0
	v_mfma_f32_16x16x4f32 a[0:3], v2, v6, a[0:3]
	s_movk_i32 s4, 0x7f
	v_cmp_gt_i16_sdwa s[6:7], v8, s4 src0_sel:BYTE_0 src1_sel:DWORD
	s_mov_b64 s[4:5], 0
                                        ; implicit-def: $sgpr10
	s_and_saveexec_b64 s[8:9], s[6:7]
	s_xor_b64 s[6:7], exec, s[8:9]
	s_cbranch_execnz .LBB33_2497
; %bb.449:
	s_or_saveexec_b64 s[6:7], s[6:7]
	v_mov_b32_e32 v2, s10
	s_xor_b64 exec, exec, s[6:7]
	s_cbranch_execnz .LBB33_2500
.LBB33_450:
	s_or_b64 exec, exec, s[6:7]
	s_and_saveexec_b64 s[6:7], s[4:5]
	s_cbranch_execz .LBB33_452
.LBB33_451:
	v_and_b32_e32 v2, 7, v8
	v_ffbh_u32_e32 v6, v2
	v_min_u32_e32 v6, 32, v6
	v_lshrrev_b16_e32 v3, 3, v8
	v_subrev_u32_e32 v7, 28, v6
	v_and_b32_e32 v3, 15, v3
	v_lshlrev_b32_e32 v7, v7, v8
	v_sub_u32_e32 v6, 29, v6
	v_and_b32_e32 v7, 7, v7
	v_cmp_eq_u16_e32 vcc, 0, v3
	v_cndmask_b32_e32 v2, v2, v7, vcc
	v_cndmask_b32_e32 v3, v3, v6, vcc
	v_lshlrev_b32_e32 v6, 24, v8
	v_mov_b32_e32 v7, 0x3b800000
	v_lshlrev_b32_e32 v2, 20, v2
	v_and_b32_e32 v6, 0x80000000, v6
	v_lshl_add_u32 v3, v3, 23, v7
	v_or3_b32 v2, v6, v3, v2
.LBB33_452:
	s_or_b64 exec, exec, s[6:7]
	s_movk_i32 s4, 0x7f
	v_cmp_gt_i16_sdwa s[6:7], v4, s4 src0_sel:BYTE_0 src1_sel:DWORD
	s_mov_b64 s[4:5], 0
                                        ; implicit-def: $sgpr10
	s_and_saveexec_b64 s[8:9], s[6:7]
	s_xor_b64 s[6:7], exec, s[8:9]
	s_cbranch_execnz .LBB33_2501
; %bb.453:
	s_or_saveexec_b64 s[6:7], s[6:7]
	v_mov_b32_e32 v3, s10
	s_xor_b64 exec, exec, s[6:7]
	s_cbranch_execnz .LBB33_2504
.LBB33_454:
	s_or_b64 exec, exec, s[6:7]
	s_and_saveexec_b64 s[6:7], s[4:5]
	s_cbranch_execz .LBB33_456
.LBB33_455:
	v_and_b32_e32 v3, 7, v4
	v_ffbh_u32_e32 v7, v3
	v_min_u32_e32 v7, 32, v7
	v_lshrrev_b16_e32 v6, 3, v4
	v_subrev_u32_e32 v10, 28, v7
	v_and_b32_e32 v6, 15, v6
	v_lshlrev_b32_e32 v10, v10, v4
	v_sub_u32_e32 v7, 29, v7
	v_and_b32_e32 v10, 7, v10
	v_cmp_eq_u16_e32 vcc, 0, v6
	v_cndmask_b32_e32 v3, v3, v10, vcc
	v_cndmask_b32_e32 v6, v6, v7, vcc
	v_lshlrev_b32_e32 v7, 24, v4
	v_mov_b32_e32 v10, 0x3b800000
	v_lshlrev_b32_e32 v3, 20, v3
	v_and_b32_e32 v7, 0x80000000, v7
	v_lshl_add_u32 v6, v6, 23, v10
	v_or3_b32 v3, v7, v6, v3
.LBB33_456:
	s_or_b64 exec, exec, s[6:7]
	s_nop 0
	v_mfma_f32_16x16x4f32 a[0:3], v2, v3, a[0:3]
	v_lshrrev_b32_e32 v3, 8, v8
	s_movk_i32 s4, 0x7f
	v_cmp_gt_i16_sdwa s[6:7], v3, s4 src0_sel:BYTE_0 src1_sel:DWORD
	s_mov_b64 s[4:5], 0
                                        ; implicit-def: $sgpr10
	s_and_saveexec_b64 s[8:9], s[6:7]
	s_xor_b64 s[6:7], exec, s[8:9]
	s_cbranch_execnz .LBB33_2505
; %bb.457:
	s_or_saveexec_b64 s[6:7], s[6:7]
	v_mov_b32_e32 v2, s10
	s_xor_b64 exec, exec, s[6:7]
	s_cbranch_execnz .LBB33_2508
.LBB33_458:
	s_or_b64 exec, exec, s[6:7]
	s_and_saveexec_b64 s[6:7], s[4:5]
	s_cbranch_execz .LBB33_460
.LBB33_459:
	v_bfe_u32 v2, v8, 8, 3
	v_ffbh_u32_e32 v7, v2
	v_min_u32_e32 v7, 32, v7
	v_lshrrev_b16_e32 v6, 3, v3
	v_subrev_u32_e32 v10, 28, v7
	v_and_b32_e32 v6, 15, v6
	v_lshlrev_b32_e32 v3, v10, v3
	v_sub_u32_e32 v7, 29, v7
	v_and_b32_e32 v3, 7, v3
	v_cmp_eq_u16_e32 vcc, 0, v6
	v_cndmask_b32_e32 v2, v2, v3, vcc
	v_cndmask_b32_e32 v3, v6, v7, vcc
	v_lshlrev_b32_e32 v6, 16, v8
	v_mov_b32_e32 v7, 0x3b800000
	v_lshlrev_b32_e32 v2, 20, v2
	v_and_b32_e32 v6, 0x80000000, v6
	v_lshl_add_u32 v3, v3, 23, v7
	v_or3_b32 v2, v6, v3, v2
.LBB33_460:
	s_or_b64 exec, exec, s[6:7]
	v_lshrrev_b32_e32 v3, 8, v4
	s_movk_i32 s4, 0x7f
	v_cmp_gt_i16_sdwa s[6:7], v3, s4 src0_sel:BYTE_0 src1_sel:DWORD
	s_mov_b64 s[4:5], 0
                                        ; implicit-def: $sgpr10
	s_and_saveexec_b64 s[8:9], s[6:7]
	s_xor_b64 s[6:7], exec, s[8:9]
	s_cbranch_execnz .LBB33_2509
; %bb.461:
	s_or_saveexec_b64 s[6:7], s[6:7]
	v_mov_b32_e32 v6, s10
	s_xor_b64 exec, exec, s[6:7]
	s_cbranch_execnz .LBB33_2512
.LBB33_462:
	s_or_b64 exec, exec, s[6:7]
	s_and_saveexec_b64 s[6:7], s[4:5]
	s_cbranch_execz .LBB33_464
.LBB33_463:
	v_bfe_u32 v6, v4, 8, 3
	v_ffbh_u32_e32 v10, v6
	v_min_u32_e32 v10, 32, v10
	v_lshrrev_b16_e32 v7, 3, v3
	v_subrev_u32_e32 v11, 28, v10
	v_and_b32_e32 v7, 15, v7
	v_lshlrev_b32_e32 v3, v11, v3
	v_sub_u32_e32 v10, 29, v10
	v_and_b32_e32 v3, 7, v3
	v_cmp_eq_u16_e32 vcc, 0, v7
	v_cndmask_b32_e32 v3, v6, v3, vcc
	v_cndmask_b32_e32 v6, v7, v10, vcc
	v_lshlrev_b32_e32 v7, 16, v4
	v_mov_b32_e32 v10, 0x3b800000
	v_lshlrev_b32_e32 v3, 20, v3
	v_and_b32_e32 v7, 0x80000000, v7
	v_lshl_add_u32 v6, v6, 23, v10
	v_or3_b32 v6, v7, v6, v3
.LBB33_464:
	s_or_b64 exec, exec, s[6:7]
	s_nop 0
	v_mfma_f32_16x16x4f32 a[0:3], v2, v6, a[0:3]
	s_movk_i32 s4, 0xff
	v_and_b32_sdwa v3, v8, s4 dst_sel:DWORD dst_unused:UNUSED_PAD src0_sel:WORD_1 src1_sel:DWORD
	s_movk_i32 s4, 0x7f
	v_cmp_lt_i16_e32 vcc, s4, v3
	s_mov_b64 s[4:5], 0
                                        ; implicit-def: $sgpr10
	s_and_saveexec_b64 s[6:7], vcc
	s_xor_b64 s[6:7], exec, s[6:7]
	s_cbranch_execnz .LBB33_2513
; %bb.465:
	s_or_saveexec_b64 s[6:7], s[6:7]
	v_mov_b32_e32 v2, s10
	s_xor_b64 exec, exec, s[6:7]
	s_cbranch_execnz .LBB33_2516
.LBB33_466:
	s_or_b64 exec, exec, s[6:7]
	s_and_saveexec_b64 s[6:7], s[4:5]
	s_cbranch_execz .LBB33_468
.LBB33_467:
	v_bfe_u32 v2, v8, 16, 3
	v_ffbh_u32_e32 v7, v2
	v_min_u32_e32 v7, 32, v7
	v_lshrrev_b32_e32 v3, 19, v8
	v_subrev_u32_e32 v10, 28, v7
	v_and_b32_e32 v3, 15, v3
	v_lshlrev_b32_sdwa v10, v10, v8 dst_sel:DWORD dst_unused:UNUSED_PAD src0_sel:DWORD src1_sel:WORD_1
	v_bfe_u32 v6, v8, 19, 4
	v_sub_u32_e32 v7, 29, v7
	v_and_b32_e32 v10, 7, v10
	v_cmp_eq_u16_e32 vcc, 0, v3
	v_cndmask_b32_e32 v2, v2, v10, vcc
	v_cndmask_b32_e32 v3, v6, v7, vcc
	v_lshlrev_b32_e32 v6, 8, v8
	v_mov_b32_e32 v7, 0x3b800000
	v_lshlrev_b32_e32 v2, 20, v2
	v_and_b32_e32 v6, 0x80000000, v6
	v_lshl_add_u32 v3, v3, 23, v7
	v_or3_b32 v2, v6, v3, v2
.LBB33_468:
	s_or_b64 exec, exec, s[6:7]
	s_movk_i32 s4, 0xff
	v_and_b32_sdwa v3, v4, s4 dst_sel:DWORD dst_unused:UNUSED_PAD src0_sel:WORD_1 src1_sel:DWORD
	s_movk_i32 s4, 0x7f
	v_cmp_lt_i16_e32 vcc, s4, v3
	s_mov_b64 s[4:5], 0
                                        ; implicit-def: $sgpr10
	s_and_saveexec_b64 s[6:7], vcc
	s_xor_b64 s[6:7], exec, s[6:7]
	s_cbranch_execnz .LBB33_2517
; %bb.469:
	s_or_saveexec_b64 s[6:7], s[6:7]
	v_mov_b32_e32 v6, s10
	s_xor_b64 exec, exec, s[6:7]
	s_cbranch_execnz .LBB33_2520
.LBB33_470:
	s_or_b64 exec, exec, s[6:7]
	s_and_saveexec_b64 s[6:7], s[4:5]
	s_cbranch_execz .LBB33_472
.LBB33_471:
	v_bfe_u32 v3, v4, 16, 3
	v_ffbh_u32_e32 v10, v3
	v_min_u32_e32 v10, 32, v10
	v_lshrrev_b32_e32 v6, 19, v4
	v_subrev_u32_e32 v11, 28, v10
	v_and_b32_e32 v6, 15, v6
	v_lshlrev_b32_sdwa v11, v11, v4 dst_sel:DWORD dst_unused:UNUSED_PAD src0_sel:DWORD src1_sel:WORD_1
	v_bfe_u32 v7, v4, 19, 4
	v_sub_u32_e32 v10, 29, v10
	v_and_b32_e32 v11, 7, v11
	v_cmp_eq_u16_e32 vcc, 0, v6
	v_cndmask_b32_e32 v3, v3, v11, vcc
	v_cndmask_b32_e32 v6, v7, v10, vcc
	v_lshlrev_b32_e32 v7, 8, v4
	v_mov_b32_e32 v10, 0x3b800000
	v_lshlrev_b32_e32 v3, 20, v3
	v_and_b32_e32 v7, 0x80000000, v7
	v_lshl_add_u32 v6, v6, 23, v10
	v_or3_b32 v6, v7, v6, v3
.LBB33_472:
	s_or_b64 exec, exec, s[6:7]
	s_nop 0
	v_mfma_f32_16x16x4f32 a[0:3], v2, v6, a[0:3]
	s_movk_i32 s4, 0x7f
	v_cmp_gt_i16_sdwa s[6:7], v8, s4 src0_sel:BYTE_3 src1_sel:DWORD
	s_mov_b64 s[4:5], 0
                                        ; implicit-def: $sgpr10
	s_and_saveexec_b64 s[8:9], s[6:7]
	s_xor_b64 s[6:7], exec, s[8:9]
	s_cbranch_execnz .LBB33_2521
; %bb.473:
	s_or_saveexec_b64 s[6:7], s[6:7]
	v_mov_b32_e32 v2, s10
	s_xor_b64 exec, exec, s[6:7]
	s_cbranch_execnz .LBB33_2524
.LBB33_474:
	s_or_b64 exec, exec, s[6:7]
	s_and_saveexec_b64 s[6:7], s[4:5]
	s_cbranch_execz .LBB33_476
.LBB33_475:
	v_bfe_u32 v2, v8, 24, 3
	v_ffbh_u32_e32 v10, v2
	v_min_u32_e32 v10, 32, v10
	v_lshrrev_b32_e32 v6, 27, v8
	v_subrev_u32_e32 v11, 28, v10
	v_and_b32_e32 v3, 0x80000000, v8
	v_and_b32_e32 v6, 15, v6
	v_bfe_u32 v7, v8, 27, 4
	v_lshlrev_b32_sdwa v8, v11, v8 dst_sel:DWORD dst_unused:UNUSED_PAD src0_sel:DWORD src1_sel:BYTE_3
	v_sub_u32_e32 v10, 29, v10
	v_and_b32_e32 v8, 7, v8
	v_cmp_eq_u16_e32 vcc, 0, v6
	v_cndmask_b32_e32 v2, v2, v8, vcc
	v_cndmask_b32_e32 v6, v7, v10, vcc
	v_mov_b32_e32 v7, 0x3b800000
	v_lshlrev_b32_e32 v2, 20, v2
	v_lshl_add_u32 v6, v6, 23, v7
	v_or3_b32 v2, v3, v6, v2
.LBB33_476:
	s_or_b64 exec, exec, s[6:7]
	s_movk_i32 s4, 0x7f
	v_cmp_gt_i16_sdwa s[6:7], v4, s4 src0_sel:BYTE_3 src1_sel:DWORD
	s_mov_b64 s[4:5], 0
                                        ; implicit-def: $sgpr10
	s_and_saveexec_b64 s[8:9], s[6:7]
	s_xor_b64 s[6:7], exec, s[8:9]
	s_cbranch_execnz .LBB33_2525
; %bb.477:
	s_or_saveexec_b64 s[6:7], s[6:7]
	v_mov_b32_e32 v3, s10
	s_xor_b64 exec, exec, s[6:7]
	s_cbranch_execnz .LBB33_2528
.LBB33_478:
	s_or_b64 exec, exec, s[6:7]
	s_and_saveexec_b64 s[6:7], s[4:5]
	s_cbranch_execz .LBB33_480
.LBB33_479:
	v_bfe_u32 v3, v4, 24, 3
	v_ffbh_u32_e32 v10, v3
	v_min_u32_e32 v10, 32, v10
	v_lshrrev_b32_e32 v7, 27, v4
	v_subrev_u32_e32 v11, 28, v10
	v_and_b32_e32 v6, 0x80000000, v4
	v_and_b32_e32 v7, 15, v7
	v_bfe_u32 v8, v4, 27, 4
	v_lshlrev_b32_sdwa v4, v11, v4 dst_sel:DWORD dst_unused:UNUSED_PAD src0_sel:DWORD src1_sel:BYTE_3
	v_sub_u32_e32 v10, 29, v10
	v_and_b32_e32 v4, 7, v4
	v_cmp_eq_u16_e32 vcc, 0, v7
	v_cndmask_b32_e32 v3, v3, v4, vcc
	v_cndmask_b32_e32 v4, v8, v10, vcc
	v_mov_b32_e32 v7, 0x3b800000
	v_lshlrev_b32_e32 v3, 20, v3
	v_lshl_add_u32 v4, v4, 23, v7
	v_or3_b32 v3, v6, v4, v3
.LBB33_480:
	s_or_b64 exec, exec, s[6:7]
	s_nop 0
	v_mfma_f32_16x16x4f32 a[0:3], v2, v3, a[0:3]
	s_movk_i32 s4, 0x7f
	v_cmp_gt_i16_sdwa s[6:7], v9, s4 src0_sel:BYTE_0 src1_sel:DWORD
	s_mov_b64 s[4:5], 0
                                        ; implicit-def: $sgpr10
	s_and_saveexec_b64 s[8:9], s[6:7]
	s_xor_b64 s[6:7], exec, s[8:9]
	s_cbranch_execnz .LBB33_2529
; %bb.481:
	s_or_saveexec_b64 s[6:7], s[6:7]
	v_mov_b32_e32 v2, s10
	s_xor_b64 exec, exec, s[6:7]
	s_cbranch_execnz .LBB33_2532
.LBB33_482:
	s_or_b64 exec, exec, s[6:7]
	s_and_saveexec_b64 s[6:7], s[4:5]
	s_cbranch_execz .LBB33_484
.LBB33_483:
	v_mov_b32_e32 v2, 8
	v_and_b32_e32 v3, 7, v9
	v_lshrrev_b32_sdwa v2, v2, v9 dst_sel:BYTE_1 dst_unused:UNUSED_PAD src0_sel:DWORD src1_sel:DWORD
	v_ffbh_u32_e32 v4, v3
	v_or_b32_sdwa v2, v9, v2 dst_sel:DWORD dst_unused:UNUSED_PAD src0_sel:BYTE_0 src1_sel:DWORD
	v_min_u32_e32 v4, 32, v4
	v_lshrrev_b16_e32 v2, 3, v2
	v_subrev_u32_e32 v6, 28, v4
	v_and_b32_e32 v2, 15, v2
	v_lshlrev_b32_e32 v6, v6, v9
	v_sub_u32_e32 v4, 29, v4
	v_and_b32_e32 v6, 7, v6
	v_cmp_eq_u16_e32 vcc, 0, v2
	v_cndmask_b32_e32 v3, v3, v6, vcc
	v_cndmask_b32_e32 v2, v2, v4, vcc
	v_lshlrev_b32_e32 v4, 24, v9
	v_mov_b32_e32 v6, 0x3b800000
	v_lshlrev_b32_e32 v3, 20, v3
	v_and_b32_e32 v4, 0x80000000, v4
	v_lshl_add_u32 v2, v2, 23, v6
	v_or3_b32 v2, v4, v2, v3
.LBB33_484:
	s_or_b64 exec, exec, s[6:7]
	s_movk_i32 s4, 0x7f
	v_cmp_gt_i16_sdwa s[6:7], v5, s4 src0_sel:BYTE_0 src1_sel:DWORD
	s_mov_b64 s[4:5], 0
                                        ; implicit-def: $sgpr10
	s_and_saveexec_b64 s[8:9], s[6:7]
	s_xor_b64 s[6:7], exec, s[8:9]
	s_cbranch_execnz .LBB33_2533
; %bb.485:
	s_or_saveexec_b64 s[6:7], s[6:7]
	v_mov_b32_e32 v3, s10
	s_xor_b64 exec, exec, s[6:7]
	s_cbranch_execnz .LBB33_2536
.LBB33_486:
	s_or_b64 exec, exec, s[6:7]
	s_and_saveexec_b64 s[6:7], s[4:5]
	s_cbranch_execz .LBB33_488
.LBB33_487:
	v_mov_b32_e32 v3, 8
	v_and_b32_e32 v4, 7, v5
	v_lshrrev_b32_sdwa v3, v3, v5 dst_sel:BYTE_1 dst_unused:UNUSED_PAD src0_sel:DWORD src1_sel:DWORD
	v_ffbh_u32_e32 v6, v4
	v_or_b32_sdwa v3, v5, v3 dst_sel:DWORD dst_unused:UNUSED_PAD src0_sel:BYTE_0 src1_sel:DWORD
	v_min_u32_e32 v6, 32, v6
	v_lshrrev_b16_e32 v3, 3, v3
	v_subrev_u32_e32 v7, 28, v6
	v_and_b32_e32 v3, 15, v3
	v_lshlrev_b32_e32 v7, v7, v5
	v_sub_u32_e32 v6, 29, v6
	v_and_b32_e32 v7, 7, v7
	v_cmp_eq_u16_e32 vcc, 0, v3
	v_cndmask_b32_e32 v4, v4, v7, vcc
	v_cndmask_b32_e32 v3, v3, v6, vcc
	v_lshlrev_b32_e32 v6, 24, v5
	v_mov_b32_e32 v7, 0x3b800000
	v_lshlrev_b32_e32 v4, 20, v4
	v_and_b32_e32 v6, 0x80000000, v6
	v_lshl_add_u32 v3, v3, 23, v7
	v_or3_b32 v3, v6, v3, v4
.LBB33_488:
	s_or_b64 exec, exec, s[6:7]
	s_nop 0
	v_mfma_f32_16x16x4f32 a[0:3], v2, v3, a[0:3]
	v_lshrrev_b32_e32 v3, 8, v9
	s_movk_i32 s4, 0x7f
	v_cmp_gt_i16_sdwa s[6:7], v3, s4 src0_sel:BYTE_0 src1_sel:DWORD
	s_mov_b64 s[4:5], 0
                                        ; implicit-def: $sgpr10
	s_and_saveexec_b64 s[8:9], s[6:7]
	s_xor_b64 s[6:7], exec, s[8:9]
	s_cbranch_execnz .LBB33_2537
; %bb.489:
	s_or_saveexec_b64 s[6:7], s[6:7]
	v_mov_b32_e32 v2, s10
	s_xor_b64 exec, exec, s[6:7]
	s_cbranch_execnz .LBB33_2540
.LBB33_490:
	s_or_b64 exec, exec, s[6:7]
	s_and_saveexec_b64 s[6:7], s[4:5]
	s_cbranch_execz .LBB33_492
.LBB33_491:
	v_bfe_u32 v2, v9, 8, 3
	v_ffbh_u32_e32 v6, v2
	v_min_u32_e32 v6, 32, v6
	v_lshrrev_b16_e32 v4, 3, v3
	v_subrev_u32_e32 v7, 28, v6
	v_and_b32_e32 v4, 15, v4
	v_lshlrev_b32_e32 v3, v7, v3
	v_sub_u32_e32 v6, 29, v6
	v_and_b32_e32 v3, 7, v3
	v_cmp_eq_u16_e32 vcc, 0, v4
	v_cndmask_b32_e32 v2, v2, v3, vcc
	v_cndmask_b32_e32 v3, v4, v6, vcc
	v_lshlrev_b32_e32 v4, 16, v9
	v_mov_b32_e32 v6, 0x3b800000
	v_lshlrev_b32_e32 v2, 20, v2
	v_and_b32_e32 v4, 0x80000000, v4
	v_lshl_add_u32 v3, v3, 23, v6
	v_or3_b32 v2, v4, v3, v2
.LBB33_492:
	s_or_b64 exec, exec, s[6:7]
	v_lshrrev_b32_e32 v3, 8, v5
	s_movk_i32 s4, 0x7f
	v_cmp_gt_i16_sdwa s[6:7], v3, s4 src0_sel:BYTE_0 src1_sel:DWORD
	s_mov_b64 s[4:5], 0
                                        ; implicit-def: $sgpr10
	s_and_saveexec_b64 s[8:9], s[6:7]
	s_xor_b64 s[6:7], exec, s[8:9]
	s_cbranch_execnz .LBB33_2541
; %bb.493:
	s_or_saveexec_b64 s[6:7], s[6:7]
	v_mov_b32_e32 v4, s10
	s_xor_b64 exec, exec, s[6:7]
	s_cbranch_execnz .LBB33_2544
.LBB33_494:
	s_or_b64 exec, exec, s[6:7]
	s_and_saveexec_b64 s[6:7], s[4:5]
	s_cbranch_execz .LBB33_496
.LBB33_495:
	v_bfe_u32 v4, v5, 8, 3
	v_ffbh_u32_e32 v7, v4
	v_min_u32_e32 v7, 32, v7
	v_lshrrev_b16_e32 v6, 3, v3
	v_subrev_u32_e32 v8, 28, v7
	v_and_b32_e32 v6, 15, v6
	v_lshlrev_b32_e32 v3, v8, v3
	v_sub_u32_e32 v7, 29, v7
	v_and_b32_e32 v3, 7, v3
	v_cmp_eq_u16_e32 vcc, 0, v6
	v_cndmask_b32_e32 v3, v4, v3, vcc
	v_cndmask_b32_e32 v4, v6, v7, vcc
	v_lshlrev_b32_e32 v6, 16, v5
	v_mov_b32_e32 v7, 0x3b800000
	v_lshlrev_b32_e32 v3, 20, v3
	v_and_b32_e32 v6, 0x80000000, v6
	v_lshl_add_u32 v4, v4, 23, v7
	v_or3_b32 v4, v6, v4, v3
.LBB33_496:
	s_or_b64 exec, exec, s[6:7]
	s_nop 0
	v_mfma_f32_16x16x4f32 a[0:3], v2, v4, a[0:3]
	s_movk_i32 s4, 0xff
	v_and_b32_sdwa v3, v9, s4 dst_sel:DWORD dst_unused:UNUSED_PAD src0_sel:WORD_1 src1_sel:DWORD
	s_movk_i32 s4, 0x7f
	v_cmp_lt_i16_e32 vcc, s4, v3
	s_mov_b64 s[4:5], 0
                                        ; implicit-def: $sgpr10
	s_and_saveexec_b64 s[6:7], vcc
	s_xor_b64 s[6:7], exec, s[6:7]
	s_cbranch_execnz .LBB33_2545
; %bb.497:
	s_or_saveexec_b64 s[6:7], s[6:7]
	v_mov_b32_e32 v2, s10
	s_xor_b64 exec, exec, s[6:7]
	s_cbranch_execnz .LBB33_2548
.LBB33_498:
	s_or_b64 exec, exec, s[6:7]
	s_and_saveexec_b64 s[6:7], s[4:5]
	s_cbranch_execz .LBB33_500
.LBB33_499:
	v_bfe_u32 v2, v9, 16, 3
	v_ffbh_u32_e32 v6, v2
	v_min_u32_e32 v6, 32, v6
	v_lshrrev_b32_e32 v3, 19, v9
	v_subrev_u32_e32 v7, 28, v6
	v_and_b32_e32 v3, 15, v3
	v_lshlrev_b32_sdwa v7, v7, v9 dst_sel:DWORD dst_unused:UNUSED_PAD src0_sel:DWORD src1_sel:WORD_1
	v_bfe_u32 v4, v9, 19, 4
	v_sub_u32_e32 v6, 29, v6
	v_and_b32_e32 v7, 7, v7
	v_cmp_eq_u16_e32 vcc, 0, v3
	v_cndmask_b32_e32 v2, v2, v7, vcc
	v_cndmask_b32_e32 v3, v4, v6, vcc
	v_lshlrev_b32_e32 v4, 8, v9
	v_mov_b32_e32 v6, 0x3b800000
	v_lshlrev_b32_e32 v2, 20, v2
	v_and_b32_e32 v4, 0x80000000, v4
	v_lshl_add_u32 v3, v3, 23, v6
	v_or3_b32 v2, v4, v3, v2
.LBB33_500:
	s_or_b64 exec, exec, s[6:7]
	s_movk_i32 s4, 0xff
	v_and_b32_sdwa v3, v5, s4 dst_sel:DWORD dst_unused:UNUSED_PAD src0_sel:WORD_1 src1_sel:DWORD
	s_movk_i32 s4, 0x7f
	v_cmp_lt_i16_e32 vcc, s4, v3
	s_mov_b64 s[4:5], 0
                                        ; implicit-def: $sgpr10
	s_and_saveexec_b64 s[6:7], vcc
	s_xor_b64 s[6:7], exec, s[6:7]
	s_cbranch_execnz .LBB33_2549
; %bb.501:
	s_or_saveexec_b64 s[6:7], s[6:7]
	v_mov_b32_e32 v4, s10
	s_xor_b64 exec, exec, s[6:7]
	s_cbranch_execnz .LBB33_2552
.LBB33_502:
	s_or_b64 exec, exec, s[6:7]
	s_and_saveexec_b64 s[6:7], s[4:5]
	s_cbranch_execz .LBB33_504
.LBB33_503:
	v_bfe_u32 v3, v5, 16, 3
	v_ffbh_u32_e32 v7, v3
	v_min_u32_e32 v7, 32, v7
	v_lshrrev_b32_e32 v4, 19, v5
	v_subrev_u32_e32 v8, 28, v7
	v_and_b32_e32 v4, 15, v4
	v_lshlrev_b32_sdwa v8, v8, v5 dst_sel:DWORD dst_unused:UNUSED_PAD src0_sel:DWORD src1_sel:WORD_1
	v_bfe_u32 v6, v5, 19, 4
	v_sub_u32_e32 v7, 29, v7
	v_and_b32_e32 v8, 7, v8
	v_cmp_eq_u16_e32 vcc, 0, v4
	v_cndmask_b32_e32 v3, v3, v8, vcc
	v_cndmask_b32_e32 v4, v6, v7, vcc
	v_lshlrev_b32_e32 v6, 8, v5
	v_mov_b32_e32 v7, 0x3b800000
	v_lshlrev_b32_e32 v3, 20, v3
	v_and_b32_e32 v6, 0x80000000, v6
	v_lshl_add_u32 v4, v4, 23, v7
	v_or3_b32 v4, v6, v4, v3
.LBB33_504:
	s_or_b64 exec, exec, s[6:7]
	s_nop 0
	v_mfma_f32_16x16x4f32 a[0:3], v2, v4, a[0:3]
	s_movk_i32 s4, 0x7f
	v_cmp_gt_i16_sdwa s[6:7], v9, s4 src0_sel:BYTE_3 src1_sel:DWORD
	s_mov_b64 s[4:5], 0
                                        ; implicit-def: $sgpr10
	s_and_saveexec_b64 s[8:9], s[6:7]
	s_xor_b64 s[6:7], exec, s[8:9]
	s_cbranch_execnz .LBB33_2553
; %bb.505:
	s_or_saveexec_b64 s[6:7], s[6:7]
	v_mov_b32_e32 v2, s10
	s_xor_b64 exec, exec, s[6:7]
	s_cbranch_execnz .LBB33_2556
.LBB33_506:
	s_or_b64 exec, exec, s[6:7]
	s_and_saveexec_b64 s[6:7], s[4:5]
	s_cbranch_execz .LBB33_508
.LBB33_507:
	v_bfe_u32 v2, v9, 24, 3
	v_ffbh_u32_e32 v7, v2
	v_min_u32_e32 v7, 32, v7
	v_lshrrev_b32_e32 v4, 27, v9
	v_subrev_u32_e32 v8, 28, v7
	v_and_b32_e32 v4, 15, v4
	v_lshlrev_b32_sdwa v8, v8, v9 dst_sel:DWORD dst_unused:UNUSED_PAD src0_sel:DWORD src1_sel:BYTE_3
	v_bfe_u32 v6, v9, 27, 4
	v_sub_u32_e32 v7, 29, v7
	v_and_b32_e32 v8, 7, v8
	v_cmp_eq_u16_e32 vcc, 0, v4
	v_cndmask_b32_e32 v2, v2, v8, vcc
	v_cndmask_b32_e32 v4, v6, v7, vcc
	v_mov_b32_e32 v6, 0x3b800000
	v_and_b32_e32 v3, 0x80000000, v9
	v_lshlrev_b32_e32 v2, 20, v2
	v_lshl_add_u32 v4, v4, 23, v6
	v_or3_b32 v2, v3, v4, v2
.LBB33_508:
	s_or_b64 exec, exec, s[6:7]
	s_movk_i32 s4, 0x7f
	v_cmp_gt_i16_sdwa s[6:7], v5, s4 src0_sel:BYTE_3 src1_sel:DWORD
	s_mov_b64 s[4:5], 0
                                        ; implicit-def: $sgpr10
	s_and_saveexec_b64 s[8:9], s[6:7]
	s_xor_b64 s[6:7], exec, s[8:9]
	s_cbranch_execnz .LBB33_2557
; %bb.509:
	s_or_saveexec_b64 s[6:7], s[6:7]
	v_mov_b32_e32 v3, s10
	s_xor_b64 exec, exec, s[6:7]
	s_cbranch_execnz .LBB33_2560
.LBB33_510:
	s_or_b64 exec, exec, s[6:7]
	s_and_saveexec_b64 s[6:7], s[4:5]
	s_cbranch_execz .LBB33_512
.LBB33_511:
	v_bfe_u32 v3, v5, 24, 3
	v_ffbh_u32_e32 v8, v3
	v_min_u32_e32 v8, 32, v8
	v_lshrrev_b32_e32 v6, 27, v5
	v_subrev_u32_e32 v9, 28, v8
	v_and_b32_e32 v4, 0x80000000, v5
	v_and_b32_e32 v6, 15, v6
	v_bfe_u32 v7, v5, 27, 4
	v_lshlrev_b32_sdwa v5, v9, v5 dst_sel:DWORD dst_unused:UNUSED_PAD src0_sel:DWORD src1_sel:BYTE_3
	v_sub_u32_e32 v8, 29, v8
	v_and_b32_e32 v5, 7, v5
	v_cmp_eq_u16_e32 vcc, 0, v6
	v_cndmask_b32_e32 v3, v3, v5, vcc
	v_cndmask_b32_e32 v5, v7, v8, vcc
	v_mov_b32_e32 v6, 0x3b800000
	v_lshlrev_b32_e32 v3, 20, v3
	v_lshl_add_u32 v5, v5, 23, v6
	v_or3_b32 v3, v4, v5, v3
.LBB33_512:
	s_or_b64 exec, exec, s[6:7]
	s_nop 0
	v_mfma_f32_16x16x4f32 a[0:3], v2, v3, a[0:3]
	s_movk_i32 s4, 0x7f
                                        ; implicit-def: $sgpr10
	s_nop 7
	s_nop 1
	flat_store_dwordx4 v[18:19], a[0:3] offset:656
	flat_load_dwordx4 v[20:23], v[0:1] offset:16
	s_nop 0
	flat_load_dwordx2 v[18:19], v[0:1] offset:32
	s_waitcnt vmcnt(0) lgkmcnt(0)
	flat_load_dwordx4 v[14:17], v[20:21] offset:32
	flat_load_dwordx4 v[6:9], v[20:21] offset:48
	flat_load_dwordx4 v[10:13], v[22:23] offset:64
	flat_load_dwordx4 v[2:5], v[22:23] offset:80
	s_waitcnt vmcnt(0) lgkmcnt(0)
	v_cmp_gt_i16_sdwa s[6:7], v14, s4 src0_sel:BYTE_0 src1_sel:DWORD
	s_mov_b64 s[4:5], 0
	s_and_saveexec_b64 s[8:9], s[6:7]
	s_xor_b64 s[6:7], exec, s[8:9]
	s_cbranch_execnz .LBB33_2561
; %bb.513:
	s_or_saveexec_b64 s[6:7], s[6:7]
	v_mov_b32_e32 v20, s10
	s_xor_b64 exec, exec, s[6:7]
	s_cbranch_execnz .LBB33_2564
.LBB33_514:
	s_or_b64 exec, exec, s[6:7]
	s_and_saveexec_b64 s[6:7], s[4:5]
	s_cbranch_execz .LBB33_516
.LBB33_515:
	v_and_b32_e32 v20, 7, v14
	v_ffbh_u32_e32 v22, v20
	v_min_u32_e32 v22, 32, v22
	v_lshrrev_b16_e32 v21, 3, v14
	v_subrev_u32_e32 v23, 28, v22
	v_and_b32_e32 v21, 15, v21
	v_lshlrev_b32_e32 v23, v23, v14
	v_sub_u32_e32 v22, 29, v22
	v_and_b32_e32 v23, 7, v23
	v_cmp_eq_u16_e32 vcc, 0, v21
	v_cndmask_b32_e32 v20, v20, v23, vcc
	v_cndmask_b32_e32 v21, v21, v22, vcc
	v_lshlrev_b32_e32 v22, 24, v14
	v_mov_b32_e32 v23, 0x3b800000
	v_lshlrev_b32_e32 v20, 20, v20
	v_and_b32_e32 v22, 0x80000000, v22
	v_lshl_add_u32 v21, v21, 23, v23
	v_or3_b32 v20, v22, v21, v20
.LBB33_516:
	s_or_b64 exec, exec, s[6:7]
	s_movk_i32 s4, 0x7f
	v_cmp_gt_i16_sdwa s[6:7], v10, s4 src0_sel:BYTE_0 src1_sel:DWORD
	s_mov_b64 s[4:5], 0
                                        ; implicit-def: $sgpr10
	s_and_saveexec_b64 s[8:9], s[6:7]
	s_xor_b64 s[6:7], exec, s[8:9]
	s_cbranch_execnz .LBB33_2565
; %bb.517:
	s_or_saveexec_b64 s[6:7], s[6:7]
	v_mov_b32_e32 v21, s10
	s_xor_b64 exec, exec, s[6:7]
	s_cbranch_execnz .LBB33_2568
.LBB33_518:
	s_or_b64 exec, exec, s[6:7]
	s_and_saveexec_b64 s[6:7], s[4:5]
	s_cbranch_execz .LBB33_520
.LBB33_519:
	v_and_b32_e32 v21, 7, v10
	v_ffbh_u32_e32 v23, v21
	v_min_u32_e32 v23, 32, v23
	v_lshrrev_b16_e32 v22, 3, v10
	v_subrev_u32_e32 v24, 28, v23
	v_and_b32_e32 v22, 15, v22
	v_lshlrev_b32_e32 v24, v24, v10
	v_sub_u32_e32 v23, 29, v23
	v_and_b32_e32 v24, 7, v24
	v_cmp_eq_u16_e32 vcc, 0, v22
	v_cndmask_b32_e32 v21, v21, v24, vcc
	v_cndmask_b32_e32 v22, v22, v23, vcc
	v_lshlrev_b32_e32 v23, 24, v10
	v_mov_b32_e32 v24, 0x3b800000
	v_lshlrev_b32_e32 v21, 20, v21
	v_and_b32_e32 v23, 0x80000000, v23
	v_lshl_add_u32 v22, v22, 23, v24
	v_or3_b32 v21, v23, v22, v21
.LBB33_520:
	s_or_b64 exec, exec, s[6:7]
	flat_load_dwordx4 a[0:3], v[18:19] offset:672
	s_movk_i32 s4, 0x7f
                                        ; implicit-def: $sgpr10
	s_waitcnt vmcnt(0) lgkmcnt(0)
	v_mfma_f32_16x16x4f32 a[0:3], v20, v21, a[0:3]
	v_lshrrev_b32_e32 v21, 8, v14
	v_cmp_gt_i16_sdwa s[6:7], v21, s4 src0_sel:BYTE_0 src1_sel:DWORD
	s_mov_b64 s[4:5], 0
	s_and_saveexec_b64 s[8:9], s[6:7]
	s_xor_b64 s[6:7], exec, s[8:9]
	s_cbranch_execnz .LBB33_2569
; %bb.521:
	s_or_saveexec_b64 s[6:7], s[6:7]
	v_mov_b32_e32 v20, s10
	s_xor_b64 exec, exec, s[6:7]
	s_cbranch_execnz .LBB33_2572
.LBB33_522:
	s_or_b64 exec, exec, s[6:7]
	s_and_saveexec_b64 s[6:7], s[4:5]
	s_cbranch_execz .LBB33_524
.LBB33_523:
	v_bfe_u32 v20, v14, 8, 3
	v_ffbh_u32_e32 v23, v20
	v_min_u32_e32 v23, 32, v23
	v_lshrrev_b16_e32 v22, 3, v21
	v_subrev_u32_e32 v24, 28, v23
	v_and_b32_e32 v22, 15, v22
	v_lshlrev_b32_e32 v21, v24, v21
	v_sub_u32_e32 v23, 29, v23
	v_and_b32_e32 v21, 7, v21
	v_cmp_eq_u16_e32 vcc, 0, v22
	v_cndmask_b32_e32 v20, v20, v21, vcc
	v_cndmask_b32_e32 v21, v22, v23, vcc
	v_lshlrev_b32_e32 v22, 16, v14
	v_mov_b32_e32 v23, 0x3b800000
	v_lshlrev_b32_e32 v20, 20, v20
	v_and_b32_e32 v22, 0x80000000, v22
	v_lshl_add_u32 v21, v21, 23, v23
	v_or3_b32 v20, v22, v21, v20
.LBB33_524:
	s_or_b64 exec, exec, s[6:7]
	v_lshrrev_b32_e32 v21, 8, v10
	s_movk_i32 s4, 0x7f
	v_cmp_gt_i16_sdwa s[6:7], v21, s4 src0_sel:BYTE_0 src1_sel:DWORD
	s_mov_b64 s[4:5], 0
                                        ; implicit-def: $sgpr10
	s_and_saveexec_b64 s[8:9], s[6:7]
	s_xor_b64 s[6:7], exec, s[8:9]
	s_cbranch_execnz .LBB33_2573
; %bb.525:
	s_or_saveexec_b64 s[6:7], s[6:7]
	v_mov_b32_e32 v22, s10
	s_xor_b64 exec, exec, s[6:7]
	s_cbranch_execnz .LBB33_2576
.LBB33_526:
	s_or_b64 exec, exec, s[6:7]
	s_and_saveexec_b64 s[6:7], s[4:5]
	s_cbranch_execz .LBB33_528
.LBB33_527:
	v_bfe_u32 v22, v10, 8, 3
	v_ffbh_u32_e32 v24, v22
	v_min_u32_e32 v24, 32, v24
	v_lshrrev_b16_e32 v23, 3, v21
	v_subrev_u32_e32 v25, 28, v24
	v_and_b32_e32 v23, 15, v23
	v_lshlrev_b32_e32 v21, v25, v21
	v_sub_u32_e32 v24, 29, v24
	v_and_b32_e32 v21, 7, v21
	v_cmp_eq_u16_e32 vcc, 0, v23
	v_cndmask_b32_e32 v21, v22, v21, vcc
	v_cndmask_b32_e32 v22, v23, v24, vcc
	v_lshlrev_b32_e32 v23, 16, v10
	v_mov_b32_e32 v24, 0x3b800000
	v_lshlrev_b32_e32 v21, 20, v21
	v_and_b32_e32 v23, 0x80000000, v23
	v_lshl_add_u32 v22, v22, 23, v24
	v_or3_b32 v22, v23, v22, v21
.LBB33_528:
	s_or_b64 exec, exec, s[6:7]
	s_nop 0
	v_mfma_f32_16x16x4f32 a[0:3], v20, v22, a[0:3]
	s_movk_i32 s4, 0xff
	v_and_b32_sdwa v21, v14, s4 dst_sel:DWORD dst_unused:UNUSED_PAD src0_sel:WORD_1 src1_sel:DWORD
	s_movk_i32 s4, 0x7f
	v_cmp_lt_i16_e32 vcc, s4, v21
	s_mov_b64 s[4:5], 0
                                        ; implicit-def: $sgpr10
	s_and_saveexec_b64 s[6:7], vcc
	s_xor_b64 s[6:7], exec, s[6:7]
	s_cbranch_execnz .LBB33_2577
; %bb.529:
	s_or_saveexec_b64 s[6:7], s[6:7]
	v_mov_b32_e32 v20, s10
	s_xor_b64 exec, exec, s[6:7]
	s_cbranch_execnz .LBB33_2580
.LBB33_530:
	s_or_b64 exec, exec, s[6:7]
	s_and_saveexec_b64 s[6:7], s[4:5]
	s_cbranch_execz .LBB33_532
.LBB33_531:
	v_bfe_u32 v20, v14, 16, 3
	v_ffbh_u32_e32 v23, v20
	v_min_u32_e32 v23, 32, v23
	v_lshrrev_b32_e32 v21, 19, v14
	v_subrev_u32_e32 v24, 28, v23
	v_and_b32_e32 v21, 15, v21
	v_lshlrev_b32_sdwa v24, v24, v14 dst_sel:DWORD dst_unused:UNUSED_PAD src0_sel:DWORD src1_sel:WORD_1
	v_bfe_u32 v22, v14, 19, 4
	v_sub_u32_e32 v23, 29, v23
	v_and_b32_e32 v24, 7, v24
	v_cmp_eq_u16_e32 vcc, 0, v21
	v_cndmask_b32_e32 v20, v20, v24, vcc
	v_cndmask_b32_e32 v21, v22, v23, vcc
	v_lshlrev_b32_e32 v22, 8, v14
	v_mov_b32_e32 v23, 0x3b800000
	v_lshlrev_b32_e32 v20, 20, v20
	v_and_b32_e32 v22, 0x80000000, v22
	v_lshl_add_u32 v21, v21, 23, v23
	v_or3_b32 v20, v22, v21, v20
.LBB33_532:
	s_or_b64 exec, exec, s[6:7]
	s_movk_i32 s4, 0xff
	v_and_b32_sdwa v21, v10, s4 dst_sel:DWORD dst_unused:UNUSED_PAD src0_sel:WORD_1 src1_sel:DWORD
	s_movk_i32 s4, 0x7f
	v_cmp_lt_i16_e32 vcc, s4, v21
	s_mov_b64 s[4:5], 0
                                        ; implicit-def: $sgpr10
	s_and_saveexec_b64 s[6:7], vcc
	s_xor_b64 s[6:7], exec, s[6:7]
	s_cbranch_execnz .LBB33_2581
; %bb.533:
	s_or_saveexec_b64 s[6:7], s[6:7]
	v_mov_b32_e32 v22, s10
	s_xor_b64 exec, exec, s[6:7]
	s_cbranch_execnz .LBB33_2584
.LBB33_534:
	s_or_b64 exec, exec, s[6:7]
	s_and_saveexec_b64 s[6:7], s[4:5]
	s_cbranch_execz .LBB33_536
.LBB33_535:
	v_bfe_u32 v21, v10, 16, 3
	v_ffbh_u32_e32 v24, v21
	v_min_u32_e32 v24, 32, v24
	v_lshrrev_b32_e32 v22, 19, v10
	v_subrev_u32_e32 v25, 28, v24
	v_and_b32_e32 v22, 15, v22
	v_lshlrev_b32_sdwa v25, v25, v10 dst_sel:DWORD dst_unused:UNUSED_PAD src0_sel:DWORD src1_sel:WORD_1
	v_bfe_u32 v23, v10, 19, 4
	v_sub_u32_e32 v24, 29, v24
	v_and_b32_e32 v25, 7, v25
	v_cmp_eq_u16_e32 vcc, 0, v22
	v_cndmask_b32_e32 v21, v21, v25, vcc
	v_cndmask_b32_e32 v22, v23, v24, vcc
	v_lshlrev_b32_e32 v23, 8, v10
	v_mov_b32_e32 v24, 0x3b800000
	v_lshlrev_b32_e32 v21, 20, v21
	v_and_b32_e32 v23, 0x80000000, v23
	v_lshl_add_u32 v22, v22, 23, v24
	v_or3_b32 v22, v23, v22, v21
.LBB33_536:
	s_or_b64 exec, exec, s[6:7]
	s_nop 0
	v_mfma_f32_16x16x4f32 a[0:3], v20, v22, a[0:3]
	s_movk_i32 s4, 0x7f
	v_cmp_gt_i16_sdwa s[6:7], v14, s4 src0_sel:BYTE_3 src1_sel:DWORD
	s_mov_b64 s[4:5], 0
                                        ; implicit-def: $sgpr10
	s_and_saveexec_b64 s[8:9], s[6:7]
	s_xor_b64 s[6:7], exec, s[8:9]
	s_cbranch_execnz .LBB33_2585
; %bb.537:
	s_or_saveexec_b64 s[6:7], s[6:7]
	v_mov_b32_e32 v20, s10
	s_xor_b64 exec, exec, s[6:7]
	s_cbranch_execnz .LBB33_2588
.LBB33_538:
	s_or_b64 exec, exec, s[6:7]
	s_and_saveexec_b64 s[6:7], s[4:5]
	s_cbranch_execz .LBB33_540
.LBB33_539:
	v_bfe_u32 v20, v14, 24, 3
	v_ffbh_u32_e32 v24, v20
	v_min_u32_e32 v24, 32, v24
	v_lshrrev_b32_e32 v22, 27, v14
	v_subrev_u32_e32 v25, 28, v24
	v_and_b32_e32 v21, 0x80000000, v14
	v_and_b32_e32 v22, 15, v22
	v_bfe_u32 v23, v14, 27, 4
	v_lshlrev_b32_sdwa v14, v25, v14 dst_sel:DWORD dst_unused:UNUSED_PAD src0_sel:DWORD src1_sel:BYTE_3
	v_sub_u32_e32 v24, 29, v24
	v_and_b32_e32 v14, 7, v14
	v_cmp_eq_u16_e32 vcc, 0, v22
	v_cndmask_b32_e32 v14, v20, v14, vcc
	v_cndmask_b32_e32 v20, v23, v24, vcc
	v_mov_b32_e32 v22, 0x3b800000
	v_lshlrev_b32_e32 v14, 20, v14
	v_lshl_add_u32 v20, v20, 23, v22
	v_or3_b32 v20, v21, v20, v14
.LBB33_540:
	s_or_b64 exec, exec, s[6:7]
	s_movk_i32 s4, 0x7f
	v_cmp_gt_i16_sdwa s[6:7], v10, s4 src0_sel:BYTE_3 src1_sel:DWORD
	s_mov_b64 s[4:5], 0
                                        ; implicit-def: $sgpr10
	s_and_saveexec_b64 s[8:9], s[6:7]
	s_xor_b64 s[6:7], exec, s[8:9]
	s_cbranch_execnz .LBB33_2589
; %bb.541:
	s_or_saveexec_b64 s[6:7], s[6:7]
	v_mov_b32_e32 v14, s10
	s_xor_b64 exec, exec, s[6:7]
	s_cbranch_execnz .LBB33_2592
.LBB33_542:
	s_or_b64 exec, exec, s[6:7]
	s_and_saveexec_b64 s[6:7], s[4:5]
	s_cbranch_execz .LBB33_544
.LBB33_543:
	v_bfe_u32 v14, v10, 24, 3
	v_ffbh_u32_e32 v24, v14
	v_min_u32_e32 v24, 32, v24
	v_lshrrev_b32_e32 v22, 27, v10
	v_subrev_u32_e32 v25, 28, v24
	v_and_b32_e32 v21, 0x80000000, v10
	v_and_b32_e32 v22, 15, v22
	v_bfe_u32 v23, v10, 27, 4
	v_lshlrev_b32_sdwa v10, v25, v10 dst_sel:DWORD dst_unused:UNUSED_PAD src0_sel:DWORD src1_sel:BYTE_3
	v_sub_u32_e32 v24, 29, v24
	v_and_b32_e32 v10, 7, v10
	v_cmp_eq_u16_e32 vcc, 0, v22
	v_cndmask_b32_e32 v10, v14, v10, vcc
	v_cndmask_b32_e32 v14, v23, v24, vcc
	v_mov_b32_e32 v22, 0x3b800000
	v_lshlrev_b32_e32 v10, 20, v10
	v_lshl_add_u32 v14, v14, 23, v22
	v_or3_b32 v14, v21, v14, v10
.LBB33_544:
	s_or_b64 exec, exec, s[6:7]
	s_nop 0
	v_mfma_f32_16x16x4f32 a[0:3], v20, v14, a[0:3]
	s_movk_i32 s4, 0x7f
	v_cmp_gt_i16_sdwa s[6:7], v15, s4 src0_sel:BYTE_0 src1_sel:DWORD
	s_mov_b64 s[4:5], 0
                                        ; implicit-def: $sgpr10
	s_and_saveexec_b64 s[8:9], s[6:7]
	s_xor_b64 s[6:7], exec, s[8:9]
	s_cbranch_execnz .LBB33_2593
; %bb.545:
	s_or_saveexec_b64 s[6:7], s[6:7]
	v_mov_b32_e32 v10, s10
	s_xor_b64 exec, exec, s[6:7]
	s_cbranch_execnz .LBB33_2596
.LBB33_546:
	s_or_b64 exec, exec, s[6:7]
	s_and_saveexec_b64 s[6:7], s[4:5]
	s_cbranch_execz .LBB33_548
.LBB33_547:
	v_and_b32_e32 v10, 7, v15
	v_ffbh_u32_e32 v20, v10
	v_min_u32_e32 v20, 32, v20
	v_lshrrev_b16_e32 v14, 3, v15
	v_subrev_u32_e32 v21, 28, v20
	v_and_b32_e32 v14, 15, v14
	v_lshlrev_b32_e32 v21, v21, v15
	v_sub_u32_e32 v20, 29, v20
	v_and_b32_e32 v21, 7, v21
	v_cmp_eq_u16_e32 vcc, 0, v14
	v_cndmask_b32_e32 v10, v10, v21, vcc
	v_cndmask_b32_e32 v14, v14, v20, vcc
	v_lshlrev_b32_e32 v20, 24, v15
	v_mov_b32_e32 v21, 0x3b800000
	v_lshlrev_b32_e32 v10, 20, v10
	v_and_b32_e32 v20, 0x80000000, v20
	v_lshl_add_u32 v14, v14, 23, v21
	v_or3_b32 v10, v20, v14, v10
.LBB33_548:
	s_or_b64 exec, exec, s[6:7]
	s_movk_i32 s4, 0x7f
	v_cmp_gt_i16_sdwa s[6:7], v11, s4 src0_sel:BYTE_0 src1_sel:DWORD
	s_mov_b64 s[4:5], 0
                                        ; implicit-def: $sgpr10
	s_and_saveexec_b64 s[8:9], s[6:7]
	s_xor_b64 s[6:7], exec, s[8:9]
	s_cbranch_execnz .LBB33_2597
; %bb.549:
	s_or_saveexec_b64 s[6:7], s[6:7]
	v_mov_b32_e32 v14, s10
	s_xor_b64 exec, exec, s[6:7]
	s_cbranch_execnz .LBB33_2600
.LBB33_550:
	s_or_b64 exec, exec, s[6:7]
	s_and_saveexec_b64 s[6:7], s[4:5]
	s_cbranch_execz .LBB33_552
.LBB33_551:
	v_and_b32_e32 v14, 7, v11
	v_ffbh_u32_e32 v21, v14
	v_min_u32_e32 v21, 32, v21
	v_lshrrev_b16_e32 v20, 3, v11
	v_subrev_u32_e32 v22, 28, v21
	v_and_b32_e32 v20, 15, v20
	v_lshlrev_b32_e32 v22, v22, v11
	v_sub_u32_e32 v21, 29, v21
	v_and_b32_e32 v22, 7, v22
	v_cmp_eq_u16_e32 vcc, 0, v20
	v_cndmask_b32_e32 v14, v14, v22, vcc
	v_cndmask_b32_e32 v20, v20, v21, vcc
	v_lshlrev_b32_e32 v21, 24, v11
	v_mov_b32_e32 v22, 0x3b800000
	v_lshlrev_b32_e32 v14, 20, v14
	v_and_b32_e32 v21, 0x80000000, v21
	v_lshl_add_u32 v20, v20, 23, v22
	v_or3_b32 v14, v21, v20, v14
.LBB33_552:
	s_or_b64 exec, exec, s[6:7]
	s_nop 0
	v_mfma_f32_16x16x4f32 a[0:3], v10, v14, a[0:3]
	v_lshrrev_b32_e32 v14, 8, v15
	s_movk_i32 s4, 0x7f
	v_cmp_gt_i16_sdwa s[6:7], v14, s4 src0_sel:BYTE_0 src1_sel:DWORD
	s_mov_b64 s[4:5], 0
                                        ; implicit-def: $sgpr10
	s_and_saveexec_b64 s[8:9], s[6:7]
	s_xor_b64 s[6:7], exec, s[8:9]
	s_cbranch_execnz .LBB33_2601
; %bb.553:
	s_or_saveexec_b64 s[6:7], s[6:7]
	v_mov_b32_e32 v10, s10
	s_xor_b64 exec, exec, s[6:7]
	s_cbranch_execnz .LBB33_2604
.LBB33_554:
	s_or_b64 exec, exec, s[6:7]
	s_and_saveexec_b64 s[6:7], s[4:5]
	s_cbranch_execz .LBB33_556
.LBB33_555:
	v_bfe_u32 v10, v15, 8, 3
	v_ffbh_u32_e32 v21, v10
	v_min_u32_e32 v21, 32, v21
	v_lshrrev_b16_e32 v20, 3, v14
	v_subrev_u32_e32 v22, 28, v21
	v_and_b32_e32 v20, 15, v20
	v_lshlrev_b32_e32 v14, v22, v14
	v_sub_u32_e32 v21, 29, v21
	v_and_b32_e32 v14, 7, v14
	v_cmp_eq_u16_e32 vcc, 0, v20
	v_cndmask_b32_e32 v10, v10, v14, vcc
	v_cndmask_b32_e32 v14, v20, v21, vcc
	v_lshlrev_b32_e32 v20, 16, v15
	v_mov_b32_e32 v21, 0x3b800000
	v_lshlrev_b32_e32 v10, 20, v10
	v_and_b32_e32 v20, 0x80000000, v20
	v_lshl_add_u32 v14, v14, 23, v21
	v_or3_b32 v10, v20, v14, v10
.LBB33_556:
	s_or_b64 exec, exec, s[6:7]
	v_lshrrev_b32_e32 v14, 8, v11
	s_movk_i32 s4, 0x7f
	v_cmp_gt_i16_sdwa s[6:7], v14, s4 src0_sel:BYTE_0 src1_sel:DWORD
	s_mov_b64 s[4:5], 0
                                        ; implicit-def: $sgpr10
	s_and_saveexec_b64 s[8:9], s[6:7]
	s_xor_b64 s[6:7], exec, s[8:9]
	s_cbranch_execnz .LBB33_2605
; %bb.557:
	s_or_saveexec_b64 s[6:7], s[6:7]
	v_mov_b32_e32 v20, s10
	s_xor_b64 exec, exec, s[6:7]
	s_cbranch_execnz .LBB33_2608
.LBB33_558:
	s_or_b64 exec, exec, s[6:7]
	s_and_saveexec_b64 s[6:7], s[4:5]
	s_cbranch_execz .LBB33_560
.LBB33_559:
	v_bfe_u32 v20, v11, 8, 3
	v_ffbh_u32_e32 v22, v20
	v_min_u32_e32 v22, 32, v22
	v_lshrrev_b16_e32 v21, 3, v14
	v_subrev_u32_e32 v23, 28, v22
	v_and_b32_e32 v21, 15, v21
	v_lshlrev_b32_e32 v14, v23, v14
	v_sub_u32_e32 v22, 29, v22
	v_and_b32_e32 v14, 7, v14
	v_cmp_eq_u16_e32 vcc, 0, v21
	v_cndmask_b32_e32 v14, v20, v14, vcc
	v_cndmask_b32_e32 v20, v21, v22, vcc
	v_lshlrev_b32_e32 v21, 16, v11
	v_mov_b32_e32 v22, 0x3b800000
	v_lshlrev_b32_e32 v14, 20, v14
	v_and_b32_e32 v21, 0x80000000, v21
	v_lshl_add_u32 v20, v20, 23, v22
	v_or3_b32 v20, v21, v20, v14
.LBB33_560:
	s_or_b64 exec, exec, s[6:7]
	s_nop 0
	v_mfma_f32_16x16x4f32 a[0:3], v10, v20, a[0:3]
	s_movk_i32 s4, 0xff
	v_and_b32_sdwa v14, v15, s4 dst_sel:DWORD dst_unused:UNUSED_PAD src0_sel:WORD_1 src1_sel:DWORD
	s_movk_i32 s4, 0x7f
	v_cmp_lt_i16_e32 vcc, s4, v14
	s_mov_b64 s[4:5], 0
                                        ; implicit-def: $sgpr10
	s_and_saveexec_b64 s[6:7], vcc
	s_xor_b64 s[6:7], exec, s[6:7]
	s_cbranch_execnz .LBB33_2609
; %bb.561:
	s_or_saveexec_b64 s[6:7], s[6:7]
	v_mov_b32_e32 v10, s10
	s_xor_b64 exec, exec, s[6:7]
	s_cbranch_execnz .LBB33_2612
.LBB33_562:
	s_or_b64 exec, exec, s[6:7]
	s_and_saveexec_b64 s[6:7], s[4:5]
	s_cbranch_execz .LBB33_564
.LBB33_563:
	v_bfe_u32 v10, v15, 16, 3
	v_ffbh_u32_e32 v21, v10
	v_min_u32_e32 v21, 32, v21
	v_lshrrev_b32_e32 v14, 19, v15
	v_subrev_u32_e32 v22, 28, v21
	v_and_b32_e32 v14, 15, v14
	v_lshlrev_b32_sdwa v22, v22, v15 dst_sel:DWORD dst_unused:UNUSED_PAD src0_sel:DWORD src1_sel:WORD_1
	v_bfe_u32 v20, v15, 19, 4
	v_sub_u32_e32 v21, 29, v21
	v_and_b32_e32 v22, 7, v22
	v_cmp_eq_u16_e32 vcc, 0, v14
	v_cndmask_b32_e32 v10, v10, v22, vcc
	v_cndmask_b32_e32 v14, v20, v21, vcc
	v_lshlrev_b32_e32 v20, 8, v15
	v_mov_b32_e32 v21, 0x3b800000
	v_lshlrev_b32_e32 v10, 20, v10
	v_and_b32_e32 v20, 0x80000000, v20
	v_lshl_add_u32 v14, v14, 23, v21
	v_or3_b32 v10, v20, v14, v10
.LBB33_564:
	s_or_b64 exec, exec, s[6:7]
	s_movk_i32 s4, 0xff
	v_and_b32_sdwa v14, v11, s4 dst_sel:DWORD dst_unused:UNUSED_PAD src0_sel:WORD_1 src1_sel:DWORD
	s_movk_i32 s4, 0x7f
	v_cmp_lt_i16_e32 vcc, s4, v14
	s_mov_b64 s[4:5], 0
                                        ; implicit-def: $sgpr10
	s_and_saveexec_b64 s[6:7], vcc
	s_xor_b64 s[6:7], exec, s[6:7]
	s_cbranch_execnz .LBB33_2613
; %bb.565:
	s_or_saveexec_b64 s[6:7], s[6:7]
	v_mov_b32_e32 v20, s10
	s_xor_b64 exec, exec, s[6:7]
	s_cbranch_execnz .LBB33_2616
.LBB33_566:
	s_or_b64 exec, exec, s[6:7]
	s_and_saveexec_b64 s[6:7], s[4:5]
	s_cbranch_execz .LBB33_568
.LBB33_567:
	v_bfe_u32 v14, v11, 16, 3
	v_ffbh_u32_e32 v22, v14
	v_min_u32_e32 v22, 32, v22
	v_lshrrev_b32_e32 v20, 19, v11
	v_subrev_u32_e32 v23, 28, v22
	v_and_b32_e32 v20, 15, v20
	v_lshlrev_b32_sdwa v23, v23, v11 dst_sel:DWORD dst_unused:UNUSED_PAD src0_sel:DWORD src1_sel:WORD_1
	v_bfe_u32 v21, v11, 19, 4
	v_sub_u32_e32 v22, 29, v22
	v_and_b32_e32 v23, 7, v23
	v_cmp_eq_u16_e32 vcc, 0, v20
	v_cndmask_b32_e32 v14, v14, v23, vcc
	v_cndmask_b32_e32 v20, v21, v22, vcc
	v_lshlrev_b32_e32 v21, 8, v11
	v_mov_b32_e32 v22, 0x3b800000
	v_lshlrev_b32_e32 v14, 20, v14
	v_and_b32_e32 v21, 0x80000000, v21
	v_lshl_add_u32 v20, v20, 23, v22
	v_or3_b32 v20, v21, v20, v14
.LBB33_568:
	s_or_b64 exec, exec, s[6:7]
	s_nop 0
	v_mfma_f32_16x16x4f32 a[0:3], v10, v20, a[0:3]
	s_movk_i32 s4, 0x7f
	v_cmp_gt_i16_sdwa s[6:7], v15, s4 src0_sel:BYTE_3 src1_sel:DWORD
	s_mov_b64 s[4:5], 0
                                        ; implicit-def: $sgpr10
	s_and_saveexec_b64 s[8:9], s[6:7]
	s_xor_b64 s[6:7], exec, s[8:9]
	s_cbranch_execnz .LBB33_2617
; %bb.569:
	s_or_saveexec_b64 s[6:7], s[6:7]
	v_mov_b32_e32 v10, s10
	s_xor_b64 exec, exec, s[6:7]
	s_cbranch_execnz .LBB33_2620
.LBB33_570:
	s_or_b64 exec, exec, s[6:7]
	s_and_saveexec_b64 s[6:7], s[4:5]
	s_cbranch_execz .LBB33_572
.LBB33_571:
	v_bfe_u32 v10, v15, 24, 3
	v_ffbh_u32_e32 v22, v10
	v_min_u32_e32 v22, 32, v22
	v_lshrrev_b32_e32 v20, 27, v15
	v_subrev_u32_e32 v23, 28, v22
	v_and_b32_e32 v14, 0x80000000, v15
	v_and_b32_e32 v20, 15, v20
	v_bfe_u32 v21, v15, 27, 4
	v_lshlrev_b32_sdwa v15, v23, v15 dst_sel:DWORD dst_unused:UNUSED_PAD src0_sel:DWORD src1_sel:BYTE_3
	v_sub_u32_e32 v22, 29, v22
	v_and_b32_e32 v15, 7, v15
	v_cmp_eq_u16_e32 vcc, 0, v20
	v_cndmask_b32_e32 v10, v10, v15, vcc
	v_cndmask_b32_e32 v15, v21, v22, vcc
	v_mov_b32_e32 v20, 0x3b800000
	v_lshlrev_b32_e32 v10, 20, v10
	v_lshl_add_u32 v15, v15, 23, v20
	v_or3_b32 v10, v14, v15, v10
.LBB33_572:
	s_or_b64 exec, exec, s[6:7]
	s_movk_i32 s4, 0x7f
	v_cmp_gt_i16_sdwa s[6:7], v11, s4 src0_sel:BYTE_3 src1_sel:DWORD
	s_mov_b64 s[4:5], 0
                                        ; implicit-def: $sgpr10
	s_and_saveexec_b64 s[8:9], s[6:7]
	s_xor_b64 s[6:7], exec, s[8:9]
	s_cbranch_execnz .LBB33_2621
; %bb.573:
	s_or_saveexec_b64 s[6:7], s[6:7]
	v_mov_b32_e32 v14, s10
	s_xor_b64 exec, exec, s[6:7]
	s_cbranch_execnz .LBB33_2624
.LBB33_574:
	s_or_b64 exec, exec, s[6:7]
	s_and_saveexec_b64 s[6:7], s[4:5]
	s_cbranch_execz .LBB33_576
.LBB33_575:
	v_bfe_u32 v14, v11, 24, 3
	v_ffbh_u32_e32 v22, v14
	v_min_u32_e32 v22, 32, v22
	v_lshrrev_b32_e32 v20, 27, v11
	v_subrev_u32_e32 v23, 28, v22
	v_and_b32_e32 v15, 0x80000000, v11
	v_and_b32_e32 v20, 15, v20
	v_bfe_u32 v21, v11, 27, 4
	v_lshlrev_b32_sdwa v11, v23, v11 dst_sel:DWORD dst_unused:UNUSED_PAD src0_sel:DWORD src1_sel:BYTE_3
	v_sub_u32_e32 v22, 29, v22
	v_and_b32_e32 v11, 7, v11
	v_cmp_eq_u16_e32 vcc, 0, v20
	v_cndmask_b32_e32 v11, v14, v11, vcc
	v_cndmask_b32_e32 v14, v21, v22, vcc
	v_mov_b32_e32 v20, 0x3b800000
	v_lshlrev_b32_e32 v11, 20, v11
	v_lshl_add_u32 v14, v14, 23, v20
	v_or3_b32 v14, v15, v14, v11
.LBB33_576:
	s_or_b64 exec, exec, s[6:7]
	s_nop 0
	v_mfma_f32_16x16x4f32 a[0:3], v10, v14, a[0:3]
	s_movk_i32 s4, 0x7f
	v_cmp_gt_i16_sdwa s[6:7], v16, s4 src0_sel:BYTE_0 src1_sel:DWORD
	s_mov_b64 s[4:5], 0
                                        ; implicit-def: $sgpr10
	s_and_saveexec_b64 s[8:9], s[6:7]
	s_xor_b64 s[6:7], exec, s[8:9]
	s_cbranch_execnz .LBB33_2625
; %bb.577:
	s_or_saveexec_b64 s[6:7], s[6:7]
	v_mov_b32_e32 v10, s10
	s_xor_b64 exec, exec, s[6:7]
	s_cbranch_execnz .LBB33_2628
.LBB33_578:
	s_or_b64 exec, exec, s[6:7]
	s_and_saveexec_b64 s[6:7], s[4:5]
	s_cbranch_execz .LBB33_580
.LBB33_579:
	v_and_b32_e32 v10, 7, v16
	v_ffbh_u32_e32 v14, v10
	v_min_u32_e32 v14, 32, v14
	v_lshrrev_b16_e32 v11, 3, v16
	v_subrev_u32_e32 v15, 28, v14
	v_and_b32_e32 v11, 15, v11
	v_lshlrev_b32_e32 v15, v15, v16
	v_sub_u32_e32 v14, 29, v14
	v_and_b32_e32 v15, 7, v15
	v_cmp_eq_u16_e32 vcc, 0, v11
	v_cndmask_b32_e32 v10, v10, v15, vcc
	v_cndmask_b32_e32 v11, v11, v14, vcc
	v_lshlrev_b32_e32 v14, 24, v16
	v_mov_b32_e32 v15, 0x3b800000
	v_lshlrev_b32_e32 v10, 20, v10
	v_and_b32_e32 v14, 0x80000000, v14
	v_lshl_add_u32 v11, v11, 23, v15
	v_or3_b32 v10, v14, v11, v10
.LBB33_580:
	s_or_b64 exec, exec, s[6:7]
	s_movk_i32 s4, 0x7f
	v_cmp_gt_i16_sdwa s[6:7], v12, s4 src0_sel:BYTE_0 src1_sel:DWORD
	s_mov_b64 s[4:5], 0
                                        ; implicit-def: $sgpr10
	s_and_saveexec_b64 s[8:9], s[6:7]
	s_xor_b64 s[6:7], exec, s[8:9]
	s_cbranch_execnz .LBB33_2629
; %bb.581:
	s_or_saveexec_b64 s[6:7], s[6:7]
	v_mov_b32_e32 v11, s10
	s_xor_b64 exec, exec, s[6:7]
	s_cbranch_execnz .LBB33_2632
.LBB33_582:
	s_or_b64 exec, exec, s[6:7]
	s_and_saveexec_b64 s[6:7], s[4:5]
	s_cbranch_execz .LBB33_584
.LBB33_583:
	v_and_b32_e32 v11, 7, v12
	v_ffbh_u32_e32 v15, v11
	v_min_u32_e32 v15, 32, v15
	v_lshrrev_b16_e32 v14, 3, v12
	v_subrev_u32_e32 v20, 28, v15
	v_and_b32_e32 v14, 15, v14
	v_lshlrev_b32_e32 v20, v20, v12
	v_sub_u32_e32 v15, 29, v15
	v_and_b32_e32 v20, 7, v20
	v_cmp_eq_u16_e32 vcc, 0, v14
	v_cndmask_b32_e32 v11, v11, v20, vcc
	v_cndmask_b32_e32 v14, v14, v15, vcc
	v_lshlrev_b32_e32 v15, 24, v12
	v_mov_b32_e32 v20, 0x3b800000
	v_lshlrev_b32_e32 v11, 20, v11
	v_and_b32_e32 v15, 0x80000000, v15
	v_lshl_add_u32 v14, v14, 23, v20
	v_or3_b32 v11, v15, v14, v11
.LBB33_584:
	s_or_b64 exec, exec, s[6:7]
	s_nop 0
	v_mfma_f32_16x16x4f32 a[0:3], v10, v11, a[0:3]
	v_lshrrev_b32_e32 v11, 8, v16
	s_movk_i32 s4, 0x7f
	v_cmp_gt_i16_sdwa s[6:7], v11, s4 src0_sel:BYTE_0 src1_sel:DWORD
	s_mov_b64 s[4:5], 0
                                        ; implicit-def: $sgpr10
	s_and_saveexec_b64 s[8:9], s[6:7]
	s_xor_b64 s[6:7], exec, s[8:9]
	s_cbranch_execnz .LBB33_2633
; %bb.585:
	s_or_saveexec_b64 s[6:7], s[6:7]
	v_mov_b32_e32 v10, s10
	s_xor_b64 exec, exec, s[6:7]
	s_cbranch_execnz .LBB33_2636
.LBB33_586:
	s_or_b64 exec, exec, s[6:7]
	s_and_saveexec_b64 s[6:7], s[4:5]
	s_cbranch_execz .LBB33_588
.LBB33_587:
	v_bfe_u32 v10, v16, 8, 3
	v_ffbh_u32_e32 v15, v10
	v_min_u32_e32 v15, 32, v15
	v_lshrrev_b16_e32 v14, 3, v11
	v_subrev_u32_e32 v20, 28, v15
	v_and_b32_e32 v14, 15, v14
	v_lshlrev_b32_e32 v11, v20, v11
	v_sub_u32_e32 v15, 29, v15
	v_and_b32_e32 v11, 7, v11
	v_cmp_eq_u16_e32 vcc, 0, v14
	v_cndmask_b32_e32 v10, v10, v11, vcc
	v_cndmask_b32_e32 v11, v14, v15, vcc
	v_lshlrev_b32_e32 v14, 16, v16
	v_mov_b32_e32 v15, 0x3b800000
	v_lshlrev_b32_e32 v10, 20, v10
	v_and_b32_e32 v14, 0x80000000, v14
	v_lshl_add_u32 v11, v11, 23, v15
	v_or3_b32 v10, v14, v11, v10
.LBB33_588:
	s_or_b64 exec, exec, s[6:7]
	v_lshrrev_b32_e32 v11, 8, v12
	s_movk_i32 s4, 0x7f
	v_cmp_gt_i16_sdwa s[6:7], v11, s4 src0_sel:BYTE_0 src1_sel:DWORD
	s_mov_b64 s[4:5], 0
                                        ; implicit-def: $sgpr10
	s_and_saveexec_b64 s[8:9], s[6:7]
	s_xor_b64 s[6:7], exec, s[8:9]
	s_cbranch_execnz .LBB33_2637
; %bb.589:
	s_or_saveexec_b64 s[6:7], s[6:7]
	v_mov_b32_e32 v14, s10
	s_xor_b64 exec, exec, s[6:7]
	s_cbranch_execnz .LBB33_2640
.LBB33_590:
	s_or_b64 exec, exec, s[6:7]
	s_and_saveexec_b64 s[6:7], s[4:5]
	s_cbranch_execz .LBB33_592
.LBB33_591:
	v_bfe_u32 v14, v12, 8, 3
	v_ffbh_u32_e32 v20, v14
	v_min_u32_e32 v20, 32, v20
	v_lshrrev_b16_e32 v15, 3, v11
	v_subrev_u32_e32 v21, 28, v20
	v_and_b32_e32 v15, 15, v15
	v_lshlrev_b32_e32 v11, v21, v11
	v_sub_u32_e32 v20, 29, v20
	v_and_b32_e32 v11, 7, v11
	v_cmp_eq_u16_e32 vcc, 0, v15
	v_cndmask_b32_e32 v11, v14, v11, vcc
	v_cndmask_b32_e32 v14, v15, v20, vcc
	v_lshlrev_b32_e32 v15, 16, v12
	v_mov_b32_e32 v20, 0x3b800000
	v_lshlrev_b32_e32 v11, 20, v11
	v_and_b32_e32 v15, 0x80000000, v15
	v_lshl_add_u32 v14, v14, 23, v20
	v_or3_b32 v14, v15, v14, v11
.LBB33_592:
	s_or_b64 exec, exec, s[6:7]
	s_nop 0
	v_mfma_f32_16x16x4f32 a[0:3], v10, v14, a[0:3]
	s_movk_i32 s4, 0xff
	v_and_b32_sdwa v11, v16, s4 dst_sel:DWORD dst_unused:UNUSED_PAD src0_sel:WORD_1 src1_sel:DWORD
	s_movk_i32 s4, 0x7f
	v_cmp_lt_i16_e32 vcc, s4, v11
	s_mov_b64 s[4:5], 0
                                        ; implicit-def: $sgpr10
	s_and_saveexec_b64 s[6:7], vcc
	s_xor_b64 s[6:7], exec, s[6:7]
	s_cbranch_execnz .LBB33_2641
; %bb.593:
	s_or_saveexec_b64 s[6:7], s[6:7]
	v_mov_b32_e32 v10, s10
	s_xor_b64 exec, exec, s[6:7]
	s_cbranch_execnz .LBB33_2644
.LBB33_594:
	s_or_b64 exec, exec, s[6:7]
	s_and_saveexec_b64 s[6:7], s[4:5]
	s_cbranch_execz .LBB33_596
.LBB33_595:
	v_bfe_u32 v10, v16, 16, 3
	v_ffbh_u32_e32 v15, v10
	v_min_u32_e32 v15, 32, v15
	v_lshrrev_b32_e32 v11, 19, v16
	v_subrev_u32_e32 v20, 28, v15
	v_and_b32_e32 v11, 15, v11
	v_lshlrev_b32_sdwa v20, v20, v16 dst_sel:DWORD dst_unused:UNUSED_PAD src0_sel:DWORD src1_sel:WORD_1
	v_bfe_u32 v14, v16, 19, 4
	v_sub_u32_e32 v15, 29, v15
	v_and_b32_e32 v20, 7, v20
	v_cmp_eq_u16_e32 vcc, 0, v11
	v_cndmask_b32_e32 v10, v10, v20, vcc
	v_cndmask_b32_e32 v11, v14, v15, vcc
	v_lshlrev_b32_e32 v14, 8, v16
	v_mov_b32_e32 v15, 0x3b800000
	v_lshlrev_b32_e32 v10, 20, v10
	v_and_b32_e32 v14, 0x80000000, v14
	v_lshl_add_u32 v11, v11, 23, v15
	v_or3_b32 v10, v14, v11, v10
.LBB33_596:
	s_or_b64 exec, exec, s[6:7]
	s_movk_i32 s4, 0xff
	v_and_b32_sdwa v11, v12, s4 dst_sel:DWORD dst_unused:UNUSED_PAD src0_sel:WORD_1 src1_sel:DWORD
	s_movk_i32 s4, 0x7f
	v_cmp_lt_i16_e32 vcc, s4, v11
	s_mov_b64 s[4:5], 0
                                        ; implicit-def: $sgpr10
	s_and_saveexec_b64 s[6:7], vcc
	s_xor_b64 s[6:7], exec, s[6:7]
	s_cbranch_execnz .LBB33_2645
; %bb.597:
	s_or_saveexec_b64 s[6:7], s[6:7]
	v_mov_b32_e32 v14, s10
	s_xor_b64 exec, exec, s[6:7]
	s_cbranch_execnz .LBB33_2648
.LBB33_598:
	s_or_b64 exec, exec, s[6:7]
	s_and_saveexec_b64 s[6:7], s[4:5]
	s_cbranch_execz .LBB33_600
.LBB33_599:
	v_bfe_u32 v11, v12, 16, 3
	v_ffbh_u32_e32 v20, v11
	v_min_u32_e32 v20, 32, v20
	v_lshrrev_b32_e32 v14, 19, v12
	v_subrev_u32_e32 v21, 28, v20
	v_and_b32_e32 v14, 15, v14
	v_lshlrev_b32_sdwa v21, v21, v12 dst_sel:DWORD dst_unused:UNUSED_PAD src0_sel:DWORD src1_sel:WORD_1
	v_bfe_u32 v15, v12, 19, 4
	v_sub_u32_e32 v20, 29, v20
	v_and_b32_e32 v21, 7, v21
	v_cmp_eq_u16_e32 vcc, 0, v14
	v_cndmask_b32_e32 v11, v11, v21, vcc
	v_cndmask_b32_e32 v14, v15, v20, vcc
	v_lshlrev_b32_e32 v15, 8, v12
	v_mov_b32_e32 v20, 0x3b800000
	v_lshlrev_b32_e32 v11, 20, v11
	v_and_b32_e32 v15, 0x80000000, v15
	v_lshl_add_u32 v14, v14, 23, v20
	v_or3_b32 v14, v15, v14, v11
.LBB33_600:
	s_or_b64 exec, exec, s[6:7]
	s_nop 0
	v_mfma_f32_16x16x4f32 a[0:3], v10, v14, a[0:3]
	s_movk_i32 s4, 0x7f
	v_cmp_gt_i16_sdwa s[6:7], v16, s4 src0_sel:BYTE_3 src1_sel:DWORD
	s_mov_b64 s[4:5], 0
                                        ; implicit-def: $sgpr10
	s_and_saveexec_b64 s[8:9], s[6:7]
	s_xor_b64 s[6:7], exec, s[8:9]
	s_cbranch_execnz .LBB33_2649
; %bb.601:
	s_or_saveexec_b64 s[6:7], s[6:7]
	v_mov_b32_e32 v10, s10
	s_xor_b64 exec, exec, s[6:7]
	s_cbranch_execnz .LBB33_2652
.LBB33_602:
	s_or_b64 exec, exec, s[6:7]
	s_and_saveexec_b64 s[6:7], s[4:5]
	s_cbranch_execz .LBB33_604
.LBB33_603:
	v_bfe_u32 v10, v16, 24, 3
	v_ffbh_u32_e32 v20, v10
	v_min_u32_e32 v20, 32, v20
	v_lshrrev_b32_e32 v14, 27, v16
	v_subrev_u32_e32 v21, 28, v20
	v_and_b32_e32 v11, 0x80000000, v16
	v_and_b32_e32 v14, 15, v14
	v_bfe_u32 v15, v16, 27, 4
	v_lshlrev_b32_sdwa v16, v21, v16 dst_sel:DWORD dst_unused:UNUSED_PAD src0_sel:DWORD src1_sel:BYTE_3
	v_sub_u32_e32 v20, 29, v20
	v_and_b32_e32 v16, 7, v16
	v_cmp_eq_u16_e32 vcc, 0, v14
	v_cndmask_b32_e32 v10, v10, v16, vcc
	v_cndmask_b32_e32 v14, v15, v20, vcc
	v_mov_b32_e32 v15, 0x3b800000
	v_lshlrev_b32_e32 v10, 20, v10
	v_lshl_add_u32 v14, v14, 23, v15
	v_or3_b32 v10, v11, v14, v10
.LBB33_604:
	s_or_b64 exec, exec, s[6:7]
	s_movk_i32 s4, 0x7f
	v_cmp_gt_i16_sdwa s[6:7], v12, s4 src0_sel:BYTE_3 src1_sel:DWORD
	s_mov_b64 s[4:5], 0
                                        ; implicit-def: $sgpr10
	s_and_saveexec_b64 s[8:9], s[6:7]
	s_xor_b64 s[6:7], exec, s[8:9]
	s_cbranch_execnz .LBB33_2653
; %bb.605:
	s_or_saveexec_b64 s[6:7], s[6:7]
	v_mov_b32_e32 v11, s10
	s_xor_b64 exec, exec, s[6:7]
	s_cbranch_execnz .LBB33_2656
.LBB33_606:
	s_or_b64 exec, exec, s[6:7]
	s_and_saveexec_b64 s[6:7], s[4:5]
	s_cbranch_execz .LBB33_608
.LBB33_607:
	v_bfe_u32 v11, v12, 24, 3
	v_ffbh_u32_e32 v20, v11
	v_min_u32_e32 v20, 32, v20
	v_lshrrev_b32_e32 v15, 27, v12
	v_subrev_u32_e32 v21, 28, v20
	v_and_b32_e32 v14, 0x80000000, v12
	v_and_b32_e32 v15, 15, v15
	v_bfe_u32 v16, v12, 27, 4
	v_lshlrev_b32_sdwa v12, v21, v12 dst_sel:DWORD dst_unused:UNUSED_PAD src0_sel:DWORD src1_sel:BYTE_3
	v_sub_u32_e32 v20, 29, v20
	v_and_b32_e32 v12, 7, v12
	v_cmp_eq_u16_e32 vcc, 0, v15
	v_cndmask_b32_e32 v11, v11, v12, vcc
	v_cndmask_b32_e32 v12, v16, v20, vcc
	v_mov_b32_e32 v15, 0x3b800000
	v_lshlrev_b32_e32 v11, 20, v11
	v_lshl_add_u32 v12, v12, 23, v15
	v_or3_b32 v11, v14, v12, v11
.LBB33_608:
	s_or_b64 exec, exec, s[6:7]
	s_nop 0
	v_mfma_f32_16x16x4f32 a[0:3], v10, v11, a[0:3]
	s_movk_i32 s4, 0x7f
	v_cmp_gt_i16_sdwa s[6:7], v17, s4 src0_sel:BYTE_0 src1_sel:DWORD
	s_mov_b64 s[4:5], 0
                                        ; implicit-def: $sgpr10
	s_and_saveexec_b64 s[8:9], s[6:7]
	s_xor_b64 s[6:7], exec, s[8:9]
	s_cbranch_execnz .LBB33_2657
; %bb.609:
	s_or_saveexec_b64 s[6:7], s[6:7]
	v_mov_b32_e32 v10, s10
	s_xor_b64 exec, exec, s[6:7]
	s_cbranch_execnz .LBB33_2660
.LBB33_610:
	s_or_b64 exec, exec, s[6:7]
	s_and_saveexec_b64 s[6:7], s[4:5]
	s_cbranch_execz .LBB33_612
.LBB33_611:
	v_and_b32_e32 v10, 7, v17
	v_ffbh_u32_e32 v12, v10
	v_min_u32_e32 v12, 32, v12
	v_lshrrev_b16_e32 v11, 3, v17
	v_subrev_u32_e32 v14, 28, v12
	v_and_b32_e32 v11, 15, v11
	v_lshlrev_b32_e32 v14, v14, v17
	v_sub_u32_e32 v12, 29, v12
	v_and_b32_e32 v14, 7, v14
	v_cmp_eq_u16_e32 vcc, 0, v11
	v_cndmask_b32_e32 v10, v10, v14, vcc
	v_cndmask_b32_e32 v11, v11, v12, vcc
	v_lshlrev_b32_e32 v12, 24, v17
	v_mov_b32_e32 v14, 0x3b800000
	v_lshlrev_b32_e32 v10, 20, v10
	v_and_b32_e32 v12, 0x80000000, v12
	v_lshl_add_u32 v11, v11, 23, v14
	v_or3_b32 v10, v12, v11, v10
.LBB33_612:
	s_or_b64 exec, exec, s[6:7]
	s_movk_i32 s4, 0x7f
	v_cmp_gt_i16_sdwa s[6:7], v13, s4 src0_sel:BYTE_0 src1_sel:DWORD
	s_mov_b64 s[4:5], 0
                                        ; implicit-def: $sgpr10
	s_and_saveexec_b64 s[8:9], s[6:7]
	s_xor_b64 s[6:7], exec, s[8:9]
	s_cbranch_execnz .LBB33_2661
; %bb.613:
	s_or_saveexec_b64 s[6:7], s[6:7]
	v_mov_b32_e32 v11, s10
	s_xor_b64 exec, exec, s[6:7]
	s_cbranch_execnz .LBB33_2664
.LBB33_614:
	s_or_b64 exec, exec, s[6:7]
	s_and_saveexec_b64 s[6:7], s[4:5]
	s_cbranch_execz .LBB33_616
.LBB33_615:
	v_and_b32_e32 v11, 7, v13
	v_ffbh_u32_e32 v14, v11
	v_min_u32_e32 v14, 32, v14
	v_lshrrev_b16_e32 v12, 3, v13
	v_subrev_u32_e32 v15, 28, v14
	v_and_b32_e32 v12, 15, v12
	v_lshlrev_b32_e32 v15, v15, v13
	v_sub_u32_e32 v14, 29, v14
	v_and_b32_e32 v15, 7, v15
	v_cmp_eq_u16_e32 vcc, 0, v12
	v_cndmask_b32_e32 v11, v11, v15, vcc
	v_cndmask_b32_e32 v12, v12, v14, vcc
	v_lshlrev_b32_e32 v14, 24, v13
	v_mov_b32_e32 v15, 0x3b800000
	v_lshlrev_b32_e32 v11, 20, v11
	v_and_b32_e32 v14, 0x80000000, v14
	v_lshl_add_u32 v12, v12, 23, v15
	v_or3_b32 v11, v14, v12, v11
.LBB33_616:
	s_or_b64 exec, exec, s[6:7]
	s_nop 0
	v_mfma_f32_16x16x4f32 a[0:3], v10, v11, a[0:3]
	v_lshrrev_b32_e32 v11, 8, v17
	s_movk_i32 s4, 0x7f
	v_cmp_gt_i16_sdwa s[6:7], v11, s4 src0_sel:BYTE_0 src1_sel:DWORD
	s_mov_b64 s[4:5], 0
                                        ; implicit-def: $sgpr10
	s_and_saveexec_b64 s[8:9], s[6:7]
	s_xor_b64 s[6:7], exec, s[8:9]
	s_cbranch_execnz .LBB33_2665
; %bb.617:
	s_or_saveexec_b64 s[6:7], s[6:7]
	v_mov_b32_e32 v10, s10
	s_xor_b64 exec, exec, s[6:7]
	s_cbranch_execnz .LBB33_2668
.LBB33_618:
	s_or_b64 exec, exec, s[6:7]
	s_and_saveexec_b64 s[6:7], s[4:5]
	s_cbranch_execz .LBB33_620
.LBB33_619:
	v_bfe_u32 v10, v17, 8, 3
	v_ffbh_u32_e32 v14, v10
	v_min_u32_e32 v14, 32, v14
	v_lshrrev_b16_e32 v12, 3, v11
	v_subrev_u32_e32 v15, 28, v14
	v_and_b32_e32 v12, 15, v12
	v_lshlrev_b32_e32 v11, v15, v11
	v_sub_u32_e32 v14, 29, v14
	v_and_b32_e32 v11, 7, v11
	v_cmp_eq_u16_e32 vcc, 0, v12
	v_cndmask_b32_e32 v10, v10, v11, vcc
	v_cndmask_b32_e32 v11, v12, v14, vcc
	v_lshlrev_b32_e32 v12, 16, v17
	v_mov_b32_e32 v14, 0x3b800000
	v_lshlrev_b32_e32 v10, 20, v10
	v_and_b32_e32 v12, 0x80000000, v12
	v_lshl_add_u32 v11, v11, 23, v14
	v_or3_b32 v10, v12, v11, v10
.LBB33_620:
	s_or_b64 exec, exec, s[6:7]
	v_lshrrev_b32_e32 v11, 8, v13
	s_movk_i32 s4, 0x7f
	v_cmp_gt_i16_sdwa s[6:7], v11, s4 src0_sel:BYTE_0 src1_sel:DWORD
	s_mov_b64 s[4:5], 0
                                        ; implicit-def: $sgpr10
	s_and_saveexec_b64 s[8:9], s[6:7]
	s_xor_b64 s[6:7], exec, s[8:9]
	s_cbranch_execnz .LBB33_2669
; %bb.621:
	s_or_saveexec_b64 s[6:7], s[6:7]
	v_mov_b32_e32 v12, s10
	s_xor_b64 exec, exec, s[6:7]
	s_cbranch_execnz .LBB33_2672
.LBB33_622:
	s_or_b64 exec, exec, s[6:7]
	s_and_saveexec_b64 s[6:7], s[4:5]
	s_cbranch_execz .LBB33_624
.LBB33_623:
	v_bfe_u32 v12, v13, 8, 3
	v_ffbh_u32_e32 v15, v12
	v_min_u32_e32 v15, 32, v15
	v_lshrrev_b16_e32 v14, 3, v11
	v_subrev_u32_e32 v16, 28, v15
	v_and_b32_e32 v14, 15, v14
	v_lshlrev_b32_e32 v11, v16, v11
	v_sub_u32_e32 v15, 29, v15
	v_and_b32_e32 v11, 7, v11
	v_cmp_eq_u16_e32 vcc, 0, v14
	v_cndmask_b32_e32 v11, v12, v11, vcc
	v_cndmask_b32_e32 v12, v14, v15, vcc
	v_lshlrev_b32_e32 v14, 16, v13
	v_mov_b32_e32 v15, 0x3b800000
	v_lshlrev_b32_e32 v11, 20, v11
	v_and_b32_e32 v14, 0x80000000, v14
	v_lshl_add_u32 v12, v12, 23, v15
	v_or3_b32 v12, v14, v12, v11
.LBB33_624:
	s_or_b64 exec, exec, s[6:7]
	s_nop 0
	v_mfma_f32_16x16x4f32 a[0:3], v10, v12, a[0:3]
	s_movk_i32 s4, 0xff
	v_and_b32_sdwa v11, v17, s4 dst_sel:DWORD dst_unused:UNUSED_PAD src0_sel:WORD_1 src1_sel:DWORD
	s_movk_i32 s4, 0x7f
	v_cmp_lt_i16_e32 vcc, s4, v11
	s_mov_b64 s[4:5], 0
                                        ; implicit-def: $sgpr10
	s_and_saveexec_b64 s[6:7], vcc
	s_xor_b64 s[6:7], exec, s[6:7]
	s_cbranch_execnz .LBB33_2673
; %bb.625:
	s_or_saveexec_b64 s[6:7], s[6:7]
	v_mov_b32_e32 v10, s10
	s_xor_b64 exec, exec, s[6:7]
	s_cbranch_execnz .LBB33_2676
.LBB33_626:
	s_or_b64 exec, exec, s[6:7]
	s_and_saveexec_b64 s[6:7], s[4:5]
	s_cbranch_execz .LBB33_628
.LBB33_627:
	v_bfe_u32 v10, v17, 16, 3
	v_ffbh_u32_e32 v14, v10
	v_min_u32_e32 v14, 32, v14
	v_lshrrev_b32_e32 v11, 19, v17
	v_subrev_u32_e32 v15, 28, v14
	v_and_b32_e32 v11, 15, v11
	v_lshlrev_b32_sdwa v15, v15, v17 dst_sel:DWORD dst_unused:UNUSED_PAD src0_sel:DWORD src1_sel:WORD_1
	v_bfe_u32 v12, v17, 19, 4
	v_sub_u32_e32 v14, 29, v14
	v_and_b32_e32 v15, 7, v15
	v_cmp_eq_u16_e32 vcc, 0, v11
	v_cndmask_b32_e32 v10, v10, v15, vcc
	v_cndmask_b32_e32 v11, v12, v14, vcc
	v_lshlrev_b32_e32 v12, 8, v17
	v_mov_b32_e32 v14, 0x3b800000
	v_lshlrev_b32_e32 v10, 20, v10
	v_and_b32_e32 v12, 0x80000000, v12
	v_lshl_add_u32 v11, v11, 23, v14
	v_or3_b32 v10, v12, v11, v10
.LBB33_628:
	s_or_b64 exec, exec, s[6:7]
	s_movk_i32 s4, 0xff
	v_and_b32_sdwa v11, v13, s4 dst_sel:DWORD dst_unused:UNUSED_PAD src0_sel:WORD_1 src1_sel:DWORD
	s_movk_i32 s4, 0x7f
	v_cmp_lt_i16_e32 vcc, s4, v11
	s_mov_b64 s[4:5], 0
                                        ; implicit-def: $sgpr10
	s_and_saveexec_b64 s[6:7], vcc
	s_xor_b64 s[6:7], exec, s[6:7]
	s_cbranch_execnz .LBB33_2677
; %bb.629:
	s_or_saveexec_b64 s[6:7], s[6:7]
	v_mov_b32_e32 v12, s10
	s_xor_b64 exec, exec, s[6:7]
	s_cbranch_execnz .LBB33_2680
.LBB33_630:
	s_or_b64 exec, exec, s[6:7]
	s_and_saveexec_b64 s[6:7], s[4:5]
	s_cbranch_execz .LBB33_632
.LBB33_631:
	v_bfe_u32 v11, v13, 16, 3
	v_ffbh_u32_e32 v15, v11
	v_min_u32_e32 v15, 32, v15
	v_lshrrev_b32_e32 v12, 19, v13
	v_subrev_u32_e32 v16, 28, v15
	v_and_b32_e32 v12, 15, v12
	v_lshlrev_b32_sdwa v16, v16, v13 dst_sel:DWORD dst_unused:UNUSED_PAD src0_sel:DWORD src1_sel:WORD_1
	v_bfe_u32 v14, v13, 19, 4
	v_sub_u32_e32 v15, 29, v15
	v_and_b32_e32 v16, 7, v16
	v_cmp_eq_u16_e32 vcc, 0, v12
	v_cndmask_b32_e32 v11, v11, v16, vcc
	v_cndmask_b32_e32 v12, v14, v15, vcc
	v_lshlrev_b32_e32 v14, 8, v13
	v_mov_b32_e32 v15, 0x3b800000
	v_lshlrev_b32_e32 v11, 20, v11
	v_and_b32_e32 v14, 0x80000000, v14
	v_lshl_add_u32 v12, v12, 23, v15
	v_or3_b32 v12, v14, v12, v11
.LBB33_632:
	s_or_b64 exec, exec, s[6:7]
	s_nop 0
	v_mfma_f32_16x16x4f32 a[0:3], v10, v12, a[0:3]
	s_movk_i32 s4, 0x7f
	v_cmp_gt_i16_sdwa s[6:7], v17, s4 src0_sel:BYTE_3 src1_sel:DWORD
	s_mov_b64 s[4:5], 0
                                        ; implicit-def: $sgpr10
	s_and_saveexec_b64 s[8:9], s[6:7]
	s_xor_b64 s[6:7], exec, s[8:9]
	s_cbranch_execnz .LBB33_2681
; %bb.633:
	s_or_saveexec_b64 s[6:7], s[6:7]
	v_mov_b32_e32 v10, s10
	s_xor_b64 exec, exec, s[6:7]
	s_cbranch_execnz .LBB33_2684
.LBB33_634:
	s_or_b64 exec, exec, s[6:7]
	s_and_saveexec_b64 s[6:7], s[4:5]
	s_cbranch_execz .LBB33_636
.LBB33_635:
	v_bfe_u32 v10, v17, 24, 3
	v_ffbh_u32_e32 v15, v10
	v_min_u32_e32 v15, 32, v15
	v_lshrrev_b32_e32 v12, 27, v17
	v_subrev_u32_e32 v16, 28, v15
	v_and_b32_e32 v12, 15, v12
	v_lshlrev_b32_sdwa v16, v16, v17 dst_sel:DWORD dst_unused:UNUSED_PAD src0_sel:DWORD src1_sel:BYTE_3
	v_bfe_u32 v14, v17, 27, 4
	v_sub_u32_e32 v15, 29, v15
	v_and_b32_e32 v16, 7, v16
	v_cmp_eq_u16_e32 vcc, 0, v12
	v_cndmask_b32_e32 v10, v10, v16, vcc
	v_cndmask_b32_e32 v12, v14, v15, vcc
	v_mov_b32_e32 v14, 0x3b800000
	v_and_b32_e32 v11, 0x80000000, v17
	v_lshlrev_b32_e32 v10, 20, v10
	v_lshl_add_u32 v12, v12, 23, v14
	v_or3_b32 v10, v11, v12, v10
.LBB33_636:
	s_or_b64 exec, exec, s[6:7]
	s_movk_i32 s4, 0x7f
	v_cmp_gt_i16_sdwa s[6:7], v13, s4 src0_sel:BYTE_3 src1_sel:DWORD
	s_mov_b64 s[4:5], 0
                                        ; implicit-def: $sgpr10
	s_and_saveexec_b64 s[8:9], s[6:7]
	s_xor_b64 s[6:7], exec, s[8:9]
	s_cbranch_execnz .LBB33_2685
; %bb.637:
	s_or_saveexec_b64 s[6:7], s[6:7]
	v_mov_b32_e32 v11, s10
	s_xor_b64 exec, exec, s[6:7]
	s_cbranch_execnz .LBB33_2688
.LBB33_638:
	s_or_b64 exec, exec, s[6:7]
	s_and_saveexec_b64 s[6:7], s[4:5]
	s_cbranch_execz .LBB33_640
.LBB33_639:
	v_bfe_u32 v11, v13, 24, 3
	v_ffbh_u32_e32 v16, v11
	v_min_u32_e32 v16, 32, v16
	v_lshrrev_b32_e32 v14, 27, v13
	v_subrev_u32_e32 v17, 28, v16
	v_and_b32_e32 v12, 0x80000000, v13
	v_and_b32_e32 v14, 15, v14
	v_bfe_u32 v15, v13, 27, 4
	v_lshlrev_b32_sdwa v13, v17, v13 dst_sel:DWORD dst_unused:UNUSED_PAD src0_sel:DWORD src1_sel:BYTE_3
	v_sub_u32_e32 v16, 29, v16
	v_and_b32_e32 v13, 7, v13
	v_cmp_eq_u16_e32 vcc, 0, v14
	v_cndmask_b32_e32 v11, v11, v13, vcc
	v_cndmask_b32_e32 v13, v15, v16, vcc
	v_mov_b32_e32 v14, 0x3b800000
	v_lshlrev_b32_e32 v11, 20, v11
	v_lshl_add_u32 v13, v13, 23, v14
	v_or3_b32 v11, v12, v13, v11
.LBB33_640:
	s_or_b64 exec, exec, s[6:7]
	s_nop 0
	v_mfma_f32_16x16x4f32 a[0:3], v10, v11, a[0:3]
	s_movk_i32 s4, 0x7f
	v_cmp_gt_i16_sdwa s[6:7], v6, s4 src0_sel:BYTE_0 src1_sel:DWORD
	s_mov_b64 s[4:5], 0
                                        ; implicit-def: $sgpr10
	s_and_saveexec_b64 s[8:9], s[6:7]
	s_xor_b64 s[6:7], exec, s[8:9]
	s_cbranch_execnz .LBB33_2689
; %bb.641:
	s_or_saveexec_b64 s[6:7], s[6:7]
	v_mov_b32_e32 v10, s10
	s_xor_b64 exec, exec, s[6:7]
	s_cbranch_execnz .LBB33_2692
.LBB33_642:
	s_or_b64 exec, exec, s[6:7]
	s_and_saveexec_b64 s[6:7], s[4:5]
	s_cbranch_execz .LBB33_644
.LBB33_643:
	v_and_b32_e32 v10, 7, v6
	v_ffbh_u32_e32 v12, v10
	v_min_u32_e32 v12, 32, v12
	v_lshrrev_b16_e32 v11, 3, v6
	v_subrev_u32_e32 v13, 28, v12
	v_and_b32_e32 v11, 15, v11
	v_lshlrev_b32_e32 v13, v13, v6
	v_sub_u32_e32 v12, 29, v12
	v_and_b32_e32 v13, 7, v13
	v_cmp_eq_u16_e32 vcc, 0, v11
	v_cndmask_b32_e32 v10, v10, v13, vcc
	v_cndmask_b32_e32 v11, v11, v12, vcc
	v_lshlrev_b32_e32 v12, 24, v6
	v_mov_b32_e32 v13, 0x3b800000
	v_lshlrev_b32_e32 v10, 20, v10
	v_and_b32_e32 v12, 0x80000000, v12
	v_lshl_add_u32 v11, v11, 23, v13
	v_or3_b32 v10, v12, v11, v10
.LBB33_644:
	s_or_b64 exec, exec, s[6:7]
	s_movk_i32 s4, 0x7f
	v_cmp_gt_i16_sdwa s[6:7], v2, s4 src0_sel:BYTE_0 src1_sel:DWORD
	s_mov_b64 s[4:5], 0
                                        ; implicit-def: $sgpr10
	s_and_saveexec_b64 s[8:9], s[6:7]
	s_xor_b64 s[6:7], exec, s[8:9]
	s_cbranch_execnz .LBB33_2693
; %bb.645:
	s_or_saveexec_b64 s[6:7], s[6:7]
	v_mov_b32_e32 v11, s10
	s_xor_b64 exec, exec, s[6:7]
	s_cbranch_execnz .LBB33_2696
.LBB33_646:
	s_or_b64 exec, exec, s[6:7]
	s_and_saveexec_b64 s[6:7], s[4:5]
	s_cbranch_execz .LBB33_648
.LBB33_647:
	v_and_b32_e32 v11, 7, v2
	v_ffbh_u32_e32 v13, v11
	v_min_u32_e32 v13, 32, v13
	v_lshrrev_b16_e32 v12, 3, v2
	v_subrev_u32_e32 v14, 28, v13
	v_and_b32_e32 v12, 15, v12
	v_lshlrev_b32_e32 v14, v14, v2
	v_sub_u32_e32 v13, 29, v13
	v_and_b32_e32 v14, 7, v14
	v_cmp_eq_u16_e32 vcc, 0, v12
	v_cndmask_b32_e32 v11, v11, v14, vcc
	v_cndmask_b32_e32 v12, v12, v13, vcc
	v_lshlrev_b32_e32 v13, 24, v2
	v_mov_b32_e32 v14, 0x3b800000
	v_lshlrev_b32_e32 v11, 20, v11
	v_and_b32_e32 v13, 0x80000000, v13
	v_lshl_add_u32 v12, v12, 23, v14
	v_or3_b32 v11, v13, v12, v11
.LBB33_648:
	s_or_b64 exec, exec, s[6:7]
	s_nop 0
	v_mfma_f32_16x16x4f32 a[0:3], v10, v11, a[0:3]
	v_lshrrev_b32_e32 v11, 8, v6
	s_movk_i32 s4, 0x7f
	v_cmp_gt_i16_sdwa s[6:7], v11, s4 src0_sel:BYTE_0 src1_sel:DWORD
	s_mov_b64 s[4:5], 0
                                        ; implicit-def: $sgpr10
	s_and_saveexec_b64 s[8:9], s[6:7]
	s_xor_b64 s[6:7], exec, s[8:9]
	s_cbranch_execnz .LBB33_2697
; %bb.649:
	s_or_saveexec_b64 s[6:7], s[6:7]
	v_mov_b32_e32 v10, s10
	s_xor_b64 exec, exec, s[6:7]
	s_cbranch_execnz .LBB33_2700
.LBB33_650:
	s_or_b64 exec, exec, s[6:7]
	s_and_saveexec_b64 s[6:7], s[4:5]
	s_cbranch_execz .LBB33_652
.LBB33_651:
	v_bfe_u32 v10, v6, 8, 3
	v_ffbh_u32_e32 v13, v10
	v_min_u32_e32 v13, 32, v13
	v_lshrrev_b16_e32 v12, 3, v11
	v_subrev_u32_e32 v14, 28, v13
	v_and_b32_e32 v12, 15, v12
	v_lshlrev_b32_e32 v11, v14, v11
	v_sub_u32_e32 v13, 29, v13
	v_and_b32_e32 v11, 7, v11
	v_cmp_eq_u16_e32 vcc, 0, v12
	v_cndmask_b32_e32 v10, v10, v11, vcc
	v_cndmask_b32_e32 v11, v12, v13, vcc
	v_lshlrev_b32_e32 v12, 16, v6
	v_mov_b32_e32 v13, 0x3b800000
	v_lshlrev_b32_e32 v10, 20, v10
	v_and_b32_e32 v12, 0x80000000, v12
	v_lshl_add_u32 v11, v11, 23, v13
	v_or3_b32 v10, v12, v11, v10
.LBB33_652:
	s_or_b64 exec, exec, s[6:7]
	v_lshrrev_b32_e32 v11, 8, v2
	s_movk_i32 s4, 0x7f
	v_cmp_gt_i16_sdwa s[6:7], v11, s4 src0_sel:BYTE_0 src1_sel:DWORD
	s_mov_b64 s[4:5], 0
                                        ; implicit-def: $sgpr10
	s_and_saveexec_b64 s[8:9], s[6:7]
	s_xor_b64 s[6:7], exec, s[8:9]
	s_cbranch_execnz .LBB33_2701
; %bb.653:
	s_or_saveexec_b64 s[6:7], s[6:7]
	v_mov_b32_e32 v12, s10
	s_xor_b64 exec, exec, s[6:7]
	s_cbranch_execnz .LBB33_2704
.LBB33_654:
	s_or_b64 exec, exec, s[6:7]
	s_and_saveexec_b64 s[6:7], s[4:5]
	s_cbranch_execz .LBB33_656
.LBB33_655:
	v_bfe_u32 v12, v2, 8, 3
	v_ffbh_u32_e32 v14, v12
	v_min_u32_e32 v14, 32, v14
	v_lshrrev_b16_e32 v13, 3, v11
	v_subrev_u32_e32 v15, 28, v14
	v_and_b32_e32 v13, 15, v13
	v_lshlrev_b32_e32 v11, v15, v11
	v_sub_u32_e32 v14, 29, v14
	v_and_b32_e32 v11, 7, v11
	v_cmp_eq_u16_e32 vcc, 0, v13
	v_cndmask_b32_e32 v11, v12, v11, vcc
	v_cndmask_b32_e32 v12, v13, v14, vcc
	v_lshlrev_b32_e32 v13, 16, v2
	v_mov_b32_e32 v14, 0x3b800000
	v_lshlrev_b32_e32 v11, 20, v11
	v_and_b32_e32 v13, 0x80000000, v13
	v_lshl_add_u32 v12, v12, 23, v14
	v_or3_b32 v12, v13, v12, v11
.LBB33_656:
	s_or_b64 exec, exec, s[6:7]
	s_nop 0
	v_mfma_f32_16x16x4f32 a[0:3], v10, v12, a[0:3]
	s_movk_i32 s4, 0xff
	v_and_b32_sdwa v11, v6, s4 dst_sel:DWORD dst_unused:UNUSED_PAD src0_sel:WORD_1 src1_sel:DWORD
	s_movk_i32 s4, 0x7f
	v_cmp_lt_i16_e32 vcc, s4, v11
	s_mov_b64 s[4:5], 0
                                        ; implicit-def: $sgpr10
	s_and_saveexec_b64 s[6:7], vcc
	s_xor_b64 s[6:7], exec, s[6:7]
	s_cbranch_execnz .LBB33_2705
; %bb.657:
	s_or_saveexec_b64 s[6:7], s[6:7]
	v_mov_b32_e32 v10, s10
	s_xor_b64 exec, exec, s[6:7]
	s_cbranch_execnz .LBB33_2708
.LBB33_658:
	s_or_b64 exec, exec, s[6:7]
	s_and_saveexec_b64 s[6:7], s[4:5]
	s_cbranch_execz .LBB33_660
.LBB33_659:
	v_bfe_u32 v10, v6, 16, 3
	v_ffbh_u32_e32 v13, v10
	v_min_u32_e32 v13, 32, v13
	v_lshrrev_b32_e32 v11, 19, v6
	v_subrev_u32_e32 v14, 28, v13
	v_and_b32_e32 v11, 15, v11
	v_lshlrev_b32_sdwa v14, v14, v6 dst_sel:DWORD dst_unused:UNUSED_PAD src0_sel:DWORD src1_sel:WORD_1
	v_bfe_u32 v12, v6, 19, 4
	v_sub_u32_e32 v13, 29, v13
	v_and_b32_e32 v14, 7, v14
	v_cmp_eq_u16_e32 vcc, 0, v11
	v_cndmask_b32_e32 v10, v10, v14, vcc
	v_cndmask_b32_e32 v11, v12, v13, vcc
	v_lshlrev_b32_e32 v12, 8, v6
	v_mov_b32_e32 v13, 0x3b800000
	v_lshlrev_b32_e32 v10, 20, v10
	v_and_b32_e32 v12, 0x80000000, v12
	v_lshl_add_u32 v11, v11, 23, v13
	v_or3_b32 v10, v12, v11, v10
.LBB33_660:
	s_or_b64 exec, exec, s[6:7]
	s_movk_i32 s4, 0xff
	v_and_b32_sdwa v11, v2, s4 dst_sel:DWORD dst_unused:UNUSED_PAD src0_sel:WORD_1 src1_sel:DWORD
	s_movk_i32 s4, 0x7f
	v_cmp_lt_i16_e32 vcc, s4, v11
	s_mov_b64 s[4:5], 0
                                        ; implicit-def: $sgpr10
	s_and_saveexec_b64 s[6:7], vcc
	s_xor_b64 s[6:7], exec, s[6:7]
	s_cbranch_execnz .LBB33_2709
; %bb.661:
	s_or_saveexec_b64 s[6:7], s[6:7]
	v_mov_b32_e32 v12, s10
	s_xor_b64 exec, exec, s[6:7]
	s_cbranch_execnz .LBB33_2712
.LBB33_662:
	s_or_b64 exec, exec, s[6:7]
	s_and_saveexec_b64 s[6:7], s[4:5]
	s_cbranch_execz .LBB33_664
.LBB33_663:
	v_bfe_u32 v11, v2, 16, 3
	v_ffbh_u32_e32 v14, v11
	v_min_u32_e32 v14, 32, v14
	v_lshrrev_b32_e32 v12, 19, v2
	v_subrev_u32_e32 v15, 28, v14
	v_and_b32_e32 v12, 15, v12
	v_lshlrev_b32_sdwa v15, v15, v2 dst_sel:DWORD dst_unused:UNUSED_PAD src0_sel:DWORD src1_sel:WORD_1
	v_bfe_u32 v13, v2, 19, 4
	v_sub_u32_e32 v14, 29, v14
	v_and_b32_e32 v15, 7, v15
	v_cmp_eq_u16_e32 vcc, 0, v12
	v_cndmask_b32_e32 v11, v11, v15, vcc
	v_cndmask_b32_e32 v12, v13, v14, vcc
	v_lshlrev_b32_e32 v13, 8, v2
	v_mov_b32_e32 v14, 0x3b800000
	v_lshlrev_b32_e32 v11, 20, v11
	v_and_b32_e32 v13, 0x80000000, v13
	v_lshl_add_u32 v12, v12, 23, v14
	v_or3_b32 v12, v13, v12, v11
.LBB33_664:
	s_or_b64 exec, exec, s[6:7]
	s_nop 0
	v_mfma_f32_16x16x4f32 a[0:3], v10, v12, a[0:3]
	s_movk_i32 s4, 0x7f
	v_cmp_gt_i16_sdwa s[6:7], v6, s4 src0_sel:BYTE_3 src1_sel:DWORD
	s_mov_b64 s[4:5], 0
                                        ; implicit-def: $sgpr10
	s_and_saveexec_b64 s[8:9], s[6:7]
	s_xor_b64 s[6:7], exec, s[8:9]
	s_cbranch_execnz .LBB33_2713
; %bb.665:
	s_or_saveexec_b64 s[6:7], s[6:7]
	v_mov_b32_e32 v10, s10
	s_xor_b64 exec, exec, s[6:7]
	s_cbranch_execnz .LBB33_2716
.LBB33_666:
	s_or_b64 exec, exec, s[6:7]
	s_and_saveexec_b64 s[6:7], s[4:5]
	s_cbranch_execz .LBB33_668
.LBB33_667:
	v_bfe_u32 v10, v6, 24, 3
	v_ffbh_u32_e32 v14, v10
	v_min_u32_e32 v14, 32, v14
	v_lshrrev_b32_e32 v12, 27, v6
	v_subrev_u32_e32 v15, 28, v14
	v_and_b32_e32 v11, 0x80000000, v6
	v_and_b32_e32 v12, 15, v12
	v_bfe_u32 v13, v6, 27, 4
	v_lshlrev_b32_sdwa v6, v15, v6 dst_sel:DWORD dst_unused:UNUSED_PAD src0_sel:DWORD src1_sel:BYTE_3
	v_sub_u32_e32 v14, 29, v14
	v_and_b32_e32 v6, 7, v6
	v_cmp_eq_u16_e32 vcc, 0, v12
	v_cndmask_b32_e32 v6, v10, v6, vcc
	v_cndmask_b32_e32 v10, v13, v14, vcc
	v_mov_b32_e32 v12, 0x3b800000
	v_lshlrev_b32_e32 v6, 20, v6
	v_lshl_add_u32 v10, v10, 23, v12
	v_or3_b32 v10, v11, v10, v6
.LBB33_668:
	s_or_b64 exec, exec, s[6:7]
	s_movk_i32 s4, 0x7f
	v_cmp_gt_i16_sdwa s[6:7], v2, s4 src0_sel:BYTE_3 src1_sel:DWORD
	s_mov_b64 s[4:5], 0
                                        ; implicit-def: $sgpr10
	s_and_saveexec_b64 s[8:9], s[6:7]
	s_xor_b64 s[6:7], exec, s[8:9]
	s_cbranch_execnz .LBB33_2717
; %bb.669:
	s_or_saveexec_b64 s[6:7], s[6:7]
	v_mov_b32_e32 v6, s10
	s_xor_b64 exec, exec, s[6:7]
	s_cbranch_execnz .LBB33_2720
.LBB33_670:
	s_or_b64 exec, exec, s[6:7]
	s_and_saveexec_b64 s[6:7], s[4:5]
	s_cbranch_execz .LBB33_672
.LBB33_671:
	v_bfe_u32 v6, v2, 24, 3
	v_ffbh_u32_e32 v14, v6
	v_min_u32_e32 v14, 32, v14
	v_lshrrev_b32_e32 v12, 27, v2
	v_subrev_u32_e32 v15, 28, v14
	v_and_b32_e32 v11, 0x80000000, v2
	v_and_b32_e32 v12, 15, v12
	v_bfe_u32 v13, v2, 27, 4
	v_lshlrev_b32_sdwa v2, v15, v2 dst_sel:DWORD dst_unused:UNUSED_PAD src0_sel:DWORD src1_sel:BYTE_3
	v_sub_u32_e32 v14, 29, v14
	v_and_b32_e32 v2, 7, v2
	v_cmp_eq_u16_e32 vcc, 0, v12
	v_cndmask_b32_e32 v2, v6, v2, vcc
	v_cndmask_b32_e32 v6, v13, v14, vcc
	v_mov_b32_e32 v12, 0x3b800000
	v_lshlrev_b32_e32 v2, 20, v2
	v_lshl_add_u32 v6, v6, 23, v12
	v_or3_b32 v6, v11, v6, v2
.LBB33_672:
	s_or_b64 exec, exec, s[6:7]
	s_nop 0
	v_mfma_f32_16x16x4f32 a[0:3], v10, v6, a[0:3]
	s_movk_i32 s4, 0x7f
	v_cmp_gt_i16_sdwa s[6:7], v7, s4 src0_sel:BYTE_0 src1_sel:DWORD
	s_mov_b64 s[4:5], 0
                                        ; implicit-def: $sgpr10
	s_and_saveexec_b64 s[8:9], s[6:7]
	s_xor_b64 s[6:7], exec, s[8:9]
	s_cbranch_execnz .LBB33_2721
; %bb.673:
	s_or_saveexec_b64 s[6:7], s[6:7]
	v_mov_b32_e32 v2, s10
	s_xor_b64 exec, exec, s[6:7]
	s_cbranch_execnz .LBB33_2724
.LBB33_674:
	s_or_b64 exec, exec, s[6:7]
	s_and_saveexec_b64 s[6:7], s[4:5]
	s_cbranch_execz .LBB33_676
.LBB33_675:
	v_and_b32_e32 v2, 7, v7
	v_ffbh_u32_e32 v10, v2
	v_min_u32_e32 v10, 32, v10
	v_lshrrev_b16_e32 v6, 3, v7
	v_subrev_u32_e32 v11, 28, v10
	v_and_b32_e32 v6, 15, v6
	v_lshlrev_b32_e32 v11, v11, v7
	v_sub_u32_e32 v10, 29, v10
	v_and_b32_e32 v11, 7, v11
	v_cmp_eq_u16_e32 vcc, 0, v6
	v_cndmask_b32_e32 v2, v2, v11, vcc
	v_cndmask_b32_e32 v6, v6, v10, vcc
	v_lshlrev_b32_e32 v10, 24, v7
	v_mov_b32_e32 v11, 0x3b800000
	v_lshlrev_b32_e32 v2, 20, v2
	v_and_b32_e32 v10, 0x80000000, v10
	v_lshl_add_u32 v6, v6, 23, v11
	v_or3_b32 v2, v10, v6, v2
.LBB33_676:
	s_or_b64 exec, exec, s[6:7]
	s_movk_i32 s4, 0x7f
	v_cmp_gt_i16_sdwa s[6:7], v3, s4 src0_sel:BYTE_0 src1_sel:DWORD
	s_mov_b64 s[4:5], 0
                                        ; implicit-def: $sgpr10
	s_and_saveexec_b64 s[8:9], s[6:7]
	s_xor_b64 s[6:7], exec, s[8:9]
	s_cbranch_execnz .LBB33_2725
; %bb.677:
	s_or_saveexec_b64 s[6:7], s[6:7]
	v_mov_b32_e32 v6, s10
	s_xor_b64 exec, exec, s[6:7]
	s_cbranch_execnz .LBB33_2728
.LBB33_678:
	s_or_b64 exec, exec, s[6:7]
	s_and_saveexec_b64 s[6:7], s[4:5]
	s_cbranch_execz .LBB33_680
.LBB33_679:
	v_and_b32_e32 v6, 7, v3
	v_ffbh_u32_e32 v11, v6
	v_min_u32_e32 v11, 32, v11
	v_lshrrev_b16_e32 v10, 3, v3
	v_subrev_u32_e32 v12, 28, v11
	v_and_b32_e32 v10, 15, v10
	v_lshlrev_b32_e32 v12, v12, v3
	v_sub_u32_e32 v11, 29, v11
	v_and_b32_e32 v12, 7, v12
	v_cmp_eq_u16_e32 vcc, 0, v10
	v_cndmask_b32_e32 v6, v6, v12, vcc
	v_cndmask_b32_e32 v10, v10, v11, vcc
	v_lshlrev_b32_e32 v11, 24, v3
	v_mov_b32_e32 v12, 0x3b800000
	v_lshlrev_b32_e32 v6, 20, v6
	v_and_b32_e32 v11, 0x80000000, v11
	v_lshl_add_u32 v10, v10, 23, v12
	v_or3_b32 v6, v11, v10, v6
.LBB33_680:
	s_or_b64 exec, exec, s[6:7]
	s_nop 0
	v_mfma_f32_16x16x4f32 a[0:3], v2, v6, a[0:3]
	v_lshrrev_b32_e32 v6, 8, v7
	s_movk_i32 s4, 0x7f
	v_cmp_gt_i16_sdwa s[6:7], v6, s4 src0_sel:BYTE_0 src1_sel:DWORD
	s_mov_b64 s[4:5], 0
                                        ; implicit-def: $sgpr10
	s_and_saveexec_b64 s[8:9], s[6:7]
	s_xor_b64 s[6:7], exec, s[8:9]
	s_cbranch_execnz .LBB33_2729
; %bb.681:
	s_or_saveexec_b64 s[6:7], s[6:7]
	v_mov_b32_e32 v2, s10
	s_xor_b64 exec, exec, s[6:7]
	s_cbranch_execnz .LBB33_2732
.LBB33_682:
	s_or_b64 exec, exec, s[6:7]
	s_and_saveexec_b64 s[6:7], s[4:5]
	s_cbranch_execz .LBB33_684
.LBB33_683:
	v_bfe_u32 v2, v7, 8, 3
	v_ffbh_u32_e32 v11, v2
	v_min_u32_e32 v11, 32, v11
	v_lshrrev_b16_e32 v10, 3, v6
	v_subrev_u32_e32 v12, 28, v11
	v_and_b32_e32 v10, 15, v10
	v_lshlrev_b32_e32 v6, v12, v6
	v_sub_u32_e32 v11, 29, v11
	v_and_b32_e32 v6, 7, v6
	v_cmp_eq_u16_e32 vcc, 0, v10
	v_cndmask_b32_e32 v2, v2, v6, vcc
	v_cndmask_b32_e32 v6, v10, v11, vcc
	v_lshlrev_b32_e32 v10, 16, v7
	v_mov_b32_e32 v11, 0x3b800000
	v_lshlrev_b32_e32 v2, 20, v2
	v_and_b32_e32 v10, 0x80000000, v10
	v_lshl_add_u32 v6, v6, 23, v11
	v_or3_b32 v2, v10, v6, v2
.LBB33_684:
	s_or_b64 exec, exec, s[6:7]
	v_lshrrev_b32_e32 v6, 8, v3
	s_movk_i32 s4, 0x7f
	v_cmp_gt_i16_sdwa s[6:7], v6, s4 src0_sel:BYTE_0 src1_sel:DWORD
	s_mov_b64 s[4:5], 0
                                        ; implicit-def: $sgpr10
	s_and_saveexec_b64 s[8:9], s[6:7]
	s_xor_b64 s[6:7], exec, s[8:9]
	s_cbranch_execnz .LBB33_2733
; %bb.685:
	s_or_saveexec_b64 s[6:7], s[6:7]
	v_mov_b32_e32 v10, s10
	s_xor_b64 exec, exec, s[6:7]
	s_cbranch_execnz .LBB33_2736
.LBB33_686:
	s_or_b64 exec, exec, s[6:7]
	s_and_saveexec_b64 s[6:7], s[4:5]
	s_cbranch_execz .LBB33_688
.LBB33_687:
	v_bfe_u32 v10, v3, 8, 3
	v_ffbh_u32_e32 v12, v10
	v_min_u32_e32 v12, 32, v12
	v_lshrrev_b16_e32 v11, 3, v6
	v_subrev_u32_e32 v13, 28, v12
	v_and_b32_e32 v11, 15, v11
	v_lshlrev_b32_e32 v6, v13, v6
	v_sub_u32_e32 v12, 29, v12
	v_and_b32_e32 v6, 7, v6
	v_cmp_eq_u16_e32 vcc, 0, v11
	v_cndmask_b32_e32 v6, v10, v6, vcc
	v_cndmask_b32_e32 v10, v11, v12, vcc
	v_lshlrev_b32_e32 v11, 16, v3
	v_mov_b32_e32 v12, 0x3b800000
	v_lshlrev_b32_e32 v6, 20, v6
	v_and_b32_e32 v11, 0x80000000, v11
	v_lshl_add_u32 v10, v10, 23, v12
	v_or3_b32 v10, v11, v10, v6
.LBB33_688:
	s_or_b64 exec, exec, s[6:7]
	s_nop 0
	v_mfma_f32_16x16x4f32 a[0:3], v2, v10, a[0:3]
	s_movk_i32 s4, 0xff
	v_and_b32_sdwa v6, v7, s4 dst_sel:DWORD dst_unused:UNUSED_PAD src0_sel:WORD_1 src1_sel:DWORD
	s_movk_i32 s4, 0x7f
	v_cmp_lt_i16_e32 vcc, s4, v6
	s_mov_b64 s[4:5], 0
                                        ; implicit-def: $sgpr10
	s_and_saveexec_b64 s[6:7], vcc
	s_xor_b64 s[6:7], exec, s[6:7]
	s_cbranch_execnz .LBB33_2737
; %bb.689:
	s_or_saveexec_b64 s[6:7], s[6:7]
	v_mov_b32_e32 v2, s10
	s_xor_b64 exec, exec, s[6:7]
	s_cbranch_execnz .LBB33_2740
.LBB33_690:
	s_or_b64 exec, exec, s[6:7]
	s_and_saveexec_b64 s[6:7], s[4:5]
	s_cbranch_execz .LBB33_692
.LBB33_691:
	v_bfe_u32 v2, v7, 16, 3
	v_ffbh_u32_e32 v11, v2
	v_min_u32_e32 v11, 32, v11
	v_lshrrev_b32_e32 v6, 19, v7
	v_subrev_u32_e32 v12, 28, v11
	v_and_b32_e32 v6, 15, v6
	v_lshlrev_b32_sdwa v12, v12, v7 dst_sel:DWORD dst_unused:UNUSED_PAD src0_sel:DWORD src1_sel:WORD_1
	v_bfe_u32 v10, v7, 19, 4
	v_sub_u32_e32 v11, 29, v11
	v_and_b32_e32 v12, 7, v12
	v_cmp_eq_u16_e32 vcc, 0, v6
	v_cndmask_b32_e32 v2, v2, v12, vcc
	v_cndmask_b32_e32 v6, v10, v11, vcc
	v_lshlrev_b32_e32 v10, 8, v7
	v_mov_b32_e32 v11, 0x3b800000
	v_lshlrev_b32_e32 v2, 20, v2
	v_and_b32_e32 v10, 0x80000000, v10
	v_lshl_add_u32 v6, v6, 23, v11
	v_or3_b32 v2, v10, v6, v2
.LBB33_692:
	s_or_b64 exec, exec, s[6:7]
	s_movk_i32 s4, 0xff
	v_and_b32_sdwa v6, v3, s4 dst_sel:DWORD dst_unused:UNUSED_PAD src0_sel:WORD_1 src1_sel:DWORD
	s_movk_i32 s4, 0x7f
	v_cmp_lt_i16_e32 vcc, s4, v6
	s_mov_b64 s[4:5], 0
                                        ; implicit-def: $sgpr10
	s_and_saveexec_b64 s[6:7], vcc
	s_xor_b64 s[6:7], exec, s[6:7]
	s_cbranch_execnz .LBB33_2741
; %bb.693:
	s_or_saveexec_b64 s[6:7], s[6:7]
	v_mov_b32_e32 v10, s10
	s_xor_b64 exec, exec, s[6:7]
	s_cbranch_execnz .LBB33_2744
.LBB33_694:
	s_or_b64 exec, exec, s[6:7]
	s_and_saveexec_b64 s[6:7], s[4:5]
	s_cbranch_execz .LBB33_696
.LBB33_695:
	v_bfe_u32 v6, v3, 16, 3
	v_ffbh_u32_e32 v12, v6
	v_min_u32_e32 v12, 32, v12
	v_lshrrev_b32_e32 v10, 19, v3
	v_subrev_u32_e32 v13, 28, v12
	v_and_b32_e32 v10, 15, v10
	v_lshlrev_b32_sdwa v13, v13, v3 dst_sel:DWORD dst_unused:UNUSED_PAD src0_sel:DWORD src1_sel:WORD_1
	v_bfe_u32 v11, v3, 19, 4
	v_sub_u32_e32 v12, 29, v12
	v_and_b32_e32 v13, 7, v13
	v_cmp_eq_u16_e32 vcc, 0, v10
	v_cndmask_b32_e32 v6, v6, v13, vcc
	v_cndmask_b32_e32 v10, v11, v12, vcc
	v_lshlrev_b32_e32 v11, 8, v3
	v_mov_b32_e32 v12, 0x3b800000
	v_lshlrev_b32_e32 v6, 20, v6
	v_and_b32_e32 v11, 0x80000000, v11
	v_lshl_add_u32 v10, v10, 23, v12
	v_or3_b32 v10, v11, v10, v6
.LBB33_696:
	s_or_b64 exec, exec, s[6:7]
	s_nop 0
	v_mfma_f32_16x16x4f32 a[0:3], v2, v10, a[0:3]
	s_movk_i32 s4, 0x7f
	v_cmp_gt_i16_sdwa s[6:7], v7, s4 src0_sel:BYTE_3 src1_sel:DWORD
	s_mov_b64 s[4:5], 0
                                        ; implicit-def: $sgpr10
	s_and_saveexec_b64 s[8:9], s[6:7]
	s_xor_b64 s[6:7], exec, s[8:9]
	s_cbranch_execnz .LBB33_2745
; %bb.697:
	s_or_saveexec_b64 s[6:7], s[6:7]
	v_mov_b32_e32 v2, s10
	s_xor_b64 exec, exec, s[6:7]
	s_cbranch_execnz .LBB33_2748
.LBB33_698:
	s_or_b64 exec, exec, s[6:7]
	s_and_saveexec_b64 s[6:7], s[4:5]
	s_cbranch_execz .LBB33_700
.LBB33_699:
	v_bfe_u32 v2, v7, 24, 3
	v_ffbh_u32_e32 v12, v2
	v_min_u32_e32 v12, 32, v12
	v_lshrrev_b32_e32 v10, 27, v7
	v_subrev_u32_e32 v13, 28, v12
	v_and_b32_e32 v6, 0x80000000, v7
	v_and_b32_e32 v10, 15, v10
	v_bfe_u32 v11, v7, 27, 4
	v_lshlrev_b32_sdwa v7, v13, v7 dst_sel:DWORD dst_unused:UNUSED_PAD src0_sel:DWORD src1_sel:BYTE_3
	v_sub_u32_e32 v12, 29, v12
	v_and_b32_e32 v7, 7, v7
	v_cmp_eq_u16_e32 vcc, 0, v10
	v_cndmask_b32_e32 v2, v2, v7, vcc
	v_cndmask_b32_e32 v7, v11, v12, vcc
	v_mov_b32_e32 v10, 0x3b800000
	v_lshlrev_b32_e32 v2, 20, v2
	v_lshl_add_u32 v7, v7, 23, v10
	v_or3_b32 v2, v6, v7, v2
.LBB33_700:
	s_or_b64 exec, exec, s[6:7]
	s_movk_i32 s4, 0x7f
	v_cmp_gt_i16_sdwa s[6:7], v3, s4 src0_sel:BYTE_3 src1_sel:DWORD
	s_mov_b64 s[4:5], 0
                                        ; implicit-def: $sgpr10
	s_and_saveexec_b64 s[8:9], s[6:7]
	s_xor_b64 s[6:7], exec, s[8:9]
	s_cbranch_execnz .LBB33_2749
; %bb.701:
	s_or_saveexec_b64 s[6:7], s[6:7]
	v_mov_b32_e32 v6, s10
	s_xor_b64 exec, exec, s[6:7]
	s_cbranch_execnz .LBB33_2752
.LBB33_702:
	s_or_b64 exec, exec, s[6:7]
	s_and_saveexec_b64 s[6:7], s[4:5]
	s_cbranch_execz .LBB33_704
.LBB33_703:
	v_bfe_u32 v6, v3, 24, 3
	v_ffbh_u32_e32 v12, v6
	v_min_u32_e32 v12, 32, v12
	v_lshrrev_b32_e32 v10, 27, v3
	v_subrev_u32_e32 v13, 28, v12
	v_and_b32_e32 v7, 0x80000000, v3
	v_and_b32_e32 v10, 15, v10
	v_bfe_u32 v11, v3, 27, 4
	v_lshlrev_b32_sdwa v3, v13, v3 dst_sel:DWORD dst_unused:UNUSED_PAD src0_sel:DWORD src1_sel:BYTE_3
	v_sub_u32_e32 v12, 29, v12
	v_and_b32_e32 v3, 7, v3
	v_cmp_eq_u16_e32 vcc, 0, v10
	v_cndmask_b32_e32 v3, v6, v3, vcc
	v_cndmask_b32_e32 v6, v11, v12, vcc
	v_mov_b32_e32 v10, 0x3b800000
	v_lshlrev_b32_e32 v3, 20, v3
	v_lshl_add_u32 v6, v6, 23, v10
	v_or3_b32 v6, v7, v6, v3
.LBB33_704:
	s_or_b64 exec, exec, s[6:7]
	s_nop 0
	v_mfma_f32_16x16x4f32 a[0:3], v2, v6, a[0:3]
	s_movk_i32 s4, 0x7f
	v_cmp_gt_i16_sdwa s[6:7], v8, s4 src0_sel:BYTE_0 src1_sel:DWORD
	s_mov_b64 s[4:5], 0
                                        ; implicit-def: $sgpr10
	s_and_saveexec_b64 s[8:9], s[6:7]
	s_xor_b64 s[6:7], exec, s[8:9]
	s_cbranch_execnz .LBB33_2753
; %bb.705:
	s_or_saveexec_b64 s[6:7], s[6:7]
	v_mov_b32_e32 v2, s10
	s_xor_b64 exec, exec, s[6:7]
	s_cbranch_execnz .LBB33_2756
.LBB33_706:
	s_or_b64 exec, exec, s[6:7]
	s_and_saveexec_b64 s[6:7], s[4:5]
	s_cbranch_execz .LBB33_708
.LBB33_707:
	v_and_b32_e32 v2, 7, v8
	v_ffbh_u32_e32 v6, v2
	v_min_u32_e32 v6, 32, v6
	v_lshrrev_b16_e32 v3, 3, v8
	v_subrev_u32_e32 v7, 28, v6
	v_and_b32_e32 v3, 15, v3
	v_lshlrev_b32_e32 v7, v7, v8
	v_sub_u32_e32 v6, 29, v6
	v_and_b32_e32 v7, 7, v7
	v_cmp_eq_u16_e32 vcc, 0, v3
	v_cndmask_b32_e32 v2, v2, v7, vcc
	v_cndmask_b32_e32 v3, v3, v6, vcc
	v_lshlrev_b32_e32 v6, 24, v8
	v_mov_b32_e32 v7, 0x3b800000
	v_lshlrev_b32_e32 v2, 20, v2
	v_and_b32_e32 v6, 0x80000000, v6
	v_lshl_add_u32 v3, v3, 23, v7
	v_or3_b32 v2, v6, v3, v2
.LBB33_708:
	s_or_b64 exec, exec, s[6:7]
	s_movk_i32 s4, 0x7f
	v_cmp_gt_i16_sdwa s[6:7], v4, s4 src0_sel:BYTE_0 src1_sel:DWORD
	s_mov_b64 s[4:5], 0
                                        ; implicit-def: $sgpr10
	s_and_saveexec_b64 s[8:9], s[6:7]
	s_xor_b64 s[6:7], exec, s[8:9]
	s_cbranch_execnz .LBB33_2757
; %bb.709:
	s_or_saveexec_b64 s[6:7], s[6:7]
	v_mov_b32_e32 v3, s10
	s_xor_b64 exec, exec, s[6:7]
	s_cbranch_execnz .LBB33_2760
.LBB33_710:
	s_or_b64 exec, exec, s[6:7]
	s_and_saveexec_b64 s[6:7], s[4:5]
	s_cbranch_execz .LBB33_712
.LBB33_711:
	v_and_b32_e32 v3, 7, v4
	v_ffbh_u32_e32 v7, v3
	v_min_u32_e32 v7, 32, v7
	v_lshrrev_b16_e32 v6, 3, v4
	v_subrev_u32_e32 v10, 28, v7
	v_and_b32_e32 v6, 15, v6
	v_lshlrev_b32_e32 v10, v10, v4
	v_sub_u32_e32 v7, 29, v7
	v_and_b32_e32 v10, 7, v10
	v_cmp_eq_u16_e32 vcc, 0, v6
	v_cndmask_b32_e32 v3, v3, v10, vcc
	v_cndmask_b32_e32 v6, v6, v7, vcc
	v_lshlrev_b32_e32 v7, 24, v4
	v_mov_b32_e32 v10, 0x3b800000
	v_lshlrev_b32_e32 v3, 20, v3
	v_and_b32_e32 v7, 0x80000000, v7
	v_lshl_add_u32 v6, v6, 23, v10
	v_or3_b32 v3, v7, v6, v3
.LBB33_712:
	s_or_b64 exec, exec, s[6:7]
	s_nop 0
	v_mfma_f32_16x16x4f32 a[0:3], v2, v3, a[0:3]
	v_lshrrev_b32_e32 v3, 8, v8
	s_movk_i32 s4, 0x7f
	v_cmp_gt_i16_sdwa s[6:7], v3, s4 src0_sel:BYTE_0 src1_sel:DWORD
	s_mov_b64 s[4:5], 0
                                        ; implicit-def: $sgpr10
	s_and_saveexec_b64 s[8:9], s[6:7]
	s_xor_b64 s[6:7], exec, s[8:9]
	s_cbranch_execnz .LBB33_2761
; %bb.713:
	s_or_saveexec_b64 s[6:7], s[6:7]
	v_mov_b32_e32 v2, s10
	s_xor_b64 exec, exec, s[6:7]
	s_cbranch_execnz .LBB33_2764
.LBB33_714:
	s_or_b64 exec, exec, s[6:7]
	s_and_saveexec_b64 s[6:7], s[4:5]
	s_cbranch_execz .LBB33_716
.LBB33_715:
	v_bfe_u32 v2, v8, 8, 3
	v_ffbh_u32_e32 v7, v2
	v_min_u32_e32 v7, 32, v7
	v_lshrrev_b16_e32 v6, 3, v3
	v_subrev_u32_e32 v10, 28, v7
	v_and_b32_e32 v6, 15, v6
	v_lshlrev_b32_e32 v3, v10, v3
	v_sub_u32_e32 v7, 29, v7
	v_and_b32_e32 v3, 7, v3
	v_cmp_eq_u16_e32 vcc, 0, v6
	v_cndmask_b32_e32 v2, v2, v3, vcc
	v_cndmask_b32_e32 v3, v6, v7, vcc
	v_lshlrev_b32_e32 v6, 16, v8
	v_mov_b32_e32 v7, 0x3b800000
	v_lshlrev_b32_e32 v2, 20, v2
	v_and_b32_e32 v6, 0x80000000, v6
	v_lshl_add_u32 v3, v3, 23, v7
	v_or3_b32 v2, v6, v3, v2
.LBB33_716:
	s_or_b64 exec, exec, s[6:7]
	v_lshrrev_b32_e32 v3, 8, v4
	s_movk_i32 s4, 0x7f
	v_cmp_gt_i16_sdwa s[6:7], v3, s4 src0_sel:BYTE_0 src1_sel:DWORD
	s_mov_b64 s[4:5], 0
                                        ; implicit-def: $sgpr10
	s_and_saveexec_b64 s[8:9], s[6:7]
	s_xor_b64 s[6:7], exec, s[8:9]
	s_cbranch_execnz .LBB33_2765
; %bb.717:
	s_or_saveexec_b64 s[6:7], s[6:7]
	v_mov_b32_e32 v6, s10
	s_xor_b64 exec, exec, s[6:7]
	s_cbranch_execnz .LBB33_2768
.LBB33_718:
	s_or_b64 exec, exec, s[6:7]
	s_and_saveexec_b64 s[6:7], s[4:5]
	s_cbranch_execz .LBB33_720
.LBB33_719:
	v_bfe_u32 v6, v4, 8, 3
	v_ffbh_u32_e32 v10, v6
	v_min_u32_e32 v10, 32, v10
	v_lshrrev_b16_e32 v7, 3, v3
	v_subrev_u32_e32 v11, 28, v10
	v_and_b32_e32 v7, 15, v7
	v_lshlrev_b32_e32 v3, v11, v3
	v_sub_u32_e32 v10, 29, v10
	v_and_b32_e32 v3, 7, v3
	v_cmp_eq_u16_e32 vcc, 0, v7
	v_cndmask_b32_e32 v3, v6, v3, vcc
	v_cndmask_b32_e32 v6, v7, v10, vcc
	v_lshlrev_b32_e32 v7, 16, v4
	v_mov_b32_e32 v10, 0x3b800000
	v_lshlrev_b32_e32 v3, 20, v3
	v_and_b32_e32 v7, 0x80000000, v7
	v_lshl_add_u32 v6, v6, 23, v10
	v_or3_b32 v6, v7, v6, v3
.LBB33_720:
	s_or_b64 exec, exec, s[6:7]
	s_nop 0
	v_mfma_f32_16x16x4f32 a[0:3], v2, v6, a[0:3]
	s_movk_i32 s4, 0xff
	v_and_b32_sdwa v3, v8, s4 dst_sel:DWORD dst_unused:UNUSED_PAD src0_sel:WORD_1 src1_sel:DWORD
	s_movk_i32 s4, 0x7f
	v_cmp_lt_i16_e32 vcc, s4, v3
	s_mov_b64 s[4:5], 0
                                        ; implicit-def: $sgpr10
	s_and_saveexec_b64 s[6:7], vcc
	s_xor_b64 s[6:7], exec, s[6:7]
	s_cbranch_execnz .LBB33_2769
; %bb.721:
	s_or_saveexec_b64 s[6:7], s[6:7]
	v_mov_b32_e32 v2, s10
	s_xor_b64 exec, exec, s[6:7]
	s_cbranch_execnz .LBB33_2772
.LBB33_722:
	s_or_b64 exec, exec, s[6:7]
	s_and_saveexec_b64 s[6:7], s[4:5]
	s_cbranch_execz .LBB33_724
.LBB33_723:
	v_bfe_u32 v2, v8, 16, 3
	v_ffbh_u32_e32 v7, v2
	v_min_u32_e32 v7, 32, v7
	v_lshrrev_b32_e32 v3, 19, v8
	v_subrev_u32_e32 v10, 28, v7
	v_and_b32_e32 v3, 15, v3
	v_lshlrev_b32_sdwa v10, v10, v8 dst_sel:DWORD dst_unused:UNUSED_PAD src0_sel:DWORD src1_sel:WORD_1
	v_bfe_u32 v6, v8, 19, 4
	v_sub_u32_e32 v7, 29, v7
	v_and_b32_e32 v10, 7, v10
	v_cmp_eq_u16_e32 vcc, 0, v3
	v_cndmask_b32_e32 v2, v2, v10, vcc
	v_cndmask_b32_e32 v3, v6, v7, vcc
	v_lshlrev_b32_e32 v6, 8, v8
	v_mov_b32_e32 v7, 0x3b800000
	v_lshlrev_b32_e32 v2, 20, v2
	v_and_b32_e32 v6, 0x80000000, v6
	v_lshl_add_u32 v3, v3, 23, v7
	v_or3_b32 v2, v6, v3, v2
.LBB33_724:
	s_or_b64 exec, exec, s[6:7]
	s_movk_i32 s4, 0xff
	v_and_b32_sdwa v3, v4, s4 dst_sel:DWORD dst_unused:UNUSED_PAD src0_sel:WORD_1 src1_sel:DWORD
	s_movk_i32 s4, 0x7f
	v_cmp_lt_i16_e32 vcc, s4, v3
	s_mov_b64 s[4:5], 0
                                        ; implicit-def: $sgpr10
	s_and_saveexec_b64 s[6:7], vcc
	s_xor_b64 s[6:7], exec, s[6:7]
	s_cbranch_execnz .LBB33_2773
; %bb.725:
	s_or_saveexec_b64 s[6:7], s[6:7]
	v_mov_b32_e32 v6, s10
	s_xor_b64 exec, exec, s[6:7]
	s_cbranch_execnz .LBB33_2776
.LBB33_726:
	s_or_b64 exec, exec, s[6:7]
	s_and_saveexec_b64 s[6:7], s[4:5]
	s_cbranch_execz .LBB33_728
.LBB33_727:
	v_bfe_u32 v3, v4, 16, 3
	v_ffbh_u32_e32 v10, v3
	v_min_u32_e32 v10, 32, v10
	v_lshrrev_b32_e32 v6, 19, v4
	v_subrev_u32_e32 v11, 28, v10
	v_and_b32_e32 v6, 15, v6
	v_lshlrev_b32_sdwa v11, v11, v4 dst_sel:DWORD dst_unused:UNUSED_PAD src0_sel:DWORD src1_sel:WORD_1
	v_bfe_u32 v7, v4, 19, 4
	v_sub_u32_e32 v10, 29, v10
	v_and_b32_e32 v11, 7, v11
	v_cmp_eq_u16_e32 vcc, 0, v6
	v_cndmask_b32_e32 v3, v3, v11, vcc
	v_cndmask_b32_e32 v6, v7, v10, vcc
	v_lshlrev_b32_e32 v7, 8, v4
	v_mov_b32_e32 v10, 0x3b800000
	v_lshlrev_b32_e32 v3, 20, v3
	v_and_b32_e32 v7, 0x80000000, v7
	v_lshl_add_u32 v6, v6, 23, v10
	v_or3_b32 v6, v7, v6, v3
.LBB33_728:
	s_or_b64 exec, exec, s[6:7]
	s_nop 0
	v_mfma_f32_16x16x4f32 a[0:3], v2, v6, a[0:3]
	s_movk_i32 s4, 0x7f
	v_cmp_gt_i16_sdwa s[6:7], v8, s4 src0_sel:BYTE_3 src1_sel:DWORD
	s_mov_b64 s[4:5], 0
                                        ; implicit-def: $sgpr10
	s_and_saveexec_b64 s[8:9], s[6:7]
	s_xor_b64 s[6:7], exec, s[8:9]
	s_cbranch_execnz .LBB33_2777
; %bb.729:
	s_or_saveexec_b64 s[6:7], s[6:7]
	v_mov_b32_e32 v2, s10
	s_xor_b64 exec, exec, s[6:7]
	s_cbranch_execnz .LBB33_2780
.LBB33_730:
	s_or_b64 exec, exec, s[6:7]
	s_and_saveexec_b64 s[6:7], s[4:5]
	s_cbranch_execz .LBB33_732
.LBB33_731:
	v_bfe_u32 v2, v8, 24, 3
	v_ffbh_u32_e32 v10, v2
	v_min_u32_e32 v10, 32, v10
	v_lshrrev_b32_e32 v6, 27, v8
	v_subrev_u32_e32 v11, 28, v10
	v_and_b32_e32 v3, 0x80000000, v8
	v_and_b32_e32 v6, 15, v6
	v_bfe_u32 v7, v8, 27, 4
	v_lshlrev_b32_sdwa v8, v11, v8 dst_sel:DWORD dst_unused:UNUSED_PAD src0_sel:DWORD src1_sel:BYTE_3
	v_sub_u32_e32 v10, 29, v10
	v_and_b32_e32 v8, 7, v8
	v_cmp_eq_u16_e32 vcc, 0, v6
	v_cndmask_b32_e32 v2, v2, v8, vcc
	v_cndmask_b32_e32 v6, v7, v10, vcc
	v_mov_b32_e32 v7, 0x3b800000
	v_lshlrev_b32_e32 v2, 20, v2
	v_lshl_add_u32 v6, v6, 23, v7
	v_or3_b32 v2, v3, v6, v2
.LBB33_732:
	s_or_b64 exec, exec, s[6:7]
	s_movk_i32 s4, 0x7f
	v_cmp_gt_i16_sdwa s[6:7], v4, s4 src0_sel:BYTE_3 src1_sel:DWORD
	s_mov_b64 s[4:5], 0
                                        ; implicit-def: $sgpr10
	s_and_saveexec_b64 s[8:9], s[6:7]
	s_xor_b64 s[6:7], exec, s[8:9]
	s_cbranch_execnz .LBB33_2781
; %bb.733:
	s_or_saveexec_b64 s[6:7], s[6:7]
	v_mov_b32_e32 v3, s10
	s_xor_b64 exec, exec, s[6:7]
	s_cbranch_execnz .LBB33_2784
.LBB33_734:
	s_or_b64 exec, exec, s[6:7]
	s_and_saveexec_b64 s[6:7], s[4:5]
	s_cbranch_execz .LBB33_736
.LBB33_735:
	v_bfe_u32 v3, v4, 24, 3
	v_ffbh_u32_e32 v10, v3
	v_min_u32_e32 v10, 32, v10
	v_lshrrev_b32_e32 v7, 27, v4
	v_subrev_u32_e32 v11, 28, v10
	v_and_b32_e32 v6, 0x80000000, v4
	v_and_b32_e32 v7, 15, v7
	v_bfe_u32 v8, v4, 27, 4
	v_lshlrev_b32_sdwa v4, v11, v4 dst_sel:DWORD dst_unused:UNUSED_PAD src0_sel:DWORD src1_sel:BYTE_3
	v_sub_u32_e32 v10, 29, v10
	v_and_b32_e32 v4, 7, v4
	v_cmp_eq_u16_e32 vcc, 0, v7
	v_cndmask_b32_e32 v3, v3, v4, vcc
	v_cndmask_b32_e32 v4, v8, v10, vcc
	v_mov_b32_e32 v7, 0x3b800000
	v_lshlrev_b32_e32 v3, 20, v3
	v_lshl_add_u32 v4, v4, 23, v7
	v_or3_b32 v3, v6, v4, v3
.LBB33_736:
	s_or_b64 exec, exec, s[6:7]
	s_nop 0
	v_mfma_f32_16x16x4f32 a[0:3], v2, v3, a[0:3]
	s_movk_i32 s4, 0x7f
	v_cmp_gt_i16_sdwa s[6:7], v9, s4 src0_sel:BYTE_0 src1_sel:DWORD
	s_mov_b64 s[4:5], 0
                                        ; implicit-def: $sgpr10
	s_and_saveexec_b64 s[8:9], s[6:7]
	s_xor_b64 s[6:7], exec, s[8:9]
	s_cbranch_execnz .LBB33_2785
; %bb.737:
	s_or_saveexec_b64 s[6:7], s[6:7]
	v_mov_b32_e32 v2, s10
	s_xor_b64 exec, exec, s[6:7]
	s_cbranch_execnz .LBB33_2788
.LBB33_738:
	s_or_b64 exec, exec, s[6:7]
	s_and_saveexec_b64 s[6:7], s[4:5]
	s_cbranch_execz .LBB33_740
.LBB33_739:
	v_mov_b32_e32 v2, 8
	v_and_b32_e32 v3, 7, v9
	v_lshrrev_b32_sdwa v2, v2, v9 dst_sel:BYTE_1 dst_unused:UNUSED_PAD src0_sel:DWORD src1_sel:DWORD
	v_ffbh_u32_e32 v4, v3
	v_or_b32_sdwa v2, v9, v2 dst_sel:DWORD dst_unused:UNUSED_PAD src0_sel:BYTE_0 src1_sel:DWORD
	v_min_u32_e32 v4, 32, v4
	v_lshrrev_b16_e32 v2, 3, v2
	v_subrev_u32_e32 v6, 28, v4
	v_and_b32_e32 v2, 15, v2
	v_lshlrev_b32_e32 v6, v6, v9
	v_sub_u32_e32 v4, 29, v4
	v_and_b32_e32 v6, 7, v6
	v_cmp_eq_u16_e32 vcc, 0, v2
	v_cndmask_b32_e32 v3, v3, v6, vcc
	v_cndmask_b32_e32 v2, v2, v4, vcc
	v_lshlrev_b32_e32 v4, 24, v9
	v_mov_b32_e32 v6, 0x3b800000
	v_lshlrev_b32_e32 v3, 20, v3
	v_and_b32_e32 v4, 0x80000000, v4
	v_lshl_add_u32 v2, v2, 23, v6
	v_or3_b32 v2, v4, v2, v3
.LBB33_740:
	s_or_b64 exec, exec, s[6:7]
	s_movk_i32 s4, 0x7f
	v_cmp_gt_i16_sdwa s[6:7], v5, s4 src0_sel:BYTE_0 src1_sel:DWORD
	s_mov_b64 s[4:5], 0
                                        ; implicit-def: $sgpr10
	s_and_saveexec_b64 s[8:9], s[6:7]
	s_xor_b64 s[6:7], exec, s[8:9]
	s_cbranch_execnz .LBB33_2789
; %bb.741:
	s_or_saveexec_b64 s[6:7], s[6:7]
	v_mov_b32_e32 v3, s10
	s_xor_b64 exec, exec, s[6:7]
	s_cbranch_execnz .LBB33_2792
.LBB33_742:
	s_or_b64 exec, exec, s[6:7]
	s_and_saveexec_b64 s[6:7], s[4:5]
	s_cbranch_execz .LBB33_744
.LBB33_743:
	v_mov_b32_e32 v3, 8
	v_and_b32_e32 v4, 7, v5
	v_lshrrev_b32_sdwa v3, v3, v5 dst_sel:BYTE_1 dst_unused:UNUSED_PAD src0_sel:DWORD src1_sel:DWORD
	v_ffbh_u32_e32 v6, v4
	v_or_b32_sdwa v3, v5, v3 dst_sel:DWORD dst_unused:UNUSED_PAD src0_sel:BYTE_0 src1_sel:DWORD
	v_min_u32_e32 v6, 32, v6
	v_lshrrev_b16_e32 v3, 3, v3
	v_subrev_u32_e32 v7, 28, v6
	v_and_b32_e32 v3, 15, v3
	v_lshlrev_b32_e32 v7, v7, v5
	v_sub_u32_e32 v6, 29, v6
	v_and_b32_e32 v7, 7, v7
	v_cmp_eq_u16_e32 vcc, 0, v3
	v_cndmask_b32_e32 v4, v4, v7, vcc
	v_cndmask_b32_e32 v3, v3, v6, vcc
	v_lshlrev_b32_e32 v6, 24, v5
	v_mov_b32_e32 v7, 0x3b800000
	v_lshlrev_b32_e32 v4, 20, v4
	v_and_b32_e32 v6, 0x80000000, v6
	v_lshl_add_u32 v3, v3, 23, v7
	v_or3_b32 v3, v6, v3, v4
.LBB33_744:
	s_or_b64 exec, exec, s[6:7]
	s_nop 0
	v_mfma_f32_16x16x4f32 a[0:3], v2, v3, a[0:3]
	v_lshrrev_b32_e32 v3, 8, v9
	s_movk_i32 s4, 0x7f
	v_cmp_gt_i16_sdwa s[6:7], v3, s4 src0_sel:BYTE_0 src1_sel:DWORD
	s_mov_b64 s[4:5], 0
                                        ; implicit-def: $sgpr10
	s_and_saveexec_b64 s[8:9], s[6:7]
	s_xor_b64 s[6:7], exec, s[8:9]
	s_cbranch_execnz .LBB33_2793
; %bb.745:
	s_or_saveexec_b64 s[6:7], s[6:7]
	v_mov_b32_e32 v2, s10
	s_xor_b64 exec, exec, s[6:7]
	s_cbranch_execnz .LBB33_2796
.LBB33_746:
	s_or_b64 exec, exec, s[6:7]
	s_and_saveexec_b64 s[6:7], s[4:5]
	s_cbranch_execz .LBB33_748
.LBB33_747:
	v_bfe_u32 v2, v9, 8, 3
	v_ffbh_u32_e32 v6, v2
	v_min_u32_e32 v6, 32, v6
	v_lshrrev_b16_e32 v4, 3, v3
	v_subrev_u32_e32 v7, 28, v6
	v_and_b32_e32 v4, 15, v4
	v_lshlrev_b32_e32 v3, v7, v3
	v_sub_u32_e32 v6, 29, v6
	v_and_b32_e32 v3, 7, v3
	v_cmp_eq_u16_e32 vcc, 0, v4
	v_cndmask_b32_e32 v2, v2, v3, vcc
	v_cndmask_b32_e32 v3, v4, v6, vcc
	v_lshlrev_b32_e32 v4, 16, v9
	v_mov_b32_e32 v6, 0x3b800000
	v_lshlrev_b32_e32 v2, 20, v2
	v_and_b32_e32 v4, 0x80000000, v4
	v_lshl_add_u32 v3, v3, 23, v6
	v_or3_b32 v2, v4, v3, v2
.LBB33_748:
	s_or_b64 exec, exec, s[6:7]
	v_lshrrev_b32_e32 v3, 8, v5
	s_movk_i32 s4, 0x7f
	v_cmp_gt_i16_sdwa s[6:7], v3, s4 src0_sel:BYTE_0 src1_sel:DWORD
	s_mov_b64 s[4:5], 0
                                        ; implicit-def: $sgpr10
	s_and_saveexec_b64 s[8:9], s[6:7]
	s_xor_b64 s[6:7], exec, s[8:9]
	s_cbranch_execnz .LBB33_2797
; %bb.749:
	s_or_saveexec_b64 s[6:7], s[6:7]
	v_mov_b32_e32 v4, s10
	s_xor_b64 exec, exec, s[6:7]
	s_cbranch_execnz .LBB33_2800
.LBB33_750:
	s_or_b64 exec, exec, s[6:7]
	s_and_saveexec_b64 s[6:7], s[4:5]
	s_cbranch_execz .LBB33_752
.LBB33_751:
	v_bfe_u32 v4, v5, 8, 3
	v_ffbh_u32_e32 v7, v4
	v_min_u32_e32 v7, 32, v7
	v_lshrrev_b16_e32 v6, 3, v3
	v_subrev_u32_e32 v8, 28, v7
	v_and_b32_e32 v6, 15, v6
	v_lshlrev_b32_e32 v3, v8, v3
	v_sub_u32_e32 v7, 29, v7
	v_and_b32_e32 v3, 7, v3
	v_cmp_eq_u16_e32 vcc, 0, v6
	v_cndmask_b32_e32 v3, v4, v3, vcc
	v_cndmask_b32_e32 v4, v6, v7, vcc
	v_lshlrev_b32_e32 v6, 16, v5
	v_mov_b32_e32 v7, 0x3b800000
	v_lshlrev_b32_e32 v3, 20, v3
	v_and_b32_e32 v6, 0x80000000, v6
	v_lshl_add_u32 v4, v4, 23, v7
	v_or3_b32 v4, v6, v4, v3
.LBB33_752:
	s_or_b64 exec, exec, s[6:7]
	s_nop 0
	v_mfma_f32_16x16x4f32 a[0:3], v2, v4, a[0:3]
	s_movk_i32 s4, 0xff
	v_and_b32_sdwa v3, v9, s4 dst_sel:DWORD dst_unused:UNUSED_PAD src0_sel:WORD_1 src1_sel:DWORD
	s_movk_i32 s4, 0x7f
	v_cmp_lt_i16_e32 vcc, s4, v3
	s_mov_b64 s[4:5], 0
                                        ; implicit-def: $sgpr10
	s_and_saveexec_b64 s[6:7], vcc
	s_xor_b64 s[6:7], exec, s[6:7]
	s_cbranch_execnz .LBB33_2801
; %bb.753:
	s_or_saveexec_b64 s[6:7], s[6:7]
	v_mov_b32_e32 v2, s10
	s_xor_b64 exec, exec, s[6:7]
	s_cbranch_execnz .LBB33_2804
.LBB33_754:
	s_or_b64 exec, exec, s[6:7]
	s_and_saveexec_b64 s[6:7], s[4:5]
	s_cbranch_execz .LBB33_756
.LBB33_755:
	v_bfe_u32 v2, v9, 16, 3
	v_ffbh_u32_e32 v6, v2
	v_min_u32_e32 v6, 32, v6
	v_lshrrev_b32_e32 v3, 19, v9
	v_subrev_u32_e32 v7, 28, v6
	v_and_b32_e32 v3, 15, v3
	v_lshlrev_b32_sdwa v7, v7, v9 dst_sel:DWORD dst_unused:UNUSED_PAD src0_sel:DWORD src1_sel:WORD_1
	v_bfe_u32 v4, v9, 19, 4
	v_sub_u32_e32 v6, 29, v6
	v_and_b32_e32 v7, 7, v7
	v_cmp_eq_u16_e32 vcc, 0, v3
	v_cndmask_b32_e32 v2, v2, v7, vcc
	v_cndmask_b32_e32 v3, v4, v6, vcc
	v_lshlrev_b32_e32 v4, 8, v9
	v_mov_b32_e32 v6, 0x3b800000
	v_lshlrev_b32_e32 v2, 20, v2
	v_and_b32_e32 v4, 0x80000000, v4
	v_lshl_add_u32 v3, v3, 23, v6
	v_or3_b32 v2, v4, v3, v2
.LBB33_756:
	s_or_b64 exec, exec, s[6:7]
	s_movk_i32 s4, 0xff
	v_and_b32_sdwa v3, v5, s4 dst_sel:DWORD dst_unused:UNUSED_PAD src0_sel:WORD_1 src1_sel:DWORD
	s_movk_i32 s4, 0x7f
	v_cmp_lt_i16_e32 vcc, s4, v3
	s_mov_b64 s[4:5], 0
                                        ; implicit-def: $sgpr10
	s_and_saveexec_b64 s[6:7], vcc
	s_xor_b64 s[6:7], exec, s[6:7]
	s_cbranch_execnz .LBB33_2805
; %bb.757:
	s_or_saveexec_b64 s[6:7], s[6:7]
	v_mov_b32_e32 v4, s10
	s_xor_b64 exec, exec, s[6:7]
	s_cbranch_execnz .LBB33_2808
.LBB33_758:
	s_or_b64 exec, exec, s[6:7]
	s_and_saveexec_b64 s[6:7], s[4:5]
	s_cbranch_execz .LBB33_760
.LBB33_759:
	v_bfe_u32 v3, v5, 16, 3
	v_ffbh_u32_e32 v7, v3
	v_min_u32_e32 v7, 32, v7
	v_lshrrev_b32_e32 v4, 19, v5
	v_subrev_u32_e32 v8, 28, v7
	v_and_b32_e32 v4, 15, v4
	v_lshlrev_b32_sdwa v8, v8, v5 dst_sel:DWORD dst_unused:UNUSED_PAD src0_sel:DWORD src1_sel:WORD_1
	v_bfe_u32 v6, v5, 19, 4
	v_sub_u32_e32 v7, 29, v7
	v_and_b32_e32 v8, 7, v8
	v_cmp_eq_u16_e32 vcc, 0, v4
	v_cndmask_b32_e32 v3, v3, v8, vcc
	v_cndmask_b32_e32 v4, v6, v7, vcc
	v_lshlrev_b32_e32 v6, 8, v5
	v_mov_b32_e32 v7, 0x3b800000
	v_lshlrev_b32_e32 v3, 20, v3
	v_and_b32_e32 v6, 0x80000000, v6
	v_lshl_add_u32 v4, v4, 23, v7
	v_or3_b32 v4, v6, v4, v3
.LBB33_760:
	s_or_b64 exec, exec, s[6:7]
	s_nop 0
	v_mfma_f32_16x16x4f32 a[0:3], v2, v4, a[0:3]
	s_movk_i32 s4, 0x7f
	v_cmp_gt_i16_sdwa s[6:7], v9, s4 src0_sel:BYTE_3 src1_sel:DWORD
	s_mov_b64 s[4:5], 0
                                        ; implicit-def: $sgpr10
	s_and_saveexec_b64 s[8:9], s[6:7]
	s_xor_b64 s[6:7], exec, s[8:9]
	s_cbranch_execnz .LBB33_2809
; %bb.761:
	s_or_saveexec_b64 s[6:7], s[6:7]
	v_mov_b32_e32 v2, s10
	s_xor_b64 exec, exec, s[6:7]
	s_cbranch_execnz .LBB33_2812
.LBB33_762:
	s_or_b64 exec, exec, s[6:7]
	s_and_saveexec_b64 s[6:7], s[4:5]
	s_cbranch_execz .LBB33_764
.LBB33_763:
	v_bfe_u32 v2, v9, 24, 3
	v_ffbh_u32_e32 v7, v2
	v_min_u32_e32 v7, 32, v7
	v_lshrrev_b32_e32 v4, 27, v9
	v_subrev_u32_e32 v8, 28, v7
	v_and_b32_e32 v4, 15, v4
	v_lshlrev_b32_sdwa v8, v8, v9 dst_sel:DWORD dst_unused:UNUSED_PAD src0_sel:DWORD src1_sel:BYTE_3
	v_bfe_u32 v6, v9, 27, 4
	v_sub_u32_e32 v7, 29, v7
	v_and_b32_e32 v8, 7, v8
	v_cmp_eq_u16_e32 vcc, 0, v4
	v_cndmask_b32_e32 v2, v2, v8, vcc
	v_cndmask_b32_e32 v4, v6, v7, vcc
	v_mov_b32_e32 v6, 0x3b800000
	v_and_b32_e32 v3, 0x80000000, v9
	v_lshlrev_b32_e32 v2, 20, v2
	v_lshl_add_u32 v4, v4, 23, v6
	v_or3_b32 v2, v3, v4, v2
.LBB33_764:
	s_or_b64 exec, exec, s[6:7]
	s_movk_i32 s4, 0x7f
	v_cmp_gt_i16_sdwa s[6:7], v5, s4 src0_sel:BYTE_3 src1_sel:DWORD
	s_mov_b64 s[4:5], 0
                                        ; implicit-def: $sgpr10
	s_and_saveexec_b64 s[8:9], s[6:7]
	s_xor_b64 s[6:7], exec, s[8:9]
	s_cbranch_execnz .LBB33_2813
; %bb.765:
	s_or_saveexec_b64 s[6:7], s[6:7]
	v_mov_b32_e32 v3, s10
	s_xor_b64 exec, exec, s[6:7]
	s_cbranch_execnz .LBB33_2816
.LBB33_766:
	s_or_b64 exec, exec, s[6:7]
	s_and_saveexec_b64 s[6:7], s[4:5]
	s_cbranch_execz .LBB33_768
.LBB33_767:
	v_bfe_u32 v3, v5, 24, 3
	v_ffbh_u32_e32 v8, v3
	v_min_u32_e32 v8, 32, v8
	v_lshrrev_b32_e32 v6, 27, v5
	v_subrev_u32_e32 v9, 28, v8
	v_and_b32_e32 v4, 0x80000000, v5
	v_and_b32_e32 v6, 15, v6
	v_bfe_u32 v7, v5, 27, 4
	v_lshlrev_b32_sdwa v5, v9, v5 dst_sel:DWORD dst_unused:UNUSED_PAD src0_sel:DWORD src1_sel:BYTE_3
	v_sub_u32_e32 v8, 29, v8
	v_and_b32_e32 v5, 7, v5
	v_cmp_eq_u16_e32 vcc, 0, v6
	v_cndmask_b32_e32 v3, v3, v5, vcc
	v_cndmask_b32_e32 v5, v7, v8, vcc
	v_mov_b32_e32 v6, 0x3b800000
	v_lshlrev_b32_e32 v3, 20, v3
	v_lshl_add_u32 v5, v5, 23, v6
	v_or3_b32 v3, v4, v5, v3
.LBB33_768:
	s_or_b64 exec, exec, s[6:7]
	s_nop 0
	v_mfma_f32_16x16x4f32 a[0:3], v2, v3, a[0:3]
	s_movk_i32 s4, 0x7f
                                        ; implicit-def: $sgpr10
	s_nop 7
	s_nop 1
	flat_store_dwordx4 v[18:19], a[0:3] offset:672
	flat_load_dwordx4 v[20:23], v[0:1] offset:16
	s_nop 0
	flat_load_dwordx2 v[18:19], v[0:1] offset:32
	s_waitcnt vmcnt(0) lgkmcnt(0)
	flat_load_dwordx4 v[14:17], v[20:21] offset:32
	flat_load_dwordx4 v[6:9], v[20:21] offset:48
	;; [unrolled: 1-line block ×4, first 2 shown]
	s_waitcnt vmcnt(0) lgkmcnt(0)
	v_cmp_gt_i16_sdwa s[6:7], v14, s4 src0_sel:BYTE_0 src1_sel:DWORD
	s_mov_b64 s[4:5], 0
	s_and_saveexec_b64 s[8:9], s[6:7]
	s_xor_b64 s[6:7], exec, s[8:9]
	s_cbranch_execnz .LBB33_2817
; %bb.769:
	s_or_saveexec_b64 s[6:7], s[6:7]
	v_mov_b32_e32 v20, s10
	s_xor_b64 exec, exec, s[6:7]
	s_cbranch_execnz .LBB33_2820
.LBB33_770:
	s_or_b64 exec, exec, s[6:7]
	s_and_saveexec_b64 s[6:7], s[4:5]
	s_cbranch_execz .LBB33_772
.LBB33_771:
	v_and_b32_e32 v20, 7, v14
	v_ffbh_u32_e32 v22, v20
	v_min_u32_e32 v22, 32, v22
	v_lshrrev_b16_e32 v21, 3, v14
	v_subrev_u32_e32 v23, 28, v22
	v_and_b32_e32 v21, 15, v21
	v_lshlrev_b32_e32 v23, v23, v14
	v_sub_u32_e32 v22, 29, v22
	v_and_b32_e32 v23, 7, v23
	v_cmp_eq_u16_e32 vcc, 0, v21
	v_cndmask_b32_e32 v20, v20, v23, vcc
	v_cndmask_b32_e32 v21, v21, v22, vcc
	v_lshlrev_b32_e32 v22, 24, v14
	v_mov_b32_e32 v23, 0x3b800000
	v_lshlrev_b32_e32 v20, 20, v20
	v_and_b32_e32 v22, 0x80000000, v22
	v_lshl_add_u32 v21, v21, 23, v23
	v_or3_b32 v20, v22, v21, v20
.LBB33_772:
	s_or_b64 exec, exec, s[6:7]
	s_movk_i32 s4, 0x7f
	v_cmp_gt_i16_sdwa s[6:7], v10, s4 src0_sel:BYTE_0 src1_sel:DWORD
	s_mov_b64 s[4:5], 0
                                        ; implicit-def: $sgpr10
	s_and_saveexec_b64 s[8:9], s[6:7]
	s_xor_b64 s[6:7], exec, s[8:9]
	s_cbranch_execnz .LBB33_2821
; %bb.773:
	s_or_saveexec_b64 s[6:7], s[6:7]
	v_mov_b32_e32 v21, s10
	s_xor_b64 exec, exec, s[6:7]
	s_cbranch_execnz .LBB33_2824
.LBB33_774:
	s_or_b64 exec, exec, s[6:7]
	s_and_saveexec_b64 s[6:7], s[4:5]
	s_cbranch_execz .LBB33_776
.LBB33_775:
	v_and_b32_e32 v21, 7, v10
	v_ffbh_u32_e32 v23, v21
	v_min_u32_e32 v23, 32, v23
	v_lshrrev_b16_e32 v22, 3, v10
	v_subrev_u32_e32 v24, 28, v23
	v_and_b32_e32 v22, 15, v22
	v_lshlrev_b32_e32 v24, v24, v10
	v_sub_u32_e32 v23, 29, v23
	v_and_b32_e32 v24, 7, v24
	v_cmp_eq_u16_e32 vcc, 0, v22
	v_cndmask_b32_e32 v21, v21, v24, vcc
	v_cndmask_b32_e32 v22, v22, v23, vcc
	v_lshlrev_b32_e32 v23, 24, v10
	v_mov_b32_e32 v24, 0x3b800000
	v_lshlrev_b32_e32 v21, 20, v21
	v_and_b32_e32 v23, 0x80000000, v23
	v_lshl_add_u32 v22, v22, 23, v24
	v_or3_b32 v21, v23, v22, v21
.LBB33_776:
	s_or_b64 exec, exec, s[6:7]
	flat_load_dwordx4 a[0:3], v[18:19] offset:688
	s_movk_i32 s4, 0x7f
                                        ; implicit-def: $sgpr10
	s_waitcnt vmcnt(0) lgkmcnt(0)
	v_mfma_f32_16x16x4f32 a[0:3], v20, v21, a[0:3]
	v_lshrrev_b32_e32 v21, 8, v14
	v_cmp_gt_i16_sdwa s[6:7], v21, s4 src0_sel:BYTE_0 src1_sel:DWORD
	s_mov_b64 s[4:5], 0
	s_and_saveexec_b64 s[8:9], s[6:7]
	s_xor_b64 s[6:7], exec, s[8:9]
	s_cbranch_execnz .LBB33_2825
; %bb.777:
	s_or_saveexec_b64 s[6:7], s[6:7]
	v_mov_b32_e32 v20, s10
	s_xor_b64 exec, exec, s[6:7]
	s_cbranch_execnz .LBB33_2828
.LBB33_778:
	s_or_b64 exec, exec, s[6:7]
	s_and_saveexec_b64 s[6:7], s[4:5]
	s_cbranch_execz .LBB33_780
.LBB33_779:
	v_bfe_u32 v20, v14, 8, 3
	v_ffbh_u32_e32 v23, v20
	v_min_u32_e32 v23, 32, v23
	v_lshrrev_b16_e32 v22, 3, v21
	v_subrev_u32_e32 v24, 28, v23
	v_and_b32_e32 v22, 15, v22
	v_lshlrev_b32_e32 v21, v24, v21
	v_sub_u32_e32 v23, 29, v23
	v_and_b32_e32 v21, 7, v21
	v_cmp_eq_u16_e32 vcc, 0, v22
	v_cndmask_b32_e32 v20, v20, v21, vcc
	v_cndmask_b32_e32 v21, v22, v23, vcc
	v_lshlrev_b32_e32 v22, 16, v14
	v_mov_b32_e32 v23, 0x3b800000
	v_lshlrev_b32_e32 v20, 20, v20
	v_and_b32_e32 v22, 0x80000000, v22
	v_lshl_add_u32 v21, v21, 23, v23
	v_or3_b32 v20, v22, v21, v20
.LBB33_780:
	s_or_b64 exec, exec, s[6:7]
	v_lshrrev_b32_e32 v21, 8, v10
	s_movk_i32 s4, 0x7f
	v_cmp_gt_i16_sdwa s[6:7], v21, s4 src0_sel:BYTE_0 src1_sel:DWORD
	s_mov_b64 s[4:5], 0
                                        ; implicit-def: $sgpr10
	s_and_saveexec_b64 s[8:9], s[6:7]
	s_xor_b64 s[6:7], exec, s[8:9]
	s_cbranch_execnz .LBB33_2829
; %bb.781:
	s_or_saveexec_b64 s[6:7], s[6:7]
	v_mov_b32_e32 v22, s10
	s_xor_b64 exec, exec, s[6:7]
	s_cbranch_execnz .LBB33_2832
.LBB33_782:
	s_or_b64 exec, exec, s[6:7]
	s_and_saveexec_b64 s[6:7], s[4:5]
	s_cbranch_execz .LBB33_784
.LBB33_783:
	v_bfe_u32 v22, v10, 8, 3
	v_ffbh_u32_e32 v24, v22
	v_min_u32_e32 v24, 32, v24
	v_lshrrev_b16_e32 v23, 3, v21
	v_subrev_u32_e32 v25, 28, v24
	v_and_b32_e32 v23, 15, v23
	v_lshlrev_b32_e32 v21, v25, v21
	v_sub_u32_e32 v24, 29, v24
	v_and_b32_e32 v21, 7, v21
	v_cmp_eq_u16_e32 vcc, 0, v23
	v_cndmask_b32_e32 v21, v22, v21, vcc
	v_cndmask_b32_e32 v22, v23, v24, vcc
	v_lshlrev_b32_e32 v23, 16, v10
	v_mov_b32_e32 v24, 0x3b800000
	v_lshlrev_b32_e32 v21, 20, v21
	v_and_b32_e32 v23, 0x80000000, v23
	v_lshl_add_u32 v22, v22, 23, v24
	v_or3_b32 v22, v23, v22, v21
.LBB33_784:
	s_or_b64 exec, exec, s[6:7]
	s_nop 0
	v_mfma_f32_16x16x4f32 a[0:3], v20, v22, a[0:3]
	s_movk_i32 s4, 0xff
	v_and_b32_sdwa v21, v14, s4 dst_sel:DWORD dst_unused:UNUSED_PAD src0_sel:WORD_1 src1_sel:DWORD
	s_movk_i32 s4, 0x7f
	v_cmp_lt_i16_e32 vcc, s4, v21
	s_mov_b64 s[4:5], 0
                                        ; implicit-def: $sgpr10
	s_and_saveexec_b64 s[6:7], vcc
	s_xor_b64 s[6:7], exec, s[6:7]
	s_cbranch_execnz .LBB33_2833
; %bb.785:
	s_or_saveexec_b64 s[6:7], s[6:7]
	v_mov_b32_e32 v20, s10
	s_xor_b64 exec, exec, s[6:7]
	s_cbranch_execnz .LBB33_2836
.LBB33_786:
	s_or_b64 exec, exec, s[6:7]
	s_and_saveexec_b64 s[6:7], s[4:5]
	s_cbranch_execz .LBB33_788
.LBB33_787:
	v_bfe_u32 v20, v14, 16, 3
	v_ffbh_u32_e32 v23, v20
	v_min_u32_e32 v23, 32, v23
	v_lshrrev_b32_e32 v21, 19, v14
	v_subrev_u32_e32 v24, 28, v23
	v_and_b32_e32 v21, 15, v21
	v_lshlrev_b32_sdwa v24, v24, v14 dst_sel:DWORD dst_unused:UNUSED_PAD src0_sel:DWORD src1_sel:WORD_1
	v_bfe_u32 v22, v14, 19, 4
	v_sub_u32_e32 v23, 29, v23
	v_and_b32_e32 v24, 7, v24
	v_cmp_eq_u16_e32 vcc, 0, v21
	v_cndmask_b32_e32 v20, v20, v24, vcc
	v_cndmask_b32_e32 v21, v22, v23, vcc
	v_lshlrev_b32_e32 v22, 8, v14
	v_mov_b32_e32 v23, 0x3b800000
	v_lshlrev_b32_e32 v20, 20, v20
	v_and_b32_e32 v22, 0x80000000, v22
	v_lshl_add_u32 v21, v21, 23, v23
	v_or3_b32 v20, v22, v21, v20
.LBB33_788:
	s_or_b64 exec, exec, s[6:7]
	s_movk_i32 s4, 0xff
	v_and_b32_sdwa v21, v10, s4 dst_sel:DWORD dst_unused:UNUSED_PAD src0_sel:WORD_1 src1_sel:DWORD
	s_movk_i32 s4, 0x7f
	v_cmp_lt_i16_e32 vcc, s4, v21
	s_mov_b64 s[4:5], 0
                                        ; implicit-def: $sgpr10
	s_and_saveexec_b64 s[6:7], vcc
	s_xor_b64 s[6:7], exec, s[6:7]
	s_cbranch_execnz .LBB33_2837
; %bb.789:
	s_or_saveexec_b64 s[6:7], s[6:7]
	v_mov_b32_e32 v22, s10
	s_xor_b64 exec, exec, s[6:7]
	s_cbranch_execnz .LBB33_2840
.LBB33_790:
	s_or_b64 exec, exec, s[6:7]
	s_and_saveexec_b64 s[6:7], s[4:5]
	s_cbranch_execz .LBB33_792
.LBB33_791:
	v_bfe_u32 v21, v10, 16, 3
	v_ffbh_u32_e32 v24, v21
	v_min_u32_e32 v24, 32, v24
	v_lshrrev_b32_e32 v22, 19, v10
	v_subrev_u32_e32 v25, 28, v24
	v_and_b32_e32 v22, 15, v22
	v_lshlrev_b32_sdwa v25, v25, v10 dst_sel:DWORD dst_unused:UNUSED_PAD src0_sel:DWORD src1_sel:WORD_1
	v_bfe_u32 v23, v10, 19, 4
	v_sub_u32_e32 v24, 29, v24
	v_and_b32_e32 v25, 7, v25
	v_cmp_eq_u16_e32 vcc, 0, v22
	v_cndmask_b32_e32 v21, v21, v25, vcc
	v_cndmask_b32_e32 v22, v23, v24, vcc
	v_lshlrev_b32_e32 v23, 8, v10
	v_mov_b32_e32 v24, 0x3b800000
	v_lshlrev_b32_e32 v21, 20, v21
	v_and_b32_e32 v23, 0x80000000, v23
	v_lshl_add_u32 v22, v22, 23, v24
	v_or3_b32 v22, v23, v22, v21
.LBB33_792:
	s_or_b64 exec, exec, s[6:7]
	s_nop 0
	v_mfma_f32_16x16x4f32 a[0:3], v20, v22, a[0:3]
	s_movk_i32 s4, 0x7f
	v_cmp_gt_i16_sdwa s[6:7], v14, s4 src0_sel:BYTE_3 src1_sel:DWORD
	s_mov_b64 s[4:5], 0
                                        ; implicit-def: $sgpr10
	s_and_saveexec_b64 s[8:9], s[6:7]
	s_xor_b64 s[6:7], exec, s[8:9]
	s_cbranch_execnz .LBB33_2841
; %bb.793:
	s_or_saveexec_b64 s[6:7], s[6:7]
	v_mov_b32_e32 v20, s10
	s_xor_b64 exec, exec, s[6:7]
	s_cbranch_execnz .LBB33_2844
.LBB33_794:
	s_or_b64 exec, exec, s[6:7]
	s_and_saveexec_b64 s[6:7], s[4:5]
	s_cbranch_execz .LBB33_796
.LBB33_795:
	v_bfe_u32 v20, v14, 24, 3
	v_ffbh_u32_e32 v24, v20
	v_min_u32_e32 v24, 32, v24
	v_lshrrev_b32_e32 v22, 27, v14
	v_subrev_u32_e32 v25, 28, v24
	v_and_b32_e32 v21, 0x80000000, v14
	v_and_b32_e32 v22, 15, v22
	v_bfe_u32 v23, v14, 27, 4
	v_lshlrev_b32_sdwa v14, v25, v14 dst_sel:DWORD dst_unused:UNUSED_PAD src0_sel:DWORD src1_sel:BYTE_3
	v_sub_u32_e32 v24, 29, v24
	v_and_b32_e32 v14, 7, v14
	v_cmp_eq_u16_e32 vcc, 0, v22
	v_cndmask_b32_e32 v14, v20, v14, vcc
	v_cndmask_b32_e32 v20, v23, v24, vcc
	v_mov_b32_e32 v22, 0x3b800000
	v_lshlrev_b32_e32 v14, 20, v14
	v_lshl_add_u32 v20, v20, 23, v22
	v_or3_b32 v20, v21, v20, v14
.LBB33_796:
	s_or_b64 exec, exec, s[6:7]
	s_movk_i32 s4, 0x7f
	v_cmp_gt_i16_sdwa s[6:7], v10, s4 src0_sel:BYTE_3 src1_sel:DWORD
	s_mov_b64 s[4:5], 0
                                        ; implicit-def: $sgpr10
	s_and_saveexec_b64 s[8:9], s[6:7]
	s_xor_b64 s[6:7], exec, s[8:9]
	s_cbranch_execnz .LBB33_2845
; %bb.797:
	s_or_saveexec_b64 s[6:7], s[6:7]
	v_mov_b32_e32 v14, s10
	s_xor_b64 exec, exec, s[6:7]
	s_cbranch_execnz .LBB33_2848
.LBB33_798:
	s_or_b64 exec, exec, s[6:7]
	s_and_saveexec_b64 s[6:7], s[4:5]
	s_cbranch_execz .LBB33_800
.LBB33_799:
	v_bfe_u32 v14, v10, 24, 3
	v_ffbh_u32_e32 v24, v14
	v_min_u32_e32 v24, 32, v24
	v_lshrrev_b32_e32 v22, 27, v10
	v_subrev_u32_e32 v25, 28, v24
	v_and_b32_e32 v21, 0x80000000, v10
	v_and_b32_e32 v22, 15, v22
	v_bfe_u32 v23, v10, 27, 4
	v_lshlrev_b32_sdwa v10, v25, v10 dst_sel:DWORD dst_unused:UNUSED_PAD src0_sel:DWORD src1_sel:BYTE_3
	v_sub_u32_e32 v24, 29, v24
	v_and_b32_e32 v10, 7, v10
	v_cmp_eq_u16_e32 vcc, 0, v22
	v_cndmask_b32_e32 v10, v14, v10, vcc
	v_cndmask_b32_e32 v14, v23, v24, vcc
	v_mov_b32_e32 v22, 0x3b800000
	v_lshlrev_b32_e32 v10, 20, v10
	v_lshl_add_u32 v14, v14, 23, v22
	v_or3_b32 v14, v21, v14, v10
.LBB33_800:
	s_or_b64 exec, exec, s[6:7]
	s_nop 0
	v_mfma_f32_16x16x4f32 a[0:3], v20, v14, a[0:3]
	s_movk_i32 s4, 0x7f
	v_cmp_gt_i16_sdwa s[6:7], v15, s4 src0_sel:BYTE_0 src1_sel:DWORD
	s_mov_b64 s[4:5], 0
                                        ; implicit-def: $sgpr10
	s_and_saveexec_b64 s[8:9], s[6:7]
	s_xor_b64 s[6:7], exec, s[8:9]
	s_cbranch_execnz .LBB33_2849
; %bb.801:
	s_or_saveexec_b64 s[6:7], s[6:7]
	v_mov_b32_e32 v10, s10
	s_xor_b64 exec, exec, s[6:7]
	s_cbranch_execnz .LBB33_2852
.LBB33_802:
	s_or_b64 exec, exec, s[6:7]
	s_and_saveexec_b64 s[6:7], s[4:5]
	s_cbranch_execz .LBB33_804
.LBB33_803:
	v_and_b32_e32 v10, 7, v15
	v_ffbh_u32_e32 v20, v10
	v_min_u32_e32 v20, 32, v20
	v_lshrrev_b16_e32 v14, 3, v15
	v_subrev_u32_e32 v21, 28, v20
	v_and_b32_e32 v14, 15, v14
	v_lshlrev_b32_e32 v21, v21, v15
	v_sub_u32_e32 v20, 29, v20
	v_and_b32_e32 v21, 7, v21
	v_cmp_eq_u16_e32 vcc, 0, v14
	v_cndmask_b32_e32 v10, v10, v21, vcc
	v_cndmask_b32_e32 v14, v14, v20, vcc
	v_lshlrev_b32_e32 v20, 24, v15
	v_mov_b32_e32 v21, 0x3b800000
	v_lshlrev_b32_e32 v10, 20, v10
	v_and_b32_e32 v20, 0x80000000, v20
	v_lshl_add_u32 v14, v14, 23, v21
	v_or3_b32 v10, v20, v14, v10
.LBB33_804:
	s_or_b64 exec, exec, s[6:7]
	s_movk_i32 s4, 0x7f
	v_cmp_gt_i16_sdwa s[6:7], v11, s4 src0_sel:BYTE_0 src1_sel:DWORD
	s_mov_b64 s[4:5], 0
                                        ; implicit-def: $sgpr10
	s_and_saveexec_b64 s[8:9], s[6:7]
	s_xor_b64 s[6:7], exec, s[8:9]
	s_cbranch_execnz .LBB33_2853
; %bb.805:
	s_or_saveexec_b64 s[6:7], s[6:7]
	v_mov_b32_e32 v14, s10
	s_xor_b64 exec, exec, s[6:7]
	s_cbranch_execnz .LBB33_2856
.LBB33_806:
	s_or_b64 exec, exec, s[6:7]
	s_and_saveexec_b64 s[6:7], s[4:5]
	s_cbranch_execz .LBB33_808
.LBB33_807:
	v_and_b32_e32 v14, 7, v11
	v_ffbh_u32_e32 v21, v14
	v_min_u32_e32 v21, 32, v21
	v_lshrrev_b16_e32 v20, 3, v11
	v_subrev_u32_e32 v22, 28, v21
	v_and_b32_e32 v20, 15, v20
	v_lshlrev_b32_e32 v22, v22, v11
	v_sub_u32_e32 v21, 29, v21
	v_and_b32_e32 v22, 7, v22
	v_cmp_eq_u16_e32 vcc, 0, v20
	v_cndmask_b32_e32 v14, v14, v22, vcc
	v_cndmask_b32_e32 v20, v20, v21, vcc
	v_lshlrev_b32_e32 v21, 24, v11
	v_mov_b32_e32 v22, 0x3b800000
	v_lshlrev_b32_e32 v14, 20, v14
	v_and_b32_e32 v21, 0x80000000, v21
	v_lshl_add_u32 v20, v20, 23, v22
	v_or3_b32 v14, v21, v20, v14
.LBB33_808:
	s_or_b64 exec, exec, s[6:7]
	s_nop 0
	v_mfma_f32_16x16x4f32 a[0:3], v10, v14, a[0:3]
	v_lshrrev_b32_e32 v14, 8, v15
	s_movk_i32 s4, 0x7f
	v_cmp_gt_i16_sdwa s[6:7], v14, s4 src0_sel:BYTE_0 src1_sel:DWORD
	s_mov_b64 s[4:5], 0
                                        ; implicit-def: $sgpr10
	s_and_saveexec_b64 s[8:9], s[6:7]
	s_xor_b64 s[6:7], exec, s[8:9]
	s_cbranch_execnz .LBB33_2857
; %bb.809:
	s_or_saveexec_b64 s[6:7], s[6:7]
	v_mov_b32_e32 v10, s10
	s_xor_b64 exec, exec, s[6:7]
	s_cbranch_execnz .LBB33_2860
.LBB33_810:
	s_or_b64 exec, exec, s[6:7]
	s_and_saveexec_b64 s[6:7], s[4:5]
	s_cbranch_execz .LBB33_812
.LBB33_811:
	v_bfe_u32 v10, v15, 8, 3
	v_ffbh_u32_e32 v21, v10
	v_min_u32_e32 v21, 32, v21
	v_lshrrev_b16_e32 v20, 3, v14
	v_subrev_u32_e32 v22, 28, v21
	v_and_b32_e32 v20, 15, v20
	v_lshlrev_b32_e32 v14, v22, v14
	v_sub_u32_e32 v21, 29, v21
	v_and_b32_e32 v14, 7, v14
	v_cmp_eq_u16_e32 vcc, 0, v20
	v_cndmask_b32_e32 v10, v10, v14, vcc
	v_cndmask_b32_e32 v14, v20, v21, vcc
	v_lshlrev_b32_e32 v20, 16, v15
	v_mov_b32_e32 v21, 0x3b800000
	v_lshlrev_b32_e32 v10, 20, v10
	v_and_b32_e32 v20, 0x80000000, v20
	v_lshl_add_u32 v14, v14, 23, v21
	v_or3_b32 v10, v20, v14, v10
.LBB33_812:
	s_or_b64 exec, exec, s[6:7]
	v_lshrrev_b32_e32 v14, 8, v11
	s_movk_i32 s4, 0x7f
	v_cmp_gt_i16_sdwa s[6:7], v14, s4 src0_sel:BYTE_0 src1_sel:DWORD
	s_mov_b64 s[4:5], 0
                                        ; implicit-def: $sgpr10
	s_and_saveexec_b64 s[8:9], s[6:7]
	s_xor_b64 s[6:7], exec, s[8:9]
	s_cbranch_execnz .LBB33_2861
; %bb.813:
	s_or_saveexec_b64 s[6:7], s[6:7]
	v_mov_b32_e32 v20, s10
	s_xor_b64 exec, exec, s[6:7]
	s_cbranch_execnz .LBB33_2864
.LBB33_814:
	s_or_b64 exec, exec, s[6:7]
	s_and_saveexec_b64 s[6:7], s[4:5]
	s_cbranch_execz .LBB33_816
.LBB33_815:
	v_bfe_u32 v20, v11, 8, 3
	v_ffbh_u32_e32 v22, v20
	v_min_u32_e32 v22, 32, v22
	v_lshrrev_b16_e32 v21, 3, v14
	v_subrev_u32_e32 v23, 28, v22
	v_and_b32_e32 v21, 15, v21
	v_lshlrev_b32_e32 v14, v23, v14
	v_sub_u32_e32 v22, 29, v22
	v_and_b32_e32 v14, 7, v14
	v_cmp_eq_u16_e32 vcc, 0, v21
	v_cndmask_b32_e32 v14, v20, v14, vcc
	v_cndmask_b32_e32 v20, v21, v22, vcc
	v_lshlrev_b32_e32 v21, 16, v11
	v_mov_b32_e32 v22, 0x3b800000
	v_lshlrev_b32_e32 v14, 20, v14
	v_and_b32_e32 v21, 0x80000000, v21
	v_lshl_add_u32 v20, v20, 23, v22
	v_or3_b32 v20, v21, v20, v14
.LBB33_816:
	s_or_b64 exec, exec, s[6:7]
	s_nop 0
	v_mfma_f32_16x16x4f32 a[0:3], v10, v20, a[0:3]
	s_movk_i32 s4, 0xff
	v_and_b32_sdwa v14, v15, s4 dst_sel:DWORD dst_unused:UNUSED_PAD src0_sel:WORD_1 src1_sel:DWORD
	s_movk_i32 s4, 0x7f
	v_cmp_lt_i16_e32 vcc, s4, v14
	s_mov_b64 s[4:5], 0
                                        ; implicit-def: $sgpr10
	s_and_saveexec_b64 s[6:7], vcc
	s_xor_b64 s[6:7], exec, s[6:7]
	s_cbranch_execnz .LBB33_2865
; %bb.817:
	s_or_saveexec_b64 s[6:7], s[6:7]
	v_mov_b32_e32 v10, s10
	s_xor_b64 exec, exec, s[6:7]
	s_cbranch_execnz .LBB33_2868
.LBB33_818:
	s_or_b64 exec, exec, s[6:7]
	s_and_saveexec_b64 s[6:7], s[4:5]
	s_cbranch_execz .LBB33_820
.LBB33_819:
	v_bfe_u32 v10, v15, 16, 3
	v_ffbh_u32_e32 v21, v10
	v_min_u32_e32 v21, 32, v21
	v_lshrrev_b32_e32 v14, 19, v15
	v_subrev_u32_e32 v22, 28, v21
	v_and_b32_e32 v14, 15, v14
	v_lshlrev_b32_sdwa v22, v22, v15 dst_sel:DWORD dst_unused:UNUSED_PAD src0_sel:DWORD src1_sel:WORD_1
	v_bfe_u32 v20, v15, 19, 4
	v_sub_u32_e32 v21, 29, v21
	v_and_b32_e32 v22, 7, v22
	v_cmp_eq_u16_e32 vcc, 0, v14
	v_cndmask_b32_e32 v10, v10, v22, vcc
	v_cndmask_b32_e32 v14, v20, v21, vcc
	v_lshlrev_b32_e32 v20, 8, v15
	v_mov_b32_e32 v21, 0x3b800000
	v_lshlrev_b32_e32 v10, 20, v10
	v_and_b32_e32 v20, 0x80000000, v20
	v_lshl_add_u32 v14, v14, 23, v21
	v_or3_b32 v10, v20, v14, v10
.LBB33_820:
	s_or_b64 exec, exec, s[6:7]
	s_movk_i32 s4, 0xff
	v_and_b32_sdwa v14, v11, s4 dst_sel:DWORD dst_unused:UNUSED_PAD src0_sel:WORD_1 src1_sel:DWORD
	s_movk_i32 s4, 0x7f
	v_cmp_lt_i16_e32 vcc, s4, v14
	s_mov_b64 s[4:5], 0
                                        ; implicit-def: $sgpr10
	s_and_saveexec_b64 s[6:7], vcc
	s_xor_b64 s[6:7], exec, s[6:7]
	s_cbranch_execnz .LBB33_2869
; %bb.821:
	s_or_saveexec_b64 s[6:7], s[6:7]
	v_mov_b32_e32 v20, s10
	s_xor_b64 exec, exec, s[6:7]
	s_cbranch_execnz .LBB33_2872
.LBB33_822:
	s_or_b64 exec, exec, s[6:7]
	s_and_saveexec_b64 s[6:7], s[4:5]
	s_cbranch_execz .LBB33_824
.LBB33_823:
	v_bfe_u32 v14, v11, 16, 3
	v_ffbh_u32_e32 v22, v14
	v_min_u32_e32 v22, 32, v22
	v_lshrrev_b32_e32 v20, 19, v11
	v_subrev_u32_e32 v23, 28, v22
	v_and_b32_e32 v20, 15, v20
	v_lshlrev_b32_sdwa v23, v23, v11 dst_sel:DWORD dst_unused:UNUSED_PAD src0_sel:DWORD src1_sel:WORD_1
	v_bfe_u32 v21, v11, 19, 4
	v_sub_u32_e32 v22, 29, v22
	v_and_b32_e32 v23, 7, v23
	v_cmp_eq_u16_e32 vcc, 0, v20
	v_cndmask_b32_e32 v14, v14, v23, vcc
	v_cndmask_b32_e32 v20, v21, v22, vcc
	v_lshlrev_b32_e32 v21, 8, v11
	v_mov_b32_e32 v22, 0x3b800000
	v_lshlrev_b32_e32 v14, 20, v14
	v_and_b32_e32 v21, 0x80000000, v21
	v_lshl_add_u32 v20, v20, 23, v22
	v_or3_b32 v20, v21, v20, v14
.LBB33_824:
	s_or_b64 exec, exec, s[6:7]
	s_nop 0
	v_mfma_f32_16x16x4f32 a[0:3], v10, v20, a[0:3]
	s_movk_i32 s4, 0x7f
	v_cmp_gt_i16_sdwa s[6:7], v15, s4 src0_sel:BYTE_3 src1_sel:DWORD
	s_mov_b64 s[4:5], 0
                                        ; implicit-def: $sgpr10
	s_and_saveexec_b64 s[8:9], s[6:7]
	s_xor_b64 s[6:7], exec, s[8:9]
	s_cbranch_execnz .LBB33_2873
; %bb.825:
	s_or_saveexec_b64 s[6:7], s[6:7]
	v_mov_b32_e32 v10, s10
	s_xor_b64 exec, exec, s[6:7]
	s_cbranch_execnz .LBB33_2876
.LBB33_826:
	s_or_b64 exec, exec, s[6:7]
	s_and_saveexec_b64 s[6:7], s[4:5]
	s_cbranch_execz .LBB33_828
.LBB33_827:
	v_bfe_u32 v10, v15, 24, 3
	v_ffbh_u32_e32 v22, v10
	v_min_u32_e32 v22, 32, v22
	v_lshrrev_b32_e32 v20, 27, v15
	v_subrev_u32_e32 v23, 28, v22
	v_and_b32_e32 v14, 0x80000000, v15
	v_and_b32_e32 v20, 15, v20
	v_bfe_u32 v21, v15, 27, 4
	v_lshlrev_b32_sdwa v15, v23, v15 dst_sel:DWORD dst_unused:UNUSED_PAD src0_sel:DWORD src1_sel:BYTE_3
	v_sub_u32_e32 v22, 29, v22
	v_and_b32_e32 v15, 7, v15
	v_cmp_eq_u16_e32 vcc, 0, v20
	v_cndmask_b32_e32 v10, v10, v15, vcc
	v_cndmask_b32_e32 v15, v21, v22, vcc
	v_mov_b32_e32 v20, 0x3b800000
	v_lshlrev_b32_e32 v10, 20, v10
	v_lshl_add_u32 v15, v15, 23, v20
	v_or3_b32 v10, v14, v15, v10
.LBB33_828:
	s_or_b64 exec, exec, s[6:7]
	s_movk_i32 s4, 0x7f
	v_cmp_gt_i16_sdwa s[6:7], v11, s4 src0_sel:BYTE_3 src1_sel:DWORD
	s_mov_b64 s[4:5], 0
                                        ; implicit-def: $sgpr10
	s_and_saveexec_b64 s[8:9], s[6:7]
	s_xor_b64 s[6:7], exec, s[8:9]
	s_cbranch_execnz .LBB33_2877
; %bb.829:
	s_or_saveexec_b64 s[6:7], s[6:7]
	v_mov_b32_e32 v14, s10
	s_xor_b64 exec, exec, s[6:7]
	s_cbranch_execnz .LBB33_2880
.LBB33_830:
	s_or_b64 exec, exec, s[6:7]
	s_and_saveexec_b64 s[6:7], s[4:5]
	s_cbranch_execz .LBB33_832
.LBB33_831:
	v_bfe_u32 v14, v11, 24, 3
	v_ffbh_u32_e32 v22, v14
	v_min_u32_e32 v22, 32, v22
	v_lshrrev_b32_e32 v20, 27, v11
	v_subrev_u32_e32 v23, 28, v22
	v_and_b32_e32 v15, 0x80000000, v11
	v_and_b32_e32 v20, 15, v20
	v_bfe_u32 v21, v11, 27, 4
	v_lshlrev_b32_sdwa v11, v23, v11 dst_sel:DWORD dst_unused:UNUSED_PAD src0_sel:DWORD src1_sel:BYTE_3
	v_sub_u32_e32 v22, 29, v22
	v_and_b32_e32 v11, 7, v11
	v_cmp_eq_u16_e32 vcc, 0, v20
	v_cndmask_b32_e32 v11, v14, v11, vcc
	v_cndmask_b32_e32 v14, v21, v22, vcc
	v_mov_b32_e32 v20, 0x3b800000
	v_lshlrev_b32_e32 v11, 20, v11
	v_lshl_add_u32 v14, v14, 23, v20
	v_or3_b32 v14, v15, v14, v11
.LBB33_832:
	s_or_b64 exec, exec, s[6:7]
	s_nop 0
	v_mfma_f32_16x16x4f32 a[0:3], v10, v14, a[0:3]
	s_movk_i32 s4, 0x7f
	v_cmp_gt_i16_sdwa s[6:7], v16, s4 src0_sel:BYTE_0 src1_sel:DWORD
	s_mov_b64 s[4:5], 0
                                        ; implicit-def: $sgpr10
	s_and_saveexec_b64 s[8:9], s[6:7]
	s_xor_b64 s[6:7], exec, s[8:9]
	s_cbranch_execnz .LBB33_2881
; %bb.833:
	s_or_saveexec_b64 s[6:7], s[6:7]
	v_mov_b32_e32 v10, s10
	s_xor_b64 exec, exec, s[6:7]
	s_cbranch_execnz .LBB33_2884
.LBB33_834:
	s_or_b64 exec, exec, s[6:7]
	s_and_saveexec_b64 s[6:7], s[4:5]
	s_cbranch_execz .LBB33_836
.LBB33_835:
	v_and_b32_e32 v10, 7, v16
	v_ffbh_u32_e32 v14, v10
	v_min_u32_e32 v14, 32, v14
	v_lshrrev_b16_e32 v11, 3, v16
	v_subrev_u32_e32 v15, 28, v14
	v_and_b32_e32 v11, 15, v11
	v_lshlrev_b32_e32 v15, v15, v16
	v_sub_u32_e32 v14, 29, v14
	v_and_b32_e32 v15, 7, v15
	v_cmp_eq_u16_e32 vcc, 0, v11
	v_cndmask_b32_e32 v10, v10, v15, vcc
	v_cndmask_b32_e32 v11, v11, v14, vcc
	v_lshlrev_b32_e32 v14, 24, v16
	v_mov_b32_e32 v15, 0x3b800000
	v_lshlrev_b32_e32 v10, 20, v10
	v_and_b32_e32 v14, 0x80000000, v14
	v_lshl_add_u32 v11, v11, 23, v15
	v_or3_b32 v10, v14, v11, v10
.LBB33_836:
	s_or_b64 exec, exec, s[6:7]
	s_movk_i32 s4, 0x7f
	v_cmp_gt_i16_sdwa s[6:7], v12, s4 src0_sel:BYTE_0 src1_sel:DWORD
	s_mov_b64 s[4:5], 0
                                        ; implicit-def: $sgpr10
	s_and_saveexec_b64 s[8:9], s[6:7]
	s_xor_b64 s[6:7], exec, s[8:9]
	s_cbranch_execnz .LBB33_2885
; %bb.837:
	s_or_saveexec_b64 s[6:7], s[6:7]
	v_mov_b32_e32 v11, s10
	s_xor_b64 exec, exec, s[6:7]
	s_cbranch_execnz .LBB33_2888
.LBB33_838:
	s_or_b64 exec, exec, s[6:7]
	s_and_saveexec_b64 s[6:7], s[4:5]
	s_cbranch_execz .LBB33_840
.LBB33_839:
	v_and_b32_e32 v11, 7, v12
	v_ffbh_u32_e32 v15, v11
	v_min_u32_e32 v15, 32, v15
	v_lshrrev_b16_e32 v14, 3, v12
	v_subrev_u32_e32 v20, 28, v15
	v_and_b32_e32 v14, 15, v14
	v_lshlrev_b32_e32 v20, v20, v12
	v_sub_u32_e32 v15, 29, v15
	v_and_b32_e32 v20, 7, v20
	v_cmp_eq_u16_e32 vcc, 0, v14
	v_cndmask_b32_e32 v11, v11, v20, vcc
	v_cndmask_b32_e32 v14, v14, v15, vcc
	v_lshlrev_b32_e32 v15, 24, v12
	v_mov_b32_e32 v20, 0x3b800000
	v_lshlrev_b32_e32 v11, 20, v11
	v_and_b32_e32 v15, 0x80000000, v15
	v_lshl_add_u32 v14, v14, 23, v20
	v_or3_b32 v11, v15, v14, v11
.LBB33_840:
	s_or_b64 exec, exec, s[6:7]
	s_nop 0
	v_mfma_f32_16x16x4f32 a[0:3], v10, v11, a[0:3]
	v_lshrrev_b32_e32 v11, 8, v16
	s_movk_i32 s4, 0x7f
	v_cmp_gt_i16_sdwa s[6:7], v11, s4 src0_sel:BYTE_0 src1_sel:DWORD
	s_mov_b64 s[4:5], 0
                                        ; implicit-def: $sgpr10
	s_and_saveexec_b64 s[8:9], s[6:7]
	s_xor_b64 s[6:7], exec, s[8:9]
	s_cbranch_execnz .LBB33_2889
; %bb.841:
	s_or_saveexec_b64 s[6:7], s[6:7]
	v_mov_b32_e32 v10, s10
	s_xor_b64 exec, exec, s[6:7]
	s_cbranch_execnz .LBB33_2892
.LBB33_842:
	s_or_b64 exec, exec, s[6:7]
	s_and_saveexec_b64 s[6:7], s[4:5]
	s_cbranch_execz .LBB33_844
.LBB33_843:
	v_bfe_u32 v10, v16, 8, 3
	v_ffbh_u32_e32 v15, v10
	v_min_u32_e32 v15, 32, v15
	v_lshrrev_b16_e32 v14, 3, v11
	v_subrev_u32_e32 v20, 28, v15
	v_and_b32_e32 v14, 15, v14
	v_lshlrev_b32_e32 v11, v20, v11
	v_sub_u32_e32 v15, 29, v15
	v_and_b32_e32 v11, 7, v11
	v_cmp_eq_u16_e32 vcc, 0, v14
	v_cndmask_b32_e32 v10, v10, v11, vcc
	v_cndmask_b32_e32 v11, v14, v15, vcc
	v_lshlrev_b32_e32 v14, 16, v16
	v_mov_b32_e32 v15, 0x3b800000
	v_lshlrev_b32_e32 v10, 20, v10
	v_and_b32_e32 v14, 0x80000000, v14
	v_lshl_add_u32 v11, v11, 23, v15
	v_or3_b32 v10, v14, v11, v10
.LBB33_844:
	s_or_b64 exec, exec, s[6:7]
	v_lshrrev_b32_e32 v11, 8, v12
	s_movk_i32 s4, 0x7f
	v_cmp_gt_i16_sdwa s[6:7], v11, s4 src0_sel:BYTE_0 src1_sel:DWORD
	s_mov_b64 s[4:5], 0
                                        ; implicit-def: $sgpr10
	s_and_saveexec_b64 s[8:9], s[6:7]
	s_xor_b64 s[6:7], exec, s[8:9]
	s_cbranch_execnz .LBB33_2893
; %bb.845:
	s_or_saveexec_b64 s[6:7], s[6:7]
	v_mov_b32_e32 v14, s10
	s_xor_b64 exec, exec, s[6:7]
	s_cbranch_execnz .LBB33_2896
.LBB33_846:
	s_or_b64 exec, exec, s[6:7]
	s_and_saveexec_b64 s[6:7], s[4:5]
	s_cbranch_execz .LBB33_848
.LBB33_847:
	v_bfe_u32 v14, v12, 8, 3
	v_ffbh_u32_e32 v20, v14
	v_min_u32_e32 v20, 32, v20
	v_lshrrev_b16_e32 v15, 3, v11
	v_subrev_u32_e32 v21, 28, v20
	v_and_b32_e32 v15, 15, v15
	v_lshlrev_b32_e32 v11, v21, v11
	v_sub_u32_e32 v20, 29, v20
	v_and_b32_e32 v11, 7, v11
	v_cmp_eq_u16_e32 vcc, 0, v15
	v_cndmask_b32_e32 v11, v14, v11, vcc
	v_cndmask_b32_e32 v14, v15, v20, vcc
	v_lshlrev_b32_e32 v15, 16, v12
	v_mov_b32_e32 v20, 0x3b800000
	v_lshlrev_b32_e32 v11, 20, v11
	v_and_b32_e32 v15, 0x80000000, v15
	v_lshl_add_u32 v14, v14, 23, v20
	v_or3_b32 v14, v15, v14, v11
.LBB33_848:
	s_or_b64 exec, exec, s[6:7]
	s_nop 0
	v_mfma_f32_16x16x4f32 a[0:3], v10, v14, a[0:3]
	s_movk_i32 s4, 0xff
	v_and_b32_sdwa v11, v16, s4 dst_sel:DWORD dst_unused:UNUSED_PAD src0_sel:WORD_1 src1_sel:DWORD
	s_movk_i32 s4, 0x7f
	v_cmp_lt_i16_e32 vcc, s4, v11
	s_mov_b64 s[4:5], 0
                                        ; implicit-def: $sgpr10
	s_and_saveexec_b64 s[6:7], vcc
	s_xor_b64 s[6:7], exec, s[6:7]
	s_cbranch_execnz .LBB33_2897
; %bb.849:
	s_or_saveexec_b64 s[6:7], s[6:7]
	v_mov_b32_e32 v10, s10
	s_xor_b64 exec, exec, s[6:7]
	s_cbranch_execnz .LBB33_2900
.LBB33_850:
	s_or_b64 exec, exec, s[6:7]
	s_and_saveexec_b64 s[6:7], s[4:5]
	s_cbranch_execz .LBB33_852
.LBB33_851:
	v_bfe_u32 v10, v16, 16, 3
	v_ffbh_u32_e32 v15, v10
	v_min_u32_e32 v15, 32, v15
	v_lshrrev_b32_e32 v11, 19, v16
	v_subrev_u32_e32 v20, 28, v15
	v_and_b32_e32 v11, 15, v11
	v_lshlrev_b32_sdwa v20, v20, v16 dst_sel:DWORD dst_unused:UNUSED_PAD src0_sel:DWORD src1_sel:WORD_1
	v_bfe_u32 v14, v16, 19, 4
	v_sub_u32_e32 v15, 29, v15
	v_and_b32_e32 v20, 7, v20
	v_cmp_eq_u16_e32 vcc, 0, v11
	v_cndmask_b32_e32 v10, v10, v20, vcc
	v_cndmask_b32_e32 v11, v14, v15, vcc
	v_lshlrev_b32_e32 v14, 8, v16
	v_mov_b32_e32 v15, 0x3b800000
	v_lshlrev_b32_e32 v10, 20, v10
	v_and_b32_e32 v14, 0x80000000, v14
	v_lshl_add_u32 v11, v11, 23, v15
	v_or3_b32 v10, v14, v11, v10
.LBB33_852:
	s_or_b64 exec, exec, s[6:7]
	s_movk_i32 s4, 0xff
	v_and_b32_sdwa v11, v12, s4 dst_sel:DWORD dst_unused:UNUSED_PAD src0_sel:WORD_1 src1_sel:DWORD
	s_movk_i32 s4, 0x7f
	v_cmp_lt_i16_e32 vcc, s4, v11
	s_mov_b64 s[4:5], 0
                                        ; implicit-def: $sgpr10
	s_and_saveexec_b64 s[6:7], vcc
	s_xor_b64 s[6:7], exec, s[6:7]
	s_cbranch_execnz .LBB33_2901
; %bb.853:
	s_or_saveexec_b64 s[6:7], s[6:7]
	v_mov_b32_e32 v14, s10
	s_xor_b64 exec, exec, s[6:7]
	s_cbranch_execnz .LBB33_2904
.LBB33_854:
	s_or_b64 exec, exec, s[6:7]
	s_and_saveexec_b64 s[6:7], s[4:5]
	s_cbranch_execz .LBB33_856
.LBB33_855:
	v_bfe_u32 v11, v12, 16, 3
	v_ffbh_u32_e32 v20, v11
	v_min_u32_e32 v20, 32, v20
	v_lshrrev_b32_e32 v14, 19, v12
	v_subrev_u32_e32 v21, 28, v20
	v_and_b32_e32 v14, 15, v14
	v_lshlrev_b32_sdwa v21, v21, v12 dst_sel:DWORD dst_unused:UNUSED_PAD src0_sel:DWORD src1_sel:WORD_1
	v_bfe_u32 v15, v12, 19, 4
	v_sub_u32_e32 v20, 29, v20
	v_and_b32_e32 v21, 7, v21
	v_cmp_eq_u16_e32 vcc, 0, v14
	v_cndmask_b32_e32 v11, v11, v21, vcc
	v_cndmask_b32_e32 v14, v15, v20, vcc
	v_lshlrev_b32_e32 v15, 8, v12
	v_mov_b32_e32 v20, 0x3b800000
	v_lshlrev_b32_e32 v11, 20, v11
	v_and_b32_e32 v15, 0x80000000, v15
	v_lshl_add_u32 v14, v14, 23, v20
	v_or3_b32 v14, v15, v14, v11
.LBB33_856:
	s_or_b64 exec, exec, s[6:7]
	s_nop 0
	v_mfma_f32_16x16x4f32 a[0:3], v10, v14, a[0:3]
	s_movk_i32 s4, 0x7f
	v_cmp_gt_i16_sdwa s[6:7], v16, s4 src0_sel:BYTE_3 src1_sel:DWORD
	s_mov_b64 s[4:5], 0
                                        ; implicit-def: $sgpr10
	s_and_saveexec_b64 s[8:9], s[6:7]
	s_xor_b64 s[6:7], exec, s[8:9]
	s_cbranch_execnz .LBB33_2905
; %bb.857:
	s_or_saveexec_b64 s[6:7], s[6:7]
	v_mov_b32_e32 v10, s10
	s_xor_b64 exec, exec, s[6:7]
	s_cbranch_execnz .LBB33_2908
.LBB33_858:
	s_or_b64 exec, exec, s[6:7]
	s_and_saveexec_b64 s[6:7], s[4:5]
	s_cbranch_execz .LBB33_860
.LBB33_859:
	v_bfe_u32 v10, v16, 24, 3
	v_ffbh_u32_e32 v20, v10
	v_min_u32_e32 v20, 32, v20
	v_lshrrev_b32_e32 v14, 27, v16
	v_subrev_u32_e32 v21, 28, v20
	v_and_b32_e32 v11, 0x80000000, v16
	v_and_b32_e32 v14, 15, v14
	v_bfe_u32 v15, v16, 27, 4
	v_lshlrev_b32_sdwa v16, v21, v16 dst_sel:DWORD dst_unused:UNUSED_PAD src0_sel:DWORD src1_sel:BYTE_3
	v_sub_u32_e32 v20, 29, v20
	v_and_b32_e32 v16, 7, v16
	v_cmp_eq_u16_e32 vcc, 0, v14
	v_cndmask_b32_e32 v10, v10, v16, vcc
	v_cndmask_b32_e32 v14, v15, v20, vcc
	v_mov_b32_e32 v15, 0x3b800000
	v_lshlrev_b32_e32 v10, 20, v10
	v_lshl_add_u32 v14, v14, 23, v15
	v_or3_b32 v10, v11, v14, v10
.LBB33_860:
	s_or_b64 exec, exec, s[6:7]
	s_movk_i32 s4, 0x7f
	v_cmp_gt_i16_sdwa s[6:7], v12, s4 src0_sel:BYTE_3 src1_sel:DWORD
	s_mov_b64 s[4:5], 0
                                        ; implicit-def: $sgpr10
	s_and_saveexec_b64 s[8:9], s[6:7]
	s_xor_b64 s[6:7], exec, s[8:9]
	s_cbranch_execnz .LBB33_2909
; %bb.861:
	s_or_saveexec_b64 s[6:7], s[6:7]
	v_mov_b32_e32 v11, s10
	s_xor_b64 exec, exec, s[6:7]
	s_cbranch_execnz .LBB33_2912
.LBB33_862:
	s_or_b64 exec, exec, s[6:7]
	s_and_saveexec_b64 s[6:7], s[4:5]
	s_cbranch_execz .LBB33_864
.LBB33_863:
	v_bfe_u32 v11, v12, 24, 3
	v_ffbh_u32_e32 v20, v11
	v_min_u32_e32 v20, 32, v20
	v_lshrrev_b32_e32 v15, 27, v12
	v_subrev_u32_e32 v21, 28, v20
	v_and_b32_e32 v14, 0x80000000, v12
	v_and_b32_e32 v15, 15, v15
	v_bfe_u32 v16, v12, 27, 4
	v_lshlrev_b32_sdwa v12, v21, v12 dst_sel:DWORD dst_unused:UNUSED_PAD src0_sel:DWORD src1_sel:BYTE_3
	v_sub_u32_e32 v20, 29, v20
	v_and_b32_e32 v12, 7, v12
	v_cmp_eq_u16_e32 vcc, 0, v15
	v_cndmask_b32_e32 v11, v11, v12, vcc
	v_cndmask_b32_e32 v12, v16, v20, vcc
	v_mov_b32_e32 v15, 0x3b800000
	v_lshlrev_b32_e32 v11, 20, v11
	v_lshl_add_u32 v12, v12, 23, v15
	v_or3_b32 v11, v14, v12, v11
.LBB33_864:
	s_or_b64 exec, exec, s[6:7]
	s_nop 0
	v_mfma_f32_16x16x4f32 a[0:3], v10, v11, a[0:3]
	s_movk_i32 s4, 0x7f
	v_cmp_gt_i16_sdwa s[6:7], v17, s4 src0_sel:BYTE_0 src1_sel:DWORD
	s_mov_b64 s[4:5], 0
                                        ; implicit-def: $sgpr10
	s_and_saveexec_b64 s[8:9], s[6:7]
	s_xor_b64 s[6:7], exec, s[8:9]
	s_cbranch_execnz .LBB33_2913
; %bb.865:
	s_or_saveexec_b64 s[6:7], s[6:7]
	v_mov_b32_e32 v10, s10
	s_xor_b64 exec, exec, s[6:7]
	s_cbranch_execnz .LBB33_2916
.LBB33_866:
	s_or_b64 exec, exec, s[6:7]
	s_and_saveexec_b64 s[6:7], s[4:5]
	s_cbranch_execz .LBB33_868
.LBB33_867:
	v_and_b32_e32 v10, 7, v17
	v_ffbh_u32_e32 v12, v10
	v_min_u32_e32 v12, 32, v12
	v_lshrrev_b16_e32 v11, 3, v17
	v_subrev_u32_e32 v14, 28, v12
	v_and_b32_e32 v11, 15, v11
	v_lshlrev_b32_e32 v14, v14, v17
	v_sub_u32_e32 v12, 29, v12
	v_and_b32_e32 v14, 7, v14
	v_cmp_eq_u16_e32 vcc, 0, v11
	v_cndmask_b32_e32 v10, v10, v14, vcc
	v_cndmask_b32_e32 v11, v11, v12, vcc
	v_lshlrev_b32_e32 v12, 24, v17
	v_mov_b32_e32 v14, 0x3b800000
	v_lshlrev_b32_e32 v10, 20, v10
	v_and_b32_e32 v12, 0x80000000, v12
	v_lshl_add_u32 v11, v11, 23, v14
	v_or3_b32 v10, v12, v11, v10
.LBB33_868:
	s_or_b64 exec, exec, s[6:7]
	s_movk_i32 s4, 0x7f
	v_cmp_gt_i16_sdwa s[6:7], v13, s4 src0_sel:BYTE_0 src1_sel:DWORD
	s_mov_b64 s[4:5], 0
                                        ; implicit-def: $sgpr10
	s_and_saveexec_b64 s[8:9], s[6:7]
	s_xor_b64 s[6:7], exec, s[8:9]
	s_cbranch_execnz .LBB33_2917
; %bb.869:
	s_or_saveexec_b64 s[6:7], s[6:7]
	v_mov_b32_e32 v11, s10
	s_xor_b64 exec, exec, s[6:7]
	s_cbranch_execnz .LBB33_2920
.LBB33_870:
	s_or_b64 exec, exec, s[6:7]
	s_and_saveexec_b64 s[6:7], s[4:5]
	s_cbranch_execz .LBB33_872
.LBB33_871:
	v_and_b32_e32 v11, 7, v13
	v_ffbh_u32_e32 v14, v11
	v_min_u32_e32 v14, 32, v14
	v_lshrrev_b16_e32 v12, 3, v13
	v_subrev_u32_e32 v15, 28, v14
	v_and_b32_e32 v12, 15, v12
	v_lshlrev_b32_e32 v15, v15, v13
	v_sub_u32_e32 v14, 29, v14
	v_and_b32_e32 v15, 7, v15
	v_cmp_eq_u16_e32 vcc, 0, v12
	v_cndmask_b32_e32 v11, v11, v15, vcc
	v_cndmask_b32_e32 v12, v12, v14, vcc
	v_lshlrev_b32_e32 v14, 24, v13
	v_mov_b32_e32 v15, 0x3b800000
	v_lshlrev_b32_e32 v11, 20, v11
	v_and_b32_e32 v14, 0x80000000, v14
	v_lshl_add_u32 v12, v12, 23, v15
	v_or3_b32 v11, v14, v12, v11
.LBB33_872:
	s_or_b64 exec, exec, s[6:7]
	s_nop 0
	v_mfma_f32_16x16x4f32 a[0:3], v10, v11, a[0:3]
	v_lshrrev_b32_e32 v11, 8, v17
	s_movk_i32 s4, 0x7f
	v_cmp_gt_i16_sdwa s[6:7], v11, s4 src0_sel:BYTE_0 src1_sel:DWORD
	s_mov_b64 s[4:5], 0
                                        ; implicit-def: $sgpr10
	s_and_saveexec_b64 s[8:9], s[6:7]
	s_xor_b64 s[6:7], exec, s[8:9]
	s_cbranch_execnz .LBB33_2921
; %bb.873:
	s_or_saveexec_b64 s[6:7], s[6:7]
	v_mov_b32_e32 v10, s10
	s_xor_b64 exec, exec, s[6:7]
	s_cbranch_execnz .LBB33_2924
.LBB33_874:
	s_or_b64 exec, exec, s[6:7]
	s_and_saveexec_b64 s[6:7], s[4:5]
	s_cbranch_execz .LBB33_876
.LBB33_875:
	v_bfe_u32 v10, v17, 8, 3
	v_ffbh_u32_e32 v14, v10
	v_min_u32_e32 v14, 32, v14
	v_lshrrev_b16_e32 v12, 3, v11
	v_subrev_u32_e32 v15, 28, v14
	v_and_b32_e32 v12, 15, v12
	v_lshlrev_b32_e32 v11, v15, v11
	v_sub_u32_e32 v14, 29, v14
	v_and_b32_e32 v11, 7, v11
	v_cmp_eq_u16_e32 vcc, 0, v12
	v_cndmask_b32_e32 v10, v10, v11, vcc
	v_cndmask_b32_e32 v11, v12, v14, vcc
	v_lshlrev_b32_e32 v12, 16, v17
	v_mov_b32_e32 v14, 0x3b800000
	v_lshlrev_b32_e32 v10, 20, v10
	v_and_b32_e32 v12, 0x80000000, v12
	v_lshl_add_u32 v11, v11, 23, v14
	v_or3_b32 v10, v12, v11, v10
.LBB33_876:
	s_or_b64 exec, exec, s[6:7]
	v_lshrrev_b32_e32 v11, 8, v13
	s_movk_i32 s4, 0x7f
	v_cmp_gt_i16_sdwa s[6:7], v11, s4 src0_sel:BYTE_0 src1_sel:DWORD
	s_mov_b64 s[4:5], 0
                                        ; implicit-def: $sgpr10
	s_and_saveexec_b64 s[8:9], s[6:7]
	s_xor_b64 s[6:7], exec, s[8:9]
	s_cbranch_execnz .LBB33_2925
; %bb.877:
	s_or_saveexec_b64 s[6:7], s[6:7]
	v_mov_b32_e32 v12, s10
	s_xor_b64 exec, exec, s[6:7]
	s_cbranch_execnz .LBB33_2928
.LBB33_878:
	s_or_b64 exec, exec, s[6:7]
	s_and_saveexec_b64 s[6:7], s[4:5]
	s_cbranch_execz .LBB33_880
.LBB33_879:
	v_bfe_u32 v12, v13, 8, 3
	v_ffbh_u32_e32 v15, v12
	v_min_u32_e32 v15, 32, v15
	v_lshrrev_b16_e32 v14, 3, v11
	v_subrev_u32_e32 v16, 28, v15
	v_and_b32_e32 v14, 15, v14
	v_lshlrev_b32_e32 v11, v16, v11
	v_sub_u32_e32 v15, 29, v15
	v_and_b32_e32 v11, 7, v11
	v_cmp_eq_u16_e32 vcc, 0, v14
	v_cndmask_b32_e32 v11, v12, v11, vcc
	v_cndmask_b32_e32 v12, v14, v15, vcc
	v_lshlrev_b32_e32 v14, 16, v13
	v_mov_b32_e32 v15, 0x3b800000
	v_lshlrev_b32_e32 v11, 20, v11
	v_and_b32_e32 v14, 0x80000000, v14
	v_lshl_add_u32 v12, v12, 23, v15
	v_or3_b32 v12, v14, v12, v11
.LBB33_880:
	s_or_b64 exec, exec, s[6:7]
	s_nop 0
	v_mfma_f32_16x16x4f32 a[0:3], v10, v12, a[0:3]
	s_movk_i32 s4, 0xff
	v_and_b32_sdwa v11, v17, s4 dst_sel:DWORD dst_unused:UNUSED_PAD src0_sel:WORD_1 src1_sel:DWORD
	s_movk_i32 s4, 0x7f
	v_cmp_lt_i16_e32 vcc, s4, v11
	s_mov_b64 s[4:5], 0
                                        ; implicit-def: $sgpr10
	s_and_saveexec_b64 s[6:7], vcc
	s_xor_b64 s[6:7], exec, s[6:7]
	s_cbranch_execnz .LBB33_2929
; %bb.881:
	s_or_saveexec_b64 s[6:7], s[6:7]
	v_mov_b32_e32 v10, s10
	s_xor_b64 exec, exec, s[6:7]
	s_cbranch_execnz .LBB33_2932
.LBB33_882:
	s_or_b64 exec, exec, s[6:7]
	s_and_saveexec_b64 s[6:7], s[4:5]
	s_cbranch_execz .LBB33_884
.LBB33_883:
	v_bfe_u32 v10, v17, 16, 3
	v_ffbh_u32_e32 v14, v10
	v_min_u32_e32 v14, 32, v14
	v_lshrrev_b32_e32 v11, 19, v17
	v_subrev_u32_e32 v15, 28, v14
	v_and_b32_e32 v11, 15, v11
	v_lshlrev_b32_sdwa v15, v15, v17 dst_sel:DWORD dst_unused:UNUSED_PAD src0_sel:DWORD src1_sel:WORD_1
	v_bfe_u32 v12, v17, 19, 4
	v_sub_u32_e32 v14, 29, v14
	v_and_b32_e32 v15, 7, v15
	v_cmp_eq_u16_e32 vcc, 0, v11
	v_cndmask_b32_e32 v10, v10, v15, vcc
	v_cndmask_b32_e32 v11, v12, v14, vcc
	v_lshlrev_b32_e32 v12, 8, v17
	v_mov_b32_e32 v14, 0x3b800000
	v_lshlrev_b32_e32 v10, 20, v10
	v_and_b32_e32 v12, 0x80000000, v12
	v_lshl_add_u32 v11, v11, 23, v14
	v_or3_b32 v10, v12, v11, v10
.LBB33_884:
	s_or_b64 exec, exec, s[6:7]
	s_movk_i32 s4, 0xff
	v_and_b32_sdwa v11, v13, s4 dst_sel:DWORD dst_unused:UNUSED_PAD src0_sel:WORD_1 src1_sel:DWORD
	s_movk_i32 s4, 0x7f
	v_cmp_lt_i16_e32 vcc, s4, v11
	s_mov_b64 s[4:5], 0
                                        ; implicit-def: $sgpr10
	s_and_saveexec_b64 s[6:7], vcc
	s_xor_b64 s[6:7], exec, s[6:7]
	s_cbranch_execnz .LBB33_2933
; %bb.885:
	s_or_saveexec_b64 s[6:7], s[6:7]
	v_mov_b32_e32 v12, s10
	s_xor_b64 exec, exec, s[6:7]
	s_cbranch_execnz .LBB33_2936
.LBB33_886:
	s_or_b64 exec, exec, s[6:7]
	s_and_saveexec_b64 s[6:7], s[4:5]
	s_cbranch_execz .LBB33_888
.LBB33_887:
	v_bfe_u32 v11, v13, 16, 3
	v_ffbh_u32_e32 v15, v11
	v_min_u32_e32 v15, 32, v15
	v_lshrrev_b32_e32 v12, 19, v13
	v_subrev_u32_e32 v16, 28, v15
	v_and_b32_e32 v12, 15, v12
	v_lshlrev_b32_sdwa v16, v16, v13 dst_sel:DWORD dst_unused:UNUSED_PAD src0_sel:DWORD src1_sel:WORD_1
	v_bfe_u32 v14, v13, 19, 4
	v_sub_u32_e32 v15, 29, v15
	v_and_b32_e32 v16, 7, v16
	v_cmp_eq_u16_e32 vcc, 0, v12
	v_cndmask_b32_e32 v11, v11, v16, vcc
	v_cndmask_b32_e32 v12, v14, v15, vcc
	v_lshlrev_b32_e32 v14, 8, v13
	v_mov_b32_e32 v15, 0x3b800000
	v_lshlrev_b32_e32 v11, 20, v11
	v_and_b32_e32 v14, 0x80000000, v14
	v_lshl_add_u32 v12, v12, 23, v15
	v_or3_b32 v12, v14, v12, v11
.LBB33_888:
	s_or_b64 exec, exec, s[6:7]
	s_nop 0
	v_mfma_f32_16x16x4f32 a[0:3], v10, v12, a[0:3]
	s_movk_i32 s4, 0x7f
	v_cmp_gt_i16_sdwa s[6:7], v17, s4 src0_sel:BYTE_3 src1_sel:DWORD
	s_mov_b64 s[4:5], 0
                                        ; implicit-def: $sgpr10
	s_and_saveexec_b64 s[8:9], s[6:7]
	s_xor_b64 s[6:7], exec, s[8:9]
	s_cbranch_execnz .LBB33_2937
; %bb.889:
	s_or_saveexec_b64 s[6:7], s[6:7]
	v_mov_b32_e32 v10, s10
	s_xor_b64 exec, exec, s[6:7]
	s_cbranch_execnz .LBB33_2940
.LBB33_890:
	s_or_b64 exec, exec, s[6:7]
	s_and_saveexec_b64 s[6:7], s[4:5]
	s_cbranch_execz .LBB33_892
.LBB33_891:
	v_bfe_u32 v10, v17, 24, 3
	v_ffbh_u32_e32 v15, v10
	v_min_u32_e32 v15, 32, v15
	v_lshrrev_b32_e32 v12, 27, v17
	v_subrev_u32_e32 v16, 28, v15
	v_and_b32_e32 v12, 15, v12
	v_lshlrev_b32_sdwa v16, v16, v17 dst_sel:DWORD dst_unused:UNUSED_PAD src0_sel:DWORD src1_sel:BYTE_3
	v_bfe_u32 v14, v17, 27, 4
	v_sub_u32_e32 v15, 29, v15
	v_and_b32_e32 v16, 7, v16
	v_cmp_eq_u16_e32 vcc, 0, v12
	v_cndmask_b32_e32 v10, v10, v16, vcc
	v_cndmask_b32_e32 v12, v14, v15, vcc
	v_mov_b32_e32 v14, 0x3b800000
	v_and_b32_e32 v11, 0x80000000, v17
	v_lshlrev_b32_e32 v10, 20, v10
	v_lshl_add_u32 v12, v12, 23, v14
	v_or3_b32 v10, v11, v12, v10
.LBB33_892:
	s_or_b64 exec, exec, s[6:7]
	s_movk_i32 s4, 0x7f
	v_cmp_gt_i16_sdwa s[6:7], v13, s4 src0_sel:BYTE_3 src1_sel:DWORD
	s_mov_b64 s[4:5], 0
                                        ; implicit-def: $sgpr10
	s_and_saveexec_b64 s[8:9], s[6:7]
	s_xor_b64 s[6:7], exec, s[8:9]
	s_cbranch_execnz .LBB33_2941
; %bb.893:
	s_or_saveexec_b64 s[6:7], s[6:7]
	v_mov_b32_e32 v11, s10
	s_xor_b64 exec, exec, s[6:7]
	s_cbranch_execnz .LBB33_2944
.LBB33_894:
	s_or_b64 exec, exec, s[6:7]
	s_and_saveexec_b64 s[6:7], s[4:5]
	s_cbranch_execz .LBB33_896
.LBB33_895:
	v_bfe_u32 v11, v13, 24, 3
	v_ffbh_u32_e32 v16, v11
	v_min_u32_e32 v16, 32, v16
	v_lshrrev_b32_e32 v14, 27, v13
	v_subrev_u32_e32 v17, 28, v16
	v_and_b32_e32 v12, 0x80000000, v13
	v_and_b32_e32 v14, 15, v14
	v_bfe_u32 v15, v13, 27, 4
	v_lshlrev_b32_sdwa v13, v17, v13 dst_sel:DWORD dst_unused:UNUSED_PAD src0_sel:DWORD src1_sel:BYTE_3
	v_sub_u32_e32 v16, 29, v16
	v_and_b32_e32 v13, 7, v13
	v_cmp_eq_u16_e32 vcc, 0, v14
	v_cndmask_b32_e32 v11, v11, v13, vcc
	v_cndmask_b32_e32 v13, v15, v16, vcc
	v_mov_b32_e32 v14, 0x3b800000
	v_lshlrev_b32_e32 v11, 20, v11
	v_lshl_add_u32 v13, v13, 23, v14
	v_or3_b32 v11, v12, v13, v11
.LBB33_896:
	s_or_b64 exec, exec, s[6:7]
	s_nop 0
	v_mfma_f32_16x16x4f32 a[0:3], v10, v11, a[0:3]
	s_movk_i32 s4, 0x7f
	v_cmp_gt_i16_sdwa s[6:7], v6, s4 src0_sel:BYTE_0 src1_sel:DWORD
	s_mov_b64 s[4:5], 0
                                        ; implicit-def: $sgpr10
	s_and_saveexec_b64 s[8:9], s[6:7]
	s_xor_b64 s[6:7], exec, s[8:9]
	s_cbranch_execnz .LBB33_2945
; %bb.897:
	s_or_saveexec_b64 s[6:7], s[6:7]
	v_mov_b32_e32 v10, s10
	s_xor_b64 exec, exec, s[6:7]
	s_cbranch_execnz .LBB33_2948
.LBB33_898:
	s_or_b64 exec, exec, s[6:7]
	s_and_saveexec_b64 s[6:7], s[4:5]
	s_cbranch_execz .LBB33_900
.LBB33_899:
	v_and_b32_e32 v10, 7, v6
	v_ffbh_u32_e32 v12, v10
	v_min_u32_e32 v12, 32, v12
	v_lshrrev_b16_e32 v11, 3, v6
	v_subrev_u32_e32 v13, 28, v12
	v_and_b32_e32 v11, 15, v11
	v_lshlrev_b32_e32 v13, v13, v6
	v_sub_u32_e32 v12, 29, v12
	v_and_b32_e32 v13, 7, v13
	v_cmp_eq_u16_e32 vcc, 0, v11
	v_cndmask_b32_e32 v10, v10, v13, vcc
	v_cndmask_b32_e32 v11, v11, v12, vcc
	v_lshlrev_b32_e32 v12, 24, v6
	v_mov_b32_e32 v13, 0x3b800000
	v_lshlrev_b32_e32 v10, 20, v10
	v_and_b32_e32 v12, 0x80000000, v12
	v_lshl_add_u32 v11, v11, 23, v13
	v_or3_b32 v10, v12, v11, v10
.LBB33_900:
	s_or_b64 exec, exec, s[6:7]
	s_movk_i32 s4, 0x7f
	v_cmp_gt_i16_sdwa s[6:7], v2, s4 src0_sel:BYTE_0 src1_sel:DWORD
	s_mov_b64 s[4:5], 0
                                        ; implicit-def: $sgpr10
	s_and_saveexec_b64 s[8:9], s[6:7]
	s_xor_b64 s[6:7], exec, s[8:9]
	s_cbranch_execnz .LBB33_2949
; %bb.901:
	s_or_saveexec_b64 s[6:7], s[6:7]
	v_mov_b32_e32 v11, s10
	s_xor_b64 exec, exec, s[6:7]
	s_cbranch_execnz .LBB33_2952
.LBB33_902:
	s_or_b64 exec, exec, s[6:7]
	s_and_saveexec_b64 s[6:7], s[4:5]
	s_cbranch_execz .LBB33_904
.LBB33_903:
	v_and_b32_e32 v11, 7, v2
	v_ffbh_u32_e32 v13, v11
	v_min_u32_e32 v13, 32, v13
	v_lshrrev_b16_e32 v12, 3, v2
	v_subrev_u32_e32 v14, 28, v13
	v_and_b32_e32 v12, 15, v12
	v_lshlrev_b32_e32 v14, v14, v2
	v_sub_u32_e32 v13, 29, v13
	v_and_b32_e32 v14, 7, v14
	v_cmp_eq_u16_e32 vcc, 0, v12
	v_cndmask_b32_e32 v11, v11, v14, vcc
	v_cndmask_b32_e32 v12, v12, v13, vcc
	v_lshlrev_b32_e32 v13, 24, v2
	v_mov_b32_e32 v14, 0x3b800000
	v_lshlrev_b32_e32 v11, 20, v11
	v_and_b32_e32 v13, 0x80000000, v13
	v_lshl_add_u32 v12, v12, 23, v14
	v_or3_b32 v11, v13, v12, v11
.LBB33_904:
	s_or_b64 exec, exec, s[6:7]
	s_nop 0
	v_mfma_f32_16x16x4f32 a[0:3], v10, v11, a[0:3]
	v_lshrrev_b32_e32 v11, 8, v6
	s_movk_i32 s4, 0x7f
	v_cmp_gt_i16_sdwa s[6:7], v11, s4 src0_sel:BYTE_0 src1_sel:DWORD
	s_mov_b64 s[4:5], 0
                                        ; implicit-def: $sgpr10
	s_and_saveexec_b64 s[8:9], s[6:7]
	s_xor_b64 s[6:7], exec, s[8:9]
	s_cbranch_execnz .LBB33_2953
; %bb.905:
	s_or_saveexec_b64 s[6:7], s[6:7]
	v_mov_b32_e32 v10, s10
	s_xor_b64 exec, exec, s[6:7]
	s_cbranch_execnz .LBB33_2956
.LBB33_906:
	s_or_b64 exec, exec, s[6:7]
	s_and_saveexec_b64 s[6:7], s[4:5]
	s_cbranch_execz .LBB33_908
.LBB33_907:
	v_bfe_u32 v10, v6, 8, 3
	v_ffbh_u32_e32 v13, v10
	v_min_u32_e32 v13, 32, v13
	v_lshrrev_b16_e32 v12, 3, v11
	v_subrev_u32_e32 v14, 28, v13
	v_and_b32_e32 v12, 15, v12
	v_lshlrev_b32_e32 v11, v14, v11
	v_sub_u32_e32 v13, 29, v13
	v_and_b32_e32 v11, 7, v11
	v_cmp_eq_u16_e32 vcc, 0, v12
	v_cndmask_b32_e32 v10, v10, v11, vcc
	v_cndmask_b32_e32 v11, v12, v13, vcc
	v_lshlrev_b32_e32 v12, 16, v6
	v_mov_b32_e32 v13, 0x3b800000
	v_lshlrev_b32_e32 v10, 20, v10
	v_and_b32_e32 v12, 0x80000000, v12
	v_lshl_add_u32 v11, v11, 23, v13
	v_or3_b32 v10, v12, v11, v10
.LBB33_908:
	s_or_b64 exec, exec, s[6:7]
	v_lshrrev_b32_e32 v11, 8, v2
	s_movk_i32 s4, 0x7f
	v_cmp_gt_i16_sdwa s[6:7], v11, s4 src0_sel:BYTE_0 src1_sel:DWORD
	s_mov_b64 s[4:5], 0
                                        ; implicit-def: $sgpr10
	s_and_saveexec_b64 s[8:9], s[6:7]
	s_xor_b64 s[6:7], exec, s[8:9]
	s_cbranch_execnz .LBB33_2957
; %bb.909:
	s_or_saveexec_b64 s[6:7], s[6:7]
	v_mov_b32_e32 v12, s10
	s_xor_b64 exec, exec, s[6:7]
	s_cbranch_execnz .LBB33_2960
.LBB33_910:
	s_or_b64 exec, exec, s[6:7]
	s_and_saveexec_b64 s[6:7], s[4:5]
	s_cbranch_execz .LBB33_912
.LBB33_911:
	v_bfe_u32 v12, v2, 8, 3
	v_ffbh_u32_e32 v14, v12
	v_min_u32_e32 v14, 32, v14
	v_lshrrev_b16_e32 v13, 3, v11
	v_subrev_u32_e32 v15, 28, v14
	v_and_b32_e32 v13, 15, v13
	v_lshlrev_b32_e32 v11, v15, v11
	v_sub_u32_e32 v14, 29, v14
	v_and_b32_e32 v11, 7, v11
	v_cmp_eq_u16_e32 vcc, 0, v13
	v_cndmask_b32_e32 v11, v12, v11, vcc
	v_cndmask_b32_e32 v12, v13, v14, vcc
	v_lshlrev_b32_e32 v13, 16, v2
	v_mov_b32_e32 v14, 0x3b800000
	v_lshlrev_b32_e32 v11, 20, v11
	v_and_b32_e32 v13, 0x80000000, v13
	v_lshl_add_u32 v12, v12, 23, v14
	v_or3_b32 v12, v13, v12, v11
.LBB33_912:
	s_or_b64 exec, exec, s[6:7]
	s_nop 0
	v_mfma_f32_16x16x4f32 a[0:3], v10, v12, a[0:3]
	s_movk_i32 s4, 0xff
	v_and_b32_sdwa v11, v6, s4 dst_sel:DWORD dst_unused:UNUSED_PAD src0_sel:WORD_1 src1_sel:DWORD
	s_movk_i32 s4, 0x7f
	v_cmp_lt_i16_e32 vcc, s4, v11
	s_mov_b64 s[4:5], 0
                                        ; implicit-def: $sgpr10
	s_and_saveexec_b64 s[6:7], vcc
	s_xor_b64 s[6:7], exec, s[6:7]
	s_cbranch_execnz .LBB33_2961
; %bb.913:
	s_or_saveexec_b64 s[6:7], s[6:7]
	v_mov_b32_e32 v10, s10
	s_xor_b64 exec, exec, s[6:7]
	s_cbranch_execnz .LBB33_2964
.LBB33_914:
	s_or_b64 exec, exec, s[6:7]
	s_and_saveexec_b64 s[6:7], s[4:5]
	s_cbranch_execz .LBB33_916
.LBB33_915:
	v_bfe_u32 v10, v6, 16, 3
	v_ffbh_u32_e32 v13, v10
	v_min_u32_e32 v13, 32, v13
	v_lshrrev_b32_e32 v11, 19, v6
	v_subrev_u32_e32 v14, 28, v13
	v_and_b32_e32 v11, 15, v11
	v_lshlrev_b32_sdwa v14, v14, v6 dst_sel:DWORD dst_unused:UNUSED_PAD src0_sel:DWORD src1_sel:WORD_1
	v_bfe_u32 v12, v6, 19, 4
	v_sub_u32_e32 v13, 29, v13
	v_and_b32_e32 v14, 7, v14
	v_cmp_eq_u16_e32 vcc, 0, v11
	v_cndmask_b32_e32 v10, v10, v14, vcc
	v_cndmask_b32_e32 v11, v12, v13, vcc
	v_lshlrev_b32_e32 v12, 8, v6
	v_mov_b32_e32 v13, 0x3b800000
	v_lshlrev_b32_e32 v10, 20, v10
	v_and_b32_e32 v12, 0x80000000, v12
	v_lshl_add_u32 v11, v11, 23, v13
	v_or3_b32 v10, v12, v11, v10
.LBB33_916:
	s_or_b64 exec, exec, s[6:7]
	s_movk_i32 s4, 0xff
	v_and_b32_sdwa v11, v2, s4 dst_sel:DWORD dst_unused:UNUSED_PAD src0_sel:WORD_1 src1_sel:DWORD
	s_movk_i32 s4, 0x7f
	v_cmp_lt_i16_e32 vcc, s4, v11
	s_mov_b64 s[4:5], 0
                                        ; implicit-def: $sgpr10
	s_and_saveexec_b64 s[6:7], vcc
	s_xor_b64 s[6:7], exec, s[6:7]
	s_cbranch_execnz .LBB33_2965
; %bb.917:
	s_or_saveexec_b64 s[6:7], s[6:7]
	v_mov_b32_e32 v12, s10
	s_xor_b64 exec, exec, s[6:7]
	s_cbranch_execnz .LBB33_2968
.LBB33_918:
	s_or_b64 exec, exec, s[6:7]
	s_and_saveexec_b64 s[6:7], s[4:5]
	s_cbranch_execz .LBB33_920
.LBB33_919:
	v_bfe_u32 v11, v2, 16, 3
	v_ffbh_u32_e32 v14, v11
	v_min_u32_e32 v14, 32, v14
	v_lshrrev_b32_e32 v12, 19, v2
	v_subrev_u32_e32 v15, 28, v14
	v_and_b32_e32 v12, 15, v12
	v_lshlrev_b32_sdwa v15, v15, v2 dst_sel:DWORD dst_unused:UNUSED_PAD src0_sel:DWORD src1_sel:WORD_1
	v_bfe_u32 v13, v2, 19, 4
	v_sub_u32_e32 v14, 29, v14
	v_and_b32_e32 v15, 7, v15
	v_cmp_eq_u16_e32 vcc, 0, v12
	v_cndmask_b32_e32 v11, v11, v15, vcc
	v_cndmask_b32_e32 v12, v13, v14, vcc
	v_lshlrev_b32_e32 v13, 8, v2
	v_mov_b32_e32 v14, 0x3b800000
	v_lshlrev_b32_e32 v11, 20, v11
	v_and_b32_e32 v13, 0x80000000, v13
	v_lshl_add_u32 v12, v12, 23, v14
	v_or3_b32 v12, v13, v12, v11
.LBB33_920:
	s_or_b64 exec, exec, s[6:7]
	s_nop 0
	v_mfma_f32_16x16x4f32 a[0:3], v10, v12, a[0:3]
	s_movk_i32 s4, 0x7f
	v_cmp_gt_i16_sdwa s[6:7], v6, s4 src0_sel:BYTE_3 src1_sel:DWORD
	s_mov_b64 s[4:5], 0
                                        ; implicit-def: $sgpr10
	s_and_saveexec_b64 s[8:9], s[6:7]
	s_xor_b64 s[6:7], exec, s[8:9]
	s_cbranch_execnz .LBB33_2969
; %bb.921:
	s_or_saveexec_b64 s[6:7], s[6:7]
	v_mov_b32_e32 v10, s10
	s_xor_b64 exec, exec, s[6:7]
	s_cbranch_execnz .LBB33_2972
.LBB33_922:
	s_or_b64 exec, exec, s[6:7]
	s_and_saveexec_b64 s[6:7], s[4:5]
	s_cbranch_execz .LBB33_924
.LBB33_923:
	v_bfe_u32 v10, v6, 24, 3
	v_ffbh_u32_e32 v14, v10
	v_min_u32_e32 v14, 32, v14
	v_lshrrev_b32_e32 v12, 27, v6
	v_subrev_u32_e32 v15, 28, v14
	v_and_b32_e32 v11, 0x80000000, v6
	v_and_b32_e32 v12, 15, v12
	v_bfe_u32 v13, v6, 27, 4
	v_lshlrev_b32_sdwa v6, v15, v6 dst_sel:DWORD dst_unused:UNUSED_PAD src0_sel:DWORD src1_sel:BYTE_3
	v_sub_u32_e32 v14, 29, v14
	v_and_b32_e32 v6, 7, v6
	v_cmp_eq_u16_e32 vcc, 0, v12
	v_cndmask_b32_e32 v6, v10, v6, vcc
	v_cndmask_b32_e32 v10, v13, v14, vcc
	v_mov_b32_e32 v12, 0x3b800000
	v_lshlrev_b32_e32 v6, 20, v6
	v_lshl_add_u32 v10, v10, 23, v12
	v_or3_b32 v10, v11, v10, v6
.LBB33_924:
	s_or_b64 exec, exec, s[6:7]
	s_movk_i32 s4, 0x7f
	v_cmp_gt_i16_sdwa s[6:7], v2, s4 src0_sel:BYTE_3 src1_sel:DWORD
	s_mov_b64 s[4:5], 0
                                        ; implicit-def: $sgpr10
	s_and_saveexec_b64 s[8:9], s[6:7]
	s_xor_b64 s[6:7], exec, s[8:9]
	s_cbranch_execnz .LBB33_2973
; %bb.925:
	s_or_saveexec_b64 s[6:7], s[6:7]
	v_mov_b32_e32 v6, s10
	s_xor_b64 exec, exec, s[6:7]
	s_cbranch_execnz .LBB33_2976
.LBB33_926:
	s_or_b64 exec, exec, s[6:7]
	s_and_saveexec_b64 s[6:7], s[4:5]
	s_cbranch_execz .LBB33_928
.LBB33_927:
	v_bfe_u32 v6, v2, 24, 3
	v_ffbh_u32_e32 v14, v6
	v_min_u32_e32 v14, 32, v14
	v_lshrrev_b32_e32 v12, 27, v2
	v_subrev_u32_e32 v15, 28, v14
	v_and_b32_e32 v11, 0x80000000, v2
	v_and_b32_e32 v12, 15, v12
	v_bfe_u32 v13, v2, 27, 4
	v_lshlrev_b32_sdwa v2, v15, v2 dst_sel:DWORD dst_unused:UNUSED_PAD src0_sel:DWORD src1_sel:BYTE_3
	v_sub_u32_e32 v14, 29, v14
	v_and_b32_e32 v2, 7, v2
	v_cmp_eq_u16_e32 vcc, 0, v12
	v_cndmask_b32_e32 v2, v6, v2, vcc
	v_cndmask_b32_e32 v6, v13, v14, vcc
	v_mov_b32_e32 v12, 0x3b800000
	v_lshlrev_b32_e32 v2, 20, v2
	v_lshl_add_u32 v6, v6, 23, v12
	v_or3_b32 v6, v11, v6, v2
.LBB33_928:
	s_or_b64 exec, exec, s[6:7]
	s_nop 0
	v_mfma_f32_16x16x4f32 a[0:3], v10, v6, a[0:3]
	s_movk_i32 s4, 0x7f
	v_cmp_gt_i16_sdwa s[6:7], v7, s4 src0_sel:BYTE_0 src1_sel:DWORD
	s_mov_b64 s[4:5], 0
                                        ; implicit-def: $sgpr10
	s_and_saveexec_b64 s[8:9], s[6:7]
	s_xor_b64 s[6:7], exec, s[8:9]
	s_cbranch_execnz .LBB33_2977
; %bb.929:
	s_or_saveexec_b64 s[6:7], s[6:7]
	v_mov_b32_e32 v2, s10
	s_xor_b64 exec, exec, s[6:7]
	s_cbranch_execnz .LBB33_2980
.LBB33_930:
	s_or_b64 exec, exec, s[6:7]
	s_and_saveexec_b64 s[6:7], s[4:5]
	s_cbranch_execz .LBB33_932
.LBB33_931:
	v_and_b32_e32 v2, 7, v7
	v_ffbh_u32_e32 v10, v2
	v_min_u32_e32 v10, 32, v10
	v_lshrrev_b16_e32 v6, 3, v7
	v_subrev_u32_e32 v11, 28, v10
	v_and_b32_e32 v6, 15, v6
	v_lshlrev_b32_e32 v11, v11, v7
	v_sub_u32_e32 v10, 29, v10
	v_and_b32_e32 v11, 7, v11
	v_cmp_eq_u16_e32 vcc, 0, v6
	v_cndmask_b32_e32 v2, v2, v11, vcc
	v_cndmask_b32_e32 v6, v6, v10, vcc
	v_lshlrev_b32_e32 v10, 24, v7
	v_mov_b32_e32 v11, 0x3b800000
	v_lshlrev_b32_e32 v2, 20, v2
	v_and_b32_e32 v10, 0x80000000, v10
	v_lshl_add_u32 v6, v6, 23, v11
	v_or3_b32 v2, v10, v6, v2
.LBB33_932:
	s_or_b64 exec, exec, s[6:7]
	s_movk_i32 s4, 0x7f
	v_cmp_gt_i16_sdwa s[6:7], v3, s4 src0_sel:BYTE_0 src1_sel:DWORD
	s_mov_b64 s[4:5], 0
                                        ; implicit-def: $sgpr10
	s_and_saveexec_b64 s[8:9], s[6:7]
	s_xor_b64 s[6:7], exec, s[8:9]
	s_cbranch_execnz .LBB33_2981
; %bb.933:
	s_or_saveexec_b64 s[6:7], s[6:7]
	v_mov_b32_e32 v6, s10
	s_xor_b64 exec, exec, s[6:7]
	s_cbranch_execnz .LBB33_2984
.LBB33_934:
	s_or_b64 exec, exec, s[6:7]
	s_and_saveexec_b64 s[6:7], s[4:5]
	s_cbranch_execz .LBB33_936
.LBB33_935:
	v_and_b32_e32 v6, 7, v3
	v_ffbh_u32_e32 v11, v6
	v_min_u32_e32 v11, 32, v11
	v_lshrrev_b16_e32 v10, 3, v3
	v_subrev_u32_e32 v12, 28, v11
	v_and_b32_e32 v10, 15, v10
	v_lshlrev_b32_e32 v12, v12, v3
	v_sub_u32_e32 v11, 29, v11
	v_and_b32_e32 v12, 7, v12
	v_cmp_eq_u16_e32 vcc, 0, v10
	v_cndmask_b32_e32 v6, v6, v12, vcc
	v_cndmask_b32_e32 v10, v10, v11, vcc
	v_lshlrev_b32_e32 v11, 24, v3
	v_mov_b32_e32 v12, 0x3b800000
	v_lshlrev_b32_e32 v6, 20, v6
	v_and_b32_e32 v11, 0x80000000, v11
	v_lshl_add_u32 v10, v10, 23, v12
	v_or3_b32 v6, v11, v10, v6
.LBB33_936:
	s_or_b64 exec, exec, s[6:7]
	s_nop 0
	v_mfma_f32_16x16x4f32 a[0:3], v2, v6, a[0:3]
	v_lshrrev_b32_e32 v6, 8, v7
	s_movk_i32 s4, 0x7f
	v_cmp_gt_i16_sdwa s[6:7], v6, s4 src0_sel:BYTE_0 src1_sel:DWORD
	s_mov_b64 s[4:5], 0
                                        ; implicit-def: $sgpr10
	s_and_saveexec_b64 s[8:9], s[6:7]
	s_xor_b64 s[6:7], exec, s[8:9]
	s_cbranch_execnz .LBB33_2985
; %bb.937:
	s_or_saveexec_b64 s[6:7], s[6:7]
	v_mov_b32_e32 v2, s10
	s_xor_b64 exec, exec, s[6:7]
	s_cbranch_execnz .LBB33_2988
.LBB33_938:
	s_or_b64 exec, exec, s[6:7]
	s_and_saveexec_b64 s[6:7], s[4:5]
	s_cbranch_execz .LBB33_940
.LBB33_939:
	v_bfe_u32 v2, v7, 8, 3
	v_ffbh_u32_e32 v11, v2
	v_min_u32_e32 v11, 32, v11
	v_lshrrev_b16_e32 v10, 3, v6
	v_subrev_u32_e32 v12, 28, v11
	v_and_b32_e32 v10, 15, v10
	v_lshlrev_b32_e32 v6, v12, v6
	v_sub_u32_e32 v11, 29, v11
	v_and_b32_e32 v6, 7, v6
	v_cmp_eq_u16_e32 vcc, 0, v10
	v_cndmask_b32_e32 v2, v2, v6, vcc
	v_cndmask_b32_e32 v6, v10, v11, vcc
	v_lshlrev_b32_e32 v10, 16, v7
	v_mov_b32_e32 v11, 0x3b800000
	v_lshlrev_b32_e32 v2, 20, v2
	v_and_b32_e32 v10, 0x80000000, v10
	v_lshl_add_u32 v6, v6, 23, v11
	v_or3_b32 v2, v10, v6, v2
.LBB33_940:
	s_or_b64 exec, exec, s[6:7]
	v_lshrrev_b32_e32 v6, 8, v3
	s_movk_i32 s4, 0x7f
	v_cmp_gt_i16_sdwa s[6:7], v6, s4 src0_sel:BYTE_0 src1_sel:DWORD
	s_mov_b64 s[4:5], 0
                                        ; implicit-def: $sgpr10
	s_and_saveexec_b64 s[8:9], s[6:7]
	s_xor_b64 s[6:7], exec, s[8:9]
	s_cbranch_execnz .LBB33_2989
; %bb.941:
	s_or_saveexec_b64 s[6:7], s[6:7]
	v_mov_b32_e32 v10, s10
	s_xor_b64 exec, exec, s[6:7]
	s_cbranch_execnz .LBB33_2992
.LBB33_942:
	s_or_b64 exec, exec, s[6:7]
	s_and_saveexec_b64 s[6:7], s[4:5]
	s_cbranch_execz .LBB33_944
.LBB33_943:
	v_bfe_u32 v10, v3, 8, 3
	v_ffbh_u32_e32 v12, v10
	v_min_u32_e32 v12, 32, v12
	v_lshrrev_b16_e32 v11, 3, v6
	v_subrev_u32_e32 v13, 28, v12
	v_and_b32_e32 v11, 15, v11
	v_lshlrev_b32_e32 v6, v13, v6
	v_sub_u32_e32 v12, 29, v12
	v_and_b32_e32 v6, 7, v6
	v_cmp_eq_u16_e32 vcc, 0, v11
	v_cndmask_b32_e32 v6, v10, v6, vcc
	v_cndmask_b32_e32 v10, v11, v12, vcc
	v_lshlrev_b32_e32 v11, 16, v3
	v_mov_b32_e32 v12, 0x3b800000
	v_lshlrev_b32_e32 v6, 20, v6
	v_and_b32_e32 v11, 0x80000000, v11
	v_lshl_add_u32 v10, v10, 23, v12
	v_or3_b32 v10, v11, v10, v6
.LBB33_944:
	s_or_b64 exec, exec, s[6:7]
	s_nop 0
	v_mfma_f32_16x16x4f32 a[0:3], v2, v10, a[0:3]
	s_movk_i32 s4, 0xff
	v_and_b32_sdwa v6, v7, s4 dst_sel:DWORD dst_unused:UNUSED_PAD src0_sel:WORD_1 src1_sel:DWORD
	s_movk_i32 s4, 0x7f
	v_cmp_lt_i16_e32 vcc, s4, v6
	s_mov_b64 s[4:5], 0
                                        ; implicit-def: $sgpr10
	s_and_saveexec_b64 s[6:7], vcc
	s_xor_b64 s[6:7], exec, s[6:7]
	s_cbranch_execnz .LBB33_2993
; %bb.945:
	s_or_saveexec_b64 s[6:7], s[6:7]
	v_mov_b32_e32 v2, s10
	s_xor_b64 exec, exec, s[6:7]
	s_cbranch_execnz .LBB33_2996
.LBB33_946:
	s_or_b64 exec, exec, s[6:7]
	s_and_saveexec_b64 s[6:7], s[4:5]
	s_cbranch_execz .LBB33_948
.LBB33_947:
	v_bfe_u32 v2, v7, 16, 3
	v_ffbh_u32_e32 v11, v2
	v_min_u32_e32 v11, 32, v11
	v_lshrrev_b32_e32 v6, 19, v7
	v_subrev_u32_e32 v12, 28, v11
	v_and_b32_e32 v6, 15, v6
	v_lshlrev_b32_sdwa v12, v12, v7 dst_sel:DWORD dst_unused:UNUSED_PAD src0_sel:DWORD src1_sel:WORD_1
	v_bfe_u32 v10, v7, 19, 4
	v_sub_u32_e32 v11, 29, v11
	v_and_b32_e32 v12, 7, v12
	v_cmp_eq_u16_e32 vcc, 0, v6
	v_cndmask_b32_e32 v2, v2, v12, vcc
	v_cndmask_b32_e32 v6, v10, v11, vcc
	v_lshlrev_b32_e32 v10, 8, v7
	v_mov_b32_e32 v11, 0x3b800000
	v_lshlrev_b32_e32 v2, 20, v2
	v_and_b32_e32 v10, 0x80000000, v10
	v_lshl_add_u32 v6, v6, 23, v11
	v_or3_b32 v2, v10, v6, v2
.LBB33_948:
	s_or_b64 exec, exec, s[6:7]
	s_movk_i32 s4, 0xff
	v_and_b32_sdwa v6, v3, s4 dst_sel:DWORD dst_unused:UNUSED_PAD src0_sel:WORD_1 src1_sel:DWORD
	s_movk_i32 s4, 0x7f
	v_cmp_lt_i16_e32 vcc, s4, v6
	s_mov_b64 s[4:5], 0
                                        ; implicit-def: $sgpr10
	s_and_saveexec_b64 s[6:7], vcc
	s_xor_b64 s[6:7], exec, s[6:7]
	s_cbranch_execnz .LBB33_2997
; %bb.949:
	s_or_saveexec_b64 s[6:7], s[6:7]
	v_mov_b32_e32 v10, s10
	s_xor_b64 exec, exec, s[6:7]
	s_cbranch_execnz .LBB33_3000
.LBB33_950:
	s_or_b64 exec, exec, s[6:7]
	s_and_saveexec_b64 s[6:7], s[4:5]
	s_cbranch_execz .LBB33_952
.LBB33_951:
	v_bfe_u32 v6, v3, 16, 3
	v_ffbh_u32_e32 v12, v6
	v_min_u32_e32 v12, 32, v12
	v_lshrrev_b32_e32 v10, 19, v3
	v_subrev_u32_e32 v13, 28, v12
	v_and_b32_e32 v10, 15, v10
	v_lshlrev_b32_sdwa v13, v13, v3 dst_sel:DWORD dst_unused:UNUSED_PAD src0_sel:DWORD src1_sel:WORD_1
	v_bfe_u32 v11, v3, 19, 4
	v_sub_u32_e32 v12, 29, v12
	v_and_b32_e32 v13, 7, v13
	v_cmp_eq_u16_e32 vcc, 0, v10
	v_cndmask_b32_e32 v6, v6, v13, vcc
	v_cndmask_b32_e32 v10, v11, v12, vcc
	v_lshlrev_b32_e32 v11, 8, v3
	v_mov_b32_e32 v12, 0x3b800000
	v_lshlrev_b32_e32 v6, 20, v6
	v_and_b32_e32 v11, 0x80000000, v11
	v_lshl_add_u32 v10, v10, 23, v12
	v_or3_b32 v10, v11, v10, v6
.LBB33_952:
	s_or_b64 exec, exec, s[6:7]
	s_nop 0
	v_mfma_f32_16x16x4f32 a[0:3], v2, v10, a[0:3]
	s_movk_i32 s4, 0x7f
	v_cmp_gt_i16_sdwa s[6:7], v7, s4 src0_sel:BYTE_3 src1_sel:DWORD
	s_mov_b64 s[4:5], 0
                                        ; implicit-def: $sgpr10
	s_and_saveexec_b64 s[8:9], s[6:7]
	s_xor_b64 s[6:7], exec, s[8:9]
	s_cbranch_execnz .LBB33_3001
; %bb.953:
	s_or_saveexec_b64 s[6:7], s[6:7]
	v_mov_b32_e32 v2, s10
	s_xor_b64 exec, exec, s[6:7]
	s_cbranch_execnz .LBB33_3004
.LBB33_954:
	s_or_b64 exec, exec, s[6:7]
	s_and_saveexec_b64 s[6:7], s[4:5]
	s_cbranch_execz .LBB33_956
.LBB33_955:
	v_bfe_u32 v2, v7, 24, 3
	v_ffbh_u32_e32 v12, v2
	v_min_u32_e32 v12, 32, v12
	v_lshrrev_b32_e32 v10, 27, v7
	v_subrev_u32_e32 v13, 28, v12
	v_and_b32_e32 v6, 0x80000000, v7
	v_and_b32_e32 v10, 15, v10
	v_bfe_u32 v11, v7, 27, 4
	v_lshlrev_b32_sdwa v7, v13, v7 dst_sel:DWORD dst_unused:UNUSED_PAD src0_sel:DWORD src1_sel:BYTE_3
	v_sub_u32_e32 v12, 29, v12
	v_and_b32_e32 v7, 7, v7
	v_cmp_eq_u16_e32 vcc, 0, v10
	v_cndmask_b32_e32 v2, v2, v7, vcc
	v_cndmask_b32_e32 v7, v11, v12, vcc
	v_mov_b32_e32 v10, 0x3b800000
	v_lshlrev_b32_e32 v2, 20, v2
	v_lshl_add_u32 v7, v7, 23, v10
	v_or3_b32 v2, v6, v7, v2
.LBB33_956:
	s_or_b64 exec, exec, s[6:7]
	s_movk_i32 s4, 0x7f
	v_cmp_gt_i16_sdwa s[6:7], v3, s4 src0_sel:BYTE_3 src1_sel:DWORD
	s_mov_b64 s[4:5], 0
                                        ; implicit-def: $sgpr10
	s_and_saveexec_b64 s[8:9], s[6:7]
	s_xor_b64 s[6:7], exec, s[8:9]
	s_cbranch_execnz .LBB33_3005
; %bb.957:
	s_or_saveexec_b64 s[6:7], s[6:7]
	v_mov_b32_e32 v6, s10
	s_xor_b64 exec, exec, s[6:7]
	s_cbranch_execnz .LBB33_3008
.LBB33_958:
	s_or_b64 exec, exec, s[6:7]
	s_and_saveexec_b64 s[6:7], s[4:5]
	s_cbranch_execz .LBB33_960
.LBB33_959:
	v_bfe_u32 v6, v3, 24, 3
	v_ffbh_u32_e32 v12, v6
	v_min_u32_e32 v12, 32, v12
	v_lshrrev_b32_e32 v10, 27, v3
	v_subrev_u32_e32 v13, 28, v12
	v_and_b32_e32 v7, 0x80000000, v3
	v_and_b32_e32 v10, 15, v10
	v_bfe_u32 v11, v3, 27, 4
	v_lshlrev_b32_sdwa v3, v13, v3 dst_sel:DWORD dst_unused:UNUSED_PAD src0_sel:DWORD src1_sel:BYTE_3
	v_sub_u32_e32 v12, 29, v12
	v_and_b32_e32 v3, 7, v3
	v_cmp_eq_u16_e32 vcc, 0, v10
	v_cndmask_b32_e32 v3, v6, v3, vcc
	v_cndmask_b32_e32 v6, v11, v12, vcc
	v_mov_b32_e32 v10, 0x3b800000
	v_lshlrev_b32_e32 v3, 20, v3
	v_lshl_add_u32 v6, v6, 23, v10
	v_or3_b32 v6, v7, v6, v3
.LBB33_960:
	s_or_b64 exec, exec, s[6:7]
	s_nop 0
	v_mfma_f32_16x16x4f32 a[0:3], v2, v6, a[0:3]
	s_movk_i32 s4, 0x7f
	v_cmp_gt_i16_sdwa s[6:7], v8, s4 src0_sel:BYTE_0 src1_sel:DWORD
	s_mov_b64 s[4:5], 0
                                        ; implicit-def: $sgpr10
	s_and_saveexec_b64 s[8:9], s[6:7]
	s_xor_b64 s[6:7], exec, s[8:9]
	s_cbranch_execnz .LBB33_3009
; %bb.961:
	s_or_saveexec_b64 s[6:7], s[6:7]
	v_mov_b32_e32 v2, s10
	s_xor_b64 exec, exec, s[6:7]
	s_cbranch_execnz .LBB33_3012
.LBB33_962:
	s_or_b64 exec, exec, s[6:7]
	s_and_saveexec_b64 s[6:7], s[4:5]
	s_cbranch_execz .LBB33_964
.LBB33_963:
	v_and_b32_e32 v2, 7, v8
	v_ffbh_u32_e32 v6, v2
	v_min_u32_e32 v6, 32, v6
	v_lshrrev_b16_e32 v3, 3, v8
	v_subrev_u32_e32 v7, 28, v6
	v_and_b32_e32 v3, 15, v3
	v_lshlrev_b32_e32 v7, v7, v8
	v_sub_u32_e32 v6, 29, v6
	v_and_b32_e32 v7, 7, v7
	v_cmp_eq_u16_e32 vcc, 0, v3
	v_cndmask_b32_e32 v2, v2, v7, vcc
	v_cndmask_b32_e32 v3, v3, v6, vcc
	v_lshlrev_b32_e32 v6, 24, v8
	v_mov_b32_e32 v7, 0x3b800000
	v_lshlrev_b32_e32 v2, 20, v2
	v_and_b32_e32 v6, 0x80000000, v6
	v_lshl_add_u32 v3, v3, 23, v7
	v_or3_b32 v2, v6, v3, v2
.LBB33_964:
	s_or_b64 exec, exec, s[6:7]
	s_movk_i32 s4, 0x7f
	v_cmp_gt_i16_sdwa s[6:7], v4, s4 src0_sel:BYTE_0 src1_sel:DWORD
	s_mov_b64 s[4:5], 0
                                        ; implicit-def: $sgpr10
	s_and_saveexec_b64 s[8:9], s[6:7]
	s_xor_b64 s[6:7], exec, s[8:9]
	s_cbranch_execnz .LBB33_3013
; %bb.965:
	s_or_saveexec_b64 s[6:7], s[6:7]
	v_mov_b32_e32 v3, s10
	s_xor_b64 exec, exec, s[6:7]
	s_cbranch_execnz .LBB33_3016
.LBB33_966:
	s_or_b64 exec, exec, s[6:7]
	s_and_saveexec_b64 s[6:7], s[4:5]
	s_cbranch_execz .LBB33_968
.LBB33_967:
	v_and_b32_e32 v3, 7, v4
	v_ffbh_u32_e32 v7, v3
	v_min_u32_e32 v7, 32, v7
	v_lshrrev_b16_e32 v6, 3, v4
	v_subrev_u32_e32 v10, 28, v7
	v_and_b32_e32 v6, 15, v6
	v_lshlrev_b32_e32 v10, v10, v4
	v_sub_u32_e32 v7, 29, v7
	v_and_b32_e32 v10, 7, v10
	v_cmp_eq_u16_e32 vcc, 0, v6
	v_cndmask_b32_e32 v3, v3, v10, vcc
	v_cndmask_b32_e32 v6, v6, v7, vcc
	v_lshlrev_b32_e32 v7, 24, v4
	v_mov_b32_e32 v10, 0x3b800000
	v_lshlrev_b32_e32 v3, 20, v3
	v_and_b32_e32 v7, 0x80000000, v7
	v_lshl_add_u32 v6, v6, 23, v10
	v_or3_b32 v3, v7, v6, v3
.LBB33_968:
	s_or_b64 exec, exec, s[6:7]
	s_nop 0
	v_mfma_f32_16x16x4f32 a[0:3], v2, v3, a[0:3]
	v_lshrrev_b32_e32 v3, 8, v8
	s_movk_i32 s4, 0x7f
	v_cmp_gt_i16_sdwa s[6:7], v3, s4 src0_sel:BYTE_0 src1_sel:DWORD
	s_mov_b64 s[4:5], 0
                                        ; implicit-def: $sgpr10
	s_and_saveexec_b64 s[8:9], s[6:7]
	s_xor_b64 s[6:7], exec, s[8:9]
	s_cbranch_execnz .LBB33_3017
; %bb.969:
	s_or_saveexec_b64 s[6:7], s[6:7]
	v_mov_b32_e32 v2, s10
	s_xor_b64 exec, exec, s[6:7]
	s_cbranch_execnz .LBB33_3020
.LBB33_970:
	s_or_b64 exec, exec, s[6:7]
	s_and_saveexec_b64 s[6:7], s[4:5]
	s_cbranch_execz .LBB33_972
.LBB33_971:
	v_bfe_u32 v2, v8, 8, 3
	v_ffbh_u32_e32 v7, v2
	v_min_u32_e32 v7, 32, v7
	v_lshrrev_b16_e32 v6, 3, v3
	v_subrev_u32_e32 v10, 28, v7
	v_and_b32_e32 v6, 15, v6
	v_lshlrev_b32_e32 v3, v10, v3
	v_sub_u32_e32 v7, 29, v7
	v_and_b32_e32 v3, 7, v3
	v_cmp_eq_u16_e32 vcc, 0, v6
	v_cndmask_b32_e32 v2, v2, v3, vcc
	v_cndmask_b32_e32 v3, v6, v7, vcc
	v_lshlrev_b32_e32 v6, 16, v8
	v_mov_b32_e32 v7, 0x3b800000
	v_lshlrev_b32_e32 v2, 20, v2
	v_and_b32_e32 v6, 0x80000000, v6
	v_lshl_add_u32 v3, v3, 23, v7
	v_or3_b32 v2, v6, v3, v2
.LBB33_972:
	s_or_b64 exec, exec, s[6:7]
	v_lshrrev_b32_e32 v3, 8, v4
	s_movk_i32 s4, 0x7f
	v_cmp_gt_i16_sdwa s[6:7], v3, s4 src0_sel:BYTE_0 src1_sel:DWORD
	s_mov_b64 s[4:5], 0
                                        ; implicit-def: $sgpr10
	s_and_saveexec_b64 s[8:9], s[6:7]
	s_xor_b64 s[6:7], exec, s[8:9]
	s_cbranch_execnz .LBB33_3021
; %bb.973:
	s_or_saveexec_b64 s[6:7], s[6:7]
	v_mov_b32_e32 v6, s10
	s_xor_b64 exec, exec, s[6:7]
	s_cbranch_execnz .LBB33_3024
.LBB33_974:
	s_or_b64 exec, exec, s[6:7]
	s_and_saveexec_b64 s[6:7], s[4:5]
	s_cbranch_execz .LBB33_976
.LBB33_975:
	v_bfe_u32 v6, v4, 8, 3
	v_ffbh_u32_e32 v10, v6
	v_min_u32_e32 v10, 32, v10
	v_lshrrev_b16_e32 v7, 3, v3
	v_subrev_u32_e32 v11, 28, v10
	v_and_b32_e32 v7, 15, v7
	v_lshlrev_b32_e32 v3, v11, v3
	v_sub_u32_e32 v10, 29, v10
	v_and_b32_e32 v3, 7, v3
	v_cmp_eq_u16_e32 vcc, 0, v7
	v_cndmask_b32_e32 v3, v6, v3, vcc
	v_cndmask_b32_e32 v6, v7, v10, vcc
	v_lshlrev_b32_e32 v7, 16, v4
	v_mov_b32_e32 v10, 0x3b800000
	v_lshlrev_b32_e32 v3, 20, v3
	v_and_b32_e32 v7, 0x80000000, v7
	v_lshl_add_u32 v6, v6, 23, v10
	v_or3_b32 v6, v7, v6, v3
.LBB33_976:
	s_or_b64 exec, exec, s[6:7]
	s_nop 0
	v_mfma_f32_16x16x4f32 a[0:3], v2, v6, a[0:3]
	s_movk_i32 s4, 0xff
	v_and_b32_sdwa v3, v8, s4 dst_sel:DWORD dst_unused:UNUSED_PAD src0_sel:WORD_1 src1_sel:DWORD
	s_movk_i32 s4, 0x7f
	v_cmp_lt_i16_e32 vcc, s4, v3
	s_mov_b64 s[4:5], 0
                                        ; implicit-def: $sgpr10
	s_and_saveexec_b64 s[6:7], vcc
	s_xor_b64 s[6:7], exec, s[6:7]
	s_cbranch_execnz .LBB33_3025
; %bb.977:
	s_or_saveexec_b64 s[6:7], s[6:7]
	v_mov_b32_e32 v2, s10
	s_xor_b64 exec, exec, s[6:7]
	s_cbranch_execnz .LBB33_3028
.LBB33_978:
	s_or_b64 exec, exec, s[6:7]
	s_and_saveexec_b64 s[6:7], s[4:5]
	s_cbranch_execz .LBB33_980
.LBB33_979:
	v_bfe_u32 v2, v8, 16, 3
	v_ffbh_u32_e32 v7, v2
	v_min_u32_e32 v7, 32, v7
	v_lshrrev_b32_e32 v3, 19, v8
	v_subrev_u32_e32 v10, 28, v7
	v_and_b32_e32 v3, 15, v3
	v_lshlrev_b32_sdwa v10, v10, v8 dst_sel:DWORD dst_unused:UNUSED_PAD src0_sel:DWORD src1_sel:WORD_1
	v_bfe_u32 v6, v8, 19, 4
	v_sub_u32_e32 v7, 29, v7
	v_and_b32_e32 v10, 7, v10
	v_cmp_eq_u16_e32 vcc, 0, v3
	v_cndmask_b32_e32 v2, v2, v10, vcc
	v_cndmask_b32_e32 v3, v6, v7, vcc
	v_lshlrev_b32_e32 v6, 8, v8
	v_mov_b32_e32 v7, 0x3b800000
	v_lshlrev_b32_e32 v2, 20, v2
	v_and_b32_e32 v6, 0x80000000, v6
	v_lshl_add_u32 v3, v3, 23, v7
	v_or3_b32 v2, v6, v3, v2
.LBB33_980:
	s_or_b64 exec, exec, s[6:7]
	s_movk_i32 s4, 0xff
	v_and_b32_sdwa v3, v4, s4 dst_sel:DWORD dst_unused:UNUSED_PAD src0_sel:WORD_1 src1_sel:DWORD
	s_movk_i32 s4, 0x7f
	v_cmp_lt_i16_e32 vcc, s4, v3
	s_mov_b64 s[4:5], 0
                                        ; implicit-def: $sgpr10
	s_and_saveexec_b64 s[6:7], vcc
	s_xor_b64 s[6:7], exec, s[6:7]
	s_cbranch_execnz .LBB33_3029
; %bb.981:
	s_or_saveexec_b64 s[6:7], s[6:7]
	v_mov_b32_e32 v6, s10
	s_xor_b64 exec, exec, s[6:7]
	s_cbranch_execnz .LBB33_3032
.LBB33_982:
	s_or_b64 exec, exec, s[6:7]
	s_and_saveexec_b64 s[6:7], s[4:5]
	s_cbranch_execz .LBB33_984
.LBB33_983:
	v_bfe_u32 v3, v4, 16, 3
	v_ffbh_u32_e32 v10, v3
	v_min_u32_e32 v10, 32, v10
	v_lshrrev_b32_e32 v6, 19, v4
	v_subrev_u32_e32 v11, 28, v10
	v_and_b32_e32 v6, 15, v6
	v_lshlrev_b32_sdwa v11, v11, v4 dst_sel:DWORD dst_unused:UNUSED_PAD src0_sel:DWORD src1_sel:WORD_1
	v_bfe_u32 v7, v4, 19, 4
	v_sub_u32_e32 v10, 29, v10
	v_and_b32_e32 v11, 7, v11
	v_cmp_eq_u16_e32 vcc, 0, v6
	v_cndmask_b32_e32 v3, v3, v11, vcc
	v_cndmask_b32_e32 v6, v7, v10, vcc
	v_lshlrev_b32_e32 v7, 8, v4
	v_mov_b32_e32 v10, 0x3b800000
	v_lshlrev_b32_e32 v3, 20, v3
	v_and_b32_e32 v7, 0x80000000, v7
	v_lshl_add_u32 v6, v6, 23, v10
	v_or3_b32 v6, v7, v6, v3
.LBB33_984:
	s_or_b64 exec, exec, s[6:7]
	s_nop 0
	v_mfma_f32_16x16x4f32 a[0:3], v2, v6, a[0:3]
	s_movk_i32 s4, 0x7f
	v_cmp_gt_i16_sdwa s[6:7], v8, s4 src0_sel:BYTE_3 src1_sel:DWORD
	s_mov_b64 s[4:5], 0
                                        ; implicit-def: $sgpr10
	s_and_saveexec_b64 s[8:9], s[6:7]
	s_xor_b64 s[6:7], exec, s[8:9]
	s_cbranch_execnz .LBB33_3033
; %bb.985:
	s_or_saveexec_b64 s[6:7], s[6:7]
	v_mov_b32_e32 v2, s10
	s_xor_b64 exec, exec, s[6:7]
	s_cbranch_execnz .LBB33_3036
.LBB33_986:
	s_or_b64 exec, exec, s[6:7]
	s_and_saveexec_b64 s[6:7], s[4:5]
	s_cbranch_execz .LBB33_988
.LBB33_987:
	v_bfe_u32 v2, v8, 24, 3
	v_ffbh_u32_e32 v10, v2
	v_min_u32_e32 v10, 32, v10
	v_lshrrev_b32_e32 v6, 27, v8
	v_subrev_u32_e32 v11, 28, v10
	v_and_b32_e32 v3, 0x80000000, v8
	v_and_b32_e32 v6, 15, v6
	v_bfe_u32 v7, v8, 27, 4
	v_lshlrev_b32_sdwa v8, v11, v8 dst_sel:DWORD dst_unused:UNUSED_PAD src0_sel:DWORD src1_sel:BYTE_3
	v_sub_u32_e32 v10, 29, v10
	v_and_b32_e32 v8, 7, v8
	v_cmp_eq_u16_e32 vcc, 0, v6
	v_cndmask_b32_e32 v2, v2, v8, vcc
	v_cndmask_b32_e32 v6, v7, v10, vcc
	v_mov_b32_e32 v7, 0x3b800000
	v_lshlrev_b32_e32 v2, 20, v2
	v_lshl_add_u32 v6, v6, 23, v7
	v_or3_b32 v2, v3, v6, v2
.LBB33_988:
	s_or_b64 exec, exec, s[6:7]
	s_movk_i32 s4, 0x7f
	v_cmp_gt_i16_sdwa s[6:7], v4, s4 src0_sel:BYTE_3 src1_sel:DWORD
	s_mov_b64 s[4:5], 0
                                        ; implicit-def: $sgpr10
	s_and_saveexec_b64 s[8:9], s[6:7]
	s_xor_b64 s[6:7], exec, s[8:9]
	s_cbranch_execnz .LBB33_3037
; %bb.989:
	s_or_saveexec_b64 s[6:7], s[6:7]
	v_mov_b32_e32 v3, s10
	s_xor_b64 exec, exec, s[6:7]
	s_cbranch_execnz .LBB33_3040
.LBB33_990:
	s_or_b64 exec, exec, s[6:7]
	s_and_saveexec_b64 s[6:7], s[4:5]
	s_cbranch_execz .LBB33_992
.LBB33_991:
	v_bfe_u32 v3, v4, 24, 3
	v_ffbh_u32_e32 v10, v3
	v_min_u32_e32 v10, 32, v10
	v_lshrrev_b32_e32 v7, 27, v4
	v_subrev_u32_e32 v11, 28, v10
	v_and_b32_e32 v6, 0x80000000, v4
	v_and_b32_e32 v7, 15, v7
	v_bfe_u32 v8, v4, 27, 4
	v_lshlrev_b32_sdwa v4, v11, v4 dst_sel:DWORD dst_unused:UNUSED_PAD src0_sel:DWORD src1_sel:BYTE_3
	v_sub_u32_e32 v10, 29, v10
	v_and_b32_e32 v4, 7, v4
	v_cmp_eq_u16_e32 vcc, 0, v7
	v_cndmask_b32_e32 v3, v3, v4, vcc
	v_cndmask_b32_e32 v4, v8, v10, vcc
	v_mov_b32_e32 v7, 0x3b800000
	v_lshlrev_b32_e32 v3, 20, v3
	v_lshl_add_u32 v4, v4, 23, v7
	v_or3_b32 v3, v6, v4, v3
.LBB33_992:
	s_or_b64 exec, exec, s[6:7]
	s_nop 0
	v_mfma_f32_16x16x4f32 a[0:3], v2, v3, a[0:3]
	s_movk_i32 s4, 0x7f
	v_cmp_gt_i16_sdwa s[6:7], v9, s4 src0_sel:BYTE_0 src1_sel:DWORD
	s_mov_b64 s[4:5], 0
                                        ; implicit-def: $sgpr10
	s_and_saveexec_b64 s[8:9], s[6:7]
	s_xor_b64 s[6:7], exec, s[8:9]
	s_cbranch_execnz .LBB33_3041
; %bb.993:
	s_or_saveexec_b64 s[6:7], s[6:7]
	v_mov_b32_e32 v2, s10
	s_xor_b64 exec, exec, s[6:7]
	s_cbranch_execnz .LBB33_3044
.LBB33_994:
	s_or_b64 exec, exec, s[6:7]
	s_and_saveexec_b64 s[6:7], s[4:5]
	s_cbranch_execz .LBB33_996
.LBB33_995:
	v_mov_b32_e32 v2, 8
	v_and_b32_e32 v3, 7, v9
	v_lshrrev_b32_sdwa v2, v2, v9 dst_sel:BYTE_1 dst_unused:UNUSED_PAD src0_sel:DWORD src1_sel:DWORD
	v_ffbh_u32_e32 v4, v3
	v_or_b32_sdwa v2, v9, v2 dst_sel:DWORD dst_unused:UNUSED_PAD src0_sel:BYTE_0 src1_sel:DWORD
	v_min_u32_e32 v4, 32, v4
	v_lshrrev_b16_e32 v2, 3, v2
	v_subrev_u32_e32 v6, 28, v4
	v_and_b32_e32 v2, 15, v2
	v_lshlrev_b32_e32 v6, v6, v9
	v_sub_u32_e32 v4, 29, v4
	v_and_b32_e32 v6, 7, v6
	v_cmp_eq_u16_e32 vcc, 0, v2
	v_cndmask_b32_e32 v3, v3, v6, vcc
	v_cndmask_b32_e32 v2, v2, v4, vcc
	v_lshlrev_b32_e32 v4, 24, v9
	v_mov_b32_e32 v6, 0x3b800000
	v_lshlrev_b32_e32 v3, 20, v3
	v_and_b32_e32 v4, 0x80000000, v4
	v_lshl_add_u32 v2, v2, 23, v6
	v_or3_b32 v2, v4, v2, v3
.LBB33_996:
	s_or_b64 exec, exec, s[6:7]
	s_movk_i32 s4, 0x7f
	v_cmp_gt_i16_sdwa s[6:7], v5, s4 src0_sel:BYTE_0 src1_sel:DWORD
	s_mov_b64 s[4:5], 0
                                        ; implicit-def: $sgpr10
	s_and_saveexec_b64 s[8:9], s[6:7]
	s_xor_b64 s[6:7], exec, s[8:9]
	s_cbranch_execnz .LBB33_3045
; %bb.997:
	s_or_saveexec_b64 s[6:7], s[6:7]
	v_mov_b32_e32 v3, s10
	s_xor_b64 exec, exec, s[6:7]
	s_cbranch_execnz .LBB33_3048
.LBB33_998:
	s_or_b64 exec, exec, s[6:7]
	s_and_saveexec_b64 s[6:7], s[4:5]
	s_cbranch_execz .LBB33_1000
.LBB33_999:
	v_mov_b32_e32 v3, 8
	v_and_b32_e32 v4, 7, v5
	v_lshrrev_b32_sdwa v3, v3, v5 dst_sel:BYTE_1 dst_unused:UNUSED_PAD src0_sel:DWORD src1_sel:DWORD
	v_ffbh_u32_e32 v6, v4
	v_or_b32_sdwa v3, v5, v3 dst_sel:DWORD dst_unused:UNUSED_PAD src0_sel:BYTE_0 src1_sel:DWORD
	v_min_u32_e32 v6, 32, v6
	v_lshrrev_b16_e32 v3, 3, v3
	v_subrev_u32_e32 v7, 28, v6
	v_and_b32_e32 v3, 15, v3
	v_lshlrev_b32_e32 v7, v7, v5
	v_sub_u32_e32 v6, 29, v6
	v_and_b32_e32 v7, 7, v7
	v_cmp_eq_u16_e32 vcc, 0, v3
	v_cndmask_b32_e32 v4, v4, v7, vcc
	v_cndmask_b32_e32 v3, v3, v6, vcc
	v_lshlrev_b32_e32 v6, 24, v5
	v_mov_b32_e32 v7, 0x3b800000
	v_lshlrev_b32_e32 v4, 20, v4
	v_and_b32_e32 v6, 0x80000000, v6
	v_lshl_add_u32 v3, v3, 23, v7
	v_or3_b32 v3, v6, v3, v4
.LBB33_1000:
	s_or_b64 exec, exec, s[6:7]
	s_nop 0
	v_mfma_f32_16x16x4f32 a[0:3], v2, v3, a[0:3]
	v_lshrrev_b32_e32 v3, 8, v9
	s_movk_i32 s4, 0x7f
	v_cmp_gt_i16_sdwa s[6:7], v3, s4 src0_sel:BYTE_0 src1_sel:DWORD
	s_mov_b64 s[4:5], 0
                                        ; implicit-def: $sgpr10
	s_and_saveexec_b64 s[8:9], s[6:7]
	s_xor_b64 s[6:7], exec, s[8:9]
	s_cbranch_execnz .LBB33_3049
; %bb.1001:
	s_or_saveexec_b64 s[6:7], s[6:7]
	v_mov_b32_e32 v2, s10
	s_xor_b64 exec, exec, s[6:7]
	s_cbranch_execnz .LBB33_3052
.LBB33_1002:
	s_or_b64 exec, exec, s[6:7]
	s_and_saveexec_b64 s[6:7], s[4:5]
	s_cbranch_execz .LBB33_1004
.LBB33_1003:
	v_bfe_u32 v2, v9, 8, 3
	v_ffbh_u32_e32 v6, v2
	v_min_u32_e32 v6, 32, v6
	v_lshrrev_b16_e32 v4, 3, v3
	v_subrev_u32_e32 v7, 28, v6
	v_and_b32_e32 v4, 15, v4
	v_lshlrev_b32_e32 v3, v7, v3
	v_sub_u32_e32 v6, 29, v6
	v_and_b32_e32 v3, 7, v3
	v_cmp_eq_u16_e32 vcc, 0, v4
	v_cndmask_b32_e32 v2, v2, v3, vcc
	v_cndmask_b32_e32 v3, v4, v6, vcc
	v_lshlrev_b32_e32 v4, 16, v9
	v_mov_b32_e32 v6, 0x3b800000
	v_lshlrev_b32_e32 v2, 20, v2
	v_and_b32_e32 v4, 0x80000000, v4
	v_lshl_add_u32 v3, v3, 23, v6
	v_or3_b32 v2, v4, v3, v2
.LBB33_1004:
	s_or_b64 exec, exec, s[6:7]
	v_lshrrev_b32_e32 v3, 8, v5
	s_movk_i32 s4, 0x7f
	v_cmp_gt_i16_sdwa s[6:7], v3, s4 src0_sel:BYTE_0 src1_sel:DWORD
	s_mov_b64 s[4:5], 0
                                        ; implicit-def: $sgpr10
	s_and_saveexec_b64 s[8:9], s[6:7]
	s_xor_b64 s[6:7], exec, s[8:9]
	s_cbranch_execnz .LBB33_3053
; %bb.1005:
	s_or_saveexec_b64 s[6:7], s[6:7]
	v_mov_b32_e32 v4, s10
	s_xor_b64 exec, exec, s[6:7]
	s_cbranch_execnz .LBB33_3056
.LBB33_1006:
	s_or_b64 exec, exec, s[6:7]
	s_and_saveexec_b64 s[6:7], s[4:5]
	s_cbranch_execz .LBB33_1008
.LBB33_1007:
	v_bfe_u32 v4, v5, 8, 3
	v_ffbh_u32_e32 v7, v4
	v_min_u32_e32 v7, 32, v7
	v_lshrrev_b16_e32 v6, 3, v3
	v_subrev_u32_e32 v8, 28, v7
	v_and_b32_e32 v6, 15, v6
	v_lshlrev_b32_e32 v3, v8, v3
	v_sub_u32_e32 v7, 29, v7
	v_and_b32_e32 v3, 7, v3
	v_cmp_eq_u16_e32 vcc, 0, v6
	v_cndmask_b32_e32 v3, v4, v3, vcc
	v_cndmask_b32_e32 v4, v6, v7, vcc
	v_lshlrev_b32_e32 v6, 16, v5
	v_mov_b32_e32 v7, 0x3b800000
	v_lshlrev_b32_e32 v3, 20, v3
	v_and_b32_e32 v6, 0x80000000, v6
	v_lshl_add_u32 v4, v4, 23, v7
	v_or3_b32 v4, v6, v4, v3
.LBB33_1008:
	s_or_b64 exec, exec, s[6:7]
	s_nop 0
	v_mfma_f32_16x16x4f32 a[0:3], v2, v4, a[0:3]
	s_movk_i32 s4, 0xff
	v_and_b32_sdwa v3, v9, s4 dst_sel:DWORD dst_unused:UNUSED_PAD src0_sel:WORD_1 src1_sel:DWORD
	s_movk_i32 s4, 0x7f
	v_cmp_lt_i16_e32 vcc, s4, v3
	s_mov_b64 s[4:5], 0
                                        ; implicit-def: $sgpr10
	s_and_saveexec_b64 s[6:7], vcc
	s_xor_b64 s[6:7], exec, s[6:7]
	s_cbranch_execnz .LBB33_3057
; %bb.1009:
	s_or_saveexec_b64 s[6:7], s[6:7]
	v_mov_b32_e32 v2, s10
	s_xor_b64 exec, exec, s[6:7]
	s_cbranch_execnz .LBB33_3060
.LBB33_1010:
	s_or_b64 exec, exec, s[6:7]
	s_and_saveexec_b64 s[6:7], s[4:5]
	s_cbranch_execz .LBB33_1012
.LBB33_1011:
	v_bfe_u32 v2, v9, 16, 3
	v_ffbh_u32_e32 v6, v2
	v_min_u32_e32 v6, 32, v6
	v_lshrrev_b32_e32 v3, 19, v9
	v_subrev_u32_e32 v7, 28, v6
	v_and_b32_e32 v3, 15, v3
	v_lshlrev_b32_sdwa v7, v7, v9 dst_sel:DWORD dst_unused:UNUSED_PAD src0_sel:DWORD src1_sel:WORD_1
	v_bfe_u32 v4, v9, 19, 4
	v_sub_u32_e32 v6, 29, v6
	v_and_b32_e32 v7, 7, v7
	v_cmp_eq_u16_e32 vcc, 0, v3
	v_cndmask_b32_e32 v2, v2, v7, vcc
	v_cndmask_b32_e32 v3, v4, v6, vcc
	v_lshlrev_b32_e32 v4, 8, v9
	v_mov_b32_e32 v6, 0x3b800000
	v_lshlrev_b32_e32 v2, 20, v2
	v_and_b32_e32 v4, 0x80000000, v4
	v_lshl_add_u32 v3, v3, 23, v6
	v_or3_b32 v2, v4, v3, v2
.LBB33_1012:
	s_or_b64 exec, exec, s[6:7]
	s_movk_i32 s4, 0xff
	v_and_b32_sdwa v3, v5, s4 dst_sel:DWORD dst_unused:UNUSED_PAD src0_sel:WORD_1 src1_sel:DWORD
	s_movk_i32 s4, 0x7f
	v_cmp_lt_i16_e32 vcc, s4, v3
	s_mov_b64 s[4:5], 0
                                        ; implicit-def: $sgpr10
	s_and_saveexec_b64 s[6:7], vcc
	s_xor_b64 s[6:7], exec, s[6:7]
	s_cbranch_execnz .LBB33_3061
; %bb.1013:
	s_or_saveexec_b64 s[6:7], s[6:7]
	v_mov_b32_e32 v4, s10
	s_xor_b64 exec, exec, s[6:7]
	s_cbranch_execnz .LBB33_3064
.LBB33_1014:
	s_or_b64 exec, exec, s[6:7]
	s_and_saveexec_b64 s[6:7], s[4:5]
	s_cbranch_execz .LBB33_1016
.LBB33_1015:
	v_bfe_u32 v3, v5, 16, 3
	v_ffbh_u32_e32 v7, v3
	v_min_u32_e32 v7, 32, v7
	v_lshrrev_b32_e32 v4, 19, v5
	v_subrev_u32_e32 v8, 28, v7
	v_and_b32_e32 v4, 15, v4
	v_lshlrev_b32_sdwa v8, v8, v5 dst_sel:DWORD dst_unused:UNUSED_PAD src0_sel:DWORD src1_sel:WORD_1
	v_bfe_u32 v6, v5, 19, 4
	v_sub_u32_e32 v7, 29, v7
	v_and_b32_e32 v8, 7, v8
	v_cmp_eq_u16_e32 vcc, 0, v4
	v_cndmask_b32_e32 v3, v3, v8, vcc
	v_cndmask_b32_e32 v4, v6, v7, vcc
	v_lshlrev_b32_e32 v6, 8, v5
	v_mov_b32_e32 v7, 0x3b800000
	v_lshlrev_b32_e32 v3, 20, v3
	v_and_b32_e32 v6, 0x80000000, v6
	v_lshl_add_u32 v4, v4, 23, v7
	v_or3_b32 v4, v6, v4, v3
.LBB33_1016:
	s_or_b64 exec, exec, s[6:7]
	s_nop 0
	v_mfma_f32_16x16x4f32 a[0:3], v2, v4, a[0:3]
	s_movk_i32 s4, 0x7f
	v_cmp_gt_i16_sdwa s[6:7], v9, s4 src0_sel:BYTE_3 src1_sel:DWORD
	s_mov_b64 s[4:5], 0
                                        ; implicit-def: $sgpr10
	s_and_saveexec_b64 s[8:9], s[6:7]
	s_xor_b64 s[6:7], exec, s[8:9]
	s_cbranch_execnz .LBB33_3065
; %bb.1017:
	s_or_saveexec_b64 s[6:7], s[6:7]
	v_mov_b32_e32 v2, s10
	s_xor_b64 exec, exec, s[6:7]
	s_cbranch_execnz .LBB33_3068
.LBB33_1018:
	s_or_b64 exec, exec, s[6:7]
	s_and_saveexec_b64 s[6:7], s[4:5]
	s_cbranch_execz .LBB33_1020
.LBB33_1019:
	v_bfe_u32 v2, v9, 24, 3
	v_ffbh_u32_e32 v7, v2
	v_min_u32_e32 v7, 32, v7
	v_lshrrev_b32_e32 v4, 27, v9
	v_subrev_u32_e32 v8, 28, v7
	v_and_b32_e32 v4, 15, v4
	v_lshlrev_b32_sdwa v8, v8, v9 dst_sel:DWORD dst_unused:UNUSED_PAD src0_sel:DWORD src1_sel:BYTE_3
	v_bfe_u32 v6, v9, 27, 4
	v_sub_u32_e32 v7, 29, v7
	v_and_b32_e32 v8, 7, v8
	v_cmp_eq_u16_e32 vcc, 0, v4
	v_cndmask_b32_e32 v2, v2, v8, vcc
	v_cndmask_b32_e32 v4, v6, v7, vcc
	v_mov_b32_e32 v6, 0x3b800000
	v_and_b32_e32 v3, 0x80000000, v9
	v_lshlrev_b32_e32 v2, 20, v2
	v_lshl_add_u32 v4, v4, 23, v6
	v_or3_b32 v2, v3, v4, v2
.LBB33_1020:
	s_or_b64 exec, exec, s[6:7]
	s_movk_i32 s4, 0x7f
	v_cmp_gt_i16_sdwa s[6:7], v5, s4 src0_sel:BYTE_3 src1_sel:DWORD
	s_mov_b64 s[4:5], 0
                                        ; implicit-def: $sgpr10
	s_and_saveexec_b64 s[8:9], s[6:7]
	s_xor_b64 s[6:7], exec, s[8:9]
	s_cbranch_execnz .LBB33_3069
; %bb.1021:
	s_or_saveexec_b64 s[6:7], s[6:7]
	v_mov_b32_e32 v3, s10
	s_xor_b64 exec, exec, s[6:7]
	s_cbranch_execnz .LBB33_3072
.LBB33_1022:
	s_or_b64 exec, exec, s[6:7]
	s_and_saveexec_b64 s[6:7], s[4:5]
	s_cbranch_execz .LBB33_1024
.LBB33_1023:
	v_bfe_u32 v3, v5, 24, 3
	v_ffbh_u32_e32 v8, v3
	v_min_u32_e32 v8, 32, v8
	v_lshrrev_b32_e32 v6, 27, v5
	v_subrev_u32_e32 v9, 28, v8
	v_and_b32_e32 v4, 0x80000000, v5
	v_and_b32_e32 v6, 15, v6
	v_bfe_u32 v7, v5, 27, 4
	v_lshlrev_b32_sdwa v5, v9, v5 dst_sel:DWORD dst_unused:UNUSED_PAD src0_sel:DWORD src1_sel:BYTE_3
	v_sub_u32_e32 v8, 29, v8
	v_and_b32_e32 v5, 7, v5
	v_cmp_eq_u16_e32 vcc, 0, v6
	v_cndmask_b32_e32 v3, v3, v5, vcc
	v_cndmask_b32_e32 v5, v7, v8, vcc
	v_mov_b32_e32 v6, 0x3b800000
	v_lshlrev_b32_e32 v3, 20, v3
	v_lshl_add_u32 v5, v5, 23, v6
	v_or3_b32 v3, v4, v5, v3
.LBB33_1024:
	s_or_b64 exec, exec, s[6:7]
	s_nop 0
	v_mfma_f32_16x16x4f32 a[0:3], v2, v3, a[0:3]
	s_movk_i32 s4, 0x7f
                                        ; implicit-def: $sgpr10
	s_nop 7
	s_nop 1
	flat_store_dwordx4 v[18:19], a[0:3] offset:688
	flat_load_dwordx4 v[20:23], v[0:1] offset:16
	s_nop 0
	flat_load_dwordx2 v[18:19], v[0:1] offset:32
	s_waitcnt vmcnt(0) lgkmcnt(0)
	flat_load_dwordx4 v[14:17], v[20:21] offset:32
	flat_load_dwordx4 v[6:9], v[20:21] offset:48
	;; [unrolled: 1-line block ×4, first 2 shown]
	s_waitcnt vmcnt(0) lgkmcnt(0)
	v_cmp_gt_i16_sdwa s[6:7], v14, s4 src0_sel:BYTE_0 src1_sel:DWORD
	s_mov_b64 s[4:5], 0
	s_and_saveexec_b64 s[8:9], s[6:7]
	s_xor_b64 s[6:7], exec, s[8:9]
	s_cbranch_execnz .LBB33_3073
; %bb.1025:
	s_or_saveexec_b64 s[6:7], s[6:7]
	v_mov_b32_e32 v20, s10
	s_xor_b64 exec, exec, s[6:7]
	s_cbranch_execnz .LBB33_3076
.LBB33_1026:
	s_or_b64 exec, exec, s[6:7]
	s_and_saveexec_b64 s[6:7], s[4:5]
	s_cbranch_execz .LBB33_1028
.LBB33_1027:
	v_and_b32_e32 v20, 7, v14
	v_ffbh_u32_e32 v22, v20
	v_min_u32_e32 v22, 32, v22
	v_lshrrev_b16_e32 v21, 3, v14
	v_subrev_u32_e32 v23, 28, v22
	v_and_b32_e32 v21, 15, v21
	v_lshlrev_b32_e32 v23, v23, v14
	v_sub_u32_e32 v22, 29, v22
	v_and_b32_e32 v23, 7, v23
	v_cmp_eq_u16_e32 vcc, 0, v21
	v_cndmask_b32_e32 v20, v20, v23, vcc
	v_cndmask_b32_e32 v21, v21, v22, vcc
	v_lshlrev_b32_e32 v22, 24, v14
	v_mov_b32_e32 v23, 0x3b800000
	v_lshlrev_b32_e32 v20, 20, v20
	v_and_b32_e32 v22, 0x80000000, v22
	v_lshl_add_u32 v21, v21, 23, v23
	v_or3_b32 v20, v22, v21, v20
.LBB33_1028:
	s_or_b64 exec, exec, s[6:7]
	s_movk_i32 s4, 0x7f
	v_cmp_gt_i16_sdwa s[6:7], v10, s4 src0_sel:BYTE_0 src1_sel:DWORD
	s_mov_b64 s[4:5], 0
                                        ; implicit-def: $sgpr10
	s_and_saveexec_b64 s[8:9], s[6:7]
	s_xor_b64 s[6:7], exec, s[8:9]
	s_cbranch_execnz .LBB33_3077
; %bb.1029:
	s_or_saveexec_b64 s[6:7], s[6:7]
	v_mov_b32_e32 v21, s10
	s_xor_b64 exec, exec, s[6:7]
	s_cbranch_execnz .LBB33_3080
.LBB33_1030:
	s_or_b64 exec, exec, s[6:7]
	s_and_saveexec_b64 s[6:7], s[4:5]
	s_cbranch_execz .LBB33_1032
.LBB33_1031:
	v_and_b32_e32 v21, 7, v10
	v_ffbh_u32_e32 v23, v21
	v_min_u32_e32 v23, 32, v23
	v_lshrrev_b16_e32 v22, 3, v10
	v_subrev_u32_e32 v24, 28, v23
	v_and_b32_e32 v22, 15, v22
	v_lshlrev_b32_e32 v24, v24, v10
	v_sub_u32_e32 v23, 29, v23
	v_and_b32_e32 v24, 7, v24
	v_cmp_eq_u16_e32 vcc, 0, v22
	v_cndmask_b32_e32 v21, v21, v24, vcc
	v_cndmask_b32_e32 v22, v22, v23, vcc
	v_lshlrev_b32_e32 v23, 24, v10
	v_mov_b32_e32 v24, 0x3b800000
	v_lshlrev_b32_e32 v21, 20, v21
	v_and_b32_e32 v23, 0x80000000, v23
	v_lshl_add_u32 v22, v22, 23, v24
	v_or3_b32 v21, v23, v22, v21
.LBB33_1032:
	s_or_b64 exec, exec, s[6:7]
	flat_load_dwordx4 a[0:3], v[18:19] offset:704
	s_movk_i32 s4, 0x7f
                                        ; implicit-def: $sgpr10
	s_waitcnt vmcnt(0) lgkmcnt(0)
	v_mfma_f32_16x16x4f32 a[0:3], v20, v21, a[0:3]
	v_lshrrev_b32_e32 v21, 8, v14
	v_cmp_gt_i16_sdwa s[6:7], v21, s4 src0_sel:BYTE_0 src1_sel:DWORD
	s_mov_b64 s[4:5], 0
	s_and_saveexec_b64 s[8:9], s[6:7]
	s_xor_b64 s[6:7], exec, s[8:9]
	s_cbranch_execnz .LBB33_3081
; %bb.1033:
	s_or_saveexec_b64 s[6:7], s[6:7]
	v_mov_b32_e32 v20, s10
	s_xor_b64 exec, exec, s[6:7]
	s_cbranch_execnz .LBB33_3084
.LBB33_1034:
	s_or_b64 exec, exec, s[6:7]
	s_and_saveexec_b64 s[6:7], s[4:5]
	s_cbranch_execz .LBB33_1036
.LBB33_1035:
	v_bfe_u32 v20, v14, 8, 3
	v_ffbh_u32_e32 v23, v20
	v_min_u32_e32 v23, 32, v23
	v_lshrrev_b16_e32 v22, 3, v21
	v_subrev_u32_e32 v24, 28, v23
	v_and_b32_e32 v22, 15, v22
	v_lshlrev_b32_e32 v21, v24, v21
	v_sub_u32_e32 v23, 29, v23
	v_and_b32_e32 v21, 7, v21
	v_cmp_eq_u16_e32 vcc, 0, v22
	v_cndmask_b32_e32 v20, v20, v21, vcc
	v_cndmask_b32_e32 v21, v22, v23, vcc
	v_lshlrev_b32_e32 v22, 16, v14
	v_mov_b32_e32 v23, 0x3b800000
	v_lshlrev_b32_e32 v20, 20, v20
	v_and_b32_e32 v22, 0x80000000, v22
	v_lshl_add_u32 v21, v21, 23, v23
	v_or3_b32 v20, v22, v21, v20
.LBB33_1036:
	s_or_b64 exec, exec, s[6:7]
	v_lshrrev_b32_e32 v21, 8, v10
	s_movk_i32 s4, 0x7f
	v_cmp_gt_i16_sdwa s[6:7], v21, s4 src0_sel:BYTE_0 src1_sel:DWORD
	s_mov_b64 s[4:5], 0
                                        ; implicit-def: $sgpr10
	s_and_saveexec_b64 s[8:9], s[6:7]
	s_xor_b64 s[6:7], exec, s[8:9]
	s_cbranch_execnz .LBB33_3085
; %bb.1037:
	s_or_saveexec_b64 s[6:7], s[6:7]
	v_mov_b32_e32 v22, s10
	s_xor_b64 exec, exec, s[6:7]
	s_cbranch_execnz .LBB33_3088
.LBB33_1038:
	s_or_b64 exec, exec, s[6:7]
	s_and_saveexec_b64 s[6:7], s[4:5]
	s_cbranch_execz .LBB33_1040
.LBB33_1039:
	v_bfe_u32 v22, v10, 8, 3
	v_ffbh_u32_e32 v24, v22
	v_min_u32_e32 v24, 32, v24
	v_lshrrev_b16_e32 v23, 3, v21
	v_subrev_u32_e32 v25, 28, v24
	v_and_b32_e32 v23, 15, v23
	v_lshlrev_b32_e32 v21, v25, v21
	v_sub_u32_e32 v24, 29, v24
	v_and_b32_e32 v21, 7, v21
	v_cmp_eq_u16_e32 vcc, 0, v23
	v_cndmask_b32_e32 v21, v22, v21, vcc
	v_cndmask_b32_e32 v22, v23, v24, vcc
	v_lshlrev_b32_e32 v23, 16, v10
	v_mov_b32_e32 v24, 0x3b800000
	v_lshlrev_b32_e32 v21, 20, v21
	v_and_b32_e32 v23, 0x80000000, v23
	v_lshl_add_u32 v22, v22, 23, v24
	v_or3_b32 v22, v23, v22, v21
.LBB33_1040:
	s_or_b64 exec, exec, s[6:7]
	s_nop 0
	v_mfma_f32_16x16x4f32 a[0:3], v20, v22, a[0:3]
	s_movk_i32 s4, 0xff
	v_and_b32_sdwa v21, v14, s4 dst_sel:DWORD dst_unused:UNUSED_PAD src0_sel:WORD_1 src1_sel:DWORD
	s_movk_i32 s4, 0x7f
	v_cmp_lt_i16_e32 vcc, s4, v21
	s_mov_b64 s[4:5], 0
                                        ; implicit-def: $sgpr10
	s_and_saveexec_b64 s[6:7], vcc
	s_xor_b64 s[6:7], exec, s[6:7]
	s_cbranch_execnz .LBB33_3089
; %bb.1041:
	s_or_saveexec_b64 s[6:7], s[6:7]
	v_mov_b32_e32 v20, s10
	s_xor_b64 exec, exec, s[6:7]
	s_cbranch_execnz .LBB33_3092
.LBB33_1042:
	s_or_b64 exec, exec, s[6:7]
	s_and_saveexec_b64 s[6:7], s[4:5]
	s_cbranch_execz .LBB33_1044
.LBB33_1043:
	v_bfe_u32 v20, v14, 16, 3
	v_ffbh_u32_e32 v23, v20
	v_min_u32_e32 v23, 32, v23
	v_lshrrev_b32_e32 v21, 19, v14
	v_subrev_u32_e32 v24, 28, v23
	v_and_b32_e32 v21, 15, v21
	v_lshlrev_b32_sdwa v24, v24, v14 dst_sel:DWORD dst_unused:UNUSED_PAD src0_sel:DWORD src1_sel:WORD_1
	v_bfe_u32 v22, v14, 19, 4
	v_sub_u32_e32 v23, 29, v23
	v_and_b32_e32 v24, 7, v24
	v_cmp_eq_u16_e32 vcc, 0, v21
	v_cndmask_b32_e32 v20, v20, v24, vcc
	v_cndmask_b32_e32 v21, v22, v23, vcc
	v_lshlrev_b32_e32 v22, 8, v14
	v_mov_b32_e32 v23, 0x3b800000
	v_lshlrev_b32_e32 v20, 20, v20
	v_and_b32_e32 v22, 0x80000000, v22
	v_lshl_add_u32 v21, v21, 23, v23
	v_or3_b32 v20, v22, v21, v20
.LBB33_1044:
	s_or_b64 exec, exec, s[6:7]
	s_movk_i32 s4, 0xff
	v_and_b32_sdwa v21, v10, s4 dst_sel:DWORD dst_unused:UNUSED_PAD src0_sel:WORD_1 src1_sel:DWORD
	s_movk_i32 s4, 0x7f
	v_cmp_lt_i16_e32 vcc, s4, v21
	s_mov_b64 s[4:5], 0
                                        ; implicit-def: $sgpr10
	s_and_saveexec_b64 s[6:7], vcc
	s_xor_b64 s[6:7], exec, s[6:7]
	s_cbranch_execnz .LBB33_3093
; %bb.1045:
	s_or_saveexec_b64 s[6:7], s[6:7]
	v_mov_b32_e32 v22, s10
	s_xor_b64 exec, exec, s[6:7]
	s_cbranch_execnz .LBB33_3096
.LBB33_1046:
	s_or_b64 exec, exec, s[6:7]
	s_and_saveexec_b64 s[6:7], s[4:5]
	s_cbranch_execz .LBB33_1048
.LBB33_1047:
	v_bfe_u32 v21, v10, 16, 3
	v_ffbh_u32_e32 v24, v21
	v_min_u32_e32 v24, 32, v24
	v_lshrrev_b32_e32 v22, 19, v10
	v_subrev_u32_e32 v25, 28, v24
	v_and_b32_e32 v22, 15, v22
	v_lshlrev_b32_sdwa v25, v25, v10 dst_sel:DWORD dst_unused:UNUSED_PAD src0_sel:DWORD src1_sel:WORD_1
	v_bfe_u32 v23, v10, 19, 4
	v_sub_u32_e32 v24, 29, v24
	v_and_b32_e32 v25, 7, v25
	v_cmp_eq_u16_e32 vcc, 0, v22
	v_cndmask_b32_e32 v21, v21, v25, vcc
	v_cndmask_b32_e32 v22, v23, v24, vcc
	v_lshlrev_b32_e32 v23, 8, v10
	v_mov_b32_e32 v24, 0x3b800000
	v_lshlrev_b32_e32 v21, 20, v21
	v_and_b32_e32 v23, 0x80000000, v23
	v_lshl_add_u32 v22, v22, 23, v24
	v_or3_b32 v22, v23, v22, v21
.LBB33_1048:
	s_or_b64 exec, exec, s[6:7]
	s_nop 0
	v_mfma_f32_16x16x4f32 a[0:3], v20, v22, a[0:3]
	s_movk_i32 s4, 0x7f
	v_cmp_gt_i16_sdwa s[6:7], v14, s4 src0_sel:BYTE_3 src1_sel:DWORD
	s_mov_b64 s[4:5], 0
                                        ; implicit-def: $sgpr10
	s_and_saveexec_b64 s[8:9], s[6:7]
	s_xor_b64 s[6:7], exec, s[8:9]
	s_cbranch_execnz .LBB33_3097
; %bb.1049:
	s_or_saveexec_b64 s[6:7], s[6:7]
	v_mov_b32_e32 v20, s10
	s_xor_b64 exec, exec, s[6:7]
	s_cbranch_execnz .LBB33_3100
.LBB33_1050:
	s_or_b64 exec, exec, s[6:7]
	s_and_saveexec_b64 s[6:7], s[4:5]
	s_cbranch_execz .LBB33_1052
.LBB33_1051:
	v_bfe_u32 v20, v14, 24, 3
	v_ffbh_u32_e32 v24, v20
	v_min_u32_e32 v24, 32, v24
	v_lshrrev_b32_e32 v22, 27, v14
	v_subrev_u32_e32 v25, 28, v24
	v_and_b32_e32 v21, 0x80000000, v14
	v_and_b32_e32 v22, 15, v22
	v_bfe_u32 v23, v14, 27, 4
	v_lshlrev_b32_sdwa v14, v25, v14 dst_sel:DWORD dst_unused:UNUSED_PAD src0_sel:DWORD src1_sel:BYTE_3
	v_sub_u32_e32 v24, 29, v24
	v_and_b32_e32 v14, 7, v14
	v_cmp_eq_u16_e32 vcc, 0, v22
	v_cndmask_b32_e32 v14, v20, v14, vcc
	v_cndmask_b32_e32 v20, v23, v24, vcc
	v_mov_b32_e32 v22, 0x3b800000
	v_lshlrev_b32_e32 v14, 20, v14
	v_lshl_add_u32 v20, v20, 23, v22
	v_or3_b32 v20, v21, v20, v14
.LBB33_1052:
	s_or_b64 exec, exec, s[6:7]
	s_movk_i32 s4, 0x7f
	v_cmp_gt_i16_sdwa s[6:7], v10, s4 src0_sel:BYTE_3 src1_sel:DWORD
	s_mov_b64 s[4:5], 0
                                        ; implicit-def: $sgpr10
	s_and_saveexec_b64 s[8:9], s[6:7]
	s_xor_b64 s[6:7], exec, s[8:9]
	s_cbranch_execnz .LBB33_3101
; %bb.1053:
	s_or_saveexec_b64 s[6:7], s[6:7]
	v_mov_b32_e32 v14, s10
	s_xor_b64 exec, exec, s[6:7]
	s_cbranch_execnz .LBB33_3104
.LBB33_1054:
	s_or_b64 exec, exec, s[6:7]
	s_and_saveexec_b64 s[6:7], s[4:5]
	s_cbranch_execz .LBB33_1056
.LBB33_1055:
	v_bfe_u32 v14, v10, 24, 3
	v_ffbh_u32_e32 v24, v14
	v_min_u32_e32 v24, 32, v24
	v_lshrrev_b32_e32 v22, 27, v10
	v_subrev_u32_e32 v25, 28, v24
	v_and_b32_e32 v21, 0x80000000, v10
	v_and_b32_e32 v22, 15, v22
	v_bfe_u32 v23, v10, 27, 4
	v_lshlrev_b32_sdwa v10, v25, v10 dst_sel:DWORD dst_unused:UNUSED_PAD src0_sel:DWORD src1_sel:BYTE_3
	v_sub_u32_e32 v24, 29, v24
	v_and_b32_e32 v10, 7, v10
	v_cmp_eq_u16_e32 vcc, 0, v22
	v_cndmask_b32_e32 v10, v14, v10, vcc
	v_cndmask_b32_e32 v14, v23, v24, vcc
	v_mov_b32_e32 v22, 0x3b800000
	v_lshlrev_b32_e32 v10, 20, v10
	v_lshl_add_u32 v14, v14, 23, v22
	v_or3_b32 v14, v21, v14, v10
.LBB33_1056:
	s_or_b64 exec, exec, s[6:7]
	s_nop 0
	v_mfma_f32_16x16x4f32 a[0:3], v20, v14, a[0:3]
	s_movk_i32 s4, 0x7f
	v_cmp_gt_i16_sdwa s[6:7], v15, s4 src0_sel:BYTE_0 src1_sel:DWORD
	s_mov_b64 s[4:5], 0
                                        ; implicit-def: $sgpr10
	s_and_saveexec_b64 s[8:9], s[6:7]
	s_xor_b64 s[6:7], exec, s[8:9]
	s_cbranch_execnz .LBB33_3105
; %bb.1057:
	s_or_saveexec_b64 s[6:7], s[6:7]
	v_mov_b32_e32 v10, s10
	s_xor_b64 exec, exec, s[6:7]
	s_cbranch_execnz .LBB33_3108
.LBB33_1058:
	s_or_b64 exec, exec, s[6:7]
	s_and_saveexec_b64 s[6:7], s[4:5]
	s_cbranch_execz .LBB33_1060
.LBB33_1059:
	v_and_b32_e32 v10, 7, v15
	v_ffbh_u32_e32 v20, v10
	v_min_u32_e32 v20, 32, v20
	v_lshrrev_b16_e32 v14, 3, v15
	v_subrev_u32_e32 v21, 28, v20
	v_and_b32_e32 v14, 15, v14
	v_lshlrev_b32_e32 v21, v21, v15
	v_sub_u32_e32 v20, 29, v20
	v_and_b32_e32 v21, 7, v21
	v_cmp_eq_u16_e32 vcc, 0, v14
	v_cndmask_b32_e32 v10, v10, v21, vcc
	v_cndmask_b32_e32 v14, v14, v20, vcc
	v_lshlrev_b32_e32 v20, 24, v15
	v_mov_b32_e32 v21, 0x3b800000
	v_lshlrev_b32_e32 v10, 20, v10
	v_and_b32_e32 v20, 0x80000000, v20
	v_lshl_add_u32 v14, v14, 23, v21
	v_or3_b32 v10, v20, v14, v10
.LBB33_1060:
	s_or_b64 exec, exec, s[6:7]
	s_movk_i32 s4, 0x7f
	v_cmp_gt_i16_sdwa s[6:7], v11, s4 src0_sel:BYTE_0 src1_sel:DWORD
	s_mov_b64 s[4:5], 0
                                        ; implicit-def: $sgpr10
	s_and_saveexec_b64 s[8:9], s[6:7]
	s_xor_b64 s[6:7], exec, s[8:9]
	s_cbranch_execnz .LBB33_3109
; %bb.1061:
	s_or_saveexec_b64 s[6:7], s[6:7]
	v_mov_b32_e32 v14, s10
	s_xor_b64 exec, exec, s[6:7]
	s_cbranch_execnz .LBB33_3112
.LBB33_1062:
	s_or_b64 exec, exec, s[6:7]
	s_and_saveexec_b64 s[6:7], s[4:5]
	s_cbranch_execz .LBB33_1064
.LBB33_1063:
	v_and_b32_e32 v14, 7, v11
	v_ffbh_u32_e32 v21, v14
	v_min_u32_e32 v21, 32, v21
	v_lshrrev_b16_e32 v20, 3, v11
	v_subrev_u32_e32 v22, 28, v21
	v_and_b32_e32 v20, 15, v20
	v_lshlrev_b32_e32 v22, v22, v11
	v_sub_u32_e32 v21, 29, v21
	v_and_b32_e32 v22, 7, v22
	v_cmp_eq_u16_e32 vcc, 0, v20
	v_cndmask_b32_e32 v14, v14, v22, vcc
	v_cndmask_b32_e32 v20, v20, v21, vcc
	v_lshlrev_b32_e32 v21, 24, v11
	v_mov_b32_e32 v22, 0x3b800000
	v_lshlrev_b32_e32 v14, 20, v14
	v_and_b32_e32 v21, 0x80000000, v21
	v_lshl_add_u32 v20, v20, 23, v22
	v_or3_b32 v14, v21, v20, v14
.LBB33_1064:
	s_or_b64 exec, exec, s[6:7]
	s_nop 0
	v_mfma_f32_16x16x4f32 a[0:3], v10, v14, a[0:3]
	v_lshrrev_b32_e32 v14, 8, v15
	s_movk_i32 s4, 0x7f
	v_cmp_gt_i16_sdwa s[6:7], v14, s4 src0_sel:BYTE_0 src1_sel:DWORD
	s_mov_b64 s[4:5], 0
                                        ; implicit-def: $sgpr10
	s_and_saveexec_b64 s[8:9], s[6:7]
	s_xor_b64 s[6:7], exec, s[8:9]
	s_cbranch_execnz .LBB33_3113
; %bb.1065:
	s_or_saveexec_b64 s[6:7], s[6:7]
	v_mov_b32_e32 v10, s10
	s_xor_b64 exec, exec, s[6:7]
	s_cbranch_execnz .LBB33_3116
.LBB33_1066:
	s_or_b64 exec, exec, s[6:7]
	s_and_saveexec_b64 s[6:7], s[4:5]
	s_cbranch_execz .LBB33_1068
.LBB33_1067:
	v_bfe_u32 v10, v15, 8, 3
	v_ffbh_u32_e32 v21, v10
	v_min_u32_e32 v21, 32, v21
	v_lshrrev_b16_e32 v20, 3, v14
	v_subrev_u32_e32 v22, 28, v21
	v_and_b32_e32 v20, 15, v20
	v_lshlrev_b32_e32 v14, v22, v14
	v_sub_u32_e32 v21, 29, v21
	v_and_b32_e32 v14, 7, v14
	v_cmp_eq_u16_e32 vcc, 0, v20
	v_cndmask_b32_e32 v10, v10, v14, vcc
	v_cndmask_b32_e32 v14, v20, v21, vcc
	v_lshlrev_b32_e32 v20, 16, v15
	v_mov_b32_e32 v21, 0x3b800000
	v_lshlrev_b32_e32 v10, 20, v10
	v_and_b32_e32 v20, 0x80000000, v20
	v_lshl_add_u32 v14, v14, 23, v21
	v_or3_b32 v10, v20, v14, v10
.LBB33_1068:
	s_or_b64 exec, exec, s[6:7]
	v_lshrrev_b32_e32 v14, 8, v11
	s_movk_i32 s4, 0x7f
	v_cmp_gt_i16_sdwa s[6:7], v14, s4 src0_sel:BYTE_0 src1_sel:DWORD
	s_mov_b64 s[4:5], 0
                                        ; implicit-def: $sgpr10
	s_and_saveexec_b64 s[8:9], s[6:7]
	s_xor_b64 s[6:7], exec, s[8:9]
	s_cbranch_execnz .LBB33_3117
; %bb.1069:
	s_or_saveexec_b64 s[6:7], s[6:7]
	v_mov_b32_e32 v20, s10
	s_xor_b64 exec, exec, s[6:7]
	s_cbranch_execnz .LBB33_3120
.LBB33_1070:
	s_or_b64 exec, exec, s[6:7]
	s_and_saveexec_b64 s[6:7], s[4:5]
	s_cbranch_execz .LBB33_1072
.LBB33_1071:
	v_bfe_u32 v20, v11, 8, 3
	v_ffbh_u32_e32 v22, v20
	v_min_u32_e32 v22, 32, v22
	v_lshrrev_b16_e32 v21, 3, v14
	v_subrev_u32_e32 v23, 28, v22
	v_and_b32_e32 v21, 15, v21
	v_lshlrev_b32_e32 v14, v23, v14
	v_sub_u32_e32 v22, 29, v22
	v_and_b32_e32 v14, 7, v14
	v_cmp_eq_u16_e32 vcc, 0, v21
	v_cndmask_b32_e32 v14, v20, v14, vcc
	v_cndmask_b32_e32 v20, v21, v22, vcc
	v_lshlrev_b32_e32 v21, 16, v11
	v_mov_b32_e32 v22, 0x3b800000
	v_lshlrev_b32_e32 v14, 20, v14
	v_and_b32_e32 v21, 0x80000000, v21
	v_lshl_add_u32 v20, v20, 23, v22
	v_or3_b32 v20, v21, v20, v14
.LBB33_1072:
	s_or_b64 exec, exec, s[6:7]
	s_nop 0
	v_mfma_f32_16x16x4f32 a[0:3], v10, v20, a[0:3]
	s_movk_i32 s4, 0xff
	v_and_b32_sdwa v14, v15, s4 dst_sel:DWORD dst_unused:UNUSED_PAD src0_sel:WORD_1 src1_sel:DWORD
	s_movk_i32 s4, 0x7f
	v_cmp_lt_i16_e32 vcc, s4, v14
	s_mov_b64 s[4:5], 0
                                        ; implicit-def: $sgpr10
	s_and_saveexec_b64 s[6:7], vcc
	s_xor_b64 s[6:7], exec, s[6:7]
	s_cbranch_execnz .LBB33_3121
; %bb.1073:
	s_or_saveexec_b64 s[6:7], s[6:7]
	v_mov_b32_e32 v10, s10
	s_xor_b64 exec, exec, s[6:7]
	s_cbranch_execnz .LBB33_3124
.LBB33_1074:
	s_or_b64 exec, exec, s[6:7]
	s_and_saveexec_b64 s[6:7], s[4:5]
	s_cbranch_execz .LBB33_1076
.LBB33_1075:
	v_bfe_u32 v10, v15, 16, 3
	v_ffbh_u32_e32 v21, v10
	v_min_u32_e32 v21, 32, v21
	v_lshrrev_b32_e32 v14, 19, v15
	v_subrev_u32_e32 v22, 28, v21
	v_and_b32_e32 v14, 15, v14
	v_lshlrev_b32_sdwa v22, v22, v15 dst_sel:DWORD dst_unused:UNUSED_PAD src0_sel:DWORD src1_sel:WORD_1
	v_bfe_u32 v20, v15, 19, 4
	v_sub_u32_e32 v21, 29, v21
	v_and_b32_e32 v22, 7, v22
	v_cmp_eq_u16_e32 vcc, 0, v14
	v_cndmask_b32_e32 v10, v10, v22, vcc
	v_cndmask_b32_e32 v14, v20, v21, vcc
	v_lshlrev_b32_e32 v20, 8, v15
	v_mov_b32_e32 v21, 0x3b800000
	v_lshlrev_b32_e32 v10, 20, v10
	v_and_b32_e32 v20, 0x80000000, v20
	v_lshl_add_u32 v14, v14, 23, v21
	v_or3_b32 v10, v20, v14, v10
.LBB33_1076:
	s_or_b64 exec, exec, s[6:7]
	s_movk_i32 s4, 0xff
	v_and_b32_sdwa v14, v11, s4 dst_sel:DWORD dst_unused:UNUSED_PAD src0_sel:WORD_1 src1_sel:DWORD
	s_movk_i32 s4, 0x7f
	v_cmp_lt_i16_e32 vcc, s4, v14
	s_mov_b64 s[4:5], 0
                                        ; implicit-def: $sgpr10
	s_and_saveexec_b64 s[6:7], vcc
	s_xor_b64 s[6:7], exec, s[6:7]
	s_cbranch_execnz .LBB33_3125
; %bb.1077:
	s_or_saveexec_b64 s[6:7], s[6:7]
	v_mov_b32_e32 v20, s10
	s_xor_b64 exec, exec, s[6:7]
	s_cbranch_execnz .LBB33_3128
.LBB33_1078:
	s_or_b64 exec, exec, s[6:7]
	s_and_saveexec_b64 s[6:7], s[4:5]
	s_cbranch_execz .LBB33_1080
.LBB33_1079:
	v_bfe_u32 v14, v11, 16, 3
	v_ffbh_u32_e32 v22, v14
	v_min_u32_e32 v22, 32, v22
	v_lshrrev_b32_e32 v20, 19, v11
	v_subrev_u32_e32 v23, 28, v22
	v_and_b32_e32 v20, 15, v20
	v_lshlrev_b32_sdwa v23, v23, v11 dst_sel:DWORD dst_unused:UNUSED_PAD src0_sel:DWORD src1_sel:WORD_1
	v_bfe_u32 v21, v11, 19, 4
	v_sub_u32_e32 v22, 29, v22
	v_and_b32_e32 v23, 7, v23
	v_cmp_eq_u16_e32 vcc, 0, v20
	v_cndmask_b32_e32 v14, v14, v23, vcc
	v_cndmask_b32_e32 v20, v21, v22, vcc
	v_lshlrev_b32_e32 v21, 8, v11
	v_mov_b32_e32 v22, 0x3b800000
	v_lshlrev_b32_e32 v14, 20, v14
	v_and_b32_e32 v21, 0x80000000, v21
	v_lshl_add_u32 v20, v20, 23, v22
	v_or3_b32 v20, v21, v20, v14
.LBB33_1080:
	s_or_b64 exec, exec, s[6:7]
	s_nop 0
	v_mfma_f32_16x16x4f32 a[0:3], v10, v20, a[0:3]
	s_movk_i32 s4, 0x7f
	v_cmp_gt_i16_sdwa s[6:7], v15, s4 src0_sel:BYTE_3 src1_sel:DWORD
	s_mov_b64 s[4:5], 0
                                        ; implicit-def: $sgpr10
	s_and_saveexec_b64 s[8:9], s[6:7]
	s_xor_b64 s[6:7], exec, s[8:9]
	s_cbranch_execnz .LBB33_3129
; %bb.1081:
	s_or_saveexec_b64 s[6:7], s[6:7]
	v_mov_b32_e32 v10, s10
	s_xor_b64 exec, exec, s[6:7]
	s_cbranch_execnz .LBB33_3132
.LBB33_1082:
	s_or_b64 exec, exec, s[6:7]
	s_and_saveexec_b64 s[6:7], s[4:5]
	s_cbranch_execz .LBB33_1084
.LBB33_1083:
	v_bfe_u32 v10, v15, 24, 3
	v_ffbh_u32_e32 v22, v10
	v_min_u32_e32 v22, 32, v22
	v_lshrrev_b32_e32 v20, 27, v15
	v_subrev_u32_e32 v23, 28, v22
	v_and_b32_e32 v14, 0x80000000, v15
	v_and_b32_e32 v20, 15, v20
	v_bfe_u32 v21, v15, 27, 4
	v_lshlrev_b32_sdwa v15, v23, v15 dst_sel:DWORD dst_unused:UNUSED_PAD src0_sel:DWORD src1_sel:BYTE_3
	v_sub_u32_e32 v22, 29, v22
	v_and_b32_e32 v15, 7, v15
	v_cmp_eq_u16_e32 vcc, 0, v20
	v_cndmask_b32_e32 v10, v10, v15, vcc
	v_cndmask_b32_e32 v15, v21, v22, vcc
	v_mov_b32_e32 v20, 0x3b800000
	v_lshlrev_b32_e32 v10, 20, v10
	v_lshl_add_u32 v15, v15, 23, v20
	v_or3_b32 v10, v14, v15, v10
.LBB33_1084:
	s_or_b64 exec, exec, s[6:7]
	s_movk_i32 s4, 0x7f
	v_cmp_gt_i16_sdwa s[6:7], v11, s4 src0_sel:BYTE_3 src1_sel:DWORD
	s_mov_b64 s[4:5], 0
                                        ; implicit-def: $sgpr10
	s_and_saveexec_b64 s[8:9], s[6:7]
	s_xor_b64 s[6:7], exec, s[8:9]
	s_cbranch_execnz .LBB33_3133
; %bb.1085:
	s_or_saveexec_b64 s[6:7], s[6:7]
	v_mov_b32_e32 v14, s10
	s_xor_b64 exec, exec, s[6:7]
	s_cbranch_execnz .LBB33_3136
.LBB33_1086:
	s_or_b64 exec, exec, s[6:7]
	s_and_saveexec_b64 s[6:7], s[4:5]
	s_cbranch_execz .LBB33_1088
.LBB33_1087:
	v_bfe_u32 v14, v11, 24, 3
	v_ffbh_u32_e32 v22, v14
	v_min_u32_e32 v22, 32, v22
	v_lshrrev_b32_e32 v20, 27, v11
	v_subrev_u32_e32 v23, 28, v22
	v_and_b32_e32 v15, 0x80000000, v11
	v_and_b32_e32 v20, 15, v20
	v_bfe_u32 v21, v11, 27, 4
	v_lshlrev_b32_sdwa v11, v23, v11 dst_sel:DWORD dst_unused:UNUSED_PAD src0_sel:DWORD src1_sel:BYTE_3
	v_sub_u32_e32 v22, 29, v22
	v_and_b32_e32 v11, 7, v11
	v_cmp_eq_u16_e32 vcc, 0, v20
	v_cndmask_b32_e32 v11, v14, v11, vcc
	v_cndmask_b32_e32 v14, v21, v22, vcc
	v_mov_b32_e32 v20, 0x3b800000
	v_lshlrev_b32_e32 v11, 20, v11
	v_lshl_add_u32 v14, v14, 23, v20
	v_or3_b32 v14, v15, v14, v11
.LBB33_1088:
	s_or_b64 exec, exec, s[6:7]
	s_nop 0
	v_mfma_f32_16x16x4f32 a[0:3], v10, v14, a[0:3]
	s_movk_i32 s4, 0x7f
	v_cmp_gt_i16_sdwa s[6:7], v16, s4 src0_sel:BYTE_0 src1_sel:DWORD
	s_mov_b64 s[4:5], 0
                                        ; implicit-def: $sgpr10
	s_and_saveexec_b64 s[8:9], s[6:7]
	s_xor_b64 s[6:7], exec, s[8:9]
	s_cbranch_execnz .LBB33_3137
; %bb.1089:
	s_or_saveexec_b64 s[6:7], s[6:7]
	v_mov_b32_e32 v10, s10
	s_xor_b64 exec, exec, s[6:7]
	s_cbranch_execnz .LBB33_3140
.LBB33_1090:
	s_or_b64 exec, exec, s[6:7]
	s_and_saveexec_b64 s[6:7], s[4:5]
	s_cbranch_execz .LBB33_1092
.LBB33_1091:
	v_and_b32_e32 v10, 7, v16
	v_ffbh_u32_e32 v14, v10
	v_min_u32_e32 v14, 32, v14
	v_lshrrev_b16_e32 v11, 3, v16
	v_subrev_u32_e32 v15, 28, v14
	v_and_b32_e32 v11, 15, v11
	v_lshlrev_b32_e32 v15, v15, v16
	v_sub_u32_e32 v14, 29, v14
	v_and_b32_e32 v15, 7, v15
	v_cmp_eq_u16_e32 vcc, 0, v11
	v_cndmask_b32_e32 v10, v10, v15, vcc
	v_cndmask_b32_e32 v11, v11, v14, vcc
	v_lshlrev_b32_e32 v14, 24, v16
	v_mov_b32_e32 v15, 0x3b800000
	v_lshlrev_b32_e32 v10, 20, v10
	v_and_b32_e32 v14, 0x80000000, v14
	v_lshl_add_u32 v11, v11, 23, v15
	v_or3_b32 v10, v14, v11, v10
.LBB33_1092:
	s_or_b64 exec, exec, s[6:7]
	s_movk_i32 s4, 0x7f
	v_cmp_gt_i16_sdwa s[6:7], v12, s4 src0_sel:BYTE_0 src1_sel:DWORD
	s_mov_b64 s[4:5], 0
                                        ; implicit-def: $sgpr10
	s_and_saveexec_b64 s[8:9], s[6:7]
	s_xor_b64 s[6:7], exec, s[8:9]
	s_cbranch_execnz .LBB33_3141
; %bb.1093:
	s_or_saveexec_b64 s[6:7], s[6:7]
	v_mov_b32_e32 v11, s10
	s_xor_b64 exec, exec, s[6:7]
	s_cbranch_execnz .LBB33_3144
.LBB33_1094:
	s_or_b64 exec, exec, s[6:7]
	s_and_saveexec_b64 s[6:7], s[4:5]
	s_cbranch_execz .LBB33_1096
.LBB33_1095:
	v_and_b32_e32 v11, 7, v12
	v_ffbh_u32_e32 v15, v11
	v_min_u32_e32 v15, 32, v15
	v_lshrrev_b16_e32 v14, 3, v12
	v_subrev_u32_e32 v20, 28, v15
	v_and_b32_e32 v14, 15, v14
	v_lshlrev_b32_e32 v20, v20, v12
	v_sub_u32_e32 v15, 29, v15
	v_and_b32_e32 v20, 7, v20
	v_cmp_eq_u16_e32 vcc, 0, v14
	v_cndmask_b32_e32 v11, v11, v20, vcc
	v_cndmask_b32_e32 v14, v14, v15, vcc
	v_lshlrev_b32_e32 v15, 24, v12
	v_mov_b32_e32 v20, 0x3b800000
	v_lshlrev_b32_e32 v11, 20, v11
	v_and_b32_e32 v15, 0x80000000, v15
	v_lshl_add_u32 v14, v14, 23, v20
	v_or3_b32 v11, v15, v14, v11
.LBB33_1096:
	s_or_b64 exec, exec, s[6:7]
	s_nop 0
	v_mfma_f32_16x16x4f32 a[0:3], v10, v11, a[0:3]
	v_lshrrev_b32_e32 v11, 8, v16
	s_movk_i32 s4, 0x7f
	v_cmp_gt_i16_sdwa s[6:7], v11, s4 src0_sel:BYTE_0 src1_sel:DWORD
	s_mov_b64 s[4:5], 0
                                        ; implicit-def: $sgpr10
	s_and_saveexec_b64 s[8:9], s[6:7]
	s_xor_b64 s[6:7], exec, s[8:9]
	s_cbranch_execnz .LBB33_3145
; %bb.1097:
	s_or_saveexec_b64 s[6:7], s[6:7]
	v_mov_b32_e32 v10, s10
	s_xor_b64 exec, exec, s[6:7]
	s_cbranch_execnz .LBB33_3148
.LBB33_1098:
	s_or_b64 exec, exec, s[6:7]
	s_and_saveexec_b64 s[6:7], s[4:5]
	s_cbranch_execz .LBB33_1100
.LBB33_1099:
	v_bfe_u32 v10, v16, 8, 3
	v_ffbh_u32_e32 v15, v10
	v_min_u32_e32 v15, 32, v15
	v_lshrrev_b16_e32 v14, 3, v11
	v_subrev_u32_e32 v20, 28, v15
	v_and_b32_e32 v14, 15, v14
	v_lshlrev_b32_e32 v11, v20, v11
	v_sub_u32_e32 v15, 29, v15
	v_and_b32_e32 v11, 7, v11
	v_cmp_eq_u16_e32 vcc, 0, v14
	v_cndmask_b32_e32 v10, v10, v11, vcc
	v_cndmask_b32_e32 v11, v14, v15, vcc
	v_lshlrev_b32_e32 v14, 16, v16
	v_mov_b32_e32 v15, 0x3b800000
	v_lshlrev_b32_e32 v10, 20, v10
	v_and_b32_e32 v14, 0x80000000, v14
	v_lshl_add_u32 v11, v11, 23, v15
	v_or3_b32 v10, v14, v11, v10
.LBB33_1100:
	s_or_b64 exec, exec, s[6:7]
	v_lshrrev_b32_e32 v11, 8, v12
	s_movk_i32 s4, 0x7f
	v_cmp_gt_i16_sdwa s[6:7], v11, s4 src0_sel:BYTE_0 src1_sel:DWORD
	s_mov_b64 s[4:5], 0
                                        ; implicit-def: $sgpr10
	s_and_saveexec_b64 s[8:9], s[6:7]
	s_xor_b64 s[6:7], exec, s[8:9]
	s_cbranch_execnz .LBB33_3149
; %bb.1101:
	s_or_saveexec_b64 s[6:7], s[6:7]
	v_mov_b32_e32 v14, s10
	s_xor_b64 exec, exec, s[6:7]
	s_cbranch_execnz .LBB33_3152
.LBB33_1102:
	s_or_b64 exec, exec, s[6:7]
	s_and_saveexec_b64 s[6:7], s[4:5]
	s_cbranch_execz .LBB33_1104
.LBB33_1103:
	v_bfe_u32 v14, v12, 8, 3
	v_ffbh_u32_e32 v20, v14
	v_min_u32_e32 v20, 32, v20
	v_lshrrev_b16_e32 v15, 3, v11
	v_subrev_u32_e32 v21, 28, v20
	v_and_b32_e32 v15, 15, v15
	v_lshlrev_b32_e32 v11, v21, v11
	v_sub_u32_e32 v20, 29, v20
	v_and_b32_e32 v11, 7, v11
	v_cmp_eq_u16_e32 vcc, 0, v15
	v_cndmask_b32_e32 v11, v14, v11, vcc
	v_cndmask_b32_e32 v14, v15, v20, vcc
	v_lshlrev_b32_e32 v15, 16, v12
	v_mov_b32_e32 v20, 0x3b800000
	v_lshlrev_b32_e32 v11, 20, v11
	v_and_b32_e32 v15, 0x80000000, v15
	v_lshl_add_u32 v14, v14, 23, v20
	v_or3_b32 v14, v15, v14, v11
.LBB33_1104:
	s_or_b64 exec, exec, s[6:7]
	s_nop 0
	v_mfma_f32_16x16x4f32 a[0:3], v10, v14, a[0:3]
	s_movk_i32 s4, 0xff
	v_and_b32_sdwa v11, v16, s4 dst_sel:DWORD dst_unused:UNUSED_PAD src0_sel:WORD_1 src1_sel:DWORD
	s_movk_i32 s4, 0x7f
	v_cmp_lt_i16_e32 vcc, s4, v11
	s_mov_b64 s[4:5], 0
                                        ; implicit-def: $sgpr10
	s_and_saveexec_b64 s[6:7], vcc
	s_xor_b64 s[6:7], exec, s[6:7]
	s_cbranch_execnz .LBB33_3153
; %bb.1105:
	s_or_saveexec_b64 s[6:7], s[6:7]
	v_mov_b32_e32 v10, s10
	s_xor_b64 exec, exec, s[6:7]
	s_cbranch_execnz .LBB33_3156
.LBB33_1106:
	s_or_b64 exec, exec, s[6:7]
	s_and_saveexec_b64 s[6:7], s[4:5]
	s_cbranch_execz .LBB33_1108
.LBB33_1107:
	v_bfe_u32 v10, v16, 16, 3
	v_ffbh_u32_e32 v15, v10
	v_min_u32_e32 v15, 32, v15
	v_lshrrev_b32_e32 v11, 19, v16
	v_subrev_u32_e32 v20, 28, v15
	v_and_b32_e32 v11, 15, v11
	v_lshlrev_b32_sdwa v20, v20, v16 dst_sel:DWORD dst_unused:UNUSED_PAD src0_sel:DWORD src1_sel:WORD_1
	v_bfe_u32 v14, v16, 19, 4
	v_sub_u32_e32 v15, 29, v15
	v_and_b32_e32 v20, 7, v20
	v_cmp_eq_u16_e32 vcc, 0, v11
	v_cndmask_b32_e32 v10, v10, v20, vcc
	v_cndmask_b32_e32 v11, v14, v15, vcc
	v_lshlrev_b32_e32 v14, 8, v16
	v_mov_b32_e32 v15, 0x3b800000
	v_lshlrev_b32_e32 v10, 20, v10
	v_and_b32_e32 v14, 0x80000000, v14
	v_lshl_add_u32 v11, v11, 23, v15
	v_or3_b32 v10, v14, v11, v10
.LBB33_1108:
	s_or_b64 exec, exec, s[6:7]
	s_movk_i32 s4, 0xff
	v_and_b32_sdwa v11, v12, s4 dst_sel:DWORD dst_unused:UNUSED_PAD src0_sel:WORD_1 src1_sel:DWORD
	s_movk_i32 s4, 0x7f
	v_cmp_lt_i16_e32 vcc, s4, v11
	s_mov_b64 s[4:5], 0
                                        ; implicit-def: $sgpr10
	s_and_saveexec_b64 s[6:7], vcc
	s_xor_b64 s[6:7], exec, s[6:7]
	s_cbranch_execnz .LBB33_3157
; %bb.1109:
	s_or_saveexec_b64 s[6:7], s[6:7]
	v_mov_b32_e32 v14, s10
	s_xor_b64 exec, exec, s[6:7]
	s_cbranch_execnz .LBB33_3160
.LBB33_1110:
	s_or_b64 exec, exec, s[6:7]
	s_and_saveexec_b64 s[6:7], s[4:5]
	s_cbranch_execz .LBB33_1112
.LBB33_1111:
	v_bfe_u32 v11, v12, 16, 3
	v_ffbh_u32_e32 v20, v11
	v_min_u32_e32 v20, 32, v20
	v_lshrrev_b32_e32 v14, 19, v12
	v_subrev_u32_e32 v21, 28, v20
	v_and_b32_e32 v14, 15, v14
	v_lshlrev_b32_sdwa v21, v21, v12 dst_sel:DWORD dst_unused:UNUSED_PAD src0_sel:DWORD src1_sel:WORD_1
	v_bfe_u32 v15, v12, 19, 4
	v_sub_u32_e32 v20, 29, v20
	v_and_b32_e32 v21, 7, v21
	v_cmp_eq_u16_e32 vcc, 0, v14
	v_cndmask_b32_e32 v11, v11, v21, vcc
	v_cndmask_b32_e32 v14, v15, v20, vcc
	v_lshlrev_b32_e32 v15, 8, v12
	v_mov_b32_e32 v20, 0x3b800000
	v_lshlrev_b32_e32 v11, 20, v11
	v_and_b32_e32 v15, 0x80000000, v15
	v_lshl_add_u32 v14, v14, 23, v20
	v_or3_b32 v14, v15, v14, v11
.LBB33_1112:
	s_or_b64 exec, exec, s[6:7]
	s_nop 0
	v_mfma_f32_16x16x4f32 a[0:3], v10, v14, a[0:3]
	s_movk_i32 s4, 0x7f
	v_cmp_gt_i16_sdwa s[6:7], v16, s4 src0_sel:BYTE_3 src1_sel:DWORD
	s_mov_b64 s[4:5], 0
                                        ; implicit-def: $sgpr10
	s_and_saveexec_b64 s[8:9], s[6:7]
	s_xor_b64 s[6:7], exec, s[8:9]
	s_cbranch_execnz .LBB33_3161
; %bb.1113:
	s_or_saveexec_b64 s[6:7], s[6:7]
	v_mov_b32_e32 v10, s10
	s_xor_b64 exec, exec, s[6:7]
	s_cbranch_execnz .LBB33_3164
.LBB33_1114:
	s_or_b64 exec, exec, s[6:7]
	s_and_saveexec_b64 s[6:7], s[4:5]
	s_cbranch_execz .LBB33_1116
.LBB33_1115:
	v_bfe_u32 v10, v16, 24, 3
	v_ffbh_u32_e32 v20, v10
	v_min_u32_e32 v20, 32, v20
	v_lshrrev_b32_e32 v14, 27, v16
	v_subrev_u32_e32 v21, 28, v20
	v_and_b32_e32 v11, 0x80000000, v16
	v_and_b32_e32 v14, 15, v14
	v_bfe_u32 v15, v16, 27, 4
	v_lshlrev_b32_sdwa v16, v21, v16 dst_sel:DWORD dst_unused:UNUSED_PAD src0_sel:DWORD src1_sel:BYTE_3
	v_sub_u32_e32 v20, 29, v20
	v_and_b32_e32 v16, 7, v16
	v_cmp_eq_u16_e32 vcc, 0, v14
	v_cndmask_b32_e32 v10, v10, v16, vcc
	v_cndmask_b32_e32 v14, v15, v20, vcc
	v_mov_b32_e32 v15, 0x3b800000
	v_lshlrev_b32_e32 v10, 20, v10
	v_lshl_add_u32 v14, v14, 23, v15
	v_or3_b32 v10, v11, v14, v10
.LBB33_1116:
	s_or_b64 exec, exec, s[6:7]
	s_movk_i32 s4, 0x7f
	v_cmp_gt_i16_sdwa s[6:7], v12, s4 src0_sel:BYTE_3 src1_sel:DWORD
	s_mov_b64 s[4:5], 0
                                        ; implicit-def: $sgpr10
	s_and_saveexec_b64 s[8:9], s[6:7]
	s_xor_b64 s[6:7], exec, s[8:9]
	s_cbranch_execnz .LBB33_3165
; %bb.1117:
	s_or_saveexec_b64 s[6:7], s[6:7]
	v_mov_b32_e32 v11, s10
	s_xor_b64 exec, exec, s[6:7]
	s_cbranch_execnz .LBB33_3168
.LBB33_1118:
	s_or_b64 exec, exec, s[6:7]
	s_and_saveexec_b64 s[6:7], s[4:5]
	s_cbranch_execz .LBB33_1120
.LBB33_1119:
	v_bfe_u32 v11, v12, 24, 3
	v_ffbh_u32_e32 v20, v11
	v_min_u32_e32 v20, 32, v20
	v_lshrrev_b32_e32 v15, 27, v12
	v_subrev_u32_e32 v21, 28, v20
	v_and_b32_e32 v14, 0x80000000, v12
	v_and_b32_e32 v15, 15, v15
	v_bfe_u32 v16, v12, 27, 4
	v_lshlrev_b32_sdwa v12, v21, v12 dst_sel:DWORD dst_unused:UNUSED_PAD src0_sel:DWORD src1_sel:BYTE_3
	v_sub_u32_e32 v20, 29, v20
	v_and_b32_e32 v12, 7, v12
	v_cmp_eq_u16_e32 vcc, 0, v15
	v_cndmask_b32_e32 v11, v11, v12, vcc
	v_cndmask_b32_e32 v12, v16, v20, vcc
	v_mov_b32_e32 v15, 0x3b800000
	v_lshlrev_b32_e32 v11, 20, v11
	v_lshl_add_u32 v12, v12, 23, v15
	v_or3_b32 v11, v14, v12, v11
.LBB33_1120:
	s_or_b64 exec, exec, s[6:7]
	s_nop 0
	v_mfma_f32_16x16x4f32 a[0:3], v10, v11, a[0:3]
	s_movk_i32 s4, 0x7f
	v_cmp_gt_i16_sdwa s[6:7], v17, s4 src0_sel:BYTE_0 src1_sel:DWORD
	s_mov_b64 s[4:5], 0
                                        ; implicit-def: $sgpr10
	s_and_saveexec_b64 s[8:9], s[6:7]
	s_xor_b64 s[6:7], exec, s[8:9]
	s_cbranch_execnz .LBB33_3169
; %bb.1121:
	s_or_saveexec_b64 s[6:7], s[6:7]
	v_mov_b32_e32 v10, s10
	s_xor_b64 exec, exec, s[6:7]
	s_cbranch_execnz .LBB33_3172
.LBB33_1122:
	s_or_b64 exec, exec, s[6:7]
	s_and_saveexec_b64 s[6:7], s[4:5]
	s_cbranch_execz .LBB33_1124
.LBB33_1123:
	v_and_b32_e32 v10, 7, v17
	v_ffbh_u32_e32 v12, v10
	v_min_u32_e32 v12, 32, v12
	v_lshrrev_b16_e32 v11, 3, v17
	v_subrev_u32_e32 v14, 28, v12
	v_and_b32_e32 v11, 15, v11
	v_lshlrev_b32_e32 v14, v14, v17
	v_sub_u32_e32 v12, 29, v12
	v_and_b32_e32 v14, 7, v14
	v_cmp_eq_u16_e32 vcc, 0, v11
	v_cndmask_b32_e32 v10, v10, v14, vcc
	v_cndmask_b32_e32 v11, v11, v12, vcc
	v_lshlrev_b32_e32 v12, 24, v17
	v_mov_b32_e32 v14, 0x3b800000
	v_lshlrev_b32_e32 v10, 20, v10
	v_and_b32_e32 v12, 0x80000000, v12
	v_lshl_add_u32 v11, v11, 23, v14
	v_or3_b32 v10, v12, v11, v10
.LBB33_1124:
	s_or_b64 exec, exec, s[6:7]
	s_movk_i32 s4, 0x7f
	v_cmp_gt_i16_sdwa s[6:7], v13, s4 src0_sel:BYTE_0 src1_sel:DWORD
	s_mov_b64 s[4:5], 0
                                        ; implicit-def: $sgpr10
	s_and_saveexec_b64 s[8:9], s[6:7]
	s_xor_b64 s[6:7], exec, s[8:9]
	s_cbranch_execnz .LBB33_3173
; %bb.1125:
	s_or_saveexec_b64 s[6:7], s[6:7]
	v_mov_b32_e32 v11, s10
	s_xor_b64 exec, exec, s[6:7]
	s_cbranch_execnz .LBB33_3176
.LBB33_1126:
	s_or_b64 exec, exec, s[6:7]
	s_and_saveexec_b64 s[6:7], s[4:5]
	s_cbranch_execz .LBB33_1128
.LBB33_1127:
	v_and_b32_e32 v11, 7, v13
	v_ffbh_u32_e32 v14, v11
	v_min_u32_e32 v14, 32, v14
	v_lshrrev_b16_e32 v12, 3, v13
	v_subrev_u32_e32 v15, 28, v14
	v_and_b32_e32 v12, 15, v12
	v_lshlrev_b32_e32 v15, v15, v13
	v_sub_u32_e32 v14, 29, v14
	v_and_b32_e32 v15, 7, v15
	v_cmp_eq_u16_e32 vcc, 0, v12
	v_cndmask_b32_e32 v11, v11, v15, vcc
	v_cndmask_b32_e32 v12, v12, v14, vcc
	v_lshlrev_b32_e32 v14, 24, v13
	v_mov_b32_e32 v15, 0x3b800000
	v_lshlrev_b32_e32 v11, 20, v11
	v_and_b32_e32 v14, 0x80000000, v14
	v_lshl_add_u32 v12, v12, 23, v15
	v_or3_b32 v11, v14, v12, v11
.LBB33_1128:
	s_or_b64 exec, exec, s[6:7]
	s_nop 0
	v_mfma_f32_16x16x4f32 a[0:3], v10, v11, a[0:3]
	v_lshrrev_b32_e32 v11, 8, v17
	s_movk_i32 s4, 0x7f
	v_cmp_gt_i16_sdwa s[6:7], v11, s4 src0_sel:BYTE_0 src1_sel:DWORD
	s_mov_b64 s[4:5], 0
                                        ; implicit-def: $sgpr10
	s_and_saveexec_b64 s[8:9], s[6:7]
	s_xor_b64 s[6:7], exec, s[8:9]
	s_cbranch_execnz .LBB33_3177
; %bb.1129:
	s_or_saveexec_b64 s[6:7], s[6:7]
	v_mov_b32_e32 v10, s10
	s_xor_b64 exec, exec, s[6:7]
	s_cbranch_execnz .LBB33_3180
.LBB33_1130:
	s_or_b64 exec, exec, s[6:7]
	s_and_saveexec_b64 s[6:7], s[4:5]
	s_cbranch_execz .LBB33_1132
.LBB33_1131:
	v_bfe_u32 v10, v17, 8, 3
	v_ffbh_u32_e32 v14, v10
	v_min_u32_e32 v14, 32, v14
	v_lshrrev_b16_e32 v12, 3, v11
	v_subrev_u32_e32 v15, 28, v14
	v_and_b32_e32 v12, 15, v12
	v_lshlrev_b32_e32 v11, v15, v11
	v_sub_u32_e32 v14, 29, v14
	v_and_b32_e32 v11, 7, v11
	v_cmp_eq_u16_e32 vcc, 0, v12
	v_cndmask_b32_e32 v10, v10, v11, vcc
	v_cndmask_b32_e32 v11, v12, v14, vcc
	v_lshlrev_b32_e32 v12, 16, v17
	v_mov_b32_e32 v14, 0x3b800000
	v_lshlrev_b32_e32 v10, 20, v10
	v_and_b32_e32 v12, 0x80000000, v12
	v_lshl_add_u32 v11, v11, 23, v14
	v_or3_b32 v10, v12, v11, v10
.LBB33_1132:
	s_or_b64 exec, exec, s[6:7]
	v_lshrrev_b32_e32 v11, 8, v13
	s_movk_i32 s4, 0x7f
	v_cmp_gt_i16_sdwa s[6:7], v11, s4 src0_sel:BYTE_0 src1_sel:DWORD
	s_mov_b64 s[4:5], 0
                                        ; implicit-def: $sgpr10
	s_and_saveexec_b64 s[8:9], s[6:7]
	s_xor_b64 s[6:7], exec, s[8:9]
	s_cbranch_execnz .LBB33_3181
; %bb.1133:
	s_or_saveexec_b64 s[6:7], s[6:7]
	v_mov_b32_e32 v12, s10
	s_xor_b64 exec, exec, s[6:7]
	s_cbranch_execnz .LBB33_3184
.LBB33_1134:
	s_or_b64 exec, exec, s[6:7]
	s_and_saveexec_b64 s[6:7], s[4:5]
	s_cbranch_execz .LBB33_1136
.LBB33_1135:
	v_bfe_u32 v12, v13, 8, 3
	v_ffbh_u32_e32 v15, v12
	v_min_u32_e32 v15, 32, v15
	v_lshrrev_b16_e32 v14, 3, v11
	v_subrev_u32_e32 v16, 28, v15
	v_and_b32_e32 v14, 15, v14
	v_lshlrev_b32_e32 v11, v16, v11
	v_sub_u32_e32 v15, 29, v15
	v_and_b32_e32 v11, 7, v11
	v_cmp_eq_u16_e32 vcc, 0, v14
	v_cndmask_b32_e32 v11, v12, v11, vcc
	v_cndmask_b32_e32 v12, v14, v15, vcc
	v_lshlrev_b32_e32 v14, 16, v13
	v_mov_b32_e32 v15, 0x3b800000
	v_lshlrev_b32_e32 v11, 20, v11
	v_and_b32_e32 v14, 0x80000000, v14
	v_lshl_add_u32 v12, v12, 23, v15
	v_or3_b32 v12, v14, v12, v11
.LBB33_1136:
	s_or_b64 exec, exec, s[6:7]
	s_nop 0
	v_mfma_f32_16x16x4f32 a[0:3], v10, v12, a[0:3]
	s_movk_i32 s4, 0xff
	v_and_b32_sdwa v11, v17, s4 dst_sel:DWORD dst_unused:UNUSED_PAD src0_sel:WORD_1 src1_sel:DWORD
	s_movk_i32 s4, 0x7f
	v_cmp_lt_i16_e32 vcc, s4, v11
	s_mov_b64 s[4:5], 0
                                        ; implicit-def: $sgpr10
	s_and_saveexec_b64 s[6:7], vcc
	s_xor_b64 s[6:7], exec, s[6:7]
	s_cbranch_execnz .LBB33_3185
; %bb.1137:
	s_or_saveexec_b64 s[6:7], s[6:7]
	v_mov_b32_e32 v10, s10
	s_xor_b64 exec, exec, s[6:7]
	s_cbranch_execnz .LBB33_3188
.LBB33_1138:
	s_or_b64 exec, exec, s[6:7]
	s_and_saveexec_b64 s[6:7], s[4:5]
	s_cbranch_execz .LBB33_1140
.LBB33_1139:
	v_bfe_u32 v10, v17, 16, 3
	v_ffbh_u32_e32 v14, v10
	v_min_u32_e32 v14, 32, v14
	v_lshrrev_b32_e32 v11, 19, v17
	v_subrev_u32_e32 v15, 28, v14
	v_and_b32_e32 v11, 15, v11
	v_lshlrev_b32_sdwa v15, v15, v17 dst_sel:DWORD dst_unused:UNUSED_PAD src0_sel:DWORD src1_sel:WORD_1
	v_bfe_u32 v12, v17, 19, 4
	v_sub_u32_e32 v14, 29, v14
	v_and_b32_e32 v15, 7, v15
	v_cmp_eq_u16_e32 vcc, 0, v11
	v_cndmask_b32_e32 v10, v10, v15, vcc
	v_cndmask_b32_e32 v11, v12, v14, vcc
	v_lshlrev_b32_e32 v12, 8, v17
	v_mov_b32_e32 v14, 0x3b800000
	v_lshlrev_b32_e32 v10, 20, v10
	v_and_b32_e32 v12, 0x80000000, v12
	v_lshl_add_u32 v11, v11, 23, v14
	v_or3_b32 v10, v12, v11, v10
.LBB33_1140:
	s_or_b64 exec, exec, s[6:7]
	s_movk_i32 s4, 0xff
	v_and_b32_sdwa v11, v13, s4 dst_sel:DWORD dst_unused:UNUSED_PAD src0_sel:WORD_1 src1_sel:DWORD
	s_movk_i32 s4, 0x7f
	v_cmp_lt_i16_e32 vcc, s4, v11
	s_mov_b64 s[4:5], 0
                                        ; implicit-def: $sgpr10
	s_and_saveexec_b64 s[6:7], vcc
	s_xor_b64 s[6:7], exec, s[6:7]
	s_cbranch_execnz .LBB33_3189
; %bb.1141:
	s_or_saveexec_b64 s[6:7], s[6:7]
	v_mov_b32_e32 v12, s10
	s_xor_b64 exec, exec, s[6:7]
	s_cbranch_execnz .LBB33_3192
.LBB33_1142:
	s_or_b64 exec, exec, s[6:7]
	s_and_saveexec_b64 s[6:7], s[4:5]
	s_cbranch_execz .LBB33_1144
.LBB33_1143:
	v_bfe_u32 v11, v13, 16, 3
	v_ffbh_u32_e32 v15, v11
	v_min_u32_e32 v15, 32, v15
	v_lshrrev_b32_e32 v12, 19, v13
	v_subrev_u32_e32 v16, 28, v15
	v_and_b32_e32 v12, 15, v12
	v_lshlrev_b32_sdwa v16, v16, v13 dst_sel:DWORD dst_unused:UNUSED_PAD src0_sel:DWORD src1_sel:WORD_1
	v_bfe_u32 v14, v13, 19, 4
	v_sub_u32_e32 v15, 29, v15
	v_and_b32_e32 v16, 7, v16
	v_cmp_eq_u16_e32 vcc, 0, v12
	v_cndmask_b32_e32 v11, v11, v16, vcc
	v_cndmask_b32_e32 v12, v14, v15, vcc
	v_lshlrev_b32_e32 v14, 8, v13
	v_mov_b32_e32 v15, 0x3b800000
	v_lshlrev_b32_e32 v11, 20, v11
	v_and_b32_e32 v14, 0x80000000, v14
	v_lshl_add_u32 v12, v12, 23, v15
	v_or3_b32 v12, v14, v12, v11
.LBB33_1144:
	s_or_b64 exec, exec, s[6:7]
	s_nop 0
	v_mfma_f32_16x16x4f32 a[0:3], v10, v12, a[0:3]
	s_movk_i32 s4, 0x7f
	v_cmp_gt_i16_sdwa s[6:7], v17, s4 src0_sel:BYTE_3 src1_sel:DWORD
	s_mov_b64 s[4:5], 0
                                        ; implicit-def: $sgpr10
	s_and_saveexec_b64 s[8:9], s[6:7]
	s_xor_b64 s[6:7], exec, s[8:9]
	s_cbranch_execnz .LBB33_3193
; %bb.1145:
	s_or_saveexec_b64 s[6:7], s[6:7]
	v_mov_b32_e32 v10, s10
	s_xor_b64 exec, exec, s[6:7]
	s_cbranch_execnz .LBB33_3196
.LBB33_1146:
	s_or_b64 exec, exec, s[6:7]
	s_and_saveexec_b64 s[6:7], s[4:5]
	s_cbranch_execz .LBB33_1148
.LBB33_1147:
	v_bfe_u32 v10, v17, 24, 3
	v_ffbh_u32_e32 v15, v10
	v_min_u32_e32 v15, 32, v15
	v_lshrrev_b32_e32 v12, 27, v17
	v_subrev_u32_e32 v16, 28, v15
	v_and_b32_e32 v12, 15, v12
	v_lshlrev_b32_sdwa v16, v16, v17 dst_sel:DWORD dst_unused:UNUSED_PAD src0_sel:DWORD src1_sel:BYTE_3
	v_bfe_u32 v14, v17, 27, 4
	v_sub_u32_e32 v15, 29, v15
	v_and_b32_e32 v16, 7, v16
	v_cmp_eq_u16_e32 vcc, 0, v12
	v_cndmask_b32_e32 v10, v10, v16, vcc
	v_cndmask_b32_e32 v12, v14, v15, vcc
	v_mov_b32_e32 v14, 0x3b800000
	v_and_b32_e32 v11, 0x80000000, v17
	v_lshlrev_b32_e32 v10, 20, v10
	v_lshl_add_u32 v12, v12, 23, v14
	v_or3_b32 v10, v11, v12, v10
.LBB33_1148:
	s_or_b64 exec, exec, s[6:7]
	s_movk_i32 s4, 0x7f
	v_cmp_gt_i16_sdwa s[6:7], v13, s4 src0_sel:BYTE_3 src1_sel:DWORD
	s_mov_b64 s[4:5], 0
                                        ; implicit-def: $sgpr10
	s_and_saveexec_b64 s[8:9], s[6:7]
	s_xor_b64 s[6:7], exec, s[8:9]
	s_cbranch_execnz .LBB33_3197
; %bb.1149:
	s_or_saveexec_b64 s[6:7], s[6:7]
	v_mov_b32_e32 v11, s10
	s_xor_b64 exec, exec, s[6:7]
	s_cbranch_execnz .LBB33_3200
.LBB33_1150:
	s_or_b64 exec, exec, s[6:7]
	s_and_saveexec_b64 s[6:7], s[4:5]
	s_cbranch_execz .LBB33_1152
.LBB33_1151:
	v_bfe_u32 v11, v13, 24, 3
	v_ffbh_u32_e32 v16, v11
	v_min_u32_e32 v16, 32, v16
	v_lshrrev_b32_e32 v14, 27, v13
	v_subrev_u32_e32 v17, 28, v16
	v_and_b32_e32 v12, 0x80000000, v13
	v_and_b32_e32 v14, 15, v14
	v_bfe_u32 v15, v13, 27, 4
	v_lshlrev_b32_sdwa v13, v17, v13 dst_sel:DWORD dst_unused:UNUSED_PAD src0_sel:DWORD src1_sel:BYTE_3
	v_sub_u32_e32 v16, 29, v16
	v_and_b32_e32 v13, 7, v13
	v_cmp_eq_u16_e32 vcc, 0, v14
	v_cndmask_b32_e32 v11, v11, v13, vcc
	v_cndmask_b32_e32 v13, v15, v16, vcc
	v_mov_b32_e32 v14, 0x3b800000
	v_lshlrev_b32_e32 v11, 20, v11
	v_lshl_add_u32 v13, v13, 23, v14
	v_or3_b32 v11, v12, v13, v11
.LBB33_1152:
	s_or_b64 exec, exec, s[6:7]
	s_nop 0
	v_mfma_f32_16x16x4f32 a[0:3], v10, v11, a[0:3]
	s_movk_i32 s4, 0x7f
	v_cmp_gt_i16_sdwa s[6:7], v6, s4 src0_sel:BYTE_0 src1_sel:DWORD
	s_mov_b64 s[4:5], 0
                                        ; implicit-def: $sgpr10
	s_and_saveexec_b64 s[8:9], s[6:7]
	s_xor_b64 s[6:7], exec, s[8:9]
	s_cbranch_execnz .LBB33_3201
; %bb.1153:
	s_or_saveexec_b64 s[6:7], s[6:7]
	v_mov_b32_e32 v10, s10
	s_xor_b64 exec, exec, s[6:7]
	s_cbranch_execnz .LBB33_3204
.LBB33_1154:
	s_or_b64 exec, exec, s[6:7]
	s_and_saveexec_b64 s[6:7], s[4:5]
	s_cbranch_execz .LBB33_1156
.LBB33_1155:
	v_and_b32_e32 v10, 7, v6
	v_ffbh_u32_e32 v12, v10
	v_min_u32_e32 v12, 32, v12
	v_lshrrev_b16_e32 v11, 3, v6
	v_subrev_u32_e32 v13, 28, v12
	v_and_b32_e32 v11, 15, v11
	v_lshlrev_b32_e32 v13, v13, v6
	v_sub_u32_e32 v12, 29, v12
	v_and_b32_e32 v13, 7, v13
	v_cmp_eq_u16_e32 vcc, 0, v11
	v_cndmask_b32_e32 v10, v10, v13, vcc
	v_cndmask_b32_e32 v11, v11, v12, vcc
	v_lshlrev_b32_e32 v12, 24, v6
	v_mov_b32_e32 v13, 0x3b800000
	v_lshlrev_b32_e32 v10, 20, v10
	v_and_b32_e32 v12, 0x80000000, v12
	v_lshl_add_u32 v11, v11, 23, v13
	v_or3_b32 v10, v12, v11, v10
.LBB33_1156:
	s_or_b64 exec, exec, s[6:7]
	s_movk_i32 s4, 0x7f
	v_cmp_gt_i16_sdwa s[6:7], v2, s4 src0_sel:BYTE_0 src1_sel:DWORD
	s_mov_b64 s[4:5], 0
                                        ; implicit-def: $sgpr10
	s_and_saveexec_b64 s[8:9], s[6:7]
	s_xor_b64 s[6:7], exec, s[8:9]
	s_cbranch_execnz .LBB33_3205
; %bb.1157:
	s_or_saveexec_b64 s[6:7], s[6:7]
	v_mov_b32_e32 v11, s10
	s_xor_b64 exec, exec, s[6:7]
	s_cbranch_execnz .LBB33_3208
.LBB33_1158:
	s_or_b64 exec, exec, s[6:7]
	s_and_saveexec_b64 s[6:7], s[4:5]
	s_cbranch_execz .LBB33_1160
.LBB33_1159:
	v_and_b32_e32 v11, 7, v2
	v_ffbh_u32_e32 v13, v11
	v_min_u32_e32 v13, 32, v13
	v_lshrrev_b16_e32 v12, 3, v2
	v_subrev_u32_e32 v14, 28, v13
	v_and_b32_e32 v12, 15, v12
	v_lshlrev_b32_e32 v14, v14, v2
	v_sub_u32_e32 v13, 29, v13
	v_and_b32_e32 v14, 7, v14
	v_cmp_eq_u16_e32 vcc, 0, v12
	v_cndmask_b32_e32 v11, v11, v14, vcc
	v_cndmask_b32_e32 v12, v12, v13, vcc
	v_lshlrev_b32_e32 v13, 24, v2
	v_mov_b32_e32 v14, 0x3b800000
	v_lshlrev_b32_e32 v11, 20, v11
	v_and_b32_e32 v13, 0x80000000, v13
	v_lshl_add_u32 v12, v12, 23, v14
	v_or3_b32 v11, v13, v12, v11
.LBB33_1160:
	s_or_b64 exec, exec, s[6:7]
	s_nop 0
	v_mfma_f32_16x16x4f32 a[0:3], v10, v11, a[0:3]
	v_lshrrev_b32_e32 v11, 8, v6
	s_movk_i32 s4, 0x7f
	v_cmp_gt_i16_sdwa s[6:7], v11, s4 src0_sel:BYTE_0 src1_sel:DWORD
	s_mov_b64 s[4:5], 0
                                        ; implicit-def: $sgpr10
	s_and_saveexec_b64 s[8:9], s[6:7]
	s_xor_b64 s[6:7], exec, s[8:9]
	s_cbranch_execnz .LBB33_3209
; %bb.1161:
	s_or_saveexec_b64 s[6:7], s[6:7]
	v_mov_b32_e32 v10, s10
	s_xor_b64 exec, exec, s[6:7]
	s_cbranch_execnz .LBB33_3212
.LBB33_1162:
	s_or_b64 exec, exec, s[6:7]
	s_and_saveexec_b64 s[6:7], s[4:5]
	s_cbranch_execz .LBB33_1164
.LBB33_1163:
	v_bfe_u32 v10, v6, 8, 3
	v_ffbh_u32_e32 v13, v10
	v_min_u32_e32 v13, 32, v13
	v_lshrrev_b16_e32 v12, 3, v11
	v_subrev_u32_e32 v14, 28, v13
	v_and_b32_e32 v12, 15, v12
	v_lshlrev_b32_e32 v11, v14, v11
	v_sub_u32_e32 v13, 29, v13
	v_and_b32_e32 v11, 7, v11
	v_cmp_eq_u16_e32 vcc, 0, v12
	v_cndmask_b32_e32 v10, v10, v11, vcc
	v_cndmask_b32_e32 v11, v12, v13, vcc
	v_lshlrev_b32_e32 v12, 16, v6
	v_mov_b32_e32 v13, 0x3b800000
	v_lshlrev_b32_e32 v10, 20, v10
	v_and_b32_e32 v12, 0x80000000, v12
	v_lshl_add_u32 v11, v11, 23, v13
	v_or3_b32 v10, v12, v11, v10
.LBB33_1164:
	s_or_b64 exec, exec, s[6:7]
	v_lshrrev_b32_e32 v11, 8, v2
	s_movk_i32 s4, 0x7f
	v_cmp_gt_i16_sdwa s[6:7], v11, s4 src0_sel:BYTE_0 src1_sel:DWORD
	s_mov_b64 s[4:5], 0
                                        ; implicit-def: $sgpr10
	s_and_saveexec_b64 s[8:9], s[6:7]
	s_xor_b64 s[6:7], exec, s[8:9]
	s_cbranch_execnz .LBB33_3213
; %bb.1165:
	s_or_saveexec_b64 s[6:7], s[6:7]
	v_mov_b32_e32 v12, s10
	s_xor_b64 exec, exec, s[6:7]
	s_cbranch_execnz .LBB33_3216
.LBB33_1166:
	s_or_b64 exec, exec, s[6:7]
	s_and_saveexec_b64 s[6:7], s[4:5]
	s_cbranch_execz .LBB33_1168
.LBB33_1167:
	v_bfe_u32 v12, v2, 8, 3
	v_ffbh_u32_e32 v14, v12
	v_min_u32_e32 v14, 32, v14
	v_lshrrev_b16_e32 v13, 3, v11
	v_subrev_u32_e32 v15, 28, v14
	v_and_b32_e32 v13, 15, v13
	v_lshlrev_b32_e32 v11, v15, v11
	v_sub_u32_e32 v14, 29, v14
	v_and_b32_e32 v11, 7, v11
	v_cmp_eq_u16_e32 vcc, 0, v13
	v_cndmask_b32_e32 v11, v12, v11, vcc
	v_cndmask_b32_e32 v12, v13, v14, vcc
	v_lshlrev_b32_e32 v13, 16, v2
	v_mov_b32_e32 v14, 0x3b800000
	v_lshlrev_b32_e32 v11, 20, v11
	v_and_b32_e32 v13, 0x80000000, v13
	v_lshl_add_u32 v12, v12, 23, v14
	v_or3_b32 v12, v13, v12, v11
.LBB33_1168:
	s_or_b64 exec, exec, s[6:7]
	s_nop 0
	v_mfma_f32_16x16x4f32 a[0:3], v10, v12, a[0:3]
	s_movk_i32 s4, 0xff
	v_and_b32_sdwa v11, v6, s4 dst_sel:DWORD dst_unused:UNUSED_PAD src0_sel:WORD_1 src1_sel:DWORD
	s_movk_i32 s4, 0x7f
	v_cmp_lt_i16_e32 vcc, s4, v11
	s_mov_b64 s[4:5], 0
                                        ; implicit-def: $sgpr10
	s_and_saveexec_b64 s[6:7], vcc
	s_xor_b64 s[6:7], exec, s[6:7]
	s_cbranch_execnz .LBB33_3217
; %bb.1169:
	s_or_saveexec_b64 s[6:7], s[6:7]
	v_mov_b32_e32 v10, s10
	s_xor_b64 exec, exec, s[6:7]
	s_cbranch_execnz .LBB33_3220
.LBB33_1170:
	s_or_b64 exec, exec, s[6:7]
	s_and_saveexec_b64 s[6:7], s[4:5]
	s_cbranch_execz .LBB33_1172
.LBB33_1171:
	v_bfe_u32 v10, v6, 16, 3
	v_ffbh_u32_e32 v13, v10
	v_min_u32_e32 v13, 32, v13
	v_lshrrev_b32_e32 v11, 19, v6
	v_subrev_u32_e32 v14, 28, v13
	v_and_b32_e32 v11, 15, v11
	v_lshlrev_b32_sdwa v14, v14, v6 dst_sel:DWORD dst_unused:UNUSED_PAD src0_sel:DWORD src1_sel:WORD_1
	v_bfe_u32 v12, v6, 19, 4
	v_sub_u32_e32 v13, 29, v13
	v_and_b32_e32 v14, 7, v14
	v_cmp_eq_u16_e32 vcc, 0, v11
	v_cndmask_b32_e32 v10, v10, v14, vcc
	v_cndmask_b32_e32 v11, v12, v13, vcc
	v_lshlrev_b32_e32 v12, 8, v6
	v_mov_b32_e32 v13, 0x3b800000
	v_lshlrev_b32_e32 v10, 20, v10
	v_and_b32_e32 v12, 0x80000000, v12
	v_lshl_add_u32 v11, v11, 23, v13
	v_or3_b32 v10, v12, v11, v10
.LBB33_1172:
	s_or_b64 exec, exec, s[6:7]
	s_movk_i32 s4, 0xff
	v_and_b32_sdwa v11, v2, s4 dst_sel:DWORD dst_unused:UNUSED_PAD src0_sel:WORD_1 src1_sel:DWORD
	s_movk_i32 s4, 0x7f
	v_cmp_lt_i16_e32 vcc, s4, v11
	s_mov_b64 s[4:5], 0
                                        ; implicit-def: $sgpr10
	s_and_saveexec_b64 s[6:7], vcc
	s_xor_b64 s[6:7], exec, s[6:7]
	s_cbranch_execnz .LBB33_3221
; %bb.1173:
	s_or_saveexec_b64 s[6:7], s[6:7]
	v_mov_b32_e32 v12, s10
	s_xor_b64 exec, exec, s[6:7]
	s_cbranch_execnz .LBB33_3224
.LBB33_1174:
	s_or_b64 exec, exec, s[6:7]
	s_and_saveexec_b64 s[6:7], s[4:5]
	s_cbranch_execz .LBB33_1176
.LBB33_1175:
	v_bfe_u32 v11, v2, 16, 3
	v_ffbh_u32_e32 v14, v11
	v_min_u32_e32 v14, 32, v14
	v_lshrrev_b32_e32 v12, 19, v2
	v_subrev_u32_e32 v15, 28, v14
	v_and_b32_e32 v12, 15, v12
	v_lshlrev_b32_sdwa v15, v15, v2 dst_sel:DWORD dst_unused:UNUSED_PAD src0_sel:DWORD src1_sel:WORD_1
	v_bfe_u32 v13, v2, 19, 4
	v_sub_u32_e32 v14, 29, v14
	v_and_b32_e32 v15, 7, v15
	v_cmp_eq_u16_e32 vcc, 0, v12
	v_cndmask_b32_e32 v11, v11, v15, vcc
	v_cndmask_b32_e32 v12, v13, v14, vcc
	v_lshlrev_b32_e32 v13, 8, v2
	v_mov_b32_e32 v14, 0x3b800000
	v_lshlrev_b32_e32 v11, 20, v11
	v_and_b32_e32 v13, 0x80000000, v13
	v_lshl_add_u32 v12, v12, 23, v14
	v_or3_b32 v12, v13, v12, v11
.LBB33_1176:
	s_or_b64 exec, exec, s[6:7]
	s_nop 0
	v_mfma_f32_16x16x4f32 a[0:3], v10, v12, a[0:3]
	s_movk_i32 s4, 0x7f
	v_cmp_gt_i16_sdwa s[6:7], v6, s4 src0_sel:BYTE_3 src1_sel:DWORD
	s_mov_b64 s[4:5], 0
                                        ; implicit-def: $sgpr10
	s_and_saveexec_b64 s[8:9], s[6:7]
	s_xor_b64 s[6:7], exec, s[8:9]
	s_cbranch_execnz .LBB33_3225
; %bb.1177:
	s_or_saveexec_b64 s[6:7], s[6:7]
	v_mov_b32_e32 v10, s10
	s_xor_b64 exec, exec, s[6:7]
	s_cbranch_execnz .LBB33_3228
.LBB33_1178:
	s_or_b64 exec, exec, s[6:7]
	s_and_saveexec_b64 s[6:7], s[4:5]
	s_cbranch_execz .LBB33_1180
.LBB33_1179:
	v_bfe_u32 v10, v6, 24, 3
	v_ffbh_u32_e32 v14, v10
	v_min_u32_e32 v14, 32, v14
	v_lshrrev_b32_e32 v12, 27, v6
	v_subrev_u32_e32 v15, 28, v14
	v_and_b32_e32 v11, 0x80000000, v6
	v_and_b32_e32 v12, 15, v12
	v_bfe_u32 v13, v6, 27, 4
	v_lshlrev_b32_sdwa v6, v15, v6 dst_sel:DWORD dst_unused:UNUSED_PAD src0_sel:DWORD src1_sel:BYTE_3
	v_sub_u32_e32 v14, 29, v14
	v_and_b32_e32 v6, 7, v6
	v_cmp_eq_u16_e32 vcc, 0, v12
	v_cndmask_b32_e32 v6, v10, v6, vcc
	v_cndmask_b32_e32 v10, v13, v14, vcc
	v_mov_b32_e32 v12, 0x3b800000
	v_lshlrev_b32_e32 v6, 20, v6
	v_lshl_add_u32 v10, v10, 23, v12
	v_or3_b32 v10, v11, v10, v6
.LBB33_1180:
	s_or_b64 exec, exec, s[6:7]
	s_movk_i32 s4, 0x7f
	v_cmp_gt_i16_sdwa s[6:7], v2, s4 src0_sel:BYTE_3 src1_sel:DWORD
	s_mov_b64 s[4:5], 0
                                        ; implicit-def: $sgpr10
	s_and_saveexec_b64 s[8:9], s[6:7]
	s_xor_b64 s[6:7], exec, s[8:9]
	s_cbranch_execnz .LBB33_3229
; %bb.1181:
	s_or_saveexec_b64 s[6:7], s[6:7]
	v_mov_b32_e32 v6, s10
	s_xor_b64 exec, exec, s[6:7]
	s_cbranch_execnz .LBB33_3232
.LBB33_1182:
	s_or_b64 exec, exec, s[6:7]
	s_and_saveexec_b64 s[6:7], s[4:5]
	s_cbranch_execz .LBB33_1184
.LBB33_1183:
	v_bfe_u32 v6, v2, 24, 3
	v_ffbh_u32_e32 v14, v6
	v_min_u32_e32 v14, 32, v14
	v_lshrrev_b32_e32 v12, 27, v2
	v_subrev_u32_e32 v15, 28, v14
	v_and_b32_e32 v11, 0x80000000, v2
	v_and_b32_e32 v12, 15, v12
	v_bfe_u32 v13, v2, 27, 4
	v_lshlrev_b32_sdwa v2, v15, v2 dst_sel:DWORD dst_unused:UNUSED_PAD src0_sel:DWORD src1_sel:BYTE_3
	v_sub_u32_e32 v14, 29, v14
	v_and_b32_e32 v2, 7, v2
	v_cmp_eq_u16_e32 vcc, 0, v12
	v_cndmask_b32_e32 v2, v6, v2, vcc
	v_cndmask_b32_e32 v6, v13, v14, vcc
	v_mov_b32_e32 v12, 0x3b800000
	v_lshlrev_b32_e32 v2, 20, v2
	v_lshl_add_u32 v6, v6, 23, v12
	v_or3_b32 v6, v11, v6, v2
.LBB33_1184:
	s_or_b64 exec, exec, s[6:7]
	s_nop 0
	v_mfma_f32_16x16x4f32 a[0:3], v10, v6, a[0:3]
	s_movk_i32 s4, 0x7f
	v_cmp_gt_i16_sdwa s[6:7], v7, s4 src0_sel:BYTE_0 src1_sel:DWORD
	s_mov_b64 s[4:5], 0
                                        ; implicit-def: $sgpr10
	s_and_saveexec_b64 s[8:9], s[6:7]
	s_xor_b64 s[6:7], exec, s[8:9]
	s_cbranch_execnz .LBB33_3233
; %bb.1185:
	s_or_saveexec_b64 s[6:7], s[6:7]
	v_mov_b32_e32 v2, s10
	s_xor_b64 exec, exec, s[6:7]
	s_cbranch_execnz .LBB33_3236
.LBB33_1186:
	s_or_b64 exec, exec, s[6:7]
	s_and_saveexec_b64 s[6:7], s[4:5]
	s_cbranch_execz .LBB33_1188
.LBB33_1187:
	v_and_b32_e32 v2, 7, v7
	v_ffbh_u32_e32 v10, v2
	v_min_u32_e32 v10, 32, v10
	v_lshrrev_b16_e32 v6, 3, v7
	v_subrev_u32_e32 v11, 28, v10
	v_and_b32_e32 v6, 15, v6
	v_lshlrev_b32_e32 v11, v11, v7
	v_sub_u32_e32 v10, 29, v10
	v_and_b32_e32 v11, 7, v11
	v_cmp_eq_u16_e32 vcc, 0, v6
	v_cndmask_b32_e32 v2, v2, v11, vcc
	v_cndmask_b32_e32 v6, v6, v10, vcc
	v_lshlrev_b32_e32 v10, 24, v7
	v_mov_b32_e32 v11, 0x3b800000
	v_lshlrev_b32_e32 v2, 20, v2
	v_and_b32_e32 v10, 0x80000000, v10
	v_lshl_add_u32 v6, v6, 23, v11
	v_or3_b32 v2, v10, v6, v2
.LBB33_1188:
	s_or_b64 exec, exec, s[6:7]
	s_movk_i32 s4, 0x7f
	v_cmp_gt_i16_sdwa s[6:7], v3, s4 src0_sel:BYTE_0 src1_sel:DWORD
	s_mov_b64 s[4:5], 0
                                        ; implicit-def: $sgpr10
	s_and_saveexec_b64 s[8:9], s[6:7]
	s_xor_b64 s[6:7], exec, s[8:9]
	s_cbranch_execnz .LBB33_3237
; %bb.1189:
	s_or_saveexec_b64 s[6:7], s[6:7]
	v_mov_b32_e32 v6, s10
	s_xor_b64 exec, exec, s[6:7]
	s_cbranch_execnz .LBB33_3240
.LBB33_1190:
	s_or_b64 exec, exec, s[6:7]
	s_and_saveexec_b64 s[6:7], s[4:5]
	s_cbranch_execz .LBB33_1192
.LBB33_1191:
	v_and_b32_e32 v6, 7, v3
	v_ffbh_u32_e32 v11, v6
	v_min_u32_e32 v11, 32, v11
	v_lshrrev_b16_e32 v10, 3, v3
	v_subrev_u32_e32 v12, 28, v11
	v_and_b32_e32 v10, 15, v10
	v_lshlrev_b32_e32 v12, v12, v3
	v_sub_u32_e32 v11, 29, v11
	v_and_b32_e32 v12, 7, v12
	v_cmp_eq_u16_e32 vcc, 0, v10
	v_cndmask_b32_e32 v6, v6, v12, vcc
	v_cndmask_b32_e32 v10, v10, v11, vcc
	v_lshlrev_b32_e32 v11, 24, v3
	v_mov_b32_e32 v12, 0x3b800000
	v_lshlrev_b32_e32 v6, 20, v6
	v_and_b32_e32 v11, 0x80000000, v11
	v_lshl_add_u32 v10, v10, 23, v12
	v_or3_b32 v6, v11, v10, v6
.LBB33_1192:
	s_or_b64 exec, exec, s[6:7]
	s_nop 0
	v_mfma_f32_16x16x4f32 a[0:3], v2, v6, a[0:3]
	v_lshrrev_b32_e32 v6, 8, v7
	s_movk_i32 s4, 0x7f
	v_cmp_gt_i16_sdwa s[6:7], v6, s4 src0_sel:BYTE_0 src1_sel:DWORD
	s_mov_b64 s[4:5], 0
                                        ; implicit-def: $sgpr10
	s_and_saveexec_b64 s[8:9], s[6:7]
	s_xor_b64 s[6:7], exec, s[8:9]
	s_cbranch_execnz .LBB33_3241
; %bb.1193:
	s_or_saveexec_b64 s[6:7], s[6:7]
	v_mov_b32_e32 v2, s10
	s_xor_b64 exec, exec, s[6:7]
	s_cbranch_execnz .LBB33_3244
.LBB33_1194:
	s_or_b64 exec, exec, s[6:7]
	s_and_saveexec_b64 s[6:7], s[4:5]
	s_cbranch_execz .LBB33_1196
.LBB33_1195:
	v_bfe_u32 v2, v7, 8, 3
	v_ffbh_u32_e32 v11, v2
	v_min_u32_e32 v11, 32, v11
	v_lshrrev_b16_e32 v10, 3, v6
	v_subrev_u32_e32 v12, 28, v11
	v_and_b32_e32 v10, 15, v10
	v_lshlrev_b32_e32 v6, v12, v6
	v_sub_u32_e32 v11, 29, v11
	v_and_b32_e32 v6, 7, v6
	v_cmp_eq_u16_e32 vcc, 0, v10
	v_cndmask_b32_e32 v2, v2, v6, vcc
	v_cndmask_b32_e32 v6, v10, v11, vcc
	v_lshlrev_b32_e32 v10, 16, v7
	v_mov_b32_e32 v11, 0x3b800000
	v_lshlrev_b32_e32 v2, 20, v2
	v_and_b32_e32 v10, 0x80000000, v10
	v_lshl_add_u32 v6, v6, 23, v11
	v_or3_b32 v2, v10, v6, v2
.LBB33_1196:
	s_or_b64 exec, exec, s[6:7]
	v_lshrrev_b32_e32 v6, 8, v3
	s_movk_i32 s4, 0x7f
	v_cmp_gt_i16_sdwa s[6:7], v6, s4 src0_sel:BYTE_0 src1_sel:DWORD
	s_mov_b64 s[4:5], 0
                                        ; implicit-def: $sgpr10
	s_and_saveexec_b64 s[8:9], s[6:7]
	s_xor_b64 s[6:7], exec, s[8:9]
	s_cbranch_execnz .LBB33_3245
; %bb.1197:
	s_or_saveexec_b64 s[6:7], s[6:7]
	v_mov_b32_e32 v10, s10
	s_xor_b64 exec, exec, s[6:7]
	s_cbranch_execnz .LBB33_3248
.LBB33_1198:
	s_or_b64 exec, exec, s[6:7]
	s_and_saveexec_b64 s[6:7], s[4:5]
	s_cbranch_execz .LBB33_1200
.LBB33_1199:
	v_bfe_u32 v10, v3, 8, 3
	v_ffbh_u32_e32 v12, v10
	v_min_u32_e32 v12, 32, v12
	v_lshrrev_b16_e32 v11, 3, v6
	v_subrev_u32_e32 v13, 28, v12
	v_and_b32_e32 v11, 15, v11
	v_lshlrev_b32_e32 v6, v13, v6
	v_sub_u32_e32 v12, 29, v12
	v_and_b32_e32 v6, 7, v6
	v_cmp_eq_u16_e32 vcc, 0, v11
	v_cndmask_b32_e32 v6, v10, v6, vcc
	v_cndmask_b32_e32 v10, v11, v12, vcc
	v_lshlrev_b32_e32 v11, 16, v3
	v_mov_b32_e32 v12, 0x3b800000
	v_lshlrev_b32_e32 v6, 20, v6
	v_and_b32_e32 v11, 0x80000000, v11
	v_lshl_add_u32 v10, v10, 23, v12
	v_or3_b32 v10, v11, v10, v6
.LBB33_1200:
	s_or_b64 exec, exec, s[6:7]
	s_nop 0
	v_mfma_f32_16x16x4f32 a[0:3], v2, v10, a[0:3]
	s_movk_i32 s4, 0xff
	v_and_b32_sdwa v6, v7, s4 dst_sel:DWORD dst_unused:UNUSED_PAD src0_sel:WORD_1 src1_sel:DWORD
	s_movk_i32 s4, 0x7f
	v_cmp_lt_i16_e32 vcc, s4, v6
	s_mov_b64 s[4:5], 0
                                        ; implicit-def: $sgpr10
	s_and_saveexec_b64 s[6:7], vcc
	s_xor_b64 s[6:7], exec, s[6:7]
	s_cbranch_execnz .LBB33_3249
; %bb.1201:
	s_or_saveexec_b64 s[6:7], s[6:7]
	v_mov_b32_e32 v2, s10
	s_xor_b64 exec, exec, s[6:7]
	s_cbranch_execnz .LBB33_3252
.LBB33_1202:
	s_or_b64 exec, exec, s[6:7]
	s_and_saveexec_b64 s[6:7], s[4:5]
	s_cbranch_execz .LBB33_1204
.LBB33_1203:
	v_bfe_u32 v2, v7, 16, 3
	v_ffbh_u32_e32 v11, v2
	v_min_u32_e32 v11, 32, v11
	v_lshrrev_b32_e32 v6, 19, v7
	v_subrev_u32_e32 v12, 28, v11
	v_and_b32_e32 v6, 15, v6
	v_lshlrev_b32_sdwa v12, v12, v7 dst_sel:DWORD dst_unused:UNUSED_PAD src0_sel:DWORD src1_sel:WORD_1
	v_bfe_u32 v10, v7, 19, 4
	v_sub_u32_e32 v11, 29, v11
	v_and_b32_e32 v12, 7, v12
	v_cmp_eq_u16_e32 vcc, 0, v6
	v_cndmask_b32_e32 v2, v2, v12, vcc
	v_cndmask_b32_e32 v6, v10, v11, vcc
	v_lshlrev_b32_e32 v10, 8, v7
	v_mov_b32_e32 v11, 0x3b800000
	v_lshlrev_b32_e32 v2, 20, v2
	v_and_b32_e32 v10, 0x80000000, v10
	v_lshl_add_u32 v6, v6, 23, v11
	v_or3_b32 v2, v10, v6, v2
.LBB33_1204:
	s_or_b64 exec, exec, s[6:7]
	s_movk_i32 s4, 0xff
	v_and_b32_sdwa v6, v3, s4 dst_sel:DWORD dst_unused:UNUSED_PAD src0_sel:WORD_1 src1_sel:DWORD
	s_movk_i32 s4, 0x7f
	v_cmp_lt_i16_e32 vcc, s4, v6
	s_mov_b64 s[4:5], 0
                                        ; implicit-def: $sgpr10
	s_and_saveexec_b64 s[6:7], vcc
	s_xor_b64 s[6:7], exec, s[6:7]
	s_cbranch_execnz .LBB33_3253
; %bb.1205:
	s_or_saveexec_b64 s[6:7], s[6:7]
	v_mov_b32_e32 v10, s10
	s_xor_b64 exec, exec, s[6:7]
	s_cbranch_execnz .LBB33_3256
.LBB33_1206:
	s_or_b64 exec, exec, s[6:7]
	s_and_saveexec_b64 s[6:7], s[4:5]
	s_cbranch_execz .LBB33_1208
.LBB33_1207:
	v_bfe_u32 v6, v3, 16, 3
	v_ffbh_u32_e32 v12, v6
	v_min_u32_e32 v12, 32, v12
	v_lshrrev_b32_e32 v10, 19, v3
	v_subrev_u32_e32 v13, 28, v12
	v_and_b32_e32 v10, 15, v10
	v_lshlrev_b32_sdwa v13, v13, v3 dst_sel:DWORD dst_unused:UNUSED_PAD src0_sel:DWORD src1_sel:WORD_1
	v_bfe_u32 v11, v3, 19, 4
	v_sub_u32_e32 v12, 29, v12
	v_and_b32_e32 v13, 7, v13
	v_cmp_eq_u16_e32 vcc, 0, v10
	v_cndmask_b32_e32 v6, v6, v13, vcc
	v_cndmask_b32_e32 v10, v11, v12, vcc
	v_lshlrev_b32_e32 v11, 8, v3
	v_mov_b32_e32 v12, 0x3b800000
	v_lshlrev_b32_e32 v6, 20, v6
	v_and_b32_e32 v11, 0x80000000, v11
	v_lshl_add_u32 v10, v10, 23, v12
	v_or3_b32 v10, v11, v10, v6
.LBB33_1208:
	s_or_b64 exec, exec, s[6:7]
	s_nop 0
	v_mfma_f32_16x16x4f32 a[0:3], v2, v10, a[0:3]
	s_movk_i32 s4, 0x7f
	v_cmp_gt_i16_sdwa s[6:7], v7, s4 src0_sel:BYTE_3 src1_sel:DWORD
	s_mov_b64 s[4:5], 0
                                        ; implicit-def: $sgpr10
	s_and_saveexec_b64 s[8:9], s[6:7]
	s_xor_b64 s[6:7], exec, s[8:9]
	s_cbranch_execnz .LBB33_3257
; %bb.1209:
	s_or_saveexec_b64 s[6:7], s[6:7]
	v_mov_b32_e32 v2, s10
	s_xor_b64 exec, exec, s[6:7]
	s_cbranch_execnz .LBB33_3260
.LBB33_1210:
	s_or_b64 exec, exec, s[6:7]
	s_and_saveexec_b64 s[6:7], s[4:5]
	s_cbranch_execz .LBB33_1212
.LBB33_1211:
	v_bfe_u32 v2, v7, 24, 3
	v_ffbh_u32_e32 v12, v2
	v_min_u32_e32 v12, 32, v12
	v_lshrrev_b32_e32 v10, 27, v7
	v_subrev_u32_e32 v13, 28, v12
	v_and_b32_e32 v6, 0x80000000, v7
	v_and_b32_e32 v10, 15, v10
	v_bfe_u32 v11, v7, 27, 4
	v_lshlrev_b32_sdwa v7, v13, v7 dst_sel:DWORD dst_unused:UNUSED_PAD src0_sel:DWORD src1_sel:BYTE_3
	v_sub_u32_e32 v12, 29, v12
	v_and_b32_e32 v7, 7, v7
	v_cmp_eq_u16_e32 vcc, 0, v10
	v_cndmask_b32_e32 v2, v2, v7, vcc
	v_cndmask_b32_e32 v7, v11, v12, vcc
	v_mov_b32_e32 v10, 0x3b800000
	v_lshlrev_b32_e32 v2, 20, v2
	v_lshl_add_u32 v7, v7, 23, v10
	v_or3_b32 v2, v6, v7, v2
.LBB33_1212:
	s_or_b64 exec, exec, s[6:7]
	s_movk_i32 s4, 0x7f
	v_cmp_gt_i16_sdwa s[6:7], v3, s4 src0_sel:BYTE_3 src1_sel:DWORD
	s_mov_b64 s[4:5], 0
                                        ; implicit-def: $sgpr10
	s_and_saveexec_b64 s[8:9], s[6:7]
	s_xor_b64 s[6:7], exec, s[8:9]
	s_cbranch_execnz .LBB33_3261
; %bb.1213:
	s_or_saveexec_b64 s[6:7], s[6:7]
	v_mov_b32_e32 v6, s10
	s_xor_b64 exec, exec, s[6:7]
	s_cbranch_execnz .LBB33_3264
.LBB33_1214:
	s_or_b64 exec, exec, s[6:7]
	s_and_saveexec_b64 s[6:7], s[4:5]
	s_cbranch_execz .LBB33_1216
.LBB33_1215:
	v_bfe_u32 v6, v3, 24, 3
	v_ffbh_u32_e32 v12, v6
	v_min_u32_e32 v12, 32, v12
	v_lshrrev_b32_e32 v10, 27, v3
	v_subrev_u32_e32 v13, 28, v12
	v_and_b32_e32 v7, 0x80000000, v3
	v_and_b32_e32 v10, 15, v10
	v_bfe_u32 v11, v3, 27, 4
	v_lshlrev_b32_sdwa v3, v13, v3 dst_sel:DWORD dst_unused:UNUSED_PAD src0_sel:DWORD src1_sel:BYTE_3
	v_sub_u32_e32 v12, 29, v12
	v_and_b32_e32 v3, 7, v3
	v_cmp_eq_u16_e32 vcc, 0, v10
	v_cndmask_b32_e32 v3, v6, v3, vcc
	v_cndmask_b32_e32 v6, v11, v12, vcc
	v_mov_b32_e32 v10, 0x3b800000
	v_lshlrev_b32_e32 v3, 20, v3
	v_lshl_add_u32 v6, v6, 23, v10
	v_or3_b32 v6, v7, v6, v3
.LBB33_1216:
	s_or_b64 exec, exec, s[6:7]
	s_nop 0
	v_mfma_f32_16x16x4f32 a[0:3], v2, v6, a[0:3]
	s_movk_i32 s4, 0x7f
	v_cmp_gt_i16_sdwa s[6:7], v8, s4 src0_sel:BYTE_0 src1_sel:DWORD
	s_mov_b64 s[4:5], 0
                                        ; implicit-def: $sgpr10
	s_and_saveexec_b64 s[8:9], s[6:7]
	s_xor_b64 s[6:7], exec, s[8:9]
	s_cbranch_execnz .LBB33_3265
; %bb.1217:
	s_or_saveexec_b64 s[6:7], s[6:7]
	v_mov_b32_e32 v2, s10
	s_xor_b64 exec, exec, s[6:7]
	s_cbranch_execnz .LBB33_3268
.LBB33_1218:
	s_or_b64 exec, exec, s[6:7]
	s_and_saveexec_b64 s[6:7], s[4:5]
	s_cbranch_execz .LBB33_1220
.LBB33_1219:
	v_and_b32_e32 v2, 7, v8
	v_ffbh_u32_e32 v6, v2
	v_min_u32_e32 v6, 32, v6
	v_lshrrev_b16_e32 v3, 3, v8
	v_subrev_u32_e32 v7, 28, v6
	v_and_b32_e32 v3, 15, v3
	v_lshlrev_b32_e32 v7, v7, v8
	v_sub_u32_e32 v6, 29, v6
	v_and_b32_e32 v7, 7, v7
	v_cmp_eq_u16_e32 vcc, 0, v3
	v_cndmask_b32_e32 v2, v2, v7, vcc
	v_cndmask_b32_e32 v3, v3, v6, vcc
	v_lshlrev_b32_e32 v6, 24, v8
	v_mov_b32_e32 v7, 0x3b800000
	v_lshlrev_b32_e32 v2, 20, v2
	v_and_b32_e32 v6, 0x80000000, v6
	v_lshl_add_u32 v3, v3, 23, v7
	v_or3_b32 v2, v6, v3, v2
.LBB33_1220:
	s_or_b64 exec, exec, s[6:7]
	s_movk_i32 s4, 0x7f
	v_cmp_gt_i16_sdwa s[6:7], v4, s4 src0_sel:BYTE_0 src1_sel:DWORD
	s_mov_b64 s[4:5], 0
                                        ; implicit-def: $sgpr10
	s_and_saveexec_b64 s[8:9], s[6:7]
	s_xor_b64 s[6:7], exec, s[8:9]
	s_cbranch_execnz .LBB33_3269
; %bb.1221:
	s_or_saveexec_b64 s[6:7], s[6:7]
	v_mov_b32_e32 v3, s10
	s_xor_b64 exec, exec, s[6:7]
	s_cbranch_execnz .LBB33_3272
.LBB33_1222:
	s_or_b64 exec, exec, s[6:7]
	s_and_saveexec_b64 s[6:7], s[4:5]
	s_cbranch_execz .LBB33_1224
.LBB33_1223:
	v_and_b32_e32 v3, 7, v4
	v_ffbh_u32_e32 v7, v3
	v_min_u32_e32 v7, 32, v7
	v_lshrrev_b16_e32 v6, 3, v4
	v_subrev_u32_e32 v10, 28, v7
	v_and_b32_e32 v6, 15, v6
	v_lshlrev_b32_e32 v10, v10, v4
	v_sub_u32_e32 v7, 29, v7
	v_and_b32_e32 v10, 7, v10
	v_cmp_eq_u16_e32 vcc, 0, v6
	v_cndmask_b32_e32 v3, v3, v10, vcc
	v_cndmask_b32_e32 v6, v6, v7, vcc
	v_lshlrev_b32_e32 v7, 24, v4
	v_mov_b32_e32 v10, 0x3b800000
	v_lshlrev_b32_e32 v3, 20, v3
	v_and_b32_e32 v7, 0x80000000, v7
	v_lshl_add_u32 v6, v6, 23, v10
	v_or3_b32 v3, v7, v6, v3
.LBB33_1224:
	s_or_b64 exec, exec, s[6:7]
	s_nop 0
	v_mfma_f32_16x16x4f32 a[0:3], v2, v3, a[0:3]
	v_lshrrev_b32_e32 v3, 8, v8
	s_movk_i32 s4, 0x7f
	v_cmp_gt_i16_sdwa s[6:7], v3, s4 src0_sel:BYTE_0 src1_sel:DWORD
	s_mov_b64 s[4:5], 0
                                        ; implicit-def: $sgpr10
	s_and_saveexec_b64 s[8:9], s[6:7]
	s_xor_b64 s[6:7], exec, s[8:9]
	s_cbranch_execnz .LBB33_3273
; %bb.1225:
	s_or_saveexec_b64 s[6:7], s[6:7]
	v_mov_b32_e32 v2, s10
	s_xor_b64 exec, exec, s[6:7]
	s_cbranch_execnz .LBB33_3276
.LBB33_1226:
	s_or_b64 exec, exec, s[6:7]
	s_and_saveexec_b64 s[6:7], s[4:5]
	s_cbranch_execz .LBB33_1228
.LBB33_1227:
	v_bfe_u32 v2, v8, 8, 3
	v_ffbh_u32_e32 v7, v2
	v_min_u32_e32 v7, 32, v7
	v_lshrrev_b16_e32 v6, 3, v3
	v_subrev_u32_e32 v10, 28, v7
	v_and_b32_e32 v6, 15, v6
	v_lshlrev_b32_e32 v3, v10, v3
	v_sub_u32_e32 v7, 29, v7
	v_and_b32_e32 v3, 7, v3
	v_cmp_eq_u16_e32 vcc, 0, v6
	v_cndmask_b32_e32 v2, v2, v3, vcc
	v_cndmask_b32_e32 v3, v6, v7, vcc
	v_lshlrev_b32_e32 v6, 16, v8
	v_mov_b32_e32 v7, 0x3b800000
	v_lshlrev_b32_e32 v2, 20, v2
	v_and_b32_e32 v6, 0x80000000, v6
	v_lshl_add_u32 v3, v3, 23, v7
	v_or3_b32 v2, v6, v3, v2
.LBB33_1228:
	s_or_b64 exec, exec, s[6:7]
	v_lshrrev_b32_e32 v3, 8, v4
	s_movk_i32 s4, 0x7f
	v_cmp_gt_i16_sdwa s[6:7], v3, s4 src0_sel:BYTE_0 src1_sel:DWORD
	s_mov_b64 s[4:5], 0
                                        ; implicit-def: $sgpr10
	s_and_saveexec_b64 s[8:9], s[6:7]
	s_xor_b64 s[6:7], exec, s[8:9]
	s_cbranch_execnz .LBB33_3277
; %bb.1229:
	s_or_saveexec_b64 s[6:7], s[6:7]
	v_mov_b32_e32 v6, s10
	s_xor_b64 exec, exec, s[6:7]
	s_cbranch_execnz .LBB33_3280
.LBB33_1230:
	s_or_b64 exec, exec, s[6:7]
	s_and_saveexec_b64 s[6:7], s[4:5]
	s_cbranch_execz .LBB33_1232
.LBB33_1231:
	v_bfe_u32 v6, v4, 8, 3
	v_ffbh_u32_e32 v10, v6
	v_min_u32_e32 v10, 32, v10
	v_lshrrev_b16_e32 v7, 3, v3
	v_subrev_u32_e32 v11, 28, v10
	v_and_b32_e32 v7, 15, v7
	v_lshlrev_b32_e32 v3, v11, v3
	v_sub_u32_e32 v10, 29, v10
	v_and_b32_e32 v3, 7, v3
	v_cmp_eq_u16_e32 vcc, 0, v7
	v_cndmask_b32_e32 v3, v6, v3, vcc
	v_cndmask_b32_e32 v6, v7, v10, vcc
	v_lshlrev_b32_e32 v7, 16, v4
	v_mov_b32_e32 v10, 0x3b800000
	v_lshlrev_b32_e32 v3, 20, v3
	v_and_b32_e32 v7, 0x80000000, v7
	v_lshl_add_u32 v6, v6, 23, v10
	v_or3_b32 v6, v7, v6, v3
.LBB33_1232:
	s_or_b64 exec, exec, s[6:7]
	s_nop 0
	v_mfma_f32_16x16x4f32 a[0:3], v2, v6, a[0:3]
	s_movk_i32 s4, 0xff
	v_and_b32_sdwa v3, v8, s4 dst_sel:DWORD dst_unused:UNUSED_PAD src0_sel:WORD_1 src1_sel:DWORD
	s_movk_i32 s4, 0x7f
	v_cmp_lt_i16_e32 vcc, s4, v3
	s_mov_b64 s[4:5], 0
                                        ; implicit-def: $sgpr10
	s_and_saveexec_b64 s[6:7], vcc
	s_xor_b64 s[6:7], exec, s[6:7]
	s_cbranch_execnz .LBB33_3281
; %bb.1233:
	s_or_saveexec_b64 s[6:7], s[6:7]
	v_mov_b32_e32 v2, s10
	s_xor_b64 exec, exec, s[6:7]
	s_cbranch_execnz .LBB33_3284
.LBB33_1234:
	s_or_b64 exec, exec, s[6:7]
	s_and_saveexec_b64 s[6:7], s[4:5]
	s_cbranch_execz .LBB33_1236
.LBB33_1235:
	v_bfe_u32 v2, v8, 16, 3
	v_ffbh_u32_e32 v7, v2
	v_min_u32_e32 v7, 32, v7
	v_lshrrev_b32_e32 v3, 19, v8
	v_subrev_u32_e32 v10, 28, v7
	v_and_b32_e32 v3, 15, v3
	v_lshlrev_b32_sdwa v10, v10, v8 dst_sel:DWORD dst_unused:UNUSED_PAD src0_sel:DWORD src1_sel:WORD_1
	v_bfe_u32 v6, v8, 19, 4
	v_sub_u32_e32 v7, 29, v7
	v_and_b32_e32 v10, 7, v10
	v_cmp_eq_u16_e32 vcc, 0, v3
	v_cndmask_b32_e32 v2, v2, v10, vcc
	v_cndmask_b32_e32 v3, v6, v7, vcc
	v_lshlrev_b32_e32 v6, 8, v8
	v_mov_b32_e32 v7, 0x3b800000
	v_lshlrev_b32_e32 v2, 20, v2
	v_and_b32_e32 v6, 0x80000000, v6
	v_lshl_add_u32 v3, v3, 23, v7
	v_or3_b32 v2, v6, v3, v2
.LBB33_1236:
	s_or_b64 exec, exec, s[6:7]
	s_movk_i32 s4, 0xff
	v_and_b32_sdwa v3, v4, s4 dst_sel:DWORD dst_unused:UNUSED_PAD src0_sel:WORD_1 src1_sel:DWORD
	s_movk_i32 s4, 0x7f
	v_cmp_lt_i16_e32 vcc, s4, v3
	s_mov_b64 s[4:5], 0
                                        ; implicit-def: $sgpr10
	s_and_saveexec_b64 s[6:7], vcc
	s_xor_b64 s[6:7], exec, s[6:7]
	s_cbranch_execnz .LBB33_3285
; %bb.1237:
	s_or_saveexec_b64 s[6:7], s[6:7]
	v_mov_b32_e32 v6, s10
	s_xor_b64 exec, exec, s[6:7]
	s_cbranch_execnz .LBB33_3288
.LBB33_1238:
	s_or_b64 exec, exec, s[6:7]
	s_and_saveexec_b64 s[6:7], s[4:5]
	s_cbranch_execz .LBB33_1240
.LBB33_1239:
	v_bfe_u32 v3, v4, 16, 3
	v_ffbh_u32_e32 v10, v3
	v_min_u32_e32 v10, 32, v10
	v_lshrrev_b32_e32 v6, 19, v4
	v_subrev_u32_e32 v11, 28, v10
	v_and_b32_e32 v6, 15, v6
	v_lshlrev_b32_sdwa v11, v11, v4 dst_sel:DWORD dst_unused:UNUSED_PAD src0_sel:DWORD src1_sel:WORD_1
	v_bfe_u32 v7, v4, 19, 4
	v_sub_u32_e32 v10, 29, v10
	v_and_b32_e32 v11, 7, v11
	v_cmp_eq_u16_e32 vcc, 0, v6
	v_cndmask_b32_e32 v3, v3, v11, vcc
	v_cndmask_b32_e32 v6, v7, v10, vcc
	v_lshlrev_b32_e32 v7, 8, v4
	v_mov_b32_e32 v10, 0x3b800000
	v_lshlrev_b32_e32 v3, 20, v3
	v_and_b32_e32 v7, 0x80000000, v7
	v_lshl_add_u32 v6, v6, 23, v10
	v_or3_b32 v6, v7, v6, v3
.LBB33_1240:
	s_or_b64 exec, exec, s[6:7]
	s_nop 0
	v_mfma_f32_16x16x4f32 a[0:3], v2, v6, a[0:3]
	s_movk_i32 s4, 0x7f
	v_cmp_gt_i16_sdwa s[6:7], v8, s4 src0_sel:BYTE_3 src1_sel:DWORD
	s_mov_b64 s[4:5], 0
                                        ; implicit-def: $sgpr10
	s_and_saveexec_b64 s[8:9], s[6:7]
	s_xor_b64 s[6:7], exec, s[8:9]
	s_cbranch_execnz .LBB33_3289
; %bb.1241:
	s_or_saveexec_b64 s[6:7], s[6:7]
	v_mov_b32_e32 v2, s10
	s_xor_b64 exec, exec, s[6:7]
	s_cbranch_execnz .LBB33_3292
.LBB33_1242:
	s_or_b64 exec, exec, s[6:7]
	s_and_saveexec_b64 s[6:7], s[4:5]
	s_cbranch_execz .LBB33_1244
.LBB33_1243:
	v_bfe_u32 v2, v8, 24, 3
	v_ffbh_u32_e32 v10, v2
	v_min_u32_e32 v10, 32, v10
	v_lshrrev_b32_e32 v6, 27, v8
	v_subrev_u32_e32 v11, 28, v10
	v_and_b32_e32 v3, 0x80000000, v8
	v_and_b32_e32 v6, 15, v6
	v_bfe_u32 v7, v8, 27, 4
	v_lshlrev_b32_sdwa v8, v11, v8 dst_sel:DWORD dst_unused:UNUSED_PAD src0_sel:DWORD src1_sel:BYTE_3
	v_sub_u32_e32 v10, 29, v10
	v_and_b32_e32 v8, 7, v8
	v_cmp_eq_u16_e32 vcc, 0, v6
	v_cndmask_b32_e32 v2, v2, v8, vcc
	v_cndmask_b32_e32 v6, v7, v10, vcc
	v_mov_b32_e32 v7, 0x3b800000
	v_lshlrev_b32_e32 v2, 20, v2
	v_lshl_add_u32 v6, v6, 23, v7
	v_or3_b32 v2, v3, v6, v2
.LBB33_1244:
	s_or_b64 exec, exec, s[6:7]
	s_movk_i32 s4, 0x7f
	v_cmp_gt_i16_sdwa s[6:7], v4, s4 src0_sel:BYTE_3 src1_sel:DWORD
	s_mov_b64 s[4:5], 0
                                        ; implicit-def: $sgpr10
	s_and_saveexec_b64 s[8:9], s[6:7]
	s_xor_b64 s[6:7], exec, s[8:9]
	s_cbranch_execnz .LBB33_3293
; %bb.1245:
	s_or_saveexec_b64 s[6:7], s[6:7]
	v_mov_b32_e32 v3, s10
	s_xor_b64 exec, exec, s[6:7]
	s_cbranch_execnz .LBB33_3296
.LBB33_1246:
	s_or_b64 exec, exec, s[6:7]
	s_and_saveexec_b64 s[6:7], s[4:5]
	s_cbranch_execz .LBB33_1248
.LBB33_1247:
	v_bfe_u32 v3, v4, 24, 3
	v_ffbh_u32_e32 v10, v3
	v_min_u32_e32 v10, 32, v10
	v_lshrrev_b32_e32 v7, 27, v4
	v_subrev_u32_e32 v11, 28, v10
	v_and_b32_e32 v6, 0x80000000, v4
	v_and_b32_e32 v7, 15, v7
	v_bfe_u32 v8, v4, 27, 4
	v_lshlrev_b32_sdwa v4, v11, v4 dst_sel:DWORD dst_unused:UNUSED_PAD src0_sel:DWORD src1_sel:BYTE_3
	v_sub_u32_e32 v10, 29, v10
	v_and_b32_e32 v4, 7, v4
	v_cmp_eq_u16_e32 vcc, 0, v7
	v_cndmask_b32_e32 v3, v3, v4, vcc
	v_cndmask_b32_e32 v4, v8, v10, vcc
	v_mov_b32_e32 v7, 0x3b800000
	v_lshlrev_b32_e32 v3, 20, v3
	v_lshl_add_u32 v4, v4, 23, v7
	v_or3_b32 v3, v6, v4, v3
.LBB33_1248:
	s_or_b64 exec, exec, s[6:7]
	s_nop 0
	v_mfma_f32_16x16x4f32 a[0:3], v2, v3, a[0:3]
	s_movk_i32 s4, 0x7f
	v_cmp_gt_i16_sdwa s[6:7], v9, s4 src0_sel:BYTE_0 src1_sel:DWORD
	s_mov_b64 s[4:5], 0
                                        ; implicit-def: $sgpr10
	s_and_saveexec_b64 s[8:9], s[6:7]
	s_xor_b64 s[6:7], exec, s[8:9]
	s_cbranch_execnz .LBB33_3297
; %bb.1249:
	s_or_saveexec_b64 s[6:7], s[6:7]
	v_mov_b32_e32 v2, s10
	s_xor_b64 exec, exec, s[6:7]
	s_cbranch_execnz .LBB33_3300
.LBB33_1250:
	s_or_b64 exec, exec, s[6:7]
	s_and_saveexec_b64 s[6:7], s[4:5]
	s_cbranch_execz .LBB33_1252
.LBB33_1251:
	v_mov_b32_e32 v2, 8
	v_and_b32_e32 v3, 7, v9
	v_lshrrev_b32_sdwa v2, v2, v9 dst_sel:BYTE_1 dst_unused:UNUSED_PAD src0_sel:DWORD src1_sel:DWORD
	v_ffbh_u32_e32 v4, v3
	v_or_b32_sdwa v2, v9, v2 dst_sel:DWORD dst_unused:UNUSED_PAD src0_sel:BYTE_0 src1_sel:DWORD
	v_min_u32_e32 v4, 32, v4
	v_lshrrev_b16_e32 v2, 3, v2
	v_subrev_u32_e32 v6, 28, v4
	v_and_b32_e32 v2, 15, v2
	v_lshlrev_b32_e32 v6, v6, v9
	v_sub_u32_e32 v4, 29, v4
	v_and_b32_e32 v6, 7, v6
	v_cmp_eq_u16_e32 vcc, 0, v2
	v_cndmask_b32_e32 v3, v3, v6, vcc
	v_cndmask_b32_e32 v2, v2, v4, vcc
	v_lshlrev_b32_e32 v4, 24, v9
	v_mov_b32_e32 v6, 0x3b800000
	v_lshlrev_b32_e32 v3, 20, v3
	v_and_b32_e32 v4, 0x80000000, v4
	v_lshl_add_u32 v2, v2, 23, v6
	v_or3_b32 v2, v4, v2, v3
.LBB33_1252:
	s_or_b64 exec, exec, s[6:7]
	s_movk_i32 s4, 0x7f
	v_cmp_gt_i16_sdwa s[6:7], v5, s4 src0_sel:BYTE_0 src1_sel:DWORD
	s_mov_b64 s[4:5], 0
                                        ; implicit-def: $sgpr10
	s_and_saveexec_b64 s[8:9], s[6:7]
	s_xor_b64 s[6:7], exec, s[8:9]
	s_cbranch_execnz .LBB33_3301
; %bb.1253:
	s_or_saveexec_b64 s[6:7], s[6:7]
	v_mov_b32_e32 v3, s10
	s_xor_b64 exec, exec, s[6:7]
	s_cbranch_execnz .LBB33_3304
.LBB33_1254:
	s_or_b64 exec, exec, s[6:7]
	s_and_saveexec_b64 s[6:7], s[4:5]
	s_cbranch_execz .LBB33_1256
.LBB33_1255:
	v_mov_b32_e32 v3, 8
	v_and_b32_e32 v4, 7, v5
	v_lshrrev_b32_sdwa v3, v3, v5 dst_sel:BYTE_1 dst_unused:UNUSED_PAD src0_sel:DWORD src1_sel:DWORD
	v_ffbh_u32_e32 v6, v4
	v_or_b32_sdwa v3, v5, v3 dst_sel:DWORD dst_unused:UNUSED_PAD src0_sel:BYTE_0 src1_sel:DWORD
	v_min_u32_e32 v6, 32, v6
	v_lshrrev_b16_e32 v3, 3, v3
	v_subrev_u32_e32 v7, 28, v6
	v_and_b32_e32 v3, 15, v3
	v_lshlrev_b32_e32 v7, v7, v5
	v_sub_u32_e32 v6, 29, v6
	v_and_b32_e32 v7, 7, v7
	v_cmp_eq_u16_e32 vcc, 0, v3
	v_cndmask_b32_e32 v4, v4, v7, vcc
	v_cndmask_b32_e32 v3, v3, v6, vcc
	v_lshlrev_b32_e32 v6, 24, v5
	v_mov_b32_e32 v7, 0x3b800000
	v_lshlrev_b32_e32 v4, 20, v4
	v_and_b32_e32 v6, 0x80000000, v6
	v_lshl_add_u32 v3, v3, 23, v7
	v_or3_b32 v3, v6, v3, v4
.LBB33_1256:
	s_or_b64 exec, exec, s[6:7]
	s_nop 0
	v_mfma_f32_16x16x4f32 a[0:3], v2, v3, a[0:3]
	v_lshrrev_b32_e32 v3, 8, v9
	s_movk_i32 s4, 0x7f
	v_cmp_gt_i16_sdwa s[6:7], v3, s4 src0_sel:BYTE_0 src1_sel:DWORD
	s_mov_b64 s[4:5], 0
                                        ; implicit-def: $sgpr10
	s_and_saveexec_b64 s[8:9], s[6:7]
	s_xor_b64 s[6:7], exec, s[8:9]
	s_cbranch_execnz .LBB33_3305
; %bb.1257:
	s_or_saveexec_b64 s[6:7], s[6:7]
	v_mov_b32_e32 v2, s10
	s_xor_b64 exec, exec, s[6:7]
	s_cbranch_execnz .LBB33_3308
.LBB33_1258:
	s_or_b64 exec, exec, s[6:7]
	s_and_saveexec_b64 s[6:7], s[4:5]
	s_cbranch_execz .LBB33_1260
.LBB33_1259:
	v_bfe_u32 v2, v9, 8, 3
	v_ffbh_u32_e32 v6, v2
	v_min_u32_e32 v6, 32, v6
	v_lshrrev_b16_e32 v4, 3, v3
	v_subrev_u32_e32 v7, 28, v6
	v_and_b32_e32 v4, 15, v4
	v_lshlrev_b32_e32 v3, v7, v3
	v_sub_u32_e32 v6, 29, v6
	v_and_b32_e32 v3, 7, v3
	v_cmp_eq_u16_e32 vcc, 0, v4
	v_cndmask_b32_e32 v2, v2, v3, vcc
	v_cndmask_b32_e32 v3, v4, v6, vcc
	v_lshlrev_b32_e32 v4, 16, v9
	v_mov_b32_e32 v6, 0x3b800000
	v_lshlrev_b32_e32 v2, 20, v2
	v_and_b32_e32 v4, 0x80000000, v4
	v_lshl_add_u32 v3, v3, 23, v6
	v_or3_b32 v2, v4, v3, v2
.LBB33_1260:
	s_or_b64 exec, exec, s[6:7]
	v_lshrrev_b32_e32 v3, 8, v5
	s_movk_i32 s4, 0x7f
	v_cmp_gt_i16_sdwa s[6:7], v3, s4 src0_sel:BYTE_0 src1_sel:DWORD
	s_mov_b64 s[4:5], 0
                                        ; implicit-def: $sgpr10
	s_and_saveexec_b64 s[8:9], s[6:7]
	s_xor_b64 s[6:7], exec, s[8:9]
	s_cbranch_execnz .LBB33_3309
; %bb.1261:
	s_or_saveexec_b64 s[6:7], s[6:7]
	v_mov_b32_e32 v4, s10
	s_xor_b64 exec, exec, s[6:7]
	s_cbranch_execnz .LBB33_3312
.LBB33_1262:
	s_or_b64 exec, exec, s[6:7]
	s_and_saveexec_b64 s[6:7], s[4:5]
	s_cbranch_execz .LBB33_1264
.LBB33_1263:
	v_bfe_u32 v4, v5, 8, 3
	v_ffbh_u32_e32 v7, v4
	v_min_u32_e32 v7, 32, v7
	v_lshrrev_b16_e32 v6, 3, v3
	v_subrev_u32_e32 v8, 28, v7
	v_and_b32_e32 v6, 15, v6
	v_lshlrev_b32_e32 v3, v8, v3
	v_sub_u32_e32 v7, 29, v7
	v_and_b32_e32 v3, 7, v3
	v_cmp_eq_u16_e32 vcc, 0, v6
	v_cndmask_b32_e32 v3, v4, v3, vcc
	v_cndmask_b32_e32 v4, v6, v7, vcc
	v_lshlrev_b32_e32 v6, 16, v5
	v_mov_b32_e32 v7, 0x3b800000
	v_lshlrev_b32_e32 v3, 20, v3
	v_and_b32_e32 v6, 0x80000000, v6
	v_lshl_add_u32 v4, v4, 23, v7
	v_or3_b32 v4, v6, v4, v3
.LBB33_1264:
	s_or_b64 exec, exec, s[6:7]
	s_nop 0
	v_mfma_f32_16x16x4f32 a[0:3], v2, v4, a[0:3]
	s_movk_i32 s4, 0xff
	v_and_b32_sdwa v3, v9, s4 dst_sel:DWORD dst_unused:UNUSED_PAD src0_sel:WORD_1 src1_sel:DWORD
	s_movk_i32 s4, 0x7f
	v_cmp_lt_i16_e32 vcc, s4, v3
	s_mov_b64 s[4:5], 0
                                        ; implicit-def: $sgpr10
	s_and_saveexec_b64 s[6:7], vcc
	s_xor_b64 s[6:7], exec, s[6:7]
	s_cbranch_execnz .LBB33_3313
; %bb.1265:
	s_or_saveexec_b64 s[6:7], s[6:7]
	v_mov_b32_e32 v2, s10
	s_xor_b64 exec, exec, s[6:7]
	s_cbranch_execnz .LBB33_3316
.LBB33_1266:
	s_or_b64 exec, exec, s[6:7]
	s_and_saveexec_b64 s[6:7], s[4:5]
	s_cbranch_execz .LBB33_1268
.LBB33_1267:
	v_bfe_u32 v2, v9, 16, 3
	v_ffbh_u32_e32 v6, v2
	v_min_u32_e32 v6, 32, v6
	v_lshrrev_b32_e32 v3, 19, v9
	v_subrev_u32_e32 v7, 28, v6
	v_and_b32_e32 v3, 15, v3
	v_lshlrev_b32_sdwa v7, v7, v9 dst_sel:DWORD dst_unused:UNUSED_PAD src0_sel:DWORD src1_sel:WORD_1
	v_bfe_u32 v4, v9, 19, 4
	v_sub_u32_e32 v6, 29, v6
	v_and_b32_e32 v7, 7, v7
	v_cmp_eq_u16_e32 vcc, 0, v3
	v_cndmask_b32_e32 v2, v2, v7, vcc
	v_cndmask_b32_e32 v3, v4, v6, vcc
	v_lshlrev_b32_e32 v4, 8, v9
	v_mov_b32_e32 v6, 0x3b800000
	v_lshlrev_b32_e32 v2, 20, v2
	v_and_b32_e32 v4, 0x80000000, v4
	v_lshl_add_u32 v3, v3, 23, v6
	v_or3_b32 v2, v4, v3, v2
.LBB33_1268:
	s_or_b64 exec, exec, s[6:7]
	s_movk_i32 s4, 0xff
	v_and_b32_sdwa v3, v5, s4 dst_sel:DWORD dst_unused:UNUSED_PAD src0_sel:WORD_1 src1_sel:DWORD
	s_movk_i32 s4, 0x7f
	v_cmp_lt_i16_e32 vcc, s4, v3
	s_mov_b64 s[4:5], 0
                                        ; implicit-def: $sgpr10
	s_and_saveexec_b64 s[6:7], vcc
	s_xor_b64 s[6:7], exec, s[6:7]
	s_cbranch_execnz .LBB33_3317
; %bb.1269:
	s_or_saveexec_b64 s[6:7], s[6:7]
	v_mov_b32_e32 v4, s10
	s_xor_b64 exec, exec, s[6:7]
	s_cbranch_execnz .LBB33_3320
.LBB33_1270:
	s_or_b64 exec, exec, s[6:7]
	s_and_saveexec_b64 s[6:7], s[4:5]
	s_cbranch_execz .LBB33_1272
.LBB33_1271:
	v_bfe_u32 v3, v5, 16, 3
	v_ffbh_u32_e32 v7, v3
	v_min_u32_e32 v7, 32, v7
	v_lshrrev_b32_e32 v4, 19, v5
	v_subrev_u32_e32 v8, 28, v7
	v_and_b32_e32 v4, 15, v4
	v_lshlrev_b32_sdwa v8, v8, v5 dst_sel:DWORD dst_unused:UNUSED_PAD src0_sel:DWORD src1_sel:WORD_1
	v_bfe_u32 v6, v5, 19, 4
	v_sub_u32_e32 v7, 29, v7
	v_and_b32_e32 v8, 7, v8
	v_cmp_eq_u16_e32 vcc, 0, v4
	v_cndmask_b32_e32 v3, v3, v8, vcc
	v_cndmask_b32_e32 v4, v6, v7, vcc
	v_lshlrev_b32_e32 v6, 8, v5
	v_mov_b32_e32 v7, 0x3b800000
	v_lshlrev_b32_e32 v3, 20, v3
	v_and_b32_e32 v6, 0x80000000, v6
	v_lshl_add_u32 v4, v4, 23, v7
	v_or3_b32 v4, v6, v4, v3
.LBB33_1272:
	s_or_b64 exec, exec, s[6:7]
	s_nop 0
	v_mfma_f32_16x16x4f32 a[0:3], v2, v4, a[0:3]
	s_movk_i32 s4, 0x7f
	v_cmp_gt_i16_sdwa s[6:7], v9, s4 src0_sel:BYTE_3 src1_sel:DWORD
	s_mov_b64 s[4:5], 0
                                        ; implicit-def: $sgpr10
	s_and_saveexec_b64 s[8:9], s[6:7]
	s_xor_b64 s[6:7], exec, s[8:9]
	s_cbranch_execnz .LBB33_3321
; %bb.1273:
	s_or_saveexec_b64 s[6:7], s[6:7]
	v_mov_b32_e32 v2, s10
	s_xor_b64 exec, exec, s[6:7]
	s_cbranch_execnz .LBB33_3324
.LBB33_1274:
	s_or_b64 exec, exec, s[6:7]
	s_and_saveexec_b64 s[6:7], s[4:5]
	s_cbranch_execz .LBB33_1276
.LBB33_1275:
	v_bfe_u32 v2, v9, 24, 3
	v_ffbh_u32_e32 v7, v2
	v_min_u32_e32 v7, 32, v7
	v_lshrrev_b32_e32 v4, 27, v9
	v_subrev_u32_e32 v8, 28, v7
	v_and_b32_e32 v4, 15, v4
	v_lshlrev_b32_sdwa v8, v8, v9 dst_sel:DWORD dst_unused:UNUSED_PAD src0_sel:DWORD src1_sel:BYTE_3
	v_bfe_u32 v6, v9, 27, 4
	v_sub_u32_e32 v7, 29, v7
	v_and_b32_e32 v8, 7, v8
	v_cmp_eq_u16_e32 vcc, 0, v4
	v_cndmask_b32_e32 v2, v2, v8, vcc
	v_cndmask_b32_e32 v4, v6, v7, vcc
	v_mov_b32_e32 v6, 0x3b800000
	v_and_b32_e32 v3, 0x80000000, v9
	v_lshlrev_b32_e32 v2, 20, v2
	v_lshl_add_u32 v4, v4, 23, v6
	v_or3_b32 v2, v3, v4, v2
.LBB33_1276:
	s_or_b64 exec, exec, s[6:7]
	s_movk_i32 s4, 0x7f
	v_cmp_gt_i16_sdwa s[6:7], v5, s4 src0_sel:BYTE_3 src1_sel:DWORD
	s_mov_b64 s[4:5], 0
                                        ; implicit-def: $sgpr10
	s_and_saveexec_b64 s[8:9], s[6:7]
	s_xor_b64 s[6:7], exec, s[8:9]
	s_cbranch_execnz .LBB33_3325
; %bb.1277:
	s_or_saveexec_b64 s[6:7], s[6:7]
	v_mov_b32_e32 v3, s10
	s_xor_b64 exec, exec, s[6:7]
	s_cbranch_execnz .LBB33_3328
.LBB33_1278:
	s_or_b64 exec, exec, s[6:7]
	s_and_saveexec_b64 s[6:7], s[4:5]
	s_cbranch_execz .LBB33_1280
.LBB33_1279:
	v_bfe_u32 v3, v5, 24, 3
	v_ffbh_u32_e32 v8, v3
	v_min_u32_e32 v8, 32, v8
	v_lshrrev_b32_e32 v6, 27, v5
	v_subrev_u32_e32 v9, 28, v8
	v_and_b32_e32 v4, 0x80000000, v5
	v_and_b32_e32 v6, 15, v6
	v_bfe_u32 v7, v5, 27, 4
	v_lshlrev_b32_sdwa v5, v9, v5 dst_sel:DWORD dst_unused:UNUSED_PAD src0_sel:DWORD src1_sel:BYTE_3
	v_sub_u32_e32 v8, 29, v8
	v_and_b32_e32 v5, 7, v5
	v_cmp_eq_u16_e32 vcc, 0, v6
	v_cndmask_b32_e32 v3, v3, v5, vcc
	v_cndmask_b32_e32 v5, v7, v8, vcc
	v_mov_b32_e32 v6, 0x3b800000
	v_lshlrev_b32_e32 v3, 20, v3
	v_lshl_add_u32 v5, v5, 23, v6
	v_or3_b32 v3, v4, v5, v3
.LBB33_1280:
	s_or_b64 exec, exec, s[6:7]
	s_nop 0
	v_mfma_f32_16x16x4f32 a[0:3], v2, v3, a[0:3]
	s_movk_i32 s4, 0x7f
                                        ; implicit-def: $sgpr10
	s_nop 7
	s_nop 1
	flat_store_dwordx4 v[18:19], a[0:3] offset:704
	flat_load_dwordx4 v[20:23], v[0:1] offset:16
	s_nop 0
	flat_load_dwordx2 v[18:19], v[0:1] offset:32
	s_waitcnt vmcnt(0) lgkmcnt(0)
	flat_load_dwordx4 v[14:17], v[20:21] offset:32
	flat_load_dwordx4 v[6:9], v[20:21] offset:48
	;; [unrolled: 1-line block ×4, first 2 shown]
	s_waitcnt vmcnt(0) lgkmcnt(0)
	v_cmp_gt_i16_sdwa s[6:7], v14, s4 src0_sel:BYTE_0 src1_sel:DWORD
	s_mov_b64 s[4:5], 0
	s_and_saveexec_b64 s[8:9], s[6:7]
	s_xor_b64 s[6:7], exec, s[8:9]
	s_cbranch_execnz .LBB33_3329
; %bb.1281:
	s_or_saveexec_b64 s[6:7], s[6:7]
	v_mov_b32_e32 v20, s10
	s_xor_b64 exec, exec, s[6:7]
	s_cbranch_execnz .LBB33_3332
.LBB33_1282:
	s_or_b64 exec, exec, s[6:7]
	s_and_saveexec_b64 s[6:7], s[4:5]
	s_cbranch_execz .LBB33_1284
.LBB33_1283:
	v_and_b32_e32 v20, 7, v14
	v_ffbh_u32_e32 v22, v20
	v_min_u32_e32 v22, 32, v22
	v_lshrrev_b16_e32 v21, 3, v14
	v_subrev_u32_e32 v23, 28, v22
	v_and_b32_e32 v21, 15, v21
	v_lshlrev_b32_e32 v23, v23, v14
	v_sub_u32_e32 v22, 29, v22
	v_and_b32_e32 v23, 7, v23
	v_cmp_eq_u16_e32 vcc, 0, v21
	v_cndmask_b32_e32 v20, v20, v23, vcc
	v_cndmask_b32_e32 v21, v21, v22, vcc
	v_lshlrev_b32_e32 v22, 24, v14
	v_mov_b32_e32 v23, 0x3b800000
	v_lshlrev_b32_e32 v20, 20, v20
	v_and_b32_e32 v22, 0x80000000, v22
	v_lshl_add_u32 v21, v21, 23, v23
	v_or3_b32 v20, v22, v21, v20
.LBB33_1284:
	s_or_b64 exec, exec, s[6:7]
	s_movk_i32 s4, 0x7f
	v_cmp_gt_i16_sdwa s[6:7], v10, s4 src0_sel:BYTE_0 src1_sel:DWORD
	s_mov_b64 s[4:5], 0
                                        ; implicit-def: $sgpr10
	s_and_saveexec_b64 s[8:9], s[6:7]
	s_xor_b64 s[6:7], exec, s[8:9]
	s_cbranch_execnz .LBB33_3333
; %bb.1285:
	s_or_saveexec_b64 s[6:7], s[6:7]
	v_mov_b32_e32 v21, s10
	s_xor_b64 exec, exec, s[6:7]
	s_cbranch_execnz .LBB33_3336
.LBB33_1286:
	s_or_b64 exec, exec, s[6:7]
	s_and_saveexec_b64 s[6:7], s[4:5]
	s_cbranch_execz .LBB33_1288
.LBB33_1287:
	v_and_b32_e32 v21, 7, v10
	v_ffbh_u32_e32 v23, v21
	v_min_u32_e32 v23, 32, v23
	v_lshrrev_b16_e32 v22, 3, v10
	v_subrev_u32_e32 v24, 28, v23
	v_and_b32_e32 v22, 15, v22
	v_lshlrev_b32_e32 v24, v24, v10
	v_sub_u32_e32 v23, 29, v23
	v_and_b32_e32 v24, 7, v24
	v_cmp_eq_u16_e32 vcc, 0, v22
	v_cndmask_b32_e32 v21, v21, v24, vcc
	v_cndmask_b32_e32 v22, v22, v23, vcc
	v_lshlrev_b32_e32 v23, 24, v10
	v_mov_b32_e32 v24, 0x3b800000
	v_lshlrev_b32_e32 v21, 20, v21
	v_and_b32_e32 v23, 0x80000000, v23
	v_lshl_add_u32 v22, v22, 23, v24
	v_or3_b32 v21, v23, v22, v21
.LBB33_1288:
	s_or_b64 exec, exec, s[6:7]
	flat_load_dwordx4 a[0:3], v[18:19] offset:720
	s_movk_i32 s4, 0x7f
                                        ; implicit-def: $sgpr10
	s_waitcnt vmcnt(0) lgkmcnt(0)
	v_mfma_f32_16x16x4f32 a[0:3], v20, v21, a[0:3]
	v_lshrrev_b32_e32 v21, 8, v14
	v_cmp_gt_i16_sdwa s[6:7], v21, s4 src0_sel:BYTE_0 src1_sel:DWORD
	s_mov_b64 s[4:5], 0
	s_and_saveexec_b64 s[8:9], s[6:7]
	s_xor_b64 s[6:7], exec, s[8:9]
	s_cbranch_execnz .LBB33_3337
; %bb.1289:
	s_or_saveexec_b64 s[6:7], s[6:7]
	v_mov_b32_e32 v20, s10
	s_xor_b64 exec, exec, s[6:7]
	s_cbranch_execnz .LBB33_3340
.LBB33_1290:
	s_or_b64 exec, exec, s[6:7]
	s_and_saveexec_b64 s[6:7], s[4:5]
	s_cbranch_execz .LBB33_1292
.LBB33_1291:
	v_bfe_u32 v20, v14, 8, 3
	v_ffbh_u32_e32 v23, v20
	v_min_u32_e32 v23, 32, v23
	v_lshrrev_b16_e32 v22, 3, v21
	v_subrev_u32_e32 v24, 28, v23
	v_and_b32_e32 v22, 15, v22
	v_lshlrev_b32_e32 v21, v24, v21
	v_sub_u32_e32 v23, 29, v23
	v_and_b32_e32 v21, 7, v21
	v_cmp_eq_u16_e32 vcc, 0, v22
	v_cndmask_b32_e32 v20, v20, v21, vcc
	v_cndmask_b32_e32 v21, v22, v23, vcc
	v_lshlrev_b32_e32 v22, 16, v14
	v_mov_b32_e32 v23, 0x3b800000
	v_lshlrev_b32_e32 v20, 20, v20
	v_and_b32_e32 v22, 0x80000000, v22
	v_lshl_add_u32 v21, v21, 23, v23
	v_or3_b32 v20, v22, v21, v20
.LBB33_1292:
	s_or_b64 exec, exec, s[6:7]
	v_lshrrev_b32_e32 v21, 8, v10
	s_movk_i32 s4, 0x7f
	v_cmp_gt_i16_sdwa s[6:7], v21, s4 src0_sel:BYTE_0 src1_sel:DWORD
	s_mov_b64 s[4:5], 0
                                        ; implicit-def: $sgpr10
	s_and_saveexec_b64 s[8:9], s[6:7]
	s_xor_b64 s[6:7], exec, s[8:9]
	s_cbranch_execnz .LBB33_3341
; %bb.1293:
	s_or_saveexec_b64 s[6:7], s[6:7]
	v_mov_b32_e32 v22, s10
	s_xor_b64 exec, exec, s[6:7]
	s_cbranch_execnz .LBB33_3344
.LBB33_1294:
	s_or_b64 exec, exec, s[6:7]
	s_and_saveexec_b64 s[6:7], s[4:5]
	s_cbranch_execz .LBB33_1296
.LBB33_1295:
	v_bfe_u32 v22, v10, 8, 3
	v_ffbh_u32_e32 v24, v22
	v_min_u32_e32 v24, 32, v24
	v_lshrrev_b16_e32 v23, 3, v21
	v_subrev_u32_e32 v25, 28, v24
	v_and_b32_e32 v23, 15, v23
	v_lshlrev_b32_e32 v21, v25, v21
	v_sub_u32_e32 v24, 29, v24
	v_and_b32_e32 v21, 7, v21
	v_cmp_eq_u16_e32 vcc, 0, v23
	v_cndmask_b32_e32 v21, v22, v21, vcc
	v_cndmask_b32_e32 v22, v23, v24, vcc
	v_lshlrev_b32_e32 v23, 16, v10
	v_mov_b32_e32 v24, 0x3b800000
	v_lshlrev_b32_e32 v21, 20, v21
	v_and_b32_e32 v23, 0x80000000, v23
	v_lshl_add_u32 v22, v22, 23, v24
	v_or3_b32 v22, v23, v22, v21
.LBB33_1296:
	s_or_b64 exec, exec, s[6:7]
	s_nop 0
	v_mfma_f32_16x16x4f32 a[0:3], v20, v22, a[0:3]
	s_movk_i32 s4, 0xff
	v_and_b32_sdwa v21, v14, s4 dst_sel:DWORD dst_unused:UNUSED_PAD src0_sel:WORD_1 src1_sel:DWORD
	s_movk_i32 s4, 0x7f
	v_cmp_lt_i16_e32 vcc, s4, v21
	s_mov_b64 s[4:5], 0
                                        ; implicit-def: $sgpr10
	s_and_saveexec_b64 s[6:7], vcc
	s_xor_b64 s[6:7], exec, s[6:7]
	s_cbranch_execnz .LBB33_3345
; %bb.1297:
	s_or_saveexec_b64 s[6:7], s[6:7]
	v_mov_b32_e32 v20, s10
	s_xor_b64 exec, exec, s[6:7]
	s_cbranch_execnz .LBB33_3348
.LBB33_1298:
	s_or_b64 exec, exec, s[6:7]
	s_and_saveexec_b64 s[6:7], s[4:5]
	s_cbranch_execz .LBB33_1300
.LBB33_1299:
	v_bfe_u32 v20, v14, 16, 3
	v_ffbh_u32_e32 v23, v20
	v_min_u32_e32 v23, 32, v23
	v_lshrrev_b32_e32 v21, 19, v14
	v_subrev_u32_e32 v24, 28, v23
	v_and_b32_e32 v21, 15, v21
	v_lshlrev_b32_sdwa v24, v24, v14 dst_sel:DWORD dst_unused:UNUSED_PAD src0_sel:DWORD src1_sel:WORD_1
	v_bfe_u32 v22, v14, 19, 4
	v_sub_u32_e32 v23, 29, v23
	v_and_b32_e32 v24, 7, v24
	v_cmp_eq_u16_e32 vcc, 0, v21
	v_cndmask_b32_e32 v20, v20, v24, vcc
	v_cndmask_b32_e32 v21, v22, v23, vcc
	v_lshlrev_b32_e32 v22, 8, v14
	v_mov_b32_e32 v23, 0x3b800000
	v_lshlrev_b32_e32 v20, 20, v20
	v_and_b32_e32 v22, 0x80000000, v22
	v_lshl_add_u32 v21, v21, 23, v23
	v_or3_b32 v20, v22, v21, v20
.LBB33_1300:
	s_or_b64 exec, exec, s[6:7]
	s_movk_i32 s4, 0xff
	v_and_b32_sdwa v21, v10, s4 dst_sel:DWORD dst_unused:UNUSED_PAD src0_sel:WORD_1 src1_sel:DWORD
	s_movk_i32 s4, 0x7f
	v_cmp_lt_i16_e32 vcc, s4, v21
	s_mov_b64 s[4:5], 0
                                        ; implicit-def: $sgpr10
	s_and_saveexec_b64 s[6:7], vcc
	s_xor_b64 s[6:7], exec, s[6:7]
	s_cbranch_execnz .LBB33_3349
; %bb.1301:
	s_or_saveexec_b64 s[6:7], s[6:7]
	v_mov_b32_e32 v22, s10
	s_xor_b64 exec, exec, s[6:7]
	s_cbranch_execnz .LBB33_3352
.LBB33_1302:
	s_or_b64 exec, exec, s[6:7]
	s_and_saveexec_b64 s[6:7], s[4:5]
	s_cbranch_execz .LBB33_1304
.LBB33_1303:
	v_bfe_u32 v21, v10, 16, 3
	v_ffbh_u32_e32 v24, v21
	v_min_u32_e32 v24, 32, v24
	v_lshrrev_b32_e32 v22, 19, v10
	v_subrev_u32_e32 v25, 28, v24
	v_and_b32_e32 v22, 15, v22
	v_lshlrev_b32_sdwa v25, v25, v10 dst_sel:DWORD dst_unused:UNUSED_PAD src0_sel:DWORD src1_sel:WORD_1
	v_bfe_u32 v23, v10, 19, 4
	v_sub_u32_e32 v24, 29, v24
	v_and_b32_e32 v25, 7, v25
	v_cmp_eq_u16_e32 vcc, 0, v22
	v_cndmask_b32_e32 v21, v21, v25, vcc
	v_cndmask_b32_e32 v22, v23, v24, vcc
	v_lshlrev_b32_e32 v23, 8, v10
	v_mov_b32_e32 v24, 0x3b800000
	v_lshlrev_b32_e32 v21, 20, v21
	v_and_b32_e32 v23, 0x80000000, v23
	v_lshl_add_u32 v22, v22, 23, v24
	v_or3_b32 v22, v23, v22, v21
.LBB33_1304:
	s_or_b64 exec, exec, s[6:7]
	s_nop 0
	v_mfma_f32_16x16x4f32 a[0:3], v20, v22, a[0:3]
	s_movk_i32 s4, 0x7f
	v_cmp_gt_i16_sdwa s[6:7], v14, s4 src0_sel:BYTE_3 src1_sel:DWORD
	s_mov_b64 s[4:5], 0
                                        ; implicit-def: $sgpr10
	s_and_saveexec_b64 s[8:9], s[6:7]
	s_xor_b64 s[6:7], exec, s[8:9]
	s_cbranch_execnz .LBB33_3353
; %bb.1305:
	s_or_saveexec_b64 s[6:7], s[6:7]
	v_mov_b32_e32 v20, s10
	s_xor_b64 exec, exec, s[6:7]
	s_cbranch_execnz .LBB33_3356
.LBB33_1306:
	s_or_b64 exec, exec, s[6:7]
	s_and_saveexec_b64 s[6:7], s[4:5]
	s_cbranch_execz .LBB33_1308
.LBB33_1307:
	v_bfe_u32 v20, v14, 24, 3
	v_ffbh_u32_e32 v24, v20
	v_min_u32_e32 v24, 32, v24
	v_lshrrev_b32_e32 v22, 27, v14
	v_subrev_u32_e32 v25, 28, v24
	v_and_b32_e32 v21, 0x80000000, v14
	v_and_b32_e32 v22, 15, v22
	v_bfe_u32 v23, v14, 27, 4
	v_lshlrev_b32_sdwa v14, v25, v14 dst_sel:DWORD dst_unused:UNUSED_PAD src0_sel:DWORD src1_sel:BYTE_3
	v_sub_u32_e32 v24, 29, v24
	v_and_b32_e32 v14, 7, v14
	v_cmp_eq_u16_e32 vcc, 0, v22
	v_cndmask_b32_e32 v14, v20, v14, vcc
	v_cndmask_b32_e32 v20, v23, v24, vcc
	v_mov_b32_e32 v22, 0x3b800000
	v_lshlrev_b32_e32 v14, 20, v14
	v_lshl_add_u32 v20, v20, 23, v22
	v_or3_b32 v20, v21, v20, v14
.LBB33_1308:
	s_or_b64 exec, exec, s[6:7]
	s_movk_i32 s4, 0x7f
	v_cmp_gt_i16_sdwa s[6:7], v10, s4 src0_sel:BYTE_3 src1_sel:DWORD
	s_mov_b64 s[4:5], 0
                                        ; implicit-def: $sgpr10
	s_and_saveexec_b64 s[8:9], s[6:7]
	s_xor_b64 s[6:7], exec, s[8:9]
	s_cbranch_execnz .LBB33_3357
; %bb.1309:
	s_or_saveexec_b64 s[6:7], s[6:7]
	v_mov_b32_e32 v14, s10
	s_xor_b64 exec, exec, s[6:7]
	s_cbranch_execnz .LBB33_3360
.LBB33_1310:
	s_or_b64 exec, exec, s[6:7]
	s_and_saveexec_b64 s[6:7], s[4:5]
	s_cbranch_execz .LBB33_1312
.LBB33_1311:
	v_bfe_u32 v14, v10, 24, 3
	v_ffbh_u32_e32 v24, v14
	v_min_u32_e32 v24, 32, v24
	v_lshrrev_b32_e32 v22, 27, v10
	v_subrev_u32_e32 v25, 28, v24
	v_and_b32_e32 v21, 0x80000000, v10
	v_and_b32_e32 v22, 15, v22
	v_bfe_u32 v23, v10, 27, 4
	v_lshlrev_b32_sdwa v10, v25, v10 dst_sel:DWORD dst_unused:UNUSED_PAD src0_sel:DWORD src1_sel:BYTE_3
	v_sub_u32_e32 v24, 29, v24
	v_and_b32_e32 v10, 7, v10
	v_cmp_eq_u16_e32 vcc, 0, v22
	v_cndmask_b32_e32 v10, v14, v10, vcc
	v_cndmask_b32_e32 v14, v23, v24, vcc
	v_mov_b32_e32 v22, 0x3b800000
	v_lshlrev_b32_e32 v10, 20, v10
	v_lshl_add_u32 v14, v14, 23, v22
	v_or3_b32 v14, v21, v14, v10
.LBB33_1312:
	s_or_b64 exec, exec, s[6:7]
	s_nop 0
	v_mfma_f32_16x16x4f32 a[0:3], v20, v14, a[0:3]
	s_movk_i32 s4, 0x7f
	v_cmp_gt_i16_sdwa s[6:7], v15, s4 src0_sel:BYTE_0 src1_sel:DWORD
	s_mov_b64 s[4:5], 0
                                        ; implicit-def: $sgpr10
	s_and_saveexec_b64 s[8:9], s[6:7]
	s_xor_b64 s[6:7], exec, s[8:9]
	s_cbranch_execnz .LBB33_3361
; %bb.1313:
	s_or_saveexec_b64 s[6:7], s[6:7]
	v_mov_b32_e32 v10, s10
	s_xor_b64 exec, exec, s[6:7]
	s_cbranch_execnz .LBB33_3364
.LBB33_1314:
	s_or_b64 exec, exec, s[6:7]
	s_and_saveexec_b64 s[6:7], s[4:5]
	s_cbranch_execz .LBB33_1316
.LBB33_1315:
	v_and_b32_e32 v10, 7, v15
	v_ffbh_u32_e32 v20, v10
	v_min_u32_e32 v20, 32, v20
	v_lshrrev_b16_e32 v14, 3, v15
	v_subrev_u32_e32 v21, 28, v20
	v_and_b32_e32 v14, 15, v14
	v_lshlrev_b32_e32 v21, v21, v15
	v_sub_u32_e32 v20, 29, v20
	v_and_b32_e32 v21, 7, v21
	v_cmp_eq_u16_e32 vcc, 0, v14
	v_cndmask_b32_e32 v10, v10, v21, vcc
	v_cndmask_b32_e32 v14, v14, v20, vcc
	v_lshlrev_b32_e32 v20, 24, v15
	v_mov_b32_e32 v21, 0x3b800000
	v_lshlrev_b32_e32 v10, 20, v10
	v_and_b32_e32 v20, 0x80000000, v20
	v_lshl_add_u32 v14, v14, 23, v21
	v_or3_b32 v10, v20, v14, v10
.LBB33_1316:
	s_or_b64 exec, exec, s[6:7]
	s_movk_i32 s4, 0x7f
	v_cmp_gt_i16_sdwa s[6:7], v11, s4 src0_sel:BYTE_0 src1_sel:DWORD
	s_mov_b64 s[4:5], 0
                                        ; implicit-def: $sgpr10
	s_and_saveexec_b64 s[8:9], s[6:7]
	s_xor_b64 s[6:7], exec, s[8:9]
	s_cbranch_execnz .LBB33_3365
; %bb.1317:
	s_or_saveexec_b64 s[6:7], s[6:7]
	v_mov_b32_e32 v14, s10
	s_xor_b64 exec, exec, s[6:7]
	s_cbranch_execnz .LBB33_3368
.LBB33_1318:
	s_or_b64 exec, exec, s[6:7]
	s_and_saveexec_b64 s[6:7], s[4:5]
	s_cbranch_execz .LBB33_1320
.LBB33_1319:
	v_and_b32_e32 v14, 7, v11
	v_ffbh_u32_e32 v21, v14
	v_min_u32_e32 v21, 32, v21
	v_lshrrev_b16_e32 v20, 3, v11
	v_subrev_u32_e32 v22, 28, v21
	v_and_b32_e32 v20, 15, v20
	v_lshlrev_b32_e32 v22, v22, v11
	v_sub_u32_e32 v21, 29, v21
	v_and_b32_e32 v22, 7, v22
	v_cmp_eq_u16_e32 vcc, 0, v20
	v_cndmask_b32_e32 v14, v14, v22, vcc
	v_cndmask_b32_e32 v20, v20, v21, vcc
	v_lshlrev_b32_e32 v21, 24, v11
	v_mov_b32_e32 v22, 0x3b800000
	v_lshlrev_b32_e32 v14, 20, v14
	v_and_b32_e32 v21, 0x80000000, v21
	v_lshl_add_u32 v20, v20, 23, v22
	v_or3_b32 v14, v21, v20, v14
.LBB33_1320:
	s_or_b64 exec, exec, s[6:7]
	s_nop 0
	v_mfma_f32_16x16x4f32 a[0:3], v10, v14, a[0:3]
	v_lshrrev_b32_e32 v14, 8, v15
	s_movk_i32 s4, 0x7f
	v_cmp_gt_i16_sdwa s[6:7], v14, s4 src0_sel:BYTE_0 src1_sel:DWORD
	s_mov_b64 s[4:5], 0
                                        ; implicit-def: $sgpr10
	s_and_saveexec_b64 s[8:9], s[6:7]
	s_xor_b64 s[6:7], exec, s[8:9]
	s_cbranch_execnz .LBB33_3369
; %bb.1321:
	s_or_saveexec_b64 s[6:7], s[6:7]
	v_mov_b32_e32 v10, s10
	s_xor_b64 exec, exec, s[6:7]
	s_cbranch_execnz .LBB33_3372
.LBB33_1322:
	s_or_b64 exec, exec, s[6:7]
	s_and_saveexec_b64 s[6:7], s[4:5]
	s_cbranch_execz .LBB33_1324
.LBB33_1323:
	v_bfe_u32 v10, v15, 8, 3
	v_ffbh_u32_e32 v21, v10
	v_min_u32_e32 v21, 32, v21
	v_lshrrev_b16_e32 v20, 3, v14
	v_subrev_u32_e32 v22, 28, v21
	v_and_b32_e32 v20, 15, v20
	v_lshlrev_b32_e32 v14, v22, v14
	v_sub_u32_e32 v21, 29, v21
	v_and_b32_e32 v14, 7, v14
	v_cmp_eq_u16_e32 vcc, 0, v20
	v_cndmask_b32_e32 v10, v10, v14, vcc
	v_cndmask_b32_e32 v14, v20, v21, vcc
	v_lshlrev_b32_e32 v20, 16, v15
	v_mov_b32_e32 v21, 0x3b800000
	v_lshlrev_b32_e32 v10, 20, v10
	v_and_b32_e32 v20, 0x80000000, v20
	v_lshl_add_u32 v14, v14, 23, v21
	v_or3_b32 v10, v20, v14, v10
.LBB33_1324:
	s_or_b64 exec, exec, s[6:7]
	v_lshrrev_b32_e32 v14, 8, v11
	s_movk_i32 s4, 0x7f
	v_cmp_gt_i16_sdwa s[6:7], v14, s4 src0_sel:BYTE_0 src1_sel:DWORD
	s_mov_b64 s[4:5], 0
                                        ; implicit-def: $sgpr10
	s_and_saveexec_b64 s[8:9], s[6:7]
	s_xor_b64 s[6:7], exec, s[8:9]
	s_cbranch_execnz .LBB33_3373
; %bb.1325:
	s_or_saveexec_b64 s[6:7], s[6:7]
	v_mov_b32_e32 v20, s10
	s_xor_b64 exec, exec, s[6:7]
	s_cbranch_execnz .LBB33_3376
.LBB33_1326:
	s_or_b64 exec, exec, s[6:7]
	s_and_saveexec_b64 s[6:7], s[4:5]
	s_cbranch_execz .LBB33_1328
.LBB33_1327:
	v_bfe_u32 v20, v11, 8, 3
	v_ffbh_u32_e32 v22, v20
	v_min_u32_e32 v22, 32, v22
	v_lshrrev_b16_e32 v21, 3, v14
	v_subrev_u32_e32 v23, 28, v22
	v_and_b32_e32 v21, 15, v21
	v_lshlrev_b32_e32 v14, v23, v14
	v_sub_u32_e32 v22, 29, v22
	v_and_b32_e32 v14, 7, v14
	v_cmp_eq_u16_e32 vcc, 0, v21
	v_cndmask_b32_e32 v14, v20, v14, vcc
	v_cndmask_b32_e32 v20, v21, v22, vcc
	v_lshlrev_b32_e32 v21, 16, v11
	v_mov_b32_e32 v22, 0x3b800000
	v_lshlrev_b32_e32 v14, 20, v14
	v_and_b32_e32 v21, 0x80000000, v21
	v_lshl_add_u32 v20, v20, 23, v22
	v_or3_b32 v20, v21, v20, v14
.LBB33_1328:
	s_or_b64 exec, exec, s[6:7]
	s_nop 0
	v_mfma_f32_16x16x4f32 a[0:3], v10, v20, a[0:3]
	s_movk_i32 s4, 0xff
	v_and_b32_sdwa v14, v15, s4 dst_sel:DWORD dst_unused:UNUSED_PAD src0_sel:WORD_1 src1_sel:DWORD
	s_movk_i32 s4, 0x7f
	v_cmp_lt_i16_e32 vcc, s4, v14
	s_mov_b64 s[4:5], 0
                                        ; implicit-def: $sgpr10
	s_and_saveexec_b64 s[6:7], vcc
	s_xor_b64 s[6:7], exec, s[6:7]
	s_cbranch_execnz .LBB33_3377
; %bb.1329:
	s_or_saveexec_b64 s[6:7], s[6:7]
	v_mov_b32_e32 v10, s10
	s_xor_b64 exec, exec, s[6:7]
	s_cbranch_execnz .LBB33_3380
.LBB33_1330:
	s_or_b64 exec, exec, s[6:7]
	s_and_saveexec_b64 s[6:7], s[4:5]
	s_cbranch_execz .LBB33_1332
.LBB33_1331:
	v_bfe_u32 v10, v15, 16, 3
	v_ffbh_u32_e32 v21, v10
	v_min_u32_e32 v21, 32, v21
	v_lshrrev_b32_e32 v14, 19, v15
	v_subrev_u32_e32 v22, 28, v21
	v_and_b32_e32 v14, 15, v14
	v_lshlrev_b32_sdwa v22, v22, v15 dst_sel:DWORD dst_unused:UNUSED_PAD src0_sel:DWORD src1_sel:WORD_1
	v_bfe_u32 v20, v15, 19, 4
	v_sub_u32_e32 v21, 29, v21
	v_and_b32_e32 v22, 7, v22
	v_cmp_eq_u16_e32 vcc, 0, v14
	v_cndmask_b32_e32 v10, v10, v22, vcc
	v_cndmask_b32_e32 v14, v20, v21, vcc
	v_lshlrev_b32_e32 v20, 8, v15
	v_mov_b32_e32 v21, 0x3b800000
	v_lshlrev_b32_e32 v10, 20, v10
	v_and_b32_e32 v20, 0x80000000, v20
	v_lshl_add_u32 v14, v14, 23, v21
	v_or3_b32 v10, v20, v14, v10
.LBB33_1332:
	s_or_b64 exec, exec, s[6:7]
	s_movk_i32 s4, 0xff
	v_and_b32_sdwa v14, v11, s4 dst_sel:DWORD dst_unused:UNUSED_PAD src0_sel:WORD_1 src1_sel:DWORD
	s_movk_i32 s4, 0x7f
	v_cmp_lt_i16_e32 vcc, s4, v14
	s_mov_b64 s[4:5], 0
                                        ; implicit-def: $sgpr10
	s_and_saveexec_b64 s[6:7], vcc
	s_xor_b64 s[6:7], exec, s[6:7]
	s_cbranch_execnz .LBB33_3381
; %bb.1333:
	s_or_saveexec_b64 s[6:7], s[6:7]
	v_mov_b32_e32 v20, s10
	s_xor_b64 exec, exec, s[6:7]
	s_cbranch_execnz .LBB33_3384
.LBB33_1334:
	s_or_b64 exec, exec, s[6:7]
	s_and_saveexec_b64 s[6:7], s[4:5]
	s_cbranch_execz .LBB33_1336
.LBB33_1335:
	v_bfe_u32 v14, v11, 16, 3
	v_ffbh_u32_e32 v22, v14
	v_min_u32_e32 v22, 32, v22
	v_lshrrev_b32_e32 v20, 19, v11
	v_subrev_u32_e32 v23, 28, v22
	v_and_b32_e32 v20, 15, v20
	v_lshlrev_b32_sdwa v23, v23, v11 dst_sel:DWORD dst_unused:UNUSED_PAD src0_sel:DWORD src1_sel:WORD_1
	v_bfe_u32 v21, v11, 19, 4
	v_sub_u32_e32 v22, 29, v22
	v_and_b32_e32 v23, 7, v23
	v_cmp_eq_u16_e32 vcc, 0, v20
	v_cndmask_b32_e32 v14, v14, v23, vcc
	v_cndmask_b32_e32 v20, v21, v22, vcc
	v_lshlrev_b32_e32 v21, 8, v11
	v_mov_b32_e32 v22, 0x3b800000
	v_lshlrev_b32_e32 v14, 20, v14
	v_and_b32_e32 v21, 0x80000000, v21
	v_lshl_add_u32 v20, v20, 23, v22
	v_or3_b32 v20, v21, v20, v14
.LBB33_1336:
	s_or_b64 exec, exec, s[6:7]
	s_nop 0
	v_mfma_f32_16x16x4f32 a[0:3], v10, v20, a[0:3]
	s_movk_i32 s4, 0x7f
	v_cmp_gt_i16_sdwa s[6:7], v15, s4 src0_sel:BYTE_3 src1_sel:DWORD
	s_mov_b64 s[4:5], 0
                                        ; implicit-def: $sgpr10
	s_and_saveexec_b64 s[8:9], s[6:7]
	s_xor_b64 s[6:7], exec, s[8:9]
	s_cbranch_execnz .LBB33_3385
; %bb.1337:
	s_or_saveexec_b64 s[6:7], s[6:7]
	v_mov_b32_e32 v10, s10
	s_xor_b64 exec, exec, s[6:7]
	s_cbranch_execnz .LBB33_3388
.LBB33_1338:
	s_or_b64 exec, exec, s[6:7]
	s_and_saveexec_b64 s[6:7], s[4:5]
	s_cbranch_execz .LBB33_1340
.LBB33_1339:
	v_bfe_u32 v10, v15, 24, 3
	v_ffbh_u32_e32 v22, v10
	v_min_u32_e32 v22, 32, v22
	v_lshrrev_b32_e32 v20, 27, v15
	v_subrev_u32_e32 v23, 28, v22
	v_and_b32_e32 v14, 0x80000000, v15
	v_and_b32_e32 v20, 15, v20
	v_bfe_u32 v21, v15, 27, 4
	v_lshlrev_b32_sdwa v15, v23, v15 dst_sel:DWORD dst_unused:UNUSED_PAD src0_sel:DWORD src1_sel:BYTE_3
	v_sub_u32_e32 v22, 29, v22
	v_and_b32_e32 v15, 7, v15
	v_cmp_eq_u16_e32 vcc, 0, v20
	v_cndmask_b32_e32 v10, v10, v15, vcc
	v_cndmask_b32_e32 v15, v21, v22, vcc
	v_mov_b32_e32 v20, 0x3b800000
	v_lshlrev_b32_e32 v10, 20, v10
	v_lshl_add_u32 v15, v15, 23, v20
	v_or3_b32 v10, v14, v15, v10
.LBB33_1340:
	s_or_b64 exec, exec, s[6:7]
	s_movk_i32 s4, 0x7f
	v_cmp_gt_i16_sdwa s[6:7], v11, s4 src0_sel:BYTE_3 src1_sel:DWORD
	s_mov_b64 s[4:5], 0
                                        ; implicit-def: $sgpr10
	s_and_saveexec_b64 s[8:9], s[6:7]
	s_xor_b64 s[6:7], exec, s[8:9]
	s_cbranch_execnz .LBB33_3389
; %bb.1341:
	s_or_saveexec_b64 s[6:7], s[6:7]
	v_mov_b32_e32 v14, s10
	s_xor_b64 exec, exec, s[6:7]
	s_cbranch_execnz .LBB33_3392
.LBB33_1342:
	s_or_b64 exec, exec, s[6:7]
	s_and_saveexec_b64 s[6:7], s[4:5]
	s_cbranch_execz .LBB33_1344
.LBB33_1343:
	v_bfe_u32 v14, v11, 24, 3
	v_ffbh_u32_e32 v22, v14
	v_min_u32_e32 v22, 32, v22
	v_lshrrev_b32_e32 v20, 27, v11
	v_subrev_u32_e32 v23, 28, v22
	v_and_b32_e32 v15, 0x80000000, v11
	v_and_b32_e32 v20, 15, v20
	v_bfe_u32 v21, v11, 27, 4
	v_lshlrev_b32_sdwa v11, v23, v11 dst_sel:DWORD dst_unused:UNUSED_PAD src0_sel:DWORD src1_sel:BYTE_3
	v_sub_u32_e32 v22, 29, v22
	v_and_b32_e32 v11, 7, v11
	v_cmp_eq_u16_e32 vcc, 0, v20
	v_cndmask_b32_e32 v11, v14, v11, vcc
	v_cndmask_b32_e32 v14, v21, v22, vcc
	v_mov_b32_e32 v20, 0x3b800000
	v_lshlrev_b32_e32 v11, 20, v11
	v_lshl_add_u32 v14, v14, 23, v20
	v_or3_b32 v14, v15, v14, v11
.LBB33_1344:
	s_or_b64 exec, exec, s[6:7]
	s_nop 0
	v_mfma_f32_16x16x4f32 a[0:3], v10, v14, a[0:3]
	s_movk_i32 s4, 0x7f
	v_cmp_gt_i16_sdwa s[6:7], v16, s4 src0_sel:BYTE_0 src1_sel:DWORD
	s_mov_b64 s[4:5], 0
                                        ; implicit-def: $sgpr10
	s_and_saveexec_b64 s[8:9], s[6:7]
	s_xor_b64 s[6:7], exec, s[8:9]
	s_cbranch_execnz .LBB33_3393
; %bb.1345:
	s_or_saveexec_b64 s[6:7], s[6:7]
	v_mov_b32_e32 v10, s10
	s_xor_b64 exec, exec, s[6:7]
	s_cbranch_execnz .LBB33_3396
.LBB33_1346:
	s_or_b64 exec, exec, s[6:7]
	s_and_saveexec_b64 s[6:7], s[4:5]
	s_cbranch_execz .LBB33_1348
.LBB33_1347:
	v_and_b32_e32 v10, 7, v16
	v_ffbh_u32_e32 v14, v10
	v_min_u32_e32 v14, 32, v14
	v_lshrrev_b16_e32 v11, 3, v16
	v_subrev_u32_e32 v15, 28, v14
	v_and_b32_e32 v11, 15, v11
	v_lshlrev_b32_e32 v15, v15, v16
	v_sub_u32_e32 v14, 29, v14
	v_and_b32_e32 v15, 7, v15
	v_cmp_eq_u16_e32 vcc, 0, v11
	v_cndmask_b32_e32 v10, v10, v15, vcc
	v_cndmask_b32_e32 v11, v11, v14, vcc
	v_lshlrev_b32_e32 v14, 24, v16
	v_mov_b32_e32 v15, 0x3b800000
	v_lshlrev_b32_e32 v10, 20, v10
	v_and_b32_e32 v14, 0x80000000, v14
	v_lshl_add_u32 v11, v11, 23, v15
	v_or3_b32 v10, v14, v11, v10
.LBB33_1348:
	s_or_b64 exec, exec, s[6:7]
	s_movk_i32 s4, 0x7f
	v_cmp_gt_i16_sdwa s[6:7], v12, s4 src0_sel:BYTE_0 src1_sel:DWORD
	s_mov_b64 s[4:5], 0
                                        ; implicit-def: $sgpr10
	s_and_saveexec_b64 s[8:9], s[6:7]
	s_xor_b64 s[6:7], exec, s[8:9]
	s_cbranch_execnz .LBB33_3397
; %bb.1349:
	s_or_saveexec_b64 s[6:7], s[6:7]
	v_mov_b32_e32 v11, s10
	s_xor_b64 exec, exec, s[6:7]
	s_cbranch_execnz .LBB33_3400
.LBB33_1350:
	s_or_b64 exec, exec, s[6:7]
	s_and_saveexec_b64 s[6:7], s[4:5]
	s_cbranch_execz .LBB33_1352
.LBB33_1351:
	v_and_b32_e32 v11, 7, v12
	v_ffbh_u32_e32 v15, v11
	v_min_u32_e32 v15, 32, v15
	v_lshrrev_b16_e32 v14, 3, v12
	v_subrev_u32_e32 v20, 28, v15
	v_and_b32_e32 v14, 15, v14
	v_lshlrev_b32_e32 v20, v20, v12
	v_sub_u32_e32 v15, 29, v15
	v_and_b32_e32 v20, 7, v20
	v_cmp_eq_u16_e32 vcc, 0, v14
	v_cndmask_b32_e32 v11, v11, v20, vcc
	v_cndmask_b32_e32 v14, v14, v15, vcc
	v_lshlrev_b32_e32 v15, 24, v12
	v_mov_b32_e32 v20, 0x3b800000
	v_lshlrev_b32_e32 v11, 20, v11
	v_and_b32_e32 v15, 0x80000000, v15
	v_lshl_add_u32 v14, v14, 23, v20
	v_or3_b32 v11, v15, v14, v11
.LBB33_1352:
	s_or_b64 exec, exec, s[6:7]
	s_nop 0
	v_mfma_f32_16x16x4f32 a[0:3], v10, v11, a[0:3]
	v_lshrrev_b32_e32 v11, 8, v16
	s_movk_i32 s4, 0x7f
	v_cmp_gt_i16_sdwa s[6:7], v11, s4 src0_sel:BYTE_0 src1_sel:DWORD
	s_mov_b64 s[4:5], 0
                                        ; implicit-def: $sgpr10
	s_and_saveexec_b64 s[8:9], s[6:7]
	s_xor_b64 s[6:7], exec, s[8:9]
	s_cbranch_execnz .LBB33_3401
; %bb.1353:
	s_or_saveexec_b64 s[6:7], s[6:7]
	v_mov_b32_e32 v10, s10
	s_xor_b64 exec, exec, s[6:7]
	s_cbranch_execnz .LBB33_3404
.LBB33_1354:
	s_or_b64 exec, exec, s[6:7]
	s_and_saveexec_b64 s[6:7], s[4:5]
	s_cbranch_execz .LBB33_1356
.LBB33_1355:
	v_bfe_u32 v10, v16, 8, 3
	v_ffbh_u32_e32 v15, v10
	v_min_u32_e32 v15, 32, v15
	v_lshrrev_b16_e32 v14, 3, v11
	v_subrev_u32_e32 v20, 28, v15
	v_and_b32_e32 v14, 15, v14
	v_lshlrev_b32_e32 v11, v20, v11
	v_sub_u32_e32 v15, 29, v15
	v_and_b32_e32 v11, 7, v11
	v_cmp_eq_u16_e32 vcc, 0, v14
	v_cndmask_b32_e32 v10, v10, v11, vcc
	v_cndmask_b32_e32 v11, v14, v15, vcc
	v_lshlrev_b32_e32 v14, 16, v16
	v_mov_b32_e32 v15, 0x3b800000
	v_lshlrev_b32_e32 v10, 20, v10
	v_and_b32_e32 v14, 0x80000000, v14
	v_lshl_add_u32 v11, v11, 23, v15
	v_or3_b32 v10, v14, v11, v10
.LBB33_1356:
	s_or_b64 exec, exec, s[6:7]
	v_lshrrev_b32_e32 v11, 8, v12
	s_movk_i32 s4, 0x7f
	v_cmp_gt_i16_sdwa s[6:7], v11, s4 src0_sel:BYTE_0 src1_sel:DWORD
	s_mov_b64 s[4:5], 0
                                        ; implicit-def: $sgpr10
	s_and_saveexec_b64 s[8:9], s[6:7]
	s_xor_b64 s[6:7], exec, s[8:9]
	s_cbranch_execnz .LBB33_3405
; %bb.1357:
	s_or_saveexec_b64 s[6:7], s[6:7]
	v_mov_b32_e32 v14, s10
	s_xor_b64 exec, exec, s[6:7]
	s_cbranch_execnz .LBB33_3408
.LBB33_1358:
	s_or_b64 exec, exec, s[6:7]
	s_and_saveexec_b64 s[6:7], s[4:5]
	s_cbranch_execz .LBB33_1360
.LBB33_1359:
	v_bfe_u32 v14, v12, 8, 3
	v_ffbh_u32_e32 v20, v14
	v_min_u32_e32 v20, 32, v20
	v_lshrrev_b16_e32 v15, 3, v11
	v_subrev_u32_e32 v21, 28, v20
	v_and_b32_e32 v15, 15, v15
	v_lshlrev_b32_e32 v11, v21, v11
	v_sub_u32_e32 v20, 29, v20
	v_and_b32_e32 v11, 7, v11
	v_cmp_eq_u16_e32 vcc, 0, v15
	v_cndmask_b32_e32 v11, v14, v11, vcc
	v_cndmask_b32_e32 v14, v15, v20, vcc
	v_lshlrev_b32_e32 v15, 16, v12
	v_mov_b32_e32 v20, 0x3b800000
	v_lshlrev_b32_e32 v11, 20, v11
	v_and_b32_e32 v15, 0x80000000, v15
	v_lshl_add_u32 v14, v14, 23, v20
	v_or3_b32 v14, v15, v14, v11
.LBB33_1360:
	s_or_b64 exec, exec, s[6:7]
	s_nop 0
	v_mfma_f32_16x16x4f32 a[0:3], v10, v14, a[0:3]
	s_movk_i32 s4, 0xff
	v_and_b32_sdwa v11, v16, s4 dst_sel:DWORD dst_unused:UNUSED_PAD src0_sel:WORD_1 src1_sel:DWORD
	s_movk_i32 s4, 0x7f
	v_cmp_lt_i16_e32 vcc, s4, v11
	s_mov_b64 s[4:5], 0
                                        ; implicit-def: $sgpr10
	s_and_saveexec_b64 s[6:7], vcc
	s_xor_b64 s[6:7], exec, s[6:7]
	s_cbranch_execnz .LBB33_3409
; %bb.1361:
	s_or_saveexec_b64 s[6:7], s[6:7]
	v_mov_b32_e32 v10, s10
	s_xor_b64 exec, exec, s[6:7]
	s_cbranch_execnz .LBB33_3412
.LBB33_1362:
	s_or_b64 exec, exec, s[6:7]
	s_and_saveexec_b64 s[6:7], s[4:5]
	s_cbranch_execz .LBB33_1364
.LBB33_1363:
	v_bfe_u32 v10, v16, 16, 3
	v_ffbh_u32_e32 v15, v10
	v_min_u32_e32 v15, 32, v15
	v_lshrrev_b32_e32 v11, 19, v16
	v_subrev_u32_e32 v20, 28, v15
	v_and_b32_e32 v11, 15, v11
	v_lshlrev_b32_sdwa v20, v20, v16 dst_sel:DWORD dst_unused:UNUSED_PAD src0_sel:DWORD src1_sel:WORD_1
	v_bfe_u32 v14, v16, 19, 4
	v_sub_u32_e32 v15, 29, v15
	v_and_b32_e32 v20, 7, v20
	v_cmp_eq_u16_e32 vcc, 0, v11
	v_cndmask_b32_e32 v10, v10, v20, vcc
	v_cndmask_b32_e32 v11, v14, v15, vcc
	v_lshlrev_b32_e32 v14, 8, v16
	v_mov_b32_e32 v15, 0x3b800000
	v_lshlrev_b32_e32 v10, 20, v10
	v_and_b32_e32 v14, 0x80000000, v14
	v_lshl_add_u32 v11, v11, 23, v15
	v_or3_b32 v10, v14, v11, v10
.LBB33_1364:
	s_or_b64 exec, exec, s[6:7]
	s_movk_i32 s4, 0xff
	v_and_b32_sdwa v11, v12, s4 dst_sel:DWORD dst_unused:UNUSED_PAD src0_sel:WORD_1 src1_sel:DWORD
	s_movk_i32 s4, 0x7f
	v_cmp_lt_i16_e32 vcc, s4, v11
	s_mov_b64 s[4:5], 0
                                        ; implicit-def: $sgpr10
	s_and_saveexec_b64 s[6:7], vcc
	s_xor_b64 s[6:7], exec, s[6:7]
	s_cbranch_execnz .LBB33_3413
; %bb.1365:
	s_or_saveexec_b64 s[6:7], s[6:7]
	v_mov_b32_e32 v14, s10
	s_xor_b64 exec, exec, s[6:7]
	s_cbranch_execnz .LBB33_3416
.LBB33_1366:
	s_or_b64 exec, exec, s[6:7]
	s_and_saveexec_b64 s[6:7], s[4:5]
	s_cbranch_execz .LBB33_1368
.LBB33_1367:
	v_bfe_u32 v11, v12, 16, 3
	v_ffbh_u32_e32 v20, v11
	v_min_u32_e32 v20, 32, v20
	v_lshrrev_b32_e32 v14, 19, v12
	v_subrev_u32_e32 v21, 28, v20
	v_and_b32_e32 v14, 15, v14
	v_lshlrev_b32_sdwa v21, v21, v12 dst_sel:DWORD dst_unused:UNUSED_PAD src0_sel:DWORD src1_sel:WORD_1
	v_bfe_u32 v15, v12, 19, 4
	v_sub_u32_e32 v20, 29, v20
	v_and_b32_e32 v21, 7, v21
	v_cmp_eq_u16_e32 vcc, 0, v14
	v_cndmask_b32_e32 v11, v11, v21, vcc
	v_cndmask_b32_e32 v14, v15, v20, vcc
	v_lshlrev_b32_e32 v15, 8, v12
	v_mov_b32_e32 v20, 0x3b800000
	v_lshlrev_b32_e32 v11, 20, v11
	v_and_b32_e32 v15, 0x80000000, v15
	v_lshl_add_u32 v14, v14, 23, v20
	v_or3_b32 v14, v15, v14, v11
.LBB33_1368:
	s_or_b64 exec, exec, s[6:7]
	s_nop 0
	v_mfma_f32_16x16x4f32 a[0:3], v10, v14, a[0:3]
	s_movk_i32 s4, 0x7f
	v_cmp_gt_i16_sdwa s[6:7], v16, s4 src0_sel:BYTE_3 src1_sel:DWORD
	s_mov_b64 s[4:5], 0
                                        ; implicit-def: $sgpr10
	s_and_saveexec_b64 s[8:9], s[6:7]
	s_xor_b64 s[6:7], exec, s[8:9]
	s_cbranch_execnz .LBB33_3417
; %bb.1369:
	s_or_saveexec_b64 s[6:7], s[6:7]
	v_mov_b32_e32 v10, s10
	s_xor_b64 exec, exec, s[6:7]
	s_cbranch_execnz .LBB33_3420
.LBB33_1370:
	s_or_b64 exec, exec, s[6:7]
	s_and_saveexec_b64 s[6:7], s[4:5]
	s_cbranch_execz .LBB33_1372
.LBB33_1371:
	v_bfe_u32 v10, v16, 24, 3
	v_ffbh_u32_e32 v20, v10
	v_min_u32_e32 v20, 32, v20
	v_lshrrev_b32_e32 v14, 27, v16
	v_subrev_u32_e32 v21, 28, v20
	v_and_b32_e32 v11, 0x80000000, v16
	v_and_b32_e32 v14, 15, v14
	v_bfe_u32 v15, v16, 27, 4
	v_lshlrev_b32_sdwa v16, v21, v16 dst_sel:DWORD dst_unused:UNUSED_PAD src0_sel:DWORD src1_sel:BYTE_3
	v_sub_u32_e32 v20, 29, v20
	v_and_b32_e32 v16, 7, v16
	v_cmp_eq_u16_e32 vcc, 0, v14
	v_cndmask_b32_e32 v10, v10, v16, vcc
	v_cndmask_b32_e32 v14, v15, v20, vcc
	v_mov_b32_e32 v15, 0x3b800000
	v_lshlrev_b32_e32 v10, 20, v10
	v_lshl_add_u32 v14, v14, 23, v15
	v_or3_b32 v10, v11, v14, v10
.LBB33_1372:
	s_or_b64 exec, exec, s[6:7]
	s_movk_i32 s4, 0x7f
	v_cmp_gt_i16_sdwa s[6:7], v12, s4 src0_sel:BYTE_3 src1_sel:DWORD
	s_mov_b64 s[4:5], 0
                                        ; implicit-def: $sgpr10
	s_and_saveexec_b64 s[8:9], s[6:7]
	s_xor_b64 s[6:7], exec, s[8:9]
	s_cbranch_execnz .LBB33_3421
; %bb.1373:
	s_or_saveexec_b64 s[6:7], s[6:7]
	v_mov_b32_e32 v11, s10
	s_xor_b64 exec, exec, s[6:7]
	s_cbranch_execnz .LBB33_3424
.LBB33_1374:
	s_or_b64 exec, exec, s[6:7]
	s_and_saveexec_b64 s[6:7], s[4:5]
	s_cbranch_execz .LBB33_1376
.LBB33_1375:
	v_bfe_u32 v11, v12, 24, 3
	v_ffbh_u32_e32 v20, v11
	v_min_u32_e32 v20, 32, v20
	v_lshrrev_b32_e32 v15, 27, v12
	v_subrev_u32_e32 v21, 28, v20
	v_and_b32_e32 v14, 0x80000000, v12
	v_and_b32_e32 v15, 15, v15
	v_bfe_u32 v16, v12, 27, 4
	v_lshlrev_b32_sdwa v12, v21, v12 dst_sel:DWORD dst_unused:UNUSED_PAD src0_sel:DWORD src1_sel:BYTE_3
	v_sub_u32_e32 v20, 29, v20
	v_and_b32_e32 v12, 7, v12
	v_cmp_eq_u16_e32 vcc, 0, v15
	v_cndmask_b32_e32 v11, v11, v12, vcc
	v_cndmask_b32_e32 v12, v16, v20, vcc
	v_mov_b32_e32 v15, 0x3b800000
	v_lshlrev_b32_e32 v11, 20, v11
	v_lshl_add_u32 v12, v12, 23, v15
	v_or3_b32 v11, v14, v12, v11
.LBB33_1376:
	s_or_b64 exec, exec, s[6:7]
	s_nop 0
	v_mfma_f32_16x16x4f32 a[0:3], v10, v11, a[0:3]
	s_movk_i32 s4, 0x7f
	v_cmp_gt_i16_sdwa s[6:7], v17, s4 src0_sel:BYTE_0 src1_sel:DWORD
	s_mov_b64 s[4:5], 0
                                        ; implicit-def: $sgpr10
	s_and_saveexec_b64 s[8:9], s[6:7]
	s_xor_b64 s[6:7], exec, s[8:9]
	s_cbranch_execnz .LBB33_3425
; %bb.1377:
	s_or_saveexec_b64 s[6:7], s[6:7]
	v_mov_b32_e32 v10, s10
	s_xor_b64 exec, exec, s[6:7]
	s_cbranch_execnz .LBB33_3428
.LBB33_1378:
	s_or_b64 exec, exec, s[6:7]
	s_and_saveexec_b64 s[6:7], s[4:5]
	s_cbranch_execz .LBB33_1380
.LBB33_1379:
	v_and_b32_e32 v10, 7, v17
	v_ffbh_u32_e32 v12, v10
	v_min_u32_e32 v12, 32, v12
	v_lshrrev_b16_e32 v11, 3, v17
	v_subrev_u32_e32 v14, 28, v12
	v_and_b32_e32 v11, 15, v11
	v_lshlrev_b32_e32 v14, v14, v17
	v_sub_u32_e32 v12, 29, v12
	v_and_b32_e32 v14, 7, v14
	v_cmp_eq_u16_e32 vcc, 0, v11
	v_cndmask_b32_e32 v10, v10, v14, vcc
	v_cndmask_b32_e32 v11, v11, v12, vcc
	v_lshlrev_b32_e32 v12, 24, v17
	v_mov_b32_e32 v14, 0x3b800000
	v_lshlrev_b32_e32 v10, 20, v10
	v_and_b32_e32 v12, 0x80000000, v12
	v_lshl_add_u32 v11, v11, 23, v14
	v_or3_b32 v10, v12, v11, v10
.LBB33_1380:
	s_or_b64 exec, exec, s[6:7]
	s_movk_i32 s4, 0x7f
	v_cmp_gt_i16_sdwa s[6:7], v13, s4 src0_sel:BYTE_0 src1_sel:DWORD
	s_mov_b64 s[4:5], 0
                                        ; implicit-def: $sgpr10
	s_and_saveexec_b64 s[8:9], s[6:7]
	s_xor_b64 s[6:7], exec, s[8:9]
	s_cbranch_execnz .LBB33_3429
; %bb.1381:
	s_or_saveexec_b64 s[6:7], s[6:7]
	v_mov_b32_e32 v11, s10
	s_xor_b64 exec, exec, s[6:7]
	s_cbranch_execnz .LBB33_3432
.LBB33_1382:
	s_or_b64 exec, exec, s[6:7]
	s_and_saveexec_b64 s[6:7], s[4:5]
	s_cbranch_execz .LBB33_1384
.LBB33_1383:
	v_and_b32_e32 v11, 7, v13
	v_ffbh_u32_e32 v14, v11
	v_min_u32_e32 v14, 32, v14
	v_lshrrev_b16_e32 v12, 3, v13
	v_subrev_u32_e32 v15, 28, v14
	v_and_b32_e32 v12, 15, v12
	v_lshlrev_b32_e32 v15, v15, v13
	v_sub_u32_e32 v14, 29, v14
	v_and_b32_e32 v15, 7, v15
	v_cmp_eq_u16_e32 vcc, 0, v12
	v_cndmask_b32_e32 v11, v11, v15, vcc
	v_cndmask_b32_e32 v12, v12, v14, vcc
	v_lshlrev_b32_e32 v14, 24, v13
	v_mov_b32_e32 v15, 0x3b800000
	v_lshlrev_b32_e32 v11, 20, v11
	v_and_b32_e32 v14, 0x80000000, v14
	v_lshl_add_u32 v12, v12, 23, v15
	v_or3_b32 v11, v14, v12, v11
.LBB33_1384:
	s_or_b64 exec, exec, s[6:7]
	s_nop 0
	v_mfma_f32_16x16x4f32 a[0:3], v10, v11, a[0:3]
	v_lshrrev_b32_e32 v11, 8, v17
	s_movk_i32 s4, 0x7f
	v_cmp_gt_i16_sdwa s[6:7], v11, s4 src0_sel:BYTE_0 src1_sel:DWORD
	s_mov_b64 s[4:5], 0
                                        ; implicit-def: $sgpr10
	s_and_saveexec_b64 s[8:9], s[6:7]
	s_xor_b64 s[6:7], exec, s[8:9]
	s_cbranch_execnz .LBB33_3433
; %bb.1385:
	s_or_saveexec_b64 s[6:7], s[6:7]
	v_mov_b32_e32 v10, s10
	s_xor_b64 exec, exec, s[6:7]
	s_cbranch_execnz .LBB33_3436
.LBB33_1386:
	s_or_b64 exec, exec, s[6:7]
	s_and_saveexec_b64 s[6:7], s[4:5]
	s_cbranch_execz .LBB33_1388
.LBB33_1387:
	v_bfe_u32 v10, v17, 8, 3
	v_ffbh_u32_e32 v14, v10
	v_min_u32_e32 v14, 32, v14
	v_lshrrev_b16_e32 v12, 3, v11
	v_subrev_u32_e32 v15, 28, v14
	v_and_b32_e32 v12, 15, v12
	v_lshlrev_b32_e32 v11, v15, v11
	v_sub_u32_e32 v14, 29, v14
	v_and_b32_e32 v11, 7, v11
	v_cmp_eq_u16_e32 vcc, 0, v12
	v_cndmask_b32_e32 v10, v10, v11, vcc
	v_cndmask_b32_e32 v11, v12, v14, vcc
	v_lshlrev_b32_e32 v12, 16, v17
	v_mov_b32_e32 v14, 0x3b800000
	v_lshlrev_b32_e32 v10, 20, v10
	v_and_b32_e32 v12, 0x80000000, v12
	v_lshl_add_u32 v11, v11, 23, v14
	v_or3_b32 v10, v12, v11, v10
.LBB33_1388:
	s_or_b64 exec, exec, s[6:7]
	v_lshrrev_b32_e32 v11, 8, v13
	s_movk_i32 s4, 0x7f
	v_cmp_gt_i16_sdwa s[6:7], v11, s4 src0_sel:BYTE_0 src1_sel:DWORD
	s_mov_b64 s[4:5], 0
                                        ; implicit-def: $sgpr10
	s_and_saveexec_b64 s[8:9], s[6:7]
	s_xor_b64 s[6:7], exec, s[8:9]
	s_cbranch_execnz .LBB33_3437
; %bb.1389:
	s_or_saveexec_b64 s[6:7], s[6:7]
	v_mov_b32_e32 v12, s10
	s_xor_b64 exec, exec, s[6:7]
	s_cbranch_execnz .LBB33_3440
.LBB33_1390:
	s_or_b64 exec, exec, s[6:7]
	s_and_saveexec_b64 s[6:7], s[4:5]
	s_cbranch_execz .LBB33_1392
.LBB33_1391:
	v_bfe_u32 v12, v13, 8, 3
	v_ffbh_u32_e32 v15, v12
	v_min_u32_e32 v15, 32, v15
	v_lshrrev_b16_e32 v14, 3, v11
	v_subrev_u32_e32 v16, 28, v15
	v_and_b32_e32 v14, 15, v14
	v_lshlrev_b32_e32 v11, v16, v11
	v_sub_u32_e32 v15, 29, v15
	v_and_b32_e32 v11, 7, v11
	v_cmp_eq_u16_e32 vcc, 0, v14
	v_cndmask_b32_e32 v11, v12, v11, vcc
	v_cndmask_b32_e32 v12, v14, v15, vcc
	v_lshlrev_b32_e32 v14, 16, v13
	v_mov_b32_e32 v15, 0x3b800000
	v_lshlrev_b32_e32 v11, 20, v11
	v_and_b32_e32 v14, 0x80000000, v14
	v_lshl_add_u32 v12, v12, 23, v15
	v_or3_b32 v12, v14, v12, v11
.LBB33_1392:
	s_or_b64 exec, exec, s[6:7]
	s_nop 0
	v_mfma_f32_16x16x4f32 a[0:3], v10, v12, a[0:3]
	s_movk_i32 s4, 0xff
	v_and_b32_sdwa v11, v17, s4 dst_sel:DWORD dst_unused:UNUSED_PAD src0_sel:WORD_1 src1_sel:DWORD
	s_movk_i32 s4, 0x7f
	v_cmp_lt_i16_e32 vcc, s4, v11
	s_mov_b64 s[4:5], 0
                                        ; implicit-def: $sgpr10
	s_and_saveexec_b64 s[6:7], vcc
	s_xor_b64 s[6:7], exec, s[6:7]
	s_cbranch_execnz .LBB33_3441
; %bb.1393:
	s_or_saveexec_b64 s[6:7], s[6:7]
	v_mov_b32_e32 v10, s10
	s_xor_b64 exec, exec, s[6:7]
	s_cbranch_execnz .LBB33_3444
.LBB33_1394:
	s_or_b64 exec, exec, s[6:7]
	s_and_saveexec_b64 s[6:7], s[4:5]
	s_cbranch_execz .LBB33_1396
.LBB33_1395:
	v_bfe_u32 v10, v17, 16, 3
	v_ffbh_u32_e32 v14, v10
	v_min_u32_e32 v14, 32, v14
	v_lshrrev_b32_e32 v11, 19, v17
	v_subrev_u32_e32 v15, 28, v14
	v_and_b32_e32 v11, 15, v11
	v_lshlrev_b32_sdwa v15, v15, v17 dst_sel:DWORD dst_unused:UNUSED_PAD src0_sel:DWORD src1_sel:WORD_1
	v_bfe_u32 v12, v17, 19, 4
	v_sub_u32_e32 v14, 29, v14
	v_and_b32_e32 v15, 7, v15
	v_cmp_eq_u16_e32 vcc, 0, v11
	v_cndmask_b32_e32 v10, v10, v15, vcc
	v_cndmask_b32_e32 v11, v12, v14, vcc
	v_lshlrev_b32_e32 v12, 8, v17
	v_mov_b32_e32 v14, 0x3b800000
	v_lshlrev_b32_e32 v10, 20, v10
	v_and_b32_e32 v12, 0x80000000, v12
	v_lshl_add_u32 v11, v11, 23, v14
	v_or3_b32 v10, v12, v11, v10
.LBB33_1396:
	s_or_b64 exec, exec, s[6:7]
	s_movk_i32 s4, 0xff
	v_and_b32_sdwa v11, v13, s4 dst_sel:DWORD dst_unused:UNUSED_PAD src0_sel:WORD_1 src1_sel:DWORD
	s_movk_i32 s4, 0x7f
	v_cmp_lt_i16_e32 vcc, s4, v11
	s_mov_b64 s[4:5], 0
                                        ; implicit-def: $sgpr10
	s_and_saveexec_b64 s[6:7], vcc
	s_xor_b64 s[6:7], exec, s[6:7]
	s_cbranch_execnz .LBB33_3445
; %bb.1397:
	s_or_saveexec_b64 s[6:7], s[6:7]
	v_mov_b32_e32 v12, s10
	s_xor_b64 exec, exec, s[6:7]
	s_cbranch_execnz .LBB33_3448
.LBB33_1398:
	s_or_b64 exec, exec, s[6:7]
	s_and_saveexec_b64 s[6:7], s[4:5]
	s_cbranch_execz .LBB33_1400
.LBB33_1399:
	v_bfe_u32 v11, v13, 16, 3
	v_ffbh_u32_e32 v15, v11
	v_min_u32_e32 v15, 32, v15
	v_lshrrev_b32_e32 v12, 19, v13
	v_subrev_u32_e32 v16, 28, v15
	v_and_b32_e32 v12, 15, v12
	v_lshlrev_b32_sdwa v16, v16, v13 dst_sel:DWORD dst_unused:UNUSED_PAD src0_sel:DWORD src1_sel:WORD_1
	v_bfe_u32 v14, v13, 19, 4
	v_sub_u32_e32 v15, 29, v15
	v_and_b32_e32 v16, 7, v16
	v_cmp_eq_u16_e32 vcc, 0, v12
	v_cndmask_b32_e32 v11, v11, v16, vcc
	v_cndmask_b32_e32 v12, v14, v15, vcc
	v_lshlrev_b32_e32 v14, 8, v13
	v_mov_b32_e32 v15, 0x3b800000
	v_lshlrev_b32_e32 v11, 20, v11
	v_and_b32_e32 v14, 0x80000000, v14
	v_lshl_add_u32 v12, v12, 23, v15
	v_or3_b32 v12, v14, v12, v11
.LBB33_1400:
	s_or_b64 exec, exec, s[6:7]
	s_nop 0
	v_mfma_f32_16x16x4f32 a[0:3], v10, v12, a[0:3]
	s_movk_i32 s4, 0x7f
	v_cmp_gt_i16_sdwa s[6:7], v17, s4 src0_sel:BYTE_3 src1_sel:DWORD
	s_mov_b64 s[4:5], 0
                                        ; implicit-def: $sgpr10
	s_and_saveexec_b64 s[8:9], s[6:7]
	s_xor_b64 s[6:7], exec, s[8:9]
	s_cbranch_execnz .LBB33_3449
; %bb.1401:
	s_or_saveexec_b64 s[6:7], s[6:7]
	v_mov_b32_e32 v10, s10
	s_xor_b64 exec, exec, s[6:7]
	s_cbranch_execnz .LBB33_3452
.LBB33_1402:
	s_or_b64 exec, exec, s[6:7]
	s_and_saveexec_b64 s[6:7], s[4:5]
	s_cbranch_execz .LBB33_1404
.LBB33_1403:
	v_bfe_u32 v10, v17, 24, 3
	v_ffbh_u32_e32 v15, v10
	v_min_u32_e32 v15, 32, v15
	v_lshrrev_b32_e32 v12, 27, v17
	v_subrev_u32_e32 v16, 28, v15
	v_and_b32_e32 v12, 15, v12
	v_lshlrev_b32_sdwa v16, v16, v17 dst_sel:DWORD dst_unused:UNUSED_PAD src0_sel:DWORD src1_sel:BYTE_3
	v_bfe_u32 v14, v17, 27, 4
	v_sub_u32_e32 v15, 29, v15
	v_and_b32_e32 v16, 7, v16
	v_cmp_eq_u16_e32 vcc, 0, v12
	v_cndmask_b32_e32 v10, v10, v16, vcc
	v_cndmask_b32_e32 v12, v14, v15, vcc
	v_mov_b32_e32 v14, 0x3b800000
	v_and_b32_e32 v11, 0x80000000, v17
	v_lshlrev_b32_e32 v10, 20, v10
	v_lshl_add_u32 v12, v12, 23, v14
	v_or3_b32 v10, v11, v12, v10
.LBB33_1404:
	s_or_b64 exec, exec, s[6:7]
	s_movk_i32 s4, 0x7f
	v_cmp_gt_i16_sdwa s[6:7], v13, s4 src0_sel:BYTE_3 src1_sel:DWORD
	s_mov_b64 s[4:5], 0
                                        ; implicit-def: $sgpr10
	s_and_saveexec_b64 s[8:9], s[6:7]
	s_xor_b64 s[6:7], exec, s[8:9]
	s_cbranch_execnz .LBB33_3453
; %bb.1405:
	s_or_saveexec_b64 s[6:7], s[6:7]
	v_mov_b32_e32 v11, s10
	s_xor_b64 exec, exec, s[6:7]
	s_cbranch_execnz .LBB33_3456
.LBB33_1406:
	s_or_b64 exec, exec, s[6:7]
	s_and_saveexec_b64 s[6:7], s[4:5]
	s_cbranch_execz .LBB33_1408
.LBB33_1407:
	v_bfe_u32 v11, v13, 24, 3
	v_ffbh_u32_e32 v16, v11
	v_min_u32_e32 v16, 32, v16
	v_lshrrev_b32_e32 v14, 27, v13
	v_subrev_u32_e32 v17, 28, v16
	v_and_b32_e32 v12, 0x80000000, v13
	v_and_b32_e32 v14, 15, v14
	v_bfe_u32 v15, v13, 27, 4
	v_lshlrev_b32_sdwa v13, v17, v13 dst_sel:DWORD dst_unused:UNUSED_PAD src0_sel:DWORD src1_sel:BYTE_3
	v_sub_u32_e32 v16, 29, v16
	v_and_b32_e32 v13, 7, v13
	v_cmp_eq_u16_e32 vcc, 0, v14
	v_cndmask_b32_e32 v11, v11, v13, vcc
	v_cndmask_b32_e32 v13, v15, v16, vcc
	v_mov_b32_e32 v14, 0x3b800000
	v_lshlrev_b32_e32 v11, 20, v11
	v_lshl_add_u32 v13, v13, 23, v14
	v_or3_b32 v11, v12, v13, v11
.LBB33_1408:
	s_or_b64 exec, exec, s[6:7]
	s_nop 0
	v_mfma_f32_16x16x4f32 a[0:3], v10, v11, a[0:3]
	s_movk_i32 s4, 0x7f
	v_cmp_gt_i16_sdwa s[6:7], v6, s4 src0_sel:BYTE_0 src1_sel:DWORD
	s_mov_b64 s[4:5], 0
                                        ; implicit-def: $sgpr10
	s_and_saveexec_b64 s[8:9], s[6:7]
	s_xor_b64 s[6:7], exec, s[8:9]
	s_cbranch_execnz .LBB33_3457
; %bb.1409:
	s_or_saveexec_b64 s[6:7], s[6:7]
	v_mov_b32_e32 v10, s10
	s_xor_b64 exec, exec, s[6:7]
	s_cbranch_execnz .LBB33_3460
.LBB33_1410:
	s_or_b64 exec, exec, s[6:7]
	s_and_saveexec_b64 s[6:7], s[4:5]
	s_cbranch_execz .LBB33_1412
.LBB33_1411:
	v_and_b32_e32 v10, 7, v6
	v_ffbh_u32_e32 v12, v10
	v_min_u32_e32 v12, 32, v12
	v_lshrrev_b16_e32 v11, 3, v6
	v_subrev_u32_e32 v13, 28, v12
	v_and_b32_e32 v11, 15, v11
	v_lshlrev_b32_e32 v13, v13, v6
	v_sub_u32_e32 v12, 29, v12
	v_and_b32_e32 v13, 7, v13
	v_cmp_eq_u16_e32 vcc, 0, v11
	v_cndmask_b32_e32 v10, v10, v13, vcc
	v_cndmask_b32_e32 v11, v11, v12, vcc
	v_lshlrev_b32_e32 v12, 24, v6
	v_mov_b32_e32 v13, 0x3b800000
	v_lshlrev_b32_e32 v10, 20, v10
	v_and_b32_e32 v12, 0x80000000, v12
	v_lshl_add_u32 v11, v11, 23, v13
	v_or3_b32 v10, v12, v11, v10
.LBB33_1412:
	s_or_b64 exec, exec, s[6:7]
	s_movk_i32 s4, 0x7f
	v_cmp_gt_i16_sdwa s[6:7], v2, s4 src0_sel:BYTE_0 src1_sel:DWORD
	s_mov_b64 s[4:5], 0
                                        ; implicit-def: $sgpr10
	s_and_saveexec_b64 s[8:9], s[6:7]
	s_xor_b64 s[6:7], exec, s[8:9]
	s_cbranch_execnz .LBB33_3461
; %bb.1413:
	s_or_saveexec_b64 s[6:7], s[6:7]
	v_mov_b32_e32 v11, s10
	s_xor_b64 exec, exec, s[6:7]
	s_cbranch_execnz .LBB33_3464
.LBB33_1414:
	s_or_b64 exec, exec, s[6:7]
	s_and_saveexec_b64 s[6:7], s[4:5]
	s_cbranch_execz .LBB33_1416
.LBB33_1415:
	v_and_b32_e32 v11, 7, v2
	v_ffbh_u32_e32 v13, v11
	v_min_u32_e32 v13, 32, v13
	v_lshrrev_b16_e32 v12, 3, v2
	v_subrev_u32_e32 v14, 28, v13
	v_and_b32_e32 v12, 15, v12
	v_lshlrev_b32_e32 v14, v14, v2
	v_sub_u32_e32 v13, 29, v13
	v_and_b32_e32 v14, 7, v14
	v_cmp_eq_u16_e32 vcc, 0, v12
	v_cndmask_b32_e32 v11, v11, v14, vcc
	v_cndmask_b32_e32 v12, v12, v13, vcc
	v_lshlrev_b32_e32 v13, 24, v2
	v_mov_b32_e32 v14, 0x3b800000
	v_lshlrev_b32_e32 v11, 20, v11
	v_and_b32_e32 v13, 0x80000000, v13
	v_lshl_add_u32 v12, v12, 23, v14
	v_or3_b32 v11, v13, v12, v11
.LBB33_1416:
	s_or_b64 exec, exec, s[6:7]
	s_nop 0
	v_mfma_f32_16x16x4f32 a[0:3], v10, v11, a[0:3]
	v_lshrrev_b32_e32 v11, 8, v6
	s_movk_i32 s4, 0x7f
	v_cmp_gt_i16_sdwa s[6:7], v11, s4 src0_sel:BYTE_0 src1_sel:DWORD
	s_mov_b64 s[4:5], 0
                                        ; implicit-def: $sgpr10
	s_and_saveexec_b64 s[8:9], s[6:7]
	s_xor_b64 s[6:7], exec, s[8:9]
	s_cbranch_execnz .LBB33_3465
; %bb.1417:
	s_or_saveexec_b64 s[6:7], s[6:7]
	v_mov_b32_e32 v10, s10
	s_xor_b64 exec, exec, s[6:7]
	s_cbranch_execnz .LBB33_3468
.LBB33_1418:
	s_or_b64 exec, exec, s[6:7]
	s_and_saveexec_b64 s[6:7], s[4:5]
	s_cbranch_execz .LBB33_1420
.LBB33_1419:
	v_bfe_u32 v10, v6, 8, 3
	v_ffbh_u32_e32 v13, v10
	v_min_u32_e32 v13, 32, v13
	v_lshrrev_b16_e32 v12, 3, v11
	v_subrev_u32_e32 v14, 28, v13
	v_and_b32_e32 v12, 15, v12
	v_lshlrev_b32_e32 v11, v14, v11
	v_sub_u32_e32 v13, 29, v13
	v_and_b32_e32 v11, 7, v11
	v_cmp_eq_u16_e32 vcc, 0, v12
	v_cndmask_b32_e32 v10, v10, v11, vcc
	v_cndmask_b32_e32 v11, v12, v13, vcc
	v_lshlrev_b32_e32 v12, 16, v6
	v_mov_b32_e32 v13, 0x3b800000
	v_lshlrev_b32_e32 v10, 20, v10
	v_and_b32_e32 v12, 0x80000000, v12
	v_lshl_add_u32 v11, v11, 23, v13
	v_or3_b32 v10, v12, v11, v10
.LBB33_1420:
	s_or_b64 exec, exec, s[6:7]
	v_lshrrev_b32_e32 v11, 8, v2
	s_movk_i32 s4, 0x7f
	v_cmp_gt_i16_sdwa s[6:7], v11, s4 src0_sel:BYTE_0 src1_sel:DWORD
	s_mov_b64 s[4:5], 0
                                        ; implicit-def: $sgpr10
	s_and_saveexec_b64 s[8:9], s[6:7]
	s_xor_b64 s[6:7], exec, s[8:9]
	s_cbranch_execnz .LBB33_3469
; %bb.1421:
	s_or_saveexec_b64 s[6:7], s[6:7]
	v_mov_b32_e32 v12, s10
	s_xor_b64 exec, exec, s[6:7]
	s_cbranch_execnz .LBB33_3472
.LBB33_1422:
	s_or_b64 exec, exec, s[6:7]
	s_and_saveexec_b64 s[6:7], s[4:5]
	s_cbranch_execz .LBB33_1424
.LBB33_1423:
	v_bfe_u32 v12, v2, 8, 3
	v_ffbh_u32_e32 v14, v12
	v_min_u32_e32 v14, 32, v14
	v_lshrrev_b16_e32 v13, 3, v11
	v_subrev_u32_e32 v15, 28, v14
	v_and_b32_e32 v13, 15, v13
	v_lshlrev_b32_e32 v11, v15, v11
	v_sub_u32_e32 v14, 29, v14
	v_and_b32_e32 v11, 7, v11
	v_cmp_eq_u16_e32 vcc, 0, v13
	v_cndmask_b32_e32 v11, v12, v11, vcc
	v_cndmask_b32_e32 v12, v13, v14, vcc
	v_lshlrev_b32_e32 v13, 16, v2
	v_mov_b32_e32 v14, 0x3b800000
	v_lshlrev_b32_e32 v11, 20, v11
	v_and_b32_e32 v13, 0x80000000, v13
	v_lshl_add_u32 v12, v12, 23, v14
	v_or3_b32 v12, v13, v12, v11
.LBB33_1424:
	s_or_b64 exec, exec, s[6:7]
	s_nop 0
	v_mfma_f32_16x16x4f32 a[0:3], v10, v12, a[0:3]
	s_movk_i32 s4, 0xff
	v_and_b32_sdwa v11, v6, s4 dst_sel:DWORD dst_unused:UNUSED_PAD src0_sel:WORD_1 src1_sel:DWORD
	s_movk_i32 s4, 0x7f
	v_cmp_lt_i16_e32 vcc, s4, v11
	s_mov_b64 s[4:5], 0
                                        ; implicit-def: $sgpr10
	s_and_saveexec_b64 s[6:7], vcc
	s_xor_b64 s[6:7], exec, s[6:7]
	s_cbranch_execnz .LBB33_3473
; %bb.1425:
	s_or_saveexec_b64 s[6:7], s[6:7]
	v_mov_b32_e32 v10, s10
	s_xor_b64 exec, exec, s[6:7]
	s_cbranch_execnz .LBB33_3476
.LBB33_1426:
	s_or_b64 exec, exec, s[6:7]
	s_and_saveexec_b64 s[6:7], s[4:5]
	s_cbranch_execz .LBB33_1428
.LBB33_1427:
	v_bfe_u32 v10, v6, 16, 3
	v_ffbh_u32_e32 v13, v10
	v_min_u32_e32 v13, 32, v13
	v_lshrrev_b32_e32 v11, 19, v6
	v_subrev_u32_e32 v14, 28, v13
	v_and_b32_e32 v11, 15, v11
	v_lshlrev_b32_sdwa v14, v14, v6 dst_sel:DWORD dst_unused:UNUSED_PAD src0_sel:DWORD src1_sel:WORD_1
	v_bfe_u32 v12, v6, 19, 4
	v_sub_u32_e32 v13, 29, v13
	v_and_b32_e32 v14, 7, v14
	v_cmp_eq_u16_e32 vcc, 0, v11
	v_cndmask_b32_e32 v10, v10, v14, vcc
	v_cndmask_b32_e32 v11, v12, v13, vcc
	v_lshlrev_b32_e32 v12, 8, v6
	v_mov_b32_e32 v13, 0x3b800000
	v_lshlrev_b32_e32 v10, 20, v10
	v_and_b32_e32 v12, 0x80000000, v12
	v_lshl_add_u32 v11, v11, 23, v13
	v_or3_b32 v10, v12, v11, v10
.LBB33_1428:
	s_or_b64 exec, exec, s[6:7]
	s_movk_i32 s4, 0xff
	v_and_b32_sdwa v11, v2, s4 dst_sel:DWORD dst_unused:UNUSED_PAD src0_sel:WORD_1 src1_sel:DWORD
	s_movk_i32 s4, 0x7f
	v_cmp_lt_i16_e32 vcc, s4, v11
	s_mov_b64 s[4:5], 0
                                        ; implicit-def: $sgpr10
	s_and_saveexec_b64 s[6:7], vcc
	s_xor_b64 s[6:7], exec, s[6:7]
	s_cbranch_execnz .LBB33_3477
; %bb.1429:
	s_or_saveexec_b64 s[6:7], s[6:7]
	v_mov_b32_e32 v12, s10
	s_xor_b64 exec, exec, s[6:7]
	s_cbranch_execnz .LBB33_3480
.LBB33_1430:
	s_or_b64 exec, exec, s[6:7]
	s_and_saveexec_b64 s[6:7], s[4:5]
	s_cbranch_execz .LBB33_1432
.LBB33_1431:
	v_bfe_u32 v11, v2, 16, 3
	v_ffbh_u32_e32 v14, v11
	v_min_u32_e32 v14, 32, v14
	v_lshrrev_b32_e32 v12, 19, v2
	v_subrev_u32_e32 v15, 28, v14
	v_and_b32_e32 v12, 15, v12
	v_lshlrev_b32_sdwa v15, v15, v2 dst_sel:DWORD dst_unused:UNUSED_PAD src0_sel:DWORD src1_sel:WORD_1
	v_bfe_u32 v13, v2, 19, 4
	v_sub_u32_e32 v14, 29, v14
	v_and_b32_e32 v15, 7, v15
	v_cmp_eq_u16_e32 vcc, 0, v12
	v_cndmask_b32_e32 v11, v11, v15, vcc
	v_cndmask_b32_e32 v12, v13, v14, vcc
	v_lshlrev_b32_e32 v13, 8, v2
	v_mov_b32_e32 v14, 0x3b800000
	v_lshlrev_b32_e32 v11, 20, v11
	v_and_b32_e32 v13, 0x80000000, v13
	v_lshl_add_u32 v12, v12, 23, v14
	v_or3_b32 v12, v13, v12, v11
.LBB33_1432:
	s_or_b64 exec, exec, s[6:7]
	s_nop 0
	v_mfma_f32_16x16x4f32 a[0:3], v10, v12, a[0:3]
	s_movk_i32 s4, 0x7f
	v_cmp_gt_i16_sdwa s[6:7], v6, s4 src0_sel:BYTE_3 src1_sel:DWORD
	s_mov_b64 s[4:5], 0
                                        ; implicit-def: $sgpr10
	s_and_saveexec_b64 s[8:9], s[6:7]
	s_xor_b64 s[6:7], exec, s[8:9]
	s_cbranch_execnz .LBB33_3481
; %bb.1433:
	s_or_saveexec_b64 s[6:7], s[6:7]
	v_mov_b32_e32 v10, s10
	s_xor_b64 exec, exec, s[6:7]
	s_cbranch_execnz .LBB33_3484
.LBB33_1434:
	s_or_b64 exec, exec, s[6:7]
	s_and_saveexec_b64 s[6:7], s[4:5]
	s_cbranch_execz .LBB33_1436
.LBB33_1435:
	v_bfe_u32 v10, v6, 24, 3
	v_ffbh_u32_e32 v14, v10
	v_min_u32_e32 v14, 32, v14
	v_lshrrev_b32_e32 v12, 27, v6
	v_subrev_u32_e32 v15, 28, v14
	v_and_b32_e32 v11, 0x80000000, v6
	v_and_b32_e32 v12, 15, v12
	v_bfe_u32 v13, v6, 27, 4
	v_lshlrev_b32_sdwa v6, v15, v6 dst_sel:DWORD dst_unused:UNUSED_PAD src0_sel:DWORD src1_sel:BYTE_3
	v_sub_u32_e32 v14, 29, v14
	v_and_b32_e32 v6, 7, v6
	v_cmp_eq_u16_e32 vcc, 0, v12
	v_cndmask_b32_e32 v6, v10, v6, vcc
	v_cndmask_b32_e32 v10, v13, v14, vcc
	v_mov_b32_e32 v12, 0x3b800000
	v_lshlrev_b32_e32 v6, 20, v6
	v_lshl_add_u32 v10, v10, 23, v12
	v_or3_b32 v10, v11, v10, v6
.LBB33_1436:
	s_or_b64 exec, exec, s[6:7]
	s_movk_i32 s4, 0x7f
	v_cmp_gt_i16_sdwa s[6:7], v2, s4 src0_sel:BYTE_3 src1_sel:DWORD
	s_mov_b64 s[4:5], 0
                                        ; implicit-def: $sgpr10
	s_and_saveexec_b64 s[8:9], s[6:7]
	s_xor_b64 s[6:7], exec, s[8:9]
	s_cbranch_execnz .LBB33_3485
; %bb.1437:
	s_or_saveexec_b64 s[6:7], s[6:7]
	v_mov_b32_e32 v6, s10
	s_xor_b64 exec, exec, s[6:7]
	s_cbranch_execnz .LBB33_3488
.LBB33_1438:
	s_or_b64 exec, exec, s[6:7]
	s_and_saveexec_b64 s[6:7], s[4:5]
	s_cbranch_execz .LBB33_1440
.LBB33_1439:
	v_bfe_u32 v6, v2, 24, 3
	v_ffbh_u32_e32 v14, v6
	v_min_u32_e32 v14, 32, v14
	v_lshrrev_b32_e32 v12, 27, v2
	v_subrev_u32_e32 v15, 28, v14
	v_and_b32_e32 v11, 0x80000000, v2
	v_and_b32_e32 v12, 15, v12
	v_bfe_u32 v13, v2, 27, 4
	v_lshlrev_b32_sdwa v2, v15, v2 dst_sel:DWORD dst_unused:UNUSED_PAD src0_sel:DWORD src1_sel:BYTE_3
	v_sub_u32_e32 v14, 29, v14
	v_and_b32_e32 v2, 7, v2
	v_cmp_eq_u16_e32 vcc, 0, v12
	v_cndmask_b32_e32 v2, v6, v2, vcc
	v_cndmask_b32_e32 v6, v13, v14, vcc
	v_mov_b32_e32 v12, 0x3b800000
	v_lshlrev_b32_e32 v2, 20, v2
	v_lshl_add_u32 v6, v6, 23, v12
	v_or3_b32 v6, v11, v6, v2
.LBB33_1440:
	s_or_b64 exec, exec, s[6:7]
	s_nop 0
	v_mfma_f32_16x16x4f32 a[0:3], v10, v6, a[0:3]
	s_movk_i32 s4, 0x7f
	v_cmp_gt_i16_sdwa s[6:7], v7, s4 src0_sel:BYTE_0 src1_sel:DWORD
	s_mov_b64 s[4:5], 0
                                        ; implicit-def: $sgpr10
	s_and_saveexec_b64 s[8:9], s[6:7]
	s_xor_b64 s[6:7], exec, s[8:9]
	s_cbranch_execnz .LBB33_3489
; %bb.1441:
	s_or_saveexec_b64 s[6:7], s[6:7]
	v_mov_b32_e32 v2, s10
	s_xor_b64 exec, exec, s[6:7]
	s_cbranch_execnz .LBB33_3492
.LBB33_1442:
	s_or_b64 exec, exec, s[6:7]
	s_and_saveexec_b64 s[6:7], s[4:5]
	s_cbranch_execz .LBB33_1444
.LBB33_1443:
	v_and_b32_e32 v2, 7, v7
	v_ffbh_u32_e32 v10, v2
	v_min_u32_e32 v10, 32, v10
	v_lshrrev_b16_e32 v6, 3, v7
	v_subrev_u32_e32 v11, 28, v10
	v_and_b32_e32 v6, 15, v6
	v_lshlrev_b32_e32 v11, v11, v7
	v_sub_u32_e32 v10, 29, v10
	v_and_b32_e32 v11, 7, v11
	v_cmp_eq_u16_e32 vcc, 0, v6
	v_cndmask_b32_e32 v2, v2, v11, vcc
	v_cndmask_b32_e32 v6, v6, v10, vcc
	v_lshlrev_b32_e32 v10, 24, v7
	v_mov_b32_e32 v11, 0x3b800000
	v_lshlrev_b32_e32 v2, 20, v2
	v_and_b32_e32 v10, 0x80000000, v10
	v_lshl_add_u32 v6, v6, 23, v11
	v_or3_b32 v2, v10, v6, v2
.LBB33_1444:
	s_or_b64 exec, exec, s[6:7]
	s_movk_i32 s4, 0x7f
	v_cmp_gt_i16_sdwa s[6:7], v3, s4 src0_sel:BYTE_0 src1_sel:DWORD
	s_mov_b64 s[4:5], 0
                                        ; implicit-def: $sgpr10
	s_and_saveexec_b64 s[8:9], s[6:7]
	s_xor_b64 s[6:7], exec, s[8:9]
	s_cbranch_execnz .LBB33_3493
; %bb.1445:
	s_or_saveexec_b64 s[6:7], s[6:7]
	v_mov_b32_e32 v6, s10
	s_xor_b64 exec, exec, s[6:7]
	s_cbranch_execnz .LBB33_3496
.LBB33_1446:
	s_or_b64 exec, exec, s[6:7]
	s_and_saveexec_b64 s[6:7], s[4:5]
	s_cbranch_execz .LBB33_1448
.LBB33_1447:
	v_and_b32_e32 v6, 7, v3
	v_ffbh_u32_e32 v11, v6
	v_min_u32_e32 v11, 32, v11
	v_lshrrev_b16_e32 v10, 3, v3
	v_subrev_u32_e32 v12, 28, v11
	v_and_b32_e32 v10, 15, v10
	v_lshlrev_b32_e32 v12, v12, v3
	v_sub_u32_e32 v11, 29, v11
	v_and_b32_e32 v12, 7, v12
	v_cmp_eq_u16_e32 vcc, 0, v10
	v_cndmask_b32_e32 v6, v6, v12, vcc
	v_cndmask_b32_e32 v10, v10, v11, vcc
	v_lshlrev_b32_e32 v11, 24, v3
	v_mov_b32_e32 v12, 0x3b800000
	v_lshlrev_b32_e32 v6, 20, v6
	v_and_b32_e32 v11, 0x80000000, v11
	v_lshl_add_u32 v10, v10, 23, v12
	v_or3_b32 v6, v11, v10, v6
.LBB33_1448:
	s_or_b64 exec, exec, s[6:7]
	s_nop 0
	v_mfma_f32_16x16x4f32 a[0:3], v2, v6, a[0:3]
	v_lshrrev_b32_e32 v6, 8, v7
	s_movk_i32 s4, 0x7f
	v_cmp_gt_i16_sdwa s[6:7], v6, s4 src0_sel:BYTE_0 src1_sel:DWORD
	s_mov_b64 s[4:5], 0
                                        ; implicit-def: $sgpr10
	s_and_saveexec_b64 s[8:9], s[6:7]
	s_xor_b64 s[6:7], exec, s[8:9]
	s_cbranch_execnz .LBB33_3497
; %bb.1449:
	s_or_saveexec_b64 s[6:7], s[6:7]
	v_mov_b32_e32 v2, s10
	s_xor_b64 exec, exec, s[6:7]
	s_cbranch_execnz .LBB33_3500
.LBB33_1450:
	s_or_b64 exec, exec, s[6:7]
	s_and_saveexec_b64 s[6:7], s[4:5]
	s_cbranch_execz .LBB33_1452
.LBB33_1451:
	v_bfe_u32 v2, v7, 8, 3
	v_ffbh_u32_e32 v11, v2
	v_min_u32_e32 v11, 32, v11
	v_lshrrev_b16_e32 v10, 3, v6
	v_subrev_u32_e32 v12, 28, v11
	v_and_b32_e32 v10, 15, v10
	v_lshlrev_b32_e32 v6, v12, v6
	v_sub_u32_e32 v11, 29, v11
	v_and_b32_e32 v6, 7, v6
	v_cmp_eq_u16_e32 vcc, 0, v10
	v_cndmask_b32_e32 v2, v2, v6, vcc
	v_cndmask_b32_e32 v6, v10, v11, vcc
	v_lshlrev_b32_e32 v10, 16, v7
	v_mov_b32_e32 v11, 0x3b800000
	v_lshlrev_b32_e32 v2, 20, v2
	v_and_b32_e32 v10, 0x80000000, v10
	v_lshl_add_u32 v6, v6, 23, v11
	v_or3_b32 v2, v10, v6, v2
.LBB33_1452:
	s_or_b64 exec, exec, s[6:7]
	v_lshrrev_b32_e32 v6, 8, v3
	s_movk_i32 s4, 0x7f
	v_cmp_gt_i16_sdwa s[6:7], v6, s4 src0_sel:BYTE_0 src1_sel:DWORD
	s_mov_b64 s[4:5], 0
                                        ; implicit-def: $sgpr10
	s_and_saveexec_b64 s[8:9], s[6:7]
	s_xor_b64 s[6:7], exec, s[8:9]
	s_cbranch_execnz .LBB33_3501
; %bb.1453:
	s_or_saveexec_b64 s[6:7], s[6:7]
	v_mov_b32_e32 v10, s10
	s_xor_b64 exec, exec, s[6:7]
	s_cbranch_execnz .LBB33_3504
.LBB33_1454:
	s_or_b64 exec, exec, s[6:7]
	s_and_saveexec_b64 s[6:7], s[4:5]
	s_cbranch_execz .LBB33_1456
.LBB33_1455:
	v_bfe_u32 v10, v3, 8, 3
	v_ffbh_u32_e32 v12, v10
	v_min_u32_e32 v12, 32, v12
	v_lshrrev_b16_e32 v11, 3, v6
	v_subrev_u32_e32 v13, 28, v12
	v_and_b32_e32 v11, 15, v11
	v_lshlrev_b32_e32 v6, v13, v6
	v_sub_u32_e32 v12, 29, v12
	v_and_b32_e32 v6, 7, v6
	v_cmp_eq_u16_e32 vcc, 0, v11
	v_cndmask_b32_e32 v6, v10, v6, vcc
	v_cndmask_b32_e32 v10, v11, v12, vcc
	v_lshlrev_b32_e32 v11, 16, v3
	v_mov_b32_e32 v12, 0x3b800000
	v_lshlrev_b32_e32 v6, 20, v6
	v_and_b32_e32 v11, 0x80000000, v11
	v_lshl_add_u32 v10, v10, 23, v12
	v_or3_b32 v10, v11, v10, v6
.LBB33_1456:
	s_or_b64 exec, exec, s[6:7]
	s_nop 0
	v_mfma_f32_16x16x4f32 a[0:3], v2, v10, a[0:3]
	s_movk_i32 s4, 0xff
	v_and_b32_sdwa v6, v7, s4 dst_sel:DWORD dst_unused:UNUSED_PAD src0_sel:WORD_1 src1_sel:DWORD
	s_movk_i32 s4, 0x7f
	v_cmp_lt_i16_e32 vcc, s4, v6
	s_mov_b64 s[4:5], 0
                                        ; implicit-def: $sgpr10
	s_and_saveexec_b64 s[6:7], vcc
	s_xor_b64 s[6:7], exec, s[6:7]
	s_cbranch_execnz .LBB33_3505
; %bb.1457:
	s_or_saveexec_b64 s[6:7], s[6:7]
	v_mov_b32_e32 v2, s10
	s_xor_b64 exec, exec, s[6:7]
	s_cbranch_execnz .LBB33_3508
.LBB33_1458:
	s_or_b64 exec, exec, s[6:7]
	s_and_saveexec_b64 s[6:7], s[4:5]
	s_cbranch_execz .LBB33_1460
.LBB33_1459:
	v_bfe_u32 v2, v7, 16, 3
	v_ffbh_u32_e32 v11, v2
	v_min_u32_e32 v11, 32, v11
	v_lshrrev_b32_e32 v6, 19, v7
	v_subrev_u32_e32 v12, 28, v11
	v_and_b32_e32 v6, 15, v6
	v_lshlrev_b32_sdwa v12, v12, v7 dst_sel:DWORD dst_unused:UNUSED_PAD src0_sel:DWORD src1_sel:WORD_1
	v_bfe_u32 v10, v7, 19, 4
	v_sub_u32_e32 v11, 29, v11
	v_and_b32_e32 v12, 7, v12
	v_cmp_eq_u16_e32 vcc, 0, v6
	v_cndmask_b32_e32 v2, v2, v12, vcc
	v_cndmask_b32_e32 v6, v10, v11, vcc
	v_lshlrev_b32_e32 v10, 8, v7
	v_mov_b32_e32 v11, 0x3b800000
	v_lshlrev_b32_e32 v2, 20, v2
	v_and_b32_e32 v10, 0x80000000, v10
	v_lshl_add_u32 v6, v6, 23, v11
	v_or3_b32 v2, v10, v6, v2
.LBB33_1460:
	s_or_b64 exec, exec, s[6:7]
	s_movk_i32 s4, 0xff
	v_and_b32_sdwa v6, v3, s4 dst_sel:DWORD dst_unused:UNUSED_PAD src0_sel:WORD_1 src1_sel:DWORD
	s_movk_i32 s4, 0x7f
	v_cmp_lt_i16_e32 vcc, s4, v6
	s_mov_b64 s[4:5], 0
                                        ; implicit-def: $sgpr10
	s_and_saveexec_b64 s[6:7], vcc
	s_xor_b64 s[6:7], exec, s[6:7]
	s_cbranch_execnz .LBB33_3509
; %bb.1461:
	s_or_saveexec_b64 s[6:7], s[6:7]
	v_mov_b32_e32 v10, s10
	s_xor_b64 exec, exec, s[6:7]
	s_cbranch_execnz .LBB33_3512
.LBB33_1462:
	s_or_b64 exec, exec, s[6:7]
	s_and_saveexec_b64 s[6:7], s[4:5]
	s_cbranch_execz .LBB33_1464
.LBB33_1463:
	v_bfe_u32 v6, v3, 16, 3
	v_ffbh_u32_e32 v12, v6
	v_min_u32_e32 v12, 32, v12
	v_lshrrev_b32_e32 v10, 19, v3
	v_subrev_u32_e32 v13, 28, v12
	v_and_b32_e32 v10, 15, v10
	v_lshlrev_b32_sdwa v13, v13, v3 dst_sel:DWORD dst_unused:UNUSED_PAD src0_sel:DWORD src1_sel:WORD_1
	v_bfe_u32 v11, v3, 19, 4
	v_sub_u32_e32 v12, 29, v12
	v_and_b32_e32 v13, 7, v13
	v_cmp_eq_u16_e32 vcc, 0, v10
	v_cndmask_b32_e32 v6, v6, v13, vcc
	v_cndmask_b32_e32 v10, v11, v12, vcc
	v_lshlrev_b32_e32 v11, 8, v3
	v_mov_b32_e32 v12, 0x3b800000
	v_lshlrev_b32_e32 v6, 20, v6
	v_and_b32_e32 v11, 0x80000000, v11
	v_lshl_add_u32 v10, v10, 23, v12
	v_or3_b32 v10, v11, v10, v6
.LBB33_1464:
	s_or_b64 exec, exec, s[6:7]
	s_nop 0
	v_mfma_f32_16x16x4f32 a[0:3], v2, v10, a[0:3]
	s_movk_i32 s4, 0x7f
	v_cmp_gt_i16_sdwa s[6:7], v7, s4 src0_sel:BYTE_3 src1_sel:DWORD
	s_mov_b64 s[4:5], 0
                                        ; implicit-def: $sgpr10
	s_and_saveexec_b64 s[8:9], s[6:7]
	s_xor_b64 s[6:7], exec, s[8:9]
	s_cbranch_execnz .LBB33_3513
; %bb.1465:
	s_or_saveexec_b64 s[6:7], s[6:7]
	v_mov_b32_e32 v2, s10
	s_xor_b64 exec, exec, s[6:7]
	s_cbranch_execnz .LBB33_3516
.LBB33_1466:
	s_or_b64 exec, exec, s[6:7]
	s_and_saveexec_b64 s[6:7], s[4:5]
	s_cbranch_execz .LBB33_1468
.LBB33_1467:
	v_bfe_u32 v2, v7, 24, 3
	v_ffbh_u32_e32 v12, v2
	v_min_u32_e32 v12, 32, v12
	v_lshrrev_b32_e32 v10, 27, v7
	v_subrev_u32_e32 v13, 28, v12
	v_and_b32_e32 v6, 0x80000000, v7
	v_and_b32_e32 v10, 15, v10
	v_bfe_u32 v11, v7, 27, 4
	v_lshlrev_b32_sdwa v7, v13, v7 dst_sel:DWORD dst_unused:UNUSED_PAD src0_sel:DWORD src1_sel:BYTE_3
	v_sub_u32_e32 v12, 29, v12
	v_and_b32_e32 v7, 7, v7
	v_cmp_eq_u16_e32 vcc, 0, v10
	v_cndmask_b32_e32 v2, v2, v7, vcc
	v_cndmask_b32_e32 v7, v11, v12, vcc
	v_mov_b32_e32 v10, 0x3b800000
	v_lshlrev_b32_e32 v2, 20, v2
	v_lshl_add_u32 v7, v7, 23, v10
	v_or3_b32 v2, v6, v7, v2
.LBB33_1468:
	s_or_b64 exec, exec, s[6:7]
	s_movk_i32 s4, 0x7f
	v_cmp_gt_i16_sdwa s[6:7], v3, s4 src0_sel:BYTE_3 src1_sel:DWORD
	s_mov_b64 s[4:5], 0
                                        ; implicit-def: $sgpr10
	s_and_saveexec_b64 s[8:9], s[6:7]
	s_xor_b64 s[6:7], exec, s[8:9]
	s_cbranch_execnz .LBB33_3517
; %bb.1469:
	s_or_saveexec_b64 s[6:7], s[6:7]
	v_mov_b32_e32 v6, s10
	s_xor_b64 exec, exec, s[6:7]
	s_cbranch_execnz .LBB33_3520
.LBB33_1470:
	s_or_b64 exec, exec, s[6:7]
	s_and_saveexec_b64 s[6:7], s[4:5]
	s_cbranch_execz .LBB33_1472
.LBB33_1471:
	v_bfe_u32 v6, v3, 24, 3
	v_ffbh_u32_e32 v12, v6
	v_min_u32_e32 v12, 32, v12
	v_lshrrev_b32_e32 v10, 27, v3
	v_subrev_u32_e32 v13, 28, v12
	v_and_b32_e32 v7, 0x80000000, v3
	v_and_b32_e32 v10, 15, v10
	v_bfe_u32 v11, v3, 27, 4
	v_lshlrev_b32_sdwa v3, v13, v3 dst_sel:DWORD dst_unused:UNUSED_PAD src0_sel:DWORD src1_sel:BYTE_3
	v_sub_u32_e32 v12, 29, v12
	v_and_b32_e32 v3, 7, v3
	v_cmp_eq_u16_e32 vcc, 0, v10
	v_cndmask_b32_e32 v3, v6, v3, vcc
	v_cndmask_b32_e32 v6, v11, v12, vcc
	v_mov_b32_e32 v10, 0x3b800000
	v_lshlrev_b32_e32 v3, 20, v3
	v_lshl_add_u32 v6, v6, 23, v10
	v_or3_b32 v6, v7, v6, v3
.LBB33_1472:
	s_or_b64 exec, exec, s[6:7]
	s_nop 0
	v_mfma_f32_16x16x4f32 a[0:3], v2, v6, a[0:3]
	s_movk_i32 s4, 0x7f
	v_cmp_gt_i16_sdwa s[6:7], v8, s4 src0_sel:BYTE_0 src1_sel:DWORD
	s_mov_b64 s[4:5], 0
                                        ; implicit-def: $sgpr10
	s_and_saveexec_b64 s[8:9], s[6:7]
	s_xor_b64 s[6:7], exec, s[8:9]
	s_cbranch_execnz .LBB33_3521
; %bb.1473:
	s_or_saveexec_b64 s[6:7], s[6:7]
	v_mov_b32_e32 v2, s10
	s_xor_b64 exec, exec, s[6:7]
	s_cbranch_execnz .LBB33_3524
.LBB33_1474:
	s_or_b64 exec, exec, s[6:7]
	s_and_saveexec_b64 s[6:7], s[4:5]
	s_cbranch_execz .LBB33_1476
.LBB33_1475:
	v_and_b32_e32 v2, 7, v8
	v_ffbh_u32_e32 v6, v2
	v_min_u32_e32 v6, 32, v6
	v_lshrrev_b16_e32 v3, 3, v8
	v_subrev_u32_e32 v7, 28, v6
	v_and_b32_e32 v3, 15, v3
	v_lshlrev_b32_e32 v7, v7, v8
	v_sub_u32_e32 v6, 29, v6
	v_and_b32_e32 v7, 7, v7
	v_cmp_eq_u16_e32 vcc, 0, v3
	v_cndmask_b32_e32 v2, v2, v7, vcc
	v_cndmask_b32_e32 v3, v3, v6, vcc
	v_lshlrev_b32_e32 v6, 24, v8
	v_mov_b32_e32 v7, 0x3b800000
	v_lshlrev_b32_e32 v2, 20, v2
	v_and_b32_e32 v6, 0x80000000, v6
	v_lshl_add_u32 v3, v3, 23, v7
	v_or3_b32 v2, v6, v3, v2
.LBB33_1476:
	s_or_b64 exec, exec, s[6:7]
	s_movk_i32 s4, 0x7f
	v_cmp_gt_i16_sdwa s[6:7], v4, s4 src0_sel:BYTE_0 src1_sel:DWORD
	s_mov_b64 s[4:5], 0
                                        ; implicit-def: $sgpr10
	s_and_saveexec_b64 s[8:9], s[6:7]
	s_xor_b64 s[6:7], exec, s[8:9]
	s_cbranch_execnz .LBB33_3525
; %bb.1477:
	s_or_saveexec_b64 s[6:7], s[6:7]
	v_mov_b32_e32 v3, s10
	s_xor_b64 exec, exec, s[6:7]
	s_cbranch_execnz .LBB33_3528
.LBB33_1478:
	s_or_b64 exec, exec, s[6:7]
	s_and_saveexec_b64 s[6:7], s[4:5]
	s_cbranch_execz .LBB33_1480
.LBB33_1479:
	v_and_b32_e32 v3, 7, v4
	v_ffbh_u32_e32 v7, v3
	v_min_u32_e32 v7, 32, v7
	v_lshrrev_b16_e32 v6, 3, v4
	v_subrev_u32_e32 v10, 28, v7
	v_and_b32_e32 v6, 15, v6
	v_lshlrev_b32_e32 v10, v10, v4
	v_sub_u32_e32 v7, 29, v7
	v_and_b32_e32 v10, 7, v10
	v_cmp_eq_u16_e32 vcc, 0, v6
	v_cndmask_b32_e32 v3, v3, v10, vcc
	v_cndmask_b32_e32 v6, v6, v7, vcc
	v_lshlrev_b32_e32 v7, 24, v4
	v_mov_b32_e32 v10, 0x3b800000
	v_lshlrev_b32_e32 v3, 20, v3
	v_and_b32_e32 v7, 0x80000000, v7
	v_lshl_add_u32 v6, v6, 23, v10
	v_or3_b32 v3, v7, v6, v3
.LBB33_1480:
	s_or_b64 exec, exec, s[6:7]
	s_nop 0
	v_mfma_f32_16x16x4f32 a[0:3], v2, v3, a[0:3]
	v_lshrrev_b32_e32 v3, 8, v8
	s_movk_i32 s4, 0x7f
	v_cmp_gt_i16_sdwa s[6:7], v3, s4 src0_sel:BYTE_0 src1_sel:DWORD
	s_mov_b64 s[4:5], 0
                                        ; implicit-def: $sgpr10
	s_and_saveexec_b64 s[8:9], s[6:7]
	s_xor_b64 s[6:7], exec, s[8:9]
	s_cbranch_execnz .LBB33_3529
; %bb.1481:
	s_or_saveexec_b64 s[6:7], s[6:7]
	v_mov_b32_e32 v2, s10
	s_xor_b64 exec, exec, s[6:7]
	s_cbranch_execnz .LBB33_3532
.LBB33_1482:
	s_or_b64 exec, exec, s[6:7]
	s_and_saveexec_b64 s[6:7], s[4:5]
	s_cbranch_execz .LBB33_1484
.LBB33_1483:
	v_bfe_u32 v2, v8, 8, 3
	v_ffbh_u32_e32 v7, v2
	v_min_u32_e32 v7, 32, v7
	v_lshrrev_b16_e32 v6, 3, v3
	v_subrev_u32_e32 v10, 28, v7
	v_and_b32_e32 v6, 15, v6
	v_lshlrev_b32_e32 v3, v10, v3
	v_sub_u32_e32 v7, 29, v7
	v_and_b32_e32 v3, 7, v3
	v_cmp_eq_u16_e32 vcc, 0, v6
	v_cndmask_b32_e32 v2, v2, v3, vcc
	v_cndmask_b32_e32 v3, v6, v7, vcc
	v_lshlrev_b32_e32 v6, 16, v8
	v_mov_b32_e32 v7, 0x3b800000
	v_lshlrev_b32_e32 v2, 20, v2
	v_and_b32_e32 v6, 0x80000000, v6
	v_lshl_add_u32 v3, v3, 23, v7
	v_or3_b32 v2, v6, v3, v2
.LBB33_1484:
	s_or_b64 exec, exec, s[6:7]
	v_lshrrev_b32_e32 v3, 8, v4
	s_movk_i32 s4, 0x7f
	v_cmp_gt_i16_sdwa s[6:7], v3, s4 src0_sel:BYTE_0 src1_sel:DWORD
	s_mov_b64 s[4:5], 0
                                        ; implicit-def: $sgpr10
	s_and_saveexec_b64 s[8:9], s[6:7]
	s_xor_b64 s[6:7], exec, s[8:9]
	s_cbranch_execnz .LBB33_3533
; %bb.1485:
	s_or_saveexec_b64 s[6:7], s[6:7]
	v_mov_b32_e32 v6, s10
	s_xor_b64 exec, exec, s[6:7]
	s_cbranch_execnz .LBB33_3536
.LBB33_1486:
	s_or_b64 exec, exec, s[6:7]
	s_and_saveexec_b64 s[6:7], s[4:5]
	s_cbranch_execz .LBB33_1488
.LBB33_1487:
	v_bfe_u32 v6, v4, 8, 3
	v_ffbh_u32_e32 v10, v6
	v_min_u32_e32 v10, 32, v10
	v_lshrrev_b16_e32 v7, 3, v3
	v_subrev_u32_e32 v11, 28, v10
	v_and_b32_e32 v7, 15, v7
	v_lshlrev_b32_e32 v3, v11, v3
	v_sub_u32_e32 v10, 29, v10
	v_and_b32_e32 v3, 7, v3
	v_cmp_eq_u16_e32 vcc, 0, v7
	v_cndmask_b32_e32 v3, v6, v3, vcc
	v_cndmask_b32_e32 v6, v7, v10, vcc
	v_lshlrev_b32_e32 v7, 16, v4
	v_mov_b32_e32 v10, 0x3b800000
	v_lshlrev_b32_e32 v3, 20, v3
	v_and_b32_e32 v7, 0x80000000, v7
	v_lshl_add_u32 v6, v6, 23, v10
	v_or3_b32 v6, v7, v6, v3
.LBB33_1488:
	s_or_b64 exec, exec, s[6:7]
	s_nop 0
	v_mfma_f32_16x16x4f32 a[0:3], v2, v6, a[0:3]
	s_movk_i32 s4, 0xff
	v_and_b32_sdwa v3, v8, s4 dst_sel:DWORD dst_unused:UNUSED_PAD src0_sel:WORD_1 src1_sel:DWORD
	s_movk_i32 s4, 0x7f
	v_cmp_lt_i16_e32 vcc, s4, v3
	s_mov_b64 s[4:5], 0
                                        ; implicit-def: $sgpr10
	s_and_saveexec_b64 s[6:7], vcc
	s_xor_b64 s[6:7], exec, s[6:7]
	s_cbranch_execnz .LBB33_3537
; %bb.1489:
	s_or_saveexec_b64 s[6:7], s[6:7]
	v_mov_b32_e32 v2, s10
	s_xor_b64 exec, exec, s[6:7]
	s_cbranch_execnz .LBB33_3540
.LBB33_1490:
	s_or_b64 exec, exec, s[6:7]
	s_and_saveexec_b64 s[6:7], s[4:5]
	s_cbranch_execz .LBB33_1492
.LBB33_1491:
	v_bfe_u32 v2, v8, 16, 3
	v_ffbh_u32_e32 v7, v2
	v_min_u32_e32 v7, 32, v7
	v_lshrrev_b32_e32 v3, 19, v8
	v_subrev_u32_e32 v10, 28, v7
	v_and_b32_e32 v3, 15, v3
	v_lshlrev_b32_sdwa v10, v10, v8 dst_sel:DWORD dst_unused:UNUSED_PAD src0_sel:DWORD src1_sel:WORD_1
	v_bfe_u32 v6, v8, 19, 4
	v_sub_u32_e32 v7, 29, v7
	v_and_b32_e32 v10, 7, v10
	v_cmp_eq_u16_e32 vcc, 0, v3
	v_cndmask_b32_e32 v2, v2, v10, vcc
	v_cndmask_b32_e32 v3, v6, v7, vcc
	v_lshlrev_b32_e32 v6, 8, v8
	v_mov_b32_e32 v7, 0x3b800000
	v_lshlrev_b32_e32 v2, 20, v2
	v_and_b32_e32 v6, 0x80000000, v6
	v_lshl_add_u32 v3, v3, 23, v7
	v_or3_b32 v2, v6, v3, v2
.LBB33_1492:
	s_or_b64 exec, exec, s[6:7]
	s_movk_i32 s4, 0xff
	v_and_b32_sdwa v3, v4, s4 dst_sel:DWORD dst_unused:UNUSED_PAD src0_sel:WORD_1 src1_sel:DWORD
	s_movk_i32 s4, 0x7f
	v_cmp_lt_i16_e32 vcc, s4, v3
	s_mov_b64 s[4:5], 0
                                        ; implicit-def: $sgpr10
	s_and_saveexec_b64 s[6:7], vcc
	s_xor_b64 s[6:7], exec, s[6:7]
	s_cbranch_execnz .LBB33_3541
; %bb.1493:
	s_or_saveexec_b64 s[6:7], s[6:7]
	v_mov_b32_e32 v6, s10
	s_xor_b64 exec, exec, s[6:7]
	s_cbranch_execnz .LBB33_3544
.LBB33_1494:
	s_or_b64 exec, exec, s[6:7]
	s_and_saveexec_b64 s[6:7], s[4:5]
	s_cbranch_execz .LBB33_1496
.LBB33_1495:
	v_bfe_u32 v3, v4, 16, 3
	v_ffbh_u32_e32 v10, v3
	v_min_u32_e32 v10, 32, v10
	v_lshrrev_b32_e32 v6, 19, v4
	v_subrev_u32_e32 v11, 28, v10
	v_and_b32_e32 v6, 15, v6
	v_lshlrev_b32_sdwa v11, v11, v4 dst_sel:DWORD dst_unused:UNUSED_PAD src0_sel:DWORD src1_sel:WORD_1
	v_bfe_u32 v7, v4, 19, 4
	v_sub_u32_e32 v10, 29, v10
	v_and_b32_e32 v11, 7, v11
	v_cmp_eq_u16_e32 vcc, 0, v6
	v_cndmask_b32_e32 v3, v3, v11, vcc
	v_cndmask_b32_e32 v6, v7, v10, vcc
	v_lshlrev_b32_e32 v7, 8, v4
	v_mov_b32_e32 v10, 0x3b800000
	v_lshlrev_b32_e32 v3, 20, v3
	v_and_b32_e32 v7, 0x80000000, v7
	v_lshl_add_u32 v6, v6, 23, v10
	v_or3_b32 v6, v7, v6, v3
.LBB33_1496:
	s_or_b64 exec, exec, s[6:7]
	s_nop 0
	v_mfma_f32_16x16x4f32 a[0:3], v2, v6, a[0:3]
	s_movk_i32 s4, 0x7f
	v_cmp_gt_i16_sdwa s[6:7], v8, s4 src0_sel:BYTE_3 src1_sel:DWORD
	s_mov_b64 s[4:5], 0
                                        ; implicit-def: $sgpr10
	s_and_saveexec_b64 s[8:9], s[6:7]
	s_xor_b64 s[6:7], exec, s[8:9]
	s_cbranch_execnz .LBB33_3545
; %bb.1497:
	s_or_saveexec_b64 s[6:7], s[6:7]
	v_mov_b32_e32 v2, s10
	s_xor_b64 exec, exec, s[6:7]
	s_cbranch_execnz .LBB33_3548
.LBB33_1498:
	s_or_b64 exec, exec, s[6:7]
	s_and_saveexec_b64 s[6:7], s[4:5]
	s_cbranch_execz .LBB33_1500
.LBB33_1499:
	v_bfe_u32 v2, v8, 24, 3
	v_ffbh_u32_e32 v10, v2
	v_min_u32_e32 v10, 32, v10
	v_lshrrev_b32_e32 v6, 27, v8
	v_subrev_u32_e32 v11, 28, v10
	v_and_b32_e32 v3, 0x80000000, v8
	v_and_b32_e32 v6, 15, v6
	v_bfe_u32 v7, v8, 27, 4
	v_lshlrev_b32_sdwa v8, v11, v8 dst_sel:DWORD dst_unused:UNUSED_PAD src0_sel:DWORD src1_sel:BYTE_3
	v_sub_u32_e32 v10, 29, v10
	v_and_b32_e32 v8, 7, v8
	v_cmp_eq_u16_e32 vcc, 0, v6
	v_cndmask_b32_e32 v2, v2, v8, vcc
	v_cndmask_b32_e32 v6, v7, v10, vcc
	v_mov_b32_e32 v7, 0x3b800000
	v_lshlrev_b32_e32 v2, 20, v2
	v_lshl_add_u32 v6, v6, 23, v7
	v_or3_b32 v2, v3, v6, v2
.LBB33_1500:
	s_or_b64 exec, exec, s[6:7]
	s_movk_i32 s4, 0x7f
	v_cmp_gt_i16_sdwa s[6:7], v4, s4 src0_sel:BYTE_3 src1_sel:DWORD
	s_mov_b64 s[4:5], 0
                                        ; implicit-def: $sgpr10
	s_and_saveexec_b64 s[8:9], s[6:7]
	s_xor_b64 s[6:7], exec, s[8:9]
	s_cbranch_execnz .LBB33_3549
; %bb.1501:
	s_or_saveexec_b64 s[6:7], s[6:7]
	v_mov_b32_e32 v3, s10
	s_xor_b64 exec, exec, s[6:7]
	s_cbranch_execnz .LBB33_3552
.LBB33_1502:
	s_or_b64 exec, exec, s[6:7]
	s_and_saveexec_b64 s[6:7], s[4:5]
	s_cbranch_execz .LBB33_1504
.LBB33_1503:
	v_bfe_u32 v3, v4, 24, 3
	v_ffbh_u32_e32 v10, v3
	v_min_u32_e32 v10, 32, v10
	v_lshrrev_b32_e32 v7, 27, v4
	v_subrev_u32_e32 v11, 28, v10
	v_and_b32_e32 v6, 0x80000000, v4
	v_and_b32_e32 v7, 15, v7
	v_bfe_u32 v8, v4, 27, 4
	v_lshlrev_b32_sdwa v4, v11, v4 dst_sel:DWORD dst_unused:UNUSED_PAD src0_sel:DWORD src1_sel:BYTE_3
	v_sub_u32_e32 v10, 29, v10
	v_and_b32_e32 v4, 7, v4
	v_cmp_eq_u16_e32 vcc, 0, v7
	v_cndmask_b32_e32 v3, v3, v4, vcc
	v_cndmask_b32_e32 v4, v8, v10, vcc
	v_mov_b32_e32 v7, 0x3b800000
	v_lshlrev_b32_e32 v3, 20, v3
	v_lshl_add_u32 v4, v4, 23, v7
	v_or3_b32 v3, v6, v4, v3
.LBB33_1504:
	s_or_b64 exec, exec, s[6:7]
	s_nop 0
	v_mfma_f32_16x16x4f32 a[0:3], v2, v3, a[0:3]
	s_movk_i32 s4, 0x7f
	v_cmp_gt_i16_sdwa s[6:7], v9, s4 src0_sel:BYTE_0 src1_sel:DWORD
	s_mov_b64 s[4:5], 0
                                        ; implicit-def: $sgpr10
	s_and_saveexec_b64 s[8:9], s[6:7]
	s_xor_b64 s[6:7], exec, s[8:9]
	s_cbranch_execnz .LBB33_3553
; %bb.1505:
	s_or_saveexec_b64 s[6:7], s[6:7]
	v_mov_b32_e32 v2, s10
	s_xor_b64 exec, exec, s[6:7]
	s_cbranch_execnz .LBB33_3556
.LBB33_1506:
	s_or_b64 exec, exec, s[6:7]
	s_and_saveexec_b64 s[6:7], s[4:5]
	s_cbranch_execz .LBB33_1508
.LBB33_1507:
	v_mov_b32_e32 v2, 8
	v_and_b32_e32 v3, 7, v9
	v_lshrrev_b32_sdwa v2, v2, v9 dst_sel:BYTE_1 dst_unused:UNUSED_PAD src0_sel:DWORD src1_sel:DWORD
	v_ffbh_u32_e32 v4, v3
	v_or_b32_sdwa v2, v9, v2 dst_sel:DWORD dst_unused:UNUSED_PAD src0_sel:BYTE_0 src1_sel:DWORD
	v_min_u32_e32 v4, 32, v4
	v_lshrrev_b16_e32 v2, 3, v2
	v_subrev_u32_e32 v6, 28, v4
	v_and_b32_e32 v2, 15, v2
	v_lshlrev_b32_e32 v6, v6, v9
	v_sub_u32_e32 v4, 29, v4
	v_and_b32_e32 v6, 7, v6
	v_cmp_eq_u16_e32 vcc, 0, v2
	v_cndmask_b32_e32 v3, v3, v6, vcc
	v_cndmask_b32_e32 v2, v2, v4, vcc
	v_lshlrev_b32_e32 v4, 24, v9
	v_mov_b32_e32 v6, 0x3b800000
	v_lshlrev_b32_e32 v3, 20, v3
	v_and_b32_e32 v4, 0x80000000, v4
	v_lshl_add_u32 v2, v2, 23, v6
	v_or3_b32 v2, v4, v2, v3
.LBB33_1508:
	s_or_b64 exec, exec, s[6:7]
	s_movk_i32 s4, 0x7f
	v_cmp_gt_i16_sdwa s[6:7], v5, s4 src0_sel:BYTE_0 src1_sel:DWORD
	s_mov_b64 s[4:5], 0
                                        ; implicit-def: $sgpr10
	s_and_saveexec_b64 s[8:9], s[6:7]
	s_xor_b64 s[6:7], exec, s[8:9]
	s_cbranch_execnz .LBB33_3557
; %bb.1509:
	s_or_saveexec_b64 s[6:7], s[6:7]
	v_mov_b32_e32 v3, s10
	s_xor_b64 exec, exec, s[6:7]
	s_cbranch_execnz .LBB33_3560
.LBB33_1510:
	s_or_b64 exec, exec, s[6:7]
	s_and_saveexec_b64 s[6:7], s[4:5]
	s_cbranch_execz .LBB33_1512
.LBB33_1511:
	v_mov_b32_e32 v3, 8
	v_and_b32_e32 v4, 7, v5
	v_lshrrev_b32_sdwa v3, v3, v5 dst_sel:BYTE_1 dst_unused:UNUSED_PAD src0_sel:DWORD src1_sel:DWORD
	v_ffbh_u32_e32 v6, v4
	v_or_b32_sdwa v3, v5, v3 dst_sel:DWORD dst_unused:UNUSED_PAD src0_sel:BYTE_0 src1_sel:DWORD
	v_min_u32_e32 v6, 32, v6
	v_lshrrev_b16_e32 v3, 3, v3
	v_subrev_u32_e32 v7, 28, v6
	v_and_b32_e32 v3, 15, v3
	v_lshlrev_b32_e32 v7, v7, v5
	v_sub_u32_e32 v6, 29, v6
	v_and_b32_e32 v7, 7, v7
	v_cmp_eq_u16_e32 vcc, 0, v3
	v_cndmask_b32_e32 v4, v4, v7, vcc
	v_cndmask_b32_e32 v3, v3, v6, vcc
	v_lshlrev_b32_e32 v6, 24, v5
	v_mov_b32_e32 v7, 0x3b800000
	v_lshlrev_b32_e32 v4, 20, v4
	v_and_b32_e32 v6, 0x80000000, v6
	v_lshl_add_u32 v3, v3, 23, v7
	v_or3_b32 v3, v6, v3, v4
.LBB33_1512:
	s_or_b64 exec, exec, s[6:7]
	s_nop 0
	v_mfma_f32_16x16x4f32 a[0:3], v2, v3, a[0:3]
	v_lshrrev_b32_e32 v3, 8, v9
	s_movk_i32 s4, 0x7f
	v_cmp_gt_i16_sdwa s[6:7], v3, s4 src0_sel:BYTE_0 src1_sel:DWORD
	s_mov_b64 s[4:5], 0
                                        ; implicit-def: $sgpr10
	s_and_saveexec_b64 s[8:9], s[6:7]
	s_xor_b64 s[6:7], exec, s[8:9]
	s_cbranch_execnz .LBB33_3561
; %bb.1513:
	s_or_saveexec_b64 s[6:7], s[6:7]
	v_mov_b32_e32 v2, s10
	s_xor_b64 exec, exec, s[6:7]
	s_cbranch_execnz .LBB33_3564
.LBB33_1514:
	s_or_b64 exec, exec, s[6:7]
	s_and_saveexec_b64 s[6:7], s[4:5]
	s_cbranch_execz .LBB33_1516
.LBB33_1515:
	v_bfe_u32 v2, v9, 8, 3
	v_ffbh_u32_e32 v6, v2
	v_min_u32_e32 v6, 32, v6
	v_lshrrev_b16_e32 v4, 3, v3
	v_subrev_u32_e32 v7, 28, v6
	v_and_b32_e32 v4, 15, v4
	v_lshlrev_b32_e32 v3, v7, v3
	v_sub_u32_e32 v6, 29, v6
	v_and_b32_e32 v3, 7, v3
	v_cmp_eq_u16_e32 vcc, 0, v4
	v_cndmask_b32_e32 v2, v2, v3, vcc
	v_cndmask_b32_e32 v3, v4, v6, vcc
	v_lshlrev_b32_e32 v4, 16, v9
	v_mov_b32_e32 v6, 0x3b800000
	v_lshlrev_b32_e32 v2, 20, v2
	v_and_b32_e32 v4, 0x80000000, v4
	v_lshl_add_u32 v3, v3, 23, v6
	v_or3_b32 v2, v4, v3, v2
.LBB33_1516:
	s_or_b64 exec, exec, s[6:7]
	v_lshrrev_b32_e32 v3, 8, v5
	s_movk_i32 s4, 0x7f
	v_cmp_gt_i16_sdwa s[6:7], v3, s4 src0_sel:BYTE_0 src1_sel:DWORD
	s_mov_b64 s[4:5], 0
                                        ; implicit-def: $sgpr10
	s_and_saveexec_b64 s[8:9], s[6:7]
	s_xor_b64 s[6:7], exec, s[8:9]
	s_cbranch_execnz .LBB33_3565
; %bb.1517:
	s_or_saveexec_b64 s[6:7], s[6:7]
	v_mov_b32_e32 v4, s10
	s_xor_b64 exec, exec, s[6:7]
	s_cbranch_execnz .LBB33_3568
.LBB33_1518:
	s_or_b64 exec, exec, s[6:7]
	s_and_saveexec_b64 s[6:7], s[4:5]
	s_cbranch_execz .LBB33_1520
.LBB33_1519:
	v_bfe_u32 v4, v5, 8, 3
	v_ffbh_u32_e32 v7, v4
	v_min_u32_e32 v7, 32, v7
	v_lshrrev_b16_e32 v6, 3, v3
	v_subrev_u32_e32 v8, 28, v7
	v_and_b32_e32 v6, 15, v6
	v_lshlrev_b32_e32 v3, v8, v3
	v_sub_u32_e32 v7, 29, v7
	v_and_b32_e32 v3, 7, v3
	v_cmp_eq_u16_e32 vcc, 0, v6
	v_cndmask_b32_e32 v3, v4, v3, vcc
	v_cndmask_b32_e32 v4, v6, v7, vcc
	v_lshlrev_b32_e32 v6, 16, v5
	v_mov_b32_e32 v7, 0x3b800000
	v_lshlrev_b32_e32 v3, 20, v3
	v_and_b32_e32 v6, 0x80000000, v6
	v_lshl_add_u32 v4, v4, 23, v7
	v_or3_b32 v4, v6, v4, v3
.LBB33_1520:
	s_or_b64 exec, exec, s[6:7]
	s_nop 0
	v_mfma_f32_16x16x4f32 a[0:3], v2, v4, a[0:3]
	s_movk_i32 s4, 0xff
	v_and_b32_sdwa v3, v9, s4 dst_sel:DWORD dst_unused:UNUSED_PAD src0_sel:WORD_1 src1_sel:DWORD
	s_movk_i32 s4, 0x7f
	v_cmp_lt_i16_e32 vcc, s4, v3
	s_mov_b64 s[4:5], 0
                                        ; implicit-def: $sgpr10
	s_and_saveexec_b64 s[6:7], vcc
	s_xor_b64 s[6:7], exec, s[6:7]
	s_cbranch_execnz .LBB33_3569
; %bb.1521:
	s_or_saveexec_b64 s[6:7], s[6:7]
	v_mov_b32_e32 v2, s10
	s_xor_b64 exec, exec, s[6:7]
	s_cbranch_execnz .LBB33_3572
.LBB33_1522:
	s_or_b64 exec, exec, s[6:7]
	s_and_saveexec_b64 s[6:7], s[4:5]
	s_cbranch_execz .LBB33_1524
.LBB33_1523:
	v_bfe_u32 v2, v9, 16, 3
	v_ffbh_u32_e32 v6, v2
	v_min_u32_e32 v6, 32, v6
	v_lshrrev_b32_e32 v3, 19, v9
	v_subrev_u32_e32 v7, 28, v6
	v_and_b32_e32 v3, 15, v3
	v_lshlrev_b32_sdwa v7, v7, v9 dst_sel:DWORD dst_unused:UNUSED_PAD src0_sel:DWORD src1_sel:WORD_1
	v_bfe_u32 v4, v9, 19, 4
	v_sub_u32_e32 v6, 29, v6
	v_and_b32_e32 v7, 7, v7
	v_cmp_eq_u16_e32 vcc, 0, v3
	v_cndmask_b32_e32 v2, v2, v7, vcc
	v_cndmask_b32_e32 v3, v4, v6, vcc
	v_lshlrev_b32_e32 v4, 8, v9
	v_mov_b32_e32 v6, 0x3b800000
	v_lshlrev_b32_e32 v2, 20, v2
	v_and_b32_e32 v4, 0x80000000, v4
	v_lshl_add_u32 v3, v3, 23, v6
	v_or3_b32 v2, v4, v3, v2
.LBB33_1524:
	s_or_b64 exec, exec, s[6:7]
	s_movk_i32 s4, 0xff
	v_and_b32_sdwa v3, v5, s4 dst_sel:DWORD dst_unused:UNUSED_PAD src0_sel:WORD_1 src1_sel:DWORD
	s_movk_i32 s4, 0x7f
	v_cmp_lt_i16_e32 vcc, s4, v3
	s_mov_b64 s[4:5], 0
                                        ; implicit-def: $sgpr10
	s_and_saveexec_b64 s[6:7], vcc
	s_xor_b64 s[6:7], exec, s[6:7]
	s_cbranch_execnz .LBB33_3573
; %bb.1525:
	s_or_saveexec_b64 s[6:7], s[6:7]
	v_mov_b32_e32 v4, s10
	s_xor_b64 exec, exec, s[6:7]
	s_cbranch_execnz .LBB33_3576
.LBB33_1526:
	s_or_b64 exec, exec, s[6:7]
	s_and_saveexec_b64 s[6:7], s[4:5]
	s_cbranch_execz .LBB33_1528
.LBB33_1527:
	v_bfe_u32 v3, v5, 16, 3
	v_ffbh_u32_e32 v7, v3
	v_min_u32_e32 v7, 32, v7
	v_lshrrev_b32_e32 v4, 19, v5
	v_subrev_u32_e32 v8, 28, v7
	v_and_b32_e32 v4, 15, v4
	v_lshlrev_b32_sdwa v8, v8, v5 dst_sel:DWORD dst_unused:UNUSED_PAD src0_sel:DWORD src1_sel:WORD_1
	v_bfe_u32 v6, v5, 19, 4
	v_sub_u32_e32 v7, 29, v7
	v_and_b32_e32 v8, 7, v8
	v_cmp_eq_u16_e32 vcc, 0, v4
	v_cndmask_b32_e32 v3, v3, v8, vcc
	v_cndmask_b32_e32 v4, v6, v7, vcc
	v_lshlrev_b32_e32 v6, 8, v5
	v_mov_b32_e32 v7, 0x3b800000
	v_lshlrev_b32_e32 v3, 20, v3
	v_and_b32_e32 v6, 0x80000000, v6
	v_lshl_add_u32 v4, v4, 23, v7
	v_or3_b32 v4, v6, v4, v3
.LBB33_1528:
	s_or_b64 exec, exec, s[6:7]
	s_nop 0
	v_mfma_f32_16x16x4f32 a[0:3], v2, v4, a[0:3]
	s_movk_i32 s4, 0x7f
	v_cmp_gt_i16_sdwa s[6:7], v9, s4 src0_sel:BYTE_3 src1_sel:DWORD
	s_mov_b64 s[4:5], 0
                                        ; implicit-def: $sgpr10
	s_and_saveexec_b64 s[8:9], s[6:7]
	s_xor_b64 s[6:7], exec, s[8:9]
	s_cbranch_execnz .LBB33_3577
; %bb.1529:
	s_or_saveexec_b64 s[6:7], s[6:7]
	v_mov_b32_e32 v2, s10
	s_xor_b64 exec, exec, s[6:7]
	s_cbranch_execnz .LBB33_3580
.LBB33_1530:
	s_or_b64 exec, exec, s[6:7]
	s_and_saveexec_b64 s[6:7], s[4:5]
	s_cbranch_execz .LBB33_1532
.LBB33_1531:
	v_bfe_u32 v2, v9, 24, 3
	v_ffbh_u32_e32 v7, v2
	v_min_u32_e32 v7, 32, v7
	v_lshrrev_b32_e32 v4, 27, v9
	v_subrev_u32_e32 v8, 28, v7
	v_and_b32_e32 v4, 15, v4
	v_lshlrev_b32_sdwa v8, v8, v9 dst_sel:DWORD dst_unused:UNUSED_PAD src0_sel:DWORD src1_sel:BYTE_3
	v_bfe_u32 v6, v9, 27, 4
	v_sub_u32_e32 v7, 29, v7
	v_and_b32_e32 v8, 7, v8
	v_cmp_eq_u16_e32 vcc, 0, v4
	v_cndmask_b32_e32 v2, v2, v8, vcc
	v_cndmask_b32_e32 v4, v6, v7, vcc
	v_mov_b32_e32 v6, 0x3b800000
	v_and_b32_e32 v3, 0x80000000, v9
	v_lshlrev_b32_e32 v2, 20, v2
	v_lshl_add_u32 v4, v4, 23, v6
	v_or3_b32 v2, v3, v4, v2
.LBB33_1532:
	s_or_b64 exec, exec, s[6:7]
	s_movk_i32 s4, 0x7f
	v_cmp_gt_i16_sdwa s[6:7], v5, s4 src0_sel:BYTE_3 src1_sel:DWORD
	s_mov_b64 s[4:5], 0
                                        ; implicit-def: $sgpr10
	s_and_saveexec_b64 s[8:9], s[6:7]
	s_xor_b64 s[6:7], exec, s[8:9]
	s_cbranch_execnz .LBB33_3581
; %bb.1533:
	s_or_saveexec_b64 s[6:7], s[6:7]
	v_mov_b32_e32 v3, s10
	s_xor_b64 exec, exec, s[6:7]
	s_cbranch_execnz .LBB33_3584
.LBB33_1534:
	s_or_b64 exec, exec, s[6:7]
	s_and_saveexec_b64 s[6:7], s[4:5]
	s_cbranch_execz .LBB33_1536
.LBB33_1535:
	v_bfe_u32 v3, v5, 24, 3
	v_ffbh_u32_e32 v8, v3
	v_min_u32_e32 v8, 32, v8
	v_lshrrev_b32_e32 v6, 27, v5
	v_subrev_u32_e32 v9, 28, v8
	v_and_b32_e32 v4, 0x80000000, v5
	v_and_b32_e32 v6, 15, v6
	v_bfe_u32 v7, v5, 27, 4
	v_lshlrev_b32_sdwa v5, v9, v5 dst_sel:DWORD dst_unused:UNUSED_PAD src0_sel:DWORD src1_sel:BYTE_3
	v_sub_u32_e32 v8, 29, v8
	v_and_b32_e32 v5, 7, v5
	v_cmp_eq_u16_e32 vcc, 0, v6
	v_cndmask_b32_e32 v3, v3, v5, vcc
	v_cndmask_b32_e32 v5, v7, v8, vcc
	v_mov_b32_e32 v6, 0x3b800000
	v_lshlrev_b32_e32 v3, 20, v3
	v_lshl_add_u32 v5, v5, 23, v6
	v_or3_b32 v3, v4, v5, v3
.LBB33_1536:
	s_or_b64 exec, exec, s[6:7]
	s_nop 0
	v_mfma_f32_16x16x4f32 a[0:3], v2, v3, a[0:3]
	s_movk_i32 s4, 0x7f
                                        ; implicit-def: $sgpr10
	s_nop 7
	s_nop 1
	flat_store_dwordx4 v[18:19], a[0:3] offset:720
	flat_load_dwordx4 v[20:23], v[0:1] offset:16
	s_nop 0
	flat_load_dwordx2 v[18:19], v[0:1] offset:32
	s_waitcnt vmcnt(0) lgkmcnt(0)
	flat_load_dwordx4 v[14:17], v[20:21] offset:32
	flat_load_dwordx4 v[6:9], v[20:21] offset:48
	flat_load_dwordx4 v[10:13], v[22:23] offset:192
	flat_load_dwordx4 v[2:5], v[22:23] offset:208
	s_waitcnt vmcnt(0) lgkmcnt(0)
	v_cmp_gt_i16_sdwa s[6:7], v14, s4 src0_sel:BYTE_0 src1_sel:DWORD
	s_mov_b64 s[4:5], 0
	s_and_saveexec_b64 s[8:9], s[6:7]
	s_xor_b64 s[6:7], exec, s[8:9]
	s_cbranch_execnz .LBB33_3585
; %bb.1537:
	s_or_saveexec_b64 s[6:7], s[6:7]
	v_mov_b32_e32 v20, s10
	s_xor_b64 exec, exec, s[6:7]
	s_cbranch_execnz .LBB33_3588
.LBB33_1538:
	s_or_b64 exec, exec, s[6:7]
	s_and_saveexec_b64 s[6:7], s[4:5]
	s_cbranch_execz .LBB33_1540
.LBB33_1539:
	v_and_b32_e32 v20, 7, v14
	v_ffbh_u32_e32 v22, v20
	v_min_u32_e32 v22, 32, v22
	v_lshrrev_b16_e32 v21, 3, v14
	v_subrev_u32_e32 v23, 28, v22
	v_and_b32_e32 v21, 15, v21
	v_lshlrev_b32_e32 v23, v23, v14
	v_sub_u32_e32 v22, 29, v22
	v_and_b32_e32 v23, 7, v23
	v_cmp_eq_u16_e32 vcc, 0, v21
	v_cndmask_b32_e32 v20, v20, v23, vcc
	v_cndmask_b32_e32 v21, v21, v22, vcc
	v_lshlrev_b32_e32 v22, 24, v14
	v_mov_b32_e32 v23, 0x3b800000
	v_lshlrev_b32_e32 v20, 20, v20
	v_and_b32_e32 v22, 0x80000000, v22
	v_lshl_add_u32 v21, v21, 23, v23
	v_or3_b32 v20, v22, v21, v20
.LBB33_1540:
	s_or_b64 exec, exec, s[6:7]
	s_movk_i32 s4, 0x7f
	v_cmp_gt_i16_sdwa s[6:7], v10, s4 src0_sel:BYTE_0 src1_sel:DWORD
	s_mov_b64 s[4:5], 0
                                        ; implicit-def: $sgpr10
	s_and_saveexec_b64 s[8:9], s[6:7]
	s_xor_b64 s[6:7], exec, s[8:9]
	s_cbranch_execnz .LBB33_3589
; %bb.1541:
	s_or_saveexec_b64 s[6:7], s[6:7]
	v_mov_b32_e32 v21, s10
	s_xor_b64 exec, exec, s[6:7]
	s_cbranch_execnz .LBB33_3592
.LBB33_1542:
	s_or_b64 exec, exec, s[6:7]
	s_and_saveexec_b64 s[6:7], s[4:5]
	s_cbranch_execz .LBB33_1544
.LBB33_1543:
	v_and_b32_e32 v21, 7, v10
	v_ffbh_u32_e32 v23, v21
	v_min_u32_e32 v23, 32, v23
	v_lshrrev_b16_e32 v22, 3, v10
	v_subrev_u32_e32 v24, 28, v23
	v_and_b32_e32 v22, 15, v22
	v_lshlrev_b32_e32 v24, v24, v10
	v_sub_u32_e32 v23, 29, v23
	v_and_b32_e32 v24, 7, v24
	v_cmp_eq_u16_e32 vcc, 0, v22
	v_cndmask_b32_e32 v21, v21, v24, vcc
	v_cndmask_b32_e32 v22, v22, v23, vcc
	v_lshlrev_b32_e32 v23, 24, v10
	v_mov_b32_e32 v24, 0x3b800000
	v_lshlrev_b32_e32 v21, 20, v21
	v_and_b32_e32 v23, 0x80000000, v23
	v_lshl_add_u32 v22, v22, 23, v24
	v_or3_b32 v21, v23, v22, v21
.LBB33_1544:
	s_or_b64 exec, exec, s[6:7]
	flat_load_dwordx4 a[0:3], v[18:19] offset:736
	s_movk_i32 s4, 0x7f
                                        ; implicit-def: $sgpr10
	s_waitcnt vmcnt(0) lgkmcnt(0)
	v_mfma_f32_16x16x4f32 a[0:3], v20, v21, a[0:3]
	v_lshrrev_b32_e32 v21, 8, v14
	v_cmp_gt_i16_sdwa s[6:7], v21, s4 src0_sel:BYTE_0 src1_sel:DWORD
	s_mov_b64 s[4:5], 0
	s_and_saveexec_b64 s[8:9], s[6:7]
	s_xor_b64 s[6:7], exec, s[8:9]
	s_cbranch_execnz .LBB33_3593
; %bb.1545:
	s_or_saveexec_b64 s[6:7], s[6:7]
	v_mov_b32_e32 v20, s10
	s_xor_b64 exec, exec, s[6:7]
	s_cbranch_execnz .LBB33_3596
.LBB33_1546:
	s_or_b64 exec, exec, s[6:7]
	s_and_saveexec_b64 s[6:7], s[4:5]
	s_cbranch_execz .LBB33_1548
.LBB33_1547:
	v_bfe_u32 v20, v14, 8, 3
	v_ffbh_u32_e32 v23, v20
	v_min_u32_e32 v23, 32, v23
	v_lshrrev_b16_e32 v22, 3, v21
	v_subrev_u32_e32 v24, 28, v23
	v_and_b32_e32 v22, 15, v22
	v_lshlrev_b32_e32 v21, v24, v21
	v_sub_u32_e32 v23, 29, v23
	v_and_b32_e32 v21, 7, v21
	v_cmp_eq_u16_e32 vcc, 0, v22
	v_cndmask_b32_e32 v20, v20, v21, vcc
	v_cndmask_b32_e32 v21, v22, v23, vcc
	v_lshlrev_b32_e32 v22, 16, v14
	v_mov_b32_e32 v23, 0x3b800000
	v_lshlrev_b32_e32 v20, 20, v20
	v_and_b32_e32 v22, 0x80000000, v22
	v_lshl_add_u32 v21, v21, 23, v23
	v_or3_b32 v20, v22, v21, v20
.LBB33_1548:
	s_or_b64 exec, exec, s[6:7]
	v_lshrrev_b32_e32 v21, 8, v10
	s_movk_i32 s4, 0x7f
	v_cmp_gt_i16_sdwa s[6:7], v21, s4 src0_sel:BYTE_0 src1_sel:DWORD
	s_mov_b64 s[4:5], 0
                                        ; implicit-def: $sgpr10
	s_and_saveexec_b64 s[8:9], s[6:7]
	s_xor_b64 s[6:7], exec, s[8:9]
	s_cbranch_execnz .LBB33_3597
; %bb.1549:
	s_or_saveexec_b64 s[6:7], s[6:7]
	v_mov_b32_e32 v22, s10
	s_xor_b64 exec, exec, s[6:7]
	s_cbranch_execnz .LBB33_3600
.LBB33_1550:
	s_or_b64 exec, exec, s[6:7]
	s_and_saveexec_b64 s[6:7], s[4:5]
	s_cbranch_execz .LBB33_1552
.LBB33_1551:
	v_bfe_u32 v22, v10, 8, 3
	v_ffbh_u32_e32 v24, v22
	v_min_u32_e32 v24, 32, v24
	v_lshrrev_b16_e32 v23, 3, v21
	v_subrev_u32_e32 v25, 28, v24
	v_and_b32_e32 v23, 15, v23
	v_lshlrev_b32_e32 v21, v25, v21
	v_sub_u32_e32 v24, 29, v24
	v_and_b32_e32 v21, 7, v21
	v_cmp_eq_u16_e32 vcc, 0, v23
	v_cndmask_b32_e32 v21, v22, v21, vcc
	v_cndmask_b32_e32 v22, v23, v24, vcc
	v_lshlrev_b32_e32 v23, 16, v10
	v_mov_b32_e32 v24, 0x3b800000
	v_lshlrev_b32_e32 v21, 20, v21
	v_and_b32_e32 v23, 0x80000000, v23
	v_lshl_add_u32 v22, v22, 23, v24
	v_or3_b32 v22, v23, v22, v21
.LBB33_1552:
	s_or_b64 exec, exec, s[6:7]
	s_nop 0
	v_mfma_f32_16x16x4f32 a[0:3], v20, v22, a[0:3]
	s_movk_i32 s4, 0xff
	v_and_b32_sdwa v21, v14, s4 dst_sel:DWORD dst_unused:UNUSED_PAD src0_sel:WORD_1 src1_sel:DWORD
	s_movk_i32 s4, 0x7f
	v_cmp_lt_i16_e32 vcc, s4, v21
	s_mov_b64 s[4:5], 0
                                        ; implicit-def: $sgpr10
	s_and_saveexec_b64 s[6:7], vcc
	s_xor_b64 s[6:7], exec, s[6:7]
	s_cbranch_execnz .LBB33_3601
; %bb.1553:
	s_or_saveexec_b64 s[6:7], s[6:7]
	v_mov_b32_e32 v20, s10
	s_xor_b64 exec, exec, s[6:7]
	s_cbranch_execnz .LBB33_3604
.LBB33_1554:
	s_or_b64 exec, exec, s[6:7]
	s_and_saveexec_b64 s[6:7], s[4:5]
	s_cbranch_execz .LBB33_1556
.LBB33_1555:
	v_bfe_u32 v20, v14, 16, 3
	v_ffbh_u32_e32 v23, v20
	v_min_u32_e32 v23, 32, v23
	v_lshrrev_b32_e32 v21, 19, v14
	v_subrev_u32_e32 v24, 28, v23
	v_and_b32_e32 v21, 15, v21
	v_lshlrev_b32_sdwa v24, v24, v14 dst_sel:DWORD dst_unused:UNUSED_PAD src0_sel:DWORD src1_sel:WORD_1
	v_bfe_u32 v22, v14, 19, 4
	v_sub_u32_e32 v23, 29, v23
	v_and_b32_e32 v24, 7, v24
	v_cmp_eq_u16_e32 vcc, 0, v21
	v_cndmask_b32_e32 v20, v20, v24, vcc
	v_cndmask_b32_e32 v21, v22, v23, vcc
	v_lshlrev_b32_e32 v22, 8, v14
	v_mov_b32_e32 v23, 0x3b800000
	v_lshlrev_b32_e32 v20, 20, v20
	v_and_b32_e32 v22, 0x80000000, v22
	v_lshl_add_u32 v21, v21, 23, v23
	v_or3_b32 v20, v22, v21, v20
.LBB33_1556:
	s_or_b64 exec, exec, s[6:7]
	s_movk_i32 s4, 0xff
	v_and_b32_sdwa v21, v10, s4 dst_sel:DWORD dst_unused:UNUSED_PAD src0_sel:WORD_1 src1_sel:DWORD
	s_movk_i32 s4, 0x7f
	v_cmp_lt_i16_e32 vcc, s4, v21
	s_mov_b64 s[4:5], 0
                                        ; implicit-def: $sgpr10
	s_and_saveexec_b64 s[6:7], vcc
	s_xor_b64 s[6:7], exec, s[6:7]
	s_cbranch_execnz .LBB33_3605
; %bb.1557:
	s_or_saveexec_b64 s[6:7], s[6:7]
	v_mov_b32_e32 v22, s10
	s_xor_b64 exec, exec, s[6:7]
	s_cbranch_execnz .LBB33_3608
.LBB33_1558:
	s_or_b64 exec, exec, s[6:7]
	s_and_saveexec_b64 s[6:7], s[4:5]
	s_cbranch_execz .LBB33_1560
.LBB33_1559:
	v_bfe_u32 v21, v10, 16, 3
	v_ffbh_u32_e32 v24, v21
	v_min_u32_e32 v24, 32, v24
	v_lshrrev_b32_e32 v22, 19, v10
	v_subrev_u32_e32 v25, 28, v24
	v_and_b32_e32 v22, 15, v22
	v_lshlrev_b32_sdwa v25, v25, v10 dst_sel:DWORD dst_unused:UNUSED_PAD src0_sel:DWORD src1_sel:WORD_1
	v_bfe_u32 v23, v10, 19, 4
	v_sub_u32_e32 v24, 29, v24
	v_and_b32_e32 v25, 7, v25
	v_cmp_eq_u16_e32 vcc, 0, v22
	v_cndmask_b32_e32 v21, v21, v25, vcc
	v_cndmask_b32_e32 v22, v23, v24, vcc
	v_lshlrev_b32_e32 v23, 8, v10
	v_mov_b32_e32 v24, 0x3b800000
	v_lshlrev_b32_e32 v21, 20, v21
	v_and_b32_e32 v23, 0x80000000, v23
	v_lshl_add_u32 v22, v22, 23, v24
	v_or3_b32 v22, v23, v22, v21
.LBB33_1560:
	s_or_b64 exec, exec, s[6:7]
	s_nop 0
	v_mfma_f32_16x16x4f32 a[0:3], v20, v22, a[0:3]
	s_movk_i32 s4, 0x7f
	v_cmp_gt_i16_sdwa s[6:7], v14, s4 src0_sel:BYTE_3 src1_sel:DWORD
	s_mov_b64 s[4:5], 0
                                        ; implicit-def: $sgpr10
	s_and_saveexec_b64 s[8:9], s[6:7]
	s_xor_b64 s[6:7], exec, s[8:9]
	s_cbranch_execnz .LBB33_3609
; %bb.1561:
	s_or_saveexec_b64 s[6:7], s[6:7]
	v_mov_b32_e32 v20, s10
	s_xor_b64 exec, exec, s[6:7]
	s_cbranch_execnz .LBB33_3612
.LBB33_1562:
	s_or_b64 exec, exec, s[6:7]
	s_and_saveexec_b64 s[6:7], s[4:5]
	s_cbranch_execz .LBB33_1564
.LBB33_1563:
	v_bfe_u32 v20, v14, 24, 3
	v_ffbh_u32_e32 v24, v20
	v_min_u32_e32 v24, 32, v24
	v_lshrrev_b32_e32 v22, 27, v14
	v_subrev_u32_e32 v25, 28, v24
	v_and_b32_e32 v21, 0x80000000, v14
	v_and_b32_e32 v22, 15, v22
	v_bfe_u32 v23, v14, 27, 4
	v_lshlrev_b32_sdwa v14, v25, v14 dst_sel:DWORD dst_unused:UNUSED_PAD src0_sel:DWORD src1_sel:BYTE_3
	v_sub_u32_e32 v24, 29, v24
	v_and_b32_e32 v14, 7, v14
	v_cmp_eq_u16_e32 vcc, 0, v22
	v_cndmask_b32_e32 v14, v20, v14, vcc
	v_cndmask_b32_e32 v20, v23, v24, vcc
	v_mov_b32_e32 v22, 0x3b800000
	v_lshlrev_b32_e32 v14, 20, v14
	v_lshl_add_u32 v20, v20, 23, v22
	v_or3_b32 v20, v21, v20, v14
.LBB33_1564:
	s_or_b64 exec, exec, s[6:7]
	s_movk_i32 s4, 0x7f
	v_cmp_gt_i16_sdwa s[6:7], v10, s4 src0_sel:BYTE_3 src1_sel:DWORD
	s_mov_b64 s[4:5], 0
                                        ; implicit-def: $sgpr10
	s_and_saveexec_b64 s[8:9], s[6:7]
	s_xor_b64 s[6:7], exec, s[8:9]
	s_cbranch_execnz .LBB33_3613
; %bb.1565:
	s_or_saveexec_b64 s[6:7], s[6:7]
	v_mov_b32_e32 v14, s10
	s_xor_b64 exec, exec, s[6:7]
	s_cbranch_execnz .LBB33_3616
.LBB33_1566:
	s_or_b64 exec, exec, s[6:7]
	s_and_saveexec_b64 s[6:7], s[4:5]
	s_cbranch_execz .LBB33_1568
.LBB33_1567:
	v_bfe_u32 v14, v10, 24, 3
	v_ffbh_u32_e32 v24, v14
	v_min_u32_e32 v24, 32, v24
	v_lshrrev_b32_e32 v22, 27, v10
	v_subrev_u32_e32 v25, 28, v24
	v_and_b32_e32 v21, 0x80000000, v10
	v_and_b32_e32 v22, 15, v22
	v_bfe_u32 v23, v10, 27, 4
	v_lshlrev_b32_sdwa v10, v25, v10 dst_sel:DWORD dst_unused:UNUSED_PAD src0_sel:DWORD src1_sel:BYTE_3
	v_sub_u32_e32 v24, 29, v24
	v_and_b32_e32 v10, 7, v10
	v_cmp_eq_u16_e32 vcc, 0, v22
	v_cndmask_b32_e32 v10, v14, v10, vcc
	v_cndmask_b32_e32 v14, v23, v24, vcc
	v_mov_b32_e32 v22, 0x3b800000
	v_lshlrev_b32_e32 v10, 20, v10
	v_lshl_add_u32 v14, v14, 23, v22
	v_or3_b32 v14, v21, v14, v10
.LBB33_1568:
	s_or_b64 exec, exec, s[6:7]
	s_nop 0
	v_mfma_f32_16x16x4f32 a[0:3], v20, v14, a[0:3]
	s_movk_i32 s4, 0x7f
	v_cmp_gt_i16_sdwa s[6:7], v15, s4 src0_sel:BYTE_0 src1_sel:DWORD
	s_mov_b64 s[4:5], 0
                                        ; implicit-def: $sgpr10
	s_and_saveexec_b64 s[8:9], s[6:7]
	s_xor_b64 s[6:7], exec, s[8:9]
	s_cbranch_execnz .LBB33_3617
; %bb.1569:
	s_or_saveexec_b64 s[6:7], s[6:7]
	v_mov_b32_e32 v10, s10
	s_xor_b64 exec, exec, s[6:7]
	s_cbranch_execnz .LBB33_3620
.LBB33_1570:
	s_or_b64 exec, exec, s[6:7]
	s_and_saveexec_b64 s[6:7], s[4:5]
	s_cbranch_execz .LBB33_1572
.LBB33_1571:
	v_and_b32_e32 v10, 7, v15
	v_ffbh_u32_e32 v20, v10
	v_min_u32_e32 v20, 32, v20
	v_lshrrev_b16_e32 v14, 3, v15
	v_subrev_u32_e32 v21, 28, v20
	v_and_b32_e32 v14, 15, v14
	v_lshlrev_b32_e32 v21, v21, v15
	v_sub_u32_e32 v20, 29, v20
	v_and_b32_e32 v21, 7, v21
	v_cmp_eq_u16_e32 vcc, 0, v14
	v_cndmask_b32_e32 v10, v10, v21, vcc
	v_cndmask_b32_e32 v14, v14, v20, vcc
	v_lshlrev_b32_e32 v20, 24, v15
	v_mov_b32_e32 v21, 0x3b800000
	v_lshlrev_b32_e32 v10, 20, v10
	v_and_b32_e32 v20, 0x80000000, v20
	v_lshl_add_u32 v14, v14, 23, v21
	v_or3_b32 v10, v20, v14, v10
.LBB33_1572:
	s_or_b64 exec, exec, s[6:7]
	s_movk_i32 s4, 0x7f
	v_cmp_gt_i16_sdwa s[6:7], v11, s4 src0_sel:BYTE_0 src1_sel:DWORD
	s_mov_b64 s[4:5], 0
                                        ; implicit-def: $sgpr10
	s_and_saveexec_b64 s[8:9], s[6:7]
	s_xor_b64 s[6:7], exec, s[8:9]
	s_cbranch_execnz .LBB33_3621
; %bb.1573:
	s_or_saveexec_b64 s[6:7], s[6:7]
	v_mov_b32_e32 v14, s10
	s_xor_b64 exec, exec, s[6:7]
	s_cbranch_execnz .LBB33_3624
.LBB33_1574:
	s_or_b64 exec, exec, s[6:7]
	s_and_saveexec_b64 s[6:7], s[4:5]
	s_cbranch_execz .LBB33_1576
.LBB33_1575:
	v_and_b32_e32 v14, 7, v11
	v_ffbh_u32_e32 v21, v14
	v_min_u32_e32 v21, 32, v21
	v_lshrrev_b16_e32 v20, 3, v11
	v_subrev_u32_e32 v22, 28, v21
	v_and_b32_e32 v20, 15, v20
	v_lshlrev_b32_e32 v22, v22, v11
	v_sub_u32_e32 v21, 29, v21
	v_and_b32_e32 v22, 7, v22
	v_cmp_eq_u16_e32 vcc, 0, v20
	v_cndmask_b32_e32 v14, v14, v22, vcc
	v_cndmask_b32_e32 v20, v20, v21, vcc
	v_lshlrev_b32_e32 v21, 24, v11
	v_mov_b32_e32 v22, 0x3b800000
	v_lshlrev_b32_e32 v14, 20, v14
	v_and_b32_e32 v21, 0x80000000, v21
	v_lshl_add_u32 v20, v20, 23, v22
	v_or3_b32 v14, v21, v20, v14
.LBB33_1576:
	s_or_b64 exec, exec, s[6:7]
	s_nop 0
	v_mfma_f32_16x16x4f32 a[0:3], v10, v14, a[0:3]
	v_lshrrev_b32_e32 v14, 8, v15
	s_movk_i32 s4, 0x7f
	v_cmp_gt_i16_sdwa s[6:7], v14, s4 src0_sel:BYTE_0 src1_sel:DWORD
	s_mov_b64 s[4:5], 0
                                        ; implicit-def: $sgpr10
	s_and_saveexec_b64 s[8:9], s[6:7]
	s_xor_b64 s[6:7], exec, s[8:9]
	s_cbranch_execnz .LBB33_3625
; %bb.1577:
	s_or_saveexec_b64 s[6:7], s[6:7]
	v_mov_b32_e32 v10, s10
	s_xor_b64 exec, exec, s[6:7]
	s_cbranch_execnz .LBB33_3628
.LBB33_1578:
	s_or_b64 exec, exec, s[6:7]
	s_and_saveexec_b64 s[6:7], s[4:5]
	s_cbranch_execz .LBB33_1580
.LBB33_1579:
	v_bfe_u32 v10, v15, 8, 3
	v_ffbh_u32_e32 v21, v10
	v_min_u32_e32 v21, 32, v21
	v_lshrrev_b16_e32 v20, 3, v14
	v_subrev_u32_e32 v22, 28, v21
	v_and_b32_e32 v20, 15, v20
	v_lshlrev_b32_e32 v14, v22, v14
	v_sub_u32_e32 v21, 29, v21
	v_and_b32_e32 v14, 7, v14
	v_cmp_eq_u16_e32 vcc, 0, v20
	v_cndmask_b32_e32 v10, v10, v14, vcc
	v_cndmask_b32_e32 v14, v20, v21, vcc
	v_lshlrev_b32_e32 v20, 16, v15
	v_mov_b32_e32 v21, 0x3b800000
	v_lshlrev_b32_e32 v10, 20, v10
	v_and_b32_e32 v20, 0x80000000, v20
	v_lshl_add_u32 v14, v14, 23, v21
	v_or3_b32 v10, v20, v14, v10
.LBB33_1580:
	s_or_b64 exec, exec, s[6:7]
	v_lshrrev_b32_e32 v14, 8, v11
	s_movk_i32 s4, 0x7f
	v_cmp_gt_i16_sdwa s[6:7], v14, s4 src0_sel:BYTE_0 src1_sel:DWORD
	s_mov_b64 s[4:5], 0
                                        ; implicit-def: $sgpr10
	s_and_saveexec_b64 s[8:9], s[6:7]
	s_xor_b64 s[6:7], exec, s[8:9]
	s_cbranch_execnz .LBB33_3629
; %bb.1581:
	s_or_saveexec_b64 s[6:7], s[6:7]
	v_mov_b32_e32 v20, s10
	s_xor_b64 exec, exec, s[6:7]
	s_cbranch_execnz .LBB33_3632
.LBB33_1582:
	s_or_b64 exec, exec, s[6:7]
	s_and_saveexec_b64 s[6:7], s[4:5]
	s_cbranch_execz .LBB33_1584
.LBB33_1583:
	v_bfe_u32 v20, v11, 8, 3
	v_ffbh_u32_e32 v22, v20
	v_min_u32_e32 v22, 32, v22
	v_lshrrev_b16_e32 v21, 3, v14
	v_subrev_u32_e32 v23, 28, v22
	v_and_b32_e32 v21, 15, v21
	v_lshlrev_b32_e32 v14, v23, v14
	v_sub_u32_e32 v22, 29, v22
	v_and_b32_e32 v14, 7, v14
	v_cmp_eq_u16_e32 vcc, 0, v21
	v_cndmask_b32_e32 v14, v20, v14, vcc
	v_cndmask_b32_e32 v20, v21, v22, vcc
	v_lshlrev_b32_e32 v21, 16, v11
	v_mov_b32_e32 v22, 0x3b800000
	v_lshlrev_b32_e32 v14, 20, v14
	v_and_b32_e32 v21, 0x80000000, v21
	v_lshl_add_u32 v20, v20, 23, v22
	v_or3_b32 v20, v21, v20, v14
.LBB33_1584:
	s_or_b64 exec, exec, s[6:7]
	s_nop 0
	v_mfma_f32_16x16x4f32 a[0:3], v10, v20, a[0:3]
	s_movk_i32 s4, 0xff
	v_and_b32_sdwa v14, v15, s4 dst_sel:DWORD dst_unused:UNUSED_PAD src0_sel:WORD_1 src1_sel:DWORD
	s_movk_i32 s4, 0x7f
	v_cmp_lt_i16_e32 vcc, s4, v14
	s_mov_b64 s[4:5], 0
                                        ; implicit-def: $sgpr10
	s_and_saveexec_b64 s[6:7], vcc
	s_xor_b64 s[6:7], exec, s[6:7]
	s_cbranch_execnz .LBB33_3633
; %bb.1585:
	s_or_saveexec_b64 s[6:7], s[6:7]
	v_mov_b32_e32 v10, s10
	s_xor_b64 exec, exec, s[6:7]
	s_cbranch_execnz .LBB33_3636
.LBB33_1586:
	s_or_b64 exec, exec, s[6:7]
	s_and_saveexec_b64 s[6:7], s[4:5]
	s_cbranch_execz .LBB33_1588
.LBB33_1587:
	v_bfe_u32 v10, v15, 16, 3
	v_ffbh_u32_e32 v21, v10
	v_min_u32_e32 v21, 32, v21
	v_lshrrev_b32_e32 v14, 19, v15
	v_subrev_u32_e32 v22, 28, v21
	v_and_b32_e32 v14, 15, v14
	v_lshlrev_b32_sdwa v22, v22, v15 dst_sel:DWORD dst_unused:UNUSED_PAD src0_sel:DWORD src1_sel:WORD_1
	v_bfe_u32 v20, v15, 19, 4
	v_sub_u32_e32 v21, 29, v21
	v_and_b32_e32 v22, 7, v22
	v_cmp_eq_u16_e32 vcc, 0, v14
	v_cndmask_b32_e32 v10, v10, v22, vcc
	v_cndmask_b32_e32 v14, v20, v21, vcc
	v_lshlrev_b32_e32 v20, 8, v15
	v_mov_b32_e32 v21, 0x3b800000
	v_lshlrev_b32_e32 v10, 20, v10
	v_and_b32_e32 v20, 0x80000000, v20
	v_lshl_add_u32 v14, v14, 23, v21
	v_or3_b32 v10, v20, v14, v10
.LBB33_1588:
	s_or_b64 exec, exec, s[6:7]
	s_movk_i32 s4, 0xff
	v_and_b32_sdwa v14, v11, s4 dst_sel:DWORD dst_unused:UNUSED_PAD src0_sel:WORD_1 src1_sel:DWORD
	s_movk_i32 s4, 0x7f
	v_cmp_lt_i16_e32 vcc, s4, v14
	s_mov_b64 s[4:5], 0
                                        ; implicit-def: $sgpr10
	s_and_saveexec_b64 s[6:7], vcc
	s_xor_b64 s[6:7], exec, s[6:7]
	s_cbranch_execnz .LBB33_3637
; %bb.1589:
	s_or_saveexec_b64 s[6:7], s[6:7]
	v_mov_b32_e32 v20, s10
	s_xor_b64 exec, exec, s[6:7]
	s_cbranch_execnz .LBB33_3640
.LBB33_1590:
	s_or_b64 exec, exec, s[6:7]
	s_and_saveexec_b64 s[6:7], s[4:5]
	s_cbranch_execz .LBB33_1592
.LBB33_1591:
	v_bfe_u32 v14, v11, 16, 3
	v_ffbh_u32_e32 v22, v14
	v_min_u32_e32 v22, 32, v22
	v_lshrrev_b32_e32 v20, 19, v11
	v_subrev_u32_e32 v23, 28, v22
	v_and_b32_e32 v20, 15, v20
	v_lshlrev_b32_sdwa v23, v23, v11 dst_sel:DWORD dst_unused:UNUSED_PAD src0_sel:DWORD src1_sel:WORD_1
	v_bfe_u32 v21, v11, 19, 4
	v_sub_u32_e32 v22, 29, v22
	v_and_b32_e32 v23, 7, v23
	v_cmp_eq_u16_e32 vcc, 0, v20
	v_cndmask_b32_e32 v14, v14, v23, vcc
	v_cndmask_b32_e32 v20, v21, v22, vcc
	v_lshlrev_b32_e32 v21, 8, v11
	v_mov_b32_e32 v22, 0x3b800000
	v_lshlrev_b32_e32 v14, 20, v14
	v_and_b32_e32 v21, 0x80000000, v21
	v_lshl_add_u32 v20, v20, 23, v22
	v_or3_b32 v20, v21, v20, v14
.LBB33_1592:
	s_or_b64 exec, exec, s[6:7]
	s_nop 0
	v_mfma_f32_16x16x4f32 a[0:3], v10, v20, a[0:3]
	s_movk_i32 s4, 0x7f
	v_cmp_gt_i16_sdwa s[6:7], v15, s4 src0_sel:BYTE_3 src1_sel:DWORD
	s_mov_b64 s[4:5], 0
                                        ; implicit-def: $sgpr10
	s_and_saveexec_b64 s[8:9], s[6:7]
	s_xor_b64 s[6:7], exec, s[8:9]
	s_cbranch_execnz .LBB33_3641
; %bb.1593:
	s_or_saveexec_b64 s[6:7], s[6:7]
	v_mov_b32_e32 v10, s10
	s_xor_b64 exec, exec, s[6:7]
	s_cbranch_execnz .LBB33_3644
.LBB33_1594:
	s_or_b64 exec, exec, s[6:7]
	s_and_saveexec_b64 s[6:7], s[4:5]
	s_cbranch_execz .LBB33_1596
.LBB33_1595:
	v_bfe_u32 v10, v15, 24, 3
	v_ffbh_u32_e32 v22, v10
	v_min_u32_e32 v22, 32, v22
	v_lshrrev_b32_e32 v20, 27, v15
	v_subrev_u32_e32 v23, 28, v22
	v_and_b32_e32 v14, 0x80000000, v15
	v_and_b32_e32 v20, 15, v20
	v_bfe_u32 v21, v15, 27, 4
	v_lshlrev_b32_sdwa v15, v23, v15 dst_sel:DWORD dst_unused:UNUSED_PAD src0_sel:DWORD src1_sel:BYTE_3
	v_sub_u32_e32 v22, 29, v22
	v_and_b32_e32 v15, 7, v15
	v_cmp_eq_u16_e32 vcc, 0, v20
	v_cndmask_b32_e32 v10, v10, v15, vcc
	v_cndmask_b32_e32 v15, v21, v22, vcc
	v_mov_b32_e32 v20, 0x3b800000
	v_lshlrev_b32_e32 v10, 20, v10
	v_lshl_add_u32 v15, v15, 23, v20
	v_or3_b32 v10, v14, v15, v10
.LBB33_1596:
	s_or_b64 exec, exec, s[6:7]
	s_movk_i32 s4, 0x7f
	v_cmp_gt_i16_sdwa s[6:7], v11, s4 src0_sel:BYTE_3 src1_sel:DWORD
	s_mov_b64 s[4:5], 0
                                        ; implicit-def: $sgpr10
	s_and_saveexec_b64 s[8:9], s[6:7]
	s_xor_b64 s[6:7], exec, s[8:9]
	s_cbranch_execnz .LBB33_3645
; %bb.1597:
	s_or_saveexec_b64 s[6:7], s[6:7]
	v_mov_b32_e32 v14, s10
	s_xor_b64 exec, exec, s[6:7]
	s_cbranch_execnz .LBB33_3648
.LBB33_1598:
	s_or_b64 exec, exec, s[6:7]
	s_and_saveexec_b64 s[6:7], s[4:5]
	s_cbranch_execz .LBB33_1600
.LBB33_1599:
	v_bfe_u32 v14, v11, 24, 3
	v_ffbh_u32_e32 v22, v14
	v_min_u32_e32 v22, 32, v22
	v_lshrrev_b32_e32 v20, 27, v11
	v_subrev_u32_e32 v23, 28, v22
	v_and_b32_e32 v15, 0x80000000, v11
	v_and_b32_e32 v20, 15, v20
	v_bfe_u32 v21, v11, 27, 4
	v_lshlrev_b32_sdwa v11, v23, v11 dst_sel:DWORD dst_unused:UNUSED_PAD src0_sel:DWORD src1_sel:BYTE_3
	v_sub_u32_e32 v22, 29, v22
	v_and_b32_e32 v11, 7, v11
	v_cmp_eq_u16_e32 vcc, 0, v20
	v_cndmask_b32_e32 v11, v14, v11, vcc
	v_cndmask_b32_e32 v14, v21, v22, vcc
	v_mov_b32_e32 v20, 0x3b800000
	v_lshlrev_b32_e32 v11, 20, v11
	v_lshl_add_u32 v14, v14, 23, v20
	v_or3_b32 v14, v15, v14, v11
.LBB33_1600:
	s_or_b64 exec, exec, s[6:7]
	s_nop 0
	v_mfma_f32_16x16x4f32 a[0:3], v10, v14, a[0:3]
	s_movk_i32 s4, 0x7f
	v_cmp_gt_i16_sdwa s[6:7], v16, s4 src0_sel:BYTE_0 src1_sel:DWORD
	s_mov_b64 s[4:5], 0
                                        ; implicit-def: $sgpr10
	s_and_saveexec_b64 s[8:9], s[6:7]
	s_xor_b64 s[6:7], exec, s[8:9]
	s_cbranch_execnz .LBB33_3649
; %bb.1601:
	s_or_saveexec_b64 s[6:7], s[6:7]
	v_mov_b32_e32 v10, s10
	s_xor_b64 exec, exec, s[6:7]
	s_cbranch_execnz .LBB33_3652
.LBB33_1602:
	s_or_b64 exec, exec, s[6:7]
	s_and_saveexec_b64 s[6:7], s[4:5]
	s_cbranch_execz .LBB33_1604
.LBB33_1603:
	v_and_b32_e32 v10, 7, v16
	v_ffbh_u32_e32 v14, v10
	v_min_u32_e32 v14, 32, v14
	v_lshrrev_b16_e32 v11, 3, v16
	v_subrev_u32_e32 v15, 28, v14
	v_and_b32_e32 v11, 15, v11
	v_lshlrev_b32_e32 v15, v15, v16
	v_sub_u32_e32 v14, 29, v14
	v_and_b32_e32 v15, 7, v15
	v_cmp_eq_u16_e32 vcc, 0, v11
	v_cndmask_b32_e32 v10, v10, v15, vcc
	v_cndmask_b32_e32 v11, v11, v14, vcc
	v_lshlrev_b32_e32 v14, 24, v16
	v_mov_b32_e32 v15, 0x3b800000
	v_lshlrev_b32_e32 v10, 20, v10
	v_and_b32_e32 v14, 0x80000000, v14
	v_lshl_add_u32 v11, v11, 23, v15
	v_or3_b32 v10, v14, v11, v10
.LBB33_1604:
	s_or_b64 exec, exec, s[6:7]
	s_movk_i32 s4, 0x7f
	v_cmp_gt_i16_sdwa s[6:7], v12, s4 src0_sel:BYTE_0 src1_sel:DWORD
	s_mov_b64 s[4:5], 0
                                        ; implicit-def: $sgpr10
	s_and_saveexec_b64 s[8:9], s[6:7]
	s_xor_b64 s[6:7], exec, s[8:9]
	s_cbranch_execnz .LBB33_3653
; %bb.1605:
	s_or_saveexec_b64 s[6:7], s[6:7]
	v_mov_b32_e32 v11, s10
	s_xor_b64 exec, exec, s[6:7]
	s_cbranch_execnz .LBB33_3656
.LBB33_1606:
	s_or_b64 exec, exec, s[6:7]
	s_and_saveexec_b64 s[6:7], s[4:5]
	s_cbranch_execz .LBB33_1608
.LBB33_1607:
	v_and_b32_e32 v11, 7, v12
	v_ffbh_u32_e32 v15, v11
	v_min_u32_e32 v15, 32, v15
	v_lshrrev_b16_e32 v14, 3, v12
	v_subrev_u32_e32 v20, 28, v15
	v_and_b32_e32 v14, 15, v14
	v_lshlrev_b32_e32 v20, v20, v12
	v_sub_u32_e32 v15, 29, v15
	v_and_b32_e32 v20, 7, v20
	v_cmp_eq_u16_e32 vcc, 0, v14
	v_cndmask_b32_e32 v11, v11, v20, vcc
	v_cndmask_b32_e32 v14, v14, v15, vcc
	v_lshlrev_b32_e32 v15, 24, v12
	v_mov_b32_e32 v20, 0x3b800000
	v_lshlrev_b32_e32 v11, 20, v11
	v_and_b32_e32 v15, 0x80000000, v15
	v_lshl_add_u32 v14, v14, 23, v20
	v_or3_b32 v11, v15, v14, v11
.LBB33_1608:
	s_or_b64 exec, exec, s[6:7]
	s_nop 0
	v_mfma_f32_16x16x4f32 a[0:3], v10, v11, a[0:3]
	v_lshrrev_b32_e32 v11, 8, v16
	s_movk_i32 s4, 0x7f
	v_cmp_gt_i16_sdwa s[6:7], v11, s4 src0_sel:BYTE_0 src1_sel:DWORD
	s_mov_b64 s[4:5], 0
                                        ; implicit-def: $sgpr10
	s_and_saveexec_b64 s[8:9], s[6:7]
	s_xor_b64 s[6:7], exec, s[8:9]
	s_cbranch_execnz .LBB33_3657
; %bb.1609:
	s_or_saveexec_b64 s[6:7], s[6:7]
	v_mov_b32_e32 v10, s10
	s_xor_b64 exec, exec, s[6:7]
	s_cbranch_execnz .LBB33_3660
.LBB33_1610:
	s_or_b64 exec, exec, s[6:7]
	s_and_saveexec_b64 s[6:7], s[4:5]
	s_cbranch_execz .LBB33_1612
.LBB33_1611:
	v_bfe_u32 v10, v16, 8, 3
	v_ffbh_u32_e32 v15, v10
	v_min_u32_e32 v15, 32, v15
	v_lshrrev_b16_e32 v14, 3, v11
	v_subrev_u32_e32 v20, 28, v15
	v_and_b32_e32 v14, 15, v14
	v_lshlrev_b32_e32 v11, v20, v11
	v_sub_u32_e32 v15, 29, v15
	v_and_b32_e32 v11, 7, v11
	v_cmp_eq_u16_e32 vcc, 0, v14
	v_cndmask_b32_e32 v10, v10, v11, vcc
	v_cndmask_b32_e32 v11, v14, v15, vcc
	v_lshlrev_b32_e32 v14, 16, v16
	v_mov_b32_e32 v15, 0x3b800000
	v_lshlrev_b32_e32 v10, 20, v10
	v_and_b32_e32 v14, 0x80000000, v14
	v_lshl_add_u32 v11, v11, 23, v15
	v_or3_b32 v10, v14, v11, v10
.LBB33_1612:
	s_or_b64 exec, exec, s[6:7]
	v_lshrrev_b32_e32 v11, 8, v12
	s_movk_i32 s4, 0x7f
	v_cmp_gt_i16_sdwa s[6:7], v11, s4 src0_sel:BYTE_0 src1_sel:DWORD
	s_mov_b64 s[4:5], 0
                                        ; implicit-def: $sgpr10
	s_and_saveexec_b64 s[8:9], s[6:7]
	s_xor_b64 s[6:7], exec, s[8:9]
	s_cbranch_execnz .LBB33_3661
; %bb.1613:
	s_or_saveexec_b64 s[6:7], s[6:7]
	v_mov_b32_e32 v14, s10
	s_xor_b64 exec, exec, s[6:7]
	s_cbranch_execnz .LBB33_3664
.LBB33_1614:
	s_or_b64 exec, exec, s[6:7]
	s_and_saveexec_b64 s[6:7], s[4:5]
	s_cbranch_execz .LBB33_1616
.LBB33_1615:
	v_bfe_u32 v14, v12, 8, 3
	v_ffbh_u32_e32 v20, v14
	v_min_u32_e32 v20, 32, v20
	v_lshrrev_b16_e32 v15, 3, v11
	v_subrev_u32_e32 v21, 28, v20
	v_and_b32_e32 v15, 15, v15
	v_lshlrev_b32_e32 v11, v21, v11
	v_sub_u32_e32 v20, 29, v20
	v_and_b32_e32 v11, 7, v11
	v_cmp_eq_u16_e32 vcc, 0, v15
	v_cndmask_b32_e32 v11, v14, v11, vcc
	v_cndmask_b32_e32 v14, v15, v20, vcc
	v_lshlrev_b32_e32 v15, 16, v12
	v_mov_b32_e32 v20, 0x3b800000
	v_lshlrev_b32_e32 v11, 20, v11
	v_and_b32_e32 v15, 0x80000000, v15
	v_lshl_add_u32 v14, v14, 23, v20
	v_or3_b32 v14, v15, v14, v11
.LBB33_1616:
	s_or_b64 exec, exec, s[6:7]
	s_nop 0
	v_mfma_f32_16x16x4f32 a[0:3], v10, v14, a[0:3]
	s_movk_i32 s4, 0xff
	v_and_b32_sdwa v11, v16, s4 dst_sel:DWORD dst_unused:UNUSED_PAD src0_sel:WORD_1 src1_sel:DWORD
	s_movk_i32 s4, 0x7f
	v_cmp_lt_i16_e32 vcc, s4, v11
	s_mov_b64 s[4:5], 0
                                        ; implicit-def: $sgpr10
	s_and_saveexec_b64 s[6:7], vcc
	s_xor_b64 s[6:7], exec, s[6:7]
	s_cbranch_execnz .LBB33_3665
; %bb.1617:
	s_or_saveexec_b64 s[6:7], s[6:7]
	v_mov_b32_e32 v10, s10
	s_xor_b64 exec, exec, s[6:7]
	s_cbranch_execnz .LBB33_3668
.LBB33_1618:
	s_or_b64 exec, exec, s[6:7]
	s_and_saveexec_b64 s[6:7], s[4:5]
	s_cbranch_execz .LBB33_1620
.LBB33_1619:
	v_bfe_u32 v10, v16, 16, 3
	v_ffbh_u32_e32 v15, v10
	v_min_u32_e32 v15, 32, v15
	v_lshrrev_b32_e32 v11, 19, v16
	v_subrev_u32_e32 v20, 28, v15
	v_and_b32_e32 v11, 15, v11
	v_lshlrev_b32_sdwa v20, v20, v16 dst_sel:DWORD dst_unused:UNUSED_PAD src0_sel:DWORD src1_sel:WORD_1
	v_bfe_u32 v14, v16, 19, 4
	v_sub_u32_e32 v15, 29, v15
	v_and_b32_e32 v20, 7, v20
	v_cmp_eq_u16_e32 vcc, 0, v11
	v_cndmask_b32_e32 v10, v10, v20, vcc
	v_cndmask_b32_e32 v11, v14, v15, vcc
	v_lshlrev_b32_e32 v14, 8, v16
	v_mov_b32_e32 v15, 0x3b800000
	v_lshlrev_b32_e32 v10, 20, v10
	v_and_b32_e32 v14, 0x80000000, v14
	v_lshl_add_u32 v11, v11, 23, v15
	v_or3_b32 v10, v14, v11, v10
.LBB33_1620:
	s_or_b64 exec, exec, s[6:7]
	s_movk_i32 s4, 0xff
	v_and_b32_sdwa v11, v12, s4 dst_sel:DWORD dst_unused:UNUSED_PAD src0_sel:WORD_1 src1_sel:DWORD
	s_movk_i32 s4, 0x7f
	v_cmp_lt_i16_e32 vcc, s4, v11
	s_mov_b64 s[4:5], 0
                                        ; implicit-def: $sgpr10
	s_and_saveexec_b64 s[6:7], vcc
	s_xor_b64 s[6:7], exec, s[6:7]
	s_cbranch_execnz .LBB33_3669
; %bb.1621:
	s_or_saveexec_b64 s[6:7], s[6:7]
	v_mov_b32_e32 v14, s10
	s_xor_b64 exec, exec, s[6:7]
	s_cbranch_execnz .LBB33_3672
.LBB33_1622:
	s_or_b64 exec, exec, s[6:7]
	s_and_saveexec_b64 s[6:7], s[4:5]
	s_cbranch_execz .LBB33_1624
.LBB33_1623:
	v_bfe_u32 v11, v12, 16, 3
	v_ffbh_u32_e32 v20, v11
	v_min_u32_e32 v20, 32, v20
	v_lshrrev_b32_e32 v14, 19, v12
	v_subrev_u32_e32 v21, 28, v20
	v_and_b32_e32 v14, 15, v14
	v_lshlrev_b32_sdwa v21, v21, v12 dst_sel:DWORD dst_unused:UNUSED_PAD src0_sel:DWORD src1_sel:WORD_1
	v_bfe_u32 v15, v12, 19, 4
	v_sub_u32_e32 v20, 29, v20
	v_and_b32_e32 v21, 7, v21
	v_cmp_eq_u16_e32 vcc, 0, v14
	v_cndmask_b32_e32 v11, v11, v21, vcc
	v_cndmask_b32_e32 v14, v15, v20, vcc
	v_lshlrev_b32_e32 v15, 8, v12
	v_mov_b32_e32 v20, 0x3b800000
	v_lshlrev_b32_e32 v11, 20, v11
	v_and_b32_e32 v15, 0x80000000, v15
	v_lshl_add_u32 v14, v14, 23, v20
	v_or3_b32 v14, v15, v14, v11
.LBB33_1624:
	s_or_b64 exec, exec, s[6:7]
	s_nop 0
	v_mfma_f32_16x16x4f32 a[0:3], v10, v14, a[0:3]
	s_movk_i32 s4, 0x7f
	v_cmp_gt_i16_sdwa s[6:7], v16, s4 src0_sel:BYTE_3 src1_sel:DWORD
	s_mov_b64 s[4:5], 0
                                        ; implicit-def: $sgpr10
	s_and_saveexec_b64 s[8:9], s[6:7]
	s_xor_b64 s[6:7], exec, s[8:9]
	s_cbranch_execnz .LBB33_3673
; %bb.1625:
	s_or_saveexec_b64 s[6:7], s[6:7]
	v_mov_b32_e32 v10, s10
	s_xor_b64 exec, exec, s[6:7]
	s_cbranch_execnz .LBB33_3676
.LBB33_1626:
	s_or_b64 exec, exec, s[6:7]
	s_and_saveexec_b64 s[6:7], s[4:5]
	s_cbranch_execz .LBB33_1628
.LBB33_1627:
	v_bfe_u32 v10, v16, 24, 3
	v_ffbh_u32_e32 v20, v10
	v_min_u32_e32 v20, 32, v20
	v_lshrrev_b32_e32 v14, 27, v16
	v_subrev_u32_e32 v21, 28, v20
	v_and_b32_e32 v11, 0x80000000, v16
	v_and_b32_e32 v14, 15, v14
	v_bfe_u32 v15, v16, 27, 4
	v_lshlrev_b32_sdwa v16, v21, v16 dst_sel:DWORD dst_unused:UNUSED_PAD src0_sel:DWORD src1_sel:BYTE_3
	v_sub_u32_e32 v20, 29, v20
	v_and_b32_e32 v16, 7, v16
	v_cmp_eq_u16_e32 vcc, 0, v14
	v_cndmask_b32_e32 v10, v10, v16, vcc
	v_cndmask_b32_e32 v14, v15, v20, vcc
	v_mov_b32_e32 v15, 0x3b800000
	v_lshlrev_b32_e32 v10, 20, v10
	v_lshl_add_u32 v14, v14, 23, v15
	v_or3_b32 v10, v11, v14, v10
.LBB33_1628:
	s_or_b64 exec, exec, s[6:7]
	s_movk_i32 s4, 0x7f
	v_cmp_gt_i16_sdwa s[6:7], v12, s4 src0_sel:BYTE_3 src1_sel:DWORD
	s_mov_b64 s[4:5], 0
                                        ; implicit-def: $sgpr10
	s_and_saveexec_b64 s[8:9], s[6:7]
	s_xor_b64 s[6:7], exec, s[8:9]
	s_cbranch_execnz .LBB33_3677
; %bb.1629:
	s_or_saveexec_b64 s[6:7], s[6:7]
	v_mov_b32_e32 v11, s10
	s_xor_b64 exec, exec, s[6:7]
	s_cbranch_execnz .LBB33_3680
.LBB33_1630:
	s_or_b64 exec, exec, s[6:7]
	s_and_saveexec_b64 s[6:7], s[4:5]
	s_cbranch_execz .LBB33_1632
.LBB33_1631:
	v_bfe_u32 v11, v12, 24, 3
	v_ffbh_u32_e32 v20, v11
	v_min_u32_e32 v20, 32, v20
	v_lshrrev_b32_e32 v15, 27, v12
	v_subrev_u32_e32 v21, 28, v20
	v_and_b32_e32 v14, 0x80000000, v12
	v_and_b32_e32 v15, 15, v15
	v_bfe_u32 v16, v12, 27, 4
	v_lshlrev_b32_sdwa v12, v21, v12 dst_sel:DWORD dst_unused:UNUSED_PAD src0_sel:DWORD src1_sel:BYTE_3
	v_sub_u32_e32 v20, 29, v20
	v_and_b32_e32 v12, 7, v12
	v_cmp_eq_u16_e32 vcc, 0, v15
	v_cndmask_b32_e32 v11, v11, v12, vcc
	v_cndmask_b32_e32 v12, v16, v20, vcc
	v_mov_b32_e32 v15, 0x3b800000
	v_lshlrev_b32_e32 v11, 20, v11
	v_lshl_add_u32 v12, v12, 23, v15
	v_or3_b32 v11, v14, v12, v11
.LBB33_1632:
	s_or_b64 exec, exec, s[6:7]
	s_nop 0
	v_mfma_f32_16x16x4f32 a[0:3], v10, v11, a[0:3]
	s_movk_i32 s4, 0x7f
	v_cmp_gt_i16_sdwa s[6:7], v17, s4 src0_sel:BYTE_0 src1_sel:DWORD
	s_mov_b64 s[4:5], 0
                                        ; implicit-def: $sgpr10
	s_and_saveexec_b64 s[8:9], s[6:7]
	s_xor_b64 s[6:7], exec, s[8:9]
	s_cbranch_execnz .LBB33_3681
; %bb.1633:
	s_or_saveexec_b64 s[6:7], s[6:7]
	v_mov_b32_e32 v10, s10
	s_xor_b64 exec, exec, s[6:7]
	s_cbranch_execnz .LBB33_3684
.LBB33_1634:
	s_or_b64 exec, exec, s[6:7]
	s_and_saveexec_b64 s[6:7], s[4:5]
	s_cbranch_execz .LBB33_1636
.LBB33_1635:
	v_and_b32_e32 v10, 7, v17
	v_ffbh_u32_e32 v12, v10
	v_min_u32_e32 v12, 32, v12
	v_lshrrev_b16_e32 v11, 3, v17
	v_subrev_u32_e32 v14, 28, v12
	v_and_b32_e32 v11, 15, v11
	v_lshlrev_b32_e32 v14, v14, v17
	v_sub_u32_e32 v12, 29, v12
	v_and_b32_e32 v14, 7, v14
	v_cmp_eq_u16_e32 vcc, 0, v11
	v_cndmask_b32_e32 v10, v10, v14, vcc
	v_cndmask_b32_e32 v11, v11, v12, vcc
	v_lshlrev_b32_e32 v12, 24, v17
	v_mov_b32_e32 v14, 0x3b800000
	v_lshlrev_b32_e32 v10, 20, v10
	v_and_b32_e32 v12, 0x80000000, v12
	v_lshl_add_u32 v11, v11, 23, v14
	v_or3_b32 v10, v12, v11, v10
.LBB33_1636:
	s_or_b64 exec, exec, s[6:7]
	s_movk_i32 s4, 0x7f
	v_cmp_gt_i16_sdwa s[6:7], v13, s4 src0_sel:BYTE_0 src1_sel:DWORD
	s_mov_b64 s[4:5], 0
                                        ; implicit-def: $sgpr10
	s_and_saveexec_b64 s[8:9], s[6:7]
	s_xor_b64 s[6:7], exec, s[8:9]
	s_cbranch_execnz .LBB33_3685
; %bb.1637:
	s_or_saveexec_b64 s[6:7], s[6:7]
	v_mov_b32_e32 v11, s10
	s_xor_b64 exec, exec, s[6:7]
	s_cbranch_execnz .LBB33_3688
.LBB33_1638:
	s_or_b64 exec, exec, s[6:7]
	s_and_saveexec_b64 s[6:7], s[4:5]
	s_cbranch_execz .LBB33_1640
.LBB33_1639:
	v_and_b32_e32 v11, 7, v13
	v_ffbh_u32_e32 v14, v11
	v_min_u32_e32 v14, 32, v14
	v_lshrrev_b16_e32 v12, 3, v13
	v_subrev_u32_e32 v15, 28, v14
	v_and_b32_e32 v12, 15, v12
	v_lshlrev_b32_e32 v15, v15, v13
	v_sub_u32_e32 v14, 29, v14
	v_and_b32_e32 v15, 7, v15
	v_cmp_eq_u16_e32 vcc, 0, v12
	v_cndmask_b32_e32 v11, v11, v15, vcc
	v_cndmask_b32_e32 v12, v12, v14, vcc
	v_lshlrev_b32_e32 v14, 24, v13
	v_mov_b32_e32 v15, 0x3b800000
	v_lshlrev_b32_e32 v11, 20, v11
	v_and_b32_e32 v14, 0x80000000, v14
	v_lshl_add_u32 v12, v12, 23, v15
	v_or3_b32 v11, v14, v12, v11
.LBB33_1640:
	s_or_b64 exec, exec, s[6:7]
	s_nop 0
	v_mfma_f32_16x16x4f32 a[0:3], v10, v11, a[0:3]
	v_lshrrev_b32_e32 v11, 8, v17
	s_movk_i32 s4, 0x7f
	v_cmp_gt_i16_sdwa s[6:7], v11, s4 src0_sel:BYTE_0 src1_sel:DWORD
	s_mov_b64 s[4:5], 0
                                        ; implicit-def: $sgpr10
	s_and_saveexec_b64 s[8:9], s[6:7]
	s_xor_b64 s[6:7], exec, s[8:9]
	s_cbranch_execnz .LBB33_3689
; %bb.1641:
	s_or_saveexec_b64 s[6:7], s[6:7]
	v_mov_b32_e32 v10, s10
	s_xor_b64 exec, exec, s[6:7]
	s_cbranch_execnz .LBB33_3692
.LBB33_1642:
	s_or_b64 exec, exec, s[6:7]
	s_and_saveexec_b64 s[6:7], s[4:5]
	s_cbranch_execz .LBB33_1644
.LBB33_1643:
	v_bfe_u32 v10, v17, 8, 3
	v_ffbh_u32_e32 v14, v10
	v_min_u32_e32 v14, 32, v14
	v_lshrrev_b16_e32 v12, 3, v11
	v_subrev_u32_e32 v15, 28, v14
	v_and_b32_e32 v12, 15, v12
	v_lshlrev_b32_e32 v11, v15, v11
	v_sub_u32_e32 v14, 29, v14
	v_and_b32_e32 v11, 7, v11
	v_cmp_eq_u16_e32 vcc, 0, v12
	v_cndmask_b32_e32 v10, v10, v11, vcc
	v_cndmask_b32_e32 v11, v12, v14, vcc
	v_lshlrev_b32_e32 v12, 16, v17
	v_mov_b32_e32 v14, 0x3b800000
	v_lshlrev_b32_e32 v10, 20, v10
	v_and_b32_e32 v12, 0x80000000, v12
	v_lshl_add_u32 v11, v11, 23, v14
	v_or3_b32 v10, v12, v11, v10
.LBB33_1644:
	s_or_b64 exec, exec, s[6:7]
	v_lshrrev_b32_e32 v11, 8, v13
	s_movk_i32 s4, 0x7f
	v_cmp_gt_i16_sdwa s[6:7], v11, s4 src0_sel:BYTE_0 src1_sel:DWORD
	s_mov_b64 s[4:5], 0
                                        ; implicit-def: $sgpr10
	s_and_saveexec_b64 s[8:9], s[6:7]
	s_xor_b64 s[6:7], exec, s[8:9]
	s_cbranch_execnz .LBB33_3693
; %bb.1645:
	s_or_saveexec_b64 s[6:7], s[6:7]
	v_mov_b32_e32 v12, s10
	s_xor_b64 exec, exec, s[6:7]
	s_cbranch_execnz .LBB33_3696
.LBB33_1646:
	s_or_b64 exec, exec, s[6:7]
	s_and_saveexec_b64 s[6:7], s[4:5]
	s_cbranch_execz .LBB33_1648
.LBB33_1647:
	v_bfe_u32 v12, v13, 8, 3
	v_ffbh_u32_e32 v15, v12
	v_min_u32_e32 v15, 32, v15
	v_lshrrev_b16_e32 v14, 3, v11
	v_subrev_u32_e32 v16, 28, v15
	v_and_b32_e32 v14, 15, v14
	v_lshlrev_b32_e32 v11, v16, v11
	v_sub_u32_e32 v15, 29, v15
	v_and_b32_e32 v11, 7, v11
	v_cmp_eq_u16_e32 vcc, 0, v14
	v_cndmask_b32_e32 v11, v12, v11, vcc
	v_cndmask_b32_e32 v12, v14, v15, vcc
	v_lshlrev_b32_e32 v14, 16, v13
	v_mov_b32_e32 v15, 0x3b800000
	v_lshlrev_b32_e32 v11, 20, v11
	v_and_b32_e32 v14, 0x80000000, v14
	v_lshl_add_u32 v12, v12, 23, v15
	v_or3_b32 v12, v14, v12, v11
.LBB33_1648:
	s_or_b64 exec, exec, s[6:7]
	s_nop 0
	v_mfma_f32_16x16x4f32 a[0:3], v10, v12, a[0:3]
	s_movk_i32 s4, 0xff
	v_and_b32_sdwa v11, v17, s4 dst_sel:DWORD dst_unused:UNUSED_PAD src0_sel:WORD_1 src1_sel:DWORD
	s_movk_i32 s4, 0x7f
	v_cmp_lt_i16_e32 vcc, s4, v11
	s_mov_b64 s[4:5], 0
                                        ; implicit-def: $sgpr10
	s_and_saveexec_b64 s[6:7], vcc
	s_xor_b64 s[6:7], exec, s[6:7]
	s_cbranch_execnz .LBB33_3697
; %bb.1649:
	s_or_saveexec_b64 s[6:7], s[6:7]
	v_mov_b32_e32 v10, s10
	s_xor_b64 exec, exec, s[6:7]
	s_cbranch_execnz .LBB33_3700
.LBB33_1650:
	s_or_b64 exec, exec, s[6:7]
	s_and_saveexec_b64 s[6:7], s[4:5]
	s_cbranch_execz .LBB33_1652
.LBB33_1651:
	v_bfe_u32 v10, v17, 16, 3
	v_ffbh_u32_e32 v14, v10
	v_min_u32_e32 v14, 32, v14
	v_lshrrev_b32_e32 v11, 19, v17
	v_subrev_u32_e32 v15, 28, v14
	v_and_b32_e32 v11, 15, v11
	v_lshlrev_b32_sdwa v15, v15, v17 dst_sel:DWORD dst_unused:UNUSED_PAD src0_sel:DWORD src1_sel:WORD_1
	v_bfe_u32 v12, v17, 19, 4
	v_sub_u32_e32 v14, 29, v14
	v_and_b32_e32 v15, 7, v15
	v_cmp_eq_u16_e32 vcc, 0, v11
	v_cndmask_b32_e32 v10, v10, v15, vcc
	v_cndmask_b32_e32 v11, v12, v14, vcc
	v_lshlrev_b32_e32 v12, 8, v17
	v_mov_b32_e32 v14, 0x3b800000
	v_lshlrev_b32_e32 v10, 20, v10
	v_and_b32_e32 v12, 0x80000000, v12
	v_lshl_add_u32 v11, v11, 23, v14
	v_or3_b32 v10, v12, v11, v10
.LBB33_1652:
	s_or_b64 exec, exec, s[6:7]
	s_movk_i32 s4, 0xff
	v_and_b32_sdwa v11, v13, s4 dst_sel:DWORD dst_unused:UNUSED_PAD src0_sel:WORD_1 src1_sel:DWORD
	s_movk_i32 s4, 0x7f
	v_cmp_lt_i16_e32 vcc, s4, v11
	s_mov_b64 s[4:5], 0
                                        ; implicit-def: $sgpr10
	s_and_saveexec_b64 s[6:7], vcc
	s_xor_b64 s[6:7], exec, s[6:7]
	s_cbranch_execnz .LBB33_3701
; %bb.1653:
	s_or_saveexec_b64 s[6:7], s[6:7]
	v_mov_b32_e32 v12, s10
	s_xor_b64 exec, exec, s[6:7]
	s_cbranch_execnz .LBB33_3704
.LBB33_1654:
	s_or_b64 exec, exec, s[6:7]
	s_and_saveexec_b64 s[6:7], s[4:5]
	s_cbranch_execz .LBB33_1656
.LBB33_1655:
	v_bfe_u32 v11, v13, 16, 3
	v_ffbh_u32_e32 v15, v11
	v_min_u32_e32 v15, 32, v15
	v_lshrrev_b32_e32 v12, 19, v13
	v_subrev_u32_e32 v16, 28, v15
	v_and_b32_e32 v12, 15, v12
	v_lshlrev_b32_sdwa v16, v16, v13 dst_sel:DWORD dst_unused:UNUSED_PAD src0_sel:DWORD src1_sel:WORD_1
	v_bfe_u32 v14, v13, 19, 4
	v_sub_u32_e32 v15, 29, v15
	v_and_b32_e32 v16, 7, v16
	v_cmp_eq_u16_e32 vcc, 0, v12
	v_cndmask_b32_e32 v11, v11, v16, vcc
	v_cndmask_b32_e32 v12, v14, v15, vcc
	v_lshlrev_b32_e32 v14, 8, v13
	v_mov_b32_e32 v15, 0x3b800000
	v_lshlrev_b32_e32 v11, 20, v11
	v_and_b32_e32 v14, 0x80000000, v14
	v_lshl_add_u32 v12, v12, 23, v15
	v_or3_b32 v12, v14, v12, v11
.LBB33_1656:
	s_or_b64 exec, exec, s[6:7]
	s_nop 0
	v_mfma_f32_16x16x4f32 a[0:3], v10, v12, a[0:3]
	s_movk_i32 s4, 0x7f
	v_cmp_gt_i16_sdwa s[6:7], v17, s4 src0_sel:BYTE_3 src1_sel:DWORD
	s_mov_b64 s[4:5], 0
                                        ; implicit-def: $sgpr10
	s_and_saveexec_b64 s[8:9], s[6:7]
	s_xor_b64 s[6:7], exec, s[8:9]
	s_cbranch_execnz .LBB33_3705
; %bb.1657:
	s_or_saveexec_b64 s[6:7], s[6:7]
	v_mov_b32_e32 v10, s10
	s_xor_b64 exec, exec, s[6:7]
	s_cbranch_execnz .LBB33_3708
.LBB33_1658:
	s_or_b64 exec, exec, s[6:7]
	s_and_saveexec_b64 s[6:7], s[4:5]
	s_cbranch_execz .LBB33_1660
.LBB33_1659:
	v_bfe_u32 v10, v17, 24, 3
	v_ffbh_u32_e32 v15, v10
	v_min_u32_e32 v15, 32, v15
	v_lshrrev_b32_e32 v12, 27, v17
	v_subrev_u32_e32 v16, 28, v15
	v_and_b32_e32 v12, 15, v12
	v_lshlrev_b32_sdwa v16, v16, v17 dst_sel:DWORD dst_unused:UNUSED_PAD src0_sel:DWORD src1_sel:BYTE_3
	v_bfe_u32 v14, v17, 27, 4
	v_sub_u32_e32 v15, 29, v15
	v_and_b32_e32 v16, 7, v16
	v_cmp_eq_u16_e32 vcc, 0, v12
	v_cndmask_b32_e32 v10, v10, v16, vcc
	v_cndmask_b32_e32 v12, v14, v15, vcc
	v_mov_b32_e32 v14, 0x3b800000
	v_and_b32_e32 v11, 0x80000000, v17
	v_lshlrev_b32_e32 v10, 20, v10
	v_lshl_add_u32 v12, v12, 23, v14
	v_or3_b32 v10, v11, v12, v10
.LBB33_1660:
	s_or_b64 exec, exec, s[6:7]
	s_movk_i32 s4, 0x7f
	v_cmp_gt_i16_sdwa s[6:7], v13, s4 src0_sel:BYTE_3 src1_sel:DWORD
	s_mov_b64 s[4:5], 0
                                        ; implicit-def: $sgpr10
	s_and_saveexec_b64 s[8:9], s[6:7]
	s_xor_b64 s[6:7], exec, s[8:9]
	s_cbranch_execnz .LBB33_3709
; %bb.1661:
	s_or_saveexec_b64 s[6:7], s[6:7]
	v_mov_b32_e32 v11, s10
	s_xor_b64 exec, exec, s[6:7]
	s_cbranch_execnz .LBB33_3712
.LBB33_1662:
	s_or_b64 exec, exec, s[6:7]
	s_and_saveexec_b64 s[6:7], s[4:5]
	s_cbranch_execz .LBB33_1664
.LBB33_1663:
	v_bfe_u32 v11, v13, 24, 3
	v_ffbh_u32_e32 v16, v11
	v_min_u32_e32 v16, 32, v16
	v_lshrrev_b32_e32 v14, 27, v13
	v_subrev_u32_e32 v17, 28, v16
	v_and_b32_e32 v12, 0x80000000, v13
	v_and_b32_e32 v14, 15, v14
	v_bfe_u32 v15, v13, 27, 4
	v_lshlrev_b32_sdwa v13, v17, v13 dst_sel:DWORD dst_unused:UNUSED_PAD src0_sel:DWORD src1_sel:BYTE_3
	v_sub_u32_e32 v16, 29, v16
	v_and_b32_e32 v13, 7, v13
	v_cmp_eq_u16_e32 vcc, 0, v14
	v_cndmask_b32_e32 v11, v11, v13, vcc
	v_cndmask_b32_e32 v13, v15, v16, vcc
	v_mov_b32_e32 v14, 0x3b800000
	v_lshlrev_b32_e32 v11, 20, v11
	v_lshl_add_u32 v13, v13, 23, v14
	v_or3_b32 v11, v12, v13, v11
.LBB33_1664:
	s_or_b64 exec, exec, s[6:7]
	s_nop 0
	v_mfma_f32_16x16x4f32 a[0:3], v10, v11, a[0:3]
	s_movk_i32 s4, 0x7f
	v_cmp_gt_i16_sdwa s[6:7], v6, s4 src0_sel:BYTE_0 src1_sel:DWORD
	s_mov_b64 s[4:5], 0
                                        ; implicit-def: $sgpr10
	s_and_saveexec_b64 s[8:9], s[6:7]
	s_xor_b64 s[6:7], exec, s[8:9]
	s_cbranch_execnz .LBB33_3713
; %bb.1665:
	s_or_saveexec_b64 s[6:7], s[6:7]
	v_mov_b32_e32 v10, s10
	s_xor_b64 exec, exec, s[6:7]
	s_cbranch_execnz .LBB33_3716
.LBB33_1666:
	s_or_b64 exec, exec, s[6:7]
	s_and_saveexec_b64 s[6:7], s[4:5]
	s_cbranch_execz .LBB33_1668
.LBB33_1667:
	v_and_b32_e32 v10, 7, v6
	v_ffbh_u32_e32 v12, v10
	v_min_u32_e32 v12, 32, v12
	v_lshrrev_b16_e32 v11, 3, v6
	v_subrev_u32_e32 v13, 28, v12
	v_and_b32_e32 v11, 15, v11
	v_lshlrev_b32_e32 v13, v13, v6
	v_sub_u32_e32 v12, 29, v12
	v_and_b32_e32 v13, 7, v13
	v_cmp_eq_u16_e32 vcc, 0, v11
	v_cndmask_b32_e32 v10, v10, v13, vcc
	v_cndmask_b32_e32 v11, v11, v12, vcc
	v_lshlrev_b32_e32 v12, 24, v6
	v_mov_b32_e32 v13, 0x3b800000
	v_lshlrev_b32_e32 v10, 20, v10
	v_and_b32_e32 v12, 0x80000000, v12
	v_lshl_add_u32 v11, v11, 23, v13
	v_or3_b32 v10, v12, v11, v10
.LBB33_1668:
	s_or_b64 exec, exec, s[6:7]
	s_movk_i32 s4, 0x7f
	v_cmp_gt_i16_sdwa s[6:7], v2, s4 src0_sel:BYTE_0 src1_sel:DWORD
	s_mov_b64 s[4:5], 0
                                        ; implicit-def: $sgpr10
	s_and_saveexec_b64 s[8:9], s[6:7]
	s_xor_b64 s[6:7], exec, s[8:9]
	s_cbranch_execnz .LBB33_3717
; %bb.1669:
	s_or_saveexec_b64 s[6:7], s[6:7]
	v_mov_b32_e32 v11, s10
	s_xor_b64 exec, exec, s[6:7]
	s_cbranch_execnz .LBB33_3720
.LBB33_1670:
	s_or_b64 exec, exec, s[6:7]
	s_and_saveexec_b64 s[6:7], s[4:5]
	s_cbranch_execz .LBB33_1672
.LBB33_1671:
	v_and_b32_e32 v11, 7, v2
	v_ffbh_u32_e32 v13, v11
	v_min_u32_e32 v13, 32, v13
	v_lshrrev_b16_e32 v12, 3, v2
	v_subrev_u32_e32 v14, 28, v13
	v_and_b32_e32 v12, 15, v12
	v_lshlrev_b32_e32 v14, v14, v2
	v_sub_u32_e32 v13, 29, v13
	v_and_b32_e32 v14, 7, v14
	v_cmp_eq_u16_e32 vcc, 0, v12
	v_cndmask_b32_e32 v11, v11, v14, vcc
	v_cndmask_b32_e32 v12, v12, v13, vcc
	v_lshlrev_b32_e32 v13, 24, v2
	v_mov_b32_e32 v14, 0x3b800000
	v_lshlrev_b32_e32 v11, 20, v11
	v_and_b32_e32 v13, 0x80000000, v13
	v_lshl_add_u32 v12, v12, 23, v14
	v_or3_b32 v11, v13, v12, v11
.LBB33_1672:
	s_or_b64 exec, exec, s[6:7]
	s_nop 0
	v_mfma_f32_16x16x4f32 a[0:3], v10, v11, a[0:3]
	v_lshrrev_b32_e32 v11, 8, v6
	s_movk_i32 s4, 0x7f
	v_cmp_gt_i16_sdwa s[6:7], v11, s4 src0_sel:BYTE_0 src1_sel:DWORD
	s_mov_b64 s[4:5], 0
                                        ; implicit-def: $sgpr10
	s_and_saveexec_b64 s[8:9], s[6:7]
	s_xor_b64 s[6:7], exec, s[8:9]
	s_cbranch_execnz .LBB33_3721
; %bb.1673:
	s_or_saveexec_b64 s[6:7], s[6:7]
	v_mov_b32_e32 v10, s10
	s_xor_b64 exec, exec, s[6:7]
	s_cbranch_execnz .LBB33_3724
.LBB33_1674:
	s_or_b64 exec, exec, s[6:7]
	s_and_saveexec_b64 s[6:7], s[4:5]
	s_cbranch_execz .LBB33_1676
.LBB33_1675:
	v_bfe_u32 v10, v6, 8, 3
	v_ffbh_u32_e32 v13, v10
	v_min_u32_e32 v13, 32, v13
	v_lshrrev_b16_e32 v12, 3, v11
	v_subrev_u32_e32 v14, 28, v13
	v_and_b32_e32 v12, 15, v12
	v_lshlrev_b32_e32 v11, v14, v11
	v_sub_u32_e32 v13, 29, v13
	v_and_b32_e32 v11, 7, v11
	v_cmp_eq_u16_e32 vcc, 0, v12
	v_cndmask_b32_e32 v10, v10, v11, vcc
	v_cndmask_b32_e32 v11, v12, v13, vcc
	v_lshlrev_b32_e32 v12, 16, v6
	v_mov_b32_e32 v13, 0x3b800000
	v_lshlrev_b32_e32 v10, 20, v10
	v_and_b32_e32 v12, 0x80000000, v12
	v_lshl_add_u32 v11, v11, 23, v13
	v_or3_b32 v10, v12, v11, v10
.LBB33_1676:
	s_or_b64 exec, exec, s[6:7]
	v_lshrrev_b32_e32 v11, 8, v2
	s_movk_i32 s4, 0x7f
	v_cmp_gt_i16_sdwa s[6:7], v11, s4 src0_sel:BYTE_0 src1_sel:DWORD
	s_mov_b64 s[4:5], 0
                                        ; implicit-def: $sgpr10
	s_and_saveexec_b64 s[8:9], s[6:7]
	s_xor_b64 s[6:7], exec, s[8:9]
	s_cbranch_execnz .LBB33_3725
; %bb.1677:
	s_or_saveexec_b64 s[6:7], s[6:7]
	v_mov_b32_e32 v12, s10
	s_xor_b64 exec, exec, s[6:7]
	s_cbranch_execnz .LBB33_3728
.LBB33_1678:
	s_or_b64 exec, exec, s[6:7]
	s_and_saveexec_b64 s[6:7], s[4:5]
	s_cbranch_execz .LBB33_1680
.LBB33_1679:
	v_bfe_u32 v12, v2, 8, 3
	v_ffbh_u32_e32 v14, v12
	v_min_u32_e32 v14, 32, v14
	v_lshrrev_b16_e32 v13, 3, v11
	v_subrev_u32_e32 v15, 28, v14
	v_and_b32_e32 v13, 15, v13
	v_lshlrev_b32_e32 v11, v15, v11
	v_sub_u32_e32 v14, 29, v14
	v_and_b32_e32 v11, 7, v11
	v_cmp_eq_u16_e32 vcc, 0, v13
	v_cndmask_b32_e32 v11, v12, v11, vcc
	v_cndmask_b32_e32 v12, v13, v14, vcc
	v_lshlrev_b32_e32 v13, 16, v2
	v_mov_b32_e32 v14, 0x3b800000
	v_lshlrev_b32_e32 v11, 20, v11
	v_and_b32_e32 v13, 0x80000000, v13
	v_lshl_add_u32 v12, v12, 23, v14
	v_or3_b32 v12, v13, v12, v11
.LBB33_1680:
	s_or_b64 exec, exec, s[6:7]
	s_nop 0
	v_mfma_f32_16x16x4f32 a[0:3], v10, v12, a[0:3]
	s_movk_i32 s4, 0xff
	v_and_b32_sdwa v11, v6, s4 dst_sel:DWORD dst_unused:UNUSED_PAD src0_sel:WORD_1 src1_sel:DWORD
	s_movk_i32 s4, 0x7f
	v_cmp_lt_i16_e32 vcc, s4, v11
	s_mov_b64 s[4:5], 0
                                        ; implicit-def: $sgpr10
	s_and_saveexec_b64 s[6:7], vcc
	s_xor_b64 s[6:7], exec, s[6:7]
	s_cbranch_execnz .LBB33_3729
; %bb.1681:
	s_or_saveexec_b64 s[6:7], s[6:7]
	v_mov_b32_e32 v10, s10
	s_xor_b64 exec, exec, s[6:7]
	s_cbranch_execnz .LBB33_3732
.LBB33_1682:
	s_or_b64 exec, exec, s[6:7]
	s_and_saveexec_b64 s[6:7], s[4:5]
	s_cbranch_execz .LBB33_1684
.LBB33_1683:
	v_bfe_u32 v10, v6, 16, 3
	v_ffbh_u32_e32 v13, v10
	v_min_u32_e32 v13, 32, v13
	v_lshrrev_b32_e32 v11, 19, v6
	v_subrev_u32_e32 v14, 28, v13
	v_and_b32_e32 v11, 15, v11
	v_lshlrev_b32_sdwa v14, v14, v6 dst_sel:DWORD dst_unused:UNUSED_PAD src0_sel:DWORD src1_sel:WORD_1
	v_bfe_u32 v12, v6, 19, 4
	v_sub_u32_e32 v13, 29, v13
	v_and_b32_e32 v14, 7, v14
	v_cmp_eq_u16_e32 vcc, 0, v11
	v_cndmask_b32_e32 v10, v10, v14, vcc
	v_cndmask_b32_e32 v11, v12, v13, vcc
	v_lshlrev_b32_e32 v12, 8, v6
	v_mov_b32_e32 v13, 0x3b800000
	v_lshlrev_b32_e32 v10, 20, v10
	v_and_b32_e32 v12, 0x80000000, v12
	v_lshl_add_u32 v11, v11, 23, v13
	v_or3_b32 v10, v12, v11, v10
.LBB33_1684:
	s_or_b64 exec, exec, s[6:7]
	s_movk_i32 s4, 0xff
	v_and_b32_sdwa v11, v2, s4 dst_sel:DWORD dst_unused:UNUSED_PAD src0_sel:WORD_1 src1_sel:DWORD
	s_movk_i32 s4, 0x7f
	v_cmp_lt_i16_e32 vcc, s4, v11
	s_mov_b64 s[4:5], 0
                                        ; implicit-def: $sgpr10
	s_and_saveexec_b64 s[6:7], vcc
	s_xor_b64 s[6:7], exec, s[6:7]
	s_cbranch_execnz .LBB33_3733
; %bb.1685:
	s_or_saveexec_b64 s[6:7], s[6:7]
	v_mov_b32_e32 v12, s10
	s_xor_b64 exec, exec, s[6:7]
	s_cbranch_execnz .LBB33_3736
.LBB33_1686:
	s_or_b64 exec, exec, s[6:7]
	s_and_saveexec_b64 s[6:7], s[4:5]
	s_cbranch_execz .LBB33_1688
.LBB33_1687:
	v_bfe_u32 v11, v2, 16, 3
	v_ffbh_u32_e32 v14, v11
	v_min_u32_e32 v14, 32, v14
	v_lshrrev_b32_e32 v12, 19, v2
	v_subrev_u32_e32 v15, 28, v14
	v_and_b32_e32 v12, 15, v12
	v_lshlrev_b32_sdwa v15, v15, v2 dst_sel:DWORD dst_unused:UNUSED_PAD src0_sel:DWORD src1_sel:WORD_1
	v_bfe_u32 v13, v2, 19, 4
	v_sub_u32_e32 v14, 29, v14
	v_and_b32_e32 v15, 7, v15
	v_cmp_eq_u16_e32 vcc, 0, v12
	v_cndmask_b32_e32 v11, v11, v15, vcc
	v_cndmask_b32_e32 v12, v13, v14, vcc
	v_lshlrev_b32_e32 v13, 8, v2
	v_mov_b32_e32 v14, 0x3b800000
	v_lshlrev_b32_e32 v11, 20, v11
	v_and_b32_e32 v13, 0x80000000, v13
	v_lshl_add_u32 v12, v12, 23, v14
	v_or3_b32 v12, v13, v12, v11
.LBB33_1688:
	s_or_b64 exec, exec, s[6:7]
	s_nop 0
	v_mfma_f32_16x16x4f32 a[0:3], v10, v12, a[0:3]
	s_movk_i32 s4, 0x7f
	v_cmp_gt_i16_sdwa s[6:7], v6, s4 src0_sel:BYTE_3 src1_sel:DWORD
	s_mov_b64 s[4:5], 0
                                        ; implicit-def: $sgpr10
	s_and_saveexec_b64 s[8:9], s[6:7]
	s_xor_b64 s[6:7], exec, s[8:9]
	s_cbranch_execnz .LBB33_3737
; %bb.1689:
	s_or_saveexec_b64 s[6:7], s[6:7]
	v_mov_b32_e32 v10, s10
	s_xor_b64 exec, exec, s[6:7]
	s_cbranch_execnz .LBB33_3740
.LBB33_1690:
	s_or_b64 exec, exec, s[6:7]
	s_and_saveexec_b64 s[6:7], s[4:5]
	s_cbranch_execz .LBB33_1692
.LBB33_1691:
	v_bfe_u32 v10, v6, 24, 3
	v_ffbh_u32_e32 v14, v10
	v_min_u32_e32 v14, 32, v14
	v_lshrrev_b32_e32 v12, 27, v6
	v_subrev_u32_e32 v15, 28, v14
	v_and_b32_e32 v11, 0x80000000, v6
	v_and_b32_e32 v12, 15, v12
	v_bfe_u32 v13, v6, 27, 4
	v_lshlrev_b32_sdwa v6, v15, v6 dst_sel:DWORD dst_unused:UNUSED_PAD src0_sel:DWORD src1_sel:BYTE_3
	v_sub_u32_e32 v14, 29, v14
	v_and_b32_e32 v6, 7, v6
	v_cmp_eq_u16_e32 vcc, 0, v12
	v_cndmask_b32_e32 v6, v10, v6, vcc
	v_cndmask_b32_e32 v10, v13, v14, vcc
	v_mov_b32_e32 v12, 0x3b800000
	v_lshlrev_b32_e32 v6, 20, v6
	v_lshl_add_u32 v10, v10, 23, v12
	v_or3_b32 v10, v11, v10, v6
.LBB33_1692:
	s_or_b64 exec, exec, s[6:7]
	s_movk_i32 s4, 0x7f
	v_cmp_gt_i16_sdwa s[6:7], v2, s4 src0_sel:BYTE_3 src1_sel:DWORD
	s_mov_b64 s[4:5], 0
                                        ; implicit-def: $sgpr10
	s_and_saveexec_b64 s[8:9], s[6:7]
	s_xor_b64 s[6:7], exec, s[8:9]
	s_cbranch_execnz .LBB33_3741
; %bb.1693:
	s_or_saveexec_b64 s[6:7], s[6:7]
	v_mov_b32_e32 v6, s10
	s_xor_b64 exec, exec, s[6:7]
	s_cbranch_execnz .LBB33_3744
.LBB33_1694:
	s_or_b64 exec, exec, s[6:7]
	s_and_saveexec_b64 s[6:7], s[4:5]
	s_cbranch_execz .LBB33_1696
.LBB33_1695:
	v_bfe_u32 v6, v2, 24, 3
	v_ffbh_u32_e32 v14, v6
	v_min_u32_e32 v14, 32, v14
	v_lshrrev_b32_e32 v12, 27, v2
	v_subrev_u32_e32 v15, 28, v14
	v_and_b32_e32 v11, 0x80000000, v2
	v_and_b32_e32 v12, 15, v12
	v_bfe_u32 v13, v2, 27, 4
	v_lshlrev_b32_sdwa v2, v15, v2 dst_sel:DWORD dst_unused:UNUSED_PAD src0_sel:DWORD src1_sel:BYTE_3
	v_sub_u32_e32 v14, 29, v14
	v_and_b32_e32 v2, 7, v2
	v_cmp_eq_u16_e32 vcc, 0, v12
	v_cndmask_b32_e32 v2, v6, v2, vcc
	v_cndmask_b32_e32 v6, v13, v14, vcc
	v_mov_b32_e32 v12, 0x3b800000
	v_lshlrev_b32_e32 v2, 20, v2
	v_lshl_add_u32 v6, v6, 23, v12
	v_or3_b32 v6, v11, v6, v2
.LBB33_1696:
	s_or_b64 exec, exec, s[6:7]
	s_nop 0
	v_mfma_f32_16x16x4f32 a[0:3], v10, v6, a[0:3]
	s_movk_i32 s4, 0x7f
	v_cmp_gt_i16_sdwa s[6:7], v7, s4 src0_sel:BYTE_0 src1_sel:DWORD
	s_mov_b64 s[4:5], 0
                                        ; implicit-def: $sgpr10
	s_and_saveexec_b64 s[8:9], s[6:7]
	s_xor_b64 s[6:7], exec, s[8:9]
	s_cbranch_execnz .LBB33_3745
; %bb.1697:
	s_or_saveexec_b64 s[6:7], s[6:7]
	v_mov_b32_e32 v2, s10
	s_xor_b64 exec, exec, s[6:7]
	s_cbranch_execnz .LBB33_3748
.LBB33_1698:
	s_or_b64 exec, exec, s[6:7]
	s_and_saveexec_b64 s[6:7], s[4:5]
	s_cbranch_execz .LBB33_1700
.LBB33_1699:
	v_and_b32_e32 v2, 7, v7
	v_ffbh_u32_e32 v10, v2
	v_min_u32_e32 v10, 32, v10
	v_lshrrev_b16_e32 v6, 3, v7
	v_subrev_u32_e32 v11, 28, v10
	v_and_b32_e32 v6, 15, v6
	v_lshlrev_b32_e32 v11, v11, v7
	v_sub_u32_e32 v10, 29, v10
	v_and_b32_e32 v11, 7, v11
	v_cmp_eq_u16_e32 vcc, 0, v6
	v_cndmask_b32_e32 v2, v2, v11, vcc
	v_cndmask_b32_e32 v6, v6, v10, vcc
	v_lshlrev_b32_e32 v10, 24, v7
	v_mov_b32_e32 v11, 0x3b800000
	v_lshlrev_b32_e32 v2, 20, v2
	v_and_b32_e32 v10, 0x80000000, v10
	v_lshl_add_u32 v6, v6, 23, v11
	v_or3_b32 v2, v10, v6, v2
.LBB33_1700:
	s_or_b64 exec, exec, s[6:7]
	s_movk_i32 s4, 0x7f
	v_cmp_gt_i16_sdwa s[6:7], v3, s4 src0_sel:BYTE_0 src1_sel:DWORD
	s_mov_b64 s[4:5], 0
                                        ; implicit-def: $sgpr10
	s_and_saveexec_b64 s[8:9], s[6:7]
	s_xor_b64 s[6:7], exec, s[8:9]
	s_cbranch_execnz .LBB33_3749
; %bb.1701:
	s_or_saveexec_b64 s[6:7], s[6:7]
	v_mov_b32_e32 v6, s10
	s_xor_b64 exec, exec, s[6:7]
	s_cbranch_execnz .LBB33_3752
.LBB33_1702:
	s_or_b64 exec, exec, s[6:7]
	s_and_saveexec_b64 s[6:7], s[4:5]
	s_cbranch_execz .LBB33_1704
.LBB33_1703:
	v_and_b32_e32 v6, 7, v3
	v_ffbh_u32_e32 v11, v6
	v_min_u32_e32 v11, 32, v11
	v_lshrrev_b16_e32 v10, 3, v3
	v_subrev_u32_e32 v12, 28, v11
	v_and_b32_e32 v10, 15, v10
	v_lshlrev_b32_e32 v12, v12, v3
	v_sub_u32_e32 v11, 29, v11
	v_and_b32_e32 v12, 7, v12
	v_cmp_eq_u16_e32 vcc, 0, v10
	v_cndmask_b32_e32 v6, v6, v12, vcc
	v_cndmask_b32_e32 v10, v10, v11, vcc
	v_lshlrev_b32_e32 v11, 24, v3
	v_mov_b32_e32 v12, 0x3b800000
	v_lshlrev_b32_e32 v6, 20, v6
	v_and_b32_e32 v11, 0x80000000, v11
	v_lshl_add_u32 v10, v10, 23, v12
	v_or3_b32 v6, v11, v10, v6
.LBB33_1704:
	s_or_b64 exec, exec, s[6:7]
	s_nop 0
	v_mfma_f32_16x16x4f32 a[0:3], v2, v6, a[0:3]
	v_lshrrev_b32_e32 v6, 8, v7
	s_movk_i32 s4, 0x7f
	v_cmp_gt_i16_sdwa s[6:7], v6, s4 src0_sel:BYTE_0 src1_sel:DWORD
	s_mov_b64 s[4:5], 0
                                        ; implicit-def: $sgpr10
	s_and_saveexec_b64 s[8:9], s[6:7]
	s_xor_b64 s[6:7], exec, s[8:9]
	s_cbranch_execnz .LBB33_3753
; %bb.1705:
	s_or_saveexec_b64 s[6:7], s[6:7]
	v_mov_b32_e32 v2, s10
	s_xor_b64 exec, exec, s[6:7]
	s_cbranch_execnz .LBB33_3756
.LBB33_1706:
	s_or_b64 exec, exec, s[6:7]
	s_and_saveexec_b64 s[6:7], s[4:5]
	s_cbranch_execz .LBB33_1708
.LBB33_1707:
	v_bfe_u32 v2, v7, 8, 3
	v_ffbh_u32_e32 v11, v2
	v_min_u32_e32 v11, 32, v11
	v_lshrrev_b16_e32 v10, 3, v6
	v_subrev_u32_e32 v12, 28, v11
	v_and_b32_e32 v10, 15, v10
	v_lshlrev_b32_e32 v6, v12, v6
	v_sub_u32_e32 v11, 29, v11
	v_and_b32_e32 v6, 7, v6
	v_cmp_eq_u16_e32 vcc, 0, v10
	v_cndmask_b32_e32 v2, v2, v6, vcc
	v_cndmask_b32_e32 v6, v10, v11, vcc
	v_lshlrev_b32_e32 v10, 16, v7
	v_mov_b32_e32 v11, 0x3b800000
	v_lshlrev_b32_e32 v2, 20, v2
	v_and_b32_e32 v10, 0x80000000, v10
	v_lshl_add_u32 v6, v6, 23, v11
	v_or3_b32 v2, v10, v6, v2
.LBB33_1708:
	s_or_b64 exec, exec, s[6:7]
	v_lshrrev_b32_e32 v6, 8, v3
	s_movk_i32 s4, 0x7f
	v_cmp_gt_i16_sdwa s[6:7], v6, s4 src0_sel:BYTE_0 src1_sel:DWORD
	s_mov_b64 s[4:5], 0
                                        ; implicit-def: $sgpr10
	s_and_saveexec_b64 s[8:9], s[6:7]
	s_xor_b64 s[6:7], exec, s[8:9]
	s_cbranch_execnz .LBB33_3757
; %bb.1709:
	s_or_saveexec_b64 s[6:7], s[6:7]
	v_mov_b32_e32 v10, s10
	s_xor_b64 exec, exec, s[6:7]
	s_cbranch_execnz .LBB33_3760
.LBB33_1710:
	s_or_b64 exec, exec, s[6:7]
	s_and_saveexec_b64 s[6:7], s[4:5]
	s_cbranch_execz .LBB33_1712
.LBB33_1711:
	v_bfe_u32 v10, v3, 8, 3
	v_ffbh_u32_e32 v12, v10
	v_min_u32_e32 v12, 32, v12
	v_lshrrev_b16_e32 v11, 3, v6
	v_subrev_u32_e32 v13, 28, v12
	v_and_b32_e32 v11, 15, v11
	v_lshlrev_b32_e32 v6, v13, v6
	v_sub_u32_e32 v12, 29, v12
	v_and_b32_e32 v6, 7, v6
	v_cmp_eq_u16_e32 vcc, 0, v11
	v_cndmask_b32_e32 v6, v10, v6, vcc
	v_cndmask_b32_e32 v10, v11, v12, vcc
	v_lshlrev_b32_e32 v11, 16, v3
	v_mov_b32_e32 v12, 0x3b800000
	v_lshlrev_b32_e32 v6, 20, v6
	v_and_b32_e32 v11, 0x80000000, v11
	v_lshl_add_u32 v10, v10, 23, v12
	v_or3_b32 v10, v11, v10, v6
.LBB33_1712:
	s_or_b64 exec, exec, s[6:7]
	s_nop 0
	v_mfma_f32_16x16x4f32 a[0:3], v2, v10, a[0:3]
	s_movk_i32 s4, 0xff
	v_and_b32_sdwa v6, v7, s4 dst_sel:DWORD dst_unused:UNUSED_PAD src0_sel:WORD_1 src1_sel:DWORD
	s_movk_i32 s4, 0x7f
	v_cmp_lt_i16_e32 vcc, s4, v6
	s_mov_b64 s[4:5], 0
                                        ; implicit-def: $sgpr10
	s_and_saveexec_b64 s[6:7], vcc
	s_xor_b64 s[6:7], exec, s[6:7]
	s_cbranch_execnz .LBB33_3761
; %bb.1713:
	s_or_saveexec_b64 s[6:7], s[6:7]
	v_mov_b32_e32 v2, s10
	s_xor_b64 exec, exec, s[6:7]
	s_cbranch_execnz .LBB33_3764
.LBB33_1714:
	s_or_b64 exec, exec, s[6:7]
	s_and_saveexec_b64 s[6:7], s[4:5]
	s_cbranch_execz .LBB33_1716
.LBB33_1715:
	v_bfe_u32 v2, v7, 16, 3
	v_ffbh_u32_e32 v11, v2
	v_min_u32_e32 v11, 32, v11
	v_lshrrev_b32_e32 v6, 19, v7
	v_subrev_u32_e32 v12, 28, v11
	v_and_b32_e32 v6, 15, v6
	v_lshlrev_b32_sdwa v12, v12, v7 dst_sel:DWORD dst_unused:UNUSED_PAD src0_sel:DWORD src1_sel:WORD_1
	v_bfe_u32 v10, v7, 19, 4
	v_sub_u32_e32 v11, 29, v11
	v_and_b32_e32 v12, 7, v12
	v_cmp_eq_u16_e32 vcc, 0, v6
	v_cndmask_b32_e32 v2, v2, v12, vcc
	v_cndmask_b32_e32 v6, v10, v11, vcc
	v_lshlrev_b32_e32 v10, 8, v7
	v_mov_b32_e32 v11, 0x3b800000
	v_lshlrev_b32_e32 v2, 20, v2
	v_and_b32_e32 v10, 0x80000000, v10
	v_lshl_add_u32 v6, v6, 23, v11
	v_or3_b32 v2, v10, v6, v2
.LBB33_1716:
	s_or_b64 exec, exec, s[6:7]
	s_movk_i32 s4, 0xff
	v_and_b32_sdwa v6, v3, s4 dst_sel:DWORD dst_unused:UNUSED_PAD src0_sel:WORD_1 src1_sel:DWORD
	s_movk_i32 s4, 0x7f
	v_cmp_lt_i16_e32 vcc, s4, v6
	s_mov_b64 s[4:5], 0
                                        ; implicit-def: $sgpr10
	s_and_saveexec_b64 s[6:7], vcc
	s_xor_b64 s[6:7], exec, s[6:7]
	s_cbranch_execnz .LBB33_3765
; %bb.1717:
	s_or_saveexec_b64 s[6:7], s[6:7]
	v_mov_b32_e32 v10, s10
	s_xor_b64 exec, exec, s[6:7]
	s_cbranch_execnz .LBB33_3768
.LBB33_1718:
	s_or_b64 exec, exec, s[6:7]
	s_and_saveexec_b64 s[6:7], s[4:5]
	s_cbranch_execz .LBB33_1720
.LBB33_1719:
	v_bfe_u32 v6, v3, 16, 3
	v_ffbh_u32_e32 v12, v6
	v_min_u32_e32 v12, 32, v12
	v_lshrrev_b32_e32 v10, 19, v3
	v_subrev_u32_e32 v13, 28, v12
	v_and_b32_e32 v10, 15, v10
	v_lshlrev_b32_sdwa v13, v13, v3 dst_sel:DWORD dst_unused:UNUSED_PAD src0_sel:DWORD src1_sel:WORD_1
	v_bfe_u32 v11, v3, 19, 4
	v_sub_u32_e32 v12, 29, v12
	v_and_b32_e32 v13, 7, v13
	v_cmp_eq_u16_e32 vcc, 0, v10
	v_cndmask_b32_e32 v6, v6, v13, vcc
	v_cndmask_b32_e32 v10, v11, v12, vcc
	v_lshlrev_b32_e32 v11, 8, v3
	v_mov_b32_e32 v12, 0x3b800000
	v_lshlrev_b32_e32 v6, 20, v6
	v_and_b32_e32 v11, 0x80000000, v11
	v_lshl_add_u32 v10, v10, 23, v12
	v_or3_b32 v10, v11, v10, v6
.LBB33_1720:
	s_or_b64 exec, exec, s[6:7]
	s_nop 0
	v_mfma_f32_16x16x4f32 a[0:3], v2, v10, a[0:3]
	s_movk_i32 s4, 0x7f
	v_cmp_gt_i16_sdwa s[6:7], v7, s4 src0_sel:BYTE_3 src1_sel:DWORD
	s_mov_b64 s[4:5], 0
                                        ; implicit-def: $sgpr10
	s_and_saveexec_b64 s[8:9], s[6:7]
	s_xor_b64 s[6:7], exec, s[8:9]
	s_cbranch_execnz .LBB33_3769
; %bb.1721:
	s_or_saveexec_b64 s[6:7], s[6:7]
	v_mov_b32_e32 v2, s10
	s_xor_b64 exec, exec, s[6:7]
	s_cbranch_execnz .LBB33_3772
.LBB33_1722:
	s_or_b64 exec, exec, s[6:7]
	s_and_saveexec_b64 s[6:7], s[4:5]
	s_cbranch_execz .LBB33_1724
.LBB33_1723:
	v_bfe_u32 v2, v7, 24, 3
	v_ffbh_u32_e32 v12, v2
	v_min_u32_e32 v12, 32, v12
	v_lshrrev_b32_e32 v10, 27, v7
	v_subrev_u32_e32 v13, 28, v12
	v_and_b32_e32 v6, 0x80000000, v7
	v_and_b32_e32 v10, 15, v10
	v_bfe_u32 v11, v7, 27, 4
	v_lshlrev_b32_sdwa v7, v13, v7 dst_sel:DWORD dst_unused:UNUSED_PAD src0_sel:DWORD src1_sel:BYTE_3
	v_sub_u32_e32 v12, 29, v12
	v_and_b32_e32 v7, 7, v7
	v_cmp_eq_u16_e32 vcc, 0, v10
	v_cndmask_b32_e32 v2, v2, v7, vcc
	v_cndmask_b32_e32 v7, v11, v12, vcc
	v_mov_b32_e32 v10, 0x3b800000
	v_lshlrev_b32_e32 v2, 20, v2
	v_lshl_add_u32 v7, v7, 23, v10
	v_or3_b32 v2, v6, v7, v2
.LBB33_1724:
	s_or_b64 exec, exec, s[6:7]
	s_movk_i32 s4, 0x7f
	v_cmp_gt_i16_sdwa s[6:7], v3, s4 src0_sel:BYTE_3 src1_sel:DWORD
	s_mov_b64 s[4:5], 0
                                        ; implicit-def: $sgpr10
	s_and_saveexec_b64 s[8:9], s[6:7]
	s_xor_b64 s[6:7], exec, s[8:9]
	s_cbranch_execnz .LBB33_3773
; %bb.1725:
	s_or_saveexec_b64 s[6:7], s[6:7]
	v_mov_b32_e32 v6, s10
	s_xor_b64 exec, exec, s[6:7]
	s_cbranch_execnz .LBB33_3776
.LBB33_1726:
	s_or_b64 exec, exec, s[6:7]
	s_and_saveexec_b64 s[6:7], s[4:5]
	s_cbranch_execz .LBB33_1728
.LBB33_1727:
	v_bfe_u32 v6, v3, 24, 3
	v_ffbh_u32_e32 v12, v6
	v_min_u32_e32 v12, 32, v12
	v_lshrrev_b32_e32 v10, 27, v3
	v_subrev_u32_e32 v13, 28, v12
	v_and_b32_e32 v7, 0x80000000, v3
	v_and_b32_e32 v10, 15, v10
	v_bfe_u32 v11, v3, 27, 4
	v_lshlrev_b32_sdwa v3, v13, v3 dst_sel:DWORD dst_unused:UNUSED_PAD src0_sel:DWORD src1_sel:BYTE_3
	v_sub_u32_e32 v12, 29, v12
	v_and_b32_e32 v3, 7, v3
	v_cmp_eq_u16_e32 vcc, 0, v10
	v_cndmask_b32_e32 v3, v6, v3, vcc
	v_cndmask_b32_e32 v6, v11, v12, vcc
	v_mov_b32_e32 v10, 0x3b800000
	v_lshlrev_b32_e32 v3, 20, v3
	v_lshl_add_u32 v6, v6, 23, v10
	v_or3_b32 v6, v7, v6, v3
.LBB33_1728:
	s_or_b64 exec, exec, s[6:7]
	s_nop 0
	v_mfma_f32_16x16x4f32 a[0:3], v2, v6, a[0:3]
	s_movk_i32 s4, 0x7f
	v_cmp_gt_i16_sdwa s[6:7], v8, s4 src0_sel:BYTE_0 src1_sel:DWORD
	s_mov_b64 s[4:5], 0
                                        ; implicit-def: $sgpr10
	s_and_saveexec_b64 s[8:9], s[6:7]
	s_xor_b64 s[6:7], exec, s[8:9]
	s_cbranch_execnz .LBB33_3777
; %bb.1729:
	s_or_saveexec_b64 s[6:7], s[6:7]
	v_mov_b32_e32 v2, s10
	s_xor_b64 exec, exec, s[6:7]
	s_cbranch_execnz .LBB33_3780
.LBB33_1730:
	s_or_b64 exec, exec, s[6:7]
	s_and_saveexec_b64 s[6:7], s[4:5]
	s_cbranch_execz .LBB33_1732
.LBB33_1731:
	v_and_b32_e32 v2, 7, v8
	v_ffbh_u32_e32 v6, v2
	v_min_u32_e32 v6, 32, v6
	v_lshrrev_b16_e32 v3, 3, v8
	v_subrev_u32_e32 v7, 28, v6
	v_and_b32_e32 v3, 15, v3
	v_lshlrev_b32_e32 v7, v7, v8
	v_sub_u32_e32 v6, 29, v6
	v_and_b32_e32 v7, 7, v7
	v_cmp_eq_u16_e32 vcc, 0, v3
	v_cndmask_b32_e32 v2, v2, v7, vcc
	v_cndmask_b32_e32 v3, v3, v6, vcc
	v_lshlrev_b32_e32 v6, 24, v8
	v_mov_b32_e32 v7, 0x3b800000
	v_lshlrev_b32_e32 v2, 20, v2
	v_and_b32_e32 v6, 0x80000000, v6
	v_lshl_add_u32 v3, v3, 23, v7
	v_or3_b32 v2, v6, v3, v2
.LBB33_1732:
	s_or_b64 exec, exec, s[6:7]
	s_movk_i32 s4, 0x7f
	v_cmp_gt_i16_sdwa s[6:7], v4, s4 src0_sel:BYTE_0 src1_sel:DWORD
	s_mov_b64 s[4:5], 0
                                        ; implicit-def: $sgpr10
	s_and_saveexec_b64 s[8:9], s[6:7]
	s_xor_b64 s[6:7], exec, s[8:9]
	s_cbranch_execnz .LBB33_3781
; %bb.1733:
	s_or_saveexec_b64 s[6:7], s[6:7]
	v_mov_b32_e32 v3, s10
	s_xor_b64 exec, exec, s[6:7]
	s_cbranch_execnz .LBB33_3784
.LBB33_1734:
	s_or_b64 exec, exec, s[6:7]
	s_and_saveexec_b64 s[6:7], s[4:5]
	s_cbranch_execz .LBB33_1736
.LBB33_1735:
	v_and_b32_e32 v3, 7, v4
	v_ffbh_u32_e32 v7, v3
	v_min_u32_e32 v7, 32, v7
	v_lshrrev_b16_e32 v6, 3, v4
	v_subrev_u32_e32 v10, 28, v7
	v_and_b32_e32 v6, 15, v6
	v_lshlrev_b32_e32 v10, v10, v4
	v_sub_u32_e32 v7, 29, v7
	v_and_b32_e32 v10, 7, v10
	v_cmp_eq_u16_e32 vcc, 0, v6
	v_cndmask_b32_e32 v3, v3, v10, vcc
	v_cndmask_b32_e32 v6, v6, v7, vcc
	v_lshlrev_b32_e32 v7, 24, v4
	v_mov_b32_e32 v10, 0x3b800000
	v_lshlrev_b32_e32 v3, 20, v3
	v_and_b32_e32 v7, 0x80000000, v7
	v_lshl_add_u32 v6, v6, 23, v10
	v_or3_b32 v3, v7, v6, v3
.LBB33_1736:
	s_or_b64 exec, exec, s[6:7]
	s_nop 0
	v_mfma_f32_16x16x4f32 a[0:3], v2, v3, a[0:3]
	v_lshrrev_b32_e32 v3, 8, v8
	s_movk_i32 s4, 0x7f
	v_cmp_gt_i16_sdwa s[6:7], v3, s4 src0_sel:BYTE_0 src1_sel:DWORD
	s_mov_b64 s[4:5], 0
                                        ; implicit-def: $sgpr10
	s_and_saveexec_b64 s[8:9], s[6:7]
	s_xor_b64 s[6:7], exec, s[8:9]
	s_cbranch_execnz .LBB33_3785
; %bb.1737:
	s_or_saveexec_b64 s[6:7], s[6:7]
	v_mov_b32_e32 v2, s10
	s_xor_b64 exec, exec, s[6:7]
	s_cbranch_execnz .LBB33_3788
.LBB33_1738:
	s_or_b64 exec, exec, s[6:7]
	s_and_saveexec_b64 s[6:7], s[4:5]
	s_cbranch_execz .LBB33_1740
.LBB33_1739:
	v_bfe_u32 v2, v8, 8, 3
	v_ffbh_u32_e32 v7, v2
	v_min_u32_e32 v7, 32, v7
	v_lshrrev_b16_e32 v6, 3, v3
	v_subrev_u32_e32 v10, 28, v7
	v_and_b32_e32 v6, 15, v6
	v_lshlrev_b32_e32 v3, v10, v3
	v_sub_u32_e32 v7, 29, v7
	v_and_b32_e32 v3, 7, v3
	v_cmp_eq_u16_e32 vcc, 0, v6
	v_cndmask_b32_e32 v2, v2, v3, vcc
	v_cndmask_b32_e32 v3, v6, v7, vcc
	v_lshlrev_b32_e32 v6, 16, v8
	v_mov_b32_e32 v7, 0x3b800000
	v_lshlrev_b32_e32 v2, 20, v2
	v_and_b32_e32 v6, 0x80000000, v6
	v_lshl_add_u32 v3, v3, 23, v7
	v_or3_b32 v2, v6, v3, v2
.LBB33_1740:
	s_or_b64 exec, exec, s[6:7]
	v_lshrrev_b32_e32 v3, 8, v4
	s_movk_i32 s4, 0x7f
	v_cmp_gt_i16_sdwa s[6:7], v3, s4 src0_sel:BYTE_0 src1_sel:DWORD
	s_mov_b64 s[4:5], 0
                                        ; implicit-def: $sgpr10
	s_and_saveexec_b64 s[8:9], s[6:7]
	s_xor_b64 s[6:7], exec, s[8:9]
	s_cbranch_execnz .LBB33_3789
; %bb.1741:
	s_or_saveexec_b64 s[6:7], s[6:7]
	v_mov_b32_e32 v6, s10
	s_xor_b64 exec, exec, s[6:7]
	s_cbranch_execnz .LBB33_3792
.LBB33_1742:
	s_or_b64 exec, exec, s[6:7]
	s_and_saveexec_b64 s[6:7], s[4:5]
	s_cbranch_execz .LBB33_1744
.LBB33_1743:
	v_bfe_u32 v6, v4, 8, 3
	v_ffbh_u32_e32 v10, v6
	v_min_u32_e32 v10, 32, v10
	v_lshrrev_b16_e32 v7, 3, v3
	v_subrev_u32_e32 v11, 28, v10
	v_and_b32_e32 v7, 15, v7
	v_lshlrev_b32_e32 v3, v11, v3
	v_sub_u32_e32 v10, 29, v10
	v_and_b32_e32 v3, 7, v3
	v_cmp_eq_u16_e32 vcc, 0, v7
	v_cndmask_b32_e32 v3, v6, v3, vcc
	v_cndmask_b32_e32 v6, v7, v10, vcc
	v_lshlrev_b32_e32 v7, 16, v4
	v_mov_b32_e32 v10, 0x3b800000
	v_lshlrev_b32_e32 v3, 20, v3
	v_and_b32_e32 v7, 0x80000000, v7
	v_lshl_add_u32 v6, v6, 23, v10
	v_or3_b32 v6, v7, v6, v3
.LBB33_1744:
	s_or_b64 exec, exec, s[6:7]
	s_nop 0
	v_mfma_f32_16x16x4f32 a[0:3], v2, v6, a[0:3]
	s_movk_i32 s4, 0xff
	v_and_b32_sdwa v3, v8, s4 dst_sel:DWORD dst_unused:UNUSED_PAD src0_sel:WORD_1 src1_sel:DWORD
	s_movk_i32 s4, 0x7f
	v_cmp_lt_i16_e32 vcc, s4, v3
	s_mov_b64 s[4:5], 0
                                        ; implicit-def: $sgpr10
	s_and_saveexec_b64 s[6:7], vcc
	s_xor_b64 s[6:7], exec, s[6:7]
	s_cbranch_execnz .LBB33_3793
; %bb.1745:
	s_or_saveexec_b64 s[6:7], s[6:7]
	v_mov_b32_e32 v2, s10
	s_xor_b64 exec, exec, s[6:7]
	s_cbranch_execnz .LBB33_3796
.LBB33_1746:
	s_or_b64 exec, exec, s[6:7]
	s_and_saveexec_b64 s[6:7], s[4:5]
	s_cbranch_execz .LBB33_1748
.LBB33_1747:
	v_bfe_u32 v2, v8, 16, 3
	v_ffbh_u32_e32 v7, v2
	v_min_u32_e32 v7, 32, v7
	v_lshrrev_b32_e32 v3, 19, v8
	v_subrev_u32_e32 v10, 28, v7
	v_and_b32_e32 v3, 15, v3
	v_lshlrev_b32_sdwa v10, v10, v8 dst_sel:DWORD dst_unused:UNUSED_PAD src0_sel:DWORD src1_sel:WORD_1
	v_bfe_u32 v6, v8, 19, 4
	v_sub_u32_e32 v7, 29, v7
	v_and_b32_e32 v10, 7, v10
	v_cmp_eq_u16_e32 vcc, 0, v3
	v_cndmask_b32_e32 v2, v2, v10, vcc
	v_cndmask_b32_e32 v3, v6, v7, vcc
	v_lshlrev_b32_e32 v6, 8, v8
	v_mov_b32_e32 v7, 0x3b800000
	v_lshlrev_b32_e32 v2, 20, v2
	v_and_b32_e32 v6, 0x80000000, v6
	v_lshl_add_u32 v3, v3, 23, v7
	v_or3_b32 v2, v6, v3, v2
.LBB33_1748:
	s_or_b64 exec, exec, s[6:7]
	s_movk_i32 s4, 0xff
	v_and_b32_sdwa v3, v4, s4 dst_sel:DWORD dst_unused:UNUSED_PAD src0_sel:WORD_1 src1_sel:DWORD
	s_movk_i32 s4, 0x7f
	v_cmp_lt_i16_e32 vcc, s4, v3
	s_mov_b64 s[4:5], 0
                                        ; implicit-def: $sgpr10
	s_and_saveexec_b64 s[6:7], vcc
	s_xor_b64 s[6:7], exec, s[6:7]
	s_cbranch_execnz .LBB33_3797
; %bb.1749:
	s_or_saveexec_b64 s[6:7], s[6:7]
	v_mov_b32_e32 v6, s10
	s_xor_b64 exec, exec, s[6:7]
	s_cbranch_execnz .LBB33_3800
.LBB33_1750:
	s_or_b64 exec, exec, s[6:7]
	s_and_saveexec_b64 s[6:7], s[4:5]
	s_cbranch_execz .LBB33_1752
.LBB33_1751:
	v_bfe_u32 v3, v4, 16, 3
	v_ffbh_u32_e32 v10, v3
	v_min_u32_e32 v10, 32, v10
	v_lshrrev_b32_e32 v6, 19, v4
	v_subrev_u32_e32 v11, 28, v10
	v_and_b32_e32 v6, 15, v6
	v_lshlrev_b32_sdwa v11, v11, v4 dst_sel:DWORD dst_unused:UNUSED_PAD src0_sel:DWORD src1_sel:WORD_1
	v_bfe_u32 v7, v4, 19, 4
	v_sub_u32_e32 v10, 29, v10
	v_and_b32_e32 v11, 7, v11
	v_cmp_eq_u16_e32 vcc, 0, v6
	v_cndmask_b32_e32 v3, v3, v11, vcc
	v_cndmask_b32_e32 v6, v7, v10, vcc
	v_lshlrev_b32_e32 v7, 8, v4
	v_mov_b32_e32 v10, 0x3b800000
	v_lshlrev_b32_e32 v3, 20, v3
	v_and_b32_e32 v7, 0x80000000, v7
	v_lshl_add_u32 v6, v6, 23, v10
	v_or3_b32 v6, v7, v6, v3
.LBB33_1752:
	s_or_b64 exec, exec, s[6:7]
	s_nop 0
	v_mfma_f32_16x16x4f32 a[0:3], v2, v6, a[0:3]
	s_movk_i32 s4, 0x7f
	v_cmp_gt_i16_sdwa s[6:7], v8, s4 src0_sel:BYTE_3 src1_sel:DWORD
	s_mov_b64 s[4:5], 0
                                        ; implicit-def: $sgpr10
	s_and_saveexec_b64 s[8:9], s[6:7]
	s_xor_b64 s[6:7], exec, s[8:9]
	s_cbranch_execnz .LBB33_3801
; %bb.1753:
	s_or_saveexec_b64 s[6:7], s[6:7]
	v_mov_b32_e32 v2, s10
	s_xor_b64 exec, exec, s[6:7]
	s_cbranch_execnz .LBB33_3804
.LBB33_1754:
	s_or_b64 exec, exec, s[6:7]
	s_and_saveexec_b64 s[6:7], s[4:5]
	s_cbranch_execz .LBB33_1756
.LBB33_1755:
	v_bfe_u32 v2, v8, 24, 3
	v_ffbh_u32_e32 v10, v2
	v_min_u32_e32 v10, 32, v10
	v_lshrrev_b32_e32 v6, 27, v8
	v_subrev_u32_e32 v11, 28, v10
	v_and_b32_e32 v3, 0x80000000, v8
	v_and_b32_e32 v6, 15, v6
	v_bfe_u32 v7, v8, 27, 4
	v_lshlrev_b32_sdwa v8, v11, v8 dst_sel:DWORD dst_unused:UNUSED_PAD src0_sel:DWORD src1_sel:BYTE_3
	v_sub_u32_e32 v10, 29, v10
	v_and_b32_e32 v8, 7, v8
	v_cmp_eq_u16_e32 vcc, 0, v6
	v_cndmask_b32_e32 v2, v2, v8, vcc
	v_cndmask_b32_e32 v6, v7, v10, vcc
	v_mov_b32_e32 v7, 0x3b800000
	v_lshlrev_b32_e32 v2, 20, v2
	v_lshl_add_u32 v6, v6, 23, v7
	v_or3_b32 v2, v3, v6, v2
.LBB33_1756:
	s_or_b64 exec, exec, s[6:7]
	s_movk_i32 s4, 0x7f
	v_cmp_gt_i16_sdwa s[6:7], v4, s4 src0_sel:BYTE_3 src1_sel:DWORD
	s_mov_b64 s[4:5], 0
                                        ; implicit-def: $sgpr10
	s_and_saveexec_b64 s[8:9], s[6:7]
	s_xor_b64 s[6:7], exec, s[8:9]
	s_cbranch_execnz .LBB33_3805
; %bb.1757:
	s_or_saveexec_b64 s[6:7], s[6:7]
	v_mov_b32_e32 v3, s10
	s_xor_b64 exec, exec, s[6:7]
	s_cbranch_execnz .LBB33_3808
.LBB33_1758:
	s_or_b64 exec, exec, s[6:7]
	s_and_saveexec_b64 s[6:7], s[4:5]
	s_cbranch_execz .LBB33_1760
.LBB33_1759:
	v_bfe_u32 v3, v4, 24, 3
	v_ffbh_u32_e32 v10, v3
	v_min_u32_e32 v10, 32, v10
	v_lshrrev_b32_e32 v7, 27, v4
	v_subrev_u32_e32 v11, 28, v10
	v_and_b32_e32 v6, 0x80000000, v4
	v_and_b32_e32 v7, 15, v7
	v_bfe_u32 v8, v4, 27, 4
	v_lshlrev_b32_sdwa v4, v11, v4 dst_sel:DWORD dst_unused:UNUSED_PAD src0_sel:DWORD src1_sel:BYTE_3
	v_sub_u32_e32 v10, 29, v10
	v_and_b32_e32 v4, 7, v4
	v_cmp_eq_u16_e32 vcc, 0, v7
	v_cndmask_b32_e32 v3, v3, v4, vcc
	v_cndmask_b32_e32 v4, v8, v10, vcc
	v_mov_b32_e32 v7, 0x3b800000
	v_lshlrev_b32_e32 v3, 20, v3
	v_lshl_add_u32 v4, v4, 23, v7
	v_or3_b32 v3, v6, v4, v3
.LBB33_1760:
	s_or_b64 exec, exec, s[6:7]
	s_nop 0
	v_mfma_f32_16x16x4f32 a[0:3], v2, v3, a[0:3]
	s_movk_i32 s4, 0x7f
	v_cmp_gt_i16_sdwa s[6:7], v9, s4 src0_sel:BYTE_0 src1_sel:DWORD
	s_mov_b64 s[4:5], 0
                                        ; implicit-def: $sgpr10
	s_and_saveexec_b64 s[8:9], s[6:7]
	s_xor_b64 s[6:7], exec, s[8:9]
	s_cbranch_execnz .LBB33_3809
; %bb.1761:
	s_or_saveexec_b64 s[6:7], s[6:7]
	v_mov_b32_e32 v2, s10
	s_xor_b64 exec, exec, s[6:7]
	s_cbranch_execnz .LBB33_3812
.LBB33_1762:
	s_or_b64 exec, exec, s[6:7]
	s_and_saveexec_b64 s[6:7], s[4:5]
	s_cbranch_execz .LBB33_1764
.LBB33_1763:
	v_mov_b32_e32 v2, 8
	v_and_b32_e32 v3, 7, v9
	v_lshrrev_b32_sdwa v2, v2, v9 dst_sel:BYTE_1 dst_unused:UNUSED_PAD src0_sel:DWORD src1_sel:DWORD
	v_ffbh_u32_e32 v4, v3
	v_or_b32_sdwa v2, v9, v2 dst_sel:DWORD dst_unused:UNUSED_PAD src0_sel:BYTE_0 src1_sel:DWORD
	v_min_u32_e32 v4, 32, v4
	v_lshrrev_b16_e32 v2, 3, v2
	v_subrev_u32_e32 v6, 28, v4
	v_and_b32_e32 v2, 15, v2
	v_lshlrev_b32_e32 v6, v6, v9
	v_sub_u32_e32 v4, 29, v4
	v_and_b32_e32 v6, 7, v6
	v_cmp_eq_u16_e32 vcc, 0, v2
	v_cndmask_b32_e32 v3, v3, v6, vcc
	v_cndmask_b32_e32 v2, v2, v4, vcc
	v_lshlrev_b32_e32 v4, 24, v9
	v_mov_b32_e32 v6, 0x3b800000
	v_lshlrev_b32_e32 v3, 20, v3
	v_and_b32_e32 v4, 0x80000000, v4
	v_lshl_add_u32 v2, v2, 23, v6
	v_or3_b32 v2, v4, v2, v3
.LBB33_1764:
	s_or_b64 exec, exec, s[6:7]
	s_movk_i32 s4, 0x7f
	v_cmp_gt_i16_sdwa s[6:7], v5, s4 src0_sel:BYTE_0 src1_sel:DWORD
	s_mov_b64 s[4:5], 0
                                        ; implicit-def: $sgpr10
	s_and_saveexec_b64 s[8:9], s[6:7]
	s_xor_b64 s[6:7], exec, s[8:9]
	s_cbranch_execnz .LBB33_3813
; %bb.1765:
	s_or_saveexec_b64 s[6:7], s[6:7]
	v_mov_b32_e32 v3, s10
	s_xor_b64 exec, exec, s[6:7]
	s_cbranch_execnz .LBB33_3816
.LBB33_1766:
	s_or_b64 exec, exec, s[6:7]
	s_and_saveexec_b64 s[6:7], s[4:5]
	s_cbranch_execz .LBB33_1768
.LBB33_1767:
	v_mov_b32_e32 v3, 8
	v_and_b32_e32 v4, 7, v5
	v_lshrrev_b32_sdwa v3, v3, v5 dst_sel:BYTE_1 dst_unused:UNUSED_PAD src0_sel:DWORD src1_sel:DWORD
	v_ffbh_u32_e32 v6, v4
	v_or_b32_sdwa v3, v5, v3 dst_sel:DWORD dst_unused:UNUSED_PAD src0_sel:BYTE_0 src1_sel:DWORD
	v_min_u32_e32 v6, 32, v6
	v_lshrrev_b16_e32 v3, 3, v3
	v_subrev_u32_e32 v7, 28, v6
	v_and_b32_e32 v3, 15, v3
	v_lshlrev_b32_e32 v7, v7, v5
	v_sub_u32_e32 v6, 29, v6
	v_and_b32_e32 v7, 7, v7
	v_cmp_eq_u16_e32 vcc, 0, v3
	v_cndmask_b32_e32 v4, v4, v7, vcc
	v_cndmask_b32_e32 v3, v3, v6, vcc
	v_lshlrev_b32_e32 v6, 24, v5
	v_mov_b32_e32 v7, 0x3b800000
	v_lshlrev_b32_e32 v4, 20, v4
	v_and_b32_e32 v6, 0x80000000, v6
	v_lshl_add_u32 v3, v3, 23, v7
	v_or3_b32 v3, v6, v3, v4
.LBB33_1768:
	s_or_b64 exec, exec, s[6:7]
	s_nop 0
	v_mfma_f32_16x16x4f32 a[0:3], v2, v3, a[0:3]
	v_lshrrev_b32_e32 v3, 8, v9
	s_movk_i32 s4, 0x7f
	v_cmp_gt_i16_sdwa s[6:7], v3, s4 src0_sel:BYTE_0 src1_sel:DWORD
	s_mov_b64 s[4:5], 0
                                        ; implicit-def: $sgpr10
	s_and_saveexec_b64 s[8:9], s[6:7]
	s_xor_b64 s[6:7], exec, s[8:9]
	s_cbranch_execnz .LBB33_3817
; %bb.1769:
	s_or_saveexec_b64 s[6:7], s[6:7]
	v_mov_b32_e32 v2, s10
	s_xor_b64 exec, exec, s[6:7]
	s_cbranch_execnz .LBB33_3820
.LBB33_1770:
	s_or_b64 exec, exec, s[6:7]
	s_and_saveexec_b64 s[6:7], s[4:5]
	s_cbranch_execz .LBB33_1772
.LBB33_1771:
	v_bfe_u32 v2, v9, 8, 3
	v_ffbh_u32_e32 v6, v2
	v_min_u32_e32 v6, 32, v6
	v_lshrrev_b16_e32 v4, 3, v3
	v_subrev_u32_e32 v7, 28, v6
	v_and_b32_e32 v4, 15, v4
	v_lshlrev_b32_e32 v3, v7, v3
	v_sub_u32_e32 v6, 29, v6
	v_and_b32_e32 v3, 7, v3
	v_cmp_eq_u16_e32 vcc, 0, v4
	v_cndmask_b32_e32 v2, v2, v3, vcc
	v_cndmask_b32_e32 v3, v4, v6, vcc
	v_lshlrev_b32_e32 v4, 16, v9
	v_mov_b32_e32 v6, 0x3b800000
	v_lshlrev_b32_e32 v2, 20, v2
	v_and_b32_e32 v4, 0x80000000, v4
	v_lshl_add_u32 v3, v3, 23, v6
	v_or3_b32 v2, v4, v3, v2
.LBB33_1772:
	s_or_b64 exec, exec, s[6:7]
	v_lshrrev_b32_e32 v3, 8, v5
	s_movk_i32 s4, 0x7f
	v_cmp_gt_i16_sdwa s[6:7], v3, s4 src0_sel:BYTE_0 src1_sel:DWORD
	s_mov_b64 s[4:5], 0
                                        ; implicit-def: $sgpr10
	s_and_saveexec_b64 s[8:9], s[6:7]
	s_xor_b64 s[6:7], exec, s[8:9]
	s_cbranch_execnz .LBB33_3821
; %bb.1773:
	s_or_saveexec_b64 s[6:7], s[6:7]
	v_mov_b32_e32 v4, s10
	s_xor_b64 exec, exec, s[6:7]
	s_cbranch_execnz .LBB33_3824
.LBB33_1774:
	s_or_b64 exec, exec, s[6:7]
	s_and_saveexec_b64 s[6:7], s[4:5]
	s_cbranch_execz .LBB33_1776
.LBB33_1775:
	v_bfe_u32 v4, v5, 8, 3
	v_ffbh_u32_e32 v7, v4
	v_min_u32_e32 v7, 32, v7
	v_lshrrev_b16_e32 v6, 3, v3
	v_subrev_u32_e32 v8, 28, v7
	v_and_b32_e32 v6, 15, v6
	v_lshlrev_b32_e32 v3, v8, v3
	v_sub_u32_e32 v7, 29, v7
	v_and_b32_e32 v3, 7, v3
	v_cmp_eq_u16_e32 vcc, 0, v6
	v_cndmask_b32_e32 v3, v4, v3, vcc
	v_cndmask_b32_e32 v4, v6, v7, vcc
	v_lshlrev_b32_e32 v6, 16, v5
	v_mov_b32_e32 v7, 0x3b800000
	v_lshlrev_b32_e32 v3, 20, v3
	v_and_b32_e32 v6, 0x80000000, v6
	v_lshl_add_u32 v4, v4, 23, v7
	v_or3_b32 v4, v6, v4, v3
.LBB33_1776:
	s_or_b64 exec, exec, s[6:7]
	s_nop 0
	v_mfma_f32_16x16x4f32 a[0:3], v2, v4, a[0:3]
	s_movk_i32 s4, 0xff
	v_and_b32_sdwa v3, v9, s4 dst_sel:DWORD dst_unused:UNUSED_PAD src0_sel:WORD_1 src1_sel:DWORD
	s_movk_i32 s4, 0x7f
	v_cmp_lt_i16_e32 vcc, s4, v3
	s_mov_b64 s[4:5], 0
                                        ; implicit-def: $sgpr10
	s_and_saveexec_b64 s[6:7], vcc
	s_xor_b64 s[6:7], exec, s[6:7]
	s_cbranch_execnz .LBB33_3825
; %bb.1777:
	s_or_saveexec_b64 s[6:7], s[6:7]
	v_mov_b32_e32 v2, s10
	s_xor_b64 exec, exec, s[6:7]
	s_cbranch_execnz .LBB33_3828
.LBB33_1778:
	s_or_b64 exec, exec, s[6:7]
	s_and_saveexec_b64 s[6:7], s[4:5]
	s_cbranch_execz .LBB33_1780
.LBB33_1779:
	v_bfe_u32 v2, v9, 16, 3
	v_ffbh_u32_e32 v6, v2
	v_min_u32_e32 v6, 32, v6
	v_lshrrev_b32_e32 v3, 19, v9
	v_subrev_u32_e32 v7, 28, v6
	v_and_b32_e32 v3, 15, v3
	v_lshlrev_b32_sdwa v7, v7, v9 dst_sel:DWORD dst_unused:UNUSED_PAD src0_sel:DWORD src1_sel:WORD_1
	v_bfe_u32 v4, v9, 19, 4
	v_sub_u32_e32 v6, 29, v6
	v_and_b32_e32 v7, 7, v7
	v_cmp_eq_u16_e32 vcc, 0, v3
	v_cndmask_b32_e32 v2, v2, v7, vcc
	v_cndmask_b32_e32 v3, v4, v6, vcc
	v_lshlrev_b32_e32 v4, 8, v9
	v_mov_b32_e32 v6, 0x3b800000
	v_lshlrev_b32_e32 v2, 20, v2
	v_and_b32_e32 v4, 0x80000000, v4
	v_lshl_add_u32 v3, v3, 23, v6
	v_or3_b32 v2, v4, v3, v2
.LBB33_1780:
	s_or_b64 exec, exec, s[6:7]
	s_movk_i32 s4, 0xff
	v_and_b32_sdwa v3, v5, s4 dst_sel:DWORD dst_unused:UNUSED_PAD src0_sel:WORD_1 src1_sel:DWORD
	s_movk_i32 s4, 0x7f
	v_cmp_lt_i16_e32 vcc, s4, v3
	s_mov_b64 s[4:5], 0
                                        ; implicit-def: $sgpr10
	s_and_saveexec_b64 s[6:7], vcc
	s_xor_b64 s[6:7], exec, s[6:7]
	s_cbranch_execnz .LBB33_3829
; %bb.1781:
	s_or_saveexec_b64 s[6:7], s[6:7]
	v_mov_b32_e32 v4, s10
	s_xor_b64 exec, exec, s[6:7]
	s_cbranch_execnz .LBB33_3832
.LBB33_1782:
	s_or_b64 exec, exec, s[6:7]
	s_and_saveexec_b64 s[6:7], s[4:5]
	s_cbranch_execz .LBB33_1784
.LBB33_1783:
	v_bfe_u32 v3, v5, 16, 3
	v_ffbh_u32_e32 v7, v3
	v_min_u32_e32 v7, 32, v7
	v_lshrrev_b32_e32 v4, 19, v5
	v_subrev_u32_e32 v8, 28, v7
	v_and_b32_e32 v4, 15, v4
	v_lshlrev_b32_sdwa v8, v8, v5 dst_sel:DWORD dst_unused:UNUSED_PAD src0_sel:DWORD src1_sel:WORD_1
	v_bfe_u32 v6, v5, 19, 4
	v_sub_u32_e32 v7, 29, v7
	v_and_b32_e32 v8, 7, v8
	v_cmp_eq_u16_e32 vcc, 0, v4
	v_cndmask_b32_e32 v3, v3, v8, vcc
	v_cndmask_b32_e32 v4, v6, v7, vcc
	v_lshlrev_b32_e32 v6, 8, v5
	v_mov_b32_e32 v7, 0x3b800000
	v_lshlrev_b32_e32 v3, 20, v3
	v_and_b32_e32 v6, 0x80000000, v6
	v_lshl_add_u32 v4, v4, 23, v7
	v_or3_b32 v4, v6, v4, v3
.LBB33_1784:
	s_or_b64 exec, exec, s[6:7]
	s_nop 0
	v_mfma_f32_16x16x4f32 a[0:3], v2, v4, a[0:3]
	s_movk_i32 s4, 0x7f
	v_cmp_gt_i16_sdwa s[6:7], v9, s4 src0_sel:BYTE_3 src1_sel:DWORD
	s_mov_b64 s[4:5], 0
                                        ; implicit-def: $sgpr10
	s_and_saveexec_b64 s[8:9], s[6:7]
	s_xor_b64 s[6:7], exec, s[8:9]
	s_cbranch_execnz .LBB33_3833
; %bb.1785:
	s_or_saveexec_b64 s[6:7], s[6:7]
	v_mov_b32_e32 v2, s10
	s_xor_b64 exec, exec, s[6:7]
	s_cbranch_execnz .LBB33_3836
.LBB33_1786:
	s_or_b64 exec, exec, s[6:7]
	s_and_saveexec_b64 s[6:7], s[4:5]
	s_cbranch_execz .LBB33_1788
.LBB33_1787:
	v_bfe_u32 v2, v9, 24, 3
	v_ffbh_u32_e32 v7, v2
	v_min_u32_e32 v7, 32, v7
	v_lshrrev_b32_e32 v4, 27, v9
	v_subrev_u32_e32 v8, 28, v7
	v_and_b32_e32 v4, 15, v4
	v_lshlrev_b32_sdwa v8, v8, v9 dst_sel:DWORD dst_unused:UNUSED_PAD src0_sel:DWORD src1_sel:BYTE_3
	v_bfe_u32 v6, v9, 27, 4
	v_sub_u32_e32 v7, 29, v7
	v_and_b32_e32 v8, 7, v8
	v_cmp_eq_u16_e32 vcc, 0, v4
	v_cndmask_b32_e32 v2, v2, v8, vcc
	v_cndmask_b32_e32 v4, v6, v7, vcc
	v_mov_b32_e32 v6, 0x3b800000
	v_and_b32_e32 v3, 0x80000000, v9
	v_lshlrev_b32_e32 v2, 20, v2
	v_lshl_add_u32 v4, v4, 23, v6
	v_or3_b32 v2, v3, v4, v2
.LBB33_1788:
	s_or_b64 exec, exec, s[6:7]
	s_movk_i32 s4, 0x7f
	v_cmp_gt_i16_sdwa s[6:7], v5, s4 src0_sel:BYTE_3 src1_sel:DWORD
	s_mov_b64 s[4:5], 0
                                        ; implicit-def: $sgpr10
	s_and_saveexec_b64 s[8:9], s[6:7]
	s_xor_b64 s[6:7], exec, s[8:9]
	s_cbranch_execnz .LBB33_3837
; %bb.1789:
	s_or_saveexec_b64 s[6:7], s[6:7]
	v_mov_b32_e32 v3, s10
	s_xor_b64 exec, exec, s[6:7]
	s_cbranch_execnz .LBB33_3840
.LBB33_1790:
	s_or_b64 exec, exec, s[6:7]
	s_and_saveexec_b64 s[6:7], s[4:5]
	s_cbranch_execz .LBB33_1792
.LBB33_1791:
	v_bfe_u32 v3, v5, 24, 3
	v_ffbh_u32_e32 v8, v3
	v_min_u32_e32 v8, 32, v8
	v_lshrrev_b32_e32 v6, 27, v5
	v_subrev_u32_e32 v9, 28, v8
	v_and_b32_e32 v4, 0x80000000, v5
	v_and_b32_e32 v6, 15, v6
	v_bfe_u32 v7, v5, 27, 4
	v_lshlrev_b32_sdwa v5, v9, v5 dst_sel:DWORD dst_unused:UNUSED_PAD src0_sel:DWORD src1_sel:BYTE_3
	v_sub_u32_e32 v8, 29, v8
	v_and_b32_e32 v5, 7, v5
	v_cmp_eq_u16_e32 vcc, 0, v6
	v_cndmask_b32_e32 v3, v3, v5, vcc
	v_cndmask_b32_e32 v5, v7, v8, vcc
	v_mov_b32_e32 v6, 0x3b800000
	v_lshlrev_b32_e32 v3, 20, v3
	v_lshl_add_u32 v5, v5, 23, v6
	v_or3_b32 v3, v4, v5, v3
.LBB33_1792:
	s_or_b64 exec, exec, s[6:7]
	s_nop 0
	v_mfma_f32_16x16x4f32 a[0:3], v2, v3, a[0:3]
	s_movk_i32 s4, 0x7f
                                        ; implicit-def: $sgpr10
	s_nop 7
	s_nop 1
	flat_store_dwordx4 v[18:19], a[0:3] offset:736
	flat_load_dwordx4 v[18:21], v[0:1] offset:16
	s_nop 0
	flat_load_dwordx2 v[16:17], v[0:1] offset:32
	s_waitcnt vmcnt(0) lgkmcnt(0)
	flat_load_dwordx4 v[12:15], v[18:19] offset:32
	flat_load_dwordx4 v[4:7], v[18:19] offset:48
	;; [unrolled: 1-line block ×4, first 2 shown]
	s_waitcnt vmcnt(0) lgkmcnt(0)
	v_cmp_gt_i16_sdwa s[6:7], v12, s4 src0_sel:BYTE_0 src1_sel:DWORD
	s_mov_b64 s[4:5], 0
	s_and_saveexec_b64 s[8:9], s[6:7]
	s_xor_b64 s[6:7], exec, s[8:9]
	s_cbranch_execnz .LBB33_3841
; %bb.1793:
	s_or_saveexec_b64 s[6:7], s[6:7]
	v_mov_b32_e32 v18, s10
	s_xor_b64 exec, exec, s[6:7]
	s_cbranch_execnz .LBB33_3844
.LBB33_1794:
	s_or_b64 exec, exec, s[6:7]
	s_and_saveexec_b64 s[6:7], s[4:5]
	s_cbranch_execz .LBB33_1796
.LBB33_1795:
	v_and_b32_e32 v18, 7, v12
	v_ffbh_u32_e32 v20, v18
	v_min_u32_e32 v20, 32, v20
	v_lshrrev_b16_e32 v19, 3, v12
	v_subrev_u32_e32 v21, 28, v20
	v_and_b32_e32 v19, 15, v19
	v_lshlrev_b32_e32 v21, v21, v12
	v_sub_u32_e32 v20, 29, v20
	v_and_b32_e32 v21, 7, v21
	v_cmp_eq_u16_e32 vcc, 0, v19
	v_cndmask_b32_e32 v18, v18, v21, vcc
	v_cndmask_b32_e32 v19, v19, v20, vcc
	v_lshlrev_b32_e32 v20, 24, v12
	v_mov_b32_e32 v21, 0x3b800000
	v_lshlrev_b32_e32 v18, 20, v18
	v_and_b32_e32 v20, 0x80000000, v20
	v_lshl_add_u32 v19, v19, 23, v21
	v_or3_b32 v18, v20, v19, v18
.LBB33_1796:
	s_or_b64 exec, exec, s[6:7]
	s_movk_i32 s4, 0x7f
	v_cmp_gt_i16_sdwa s[6:7], v8, s4 src0_sel:BYTE_0 src1_sel:DWORD
	s_mov_b64 s[4:5], 0
                                        ; implicit-def: $sgpr10
	s_and_saveexec_b64 s[8:9], s[6:7]
	s_xor_b64 s[6:7], exec, s[8:9]
	s_cbranch_execnz .LBB33_3845
; %bb.1797:
	s_or_saveexec_b64 s[6:7], s[6:7]
	v_mov_b32_e32 v19, s10
	s_xor_b64 exec, exec, s[6:7]
	s_cbranch_execnz .LBB33_3848
.LBB33_1798:
	s_or_b64 exec, exec, s[6:7]
	s_and_saveexec_b64 s[6:7], s[4:5]
	s_cbranch_execz .LBB33_1800
.LBB33_1799:
	v_and_b32_e32 v19, 7, v8
	v_ffbh_u32_e32 v21, v19
	v_min_u32_e32 v21, 32, v21
	v_lshrrev_b16_e32 v20, 3, v8
	v_subrev_u32_e32 v22, 28, v21
	v_and_b32_e32 v20, 15, v20
	v_lshlrev_b32_e32 v22, v22, v8
	v_sub_u32_e32 v21, 29, v21
	v_and_b32_e32 v22, 7, v22
	v_cmp_eq_u16_e32 vcc, 0, v20
	v_cndmask_b32_e32 v19, v19, v22, vcc
	v_cndmask_b32_e32 v20, v20, v21, vcc
	v_lshlrev_b32_e32 v21, 24, v8
	v_mov_b32_e32 v22, 0x3b800000
	v_lshlrev_b32_e32 v19, 20, v19
	v_and_b32_e32 v21, 0x80000000, v21
	v_lshl_add_u32 v20, v20, 23, v22
	v_or3_b32 v19, v21, v20, v19
.LBB33_1800:
	s_or_b64 exec, exec, s[6:7]
	flat_load_dwordx4 a[0:3], v[16:17] offset:752
	s_movk_i32 s4, 0x7f
                                        ; implicit-def: $sgpr10
	s_waitcnt vmcnt(0) lgkmcnt(0)
	v_mfma_f32_16x16x4f32 a[0:3], v18, v19, a[0:3]
	v_lshrrev_b32_e32 v19, 8, v12
	v_cmp_gt_i16_sdwa s[6:7], v19, s4 src0_sel:BYTE_0 src1_sel:DWORD
	s_mov_b64 s[4:5], 0
	s_and_saveexec_b64 s[8:9], s[6:7]
	s_xor_b64 s[6:7], exec, s[8:9]
	s_cbranch_execnz .LBB33_3849
; %bb.1801:
	s_or_saveexec_b64 s[6:7], s[6:7]
	v_mov_b32_e32 v18, s10
	s_xor_b64 exec, exec, s[6:7]
	s_cbranch_execnz .LBB33_3852
.LBB33_1802:
	s_or_b64 exec, exec, s[6:7]
	s_and_saveexec_b64 s[6:7], s[4:5]
	s_cbranch_execz .LBB33_1804
.LBB33_1803:
	v_bfe_u32 v18, v12, 8, 3
	v_ffbh_u32_e32 v21, v18
	v_min_u32_e32 v21, 32, v21
	v_lshrrev_b16_e32 v20, 3, v19
	v_subrev_u32_e32 v22, 28, v21
	v_and_b32_e32 v20, 15, v20
	v_lshlrev_b32_e32 v19, v22, v19
	v_sub_u32_e32 v21, 29, v21
	v_and_b32_e32 v19, 7, v19
	v_cmp_eq_u16_e32 vcc, 0, v20
	v_cndmask_b32_e32 v18, v18, v19, vcc
	v_cndmask_b32_e32 v19, v20, v21, vcc
	v_lshlrev_b32_e32 v20, 16, v12
	v_mov_b32_e32 v21, 0x3b800000
	v_lshlrev_b32_e32 v18, 20, v18
	v_and_b32_e32 v20, 0x80000000, v20
	v_lshl_add_u32 v19, v19, 23, v21
	v_or3_b32 v18, v20, v19, v18
.LBB33_1804:
	s_or_b64 exec, exec, s[6:7]
	v_lshrrev_b32_e32 v19, 8, v8
	s_movk_i32 s4, 0x7f
	v_cmp_gt_i16_sdwa s[6:7], v19, s4 src0_sel:BYTE_0 src1_sel:DWORD
	s_mov_b64 s[4:5], 0
                                        ; implicit-def: $sgpr10
	s_and_saveexec_b64 s[8:9], s[6:7]
	s_xor_b64 s[6:7], exec, s[8:9]
	s_cbranch_execnz .LBB33_3853
; %bb.1805:
	s_or_saveexec_b64 s[6:7], s[6:7]
	v_mov_b32_e32 v20, s10
	s_xor_b64 exec, exec, s[6:7]
	s_cbranch_execnz .LBB33_3856
.LBB33_1806:
	s_or_b64 exec, exec, s[6:7]
	s_and_saveexec_b64 s[6:7], s[4:5]
	s_cbranch_execz .LBB33_1808
.LBB33_1807:
	v_bfe_u32 v20, v8, 8, 3
	v_ffbh_u32_e32 v22, v20
	v_min_u32_e32 v22, 32, v22
	v_lshrrev_b16_e32 v21, 3, v19
	v_subrev_u32_e32 v23, 28, v22
	v_and_b32_e32 v21, 15, v21
	v_lshlrev_b32_e32 v19, v23, v19
	v_sub_u32_e32 v22, 29, v22
	v_and_b32_e32 v19, 7, v19
	v_cmp_eq_u16_e32 vcc, 0, v21
	v_cndmask_b32_e32 v19, v20, v19, vcc
	v_cndmask_b32_e32 v20, v21, v22, vcc
	v_lshlrev_b32_e32 v21, 16, v8
	v_mov_b32_e32 v22, 0x3b800000
	v_lshlrev_b32_e32 v19, 20, v19
	v_and_b32_e32 v21, 0x80000000, v21
	v_lshl_add_u32 v20, v20, 23, v22
	v_or3_b32 v20, v21, v20, v19
.LBB33_1808:
	s_or_b64 exec, exec, s[6:7]
	s_nop 0
	v_mfma_f32_16x16x4f32 a[0:3], v18, v20, a[0:3]
	s_movk_i32 s4, 0xff
	v_and_b32_sdwa v19, v12, s4 dst_sel:DWORD dst_unused:UNUSED_PAD src0_sel:WORD_1 src1_sel:DWORD
	s_movk_i32 s4, 0x7f
	v_cmp_lt_i16_e32 vcc, s4, v19
	s_mov_b64 s[4:5], 0
                                        ; implicit-def: $sgpr10
	s_and_saveexec_b64 s[6:7], vcc
	s_xor_b64 s[6:7], exec, s[6:7]
	s_cbranch_execnz .LBB33_3857
; %bb.1809:
	s_or_saveexec_b64 s[6:7], s[6:7]
	v_mov_b32_e32 v18, s10
	s_xor_b64 exec, exec, s[6:7]
	s_cbranch_execnz .LBB33_3860
.LBB33_1810:
	s_or_b64 exec, exec, s[6:7]
	s_and_saveexec_b64 s[6:7], s[4:5]
	s_cbranch_execz .LBB33_1812
.LBB33_1811:
	v_bfe_u32 v18, v12, 16, 3
	v_ffbh_u32_e32 v21, v18
	v_min_u32_e32 v21, 32, v21
	v_lshrrev_b32_e32 v19, 19, v12
	v_subrev_u32_e32 v22, 28, v21
	v_and_b32_e32 v19, 15, v19
	v_lshlrev_b32_sdwa v22, v22, v12 dst_sel:DWORD dst_unused:UNUSED_PAD src0_sel:DWORD src1_sel:WORD_1
	v_bfe_u32 v20, v12, 19, 4
	v_sub_u32_e32 v21, 29, v21
	v_and_b32_e32 v22, 7, v22
	v_cmp_eq_u16_e32 vcc, 0, v19
	v_cndmask_b32_e32 v18, v18, v22, vcc
	v_cndmask_b32_e32 v19, v20, v21, vcc
	v_lshlrev_b32_e32 v20, 8, v12
	v_mov_b32_e32 v21, 0x3b800000
	v_lshlrev_b32_e32 v18, 20, v18
	v_and_b32_e32 v20, 0x80000000, v20
	v_lshl_add_u32 v19, v19, 23, v21
	v_or3_b32 v18, v20, v19, v18
.LBB33_1812:
	s_or_b64 exec, exec, s[6:7]
	s_movk_i32 s4, 0xff
	v_and_b32_sdwa v19, v8, s4 dst_sel:DWORD dst_unused:UNUSED_PAD src0_sel:WORD_1 src1_sel:DWORD
	s_movk_i32 s4, 0x7f
	v_cmp_lt_i16_e32 vcc, s4, v19
	s_mov_b64 s[4:5], 0
                                        ; implicit-def: $sgpr10
	s_and_saveexec_b64 s[6:7], vcc
	s_xor_b64 s[6:7], exec, s[6:7]
	s_cbranch_execnz .LBB33_3861
; %bb.1813:
	s_or_saveexec_b64 s[6:7], s[6:7]
	v_mov_b32_e32 v20, s10
	s_xor_b64 exec, exec, s[6:7]
	s_cbranch_execnz .LBB33_3864
.LBB33_1814:
	s_or_b64 exec, exec, s[6:7]
	s_and_saveexec_b64 s[6:7], s[4:5]
	s_cbranch_execz .LBB33_1816
.LBB33_1815:
	v_bfe_u32 v19, v8, 16, 3
	v_ffbh_u32_e32 v22, v19
	v_min_u32_e32 v22, 32, v22
	v_lshrrev_b32_e32 v20, 19, v8
	v_subrev_u32_e32 v23, 28, v22
	v_and_b32_e32 v20, 15, v20
	v_lshlrev_b32_sdwa v23, v23, v8 dst_sel:DWORD dst_unused:UNUSED_PAD src0_sel:DWORD src1_sel:WORD_1
	v_bfe_u32 v21, v8, 19, 4
	v_sub_u32_e32 v22, 29, v22
	v_and_b32_e32 v23, 7, v23
	v_cmp_eq_u16_e32 vcc, 0, v20
	v_cndmask_b32_e32 v19, v19, v23, vcc
	v_cndmask_b32_e32 v20, v21, v22, vcc
	v_lshlrev_b32_e32 v21, 8, v8
	v_mov_b32_e32 v22, 0x3b800000
	v_lshlrev_b32_e32 v19, 20, v19
	v_and_b32_e32 v21, 0x80000000, v21
	v_lshl_add_u32 v20, v20, 23, v22
	v_or3_b32 v20, v21, v20, v19
.LBB33_1816:
	s_or_b64 exec, exec, s[6:7]
	s_nop 0
	v_mfma_f32_16x16x4f32 a[0:3], v18, v20, a[0:3]
	s_movk_i32 s4, 0x7f
	v_cmp_gt_i16_sdwa s[6:7], v12, s4 src0_sel:BYTE_3 src1_sel:DWORD
	s_mov_b64 s[4:5], 0
                                        ; implicit-def: $sgpr10
	s_and_saveexec_b64 s[8:9], s[6:7]
	s_xor_b64 s[6:7], exec, s[8:9]
	s_cbranch_execnz .LBB33_3865
; %bb.1817:
	s_or_saveexec_b64 s[6:7], s[6:7]
	v_mov_b32_e32 v18, s10
	s_xor_b64 exec, exec, s[6:7]
	s_cbranch_execnz .LBB33_3868
.LBB33_1818:
	s_or_b64 exec, exec, s[6:7]
	s_and_saveexec_b64 s[6:7], s[4:5]
	s_cbranch_execz .LBB33_1820
.LBB33_1819:
	v_bfe_u32 v18, v12, 24, 3
	v_ffbh_u32_e32 v22, v18
	v_min_u32_e32 v22, 32, v22
	v_lshrrev_b32_e32 v20, 27, v12
	v_subrev_u32_e32 v23, 28, v22
	v_and_b32_e32 v19, 0x80000000, v12
	v_and_b32_e32 v20, 15, v20
	v_bfe_u32 v21, v12, 27, 4
	v_lshlrev_b32_sdwa v12, v23, v12 dst_sel:DWORD dst_unused:UNUSED_PAD src0_sel:DWORD src1_sel:BYTE_3
	v_sub_u32_e32 v22, 29, v22
	v_and_b32_e32 v12, 7, v12
	v_cmp_eq_u16_e32 vcc, 0, v20
	v_cndmask_b32_e32 v12, v18, v12, vcc
	v_cndmask_b32_e32 v18, v21, v22, vcc
	v_mov_b32_e32 v20, 0x3b800000
	v_lshlrev_b32_e32 v12, 20, v12
	v_lshl_add_u32 v18, v18, 23, v20
	v_or3_b32 v18, v19, v18, v12
.LBB33_1820:
	s_or_b64 exec, exec, s[6:7]
	s_movk_i32 s4, 0x7f
	v_cmp_gt_i16_sdwa s[6:7], v8, s4 src0_sel:BYTE_3 src1_sel:DWORD
	s_mov_b64 s[4:5], 0
                                        ; implicit-def: $sgpr10
	s_and_saveexec_b64 s[8:9], s[6:7]
	s_xor_b64 s[6:7], exec, s[8:9]
	s_cbranch_execnz .LBB33_3869
; %bb.1821:
	s_or_saveexec_b64 s[6:7], s[6:7]
	v_mov_b32_e32 v12, s10
	s_xor_b64 exec, exec, s[6:7]
	s_cbranch_execnz .LBB33_3872
.LBB33_1822:
	s_or_b64 exec, exec, s[6:7]
	s_and_saveexec_b64 s[6:7], s[4:5]
	s_cbranch_execz .LBB33_1824
.LBB33_1823:
	v_bfe_u32 v12, v8, 24, 3
	v_ffbh_u32_e32 v22, v12
	v_min_u32_e32 v22, 32, v22
	v_lshrrev_b32_e32 v20, 27, v8
	v_subrev_u32_e32 v23, 28, v22
	v_and_b32_e32 v19, 0x80000000, v8
	v_and_b32_e32 v20, 15, v20
	v_bfe_u32 v21, v8, 27, 4
	v_lshlrev_b32_sdwa v8, v23, v8 dst_sel:DWORD dst_unused:UNUSED_PAD src0_sel:DWORD src1_sel:BYTE_3
	v_sub_u32_e32 v22, 29, v22
	v_and_b32_e32 v8, 7, v8
	v_cmp_eq_u16_e32 vcc, 0, v20
	v_cndmask_b32_e32 v8, v12, v8, vcc
	v_cndmask_b32_e32 v12, v21, v22, vcc
	v_mov_b32_e32 v20, 0x3b800000
	v_lshlrev_b32_e32 v8, 20, v8
	v_lshl_add_u32 v12, v12, 23, v20
	v_or3_b32 v12, v19, v12, v8
.LBB33_1824:
	s_or_b64 exec, exec, s[6:7]
	s_nop 0
	v_mfma_f32_16x16x4f32 a[0:3], v18, v12, a[0:3]
	s_movk_i32 s4, 0x7f
	v_cmp_gt_i16_sdwa s[6:7], v13, s4 src0_sel:BYTE_0 src1_sel:DWORD
	s_mov_b64 s[4:5], 0
                                        ; implicit-def: $sgpr10
	s_and_saveexec_b64 s[8:9], s[6:7]
	s_xor_b64 s[6:7], exec, s[8:9]
	s_cbranch_execnz .LBB33_3873
; %bb.1825:
	s_or_saveexec_b64 s[6:7], s[6:7]
	v_mov_b32_e32 v8, s10
	s_xor_b64 exec, exec, s[6:7]
	s_cbranch_execnz .LBB33_3876
.LBB33_1826:
	s_or_b64 exec, exec, s[6:7]
	s_and_saveexec_b64 s[6:7], s[4:5]
	s_cbranch_execz .LBB33_1828
.LBB33_1827:
	v_and_b32_e32 v8, 7, v13
	v_ffbh_u32_e32 v18, v8
	v_min_u32_e32 v18, 32, v18
	v_lshrrev_b16_e32 v12, 3, v13
	v_subrev_u32_e32 v19, 28, v18
	v_and_b32_e32 v12, 15, v12
	v_lshlrev_b32_e32 v19, v19, v13
	v_sub_u32_e32 v18, 29, v18
	v_and_b32_e32 v19, 7, v19
	v_cmp_eq_u16_e32 vcc, 0, v12
	v_cndmask_b32_e32 v8, v8, v19, vcc
	v_cndmask_b32_e32 v12, v12, v18, vcc
	v_lshlrev_b32_e32 v18, 24, v13
	v_mov_b32_e32 v19, 0x3b800000
	v_lshlrev_b32_e32 v8, 20, v8
	v_and_b32_e32 v18, 0x80000000, v18
	v_lshl_add_u32 v12, v12, 23, v19
	v_or3_b32 v8, v18, v12, v8
.LBB33_1828:
	s_or_b64 exec, exec, s[6:7]
	s_movk_i32 s4, 0x7f
	v_cmp_gt_i16_sdwa s[6:7], v9, s4 src0_sel:BYTE_0 src1_sel:DWORD
	s_mov_b64 s[4:5], 0
                                        ; implicit-def: $sgpr10
	s_and_saveexec_b64 s[8:9], s[6:7]
	s_xor_b64 s[6:7], exec, s[8:9]
	s_cbranch_execnz .LBB33_3877
; %bb.1829:
	s_or_saveexec_b64 s[6:7], s[6:7]
	v_mov_b32_e32 v12, s10
	s_xor_b64 exec, exec, s[6:7]
	s_cbranch_execnz .LBB33_3880
.LBB33_1830:
	s_or_b64 exec, exec, s[6:7]
	s_and_saveexec_b64 s[6:7], s[4:5]
	s_cbranch_execz .LBB33_1832
.LBB33_1831:
	v_and_b32_e32 v12, 7, v9
	v_ffbh_u32_e32 v19, v12
	v_min_u32_e32 v19, 32, v19
	v_lshrrev_b16_e32 v18, 3, v9
	v_subrev_u32_e32 v20, 28, v19
	v_and_b32_e32 v18, 15, v18
	v_lshlrev_b32_e32 v20, v20, v9
	v_sub_u32_e32 v19, 29, v19
	v_and_b32_e32 v20, 7, v20
	v_cmp_eq_u16_e32 vcc, 0, v18
	v_cndmask_b32_e32 v12, v12, v20, vcc
	v_cndmask_b32_e32 v18, v18, v19, vcc
	v_lshlrev_b32_e32 v19, 24, v9
	v_mov_b32_e32 v20, 0x3b800000
	v_lshlrev_b32_e32 v12, 20, v12
	v_and_b32_e32 v19, 0x80000000, v19
	v_lshl_add_u32 v18, v18, 23, v20
	v_or3_b32 v12, v19, v18, v12
.LBB33_1832:
	s_or_b64 exec, exec, s[6:7]
	s_nop 0
	v_mfma_f32_16x16x4f32 a[0:3], v8, v12, a[0:3]
	v_lshrrev_b32_e32 v12, 8, v13
	s_movk_i32 s4, 0x7f
	v_cmp_gt_i16_sdwa s[6:7], v12, s4 src0_sel:BYTE_0 src1_sel:DWORD
	s_mov_b64 s[4:5], 0
                                        ; implicit-def: $sgpr10
	s_and_saveexec_b64 s[8:9], s[6:7]
	s_xor_b64 s[6:7], exec, s[8:9]
	s_cbranch_execnz .LBB33_3881
; %bb.1833:
	s_or_saveexec_b64 s[6:7], s[6:7]
	v_mov_b32_e32 v8, s10
	s_xor_b64 exec, exec, s[6:7]
	s_cbranch_execnz .LBB33_3884
.LBB33_1834:
	s_or_b64 exec, exec, s[6:7]
	s_and_saveexec_b64 s[6:7], s[4:5]
	s_cbranch_execz .LBB33_1836
.LBB33_1835:
	v_bfe_u32 v8, v13, 8, 3
	v_ffbh_u32_e32 v19, v8
	v_min_u32_e32 v19, 32, v19
	v_lshrrev_b16_e32 v18, 3, v12
	v_subrev_u32_e32 v20, 28, v19
	v_and_b32_e32 v18, 15, v18
	v_lshlrev_b32_e32 v12, v20, v12
	v_sub_u32_e32 v19, 29, v19
	v_and_b32_e32 v12, 7, v12
	v_cmp_eq_u16_e32 vcc, 0, v18
	v_cndmask_b32_e32 v8, v8, v12, vcc
	v_cndmask_b32_e32 v12, v18, v19, vcc
	v_lshlrev_b32_e32 v18, 16, v13
	v_mov_b32_e32 v19, 0x3b800000
	v_lshlrev_b32_e32 v8, 20, v8
	v_and_b32_e32 v18, 0x80000000, v18
	v_lshl_add_u32 v12, v12, 23, v19
	v_or3_b32 v8, v18, v12, v8
.LBB33_1836:
	s_or_b64 exec, exec, s[6:7]
	v_lshrrev_b32_e32 v12, 8, v9
	s_movk_i32 s4, 0x7f
	v_cmp_gt_i16_sdwa s[6:7], v12, s4 src0_sel:BYTE_0 src1_sel:DWORD
	s_mov_b64 s[4:5], 0
                                        ; implicit-def: $sgpr10
	s_and_saveexec_b64 s[8:9], s[6:7]
	s_xor_b64 s[6:7], exec, s[8:9]
	s_cbranch_execnz .LBB33_3885
; %bb.1837:
	s_or_saveexec_b64 s[6:7], s[6:7]
	v_mov_b32_e32 v18, s10
	s_xor_b64 exec, exec, s[6:7]
	s_cbranch_execnz .LBB33_3888
.LBB33_1838:
	s_or_b64 exec, exec, s[6:7]
	s_and_saveexec_b64 s[6:7], s[4:5]
	s_cbranch_execz .LBB33_1840
.LBB33_1839:
	v_bfe_u32 v18, v9, 8, 3
	v_ffbh_u32_e32 v20, v18
	v_min_u32_e32 v20, 32, v20
	v_lshrrev_b16_e32 v19, 3, v12
	v_subrev_u32_e32 v21, 28, v20
	v_and_b32_e32 v19, 15, v19
	v_lshlrev_b32_e32 v12, v21, v12
	v_sub_u32_e32 v20, 29, v20
	v_and_b32_e32 v12, 7, v12
	v_cmp_eq_u16_e32 vcc, 0, v19
	v_cndmask_b32_e32 v12, v18, v12, vcc
	v_cndmask_b32_e32 v18, v19, v20, vcc
	v_lshlrev_b32_e32 v19, 16, v9
	v_mov_b32_e32 v20, 0x3b800000
	v_lshlrev_b32_e32 v12, 20, v12
	v_and_b32_e32 v19, 0x80000000, v19
	v_lshl_add_u32 v18, v18, 23, v20
	v_or3_b32 v18, v19, v18, v12
.LBB33_1840:
	s_or_b64 exec, exec, s[6:7]
	s_nop 0
	v_mfma_f32_16x16x4f32 a[0:3], v8, v18, a[0:3]
	s_movk_i32 s4, 0xff
	v_and_b32_sdwa v12, v13, s4 dst_sel:DWORD dst_unused:UNUSED_PAD src0_sel:WORD_1 src1_sel:DWORD
	s_movk_i32 s4, 0x7f
	v_cmp_lt_i16_e32 vcc, s4, v12
	s_mov_b64 s[4:5], 0
                                        ; implicit-def: $sgpr10
	s_and_saveexec_b64 s[6:7], vcc
	s_xor_b64 s[6:7], exec, s[6:7]
	s_cbranch_execnz .LBB33_3889
; %bb.1841:
	s_or_saveexec_b64 s[6:7], s[6:7]
	v_mov_b32_e32 v8, s10
	s_xor_b64 exec, exec, s[6:7]
	s_cbranch_execnz .LBB33_3892
.LBB33_1842:
	s_or_b64 exec, exec, s[6:7]
	s_and_saveexec_b64 s[6:7], s[4:5]
	s_cbranch_execz .LBB33_1844
.LBB33_1843:
	v_bfe_u32 v8, v13, 16, 3
	v_ffbh_u32_e32 v19, v8
	v_min_u32_e32 v19, 32, v19
	v_lshrrev_b32_e32 v12, 19, v13
	v_subrev_u32_e32 v20, 28, v19
	v_and_b32_e32 v12, 15, v12
	v_lshlrev_b32_sdwa v20, v20, v13 dst_sel:DWORD dst_unused:UNUSED_PAD src0_sel:DWORD src1_sel:WORD_1
	v_bfe_u32 v18, v13, 19, 4
	v_sub_u32_e32 v19, 29, v19
	v_and_b32_e32 v20, 7, v20
	v_cmp_eq_u16_e32 vcc, 0, v12
	v_cndmask_b32_e32 v8, v8, v20, vcc
	v_cndmask_b32_e32 v12, v18, v19, vcc
	v_lshlrev_b32_e32 v18, 8, v13
	v_mov_b32_e32 v19, 0x3b800000
	v_lshlrev_b32_e32 v8, 20, v8
	v_and_b32_e32 v18, 0x80000000, v18
	v_lshl_add_u32 v12, v12, 23, v19
	v_or3_b32 v8, v18, v12, v8
.LBB33_1844:
	s_or_b64 exec, exec, s[6:7]
	s_movk_i32 s4, 0xff
	v_and_b32_sdwa v12, v9, s4 dst_sel:DWORD dst_unused:UNUSED_PAD src0_sel:WORD_1 src1_sel:DWORD
	s_movk_i32 s4, 0x7f
	v_cmp_lt_i16_e32 vcc, s4, v12
	s_mov_b64 s[4:5], 0
                                        ; implicit-def: $sgpr10
	s_and_saveexec_b64 s[6:7], vcc
	s_xor_b64 s[6:7], exec, s[6:7]
	s_cbranch_execnz .LBB33_3893
; %bb.1845:
	s_or_saveexec_b64 s[6:7], s[6:7]
	v_mov_b32_e32 v18, s10
	s_xor_b64 exec, exec, s[6:7]
	s_cbranch_execnz .LBB33_3896
.LBB33_1846:
	s_or_b64 exec, exec, s[6:7]
	s_and_saveexec_b64 s[6:7], s[4:5]
	s_cbranch_execz .LBB33_1848
.LBB33_1847:
	v_bfe_u32 v12, v9, 16, 3
	v_ffbh_u32_e32 v20, v12
	v_min_u32_e32 v20, 32, v20
	v_lshrrev_b32_e32 v18, 19, v9
	v_subrev_u32_e32 v21, 28, v20
	v_and_b32_e32 v18, 15, v18
	v_lshlrev_b32_sdwa v21, v21, v9 dst_sel:DWORD dst_unused:UNUSED_PAD src0_sel:DWORD src1_sel:WORD_1
	v_bfe_u32 v19, v9, 19, 4
	v_sub_u32_e32 v20, 29, v20
	v_and_b32_e32 v21, 7, v21
	v_cmp_eq_u16_e32 vcc, 0, v18
	v_cndmask_b32_e32 v12, v12, v21, vcc
	v_cndmask_b32_e32 v18, v19, v20, vcc
	v_lshlrev_b32_e32 v19, 8, v9
	v_mov_b32_e32 v20, 0x3b800000
	v_lshlrev_b32_e32 v12, 20, v12
	v_and_b32_e32 v19, 0x80000000, v19
	v_lshl_add_u32 v18, v18, 23, v20
	v_or3_b32 v18, v19, v18, v12
.LBB33_1848:
	s_or_b64 exec, exec, s[6:7]
	s_nop 0
	v_mfma_f32_16x16x4f32 a[0:3], v8, v18, a[0:3]
	s_movk_i32 s4, 0x7f
	v_cmp_gt_i16_sdwa s[6:7], v13, s4 src0_sel:BYTE_3 src1_sel:DWORD
	s_mov_b64 s[4:5], 0
                                        ; implicit-def: $sgpr10
	s_and_saveexec_b64 s[8:9], s[6:7]
	s_xor_b64 s[6:7], exec, s[8:9]
	s_cbranch_execnz .LBB33_3897
; %bb.1849:
	s_or_saveexec_b64 s[6:7], s[6:7]
	v_mov_b32_e32 v8, s10
	s_xor_b64 exec, exec, s[6:7]
	s_cbranch_execnz .LBB33_3900
.LBB33_1850:
	s_or_b64 exec, exec, s[6:7]
	s_and_saveexec_b64 s[6:7], s[4:5]
	s_cbranch_execz .LBB33_1852
.LBB33_1851:
	v_bfe_u32 v8, v13, 24, 3
	v_ffbh_u32_e32 v20, v8
	v_min_u32_e32 v20, 32, v20
	v_lshrrev_b32_e32 v18, 27, v13
	v_subrev_u32_e32 v21, 28, v20
	v_and_b32_e32 v12, 0x80000000, v13
	v_and_b32_e32 v18, 15, v18
	v_bfe_u32 v19, v13, 27, 4
	v_lshlrev_b32_sdwa v13, v21, v13 dst_sel:DWORD dst_unused:UNUSED_PAD src0_sel:DWORD src1_sel:BYTE_3
	v_sub_u32_e32 v20, 29, v20
	v_and_b32_e32 v13, 7, v13
	v_cmp_eq_u16_e32 vcc, 0, v18
	v_cndmask_b32_e32 v8, v8, v13, vcc
	v_cndmask_b32_e32 v13, v19, v20, vcc
	v_mov_b32_e32 v18, 0x3b800000
	v_lshlrev_b32_e32 v8, 20, v8
	v_lshl_add_u32 v13, v13, 23, v18
	v_or3_b32 v8, v12, v13, v8
.LBB33_1852:
	s_or_b64 exec, exec, s[6:7]
	s_movk_i32 s4, 0x7f
	v_cmp_gt_i16_sdwa s[6:7], v9, s4 src0_sel:BYTE_3 src1_sel:DWORD
	s_mov_b64 s[4:5], 0
                                        ; implicit-def: $sgpr10
	s_and_saveexec_b64 s[8:9], s[6:7]
	s_xor_b64 s[6:7], exec, s[8:9]
	s_cbranch_execnz .LBB33_3901
; %bb.1853:
	s_or_saveexec_b64 s[6:7], s[6:7]
	v_mov_b32_e32 v12, s10
	s_xor_b64 exec, exec, s[6:7]
	s_cbranch_execnz .LBB33_3904
.LBB33_1854:
	s_or_b64 exec, exec, s[6:7]
	s_and_saveexec_b64 s[6:7], s[4:5]
	s_cbranch_execz .LBB33_1856
.LBB33_1855:
	v_bfe_u32 v12, v9, 24, 3
	v_ffbh_u32_e32 v20, v12
	v_min_u32_e32 v20, 32, v20
	v_lshrrev_b32_e32 v18, 27, v9
	v_subrev_u32_e32 v21, 28, v20
	v_and_b32_e32 v13, 0x80000000, v9
	v_and_b32_e32 v18, 15, v18
	v_bfe_u32 v19, v9, 27, 4
	v_lshlrev_b32_sdwa v9, v21, v9 dst_sel:DWORD dst_unused:UNUSED_PAD src0_sel:DWORD src1_sel:BYTE_3
	v_sub_u32_e32 v20, 29, v20
	v_and_b32_e32 v9, 7, v9
	v_cmp_eq_u16_e32 vcc, 0, v18
	v_cndmask_b32_e32 v9, v12, v9, vcc
	v_cndmask_b32_e32 v12, v19, v20, vcc
	v_mov_b32_e32 v18, 0x3b800000
	v_lshlrev_b32_e32 v9, 20, v9
	v_lshl_add_u32 v12, v12, 23, v18
	v_or3_b32 v12, v13, v12, v9
.LBB33_1856:
	s_or_b64 exec, exec, s[6:7]
	s_nop 0
	v_mfma_f32_16x16x4f32 a[0:3], v8, v12, a[0:3]
	s_movk_i32 s4, 0x7f
	v_cmp_gt_i16_sdwa s[6:7], v14, s4 src0_sel:BYTE_0 src1_sel:DWORD
	s_mov_b64 s[4:5], 0
                                        ; implicit-def: $sgpr10
	s_and_saveexec_b64 s[8:9], s[6:7]
	s_xor_b64 s[6:7], exec, s[8:9]
	s_cbranch_execnz .LBB33_3905
; %bb.1857:
	s_or_saveexec_b64 s[6:7], s[6:7]
	v_mov_b32_e32 v8, s10
	s_xor_b64 exec, exec, s[6:7]
	s_cbranch_execnz .LBB33_3908
.LBB33_1858:
	s_or_b64 exec, exec, s[6:7]
	s_and_saveexec_b64 s[6:7], s[4:5]
	s_cbranch_execz .LBB33_1860
.LBB33_1859:
	v_and_b32_e32 v8, 7, v14
	v_ffbh_u32_e32 v12, v8
	v_min_u32_e32 v12, 32, v12
	v_lshrrev_b16_e32 v9, 3, v14
	v_subrev_u32_e32 v13, 28, v12
	v_and_b32_e32 v9, 15, v9
	v_lshlrev_b32_e32 v13, v13, v14
	v_sub_u32_e32 v12, 29, v12
	v_and_b32_e32 v13, 7, v13
	v_cmp_eq_u16_e32 vcc, 0, v9
	v_cndmask_b32_e32 v8, v8, v13, vcc
	v_cndmask_b32_e32 v9, v9, v12, vcc
	v_lshlrev_b32_e32 v12, 24, v14
	v_mov_b32_e32 v13, 0x3b800000
	v_lshlrev_b32_e32 v8, 20, v8
	v_and_b32_e32 v12, 0x80000000, v12
	v_lshl_add_u32 v9, v9, 23, v13
	v_or3_b32 v8, v12, v9, v8
.LBB33_1860:
	s_or_b64 exec, exec, s[6:7]
	s_movk_i32 s4, 0x7f
	v_cmp_gt_i16_sdwa s[6:7], v10, s4 src0_sel:BYTE_0 src1_sel:DWORD
	s_mov_b64 s[4:5], 0
                                        ; implicit-def: $sgpr10
	s_and_saveexec_b64 s[8:9], s[6:7]
	s_xor_b64 s[6:7], exec, s[8:9]
	s_cbranch_execnz .LBB33_3909
; %bb.1861:
	s_or_saveexec_b64 s[6:7], s[6:7]
	v_mov_b32_e32 v9, s10
	s_xor_b64 exec, exec, s[6:7]
	s_cbranch_execnz .LBB33_3912
.LBB33_1862:
	s_or_b64 exec, exec, s[6:7]
	s_and_saveexec_b64 s[6:7], s[4:5]
	s_cbranch_execz .LBB33_1864
.LBB33_1863:
	v_and_b32_e32 v9, 7, v10
	v_ffbh_u32_e32 v13, v9
	v_min_u32_e32 v13, 32, v13
	v_lshrrev_b16_e32 v12, 3, v10
	v_subrev_u32_e32 v18, 28, v13
	v_and_b32_e32 v12, 15, v12
	v_lshlrev_b32_e32 v18, v18, v10
	v_sub_u32_e32 v13, 29, v13
	v_and_b32_e32 v18, 7, v18
	v_cmp_eq_u16_e32 vcc, 0, v12
	v_cndmask_b32_e32 v9, v9, v18, vcc
	v_cndmask_b32_e32 v12, v12, v13, vcc
	v_lshlrev_b32_e32 v13, 24, v10
	v_mov_b32_e32 v18, 0x3b800000
	v_lshlrev_b32_e32 v9, 20, v9
	v_and_b32_e32 v13, 0x80000000, v13
	v_lshl_add_u32 v12, v12, 23, v18
	v_or3_b32 v9, v13, v12, v9
.LBB33_1864:
	s_or_b64 exec, exec, s[6:7]
	s_nop 0
	v_mfma_f32_16x16x4f32 a[0:3], v8, v9, a[0:3]
	v_lshrrev_b32_e32 v9, 8, v14
	s_movk_i32 s4, 0x7f
	v_cmp_gt_i16_sdwa s[6:7], v9, s4 src0_sel:BYTE_0 src1_sel:DWORD
	s_mov_b64 s[4:5], 0
                                        ; implicit-def: $sgpr10
	s_and_saveexec_b64 s[8:9], s[6:7]
	s_xor_b64 s[6:7], exec, s[8:9]
	s_cbranch_execnz .LBB33_3913
; %bb.1865:
	s_or_saveexec_b64 s[6:7], s[6:7]
	v_mov_b32_e32 v8, s10
	s_xor_b64 exec, exec, s[6:7]
	s_cbranch_execnz .LBB33_3916
.LBB33_1866:
	s_or_b64 exec, exec, s[6:7]
	s_and_saveexec_b64 s[6:7], s[4:5]
	s_cbranch_execz .LBB33_1868
.LBB33_1867:
	v_bfe_u32 v8, v14, 8, 3
	v_ffbh_u32_e32 v13, v8
	v_min_u32_e32 v13, 32, v13
	v_lshrrev_b16_e32 v12, 3, v9
	v_subrev_u32_e32 v18, 28, v13
	v_and_b32_e32 v12, 15, v12
	v_lshlrev_b32_e32 v9, v18, v9
	v_sub_u32_e32 v13, 29, v13
	v_and_b32_e32 v9, 7, v9
	v_cmp_eq_u16_e32 vcc, 0, v12
	v_cndmask_b32_e32 v8, v8, v9, vcc
	v_cndmask_b32_e32 v9, v12, v13, vcc
	v_lshlrev_b32_e32 v12, 16, v14
	v_mov_b32_e32 v13, 0x3b800000
	v_lshlrev_b32_e32 v8, 20, v8
	v_and_b32_e32 v12, 0x80000000, v12
	v_lshl_add_u32 v9, v9, 23, v13
	v_or3_b32 v8, v12, v9, v8
.LBB33_1868:
	s_or_b64 exec, exec, s[6:7]
	v_lshrrev_b32_e32 v9, 8, v10
	s_movk_i32 s4, 0x7f
	v_cmp_gt_i16_sdwa s[6:7], v9, s4 src0_sel:BYTE_0 src1_sel:DWORD
	s_mov_b64 s[4:5], 0
                                        ; implicit-def: $sgpr10
	s_and_saveexec_b64 s[8:9], s[6:7]
	s_xor_b64 s[6:7], exec, s[8:9]
	s_cbranch_execnz .LBB33_3917
; %bb.1869:
	s_or_saveexec_b64 s[6:7], s[6:7]
	v_mov_b32_e32 v12, s10
	s_xor_b64 exec, exec, s[6:7]
	s_cbranch_execnz .LBB33_3920
.LBB33_1870:
	s_or_b64 exec, exec, s[6:7]
	s_and_saveexec_b64 s[6:7], s[4:5]
	s_cbranch_execz .LBB33_1872
.LBB33_1871:
	v_bfe_u32 v12, v10, 8, 3
	v_ffbh_u32_e32 v18, v12
	v_min_u32_e32 v18, 32, v18
	v_lshrrev_b16_e32 v13, 3, v9
	v_subrev_u32_e32 v19, 28, v18
	v_and_b32_e32 v13, 15, v13
	v_lshlrev_b32_e32 v9, v19, v9
	v_sub_u32_e32 v18, 29, v18
	v_and_b32_e32 v9, 7, v9
	v_cmp_eq_u16_e32 vcc, 0, v13
	v_cndmask_b32_e32 v9, v12, v9, vcc
	v_cndmask_b32_e32 v12, v13, v18, vcc
	v_lshlrev_b32_e32 v13, 16, v10
	v_mov_b32_e32 v18, 0x3b800000
	v_lshlrev_b32_e32 v9, 20, v9
	v_and_b32_e32 v13, 0x80000000, v13
	v_lshl_add_u32 v12, v12, 23, v18
	v_or3_b32 v12, v13, v12, v9
.LBB33_1872:
	s_or_b64 exec, exec, s[6:7]
	s_nop 0
	v_mfma_f32_16x16x4f32 a[0:3], v8, v12, a[0:3]
	s_movk_i32 s4, 0xff
	v_and_b32_sdwa v9, v14, s4 dst_sel:DWORD dst_unused:UNUSED_PAD src0_sel:WORD_1 src1_sel:DWORD
	s_movk_i32 s4, 0x7f
	v_cmp_lt_i16_e32 vcc, s4, v9
	s_mov_b64 s[4:5], 0
                                        ; implicit-def: $sgpr10
	s_and_saveexec_b64 s[6:7], vcc
	s_xor_b64 s[6:7], exec, s[6:7]
	s_cbranch_execnz .LBB33_3921
; %bb.1873:
	s_or_saveexec_b64 s[6:7], s[6:7]
	v_mov_b32_e32 v8, s10
	s_xor_b64 exec, exec, s[6:7]
	s_cbranch_execnz .LBB33_3924
.LBB33_1874:
	s_or_b64 exec, exec, s[6:7]
	s_and_saveexec_b64 s[6:7], s[4:5]
	s_cbranch_execz .LBB33_1876
.LBB33_1875:
	v_bfe_u32 v8, v14, 16, 3
	v_ffbh_u32_e32 v13, v8
	v_min_u32_e32 v13, 32, v13
	v_lshrrev_b32_e32 v9, 19, v14
	v_subrev_u32_e32 v18, 28, v13
	v_and_b32_e32 v9, 15, v9
	v_lshlrev_b32_sdwa v18, v18, v14 dst_sel:DWORD dst_unused:UNUSED_PAD src0_sel:DWORD src1_sel:WORD_1
	v_bfe_u32 v12, v14, 19, 4
	v_sub_u32_e32 v13, 29, v13
	v_and_b32_e32 v18, 7, v18
	v_cmp_eq_u16_e32 vcc, 0, v9
	v_cndmask_b32_e32 v8, v8, v18, vcc
	v_cndmask_b32_e32 v9, v12, v13, vcc
	v_lshlrev_b32_e32 v12, 8, v14
	v_mov_b32_e32 v13, 0x3b800000
	v_lshlrev_b32_e32 v8, 20, v8
	v_and_b32_e32 v12, 0x80000000, v12
	v_lshl_add_u32 v9, v9, 23, v13
	v_or3_b32 v8, v12, v9, v8
.LBB33_1876:
	s_or_b64 exec, exec, s[6:7]
	s_movk_i32 s4, 0xff
	v_and_b32_sdwa v9, v10, s4 dst_sel:DWORD dst_unused:UNUSED_PAD src0_sel:WORD_1 src1_sel:DWORD
	s_movk_i32 s4, 0x7f
	v_cmp_lt_i16_e32 vcc, s4, v9
	s_mov_b64 s[4:5], 0
                                        ; implicit-def: $sgpr10
	s_and_saveexec_b64 s[6:7], vcc
	s_xor_b64 s[6:7], exec, s[6:7]
	s_cbranch_execnz .LBB33_3925
; %bb.1877:
	s_or_saveexec_b64 s[6:7], s[6:7]
	v_mov_b32_e32 v12, s10
	s_xor_b64 exec, exec, s[6:7]
	s_cbranch_execnz .LBB33_3928
.LBB33_1878:
	s_or_b64 exec, exec, s[6:7]
	s_and_saveexec_b64 s[6:7], s[4:5]
	s_cbranch_execz .LBB33_1880
.LBB33_1879:
	v_bfe_u32 v9, v10, 16, 3
	v_ffbh_u32_e32 v18, v9
	v_min_u32_e32 v18, 32, v18
	v_lshrrev_b32_e32 v12, 19, v10
	v_subrev_u32_e32 v19, 28, v18
	v_and_b32_e32 v12, 15, v12
	v_lshlrev_b32_sdwa v19, v19, v10 dst_sel:DWORD dst_unused:UNUSED_PAD src0_sel:DWORD src1_sel:WORD_1
	v_bfe_u32 v13, v10, 19, 4
	v_sub_u32_e32 v18, 29, v18
	v_and_b32_e32 v19, 7, v19
	v_cmp_eq_u16_e32 vcc, 0, v12
	v_cndmask_b32_e32 v9, v9, v19, vcc
	v_cndmask_b32_e32 v12, v13, v18, vcc
	v_lshlrev_b32_e32 v13, 8, v10
	v_mov_b32_e32 v18, 0x3b800000
	v_lshlrev_b32_e32 v9, 20, v9
	v_and_b32_e32 v13, 0x80000000, v13
	v_lshl_add_u32 v12, v12, 23, v18
	v_or3_b32 v12, v13, v12, v9
.LBB33_1880:
	s_or_b64 exec, exec, s[6:7]
	s_nop 0
	v_mfma_f32_16x16x4f32 a[0:3], v8, v12, a[0:3]
	s_movk_i32 s4, 0x7f
	v_cmp_gt_i16_sdwa s[6:7], v14, s4 src0_sel:BYTE_3 src1_sel:DWORD
	s_mov_b64 s[4:5], 0
                                        ; implicit-def: $sgpr10
	s_and_saveexec_b64 s[8:9], s[6:7]
	s_xor_b64 s[6:7], exec, s[8:9]
	s_cbranch_execnz .LBB33_3929
; %bb.1881:
	s_or_saveexec_b64 s[6:7], s[6:7]
	v_mov_b32_e32 v8, s10
	s_xor_b64 exec, exec, s[6:7]
	s_cbranch_execnz .LBB33_3932
.LBB33_1882:
	s_or_b64 exec, exec, s[6:7]
	s_and_saveexec_b64 s[6:7], s[4:5]
	s_cbranch_execz .LBB33_1884
.LBB33_1883:
	v_bfe_u32 v8, v14, 24, 3
	v_ffbh_u32_e32 v18, v8
	v_min_u32_e32 v18, 32, v18
	v_lshrrev_b32_e32 v12, 27, v14
	v_subrev_u32_e32 v19, 28, v18
	v_and_b32_e32 v9, 0x80000000, v14
	v_and_b32_e32 v12, 15, v12
	v_bfe_u32 v13, v14, 27, 4
	v_lshlrev_b32_sdwa v14, v19, v14 dst_sel:DWORD dst_unused:UNUSED_PAD src0_sel:DWORD src1_sel:BYTE_3
	v_sub_u32_e32 v18, 29, v18
	v_and_b32_e32 v14, 7, v14
	v_cmp_eq_u16_e32 vcc, 0, v12
	v_cndmask_b32_e32 v8, v8, v14, vcc
	v_cndmask_b32_e32 v12, v13, v18, vcc
	v_mov_b32_e32 v13, 0x3b800000
	v_lshlrev_b32_e32 v8, 20, v8
	v_lshl_add_u32 v12, v12, 23, v13
	v_or3_b32 v8, v9, v12, v8
.LBB33_1884:
	s_or_b64 exec, exec, s[6:7]
	s_movk_i32 s4, 0x7f
	v_cmp_gt_i16_sdwa s[6:7], v10, s4 src0_sel:BYTE_3 src1_sel:DWORD
	s_mov_b64 s[4:5], 0
                                        ; implicit-def: $sgpr10
	s_and_saveexec_b64 s[8:9], s[6:7]
	s_xor_b64 s[6:7], exec, s[8:9]
	s_cbranch_execnz .LBB33_3933
; %bb.1885:
	s_or_saveexec_b64 s[6:7], s[6:7]
	v_mov_b32_e32 v9, s10
	s_xor_b64 exec, exec, s[6:7]
	s_cbranch_execnz .LBB33_3936
.LBB33_1886:
	s_or_b64 exec, exec, s[6:7]
	s_and_saveexec_b64 s[6:7], s[4:5]
	s_cbranch_execz .LBB33_1888
.LBB33_1887:
	v_bfe_u32 v9, v10, 24, 3
	v_ffbh_u32_e32 v18, v9
	v_min_u32_e32 v18, 32, v18
	v_lshrrev_b32_e32 v13, 27, v10
	v_subrev_u32_e32 v19, 28, v18
	v_and_b32_e32 v12, 0x80000000, v10
	v_and_b32_e32 v13, 15, v13
	v_bfe_u32 v14, v10, 27, 4
	v_lshlrev_b32_sdwa v10, v19, v10 dst_sel:DWORD dst_unused:UNUSED_PAD src0_sel:DWORD src1_sel:BYTE_3
	v_sub_u32_e32 v18, 29, v18
	v_and_b32_e32 v10, 7, v10
	v_cmp_eq_u16_e32 vcc, 0, v13
	v_cndmask_b32_e32 v9, v9, v10, vcc
	v_cndmask_b32_e32 v10, v14, v18, vcc
	v_mov_b32_e32 v13, 0x3b800000
	v_lshlrev_b32_e32 v9, 20, v9
	v_lshl_add_u32 v10, v10, 23, v13
	v_or3_b32 v9, v12, v10, v9
.LBB33_1888:
	s_or_b64 exec, exec, s[6:7]
	s_nop 0
	v_mfma_f32_16x16x4f32 a[0:3], v8, v9, a[0:3]
	s_movk_i32 s4, 0x7f
	v_cmp_gt_i16_sdwa s[6:7], v15, s4 src0_sel:BYTE_0 src1_sel:DWORD
	s_mov_b64 s[4:5], 0
                                        ; implicit-def: $sgpr10
	s_and_saveexec_b64 s[8:9], s[6:7]
	s_xor_b64 s[6:7], exec, s[8:9]
	s_cbranch_execnz .LBB33_3937
; %bb.1889:
	s_or_saveexec_b64 s[6:7], s[6:7]
	v_mov_b32_e32 v8, s10
	s_xor_b64 exec, exec, s[6:7]
	s_cbranch_execnz .LBB33_3940
.LBB33_1890:
	s_or_b64 exec, exec, s[6:7]
	s_and_saveexec_b64 s[6:7], s[4:5]
	s_cbranch_execz .LBB33_1892
.LBB33_1891:
	v_and_b32_e32 v8, 7, v15
	v_ffbh_u32_e32 v10, v8
	v_min_u32_e32 v10, 32, v10
	v_lshrrev_b16_e32 v9, 3, v15
	v_subrev_u32_e32 v12, 28, v10
	v_and_b32_e32 v9, 15, v9
	v_lshlrev_b32_e32 v12, v12, v15
	v_sub_u32_e32 v10, 29, v10
	v_and_b32_e32 v12, 7, v12
	v_cmp_eq_u16_e32 vcc, 0, v9
	v_cndmask_b32_e32 v8, v8, v12, vcc
	v_cndmask_b32_e32 v9, v9, v10, vcc
	v_lshlrev_b32_e32 v10, 24, v15
	v_mov_b32_e32 v12, 0x3b800000
	v_lshlrev_b32_e32 v8, 20, v8
	v_and_b32_e32 v10, 0x80000000, v10
	v_lshl_add_u32 v9, v9, 23, v12
	v_or3_b32 v8, v10, v9, v8
.LBB33_1892:
	s_or_b64 exec, exec, s[6:7]
	s_movk_i32 s4, 0x7f
	v_cmp_gt_i16_sdwa s[6:7], v11, s4 src0_sel:BYTE_0 src1_sel:DWORD
	s_mov_b64 s[4:5], 0
                                        ; implicit-def: $sgpr10
	s_and_saveexec_b64 s[8:9], s[6:7]
	s_xor_b64 s[6:7], exec, s[8:9]
	s_cbranch_execnz .LBB33_3941
; %bb.1893:
	s_or_saveexec_b64 s[6:7], s[6:7]
	v_mov_b32_e32 v9, s10
	s_xor_b64 exec, exec, s[6:7]
	s_cbranch_execnz .LBB33_3944
.LBB33_1894:
	s_or_b64 exec, exec, s[6:7]
	s_and_saveexec_b64 s[6:7], s[4:5]
	s_cbranch_execz .LBB33_1896
.LBB33_1895:
	v_and_b32_e32 v9, 7, v11
	v_ffbh_u32_e32 v12, v9
	v_min_u32_e32 v12, 32, v12
	v_lshrrev_b16_e32 v10, 3, v11
	v_subrev_u32_e32 v13, 28, v12
	v_and_b32_e32 v10, 15, v10
	v_lshlrev_b32_e32 v13, v13, v11
	v_sub_u32_e32 v12, 29, v12
	v_and_b32_e32 v13, 7, v13
	v_cmp_eq_u16_e32 vcc, 0, v10
	v_cndmask_b32_e32 v9, v9, v13, vcc
	v_cndmask_b32_e32 v10, v10, v12, vcc
	v_lshlrev_b32_e32 v12, 24, v11
	v_mov_b32_e32 v13, 0x3b800000
	v_lshlrev_b32_e32 v9, 20, v9
	v_and_b32_e32 v12, 0x80000000, v12
	v_lshl_add_u32 v10, v10, 23, v13
	v_or3_b32 v9, v12, v10, v9
.LBB33_1896:
	s_or_b64 exec, exec, s[6:7]
	s_nop 0
	v_mfma_f32_16x16x4f32 a[0:3], v8, v9, a[0:3]
	v_lshrrev_b32_e32 v9, 8, v15
	s_movk_i32 s4, 0x7f
	v_cmp_gt_i16_sdwa s[6:7], v9, s4 src0_sel:BYTE_0 src1_sel:DWORD
	s_mov_b64 s[4:5], 0
                                        ; implicit-def: $sgpr10
	s_and_saveexec_b64 s[8:9], s[6:7]
	s_xor_b64 s[6:7], exec, s[8:9]
	s_cbranch_execnz .LBB33_3945
; %bb.1897:
	s_or_saveexec_b64 s[6:7], s[6:7]
	v_mov_b32_e32 v8, s10
	s_xor_b64 exec, exec, s[6:7]
	s_cbranch_execnz .LBB33_3948
.LBB33_1898:
	s_or_b64 exec, exec, s[6:7]
	s_and_saveexec_b64 s[6:7], s[4:5]
	s_cbranch_execz .LBB33_1900
.LBB33_1899:
	v_bfe_u32 v8, v15, 8, 3
	v_ffbh_u32_e32 v12, v8
	v_min_u32_e32 v12, 32, v12
	v_lshrrev_b16_e32 v10, 3, v9
	v_subrev_u32_e32 v13, 28, v12
	v_and_b32_e32 v10, 15, v10
	v_lshlrev_b32_e32 v9, v13, v9
	v_sub_u32_e32 v12, 29, v12
	v_and_b32_e32 v9, 7, v9
	v_cmp_eq_u16_e32 vcc, 0, v10
	v_cndmask_b32_e32 v8, v8, v9, vcc
	v_cndmask_b32_e32 v9, v10, v12, vcc
	v_lshlrev_b32_e32 v10, 16, v15
	v_mov_b32_e32 v12, 0x3b800000
	v_lshlrev_b32_e32 v8, 20, v8
	v_and_b32_e32 v10, 0x80000000, v10
	v_lshl_add_u32 v9, v9, 23, v12
	v_or3_b32 v8, v10, v9, v8
.LBB33_1900:
	s_or_b64 exec, exec, s[6:7]
	v_lshrrev_b32_e32 v9, 8, v11
	s_movk_i32 s4, 0x7f
	v_cmp_gt_i16_sdwa s[6:7], v9, s4 src0_sel:BYTE_0 src1_sel:DWORD
	s_mov_b64 s[4:5], 0
                                        ; implicit-def: $sgpr10
	s_and_saveexec_b64 s[8:9], s[6:7]
	s_xor_b64 s[6:7], exec, s[8:9]
	s_cbranch_execnz .LBB33_3949
; %bb.1901:
	s_or_saveexec_b64 s[6:7], s[6:7]
	v_mov_b32_e32 v10, s10
	s_xor_b64 exec, exec, s[6:7]
	s_cbranch_execnz .LBB33_3952
.LBB33_1902:
	s_or_b64 exec, exec, s[6:7]
	s_and_saveexec_b64 s[6:7], s[4:5]
	s_cbranch_execz .LBB33_1904
.LBB33_1903:
	v_bfe_u32 v10, v11, 8, 3
	v_ffbh_u32_e32 v13, v10
	v_min_u32_e32 v13, 32, v13
	v_lshrrev_b16_e32 v12, 3, v9
	v_subrev_u32_e32 v14, 28, v13
	v_and_b32_e32 v12, 15, v12
	v_lshlrev_b32_e32 v9, v14, v9
	v_sub_u32_e32 v13, 29, v13
	v_and_b32_e32 v9, 7, v9
	v_cmp_eq_u16_e32 vcc, 0, v12
	v_cndmask_b32_e32 v9, v10, v9, vcc
	v_cndmask_b32_e32 v10, v12, v13, vcc
	v_lshlrev_b32_e32 v12, 16, v11
	v_mov_b32_e32 v13, 0x3b800000
	v_lshlrev_b32_e32 v9, 20, v9
	v_and_b32_e32 v12, 0x80000000, v12
	v_lshl_add_u32 v10, v10, 23, v13
	v_or3_b32 v10, v12, v10, v9
.LBB33_1904:
	s_or_b64 exec, exec, s[6:7]
	s_nop 0
	v_mfma_f32_16x16x4f32 a[0:3], v8, v10, a[0:3]
	s_movk_i32 s4, 0xff
	v_and_b32_sdwa v9, v15, s4 dst_sel:DWORD dst_unused:UNUSED_PAD src0_sel:WORD_1 src1_sel:DWORD
	s_movk_i32 s4, 0x7f
	v_cmp_lt_i16_e32 vcc, s4, v9
	s_mov_b64 s[4:5], 0
                                        ; implicit-def: $sgpr10
	s_and_saveexec_b64 s[6:7], vcc
	s_xor_b64 s[6:7], exec, s[6:7]
	s_cbranch_execnz .LBB33_3953
; %bb.1905:
	s_or_saveexec_b64 s[6:7], s[6:7]
	v_mov_b32_e32 v8, s10
	s_xor_b64 exec, exec, s[6:7]
	s_cbranch_execnz .LBB33_3956
.LBB33_1906:
	s_or_b64 exec, exec, s[6:7]
	s_and_saveexec_b64 s[6:7], s[4:5]
	s_cbranch_execz .LBB33_1908
.LBB33_1907:
	v_bfe_u32 v8, v15, 16, 3
	v_ffbh_u32_e32 v12, v8
	v_min_u32_e32 v12, 32, v12
	v_lshrrev_b32_e32 v9, 19, v15
	v_subrev_u32_e32 v13, 28, v12
	v_and_b32_e32 v9, 15, v9
	v_lshlrev_b32_sdwa v13, v13, v15 dst_sel:DWORD dst_unused:UNUSED_PAD src0_sel:DWORD src1_sel:WORD_1
	v_bfe_u32 v10, v15, 19, 4
	v_sub_u32_e32 v12, 29, v12
	v_and_b32_e32 v13, 7, v13
	v_cmp_eq_u16_e32 vcc, 0, v9
	v_cndmask_b32_e32 v8, v8, v13, vcc
	v_cndmask_b32_e32 v9, v10, v12, vcc
	v_lshlrev_b32_e32 v10, 8, v15
	v_mov_b32_e32 v12, 0x3b800000
	v_lshlrev_b32_e32 v8, 20, v8
	v_and_b32_e32 v10, 0x80000000, v10
	v_lshl_add_u32 v9, v9, 23, v12
	v_or3_b32 v8, v10, v9, v8
.LBB33_1908:
	s_or_b64 exec, exec, s[6:7]
	s_movk_i32 s4, 0xff
	v_and_b32_sdwa v9, v11, s4 dst_sel:DWORD dst_unused:UNUSED_PAD src0_sel:WORD_1 src1_sel:DWORD
	s_movk_i32 s4, 0x7f
	v_cmp_lt_i16_e32 vcc, s4, v9
	s_mov_b64 s[4:5], 0
                                        ; implicit-def: $sgpr10
	s_and_saveexec_b64 s[6:7], vcc
	s_xor_b64 s[6:7], exec, s[6:7]
	s_cbranch_execnz .LBB33_3957
; %bb.1909:
	s_or_saveexec_b64 s[6:7], s[6:7]
	v_mov_b32_e32 v10, s10
	s_xor_b64 exec, exec, s[6:7]
	s_cbranch_execnz .LBB33_3960
.LBB33_1910:
	s_or_b64 exec, exec, s[6:7]
	s_and_saveexec_b64 s[6:7], s[4:5]
	s_cbranch_execz .LBB33_1912
.LBB33_1911:
	v_bfe_u32 v9, v11, 16, 3
	v_ffbh_u32_e32 v13, v9
	v_min_u32_e32 v13, 32, v13
	v_lshrrev_b32_e32 v10, 19, v11
	v_subrev_u32_e32 v14, 28, v13
	v_and_b32_e32 v10, 15, v10
	v_lshlrev_b32_sdwa v14, v14, v11 dst_sel:DWORD dst_unused:UNUSED_PAD src0_sel:DWORD src1_sel:WORD_1
	v_bfe_u32 v12, v11, 19, 4
	v_sub_u32_e32 v13, 29, v13
	v_and_b32_e32 v14, 7, v14
	v_cmp_eq_u16_e32 vcc, 0, v10
	v_cndmask_b32_e32 v9, v9, v14, vcc
	v_cndmask_b32_e32 v10, v12, v13, vcc
	v_lshlrev_b32_e32 v12, 8, v11
	v_mov_b32_e32 v13, 0x3b800000
	v_lshlrev_b32_e32 v9, 20, v9
	v_and_b32_e32 v12, 0x80000000, v12
	v_lshl_add_u32 v10, v10, 23, v13
	v_or3_b32 v10, v12, v10, v9
.LBB33_1912:
	s_or_b64 exec, exec, s[6:7]
	s_nop 0
	v_mfma_f32_16x16x4f32 a[0:3], v8, v10, a[0:3]
	s_movk_i32 s4, 0x7f
	v_cmp_gt_i16_sdwa s[6:7], v15, s4 src0_sel:BYTE_3 src1_sel:DWORD
	s_mov_b64 s[4:5], 0
                                        ; implicit-def: $sgpr10
	s_and_saveexec_b64 s[8:9], s[6:7]
	s_xor_b64 s[6:7], exec, s[8:9]
	s_cbranch_execnz .LBB33_3961
; %bb.1913:
	s_or_saveexec_b64 s[6:7], s[6:7]
	v_mov_b32_e32 v8, s10
	s_xor_b64 exec, exec, s[6:7]
	s_cbranch_execnz .LBB33_3964
.LBB33_1914:
	s_or_b64 exec, exec, s[6:7]
	s_and_saveexec_b64 s[6:7], s[4:5]
	s_cbranch_execz .LBB33_1916
.LBB33_1915:
	v_bfe_u32 v8, v15, 24, 3
	v_ffbh_u32_e32 v13, v8
	v_min_u32_e32 v13, 32, v13
	v_lshrrev_b32_e32 v10, 27, v15
	v_subrev_u32_e32 v14, 28, v13
	v_and_b32_e32 v10, 15, v10
	v_lshlrev_b32_sdwa v14, v14, v15 dst_sel:DWORD dst_unused:UNUSED_PAD src0_sel:DWORD src1_sel:BYTE_3
	v_bfe_u32 v12, v15, 27, 4
	v_sub_u32_e32 v13, 29, v13
	v_and_b32_e32 v14, 7, v14
	v_cmp_eq_u16_e32 vcc, 0, v10
	v_cndmask_b32_e32 v8, v8, v14, vcc
	v_cndmask_b32_e32 v10, v12, v13, vcc
	v_mov_b32_e32 v12, 0x3b800000
	v_and_b32_e32 v9, 0x80000000, v15
	v_lshlrev_b32_e32 v8, 20, v8
	v_lshl_add_u32 v10, v10, 23, v12
	v_or3_b32 v8, v9, v10, v8
.LBB33_1916:
	s_or_b64 exec, exec, s[6:7]
	s_movk_i32 s4, 0x7f
	v_cmp_gt_i16_sdwa s[6:7], v11, s4 src0_sel:BYTE_3 src1_sel:DWORD
	s_mov_b64 s[4:5], 0
                                        ; implicit-def: $sgpr10
	s_and_saveexec_b64 s[8:9], s[6:7]
	s_xor_b64 s[6:7], exec, s[8:9]
	s_cbranch_execnz .LBB33_3965
; %bb.1917:
	s_or_saveexec_b64 s[6:7], s[6:7]
	v_mov_b32_e32 v9, s10
	s_xor_b64 exec, exec, s[6:7]
	s_cbranch_execnz .LBB33_3968
.LBB33_1918:
	s_or_b64 exec, exec, s[6:7]
	s_and_saveexec_b64 s[6:7], s[4:5]
	s_cbranch_execz .LBB33_1920
.LBB33_1919:
	v_bfe_u32 v9, v11, 24, 3
	v_ffbh_u32_e32 v14, v9
	v_min_u32_e32 v14, 32, v14
	v_lshrrev_b32_e32 v12, 27, v11
	v_subrev_u32_e32 v15, 28, v14
	v_and_b32_e32 v10, 0x80000000, v11
	v_and_b32_e32 v12, 15, v12
	v_bfe_u32 v13, v11, 27, 4
	v_lshlrev_b32_sdwa v11, v15, v11 dst_sel:DWORD dst_unused:UNUSED_PAD src0_sel:DWORD src1_sel:BYTE_3
	v_sub_u32_e32 v14, 29, v14
	v_and_b32_e32 v11, 7, v11
	v_cmp_eq_u16_e32 vcc, 0, v12
	v_cndmask_b32_e32 v9, v9, v11, vcc
	v_cndmask_b32_e32 v11, v13, v14, vcc
	v_mov_b32_e32 v12, 0x3b800000
	v_lshlrev_b32_e32 v9, 20, v9
	v_lshl_add_u32 v11, v11, 23, v12
	v_or3_b32 v9, v10, v11, v9
.LBB33_1920:
	s_or_b64 exec, exec, s[6:7]
	s_nop 0
	v_mfma_f32_16x16x4f32 a[0:3], v8, v9, a[0:3]
	s_movk_i32 s4, 0x7f
	v_cmp_gt_i16_sdwa s[6:7], v4, s4 src0_sel:BYTE_0 src1_sel:DWORD
	s_mov_b64 s[4:5], 0
                                        ; implicit-def: $sgpr10
	s_and_saveexec_b64 s[8:9], s[6:7]
	s_xor_b64 s[6:7], exec, s[8:9]
	s_cbranch_execnz .LBB33_3969
; %bb.1921:
	s_or_saveexec_b64 s[6:7], s[6:7]
	v_mov_b32_e32 v8, s10
	s_xor_b64 exec, exec, s[6:7]
	s_cbranch_execnz .LBB33_3972
.LBB33_1922:
	s_or_b64 exec, exec, s[6:7]
	s_and_saveexec_b64 s[6:7], s[4:5]
	s_cbranch_execz .LBB33_1924
.LBB33_1923:
	v_and_b32_e32 v8, 7, v4
	v_ffbh_u32_e32 v10, v8
	v_min_u32_e32 v10, 32, v10
	v_lshrrev_b16_e32 v9, 3, v4
	v_subrev_u32_e32 v11, 28, v10
	v_and_b32_e32 v9, 15, v9
	v_lshlrev_b32_e32 v11, v11, v4
	v_sub_u32_e32 v10, 29, v10
	v_and_b32_e32 v11, 7, v11
	v_cmp_eq_u16_e32 vcc, 0, v9
	v_cndmask_b32_e32 v8, v8, v11, vcc
	v_cndmask_b32_e32 v9, v9, v10, vcc
	v_lshlrev_b32_e32 v10, 24, v4
	v_mov_b32_e32 v11, 0x3b800000
	v_lshlrev_b32_e32 v8, 20, v8
	v_and_b32_e32 v10, 0x80000000, v10
	v_lshl_add_u32 v9, v9, 23, v11
	v_or3_b32 v8, v10, v9, v8
.LBB33_1924:
	s_or_b64 exec, exec, s[6:7]
	s_movk_i32 s4, 0x7f
	v_cmp_gt_i16_sdwa s[6:7], v0, s4 src0_sel:BYTE_0 src1_sel:DWORD
	s_mov_b64 s[4:5], 0
                                        ; implicit-def: $sgpr10
	s_and_saveexec_b64 s[8:9], s[6:7]
	s_xor_b64 s[6:7], exec, s[8:9]
	s_cbranch_execnz .LBB33_3973
; %bb.1925:
	s_or_saveexec_b64 s[6:7], s[6:7]
	v_mov_b32_e32 v9, s10
	s_xor_b64 exec, exec, s[6:7]
	s_cbranch_execnz .LBB33_3976
.LBB33_1926:
	s_or_b64 exec, exec, s[6:7]
	s_and_saveexec_b64 s[6:7], s[4:5]
	s_cbranch_execz .LBB33_1928
.LBB33_1927:
	v_and_b32_e32 v9, 7, v0
	v_ffbh_u32_e32 v11, v9
	v_min_u32_e32 v11, 32, v11
	v_lshrrev_b16_e32 v10, 3, v0
	v_subrev_u32_e32 v12, 28, v11
	v_and_b32_e32 v10, 15, v10
	v_lshlrev_b32_e32 v12, v12, v0
	v_sub_u32_e32 v11, 29, v11
	v_and_b32_e32 v12, 7, v12
	v_cmp_eq_u16_e32 vcc, 0, v10
	v_cndmask_b32_e32 v9, v9, v12, vcc
	v_cndmask_b32_e32 v10, v10, v11, vcc
	v_lshlrev_b32_e32 v11, 24, v0
	v_mov_b32_e32 v12, 0x3b800000
	v_lshlrev_b32_e32 v9, 20, v9
	v_and_b32_e32 v11, 0x80000000, v11
	v_lshl_add_u32 v10, v10, 23, v12
	v_or3_b32 v9, v11, v10, v9
.LBB33_1928:
	s_or_b64 exec, exec, s[6:7]
	s_nop 0
	v_mfma_f32_16x16x4f32 a[0:3], v8, v9, a[0:3]
	v_lshrrev_b32_e32 v9, 8, v4
	s_movk_i32 s4, 0x7f
	v_cmp_gt_i16_sdwa s[6:7], v9, s4 src0_sel:BYTE_0 src1_sel:DWORD
	s_mov_b64 s[4:5], 0
                                        ; implicit-def: $sgpr10
	s_and_saveexec_b64 s[8:9], s[6:7]
	s_xor_b64 s[6:7], exec, s[8:9]
	s_cbranch_execnz .LBB33_3977
; %bb.1929:
	s_or_saveexec_b64 s[6:7], s[6:7]
	v_mov_b32_e32 v8, s10
	s_xor_b64 exec, exec, s[6:7]
	s_cbranch_execnz .LBB33_3980
.LBB33_1930:
	s_or_b64 exec, exec, s[6:7]
	s_and_saveexec_b64 s[6:7], s[4:5]
	s_cbranch_execz .LBB33_1932
.LBB33_1931:
	v_bfe_u32 v8, v4, 8, 3
	v_ffbh_u32_e32 v11, v8
	v_min_u32_e32 v11, 32, v11
	v_lshrrev_b16_e32 v10, 3, v9
	v_subrev_u32_e32 v12, 28, v11
	v_and_b32_e32 v10, 15, v10
	v_lshlrev_b32_e32 v9, v12, v9
	v_sub_u32_e32 v11, 29, v11
	v_and_b32_e32 v9, 7, v9
	v_cmp_eq_u16_e32 vcc, 0, v10
	v_cndmask_b32_e32 v8, v8, v9, vcc
	v_cndmask_b32_e32 v9, v10, v11, vcc
	v_lshlrev_b32_e32 v10, 16, v4
	v_mov_b32_e32 v11, 0x3b800000
	v_lshlrev_b32_e32 v8, 20, v8
	v_and_b32_e32 v10, 0x80000000, v10
	v_lshl_add_u32 v9, v9, 23, v11
	v_or3_b32 v8, v10, v9, v8
.LBB33_1932:
	s_or_b64 exec, exec, s[6:7]
	v_lshrrev_b32_e32 v9, 8, v0
	s_movk_i32 s4, 0x7f
	v_cmp_gt_i16_sdwa s[6:7], v9, s4 src0_sel:BYTE_0 src1_sel:DWORD
	s_mov_b64 s[4:5], 0
                                        ; implicit-def: $sgpr10
	s_and_saveexec_b64 s[8:9], s[6:7]
	s_xor_b64 s[6:7], exec, s[8:9]
	s_cbranch_execnz .LBB33_3981
; %bb.1933:
	s_or_saveexec_b64 s[6:7], s[6:7]
	v_mov_b32_e32 v10, s10
	s_xor_b64 exec, exec, s[6:7]
	s_cbranch_execnz .LBB33_3984
.LBB33_1934:
	s_or_b64 exec, exec, s[6:7]
	s_and_saveexec_b64 s[6:7], s[4:5]
	s_cbranch_execz .LBB33_1936
.LBB33_1935:
	v_bfe_u32 v10, v0, 8, 3
	v_ffbh_u32_e32 v12, v10
	v_min_u32_e32 v12, 32, v12
	v_lshrrev_b16_e32 v11, 3, v9
	v_subrev_u32_e32 v13, 28, v12
	v_and_b32_e32 v11, 15, v11
	v_lshlrev_b32_e32 v9, v13, v9
	v_sub_u32_e32 v12, 29, v12
	v_and_b32_e32 v9, 7, v9
	v_cmp_eq_u16_e32 vcc, 0, v11
	v_cndmask_b32_e32 v9, v10, v9, vcc
	v_cndmask_b32_e32 v10, v11, v12, vcc
	v_lshlrev_b32_e32 v11, 16, v0
	v_mov_b32_e32 v12, 0x3b800000
	v_lshlrev_b32_e32 v9, 20, v9
	v_and_b32_e32 v11, 0x80000000, v11
	v_lshl_add_u32 v10, v10, 23, v12
	v_or3_b32 v10, v11, v10, v9
.LBB33_1936:
	s_or_b64 exec, exec, s[6:7]
	s_nop 0
	v_mfma_f32_16x16x4f32 a[0:3], v8, v10, a[0:3]
	s_movk_i32 s4, 0xff
	v_and_b32_sdwa v9, v4, s4 dst_sel:DWORD dst_unused:UNUSED_PAD src0_sel:WORD_1 src1_sel:DWORD
	s_movk_i32 s4, 0x7f
	v_cmp_lt_i16_e32 vcc, s4, v9
	s_mov_b64 s[4:5], 0
                                        ; implicit-def: $sgpr10
	s_and_saveexec_b64 s[6:7], vcc
	s_xor_b64 s[6:7], exec, s[6:7]
	s_cbranch_execnz .LBB33_3985
; %bb.1937:
	s_or_saveexec_b64 s[6:7], s[6:7]
	v_mov_b32_e32 v8, s10
	s_xor_b64 exec, exec, s[6:7]
	s_cbranch_execnz .LBB33_3988
.LBB33_1938:
	s_or_b64 exec, exec, s[6:7]
	s_and_saveexec_b64 s[6:7], s[4:5]
	s_cbranch_execz .LBB33_1940
.LBB33_1939:
	v_bfe_u32 v8, v4, 16, 3
	v_ffbh_u32_e32 v11, v8
	v_min_u32_e32 v11, 32, v11
	v_lshrrev_b32_e32 v9, 19, v4
	v_subrev_u32_e32 v12, 28, v11
	v_and_b32_e32 v9, 15, v9
	v_lshlrev_b32_sdwa v12, v12, v4 dst_sel:DWORD dst_unused:UNUSED_PAD src0_sel:DWORD src1_sel:WORD_1
	v_bfe_u32 v10, v4, 19, 4
	v_sub_u32_e32 v11, 29, v11
	v_and_b32_e32 v12, 7, v12
	v_cmp_eq_u16_e32 vcc, 0, v9
	v_cndmask_b32_e32 v8, v8, v12, vcc
	v_cndmask_b32_e32 v9, v10, v11, vcc
	v_lshlrev_b32_e32 v10, 8, v4
	v_mov_b32_e32 v11, 0x3b800000
	v_lshlrev_b32_e32 v8, 20, v8
	v_and_b32_e32 v10, 0x80000000, v10
	v_lshl_add_u32 v9, v9, 23, v11
	v_or3_b32 v8, v10, v9, v8
.LBB33_1940:
	s_or_b64 exec, exec, s[6:7]
	s_movk_i32 s4, 0xff
	v_and_b32_sdwa v9, v0, s4 dst_sel:DWORD dst_unused:UNUSED_PAD src0_sel:WORD_1 src1_sel:DWORD
	s_movk_i32 s4, 0x7f
	v_cmp_lt_i16_e32 vcc, s4, v9
	s_mov_b64 s[4:5], 0
                                        ; implicit-def: $sgpr10
	s_and_saveexec_b64 s[6:7], vcc
	s_xor_b64 s[6:7], exec, s[6:7]
	s_cbranch_execnz .LBB33_3989
; %bb.1941:
	s_or_saveexec_b64 s[6:7], s[6:7]
	v_mov_b32_e32 v10, s10
	s_xor_b64 exec, exec, s[6:7]
	s_cbranch_execnz .LBB33_3992
.LBB33_1942:
	s_or_b64 exec, exec, s[6:7]
	s_and_saveexec_b64 s[6:7], s[4:5]
	s_cbranch_execz .LBB33_1944
.LBB33_1943:
	v_bfe_u32 v9, v0, 16, 3
	v_ffbh_u32_e32 v12, v9
	v_min_u32_e32 v12, 32, v12
	v_lshrrev_b32_e32 v10, 19, v0
	v_subrev_u32_e32 v13, 28, v12
	v_and_b32_e32 v10, 15, v10
	v_lshlrev_b32_sdwa v13, v13, v0 dst_sel:DWORD dst_unused:UNUSED_PAD src0_sel:DWORD src1_sel:WORD_1
	v_bfe_u32 v11, v0, 19, 4
	v_sub_u32_e32 v12, 29, v12
	v_and_b32_e32 v13, 7, v13
	v_cmp_eq_u16_e32 vcc, 0, v10
	v_cndmask_b32_e32 v9, v9, v13, vcc
	v_cndmask_b32_e32 v10, v11, v12, vcc
	v_lshlrev_b32_e32 v11, 8, v0
	v_mov_b32_e32 v12, 0x3b800000
	v_lshlrev_b32_e32 v9, 20, v9
	v_and_b32_e32 v11, 0x80000000, v11
	v_lshl_add_u32 v10, v10, 23, v12
	v_or3_b32 v10, v11, v10, v9
.LBB33_1944:
	s_or_b64 exec, exec, s[6:7]
	s_nop 0
	v_mfma_f32_16x16x4f32 a[0:3], v8, v10, a[0:3]
	s_movk_i32 s4, 0x7f
	v_cmp_gt_i16_sdwa s[6:7], v4, s4 src0_sel:BYTE_3 src1_sel:DWORD
	s_mov_b64 s[4:5], 0
                                        ; implicit-def: $sgpr10
	s_and_saveexec_b64 s[8:9], s[6:7]
	s_xor_b64 s[6:7], exec, s[8:9]
	s_cbranch_execnz .LBB33_3993
; %bb.1945:
	s_or_saveexec_b64 s[6:7], s[6:7]
	v_mov_b32_e32 v8, s10
	s_xor_b64 exec, exec, s[6:7]
	s_cbranch_execnz .LBB33_3996
.LBB33_1946:
	s_or_b64 exec, exec, s[6:7]
	s_and_saveexec_b64 s[6:7], s[4:5]
	s_cbranch_execz .LBB33_1948
.LBB33_1947:
	v_bfe_u32 v8, v4, 24, 3
	v_ffbh_u32_e32 v12, v8
	v_min_u32_e32 v12, 32, v12
	v_lshrrev_b32_e32 v10, 27, v4
	v_subrev_u32_e32 v13, 28, v12
	v_and_b32_e32 v9, 0x80000000, v4
	v_and_b32_e32 v10, 15, v10
	v_bfe_u32 v11, v4, 27, 4
	v_lshlrev_b32_sdwa v4, v13, v4 dst_sel:DWORD dst_unused:UNUSED_PAD src0_sel:DWORD src1_sel:BYTE_3
	v_sub_u32_e32 v12, 29, v12
	v_and_b32_e32 v4, 7, v4
	v_cmp_eq_u16_e32 vcc, 0, v10
	v_cndmask_b32_e32 v4, v8, v4, vcc
	v_cndmask_b32_e32 v8, v11, v12, vcc
	v_mov_b32_e32 v10, 0x3b800000
	v_lshlrev_b32_e32 v4, 20, v4
	v_lshl_add_u32 v8, v8, 23, v10
	v_or3_b32 v8, v9, v8, v4
.LBB33_1948:
	s_or_b64 exec, exec, s[6:7]
	s_movk_i32 s4, 0x7f
	v_cmp_gt_i16_sdwa s[6:7], v0, s4 src0_sel:BYTE_3 src1_sel:DWORD
	s_mov_b64 s[4:5], 0
                                        ; implicit-def: $sgpr10
	s_and_saveexec_b64 s[8:9], s[6:7]
	s_xor_b64 s[6:7], exec, s[8:9]
	s_cbranch_execnz .LBB33_3997
; %bb.1949:
	s_or_saveexec_b64 s[6:7], s[6:7]
	v_mov_b32_e32 v4, s10
	s_xor_b64 exec, exec, s[6:7]
	s_cbranch_execnz .LBB33_4000
.LBB33_1950:
	s_or_b64 exec, exec, s[6:7]
	s_and_saveexec_b64 s[6:7], s[4:5]
	s_cbranch_execz .LBB33_1952
.LBB33_1951:
	v_bfe_u32 v4, v0, 24, 3
	v_ffbh_u32_e32 v12, v4
	v_min_u32_e32 v12, 32, v12
	v_lshrrev_b32_e32 v10, 27, v0
	v_subrev_u32_e32 v13, 28, v12
	v_and_b32_e32 v9, 0x80000000, v0
	v_and_b32_e32 v10, 15, v10
	v_bfe_u32 v11, v0, 27, 4
	v_lshlrev_b32_sdwa v0, v13, v0 dst_sel:DWORD dst_unused:UNUSED_PAD src0_sel:DWORD src1_sel:BYTE_3
	v_sub_u32_e32 v12, 29, v12
	v_and_b32_e32 v0, 7, v0
	v_cmp_eq_u16_e32 vcc, 0, v10
	v_cndmask_b32_e32 v0, v4, v0, vcc
	v_cndmask_b32_e32 v4, v11, v12, vcc
	v_mov_b32_e32 v10, 0x3b800000
	v_lshlrev_b32_e32 v0, 20, v0
	v_lshl_add_u32 v4, v4, 23, v10
	v_or3_b32 v4, v9, v4, v0
.LBB33_1952:
	s_or_b64 exec, exec, s[6:7]
	s_nop 0
	v_mfma_f32_16x16x4f32 a[0:3], v8, v4, a[0:3]
	s_movk_i32 s4, 0x7f
	v_cmp_gt_i16_sdwa s[6:7], v5, s4 src0_sel:BYTE_0 src1_sel:DWORD
	s_mov_b64 s[4:5], 0
                                        ; implicit-def: $sgpr10
	s_and_saveexec_b64 s[8:9], s[6:7]
	s_xor_b64 s[6:7], exec, s[8:9]
	s_cbranch_execnz .LBB33_4001
; %bb.1953:
	s_or_saveexec_b64 s[6:7], s[6:7]
	v_mov_b32_e32 v0, s10
	s_xor_b64 exec, exec, s[6:7]
	s_cbranch_execnz .LBB33_4004
.LBB33_1954:
	s_or_b64 exec, exec, s[6:7]
	s_and_saveexec_b64 s[6:7], s[4:5]
	s_cbranch_execz .LBB33_1956
.LBB33_1955:
	v_and_b32_e32 v0, 7, v5
	v_ffbh_u32_e32 v8, v0
	v_min_u32_e32 v8, 32, v8
	v_lshrrev_b16_e32 v4, 3, v5
	v_subrev_u32_e32 v9, 28, v8
	v_and_b32_e32 v4, 15, v4
	v_lshlrev_b32_e32 v9, v9, v5
	v_sub_u32_e32 v8, 29, v8
	v_and_b32_e32 v9, 7, v9
	v_cmp_eq_u16_e32 vcc, 0, v4
	v_cndmask_b32_e32 v0, v0, v9, vcc
	v_cndmask_b32_e32 v4, v4, v8, vcc
	v_lshlrev_b32_e32 v8, 24, v5
	v_mov_b32_e32 v9, 0x3b800000
	v_lshlrev_b32_e32 v0, 20, v0
	v_and_b32_e32 v8, 0x80000000, v8
	v_lshl_add_u32 v4, v4, 23, v9
	v_or3_b32 v0, v8, v4, v0
.LBB33_1956:
	s_or_b64 exec, exec, s[6:7]
	s_movk_i32 s4, 0x7f
	v_cmp_gt_i16_sdwa s[6:7], v1, s4 src0_sel:BYTE_0 src1_sel:DWORD
	s_mov_b64 s[4:5], 0
                                        ; implicit-def: $sgpr10
	s_and_saveexec_b64 s[8:9], s[6:7]
	s_xor_b64 s[6:7], exec, s[8:9]
	s_cbranch_execnz .LBB33_4005
; %bb.1957:
	s_or_saveexec_b64 s[6:7], s[6:7]
	v_mov_b32_e32 v4, s10
	s_xor_b64 exec, exec, s[6:7]
	s_cbranch_execnz .LBB33_4008
.LBB33_1958:
	s_or_b64 exec, exec, s[6:7]
	s_and_saveexec_b64 s[6:7], s[4:5]
	s_cbranch_execz .LBB33_1960
.LBB33_1959:
	v_and_b32_e32 v4, 7, v1
	v_ffbh_u32_e32 v9, v4
	v_min_u32_e32 v9, 32, v9
	v_lshrrev_b16_e32 v8, 3, v1
	v_subrev_u32_e32 v10, 28, v9
	v_and_b32_e32 v8, 15, v8
	v_lshlrev_b32_e32 v10, v10, v1
	v_sub_u32_e32 v9, 29, v9
	v_and_b32_e32 v10, 7, v10
	v_cmp_eq_u16_e32 vcc, 0, v8
	v_cndmask_b32_e32 v4, v4, v10, vcc
	v_cndmask_b32_e32 v8, v8, v9, vcc
	v_lshlrev_b32_e32 v9, 24, v1
	v_mov_b32_e32 v10, 0x3b800000
	v_lshlrev_b32_e32 v4, 20, v4
	v_and_b32_e32 v9, 0x80000000, v9
	v_lshl_add_u32 v8, v8, 23, v10
	v_or3_b32 v4, v9, v8, v4
.LBB33_1960:
	s_or_b64 exec, exec, s[6:7]
	s_nop 0
	v_mfma_f32_16x16x4f32 a[0:3], v0, v4, a[0:3]
	v_lshrrev_b32_e32 v4, 8, v5
	s_movk_i32 s4, 0x7f
	v_cmp_gt_i16_sdwa s[6:7], v4, s4 src0_sel:BYTE_0 src1_sel:DWORD
	s_mov_b64 s[4:5], 0
                                        ; implicit-def: $sgpr10
	s_and_saveexec_b64 s[8:9], s[6:7]
	s_xor_b64 s[6:7], exec, s[8:9]
	s_cbranch_execnz .LBB33_4009
; %bb.1961:
	s_or_saveexec_b64 s[6:7], s[6:7]
	v_mov_b32_e32 v0, s10
	s_xor_b64 exec, exec, s[6:7]
	s_cbranch_execnz .LBB33_4012
.LBB33_1962:
	s_or_b64 exec, exec, s[6:7]
	s_and_saveexec_b64 s[6:7], s[4:5]
	s_cbranch_execz .LBB33_1964
.LBB33_1963:
	v_bfe_u32 v0, v5, 8, 3
	v_ffbh_u32_e32 v9, v0
	v_min_u32_e32 v9, 32, v9
	v_lshrrev_b16_e32 v8, 3, v4
	v_subrev_u32_e32 v10, 28, v9
	v_and_b32_e32 v8, 15, v8
	v_lshlrev_b32_e32 v4, v10, v4
	v_sub_u32_e32 v9, 29, v9
	v_and_b32_e32 v4, 7, v4
	v_cmp_eq_u16_e32 vcc, 0, v8
	v_cndmask_b32_e32 v0, v0, v4, vcc
	v_cndmask_b32_e32 v4, v8, v9, vcc
	v_lshlrev_b32_e32 v8, 16, v5
	v_mov_b32_e32 v9, 0x3b800000
	v_lshlrev_b32_e32 v0, 20, v0
	v_and_b32_e32 v8, 0x80000000, v8
	v_lshl_add_u32 v4, v4, 23, v9
	v_or3_b32 v0, v8, v4, v0
.LBB33_1964:
	s_or_b64 exec, exec, s[6:7]
	v_lshrrev_b32_e32 v4, 8, v1
	s_movk_i32 s4, 0x7f
	v_cmp_gt_i16_sdwa s[6:7], v4, s4 src0_sel:BYTE_0 src1_sel:DWORD
	s_mov_b64 s[4:5], 0
                                        ; implicit-def: $sgpr10
	s_and_saveexec_b64 s[8:9], s[6:7]
	s_xor_b64 s[6:7], exec, s[8:9]
	s_cbranch_execnz .LBB33_4013
; %bb.1965:
	s_or_saveexec_b64 s[6:7], s[6:7]
	v_mov_b32_e32 v8, s10
	s_xor_b64 exec, exec, s[6:7]
	s_cbranch_execnz .LBB33_4016
.LBB33_1966:
	s_or_b64 exec, exec, s[6:7]
	s_and_saveexec_b64 s[6:7], s[4:5]
	s_cbranch_execz .LBB33_1968
.LBB33_1967:
	v_bfe_u32 v8, v1, 8, 3
	v_ffbh_u32_e32 v10, v8
	v_min_u32_e32 v10, 32, v10
	v_lshrrev_b16_e32 v9, 3, v4
	v_subrev_u32_e32 v11, 28, v10
	v_and_b32_e32 v9, 15, v9
	v_lshlrev_b32_e32 v4, v11, v4
	v_sub_u32_e32 v10, 29, v10
	v_and_b32_e32 v4, 7, v4
	v_cmp_eq_u16_e32 vcc, 0, v9
	v_cndmask_b32_e32 v4, v8, v4, vcc
	v_cndmask_b32_e32 v8, v9, v10, vcc
	v_lshlrev_b32_e32 v9, 16, v1
	v_mov_b32_e32 v10, 0x3b800000
	v_lshlrev_b32_e32 v4, 20, v4
	v_and_b32_e32 v9, 0x80000000, v9
	v_lshl_add_u32 v8, v8, 23, v10
	v_or3_b32 v8, v9, v8, v4
.LBB33_1968:
	s_or_b64 exec, exec, s[6:7]
	s_nop 0
	v_mfma_f32_16x16x4f32 a[0:3], v0, v8, a[0:3]
	s_movk_i32 s4, 0xff
	v_and_b32_sdwa v4, v5, s4 dst_sel:DWORD dst_unused:UNUSED_PAD src0_sel:WORD_1 src1_sel:DWORD
	s_movk_i32 s4, 0x7f
	v_cmp_lt_i16_e32 vcc, s4, v4
	s_mov_b64 s[4:5], 0
                                        ; implicit-def: $sgpr10
	s_and_saveexec_b64 s[6:7], vcc
	s_xor_b64 s[6:7], exec, s[6:7]
	s_cbranch_execnz .LBB33_4017
; %bb.1969:
	s_or_saveexec_b64 s[6:7], s[6:7]
	v_mov_b32_e32 v0, s10
	s_xor_b64 exec, exec, s[6:7]
	s_cbranch_execnz .LBB33_4020
.LBB33_1970:
	s_or_b64 exec, exec, s[6:7]
	s_and_saveexec_b64 s[6:7], s[4:5]
	s_cbranch_execz .LBB33_1972
.LBB33_1971:
	v_bfe_u32 v0, v5, 16, 3
	v_ffbh_u32_e32 v9, v0
	v_min_u32_e32 v9, 32, v9
	v_lshrrev_b32_e32 v4, 19, v5
	v_subrev_u32_e32 v10, 28, v9
	v_and_b32_e32 v4, 15, v4
	v_lshlrev_b32_sdwa v10, v10, v5 dst_sel:DWORD dst_unused:UNUSED_PAD src0_sel:DWORD src1_sel:WORD_1
	v_bfe_u32 v8, v5, 19, 4
	v_sub_u32_e32 v9, 29, v9
	v_and_b32_e32 v10, 7, v10
	v_cmp_eq_u16_e32 vcc, 0, v4
	v_cndmask_b32_e32 v0, v0, v10, vcc
	v_cndmask_b32_e32 v4, v8, v9, vcc
	v_lshlrev_b32_e32 v8, 8, v5
	v_mov_b32_e32 v9, 0x3b800000
	v_lshlrev_b32_e32 v0, 20, v0
	v_and_b32_e32 v8, 0x80000000, v8
	v_lshl_add_u32 v4, v4, 23, v9
	v_or3_b32 v0, v8, v4, v0
.LBB33_1972:
	s_or_b64 exec, exec, s[6:7]
	s_movk_i32 s4, 0xff
	v_and_b32_sdwa v4, v1, s4 dst_sel:DWORD dst_unused:UNUSED_PAD src0_sel:WORD_1 src1_sel:DWORD
	s_movk_i32 s4, 0x7f
	v_cmp_lt_i16_e32 vcc, s4, v4
	s_mov_b64 s[4:5], 0
                                        ; implicit-def: $sgpr10
	s_and_saveexec_b64 s[6:7], vcc
	s_xor_b64 s[6:7], exec, s[6:7]
	s_cbranch_execnz .LBB33_4021
; %bb.1973:
	s_or_saveexec_b64 s[6:7], s[6:7]
	v_mov_b32_e32 v8, s10
	s_xor_b64 exec, exec, s[6:7]
	s_cbranch_execnz .LBB33_4024
.LBB33_1974:
	s_or_b64 exec, exec, s[6:7]
	s_and_saveexec_b64 s[6:7], s[4:5]
	s_cbranch_execz .LBB33_1976
.LBB33_1975:
	v_bfe_u32 v4, v1, 16, 3
	v_ffbh_u32_e32 v10, v4
	v_min_u32_e32 v10, 32, v10
	v_lshrrev_b32_e32 v8, 19, v1
	v_subrev_u32_e32 v11, 28, v10
	v_and_b32_e32 v8, 15, v8
	v_lshlrev_b32_sdwa v11, v11, v1 dst_sel:DWORD dst_unused:UNUSED_PAD src0_sel:DWORD src1_sel:WORD_1
	v_bfe_u32 v9, v1, 19, 4
	v_sub_u32_e32 v10, 29, v10
	v_and_b32_e32 v11, 7, v11
	v_cmp_eq_u16_e32 vcc, 0, v8
	v_cndmask_b32_e32 v4, v4, v11, vcc
	v_cndmask_b32_e32 v8, v9, v10, vcc
	v_lshlrev_b32_e32 v9, 8, v1
	v_mov_b32_e32 v10, 0x3b800000
	v_lshlrev_b32_e32 v4, 20, v4
	v_and_b32_e32 v9, 0x80000000, v9
	v_lshl_add_u32 v8, v8, 23, v10
	v_or3_b32 v8, v9, v8, v4
.LBB33_1976:
	s_or_b64 exec, exec, s[6:7]
	s_nop 0
	v_mfma_f32_16x16x4f32 a[0:3], v0, v8, a[0:3]
	s_movk_i32 s4, 0x7f
	v_cmp_gt_i16_sdwa s[6:7], v5, s4 src0_sel:BYTE_3 src1_sel:DWORD
	s_mov_b64 s[4:5], 0
                                        ; implicit-def: $sgpr10
	s_and_saveexec_b64 s[8:9], s[6:7]
	s_xor_b64 s[6:7], exec, s[8:9]
	s_cbranch_execnz .LBB33_4025
; %bb.1977:
	s_or_saveexec_b64 s[6:7], s[6:7]
	v_mov_b32_e32 v0, s10
	s_xor_b64 exec, exec, s[6:7]
	s_cbranch_execnz .LBB33_4028
.LBB33_1978:
	s_or_b64 exec, exec, s[6:7]
	s_and_saveexec_b64 s[6:7], s[4:5]
	s_cbranch_execz .LBB33_1980
.LBB33_1979:
	v_bfe_u32 v0, v5, 24, 3
	v_ffbh_u32_e32 v10, v0
	v_min_u32_e32 v10, 32, v10
	v_lshrrev_b32_e32 v8, 27, v5
	v_subrev_u32_e32 v11, 28, v10
	v_and_b32_e32 v4, 0x80000000, v5
	v_and_b32_e32 v8, 15, v8
	v_bfe_u32 v9, v5, 27, 4
	v_lshlrev_b32_sdwa v5, v11, v5 dst_sel:DWORD dst_unused:UNUSED_PAD src0_sel:DWORD src1_sel:BYTE_3
	v_sub_u32_e32 v10, 29, v10
	v_and_b32_e32 v5, 7, v5
	v_cmp_eq_u16_e32 vcc, 0, v8
	v_cndmask_b32_e32 v0, v0, v5, vcc
	v_cndmask_b32_e32 v5, v9, v10, vcc
	v_mov_b32_e32 v8, 0x3b800000
	v_lshlrev_b32_e32 v0, 20, v0
	v_lshl_add_u32 v5, v5, 23, v8
	v_or3_b32 v0, v4, v5, v0
.LBB33_1980:
	s_or_b64 exec, exec, s[6:7]
	s_movk_i32 s4, 0x7f
	v_cmp_gt_i16_sdwa s[6:7], v1, s4 src0_sel:BYTE_3 src1_sel:DWORD
	s_mov_b64 s[4:5], 0
                                        ; implicit-def: $sgpr10
	s_and_saveexec_b64 s[8:9], s[6:7]
	s_xor_b64 s[6:7], exec, s[8:9]
	s_cbranch_execnz .LBB33_4029
; %bb.1981:
	s_or_saveexec_b64 s[6:7], s[6:7]
	v_mov_b32_e32 v4, s10
	s_xor_b64 exec, exec, s[6:7]
	s_cbranch_execnz .LBB33_4032
.LBB33_1982:
	s_or_b64 exec, exec, s[6:7]
	s_and_saveexec_b64 s[6:7], s[4:5]
	s_cbranch_execz .LBB33_1984
.LBB33_1983:
	v_bfe_u32 v4, v1, 24, 3
	v_ffbh_u32_e32 v10, v4
	v_min_u32_e32 v10, 32, v10
	v_lshrrev_b32_e32 v8, 27, v1
	v_subrev_u32_e32 v11, 28, v10
	v_and_b32_e32 v5, 0x80000000, v1
	v_and_b32_e32 v8, 15, v8
	v_bfe_u32 v9, v1, 27, 4
	v_lshlrev_b32_sdwa v1, v11, v1 dst_sel:DWORD dst_unused:UNUSED_PAD src0_sel:DWORD src1_sel:BYTE_3
	v_sub_u32_e32 v10, 29, v10
	v_and_b32_e32 v1, 7, v1
	v_cmp_eq_u16_e32 vcc, 0, v8
	v_cndmask_b32_e32 v1, v4, v1, vcc
	v_cndmask_b32_e32 v4, v9, v10, vcc
	v_mov_b32_e32 v8, 0x3b800000
	v_lshlrev_b32_e32 v1, 20, v1
	v_lshl_add_u32 v4, v4, 23, v8
	v_or3_b32 v4, v5, v4, v1
.LBB33_1984:
	s_or_b64 exec, exec, s[6:7]
	s_nop 0
	v_mfma_f32_16x16x4f32 a[0:3], v0, v4, a[0:3]
	s_movk_i32 s4, 0x7f
	v_cmp_gt_i16_sdwa s[6:7], v6, s4 src0_sel:BYTE_0 src1_sel:DWORD
	s_mov_b64 s[4:5], 0
                                        ; implicit-def: $sgpr10
	s_and_saveexec_b64 s[8:9], s[6:7]
	s_xor_b64 s[6:7], exec, s[8:9]
	s_cbranch_execnz .LBB33_4033
; %bb.1985:
	s_or_saveexec_b64 s[6:7], s[6:7]
	v_mov_b32_e32 v0, s10
	s_xor_b64 exec, exec, s[6:7]
	s_cbranch_execnz .LBB33_4036
.LBB33_1986:
	s_or_b64 exec, exec, s[6:7]
	s_and_saveexec_b64 s[6:7], s[4:5]
	s_cbranch_execz .LBB33_1988
.LBB33_1987:
	v_and_b32_e32 v0, 7, v6
	v_ffbh_u32_e32 v4, v0
	v_min_u32_e32 v4, 32, v4
	v_lshrrev_b16_e32 v1, 3, v6
	v_subrev_u32_e32 v5, 28, v4
	v_and_b32_e32 v1, 15, v1
	v_lshlrev_b32_e32 v5, v5, v6
	v_sub_u32_e32 v4, 29, v4
	v_and_b32_e32 v5, 7, v5
	v_cmp_eq_u16_e32 vcc, 0, v1
	v_cndmask_b32_e32 v0, v0, v5, vcc
	v_cndmask_b32_e32 v1, v1, v4, vcc
	v_lshlrev_b32_e32 v4, 24, v6
	v_mov_b32_e32 v5, 0x3b800000
	v_lshlrev_b32_e32 v0, 20, v0
	v_and_b32_e32 v4, 0x80000000, v4
	v_lshl_add_u32 v1, v1, 23, v5
	v_or3_b32 v0, v4, v1, v0
.LBB33_1988:
	s_or_b64 exec, exec, s[6:7]
	s_movk_i32 s4, 0x7f
	v_cmp_gt_i16_sdwa s[6:7], v2, s4 src0_sel:BYTE_0 src1_sel:DWORD
	s_mov_b64 s[4:5], 0
                                        ; implicit-def: $sgpr10
	s_and_saveexec_b64 s[8:9], s[6:7]
	s_xor_b64 s[6:7], exec, s[8:9]
	s_cbranch_execnz .LBB33_4037
; %bb.1989:
	s_or_saveexec_b64 s[6:7], s[6:7]
	v_mov_b32_e32 v1, s10
	s_xor_b64 exec, exec, s[6:7]
	s_cbranch_execnz .LBB33_4040
.LBB33_1990:
	s_or_b64 exec, exec, s[6:7]
	s_and_saveexec_b64 s[6:7], s[4:5]
	s_cbranch_execz .LBB33_1992
.LBB33_1991:
	v_and_b32_e32 v1, 7, v2
	v_ffbh_u32_e32 v5, v1
	v_min_u32_e32 v5, 32, v5
	v_lshrrev_b16_e32 v4, 3, v2
	v_subrev_u32_e32 v8, 28, v5
	v_and_b32_e32 v4, 15, v4
	v_lshlrev_b32_e32 v8, v8, v2
	v_sub_u32_e32 v5, 29, v5
	v_and_b32_e32 v8, 7, v8
	v_cmp_eq_u16_e32 vcc, 0, v4
	v_cndmask_b32_e32 v1, v1, v8, vcc
	v_cndmask_b32_e32 v4, v4, v5, vcc
	v_lshlrev_b32_e32 v5, 24, v2
	v_mov_b32_e32 v8, 0x3b800000
	v_lshlrev_b32_e32 v1, 20, v1
	v_and_b32_e32 v5, 0x80000000, v5
	v_lshl_add_u32 v4, v4, 23, v8
	v_or3_b32 v1, v5, v4, v1
.LBB33_1992:
	s_or_b64 exec, exec, s[6:7]
	s_nop 0
	v_mfma_f32_16x16x4f32 a[0:3], v0, v1, a[0:3]
	v_lshrrev_b32_e32 v1, 8, v6
	s_movk_i32 s4, 0x7f
	v_cmp_gt_i16_sdwa s[6:7], v1, s4 src0_sel:BYTE_0 src1_sel:DWORD
	s_mov_b64 s[4:5], 0
                                        ; implicit-def: $sgpr10
	s_and_saveexec_b64 s[8:9], s[6:7]
	s_xor_b64 s[6:7], exec, s[8:9]
	s_cbranch_execnz .LBB33_4041
; %bb.1993:
	s_or_saveexec_b64 s[6:7], s[6:7]
	v_mov_b32_e32 v0, s10
	s_xor_b64 exec, exec, s[6:7]
	s_cbranch_execnz .LBB33_4044
.LBB33_1994:
	s_or_b64 exec, exec, s[6:7]
	s_and_saveexec_b64 s[6:7], s[4:5]
	s_cbranch_execz .LBB33_1996
.LBB33_1995:
	v_bfe_u32 v0, v6, 8, 3
	v_ffbh_u32_e32 v5, v0
	v_min_u32_e32 v5, 32, v5
	v_lshrrev_b16_e32 v4, 3, v1
	v_subrev_u32_e32 v8, 28, v5
	v_and_b32_e32 v4, 15, v4
	v_lshlrev_b32_e32 v1, v8, v1
	v_sub_u32_e32 v5, 29, v5
	v_and_b32_e32 v1, 7, v1
	v_cmp_eq_u16_e32 vcc, 0, v4
	v_cndmask_b32_e32 v0, v0, v1, vcc
	v_cndmask_b32_e32 v1, v4, v5, vcc
	v_lshlrev_b32_e32 v4, 16, v6
	v_mov_b32_e32 v5, 0x3b800000
	v_lshlrev_b32_e32 v0, 20, v0
	v_and_b32_e32 v4, 0x80000000, v4
	v_lshl_add_u32 v1, v1, 23, v5
	v_or3_b32 v0, v4, v1, v0
.LBB33_1996:
	s_or_b64 exec, exec, s[6:7]
	v_lshrrev_b32_e32 v1, 8, v2
	s_movk_i32 s4, 0x7f
	v_cmp_gt_i16_sdwa s[6:7], v1, s4 src0_sel:BYTE_0 src1_sel:DWORD
	s_mov_b64 s[4:5], 0
                                        ; implicit-def: $sgpr10
	s_and_saveexec_b64 s[8:9], s[6:7]
	s_xor_b64 s[6:7], exec, s[8:9]
	s_cbranch_execnz .LBB33_4045
; %bb.1997:
	s_or_saveexec_b64 s[6:7], s[6:7]
	v_mov_b32_e32 v4, s10
	s_xor_b64 exec, exec, s[6:7]
	s_cbranch_execnz .LBB33_4048
.LBB33_1998:
	s_or_b64 exec, exec, s[6:7]
	s_and_saveexec_b64 s[6:7], s[4:5]
	s_cbranch_execz .LBB33_2000
.LBB33_1999:
	v_bfe_u32 v4, v2, 8, 3
	v_ffbh_u32_e32 v8, v4
	v_min_u32_e32 v8, 32, v8
	v_lshrrev_b16_e32 v5, 3, v1
	v_subrev_u32_e32 v9, 28, v8
	v_and_b32_e32 v5, 15, v5
	v_lshlrev_b32_e32 v1, v9, v1
	v_sub_u32_e32 v8, 29, v8
	v_and_b32_e32 v1, 7, v1
	v_cmp_eq_u16_e32 vcc, 0, v5
	v_cndmask_b32_e32 v1, v4, v1, vcc
	v_cndmask_b32_e32 v4, v5, v8, vcc
	v_lshlrev_b32_e32 v5, 16, v2
	v_mov_b32_e32 v8, 0x3b800000
	v_lshlrev_b32_e32 v1, 20, v1
	v_and_b32_e32 v5, 0x80000000, v5
	v_lshl_add_u32 v4, v4, 23, v8
	v_or3_b32 v4, v5, v4, v1
.LBB33_2000:
	s_or_b64 exec, exec, s[6:7]
	s_nop 0
	v_mfma_f32_16x16x4f32 a[0:3], v0, v4, a[0:3]
	s_movk_i32 s4, 0xff
	v_and_b32_sdwa v1, v6, s4 dst_sel:DWORD dst_unused:UNUSED_PAD src0_sel:WORD_1 src1_sel:DWORD
	s_movk_i32 s4, 0x7f
	v_cmp_lt_i16_e32 vcc, s4, v1
	s_mov_b64 s[4:5], 0
                                        ; implicit-def: $sgpr10
	s_and_saveexec_b64 s[6:7], vcc
	s_xor_b64 s[6:7], exec, s[6:7]
	s_cbranch_execnz .LBB33_4049
; %bb.2001:
	s_or_saveexec_b64 s[6:7], s[6:7]
	v_mov_b32_e32 v0, s10
	s_xor_b64 exec, exec, s[6:7]
	s_cbranch_execnz .LBB33_4052
.LBB33_2002:
	s_or_b64 exec, exec, s[6:7]
	s_and_saveexec_b64 s[6:7], s[4:5]
	s_cbranch_execz .LBB33_2004
.LBB33_2003:
	v_bfe_u32 v0, v6, 16, 3
	v_ffbh_u32_e32 v5, v0
	v_min_u32_e32 v5, 32, v5
	v_lshrrev_b32_e32 v1, 19, v6
	v_subrev_u32_e32 v8, 28, v5
	v_and_b32_e32 v1, 15, v1
	v_lshlrev_b32_sdwa v8, v8, v6 dst_sel:DWORD dst_unused:UNUSED_PAD src0_sel:DWORD src1_sel:WORD_1
	v_bfe_u32 v4, v6, 19, 4
	v_sub_u32_e32 v5, 29, v5
	v_and_b32_e32 v8, 7, v8
	v_cmp_eq_u16_e32 vcc, 0, v1
	v_cndmask_b32_e32 v0, v0, v8, vcc
	v_cndmask_b32_e32 v1, v4, v5, vcc
	v_lshlrev_b32_e32 v4, 8, v6
	v_mov_b32_e32 v5, 0x3b800000
	v_lshlrev_b32_e32 v0, 20, v0
	v_and_b32_e32 v4, 0x80000000, v4
	v_lshl_add_u32 v1, v1, 23, v5
	v_or3_b32 v0, v4, v1, v0
.LBB33_2004:
	s_or_b64 exec, exec, s[6:7]
	s_movk_i32 s4, 0xff
	v_and_b32_sdwa v1, v2, s4 dst_sel:DWORD dst_unused:UNUSED_PAD src0_sel:WORD_1 src1_sel:DWORD
	s_movk_i32 s4, 0x7f
	v_cmp_lt_i16_e32 vcc, s4, v1
	s_mov_b64 s[4:5], 0
                                        ; implicit-def: $sgpr10
	s_and_saveexec_b64 s[6:7], vcc
	s_xor_b64 s[6:7], exec, s[6:7]
	s_cbranch_execnz .LBB33_4053
; %bb.2005:
	s_or_saveexec_b64 s[6:7], s[6:7]
	v_mov_b32_e32 v4, s10
	s_xor_b64 exec, exec, s[6:7]
	s_cbranch_execnz .LBB33_4056
.LBB33_2006:
	s_or_b64 exec, exec, s[6:7]
	s_and_saveexec_b64 s[6:7], s[4:5]
	s_cbranch_execz .LBB33_2008
.LBB33_2007:
	v_bfe_u32 v1, v2, 16, 3
	v_ffbh_u32_e32 v8, v1
	v_min_u32_e32 v8, 32, v8
	v_lshrrev_b32_e32 v4, 19, v2
	v_subrev_u32_e32 v9, 28, v8
	v_and_b32_e32 v4, 15, v4
	v_lshlrev_b32_sdwa v9, v9, v2 dst_sel:DWORD dst_unused:UNUSED_PAD src0_sel:DWORD src1_sel:WORD_1
	v_bfe_u32 v5, v2, 19, 4
	v_sub_u32_e32 v8, 29, v8
	v_and_b32_e32 v9, 7, v9
	v_cmp_eq_u16_e32 vcc, 0, v4
	v_cndmask_b32_e32 v1, v1, v9, vcc
	v_cndmask_b32_e32 v4, v5, v8, vcc
	v_lshlrev_b32_e32 v5, 8, v2
	v_mov_b32_e32 v8, 0x3b800000
	v_lshlrev_b32_e32 v1, 20, v1
	v_and_b32_e32 v5, 0x80000000, v5
	v_lshl_add_u32 v4, v4, 23, v8
	v_or3_b32 v4, v5, v4, v1
.LBB33_2008:
	s_or_b64 exec, exec, s[6:7]
	s_nop 0
	v_mfma_f32_16x16x4f32 a[0:3], v0, v4, a[0:3]
	s_movk_i32 s4, 0x7f
	v_cmp_gt_i16_sdwa s[6:7], v6, s4 src0_sel:BYTE_3 src1_sel:DWORD
	s_mov_b64 s[4:5], 0
                                        ; implicit-def: $sgpr10
	s_and_saveexec_b64 s[8:9], s[6:7]
	s_xor_b64 s[6:7], exec, s[8:9]
	s_cbranch_execnz .LBB33_4057
; %bb.2009:
	s_or_saveexec_b64 s[6:7], s[6:7]
	v_mov_b32_e32 v0, s10
	s_xor_b64 exec, exec, s[6:7]
	s_cbranch_execnz .LBB33_4060
.LBB33_2010:
	s_or_b64 exec, exec, s[6:7]
	s_and_saveexec_b64 s[6:7], s[4:5]
	s_cbranch_execz .LBB33_2012
.LBB33_2011:
	v_bfe_u32 v0, v6, 24, 3
	v_ffbh_u32_e32 v8, v0
	v_min_u32_e32 v8, 32, v8
	v_lshrrev_b32_e32 v4, 27, v6
	v_subrev_u32_e32 v9, 28, v8
	v_and_b32_e32 v1, 0x80000000, v6
	v_and_b32_e32 v4, 15, v4
	v_bfe_u32 v5, v6, 27, 4
	v_lshlrev_b32_sdwa v6, v9, v6 dst_sel:DWORD dst_unused:UNUSED_PAD src0_sel:DWORD src1_sel:BYTE_3
	v_sub_u32_e32 v8, 29, v8
	v_and_b32_e32 v6, 7, v6
	v_cmp_eq_u16_e32 vcc, 0, v4
	v_cndmask_b32_e32 v0, v0, v6, vcc
	v_cndmask_b32_e32 v4, v5, v8, vcc
	v_mov_b32_e32 v5, 0x3b800000
	v_lshlrev_b32_e32 v0, 20, v0
	v_lshl_add_u32 v4, v4, 23, v5
	v_or3_b32 v0, v1, v4, v0
.LBB33_2012:
	s_or_b64 exec, exec, s[6:7]
	s_movk_i32 s4, 0x7f
	v_cmp_gt_i16_sdwa s[6:7], v2, s4 src0_sel:BYTE_3 src1_sel:DWORD
	s_mov_b64 s[4:5], 0
                                        ; implicit-def: $sgpr10
	s_and_saveexec_b64 s[8:9], s[6:7]
	s_xor_b64 s[6:7], exec, s[8:9]
	s_cbranch_execnz .LBB33_4061
; %bb.2013:
	s_or_saveexec_b64 s[6:7], s[6:7]
	v_mov_b32_e32 v1, s10
	s_xor_b64 exec, exec, s[6:7]
	s_cbranch_execnz .LBB33_4064
.LBB33_2014:
	s_or_b64 exec, exec, s[6:7]
	s_and_saveexec_b64 s[6:7], s[4:5]
	s_cbranch_execz .LBB33_2016
.LBB33_2015:
	v_bfe_u32 v1, v2, 24, 3
	v_ffbh_u32_e32 v8, v1
	v_min_u32_e32 v8, 32, v8
	v_lshrrev_b32_e32 v5, 27, v2
	v_subrev_u32_e32 v9, 28, v8
	v_and_b32_e32 v4, 0x80000000, v2
	v_and_b32_e32 v5, 15, v5
	v_bfe_u32 v6, v2, 27, 4
	v_lshlrev_b32_sdwa v2, v9, v2 dst_sel:DWORD dst_unused:UNUSED_PAD src0_sel:DWORD src1_sel:BYTE_3
	v_sub_u32_e32 v8, 29, v8
	v_and_b32_e32 v2, 7, v2
	v_cmp_eq_u16_e32 vcc, 0, v5
	v_cndmask_b32_e32 v1, v1, v2, vcc
	v_cndmask_b32_e32 v2, v6, v8, vcc
	v_mov_b32_e32 v5, 0x3b800000
	v_lshlrev_b32_e32 v1, 20, v1
	v_lshl_add_u32 v2, v2, 23, v5
	v_or3_b32 v1, v4, v2, v1
.LBB33_2016:
	s_or_b64 exec, exec, s[6:7]
	s_nop 0
	v_mfma_f32_16x16x4f32 a[0:3], v0, v1, a[0:3]
	s_movk_i32 s4, 0x7f
	v_cmp_gt_i16_sdwa s[6:7], v7, s4 src0_sel:BYTE_0 src1_sel:DWORD
	s_mov_b64 s[4:5], 0
                                        ; implicit-def: $sgpr10
	s_and_saveexec_b64 s[8:9], s[6:7]
	s_xor_b64 s[6:7], exec, s[8:9]
	s_cbranch_execnz .LBB33_4065
; %bb.2017:
	s_or_saveexec_b64 s[6:7], s[6:7]
	v_mov_b32_e32 v0, s10
	s_xor_b64 exec, exec, s[6:7]
	s_cbranch_execnz .LBB33_4068
.LBB33_2018:
	s_or_b64 exec, exec, s[6:7]
	s_and_saveexec_b64 s[6:7], s[4:5]
	s_cbranch_execz .LBB33_2020
.LBB33_2019:
	v_mov_b32_e32 v0, 8
	v_and_b32_e32 v1, 7, v7
	v_lshrrev_b32_sdwa v0, v0, v7 dst_sel:BYTE_1 dst_unused:UNUSED_PAD src0_sel:DWORD src1_sel:DWORD
	v_ffbh_u32_e32 v2, v1
	v_or_b32_sdwa v0, v7, v0 dst_sel:DWORD dst_unused:UNUSED_PAD src0_sel:BYTE_0 src1_sel:DWORD
	v_min_u32_e32 v2, 32, v2
	v_lshrrev_b16_e32 v0, 3, v0
	v_subrev_u32_e32 v4, 28, v2
	v_and_b32_e32 v0, 15, v0
	v_lshlrev_b32_e32 v4, v4, v7
	v_sub_u32_e32 v2, 29, v2
	v_and_b32_e32 v4, 7, v4
	v_cmp_eq_u16_e32 vcc, 0, v0
	v_cndmask_b32_e32 v1, v1, v4, vcc
	v_cndmask_b32_e32 v0, v0, v2, vcc
	v_lshlrev_b32_e32 v2, 24, v7
	v_mov_b32_e32 v4, 0x3b800000
	v_lshlrev_b32_e32 v1, 20, v1
	v_and_b32_e32 v2, 0x80000000, v2
	v_lshl_add_u32 v0, v0, 23, v4
	v_or3_b32 v0, v2, v0, v1
.LBB33_2020:
	s_or_b64 exec, exec, s[6:7]
	s_movk_i32 s4, 0x7f
	v_cmp_gt_i16_sdwa s[6:7], v3, s4 src0_sel:BYTE_0 src1_sel:DWORD
	s_mov_b64 s[4:5], 0
                                        ; implicit-def: $sgpr10
	s_and_saveexec_b64 s[8:9], s[6:7]
	s_xor_b64 s[6:7], exec, s[8:9]
	s_cbranch_execnz .LBB33_4069
; %bb.2021:
	s_or_saveexec_b64 s[6:7], s[6:7]
	v_mov_b32_e32 v1, s10
	s_xor_b64 exec, exec, s[6:7]
	s_cbranch_execnz .LBB33_4072
.LBB33_2022:
	s_or_b64 exec, exec, s[6:7]
	s_and_saveexec_b64 s[6:7], s[4:5]
	s_cbranch_execz .LBB33_2024
.LBB33_2023:
	v_mov_b32_e32 v1, 8
	v_and_b32_e32 v2, 7, v3
	v_lshrrev_b32_sdwa v1, v1, v3 dst_sel:BYTE_1 dst_unused:UNUSED_PAD src0_sel:DWORD src1_sel:DWORD
	v_ffbh_u32_e32 v4, v2
	v_or_b32_sdwa v1, v3, v1 dst_sel:DWORD dst_unused:UNUSED_PAD src0_sel:BYTE_0 src1_sel:DWORD
	v_min_u32_e32 v4, 32, v4
	v_lshrrev_b16_e32 v1, 3, v1
	v_subrev_u32_e32 v5, 28, v4
	v_and_b32_e32 v1, 15, v1
	v_lshlrev_b32_e32 v5, v5, v3
	v_sub_u32_e32 v4, 29, v4
	v_and_b32_e32 v5, 7, v5
	v_cmp_eq_u16_e32 vcc, 0, v1
	v_cndmask_b32_e32 v2, v2, v5, vcc
	v_cndmask_b32_e32 v1, v1, v4, vcc
	v_lshlrev_b32_e32 v4, 24, v3
	v_mov_b32_e32 v5, 0x3b800000
	v_lshlrev_b32_e32 v2, 20, v2
	v_and_b32_e32 v4, 0x80000000, v4
	v_lshl_add_u32 v1, v1, 23, v5
	v_or3_b32 v1, v4, v1, v2
.LBB33_2024:
	s_or_b64 exec, exec, s[6:7]
	s_nop 0
	v_mfma_f32_16x16x4f32 a[0:3], v0, v1, a[0:3]
	v_lshrrev_b32_e32 v1, 8, v7
	s_movk_i32 s4, 0x7f
	v_cmp_gt_i16_sdwa s[6:7], v1, s4 src0_sel:BYTE_0 src1_sel:DWORD
	s_mov_b64 s[4:5], 0
                                        ; implicit-def: $sgpr10
	s_and_saveexec_b64 s[8:9], s[6:7]
	s_xor_b64 s[6:7], exec, s[8:9]
	s_cbranch_execnz .LBB33_4073
; %bb.2025:
	s_or_saveexec_b64 s[6:7], s[6:7]
	v_mov_b32_e32 v0, s10
	s_xor_b64 exec, exec, s[6:7]
	s_cbranch_execnz .LBB33_4076
.LBB33_2026:
	s_or_b64 exec, exec, s[6:7]
	s_and_saveexec_b64 s[6:7], s[4:5]
	s_cbranch_execz .LBB33_2028
.LBB33_2027:
	v_bfe_u32 v0, v7, 8, 3
	v_ffbh_u32_e32 v4, v0
	v_min_u32_e32 v4, 32, v4
	v_lshrrev_b16_e32 v2, 3, v1
	v_subrev_u32_e32 v5, 28, v4
	v_and_b32_e32 v2, 15, v2
	v_lshlrev_b32_e32 v1, v5, v1
	v_sub_u32_e32 v4, 29, v4
	v_and_b32_e32 v1, 7, v1
	v_cmp_eq_u16_e32 vcc, 0, v2
	v_cndmask_b32_e32 v0, v0, v1, vcc
	v_cndmask_b32_e32 v1, v2, v4, vcc
	v_lshlrev_b32_e32 v2, 16, v7
	v_mov_b32_e32 v4, 0x3b800000
	v_lshlrev_b32_e32 v0, 20, v0
	v_and_b32_e32 v2, 0x80000000, v2
	v_lshl_add_u32 v1, v1, 23, v4
	v_or3_b32 v0, v2, v1, v0
.LBB33_2028:
	s_or_b64 exec, exec, s[6:7]
	v_lshrrev_b32_e32 v1, 8, v3
	s_movk_i32 s4, 0x7f
	v_cmp_gt_i16_sdwa s[6:7], v1, s4 src0_sel:BYTE_0 src1_sel:DWORD
	s_mov_b64 s[4:5], 0
                                        ; implicit-def: $sgpr10
	s_and_saveexec_b64 s[8:9], s[6:7]
	s_xor_b64 s[6:7], exec, s[8:9]
	s_cbranch_execnz .LBB33_4077
; %bb.2029:
	s_or_saveexec_b64 s[6:7], s[6:7]
	v_mov_b32_e32 v2, s10
	s_xor_b64 exec, exec, s[6:7]
	s_cbranch_execnz .LBB33_4080
.LBB33_2030:
	s_or_b64 exec, exec, s[6:7]
	s_and_saveexec_b64 s[6:7], s[4:5]
	s_cbranch_execz .LBB33_2032
.LBB33_2031:
	v_bfe_u32 v2, v3, 8, 3
	v_ffbh_u32_e32 v5, v2
	v_min_u32_e32 v5, 32, v5
	v_lshrrev_b16_e32 v4, 3, v1
	v_subrev_u32_e32 v6, 28, v5
	v_and_b32_e32 v4, 15, v4
	v_lshlrev_b32_e32 v1, v6, v1
	v_sub_u32_e32 v5, 29, v5
	v_and_b32_e32 v1, 7, v1
	v_cmp_eq_u16_e32 vcc, 0, v4
	v_cndmask_b32_e32 v1, v2, v1, vcc
	v_cndmask_b32_e32 v2, v4, v5, vcc
	v_lshlrev_b32_e32 v4, 16, v3
	v_mov_b32_e32 v5, 0x3b800000
	v_lshlrev_b32_e32 v1, 20, v1
	v_and_b32_e32 v4, 0x80000000, v4
	v_lshl_add_u32 v2, v2, 23, v5
	v_or3_b32 v2, v4, v2, v1
.LBB33_2032:
	s_or_b64 exec, exec, s[6:7]
	s_nop 0
	v_mfma_f32_16x16x4f32 a[0:3], v0, v2, a[0:3]
	s_movk_i32 s4, 0xff
	v_and_b32_sdwa v1, v7, s4 dst_sel:DWORD dst_unused:UNUSED_PAD src0_sel:WORD_1 src1_sel:DWORD
	s_movk_i32 s4, 0x7f
	v_cmp_lt_i16_e32 vcc, s4, v1
	s_mov_b64 s[4:5], 0
                                        ; implicit-def: $sgpr10
	s_and_saveexec_b64 s[6:7], vcc
	s_xor_b64 s[6:7], exec, s[6:7]
	s_cbranch_execnz .LBB33_4081
; %bb.2033:
	s_or_saveexec_b64 s[6:7], s[6:7]
	v_mov_b32_e32 v0, s10
	s_xor_b64 exec, exec, s[6:7]
	s_cbranch_execnz .LBB33_4084
.LBB33_2034:
	s_or_b64 exec, exec, s[6:7]
	s_and_saveexec_b64 s[6:7], s[4:5]
	s_cbranch_execz .LBB33_2036
.LBB33_2035:
	v_bfe_u32 v0, v7, 16, 3
	v_ffbh_u32_e32 v4, v0
	v_min_u32_e32 v4, 32, v4
	v_lshrrev_b32_e32 v1, 19, v7
	v_subrev_u32_e32 v5, 28, v4
	v_and_b32_e32 v1, 15, v1
	v_lshlrev_b32_sdwa v5, v5, v7 dst_sel:DWORD dst_unused:UNUSED_PAD src0_sel:DWORD src1_sel:WORD_1
	v_bfe_u32 v2, v7, 19, 4
	v_sub_u32_e32 v4, 29, v4
	v_and_b32_e32 v5, 7, v5
	v_cmp_eq_u16_e32 vcc, 0, v1
	v_cndmask_b32_e32 v0, v0, v5, vcc
	v_cndmask_b32_e32 v1, v2, v4, vcc
	v_lshlrev_b32_e32 v2, 8, v7
	v_mov_b32_e32 v4, 0x3b800000
	v_lshlrev_b32_e32 v0, 20, v0
	v_and_b32_e32 v2, 0x80000000, v2
	v_lshl_add_u32 v1, v1, 23, v4
	v_or3_b32 v0, v2, v1, v0
.LBB33_2036:
	s_or_b64 exec, exec, s[6:7]
	s_movk_i32 s4, 0xff
	v_and_b32_sdwa v1, v3, s4 dst_sel:DWORD dst_unused:UNUSED_PAD src0_sel:WORD_1 src1_sel:DWORD
	s_movk_i32 s4, 0x7f
	v_cmp_lt_i16_e32 vcc, s4, v1
	s_mov_b64 s[4:5], 0
                                        ; implicit-def: $sgpr10
	s_and_saveexec_b64 s[6:7], vcc
	s_xor_b64 s[6:7], exec, s[6:7]
	s_cbranch_execnz .LBB33_4085
; %bb.2037:
	s_or_saveexec_b64 s[6:7], s[6:7]
	v_mov_b32_e32 v2, s10
	s_xor_b64 exec, exec, s[6:7]
	s_cbranch_execnz .LBB33_4088
.LBB33_2038:
	s_or_b64 exec, exec, s[6:7]
	s_and_saveexec_b64 s[6:7], s[4:5]
	s_cbranch_execz .LBB33_2040
.LBB33_2039:
	v_bfe_u32 v1, v3, 16, 3
	v_ffbh_u32_e32 v5, v1
	v_min_u32_e32 v5, 32, v5
	v_lshrrev_b32_e32 v2, 19, v3
	v_subrev_u32_e32 v6, 28, v5
	v_and_b32_e32 v2, 15, v2
	v_lshlrev_b32_sdwa v6, v6, v3 dst_sel:DWORD dst_unused:UNUSED_PAD src0_sel:DWORD src1_sel:WORD_1
	v_bfe_u32 v4, v3, 19, 4
	v_sub_u32_e32 v5, 29, v5
	v_and_b32_e32 v6, 7, v6
	v_cmp_eq_u16_e32 vcc, 0, v2
	v_cndmask_b32_e32 v1, v1, v6, vcc
	v_cndmask_b32_e32 v2, v4, v5, vcc
	v_lshlrev_b32_e32 v4, 8, v3
	v_mov_b32_e32 v5, 0x3b800000
	v_lshlrev_b32_e32 v1, 20, v1
	v_and_b32_e32 v4, 0x80000000, v4
	v_lshl_add_u32 v2, v2, 23, v5
	v_or3_b32 v2, v4, v2, v1
.LBB33_2040:
	s_or_b64 exec, exec, s[6:7]
	s_nop 0
	v_mfma_f32_16x16x4f32 a[0:3], v0, v2, a[0:3]
	s_movk_i32 s4, 0x7f
	v_cmp_gt_i16_sdwa s[6:7], v7, s4 src0_sel:BYTE_3 src1_sel:DWORD
	s_mov_b64 s[4:5], 0
                                        ; implicit-def: $sgpr10
	s_and_saveexec_b64 s[8:9], s[6:7]
	s_xor_b64 s[6:7], exec, s[8:9]
	s_cbranch_execnz .LBB33_4089
; %bb.2041:
	s_or_saveexec_b64 s[6:7], s[6:7]
	v_mov_b32_e32 v0, s10
	s_xor_b64 exec, exec, s[6:7]
	s_cbranch_execnz .LBB33_4092
.LBB33_2042:
	s_or_b64 exec, exec, s[6:7]
	s_and_saveexec_b64 s[6:7], s[4:5]
	s_cbranch_execz .LBB33_2044
.LBB33_2043:
	v_bfe_u32 v0, v7, 24, 3
	v_ffbh_u32_e32 v5, v0
	v_min_u32_e32 v5, 32, v5
	v_lshrrev_b32_e32 v2, 27, v7
	v_subrev_u32_e32 v6, 28, v5
	v_and_b32_e32 v2, 15, v2
	v_lshlrev_b32_sdwa v6, v6, v7 dst_sel:DWORD dst_unused:UNUSED_PAD src0_sel:DWORD src1_sel:BYTE_3
	v_bfe_u32 v4, v7, 27, 4
	v_sub_u32_e32 v5, 29, v5
	v_and_b32_e32 v6, 7, v6
	v_cmp_eq_u16_e32 vcc, 0, v2
	v_cndmask_b32_e32 v0, v0, v6, vcc
	v_cndmask_b32_e32 v2, v4, v5, vcc
	v_mov_b32_e32 v4, 0x3b800000
	v_and_b32_e32 v1, 0x80000000, v7
	v_lshlrev_b32_e32 v0, 20, v0
	v_lshl_add_u32 v2, v2, 23, v4
	v_or3_b32 v0, v1, v2, v0
.LBB33_2044:
	s_or_b64 exec, exec, s[6:7]
	s_movk_i32 s4, 0x7f
	v_cmp_gt_i16_sdwa s[6:7], v3, s4 src0_sel:BYTE_3 src1_sel:DWORD
	s_mov_b64 s[4:5], 0
                                        ; implicit-def: $sgpr10
	s_and_saveexec_b64 s[8:9], s[6:7]
	s_xor_b64 s[6:7], exec, s[8:9]
	s_cbranch_execnz .LBB33_4093
; %bb.2045:
	s_or_saveexec_b64 s[6:7], s[6:7]
	v_mov_b32_e32 v1, s10
	s_xor_b64 exec, exec, s[6:7]
	s_cbranch_execnz .LBB33_4096
.LBB33_2046:
	s_or_b64 exec, exec, s[6:7]
	s_and_saveexec_b64 s[6:7], s[4:5]
	s_cbranch_execz .LBB33_2048
.LBB33_2047:
	v_bfe_u32 v1, v3, 24, 3
	v_ffbh_u32_e32 v6, v1
	v_min_u32_e32 v6, 32, v6
	v_lshrrev_b32_e32 v4, 27, v3
	v_subrev_u32_e32 v7, 28, v6
	v_and_b32_e32 v2, 0x80000000, v3
	v_and_b32_e32 v4, 15, v4
	v_bfe_u32 v5, v3, 27, 4
	v_lshlrev_b32_sdwa v3, v7, v3 dst_sel:DWORD dst_unused:UNUSED_PAD src0_sel:DWORD src1_sel:BYTE_3
	v_sub_u32_e32 v6, 29, v6
	v_and_b32_e32 v3, 7, v3
	v_cmp_eq_u16_e32 vcc, 0, v4
	v_cndmask_b32_e32 v1, v1, v3, vcc
	v_cndmask_b32_e32 v3, v5, v6, vcc
	v_mov_b32_e32 v4, 0x3b800000
	v_lshlrev_b32_e32 v1, 20, v1
	v_lshl_add_u32 v3, v3, 23, v4
	v_or3_b32 v1, v2, v3, v1
.LBB33_2048:
	s_or_b64 exec, exec, s[6:7]
	s_nop 0
	v_mfma_f32_16x16x4f32 a[0:3], v0, v1, a[0:3]
	s_nop 7
	s_nop 2
	flat_store_dwordx4 v[16:17], a[0:3] offset:752
	s_waitcnt vmcnt(0) lgkmcnt(0)
	s_setpc_b64 s[30:31]
.LBB33_2049:
	s_movk_i32 s4, 0x80
	v_cmp_eq_u16_sdwa s[12:13], v14, s4 src0_sel:BYTE_0 src1_sel:DWORD
	s_mov_b64 s[4:5], -1
                                        ; implicit-def: $sgpr10
	s_and_saveexec_b64 s[8:9], s[12:13]
; %bb.2050:
	s_mov_b32 s10, 0x7f800001
	s_xor_b64 s[4:5], exec, -1
; %bb.2051:
	s_or_b64 exec, exec, s[8:9]
	s_and_b64 s[4:5], s[4:5], exec
	s_or_saveexec_b64 s[6:7], s[6:7]
	v_mov_b32_e32 v20, s10
	s_xor_b64 exec, exec, s[6:7]
	s_cbranch_execz .LBB33_2
.LBB33_2052:
	v_mov_b32_e32 v20, 0
	v_cmp_ne_u16_sdwa s[8:9], v14, v20 src0_sel:BYTE_0 src1_sel:DWORD
	s_andn2_b64 s[4:5], s[4:5], exec
	s_and_b64 s[8:9], s[8:9], exec
	s_or_b64 s[4:5], s[4:5], s[8:9]
	s_or_b64 exec, exec, s[6:7]
	s_and_saveexec_b64 s[6:7], s[4:5]
	s_cbranch_execnz .LBB33_3
	s_branch .LBB33_4
.LBB33_2053:
	s_movk_i32 s4, 0x80
	v_cmp_eq_u16_sdwa s[12:13], v10, s4 src0_sel:BYTE_0 src1_sel:DWORD
	s_mov_b64 s[4:5], -1
                                        ; implicit-def: $sgpr10
	s_and_saveexec_b64 s[8:9], s[12:13]
; %bb.2054:
	s_mov_b32 s10, 0x7f800001
	s_xor_b64 s[4:5], exec, -1
; %bb.2055:
	s_or_b64 exec, exec, s[8:9]
	s_and_b64 s[4:5], s[4:5], exec
	s_or_saveexec_b64 s[6:7], s[6:7]
	v_mov_b32_e32 v21, s10
	s_xor_b64 exec, exec, s[6:7]
	s_cbranch_execz .LBB33_6
.LBB33_2056:
	v_mov_b32_e32 v21, 0
	v_cmp_ne_u16_sdwa s[8:9], v10, v21 src0_sel:BYTE_0 src1_sel:DWORD
	s_andn2_b64 s[4:5], s[4:5], exec
	s_and_b64 s[8:9], s[8:9], exec
	s_or_b64 s[4:5], s[4:5], s[8:9]
	s_or_b64 exec, exec, s[6:7]
	s_and_saveexec_b64 s[6:7], s[4:5]
	s_cbranch_execnz .LBB33_7
	s_branch .LBB33_8
.LBB33_2057:
	s_movk_i32 s4, 0x80
	v_cmp_eq_u16_sdwa s[12:13], v21, s4 src0_sel:BYTE_0 src1_sel:DWORD
	s_mov_b64 s[4:5], -1
                                        ; implicit-def: $sgpr10
	s_and_saveexec_b64 s[8:9], s[12:13]
; %bb.2058:
	s_mov_b32 s10, 0x7f800001
	s_xor_b64 s[4:5], exec, -1
; %bb.2059:
	s_or_b64 exec, exec, s[8:9]
	s_and_b64 s[4:5], s[4:5], exec
	s_or_saveexec_b64 s[6:7], s[6:7]
	v_mov_b32_e32 v20, s10
	s_xor_b64 exec, exec, s[6:7]
	s_cbranch_execz .LBB33_10
.LBB33_2060:
	v_mov_b32_e32 v20, 0
	v_cmp_ne_u16_sdwa s[8:9], v21, v20 src0_sel:BYTE_0 src1_sel:DWORD
	s_andn2_b64 s[4:5], s[4:5], exec
	s_and_b64 s[8:9], s[8:9], exec
	s_or_b64 s[4:5], s[4:5], s[8:9]
	s_or_b64 exec, exec, s[6:7]
	s_and_saveexec_b64 s[6:7], s[4:5]
	s_cbranch_execnz .LBB33_11
	s_branch .LBB33_12
.LBB33_2061:
	s_movk_i32 s4, 0x80
	v_cmp_eq_u16_sdwa s[12:13], v21, s4 src0_sel:BYTE_0 src1_sel:DWORD
	s_mov_b64 s[4:5], -1
                                        ; implicit-def: $sgpr10
	s_and_saveexec_b64 s[8:9], s[12:13]
; %bb.2062:
	s_mov_b32 s10, 0x7f800001
	s_xor_b64 s[4:5], exec, -1
; %bb.2063:
	s_or_b64 exec, exec, s[8:9]
	s_and_b64 s[4:5], s[4:5], exec
	s_or_saveexec_b64 s[6:7], s[6:7]
	v_mov_b32_e32 v22, s10
	s_xor_b64 exec, exec, s[6:7]
	s_cbranch_execz .LBB33_14
.LBB33_2064:
	v_mov_b32_e32 v22, 0
	v_cmp_ne_u16_sdwa s[8:9], v21, v22 src0_sel:BYTE_0 src1_sel:DWORD
	s_andn2_b64 s[4:5], s[4:5], exec
	s_and_b64 s[8:9], s[8:9], exec
	s_or_b64 s[4:5], s[4:5], s[8:9]
	s_or_b64 exec, exec, s[6:7]
	s_and_saveexec_b64 s[6:7], s[4:5]
	s_cbranch_execnz .LBB33_15
	s_branch .LBB33_16
.LBB33_2065:
	s_movk_i32 s4, 0x80
	v_cmp_eq_u16_e32 vcc, s4, v21
	s_mov_b64 s[4:5], -1
                                        ; implicit-def: $sgpr10
	s_and_saveexec_b64 s[8:9], vcc
; %bb.2066:
	s_mov_b32 s10, 0x7f800001
	s_xor_b64 s[4:5], exec, -1
; %bb.2067:
	s_or_b64 exec, exec, s[8:9]
	s_and_b64 s[4:5], s[4:5], exec
                                        ; implicit-def: $vgpr21
	s_or_saveexec_b64 s[6:7], s[6:7]
	v_mov_b32_e32 v20, s10
	s_xor_b64 exec, exec, s[6:7]
	s_cbranch_execz .LBB33_18
.LBB33_2068:
	v_cmp_ne_u16_e32 vcc, 0, v21
	s_andn2_b64 s[4:5], s[4:5], exec
	s_and_b64 s[8:9], vcc, exec
	v_mov_b32_e32 v20, 0
	s_or_b64 s[4:5], s[4:5], s[8:9]
	s_or_b64 exec, exec, s[6:7]
	s_and_saveexec_b64 s[6:7], s[4:5]
	s_cbranch_execnz .LBB33_19
	s_branch .LBB33_20
.LBB33_2069:
	s_movk_i32 s4, 0x80
	v_cmp_eq_u16_e32 vcc, s4, v21
	s_mov_b64 s[4:5], -1
                                        ; implicit-def: $sgpr10
	s_and_saveexec_b64 s[8:9], vcc
; %bb.2070:
	s_mov_b32 s10, 0x7f800001
	s_xor_b64 s[4:5], exec, -1
; %bb.2071:
	s_or_b64 exec, exec, s[8:9]
	s_and_b64 s[4:5], s[4:5], exec
                                        ; implicit-def: $vgpr21
	s_or_saveexec_b64 s[6:7], s[6:7]
	v_mov_b32_e32 v22, s10
	s_xor_b64 exec, exec, s[6:7]
	s_cbranch_execz .LBB33_22
.LBB33_2072:
	v_cmp_ne_u16_e32 vcc, 0, v21
	s_andn2_b64 s[4:5], s[4:5], exec
	s_and_b64 s[8:9], vcc, exec
	v_mov_b32_e32 v22, 0
	s_or_b64 s[4:5], s[4:5], s[8:9]
	s_or_b64 exec, exec, s[6:7]
	s_and_saveexec_b64 s[6:7], s[4:5]
	s_cbranch_execnz .LBB33_23
	s_branch .LBB33_24
.LBB33_2073:
	s_movk_i32 s4, 0x80
	v_cmp_eq_u16_sdwa s[12:13], v14, s4 src0_sel:BYTE_3 src1_sel:DWORD
	s_mov_b64 s[4:5], -1
                                        ; implicit-def: $sgpr10
	s_and_saveexec_b64 s[8:9], s[12:13]
; %bb.2074:
	s_mov_b32 s10, 0x7f800001
	s_xor_b64 s[4:5], exec, -1
; %bb.2075:
	s_or_b64 exec, exec, s[8:9]
	s_and_b64 s[4:5], s[4:5], exec
	s_or_saveexec_b64 s[6:7], s[6:7]
	v_mov_b32_e32 v20, s10
	s_xor_b64 exec, exec, s[6:7]
	s_cbranch_execz .LBB33_26
.LBB33_2076:
	v_mov_b32_e32 v20, 0
	v_cmp_ne_u16_sdwa s[8:9], v14, v20 src0_sel:BYTE_3 src1_sel:DWORD
	s_andn2_b64 s[4:5], s[4:5], exec
	s_and_b64 s[8:9], s[8:9], exec
	s_or_b64 s[4:5], s[4:5], s[8:9]
	s_or_b64 exec, exec, s[6:7]
	s_and_saveexec_b64 s[6:7], s[4:5]
	s_cbranch_execnz .LBB33_27
	s_branch .LBB33_28
.LBB33_2077:
	s_movk_i32 s4, 0x80
	v_cmp_eq_u16_sdwa s[12:13], v10, s4 src0_sel:BYTE_3 src1_sel:DWORD
	s_mov_b64 s[4:5], -1
                                        ; implicit-def: $sgpr10
	s_and_saveexec_b64 s[8:9], s[12:13]
; %bb.2078:
	s_mov_b32 s10, 0x7f800001
	s_xor_b64 s[4:5], exec, -1
; %bb.2079:
	s_or_b64 exec, exec, s[8:9]
	s_and_b64 s[4:5], s[4:5], exec
	s_or_saveexec_b64 s[6:7], s[6:7]
	v_mov_b32_e32 v14, s10
	s_xor_b64 exec, exec, s[6:7]
	s_cbranch_execz .LBB33_30
.LBB33_2080:
	v_mov_b32_e32 v14, 0
	v_cmp_ne_u16_sdwa s[8:9], v10, v14 src0_sel:BYTE_3 src1_sel:DWORD
	s_andn2_b64 s[4:5], s[4:5], exec
	s_and_b64 s[8:9], s[8:9], exec
	s_or_b64 s[4:5], s[4:5], s[8:9]
	s_or_b64 exec, exec, s[6:7]
	s_and_saveexec_b64 s[6:7], s[4:5]
	s_cbranch_execnz .LBB33_31
	s_branch .LBB33_32
.LBB33_2081:
	s_movk_i32 s4, 0x80
	v_cmp_eq_u16_sdwa s[12:13], v15, s4 src0_sel:BYTE_0 src1_sel:DWORD
	s_mov_b64 s[4:5], -1
                                        ; implicit-def: $sgpr10
	s_and_saveexec_b64 s[8:9], s[12:13]
; %bb.2082:
	s_mov_b32 s10, 0x7f800001
	s_xor_b64 s[4:5], exec, -1
; %bb.2083:
	s_or_b64 exec, exec, s[8:9]
	s_and_b64 s[4:5], s[4:5], exec
	s_or_saveexec_b64 s[6:7], s[6:7]
	v_mov_b32_e32 v10, s10
	s_xor_b64 exec, exec, s[6:7]
	s_cbranch_execz .LBB33_34
.LBB33_2084:
	v_mov_b32_e32 v10, 0
	v_cmp_ne_u16_sdwa s[8:9], v15, v10 src0_sel:BYTE_0 src1_sel:DWORD
	s_andn2_b64 s[4:5], s[4:5], exec
	s_and_b64 s[8:9], s[8:9], exec
	s_or_b64 s[4:5], s[4:5], s[8:9]
	s_or_b64 exec, exec, s[6:7]
	s_and_saveexec_b64 s[6:7], s[4:5]
	s_cbranch_execnz .LBB33_35
	s_branch .LBB33_36
.LBB33_2085:
	s_movk_i32 s4, 0x80
	v_cmp_eq_u16_sdwa s[12:13], v11, s4 src0_sel:BYTE_0 src1_sel:DWORD
	s_mov_b64 s[4:5], -1
                                        ; implicit-def: $sgpr10
	s_and_saveexec_b64 s[8:9], s[12:13]
; %bb.2086:
	s_mov_b32 s10, 0x7f800001
	s_xor_b64 s[4:5], exec, -1
; %bb.2087:
	s_or_b64 exec, exec, s[8:9]
	s_and_b64 s[4:5], s[4:5], exec
	s_or_saveexec_b64 s[6:7], s[6:7]
	v_mov_b32_e32 v14, s10
	s_xor_b64 exec, exec, s[6:7]
	s_cbranch_execz .LBB33_38
.LBB33_2088:
	v_mov_b32_e32 v14, 0
	v_cmp_ne_u16_sdwa s[8:9], v11, v14 src0_sel:BYTE_0 src1_sel:DWORD
	s_andn2_b64 s[4:5], s[4:5], exec
	s_and_b64 s[8:9], s[8:9], exec
	s_or_b64 s[4:5], s[4:5], s[8:9]
	s_or_b64 exec, exec, s[6:7]
	s_and_saveexec_b64 s[6:7], s[4:5]
	s_cbranch_execnz .LBB33_39
	s_branch .LBB33_40
.LBB33_2089:
	s_movk_i32 s4, 0x80
	v_cmp_eq_u16_sdwa s[12:13], v14, s4 src0_sel:BYTE_0 src1_sel:DWORD
	s_mov_b64 s[4:5], -1
                                        ; implicit-def: $sgpr10
	s_and_saveexec_b64 s[8:9], s[12:13]
; %bb.2090:
	s_mov_b32 s10, 0x7f800001
	s_xor_b64 s[4:5], exec, -1
; %bb.2091:
	s_or_b64 exec, exec, s[8:9]
	s_and_b64 s[4:5], s[4:5], exec
	s_or_saveexec_b64 s[6:7], s[6:7]
	v_mov_b32_e32 v10, s10
	s_xor_b64 exec, exec, s[6:7]
	s_cbranch_execz .LBB33_42
.LBB33_2092:
	v_mov_b32_e32 v10, 0
	v_cmp_ne_u16_sdwa s[8:9], v14, v10 src0_sel:BYTE_0 src1_sel:DWORD
	s_andn2_b64 s[4:5], s[4:5], exec
	s_and_b64 s[8:9], s[8:9], exec
	s_or_b64 s[4:5], s[4:5], s[8:9]
	s_or_b64 exec, exec, s[6:7]
	s_and_saveexec_b64 s[6:7], s[4:5]
	s_cbranch_execnz .LBB33_43
	s_branch .LBB33_44
.LBB33_2093:
	s_movk_i32 s4, 0x80
	v_cmp_eq_u16_sdwa s[12:13], v14, s4 src0_sel:BYTE_0 src1_sel:DWORD
	s_mov_b64 s[4:5], -1
                                        ; implicit-def: $sgpr10
	s_and_saveexec_b64 s[8:9], s[12:13]
; %bb.2094:
	s_mov_b32 s10, 0x7f800001
	s_xor_b64 s[4:5], exec, -1
; %bb.2095:
	s_or_b64 exec, exec, s[8:9]
	s_and_b64 s[4:5], s[4:5], exec
	s_or_saveexec_b64 s[6:7], s[6:7]
	v_mov_b32_e32 v20, s10
	s_xor_b64 exec, exec, s[6:7]
	s_cbranch_execz .LBB33_46
.LBB33_2096:
	v_mov_b32_e32 v20, 0
	v_cmp_ne_u16_sdwa s[8:9], v14, v20 src0_sel:BYTE_0 src1_sel:DWORD
	s_andn2_b64 s[4:5], s[4:5], exec
	s_and_b64 s[8:9], s[8:9], exec
	s_or_b64 s[4:5], s[4:5], s[8:9]
	s_or_b64 exec, exec, s[6:7]
	s_and_saveexec_b64 s[6:7], s[4:5]
	s_cbranch_execnz .LBB33_47
	s_branch .LBB33_48
.LBB33_2097:
	s_movk_i32 s4, 0x80
	v_cmp_eq_u16_e32 vcc, s4, v14
	s_mov_b64 s[4:5], -1
                                        ; implicit-def: $sgpr10
	s_and_saveexec_b64 s[8:9], vcc
; %bb.2098:
	s_mov_b32 s10, 0x7f800001
	s_xor_b64 s[4:5], exec, -1
; %bb.2099:
	s_or_b64 exec, exec, s[8:9]
	s_and_b64 s[4:5], s[4:5], exec
                                        ; implicit-def: $vgpr14
	s_or_saveexec_b64 s[6:7], s[6:7]
	v_mov_b32_e32 v10, s10
	s_xor_b64 exec, exec, s[6:7]
	s_cbranch_execz .LBB33_50
.LBB33_2100:
	v_cmp_ne_u16_e32 vcc, 0, v14
	s_andn2_b64 s[4:5], s[4:5], exec
	s_and_b64 s[8:9], vcc, exec
	v_mov_b32_e32 v10, 0
	s_or_b64 s[4:5], s[4:5], s[8:9]
	s_or_b64 exec, exec, s[6:7]
	s_and_saveexec_b64 s[6:7], s[4:5]
	s_cbranch_execnz .LBB33_51
	s_branch .LBB33_52
.LBB33_2101:
	s_movk_i32 s4, 0x80
	v_cmp_eq_u16_e32 vcc, s4, v14
	s_mov_b64 s[4:5], -1
                                        ; implicit-def: $sgpr10
	s_and_saveexec_b64 s[8:9], vcc
; %bb.2102:
	s_mov_b32 s10, 0x7f800001
	s_xor_b64 s[4:5], exec, -1
; %bb.2103:
	s_or_b64 exec, exec, s[8:9]
	s_and_b64 s[4:5], s[4:5], exec
                                        ; implicit-def: $vgpr14
	s_or_saveexec_b64 s[6:7], s[6:7]
	v_mov_b32_e32 v20, s10
	s_xor_b64 exec, exec, s[6:7]
	s_cbranch_execz .LBB33_54
.LBB33_2104:
	v_cmp_ne_u16_e32 vcc, 0, v14
	s_andn2_b64 s[4:5], s[4:5], exec
	s_and_b64 s[8:9], vcc, exec
	v_mov_b32_e32 v20, 0
	s_or_b64 s[4:5], s[4:5], s[8:9]
	s_or_b64 exec, exec, s[6:7]
	s_and_saveexec_b64 s[6:7], s[4:5]
	s_cbranch_execnz .LBB33_55
	s_branch .LBB33_56
.LBB33_2105:
	s_movk_i32 s4, 0x80
	v_cmp_eq_u16_sdwa s[12:13], v15, s4 src0_sel:BYTE_3 src1_sel:DWORD
	s_mov_b64 s[4:5], -1
                                        ; implicit-def: $sgpr10
	s_and_saveexec_b64 s[8:9], s[12:13]
; %bb.2106:
	s_mov_b32 s10, 0x7f800001
	s_xor_b64 s[4:5], exec, -1
; %bb.2107:
	s_or_b64 exec, exec, s[8:9]
	s_and_b64 s[4:5], s[4:5], exec
	s_or_saveexec_b64 s[6:7], s[6:7]
	v_mov_b32_e32 v10, s10
	s_xor_b64 exec, exec, s[6:7]
	s_cbranch_execz .LBB33_58
.LBB33_2108:
	v_mov_b32_e32 v10, 0
	v_cmp_ne_u16_sdwa s[8:9], v15, v10 src0_sel:BYTE_3 src1_sel:DWORD
	s_andn2_b64 s[4:5], s[4:5], exec
	s_and_b64 s[8:9], s[8:9], exec
	s_or_b64 s[4:5], s[4:5], s[8:9]
	s_or_b64 exec, exec, s[6:7]
	s_and_saveexec_b64 s[6:7], s[4:5]
	s_cbranch_execnz .LBB33_59
	s_branch .LBB33_60
.LBB33_2109:
	s_movk_i32 s4, 0x80
	v_cmp_eq_u16_sdwa s[12:13], v11, s4 src0_sel:BYTE_3 src1_sel:DWORD
	s_mov_b64 s[4:5], -1
                                        ; implicit-def: $sgpr10
	s_and_saveexec_b64 s[8:9], s[12:13]
; %bb.2110:
	s_mov_b32 s10, 0x7f800001
	s_xor_b64 s[4:5], exec, -1
; %bb.2111:
	s_or_b64 exec, exec, s[8:9]
	s_and_b64 s[4:5], s[4:5], exec
	s_or_saveexec_b64 s[6:7], s[6:7]
	v_mov_b32_e32 v14, s10
	s_xor_b64 exec, exec, s[6:7]
	s_cbranch_execz .LBB33_62
.LBB33_2112:
	v_mov_b32_e32 v14, 0
	v_cmp_ne_u16_sdwa s[8:9], v11, v14 src0_sel:BYTE_3 src1_sel:DWORD
	s_andn2_b64 s[4:5], s[4:5], exec
	s_and_b64 s[8:9], s[8:9], exec
	s_or_b64 s[4:5], s[4:5], s[8:9]
	s_or_b64 exec, exec, s[6:7]
	s_and_saveexec_b64 s[6:7], s[4:5]
	s_cbranch_execnz .LBB33_63
	s_branch .LBB33_64
.LBB33_2113:
	s_movk_i32 s4, 0x80
	v_cmp_eq_u16_sdwa s[12:13], v16, s4 src0_sel:BYTE_0 src1_sel:DWORD
	s_mov_b64 s[4:5], -1
                                        ; implicit-def: $sgpr10
	s_and_saveexec_b64 s[8:9], s[12:13]
; %bb.2114:
	s_mov_b32 s10, 0x7f800001
	s_xor_b64 s[4:5], exec, -1
; %bb.2115:
	s_or_b64 exec, exec, s[8:9]
	s_and_b64 s[4:5], s[4:5], exec
	s_or_saveexec_b64 s[6:7], s[6:7]
	v_mov_b32_e32 v10, s10
	s_xor_b64 exec, exec, s[6:7]
	s_cbranch_execz .LBB33_66
.LBB33_2116:
	v_mov_b32_e32 v10, 0
	v_cmp_ne_u16_sdwa s[8:9], v16, v10 src0_sel:BYTE_0 src1_sel:DWORD
	s_andn2_b64 s[4:5], s[4:5], exec
	s_and_b64 s[8:9], s[8:9], exec
	s_or_b64 s[4:5], s[4:5], s[8:9]
	s_or_b64 exec, exec, s[6:7]
	s_and_saveexec_b64 s[6:7], s[4:5]
	s_cbranch_execnz .LBB33_67
	s_branch .LBB33_68
.LBB33_2117:
	s_movk_i32 s4, 0x80
	v_cmp_eq_u16_sdwa s[12:13], v12, s4 src0_sel:BYTE_0 src1_sel:DWORD
	s_mov_b64 s[4:5], -1
                                        ; implicit-def: $sgpr10
	s_and_saveexec_b64 s[8:9], s[12:13]
; %bb.2118:
	s_mov_b32 s10, 0x7f800001
	s_xor_b64 s[4:5], exec, -1
; %bb.2119:
	s_or_b64 exec, exec, s[8:9]
	s_and_b64 s[4:5], s[4:5], exec
	s_or_saveexec_b64 s[6:7], s[6:7]
	v_mov_b32_e32 v11, s10
	s_xor_b64 exec, exec, s[6:7]
	s_cbranch_execz .LBB33_70
.LBB33_2120:
	v_mov_b32_e32 v11, 0
	v_cmp_ne_u16_sdwa s[8:9], v12, v11 src0_sel:BYTE_0 src1_sel:DWORD
	s_andn2_b64 s[4:5], s[4:5], exec
	s_and_b64 s[8:9], s[8:9], exec
	s_or_b64 s[4:5], s[4:5], s[8:9]
	s_or_b64 exec, exec, s[6:7]
	s_and_saveexec_b64 s[6:7], s[4:5]
	s_cbranch_execnz .LBB33_71
	s_branch .LBB33_72
.LBB33_2121:
	s_movk_i32 s4, 0x80
	v_cmp_eq_u16_sdwa s[12:13], v11, s4 src0_sel:BYTE_0 src1_sel:DWORD
	s_mov_b64 s[4:5], -1
                                        ; implicit-def: $sgpr10
	s_and_saveexec_b64 s[8:9], s[12:13]
; %bb.2122:
	s_mov_b32 s10, 0x7f800001
	s_xor_b64 s[4:5], exec, -1
; %bb.2123:
	s_or_b64 exec, exec, s[8:9]
	s_and_b64 s[4:5], s[4:5], exec
	s_or_saveexec_b64 s[6:7], s[6:7]
	v_mov_b32_e32 v10, s10
	s_xor_b64 exec, exec, s[6:7]
	s_cbranch_execz .LBB33_74
.LBB33_2124:
	v_mov_b32_e32 v10, 0
	v_cmp_ne_u16_sdwa s[8:9], v11, v10 src0_sel:BYTE_0 src1_sel:DWORD
	s_andn2_b64 s[4:5], s[4:5], exec
	s_and_b64 s[8:9], s[8:9], exec
	s_or_b64 s[4:5], s[4:5], s[8:9]
	s_or_b64 exec, exec, s[6:7]
	s_and_saveexec_b64 s[6:7], s[4:5]
	s_cbranch_execnz .LBB33_75
	s_branch .LBB33_76
.LBB33_2125:
	s_movk_i32 s4, 0x80
	v_cmp_eq_u16_sdwa s[12:13], v11, s4 src0_sel:BYTE_0 src1_sel:DWORD
	s_mov_b64 s[4:5], -1
                                        ; implicit-def: $sgpr10
	s_and_saveexec_b64 s[8:9], s[12:13]
; %bb.2126:
	s_mov_b32 s10, 0x7f800001
	s_xor_b64 s[4:5], exec, -1
; %bb.2127:
	s_or_b64 exec, exec, s[8:9]
	s_and_b64 s[4:5], s[4:5], exec
	s_or_saveexec_b64 s[6:7], s[6:7]
	v_mov_b32_e32 v14, s10
	s_xor_b64 exec, exec, s[6:7]
	s_cbranch_execz .LBB33_78
.LBB33_2128:
	v_mov_b32_e32 v14, 0
	v_cmp_ne_u16_sdwa s[8:9], v11, v14 src0_sel:BYTE_0 src1_sel:DWORD
	s_andn2_b64 s[4:5], s[4:5], exec
	s_and_b64 s[8:9], s[8:9], exec
	s_or_b64 s[4:5], s[4:5], s[8:9]
	s_or_b64 exec, exec, s[6:7]
	s_and_saveexec_b64 s[6:7], s[4:5]
	s_cbranch_execnz .LBB33_79
	s_branch .LBB33_80
.LBB33_2129:
	s_movk_i32 s4, 0x80
	v_cmp_eq_u16_e32 vcc, s4, v11
	s_mov_b64 s[4:5], -1
                                        ; implicit-def: $sgpr10
	s_and_saveexec_b64 s[8:9], vcc
; %bb.2130:
	s_mov_b32 s10, 0x7f800001
	s_xor_b64 s[4:5], exec, -1
; %bb.2131:
	s_or_b64 exec, exec, s[8:9]
	s_and_b64 s[4:5], s[4:5], exec
                                        ; implicit-def: $vgpr11
	s_or_saveexec_b64 s[6:7], s[6:7]
	v_mov_b32_e32 v10, s10
	s_xor_b64 exec, exec, s[6:7]
	s_cbranch_execz .LBB33_82
.LBB33_2132:
	v_cmp_ne_u16_e32 vcc, 0, v11
	s_andn2_b64 s[4:5], s[4:5], exec
	s_and_b64 s[8:9], vcc, exec
	v_mov_b32_e32 v10, 0
	s_or_b64 s[4:5], s[4:5], s[8:9]
	s_or_b64 exec, exec, s[6:7]
	s_and_saveexec_b64 s[6:7], s[4:5]
	s_cbranch_execnz .LBB33_83
	s_branch .LBB33_84
.LBB33_2133:
	s_movk_i32 s4, 0x80
	v_cmp_eq_u16_e32 vcc, s4, v11
	s_mov_b64 s[4:5], -1
                                        ; implicit-def: $sgpr10
	s_and_saveexec_b64 s[8:9], vcc
; %bb.2134:
	s_mov_b32 s10, 0x7f800001
	s_xor_b64 s[4:5], exec, -1
; %bb.2135:
	s_or_b64 exec, exec, s[8:9]
	s_and_b64 s[4:5], s[4:5], exec
                                        ; implicit-def: $vgpr11
	s_or_saveexec_b64 s[6:7], s[6:7]
	v_mov_b32_e32 v14, s10
	s_xor_b64 exec, exec, s[6:7]
	s_cbranch_execz .LBB33_86
.LBB33_2136:
	v_cmp_ne_u16_e32 vcc, 0, v11
	s_andn2_b64 s[4:5], s[4:5], exec
	s_and_b64 s[8:9], vcc, exec
	v_mov_b32_e32 v14, 0
	s_or_b64 s[4:5], s[4:5], s[8:9]
	s_or_b64 exec, exec, s[6:7]
	s_and_saveexec_b64 s[6:7], s[4:5]
	s_cbranch_execnz .LBB33_87
	s_branch .LBB33_88
.LBB33_2137:
	s_movk_i32 s4, 0x80
	v_cmp_eq_u16_sdwa s[12:13], v16, s4 src0_sel:BYTE_3 src1_sel:DWORD
	s_mov_b64 s[4:5], -1
                                        ; implicit-def: $sgpr10
	s_and_saveexec_b64 s[8:9], s[12:13]
; %bb.2138:
	s_mov_b32 s10, 0x7f800001
	s_xor_b64 s[4:5], exec, -1
; %bb.2139:
	s_or_b64 exec, exec, s[8:9]
	s_and_b64 s[4:5], s[4:5], exec
	s_or_saveexec_b64 s[6:7], s[6:7]
	v_mov_b32_e32 v10, s10
	s_xor_b64 exec, exec, s[6:7]
	s_cbranch_execz .LBB33_90
.LBB33_2140:
	v_mov_b32_e32 v10, 0
	v_cmp_ne_u16_sdwa s[8:9], v16, v10 src0_sel:BYTE_3 src1_sel:DWORD
	s_andn2_b64 s[4:5], s[4:5], exec
	s_and_b64 s[8:9], s[8:9], exec
	s_or_b64 s[4:5], s[4:5], s[8:9]
	s_or_b64 exec, exec, s[6:7]
	s_and_saveexec_b64 s[6:7], s[4:5]
	s_cbranch_execnz .LBB33_91
	s_branch .LBB33_92
.LBB33_2141:
	s_movk_i32 s4, 0x80
	v_cmp_eq_u16_sdwa s[12:13], v12, s4 src0_sel:BYTE_3 src1_sel:DWORD
	s_mov_b64 s[4:5], -1
                                        ; implicit-def: $sgpr10
	s_and_saveexec_b64 s[8:9], s[12:13]
; %bb.2142:
	s_mov_b32 s10, 0x7f800001
	s_xor_b64 s[4:5], exec, -1
; %bb.2143:
	s_or_b64 exec, exec, s[8:9]
	s_and_b64 s[4:5], s[4:5], exec
	s_or_saveexec_b64 s[6:7], s[6:7]
	v_mov_b32_e32 v11, s10
	s_xor_b64 exec, exec, s[6:7]
	s_cbranch_execz .LBB33_94
.LBB33_2144:
	v_mov_b32_e32 v11, 0
	v_cmp_ne_u16_sdwa s[8:9], v12, v11 src0_sel:BYTE_3 src1_sel:DWORD
	s_andn2_b64 s[4:5], s[4:5], exec
	s_and_b64 s[8:9], s[8:9], exec
	s_or_b64 s[4:5], s[4:5], s[8:9]
	s_or_b64 exec, exec, s[6:7]
	s_and_saveexec_b64 s[6:7], s[4:5]
	s_cbranch_execnz .LBB33_95
	s_branch .LBB33_96
.LBB33_2145:
	s_movk_i32 s4, 0x80
	v_cmp_eq_u16_sdwa s[12:13], v17, s4 src0_sel:BYTE_0 src1_sel:DWORD
	s_mov_b64 s[4:5], -1
                                        ; implicit-def: $sgpr10
	s_and_saveexec_b64 s[8:9], s[12:13]
; %bb.2146:
	s_mov_b32 s10, 0x7f800001
	s_xor_b64 s[4:5], exec, -1
; %bb.2147:
	s_or_b64 exec, exec, s[8:9]
	s_and_b64 s[4:5], s[4:5], exec
	s_or_saveexec_b64 s[6:7], s[6:7]
	v_mov_b32_e32 v10, s10
	s_xor_b64 exec, exec, s[6:7]
	s_cbranch_execz .LBB33_98
.LBB33_2148:
	v_mov_b32_e32 v10, 0
	v_cmp_ne_u16_sdwa s[8:9], v17, v10 src0_sel:BYTE_0 src1_sel:DWORD
	s_andn2_b64 s[4:5], s[4:5], exec
	s_and_b64 s[8:9], s[8:9], exec
	s_or_b64 s[4:5], s[4:5], s[8:9]
	s_or_b64 exec, exec, s[6:7]
	s_and_saveexec_b64 s[6:7], s[4:5]
	s_cbranch_execnz .LBB33_99
	s_branch .LBB33_100
.LBB33_2149:
	s_movk_i32 s4, 0x80
	v_cmp_eq_u16_sdwa s[12:13], v13, s4 src0_sel:BYTE_0 src1_sel:DWORD
	s_mov_b64 s[4:5], -1
                                        ; implicit-def: $sgpr10
	s_and_saveexec_b64 s[8:9], s[12:13]
; %bb.2150:
	s_mov_b32 s10, 0x7f800001
	s_xor_b64 s[4:5], exec, -1
; %bb.2151:
	s_or_b64 exec, exec, s[8:9]
	s_and_b64 s[4:5], s[4:5], exec
	s_or_saveexec_b64 s[6:7], s[6:7]
	v_mov_b32_e32 v11, s10
	s_xor_b64 exec, exec, s[6:7]
	s_cbranch_execz .LBB33_102
.LBB33_2152:
	v_mov_b32_e32 v11, 0
	v_cmp_ne_u16_sdwa s[8:9], v13, v11 src0_sel:BYTE_0 src1_sel:DWORD
	s_andn2_b64 s[4:5], s[4:5], exec
	s_and_b64 s[8:9], s[8:9], exec
	s_or_b64 s[4:5], s[4:5], s[8:9]
	s_or_b64 exec, exec, s[6:7]
	s_and_saveexec_b64 s[6:7], s[4:5]
	s_cbranch_execnz .LBB33_103
	s_branch .LBB33_104
.LBB33_2153:
	s_movk_i32 s4, 0x80
	v_cmp_eq_u16_sdwa s[12:13], v11, s4 src0_sel:BYTE_0 src1_sel:DWORD
	s_mov_b64 s[4:5], -1
                                        ; implicit-def: $sgpr10
	s_and_saveexec_b64 s[8:9], s[12:13]
; %bb.2154:
	s_mov_b32 s10, 0x7f800001
	s_xor_b64 s[4:5], exec, -1
; %bb.2155:
	s_or_b64 exec, exec, s[8:9]
	s_and_b64 s[4:5], s[4:5], exec
	s_or_saveexec_b64 s[6:7], s[6:7]
	v_mov_b32_e32 v10, s10
	s_xor_b64 exec, exec, s[6:7]
	s_cbranch_execz .LBB33_106
.LBB33_2156:
	v_mov_b32_e32 v10, 0
	v_cmp_ne_u16_sdwa s[8:9], v11, v10 src0_sel:BYTE_0 src1_sel:DWORD
	s_andn2_b64 s[4:5], s[4:5], exec
	s_and_b64 s[8:9], s[8:9], exec
	s_or_b64 s[4:5], s[4:5], s[8:9]
	s_or_b64 exec, exec, s[6:7]
	s_and_saveexec_b64 s[6:7], s[4:5]
	s_cbranch_execnz .LBB33_107
	s_branch .LBB33_108
.LBB33_2157:
	s_movk_i32 s4, 0x80
	v_cmp_eq_u16_sdwa s[12:13], v11, s4 src0_sel:BYTE_0 src1_sel:DWORD
	s_mov_b64 s[4:5], -1
                                        ; implicit-def: $sgpr10
	s_and_saveexec_b64 s[8:9], s[12:13]
; %bb.2158:
	s_mov_b32 s10, 0x7f800001
	s_xor_b64 s[4:5], exec, -1
; %bb.2159:
	s_or_b64 exec, exec, s[8:9]
	s_and_b64 s[4:5], s[4:5], exec
	s_or_saveexec_b64 s[6:7], s[6:7]
	v_mov_b32_e32 v12, s10
	s_xor_b64 exec, exec, s[6:7]
	s_cbranch_execz .LBB33_110
.LBB33_2160:
	v_mov_b32_e32 v12, 0
	v_cmp_ne_u16_sdwa s[8:9], v11, v12 src0_sel:BYTE_0 src1_sel:DWORD
	s_andn2_b64 s[4:5], s[4:5], exec
	s_and_b64 s[8:9], s[8:9], exec
	s_or_b64 s[4:5], s[4:5], s[8:9]
	s_or_b64 exec, exec, s[6:7]
	s_and_saveexec_b64 s[6:7], s[4:5]
	s_cbranch_execnz .LBB33_111
	s_branch .LBB33_112
.LBB33_2161:
	s_movk_i32 s4, 0x80
	v_cmp_eq_u16_e32 vcc, s4, v11
	s_mov_b64 s[4:5], -1
                                        ; implicit-def: $sgpr10
	s_and_saveexec_b64 s[8:9], vcc
; %bb.2162:
	s_mov_b32 s10, 0x7f800001
	s_xor_b64 s[4:5], exec, -1
; %bb.2163:
	s_or_b64 exec, exec, s[8:9]
	s_and_b64 s[4:5], s[4:5], exec
                                        ; implicit-def: $vgpr11
	s_or_saveexec_b64 s[6:7], s[6:7]
	v_mov_b32_e32 v10, s10
	s_xor_b64 exec, exec, s[6:7]
	s_cbranch_execz .LBB33_114
.LBB33_2164:
	v_cmp_ne_u16_e32 vcc, 0, v11
	s_andn2_b64 s[4:5], s[4:5], exec
	s_and_b64 s[8:9], vcc, exec
	v_mov_b32_e32 v10, 0
	s_or_b64 s[4:5], s[4:5], s[8:9]
	s_or_b64 exec, exec, s[6:7]
	s_and_saveexec_b64 s[6:7], s[4:5]
	s_cbranch_execnz .LBB33_115
	s_branch .LBB33_116
.LBB33_2165:
	s_movk_i32 s4, 0x80
	v_cmp_eq_u16_e32 vcc, s4, v11
	s_mov_b64 s[4:5], -1
                                        ; implicit-def: $sgpr10
	s_and_saveexec_b64 s[8:9], vcc
; %bb.2166:
	s_mov_b32 s10, 0x7f800001
	s_xor_b64 s[4:5], exec, -1
; %bb.2167:
	s_or_b64 exec, exec, s[8:9]
	s_and_b64 s[4:5], s[4:5], exec
                                        ; implicit-def: $vgpr11
	s_or_saveexec_b64 s[6:7], s[6:7]
	v_mov_b32_e32 v12, s10
	s_xor_b64 exec, exec, s[6:7]
	s_cbranch_execz .LBB33_118
.LBB33_2168:
	v_cmp_ne_u16_e32 vcc, 0, v11
	s_andn2_b64 s[4:5], s[4:5], exec
	s_and_b64 s[8:9], vcc, exec
	v_mov_b32_e32 v12, 0
	s_or_b64 s[4:5], s[4:5], s[8:9]
	s_or_b64 exec, exec, s[6:7]
	s_and_saveexec_b64 s[6:7], s[4:5]
	s_cbranch_execnz .LBB33_119
	s_branch .LBB33_120
.LBB33_2169:
	s_movk_i32 s4, 0x80
	v_cmp_eq_u16_sdwa s[12:13], v17, s4 src0_sel:BYTE_3 src1_sel:DWORD
	s_mov_b64 s[4:5], -1
                                        ; implicit-def: $sgpr10
	s_and_saveexec_b64 s[8:9], s[12:13]
; %bb.2170:
	s_mov_b32 s10, 0x7f800001
	s_xor_b64 s[4:5], exec, -1
; %bb.2171:
	s_or_b64 exec, exec, s[8:9]
	s_and_b64 s[4:5], s[4:5], exec
	s_or_saveexec_b64 s[6:7], s[6:7]
	v_mov_b32_e32 v10, s10
	s_xor_b64 exec, exec, s[6:7]
	s_cbranch_execz .LBB33_122
.LBB33_2172:
	v_mov_b32_e32 v10, 0
	v_cmp_ne_u16_sdwa s[8:9], v17, v10 src0_sel:BYTE_3 src1_sel:DWORD
	s_andn2_b64 s[4:5], s[4:5], exec
	s_and_b64 s[8:9], s[8:9], exec
	s_or_b64 s[4:5], s[4:5], s[8:9]
	s_or_b64 exec, exec, s[6:7]
	s_and_saveexec_b64 s[6:7], s[4:5]
	s_cbranch_execnz .LBB33_123
	s_branch .LBB33_124
.LBB33_2173:
	s_movk_i32 s4, 0x80
	v_cmp_eq_u16_sdwa s[12:13], v13, s4 src0_sel:BYTE_3 src1_sel:DWORD
	s_mov_b64 s[4:5], -1
                                        ; implicit-def: $sgpr10
	s_and_saveexec_b64 s[8:9], s[12:13]
; %bb.2174:
	s_mov_b32 s10, 0x7f800001
	s_xor_b64 s[4:5], exec, -1
; %bb.2175:
	s_or_b64 exec, exec, s[8:9]
	s_and_b64 s[4:5], s[4:5], exec
	s_or_saveexec_b64 s[6:7], s[6:7]
	v_mov_b32_e32 v11, s10
	s_xor_b64 exec, exec, s[6:7]
	s_cbranch_execz .LBB33_126
.LBB33_2176:
	v_mov_b32_e32 v11, 0
	v_cmp_ne_u16_sdwa s[8:9], v13, v11 src0_sel:BYTE_3 src1_sel:DWORD
	s_andn2_b64 s[4:5], s[4:5], exec
	s_and_b64 s[8:9], s[8:9], exec
	s_or_b64 s[4:5], s[4:5], s[8:9]
	s_or_b64 exec, exec, s[6:7]
	s_and_saveexec_b64 s[6:7], s[4:5]
	s_cbranch_execnz .LBB33_127
	s_branch .LBB33_128
.LBB33_2177:
	s_movk_i32 s4, 0x80
	v_cmp_eq_u16_sdwa s[12:13], v6, s4 src0_sel:BYTE_0 src1_sel:DWORD
	s_mov_b64 s[4:5], -1
                                        ; implicit-def: $sgpr10
	s_and_saveexec_b64 s[8:9], s[12:13]
; %bb.2178:
	s_mov_b32 s10, 0x7f800001
	s_xor_b64 s[4:5], exec, -1
; %bb.2179:
	s_or_b64 exec, exec, s[8:9]
	s_and_b64 s[4:5], s[4:5], exec
	s_or_saveexec_b64 s[6:7], s[6:7]
	v_mov_b32_e32 v10, s10
	s_xor_b64 exec, exec, s[6:7]
	s_cbranch_execz .LBB33_130
.LBB33_2180:
	v_mov_b32_e32 v10, 0
	v_cmp_ne_u16_sdwa s[8:9], v6, v10 src0_sel:BYTE_0 src1_sel:DWORD
	s_andn2_b64 s[4:5], s[4:5], exec
	s_and_b64 s[8:9], s[8:9], exec
	s_or_b64 s[4:5], s[4:5], s[8:9]
	s_or_b64 exec, exec, s[6:7]
	s_and_saveexec_b64 s[6:7], s[4:5]
	s_cbranch_execnz .LBB33_131
	s_branch .LBB33_132
.LBB33_2181:
	s_movk_i32 s4, 0x80
	v_cmp_eq_u16_sdwa s[12:13], v2, s4 src0_sel:BYTE_0 src1_sel:DWORD
	s_mov_b64 s[4:5], -1
                                        ; implicit-def: $sgpr10
	s_and_saveexec_b64 s[8:9], s[12:13]
; %bb.2182:
	s_mov_b32 s10, 0x7f800001
	s_xor_b64 s[4:5], exec, -1
; %bb.2183:
	s_or_b64 exec, exec, s[8:9]
	s_and_b64 s[4:5], s[4:5], exec
	s_or_saveexec_b64 s[6:7], s[6:7]
	v_mov_b32_e32 v11, s10
	s_xor_b64 exec, exec, s[6:7]
	s_cbranch_execz .LBB33_134
.LBB33_2184:
	v_mov_b32_e32 v11, 0
	v_cmp_ne_u16_sdwa s[8:9], v2, v11 src0_sel:BYTE_0 src1_sel:DWORD
	s_andn2_b64 s[4:5], s[4:5], exec
	s_and_b64 s[8:9], s[8:9], exec
	s_or_b64 s[4:5], s[4:5], s[8:9]
	s_or_b64 exec, exec, s[6:7]
	s_and_saveexec_b64 s[6:7], s[4:5]
	s_cbranch_execnz .LBB33_135
	s_branch .LBB33_136
.LBB33_2185:
	s_movk_i32 s4, 0x80
	v_cmp_eq_u16_sdwa s[12:13], v11, s4 src0_sel:BYTE_0 src1_sel:DWORD
	s_mov_b64 s[4:5], -1
                                        ; implicit-def: $sgpr10
	s_and_saveexec_b64 s[8:9], s[12:13]
; %bb.2186:
	s_mov_b32 s10, 0x7f800001
	s_xor_b64 s[4:5], exec, -1
; %bb.2187:
	s_or_b64 exec, exec, s[8:9]
	s_and_b64 s[4:5], s[4:5], exec
	s_or_saveexec_b64 s[6:7], s[6:7]
	v_mov_b32_e32 v10, s10
	s_xor_b64 exec, exec, s[6:7]
	s_cbranch_execz .LBB33_138
.LBB33_2188:
	v_mov_b32_e32 v10, 0
	v_cmp_ne_u16_sdwa s[8:9], v11, v10 src0_sel:BYTE_0 src1_sel:DWORD
	s_andn2_b64 s[4:5], s[4:5], exec
	s_and_b64 s[8:9], s[8:9], exec
	s_or_b64 s[4:5], s[4:5], s[8:9]
	s_or_b64 exec, exec, s[6:7]
	s_and_saveexec_b64 s[6:7], s[4:5]
	s_cbranch_execnz .LBB33_139
	s_branch .LBB33_140
.LBB33_2189:
	s_movk_i32 s4, 0x80
	v_cmp_eq_u16_sdwa s[12:13], v11, s4 src0_sel:BYTE_0 src1_sel:DWORD
	s_mov_b64 s[4:5], -1
                                        ; implicit-def: $sgpr10
	s_and_saveexec_b64 s[8:9], s[12:13]
; %bb.2190:
	s_mov_b32 s10, 0x7f800001
	s_xor_b64 s[4:5], exec, -1
; %bb.2191:
	s_or_b64 exec, exec, s[8:9]
	s_and_b64 s[4:5], s[4:5], exec
	s_or_saveexec_b64 s[6:7], s[6:7]
	v_mov_b32_e32 v12, s10
	s_xor_b64 exec, exec, s[6:7]
	s_cbranch_execz .LBB33_142
.LBB33_2192:
	v_mov_b32_e32 v12, 0
	v_cmp_ne_u16_sdwa s[8:9], v11, v12 src0_sel:BYTE_0 src1_sel:DWORD
	s_andn2_b64 s[4:5], s[4:5], exec
	s_and_b64 s[8:9], s[8:9], exec
	s_or_b64 s[4:5], s[4:5], s[8:9]
	s_or_b64 exec, exec, s[6:7]
	s_and_saveexec_b64 s[6:7], s[4:5]
	s_cbranch_execnz .LBB33_143
	s_branch .LBB33_144
.LBB33_2193:
	s_movk_i32 s4, 0x80
	v_cmp_eq_u16_e32 vcc, s4, v11
	s_mov_b64 s[4:5], -1
                                        ; implicit-def: $sgpr10
	s_and_saveexec_b64 s[8:9], vcc
; %bb.2194:
	s_mov_b32 s10, 0x7f800001
	s_xor_b64 s[4:5], exec, -1
; %bb.2195:
	s_or_b64 exec, exec, s[8:9]
	s_and_b64 s[4:5], s[4:5], exec
                                        ; implicit-def: $vgpr11
	s_or_saveexec_b64 s[6:7], s[6:7]
	v_mov_b32_e32 v10, s10
	s_xor_b64 exec, exec, s[6:7]
	s_cbranch_execz .LBB33_146
.LBB33_2196:
	v_cmp_ne_u16_e32 vcc, 0, v11
	s_andn2_b64 s[4:5], s[4:5], exec
	s_and_b64 s[8:9], vcc, exec
	v_mov_b32_e32 v10, 0
	s_or_b64 s[4:5], s[4:5], s[8:9]
	s_or_b64 exec, exec, s[6:7]
	s_and_saveexec_b64 s[6:7], s[4:5]
	s_cbranch_execnz .LBB33_147
	s_branch .LBB33_148
.LBB33_2197:
	s_movk_i32 s4, 0x80
	v_cmp_eq_u16_e32 vcc, s4, v11
	s_mov_b64 s[4:5], -1
                                        ; implicit-def: $sgpr10
	s_and_saveexec_b64 s[8:9], vcc
; %bb.2198:
	s_mov_b32 s10, 0x7f800001
	s_xor_b64 s[4:5], exec, -1
; %bb.2199:
	s_or_b64 exec, exec, s[8:9]
	s_and_b64 s[4:5], s[4:5], exec
                                        ; implicit-def: $vgpr11
	s_or_saveexec_b64 s[6:7], s[6:7]
	v_mov_b32_e32 v12, s10
	s_xor_b64 exec, exec, s[6:7]
	s_cbranch_execz .LBB33_150
.LBB33_2200:
	v_cmp_ne_u16_e32 vcc, 0, v11
	s_andn2_b64 s[4:5], s[4:5], exec
	s_and_b64 s[8:9], vcc, exec
	v_mov_b32_e32 v12, 0
	s_or_b64 s[4:5], s[4:5], s[8:9]
	s_or_b64 exec, exec, s[6:7]
	s_and_saveexec_b64 s[6:7], s[4:5]
	s_cbranch_execnz .LBB33_151
	s_branch .LBB33_152
.LBB33_2201:
	s_movk_i32 s4, 0x80
	v_cmp_eq_u16_sdwa s[12:13], v6, s4 src0_sel:BYTE_3 src1_sel:DWORD
	s_mov_b64 s[4:5], -1
                                        ; implicit-def: $sgpr10
	s_and_saveexec_b64 s[8:9], s[12:13]
; %bb.2202:
	s_mov_b32 s10, 0x7f800001
	s_xor_b64 s[4:5], exec, -1
; %bb.2203:
	s_or_b64 exec, exec, s[8:9]
	s_and_b64 s[4:5], s[4:5], exec
	s_or_saveexec_b64 s[6:7], s[6:7]
	v_mov_b32_e32 v10, s10
	s_xor_b64 exec, exec, s[6:7]
	s_cbranch_execz .LBB33_154
.LBB33_2204:
	v_mov_b32_e32 v10, 0
	v_cmp_ne_u16_sdwa s[8:9], v6, v10 src0_sel:BYTE_3 src1_sel:DWORD
	s_andn2_b64 s[4:5], s[4:5], exec
	s_and_b64 s[8:9], s[8:9], exec
	s_or_b64 s[4:5], s[4:5], s[8:9]
	s_or_b64 exec, exec, s[6:7]
	s_and_saveexec_b64 s[6:7], s[4:5]
	s_cbranch_execnz .LBB33_155
	s_branch .LBB33_156
.LBB33_2205:
	s_movk_i32 s4, 0x80
	v_cmp_eq_u16_sdwa s[12:13], v2, s4 src0_sel:BYTE_3 src1_sel:DWORD
	s_mov_b64 s[4:5], -1
                                        ; implicit-def: $sgpr10
	s_and_saveexec_b64 s[8:9], s[12:13]
; %bb.2206:
	s_mov_b32 s10, 0x7f800001
	s_xor_b64 s[4:5], exec, -1
; %bb.2207:
	s_or_b64 exec, exec, s[8:9]
	s_and_b64 s[4:5], s[4:5], exec
	s_or_saveexec_b64 s[6:7], s[6:7]
	v_mov_b32_e32 v6, s10
	s_xor_b64 exec, exec, s[6:7]
	s_cbranch_execz .LBB33_158
.LBB33_2208:
	v_mov_b32_e32 v6, 0
	v_cmp_ne_u16_sdwa s[8:9], v2, v6 src0_sel:BYTE_3 src1_sel:DWORD
	s_andn2_b64 s[4:5], s[4:5], exec
	s_and_b64 s[8:9], s[8:9], exec
	s_or_b64 s[4:5], s[4:5], s[8:9]
	s_or_b64 exec, exec, s[6:7]
	s_and_saveexec_b64 s[6:7], s[4:5]
	s_cbranch_execnz .LBB33_159
	s_branch .LBB33_160
.LBB33_2209:
	s_movk_i32 s4, 0x80
	v_cmp_eq_u16_sdwa s[12:13], v7, s4 src0_sel:BYTE_0 src1_sel:DWORD
	s_mov_b64 s[4:5], -1
                                        ; implicit-def: $sgpr10
	s_and_saveexec_b64 s[8:9], s[12:13]
; %bb.2210:
	s_mov_b32 s10, 0x7f800001
	s_xor_b64 s[4:5], exec, -1
; %bb.2211:
	s_or_b64 exec, exec, s[8:9]
	s_and_b64 s[4:5], s[4:5], exec
	s_or_saveexec_b64 s[6:7], s[6:7]
	v_mov_b32_e32 v2, s10
	s_xor_b64 exec, exec, s[6:7]
	s_cbranch_execz .LBB33_162
.LBB33_2212:
	v_mov_b32_e32 v2, 0
	v_cmp_ne_u16_sdwa s[8:9], v7, v2 src0_sel:BYTE_0 src1_sel:DWORD
	s_andn2_b64 s[4:5], s[4:5], exec
	s_and_b64 s[8:9], s[8:9], exec
	s_or_b64 s[4:5], s[4:5], s[8:9]
	s_or_b64 exec, exec, s[6:7]
	s_and_saveexec_b64 s[6:7], s[4:5]
	s_cbranch_execnz .LBB33_163
	s_branch .LBB33_164
.LBB33_2213:
	s_movk_i32 s4, 0x80
	v_cmp_eq_u16_sdwa s[12:13], v3, s4 src0_sel:BYTE_0 src1_sel:DWORD
	s_mov_b64 s[4:5], -1
                                        ; implicit-def: $sgpr10
	s_and_saveexec_b64 s[8:9], s[12:13]
; %bb.2214:
	s_mov_b32 s10, 0x7f800001
	s_xor_b64 s[4:5], exec, -1
; %bb.2215:
	s_or_b64 exec, exec, s[8:9]
	s_and_b64 s[4:5], s[4:5], exec
	s_or_saveexec_b64 s[6:7], s[6:7]
	v_mov_b32_e32 v6, s10
	s_xor_b64 exec, exec, s[6:7]
	s_cbranch_execz .LBB33_166
.LBB33_2216:
	v_mov_b32_e32 v6, 0
	v_cmp_ne_u16_sdwa s[8:9], v3, v6 src0_sel:BYTE_0 src1_sel:DWORD
	s_andn2_b64 s[4:5], s[4:5], exec
	s_and_b64 s[8:9], s[8:9], exec
	s_or_b64 s[4:5], s[4:5], s[8:9]
	s_or_b64 exec, exec, s[6:7]
	s_and_saveexec_b64 s[6:7], s[4:5]
	s_cbranch_execnz .LBB33_167
	s_branch .LBB33_168
.LBB33_2217:
	s_movk_i32 s4, 0x80
	v_cmp_eq_u16_sdwa s[12:13], v6, s4 src0_sel:BYTE_0 src1_sel:DWORD
	s_mov_b64 s[4:5], -1
                                        ; implicit-def: $sgpr10
	s_and_saveexec_b64 s[8:9], s[12:13]
; %bb.2218:
	s_mov_b32 s10, 0x7f800001
	s_xor_b64 s[4:5], exec, -1
; %bb.2219:
	s_or_b64 exec, exec, s[8:9]
	s_and_b64 s[4:5], s[4:5], exec
	s_or_saveexec_b64 s[6:7], s[6:7]
	v_mov_b32_e32 v2, s10
	s_xor_b64 exec, exec, s[6:7]
	s_cbranch_execz .LBB33_170
.LBB33_2220:
	v_mov_b32_e32 v2, 0
	v_cmp_ne_u16_sdwa s[8:9], v6, v2 src0_sel:BYTE_0 src1_sel:DWORD
	s_andn2_b64 s[4:5], s[4:5], exec
	s_and_b64 s[8:9], s[8:9], exec
	s_or_b64 s[4:5], s[4:5], s[8:9]
	s_or_b64 exec, exec, s[6:7]
	s_and_saveexec_b64 s[6:7], s[4:5]
	s_cbranch_execnz .LBB33_171
	s_branch .LBB33_172
.LBB33_2221:
	s_movk_i32 s4, 0x80
	v_cmp_eq_u16_sdwa s[12:13], v6, s4 src0_sel:BYTE_0 src1_sel:DWORD
	s_mov_b64 s[4:5], -1
                                        ; implicit-def: $sgpr10
	s_and_saveexec_b64 s[8:9], s[12:13]
; %bb.2222:
	s_mov_b32 s10, 0x7f800001
	s_xor_b64 s[4:5], exec, -1
; %bb.2223:
	s_or_b64 exec, exec, s[8:9]
	s_and_b64 s[4:5], s[4:5], exec
	s_or_saveexec_b64 s[6:7], s[6:7]
	v_mov_b32_e32 v10, s10
	s_xor_b64 exec, exec, s[6:7]
	s_cbranch_execz .LBB33_174
.LBB33_2224:
	v_mov_b32_e32 v10, 0
	v_cmp_ne_u16_sdwa s[8:9], v6, v10 src0_sel:BYTE_0 src1_sel:DWORD
	s_andn2_b64 s[4:5], s[4:5], exec
	s_and_b64 s[8:9], s[8:9], exec
	s_or_b64 s[4:5], s[4:5], s[8:9]
	s_or_b64 exec, exec, s[6:7]
	s_and_saveexec_b64 s[6:7], s[4:5]
	s_cbranch_execnz .LBB33_175
	s_branch .LBB33_176
.LBB33_2225:
	s_movk_i32 s4, 0x80
	v_cmp_eq_u16_e32 vcc, s4, v6
	s_mov_b64 s[4:5], -1
                                        ; implicit-def: $sgpr10
	s_and_saveexec_b64 s[8:9], vcc
; %bb.2226:
	s_mov_b32 s10, 0x7f800001
	s_xor_b64 s[4:5], exec, -1
; %bb.2227:
	s_or_b64 exec, exec, s[8:9]
	s_and_b64 s[4:5], s[4:5], exec
                                        ; implicit-def: $vgpr6
	s_or_saveexec_b64 s[6:7], s[6:7]
	v_mov_b32_e32 v2, s10
	s_xor_b64 exec, exec, s[6:7]
	s_cbranch_execz .LBB33_178
.LBB33_2228:
	v_cmp_ne_u16_e32 vcc, 0, v6
	s_andn2_b64 s[4:5], s[4:5], exec
	s_and_b64 s[8:9], vcc, exec
	v_mov_b32_e32 v2, 0
	s_or_b64 s[4:5], s[4:5], s[8:9]
	s_or_b64 exec, exec, s[6:7]
	s_and_saveexec_b64 s[6:7], s[4:5]
	s_cbranch_execnz .LBB33_179
	s_branch .LBB33_180
.LBB33_2229:
	s_movk_i32 s4, 0x80
	v_cmp_eq_u16_e32 vcc, s4, v6
	s_mov_b64 s[4:5], -1
                                        ; implicit-def: $sgpr10
	s_and_saveexec_b64 s[8:9], vcc
; %bb.2230:
	s_mov_b32 s10, 0x7f800001
	s_xor_b64 s[4:5], exec, -1
; %bb.2231:
	s_or_b64 exec, exec, s[8:9]
	s_and_b64 s[4:5], s[4:5], exec
                                        ; implicit-def: $vgpr6
	s_or_saveexec_b64 s[6:7], s[6:7]
	v_mov_b32_e32 v10, s10
	s_xor_b64 exec, exec, s[6:7]
	s_cbranch_execz .LBB33_182
.LBB33_2232:
	v_cmp_ne_u16_e32 vcc, 0, v6
	s_andn2_b64 s[4:5], s[4:5], exec
	s_and_b64 s[8:9], vcc, exec
	v_mov_b32_e32 v10, 0
	s_or_b64 s[4:5], s[4:5], s[8:9]
	s_or_b64 exec, exec, s[6:7]
	s_and_saveexec_b64 s[6:7], s[4:5]
	s_cbranch_execnz .LBB33_183
	s_branch .LBB33_184
.LBB33_2233:
	s_movk_i32 s4, 0x80
	v_cmp_eq_u16_sdwa s[12:13], v7, s4 src0_sel:BYTE_3 src1_sel:DWORD
	s_mov_b64 s[4:5], -1
                                        ; implicit-def: $sgpr10
	s_and_saveexec_b64 s[8:9], s[12:13]
; %bb.2234:
	s_mov_b32 s10, 0x7f800001
	s_xor_b64 s[4:5], exec, -1
; %bb.2235:
	s_or_b64 exec, exec, s[8:9]
	s_and_b64 s[4:5], s[4:5], exec
	s_or_saveexec_b64 s[6:7], s[6:7]
	v_mov_b32_e32 v2, s10
	s_xor_b64 exec, exec, s[6:7]
	s_cbranch_execz .LBB33_186
.LBB33_2236:
	v_mov_b32_e32 v2, 0
	v_cmp_ne_u16_sdwa s[8:9], v7, v2 src0_sel:BYTE_3 src1_sel:DWORD
	s_andn2_b64 s[4:5], s[4:5], exec
	s_and_b64 s[8:9], s[8:9], exec
	s_or_b64 s[4:5], s[4:5], s[8:9]
	s_or_b64 exec, exec, s[6:7]
	s_and_saveexec_b64 s[6:7], s[4:5]
	s_cbranch_execnz .LBB33_187
	s_branch .LBB33_188
.LBB33_2237:
	s_movk_i32 s4, 0x80
	v_cmp_eq_u16_sdwa s[12:13], v3, s4 src0_sel:BYTE_3 src1_sel:DWORD
	s_mov_b64 s[4:5], -1
                                        ; implicit-def: $sgpr10
	s_and_saveexec_b64 s[8:9], s[12:13]
; %bb.2238:
	s_mov_b32 s10, 0x7f800001
	s_xor_b64 s[4:5], exec, -1
; %bb.2239:
	s_or_b64 exec, exec, s[8:9]
	s_and_b64 s[4:5], s[4:5], exec
	s_or_saveexec_b64 s[6:7], s[6:7]
	v_mov_b32_e32 v6, s10
	s_xor_b64 exec, exec, s[6:7]
	s_cbranch_execz .LBB33_190
.LBB33_2240:
	v_mov_b32_e32 v6, 0
	v_cmp_ne_u16_sdwa s[8:9], v3, v6 src0_sel:BYTE_3 src1_sel:DWORD
	s_andn2_b64 s[4:5], s[4:5], exec
	s_and_b64 s[8:9], s[8:9], exec
	s_or_b64 s[4:5], s[4:5], s[8:9]
	s_or_b64 exec, exec, s[6:7]
	s_and_saveexec_b64 s[6:7], s[4:5]
	s_cbranch_execnz .LBB33_191
	s_branch .LBB33_192
.LBB33_2241:
	s_movk_i32 s4, 0x80
	v_cmp_eq_u16_sdwa s[12:13], v8, s4 src0_sel:BYTE_0 src1_sel:DWORD
	s_mov_b64 s[4:5], -1
                                        ; implicit-def: $sgpr10
	s_and_saveexec_b64 s[8:9], s[12:13]
; %bb.2242:
	s_mov_b32 s10, 0x7f800001
	s_xor_b64 s[4:5], exec, -1
; %bb.2243:
	s_or_b64 exec, exec, s[8:9]
	s_and_b64 s[4:5], s[4:5], exec
	s_or_saveexec_b64 s[6:7], s[6:7]
	v_mov_b32_e32 v2, s10
	s_xor_b64 exec, exec, s[6:7]
	s_cbranch_execz .LBB33_194
.LBB33_2244:
	v_mov_b32_e32 v2, 0
	v_cmp_ne_u16_sdwa s[8:9], v8, v2 src0_sel:BYTE_0 src1_sel:DWORD
	s_andn2_b64 s[4:5], s[4:5], exec
	s_and_b64 s[8:9], s[8:9], exec
	s_or_b64 s[4:5], s[4:5], s[8:9]
	s_or_b64 exec, exec, s[6:7]
	s_and_saveexec_b64 s[6:7], s[4:5]
	s_cbranch_execnz .LBB33_195
	s_branch .LBB33_196
.LBB33_2245:
	s_movk_i32 s4, 0x80
	v_cmp_eq_u16_sdwa s[12:13], v4, s4 src0_sel:BYTE_0 src1_sel:DWORD
	s_mov_b64 s[4:5], -1
                                        ; implicit-def: $sgpr10
	s_and_saveexec_b64 s[8:9], s[12:13]
; %bb.2246:
	s_mov_b32 s10, 0x7f800001
	s_xor_b64 s[4:5], exec, -1
; %bb.2247:
	s_or_b64 exec, exec, s[8:9]
	s_and_b64 s[4:5], s[4:5], exec
	s_or_saveexec_b64 s[6:7], s[6:7]
	v_mov_b32_e32 v3, s10
	s_xor_b64 exec, exec, s[6:7]
	s_cbranch_execz .LBB33_198
.LBB33_2248:
	v_mov_b32_e32 v3, 0
	v_cmp_ne_u16_sdwa s[8:9], v4, v3 src0_sel:BYTE_0 src1_sel:DWORD
	s_andn2_b64 s[4:5], s[4:5], exec
	s_and_b64 s[8:9], s[8:9], exec
	s_or_b64 s[4:5], s[4:5], s[8:9]
	s_or_b64 exec, exec, s[6:7]
	s_and_saveexec_b64 s[6:7], s[4:5]
	s_cbranch_execnz .LBB33_199
	s_branch .LBB33_200
.LBB33_2249:
	s_movk_i32 s4, 0x80
	v_cmp_eq_u16_sdwa s[12:13], v3, s4 src0_sel:BYTE_0 src1_sel:DWORD
	s_mov_b64 s[4:5], -1
                                        ; implicit-def: $sgpr10
	s_and_saveexec_b64 s[8:9], s[12:13]
; %bb.2250:
	s_mov_b32 s10, 0x7f800001
	s_xor_b64 s[4:5], exec, -1
; %bb.2251:
	s_or_b64 exec, exec, s[8:9]
	s_and_b64 s[4:5], s[4:5], exec
	s_or_saveexec_b64 s[6:7], s[6:7]
	v_mov_b32_e32 v2, s10
	s_xor_b64 exec, exec, s[6:7]
	s_cbranch_execz .LBB33_202
.LBB33_2252:
	v_mov_b32_e32 v2, 0
	v_cmp_ne_u16_sdwa s[8:9], v3, v2 src0_sel:BYTE_0 src1_sel:DWORD
	s_andn2_b64 s[4:5], s[4:5], exec
	s_and_b64 s[8:9], s[8:9], exec
	s_or_b64 s[4:5], s[4:5], s[8:9]
	s_or_b64 exec, exec, s[6:7]
	s_and_saveexec_b64 s[6:7], s[4:5]
	s_cbranch_execnz .LBB33_203
	s_branch .LBB33_204
.LBB33_2253:
	s_movk_i32 s4, 0x80
	v_cmp_eq_u16_sdwa s[12:13], v3, s4 src0_sel:BYTE_0 src1_sel:DWORD
	s_mov_b64 s[4:5], -1
                                        ; implicit-def: $sgpr10
	s_and_saveexec_b64 s[8:9], s[12:13]
; %bb.2254:
	s_mov_b32 s10, 0x7f800001
	s_xor_b64 s[4:5], exec, -1
; %bb.2255:
	s_or_b64 exec, exec, s[8:9]
	s_and_b64 s[4:5], s[4:5], exec
	s_or_saveexec_b64 s[6:7], s[6:7]
	v_mov_b32_e32 v6, s10
	s_xor_b64 exec, exec, s[6:7]
	s_cbranch_execz .LBB33_206
.LBB33_2256:
	v_mov_b32_e32 v6, 0
	v_cmp_ne_u16_sdwa s[8:9], v3, v6 src0_sel:BYTE_0 src1_sel:DWORD
	s_andn2_b64 s[4:5], s[4:5], exec
	s_and_b64 s[8:9], s[8:9], exec
	s_or_b64 s[4:5], s[4:5], s[8:9]
	s_or_b64 exec, exec, s[6:7]
	s_and_saveexec_b64 s[6:7], s[4:5]
	s_cbranch_execnz .LBB33_207
	s_branch .LBB33_208
.LBB33_2257:
	s_movk_i32 s4, 0x80
	v_cmp_eq_u16_e32 vcc, s4, v3
	s_mov_b64 s[4:5], -1
                                        ; implicit-def: $sgpr10
	s_and_saveexec_b64 s[8:9], vcc
; %bb.2258:
	s_mov_b32 s10, 0x7f800001
	s_xor_b64 s[4:5], exec, -1
; %bb.2259:
	s_or_b64 exec, exec, s[8:9]
	s_and_b64 s[4:5], s[4:5], exec
                                        ; implicit-def: $vgpr3
	s_or_saveexec_b64 s[6:7], s[6:7]
	v_mov_b32_e32 v2, s10
	s_xor_b64 exec, exec, s[6:7]
	s_cbranch_execz .LBB33_210
.LBB33_2260:
	v_cmp_ne_u16_e32 vcc, 0, v3
	s_andn2_b64 s[4:5], s[4:5], exec
	s_and_b64 s[8:9], vcc, exec
	v_mov_b32_e32 v2, 0
	s_or_b64 s[4:5], s[4:5], s[8:9]
	s_or_b64 exec, exec, s[6:7]
	s_and_saveexec_b64 s[6:7], s[4:5]
	s_cbranch_execnz .LBB33_211
	s_branch .LBB33_212
.LBB33_2261:
	s_movk_i32 s4, 0x80
	v_cmp_eq_u16_e32 vcc, s4, v3
	s_mov_b64 s[4:5], -1
                                        ; implicit-def: $sgpr10
	s_and_saveexec_b64 s[8:9], vcc
; %bb.2262:
	s_mov_b32 s10, 0x7f800001
	s_xor_b64 s[4:5], exec, -1
; %bb.2263:
	s_or_b64 exec, exec, s[8:9]
	s_and_b64 s[4:5], s[4:5], exec
                                        ; implicit-def: $vgpr3
	s_or_saveexec_b64 s[6:7], s[6:7]
	v_mov_b32_e32 v6, s10
	s_xor_b64 exec, exec, s[6:7]
	s_cbranch_execz .LBB33_214
.LBB33_2264:
	v_cmp_ne_u16_e32 vcc, 0, v3
	s_andn2_b64 s[4:5], s[4:5], exec
	s_and_b64 s[8:9], vcc, exec
	v_mov_b32_e32 v6, 0
	s_or_b64 s[4:5], s[4:5], s[8:9]
	s_or_b64 exec, exec, s[6:7]
	s_and_saveexec_b64 s[6:7], s[4:5]
	s_cbranch_execnz .LBB33_215
	s_branch .LBB33_216
.LBB33_2265:
	s_movk_i32 s4, 0x80
	v_cmp_eq_u16_sdwa s[12:13], v8, s4 src0_sel:BYTE_3 src1_sel:DWORD
	s_mov_b64 s[4:5], -1
                                        ; implicit-def: $sgpr10
	s_and_saveexec_b64 s[8:9], s[12:13]
; %bb.2266:
	s_mov_b32 s10, 0x7f800001
	s_xor_b64 s[4:5], exec, -1
; %bb.2267:
	s_or_b64 exec, exec, s[8:9]
	s_and_b64 s[4:5], s[4:5], exec
	s_or_saveexec_b64 s[6:7], s[6:7]
	v_mov_b32_e32 v2, s10
	s_xor_b64 exec, exec, s[6:7]
	s_cbranch_execz .LBB33_218
.LBB33_2268:
	v_mov_b32_e32 v2, 0
	v_cmp_ne_u16_sdwa s[8:9], v8, v2 src0_sel:BYTE_3 src1_sel:DWORD
	s_andn2_b64 s[4:5], s[4:5], exec
	s_and_b64 s[8:9], s[8:9], exec
	s_or_b64 s[4:5], s[4:5], s[8:9]
	s_or_b64 exec, exec, s[6:7]
	s_and_saveexec_b64 s[6:7], s[4:5]
	s_cbranch_execnz .LBB33_219
	s_branch .LBB33_220
.LBB33_2269:
	s_movk_i32 s4, 0x80
	v_cmp_eq_u16_sdwa s[12:13], v4, s4 src0_sel:BYTE_3 src1_sel:DWORD
	s_mov_b64 s[4:5], -1
                                        ; implicit-def: $sgpr10
	s_and_saveexec_b64 s[8:9], s[12:13]
; %bb.2270:
	s_mov_b32 s10, 0x7f800001
	s_xor_b64 s[4:5], exec, -1
; %bb.2271:
	s_or_b64 exec, exec, s[8:9]
	s_and_b64 s[4:5], s[4:5], exec
	s_or_saveexec_b64 s[6:7], s[6:7]
	v_mov_b32_e32 v3, s10
	s_xor_b64 exec, exec, s[6:7]
	s_cbranch_execz .LBB33_222
.LBB33_2272:
	v_mov_b32_e32 v3, 0
	v_cmp_ne_u16_sdwa s[8:9], v4, v3 src0_sel:BYTE_3 src1_sel:DWORD
	s_andn2_b64 s[4:5], s[4:5], exec
	s_and_b64 s[8:9], s[8:9], exec
	s_or_b64 s[4:5], s[4:5], s[8:9]
	s_or_b64 exec, exec, s[6:7]
	s_and_saveexec_b64 s[6:7], s[4:5]
	s_cbranch_execnz .LBB33_223
	s_branch .LBB33_224
.LBB33_2273:
	s_movk_i32 s4, 0x80
	v_cmp_eq_u16_sdwa s[12:13], v9, s4 src0_sel:BYTE_0 src1_sel:DWORD
	s_mov_b64 s[4:5], -1
                                        ; implicit-def: $sgpr10
	s_and_saveexec_b64 s[8:9], s[12:13]
; %bb.2274:
	s_mov_b32 s10, 0x7f800001
	s_xor_b64 s[4:5], exec, -1
; %bb.2275:
	s_or_b64 exec, exec, s[8:9]
	s_and_b64 s[4:5], s[4:5], exec
	s_or_saveexec_b64 s[6:7], s[6:7]
	v_mov_b32_e32 v2, s10
	s_xor_b64 exec, exec, s[6:7]
	s_cbranch_execz .LBB33_226
.LBB33_2276:
	v_mov_b32_e32 v2, 0
	v_cmp_ne_u16_sdwa s[8:9], v9, v2 src0_sel:BYTE_0 src1_sel:DWORD
	s_andn2_b64 s[4:5], s[4:5], exec
	s_and_b64 s[8:9], s[8:9], exec
	s_or_b64 s[4:5], s[4:5], s[8:9]
	s_or_b64 exec, exec, s[6:7]
	s_and_saveexec_b64 s[6:7], s[4:5]
	s_cbranch_execnz .LBB33_227
	s_branch .LBB33_228
.LBB33_2277:
	s_movk_i32 s4, 0x80
	v_cmp_eq_u16_sdwa s[12:13], v5, s4 src0_sel:BYTE_0 src1_sel:DWORD
	s_mov_b64 s[4:5], -1
                                        ; implicit-def: $sgpr10
	s_and_saveexec_b64 s[8:9], s[12:13]
; %bb.2278:
	s_mov_b32 s10, 0x7f800001
	s_xor_b64 s[4:5], exec, -1
; %bb.2279:
	s_or_b64 exec, exec, s[8:9]
	s_and_b64 s[4:5], s[4:5], exec
	s_or_saveexec_b64 s[6:7], s[6:7]
	v_mov_b32_e32 v3, s10
	s_xor_b64 exec, exec, s[6:7]
	s_cbranch_execz .LBB33_230
.LBB33_2280:
	v_mov_b32_e32 v3, 0
	v_cmp_ne_u16_sdwa s[8:9], v5, v3 src0_sel:BYTE_0 src1_sel:DWORD
	s_andn2_b64 s[4:5], s[4:5], exec
	s_and_b64 s[8:9], s[8:9], exec
	s_or_b64 s[4:5], s[4:5], s[8:9]
	s_or_b64 exec, exec, s[6:7]
	s_and_saveexec_b64 s[6:7], s[4:5]
	s_cbranch_execnz .LBB33_231
	s_branch .LBB33_232
.LBB33_2281:
	s_movk_i32 s4, 0x80
	v_cmp_eq_u16_sdwa s[12:13], v3, s4 src0_sel:BYTE_0 src1_sel:DWORD
	s_mov_b64 s[4:5], -1
                                        ; implicit-def: $sgpr10
	s_and_saveexec_b64 s[8:9], s[12:13]
; %bb.2282:
	s_mov_b32 s10, 0x7f800001
	s_xor_b64 s[4:5], exec, -1
; %bb.2283:
	s_or_b64 exec, exec, s[8:9]
	s_and_b64 s[4:5], s[4:5], exec
	s_or_saveexec_b64 s[6:7], s[6:7]
	v_mov_b32_e32 v2, s10
	s_xor_b64 exec, exec, s[6:7]
	s_cbranch_execz .LBB33_234
.LBB33_2284:
	v_mov_b32_e32 v2, 0
	v_cmp_ne_u16_sdwa s[8:9], v3, v2 src0_sel:BYTE_0 src1_sel:DWORD
	s_andn2_b64 s[4:5], s[4:5], exec
	s_and_b64 s[8:9], s[8:9], exec
	s_or_b64 s[4:5], s[4:5], s[8:9]
	s_or_b64 exec, exec, s[6:7]
	s_and_saveexec_b64 s[6:7], s[4:5]
	s_cbranch_execnz .LBB33_235
	s_branch .LBB33_236
.LBB33_2285:
	s_movk_i32 s4, 0x80
	v_cmp_eq_u16_sdwa s[12:13], v3, s4 src0_sel:BYTE_0 src1_sel:DWORD
	s_mov_b64 s[4:5], -1
                                        ; implicit-def: $sgpr10
	s_and_saveexec_b64 s[8:9], s[12:13]
; %bb.2286:
	s_mov_b32 s10, 0x7f800001
	s_xor_b64 s[4:5], exec, -1
; %bb.2287:
	s_or_b64 exec, exec, s[8:9]
	s_and_b64 s[4:5], s[4:5], exec
	s_or_saveexec_b64 s[6:7], s[6:7]
	v_mov_b32_e32 v4, s10
	s_xor_b64 exec, exec, s[6:7]
	s_cbranch_execz .LBB33_238
.LBB33_2288:
	v_mov_b32_e32 v4, 0
	v_cmp_ne_u16_sdwa s[8:9], v3, v4 src0_sel:BYTE_0 src1_sel:DWORD
	s_andn2_b64 s[4:5], s[4:5], exec
	s_and_b64 s[8:9], s[8:9], exec
	s_or_b64 s[4:5], s[4:5], s[8:9]
	s_or_b64 exec, exec, s[6:7]
	s_and_saveexec_b64 s[6:7], s[4:5]
	s_cbranch_execnz .LBB33_239
	s_branch .LBB33_240
.LBB33_2289:
	s_movk_i32 s4, 0x80
	v_cmp_eq_u16_e32 vcc, s4, v3
	s_mov_b64 s[4:5], -1
                                        ; implicit-def: $sgpr10
	s_and_saveexec_b64 s[8:9], vcc
; %bb.2290:
	s_mov_b32 s10, 0x7f800001
	s_xor_b64 s[4:5], exec, -1
; %bb.2291:
	s_or_b64 exec, exec, s[8:9]
	s_and_b64 s[4:5], s[4:5], exec
                                        ; implicit-def: $vgpr3
	s_or_saveexec_b64 s[6:7], s[6:7]
	v_mov_b32_e32 v2, s10
	s_xor_b64 exec, exec, s[6:7]
	s_cbranch_execz .LBB33_242
.LBB33_2292:
	v_cmp_ne_u16_e32 vcc, 0, v3
	s_andn2_b64 s[4:5], s[4:5], exec
	s_and_b64 s[8:9], vcc, exec
	v_mov_b32_e32 v2, 0
	s_or_b64 s[4:5], s[4:5], s[8:9]
	s_or_b64 exec, exec, s[6:7]
	s_and_saveexec_b64 s[6:7], s[4:5]
	s_cbranch_execnz .LBB33_243
	s_branch .LBB33_244
.LBB33_2293:
	s_movk_i32 s4, 0x80
	v_cmp_eq_u16_e32 vcc, s4, v3
	s_mov_b64 s[4:5], -1
                                        ; implicit-def: $sgpr10
	s_and_saveexec_b64 s[8:9], vcc
; %bb.2294:
	s_mov_b32 s10, 0x7f800001
	s_xor_b64 s[4:5], exec, -1
; %bb.2295:
	s_or_b64 exec, exec, s[8:9]
	s_and_b64 s[4:5], s[4:5], exec
                                        ; implicit-def: $vgpr3
	s_or_saveexec_b64 s[6:7], s[6:7]
	v_mov_b32_e32 v4, s10
	s_xor_b64 exec, exec, s[6:7]
	s_cbranch_execz .LBB33_246
.LBB33_2296:
	v_cmp_ne_u16_e32 vcc, 0, v3
	s_andn2_b64 s[4:5], s[4:5], exec
	s_and_b64 s[8:9], vcc, exec
	v_mov_b32_e32 v4, 0
	s_or_b64 s[4:5], s[4:5], s[8:9]
	s_or_b64 exec, exec, s[6:7]
	s_and_saveexec_b64 s[6:7], s[4:5]
	s_cbranch_execnz .LBB33_247
	s_branch .LBB33_248
.LBB33_2297:
	s_movk_i32 s4, 0x80
	v_cmp_eq_u16_sdwa s[12:13], v9, s4 src0_sel:BYTE_3 src1_sel:DWORD
	s_mov_b64 s[4:5], -1
                                        ; implicit-def: $sgpr10
	s_and_saveexec_b64 s[8:9], s[12:13]
; %bb.2298:
	s_mov_b32 s10, 0x7f800001
	s_xor_b64 s[4:5], exec, -1
; %bb.2299:
	s_or_b64 exec, exec, s[8:9]
	s_and_b64 s[4:5], s[4:5], exec
	s_or_saveexec_b64 s[6:7], s[6:7]
	v_mov_b32_e32 v2, s10
	s_xor_b64 exec, exec, s[6:7]
	s_cbranch_execz .LBB33_250
.LBB33_2300:
	v_mov_b32_e32 v2, 0
	v_cmp_ne_u16_sdwa s[8:9], v9, v2 src0_sel:BYTE_3 src1_sel:DWORD
	s_andn2_b64 s[4:5], s[4:5], exec
	s_and_b64 s[8:9], s[8:9], exec
	s_or_b64 s[4:5], s[4:5], s[8:9]
	s_or_b64 exec, exec, s[6:7]
	s_and_saveexec_b64 s[6:7], s[4:5]
	s_cbranch_execnz .LBB33_251
	s_branch .LBB33_252
.LBB33_2301:
	s_movk_i32 s4, 0x80
	v_cmp_eq_u16_sdwa s[12:13], v5, s4 src0_sel:BYTE_3 src1_sel:DWORD
	s_mov_b64 s[4:5], -1
                                        ; implicit-def: $sgpr10
	s_and_saveexec_b64 s[8:9], s[12:13]
; %bb.2302:
	s_mov_b32 s10, 0x7f800001
	s_xor_b64 s[4:5], exec, -1
; %bb.2303:
	s_or_b64 exec, exec, s[8:9]
	s_and_b64 s[4:5], s[4:5], exec
	s_or_saveexec_b64 s[6:7], s[6:7]
	v_mov_b32_e32 v3, s10
	s_xor_b64 exec, exec, s[6:7]
	s_cbranch_execz .LBB33_254
.LBB33_2304:
	v_mov_b32_e32 v3, 0
	v_cmp_ne_u16_sdwa s[8:9], v5, v3 src0_sel:BYTE_3 src1_sel:DWORD
	s_andn2_b64 s[4:5], s[4:5], exec
	s_and_b64 s[8:9], s[8:9], exec
	s_or_b64 s[4:5], s[4:5], s[8:9]
	s_or_b64 exec, exec, s[6:7]
	s_and_saveexec_b64 s[6:7], s[4:5]
	s_cbranch_execnz .LBB33_255
	s_branch .LBB33_256
.LBB33_2305:
	s_movk_i32 s4, 0x80
	v_cmp_eq_u16_sdwa s[12:13], v14, s4 src0_sel:BYTE_0 src1_sel:DWORD
	s_mov_b64 s[4:5], -1
                                        ; implicit-def: $sgpr10
	s_and_saveexec_b64 s[8:9], s[12:13]
; %bb.2306:
	s_mov_b32 s10, 0x7f800001
	s_xor_b64 s[4:5], exec, -1
; %bb.2307:
	s_or_b64 exec, exec, s[8:9]
	s_and_b64 s[4:5], s[4:5], exec
	s_or_saveexec_b64 s[6:7], s[6:7]
	v_mov_b32_e32 v20, s10
	s_xor_b64 exec, exec, s[6:7]
	s_cbranch_execz .LBB33_258
.LBB33_2308:
	v_mov_b32_e32 v20, 0
	v_cmp_ne_u16_sdwa s[8:9], v14, v20 src0_sel:BYTE_0 src1_sel:DWORD
	s_andn2_b64 s[4:5], s[4:5], exec
	s_and_b64 s[8:9], s[8:9], exec
	s_or_b64 s[4:5], s[4:5], s[8:9]
	s_or_b64 exec, exec, s[6:7]
	s_and_saveexec_b64 s[6:7], s[4:5]
	s_cbranch_execnz .LBB33_259
	s_branch .LBB33_260
.LBB33_2309:
	s_movk_i32 s4, 0x80
	v_cmp_eq_u16_sdwa s[12:13], v10, s4 src0_sel:BYTE_0 src1_sel:DWORD
	s_mov_b64 s[4:5], -1
                                        ; implicit-def: $sgpr10
	s_and_saveexec_b64 s[8:9], s[12:13]
; %bb.2310:
	s_mov_b32 s10, 0x7f800001
	s_xor_b64 s[4:5], exec, -1
; %bb.2311:
	s_or_b64 exec, exec, s[8:9]
	s_and_b64 s[4:5], s[4:5], exec
	s_or_saveexec_b64 s[6:7], s[6:7]
	v_mov_b32_e32 v21, s10
	s_xor_b64 exec, exec, s[6:7]
	s_cbranch_execz .LBB33_262
.LBB33_2312:
	v_mov_b32_e32 v21, 0
	v_cmp_ne_u16_sdwa s[8:9], v10, v21 src0_sel:BYTE_0 src1_sel:DWORD
	s_andn2_b64 s[4:5], s[4:5], exec
	s_and_b64 s[8:9], s[8:9], exec
	s_or_b64 s[4:5], s[4:5], s[8:9]
	s_or_b64 exec, exec, s[6:7]
	s_and_saveexec_b64 s[6:7], s[4:5]
	s_cbranch_execnz .LBB33_263
	s_branch .LBB33_264
.LBB33_2313:
	s_movk_i32 s4, 0x80
	v_cmp_eq_u16_sdwa s[12:13], v21, s4 src0_sel:BYTE_0 src1_sel:DWORD
	s_mov_b64 s[4:5], -1
                                        ; implicit-def: $sgpr10
	s_and_saveexec_b64 s[8:9], s[12:13]
; %bb.2314:
	s_mov_b32 s10, 0x7f800001
	s_xor_b64 s[4:5], exec, -1
; %bb.2315:
	s_or_b64 exec, exec, s[8:9]
	s_and_b64 s[4:5], s[4:5], exec
	s_or_saveexec_b64 s[6:7], s[6:7]
	v_mov_b32_e32 v20, s10
	s_xor_b64 exec, exec, s[6:7]
	s_cbranch_execz .LBB33_266
.LBB33_2316:
	v_mov_b32_e32 v20, 0
	v_cmp_ne_u16_sdwa s[8:9], v21, v20 src0_sel:BYTE_0 src1_sel:DWORD
	s_andn2_b64 s[4:5], s[4:5], exec
	s_and_b64 s[8:9], s[8:9], exec
	s_or_b64 s[4:5], s[4:5], s[8:9]
	s_or_b64 exec, exec, s[6:7]
	s_and_saveexec_b64 s[6:7], s[4:5]
	s_cbranch_execnz .LBB33_267
	s_branch .LBB33_268
.LBB33_2317:
	s_movk_i32 s4, 0x80
	v_cmp_eq_u16_sdwa s[12:13], v21, s4 src0_sel:BYTE_0 src1_sel:DWORD
	s_mov_b64 s[4:5], -1
                                        ; implicit-def: $sgpr10
	s_and_saveexec_b64 s[8:9], s[12:13]
; %bb.2318:
	s_mov_b32 s10, 0x7f800001
	s_xor_b64 s[4:5], exec, -1
; %bb.2319:
	s_or_b64 exec, exec, s[8:9]
	s_and_b64 s[4:5], s[4:5], exec
	s_or_saveexec_b64 s[6:7], s[6:7]
	v_mov_b32_e32 v22, s10
	s_xor_b64 exec, exec, s[6:7]
	s_cbranch_execz .LBB33_270
.LBB33_2320:
	v_mov_b32_e32 v22, 0
	v_cmp_ne_u16_sdwa s[8:9], v21, v22 src0_sel:BYTE_0 src1_sel:DWORD
	s_andn2_b64 s[4:5], s[4:5], exec
	s_and_b64 s[8:9], s[8:9], exec
	s_or_b64 s[4:5], s[4:5], s[8:9]
	s_or_b64 exec, exec, s[6:7]
	s_and_saveexec_b64 s[6:7], s[4:5]
	s_cbranch_execnz .LBB33_271
	s_branch .LBB33_272
.LBB33_2321:
	s_movk_i32 s4, 0x80
	v_cmp_eq_u16_e32 vcc, s4, v21
	s_mov_b64 s[4:5], -1
                                        ; implicit-def: $sgpr10
	s_and_saveexec_b64 s[8:9], vcc
; %bb.2322:
	s_mov_b32 s10, 0x7f800001
	s_xor_b64 s[4:5], exec, -1
; %bb.2323:
	s_or_b64 exec, exec, s[8:9]
	s_and_b64 s[4:5], s[4:5], exec
                                        ; implicit-def: $vgpr21
	s_or_saveexec_b64 s[6:7], s[6:7]
	v_mov_b32_e32 v20, s10
	s_xor_b64 exec, exec, s[6:7]
	s_cbranch_execz .LBB33_274
.LBB33_2324:
	v_cmp_ne_u16_e32 vcc, 0, v21
	s_andn2_b64 s[4:5], s[4:5], exec
	s_and_b64 s[8:9], vcc, exec
	v_mov_b32_e32 v20, 0
	s_or_b64 s[4:5], s[4:5], s[8:9]
	s_or_b64 exec, exec, s[6:7]
	s_and_saveexec_b64 s[6:7], s[4:5]
	s_cbranch_execnz .LBB33_275
	s_branch .LBB33_276
.LBB33_2325:
	s_movk_i32 s4, 0x80
	v_cmp_eq_u16_e32 vcc, s4, v21
	s_mov_b64 s[4:5], -1
                                        ; implicit-def: $sgpr10
	s_and_saveexec_b64 s[8:9], vcc
; %bb.2326:
	s_mov_b32 s10, 0x7f800001
	s_xor_b64 s[4:5], exec, -1
; %bb.2327:
	s_or_b64 exec, exec, s[8:9]
	s_and_b64 s[4:5], s[4:5], exec
                                        ; implicit-def: $vgpr21
	s_or_saveexec_b64 s[6:7], s[6:7]
	v_mov_b32_e32 v22, s10
	s_xor_b64 exec, exec, s[6:7]
	s_cbranch_execz .LBB33_278
.LBB33_2328:
	v_cmp_ne_u16_e32 vcc, 0, v21
	s_andn2_b64 s[4:5], s[4:5], exec
	s_and_b64 s[8:9], vcc, exec
	v_mov_b32_e32 v22, 0
	s_or_b64 s[4:5], s[4:5], s[8:9]
	s_or_b64 exec, exec, s[6:7]
	s_and_saveexec_b64 s[6:7], s[4:5]
	s_cbranch_execnz .LBB33_279
	s_branch .LBB33_280
.LBB33_2329:
	s_movk_i32 s4, 0x80
	v_cmp_eq_u16_sdwa s[12:13], v14, s4 src0_sel:BYTE_3 src1_sel:DWORD
	s_mov_b64 s[4:5], -1
                                        ; implicit-def: $sgpr10
	s_and_saveexec_b64 s[8:9], s[12:13]
; %bb.2330:
	s_mov_b32 s10, 0x7f800001
	s_xor_b64 s[4:5], exec, -1
; %bb.2331:
	s_or_b64 exec, exec, s[8:9]
	s_and_b64 s[4:5], s[4:5], exec
	s_or_saveexec_b64 s[6:7], s[6:7]
	v_mov_b32_e32 v20, s10
	s_xor_b64 exec, exec, s[6:7]
	s_cbranch_execz .LBB33_282
.LBB33_2332:
	v_mov_b32_e32 v20, 0
	v_cmp_ne_u16_sdwa s[8:9], v14, v20 src0_sel:BYTE_3 src1_sel:DWORD
	s_andn2_b64 s[4:5], s[4:5], exec
	s_and_b64 s[8:9], s[8:9], exec
	s_or_b64 s[4:5], s[4:5], s[8:9]
	s_or_b64 exec, exec, s[6:7]
	s_and_saveexec_b64 s[6:7], s[4:5]
	s_cbranch_execnz .LBB33_283
	s_branch .LBB33_284
.LBB33_2333:
	s_movk_i32 s4, 0x80
	v_cmp_eq_u16_sdwa s[12:13], v10, s4 src0_sel:BYTE_3 src1_sel:DWORD
	s_mov_b64 s[4:5], -1
                                        ; implicit-def: $sgpr10
	s_and_saveexec_b64 s[8:9], s[12:13]
; %bb.2334:
	s_mov_b32 s10, 0x7f800001
	s_xor_b64 s[4:5], exec, -1
; %bb.2335:
	s_or_b64 exec, exec, s[8:9]
	s_and_b64 s[4:5], s[4:5], exec
	s_or_saveexec_b64 s[6:7], s[6:7]
	v_mov_b32_e32 v14, s10
	s_xor_b64 exec, exec, s[6:7]
	s_cbranch_execz .LBB33_286
.LBB33_2336:
	v_mov_b32_e32 v14, 0
	v_cmp_ne_u16_sdwa s[8:9], v10, v14 src0_sel:BYTE_3 src1_sel:DWORD
	s_andn2_b64 s[4:5], s[4:5], exec
	s_and_b64 s[8:9], s[8:9], exec
	s_or_b64 s[4:5], s[4:5], s[8:9]
	s_or_b64 exec, exec, s[6:7]
	s_and_saveexec_b64 s[6:7], s[4:5]
	s_cbranch_execnz .LBB33_287
	s_branch .LBB33_288
.LBB33_2337:
	s_movk_i32 s4, 0x80
	v_cmp_eq_u16_sdwa s[12:13], v15, s4 src0_sel:BYTE_0 src1_sel:DWORD
	s_mov_b64 s[4:5], -1
                                        ; implicit-def: $sgpr10
	s_and_saveexec_b64 s[8:9], s[12:13]
; %bb.2338:
	s_mov_b32 s10, 0x7f800001
	s_xor_b64 s[4:5], exec, -1
; %bb.2339:
	s_or_b64 exec, exec, s[8:9]
	s_and_b64 s[4:5], s[4:5], exec
	s_or_saveexec_b64 s[6:7], s[6:7]
	v_mov_b32_e32 v10, s10
	s_xor_b64 exec, exec, s[6:7]
	s_cbranch_execz .LBB33_290
.LBB33_2340:
	v_mov_b32_e32 v10, 0
	v_cmp_ne_u16_sdwa s[8:9], v15, v10 src0_sel:BYTE_0 src1_sel:DWORD
	s_andn2_b64 s[4:5], s[4:5], exec
	s_and_b64 s[8:9], s[8:9], exec
	s_or_b64 s[4:5], s[4:5], s[8:9]
	s_or_b64 exec, exec, s[6:7]
	s_and_saveexec_b64 s[6:7], s[4:5]
	s_cbranch_execnz .LBB33_291
	s_branch .LBB33_292
.LBB33_2341:
	s_movk_i32 s4, 0x80
	v_cmp_eq_u16_sdwa s[12:13], v11, s4 src0_sel:BYTE_0 src1_sel:DWORD
	s_mov_b64 s[4:5], -1
                                        ; implicit-def: $sgpr10
	s_and_saveexec_b64 s[8:9], s[12:13]
; %bb.2342:
	s_mov_b32 s10, 0x7f800001
	s_xor_b64 s[4:5], exec, -1
; %bb.2343:
	s_or_b64 exec, exec, s[8:9]
	s_and_b64 s[4:5], s[4:5], exec
	s_or_saveexec_b64 s[6:7], s[6:7]
	v_mov_b32_e32 v14, s10
	s_xor_b64 exec, exec, s[6:7]
	s_cbranch_execz .LBB33_294
.LBB33_2344:
	v_mov_b32_e32 v14, 0
	v_cmp_ne_u16_sdwa s[8:9], v11, v14 src0_sel:BYTE_0 src1_sel:DWORD
	s_andn2_b64 s[4:5], s[4:5], exec
	s_and_b64 s[8:9], s[8:9], exec
	s_or_b64 s[4:5], s[4:5], s[8:9]
	s_or_b64 exec, exec, s[6:7]
	s_and_saveexec_b64 s[6:7], s[4:5]
	s_cbranch_execnz .LBB33_295
	s_branch .LBB33_296
.LBB33_2345:
	s_movk_i32 s4, 0x80
	v_cmp_eq_u16_sdwa s[12:13], v14, s4 src0_sel:BYTE_0 src1_sel:DWORD
	s_mov_b64 s[4:5], -1
                                        ; implicit-def: $sgpr10
	s_and_saveexec_b64 s[8:9], s[12:13]
; %bb.2346:
	s_mov_b32 s10, 0x7f800001
	s_xor_b64 s[4:5], exec, -1
; %bb.2347:
	s_or_b64 exec, exec, s[8:9]
	s_and_b64 s[4:5], s[4:5], exec
	s_or_saveexec_b64 s[6:7], s[6:7]
	v_mov_b32_e32 v10, s10
	s_xor_b64 exec, exec, s[6:7]
	s_cbranch_execz .LBB33_298
.LBB33_2348:
	v_mov_b32_e32 v10, 0
	v_cmp_ne_u16_sdwa s[8:9], v14, v10 src0_sel:BYTE_0 src1_sel:DWORD
	s_andn2_b64 s[4:5], s[4:5], exec
	s_and_b64 s[8:9], s[8:9], exec
	s_or_b64 s[4:5], s[4:5], s[8:9]
	s_or_b64 exec, exec, s[6:7]
	s_and_saveexec_b64 s[6:7], s[4:5]
	s_cbranch_execnz .LBB33_299
	s_branch .LBB33_300
.LBB33_2349:
	s_movk_i32 s4, 0x80
	v_cmp_eq_u16_sdwa s[12:13], v14, s4 src0_sel:BYTE_0 src1_sel:DWORD
	s_mov_b64 s[4:5], -1
                                        ; implicit-def: $sgpr10
	s_and_saveexec_b64 s[8:9], s[12:13]
; %bb.2350:
	s_mov_b32 s10, 0x7f800001
	s_xor_b64 s[4:5], exec, -1
; %bb.2351:
	s_or_b64 exec, exec, s[8:9]
	s_and_b64 s[4:5], s[4:5], exec
	s_or_saveexec_b64 s[6:7], s[6:7]
	v_mov_b32_e32 v20, s10
	s_xor_b64 exec, exec, s[6:7]
	s_cbranch_execz .LBB33_302
.LBB33_2352:
	v_mov_b32_e32 v20, 0
	v_cmp_ne_u16_sdwa s[8:9], v14, v20 src0_sel:BYTE_0 src1_sel:DWORD
	s_andn2_b64 s[4:5], s[4:5], exec
	s_and_b64 s[8:9], s[8:9], exec
	s_or_b64 s[4:5], s[4:5], s[8:9]
	s_or_b64 exec, exec, s[6:7]
	s_and_saveexec_b64 s[6:7], s[4:5]
	s_cbranch_execnz .LBB33_303
	s_branch .LBB33_304
.LBB33_2353:
	s_movk_i32 s4, 0x80
	v_cmp_eq_u16_e32 vcc, s4, v14
	s_mov_b64 s[4:5], -1
                                        ; implicit-def: $sgpr10
	s_and_saveexec_b64 s[8:9], vcc
; %bb.2354:
	s_mov_b32 s10, 0x7f800001
	s_xor_b64 s[4:5], exec, -1
; %bb.2355:
	s_or_b64 exec, exec, s[8:9]
	s_and_b64 s[4:5], s[4:5], exec
                                        ; implicit-def: $vgpr14
	s_or_saveexec_b64 s[6:7], s[6:7]
	v_mov_b32_e32 v10, s10
	s_xor_b64 exec, exec, s[6:7]
	s_cbranch_execz .LBB33_306
.LBB33_2356:
	v_cmp_ne_u16_e32 vcc, 0, v14
	s_andn2_b64 s[4:5], s[4:5], exec
	s_and_b64 s[8:9], vcc, exec
	v_mov_b32_e32 v10, 0
	s_or_b64 s[4:5], s[4:5], s[8:9]
	s_or_b64 exec, exec, s[6:7]
	s_and_saveexec_b64 s[6:7], s[4:5]
	s_cbranch_execnz .LBB33_307
	s_branch .LBB33_308
.LBB33_2357:
	s_movk_i32 s4, 0x80
	v_cmp_eq_u16_e32 vcc, s4, v14
	s_mov_b64 s[4:5], -1
                                        ; implicit-def: $sgpr10
	s_and_saveexec_b64 s[8:9], vcc
; %bb.2358:
	s_mov_b32 s10, 0x7f800001
	s_xor_b64 s[4:5], exec, -1
; %bb.2359:
	s_or_b64 exec, exec, s[8:9]
	s_and_b64 s[4:5], s[4:5], exec
                                        ; implicit-def: $vgpr14
	s_or_saveexec_b64 s[6:7], s[6:7]
	v_mov_b32_e32 v20, s10
	s_xor_b64 exec, exec, s[6:7]
	s_cbranch_execz .LBB33_310
.LBB33_2360:
	v_cmp_ne_u16_e32 vcc, 0, v14
	s_andn2_b64 s[4:5], s[4:5], exec
	s_and_b64 s[8:9], vcc, exec
	v_mov_b32_e32 v20, 0
	s_or_b64 s[4:5], s[4:5], s[8:9]
	s_or_b64 exec, exec, s[6:7]
	s_and_saveexec_b64 s[6:7], s[4:5]
	s_cbranch_execnz .LBB33_311
	s_branch .LBB33_312
.LBB33_2361:
	s_movk_i32 s4, 0x80
	v_cmp_eq_u16_sdwa s[12:13], v15, s4 src0_sel:BYTE_3 src1_sel:DWORD
	s_mov_b64 s[4:5], -1
                                        ; implicit-def: $sgpr10
	s_and_saveexec_b64 s[8:9], s[12:13]
; %bb.2362:
	s_mov_b32 s10, 0x7f800001
	s_xor_b64 s[4:5], exec, -1
; %bb.2363:
	s_or_b64 exec, exec, s[8:9]
	s_and_b64 s[4:5], s[4:5], exec
	s_or_saveexec_b64 s[6:7], s[6:7]
	v_mov_b32_e32 v10, s10
	s_xor_b64 exec, exec, s[6:7]
	s_cbranch_execz .LBB33_314
.LBB33_2364:
	v_mov_b32_e32 v10, 0
	v_cmp_ne_u16_sdwa s[8:9], v15, v10 src0_sel:BYTE_3 src1_sel:DWORD
	s_andn2_b64 s[4:5], s[4:5], exec
	s_and_b64 s[8:9], s[8:9], exec
	s_or_b64 s[4:5], s[4:5], s[8:9]
	s_or_b64 exec, exec, s[6:7]
	s_and_saveexec_b64 s[6:7], s[4:5]
	s_cbranch_execnz .LBB33_315
	s_branch .LBB33_316
.LBB33_2365:
	s_movk_i32 s4, 0x80
	v_cmp_eq_u16_sdwa s[12:13], v11, s4 src0_sel:BYTE_3 src1_sel:DWORD
	s_mov_b64 s[4:5], -1
                                        ; implicit-def: $sgpr10
	s_and_saveexec_b64 s[8:9], s[12:13]
; %bb.2366:
	s_mov_b32 s10, 0x7f800001
	s_xor_b64 s[4:5], exec, -1
; %bb.2367:
	s_or_b64 exec, exec, s[8:9]
	s_and_b64 s[4:5], s[4:5], exec
	s_or_saveexec_b64 s[6:7], s[6:7]
	v_mov_b32_e32 v14, s10
	s_xor_b64 exec, exec, s[6:7]
	s_cbranch_execz .LBB33_318
.LBB33_2368:
	v_mov_b32_e32 v14, 0
	v_cmp_ne_u16_sdwa s[8:9], v11, v14 src0_sel:BYTE_3 src1_sel:DWORD
	s_andn2_b64 s[4:5], s[4:5], exec
	s_and_b64 s[8:9], s[8:9], exec
	s_or_b64 s[4:5], s[4:5], s[8:9]
	s_or_b64 exec, exec, s[6:7]
	s_and_saveexec_b64 s[6:7], s[4:5]
	s_cbranch_execnz .LBB33_319
	s_branch .LBB33_320
.LBB33_2369:
	s_movk_i32 s4, 0x80
	v_cmp_eq_u16_sdwa s[12:13], v16, s4 src0_sel:BYTE_0 src1_sel:DWORD
	s_mov_b64 s[4:5], -1
                                        ; implicit-def: $sgpr10
	s_and_saveexec_b64 s[8:9], s[12:13]
; %bb.2370:
	s_mov_b32 s10, 0x7f800001
	s_xor_b64 s[4:5], exec, -1
; %bb.2371:
	s_or_b64 exec, exec, s[8:9]
	s_and_b64 s[4:5], s[4:5], exec
	s_or_saveexec_b64 s[6:7], s[6:7]
	v_mov_b32_e32 v10, s10
	s_xor_b64 exec, exec, s[6:7]
	s_cbranch_execz .LBB33_322
.LBB33_2372:
	v_mov_b32_e32 v10, 0
	v_cmp_ne_u16_sdwa s[8:9], v16, v10 src0_sel:BYTE_0 src1_sel:DWORD
	s_andn2_b64 s[4:5], s[4:5], exec
	s_and_b64 s[8:9], s[8:9], exec
	s_or_b64 s[4:5], s[4:5], s[8:9]
	s_or_b64 exec, exec, s[6:7]
	s_and_saveexec_b64 s[6:7], s[4:5]
	s_cbranch_execnz .LBB33_323
	s_branch .LBB33_324
.LBB33_2373:
	s_movk_i32 s4, 0x80
	v_cmp_eq_u16_sdwa s[12:13], v12, s4 src0_sel:BYTE_0 src1_sel:DWORD
	s_mov_b64 s[4:5], -1
                                        ; implicit-def: $sgpr10
	s_and_saveexec_b64 s[8:9], s[12:13]
; %bb.2374:
	s_mov_b32 s10, 0x7f800001
	s_xor_b64 s[4:5], exec, -1
; %bb.2375:
	s_or_b64 exec, exec, s[8:9]
	s_and_b64 s[4:5], s[4:5], exec
	s_or_saveexec_b64 s[6:7], s[6:7]
	v_mov_b32_e32 v11, s10
	s_xor_b64 exec, exec, s[6:7]
	s_cbranch_execz .LBB33_326
.LBB33_2376:
	v_mov_b32_e32 v11, 0
	v_cmp_ne_u16_sdwa s[8:9], v12, v11 src0_sel:BYTE_0 src1_sel:DWORD
	s_andn2_b64 s[4:5], s[4:5], exec
	s_and_b64 s[8:9], s[8:9], exec
	s_or_b64 s[4:5], s[4:5], s[8:9]
	s_or_b64 exec, exec, s[6:7]
	s_and_saveexec_b64 s[6:7], s[4:5]
	s_cbranch_execnz .LBB33_327
	s_branch .LBB33_328
.LBB33_2377:
	s_movk_i32 s4, 0x80
	v_cmp_eq_u16_sdwa s[12:13], v11, s4 src0_sel:BYTE_0 src1_sel:DWORD
	s_mov_b64 s[4:5], -1
                                        ; implicit-def: $sgpr10
	s_and_saveexec_b64 s[8:9], s[12:13]
; %bb.2378:
	s_mov_b32 s10, 0x7f800001
	s_xor_b64 s[4:5], exec, -1
; %bb.2379:
	s_or_b64 exec, exec, s[8:9]
	s_and_b64 s[4:5], s[4:5], exec
	s_or_saveexec_b64 s[6:7], s[6:7]
	v_mov_b32_e32 v10, s10
	s_xor_b64 exec, exec, s[6:7]
	s_cbranch_execz .LBB33_330
.LBB33_2380:
	v_mov_b32_e32 v10, 0
	v_cmp_ne_u16_sdwa s[8:9], v11, v10 src0_sel:BYTE_0 src1_sel:DWORD
	s_andn2_b64 s[4:5], s[4:5], exec
	s_and_b64 s[8:9], s[8:9], exec
	s_or_b64 s[4:5], s[4:5], s[8:9]
	s_or_b64 exec, exec, s[6:7]
	s_and_saveexec_b64 s[6:7], s[4:5]
	s_cbranch_execnz .LBB33_331
	s_branch .LBB33_332
.LBB33_2381:
	s_movk_i32 s4, 0x80
	v_cmp_eq_u16_sdwa s[12:13], v11, s4 src0_sel:BYTE_0 src1_sel:DWORD
	s_mov_b64 s[4:5], -1
                                        ; implicit-def: $sgpr10
	s_and_saveexec_b64 s[8:9], s[12:13]
; %bb.2382:
	s_mov_b32 s10, 0x7f800001
	s_xor_b64 s[4:5], exec, -1
; %bb.2383:
	s_or_b64 exec, exec, s[8:9]
	s_and_b64 s[4:5], s[4:5], exec
	s_or_saveexec_b64 s[6:7], s[6:7]
	v_mov_b32_e32 v14, s10
	s_xor_b64 exec, exec, s[6:7]
	s_cbranch_execz .LBB33_334
.LBB33_2384:
	v_mov_b32_e32 v14, 0
	v_cmp_ne_u16_sdwa s[8:9], v11, v14 src0_sel:BYTE_0 src1_sel:DWORD
	s_andn2_b64 s[4:5], s[4:5], exec
	s_and_b64 s[8:9], s[8:9], exec
	s_or_b64 s[4:5], s[4:5], s[8:9]
	s_or_b64 exec, exec, s[6:7]
	s_and_saveexec_b64 s[6:7], s[4:5]
	s_cbranch_execnz .LBB33_335
	s_branch .LBB33_336
.LBB33_2385:
	s_movk_i32 s4, 0x80
	v_cmp_eq_u16_e32 vcc, s4, v11
	s_mov_b64 s[4:5], -1
                                        ; implicit-def: $sgpr10
	s_and_saveexec_b64 s[8:9], vcc
; %bb.2386:
	s_mov_b32 s10, 0x7f800001
	s_xor_b64 s[4:5], exec, -1
; %bb.2387:
	s_or_b64 exec, exec, s[8:9]
	s_and_b64 s[4:5], s[4:5], exec
                                        ; implicit-def: $vgpr11
	s_or_saveexec_b64 s[6:7], s[6:7]
	v_mov_b32_e32 v10, s10
	s_xor_b64 exec, exec, s[6:7]
	s_cbranch_execz .LBB33_338
.LBB33_2388:
	v_cmp_ne_u16_e32 vcc, 0, v11
	s_andn2_b64 s[4:5], s[4:5], exec
	s_and_b64 s[8:9], vcc, exec
	v_mov_b32_e32 v10, 0
	s_or_b64 s[4:5], s[4:5], s[8:9]
	s_or_b64 exec, exec, s[6:7]
	s_and_saveexec_b64 s[6:7], s[4:5]
	s_cbranch_execnz .LBB33_339
	s_branch .LBB33_340
.LBB33_2389:
	s_movk_i32 s4, 0x80
	v_cmp_eq_u16_e32 vcc, s4, v11
	s_mov_b64 s[4:5], -1
                                        ; implicit-def: $sgpr10
	s_and_saveexec_b64 s[8:9], vcc
; %bb.2390:
	s_mov_b32 s10, 0x7f800001
	s_xor_b64 s[4:5], exec, -1
; %bb.2391:
	s_or_b64 exec, exec, s[8:9]
	s_and_b64 s[4:5], s[4:5], exec
                                        ; implicit-def: $vgpr11
	s_or_saveexec_b64 s[6:7], s[6:7]
	v_mov_b32_e32 v14, s10
	s_xor_b64 exec, exec, s[6:7]
	s_cbranch_execz .LBB33_342
.LBB33_2392:
	v_cmp_ne_u16_e32 vcc, 0, v11
	s_andn2_b64 s[4:5], s[4:5], exec
	s_and_b64 s[8:9], vcc, exec
	v_mov_b32_e32 v14, 0
	s_or_b64 s[4:5], s[4:5], s[8:9]
	s_or_b64 exec, exec, s[6:7]
	s_and_saveexec_b64 s[6:7], s[4:5]
	s_cbranch_execnz .LBB33_343
	s_branch .LBB33_344
.LBB33_2393:
	s_movk_i32 s4, 0x80
	v_cmp_eq_u16_sdwa s[12:13], v16, s4 src0_sel:BYTE_3 src1_sel:DWORD
	s_mov_b64 s[4:5], -1
                                        ; implicit-def: $sgpr10
	s_and_saveexec_b64 s[8:9], s[12:13]
; %bb.2394:
	s_mov_b32 s10, 0x7f800001
	s_xor_b64 s[4:5], exec, -1
; %bb.2395:
	s_or_b64 exec, exec, s[8:9]
	s_and_b64 s[4:5], s[4:5], exec
	s_or_saveexec_b64 s[6:7], s[6:7]
	v_mov_b32_e32 v10, s10
	s_xor_b64 exec, exec, s[6:7]
	s_cbranch_execz .LBB33_346
.LBB33_2396:
	v_mov_b32_e32 v10, 0
	v_cmp_ne_u16_sdwa s[8:9], v16, v10 src0_sel:BYTE_3 src1_sel:DWORD
	s_andn2_b64 s[4:5], s[4:5], exec
	s_and_b64 s[8:9], s[8:9], exec
	s_or_b64 s[4:5], s[4:5], s[8:9]
	s_or_b64 exec, exec, s[6:7]
	s_and_saveexec_b64 s[6:7], s[4:5]
	s_cbranch_execnz .LBB33_347
	s_branch .LBB33_348
.LBB33_2397:
	s_movk_i32 s4, 0x80
	v_cmp_eq_u16_sdwa s[12:13], v12, s4 src0_sel:BYTE_3 src1_sel:DWORD
	s_mov_b64 s[4:5], -1
                                        ; implicit-def: $sgpr10
	s_and_saveexec_b64 s[8:9], s[12:13]
; %bb.2398:
	s_mov_b32 s10, 0x7f800001
	s_xor_b64 s[4:5], exec, -1
; %bb.2399:
	s_or_b64 exec, exec, s[8:9]
	s_and_b64 s[4:5], s[4:5], exec
	s_or_saveexec_b64 s[6:7], s[6:7]
	v_mov_b32_e32 v11, s10
	s_xor_b64 exec, exec, s[6:7]
	s_cbranch_execz .LBB33_350
.LBB33_2400:
	v_mov_b32_e32 v11, 0
	v_cmp_ne_u16_sdwa s[8:9], v12, v11 src0_sel:BYTE_3 src1_sel:DWORD
	s_andn2_b64 s[4:5], s[4:5], exec
	s_and_b64 s[8:9], s[8:9], exec
	s_or_b64 s[4:5], s[4:5], s[8:9]
	s_or_b64 exec, exec, s[6:7]
	s_and_saveexec_b64 s[6:7], s[4:5]
	s_cbranch_execnz .LBB33_351
	s_branch .LBB33_352
.LBB33_2401:
	s_movk_i32 s4, 0x80
	v_cmp_eq_u16_sdwa s[12:13], v17, s4 src0_sel:BYTE_0 src1_sel:DWORD
	s_mov_b64 s[4:5], -1
                                        ; implicit-def: $sgpr10
	s_and_saveexec_b64 s[8:9], s[12:13]
; %bb.2402:
	s_mov_b32 s10, 0x7f800001
	s_xor_b64 s[4:5], exec, -1
; %bb.2403:
	s_or_b64 exec, exec, s[8:9]
	s_and_b64 s[4:5], s[4:5], exec
	s_or_saveexec_b64 s[6:7], s[6:7]
	v_mov_b32_e32 v10, s10
	s_xor_b64 exec, exec, s[6:7]
	s_cbranch_execz .LBB33_354
.LBB33_2404:
	v_mov_b32_e32 v10, 0
	v_cmp_ne_u16_sdwa s[8:9], v17, v10 src0_sel:BYTE_0 src1_sel:DWORD
	s_andn2_b64 s[4:5], s[4:5], exec
	s_and_b64 s[8:9], s[8:9], exec
	s_or_b64 s[4:5], s[4:5], s[8:9]
	s_or_b64 exec, exec, s[6:7]
	s_and_saveexec_b64 s[6:7], s[4:5]
	s_cbranch_execnz .LBB33_355
	s_branch .LBB33_356
.LBB33_2405:
	s_movk_i32 s4, 0x80
	v_cmp_eq_u16_sdwa s[12:13], v13, s4 src0_sel:BYTE_0 src1_sel:DWORD
	s_mov_b64 s[4:5], -1
                                        ; implicit-def: $sgpr10
	s_and_saveexec_b64 s[8:9], s[12:13]
; %bb.2406:
	s_mov_b32 s10, 0x7f800001
	s_xor_b64 s[4:5], exec, -1
; %bb.2407:
	s_or_b64 exec, exec, s[8:9]
	s_and_b64 s[4:5], s[4:5], exec
	s_or_saveexec_b64 s[6:7], s[6:7]
	v_mov_b32_e32 v11, s10
	s_xor_b64 exec, exec, s[6:7]
	s_cbranch_execz .LBB33_358
.LBB33_2408:
	v_mov_b32_e32 v11, 0
	v_cmp_ne_u16_sdwa s[8:9], v13, v11 src0_sel:BYTE_0 src1_sel:DWORD
	s_andn2_b64 s[4:5], s[4:5], exec
	s_and_b64 s[8:9], s[8:9], exec
	s_or_b64 s[4:5], s[4:5], s[8:9]
	s_or_b64 exec, exec, s[6:7]
	s_and_saveexec_b64 s[6:7], s[4:5]
	s_cbranch_execnz .LBB33_359
	s_branch .LBB33_360
.LBB33_2409:
	s_movk_i32 s4, 0x80
	v_cmp_eq_u16_sdwa s[12:13], v11, s4 src0_sel:BYTE_0 src1_sel:DWORD
	s_mov_b64 s[4:5], -1
                                        ; implicit-def: $sgpr10
	s_and_saveexec_b64 s[8:9], s[12:13]
; %bb.2410:
	s_mov_b32 s10, 0x7f800001
	s_xor_b64 s[4:5], exec, -1
; %bb.2411:
	s_or_b64 exec, exec, s[8:9]
	s_and_b64 s[4:5], s[4:5], exec
	s_or_saveexec_b64 s[6:7], s[6:7]
	v_mov_b32_e32 v10, s10
	s_xor_b64 exec, exec, s[6:7]
	s_cbranch_execz .LBB33_362
.LBB33_2412:
	v_mov_b32_e32 v10, 0
	v_cmp_ne_u16_sdwa s[8:9], v11, v10 src0_sel:BYTE_0 src1_sel:DWORD
	s_andn2_b64 s[4:5], s[4:5], exec
	s_and_b64 s[8:9], s[8:9], exec
	s_or_b64 s[4:5], s[4:5], s[8:9]
	s_or_b64 exec, exec, s[6:7]
	s_and_saveexec_b64 s[6:7], s[4:5]
	s_cbranch_execnz .LBB33_363
	s_branch .LBB33_364
.LBB33_2413:
	s_movk_i32 s4, 0x80
	v_cmp_eq_u16_sdwa s[12:13], v11, s4 src0_sel:BYTE_0 src1_sel:DWORD
	s_mov_b64 s[4:5], -1
                                        ; implicit-def: $sgpr10
	s_and_saveexec_b64 s[8:9], s[12:13]
; %bb.2414:
	s_mov_b32 s10, 0x7f800001
	s_xor_b64 s[4:5], exec, -1
; %bb.2415:
	s_or_b64 exec, exec, s[8:9]
	s_and_b64 s[4:5], s[4:5], exec
	s_or_saveexec_b64 s[6:7], s[6:7]
	v_mov_b32_e32 v12, s10
	s_xor_b64 exec, exec, s[6:7]
	s_cbranch_execz .LBB33_366
.LBB33_2416:
	v_mov_b32_e32 v12, 0
	v_cmp_ne_u16_sdwa s[8:9], v11, v12 src0_sel:BYTE_0 src1_sel:DWORD
	s_andn2_b64 s[4:5], s[4:5], exec
	s_and_b64 s[8:9], s[8:9], exec
	s_or_b64 s[4:5], s[4:5], s[8:9]
	s_or_b64 exec, exec, s[6:7]
	s_and_saveexec_b64 s[6:7], s[4:5]
	s_cbranch_execnz .LBB33_367
	s_branch .LBB33_368
.LBB33_2417:
	s_movk_i32 s4, 0x80
	v_cmp_eq_u16_e32 vcc, s4, v11
	s_mov_b64 s[4:5], -1
                                        ; implicit-def: $sgpr10
	s_and_saveexec_b64 s[8:9], vcc
; %bb.2418:
	s_mov_b32 s10, 0x7f800001
	s_xor_b64 s[4:5], exec, -1
; %bb.2419:
	s_or_b64 exec, exec, s[8:9]
	s_and_b64 s[4:5], s[4:5], exec
                                        ; implicit-def: $vgpr11
	s_or_saveexec_b64 s[6:7], s[6:7]
	v_mov_b32_e32 v10, s10
	s_xor_b64 exec, exec, s[6:7]
	s_cbranch_execz .LBB33_370
.LBB33_2420:
	v_cmp_ne_u16_e32 vcc, 0, v11
	s_andn2_b64 s[4:5], s[4:5], exec
	s_and_b64 s[8:9], vcc, exec
	v_mov_b32_e32 v10, 0
	s_or_b64 s[4:5], s[4:5], s[8:9]
	s_or_b64 exec, exec, s[6:7]
	s_and_saveexec_b64 s[6:7], s[4:5]
	s_cbranch_execnz .LBB33_371
	s_branch .LBB33_372
.LBB33_2421:
	s_movk_i32 s4, 0x80
	v_cmp_eq_u16_e32 vcc, s4, v11
	s_mov_b64 s[4:5], -1
                                        ; implicit-def: $sgpr10
	s_and_saveexec_b64 s[8:9], vcc
; %bb.2422:
	s_mov_b32 s10, 0x7f800001
	s_xor_b64 s[4:5], exec, -1
; %bb.2423:
	s_or_b64 exec, exec, s[8:9]
	s_and_b64 s[4:5], s[4:5], exec
                                        ; implicit-def: $vgpr11
	s_or_saveexec_b64 s[6:7], s[6:7]
	v_mov_b32_e32 v12, s10
	s_xor_b64 exec, exec, s[6:7]
	s_cbranch_execz .LBB33_374
.LBB33_2424:
	v_cmp_ne_u16_e32 vcc, 0, v11
	s_andn2_b64 s[4:5], s[4:5], exec
	s_and_b64 s[8:9], vcc, exec
	v_mov_b32_e32 v12, 0
	s_or_b64 s[4:5], s[4:5], s[8:9]
	s_or_b64 exec, exec, s[6:7]
	s_and_saveexec_b64 s[6:7], s[4:5]
	s_cbranch_execnz .LBB33_375
	s_branch .LBB33_376
.LBB33_2425:
	s_movk_i32 s4, 0x80
	v_cmp_eq_u16_sdwa s[12:13], v17, s4 src0_sel:BYTE_3 src1_sel:DWORD
	s_mov_b64 s[4:5], -1
                                        ; implicit-def: $sgpr10
	s_and_saveexec_b64 s[8:9], s[12:13]
; %bb.2426:
	s_mov_b32 s10, 0x7f800001
	s_xor_b64 s[4:5], exec, -1
; %bb.2427:
	s_or_b64 exec, exec, s[8:9]
	s_and_b64 s[4:5], s[4:5], exec
	s_or_saveexec_b64 s[6:7], s[6:7]
	v_mov_b32_e32 v10, s10
	s_xor_b64 exec, exec, s[6:7]
	s_cbranch_execz .LBB33_378
.LBB33_2428:
	v_mov_b32_e32 v10, 0
	v_cmp_ne_u16_sdwa s[8:9], v17, v10 src0_sel:BYTE_3 src1_sel:DWORD
	s_andn2_b64 s[4:5], s[4:5], exec
	s_and_b64 s[8:9], s[8:9], exec
	s_or_b64 s[4:5], s[4:5], s[8:9]
	s_or_b64 exec, exec, s[6:7]
	s_and_saveexec_b64 s[6:7], s[4:5]
	s_cbranch_execnz .LBB33_379
	s_branch .LBB33_380
.LBB33_2429:
	s_movk_i32 s4, 0x80
	v_cmp_eq_u16_sdwa s[12:13], v13, s4 src0_sel:BYTE_3 src1_sel:DWORD
	s_mov_b64 s[4:5], -1
                                        ; implicit-def: $sgpr10
	s_and_saveexec_b64 s[8:9], s[12:13]
; %bb.2430:
	s_mov_b32 s10, 0x7f800001
	s_xor_b64 s[4:5], exec, -1
; %bb.2431:
	s_or_b64 exec, exec, s[8:9]
	s_and_b64 s[4:5], s[4:5], exec
	s_or_saveexec_b64 s[6:7], s[6:7]
	v_mov_b32_e32 v11, s10
	s_xor_b64 exec, exec, s[6:7]
	s_cbranch_execz .LBB33_382
.LBB33_2432:
	v_mov_b32_e32 v11, 0
	v_cmp_ne_u16_sdwa s[8:9], v13, v11 src0_sel:BYTE_3 src1_sel:DWORD
	s_andn2_b64 s[4:5], s[4:5], exec
	s_and_b64 s[8:9], s[8:9], exec
	s_or_b64 s[4:5], s[4:5], s[8:9]
	s_or_b64 exec, exec, s[6:7]
	s_and_saveexec_b64 s[6:7], s[4:5]
	s_cbranch_execnz .LBB33_383
	s_branch .LBB33_384
.LBB33_2433:
	s_movk_i32 s4, 0x80
	v_cmp_eq_u16_sdwa s[12:13], v6, s4 src0_sel:BYTE_0 src1_sel:DWORD
	s_mov_b64 s[4:5], -1
                                        ; implicit-def: $sgpr10
	s_and_saveexec_b64 s[8:9], s[12:13]
; %bb.2434:
	s_mov_b32 s10, 0x7f800001
	s_xor_b64 s[4:5], exec, -1
; %bb.2435:
	s_or_b64 exec, exec, s[8:9]
	s_and_b64 s[4:5], s[4:5], exec
	s_or_saveexec_b64 s[6:7], s[6:7]
	v_mov_b32_e32 v10, s10
	s_xor_b64 exec, exec, s[6:7]
	s_cbranch_execz .LBB33_386
.LBB33_2436:
	v_mov_b32_e32 v10, 0
	v_cmp_ne_u16_sdwa s[8:9], v6, v10 src0_sel:BYTE_0 src1_sel:DWORD
	s_andn2_b64 s[4:5], s[4:5], exec
	s_and_b64 s[8:9], s[8:9], exec
	s_or_b64 s[4:5], s[4:5], s[8:9]
	s_or_b64 exec, exec, s[6:7]
	s_and_saveexec_b64 s[6:7], s[4:5]
	s_cbranch_execnz .LBB33_387
	s_branch .LBB33_388
.LBB33_2437:
	s_movk_i32 s4, 0x80
	v_cmp_eq_u16_sdwa s[12:13], v2, s4 src0_sel:BYTE_0 src1_sel:DWORD
	s_mov_b64 s[4:5], -1
                                        ; implicit-def: $sgpr10
	s_and_saveexec_b64 s[8:9], s[12:13]
; %bb.2438:
	s_mov_b32 s10, 0x7f800001
	s_xor_b64 s[4:5], exec, -1
; %bb.2439:
	s_or_b64 exec, exec, s[8:9]
	s_and_b64 s[4:5], s[4:5], exec
	s_or_saveexec_b64 s[6:7], s[6:7]
	v_mov_b32_e32 v11, s10
	s_xor_b64 exec, exec, s[6:7]
	s_cbranch_execz .LBB33_390
.LBB33_2440:
	v_mov_b32_e32 v11, 0
	v_cmp_ne_u16_sdwa s[8:9], v2, v11 src0_sel:BYTE_0 src1_sel:DWORD
	s_andn2_b64 s[4:5], s[4:5], exec
	s_and_b64 s[8:9], s[8:9], exec
	s_or_b64 s[4:5], s[4:5], s[8:9]
	s_or_b64 exec, exec, s[6:7]
	s_and_saveexec_b64 s[6:7], s[4:5]
	s_cbranch_execnz .LBB33_391
	s_branch .LBB33_392
.LBB33_2441:
	s_movk_i32 s4, 0x80
	v_cmp_eq_u16_sdwa s[12:13], v11, s4 src0_sel:BYTE_0 src1_sel:DWORD
	s_mov_b64 s[4:5], -1
                                        ; implicit-def: $sgpr10
	s_and_saveexec_b64 s[8:9], s[12:13]
; %bb.2442:
	s_mov_b32 s10, 0x7f800001
	s_xor_b64 s[4:5], exec, -1
; %bb.2443:
	s_or_b64 exec, exec, s[8:9]
	s_and_b64 s[4:5], s[4:5], exec
	s_or_saveexec_b64 s[6:7], s[6:7]
	v_mov_b32_e32 v10, s10
	s_xor_b64 exec, exec, s[6:7]
	s_cbranch_execz .LBB33_394
.LBB33_2444:
	v_mov_b32_e32 v10, 0
	v_cmp_ne_u16_sdwa s[8:9], v11, v10 src0_sel:BYTE_0 src1_sel:DWORD
	s_andn2_b64 s[4:5], s[4:5], exec
	s_and_b64 s[8:9], s[8:9], exec
	s_or_b64 s[4:5], s[4:5], s[8:9]
	s_or_b64 exec, exec, s[6:7]
	s_and_saveexec_b64 s[6:7], s[4:5]
	s_cbranch_execnz .LBB33_395
	s_branch .LBB33_396
.LBB33_2445:
	s_movk_i32 s4, 0x80
	v_cmp_eq_u16_sdwa s[12:13], v11, s4 src0_sel:BYTE_0 src1_sel:DWORD
	s_mov_b64 s[4:5], -1
                                        ; implicit-def: $sgpr10
	s_and_saveexec_b64 s[8:9], s[12:13]
; %bb.2446:
	s_mov_b32 s10, 0x7f800001
	s_xor_b64 s[4:5], exec, -1
; %bb.2447:
	s_or_b64 exec, exec, s[8:9]
	s_and_b64 s[4:5], s[4:5], exec
	s_or_saveexec_b64 s[6:7], s[6:7]
	v_mov_b32_e32 v12, s10
	s_xor_b64 exec, exec, s[6:7]
	s_cbranch_execz .LBB33_398
.LBB33_2448:
	v_mov_b32_e32 v12, 0
	v_cmp_ne_u16_sdwa s[8:9], v11, v12 src0_sel:BYTE_0 src1_sel:DWORD
	s_andn2_b64 s[4:5], s[4:5], exec
	s_and_b64 s[8:9], s[8:9], exec
	s_or_b64 s[4:5], s[4:5], s[8:9]
	s_or_b64 exec, exec, s[6:7]
	s_and_saveexec_b64 s[6:7], s[4:5]
	s_cbranch_execnz .LBB33_399
	s_branch .LBB33_400
.LBB33_2449:
	s_movk_i32 s4, 0x80
	v_cmp_eq_u16_e32 vcc, s4, v11
	s_mov_b64 s[4:5], -1
                                        ; implicit-def: $sgpr10
	s_and_saveexec_b64 s[8:9], vcc
; %bb.2450:
	s_mov_b32 s10, 0x7f800001
	s_xor_b64 s[4:5], exec, -1
; %bb.2451:
	s_or_b64 exec, exec, s[8:9]
	s_and_b64 s[4:5], s[4:5], exec
                                        ; implicit-def: $vgpr11
	s_or_saveexec_b64 s[6:7], s[6:7]
	v_mov_b32_e32 v10, s10
	s_xor_b64 exec, exec, s[6:7]
	s_cbranch_execz .LBB33_402
.LBB33_2452:
	v_cmp_ne_u16_e32 vcc, 0, v11
	s_andn2_b64 s[4:5], s[4:5], exec
	s_and_b64 s[8:9], vcc, exec
	v_mov_b32_e32 v10, 0
	s_or_b64 s[4:5], s[4:5], s[8:9]
	s_or_b64 exec, exec, s[6:7]
	s_and_saveexec_b64 s[6:7], s[4:5]
	s_cbranch_execnz .LBB33_403
	s_branch .LBB33_404
.LBB33_2453:
	s_movk_i32 s4, 0x80
	v_cmp_eq_u16_e32 vcc, s4, v11
	s_mov_b64 s[4:5], -1
                                        ; implicit-def: $sgpr10
	s_and_saveexec_b64 s[8:9], vcc
; %bb.2454:
	s_mov_b32 s10, 0x7f800001
	s_xor_b64 s[4:5], exec, -1
; %bb.2455:
	s_or_b64 exec, exec, s[8:9]
	s_and_b64 s[4:5], s[4:5], exec
                                        ; implicit-def: $vgpr11
	s_or_saveexec_b64 s[6:7], s[6:7]
	v_mov_b32_e32 v12, s10
	s_xor_b64 exec, exec, s[6:7]
	s_cbranch_execz .LBB33_406
.LBB33_2456:
	v_cmp_ne_u16_e32 vcc, 0, v11
	s_andn2_b64 s[4:5], s[4:5], exec
	s_and_b64 s[8:9], vcc, exec
	v_mov_b32_e32 v12, 0
	s_or_b64 s[4:5], s[4:5], s[8:9]
	s_or_b64 exec, exec, s[6:7]
	s_and_saveexec_b64 s[6:7], s[4:5]
	s_cbranch_execnz .LBB33_407
	s_branch .LBB33_408
.LBB33_2457:
	s_movk_i32 s4, 0x80
	v_cmp_eq_u16_sdwa s[12:13], v6, s4 src0_sel:BYTE_3 src1_sel:DWORD
	s_mov_b64 s[4:5], -1
                                        ; implicit-def: $sgpr10
	s_and_saveexec_b64 s[8:9], s[12:13]
; %bb.2458:
	s_mov_b32 s10, 0x7f800001
	s_xor_b64 s[4:5], exec, -1
; %bb.2459:
	s_or_b64 exec, exec, s[8:9]
	s_and_b64 s[4:5], s[4:5], exec
	s_or_saveexec_b64 s[6:7], s[6:7]
	v_mov_b32_e32 v10, s10
	s_xor_b64 exec, exec, s[6:7]
	s_cbranch_execz .LBB33_410
.LBB33_2460:
	v_mov_b32_e32 v10, 0
	v_cmp_ne_u16_sdwa s[8:9], v6, v10 src0_sel:BYTE_3 src1_sel:DWORD
	s_andn2_b64 s[4:5], s[4:5], exec
	s_and_b64 s[8:9], s[8:9], exec
	s_or_b64 s[4:5], s[4:5], s[8:9]
	s_or_b64 exec, exec, s[6:7]
	s_and_saveexec_b64 s[6:7], s[4:5]
	s_cbranch_execnz .LBB33_411
	s_branch .LBB33_412
.LBB33_2461:
	s_movk_i32 s4, 0x80
	v_cmp_eq_u16_sdwa s[12:13], v2, s4 src0_sel:BYTE_3 src1_sel:DWORD
	s_mov_b64 s[4:5], -1
                                        ; implicit-def: $sgpr10
	s_and_saveexec_b64 s[8:9], s[12:13]
; %bb.2462:
	s_mov_b32 s10, 0x7f800001
	s_xor_b64 s[4:5], exec, -1
; %bb.2463:
	s_or_b64 exec, exec, s[8:9]
	s_and_b64 s[4:5], s[4:5], exec
	s_or_saveexec_b64 s[6:7], s[6:7]
	v_mov_b32_e32 v6, s10
	s_xor_b64 exec, exec, s[6:7]
	s_cbranch_execz .LBB33_414
.LBB33_2464:
	v_mov_b32_e32 v6, 0
	v_cmp_ne_u16_sdwa s[8:9], v2, v6 src0_sel:BYTE_3 src1_sel:DWORD
	s_andn2_b64 s[4:5], s[4:5], exec
	s_and_b64 s[8:9], s[8:9], exec
	s_or_b64 s[4:5], s[4:5], s[8:9]
	s_or_b64 exec, exec, s[6:7]
	s_and_saveexec_b64 s[6:7], s[4:5]
	s_cbranch_execnz .LBB33_415
	s_branch .LBB33_416
.LBB33_2465:
	s_movk_i32 s4, 0x80
	v_cmp_eq_u16_sdwa s[12:13], v7, s4 src0_sel:BYTE_0 src1_sel:DWORD
	s_mov_b64 s[4:5], -1
                                        ; implicit-def: $sgpr10
	s_and_saveexec_b64 s[8:9], s[12:13]
; %bb.2466:
	s_mov_b32 s10, 0x7f800001
	s_xor_b64 s[4:5], exec, -1
; %bb.2467:
	s_or_b64 exec, exec, s[8:9]
	s_and_b64 s[4:5], s[4:5], exec
	s_or_saveexec_b64 s[6:7], s[6:7]
	v_mov_b32_e32 v2, s10
	s_xor_b64 exec, exec, s[6:7]
	s_cbranch_execz .LBB33_418
.LBB33_2468:
	v_mov_b32_e32 v2, 0
	v_cmp_ne_u16_sdwa s[8:9], v7, v2 src0_sel:BYTE_0 src1_sel:DWORD
	s_andn2_b64 s[4:5], s[4:5], exec
	s_and_b64 s[8:9], s[8:9], exec
	s_or_b64 s[4:5], s[4:5], s[8:9]
	s_or_b64 exec, exec, s[6:7]
	s_and_saveexec_b64 s[6:7], s[4:5]
	s_cbranch_execnz .LBB33_419
	s_branch .LBB33_420
.LBB33_2469:
	s_movk_i32 s4, 0x80
	v_cmp_eq_u16_sdwa s[12:13], v3, s4 src0_sel:BYTE_0 src1_sel:DWORD
	s_mov_b64 s[4:5], -1
                                        ; implicit-def: $sgpr10
	s_and_saveexec_b64 s[8:9], s[12:13]
; %bb.2470:
	s_mov_b32 s10, 0x7f800001
	s_xor_b64 s[4:5], exec, -1
; %bb.2471:
	s_or_b64 exec, exec, s[8:9]
	s_and_b64 s[4:5], s[4:5], exec
	s_or_saveexec_b64 s[6:7], s[6:7]
	v_mov_b32_e32 v6, s10
	s_xor_b64 exec, exec, s[6:7]
	s_cbranch_execz .LBB33_422
.LBB33_2472:
	v_mov_b32_e32 v6, 0
	v_cmp_ne_u16_sdwa s[8:9], v3, v6 src0_sel:BYTE_0 src1_sel:DWORD
	s_andn2_b64 s[4:5], s[4:5], exec
	s_and_b64 s[8:9], s[8:9], exec
	s_or_b64 s[4:5], s[4:5], s[8:9]
	s_or_b64 exec, exec, s[6:7]
	s_and_saveexec_b64 s[6:7], s[4:5]
	s_cbranch_execnz .LBB33_423
	s_branch .LBB33_424
.LBB33_2473:
	s_movk_i32 s4, 0x80
	v_cmp_eq_u16_sdwa s[12:13], v6, s4 src0_sel:BYTE_0 src1_sel:DWORD
	s_mov_b64 s[4:5], -1
                                        ; implicit-def: $sgpr10
	s_and_saveexec_b64 s[8:9], s[12:13]
; %bb.2474:
	s_mov_b32 s10, 0x7f800001
	s_xor_b64 s[4:5], exec, -1
; %bb.2475:
	s_or_b64 exec, exec, s[8:9]
	s_and_b64 s[4:5], s[4:5], exec
	s_or_saveexec_b64 s[6:7], s[6:7]
	v_mov_b32_e32 v2, s10
	s_xor_b64 exec, exec, s[6:7]
	s_cbranch_execz .LBB33_426
.LBB33_2476:
	v_mov_b32_e32 v2, 0
	v_cmp_ne_u16_sdwa s[8:9], v6, v2 src0_sel:BYTE_0 src1_sel:DWORD
	s_andn2_b64 s[4:5], s[4:5], exec
	s_and_b64 s[8:9], s[8:9], exec
	s_or_b64 s[4:5], s[4:5], s[8:9]
	s_or_b64 exec, exec, s[6:7]
	s_and_saveexec_b64 s[6:7], s[4:5]
	s_cbranch_execnz .LBB33_427
	s_branch .LBB33_428
.LBB33_2477:
	s_movk_i32 s4, 0x80
	v_cmp_eq_u16_sdwa s[12:13], v6, s4 src0_sel:BYTE_0 src1_sel:DWORD
	s_mov_b64 s[4:5], -1
                                        ; implicit-def: $sgpr10
	s_and_saveexec_b64 s[8:9], s[12:13]
; %bb.2478:
	s_mov_b32 s10, 0x7f800001
	s_xor_b64 s[4:5], exec, -1
; %bb.2479:
	s_or_b64 exec, exec, s[8:9]
	s_and_b64 s[4:5], s[4:5], exec
	s_or_saveexec_b64 s[6:7], s[6:7]
	v_mov_b32_e32 v10, s10
	s_xor_b64 exec, exec, s[6:7]
	s_cbranch_execz .LBB33_430
.LBB33_2480:
	v_mov_b32_e32 v10, 0
	v_cmp_ne_u16_sdwa s[8:9], v6, v10 src0_sel:BYTE_0 src1_sel:DWORD
	s_andn2_b64 s[4:5], s[4:5], exec
	s_and_b64 s[8:9], s[8:9], exec
	s_or_b64 s[4:5], s[4:5], s[8:9]
	s_or_b64 exec, exec, s[6:7]
	s_and_saveexec_b64 s[6:7], s[4:5]
	s_cbranch_execnz .LBB33_431
	s_branch .LBB33_432
.LBB33_2481:
	s_movk_i32 s4, 0x80
	v_cmp_eq_u16_e32 vcc, s4, v6
	s_mov_b64 s[4:5], -1
                                        ; implicit-def: $sgpr10
	s_and_saveexec_b64 s[8:9], vcc
; %bb.2482:
	s_mov_b32 s10, 0x7f800001
	s_xor_b64 s[4:5], exec, -1
; %bb.2483:
	s_or_b64 exec, exec, s[8:9]
	s_and_b64 s[4:5], s[4:5], exec
                                        ; implicit-def: $vgpr6
	s_or_saveexec_b64 s[6:7], s[6:7]
	v_mov_b32_e32 v2, s10
	s_xor_b64 exec, exec, s[6:7]
	s_cbranch_execz .LBB33_434
.LBB33_2484:
	v_cmp_ne_u16_e32 vcc, 0, v6
	s_andn2_b64 s[4:5], s[4:5], exec
	s_and_b64 s[8:9], vcc, exec
	v_mov_b32_e32 v2, 0
	s_or_b64 s[4:5], s[4:5], s[8:9]
	s_or_b64 exec, exec, s[6:7]
	s_and_saveexec_b64 s[6:7], s[4:5]
	s_cbranch_execnz .LBB33_435
	s_branch .LBB33_436
.LBB33_2485:
	s_movk_i32 s4, 0x80
	v_cmp_eq_u16_e32 vcc, s4, v6
	s_mov_b64 s[4:5], -1
                                        ; implicit-def: $sgpr10
	s_and_saveexec_b64 s[8:9], vcc
; %bb.2486:
	s_mov_b32 s10, 0x7f800001
	s_xor_b64 s[4:5], exec, -1
; %bb.2487:
	s_or_b64 exec, exec, s[8:9]
	s_and_b64 s[4:5], s[4:5], exec
                                        ; implicit-def: $vgpr6
	s_or_saveexec_b64 s[6:7], s[6:7]
	v_mov_b32_e32 v10, s10
	s_xor_b64 exec, exec, s[6:7]
	s_cbranch_execz .LBB33_438
.LBB33_2488:
	v_cmp_ne_u16_e32 vcc, 0, v6
	s_andn2_b64 s[4:5], s[4:5], exec
	s_and_b64 s[8:9], vcc, exec
	v_mov_b32_e32 v10, 0
	s_or_b64 s[4:5], s[4:5], s[8:9]
	s_or_b64 exec, exec, s[6:7]
	s_and_saveexec_b64 s[6:7], s[4:5]
	s_cbranch_execnz .LBB33_439
	s_branch .LBB33_440
.LBB33_2489:
	s_movk_i32 s4, 0x80
	v_cmp_eq_u16_sdwa s[12:13], v7, s4 src0_sel:BYTE_3 src1_sel:DWORD
	s_mov_b64 s[4:5], -1
                                        ; implicit-def: $sgpr10
	s_and_saveexec_b64 s[8:9], s[12:13]
; %bb.2490:
	s_mov_b32 s10, 0x7f800001
	s_xor_b64 s[4:5], exec, -1
; %bb.2491:
	s_or_b64 exec, exec, s[8:9]
	s_and_b64 s[4:5], s[4:5], exec
	s_or_saveexec_b64 s[6:7], s[6:7]
	v_mov_b32_e32 v2, s10
	s_xor_b64 exec, exec, s[6:7]
	s_cbranch_execz .LBB33_442
.LBB33_2492:
	v_mov_b32_e32 v2, 0
	v_cmp_ne_u16_sdwa s[8:9], v7, v2 src0_sel:BYTE_3 src1_sel:DWORD
	s_andn2_b64 s[4:5], s[4:5], exec
	s_and_b64 s[8:9], s[8:9], exec
	s_or_b64 s[4:5], s[4:5], s[8:9]
	s_or_b64 exec, exec, s[6:7]
	s_and_saveexec_b64 s[6:7], s[4:5]
	s_cbranch_execnz .LBB33_443
	s_branch .LBB33_444
.LBB33_2493:
	s_movk_i32 s4, 0x80
	v_cmp_eq_u16_sdwa s[12:13], v3, s4 src0_sel:BYTE_3 src1_sel:DWORD
	s_mov_b64 s[4:5], -1
                                        ; implicit-def: $sgpr10
	s_and_saveexec_b64 s[8:9], s[12:13]
; %bb.2494:
	s_mov_b32 s10, 0x7f800001
	s_xor_b64 s[4:5], exec, -1
; %bb.2495:
	s_or_b64 exec, exec, s[8:9]
	s_and_b64 s[4:5], s[4:5], exec
	s_or_saveexec_b64 s[6:7], s[6:7]
	v_mov_b32_e32 v6, s10
	s_xor_b64 exec, exec, s[6:7]
	s_cbranch_execz .LBB33_446
.LBB33_2496:
	v_mov_b32_e32 v6, 0
	v_cmp_ne_u16_sdwa s[8:9], v3, v6 src0_sel:BYTE_3 src1_sel:DWORD
	s_andn2_b64 s[4:5], s[4:5], exec
	s_and_b64 s[8:9], s[8:9], exec
	s_or_b64 s[4:5], s[4:5], s[8:9]
	s_or_b64 exec, exec, s[6:7]
	s_and_saveexec_b64 s[6:7], s[4:5]
	s_cbranch_execnz .LBB33_447
	s_branch .LBB33_448
.LBB33_2497:
	s_movk_i32 s4, 0x80
	v_cmp_eq_u16_sdwa s[12:13], v8, s4 src0_sel:BYTE_0 src1_sel:DWORD
	s_mov_b64 s[4:5], -1
                                        ; implicit-def: $sgpr10
	s_and_saveexec_b64 s[8:9], s[12:13]
; %bb.2498:
	s_mov_b32 s10, 0x7f800001
	s_xor_b64 s[4:5], exec, -1
; %bb.2499:
	s_or_b64 exec, exec, s[8:9]
	s_and_b64 s[4:5], s[4:5], exec
	s_or_saveexec_b64 s[6:7], s[6:7]
	v_mov_b32_e32 v2, s10
	s_xor_b64 exec, exec, s[6:7]
	s_cbranch_execz .LBB33_450
.LBB33_2500:
	v_mov_b32_e32 v2, 0
	v_cmp_ne_u16_sdwa s[8:9], v8, v2 src0_sel:BYTE_0 src1_sel:DWORD
	s_andn2_b64 s[4:5], s[4:5], exec
	s_and_b64 s[8:9], s[8:9], exec
	s_or_b64 s[4:5], s[4:5], s[8:9]
	s_or_b64 exec, exec, s[6:7]
	s_and_saveexec_b64 s[6:7], s[4:5]
	s_cbranch_execnz .LBB33_451
	s_branch .LBB33_452
.LBB33_2501:
	s_movk_i32 s4, 0x80
	v_cmp_eq_u16_sdwa s[12:13], v4, s4 src0_sel:BYTE_0 src1_sel:DWORD
	s_mov_b64 s[4:5], -1
                                        ; implicit-def: $sgpr10
	s_and_saveexec_b64 s[8:9], s[12:13]
; %bb.2502:
	s_mov_b32 s10, 0x7f800001
	s_xor_b64 s[4:5], exec, -1
; %bb.2503:
	s_or_b64 exec, exec, s[8:9]
	s_and_b64 s[4:5], s[4:5], exec
	s_or_saveexec_b64 s[6:7], s[6:7]
	v_mov_b32_e32 v3, s10
	s_xor_b64 exec, exec, s[6:7]
	s_cbranch_execz .LBB33_454
.LBB33_2504:
	v_mov_b32_e32 v3, 0
	v_cmp_ne_u16_sdwa s[8:9], v4, v3 src0_sel:BYTE_0 src1_sel:DWORD
	s_andn2_b64 s[4:5], s[4:5], exec
	s_and_b64 s[8:9], s[8:9], exec
	s_or_b64 s[4:5], s[4:5], s[8:9]
	s_or_b64 exec, exec, s[6:7]
	s_and_saveexec_b64 s[6:7], s[4:5]
	s_cbranch_execnz .LBB33_455
	s_branch .LBB33_456
.LBB33_2505:
	s_movk_i32 s4, 0x80
	v_cmp_eq_u16_sdwa s[12:13], v3, s4 src0_sel:BYTE_0 src1_sel:DWORD
	s_mov_b64 s[4:5], -1
                                        ; implicit-def: $sgpr10
	s_and_saveexec_b64 s[8:9], s[12:13]
; %bb.2506:
	s_mov_b32 s10, 0x7f800001
	s_xor_b64 s[4:5], exec, -1
; %bb.2507:
	s_or_b64 exec, exec, s[8:9]
	s_and_b64 s[4:5], s[4:5], exec
	s_or_saveexec_b64 s[6:7], s[6:7]
	v_mov_b32_e32 v2, s10
	s_xor_b64 exec, exec, s[6:7]
	s_cbranch_execz .LBB33_458
.LBB33_2508:
	v_mov_b32_e32 v2, 0
	v_cmp_ne_u16_sdwa s[8:9], v3, v2 src0_sel:BYTE_0 src1_sel:DWORD
	s_andn2_b64 s[4:5], s[4:5], exec
	s_and_b64 s[8:9], s[8:9], exec
	s_or_b64 s[4:5], s[4:5], s[8:9]
	s_or_b64 exec, exec, s[6:7]
	s_and_saveexec_b64 s[6:7], s[4:5]
	s_cbranch_execnz .LBB33_459
	s_branch .LBB33_460
.LBB33_2509:
	s_movk_i32 s4, 0x80
	v_cmp_eq_u16_sdwa s[12:13], v3, s4 src0_sel:BYTE_0 src1_sel:DWORD
	s_mov_b64 s[4:5], -1
                                        ; implicit-def: $sgpr10
	s_and_saveexec_b64 s[8:9], s[12:13]
; %bb.2510:
	s_mov_b32 s10, 0x7f800001
	s_xor_b64 s[4:5], exec, -1
; %bb.2511:
	s_or_b64 exec, exec, s[8:9]
	s_and_b64 s[4:5], s[4:5], exec
	s_or_saveexec_b64 s[6:7], s[6:7]
	v_mov_b32_e32 v6, s10
	s_xor_b64 exec, exec, s[6:7]
	s_cbranch_execz .LBB33_462
.LBB33_2512:
	v_mov_b32_e32 v6, 0
	v_cmp_ne_u16_sdwa s[8:9], v3, v6 src0_sel:BYTE_0 src1_sel:DWORD
	s_andn2_b64 s[4:5], s[4:5], exec
	s_and_b64 s[8:9], s[8:9], exec
	s_or_b64 s[4:5], s[4:5], s[8:9]
	s_or_b64 exec, exec, s[6:7]
	s_and_saveexec_b64 s[6:7], s[4:5]
	s_cbranch_execnz .LBB33_463
	s_branch .LBB33_464
.LBB33_2513:
	s_movk_i32 s4, 0x80
	v_cmp_eq_u16_e32 vcc, s4, v3
	s_mov_b64 s[4:5], -1
                                        ; implicit-def: $sgpr10
	s_and_saveexec_b64 s[8:9], vcc
; %bb.2514:
	s_mov_b32 s10, 0x7f800001
	s_xor_b64 s[4:5], exec, -1
; %bb.2515:
	s_or_b64 exec, exec, s[8:9]
	s_and_b64 s[4:5], s[4:5], exec
                                        ; implicit-def: $vgpr3
	s_or_saveexec_b64 s[6:7], s[6:7]
	v_mov_b32_e32 v2, s10
	s_xor_b64 exec, exec, s[6:7]
	s_cbranch_execz .LBB33_466
.LBB33_2516:
	v_cmp_ne_u16_e32 vcc, 0, v3
	s_andn2_b64 s[4:5], s[4:5], exec
	s_and_b64 s[8:9], vcc, exec
	v_mov_b32_e32 v2, 0
	s_or_b64 s[4:5], s[4:5], s[8:9]
	s_or_b64 exec, exec, s[6:7]
	s_and_saveexec_b64 s[6:7], s[4:5]
	s_cbranch_execnz .LBB33_467
	s_branch .LBB33_468
.LBB33_2517:
	s_movk_i32 s4, 0x80
	v_cmp_eq_u16_e32 vcc, s4, v3
	s_mov_b64 s[4:5], -1
                                        ; implicit-def: $sgpr10
	s_and_saveexec_b64 s[8:9], vcc
; %bb.2518:
	s_mov_b32 s10, 0x7f800001
	s_xor_b64 s[4:5], exec, -1
; %bb.2519:
	s_or_b64 exec, exec, s[8:9]
	s_and_b64 s[4:5], s[4:5], exec
                                        ; implicit-def: $vgpr3
	s_or_saveexec_b64 s[6:7], s[6:7]
	v_mov_b32_e32 v6, s10
	s_xor_b64 exec, exec, s[6:7]
	s_cbranch_execz .LBB33_470
.LBB33_2520:
	v_cmp_ne_u16_e32 vcc, 0, v3
	s_andn2_b64 s[4:5], s[4:5], exec
	s_and_b64 s[8:9], vcc, exec
	v_mov_b32_e32 v6, 0
	s_or_b64 s[4:5], s[4:5], s[8:9]
	s_or_b64 exec, exec, s[6:7]
	s_and_saveexec_b64 s[6:7], s[4:5]
	s_cbranch_execnz .LBB33_471
	s_branch .LBB33_472
.LBB33_2521:
	s_movk_i32 s4, 0x80
	v_cmp_eq_u16_sdwa s[12:13], v8, s4 src0_sel:BYTE_3 src1_sel:DWORD
	s_mov_b64 s[4:5], -1
                                        ; implicit-def: $sgpr10
	s_and_saveexec_b64 s[8:9], s[12:13]
; %bb.2522:
	s_mov_b32 s10, 0x7f800001
	s_xor_b64 s[4:5], exec, -1
; %bb.2523:
	s_or_b64 exec, exec, s[8:9]
	s_and_b64 s[4:5], s[4:5], exec
	s_or_saveexec_b64 s[6:7], s[6:7]
	v_mov_b32_e32 v2, s10
	s_xor_b64 exec, exec, s[6:7]
	s_cbranch_execz .LBB33_474
.LBB33_2524:
	v_mov_b32_e32 v2, 0
	v_cmp_ne_u16_sdwa s[8:9], v8, v2 src0_sel:BYTE_3 src1_sel:DWORD
	s_andn2_b64 s[4:5], s[4:5], exec
	s_and_b64 s[8:9], s[8:9], exec
	s_or_b64 s[4:5], s[4:5], s[8:9]
	s_or_b64 exec, exec, s[6:7]
	s_and_saveexec_b64 s[6:7], s[4:5]
	s_cbranch_execnz .LBB33_475
	s_branch .LBB33_476
.LBB33_2525:
	s_movk_i32 s4, 0x80
	v_cmp_eq_u16_sdwa s[12:13], v4, s4 src0_sel:BYTE_3 src1_sel:DWORD
	s_mov_b64 s[4:5], -1
                                        ; implicit-def: $sgpr10
	s_and_saveexec_b64 s[8:9], s[12:13]
; %bb.2526:
	s_mov_b32 s10, 0x7f800001
	s_xor_b64 s[4:5], exec, -1
; %bb.2527:
	s_or_b64 exec, exec, s[8:9]
	s_and_b64 s[4:5], s[4:5], exec
	s_or_saveexec_b64 s[6:7], s[6:7]
	v_mov_b32_e32 v3, s10
	s_xor_b64 exec, exec, s[6:7]
	s_cbranch_execz .LBB33_478
.LBB33_2528:
	v_mov_b32_e32 v3, 0
	v_cmp_ne_u16_sdwa s[8:9], v4, v3 src0_sel:BYTE_3 src1_sel:DWORD
	s_andn2_b64 s[4:5], s[4:5], exec
	s_and_b64 s[8:9], s[8:9], exec
	s_or_b64 s[4:5], s[4:5], s[8:9]
	s_or_b64 exec, exec, s[6:7]
	s_and_saveexec_b64 s[6:7], s[4:5]
	s_cbranch_execnz .LBB33_479
	s_branch .LBB33_480
.LBB33_2529:
	s_movk_i32 s4, 0x80
	v_cmp_eq_u16_sdwa s[12:13], v9, s4 src0_sel:BYTE_0 src1_sel:DWORD
	s_mov_b64 s[4:5], -1
                                        ; implicit-def: $sgpr10
	s_and_saveexec_b64 s[8:9], s[12:13]
; %bb.2530:
	s_mov_b32 s10, 0x7f800001
	s_xor_b64 s[4:5], exec, -1
; %bb.2531:
	s_or_b64 exec, exec, s[8:9]
	s_and_b64 s[4:5], s[4:5], exec
	s_or_saveexec_b64 s[6:7], s[6:7]
	v_mov_b32_e32 v2, s10
	s_xor_b64 exec, exec, s[6:7]
	s_cbranch_execz .LBB33_482
.LBB33_2532:
	v_mov_b32_e32 v2, 0
	v_cmp_ne_u16_sdwa s[8:9], v9, v2 src0_sel:BYTE_0 src1_sel:DWORD
	s_andn2_b64 s[4:5], s[4:5], exec
	s_and_b64 s[8:9], s[8:9], exec
	s_or_b64 s[4:5], s[4:5], s[8:9]
	s_or_b64 exec, exec, s[6:7]
	s_and_saveexec_b64 s[6:7], s[4:5]
	s_cbranch_execnz .LBB33_483
	s_branch .LBB33_484
.LBB33_2533:
	s_movk_i32 s4, 0x80
	v_cmp_eq_u16_sdwa s[12:13], v5, s4 src0_sel:BYTE_0 src1_sel:DWORD
	s_mov_b64 s[4:5], -1
                                        ; implicit-def: $sgpr10
	s_and_saveexec_b64 s[8:9], s[12:13]
; %bb.2534:
	s_mov_b32 s10, 0x7f800001
	s_xor_b64 s[4:5], exec, -1
; %bb.2535:
	s_or_b64 exec, exec, s[8:9]
	s_and_b64 s[4:5], s[4:5], exec
	s_or_saveexec_b64 s[6:7], s[6:7]
	v_mov_b32_e32 v3, s10
	s_xor_b64 exec, exec, s[6:7]
	s_cbranch_execz .LBB33_486
.LBB33_2536:
	v_mov_b32_e32 v3, 0
	v_cmp_ne_u16_sdwa s[8:9], v5, v3 src0_sel:BYTE_0 src1_sel:DWORD
	s_andn2_b64 s[4:5], s[4:5], exec
	s_and_b64 s[8:9], s[8:9], exec
	s_or_b64 s[4:5], s[4:5], s[8:9]
	s_or_b64 exec, exec, s[6:7]
	s_and_saveexec_b64 s[6:7], s[4:5]
	s_cbranch_execnz .LBB33_487
	s_branch .LBB33_488
.LBB33_2537:
	s_movk_i32 s4, 0x80
	v_cmp_eq_u16_sdwa s[12:13], v3, s4 src0_sel:BYTE_0 src1_sel:DWORD
	s_mov_b64 s[4:5], -1
                                        ; implicit-def: $sgpr10
	s_and_saveexec_b64 s[8:9], s[12:13]
; %bb.2538:
	s_mov_b32 s10, 0x7f800001
	s_xor_b64 s[4:5], exec, -1
; %bb.2539:
	s_or_b64 exec, exec, s[8:9]
	s_and_b64 s[4:5], s[4:5], exec
	s_or_saveexec_b64 s[6:7], s[6:7]
	v_mov_b32_e32 v2, s10
	s_xor_b64 exec, exec, s[6:7]
	s_cbranch_execz .LBB33_490
.LBB33_2540:
	v_mov_b32_e32 v2, 0
	v_cmp_ne_u16_sdwa s[8:9], v3, v2 src0_sel:BYTE_0 src1_sel:DWORD
	s_andn2_b64 s[4:5], s[4:5], exec
	s_and_b64 s[8:9], s[8:9], exec
	s_or_b64 s[4:5], s[4:5], s[8:9]
	s_or_b64 exec, exec, s[6:7]
	s_and_saveexec_b64 s[6:7], s[4:5]
	s_cbranch_execnz .LBB33_491
	s_branch .LBB33_492
.LBB33_2541:
	s_movk_i32 s4, 0x80
	v_cmp_eq_u16_sdwa s[12:13], v3, s4 src0_sel:BYTE_0 src1_sel:DWORD
	s_mov_b64 s[4:5], -1
                                        ; implicit-def: $sgpr10
	s_and_saveexec_b64 s[8:9], s[12:13]
; %bb.2542:
	s_mov_b32 s10, 0x7f800001
	s_xor_b64 s[4:5], exec, -1
; %bb.2543:
	s_or_b64 exec, exec, s[8:9]
	s_and_b64 s[4:5], s[4:5], exec
	s_or_saveexec_b64 s[6:7], s[6:7]
	v_mov_b32_e32 v4, s10
	s_xor_b64 exec, exec, s[6:7]
	s_cbranch_execz .LBB33_494
.LBB33_2544:
	v_mov_b32_e32 v4, 0
	v_cmp_ne_u16_sdwa s[8:9], v3, v4 src0_sel:BYTE_0 src1_sel:DWORD
	s_andn2_b64 s[4:5], s[4:5], exec
	s_and_b64 s[8:9], s[8:9], exec
	s_or_b64 s[4:5], s[4:5], s[8:9]
	s_or_b64 exec, exec, s[6:7]
	s_and_saveexec_b64 s[6:7], s[4:5]
	s_cbranch_execnz .LBB33_495
	s_branch .LBB33_496
.LBB33_2545:
	s_movk_i32 s4, 0x80
	v_cmp_eq_u16_e32 vcc, s4, v3
	s_mov_b64 s[4:5], -1
                                        ; implicit-def: $sgpr10
	s_and_saveexec_b64 s[8:9], vcc
; %bb.2546:
	s_mov_b32 s10, 0x7f800001
	s_xor_b64 s[4:5], exec, -1
; %bb.2547:
	s_or_b64 exec, exec, s[8:9]
	s_and_b64 s[4:5], s[4:5], exec
                                        ; implicit-def: $vgpr3
	s_or_saveexec_b64 s[6:7], s[6:7]
	v_mov_b32_e32 v2, s10
	s_xor_b64 exec, exec, s[6:7]
	s_cbranch_execz .LBB33_498
.LBB33_2548:
	v_cmp_ne_u16_e32 vcc, 0, v3
	s_andn2_b64 s[4:5], s[4:5], exec
	s_and_b64 s[8:9], vcc, exec
	v_mov_b32_e32 v2, 0
	s_or_b64 s[4:5], s[4:5], s[8:9]
	s_or_b64 exec, exec, s[6:7]
	s_and_saveexec_b64 s[6:7], s[4:5]
	s_cbranch_execnz .LBB33_499
	s_branch .LBB33_500
.LBB33_2549:
	s_movk_i32 s4, 0x80
	v_cmp_eq_u16_e32 vcc, s4, v3
	s_mov_b64 s[4:5], -1
                                        ; implicit-def: $sgpr10
	s_and_saveexec_b64 s[8:9], vcc
; %bb.2550:
	s_mov_b32 s10, 0x7f800001
	s_xor_b64 s[4:5], exec, -1
; %bb.2551:
	s_or_b64 exec, exec, s[8:9]
	s_and_b64 s[4:5], s[4:5], exec
                                        ; implicit-def: $vgpr3
	s_or_saveexec_b64 s[6:7], s[6:7]
	v_mov_b32_e32 v4, s10
	s_xor_b64 exec, exec, s[6:7]
	s_cbranch_execz .LBB33_502
.LBB33_2552:
	v_cmp_ne_u16_e32 vcc, 0, v3
	s_andn2_b64 s[4:5], s[4:5], exec
	s_and_b64 s[8:9], vcc, exec
	v_mov_b32_e32 v4, 0
	s_or_b64 s[4:5], s[4:5], s[8:9]
	s_or_b64 exec, exec, s[6:7]
	s_and_saveexec_b64 s[6:7], s[4:5]
	s_cbranch_execnz .LBB33_503
	s_branch .LBB33_504
.LBB33_2553:
	s_movk_i32 s4, 0x80
	v_cmp_eq_u16_sdwa s[12:13], v9, s4 src0_sel:BYTE_3 src1_sel:DWORD
	s_mov_b64 s[4:5], -1
                                        ; implicit-def: $sgpr10
	s_and_saveexec_b64 s[8:9], s[12:13]
; %bb.2554:
	s_mov_b32 s10, 0x7f800001
	s_xor_b64 s[4:5], exec, -1
; %bb.2555:
	s_or_b64 exec, exec, s[8:9]
	s_and_b64 s[4:5], s[4:5], exec
	s_or_saveexec_b64 s[6:7], s[6:7]
	v_mov_b32_e32 v2, s10
	s_xor_b64 exec, exec, s[6:7]
	s_cbranch_execz .LBB33_506
.LBB33_2556:
	v_mov_b32_e32 v2, 0
	v_cmp_ne_u16_sdwa s[8:9], v9, v2 src0_sel:BYTE_3 src1_sel:DWORD
	s_andn2_b64 s[4:5], s[4:5], exec
	s_and_b64 s[8:9], s[8:9], exec
	s_or_b64 s[4:5], s[4:5], s[8:9]
	s_or_b64 exec, exec, s[6:7]
	s_and_saveexec_b64 s[6:7], s[4:5]
	s_cbranch_execnz .LBB33_507
	s_branch .LBB33_508
.LBB33_2557:
	s_movk_i32 s4, 0x80
	v_cmp_eq_u16_sdwa s[12:13], v5, s4 src0_sel:BYTE_3 src1_sel:DWORD
	s_mov_b64 s[4:5], -1
                                        ; implicit-def: $sgpr10
	s_and_saveexec_b64 s[8:9], s[12:13]
; %bb.2558:
	s_mov_b32 s10, 0x7f800001
	s_xor_b64 s[4:5], exec, -1
; %bb.2559:
	s_or_b64 exec, exec, s[8:9]
	s_and_b64 s[4:5], s[4:5], exec
	s_or_saveexec_b64 s[6:7], s[6:7]
	v_mov_b32_e32 v3, s10
	s_xor_b64 exec, exec, s[6:7]
	s_cbranch_execz .LBB33_510
.LBB33_2560:
	v_mov_b32_e32 v3, 0
	v_cmp_ne_u16_sdwa s[8:9], v5, v3 src0_sel:BYTE_3 src1_sel:DWORD
	s_andn2_b64 s[4:5], s[4:5], exec
	s_and_b64 s[8:9], s[8:9], exec
	s_or_b64 s[4:5], s[4:5], s[8:9]
	s_or_b64 exec, exec, s[6:7]
	s_and_saveexec_b64 s[6:7], s[4:5]
	s_cbranch_execnz .LBB33_511
	s_branch .LBB33_512
.LBB33_2561:
	s_movk_i32 s4, 0x80
	v_cmp_eq_u16_sdwa s[12:13], v14, s4 src0_sel:BYTE_0 src1_sel:DWORD
	s_mov_b64 s[4:5], -1
                                        ; implicit-def: $sgpr10
	s_and_saveexec_b64 s[8:9], s[12:13]
; %bb.2562:
	s_mov_b32 s10, 0x7f800001
	s_xor_b64 s[4:5], exec, -1
; %bb.2563:
	s_or_b64 exec, exec, s[8:9]
	s_and_b64 s[4:5], s[4:5], exec
	s_or_saveexec_b64 s[6:7], s[6:7]
	v_mov_b32_e32 v20, s10
	s_xor_b64 exec, exec, s[6:7]
	s_cbranch_execz .LBB33_514
.LBB33_2564:
	v_mov_b32_e32 v20, 0
	v_cmp_ne_u16_sdwa s[8:9], v14, v20 src0_sel:BYTE_0 src1_sel:DWORD
	s_andn2_b64 s[4:5], s[4:5], exec
	s_and_b64 s[8:9], s[8:9], exec
	s_or_b64 s[4:5], s[4:5], s[8:9]
	s_or_b64 exec, exec, s[6:7]
	s_and_saveexec_b64 s[6:7], s[4:5]
	s_cbranch_execnz .LBB33_515
	s_branch .LBB33_516
.LBB33_2565:
	s_movk_i32 s4, 0x80
	v_cmp_eq_u16_sdwa s[12:13], v10, s4 src0_sel:BYTE_0 src1_sel:DWORD
	s_mov_b64 s[4:5], -1
                                        ; implicit-def: $sgpr10
	s_and_saveexec_b64 s[8:9], s[12:13]
; %bb.2566:
	s_mov_b32 s10, 0x7f800001
	s_xor_b64 s[4:5], exec, -1
; %bb.2567:
	s_or_b64 exec, exec, s[8:9]
	s_and_b64 s[4:5], s[4:5], exec
	s_or_saveexec_b64 s[6:7], s[6:7]
	v_mov_b32_e32 v21, s10
	s_xor_b64 exec, exec, s[6:7]
	s_cbranch_execz .LBB33_518
.LBB33_2568:
	v_mov_b32_e32 v21, 0
	v_cmp_ne_u16_sdwa s[8:9], v10, v21 src0_sel:BYTE_0 src1_sel:DWORD
	s_andn2_b64 s[4:5], s[4:5], exec
	s_and_b64 s[8:9], s[8:9], exec
	s_or_b64 s[4:5], s[4:5], s[8:9]
	s_or_b64 exec, exec, s[6:7]
	s_and_saveexec_b64 s[6:7], s[4:5]
	s_cbranch_execnz .LBB33_519
	s_branch .LBB33_520
.LBB33_2569:
	s_movk_i32 s4, 0x80
	v_cmp_eq_u16_sdwa s[12:13], v21, s4 src0_sel:BYTE_0 src1_sel:DWORD
	s_mov_b64 s[4:5], -1
                                        ; implicit-def: $sgpr10
	s_and_saveexec_b64 s[8:9], s[12:13]
; %bb.2570:
	s_mov_b32 s10, 0x7f800001
	s_xor_b64 s[4:5], exec, -1
; %bb.2571:
	s_or_b64 exec, exec, s[8:9]
	s_and_b64 s[4:5], s[4:5], exec
	s_or_saveexec_b64 s[6:7], s[6:7]
	v_mov_b32_e32 v20, s10
	s_xor_b64 exec, exec, s[6:7]
	s_cbranch_execz .LBB33_522
.LBB33_2572:
	v_mov_b32_e32 v20, 0
	v_cmp_ne_u16_sdwa s[8:9], v21, v20 src0_sel:BYTE_0 src1_sel:DWORD
	s_andn2_b64 s[4:5], s[4:5], exec
	s_and_b64 s[8:9], s[8:9], exec
	s_or_b64 s[4:5], s[4:5], s[8:9]
	s_or_b64 exec, exec, s[6:7]
	s_and_saveexec_b64 s[6:7], s[4:5]
	s_cbranch_execnz .LBB33_523
	s_branch .LBB33_524
.LBB33_2573:
	s_movk_i32 s4, 0x80
	v_cmp_eq_u16_sdwa s[12:13], v21, s4 src0_sel:BYTE_0 src1_sel:DWORD
	s_mov_b64 s[4:5], -1
                                        ; implicit-def: $sgpr10
	s_and_saveexec_b64 s[8:9], s[12:13]
; %bb.2574:
	s_mov_b32 s10, 0x7f800001
	s_xor_b64 s[4:5], exec, -1
; %bb.2575:
	s_or_b64 exec, exec, s[8:9]
	s_and_b64 s[4:5], s[4:5], exec
	s_or_saveexec_b64 s[6:7], s[6:7]
	v_mov_b32_e32 v22, s10
	s_xor_b64 exec, exec, s[6:7]
	s_cbranch_execz .LBB33_526
.LBB33_2576:
	v_mov_b32_e32 v22, 0
	v_cmp_ne_u16_sdwa s[8:9], v21, v22 src0_sel:BYTE_0 src1_sel:DWORD
	s_andn2_b64 s[4:5], s[4:5], exec
	s_and_b64 s[8:9], s[8:9], exec
	s_or_b64 s[4:5], s[4:5], s[8:9]
	s_or_b64 exec, exec, s[6:7]
	s_and_saveexec_b64 s[6:7], s[4:5]
	s_cbranch_execnz .LBB33_527
	s_branch .LBB33_528
.LBB33_2577:
	s_movk_i32 s4, 0x80
	v_cmp_eq_u16_e32 vcc, s4, v21
	s_mov_b64 s[4:5], -1
                                        ; implicit-def: $sgpr10
	s_and_saveexec_b64 s[8:9], vcc
; %bb.2578:
	s_mov_b32 s10, 0x7f800001
	s_xor_b64 s[4:5], exec, -1
; %bb.2579:
	s_or_b64 exec, exec, s[8:9]
	s_and_b64 s[4:5], s[4:5], exec
                                        ; implicit-def: $vgpr21
	s_or_saveexec_b64 s[6:7], s[6:7]
	v_mov_b32_e32 v20, s10
	s_xor_b64 exec, exec, s[6:7]
	s_cbranch_execz .LBB33_530
.LBB33_2580:
	v_cmp_ne_u16_e32 vcc, 0, v21
	s_andn2_b64 s[4:5], s[4:5], exec
	s_and_b64 s[8:9], vcc, exec
	v_mov_b32_e32 v20, 0
	s_or_b64 s[4:5], s[4:5], s[8:9]
	s_or_b64 exec, exec, s[6:7]
	s_and_saveexec_b64 s[6:7], s[4:5]
	s_cbranch_execnz .LBB33_531
	s_branch .LBB33_532
.LBB33_2581:
	s_movk_i32 s4, 0x80
	v_cmp_eq_u16_e32 vcc, s4, v21
	s_mov_b64 s[4:5], -1
                                        ; implicit-def: $sgpr10
	s_and_saveexec_b64 s[8:9], vcc
; %bb.2582:
	s_mov_b32 s10, 0x7f800001
	s_xor_b64 s[4:5], exec, -1
; %bb.2583:
	s_or_b64 exec, exec, s[8:9]
	s_and_b64 s[4:5], s[4:5], exec
                                        ; implicit-def: $vgpr21
	s_or_saveexec_b64 s[6:7], s[6:7]
	v_mov_b32_e32 v22, s10
	s_xor_b64 exec, exec, s[6:7]
	s_cbranch_execz .LBB33_534
.LBB33_2584:
	v_cmp_ne_u16_e32 vcc, 0, v21
	s_andn2_b64 s[4:5], s[4:5], exec
	s_and_b64 s[8:9], vcc, exec
	v_mov_b32_e32 v22, 0
	s_or_b64 s[4:5], s[4:5], s[8:9]
	s_or_b64 exec, exec, s[6:7]
	s_and_saveexec_b64 s[6:7], s[4:5]
	s_cbranch_execnz .LBB33_535
	s_branch .LBB33_536
.LBB33_2585:
	s_movk_i32 s4, 0x80
	v_cmp_eq_u16_sdwa s[12:13], v14, s4 src0_sel:BYTE_3 src1_sel:DWORD
	s_mov_b64 s[4:5], -1
                                        ; implicit-def: $sgpr10
	s_and_saveexec_b64 s[8:9], s[12:13]
; %bb.2586:
	s_mov_b32 s10, 0x7f800001
	s_xor_b64 s[4:5], exec, -1
; %bb.2587:
	s_or_b64 exec, exec, s[8:9]
	s_and_b64 s[4:5], s[4:5], exec
	s_or_saveexec_b64 s[6:7], s[6:7]
	v_mov_b32_e32 v20, s10
	s_xor_b64 exec, exec, s[6:7]
	s_cbranch_execz .LBB33_538
.LBB33_2588:
	v_mov_b32_e32 v20, 0
	v_cmp_ne_u16_sdwa s[8:9], v14, v20 src0_sel:BYTE_3 src1_sel:DWORD
	s_andn2_b64 s[4:5], s[4:5], exec
	s_and_b64 s[8:9], s[8:9], exec
	s_or_b64 s[4:5], s[4:5], s[8:9]
	s_or_b64 exec, exec, s[6:7]
	s_and_saveexec_b64 s[6:7], s[4:5]
	s_cbranch_execnz .LBB33_539
	s_branch .LBB33_540
.LBB33_2589:
	s_movk_i32 s4, 0x80
	v_cmp_eq_u16_sdwa s[12:13], v10, s4 src0_sel:BYTE_3 src1_sel:DWORD
	s_mov_b64 s[4:5], -1
                                        ; implicit-def: $sgpr10
	s_and_saveexec_b64 s[8:9], s[12:13]
; %bb.2590:
	s_mov_b32 s10, 0x7f800001
	s_xor_b64 s[4:5], exec, -1
; %bb.2591:
	s_or_b64 exec, exec, s[8:9]
	s_and_b64 s[4:5], s[4:5], exec
	s_or_saveexec_b64 s[6:7], s[6:7]
	v_mov_b32_e32 v14, s10
	s_xor_b64 exec, exec, s[6:7]
	s_cbranch_execz .LBB33_542
.LBB33_2592:
	v_mov_b32_e32 v14, 0
	v_cmp_ne_u16_sdwa s[8:9], v10, v14 src0_sel:BYTE_3 src1_sel:DWORD
	s_andn2_b64 s[4:5], s[4:5], exec
	s_and_b64 s[8:9], s[8:9], exec
	s_or_b64 s[4:5], s[4:5], s[8:9]
	s_or_b64 exec, exec, s[6:7]
	s_and_saveexec_b64 s[6:7], s[4:5]
	s_cbranch_execnz .LBB33_543
	s_branch .LBB33_544
.LBB33_2593:
	s_movk_i32 s4, 0x80
	v_cmp_eq_u16_sdwa s[12:13], v15, s4 src0_sel:BYTE_0 src1_sel:DWORD
	s_mov_b64 s[4:5], -1
                                        ; implicit-def: $sgpr10
	s_and_saveexec_b64 s[8:9], s[12:13]
; %bb.2594:
	s_mov_b32 s10, 0x7f800001
	s_xor_b64 s[4:5], exec, -1
; %bb.2595:
	s_or_b64 exec, exec, s[8:9]
	s_and_b64 s[4:5], s[4:5], exec
	s_or_saveexec_b64 s[6:7], s[6:7]
	v_mov_b32_e32 v10, s10
	s_xor_b64 exec, exec, s[6:7]
	s_cbranch_execz .LBB33_546
.LBB33_2596:
	v_mov_b32_e32 v10, 0
	v_cmp_ne_u16_sdwa s[8:9], v15, v10 src0_sel:BYTE_0 src1_sel:DWORD
	s_andn2_b64 s[4:5], s[4:5], exec
	s_and_b64 s[8:9], s[8:9], exec
	s_or_b64 s[4:5], s[4:5], s[8:9]
	s_or_b64 exec, exec, s[6:7]
	s_and_saveexec_b64 s[6:7], s[4:5]
	s_cbranch_execnz .LBB33_547
	s_branch .LBB33_548
.LBB33_2597:
	s_movk_i32 s4, 0x80
	v_cmp_eq_u16_sdwa s[12:13], v11, s4 src0_sel:BYTE_0 src1_sel:DWORD
	s_mov_b64 s[4:5], -1
                                        ; implicit-def: $sgpr10
	s_and_saveexec_b64 s[8:9], s[12:13]
; %bb.2598:
	s_mov_b32 s10, 0x7f800001
	s_xor_b64 s[4:5], exec, -1
; %bb.2599:
	s_or_b64 exec, exec, s[8:9]
	s_and_b64 s[4:5], s[4:5], exec
	s_or_saveexec_b64 s[6:7], s[6:7]
	v_mov_b32_e32 v14, s10
	s_xor_b64 exec, exec, s[6:7]
	s_cbranch_execz .LBB33_550
.LBB33_2600:
	v_mov_b32_e32 v14, 0
	v_cmp_ne_u16_sdwa s[8:9], v11, v14 src0_sel:BYTE_0 src1_sel:DWORD
	s_andn2_b64 s[4:5], s[4:5], exec
	s_and_b64 s[8:9], s[8:9], exec
	s_or_b64 s[4:5], s[4:5], s[8:9]
	s_or_b64 exec, exec, s[6:7]
	s_and_saveexec_b64 s[6:7], s[4:5]
	s_cbranch_execnz .LBB33_551
	s_branch .LBB33_552
.LBB33_2601:
	s_movk_i32 s4, 0x80
	v_cmp_eq_u16_sdwa s[12:13], v14, s4 src0_sel:BYTE_0 src1_sel:DWORD
	s_mov_b64 s[4:5], -1
                                        ; implicit-def: $sgpr10
	s_and_saveexec_b64 s[8:9], s[12:13]
; %bb.2602:
	s_mov_b32 s10, 0x7f800001
	s_xor_b64 s[4:5], exec, -1
; %bb.2603:
	s_or_b64 exec, exec, s[8:9]
	s_and_b64 s[4:5], s[4:5], exec
	s_or_saveexec_b64 s[6:7], s[6:7]
	v_mov_b32_e32 v10, s10
	s_xor_b64 exec, exec, s[6:7]
	s_cbranch_execz .LBB33_554
.LBB33_2604:
	v_mov_b32_e32 v10, 0
	v_cmp_ne_u16_sdwa s[8:9], v14, v10 src0_sel:BYTE_0 src1_sel:DWORD
	s_andn2_b64 s[4:5], s[4:5], exec
	s_and_b64 s[8:9], s[8:9], exec
	s_or_b64 s[4:5], s[4:5], s[8:9]
	s_or_b64 exec, exec, s[6:7]
	s_and_saveexec_b64 s[6:7], s[4:5]
	s_cbranch_execnz .LBB33_555
	s_branch .LBB33_556
.LBB33_2605:
	s_movk_i32 s4, 0x80
	v_cmp_eq_u16_sdwa s[12:13], v14, s4 src0_sel:BYTE_0 src1_sel:DWORD
	s_mov_b64 s[4:5], -1
                                        ; implicit-def: $sgpr10
	s_and_saveexec_b64 s[8:9], s[12:13]
; %bb.2606:
	s_mov_b32 s10, 0x7f800001
	s_xor_b64 s[4:5], exec, -1
; %bb.2607:
	s_or_b64 exec, exec, s[8:9]
	s_and_b64 s[4:5], s[4:5], exec
	s_or_saveexec_b64 s[6:7], s[6:7]
	v_mov_b32_e32 v20, s10
	s_xor_b64 exec, exec, s[6:7]
	s_cbranch_execz .LBB33_558
.LBB33_2608:
	v_mov_b32_e32 v20, 0
	v_cmp_ne_u16_sdwa s[8:9], v14, v20 src0_sel:BYTE_0 src1_sel:DWORD
	s_andn2_b64 s[4:5], s[4:5], exec
	s_and_b64 s[8:9], s[8:9], exec
	s_or_b64 s[4:5], s[4:5], s[8:9]
	s_or_b64 exec, exec, s[6:7]
	s_and_saveexec_b64 s[6:7], s[4:5]
	s_cbranch_execnz .LBB33_559
	s_branch .LBB33_560
.LBB33_2609:
	s_movk_i32 s4, 0x80
	v_cmp_eq_u16_e32 vcc, s4, v14
	s_mov_b64 s[4:5], -1
                                        ; implicit-def: $sgpr10
	s_and_saveexec_b64 s[8:9], vcc
; %bb.2610:
	s_mov_b32 s10, 0x7f800001
	s_xor_b64 s[4:5], exec, -1
; %bb.2611:
	s_or_b64 exec, exec, s[8:9]
	s_and_b64 s[4:5], s[4:5], exec
                                        ; implicit-def: $vgpr14
	s_or_saveexec_b64 s[6:7], s[6:7]
	v_mov_b32_e32 v10, s10
	s_xor_b64 exec, exec, s[6:7]
	s_cbranch_execz .LBB33_562
.LBB33_2612:
	v_cmp_ne_u16_e32 vcc, 0, v14
	s_andn2_b64 s[4:5], s[4:5], exec
	s_and_b64 s[8:9], vcc, exec
	v_mov_b32_e32 v10, 0
	s_or_b64 s[4:5], s[4:5], s[8:9]
	s_or_b64 exec, exec, s[6:7]
	s_and_saveexec_b64 s[6:7], s[4:5]
	s_cbranch_execnz .LBB33_563
	s_branch .LBB33_564
.LBB33_2613:
	s_movk_i32 s4, 0x80
	v_cmp_eq_u16_e32 vcc, s4, v14
	s_mov_b64 s[4:5], -1
                                        ; implicit-def: $sgpr10
	s_and_saveexec_b64 s[8:9], vcc
; %bb.2614:
	s_mov_b32 s10, 0x7f800001
	s_xor_b64 s[4:5], exec, -1
; %bb.2615:
	s_or_b64 exec, exec, s[8:9]
	s_and_b64 s[4:5], s[4:5], exec
                                        ; implicit-def: $vgpr14
	s_or_saveexec_b64 s[6:7], s[6:7]
	v_mov_b32_e32 v20, s10
	s_xor_b64 exec, exec, s[6:7]
	s_cbranch_execz .LBB33_566
.LBB33_2616:
	v_cmp_ne_u16_e32 vcc, 0, v14
	s_andn2_b64 s[4:5], s[4:5], exec
	s_and_b64 s[8:9], vcc, exec
	v_mov_b32_e32 v20, 0
	s_or_b64 s[4:5], s[4:5], s[8:9]
	s_or_b64 exec, exec, s[6:7]
	s_and_saveexec_b64 s[6:7], s[4:5]
	s_cbranch_execnz .LBB33_567
	s_branch .LBB33_568
.LBB33_2617:
	s_movk_i32 s4, 0x80
	v_cmp_eq_u16_sdwa s[12:13], v15, s4 src0_sel:BYTE_3 src1_sel:DWORD
	s_mov_b64 s[4:5], -1
                                        ; implicit-def: $sgpr10
	s_and_saveexec_b64 s[8:9], s[12:13]
; %bb.2618:
	s_mov_b32 s10, 0x7f800001
	s_xor_b64 s[4:5], exec, -1
; %bb.2619:
	s_or_b64 exec, exec, s[8:9]
	s_and_b64 s[4:5], s[4:5], exec
	s_or_saveexec_b64 s[6:7], s[6:7]
	v_mov_b32_e32 v10, s10
	s_xor_b64 exec, exec, s[6:7]
	s_cbranch_execz .LBB33_570
.LBB33_2620:
	v_mov_b32_e32 v10, 0
	v_cmp_ne_u16_sdwa s[8:9], v15, v10 src0_sel:BYTE_3 src1_sel:DWORD
	s_andn2_b64 s[4:5], s[4:5], exec
	s_and_b64 s[8:9], s[8:9], exec
	s_or_b64 s[4:5], s[4:5], s[8:9]
	s_or_b64 exec, exec, s[6:7]
	s_and_saveexec_b64 s[6:7], s[4:5]
	s_cbranch_execnz .LBB33_571
	s_branch .LBB33_572
.LBB33_2621:
	s_movk_i32 s4, 0x80
	v_cmp_eq_u16_sdwa s[12:13], v11, s4 src0_sel:BYTE_3 src1_sel:DWORD
	s_mov_b64 s[4:5], -1
                                        ; implicit-def: $sgpr10
	s_and_saveexec_b64 s[8:9], s[12:13]
; %bb.2622:
	s_mov_b32 s10, 0x7f800001
	s_xor_b64 s[4:5], exec, -1
; %bb.2623:
	s_or_b64 exec, exec, s[8:9]
	s_and_b64 s[4:5], s[4:5], exec
	s_or_saveexec_b64 s[6:7], s[6:7]
	v_mov_b32_e32 v14, s10
	s_xor_b64 exec, exec, s[6:7]
	s_cbranch_execz .LBB33_574
.LBB33_2624:
	v_mov_b32_e32 v14, 0
	v_cmp_ne_u16_sdwa s[8:9], v11, v14 src0_sel:BYTE_3 src1_sel:DWORD
	s_andn2_b64 s[4:5], s[4:5], exec
	s_and_b64 s[8:9], s[8:9], exec
	s_or_b64 s[4:5], s[4:5], s[8:9]
	s_or_b64 exec, exec, s[6:7]
	s_and_saveexec_b64 s[6:7], s[4:5]
	s_cbranch_execnz .LBB33_575
	s_branch .LBB33_576
.LBB33_2625:
	s_movk_i32 s4, 0x80
	v_cmp_eq_u16_sdwa s[12:13], v16, s4 src0_sel:BYTE_0 src1_sel:DWORD
	s_mov_b64 s[4:5], -1
                                        ; implicit-def: $sgpr10
	s_and_saveexec_b64 s[8:9], s[12:13]
; %bb.2626:
	s_mov_b32 s10, 0x7f800001
	s_xor_b64 s[4:5], exec, -1
; %bb.2627:
	s_or_b64 exec, exec, s[8:9]
	s_and_b64 s[4:5], s[4:5], exec
	s_or_saveexec_b64 s[6:7], s[6:7]
	v_mov_b32_e32 v10, s10
	s_xor_b64 exec, exec, s[6:7]
	s_cbranch_execz .LBB33_578
.LBB33_2628:
	v_mov_b32_e32 v10, 0
	v_cmp_ne_u16_sdwa s[8:9], v16, v10 src0_sel:BYTE_0 src1_sel:DWORD
	s_andn2_b64 s[4:5], s[4:5], exec
	s_and_b64 s[8:9], s[8:9], exec
	s_or_b64 s[4:5], s[4:5], s[8:9]
	s_or_b64 exec, exec, s[6:7]
	s_and_saveexec_b64 s[6:7], s[4:5]
	s_cbranch_execnz .LBB33_579
	s_branch .LBB33_580
.LBB33_2629:
	s_movk_i32 s4, 0x80
	v_cmp_eq_u16_sdwa s[12:13], v12, s4 src0_sel:BYTE_0 src1_sel:DWORD
	s_mov_b64 s[4:5], -1
                                        ; implicit-def: $sgpr10
	s_and_saveexec_b64 s[8:9], s[12:13]
; %bb.2630:
	s_mov_b32 s10, 0x7f800001
	s_xor_b64 s[4:5], exec, -1
; %bb.2631:
	s_or_b64 exec, exec, s[8:9]
	s_and_b64 s[4:5], s[4:5], exec
	s_or_saveexec_b64 s[6:7], s[6:7]
	v_mov_b32_e32 v11, s10
	s_xor_b64 exec, exec, s[6:7]
	s_cbranch_execz .LBB33_582
.LBB33_2632:
	v_mov_b32_e32 v11, 0
	v_cmp_ne_u16_sdwa s[8:9], v12, v11 src0_sel:BYTE_0 src1_sel:DWORD
	s_andn2_b64 s[4:5], s[4:5], exec
	s_and_b64 s[8:9], s[8:9], exec
	s_or_b64 s[4:5], s[4:5], s[8:9]
	s_or_b64 exec, exec, s[6:7]
	s_and_saveexec_b64 s[6:7], s[4:5]
	s_cbranch_execnz .LBB33_583
	s_branch .LBB33_584
.LBB33_2633:
	s_movk_i32 s4, 0x80
	v_cmp_eq_u16_sdwa s[12:13], v11, s4 src0_sel:BYTE_0 src1_sel:DWORD
	s_mov_b64 s[4:5], -1
                                        ; implicit-def: $sgpr10
	s_and_saveexec_b64 s[8:9], s[12:13]
; %bb.2634:
	s_mov_b32 s10, 0x7f800001
	s_xor_b64 s[4:5], exec, -1
; %bb.2635:
	s_or_b64 exec, exec, s[8:9]
	s_and_b64 s[4:5], s[4:5], exec
	s_or_saveexec_b64 s[6:7], s[6:7]
	v_mov_b32_e32 v10, s10
	s_xor_b64 exec, exec, s[6:7]
	s_cbranch_execz .LBB33_586
.LBB33_2636:
	v_mov_b32_e32 v10, 0
	v_cmp_ne_u16_sdwa s[8:9], v11, v10 src0_sel:BYTE_0 src1_sel:DWORD
	s_andn2_b64 s[4:5], s[4:5], exec
	s_and_b64 s[8:9], s[8:9], exec
	s_or_b64 s[4:5], s[4:5], s[8:9]
	s_or_b64 exec, exec, s[6:7]
	s_and_saveexec_b64 s[6:7], s[4:5]
	s_cbranch_execnz .LBB33_587
	s_branch .LBB33_588
.LBB33_2637:
	s_movk_i32 s4, 0x80
	v_cmp_eq_u16_sdwa s[12:13], v11, s4 src0_sel:BYTE_0 src1_sel:DWORD
	s_mov_b64 s[4:5], -1
                                        ; implicit-def: $sgpr10
	s_and_saveexec_b64 s[8:9], s[12:13]
; %bb.2638:
	s_mov_b32 s10, 0x7f800001
	s_xor_b64 s[4:5], exec, -1
; %bb.2639:
	s_or_b64 exec, exec, s[8:9]
	s_and_b64 s[4:5], s[4:5], exec
	s_or_saveexec_b64 s[6:7], s[6:7]
	v_mov_b32_e32 v14, s10
	s_xor_b64 exec, exec, s[6:7]
	s_cbranch_execz .LBB33_590
.LBB33_2640:
	v_mov_b32_e32 v14, 0
	v_cmp_ne_u16_sdwa s[8:9], v11, v14 src0_sel:BYTE_0 src1_sel:DWORD
	s_andn2_b64 s[4:5], s[4:5], exec
	s_and_b64 s[8:9], s[8:9], exec
	s_or_b64 s[4:5], s[4:5], s[8:9]
	s_or_b64 exec, exec, s[6:7]
	s_and_saveexec_b64 s[6:7], s[4:5]
	s_cbranch_execnz .LBB33_591
	s_branch .LBB33_592
.LBB33_2641:
	s_movk_i32 s4, 0x80
	v_cmp_eq_u16_e32 vcc, s4, v11
	s_mov_b64 s[4:5], -1
                                        ; implicit-def: $sgpr10
	s_and_saveexec_b64 s[8:9], vcc
; %bb.2642:
	s_mov_b32 s10, 0x7f800001
	s_xor_b64 s[4:5], exec, -1
; %bb.2643:
	s_or_b64 exec, exec, s[8:9]
	s_and_b64 s[4:5], s[4:5], exec
                                        ; implicit-def: $vgpr11
	s_or_saveexec_b64 s[6:7], s[6:7]
	v_mov_b32_e32 v10, s10
	s_xor_b64 exec, exec, s[6:7]
	s_cbranch_execz .LBB33_594
.LBB33_2644:
	v_cmp_ne_u16_e32 vcc, 0, v11
	s_andn2_b64 s[4:5], s[4:5], exec
	s_and_b64 s[8:9], vcc, exec
	v_mov_b32_e32 v10, 0
	s_or_b64 s[4:5], s[4:5], s[8:9]
	s_or_b64 exec, exec, s[6:7]
	s_and_saveexec_b64 s[6:7], s[4:5]
	s_cbranch_execnz .LBB33_595
	s_branch .LBB33_596
.LBB33_2645:
	s_movk_i32 s4, 0x80
	v_cmp_eq_u16_e32 vcc, s4, v11
	s_mov_b64 s[4:5], -1
                                        ; implicit-def: $sgpr10
	s_and_saveexec_b64 s[8:9], vcc
; %bb.2646:
	s_mov_b32 s10, 0x7f800001
	s_xor_b64 s[4:5], exec, -1
; %bb.2647:
	s_or_b64 exec, exec, s[8:9]
	s_and_b64 s[4:5], s[4:5], exec
                                        ; implicit-def: $vgpr11
	s_or_saveexec_b64 s[6:7], s[6:7]
	v_mov_b32_e32 v14, s10
	s_xor_b64 exec, exec, s[6:7]
	s_cbranch_execz .LBB33_598
.LBB33_2648:
	v_cmp_ne_u16_e32 vcc, 0, v11
	s_andn2_b64 s[4:5], s[4:5], exec
	s_and_b64 s[8:9], vcc, exec
	v_mov_b32_e32 v14, 0
	s_or_b64 s[4:5], s[4:5], s[8:9]
	s_or_b64 exec, exec, s[6:7]
	s_and_saveexec_b64 s[6:7], s[4:5]
	s_cbranch_execnz .LBB33_599
	s_branch .LBB33_600
.LBB33_2649:
	s_movk_i32 s4, 0x80
	v_cmp_eq_u16_sdwa s[12:13], v16, s4 src0_sel:BYTE_3 src1_sel:DWORD
	s_mov_b64 s[4:5], -1
                                        ; implicit-def: $sgpr10
	s_and_saveexec_b64 s[8:9], s[12:13]
; %bb.2650:
	s_mov_b32 s10, 0x7f800001
	s_xor_b64 s[4:5], exec, -1
; %bb.2651:
	s_or_b64 exec, exec, s[8:9]
	s_and_b64 s[4:5], s[4:5], exec
	s_or_saveexec_b64 s[6:7], s[6:7]
	v_mov_b32_e32 v10, s10
	s_xor_b64 exec, exec, s[6:7]
	s_cbranch_execz .LBB33_602
.LBB33_2652:
	v_mov_b32_e32 v10, 0
	v_cmp_ne_u16_sdwa s[8:9], v16, v10 src0_sel:BYTE_3 src1_sel:DWORD
	s_andn2_b64 s[4:5], s[4:5], exec
	s_and_b64 s[8:9], s[8:9], exec
	s_or_b64 s[4:5], s[4:5], s[8:9]
	s_or_b64 exec, exec, s[6:7]
	s_and_saveexec_b64 s[6:7], s[4:5]
	s_cbranch_execnz .LBB33_603
	s_branch .LBB33_604
.LBB33_2653:
	s_movk_i32 s4, 0x80
	v_cmp_eq_u16_sdwa s[12:13], v12, s4 src0_sel:BYTE_3 src1_sel:DWORD
	s_mov_b64 s[4:5], -1
                                        ; implicit-def: $sgpr10
	s_and_saveexec_b64 s[8:9], s[12:13]
; %bb.2654:
	s_mov_b32 s10, 0x7f800001
	s_xor_b64 s[4:5], exec, -1
; %bb.2655:
	s_or_b64 exec, exec, s[8:9]
	s_and_b64 s[4:5], s[4:5], exec
	s_or_saveexec_b64 s[6:7], s[6:7]
	v_mov_b32_e32 v11, s10
	s_xor_b64 exec, exec, s[6:7]
	s_cbranch_execz .LBB33_606
.LBB33_2656:
	v_mov_b32_e32 v11, 0
	v_cmp_ne_u16_sdwa s[8:9], v12, v11 src0_sel:BYTE_3 src1_sel:DWORD
	s_andn2_b64 s[4:5], s[4:5], exec
	s_and_b64 s[8:9], s[8:9], exec
	s_or_b64 s[4:5], s[4:5], s[8:9]
	s_or_b64 exec, exec, s[6:7]
	s_and_saveexec_b64 s[6:7], s[4:5]
	s_cbranch_execnz .LBB33_607
	s_branch .LBB33_608
.LBB33_2657:
	s_movk_i32 s4, 0x80
	v_cmp_eq_u16_sdwa s[12:13], v17, s4 src0_sel:BYTE_0 src1_sel:DWORD
	s_mov_b64 s[4:5], -1
                                        ; implicit-def: $sgpr10
	s_and_saveexec_b64 s[8:9], s[12:13]
; %bb.2658:
	s_mov_b32 s10, 0x7f800001
	s_xor_b64 s[4:5], exec, -1
; %bb.2659:
	s_or_b64 exec, exec, s[8:9]
	s_and_b64 s[4:5], s[4:5], exec
	s_or_saveexec_b64 s[6:7], s[6:7]
	v_mov_b32_e32 v10, s10
	s_xor_b64 exec, exec, s[6:7]
	s_cbranch_execz .LBB33_610
.LBB33_2660:
	v_mov_b32_e32 v10, 0
	v_cmp_ne_u16_sdwa s[8:9], v17, v10 src0_sel:BYTE_0 src1_sel:DWORD
	s_andn2_b64 s[4:5], s[4:5], exec
	s_and_b64 s[8:9], s[8:9], exec
	s_or_b64 s[4:5], s[4:5], s[8:9]
	s_or_b64 exec, exec, s[6:7]
	s_and_saveexec_b64 s[6:7], s[4:5]
	s_cbranch_execnz .LBB33_611
	s_branch .LBB33_612
.LBB33_2661:
	s_movk_i32 s4, 0x80
	v_cmp_eq_u16_sdwa s[12:13], v13, s4 src0_sel:BYTE_0 src1_sel:DWORD
	s_mov_b64 s[4:5], -1
                                        ; implicit-def: $sgpr10
	s_and_saveexec_b64 s[8:9], s[12:13]
; %bb.2662:
	s_mov_b32 s10, 0x7f800001
	s_xor_b64 s[4:5], exec, -1
; %bb.2663:
	s_or_b64 exec, exec, s[8:9]
	s_and_b64 s[4:5], s[4:5], exec
	s_or_saveexec_b64 s[6:7], s[6:7]
	v_mov_b32_e32 v11, s10
	s_xor_b64 exec, exec, s[6:7]
	s_cbranch_execz .LBB33_614
.LBB33_2664:
	v_mov_b32_e32 v11, 0
	v_cmp_ne_u16_sdwa s[8:9], v13, v11 src0_sel:BYTE_0 src1_sel:DWORD
	s_andn2_b64 s[4:5], s[4:5], exec
	s_and_b64 s[8:9], s[8:9], exec
	s_or_b64 s[4:5], s[4:5], s[8:9]
	s_or_b64 exec, exec, s[6:7]
	s_and_saveexec_b64 s[6:7], s[4:5]
	s_cbranch_execnz .LBB33_615
	s_branch .LBB33_616
.LBB33_2665:
	s_movk_i32 s4, 0x80
	v_cmp_eq_u16_sdwa s[12:13], v11, s4 src0_sel:BYTE_0 src1_sel:DWORD
	s_mov_b64 s[4:5], -1
                                        ; implicit-def: $sgpr10
	s_and_saveexec_b64 s[8:9], s[12:13]
; %bb.2666:
	s_mov_b32 s10, 0x7f800001
	s_xor_b64 s[4:5], exec, -1
; %bb.2667:
	s_or_b64 exec, exec, s[8:9]
	s_and_b64 s[4:5], s[4:5], exec
	s_or_saveexec_b64 s[6:7], s[6:7]
	v_mov_b32_e32 v10, s10
	s_xor_b64 exec, exec, s[6:7]
	s_cbranch_execz .LBB33_618
.LBB33_2668:
	v_mov_b32_e32 v10, 0
	v_cmp_ne_u16_sdwa s[8:9], v11, v10 src0_sel:BYTE_0 src1_sel:DWORD
	s_andn2_b64 s[4:5], s[4:5], exec
	s_and_b64 s[8:9], s[8:9], exec
	s_or_b64 s[4:5], s[4:5], s[8:9]
	s_or_b64 exec, exec, s[6:7]
	s_and_saveexec_b64 s[6:7], s[4:5]
	s_cbranch_execnz .LBB33_619
	s_branch .LBB33_620
.LBB33_2669:
	s_movk_i32 s4, 0x80
	v_cmp_eq_u16_sdwa s[12:13], v11, s4 src0_sel:BYTE_0 src1_sel:DWORD
	s_mov_b64 s[4:5], -1
                                        ; implicit-def: $sgpr10
	s_and_saveexec_b64 s[8:9], s[12:13]
; %bb.2670:
	s_mov_b32 s10, 0x7f800001
	s_xor_b64 s[4:5], exec, -1
; %bb.2671:
	s_or_b64 exec, exec, s[8:9]
	s_and_b64 s[4:5], s[4:5], exec
	s_or_saveexec_b64 s[6:7], s[6:7]
	v_mov_b32_e32 v12, s10
	s_xor_b64 exec, exec, s[6:7]
	s_cbranch_execz .LBB33_622
.LBB33_2672:
	v_mov_b32_e32 v12, 0
	v_cmp_ne_u16_sdwa s[8:9], v11, v12 src0_sel:BYTE_0 src1_sel:DWORD
	s_andn2_b64 s[4:5], s[4:5], exec
	s_and_b64 s[8:9], s[8:9], exec
	s_or_b64 s[4:5], s[4:5], s[8:9]
	s_or_b64 exec, exec, s[6:7]
	s_and_saveexec_b64 s[6:7], s[4:5]
	s_cbranch_execnz .LBB33_623
	s_branch .LBB33_624
.LBB33_2673:
	s_movk_i32 s4, 0x80
	v_cmp_eq_u16_e32 vcc, s4, v11
	s_mov_b64 s[4:5], -1
                                        ; implicit-def: $sgpr10
	s_and_saveexec_b64 s[8:9], vcc
; %bb.2674:
	s_mov_b32 s10, 0x7f800001
	s_xor_b64 s[4:5], exec, -1
; %bb.2675:
	s_or_b64 exec, exec, s[8:9]
	s_and_b64 s[4:5], s[4:5], exec
                                        ; implicit-def: $vgpr11
	s_or_saveexec_b64 s[6:7], s[6:7]
	v_mov_b32_e32 v10, s10
	s_xor_b64 exec, exec, s[6:7]
	s_cbranch_execz .LBB33_626
.LBB33_2676:
	v_cmp_ne_u16_e32 vcc, 0, v11
	s_andn2_b64 s[4:5], s[4:5], exec
	s_and_b64 s[8:9], vcc, exec
	v_mov_b32_e32 v10, 0
	s_or_b64 s[4:5], s[4:5], s[8:9]
	s_or_b64 exec, exec, s[6:7]
	s_and_saveexec_b64 s[6:7], s[4:5]
	s_cbranch_execnz .LBB33_627
	s_branch .LBB33_628
.LBB33_2677:
	s_movk_i32 s4, 0x80
	v_cmp_eq_u16_e32 vcc, s4, v11
	s_mov_b64 s[4:5], -1
                                        ; implicit-def: $sgpr10
	s_and_saveexec_b64 s[8:9], vcc
; %bb.2678:
	s_mov_b32 s10, 0x7f800001
	s_xor_b64 s[4:5], exec, -1
; %bb.2679:
	s_or_b64 exec, exec, s[8:9]
	s_and_b64 s[4:5], s[4:5], exec
                                        ; implicit-def: $vgpr11
	s_or_saveexec_b64 s[6:7], s[6:7]
	v_mov_b32_e32 v12, s10
	s_xor_b64 exec, exec, s[6:7]
	s_cbranch_execz .LBB33_630
.LBB33_2680:
	v_cmp_ne_u16_e32 vcc, 0, v11
	s_andn2_b64 s[4:5], s[4:5], exec
	s_and_b64 s[8:9], vcc, exec
	v_mov_b32_e32 v12, 0
	s_or_b64 s[4:5], s[4:5], s[8:9]
	s_or_b64 exec, exec, s[6:7]
	s_and_saveexec_b64 s[6:7], s[4:5]
	s_cbranch_execnz .LBB33_631
	s_branch .LBB33_632
.LBB33_2681:
	s_movk_i32 s4, 0x80
	v_cmp_eq_u16_sdwa s[12:13], v17, s4 src0_sel:BYTE_3 src1_sel:DWORD
	s_mov_b64 s[4:5], -1
                                        ; implicit-def: $sgpr10
	s_and_saveexec_b64 s[8:9], s[12:13]
; %bb.2682:
	s_mov_b32 s10, 0x7f800001
	s_xor_b64 s[4:5], exec, -1
; %bb.2683:
	s_or_b64 exec, exec, s[8:9]
	s_and_b64 s[4:5], s[4:5], exec
	s_or_saveexec_b64 s[6:7], s[6:7]
	v_mov_b32_e32 v10, s10
	s_xor_b64 exec, exec, s[6:7]
	s_cbranch_execz .LBB33_634
.LBB33_2684:
	v_mov_b32_e32 v10, 0
	v_cmp_ne_u16_sdwa s[8:9], v17, v10 src0_sel:BYTE_3 src1_sel:DWORD
	s_andn2_b64 s[4:5], s[4:5], exec
	s_and_b64 s[8:9], s[8:9], exec
	s_or_b64 s[4:5], s[4:5], s[8:9]
	s_or_b64 exec, exec, s[6:7]
	s_and_saveexec_b64 s[6:7], s[4:5]
	s_cbranch_execnz .LBB33_635
	s_branch .LBB33_636
.LBB33_2685:
	s_movk_i32 s4, 0x80
	v_cmp_eq_u16_sdwa s[12:13], v13, s4 src0_sel:BYTE_3 src1_sel:DWORD
	s_mov_b64 s[4:5], -1
                                        ; implicit-def: $sgpr10
	s_and_saveexec_b64 s[8:9], s[12:13]
; %bb.2686:
	s_mov_b32 s10, 0x7f800001
	s_xor_b64 s[4:5], exec, -1
; %bb.2687:
	s_or_b64 exec, exec, s[8:9]
	s_and_b64 s[4:5], s[4:5], exec
	s_or_saveexec_b64 s[6:7], s[6:7]
	v_mov_b32_e32 v11, s10
	s_xor_b64 exec, exec, s[6:7]
	s_cbranch_execz .LBB33_638
.LBB33_2688:
	v_mov_b32_e32 v11, 0
	v_cmp_ne_u16_sdwa s[8:9], v13, v11 src0_sel:BYTE_3 src1_sel:DWORD
	s_andn2_b64 s[4:5], s[4:5], exec
	s_and_b64 s[8:9], s[8:9], exec
	s_or_b64 s[4:5], s[4:5], s[8:9]
	s_or_b64 exec, exec, s[6:7]
	s_and_saveexec_b64 s[6:7], s[4:5]
	s_cbranch_execnz .LBB33_639
	s_branch .LBB33_640
.LBB33_2689:
	s_movk_i32 s4, 0x80
	v_cmp_eq_u16_sdwa s[12:13], v6, s4 src0_sel:BYTE_0 src1_sel:DWORD
	s_mov_b64 s[4:5], -1
                                        ; implicit-def: $sgpr10
	s_and_saveexec_b64 s[8:9], s[12:13]
; %bb.2690:
	s_mov_b32 s10, 0x7f800001
	s_xor_b64 s[4:5], exec, -1
; %bb.2691:
	s_or_b64 exec, exec, s[8:9]
	s_and_b64 s[4:5], s[4:5], exec
	s_or_saveexec_b64 s[6:7], s[6:7]
	v_mov_b32_e32 v10, s10
	s_xor_b64 exec, exec, s[6:7]
	s_cbranch_execz .LBB33_642
.LBB33_2692:
	v_mov_b32_e32 v10, 0
	v_cmp_ne_u16_sdwa s[8:9], v6, v10 src0_sel:BYTE_0 src1_sel:DWORD
	s_andn2_b64 s[4:5], s[4:5], exec
	s_and_b64 s[8:9], s[8:9], exec
	s_or_b64 s[4:5], s[4:5], s[8:9]
	s_or_b64 exec, exec, s[6:7]
	s_and_saveexec_b64 s[6:7], s[4:5]
	s_cbranch_execnz .LBB33_643
	s_branch .LBB33_644
.LBB33_2693:
	s_movk_i32 s4, 0x80
	v_cmp_eq_u16_sdwa s[12:13], v2, s4 src0_sel:BYTE_0 src1_sel:DWORD
	s_mov_b64 s[4:5], -1
                                        ; implicit-def: $sgpr10
	s_and_saveexec_b64 s[8:9], s[12:13]
; %bb.2694:
	s_mov_b32 s10, 0x7f800001
	s_xor_b64 s[4:5], exec, -1
; %bb.2695:
	s_or_b64 exec, exec, s[8:9]
	s_and_b64 s[4:5], s[4:5], exec
	s_or_saveexec_b64 s[6:7], s[6:7]
	v_mov_b32_e32 v11, s10
	s_xor_b64 exec, exec, s[6:7]
	s_cbranch_execz .LBB33_646
.LBB33_2696:
	v_mov_b32_e32 v11, 0
	v_cmp_ne_u16_sdwa s[8:9], v2, v11 src0_sel:BYTE_0 src1_sel:DWORD
	s_andn2_b64 s[4:5], s[4:5], exec
	s_and_b64 s[8:9], s[8:9], exec
	s_or_b64 s[4:5], s[4:5], s[8:9]
	s_or_b64 exec, exec, s[6:7]
	s_and_saveexec_b64 s[6:7], s[4:5]
	s_cbranch_execnz .LBB33_647
	s_branch .LBB33_648
.LBB33_2697:
	s_movk_i32 s4, 0x80
	v_cmp_eq_u16_sdwa s[12:13], v11, s4 src0_sel:BYTE_0 src1_sel:DWORD
	s_mov_b64 s[4:5], -1
                                        ; implicit-def: $sgpr10
	s_and_saveexec_b64 s[8:9], s[12:13]
; %bb.2698:
	s_mov_b32 s10, 0x7f800001
	s_xor_b64 s[4:5], exec, -1
; %bb.2699:
	s_or_b64 exec, exec, s[8:9]
	s_and_b64 s[4:5], s[4:5], exec
	s_or_saveexec_b64 s[6:7], s[6:7]
	v_mov_b32_e32 v10, s10
	s_xor_b64 exec, exec, s[6:7]
	s_cbranch_execz .LBB33_650
.LBB33_2700:
	v_mov_b32_e32 v10, 0
	v_cmp_ne_u16_sdwa s[8:9], v11, v10 src0_sel:BYTE_0 src1_sel:DWORD
	s_andn2_b64 s[4:5], s[4:5], exec
	s_and_b64 s[8:9], s[8:9], exec
	s_or_b64 s[4:5], s[4:5], s[8:9]
	s_or_b64 exec, exec, s[6:7]
	s_and_saveexec_b64 s[6:7], s[4:5]
	s_cbranch_execnz .LBB33_651
	s_branch .LBB33_652
.LBB33_2701:
	s_movk_i32 s4, 0x80
	v_cmp_eq_u16_sdwa s[12:13], v11, s4 src0_sel:BYTE_0 src1_sel:DWORD
	s_mov_b64 s[4:5], -1
                                        ; implicit-def: $sgpr10
	s_and_saveexec_b64 s[8:9], s[12:13]
; %bb.2702:
	s_mov_b32 s10, 0x7f800001
	s_xor_b64 s[4:5], exec, -1
; %bb.2703:
	s_or_b64 exec, exec, s[8:9]
	s_and_b64 s[4:5], s[4:5], exec
	s_or_saveexec_b64 s[6:7], s[6:7]
	v_mov_b32_e32 v12, s10
	s_xor_b64 exec, exec, s[6:7]
	s_cbranch_execz .LBB33_654
.LBB33_2704:
	v_mov_b32_e32 v12, 0
	v_cmp_ne_u16_sdwa s[8:9], v11, v12 src0_sel:BYTE_0 src1_sel:DWORD
	s_andn2_b64 s[4:5], s[4:5], exec
	s_and_b64 s[8:9], s[8:9], exec
	s_or_b64 s[4:5], s[4:5], s[8:9]
	s_or_b64 exec, exec, s[6:7]
	s_and_saveexec_b64 s[6:7], s[4:5]
	s_cbranch_execnz .LBB33_655
	s_branch .LBB33_656
.LBB33_2705:
	s_movk_i32 s4, 0x80
	v_cmp_eq_u16_e32 vcc, s4, v11
	s_mov_b64 s[4:5], -1
                                        ; implicit-def: $sgpr10
	s_and_saveexec_b64 s[8:9], vcc
; %bb.2706:
	s_mov_b32 s10, 0x7f800001
	s_xor_b64 s[4:5], exec, -1
; %bb.2707:
	s_or_b64 exec, exec, s[8:9]
	s_and_b64 s[4:5], s[4:5], exec
                                        ; implicit-def: $vgpr11
	s_or_saveexec_b64 s[6:7], s[6:7]
	v_mov_b32_e32 v10, s10
	s_xor_b64 exec, exec, s[6:7]
	s_cbranch_execz .LBB33_658
.LBB33_2708:
	v_cmp_ne_u16_e32 vcc, 0, v11
	s_andn2_b64 s[4:5], s[4:5], exec
	s_and_b64 s[8:9], vcc, exec
	v_mov_b32_e32 v10, 0
	s_or_b64 s[4:5], s[4:5], s[8:9]
	s_or_b64 exec, exec, s[6:7]
	s_and_saveexec_b64 s[6:7], s[4:5]
	s_cbranch_execnz .LBB33_659
	s_branch .LBB33_660
.LBB33_2709:
	s_movk_i32 s4, 0x80
	v_cmp_eq_u16_e32 vcc, s4, v11
	s_mov_b64 s[4:5], -1
                                        ; implicit-def: $sgpr10
	s_and_saveexec_b64 s[8:9], vcc
; %bb.2710:
	s_mov_b32 s10, 0x7f800001
	s_xor_b64 s[4:5], exec, -1
; %bb.2711:
	s_or_b64 exec, exec, s[8:9]
	s_and_b64 s[4:5], s[4:5], exec
                                        ; implicit-def: $vgpr11
	s_or_saveexec_b64 s[6:7], s[6:7]
	v_mov_b32_e32 v12, s10
	s_xor_b64 exec, exec, s[6:7]
	s_cbranch_execz .LBB33_662
.LBB33_2712:
	v_cmp_ne_u16_e32 vcc, 0, v11
	s_andn2_b64 s[4:5], s[4:5], exec
	s_and_b64 s[8:9], vcc, exec
	v_mov_b32_e32 v12, 0
	s_or_b64 s[4:5], s[4:5], s[8:9]
	s_or_b64 exec, exec, s[6:7]
	s_and_saveexec_b64 s[6:7], s[4:5]
	s_cbranch_execnz .LBB33_663
	s_branch .LBB33_664
.LBB33_2713:
	s_movk_i32 s4, 0x80
	v_cmp_eq_u16_sdwa s[12:13], v6, s4 src0_sel:BYTE_3 src1_sel:DWORD
	s_mov_b64 s[4:5], -1
                                        ; implicit-def: $sgpr10
	s_and_saveexec_b64 s[8:9], s[12:13]
; %bb.2714:
	s_mov_b32 s10, 0x7f800001
	s_xor_b64 s[4:5], exec, -1
; %bb.2715:
	s_or_b64 exec, exec, s[8:9]
	s_and_b64 s[4:5], s[4:5], exec
	s_or_saveexec_b64 s[6:7], s[6:7]
	v_mov_b32_e32 v10, s10
	s_xor_b64 exec, exec, s[6:7]
	s_cbranch_execz .LBB33_666
.LBB33_2716:
	v_mov_b32_e32 v10, 0
	v_cmp_ne_u16_sdwa s[8:9], v6, v10 src0_sel:BYTE_3 src1_sel:DWORD
	s_andn2_b64 s[4:5], s[4:5], exec
	s_and_b64 s[8:9], s[8:9], exec
	s_or_b64 s[4:5], s[4:5], s[8:9]
	s_or_b64 exec, exec, s[6:7]
	s_and_saveexec_b64 s[6:7], s[4:5]
	s_cbranch_execnz .LBB33_667
	s_branch .LBB33_668
.LBB33_2717:
	s_movk_i32 s4, 0x80
	v_cmp_eq_u16_sdwa s[12:13], v2, s4 src0_sel:BYTE_3 src1_sel:DWORD
	s_mov_b64 s[4:5], -1
                                        ; implicit-def: $sgpr10
	s_and_saveexec_b64 s[8:9], s[12:13]
; %bb.2718:
	s_mov_b32 s10, 0x7f800001
	s_xor_b64 s[4:5], exec, -1
; %bb.2719:
	s_or_b64 exec, exec, s[8:9]
	s_and_b64 s[4:5], s[4:5], exec
	s_or_saveexec_b64 s[6:7], s[6:7]
	v_mov_b32_e32 v6, s10
	s_xor_b64 exec, exec, s[6:7]
	s_cbranch_execz .LBB33_670
.LBB33_2720:
	v_mov_b32_e32 v6, 0
	v_cmp_ne_u16_sdwa s[8:9], v2, v6 src0_sel:BYTE_3 src1_sel:DWORD
	s_andn2_b64 s[4:5], s[4:5], exec
	s_and_b64 s[8:9], s[8:9], exec
	s_or_b64 s[4:5], s[4:5], s[8:9]
	s_or_b64 exec, exec, s[6:7]
	s_and_saveexec_b64 s[6:7], s[4:5]
	s_cbranch_execnz .LBB33_671
	s_branch .LBB33_672
.LBB33_2721:
	s_movk_i32 s4, 0x80
	v_cmp_eq_u16_sdwa s[12:13], v7, s4 src0_sel:BYTE_0 src1_sel:DWORD
	s_mov_b64 s[4:5], -1
                                        ; implicit-def: $sgpr10
	s_and_saveexec_b64 s[8:9], s[12:13]
; %bb.2722:
	s_mov_b32 s10, 0x7f800001
	s_xor_b64 s[4:5], exec, -1
; %bb.2723:
	s_or_b64 exec, exec, s[8:9]
	s_and_b64 s[4:5], s[4:5], exec
	s_or_saveexec_b64 s[6:7], s[6:7]
	v_mov_b32_e32 v2, s10
	s_xor_b64 exec, exec, s[6:7]
	s_cbranch_execz .LBB33_674
.LBB33_2724:
	v_mov_b32_e32 v2, 0
	v_cmp_ne_u16_sdwa s[8:9], v7, v2 src0_sel:BYTE_0 src1_sel:DWORD
	s_andn2_b64 s[4:5], s[4:5], exec
	s_and_b64 s[8:9], s[8:9], exec
	s_or_b64 s[4:5], s[4:5], s[8:9]
	s_or_b64 exec, exec, s[6:7]
	s_and_saveexec_b64 s[6:7], s[4:5]
	s_cbranch_execnz .LBB33_675
	s_branch .LBB33_676
.LBB33_2725:
	s_movk_i32 s4, 0x80
	v_cmp_eq_u16_sdwa s[12:13], v3, s4 src0_sel:BYTE_0 src1_sel:DWORD
	s_mov_b64 s[4:5], -1
                                        ; implicit-def: $sgpr10
	s_and_saveexec_b64 s[8:9], s[12:13]
; %bb.2726:
	s_mov_b32 s10, 0x7f800001
	s_xor_b64 s[4:5], exec, -1
; %bb.2727:
	s_or_b64 exec, exec, s[8:9]
	s_and_b64 s[4:5], s[4:5], exec
	s_or_saveexec_b64 s[6:7], s[6:7]
	v_mov_b32_e32 v6, s10
	s_xor_b64 exec, exec, s[6:7]
	s_cbranch_execz .LBB33_678
.LBB33_2728:
	v_mov_b32_e32 v6, 0
	v_cmp_ne_u16_sdwa s[8:9], v3, v6 src0_sel:BYTE_0 src1_sel:DWORD
	s_andn2_b64 s[4:5], s[4:5], exec
	s_and_b64 s[8:9], s[8:9], exec
	s_or_b64 s[4:5], s[4:5], s[8:9]
	s_or_b64 exec, exec, s[6:7]
	s_and_saveexec_b64 s[6:7], s[4:5]
	s_cbranch_execnz .LBB33_679
	s_branch .LBB33_680
.LBB33_2729:
	s_movk_i32 s4, 0x80
	v_cmp_eq_u16_sdwa s[12:13], v6, s4 src0_sel:BYTE_0 src1_sel:DWORD
	s_mov_b64 s[4:5], -1
                                        ; implicit-def: $sgpr10
	s_and_saveexec_b64 s[8:9], s[12:13]
; %bb.2730:
	s_mov_b32 s10, 0x7f800001
	s_xor_b64 s[4:5], exec, -1
; %bb.2731:
	s_or_b64 exec, exec, s[8:9]
	s_and_b64 s[4:5], s[4:5], exec
	s_or_saveexec_b64 s[6:7], s[6:7]
	v_mov_b32_e32 v2, s10
	s_xor_b64 exec, exec, s[6:7]
	s_cbranch_execz .LBB33_682
.LBB33_2732:
	v_mov_b32_e32 v2, 0
	v_cmp_ne_u16_sdwa s[8:9], v6, v2 src0_sel:BYTE_0 src1_sel:DWORD
	s_andn2_b64 s[4:5], s[4:5], exec
	s_and_b64 s[8:9], s[8:9], exec
	s_or_b64 s[4:5], s[4:5], s[8:9]
	s_or_b64 exec, exec, s[6:7]
	s_and_saveexec_b64 s[6:7], s[4:5]
	s_cbranch_execnz .LBB33_683
	s_branch .LBB33_684
.LBB33_2733:
	s_movk_i32 s4, 0x80
	v_cmp_eq_u16_sdwa s[12:13], v6, s4 src0_sel:BYTE_0 src1_sel:DWORD
	s_mov_b64 s[4:5], -1
                                        ; implicit-def: $sgpr10
	s_and_saveexec_b64 s[8:9], s[12:13]
; %bb.2734:
	s_mov_b32 s10, 0x7f800001
	s_xor_b64 s[4:5], exec, -1
; %bb.2735:
	s_or_b64 exec, exec, s[8:9]
	s_and_b64 s[4:5], s[4:5], exec
	s_or_saveexec_b64 s[6:7], s[6:7]
	v_mov_b32_e32 v10, s10
	s_xor_b64 exec, exec, s[6:7]
	s_cbranch_execz .LBB33_686
.LBB33_2736:
	v_mov_b32_e32 v10, 0
	v_cmp_ne_u16_sdwa s[8:9], v6, v10 src0_sel:BYTE_0 src1_sel:DWORD
	s_andn2_b64 s[4:5], s[4:5], exec
	s_and_b64 s[8:9], s[8:9], exec
	s_or_b64 s[4:5], s[4:5], s[8:9]
	s_or_b64 exec, exec, s[6:7]
	s_and_saveexec_b64 s[6:7], s[4:5]
	s_cbranch_execnz .LBB33_687
	s_branch .LBB33_688
.LBB33_2737:
	s_movk_i32 s4, 0x80
	v_cmp_eq_u16_e32 vcc, s4, v6
	s_mov_b64 s[4:5], -1
                                        ; implicit-def: $sgpr10
	s_and_saveexec_b64 s[8:9], vcc
; %bb.2738:
	s_mov_b32 s10, 0x7f800001
	s_xor_b64 s[4:5], exec, -1
; %bb.2739:
	s_or_b64 exec, exec, s[8:9]
	s_and_b64 s[4:5], s[4:5], exec
                                        ; implicit-def: $vgpr6
	s_or_saveexec_b64 s[6:7], s[6:7]
	v_mov_b32_e32 v2, s10
	s_xor_b64 exec, exec, s[6:7]
	s_cbranch_execz .LBB33_690
.LBB33_2740:
	v_cmp_ne_u16_e32 vcc, 0, v6
	s_andn2_b64 s[4:5], s[4:5], exec
	s_and_b64 s[8:9], vcc, exec
	v_mov_b32_e32 v2, 0
	s_or_b64 s[4:5], s[4:5], s[8:9]
	s_or_b64 exec, exec, s[6:7]
	s_and_saveexec_b64 s[6:7], s[4:5]
	s_cbranch_execnz .LBB33_691
	s_branch .LBB33_692
.LBB33_2741:
	s_movk_i32 s4, 0x80
	v_cmp_eq_u16_e32 vcc, s4, v6
	s_mov_b64 s[4:5], -1
                                        ; implicit-def: $sgpr10
	s_and_saveexec_b64 s[8:9], vcc
; %bb.2742:
	s_mov_b32 s10, 0x7f800001
	s_xor_b64 s[4:5], exec, -1
; %bb.2743:
	s_or_b64 exec, exec, s[8:9]
	s_and_b64 s[4:5], s[4:5], exec
                                        ; implicit-def: $vgpr6
	s_or_saveexec_b64 s[6:7], s[6:7]
	v_mov_b32_e32 v10, s10
	s_xor_b64 exec, exec, s[6:7]
	s_cbranch_execz .LBB33_694
.LBB33_2744:
	v_cmp_ne_u16_e32 vcc, 0, v6
	s_andn2_b64 s[4:5], s[4:5], exec
	s_and_b64 s[8:9], vcc, exec
	v_mov_b32_e32 v10, 0
	s_or_b64 s[4:5], s[4:5], s[8:9]
	s_or_b64 exec, exec, s[6:7]
	s_and_saveexec_b64 s[6:7], s[4:5]
	s_cbranch_execnz .LBB33_695
	s_branch .LBB33_696
.LBB33_2745:
	s_movk_i32 s4, 0x80
	v_cmp_eq_u16_sdwa s[12:13], v7, s4 src0_sel:BYTE_3 src1_sel:DWORD
	s_mov_b64 s[4:5], -1
                                        ; implicit-def: $sgpr10
	s_and_saveexec_b64 s[8:9], s[12:13]
; %bb.2746:
	s_mov_b32 s10, 0x7f800001
	s_xor_b64 s[4:5], exec, -1
; %bb.2747:
	s_or_b64 exec, exec, s[8:9]
	s_and_b64 s[4:5], s[4:5], exec
	s_or_saveexec_b64 s[6:7], s[6:7]
	v_mov_b32_e32 v2, s10
	s_xor_b64 exec, exec, s[6:7]
	s_cbranch_execz .LBB33_698
.LBB33_2748:
	v_mov_b32_e32 v2, 0
	v_cmp_ne_u16_sdwa s[8:9], v7, v2 src0_sel:BYTE_3 src1_sel:DWORD
	s_andn2_b64 s[4:5], s[4:5], exec
	s_and_b64 s[8:9], s[8:9], exec
	s_or_b64 s[4:5], s[4:5], s[8:9]
	s_or_b64 exec, exec, s[6:7]
	s_and_saveexec_b64 s[6:7], s[4:5]
	s_cbranch_execnz .LBB33_699
	s_branch .LBB33_700
.LBB33_2749:
	s_movk_i32 s4, 0x80
	v_cmp_eq_u16_sdwa s[12:13], v3, s4 src0_sel:BYTE_3 src1_sel:DWORD
	s_mov_b64 s[4:5], -1
                                        ; implicit-def: $sgpr10
	s_and_saveexec_b64 s[8:9], s[12:13]
; %bb.2750:
	s_mov_b32 s10, 0x7f800001
	s_xor_b64 s[4:5], exec, -1
; %bb.2751:
	s_or_b64 exec, exec, s[8:9]
	s_and_b64 s[4:5], s[4:5], exec
	s_or_saveexec_b64 s[6:7], s[6:7]
	v_mov_b32_e32 v6, s10
	s_xor_b64 exec, exec, s[6:7]
	s_cbranch_execz .LBB33_702
.LBB33_2752:
	v_mov_b32_e32 v6, 0
	v_cmp_ne_u16_sdwa s[8:9], v3, v6 src0_sel:BYTE_3 src1_sel:DWORD
	s_andn2_b64 s[4:5], s[4:5], exec
	s_and_b64 s[8:9], s[8:9], exec
	s_or_b64 s[4:5], s[4:5], s[8:9]
	s_or_b64 exec, exec, s[6:7]
	s_and_saveexec_b64 s[6:7], s[4:5]
	s_cbranch_execnz .LBB33_703
	s_branch .LBB33_704
.LBB33_2753:
	s_movk_i32 s4, 0x80
	v_cmp_eq_u16_sdwa s[12:13], v8, s4 src0_sel:BYTE_0 src1_sel:DWORD
	s_mov_b64 s[4:5], -1
                                        ; implicit-def: $sgpr10
	s_and_saveexec_b64 s[8:9], s[12:13]
; %bb.2754:
	s_mov_b32 s10, 0x7f800001
	s_xor_b64 s[4:5], exec, -1
; %bb.2755:
	s_or_b64 exec, exec, s[8:9]
	s_and_b64 s[4:5], s[4:5], exec
	s_or_saveexec_b64 s[6:7], s[6:7]
	v_mov_b32_e32 v2, s10
	s_xor_b64 exec, exec, s[6:7]
	s_cbranch_execz .LBB33_706
.LBB33_2756:
	v_mov_b32_e32 v2, 0
	v_cmp_ne_u16_sdwa s[8:9], v8, v2 src0_sel:BYTE_0 src1_sel:DWORD
	s_andn2_b64 s[4:5], s[4:5], exec
	s_and_b64 s[8:9], s[8:9], exec
	s_or_b64 s[4:5], s[4:5], s[8:9]
	s_or_b64 exec, exec, s[6:7]
	s_and_saveexec_b64 s[6:7], s[4:5]
	s_cbranch_execnz .LBB33_707
	s_branch .LBB33_708
.LBB33_2757:
	s_movk_i32 s4, 0x80
	v_cmp_eq_u16_sdwa s[12:13], v4, s4 src0_sel:BYTE_0 src1_sel:DWORD
	s_mov_b64 s[4:5], -1
                                        ; implicit-def: $sgpr10
	s_and_saveexec_b64 s[8:9], s[12:13]
; %bb.2758:
	s_mov_b32 s10, 0x7f800001
	s_xor_b64 s[4:5], exec, -1
; %bb.2759:
	s_or_b64 exec, exec, s[8:9]
	s_and_b64 s[4:5], s[4:5], exec
	s_or_saveexec_b64 s[6:7], s[6:7]
	v_mov_b32_e32 v3, s10
	s_xor_b64 exec, exec, s[6:7]
	s_cbranch_execz .LBB33_710
.LBB33_2760:
	v_mov_b32_e32 v3, 0
	v_cmp_ne_u16_sdwa s[8:9], v4, v3 src0_sel:BYTE_0 src1_sel:DWORD
	s_andn2_b64 s[4:5], s[4:5], exec
	s_and_b64 s[8:9], s[8:9], exec
	s_or_b64 s[4:5], s[4:5], s[8:9]
	s_or_b64 exec, exec, s[6:7]
	s_and_saveexec_b64 s[6:7], s[4:5]
	s_cbranch_execnz .LBB33_711
	s_branch .LBB33_712
.LBB33_2761:
	s_movk_i32 s4, 0x80
	v_cmp_eq_u16_sdwa s[12:13], v3, s4 src0_sel:BYTE_0 src1_sel:DWORD
	s_mov_b64 s[4:5], -1
                                        ; implicit-def: $sgpr10
	s_and_saveexec_b64 s[8:9], s[12:13]
; %bb.2762:
	s_mov_b32 s10, 0x7f800001
	s_xor_b64 s[4:5], exec, -1
; %bb.2763:
	s_or_b64 exec, exec, s[8:9]
	s_and_b64 s[4:5], s[4:5], exec
	s_or_saveexec_b64 s[6:7], s[6:7]
	v_mov_b32_e32 v2, s10
	s_xor_b64 exec, exec, s[6:7]
	s_cbranch_execz .LBB33_714
.LBB33_2764:
	v_mov_b32_e32 v2, 0
	v_cmp_ne_u16_sdwa s[8:9], v3, v2 src0_sel:BYTE_0 src1_sel:DWORD
	s_andn2_b64 s[4:5], s[4:5], exec
	s_and_b64 s[8:9], s[8:9], exec
	s_or_b64 s[4:5], s[4:5], s[8:9]
	s_or_b64 exec, exec, s[6:7]
	s_and_saveexec_b64 s[6:7], s[4:5]
	s_cbranch_execnz .LBB33_715
	s_branch .LBB33_716
.LBB33_2765:
	s_movk_i32 s4, 0x80
	v_cmp_eq_u16_sdwa s[12:13], v3, s4 src0_sel:BYTE_0 src1_sel:DWORD
	s_mov_b64 s[4:5], -1
                                        ; implicit-def: $sgpr10
	s_and_saveexec_b64 s[8:9], s[12:13]
; %bb.2766:
	s_mov_b32 s10, 0x7f800001
	s_xor_b64 s[4:5], exec, -1
; %bb.2767:
	s_or_b64 exec, exec, s[8:9]
	s_and_b64 s[4:5], s[4:5], exec
	s_or_saveexec_b64 s[6:7], s[6:7]
	v_mov_b32_e32 v6, s10
	s_xor_b64 exec, exec, s[6:7]
	s_cbranch_execz .LBB33_718
.LBB33_2768:
	v_mov_b32_e32 v6, 0
	v_cmp_ne_u16_sdwa s[8:9], v3, v6 src0_sel:BYTE_0 src1_sel:DWORD
	s_andn2_b64 s[4:5], s[4:5], exec
	s_and_b64 s[8:9], s[8:9], exec
	s_or_b64 s[4:5], s[4:5], s[8:9]
	s_or_b64 exec, exec, s[6:7]
	s_and_saveexec_b64 s[6:7], s[4:5]
	s_cbranch_execnz .LBB33_719
	s_branch .LBB33_720
.LBB33_2769:
	s_movk_i32 s4, 0x80
	v_cmp_eq_u16_e32 vcc, s4, v3
	s_mov_b64 s[4:5], -1
                                        ; implicit-def: $sgpr10
	s_and_saveexec_b64 s[8:9], vcc
; %bb.2770:
	s_mov_b32 s10, 0x7f800001
	s_xor_b64 s[4:5], exec, -1
; %bb.2771:
	s_or_b64 exec, exec, s[8:9]
	s_and_b64 s[4:5], s[4:5], exec
                                        ; implicit-def: $vgpr3
	s_or_saveexec_b64 s[6:7], s[6:7]
	v_mov_b32_e32 v2, s10
	s_xor_b64 exec, exec, s[6:7]
	s_cbranch_execz .LBB33_722
.LBB33_2772:
	v_cmp_ne_u16_e32 vcc, 0, v3
	s_andn2_b64 s[4:5], s[4:5], exec
	s_and_b64 s[8:9], vcc, exec
	v_mov_b32_e32 v2, 0
	s_or_b64 s[4:5], s[4:5], s[8:9]
	s_or_b64 exec, exec, s[6:7]
	s_and_saveexec_b64 s[6:7], s[4:5]
	s_cbranch_execnz .LBB33_723
	s_branch .LBB33_724
.LBB33_2773:
	s_movk_i32 s4, 0x80
	v_cmp_eq_u16_e32 vcc, s4, v3
	s_mov_b64 s[4:5], -1
                                        ; implicit-def: $sgpr10
	s_and_saveexec_b64 s[8:9], vcc
; %bb.2774:
	s_mov_b32 s10, 0x7f800001
	s_xor_b64 s[4:5], exec, -1
; %bb.2775:
	s_or_b64 exec, exec, s[8:9]
	s_and_b64 s[4:5], s[4:5], exec
                                        ; implicit-def: $vgpr3
	s_or_saveexec_b64 s[6:7], s[6:7]
	v_mov_b32_e32 v6, s10
	s_xor_b64 exec, exec, s[6:7]
	s_cbranch_execz .LBB33_726
.LBB33_2776:
	v_cmp_ne_u16_e32 vcc, 0, v3
	s_andn2_b64 s[4:5], s[4:5], exec
	s_and_b64 s[8:9], vcc, exec
	v_mov_b32_e32 v6, 0
	s_or_b64 s[4:5], s[4:5], s[8:9]
	s_or_b64 exec, exec, s[6:7]
	s_and_saveexec_b64 s[6:7], s[4:5]
	s_cbranch_execnz .LBB33_727
	s_branch .LBB33_728
.LBB33_2777:
	s_movk_i32 s4, 0x80
	v_cmp_eq_u16_sdwa s[12:13], v8, s4 src0_sel:BYTE_3 src1_sel:DWORD
	s_mov_b64 s[4:5], -1
                                        ; implicit-def: $sgpr10
	s_and_saveexec_b64 s[8:9], s[12:13]
; %bb.2778:
	s_mov_b32 s10, 0x7f800001
	s_xor_b64 s[4:5], exec, -1
; %bb.2779:
	s_or_b64 exec, exec, s[8:9]
	s_and_b64 s[4:5], s[4:5], exec
	s_or_saveexec_b64 s[6:7], s[6:7]
	v_mov_b32_e32 v2, s10
	s_xor_b64 exec, exec, s[6:7]
	s_cbranch_execz .LBB33_730
.LBB33_2780:
	v_mov_b32_e32 v2, 0
	v_cmp_ne_u16_sdwa s[8:9], v8, v2 src0_sel:BYTE_3 src1_sel:DWORD
	s_andn2_b64 s[4:5], s[4:5], exec
	s_and_b64 s[8:9], s[8:9], exec
	s_or_b64 s[4:5], s[4:5], s[8:9]
	s_or_b64 exec, exec, s[6:7]
	s_and_saveexec_b64 s[6:7], s[4:5]
	s_cbranch_execnz .LBB33_731
	s_branch .LBB33_732
.LBB33_2781:
	s_movk_i32 s4, 0x80
	v_cmp_eq_u16_sdwa s[12:13], v4, s4 src0_sel:BYTE_3 src1_sel:DWORD
	s_mov_b64 s[4:5], -1
                                        ; implicit-def: $sgpr10
	s_and_saveexec_b64 s[8:9], s[12:13]
; %bb.2782:
	s_mov_b32 s10, 0x7f800001
	s_xor_b64 s[4:5], exec, -1
; %bb.2783:
	s_or_b64 exec, exec, s[8:9]
	s_and_b64 s[4:5], s[4:5], exec
	s_or_saveexec_b64 s[6:7], s[6:7]
	v_mov_b32_e32 v3, s10
	s_xor_b64 exec, exec, s[6:7]
	s_cbranch_execz .LBB33_734
.LBB33_2784:
	v_mov_b32_e32 v3, 0
	v_cmp_ne_u16_sdwa s[8:9], v4, v3 src0_sel:BYTE_3 src1_sel:DWORD
	s_andn2_b64 s[4:5], s[4:5], exec
	s_and_b64 s[8:9], s[8:9], exec
	s_or_b64 s[4:5], s[4:5], s[8:9]
	s_or_b64 exec, exec, s[6:7]
	s_and_saveexec_b64 s[6:7], s[4:5]
	s_cbranch_execnz .LBB33_735
	s_branch .LBB33_736
.LBB33_2785:
	s_movk_i32 s4, 0x80
	v_cmp_eq_u16_sdwa s[12:13], v9, s4 src0_sel:BYTE_0 src1_sel:DWORD
	s_mov_b64 s[4:5], -1
                                        ; implicit-def: $sgpr10
	s_and_saveexec_b64 s[8:9], s[12:13]
; %bb.2786:
	s_mov_b32 s10, 0x7f800001
	s_xor_b64 s[4:5], exec, -1
; %bb.2787:
	s_or_b64 exec, exec, s[8:9]
	s_and_b64 s[4:5], s[4:5], exec
	s_or_saveexec_b64 s[6:7], s[6:7]
	v_mov_b32_e32 v2, s10
	s_xor_b64 exec, exec, s[6:7]
	s_cbranch_execz .LBB33_738
.LBB33_2788:
	v_mov_b32_e32 v2, 0
	v_cmp_ne_u16_sdwa s[8:9], v9, v2 src0_sel:BYTE_0 src1_sel:DWORD
	s_andn2_b64 s[4:5], s[4:5], exec
	s_and_b64 s[8:9], s[8:9], exec
	s_or_b64 s[4:5], s[4:5], s[8:9]
	s_or_b64 exec, exec, s[6:7]
	s_and_saveexec_b64 s[6:7], s[4:5]
	s_cbranch_execnz .LBB33_739
	s_branch .LBB33_740
.LBB33_2789:
	s_movk_i32 s4, 0x80
	v_cmp_eq_u16_sdwa s[12:13], v5, s4 src0_sel:BYTE_0 src1_sel:DWORD
	s_mov_b64 s[4:5], -1
                                        ; implicit-def: $sgpr10
	s_and_saveexec_b64 s[8:9], s[12:13]
; %bb.2790:
	s_mov_b32 s10, 0x7f800001
	s_xor_b64 s[4:5], exec, -1
; %bb.2791:
	s_or_b64 exec, exec, s[8:9]
	s_and_b64 s[4:5], s[4:5], exec
	s_or_saveexec_b64 s[6:7], s[6:7]
	v_mov_b32_e32 v3, s10
	s_xor_b64 exec, exec, s[6:7]
	s_cbranch_execz .LBB33_742
.LBB33_2792:
	v_mov_b32_e32 v3, 0
	v_cmp_ne_u16_sdwa s[8:9], v5, v3 src0_sel:BYTE_0 src1_sel:DWORD
	s_andn2_b64 s[4:5], s[4:5], exec
	s_and_b64 s[8:9], s[8:9], exec
	s_or_b64 s[4:5], s[4:5], s[8:9]
	s_or_b64 exec, exec, s[6:7]
	s_and_saveexec_b64 s[6:7], s[4:5]
	s_cbranch_execnz .LBB33_743
	s_branch .LBB33_744
.LBB33_2793:
	s_movk_i32 s4, 0x80
	v_cmp_eq_u16_sdwa s[12:13], v3, s4 src0_sel:BYTE_0 src1_sel:DWORD
	s_mov_b64 s[4:5], -1
                                        ; implicit-def: $sgpr10
	s_and_saveexec_b64 s[8:9], s[12:13]
; %bb.2794:
	s_mov_b32 s10, 0x7f800001
	s_xor_b64 s[4:5], exec, -1
; %bb.2795:
	s_or_b64 exec, exec, s[8:9]
	s_and_b64 s[4:5], s[4:5], exec
	s_or_saveexec_b64 s[6:7], s[6:7]
	v_mov_b32_e32 v2, s10
	s_xor_b64 exec, exec, s[6:7]
	s_cbranch_execz .LBB33_746
.LBB33_2796:
	v_mov_b32_e32 v2, 0
	v_cmp_ne_u16_sdwa s[8:9], v3, v2 src0_sel:BYTE_0 src1_sel:DWORD
	s_andn2_b64 s[4:5], s[4:5], exec
	s_and_b64 s[8:9], s[8:9], exec
	s_or_b64 s[4:5], s[4:5], s[8:9]
	s_or_b64 exec, exec, s[6:7]
	s_and_saveexec_b64 s[6:7], s[4:5]
	s_cbranch_execnz .LBB33_747
	s_branch .LBB33_748
.LBB33_2797:
	s_movk_i32 s4, 0x80
	v_cmp_eq_u16_sdwa s[12:13], v3, s4 src0_sel:BYTE_0 src1_sel:DWORD
	s_mov_b64 s[4:5], -1
                                        ; implicit-def: $sgpr10
	s_and_saveexec_b64 s[8:9], s[12:13]
; %bb.2798:
	s_mov_b32 s10, 0x7f800001
	s_xor_b64 s[4:5], exec, -1
; %bb.2799:
	s_or_b64 exec, exec, s[8:9]
	s_and_b64 s[4:5], s[4:5], exec
	s_or_saveexec_b64 s[6:7], s[6:7]
	v_mov_b32_e32 v4, s10
	s_xor_b64 exec, exec, s[6:7]
	s_cbranch_execz .LBB33_750
.LBB33_2800:
	v_mov_b32_e32 v4, 0
	v_cmp_ne_u16_sdwa s[8:9], v3, v4 src0_sel:BYTE_0 src1_sel:DWORD
	s_andn2_b64 s[4:5], s[4:5], exec
	s_and_b64 s[8:9], s[8:9], exec
	s_or_b64 s[4:5], s[4:5], s[8:9]
	s_or_b64 exec, exec, s[6:7]
	s_and_saveexec_b64 s[6:7], s[4:5]
	s_cbranch_execnz .LBB33_751
	s_branch .LBB33_752
.LBB33_2801:
	s_movk_i32 s4, 0x80
	v_cmp_eq_u16_e32 vcc, s4, v3
	s_mov_b64 s[4:5], -1
                                        ; implicit-def: $sgpr10
	s_and_saveexec_b64 s[8:9], vcc
; %bb.2802:
	s_mov_b32 s10, 0x7f800001
	s_xor_b64 s[4:5], exec, -1
; %bb.2803:
	s_or_b64 exec, exec, s[8:9]
	s_and_b64 s[4:5], s[4:5], exec
                                        ; implicit-def: $vgpr3
	s_or_saveexec_b64 s[6:7], s[6:7]
	v_mov_b32_e32 v2, s10
	s_xor_b64 exec, exec, s[6:7]
	s_cbranch_execz .LBB33_754
.LBB33_2804:
	v_cmp_ne_u16_e32 vcc, 0, v3
	s_andn2_b64 s[4:5], s[4:5], exec
	s_and_b64 s[8:9], vcc, exec
	v_mov_b32_e32 v2, 0
	s_or_b64 s[4:5], s[4:5], s[8:9]
	s_or_b64 exec, exec, s[6:7]
	s_and_saveexec_b64 s[6:7], s[4:5]
	s_cbranch_execnz .LBB33_755
	s_branch .LBB33_756
.LBB33_2805:
	s_movk_i32 s4, 0x80
	v_cmp_eq_u16_e32 vcc, s4, v3
	s_mov_b64 s[4:5], -1
                                        ; implicit-def: $sgpr10
	s_and_saveexec_b64 s[8:9], vcc
; %bb.2806:
	s_mov_b32 s10, 0x7f800001
	s_xor_b64 s[4:5], exec, -1
; %bb.2807:
	s_or_b64 exec, exec, s[8:9]
	s_and_b64 s[4:5], s[4:5], exec
                                        ; implicit-def: $vgpr3
	s_or_saveexec_b64 s[6:7], s[6:7]
	v_mov_b32_e32 v4, s10
	s_xor_b64 exec, exec, s[6:7]
	s_cbranch_execz .LBB33_758
.LBB33_2808:
	v_cmp_ne_u16_e32 vcc, 0, v3
	s_andn2_b64 s[4:5], s[4:5], exec
	s_and_b64 s[8:9], vcc, exec
	v_mov_b32_e32 v4, 0
	s_or_b64 s[4:5], s[4:5], s[8:9]
	s_or_b64 exec, exec, s[6:7]
	s_and_saveexec_b64 s[6:7], s[4:5]
	s_cbranch_execnz .LBB33_759
	s_branch .LBB33_760
.LBB33_2809:
	s_movk_i32 s4, 0x80
	v_cmp_eq_u16_sdwa s[12:13], v9, s4 src0_sel:BYTE_3 src1_sel:DWORD
	s_mov_b64 s[4:5], -1
                                        ; implicit-def: $sgpr10
	s_and_saveexec_b64 s[8:9], s[12:13]
; %bb.2810:
	s_mov_b32 s10, 0x7f800001
	s_xor_b64 s[4:5], exec, -1
; %bb.2811:
	s_or_b64 exec, exec, s[8:9]
	s_and_b64 s[4:5], s[4:5], exec
	s_or_saveexec_b64 s[6:7], s[6:7]
	v_mov_b32_e32 v2, s10
	s_xor_b64 exec, exec, s[6:7]
	s_cbranch_execz .LBB33_762
.LBB33_2812:
	v_mov_b32_e32 v2, 0
	v_cmp_ne_u16_sdwa s[8:9], v9, v2 src0_sel:BYTE_3 src1_sel:DWORD
	s_andn2_b64 s[4:5], s[4:5], exec
	s_and_b64 s[8:9], s[8:9], exec
	s_or_b64 s[4:5], s[4:5], s[8:9]
	s_or_b64 exec, exec, s[6:7]
	s_and_saveexec_b64 s[6:7], s[4:5]
	s_cbranch_execnz .LBB33_763
	s_branch .LBB33_764
.LBB33_2813:
	s_movk_i32 s4, 0x80
	v_cmp_eq_u16_sdwa s[12:13], v5, s4 src0_sel:BYTE_3 src1_sel:DWORD
	s_mov_b64 s[4:5], -1
                                        ; implicit-def: $sgpr10
	s_and_saveexec_b64 s[8:9], s[12:13]
; %bb.2814:
	s_mov_b32 s10, 0x7f800001
	s_xor_b64 s[4:5], exec, -1
; %bb.2815:
	s_or_b64 exec, exec, s[8:9]
	s_and_b64 s[4:5], s[4:5], exec
	s_or_saveexec_b64 s[6:7], s[6:7]
	v_mov_b32_e32 v3, s10
	s_xor_b64 exec, exec, s[6:7]
	s_cbranch_execz .LBB33_766
.LBB33_2816:
	v_mov_b32_e32 v3, 0
	v_cmp_ne_u16_sdwa s[8:9], v5, v3 src0_sel:BYTE_3 src1_sel:DWORD
	s_andn2_b64 s[4:5], s[4:5], exec
	s_and_b64 s[8:9], s[8:9], exec
	s_or_b64 s[4:5], s[4:5], s[8:9]
	s_or_b64 exec, exec, s[6:7]
	s_and_saveexec_b64 s[6:7], s[4:5]
	s_cbranch_execnz .LBB33_767
	s_branch .LBB33_768
.LBB33_2817:
	s_movk_i32 s4, 0x80
	v_cmp_eq_u16_sdwa s[12:13], v14, s4 src0_sel:BYTE_0 src1_sel:DWORD
	s_mov_b64 s[4:5], -1
                                        ; implicit-def: $sgpr10
	s_and_saveexec_b64 s[8:9], s[12:13]
; %bb.2818:
	s_mov_b32 s10, 0x7f800001
	s_xor_b64 s[4:5], exec, -1
; %bb.2819:
	s_or_b64 exec, exec, s[8:9]
	s_and_b64 s[4:5], s[4:5], exec
	s_or_saveexec_b64 s[6:7], s[6:7]
	v_mov_b32_e32 v20, s10
	s_xor_b64 exec, exec, s[6:7]
	s_cbranch_execz .LBB33_770
.LBB33_2820:
	v_mov_b32_e32 v20, 0
	v_cmp_ne_u16_sdwa s[8:9], v14, v20 src0_sel:BYTE_0 src1_sel:DWORD
	s_andn2_b64 s[4:5], s[4:5], exec
	s_and_b64 s[8:9], s[8:9], exec
	s_or_b64 s[4:5], s[4:5], s[8:9]
	s_or_b64 exec, exec, s[6:7]
	s_and_saveexec_b64 s[6:7], s[4:5]
	s_cbranch_execnz .LBB33_771
	s_branch .LBB33_772
.LBB33_2821:
	s_movk_i32 s4, 0x80
	v_cmp_eq_u16_sdwa s[12:13], v10, s4 src0_sel:BYTE_0 src1_sel:DWORD
	s_mov_b64 s[4:5], -1
                                        ; implicit-def: $sgpr10
	s_and_saveexec_b64 s[8:9], s[12:13]
; %bb.2822:
	s_mov_b32 s10, 0x7f800001
	s_xor_b64 s[4:5], exec, -1
; %bb.2823:
	s_or_b64 exec, exec, s[8:9]
	s_and_b64 s[4:5], s[4:5], exec
	s_or_saveexec_b64 s[6:7], s[6:7]
	v_mov_b32_e32 v21, s10
	s_xor_b64 exec, exec, s[6:7]
	s_cbranch_execz .LBB33_774
.LBB33_2824:
	v_mov_b32_e32 v21, 0
	v_cmp_ne_u16_sdwa s[8:9], v10, v21 src0_sel:BYTE_0 src1_sel:DWORD
	s_andn2_b64 s[4:5], s[4:5], exec
	s_and_b64 s[8:9], s[8:9], exec
	s_or_b64 s[4:5], s[4:5], s[8:9]
	s_or_b64 exec, exec, s[6:7]
	s_and_saveexec_b64 s[6:7], s[4:5]
	s_cbranch_execnz .LBB33_775
	s_branch .LBB33_776
.LBB33_2825:
	s_movk_i32 s4, 0x80
	v_cmp_eq_u16_sdwa s[12:13], v21, s4 src0_sel:BYTE_0 src1_sel:DWORD
	s_mov_b64 s[4:5], -1
                                        ; implicit-def: $sgpr10
	s_and_saveexec_b64 s[8:9], s[12:13]
; %bb.2826:
	s_mov_b32 s10, 0x7f800001
	s_xor_b64 s[4:5], exec, -1
; %bb.2827:
	s_or_b64 exec, exec, s[8:9]
	s_and_b64 s[4:5], s[4:5], exec
	s_or_saveexec_b64 s[6:7], s[6:7]
	v_mov_b32_e32 v20, s10
	s_xor_b64 exec, exec, s[6:7]
	s_cbranch_execz .LBB33_778
.LBB33_2828:
	v_mov_b32_e32 v20, 0
	v_cmp_ne_u16_sdwa s[8:9], v21, v20 src0_sel:BYTE_0 src1_sel:DWORD
	s_andn2_b64 s[4:5], s[4:5], exec
	s_and_b64 s[8:9], s[8:9], exec
	s_or_b64 s[4:5], s[4:5], s[8:9]
	s_or_b64 exec, exec, s[6:7]
	s_and_saveexec_b64 s[6:7], s[4:5]
	s_cbranch_execnz .LBB33_779
	s_branch .LBB33_780
.LBB33_2829:
	s_movk_i32 s4, 0x80
	v_cmp_eq_u16_sdwa s[12:13], v21, s4 src0_sel:BYTE_0 src1_sel:DWORD
	s_mov_b64 s[4:5], -1
                                        ; implicit-def: $sgpr10
	s_and_saveexec_b64 s[8:9], s[12:13]
; %bb.2830:
	s_mov_b32 s10, 0x7f800001
	s_xor_b64 s[4:5], exec, -1
; %bb.2831:
	s_or_b64 exec, exec, s[8:9]
	s_and_b64 s[4:5], s[4:5], exec
	s_or_saveexec_b64 s[6:7], s[6:7]
	v_mov_b32_e32 v22, s10
	s_xor_b64 exec, exec, s[6:7]
	s_cbranch_execz .LBB33_782
.LBB33_2832:
	v_mov_b32_e32 v22, 0
	v_cmp_ne_u16_sdwa s[8:9], v21, v22 src0_sel:BYTE_0 src1_sel:DWORD
	s_andn2_b64 s[4:5], s[4:5], exec
	s_and_b64 s[8:9], s[8:9], exec
	s_or_b64 s[4:5], s[4:5], s[8:9]
	s_or_b64 exec, exec, s[6:7]
	s_and_saveexec_b64 s[6:7], s[4:5]
	s_cbranch_execnz .LBB33_783
	s_branch .LBB33_784
.LBB33_2833:
	s_movk_i32 s4, 0x80
	v_cmp_eq_u16_e32 vcc, s4, v21
	s_mov_b64 s[4:5], -1
                                        ; implicit-def: $sgpr10
	s_and_saveexec_b64 s[8:9], vcc
; %bb.2834:
	s_mov_b32 s10, 0x7f800001
	s_xor_b64 s[4:5], exec, -1
; %bb.2835:
	s_or_b64 exec, exec, s[8:9]
	s_and_b64 s[4:5], s[4:5], exec
                                        ; implicit-def: $vgpr21
	s_or_saveexec_b64 s[6:7], s[6:7]
	v_mov_b32_e32 v20, s10
	s_xor_b64 exec, exec, s[6:7]
	s_cbranch_execz .LBB33_786
.LBB33_2836:
	v_cmp_ne_u16_e32 vcc, 0, v21
	s_andn2_b64 s[4:5], s[4:5], exec
	s_and_b64 s[8:9], vcc, exec
	v_mov_b32_e32 v20, 0
	s_or_b64 s[4:5], s[4:5], s[8:9]
	s_or_b64 exec, exec, s[6:7]
	s_and_saveexec_b64 s[6:7], s[4:5]
	s_cbranch_execnz .LBB33_787
	s_branch .LBB33_788
.LBB33_2837:
	s_movk_i32 s4, 0x80
	v_cmp_eq_u16_e32 vcc, s4, v21
	s_mov_b64 s[4:5], -1
                                        ; implicit-def: $sgpr10
	s_and_saveexec_b64 s[8:9], vcc
; %bb.2838:
	s_mov_b32 s10, 0x7f800001
	s_xor_b64 s[4:5], exec, -1
; %bb.2839:
	s_or_b64 exec, exec, s[8:9]
	s_and_b64 s[4:5], s[4:5], exec
                                        ; implicit-def: $vgpr21
	s_or_saveexec_b64 s[6:7], s[6:7]
	v_mov_b32_e32 v22, s10
	s_xor_b64 exec, exec, s[6:7]
	s_cbranch_execz .LBB33_790
.LBB33_2840:
	v_cmp_ne_u16_e32 vcc, 0, v21
	s_andn2_b64 s[4:5], s[4:5], exec
	s_and_b64 s[8:9], vcc, exec
	v_mov_b32_e32 v22, 0
	s_or_b64 s[4:5], s[4:5], s[8:9]
	s_or_b64 exec, exec, s[6:7]
	s_and_saveexec_b64 s[6:7], s[4:5]
	s_cbranch_execnz .LBB33_791
	s_branch .LBB33_792
.LBB33_2841:
	s_movk_i32 s4, 0x80
	v_cmp_eq_u16_sdwa s[12:13], v14, s4 src0_sel:BYTE_3 src1_sel:DWORD
	s_mov_b64 s[4:5], -1
                                        ; implicit-def: $sgpr10
	s_and_saveexec_b64 s[8:9], s[12:13]
; %bb.2842:
	s_mov_b32 s10, 0x7f800001
	s_xor_b64 s[4:5], exec, -1
; %bb.2843:
	s_or_b64 exec, exec, s[8:9]
	s_and_b64 s[4:5], s[4:5], exec
	s_or_saveexec_b64 s[6:7], s[6:7]
	v_mov_b32_e32 v20, s10
	s_xor_b64 exec, exec, s[6:7]
	s_cbranch_execz .LBB33_794
.LBB33_2844:
	v_mov_b32_e32 v20, 0
	v_cmp_ne_u16_sdwa s[8:9], v14, v20 src0_sel:BYTE_3 src1_sel:DWORD
	s_andn2_b64 s[4:5], s[4:5], exec
	s_and_b64 s[8:9], s[8:9], exec
	s_or_b64 s[4:5], s[4:5], s[8:9]
	s_or_b64 exec, exec, s[6:7]
	s_and_saveexec_b64 s[6:7], s[4:5]
	s_cbranch_execnz .LBB33_795
	s_branch .LBB33_796
.LBB33_2845:
	s_movk_i32 s4, 0x80
	v_cmp_eq_u16_sdwa s[12:13], v10, s4 src0_sel:BYTE_3 src1_sel:DWORD
	s_mov_b64 s[4:5], -1
                                        ; implicit-def: $sgpr10
	s_and_saveexec_b64 s[8:9], s[12:13]
; %bb.2846:
	s_mov_b32 s10, 0x7f800001
	s_xor_b64 s[4:5], exec, -1
; %bb.2847:
	s_or_b64 exec, exec, s[8:9]
	s_and_b64 s[4:5], s[4:5], exec
	s_or_saveexec_b64 s[6:7], s[6:7]
	v_mov_b32_e32 v14, s10
	s_xor_b64 exec, exec, s[6:7]
	s_cbranch_execz .LBB33_798
.LBB33_2848:
	v_mov_b32_e32 v14, 0
	v_cmp_ne_u16_sdwa s[8:9], v10, v14 src0_sel:BYTE_3 src1_sel:DWORD
	s_andn2_b64 s[4:5], s[4:5], exec
	s_and_b64 s[8:9], s[8:9], exec
	s_or_b64 s[4:5], s[4:5], s[8:9]
	s_or_b64 exec, exec, s[6:7]
	s_and_saveexec_b64 s[6:7], s[4:5]
	s_cbranch_execnz .LBB33_799
	s_branch .LBB33_800
.LBB33_2849:
	s_movk_i32 s4, 0x80
	v_cmp_eq_u16_sdwa s[12:13], v15, s4 src0_sel:BYTE_0 src1_sel:DWORD
	s_mov_b64 s[4:5], -1
                                        ; implicit-def: $sgpr10
	s_and_saveexec_b64 s[8:9], s[12:13]
; %bb.2850:
	s_mov_b32 s10, 0x7f800001
	s_xor_b64 s[4:5], exec, -1
; %bb.2851:
	s_or_b64 exec, exec, s[8:9]
	s_and_b64 s[4:5], s[4:5], exec
	s_or_saveexec_b64 s[6:7], s[6:7]
	v_mov_b32_e32 v10, s10
	s_xor_b64 exec, exec, s[6:7]
	s_cbranch_execz .LBB33_802
.LBB33_2852:
	v_mov_b32_e32 v10, 0
	v_cmp_ne_u16_sdwa s[8:9], v15, v10 src0_sel:BYTE_0 src1_sel:DWORD
	s_andn2_b64 s[4:5], s[4:5], exec
	s_and_b64 s[8:9], s[8:9], exec
	s_or_b64 s[4:5], s[4:5], s[8:9]
	s_or_b64 exec, exec, s[6:7]
	s_and_saveexec_b64 s[6:7], s[4:5]
	s_cbranch_execnz .LBB33_803
	s_branch .LBB33_804
.LBB33_2853:
	s_movk_i32 s4, 0x80
	v_cmp_eq_u16_sdwa s[12:13], v11, s4 src0_sel:BYTE_0 src1_sel:DWORD
	s_mov_b64 s[4:5], -1
                                        ; implicit-def: $sgpr10
	s_and_saveexec_b64 s[8:9], s[12:13]
; %bb.2854:
	s_mov_b32 s10, 0x7f800001
	s_xor_b64 s[4:5], exec, -1
; %bb.2855:
	s_or_b64 exec, exec, s[8:9]
	s_and_b64 s[4:5], s[4:5], exec
	s_or_saveexec_b64 s[6:7], s[6:7]
	v_mov_b32_e32 v14, s10
	s_xor_b64 exec, exec, s[6:7]
	s_cbranch_execz .LBB33_806
.LBB33_2856:
	v_mov_b32_e32 v14, 0
	v_cmp_ne_u16_sdwa s[8:9], v11, v14 src0_sel:BYTE_0 src1_sel:DWORD
	s_andn2_b64 s[4:5], s[4:5], exec
	s_and_b64 s[8:9], s[8:9], exec
	s_or_b64 s[4:5], s[4:5], s[8:9]
	s_or_b64 exec, exec, s[6:7]
	s_and_saveexec_b64 s[6:7], s[4:5]
	s_cbranch_execnz .LBB33_807
	s_branch .LBB33_808
.LBB33_2857:
	s_movk_i32 s4, 0x80
	v_cmp_eq_u16_sdwa s[12:13], v14, s4 src0_sel:BYTE_0 src1_sel:DWORD
	s_mov_b64 s[4:5], -1
                                        ; implicit-def: $sgpr10
	s_and_saveexec_b64 s[8:9], s[12:13]
; %bb.2858:
	s_mov_b32 s10, 0x7f800001
	s_xor_b64 s[4:5], exec, -1
; %bb.2859:
	s_or_b64 exec, exec, s[8:9]
	s_and_b64 s[4:5], s[4:5], exec
	s_or_saveexec_b64 s[6:7], s[6:7]
	v_mov_b32_e32 v10, s10
	s_xor_b64 exec, exec, s[6:7]
	s_cbranch_execz .LBB33_810
.LBB33_2860:
	v_mov_b32_e32 v10, 0
	v_cmp_ne_u16_sdwa s[8:9], v14, v10 src0_sel:BYTE_0 src1_sel:DWORD
	s_andn2_b64 s[4:5], s[4:5], exec
	s_and_b64 s[8:9], s[8:9], exec
	s_or_b64 s[4:5], s[4:5], s[8:9]
	s_or_b64 exec, exec, s[6:7]
	s_and_saveexec_b64 s[6:7], s[4:5]
	s_cbranch_execnz .LBB33_811
	s_branch .LBB33_812
.LBB33_2861:
	s_movk_i32 s4, 0x80
	v_cmp_eq_u16_sdwa s[12:13], v14, s4 src0_sel:BYTE_0 src1_sel:DWORD
	s_mov_b64 s[4:5], -1
                                        ; implicit-def: $sgpr10
	s_and_saveexec_b64 s[8:9], s[12:13]
; %bb.2862:
	s_mov_b32 s10, 0x7f800001
	s_xor_b64 s[4:5], exec, -1
; %bb.2863:
	s_or_b64 exec, exec, s[8:9]
	s_and_b64 s[4:5], s[4:5], exec
	s_or_saveexec_b64 s[6:7], s[6:7]
	v_mov_b32_e32 v20, s10
	s_xor_b64 exec, exec, s[6:7]
	s_cbranch_execz .LBB33_814
.LBB33_2864:
	v_mov_b32_e32 v20, 0
	v_cmp_ne_u16_sdwa s[8:9], v14, v20 src0_sel:BYTE_0 src1_sel:DWORD
	s_andn2_b64 s[4:5], s[4:5], exec
	s_and_b64 s[8:9], s[8:9], exec
	s_or_b64 s[4:5], s[4:5], s[8:9]
	s_or_b64 exec, exec, s[6:7]
	s_and_saveexec_b64 s[6:7], s[4:5]
	s_cbranch_execnz .LBB33_815
	s_branch .LBB33_816
.LBB33_2865:
	s_movk_i32 s4, 0x80
	v_cmp_eq_u16_e32 vcc, s4, v14
	s_mov_b64 s[4:5], -1
                                        ; implicit-def: $sgpr10
	s_and_saveexec_b64 s[8:9], vcc
; %bb.2866:
	s_mov_b32 s10, 0x7f800001
	s_xor_b64 s[4:5], exec, -1
; %bb.2867:
	s_or_b64 exec, exec, s[8:9]
	s_and_b64 s[4:5], s[4:5], exec
                                        ; implicit-def: $vgpr14
	s_or_saveexec_b64 s[6:7], s[6:7]
	v_mov_b32_e32 v10, s10
	s_xor_b64 exec, exec, s[6:7]
	s_cbranch_execz .LBB33_818
.LBB33_2868:
	v_cmp_ne_u16_e32 vcc, 0, v14
	s_andn2_b64 s[4:5], s[4:5], exec
	s_and_b64 s[8:9], vcc, exec
	v_mov_b32_e32 v10, 0
	s_or_b64 s[4:5], s[4:5], s[8:9]
	s_or_b64 exec, exec, s[6:7]
	s_and_saveexec_b64 s[6:7], s[4:5]
	s_cbranch_execnz .LBB33_819
	s_branch .LBB33_820
.LBB33_2869:
	s_movk_i32 s4, 0x80
	v_cmp_eq_u16_e32 vcc, s4, v14
	s_mov_b64 s[4:5], -1
                                        ; implicit-def: $sgpr10
	s_and_saveexec_b64 s[8:9], vcc
; %bb.2870:
	s_mov_b32 s10, 0x7f800001
	s_xor_b64 s[4:5], exec, -1
; %bb.2871:
	s_or_b64 exec, exec, s[8:9]
	s_and_b64 s[4:5], s[4:5], exec
                                        ; implicit-def: $vgpr14
	s_or_saveexec_b64 s[6:7], s[6:7]
	v_mov_b32_e32 v20, s10
	s_xor_b64 exec, exec, s[6:7]
	s_cbranch_execz .LBB33_822
.LBB33_2872:
	v_cmp_ne_u16_e32 vcc, 0, v14
	s_andn2_b64 s[4:5], s[4:5], exec
	s_and_b64 s[8:9], vcc, exec
	v_mov_b32_e32 v20, 0
	s_or_b64 s[4:5], s[4:5], s[8:9]
	s_or_b64 exec, exec, s[6:7]
	s_and_saveexec_b64 s[6:7], s[4:5]
	s_cbranch_execnz .LBB33_823
	s_branch .LBB33_824
.LBB33_2873:
	s_movk_i32 s4, 0x80
	v_cmp_eq_u16_sdwa s[12:13], v15, s4 src0_sel:BYTE_3 src1_sel:DWORD
	s_mov_b64 s[4:5], -1
                                        ; implicit-def: $sgpr10
	s_and_saveexec_b64 s[8:9], s[12:13]
; %bb.2874:
	s_mov_b32 s10, 0x7f800001
	s_xor_b64 s[4:5], exec, -1
; %bb.2875:
	s_or_b64 exec, exec, s[8:9]
	s_and_b64 s[4:5], s[4:5], exec
	s_or_saveexec_b64 s[6:7], s[6:7]
	v_mov_b32_e32 v10, s10
	s_xor_b64 exec, exec, s[6:7]
	s_cbranch_execz .LBB33_826
.LBB33_2876:
	v_mov_b32_e32 v10, 0
	v_cmp_ne_u16_sdwa s[8:9], v15, v10 src0_sel:BYTE_3 src1_sel:DWORD
	s_andn2_b64 s[4:5], s[4:5], exec
	s_and_b64 s[8:9], s[8:9], exec
	s_or_b64 s[4:5], s[4:5], s[8:9]
	s_or_b64 exec, exec, s[6:7]
	s_and_saveexec_b64 s[6:7], s[4:5]
	s_cbranch_execnz .LBB33_827
	s_branch .LBB33_828
.LBB33_2877:
	s_movk_i32 s4, 0x80
	v_cmp_eq_u16_sdwa s[12:13], v11, s4 src0_sel:BYTE_3 src1_sel:DWORD
	s_mov_b64 s[4:5], -1
                                        ; implicit-def: $sgpr10
	s_and_saveexec_b64 s[8:9], s[12:13]
; %bb.2878:
	s_mov_b32 s10, 0x7f800001
	s_xor_b64 s[4:5], exec, -1
; %bb.2879:
	s_or_b64 exec, exec, s[8:9]
	s_and_b64 s[4:5], s[4:5], exec
	s_or_saveexec_b64 s[6:7], s[6:7]
	v_mov_b32_e32 v14, s10
	s_xor_b64 exec, exec, s[6:7]
	s_cbranch_execz .LBB33_830
.LBB33_2880:
	v_mov_b32_e32 v14, 0
	v_cmp_ne_u16_sdwa s[8:9], v11, v14 src0_sel:BYTE_3 src1_sel:DWORD
	s_andn2_b64 s[4:5], s[4:5], exec
	s_and_b64 s[8:9], s[8:9], exec
	s_or_b64 s[4:5], s[4:5], s[8:9]
	s_or_b64 exec, exec, s[6:7]
	s_and_saveexec_b64 s[6:7], s[4:5]
	s_cbranch_execnz .LBB33_831
	s_branch .LBB33_832
.LBB33_2881:
	s_movk_i32 s4, 0x80
	v_cmp_eq_u16_sdwa s[12:13], v16, s4 src0_sel:BYTE_0 src1_sel:DWORD
	s_mov_b64 s[4:5], -1
                                        ; implicit-def: $sgpr10
	s_and_saveexec_b64 s[8:9], s[12:13]
; %bb.2882:
	s_mov_b32 s10, 0x7f800001
	s_xor_b64 s[4:5], exec, -1
; %bb.2883:
	s_or_b64 exec, exec, s[8:9]
	s_and_b64 s[4:5], s[4:5], exec
	s_or_saveexec_b64 s[6:7], s[6:7]
	v_mov_b32_e32 v10, s10
	s_xor_b64 exec, exec, s[6:7]
	s_cbranch_execz .LBB33_834
.LBB33_2884:
	v_mov_b32_e32 v10, 0
	v_cmp_ne_u16_sdwa s[8:9], v16, v10 src0_sel:BYTE_0 src1_sel:DWORD
	s_andn2_b64 s[4:5], s[4:5], exec
	s_and_b64 s[8:9], s[8:9], exec
	s_or_b64 s[4:5], s[4:5], s[8:9]
	s_or_b64 exec, exec, s[6:7]
	s_and_saveexec_b64 s[6:7], s[4:5]
	s_cbranch_execnz .LBB33_835
	s_branch .LBB33_836
.LBB33_2885:
	s_movk_i32 s4, 0x80
	v_cmp_eq_u16_sdwa s[12:13], v12, s4 src0_sel:BYTE_0 src1_sel:DWORD
	s_mov_b64 s[4:5], -1
                                        ; implicit-def: $sgpr10
	s_and_saveexec_b64 s[8:9], s[12:13]
; %bb.2886:
	s_mov_b32 s10, 0x7f800001
	s_xor_b64 s[4:5], exec, -1
; %bb.2887:
	s_or_b64 exec, exec, s[8:9]
	s_and_b64 s[4:5], s[4:5], exec
	s_or_saveexec_b64 s[6:7], s[6:7]
	v_mov_b32_e32 v11, s10
	s_xor_b64 exec, exec, s[6:7]
	s_cbranch_execz .LBB33_838
.LBB33_2888:
	v_mov_b32_e32 v11, 0
	v_cmp_ne_u16_sdwa s[8:9], v12, v11 src0_sel:BYTE_0 src1_sel:DWORD
	s_andn2_b64 s[4:5], s[4:5], exec
	s_and_b64 s[8:9], s[8:9], exec
	s_or_b64 s[4:5], s[4:5], s[8:9]
	s_or_b64 exec, exec, s[6:7]
	s_and_saveexec_b64 s[6:7], s[4:5]
	s_cbranch_execnz .LBB33_839
	s_branch .LBB33_840
.LBB33_2889:
	s_movk_i32 s4, 0x80
	v_cmp_eq_u16_sdwa s[12:13], v11, s4 src0_sel:BYTE_0 src1_sel:DWORD
	s_mov_b64 s[4:5], -1
                                        ; implicit-def: $sgpr10
	s_and_saveexec_b64 s[8:9], s[12:13]
; %bb.2890:
	s_mov_b32 s10, 0x7f800001
	s_xor_b64 s[4:5], exec, -1
; %bb.2891:
	s_or_b64 exec, exec, s[8:9]
	s_and_b64 s[4:5], s[4:5], exec
	s_or_saveexec_b64 s[6:7], s[6:7]
	v_mov_b32_e32 v10, s10
	s_xor_b64 exec, exec, s[6:7]
	s_cbranch_execz .LBB33_842
.LBB33_2892:
	v_mov_b32_e32 v10, 0
	v_cmp_ne_u16_sdwa s[8:9], v11, v10 src0_sel:BYTE_0 src1_sel:DWORD
	s_andn2_b64 s[4:5], s[4:5], exec
	s_and_b64 s[8:9], s[8:9], exec
	s_or_b64 s[4:5], s[4:5], s[8:9]
	s_or_b64 exec, exec, s[6:7]
	s_and_saveexec_b64 s[6:7], s[4:5]
	s_cbranch_execnz .LBB33_843
	s_branch .LBB33_844
.LBB33_2893:
	s_movk_i32 s4, 0x80
	v_cmp_eq_u16_sdwa s[12:13], v11, s4 src0_sel:BYTE_0 src1_sel:DWORD
	s_mov_b64 s[4:5], -1
                                        ; implicit-def: $sgpr10
	s_and_saveexec_b64 s[8:9], s[12:13]
; %bb.2894:
	s_mov_b32 s10, 0x7f800001
	s_xor_b64 s[4:5], exec, -1
; %bb.2895:
	s_or_b64 exec, exec, s[8:9]
	s_and_b64 s[4:5], s[4:5], exec
	s_or_saveexec_b64 s[6:7], s[6:7]
	v_mov_b32_e32 v14, s10
	s_xor_b64 exec, exec, s[6:7]
	s_cbranch_execz .LBB33_846
.LBB33_2896:
	v_mov_b32_e32 v14, 0
	v_cmp_ne_u16_sdwa s[8:9], v11, v14 src0_sel:BYTE_0 src1_sel:DWORD
	s_andn2_b64 s[4:5], s[4:5], exec
	s_and_b64 s[8:9], s[8:9], exec
	s_or_b64 s[4:5], s[4:5], s[8:9]
	s_or_b64 exec, exec, s[6:7]
	s_and_saveexec_b64 s[6:7], s[4:5]
	s_cbranch_execnz .LBB33_847
	s_branch .LBB33_848
.LBB33_2897:
	s_movk_i32 s4, 0x80
	v_cmp_eq_u16_e32 vcc, s4, v11
	s_mov_b64 s[4:5], -1
                                        ; implicit-def: $sgpr10
	s_and_saveexec_b64 s[8:9], vcc
; %bb.2898:
	s_mov_b32 s10, 0x7f800001
	s_xor_b64 s[4:5], exec, -1
; %bb.2899:
	s_or_b64 exec, exec, s[8:9]
	s_and_b64 s[4:5], s[4:5], exec
                                        ; implicit-def: $vgpr11
	s_or_saveexec_b64 s[6:7], s[6:7]
	v_mov_b32_e32 v10, s10
	s_xor_b64 exec, exec, s[6:7]
	s_cbranch_execz .LBB33_850
.LBB33_2900:
	v_cmp_ne_u16_e32 vcc, 0, v11
	s_andn2_b64 s[4:5], s[4:5], exec
	s_and_b64 s[8:9], vcc, exec
	v_mov_b32_e32 v10, 0
	s_or_b64 s[4:5], s[4:5], s[8:9]
	s_or_b64 exec, exec, s[6:7]
	s_and_saveexec_b64 s[6:7], s[4:5]
	s_cbranch_execnz .LBB33_851
	s_branch .LBB33_852
.LBB33_2901:
	s_movk_i32 s4, 0x80
	v_cmp_eq_u16_e32 vcc, s4, v11
	s_mov_b64 s[4:5], -1
                                        ; implicit-def: $sgpr10
	s_and_saveexec_b64 s[8:9], vcc
; %bb.2902:
	s_mov_b32 s10, 0x7f800001
	s_xor_b64 s[4:5], exec, -1
; %bb.2903:
	s_or_b64 exec, exec, s[8:9]
	s_and_b64 s[4:5], s[4:5], exec
                                        ; implicit-def: $vgpr11
	s_or_saveexec_b64 s[6:7], s[6:7]
	v_mov_b32_e32 v14, s10
	s_xor_b64 exec, exec, s[6:7]
	s_cbranch_execz .LBB33_854
.LBB33_2904:
	v_cmp_ne_u16_e32 vcc, 0, v11
	s_andn2_b64 s[4:5], s[4:5], exec
	s_and_b64 s[8:9], vcc, exec
	v_mov_b32_e32 v14, 0
	s_or_b64 s[4:5], s[4:5], s[8:9]
	s_or_b64 exec, exec, s[6:7]
	s_and_saveexec_b64 s[6:7], s[4:5]
	s_cbranch_execnz .LBB33_855
	s_branch .LBB33_856
.LBB33_2905:
	s_movk_i32 s4, 0x80
	v_cmp_eq_u16_sdwa s[12:13], v16, s4 src0_sel:BYTE_3 src1_sel:DWORD
	s_mov_b64 s[4:5], -1
                                        ; implicit-def: $sgpr10
	s_and_saveexec_b64 s[8:9], s[12:13]
; %bb.2906:
	s_mov_b32 s10, 0x7f800001
	s_xor_b64 s[4:5], exec, -1
; %bb.2907:
	s_or_b64 exec, exec, s[8:9]
	s_and_b64 s[4:5], s[4:5], exec
	s_or_saveexec_b64 s[6:7], s[6:7]
	v_mov_b32_e32 v10, s10
	s_xor_b64 exec, exec, s[6:7]
	s_cbranch_execz .LBB33_858
.LBB33_2908:
	v_mov_b32_e32 v10, 0
	v_cmp_ne_u16_sdwa s[8:9], v16, v10 src0_sel:BYTE_3 src1_sel:DWORD
	s_andn2_b64 s[4:5], s[4:5], exec
	s_and_b64 s[8:9], s[8:9], exec
	s_or_b64 s[4:5], s[4:5], s[8:9]
	s_or_b64 exec, exec, s[6:7]
	s_and_saveexec_b64 s[6:7], s[4:5]
	s_cbranch_execnz .LBB33_859
	s_branch .LBB33_860
.LBB33_2909:
	s_movk_i32 s4, 0x80
	v_cmp_eq_u16_sdwa s[12:13], v12, s4 src0_sel:BYTE_3 src1_sel:DWORD
	s_mov_b64 s[4:5], -1
                                        ; implicit-def: $sgpr10
	s_and_saveexec_b64 s[8:9], s[12:13]
; %bb.2910:
	s_mov_b32 s10, 0x7f800001
	s_xor_b64 s[4:5], exec, -1
; %bb.2911:
	s_or_b64 exec, exec, s[8:9]
	s_and_b64 s[4:5], s[4:5], exec
	s_or_saveexec_b64 s[6:7], s[6:7]
	v_mov_b32_e32 v11, s10
	s_xor_b64 exec, exec, s[6:7]
	s_cbranch_execz .LBB33_862
.LBB33_2912:
	v_mov_b32_e32 v11, 0
	v_cmp_ne_u16_sdwa s[8:9], v12, v11 src0_sel:BYTE_3 src1_sel:DWORD
	s_andn2_b64 s[4:5], s[4:5], exec
	s_and_b64 s[8:9], s[8:9], exec
	s_or_b64 s[4:5], s[4:5], s[8:9]
	s_or_b64 exec, exec, s[6:7]
	s_and_saveexec_b64 s[6:7], s[4:5]
	s_cbranch_execnz .LBB33_863
	s_branch .LBB33_864
.LBB33_2913:
	s_movk_i32 s4, 0x80
	v_cmp_eq_u16_sdwa s[12:13], v17, s4 src0_sel:BYTE_0 src1_sel:DWORD
	s_mov_b64 s[4:5], -1
                                        ; implicit-def: $sgpr10
	s_and_saveexec_b64 s[8:9], s[12:13]
; %bb.2914:
	s_mov_b32 s10, 0x7f800001
	s_xor_b64 s[4:5], exec, -1
; %bb.2915:
	s_or_b64 exec, exec, s[8:9]
	s_and_b64 s[4:5], s[4:5], exec
	s_or_saveexec_b64 s[6:7], s[6:7]
	v_mov_b32_e32 v10, s10
	s_xor_b64 exec, exec, s[6:7]
	s_cbranch_execz .LBB33_866
.LBB33_2916:
	v_mov_b32_e32 v10, 0
	v_cmp_ne_u16_sdwa s[8:9], v17, v10 src0_sel:BYTE_0 src1_sel:DWORD
	s_andn2_b64 s[4:5], s[4:5], exec
	s_and_b64 s[8:9], s[8:9], exec
	s_or_b64 s[4:5], s[4:5], s[8:9]
	s_or_b64 exec, exec, s[6:7]
	s_and_saveexec_b64 s[6:7], s[4:5]
	s_cbranch_execnz .LBB33_867
	s_branch .LBB33_868
.LBB33_2917:
	s_movk_i32 s4, 0x80
	v_cmp_eq_u16_sdwa s[12:13], v13, s4 src0_sel:BYTE_0 src1_sel:DWORD
	s_mov_b64 s[4:5], -1
                                        ; implicit-def: $sgpr10
	s_and_saveexec_b64 s[8:9], s[12:13]
; %bb.2918:
	s_mov_b32 s10, 0x7f800001
	s_xor_b64 s[4:5], exec, -1
; %bb.2919:
	s_or_b64 exec, exec, s[8:9]
	s_and_b64 s[4:5], s[4:5], exec
	s_or_saveexec_b64 s[6:7], s[6:7]
	v_mov_b32_e32 v11, s10
	s_xor_b64 exec, exec, s[6:7]
	s_cbranch_execz .LBB33_870
.LBB33_2920:
	v_mov_b32_e32 v11, 0
	v_cmp_ne_u16_sdwa s[8:9], v13, v11 src0_sel:BYTE_0 src1_sel:DWORD
	s_andn2_b64 s[4:5], s[4:5], exec
	s_and_b64 s[8:9], s[8:9], exec
	s_or_b64 s[4:5], s[4:5], s[8:9]
	s_or_b64 exec, exec, s[6:7]
	s_and_saveexec_b64 s[6:7], s[4:5]
	s_cbranch_execnz .LBB33_871
	s_branch .LBB33_872
.LBB33_2921:
	s_movk_i32 s4, 0x80
	v_cmp_eq_u16_sdwa s[12:13], v11, s4 src0_sel:BYTE_0 src1_sel:DWORD
	s_mov_b64 s[4:5], -1
                                        ; implicit-def: $sgpr10
	s_and_saveexec_b64 s[8:9], s[12:13]
; %bb.2922:
	s_mov_b32 s10, 0x7f800001
	s_xor_b64 s[4:5], exec, -1
; %bb.2923:
	s_or_b64 exec, exec, s[8:9]
	s_and_b64 s[4:5], s[4:5], exec
	s_or_saveexec_b64 s[6:7], s[6:7]
	v_mov_b32_e32 v10, s10
	s_xor_b64 exec, exec, s[6:7]
	s_cbranch_execz .LBB33_874
.LBB33_2924:
	v_mov_b32_e32 v10, 0
	v_cmp_ne_u16_sdwa s[8:9], v11, v10 src0_sel:BYTE_0 src1_sel:DWORD
	s_andn2_b64 s[4:5], s[4:5], exec
	s_and_b64 s[8:9], s[8:9], exec
	s_or_b64 s[4:5], s[4:5], s[8:9]
	s_or_b64 exec, exec, s[6:7]
	s_and_saveexec_b64 s[6:7], s[4:5]
	s_cbranch_execnz .LBB33_875
	s_branch .LBB33_876
.LBB33_2925:
	s_movk_i32 s4, 0x80
	v_cmp_eq_u16_sdwa s[12:13], v11, s4 src0_sel:BYTE_0 src1_sel:DWORD
	s_mov_b64 s[4:5], -1
                                        ; implicit-def: $sgpr10
	s_and_saveexec_b64 s[8:9], s[12:13]
; %bb.2926:
	s_mov_b32 s10, 0x7f800001
	s_xor_b64 s[4:5], exec, -1
; %bb.2927:
	s_or_b64 exec, exec, s[8:9]
	s_and_b64 s[4:5], s[4:5], exec
	s_or_saveexec_b64 s[6:7], s[6:7]
	v_mov_b32_e32 v12, s10
	s_xor_b64 exec, exec, s[6:7]
	s_cbranch_execz .LBB33_878
.LBB33_2928:
	v_mov_b32_e32 v12, 0
	v_cmp_ne_u16_sdwa s[8:9], v11, v12 src0_sel:BYTE_0 src1_sel:DWORD
	s_andn2_b64 s[4:5], s[4:5], exec
	s_and_b64 s[8:9], s[8:9], exec
	s_or_b64 s[4:5], s[4:5], s[8:9]
	s_or_b64 exec, exec, s[6:7]
	s_and_saveexec_b64 s[6:7], s[4:5]
	s_cbranch_execnz .LBB33_879
	s_branch .LBB33_880
.LBB33_2929:
	s_movk_i32 s4, 0x80
	v_cmp_eq_u16_e32 vcc, s4, v11
	s_mov_b64 s[4:5], -1
                                        ; implicit-def: $sgpr10
	s_and_saveexec_b64 s[8:9], vcc
; %bb.2930:
	s_mov_b32 s10, 0x7f800001
	s_xor_b64 s[4:5], exec, -1
; %bb.2931:
	s_or_b64 exec, exec, s[8:9]
	s_and_b64 s[4:5], s[4:5], exec
                                        ; implicit-def: $vgpr11
	s_or_saveexec_b64 s[6:7], s[6:7]
	v_mov_b32_e32 v10, s10
	s_xor_b64 exec, exec, s[6:7]
	s_cbranch_execz .LBB33_882
.LBB33_2932:
	v_cmp_ne_u16_e32 vcc, 0, v11
	s_andn2_b64 s[4:5], s[4:5], exec
	s_and_b64 s[8:9], vcc, exec
	v_mov_b32_e32 v10, 0
	s_or_b64 s[4:5], s[4:5], s[8:9]
	s_or_b64 exec, exec, s[6:7]
	s_and_saveexec_b64 s[6:7], s[4:5]
	s_cbranch_execnz .LBB33_883
	s_branch .LBB33_884
.LBB33_2933:
	s_movk_i32 s4, 0x80
	v_cmp_eq_u16_e32 vcc, s4, v11
	s_mov_b64 s[4:5], -1
                                        ; implicit-def: $sgpr10
	s_and_saveexec_b64 s[8:9], vcc
; %bb.2934:
	s_mov_b32 s10, 0x7f800001
	s_xor_b64 s[4:5], exec, -1
; %bb.2935:
	s_or_b64 exec, exec, s[8:9]
	s_and_b64 s[4:5], s[4:5], exec
                                        ; implicit-def: $vgpr11
	s_or_saveexec_b64 s[6:7], s[6:7]
	v_mov_b32_e32 v12, s10
	s_xor_b64 exec, exec, s[6:7]
	s_cbranch_execz .LBB33_886
.LBB33_2936:
	v_cmp_ne_u16_e32 vcc, 0, v11
	s_andn2_b64 s[4:5], s[4:5], exec
	s_and_b64 s[8:9], vcc, exec
	v_mov_b32_e32 v12, 0
	s_or_b64 s[4:5], s[4:5], s[8:9]
	s_or_b64 exec, exec, s[6:7]
	s_and_saveexec_b64 s[6:7], s[4:5]
	s_cbranch_execnz .LBB33_887
	s_branch .LBB33_888
.LBB33_2937:
	s_movk_i32 s4, 0x80
	v_cmp_eq_u16_sdwa s[12:13], v17, s4 src0_sel:BYTE_3 src1_sel:DWORD
	s_mov_b64 s[4:5], -1
                                        ; implicit-def: $sgpr10
	s_and_saveexec_b64 s[8:9], s[12:13]
; %bb.2938:
	s_mov_b32 s10, 0x7f800001
	s_xor_b64 s[4:5], exec, -1
; %bb.2939:
	s_or_b64 exec, exec, s[8:9]
	s_and_b64 s[4:5], s[4:5], exec
	s_or_saveexec_b64 s[6:7], s[6:7]
	v_mov_b32_e32 v10, s10
	s_xor_b64 exec, exec, s[6:7]
	s_cbranch_execz .LBB33_890
.LBB33_2940:
	v_mov_b32_e32 v10, 0
	v_cmp_ne_u16_sdwa s[8:9], v17, v10 src0_sel:BYTE_3 src1_sel:DWORD
	s_andn2_b64 s[4:5], s[4:5], exec
	s_and_b64 s[8:9], s[8:9], exec
	s_or_b64 s[4:5], s[4:5], s[8:9]
	s_or_b64 exec, exec, s[6:7]
	s_and_saveexec_b64 s[6:7], s[4:5]
	s_cbranch_execnz .LBB33_891
	s_branch .LBB33_892
.LBB33_2941:
	s_movk_i32 s4, 0x80
	v_cmp_eq_u16_sdwa s[12:13], v13, s4 src0_sel:BYTE_3 src1_sel:DWORD
	s_mov_b64 s[4:5], -1
                                        ; implicit-def: $sgpr10
	s_and_saveexec_b64 s[8:9], s[12:13]
; %bb.2942:
	s_mov_b32 s10, 0x7f800001
	s_xor_b64 s[4:5], exec, -1
; %bb.2943:
	s_or_b64 exec, exec, s[8:9]
	s_and_b64 s[4:5], s[4:5], exec
	s_or_saveexec_b64 s[6:7], s[6:7]
	v_mov_b32_e32 v11, s10
	s_xor_b64 exec, exec, s[6:7]
	s_cbranch_execz .LBB33_894
.LBB33_2944:
	v_mov_b32_e32 v11, 0
	v_cmp_ne_u16_sdwa s[8:9], v13, v11 src0_sel:BYTE_3 src1_sel:DWORD
	s_andn2_b64 s[4:5], s[4:5], exec
	s_and_b64 s[8:9], s[8:9], exec
	s_or_b64 s[4:5], s[4:5], s[8:9]
	s_or_b64 exec, exec, s[6:7]
	s_and_saveexec_b64 s[6:7], s[4:5]
	s_cbranch_execnz .LBB33_895
	s_branch .LBB33_896
.LBB33_2945:
	s_movk_i32 s4, 0x80
	v_cmp_eq_u16_sdwa s[12:13], v6, s4 src0_sel:BYTE_0 src1_sel:DWORD
	s_mov_b64 s[4:5], -1
                                        ; implicit-def: $sgpr10
	s_and_saveexec_b64 s[8:9], s[12:13]
; %bb.2946:
	s_mov_b32 s10, 0x7f800001
	s_xor_b64 s[4:5], exec, -1
; %bb.2947:
	s_or_b64 exec, exec, s[8:9]
	s_and_b64 s[4:5], s[4:5], exec
	s_or_saveexec_b64 s[6:7], s[6:7]
	v_mov_b32_e32 v10, s10
	s_xor_b64 exec, exec, s[6:7]
	s_cbranch_execz .LBB33_898
.LBB33_2948:
	v_mov_b32_e32 v10, 0
	v_cmp_ne_u16_sdwa s[8:9], v6, v10 src0_sel:BYTE_0 src1_sel:DWORD
	s_andn2_b64 s[4:5], s[4:5], exec
	s_and_b64 s[8:9], s[8:9], exec
	s_or_b64 s[4:5], s[4:5], s[8:9]
	s_or_b64 exec, exec, s[6:7]
	s_and_saveexec_b64 s[6:7], s[4:5]
	s_cbranch_execnz .LBB33_899
	s_branch .LBB33_900
.LBB33_2949:
	s_movk_i32 s4, 0x80
	v_cmp_eq_u16_sdwa s[12:13], v2, s4 src0_sel:BYTE_0 src1_sel:DWORD
	s_mov_b64 s[4:5], -1
                                        ; implicit-def: $sgpr10
	s_and_saveexec_b64 s[8:9], s[12:13]
; %bb.2950:
	s_mov_b32 s10, 0x7f800001
	s_xor_b64 s[4:5], exec, -1
; %bb.2951:
	s_or_b64 exec, exec, s[8:9]
	s_and_b64 s[4:5], s[4:5], exec
	s_or_saveexec_b64 s[6:7], s[6:7]
	v_mov_b32_e32 v11, s10
	s_xor_b64 exec, exec, s[6:7]
	s_cbranch_execz .LBB33_902
.LBB33_2952:
	v_mov_b32_e32 v11, 0
	v_cmp_ne_u16_sdwa s[8:9], v2, v11 src0_sel:BYTE_0 src1_sel:DWORD
	s_andn2_b64 s[4:5], s[4:5], exec
	s_and_b64 s[8:9], s[8:9], exec
	s_or_b64 s[4:5], s[4:5], s[8:9]
	s_or_b64 exec, exec, s[6:7]
	s_and_saveexec_b64 s[6:7], s[4:5]
	s_cbranch_execnz .LBB33_903
	s_branch .LBB33_904
.LBB33_2953:
	s_movk_i32 s4, 0x80
	v_cmp_eq_u16_sdwa s[12:13], v11, s4 src0_sel:BYTE_0 src1_sel:DWORD
	s_mov_b64 s[4:5], -1
                                        ; implicit-def: $sgpr10
	s_and_saveexec_b64 s[8:9], s[12:13]
; %bb.2954:
	s_mov_b32 s10, 0x7f800001
	s_xor_b64 s[4:5], exec, -1
; %bb.2955:
	s_or_b64 exec, exec, s[8:9]
	s_and_b64 s[4:5], s[4:5], exec
	s_or_saveexec_b64 s[6:7], s[6:7]
	v_mov_b32_e32 v10, s10
	s_xor_b64 exec, exec, s[6:7]
	s_cbranch_execz .LBB33_906
.LBB33_2956:
	v_mov_b32_e32 v10, 0
	v_cmp_ne_u16_sdwa s[8:9], v11, v10 src0_sel:BYTE_0 src1_sel:DWORD
	s_andn2_b64 s[4:5], s[4:5], exec
	s_and_b64 s[8:9], s[8:9], exec
	s_or_b64 s[4:5], s[4:5], s[8:9]
	s_or_b64 exec, exec, s[6:7]
	s_and_saveexec_b64 s[6:7], s[4:5]
	s_cbranch_execnz .LBB33_907
	s_branch .LBB33_908
.LBB33_2957:
	s_movk_i32 s4, 0x80
	v_cmp_eq_u16_sdwa s[12:13], v11, s4 src0_sel:BYTE_0 src1_sel:DWORD
	s_mov_b64 s[4:5], -1
                                        ; implicit-def: $sgpr10
	s_and_saveexec_b64 s[8:9], s[12:13]
; %bb.2958:
	s_mov_b32 s10, 0x7f800001
	s_xor_b64 s[4:5], exec, -1
; %bb.2959:
	s_or_b64 exec, exec, s[8:9]
	s_and_b64 s[4:5], s[4:5], exec
	s_or_saveexec_b64 s[6:7], s[6:7]
	v_mov_b32_e32 v12, s10
	s_xor_b64 exec, exec, s[6:7]
	s_cbranch_execz .LBB33_910
.LBB33_2960:
	v_mov_b32_e32 v12, 0
	v_cmp_ne_u16_sdwa s[8:9], v11, v12 src0_sel:BYTE_0 src1_sel:DWORD
	s_andn2_b64 s[4:5], s[4:5], exec
	s_and_b64 s[8:9], s[8:9], exec
	s_or_b64 s[4:5], s[4:5], s[8:9]
	s_or_b64 exec, exec, s[6:7]
	s_and_saveexec_b64 s[6:7], s[4:5]
	s_cbranch_execnz .LBB33_911
	s_branch .LBB33_912
.LBB33_2961:
	s_movk_i32 s4, 0x80
	v_cmp_eq_u16_e32 vcc, s4, v11
	s_mov_b64 s[4:5], -1
                                        ; implicit-def: $sgpr10
	s_and_saveexec_b64 s[8:9], vcc
; %bb.2962:
	s_mov_b32 s10, 0x7f800001
	s_xor_b64 s[4:5], exec, -1
; %bb.2963:
	s_or_b64 exec, exec, s[8:9]
	s_and_b64 s[4:5], s[4:5], exec
                                        ; implicit-def: $vgpr11
	s_or_saveexec_b64 s[6:7], s[6:7]
	v_mov_b32_e32 v10, s10
	s_xor_b64 exec, exec, s[6:7]
	s_cbranch_execz .LBB33_914
.LBB33_2964:
	v_cmp_ne_u16_e32 vcc, 0, v11
	s_andn2_b64 s[4:5], s[4:5], exec
	s_and_b64 s[8:9], vcc, exec
	v_mov_b32_e32 v10, 0
	s_or_b64 s[4:5], s[4:5], s[8:9]
	s_or_b64 exec, exec, s[6:7]
	s_and_saveexec_b64 s[6:7], s[4:5]
	s_cbranch_execnz .LBB33_915
	s_branch .LBB33_916
.LBB33_2965:
	s_movk_i32 s4, 0x80
	v_cmp_eq_u16_e32 vcc, s4, v11
	s_mov_b64 s[4:5], -1
                                        ; implicit-def: $sgpr10
	s_and_saveexec_b64 s[8:9], vcc
; %bb.2966:
	s_mov_b32 s10, 0x7f800001
	s_xor_b64 s[4:5], exec, -1
; %bb.2967:
	s_or_b64 exec, exec, s[8:9]
	s_and_b64 s[4:5], s[4:5], exec
                                        ; implicit-def: $vgpr11
	s_or_saveexec_b64 s[6:7], s[6:7]
	v_mov_b32_e32 v12, s10
	s_xor_b64 exec, exec, s[6:7]
	s_cbranch_execz .LBB33_918
.LBB33_2968:
	v_cmp_ne_u16_e32 vcc, 0, v11
	s_andn2_b64 s[4:5], s[4:5], exec
	s_and_b64 s[8:9], vcc, exec
	v_mov_b32_e32 v12, 0
	s_or_b64 s[4:5], s[4:5], s[8:9]
	s_or_b64 exec, exec, s[6:7]
	s_and_saveexec_b64 s[6:7], s[4:5]
	s_cbranch_execnz .LBB33_919
	s_branch .LBB33_920
.LBB33_2969:
	s_movk_i32 s4, 0x80
	v_cmp_eq_u16_sdwa s[12:13], v6, s4 src0_sel:BYTE_3 src1_sel:DWORD
	s_mov_b64 s[4:5], -1
                                        ; implicit-def: $sgpr10
	s_and_saveexec_b64 s[8:9], s[12:13]
; %bb.2970:
	s_mov_b32 s10, 0x7f800001
	s_xor_b64 s[4:5], exec, -1
; %bb.2971:
	s_or_b64 exec, exec, s[8:9]
	s_and_b64 s[4:5], s[4:5], exec
	s_or_saveexec_b64 s[6:7], s[6:7]
	v_mov_b32_e32 v10, s10
	s_xor_b64 exec, exec, s[6:7]
	s_cbranch_execz .LBB33_922
.LBB33_2972:
	v_mov_b32_e32 v10, 0
	v_cmp_ne_u16_sdwa s[8:9], v6, v10 src0_sel:BYTE_3 src1_sel:DWORD
	s_andn2_b64 s[4:5], s[4:5], exec
	s_and_b64 s[8:9], s[8:9], exec
	s_or_b64 s[4:5], s[4:5], s[8:9]
	s_or_b64 exec, exec, s[6:7]
	s_and_saveexec_b64 s[6:7], s[4:5]
	s_cbranch_execnz .LBB33_923
	s_branch .LBB33_924
.LBB33_2973:
	s_movk_i32 s4, 0x80
	v_cmp_eq_u16_sdwa s[12:13], v2, s4 src0_sel:BYTE_3 src1_sel:DWORD
	s_mov_b64 s[4:5], -1
                                        ; implicit-def: $sgpr10
	s_and_saveexec_b64 s[8:9], s[12:13]
; %bb.2974:
	s_mov_b32 s10, 0x7f800001
	s_xor_b64 s[4:5], exec, -1
; %bb.2975:
	s_or_b64 exec, exec, s[8:9]
	s_and_b64 s[4:5], s[4:5], exec
	s_or_saveexec_b64 s[6:7], s[6:7]
	v_mov_b32_e32 v6, s10
	s_xor_b64 exec, exec, s[6:7]
	s_cbranch_execz .LBB33_926
.LBB33_2976:
	v_mov_b32_e32 v6, 0
	v_cmp_ne_u16_sdwa s[8:9], v2, v6 src0_sel:BYTE_3 src1_sel:DWORD
	s_andn2_b64 s[4:5], s[4:5], exec
	s_and_b64 s[8:9], s[8:9], exec
	s_or_b64 s[4:5], s[4:5], s[8:9]
	s_or_b64 exec, exec, s[6:7]
	s_and_saveexec_b64 s[6:7], s[4:5]
	s_cbranch_execnz .LBB33_927
	s_branch .LBB33_928
.LBB33_2977:
	s_movk_i32 s4, 0x80
	v_cmp_eq_u16_sdwa s[12:13], v7, s4 src0_sel:BYTE_0 src1_sel:DWORD
	s_mov_b64 s[4:5], -1
                                        ; implicit-def: $sgpr10
	s_and_saveexec_b64 s[8:9], s[12:13]
; %bb.2978:
	s_mov_b32 s10, 0x7f800001
	s_xor_b64 s[4:5], exec, -1
; %bb.2979:
	s_or_b64 exec, exec, s[8:9]
	s_and_b64 s[4:5], s[4:5], exec
	s_or_saveexec_b64 s[6:7], s[6:7]
	v_mov_b32_e32 v2, s10
	s_xor_b64 exec, exec, s[6:7]
	s_cbranch_execz .LBB33_930
.LBB33_2980:
	v_mov_b32_e32 v2, 0
	v_cmp_ne_u16_sdwa s[8:9], v7, v2 src0_sel:BYTE_0 src1_sel:DWORD
	s_andn2_b64 s[4:5], s[4:5], exec
	s_and_b64 s[8:9], s[8:9], exec
	s_or_b64 s[4:5], s[4:5], s[8:9]
	s_or_b64 exec, exec, s[6:7]
	s_and_saveexec_b64 s[6:7], s[4:5]
	s_cbranch_execnz .LBB33_931
	s_branch .LBB33_932
.LBB33_2981:
	s_movk_i32 s4, 0x80
	v_cmp_eq_u16_sdwa s[12:13], v3, s4 src0_sel:BYTE_0 src1_sel:DWORD
	s_mov_b64 s[4:5], -1
                                        ; implicit-def: $sgpr10
	s_and_saveexec_b64 s[8:9], s[12:13]
; %bb.2982:
	s_mov_b32 s10, 0x7f800001
	s_xor_b64 s[4:5], exec, -1
; %bb.2983:
	s_or_b64 exec, exec, s[8:9]
	s_and_b64 s[4:5], s[4:5], exec
	s_or_saveexec_b64 s[6:7], s[6:7]
	v_mov_b32_e32 v6, s10
	s_xor_b64 exec, exec, s[6:7]
	s_cbranch_execz .LBB33_934
.LBB33_2984:
	v_mov_b32_e32 v6, 0
	v_cmp_ne_u16_sdwa s[8:9], v3, v6 src0_sel:BYTE_0 src1_sel:DWORD
	s_andn2_b64 s[4:5], s[4:5], exec
	s_and_b64 s[8:9], s[8:9], exec
	s_or_b64 s[4:5], s[4:5], s[8:9]
	s_or_b64 exec, exec, s[6:7]
	s_and_saveexec_b64 s[6:7], s[4:5]
	s_cbranch_execnz .LBB33_935
	s_branch .LBB33_936
.LBB33_2985:
	s_movk_i32 s4, 0x80
	v_cmp_eq_u16_sdwa s[12:13], v6, s4 src0_sel:BYTE_0 src1_sel:DWORD
	s_mov_b64 s[4:5], -1
                                        ; implicit-def: $sgpr10
	s_and_saveexec_b64 s[8:9], s[12:13]
; %bb.2986:
	s_mov_b32 s10, 0x7f800001
	s_xor_b64 s[4:5], exec, -1
; %bb.2987:
	s_or_b64 exec, exec, s[8:9]
	s_and_b64 s[4:5], s[4:5], exec
	s_or_saveexec_b64 s[6:7], s[6:7]
	v_mov_b32_e32 v2, s10
	s_xor_b64 exec, exec, s[6:7]
	s_cbranch_execz .LBB33_938
.LBB33_2988:
	v_mov_b32_e32 v2, 0
	v_cmp_ne_u16_sdwa s[8:9], v6, v2 src0_sel:BYTE_0 src1_sel:DWORD
	s_andn2_b64 s[4:5], s[4:5], exec
	s_and_b64 s[8:9], s[8:9], exec
	s_or_b64 s[4:5], s[4:5], s[8:9]
	s_or_b64 exec, exec, s[6:7]
	s_and_saveexec_b64 s[6:7], s[4:5]
	s_cbranch_execnz .LBB33_939
	s_branch .LBB33_940
.LBB33_2989:
	s_movk_i32 s4, 0x80
	v_cmp_eq_u16_sdwa s[12:13], v6, s4 src0_sel:BYTE_0 src1_sel:DWORD
	s_mov_b64 s[4:5], -1
                                        ; implicit-def: $sgpr10
	s_and_saveexec_b64 s[8:9], s[12:13]
; %bb.2990:
	s_mov_b32 s10, 0x7f800001
	s_xor_b64 s[4:5], exec, -1
; %bb.2991:
	s_or_b64 exec, exec, s[8:9]
	s_and_b64 s[4:5], s[4:5], exec
	s_or_saveexec_b64 s[6:7], s[6:7]
	v_mov_b32_e32 v10, s10
	s_xor_b64 exec, exec, s[6:7]
	s_cbranch_execz .LBB33_942
.LBB33_2992:
	v_mov_b32_e32 v10, 0
	v_cmp_ne_u16_sdwa s[8:9], v6, v10 src0_sel:BYTE_0 src1_sel:DWORD
	s_andn2_b64 s[4:5], s[4:5], exec
	s_and_b64 s[8:9], s[8:9], exec
	s_or_b64 s[4:5], s[4:5], s[8:9]
	s_or_b64 exec, exec, s[6:7]
	s_and_saveexec_b64 s[6:7], s[4:5]
	s_cbranch_execnz .LBB33_943
	s_branch .LBB33_944
.LBB33_2993:
	s_movk_i32 s4, 0x80
	v_cmp_eq_u16_e32 vcc, s4, v6
	s_mov_b64 s[4:5], -1
                                        ; implicit-def: $sgpr10
	s_and_saveexec_b64 s[8:9], vcc
; %bb.2994:
	s_mov_b32 s10, 0x7f800001
	s_xor_b64 s[4:5], exec, -1
; %bb.2995:
	s_or_b64 exec, exec, s[8:9]
	s_and_b64 s[4:5], s[4:5], exec
                                        ; implicit-def: $vgpr6
	s_or_saveexec_b64 s[6:7], s[6:7]
	v_mov_b32_e32 v2, s10
	s_xor_b64 exec, exec, s[6:7]
	s_cbranch_execz .LBB33_946
.LBB33_2996:
	v_cmp_ne_u16_e32 vcc, 0, v6
	s_andn2_b64 s[4:5], s[4:5], exec
	s_and_b64 s[8:9], vcc, exec
	v_mov_b32_e32 v2, 0
	s_or_b64 s[4:5], s[4:5], s[8:9]
	s_or_b64 exec, exec, s[6:7]
	s_and_saveexec_b64 s[6:7], s[4:5]
	s_cbranch_execnz .LBB33_947
	s_branch .LBB33_948
.LBB33_2997:
	s_movk_i32 s4, 0x80
	v_cmp_eq_u16_e32 vcc, s4, v6
	s_mov_b64 s[4:5], -1
                                        ; implicit-def: $sgpr10
	s_and_saveexec_b64 s[8:9], vcc
; %bb.2998:
	s_mov_b32 s10, 0x7f800001
	s_xor_b64 s[4:5], exec, -1
; %bb.2999:
	s_or_b64 exec, exec, s[8:9]
	s_and_b64 s[4:5], s[4:5], exec
                                        ; implicit-def: $vgpr6
	s_or_saveexec_b64 s[6:7], s[6:7]
	v_mov_b32_e32 v10, s10
	s_xor_b64 exec, exec, s[6:7]
	s_cbranch_execz .LBB33_950
.LBB33_3000:
	v_cmp_ne_u16_e32 vcc, 0, v6
	s_andn2_b64 s[4:5], s[4:5], exec
	s_and_b64 s[8:9], vcc, exec
	v_mov_b32_e32 v10, 0
	s_or_b64 s[4:5], s[4:5], s[8:9]
	s_or_b64 exec, exec, s[6:7]
	s_and_saveexec_b64 s[6:7], s[4:5]
	s_cbranch_execnz .LBB33_951
	s_branch .LBB33_952
.LBB33_3001:
	s_movk_i32 s4, 0x80
	v_cmp_eq_u16_sdwa s[12:13], v7, s4 src0_sel:BYTE_3 src1_sel:DWORD
	s_mov_b64 s[4:5], -1
                                        ; implicit-def: $sgpr10
	s_and_saveexec_b64 s[8:9], s[12:13]
; %bb.3002:
	s_mov_b32 s10, 0x7f800001
	s_xor_b64 s[4:5], exec, -1
; %bb.3003:
	s_or_b64 exec, exec, s[8:9]
	s_and_b64 s[4:5], s[4:5], exec
	s_or_saveexec_b64 s[6:7], s[6:7]
	v_mov_b32_e32 v2, s10
	s_xor_b64 exec, exec, s[6:7]
	s_cbranch_execz .LBB33_954
.LBB33_3004:
	v_mov_b32_e32 v2, 0
	v_cmp_ne_u16_sdwa s[8:9], v7, v2 src0_sel:BYTE_3 src1_sel:DWORD
	s_andn2_b64 s[4:5], s[4:5], exec
	s_and_b64 s[8:9], s[8:9], exec
	s_or_b64 s[4:5], s[4:5], s[8:9]
	s_or_b64 exec, exec, s[6:7]
	s_and_saveexec_b64 s[6:7], s[4:5]
	s_cbranch_execnz .LBB33_955
	s_branch .LBB33_956
.LBB33_3005:
	s_movk_i32 s4, 0x80
	v_cmp_eq_u16_sdwa s[12:13], v3, s4 src0_sel:BYTE_3 src1_sel:DWORD
	s_mov_b64 s[4:5], -1
                                        ; implicit-def: $sgpr10
	s_and_saveexec_b64 s[8:9], s[12:13]
; %bb.3006:
	s_mov_b32 s10, 0x7f800001
	s_xor_b64 s[4:5], exec, -1
; %bb.3007:
	s_or_b64 exec, exec, s[8:9]
	s_and_b64 s[4:5], s[4:5], exec
	s_or_saveexec_b64 s[6:7], s[6:7]
	v_mov_b32_e32 v6, s10
	s_xor_b64 exec, exec, s[6:7]
	s_cbranch_execz .LBB33_958
.LBB33_3008:
	v_mov_b32_e32 v6, 0
	v_cmp_ne_u16_sdwa s[8:9], v3, v6 src0_sel:BYTE_3 src1_sel:DWORD
	s_andn2_b64 s[4:5], s[4:5], exec
	s_and_b64 s[8:9], s[8:9], exec
	s_or_b64 s[4:5], s[4:5], s[8:9]
	s_or_b64 exec, exec, s[6:7]
	s_and_saveexec_b64 s[6:7], s[4:5]
	s_cbranch_execnz .LBB33_959
	s_branch .LBB33_960
.LBB33_3009:
	s_movk_i32 s4, 0x80
	v_cmp_eq_u16_sdwa s[12:13], v8, s4 src0_sel:BYTE_0 src1_sel:DWORD
	s_mov_b64 s[4:5], -1
                                        ; implicit-def: $sgpr10
	s_and_saveexec_b64 s[8:9], s[12:13]
; %bb.3010:
	s_mov_b32 s10, 0x7f800001
	s_xor_b64 s[4:5], exec, -1
; %bb.3011:
	s_or_b64 exec, exec, s[8:9]
	s_and_b64 s[4:5], s[4:5], exec
	s_or_saveexec_b64 s[6:7], s[6:7]
	v_mov_b32_e32 v2, s10
	s_xor_b64 exec, exec, s[6:7]
	s_cbranch_execz .LBB33_962
.LBB33_3012:
	v_mov_b32_e32 v2, 0
	v_cmp_ne_u16_sdwa s[8:9], v8, v2 src0_sel:BYTE_0 src1_sel:DWORD
	s_andn2_b64 s[4:5], s[4:5], exec
	s_and_b64 s[8:9], s[8:9], exec
	s_or_b64 s[4:5], s[4:5], s[8:9]
	s_or_b64 exec, exec, s[6:7]
	s_and_saveexec_b64 s[6:7], s[4:5]
	s_cbranch_execnz .LBB33_963
	s_branch .LBB33_964
.LBB33_3013:
	s_movk_i32 s4, 0x80
	v_cmp_eq_u16_sdwa s[12:13], v4, s4 src0_sel:BYTE_0 src1_sel:DWORD
	s_mov_b64 s[4:5], -1
                                        ; implicit-def: $sgpr10
	s_and_saveexec_b64 s[8:9], s[12:13]
; %bb.3014:
	s_mov_b32 s10, 0x7f800001
	s_xor_b64 s[4:5], exec, -1
; %bb.3015:
	s_or_b64 exec, exec, s[8:9]
	s_and_b64 s[4:5], s[4:5], exec
	s_or_saveexec_b64 s[6:7], s[6:7]
	v_mov_b32_e32 v3, s10
	s_xor_b64 exec, exec, s[6:7]
	s_cbranch_execz .LBB33_966
.LBB33_3016:
	v_mov_b32_e32 v3, 0
	v_cmp_ne_u16_sdwa s[8:9], v4, v3 src0_sel:BYTE_0 src1_sel:DWORD
	s_andn2_b64 s[4:5], s[4:5], exec
	s_and_b64 s[8:9], s[8:9], exec
	s_or_b64 s[4:5], s[4:5], s[8:9]
	s_or_b64 exec, exec, s[6:7]
	s_and_saveexec_b64 s[6:7], s[4:5]
	s_cbranch_execnz .LBB33_967
	s_branch .LBB33_968
.LBB33_3017:
	s_movk_i32 s4, 0x80
	v_cmp_eq_u16_sdwa s[12:13], v3, s4 src0_sel:BYTE_0 src1_sel:DWORD
	s_mov_b64 s[4:5], -1
                                        ; implicit-def: $sgpr10
	s_and_saveexec_b64 s[8:9], s[12:13]
; %bb.3018:
	s_mov_b32 s10, 0x7f800001
	s_xor_b64 s[4:5], exec, -1
; %bb.3019:
	s_or_b64 exec, exec, s[8:9]
	s_and_b64 s[4:5], s[4:5], exec
	s_or_saveexec_b64 s[6:7], s[6:7]
	v_mov_b32_e32 v2, s10
	s_xor_b64 exec, exec, s[6:7]
	s_cbranch_execz .LBB33_970
.LBB33_3020:
	v_mov_b32_e32 v2, 0
	v_cmp_ne_u16_sdwa s[8:9], v3, v2 src0_sel:BYTE_0 src1_sel:DWORD
	s_andn2_b64 s[4:5], s[4:5], exec
	s_and_b64 s[8:9], s[8:9], exec
	s_or_b64 s[4:5], s[4:5], s[8:9]
	s_or_b64 exec, exec, s[6:7]
	s_and_saveexec_b64 s[6:7], s[4:5]
	s_cbranch_execnz .LBB33_971
	s_branch .LBB33_972
.LBB33_3021:
	s_movk_i32 s4, 0x80
	v_cmp_eq_u16_sdwa s[12:13], v3, s4 src0_sel:BYTE_0 src1_sel:DWORD
	s_mov_b64 s[4:5], -1
                                        ; implicit-def: $sgpr10
	s_and_saveexec_b64 s[8:9], s[12:13]
; %bb.3022:
	s_mov_b32 s10, 0x7f800001
	s_xor_b64 s[4:5], exec, -1
; %bb.3023:
	s_or_b64 exec, exec, s[8:9]
	s_and_b64 s[4:5], s[4:5], exec
	s_or_saveexec_b64 s[6:7], s[6:7]
	v_mov_b32_e32 v6, s10
	s_xor_b64 exec, exec, s[6:7]
	s_cbranch_execz .LBB33_974
.LBB33_3024:
	v_mov_b32_e32 v6, 0
	v_cmp_ne_u16_sdwa s[8:9], v3, v6 src0_sel:BYTE_0 src1_sel:DWORD
	s_andn2_b64 s[4:5], s[4:5], exec
	s_and_b64 s[8:9], s[8:9], exec
	s_or_b64 s[4:5], s[4:5], s[8:9]
	s_or_b64 exec, exec, s[6:7]
	s_and_saveexec_b64 s[6:7], s[4:5]
	s_cbranch_execnz .LBB33_975
	s_branch .LBB33_976
.LBB33_3025:
	s_movk_i32 s4, 0x80
	v_cmp_eq_u16_e32 vcc, s4, v3
	s_mov_b64 s[4:5], -1
                                        ; implicit-def: $sgpr10
	s_and_saveexec_b64 s[8:9], vcc
; %bb.3026:
	s_mov_b32 s10, 0x7f800001
	s_xor_b64 s[4:5], exec, -1
; %bb.3027:
	s_or_b64 exec, exec, s[8:9]
	s_and_b64 s[4:5], s[4:5], exec
                                        ; implicit-def: $vgpr3
	s_or_saveexec_b64 s[6:7], s[6:7]
	v_mov_b32_e32 v2, s10
	s_xor_b64 exec, exec, s[6:7]
	s_cbranch_execz .LBB33_978
.LBB33_3028:
	v_cmp_ne_u16_e32 vcc, 0, v3
	s_andn2_b64 s[4:5], s[4:5], exec
	s_and_b64 s[8:9], vcc, exec
	v_mov_b32_e32 v2, 0
	s_or_b64 s[4:5], s[4:5], s[8:9]
	s_or_b64 exec, exec, s[6:7]
	s_and_saveexec_b64 s[6:7], s[4:5]
	s_cbranch_execnz .LBB33_979
	s_branch .LBB33_980
.LBB33_3029:
	s_movk_i32 s4, 0x80
	v_cmp_eq_u16_e32 vcc, s4, v3
	s_mov_b64 s[4:5], -1
                                        ; implicit-def: $sgpr10
	s_and_saveexec_b64 s[8:9], vcc
; %bb.3030:
	s_mov_b32 s10, 0x7f800001
	s_xor_b64 s[4:5], exec, -1
; %bb.3031:
	s_or_b64 exec, exec, s[8:9]
	s_and_b64 s[4:5], s[4:5], exec
                                        ; implicit-def: $vgpr3
	s_or_saveexec_b64 s[6:7], s[6:7]
	v_mov_b32_e32 v6, s10
	s_xor_b64 exec, exec, s[6:7]
	s_cbranch_execz .LBB33_982
.LBB33_3032:
	v_cmp_ne_u16_e32 vcc, 0, v3
	s_andn2_b64 s[4:5], s[4:5], exec
	s_and_b64 s[8:9], vcc, exec
	v_mov_b32_e32 v6, 0
	s_or_b64 s[4:5], s[4:5], s[8:9]
	s_or_b64 exec, exec, s[6:7]
	s_and_saveexec_b64 s[6:7], s[4:5]
	s_cbranch_execnz .LBB33_983
	s_branch .LBB33_984
.LBB33_3033:
	s_movk_i32 s4, 0x80
	v_cmp_eq_u16_sdwa s[12:13], v8, s4 src0_sel:BYTE_3 src1_sel:DWORD
	s_mov_b64 s[4:5], -1
                                        ; implicit-def: $sgpr10
	s_and_saveexec_b64 s[8:9], s[12:13]
; %bb.3034:
	s_mov_b32 s10, 0x7f800001
	s_xor_b64 s[4:5], exec, -1
; %bb.3035:
	s_or_b64 exec, exec, s[8:9]
	s_and_b64 s[4:5], s[4:5], exec
	s_or_saveexec_b64 s[6:7], s[6:7]
	v_mov_b32_e32 v2, s10
	s_xor_b64 exec, exec, s[6:7]
	s_cbranch_execz .LBB33_986
.LBB33_3036:
	v_mov_b32_e32 v2, 0
	v_cmp_ne_u16_sdwa s[8:9], v8, v2 src0_sel:BYTE_3 src1_sel:DWORD
	s_andn2_b64 s[4:5], s[4:5], exec
	s_and_b64 s[8:9], s[8:9], exec
	s_or_b64 s[4:5], s[4:5], s[8:9]
	s_or_b64 exec, exec, s[6:7]
	s_and_saveexec_b64 s[6:7], s[4:5]
	s_cbranch_execnz .LBB33_987
	s_branch .LBB33_988
.LBB33_3037:
	s_movk_i32 s4, 0x80
	v_cmp_eq_u16_sdwa s[12:13], v4, s4 src0_sel:BYTE_3 src1_sel:DWORD
	s_mov_b64 s[4:5], -1
                                        ; implicit-def: $sgpr10
	s_and_saveexec_b64 s[8:9], s[12:13]
; %bb.3038:
	s_mov_b32 s10, 0x7f800001
	s_xor_b64 s[4:5], exec, -1
; %bb.3039:
	s_or_b64 exec, exec, s[8:9]
	s_and_b64 s[4:5], s[4:5], exec
	s_or_saveexec_b64 s[6:7], s[6:7]
	v_mov_b32_e32 v3, s10
	s_xor_b64 exec, exec, s[6:7]
	s_cbranch_execz .LBB33_990
.LBB33_3040:
	v_mov_b32_e32 v3, 0
	v_cmp_ne_u16_sdwa s[8:9], v4, v3 src0_sel:BYTE_3 src1_sel:DWORD
	s_andn2_b64 s[4:5], s[4:5], exec
	s_and_b64 s[8:9], s[8:9], exec
	s_or_b64 s[4:5], s[4:5], s[8:9]
	s_or_b64 exec, exec, s[6:7]
	s_and_saveexec_b64 s[6:7], s[4:5]
	s_cbranch_execnz .LBB33_991
	s_branch .LBB33_992
.LBB33_3041:
	s_movk_i32 s4, 0x80
	v_cmp_eq_u16_sdwa s[12:13], v9, s4 src0_sel:BYTE_0 src1_sel:DWORD
	s_mov_b64 s[4:5], -1
                                        ; implicit-def: $sgpr10
	s_and_saveexec_b64 s[8:9], s[12:13]
; %bb.3042:
	s_mov_b32 s10, 0x7f800001
	s_xor_b64 s[4:5], exec, -1
; %bb.3043:
	s_or_b64 exec, exec, s[8:9]
	s_and_b64 s[4:5], s[4:5], exec
	s_or_saveexec_b64 s[6:7], s[6:7]
	v_mov_b32_e32 v2, s10
	s_xor_b64 exec, exec, s[6:7]
	s_cbranch_execz .LBB33_994
.LBB33_3044:
	v_mov_b32_e32 v2, 0
	v_cmp_ne_u16_sdwa s[8:9], v9, v2 src0_sel:BYTE_0 src1_sel:DWORD
	s_andn2_b64 s[4:5], s[4:5], exec
	s_and_b64 s[8:9], s[8:9], exec
	s_or_b64 s[4:5], s[4:5], s[8:9]
	s_or_b64 exec, exec, s[6:7]
	s_and_saveexec_b64 s[6:7], s[4:5]
	s_cbranch_execnz .LBB33_995
	s_branch .LBB33_996
.LBB33_3045:
	s_movk_i32 s4, 0x80
	v_cmp_eq_u16_sdwa s[12:13], v5, s4 src0_sel:BYTE_0 src1_sel:DWORD
	s_mov_b64 s[4:5], -1
                                        ; implicit-def: $sgpr10
	s_and_saveexec_b64 s[8:9], s[12:13]
; %bb.3046:
	s_mov_b32 s10, 0x7f800001
	s_xor_b64 s[4:5], exec, -1
; %bb.3047:
	s_or_b64 exec, exec, s[8:9]
	s_and_b64 s[4:5], s[4:5], exec
	s_or_saveexec_b64 s[6:7], s[6:7]
	v_mov_b32_e32 v3, s10
	s_xor_b64 exec, exec, s[6:7]
	s_cbranch_execz .LBB33_998
.LBB33_3048:
	v_mov_b32_e32 v3, 0
	v_cmp_ne_u16_sdwa s[8:9], v5, v3 src0_sel:BYTE_0 src1_sel:DWORD
	s_andn2_b64 s[4:5], s[4:5], exec
	s_and_b64 s[8:9], s[8:9], exec
	s_or_b64 s[4:5], s[4:5], s[8:9]
	s_or_b64 exec, exec, s[6:7]
	s_and_saveexec_b64 s[6:7], s[4:5]
	s_cbranch_execnz .LBB33_999
	s_branch .LBB33_1000
.LBB33_3049:
	s_movk_i32 s4, 0x80
	v_cmp_eq_u16_sdwa s[12:13], v3, s4 src0_sel:BYTE_0 src1_sel:DWORD
	s_mov_b64 s[4:5], -1
                                        ; implicit-def: $sgpr10
	s_and_saveexec_b64 s[8:9], s[12:13]
; %bb.3050:
	s_mov_b32 s10, 0x7f800001
	s_xor_b64 s[4:5], exec, -1
; %bb.3051:
	s_or_b64 exec, exec, s[8:9]
	s_and_b64 s[4:5], s[4:5], exec
	s_or_saveexec_b64 s[6:7], s[6:7]
	v_mov_b32_e32 v2, s10
	s_xor_b64 exec, exec, s[6:7]
	s_cbranch_execz .LBB33_1002
.LBB33_3052:
	v_mov_b32_e32 v2, 0
	v_cmp_ne_u16_sdwa s[8:9], v3, v2 src0_sel:BYTE_0 src1_sel:DWORD
	s_andn2_b64 s[4:5], s[4:5], exec
	s_and_b64 s[8:9], s[8:9], exec
	s_or_b64 s[4:5], s[4:5], s[8:9]
	s_or_b64 exec, exec, s[6:7]
	s_and_saveexec_b64 s[6:7], s[4:5]
	s_cbranch_execnz .LBB33_1003
	s_branch .LBB33_1004
.LBB33_3053:
	s_movk_i32 s4, 0x80
	v_cmp_eq_u16_sdwa s[12:13], v3, s4 src0_sel:BYTE_0 src1_sel:DWORD
	s_mov_b64 s[4:5], -1
                                        ; implicit-def: $sgpr10
	s_and_saveexec_b64 s[8:9], s[12:13]
; %bb.3054:
	s_mov_b32 s10, 0x7f800001
	s_xor_b64 s[4:5], exec, -1
; %bb.3055:
	s_or_b64 exec, exec, s[8:9]
	s_and_b64 s[4:5], s[4:5], exec
	s_or_saveexec_b64 s[6:7], s[6:7]
	v_mov_b32_e32 v4, s10
	s_xor_b64 exec, exec, s[6:7]
	s_cbranch_execz .LBB33_1006
.LBB33_3056:
	v_mov_b32_e32 v4, 0
	v_cmp_ne_u16_sdwa s[8:9], v3, v4 src0_sel:BYTE_0 src1_sel:DWORD
	s_andn2_b64 s[4:5], s[4:5], exec
	s_and_b64 s[8:9], s[8:9], exec
	s_or_b64 s[4:5], s[4:5], s[8:9]
	s_or_b64 exec, exec, s[6:7]
	s_and_saveexec_b64 s[6:7], s[4:5]
	s_cbranch_execnz .LBB33_1007
	s_branch .LBB33_1008
.LBB33_3057:
	s_movk_i32 s4, 0x80
	v_cmp_eq_u16_e32 vcc, s4, v3
	s_mov_b64 s[4:5], -1
                                        ; implicit-def: $sgpr10
	s_and_saveexec_b64 s[8:9], vcc
; %bb.3058:
	s_mov_b32 s10, 0x7f800001
	s_xor_b64 s[4:5], exec, -1
; %bb.3059:
	s_or_b64 exec, exec, s[8:9]
	s_and_b64 s[4:5], s[4:5], exec
                                        ; implicit-def: $vgpr3
	s_or_saveexec_b64 s[6:7], s[6:7]
	v_mov_b32_e32 v2, s10
	s_xor_b64 exec, exec, s[6:7]
	s_cbranch_execz .LBB33_1010
.LBB33_3060:
	v_cmp_ne_u16_e32 vcc, 0, v3
	s_andn2_b64 s[4:5], s[4:5], exec
	s_and_b64 s[8:9], vcc, exec
	v_mov_b32_e32 v2, 0
	s_or_b64 s[4:5], s[4:5], s[8:9]
	s_or_b64 exec, exec, s[6:7]
	s_and_saveexec_b64 s[6:7], s[4:5]
	s_cbranch_execnz .LBB33_1011
	s_branch .LBB33_1012
.LBB33_3061:
	s_movk_i32 s4, 0x80
	v_cmp_eq_u16_e32 vcc, s4, v3
	s_mov_b64 s[4:5], -1
                                        ; implicit-def: $sgpr10
	s_and_saveexec_b64 s[8:9], vcc
; %bb.3062:
	s_mov_b32 s10, 0x7f800001
	s_xor_b64 s[4:5], exec, -1
; %bb.3063:
	s_or_b64 exec, exec, s[8:9]
	s_and_b64 s[4:5], s[4:5], exec
                                        ; implicit-def: $vgpr3
	s_or_saveexec_b64 s[6:7], s[6:7]
	v_mov_b32_e32 v4, s10
	s_xor_b64 exec, exec, s[6:7]
	s_cbranch_execz .LBB33_1014
.LBB33_3064:
	v_cmp_ne_u16_e32 vcc, 0, v3
	s_andn2_b64 s[4:5], s[4:5], exec
	s_and_b64 s[8:9], vcc, exec
	v_mov_b32_e32 v4, 0
	s_or_b64 s[4:5], s[4:5], s[8:9]
	s_or_b64 exec, exec, s[6:7]
	s_and_saveexec_b64 s[6:7], s[4:5]
	s_cbranch_execnz .LBB33_1015
	s_branch .LBB33_1016
.LBB33_3065:
	s_movk_i32 s4, 0x80
	v_cmp_eq_u16_sdwa s[12:13], v9, s4 src0_sel:BYTE_3 src1_sel:DWORD
	s_mov_b64 s[4:5], -1
                                        ; implicit-def: $sgpr10
	s_and_saveexec_b64 s[8:9], s[12:13]
; %bb.3066:
	s_mov_b32 s10, 0x7f800001
	s_xor_b64 s[4:5], exec, -1
; %bb.3067:
	s_or_b64 exec, exec, s[8:9]
	s_and_b64 s[4:5], s[4:5], exec
	s_or_saveexec_b64 s[6:7], s[6:7]
	v_mov_b32_e32 v2, s10
	s_xor_b64 exec, exec, s[6:7]
	s_cbranch_execz .LBB33_1018
.LBB33_3068:
	v_mov_b32_e32 v2, 0
	v_cmp_ne_u16_sdwa s[8:9], v9, v2 src0_sel:BYTE_3 src1_sel:DWORD
	s_andn2_b64 s[4:5], s[4:5], exec
	s_and_b64 s[8:9], s[8:9], exec
	s_or_b64 s[4:5], s[4:5], s[8:9]
	s_or_b64 exec, exec, s[6:7]
	s_and_saveexec_b64 s[6:7], s[4:5]
	s_cbranch_execnz .LBB33_1019
	s_branch .LBB33_1020
.LBB33_3069:
	s_movk_i32 s4, 0x80
	v_cmp_eq_u16_sdwa s[12:13], v5, s4 src0_sel:BYTE_3 src1_sel:DWORD
	s_mov_b64 s[4:5], -1
                                        ; implicit-def: $sgpr10
	s_and_saveexec_b64 s[8:9], s[12:13]
; %bb.3070:
	s_mov_b32 s10, 0x7f800001
	s_xor_b64 s[4:5], exec, -1
; %bb.3071:
	s_or_b64 exec, exec, s[8:9]
	s_and_b64 s[4:5], s[4:5], exec
	s_or_saveexec_b64 s[6:7], s[6:7]
	v_mov_b32_e32 v3, s10
	s_xor_b64 exec, exec, s[6:7]
	s_cbranch_execz .LBB33_1022
.LBB33_3072:
	v_mov_b32_e32 v3, 0
	v_cmp_ne_u16_sdwa s[8:9], v5, v3 src0_sel:BYTE_3 src1_sel:DWORD
	s_andn2_b64 s[4:5], s[4:5], exec
	s_and_b64 s[8:9], s[8:9], exec
	s_or_b64 s[4:5], s[4:5], s[8:9]
	s_or_b64 exec, exec, s[6:7]
	s_and_saveexec_b64 s[6:7], s[4:5]
	s_cbranch_execnz .LBB33_1023
	s_branch .LBB33_1024
.LBB33_3073:
	s_movk_i32 s4, 0x80
	v_cmp_eq_u16_sdwa s[12:13], v14, s4 src0_sel:BYTE_0 src1_sel:DWORD
	s_mov_b64 s[4:5], -1
                                        ; implicit-def: $sgpr10
	s_and_saveexec_b64 s[8:9], s[12:13]
; %bb.3074:
	s_mov_b32 s10, 0x7f800001
	s_xor_b64 s[4:5], exec, -1
; %bb.3075:
	s_or_b64 exec, exec, s[8:9]
	s_and_b64 s[4:5], s[4:5], exec
	s_or_saveexec_b64 s[6:7], s[6:7]
	v_mov_b32_e32 v20, s10
	s_xor_b64 exec, exec, s[6:7]
	s_cbranch_execz .LBB33_1026
.LBB33_3076:
	v_mov_b32_e32 v20, 0
	v_cmp_ne_u16_sdwa s[8:9], v14, v20 src0_sel:BYTE_0 src1_sel:DWORD
	s_andn2_b64 s[4:5], s[4:5], exec
	s_and_b64 s[8:9], s[8:9], exec
	s_or_b64 s[4:5], s[4:5], s[8:9]
	s_or_b64 exec, exec, s[6:7]
	s_and_saveexec_b64 s[6:7], s[4:5]
	s_cbranch_execnz .LBB33_1027
	s_branch .LBB33_1028
.LBB33_3077:
	s_movk_i32 s4, 0x80
	v_cmp_eq_u16_sdwa s[12:13], v10, s4 src0_sel:BYTE_0 src1_sel:DWORD
	s_mov_b64 s[4:5], -1
                                        ; implicit-def: $sgpr10
	s_and_saveexec_b64 s[8:9], s[12:13]
; %bb.3078:
	s_mov_b32 s10, 0x7f800001
	s_xor_b64 s[4:5], exec, -1
; %bb.3079:
	s_or_b64 exec, exec, s[8:9]
	s_and_b64 s[4:5], s[4:5], exec
	s_or_saveexec_b64 s[6:7], s[6:7]
	v_mov_b32_e32 v21, s10
	s_xor_b64 exec, exec, s[6:7]
	s_cbranch_execz .LBB33_1030
.LBB33_3080:
	v_mov_b32_e32 v21, 0
	v_cmp_ne_u16_sdwa s[8:9], v10, v21 src0_sel:BYTE_0 src1_sel:DWORD
	s_andn2_b64 s[4:5], s[4:5], exec
	s_and_b64 s[8:9], s[8:9], exec
	s_or_b64 s[4:5], s[4:5], s[8:9]
	s_or_b64 exec, exec, s[6:7]
	s_and_saveexec_b64 s[6:7], s[4:5]
	s_cbranch_execnz .LBB33_1031
	s_branch .LBB33_1032
.LBB33_3081:
	s_movk_i32 s4, 0x80
	v_cmp_eq_u16_sdwa s[12:13], v21, s4 src0_sel:BYTE_0 src1_sel:DWORD
	s_mov_b64 s[4:5], -1
                                        ; implicit-def: $sgpr10
	s_and_saveexec_b64 s[8:9], s[12:13]
; %bb.3082:
	s_mov_b32 s10, 0x7f800001
	s_xor_b64 s[4:5], exec, -1
; %bb.3083:
	s_or_b64 exec, exec, s[8:9]
	s_and_b64 s[4:5], s[4:5], exec
	s_or_saveexec_b64 s[6:7], s[6:7]
	v_mov_b32_e32 v20, s10
	s_xor_b64 exec, exec, s[6:7]
	s_cbranch_execz .LBB33_1034
.LBB33_3084:
	v_mov_b32_e32 v20, 0
	v_cmp_ne_u16_sdwa s[8:9], v21, v20 src0_sel:BYTE_0 src1_sel:DWORD
	s_andn2_b64 s[4:5], s[4:5], exec
	s_and_b64 s[8:9], s[8:9], exec
	s_or_b64 s[4:5], s[4:5], s[8:9]
	s_or_b64 exec, exec, s[6:7]
	s_and_saveexec_b64 s[6:7], s[4:5]
	s_cbranch_execnz .LBB33_1035
	s_branch .LBB33_1036
.LBB33_3085:
	s_movk_i32 s4, 0x80
	v_cmp_eq_u16_sdwa s[12:13], v21, s4 src0_sel:BYTE_0 src1_sel:DWORD
	s_mov_b64 s[4:5], -1
                                        ; implicit-def: $sgpr10
	s_and_saveexec_b64 s[8:9], s[12:13]
; %bb.3086:
	s_mov_b32 s10, 0x7f800001
	s_xor_b64 s[4:5], exec, -1
; %bb.3087:
	s_or_b64 exec, exec, s[8:9]
	s_and_b64 s[4:5], s[4:5], exec
	s_or_saveexec_b64 s[6:7], s[6:7]
	v_mov_b32_e32 v22, s10
	s_xor_b64 exec, exec, s[6:7]
	s_cbranch_execz .LBB33_1038
.LBB33_3088:
	v_mov_b32_e32 v22, 0
	v_cmp_ne_u16_sdwa s[8:9], v21, v22 src0_sel:BYTE_0 src1_sel:DWORD
	s_andn2_b64 s[4:5], s[4:5], exec
	s_and_b64 s[8:9], s[8:9], exec
	s_or_b64 s[4:5], s[4:5], s[8:9]
	s_or_b64 exec, exec, s[6:7]
	s_and_saveexec_b64 s[6:7], s[4:5]
	s_cbranch_execnz .LBB33_1039
	s_branch .LBB33_1040
.LBB33_3089:
	s_movk_i32 s4, 0x80
	v_cmp_eq_u16_e32 vcc, s4, v21
	s_mov_b64 s[4:5], -1
                                        ; implicit-def: $sgpr10
	s_and_saveexec_b64 s[8:9], vcc
; %bb.3090:
	s_mov_b32 s10, 0x7f800001
	s_xor_b64 s[4:5], exec, -1
; %bb.3091:
	s_or_b64 exec, exec, s[8:9]
	s_and_b64 s[4:5], s[4:5], exec
                                        ; implicit-def: $vgpr21
	s_or_saveexec_b64 s[6:7], s[6:7]
	v_mov_b32_e32 v20, s10
	s_xor_b64 exec, exec, s[6:7]
	s_cbranch_execz .LBB33_1042
.LBB33_3092:
	v_cmp_ne_u16_e32 vcc, 0, v21
	s_andn2_b64 s[4:5], s[4:5], exec
	s_and_b64 s[8:9], vcc, exec
	v_mov_b32_e32 v20, 0
	s_or_b64 s[4:5], s[4:5], s[8:9]
	s_or_b64 exec, exec, s[6:7]
	s_and_saveexec_b64 s[6:7], s[4:5]
	s_cbranch_execnz .LBB33_1043
	s_branch .LBB33_1044
.LBB33_3093:
	s_movk_i32 s4, 0x80
	v_cmp_eq_u16_e32 vcc, s4, v21
	s_mov_b64 s[4:5], -1
                                        ; implicit-def: $sgpr10
	s_and_saveexec_b64 s[8:9], vcc
; %bb.3094:
	s_mov_b32 s10, 0x7f800001
	s_xor_b64 s[4:5], exec, -1
; %bb.3095:
	s_or_b64 exec, exec, s[8:9]
	s_and_b64 s[4:5], s[4:5], exec
                                        ; implicit-def: $vgpr21
	s_or_saveexec_b64 s[6:7], s[6:7]
	v_mov_b32_e32 v22, s10
	s_xor_b64 exec, exec, s[6:7]
	s_cbranch_execz .LBB33_1046
.LBB33_3096:
	v_cmp_ne_u16_e32 vcc, 0, v21
	s_andn2_b64 s[4:5], s[4:5], exec
	s_and_b64 s[8:9], vcc, exec
	v_mov_b32_e32 v22, 0
	s_or_b64 s[4:5], s[4:5], s[8:9]
	s_or_b64 exec, exec, s[6:7]
	s_and_saveexec_b64 s[6:7], s[4:5]
	s_cbranch_execnz .LBB33_1047
	s_branch .LBB33_1048
.LBB33_3097:
	s_movk_i32 s4, 0x80
	v_cmp_eq_u16_sdwa s[12:13], v14, s4 src0_sel:BYTE_3 src1_sel:DWORD
	s_mov_b64 s[4:5], -1
                                        ; implicit-def: $sgpr10
	s_and_saveexec_b64 s[8:9], s[12:13]
; %bb.3098:
	s_mov_b32 s10, 0x7f800001
	s_xor_b64 s[4:5], exec, -1
; %bb.3099:
	s_or_b64 exec, exec, s[8:9]
	s_and_b64 s[4:5], s[4:5], exec
	s_or_saveexec_b64 s[6:7], s[6:7]
	v_mov_b32_e32 v20, s10
	s_xor_b64 exec, exec, s[6:7]
	s_cbranch_execz .LBB33_1050
.LBB33_3100:
	v_mov_b32_e32 v20, 0
	v_cmp_ne_u16_sdwa s[8:9], v14, v20 src0_sel:BYTE_3 src1_sel:DWORD
	s_andn2_b64 s[4:5], s[4:5], exec
	s_and_b64 s[8:9], s[8:9], exec
	s_or_b64 s[4:5], s[4:5], s[8:9]
	s_or_b64 exec, exec, s[6:7]
	s_and_saveexec_b64 s[6:7], s[4:5]
	s_cbranch_execnz .LBB33_1051
	s_branch .LBB33_1052
.LBB33_3101:
	s_movk_i32 s4, 0x80
	v_cmp_eq_u16_sdwa s[12:13], v10, s4 src0_sel:BYTE_3 src1_sel:DWORD
	s_mov_b64 s[4:5], -1
                                        ; implicit-def: $sgpr10
	s_and_saveexec_b64 s[8:9], s[12:13]
; %bb.3102:
	s_mov_b32 s10, 0x7f800001
	s_xor_b64 s[4:5], exec, -1
; %bb.3103:
	s_or_b64 exec, exec, s[8:9]
	s_and_b64 s[4:5], s[4:5], exec
	s_or_saveexec_b64 s[6:7], s[6:7]
	v_mov_b32_e32 v14, s10
	s_xor_b64 exec, exec, s[6:7]
	s_cbranch_execz .LBB33_1054
.LBB33_3104:
	v_mov_b32_e32 v14, 0
	v_cmp_ne_u16_sdwa s[8:9], v10, v14 src0_sel:BYTE_3 src1_sel:DWORD
	s_andn2_b64 s[4:5], s[4:5], exec
	s_and_b64 s[8:9], s[8:9], exec
	s_or_b64 s[4:5], s[4:5], s[8:9]
	s_or_b64 exec, exec, s[6:7]
	s_and_saveexec_b64 s[6:7], s[4:5]
	s_cbranch_execnz .LBB33_1055
	s_branch .LBB33_1056
.LBB33_3105:
	s_movk_i32 s4, 0x80
	v_cmp_eq_u16_sdwa s[12:13], v15, s4 src0_sel:BYTE_0 src1_sel:DWORD
	s_mov_b64 s[4:5], -1
                                        ; implicit-def: $sgpr10
	s_and_saveexec_b64 s[8:9], s[12:13]
; %bb.3106:
	s_mov_b32 s10, 0x7f800001
	s_xor_b64 s[4:5], exec, -1
; %bb.3107:
	s_or_b64 exec, exec, s[8:9]
	s_and_b64 s[4:5], s[4:5], exec
	s_or_saveexec_b64 s[6:7], s[6:7]
	v_mov_b32_e32 v10, s10
	s_xor_b64 exec, exec, s[6:7]
	s_cbranch_execz .LBB33_1058
.LBB33_3108:
	v_mov_b32_e32 v10, 0
	v_cmp_ne_u16_sdwa s[8:9], v15, v10 src0_sel:BYTE_0 src1_sel:DWORD
	s_andn2_b64 s[4:5], s[4:5], exec
	s_and_b64 s[8:9], s[8:9], exec
	s_or_b64 s[4:5], s[4:5], s[8:9]
	s_or_b64 exec, exec, s[6:7]
	s_and_saveexec_b64 s[6:7], s[4:5]
	s_cbranch_execnz .LBB33_1059
	s_branch .LBB33_1060
.LBB33_3109:
	s_movk_i32 s4, 0x80
	v_cmp_eq_u16_sdwa s[12:13], v11, s4 src0_sel:BYTE_0 src1_sel:DWORD
	s_mov_b64 s[4:5], -1
                                        ; implicit-def: $sgpr10
	s_and_saveexec_b64 s[8:9], s[12:13]
; %bb.3110:
	s_mov_b32 s10, 0x7f800001
	s_xor_b64 s[4:5], exec, -1
; %bb.3111:
	s_or_b64 exec, exec, s[8:9]
	s_and_b64 s[4:5], s[4:5], exec
	s_or_saveexec_b64 s[6:7], s[6:7]
	v_mov_b32_e32 v14, s10
	s_xor_b64 exec, exec, s[6:7]
	s_cbranch_execz .LBB33_1062
.LBB33_3112:
	v_mov_b32_e32 v14, 0
	v_cmp_ne_u16_sdwa s[8:9], v11, v14 src0_sel:BYTE_0 src1_sel:DWORD
	s_andn2_b64 s[4:5], s[4:5], exec
	s_and_b64 s[8:9], s[8:9], exec
	s_or_b64 s[4:5], s[4:5], s[8:9]
	s_or_b64 exec, exec, s[6:7]
	s_and_saveexec_b64 s[6:7], s[4:5]
	s_cbranch_execnz .LBB33_1063
	s_branch .LBB33_1064
.LBB33_3113:
	s_movk_i32 s4, 0x80
	v_cmp_eq_u16_sdwa s[12:13], v14, s4 src0_sel:BYTE_0 src1_sel:DWORD
	s_mov_b64 s[4:5], -1
                                        ; implicit-def: $sgpr10
	s_and_saveexec_b64 s[8:9], s[12:13]
; %bb.3114:
	s_mov_b32 s10, 0x7f800001
	s_xor_b64 s[4:5], exec, -1
; %bb.3115:
	s_or_b64 exec, exec, s[8:9]
	s_and_b64 s[4:5], s[4:5], exec
	s_or_saveexec_b64 s[6:7], s[6:7]
	v_mov_b32_e32 v10, s10
	s_xor_b64 exec, exec, s[6:7]
	s_cbranch_execz .LBB33_1066
.LBB33_3116:
	v_mov_b32_e32 v10, 0
	v_cmp_ne_u16_sdwa s[8:9], v14, v10 src0_sel:BYTE_0 src1_sel:DWORD
	s_andn2_b64 s[4:5], s[4:5], exec
	s_and_b64 s[8:9], s[8:9], exec
	s_or_b64 s[4:5], s[4:5], s[8:9]
	s_or_b64 exec, exec, s[6:7]
	s_and_saveexec_b64 s[6:7], s[4:5]
	s_cbranch_execnz .LBB33_1067
	s_branch .LBB33_1068
.LBB33_3117:
	s_movk_i32 s4, 0x80
	v_cmp_eq_u16_sdwa s[12:13], v14, s4 src0_sel:BYTE_0 src1_sel:DWORD
	s_mov_b64 s[4:5], -1
                                        ; implicit-def: $sgpr10
	s_and_saveexec_b64 s[8:9], s[12:13]
; %bb.3118:
	s_mov_b32 s10, 0x7f800001
	s_xor_b64 s[4:5], exec, -1
; %bb.3119:
	s_or_b64 exec, exec, s[8:9]
	s_and_b64 s[4:5], s[4:5], exec
	s_or_saveexec_b64 s[6:7], s[6:7]
	v_mov_b32_e32 v20, s10
	s_xor_b64 exec, exec, s[6:7]
	s_cbranch_execz .LBB33_1070
.LBB33_3120:
	v_mov_b32_e32 v20, 0
	v_cmp_ne_u16_sdwa s[8:9], v14, v20 src0_sel:BYTE_0 src1_sel:DWORD
	s_andn2_b64 s[4:5], s[4:5], exec
	s_and_b64 s[8:9], s[8:9], exec
	s_or_b64 s[4:5], s[4:5], s[8:9]
	s_or_b64 exec, exec, s[6:7]
	s_and_saveexec_b64 s[6:7], s[4:5]
	s_cbranch_execnz .LBB33_1071
	s_branch .LBB33_1072
.LBB33_3121:
	s_movk_i32 s4, 0x80
	v_cmp_eq_u16_e32 vcc, s4, v14
	s_mov_b64 s[4:5], -1
                                        ; implicit-def: $sgpr10
	s_and_saveexec_b64 s[8:9], vcc
; %bb.3122:
	s_mov_b32 s10, 0x7f800001
	s_xor_b64 s[4:5], exec, -1
; %bb.3123:
	s_or_b64 exec, exec, s[8:9]
	s_and_b64 s[4:5], s[4:5], exec
                                        ; implicit-def: $vgpr14
	s_or_saveexec_b64 s[6:7], s[6:7]
	v_mov_b32_e32 v10, s10
	s_xor_b64 exec, exec, s[6:7]
	s_cbranch_execz .LBB33_1074
.LBB33_3124:
	v_cmp_ne_u16_e32 vcc, 0, v14
	s_andn2_b64 s[4:5], s[4:5], exec
	s_and_b64 s[8:9], vcc, exec
	v_mov_b32_e32 v10, 0
	s_or_b64 s[4:5], s[4:5], s[8:9]
	s_or_b64 exec, exec, s[6:7]
	s_and_saveexec_b64 s[6:7], s[4:5]
	s_cbranch_execnz .LBB33_1075
	s_branch .LBB33_1076
.LBB33_3125:
	s_movk_i32 s4, 0x80
	v_cmp_eq_u16_e32 vcc, s4, v14
	s_mov_b64 s[4:5], -1
                                        ; implicit-def: $sgpr10
	s_and_saveexec_b64 s[8:9], vcc
; %bb.3126:
	s_mov_b32 s10, 0x7f800001
	s_xor_b64 s[4:5], exec, -1
; %bb.3127:
	s_or_b64 exec, exec, s[8:9]
	s_and_b64 s[4:5], s[4:5], exec
                                        ; implicit-def: $vgpr14
	s_or_saveexec_b64 s[6:7], s[6:7]
	v_mov_b32_e32 v20, s10
	s_xor_b64 exec, exec, s[6:7]
	s_cbranch_execz .LBB33_1078
.LBB33_3128:
	v_cmp_ne_u16_e32 vcc, 0, v14
	s_andn2_b64 s[4:5], s[4:5], exec
	s_and_b64 s[8:9], vcc, exec
	v_mov_b32_e32 v20, 0
	s_or_b64 s[4:5], s[4:5], s[8:9]
	s_or_b64 exec, exec, s[6:7]
	s_and_saveexec_b64 s[6:7], s[4:5]
	s_cbranch_execnz .LBB33_1079
	s_branch .LBB33_1080
.LBB33_3129:
	s_movk_i32 s4, 0x80
	v_cmp_eq_u16_sdwa s[12:13], v15, s4 src0_sel:BYTE_3 src1_sel:DWORD
	s_mov_b64 s[4:5], -1
                                        ; implicit-def: $sgpr10
	s_and_saveexec_b64 s[8:9], s[12:13]
; %bb.3130:
	s_mov_b32 s10, 0x7f800001
	s_xor_b64 s[4:5], exec, -1
; %bb.3131:
	s_or_b64 exec, exec, s[8:9]
	s_and_b64 s[4:5], s[4:5], exec
	s_or_saveexec_b64 s[6:7], s[6:7]
	v_mov_b32_e32 v10, s10
	s_xor_b64 exec, exec, s[6:7]
	s_cbranch_execz .LBB33_1082
.LBB33_3132:
	v_mov_b32_e32 v10, 0
	v_cmp_ne_u16_sdwa s[8:9], v15, v10 src0_sel:BYTE_3 src1_sel:DWORD
	s_andn2_b64 s[4:5], s[4:5], exec
	s_and_b64 s[8:9], s[8:9], exec
	s_or_b64 s[4:5], s[4:5], s[8:9]
	s_or_b64 exec, exec, s[6:7]
	s_and_saveexec_b64 s[6:7], s[4:5]
	s_cbranch_execnz .LBB33_1083
	s_branch .LBB33_1084
.LBB33_3133:
	s_movk_i32 s4, 0x80
	v_cmp_eq_u16_sdwa s[12:13], v11, s4 src0_sel:BYTE_3 src1_sel:DWORD
	s_mov_b64 s[4:5], -1
                                        ; implicit-def: $sgpr10
	s_and_saveexec_b64 s[8:9], s[12:13]
; %bb.3134:
	s_mov_b32 s10, 0x7f800001
	s_xor_b64 s[4:5], exec, -1
; %bb.3135:
	s_or_b64 exec, exec, s[8:9]
	s_and_b64 s[4:5], s[4:5], exec
	s_or_saveexec_b64 s[6:7], s[6:7]
	v_mov_b32_e32 v14, s10
	s_xor_b64 exec, exec, s[6:7]
	s_cbranch_execz .LBB33_1086
.LBB33_3136:
	v_mov_b32_e32 v14, 0
	v_cmp_ne_u16_sdwa s[8:9], v11, v14 src0_sel:BYTE_3 src1_sel:DWORD
	s_andn2_b64 s[4:5], s[4:5], exec
	s_and_b64 s[8:9], s[8:9], exec
	s_or_b64 s[4:5], s[4:5], s[8:9]
	s_or_b64 exec, exec, s[6:7]
	s_and_saveexec_b64 s[6:7], s[4:5]
	s_cbranch_execnz .LBB33_1087
	s_branch .LBB33_1088
.LBB33_3137:
	s_movk_i32 s4, 0x80
	v_cmp_eq_u16_sdwa s[12:13], v16, s4 src0_sel:BYTE_0 src1_sel:DWORD
	s_mov_b64 s[4:5], -1
                                        ; implicit-def: $sgpr10
	s_and_saveexec_b64 s[8:9], s[12:13]
; %bb.3138:
	s_mov_b32 s10, 0x7f800001
	s_xor_b64 s[4:5], exec, -1
; %bb.3139:
	s_or_b64 exec, exec, s[8:9]
	s_and_b64 s[4:5], s[4:5], exec
	s_or_saveexec_b64 s[6:7], s[6:7]
	v_mov_b32_e32 v10, s10
	s_xor_b64 exec, exec, s[6:7]
	s_cbranch_execz .LBB33_1090
.LBB33_3140:
	v_mov_b32_e32 v10, 0
	v_cmp_ne_u16_sdwa s[8:9], v16, v10 src0_sel:BYTE_0 src1_sel:DWORD
	s_andn2_b64 s[4:5], s[4:5], exec
	s_and_b64 s[8:9], s[8:9], exec
	s_or_b64 s[4:5], s[4:5], s[8:9]
	s_or_b64 exec, exec, s[6:7]
	s_and_saveexec_b64 s[6:7], s[4:5]
	s_cbranch_execnz .LBB33_1091
	s_branch .LBB33_1092
.LBB33_3141:
	s_movk_i32 s4, 0x80
	v_cmp_eq_u16_sdwa s[12:13], v12, s4 src0_sel:BYTE_0 src1_sel:DWORD
	s_mov_b64 s[4:5], -1
                                        ; implicit-def: $sgpr10
	s_and_saveexec_b64 s[8:9], s[12:13]
; %bb.3142:
	s_mov_b32 s10, 0x7f800001
	s_xor_b64 s[4:5], exec, -1
; %bb.3143:
	s_or_b64 exec, exec, s[8:9]
	s_and_b64 s[4:5], s[4:5], exec
	s_or_saveexec_b64 s[6:7], s[6:7]
	v_mov_b32_e32 v11, s10
	s_xor_b64 exec, exec, s[6:7]
	s_cbranch_execz .LBB33_1094
.LBB33_3144:
	v_mov_b32_e32 v11, 0
	v_cmp_ne_u16_sdwa s[8:9], v12, v11 src0_sel:BYTE_0 src1_sel:DWORD
	s_andn2_b64 s[4:5], s[4:5], exec
	s_and_b64 s[8:9], s[8:9], exec
	s_or_b64 s[4:5], s[4:5], s[8:9]
	s_or_b64 exec, exec, s[6:7]
	s_and_saveexec_b64 s[6:7], s[4:5]
	s_cbranch_execnz .LBB33_1095
	s_branch .LBB33_1096
.LBB33_3145:
	s_movk_i32 s4, 0x80
	v_cmp_eq_u16_sdwa s[12:13], v11, s4 src0_sel:BYTE_0 src1_sel:DWORD
	s_mov_b64 s[4:5], -1
                                        ; implicit-def: $sgpr10
	s_and_saveexec_b64 s[8:9], s[12:13]
; %bb.3146:
	s_mov_b32 s10, 0x7f800001
	s_xor_b64 s[4:5], exec, -1
; %bb.3147:
	s_or_b64 exec, exec, s[8:9]
	s_and_b64 s[4:5], s[4:5], exec
	s_or_saveexec_b64 s[6:7], s[6:7]
	v_mov_b32_e32 v10, s10
	s_xor_b64 exec, exec, s[6:7]
	s_cbranch_execz .LBB33_1098
.LBB33_3148:
	v_mov_b32_e32 v10, 0
	v_cmp_ne_u16_sdwa s[8:9], v11, v10 src0_sel:BYTE_0 src1_sel:DWORD
	s_andn2_b64 s[4:5], s[4:5], exec
	s_and_b64 s[8:9], s[8:9], exec
	s_or_b64 s[4:5], s[4:5], s[8:9]
	s_or_b64 exec, exec, s[6:7]
	s_and_saveexec_b64 s[6:7], s[4:5]
	s_cbranch_execnz .LBB33_1099
	s_branch .LBB33_1100
.LBB33_3149:
	s_movk_i32 s4, 0x80
	v_cmp_eq_u16_sdwa s[12:13], v11, s4 src0_sel:BYTE_0 src1_sel:DWORD
	s_mov_b64 s[4:5], -1
                                        ; implicit-def: $sgpr10
	s_and_saveexec_b64 s[8:9], s[12:13]
; %bb.3150:
	s_mov_b32 s10, 0x7f800001
	s_xor_b64 s[4:5], exec, -1
; %bb.3151:
	s_or_b64 exec, exec, s[8:9]
	s_and_b64 s[4:5], s[4:5], exec
	s_or_saveexec_b64 s[6:7], s[6:7]
	v_mov_b32_e32 v14, s10
	s_xor_b64 exec, exec, s[6:7]
	s_cbranch_execz .LBB33_1102
.LBB33_3152:
	v_mov_b32_e32 v14, 0
	v_cmp_ne_u16_sdwa s[8:9], v11, v14 src0_sel:BYTE_0 src1_sel:DWORD
	s_andn2_b64 s[4:5], s[4:5], exec
	s_and_b64 s[8:9], s[8:9], exec
	s_or_b64 s[4:5], s[4:5], s[8:9]
	s_or_b64 exec, exec, s[6:7]
	s_and_saveexec_b64 s[6:7], s[4:5]
	s_cbranch_execnz .LBB33_1103
	s_branch .LBB33_1104
.LBB33_3153:
	s_movk_i32 s4, 0x80
	v_cmp_eq_u16_e32 vcc, s4, v11
	s_mov_b64 s[4:5], -1
                                        ; implicit-def: $sgpr10
	s_and_saveexec_b64 s[8:9], vcc
; %bb.3154:
	s_mov_b32 s10, 0x7f800001
	s_xor_b64 s[4:5], exec, -1
; %bb.3155:
	s_or_b64 exec, exec, s[8:9]
	s_and_b64 s[4:5], s[4:5], exec
                                        ; implicit-def: $vgpr11
	s_or_saveexec_b64 s[6:7], s[6:7]
	v_mov_b32_e32 v10, s10
	s_xor_b64 exec, exec, s[6:7]
	s_cbranch_execz .LBB33_1106
.LBB33_3156:
	v_cmp_ne_u16_e32 vcc, 0, v11
	s_andn2_b64 s[4:5], s[4:5], exec
	s_and_b64 s[8:9], vcc, exec
	v_mov_b32_e32 v10, 0
	s_or_b64 s[4:5], s[4:5], s[8:9]
	s_or_b64 exec, exec, s[6:7]
	s_and_saveexec_b64 s[6:7], s[4:5]
	s_cbranch_execnz .LBB33_1107
	s_branch .LBB33_1108
.LBB33_3157:
	s_movk_i32 s4, 0x80
	v_cmp_eq_u16_e32 vcc, s4, v11
	s_mov_b64 s[4:5], -1
                                        ; implicit-def: $sgpr10
	s_and_saveexec_b64 s[8:9], vcc
; %bb.3158:
	s_mov_b32 s10, 0x7f800001
	s_xor_b64 s[4:5], exec, -1
; %bb.3159:
	s_or_b64 exec, exec, s[8:9]
	s_and_b64 s[4:5], s[4:5], exec
                                        ; implicit-def: $vgpr11
	s_or_saveexec_b64 s[6:7], s[6:7]
	v_mov_b32_e32 v14, s10
	s_xor_b64 exec, exec, s[6:7]
	s_cbranch_execz .LBB33_1110
.LBB33_3160:
	v_cmp_ne_u16_e32 vcc, 0, v11
	s_andn2_b64 s[4:5], s[4:5], exec
	s_and_b64 s[8:9], vcc, exec
	v_mov_b32_e32 v14, 0
	s_or_b64 s[4:5], s[4:5], s[8:9]
	s_or_b64 exec, exec, s[6:7]
	s_and_saveexec_b64 s[6:7], s[4:5]
	s_cbranch_execnz .LBB33_1111
	s_branch .LBB33_1112
.LBB33_3161:
	s_movk_i32 s4, 0x80
	v_cmp_eq_u16_sdwa s[12:13], v16, s4 src0_sel:BYTE_3 src1_sel:DWORD
	s_mov_b64 s[4:5], -1
                                        ; implicit-def: $sgpr10
	s_and_saveexec_b64 s[8:9], s[12:13]
; %bb.3162:
	s_mov_b32 s10, 0x7f800001
	s_xor_b64 s[4:5], exec, -1
; %bb.3163:
	s_or_b64 exec, exec, s[8:9]
	s_and_b64 s[4:5], s[4:5], exec
	s_or_saveexec_b64 s[6:7], s[6:7]
	v_mov_b32_e32 v10, s10
	s_xor_b64 exec, exec, s[6:7]
	s_cbranch_execz .LBB33_1114
.LBB33_3164:
	v_mov_b32_e32 v10, 0
	v_cmp_ne_u16_sdwa s[8:9], v16, v10 src0_sel:BYTE_3 src1_sel:DWORD
	s_andn2_b64 s[4:5], s[4:5], exec
	s_and_b64 s[8:9], s[8:9], exec
	s_or_b64 s[4:5], s[4:5], s[8:9]
	s_or_b64 exec, exec, s[6:7]
	s_and_saveexec_b64 s[6:7], s[4:5]
	s_cbranch_execnz .LBB33_1115
	s_branch .LBB33_1116
.LBB33_3165:
	s_movk_i32 s4, 0x80
	v_cmp_eq_u16_sdwa s[12:13], v12, s4 src0_sel:BYTE_3 src1_sel:DWORD
	s_mov_b64 s[4:5], -1
                                        ; implicit-def: $sgpr10
	s_and_saveexec_b64 s[8:9], s[12:13]
; %bb.3166:
	s_mov_b32 s10, 0x7f800001
	s_xor_b64 s[4:5], exec, -1
; %bb.3167:
	s_or_b64 exec, exec, s[8:9]
	s_and_b64 s[4:5], s[4:5], exec
	s_or_saveexec_b64 s[6:7], s[6:7]
	v_mov_b32_e32 v11, s10
	s_xor_b64 exec, exec, s[6:7]
	s_cbranch_execz .LBB33_1118
.LBB33_3168:
	v_mov_b32_e32 v11, 0
	v_cmp_ne_u16_sdwa s[8:9], v12, v11 src0_sel:BYTE_3 src1_sel:DWORD
	s_andn2_b64 s[4:5], s[4:5], exec
	s_and_b64 s[8:9], s[8:9], exec
	s_or_b64 s[4:5], s[4:5], s[8:9]
	s_or_b64 exec, exec, s[6:7]
	s_and_saveexec_b64 s[6:7], s[4:5]
	s_cbranch_execnz .LBB33_1119
	s_branch .LBB33_1120
.LBB33_3169:
	s_movk_i32 s4, 0x80
	v_cmp_eq_u16_sdwa s[12:13], v17, s4 src0_sel:BYTE_0 src1_sel:DWORD
	s_mov_b64 s[4:5], -1
                                        ; implicit-def: $sgpr10
	s_and_saveexec_b64 s[8:9], s[12:13]
; %bb.3170:
	s_mov_b32 s10, 0x7f800001
	s_xor_b64 s[4:5], exec, -1
; %bb.3171:
	s_or_b64 exec, exec, s[8:9]
	s_and_b64 s[4:5], s[4:5], exec
	s_or_saveexec_b64 s[6:7], s[6:7]
	v_mov_b32_e32 v10, s10
	s_xor_b64 exec, exec, s[6:7]
	s_cbranch_execz .LBB33_1122
.LBB33_3172:
	v_mov_b32_e32 v10, 0
	v_cmp_ne_u16_sdwa s[8:9], v17, v10 src0_sel:BYTE_0 src1_sel:DWORD
	s_andn2_b64 s[4:5], s[4:5], exec
	s_and_b64 s[8:9], s[8:9], exec
	s_or_b64 s[4:5], s[4:5], s[8:9]
	s_or_b64 exec, exec, s[6:7]
	s_and_saveexec_b64 s[6:7], s[4:5]
	s_cbranch_execnz .LBB33_1123
	s_branch .LBB33_1124
.LBB33_3173:
	s_movk_i32 s4, 0x80
	v_cmp_eq_u16_sdwa s[12:13], v13, s4 src0_sel:BYTE_0 src1_sel:DWORD
	s_mov_b64 s[4:5], -1
                                        ; implicit-def: $sgpr10
	s_and_saveexec_b64 s[8:9], s[12:13]
; %bb.3174:
	s_mov_b32 s10, 0x7f800001
	s_xor_b64 s[4:5], exec, -1
; %bb.3175:
	s_or_b64 exec, exec, s[8:9]
	s_and_b64 s[4:5], s[4:5], exec
	s_or_saveexec_b64 s[6:7], s[6:7]
	v_mov_b32_e32 v11, s10
	s_xor_b64 exec, exec, s[6:7]
	s_cbranch_execz .LBB33_1126
.LBB33_3176:
	v_mov_b32_e32 v11, 0
	v_cmp_ne_u16_sdwa s[8:9], v13, v11 src0_sel:BYTE_0 src1_sel:DWORD
	s_andn2_b64 s[4:5], s[4:5], exec
	s_and_b64 s[8:9], s[8:9], exec
	s_or_b64 s[4:5], s[4:5], s[8:9]
	s_or_b64 exec, exec, s[6:7]
	s_and_saveexec_b64 s[6:7], s[4:5]
	s_cbranch_execnz .LBB33_1127
	s_branch .LBB33_1128
.LBB33_3177:
	s_movk_i32 s4, 0x80
	v_cmp_eq_u16_sdwa s[12:13], v11, s4 src0_sel:BYTE_0 src1_sel:DWORD
	s_mov_b64 s[4:5], -1
                                        ; implicit-def: $sgpr10
	s_and_saveexec_b64 s[8:9], s[12:13]
; %bb.3178:
	s_mov_b32 s10, 0x7f800001
	s_xor_b64 s[4:5], exec, -1
; %bb.3179:
	s_or_b64 exec, exec, s[8:9]
	s_and_b64 s[4:5], s[4:5], exec
	s_or_saveexec_b64 s[6:7], s[6:7]
	v_mov_b32_e32 v10, s10
	s_xor_b64 exec, exec, s[6:7]
	s_cbranch_execz .LBB33_1130
.LBB33_3180:
	v_mov_b32_e32 v10, 0
	v_cmp_ne_u16_sdwa s[8:9], v11, v10 src0_sel:BYTE_0 src1_sel:DWORD
	s_andn2_b64 s[4:5], s[4:5], exec
	s_and_b64 s[8:9], s[8:9], exec
	s_or_b64 s[4:5], s[4:5], s[8:9]
	s_or_b64 exec, exec, s[6:7]
	s_and_saveexec_b64 s[6:7], s[4:5]
	s_cbranch_execnz .LBB33_1131
	s_branch .LBB33_1132
.LBB33_3181:
	s_movk_i32 s4, 0x80
	v_cmp_eq_u16_sdwa s[12:13], v11, s4 src0_sel:BYTE_0 src1_sel:DWORD
	s_mov_b64 s[4:5], -1
                                        ; implicit-def: $sgpr10
	s_and_saveexec_b64 s[8:9], s[12:13]
; %bb.3182:
	s_mov_b32 s10, 0x7f800001
	s_xor_b64 s[4:5], exec, -1
; %bb.3183:
	s_or_b64 exec, exec, s[8:9]
	s_and_b64 s[4:5], s[4:5], exec
	s_or_saveexec_b64 s[6:7], s[6:7]
	v_mov_b32_e32 v12, s10
	s_xor_b64 exec, exec, s[6:7]
	s_cbranch_execz .LBB33_1134
.LBB33_3184:
	v_mov_b32_e32 v12, 0
	v_cmp_ne_u16_sdwa s[8:9], v11, v12 src0_sel:BYTE_0 src1_sel:DWORD
	s_andn2_b64 s[4:5], s[4:5], exec
	s_and_b64 s[8:9], s[8:9], exec
	s_or_b64 s[4:5], s[4:5], s[8:9]
	s_or_b64 exec, exec, s[6:7]
	s_and_saveexec_b64 s[6:7], s[4:5]
	s_cbranch_execnz .LBB33_1135
	s_branch .LBB33_1136
.LBB33_3185:
	s_movk_i32 s4, 0x80
	v_cmp_eq_u16_e32 vcc, s4, v11
	s_mov_b64 s[4:5], -1
                                        ; implicit-def: $sgpr10
	s_and_saveexec_b64 s[8:9], vcc
; %bb.3186:
	s_mov_b32 s10, 0x7f800001
	s_xor_b64 s[4:5], exec, -1
; %bb.3187:
	s_or_b64 exec, exec, s[8:9]
	s_and_b64 s[4:5], s[4:5], exec
                                        ; implicit-def: $vgpr11
	s_or_saveexec_b64 s[6:7], s[6:7]
	v_mov_b32_e32 v10, s10
	s_xor_b64 exec, exec, s[6:7]
	s_cbranch_execz .LBB33_1138
.LBB33_3188:
	v_cmp_ne_u16_e32 vcc, 0, v11
	s_andn2_b64 s[4:5], s[4:5], exec
	s_and_b64 s[8:9], vcc, exec
	v_mov_b32_e32 v10, 0
	s_or_b64 s[4:5], s[4:5], s[8:9]
	s_or_b64 exec, exec, s[6:7]
	s_and_saveexec_b64 s[6:7], s[4:5]
	s_cbranch_execnz .LBB33_1139
	s_branch .LBB33_1140
.LBB33_3189:
	s_movk_i32 s4, 0x80
	v_cmp_eq_u16_e32 vcc, s4, v11
	s_mov_b64 s[4:5], -1
                                        ; implicit-def: $sgpr10
	s_and_saveexec_b64 s[8:9], vcc
; %bb.3190:
	s_mov_b32 s10, 0x7f800001
	s_xor_b64 s[4:5], exec, -1
; %bb.3191:
	s_or_b64 exec, exec, s[8:9]
	s_and_b64 s[4:5], s[4:5], exec
                                        ; implicit-def: $vgpr11
	s_or_saveexec_b64 s[6:7], s[6:7]
	v_mov_b32_e32 v12, s10
	s_xor_b64 exec, exec, s[6:7]
	s_cbranch_execz .LBB33_1142
.LBB33_3192:
	v_cmp_ne_u16_e32 vcc, 0, v11
	s_andn2_b64 s[4:5], s[4:5], exec
	s_and_b64 s[8:9], vcc, exec
	v_mov_b32_e32 v12, 0
	s_or_b64 s[4:5], s[4:5], s[8:9]
	s_or_b64 exec, exec, s[6:7]
	s_and_saveexec_b64 s[6:7], s[4:5]
	s_cbranch_execnz .LBB33_1143
	s_branch .LBB33_1144
.LBB33_3193:
	s_movk_i32 s4, 0x80
	v_cmp_eq_u16_sdwa s[12:13], v17, s4 src0_sel:BYTE_3 src1_sel:DWORD
	s_mov_b64 s[4:5], -1
                                        ; implicit-def: $sgpr10
	s_and_saveexec_b64 s[8:9], s[12:13]
; %bb.3194:
	s_mov_b32 s10, 0x7f800001
	s_xor_b64 s[4:5], exec, -1
; %bb.3195:
	s_or_b64 exec, exec, s[8:9]
	s_and_b64 s[4:5], s[4:5], exec
	s_or_saveexec_b64 s[6:7], s[6:7]
	v_mov_b32_e32 v10, s10
	s_xor_b64 exec, exec, s[6:7]
	s_cbranch_execz .LBB33_1146
.LBB33_3196:
	v_mov_b32_e32 v10, 0
	v_cmp_ne_u16_sdwa s[8:9], v17, v10 src0_sel:BYTE_3 src1_sel:DWORD
	s_andn2_b64 s[4:5], s[4:5], exec
	s_and_b64 s[8:9], s[8:9], exec
	s_or_b64 s[4:5], s[4:5], s[8:9]
	s_or_b64 exec, exec, s[6:7]
	s_and_saveexec_b64 s[6:7], s[4:5]
	s_cbranch_execnz .LBB33_1147
	s_branch .LBB33_1148
.LBB33_3197:
	s_movk_i32 s4, 0x80
	v_cmp_eq_u16_sdwa s[12:13], v13, s4 src0_sel:BYTE_3 src1_sel:DWORD
	s_mov_b64 s[4:5], -1
                                        ; implicit-def: $sgpr10
	s_and_saveexec_b64 s[8:9], s[12:13]
; %bb.3198:
	s_mov_b32 s10, 0x7f800001
	s_xor_b64 s[4:5], exec, -1
; %bb.3199:
	s_or_b64 exec, exec, s[8:9]
	s_and_b64 s[4:5], s[4:5], exec
	s_or_saveexec_b64 s[6:7], s[6:7]
	v_mov_b32_e32 v11, s10
	s_xor_b64 exec, exec, s[6:7]
	s_cbranch_execz .LBB33_1150
.LBB33_3200:
	v_mov_b32_e32 v11, 0
	v_cmp_ne_u16_sdwa s[8:9], v13, v11 src0_sel:BYTE_3 src1_sel:DWORD
	s_andn2_b64 s[4:5], s[4:5], exec
	s_and_b64 s[8:9], s[8:9], exec
	s_or_b64 s[4:5], s[4:5], s[8:9]
	s_or_b64 exec, exec, s[6:7]
	s_and_saveexec_b64 s[6:7], s[4:5]
	s_cbranch_execnz .LBB33_1151
	s_branch .LBB33_1152
.LBB33_3201:
	s_movk_i32 s4, 0x80
	v_cmp_eq_u16_sdwa s[12:13], v6, s4 src0_sel:BYTE_0 src1_sel:DWORD
	s_mov_b64 s[4:5], -1
                                        ; implicit-def: $sgpr10
	s_and_saveexec_b64 s[8:9], s[12:13]
; %bb.3202:
	s_mov_b32 s10, 0x7f800001
	s_xor_b64 s[4:5], exec, -1
; %bb.3203:
	s_or_b64 exec, exec, s[8:9]
	s_and_b64 s[4:5], s[4:5], exec
	s_or_saveexec_b64 s[6:7], s[6:7]
	v_mov_b32_e32 v10, s10
	s_xor_b64 exec, exec, s[6:7]
	s_cbranch_execz .LBB33_1154
.LBB33_3204:
	v_mov_b32_e32 v10, 0
	v_cmp_ne_u16_sdwa s[8:9], v6, v10 src0_sel:BYTE_0 src1_sel:DWORD
	s_andn2_b64 s[4:5], s[4:5], exec
	s_and_b64 s[8:9], s[8:9], exec
	s_or_b64 s[4:5], s[4:5], s[8:9]
	s_or_b64 exec, exec, s[6:7]
	s_and_saveexec_b64 s[6:7], s[4:5]
	s_cbranch_execnz .LBB33_1155
	s_branch .LBB33_1156
.LBB33_3205:
	s_movk_i32 s4, 0x80
	v_cmp_eq_u16_sdwa s[12:13], v2, s4 src0_sel:BYTE_0 src1_sel:DWORD
	s_mov_b64 s[4:5], -1
                                        ; implicit-def: $sgpr10
	s_and_saveexec_b64 s[8:9], s[12:13]
; %bb.3206:
	s_mov_b32 s10, 0x7f800001
	s_xor_b64 s[4:5], exec, -1
; %bb.3207:
	s_or_b64 exec, exec, s[8:9]
	s_and_b64 s[4:5], s[4:5], exec
	s_or_saveexec_b64 s[6:7], s[6:7]
	v_mov_b32_e32 v11, s10
	s_xor_b64 exec, exec, s[6:7]
	s_cbranch_execz .LBB33_1158
.LBB33_3208:
	v_mov_b32_e32 v11, 0
	v_cmp_ne_u16_sdwa s[8:9], v2, v11 src0_sel:BYTE_0 src1_sel:DWORD
	s_andn2_b64 s[4:5], s[4:5], exec
	s_and_b64 s[8:9], s[8:9], exec
	s_or_b64 s[4:5], s[4:5], s[8:9]
	s_or_b64 exec, exec, s[6:7]
	s_and_saveexec_b64 s[6:7], s[4:5]
	s_cbranch_execnz .LBB33_1159
	s_branch .LBB33_1160
.LBB33_3209:
	s_movk_i32 s4, 0x80
	v_cmp_eq_u16_sdwa s[12:13], v11, s4 src0_sel:BYTE_0 src1_sel:DWORD
	s_mov_b64 s[4:5], -1
                                        ; implicit-def: $sgpr10
	s_and_saveexec_b64 s[8:9], s[12:13]
; %bb.3210:
	s_mov_b32 s10, 0x7f800001
	s_xor_b64 s[4:5], exec, -1
; %bb.3211:
	s_or_b64 exec, exec, s[8:9]
	s_and_b64 s[4:5], s[4:5], exec
	s_or_saveexec_b64 s[6:7], s[6:7]
	v_mov_b32_e32 v10, s10
	s_xor_b64 exec, exec, s[6:7]
	s_cbranch_execz .LBB33_1162
.LBB33_3212:
	v_mov_b32_e32 v10, 0
	v_cmp_ne_u16_sdwa s[8:9], v11, v10 src0_sel:BYTE_0 src1_sel:DWORD
	s_andn2_b64 s[4:5], s[4:5], exec
	s_and_b64 s[8:9], s[8:9], exec
	s_or_b64 s[4:5], s[4:5], s[8:9]
	s_or_b64 exec, exec, s[6:7]
	s_and_saveexec_b64 s[6:7], s[4:5]
	s_cbranch_execnz .LBB33_1163
	s_branch .LBB33_1164
.LBB33_3213:
	s_movk_i32 s4, 0x80
	v_cmp_eq_u16_sdwa s[12:13], v11, s4 src0_sel:BYTE_0 src1_sel:DWORD
	s_mov_b64 s[4:5], -1
                                        ; implicit-def: $sgpr10
	s_and_saveexec_b64 s[8:9], s[12:13]
; %bb.3214:
	s_mov_b32 s10, 0x7f800001
	s_xor_b64 s[4:5], exec, -1
; %bb.3215:
	s_or_b64 exec, exec, s[8:9]
	s_and_b64 s[4:5], s[4:5], exec
	s_or_saveexec_b64 s[6:7], s[6:7]
	v_mov_b32_e32 v12, s10
	s_xor_b64 exec, exec, s[6:7]
	s_cbranch_execz .LBB33_1166
.LBB33_3216:
	v_mov_b32_e32 v12, 0
	v_cmp_ne_u16_sdwa s[8:9], v11, v12 src0_sel:BYTE_0 src1_sel:DWORD
	s_andn2_b64 s[4:5], s[4:5], exec
	s_and_b64 s[8:9], s[8:9], exec
	s_or_b64 s[4:5], s[4:5], s[8:9]
	s_or_b64 exec, exec, s[6:7]
	s_and_saveexec_b64 s[6:7], s[4:5]
	s_cbranch_execnz .LBB33_1167
	s_branch .LBB33_1168
.LBB33_3217:
	s_movk_i32 s4, 0x80
	v_cmp_eq_u16_e32 vcc, s4, v11
	s_mov_b64 s[4:5], -1
                                        ; implicit-def: $sgpr10
	s_and_saveexec_b64 s[8:9], vcc
; %bb.3218:
	s_mov_b32 s10, 0x7f800001
	s_xor_b64 s[4:5], exec, -1
; %bb.3219:
	s_or_b64 exec, exec, s[8:9]
	s_and_b64 s[4:5], s[4:5], exec
                                        ; implicit-def: $vgpr11
	s_or_saveexec_b64 s[6:7], s[6:7]
	v_mov_b32_e32 v10, s10
	s_xor_b64 exec, exec, s[6:7]
	s_cbranch_execz .LBB33_1170
.LBB33_3220:
	v_cmp_ne_u16_e32 vcc, 0, v11
	s_andn2_b64 s[4:5], s[4:5], exec
	s_and_b64 s[8:9], vcc, exec
	v_mov_b32_e32 v10, 0
	s_or_b64 s[4:5], s[4:5], s[8:9]
	s_or_b64 exec, exec, s[6:7]
	s_and_saveexec_b64 s[6:7], s[4:5]
	s_cbranch_execnz .LBB33_1171
	s_branch .LBB33_1172
.LBB33_3221:
	s_movk_i32 s4, 0x80
	v_cmp_eq_u16_e32 vcc, s4, v11
	s_mov_b64 s[4:5], -1
                                        ; implicit-def: $sgpr10
	s_and_saveexec_b64 s[8:9], vcc
; %bb.3222:
	s_mov_b32 s10, 0x7f800001
	s_xor_b64 s[4:5], exec, -1
; %bb.3223:
	s_or_b64 exec, exec, s[8:9]
	s_and_b64 s[4:5], s[4:5], exec
                                        ; implicit-def: $vgpr11
	s_or_saveexec_b64 s[6:7], s[6:7]
	v_mov_b32_e32 v12, s10
	s_xor_b64 exec, exec, s[6:7]
	s_cbranch_execz .LBB33_1174
.LBB33_3224:
	v_cmp_ne_u16_e32 vcc, 0, v11
	s_andn2_b64 s[4:5], s[4:5], exec
	s_and_b64 s[8:9], vcc, exec
	v_mov_b32_e32 v12, 0
	s_or_b64 s[4:5], s[4:5], s[8:9]
	s_or_b64 exec, exec, s[6:7]
	s_and_saveexec_b64 s[6:7], s[4:5]
	s_cbranch_execnz .LBB33_1175
	s_branch .LBB33_1176
.LBB33_3225:
	s_movk_i32 s4, 0x80
	v_cmp_eq_u16_sdwa s[12:13], v6, s4 src0_sel:BYTE_3 src1_sel:DWORD
	s_mov_b64 s[4:5], -1
                                        ; implicit-def: $sgpr10
	s_and_saveexec_b64 s[8:9], s[12:13]
; %bb.3226:
	s_mov_b32 s10, 0x7f800001
	s_xor_b64 s[4:5], exec, -1
; %bb.3227:
	s_or_b64 exec, exec, s[8:9]
	s_and_b64 s[4:5], s[4:5], exec
	s_or_saveexec_b64 s[6:7], s[6:7]
	v_mov_b32_e32 v10, s10
	s_xor_b64 exec, exec, s[6:7]
	s_cbranch_execz .LBB33_1178
.LBB33_3228:
	v_mov_b32_e32 v10, 0
	v_cmp_ne_u16_sdwa s[8:9], v6, v10 src0_sel:BYTE_3 src1_sel:DWORD
	s_andn2_b64 s[4:5], s[4:5], exec
	s_and_b64 s[8:9], s[8:9], exec
	s_or_b64 s[4:5], s[4:5], s[8:9]
	s_or_b64 exec, exec, s[6:7]
	s_and_saveexec_b64 s[6:7], s[4:5]
	s_cbranch_execnz .LBB33_1179
	s_branch .LBB33_1180
.LBB33_3229:
	s_movk_i32 s4, 0x80
	v_cmp_eq_u16_sdwa s[12:13], v2, s4 src0_sel:BYTE_3 src1_sel:DWORD
	s_mov_b64 s[4:5], -1
                                        ; implicit-def: $sgpr10
	s_and_saveexec_b64 s[8:9], s[12:13]
; %bb.3230:
	s_mov_b32 s10, 0x7f800001
	s_xor_b64 s[4:5], exec, -1
; %bb.3231:
	s_or_b64 exec, exec, s[8:9]
	s_and_b64 s[4:5], s[4:5], exec
	s_or_saveexec_b64 s[6:7], s[6:7]
	v_mov_b32_e32 v6, s10
	s_xor_b64 exec, exec, s[6:7]
	s_cbranch_execz .LBB33_1182
.LBB33_3232:
	v_mov_b32_e32 v6, 0
	v_cmp_ne_u16_sdwa s[8:9], v2, v6 src0_sel:BYTE_3 src1_sel:DWORD
	s_andn2_b64 s[4:5], s[4:5], exec
	s_and_b64 s[8:9], s[8:9], exec
	s_or_b64 s[4:5], s[4:5], s[8:9]
	s_or_b64 exec, exec, s[6:7]
	s_and_saveexec_b64 s[6:7], s[4:5]
	s_cbranch_execnz .LBB33_1183
	s_branch .LBB33_1184
.LBB33_3233:
	s_movk_i32 s4, 0x80
	v_cmp_eq_u16_sdwa s[12:13], v7, s4 src0_sel:BYTE_0 src1_sel:DWORD
	s_mov_b64 s[4:5], -1
                                        ; implicit-def: $sgpr10
	s_and_saveexec_b64 s[8:9], s[12:13]
; %bb.3234:
	s_mov_b32 s10, 0x7f800001
	s_xor_b64 s[4:5], exec, -1
; %bb.3235:
	s_or_b64 exec, exec, s[8:9]
	s_and_b64 s[4:5], s[4:5], exec
	s_or_saveexec_b64 s[6:7], s[6:7]
	v_mov_b32_e32 v2, s10
	s_xor_b64 exec, exec, s[6:7]
	s_cbranch_execz .LBB33_1186
.LBB33_3236:
	v_mov_b32_e32 v2, 0
	v_cmp_ne_u16_sdwa s[8:9], v7, v2 src0_sel:BYTE_0 src1_sel:DWORD
	s_andn2_b64 s[4:5], s[4:5], exec
	s_and_b64 s[8:9], s[8:9], exec
	s_or_b64 s[4:5], s[4:5], s[8:9]
	s_or_b64 exec, exec, s[6:7]
	s_and_saveexec_b64 s[6:7], s[4:5]
	s_cbranch_execnz .LBB33_1187
	s_branch .LBB33_1188
.LBB33_3237:
	s_movk_i32 s4, 0x80
	v_cmp_eq_u16_sdwa s[12:13], v3, s4 src0_sel:BYTE_0 src1_sel:DWORD
	s_mov_b64 s[4:5], -1
                                        ; implicit-def: $sgpr10
	s_and_saveexec_b64 s[8:9], s[12:13]
; %bb.3238:
	s_mov_b32 s10, 0x7f800001
	s_xor_b64 s[4:5], exec, -1
; %bb.3239:
	s_or_b64 exec, exec, s[8:9]
	s_and_b64 s[4:5], s[4:5], exec
	s_or_saveexec_b64 s[6:7], s[6:7]
	v_mov_b32_e32 v6, s10
	s_xor_b64 exec, exec, s[6:7]
	s_cbranch_execz .LBB33_1190
.LBB33_3240:
	v_mov_b32_e32 v6, 0
	v_cmp_ne_u16_sdwa s[8:9], v3, v6 src0_sel:BYTE_0 src1_sel:DWORD
	s_andn2_b64 s[4:5], s[4:5], exec
	s_and_b64 s[8:9], s[8:9], exec
	s_or_b64 s[4:5], s[4:5], s[8:9]
	s_or_b64 exec, exec, s[6:7]
	s_and_saveexec_b64 s[6:7], s[4:5]
	s_cbranch_execnz .LBB33_1191
	s_branch .LBB33_1192
.LBB33_3241:
	s_movk_i32 s4, 0x80
	v_cmp_eq_u16_sdwa s[12:13], v6, s4 src0_sel:BYTE_0 src1_sel:DWORD
	s_mov_b64 s[4:5], -1
                                        ; implicit-def: $sgpr10
	s_and_saveexec_b64 s[8:9], s[12:13]
; %bb.3242:
	s_mov_b32 s10, 0x7f800001
	s_xor_b64 s[4:5], exec, -1
; %bb.3243:
	s_or_b64 exec, exec, s[8:9]
	s_and_b64 s[4:5], s[4:5], exec
	s_or_saveexec_b64 s[6:7], s[6:7]
	v_mov_b32_e32 v2, s10
	s_xor_b64 exec, exec, s[6:7]
	s_cbranch_execz .LBB33_1194
.LBB33_3244:
	v_mov_b32_e32 v2, 0
	v_cmp_ne_u16_sdwa s[8:9], v6, v2 src0_sel:BYTE_0 src1_sel:DWORD
	s_andn2_b64 s[4:5], s[4:5], exec
	s_and_b64 s[8:9], s[8:9], exec
	s_or_b64 s[4:5], s[4:5], s[8:9]
	s_or_b64 exec, exec, s[6:7]
	s_and_saveexec_b64 s[6:7], s[4:5]
	s_cbranch_execnz .LBB33_1195
	s_branch .LBB33_1196
.LBB33_3245:
	s_movk_i32 s4, 0x80
	v_cmp_eq_u16_sdwa s[12:13], v6, s4 src0_sel:BYTE_0 src1_sel:DWORD
	s_mov_b64 s[4:5], -1
                                        ; implicit-def: $sgpr10
	s_and_saveexec_b64 s[8:9], s[12:13]
; %bb.3246:
	s_mov_b32 s10, 0x7f800001
	s_xor_b64 s[4:5], exec, -1
; %bb.3247:
	s_or_b64 exec, exec, s[8:9]
	s_and_b64 s[4:5], s[4:5], exec
	s_or_saveexec_b64 s[6:7], s[6:7]
	v_mov_b32_e32 v10, s10
	s_xor_b64 exec, exec, s[6:7]
	s_cbranch_execz .LBB33_1198
.LBB33_3248:
	v_mov_b32_e32 v10, 0
	v_cmp_ne_u16_sdwa s[8:9], v6, v10 src0_sel:BYTE_0 src1_sel:DWORD
	s_andn2_b64 s[4:5], s[4:5], exec
	s_and_b64 s[8:9], s[8:9], exec
	s_or_b64 s[4:5], s[4:5], s[8:9]
	s_or_b64 exec, exec, s[6:7]
	s_and_saveexec_b64 s[6:7], s[4:5]
	s_cbranch_execnz .LBB33_1199
	s_branch .LBB33_1200
.LBB33_3249:
	s_movk_i32 s4, 0x80
	v_cmp_eq_u16_e32 vcc, s4, v6
	s_mov_b64 s[4:5], -1
                                        ; implicit-def: $sgpr10
	s_and_saveexec_b64 s[8:9], vcc
; %bb.3250:
	s_mov_b32 s10, 0x7f800001
	s_xor_b64 s[4:5], exec, -1
; %bb.3251:
	s_or_b64 exec, exec, s[8:9]
	s_and_b64 s[4:5], s[4:5], exec
                                        ; implicit-def: $vgpr6
	s_or_saveexec_b64 s[6:7], s[6:7]
	v_mov_b32_e32 v2, s10
	s_xor_b64 exec, exec, s[6:7]
	s_cbranch_execz .LBB33_1202
.LBB33_3252:
	v_cmp_ne_u16_e32 vcc, 0, v6
	s_andn2_b64 s[4:5], s[4:5], exec
	s_and_b64 s[8:9], vcc, exec
	v_mov_b32_e32 v2, 0
	s_or_b64 s[4:5], s[4:5], s[8:9]
	s_or_b64 exec, exec, s[6:7]
	s_and_saveexec_b64 s[6:7], s[4:5]
	s_cbranch_execnz .LBB33_1203
	s_branch .LBB33_1204
.LBB33_3253:
	s_movk_i32 s4, 0x80
	v_cmp_eq_u16_e32 vcc, s4, v6
	s_mov_b64 s[4:5], -1
                                        ; implicit-def: $sgpr10
	s_and_saveexec_b64 s[8:9], vcc
; %bb.3254:
	s_mov_b32 s10, 0x7f800001
	s_xor_b64 s[4:5], exec, -1
; %bb.3255:
	s_or_b64 exec, exec, s[8:9]
	s_and_b64 s[4:5], s[4:5], exec
                                        ; implicit-def: $vgpr6
	s_or_saveexec_b64 s[6:7], s[6:7]
	v_mov_b32_e32 v10, s10
	s_xor_b64 exec, exec, s[6:7]
	s_cbranch_execz .LBB33_1206
.LBB33_3256:
	v_cmp_ne_u16_e32 vcc, 0, v6
	s_andn2_b64 s[4:5], s[4:5], exec
	s_and_b64 s[8:9], vcc, exec
	v_mov_b32_e32 v10, 0
	s_or_b64 s[4:5], s[4:5], s[8:9]
	s_or_b64 exec, exec, s[6:7]
	s_and_saveexec_b64 s[6:7], s[4:5]
	s_cbranch_execnz .LBB33_1207
	s_branch .LBB33_1208
.LBB33_3257:
	s_movk_i32 s4, 0x80
	v_cmp_eq_u16_sdwa s[12:13], v7, s4 src0_sel:BYTE_3 src1_sel:DWORD
	s_mov_b64 s[4:5], -1
                                        ; implicit-def: $sgpr10
	s_and_saveexec_b64 s[8:9], s[12:13]
; %bb.3258:
	s_mov_b32 s10, 0x7f800001
	s_xor_b64 s[4:5], exec, -1
; %bb.3259:
	s_or_b64 exec, exec, s[8:9]
	s_and_b64 s[4:5], s[4:5], exec
	s_or_saveexec_b64 s[6:7], s[6:7]
	v_mov_b32_e32 v2, s10
	s_xor_b64 exec, exec, s[6:7]
	s_cbranch_execz .LBB33_1210
.LBB33_3260:
	v_mov_b32_e32 v2, 0
	v_cmp_ne_u16_sdwa s[8:9], v7, v2 src0_sel:BYTE_3 src1_sel:DWORD
	s_andn2_b64 s[4:5], s[4:5], exec
	s_and_b64 s[8:9], s[8:9], exec
	s_or_b64 s[4:5], s[4:5], s[8:9]
	s_or_b64 exec, exec, s[6:7]
	s_and_saveexec_b64 s[6:7], s[4:5]
	s_cbranch_execnz .LBB33_1211
	s_branch .LBB33_1212
.LBB33_3261:
	s_movk_i32 s4, 0x80
	v_cmp_eq_u16_sdwa s[12:13], v3, s4 src0_sel:BYTE_3 src1_sel:DWORD
	s_mov_b64 s[4:5], -1
                                        ; implicit-def: $sgpr10
	s_and_saveexec_b64 s[8:9], s[12:13]
; %bb.3262:
	s_mov_b32 s10, 0x7f800001
	s_xor_b64 s[4:5], exec, -1
; %bb.3263:
	s_or_b64 exec, exec, s[8:9]
	s_and_b64 s[4:5], s[4:5], exec
	s_or_saveexec_b64 s[6:7], s[6:7]
	v_mov_b32_e32 v6, s10
	s_xor_b64 exec, exec, s[6:7]
	s_cbranch_execz .LBB33_1214
.LBB33_3264:
	v_mov_b32_e32 v6, 0
	v_cmp_ne_u16_sdwa s[8:9], v3, v6 src0_sel:BYTE_3 src1_sel:DWORD
	s_andn2_b64 s[4:5], s[4:5], exec
	s_and_b64 s[8:9], s[8:9], exec
	s_or_b64 s[4:5], s[4:5], s[8:9]
	s_or_b64 exec, exec, s[6:7]
	s_and_saveexec_b64 s[6:7], s[4:5]
	s_cbranch_execnz .LBB33_1215
	s_branch .LBB33_1216
.LBB33_3265:
	s_movk_i32 s4, 0x80
	v_cmp_eq_u16_sdwa s[12:13], v8, s4 src0_sel:BYTE_0 src1_sel:DWORD
	s_mov_b64 s[4:5], -1
                                        ; implicit-def: $sgpr10
	s_and_saveexec_b64 s[8:9], s[12:13]
; %bb.3266:
	s_mov_b32 s10, 0x7f800001
	s_xor_b64 s[4:5], exec, -1
; %bb.3267:
	s_or_b64 exec, exec, s[8:9]
	s_and_b64 s[4:5], s[4:5], exec
	s_or_saveexec_b64 s[6:7], s[6:7]
	v_mov_b32_e32 v2, s10
	s_xor_b64 exec, exec, s[6:7]
	s_cbranch_execz .LBB33_1218
.LBB33_3268:
	v_mov_b32_e32 v2, 0
	v_cmp_ne_u16_sdwa s[8:9], v8, v2 src0_sel:BYTE_0 src1_sel:DWORD
	s_andn2_b64 s[4:5], s[4:5], exec
	s_and_b64 s[8:9], s[8:9], exec
	s_or_b64 s[4:5], s[4:5], s[8:9]
	s_or_b64 exec, exec, s[6:7]
	s_and_saveexec_b64 s[6:7], s[4:5]
	s_cbranch_execnz .LBB33_1219
	s_branch .LBB33_1220
.LBB33_3269:
	s_movk_i32 s4, 0x80
	v_cmp_eq_u16_sdwa s[12:13], v4, s4 src0_sel:BYTE_0 src1_sel:DWORD
	s_mov_b64 s[4:5], -1
                                        ; implicit-def: $sgpr10
	s_and_saveexec_b64 s[8:9], s[12:13]
; %bb.3270:
	s_mov_b32 s10, 0x7f800001
	s_xor_b64 s[4:5], exec, -1
; %bb.3271:
	s_or_b64 exec, exec, s[8:9]
	s_and_b64 s[4:5], s[4:5], exec
	s_or_saveexec_b64 s[6:7], s[6:7]
	v_mov_b32_e32 v3, s10
	s_xor_b64 exec, exec, s[6:7]
	s_cbranch_execz .LBB33_1222
.LBB33_3272:
	v_mov_b32_e32 v3, 0
	v_cmp_ne_u16_sdwa s[8:9], v4, v3 src0_sel:BYTE_0 src1_sel:DWORD
	s_andn2_b64 s[4:5], s[4:5], exec
	s_and_b64 s[8:9], s[8:9], exec
	s_or_b64 s[4:5], s[4:5], s[8:9]
	s_or_b64 exec, exec, s[6:7]
	s_and_saveexec_b64 s[6:7], s[4:5]
	s_cbranch_execnz .LBB33_1223
	s_branch .LBB33_1224
.LBB33_3273:
	s_movk_i32 s4, 0x80
	v_cmp_eq_u16_sdwa s[12:13], v3, s4 src0_sel:BYTE_0 src1_sel:DWORD
	s_mov_b64 s[4:5], -1
                                        ; implicit-def: $sgpr10
	s_and_saveexec_b64 s[8:9], s[12:13]
; %bb.3274:
	s_mov_b32 s10, 0x7f800001
	s_xor_b64 s[4:5], exec, -1
; %bb.3275:
	s_or_b64 exec, exec, s[8:9]
	s_and_b64 s[4:5], s[4:5], exec
	s_or_saveexec_b64 s[6:7], s[6:7]
	v_mov_b32_e32 v2, s10
	s_xor_b64 exec, exec, s[6:7]
	s_cbranch_execz .LBB33_1226
.LBB33_3276:
	v_mov_b32_e32 v2, 0
	v_cmp_ne_u16_sdwa s[8:9], v3, v2 src0_sel:BYTE_0 src1_sel:DWORD
	s_andn2_b64 s[4:5], s[4:5], exec
	s_and_b64 s[8:9], s[8:9], exec
	s_or_b64 s[4:5], s[4:5], s[8:9]
	s_or_b64 exec, exec, s[6:7]
	s_and_saveexec_b64 s[6:7], s[4:5]
	s_cbranch_execnz .LBB33_1227
	s_branch .LBB33_1228
.LBB33_3277:
	s_movk_i32 s4, 0x80
	v_cmp_eq_u16_sdwa s[12:13], v3, s4 src0_sel:BYTE_0 src1_sel:DWORD
	s_mov_b64 s[4:5], -1
                                        ; implicit-def: $sgpr10
	s_and_saveexec_b64 s[8:9], s[12:13]
; %bb.3278:
	s_mov_b32 s10, 0x7f800001
	s_xor_b64 s[4:5], exec, -1
; %bb.3279:
	s_or_b64 exec, exec, s[8:9]
	s_and_b64 s[4:5], s[4:5], exec
	s_or_saveexec_b64 s[6:7], s[6:7]
	v_mov_b32_e32 v6, s10
	s_xor_b64 exec, exec, s[6:7]
	s_cbranch_execz .LBB33_1230
.LBB33_3280:
	v_mov_b32_e32 v6, 0
	v_cmp_ne_u16_sdwa s[8:9], v3, v6 src0_sel:BYTE_0 src1_sel:DWORD
	s_andn2_b64 s[4:5], s[4:5], exec
	s_and_b64 s[8:9], s[8:9], exec
	s_or_b64 s[4:5], s[4:5], s[8:9]
	s_or_b64 exec, exec, s[6:7]
	s_and_saveexec_b64 s[6:7], s[4:5]
	s_cbranch_execnz .LBB33_1231
	s_branch .LBB33_1232
.LBB33_3281:
	s_movk_i32 s4, 0x80
	v_cmp_eq_u16_e32 vcc, s4, v3
	s_mov_b64 s[4:5], -1
                                        ; implicit-def: $sgpr10
	s_and_saveexec_b64 s[8:9], vcc
; %bb.3282:
	s_mov_b32 s10, 0x7f800001
	s_xor_b64 s[4:5], exec, -1
; %bb.3283:
	s_or_b64 exec, exec, s[8:9]
	s_and_b64 s[4:5], s[4:5], exec
                                        ; implicit-def: $vgpr3
	s_or_saveexec_b64 s[6:7], s[6:7]
	v_mov_b32_e32 v2, s10
	s_xor_b64 exec, exec, s[6:7]
	s_cbranch_execz .LBB33_1234
.LBB33_3284:
	v_cmp_ne_u16_e32 vcc, 0, v3
	s_andn2_b64 s[4:5], s[4:5], exec
	s_and_b64 s[8:9], vcc, exec
	v_mov_b32_e32 v2, 0
	s_or_b64 s[4:5], s[4:5], s[8:9]
	s_or_b64 exec, exec, s[6:7]
	s_and_saveexec_b64 s[6:7], s[4:5]
	s_cbranch_execnz .LBB33_1235
	s_branch .LBB33_1236
.LBB33_3285:
	s_movk_i32 s4, 0x80
	v_cmp_eq_u16_e32 vcc, s4, v3
	s_mov_b64 s[4:5], -1
                                        ; implicit-def: $sgpr10
	s_and_saveexec_b64 s[8:9], vcc
; %bb.3286:
	s_mov_b32 s10, 0x7f800001
	s_xor_b64 s[4:5], exec, -1
; %bb.3287:
	s_or_b64 exec, exec, s[8:9]
	s_and_b64 s[4:5], s[4:5], exec
                                        ; implicit-def: $vgpr3
	s_or_saveexec_b64 s[6:7], s[6:7]
	v_mov_b32_e32 v6, s10
	s_xor_b64 exec, exec, s[6:7]
	s_cbranch_execz .LBB33_1238
.LBB33_3288:
	v_cmp_ne_u16_e32 vcc, 0, v3
	s_andn2_b64 s[4:5], s[4:5], exec
	s_and_b64 s[8:9], vcc, exec
	v_mov_b32_e32 v6, 0
	s_or_b64 s[4:5], s[4:5], s[8:9]
	s_or_b64 exec, exec, s[6:7]
	s_and_saveexec_b64 s[6:7], s[4:5]
	s_cbranch_execnz .LBB33_1239
	s_branch .LBB33_1240
.LBB33_3289:
	s_movk_i32 s4, 0x80
	v_cmp_eq_u16_sdwa s[12:13], v8, s4 src0_sel:BYTE_3 src1_sel:DWORD
	s_mov_b64 s[4:5], -1
                                        ; implicit-def: $sgpr10
	s_and_saveexec_b64 s[8:9], s[12:13]
; %bb.3290:
	s_mov_b32 s10, 0x7f800001
	s_xor_b64 s[4:5], exec, -1
; %bb.3291:
	s_or_b64 exec, exec, s[8:9]
	s_and_b64 s[4:5], s[4:5], exec
	s_or_saveexec_b64 s[6:7], s[6:7]
	v_mov_b32_e32 v2, s10
	s_xor_b64 exec, exec, s[6:7]
	s_cbranch_execz .LBB33_1242
.LBB33_3292:
	v_mov_b32_e32 v2, 0
	v_cmp_ne_u16_sdwa s[8:9], v8, v2 src0_sel:BYTE_3 src1_sel:DWORD
	s_andn2_b64 s[4:5], s[4:5], exec
	s_and_b64 s[8:9], s[8:9], exec
	s_or_b64 s[4:5], s[4:5], s[8:9]
	s_or_b64 exec, exec, s[6:7]
	s_and_saveexec_b64 s[6:7], s[4:5]
	s_cbranch_execnz .LBB33_1243
	s_branch .LBB33_1244
.LBB33_3293:
	s_movk_i32 s4, 0x80
	v_cmp_eq_u16_sdwa s[12:13], v4, s4 src0_sel:BYTE_3 src1_sel:DWORD
	s_mov_b64 s[4:5], -1
                                        ; implicit-def: $sgpr10
	s_and_saveexec_b64 s[8:9], s[12:13]
; %bb.3294:
	s_mov_b32 s10, 0x7f800001
	s_xor_b64 s[4:5], exec, -1
; %bb.3295:
	s_or_b64 exec, exec, s[8:9]
	s_and_b64 s[4:5], s[4:5], exec
	s_or_saveexec_b64 s[6:7], s[6:7]
	v_mov_b32_e32 v3, s10
	s_xor_b64 exec, exec, s[6:7]
	s_cbranch_execz .LBB33_1246
.LBB33_3296:
	v_mov_b32_e32 v3, 0
	v_cmp_ne_u16_sdwa s[8:9], v4, v3 src0_sel:BYTE_3 src1_sel:DWORD
	s_andn2_b64 s[4:5], s[4:5], exec
	s_and_b64 s[8:9], s[8:9], exec
	s_or_b64 s[4:5], s[4:5], s[8:9]
	s_or_b64 exec, exec, s[6:7]
	s_and_saveexec_b64 s[6:7], s[4:5]
	s_cbranch_execnz .LBB33_1247
	s_branch .LBB33_1248
.LBB33_3297:
	s_movk_i32 s4, 0x80
	v_cmp_eq_u16_sdwa s[12:13], v9, s4 src0_sel:BYTE_0 src1_sel:DWORD
	s_mov_b64 s[4:5], -1
                                        ; implicit-def: $sgpr10
	s_and_saveexec_b64 s[8:9], s[12:13]
; %bb.3298:
	s_mov_b32 s10, 0x7f800001
	s_xor_b64 s[4:5], exec, -1
; %bb.3299:
	s_or_b64 exec, exec, s[8:9]
	s_and_b64 s[4:5], s[4:5], exec
	s_or_saveexec_b64 s[6:7], s[6:7]
	v_mov_b32_e32 v2, s10
	s_xor_b64 exec, exec, s[6:7]
	s_cbranch_execz .LBB33_1250
.LBB33_3300:
	v_mov_b32_e32 v2, 0
	v_cmp_ne_u16_sdwa s[8:9], v9, v2 src0_sel:BYTE_0 src1_sel:DWORD
	s_andn2_b64 s[4:5], s[4:5], exec
	s_and_b64 s[8:9], s[8:9], exec
	s_or_b64 s[4:5], s[4:5], s[8:9]
	s_or_b64 exec, exec, s[6:7]
	s_and_saveexec_b64 s[6:7], s[4:5]
	s_cbranch_execnz .LBB33_1251
	s_branch .LBB33_1252
.LBB33_3301:
	s_movk_i32 s4, 0x80
	v_cmp_eq_u16_sdwa s[12:13], v5, s4 src0_sel:BYTE_0 src1_sel:DWORD
	s_mov_b64 s[4:5], -1
                                        ; implicit-def: $sgpr10
	s_and_saveexec_b64 s[8:9], s[12:13]
; %bb.3302:
	s_mov_b32 s10, 0x7f800001
	s_xor_b64 s[4:5], exec, -1
; %bb.3303:
	s_or_b64 exec, exec, s[8:9]
	s_and_b64 s[4:5], s[4:5], exec
	s_or_saveexec_b64 s[6:7], s[6:7]
	v_mov_b32_e32 v3, s10
	s_xor_b64 exec, exec, s[6:7]
	s_cbranch_execz .LBB33_1254
.LBB33_3304:
	v_mov_b32_e32 v3, 0
	v_cmp_ne_u16_sdwa s[8:9], v5, v3 src0_sel:BYTE_0 src1_sel:DWORD
	s_andn2_b64 s[4:5], s[4:5], exec
	s_and_b64 s[8:9], s[8:9], exec
	s_or_b64 s[4:5], s[4:5], s[8:9]
	s_or_b64 exec, exec, s[6:7]
	s_and_saveexec_b64 s[6:7], s[4:5]
	s_cbranch_execnz .LBB33_1255
	s_branch .LBB33_1256
.LBB33_3305:
	s_movk_i32 s4, 0x80
	v_cmp_eq_u16_sdwa s[12:13], v3, s4 src0_sel:BYTE_0 src1_sel:DWORD
	s_mov_b64 s[4:5], -1
                                        ; implicit-def: $sgpr10
	s_and_saveexec_b64 s[8:9], s[12:13]
; %bb.3306:
	s_mov_b32 s10, 0x7f800001
	s_xor_b64 s[4:5], exec, -1
; %bb.3307:
	s_or_b64 exec, exec, s[8:9]
	s_and_b64 s[4:5], s[4:5], exec
	s_or_saveexec_b64 s[6:7], s[6:7]
	v_mov_b32_e32 v2, s10
	s_xor_b64 exec, exec, s[6:7]
	s_cbranch_execz .LBB33_1258
.LBB33_3308:
	v_mov_b32_e32 v2, 0
	v_cmp_ne_u16_sdwa s[8:9], v3, v2 src0_sel:BYTE_0 src1_sel:DWORD
	s_andn2_b64 s[4:5], s[4:5], exec
	s_and_b64 s[8:9], s[8:9], exec
	s_or_b64 s[4:5], s[4:5], s[8:9]
	s_or_b64 exec, exec, s[6:7]
	s_and_saveexec_b64 s[6:7], s[4:5]
	s_cbranch_execnz .LBB33_1259
	s_branch .LBB33_1260
.LBB33_3309:
	s_movk_i32 s4, 0x80
	v_cmp_eq_u16_sdwa s[12:13], v3, s4 src0_sel:BYTE_0 src1_sel:DWORD
	s_mov_b64 s[4:5], -1
                                        ; implicit-def: $sgpr10
	s_and_saveexec_b64 s[8:9], s[12:13]
; %bb.3310:
	s_mov_b32 s10, 0x7f800001
	s_xor_b64 s[4:5], exec, -1
; %bb.3311:
	s_or_b64 exec, exec, s[8:9]
	s_and_b64 s[4:5], s[4:5], exec
	s_or_saveexec_b64 s[6:7], s[6:7]
	v_mov_b32_e32 v4, s10
	s_xor_b64 exec, exec, s[6:7]
	s_cbranch_execz .LBB33_1262
.LBB33_3312:
	v_mov_b32_e32 v4, 0
	v_cmp_ne_u16_sdwa s[8:9], v3, v4 src0_sel:BYTE_0 src1_sel:DWORD
	s_andn2_b64 s[4:5], s[4:5], exec
	s_and_b64 s[8:9], s[8:9], exec
	s_or_b64 s[4:5], s[4:5], s[8:9]
	s_or_b64 exec, exec, s[6:7]
	s_and_saveexec_b64 s[6:7], s[4:5]
	s_cbranch_execnz .LBB33_1263
	s_branch .LBB33_1264
.LBB33_3313:
	s_movk_i32 s4, 0x80
	v_cmp_eq_u16_e32 vcc, s4, v3
	s_mov_b64 s[4:5], -1
                                        ; implicit-def: $sgpr10
	s_and_saveexec_b64 s[8:9], vcc
; %bb.3314:
	s_mov_b32 s10, 0x7f800001
	s_xor_b64 s[4:5], exec, -1
; %bb.3315:
	s_or_b64 exec, exec, s[8:9]
	s_and_b64 s[4:5], s[4:5], exec
                                        ; implicit-def: $vgpr3
	s_or_saveexec_b64 s[6:7], s[6:7]
	v_mov_b32_e32 v2, s10
	s_xor_b64 exec, exec, s[6:7]
	s_cbranch_execz .LBB33_1266
.LBB33_3316:
	v_cmp_ne_u16_e32 vcc, 0, v3
	s_andn2_b64 s[4:5], s[4:5], exec
	s_and_b64 s[8:9], vcc, exec
	v_mov_b32_e32 v2, 0
	s_or_b64 s[4:5], s[4:5], s[8:9]
	s_or_b64 exec, exec, s[6:7]
	s_and_saveexec_b64 s[6:7], s[4:5]
	s_cbranch_execnz .LBB33_1267
	s_branch .LBB33_1268
.LBB33_3317:
	s_movk_i32 s4, 0x80
	v_cmp_eq_u16_e32 vcc, s4, v3
	s_mov_b64 s[4:5], -1
                                        ; implicit-def: $sgpr10
	s_and_saveexec_b64 s[8:9], vcc
; %bb.3318:
	s_mov_b32 s10, 0x7f800001
	s_xor_b64 s[4:5], exec, -1
; %bb.3319:
	s_or_b64 exec, exec, s[8:9]
	s_and_b64 s[4:5], s[4:5], exec
                                        ; implicit-def: $vgpr3
	s_or_saveexec_b64 s[6:7], s[6:7]
	v_mov_b32_e32 v4, s10
	s_xor_b64 exec, exec, s[6:7]
	s_cbranch_execz .LBB33_1270
.LBB33_3320:
	v_cmp_ne_u16_e32 vcc, 0, v3
	s_andn2_b64 s[4:5], s[4:5], exec
	s_and_b64 s[8:9], vcc, exec
	v_mov_b32_e32 v4, 0
	s_or_b64 s[4:5], s[4:5], s[8:9]
	s_or_b64 exec, exec, s[6:7]
	s_and_saveexec_b64 s[6:7], s[4:5]
	s_cbranch_execnz .LBB33_1271
	s_branch .LBB33_1272
.LBB33_3321:
	s_movk_i32 s4, 0x80
	v_cmp_eq_u16_sdwa s[12:13], v9, s4 src0_sel:BYTE_3 src1_sel:DWORD
	s_mov_b64 s[4:5], -1
                                        ; implicit-def: $sgpr10
	s_and_saveexec_b64 s[8:9], s[12:13]
; %bb.3322:
	s_mov_b32 s10, 0x7f800001
	s_xor_b64 s[4:5], exec, -1
; %bb.3323:
	s_or_b64 exec, exec, s[8:9]
	s_and_b64 s[4:5], s[4:5], exec
	s_or_saveexec_b64 s[6:7], s[6:7]
	v_mov_b32_e32 v2, s10
	s_xor_b64 exec, exec, s[6:7]
	s_cbranch_execz .LBB33_1274
.LBB33_3324:
	v_mov_b32_e32 v2, 0
	v_cmp_ne_u16_sdwa s[8:9], v9, v2 src0_sel:BYTE_3 src1_sel:DWORD
	s_andn2_b64 s[4:5], s[4:5], exec
	s_and_b64 s[8:9], s[8:9], exec
	s_or_b64 s[4:5], s[4:5], s[8:9]
	s_or_b64 exec, exec, s[6:7]
	s_and_saveexec_b64 s[6:7], s[4:5]
	s_cbranch_execnz .LBB33_1275
	s_branch .LBB33_1276
.LBB33_3325:
	s_movk_i32 s4, 0x80
	v_cmp_eq_u16_sdwa s[12:13], v5, s4 src0_sel:BYTE_3 src1_sel:DWORD
	s_mov_b64 s[4:5], -1
                                        ; implicit-def: $sgpr10
	s_and_saveexec_b64 s[8:9], s[12:13]
; %bb.3326:
	s_mov_b32 s10, 0x7f800001
	s_xor_b64 s[4:5], exec, -1
; %bb.3327:
	s_or_b64 exec, exec, s[8:9]
	s_and_b64 s[4:5], s[4:5], exec
	s_or_saveexec_b64 s[6:7], s[6:7]
	v_mov_b32_e32 v3, s10
	s_xor_b64 exec, exec, s[6:7]
	s_cbranch_execz .LBB33_1278
.LBB33_3328:
	v_mov_b32_e32 v3, 0
	v_cmp_ne_u16_sdwa s[8:9], v5, v3 src0_sel:BYTE_3 src1_sel:DWORD
	s_andn2_b64 s[4:5], s[4:5], exec
	s_and_b64 s[8:9], s[8:9], exec
	s_or_b64 s[4:5], s[4:5], s[8:9]
	s_or_b64 exec, exec, s[6:7]
	s_and_saveexec_b64 s[6:7], s[4:5]
	s_cbranch_execnz .LBB33_1279
	s_branch .LBB33_1280
.LBB33_3329:
	s_movk_i32 s4, 0x80
	v_cmp_eq_u16_sdwa s[12:13], v14, s4 src0_sel:BYTE_0 src1_sel:DWORD
	s_mov_b64 s[4:5], -1
                                        ; implicit-def: $sgpr10
	s_and_saveexec_b64 s[8:9], s[12:13]
; %bb.3330:
	s_mov_b32 s10, 0x7f800001
	s_xor_b64 s[4:5], exec, -1
; %bb.3331:
	s_or_b64 exec, exec, s[8:9]
	s_and_b64 s[4:5], s[4:5], exec
	s_or_saveexec_b64 s[6:7], s[6:7]
	v_mov_b32_e32 v20, s10
	s_xor_b64 exec, exec, s[6:7]
	s_cbranch_execz .LBB33_1282
.LBB33_3332:
	v_mov_b32_e32 v20, 0
	v_cmp_ne_u16_sdwa s[8:9], v14, v20 src0_sel:BYTE_0 src1_sel:DWORD
	s_andn2_b64 s[4:5], s[4:5], exec
	s_and_b64 s[8:9], s[8:9], exec
	s_or_b64 s[4:5], s[4:5], s[8:9]
	s_or_b64 exec, exec, s[6:7]
	s_and_saveexec_b64 s[6:7], s[4:5]
	s_cbranch_execnz .LBB33_1283
	s_branch .LBB33_1284
.LBB33_3333:
	s_movk_i32 s4, 0x80
	v_cmp_eq_u16_sdwa s[12:13], v10, s4 src0_sel:BYTE_0 src1_sel:DWORD
	s_mov_b64 s[4:5], -1
                                        ; implicit-def: $sgpr10
	s_and_saveexec_b64 s[8:9], s[12:13]
; %bb.3334:
	s_mov_b32 s10, 0x7f800001
	s_xor_b64 s[4:5], exec, -1
; %bb.3335:
	s_or_b64 exec, exec, s[8:9]
	s_and_b64 s[4:5], s[4:5], exec
	s_or_saveexec_b64 s[6:7], s[6:7]
	v_mov_b32_e32 v21, s10
	s_xor_b64 exec, exec, s[6:7]
	s_cbranch_execz .LBB33_1286
.LBB33_3336:
	v_mov_b32_e32 v21, 0
	v_cmp_ne_u16_sdwa s[8:9], v10, v21 src0_sel:BYTE_0 src1_sel:DWORD
	s_andn2_b64 s[4:5], s[4:5], exec
	s_and_b64 s[8:9], s[8:9], exec
	s_or_b64 s[4:5], s[4:5], s[8:9]
	s_or_b64 exec, exec, s[6:7]
	s_and_saveexec_b64 s[6:7], s[4:5]
	s_cbranch_execnz .LBB33_1287
	s_branch .LBB33_1288
.LBB33_3337:
	s_movk_i32 s4, 0x80
	v_cmp_eq_u16_sdwa s[12:13], v21, s4 src0_sel:BYTE_0 src1_sel:DWORD
	s_mov_b64 s[4:5], -1
                                        ; implicit-def: $sgpr10
	s_and_saveexec_b64 s[8:9], s[12:13]
; %bb.3338:
	s_mov_b32 s10, 0x7f800001
	s_xor_b64 s[4:5], exec, -1
; %bb.3339:
	s_or_b64 exec, exec, s[8:9]
	s_and_b64 s[4:5], s[4:5], exec
	s_or_saveexec_b64 s[6:7], s[6:7]
	v_mov_b32_e32 v20, s10
	s_xor_b64 exec, exec, s[6:7]
	s_cbranch_execz .LBB33_1290
.LBB33_3340:
	v_mov_b32_e32 v20, 0
	v_cmp_ne_u16_sdwa s[8:9], v21, v20 src0_sel:BYTE_0 src1_sel:DWORD
	s_andn2_b64 s[4:5], s[4:5], exec
	s_and_b64 s[8:9], s[8:9], exec
	s_or_b64 s[4:5], s[4:5], s[8:9]
	s_or_b64 exec, exec, s[6:7]
	s_and_saveexec_b64 s[6:7], s[4:5]
	s_cbranch_execnz .LBB33_1291
	s_branch .LBB33_1292
.LBB33_3341:
	s_movk_i32 s4, 0x80
	v_cmp_eq_u16_sdwa s[12:13], v21, s4 src0_sel:BYTE_0 src1_sel:DWORD
	s_mov_b64 s[4:5], -1
                                        ; implicit-def: $sgpr10
	s_and_saveexec_b64 s[8:9], s[12:13]
; %bb.3342:
	s_mov_b32 s10, 0x7f800001
	s_xor_b64 s[4:5], exec, -1
; %bb.3343:
	s_or_b64 exec, exec, s[8:9]
	s_and_b64 s[4:5], s[4:5], exec
	s_or_saveexec_b64 s[6:7], s[6:7]
	v_mov_b32_e32 v22, s10
	s_xor_b64 exec, exec, s[6:7]
	s_cbranch_execz .LBB33_1294
.LBB33_3344:
	v_mov_b32_e32 v22, 0
	v_cmp_ne_u16_sdwa s[8:9], v21, v22 src0_sel:BYTE_0 src1_sel:DWORD
	s_andn2_b64 s[4:5], s[4:5], exec
	s_and_b64 s[8:9], s[8:9], exec
	s_or_b64 s[4:5], s[4:5], s[8:9]
	s_or_b64 exec, exec, s[6:7]
	s_and_saveexec_b64 s[6:7], s[4:5]
	s_cbranch_execnz .LBB33_1295
	s_branch .LBB33_1296
.LBB33_3345:
	s_movk_i32 s4, 0x80
	v_cmp_eq_u16_e32 vcc, s4, v21
	s_mov_b64 s[4:5], -1
                                        ; implicit-def: $sgpr10
	s_and_saveexec_b64 s[8:9], vcc
; %bb.3346:
	s_mov_b32 s10, 0x7f800001
	s_xor_b64 s[4:5], exec, -1
; %bb.3347:
	s_or_b64 exec, exec, s[8:9]
	s_and_b64 s[4:5], s[4:5], exec
                                        ; implicit-def: $vgpr21
	s_or_saveexec_b64 s[6:7], s[6:7]
	v_mov_b32_e32 v20, s10
	s_xor_b64 exec, exec, s[6:7]
	s_cbranch_execz .LBB33_1298
.LBB33_3348:
	v_cmp_ne_u16_e32 vcc, 0, v21
	s_andn2_b64 s[4:5], s[4:5], exec
	s_and_b64 s[8:9], vcc, exec
	v_mov_b32_e32 v20, 0
	s_or_b64 s[4:5], s[4:5], s[8:9]
	s_or_b64 exec, exec, s[6:7]
	s_and_saveexec_b64 s[6:7], s[4:5]
	s_cbranch_execnz .LBB33_1299
	s_branch .LBB33_1300
.LBB33_3349:
	s_movk_i32 s4, 0x80
	v_cmp_eq_u16_e32 vcc, s4, v21
	s_mov_b64 s[4:5], -1
                                        ; implicit-def: $sgpr10
	s_and_saveexec_b64 s[8:9], vcc
; %bb.3350:
	s_mov_b32 s10, 0x7f800001
	s_xor_b64 s[4:5], exec, -1
; %bb.3351:
	s_or_b64 exec, exec, s[8:9]
	s_and_b64 s[4:5], s[4:5], exec
                                        ; implicit-def: $vgpr21
	s_or_saveexec_b64 s[6:7], s[6:7]
	v_mov_b32_e32 v22, s10
	s_xor_b64 exec, exec, s[6:7]
	s_cbranch_execz .LBB33_1302
.LBB33_3352:
	v_cmp_ne_u16_e32 vcc, 0, v21
	s_andn2_b64 s[4:5], s[4:5], exec
	s_and_b64 s[8:9], vcc, exec
	v_mov_b32_e32 v22, 0
	s_or_b64 s[4:5], s[4:5], s[8:9]
	s_or_b64 exec, exec, s[6:7]
	s_and_saveexec_b64 s[6:7], s[4:5]
	s_cbranch_execnz .LBB33_1303
	s_branch .LBB33_1304
.LBB33_3353:
	s_movk_i32 s4, 0x80
	v_cmp_eq_u16_sdwa s[12:13], v14, s4 src0_sel:BYTE_3 src1_sel:DWORD
	s_mov_b64 s[4:5], -1
                                        ; implicit-def: $sgpr10
	s_and_saveexec_b64 s[8:9], s[12:13]
; %bb.3354:
	s_mov_b32 s10, 0x7f800001
	s_xor_b64 s[4:5], exec, -1
; %bb.3355:
	s_or_b64 exec, exec, s[8:9]
	s_and_b64 s[4:5], s[4:5], exec
	s_or_saveexec_b64 s[6:7], s[6:7]
	v_mov_b32_e32 v20, s10
	s_xor_b64 exec, exec, s[6:7]
	s_cbranch_execz .LBB33_1306
.LBB33_3356:
	v_mov_b32_e32 v20, 0
	v_cmp_ne_u16_sdwa s[8:9], v14, v20 src0_sel:BYTE_3 src1_sel:DWORD
	s_andn2_b64 s[4:5], s[4:5], exec
	s_and_b64 s[8:9], s[8:9], exec
	s_or_b64 s[4:5], s[4:5], s[8:9]
	s_or_b64 exec, exec, s[6:7]
	s_and_saveexec_b64 s[6:7], s[4:5]
	s_cbranch_execnz .LBB33_1307
	s_branch .LBB33_1308
.LBB33_3357:
	s_movk_i32 s4, 0x80
	v_cmp_eq_u16_sdwa s[12:13], v10, s4 src0_sel:BYTE_3 src1_sel:DWORD
	s_mov_b64 s[4:5], -1
                                        ; implicit-def: $sgpr10
	s_and_saveexec_b64 s[8:9], s[12:13]
; %bb.3358:
	s_mov_b32 s10, 0x7f800001
	s_xor_b64 s[4:5], exec, -1
; %bb.3359:
	s_or_b64 exec, exec, s[8:9]
	s_and_b64 s[4:5], s[4:5], exec
	s_or_saveexec_b64 s[6:7], s[6:7]
	v_mov_b32_e32 v14, s10
	s_xor_b64 exec, exec, s[6:7]
	s_cbranch_execz .LBB33_1310
.LBB33_3360:
	v_mov_b32_e32 v14, 0
	v_cmp_ne_u16_sdwa s[8:9], v10, v14 src0_sel:BYTE_3 src1_sel:DWORD
	s_andn2_b64 s[4:5], s[4:5], exec
	s_and_b64 s[8:9], s[8:9], exec
	s_or_b64 s[4:5], s[4:5], s[8:9]
	s_or_b64 exec, exec, s[6:7]
	s_and_saveexec_b64 s[6:7], s[4:5]
	s_cbranch_execnz .LBB33_1311
	s_branch .LBB33_1312
.LBB33_3361:
	s_movk_i32 s4, 0x80
	v_cmp_eq_u16_sdwa s[12:13], v15, s4 src0_sel:BYTE_0 src1_sel:DWORD
	s_mov_b64 s[4:5], -1
                                        ; implicit-def: $sgpr10
	s_and_saveexec_b64 s[8:9], s[12:13]
; %bb.3362:
	s_mov_b32 s10, 0x7f800001
	s_xor_b64 s[4:5], exec, -1
; %bb.3363:
	s_or_b64 exec, exec, s[8:9]
	s_and_b64 s[4:5], s[4:5], exec
	s_or_saveexec_b64 s[6:7], s[6:7]
	v_mov_b32_e32 v10, s10
	s_xor_b64 exec, exec, s[6:7]
	s_cbranch_execz .LBB33_1314
.LBB33_3364:
	v_mov_b32_e32 v10, 0
	v_cmp_ne_u16_sdwa s[8:9], v15, v10 src0_sel:BYTE_0 src1_sel:DWORD
	s_andn2_b64 s[4:5], s[4:5], exec
	s_and_b64 s[8:9], s[8:9], exec
	s_or_b64 s[4:5], s[4:5], s[8:9]
	s_or_b64 exec, exec, s[6:7]
	s_and_saveexec_b64 s[6:7], s[4:5]
	s_cbranch_execnz .LBB33_1315
	s_branch .LBB33_1316
.LBB33_3365:
	s_movk_i32 s4, 0x80
	v_cmp_eq_u16_sdwa s[12:13], v11, s4 src0_sel:BYTE_0 src1_sel:DWORD
	s_mov_b64 s[4:5], -1
                                        ; implicit-def: $sgpr10
	s_and_saveexec_b64 s[8:9], s[12:13]
; %bb.3366:
	s_mov_b32 s10, 0x7f800001
	s_xor_b64 s[4:5], exec, -1
; %bb.3367:
	s_or_b64 exec, exec, s[8:9]
	s_and_b64 s[4:5], s[4:5], exec
	s_or_saveexec_b64 s[6:7], s[6:7]
	v_mov_b32_e32 v14, s10
	s_xor_b64 exec, exec, s[6:7]
	s_cbranch_execz .LBB33_1318
.LBB33_3368:
	v_mov_b32_e32 v14, 0
	v_cmp_ne_u16_sdwa s[8:9], v11, v14 src0_sel:BYTE_0 src1_sel:DWORD
	s_andn2_b64 s[4:5], s[4:5], exec
	s_and_b64 s[8:9], s[8:9], exec
	s_or_b64 s[4:5], s[4:5], s[8:9]
	s_or_b64 exec, exec, s[6:7]
	s_and_saveexec_b64 s[6:7], s[4:5]
	s_cbranch_execnz .LBB33_1319
	s_branch .LBB33_1320
.LBB33_3369:
	s_movk_i32 s4, 0x80
	v_cmp_eq_u16_sdwa s[12:13], v14, s4 src0_sel:BYTE_0 src1_sel:DWORD
	s_mov_b64 s[4:5], -1
                                        ; implicit-def: $sgpr10
	s_and_saveexec_b64 s[8:9], s[12:13]
; %bb.3370:
	s_mov_b32 s10, 0x7f800001
	s_xor_b64 s[4:5], exec, -1
; %bb.3371:
	s_or_b64 exec, exec, s[8:9]
	s_and_b64 s[4:5], s[4:5], exec
	s_or_saveexec_b64 s[6:7], s[6:7]
	v_mov_b32_e32 v10, s10
	s_xor_b64 exec, exec, s[6:7]
	s_cbranch_execz .LBB33_1322
.LBB33_3372:
	v_mov_b32_e32 v10, 0
	v_cmp_ne_u16_sdwa s[8:9], v14, v10 src0_sel:BYTE_0 src1_sel:DWORD
	s_andn2_b64 s[4:5], s[4:5], exec
	s_and_b64 s[8:9], s[8:9], exec
	s_or_b64 s[4:5], s[4:5], s[8:9]
	s_or_b64 exec, exec, s[6:7]
	s_and_saveexec_b64 s[6:7], s[4:5]
	s_cbranch_execnz .LBB33_1323
	s_branch .LBB33_1324
.LBB33_3373:
	s_movk_i32 s4, 0x80
	v_cmp_eq_u16_sdwa s[12:13], v14, s4 src0_sel:BYTE_0 src1_sel:DWORD
	s_mov_b64 s[4:5], -1
                                        ; implicit-def: $sgpr10
	s_and_saveexec_b64 s[8:9], s[12:13]
; %bb.3374:
	s_mov_b32 s10, 0x7f800001
	s_xor_b64 s[4:5], exec, -1
; %bb.3375:
	s_or_b64 exec, exec, s[8:9]
	s_and_b64 s[4:5], s[4:5], exec
	s_or_saveexec_b64 s[6:7], s[6:7]
	v_mov_b32_e32 v20, s10
	s_xor_b64 exec, exec, s[6:7]
	s_cbranch_execz .LBB33_1326
.LBB33_3376:
	v_mov_b32_e32 v20, 0
	v_cmp_ne_u16_sdwa s[8:9], v14, v20 src0_sel:BYTE_0 src1_sel:DWORD
	s_andn2_b64 s[4:5], s[4:5], exec
	s_and_b64 s[8:9], s[8:9], exec
	s_or_b64 s[4:5], s[4:5], s[8:9]
	s_or_b64 exec, exec, s[6:7]
	s_and_saveexec_b64 s[6:7], s[4:5]
	s_cbranch_execnz .LBB33_1327
	s_branch .LBB33_1328
.LBB33_3377:
	s_movk_i32 s4, 0x80
	v_cmp_eq_u16_e32 vcc, s4, v14
	s_mov_b64 s[4:5], -1
                                        ; implicit-def: $sgpr10
	s_and_saveexec_b64 s[8:9], vcc
; %bb.3378:
	s_mov_b32 s10, 0x7f800001
	s_xor_b64 s[4:5], exec, -1
; %bb.3379:
	s_or_b64 exec, exec, s[8:9]
	s_and_b64 s[4:5], s[4:5], exec
                                        ; implicit-def: $vgpr14
	s_or_saveexec_b64 s[6:7], s[6:7]
	v_mov_b32_e32 v10, s10
	s_xor_b64 exec, exec, s[6:7]
	s_cbranch_execz .LBB33_1330
.LBB33_3380:
	v_cmp_ne_u16_e32 vcc, 0, v14
	s_andn2_b64 s[4:5], s[4:5], exec
	s_and_b64 s[8:9], vcc, exec
	v_mov_b32_e32 v10, 0
	s_or_b64 s[4:5], s[4:5], s[8:9]
	s_or_b64 exec, exec, s[6:7]
	s_and_saveexec_b64 s[6:7], s[4:5]
	s_cbranch_execnz .LBB33_1331
	s_branch .LBB33_1332
.LBB33_3381:
	s_movk_i32 s4, 0x80
	v_cmp_eq_u16_e32 vcc, s4, v14
	s_mov_b64 s[4:5], -1
                                        ; implicit-def: $sgpr10
	s_and_saveexec_b64 s[8:9], vcc
; %bb.3382:
	s_mov_b32 s10, 0x7f800001
	s_xor_b64 s[4:5], exec, -1
; %bb.3383:
	s_or_b64 exec, exec, s[8:9]
	s_and_b64 s[4:5], s[4:5], exec
                                        ; implicit-def: $vgpr14
	s_or_saveexec_b64 s[6:7], s[6:7]
	v_mov_b32_e32 v20, s10
	s_xor_b64 exec, exec, s[6:7]
	s_cbranch_execz .LBB33_1334
.LBB33_3384:
	v_cmp_ne_u16_e32 vcc, 0, v14
	s_andn2_b64 s[4:5], s[4:5], exec
	s_and_b64 s[8:9], vcc, exec
	v_mov_b32_e32 v20, 0
	s_or_b64 s[4:5], s[4:5], s[8:9]
	s_or_b64 exec, exec, s[6:7]
	s_and_saveexec_b64 s[6:7], s[4:5]
	s_cbranch_execnz .LBB33_1335
	s_branch .LBB33_1336
.LBB33_3385:
	s_movk_i32 s4, 0x80
	v_cmp_eq_u16_sdwa s[12:13], v15, s4 src0_sel:BYTE_3 src1_sel:DWORD
	s_mov_b64 s[4:5], -1
                                        ; implicit-def: $sgpr10
	s_and_saveexec_b64 s[8:9], s[12:13]
; %bb.3386:
	s_mov_b32 s10, 0x7f800001
	s_xor_b64 s[4:5], exec, -1
; %bb.3387:
	s_or_b64 exec, exec, s[8:9]
	s_and_b64 s[4:5], s[4:5], exec
	s_or_saveexec_b64 s[6:7], s[6:7]
	v_mov_b32_e32 v10, s10
	s_xor_b64 exec, exec, s[6:7]
	s_cbranch_execz .LBB33_1338
.LBB33_3388:
	v_mov_b32_e32 v10, 0
	v_cmp_ne_u16_sdwa s[8:9], v15, v10 src0_sel:BYTE_3 src1_sel:DWORD
	s_andn2_b64 s[4:5], s[4:5], exec
	s_and_b64 s[8:9], s[8:9], exec
	s_or_b64 s[4:5], s[4:5], s[8:9]
	s_or_b64 exec, exec, s[6:7]
	s_and_saveexec_b64 s[6:7], s[4:5]
	s_cbranch_execnz .LBB33_1339
	s_branch .LBB33_1340
.LBB33_3389:
	s_movk_i32 s4, 0x80
	v_cmp_eq_u16_sdwa s[12:13], v11, s4 src0_sel:BYTE_3 src1_sel:DWORD
	s_mov_b64 s[4:5], -1
                                        ; implicit-def: $sgpr10
	s_and_saveexec_b64 s[8:9], s[12:13]
; %bb.3390:
	s_mov_b32 s10, 0x7f800001
	s_xor_b64 s[4:5], exec, -1
; %bb.3391:
	s_or_b64 exec, exec, s[8:9]
	s_and_b64 s[4:5], s[4:5], exec
	s_or_saveexec_b64 s[6:7], s[6:7]
	v_mov_b32_e32 v14, s10
	s_xor_b64 exec, exec, s[6:7]
	s_cbranch_execz .LBB33_1342
.LBB33_3392:
	v_mov_b32_e32 v14, 0
	v_cmp_ne_u16_sdwa s[8:9], v11, v14 src0_sel:BYTE_3 src1_sel:DWORD
	s_andn2_b64 s[4:5], s[4:5], exec
	s_and_b64 s[8:9], s[8:9], exec
	s_or_b64 s[4:5], s[4:5], s[8:9]
	s_or_b64 exec, exec, s[6:7]
	s_and_saveexec_b64 s[6:7], s[4:5]
	s_cbranch_execnz .LBB33_1343
	s_branch .LBB33_1344
.LBB33_3393:
	s_movk_i32 s4, 0x80
	v_cmp_eq_u16_sdwa s[12:13], v16, s4 src0_sel:BYTE_0 src1_sel:DWORD
	s_mov_b64 s[4:5], -1
                                        ; implicit-def: $sgpr10
	s_and_saveexec_b64 s[8:9], s[12:13]
; %bb.3394:
	s_mov_b32 s10, 0x7f800001
	s_xor_b64 s[4:5], exec, -1
; %bb.3395:
	s_or_b64 exec, exec, s[8:9]
	s_and_b64 s[4:5], s[4:5], exec
	s_or_saveexec_b64 s[6:7], s[6:7]
	v_mov_b32_e32 v10, s10
	s_xor_b64 exec, exec, s[6:7]
	s_cbranch_execz .LBB33_1346
.LBB33_3396:
	v_mov_b32_e32 v10, 0
	v_cmp_ne_u16_sdwa s[8:9], v16, v10 src0_sel:BYTE_0 src1_sel:DWORD
	s_andn2_b64 s[4:5], s[4:5], exec
	s_and_b64 s[8:9], s[8:9], exec
	s_or_b64 s[4:5], s[4:5], s[8:9]
	s_or_b64 exec, exec, s[6:7]
	s_and_saveexec_b64 s[6:7], s[4:5]
	s_cbranch_execnz .LBB33_1347
	s_branch .LBB33_1348
.LBB33_3397:
	s_movk_i32 s4, 0x80
	v_cmp_eq_u16_sdwa s[12:13], v12, s4 src0_sel:BYTE_0 src1_sel:DWORD
	s_mov_b64 s[4:5], -1
                                        ; implicit-def: $sgpr10
	s_and_saveexec_b64 s[8:9], s[12:13]
; %bb.3398:
	s_mov_b32 s10, 0x7f800001
	s_xor_b64 s[4:5], exec, -1
; %bb.3399:
	s_or_b64 exec, exec, s[8:9]
	s_and_b64 s[4:5], s[4:5], exec
	s_or_saveexec_b64 s[6:7], s[6:7]
	v_mov_b32_e32 v11, s10
	s_xor_b64 exec, exec, s[6:7]
	s_cbranch_execz .LBB33_1350
.LBB33_3400:
	v_mov_b32_e32 v11, 0
	v_cmp_ne_u16_sdwa s[8:9], v12, v11 src0_sel:BYTE_0 src1_sel:DWORD
	s_andn2_b64 s[4:5], s[4:5], exec
	s_and_b64 s[8:9], s[8:9], exec
	s_or_b64 s[4:5], s[4:5], s[8:9]
	s_or_b64 exec, exec, s[6:7]
	s_and_saveexec_b64 s[6:7], s[4:5]
	s_cbranch_execnz .LBB33_1351
	s_branch .LBB33_1352
.LBB33_3401:
	s_movk_i32 s4, 0x80
	v_cmp_eq_u16_sdwa s[12:13], v11, s4 src0_sel:BYTE_0 src1_sel:DWORD
	s_mov_b64 s[4:5], -1
                                        ; implicit-def: $sgpr10
	s_and_saveexec_b64 s[8:9], s[12:13]
; %bb.3402:
	s_mov_b32 s10, 0x7f800001
	s_xor_b64 s[4:5], exec, -1
; %bb.3403:
	s_or_b64 exec, exec, s[8:9]
	s_and_b64 s[4:5], s[4:5], exec
	s_or_saveexec_b64 s[6:7], s[6:7]
	v_mov_b32_e32 v10, s10
	s_xor_b64 exec, exec, s[6:7]
	s_cbranch_execz .LBB33_1354
.LBB33_3404:
	v_mov_b32_e32 v10, 0
	v_cmp_ne_u16_sdwa s[8:9], v11, v10 src0_sel:BYTE_0 src1_sel:DWORD
	s_andn2_b64 s[4:5], s[4:5], exec
	s_and_b64 s[8:9], s[8:9], exec
	s_or_b64 s[4:5], s[4:5], s[8:9]
	s_or_b64 exec, exec, s[6:7]
	s_and_saveexec_b64 s[6:7], s[4:5]
	s_cbranch_execnz .LBB33_1355
	s_branch .LBB33_1356
.LBB33_3405:
	s_movk_i32 s4, 0x80
	v_cmp_eq_u16_sdwa s[12:13], v11, s4 src0_sel:BYTE_0 src1_sel:DWORD
	s_mov_b64 s[4:5], -1
                                        ; implicit-def: $sgpr10
	s_and_saveexec_b64 s[8:9], s[12:13]
; %bb.3406:
	s_mov_b32 s10, 0x7f800001
	s_xor_b64 s[4:5], exec, -1
; %bb.3407:
	s_or_b64 exec, exec, s[8:9]
	s_and_b64 s[4:5], s[4:5], exec
	s_or_saveexec_b64 s[6:7], s[6:7]
	v_mov_b32_e32 v14, s10
	s_xor_b64 exec, exec, s[6:7]
	s_cbranch_execz .LBB33_1358
.LBB33_3408:
	v_mov_b32_e32 v14, 0
	v_cmp_ne_u16_sdwa s[8:9], v11, v14 src0_sel:BYTE_0 src1_sel:DWORD
	s_andn2_b64 s[4:5], s[4:5], exec
	s_and_b64 s[8:9], s[8:9], exec
	s_or_b64 s[4:5], s[4:5], s[8:9]
	s_or_b64 exec, exec, s[6:7]
	s_and_saveexec_b64 s[6:7], s[4:5]
	s_cbranch_execnz .LBB33_1359
	s_branch .LBB33_1360
.LBB33_3409:
	s_movk_i32 s4, 0x80
	v_cmp_eq_u16_e32 vcc, s4, v11
	s_mov_b64 s[4:5], -1
                                        ; implicit-def: $sgpr10
	s_and_saveexec_b64 s[8:9], vcc
; %bb.3410:
	s_mov_b32 s10, 0x7f800001
	s_xor_b64 s[4:5], exec, -1
; %bb.3411:
	s_or_b64 exec, exec, s[8:9]
	s_and_b64 s[4:5], s[4:5], exec
                                        ; implicit-def: $vgpr11
	s_or_saveexec_b64 s[6:7], s[6:7]
	v_mov_b32_e32 v10, s10
	s_xor_b64 exec, exec, s[6:7]
	s_cbranch_execz .LBB33_1362
.LBB33_3412:
	v_cmp_ne_u16_e32 vcc, 0, v11
	s_andn2_b64 s[4:5], s[4:5], exec
	s_and_b64 s[8:9], vcc, exec
	v_mov_b32_e32 v10, 0
	s_or_b64 s[4:5], s[4:5], s[8:9]
	s_or_b64 exec, exec, s[6:7]
	s_and_saveexec_b64 s[6:7], s[4:5]
	s_cbranch_execnz .LBB33_1363
	s_branch .LBB33_1364
.LBB33_3413:
	s_movk_i32 s4, 0x80
	v_cmp_eq_u16_e32 vcc, s4, v11
	s_mov_b64 s[4:5], -1
                                        ; implicit-def: $sgpr10
	s_and_saveexec_b64 s[8:9], vcc
; %bb.3414:
	s_mov_b32 s10, 0x7f800001
	s_xor_b64 s[4:5], exec, -1
; %bb.3415:
	s_or_b64 exec, exec, s[8:9]
	s_and_b64 s[4:5], s[4:5], exec
                                        ; implicit-def: $vgpr11
	s_or_saveexec_b64 s[6:7], s[6:7]
	v_mov_b32_e32 v14, s10
	s_xor_b64 exec, exec, s[6:7]
	s_cbranch_execz .LBB33_1366
.LBB33_3416:
	v_cmp_ne_u16_e32 vcc, 0, v11
	s_andn2_b64 s[4:5], s[4:5], exec
	s_and_b64 s[8:9], vcc, exec
	v_mov_b32_e32 v14, 0
	s_or_b64 s[4:5], s[4:5], s[8:9]
	s_or_b64 exec, exec, s[6:7]
	s_and_saveexec_b64 s[6:7], s[4:5]
	s_cbranch_execnz .LBB33_1367
	s_branch .LBB33_1368
.LBB33_3417:
	s_movk_i32 s4, 0x80
	v_cmp_eq_u16_sdwa s[12:13], v16, s4 src0_sel:BYTE_3 src1_sel:DWORD
	s_mov_b64 s[4:5], -1
                                        ; implicit-def: $sgpr10
	s_and_saveexec_b64 s[8:9], s[12:13]
; %bb.3418:
	s_mov_b32 s10, 0x7f800001
	s_xor_b64 s[4:5], exec, -1
; %bb.3419:
	s_or_b64 exec, exec, s[8:9]
	s_and_b64 s[4:5], s[4:5], exec
	s_or_saveexec_b64 s[6:7], s[6:7]
	v_mov_b32_e32 v10, s10
	s_xor_b64 exec, exec, s[6:7]
	s_cbranch_execz .LBB33_1370
.LBB33_3420:
	v_mov_b32_e32 v10, 0
	v_cmp_ne_u16_sdwa s[8:9], v16, v10 src0_sel:BYTE_3 src1_sel:DWORD
	s_andn2_b64 s[4:5], s[4:5], exec
	s_and_b64 s[8:9], s[8:9], exec
	s_or_b64 s[4:5], s[4:5], s[8:9]
	s_or_b64 exec, exec, s[6:7]
	s_and_saveexec_b64 s[6:7], s[4:5]
	s_cbranch_execnz .LBB33_1371
	s_branch .LBB33_1372
.LBB33_3421:
	s_movk_i32 s4, 0x80
	v_cmp_eq_u16_sdwa s[12:13], v12, s4 src0_sel:BYTE_3 src1_sel:DWORD
	s_mov_b64 s[4:5], -1
                                        ; implicit-def: $sgpr10
	s_and_saveexec_b64 s[8:9], s[12:13]
; %bb.3422:
	s_mov_b32 s10, 0x7f800001
	s_xor_b64 s[4:5], exec, -1
; %bb.3423:
	s_or_b64 exec, exec, s[8:9]
	s_and_b64 s[4:5], s[4:5], exec
	s_or_saveexec_b64 s[6:7], s[6:7]
	v_mov_b32_e32 v11, s10
	s_xor_b64 exec, exec, s[6:7]
	s_cbranch_execz .LBB33_1374
.LBB33_3424:
	v_mov_b32_e32 v11, 0
	v_cmp_ne_u16_sdwa s[8:9], v12, v11 src0_sel:BYTE_3 src1_sel:DWORD
	s_andn2_b64 s[4:5], s[4:5], exec
	s_and_b64 s[8:9], s[8:9], exec
	s_or_b64 s[4:5], s[4:5], s[8:9]
	s_or_b64 exec, exec, s[6:7]
	s_and_saveexec_b64 s[6:7], s[4:5]
	s_cbranch_execnz .LBB33_1375
	s_branch .LBB33_1376
.LBB33_3425:
	s_movk_i32 s4, 0x80
	v_cmp_eq_u16_sdwa s[12:13], v17, s4 src0_sel:BYTE_0 src1_sel:DWORD
	s_mov_b64 s[4:5], -1
                                        ; implicit-def: $sgpr10
	s_and_saveexec_b64 s[8:9], s[12:13]
; %bb.3426:
	s_mov_b32 s10, 0x7f800001
	s_xor_b64 s[4:5], exec, -1
; %bb.3427:
	s_or_b64 exec, exec, s[8:9]
	s_and_b64 s[4:5], s[4:5], exec
	s_or_saveexec_b64 s[6:7], s[6:7]
	v_mov_b32_e32 v10, s10
	s_xor_b64 exec, exec, s[6:7]
	s_cbranch_execz .LBB33_1378
.LBB33_3428:
	v_mov_b32_e32 v10, 0
	v_cmp_ne_u16_sdwa s[8:9], v17, v10 src0_sel:BYTE_0 src1_sel:DWORD
	s_andn2_b64 s[4:5], s[4:5], exec
	s_and_b64 s[8:9], s[8:9], exec
	s_or_b64 s[4:5], s[4:5], s[8:9]
	s_or_b64 exec, exec, s[6:7]
	s_and_saveexec_b64 s[6:7], s[4:5]
	s_cbranch_execnz .LBB33_1379
	s_branch .LBB33_1380
.LBB33_3429:
	s_movk_i32 s4, 0x80
	v_cmp_eq_u16_sdwa s[12:13], v13, s4 src0_sel:BYTE_0 src1_sel:DWORD
	s_mov_b64 s[4:5], -1
                                        ; implicit-def: $sgpr10
	s_and_saveexec_b64 s[8:9], s[12:13]
; %bb.3430:
	s_mov_b32 s10, 0x7f800001
	s_xor_b64 s[4:5], exec, -1
; %bb.3431:
	s_or_b64 exec, exec, s[8:9]
	s_and_b64 s[4:5], s[4:5], exec
	s_or_saveexec_b64 s[6:7], s[6:7]
	v_mov_b32_e32 v11, s10
	s_xor_b64 exec, exec, s[6:7]
	s_cbranch_execz .LBB33_1382
.LBB33_3432:
	v_mov_b32_e32 v11, 0
	v_cmp_ne_u16_sdwa s[8:9], v13, v11 src0_sel:BYTE_0 src1_sel:DWORD
	s_andn2_b64 s[4:5], s[4:5], exec
	s_and_b64 s[8:9], s[8:9], exec
	s_or_b64 s[4:5], s[4:5], s[8:9]
	s_or_b64 exec, exec, s[6:7]
	s_and_saveexec_b64 s[6:7], s[4:5]
	s_cbranch_execnz .LBB33_1383
	s_branch .LBB33_1384
.LBB33_3433:
	s_movk_i32 s4, 0x80
	v_cmp_eq_u16_sdwa s[12:13], v11, s4 src0_sel:BYTE_0 src1_sel:DWORD
	s_mov_b64 s[4:5], -1
                                        ; implicit-def: $sgpr10
	s_and_saveexec_b64 s[8:9], s[12:13]
; %bb.3434:
	s_mov_b32 s10, 0x7f800001
	s_xor_b64 s[4:5], exec, -1
; %bb.3435:
	s_or_b64 exec, exec, s[8:9]
	s_and_b64 s[4:5], s[4:5], exec
	s_or_saveexec_b64 s[6:7], s[6:7]
	v_mov_b32_e32 v10, s10
	s_xor_b64 exec, exec, s[6:7]
	s_cbranch_execz .LBB33_1386
.LBB33_3436:
	v_mov_b32_e32 v10, 0
	v_cmp_ne_u16_sdwa s[8:9], v11, v10 src0_sel:BYTE_0 src1_sel:DWORD
	s_andn2_b64 s[4:5], s[4:5], exec
	s_and_b64 s[8:9], s[8:9], exec
	s_or_b64 s[4:5], s[4:5], s[8:9]
	s_or_b64 exec, exec, s[6:7]
	s_and_saveexec_b64 s[6:7], s[4:5]
	s_cbranch_execnz .LBB33_1387
	s_branch .LBB33_1388
.LBB33_3437:
	s_movk_i32 s4, 0x80
	v_cmp_eq_u16_sdwa s[12:13], v11, s4 src0_sel:BYTE_0 src1_sel:DWORD
	s_mov_b64 s[4:5], -1
                                        ; implicit-def: $sgpr10
	s_and_saveexec_b64 s[8:9], s[12:13]
; %bb.3438:
	s_mov_b32 s10, 0x7f800001
	s_xor_b64 s[4:5], exec, -1
; %bb.3439:
	s_or_b64 exec, exec, s[8:9]
	s_and_b64 s[4:5], s[4:5], exec
	s_or_saveexec_b64 s[6:7], s[6:7]
	v_mov_b32_e32 v12, s10
	s_xor_b64 exec, exec, s[6:7]
	s_cbranch_execz .LBB33_1390
.LBB33_3440:
	v_mov_b32_e32 v12, 0
	v_cmp_ne_u16_sdwa s[8:9], v11, v12 src0_sel:BYTE_0 src1_sel:DWORD
	s_andn2_b64 s[4:5], s[4:5], exec
	s_and_b64 s[8:9], s[8:9], exec
	s_or_b64 s[4:5], s[4:5], s[8:9]
	s_or_b64 exec, exec, s[6:7]
	s_and_saveexec_b64 s[6:7], s[4:5]
	s_cbranch_execnz .LBB33_1391
	s_branch .LBB33_1392
.LBB33_3441:
	s_movk_i32 s4, 0x80
	v_cmp_eq_u16_e32 vcc, s4, v11
	s_mov_b64 s[4:5], -1
                                        ; implicit-def: $sgpr10
	s_and_saveexec_b64 s[8:9], vcc
; %bb.3442:
	s_mov_b32 s10, 0x7f800001
	s_xor_b64 s[4:5], exec, -1
; %bb.3443:
	s_or_b64 exec, exec, s[8:9]
	s_and_b64 s[4:5], s[4:5], exec
                                        ; implicit-def: $vgpr11
	s_or_saveexec_b64 s[6:7], s[6:7]
	v_mov_b32_e32 v10, s10
	s_xor_b64 exec, exec, s[6:7]
	s_cbranch_execz .LBB33_1394
.LBB33_3444:
	v_cmp_ne_u16_e32 vcc, 0, v11
	s_andn2_b64 s[4:5], s[4:5], exec
	s_and_b64 s[8:9], vcc, exec
	v_mov_b32_e32 v10, 0
	s_or_b64 s[4:5], s[4:5], s[8:9]
	s_or_b64 exec, exec, s[6:7]
	s_and_saveexec_b64 s[6:7], s[4:5]
	s_cbranch_execnz .LBB33_1395
	s_branch .LBB33_1396
.LBB33_3445:
	s_movk_i32 s4, 0x80
	v_cmp_eq_u16_e32 vcc, s4, v11
	s_mov_b64 s[4:5], -1
                                        ; implicit-def: $sgpr10
	s_and_saveexec_b64 s[8:9], vcc
; %bb.3446:
	s_mov_b32 s10, 0x7f800001
	s_xor_b64 s[4:5], exec, -1
; %bb.3447:
	s_or_b64 exec, exec, s[8:9]
	s_and_b64 s[4:5], s[4:5], exec
                                        ; implicit-def: $vgpr11
	s_or_saveexec_b64 s[6:7], s[6:7]
	v_mov_b32_e32 v12, s10
	s_xor_b64 exec, exec, s[6:7]
	s_cbranch_execz .LBB33_1398
.LBB33_3448:
	v_cmp_ne_u16_e32 vcc, 0, v11
	s_andn2_b64 s[4:5], s[4:5], exec
	s_and_b64 s[8:9], vcc, exec
	v_mov_b32_e32 v12, 0
	s_or_b64 s[4:5], s[4:5], s[8:9]
	s_or_b64 exec, exec, s[6:7]
	s_and_saveexec_b64 s[6:7], s[4:5]
	s_cbranch_execnz .LBB33_1399
	s_branch .LBB33_1400
.LBB33_3449:
	s_movk_i32 s4, 0x80
	v_cmp_eq_u16_sdwa s[12:13], v17, s4 src0_sel:BYTE_3 src1_sel:DWORD
	s_mov_b64 s[4:5], -1
                                        ; implicit-def: $sgpr10
	s_and_saveexec_b64 s[8:9], s[12:13]
; %bb.3450:
	s_mov_b32 s10, 0x7f800001
	s_xor_b64 s[4:5], exec, -1
; %bb.3451:
	s_or_b64 exec, exec, s[8:9]
	s_and_b64 s[4:5], s[4:5], exec
	s_or_saveexec_b64 s[6:7], s[6:7]
	v_mov_b32_e32 v10, s10
	s_xor_b64 exec, exec, s[6:7]
	s_cbranch_execz .LBB33_1402
.LBB33_3452:
	v_mov_b32_e32 v10, 0
	v_cmp_ne_u16_sdwa s[8:9], v17, v10 src0_sel:BYTE_3 src1_sel:DWORD
	s_andn2_b64 s[4:5], s[4:5], exec
	s_and_b64 s[8:9], s[8:9], exec
	s_or_b64 s[4:5], s[4:5], s[8:9]
	s_or_b64 exec, exec, s[6:7]
	s_and_saveexec_b64 s[6:7], s[4:5]
	s_cbranch_execnz .LBB33_1403
	s_branch .LBB33_1404
.LBB33_3453:
	s_movk_i32 s4, 0x80
	v_cmp_eq_u16_sdwa s[12:13], v13, s4 src0_sel:BYTE_3 src1_sel:DWORD
	s_mov_b64 s[4:5], -1
                                        ; implicit-def: $sgpr10
	s_and_saveexec_b64 s[8:9], s[12:13]
; %bb.3454:
	s_mov_b32 s10, 0x7f800001
	s_xor_b64 s[4:5], exec, -1
; %bb.3455:
	s_or_b64 exec, exec, s[8:9]
	s_and_b64 s[4:5], s[4:5], exec
	s_or_saveexec_b64 s[6:7], s[6:7]
	v_mov_b32_e32 v11, s10
	s_xor_b64 exec, exec, s[6:7]
	s_cbranch_execz .LBB33_1406
.LBB33_3456:
	v_mov_b32_e32 v11, 0
	v_cmp_ne_u16_sdwa s[8:9], v13, v11 src0_sel:BYTE_3 src1_sel:DWORD
	s_andn2_b64 s[4:5], s[4:5], exec
	s_and_b64 s[8:9], s[8:9], exec
	s_or_b64 s[4:5], s[4:5], s[8:9]
	s_or_b64 exec, exec, s[6:7]
	s_and_saveexec_b64 s[6:7], s[4:5]
	s_cbranch_execnz .LBB33_1407
	s_branch .LBB33_1408
.LBB33_3457:
	s_movk_i32 s4, 0x80
	v_cmp_eq_u16_sdwa s[12:13], v6, s4 src0_sel:BYTE_0 src1_sel:DWORD
	s_mov_b64 s[4:5], -1
                                        ; implicit-def: $sgpr10
	s_and_saveexec_b64 s[8:9], s[12:13]
; %bb.3458:
	s_mov_b32 s10, 0x7f800001
	s_xor_b64 s[4:5], exec, -1
; %bb.3459:
	s_or_b64 exec, exec, s[8:9]
	s_and_b64 s[4:5], s[4:5], exec
	s_or_saveexec_b64 s[6:7], s[6:7]
	v_mov_b32_e32 v10, s10
	s_xor_b64 exec, exec, s[6:7]
	s_cbranch_execz .LBB33_1410
.LBB33_3460:
	v_mov_b32_e32 v10, 0
	v_cmp_ne_u16_sdwa s[8:9], v6, v10 src0_sel:BYTE_0 src1_sel:DWORD
	s_andn2_b64 s[4:5], s[4:5], exec
	s_and_b64 s[8:9], s[8:9], exec
	s_or_b64 s[4:5], s[4:5], s[8:9]
	s_or_b64 exec, exec, s[6:7]
	s_and_saveexec_b64 s[6:7], s[4:5]
	s_cbranch_execnz .LBB33_1411
	s_branch .LBB33_1412
.LBB33_3461:
	s_movk_i32 s4, 0x80
	v_cmp_eq_u16_sdwa s[12:13], v2, s4 src0_sel:BYTE_0 src1_sel:DWORD
	s_mov_b64 s[4:5], -1
                                        ; implicit-def: $sgpr10
	s_and_saveexec_b64 s[8:9], s[12:13]
; %bb.3462:
	s_mov_b32 s10, 0x7f800001
	s_xor_b64 s[4:5], exec, -1
; %bb.3463:
	s_or_b64 exec, exec, s[8:9]
	s_and_b64 s[4:5], s[4:5], exec
	s_or_saveexec_b64 s[6:7], s[6:7]
	v_mov_b32_e32 v11, s10
	s_xor_b64 exec, exec, s[6:7]
	s_cbranch_execz .LBB33_1414
.LBB33_3464:
	v_mov_b32_e32 v11, 0
	v_cmp_ne_u16_sdwa s[8:9], v2, v11 src0_sel:BYTE_0 src1_sel:DWORD
	s_andn2_b64 s[4:5], s[4:5], exec
	s_and_b64 s[8:9], s[8:9], exec
	s_or_b64 s[4:5], s[4:5], s[8:9]
	s_or_b64 exec, exec, s[6:7]
	s_and_saveexec_b64 s[6:7], s[4:5]
	s_cbranch_execnz .LBB33_1415
	s_branch .LBB33_1416
.LBB33_3465:
	s_movk_i32 s4, 0x80
	v_cmp_eq_u16_sdwa s[12:13], v11, s4 src0_sel:BYTE_0 src1_sel:DWORD
	s_mov_b64 s[4:5], -1
                                        ; implicit-def: $sgpr10
	s_and_saveexec_b64 s[8:9], s[12:13]
; %bb.3466:
	s_mov_b32 s10, 0x7f800001
	s_xor_b64 s[4:5], exec, -1
; %bb.3467:
	s_or_b64 exec, exec, s[8:9]
	s_and_b64 s[4:5], s[4:5], exec
	s_or_saveexec_b64 s[6:7], s[6:7]
	v_mov_b32_e32 v10, s10
	s_xor_b64 exec, exec, s[6:7]
	s_cbranch_execz .LBB33_1418
.LBB33_3468:
	v_mov_b32_e32 v10, 0
	v_cmp_ne_u16_sdwa s[8:9], v11, v10 src0_sel:BYTE_0 src1_sel:DWORD
	s_andn2_b64 s[4:5], s[4:5], exec
	s_and_b64 s[8:9], s[8:9], exec
	s_or_b64 s[4:5], s[4:5], s[8:9]
	s_or_b64 exec, exec, s[6:7]
	s_and_saveexec_b64 s[6:7], s[4:5]
	s_cbranch_execnz .LBB33_1419
	s_branch .LBB33_1420
.LBB33_3469:
	s_movk_i32 s4, 0x80
	v_cmp_eq_u16_sdwa s[12:13], v11, s4 src0_sel:BYTE_0 src1_sel:DWORD
	s_mov_b64 s[4:5], -1
                                        ; implicit-def: $sgpr10
	s_and_saveexec_b64 s[8:9], s[12:13]
; %bb.3470:
	s_mov_b32 s10, 0x7f800001
	s_xor_b64 s[4:5], exec, -1
; %bb.3471:
	s_or_b64 exec, exec, s[8:9]
	s_and_b64 s[4:5], s[4:5], exec
	s_or_saveexec_b64 s[6:7], s[6:7]
	v_mov_b32_e32 v12, s10
	s_xor_b64 exec, exec, s[6:7]
	s_cbranch_execz .LBB33_1422
.LBB33_3472:
	v_mov_b32_e32 v12, 0
	v_cmp_ne_u16_sdwa s[8:9], v11, v12 src0_sel:BYTE_0 src1_sel:DWORD
	s_andn2_b64 s[4:5], s[4:5], exec
	s_and_b64 s[8:9], s[8:9], exec
	s_or_b64 s[4:5], s[4:5], s[8:9]
	s_or_b64 exec, exec, s[6:7]
	s_and_saveexec_b64 s[6:7], s[4:5]
	s_cbranch_execnz .LBB33_1423
	s_branch .LBB33_1424
.LBB33_3473:
	s_movk_i32 s4, 0x80
	v_cmp_eq_u16_e32 vcc, s4, v11
	s_mov_b64 s[4:5], -1
                                        ; implicit-def: $sgpr10
	s_and_saveexec_b64 s[8:9], vcc
; %bb.3474:
	s_mov_b32 s10, 0x7f800001
	s_xor_b64 s[4:5], exec, -1
; %bb.3475:
	s_or_b64 exec, exec, s[8:9]
	s_and_b64 s[4:5], s[4:5], exec
                                        ; implicit-def: $vgpr11
	s_or_saveexec_b64 s[6:7], s[6:7]
	v_mov_b32_e32 v10, s10
	s_xor_b64 exec, exec, s[6:7]
	s_cbranch_execz .LBB33_1426
.LBB33_3476:
	v_cmp_ne_u16_e32 vcc, 0, v11
	s_andn2_b64 s[4:5], s[4:5], exec
	s_and_b64 s[8:9], vcc, exec
	v_mov_b32_e32 v10, 0
	s_or_b64 s[4:5], s[4:5], s[8:9]
	s_or_b64 exec, exec, s[6:7]
	s_and_saveexec_b64 s[6:7], s[4:5]
	s_cbranch_execnz .LBB33_1427
	s_branch .LBB33_1428
.LBB33_3477:
	s_movk_i32 s4, 0x80
	v_cmp_eq_u16_e32 vcc, s4, v11
	s_mov_b64 s[4:5], -1
                                        ; implicit-def: $sgpr10
	s_and_saveexec_b64 s[8:9], vcc
; %bb.3478:
	s_mov_b32 s10, 0x7f800001
	s_xor_b64 s[4:5], exec, -1
; %bb.3479:
	s_or_b64 exec, exec, s[8:9]
	s_and_b64 s[4:5], s[4:5], exec
                                        ; implicit-def: $vgpr11
	s_or_saveexec_b64 s[6:7], s[6:7]
	v_mov_b32_e32 v12, s10
	s_xor_b64 exec, exec, s[6:7]
	s_cbranch_execz .LBB33_1430
.LBB33_3480:
	v_cmp_ne_u16_e32 vcc, 0, v11
	s_andn2_b64 s[4:5], s[4:5], exec
	s_and_b64 s[8:9], vcc, exec
	v_mov_b32_e32 v12, 0
	s_or_b64 s[4:5], s[4:5], s[8:9]
	s_or_b64 exec, exec, s[6:7]
	s_and_saveexec_b64 s[6:7], s[4:5]
	s_cbranch_execnz .LBB33_1431
	s_branch .LBB33_1432
.LBB33_3481:
	s_movk_i32 s4, 0x80
	v_cmp_eq_u16_sdwa s[12:13], v6, s4 src0_sel:BYTE_3 src1_sel:DWORD
	s_mov_b64 s[4:5], -1
                                        ; implicit-def: $sgpr10
	s_and_saveexec_b64 s[8:9], s[12:13]
; %bb.3482:
	s_mov_b32 s10, 0x7f800001
	s_xor_b64 s[4:5], exec, -1
; %bb.3483:
	s_or_b64 exec, exec, s[8:9]
	s_and_b64 s[4:5], s[4:5], exec
	s_or_saveexec_b64 s[6:7], s[6:7]
	v_mov_b32_e32 v10, s10
	s_xor_b64 exec, exec, s[6:7]
	s_cbranch_execz .LBB33_1434
.LBB33_3484:
	v_mov_b32_e32 v10, 0
	v_cmp_ne_u16_sdwa s[8:9], v6, v10 src0_sel:BYTE_3 src1_sel:DWORD
	s_andn2_b64 s[4:5], s[4:5], exec
	s_and_b64 s[8:9], s[8:9], exec
	s_or_b64 s[4:5], s[4:5], s[8:9]
	s_or_b64 exec, exec, s[6:7]
	s_and_saveexec_b64 s[6:7], s[4:5]
	s_cbranch_execnz .LBB33_1435
	s_branch .LBB33_1436
.LBB33_3485:
	s_movk_i32 s4, 0x80
	v_cmp_eq_u16_sdwa s[12:13], v2, s4 src0_sel:BYTE_3 src1_sel:DWORD
	s_mov_b64 s[4:5], -1
                                        ; implicit-def: $sgpr10
	s_and_saveexec_b64 s[8:9], s[12:13]
; %bb.3486:
	s_mov_b32 s10, 0x7f800001
	s_xor_b64 s[4:5], exec, -1
; %bb.3487:
	s_or_b64 exec, exec, s[8:9]
	s_and_b64 s[4:5], s[4:5], exec
	s_or_saveexec_b64 s[6:7], s[6:7]
	v_mov_b32_e32 v6, s10
	s_xor_b64 exec, exec, s[6:7]
	s_cbranch_execz .LBB33_1438
.LBB33_3488:
	v_mov_b32_e32 v6, 0
	v_cmp_ne_u16_sdwa s[8:9], v2, v6 src0_sel:BYTE_3 src1_sel:DWORD
	s_andn2_b64 s[4:5], s[4:5], exec
	s_and_b64 s[8:9], s[8:9], exec
	s_or_b64 s[4:5], s[4:5], s[8:9]
	s_or_b64 exec, exec, s[6:7]
	s_and_saveexec_b64 s[6:7], s[4:5]
	s_cbranch_execnz .LBB33_1439
	s_branch .LBB33_1440
.LBB33_3489:
	s_movk_i32 s4, 0x80
	v_cmp_eq_u16_sdwa s[12:13], v7, s4 src0_sel:BYTE_0 src1_sel:DWORD
	s_mov_b64 s[4:5], -1
                                        ; implicit-def: $sgpr10
	s_and_saveexec_b64 s[8:9], s[12:13]
; %bb.3490:
	s_mov_b32 s10, 0x7f800001
	s_xor_b64 s[4:5], exec, -1
; %bb.3491:
	s_or_b64 exec, exec, s[8:9]
	s_and_b64 s[4:5], s[4:5], exec
	s_or_saveexec_b64 s[6:7], s[6:7]
	v_mov_b32_e32 v2, s10
	s_xor_b64 exec, exec, s[6:7]
	s_cbranch_execz .LBB33_1442
.LBB33_3492:
	v_mov_b32_e32 v2, 0
	v_cmp_ne_u16_sdwa s[8:9], v7, v2 src0_sel:BYTE_0 src1_sel:DWORD
	s_andn2_b64 s[4:5], s[4:5], exec
	s_and_b64 s[8:9], s[8:9], exec
	s_or_b64 s[4:5], s[4:5], s[8:9]
	s_or_b64 exec, exec, s[6:7]
	s_and_saveexec_b64 s[6:7], s[4:5]
	s_cbranch_execnz .LBB33_1443
	s_branch .LBB33_1444
.LBB33_3493:
	s_movk_i32 s4, 0x80
	v_cmp_eq_u16_sdwa s[12:13], v3, s4 src0_sel:BYTE_0 src1_sel:DWORD
	s_mov_b64 s[4:5], -1
                                        ; implicit-def: $sgpr10
	s_and_saveexec_b64 s[8:9], s[12:13]
; %bb.3494:
	s_mov_b32 s10, 0x7f800001
	s_xor_b64 s[4:5], exec, -1
; %bb.3495:
	s_or_b64 exec, exec, s[8:9]
	s_and_b64 s[4:5], s[4:5], exec
	s_or_saveexec_b64 s[6:7], s[6:7]
	v_mov_b32_e32 v6, s10
	s_xor_b64 exec, exec, s[6:7]
	s_cbranch_execz .LBB33_1446
.LBB33_3496:
	v_mov_b32_e32 v6, 0
	v_cmp_ne_u16_sdwa s[8:9], v3, v6 src0_sel:BYTE_0 src1_sel:DWORD
	s_andn2_b64 s[4:5], s[4:5], exec
	s_and_b64 s[8:9], s[8:9], exec
	s_or_b64 s[4:5], s[4:5], s[8:9]
	s_or_b64 exec, exec, s[6:7]
	s_and_saveexec_b64 s[6:7], s[4:5]
	s_cbranch_execnz .LBB33_1447
	s_branch .LBB33_1448
.LBB33_3497:
	s_movk_i32 s4, 0x80
	v_cmp_eq_u16_sdwa s[12:13], v6, s4 src0_sel:BYTE_0 src1_sel:DWORD
	s_mov_b64 s[4:5], -1
                                        ; implicit-def: $sgpr10
	s_and_saveexec_b64 s[8:9], s[12:13]
; %bb.3498:
	s_mov_b32 s10, 0x7f800001
	s_xor_b64 s[4:5], exec, -1
; %bb.3499:
	s_or_b64 exec, exec, s[8:9]
	s_and_b64 s[4:5], s[4:5], exec
	s_or_saveexec_b64 s[6:7], s[6:7]
	v_mov_b32_e32 v2, s10
	s_xor_b64 exec, exec, s[6:7]
	s_cbranch_execz .LBB33_1450
.LBB33_3500:
	v_mov_b32_e32 v2, 0
	v_cmp_ne_u16_sdwa s[8:9], v6, v2 src0_sel:BYTE_0 src1_sel:DWORD
	s_andn2_b64 s[4:5], s[4:5], exec
	s_and_b64 s[8:9], s[8:9], exec
	s_or_b64 s[4:5], s[4:5], s[8:9]
	s_or_b64 exec, exec, s[6:7]
	s_and_saveexec_b64 s[6:7], s[4:5]
	s_cbranch_execnz .LBB33_1451
	s_branch .LBB33_1452
.LBB33_3501:
	s_movk_i32 s4, 0x80
	v_cmp_eq_u16_sdwa s[12:13], v6, s4 src0_sel:BYTE_0 src1_sel:DWORD
	s_mov_b64 s[4:5], -1
                                        ; implicit-def: $sgpr10
	s_and_saveexec_b64 s[8:9], s[12:13]
; %bb.3502:
	s_mov_b32 s10, 0x7f800001
	s_xor_b64 s[4:5], exec, -1
; %bb.3503:
	s_or_b64 exec, exec, s[8:9]
	s_and_b64 s[4:5], s[4:5], exec
	s_or_saveexec_b64 s[6:7], s[6:7]
	v_mov_b32_e32 v10, s10
	s_xor_b64 exec, exec, s[6:7]
	s_cbranch_execz .LBB33_1454
.LBB33_3504:
	v_mov_b32_e32 v10, 0
	v_cmp_ne_u16_sdwa s[8:9], v6, v10 src0_sel:BYTE_0 src1_sel:DWORD
	s_andn2_b64 s[4:5], s[4:5], exec
	s_and_b64 s[8:9], s[8:9], exec
	s_or_b64 s[4:5], s[4:5], s[8:9]
	s_or_b64 exec, exec, s[6:7]
	s_and_saveexec_b64 s[6:7], s[4:5]
	s_cbranch_execnz .LBB33_1455
	s_branch .LBB33_1456
.LBB33_3505:
	s_movk_i32 s4, 0x80
	v_cmp_eq_u16_e32 vcc, s4, v6
	s_mov_b64 s[4:5], -1
                                        ; implicit-def: $sgpr10
	s_and_saveexec_b64 s[8:9], vcc
; %bb.3506:
	s_mov_b32 s10, 0x7f800001
	s_xor_b64 s[4:5], exec, -1
; %bb.3507:
	s_or_b64 exec, exec, s[8:9]
	s_and_b64 s[4:5], s[4:5], exec
                                        ; implicit-def: $vgpr6
	s_or_saveexec_b64 s[6:7], s[6:7]
	v_mov_b32_e32 v2, s10
	s_xor_b64 exec, exec, s[6:7]
	s_cbranch_execz .LBB33_1458
.LBB33_3508:
	v_cmp_ne_u16_e32 vcc, 0, v6
	s_andn2_b64 s[4:5], s[4:5], exec
	s_and_b64 s[8:9], vcc, exec
	v_mov_b32_e32 v2, 0
	s_or_b64 s[4:5], s[4:5], s[8:9]
	s_or_b64 exec, exec, s[6:7]
	s_and_saveexec_b64 s[6:7], s[4:5]
	s_cbranch_execnz .LBB33_1459
	s_branch .LBB33_1460
.LBB33_3509:
	s_movk_i32 s4, 0x80
	v_cmp_eq_u16_e32 vcc, s4, v6
	s_mov_b64 s[4:5], -1
                                        ; implicit-def: $sgpr10
	s_and_saveexec_b64 s[8:9], vcc
; %bb.3510:
	s_mov_b32 s10, 0x7f800001
	s_xor_b64 s[4:5], exec, -1
; %bb.3511:
	s_or_b64 exec, exec, s[8:9]
	s_and_b64 s[4:5], s[4:5], exec
                                        ; implicit-def: $vgpr6
	s_or_saveexec_b64 s[6:7], s[6:7]
	v_mov_b32_e32 v10, s10
	s_xor_b64 exec, exec, s[6:7]
	s_cbranch_execz .LBB33_1462
.LBB33_3512:
	v_cmp_ne_u16_e32 vcc, 0, v6
	s_andn2_b64 s[4:5], s[4:5], exec
	s_and_b64 s[8:9], vcc, exec
	v_mov_b32_e32 v10, 0
	s_or_b64 s[4:5], s[4:5], s[8:9]
	s_or_b64 exec, exec, s[6:7]
	s_and_saveexec_b64 s[6:7], s[4:5]
	s_cbranch_execnz .LBB33_1463
	s_branch .LBB33_1464
.LBB33_3513:
	s_movk_i32 s4, 0x80
	v_cmp_eq_u16_sdwa s[12:13], v7, s4 src0_sel:BYTE_3 src1_sel:DWORD
	s_mov_b64 s[4:5], -1
                                        ; implicit-def: $sgpr10
	s_and_saveexec_b64 s[8:9], s[12:13]
; %bb.3514:
	s_mov_b32 s10, 0x7f800001
	s_xor_b64 s[4:5], exec, -1
; %bb.3515:
	s_or_b64 exec, exec, s[8:9]
	s_and_b64 s[4:5], s[4:5], exec
	s_or_saveexec_b64 s[6:7], s[6:7]
	v_mov_b32_e32 v2, s10
	s_xor_b64 exec, exec, s[6:7]
	s_cbranch_execz .LBB33_1466
.LBB33_3516:
	v_mov_b32_e32 v2, 0
	v_cmp_ne_u16_sdwa s[8:9], v7, v2 src0_sel:BYTE_3 src1_sel:DWORD
	s_andn2_b64 s[4:5], s[4:5], exec
	s_and_b64 s[8:9], s[8:9], exec
	s_or_b64 s[4:5], s[4:5], s[8:9]
	s_or_b64 exec, exec, s[6:7]
	s_and_saveexec_b64 s[6:7], s[4:5]
	s_cbranch_execnz .LBB33_1467
	s_branch .LBB33_1468
.LBB33_3517:
	s_movk_i32 s4, 0x80
	v_cmp_eq_u16_sdwa s[12:13], v3, s4 src0_sel:BYTE_3 src1_sel:DWORD
	s_mov_b64 s[4:5], -1
                                        ; implicit-def: $sgpr10
	s_and_saveexec_b64 s[8:9], s[12:13]
; %bb.3518:
	s_mov_b32 s10, 0x7f800001
	s_xor_b64 s[4:5], exec, -1
; %bb.3519:
	s_or_b64 exec, exec, s[8:9]
	s_and_b64 s[4:5], s[4:5], exec
	s_or_saveexec_b64 s[6:7], s[6:7]
	v_mov_b32_e32 v6, s10
	s_xor_b64 exec, exec, s[6:7]
	s_cbranch_execz .LBB33_1470
.LBB33_3520:
	v_mov_b32_e32 v6, 0
	v_cmp_ne_u16_sdwa s[8:9], v3, v6 src0_sel:BYTE_3 src1_sel:DWORD
	s_andn2_b64 s[4:5], s[4:5], exec
	s_and_b64 s[8:9], s[8:9], exec
	s_or_b64 s[4:5], s[4:5], s[8:9]
	s_or_b64 exec, exec, s[6:7]
	s_and_saveexec_b64 s[6:7], s[4:5]
	s_cbranch_execnz .LBB33_1471
	s_branch .LBB33_1472
.LBB33_3521:
	s_movk_i32 s4, 0x80
	v_cmp_eq_u16_sdwa s[12:13], v8, s4 src0_sel:BYTE_0 src1_sel:DWORD
	s_mov_b64 s[4:5], -1
                                        ; implicit-def: $sgpr10
	s_and_saveexec_b64 s[8:9], s[12:13]
; %bb.3522:
	s_mov_b32 s10, 0x7f800001
	s_xor_b64 s[4:5], exec, -1
; %bb.3523:
	s_or_b64 exec, exec, s[8:9]
	s_and_b64 s[4:5], s[4:5], exec
	s_or_saveexec_b64 s[6:7], s[6:7]
	v_mov_b32_e32 v2, s10
	s_xor_b64 exec, exec, s[6:7]
	s_cbranch_execz .LBB33_1474
.LBB33_3524:
	v_mov_b32_e32 v2, 0
	v_cmp_ne_u16_sdwa s[8:9], v8, v2 src0_sel:BYTE_0 src1_sel:DWORD
	s_andn2_b64 s[4:5], s[4:5], exec
	s_and_b64 s[8:9], s[8:9], exec
	s_or_b64 s[4:5], s[4:5], s[8:9]
	s_or_b64 exec, exec, s[6:7]
	s_and_saveexec_b64 s[6:7], s[4:5]
	s_cbranch_execnz .LBB33_1475
	s_branch .LBB33_1476
.LBB33_3525:
	s_movk_i32 s4, 0x80
	v_cmp_eq_u16_sdwa s[12:13], v4, s4 src0_sel:BYTE_0 src1_sel:DWORD
	s_mov_b64 s[4:5], -1
                                        ; implicit-def: $sgpr10
	s_and_saveexec_b64 s[8:9], s[12:13]
; %bb.3526:
	s_mov_b32 s10, 0x7f800001
	s_xor_b64 s[4:5], exec, -1
; %bb.3527:
	s_or_b64 exec, exec, s[8:9]
	s_and_b64 s[4:5], s[4:5], exec
	s_or_saveexec_b64 s[6:7], s[6:7]
	v_mov_b32_e32 v3, s10
	s_xor_b64 exec, exec, s[6:7]
	s_cbranch_execz .LBB33_1478
.LBB33_3528:
	v_mov_b32_e32 v3, 0
	v_cmp_ne_u16_sdwa s[8:9], v4, v3 src0_sel:BYTE_0 src1_sel:DWORD
	s_andn2_b64 s[4:5], s[4:5], exec
	s_and_b64 s[8:9], s[8:9], exec
	s_or_b64 s[4:5], s[4:5], s[8:9]
	s_or_b64 exec, exec, s[6:7]
	s_and_saveexec_b64 s[6:7], s[4:5]
	s_cbranch_execnz .LBB33_1479
	s_branch .LBB33_1480
.LBB33_3529:
	s_movk_i32 s4, 0x80
	v_cmp_eq_u16_sdwa s[12:13], v3, s4 src0_sel:BYTE_0 src1_sel:DWORD
	s_mov_b64 s[4:5], -1
                                        ; implicit-def: $sgpr10
	s_and_saveexec_b64 s[8:9], s[12:13]
; %bb.3530:
	s_mov_b32 s10, 0x7f800001
	s_xor_b64 s[4:5], exec, -1
; %bb.3531:
	s_or_b64 exec, exec, s[8:9]
	s_and_b64 s[4:5], s[4:5], exec
	s_or_saveexec_b64 s[6:7], s[6:7]
	v_mov_b32_e32 v2, s10
	s_xor_b64 exec, exec, s[6:7]
	s_cbranch_execz .LBB33_1482
.LBB33_3532:
	v_mov_b32_e32 v2, 0
	v_cmp_ne_u16_sdwa s[8:9], v3, v2 src0_sel:BYTE_0 src1_sel:DWORD
	s_andn2_b64 s[4:5], s[4:5], exec
	s_and_b64 s[8:9], s[8:9], exec
	s_or_b64 s[4:5], s[4:5], s[8:9]
	s_or_b64 exec, exec, s[6:7]
	s_and_saveexec_b64 s[6:7], s[4:5]
	s_cbranch_execnz .LBB33_1483
	s_branch .LBB33_1484
.LBB33_3533:
	s_movk_i32 s4, 0x80
	v_cmp_eq_u16_sdwa s[12:13], v3, s4 src0_sel:BYTE_0 src1_sel:DWORD
	s_mov_b64 s[4:5], -1
                                        ; implicit-def: $sgpr10
	s_and_saveexec_b64 s[8:9], s[12:13]
; %bb.3534:
	s_mov_b32 s10, 0x7f800001
	s_xor_b64 s[4:5], exec, -1
; %bb.3535:
	s_or_b64 exec, exec, s[8:9]
	s_and_b64 s[4:5], s[4:5], exec
	s_or_saveexec_b64 s[6:7], s[6:7]
	v_mov_b32_e32 v6, s10
	s_xor_b64 exec, exec, s[6:7]
	s_cbranch_execz .LBB33_1486
.LBB33_3536:
	v_mov_b32_e32 v6, 0
	v_cmp_ne_u16_sdwa s[8:9], v3, v6 src0_sel:BYTE_0 src1_sel:DWORD
	s_andn2_b64 s[4:5], s[4:5], exec
	s_and_b64 s[8:9], s[8:9], exec
	s_or_b64 s[4:5], s[4:5], s[8:9]
	s_or_b64 exec, exec, s[6:7]
	s_and_saveexec_b64 s[6:7], s[4:5]
	s_cbranch_execnz .LBB33_1487
	s_branch .LBB33_1488
.LBB33_3537:
	s_movk_i32 s4, 0x80
	v_cmp_eq_u16_e32 vcc, s4, v3
	s_mov_b64 s[4:5], -1
                                        ; implicit-def: $sgpr10
	s_and_saveexec_b64 s[8:9], vcc
; %bb.3538:
	s_mov_b32 s10, 0x7f800001
	s_xor_b64 s[4:5], exec, -1
; %bb.3539:
	s_or_b64 exec, exec, s[8:9]
	s_and_b64 s[4:5], s[4:5], exec
                                        ; implicit-def: $vgpr3
	s_or_saveexec_b64 s[6:7], s[6:7]
	v_mov_b32_e32 v2, s10
	s_xor_b64 exec, exec, s[6:7]
	s_cbranch_execz .LBB33_1490
.LBB33_3540:
	v_cmp_ne_u16_e32 vcc, 0, v3
	s_andn2_b64 s[4:5], s[4:5], exec
	s_and_b64 s[8:9], vcc, exec
	v_mov_b32_e32 v2, 0
	s_or_b64 s[4:5], s[4:5], s[8:9]
	s_or_b64 exec, exec, s[6:7]
	s_and_saveexec_b64 s[6:7], s[4:5]
	s_cbranch_execnz .LBB33_1491
	s_branch .LBB33_1492
.LBB33_3541:
	s_movk_i32 s4, 0x80
	v_cmp_eq_u16_e32 vcc, s4, v3
	s_mov_b64 s[4:5], -1
                                        ; implicit-def: $sgpr10
	s_and_saveexec_b64 s[8:9], vcc
; %bb.3542:
	s_mov_b32 s10, 0x7f800001
	s_xor_b64 s[4:5], exec, -1
; %bb.3543:
	s_or_b64 exec, exec, s[8:9]
	s_and_b64 s[4:5], s[4:5], exec
                                        ; implicit-def: $vgpr3
	s_or_saveexec_b64 s[6:7], s[6:7]
	v_mov_b32_e32 v6, s10
	s_xor_b64 exec, exec, s[6:7]
	s_cbranch_execz .LBB33_1494
.LBB33_3544:
	v_cmp_ne_u16_e32 vcc, 0, v3
	s_andn2_b64 s[4:5], s[4:5], exec
	s_and_b64 s[8:9], vcc, exec
	v_mov_b32_e32 v6, 0
	s_or_b64 s[4:5], s[4:5], s[8:9]
	s_or_b64 exec, exec, s[6:7]
	s_and_saveexec_b64 s[6:7], s[4:5]
	s_cbranch_execnz .LBB33_1495
	s_branch .LBB33_1496
.LBB33_3545:
	s_movk_i32 s4, 0x80
	v_cmp_eq_u16_sdwa s[12:13], v8, s4 src0_sel:BYTE_3 src1_sel:DWORD
	s_mov_b64 s[4:5], -1
                                        ; implicit-def: $sgpr10
	s_and_saveexec_b64 s[8:9], s[12:13]
; %bb.3546:
	s_mov_b32 s10, 0x7f800001
	s_xor_b64 s[4:5], exec, -1
; %bb.3547:
	s_or_b64 exec, exec, s[8:9]
	s_and_b64 s[4:5], s[4:5], exec
	s_or_saveexec_b64 s[6:7], s[6:7]
	v_mov_b32_e32 v2, s10
	s_xor_b64 exec, exec, s[6:7]
	s_cbranch_execz .LBB33_1498
.LBB33_3548:
	v_mov_b32_e32 v2, 0
	v_cmp_ne_u16_sdwa s[8:9], v8, v2 src0_sel:BYTE_3 src1_sel:DWORD
	s_andn2_b64 s[4:5], s[4:5], exec
	s_and_b64 s[8:9], s[8:9], exec
	s_or_b64 s[4:5], s[4:5], s[8:9]
	s_or_b64 exec, exec, s[6:7]
	s_and_saveexec_b64 s[6:7], s[4:5]
	s_cbranch_execnz .LBB33_1499
	s_branch .LBB33_1500
.LBB33_3549:
	s_movk_i32 s4, 0x80
	v_cmp_eq_u16_sdwa s[12:13], v4, s4 src0_sel:BYTE_3 src1_sel:DWORD
	s_mov_b64 s[4:5], -1
                                        ; implicit-def: $sgpr10
	s_and_saveexec_b64 s[8:9], s[12:13]
; %bb.3550:
	s_mov_b32 s10, 0x7f800001
	s_xor_b64 s[4:5], exec, -1
; %bb.3551:
	s_or_b64 exec, exec, s[8:9]
	s_and_b64 s[4:5], s[4:5], exec
	s_or_saveexec_b64 s[6:7], s[6:7]
	v_mov_b32_e32 v3, s10
	s_xor_b64 exec, exec, s[6:7]
	s_cbranch_execz .LBB33_1502
.LBB33_3552:
	v_mov_b32_e32 v3, 0
	v_cmp_ne_u16_sdwa s[8:9], v4, v3 src0_sel:BYTE_3 src1_sel:DWORD
	s_andn2_b64 s[4:5], s[4:5], exec
	s_and_b64 s[8:9], s[8:9], exec
	s_or_b64 s[4:5], s[4:5], s[8:9]
	s_or_b64 exec, exec, s[6:7]
	s_and_saveexec_b64 s[6:7], s[4:5]
	s_cbranch_execnz .LBB33_1503
	s_branch .LBB33_1504
.LBB33_3553:
	s_movk_i32 s4, 0x80
	v_cmp_eq_u16_sdwa s[12:13], v9, s4 src0_sel:BYTE_0 src1_sel:DWORD
	s_mov_b64 s[4:5], -1
                                        ; implicit-def: $sgpr10
	s_and_saveexec_b64 s[8:9], s[12:13]
; %bb.3554:
	s_mov_b32 s10, 0x7f800001
	s_xor_b64 s[4:5], exec, -1
; %bb.3555:
	s_or_b64 exec, exec, s[8:9]
	s_and_b64 s[4:5], s[4:5], exec
	s_or_saveexec_b64 s[6:7], s[6:7]
	v_mov_b32_e32 v2, s10
	s_xor_b64 exec, exec, s[6:7]
	s_cbranch_execz .LBB33_1506
.LBB33_3556:
	v_mov_b32_e32 v2, 0
	v_cmp_ne_u16_sdwa s[8:9], v9, v2 src0_sel:BYTE_0 src1_sel:DWORD
	s_andn2_b64 s[4:5], s[4:5], exec
	s_and_b64 s[8:9], s[8:9], exec
	s_or_b64 s[4:5], s[4:5], s[8:9]
	s_or_b64 exec, exec, s[6:7]
	s_and_saveexec_b64 s[6:7], s[4:5]
	s_cbranch_execnz .LBB33_1507
	s_branch .LBB33_1508
.LBB33_3557:
	s_movk_i32 s4, 0x80
	v_cmp_eq_u16_sdwa s[12:13], v5, s4 src0_sel:BYTE_0 src1_sel:DWORD
	s_mov_b64 s[4:5], -1
                                        ; implicit-def: $sgpr10
	s_and_saveexec_b64 s[8:9], s[12:13]
; %bb.3558:
	s_mov_b32 s10, 0x7f800001
	s_xor_b64 s[4:5], exec, -1
; %bb.3559:
	s_or_b64 exec, exec, s[8:9]
	s_and_b64 s[4:5], s[4:5], exec
	s_or_saveexec_b64 s[6:7], s[6:7]
	v_mov_b32_e32 v3, s10
	s_xor_b64 exec, exec, s[6:7]
	s_cbranch_execz .LBB33_1510
.LBB33_3560:
	v_mov_b32_e32 v3, 0
	v_cmp_ne_u16_sdwa s[8:9], v5, v3 src0_sel:BYTE_0 src1_sel:DWORD
	s_andn2_b64 s[4:5], s[4:5], exec
	s_and_b64 s[8:9], s[8:9], exec
	s_or_b64 s[4:5], s[4:5], s[8:9]
	s_or_b64 exec, exec, s[6:7]
	s_and_saveexec_b64 s[6:7], s[4:5]
	s_cbranch_execnz .LBB33_1511
	s_branch .LBB33_1512
.LBB33_3561:
	s_movk_i32 s4, 0x80
	v_cmp_eq_u16_sdwa s[12:13], v3, s4 src0_sel:BYTE_0 src1_sel:DWORD
	s_mov_b64 s[4:5], -1
                                        ; implicit-def: $sgpr10
	s_and_saveexec_b64 s[8:9], s[12:13]
; %bb.3562:
	s_mov_b32 s10, 0x7f800001
	s_xor_b64 s[4:5], exec, -1
; %bb.3563:
	s_or_b64 exec, exec, s[8:9]
	s_and_b64 s[4:5], s[4:5], exec
	s_or_saveexec_b64 s[6:7], s[6:7]
	v_mov_b32_e32 v2, s10
	s_xor_b64 exec, exec, s[6:7]
	s_cbranch_execz .LBB33_1514
.LBB33_3564:
	v_mov_b32_e32 v2, 0
	v_cmp_ne_u16_sdwa s[8:9], v3, v2 src0_sel:BYTE_0 src1_sel:DWORD
	s_andn2_b64 s[4:5], s[4:5], exec
	s_and_b64 s[8:9], s[8:9], exec
	s_or_b64 s[4:5], s[4:5], s[8:9]
	s_or_b64 exec, exec, s[6:7]
	s_and_saveexec_b64 s[6:7], s[4:5]
	s_cbranch_execnz .LBB33_1515
	s_branch .LBB33_1516
.LBB33_3565:
	s_movk_i32 s4, 0x80
	v_cmp_eq_u16_sdwa s[12:13], v3, s4 src0_sel:BYTE_0 src1_sel:DWORD
	s_mov_b64 s[4:5], -1
                                        ; implicit-def: $sgpr10
	s_and_saveexec_b64 s[8:9], s[12:13]
; %bb.3566:
	s_mov_b32 s10, 0x7f800001
	s_xor_b64 s[4:5], exec, -1
; %bb.3567:
	s_or_b64 exec, exec, s[8:9]
	s_and_b64 s[4:5], s[4:5], exec
	s_or_saveexec_b64 s[6:7], s[6:7]
	v_mov_b32_e32 v4, s10
	s_xor_b64 exec, exec, s[6:7]
	s_cbranch_execz .LBB33_1518
.LBB33_3568:
	v_mov_b32_e32 v4, 0
	v_cmp_ne_u16_sdwa s[8:9], v3, v4 src0_sel:BYTE_0 src1_sel:DWORD
	s_andn2_b64 s[4:5], s[4:5], exec
	s_and_b64 s[8:9], s[8:9], exec
	s_or_b64 s[4:5], s[4:5], s[8:9]
	s_or_b64 exec, exec, s[6:7]
	s_and_saveexec_b64 s[6:7], s[4:5]
	s_cbranch_execnz .LBB33_1519
	s_branch .LBB33_1520
.LBB33_3569:
	s_movk_i32 s4, 0x80
	v_cmp_eq_u16_e32 vcc, s4, v3
	s_mov_b64 s[4:5], -1
                                        ; implicit-def: $sgpr10
	s_and_saveexec_b64 s[8:9], vcc
; %bb.3570:
	s_mov_b32 s10, 0x7f800001
	s_xor_b64 s[4:5], exec, -1
; %bb.3571:
	s_or_b64 exec, exec, s[8:9]
	s_and_b64 s[4:5], s[4:5], exec
                                        ; implicit-def: $vgpr3
	s_or_saveexec_b64 s[6:7], s[6:7]
	v_mov_b32_e32 v2, s10
	s_xor_b64 exec, exec, s[6:7]
	s_cbranch_execz .LBB33_1522
.LBB33_3572:
	v_cmp_ne_u16_e32 vcc, 0, v3
	s_andn2_b64 s[4:5], s[4:5], exec
	s_and_b64 s[8:9], vcc, exec
	v_mov_b32_e32 v2, 0
	s_or_b64 s[4:5], s[4:5], s[8:9]
	s_or_b64 exec, exec, s[6:7]
	s_and_saveexec_b64 s[6:7], s[4:5]
	s_cbranch_execnz .LBB33_1523
	s_branch .LBB33_1524
.LBB33_3573:
	s_movk_i32 s4, 0x80
	v_cmp_eq_u16_e32 vcc, s4, v3
	s_mov_b64 s[4:5], -1
                                        ; implicit-def: $sgpr10
	s_and_saveexec_b64 s[8:9], vcc
; %bb.3574:
	s_mov_b32 s10, 0x7f800001
	s_xor_b64 s[4:5], exec, -1
; %bb.3575:
	s_or_b64 exec, exec, s[8:9]
	s_and_b64 s[4:5], s[4:5], exec
                                        ; implicit-def: $vgpr3
	s_or_saveexec_b64 s[6:7], s[6:7]
	v_mov_b32_e32 v4, s10
	s_xor_b64 exec, exec, s[6:7]
	s_cbranch_execz .LBB33_1526
.LBB33_3576:
	v_cmp_ne_u16_e32 vcc, 0, v3
	s_andn2_b64 s[4:5], s[4:5], exec
	s_and_b64 s[8:9], vcc, exec
	v_mov_b32_e32 v4, 0
	s_or_b64 s[4:5], s[4:5], s[8:9]
	s_or_b64 exec, exec, s[6:7]
	s_and_saveexec_b64 s[6:7], s[4:5]
	s_cbranch_execnz .LBB33_1527
	s_branch .LBB33_1528
.LBB33_3577:
	s_movk_i32 s4, 0x80
	v_cmp_eq_u16_sdwa s[12:13], v9, s4 src0_sel:BYTE_3 src1_sel:DWORD
	s_mov_b64 s[4:5], -1
                                        ; implicit-def: $sgpr10
	s_and_saveexec_b64 s[8:9], s[12:13]
; %bb.3578:
	s_mov_b32 s10, 0x7f800001
	s_xor_b64 s[4:5], exec, -1
; %bb.3579:
	s_or_b64 exec, exec, s[8:9]
	s_and_b64 s[4:5], s[4:5], exec
	s_or_saveexec_b64 s[6:7], s[6:7]
	v_mov_b32_e32 v2, s10
	s_xor_b64 exec, exec, s[6:7]
	s_cbranch_execz .LBB33_1530
.LBB33_3580:
	v_mov_b32_e32 v2, 0
	v_cmp_ne_u16_sdwa s[8:9], v9, v2 src0_sel:BYTE_3 src1_sel:DWORD
	s_andn2_b64 s[4:5], s[4:5], exec
	s_and_b64 s[8:9], s[8:9], exec
	s_or_b64 s[4:5], s[4:5], s[8:9]
	s_or_b64 exec, exec, s[6:7]
	s_and_saveexec_b64 s[6:7], s[4:5]
	s_cbranch_execnz .LBB33_1531
	s_branch .LBB33_1532
.LBB33_3581:
	s_movk_i32 s4, 0x80
	v_cmp_eq_u16_sdwa s[12:13], v5, s4 src0_sel:BYTE_3 src1_sel:DWORD
	s_mov_b64 s[4:5], -1
                                        ; implicit-def: $sgpr10
	s_and_saveexec_b64 s[8:9], s[12:13]
; %bb.3582:
	s_mov_b32 s10, 0x7f800001
	s_xor_b64 s[4:5], exec, -1
; %bb.3583:
	s_or_b64 exec, exec, s[8:9]
	s_and_b64 s[4:5], s[4:5], exec
	s_or_saveexec_b64 s[6:7], s[6:7]
	v_mov_b32_e32 v3, s10
	s_xor_b64 exec, exec, s[6:7]
	s_cbranch_execz .LBB33_1534
.LBB33_3584:
	v_mov_b32_e32 v3, 0
	v_cmp_ne_u16_sdwa s[8:9], v5, v3 src0_sel:BYTE_3 src1_sel:DWORD
	s_andn2_b64 s[4:5], s[4:5], exec
	s_and_b64 s[8:9], s[8:9], exec
	s_or_b64 s[4:5], s[4:5], s[8:9]
	s_or_b64 exec, exec, s[6:7]
	s_and_saveexec_b64 s[6:7], s[4:5]
	s_cbranch_execnz .LBB33_1535
	s_branch .LBB33_1536
.LBB33_3585:
	s_movk_i32 s4, 0x80
	v_cmp_eq_u16_sdwa s[12:13], v14, s4 src0_sel:BYTE_0 src1_sel:DWORD
	s_mov_b64 s[4:5], -1
                                        ; implicit-def: $sgpr10
	s_and_saveexec_b64 s[8:9], s[12:13]
; %bb.3586:
	s_mov_b32 s10, 0x7f800001
	s_xor_b64 s[4:5], exec, -1
; %bb.3587:
	s_or_b64 exec, exec, s[8:9]
	s_and_b64 s[4:5], s[4:5], exec
	s_or_saveexec_b64 s[6:7], s[6:7]
	v_mov_b32_e32 v20, s10
	s_xor_b64 exec, exec, s[6:7]
	s_cbranch_execz .LBB33_1538
.LBB33_3588:
	v_mov_b32_e32 v20, 0
	v_cmp_ne_u16_sdwa s[8:9], v14, v20 src0_sel:BYTE_0 src1_sel:DWORD
	s_andn2_b64 s[4:5], s[4:5], exec
	s_and_b64 s[8:9], s[8:9], exec
	s_or_b64 s[4:5], s[4:5], s[8:9]
	s_or_b64 exec, exec, s[6:7]
	s_and_saveexec_b64 s[6:7], s[4:5]
	s_cbranch_execnz .LBB33_1539
	s_branch .LBB33_1540
.LBB33_3589:
	s_movk_i32 s4, 0x80
	v_cmp_eq_u16_sdwa s[12:13], v10, s4 src0_sel:BYTE_0 src1_sel:DWORD
	s_mov_b64 s[4:5], -1
                                        ; implicit-def: $sgpr10
	s_and_saveexec_b64 s[8:9], s[12:13]
; %bb.3590:
	s_mov_b32 s10, 0x7f800001
	s_xor_b64 s[4:5], exec, -1
; %bb.3591:
	s_or_b64 exec, exec, s[8:9]
	s_and_b64 s[4:5], s[4:5], exec
	s_or_saveexec_b64 s[6:7], s[6:7]
	v_mov_b32_e32 v21, s10
	s_xor_b64 exec, exec, s[6:7]
	s_cbranch_execz .LBB33_1542
.LBB33_3592:
	v_mov_b32_e32 v21, 0
	v_cmp_ne_u16_sdwa s[8:9], v10, v21 src0_sel:BYTE_0 src1_sel:DWORD
	s_andn2_b64 s[4:5], s[4:5], exec
	s_and_b64 s[8:9], s[8:9], exec
	s_or_b64 s[4:5], s[4:5], s[8:9]
	s_or_b64 exec, exec, s[6:7]
	s_and_saveexec_b64 s[6:7], s[4:5]
	s_cbranch_execnz .LBB33_1543
	s_branch .LBB33_1544
.LBB33_3593:
	s_movk_i32 s4, 0x80
	v_cmp_eq_u16_sdwa s[12:13], v21, s4 src0_sel:BYTE_0 src1_sel:DWORD
	s_mov_b64 s[4:5], -1
                                        ; implicit-def: $sgpr10
	s_and_saveexec_b64 s[8:9], s[12:13]
; %bb.3594:
	s_mov_b32 s10, 0x7f800001
	s_xor_b64 s[4:5], exec, -1
; %bb.3595:
	s_or_b64 exec, exec, s[8:9]
	s_and_b64 s[4:5], s[4:5], exec
	s_or_saveexec_b64 s[6:7], s[6:7]
	v_mov_b32_e32 v20, s10
	s_xor_b64 exec, exec, s[6:7]
	s_cbranch_execz .LBB33_1546
.LBB33_3596:
	v_mov_b32_e32 v20, 0
	v_cmp_ne_u16_sdwa s[8:9], v21, v20 src0_sel:BYTE_0 src1_sel:DWORD
	s_andn2_b64 s[4:5], s[4:5], exec
	s_and_b64 s[8:9], s[8:9], exec
	s_or_b64 s[4:5], s[4:5], s[8:9]
	s_or_b64 exec, exec, s[6:7]
	s_and_saveexec_b64 s[6:7], s[4:5]
	s_cbranch_execnz .LBB33_1547
	s_branch .LBB33_1548
.LBB33_3597:
	s_movk_i32 s4, 0x80
	v_cmp_eq_u16_sdwa s[12:13], v21, s4 src0_sel:BYTE_0 src1_sel:DWORD
	s_mov_b64 s[4:5], -1
                                        ; implicit-def: $sgpr10
	s_and_saveexec_b64 s[8:9], s[12:13]
; %bb.3598:
	s_mov_b32 s10, 0x7f800001
	s_xor_b64 s[4:5], exec, -1
; %bb.3599:
	s_or_b64 exec, exec, s[8:9]
	s_and_b64 s[4:5], s[4:5], exec
	s_or_saveexec_b64 s[6:7], s[6:7]
	v_mov_b32_e32 v22, s10
	s_xor_b64 exec, exec, s[6:7]
	s_cbranch_execz .LBB33_1550
.LBB33_3600:
	v_mov_b32_e32 v22, 0
	v_cmp_ne_u16_sdwa s[8:9], v21, v22 src0_sel:BYTE_0 src1_sel:DWORD
	s_andn2_b64 s[4:5], s[4:5], exec
	s_and_b64 s[8:9], s[8:9], exec
	s_or_b64 s[4:5], s[4:5], s[8:9]
	s_or_b64 exec, exec, s[6:7]
	s_and_saveexec_b64 s[6:7], s[4:5]
	s_cbranch_execnz .LBB33_1551
	s_branch .LBB33_1552
.LBB33_3601:
	s_movk_i32 s4, 0x80
	v_cmp_eq_u16_e32 vcc, s4, v21
	s_mov_b64 s[4:5], -1
                                        ; implicit-def: $sgpr10
	s_and_saveexec_b64 s[8:9], vcc
; %bb.3602:
	s_mov_b32 s10, 0x7f800001
	s_xor_b64 s[4:5], exec, -1
; %bb.3603:
	s_or_b64 exec, exec, s[8:9]
	s_and_b64 s[4:5], s[4:5], exec
                                        ; implicit-def: $vgpr21
	s_or_saveexec_b64 s[6:7], s[6:7]
	v_mov_b32_e32 v20, s10
	s_xor_b64 exec, exec, s[6:7]
	s_cbranch_execz .LBB33_1554
.LBB33_3604:
	v_cmp_ne_u16_e32 vcc, 0, v21
	s_andn2_b64 s[4:5], s[4:5], exec
	s_and_b64 s[8:9], vcc, exec
	v_mov_b32_e32 v20, 0
	s_or_b64 s[4:5], s[4:5], s[8:9]
	s_or_b64 exec, exec, s[6:7]
	s_and_saveexec_b64 s[6:7], s[4:5]
	s_cbranch_execnz .LBB33_1555
	s_branch .LBB33_1556
.LBB33_3605:
	s_movk_i32 s4, 0x80
	v_cmp_eq_u16_e32 vcc, s4, v21
	s_mov_b64 s[4:5], -1
                                        ; implicit-def: $sgpr10
	s_and_saveexec_b64 s[8:9], vcc
; %bb.3606:
	s_mov_b32 s10, 0x7f800001
	s_xor_b64 s[4:5], exec, -1
; %bb.3607:
	s_or_b64 exec, exec, s[8:9]
	s_and_b64 s[4:5], s[4:5], exec
                                        ; implicit-def: $vgpr21
	s_or_saveexec_b64 s[6:7], s[6:7]
	v_mov_b32_e32 v22, s10
	s_xor_b64 exec, exec, s[6:7]
	s_cbranch_execz .LBB33_1558
.LBB33_3608:
	v_cmp_ne_u16_e32 vcc, 0, v21
	s_andn2_b64 s[4:5], s[4:5], exec
	s_and_b64 s[8:9], vcc, exec
	v_mov_b32_e32 v22, 0
	s_or_b64 s[4:5], s[4:5], s[8:9]
	s_or_b64 exec, exec, s[6:7]
	s_and_saveexec_b64 s[6:7], s[4:5]
	s_cbranch_execnz .LBB33_1559
	s_branch .LBB33_1560
.LBB33_3609:
	s_movk_i32 s4, 0x80
	v_cmp_eq_u16_sdwa s[12:13], v14, s4 src0_sel:BYTE_3 src1_sel:DWORD
	s_mov_b64 s[4:5], -1
                                        ; implicit-def: $sgpr10
	s_and_saveexec_b64 s[8:9], s[12:13]
; %bb.3610:
	s_mov_b32 s10, 0x7f800001
	s_xor_b64 s[4:5], exec, -1
; %bb.3611:
	s_or_b64 exec, exec, s[8:9]
	s_and_b64 s[4:5], s[4:5], exec
	s_or_saveexec_b64 s[6:7], s[6:7]
	v_mov_b32_e32 v20, s10
	s_xor_b64 exec, exec, s[6:7]
	s_cbranch_execz .LBB33_1562
.LBB33_3612:
	v_mov_b32_e32 v20, 0
	v_cmp_ne_u16_sdwa s[8:9], v14, v20 src0_sel:BYTE_3 src1_sel:DWORD
	s_andn2_b64 s[4:5], s[4:5], exec
	s_and_b64 s[8:9], s[8:9], exec
	s_or_b64 s[4:5], s[4:5], s[8:9]
	s_or_b64 exec, exec, s[6:7]
	s_and_saveexec_b64 s[6:7], s[4:5]
	s_cbranch_execnz .LBB33_1563
	s_branch .LBB33_1564
.LBB33_3613:
	s_movk_i32 s4, 0x80
	v_cmp_eq_u16_sdwa s[12:13], v10, s4 src0_sel:BYTE_3 src1_sel:DWORD
	s_mov_b64 s[4:5], -1
                                        ; implicit-def: $sgpr10
	s_and_saveexec_b64 s[8:9], s[12:13]
; %bb.3614:
	s_mov_b32 s10, 0x7f800001
	s_xor_b64 s[4:5], exec, -1
; %bb.3615:
	s_or_b64 exec, exec, s[8:9]
	s_and_b64 s[4:5], s[4:5], exec
	s_or_saveexec_b64 s[6:7], s[6:7]
	v_mov_b32_e32 v14, s10
	s_xor_b64 exec, exec, s[6:7]
	s_cbranch_execz .LBB33_1566
.LBB33_3616:
	v_mov_b32_e32 v14, 0
	v_cmp_ne_u16_sdwa s[8:9], v10, v14 src0_sel:BYTE_3 src1_sel:DWORD
	s_andn2_b64 s[4:5], s[4:5], exec
	s_and_b64 s[8:9], s[8:9], exec
	s_or_b64 s[4:5], s[4:5], s[8:9]
	s_or_b64 exec, exec, s[6:7]
	s_and_saveexec_b64 s[6:7], s[4:5]
	s_cbranch_execnz .LBB33_1567
	s_branch .LBB33_1568
.LBB33_3617:
	s_movk_i32 s4, 0x80
	v_cmp_eq_u16_sdwa s[12:13], v15, s4 src0_sel:BYTE_0 src1_sel:DWORD
	s_mov_b64 s[4:5], -1
                                        ; implicit-def: $sgpr10
	s_and_saveexec_b64 s[8:9], s[12:13]
; %bb.3618:
	s_mov_b32 s10, 0x7f800001
	s_xor_b64 s[4:5], exec, -1
; %bb.3619:
	s_or_b64 exec, exec, s[8:9]
	s_and_b64 s[4:5], s[4:5], exec
	s_or_saveexec_b64 s[6:7], s[6:7]
	v_mov_b32_e32 v10, s10
	s_xor_b64 exec, exec, s[6:7]
	s_cbranch_execz .LBB33_1570
.LBB33_3620:
	v_mov_b32_e32 v10, 0
	v_cmp_ne_u16_sdwa s[8:9], v15, v10 src0_sel:BYTE_0 src1_sel:DWORD
	s_andn2_b64 s[4:5], s[4:5], exec
	s_and_b64 s[8:9], s[8:9], exec
	s_or_b64 s[4:5], s[4:5], s[8:9]
	s_or_b64 exec, exec, s[6:7]
	s_and_saveexec_b64 s[6:7], s[4:5]
	s_cbranch_execnz .LBB33_1571
	s_branch .LBB33_1572
.LBB33_3621:
	s_movk_i32 s4, 0x80
	v_cmp_eq_u16_sdwa s[12:13], v11, s4 src0_sel:BYTE_0 src1_sel:DWORD
	s_mov_b64 s[4:5], -1
                                        ; implicit-def: $sgpr10
	s_and_saveexec_b64 s[8:9], s[12:13]
; %bb.3622:
	s_mov_b32 s10, 0x7f800001
	s_xor_b64 s[4:5], exec, -1
; %bb.3623:
	s_or_b64 exec, exec, s[8:9]
	s_and_b64 s[4:5], s[4:5], exec
	s_or_saveexec_b64 s[6:7], s[6:7]
	v_mov_b32_e32 v14, s10
	s_xor_b64 exec, exec, s[6:7]
	s_cbranch_execz .LBB33_1574
.LBB33_3624:
	v_mov_b32_e32 v14, 0
	v_cmp_ne_u16_sdwa s[8:9], v11, v14 src0_sel:BYTE_0 src1_sel:DWORD
	s_andn2_b64 s[4:5], s[4:5], exec
	s_and_b64 s[8:9], s[8:9], exec
	s_or_b64 s[4:5], s[4:5], s[8:9]
	s_or_b64 exec, exec, s[6:7]
	s_and_saveexec_b64 s[6:7], s[4:5]
	s_cbranch_execnz .LBB33_1575
	s_branch .LBB33_1576
.LBB33_3625:
	s_movk_i32 s4, 0x80
	v_cmp_eq_u16_sdwa s[12:13], v14, s4 src0_sel:BYTE_0 src1_sel:DWORD
	s_mov_b64 s[4:5], -1
                                        ; implicit-def: $sgpr10
	s_and_saveexec_b64 s[8:9], s[12:13]
; %bb.3626:
	s_mov_b32 s10, 0x7f800001
	s_xor_b64 s[4:5], exec, -1
; %bb.3627:
	s_or_b64 exec, exec, s[8:9]
	s_and_b64 s[4:5], s[4:5], exec
	s_or_saveexec_b64 s[6:7], s[6:7]
	v_mov_b32_e32 v10, s10
	s_xor_b64 exec, exec, s[6:7]
	s_cbranch_execz .LBB33_1578
.LBB33_3628:
	v_mov_b32_e32 v10, 0
	v_cmp_ne_u16_sdwa s[8:9], v14, v10 src0_sel:BYTE_0 src1_sel:DWORD
	s_andn2_b64 s[4:5], s[4:5], exec
	s_and_b64 s[8:9], s[8:9], exec
	s_or_b64 s[4:5], s[4:5], s[8:9]
	s_or_b64 exec, exec, s[6:7]
	s_and_saveexec_b64 s[6:7], s[4:5]
	s_cbranch_execnz .LBB33_1579
	s_branch .LBB33_1580
.LBB33_3629:
	s_movk_i32 s4, 0x80
	v_cmp_eq_u16_sdwa s[12:13], v14, s4 src0_sel:BYTE_0 src1_sel:DWORD
	s_mov_b64 s[4:5], -1
                                        ; implicit-def: $sgpr10
	s_and_saveexec_b64 s[8:9], s[12:13]
; %bb.3630:
	s_mov_b32 s10, 0x7f800001
	s_xor_b64 s[4:5], exec, -1
; %bb.3631:
	s_or_b64 exec, exec, s[8:9]
	s_and_b64 s[4:5], s[4:5], exec
	s_or_saveexec_b64 s[6:7], s[6:7]
	v_mov_b32_e32 v20, s10
	s_xor_b64 exec, exec, s[6:7]
	s_cbranch_execz .LBB33_1582
.LBB33_3632:
	v_mov_b32_e32 v20, 0
	v_cmp_ne_u16_sdwa s[8:9], v14, v20 src0_sel:BYTE_0 src1_sel:DWORD
	s_andn2_b64 s[4:5], s[4:5], exec
	s_and_b64 s[8:9], s[8:9], exec
	s_or_b64 s[4:5], s[4:5], s[8:9]
	s_or_b64 exec, exec, s[6:7]
	s_and_saveexec_b64 s[6:7], s[4:5]
	s_cbranch_execnz .LBB33_1583
	s_branch .LBB33_1584
.LBB33_3633:
	s_movk_i32 s4, 0x80
	v_cmp_eq_u16_e32 vcc, s4, v14
	s_mov_b64 s[4:5], -1
                                        ; implicit-def: $sgpr10
	s_and_saveexec_b64 s[8:9], vcc
; %bb.3634:
	s_mov_b32 s10, 0x7f800001
	s_xor_b64 s[4:5], exec, -1
; %bb.3635:
	s_or_b64 exec, exec, s[8:9]
	s_and_b64 s[4:5], s[4:5], exec
                                        ; implicit-def: $vgpr14
	s_or_saveexec_b64 s[6:7], s[6:7]
	v_mov_b32_e32 v10, s10
	s_xor_b64 exec, exec, s[6:7]
	s_cbranch_execz .LBB33_1586
.LBB33_3636:
	v_cmp_ne_u16_e32 vcc, 0, v14
	s_andn2_b64 s[4:5], s[4:5], exec
	s_and_b64 s[8:9], vcc, exec
	v_mov_b32_e32 v10, 0
	s_or_b64 s[4:5], s[4:5], s[8:9]
	s_or_b64 exec, exec, s[6:7]
	s_and_saveexec_b64 s[6:7], s[4:5]
	s_cbranch_execnz .LBB33_1587
	s_branch .LBB33_1588
.LBB33_3637:
	s_movk_i32 s4, 0x80
	v_cmp_eq_u16_e32 vcc, s4, v14
	s_mov_b64 s[4:5], -1
                                        ; implicit-def: $sgpr10
	s_and_saveexec_b64 s[8:9], vcc
; %bb.3638:
	s_mov_b32 s10, 0x7f800001
	s_xor_b64 s[4:5], exec, -1
; %bb.3639:
	s_or_b64 exec, exec, s[8:9]
	s_and_b64 s[4:5], s[4:5], exec
                                        ; implicit-def: $vgpr14
	s_or_saveexec_b64 s[6:7], s[6:7]
	v_mov_b32_e32 v20, s10
	s_xor_b64 exec, exec, s[6:7]
	s_cbranch_execz .LBB33_1590
.LBB33_3640:
	v_cmp_ne_u16_e32 vcc, 0, v14
	s_andn2_b64 s[4:5], s[4:5], exec
	s_and_b64 s[8:9], vcc, exec
	v_mov_b32_e32 v20, 0
	s_or_b64 s[4:5], s[4:5], s[8:9]
	s_or_b64 exec, exec, s[6:7]
	s_and_saveexec_b64 s[6:7], s[4:5]
	s_cbranch_execnz .LBB33_1591
	s_branch .LBB33_1592
.LBB33_3641:
	s_movk_i32 s4, 0x80
	v_cmp_eq_u16_sdwa s[12:13], v15, s4 src0_sel:BYTE_3 src1_sel:DWORD
	s_mov_b64 s[4:5], -1
                                        ; implicit-def: $sgpr10
	s_and_saveexec_b64 s[8:9], s[12:13]
; %bb.3642:
	s_mov_b32 s10, 0x7f800001
	s_xor_b64 s[4:5], exec, -1
; %bb.3643:
	s_or_b64 exec, exec, s[8:9]
	s_and_b64 s[4:5], s[4:5], exec
	s_or_saveexec_b64 s[6:7], s[6:7]
	v_mov_b32_e32 v10, s10
	s_xor_b64 exec, exec, s[6:7]
	s_cbranch_execz .LBB33_1594
.LBB33_3644:
	v_mov_b32_e32 v10, 0
	v_cmp_ne_u16_sdwa s[8:9], v15, v10 src0_sel:BYTE_3 src1_sel:DWORD
	s_andn2_b64 s[4:5], s[4:5], exec
	s_and_b64 s[8:9], s[8:9], exec
	s_or_b64 s[4:5], s[4:5], s[8:9]
	s_or_b64 exec, exec, s[6:7]
	s_and_saveexec_b64 s[6:7], s[4:5]
	s_cbranch_execnz .LBB33_1595
	s_branch .LBB33_1596
.LBB33_3645:
	s_movk_i32 s4, 0x80
	v_cmp_eq_u16_sdwa s[12:13], v11, s4 src0_sel:BYTE_3 src1_sel:DWORD
	s_mov_b64 s[4:5], -1
                                        ; implicit-def: $sgpr10
	s_and_saveexec_b64 s[8:9], s[12:13]
; %bb.3646:
	s_mov_b32 s10, 0x7f800001
	s_xor_b64 s[4:5], exec, -1
; %bb.3647:
	s_or_b64 exec, exec, s[8:9]
	s_and_b64 s[4:5], s[4:5], exec
	s_or_saveexec_b64 s[6:7], s[6:7]
	v_mov_b32_e32 v14, s10
	s_xor_b64 exec, exec, s[6:7]
	s_cbranch_execz .LBB33_1598
.LBB33_3648:
	v_mov_b32_e32 v14, 0
	v_cmp_ne_u16_sdwa s[8:9], v11, v14 src0_sel:BYTE_3 src1_sel:DWORD
	s_andn2_b64 s[4:5], s[4:5], exec
	s_and_b64 s[8:9], s[8:9], exec
	s_or_b64 s[4:5], s[4:5], s[8:9]
	s_or_b64 exec, exec, s[6:7]
	s_and_saveexec_b64 s[6:7], s[4:5]
	s_cbranch_execnz .LBB33_1599
	s_branch .LBB33_1600
.LBB33_3649:
	s_movk_i32 s4, 0x80
	v_cmp_eq_u16_sdwa s[12:13], v16, s4 src0_sel:BYTE_0 src1_sel:DWORD
	s_mov_b64 s[4:5], -1
                                        ; implicit-def: $sgpr10
	s_and_saveexec_b64 s[8:9], s[12:13]
; %bb.3650:
	s_mov_b32 s10, 0x7f800001
	s_xor_b64 s[4:5], exec, -1
; %bb.3651:
	s_or_b64 exec, exec, s[8:9]
	s_and_b64 s[4:5], s[4:5], exec
	s_or_saveexec_b64 s[6:7], s[6:7]
	v_mov_b32_e32 v10, s10
	s_xor_b64 exec, exec, s[6:7]
	s_cbranch_execz .LBB33_1602
.LBB33_3652:
	v_mov_b32_e32 v10, 0
	v_cmp_ne_u16_sdwa s[8:9], v16, v10 src0_sel:BYTE_0 src1_sel:DWORD
	s_andn2_b64 s[4:5], s[4:5], exec
	s_and_b64 s[8:9], s[8:9], exec
	s_or_b64 s[4:5], s[4:5], s[8:9]
	s_or_b64 exec, exec, s[6:7]
	s_and_saveexec_b64 s[6:7], s[4:5]
	s_cbranch_execnz .LBB33_1603
	s_branch .LBB33_1604
.LBB33_3653:
	s_movk_i32 s4, 0x80
	v_cmp_eq_u16_sdwa s[12:13], v12, s4 src0_sel:BYTE_0 src1_sel:DWORD
	s_mov_b64 s[4:5], -1
                                        ; implicit-def: $sgpr10
	s_and_saveexec_b64 s[8:9], s[12:13]
; %bb.3654:
	s_mov_b32 s10, 0x7f800001
	s_xor_b64 s[4:5], exec, -1
; %bb.3655:
	s_or_b64 exec, exec, s[8:9]
	s_and_b64 s[4:5], s[4:5], exec
	s_or_saveexec_b64 s[6:7], s[6:7]
	v_mov_b32_e32 v11, s10
	s_xor_b64 exec, exec, s[6:7]
	s_cbranch_execz .LBB33_1606
.LBB33_3656:
	v_mov_b32_e32 v11, 0
	v_cmp_ne_u16_sdwa s[8:9], v12, v11 src0_sel:BYTE_0 src1_sel:DWORD
	s_andn2_b64 s[4:5], s[4:5], exec
	s_and_b64 s[8:9], s[8:9], exec
	s_or_b64 s[4:5], s[4:5], s[8:9]
	s_or_b64 exec, exec, s[6:7]
	s_and_saveexec_b64 s[6:7], s[4:5]
	s_cbranch_execnz .LBB33_1607
	s_branch .LBB33_1608
.LBB33_3657:
	s_movk_i32 s4, 0x80
	v_cmp_eq_u16_sdwa s[12:13], v11, s4 src0_sel:BYTE_0 src1_sel:DWORD
	s_mov_b64 s[4:5], -1
                                        ; implicit-def: $sgpr10
	s_and_saveexec_b64 s[8:9], s[12:13]
; %bb.3658:
	s_mov_b32 s10, 0x7f800001
	s_xor_b64 s[4:5], exec, -1
; %bb.3659:
	s_or_b64 exec, exec, s[8:9]
	s_and_b64 s[4:5], s[4:5], exec
	s_or_saveexec_b64 s[6:7], s[6:7]
	v_mov_b32_e32 v10, s10
	s_xor_b64 exec, exec, s[6:7]
	s_cbranch_execz .LBB33_1610
.LBB33_3660:
	v_mov_b32_e32 v10, 0
	v_cmp_ne_u16_sdwa s[8:9], v11, v10 src0_sel:BYTE_0 src1_sel:DWORD
	s_andn2_b64 s[4:5], s[4:5], exec
	s_and_b64 s[8:9], s[8:9], exec
	s_or_b64 s[4:5], s[4:5], s[8:9]
	s_or_b64 exec, exec, s[6:7]
	s_and_saveexec_b64 s[6:7], s[4:5]
	s_cbranch_execnz .LBB33_1611
	s_branch .LBB33_1612
.LBB33_3661:
	s_movk_i32 s4, 0x80
	v_cmp_eq_u16_sdwa s[12:13], v11, s4 src0_sel:BYTE_0 src1_sel:DWORD
	s_mov_b64 s[4:5], -1
                                        ; implicit-def: $sgpr10
	s_and_saveexec_b64 s[8:9], s[12:13]
; %bb.3662:
	s_mov_b32 s10, 0x7f800001
	s_xor_b64 s[4:5], exec, -1
; %bb.3663:
	s_or_b64 exec, exec, s[8:9]
	s_and_b64 s[4:5], s[4:5], exec
	s_or_saveexec_b64 s[6:7], s[6:7]
	v_mov_b32_e32 v14, s10
	s_xor_b64 exec, exec, s[6:7]
	s_cbranch_execz .LBB33_1614
.LBB33_3664:
	v_mov_b32_e32 v14, 0
	v_cmp_ne_u16_sdwa s[8:9], v11, v14 src0_sel:BYTE_0 src1_sel:DWORD
	s_andn2_b64 s[4:5], s[4:5], exec
	s_and_b64 s[8:9], s[8:9], exec
	s_or_b64 s[4:5], s[4:5], s[8:9]
	s_or_b64 exec, exec, s[6:7]
	s_and_saveexec_b64 s[6:7], s[4:5]
	s_cbranch_execnz .LBB33_1615
	s_branch .LBB33_1616
.LBB33_3665:
	s_movk_i32 s4, 0x80
	v_cmp_eq_u16_e32 vcc, s4, v11
	s_mov_b64 s[4:5], -1
                                        ; implicit-def: $sgpr10
	s_and_saveexec_b64 s[8:9], vcc
; %bb.3666:
	s_mov_b32 s10, 0x7f800001
	s_xor_b64 s[4:5], exec, -1
; %bb.3667:
	s_or_b64 exec, exec, s[8:9]
	s_and_b64 s[4:5], s[4:5], exec
                                        ; implicit-def: $vgpr11
	s_or_saveexec_b64 s[6:7], s[6:7]
	v_mov_b32_e32 v10, s10
	s_xor_b64 exec, exec, s[6:7]
	s_cbranch_execz .LBB33_1618
.LBB33_3668:
	v_cmp_ne_u16_e32 vcc, 0, v11
	s_andn2_b64 s[4:5], s[4:5], exec
	s_and_b64 s[8:9], vcc, exec
	v_mov_b32_e32 v10, 0
	s_or_b64 s[4:5], s[4:5], s[8:9]
	s_or_b64 exec, exec, s[6:7]
	s_and_saveexec_b64 s[6:7], s[4:5]
	s_cbranch_execnz .LBB33_1619
	s_branch .LBB33_1620
.LBB33_3669:
	s_movk_i32 s4, 0x80
	v_cmp_eq_u16_e32 vcc, s4, v11
	s_mov_b64 s[4:5], -1
                                        ; implicit-def: $sgpr10
	s_and_saveexec_b64 s[8:9], vcc
; %bb.3670:
	s_mov_b32 s10, 0x7f800001
	s_xor_b64 s[4:5], exec, -1
; %bb.3671:
	s_or_b64 exec, exec, s[8:9]
	s_and_b64 s[4:5], s[4:5], exec
                                        ; implicit-def: $vgpr11
	s_or_saveexec_b64 s[6:7], s[6:7]
	v_mov_b32_e32 v14, s10
	s_xor_b64 exec, exec, s[6:7]
	s_cbranch_execz .LBB33_1622
.LBB33_3672:
	v_cmp_ne_u16_e32 vcc, 0, v11
	s_andn2_b64 s[4:5], s[4:5], exec
	s_and_b64 s[8:9], vcc, exec
	v_mov_b32_e32 v14, 0
	s_or_b64 s[4:5], s[4:5], s[8:9]
	s_or_b64 exec, exec, s[6:7]
	s_and_saveexec_b64 s[6:7], s[4:5]
	s_cbranch_execnz .LBB33_1623
	s_branch .LBB33_1624
.LBB33_3673:
	s_movk_i32 s4, 0x80
	v_cmp_eq_u16_sdwa s[12:13], v16, s4 src0_sel:BYTE_3 src1_sel:DWORD
	s_mov_b64 s[4:5], -1
                                        ; implicit-def: $sgpr10
	s_and_saveexec_b64 s[8:9], s[12:13]
; %bb.3674:
	s_mov_b32 s10, 0x7f800001
	s_xor_b64 s[4:5], exec, -1
; %bb.3675:
	s_or_b64 exec, exec, s[8:9]
	s_and_b64 s[4:5], s[4:5], exec
	s_or_saveexec_b64 s[6:7], s[6:7]
	v_mov_b32_e32 v10, s10
	s_xor_b64 exec, exec, s[6:7]
	s_cbranch_execz .LBB33_1626
.LBB33_3676:
	v_mov_b32_e32 v10, 0
	v_cmp_ne_u16_sdwa s[8:9], v16, v10 src0_sel:BYTE_3 src1_sel:DWORD
	s_andn2_b64 s[4:5], s[4:5], exec
	s_and_b64 s[8:9], s[8:9], exec
	s_or_b64 s[4:5], s[4:5], s[8:9]
	s_or_b64 exec, exec, s[6:7]
	s_and_saveexec_b64 s[6:7], s[4:5]
	s_cbranch_execnz .LBB33_1627
	s_branch .LBB33_1628
.LBB33_3677:
	s_movk_i32 s4, 0x80
	v_cmp_eq_u16_sdwa s[12:13], v12, s4 src0_sel:BYTE_3 src1_sel:DWORD
	s_mov_b64 s[4:5], -1
                                        ; implicit-def: $sgpr10
	s_and_saveexec_b64 s[8:9], s[12:13]
; %bb.3678:
	s_mov_b32 s10, 0x7f800001
	s_xor_b64 s[4:5], exec, -1
; %bb.3679:
	s_or_b64 exec, exec, s[8:9]
	s_and_b64 s[4:5], s[4:5], exec
	s_or_saveexec_b64 s[6:7], s[6:7]
	v_mov_b32_e32 v11, s10
	s_xor_b64 exec, exec, s[6:7]
	s_cbranch_execz .LBB33_1630
.LBB33_3680:
	v_mov_b32_e32 v11, 0
	v_cmp_ne_u16_sdwa s[8:9], v12, v11 src0_sel:BYTE_3 src1_sel:DWORD
	s_andn2_b64 s[4:5], s[4:5], exec
	s_and_b64 s[8:9], s[8:9], exec
	s_or_b64 s[4:5], s[4:5], s[8:9]
	s_or_b64 exec, exec, s[6:7]
	s_and_saveexec_b64 s[6:7], s[4:5]
	s_cbranch_execnz .LBB33_1631
	s_branch .LBB33_1632
.LBB33_3681:
	s_movk_i32 s4, 0x80
	v_cmp_eq_u16_sdwa s[12:13], v17, s4 src0_sel:BYTE_0 src1_sel:DWORD
	s_mov_b64 s[4:5], -1
                                        ; implicit-def: $sgpr10
	s_and_saveexec_b64 s[8:9], s[12:13]
; %bb.3682:
	s_mov_b32 s10, 0x7f800001
	s_xor_b64 s[4:5], exec, -1
; %bb.3683:
	s_or_b64 exec, exec, s[8:9]
	s_and_b64 s[4:5], s[4:5], exec
	s_or_saveexec_b64 s[6:7], s[6:7]
	v_mov_b32_e32 v10, s10
	s_xor_b64 exec, exec, s[6:7]
	s_cbranch_execz .LBB33_1634
.LBB33_3684:
	v_mov_b32_e32 v10, 0
	v_cmp_ne_u16_sdwa s[8:9], v17, v10 src0_sel:BYTE_0 src1_sel:DWORD
	s_andn2_b64 s[4:5], s[4:5], exec
	s_and_b64 s[8:9], s[8:9], exec
	s_or_b64 s[4:5], s[4:5], s[8:9]
	s_or_b64 exec, exec, s[6:7]
	s_and_saveexec_b64 s[6:7], s[4:5]
	s_cbranch_execnz .LBB33_1635
	s_branch .LBB33_1636
.LBB33_3685:
	s_movk_i32 s4, 0x80
	v_cmp_eq_u16_sdwa s[12:13], v13, s4 src0_sel:BYTE_0 src1_sel:DWORD
	s_mov_b64 s[4:5], -1
                                        ; implicit-def: $sgpr10
	s_and_saveexec_b64 s[8:9], s[12:13]
; %bb.3686:
	s_mov_b32 s10, 0x7f800001
	s_xor_b64 s[4:5], exec, -1
; %bb.3687:
	s_or_b64 exec, exec, s[8:9]
	s_and_b64 s[4:5], s[4:5], exec
	s_or_saveexec_b64 s[6:7], s[6:7]
	v_mov_b32_e32 v11, s10
	s_xor_b64 exec, exec, s[6:7]
	s_cbranch_execz .LBB33_1638
.LBB33_3688:
	v_mov_b32_e32 v11, 0
	v_cmp_ne_u16_sdwa s[8:9], v13, v11 src0_sel:BYTE_0 src1_sel:DWORD
	s_andn2_b64 s[4:5], s[4:5], exec
	s_and_b64 s[8:9], s[8:9], exec
	s_or_b64 s[4:5], s[4:5], s[8:9]
	s_or_b64 exec, exec, s[6:7]
	s_and_saveexec_b64 s[6:7], s[4:5]
	s_cbranch_execnz .LBB33_1639
	s_branch .LBB33_1640
.LBB33_3689:
	s_movk_i32 s4, 0x80
	v_cmp_eq_u16_sdwa s[12:13], v11, s4 src0_sel:BYTE_0 src1_sel:DWORD
	s_mov_b64 s[4:5], -1
                                        ; implicit-def: $sgpr10
	s_and_saveexec_b64 s[8:9], s[12:13]
; %bb.3690:
	s_mov_b32 s10, 0x7f800001
	s_xor_b64 s[4:5], exec, -1
; %bb.3691:
	s_or_b64 exec, exec, s[8:9]
	s_and_b64 s[4:5], s[4:5], exec
	s_or_saveexec_b64 s[6:7], s[6:7]
	v_mov_b32_e32 v10, s10
	s_xor_b64 exec, exec, s[6:7]
	s_cbranch_execz .LBB33_1642
.LBB33_3692:
	v_mov_b32_e32 v10, 0
	v_cmp_ne_u16_sdwa s[8:9], v11, v10 src0_sel:BYTE_0 src1_sel:DWORD
	s_andn2_b64 s[4:5], s[4:5], exec
	s_and_b64 s[8:9], s[8:9], exec
	s_or_b64 s[4:5], s[4:5], s[8:9]
	s_or_b64 exec, exec, s[6:7]
	s_and_saveexec_b64 s[6:7], s[4:5]
	s_cbranch_execnz .LBB33_1643
	s_branch .LBB33_1644
.LBB33_3693:
	s_movk_i32 s4, 0x80
	v_cmp_eq_u16_sdwa s[12:13], v11, s4 src0_sel:BYTE_0 src1_sel:DWORD
	s_mov_b64 s[4:5], -1
                                        ; implicit-def: $sgpr10
	s_and_saveexec_b64 s[8:9], s[12:13]
; %bb.3694:
	s_mov_b32 s10, 0x7f800001
	s_xor_b64 s[4:5], exec, -1
; %bb.3695:
	s_or_b64 exec, exec, s[8:9]
	s_and_b64 s[4:5], s[4:5], exec
	s_or_saveexec_b64 s[6:7], s[6:7]
	v_mov_b32_e32 v12, s10
	s_xor_b64 exec, exec, s[6:7]
	s_cbranch_execz .LBB33_1646
.LBB33_3696:
	v_mov_b32_e32 v12, 0
	v_cmp_ne_u16_sdwa s[8:9], v11, v12 src0_sel:BYTE_0 src1_sel:DWORD
	s_andn2_b64 s[4:5], s[4:5], exec
	s_and_b64 s[8:9], s[8:9], exec
	s_or_b64 s[4:5], s[4:5], s[8:9]
	s_or_b64 exec, exec, s[6:7]
	s_and_saveexec_b64 s[6:7], s[4:5]
	s_cbranch_execnz .LBB33_1647
	s_branch .LBB33_1648
.LBB33_3697:
	s_movk_i32 s4, 0x80
	v_cmp_eq_u16_e32 vcc, s4, v11
	s_mov_b64 s[4:5], -1
                                        ; implicit-def: $sgpr10
	s_and_saveexec_b64 s[8:9], vcc
; %bb.3698:
	s_mov_b32 s10, 0x7f800001
	s_xor_b64 s[4:5], exec, -1
; %bb.3699:
	s_or_b64 exec, exec, s[8:9]
	s_and_b64 s[4:5], s[4:5], exec
                                        ; implicit-def: $vgpr11
	s_or_saveexec_b64 s[6:7], s[6:7]
	v_mov_b32_e32 v10, s10
	s_xor_b64 exec, exec, s[6:7]
	s_cbranch_execz .LBB33_1650
.LBB33_3700:
	v_cmp_ne_u16_e32 vcc, 0, v11
	s_andn2_b64 s[4:5], s[4:5], exec
	s_and_b64 s[8:9], vcc, exec
	v_mov_b32_e32 v10, 0
	s_or_b64 s[4:5], s[4:5], s[8:9]
	s_or_b64 exec, exec, s[6:7]
	s_and_saveexec_b64 s[6:7], s[4:5]
	s_cbranch_execnz .LBB33_1651
	s_branch .LBB33_1652
.LBB33_3701:
	s_movk_i32 s4, 0x80
	v_cmp_eq_u16_e32 vcc, s4, v11
	s_mov_b64 s[4:5], -1
                                        ; implicit-def: $sgpr10
	s_and_saveexec_b64 s[8:9], vcc
; %bb.3702:
	s_mov_b32 s10, 0x7f800001
	s_xor_b64 s[4:5], exec, -1
; %bb.3703:
	s_or_b64 exec, exec, s[8:9]
	s_and_b64 s[4:5], s[4:5], exec
                                        ; implicit-def: $vgpr11
	s_or_saveexec_b64 s[6:7], s[6:7]
	v_mov_b32_e32 v12, s10
	s_xor_b64 exec, exec, s[6:7]
	s_cbranch_execz .LBB33_1654
.LBB33_3704:
	v_cmp_ne_u16_e32 vcc, 0, v11
	s_andn2_b64 s[4:5], s[4:5], exec
	s_and_b64 s[8:9], vcc, exec
	v_mov_b32_e32 v12, 0
	s_or_b64 s[4:5], s[4:5], s[8:9]
	s_or_b64 exec, exec, s[6:7]
	s_and_saveexec_b64 s[6:7], s[4:5]
	s_cbranch_execnz .LBB33_1655
	s_branch .LBB33_1656
.LBB33_3705:
	s_movk_i32 s4, 0x80
	v_cmp_eq_u16_sdwa s[12:13], v17, s4 src0_sel:BYTE_3 src1_sel:DWORD
	s_mov_b64 s[4:5], -1
                                        ; implicit-def: $sgpr10
	s_and_saveexec_b64 s[8:9], s[12:13]
; %bb.3706:
	s_mov_b32 s10, 0x7f800001
	s_xor_b64 s[4:5], exec, -1
; %bb.3707:
	s_or_b64 exec, exec, s[8:9]
	s_and_b64 s[4:5], s[4:5], exec
	s_or_saveexec_b64 s[6:7], s[6:7]
	v_mov_b32_e32 v10, s10
	s_xor_b64 exec, exec, s[6:7]
	s_cbranch_execz .LBB33_1658
.LBB33_3708:
	v_mov_b32_e32 v10, 0
	v_cmp_ne_u16_sdwa s[8:9], v17, v10 src0_sel:BYTE_3 src1_sel:DWORD
	s_andn2_b64 s[4:5], s[4:5], exec
	s_and_b64 s[8:9], s[8:9], exec
	s_or_b64 s[4:5], s[4:5], s[8:9]
	s_or_b64 exec, exec, s[6:7]
	s_and_saveexec_b64 s[6:7], s[4:5]
	s_cbranch_execnz .LBB33_1659
	s_branch .LBB33_1660
.LBB33_3709:
	s_movk_i32 s4, 0x80
	v_cmp_eq_u16_sdwa s[12:13], v13, s4 src0_sel:BYTE_3 src1_sel:DWORD
	s_mov_b64 s[4:5], -1
                                        ; implicit-def: $sgpr10
	s_and_saveexec_b64 s[8:9], s[12:13]
; %bb.3710:
	s_mov_b32 s10, 0x7f800001
	s_xor_b64 s[4:5], exec, -1
; %bb.3711:
	s_or_b64 exec, exec, s[8:9]
	s_and_b64 s[4:5], s[4:5], exec
	s_or_saveexec_b64 s[6:7], s[6:7]
	v_mov_b32_e32 v11, s10
	s_xor_b64 exec, exec, s[6:7]
	s_cbranch_execz .LBB33_1662
.LBB33_3712:
	v_mov_b32_e32 v11, 0
	v_cmp_ne_u16_sdwa s[8:9], v13, v11 src0_sel:BYTE_3 src1_sel:DWORD
	s_andn2_b64 s[4:5], s[4:5], exec
	s_and_b64 s[8:9], s[8:9], exec
	s_or_b64 s[4:5], s[4:5], s[8:9]
	s_or_b64 exec, exec, s[6:7]
	s_and_saveexec_b64 s[6:7], s[4:5]
	s_cbranch_execnz .LBB33_1663
	s_branch .LBB33_1664
.LBB33_3713:
	s_movk_i32 s4, 0x80
	v_cmp_eq_u16_sdwa s[12:13], v6, s4 src0_sel:BYTE_0 src1_sel:DWORD
	s_mov_b64 s[4:5], -1
                                        ; implicit-def: $sgpr10
	s_and_saveexec_b64 s[8:9], s[12:13]
; %bb.3714:
	s_mov_b32 s10, 0x7f800001
	s_xor_b64 s[4:5], exec, -1
; %bb.3715:
	s_or_b64 exec, exec, s[8:9]
	s_and_b64 s[4:5], s[4:5], exec
	s_or_saveexec_b64 s[6:7], s[6:7]
	v_mov_b32_e32 v10, s10
	s_xor_b64 exec, exec, s[6:7]
	s_cbranch_execz .LBB33_1666
.LBB33_3716:
	v_mov_b32_e32 v10, 0
	v_cmp_ne_u16_sdwa s[8:9], v6, v10 src0_sel:BYTE_0 src1_sel:DWORD
	s_andn2_b64 s[4:5], s[4:5], exec
	s_and_b64 s[8:9], s[8:9], exec
	s_or_b64 s[4:5], s[4:5], s[8:9]
	s_or_b64 exec, exec, s[6:7]
	s_and_saveexec_b64 s[6:7], s[4:5]
	s_cbranch_execnz .LBB33_1667
	s_branch .LBB33_1668
.LBB33_3717:
	s_movk_i32 s4, 0x80
	v_cmp_eq_u16_sdwa s[12:13], v2, s4 src0_sel:BYTE_0 src1_sel:DWORD
	s_mov_b64 s[4:5], -1
                                        ; implicit-def: $sgpr10
	s_and_saveexec_b64 s[8:9], s[12:13]
; %bb.3718:
	s_mov_b32 s10, 0x7f800001
	s_xor_b64 s[4:5], exec, -1
; %bb.3719:
	s_or_b64 exec, exec, s[8:9]
	s_and_b64 s[4:5], s[4:5], exec
	s_or_saveexec_b64 s[6:7], s[6:7]
	v_mov_b32_e32 v11, s10
	s_xor_b64 exec, exec, s[6:7]
	s_cbranch_execz .LBB33_1670
.LBB33_3720:
	v_mov_b32_e32 v11, 0
	v_cmp_ne_u16_sdwa s[8:9], v2, v11 src0_sel:BYTE_0 src1_sel:DWORD
	s_andn2_b64 s[4:5], s[4:5], exec
	s_and_b64 s[8:9], s[8:9], exec
	s_or_b64 s[4:5], s[4:5], s[8:9]
	s_or_b64 exec, exec, s[6:7]
	s_and_saveexec_b64 s[6:7], s[4:5]
	s_cbranch_execnz .LBB33_1671
	s_branch .LBB33_1672
.LBB33_3721:
	s_movk_i32 s4, 0x80
	v_cmp_eq_u16_sdwa s[12:13], v11, s4 src0_sel:BYTE_0 src1_sel:DWORD
	s_mov_b64 s[4:5], -1
                                        ; implicit-def: $sgpr10
	s_and_saveexec_b64 s[8:9], s[12:13]
; %bb.3722:
	s_mov_b32 s10, 0x7f800001
	s_xor_b64 s[4:5], exec, -1
; %bb.3723:
	s_or_b64 exec, exec, s[8:9]
	s_and_b64 s[4:5], s[4:5], exec
	s_or_saveexec_b64 s[6:7], s[6:7]
	v_mov_b32_e32 v10, s10
	s_xor_b64 exec, exec, s[6:7]
	s_cbranch_execz .LBB33_1674
.LBB33_3724:
	v_mov_b32_e32 v10, 0
	v_cmp_ne_u16_sdwa s[8:9], v11, v10 src0_sel:BYTE_0 src1_sel:DWORD
	s_andn2_b64 s[4:5], s[4:5], exec
	s_and_b64 s[8:9], s[8:9], exec
	s_or_b64 s[4:5], s[4:5], s[8:9]
	s_or_b64 exec, exec, s[6:7]
	s_and_saveexec_b64 s[6:7], s[4:5]
	s_cbranch_execnz .LBB33_1675
	s_branch .LBB33_1676
.LBB33_3725:
	s_movk_i32 s4, 0x80
	v_cmp_eq_u16_sdwa s[12:13], v11, s4 src0_sel:BYTE_0 src1_sel:DWORD
	s_mov_b64 s[4:5], -1
                                        ; implicit-def: $sgpr10
	s_and_saveexec_b64 s[8:9], s[12:13]
; %bb.3726:
	s_mov_b32 s10, 0x7f800001
	s_xor_b64 s[4:5], exec, -1
; %bb.3727:
	s_or_b64 exec, exec, s[8:9]
	s_and_b64 s[4:5], s[4:5], exec
	s_or_saveexec_b64 s[6:7], s[6:7]
	v_mov_b32_e32 v12, s10
	s_xor_b64 exec, exec, s[6:7]
	s_cbranch_execz .LBB33_1678
.LBB33_3728:
	v_mov_b32_e32 v12, 0
	v_cmp_ne_u16_sdwa s[8:9], v11, v12 src0_sel:BYTE_0 src1_sel:DWORD
	s_andn2_b64 s[4:5], s[4:5], exec
	s_and_b64 s[8:9], s[8:9], exec
	s_or_b64 s[4:5], s[4:5], s[8:9]
	s_or_b64 exec, exec, s[6:7]
	s_and_saveexec_b64 s[6:7], s[4:5]
	s_cbranch_execnz .LBB33_1679
	s_branch .LBB33_1680
.LBB33_3729:
	s_movk_i32 s4, 0x80
	v_cmp_eq_u16_e32 vcc, s4, v11
	s_mov_b64 s[4:5], -1
                                        ; implicit-def: $sgpr10
	s_and_saveexec_b64 s[8:9], vcc
; %bb.3730:
	s_mov_b32 s10, 0x7f800001
	s_xor_b64 s[4:5], exec, -1
; %bb.3731:
	s_or_b64 exec, exec, s[8:9]
	s_and_b64 s[4:5], s[4:5], exec
                                        ; implicit-def: $vgpr11
	s_or_saveexec_b64 s[6:7], s[6:7]
	v_mov_b32_e32 v10, s10
	s_xor_b64 exec, exec, s[6:7]
	s_cbranch_execz .LBB33_1682
.LBB33_3732:
	v_cmp_ne_u16_e32 vcc, 0, v11
	s_andn2_b64 s[4:5], s[4:5], exec
	s_and_b64 s[8:9], vcc, exec
	v_mov_b32_e32 v10, 0
	s_or_b64 s[4:5], s[4:5], s[8:9]
	s_or_b64 exec, exec, s[6:7]
	s_and_saveexec_b64 s[6:7], s[4:5]
	s_cbranch_execnz .LBB33_1683
	s_branch .LBB33_1684
.LBB33_3733:
	s_movk_i32 s4, 0x80
	v_cmp_eq_u16_e32 vcc, s4, v11
	s_mov_b64 s[4:5], -1
                                        ; implicit-def: $sgpr10
	s_and_saveexec_b64 s[8:9], vcc
; %bb.3734:
	s_mov_b32 s10, 0x7f800001
	s_xor_b64 s[4:5], exec, -1
; %bb.3735:
	s_or_b64 exec, exec, s[8:9]
	s_and_b64 s[4:5], s[4:5], exec
                                        ; implicit-def: $vgpr11
	s_or_saveexec_b64 s[6:7], s[6:7]
	v_mov_b32_e32 v12, s10
	s_xor_b64 exec, exec, s[6:7]
	s_cbranch_execz .LBB33_1686
.LBB33_3736:
	v_cmp_ne_u16_e32 vcc, 0, v11
	s_andn2_b64 s[4:5], s[4:5], exec
	s_and_b64 s[8:9], vcc, exec
	v_mov_b32_e32 v12, 0
	s_or_b64 s[4:5], s[4:5], s[8:9]
	s_or_b64 exec, exec, s[6:7]
	s_and_saveexec_b64 s[6:7], s[4:5]
	s_cbranch_execnz .LBB33_1687
	s_branch .LBB33_1688
.LBB33_3737:
	s_movk_i32 s4, 0x80
	v_cmp_eq_u16_sdwa s[12:13], v6, s4 src0_sel:BYTE_3 src1_sel:DWORD
	s_mov_b64 s[4:5], -1
                                        ; implicit-def: $sgpr10
	s_and_saveexec_b64 s[8:9], s[12:13]
; %bb.3738:
	s_mov_b32 s10, 0x7f800001
	s_xor_b64 s[4:5], exec, -1
; %bb.3739:
	s_or_b64 exec, exec, s[8:9]
	s_and_b64 s[4:5], s[4:5], exec
	s_or_saveexec_b64 s[6:7], s[6:7]
	v_mov_b32_e32 v10, s10
	s_xor_b64 exec, exec, s[6:7]
	s_cbranch_execz .LBB33_1690
.LBB33_3740:
	v_mov_b32_e32 v10, 0
	v_cmp_ne_u16_sdwa s[8:9], v6, v10 src0_sel:BYTE_3 src1_sel:DWORD
	s_andn2_b64 s[4:5], s[4:5], exec
	s_and_b64 s[8:9], s[8:9], exec
	s_or_b64 s[4:5], s[4:5], s[8:9]
	s_or_b64 exec, exec, s[6:7]
	s_and_saveexec_b64 s[6:7], s[4:5]
	s_cbranch_execnz .LBB33_1691
	s_branch .LBB33_1692
.LBB33_3741:
	s_movk_i32 s4, 0x80
	v_cmp_eq_u16_sdwa s[12:13], v2, s4 src0_sel:BYTE_3 src1_sel:DWORD
	s_mov_b64 s[4:5], -1
                                        ; implicit-def: $sgpr10
	s_and_saveexec_b64 s[8:9], s[12:13]
; %bb.3742:
	s_mov_b32 s10, 0x7f800001
	s_xor_b64 s[4:5], exec, -1
; %bb.3743:
	s_or_b64 exec, exec, s[8:9]
	s_and_b64 s[4:5], s[4:5], exec
	s_or_saveexec_b64 s[6:7], s[6:7]
	v_mov_b32_e32 v6, s10
	s_xor_b64 exec, exec, s[6:7]
	s_cbranch_execz .LBB33_1694
.LBB33_3744:
	v_mov_b32_e32 v6, 0
	v_cmp_ne_u16_sdwa s[8:9], v2, v6 src0_sel:BYTE_3 src1_sel:DWORD
	s_andn2_b64 s[4:5], s[4:5], exec
	s_and_b64 s[8:9], s[8:9], exec
	s_or_b64 s[4:5], s[4:5], s[8:9]
	s_or_b64 exec, exec, s[6:7]
	s_and_saveexec_b64 s[6:7], s[4:5]
	s_cbranch_execnz .LBB33_1695
	s_branch .LBB33_1696
.LBB33_3745:
	s_movk_i32 s4, 0x80
	v_cmp_eq_u16_sdwa s[12:13], v7, s4 src0_sel:BYTE_0 src1_sel:DWORD
	s_mov_b64 s[4:5], -1
                                        ; implicit-def: $sgpr10
	s_and_saveexec_b64 s[8:9], s[12:13]
; %bb.3746:
	s_mov_b32 s10, 0x7f800001
	s_xor_b64 s[4:5], exec, -1
; %bb.3747:
	s_or_b64 exec, exec, s[8:9]
	s_and_b64 s[4:5], s[4:5], exec
	s_or_saveexec_b64 s[6:7], s[6:7]
	v_mov_b32_e32 v2, s10
	s_xor_b64 exec, exec, s[6:7]
	s_cbranch_execz .LBB33_1698
.LBB33_3748:
	v_mov_b32_e32 v2, 0
	v_cmp_ne_u16_sdwa s[8:9], v7, v2 src0_sel:BYTE_0 src1_sel:DWORD
	s_andn2_b64 s[4:5], s[4:5], exec
	s_and_b64 s[8:9], s[8:9], exec
	s_or_b64 s[4:5], s[4:5], s[8:9]
	s_or_b64 exec, exec, s[6:7]
	s_and_saveexec_b64 s[6:7], s[4:5]
	s_cbranch_execnz .LBB33_1699
	s_branch .LBB33_1700
.LBB33_3749:
	s_movk_i32 s4, 0x80
	v_cmp_eq_u16_sdwa s[12:13], v3, s4 src0_sel:BYTE_0 src1_sel:DWORD
	s_mov_b64 s[4:5], -1
                                        ; implicit-def: $sgpr10
	s_and_saveexec_b64 s[8:9], s[12:13]
; %bb.3750:
	s_mov_b32 s10, 0x7f800001
	s_xor_b64 s[4:5], exec, -1
; %bb.3751:
	s_or_b64 exec, exec, s[8:9]
	s_and_b64 s[4:5], s[4:5], exec
	s_or_saveexec_b64 s[6:7], s[6:7]
	v_mov_b32_e32 v6, s10
	s_xor_b64 exec, exec, s[6:7]
	s_cbranch_execz .LBB33_1702
.LBB33_3752:
	v_mov_b32_e32 v6, 0
	v_cmp_ne_u16_sdwa s[8:9], v3, v6 src0_sel:BYTE_0 src1_sel:DWORD
	s_andn2_b64 s[4:5], s[4:5], exec
	s_and_b64 s[8:9], s[8:9], exec
	s_or_b64 s[4:5], s[4:5], s[8:9]
	s_or_b64 exec, exec, s[6:7]
	s_and_saveexec_b64 s[6:7], s[4:5]
	s_cbranch_execnz .LBB33_1703
	s_branch .LBB33_1704
.LBB33_3753:
	s_movk_i32 s4, 0x80
	v_cmp_eq_u16_sdwa s[12:13], v6, s4 src0_sel:BYTE_0 src1_sel:DWORD
	s_mov_b64 s[4:5], -1
                                        ; implicit-def: $sgpr10
	s_and_saveexec_b64 s[8:9], s[12:13]
; %bb.3754:
	s_mov_b32 s10, 0x7f800001
	s_xor_b64 s[4:5], exec, -1
; %bb.3755:
	s_or_b64 exec, exec, s[8:9]
	s_and_b64 s[4:5], s[4:5], exec
	s_or_saveexec_b64 s[6:7], s[6:7]
	v_mov_b32_e32 v2, s10
	s_xor_b64 exec, exec, s[6:7]
	s_cbranch_execz .LBB33_1706
.LBB33_3756:
	v_mov_b32_e32 v2, 0
	v_cmp_ne_u16_sdwa s[8:9], v6, v2 src0_sel:BYTE_0 src1_sel:DWORD
	s_andn2_b64 s[4:5], s[4:5], exec
	s_and_b64 s[8:9], s[8:9], exec
	s_or_b64 s[4:5], s[4:5], s[8:9]
	s_or_b64 exec, exec, s[6:7]
	s_and_saveexec_b64 s[6:7], s[4:5]
	s_cbranch_execnz .LBB33_1707
	s_branch .LBB33_1708
.LBB33_3757:
	s_movk_i32 s4, 0x80
	v_cmp_eq_u16_sdwa s[12:13], v6, s4 src0_sel:BYTE_0 src1_sel:DWORD
	s_mov_b64 s[4:5], -1
                                        ; implicit-def: $sgpr10
	s_and_saveexec_b64 s[8:9], s[12:13]
; %bb.3758:
	s_mov_b32 s10, 0x7f800001
	s_xor_b64 s[4:5], exec, -1
; %bb.3759:
	s_or_b64 exec, exec, s[8:9]
	s_and_b64 s[4:5], s[4:5], exec
	s_or_saveexec_b64 s[6:7], s[6:7]
	v_mov_b32_e32 v10, s10
	s_xor_b64 exec, exec, s[6:7]
	s_cbranch_execz .LBB33_1710
.LBB33_3760:
	v_mov_b32_e32 v10, 0
	v_cmp_ne_u16_sdwa s[8:9], v6, v10 src0_sel:BYTE_0 src1_sel:DWORD
	s_andn2_b64 s[4:5], s[4:5], exec
	s_and_b64 s[8:9], s[8:9], exec
	s_or_b64 s[4:5], s[4:5], s[8:9]
	s_or_b64 exec, exec, s[6:7]
	s_and_saveexec_b64 s[6:7], s[4:5]
	s_cbranch_execnz .LBB33_1711
	s_branch .LBB33_1712
.LBB33_3761:
	s_movk_i32 s4, 0x80
	v_cmp_eq_u16_e32 vcc, s4, v6
	s_mov_b64 s[4:5], -1
                                        ; implicit-def: $sgpr10
	s_and_saveexec_b64 s[8:9], vcc
; %bb.3762:
	s_mov_b32 s10, 0x7f800001
	s_xor_b64 s[4:5], exec, -1
; %bb.3763:
	s_or_b64 exec, exec, s[8:9]
	s_and_b64 s[4:5], s[4:5], exec
                                        ; implicit-def: $vgpr6
	s_or_saveexec_b64 s[6:7], s[6:7]
	v_mov_b32_e32 v2, s10
	s_xor_b64 exec, exec, s[6:7]
	s_cbranch_execz .LBB33_1714
.LBB33_3764:
	v_cmp_ne_u16_e32 vcc, 0, v6
	s_andn2_b64 s[4:5], s[4:5], exec
	s_and_b64 s[8:9], vcc, exec
	v_mov_b32_e32 v2, 0
	s_or_b64 s[4:5], s[4:5], s[8:9]
	s_or_b64 exec, exec, s[6:7]
	s_and_saveexec_b64 s[6:7], s[4:5]
	s_cbranch_execnz .LBB33_1715
	s_branch .LBB33_1716
.LBB33_3765:
	s_movk_i32 s4, 0x80
	v_cmp_eq_u16_e32 vcc, s4, v6
	s_mov_b64 s[4:5], -1
                                        ; implicit-def: $sgpr10
	s_and_saveexec_b64 s[8:9], vcc
; %bb.3766:
	s_mov_b32 s10, 0x7f800001
	s_xor_b64 s[4:5], exec, -1
; %bb.3767:
	s_or_b64 exec, exec, s[8:9]
	s_and_b64 s[4:5], s[4:5], exec
                                        ; implicit-def: $vgpr6
	s_or_saveexec_b64 s[6:7], s[6:7]
	v_mov_b32_e32 v10, s10
	s_xor_b64 exec, exec, s[6:7]
	s_cbranch_execz .LBB33_1718
.LBB33_3768:
	v_cmp_ne_u16_e32 vcc, 0, v6
	s_andn2_b64 s[4:5], s[4:5], exec
	s_and_b64 s[8:9], vcc, exec
	v_mov_b32_e32 v10, 0
	s_or_b64 s[4:5], s[4:5], s[8:9]
	s_or_b64 exec, exec, s[6:7]
	s_and_saveexec_b64 s[6:7], s[4:5]
	s_cbranch_execnz .LBB33_1719
	s_branch .LBB33_1720
.LBB33_3769:
	s_movk_i32 s4, 0x80
	v_cmp_eq_u16_sdwa s[12:13], v7, s4 src0_sel:BYTE_3 src1_sel:DWORD
	s_mov_b64 s[4:5], -1
                                        ; implicit-def: $sgpr10
	s_and_saveexec_b64 s[8:9], s[12:13]
; %bb.3770:
	s_mov_b32 s10, 0x7f800001
	s_xor_b64 s[4:5], exec, -1
; %bb.3771:
	s_or_b64 exec, exec, s[8:9]
	s_and_b64 s[4:5], s[4:5], exec
	s_or_saveexec_b64 s[6:7], s[6:7]
	v_mov_b32_e32 v2, s10
	s_xor_b64 exec, exec, s[6:7]
	s_cbranch_execz .LBB33_1722
.LBB33_3772:
	v_mov_b32_e32 v2, 0
	v_cmp_ne_u16_sdwa s[8:9], v7, v2 src0_sel:BYTE_3 src1_sel:DWORD
	s_andn2_b64 s[4:5], s[4:5], exec
	s_and_b64 s[8:9], s[8:9], exec
	s_or_b64 s[4:5], s[4:5], s[8:9]
	s_or_b64 exec, exec, s[6:7]
	s_and_saveexec_b64 s[6:7], s[4:5]
	s_cbranch_execnz .LBB33_1723
	s_branch .LBB33_1724
.LBB33_3773:
	s_movk_i32 s4, 0x80
	v_cmp_eq_u16_sdwa s[12:13], v3, s4 src0_sel:BYTE_3 src1_sel:DWORD
	s_mov_b64 s[4:5], -1
                                        ; implicit-def: $sgpr10
	s_and_saveexec_b64 s[8:9], s[12:13]
; %bb.3774:
	s_mov_b32 s10, 0x7f800001
	s_xor_b64 s[4:5], exec, -1
; %bb.3775:
	s_or_b64 exec, exec, s[8:9]
	s_and_b64 s[4:5], s[4:5], exec
	s_or_saveexec_b64 s[6:7], s[6:7]
	v_mov_b32_e32 v6, s10
	s_xor_b64 exec, exec, s[6:7]
	s_cbranch_execz .LBB33_1726
.LBB33_3776:
	v_mov_b32_e32 v6, 0
	v_cmp_ne_u16_sdwa s[8:9], v3, v6 src0_sel:BYTE_3 src1_sel:DWORD
	s_andn2_b64 s[4:5], s[4:5], exec
	s_and_b64 s[8:9], s[8:9], exec
	s_or_b64 s[4:5], s[4:5], s[8:9]
	s_or_b64 exec, exec, s[6:7]
	s_and_saveexec_b64 s[6:7], s[4:5]
	s_cbranch_execnz .LBB33_1727
	s_branch .LBB33_1728
.LBB33_3777:
	s_movk_i32 s4, 0x80
	v_cmp_eq_u16_sdwa s[12:13], v8, s4 src0_sel:BYTE_0 src1_sel:DWORD
	s_mov_b64 s[4:5], -1
                                        ; implicit-def: $sgpr10
	s_and_saveexec_b64 s[8:9], s[12:13]
; %bb.3778:
	s_mov_b32 s10, 0x7f800001
	s_xor_b64 s[4:5], exec, -1
; %bb.3779:
	s_or_b64 exec, exec, s[8:9]
	s_and_b64 s[4:5], s[4:5], exec
	s_or_saveexec_b64 s[6:7], s[6:7]
	v_mov_b32_e32 v2, s10
	s_xor_b64 exec, exec, s[6:7]
	s_cbranch_execz .LBB33_1730
.LBB33_3780:
	v_mov_b32_e32 v2, 0
	v_cmp_ne_u16_sdwa s[8:9], v8, v2 src0_sel:BYTE_0 src1_sel:DWORD
	s_andn2_b64 s[4:5], s[4:5], exec
	s_and_b64 s[8:9], s[8:9], exec
	s_or_b64 s[4:5], s[4:5], s[8:9]
	s_or_b64 exec, exec, s[6:7]
	s_and_saveexec_b64 s[6:7], s[4:5]
	s_cbranch_execnz .LBB33_1731
	s_branch .LBB33_1732
.LBB33_3781:
	s_movk_i32 s4, 0x80
	v_cmp_eq_u16_sdwa s[12:13], v4, s4 src0_sel:BYTE_0 src1_sel:DWORD
	s_mov_b64 s[4:5], -1
                                        ; implicit-def: $sgpr10
	s_and_saveexec_b64 s[8:9], s[12:13]
; %bb.3782:
	s_mov_b32 s10, 0x7f800001
	s_xor_b64 s[4:5], exec, -1
; %bb.3783:
	s_or_b64 exec, exec, s[8:9]
	s_and_b64 s[4:5], s[4:5], exec
	s_or_saveexec_b64 s[6:7], s[6:7]
	v_mov_b32_e32 v3, s10
	s_xor_b64 exec, exec, s[6:7]
	s_cbranch_execz .LBB33_1734
.LBB33_3784:
	v_mov_b32_e32 v3, 0
	v_cmp_ne_u16_sdwa s[8:9], v4, v3 src0_sel:BYTE_0 src1_sel:DWORD
	s_andn2_b64 s[4:5], s[4:5], exec
	s_and_b64 s[8:9], s[8:9], exec
	s_or_b64 s[4:5], s[4:5], s[8:9]
	s_or_b64 exec, exec, s[6:7]
	s_and_saveexec_b64 s[6:7], s[4:5]
	s_cbranch_execnz .LBB33_1735
	s_branch .LBB33_1736
.LBB33_3785:
	s_movk_i32 s4, 0x80
	v_cmp_eq_u16_sdwa s[12:13], v3, s4 src0_sel:BYTE_0 src1_sel:DWORD
	s_mov_b64 s[4:5], -1
                                        ; implicit-def: $sgpr10
	s_and_saveexec_b64 s[8:9], s[12:13]
; %bb.3786:
	s_mov_b32 s10, 0x7f800001
	s_xor_b64 s[4:5], exec, -1
; %bb.3787:
	s_or_b64 exec, exec, s[8:9]
	s_and_b64 s[4:5], s[4:5], exec
	s_or_saveexec_b64 s[6:7], s[6:7]
	v_mov_b32_e32 v2, s10
	s_xor_b64 exec, exec, s[6:7]
	s_cbranch_execz .LBB33_1738
.LBB33_3788:
	v_mov_b32_e32 v2, 0
	v_cmp_ne_u16_sdwa s[8:9], v3, v2 src0_sel:BYTE_0 src1_sel:DWORD
	s_andn2_b64 s[4:5], s[4:5], exec
	s_and_b64 s[8:9], s[8:9], exec
	s_or_b64 s[4:5], s[4:5], s[8:9]
	s_or_b64 exec, exec, s[6:7]
	s_and_saveexec_b64 s[6:7], s[4:5]
	s_cbranch_execnz .LBB33_1739
	s_branch .LBB33_1740
.LBB33_3789:
	s_movk_i32 s4, 0x80
	v_cmp_eq_u16_sdwa s[12:13], v3, s4 src0_sel:BYTE_0 src1_sel:DWORD
	s_mov_b64 s[4:5], -1
                                        ; implicit-def: $sgpr10
	s_and_saveexec_b64 s[8:9], s[12:13]
; %bb.3790:
	s_mov_b32 s10, 0x7f800001
	s_xor_b64 s[4:5], exec, -1
; %bb.3791:
	s_or_b64 exec, exec, s[8:9]
	s_and_b64 s[4:5], s[4:5], exec
	s_or_saveexec_b64 s[6:7], s[6:7]
	v_mov_b32_e32 v6, s10
	s_xor_b64 exec, exec, s[6:7]
	s_cbranch_execz .LBB33_1742
.LBB33_3792:
	v_mov_b32_e32 v6, 0
	v_cmp_ne_u16_sdwa s[8:9], v3, v6 src0_sel:BYTE_0 src1_sel:DWORD
	s_andn2_b64 s[4:5], s[4:5], exec
	s_and_b64 s[8:9], s[8:9], exec
	s_or_b64 s[4:5], s[4:5], s[8:9]
	s_or_b64 exec, exec, s[6:7]
	s_and_saveexec_b64 s[6:7], s[4:5]
	s_cbranch_execnz .LBB33_1743
	s_branch .LBB33_1744
.LBB33_3793:
	s_movk_i32 s4, 0x80
	v_cmp_eq_u16_e32 vcc, s4, v3
	s_mov_b64 s[4:5], -1
                                        ; implicit-def: $sgpr10
	s_and_saveexec_b64 s[8:9], vcc
; %bb.3794:
	s_mov_b32 s10, 0x7f800001
	s_xor_b64 s[4:5], exec, -1
; %bb.3795:
	s_or_b64 exec, exec, s[8:9]
	s_and_b64 s[4:5], s[4:5], exec
                                        ; implicit-def: $vgpr3
	s_or_saveexec_b64 s[6:7], s[6:7]
	v_mov_b32_e32 v2, s10
	s_xor_b64 exec, exec, s[6:7]
	s_cbranch_execz .LBB33_1746
.LBB33_3796:
	v_cmp_ne_u16_e32 vcc, 0, v3
	s_andn2_b64 s[4:5], s[4:5], exec
	s_and_b64 s[8:9], vcc, exec
	v_mov_b32_e32 v2, 0
	s_or_b64 s[4:5], s[4:5], s[8:9]
	s_or_b64 exec, exec, s[6:7]
	s_and_saveexec_b64 s[6:7], s[4:5]
	s_cbranch_execnz .LBB33_1747
	s_branch .LBB33_1748
.LBB33_3797:
	s_movk_i32 s4, 0x80
	v_cmp_eq_u16_e32 vcc, s4, v3
	s_mov_b64 s[4:5], -1
                                        ; implicit-def: $sgpr10
	s_and_saveexec_b64 s[8:9], vcc
; %bb.3798:
	s_mov_b32 s10, 0x7f800001
	s_xor_b64 s[4:5], exec, -1
; %bb.3799:
	s_or_b64 exec, exec, s[8:9]
	s_and_b64 s[4:5], s[4:5], exec
                                        ; implicit-def: $vgpr3
	s_or_saveexec_b64 s[6:7], s[6:7]
	v_mov_b32_e32 v6, s10
	s_xor_b64 exec, exec, s[6:7]
	s_cbranch_execz .LBB33_1750
.LBB33_3800:
	v_cmp_ne_u16_e32 vcc, 0, v3
	s_andn2_b64 s[4:5], s[4:5], exec
	s_and_b64 s[8:9], vcc, exec
	v_mov_b32_e32 v6, 0
	s_or_b64 s[4:5], s[4:5], s[8:9]
	s_or_b64 exec, exec, s[6:7]
	s_and_saveexec_b64 s[6:7], s[4:5]
	s_cbranch_execnz .LBB33_1751
	s_branch .LBB33_1752
.LBB33_3801:
	s_movk_i32 s4, 0x80
	v_cmp_eq_u16_sdwa s[12:13], v8, s4 src0_sel:BYTE_3 src1_sel:DWORD
	s_mov_b64 s[4:5], -1
                                        ; implicit-def: $sgpr10
	s_and_saveexec_b64 s[8:9], s[12:13]
; %bb.3802:
	s_mov_b32 s10, 0x7f800001
	s_xor_b64 s[4:5], exec, -1
; %bb.3803:
	s_or_b64 exec, exec, s[8:9]
	s_and_b64 s[4:5], s[4:5], exec
	s_or_saveexec_b64 s[6:7], s[6:7]
	v_mov_b32_e32 v2, s10
	s_xor_b64 exec, exec, s[6:7]
	s_cbranch_execz .LBB33_1754
.LBB33_3804:
	v_mov_b32_e32 v2, 0
	v_cmp_ne_u16_sdwa s[8:9], v8, v2 src0_sel:BYTE_3 src1_sel:DWORD
	s_andn2_b64 s[4:5], s[4:5], exec
	s_and_b64 s[8:9], s[8:9], exec
	s_or_b64 s[4:5], s[4:5], s[8:9]
	s_or_b64 exec, exec, s[6:7]
	s_and_saveexec_b64 s[6:7], s[4:5]
	s_cbranch_execnz .LBB33_1755
	s_branch .LBB33_1756
.LBB33_3805:
	s_movk_i32 s4, 0x80
	v_cmp_eq_u16_sdwa s[12:13], v4, s4 src0_sel:BYTE_3 src1_sel:DWORD
	s_mov_b64 s[4:5], -1
                                        ; implicit-def: $sgpr10
	s_and_saveexec_b64 s[8:9], s[12:13]
; %bb.3806:
	s_mov_b32 s10, 0x7f800001
	s_xor_b64 s[4:5], exec, -1
; %bb.3807:
	s_or_b64 exec, exec, s[8:9]
	s_and_b64 s[4:5], s[4:5], exec
	s_or_saveexec_b64 s[6:7], s[6:7]
	v_mov_b32_e32 v3, s10
	s_xor_b64 exec, exec, s[6:7]
	s_cbranch_execz .LBB33_1758
.LBB33_3808:
	v_mov_b32_e32 v3, 0
	v_cmp_ne_u16_sdwa s[8:9], v4, v3 src0_sel:BYTE_3 src1_sel:DWORD
	s_andn2_b64 s[4:5], s[4:5], exec
	s_and_b64 s[8:9], s[8:9], exec
	s_or_b64 s[4:5], s[4:5], s[8:9]
	s_or_b64 exec, exec, s[6:7]
	s_and_saveexec_b64 s[6:7], s[4:5]
	s_cbranch_execnz .LBB33_1759
	s_branch .LBB33_1760
.LBB33_3809:
	s_movk_i32 s4, 0x80
	v_cmp_eq_u16_sdwa s[12:13], v9, s4 src0_sel:BYTE_0 src1_sel:DWORD
	s_mov_b64 s[4:5], -1
                                        ; implicit-def: $sgpr10
	s_and_saveexec_b64 s[8:9], s[12:13]
; %bb.3810:
	s_mov_b32 s10, 0x7f800001
	s_xor_b64 s[4:5], exec, -1
; %bb.3811:
	s_or_b64 exec, exec, s[8:9]
	s_and_b64 s[4:5], s[4:5], exec
	s_or_saveexec_b64 s[6:7], s[6:7]
	v_mov_b32_e32 v2, s10
	s_xor_b64 exec, exec, s[6:7]
	s_cbranch_execz .LBB33_1762
.LBB33_3812:
	v_mov_b32_e32 v2, 0
	v_cmp_ne_u16_sdwa s[8:9], v9, v2 src0_sel:BYTE_0 src1_sel:DWORD
	s_andn2_b64 s[4:5], s[4:5], exec
	s_and_b64 s[8:9], s[8:9], exec
	s_or_b64 s[4:5], s[4:5], s[8:9]
	s_or_b64 exec, exec, s[6:7]
	s_and_saveexec_b64 s[6:7], s[4:5]
	s_cbranch_execnz .LBB33_1763
	s_branch .LBB33_1764
.LBB33_3813:
	s_movk_i32 s4, 0x80
	v_cmp_eq_u16_sdwa s[12:13], v5, s4 src0_sel:BYTE_0 src1_sel:DWORD
	s_mov_b64 s[4:5], -1
                                        ; implicit-def: $sgpr10
	s_and_saveexec_b64 s[8:9], s[12:13]
; %bb.3814:
	s_mov_b32 s10, 0x7f800001
	s_xor_b64 s[4:5], exec, -1
; %bb.3815:
	s_or_b64 exec, exec, s[8:9]
	s_and_b64 s[4:5], s[4:5], exec
	s_or_saveexec_b64 s[6:7], s[6:7]
	v_mov_b32_e32 v3, s10
	s_xor_b64 exec, exec, s[6:7]
	s_cbranch_execz .LBB33_1766
.LBB33_3816:
	v_mov_b32_e32 v3, 0
	v_cmp_ne_u16_sdwa s[8:9], v5, v3 src0_sel:BYTE_0 src1_sel:DWORD
	s_andn2_b64 s[4:5], s[4:5], exec
	s_and_b64 s[8:9], s[8:9], exec
	s_or_b64 s[4:5], s[4:5], s[8:9]
	s_or_b64 exec, exec, s[6:7]
	s_and_saveexec_b64 s[6:7], s[4:5]
	s_cbranch_execnz .LBB33_1767
	s_branch .LBB33_1768
.LBB33_3817:
	s_movk_i32 s4, 0x80
	v_cmp_eq_u16_sdwa s[12:13], v3, s4 src0_sel:BYTE_0 src1_sel:DWORD
	s_mov_b64 s[4:5], -1
                                        ; implicit-def: $sgpr10
	s_and_saveexec_b64 s[8:9], s[12:13]
; %bb.3818:
	s_mov_b32 s10, 0x7f800001
	s_xor_b64 s[4:5], exec, -1
; %bb.3819:
	s_or_b64 exec, exec, s[8:9]
	s_and_b64 s[4:5], s[4:5], exec
	s_or_saveexec_b64 s[6:7], s[6:7]
	v_mov_b32_e32 v2, s10
	s_xor_b64 exec, exec, s[6:7]
	s_cbranch_execz .LBB33_1770
.LBB33_3820:
	v_mov_b32_e32 v2, 0
	v_cmp_ne_u16_sdwa s[8:9], v3, v2 src0_sel:BYTE_0 src1_sel:DWORD
	s_andn2_b64 s[4:5], s[4:5], exec
	s_and_b64 s[8:9], s[8:9], exec
	s_or_b64 s[4:5], s[4:5], s[8:9]
	s_or_b64 exec, exec, s[6:7]
	s_and_saveexec_b64 s[6:7], s[4:5]
	s_cbranch_execnz .LBB33_1771
	s_branch .LBB33_1772
.LBB33_3821:
	s_movk_i32 s4, 0x80
	v_cmp_eq_u16_sdwa s[12:13], v3, s4 src0_sel:BYTE_0 src1_sel:DWORD
	s_mov_b64 s[4:5], -1
                                        ; implicit-def: $sgpr10
	s_and_saveexec_b64 s[8:9], s[12:13]
; %bb.3822:
	s_mov_b32 s10, 0x7f800001
	s_xor_b64 s[4:5], exec, -1
; %bb.3823:
	s_or_b64 exec, exec, s[8:9]
	s_and_b64 s[4:5], s[4:5], exec
	s_or_saveexec_b64 s[6:7], s[6:7]
	v_mov_b32_e32 v4, s10
	s_xor_b64 exec, exec, s[6:7]
	s_cbranch_execz .LBB33_1774
.LBB33_3824:
	v_mov_b32_e32 v4, 0
	v_cmp_ne_u16_sdwa s[8:9], v3, v4 src0_sel:BYTE_0 src1_sel:DWORD
	s_andn2_b64 s[4:5], s[4:5], exec
	s_and_b64 s[8:9], s[8:9], exec
	s_or_b64 s[4:5], s[4:5], s[8:9]
	s_or_b64 exec, exec, s[6:7]
	s_and_saveexec_b64 s[6:7], s[4:5]
	s_cbranch_execnz .LBB33_1775
	s_branch .LBB33_1776
.LBB33_3825:
	s_movk_i32 s4, 0x80
	v_cmp_eq_u16_e32 vcc, s4, v3
	s_mov_b64 s[4:5], -1
                                        ; implicit-def: $sgpr10
	s_and_saveexec_b64 s[8:9], vcc
; %bb.3826:
	s_mov_b32 s10, 0x7f800001
	s_xor_b64 s[4:5], exec, -1
; %bb.3827:
	s_or_b64 exec, exec, s[8:9]
	s_and_b64 s[4:5], s[4:5], exec
                                        ; implicit-def: $vgpr3
	s_or_saveexec_b64 s[6:7], s[6:7]
	v_mov_b32_e32 v2, s10
	s_xor_b64 exec, exec, s[6:7]
	s_cbranch_execz .LBB33_1778
.LBB33_3828:
	v_cmp_ne_u16_e32 vcc, 0, v3
	s_andn2_b64 s[4:5], s[4:5], exec
	s_and_b64 s[8:9], vcc, exec
	v_mov_b32_e32 v2, 0
	s_or_b64 s[4:5], s[4:5], s[8:9]
	s_or_b64 exec, exec, s[6:7]
	s_and_saveexec_b64 s[6:7], s[4:5]
	s_cbranch_execnz .LBB33_1779
	s_branch .LBB33_1780
.LBB33_3829:
	s_movk_i32 s4, 0x80
	v_cmp_eq_u16_e32 vcc, s4, v3
	s_mov_b64 s[4:5], -1
                                        ; implicit-def: $sgpr10
	s_and_saveexec_b64 s[8:9], vcc
; %bb.3830:
	s_mov_b32 s10, 0x7f800001
	s_xor_b64 s[4:5], exec, -1
; %bb.3831:
	s_or_b64 exec, exec, s[8:9]
	s_and_b64 s[4:5], s[4:5], exec
                                        ; implicit-def: $vgpr3
	s_or_saveexec_b64 s[6:7], s[6:7]
	v_mov_b32_e32 v4, s10
	s_xor_b64 exec, exec, s[6:7]
	s_cbranch_execz .LBB33_1782
.LBB33_3832:
	v_cmp_ne_u16_e32 vcc, 0, v3
	s_andn2_b64 s[4:5], s[4:5], exec
	s_and_b64 s[8:9], vcc, exec
	v_mov_b32_e32 v4, 0
	s_or_b64 s[4:5], s[4:5], s[8:9]
	s_or_b64 exec, exec, s[6:7]
	s_and_saveexec_b64 s[6:7], s[4:5]
	s_cbranch_execnz .LBB33_1783
	s_branch .LBB33_1784
.LBB33_3833:
	s_movk_i32 s4, 0x80
	v_cmp_eq_u16_sdwa s[12:13], v9, s4 src0_sel:BYTE_3 src1_sel:DWORD
	s_mov_b64 s[4:5], -1
                                        ; implicit-def: $sgpr10
	s_and_saveexec_b64 s[8:9], s[12:13]
; %bb.3834:
	s_mov_b32 s10, 0x7f800001
	s_xor_b64 s[4:5], exec, -1
; %bb.3835:
	s_or_b64 exec, exec, s[8:9]
	s_and_b64 s[4:5], s[4:5], exec
	s_or_saveexec_b64 s[6:7], s[6:7]
	v_mov_b32_e32 v2, s10
	s_xor_b64 exec, exec, s[6:7]
	s_cbranch_execz .LBB33_1786
.LBB33_3836:
	v_mov_b32_e32 v2, 0
	v_cmp_ne_u16_sdwa s[8:9], v9, v2 src0_sel:BYTE_3 src1_sel:DWORD
	s_andn2_b64 s[4:5], s[4:5], exec
	s_and_b64 s[8:9], s[8:9], exec
	s_or_b64 s[4:5], s[4:5], s[8:9]
	s_or_b64 exec, exec, s[6:7]
	s_and_saveexec_b64 s[6:7], s[4:5]
	s_cbranch_execnz .LBB33_1787
	s_branch .LBB33_1788
.LBB33_3837:
	s_movk_i32 s4, 0x80
	v_cmp_eq_u16_sdwa s[12:13], v5, s4 src0_sel:BYTE_3 src1_sel:DWORD
	s_mov_b64 s[4:5], -1
                                        ; implicit-def: $sgpr10
	s_and_saveexec_b64 s[8:9], s[12:13]
; %bb.3838:
	s_mov_b32 s10, 0x7f800001
	s_xor_b64 s[4:5], exec, -1
; %bb.3839:
	s_or_b64 exec, exec, s[8:9]
	s_and_b64 s[4:5], s[4:5], exec
	s_or_saveexec_b64 s[6:7], s[6:7]
	v_mov_b32_e32 v3, s10
	s_xor_b64 exec, exec, s[6:7]
	s_cbranch_execz .LBB33_1790
.LBB33_3840:
	v_mov_b32_e32 v3, 0
	v_cmp_ne_u16_sdwa s[8:9], v5, v3 src0_sel:BYTE_3 src1_sel:DWORD
	s_andn2_b64 s[4:5], s[4:5], exec
	s_and_b64 s[8:9], s[8:9], exec
	s_or_b64 s[4:5], s[4:5], s[8:9]
	s_or_b64 exec, exec, s[6:7]
	s_and_saveexec_b64 s[6:7], s[4:5]
	s_cbranch_execnz .LBB33_1791
	s_branch .LBB33_1792
.LBB33_3841:
	s_movk_i32 s4, 0x80
	v_cmp_eq_u16_sdwa s[12:13], v12, s4 src0_sel:BYTE_0 src1_sel:DWORD
	s_mov_b64 s[4:5], -1
                                        ; implicit-def: $sgpr10
	s_and_saveexec_b64 s[8:9], s[12:13]
; %bb.3842:
	s_mov_b32 s10, 0x7f800001
	s_xor_b64 s[4:5], exec, -1
; %bb.3843:
	s_or_b64 exec, exec, s[8:9]
	s_and_b64 s[4:5], s[4:5], exec
	s_or_saveexec_b64 s[6:7], s[6:7]
	v_mov_b32_e32 v18, s10
	s_xor_b64 exec, exec, s[6:7]
	s_cbranch_execz .LBB33_1794
.LBB33_3844:
	v_mov_b32_e32 v18, 0
	v_cmp_ne_u16_sdwa s[8:9], v12, v18 src0_sel:BYTE_0 src1_sel:DWORD
	s_andn2_b64 s[4:5], s[4:5], exec
	s_and_b64 s[8:9], s[8:9], exec
	s_or_b64 s[4:5], s[4:5], s[8:9]
	s_or_b64 exec, exec, s[6:7]
	s_and_saveexec_b64 s[6:7], s[4:5]
	s_cbranch_execnz .LBB33_1795
	s_branch .LBB33_1796
.LBB33_3845:
	s_movk_i32 s4, 0x80
	v_cmp_eq_u16_sdwa s[12:13], v8, s4 src0_sel:BYTE_0 src1_sel:DWORD
	s_mov_b64 s[4:5], -1
                                        ; implicit-def: $sgpr10
	s_and_saveexec_b64 s[8:9], s[12:13]
; %bb.3846:
	s_mov_b32 s10, 0x7f800001
	s_xor_b64 s[4:5], exec, -1
; %bb.3847:
	s_or_b64 exec, exec, s[8:9]
	s_and_b64 s[4:5], s[4:5], exec
	s_or_saveexec_b64 s[6:7], s[6:7]
	v_mov_b32_e32 v19, s10
	s_xor_b64 exec, exec, s[6:7]
	s_cbranch_execz .LBB33_1798
.LBB33_3848:
	v_mov_b32_e32 v19, 0
	v_cmp_ne_u16_sdwa s[8:9], v8, v19 src0_sel:BYTE_0 src1_sel:DWORD
	s_andn2_b64 s[4:5], s[4:5], exec
	s_and_b64 s[8:9], s[8:9], exec
	s_or_b64 s[4:5], s[4:5], s[8:9]
	s_or_b64 exec, exec, s[6:7]
	s_and_saveexec_b64 s[6:7], s[4:5]
	s_cbranch_execnz .LBB33_1799
	s_branch .LBB33_1800
.LBB33_3849:
	s_movk_i32 s4, 0x80
	v_cmp_eq_u16_sdwa s[12:13], v19, s4 src0_sel:BYTE_0 src1_sel:DWORD
	s_mov_b64 s[4:5], -1
                                        ; implicit-def: $sgpr10
	s_and_saveexec_b64 s[8:9], s[12:13]
; %bb.3850:
	s_mov_b32 s10, 0x7f800001
	s_xor_b64 s[4:5], exec, -1
; %bb.3851:
	s_or_b64 exec, exec, s[8:9]
	s_and_b64 s[4:5], s[4:5], exec
	s_or_saveexec_b64 s[6:7], s[6:7]
	v_mov_b32_e32 v18, s10
	s_xor_b64 exec, exec, s[6:7]
	s_cbranch_execz .LBB33_1802
.LBB33_3852:
	v_mov_b32_e32 v18, 0
	v_cmp_ne_u16_sdwa s[8:9], v19, v18 src0_sel:BYTE_0 src1_sel:DWORD
	s_andn2_b64 s[4:5], s[4:5], exec
	s_and_b64 s[8:9], s[8:9], exec
	s_or_b64 s[4:5], s[4:5], s[8:9]
	s_or_b64 exec, exec, s[6:7]
	s_and_saveexec_b64 s[6:7], s[4:5]
	s_cbranch_execnz .LBB33_1803
	s_branch .LBB33_1804
.LBB33_3853:
	s_movk_i32 s4, 0x80
	v_cmp_eq_u16_sdwa s[12:13], v19, s4 src0_sel:BYTE_0 src1_sel:DWORD
	s_mov_b64 s[4:5], -1
                                        ; implicit-def: $sgpr10
	s_and_saveexec_b64 s[8:9], s[12:13]
; %bb.3854:
	s_mov_b32 s10, 0x7f800001
	s_xor_b64 s[4:5], exec, -1
; %bb.3855:
	s_or_b64 exec, exec, s[8:9]
	s_and_b64 s[4:5], s[4:5], exec
	s_or_saveexec_b64 s[6:7], s[6:7]
	v_mov_b32_e32 v20, s10
	s_xor_b64 exec, exec, s[6:7]
	s_cbranch_execz .LBB33_1806
.LBB33_3856:
	v_mov_b32_e32 v20, 0
	v_cmp_ne_u16_sdwa s[8:9], v19, v20 src0_sel:BYTE_0 src1_sel:DWORD
	s_andn2_b64 s[4:5], s[4:5], exec
	s_and_b64 s[8:9], s[8:9], exec
	s_or_b64 s[4:5], s[4:5], s[8:9]
	s_or_b64 exec, exec, s[6:7]
	s_and_saveexec_b64 s[6:7], s[4:5]
	s_cbranch_execnz .LBB33_1807
	s_branch .LBB33_1808
.LBB33_3857:
	s_movk_i32 s4, 0x80
	v_cmp_eq_u16_e32 vcc, s4, v19
	s_mov_b64 s[4:5], -1
                                        ; implicit-def: $sgpr10
	s_and_saveexec_b64 s[8:9], vcc
; %bb.3858:
	s_mov_b32 s10, 0x7f800001
	s_xor_b64 s[4:5], exec, -1
; %bb.3859:
	s_or_b64 exec, exec, s[8:9]
	s_and_b64 s[4:5], s[4:5], exec
                                        ; implicit-def: $vgpr19
	s_or_saveexec_b64 s[6:7], s[6:7]
	v_mov_b32_e32 v18, s10
	s_xor_b64 exec, exec, s[6:7]
	s_cbranch_execz .LBB33_1810
.LBB33_3860:
	v_cmp_ne_u16_e32 vcc, 0, v19
	s_andn2_b64 s[4:5], s[4:5], exec
	s_and_b64 s[8:9], vcc, exec
	v_mov_b32_e32 v18, 0
	s_or_b64 s[4:5], s[4:5], s[8:9]
	s_or_b64 exec, exec, s[6:7]
	s_and_saveexec_b64 s[6:7], s[4:5]
	s_cbranch_execnz .LBB33_1811
	s_branch .LBB33_1812
.LBB33_3861:
	s_movk_i32 s4, 0x80
	v_cmp_eq_u16_e32 vcc, s4, v19
	s_mov_b64 s[4:5], -1
                                        ; implicit-def: $sgpr10
	s_and_saveexec_b64 s[8:9], vcc
; %bb.3862:
	s_mov_b32 s10, 0x7f800001
	s_xor_b64 s[4:5], exec, -1
; %bb.3863:
	s_or_b64 exec, exec, s[8:9]
	s_and_b64 s[4:5], s[4:5], exec
                                        ; implicit-def: $vgpr19
	s_or_saveexec_b64 s[6:7], s[6:7]
	v_mov_b32_e32 v20, s10
	s_xor_b64 exec, exec, s[6:7]
	s_cbranch_execz .LBB33_1814
.LBB33_3864:
	v_cmp_ne_u16_e32 vcc, 0, v19
	s_andn2_b64 s[4:5], s[4:5], exec
	s_and_b64 s[8:9], vcc, exec
	v_mov_b32_e32 v20, 0
	s_or_b64 s[4:5], s[4:5], s[8:9]
	s_or_b64 exec, exec, s[6:7]
	s_and_saveexec_b64 s[6:7], s[4:5]
	s_cbranch_execnz .LBB33_1815
	s_branch .LBB33_1816
.LBB33_3865:
	s_movk_i32 s4, 0x80
	v_cmp_eq_u16_sdwa s[12:13], v12, s4 src0_sel:BYTE_3 src1_sel:DWORD
	s_mov_b64 s[4:5], -1
                                        ; implicit-def: $sgpr10
	s_and_saveexec_b64 s[8:9], s[12:13]
; %bb.3866:
	s_mov_b32 s10, 0x7f800001
	s_xor_b64 s[4:5], exec, -1
; %bb.3867:
	s_or_b64 exec, exec, s[8:9]
	s_and_b64 s[4:5], s[4:5], exec
	s_or_saveexec_b64 s[6:7], s[6:7]
	v_mov_b32_e32 v18, s10
	s_xor_b64 exec, exec, s[6:7]
	s_cbranch_execz .LBB33_1818
.LBB33_3868:
	v_mov_b32_e32 v18, 0
	v_cmp_ne_u16_sdwa s[8:9], v12, v18 src0_sel:BYTE_3 src1_sel:DWORD
	s_andn2_b64 s[4:5], s[4:5], exec
	s_and_b64 s[8:9], s[8:9], exec
	s_or_b64 s[4:5], s[4:5], s[8:9]
	s_or_b64 exec, exec, s[6:7]
	s_and_saveexec_b64 s[6:7], s[4:5]
	s_cbranch_execnz .LBB33_1819
	s_branch .LBB33_1820
.LBB33_3869:
	s_movk_i32 s4, 0x80
	v_cmp_eq_u16_sdwa s[12:13], v8, s4 src0_sel:BYTE_3 src1_sel:DWORD
	s_mov_b64 s[4:5], -1
                                        ; implicit-def: $sgpr10
	s_and_saveexec_b64 s[8:9], s[12:13]
; %bb.3870:
	s_mov_b32 s10, 0x7f800001
	s_xor_b64 s[4:5], exec, -1
; %bb.3871:
	s_or_b64 exec, exec, s[8:9]
	s_and_b64 s[4:5], s[4:5], exec
	s_or_saveexec_b64 s[6:7], s[6:7]
	v_mov_b32_e32 v12, s10
	s_xor_b64 exec, exec, s[6:7]
	s_cbranch_execz .LBB33_1822
.LBB33_3872:
	v_mov_b32_e32 v12, 0
	v_cmp_ne_u16_sdwa s[8:9], v8, v12 src0_sel:BYTE_3 src1_sel:DWORD
	s_andn2_b64 s[4:5], s[4:5], exec
	s_and_b64 s[8:9], s[8:9], exec
	s_or_b64 s[4:5], s[4:5], s[8:9]
	s_or_b64 exec, exec, s[6:7]
	s_and_saveexec_b64 s[6:7], s[4:5]
	s_cbranch_execnz .LBB33_1823
	s_branch .LBB33_1824
.LBB33_3873:
	s_movk_i32 s4, 0x80
	v_cmp_eq_u16_sdwa s[12:13], v13, s4 src0_sel:BYTE_0 src1_sel:DWORD
	s_mov_b64 s[4:5], -1
                                        ; implicit-def: $sgpr10
	s_and_saveexec_b64 s[8:9], s[12:13]
; %bb.3874:
	s_mov_b32 s10, 0x7f800001
	s_xor_b64 s[4:5], exec, -1
; %bb.3875:
	s_or_b64 exec, exec, s[8:9]
	s_and_b64 s[4:5], s[4:5], exec
	s_or_saveexec_b64 s[6:7], s[6:7]
	v_mov_b32_e32 v8, s10
	s_xor_b64 exec, exec, s[6:7]
	s_cbranch_execz .LBB33_1826
.LBB33_3876:
	v_mov_b32_e32 v8, 0
	v_cmp_ne_u16_sdwa s[8:9], v13, v8 src0_sel:BYTE_0 src1_sel:DWORD
	s_andn2_b64 s[4:5], s[4:5], exec
	s_and_b64 s[8:9], s[8:9], exec
	s_or_b64 s[4:5], s[4:5], s[8:9]
	s_or_b64 exec, exec, s[6:7]
	s_and_saveexec_b64 s[6:7], s[4:5]
	s_cbranch_execnz .LBB33_1827
	s_branch .LBB33_1828
.LBB33_3877:
	s_movk_i32 s4, 0x80
	v_cmp_eq_u16_sdwa s[12:13], v9, s4 src0_sel:BYTE_0 src1_sel:DWORD
	s_mov_b64 s[4:5], -1
                                        ; implicit-def: $sgpr10
	s_and_saveexec_b64 s[8:9], s[12:13]
; %bb.3878:
	s_mov_b32 s10, 0x7f800001
	s_xor_b64 s[4:5], exec, -1
; %bb.3879:
	s_or_b64 exec, exec, s[8:9]
	s_and_b64 s[4:5], s[4:5], exec
	s_or_saveexec_b64 s[6:7], s[6:7]
	v_mov_b32_e32 v12, s10
	s_xor_b64 exec, exec, s[6:7]
	s_cbranch_execz .LBB33_1830
.LBB33_3880:
	v_mov_b32_e32 v12, 0
	v_cmp_ne_u16_sdwa s[8:9], v9, v12 src0_sel:BYTE_0 src1_sel:DWORD
	s_andn2_b64 s[4:5], s[4:5], exec
	s_and_b64 s[8:9], s[8:9], exec
	s_or_b64 s[4:5], s[4:5], s[8:9]
	s_or_b64 exec, exec, s[6:7]
	s_and_saveexec_b64 s[6:7], s[4:5]
	s_cbranch_execnz .LBB33_1831
	s_branch .LBB33_1832
.LBB33_3881:
	s_movk_i32 s4, 0x80
	v_cmp_eq_u16_sdwa s[12:13], v12, s4 src0_sel:BYTE_0 src1_sel:DWORD
	s_mov_b64 s[4:5], -1
                                        ; implicit-def: $sgpr10
	s_and_saveexec_b64 s[8:9], s[12:13]
; %bb.3882:
	s_mov_b32 s10, 0x7f800001
	s_xor_b64 s[4:5], exec, -1
; %bb.3883:
	s_or_b64 exec, exec, s[8:9]
	s_and_b64 s[4:5], s[4:5], exec
	s_or_saveexec_b64 s[6:7], s[6:7]
	v_mov_b32_e32 v8, s10
	s_xor_b64 exec, exec, s[6:7]
	s_cbranch_execz .LBB33_1834
.LBB33_3884:
	v_mov_b32_e32 v8, 0
	v_cmp_ne_u16_sdwa s[8:9], v12, v8 src0_sel:BYTE_0 src1_sel:DWORD
	s_andn2_b64 s[4:5], s[4:5], exec
	s_and_b64 s[8:9], s[8:9], exec
	s_or_b64 s[4:5], s[4:5], s[8:9]
	s_or_b64 exec, exec, s[6:7]
	s_and_saveexec_b64 s[6:7], s[4:5]
	s_cbranch_execnz .LBB33_1835
	s_branch .LBB33_1836
.LBB33_3885:
	s_movk_i32 s4, 0x80
	v_cmp_eq_u16_sdwa s[12:13], v12, s4 src0_sel:BYTE_0 src1_sel:DWORD
	s_mov_b64 s[4:5], -1
                                        ; implicit-def: $sgpr10
	s_and_saveexec_b64 s[8:9], s[12:13]
; %bb.3886:
	s_mov_b32 s10, 0x7f800001
	s_xor_b64 s[4:5], exec, -1
; %bb.3887:
	s_or_b64 exec, exec, s[8:9]
	s_and_b64 s[4:5], s[4:5], exec
	s_or_saveexec_b64 s[6:7], s[6:7]
	v_mov_b32_e32 v18, s10
	s_xor_b64 exec, exec, s[6:7]
	s_cbranch_execz .LBB33_1838
.LBB33_3888:
	v_mov_b32_e32 v18, 0
	v_cmp_ne_u16_sdwa s[8:9], v12, v18 src0_sel:BYTE_0 src1_sel:DWORD
	s_andn2_b64 s[4:5], s[4:5], exec
	s_and_b64 s[8:9], s[8:9], exec
	s_or_b64 s[4:5], s[4:5], s[8:9]
	s_or_b64 exec, exec, s[6:7]
	s_and_saveexec_b64 s[6:7], s[4:5]
	s_cbranch_execnz .LBB33_1839
	s_branch .LBB33_1840
.LBB33_3889:
	s_movk_i32 s4, 0x80
	v_cmp_eq_u16_e32 vcc, s4, v12
	s_mov_b64 s[4:5], -1
                                        ; implicit-def: $sgpr10
	s_and_saveexec_b64 s[8:9], vcc
; %bb.3890:
	s_mov_b32 s10, 0x7f800001
	s_xor_b64 s[4:5], exec, -1
; %bb.3891:
	s_or_b64 exec, exec, s[8:9]
	s_and_b64 s[4:5], s[4:5], exec
                                        ; implicit-def: $vgpr12
	s_or_saveexec_b64 s[6:7], s[6:7]
	v_mov_b32_e32 v8, s10
	s_xor_b64 exec, exec, s[6:7]
	s_cbranch_execz .LBB33_1842
.LBB33_3892:
	v_cmp_ne_u16_e32 vcc, 0, v12
	s_andn2_b64 s[4:5], s[4:5], exec
	s_and_b64 s[8:9], vcc, exec
	v_mov_b32_e32 v8, 0
	s_or_b64 s[4:5], s[4:5], s[8:9]
	s_or_b64 exec, exec, s[6:7]
	s_and_saveexec_b64 s[6:7], s[4:5]
	s_cbranch_execnz .LBB33_1843
	s_branch .LBB33_1844
.LBB33_3893:
	s_movk_i32 s4, 0x80
	v_cmp_eq_u16_e32 vcc, s4, v12
	s_mov_b64 s[4:5], -1
                                        ; implicit-def: $sgpr10
	s_and_saveexec_b64 s[8:9], vcc
; %bb.3894:
	s_mov_b32 s10, 0x7f800001
	s_xor_b64 s[4:5], exec, -1
; %bb.3895:
	s_or_b64 exec, exec, s[8:9]
	s_and_b64 s[4:5], s[4:5], exec
                                        ; implicit-def: $vgpr12
	s_or_saveexec_b64 s[6:7], s[6:7]
	v_mov_b32_e32 v18, s10
	s_xor_b64 exec, exec, s[6:7]
	s_cbranch_execz .LBB33_1846
.LBB33_3896:
	v_cmp_ne_u16_e32 vcc, 0, v12
	s_andn2_b64 s[4:5], s[4:5], exec
	s_and_b64 s[8:9], vcc, exec
	v_mov_b32_e32 v18, 0
	s_or_b64 s[4:5], s[4:5], s[8:9]
	s_or_b64 exec, exec, s[6:7]
	s_and_saveexec_b64 s[6:7], s[4:5]
	s_cbranch_execnz .LBB33_1847
	s_branch .LBB33_1848
.LBB33_3897:
	s_movk_i32 s4, 0x80
	v_cmp_eq_u16_sdwa s[12:13], v13, s4 src0_sel:BYTE_3 src1_sel:DWORD
	s_mov_b64 s[4:5], -1
                                        ; implicit-def: $sgpr10
	s_and_saveexec_b64 s[8:9], s[12:13]
; %bb.3898:
	s_mov_b32 s10, 0x7f800001
	s_xor_b64 s[4:5], exec, -1
; %bb.3899:
	s_or_b64 exec, exec, s[8:9]
	s_and_b64 s[4:5], s[4:5], exec
	s_or_saveexec_b64 s[6:7], s[6:7]
	v_mov_b32_e32 v8, s10
	s_xor_b64 exec, exec, s[6:7]
	s_cbranch_execz .LBB33_1850
.LBB33_3900:
	v_mov_b32_e32 v8, 0
	v_cmp_ne_u16_sdwa s[8:9], v13, v8 src0_sel:BYTE_3 src1_sel:DWORD
	s_andn2_b64 s[4:5], s[4:5], exec
	s_and_b64 s[8:9], s[8:9], exec
	s_or_b64 s[4:5], s[4:5], s[8:9]
	s_or_b64 exec, exec, s[6:7]
	s_and_saveexec_b64 s[6:7], s[4:5]
	s_cbranch_execnz .LBB33_1851
	s_branch .LBB33_1852
.LBB33_3901:
	s_movk_i32 s4, 0x80
	v_cmp_eq_u16_sdwa s[12:13], v9, s4 src0_sel:BYTE_3 src1_sel:DWORD
	s_mov_b64 s[4:5], -1
                                        ; implicit-def: $sgpr10
	s_and_saveexec_b64 s[8:9], s[12:13]
; %bb.3902:
	s_mov_b32 s10, 0x7f800001
	s_xor_b64 s[4:5], exec, -1
; %bb.3903:
	s_or_b64 exec, exec, s[8:9]
	s_and_b64 s[4:5], s[4:5], exec
	s_or_saveexec_b64 s[6:7], s[6:7]
	v_mov_b32_e32 v12, s10
	s_xor_b64 exec, exec, s[6:7]
	s_cbranch_execz .LBB33_1854
.LBB33_3904:
	v_mov_b32_e32 v12, 0
	v_cmp_ne_u16_sdwa s[8:9], v9, v12 src0_sel:BYTE_3 src1_sel:DWORD
	s_andn2_b64 s[4:5], s[4:5], exec
	s_and_b64 s[8:9], s[8:9], exec
	s_or_b64 s[4:5], s[4:5], s[8:9]
	s_or_b64 exec, exec, s[6:7]
	s_and_saveexec_b64 s[6:7], s[4:5]
	s_cbranch_execnz .LBB33_1855
	s_branch .LBB33_1856
.LBB33_3905:
	s_movk_i32 s4, 0x80
	v_cmp_eq_u16_sdwa s[12:13], v14, s4 src0_sel:BYTE_0 src1_sel:DWORD
	s_mov_b64 s[4:5], -1
                                        ; implicit-def: $sgpr10
	s_and_saveexec_b64 s[8:9], s[12:13]
; %bb.3906:
	s_mov_b32 s10, 0x7f800001
	s_xor_b64 s[4:5], exec, -1
; %bb.3907:
	s_or_b64 exec, exec, s[8:9]
	s_and_b64 s[4:5], s[4:5], exec
	s_or_saveexec_b64 s[6:7], s[6:7]
	v_mov_b32_e32 v8, s10
	s_xor_b64 exec, exec, s[6:7]
	s_cbranch_execz .LBB33_1858
.LBB33_3908:
	v_mov_b32_e32 v8, 0
	v_cmp_ne_u16_sdwa s[8:9], v14, v8 src0_sel:BYTE_0 src1_sel:DWORD
	s_andn2_b64 s[4:5], s[4:5], exec
	s_and_b64 s[8:9], s[8:9], exec
	s_or_b64 s[4:5], s[4:5], s[8:9]
	s_or_b64 exec, exec, s[6:7]
	s_and_saveexec_b64 s[6:7], s[4:5]
	s_cbranch_execnz .LBB33_1859
	s_branch .LBB33_1860
.LBB33_3909:
	s_movk_i32 s4, 0x80
	v_cmp_eq_u16_sdwa s[12:13], v10, s4 src0_sel:BYTE_0 src1_sel:DWORD
	s_mov_b64 s[4:5], -1
                                        ; implicit-def: $sgpr10
	s_and_saveexec_b64 s[8:9], s[12:13]
; %bb.3910:
	s_mov_b32 s10, 0x7f800001
	s_xor_b64 s[4:5], exec, -1
; %bb.3911:
	s_or_b64 exec, exec, s[8:9]
	s_and_b64 s[4:5], s[4:5], exec
	s_or_saveexec_b64 s[6:7], s[6:7]
	v_mov_b32_e32 v9, s10
	s_xor_b64 exec, exec, s[6:7]
	s_cbranch_execz .LBB33_1862
.LBB33_3912:
	v_mov_b32_e32 v9, 0
	v_cmp_ne_u16_sdwa s[8:9], v10, v9 src0_sel:BYTE_0 src1_sel:DWORD
	s_andn2_b64 s[4:5], s[4:5], exec
	s_and_b64 s[8:9], s[8:9], exec
	s_or_b64 s[4:5], s[4:5], s[8:9]
	s_or_b64 exec, exec, s[6:7]
	s_and_saveexec_b64 s[6:7], s[4:5]
	s_cbranch_execnz .LBB33_1863
	s_branch .LBB33_1864
.LBB33_3913:
	s_movk_i32 s4, 0x80
	v_cmp_eq_u16_sdwa s[12:13], v9, s4 src0_sel:BYTE_0 src1_sel:DWORD
	s_mov_b64 s[4:5], -1
                                        ; implicit-def: $sgpr10
	s_and_saveexec_b64 s[8:9], s[12:13]
; %bb.3914:
	s_mov_b32 s10, 0x7f800001
	s_xor_b64 s[4:5], exec, -1
; %bb.3915:
	s_or_b64 exec, exec, s[8:9]
	s_and_b64 s[4:5], s[4:5], exec
	s_or_saveexec_b64 s[6:7], s[6:7]
	v_mov_b32_e32 v8, s10
	s_xor_b64 exec, exec, s[6:7]
	s_cbranch_execz .LBB33_1866
.LBB33_3916:
	v_mov_b32_e32 v8, 0
	v_cmp_ne_u16_sdwa s[8:9], v9, v8 src0_sel:BYTE_0 src1_sel:DWORD
	s_andn2_b64 s[4:5], s[4:5], exec
	s_and_b64 s[8:9], s[8:9], exec
	s_or_b64 s[4:5], s[4:5], s[8:9]
	s_or_b64 exec, exec, s[6:7]
	s_and_saveexec_b64 s[6:7], s[4:5]
	s_cbranch_execnz .LBB33_1867
	s_branch .LBB33_1868
.LBB33_3917:
	s_movk_i32 s4, 0x80
	v_cmp_eq_u16_sdwa s[12:13], v9, s4 src0_sel:BYTE_0 src1_sel:DWORD
	s_mov_b64 s[4:5], -1
                                        ; implicit-def: $sgpr10
	s_and_saveexec_b64 s[8:9], s[12:13]
; %bb.3918:
	s_mov_b32 s10, 0x7f800001
	s_xor_b64 s[4:5], exec, -1
; %bb.3919:
	s_or_b64 exec, exec, s[8:9]
	s_and_b64 s[4:5], s[4:5], exec
	s_or_saveexec_b64 s[6:7], s[6:7]
	v_mov_b32_e32 v12, s10
	s_xor_b64 exec, exec, s[6:7]
	s_cbranch_execz .LBB33_1870
.LBB33_3920:
	v_mov_b32_e32 v12, 0
	v_cmp_ne_u16_sdwa s[8:9], v9, v12 src0_sel:BYTE_0 src1_sel:DWORD
	s_andn2_b64 s[4:5], s[4:5], exec
	s_and_b64 s[8:9], s[8:9], exec
	s_or_b64 s[4:5], s[4:5], s[8:9]
	s_or_b64 exec, exec, s[6:7]
	s_and_saveexec_b64 s[6:7], s[4:5]
	s_cbranch_execnz .LBB33_1871
	s_branch .LBB33_1872
.LBB33_3921:
	s_movk_i32 s4, 0x80
	v_cmp_eq_u16_e32 vcc, s4, v9
	s_mov_b64 s[4:5], -1
                                        ; implicit-def: $sgpr10
	s_and_saveexec_b64 s[8:9], vcc
; %bb.3922:
	s_mov_b32 s10, 0x7f800001
	s_xor_b64 s[4:5], exec, -1
; %bb.3923:
	s_or_b64 exec, exec, s[8:9]
	s_and_b64 s[4:5], s[4:5], exec
                                        ; implicit-def: $vgpr9
	s_or_saveexec_b64 s[6:7], s[6:7]
	v_mov_b32_e32 v8, s10
	s_xor_b64 exec, exec, s[6:7]
	s_cbranch_execz .LBB33_1874
.LBB33_3924:
	v_cmp_ne_u16_e32 vcc, 0, v9
	s_andn2_b64 s[4:5], s[4:5], exec
	s_and_b64 s[8:9], vcc, exec
	v_mov_b32_e32 v8, 0
	s_or_b64 s[4:5], s[4:5], s[8:9]
	s_or_b64 exec, exec, s[6:7]
	s_and_saveexec_b64 s[6:7], s[4:5]
	s_cbranch_execnz .LBB33_1875
	s_branch .LBB33_1876
.LBB33_3925:
	s_movk_i32 s4, 0x80
	v_cmp_eq_u16_e32 vcc, s4, v9
	s_mov_b64 s[4:5], -1
                                        ; implicit-def: $sgpr10
	s_and_saveexec_b64 s[8:9], vcc
; %bb.3926:
	s_mov_b32 s10, 0x7f800001
	s_xor_b64 s[4:5], exec, -1
; %bb.3927:
	s_or_b64 exec, exec, s[8:9]
	s_and_b64 s[4:5], s[4:5], exec
                                        ; implicit-def: $vgpr9
	s_or_saveexec_b64 s[6:7], s[6:7]
	v_mov_b32_e32 v12, s10
	s_xor_b64 exec, exec, s[6:7]
	s_cbranch_execz .LBB33_1878
.LBB33_3928:
	v_cmp_ne_u16_e32 vcc, 0, v9
	s_andn2_b64 s[4:5], s[4:5], exec
	s_and_b64 s[8:9], vcc, exec
	v_mov_b32_e32 v12, 0
	s_or_b64 s[4:5], s[4:5], s[8:9]
	s_or_b64 exec, exec, s[6:7]
	s_and_saveexec_b64 s[6:7], s[4:5]
	s_cbranch_execnz .LBB33_1879
	s_branch .LBB33_1880
.LBB33_3929:
	s_movk_i32 s4, 0x80
	v_cmp_eq_u16_sdwa s[12:13], v14, s4 src0_sel:BYTE_3 src1_sel:DWORD
	s_mov_b64 s[4:5], -1
                                        ; implicit-def: $sgpr10
	s_and_saveexec_b64 s[8:9], s[12:13]
; %bb.3930:
	s_mov_b32 s10, 0x7f800001
	s_xor_b64 s[4:5], exec, -1
; %bb.3931:
	s_or_b64 exec, exec, s[8:9]
	s_and_b64 s[4:5], s[4:5], exec
	s_or_saveexec_b64 s[6:7], s[6:7]
	v_mov_b32_e32 v8, s10
	s_xor_b64 exec, exec, s[6:7]
	s_cbranch_execz .LBB33_1882
.LBB33_3932:
	v_mov_b32_e32 v8, 0
	v_cmp_ne_u16_sdwa s[8:9], v14, v8 src0_sel:BYTE_3 src1_sel:DWORD
	s_andn2_b64 s[4:5], s[4:5], exec
	s_and_b64 s[8:9], s[8:9], exec
	s_or_b64 s[4:5], s[4:5], s[8:9]
	s_or_b64 exec, exec, s[6:7]
	s_and_saveexec_b64 s[6:7], s[4:5]
	s_cbranch_execnz .LBB33_1883
	s_branch .LBB33_1884
.LBB33_3933:
	s_movk_i32 s4, 0x80
	v_cmp_eq_u16_sdwa s[12:13], v10, s4 src0_sel:BYTE_3 src1_sel:DWORD
	s_mov_b64 s[4:5], -1
                                        ; implicit-def: $sgpr10
	s_and_saveexec_b64 s[8:9], s[12:13]
; %bb.3934:
	s_mov_b32 s10, 0x7f800001
	s_xor_b64 s[4:5], exec, -1
; %bb.3935:
	s_or_b64 exec, exec, s[8:9]
	s_and_b64 s[4:5], s[4:5], exec
	s_or_saveexec_b64 s[6:7], s[6:7]
	v_mov_b32_e32 v9, s10
	s_xor_b64 exec, exec, s[6:7]
	s_cbranch_execz .LBB33_1886
.LBB33_3936:
	v_mov_b32_e32 v9, 0
	v_cmp_ne_u16_sdwa s[8:9], v10, v9 src0_sel:BYTE_3 src1_sel:DWORD
	s_andn2_b64 s[4:5], s[4:5], exec
	s_and_b64 s[8:9], s[8:9], exec
	s_or_b64 s[4:5], s[4:5], s[8:9]
	s_or_b64 exec, exec, s[6:7]
	s_and_saveexec_b64 s[6:7], s[4:5]
	s_cbranch_execnz .LBB33_1887
	s_branch .LBB33_1888
.LBB33_3937:
	s_movk_i32 s4, 0x80
	v_cmp_eq_u16_sdwa s[12:13], v15, s4 src0_sel:BYTE_0 src1_sel:DWORD
	s_mov_b64 s[4:5], -1
                                        ; implicit-def: $sgpr10
	s_and_saveexec_b64 s[8:9], s[12:13]
; %bb.3938:
	s_mov_b32 s10, 0x7f800001
	s_xor_b64 s[4:5], exec, -1
; %bb.3939:
	s_or_b64 exec, exec, s[8:9]
	s_and_b64 s[4:5], s[4:5], exec
	s_or_saveexec_b64 s[6:7], s[6:7]
	v_mov_b32_e32 v8, s10
	s_xor_b64 exec, exec, s[6:7]
	s_cbranch_execz .LBB33_1890
.LBB33_3940:
	v_mov_b32_e32 v8, 0
	v_cmp_ne_u16_sdwa s[8:9], v15, v8 src0_sel:BYTE_0 src1_sel:DWORD
	s_andn2_b64 s[4:5], s[4:5], exec
	s_and_b64 s[8:9], s[8:9], exec
	s_or_b64 s[4:5], s[4:5], s[8:9]
	s_or_b64 exec, exec, s[6:7]
	s_and_saveexec_b64 s[6:7], s[4:5]
	s_cbranch_execnz .LBB33_1891
	s_branch .LBB33_1892
.LBB33_3941:
	s_movk_i32 s4, 0x80
	v_cmp_eq_u16_sdwa s[12:13], v11, s4 src0_sel:BYTE_0 src1_sel:DWORD
	s_mov_b64 s[4:5], -1
                                        ; implicit-def: $sgpr10
	s_and_saveexec_b64 s[8:9], s[12:13]
; %bb.3942:
	s_mov_b32 s10, 0x7f800001
	s_xor_b64 s[4:5], exec, -1
; %bb.3943:
	s_or_b64 exec, exec, s[8:9]
	s_and_b64 s[4:5], s[4:5], exec
	s_or_saveexec_b64 s[6:7], s[6:7]
	v_mov_b32_e32 v9, s10
	s_xor_b64 exec, exec, s[6:7]
	s_cbranch_execz .LBB33_1894
.LBB33_3944:
	v_mov_b32_e32 v9, 0
	v_cmp_ne_u16_sdwa s[8:9], v11, v9 src0_sel:BYTE_0 src1_sel:DWORD
	s_andn2_b64 s[4:5], s[4:5], exec
	s_and_b64 s[8:9], s[8:9], exec
	s_or_b64 s[4:5], s[4:5], s[8:9]
	s_or_b64 exec, exec, s[6:7]
	s_and_saveexec_b64 s[6:7], s[4:5]
	s_cbranch_execnz .LBB33_1895
	s_branch .LBB33_1896
.LBB33_3945:
	s_movk_i32 s4, 0x80
	v_cmp_eq_u16_sdwa s[12:13], v9, s4 src0_sel:BYTE_0 src1_sel:DWORD
	s_mov_b64 s[4:5], -1
                                        ; implicit-def: $sgpr10
	s_and_saveexec_b64 s[8:9], s[12:13]
; %bb.3946:
	s_mov_b32 s10, 0x7f800001
	s_xor_b64 s[4:5], exec, -1
; %bb.3947:
	s_or_b64 exec, exec, s[8:9]
	s_and_b64 s[4:5], s[4:5], exec
	s_or_saveexec_b64 s[6:7], s[6:7]
	v_mov_b32_e32 v8, s10
	s_xor_b64 exec, exec, s[6:7]
	s_cbranch_execz .LBB33_1898
.LBB33_3948:
	v_mov_b32_e32 v8, 0
	v_cmp_ne_u16_sdwa s[8:9], v9, v8 src0_sel:BYTE_0 src1_sel:DWORD
	s_andn2_b64 s[4:5], s[4:5], exec
	s_and_b64 s[8:9], s[8:9], exec
	s_or_b64 s[4:5], s[4:5], s[8:9]
	s_or_b64 exec, exec, s[6:7]
	s_and_saveexec_b64 s[6:7], s[4:5]
	s_cbranch_execnz .LBB33_1899
	s_branch .LBB33_1900
.LBB33_3949:
	s_movk_i32 s4, 0x80
	v_cmp_eq_u16_sdwa s[12:13], v9, s4 src0_sel:BYTE_0 src1_sel:DWORD
	s_mov_b64 s[4:5], -1
                                        ; implicit-def: $sgpr10
	s_and_saveexec_b64 s[8:9], s[12:13]
; %bb.3950:
	s_mov_b32 s10, 0x7f800001
	s_xor_b64 s[4:5], exec, -1
; %bb.3951:
	s_or_b64 exec, exec, s[8:9]
	s_and_b64 s[4:5], s[4:5], exec
	s_or_saveexec_b64 s[6:7], s[6:7]
	v_mov_b32_e32 v10, s10
	s_xor_b64 exec, exec, s[6:7]
	s_cbranch_execz .LBB33_1902
.LBB33_3952:
	v_mov_b32_e32 v10, 0
	v_cmp_ne_u16_sdwa s[8:9], v9, v10 src0_sel:BYTE_0 src1_sel:DWORD
	s_andn2_b64 s[4:5], s[4:5], exec
	s_and_b64 s[8:9], s[8:9], exec
	s_or_b64 s[4:5], s[4:5], s[8:9]
	s_or_b64 exec, exec, s[6:7]
	s_and_saveexec_b64 s[6:7], s[4:5]
	s_cbranch_execnz .LBB33_1903
	s_branch .LBB33_1904
.LBB33_3953:
	s_movk_i32 s4, 0x80
	v_cmp_eq_u16_e32 vcc, s4, v9
	s_mov_b64 s[4:5], -1
                                        ; implicit-def: $sgpr10
	s_and_saveexec_b64 s[8:9], vcc
; %bb.3954:
	s_mov_b32 s10, 0x7f800001
	s_xor_b64 s[4:5], exec, -1
; %bb.3955:
	s_or_b64 exec, exec, s[8:9]
	s_and_b64 s[4:5], s[4:5], exec
                                        ; implicit-def: $vgpr9
	s_or_saveexec_b64 s[6:7], s[6:7]
	v_mov_b32_e32 v8, s10
	s_xor_b64 exec, exec, s[6:7]
	s_cbranch_execz .LBB33_1906
.LBB33_3956:
	v_cmp_ne_u16_e32 vcc, 0, v9
	s_andn2_b64 s[4:5], s[4:5], exec
	s_and_b64 s[8:9], vcc, exec
	v_mov_b32_e32 v8, 0
	s_or_b64 s[4:5], s[4:5], s[8:9]
	s_or_b64 exec, exec, s[6:7]
	s_and_saveexec_b64 s[6:7], s[4:5]
	s_cbranch_execnz .LBB33_1907
	s_branch .LBB33_1908
.LBB33_3957:
	s_movk_i32 s4, 0x80
	v_cmp_eq_u16_e32 vcc, s4, v9
	s_mov_b64 s[4:5], -1
                                        ; implicit-def: $sgpr10
	s_and_saveexec_b64 s[8:9], vcc
; %bb.3958:
	s_mov_b32 s10, 0x7f800001
	s_xor_b64 s[4:5], exec, -1
; %bb.3959:
	s_or_b64 exec, exec, s[8:9]
	s_and_b64 s[4:5], s[4:5], exec
                                        ; implicit-def: $vgpr9
	s_or_saveexec_b64 s[6:7], s[6:7]
	v_mov_b32_e32 v10, s10
	s_xor_b64 exec, exec, s[6:7]
	s_cbranch_execz .LBB33_1910
.LBB33_3960:
	v_cmp_ne_u16_e32 vcc, 0, v9
	s_andn2_b64 s[4:5], s[4:5], exec
	s_and_b64 s[8:9], vcc, exec
	v_mov_b32_e32 v10, 0
	s_or_b64 s[4:5], s[4:5], s[8:9]
	s_or_b64 exec, exec, s[6:7]
	s_and_saveexec_b64 s[6:7], s[4:5]
	s_cbranch_execnz .LBB33_1911
	s_branch .LBB33_1912
.LBB33_3961:
	s_movk_i32 s4, 0x80
	v_cmp_eq_u16_sdwa s[12:13], v15, s4 src0_sel:BYTE_3 src1_sel:DWORD
	s_mov_b64 s[4:5], -1
                                        ; implicit-def: $sgpr10
	s_and_saveexec_b64 s[8:9], s[12:13]
; %bb.3962:
	s_mov_b32 s10, 0x7f800001
	s_xor_b64 s[4:5], exec, -1
; %bb.3963:
	s_or_b64 exec, exec, s[8:9]
	s_and_b64 s[4:5], s[4:5], exec
	s_or_saveexec_b64 s[6:7], s[6:7]
	v_mov_b32_e32 v8, s10
	s_xor_b64 exec, exec, s[6:7]
	s_cbranch_execz .LBB33_1914
.LBB33_3964:
	v_mov_b32_e32 v8, 0
	v_cmp_ne_u16_sdwa s[8:9], v15, v8 src0_sel:BYTE_3 src1_sel:DWORD
	s_andn2_b64 s[4:5], s[4:5], exec
	s_and_b64 s[8:9], s[8:9], exec
	s_or_b64 s[4:5], s[4:5], s[8:9]
	s_or_b64 exec, exec, s[6:7]
	s_and_saveexec_b64 s[6:7], s[4:5]
	s_cbranch_execnz .LBB33_1915
	s_branch .LBB33_1916
.LBB33_3965:
	s_movk_i32 s4, 0x80
	v_cmp_eq_u16_sdwa s[12:13], v11, s4 src0_sel:BYTE_3 src1_sel:DWORD
	s_mov_b64 s[4:5], -1
                                        ; implicit-def: $sgpr10
	s_and_saveexec_b64 s[8:9], s[12:13]
; %bb.3966:
	s_mov_b32 s10, 0x7f800001
	s_xor_b64 s[4:5], exec, -1
; %bb.3967:
	s_or_b64 exec, exec, s[8:9]
	s_and_b64 s[4:5], s[4:5], exec
	s_or_saveexec_b64 s[6:7], s[6:7]
	v_mov_b32_e32 v9, s10
	s_xor_b64 exec, exec, s[6:7]
	s_cbranch_execz .LBB33_1918
.LBB33_3968:
	v_mov_b32_e32 v9, 0
	v_cmp_ne_u16_sdwa s[8:9], v11, v9 src0_sel:BYTE_3 src1_sel:DWORD
	s_andn2_b64 s[4:5], s[4:5], exec
	s_and_b64 s[8:9], s[8:9], exec
	s_or_b64 s[4:5], s[4:5], s[8:9]
	s_or_b64 exec, exec, s[6:7]
	s_and_saveexec_b64 s[6:7], s[4:5]
	s_cbranch_execnz .LBB33_1919
	s_branch .LBB33_1920
.LBB33_3969:
	s_movk_i32 s4, 0x80
	v_cmp_eq_u16_sdwa s[12:13], v4, s4 src0_sel:BYTE_0 src1_sel:DWORD
	s_mov_b64 s[4:5], -1
                                        ; implicit-def: $sgpr10
	s_and_saveexec_b64 s[8:9], s[12:13]
; %bb.3970:
	s_mov_b32 s10, 0x7f800001
	s_xor_b64 s[4:5], exec, -1
; %bb.3971:
	s_or_b64 exec, exec, s[8:9]
	s_and_b64 s[4:5], s[4:5], exec
	s_or_saveexec_b64 s[6:7], s[6:7]
	v_mov_b32_e32 v8, s10
	s_xor_b64 exec, exec, s[6:7]
	s_cbranch_execz .LBB33_1922
.LBB33_3972:
	v_mov_b32_e32 v8, 0
	v_cmp_ne_u16_sdwa s[8:9], v4, v8 src0_sel:BYTE_0 src1_sel:DWORD
	s_andn2_b64 s[4:5], s[4:5], exec
	s_and_b64 s[8:9], s[8:9], exec
	s_or_b64 s[4:5], s[4:5], s[8:9]
	s_or_b64 exec, exec, s[6:7]
	s_and_saveexec_b64 s[6:7], s[4:5]
	s_cbranch_execnz .LBB33_1923
	s_branch .LBB33_1924
.LBB33_3973:
	s_movk_i32 s4, 0x80
	v_cmp_eq_u16_sdwa s[12:13], v0, s4 src0_sel:BYTE_0 src1_sel:DWORD
	s_mov_b64 s[4:5], -1
                                        ; implicit-def: $sgpr10
	s_and_saveexec_b64 s[8:9], s[12:13]
; %bb.3974:
	s_mov_b32 s10, 0x7f800001
	s_xor_b64 s[4:5], exec, -1
; %bb.3975:
	s_or_b64 exec, exec, s[8:9]
	s_and_b64 s[4:5], s[4:5], exec
	s_or_saveexec_b64 s[6:7], s[6:7]
	v_mov_b32_e32 v9, s10
	s_xor_b64 exec, exec, s[6:7]
	s_cbranch_execz .LBB33_1926
.LBB33_3976:
	v_mov_b32_e32 v9, 0
	v_cmp_ne_u16_sdwa s[8:9], v0, v9 src0_sel:BYTE_0 src1_sel:DWORD
	s_andn2_b64 s[4:5], s[4:5], exec
	s_and_b64 s[8:9], s[8:9], exec
	s_or_b64 s[4:5], s[4:5], s[8:9]
	s_or_b64 exec, exec, s[6:7]
	s_and_saveexec_b64 s[6:7], s[4:5]
	s_cbranch_execnz .LBB33_1927
	s_branch .LBB33_1928
.LBB33_3977:
	s_movk_i32 s4, 0x80
	v_cmp_eq_u16_sdwa s[12:13], v9, s4 src0_sel:BYTE_0 src1_sel:DWORD
	s_mov_b64 s[4:5], -1
                                        ; implicit-def: $sgpr10
	s_and_saveexec_b64 s[8:9], s[12:13]
; %bb.3978:
	s_mov_b32 s10, 0x7f800001
	s_xor_b64 s[4:5], exec, -1
; %bb.3979:
	s_or_b64 exec, exec, s[8:9]
	s_and_b64 s[4:5], s[4:5], exec
	s_or_saveexec_b64 s[6:7], s[6:7]
	v_mov_b32_e32 v8, s10
	s_xor_b64 exec, exec, s[6:7]
	s_cbranch_execz .LBB33_1930
.LBB33_3980:
	v_mov_b32_e32 v8, 0
	v_cmp_ne_u16_sdwa s[8:9], v9, v8 src0_sel:BYTE_0 src1_sel:DWORD
	s_andn2_b64 s[4:5], s[4:5], exec
	s_and_b64 s[8:9], s[8:9], exec
	s_or_b64 s[4:5], s[4:5], s[8:9]
	s_or_b64 exec, exec, s[6:7]
	s_and_saveexec_b64 s[6:7], s[4:5]
	s_cbranch_execnz .LBB33_1931
	s_branch .LBB33_1932
.LBB33_3981:
	s_movk_i32 s4, 0x80
	v_cmp_eq_u16_sdwa s[12:13], v9, s4 src0_sel:BYTE_0 src1_sel:DWORD
	s_mov_b64 s[4:5], -1
                                        ; implicit-def: $sgpr10
	s_and_saveexec_b64 s[8:9], s[12:13]
; %bb.3982:
	s_mov_b32 s10, 0x7f800001
	s_xor_b64 s[4:5], exec, -1
; %bb.3983:
	s_or_b64 exec, exec, s[8:9]
	s_and_b64 s[4:5], s[4:5], exec
	s_or_saveexec_b64 s[6:7], s[6:7]
	v_mov_b32_e32 v10, s10
	s_xor_b64 exec, exec, s[6:7]
	s_cbranch_execz .LBB33_1934
.LBB33_3984:
	v_mov_b32_e32 v10, 0
	v_cmp_ne_u16_sdwa s[8:9], v9, v10 src0_sel:BYTE_0 src1_sel:DWORD
	s_andn2_b64 s[4:5], s[4:5], exec
	s_and_b64 s[8:9], s[8:9], exec
	s_or_b64 s[4:5], s[4:5], s[8:9]
	s_or_b64 exec, exec, s[6:7]
	s_and_saveexec_b64 s[6:7], s[4:5]
	s_cbranch_execnz .LBB33_1935
	s_branch .LBB33_1936
.LBB33_3985:
	s_movk_i32 s4, 0x80
	v_cmp_eq_u16_e32 vcc, s4, v9
	s_mov_b64 s[4:5], -1
                                        ; implicit-def: $sgpr10
	s_and_saveexec_b64 s[8:9], vcc
; %bb.3986:
	s_mov_b32 s10, 0x7f800001
	s_xor_b64 s[4:5], exec, -1
; %bb.3987:
	s_or_b64 exec, exec, s[8:9]
	s_and_b64 s[4:5], s[4:5], exec
                                        ; implicit-def: $vgpr9
	s_or_saveexec_b64 s[6:7], s[6:7]
	v_mov_b32_e32 v8, s10
	s_xor_b64 exec, exec, s[6:7]
	s_cbranch_execz .LBB33_1938
.LBB33_3988:
	v_cmp_ne_u16_e32 vcc, 0, v9
	s_andn2_b64 s[4:5], s[4:5], exec
	s_and_b64 s[8:9], vcc, exec
	v_mov_b32_e32 v8, 0
	s_or_b64 s[4:5], s[4:5], s[8:9]
	s_or_b64 exec, exec, s[6:7]
	s_and_saveexec_b64 s[6:7], s[4:5]
	s_cbranch_execnz .LBB33_1939
	s_branch .LBB33_1940
.LBB33_3989:
	s_movk_i32 s4, 0x80
	v_cmp_eq_u16_e32 vcc, s4, v9
	s_mov_b64 s[4:5], -1
                                        ; implicit-def: $sgpr10
	s_and_saveexec_b64 s[8:9], vcc
; %bb.3990:
	s_mov_b32 s10, 0x7f800001
	s_xor_b64 s[4:5], exec, -1
; %bb.3991:
	s_or_b64 exec, exec, s[8:9]
	s_and_b64 s[4:5], s[4:5], exec
                                        ; implicit-def: $vgpr9
	s_or_saveexec_b64 s[6:7], s[6:7]
	v_mov_b32_e32 v10, s10
	s_xor_b64 exec, exec, s[6:7]
	s_cbranch_execz .LBB33_1942
.LBB33_3992:
	v_cmp_ne_u16_e32 vcc, 0, v9
	s_andn2_b64 s[4:5], s[4:5], exec
	s_and_b64 s[8:9], vcc, exec
	v_mov_b32_e32 v10, 0
	s_or_b64 s[4:5], s[4:5], s[8:9]
	s_or_b64 exec, exec, s[6:7]
	s_and_saveexec_b64 s[6:7], s[4:5]
	s_cbranch_execnz .LBB33_1943
	s_branch .LBB33_1944
.LBB33_3993:
	s_movk_i32 s4, 0x80
	v_cmp_eq_u16_sdwa s[12:13], v4, s4 src0_sel:BYTE_3 src1_sel:DWORD
	s_mov_b64 s[4:5], -1
                                        ; implicit-def: $sgpr10
	s_and_saveexec_b64 s[8:9], s[12:13]
; %bb.3994:
	s_mov_b32 s10, 0x7f800001
	s_xor_b64 s[4:5], exec, -1
; %bb.3995:
	s_or_b64 exec, exec, s[8:9]
	s_and_b64 s[4:5], s[4:5], exec
	s_or_saveexec_b64 s[6:7], s[6:7]
	v_mov_b32_e32 v8, s10
	s_xor_b64 exec, exec, s[6:7]
	s_cbranch_execz .LBB33_1946
.LBB33_3996:
	v_mov_b32_e32 v8, 0
	v_cmp_ne_u16_sdwa s[8:9], v4, v8 src0_sel:BYTE_3 src1_sel:DWORD
	s_andn2_b64 s[4:5], s[4:5], exec
	s_and_b64 s[8:9], s[8:9], exec
	s_or_b64 s[4:5], s[4:5], s[8:9]
	s_or_b64 exec, exec, s[6:7]
	s_and_saveexec_b64 s[6:7], s[4:5]
	s_cbranch_execnz .LBB33_1947
	s_branch .LBB33_1948
.LBB33_3997:
	s_movk_i32 s4, 0x80
	v_cmp_eq_u16_sdwa s[12:13], v0, s4 src0_sel:BYTE_3 src1_sel:DWORD
	s_mov_b64 s[4:5], -1
                                        ; implicit-def: $sgpr10
	s_and_saveexec_b64 s[8:9], s[12:13]
; %bb.3998:
	s_mov_b32 s10, 0x7f800001
	s_xor_b64 s[4:5], exec, -1
; %bb.3999:
	s_or_b64 exec, exec, s[8:9]
	s_and_b64 s[4:5], s[4:5], exec
	s_or_saveexec_b64 s[6:7], s[6:7]
	v_mov_b32_e32 v4, s10
	s_xor_b64 exec, exec, s[6:7]
	s_cbranch_execz .LBB33_1950
.LBB33_4000:
	v_mov_b32_e32 v4, 0
	v_cmp_ne_u16_sdwa s[8:9], v0, v4 src0_sel:BYTE_3 src1_sel:DWORD
	s_andn2_b64 s[4:5], s[4:5], exec
	s_and_b64 s[8:9], s[8:9], exec
	s_or_b64 s[4:5], s[4:5], s[8:9]
	s_or_b64 exec, exec, s[6:7]
	s_and_saveexec_b64 s[6:7], s[4:5]
	s_cbranch_execnz .LBB33_1951
	s_branch .LBB33_1952
.LBB33_4001:
	s_movk_i32 s4, 0x80
	v_cmp_eq_u16_sdwa s[12:13], v5, s4 src0_sel:BYTE_0 src1_sel:DWORD
	s_mov_b64 s[4:5], -1
                                        ; implicit-def: $sgpr10
	s_and_saveexec_b64 s[8:9], s[12:13]
; %bb.4002:
	s_mov_b32 s10, 0x7f800001
	s_xor_b64 s[4:5], exec, -1
; %bb.4003:
	s_or_b64 exec, exec, s[8:9]
	s_and_b64 s[4:5], s[4:5], exec
	s_or_saveexec_b64 s[6:7], s[6:7]
	v_mov_b32_e32 v0, s10
	s_xor_b64 exec, exec, s[6:7]
	s_cbranch_execz .LBB33_1954
.LBB33_4004:
	v_mov_b32_e32 v0, 0
	v_cmp_ne_u16_sdwa s[8:9], v5, v0 src0_sel:BYTE_0 src1_sel:DWORD
	s_andn2_b64 s[4:5], s[4:5], exec
	s_and_b64 s[8:9], s[8:9], exec
	s_or_b64 s[4:5], s[4:5], s[8:9]
	s_or_b64 exec, exec, s[6:7]
	s_and_saveexec_b64 s[6:7], s[4:5]
	s_cbranch_execnz .LBB33_1955
	s_branch .LBB33_1956
.LBB33_4005:
	s_movk_i32 s4, 0x80
	v_cmp_eq_u16_sdwa s[12:13], v1, s4 src0_sel:BYTE_0 src1_sel:DWORD
	s_mov_b64 s[4:5], -1
                                        ; implicit-def: $sgpr10
	s_and_saveexec_b64 s[8:9], s[12:13]
; %bb.4006:
	s_mov_b32 s10, 0x7f800001
	s_xor_b64 s[4:5], exec, -1
; %bb.4007:
	s_or_b64 exec, exec, s[8:9]
	s_and_b64 s[4:5], s[4:5], exec
	s_or_saveexec_b64 s[6:7], s[6:7]
	v_mov_b32_e32 v4, s10
	s_xor_b64 exec, exec, s[6:7]
	s_cbranch_execz .LBB33_1958
.LBB33_4008:
	v_mov_b32_e32 v4, 0
	v_cmp_ne_u16_sdwa s[8:9], v1, v4 src0_sel:BYTE_0 src1_sel:DWORD
	s_andn2_b64 s[4:5], s[4:5], exec
	s_and_b64 s[8:9], s[8:9], exec
	s_or_b64 s[4:5], s[4:5], s[8:9]
	s_or_b64 exec, exec, s[6:7]
	s_and_saveexec_b64 s[6:7], s[4:5]
	s_cbranch_execnz .LBB33_1959
	s_branch .LBB33_1960
.LBB33_4009:
	s_movk_i32 s4, 0x80
	v_cmp_eq_u16_sdwa s[12:13], v4, s4 src0_sel:BYTE_0 src1_sel:DWORD
	s_mov_b64 s[4:5], -1
                                        ; implicit-def: $sgpr10
	s_and_saveexec_b64 s[8:9], s[12:13]
; %bb.4010:
	s_mov_b32 s10, 0x7f800001
	s_xor_b64 s[4:5], exec, -1
; %bb.4011:
	s_or_b64 exec, exec, s[8:9]
	s_and_b64 s[4:5], s[4:5], exec
	s_or_saveexec_b64 s[6:7], s[6:7]
	v_mov_b32_e32 v0, s10
	s_xor_b64 exec, exec, s[6:7]
	s_cbranch_execz .LBB33_1962
.LBB33_4012:
	v_mov_b32_e32 v0, 0
	v_cmp_ne_u16_sdwa s[8:9], v4, v0 src0_sel:BYTE_0 src1_sel:DWORD
	s_andn2_b64 s[4:5], s[4:5], exec
	s_and_b64 s[8:9], s[8:9], exec
	s_or_b64 s[4:5], s[4:5], s[8:9]
	s_or_b64 exec, exec, s[6:7]
	s_and_saveexec_b64 s[6:7], s[4:5]
	s_cbranch_execnz .LBB33_1963
	s_branch .LBB33_1964
.LBB33_4013:
	s_movk_i32 s4, 0x80
	v_cmp_eq_u16_sdwa s[12:13], v4, s4 src0_sel:BYTE_0 src1_sel:DWORD
	s_mov_b64 s[4:5], -1
                                        ; implicit-def: $sgpr10
	s_and_saveexec_b64 s[8:9], s[12:13]
; %bb.4014:
	s_mov_b32 s10, 0x7f800001
	s_xor_b64 s[4:5], exec, -1
; %bb.4015:
	s_or_b64 exec, exec, s[8:9]
	s_and_b64 s[4:5], s[4:5], exec
	s_or_saveexec_b64 s[6:7], s[6:7]
	v_mov_b32_e32 v8, s10
	s_xor_b64 exec, exec, s[6:7]
	s_cbranch_execz .LBB33_1966
.LBB33_4016:
	v_mov_b32_e32 v8, 0
	v_cmp_ne_u16_sdwa s[8:9], v4, v8 src0_sel:BYTE_0 src1_sel:DWORD
	s_andn2_b64 s[4:5], s[4:5], exec
	s_and_b64 s[8:9], s[8:9], exec
	s_or_b64 s[4:5], s[4:5], s[8:9]
	s_or_b64 exec, exec, s[6:7]
	s_and_saveexec_b64 s[6:7], s[4:5]
	s_cbranch_execnz .LBB33_1967
	s_branch .LBB33_1968
.LBB33_4017:
	s_movk_i32 s4, 0x80
	v_cmp_eq_u16_e32 vcc, s4, v4
	s_mov_b64 s[4:5], -1
                                        ; implicit-def: $sgpr10
	s_and_saveexec_b64 s[8:9], vcc
; %bb.4018:
	s_mov_b32 s10, 0x7f800001
	s_xor_b64 s[4:5], exec, -1
; %bb.4019:
	s_or_b64 exec, exec, s[8:9]
	s_and_b64 s[4:5], s[4:5], exec
                                        ; implicit-def: $vgpr4
	s_or_saveexec_b64 s[6:7], s[6:7]
	v_mov_b32_e32 v0, s10
	s_xor_b64 exec, exec, s[6:7]
	s_cbranch_execz .LBB33_1970
.LBB33_4020:
	v_cmp_ne_u16_e32 vcc, 0, v4
	s_andn2_b64 s[4:5], s[4:5], exec
	s_and_b64 s[8:9], vcc, exec
	v_mov_b32_e32 v0, 0
	s_or_b64 s[4:5], s[4:5], s[8:9]
	s_or_b64 exec, exec, s[6:7]
	s_and_saveexec_b64 s[6:7], s[4:5]
	s_cbranch_execnz .LBB33_1971
	s_branch .LBB33_1972
.LBB33_4021:
	s_movk_i32 s4, 0x80
	v_cmp_eq_u16_e32 vcc, s4, v4
	s_mov_b64 s[4:5], -1
                                        ; implicit-def: $sgpr10
	s_and_saveexec_b64 s[8:9], vcc
; %bb.4022:
	s_mov_b32 s10, 0x7f800001
	s_xor_b64 s[4:5], exec, -1
; %bb.4023:
	s_or_b64 exec, exec, s[8:9]
	s_and_b64 s[4:5], s[4:5], exec
                                        ; implicit-def: $vgpr4
	s_or_saveexec_b64 s[6:7], s[6:7]
	v_mov_b32_e32 v8, s10
	s_xor_b64 exec, exec, s[6:7]
	s_cbranch_execz .LBB33_1974
.LBB33_4024:
	v_cmp_ne_u16_e32 vcc, 0, v4
	s_andn2_b64 s[4:5], s[4:5], exec
	s_and_b64 s[8:9], vcc, exec
	v_mov_b32_e32 v8, 0
	s_or_b64 s[4:5], s[4:5], s[8:9]
	s_or_b64 exec, exec, s[6:7]
	s_and_saveexec_b64 s[6:7], s[4:5]
	s_cbranch_execnz .LBB33_1975
	s_branch .LBB33_1976
.LBB33_4025:
	s_movk_i32 s4, 0x80
	v_cmp_eq_u16_sdwa s[12:13], v5, s4 src0_sel:BYTE_3 src1_sel:DWORD
	s_mov_b64 s[4:5], -1
                                        ; implicit-def: $sgpr10
	s_and_saveexec_b64 s[8:9], s[12:13]
; %bb.4026:
	s_mov_b32 s10, 0x7f800001
	s_xor_b64 s[4:5], exec, -1
; %bb.4027:
	s_or_b64 exec, exec, s[8:9]
	s_and_b64 s[4:5], s[4:5], exec
	s_or_saveexec_b64 s[6:7], s[6:7]
	v_mov_b32_e32 v0, s10
	s_xor_b64 exec, exec, s[6:7]
	s_cbranch_execz .LBB33_1978
.LBB33_4028:
	v_mov_b32_e32 v0, 0
	v_cmp_ne_u16_sdwa s[8:9], v5, v0 src0_sel:BYTE_3 src1_sel:DWORD
	s_andn2_b64 s[4:5], s[4:5], exec
	s_and_b64 s[8:9], s[8:9], exec
	s_or_b64 s[4:5], s[4:5], s[8:9]
	s_or_b64 exec, exec, s[6:7]
	s_and_saveexec_b64 s[6:7], s[4:5]
	s_cbranch_execnz .LBB33_1979
	s_branch .LBB33_1980
.LBB33_4029:
	s_movk_i32 s4, 0x80
	v_cmp_eq_u16_sdwa s[12:13], v1, s4 src0_sel:BYTE_3 src1_sel:DWORD
	s_mov_b64 s[4:5], -1
                                        ; implicit-def: $sgpr10
	s_and_saveexec_b64 s[8:9], s[12:13]
; %bb.4030:
	s_mov_b32 s10, 0x7f800001
	s_xor_b64 s[4:5], exec, -1
; %bb.4031:
	s_or_b64 exec, exec, s[8:9]
	s_and_b64 s[4:5], s[4:5], exec
	s_or_saveexec_b64 s[6:7], s[6:7]
	v_mov_b32_e32 v4, s10
	s_xor_b64 exec, exec, s[6:7]
	s_cbranch_execz .LBB33_1982
.LBB33_4032:
	v_mov_b32_e32 v4, 0
	v_cmp_ne_u16_sdwa s[8:9], v1, v4 src0_sel:BYTE_3 src1_sel:DWORD
	s_andn2_b64 s[4:5], s[4:5], exec
	s_and_b64 s[8:9], s[8:9], exec
	s_or_b64 s[4:5], s[4:5], s[8:9]
	s_or_b64 exec, exec, s[6:7]
	s_and_saveexec_b64 s[6:7], s[4:5]
	s_cbranch_execnz .LBB33_1983
	s_branch .LBB33_1984
.LBB33_4033:
	s_movk_i32 s4, 0x80
	v_cmp_eq_u16_sdwa s[12:13], v6, s4 src0_sel:BYTE_0 src1_sel:DWORD
	s_mov_b64 s[4:5], -1
                                        ; implicit-def: $sgpr10
	s_and_saveexec_b64 s[8:9], s[12:13]
; %bb.4034:
	s_mov_b32 s10, 0x7f800001
	s_xor_b64 s[4:5], exec, -1
; %bb.4035:
	s_or_b64 exec, exec, s[8:9]
	s_and_b64 s[4:5], s[4:5], exec
	s_or_saveexec_b64 s[6:7], s[6:7]
	v_mov_b32_e32 v0, s10
	s_xor_b64 exec, exec, s[6:7]
	s_cbranch_execz .LBB33_1986
.LBB33_4036:
	v_mov_b32_e32 v0, 0
	v_cmp_ne_u16_sdwa s[8:9], v6, v0 src0_sel:BYTE_0 src1_sel:DWORD
	s_andn2_b64 s[4:5], s[4:5], exec
	s_and_b64 s[8:9], s[8:9], exec
	s_or_b64 s[4:5], s[4:5], s[8:9]
	s_or_b64 exec, exec, s[6:7]
	s_and_saveexec_b64 s[6:7], s[4:5]
	s_cbranch_execnz .LBB33_1987
	s_branch .LBB33_1988
.LBB33_4037:
	s_movk_i32 s4, 0x80
	v_cmp_eq_u16_sdwa s[12:13], v2, s4 src0_sel:BYTE_0 src1_sel:DWORD
	s_mov_b64 s[4:5], -1
                                        ; implicit-def: $sgpr10
	s_and_saveexec_b64 s[8:9], s[12:13]
; %bb.4038:
	s_mov_b32 s10, 0x7f800001
	s_xor_b64 s[4:5], exec, -1
; %bb.4039:
	s_or_b64 exec, exec, s[8:9]
	s_and_b64 s[4:5], s[4:5], exec
	s_or_saveexec_b64 s[6:7], s[6:7]
	v_mov_b32_e32 v1, s10
	s_xor_b64 exec, exec, s[6:7]
	s_cbranch_execz .LBB33_1990
.LBB33_4040:
	v_mov_b32_e32 v1, 0
	v_cmp_ne_u16_sdwa s[8:9], v2, v1 src0_sel:BYTE_0 src1_sel:DWORD
	s_andn2_b64 s[4:5], s[4:5], exec
	s_and_b64 s[8:9], s[8:9], exec
	s_or_b64 s[4:5], s[4:5], s[8:9]
	s_or_b64 exec, exec, s[6:7]
	s_and_saveexec_b64 s[6:7], s[4:5]
	s_cbranch_execnz .LBB33_1991
	s_branch .LBB33_1992
.LBB33_4041:
	s_movk_i32 s4, 0x80
	v_cmp_eq_u16_sdwa s[12:13], v1, s4 src0_sel:BYTE_0 src1_sel:DWORD
	s_mov_b64 s[4:5], -1
                                        ; implicit-def: $sgpr10
	s_and_saveexec_b64 s[8:9], s[12:13]
; %bb.4042:
	s_mov_b32 s10, 0x7f800001
	s_xor_b64 s[4:5], exec, -1
; %bb.4043:
	s_or_b64 exec, exec, s[8:9]
	s_and_b64 s[4:5], s[4:5], exec
	s_or_saveexec_b64 s[6:7], s[6:7]
	v_mov_b32_e32 v0, s10
	s_xor_b64 exec, exec, s[6:7]
	s_cbranch_execz .LBB33_1994
.LBB33_4044:
	v_mov_b32_e32 v0, 0
	v_cmp_ne_u16_sdwa s[8:9], v1, v0 src0_sel:BYTE_0 src1_sel:DWORD
	s_andn2_b64 s[4:5], s[4:5], exec
	s_and_b64 s[8:9], s[8:9], exec
	s_or_b64 s[4:5], s[4:5], s[8:9]
	s_or_b64 exec, exec, s[6:7]
	s_and_saveexec_b64 s[6:7], s[4:5]
	s_cbranch_execnz .LBB33_1995
	s_branch .LBB33_1996
.LBB33_4045:
	s_movk_i32 s4, 0x80
	v_cmp_eq_u16_sdwa s[12:13], v1, s4 src0_sel:BYTE_0 src1_sel:DWORD
	s_mov_b64 s[4:5], -1
                                        ; implicit-def: $sgpr10
	s_and_saveexec_b64 s[8:9], s[12:13]
; %bb.4046:
	s_mov_b32 s10, 0x7f800001
	s_xor_b64 s[4:5], exec, -1
; %bb.4047:
	s_or_b64 exec, exec, s[8:9]
	s_and_b64 s[4:5], s[4:5], exec
	s_or_saveexec_b64 s[6:7], s[6:7]
	v_mov_b32_e32 v4, s10
	s_xor_b64 exec, exec, s[6:7]
	s_cbranch_execz .LBB33_1998
.LBB33_4048:
	v_mov_b32_e32 v4, 0
	v_cmp_ne_u16_sdwa s[8:9], v1, v4 src0_sel:BYTE_0 src1_sel:DWORD
	s_andn2_b64 s[4:5], s[4:5], exec
	s_and_b64 s[8:9], s[8:9], exec
	s_or_b64 s[4:5], s[4:5], s[8:9]
	s_or_b64 exec, exec, s[6:7]
	s_and_saveexec_b64 s[6:7], s[4:5]
	s_cbranch_execnz .LBB33_1999
	s_branch .LBB33_2000
.LBB33_4049:
	s_movk_i32 s4, 0x80
	v_cmp_eq_u16_e32 vcc, s4, v1
	s_mov_b64 s[4:5], -1
                                        ; implicit-def: $sgpr10
	s_and_saveexec_b64 s[8:9], vcc
; %bb.4050:
	s_mov_b32 s10, 0x7f800001
	s_xor_b64 s[4:5], exec, -1
; %bb.4051:
	s_or_b64 exec, exec, s[8:9]
	s_and_b64 s[4:5], s[4:5], exec
                                        ; implicit-def: $vgpr1
	s_or_saveexec_b64 s[6:7], s[6:7]
	v_mov_b32_e32 v0, s10
	s_xor_b64 exec, exec, s[6:7]
	s_cbranch_execz .LBB33_2002
.LBB33_4052:
	v_cmp_ne_u16_e32 vcc, 0, v1
	s_andn2_b64 s[4:5], s[4:5], exec
	s_and_b64 s[8:9], vcc, exec
	v_mov_b32_e32 v0, 0
	s_or_b64 s[4:5], s[4:5], s[8:9]
	s_or_b64 exec, exec, s[6:7]
	s_and_saveexec_b64 s[6:7], s[4:5]
	s_cbranch_execnz .LBB33_2003
	s_branch .LBB33_2004
.LBB33_4053:
	s_movk_i32 s4, 0x80
	v_cmp_eq_u16_e32 vcc, s4, v1
	s_mov_b64 s[4:5], -1
                                        ; implicit-def: $sgpr10
	s_and_saveexec_b64 s[8:9], vcc
; %bb.4054:
	s_mov_b32 s10, 0x7f800001
	s_xor_b64 s[4:5], exec, -1
; %bb.4055:
	s_or_b64 exec, exec, s[8:9]
	s_and_b64 s[4:5], s[4:5], exec
                                        ; implicit-def: $vgpr1
	s_or_saveexec_b64 s[6:7], s[6:7]
	v_mov_b32_e32 v4, s10
	s_xor_b64 exec, exec, s[6:7]
	s_cbranch_execz .LBB33_2006
.LBB33_4056:
	v_cmp_ne_u16_e32 vcc, 0, v1
	s_andn2_b64 s[4:5], s[4:5], exec
	s_and_b64 s[8:9], vcc, exec
	v_mov_b32_e32 v4, 0
	s_or_b64 s[4:5], s[4:5], s[8:9]
	s_or_b64 exec, exec, s[6:7]
	s_and_saveexec_b64 s[6:7], s[4:5]
	s_cbranch_execnz .LBB33_2007
	s_branch .LBB33_2008
.LBB33_4057:
	s_movk_i32 s4, 0x80
	v_cmp_eq_u16_sdwa s[12:13], v6, s4 src0_sel:BYTE_3 src1_sel:DWORD
	s_mov_b64 s[4:5], -1
                                        ; implicit-def: $sgpr10
	s_and_saveexec_b64 s[8:9], s[12:13]
; %bb.4058:
	s_mov_b32 s10, 0x7f800001
	s_xor_b64 s[4:5], exec, -1
; %bb.4059:
	s_or_b64 exec, exec, s[8:9]
	s_and_b64 s[4:5], s[4:5], exec
	s_or_saveexec_b64 s[6:7], s[6:7]
	v_mov_b32_e32 v0, s10
	s_xor_b64 exec, exec, s[6:7]
	s_cbranch_execz .LBB33_2010
.LBB33_4060:
	v_mov_b32_e32 v0, 0
	v_cmp_ne_u16_sdwa s[8:9], v6, v0 src0_sel:BYTE_3 src1_sel:DWORD
	s_andn2_b64 s[4:5], s[4:5], exec
	s_and_b64 s[8:9], s[8:9], exec
	s_or_b64 s[4:5], s[4:5], s[8:9]
	s_or_b64 exec, exec, s[6:7]
	s_and_saveexec_b64 s[6:7], s[4:5]
	s_cbranch_execnz .LBB33_2011
	s_branch .LBB33_2012
.LBB33_4061:
	s_movk_i32 s4, 0x80
	v_cmp_eq_u16_sdwa s[12:13], v2, s4 src0_sel:BYTE_3 src1_sel:DWORD
	s_mov_b64 s[4:5], -1
                                        ; implicit-def: $sgpr10
	s_and_saveexec_b64 s[8:9], s[12:13]
; %bb.4062:
	s_mov_b32 s10, 0x7f800001
	s_xor_b64 s[4:5], exec, -1
; %bb.4063:
	s_or_b64 exec, exec, s[8:9]
	s_and_b64 s[4:5], s[4:5], exec
	s_or_saveexec_b64 s[6:7], s[6:7]
	v_mov_b32_e32 v1, s10
	s_xor_b64 exec, exec, s[6:7]
	s_cbranch_execz .LBB33_2014
.LBB33_4064:
	v_mov_b32_e32 v1, 0
	v_cmp_ne_u16_sdwa s[8:9], v2, v1 src0_sel:BYTE_3 src1_sel:DWORD
	s_andn2_b64 s[4:5], s[4:5], exec
	s_and_b64 s[8:9], s[8:9], exec
	s_or_b64 s[4:5], s[4:5], s[8:9]
	s_or_b64 exec, exec, s[6:7]
	s_and_saveexec_b64 s[6:7], s[4:5]
	s_cbranch_execnz .LBB33_2015
	s_branch .LBB33_2016
.LBB33_4065:
	s_movk_i32 s4, 0x80
	v_cmp_eq_u16_sdwa s[12:13], v7, s4 src0_sel:BYTE_0 src1_sel:DWORD
	s_mov_b64 s[4:5], -1
                                        ; implicit-def: $sgpr10
	s_and_saveexec_b64 s[8:9], s[12:13]
; %bb.4066:
	s_mov_b32 s10, 0x7f800001
	s_xor_b64 s[4:5], exec, -1
; %bb.4067:
	s_or_b64 exec, exec, s[8:9]
	s_and_b64 s[4:5], s[4:5], exec
	s_or_saveexec_b64 s[6:7], s[6:7]
	v_mov_b32_e32 v0, s10
	s_xor_b64 exec, exec, s[6:7]
	s_cbranch_execz .LBB33_2018
.LBB33_4068:
	v_mov_b32_e32 v0, 0
	v_cmp_ne_u16_sdwa s[8:9], v7, v0 src0_sel:BYTE_0 src1_sel:DWORD
	s_andn2_b64 s[4:5], s[4:5], exec
	s_and_b64 s[8:9], s[8:9], exec
	s_or_b64 s[4:5], s[4:5], s[8:9]
	s_or_b64 exec, exec, s[6:7]
	s_and_saveexec_b64 s[6:7], s[4:5]
	s_cbranch_execnz .LBB33_2019
	s_branch .LBB33_2020
.LBB33_4069:
	s_movk_i32 s4, 0x80
	v_cmp_eq_u16_sdwa s[12:13], v3, s4 src0_sel:BYTE_0 src1_sel:DWORD
	s_mov_b64 s[4:5], -1
                                        ; implicit-def: $sgpr10
	s_and_saveexec_b64 s[8:9], s[12:13]
; %bb.4070:
	s_mov_b32 s10, 0x7f800001
	s_xor_b64 s[4:5], exec, -1
; %bb.4071:
	s_or_b64 exec, exec, s[8:9]
	s_and_b64 s[4:5], s[4:5], exec
	s_or_saveexec_b64 s[6:7], s[6:7]
	v_mov_b32_e32 v1, s10
	s_xor_b64 exec, exec, s[6:7]
	s_cbranch_execz .LBB33_2022
.LBB33_4072:
	v_mov_b32_e32 v1, 0
	v_cmp_ne_u16_sdwa s[8:9], v3, v1 src0_sel:BYTE_0 src1_sel:DWORD
	s_andn2_b64 s[4:5], s[4:5], exec
	s_and_b64 s[8:9], s[8:9], exec
	s_or_b64 s[4:5], s[4:5], s[8:9]
	s_or_b64 exec, exec, s[6:7]
	s_and_saveexec_b64 s[6:7], s[4:5]
	s_cbranch_execnz .LBB33_2023
	s_branch .LBB33_2024
.LBB33_4073:
	s_movk_i32 s4, 0x80
	v_cmp_eq_u16_sdwa s[12:13], v1, s4 src0_sel:BYTE_0 src1_sel:DWORD
	s_mov_b64 s[4:5], -1
                                        ; implicit-def: $sgpr10
	s_and_saveexec_b64 s[8:9], s[12:13]
; %bb.4074:
	s_mov_b32 s10, 0x7f800001
	s_xor_b64 s[4:5], exec, -1
; %bb.4075:
	s_or_b64 exec, exec, s[8:9]
	s_and_b64 s[4:5], s[4:5], exec
	s_or_saveexec_b64 s[6:7], s[6:7]
	v_mov_b32_e32 v0, s10
	s_xor_b64 exec, exec, s[6:7]
	s_cbranch_execz .LBB33_2026
.LBB33_4076:
	v_mov_b32_e32 v0, 0
	v_cmp_ne_u16_sdwa s[8:9], v1, v0 src0_sel:BYTE_0 src1_sel:DWORD
	s_andn2_b64 s[4:5], s[4:5], exec
	s_and_b64 s[8:9], s[8:9], exec
	s_or_b64 s[4:5], s[4:5], s[8:9]
	s_or_b64 exec, exec, s[6:7]
	s_and_saveexec_b64 s[6:7], s[4:5]
	s_cbranch_execnz .LBB33_2027
	s_branch .LBB33_2028
.LBB33_4077:
	s_movk_i32 s4, 0x80
	v_cmp_eq_u16_sdwa s[12:13], v1, s4 src0_sel:BYTE_0 src1_sel:DWORD
	s_mov_b64 s[4:5], -1
                                        ; implicit-def: $sgpr10
	s_and_saveexec_b64 s[8:9], s[12:13]
; %bb.4078:
	s_mov_b32 s10, 0x7f800001
	s_xor_b64 s[4:5], exec, -1
; %bb.4079:
	s_or_b64 exec, exec, s[8:9]
	s_and_b64 s[4:5], s[4:5], exec
	s_or_saveexec_b64 s[6:7], s[6:7]
	v_mov_b32_e32 v2, s10
	s_xor_b64 exec, exec, s[6:7]
	s_cbranch_execz .LBB33_2030
.LBB33_4080:
	v_mov_b32_e32 v2, 0
	v_cmp_ne_u16_sdwa s[8:9], v1, v2 src0_sel:BYTE_0 src1_sel:DWORD
	s_andn2_b64 s[4:5], s[4:5], exec
	s_and_b64 s[8:9], s[8:9], exec
	s_or_b64 s[4:5], s[4:5], s[8:9]
	s_or_b64 exec, exec, s[6:7]
	s_and_saveexec_b64 s[6:7], s[4:5]
	s_cbranch_execnz .LBB33_2031
	s_branch .LBB33_2032
.LBB33_4081:
	s_movk_i32 s4, 0x80
	v_cmp_eq_u16_e32 vcc, s4, v1
	s_mov_b64 s[4:5], -1
                                        ; implicit-def: $sgpr10
	s_and_saveexec_b64 s[8:9], vcc
; %bb.4082:
	s_mov_b32 s10, 0x7f800001
	s_xor_b64 s[4:5], exec, -1
; %bb.4083:
	s_or_b64 exec, exec, s[8:9]
	s_and_b64 s[4:5], s[4:5], exec
                                        ; implicit-def: $vgpr1
	s_or_saveexec_b64 s[6:7], s[6:7]
	v_mov_b32_e32 v0, s10
	s_xor_b64 exec, exec, s[6:7]
	s_cbranch_execz .LBB33_2034
.LBB33_4084:
	v_cmp_ne_u16_e32 vcc, 0, v1
	s_andn2_b64 s[4:5], s[4:5], exec
	s_and_b64 s[8:9], vcc, exec
	v_mov_b32_e32 v0, 0
	s_or_b64 s[4:5], s[4:5], s[8:9]
	s_or_b64 exec, exec, s[6:7]
	s_and_saveexec_b64 s[6:7], s[4:5]
	s_cbranch_execnz .LBB33_2035
	s_branch .LBB33_2036
.LBB33_4085:
	s_movk_i32 s4, 0x80
	v_cmp_eq_u16_e32 vcc, s4, v1
	s_mov_b64 s[4:5], -1
                                        ; implicit-def: $sgpr10
	s_and_saveexec_b64 s[8:9], vcc
; %bb.4086:
	s_mov_b32 s10, 0x7f800001
	s_xor_b64 s[4:5], exec, -1
; %bb.4087:
	s_or_b64 exec, exec, s[8:9]
	s_and_b64 s[4:5], s[4:5], exec
                                        ; implicit-def: $vgpr1
	s_or_saveexec_b64 s[6:7], s[6:7]
	v_mov_b32_e32 v2, s10
	s_xor_b64 exec, exec, s[6:7]
	s_cbranch_execz .LBB33_2038
.LBB33_4088:
	v_cmp_ne_u16_e32 vcc, 0, v1
	s_andn2_b64 s[4:5], s[4:5], exec
	s_and_b64 s[8:9], vcc, exec
	v_mov_b32_e32 v2, 0
	s_or_b64 s[4:5], s[4:5], s[8:9]
	s_or_b64 exec, exec, s[6:7]
	s_and_saveexec_b64 s[6:7], s[4:5]
	s_cbranch_execnz .LBB33_2039
	s_branch .LBB33_2040
.LBB33_4089:
	s_movk_i32 s4, 0x80
	v_cmp_eq_u16_sdwa s[12:13], v7, s4 src0_sel:BYTE_3 src1_sel:DWORD
	s_mov_b64 s[4:5], -1
                                        ; implicit-def: $sgpr10
	s_and_saveexec_b64 s[8:9], s[12:13]
; %bb.4090:
	s_mov_b32 s10, 0x7f800001
	s_xor_b64 s[4:5], exec, -1
; %bb.4091:
	s_or_b64 exec, exec, s[8:9]
	s_and_b64 s[4:5], s[4:5], exec
	s_or_saveexec_b64 s[6:7], s[6:7]
	v_mov_b32_e32 v0, s10
	s_xor_b64 exec, exec, s[6:7]
	s_cbranch_execz .LBB33_2042
.LBB33_4092:
	v_mov_b32_e32 v0, 0
	v_cmp_ne_u16_sdwa s[8:9], v7, v0 src0_sel:BYTE_3 src1_sel:DWORD
	s_andn2_b64 s[4:5], s[4:5], exec
	s_and_b64 s[8:9], s[8:9], exec
	s_or_b64 s[4:5], s[4:5], s[8:9]
	s_or_b64 exec, exec, s[6:7]
	s_and_saveexec_b64 s[6:7], s[4:5]
	s_cbranch_execnz .LBB33_2043
	s_branch .LBB33_2044
.LBB33_4093:
	s_movk_i32 s4, 0x80
	v_cmp_eq_u16_sdwa s[12:13], v3, s4 src0_sel:BYTE_3 src1_sel:DWORD
	s_mov_b64 s[4:5], -1
                                        ; implicit-def: $sgpr10
	s_and_saveexec_b64 s[8:9], s[12:13]
; %bb.4094:
	s_mov_b32 s10, 0x7f800001
	s_xor_b64 s[4:5], exec, -1
; %bb.4095:
	s_or_b64 exec, exec, s[8:9]
	s_and_b64 s[4:5], s[4:5], exec
	s_or_saveexec_b64 s[6:7], s[6:7]
	v_mov_b32_e32 v1, s10
	s_xor_b64 exec, exec, s[6:7]
	s_cbranch_execz .LBB33_2046
.LBB33_4096:
	v_mov_b32_e32 v1, 0
	v_cmp_ne_u16_sdwa s[8:9], v3, v1 src0_sel:BYTE_3 src1_sel:DWORD
	s_andn2_b64 s[4:5], s[4:5], exec
	s_and_b64 s[8:9], s[8:9], exec
	s_or_b64 s[4:5], s[4:5], s[8:9]
	s_or_b64 exec, exec, s[6:7]
	s_and_saveexec_b64 s[6:7], s[4:5]
	s_cbranch_execnz .LBB33_2047
	s_branch .LBB33_2048
.Lfunc_end33:
	.size	_ZNK2ck6detail7applierIiJLi0ELi1ELi2ELi3ELi4ELi5ELi6ELi7EEEclIZNKS_11static_fordINS_8SequenceIJLi1ELi8EEEENS5_IJLi0ELi1EEEEEclIZZZNKS_52BlockwiseGemmXdlops_pipeline_bpreshuffle_bdequant_v3ILNS_26BlockGemmPipelineSchedulerE0ELi256ENS_9f8_fnuz_tENS_7pk_i4_tESC_fNS_16TensorDescriptorINS_5TupleIJNS_5EmbedINSF_IJNS_17integral_constantIiLi8EEENSH_IiLi256EEENSH_IiLi16EEEEEENSF_IJSK_NSH_IiLi128EEENSH_IiLi1EEEEEELb0EEENS_3XorINSF_IJSJ_SI_EEELb1EEENS_11PassThroughISK_EENS_7UnMergeINSF_IJSI_SN_EEELb0EEENST_ISJ_EESU_NST_ISI_EENS_21Merge_v3_division_modINSF_IJSJ_SN_EEEEESU_EEENSF_IJNS5_IJLi0EEEENS5_IJLi2ELi1EEEENS5_IJLi3EEEENS5_IJLi5EEEENS5_IJLi4EEEENS5_IJLi6EEEENS5_IJLi7EEEENS5_IJLi9ELi8EEEENS5_IJLi10EEEEEEENSF_IJNS5_IJLi1ELi2ELi3EEEENS5_IJLi4ELi5EEEES19_NS5_IJLi7ELi8EEEENS5_IJLi9EEEES1C_NS5_IJLi11EEEENS5_IJLi12EEEENS5_IJLi13EEEEEEENS5_IJLi11ELi12ELi13EEEENSH_IlLl32768EEEEENSE_INSF_IJNSV_INSF_IJSI_SN_SN_NSH_IiLi32EEEEEELb0EEEEEENSF_IJS14_EEENSF_IJNS5_IJLi1ELi2ELi3ELi4EEEEEEES1U_NSH_IlLl256EEEEENSE_INSF_IJSP_SS_SU_SX_SY_SU_SZ_S12_SU_NS10_INSF_IJSI_SK_EEEEENSV_INSF_IJSI_NSH_IiLi2EEESK_EEELb0EEEEEENSF_IJS14_S15_S16_S17_S18_S19_S1A_S1B_S1C_NS5_IJLi11ELi13EEEES1J_EEENSF_IJS1E_S1F_S19_S1G_S1H_S1C_S1I_S1J_S1K_NS5_IJLi14EEEENS5_IJLi15ELi16ELi17EEEEEEENS5_IJLi15ELi16ELi17ELi14EEEES1N_EENSE_INSF_IJS1R_NS10_ISW_EES22_EEENSF_IJS14_NS5_IJLi1ELi3EEEENS5_IJLi2EEEEEEENSF_IJS1U_S17_NS5_IJLi6ELi7ELi8EEEEEEENS5_IJLi6ELi7ELi8ELi5EEEES1W_EELi16ELi32ELi256ELi256ELi128ELi16ELi16ELi8ELi8ELi32ELb0EE3RunILb1ELNS_10TailNumberE1ENSE_INSF_IJNSG_INSF_IJiiEEENSF_IJiSN_EEELb0EEENSV_IS2N_Lb0EEENST_IiEEEEENSF_IJS14_S2E_NS5_IJLi1EEEEEEENSF_IJNS5_IJLi1ELi2EEEENS5_IJLi3ELi4EEEES17_EEENS5_IJLi3ELi5ELi4EEEElEES1O_NS_35ThreadGroupTensorSliceTransfer_v4r1INS_15ThisThreadBlockILi256EEENS_16tensor_operation12element_wise11PassThroughES35_LNS_25InMemoryDataOperationEnumE0ENS5_IJLi8ELi256ELi16EEEENS5_IJLi8ELi32ELi1EEEENS5_IJLi1ELi0ELi2EEEESC_SC_RKS2Z_KS1O_S39_NS5_IJLi0ELi1ELi2EEEELi2ELi2ELi16ELi16ELi1ELi1ELb0ELb1ELi2EiEENS_13DynamicBufferILNS_16AddressSpaceEnumE1EKSC_lLb1ELNS_22AmdBufferCoherenceEnumE0EiEENSF_IJNS3F_ILS3G_2ESC_S1N_Lb1ELS3I_0EiEES3K_EEENSF_IJiiiEEENSE_INSF_IJNSG_INSF_IJiiiiEEENSF_IJiiiSN_EEELb0EEEEEES1T_S1V_S1U_lEENS_32ThreadwiseTensorSliceTransfer_v2ISD_SD_RKS3R_KS1X_NS5_IJLi8ELi1ELi1ELi32EEEENS5_IJLi1ELi2ELi0ELi3EEEELi3ELi32ELi0ELb1ELb0ELb0EEENS3F_ILS3G_1EKSD_lLb1ELS3I_0EiEENSF_IJNS_12StaticBufferILS3G_4ESD_Li256ELb1EEES42_EEES3N_NS_25StaticBufferTupleOfVectorILS3G_4EfLi64ELi4ELb1ELb0EEEEEvRKT1_RKT2_RT3_RKT4_RT5_RKT6_RKT7_RT8_RKT9_RT10_RKT11_RT12_iENKUlT_T0_E_clINSH_IiLi0EEESN_EEDaS51_S52_ENKUlS51_E_clINSH_IiLi5EEEEEDaS51_EUlS51_E_EEvS51_EUlS51_E_EEvS51_, .Lfunc_end33-_ZNK2ck6detail7applierIiJLi0ELi1ELi2ELi3ELi4ELi5ELi6ELi7EEEclIZNKS_11static_fordINS_8SequenceIJLi1ELi8EEEENS5_IJLi0ELi1EEEEEclIZZZNKS_52BlockwiseGemmXdlops_pipeline_bpreshuffle_bdequant_v3ILNS_26BlockGemmPipelineSchedulerE0ELi256ENS_9f8_fnuz_tENS_7pk_i4_tESC_fNS_16TensorDescriptorINS_5TupleIJNS_5EmbedINSF_IJNS_17integral_constantIiLi8EEENSH_IiLi256EEENSH_IiLi16EEEEEENSF_IJSK_NSH_IiLi128EEENSH_IiLi1EEEEEELb0EEENS_3XorINSF_IJSJ_SI_EEELb1EEENS_11PassThroughISK_EENS_7UnMergeINSF_IJSI_SN_EEELb0EEENST_ISJ_EESU_NST_ISI_EENS_21Merge_v3_division_modINSF_IJSJ_SN_EEEEESU_EEENSF_IJNS5_IJLi0EEEENS5_IJLi2ELi1EEEENS5_IJLi3EEEENS5_IJLi5EEEENS5_IJLi4EEEENS5_IJLi6EEEENS5_IJLi7EEEENS5_IJLi9ELi8EEEENS5_IJLi10EEEEEEENSF_IJNS5_IJLi1ELi2ELi3EEEENS5_IJLi4ELi5EEEES19_NS5_IJLi7ELi8EEEENS5_IJLi9EEEES1C_NS5_IJLi11EEEENS5_IJLi12EEEENS5_IJLi13EEEEEEENS5_IJLi11ELi12ELi13EEEENSH_IlLl32768EEEEENSE_INSF_IJNSV_INSF_IJSI_SN_SN_NSH_IiLi32EEEEEELb0EEEEEENSF_IJS14_EEENSF_IJNS5_IJLi1ELi2ELi3ELi4EEEEEEES1U_NSH_IlLl256EEEEENSE_INSF_IJSP_SS_SU_SX_SY_SU_SZ_S12_SU_NS10_INSF_IJSI_SK_EEEEENSV_INSF_IJSI_NSH_IiLi2EEESK_EEELb0EEEEEENSF_IJS14_S15_S16_S17_S18_S19_S1A_S1B_S1C_NS5_IJLi11ELi13EEEES1J_EEENSF_IJS1E_S1F_S19_S1G_S1H_S1C_S1I_S1J_S1K_NS5_IJLi14EEEENS5_IJLi15ELi16ELi17EEEEEEENS5_IJLi15ELi16ELi17ELi14EEEES1N_EENSE_INSF_IJS1R_NS10_ISW_EES22_EEENSF_IJS14_NS5_IJLi1ELi3EEEENS5_IJLi2EEEEEEENSF_IJS1U_S17_NS5_IJLi6ELi7ELi8EEEEEEENS5_IJLi6ELi7ELi8ELi5EEEES1W_EELi16ELi32ELi256ELi256ELi128ELi16ELi16ELi8ELi8ELi32ELb0EE3RunILb1ELNS_10TailNumberE1ENSE_INSF_IJNSG_INSF_IJiiEEENSF_IJiSN_EEELb0EEENSV_IS2N_Lb0EEENST_IiEEEEENSF_IJS14_S2E_NS5_IJLi1EEEEEEENSF_IJNS5_IJLi1ELi2EEEENS5_IJLi3ELi4EEEES17_EEENS5_IJLi3ELi5ELi4EEEElEES1O_NS_35ThreadGroupTensorSliceTransfer_v4r1INS_15ThisThreadBlockILi256EEENS_16tensor_operation12element_wise11PassThroughES35_LNS_25InMemoryDataOperationEnumE0ENS5_IJLi8ELi256ELi16EEEENS5_IJLi8ELi32ELi1EEEENS5_IJLi1ELi0ELi2EEEESC_SC_RKS2Z_KS1O_S39_NS5_IJLi0ELi1ELi2EEEELi2ELi2ELi16ELi16ELi1ELi1ELb0ELb1ELi2EiEENS_13DynamicBufferILNS_16AddressSpaceEnumE1EKSC_lLb1ELNS_22AmdBufferCoherenceEnumE0EiEENSF_IJNS3F_ILS3G_2ESC_S1N_Lb1ELS3I_0EiEES3K_EEENSF_IJiiiEEENSE_INSF_IJNSG_INSF_IJiiiiEEENSF_IJiiiSN_EEELb0EEEEEES1T_S1V_S1U_lEENS_32ThreadwiseTensorSliceTransfer_v2ISD_SD_RKS3R_KS1X_NS5_IJLi8ELi1ELi1ELi32EEEENS5_IJLi1ELi2ELi0ELi3EEEELi3ELi32ELi0ELb1ELb0ELb0EEENS3F_ILS3G_1EKSD_lLb1ELS3I_0EiEENSF_IJNS_12StaticBufferILS3G_4ESD_Li256ELb1EEES42_EEES3N_NS_25StaticBufferTupleOfVectorILS3G_4EfLi64ELi4ELb1ELb0EEEEEvRKT1_RKT2_RT3_RKT4_RT5_RKT6_RKT7_RT8_RKT9_RT10_RKT11_RT12_iENKUlT_T0_E_clINSH_IiLi0EEESN_EEDaS51_S52_ENKUlS51_E_clINSH_IiLi5EEEEEDaS51_EUlS51_E_EEvS51_EUlS51_E_EEvS51_
                                        ; -- End function
	.section	.AMDGPU.csdata,"",@progbits
; Function info:
; codeLenInByte = 133608
; NumSgprs: 36
; NumVgprs: 26
; NumAgprs: 4
; TotalNumVgprs: 32
; ScratchSize: 0
; MemoryBound: 1
	.text
	.p2align	2                               ; -- Begin function _ZNK2ck6detail7applierIiJLi0ELi1ELi2ELi3ELi4ELi5ELi6ELi7EEEclIZNKS_11static_fordINS_8SequenceIJLi1ELi8EEEENS5_IJLi0ELi1EEEEEclIZZZNKS_52BlockwiseGemmXdlops_pipeline_bpreshuffle_bdequant_v3ILNS_26BlockGemmPipelineSchedulerE0ELi256ENS_9f8_fnuz_tENS_7pk_i4_tESC_fNS_16TensorDescriptorINS_5TupleIJNS_5EmbedINSF_IJNS_17integral_constantIiLi8EEENSH_IiLi256EEENSH_IiLi16EEEEEENSF_IJSK_NSH_IiLi128EEENSH_IiLi1EEEEEELb0EEENS_3XorINSF_IJSJ_SI_EEELb1EEENS_11PassThroughISK_EENS_7UnMergeINSF_IJSI_SN_EEELb0EEENST_ISJ_EESU_NST_ISI_EENS_21Merge_v3_division_modINSF_IJSJ_SN_EEEEESU_EEENSF_IJNS5_IJLi0EEEENS5_IJLi2ELi1EEEENS5_IJLi3EEEENS5_IJLi5EEEENS5_IJLi4EEEENS5_IJLi6EEEENS5_IJLi7EEEENS5_IJLi9ELi8EEEENS5_IJLi10EEEEEEENSF_IJNS5_IJLi1ELi2ELi3EEEENS5_IJLi4ELi5EEEES19_NS5_IJLi7ELi8EEEENS5_IJLi9EEEES1C_NS5_IJLi11EEEENS5_IJLi12EEEENS5_IJLi13EEEEEEENS5_IJLi11ELi12ELi13EEEENSH_IlLl32768EEEEENSE_INSF_IJNSV_INSF_IJSI_SN_SN_NSH_IiLi32EEEEEELb0EEEEEENSF_IJS14_EEENSF_IJNS5_IJLi1ELi2ELi3ELi4EEEEEEES1U_NSH_IlLl256EEEEENSE_INSF_IJSP_SS_SU_SX_SY_SU_SZ_S12_SU_NS10_INSF_IJSI_SK_EEEEENSV_INSF_IJSI_NSH_IiLi2EEESK_EEELb0EEEEEENSF_IJS14_S15_S16_S17_S18_S19_S1A_S1B_S1C_NS5_IJLi11ELi13EEEES1J_EEENSF_IJS1E_S1F_S19_S1G_S1H_S1C_S1I_S1J_S1K_NS5_IJLi14EEEENS5_IJLi15ELi16ELi17EEEEEEENS5_IJLi15ELi16ELi17ELi14EEEES1N_EENSE_INSF_IJS1R_NS10_ISW_EES22_EEENSF_IJS14_NS5_IJLi1ELi3EEEENS5_IJLi2EEEEEEENSF_IJS1U_S17_NS5_IJLi6ELi7ELi8EEEEEEENS5_IJLi6ELi7ELi8ELi5EEEES1W_EELi16ELi32ELi256ELi256ELi128ELi16ELi16ELi8ELi8ELi32ELb0EE3RunILb1ELNS_10TailNumberE1ENSE_INSF_IJNSG_INSF_IJiiEEENSF_IJiSN_EEELb0EEENSV_IS2N_Lb0EEENST_IiEEEEENSF_IJS14_S2E_NS5_IJLi1EEEEEEENSF_IJNS5_IJLi1ELi2EEEENS5_IJLi3ELi4EEEES17_EEENS5_IJLi3ELi5ELi4EEEElEES1O_NS_35ThreadGroupTensorSliceTransfer_v4r1INS_15ThisThreadBlockILi256EEENS_16tensor_operation12element_wise11PassThroughES35_LNS_25InMemoryDataOperationEnumE0ENS5_IJLi8ELi256ELi16EEEENS5_IJLi8ELi32ELi1EEEENS5_IJLi1ELi0ELi2EEEESC_SC_RKS2Z_KS1O_S39_NS5_IJLi0ELi1ELi2EEEELi2ELi2ELi16ELi16ELi1ELi1ELb0ELb1ELi2EiEENS_13DynamicBufferILNS_16AddressSpaceEnumE1EKSC_lLb1ELNS_22AmdBufferCoherenceEnumE0EiEENSF_IJNS3F_ILS3G_2ESC_S1N_Lb1ELS3I_0EiEES3K_EEENSF_IJiiiEEENSE_INSF_IJNSG_INSF_IJiiiiEEENSF_IJiiiSN_EEELb0EEEEEES1T_S1V_S1U_lEENS_32ThreadwiseTensorSliceTransfer_v2ISD_SD_RKS3R_KS1X_NS5_IJLi8ELi1ELi1ELi32EEEENS5_IJLi1ELi2ELi0ELi3EEEELi3ELi32ELi0ELb1ELb0ELb0EEENS3F_ILS3G_1EKSD_lLb1ELS3I_0EiEENSF_IJNS_12StaticBufferILS3G_4ESD_Li256ELb1EEES42_EEES3N_NS_25StaticBufferTupleOfVectorILS3G_4EfLi64ELi4ELb1ELb0EEEEEvRKT1_RKT2_RT3_RKT4_RT5_RKT6_RKT7_RT8_RKT9_RT10_RKT11_RT12_iENKUlT_T0_E_clINSH_IiLi0EEESN_EEDaS51_S52_ENKUlS51_E_clINSH_IiLi6EEEEEDaS51_EUlS51_E_EEvS51_EUlS51_E_EEvS51_
	.type	_ZNK2ck6detail7applierIiJLi0ELi1ELi2ELi3ELi4ELi5ELi6ELi7EEEclIZNKS_11static_fordINS_8SequenceIJLi1ELi8EEEENS5_IJLi0ELi1EEEEEclIZZZNKS_52BlockwiseGemmXdlops_pipeline_bpreshuffle_bdequant_v3ILNS_26BlockGemmPipelineSchedulerE0ELi256ENS_9f8_fnuz_tENS_7pk_i4_tESC_fNS_16TensorDescriptorINS_5TupleIJNS_5EmbedINSF_IJNS_17integral_constantIiLi8EEENSH_IiLi256EEENSH_IiLi16EEEEEENSF_IJSK_NSH_IiLi128EEENSH_IiLi1EEEEEELb0EEENS_3XorINSF_IJSJ_SI_EEELb1EEENS_11PassThroughISK_EENS_7UnMergeINSF_IJSI_SN_EEELb0EEENST_ISJ_EESU_NST_ISI_EENS_21Merge_v3_division_modINSF_IJSJ_SN_EEEEESU_EEENSF_IJNS5_IJLi0EEEENS5_IJLi2ELi1EEEENS5_IJLi3EEEENS5_IJLi5EEEENS5_IJLi4EEEENS5_IJLi6EEEENS5_IJLi7EEEENS5_IJLi9ELi8EEEENS5_IJLi10EEEEEEENSF_IJNS5_IJLi1ELi2ELi3EEEENS5_IJLi4ELi5EEEES19_NS5_IJLi7ELi8EEEENS5_IJLi9EEEES1C_NS5_IJLi11EEEENS5_IJLi12EEEENS5_IJLi13EEEEEEENS5_IJLi11ELi12ELi13EEEENSH_IlLl32768EEEEENSE_INSF_IJNSV_INSF_IJSI_SN_SN_NSH_IiLi32EEEEEELb0EEEEEENSF_IJS14_EEENSF_IJNS5_IJLi1ELi2ELi3ELi4EEEEEEES1U_NSH_IlLl256EEEEENSE_INSF_IJSP_SS_SU_SX_SY_SU_SZ_S12_SU_NS10_INSF_IJSI_SK_EEEEENSV_INSF_IJSI_NSH_IiLi2EEESK_EEELb0EEEEEENSF_IJS14_S15_S16_S17_S18_S19_S1A_S1B_S1C_NS5_IJLi11ELi13EEEES1J_EEENSF_IJS1E_S1F_S19_S1G_S1H_S1C_S1I_S1J_S1K_NS5_IJLi14EEEENS5_IJLi15ELi16ELi17EEEEEEENS5_IJLi15ELi16ELi17ELi14EEEES1N_EENSE_INSF_IJS1R_NS10_ISW_EES22_EEENSF_IJS14_NS5_IJLi1ELi3EEEENS5_IJLi2EEEEEEENSF_IJS1U_S17_NS5_IJLi6ELi7ELi8EEEEEEENS5_IJLi6ELi7ELi8ELi5EEEES1W_EELi16ELi32ELi256ELi256ELi128ELi16ELi16ELi8ELi8ELi32ELb0EE3RunILb1ELNS_10TailNumberE1ENSE_INSF_IJNSG_INSF_IJiiEEENSF_IJiSN_EEELb0EEENSV_IS2N_Lb0EEENST_IiEEEEENSF_IJS14_S2E_NS5_IJLi1EEEEEEENSF_IJNS5_IJLi1ELi2EEEENS5_IJLi3ELi4EEEES17_EEENS5_IJLi3ELi5ELi4EEEElEES1O_NS_35ThreadGroupTensorSliceTransfer_v4r1INS_15ThisThreadBlockILi256EEENS_16tensor_operation12element_wise11PassThroughES35_LNS_25InMemoryDataOperationEnumE0ENS5_IJLi8ELi256ELi16EEEENS5_IJLi8ELi32ELi1EEEENS5_IJLi1ELi0ELi2EEEESC_SC_RKS2Z_KS1O_S39_NS5_IJLi0ELi1ELi2EEEELi2ELi2ELi16ELi16ELi1ELi1ELb0ELb1ELi2EiEENS_13DynamicBufferILNS_16AddressSpaceEnumE1EKSC_lLb1ELNS_22AmdBufferCoherenceEnumE0EiEENSF_IJNS3F_ILS3G_2ESC_S1N_Lb1ELS3I_0EiEES3K_EEENSF_IJiiiEEENSE_INSF_IJNSG_INSF_IJiiiiEEENSF_IJiiiSN_EEELb0EEEEEES1T_S1V_S1U_lEENS_32ThreadwiseTensorSliceTransfer_v2ISD_SD_RKS3R_KS1X_NS5_IJLi8ELi1ELi1ELi32EEEENS5_IJLi1ELi2ELi0ELi3EEEELi3ELi32ELi0ELb1ELb0ELb0EEENS3F_ILS3G_1EKSD_lLb1ELS3I_0EiEENSF_IJNS_12StaticBufferILS3G_4ESD_Li256ELb1EEES42_EEES3N_NS_25StaticBufferTupleOfVectorILS3G_4EfLi64ELi4ELb1ELb0EEEEEvRKT1_RKT2_RT3_RKT4_RT5_RKT6_RKT7_RT8_RKT9_RT10_RKT11_RT12_iENKUlT_T0_E_clINSH_IiLi0EEESN_EEDaS51_S52_ENKUlS51_E_clINSH_IiLi6EEEEEDaS51_EUlS51_E_EEvS51_EUlS51_E_EEvS51_,@function
_ZNK2ck6detail7applierIiJLi0ELi1ELi2ELi3ELi4ELi5ELi6ELi7EEEclIZNKS_11static_fordINS_8SequenceIJLi1ELi8EEEENS5_IJLi0ELi1EEEEEclIZZZNKS_52BlockwiseGemmXdlops_pipeline_bpreshuffle_bdequant_v3ILNS_26BlockGemmPipelineSchedulerE0ELi256ENS_9f8_fnuz_tENS_7pk_i4_tESC_fNS_16TensorDescriptorINS_5TupleIJNS_5EmbedINSF_IJNS_17integral_constantIiLi8EEENSH_IiLi256EEENSH_IiLi16EEEEEENSF_IJSK_NSH_IiLi128EEENSH_IiLi1EEEEEELb0EEENS_3XorINSF_IJSJ_SI_EEELb1EEENS_11PassThroughISK_EENS_7UnMergeINSF_IJSI_SN_EEELb0EEENST_ISJ_EESU_NST_ISI_EENS_21Merge_v3_division_modINSF_IJSJ_SN_EEEEESU_EEENSF_IJNS5_IJLi0EEEENS5_IJLi2ELi1EEEENS5_IJLi3EEEENS5_IJLi5EEEENS5_IJLi4EEEENS5_IJLi6EEEENS5_IJLi7EEEENS5_IJLi9ELi8EEEENS5_IJLi10EEEEEEENSF_IJNS5_IJLi1ELi2ELi3EEEENS5_IJLi4ELi5EEEES19_NS5_IJLi7ELi8EEEENS5_IJLi9EEEES1C_NS5_IJLi11EEEENS5_IJLi12EEEENS5_IJLi13EEEEEEENS5_IJLi11ELi12ELi13EEEENSH_IlLl32768EEEEENSE_INSF_IJNSV_INSF_IJSI_SN_SN_NSH_IiLi32EEEEEELb0EEEEEENSF_IJS14_EEENSF_IJNS5_IJLi1ELi2ELi3ELi4EEEEEEES1U_NSH_IlLl256EEEEENSE_INSF_IJSP_SS_SU_SX_SY_SU_SZ_S12_SU_NS10_INSF_IJSI_SK_EEEEENSV_INSF_IJSI_NSH_IiLi2EEESK_EEELb0EEEEEENSF_IJS14_S15_S16_S17_S18_S19_S1A_S1B_S1C_NS5_IJLi11ELi13EEEES1J_EEENSF_IJS1E_S1F_S19_S1G_S1H_S1C_S1I_S1J_S1K_NS5_IJLi14EEEENS5_IJLi15ELi16ELi17EEEEEEENS5_IJLi15ELi16ELi17ELi14EEEES1N_EENSE_INSF_IJS1R_NS10_ISW_EES22_EEENSF_IJS14_NS5_IJLi1ELi3EEEENS5_IJLi2EEEEEEENSF_IJS1U_S17_NS5_IJLi6ELi7ELi8EEEEEEENS5_IJLi6ELi7ELi8ELi5EEEES1W_EELi16ELi32ELi256ELi256ELi128ELi16ELi16ELi8ELi8ELi32ELb0EE3RunILb1ELNS_10TailNumberE1ENSE_INSF_IJNSG_INSF_IJiiEEENSF_IJiSN_EEELb0EEENSV_IS2N_Lb0EEENST_IiEEEEENSF_IJS14_S2E_NS5_IJLi1EEEEEEENSF_IJNS5_IJLi1ELi2EEEENS5_IJLi3ELi4EEEES17_EEENS5_IJLi3ELi5ELi4EEEElEES1O_NS_35ThreadGroupTensorSliceTransfer_v4r1INS_15ThisThreadBlockILi256EEENS_16tensor_operation12element_wise11PassThroughES35_LNS_25InMemoryDataOperationEnumE0ENS5_IJLi8ELi256ELi16EEEENS5_IJLi8ELi32ELi1EEEENS5_IJLi1ELi0ELi2EEEESC_SC_RKS2Z_KS1O_S39_NS5_IJLi0ELi1ELi2EEEELi2ELi2ELi16ELi16ELi1ELi1ELb0ELb1ELi2EiEENS_13DynamicBufferILNS_16AddressSpaceEnumE1EKSC_lLb1ELNS_22AmdBufferCoherenceEnumE0EiEENSF_IJNS3F_ILS3G_2ESC_S1N_Lb1ELS3I_0EiEES3K_EEENSF_IJiiiEEENSE_INSF_IJNSG_INSF_IJiiiiEEENSF_IJiiiSN_EEELb0EEEEEES1T_S1V_S1U_lEENS_32ThreadwiseTensorSliceTransfer_v2ISD_SD_RKS3R_KS1X_NS5_IJLi8ELi1ELi1ELi32EEEENS5_IJLi1ELi2ELi0ELi3EEEELi3ELi32ELi0ELb1ELb0ELb0EEENS3F_ILS3G_1EKSD_lLb1ELS3I_0EiEENSF_IJNS_12StaticBufferILS3G_4ESD_Li256ELb1EEES42_EEES3N_NS_25StaticBufferTupleOfVectorILS3G_4EfLi64ELi4ELb1ELb0EEEEEvRKT1_RKT2_RT3_RKT4_RT5_RKT6_RKT7_RT8_RKT9_RT10_RKT11_RT12_iENKUlT_T0_E_clINSH_IiLi0EEESN_EEDaS51_S52_ENKUlS51_E_clINSH_IiLi6EEEEEDaS51_EUlS51_E_EEvS51_EUlS51_E_EEvS51_: ; @_ZNK2ck6detail7applierIiJLi0ELi1ELi2ELi3ELi4ELi5ELi6ELi7EEEclIZNKS_11static_fordINS_8SequenceIJLi1ELi8EEEENS5_IJLi0ELi1EEEEEclIZZZNKS_52BlockwiseGemmXdlops_pipeline_bpreshuffle_bdequant_v3ILNS_26BlockGemmPipelineSchedulerE0ELi256ENS_9f8_fnuz_tENS_7pk_i4_tESC_fNS_16TensorDescriptorINS_5TupleIJNS_5EmbedINSF_IJNS_17integral_constantIiLi8EEENSH_IiLi256EEENSH_IiLi16EEEEEENSF_IJSK_NSH_IiLi128EEENSH_IiLi1EEEEEELb0EEENS_3XorINSF_IJSJ_SI_EEELb1EEENS_11PassThroughISK_EENS_7UnMergeINSF_IJSI_SN_EEELb0EEENST_ISJ_EESU_NST_ISI_EENS_21Merge_v3_division_modINSF_IJSJ_SN_EEEEESU_EEENSF_IJNS5_IJLi0EEEENS5_IJLi2ELi1EEEENS5_IJLi3EEEENS5_IJLi5EEEENS5_IJLi4EEEENS5_IJLi6EEEENS5_IJLi7EEEENS5_IJLi9ELi8EEEENS5_IJLi10EEEEEEENSF_IJNS5_IJLi1ELi2ELi3EEEENS5_IJLi4ELi5EEEES19_NS5_IJLi7ELi8EEEENS5_IJLi9EEEES1C_NS5_IJLi11EEEENS5_IJLi12EEEENS5_IJLi13EEEEEEENS5_IJLi11ELi12ELi13EEEENSH_IlLl32768EEEEENSE_INSF_IJNSV_INSF_IJSI_SN_SN_NSH_IiLi32EEEEEELb0EEEEEENSF_IJS14_EEENSF_IJNS5_IJLi1ELi2ELi3ELi4EEEEEEES1U_NSH_IlLl256EEEEENSE_INSF_IJSP_SS_SU_SX_SY_SU_SZ_S12_SU_NS10_INSF_IJSI_SK_EEEEENSV_INSF_IJSI_NSH_IiLi2EEESK_EEELb0EEEEEENSF_IJS14_S15_S16_S17_S18_S19_S1A_S1B_S1C_NS5_IJLi11ELi13EEEES1J_EEENSF_IJS1E_S1F_S19_S1G_S1H_S1C_S1I_S1J_S1K_NS5_IJLi14EEEENS5_IJLi15ELi16ELi17EEEEEEENS5_IJLi15ELi16ELi17ELi14EEEES1N_EENSE_INSF_IJS1R_NS10_ISW_EES22_EEENSF_IJS14_NS5_IJLi1ELi3EEEENS5_IJLi2EEEEEEENSF_IJS1U_S17_NS5_IJLi6ELi7ELi8EEEEEEENS5_IJLi6ELi7ELi8ELi5EEEES1W_EELi16ELi32ELi256ELi256ELi128ELi16ELi16ELi8ELi8ELi32ELb0EE3RunILb1ELNS_10TailNumberE1ENSE_INSF_IJNSG_INSF_IJiiEEENSF_IJiSN_EEELb0EEENSV_IS2N_Lb0EEENST_IiEEEEENSF_IJS14_S2E_NS5_IJLi1EEEEEEENSF_IJNS5_IJLi1ELi2EEEENS5_IJLi3ELi4EEEES17_EEENS5_IJLi3ELi5ELi4EEEElEES1O_NS_35ThreadGroupTensorSliceTransfer_v4r1INS_15ThisThreadBlockILi256EEENS_16tensor_operation12element_wise11PassThroughES35_LNS_25InMemoryDataOperationEnumE0ENS5_IJLi8ELi256ELi16EEEENS5_IJLi8ELi32ELi1EEEENS5_IJLi1ELi0ELi2EEEESC_SC_RKS2Z_KS1O_S39_NS5_IJLi0ELi1ELi2EEEELi2ELi2ELi16ELi16ELi1ELi1ELb0ELb1ELi2EiEENS_13DynamicBufferILNS_16AddressSpaceEnumE1EKSC_lLb1ELNS_22AmdBufferCoherenceEnumE0EiEENSF_IJNS3F_ILS3G_2ESC_S1N_Lb1ELS3I_0EiEES3K_EEENSF_IJiiiEEENSE_INSF_IJNSG_INSF_IJiiiiEEENSF_IJiiiSN_EEELb0EEEEEES1T_S1V_S1U_lEENS_32ThreadwiseTensorSliceTransfer_v2ISD_SD_RKS3R_KS1X_NS5_IJLi8ELi1ELi1ELi32EEEENS5_IJLi1ELi2ELi0ELi3EEEELi3ELi32ELi0ELb1ELb0ELb0EEENS3F_ILS3G_1EKSD_lLb1ELS3I_0EiEENSF_IJNS_12StaticBufferILS3G_4ESD_Li256ELb1EEES42_EEES3N_NS_25StaticBufferTupleOfVectorILS3G_4EfLi64ELi4ELb1ELb0EEEEEvRKT1_RKT2_RT3_RKT4_RT5_RKT6_RKT7_RT8_RKT9_RT10_RKT11_RT12_iENKUlT_T0_E_clINSH_IiLi0EEESN_EEDaS51_S52_ENKUlS51_E_clINSH_IiLi6EEEEEDaS51_EUlS51_E_EEvS51_EUlS51_E_EEvS51_
; %bb.0:
	s_waitcnt vmcnt(0) expcnt(0) lgkmcnt(0)
	flat_load_dwordx4 v[20:23], v[0:1] offset:16
	flat_load_dwordx2 v[18:19], v[0:1] offset:32
	s_movk_i32 s4, 0x7f
                                        ; implicit-def: $sgpr10
	s_waitcnt vmcnt(0) lgkmcnt(0)
	flat_load_dwordx4 v[14:17], v[20:21]
	flat_load_dwordx4 v[10:13], v[22:23]
	flat_load_dwordx4 v[6:9], v[20:21] offset:16
	flat_load_dwordx4 v[2:5], v[22:23] offset:16
	s_waitcnt vmcnt(0) lgkmcnt(0)
	v_cmp_gt_i16_sdwa s[6:7], v14, s4 src0_sel:BYTE_0 src1_sel:DWORD
	s_mov_b64 s[4:5], 0
	s_and_saveexec_b64 s[8:9], s[6:7]
	s_xor_b64 s[6:7], exec, s[8:9]
	s_cbranch_execnz .LBB34_2049
; %bb.1:
	s_or_saveexec_b64 s[6:7], s[6:7]
	v_mov_b32_e32 v20, s10
	s_xor_b64 exec, exec, s[6:7]
	s_cbranch_execnz .LBB34_2052
.LBB34_2:
	s_or_b64 exec, exec, s[6:7]
	s_and_saveexec_b64 s[6:7], s[4:5]
	s_cbranch_execz .LBB34_4
.LBB34_3:
	v_and_b32_e32 v20, 7, v14
	v_ffbh_u32_e32 v22, v20
	v_min_u32_e32 v22, 32, v22
	v_lshrrev_b16_e32 v21, 3, v14
	v_subrev_u32_e32 v23, 28, v22
	v_and_b32_e32 v21, 15, v21
	v_lshlrev_b32_e32 v23, v23, v14
	v_sub_u32_e32 v22, 29, v22
	v_and_b32_e32 v23, 7, v23
	v_cmp_eq_u16_e32 vcc, 0, v21
	v_cndmask_b32_e32 v20, v20, v23, vcc
	v_cndmask_b32_e32 v21, v21, v22, vcc
	v_lshlrev_b32_e32 v22, 24, v14
	v_mov_b32_e32 v23, 0x3b800000
	v_lshlrev_b32_e32 v20, 20, v20
	v_and_b32_e32 v22, 0x80000000, v22
	v_lshl_add_u32 v21, v21, 23, v23
	v_or3_b32 v20, v22, v21, v20
.LBB34_4:
	s_or_b64 exec, exec, s[6:7]
	s_movk_i32 s4, 0x7f
	v_cmp_gt_i16_sdwa s[6:7], v10, s4 src0_sel:BYTE_0 src1_sel:DWORD
	s_mov_b64 s[4:5], 0
                                        ; implicit-def: $sgpr10
	s_and_saveexec_b64 s[8:9], s[6:7]
	s_xor_b64 s[6:7], exec, s[8:9]
	s_cbranch_execnz .LBB34_2053
; %bb.5:
	s_or_saveexec_b64 s[6:7], s[6:7]
	v_mov_b32_e32 v21, s10
	s_xor_b64 exec, exec, s[6:7]
	s_cbranch_execnz .LBB34_2056
.LBB34_6:
	s_or_b64 exec, exec, s[6:7]
	s_and_saveexec_b64 s[6:7], s[4:5]
	s_cbranch_execz .LBB34_8
.LBB34_7:
	v_and_b32_e32 v21, 7, v10
	v_ffbh_u32_e32 v23, v21
	v_min_u32_e32 v23, 32, v23
	v_lshrrev_b16_e32 v22, 3, v10
	v_subrev_u32_e32 v24, 28, v23
	v_and_b32_e32 v22, 15, v22
	v_lshlrev_b32_e32 v24, v24, v10
	v_sub_u32_e32 v23, 29, v23
	v_and_b32_e32 v24, 7, v24
	v_cmp_eq_u16_e32 vcc, 0, v22
	v_cndmask_b32_e32 v21, v21, v24, vcc
	v_cndmask_b32_e32 v22, v22, v23, vcc
	v_lshlrev_b32_e32 v23, 24, v10
	v_mov_b32_e32 v24, 0x3b800000
	v_lshlrev_b32_e32 v21, 20, v21
	v_and_b32_e32 v23, 0x80000000, v23
	v_lshl_add_u32 v22, v22, 23, v24
	v_or3_b32 v21, v23, v22, v21
.LBB34_8:
	s_or_b64 exec, exec, s[6:7]
	flat_load_dwordx4 a[0:3], v[18:19] offset:768
	s_movk_i32 s4, 0x7f
                                        ; implicit-def: $sgpr10
	s_waitcnt vmcnt(0) lgkmcnt(0)
	v_mfma_f32_16x16x4f32 a[0:3], v20, v21, a[0:3]
	v_lshrrev_b32_e32 v21, 8, v14
	v_cmp_gt_i16_sdwa s[6:7], v21, s4 src0_sel:BYTE_0 src1_sel:DWORD
	s_mov_b64 s[4:5], 0
	s_and_saveexec_b64 s[8:9], s[6:7]
	s_xor_b64 s[6:7], exec, s[8:9]
	s_cbranch_execnz .LBB34_2057
; %bb.9:
	s_or_saveexec_b64 s[6:7], s[6:7]
	v_mov_b32_e32 v20, s10
	s_xor_b64 exec, exec, s[6:7]
	s_cbranch_execnz .LBB34_2060
.LBB34_10:
	s_or_b64 exec, exec, s[6:7]
	s_and_saveexec_b64 s[6:7], s[4:5]
	s_cbranch_execz .LBB34_12
.LBB34_11:
	v_bfe_u32 v20, v14, 8, 3
	v_ffbh_u32_e32 v23, v20
	v_min_u32_e32 v23, 32, v23
	v_lshrrev_b16_e32 v22, 3, v21
	v_subrev_u32_e32 v24, 28, v23
	v_and_b32_e32 v22, 15, v22
	v_lshlrev_b32_e32 v21, v24, v21
	v_sub_u32_e32 v23, 29, v23
	v_and_b32_e32 v21, 7, v21
	v_cmp_eq_u16_e32 vcc, 0, v22
	v_cndmask_b32_e32 v20, v20, v21, vcc
	v_cndmask_b32_e32 v21, v22, v23, vcc
	v_lshlrev_b32_e32 v22, 16, v14
	v_mov_b32_e32 v23, 0x3b800000
	v_lshlrev_b32_e32 v20, 20, v20
	v_and_b32_e32 v22, 0x80000000, v22
	v_lshl_add_u32 v21, v21, 23, v23
	v_or3_b32 v20, v22, v21, v20
.LBB34_12:
	s_or_b64 exec, exec, s[6:7]
	v_lshrrev_b32_e32 v21, 8, v10
	s_movk_i32 s4, 0x7f
	v_cmp_gt_i16_sdwa s[6:7], v21, s4 src0_sel:BYTE_0 src1_sel:DWORD
	s_mov_b64 s[4:5], 0
                                        ; implicit-def: $sgpr10
	s_and_saveexec_b64 s[8:9], s[6:7]
	s_xor_b64 s[6:7], exec, s[8:9]
	s_cbranch_execnz .LBB34_2061
; %bb.13:
	s_or_saveexec_b64 s[6:7], s[6:7]
	v_mov_b32_e32 v22, s10
	s_xor_b64 exec, exec, s[6:7]
	s_cbranch_execnz .LBB34_2064
.LBB34_14:
	s_or_b64 exec, exec, s[6:7]
	s_and_saveexec_b64 s[6:7], s[4:5]
	s_cbranch_execz .LBB34_16
.LBB34_15:
	v_bfe_u32 v22, v10, 8, 3
	v_ffbh_u32_e32 v24, v22
	v_min_u32_e32 v24, 32, v24
	v_lshrrev_b16_e32 v23, 3, v21
	v_subrev_u32_e32 v25, 28, v24
	v_and_b32_e32 v23, 15, v23
	v_lshlrev_b32_e32 v21, v25, v21
	v_sub_u32_e32 v24, 29, v24
	v_and_b32_e32 v21, 7, v21
	v_cmp_eq_u16_e32 vcc, 0, v23
	v_cndmask_b32_e32 v21, v22, v21, vcc
	v_cndmask_b32_e32 v22, v23, v24, vcc
	v_lshlrev_b32_e32 v23, 16, v10
	v_mov_b32_e32 v24, 0x3b800000
	v_lshlrev_b32_e32 v21, 20, v21
	v_and_b32_e32 v23, 0x80000000, v23
	v_lshl_add_u32 v22, v22, 23, v24
	v_or3_b32 v22, v23, v22, v21
.LBB34_16:
	s_or_b64 exec, exec, s[6:7]
	s_nop 0
	v_mfma_f32_16x16x4f32 a[0:3], v20, v22, a[0:3]
	s_movk_i32 s4, 0xff
	v_and_b32_sdwa v21, v14, s4 dst_sel:DWORD dst_unused:UNUSED_PAD src0_sel:WORD_1 src1_sel:DWORD
	s_movk_i32 s4, 0x7f
	v_cmp_lt_i16_e32 vcc, s4, v21
	s_mov_b64 s[4:5], 0
                                        ; implicit-def: $sgpr10
	s_and_saveexec_b64 s[6:7], vcc
	s_xor_b64 s[6:7], exec, s[6:7]
	s_cbranch_execnz .LBB34_2065
; %bb.17:
	s_or_saveexec_b64 s[6:7], s[6:7]
	v_mov_b32_e32 v20, s10
	s_xor_b64 exec, exec, s[6:7]
	s_cbranch_execnz .LBB34_2068
.LBB34_18:
	s_or_b64 exec, exec, s[6:7]
	s_and_saveexec_b64 s[6:7], s[4:5]
	s_cbranch_execz .LBB34_20
.LBB34_19:
	v_bfe_u32 v20, v14, 16, 3
	v_ffbh_u32_e32 v23, v20
	v_min_u32_e32 v23, 32, v23
	v_lshrrev_b32_e32 v21, 19, v14
	v_subrev_u32_e32 v24, 28, v23
	v_and_b32_e32 v21, 15, v21
	v_lshlrev_b32_sdwa v24, v24, v14 dst_sel:DWORD dst_unused:UNUSED_PAD src0_sel:DWORD src1_sel:WORD_1
	v_bfe_u32 v22, v14, 19, 4
	v_sub_u32_e32 v23, 29, v23
	v_and_b32_e32 v24, 7, v24
	v_cmp_eq_u16_e32 vcc, 0, v21
	v_cndmask_b32_e32 v20, v20, v24, vcc
	v_cndmask_b32_e32 v21, v22, v23, vcc
	v_lshlrev_b32_e32 v22, 8, v14
	v_mov_b32_e32 v23, 0x3b800000
	v_lshlrev_b32_e32 v20, 20, v20
	v_and_b32_e32 v22, 0x80000000, v22
	v_lshl_add_u32 v21, v21, 23, v23
	v_or3_b32 v20, v22, v21, v20
.LBB34_20:
	s_or_b64 exec, exec, s[6:7]
	s_movk_i32 s4, 0xff
	v_and_b32_sdwa v21, v10, s4 dst_sel:DWORD dst_unused:UNUSED_PAD src0_sel:WORD_1 src1_sel:DWORD
	s_movk_i32 s4, 0x7f
	v_cmp_lt_i16_e32 vcc, s4, v21
	s_mov_b64 s[4:5], 0
                                        ; implicit-def: $sgpr10
	s_and_saveexec_b64 s[6:7], vcc
	s_xor_b64 s[6:7], exec, s[6:7]
	s_cbranch_execnz .LBB34_2069
; %bb.21:
	s_or_saveexec_b64 s[6:7], s[6:7]
	v_mov_b32_e32 v22, s10
	s_xor_b64 exec, exec, s[6:7]
	s_cbranch_execnz .LBB34_2072
.LBB34_22:
	s_or_b64 exec, exec, s[6:7]
	s_and_saveexec_b64 s[6:7], s[4:5]
	s_cbranch_execz .LBB34_24
.LBB34_23:
	v_bfe_u32 v21, v10, 16, 3
	v_ffbh_u32_e32 v24, v21
	v_min_u32_e32 v24, 32, v24
	v_lshrrev_b32_e32 v22, 19, v10
	v_subrev_u32_e32 v25, 28, v24
	v_and_b32_e32 v22, 15, v22
	v_lshlrev_b32_sdwa v25, v25, v10 dst_sel:DWORD dst_unused:UNUSED_PAD src0_sel:DWORD src1_sel:WORD_1
	v_bfe_u32 v23, v10, 19, 4
	v_sub_u32_e32 v24, 29, v24
	v_and_b32_e32 v25, 7, v25
	v_cmp_eq_u16_e32 vcc, 0, v22
	v_cndmask_b32_e32 v21, v21, v25, vcc
	v_cndmask_b32_e32 v22, v23, v24, vcc
	v_lshlrev_b32_e32 v23, 8, v10
	v_mov_b32_e32 v24, 0x3b800000
	v_lshlrev_b32_e32 v21, 20, v21
	v_and_b32_e32 v23, 0x80000000, v23
	v_lshl_add_u32 v22, v22, 23, v24
	v_or3_b32 v22, v23, v22, v21
.LBB34_24:
	s_or_b64 exec, exec, s[6:7]
	s_nop 0
	v_mfma_f32_16x16x4f32 a[0:3], v20, v22, a[0:3]
	s_movk_i32 s4, 0x7f
	v_cmp_gt_i16_sdwa s[6:7], v14, s4 src0_sel:BYTE_3 src1_sel:DWORD
	s_mov_b64 s[4:5], 0
                                        ; implicit-def: $sgpr10
	s_and_saveexec_b64 s[8:9], s[6:7]
	s_xor_b64 s[6:7], exec, s[8:9]
	s_cbranch_execnz .LBB34_2073
; %bb.25:
	s_or_saveexec_b64 s[6:7], s[6:7]
	v_mov_b32_e32 v20, s10
	s_xor_b64 exec, exec, s[6:7]
	s_cbranch_execnz .LBB34_2076
.LBB34_26:
	s_or_b64 exec, exec, s[6:7]
	s_and_saveexec_b64 s[6:7], s[4:5]
	s_cbranch_execz .LBB34_28
.LBB34_27:
	v_bfe_u32 v20, v14, 24, 3
	v_ffbh_u32_e32 v24, v20
	v_min_u32_e32 v24, 32, v24
	v_lshrrev_b32_e32 v22, 27, v14
	v_subrev_u32_e32 v25, 28, v24
	v_and_b32_e32 v21, 0x80000000, v14
	v_and_b32_e32 v22, 15, v22
	v_bfe_u32 v23, v14, 27, 4
	v_lshlrev_b32_sdwa v14, v25, v14 dst_sel:DWORD dst_unused:UNUSED_PAD src0_sel:DWORD src1_sel:BYTE_3
	v_sub_u32_e32 v24, 29, v24
	v_and_b32_e32 v14, 7, v14
	v_cmp_eq_u16_e32 vcc, 0, v22
	v_cndmask_b32_e32 v14, v20, v14, vcc
	v_cndmask_b32_e32 v20, v23, v24, vcc
	v_mov_b32_e32 v22, 0x3b800000
	v_lshlrev_b32_e32 v14, 20, v14
	v_lshl_add_u32 v20, v20, 23, v22
	v_or3_b32 v20, v21, v20, v14
.LBB34_28:
	s_or_b64 exec, exec, s[6:7]
	s_movk_i32 s4, 0x7f
	v_cmp_gt_i16_sdwa s[6:7], v10, s4 src0_sel:BYTE_3 src1_sel:DWORD
	s_mov_b64 s[4:5], 0
                                        ; implicit-def: $sgpr10
	s_and_saveexec_b64 s[8:9], s[6:7]
	s_xor_b64 s[6:7], exec, s[8:9]
	s_cbranch_execnz .LBB34_2077
; %bb.29:
	s_or_saveexec_b64 s[6:7], s[6:7]
	v_mov_b32_e32 v14, s10
	s_xor_b64 exec, exec, s[6:7]
	s_cbranch_execnz .LBB34_2080
.LBB34_30:
	s_or_b64 exec, exec, s[6:7]
	s_and_saveexec_b64 s[6:7], s[4:5]
	s_cbranch_execz .LBB34_32
.LBB34_31:
	v_bfe_u32 v14, v10, 24, 3
	v_ffbh_u32_e32 v24, v14
	v_min_u32_e32 v24, 32, v24
	v_lshrrev_b32_e32 v22, 27, v10
	v_subrev_u32_e32 v25, 28, v24
	v_and_b32_e32 v21, 0x80000000, v10
	v_and_b32_e32 v22, 15, v22
	v_bfe_u32 v23, v10, 27, 4
	v_lshlrev_b32_sdwa v10, v25, v10 dst_sel:DWORD dst_unused:UNUSED_PAD src0_sel:DWORD src1_sel:BYTE_3
	v_sub_u32_e32 v24, 29, v24
	v_and_b32_e32 v10, 7, v10
	v_cmp_eq_u16_e32 vcc, 0, v22
	v_cndmask_b32_e32 v10, v14, v10, vcc
	v_cndmask_b32_e32 v14, v23, v24, vcc
	v_mov_b32_e32 v22, 0x3b800000
	v_lshlrev_b32_e32 v10, 20, v10
	v_lshl_add_u32 v14, v14, 23, v22
	v_or3_b32 v14, v21, v14, v10
.LBB34_32:
	s_or_b64 exec, exec, s[6:7]
	s_nop 0
	v_mfma_f32_16x16x4f32 a[0:3], v20, v14, a[0:3]
	s_movk_i32 s4, 0x7f
	v_cmp_gt_i16_sdwa s[6:7], v15, s4 src0_sel:BYTE_0 src1_sel:DWORD
	s_mov_b64 s[4:5], 0
                                        ; implicit-def: $sgpr10
	s_and_saveexec_b64 s[8:9], s[6:7]
	s_xor_b64 s[6:7], exec, s[8:9]
	s_cbranch_execnz .LBB34_2081
; %bb.33:
	s_or_saveexec_b64 s[6:7], s[6:7]
	v_mov_b32_e32 v10, s10
	s_xor_b64 exec, exec, s[6:7]
	s_cbranch_execnz .LBB34_2084
.LBB34_34:
	s_or_b64 exec, exec, s[6:7]
	s_and_saveexec_b64 s[6:7], s[4:5]
	s_cbranch_execz .LBB34_36
.LBB34_35:
	v_and_b32_e32 v10, 7, v15
	v_ffbh_u32_e32 v20, v10
	v_min_u32_e32 v20, 32, v20
	v_lshrrev_b16_e32 v14, 3, v15
	v_subrev_u32_e32 v21, 28, v20
	v_and_b32_e32 v14, 15, v14
	v_lshlrev_b32_e32 v21, v21, v15
	v_sub_u32_e32 v20, 29, v20
	v_and_b32_e32 v21, 7, v21
	v_cmp_eq_u16_e32 vcc, 0, v14
	v_cndmask_b32_e32 v10, v10, v21, vcc
	v_cndmask_b32_e32 v14, v14, v20, vcc
	v_lshlrev_b32_e32 v20, 24, v15
	v_mov_b32_e32 v21, 0x3b800000
	v_lshlrev_b32_e32 v10, 20, v10
	v_and_b32_e32 v20, 0x80000000, v20
	v_lshl_add_u32 v14, v14, 23, v21
	v_or3_b32 v10, v20, v14, v10
.LBB34_36:
	s_or_b64 exec, exec, s[6:7]
	s_movk_i32 s4, 0x7f
	v_cmp_gt_i16_sdwa s[6:7], v11, s4 src0_sel:BYTE_0 src1_sel:DWORD
	s_mov_b64 s[4:5], 0
                                        ; implicit-def: $sgpr10
	s_and_saveexec_b64 s[8:9], s[6:7]
	s_xor_b64 s[6:7], exec, s[8:9]
	s_cbranch_execnz .LBB34_2085
; %bb.37:
	s_or_saveexec_b64 s[6:7], s[6:7]
	v_mov_b32_e32 v14, s10
	s_xor_b64 exec, exec, s[6:7]
	s_cbranch_execnz .LBB34_2088
.LBB34_38:
	s_or_b64 exec, exec, s[6:7]
	s_and_saveexec_b64 s[6:7], s[4:5]
	s_cbranch_execz .LBB34_40
.LBB34_39:
	v_and_b32_e32 v14, 7, v11
	v_ffbh_u32_e32 v21, v14
	v_min_u32_e32 v21, 32, v21
	v_lshrrev_b16_e32 v20, 3, v11
	v_subrev_u32_e32 v22, 28, v21
	v_and_b32_e32 v20, 15, v20
	v_lshlrev_b32_e32 v22, v22, v11
	v_sub_u32_e32 v21, 29, v21
	v_and_b32_e32 v22, 7, v22
	v_cmp_eq_u16_e32 vcc, 0, v20
	v_cndmask_b32_e32 v14, v14, v22, vcc
	v_cndmask_b32_e32 v20, v20, v21, vcc
	v_lshlrev_b32_e32 v21, 24, v11
	v_mov_b32_e32 v22, 0x3b800000
	v_lshlrev_b32_e32 v14, 20, v14
	v_and_b32_e32 v21, 0x80000000, v21
	v_lshl_add_u32 v20, v20, 23, v22
	v_or3_b32 v14, v21, v20, v14
.LBB34_40:
	s_or_b64 exec, exec, s[6:7]
	s_nop 0
	v_mfma_f32_16x16x4f32 a[0:3], v10, v14, a[0:3]
	v_lshrrev_b32_e32 v14, 8, v15
	s_movk_i32 s4, 0x7f
	v_cmp_gt_i16_sdwa s[6:7], v14, s4 src0_sel:BYTE_0 src1_sel:DWORD
	s_mov_b64 s[4:5], 0
                                        ; implicit-def: $sgpr10
	s_and_saveexec_b64 s[8:9], s[6:7]
	s_xor_b64 s[6:7], exec, s[8:9]
	s_cbranch_execnz .LBB34_2089
; %bb.41:
	s_or_saveexec_b64 s[6:7], s[6:7]
	v_mov_b32_e32 v10, s10
	s_xor_b64 exec, exec, s[6:7]
	s_cbranch_execnz .LBB34_2092
.LBB34_42:
	s_or_b64 exec, exec, s[6:7]
	s_and_saveexec_b64 s[6:7], s[4:5]
	s_cbranch_execz .LBB34_44
.LBB34_43:
	v_bfe_u32 v10, v15, 8, 3
	v_ffbh_u32_e32 v21, v10
	v_min_u32_e32 v21, 32, v21
	v_lshrrev_b16_e32 v20, 3, v14
	v_subrev_u32_e32 v22, 28, v21
	v_and_b32_e32 v20, 15, v20
	v_lshlrev_b32_e32 v14, v22, v14
	v_sub_u32_e32 v21, 29, v21
	v_and_b32_e32 v14, 7, v14
	v_cmp_eq_u16_e32 vcc, 0, v20
	v_cndmask_b32_e32 v10, v10, v14, vcc
	v_cndmask_b32_e32 v14, v20, v21, vcc
	v_lshlrev_b32_e32 v20, 16, v15
	v_mov_b32_e32 v21, 0x3b800000
	v_lshlrev_b32_e32 v10, 20, v10
	v_and_b32_e32 v20, 0x80000000, v20
	v_lshl_add_u32 v14, v14, 23, v21
	v_or3_b32 v10, v20, v14, v10
.LBB34_44:
	s_or_b64 exec, exec, s[6:7]
	v_lshrrev_b32_e32 v14, 8, v11
	s_movk_i32 s4, 0x7f
	v_cmp_gt_i16_sdwa s[6:7], v14, s4 src0_sel:BYTE_0 src1_sel:DWORD
	s_mov_b64 s[4:5], 0
                                        ; implicit-def: $sgpr10
	s_and_saveexec_b64 s[8:9], s[6:7]
	s_xor_b64 s[6:7], exec, s[8:9]
	s_cbranch_execnz .LBB34_2093
; %bb.45:
	s_or_saveexec_b64 s[6:7], s[6:7]
	v_mov_b32_e32 v20, s10
	s_xor_b64 exec, exec, s[6:7]
	s_cbranch_execnz .LBB34_2096
.LBB34_46:
	s_or_b64 exec, exec, s[6:7]
	s_and_saveexec_b64 s[6:7], s[4:5]
	s_cbranch_execz .LBB34_48
.LBB34_47:
	v_bfe_u32 v20, v11, 8, 3
	v_ffbh_u32_e32 v22, v20
	v_min_u32_e32 v22, 32, v22
	v_lshrrev_b16_e32 v21, 3, v14
	v_subrev_u32_e32 v23, 28, v22
	v_and_b32_e32 v21, 15, v21
	v_lshlrev_b32_e32 v14, v23, v14
	v_sub_u32_e32 v22, 29, v22
	v_and_b32_e32 v14, 7, v14
	v_cmp_eq_u16_e32 vcc, 0, v21
	v_cndmask_b32_e32 v14, v20, v14, vcc
	v_cndmask_b32_e32 v20, v21, v22, vcc
	v_lshlrev_b32_e32 v21, 16, v11
	v_mov_b32_e32 v22, 0x3b800000
	v_lshlrev_b32_e32 v14, 20, v14
	v_and_b32_e32 v21, 0x80000000, v21
	v_lshl_add_u32 v20, v20, 23, v22
	v_or3_b32 v20, v21, v20, v14
.LBB34_48:
	s_or_b64 exec, exec, s[6:7]
	s_nop 0
	v_mfma_f32_16x16x4f32 a[0:3], v10, v20, a[0:3]
	s_movk_i32 s4, 0xff
	v_and_b32_sdwa v14, v15, s4 dst_sel:DWORD dst_unused:UNUSED_PAD src0_sel:WORD_1 src1_sel:DWORD
	s_movk_i32 s4, 0x7f
	v_cmp_lt_i16_e32 vcc, s4, v14
	s_mov_b64 s[4:5], 0
                                        ; implicit-def: $sgpr10
	s_and_saveexec_b64 s[6:7], vcc
	s_xor_b64 s[6:7], exec, s[6:7]
	s_cbranch_execnz .LBB34_2097
; %bb.49:
	s_or_saveexec_b64 s[6:7], s[6:7]
	v_mov_b32_e32 v10, s10
	s_xor_b64 exec, exec, s[6:7]
	s_cbranch_execnz .LBB34_2100
.LBB34_50:
	s_or_b64 exec, exec, s[6:7]
	s_and_saveexec_b64 s[6:7], s[4:5]
	s_cbranch_execz .LBB34_52
.LBB34_51:
	v_bfe_u32 v10, v15, 16, 3
	v_ffbh_u32_e32 v21, v10
	v_min_u32_e32 v21, 32, v21
	v_lshrrev_b32_e32 v14, 19, v15
	v_subrev_u32_e32 v22, 28, v21
	v_and_b32_e32 v14, 15, v14
	v_lshlrev_b32_sdwa v22, v22, v15 dst_sel:DWORD dst_unused:UNUSED_PAD src0_sel:DWORD src1_sel:WORD_1
	v_bfe_u32 v20, v15, 19, 4
	v_sub_u32_e32 v21, 29, v21
	v_and_b32_e32 v22, 7, v22
	v_cmp_eq_u16_e32 vcc, 0, v14
	v_cndmask_b32_e32 v10, v10, v22, vcc
	v_cndmask_b32_e32 v14, v20, v21, vcc
	v_lshlrev_b32_e32 v20, 8, v15
	v_mov_b32_e32 v21, 0x3b800000
	v_lshlrev_b32_e32 v10, 20, v10
	v_and_b32_e32 v20, 0x80000000, v20
	v_lshl_add_u32 v14, v14, 23, v21
	v_or3_b32 v10, v20, v14, v10
.LBB34_52:
	s_or_b64 exec, exec, s[6:7]
	s_movk_i32 s4, 0xff
	v_and_b32_sdwa v14, v11, s4 dst_sel:DWORD dst_unused:UNUSED_PAD src0_sel:WORD_1 src1_sel:DWORD
	s_movk_i32 s4, 0x7f
	v_cmp_lt_i16_e32 vcc, s4, v14
	s_mov_b64 s[4:5], 0
                                        ; implicit-def: $sgpr10
	s_and_saveexec_b64 s[6:7], vcc
	s_xor_b64 s[6:7], exec, s[6:7]
	s_cbranch_execnz .LBB34_2101
; %bb.53:
	s_or_saveexec_b64 s[6:7], s[6:7]
	v_mov_b32_e32 v20, s10
	s_xor_b64 exec, exec, s[6:7]
	s_cbranch_execnz .LBB34_2104
.LBB34_54:
	s_or_b64 exec, exec, s[6:7]
	s_and_saveexec_b64 s[6:7], s[4:5]
	s_cbranch_execz .LBB34_56
.LBB34_55:
	v_bfe_u32 v14, v11, 16, 3
	v_ffbh_u32_e32 v22, v14
	v_min_u32_e32 v22, 32, v22
	v_lshrrev_b32_e32 v20, 19, v11
	v_subrev_u32_e32 v23, 28, v22
	v_and_b32_e32 v20, 15, v20
	v_lshlrev_b32_sdwa v23, v23, v11 dst_sel:DWORD dst_unused:UNUSED_PAD src0_sel:DWORD src1_sel:WORD_1
	v_bfe_u32 v21, v11, 19, 4
	v_sub_u32_e32 v22, 29, v22
	v_and_b32_e32 v23, 7, v23
	v_cmp_eq_u16_e32 vcc, 0, v20
	v_cndmask_b32_e32 v14, v14, v23, vcc
	v_cndmask_b32_e32 v20, v21, v22, vcc
	v_lshlrev_b32_e32 v21, 8, v11
	v_mov_b32_e32 v22, 0x3b800000
	v_lshlrev_b32_e32 v14, 20, v14
	v_and_b32_e32 v21, 0x80000000, v21
	v_lshl_add_u32 v20, v20, 23, v22
	v_or3_b32 v20, v21, v20, v14
.LBB34_56:
	s_or_b64 exec, exec, s[6:7]
	s_nop 0
	v_mfma_f32_16x16x4f32 a[0:3], v10, v20, a[0:3]
	s_movk_i32 s4, 0x7f
	v_cmp_gt_i16_sdwa s[6:7], v15, s4 src0_sel:BYTE_3 src1_sel:DWORD
	s_mov_b64 s[4:5], 0
                                        ; implicit-def: $sgpr10
	s_and_saveexec_b64 s[8:9], s[6:7]
	s_xor_b64 s[6:7], exec, s[8:9]
	s_cbranch_execnz .LBB34_2105
; %bb.57:
	s_or_saveexec_b64 s[6:7], s[6:7]
	v_mov_b32_e32 v10, s10
	s_xor_b64 exec, exec, s[6:7]
	s_cbranch_execnz .LBB34_2108
.LBB34_58:
	s_or_b64 exec, exec, s[6:7]
	s_and_saveexec_b64 s[6:7], s[4:5]
	s_cbranch_execz .LBB34_60
.LBB34_59:
	v_bfe_u32 v10, v15, 24, 3
	v_ffbh_u32_e32 v22, v10
	v_min_u32_e32 v22, 32, v22
	v_lshrrev_b32_e32 v20, 27, v15
	v_subrev_u32_e32 v23, 28, v22
	v_and_b32_e32 v14, 0x80000000, v15
	v_and_b32_e32 v20, 15, v20
	v_bfe_u32 v21, v15, 27, 4
	v_lshlrev_b32_sdwa v15, v23, v15 dst_sel:DWORD dst_unused:UNUSED_PAD src0_sel:DWORD src1_sel:BYTE_3
	v_sub_u32_e32 v22, 29, v22
	v_and_b32_e32 v15, 7, v15
	v_cmp_eq_u16_e32 vcc, 0, v20
	v_cndmask_b32_e32 v10, v10, v15, vcc
	v_cndmask_b32_e32 v15, v21, v22, vcc
	v_mov_b32_e32 v20, 0x3b800000
	v_lshlrev_b32_e32 v10, 20, v10
	v_lshl_add_u32 v15, v15, 23, v20
	v_or3_b32 v10, v14, v15, v10
.LBB34_60:
	s_or_b64 exec, exec, s[6:7]
	s_movk_i32 s4, 0x7f
	v_cmp_gt_i16_sdwa s[6:7], v11, s4 src0_sel:BYTE_3 src1_sel:DWORD
	s_mov_b64 s[4:5], 0
                                        ; implicit-def: $sgpr10
	s_and_saveexec_b64 s[8:9], s[6:7]
	s_xor_b64 s[6:7], exec, s[8:9]
	s_cbranch_execnz .LBB34_2109
; %bb.61:
	s_or_saveexec_b64 s[6:7], s[6:7]
	v_mov_b32_e32 v14, s10
	s_xor_b64 exec, exec, s[6:7]
	s_cbranch_execnz .LBB34_2112
.LBB34_62:
	s_or_b64 exec, exec, s[6:7]
	s_and_saveexec_b64 s[6:7], s[4:5]
	s_cbranch_execz .LBB34_64
.LBB34_63:
	v_bfe_u32 v14, v11, 24, 3
	v_ffbh_u32_e32 v22, v14
	v_min_u32_e32 v22, 32, v22
	v_lshrrev_b32_e32 v20, 27, v11
	v_subrev_u32_e32 v23, 28, v22
	v_and_b32_e32 v15, 0x80000000, v11
	v_and_b32_e32 v20, 15, v20
	v_bfe_u32 v21, v11, 27, 4
	v_lshlrev_b32_sdwa v11, v23, v11 dst_sel:DWORD dst_unused:UNUSED_PAD src0_sel:DWORD src1_sel:BYTE_3
	v_sub_u32_e32 v22, 29, v22
	v_and_b32_e32 v11, 7, v11
	v_cmp_eq_u16_e32 vcc, 0, v20
	v_cndmask_b32_e32 v11, v14, v11, vcc
	v_cndmask_b32_e32 v14, v21, v22, vcc
	v_mov_b32_e32 v20, 0x3b800000
	v_lshlrev_b32_e32 v11, 20, v11
	v_lshl_add_u32 v14, v14, 23, v20
	v_or3_b32 v14, v15, v14, v11
.LBB34_64:
	s_or_b64 exec, exec, s[6:7]
	s_nop 0
	v_mfma_f32_16x16x4f32 a[0:3], v10, v14, a[0:3]
	s_movk_i32 s4, 0x7f
	v_cmp_gt_i16_sdwa s[6:7], v16, s4 src0_sel:BYTE_0 src1_sel:DWORD
	s_mov_b64 s[4:5], 0
                                        ; implicit-def: $sgpr10
	s_and_saveexec_b64 s[8:9], s[6:7]
	s_xor_b64 s[6:7], exec, s[8:9]
	s_cbranch_execnz .LBB34_2113
; %bb.65:
	s_or_saveexec_b64 s[6:7], s[6:7]
	v_mov_b32_e32 v10, s10
	s_xor_b64 exec, exec, s[6:7]
	s_cbranch_execnz .LBB34_2116
.LBB34_66:
	s_or_b64 exec, exec, s[6:7]
	s_and_saveexec_b64 s[6:7], s[4:5]
	s_cbranch_execz .LBB34_68
.LBB34_67:
	v_and_b32_e32 v10, 7, v16
	v_ffbh_u32_e32 v14, v10
	v_min_u32_e32 v14, 32, v14
	v_lshrrev_b16_e32 v11, 3, v16
	v_subrev_u32_e32 v15, 28, v14
	v_and_b32_e32 v11, 15, v11
	v_lshlrev_b32_e32 v15, v15, v16
	v_sub_u32_e32 v14, 29, v14
	v_and_b32_e32 v15, 7, v15
	v_cmp_eq_u16_e32 vcc, 0, v11
	v_cndmask_b32_e32 v10, v10, v15, vcc
	v_cndmask_b32_e32 v11, v11, v14, vcc
	v_lshlrev_b32_e32 v14, 24, v16
	v_mov_b32_e32 v15, 0x3b800000
	v_lshlrev_b32_e32 v10, 20, v10
	v_and_b32_e32 v14, 0x80000000, v14
	v_lshl_add_u32 v11, v11, 23, v15
	v_or3_b32 v10, v14, v11, v10
.LBB34_68:
	s_or_b64 exec, exec, s[6:7]
	s_movk_i32 s4, 0x7f
	v_cmp_gt_i16_sdwa s[6:7], v12, s4 src0_sel:BYTE_0 src1_sel:DWORD
	s_mov_b64 s[4:5], 0
                                        ; implicit-def: $sgpr10
	s_and_saveexec_b64 s[8:9], s[6:7]
	s_xor_b64 s[6:7], exec, s[8:9]
	s_cbranch_execnz .LBB34_2117
; %bb.69:
	s_or_saveexec_b64 s[6:7], s[6:7]
	v_mov_b32_e32 v11, s10
	s_xor_b64 exec, exec, s[6:7]
	s_cbranch_execnz .LBB34_2120
.LBB34_70:
	s_or_b64 exec, exec, s[6:7]
	s_and_saveexec_b64 s[6:7], s[4:5]
	s_cbranch_execz .LBB34_72
.LBB34_71:
	v_and_b32_e32 v11, 7, v12
	v_ffbh_u32_e32 v15, v11
	v_min_u32_e32 v15, 32, v15
	v_lshrrev_b16_e32 v14, 3, v12
	v_subrev_u32_e32 v20, 28, v15
	v_and_b32_e32 v14, 15, v14
	v_lshlrev_b32_e32 v20, v20, v12
	v_sub_u32_e32 v15, 29, v15
	v_and_b32_e32 v20, 7, v20
	v_cmp_eq_u16_e32 vcc, 0, v14
	v_cndmask_b32_e32 v11, v11, v20, vcc
	v_cndmask_b32_e32 v14, v14, v15, vcc
	v_lshlrev_b32_e32 v15, 24, v12
	v_mov_b32_e32 v20, 0x3b800000
	v_lshlrev_b32_e32 v11, 20, v11
	v_and_b32_e32 v15, 0x80000000, v15
	v_lshl_add_u32 v14, v14, 23, v20
	v_or3_b32 v11, v15, v14, v11
.LBB34_72:
	s_or_b64 exec, exec, s[6:7]
	s_nop 0
	v_mfma_f32_16x16x4f32 a[0:3], v10, v11, a[0:3]
	v_lshrrev_b32_e32 v11, 8, v16
	s_movk_i32 s4, 0x7f
	v_cmp_gt_i16_sdwa s[6:7], v11, s4 src0_sel:BYTE_0 src1_sel:DWORD
	s_mov_b64 s[4:5], 0
                                        ; implicit-def: $sgpr10
	s_and_saveexec_b64 s[8:9], s[6:7]
	s_xor_b64 s[6:7], exec, s[8:9]
	s_cbranch_execnz .LBB34_2121
; %bb.73:
	s_or_saveexec_b64 s[6:7], s[6:7]
	v_mov_b32_e32 v10, s10
	s_xor_b64 exec, exec, s[6:7]
	s_cbranch_execnz .LBB34_2124
.LBB34_74:
	s_or_b64 exec, exec, s[6:7]
	s_and_saveexec_b64 s[6:7], s[4:5]
	s_cbranch_execz .LBB34_76
.LBB34_75:
	v_bfe_u32 v10, v16, 8, 3
	v_ffbh_u32_e32 v15, v10
	v_min_u32_e32 v15, 32, v15
	v_lshrrev_b16_e32 v14, 3, v11
	v_subrev_u32_e32 v20, 28, v15
	v_and_b32_e32 v14, 15, v14
	v_lshlrev_b32_e32 v11, v20, v11
	v_sub_u32_e32 v15, 29, v15
	v_and_b32_e32 v11, 7, v11
	v_cmp_eq_u16_e32 vcc, 0, v14
	v_cndmask_b32_e32 v10, v10, v11, vcc
	v_cndmask_b32_e32 v11, v14, v15, vcc
	v_lshlrev_b32_e32 v14, 16, v16
	v_mov_b32_e32 v15, 0x3b800000
	v_lshlrev_b32_e32 v10, 20, v10
	v_and_b32_e32 v14, 0x80000000, v14
	v_lshl_add_u32 v11, v11, 23, v15
	v_or3_b32 v10, v14, v11, v10
.LBB34_76:
	s_or_b64 exec, exec, s[6:7]
	v_lshrrev_b32_e32 v11, 8, v12
	s_movk_i32 s4, 0x7f
	v_cmp_gt_i16_sdwa s[6:7], v11, s4 src0_sel:BYTE_0 src1_sel:DWORD
	s_mov_b64 s[4:5], 0
                                        ; implicit-def: $sgpr10
	s_and_saveexec_b64 s[8:9], s[6:7]
	s_xor_b64 s[6:7], exec, s[8:9]
	s_cbranch_execnz .LBB34_2125
; %bb.77:
	s_or_saveexec_b64 s[6:7], s[6:7]
	v_mov_b32_e32 v14, s10
	s_xor_b64 exec, exec, s[6:7]
	s_cbranch_execnz .LBB34_2128
.LBB34_78:
	s_or_b64 exec, exec, s[6:7]
	s_and_saveexec_b64 s[6:7], s[4:5]
	s_cbranch_execz .LBB34_80
.LBB34_79:
	v_bfe_u32 v14, v12, 8, 3
	v_ffbh_u32_e32 v20, v14
	v_min_u32_e32 v20, 32, v20
	v_lshrrev_b16_e32 v15, 3, v11
	v_subrev_u32_e32 v21, 28, v20
	v_and_b32_e32 v15, 15, v15
	v_lshlrev_b32_e32 v11, v21, v11
	v_sub_u32_e32 v20, 29, v20
	v_and_b32_e32 v11, 7, v11
	v_cmp_eq_u16_e32 vcc, 0, v15
	v_cndmask_b32_e32 v11, v14, v11, vcc
	v_cndmask_b32_e32 v14, v15, v20, vcc
	v_lshlrev_b32_e32 v15, 16, v12
	v_mov_b32_e32 v20, 0x3b800000
	v_lshlrev_b32_e32 v11, 20, v11
	v_and_b32_e32 v15, 0x80000000, v15
	v_lshl_add_u32 v14, v14, 23, v20
	v_or3_b32 v14, v15, v14, v11
.LBB34_80:
	s_or_b64 exec, exec, s[6:7]
	s_nop 0
	v_mfma_f32_16x16x4f32 a[0:3], v10, v14, a[0:3]
	s_movk_i32 s4, 0xff
	v_and_b32_sdwa v11, v16, s4 dst_sel:DWORD dst_unused:UNUSED_PAD src0_sel:WORD_1 src1_sel:DWORD
	s_movk_i32 s4, 0x7f
	v_cmp_lt_i16_e32 vcc, s4, v11
	s_mov_b64 s[4:5], 0
                                        ; implicit-def: $sgpr10
	s_and_saveexec_b64 s[6:7], vcc
	s_xor_b64 s[6:7], exec, s[6:7]
	s_cbranch_execnz .LBB34_2129
; %bb.81:
	s_or_saveexec_b64 s[6:7], s[6:7]
	v_mov_b32_e32 v10, s10
	s_xor_b64 exec, exec, s[6:7]
	s_cbranch_execnz .LBB34_2132
.LBB34_82:
	s_or_b64 exec, exec, s[6:7]
	s_and_saveexec_b64 s[6:7], s[4:5]
	s_cbranch_execz .LBB34_84
.LBB34_83:
	v_bfe_u32 v10, v16, 16, 3
	v_ffbh_u32_e32 v15, v10
	v_min_u32_e32 v15, 32, v15
	v_lshrrev_b32_e32 v11, 19, v16
	v_subrev_u32_e32 v20, 28, v15
	v_and_b32_e32 v11, 15, v11
	v_lshlrev_b32_sdwa v20, v20, v16 dst_sel:DWORD dst_unused:UNUSED_PAD src0_sel:DWORD src1_sel:WORD_1
	v_bfe_u32 v14, v16, 19, 4
	v_sub_u32_e32 v15, 29, v15
	v_and_b32_e32 v20, 7, v20
	v_cmp_eq_u16_e32 vcc, 0, v11
	v_cndmask_b32_e32 v10, v10, v20, vcc
	v_cndmask_b32_e32 v11, v14, v15, vcc
	v_lshlrev_b32_e32 v14, 8, v16
	v_mov_b32_e32 v15, 0x3b800000
	v_lshlrev_b32_e32 v10, 20, v10
	v_and_b32_e32 v14, 0x80000000, v14
	v_lshl_add_u32 v11, v11, 23, v15
	v_or3_b32 v10, v14, v11, v10
.LBB34_84:
	s_or_b64 exec, exec, s[6:7]
	s_movk_i32 s4, 0xff
	v_and_b32_sdwa v11, v12, s4 dst_sel:DWORD dst_unused:UNUSED_PAD src0_sel:WORD_1 src1_sel:DWORD
	s_movk_i32 s4, 0x7f
	v_cmp_lt_i16_e32 vcc, s4, v11
	s_mov_b64 s[4:5], 0
                                        ; implicit-def: $sgpr10
	s_and_saveexec_b64 s[6:7], vcc
	s_xor_b64 s[6:7], exec, s[6:7]
	s_cbranch_execnz .LBB34_2133
; %bb.85:
	s_or_saveexec_b64 s[6:7], s[6:7]
	v_mov_b32_e32 v14, s10
	s_xor_b64 exec, exec, s[6:7]
	s_cbranch_execnz .LBB34_2136
.LBB34_86:
	s_or_b64 exec, exec, s[6:7]
	s_and_saveexec_b64 s[6:7], s[4:5]
	s_cbranch_execz .LBB34_88
.LBB34_87:
	v_bfe_u32 v11, v12, 16, 3
	v_ffbh_u32_e32 v20, v11
	v_min_u32_e32 v20, 32, v20
	v_lshrrev_b32_e32 v14, 19, v12
	v_subrev_u32_e32 v21, 28, v20
	v_and_b32_e32 v14, 15, v14
	v_lshlrev_b32_sdwa v21, v21, v12 dst_sel:DWORD dst_unused:UNUSED_PAD src0_sel:DWORD src1_sel:WORD_1
	v_bfe_u32 v15, v12, 19, 4
	v_sub_u32_e32 v20, 29, v20
	v_and_b32_e32 v21, 7, v21
	v_cmp_eq_u16_e32 vcc, 0, v14
	v_cndmask_b32_e32 v11, v11, v21, vcc
	v_cndmask_b32_e32 v14, v15, v20, vcc
	v_lshlrev_b32_e32 v15, 8, v12
	v_mov_b32_e32 v20, 0x3b800000
	v_lshlrev_b32_e32 v11, 20, v11
	v_and_b32_e32 v15, 0x80000000, v15
	v_lshl_add_u32 v14, v14, 23, v20
	v_or3_b32 v14, v15, v14, v11
.LBB34_88:
	s_or_b64 exec, exec, s[6:7]
	s_nop 0
	v_mfma_f32_16x16x4f32 a[0:3], v10, v14, a[0:3]
	s_movk_i32 s4, 0x7f
	v_cmp_gt_i16_sdwa s[6:7], v16, s4 src0_sel:BYTE_3 src1_sel:DWORD
	s_mov_b64 s[4:5], 0
                                        ; implicit-def: $sgpr10
	s_and_saveexec_b64 s[8:9], s[6:7]
	s_xor_b64 s[6:7], exec, s[8:9]
	s_cbranch_execnz .LBB34_2137
; %bb.89:
	s_or_saveexec_b64 s[6:7], s[6:7]
	v_mov_b32_e32 v10, s10
	s_xor_b64 exec, exec, s[6:7]
	s_cbranch_execnz .LBB34_2140
.LBB34_90:
	s_or_b64 exec, exec, s[6:7]
	s_and_saveexec_b64 s[6:7], s[4:5]
	s_cbranch_execz .LBB34_92
.LBB34_91:
	v_bfe_u32 v10, v16, 24, 3
	v_ffbh_u32_e32 v20, v10
	v_min_u32_e32 v20, 32, v20
	v_lshrrev_b32_e32 v14, 27, v16
	v_subrev_u32_e32 v21, 28, v20
	v_and_b32_e32 v11, 0x80000000, v16
	v_and_b32_e32 v14, 15, v14
	v_bfe_u32 v15, v16, 27, 4
	v_lshlrev_b32_sdwa v16, v21, v16 dst_sel:DWORD dst_unused:UNUSED_PAD src0_sel:DWORD src1_sel:BYTE_3
	v_sub_u32_e32 v20, 29, v20
	v_and_b32_e32 v16, 7, v16
	v_cmp_eq_u16_e32 vcc, 0, v14
	v_cndmask_b32_e32 v10, v10, v16, vcc
	v_cndmask_b32_e32 v14, v15, v20, vcc
	v_mov_b32_e32 v15, 0x3b800000
	v_lshlrev_b32_e32 v10, 20, v10
	v_lshl_add_u32 v14, v14, 23, v15
	v_or3_b32 v10, v11, v14, v10
.LBB34_92:
	s_or_b64 exec, exec, s[6:7]
	s_movk_i32 s4, 0x7f
	v_cmp_gt_i16_sdwa s[6:7], v12, s4 src0_sel:BYTE_3 src1_sel:DWORD
	s_mov_b64 s[4:5], 0
                                        ; implicit-def: $sgpr10
	s_and_saveexec_b64 s[8:9], s[6:7]
	s_xor_b64 s[6:7], exec, s[8:9]
	s_cbranch_execnz .LBB34_2141
; %bb.93:
	s_or_saveexec_b64 s[6:7], s[6:7]
	v_mov_b32_e32 v11, s10
	s_xor_b64 exec, exec, s[6:7]
	s_cbranch_execnz .LBB34_2144
.LBB34_94:
	s_or_b64 exec, exec, s[6:7]
	s_and_saveexec_b64 s[6:7], s[4:5]
	s_cbranch_execz .LBB34_96
.LBB34_95:
	v_bfe_u32 v11, v12, 24, 3
	v_ffbh_u32_e32 v20, v11
	v_min_u32_e32 v20, 32, v20
	v_lshrrev_b32_e32 v15, 27, v12
	v_subrev_u32_e32 v21, 28, v20
	v_and_b32_e32 v14, 0x80000000, v12
	v_and_b32_e32 v15, 15, v15
	v_bfe_u32 v16, v12, 27, 4
	v_lshlrev_b32_sdwa v12, v21, v12 dst_sel:DWORD dst_unused:UNUSED_PAD src0_sel:DWORD src1_sel:BYTE_3
	v_sub_u32_e32 v20, 29, v20
	v_and_b32_e32 v12, 7, v12
	v_cmp_eq_u16_e32 vcc, 0, v15
	v_cndmask_b32_e32 v11, v11, v12, vcc
	v_cndmask_b32_e32 v12, v16, v20, vcc
	v_mov_b32_e32 v15, 0x3b800000
	v_lshlrev_b32_e32 v11, 20, v11
	v_lshl_add_u32 v12, v12, 23, v15
	v_or3_b32 v11, v14, v12, v11
.LBB34_96:
	s_or_b64 exec, exec, s[6:7]
	s_nop 0
	v_mfma_f32_16x16x4f32 a[0:3], v10, v11, a[0:3]
	s_movk_i32 s4, 0x7f
	v_cmp_gt_i16_sdwa s[6:7], v17, s4 src0_sel:BYTE_0 src1_sel:DWORD
	s_mov_b64 s[4:5], 0
                                        ; implicit-def: $sgpr10
	s_and_saveexec_b64 s[8:9], s[6:7]
	s_xor_b64 s[6:7], exec, s[8:9]
	s_cbranch_execnz .LBB34_2145
; %bb.97:
	s_or_saveexec_b64 s[6:7], s[6:7]
	v_mov_b32_e32 v10, s10
	s_xor_b64 exec, exec, s[6:7]
	s_cbranch_execnz .LBB34_2148
.LBB34_98:
	s_or_b64 exec, exec, s[6:7]
	s_and_saveexec_b64 s[6:7], s[4:5]
	s_cbranch_execz .LBB34_100
.LBB34_99:
	v_and_b32_e32 v10, 7, v17
	v_ffbh_u32_e32 v12, v10
	v_min_u32_e32 v12, 32, v12
	v_lshrrev_b16_e32 v11, 3, v17
	v_subrev_u32_e32 v14, 28, v12
	v_and_b32_e32 v11, 15, v11
	v_lshlrev_b32_e32 v14, v14, v17
	v_sub_u32_e32 v12, 29, v12
	v_and_b32_e32 v14, 7, v14
	v_cmp_eq_u16_e32 vcc, 0, v11
	v_cndmask_b32_e32 v10, v10, v14, vcc
	v_cndmask_b32_e32 v11, v11, v12, vcc
	v_lshlrev_b32_e32 v12, 24, v17
	v_mov_b32_e32 v14, 0x3b800000
	v_lshlrev_b32_e32 v10, 20, v10
	v_and_b32_e32 v12, 0x80000000, v12
	v_lshl_add_u32 v11, v11, 23, v14
	v_or3_b32 v10, v12, v11, v10
.LBB34_100:
	s_or_b64 exec, exec, s[6:7]
	s_movk_i32 s4, 0x7f
	v_cmp_gt_i16_sdwa s[6:7], v13, s4 src0_sel:BYTE_0 src1_sel:DWORD
	s_mov_b64 s[4:5], 0
                                        ; implicit-def: $sgpr10
	s_and_saveexec_b64 s[8:9], s[6:7]
	s_xor_b64 s[6:7], exec, s[8:9]
	s_cbranch_execnz .LBB34_2149
; %bb.101:
	s_or_saveexec_b64 s[6:7], s[6:7]
	v_mov_b32_e32 v11, s10
	s_xor_b64 exec, exec, s[6:7]
	s_cbranch_execnz .LBB34_2152
.LBB34_102:
	s_or_b64 exec, exec, s[6:7]
	s_and_saveexec_b64 s[6:7], s[4:5]
	s_cbranch_execz .LBB34_104
.LBB34_103:
	v_and_b32_e32 v11, 7, v13
	v_ffbh_u32_e32 v14, v11
	v_min_u32_e32 v14, 32, v14
	v_lshrrev_b16_e32 v12, 3, v13
	v_subrev_u32_e32 v15, 28, v14
	v_and_b32_e32 v12, 15, v12
	v_lshlrev_b32_e32 v15, v15, v13
	v_sub_u32_e32 v14, 29, v14
	v_and_b32_e32 v15, 7, v15
	v_cmp_eq_u16_e32 vcc, 0, v12
	v_cndmask_b32_e32 v11, v11, v15, vcc
	v_cndmask_b32_e32 v12, v12, v14, vcc
	v_lshlrev_b32_e32 v14, 24, v13
	v_mov_b32_e32 v15, 0x3b800000
	v_lshlrev_b32_e32 v11, 20, v11
	v_and_b32_e32 v14, 0x80000000, v14
	v_lshl_add_u32 v12, v12, 23, v15
	v_or3_b32 v11, v14, v12, v11
.LBB34_104:
	s_or_b64 exec, exec, s[6:7]
	s_nop 0
	v_mfma_f32_16x16x4f32 a[0:3], v10, v11, a[0:3]
	v_lshrrev_b32_e32 v11, 8, v17
	s_movk_i32 s4, 0x7f
	v_cmp_gt_i16_sdwa s[6:7], v11, s4 src0_sel:BYTE_0 src1_sel:DWORD
	s_mov_b64 s[4:5], 0
                                        ; implicit-def: $sgpr10
	s_and_saveexec_b64 s[8:9], s[6:7]
	s_xor_b64 s[6:7], exec, s[8:9]
	s_cbranch_execnz .LBB34_2153
; %bb.105:
	s_or_saveexec_b64 s[6:7], s[6:7]
	v_mov_b32_e32 v10, s10
	s_xor_b64 exec, exec, s[6:7]
	s_cbranch_execnz .LBB34_2156
.LBB34_106:
	s_or_b64 exec, exec, s[6:7]
	s_and_saveexec_b64 s[6:7], s[4:5]
	s_cbranch_execz .LBB34_108
.LBB34_107:
	v_bfe_u32 v10, v17, 8, 3
	v_ffbh_u32_e32 v14, v10
	v_min_u32_e32 v14, 32, v14
	v_lshrrev_b16_e32 v12, 3, v11
	v_subrev_u32_e32 v15, 28, v14
	v_and_b32_e32 v12, 15, v12
	v_lshlrev_b32_e32 v11, v15, v11
	v_sub_u32_e32 v14, 29, v14
	v_and_b32_e32 v11, 7, v11
	v_cmp_eq_u16_e32 vcc, 0, v12
	v_cndmask_b32_e32 v10, v10, v11, vcc
	v_cndmask_b32_e32 v11, v12, v14, vcc
	v_lshlrev_b32_e32 v12, 16, v17
	v_mov_b32_e32 v14, 0x3b800000
	v_lshlrev_b32_e32 v10, 20, v10
	v_and_b32_e32 v12, 0x80000000, v12
	v_lshl_add_u32 v11, v11, 23, v14
	v_or3_b32 v10, v12, v11, v10
.LBB34_108:
	s_or_b64 exec, exec, s[6:7]
	v_lshrrev_b32_e32 v11, 8, v13
	s_movk_i32 s4, 0x7f
	v_cmp_gt_i16_sdwa s[6:7], v11, s4 src0_sel:BYTE_0 src1_sel:DWORD
	s_mov_b64 s[4:5], 0
                                        ; implicit-def: $sgpr10
	s_and_saveexec_b64 s[8:9], s[6:7]
	s_xor_b64 s[6:7], exec, s[8:9]
	s_cbranch_execnz .LBB34_2157
; %bb.109:
	s_or_saveexec_b64 s[6:7], s[6:7]
	v_mov_b32_e32 v12, s10
	s_xor_b64 exec, exec, s[6:7]
	s_cbranch_execnz .LBB34_2160
.LBB34_110:
	s_or_b64 exec, exec, s[6:7]
	s_and_saveexec_b64 s[6:7], s[4:5]
	s_cbranch_execz .LBB34_112
.LBB34_111:
	v_bfe_u32 v12, v13, 8, 3
	v_ffbh_u32_e32 v15, v12
	v_min_u32_e32 v15, 32, v15
	v_lshrrev_b16_e32 v14, 3, v11
	v_subrev_u32_e32 v16, 28, v15
	v_and_b32_e32 v14, 15, v14
	v_lshlrev_b32_e32 v11, v16, v11
	v_sub_u32_e32 v15, 29, v15
	v_and_b32_e32 v11, 7, v11
	v_cmp_eq_u16_e32 vcc, 0, v14
	v_cndmask_b32_e32 v11, v12, v11, vcc
	v_cndmask_b32_e32 v12, v14, v15, vcc
	v_lshlrev_b32_e32 v14, 16, v13
	v_mov_b32_e32 v15, 0x3b800000
	v_lshlrev_b32_e32 v11, 20, v11
	v_and_b32_e32 v14, 0x80000000, v14
	v_lshl_add_u32 v12, v12, 23, v15
	v_or3_b32 v12, v14, v12, v11
.LBB34_112:
	s_or_b64 exec, exec, s[6:7]
	s_nop 0
	v_mfma_f32_16x16x4f32 a[0:3], v10, v12, a[0:3]
	s_movk_i32 s4, 0xff
	v_and_b32_sdwa v11, v17, s4 dst_sel:DWORD dst_unused:UNUSED_PAD src0_sel:WORD_1 src1_sel:DWORD
	s_movk_i32 s4, 0x7f
	v_cmp_lt_i16_e32 vcc, s4, v11
	s_mov_b64 s[4:5], 0
                                        ; implicit-def: $sgpr10
	s_and_saveexec_b64 s[6:7], vcc
	s_xor_b64 s[6:7], exec, s[6:7]
	s_cbranch_execnz .LBB34_2161
; %bb.113:
	s_or_saveexec_b64 s[6:7], s[6:7]
	v_mov_b32_e32 v10, s10
	s_xor_b64 exec, exec, s[6:7]
	s_cbranch_execnz .LBB34_2164
.LBB34_114:
	s_or_b64 exec, exec, s[6:7]
	s_and_saveexec_b64 s[6:7], s[4:5]
	s_cbranch_execz .LBB34_116
.LBB34_115:
	v_bfe_u32 v10, v17, 16, 3
	v_ffbh_u32_e32 v14, v10
	v_min_u32_e32 v14, 32, v14
	v_lshrrev_b32_e32 v11, 19, v17
	v_subrev_u32_e32 v15, 28, v14
	v_and_b32_e32 v11, 15, v11
	v_lshlrev_b32_sdwa v15, v15, v17 dst_sel:DWORD dst_unused:UNUSED_PAD src0_sel:DWORD src1_sel:WORD_1
	v_bfe_u32 v12, v17, 19, 4
	v_sub_u32_e32 v14, 29, v14
	v_and_b32_e32 v15, 7, v15
	v_cmp_eq_u16_e32 vcc, 0, v11
	v_cndmask_b32_e32 v10, v10, v15, vcc
	v_cndmask_b32_e32 v11, v12, v14, vcc
	v_lshlrev_b32_e32 v12, 8, v17
	v_mov_b32_e32 v14, 0x3b800000
	v_lshlrev_b32_e32 v10, 20, v10
	v_and_b32_e32 v12, 0x80000000, v12
	v_lshl_add_u32 v11, v11, 23, v14
	v_or3_b32 v10, v12, v11, v10
.LBB34_116:
	s_or_b64 exec, exec, s[6:7]
	s_movk_i32 s4, 0xff
	v_and_b32_sdwa v11, v13, s4 dst_sel:DWORD dst_unused:UNUSED_PAD src0_sel:WORD_1 src1_sel:DWORD
	s_movk_i32 s4, 0x7f
	v_cmp_lt_i16_e32 vcc, s4, v11
	s_mov_b64 s[4:5], 0
                                        ; implicit-def: $sgpr10
	s_and_saveexec_b64 s[6:7], vcc
	s_xor_b64 s[6:7], exec, s[6:7]
	s_cbranch_execnz .LBB34_2165
; %bb.117:
	s_or_saveexec_b64 s[6:7], s[6:7]
	v_mov_b32_e32 v12, s10
	s_xor_b64 exec, exec, s[6:7]
	s_cbranch_execnz .LBB34_2168
.LBB34_118:
	s_or_b64 exec, exec, s[6:7]
	s_and_saveexec_b64 s[6:7], s[4:5]
	s_cbranch_execz .LBB34_120
.LBB34_119:
	v_bfe_u32 v11, v13, 16, 3
	v_ffbh_u32_e32 v15, v11
	v_min_u32_e32 v15, 32, v15
	v_lshrrev_b32_e32 v12, 19, v13
	v_subrev_u32_e32 v16, 28, v15
	v_and_b32_e32 v12, 15, v12
	v_lshlrev_b32_sdwa v16, v16, v13 dst_sel:DWORD dst_unused:UNUSED_PAD src0_sel:DWORD src1_sel:WORD_1
	v_bfe_u32 v14, v13, 19, 4
	v_sub_u32_e32 v15, 29, v15
	v_and_b32_e32 v16, 7, v16
	v_cmp_eq_u16_e32 vcc, 0, v12
	v_cndmask_b32_e32 v11, v11, v16, vcc
	v_cndmask_b32_e32 v12, v14, v15, vcc
	v_lshlrev_b32_e32 v14, 8, v13
	v_mov_b32_e32 v15, 0x3b800000
	v_lshlrev_b32_e32 v11, 20, v11
	v_and_b32_e32 v14, 0x80000000, v14
	v_lshl_add_u32 v12, v12, 23, v15
	v_or3_b32 v12, v14, v12, v11
.LBB34_120:
	s_or_b64 exec, exec, s[6:7]
	s_nop 0
	v_mfma_f32_16x16x4f32 a[0:3], v10, v12, a[0:3]
	s_movk_i32 s4, 0x7f
	v_cmp_gt_i16_sdwa s[6:7], v17, s4 src0_sel:BYTE_3 src1_sel:DWORD
	s_mov_b64 s[4:5], 0
                                        ; implicit-def: $sgpr10
	s_and_saveexec_b64 s[8:9], s[6:7]
	s_xor_b64 s[6:7], exec, s[8:9]
	s_cbranch_execnz .LBB34_2169
; %bb.121:
	s_or_saveexec_b64 s[6:7], s[6:7]
	v_mov_b32_e32 v10, s10
	s_xor_b64 exec, exec, s[6:7]
	s_cbranch_execnz .LBB34_2172
.LBB34_122:
	s_or_b64 exec, exec, s[6:7]
	s_and_saveexec_b64 s[6:7], s[4:5]
	s_cbranch_execz .LBB34_124
.LBB34_123:
	v_bfe_u32 v10, v17, 24, 3
	v_ffbh_u32_e32 v15, v10
	v_min_u32_e32 v15, 32, v15
	v_lshrrev_b32_e32 v12, 27, v17
	v_subrev_u32_e32 v16, 28, v15
	v_and_b32_e32 v12, 15, v12
	v_lshlrev_b32_sdwa v16, v16, v17 dst_sel:DWORD dst_unused:UNUSED_PAD src0_sel:DWORD src1_sel:BYTE_3
	v_bfe_u32 v14, v17, 27, 4
	v_sub_u32_e32 v15, 29, v15
	v_and_b32_e32 v16, 7, v16
	v_cmp_eq_u16_e32 vcc, 0, v12
	v_cndmask_b32_e32 v10, v10, v16, vcc
	v_cndmask_b32_e32 v12, v14, v15, vcc
	v_mov_b32_e32 v14, 0x3b800000
	v_and_b32_e32 v11, 0x80000000, v17
	v_lshlrev_b32_e32 v10, 20, v10
	v_lshl_add_u32 v12, v12, 23, v14
	v_or3_b32 v10, v11, v12, v10
.LBB34_124:
	s_or_b64 exec, exec, s[6:7]
	s_movk_i32 s4, 0x7f
	v_cmp_gt_i16_sdwa s[6:7], v13, s4 src0_sel:BYTE_3 src1_sel:DWORD
	s_mov_b64 s[4:5], 0
                                        ; implicit-def: $sgpr10
	s_and_saveexec_b64 s[8:9], s[6:7]
	s_xor_b64 s[6:7], exec, s[8:9]
	s_cbranch_execnz .LBB34_2173
; %bb.125:
	s_or_saveexec_b64 s[6:7], s[6:7]
	v_mov_b32_e32 v11, s10
	s_xor_b64 exec, exec, s[6:7]
	s_cbranch_execnz .LBB34_2176
.LBB34_126:
	s_or_b64 exec, exec, s[6:7]
	s_and_saveexec_b64 s[6:7], s[4:5]
	s_cbranch_execz .LBB34_128
.LBB34_127:
	v_bfe_u32 v11, v13, 24, 3
	v_ffbh_u32_e32 v16, v11
	v_min_u32_e32 v16, 32, v16
	v_lshrrev_b32_e32 v14, 27, v13
	v_subrev_u32_e32 v17, 28, v16
	v_and_b32_e32 v12, 0x80000000, v13
	v_and_b32_e32 v14, 15, v14
	v_bfe_u32 v15, v13, 27, 4
	v_lshlrev_b32_sdwa v13, v17, v13 dst_sel:DWORD dst_unused:UNUSED_PAD src0_sel:DWORD src1_sel:BYTE_3
	v_sub_u32_e32 v16, 29, v16
	v_and_b32_e32 v13, 7, v13
	v_cmp_eq_u16_e32 vcc, 0, v14
	v_cndmask_b32_e32 v11, v11, v13, vcc
	v_cndmask_b32_e32 v13, v15, v16, vcc
	v_mov_b32_e32 v14, 0x3b800000
	v_lshlrev_b32_e32 v11, 20, v11
	v_lshl_add_u32 v13, v13, 23, v14
	v_or3_b32 v11, v12, v13, v11
.LBB34_128:
	s_or_b64 exec, exec, s[6:7]
	s_nop 0
	v_mfma_f32_16x16x4f32 a[0:3], v10, v11, a[0:3]
	s_movk_i32 s4, 0x7f
	v_cmp_gt_i16_sdwa s[6:7], v6, s4 src0_sel:BYTE_0 src1_sel:DWORD
	s_mov_b64 s[4:5], 0
                                        ; implicit-def: $sgpr10
	s_and_saveexec_b64 s[8:9], s[6:7]
	s_xor_b64 s[6:7], exec, s[8:9]
	s_cbranch_execnz .LBB34_2177
; %bb.129:
	s_or_saveexec_b64 s[6:7], s[6:7]
	v_mov_b32_e32 v10, s10
	s_xor_b64 exec, exec, s[6:7]
	s_cbranch_execnz .LBB34_2180
.LBB34_130:
	s_or_b64 exec, exec, s[6:7]
	s_and_saveexec_b64 s[6:7], s[4:5]
	s_cbranch_execz .LBB34_132
.LBB34_131:
	v_and_b32_e32 v10, 7, v6
	v_ffbh_u32_e32 v12, v10
	v_min_u32_e32 v12, 32, v12
	v_lshrrev_b16_e32 v11, 3, v6
	v_subrev_u32_e32 v13, 28, v12
	v_and_b32_e32 v11, 15, v11
	v_lshlrev_b32_e32 v13, v13, v6
	v_sub_u32_e32 v12, 29, v12
	v_and_b32_e32 v13, 7, v13
	v_cmp_eq_u16_e32 vcc, 0, v11
	v_cndmask_b32_e32 v10, v10, v13, vcc
	v_cndmask_b32_e32 v11, v11, v12, vcc
	v_lshlrev_b32_e32 v12, 24, v6
	v_mov_b32_e32 v13, 0x3b800000
	v_lshlrev_b32_e32 v10, 20, v10
	v_and_b32_e32 v12, 0x80000000, v12
	v_lshl_add_u32 v11, v11, 23, v13
	v_or3_b32 v10, v12, v11, v10
.LBB34_132:
	s_or_b64 exec, exec, s[6:7]
	s_movk_i32 s4, 0x7f
	v_cmp_gt_i16_sdwa s[6:7], v2, s4 src0_sel:BYTE_0 src1_sel:DWORD
	s_mov_b64 s[4:5], 0
                                        ; implicit-def: $sgpr10
	s_and_saveexec_b64 s[8:9], s[6:7]
	s_xor_b64 s[6:7], exec, s[8:9]
	s_cbranch_execnz .LBB34_2181
; %bb.133:
	s_or_saveexec_b64 s[6:7], s[6:7]
	v_mov_b32_e32 v11, s10
	s_xor_b64 exec, exec, s[6:7]
	s_cbranch_execnz .LBB34_2184
.LBB34_134:
	s_or_b64 exec, exec, s[6:7]
	s_and_saveexec_b64 s[6:7], s[4:5]
	s_cbranch_execz .LBB34_136
.LBB34_135:
	v_and_b32_e32 v11, 7, v2
	v_ffbh_u32_e32 v13, v11
	v_min_u32_e32 v13, 32, v13
	v_lshrrev_b16_e32 v12, 3, v2
	v_subrev_u32_e32 v14, 28, v13
	v_and_b32_e32 v12, 15, v12
	v_lshlrev_b32_e32 v14, v14, v2
	v_sub_u32_e32 v13, 29, v13
	v_and_b32_e32 v14, 7, v14
	v_cmp_eq_u16_e32 vcc, 0, v12
	v_cndmask_b32_e32 v11, v11, v14, vcc
	v_cndmask_b32_e32 v12, v12, v13, vcc
	v_lshlrev_b32_e32 v13, 24, v2
	v_mov_b32_e32 v14, 0x3b800000
	v_lshlrev_b32_e32 v11, 20, v11
	v_and_b32_e32 v13, 0x80000000, v13
	v_lshl_add_u32 v12, v12, 23, v14
	v_or3_b32 v11, v13, v12, v11
.LBB34_136:
	s_or_b64 exec, exec, s[6:7]
	s_nop 0
	v_mfma_f32_16x16x4f32 a[0:3], v10, v11, a[0:3]
	v_lshrrev_b32_e32 v11, 8, v6
	s_movk_i32 s4, 0x7f
	v_cmp_gt_i16_sdwa s[6:7], v11, s4 src0_sel:BYTE_0 src1_sel:DWORD
	s_mov_b64 s[4:5], 0
                                        ; implicit-def: $sgpr10
	s_and_saveexec_b64 s[8:9], s[6:7]
	s_xor_b64 s[6:7], exec, s[8:9]
	s_cbranch_execnz .LBB34_2185
; %bb.137:
	s_or_saveexec_b64 s[6:7], s[6:7]
	v_mov_b32_e32 v10, s10
	s_xor_b64 exec, exec, s[6:7]
	s_cbranch_execnz .LBB34_2188
.LBB34_138:
	s_or_b64 exec, exec, s[6:7]
	s_and_saveexec_b64 s[6:7], s[4:5]
	s_cbranch_execz .LBB34_140
.LBB34_139:
	v_bfe_u32 v10, v6, 8, 3
	v_ffbh_u32_e32 v13, v10
	v_min_u32_e32 v13, 32, v13
	v_lshrrev_b16_e32 v12, 3, v11
	v_subrev_u32_e32 v14, 28, v13
	v_and_b32_e32 v12, 15, v12
	v_lshlrev_b32_e32 v11, v14, v11
	v_sub_u32_e32 v13, 29, v13
	v_and_b32_e32 v11, 7, v11
	v_cmp_eq_u16_e32 vcc, 0, v12
	v_cndmask_b32_e32 v10, v10, v11, vcc
	v_cndmask_b32_e32 v11, v12, v13, vcc
	v_lshlrev_b32_e32 v12, 16, v6
	v_mov_b32_e32 v13, 0x3b800000
	v_lshlrev_b32_e32 v10, 20, v10
	v_and_b32_e32 v12, 0x80000000, v12
	v_lshl_add_u32 v11, v11, 23, v13
	v_or3_b32 v10, v12, v11, v10
.LBB34_140:
	s_or_b64 exec, exec, s[6:7]
	v_lshrrev_b32_e32 v11, 8, v2
	s_movk_i32 s4, 0x7f
	v_cmp_gt_i16_sdwa s[6:7], v11, s4 src0_sel:BYTE_0 src1_sel:DWORD
	s_mov_b64 s[4:5], 0
                                        ; implicit-def: $sgpr10
	s_and_saveexec_b64 s[8:9], s[6:7]
	s_xor_b64 s[6:7], exec, s[8:9]
	s_cbranch_execnz .LBB34_2189
; %bb.141:
	s_or_saveexec_b64 s[6:7], s[6:7]
	v_mov_b32_e32 v12, s10
	s_xor_b64 exec, exec, s[6:7]
	s_cbranch_execnz .LBB34_2192
.LBB34_142:
	s_or_b64 exec, exec, s[6:7]
	s_and_saveexec_b64 s[6:7], s[4:5]
	s_cbranch_execz .LBB34_144
.LBB34_143:
	v_bfe_u32 v12, v2, 8, 3
	v_ffbh_u32_e32 v14, v12
	v_min_u32_e32 v14, 32, v14
	v_lshrrev_b16_e32 v13, 3, v11
	v_subrev_u32_e32 v15, 28, v14
	v_and_b32_e32 v13, 15, v13
	v_lshlrev_b32_e32 v11, v15, v11
	v_sub_u32_e32 v14, 29, v14
	v_and_b32_e32 v11, 7, v11
	v_cmp_eq_u16_e32 vcc, 0, v13
	v_cndmask_b32_e32 v11, v12, v11, vcc
	v_cndmask_b32_e32 v12, v13, v14, vcc
	v_lshlrev_b32_e32 v13, 16, v2
	v_mov_b32_e32 v14, 0x3b800000
	v_lshlrev_b32_e32 v11, 20, v11
	v_and_b32_e32 v13, 0x80000000, v13
	v_lshl_add_u32 v12, v12, 23, v14
	v_or3_b32 v12, v13, v12, v11
.LBB34_144:
	s_or_b64 exec, exec, s[6:7]
	s_nop 0
	v_mfma_f32_16x16x4f32 a[0:3], v10, v12, a[0:3]
	s_movk_i32 s4, 0xff
	v_and_b32_sdwa v11, v6, s4 dst_sel:DWORD dst_unused:UNUSED_PAD src0_sel:WORD_1 src1_sel:DWORD
	s_movk_i32 s4, 0x7f
	v_cmp_lt_i16_e32 vcc, s4, v11
	s_mov_b64 s[4:5], 0
                                        ; implicit-def: $sgpr10
	s_and_saveexec_b64 s[6:7], vcc
	s_xor_b64 s[6:7], exec, s[6:7]
	s_cbranch_execnz .LBB34_2193
; %bb.145:
	s_or_saveexec_b64 s[6:7], s[6:7]
	v_mov_b32_e32 v10, s10
	s_xor_b64 exec, exec, s[6:7]
	s_cbranch_execnz .LBB34_2196
.LBB34_146:
	s_or_b64 exec, exec, s[6:7]
	s_and_saveexec_b64 s[6:7], s[4:5]
	s_cbranch_execz .LBB34_148
.LBB34_147:
	v_bfe_u32 v10, v6, 16, 3
	v_ffbh_u32_e32 v13, v10
	v_min_u32_e32 v13, 32, v13
	v_lshrrev_b32_e32 v11, 19, v6
	v_subrev_u32_e32 v14, 28, v13
	v_and_b32_e32 v11, 15, v11
	v_lshlrev_b32_sdwa v14, v14, v6 dst_sel:DWORD dst_unused:UNUSED_PAD src0_sel:DWORD src1_sel:WORD_1
	v_bfe_u32 v12, v6, 19, 4
	v_sub_u32_e32 v13, 29, v13
	v_and_b32_e32 v14, 7, v14
	v_cmp_eq_u16_e32 vcc, 0, v11
	v_cndmask_b32_e32 v10, v10, v14, vcc
	v_cndmask_b32_e32 v11, v12, v13, vcc
	v_lshlrev_b32_e32 v12, 8, v6
	v_mov_b32_e32 v13, 0x3b800000
	v_lshlrev_b32_e32 v10, 20, v10
	v_and_b32_e32 v12, 0x80000000, v12
	v_lshl_add_u32 v11, v11, 23, v13
	v_or3_b32 v10, v12, v11, v10
.LBB34_148:
	s_or_b64 exec, exec, s[6:7]
	s_movk_i32 s4, 0xff
	v_and_b32_sdwa v11, v2, s4 dst_sel:DWORD dst_unused:UNUSED_PAD src0_sel:WORD_1 src1_sel:DWORD
	s_movk_i32 s4, 0x7f
	v_cmp_lt_i16_e32 vcc, s4, v11
	s_mov_b64 s[4:5], 0
                                        ; implicit-def: $sgpr10
	s_and_saveexec_b64 s[6:7], vcc
	s_xor_b64 s[6:7], exec, s[6:7]
	s_cbranch_execnz .LBB34_2197
; %bb.149:
	s_or_saveexec_b64 s[6:7], s[6:7]
	v_mov_b32_e32 v12, s10
	s_xor_b64 exec, exec, s[6:7]
	s_cbranch_execnz .LBB34_2200
.LBB34_150:
	s_or_b64 exec, exec, s[6:7]
	s_and_saveexec_b64 s[6:7], s[4:5]
	s_cbranch_execz .LBB34_152
.LBB34_151:
	v_bfe_u32 v11, v2, 16, 3
	v_ffbh_u32_e32 v14, v11
	v_min_u32_e32 v14, 32, v14
	v_lshrrev_b32_e32 v12, 19, v2
	v_subrev_u32_e32 v15, 28, v14
	v_and_b32_e32 v12, 15, v12
	v_lshlrev_b32_sdwa v15, v15, v2 dst_sel:DWORD dst_unused:UNUSED_PAD src0_sel:DWORD src1_sel:WORD_1
	v_bfe_u32 v13, v2, 19, 4
	v_sub_u32_e32 v14, 29, v14
	v_and_b32_e32 v15, 7, v15
	v_cmp_eq_u16_e32 vcc, 0, v12
	v_cndmask_b32_e32 v11, v11, v15, vcc
	v_cndmask_b32_e32 v12, v13, v14, vcc
	v_lshlrev_b32_e32 v13, 8, v2
	v_mov_b32_e32 v14, 0x3b800000
	v_lshlrev_b32_e32 v11, 20, v11
	v_and_b32_e32 v13, 0x80000000, v13
	v_lshl_add_u32 v12, v12, 23, v14
	v_or3_b32 v12, v13, v12, v11
.LBB34_152:
	s_or_b64 exec, exec, s[6:7]
	s_nop 0
	v_mfma_f32_16x16x4f32 a[0:3], v10, v12, a[0:3]
	s_movk_i32 s4, 0x7f
	v_cmp_gt_i16_sdwa s[6:7], v6, s4 src0_sel:BYTE_3 src1_sel:DWORD
	s_mov_b64 s[4:5], 0
                                        ; implicit-def: $sgpr10
	s_and_saveexec_b64 s[8:9], s[6:7]
	s_xor_b64 s[6:7], exec, s[8:9]
	s_cbranch_execnz .LBB34_2201
; %bb.153:
	s_or_saveexec_b64 s[6:7], s[6:7]
	v_mov_b32_e32 v10, s10
	s_xor_b64 exec, exec, s[6:7]
	s_cbranch_execnz .LBB34_2204
.LBB34_154:
	s_or_b64 exec, exec, s[6:7]
	s_and_saveexec_b64 s[6:7], s[4:5]
	s_cbranch_execz .LBB34_156
.LBB34_155:
	v_bfe_u32 v10, v6, 24, 3
	v_ffbh_u32_e32 v14, v10
	v_min_u32_e32 v14, 32, v14
	v_lshrrev_b32_e32 v12, 27, v6
	v_subrev_u32_e32 v15, 28, v14
	v_and_b32_e32 v11, 0x80000000, v6
	v_and_b32_e32 v12, 15, v12
	v_bfe_u32 v13, v6, 27, 4
	v_lshlrev_b32_sdwa v6, v15, v6 dst_sel:DWORD dst_unused:UNUSED_PAD src0_sel:DWORD src1_sel:BYTE_3
	v_sub_u32_e32 v14, 29, v14
	v_and_b32_e32 v6, 7, v6
	v_cmp_eq_u16_e32 vcc, 0, v12
	v_cndmask_b32_e32 v6, v10, v6, vcc
	v_cndmask_b32_e32 v10, v13, v14, vcc
	v_mov_b32_e32 v12, 0x3b800000
	v_lshlrev_b32_e32 v6, 20, v6
	v_lshl_add_u32 v10, v10, 23, v12
	v_or3_b32 v10, v11, v10, v6
.LBB34_156:
	s_or_b64 exec, exec, s[6:7]
	s_movk_i32 s4, 0x7f
	v_cmp_gt_i16_sdwa s[6:7], v2, s4 src0_sel:BYTE_3 src1_sel:DWORD
	s_mov_b64 s[4:5], 0
                                        ; implicit-def: $sgpr10
	s_and_saveexec_b64 s[8:9], s[6:7]
	s_xor_b64 s[6:7], exec, s[8:9]
	s_cbranch_execnz .LBB34_2205
; %bb.157:
	s_or_saveexec_b64 s[6:7], s[6:7]
	v_mov_b32_e32 v6, s10
	s_xor_b64 exec, exec, s[6:7]
	s_cbranch_execnz .LBB34_2208
.LBB34_158:
	s_or_b64 exec, exec, s[6:7]
	s_and_saveexec_b64 s[6:7], s[4:5]
	s_cbranch_execz .LBB34_160
.LBB34_159:
	v_bfe_u32 v6, v2, 24, 3
	v_ffbh_u32_e32 v14, v6
	v_min_u32_e32 v14, 32, v14
	v_lshrrev_b32_e32 v12, 27, v2
	v_subrev_u32_e32 v15, 28, v14
	v_and_b32_e32 v11, 0x80000000, v2
	v_and_b32_e32 v12, 15, v12
	v_bfe_u32 v13, v2, 27, 4
	v_lshlrev_b32_sdwa v2, v15, v2 dst_sel:DWORD dst_unused:UNUSED_PAD src0_sel:DWORD src1_sel:BYTE_3
	v_sub_u32_e32 v14, 29, v14
	v_and_b32_e32 v2, 7, v2
	v_cmp_eq_u16_e32 vcc, 0, v12
	v_cndmask_b32_e32 v2, v6, v2, vcc
	v_cndmask_b32_e32 v6, v13, v14, vcc
	v_mov_b32_e32 v12, 0x3b800000
	v_lshlrev_b32_e32 v2, 20, v2
	v_lshl_add_u32 v6, v6, 23, v12
	v_or3_b32 v6, v11, v6, v2
.LBB34_160:
	s_or_b64 exec, exec, s[6:7]
	s_nop 0
	v_mfma_f32_16x16x4f32 a[0:3], v10, v6, a[0:3]
	s_movk_i32 s4, 0x7f
	v_cmp_gt_i16_sdwa s[6:7], v7, s4 src0_sel:BYTE_0 src1_sel:DWORD
	s_mov_b64 s[4:5], 0
                                        ; implicit-def: $sgpr10
	s_and_saveexec_b64 s[8:9], s[6:7]
	s_xor_b64 s[6:7], exec, s[8:9]
	s_cbranch_execnz .LBB34_2209
; %bb.161:
	s_or_saveexec_b64 s[6:7], s[6:7]
	v_mov_b32_e32 v2, s10
	s_xor_b64 exec, exec, s[6:7]
	s_cbranch_execnz .LBB34_2212
.LBB34_162:
	s_or_b64 exec, exec, s[6:7]
	s_and_saveexec_b64 s[6:7], s[4:5]
	s_cbranch_execz .LBB34_164
.LBB34_163:
	v_and_b32_e32 v2, 7, v7
	v_ffbh_u32_e32 v10, v2
	v_min_u32_e32 v10, 32, v10
	v_lshrrev_b16_e32 v6, 3, v7
	v_subrev_u32_e32 v11, 28, v10
	v_and_b32_e32 v6, 15, v6
	v_lshlrev_b32_e32 v11, v11, v7
	v_sub_u32_e32 v10, 29, v10
	v_and_b32_e32 v11, 7, v11
	v_cmp_eq_u16_e32 vcc, 0, v6
	v_cndmask_b32_e32 v2, v2, v11, vcc
	v_cndmask_b32_e32 v6, v6, v10, vcc
	v_lshlrev_b32_e32 v10, 24, v7
	v_mov_b32_e32 v11, 0x3b800000
	v_lshlrev_b32_e32 v2, 20, v2
	v_and_b32_e32 v10, 0x80000000, v10
	v_lshl_add_u32 v6, v6, 23, v11
	v_or3_b32 v2, v10, v6, v2
.LBB34_164:
	s_or_b64 exec, exec, s[6:7]
	s_movk_i32 s4, 0x7f
	v_cmp_gt_i16_sdwa s[6:7], v3, s4 src0_sel:BYTE_0 src1_sel:DWORD
	s_mov_b64 s[4:5], 0
                                        ; implicit-def: $sgpr10
	s_and_saveexec_b64 s[8:9], s[6:7]
	s_xor_b64 s[6:7], exec, s[8:9]
	s_cbranch_execnz .LBB34_2213
; %bb.165:
	s_or_saveexec_b64 s[6:7], s[6:7]
	v_mov_b32_e32 v6, s10
	s_xor_b64 exec, exec, s[6:7]
	s_cbranch_execnz .LBB34_2216
.LBB34_166:
	s_or_b64 exec, exec, s[6:7]
	s_and_saveexec_b64 s[6:7], s[4:5]
	s_cbranch_execz .LBB34_168
.LBB34_167:
	v_and_b32_e32 v6, 7, v3
	v_ffbh_u32_e32 v11, v6
	v_min_u32_e32 v11, 32, v11
	v_lshrrev_b16_e32 v10, 3, v3
	v_subrev_u32_e32 v12, 28, v11
	v_and_b32_e32 v10, 15, v10
	v_lshlrev_b32_e32 v12, v12, v3
	v_sub_u32_e32 v11, 29, v11
	v_and_b32_e32 v12, 7, v12
	v_cmp_eq_u16_e32 vcc, 0, v10
	v_cndmask_b32_e32 v6, v6, v12, vcc
	v_cndmask_b32_e32 v10, v10, v11, vcc
	v_lshlrev_b32_e32 v11, 24, v3
	v_mov_b32_e32 v12, 0x3b800000
	v_lshlrev_b32_e32 v6, 20, v6
	v_and_b32_e32 v11, 0x80000000, v11
	v_lshl_add_u32 v10, v10, 23, v12
	v_or3_b32 v6, v11, v10, v6
.LBB34_168:
	s_or_b64 exec, exec, s[6:7]
	s_nop 0
	v_mfma_f32_16x16x4f32 a[0:3], v2, v6, a[0:3]
	v_lshrrev_b32_e32 v6, 8, v7
	s_movk_i32 s4, 0x7f
	v_cmp_gt_i16_sdwa s[6:7], v6, s4 src0_sel:BYTE_0 src1_sel:DWORD
	s_mov_b64 s[4:5], 0
                                        ; implicit-def: $sgpr10
	s_and_saveexec_b64 s[8:9], s[6:7]
	s_xor_b64 s[6:7], exec, s[8:9]
	s_cbranch_execnz .LBB34_2217
; %bb.169:
	s_or_saveexec_b64 s[6:7], s[6:7]
	v_mov_b32_e32 v2, s10
	s_xor_b64 exec, exec, s[6:7]
	s_cbranch_execnz .LBB34_2220
.LBB34_170:
	s_or_b64 exec, exec, s[6:7]
	s_and_saveexec_b64 s[6:7], s[4:5]
	s_cbranch_execz .LBB34_172
.LBB34_171:
	v_bfe_u32 v2, v7, 8, 3
	v_ffbh_u32_e32 v11, v2
	v_min_u32_e32 v11, 32, v11
	v_lshrrev_b16_e32 v10, 3, v6
	v_subrev_u32_e32 v12, 28, v11
	v_and_b32_e32 v10, 15, v10
	v_lshlrev_b32_e32 v6, v12, v6
	v_sub_u32_e32 v11, 29, v11
	v_and_b32_e32 v6, 7, v6
	v_cmp_eq_u16_e32 vcc, 0, v10
	v_cndmask_b32_e32 v2, v2, v6, vcc
	v_cndmask_b32_e32 v6, v10, v11, vcc
	v_lshlrev_b32_e32 v10, 16, v7
	v_mov_b32_e32 v11, 0x3b800000
	v_lshlrev_b32_e32 v2, 20, v2
	v_and_b32_e32 v10, 0x80000000, v10
	v_lshl_add_u32 v6, v6, 23, v11
	v_or3_b32 v2, v10, v6, v2
.LBB34_172:
	s_or_b64 exec, exec, s[6:7]
	v_lshrrev_b32_e32 v6, 8, v3
	s_movk_i32 s4, 0x7f
	v_cmp_gt_i16_sdwa s[6:7], v6, s4 src0_sel:BYTE_0 src1_sel:DWORD
	s_mov_b64 s[4:5], 0
                                        ; implicit-def: $sgpr10
	s_and_saveexec_b64 s[8:9], s[6:7]
	s_xor_b64 s[6:7], exec, s[8:9]
	s_cbranch_execnz .LBB34_2221
; %bb.173:
	s_or_saveexec_b64 s[6:7], s[6:7]
	v_mov_b32_e32 v10, s10
	s_xor_b64 exec, exec, s[6:7]
	s_cbranch_execnz .LBB34_2224
.LBB34_174:
	s_or_b64 exec, exec, s[6:7]
	s_and_saveexec_b64 s[6:7], s[4:5]
	s_cbranch_execz .LBB34_176
.LBB34_175:
	v_bfe_u32 v10, v3, 8, 3
	v_ffbh_u32_e32 v12, v10
	v_min_u32_e32 v12, 32, v12
	v_lshrrev_b16_e32 v11, 3, v6
	v_subrev_u32_e32 v13, 28, v12
	v_and_b32_e32 v11, 15, v11
	v_lshlrev_b32_e32 v6, v13, v6
	v_sub_u32_e32 v12, 29, v12
	v_and_b32_e32 v6, 7, v6
	v_cmp_eq_u16_e32 vcc, 0, v11
	v_cndmask_b32_e32 v6, v10, v6, vcc
	v_cndmask_b32_e32 v10, v11, v12, vcc
	v_lshlrev_b32_e32 v11, 16, v3
	v_mov_b32_e32 v12, 0x3b800000
	v_lshlrev_b32_e32 v6, 20, v6
	v_and_b32_e32 v11, 0x80000000, v11
	v_lshl_add_u32 v10, v10, 23, v12
	v_or3_b32 v10, v11, v10, v6
.LBB34_176:
	s_or_b64 exec, exec, s[6:7]
	s_nop 0
	v_mfma_f32_16x16x4f32 a[0:3], v2, v10, a[0:3]
	s_movk_i32 s4, 0xff
	v_and_b32_sdwa v6, v7, s4 dst_sel:DWORD dst_unused:UNUSED_PAD src0_sel:WORD_1 src1_sel:DWORD
	s_movk_i32 s4, 0x7f
	v_cmp_lt_i16_e32 vcc, s4, v6
	s_mov_b64 s[4:5], 0
                                        ; implicit-def: $sgpr10
	s_and_saveexec_b64 s[6:7], vcc
	s_xor_b64 s[6:7], exec, s[6:7]
	s_cbranch_execnz .LBB34_2225
; %bb.177:
	s_or_saveexec_b64 s[6:7], s[6:7]
	v_mov_b32_e32 v2, s10
	s_xor_b64 exec, exec, s[6:7]
	s_cbranch_execnz .LBB34_2228
.LBB34_178:
	s_or_b64 exec, exec, s[6:7]
	s_and_saveexec_b64 s[6:7], s[4:5]
	s_cbranch_execz .LBB34_180
.LBB34_179:
	v_bfe_u32 v2, v7, 16, 3
	v_ffbh_u32_e32 v11, v2
	v_min_u32_e32 v11, 32, v11
	v_lshrrev_b32_e32 v6, 19, v7
	v_subrev_u32_e32 v12, 28, v11
	v_and_b32_e32 v6, 15, v6
	v_lshlrev_b32_sdwa v12, v12, v7 dst_sel:DWORD dst_unused:UNUSED_PAD src0_sel:DWORD src1_sel:WORD_1
	v_bfe_u32 v10, v7, 19, 4
	v_sub_u32_e32 v11, 29, v11
	v_and_b32_e32 v12, 7, v12
	v_cmp_eq_u16_e32 vcc, 0, v6
	v_cndmask_b32_e32 v2, v2, v12, vcc
	v_cndmask_b32_e32 v6, v10, v11, vcc
	v_lshlrev_b32_e32 v10, 8, v7
	v_mov_b32_e32 v11, 0x3b800000
	v_lshlrev_b32_e32 v2, 20, v2
	v_and_b32_e32 v10, 0x80000000, v10
	v_lshl_add_u32 v6, v6, 23, v11
	v_or3_b32 v2, v10, v6, v2
.LBB34_180:
	s_or_b64 exec, exec, s[6:7]
	s_movk_i32 s4, 0xff
	v_and_b32_sdwa v6, v3, s4 dst_sel:DWORD dst_unused:UNUSED_PAD src0_sel:WORD_1 src1_sel:DWORD
	s_movk_i32 s4, 0x7f
	v_cmp_lt_i16_e32 vcc, s4, v6
	s_mov_b64 s[4:5], 0
                                        ; implicit-def: $sgpr10
	s_and_saveexec_b64 s[6:7], vcc
	s_xor_b64 s[6:7], exec, s[6:7]
	s_cbranch_execnz .LBB34_2229
; %bb.181:
	s_or_saveexec_b64 s[6:7], s[6:7]
	v_mov_b32_e32 v10, s10
	s_xor_b64 exec, exec, s[6:7]
	s_cbranch_execnz .LBB34_2232
.LBB34_182:
	s_or_b64 exec, exec, s[6:7]
	s_and_saveexec_b64 s[6:7], s[4:5]
	s_cbranch_execz .LBB34_184
.LBB34_183:
	v_bfe_u32 v6, v3, 16, 3
	v_ffbh_u32_e32 v12, v6
	v_min_u32_e32 v12, 32, v12
	v_lshrrev_b32_e32 v10, 19, v3
	v_subrev_u32_e32 v13, 28, v12
	v_and_b32_e32 v10, 15, v10
	v_lshlrev_b32_sdwa v13, v13, v3 dst_sel:DWORD dst_unused:UNUSED_PAD src0_sel:DWORD src1_sel:WORD_1
	v_bfe_u32 v11, v3, 19, 4
	v_sub_u32_e32 v12, 29, v12
	v_and_b32_e32 v13, 7, v13
	v_cmp_eq_u16_e32 vcc, 0, v10
	v_cndmask_b32_e32 v6, v6, v13, vcc
	v_cndmask_b32_e32 v10, v11, v12, vcc
	v_lshlrev_b32_e32 v11, 8, v3
	v_mov_b32_e32 v12, 0x3b800000
	v_lshlrev_b32_e32 v6, 20, v6
	v_and_b32_e32 v11, 0x80000000, v11
	v_lshl_add_u32 v10, v10, 23, v12
	v_or3_b32 v10, v11, v10, v6
.LBB34_184:
	s_or_b64 exec, exec, s[6:7]
	s_nop 0
	v_mfma_f32_16x16x4f32 a[0:3], v2, v10, a[0:3]
	s_movk_i32 s4, 0x7f
	v_cmp_gt_i16_sdwa s[6:7], v7, s4 src0_sel:BYTE_3 src1_sel:DWORD
	s_mov_b64 s[4:5], 0
                                        ; implicit-def: $sgpr10
	s_and_saveexec_b64 s[8:9], s[6:7]
	s_xor_b64 s[6:7], exec, s[8:9]
	s_cbranch_execnz .LBB34_2233
; %bb.185:
	s_or_saveexec_b64 s[6:7], s[6:7]
	v_mov_b32_e32 v2, s10
	s_xor_b64 exec, exec, s[6:7]
	s_cbranch_execnz .LBB34_2236
.LBB34_186:
	s_or_b64 exec, exec, s[6:7]
	s_and_saveexec_b64 s[6:7], s[4:5]
	s_cbranch_execz .LBB34_188
.LBB34_187:
	v_bfe_u32 v2, v7, 24, 3
	v_ffbh_u32_e32 v12, v2
	v_min_u32_e32 v12, 32, v12
	v_lshrrev_b32_e32 v10, 27, v7
	v_subrev_u32_e32 v13, 28, v12
	v_and_b32_e32 v6, 0x80000000, v7
	v_and_b32_e32 v10, 15, v10
	v_bfe_u32 v11, v7, 27, 4
	v_lshlrev_b32_sdwa v7, v13, v7 dst_sel:DWORD dst_unused:UNUSED_PAD src0_sel:DWORD src1_sel:BYTE_3
	v_sub_u32_e32 v12, 29, v12
	v_and_b32_e32 v7, 7, v7
	v_cmp_eq_u16_e32 vcc, 0, v10
	v_cndmask_b32_e32 v2, v2, v7, vcc
	v_cndmask_b32_e32 v7, v11, v12, vcc
	v_mov_b32_e32 v10, 0x3b800000
	v_lshlrev_b32_e32 v2, 20, v2
	v_lshl_add_u32 v7, v7, 23, v10
	v_or3_b32 v2, v6, v7, v2
.LBB34_188:
	s_or_b64 exec, exec, s[6:7]
	s_movk_i32 s4, 0x7f
	v_cmp_gt_i16_sdwa s[6:7], v3, s4 src0_sel:BYTE_3 src1_sel:DWORD
	s_mov_b64 s[4:5], 0
                                        ; implicit-def: $sgpr10
	s_and_saveexec_b64 s[8:9], s[6:7]
	s_xor_b64 s[6:7], exec, s[8:9]
	s_cbranch_execnz .LBB34_2237
; %bb.189:
	s_or_saveexec_b64 s[6:7], s[6:7]
	v_mov_b32_e32 v6, s10
	s_xor_b64 exec, exec, s[6:7]
	s_cbranch_execnz .LBB34_2240
.LBB34_190:
	s_or_b64 exec, exec, s[6:7]
	s_and_saveexec_b64 s[6:7], s[4:5]
	s_cbranch_execz .LBB34_192
.LBB34_191:
	v_bfe_u32 v6, v3, 24, 3
	v_ffbh_u32_e32 v12, v6
	v_min_u32_e32 v12, 32, v12
	v_lshrrev_b32_e32 v10, 27, v3
	v_subrev_u32_e32 v13, 28, v12
	v_and_b32_e32 v7, 0x80000000, v3
	v_and_b32_e32 v10, 15, v10
	v_bfe_u32 v11, v3, 27, 4
	v_lshlrev_b32_sdwa v3, v13, v3 dst_sel:DWORD dst_unused:UNUSED_PAD src0_sel:DWORD src1_sel:BYTE_3
	v_sub_u32_e32 v12, 29, v12
	v_and_b32_e32 v3, 7, v3
	v_cmp_eq_u16_e32 vcc, 0, v10
	v_cndmask_b32_e32 v3, v6, v3, vcc
	v_cndmask_b32_e32 v6, v11, v12, vcc
	v_mov_b32_e32 v10, 0x3b800000
	v_lshlrev_b32_e32 v3, 20, v3
	v_lshl_add_u32 v6, v6, 23, v10
	v_or3_b32 v6, v7, v6, v3
.LBB34_192:
	s_or_b64 exec, exec, s[6:7]
	s_nop 0
	v_mfma_f32_16x16x4f32 a[0:3], v2, v6, a[0:3]
	s_movk_i32 s4, 0x7f
	v_cmp_gt_i16_sdwa s[6:7], v8, s4 src0_sel:BYTE_0 src1_sel:DWORD
	s_mov_b64 s[4:5], 0
                                        ; implicit-def: $sgpr10
	s_and_saveexec_b64 s[8:9], s[6:7]
	s_xor_b64 s[6:7], exec, s[8:9]
	s_cbranch_execnz .LBB34_2241
; %bb.193:
	s_or_saveexec_b64 s[6:7], s[6:7]
	v_mov_b32_e32 v2, s10
	s_xor_b64 exec, exec, s[6:7]
	s_cbranch_execnz .LBB34_2244
.LBB34_194:
	s_or_b64 exec, exec, s[6:7]
	s_and_saveexec_b64 s[6:7], s[4:5]
	s_cbranch_execz .LBB34_196
.LBB34_195:
	v_and_b32_e32 v2, 7, v8
	v_ffbh_u32_e32 v6, v2
	v_min_u32_e32 v6, 32, v6
	v_lshrrev_b16_e32 v3, 3, v8
	v_subrev_u32_e32 v7, 28, v6
	v_and_b32_e32 v3, 15, v3
	v_lshlrev_b32_e32 v7, v7, v8
	v_sub_u32_e32 v6, 29, v6
	v_and_b32_e32 v7, 7, v7
	v_cmp_eq_u16_e32 vcc, 0, v3
	v_cndmask_b32_e32 v2, v2, v7, vcc
	v_cndmask_b32_e32 v3, v3, v6, vcc
	v_lshlrev_b32_e32 v6, 24, v8
	v_mov_b32_e32 v7, 0x3b800000
	v_lshlrev_b32_e32 v2, 20, v2
	v_and_b32_e32 v6, 0x80000000, v6
	v_lshl_add_u32 v3, v3, 23, v7
	v_or3_b32 v2, v6, v3, v2
.LBB34_196:
	s_or_b64 exec, exec, s[6:7]
	s_movk_i32 s4, 0x7f
	v_cmp_gt_i16_sdwa s[6:7], v4, s4 src0_sel:BYTE_0 src1_sel:DWORD
	s_mov_b64 s[4:5], 0
                                        ; implicit-def: $sgpr10
	s_and_saveexec_b64 s[8:9], s[6:7]
	s_xor_b64 s[6:7], exec, s[8:9]
	s_cbranch_execnz .LBB34_2245
; %bb.197:
	s_or_saveexec_b64 s[6:7], s[6:7]
	v_mov_b32_e32 v3, s10
	s_xor_b64 exec, exec, s[6:7]
	s_cbranch_execnz .LBB34_2248
.LBB34_198:
	s_or_b64 exec, exec, s[6:7]
	s_and_saveexec_b64 s[6:7], s[4:5]
	s_cbranch_execz .LBB34_200
.LBB34_199:
	v_and_b32_e32 v3, 7, v4
	v_ffbh_u32_e32 v7, v3
	v_min_u32_e32 v7, 32, v7
	v_lshrrev_b16_e32 v6, 3, v4
	v_subrev_u32_e32 v10, 28, v7
	v_and_b32_e32 v6, 15, v6
	v_lshlrev_b32_e32 v10, v10, v4
	v_sub_u32_e32 v7, 29, v7
	v_and_b32_e32 v10, 7, v10
	v_cmp_eq_u16_e32 vcc, 0, v6
	v_cndmask_b32_e32 v3, v3, v10, vcc
	v_cndmask_b32_e32 v6, v6, v7, vcc
	v_lshlrev_b32_e32 v7, 24, v4
	v_mov_b32_e32 v10, 0x3b800000
	v_lshlrev_b32_e32 v3, 20, v3
	v_and_b32_e32 v7, 0x80000000, v7
	v_lshl_add_u32 v6, v6, 23, v10
	v_or3_b32 v3, v7, v6, v3
.LBB34_200:
	s_or_b64 exec, exec, s[6:7]
	s_nop 0
	v_mfma_f32_16x16x4f32 a[0:3], v2, v3, a[0:3]
	v_lshrrev_b32_e32 v3, 8, v8
	s_movk_i32 s4, 0x7f
	v_cmp_gt_i16_sdwa s[6:7], v3, s4 src0_sel:BYTE_0 src1_sel:DWORD
	s_mov_b64 s[4:5], 0
                                        ; implicit-def: $sgpr10
	s_and_saveexec_b64 s[8:9], s[6:7]
	s_xor_b64 s[6:7], exec, s[8:9]
	s_cbranch_execnz .LBB34_2249
; %bb.201:
	s_or_saveexec_b64 s[6:7], s[6:7]
	v_mov_b32_e32 v2, s10
	s_xor_b64 exec, exec, s[6:7]
	s_cbranch_execnz .LBB34_2252
.LBB34_202:
	s_or_b64 exec, exec, s[6:7]
	s_and_saveexec_b64 s[6:7], s[4:5]
	s_cbranch_execz .LBB34_204
.LBB34_203:
	v_bfe_u32 v2, v8, 8, 3
	v_ffbh_u32_e32 v7, v2
	v_min_u32_e32 v7, 32, v7
	v_lshrrev_b16_e32 v6, 3, v3
	v_subrev_u32_e32 v10, 28, v7
	v_and_b32_e32 v6, 15, v6
	v_lshlrev_b32_e32 v3, v10, v3
	v_sub_u32_e32 v7, 29, v7
	v_and_b32_e32 v3, 7, v3
	v_cmp_eq_u16_e32 vcc, 0, v6
	v_cndmask_b32_e32 v2, v2, v3, vcc
	v_cndmask_b32_e32 v3, v6, v7, vcc
	v_lshlrev_b32_e32 v6, 16, v8
	v_mov_b32_e32 v7, 0x3b800000
	v_lshlrev_b32_e32 v2, 20, v2
	v_and_b32_e32 v6, 0x80000000, v6
	v_lshl_add_u32 v3, v3, 23, v7
	v_or3_b32 v2, v6, v3, v2
.LBB34_204:
	s_or_b64 exec, exec, s[6:7]
	v_lshrrev_b32_e32 v3, 8, v4
	s_movk_i32 s4, 0x7f
	v_cmp_gt_i16_sdwa s[6:7], v3, s4 src0_sel:BYTE_0 src1_sel:DWORD
	s_mov_b64 s[4:5], 0
                                        ; implicit-def: $sgpr10
	s_and_saveexec_b64 s[8:9], s[6:7]
	s_xor_b64 s[6:7], exec, s[8:9]
	s_cbranch_execnz .LBB34_2253
; %bb.205:
	s_or_saveexec_b64 s[6:7], s[6:7]
	v_mov_b32_e32 v6, s10
	s_xor_b64 exec, exec, s[6:7]
	s_cbranch_execnz .LBB34_2256
.LBB34_206:
	s_or_b64 exec, exec, s[6:7]
	s_and_saveexec_b64 s[6:7], s[4:5]
	s_cbranch_execz .LBB34_208
.LBB34_207:
	v_bfe_u32 v6, v4, 8, 3
	v_ffbh_u32_e32 v10, v6
	v_min_u32_e32 v10, 32, v10
	v_lshrrev_b16_e32 v7, 3, v3
	v_subrev_u32_e32 v11, 28, v10
	v_and_b32_e32 v7, 15, v7
	v_lshlrev_b32_e32 v3, v11, v3
	v_sub_u32_e32 v10, 29, v10
	v_and_b32_e32 v3, 7, v3
	v_cmp_eq_u16_e32 vcc, 0, v7
	v_cndmask_b32_e32 v3, v6, v3, vcc
	v_cndmask_b32_e32 v6, v7, v10, vcc
	v_lshlrev_b32_e32 v7, 16, v4
	v_mov_b32_e32 v10, 0x3b800000
	v_lshlrev_b32_e32 v3, 20, v3
	v_and_b32_e32 v7, 0x80000000, v7
	v_lshl_add_u32 v6, v6, 23, v10
	v_or3_b32 v6, v7, v6, v3
.LBB34_208:
	s_or_b64 exec, exec, s[6:7]
	s_nop 0
	v_mfma_f32_16x16x4f32 a[0:3], v2, v6, a[0:3]
	s_movk_i32 s4, 0xff
	v_and_b32_sdwa v3, v8, s4 dst_sel:DWORD dst_unused:UNUSED_PAD src0_sel:WORD_1 src1_sel:DWORD
	s_movk_i32 s4, 0x7f
	v_cmp_lt_i16_e32 vcc, s4, v3
	s_mov_b64 s[4:5], 0
                                        ; implicit-def: $sgpr10
	s_and_saveexec_b64 s[6:7], vcc
	s_xor_b64 s[6:7], exec, s[6:7]
	s_cbranch_execnz .LBB34_2257
; %bb.209:
	s_or_saveexec_b64 s[6:7], s[6:7]
	v_mov_b32_e32 v2, s10
	s_xor_b64 exec, exec, s[6:7]
	s_cbranch_execnz .LBB34_2260
.LBB34_210:
	s_or_b64 exec, exec, s[6:7]
	s_and_saveexec_b64 s[6:7], s[4:5]
	s_cbranch_execz .LBB34_212
.LBB34_211:
	v_bfe_u32 v2, v8, 16, 3
	v_ffbh_u32_e32 v7, v2
	v_min_u32_e32 v7, 32, v7
	v_lshrrev_b32_e32 v3, 19, v8
	v_subrev_u32_e32 v10, 28, v7
	v_and_b32_e32 v3, 15, v3
	v_lshlrev_b32_sdwa v10, v10, v8 dst_sel:DWORD dst_unused:UNUSED_PAD src0_sel:DWORD src1_sel:WORD_1
	v_bfe_u32 v6, v8, 19, 4
	v_sub_u32_e32 v7, 29, v7
	v_and_b32_e32 v10, 7, v10
	v_cmp_eq_u16_e32 vcc, 0, v3
	v_cndmask_b32_e32 v2, v2, v10, vcc
	v_cndmask_b32_e32 v3, v6, v7, vcc
	v_lshlrev_b32_e32 v6, 8, v8
	v_mov_b32_e32 v7, 0x3b800000
	v_lshlrev_b32_e32 v2, 20, v2
	v_and_b32_e32 v6, 0x80000000, v6
	v_lshl_add_u32 v3, v3, 23, v7
	v_or3_b32 v2, v6, v3, v2
.LBB34_212:
	s_or_b64 exec, exec, s[6:7]
	s_movk_i32 s4, 0xff
	v_and_b32_sdwa v3, v4, s4 dst_sel:DWORD dst_unused:UNUSED_PAD src0_sel:WORD_1 src1_sel:DWORD
	s_movk_i32 s4, 0x7f
	v_cmp_lt_i16_e32 vcc, s4, v3
	s_mov_b64 s[4:5], 0
                                        ; implicit-def: $sgpr10
	s_and_saveexec_b64 s[6:7], vcc
	s_xor_b64 s[6:7], exec, s[6:7]
	s_cbranch_execnz .LBB34_2261
; %bb.213:
	s_or_saveexec_b64 s[6:7], s[6:7]
	v_mov_b32_e32 v6, s10
	s_xor_b64 exec, exec, s[6:7]
	s_cbranch_execnz .LBB34_2264
.LBB34_214:
	s_or_b64 exec, exec, s[6:7]
	s_and_saveexec_b64 s[6:7], s[4:5]
	s_cbranch_execz .LBB34_216
.LBB34_215:
	v_bfe_u32 v3, v4, 16, 3
	v_ffbh_u32_e32 v10, v3
	v_min_u32_e32 v10, 32, v10
	v_lshrrev_b32_e32 v6, 19, v4
	v_subrev_u32_e32 v11, 28, v10
	v_and_b32_e32 v6, 15, v6
	v_lshlrev_b32_sdwa v11, v11, v4 dst_sel:DWORD dst_unused:UNUSED_PAD src0_sel:DWORD src1_sel:WORD_1
	v_bfe_u32 v7, v4, 19, 4
	v_sub_u32_e32 v10, 29, v10
	v_and_b32_e32 v11, 7, v11
	v_cmp_eq_u16_e32 vcc, 0, v6
	v_cndmask_b32_e32 v3, v3, v11, vcc
	v_cndmask_b32_e32 v6, v7, v10, vcc
	v_lshlrev_b32_e32 v7, 8, v4
	v_mov_b32_e32 v10, 0x3b800000
	v_lshlrev_b32_e32 v3, 20, v3
	v_and_b32_e32 v7, 0x80000000, v7
	v_lshl_add_u32 v6, v6, 23, v10
	v_or3_b32 v6, v7, v6, v3
.LBB34_216:
	s_or_b64 exec, exec, s[6:7]
	s_nop 0
	v_mfma_f32_16x16x4f32 a[0:3], v2, v6, a[0:3]
	s_movk_i32 s4, 0x7f
	v_cmp_gt_i16_sdwa s[6:7], v8, s4 src0_sel:BYTE_3 src1_sel:DWORD
	s_mov_b64 s[4:5], 0
                                        ; implicit-def: $sgpr10
	s_and_saveexec_b64 s[8:9], s[6:7]
	s_xor_b64 s[6:7], exec, s[8:9]
	s_cbranch_execnz .LBB34_2265
; %bb.217:
	s_or_saveexec_b64 s[6:7], s[6:7]
	v_mov_b32_e32 v2, s10
	s_xor_b64 exec, exec, s[6:7]
	s_cbranch_execnz .LBB34_2268
.LBB34_218:
	s_or_b64 exec, exec, s[6:7]
	s_and_saveexec_b64 s[6:7], s[4:5]
	s_cbranch_execz .LBB34_220
.LBB34_219:
	v_bfe_u32 v2, v8, 24, 3
	v_ffbh_u32_e32 v10, v2
	v_min_u32_e32 v10, 32, v10
	v_lshrrev_b32_e32 v6, 27, v8
	v_subrev_u32_e32 v11, 28, v10
	v_and_b32_e32 v3, 0x80000000, v8
	v_and_b32_e32 v6, 15, v6
	v_bfe_u32 v7, v8, 27, 4
	v_lshlrev_b32_sdwa v8, v11, v8 dst_sel:DWORD dst_unused:UNUSED_PAD src0_sel:DWORD src1_sel:BYTE_3
	v_sub_u32_e32 v10, 29, v10
	v_and_b32_e32 v8, 7, v8
	v_cmp_eq_u16_e32 vcc, 0, v6
	v_cndmask_b32_e32 v2, v2, v8, vcc
	v_cndmask_b32_e32 v6, v7, v10, vcc
	v_mov_b32_e32 v7, 0x3b800000
	v_lshlrev_b32_e32 v2, 20, v2
	v_lshl_add_u32 v6, v6, 23, v7
	v_or3_b32 v2, v3, v6, v2
.LBB34_220:
	s_or_b64 exec, exec, s[6:7]
	s_movk_i32 s4, 0x7f
	v_cmp_gt_i16_sdwa s[6:7], v4, s4 src0_sel:BYTE_3 src1_sel:DWORD
	s_mov_b64 s[4:5], 0
                                        ; implicit-def: $sgpr10
	s_and_saveexec_b64 s[8:9], s[6:7]
	s_xor_b64 s[6:7], exec, s[8:9]
	s_cbranch_execnz .LBB34_2269
; %bb.221:
	s_or_saveexec_b64 s[6:7], s[6:7]
	v_mov_b32_e32 v3, s10
	s_xor_b64 exec, exec, s[6:7]
	s_cbranch_execnz .LBB34_2272
.LBB34_222:
	s_or_b64 exec, exec, s[6:7]
	s_and_saveexec_b64 s[6:7], s[4:5]
	s_cbranch_execz .LBB34_224
.LBB34_223:
	v_bfe_u32 v3, v4, 24, 3
	v_ffbh_u32_e32 v10, v3
	v_min_u32_e32 v10, 32, v10
	v_lshrrev_b32_e32 v7, 27, v4
	v_subrev_u32_e32 v11, 28, v10
	v_and_b32_e32 v6, 0x80000000, v4
	v_and_b32_e32 v7, 15, v7
	v_bfe_u32 v8, v4, 27, 4
	v_lshlrev_b32_sdwa v4, v11, v4 dst_sel:DWORD dst_unused:UNUSED_PAD src0_sel:DWORD src1_sel:BYTE_3
	v_sub_u32_e32 v10, 29, v10
	v_and_b32_e32 v4, 7, v4
	v_cmp_eq_u16_e32 vcc, 0, v7
	v_cndmask_b32_e32 v3, v3, v4, vcc
	v_cndmask_b32_e32 v4, v8, v10, vcc
	v_mov_b32_e32 v7, 0x3b800000
	v_lshlrev_b32_e32 v3, 20, v3
	v_lshl_add_u32 v4, v4, 23, v7
	v_or3_b32 v3, v6, v4, v3
.LBB34_224:
	s_or_b64 exec, exec, s[6:7]
	s_nop 0
	v_mfma_f32_16x16x4f32 a[0:3], v2, v3, a[0:3]
	s_movk_i32 s4, 0x7f
	v_cmp_gt_i16_sdwa s[6:7], v9, s4 src0_sel:BYTE_0 src1_sel:DWORD
	s_mov_b64 s[4:5], 0
                                        ; implicit-def: $sgpr10
	s_and_saveexec_b64 s[8:9], s[6:7]
	s_xor_b64 s[6:7], exec, s[8:9]
	s_cbranch_execnz .LBB34_2273
; %bb.225:
	s_or_saveexec_b64 s[6:7], s[6:7]
	v_mov_b32_e32 v2, s10
	s_xor_b64 exec, exec, s[6:7]
	s_cbranch_execnz .LBB34_2276
.LBB34_226:
	s_or_b64 exec, exec, s[6:7]
	s_and_saveexec_b64 s[6:7], s[4:5]
	s_cbranch_execz .LBB34_228
.LBB34_227:
	v_mov_b32_e32 v2, 8
	v_and_b32_e32 v3, 7, v9
	v_lshrrev_b32_sdwa v2, v2, v9 dst_sel:BYTE_1 dst_unused:UNUSED_PAD src0_sel:DWORD src1_sel:DWORD
	v_ffbh_u32_e32 v4, v3
	v_or_b32_sdwa v2, v9, v2 dst_sel:DWORD dst_unused:UNUSED_PAD src0_sel:BYTE_0 src1_sel:DWORD
	v_min_u32_e32 v4, 32, v4
	v_lshrrev_b16_e32 v2, 3, v2
	v_subrev_u32_e32 v6, 28, v4
	v_and_b32_e32 v2, 15, v2
	v_lshlrev_b32_e32 v6, v6, v9
	v_sub_u32_e32 v4, 29, v4
	v_and_b32_e32 v6, 7, v6
	v_cmp_eq_u16_e32 vcc, 0, v2
	v_cndmask_b32_e32 v3, v3, v6, vcc
	v_cndmask_b32_e32 v2, v2, v4, vcc
	v_lshlrev_b32_e32 v4, 24, v9
	v_mov_b32_e32 v6, 0x3b800000
	v_lshlrev_b32_e32 v3, 20, v3
	v_and_b32_e32 v4, 0x80000000, v4
	v_lshl_add_u32 v2, v2, 23, v6
	v_or3_b32 v2, v4, v2, v3
.LBB34_228:
	s_or_b64 exec, exec, s[6:7]
	s_movk_i32 s4, 0x7f
	v_cmp_gt_i16_sdwa s[6:7], v5, s4 src0_sel:BYTE_0 src1_sel:DWORD
	s_mov_b64 s[4:5], 0
                                        ; implicit-def: $sgpr10
	s_and_saveexec_b64 s[8:9], s[6:7]
	s_xor_b64 s[6:7], exec, s[8:9]
	s_cbranch_execnz .LBB34_2277
; %bb.229:
	s_or_saveexec_b64 s[6:7], s[6:7]
	v_mov_b32_e32 v3, s10
	s_xor_b64 exec, exec, s[6:7]
	s_cbranch_execnz .LBB34_2280
.LBB34_230:
	s_or_b64 exec, exec, s[6:7]
	s_and_saveexec_b64 s[6:7], s[4:5]
	s_cbranch_execz .LBB34_232
.LBB34_231:
	v_mov_b32_e32 v3, 8
	v_and_b32_e32 v4, 7, v5
	v_lshrrev_b32_sdwa v3, v3, v5 dst_sel:BYTE_1 dst_unused:UNUSED_PAD src0_sel:DWORD src1_sel:DWORD
	v_ffbh_u32_e32 v6, v4
	v_or_b32_sdwa v3, v5, v3 dst_sel:DWORD dst_unused:UNUSED_PAD src0_sel:BYTE_0 src1_sel:DWORD
	v_min_u32_e32 v6, 32, v6
	v_lshrrev_b16_e32 v3, 3, v3
	v_subrev_u32_e32 v7, 28, v6
	v_and_b32_e32 v3, 15, v3
	v_lshlrev_b32_e32 v7, v7, v5
	v_sub_u32_e32 v6, 29, v6
	v_and_b32_e32 v7, 7, v7
	v_cmp_eq_u16_e32 vcc, 0, v3
	v_cndmask_b32_e32 v4, v4, v7, vcc
	v_cndmask_b32_e32 v3, v3, v6, vcc
	v_lshlrev_b32_e32 v6, 24, v5
	v_mov_b32_e32 v7, 0x3b800000
	v_lshlrev_b32_e32 v4, 20, v4
	v_and_b32_e32 v6, 0x80000000, v6
	v_lshl_add_u32 v3, v3, 23, v7
	v_or3_b32 v3, v6, v3, v4
.LBB34_232:
	s_or_b64 exec, exec, s[6:7]
	s_nop 0
	v_mfma_f32_16x16x4f32 a[0:3], v2, v3, a[0:3]
	v_lshrrev_b32_e32 v3, 8, v9
	s_movk_i32 s4, 0x7f
	v_cmp_gt_i16_sdwa s[6:7], v3, s4 src0_sel:BYTE_0 src1_sel:DWORD
	s_mov_b64 s[4:5], 0
                                        ; implicit-def: $sgpr10
	s_and_saveexec_b64 s[8:9], s[6:7]
	s_xor_b64 s[6:7], exec, s[8:9]
	s_cbranch_execnz .LBB34_2281
; %bb.233:
	s_or_saveexec_b64 s[6:7], s[6:7]
	v_mov_b32_e32 v2, s10
	s_xor_b64 exec, exec, s[6:7]
	s_cbranch_execnz .LBB34_2284
.LBB34_234:
	s_or_b64 exec, exec, s[6:7]
	s_and_saveexec_b64 s[6:7], s[4:5]
	s_cbranch_execz .LBB34_236
.LBB34_235:
	v_bfe_u32 v2, v9, 8, 3
	v_ffbh_u32_e32 v6, v2
	v_min_u32_e32 v6, 32, v6
	v_lshrrev_b16_e32 v4, 3, v3
	v_subrev_u32_e32 v7, 28, v6
	v_and_b32_e32 v4, 15, v4
	v_lshlrev_b32_e32 v3, v7, v3
	v_sub_u32_e32 v6, 29, v6
	v_and_b32_e32 v3, 7, v3
	v_cmp_eq_u16_e32 vcc, 0, v4
	v_cndmask_b32_e32 v2, v2, v3, vcc
	v_cndmask_b32_e32 v3, v4, v6, vcc
	v_lshlrev_b32_e32 v4, 16, v9
	v_mov_b32_e32 v6, 0x3b800000
	v_lshlrev_b32_e32 v2, 20, v2
	v_and_b32_e32 v4, 0x80000000, v4
	v_lshl_add_u32 v3, v3, 23, v6
	v_or3_b32 v2, v4, v3, v2
.LBB34_236:
	s_or_b64 exec, exec, s[6:7]
	v_lshrrev_b32_e32 v3, 8, v5
	s_movk_i32 s4, 0x7f
	v_cmp_gt_i16_sdwa s[6:7], v3, s4 src0_sel:BYTE_0 src1_sel:DWORD
	s_mov_b64 s[4:5], 0
                                        ; implicit-def: $sgpr10
	s_and_saveexec_b64 s[8:9], s[6:7]
	s_xor_b64 s[6:7], exec, s[8:9]
	s_cbranch_execnz .LBB34_2285
; %bb.237:
	s_or_saveexec_b64 s[6:7], s[6:7]
	v_mov_b32_e32 v4, s10
	s_xor_b64 exec, exec, s[6:7]
	s_cbranch_execnz .LBB34_2288
.LBB34_238:
	s_or_b64 exec, exec, s[6:7]
	s_and_saveexec_b64 s[6:7], s[4:5]
	s_cbranch_execz .LBB34_240
.LBB34_239:
	v_bfe_u32 v4, v5, 8, 3
	v_ffbh_u32_e32 v7, v4
	v_min_u32_e32 v7, 32, v7
	v_lshrrev_b16_e32 v6, 3, v3
	v_subrev_u32_e32 v8, 28, v7
	v_and_b32_e32 v6, 15, v6
	v_lshlrev_b32_e32 v3, v8, v3
	v_sub_u32_e32 v7, 29, v7
	v_and_b32_e32 v3, 7, v3
	v_cmp_eq_u16_e32 vcc, 0, v6
	v_cndmask_b32_e32 v3, v4, v3, vcc
	v_cndmask_b32_e32 v4, v6, v7, vcc
	v_lshlrev_b32_e32 v6, 16, v5
	v_mov_b32_e32 v7, 0x3b800000
	v_lshlrev_b32_e32 v3, 20, v3
	v_and_b32_e32 v6, 0x80000000, v6
	v_lshl_add_u32 v4, v4, 23, v7
	v_or3_b32 v4, v6, v4, v3
.LBB34_240:
	s_or_b64 exec, exec, s[6:7]
	s_nop 0
	v_mfma_f32_16x16x4f32 a[0:3], v2, v4, a[0:3]
	s_movk_i32 s4, 0xff
	v_and_b32_sdwa v3, v9, s4 dst_sel:DWORD dst_unused:UNUSED_PAD src0_sel:WORD_1 src1_sel:DWORD
	s_movk_i32 s4, 0x7f
	v_cmp_lt_i16_e32 vcc, s4, v3
	s_mov_b64 s[4:5], 0
                                        ; implicit-def: $sgpr10
	s_and_saveexec_b64 s[6:7], vcc
	s_xor_b64 s[6:7], exec, s[6:7]
	s_cbranch_execnz .LBB34_2289
; %bb.241:
	s_or_saveexec_b64 s[6:7], s[6:7]
	v_mov_b32_e32 v2, s10
	s_xor_b64 exec, exec, s[6:7]
	s_cbranch_execnz .LBB34_2292
.LBB34_242:
	s_or_b64 exec, exec, s[6:7]
	s_and_saveexec_b64 s[6:7], s[4:5]
	s_cbranch_execz .LBB34_244
.LBB34_243:
	v_bfe_u32 v2, v9, 16, 3
	v_ffbh_u32_e32 v6, v2
	v_min_u32_e32 v6, 32, v6
	v_lshrrev_b32_e32 v3, 19, v9
	v_subrev_u32_e32 v7, 28, v6
	v_and_b32_e32 v3, 15, v3
	v_lshlrev_b32_sdwa v7, v7, v9 dst_sel:DWORD dst_unused:UNUSED_PAD src0_sel:DWORD src1_sel:WORD_1
	v_bfe_u32 v4, v9, 19, 4
	v_sub_u32_e32 v6, 29, v6
	v_and_b32_e32 v7, 7, v7
	v_cmp_eq_u16_e32 vcc, 0, v3
	v_cndmask_b32_e32 v2, v2, v7, vcc
	v_cndmask_b32_e32 v3, v4, v6, vcc
	v_lshlrev_b32_e32 v4, 8, v9
	v_mov_b32_e32 v6, 0x3b800000
	v_lshlrev_b32_e32 v2, 20, v2
	v_and_b32_e32 v4, 0x80000000, v4
	v_lshl_add_u32 v3, v3, 23, v6
	v_or3_b32 v2, v4, v3, v2
.LBB34_244:
	s_or_b64 exec, exec, s[6:7]
	s_movk_i32 s4, 0xff
	v_and_b32_sdwa v3, v5, s4 dst_sel:DWORD dst_unused:UNUSED_PAD src0_sel:WORD_1 src1_sel:DWORD
	s_movk_i32 s4, 0x7f
	v_cmp_lt_i16_e32 vcc, s4, v3
	s_mov_b64 s[4:5], 0
                                        ; implicit-def: $sgpr10
	s_and_saveexec_b64 s[6:7], vcc
	s_xor_b64 s[6:7], exec, s[6:7]
	s_cbranch_execnz .LBB34_2293
; %bb.245:
	s_or_saveexec_b64 s[6:7], s[6:7]
	v_mov_b32_e32 v4, s10
	s_xor_b64 exec, exec, s[6:7]
	s_cbranch_execnz .LBB34_2296
.LBB34_246:
	s_or_b64 exec, exec, s[6:7]
	s_and_saveexec_b64 s[6:7], s[4:5]
	s_cbranch_execz .LBB34_248
.LBB34_247:
	v_bfe_u32 v3, v5, 16, 3
	v_ffbh_u32_e32 v7, v3
	v_min_u32_e32 v7, 32, v7
	v_lshrrev_b32_e32 v4, 19, v5
	v_subrev_u32_e32 v8, 28, v7
	v_and_b32_e32 v4, 15, v4
	v_lshlrev_b32_sdwa v8, v8, v5 dst_sel:DWORD dst_unused:UNUSED_PAD src0_sel:DWORD src1_sel:WORD_1
	v_bfe_u32 v6, v5, 19, 4
	v_sub_u32_e32 v7, 29, v7
	v_and_b32_e32 v8, 7, v8
	v_cmp_eq_u16_e32 vcc, 0, v4
	v_cndmask_b32_e32 v3, v3, v8, vcc
	v_cndmask_b32_e32 v4, v6, v7, vcc
	v_lshlrev_b32_e32 v6, 8, v5
	v_mov_b32_e32 v7, 0x3b800000
	v_lshlrev_b32_e32 v3, 20, v3
	v_and_b32_e32 v6, 0x80000000, v6
	v_lshl_add_u32 v4, v4, 23, v7
	v_or3_b32 v4, v6, v4, v3
.LBB34_248:
	s_or_b64 exec, exec, s[6:7]
	s_nop 0
	v_mfma_f32_16x16x4f32 a[0:3], v2, v4, a[0:3]
	s_movk_i32 s4, 0x7f
	v_cmp_gt_i16_sdwa s[6:7], v9, s4 src0_sel:BYTE_3 src1_sel:DWORD
	s_mov_b64 s[4:5], 0
                                        ; implicit-def: $sgpr10
	s_and_saveexec_b64 s[8:9], s[6:7]
	s_xor_b64 s[6:7], exec, s[8:9]
	s_cbranch_execnz .LBB34_2297
; %bb.249:
	s_or_saveexec_b64 s[6:7], s[6:7]
	v_mov_b32_e32 v2, s10
	s_xor_b64 exec, exec, s[6:7]
	s_cbranch_execnz .LBB34_2300
.LBB34_250:
	s_or_b64 exec, exec, s[6:7]
	s_and_saveexec_b64 s[6:7], s[4:5]
	s_cbranch_execz .LBB34_252
.LBB34_251:
	v_bfe_u32 v2, v9, 24, 3
	v_ffbh_u32_e32 v7, v2
	v_min_u32_e32 v7, 32, v7
	v_lshrrev_b32_e32 v4, 27, v9
	v_subrev_u32_e32 v8, 28, v7
	v_and_b32_e32 v4, 15, v4
	v_lshlrev_b32_sdwa v8, v8, v9 dst_sel:DWORD dst_unused:UNUSED_PAD src0_sel:DWORD src1_sel:BYTE_3
	v_bfe_u32 v6, v9, 27, 4
	v_sub_u32_e32 v7, 29, v7
	v_and_b32_e32 v8, 7, v8
	v_cmp_eq_u16_e32 vcc, 0, v4
	v_cndmask_b32_e32 v2, v2, v8, vcc
	v_cndmask_b32_e32 v4, v6, v7, vcc
	v_mov_b32_e32 v6, 0x3b800000
	v_and_b32_e32 v3, 0x80000000, v9
	v_lshlrev_b32_e32 v2, 20, v2
	v_lshl_add_u32 v4, v4, 23, v6
	v_or3_b32 v2, v3, v4, v2
.LBB34_252:
	s_or_b64 exec, exec, s[6:7]
	s_movk_i32 s4, 0x7f
	v_cmp_gt_i16_sdwa s[6:7], v5, s4 src0_sel:BYTE_3 src1_sel:DWORD
	s_mov_b64 s[4:5], 0
                                        ; implicit-def: $sgpr10
	s_and_saveexec_b64 s[8:9], s[6:7]
	s_xor_b64 s[6:7], exec, s[8:9]
	s_cbranch_execnz .LBB34_2301
; %bb.253:
	s_or_saveexec_b64 s[6:7], s[6:7]
	v_mov_b32_e32 v3, s10
	s_xor_b64 exec, exec, s[6:7]
	s_cbranch_execnz .LBB34_2304
.LBB34_254:
	s_or_b64 exec, exec, s[6:7]
	s_and_saveexec_b64 s[6:7], s[4:5]
	s_cbranch_execz .LBB34_256
.LBB34_255:
	v_bfe_u32 v3, v5, 24, 3
	v_ffbh_u32_e32 v8, v3
	v_min_u32_e32 v8, 32, v8
	v_lshrrev_b32_e32 v6, 27, v5
	v_subrev_u32_e32 v9, 28, v8
	v_and_b32_e32 v4, 0x80000000, v5
	v_and_b32_e32 v6, 15, v6
	v_bfe_u32 v7, v5, 27, 4
	v_lshlrev_b32_sdwa v5, v9, v5 dst_sel:DWORD dst_unused:UNUSED_PAD src0_sel:DWORD src1_sel:BYTE_3
	v_sub_u32_e32 v8, 29, v8
	v_and_b32_e32 v5, 7, v5
	v_cmp_eq_u16_e32 vcc, 0, v6
	v_cndmask_b32_e32 v3, v3, v5, vcc
	v_cndmask_b32_e32 v5, v7, v8, vcc
	v_mov_b32_e32 v6, 0x3b800000
	v_lshlrev_b32_e32 v3, 20, v3
	v_lshl_add_u32 v5, v5, 23, v6
	v_or3_b32 v3, v4, v5, v3
.LBB34_256:
	s_or_b64 exec, exec, s[6:7]
	s_nop 0
	v_mfma_f32_16x16x4f32 a[0:3], v2, v3, a[0:3]
	s_movk_i32 s4, 0x7f
                                        ; implicit-def: $sgpr10
	s_nop 7
	s_nop 1
	flat_store_dwordx4 v[18:19], a[0:3] offset:768
	flat_load_dwordx4 v[20:23], v[0:1] offset:16
	s_nop 0
	flat_load_dwordx2 v[18:19], v[0:1] offset:32
	s_waitcnt vmcnt(0) lgkmcnt(0)
	flat_load_dwordx4 v[14:17], v[20:21]
	flat_load_dwordx4 v[6:9], v[20:21] offset:16
	flat_load_dwordx4 v[10:13], v[22:23] offset:32
	;; [unrolled: 1-line block ×3, first 2 shown]
	s_waitcnt vmcnt(0) lgkmcnt(0)
	v_cmp_gt_i16_sdwa s[6:7], v14, s4 src0_sel:BYTE_0 src1_sel:DWORD
	s_mov_b64 s[4:5], 0
	s_and_saveexec_b64 s[8:9], s[6:7]
	s_xor_b64 s[6:7], exec, s[8:9]
	s_cbranch_execnz .LBB34_2305
; %bb.257:
	s_or_saveexec_b64 s[6:7], s[6:7]
	v_mov_b32_e32 v20, s10
	s_xor_b64 exec, exec, s[6:7]
	s_cbranch_execnz .LBB34_2308
.LBB34_258:
	s_or_b64 exec, exec, s[6:7]
	s_and_saveexec_b64 s[6:7], s[4:5]
	s_cbranch_execz .LBB34_260
.LBB34_259:
	v_and_b32_e32 v20, 7, v14
	v_ffbh_u32_e32 v22, v20
	v_min_u32_e32 v22, 32, v22
	v_lshrrev_b16_e32 v21, 3, v14
	v_subrev_u32_e32 v23, 28, v22
	v_and_b32_e32 v21, 15, v21
	v_lshlrev_b32_e32 v23, v23, v14
	v_sub_u32_e32 v22, 29, v22
	v_and_b32_e32 v23, 7, v23
	v_cmp_eq_u16_e32 vcc, 0, v21
	v_cndmask_b32_e32 v20, v20, v23, vcc
	v_cndmask_b32_e32 v21, v21, v22, vcc
	v_lshlrev_b32_e32 v22, 24, v14
	v_mov_b32_e32 v23, 0x3b800000
	v_lshlrev_b32_e32 v20, 20, v20
	v_and_b32_e32 v22, 0x80000000, v22
	v_lshl_add_u32 v21, v21, 23, v23
	v_or3_b32 v20, v22, v21, v20
.LBB34_260:
	s_or_b64 exec, exec, s[6:7]
	s_movk_i32 s4, 0x7f
	v_cmp_gt_i16_sdwa s[6:7], v10, s4 src0_sel:BYTE_0 src1_sel:DWORD
	s_mov_b64 s[4:5], 0
                                        ; implicit-def: $sgpr10
	s_and_saveexec_b64 s[8:9], s[6:7]
	s_xor_b64 s[6:7], exec, s[8:9]
	s_cbranch_execnz .LBB34_2309
; %bb.261:
	s_or_saveexec_b64 s[6:7], s[6:7]
	v_mov_b32_e32 v21, s10
	s_xor_b64 exec, exec, s[6:7]
	s_cbranch_execnz .LBB34_2312
.LBB34_262:
	s_or_b64 exec, exec, s[6:7]
	s_and_saveexec_b64 s[6:7], s[4:5]
	s_cbranch_execz .LBB34_264
.LBB34_263:
	v_and_b32_e32 v21, 7, v10
	v_ffbh_u32_e32 v23, v21
	v_min_u32_e32 v23, 32, v23
	v_lshrrev_b16_e32 v22, 3, v10
	v_subrev_u32_e32 v24, 28, v23
	v_and_b32_e32 v22, 15, v22
	v_lshlrev_b32_e32 v24, v24, v10
	v_sub_u32_e32 v23, 29, v23
	v_and_b32_e32 v24, 7, v24
	v_cmp_eq_u16_e32 vcc, 0, v22
	v_cndmask_b32_e32 v21, v21, v24, vcc
	v_cndmask_b32_e32 v22, v22, v23, vcc
	v_lshlrev_b32_e32 v23, 24, v10
	v_mov_b32_e32 v24, 0x3b800000
	v_lshlrev_b32_e32 v21, 20, v21
	v_and_b32_e32 v23, 0x80000000, v23
	v_lshl_add_u32 v22, v22, 23, v24
	v_or3_b32 v21, v23, v22, v21
.LBB34_264:
	s_or_b64 exec, exec, s[6:7]
	flat_load_dwordx4 a[0:3], v[18:19] offset:784
	s_movk_i32 s4, 0x7f
                                        ; implicit-def: $sgpr10
	s_waitcnt vmcnt(0) lgkmcnt(0)
	v_mfma_f32_16x16x4f32 a[0:3], v20, v21, a[0:3]
	v_lshrrev_b32_e32 v21, 8, v14
	v_cmp_gt_i16_sdwa s[6:7], v21, s4 src0_sel:BYTE_0 src1_sel:DWORD
	s_mov_b64 s[4:5], 0
	s_and_saveexec_b64 s[8:9], s[6:7]
	s_xor_b64 s[6:7], exec, s[8:9]
	s_cbranch_execnz .LBB34_2313
; %bb.265:
	s_or_saveexec_b64 s[6:7], s[6:7]
	v_mov_b32_e32 v20, s10
	s_xor_b64 exec, exec, s[6:7]
	s_cbranch_execnz .LBB34_2316
.LBB34_266:
	s_or_b64 exec, exec, s[6:7]
	s_and_saveexec_b64 s[6:7], s[4:5]
	s_cbranch_execz .LBB34_268
.LBB34_267:
	v_bfe_u32 v20, v14, 8, 3
	v_ffbh_u32_e32 v23, v20
	v_min_u32_e32 v23, 32, v23
	v_lshrrev_b16_e32 v22, 3, v21
	v_subrev_u32_e32 v24, 28, v23
	v_and_b32_e32 v22, 15, v22
	v_lshlrev_b32_e32 v21, v24, v21
	v_sub_u32_e32 v23, 29, v23
	v_and_b32_e32 v21, 7, v21
	v_cmp_eq_u16_e32 vcc, 0, v22
	v_cndmask_b32_e32 v20, v20, v21, vcc
	v_cndmask_b32_e32 v21, v22, v23, vcc
	v_lshlrev_b32_e32 v22, 16, v14
	v_mov_b32_e32 v23, 0x3b800000
	v_lshlrev_b32_e32 v20, 20, v20
	v_and_b32_e32 v22, 0x80000000, v22
	v_lshl_add_u32 v21, v21, 23, v23
	v_or3_b32 v20, v22, v21, v20
.LBB34_268:
	s_or_b64 exec, exec, s[6:7]
	v_lshrrev_b32_e32 v21, 8, v10
	s_movk_i32 s4, 0x7f
	v_cmp_gt_i16_sdwa s[6:7], v21, s4 src0_sel:BYTE_0 src1_sel:DWORD
	s_mov_b64 s[4:5], 0
                                        ; implicit-def: $sgpr10
	s_and_saveexec_b64 s[8:9], s[6:7]
	s_xor_b64 s[6:7], exec, s[8:9]
	s_cbranch_execnz .LBB34_2317
; %bb.269:
	s_or_saveexec_b64 s[6:7], s[6:7]
	v_mov_b32_e32 v22, s10
	s_xor_b64 exec, exec, s[6:7]
	s_cbranch_execnz .LBB34_2320
.LBB34_270:
	s_or_b64 exec, exec, s[6:7]
	s_and_saveexec_b64 s[6:7], s[4:5]
	s_cbranch_execz .LBB34_272
.LBB34_271:
	v_bfe_u32 v22, v10, 8, 3
	v_ffbh_u32_e32 v24, v22
	v_min_u32_e32 v24, 32, v24
	v_lshrrev_b16_e32 v23, 3, v21
	v_subrev_u32_e32 v25, 28, v24
	v_and_b32_e32 v23, 15, v23
	v_lshlrev_b32_e32 v21, v25, v21
	v_sub_u32_e32 v24, 29, v24
	v_and_b32_e32 v21, 7, v21
	v_cmp_eq_u16_e32 vcc, 0, v23
	v_cndmask_b32_e32 v21, v22, v21, vcc
	v_cndmask_b32_e32 v22, v23, v24, vcc
	v_lshlrev_b32_e32 v23, 16, v10
	v_mov_b32_e32 v24, 0x3b800000
	v_lshlrev_b32_e32 v21, 20, v21
	v_and_b32_e32 v23, 0x80000000, v23
	v_lshl_add_u32 v22, v22, 23, v24
	v_or3_b32 v22, v23, v22, v21
.LBB34_272:
	s_or_b64 exec, exec, s[6:7]
	s_nop 0
	v_mfma_f32_16x16x4f32 a[0:3], v20, v22, a[0:3]
	s_movk_i32 s4, 0xff
	v_and_b32_sdwa v21, v14, s4 dst_sel:DWORD dst_unused:UNUSED_PAD src0_sel:WORD_1 src1_sel:DWORD
	s_movk_i32 s4, 0x7f
	v_cmp_lt_i16_e32 vcc, s4, v21
	s_mov_b64 s[4:5], 0
                                        ; implicit-def: $sgpr10
	s_and_saveexec_b64 s[6:7], vcc
	s_xor_b64 s[6:7], exec, s[6:7]
	s_cbranch_execnz .LBB34_2321
; %bb.273:
	s_or_saveexec_b64 s[6:7], s[6:7]
	v_mov_b32_e32 v20, s10
	s_xor_b64 exec, exec, s[6:7]
	s_cbranch_execnz .LBB34_2324
.LBB34_274:
	s_or_b64 exec, exec, s[6:7]
	s_and_saveexec_b64 s[6:7], s[4:5]
	s_cbranch_execz .LBB34_276
.LBB34_275:
	v_bfe_u32 v20, v14, 16, 3
	v_ffbh_u32_e32 v23, v20
	v_min_u32_e32 v23, 32, v23
	v_lshrrev_b32_e32 v21, 19, v14
	v_subrev_u32_e32 v24, 28, v23
	v_and_b32_e32 v21, 15, v21
	v_lshlrev_b32_sdwa v24, v24, v14 dst_sel:DWORD dst_unused:UNUSED_PAD src0_sel:DWORD src1_sel:WORD_1
	v_bfe_u32 v22, v14, 19, 4
	v_sub_u32_e32 v23, 29, v23
	v_and_b32_e32 v24, 7, v24
	v_cmp_eq_u16_e32 vcc, 0, v21
	v_cndmask_b32_e32 v20, v20, v24, vcc
	v_cndmask_b32_e32 v21, v22, v23, vcc
	v_lshlrev_b32_e32 v22, 8, v14
	v_mov_b32_e32 v23, 0x3b800000
	v_lshlrev_b32_e32 v20, 20, v20
	v_and_b32_e32 v22, 0x80000000, v22
	v_lshl_add_u32 v21, v21, 23, v23
	v_or3_b32 v20, v22, v21, v20
.LBB34_276:
	s_or_b64 exec, exec, s[6:7]
	s_movk_i32 s4, 0xff
	v_and_b32_sdwa v21, v10, s4 dst_sel:DWORD dst_unused:UNUSED_PAD src0_sel:WORD_1 src1_sel:DWORD
	s_movk_i32 s4, 0x7f
	v_cmp_lt_i16_e32 vcc, s4, v21
	s_mov_b64 s[4:5], 0
                                        ; implicit-def: $sgpr10
	s_and_saveexec_b64 s[6:7], vcc
	s_xor_b64 s[6:7], exec, s[6:7]
	s_cbranch_execnz .LBB34_2325
; %bb.277:
	s_or_saveexec_b64 s[6:7], s[6:7]
	v_mov_b32_e32 v22, s10
	s_xor_b64 exec, exec, s[6:7]
	s_cbranch_execnz .LBB34_2328
.LBB34_278:
	s_or_b64 exec, exec, s[6:7]
	s_and_saveexec_b64 s[6:7], s[4:5]
	s_cbranch_execz .LBB34_280
.LBB34_279:
	v_bfe_u32 v21, v10, 16, 3
	v_ffbh_u32_e32 v24, v21
	v_min_u32_e32 v24, 32, v24
	v_lshrrev_b32_e32 v22, 19, v10
	v_subrev_u32_e32 v25, 28, v24
	v_and_b32_e32 v22, 15, v22
	v_lshlrev_b32_sdwa v25, v25, v10 dst_sel:DWORD dst_unused:UNUSED_PAD src0_sel:DWORD src1_sel:WORD_1
	v_bfe_u32 v23, v10, 19, 4
	v_sub_u32_e32 v24, 29, v24
	v_and_b32_e32 v25, 7, v25
	v_cmp_eq_u16_e32 vcc, 0, v22
	v_cndmask_b32_e32 v21, v21, v25, vcc
	v_cndmask_b32_e32 v22, v23, v24, vcc
	v_lshlrev_b32_e32 v23, 8, v10
	v_mov_b32_e32 v24, 0x3b800000
	v_lshlrev_b32_e32 v21, 20, v21
	v_and_b32_e32 v23, 0x80000000, v23
	v_lshl_add_u32 v22, v22, 23, v24
	v_or3_b32 v22, v23, v22, v21
.LBB34_280:
	s_or_b64 exec, exec, s[6:7]
	s_nop 0
	v_mfma_f32_16x16x4f32 a[0:3], v20, v22, a[0:3]
	s_movk_i32 s4, 0x7f
	v_cmp_gt_i16_sdwa s[6:7], v14, s4 src0_sel:BYTE_3 src1_sel:DWORD
	s_mov_b64 s[4:5], 0
                                        ; implicit-def: $sgpr10
	s_and_saveexec_b64 s[8:9], s[6:7]
	s_xor_b64 s[6:7], exec, s[8:9]
	s_cbranch_execnz .LBB34_2329
; %bb.281:
	s_or_saveexec_b64 s[6:7], s[6:7]
	v_mov_b32_e32 v20, s10
	s_xor_b64 exec, exec, s[6:7]
	s_cbranch_execnz .LBB34_2332
.LBB34_282:
	s_or_b64 exec, exec, s[6:7]
	s_and_saveexec_b64 s[6:7], s[4:5]
	s_cbranch_execz .LBB34_284
.LBB34_283:
	v_bfe_u32 v20, v14, 24, 3
	v_ffbh_u32_e32 v24, v20
	v_min_u32_e32 v24, 32, v24
	v_lshrrev_b32_e32 v22, 27, v14
	v_subrev_u32_e32 v25, 28, v24
	v_and_b32_e32 v21, 0x80000000, v14
	v_and_b32_e32 v22, 15, v22
	v_bfe_u32 v23, v14, 27, 4
	v_lshlrev_b32_sdwa v14, v25, v14 dst_sel:DWORD dst_unused:UNUSED_PAD src0_sel:DWORD src1_sel:BYTE_3
	v_sub_u32_e32 v24, 29, v24
	v_and_b32_e32 v14, 7, v14
	v_cmp_eq_u16_e32 vcc, 0, v22
	v_cndmask_b32_e32 v14, v20, v14, vcc
	v_cndmask_b32_e32 v20, v23, v24, vcc
	v_mov_b32_e32 v22, 0x3b800000
	v_lshlrev_b32_e32 v14, 20, v14
	v_lshl_add_u32 v20, v20, 23, v22
	v_or3_b32 v20, v21, v20, v14
.LBB34_284:
	s_or_b64 exec, exec, s[6:7]
	s_movk_i32 s4, 0x7f
	v_cmp_gt_i16_sdwa s[6:7], v10, s4 src0_sel:BYTE_3 src1_sel:DWORD
	s_mov_b64 s[4:5], 0
                                        ; implicit-def: $sgpr10
	s_and_saveexec_b64 s[8:9], s[6:7]
	s_xor_b64 s[6:7], exec, s[8:9]
	s_cbranch_execnz .LBB34_2333
; %bb.285:
	s_or_saveexec_b64 s[6:7], s[6:7]
	v_mov_b32_e32 v14, s10
	s_xor_b64 exec, exec, s[6:7]
	s_cbranch_execnz .LBB34_2336
.LBB34_286:
	s_or_b64 exec, exec, s[6:7]
	s_and_saveexec_b64 s[6:7], s[4:5]
	s_cbranch_execz .LBB34_288
.LBB34_287:
	v_bfe_u32 v14, v10, 24, 3
	v_ffbh_u32_e32 v24, v14
	v_min_u32_e32 v24, 32, v24
	v_lshrrev_b32_e32 v22, 27, v10
	v_subrev_u32_e32 v25, 28, v24
	v_and_b32_e32 v21, 0x80000000, v10
	v_and_b32_e32 v22, 15, v22
	v_bfe_u32 v23, v10, 27, 4
	v_lshlrev_b32_sdwa v10, v25, v10 dst_sel:DWORD dst_unused:UNUSED_PAD src0_sel:DWORD src1_sel:BYTE_3
	v_sub_u32_e32 v24, 29, v24
	v_and_b32_e32 v10, 7, v10
	v_cmp_eq_u16_e32 vcc, 0, v22
	v_cndmask_b32_e32 v10, v14, v10, vcc
	v_cndmask_b32_e32 v14, v23, v24, vcc
	v_mov_b32_e32 v22, 0x3b800000
	v_lshlrev_b32_e32 v10, 20, v10
	v_lshl_add_u32 v14, v14, 23, v22
	v_or3_b32 v14, v21, v14, v10
.LBB34_288:
	s_or_b64 exec, exec, s[6:7]
	s_nop 0
	v_mfma_f32_16x16x4f32 a[0:3], v20, v14, a[0:3]
	s_movk_i32 s4, 0x7f
	v_cmp_gt_i16_sdwa s[6:7], v15, s4 src0_sel:BYTE_0 src1_sel:DWORD
	s_mov_b64 s[4:5], 0
                                        ; implicit-def: $sgpr10
	s_and_saveexec_b64 s[8:9], s[6:7]
	s_xor_b64 s[6:7], exec, s[8:9]
	s_cbranch_execnz .LBB34_2337
; %bb.289:
	s_or_saveexec_b64 s[6:7], s[6:7]
	v_mov_b32_e32 v10, s10
	s_xor_b64 exec, exec, s[6:7]
	s_cbranch_execnz .LBB34_2340
.LBB34_290:
	s_or_b64 exec, exec, s[6:7]
	s_and_saveexec_b64 s[6:7], s[4:5]
	s_cbranch_execz .LBB34_292
.LBB34_291:
	v_and_b32_e32 v10, 7, v15
	v_ffbh_u32_e32 v20, v10
	v_min_u32_e32 v20, 32, v20
	v_lshrrev_b16_e32 v14, 3, v15
	v_subrev_u32_e32 v21, 28, v20
	v_and_b32_e32 v14, 15, v14
	v_lshlrev_b32_e32 v21, v21, v15
	v_sub_u32_e32 v20, 29, v20
	v_and_b32_e32 v21, 7, v21
	v_cmp_eq_u16_e32 vcc, 0, v14
	v_cndmask_b32_e32 v10, v10, v21, vcc
	v_cndmask_b32_e32 v14, v14, v20, vcc
	v_lshlrev_b32_e32 v20, 24, v15
	v_mov_b32_e32 v21, 0x3b800000
	v_lshlrev_b32_e32 v10, 20, v10
	v_and_b32_e32 v20, 0x80000000, v20
	v_lshl_add_u32 v14, v14, 23, v21
	v_or3_b32 v10, v20, v14, v10
.LBB34_292:
	s_or_b64 exec, exec, s[6:7]
	s_movk_i32 s4, 0x7f
	v_cmp_gt_i16_sdwa s[6:7], v11, s4 src0_sel:BYTE_0 src1_sel:DWORD
	s_mov_b64 s[4:5], 0
                                        ; implicit-def: $sgpr10
	s_and_saveexec_b64 s[8:9], s[6:7]
	s_xor_b64 s[6:7], exec, s[8:9]
	s_cbranch_execnz .LBB34_2341
; %bb.293:
	s_or_saveexec_b64 s[6:7], s[6:7]
	v_mov_b32_e32 v14, s10
	s_xor_b64 exec, exec, s[6:7]
	s_cbranch_execnz .LBB34_2344
.LBB34_294:
	s_or_b64 exec, exec, s[6:7]
	s_and_saveexec_b64 s[6:7], s[4:5]
	s_cbranch_execz .LBB34_296
.LBB34_295:
	v_and_b32_e32 v14, 7, v11
	v_ffbh_u32_e32 v21, v14
	v_min_u32_e32 v21, 32, v21
	v_lshrrev_b16_e32 v20, 3, v11
	v_subrev_u32_e32 v22, 28, v21
	v_and_b32_e32 v20, 15, v20
	v_lshlrev_b32_e32 v22, v22, v11
	v_sub_u32_e32 v21, 29, v21
	v_and_b32_e32 v22, 7, v22
	v_cmp_eq_u16_e32 vcc, 0, v20
	v_cndmask_b32_e32 v14, v14, v22, vcc
	v_cndmask_b32_e32 v20, v20, v21, vcc
	v_lshlrev_b32_e32 v21, 24, v11
	v_mov_b32_e32 v22, 0x3b800000
	v_lshlrev_b32_e32 v14, 20, v14
	v_and_b32_e32 v21, 0x80000000, v21
	v_lshl_add_u32 v20, v20, 23, v22
	v_or3_b32 v14, v21, v20, v14
.LBB34_296:
	s_or_b64 exec, exec, s[6:7]
	s_nop 0
	v_mfma_f32_16x16x4f32 a[0:3], v10, v14, a[0:3]
	v_lshrrev_b32_e32 v14, 8, v15
	s_movk_i32 s4, 0x7f
	v_cmp_gt_i16_sdwa s[6:7], v14, s4 src0_sel:BYTE_0 src1_sel:DWORD
	s_mov_b64 s[4:5], 0
                                        ; implicit-def: $sgpr10
	s_and_saveexec_b64 s[8:9], s[6:7]
	s_xor_b64 s[6:7], exec, s[8:9]
	s_cbranch_execnz .LBB34_2345
; %bb.297:
	s_or_saveexec_b64 s[6:7], s[6:7]
	v_mov_b32_e32 v10, s10
	s_xor_b64 exec, exec, s[6:7]
	s_cbranch_execnz .LBB34_2348
.LBB34_298:
	s_or_b64 exec, exec, s[6:7]
	s_and_saveexec_b64 s[6:7], s[4:5]
	s_cbranch_execz .LBB34_300
.LBB34_299:
	v_bfe_u32 v10, v15, 8, 3
	v_ffbh_u32_e32 v21, v10
	v_min_u32_e32 v21, 32, v21
	v_lshrrev_b16_e32 v20, 3, v14
	v_subrev_u32_e32 v22, 28, v21
	v_and_b32_e32 v20, 15, v20
	v_lshlrev_b32_e32 v14, v22, v14
	v_sub_u32_e32 v21, 29, v21
	v_and_b32_e32 v14, 7, v14
	v_cmp_eq_u16_e32 vcc, 0, v20
	v_cndmask_b32_e32 v10, v10, v14, vcc
	v_cndmask_b32_e32 v14, v20, v21, vcc
	v_lshlrev_b32_e32 v20, 16, v15
	v_mov_b32_e32 v21, 0x3b800000
	v_lshlrev_b32_e32 v10, 20, v10
	v_and_b32_e32 v20, 0x80000000, v20
	v_lshl_add_u32 v14, v14, 23, v21
	v_or3_b32 v10, v20, v14, v10
.LBB34_300:
	s_or_b64 exec, exec, s[6:7]
	v_lshrrev_b32_e32 v14, 8, v11
	s_movk_i32 s4, 0x7f
	v_cmp_gt_i16_sdwa s[6:7], v14, s4 src0_sel:BYTE_0 src1_sel:DWORD
	s_mov_b64 s[4:5], 0
                                        ; implicit-def: $sgpr10
	s_and_saveexec_b64 s[8:9], s[6:7]
	s_xor_b64 s[6:7], exec, s[8:9]
	s_cbranch_execnz .LBB34_2349
; %bb.301:
	s_or_saveexec_b64 s[6:7], s[6:7]
	v_mov_b32_e32 v20, s10
	s_xor_b64 exec, exec, s[6:7]
	s_cbranch_execnz .LBB34_2352
.LBB34_302:
	s_or_b64 exec, exec, s[6:7]
	s_and_saveexec_b64 s[6:7], s[4:5]
	s_cbranch_execz .LBB34_304
.LBB34_303:
	v_bfe_u32 v20, v11, 8, 3
	v_ffbh_u32_e32 v22, v20
	v_min_u32_e32 v22, 32, v22
	v_lshrrev_b16_e32 v21, 3, v14
	v_subrev_u32_e32 v23, 28, v22
	v_and_b32_e32 v21, 15, v21
	v_lshlrev_b32_e32 v14, v23, v14
	v_sub_u32_e32 v22, 29, v22
	v_and_b32_e32 v14, 7, v14
	v_cmp_eq_u16_e32 vcc, 0, v21
	v_cndmask_b32_e32 v14, v20, v14, vcc
	v_cndmask_b32_e32 v20, v21, v22, vcc
	v_lshlrev_b32_e32 v21, 16, v11
	v_mov_b32_e32 v22, 0x3b800000
	v_lshlrev_b32_e32 v14, 20, v14
	v_and_b32_e32 v21, 0x80000000, v21
	v_lshl_add_u32 v20, v20, 23, v22
	v_or3_b32 v20, v21, v20, v14
.LBB34_304:
	s_or_b64 exec, exec, s[6:7]
	s_nop 0
	v_mfma_f32_16x16x4f32 a[0:3], v10, v20, a[0:3]
	s_movk_i32 s4, 0xff
	v_and_b32_sdwa v14, v15, s4 dst_sel:DWORD dst_unused:UNUSED_PAD src0_sel:WORD_1 src1_sel:DWORD
	s_movk_i32 s4, 0x7f
	v_cmp_lt_i16_e32 vcc, s4, v14
	s_mov_b64 s[4:5], 0
                                        ; implicit-def: $sgpr10
	s_and_saveexec_b64 s[6:7], vcc
	s_xor_b64 s[6:7], exec, s[6:7]
	s_cbranch_execnz .LBB34_2353
; %bb.305:
	s_or_saveexec_b64 s[6:7], s[6:7]
	v_mov_b32_e32 v10, s10
	s_xor_b64 exec, exec, s[6:7]
	s_cbranch_execnz .LBB34_2356
.LBB34_306:
	s_or_b64 exec, exec, s[6:7]
	s_and_saveexec_b64 s[6:7], s[4:5]
	s_cbranch_execz .LBB34_308
.LBB34_307:
	v_bfe_u32 v10, v15, 16, 3
	v_ffbh_u32_e32 v21, v10
	v_min_u32_e32 v21, 32, v21
	v_lshrrev_b32_e32 v14, 19, v15
	v_subrev_u32_e32 v22, 28, v21
	v_and_b32_e32 v14, 15, v14
	v_lshlrev_b32_sdwa v22, v22, v15 dst_sel:DWORD dst_unused:UNUSED_PAD src0_sel:DWORD src1_sel:WORD_1
	v_bfe_u32 v20, v15, 19, 4
	v_sub_u32_e32 v21, 29, v21
	v_and_b32_e32 v22, 7, v22
	v_cmp_eq_u16_e32 vcc, 0, v14
	v_cndmask_b32_e32 v10, v10, v22, vcc
	v_cndmask_b32_e32 v14, v20, v21, vcc
	v_lshlrev_b32_e32 v20, 8, v15
	v_mov_b32_e32 v21, 0x3b800000
	v_lshlrev_b32_e32 v10, 20, v10
	v_and_b32_e32 v20, 0x80000000, v20
	v_lshl_add_u32 v14, v14, 23, v21
	v_or3_b32 v10, v20, v14, v10
.LBB34_308:
	s_or_b64 exec, exec, s[6:7]
	s_movk_i32 s4, 0xff
	v_and_b32_sdwa v14, v11, s4 dst_sel:DWORD dst_unused:UNUSED_PAD src0_sel:WORD_1 src1_sel:DWORD
	s_movk_i32 s4, 0x7f
	v_cmp_lt_i16_e32 vcc, s4, v14
	s_mov_b64 s[4:5], 0
                                        ; implicit-def: $sgpr10
	s_and_saveexec_b64 s[6:7], vcc
	s_xor_b64 s[6:7], exec, s[6:7]
	s_cbranch_execnz .LBB34_2357
; %bb.309:
	s_or_saveexec_b64 s[6:7], s[6:7]
	v_mov_b32_e32 v20, s10
	s_xor_b64 exec, exec, s[6:7]
	s_cbranch_execnz .LBB34_2360
.LBB34_310:
	s_or_b64 exec, exec, s[6:7]
	s_and_saveexec_b64 s[6:7], s[4:5]
	s_cbranch_execz .LBB34_312
.LBB34_311:
	v_bfe_u32 v14, v11, 16, 3
	v_ffbh_u32_e32 v22, v14
	v_min_u32_e32 v22, 32, v22
	v_lshrrev_b32_e32 v20, 19, v11
	v_subrev_u32_e32 v23, 28, v22
	v_and_b32_e32 v20, 15, v20
	v_lshlrev_b32_sdwa v23, v23, v11 dst_sel:DWORD dst_unused:UNUSED_PAD src0_sel:DWORD src1_sel:WORD_1
	v_bfe_u32 v21, v11, 19, 4
	v_sub_u32_e32 v22, 29, v22
	v_and_b32_e32 v23, 7, v23
	v_cmp_eq_u16_e32 vcc, 0, v20
	v_cndmask_b32_e32 v14, v14, v23, vcc
	v_cndmask_b32_e32 v20, v21, v22, vcc
	v_lshlrev_b32_e32 v21, 8, v11
	v_mov_b32_e32 v22, 0x3b800000
	v_lshlrev_b32_e32 v14, 20, v14
	v_and_b32_e32 v21, 0x80000000, v21
	v_lshl_add_u32 v20, v20, 23, v22
	v_or3_b32 v20, v21, v20, v14
.LBB34_312:
	s_or_b64 exec, exec, s[6:7]
	s_nop 0
	v_mfma_f32_16x16x4f32 a[0:3], v10, v20, a[0:3]
	s_movk_i32 s4, 0x7f
	v_cmp_gt_i16_sdwa s[6:7], v15, s4 src0_sel:BYTE_3 src1_sel:DWORD
	s_mov_b64 s[4:5], 0
                                        ; implicit-def: $sgpr10
	s_and_saveexec_b64 s[8:9], s[6:7]
	s_xor_b64 s[6:7], exec, s[8:9]
	s_cbranch_execnz .LBB34_2361
; %bb.313:
	s_or_saveexec_b64 s[6:7], s[6:7]
	v_mov_b32_e32 v10, s10
	s_xor_b64 exec, exec, s[6:7]
	s_cbranch_execnz .LBB34_2364
.LBB34_314:
	s_or_b64 exec, exec, s[6:7]
	s_and_saveexec_b64 s[6:7], s[4:5]
	s_cbranch_execz .LBB34_316
.LBB34_315:
	v_bfe_u32 v10, v15, 24, 3
	v_ffbh_u32_e32 v22, v10
	v_min_u32_e32 v22, 32, v22
	v_lshrrev_b32_e32 v20, 27, v15
	v_subrev_u32_e32 v23, 28, v22
	v_and_b32_e32 v14, 0x80000000, v15
	v_and_b32_e32 v20, 15, v20
	v_bfe_u32 v21, v15, 27, 4
	v_lshlrev_b32_sdwa v15, v23, v15 dst_sel:DWORD dst_unused:UNUSED_PAD src0_sel:DWORD src1_sel:BYTE_3
	v_sub_u32_e32 v22, 29, v22
	v_and_b32_e32 v15, 7, v15
	v_cmp_eq_u16_e32 vcc, 0, v20
	v_cndmask_b32_e32 v10, v10, v15, vcc
	v_cndmask_b32_e32 v15, v21, v22, vcc
	v_mov_b32_e32 v20, 0x3b800000
	v_lshlrev_b32_e32 v10, 20, v10
	v_lshl_add_u32 v15, v15, 23, v20
	v_or3_b32 v10, v14, v15, v10
.LBB34_316:
	s_or_b64 exec, exec, s[6:7]
	s_movk_i32 s4, 0x7f
	v_cmp_gt_i16_sdwa s[6:7], v11, s4 src0_sel:BYTE_3 src1_sel:DWORD
	s_mov_b64 s[4:5], 0
                                        ; implicit-def: $sgpr10
	s_and_saveexec_b64 s[8:9], s[6:7]
	s_xor_b64 s[6:7], exec, s[8:9]
	s_cbranch_execnz .LBB34_2365
; %bb.317:
	s_or_saveexec_b64 s[6:7], s[6:7]
	v_mov_b32_e32 v14, s10
	s_xor_b64 exec, exec, s[6:7]
	s_cbranch_execnz .LBB34_2368
.LBB34_318:
	s_or_b64 exec, exec, s[6:7]
	s_and_saveexec_b64 s[6:7], s[4:5]
	s_cbranch_execz .LBB34_320
.LBB34_319:
	v_bfe_u32 v14, v11, 24, 3
	v_ffbh_u32_e32 v22, v14
	v_min_u32_e32 v22, 32, v22
	v_lshrrev_b32_e32 v20, 27, v11
	v_subrev_u32_e32 v23, 28, v22
	v_and_b32_e32 v15, 0x80000000, v11
	v_and_b32_e32 v20, 15, v20
	v_bfe_u32 v21, v11, 27, 4
	v_lshlrev_b32_sdwa v11, v23, v11 dst_sel:DWORD dst_unused:UNUSED_PAD src0_sel:DWORD src1_sel:BYTE_3
	v_sub_u32_e32 v22, 29, v22
	v_and_b32_e32 v11, 7, v11
	v_cmp_eq_u16_e32 vcc, 0, v20
	v_cndmask_b32_e32 v11, v14, v11, vcc
	v_cndmask_b32_e32 v14, v21, v22, vcc
	v_mov_b32_e32 v20, 0x3b800000
	v_lshlrev_b32_e32 v11, 20, v11
	v_lshl_add_u32 v14, v14, 23, v20
	v_or3_b32 v14, v15, v14, v11
.LBB34_320:
	s_or_b64 exec, exec, s[6:7]
	s_nop 0
	v_mfma_f32_16x16x4f32 a[0:3], v10, v14, a[0:3]
	s_movk_i32 s4, 0x7f
	v_cmp_gt_i16_sdwa s[6:7], v16, s4 src0_sel:BYTE_0 src1_sel:DWORD
	s_mov_b64 s[4:5], 0
                                        ; implicit-def: $sgpr10
	s_and_saveexec_b64 s[8:9], s[6:7]
	s_xor_b64 s[6:7], exec, s[8:9]
	s_cbranch_execnz .LBB34_2369
; %bb.321:
	s_or_saveexec_b64 s[6:7], s[6:7]
	v_mov_b32_e32 v10, s10
	s_xor_b64 exec, exec, s[6:7]
	s_cbranch_execnz .LBB34_2372
.LBB34_322:
	s_or_b64 exec, exec, s[6:7]
	s_and_saveexec_b64 s[6:7], s[4:5]
	s_cbranch_execz .LBB34_324
.LBB34_323:
	v_and_b32_e32 v10, 7, v16
	v_ffbh_u32_e32 v14, v10
	v_min_u32_e32 v14, 32, v14
	v_lshrrev_b16_e32 v11, 3, v16
	v_subrev_u32_e32 v15, 28, v14
	v_and_b32_e32 v11, 15, v11
	v_lshlrev_b32_e32 v15, v15, v16
	v_sub_u32_e32 v14, 29, v14
	v_and_b32_e32 v15, 7, v15
	v_cmp_eq_u16_e32 vcc, 0, v11
	v_cndmask_b32_e32 v10, v10, v15, vcc
	v_cndmask_b32_e32 v11, v11, v14, vcc
	v_lshlrev_b32_e32 v14, 24, v16
	v_mov_b32_e32 v15, 0x3b800000
	v_lshlrev_b32_e32 v10, 20, v10
	v_and_b32_e32 v14, 0x80000000, v14
	v_lshl_add_u32 v11, v11, 23, v15
	v_or3_b32 v10, v14, v11, v10
.LBB34_324:
	s_or_b64 exec, exec, s[6:7]
	s_movk_i32 s4, 0x7f
	v_cmp_gt_i16_sdwa s[6:7], v12, s4 src0_sel:BYTE_0 src1_sel:DWORD
	s_mov_b64 s[4:5], 0
                                        ; implicit-def: $sgpr10
	s_and_saveexec_b64 s[8:9], s[6:7]
	s_xor_b64 s[6:7], exec, s[8:9]
	s_cbranch_execnz .LBB34_2373
; %bb.325:
	s_or_saveexec_b64 s[6:7], s[6:7]
	v_mov_b32_e32 v11, s10
	s_xor_b64 exec, exec, s[6:7]
	s_cbranch_execnz .LBB34_2376
.LBB34_326:
	s_or_b64 exec, exec, s[6:7]
	s_and_saveexec_b64 s[6:7], s[4:5]
	s_cbranch_execz .LBB34_328
.LBB34_327:
	v_and_b32_e32 v11, 7, v12
	v_ffbh_u32_e32 v15, v11
	v_min_u32_e32 v15, 32, v15
	v_lshrrev_b16_e32 v14, 3, v12
	v_subrev_u32_e32 v20, 28, v15
	v_and_b32_e32 v14, 15, v14
	v_lshlrev_b32_e32 v20, v20, v12
	v_sub_u32_e32 v15, 29, v15
	v_and_b32_e32 v20, 7, v20
	v_cmp_eq_u16_e32 vcc, 0, v14
	v_cndmask_b32_e32 v11, v11, v20, vcc
	v_cndmask_b32_e32 v14, v14, v15, vcc
	v_lshlrev_b32_e32 v15, 24, v12
	v_mov_b32_e32 v20, 0x3b800000
	v_lshlrev_b32_e32 v11, 20, v11
	v_and_b32_e32 v15, 0x80000000, v15
	v_lshl_add_u32 v14, v14, 23, v20
	v_or3_b32 v11, v15, v14, v11
.LBB34_328:
	s_or_b64 exec, exec, s[6:7]
	s_nop 0
	v_mfma_f32_16x16x4f32 a[0:3], v10, v11, a[0:3]
	v_lshrrev_b32_e32 v11, 8, v16
	s_movk_i32 s4, 0x7f
	v_cmp_gt_i16_sdwa s[6:7], v11, s4 src0_sel:BYTE_0 src1_sel:DWORD
	s_mov_b64 s[4:5], 0
                                        ; implicit-def: $sgpr10
	s_and_saveexec_b64 s[8:9], s[6:7]
	s_xor_b64 s[6:7], exec, s[8:9]
	s_cbranch_execnz .LBB34_2377
; %bb.329:
	s_or_saveexec_b64 s[6:7], s[6:7]
	v_mov_b32_e32 v10, s10
	s_xor_b64 exec, exec, s[6:7]
	s_cbranch_execnz .LBB34_2380
.LBB34_330:
	s_or_b64 exec, exec, s[6:7]
	s_and_saveexec_b64 s[6:7], s[4:5]
	s_cbranch_execz .LBB34_332
.LBB34_331:
	v_bfe_u32 v10, v16, 8, 3
	v_ffbh_u32_e32 v15, v10
	v_min_u32_e32 v15, 32, v15
	v_lshrrev_b16_e32 v14, 3, v11
	v_subrev_u32_e32 v20, 28, v15
	v_and_b32_e32 v14, 15, v14
	v_lshlrev_b32_e32 v11, v20, v11
	v_sub_u32_e32 v15, 29, v15
	v_and_b32_e32 v11, 7, v11
	v_cmp_eq_u16_e32 vcc, 0, v14
	v_cndmask_b32_e32 v10, v10, v11, vcc
	v_cndmask_b32_e32 v11, v14, v15, vcc
	v_lshlrev_b32_e32 v14, 16, v16
	v_mov_b32_e32 v15, 0x3b800000
	v_lshlrev_b32_e32 v10, 20, v10
	v_and_b32_e32 v14, 0x80000000, v14
	v_lshl_add_u32 v11, v11, 23, v15
	v_or3_b32 v10, v14, v11, v10
.LBB34_332:
	s_or_b64 exec, exec, s[6:7]
	v_lshrrev_b32_e32 v11, 8, v12
	s_movk_i32 s4, 0x7f
	v_cmp_gt_i16_sdwa s[6:7], v11, s4 src0_sel:BYTE_0 src1_sel:DWORD
	s_mov_b64 s[4:5], 0
                                        ; implicit-def: $sgpr10
	s_and_saveexec_b64 s[8:9], s[6:7]
	s_xor_b64 s[6:7], exec, s[8:9]
	s_cbranch_execnz .LBB34_2381
; %bb.333:
	s_or_saveexec_b64 s[6:7], s[6:7]
	v_mov_b32_e32 v14, s10
	s_xor_b64 exec, exec, s[6:7]
	s_cbranch_execnz .LBB34_2384
.LBB34_334:
	s_or_b64 exec, exec, s[6:7]
	s_and_saveexec_b64 s[6:7], s[4:5]
	s_cbranch_execz .LBB34_336
.LBB34_335:
	v_bfe_u32 v14, v12, 8, 3
	v_ffbh_u32_e32 v20, v14
	v_min_u32_e32 v20, 32, v20
	v_lshrrev_b16_e32 v15, 3, v11
	v_subrev_u32_e32 v21, 28, v20
	v_and_b32_e32 v15, 15, v15
	v_lshlrev_b32_e32 v11, v21, v11
	v_sub_u32_e32 v20, 29, v20
	v_and_b32_e32 v11, 7, v11
	v_cmp_eq_u16_e32 vcc, 0, v15
	v_cndmask_b32_e32 v11, v14, v11, vcc
	v_cndmask_b32_e32 v14, v15, v20, vcc
	v_lshlrev_b32_e32 v15, 16, v12
	v_mov_b32_e32 v20, 0x3b800000
	v_lshlrev_b32_e32 v11, 20, v11
	v_and_b32_e32 v15, 0x80000000, v15
	v_lshl_add_u32 v14, v14, 23, v20
	v_or3_b32 v14, v15, v14, v11
.LBB34_336:
	s_or_b64 exec, exec, s[6:7]
	s_nop 0
	v_mfma_f32_16x16x4f32 a[0:3], v10, v14, a[0:3]
	s_movk_i32 s4, 0xff
	v_and_b32_sdwa v11, v16, s4 dst_sel:DWORD dst_unused:UNUSED_PAD src0_sel:WORD_1 src1_sel:DWORD
	s_movk_i32 s4, 0x7f
	v_cmp_lt_i16_e32 vcc, s4, v11
	s_mov_b64 s[4:5], 0
                                        ; implicit-def: $sgpr10
	s_and_saveexec_b64 s[6:7], vcc
	s_xor_b64 s[6:7], exec, s[6:7]
	s_cbranch_execnz .LBB34_2385
; %bb.337:
	s_or_saveexec_b64 s[6:7], s[6:7]
	v_mov_b32_e32 v10, s10
	s_xor_b64 exec, exec, s[6:7]
	s_cbranch_execnz .LBB34_2388
.LBB34_338:
	s_or_b64 exec, exec, s[6:7]
	s_and_saveexec_b64 s[6:7], s[4:5]
	s_cbranch_execz .LBB34_340
.LBB34_339:
	v_bfe_u32 v10, v16, 16, 3
	v_ffbh_u32_e32 v15, v10
	v_min_u32_e32 v15, 32, v15
	v_lshrrev_b32_e32 v11, 19, v16
	v_subrev_u32_e32 v20, 28, v15
	v_and_b32_e32 v11, 15, v11
	v_lshlrev_b32_sdwa v20, v20, v16 dst_sel:DWORD dst_unused:UNUSED_PAD src0_sel:DWORD src1_sel:WORD_1
	v_bfe_u32 v14, v16, 19, 4
	v_sub_u32_e32 v15, 29, v15
	v_and_b32_e32 v20, 7, v20
	v_cmp_eq_u16_e32 vcc, 0, v11
	v_cndmask_b32_e32 v10, v10, v20, vcc
	v_cndmask_b32_e32 v11, v14, v15, vcc
	v_lshlrev_b32_e32 v14, 8, v16
	v_mov_b32_e32 v15, 0x3b800000
	v_lshlrev_b32_e32 v10, 20, v10
	v_and_b32_e32 v14, 0x80000000, v14
	v_lshl_add_u32 v11, v11, 23, v15
	v_or3_b32 v10, v14, v11, v10
.LBB34_340:
	s_or_b64 exec, exec, s[6:7]
	s_movk_i32 s4, 0xff
	v_and_b32_sdwa v11, v12, s4 dst_sel:DWORD dst_unused:UNUSED_PAD src0_sel:WORD_1 src1_sel:DWORD
	s_movk_i32 s4, 0x7f
	v_cmp_lt_i16_e32 vcc, s4, v11
	s_mov_b64 s[4:5], 0
                                        ; implicit-def: $sgpr10
	s_and_saveexec_b64 s[6:7], vcc
	s_xor_b64 s[6:7], exec, s[6:7]
	s_cbranch_execnz .LBB34_2389
; %bb.341:
	s_or_saveexec_b64 s[6:7], s[6:7]
	v_mov_b32_e32 v14, s10
	s_xor_b64 exec, exec, s[6:7]
	s_cbranch_execnz .LBB34_2392
.LBB34_342:
	s_or_b64 exec, exec, s[6:7]
	s_and_saveexec_b64 s[6:7], s[4:5]
	s_cbranch_execz .LBB34_344
.LBB34_343:
	v_bfe_u32 v11, v12, 16, 3
	v_ffbh_u32_e32 v20, v11
	v_min_u32_e32 v20, 32, v20
	v_lshrrev_b32_e32 v14, 19, v12
	v_subrev_u32_e32 v21, 28, v20
	v_and_b32_e32 v14, 15, v14
	v_lshlrev_b32_sdwa v21, v21, v12 dst_sel:DWORD dst_unused:UNUSED_PAD src0_sel:DWORD src1_sel:WORD_1
	v_bfe_u32 v15, v12, 19, 4
	v_sub_u32_e32 v20, 29, v20
	v_and_b32_e32 v21, 7, v21
	v_cmp_eq_u16_e32 vcc, 0, v14
	v_cndmask_b32_e32 v11, v11, v21, vcc
	v_cndmask_b32_e32 v14, v15, v20, vcc
	v_lshlrev_b32_e32 v15, 8, v12
	v_mov_b32_e32 v20, 0x3b800000
	v_lshlrev_b32_e32 v11, 20, v11
	v_and_b32_e32 v15, 0x80000000, v15
	v_lshl_add_u32 v14, v14, 23, v20
	v_or3_b32 v14, v15, v14, v11
.LBB34_344:
	s_or_b64 exec, exec, s[6:7]
	s_nop 0
	v_mfma_f32_16x16x4f32 a[0:3], v10, v14, a[0:3]
	s_movk_i32 s4, 0x7f
	v_cmp_gt_i16_sdwa s[6:7], v16, s4 src0_sel:BYTE_3 src1_sel:DWORD
	s_mov_b64 s[4:5], 0
                                        ; implicit-def: $sgpr10
	s_and_saveexec_b64 s[8:9], s[6:7]
	s_xor_b64 s[6:7], exec, s[8:9]
	s_cbranch_execnz .LBB34_2393
; %bb.345:
	s_or_saveexec_b64 s[6:7], s[6:7]
	v_mov_b32_e32 v10, s10
	s_xor_b64 exec, exec, s[6:7]
	s_cbranch_execnz .LBB34_2396
.LBB34_346:
	s_or_b64 exec, exec, s[6:7]
	s_and_saveexec_b64 s[6:7], s[4:5]
	s_cbranch_execz .LBB34_348
.LBB34_347:
	v_bfe_u32 v10, v16, 24, 3
	v_ffbh_u32_e32 v20, v10
	v_min_u32_e32 v20, 32, v20
	v_lshrrev_b32_e32 v14, 27, v16
	v_subrev_u32_e32 v21, 28, v20
	v_and_b32_e32 v11, 0x80000000, v16
	v_and_b32_e32 v14, 15, v14
	v_bfe_u32 v15, v16, 27, 4
	v_lshlrev_b32_sdwa v16, v21, v16 dst_sel:DWORD dst_unused:UNUSED_PAD src0_sel:DWORD src1_sel:BYTE_3
	v_sub_u32_e32 v20, 29, v20
	v_and_b32_e32 v16, 7, v16
	v_cmp_eq_u16_e32 vcc, 0, v14
	v_cndmask_b32_e32 v10, v10, v16, vcc
	v_cndmask_b32_e32 v14, v15, v20, vcc
	v_mov_b32_e32 v15, 0x3b800000
	v_lshlrev_b32_e32 v10, 20, v10
	v_lshl_add_u32 v14, v14, 23, v15
	v_or3_b32 v10, v11, v14, v10
.LBB34_348:
	s_or_b64 exec, exec, s[6:7]
	s_movk_i32 s4, 0x7f
	v_cmp_gt_i16_sdwa s[6:7], v12, s4 src0_sel:BYTE_3 src1_sel:DWORD
	s_mov_b64 s[4:5], 0
                                        ; implicit-def: $sgpr10
	s_and_saveexec_b64 s[8:9], s[6:7]
	s_xor_b64 s[6:7], exec, s[8:9]
	s_cbranch_execnz .LBB34_2397
; %bb.349:
	s_or_saveexec_b64 s[6:7], s[6:7]
	v_mov_b32_e32 v11, s10
	s_xor_b64 exec, exec, s[6:7]
	s_cbranch_execnz .LBB34_2400
.LBB34_350:
	s_or_b64 exec, exec, s[6:7]
	s_and_saveexec_b64 s[6:7], s[4:5]
	s_cbranch_execz .LBB34_352
.LBB34_351:
	v_bfe_u32 v11, v12, 24, 3
	v_ffbh_u32_e32 v20, v11
	v_min_u32_e32 v20, 32, v20
	v_lshrrev_b32_e32 v15, 27, v12
	v_subrev_u32_e32 v21, 28, v20
	v_and_b32_e32 v14, 0x80000000, v12
	v_and_b32_e32 v15, 15, v15
	v_bfe_u32 v16, v12, 27, 4
	v_lshlrev_b32_sdwa v12, v21, v12 dst_sel:DWORD dst_unused:UNUSED_PAD src0_sel:DWORD src1_sel:BYTE_3
	v_sub_u32_e32 v20, 29, v20
	v_and_b32_e32 v12, 7, v12
	v_cmp_eq_u16_e32 vcc, 0, v15
	v_cndmask_b32_e32 v11, v11, v12, vcc
	v_cndmask_b32_e32 v12, v16, v20, vcc
	v_mov_b32_e32 v15, 0x3b800000
	v_lshlrev_b32_e32 v11, 20, v11
	v_lshl_add_u32 v12, v12, 23, v15
	v_or3_b32 v11, v14, v12, v11
.LBB34_352:
	s_or_b64 exec, exec, s[6:7]
	s_nop 0
	v_mfma_f32_16x16x4f32 a[0:3], v10, v11, a[0:3]
	s_movk_i32 s4, 0x7f
	v_cmp_gt_i16_sdwa s[6:7], v17, s4 src0_sel:BYTE_0 src1_sel:DWORD
	s_mov_b64 s[4:5], 0
                                        ; implicit-def: $sgpr10
	s_and_saveexec_b64 s[8:9], s[6:7]
	s_xor_b64 s[6:7], exec, s[8:9]
	s_cbranch_execnz .LBB34_2401
; %bb.353:
	s_or_saveexec_b64 s[6:7], s[6:7]
	v_mov_b32_e32 v10, s10
	s_xor_b64 exec, exec, s[6:7]
	s_cbranch_execnz .LBB34_2404
.LBB34_354:
	s_or_b64 exec, exec, s[6:7]
	s_and_saveexec_b64 s[6:7], s[4:5]
	s_cbranch_execz .LBB34_356
.LBB34_355:
	v_and_b32_e32 v10, 7, v17
	v_ffbh_u32_e32 v12, v10
	v_min_u32_e32 v12, 32, v12
	v_lshrrev_b16_e32 v11, 3, v17
	v_subrev_u32_e32 v14, 28, v12
	v_and_b32_e32 v11, 15, v11
	v_lshlrev_b32_e32 v14, v14, v17
	v_sub_u32_e32 v12, 29, v12
	v_and_b32_e32 v14, 7, v14
	v_cmp_eq_u16_e32 vcc, 0, v11
	v_cndmask_b32_e32 v10, v10, v14, vcc
	v_cndmask_b32_e32 v11, v11, v12, vcc
	v_lshlrev_b32_e32 v12, 24, v17
	v_mov_b32_e32 v14, 0x3b800000
	v_lshlrev_b32_e32 v10, 20, v10
	v_and_b32_e32 v12, 0x80000000, v12
	v_lshl_add_u32 v11, v11, 23, v14
	v_or3_b32 v10, v12, v11, v10
.LBB34_356:
	s_or_b64 exec, exec, s[6:7]
	s_movk_i32 s4, 0x7f
	v_cmp_gt_i16_sdwa s[6:7], v13, s4 src0_sel:BYTE_0 src1_sel:DWORD
	s_mov_b64 s[4:5], 0
                                        ; implicit-def: $sgpr10
	s_and_saveexec_b64 s[8:9], s[6:7]
	s_xor_b64 s[6:7], exec, s[8:9]
	s_cbranch_execnz .LBB34_2405
; %bb.357:
	s_or_saveexec_b64 s[6:7], s[6:7]
	v_mov_b32_e32 v11, s10
	s_xor_b64 exec, exec, s[6:7]
	s_cbranch_execnz .LBB34_2408
.LBB34_358:
	s_or_b64 exec, exec, s[6:7]
	s_and_saveexec_b64 s[6:7], s[4:5]
	s_cbranch_execz .LBB34_360
.LBB34_359:
	v_and_b32_e32 v11, 7, v13
	v_ffbh_u32_e32 v14, v11
	v_min_u32_e32 v14, 32, v14
	v_lshrrev_b16_e32 v12, 3, v13
	v_subrev_u32_e32 v15, 28, v14
	v_and_b32_e32 v12, 15, v12
	v_lshlrev_b32_e32 v15, v15, v13
	v_sub_u32_e32 v14, 29, v14
	v_and_b32_e32 v15, 7, v15
	v_cmp_eq_u16_e32 vcc, 0, v12
	v_cndmask_b32_e32 v11, v11, v15, vcc
	v_cndmask_b32_e32 v12, v12, v14, vcc
	v_lshlrev_b32_e32 v14, 24, v13
	v_mov_b32_e32 v15, 0x3b800000
	v_lshlrev_b32_e32 v11, 20, v11
	v_and_b32_e32 v14, 0x80000000, v14
	v_lshl_add_u32 v12, v12, 23, v15
	v_or3_b32 v11, v14, v12, v11
.LBB34_360:
	s_or_b64 exec, exec, s[6:7]
	s_nop 0
	v_mfma_f32_16x16x4f32 a[0:3], v10, v11, a[0:3]
	v_lshrrev_b32_e32 v11, 8, v17
	s_movk_i32 s4, 0x7f
	v_cmp_gt_i16_sdwa s[6:7], v11, s4 src0_sel:BYTE_0 src1_sel:DWORD
	s_mov_b64 s[4:5], 0
                                        ; implicit-def: $sgpr10
	s_and_saveexec_b64 s[8:9], s[6:7]
	s_xor_b64 s[6:7], exec, s[8:9]
	s_cbranch_execnz .LBB34_2409
; %bb.361:
	s_or_saveexec_b64 s[6:7], s[6:7]
	v_mov_b32_e32 v10, s10
	s_xor_b64 exec, exec, s[6:7]
	s_cbranch_execnz .LBB34_2412
.LBB34_362:
	s_or_b64 exec, exec, s[6:7]
	s_and_saveexec_b64 s[6:7], s[4:5]
	s_cbranch_execz .LBB34_364
.LBB34_363:
	v_bfe_u32 v10, v17, 8, 3
	v_ffbh_u32_e32 v14, v10
	v_min_u32_e32 v14, 32, v14
	v_lshrrev_b16_e32 v12, 3, v11
	v_subrev_u32_e32 v15, 28, v14
	v_and_b32_e32 v12, 15, v12
	v_lshlrev_b32_e32 v11, v15, v11
	v_sub_u32_e32 v14, 29, v14
	v_and_b32_e32 v11, 7, v11
	v_cmp_eq_u16_e32 vcc, 0, v12
	v_cndmask_b32_e32 v10, v10, v11, vcc
	v_cndmask_b32_e32 v11, v12, v14, vcc
	v_lshlrev_b32_e32 v12, 16, v17
	v_mov_b32_e32 v14, 0x3b800000
	v_lshlrev_b32_e32 v10, 20, v10
	v_and_b32_e32 v12, 0x80000000, v12
	v_lshl_add_u32 v11, v11, 23, v14
	v_or3_b32 v10, v12, v11, v10
.LBB34_364:
	s_or_b64 exec, exec, s[6:7]
	v_lshrrev_b32_e32 v11, 8, v13
	s_movk_i32 s4, 0x7f
	v_cmp_gt_i16_sdwa s[6:7], v11, s4 src0_sel:BYTE_0 src1_sel:DWORD
	s_mov_b64 s[4:5], 0
                                        ; implicit-def: $sgpr10
	s_and_saveexec_b64 s[8:9], s[6:7]
	s_xor_b64 s[6:7], exec, s[8:9]
	s_cbranch_execnz .LBB34_2413
; %bb.365:
	s_or_saveexec_b64 s[6:7], s[6:7]
	v_mov_b32_e32 v12, s10
	s_xor_b64 exec, exec, s[6:7]
	s_cbranch_execnz .LBB34_2416
.LBB34_366:
	s_or_b64 exec, exec, s[6:7]
	s_and_saveexec_b64 s[6:7], s[4:5]
	s_cbranch_execz .LBB34_368
.LBB34_367:
	v_bfe_u32 v12, v13, 8, 3
	v_ffbh_u32_e32 v15, v12
	v_min_u32_e32 v15, 32, v15
	v_lshrrev_b16_e32 v14, 3, v11
	v_subrev_u32_e32 v16, 28, v15
	v_and_b32_e32 v14, 15, v14
	v_lshlrev_b32_e32 v11, v16, v11
	v_sub_u32_e32 v15, 29, v15
	v_and_b32_e32 v11, 7, v11
	v_cmp_eq_u16_e32 vcc, 0, v14
	v_cndmask_b32_e32 v11, v12, v11, vcc
	v_cndmask_b32_e32 v12, v14, v15, vcc
	v_lshlrev_b32_e32 v14, 16, v13
	v_mov_b32_e32 v15, 0x3b800000
	v_lshlrev_b32_e32 v11, 20, v11
	v_and_b32_e32 v14, 0x80000000, v14
	v_lshl_add_u32 v12, v12, 23, v15
	v_or3_b32 v12, v14, v12, v11
.LBB34_368:
	s_or_b64 exec, exec, s[6:7]
	s_nop 0
	v_mfma_f32_16x16x4f32 a[0:3], v10, v12, a[0:3]
	s_movk_i32 s4, 0xff
	v_and_b32_sdwa v11, v17, s4 dst_sel:DWORD dst_unused:UNUSED_PAD src0_sel:WORD_1 src1_sel:DWORD
	s_movk_i32 s4, 0x7f
	v_cmp_lt_i16_e32 vcc, s4, v11
	s_mov_b64 s[4:5], 0
                                        ; implicit-def: $sgpr10
	s_and_saveexec_b64 s[6:7], vcc
	s_xor_b64 s[6:7], exec, s[6:7]
	s_cbranch_execnz .LBB34_2417
; %bb.369:
	s_or_saveexec_b64 s[6:7], s[6:7]
	v_mov_b32_e32 v10, s10
	s_xor_b64 exec, exec, s[6:7]
	s_cbranch_execnz .LBB34_2420
.LBB34_370:
	s_or_b64 exec, exec, s[6:7]
	s_and_saveexec_b64 s[6:7], s[4:5]
	s_cbranch_execz .LBB34_372
.LBB34_371:
	v_bfe_u32 v10, v17, 16, 3
	v_ffbh_u32_e32 v14, v10
	v_min_u32_e32 v14, 32, v14
	v_lshrrev_b32_e32 v11, 19, v17
	v_subrev_u32_e32 v15, 28, v14
	v_and_b32_e32 v11, 15, v11
	v_lshlrev_b32_sdwa v15, v15, v17 dst_sel:DWORD dst_unused:UNUSED_PAD src0_sel:DWORD src1_sel:WORD_1
	v_bfe_u32 v12, v17, 19, 4
	v_sub_u32_e32 v14, 29, v14
	v_and_b32_e32 v15, 7, v15
	v_cmp_eq_u16_e32 vcc, 0, v11
	v_cndmask_b32_e32 v10, v10, v15, vcc
	v_cndmask_b32_e32 v11, v12, v14, vcc
	v_lshlrev_b32_e32 v12, 8, v17
	v_mov_b32_e32 v14, 0x3b800000
	v_lshlrev_b32_e32 v10, 20, v10
	v_and_b32_e32 v12, 0x80000000, v12
	v_lshl_add_u32 v11, v11, 23, v14
	v_or3_b32 v10, v12, v11, v10
.LBB34_372:
	s_or_b64 exec, exec, s[6:7]
	s_movk_i32 s4, 0xff
	v_and_b32_sdwa v11, v13, s4 dst_sel:DWORD dst_unused:UNUSED_PAD src0_sel:WORD_1 src1_sel:DWORD
	s_movk_i32 s4, 0x7f
	v_cmp_lt_i16_e32 vcc, s4, v11
	s_mov_b64 s[4:5], 0
                                        ; implicit-def: $sgpr10
	s_and_saveexec_b64 s[6:7], vcc
	s_xor_b64 s[6:7], exec, s[6:7]
	s_cbranch_execnz .LBB34_2421
; %bb.373:
	s_or_saveexec_b64 s[6:7], s[6:7]
	v_mov_b32_e32 v12, s10
	s_xor_b64 exec, exec, s[6:7]
	s_cbranch_execnz .LBB34_2424
.LBB34_374:
	s_or_b64 exec, exec, s[6:7]
	s_and_saveexec_b64 s[6:7], s[4:5]
	s_cbranch_execz .LBB34_376
.LBB34_375:
	v_bfe_u32 v11, v13, 16, 3
	v_ffbh_u32_e32 v15, v11
	v_min_u32_e32 v15, 32, v15
	v_lshrrev_b32_e32 v12, 19, v13
	v_subrev_u32_e32 v16, 28, v15
	v_and_b32_e32 v12, 15, v12
	v_lshlrev_b32_sdwa v16, v16, v13 dst_sel:DWORD dst_unused:UNUSED_PAD src0_sel:DWORD src1_sel:WORD_1
	v_bfe_u32 v14, v13, 19, 4
	v_sub_u32_e32 v15, 29, v15
	v_and_b32_e32 v16, 7, v16
	v_cmp_eq_u16_e32 vcc, 0, v12
	v_cndmask_b32_e32 v11, v11, v16, vcc
	v_cndmask_b32_e32 v12, v14, v15, vcc
	v_lshlrev_b32_e32 v14, 8, v13
	v_mov_b32_e32 v15, 0x3b800000
	v_lshlrev_b32_e32 v11, 20, v11
	v_and_b32_e32 v14, 0x80000000, v14
	v_lshl_add_u32 v12, v12, 23, v15
	v_or3_b32 v12, v14, v12, v11
.LBB34_376:
	s_or_b64 exec, exec, s[6:7]
	s_nop 0
	v_mfma_f32_16x16x4f32 a[0:3], v10, v12, a[0:3]
	s_movk_i32 s4, 0x7f
	v_cmp_gt_i16_sdwa s[6:7], v17, s4 src0_sel:BYTE_3 src1_sel:DWORD
	s_mov_b64 s[4:5], 0
                                        ; implicit-def: $sgpr10
	s_and_saveexec_b64 s[8:9], s[6:7]
	s_xor_b64 s[6:7], exec, s[8:9]
	s_cbranch_execnz .LBB34_2425
; %bb.377:
	s_or_saveexec_b64 s[6:7], s[6:7]
	v_mov_b32_e32 v10, s10
	s_xor_b64 exec, exec, s[6:7]
	s_cbranch_execnz .LBB34_2428
.LBB34_378:
	s_or_b64 exec, exec, s[6:7]
	s_and_saveexec_b64 s[6:7], s[4:5]
	s_cbranch_execz .LBB34_380
.LBB34_379:
	v_bfe_u32 v10, v17, 24, 3
	v_ffbh_u32_e32 v15, v10
	v_min_u32_e32 v15, 32, v15
	v_lshrrev_b32_e32 v12, 27, v17
	v_subrev_u32_e32 v16, 28, v15
	v_and_b32_e32 v12, 15, v12
	v_lshlrev_b32_sdwa v16, v16, v17 dst_sel:DWORD dst_unused:UNUSED_PAD src0_sel:DWORD src1_sel:BYTE_3
	v_bfe_u32 v14, v17, 27, 4
	v_sub_u32_e32 v15, 29, v15
	v_and_b32_e32 v16, 7, v16
	v_cmp_eq_u16_e32 vcc, 0, v12
	v_cndmask_b32_e32 v10, v10, v16, vcc
	v_cndmask_b32_e32 v12, v14, v15, vcc
	v_mov_b32_e32 v14, 0x3b800000
	v_and_b32_e32 v11, 0x80000000, v17
	v_lshlrev_b32_e32 v10, 20, v10
	v_lshl_add_u32 v12, v12, 23, v14
	v_or3_b32 v10, v11, v12, v10
.LBB34_380:
	s_or_b64 exec, exec, s[6:7]
	s_movk_i32 s4, 0x7f
	v_cmp_gt_i16_sdwa s[6:7], v13, s4 src0_sel:BYTE_3 src1_sel:DWORD
	s_mov_b64 s[4:5], 0
                                        ; implicit-def: $sgpr10
	s_and_saveexec_b64 s[8:9], s[6:7]
	s_xor_b64 s[6:7], exec, s[8:9]
	s_cbranch_execnz .LBB34_2429
; %bb.381:
	s_or_saveexec_b64 s[6:7], s[6:7]
	v_mov_b32_e32 v11, s10
	s_xor_b64 exec, exec, s[6:7]
	s_cbranch_execnz .LBB34_2432
.LBB34_382:
	s_or_b64 exec, exec, s[6:7]
	s_and_saveexec_b64 s[6:7], s[4:5]
	s_cbranch_execz .LBB34_384
.LBB34_383:
	v_bfe_u32 v11, v13, 24, 3
	v_ffbh_u32_e32 v16, v11
	v_min_u32_e32 v16, 32, v16
	v_lshrrev_b32_e32 v14, 27, v13
	v_subrev_u32_e32 v17, 28, v16
	v_and_b32_e32 v12, 0x80000000, v13
	v_and_b32_e32 v14, 15, v14
	v_bfe_u32 v15, v13, 27, 4
	v_lshlrev_b32_sdwa v13, v17, v13 dst_sel:DWORD dst_unused:UNUSED_PAD src0_sel:DWORD src1_sel:BYTE_3
	v_sub_u32_e32 v16, 29, v16
	v_and_b32_e32 v13, 7, v13
	v_cmp_eq_u16_e32 vcc, 0, v14
	v_cndmask_b32_e32 v11, v11, v13, vcc
	v_cndmask_b32_e32 v13, v15, v16, vcc
	v_mov_b32_e32 v14, 0x3b800000
	v_lshlrev_b32_e32 v11, 20, v11
	v_lshl_add_u32 v13, v13, 23, v14
	v_or3_b32 v11, v12, v13, v11
.LBB34_384:
	s_or_b64 exec, exec, s[6:7]
	s_nop 0
	v_mfma_f32_16x16x4f32 a[0:3], v10, v11, a[0:3]
	s_movk_i32 s4, 0x7f
	v_cmp_gt_i16_sdwa s[6:7], v6, s4 src0_sel:BYTE_0 src1_sel:DWORD
	s_mov_b64 s[4:5], 0
                                        ; implicit-def: $sgpr10
	s_and_saveexec_b64 s[8:9], s[6:7]
	s_xor_b64 s[6:7], exec, s[8:9]
	s_cbranch_execnz .LBB34_2433
; %bb.385:
	s_or_saveexec_b64 s[6:7], s[6:7]
	v_mov_b32_e32 v10, s10
	s_xor_b64 exec, exec, s[6:7]
	s_cbranch_execnz .LBB34_2436
.LBB34_386:
	s_or_b64 exec, exec, s[6:7]
	s_and_saveexec_b64 s[6:7], s[4:5]
	s_cbranch_execz .LBB34_388
.LBB34_387:
	v_and_b32_e32 v10, 7, v6
	v_ffbh_u32_e32 v12, v10
	v_min_u32_e32 v12, 32, v12
	v_lshrrev_b16_e32 v11, 3, v6
	v_subrev_u32_e32 v13, 28, v12
	v_and_b32_e32 v11, 15, v11
	v_lshlrev_b32_e32 v13, v13, v6
	v_sub_u32_e32 v12, 29, v12
	v_and_b32_e32 v13, 7, v13
	v_cmp_eq_u16_e32 vcc, 0, v11
	v_cndmask_b32_e32 v10, v10, v13, vcc
	v_cndmask_b32_e32 v11, v11, v12, vcc
	v_lshlrev_b32_e32 v12, 24, v6
	v_mov_b32_e32 v13, 0x3b800000
	v_lshlrev_b32_e32 v10, 20, v10
	v_and_b32_e32 v12, 0x80000000, v12
	v_lshl_add_u32 v11, v11, 23, v13
	v_or3_b32 v10, v12, v11, v10
.LBB34_388:
	s_or_b64 exec, exec, s[6:7]
	s_movk_i32 s4, 0x7f
	v_cmp_gt_i16_sdwa s[6:7], v2, s4 src0_sel:BYTE_0 src1_sel:DWORD
	s_mov_b64 s[4:5], 0
                                        ; implicit-def: $sgpr10
	s_and_saveexec_b64 s[8:9], s[6:7]
	s_xor_b64 s[6:7], exec, s[8:9]
	s_cbranch_execnz .LBB34_2437
; %bb.389:
	s_or_saveexec_b64 s[6:7], s[6:7]
	v_mov_b32_e32 v11, s10
	s_xor_b64 exec, exec, s[6:7]
	s_cbranch_execnz .LBB34_2440
.LBB34_390:
	s_or_b64 exec, exec, s[6:7]
	s_and_saveexec_b64 s[6:7], s[4:5]
	s_cbranch_execz .LBB34_392
.LBB34_391:
	v_and_b32_e32 v11, 7, v2
	v_ffbh_u32_e32 v13, v11
	v_min_u32_e32 v13, 32, v13
	v_lshrrev_b16_e32 v12, 3, v2
	v_subrev_u32_e32 v14, 28, v13
	v_and_b32_e32 v12, 15, v12
	v_lshlrev_b32_e32 v14, v14, v2
	v_sub_u32_e32 v13, 29, v13
	v_and_b32_e32 v14, 7, v14
	v_cmp_eq_u16_e32 vcc, 0, v12
	v_cndmask_b32_e32 v11, v11, v14, vcc
	v_cndmask_b32_e32 v12, v12, v13, vcc
	v_lshlrev_b32_e32 v13, 24, v2
	v_mov_b32_e32 v14, 0x3b800000
	v_lshlrev_b32_e32 v11, 20, v11
	v_and_b32_e32 v13, 0x80000000, v13
	v_lshl_add_u32 v12, v12, 23, v14
	v_or3_b32 v11, v13, v12, v11
.LBB34_392:
	s_or_b64 exec, exec, s[6:7]
	s_nop 0
	v_mfma_f32_16x16x4f32 a[0:3], v10, v11, a[0:3]
	v_lshrrev_b32_e32 v11, 8, v6
	s_movk_i32 s4, 0x7f
	v_cmp_gt_i16_sdwa s[6:7], v11, s4 src0_sel:BYTE_0 src1_sel:DWORD
	s_mov_b64 s[4:5], 0
                                        ; implicit-def: $sgpr10
	s_and_saveexec_b64 s[8:9], s[6:7]
	s_xor_b64 s[6:7], exec, s[8:9]
	s_cbranch_execnz .LBB34_2441
; %bb.393:
	s_or_saveexec_b64 s[6:7], s[6:7]
	v_mov_b32_e32 v10, s10
	s_xor_b64 exec, exec, s[6:7]
	s_cbranch_execnz .LBB34_2444
.LBB34_394:
	s_or_b64 exec, exec, s[6:7]
	s_and_saveexec_b64 s[6:7], s[4:5]
	s_cbranch_execz .LBB34_396
.LBB34_395:
	v_bfe_u32 v10, v6, 8, 3
	v_ffbh_u32_e32 v13, v10
	v_min_u32_e32 v13, 32, v13
	v_lshrrev_b16_e32 v12, 3, v11
	v_subrev_u32_e32 v14, 28, v13
	v_and_b32_e32 v12, 15, v12
	v_lshlrev_b32_e32 v11, v14, v11
	v_sub_u32_e32 v13, 29, v13
	v_and_b32_e32 v11, 7, v11
	v_cmp_eq_u16_e32 vcc, 0, v12
	v_cndmask_b32_e32 v10, v10, v11, vcc
	v_cndmask_b32_e32 v11, v12, v13, vcc
	v_lshlrev_b32_e32 v12, 16, v6
	v_mov_b32_e32 v13, 0x3b800000
	v_lshlrev_b32_e32 v10, 20, v10
	v_and_b32_e32 v12, 0x80000000, v12
	v_lshl_add_u32 v11, v11, 23, v13
	v_or3_b32 v10, v12, v11, v10
.LBB34_396:
	s_or_b64 exec, exec, s[6:7]
	v_lshrrev_b32_e32 v11, 8, v2
	s_movk_i32 s4, 0x7f
	v_cmp_gt_i16_sdwa s[6:7], v11, s4 src0_sel:BYTE_0 src1_sel:DWORD
	s_mov_b64 s[4:5], 0
                                        ; implicit-def: $sgpr10
	s_and_saveexec_b64 s[8:9], s[6:7]
	s_xor_b64 s[6:7], exec, s[8:9]
	s_cbranch_execnz .LBB34_2445
; %bb.397:
	s_or_saveexec_b64 s[6:7], s[6:7]
	v_mov_b32_e32 v12, s10
	s_xor_b64 exec, exec, s[6:7]
	s_cbranch_execnz .LBB34_2448
.LBB34_398:
	s_or_b64 exec, exec, s[6:7]
	s_and_saveexec_b64 s[6:7], s[4:5]
	s_cbranch_execz .LBB34_400
.LBB34_399:
	v_bfe_u32 v12, v2, 8, 3
	v_ffbh_u32_e32 v14, v12
	v_min_u32_e32 v14, 32, v14
	v_lshrrev_b16_e32 v13, 3, v11
	v_subrev_u32_e32 v15, 28, v14
	v_and_b32_e32 v13, 15, v13
	v_lshlrev_b32_e32 v11, v15, v11
	v_sub_u32_e32 v14, 29, v14
	v_and_b32_e32 v11, 7, v11
	v_cmp_eq_u16_e32 vcc, 0, v13
	v_cndmask_b32_e32 v11, v12, v11, vcc
	v_cndmask_b32_e32 v12, v13, v14, vcc
	v_lshlrev_b32_e32 v13, 16, v2
	v_mov_b32_e32 v14, 0x3b800000
	v_lshlrev_b32_e32 v11, 20, v11
	v_and_b32_e32 v13, 0x80000000, v13
	v_lshl_add_u32 v12, v12, 23, v14
	v_or3_b32 v12, v13, v12, v11
.LBB34_400:
	s_or_b64 exec, exec, s[6:7]
	s_nop 0
	v_mfma_f32_16x16x4f32 a[0:3], v10, v12, a[0:3]
	s_movk_i32 s4, 0xff
	v_and_b32_sdwa v11, v6, s4 dst_sel:DWORD dst_unused:UNUSED_PAD src0_sel:WORD_1 src1_sel:DWORD
	s_movk_i32 s4, 0x7f
	v_cmp_lt_i16_e32 vcc, s4, v11
	s_mov_b64 s[4:5], 0
                                        ; implicit-def: $sgpr10
	s_and_saveexec_b64 s[6:7], vcc
	s_xor_b64 s[6:7], exec, s[6:7]
	s_cbranch_execnz .LBB34_2449
; %bb.401:
	s_or_saveexec_b64 s[6:7], s[6:7]
	v_mov_b32_e32 v10, s10
	s_xor_b64 exec, exec, s[6:7]
	s_cbranch_execnz .LBB34_2452
.LBB34_402:
	s_or_b64 exec, exec, s[6:7]
	s_and_saveexec_b64 s[6:7], s[4:5]
	s_cbranch_execz .LBB34_404
.LBB34_403:
	v_bfe_u32 v10, v6, 16, 3
	v_ffbh_u32_e32 v13, v10
	v_min_u32_e32 v13, 32, v13
	v_lshrrev_b32_e32 v11, 19, v6
	v_subrev_u32_e32 v14, 28, v13
	v_and_b32_e32 v11, 15, v11
	v_lshlrev_b32_sdwa v14, v14, v6 dst_sel:DWORD dst_unused:UNUSED_PAD src0_sel:DWORD src1_sel:WORD_1
	v_bfe_u32 v12, v6, 19, 4
	v_sub_u32_e32 v13, 29, v13
	v_and_b32_e32 v14, 7, v14
	v_cmp_eq_u16_e32 vcc, 0, v11
	v_cndmask_b32_e32 v10, v10, v14, vcc
	v_cndmask_b32_e32 v11, v12, v13, vcc
	v_lshlrev_b32_e32 v12, 8, v6
	v_mov_b32_e32 v13, 0x3b800000
	v_lshlrev_b32_e32 v10, 20, v10
	v_and_b32_e32 v12, 0x80000000, v12
	v_lshl_add_u32 v11, v11, 23, v13
	v_or3_b32 v10, v12, v11, v10
.LBB34_404:
	s_or_b64 exec, exec, s[6:7]
	s_movk_i32 s4, 0xff
	v_and_b32_sdwa v11, v2, s4 dst_sel:DWORD dst_unused:UNUSED_PAD src0_sel:WORD_1 src1_sel:DWORD
	s_movk_i32 s4, 0x7f
	v_cmp_lt_i16_e32 vcc, s4, v11
	s_mov_b64 s[4:5], 0
                                        ; implicit-def: $sgpr10
	s_and_saveexec_b64 s[6:7], vcc
	s_xor_b64 s[6:7], exec, s[6:7]
	s_cbranch_execnz .LBB34_2453
; %bb.405:
	s_or_saveexec_b64 s[6:7], s[6:7]
	v_mov_b32_e32 v12, s10
	s_xor_b64 exec, exec, s[6:7]
	s_cbranch_execnz .LBB34_2456
.LBB34_406:
	s_or_b64 exec, exec, s[6:7]
	s_and_saveexec_b64 s[6:7], s[4:5]
	s_cbranch_execz .LBB34_408
.LBB34_407:
	v_bfe_u32 v11, v2, 16, 3
	v_ffbh_u32_e32 v14, v11
	v_min_u32_e32 v14, 32, v14
	v_lshrrev_b32_e32 v12, 19, v2
	v_subrev_u32_e32 v15, 28, v14
	v_and_b32_e32 v12, 15, v12
	v_lshlrev_b32_sdwa v15, v15, v2 dst_sel:DWORD dst_unused:UNUSED_PAD src0_sel:DWORD src1_sel:WORD_1
	v_bfe_u32 v13, v2, 19, 4
	v_sub_u32_e32 v14, 29, v14
	v_and_b32_e32 v15, 7, v15
	v_cmp_eq_u16_e32 vcc, 0, v12
	v_cndmask_b32_e32 v11, v11, v15, vcc
	v_cndmask_b32_e32 v12, v13, v14, vcc
	v_lshlrev_b32_e32 v13, 8, v2
	v_mov_b32_e32 v14, 0x3b800000
	v_lshlrev_b32_e32 v11, 20, v11
	v_and_b32_e32 v13, 0x80000000, v13
	v_lshl_add_u32 v12, v12, 23, v14
	v_or3_b32 v12, v13, v12, v11
.LBB34_408:
	s_or_b64 exec, exec, s[6:7]
	s_nop 0
	v_mfma_f32_16x16x4f32 a[0:3], v10, v12, a[0:3]
	s_movk_i32 s4, 0x7f
	v_cmp_gt_i16_sdwa s[6:7], v6, s4 src0_sel:BYTE_3 src1_sel:DWORD
	s_mov_b64 s[4:5], 0
                                        ; implicit-def: $sgpr10
	s_and_saveexec_b64 s[8:9], s[6:7]
	s_xor_b64 s[6:7], exec, s[8:9]
	s_cbranch_execnz .LBB34_2457
; %bb.409:
	s_or_saveexec_b64 s[6:7], s[6:7]
	v_mov_b32_e32 v10, s10
	s_xor_b64 exec, exec, s[6:7]
	s_cbranch_execnz .LBB34_2460
.LBB34_410:
	s_or_b64 exec, exec, s[6:7]
	s_and_saveexec_b64 s[6:7], s[4:5]
	s_cbranch_execz .LBB34_412
.LBB34_411:
	v_bfe_u32 v10, v6, 24, 3
	v_ffbh_u32_e32 v14, v10
	v_min_u32_e32 v14, 32, v14
	v_lshrrev_b32_e32 v12, 27, v6
	v_subrev_u32_e32 v15, 28, v14
	v_and_b32_e32 v11, 0x80000000, v6
	v_and_b32_e32 v12, 15, v12
	v_bfe_u32 v13, v6, 27, 4
	v_lshlrev_b32_sdwa v6, v15, v6 dst_sel:DWORD dst_unused:UNUSED_PAD src0_sel:DWORD src1_sel:BYTE_3
	v_sub_u32_e32 v14, 29, v14
	v_and_b32_e32 v6, 7, v6
	v_cmp_eq_u16_e32 vcc, 0, v12
	v_cndmask_b32_e32 v6, v10, v6, vcc
	v_cndmask_b32_e32 v10, v13, v14, vcc
	v_mov_b32_e32 v12, 0x3b800000
	v_lshlrev_b32_e32 v6, 20, v6
	v_lshl_add_u32 v10, v10, 23, v12
	v_or3_b32 v10, v11, v10, v6
.LBB34_412:
	s_or_b64 exec, exec, s[6:7]
	s_movk_i32 s4, 0x7f
	v_cmp_gt_i16_sdwa s[6:7], v2, s4 src0_sel:BYTE_3 src1_sel:DWORD
	s_mov_b64 s[4:5], 0
                                        ; implicit-def: $sgpr10
	s_and_saveexec_b64 s[8:9], s[6:7]
	s_xor_b64 s[6:7], exec, s[8:9]
	s_cbranch_execnz .LBB34_2461
; %bb.413:
	s_or_saveexec_b64 s[6:7], s[6:7]
	v_mov_b32_e32 v6, s10
	s_xor_b64 exec, exec, s[6:7]
	s_cbranch_execnz .LBB34_2464
.LBB34_414:
	s_or_b64 exec, exec, s[6:7]
	s_and_saveexec_b64 s[6:7], s[4:5]
	s_cbranch_execz .LBB34_416
.LBB34_415:
	v_bfe_u32 v6, v2, 24, 3
	v_ffbh_u32_e32 v14, v6
	v_min_u32_e32 v14, 32, v14
	v_lshrrev_b32_e32 v12, 27, v2
	v_subrev_u32_e32 v15, 28, v14
	v_and_b32_e32 v11, 0x80000000, v2
	v_and_b32_e32 v12, 15, v12
	v_bfe_u32 v13, v2, 27, 4
	v_lshlrev_b32_sdwa v2, v15, v2 dst_sel:DWORD dst_unused:UNUSED_PAD src0_sel:DWORD src1_sel:BYTE_3
	v_sub_u32_e32 v14, 29, v14
	v_and_b32_e32 v2, 7, v2
	v_cmp_eq_u16_e32 vcc, 0, v12
	v_cndmask_b32_e32 v2, v6, v2, vcc
	v_cndmask_b32_e32 v6, v13, v14, vcc
	v_mov_b32_e32 v12, 0x3b800000
	v_lshlrev_b32_e32 v2, 20, v2
	v_lshl_add_u32 v6, v6, 23, v12
	v_or3_b32 v6, v11, v6, v2
.LBB34_416:
	s_or_b64 exec, exec, s[6:7]
	s_nop 0
	v_mfma_f32_16x16x4f32 a[0:3], v10, v6, a[0:3]
	s_movk_i32 s4, 0x7f
	v_cmp_gt_i16_sdwa s[6:7], v7, s4 src0_sel:BYTE_0 src1_sel:DWORD
	s_mov_b64 s[4:5], 0
                                        ; implicit-def: $sgpr10
	s_and_saveexec_b64 s[8:9], s[6:7]
	s_xor_b64 s[6:7], exec, s[8:9]
	s_cbranch_execnz .LBB34_2465
; %bb.417:
	s_or_saveexec_b64 s[6:7], s[6:7]
	v_mov_b32_e32 v2, s10
	s_xor_b64 exec, exec, s[6:7]
	s_cbranch_execnz .LBB34_2468
.LBB34_418:
	s_or_b64 exec, exec, s[6:7]
	s_and_saveexec_b64 s[6:7], s[4:5]
	s_cbranch_execz .LBB34_420
.LBB34_419:
	v_and_b32_e32 v2, 7, v7
	v_ffbh_u32_e32 v10, v2
	v_min_u32_e32 v10, 32, v10
	v_lshrrev_b16_e32 v6, 3, v7
	v_subrev_u32_e32 v11, 28, v10
	v_and_b32_e32 v6, 15, v6
	v_lshlrev_b32_e32 v11, v11, v7
	v_sub_u32_e32 v10, 29, v10
	v_and_b32_e32 v11, 7, v11
	v_cmp_eq_u16_e32 vcc, 0, v6
	v_cndmask_b32_e32 v2, v2, v11, vcc
	v_cndmask_b32_e32 v6, v6, v10, vcc
	v_lshlrev_b32_e32 v10, 24, v7
	v_mov_b32_e32 v11, 0x3b800000
	v_lshlrev_b32_e32 v2, 20, v2
	v_and_b32_e32 v10, 0x80000000, v10
	v_lshl_add_u32 v6, v6, 23, v11
	v_or3_b32 v2, v10, v6, v2
.LBB34_420:
	s_or_b64 exec, exec, s[6:7]
	s_movk_i32 s4, 0x7f
	v_cmp_gt_i16_sdwa s[6:7], v3, s4 src0_sel:BYTE_0 src1_sel:DWORD
	s_mov_b64 s[4:5], 0
                                        ; implicit-def: $sgpr10
	s_and_saveexec_b64 s[8:9], s[6:7]
	s_xor_b64 s[6:7], exec, s[8:9]
	s_cbranch_execnz .LBB34_2469
; %bb.421:
	s_or_saveexec_b64 s[6:7], s[6:7]
	v_mov_b32_e32 v6, s10
	s_xor_b64 exec, exec, s[6:7]
	s_cbranch_execnz .LBB34_2472
.LBB34_422:
	s_or_b64 exec, exec, s[6:7]
	s_and_saveexec_b64 s[6:7], s[4:5]
	s_cbranch_execz .LBB34_424
.LBB34_423:
	v_and_b32_e32 v6, 7, v3
	v_ffbh_u32_e32 v11, v6
	v_min_u32_e32 v11, 32, v11
	v_lshrrev_b16_e32 v10, 3, v3
	v_subrev_u32_e32 v12, 28, v11
	v_and_b32_e32 v10, 15, v10
	v_lshlrev_b32_e32 v12, v12, v3
	v_sub_u32_e32 v11, 29, v11
	v_and_b32_e32 v12, 7, v12
	v_cmp_eq_u16_e32 vcc, 0, v10
	v_cndmask_b32_e32 v6, v6, v12, vcc
	v_cndmask_b32_e32 v10, v10, v11, vcc
	v_lshlrev_b32_e32 v11, 24, v3
	v_mov_b32_e32 v12, 0x3b800000
	v_lshlrev_b32_e32 v6, 20, v6
	v_and_b32_e32 v11, 0x80000000, v11
	v_lshl_add_u32 v10, v10, 23, v12
	v_or3_b32 v6, v11, v10, v6
.LBB34_424:
	s_or_b64 exec, exec, s[6:7]
	s_nop 0
	v_mfma_f32_16x16x4f32 a[0:3], v2, v6, a[0:3]
	v_lshrrev_b32_e32 v6, 8, v7
	s_movk_i32 s4, 0x7f
	v_cmp_gt_i16_sdwa s[6:7], v6, s4 src0_sel:BYTE_0 src1_sel:DWORD
	s_mov_b64 s[4:5], 0
                                        ; implicit-def: $sgpr10
	s_and_saveexec_b64 s[8:9], s[6:7]
	s_xor_b64 s[6:7], exec, s[8:9]
	s_cbranch_execnz .LBB34_2473
; %bb.425:
	s_or_saveexec_b64 s[6:7], s[6:7]
	v_mov_b32_e32 v2, s10
	s_xor_b64 exec, exec, s[6:7]
	s_cbranch_execnz .LBB34_2476
.LBB34_426:
	s_or_b64 exec, exec, s[6:7]
	s_and_saveexec_b64 s[6:7], s[4:5]
	s_cbranch_execz .LBB34_428
.LBB34_427:
	v_bfe_u32 v2, v7, 8, 3
	v_ffbh_u32_e32 v11, v2
	v_min_u32_e32 v11, 32, v11
	v_lshrrev_b16_e32 v10, 3, v6
	v_subrev_u32_e32 v12, 28, v11
	v_and_b32_e32 v10, 15, v10
	v_lshlrev_b32_e32 v6, v12, v6
	v_sub_u32_e32 v11, 29, v11
	v_and_b32_e32 v6, 7, v6
	v_cmp_eq_u16_e32 vcc, 0, v10
	v_cndmask_b32_e32 v2, v2, v6, vcc
	v_cndmask_b32_e32 v6, v10, v11, vcc
	v_lshlrev_b32_e32 v10, 16, v7
	v_mov_b32_e32 v11, 0x3b800000
	v_lshlrev_b32_e32 v2, 20, v2
	v_and_b32_e32 v10, 0x80000000, v10
	v_lshl_add_u32 v6, v6, 23, v11
	v_or3_b32 v2, v10, v6, v2
.LBB34_428:
	s_or_b64 exec, exec, s[6:7]
	v_lshrrev_b32_e32 v6, 8, v3
	s_movk_i32 s4, 0x7f
	v_cmp_gt_i16_sdwa s[6:7], v6, s4 src0_sel:BYTE_0 src1_sel:DWORD
	s_mov_b64 s[4:5], 0
                                        ; implicit-def: $sgpr10
	s_and_saveexec_b64 s[8:9], s[6:7]
	s_xor_b64 s[6:7], exec, s[8:9]
	s_cbranch_execnz .LBB34_2477
; %bb.429:
	s_or_saveexec_b64 s[6:7], s[6:7]
	v_mov_b32_e32 v10, s10
	s_xor_b64 exec, exec, s[6:7]
	s_cbranch_execnz .LBB34_2480
.LBB34_430:
	s_or_b64 exec, exec, s[6:7]
	s_and_saveexec_b64 s[6:7], s[4:5]
	s_cbranch_execz .LBB34_432
.LBB34_431:
	v_bfe_u32 v10, v3, 8, 3
	v_ffbh_u32_e32 v12, v10
	v_min_u32_e32 v12, 32, v12
	v_lshrrev_b16_e32 v11, 3, v6
	v_subrev_u32_e32 v13, 28, v12
	v_and_b32_e32 v11, 15, v11
	v_lshlrev_b32_e32 v6, v13, v6
	v_sub_u32_e32 v12, 29, v12
	v_and_b32_e32 v6, 7, v6
	v_cmp_eq_u16_e32 vcc, 0, v11
	v_cndmask_b32_e32 v6, v10, v6, vcc
	v_cndmask_b32_e32 v10, v11, v12, vcc
	v_lshlrev_b32_e32 v11, 16, v3
	v_mov_b32_e32 v12, 0x3b800000
	v_lshlrev_b32_e32 v6, 20, v6
	v_and_b32_e32 v11, 0x80000000, v11
	v_lshl_add_u32 v10, v10, 23, v12
	v_or3_b32 v10, v11, v10, v6
.LBB34_432:
	s_or_b64 exec, exec, s[6:7]
	s_nop 0
	v_mfma_f32_16x16x4f32 a[0:3], v2, v10, a[0:3]
	s_movk_i32 s4, 0xff
	v_and_b32_sdwa v6, v7, s4 dst_sel:DWORD dst_unused:UNUSED_PAD src0_sel:WORD_1 src1_sel:DWORD
	s_movk_i32 s4, 0x7f
	v_cmp_lt_i16_e32 vcc, s4, v6
	s_mov_b64 s[4:5], 0
                                        ; implicit-def: $sgpr10
	s_and_saveexec_b64 s[6:7], vcc
	s_xor_b64 s[6:7], exec, s[6:7]
	s_cbranch_execnz .LBB34_2481
; %bb.433:
	s_or_saveexec_b64 s[6:7], s[6:7]
	v_mov_b32_e32 v2, s10
	s_xor_b64 exec, exec, s[6:7]
	s_cbranch_execnz .LBB34_2484
.LBB34_434:
	s_or_b64 exec, exec, s[6:7]
	s_and_saveexec_b64 s[6:7], s[4:5]
	s_cbranch_execz .LBB34_436
.LBB34_435:
	v_bfe_u32 v2, v7, 16, 3
	v_ffbh_u32_e32 v11, v2
	v_min_u32_e32 v11, 32, v11
	v_lshrrev_b32_e32 v6, 19, v7
	v_subrev_u32_e32 v12, 28, v11
	v_and_b32_e32 v6, 15, v6
	v_lshlrev_b32_sdwa v12, v12, v7 dst_sel:DWORD dst_unused:UNUSED_PAD src0_sel:DWORD src1_sel:WORD_1
	v_bfe_u32 v10, v7, 19, 4
	v_sub_u32_e32 v11, 29, v11
	v_and_b32_e32 v12, 7, v12
	v_cmp_eq_u16_e32 vcc, 0, v6
	v_cndmask_b32_e32 v2, v2, v12, vcc
	v_cndmask_b32_e32 v6, v10, v11, vcc
	v_lshlrev_b32_e32 v10, 8, v7
	v_mov_b32_e32 v11, 0x3b800000
	v_lshlrev_b32_e32 v2, 20, v2
	v_and_b32_e32 v10, 0x80000000, v10
	v_lshl_add_u32 v6, v6, 23, v11
	v_or3_b32 v2, v10, v6, v2
.LBB34_436:
	s_or_b64 exec, exec, s[6:7]
	s_movk_i32 s4, 0xff
	v_and_b32_sdwa v6, v3, s4 dst_sel:DWORD dst_unused:UNUSED_PAD src0_sel:WORD_1 src1_sel:DWORD
	s_movk_i32 s4, 0x7f
	v_cmp_lt_i16_e32 vcc, s4, v6
	s_mov_b64 s[4:5], 0
                                        ; implicit-def: $sgpr10
	s_and_saveexec_b64 s[6:7], vcc
	s_xor_b64 s[6:7], exec, s[6:7]
	s_cbranch_execnz .LBB34_2485
; %bb.437:
	s_or_saveexec_b64 s[6:7], s[6:7]
	v_mov_b32_e32 v10, s10
	s_xor_b64 exec, exec, s[6:7]
	s_cbranch_execnz .LBB34_2488
.LBB34_438:
	s_or_b64 exec, exec, s[6:7]
	s_and_saveexec_b64 s[6:7], s[4:5]
	s_cbranch_execz .LBB34_440
.LBB34_439:
	v_bfe_u32 v6, v3, 16, 3
	v_ffbh_u32_e32 v12, v6
	v_min_u32_e32 v12, 32, v12
	v_lshrrev_b32_e32 v10, 19, v3
	v_subrev_u32_e32 v13, 28, v12
	v_and_b32_e32 v10, 15, v10
	v_lshlrev_b32_sdwa v13, v13, v3 dst_sel:DWORD dst_unused:UNUSED_PAD src0_sel:DWORD src1_sel:WORD_1
	v_bfe_u32 v11, v3, 19, 4
	v_sub_u32_e32 v12, 29, v12
	v_and_b32_e32 v13, 7, v13
	v_cmp_eq_u16_e32 vcc, 0, v10
	v_cndmask_b32_e32 v6, v6, v13, vcc
	v_cndmask_b32_e32 v10, v11, v12, vcc
	v_lshlrev_b32_e32 v11, 8, v3
	v_mov_b32_e32 v12, 0x3b800000
	v_lshlrev_b32_e32 v6, 20, v6
	v_and_b32_e32 v11, 0x80000000, v11
	v_lshl_add_u32 v10, v10, 23, v12
	v_or3_b32 v10, v11, v10, v6
.LBB34_440:
	s_or_b64 exec, exec, s[6:7]
	s_nop 0
	v_mfma_f32_16x16x4f32 a[0:3], v2, v10, a[0:3]
	s_movk_i32 s4, 0x7f
	v_cmp_gt_i16_sdwa s[6:7], v7, s4 src0_sel:BYTE_3 src1_sel:DWORD
	s_mov_b64 s[4:5], 0
                                        ; implicit-def: $sgpr10
	s_and_saveexec_b64 s[8:9], s[6:7]
	s_xor_b64 s[6:7], exec, s[8:9]
	s_cbranch_execnz .LBB34_2489
; %bb.441:
	s_or_saveexec_b64 s[6:7], s[6:7]
	v_mov_b32_e32 v2, s10
	s_xor_b64 exec, exec, s[6:7]
	s_cbranch_execnz .LBB34_2492
.LBB34_442:
	s_or_b64 exec, exec, s[6:7]
	s_and_saveexec_b64 s[6:7], s[4:5]
	s_cbranch_execz .LBB34_444
.LBB34_443:
	v_bfe_u32 v2, v7, 24, 3
	v_ffbh_u32_e32 v12, v2
	v_min_u32_e32 v12, 32, v12
	v_lshrrev_b32_e32 v10, 27, v7
	v_subrev_u32_e32 v13, 28, v12
	v_and_b32_e32 v6, 0x80000000, v7
	v_and_b32_e32 v10, 15, v10
	v_bfe_u32 v11, v7, 27, 4
	v_lshlrev_b32_sdwa v7, v13, v7 dst_sel:DWORD dst_unused:UNUSED_PAD src0_sel:DWORD src1_sel:BYTE_3
	v_sub_u32_e32 v12, 29, v12
	v_and_b32_e32 v7, 7, v7
	v_cmp_eq_u16_e32 vcc, 0, v10
	v_cndmask_b32_e32 v2, v2, v7, vcc
	v_cndmask_b32_e32 v7, v11, v12, vcc
	v_mov_b32_e32 v10, 0x3b800000
	v_lshlrev_b32_e32 v2, 20, v2
	v_lshl_add_u32 v7, v7, 23, v10
	v_or3_b32 v2, v6, v7, v2
.LBB34_444:
	s_or_b64 exec, exec, s[6:7]
	s_movk_i32 s4, 0x7f
	v_cmp_gt_i16_sdwa s[6:7], v3, s4 src0_sel:BYTE_3 src1_sel:DWORD
	s_mov_b64 s[4:5], 0
                                        ; implicit-def: $sgpr10
	s_and_saveexec_b64 s[8:9], s[6:7]
	s_xor_b64 s[6:7], exec, s[8:9]
	s_cbranch_execnz .LBB34_2493
; %bb.445:
	s_or_saveexec_b64 s[6:7], s[6:7]
	v_mov_b32_e32 v6, s10
	s_xor_b64 exec, exec, s[6:7]
	s_cbranch_execnz .LBB34_2496
.LBB34_446:
	s_or_b64 exec, exec, s[6:7]
	s_and_saveexec_b64 s[6:7], s[4:5]
	s_cbranch_execz .LBB34_448
.LBB34_447:
	v_bfe_u32 v6, v3, 24, 3
	v_ffbh_u32_e32 v12, v6
	v_min_u32_e32 v12, 32, v12
	v_lshrrev_b32_e32 v10, 27, v3
	v_subrev_u32_e32 v13, 28, v12
	v_and_b32_e32 v7, 0x80000000, v3
	v_and_b32_e32 v10, 15, v10
	v_bfe_u32 v11, v3, 27, 4
	v_lshlrev_b32_sdwa v3, v13, v3 dst_sel:DWORD dst_unused:UNUSED_PAD src0_sel:DWORD src1_sel:BYTE_3
	v_sub_u32_e32 v12, 29, v12
	v_and_b32_e32 v3, 7, v3
	v_cmp_eq_u16_e32 vcc, 0, v10
	v_cndmask_b32_e32 v3, v6, v3, vcc
	v_cndmask_b32_e32 v6, v11, v12, vcc
	v_mov_b32_e32 v10, 0x3b800000
	v_lshlrev_b32_e32 v3, 20, v3
	v_lshl_add_u32 v6, v6, 23, v10
	v_or3_b32 v6, v7, v6, v3
.LBB34_448:
	s_or_b64 exec, exec, s[6:7]
	s_nop 0
	v_mfma_f32_16x16x4f32 a[0:3], v2, v6, a[0:3]
	s_movk_i32 s4, 0x7f
	v_cmp_gt_i16_sdwa s[6:7], v8, s4 src0_sel:BYTE_0 src1_sel:DWORD
	s_mov_b64 s[4:5], 0
                                        ; implicit-def: $sgpr10
	s_and_saveexec_b64 s[8:9], s[6:7]
	s_xor_b64 s[6:7], exec, s[8:9]
	s_cbranch_execnz .LBB34_2497
; %bb.449:
	s_or_saveexec_b64 s[6:7], s[6:7]
	v_mov_b32_e32 v2, s10
	s_xor_b64 exec, exec, s[6:7]
	s_cbranch_execnz .LBB34_2500
.LBB34_450:
	s_or_b64 exec, exec, s[6:7]
	s_and_saveexec_b64 s[6:7], s[4:5]
	s_cbranch_execz .LBB34_452
.LBB34_451:
	v_and_b32_e32 v2, 7, v8
	v_ffbh_u32_e32 v6, v2
	v_min_u32_e32 v6, 32, v6
	v_lshrrev_b16_e32 v3, 3, v8
	v_subrev_u32_e32 v7, 28, v6
	v_and_b32_e32 v3, 15, v3
	v_lshlrev_b32_e32 v7, v7, v8
	v_sub_u32_e32 v6, 29, v6
	v_and_b32_e32 v7, 7, v7
	v_cmp_eq_u16_e32 vcc, 0, v3
	v_cndmask_b32_e32 v2, v2, v7, vcc
	v_cndmask_b32_e32 v3, v3, v6, vcc
	v_lshlrev_b32_e32 v6, 24, v8
	v_mov_b32_e32 v7, 0x3b800000
	v_lshlrev_b32_e32 v2, 20, v2
	v_and_b32_e32 v6, 0x80000000, v6
	v_lshl_add_u32 v3, v3, 23, v7
	v_or3_b32 v2, v6, v3, v2
.LBB34_452:
	s_or_b64 exec, exec, s[6:7]
	s_movk_i32 s4, 0x7f
	v_cmp_gt_i16_sdwa s[6:7], v4, s4 src0_sel:BYTE_0 src1_sel:DWORD
	s_mov_b64 s[4:5], 0
                                        ; implicit-def: $sgpr10
	s_and_saveexec_b64 s[8:9], s[6:7]
	s_xor_b64 s[6:7], exec, s[8:9]
	s_cbranch_execnz .LBB34_2501
; %bb.453:
	s_or_saveexec_b64 s[6:7], s[6:7]
	v_mov_b32_e32 v3, s10
	s_xor_b64 exec, exec, s[6:7]
	s_cbranch_execnz .LBB34_2504
.LBB34_454:
	s_or_b64 exec, exec, s[6:7]
	s_and_saveexec_b64 s[6:7], s[4:5]
	s_cbranch_execz .LBB34_456
.LBB34_455:
	v_and_b32_e32 v3, 7, v4
	v_ffbh_u32_e32 v7, v3
	v_min_u32_e32 v7, 32, v7
	v_lshrrev_b16_e32 v6, 3, v4
	v_subrev_u32_e32 v10, 28, v7
	v_and_b32_e32 v6, 15, v6
	v_lshlrev_b32_e32 v10, v10, v4
	v_sub_u32_e32 v7, 29, v7
	v_and_b32_e32 v10, 7, v10
	v_cmp_eq_u16_e32 vcc, 0, v6
	v_cndmask_b32_e32 v3, v3, v10, vcc
	v_cndmask_b32_e32 v6, v6, v7, vcc
	v_lshlrev_b32_e32 v7, 24, v4
	v_mov_b32_e32 v10, 0x3b800000
	v_lshlrev_b32_e32 v3, 20, v3
	v_and_b32_e32 v7, 0x80000000, v7
	v_lshl_add_u32 v6, v6, 23, v10
	v_or3_b32 v3, v7, v6, v3
.LBB34_456:
	s_or_b64 exec, exec, s[6:7]
	s_nop 0
	v_mfma_f32_16x16x4f32 a[0:3], v2, v3, a[0:3]
	v_lshrrev_b32_e32 v3, 8, v8
	s_movk_i32 s4, 0x7f
	v_cmp_gt_i16_sdwa s[6:7], v3, s4 src0_sel:BYTE_0 src1_sel:DWORD
	s_mov_b64 s[4:5], 0
                                        ; implicit-def: $sgpr10
	s_and_saveexec_b64 s[8:9], s[6:7]
	s_xor_b64 s[6:7], exec, s[8:9]
	s_cbranch_execnz .LBB34_2505
; %bb.457:
	s_or_saveexec_b64 s[6:7], s[6:7]
	v_mov_b32_e32 v2, s10
	s_xor_b64 exec, exec, s[6:7]
	s_cbranch_execnz .LBB34_2508
.LBB34_458:
	s_or_b64 exec, exec, s[6:7]
	s_and_saveexec_b64 s[6:7], s[4:5]
	s_cbranch_execz .LBB34_460
.LBB34_459:
	v_bfe_u32 v2, v8, 8, 3
	v_ffbh_u32_e32 v7, v2
	v_min_u32_e32 v7, 32, v7
	v_lshrrev_b16_e32 v6, 3, v3
	v_subrev_u32_e32 v10, 28, v7
	v_and_b32_e32 v6, 15, v6
	v_lshlrev_b32_e32 v3, v10, v3
	v_sub_u32_e32 v7, 29, v7
	v_and_b32_e32 v3, 7, v3
	v_cmp_eq_u16_e32 vcc, 0, v6
	v_cndmask_b32_e32 v2, v2, v3, vcc
	v_cndmask_b32_e32 v3, v6, v7, vcc
	v_lshlrev_b32_e32 v6, 16, v8
	v_mov_b32_e32 v7, 0x3b800000
	v_lshlrev_b32_e32 v2, 20, v2
	v_and_b32_e32 v6, 0x80000000, v6
	v_lshl_add_u32 v3, v3, 23, v7
	v_or3_b32 v2, v6, v3, v2
.LBB34_460:
	s_or_b64 exec, exec, s[6:7]
	v_lshrrev_b32_e32 v3, 8, v4
	s_movk_i32 s4, 0x7f
	v_cmp_gt_i16_sdwa s[6:7], v3, s4 src0_sel:BYTE_0 src1_sel:DWORD
	s_mov_b64 s[4:5], 0
                                        ; implicit-def: $sgpr10
	s_and_saveexec_b64 s[8:9], s[6:7]
	s_xor_b64 s[6:7], exec, s[8:9]
	s_cbranch_execnz .LBB34_2509
; %bb.461:
	s_or_saveexec_b64 s[6:7], s[6:7]
	v_mov_b32_e32 v6, s10
	s_xor_b64 exec, exec, s[6:7]
	s_cbranch_execnz .LBB34_2512
.LBB34_462:
	s_or_b64 exec, exec, s[6:7]
	s_and_saveexec_b64 s[6:7], s[4:5]
	s_cbranch_execz .LBB34_464
.LBB34_463:
	v_bfe_u32 v6, v4, 8, 3
	v_ffbh_u32_e32 v10, v6
	v_min_u32_e32 v10, 32, v10
	v_lshrrev_b16_e32 v7, 3, v3
	v_subrev_u32_e32 v11, 28, v10
	v_and_b32_e32 v7, 15, v7
	v_lshlrev_b32_e32 v3, v11, v3
	v_sub_u32_e32 v10, 29, v10
	v_and_b32_e32 v3, 7, v3
	v_cmp_eq_u16_e32 vcc, 0, v7
	v_cndmask_b32_e32 v3, v6, v3, vcc
	v_cndmask_b32_e32 v6, v7, v10, vcc
	v_lshlrev_b32_e32 v7, 16, v4
	v_mov_b32_e32 v10, 0x3b800000
	v_lshlrev_b32_e32 v3, 20, v3
	v_and_b32_e32 v7, 0x80000000, v7
	v_lshl_add_u32 v6, v6, 23, v10
	v_or3_b32 v6, v7, v6, v3
.LBB34_464:
	s_or_b64 exec, exec, s[6:7]
	s_nop 0
	v_mfma_f32_16x16x4f32 a[0:3], v2, v6, a[0:3]
	s_movk_i32 s4, 0xff
	v_and_b32_sdwa v3, v8, s4 dst_sel:DWORD dst_unused:UNUSED_PAD src0_sel:WORD_1 src1_sel:DWORD
	s_movk_i32 s4, 0x7f
	v_cmp_lt_i16_e32 vcc, s4, v3
	s_mov_b64 s[4:5], 0
                                        ; implicit-def: $sgpr10
	s_and_saveexec_b64 s[6:7], vcc
	s_xor_b64 s[6:7], exec, s[6:7]
	s_cbranch_execnz .LBB34_2513
; %bb.465:
	s_or_saveexec_b64 s[6:7], s[6:7]
	v_mov_b32_e32 v2, s10
	s_xor_b64 exec, exec, s[6:7]
	s_cbranch_execnz .LBB34_2516
.LBB34_466:
	s_or_b64 exec, exec, s[6:7]
	s_and_saveexec_b64 s[6:7], s[4:5]
	s_cbranch_execz .LBB34_468
.LBB34_467:
	v_bfe_u32 v2, v8, 16, 3
	v_ffbh_u32_e32 v7, v2
	v_min_u32_e32 v7, 32, v7
	v_lshrrev_b32_e32 v3, 19, v8
	v_subrev_u32_e32 v10, 28, v7
	v_and_b32_e32 v3, 15, v3
	v_lshlrev_b32_sdwa v10, v10, v8 dst_sel:DWORD dst_unused:UNUSED_PAD src0_sel:DWORD src1_sel:WORD_1
	v_bfe_u32 v6, v8, 19, 4
	v_sub_u32_e32 v7, 29, v7
	v_and_b32_e32 v10, 7, v10
	v_cmp_eq_u16_e32 vcc, 0, v3
	v_cndmask_b32_e32 v2, v2, v10, vcc
	v_cndmask_b32_e32 v3, v6, v7, vcc
	v_lshlrev_b32_e32 v6, 8, v8
	v_mov_b32_e32 v7, 0x3b800000
	v_lshlrev_b32_e32 v2, 20, v2
	v_and_b32_e32 v6, 0x80000000, v6
	v_lshl_add_u32 v3, v3, 23, v7
	v_or3_b32 v2, v6, v3, v2
.LBB34_468:
	s_or_b64 exec, exec, s[6:7]
	s_movk_i32 s4, 0xff
	v_and_b32_sdwa v3, v4, s4 dst_sel:DWORD dst_unused:UNUSED_PAD src0_sel:WORD_1 src1_sel:DWORD
	s_movk_i32 s4, 0x7f
	v_cmp_lt_i16_e32 vcc, s4, v3
	s_mov_b64 s[4:5], 0
                                        ; implicit-def: $sgpr10
	s_and_saveexec_b64 s[6:7], vcc
	s_xor_b64 s[6:7], exec, s[6:7]
	s_cbranch_execnz .LBB34_2517
; %bb.469:
	s_or_saveexec_b64 s[6:7], s[6:7]
	v_mov_b32_e32 v6, s10
	s_xor_b64 exec, exec, s[6:7]
	s_cbranch_execnz .LBB34_2520
.LBB34_470:
	s_or_b64 exec, exec, s[6:7]
	s_and_saveexec_b64 s[6:7], s[4:5]
	s_cbranch_execz .LBB34_472
.LBB34_471:
	v_bfe_u32 v3, v4, 16, 3
	v_ffbh_u32_e32 v10, v3
	v_min_u32_e32 v10, 32, v10
	v_lshrrev_b32_e32 v6, 19, v4
	v_subrev_u32_e32 v11, 28, v10
	v_and_b32_e32 v6, 15, v6
	v_lshlrev_b32_sdwa v11, v11, v4 dst_sel:DWORD dst_unused:UNUSED_PAD src0_sel:DWORD src1_sel:WORD_1
	v_bfe_u32 v7, v4, 19, 4
	v_sub_u32_e32 v10, 29, v10
	v_and_b32_e32 v11, 7, v11
	v_cmp_eq_u16_e32 vcc, 0, v6
	v_cndmask_b32_e32 v3, v3, v11, vcc
	v_cndmask_b32_e32 v6, v7, v10, vcc
	v_lshlrev_b32_e32 v7, 8, v4
	v_mov_b32_e32 v10, 0x3b800000
	v_lshlrev_b32_e32 v3, 20, v3
	v_and_b32_e32 v7, 0x80000000, v7
	v_lshl_add_u32 v6, v6, 23, v10
	v_or3_b32 v6, v7, v6, v3
.LBB34_472:
	s_or_b64 exec, exec, s[6:7]
	s_nop 0
	v_mfma_f32_16x16x4f32 a[0:3], v2, v6, a[0:3]
	s_movk_i32 s4, 0x7f
	v_cmp_gt_i16_sdwa s[6:7], v8, s4 src0_sel:BYTE_3 src1_sel:DWORD
	s_mov_b64 s[4:5], 0
                                        ; implicit-def: $sgpr10
	s_and_saveexec_b64 s[8:9], s[6:7]
	s_xor_b64 s[6:7], exec, s[8:9]
	s_cbranch_execnz .LBB34_2521
; %bb.473:
	s_or_saveexec_b64 s[6:7], s[6:7]
	v_mov_b32_e32 v2, s10
	s_xor_b64 exec, exec, s[6:7]
	s_cbranch_execnz .LBB34_2524
.LBB34_474:
	s_or_b64 exec, exec, s[6:7]
	s_and_saveexec_b64 s[6:7], s[4:5]
	s_cbranch_execz .LBB34_476
.LBB34_475:
	v_bfe_u32 v2, v8, 24, 3
	v_ffbh_u32_e32 v10, v2
	v_min_u32_e32 v10, 32, v10
	v_lshrrev_b32_e32 v6, 27, v8
	v_subrev_u32_e32 v11, 28, v10
	v_and_b32_e32 v3, 0x80000000, v8
	v_and_b32_e32 v6, 15, v6
	v_bfe_u32 v7, v8, 27, 4
	v_lshlrev_b32_sdwa v8, v11, v8 dst_sel:DWORD dst_unused:UNUSED_PAD src0_sel:DWORD src1_sel:BYTE_3
	v_sub_u32_e32 v10, 29, v10
	v_and_b32_e32 v8, 7, v8
	v_cmp_eq_u16_e32 vcc, 0, v6
	v_cndmask_b32_e32 v2, v2, v8, vcc
	v_cndmask_b32_e32 v6, v7, v10, vcc
	v_mov_b32_e32 v7, 0x3b800000
	v_lshlrev_b32_e32 v2, 20, v2
	v_lshl_add_u32 v6, v6, 23, v7
	v_or3_b32 v2, v3, v6, v2
.LBB34_476:
	s_or_b64 exec, exec, s[6:7]
	s_movk_i32 s4, 0x7f
	v_cmp_gt_i16_sdwa s[6:7], v4, s4 src0_sel:BYTE_3 src1_sel:DWORD
	s_mov_b64 s[4:5], 0
                                        ; implicit-def: $sgpr10
	s_and_saveexec_b64 s[8:9], s[6:7]
	s_xor_b64 s[6:7], exec, s[8:9]
	s_cbranch_execnz .LBB34_2525
; %bb.477:
	s_or_saveexec_b64 s[6:7], s[6:7]
	v_mov_b32_e32 v3, s10
	s_xor_b64 exec, exec, s[6:7]
	s_cbranch_execnz .LBB34_2528
.LBB34_478:
	s_or_b64 exec, exec, s[6:7]
	s_and_saveexec_b64 s[6:7], s[4:5]
	s_cbranch_execz .LBB34_480
.LBB34_479:
	v_bfe_u32 v3, v4, 24, 3
	v_ffbh_u32_e32 v10, v3
	v_min_u32_e32 v10, 32, v10
	v_lshrrev_b32_e32 v7, 27, v4
	v_subrev_u32_e32 v11, 28, v10
	v_and_b32_e32 v6, 0x80000000, v4
	v_and_b32_e32 v7, 15, v7
	v_bfe_u32 v8, v4, 27, 4
	v_lshlrev_b32_sdwa v4, v11, v4 dst_sel:DWORD dst_unused:UNUSED_PAD src0_sel:DWORD src1_sel:BYTE_3
	v_sub_u32_e32 v10, 29, v10
	v_and_b32_e32 v4, 7, v4
	v_cmp_eq_u16_e32 vcc, 0, v7
	v_cndmask_b32_e32 v3, v3, v4, vcc
	v_cndmask_b32_e32 v4, v8, v10, vcc
	v_mov_b32_e32 v7, 0x3b800000
	v_lshlrev_b32_e32 v3, 20, v3
	v_lshl_add_u32 v4, v4, 23, v7
	v_or3_b32 v3, v6, v4, v3
.LBB34_480:
	s_or_b64 exec, exec, s[6:7]
	s_nop 0
	v_mfma_f32_16x16x4f32 a[0:3], v2, v3, a[0:3]
	s_movk_i32 s4, 0x7f
	v_cmp_gt_i16_sdwa s[6:7], v9, s4 src0_sel:BYTE_0 src1_sel:DWORD
	s_mov_b64 s[4:5], 0
                                        ; implicit-def: $sgpr10
	s_and_saveexec_b64 s[8:9], s[6:7]
	s_xor_b64 s[6:7], exec, s[8:9]
	s_cbranch_execnz .LBB34_2529
; %bb.481:
	s_or_saveexec_b64 s[6:7], s[6:7]
	v_mov_b32_e32 v2, s10
	s_xor_b64 exec, exec, s[6:7]
	s_cbranch_execnz .LBB34_2532
.LBB34_482:
	s_or_b64 exec, exec, s[6:7]
	s_and_saveexec_b64 s[6:7], s[4:5]
	s_cbranch_execz .LBB34_484
.LBB34_483:
	v_mov_b32_e32 v2, 8
	v_and_b32_e32 v3, 7, v9
	v_lshrrev_b32_sdwa v2, v2, v9 dst_sel:BYTE_1 dst_unused:UNUSED_PAD src0_sel:DWORD src1_sel:DWORD
	v_ffbh_u32_e32 v4, v3
	v_or_b32_sdwa v2, v9, v2 dst_sel:DWORD dst_unused:UNUSED_PAD src0_sel:BYTE_0 src1_sel:DWORD
	v_min_u32_e32 v4, 32, v4
	v_lshrrev_b16_e32 v2, 3, v2
	v_subrev_u32_e32 v6, 28, v4
	v_and_b32_e32 v2, 15, v2
	v_lshlrev_b32_e32 v6, v6, v9
	v_sub_u32_e32 v4, 29, v4
	v_and_b32_e32 v6, 7, v6
	v_cmp_eq_u16_e32 vcc, 0, v2
	v_cndmask_b32_e32 v3, v3, v6, vcc
	v_cndmask_b32_e32 v2, v2, v4, vcc
	v_lshlrev_b32_e32 v4, 24, v9
	v_mov_b32_e32 v6, 0x3b800000
	v_lshlrev_b32_e32 v3, 20, v3
	v_and_b32_e32 v4, 0x80000000, v4
	v_lshl_add_u32 v2, v2, 23, v6
	v_or3_b32 v2, v4, v2, v3
.LBB34_484:
	s_or_b64 exec, exec, s[6:7]
	s_movk_i32 s4, 0x7f
	v_cmp_gt_i16_sdwa s[6:7], v5, s4 src0_sel:BYTE_0 src1_sel:DWORD
	s_mov_b64 s[4:5], 0
                                        ; implicit-def: $sgpr10
	s_and_saveexec_b64 s[8:9], s[6:7]
	s_xor_b64 s[6:7], exec, s[8:9]
	s_cbranch_execnz .LBB34_2533
; %bb.485:
	s_or_saveexec_b64 s[6:7], s[6:7]
	v_mov_b32_e32 v3, s10
	s_xor_b64 exec, exec, s[6:7]
	s_cbranch_execnz .LBB34_2536
.LBB34_486:
	s_or_b64 exec, exec, s[6:7]
	s_and_saveexec_b64 s[6:7], s[4:5]
	s_cbranch_execz .LBB34_488
.LBB34_487:
	v_mov_b32_e32 v3, 8
	v_and_b32_e32 v4, 7, v5
	v_lshrrev_b32_sdwa v3, v3, v5 dst_sel:BYTE_1 dst_unused:UNUSED_PAD src0_sel:DWORD src1_sel:DWORD
	v_ffbh_u32_e32 v6, v4
	v_or_b32_sdwa v3, v5, v3 dst_sel:DWORD dst_unused:UNUSED_PAD src0_sel:BYTE_0 src1_sel:DWORD
	v_min_u32_e32 v6, 32, v6
	v_lshrrev_b16_e32 v3, 3, v3
	v_subrev_u32_e32 v7, 28, v6
	v_and_b32_e32 v3, 15, v3
	v_lshlrev_b32_e32 v7, v7, v5
	v_sub_u32_e32 v6, 29, v6
	v_and_b32_e32 v7, 7, v7
	v_cmp_eq_u16_e32 vcc, 0, v3
	v_cndmask_b32_e32 v4, v4, v7, vcc
	v_cndmask_b32_e32 v3, v3, v6, vcc
	v_lshlrev_b32_e32 v6, 24, v5
	v_mov_b32_e32 v7, 0x3b800000
	v_lshlrev_b32_e32 v4, 20, v4
	v_and_b32_e32 v6, 0x80000000, v6
	v_lshl_add_u32 v3, v3, 23, v7
	v_or3_b32 v3, v6, v3, v4
.LBB34_488:
	s_or_b64 exec, exec, s[6:7]
	s_nop 0
	v_mfma_f32_16x16x4f32 a[0:3], v2, v3, a[0:3]
	v_lshrrev_b32_e32 v3, 8, v9
	s_movk_i32 s4, 0x7f
	v_cmp_gt_i16_sdwa s[6:7], v3, s4 src0_sel:BYTE_0 src1_sel:DWORD
	s_mov_b64 s[4:5], 0
                                        ; implicit-def: $sgpr10
	s_and_saveexec_b64 s[8:9], s[6:7]
	s_xor_b64 s[6:7], exec, s[8:9]
	s_cbranch_execnz .LBB34_2537
; %bb.489:
	s_or_saveexec_b64 s[6:7], s[6:7]
	v_mov_b32_e32 v2, s10
	s_xor_b64 exec, exec, s[6:7]
	s_cbranch_execnz .LBB34_2540
.LBB34_490:
	s_or_b64 exec, exec, s[6:7]
	s_and_saveexec_b64 s[6:7], s[4:5]
	s_cbranch_execz .LBB34_492
.LBB34_491:
	v_bfe_u32 v2, v9, 8, 3
	v_ffbh_u32_e32 v6, v2
	v_min_u32_e32 v6, 32, v6
	v_lshrrev_b16_e32 v4, 3, v3
	v_subrev_u32_e32 v7, 28, v6
	v_and_b32_e32 v4, 15, v4
	v_lshlrev_b32_e32 v3, v7, v3
	v_sub_u32_e32 v6, 29, v6
	v_and_b32_e32 v3, 7, v3
	v_cmp_eq_u16_e32 vcc, 0, v4
	v_cndmask_b32_e32 v2, v2, v3, vcc
	v_cndmask_b32_e32 v3, v4, v6, vcc
	v_lshlrev_b32_e32 v4, 16, v9
	v_mov_b32_e32 v6, 0x3b800000
	v_lshlrev_b32_e32 v2, 20, v2
	v_and_b32_e32 v4, 0x80000000, v4
	v_lshl_add_u32 v3, v3, 23, v6
	v_or3_b32 v2, v4, v3, v2
.LBB34_492:
	s_or_b64 exec, exec, s[6:7]
	v_lshrrev_b32_e32 v3, 8, v5
	s_movk_i32 s4, 0x7f
	v_cmp_gt_i16_sdwa s[6:7], v3, s4 src0_sel:BYTE_0 src1_sel:DWORD
	s_mov_b64 s[4:5], 0
                                        ; implicit-def: $sgpr10
	s_and_saveexec_b64 s[8:9], s[6:7]
	s_xor_b64 s[6:7], exec, s[8:9]
	s_cbranch_execnz .LBB34_2541
; %bb.493:
	s_or_saveexec_b64 s[6:7], s[6:7]
	v_mov_b32_e32 v4, s10
	s_xor_b64 exec, exec, s[6:7]
	s_cbranch_execnz .LBB34_2544
.LBB34_494:
	s_or_b64 exec, exec, s[6:7]
	s_and_saveexec_b64 s[6:7], s[4:5]
	s_cbranch_execz .LBB34_496
.LBB34_495:
	v_bfe_u32 v4, v5, 8, 3
	v_ffbh_u32_e32 v7, v4
	v_min_u32_e32 v7, 32, v7
	v_lshrrev_b16_e32 v6, 3, v3
	v_subrev_u32_e32 v8, 28, v7
	v_and_b32_e32 v6, 15, v6
	v_lshlrev_b32_e32 v3, v8, v3
	v_sub_u32_e32 v7, 29, v7
	v_and_b32_e32 v3, 7, v3
	v_cmp_eq_u16_e32 vcc, 0, v6
	v_cndmask_b32_e32 v3, v4, v3, vcc
	v_cndmask_b32_e32 v4, v6, v7, vcc
	v_lshlrev_b32_e32 v6, 16, v5
	v_mov_b32_e32 v7, 0x3b800000
	v_lshlrev_b32_e32 v3, 20, v3
	v_and_b32_e32 v6, 0x80000000, v6
	v_lshl_add_u32 v4, v4, 23, v7
	v_or3_b32 v4, v6, v4, v3
.LBB34_496:
	s_or_b64 exec, exec, s[6:7]
	s_nop 0
	v_mfma_f32_16x16x4f32 a[0:3], v2, v4, a[0:3]
	s_movk_i32 s4, 0xff
	v_and_b32_sdwa v3, v9, s4 dst_sel:DWORD dst_unused:UNUSED_PAD src0_sel:WORD_1 src1_sel:DWORD
	s_movk_i32 s4, 0x7f
	v_cmp_lt_i16_e32 vcc, s4, v3
	s_mov_b64 s[4:5], 0
                                        ; implicit-def: $sgpr10
	s_and_saveexec_b64 s[6:7], vcc
	s_xor_b64 s[6:7], exec, s[6:7]
	s_cbranch_execnz .LBB34_2545
; %bb.497:
	s_or_saveexec_b64 s[6:7], s[6:7]
	v_mov_b32_e32 v2, s10
	s_xor_b64 exec, exec, s[6:7]
	s_cbranch_execnz .LBB34_2548
.LBB34_498:
	s_or_b64 exec, exec, s[6:7]
	s_and_saveexec_b64 s[6:7], s[4:5]
	s_cbranch_execz .LBB34_500
.LBB34_499:
	v_bfe_u32 v2, v9, 16, 3
	v_ffbh_u32_e32 v6, v2
	v_min_u32_e32 v6, 32, v6
	v_lshrrev_b32_e32 v3, 19, v9
	v_subrev_u32_e32 v7, 28, v6
	v_and_b32_e32 v3, 15, v3
	v_lshlrev_b32_sdwa v7, v7, v9 dst_sel:DWORD dst_unused:UNUSED_PAD src0_sel:DWORD src1_sel:WORD_1
	v_bfe_u32 v4, v9, 19, 4
	v_sub_u32_e32 v6, 29, v6
	v_and_b32_e32 v7, 7, v7
	v_cmp_eq_u16_e32 vcc, 0, v3
	v_cndmask_b32_e32 v2, v2, v7, vcc
	v_cndmask_b32_e32 v3, v4, v6, vcc
	v_lshlrev_b32_e32 v4, 8, v9
	v_mov_b32_e32 v6, 0x3b800000
	v_lshlrev_b32_e32 v2, 20, v2
	v_and_b32_e32 v4, 0x80000000, v4
	v_lshl_add_u32 v3, v3, 23, v6
	v_or3_b32 v2, v4, v3, v2
.LBB34_500:
	s_or_b64 exec, exec, s[6:7]
	s_movk_i32 s4, 0xff
	v_and_b32_sdwa v3, v5, s4 dst_sel:DWORD dst_unused:UNUSED_PAD src0_sel:WORD_1 src1_sel:DWORD
	s_movk_i32 s4, 0x7f
	v_cmp_lt_i16_e32 vcc, s4, v3
	s_mov_b64 s[4:5], 0
                                        ; implicit-def: $sgpr10
	s_and_saveexec_b64 s[6:7], vcc
	s_xor_b64 s[6:7], exec, s[6:7]
	s_cbranch_execnz .LBB34_2549
; %bb.501:
	s_or_saveexec_b64 s[6:7], s[6:7]
	v_mov_b32_e32 v4, s10
	s_xor_b64 exec, exec, s[6:7]
	s_cbranch_execnz .LBB34_2552
.LBB34_502:
	s_or_b64 exec, exec, s[6:7]
	s_and_saveexec_b64 s[6:7], s[4:5]
	s_cbranch_execz .LBB34_504
.LBB34_503:
	v_bfe_u32 v3, v5, 16, 3
	v_ffbh_u32_e32 v7, v3
	v_min_u32_e32 v7, 32, v7
	v_lshrrev_b32_e32 v4, 19, v5
	v_subrev_u32_e32 v8, 28, v7
	v_and_b32_e32 v4, 15, v4
	v_lshlrev_b32_sdwa v8, v8, v5 dst_sel:DWORD dst_unused:UNUSED_PAD src0_sel:DWORD src1_sel:WORD_1
	v_bfe_u32 v6, v5, 19, 4
	v_sub_u32_e32 v7, 29, v7
	v_and_b32_e32 v8, 7, v8
	v_cmp_eq_u16_e32 vcc, 0, v4
	v_cndmask_b32_e32 v3, v3, v8, vcc
	v_cndmask_b32_e32 v4, v6, v7, vcc
	v_lshlrev_b32_e32 v6, 8, v5
	v_mov_b32_e32 v7, 0x3b800000
	v_lshlrev_b32_e32 v3, 20, v3
	v_and_b32_e32 v6, 0x80000000, v6
	v_lshl_add_u32 v4, v4, 23, v7
	v_or3_b32 v4, v6, v4, v3
.LBB34_504:
	s_or_b64 exec, exec, s[6:7]
	s_nop 0
	v_mfma_f32_16x16x4f32 a[0:3], v2, v4, a[0:3]
	s_movk_i32 s4, 0x7f
	v_cmp_gt_i16_sdwa s[6:7], v9, s4 src0_sel:BYTE_3 src1_sel:DWORD
	s_mov_b64 s[4:5], 0
                                        ; implicit-def: $sgpr10
	s_and_saveexec_b64 s[8:9], s[6:7]
	s_xor_b64 s[6:7], exec, s[8:9]
	s_cbranch_execnz .LBB34_2553
; %bb.505:
	s_or_saveexec_b64 s[6:7], s[6:7]
	v_mov_b32_e32 v2, s10
	s_xor_b64 exec, exec, s[6:7]
	s_cbranch_execnz .LBB34_2556
.LBB34_506:
	s_or_b64 exec, exec, s[6:7]
	s_and_saveexec_b64 s[6:7], s[4:5]
	s_cbranch_execz .LBB34_508
.LBB34_507:
	v_bfe_u32 v2, v9, 24, 3
	v_ffbh_u32_e32 v7, v2
	v_min_u32_e32 v7, 32, v7
	v_lshrrev_b32_e32 v4, 27, v9
	v_subrev_u32_e32 v8, 28, v7
	v_and_b32_e32 v4, 15, v4
	v_lshlrev_b32_sdwa v8, v8, v9 dst_sel:DWORD dst_unused:UNUSED_PAD src0_sel:DWORD src1_sel:BYTE_3
	v_bfe_u32 v6, v9, 27, 4
	v_sub_u32_e32 v7, 29, v7
	v_and_b32_e32 v8, 7, v8
	v_cmp_eq_u16_e32 vcc, 0, v4
	v_cndmask_b32_e32 v2, v2, v8, vcc
	v_cndmask_b32_e32 v4, v6, v7, vcc
	v_mov_b32_e32 v6, 0x3b800000
	v_and_b32_e32 v3, 0x80000000, v9
	v_lshlrev_b32_e32 v2, 20, v2
	v_lshl_add_u32 v4, v4, 23, v6
	v_or3_b32 v2, v3, v4, v2
.LBB34_508:
	s_or_b64 exec, exec, s[6:7]
	s_movk_i32 s4, 0x7f
	v_cmp_gt_i16_sdwa s[6:7], v5, s4 src0_sel:BYTE_3 src1_sel:DWORD
	s_mov_b64 s[4:5], 0
                                        ; implicit-def: $sgpr10
	s_and_saveexec_b64 s[8:9], s[6:7]
	s_xor_b64 s[6:7], exec, s[8:9]
	s_cbranch_execnz .LBB34_2557
; %bb.509:
	s_or_saveexec_b64 s[6:7], s[6:7]
	v_mov_b32_e32 v3, s10
	s_xor_b64 exec, exec, s[6:7]
	s_cbranch_execnz .LBB34_2560
.LBB34_510:
	s_or_b64 exec, exec, s[6:7]
	s_and_saveexec_b64 s[6:7], s[4:5]
	s_cbranch_execz .LBB34_512
.LBB34_511:
	v_bfe_u32 v3, v5, 24, 3
	v_ffbh_u32_e32 v8, v3
	v_min_u32_e32 v8, 32, v8
	v_lshrrev_b32_e32 v6, 27, v5
	v_subrev_u32_e32 v9, 28, v8
	v_and_b32_e32 v4, 0x80000000, v5
	v_and_b32_e32 v6, 15, v6
	v_bfe_u32 v7, v5, 27, 4
	v_lshlrev_b32_sdwa v5, v9, v5 dst_sel:DWORD dst_unused:UNUSED_PAD src0_sel:DWORD src1_sel:BYTE_3
	v_sub_u32_e32 v8, 29, v8
	v_and_b32_e32 v5, 7, v5
	v_cmp_eq_u16_e32 vcc, 0, v6
	v_cndmask_b32_e32 v3, v3, v5, vcc
	v_cndmask_b32_e32 v5, v7, v8, vcc
	v_mov_b32_e32 v6, 0x3b800000
	v_lshlrev_b32_e32 v3, 20, v3
	v_lshl_add_u32 v5, v5, 23, v6
	v_or3_b32 v3, v4, v5, v3
.LBB34_512:
	s_or_b64 exec, exec, s[6:7]
	s_nop 0
	v_mfma_f32_16x16x4f32 a[0:3], v2, v3, a[0:3]
	s_movk_i32 s4, 0x7f
                                        ; implicit-def: $sgpr10
	s_nop 7
	s_nop 1
	flat_store_dwordx4 v[18:19], a[0:3] offset:784
	flat_load_dwordx4 v[20:23], v[0:1] offset:16
	s_nop 0
	flat_load_dwordx2 v[18:19], v[0:1] offset:32
	s_waitcnt vmcnt(0) lgkmcnt(0)
	flat_load_dwordx4 v[14:17], v[20:21]
	flat_load_dwordx4 v[6:9], v[20:21] offset:16
	flat_load_dwordx4 v[10:13], v[22:23] offset:64
	;; [unrolled: 1-line block ×3, first 2 shown]
	s_waitcnt vmcnt(0) lgkmcnt(0)
	v_cmp_gt_i16_sdwa s[6:7], v14, s4 src0_sel:BYTE_0 src1_sel:DWORD
	s_mov_b64 s[4:5], 0
	s_and_saveexec_b64 s[8:9], s[6:7]
	s_xor_b64 s[6:7], exec, s[8:9]
	s_cbranch_execnz .LBB34_2561
; %bb.513:
	s_or_saveexec_b64 s[6:7], s[6:7]
	v_mov_b32_e32 v20, s10
	s_xor_b64 exec, exec, s[6:7]
	s_cbranch_execnz .LBB34_2564
.LBB34_514:
	s_or_b64 exec, exec, s[6:7]
	s_and_saveexec_b64 s[6:7], s[4:5]
	s_cbranch_execz .LBB34_516
.LBB34_515:
	v_and_b32_e32 v20, 7, v14
	v_ffbh_u32_e32 v22, v20
	v_min_u32_e32 v22, 32, v22
	v_lshrrev_b16_e32 v21, 3, v14
	v_subrev_u32_e32 v23, 28, v22
	v_and_b32_e32 v21, 15, v21
	v_lshlrev_b32_e32 v23, v23, v14
	v_sub_u32_e32 v22, 29, v22
	v_and_b32_e32 v23, 7, v23
	v_cmp_eq_u16_e32 vcc, 0, v21
	v_cndmask_b32_e32 v20, v20, v23, vcc
	v_cndmask_b32_e32 v21, v21, v22, vcc
	v_lshlrev_b32_e32 v22, 24, v14
	v_mov_b32_e32 v23, 0x3b800000
	v_lshlrev_b32_e32 v20, 20, v20
	v_and_b32_e32 v22, 0x80000000, v22
	v_lshl_add_u32 v21, v21, 23, v23
	v_or3_b32 v20, v22, v21, v20
.LBB34_516:
	s_or_b64 exec, exec, s[6:7]
	s_movk_i32 s4, 0x7f
	v_cmp_gt_i16_sdwa s[6:7], v10, s4 src0_sel:BYTE_0 src1_sel:DWORD
	s_mov_b64 s[4:5], 0
                                        ; implicit-def: $sgpr10
	s_and_saveexec_b64 s[8:9], s[6:7]
	s_xor_b64 s[6:7], exec, s[8:9]
	s_cbranch_execnz .LBB34_2565
; %bb.517:
	s_or_saveexec_b64 s[6:7], s[6:7]
	v_mov_b32_e32 v21, s10
	s_xor_b64 exec, exec, s[6:7]
	s_cbranch_execnz .LBB34_2568
.LBB34_518:
	s_or_b64 exec, exec, s[6:7]
	s_and_saveexec_b64 s[6:7], s[4:5]
	s_cbranch_execz .LBB34_520
.LBB34_519:
	v_and_b32_e32 v21, 7, v10
	v_ffbh_u32_e32 v23, v21
	v_min_u32_e32 v23, 32, v23
	v_lshrrev_b16_e32 v22, 3, v10
	v_subrev_u32_e32 v24, 28, v23
	v_and_b32_e32 v22, 15, v22
	v_lshlrev_b32_e32 v24, v24, v10
	v_sub_u32_e32 v23, 29, v23
	v_and_b32_e32 v24, 7, v24
	v_cmp_eq_u16_e32 vcc, 0, v22
	v_cndmask_b32_e32 v21, v21, v24, vcc
	v_cndmask_b32_e32 v22, v22, v23, vcc
	v_lshlrev_b32_e32 v23, 24, v10
	v_mov_b32_e32 v24, 0x3b800000
	v_lshlrev_b32_e32 v21, 20, v21
	v_and_b32_e32 v23, 0x80000000, v23
	v_lshl_add_u32 v22, v22, 23, v24
	v_or3_b32 v21, v23, v22, v21
.LBB34_520:
	s_or_b64 exec, exec, s[6:7]
	flat_load_dwordx4 a[0:3], v[18:19] offset:800
	s_movk_i32 s4, 0x7f
                                        ; implicit-def: $sgpr10
	s_waitcnt vmcnt(0) lgkmcnt(0)
	v_mfma_f32_16x16x4f32 a[0:3], v20, v21, a[0:3]
	v_lshrrev_b32_e32 v21, 8, v14
	v_cmp_gt_i16_sdwa s[6:7], v21, s4 src0_sel:BYTE_0 src1_sel:DWORD
	s_mov_b64 s[4:5], 0
	s_and_saveexec_b64 s[8:9], s[6:7]
	s_xor_b64 s[6:7], exec, s[8:9]
	s_cbranch_execnz .LBB34_2569
; %bb.521:
	s_or_saveexec_b64 s[6:7], s[6:7]
	v_mov_b32_e32 v20, s10
	s_xor_b64 exec, exec, s[6:7]
	s_cbranch_execnz .LBB34_2572
.LBB34_522:
	s_or_b64 exec, exec, s[6:7]
	s_and_saveexec_b64 s[6:7], s[4:5]
	s_cbranch_execz .LBB34_524
.LBB34_523:
	v_bfe_u32 v20, v14, 8, 3
	v_ffbh_u32_e32 v23, v20
	v_min_u32_e32 v23, 32, v23
	v_lshrrev_b16_e32 v22, 3, v21
	v_subrev_u32_e32 v24, 28, v23
	v_and_b32_e32 v22, 15, v22
	v_lshlrev_b32_e32 v21, v24, v21
	v_sub_u32_e32 v23, 29, v23
	v_and_b32_e32 v21, 7, v21
	v_cmp_eq_u16_e32 vcc, 0, v22
	v_cndmask_b32_e32 v20, v20, v21, vcc
	v_cndmask_b32_e32 v21, v22, v23, vcc
	v_lshlrev_b32_e32 v22, 16, v14
	v_mov_b32_e32 v23, 0x3b800000
	v_lshlrev_b32_e32 v20, 20, v20
	v_and_b32_e32 v22, 0x80000000, v22
	v_lshl_add_u32 v21, v21, 23, v23
	v_or3_b32 v20, v22, v21, v20
.LBB34_524:
	s_or_b64 exec, exec, s[6:7]
	v_lshrrev_b32_e32 v21, 8, v10
	s_movk_i32 s4, 0x7f
	v_cmp_gt_i16_sdwa s[6:7], v21, s4 src0_sel:BYTE_0 src1_sel:DWORD
	s_mov_b64 s[4:5], 0
                                        ; implicit-def: $sgpr10
	s_and_saveexec_b64 s[8:9], s[6:7]
	s_xor_b64 s[6:7], exec, s[8:9]
	s_cbranch_execnz .LBB34_2573
; %bb.525:
	s_or_saveexec_b64 s[6:7], s[6:7]
	v_mov_b32_e32 v22, s10
	s_xor_b64 exec, exec, s[6:7]
	s_cbranch_execnz .LBB34_2576
.LBB34_526:
	s_or_b64 exec, exec, s[6:7]
	s_and_saveexec_b64 s[6:7], s[4:5]
	s_cbranch_execz .LBB34_528
.LBB34_527:
	v_bfe_u32 v22, v10, 8, 3
	v_ffbh_u32_e32 v24, v22
	v_min_u32_e32 v24, 32, v24
	v_lshrrev_b16_e32 v23, 3, v21
	v_subrev_u32_e32 v25, 28, v24
	v_and_b32_e32 v23, 15, v23
	v_lshlrev_b32_e32 v21, v25, v21
	v_sub_u32_e32 v24, 29, v24
	v_and_b32_e32 v21, 7, v21
	v_cmp_eq_u16_e32 vcc, 0, v23
	v_cndmask_b32_e32 v21, v22, v21, vcc
	v_cndmask_b32_e32 v22, v23, v24, vcc
	v_lshlrev_b32_e32 v23, 16, v10
	v_mov_b32_e32 v24, 0x3b800000
	v_lshlrev_b32_e32 v21, 20, v21
	v_and_b32_e32 v23, 0x80000000, v23
	v_lshl_add_u32 v22, v22, 23, v24
	v_or3_b32 v22, v23, v22, v21
.LBB34_528:
	s_or_b64 exec, exec, s[6:7]
	s_nop 0
	v_mfma_f32_16x16x4f32 a[0:3], v20, v22, a[0:3]
	s_movk_i32 s4, 0xff
	v_and_b32_sdwa v21, v14, s4 dst_sel:DWORD dst_unused:UNUSED_PAD src0_sel:WORD_1 src1_sel:DWORD
	s_movk_i32 s4, 0x7f
	v_cmp_lt_i16_e32 vcc, s4, v21
	s_mov_b64 s[4:5], 0
                                        ; implicit-def: $sgpr10
	s_and_saveexec_b64 s[6:7], vcc
	s_xor_b64 s[6:7], exec, s[6:7]
	s_cbranch_execnz .LBB34_2577
; %bb.529:
	s_or_saveexec_b64 s[6:7], s[6:7]
	v_mov_b32_e32 v20, s10
	s_xor_b64 exec, exec, s[6:7]
	s_cbranch_execnz .LBB34_2580
.LBB34_530:
	s_or_b64 exec, exec, s[6:7]
	s_and_saveexec_b64 s[6:7], s[4:5]
	s_cbranch_execz .LBB34_532
.LBB34_531:
	v_bfe_u32 v20, v14, 16, 3
	v_ffbh_u32_e32 v23, v20
	v_min_u32_e32 v23, 32, v23
	v_lshrrev_b32_e32 v21, 19, v14
	v_subrev_u32_e32 v24, 28, v23
	v_and_b32_e32 v21, 15, v21
	v_lshlrev_b32_sdwa v24, v24, v14 dst_sel:DWORD dst_unused:UNUSED_PAD src0_sel:DWORD src1_sel:WORD_1
	v_bfe_u32 v22, v14, 19, 4
	v_sub_u32_e32 v23, 29, v23
	v_and_b32_e32 v24, 7, v24
	v_cmp_eq_u16_e32 vcc, 0, v21
	v_cndmask_b32_e32 v20, v20, v24, vcc
	v_cndmask_b32_e32 v21, v22, v23, vcc
	v_lshlrev_b32_e32 v22, 8, v14
	v_mov_b32_e32 v23, 0x3b800000
	v_lshlrev_b32_e32 v20, 20, v20
	v_and_b32_e32 v22, 0x80000000, v22
	v_lshl_add_u32 v21, v21, 23, v23
	v_or3_b32 v20, v22, v21, v20
.LBB34_532:
	s_or_b64 exec, exec, s[6:7]
	s_movk_i32 s4, 0xff
	v_and_b32_sdwa v21, v10, s4 dst_sel:DWORD dst_unused:UNUSED_PAD src0_sel:WORD_1 src1_sel:DWORD
	s_movk_i32 s4, 0x7f
	v_cmp_lt_i16_e32 vcc, s4, v21
	s_mov_b64 s[4:5], 0
                                        ; implicit-def: $sgpr10
	s_and_saveexec_b64 s[6:7], vcc
	s_xor_b64 s[6:7], exec, s[6:7]
	s_cbranch_execnz .LBB34_2581
; %bb.533:
	s_or_saveexec_b64 s[6:7], s[6:7]
	v_mov_b32_e32 v22, s10
	s_xor_b64 exec, exec, s[6:7]
	s_cbranch_execnz .LBB34_2584
.LBB34_534:
	s_or_b64 exec, exec, s[6:7]
	s_and_saveexec_b64 s[6:7], s[4:5]
	s_cbranch_execz .LBB34_536
.LBB34_535:
	v_bfe_u32 v21, v10, 16, 3
	v_ffbh_u32_e32 v24, v21
	v_min_u32_e32 v24, 32, v24
	v_lshrrev_b32_e32 v22, 19, v10
	v_subrev_u32_e32 v25, 28, v24
	v_and_b32_e32 v22, 15, v22
	v_lshlrev_b32_sdwa v25, v25, v10 dst_sel:DWORD dst_unused:UNUSED_PAD src0_sel:DWORD src1_sel:WORD_1
	v_bfe_u32 v23, v10, 19, 4
	v_sub_u32_e32 v24, 29, v24
	v_and_b32_e32 v25, 7, v25
	v_cmp_eq_u16_e32 vcc, 0, v22
	v_cndmask_b32_e32 v21, v21, v25, vcc
	v_cndmask_b32_e32 v22, v23, v24, vcc
	v_lshlrev_b32_e32 v23, 8, v10
	v_mov_b32_e32 v24, 0x3b800000
	v_lshlrev_b32_e32 v21, 20, v21
	v_and_b32_e32 v23, 0x80000000, v23
	v_lshl_add_u32 v22, v22, 23, v24
	v_or3_b32 v22, v23, v22, v21
.LBB34_536:
	s_or_b64 exec, exec, s[6:7]
	s_nop 0
	v_mfma_f32_16x16x4f32 a[0:3], v20, v22, a[0:3]
	s_movk_i32 s4, 0x7f
	v_cmp_gt_i16_sdwa s[6:7], v14, s4 src0_sel:BYTE_3 src1_sel:DWORD
	s_mov_b64 s[4:5], 0
                                        ; implicit-def: $sgpr10
	s_and_saveexec_b64 s[8:9], s[6:7]
	s_xor_b64 s[6:7], exec, s[8:9]
	s_cbranch_execnz .LBB34_2585
; %bb.537:
	s_or_saveexec_b64 s[6:7], s[6:7]
	v_mov_b32_e32 v20, s10
	s_xor_b64 exec, exec, s[6:7]
	s_cbranch_execnz .LBB34_2588
.LBB34_538:
	s_or_b64 exec, exec, s[6:7]
	s_and_saveexec_b64 s[6:7], s[4:5]
	s_cbranch_execz .LBB34_540
.LBB34_539:
	v_bfe_u32 v20, v14, 24, 3
	v_ffbh_u32_e32 v24, v20
	v_min_u32_e32 v24, 32, v24
	v_lshrrev_b32_e32 v22, 27, v14
	v_subrev_u32_e32 v25, 28, v24
	v_and_b32_e32 v21, 0x80000000, v14
	v_and_b32_e32 v22, 15, v22
	v_bfe_u32 v23, v14, 27, 4
	v_lshlrev_b32_sdwa v14, v25, v14 dst_sel:DWORD dst_unused:UNUSED_PAD src0_sel:DWORD src1_sel:BYTE_3
	v_sub_u32_e32 v24, 29, v24
	v_and_b32_e32 v14, 7, v14
	v_cmp_eq_u16_e32 vcc, 0, v22
	v_cndmask_b32_e32 v14, v20, v14, vcc
	v_cndmask_b32_e32 v20, v23, v24, vcc
	v_mov_b32_e32 v22, 0x3b800000
	v_lshlrev_b32_e32 v14, 20, v14
	v_lshl_add_u32 v20, v20, 23, v22
	v_or3_b32 v20, v21, v20, v14
.LBB34_540:
	s_or_b64 exec, exec, s[6:7]
	s_movk_i32 s4, 0x7f
	v_cmp_gt_i16_sdwa s[6:7], v10, s4 src0_sel:BYTE_3 src1_sel:DWORD
	s_mov_b64 s[4:5], 0
                                        ; implicit-def: $sgpr10
	s_and_saveexec_b64 s[8:9], s[6:7]
	s_xor_b64 s[6:7], exec, s[8:9]
	s_cbranch_execnz .LBB34_2589
; %bb.541:
	s_or_saveexec_b64 s[6:7], s[6:7]
	v_mov_b32_e32 v14, s10
	s_xor_b64 exec, exec, s[6:7]
	s_cbranch_execnz .LBB34_2592
.LBB34_542:
	s_or_b64 exec, exec, s[6:7]
	s_and_saveexec_b64 s[6:7], s[4:5]
	s_cbranch_execz .LBB34_544
.LBB34_543:
	v_bfe_u32 v14, v10, 24, 3
	v_ffbh_u32_e32 v24, v14
	v_min_u32_e32 v24, 32, v24
	v_lshrrev_b32_e32 v22, 27, v10
	v_subrev_u32_e32 v25, 28, v24
	v_and_b32_e32 v21, 0x80000000, v10
	v_and_b32_e32 v22, 15, v22
	v_bfe_u32 v23, v10, 27, 4
	v_lshlrev_b32_sdwa v10, v25, v10 dst_sel:DWORD dst_unused:UNUSED_PAD src0_sel:DWORD src1_sel:BYTE_3
	v_sub_u32_e32 v24, 29, v24
	v_and_b32_e32 v10, 7, v10
	v_cmp_eq_u16_e32 vcc, 0, v22
	v_cndmask_b32_e32 v10, v14, v10, vcc
	v_cndmask_b32_e32 v14, v23, v24, vcc
	v_mov_b32_e32 v22, 0x3b800000
	v_lshlrev_b32_e32 v10, 20, v10
	v_lshl_add_u32 v14, v14, 23, v22
	v_or3_b32 v14, v21, v14, v10
.LBB34_544:
	s_or_b64 exec, exec, s[6:7]
	s_nop 0
	v_mfma_f32_16x16x4f32 a[0:3], v20, v14, a[0:3]
	s_movk_i32 s4, 0x7f
	v_cmp_gt_i16_sdwa s[6:7], v15, s4 src0_sel:BYTE_0 src1_sel:DWORD
	s_mov_b64 s[4:5], 0
                                        ; implicit-def: $sgpr10
	s_and_saveexec_b64 s[8:9], s[6:7]
	s_xor_b64 s[6:7], exec, s[8:9]
	s_cbranch_execnz .LBB34_2593
; %bb.545:
	s_or_saveexec_b64 s[6:7], s[6:7]
	v_mov_b32_e32 v10, s10
	s_xor_b64 exec, exec, s[6:7]
	s_cbranch_execnz .LBB34_2596
.LBB34_546:
	s_or_b64 exec, exec, s[6:7]
	s_and_saveexec_b64 s[6:7], s[4:5]
	s_cbranch_execz .LBB34_548
.LBB34_547:
	v_and_b32_e32 v10, 7, v15
	v_ffbh_u32_e32 v20, v10
	v_min_u32_e32 v20, 32, v20
	v_lshrrev_b16_e32 v14, 3, v15
	v_subrev_u32_e32 v21, 28, v20
	v_and_b32_e32 v14, 15, v14
	v_lshlrev_b32_e32 v21, v21, v15
	v_sub_u32_e32 v20, 29, v20
	v_and_b32_e32 v21, 7, v21
	v_cmp_eq_u16_e32 vcc, 0, v14
	v_cndmask_b32_e32 v10, v10, v21, vcc
	v_cndmask_b32_e32 v14, v14, v20, vcc
	v_lshlrev_b32_e32 v20, 24, v15
	v_mov_b32_e32 v21, 0x3b800000
	v_lshlrev_b32_e32 v10, 20, v10
	v_and_b32_e32 v20, 0x80000000, v20
	v_lshl_add_u32 v14, v14, 23, v21
	v_or3_b32 v10, v20, v14, v10
.LBB34_548:
	s_or_b64 exec, exec, s[6:7]
	s_movk_i32 s4, 0x7f
	v_cmp_gt_i16_sdwa s[6:7], v11, s4 src0_sel:BYTE_0 src1_sel:DWORD
	s_mov_b64 s[4:5], 0
                                        ; implicit-def: $sgpr10
	s_and_saveexec_b64 s[8:9], s[6:7]
	s_xor_b64 s[6:7], exec, s[8:9]
	s_cbranch_execnz .LBB34_2597
; %bb.549:
	s_or_saveexec_b64 s[6:7], s[6:7]
	v_mov_b32_e32 v14, s10
	s_xor_b64 exec, exec, s[6:7]
	s_cbranch_execnz .LBB34_2600
.LBB34_550:
	s_or_b64 exec, exec, s[6:7]
	s_and_saveexec_b64 s[6:7], s[4:5]
	s_cbranch_execz .LBB34_552
.LBB34_551:
	v_and_b32_e32 v14, 7, v11
	v_ffbh_u32_e32 v21, v14
	v_min_u32_e32 v21, 32, v21
	v_lshrrev_b16_e32 v20, 3, v11
	v_subrev_u32_e32 v22, 28, v21
	v_and_b32_e32 v20, 15, v20
	v_lshlrev_b32_e32 v22, v22, v11
	v_sub_u32_e32 v21, 29, v21
	v_and_b32_e32 v22, 7, v22
	v_cmp_eq_u16_e32 vcc, 0, v20
	v_cndmask_b32_e32 v14, v14, v22, vcc
	v_cndmask_b32_e32 v20, v20, v21, vcc
	v_lshlrev_b32_e32 v21, 24, v11
	v_mov_b32_e32 v22, 0x3b800000
	v_lshlrev_b32_e32 v14, 20, v14
	v_and_b32_e32 v21, 0x80000000, v21
	v_lshl_add_u32 v20, v20, 23, v22
	v_or3_b32 v14, v21, v20, v14
.LBB34_552:
	s_or_b64 exec, exec, s[6:7]
	s_nop 0
	v_mfma_f32_16x16x4f32 a[0:3], v10, v14, a[0:3]
	v_lshrrev_b32_e32 v14, 8, v15
	s_movk_i32 s4, 0x7f
	v_cmp_gt_i16_sdwa s[6:7], v14, s4 src0_sel:BYTE_0 src1_sel:DWORD
	s_mov_b64 s[4:5], 0
                                        ; implicit-def: $sgpr10
	s_and_saveexec_b64 s[8:9], s[6:7]
	s_xor_b64 s[6:7], exec, s[8:9]
	s_cbranch_execnz .LBB34_2601
; %bb.553:
	s_or_saveexec_b64 s[6:7], s[6:7]
	v_mov_b32_e32 v10, s10
	s_xor_b64 exec, exec, s[6:7]
	s_cbranch_execnz .LBB34_2604
.LBB34_554:
	s_or_b64 exec, exec, s[6:7]
	s_and_saveexec_b64 s[6:7], s[4:5]
	s_cbranch_execz .LBB34_556
.LBB34_555:
	v_bfe_u32 v10, v15, 8, 3
	v_ffbh_u32_e32 v21, v10
	v_min_u32_e32 v21, 32, v21
	v_lshrrev_b16_e32 v20, 3, v14
	v_subrev_u32_e32 v22, 28, v21
	v_and_b32_e32 v20, 15, v20
	v_lshlrev_b32_e32 v14, v22, v14
	v_sub_u32_e32 v21, 29, v21
	v_and_b32_e32 v14, 7, v14
	v_cmp_eq_u16_e32 vcc, 0, v20
	v_cndmask_b32_e32 v10, v10, v14, vcc
	v_cndmask_b32_e32 v14, v20, v21, vcc
	v_lshlrev_b32_e32 v20, 16, v15
	v_mov_b32_e32 v21, 0x3b800000
	v_lshlrev_b32_e32 v10, 20, v10
	v_and_b32_e32 v20, 0x80000000, v20
	v_lshl_add_u32 v14, v14, 23, v21
	v_or3_b32 v10, v20, v14, v10
.LBB34_556:
	s_or_b64 exec, exec, s[6:7]
	v_lshrrev_b32_e32 v14, 8, v11
	s_movk_i32 s4, 0x7f
	v_cmp_gt_i16_sdwa s[6:7], v14, s4 src0_sel:BYTE_0 src1_sel:DWORD
	s_mov_b64 s[4:5], 0
                                        ; implicit-def: $sgpr10
	s_and_saveexec_b64 s[8:9], s[6:7]
	s_xor_b64 s[6:7], exec, s[8:9]
	s_cbranch_execnz .LBB34_2605
; %bb.557:
	s_or_saveexec_b64 s[6:7], s[6:7]
	v_mov_b32_e32 v20, s10
	s_xor_b64 exec, exec, s[6:7]
	s_cbranch_execnz .LBB34_2608
.LBB34_558:
	s_or_b64 exec, exec, s[6:7]
	s_and_saveexec_b64 s[6:7], s[4:5]
	s_cbranch_execz .LBB34_560
.LBB34_559:
	v_bfe_u32 v20, v11, 8, 3
	v_ffbh_u32_e32 v22, v20
	v_min_u32_e32 v22, 32, v22
	v_lshrrev_b16_e32 v21, 3, v14
	v_subrev_u32_e32 v23, 28, v22
	v_and_b32_e32 v21, 15, v21
	v_lshlrev_b32_e32 v14, v23, v14
	v_sub_u32_e32 v22, 29, v22
	v_and_b32_e32 v14, 7, v14
	v_cmp_eq_u16_e32 vcc, 0, v21
	v_cndmask_b32_e32 v14, v20, v14, vcc
	v_cndmask_b32_e32 v20, v21, v22, vcc
	v_lshlrev_b32_e32 v21, 16, v11
	v_mov_b32_e32 v22, 0x3b800000
	v_lshlrev_b32_e32 v14, 20, v14
	v_and_b32_e32 v21, 0x80000000, v21
	v_lshl_add_u32 v20, v20, 23, v22
	v_or3_b32 v20, v21, v20, v14
.LBB34_560:
	s_or_b64 exec, exec, s[6:7]
	s_nop 0
	v_mfma_f32_16x16x4f32 a[0:3], v10, v20, a[0:3]
	s_movk_i32 s4, 0xff
	v_and_b32_sdwa v14, v15, s4 dst_sel:DWORD dst_unused:UNUSED_PAD src0_sel:WORD_1 src1_sel:DWORD
	s_movk_i32 s4, 0x7f
	v_cmp_lt_i16_e32 vcc, s4, v14
	s_mov_b64 s[4:5], 0
                                        ; implicit-def: $sgpr10
	s_and_saveexec_b64 s[6:7], vcc
	s_xor_b64 s[6:7], exec, s[6:7]
	s_cbranch_execnz .LBB34_2609
; %bb.561:
	s_or_saveexec_b64 s[6:7], s[6:7]
	v_mov_b32_e32 v10, s10
	s_xor_b64 exec, exec, s[6:7]
	s_cbranch_execnz .LBB34_2612
.LBB34_562:
	s_or_b64 exec, exec, s[6:7]
	s_and_saveexec_b64 s[6:7], s[4:5]
	s_cbranch_execz .LBB34_564
.LBB34_563:
	v_bfe_u32 v10, v15, 16, 3
	v_ffbh_u32_e32 v21, v10
	v_min_u32_e32 v21, 32, v21
	v_lshrrev_b32_e32 v14, 19, v15
	v_subrev_u32_e32 v22, 28, v21
	v_and_b32_e32 v14, 15, v14
	v_lshlrev_b32_sdwa v22, v22, v15 dst_sel:DWORD dst_unused:UNUSED_PAD src0_sel:DWORD src1_sel:WORD_1
	v_bfe_u32 v20, v15, 19, 4
	v_sub_u32_e32 v21, 29, v21
	v_and_b32_e32 v22, 7, v22
	v_cmp_eq_u16_e32 vcc, 0, v14
	v_cndmask_b32_e32 v10, v10, v22, vcc
	v_cndmask_b32_e32 v14, v20, v21, vcc
	v_lshlrev_b32_e32 v20, 8, v15
	v_mov_b32_e32 v21, 0x3b800000
	v_lshlrev_b32_e32 v10, 20, v10
	v_and_b32_e32 v20, 0x80000000, v20
	v_lshl_add_u32 v14, v14, 23, v21
	v_or3_b32 v10, v20, v14, v10
.LBB34_564:
	s_or_b64 exec, exec, s[6:7]
	s_movk_i32 s4, 0xff
	v_and_b32_sdwa v14, v11, s4 dst_sel:DWORD dst_unused:UNUSED_PAD src0_sel:WORD_1 src1_sel:DWORD
	s_movk_i32 s4, 0x7f
	v_cmp_lt_i16_e32 vcc, s4, v14
	s_mov_b64 s[4:5], 0
                                        ; implicit-def: $sgpr10
	s_and_saveexec_b64 s[6:7], vcc
	s_xor_b64 s[6:7], exec, s[6:7]
	s_cbranch_execnz .LBB34_2613
; %bb.565:
	s_or_saveexec_b64 s[6:7], s[6:7]
	v_mov_b32_e32 v20, s10
	s_xor_b64 exec, exec, s[6:7]
	s_cbranch_execnz .LBB34_2616
.LBB34_566:
	s_or_b64 exec, exec, s[6:7]
	s_and_saveexec_b64 s[6:7], s[4:5]
	s_cbranch_execz .LBB34_568
.LBB34_567:
	v_bfe_u32 v14, v11, 16, 3
	v_ffbh_u32_e32 v22, v14
	v_min_u32_e32 v22, 32, v22
	v_lshrrev_b32_e32 v20, 19, v11
	v_subrev_u32_e32 v23, 28, v22
	v_and_b32_e32 v20, 15, v20
	v_lshlrev_b32_sdwa v23, v23, v11 dst_sel:DWORD dst_unused:UNUSED_PAD src0_sel:DWORD src1_sel:WORD_1
	v_bfe_u32 v21, v11, 19, 4
	v_sub_u32_e32 v22, 29, v22
	v_and_b32_e32 v23, 7, v23
	v_cmp_eq_u16_e32 vcc, 0, v20
	v_cndmask_b32_e32 v14, v14, v23, vcc
	v_cndmask_b32_e32 v20, v21, v22, vcc
	v_lshlrev_b32_e32 v21, 8, v11
	v_mov_b32_e32 v22, 0x3b800000
	v_lshlrev_b32_e32 v14, 20, v14
	v_and_b32_e32 v21, 0x80000000, v21
	v_lshl_add_u32 v20, v20, 23, v22
	v_or3_b32 v20, v21, v20, v14
.LBB34_568:
	s_or_b64 exec, exec, s[6:7]
	s_nop 0
	v_mfma_f32_16x16x4f32 a[0:3], v10, v20, a[0:3]
	s_movk_i32 s4, 0x7f
	v_cmp_gt_i16_sdwa s[6:7], v15, s4 src0_sel:BYTE_3 src1_sel:DWORD
	s_mov_b64 s[4:5], 0
                                        ; implicit-def: $sgpr10
	s_and_saveexec_b64 s[8:9], s[6:7]
	s_xor_b64 s[6:7], exec, s[8:9]
	s_cbranch_execnz .LBB34_2617
; %bb.569:
	s_or_saveexec_b64 s[6:7], s[6:7]
	v_mov_b32_e32 v10, s10
	s_xor_b64 exec, exec, s[6:7]
	s_cbranch_execnz .LBB34_2620
.LBB34_570:
	s_or_b64 exec, exec, s[6:7]
	s_and_saveexec_b64 s[6:7], s[4:5]
	s_cbranch_execz .LBB34_572
.LBB34_571:
	v_bfe_u32 v10, v15, 24, 3
	v_ffbh_u32_e32 v22, v10
	v_min_u32_e32 v22, 32, v22
	v_lshrrev_b32_e32 v20, 27, v15
	v_subrev_u32_e32 v23, 28, v22
	v_and_b32_e32 v14, 0x80000000, v15
	v_and_b32_e32 v20, 15, v20
	v_bfe_u32 v21, v15, 27, 4
	v_lshlrev_b32_sdwa v15, v23, v15 dst_sel:DWORD dst_unused:UNUSED_PAD src0_sel:DWORD src1_sel:BYTE_3
	v_sub_u32_e32 v22, 29, v22
	v_and_b32_e32 v15, 7, v15
	v_cmp_eq_u16_e32 vcc, 0, v20
	v_cndmask_b32_e32 v10, v10, v15, vcc
	v_cndmask_b32_e32 v15, v21, v22, vcc
	v_mov_b32_e32 v20, 0x3b800000
	v_lshlrev_b32_e32 v10, 20, v10
	v_lshl_add_u32 v15, v15, 23, v20
	v_or3_b32 v10, v14, v15, v10
.LBB34_572:
	s_or_b64 exec, exec, s[6:7]
	s_movk_i32 s4, 0x7f
	v_cmp_gt_i16_sdwa s[6:7], v11, s4 src0_sel:BYTE_3 src1_sel:DWORD
	s_mov_b64 s[4:5], 0
                                        ; implicit-def: $sgpr10
	s_and_saveexec_b64 s[8:9], s[6:7]
	s_xor_b64 s[6:7], exec, s[8:9]
	s_cbranch_execnz .LBB34_2621
; %bb.573:
	s_or_saveexec_b64 s[6:7], s[6:7]
	v_mov_b32_e32 v14, s10
	s_xor_b64 exec, exec, s[6:7]
	s_cbranch_execnz .LBB34_2624
.LBB34_574:
	s_or_b64 exec, exec, s[6:7]
	s_and_saveexec_b64 s[6:7], s[4:5]
	s_cbranch_execz .LBB34_576
.LBB34_575:
	v_bfe_u32 v14, v11, 24, 3
	v_ffbh_u32_e32 v22, v14
	v_min_u32_e32 v22, 32, v22
	v_lshrrev_b32_e32 v20, 27, v11
	v_subrev_u32_e32 v23, 28, v22
	v_and_b32_e32 v15, 0x80000000, v11
	v_and_b32_e32 v20, 15, v20
	v_bfe_u32 v21, v11, 27, 4
	v_lshlrev_b32_sdwa v11, v23, v11 dst_sel:DWORD dst_unused:UNUSED_PAD src0_sel:DWORD src1_sel:BYTE_3
	v_sub_u32_e32 v22, 29, v22
	v_and_b32_e32 v11, 7, v11
	v_cmp_eq_u16_e32 vcc, 0, v20
	v_cndmask_b32_e32 v11, v14, v11, vcc
	v_cndmask_b32_e32 v14, v21, v22, vcc
	v_mov_b32_e32 v20, 0x3b800000
	v_lshlrev_b32_e32 v11, 20, v11
	v_lshl_add_u32 v14, v14, 23, v20
	v_or3_b32 v14, v15, v14, v11
.LBB34_576:
	s_or_b64 exec, exec, s[6:7]
	s_nop 0
	v_mfma_f32_16x16x4f32 a[0:3], v10, v14, a[0:3]
	s_movk_i32 s4, 0x7f
	v_cmp_gt_i16_sdwa s[6:7], v16, s4 src0_sel:BYTE_0 src1_sel:DWORD
	s_mov_b64 s[4:5], 0
                                        ; implicit-def: $sgpr10
	s_and_saveexec_b64 s[8:9], s[6:7]
	s_xor_b64 s[6:7], exec, s[8:9]
	s_cbranch_execnz .LBB34_2625
; %bb.577:
	s_or_saveexec_b64 s[6:7], s[6:7]
	v_mov_b32_e32 v10, s10
	s_xor_b64 exec, exec, s[6:7]
	s_cbranch_execnz .LBB34_2628
.LBB34_578:
	s_or_b64 exec, exec, s[6:7]
	s_and_saveexec_b64 s[6:7], s[4:5]
	s_cbranch_execz .LBB34_580
.LBB34_579:
	v_and_b32_e32 v10, 7, v16
	v_ffbh_u32_e32 v14, v10
	v_min_u32_e32 v14, 32, v14
	v_lshrrev_b16_e32 v11, 3, v16
	v_subrev_u32_e32 v15, 28, v14
	v_and_b32_e32 v11, 15, v11
	v_lshlrev_b32_e32 v15, v15, v16
	v_sub_u32_e32 v14, 29, v14
	v_and_b32_e32 v15, 7, v15
	v_cmp_eq_u16_e32 vcc, 0, v11
	v_cndmask_b32_e32 v10, v10, v15, vcc
	v_cndmask_b32_e32 v11, v11, v14, vcc
	v_lshlrev_b32_e32 v14, 24, v16
	v_mov_b32_e32 v15, 0x3b800000
	v_lshlrev_b32_e32 v10, 20, v10
	v_and_b32_e32 v14, 0x80000000, v14
	v_lshl_add_u32 v11, v11, 23, v15
	v_or3_b32 v10, v14, v11, v10
.LBB34_580:
	s_or_b64 exec, exec, s[6:7]
	s_movk_i32 s4, 0x7f
	v_cmp_gt_i16_sdwa s[6:7], v12, s4 src0_sel:BYTE_0 src1_sel:DWORD
	s_mov_b64 s[4:5], 0
                                        ; implicit-def: $sgpr10
	s_and_saveexec_b64 s[8:9], s[6:7]
	s_xor_b64 s[6:7], exec, s[8:9]
	s_cbranch_execnz .LBB34_2629
; %bb.581:
	s_or_saveexec_b64 s[6:7], s[6:7]
	v_mov_b32_e32 v11, s10
	s_xor_b64 exec, exec, s[6:7]
	s_cbranch_execnz .LBB34_2632
.LBB34_582:
	s_or_b64 exec, exec, s[6:7]
	s_and_saveexec_b64 s[6:7], s[4:5]
	s_cbranch_execz .LBB34_584
.LBB34_583:
	v_and_b32_e32 v11, 7, v12
	v_ffbh_u32_e32 v15, v11
	v_min_u32_e32 v15, 32, v15
	v_lshrrev_b16_e32 v14, 3, v12
	v_subrev_u32_e32 v20, 28, v15
	v_and_b32_e32 v14, 15, v14
	v_lshlrev_b32_e32 v20, v20, v12
	v_sub_u32_e32 v15, 29, v15
	v_and_b32_e32 v20, 7, v20
	v_cmp_eq_u16_e32 vcc, 0, v14
	v_cndmask_b32_e32 v11, v11, v20, vcc
	v_cndmask_b32_e32 v14, v14, v15, vcc
	v_lshlrev_b32_e32 v15, 24, v12
	v_mov_b32_e32 v20, 0x3b800000
	v_lshlrev_b32_e32 v11, 20, v11
	v_and_b32_e32 v15, 0x80000000, v15
	v_lshl_add_u32 v14, v14, 23, v20
	v_or3_b32 v11, v15, v14, v11
.LBB34_584:
	s_or_b64 exec, exec, s[6:7]
	s_nop 0
	v_mfma_f32_16x16x4f32 a[0:3], v10, v11, a[0:3]
	v_lshrrev_b32_e32 v11, 8, v16
	s_movk_i32 s4, 0x7f
	v_cmp_gt_i16_sdwa s[6:7], v11, s4 src0_sel:BYTE_0 src1_sel:DWORD
	s_mov_b64 s[4:5], 0
                                        ; implicit-def: $sgpr10
	s_and_saveexec_b64 s[8:9], s[6:7]
	s_xor_b64 s[6:7], exec, s[8:9]
	s_cbranch_execnz .LBB34_2633
; %bb.585:
	s_or_saveexec_b64 s[6:7], s[6:7]
	v_mov_b32_e32 v10, s10
	s_xor_b64 exec, exec, s[6:7]
	s_cbranch_execnz .LBB34_2636
.LBB34_586:
	s_or_b64 exec, exec, s[6:7]
	s_and_saveexec_b64 s[6:7], s[4:5]
	s_cbranch_execz .LBB34_588
.LBB34_587:
	v_bfe_u32 v10, v16, 8, 3
	v_ffbh_u32_e32 v15, v10
	v_min_u32_e32 v15, 32, v15
	v_lshrrev_b16_e32 v14, 3, v11
	v_subrev_u32_e32 v20, 28, v15
	v_and_b32_e32 v14, 15, v14
	v_lshlrev_b32_e32 v11, v20, v11
	v_sub_u32_e32 v15, 29, v15
	v_and_b32_e32 v11, 7, v11
	v_cmp_eq_u16_e32 vcc, 0, v14
	v_cndmask_b32_e32 v10, v10, v11, vcc
	v_cndmask_b32_e32 v11, v14, v15, vcc
	v_lshlrev_b32_e32 v14, 16, v16
	v_mov_b32_e32 v15, 0x3b800000
	v_lshlrev_b32_e32 v10, 20, v10
	v_and_b32_e32 v14, 0x80000000, v14
	v_lshl_add_u32 v11, v11, 23, v15
	v_or3_b32 v10, v14, v11, v10
.LBB34_588:
	s_or_b64 exec, exec, s[6:7]
	v_lshrrev_b32_e32 v11, 8, v12
	s_movk_i32 s4, 0x7f
	v_cmp_gt_i16_sdwa s[6:7], v11, s4 src0_sel:BYTE_0 src1_sel:DWORD
	s_mov_b64 s[4:5], 0
                                        ; implicit-def: $sgpr10
	s_and_saveexec_b64 s[8:9], s[6:7]
	s_xor_b64 s[6:7], exec, s[8:9]
	s_cbranch_execnz .LBB34_2637
; %bb.589:
	s_or_saveexec_b64 s[6:7], s[6:7]
	v_mov_b32_e32 v14, s10
	s_xor_b64 exec, exec, s[6:7]
	s_cbranch_execnz .LBB34_2640
.LBB34_590:
	s_or_b64 exec, exec, s[6:7]
	s_and_saveexec_b64 s[6:7], s[4:5]
	s_cbranch_execz .LBB34_592
.LBB34_591:
	v_bfe_u32 v14, v12, 8, 3
	v_ffbh_u32_e32 v20, v14
	v_min_u32_e32 v20, 32, v20
	v_lshrrev_b16_e32 v15, 3, v11
	v_subrev_u32_e32 v21, 28, v20
	v_and_b32_e32 v15, 15, v15
	v_lshlrev_b32_e32 v11, v21, v11
	v_sub_u32_e32 v20, 29, v20
	v_and_b32_e32 v11, 7, v11
	v_cmp_eq_u16_e32 vcc, 0, v15
	v_cndmask_b32_e32 v11, v14, v11, vcc
	v_cndmask_b32_e32 v14, v15, v20, vcc
	v_lshlrev_b32_e32 v15, 16, v12
	v_mov_b32_e32 v20, 0x3b800000
	v_lshlrev_b32_e32 v11, 20, v11
	v_and_b32_e32 v15, 0x80000000, v15
	v_lshl_add_u32 v14, v14, 23, v20
	v_or3_b32 v14, v15, v14, v11
.LBB34_592:
	s_or_b64 exec, exec, s[6:7]
	s_nop 0
	v_mfma_f32_16x16x4f32 a[0:3], v10, v14, a[0:3]
	s_movk_i32 s4, 0xff
	v_and_b32_sdwa v11, v16, s4 dst_sel:DWORD dst_unused:UNUSED_PAD src0_sel:WORD_1 src1_sel:DWORD
	s_movk_i32 s4, 0x7f
	v_cmp_lt_i16_e32 vcc, s4, v11
	s_mov_b64 s[4:5], 0
                                        ; implicit-def: $sgpr10
	s_and_saveexec_b64 s[6:7], vcc
	s_xor_b64 s[6:7], exec, s[6:7]
	s_cbranch_execnz .LBB34_2641
; %bb.593:
	s_or_saveexec_b64 s[6:7], s[6:7]
	v_mov_b32_e32 v10, s10
	s_xor_b64 exec, exec, s[6:7]
	s_cbranch_execnz .LBB34_2644
.LBB34_594:
	s_or_b64 exec, exec, s[6:7]
	s_and_saveexec_b64 s[6:7], s[4:5]
	s_cbranch_execz .LBB34_596
.LBB34_595:
	v_bfe_u32 v10, v16, 16, 3
	v_ffbh_u32_e32 v15, v10
	v_min_u32_e32 v15, 32, v15
	v_lshrrev_b32_e32 v11, 19, v16
	v_subrev_u32_e32 v20, 28, v15
	v_and_b32_e32 v11, 15, v11
	v_lshlrev_b32_sdwa v20, v20, v16 dst_sel:DWORD dst_unused:UNUSED_PAD src0_sel:DWORD src1_sel:WORD_1
	v_bfe_u32 v14, v16, 19, 4
	v_sub_u32_e32 v15, 29, v15
	v_and_b32_e32 v20, 7, v20
	v_cmp_eq_u16_e32 vcc, 0, v11
	v_cndmask_b32_e32 v10, v10, v20, vcc
	v_cndmask_b32_e32 v11, v14, v15, vcc
	v_lshlrev_b32_e32 v14, 8, v16
	v_mov_b32_e32 v15, 0x3b800000
	v_lshlrev_b32_e32 v10, 20, v10
	v_and_b32_e32 v14, 0x80000000, v14
	v_lshl_add_u32 v11, v11, 23, v15
	v_or3_b32 v10, v14, v11, v10
.LBB34_596:
	s_or_b64 exec, exec, s[6:7]
	s_movk_i32 s4, 0xff
	v_and_b32_sdwa v11, v12, s4 dst_sel:DWORD dst_unused:UNUSED_PAD src0_sel:WORD_1 src1_sel:DWORD
	s_movk_i32 s4, 0x7f
	v_cmp_lt_i16_e32 vcc, s4, v11
	s_mov_b64 s[4:5], 0
                                        ; implicit-def: $sgpr10
	s_and_saveexec_b64 s[6:7], vcc
	s_xor_b64 s[6:7], exec, s[6:7]
	s_cbranch_execnz .LBB34_2645
; %bb.597:
	s_or_saveexec_b64 s[6:7], s[6:7]
	v_mov_b32_e32 v14, s10
	s_xor_b64 exec, exec, s[6:7]
	s_cbranch_execnz .LBB34_2648
.LBB34_598:
	s_or_b64 exec, exec, s[6:7]
	s_and_saveexec_b64 s[6:7], s[4:5]
	s_cbranch_execz .LBB34_600
.LBB34_599:
	v_bfe_u32 v11, v12, 16, 3
	v_ffbh_u32_e32 v20, v11
	v_min_u32_e32 v20, 32, v20
	v_lshrrev_b32_e32 v14, 19, v12
	v_subrev_u32_e32 v21, 28, v20
	v_and_b32_e32 v14, 15, v14
	v_lshlrev_b32_sdwa v21, v21, v12 dst_sel:DWORD dst_unused:UNUSED_PAD src0_sel:DWORD src1_sel:WORD_1
	v_bfe_u32 v15, v12, 19, 4
	v_sub_u32_e32 v20, 29, v20
	v_and_b32_e32 v21, 7, v21
	v_cmp_eq_u16_e32 vcc, 0, v14
	v_cndmask_b32_e32 v11, v11, v21, vcc
	v_cndmask_b32_e32 v14, v15, v20, vcc
	v_lshlrev_b32_e32 v15, 8, v12
	v_mov_b32_e32 v20, 0x3b800000
	v_lshlrev_b32_e32 v11, 20, v11
	v_and_b32_e32 v15, 0x80000000, v15
	v_lshl_add_u32 v14, v14, 23, v20
	v_or3_b32 v14, v15, v14, v11
.LBB34_600:
	s_or_b64 exec, exec, s[6:7]
	s_nop 0
	v_mfma_f32_16x16x4f32 a[0:3], v10, v14, a[0:3]
	s_movk_i32 s4, 0x7f
	v_cmp_gt_i16_sdwa s[6:7], v16, s4 src0_sel:BYTE_3 src1_sel:DWORD
	s_mov_b64 s[4:5], 0
                                        ; implicit-def: $sgpr10
	s_and_saveexec_b64 s[8:9], s[6:7]
	s_xor_b64 s[6:7], exec, s[8:9]
	s_cbranch_execnz .LBB34_2649
; %bb.601:
	s_or_saveexec_b64 s[6:7], s[6:7]
	v_mov_b32_e32 v10, s10
	s_xor_b64 exec, exec, s[6:7]
	s_cbranch_execnz .LBB34_2652
.LBB34_602:
	s_or_b64 exec, exec, s[6:7]
	s_and_saveexec_b64 s[6:7], s[4:5]
	s_cbranch_execz .LBB34_604
.LBB34_603:
	v_bfe_u32 v10, v16, 24, 3
	v_ffbh_u32_e32 v20, v10
	v_min_u32_e32 v20, 32, v20
	v_lshrrev_b32_e32 v14, 27, v16
	v_subrev_u32_e32 v21, 28, v20
	v_and_b32_e32 v11, 0x80000000, v16
	v_and_b32_e32 v14, 15, v14
	v_bfe_u32 v15, v16, 27, 4
	v_lshlrev_b32_sdwa v16, v21, v16 dst_sel:DWORD dst_unused:UNUSED_PAD src0_sel:DWORD src1_sel:BYTE_3
	v_sub_u32_e32 v20, 29, v20
	v_and_b32_e32 v16, 7, v16
	v_cmp_eq_u16_e32 vcc, 0, v14
	v_cndmask_b32_e32 v10, v10, v16, vcc
	v_cndmask_b32_e32 v14, v15, v20, vcc
	v_mov_b32_e32 v15, 0x3b800000
	v_lshlrev_b32_e32 v10, 20, v10
	v_lshl_add_u32 v14, v14, 23, v15
	v_or3_b32 v10, v11, v14, v10
.LBB34_604:
	s_or_b64 exec, exec, s[6:7]
	s_movk_i32 s4, 0x7f
	v_cmp_gt_i16_sdwa s[6:7], v12, s4 src0_sel:BYTE_3 src1_sel:DWORD
	s_mov_b64 s[4:5], 0
                                        ; implicit-def: $sgpr10
	s_and_saveexec_b64 s[8:9], s[6:7]
	s_xor_b64 s[6:7], exec, s[8:9]
	s_cbranch_execnz .LBB34_2653
; %bb.605:
	s_or_saveexec_b64 s[6:7], s[6:7]
	v_mov_b32_e32 v11, s10
	s_xor_b64 exec, exec, s[6:7]
	s_cbranch_execnz .LBB34_2656
.LBB34_606:
	s_or_b64 exec, exec, s[6:7]
	s_and_saveexec_b64 s[6:7], s[4:5]
	s_cbranch_execz .LBB34_608
.LBB34_607:
	v_bfe_u32 v11, v12, 24, 3
	v_ffbh_u32_e32 v20, v11
	v_min_u32_e32 v20, 32, v20
	v_lshrrev_b32_e32 v15, 27, v12
	v_subrev_u32_e32 v21, 28, v20
	v_and_b32_e32 v14, 0x80000000, v12
	v_and_b32_e32 v15, 15, v15
	v_bfe_u32 v16, v12, 27, 4
	v_lshlrev_b32_sdwa v12, v21, v12 dst_sel:DWORD dst_unused:UNUSED_PAD src0_sel:DWORD src1_sel:BYTE_3
	v_sub_u32_e32 v20, 29, v20
	v_and_b32_e32 v12, 7, v12
	v_cmp_eq_u16_e32 vcc, 0, v15
	v_cndmask_b32_e32 v11, v11, v12, vcc
	v_cndmask_b32_e32 v12, v16, v20, vcc
	v_mov_b32_e32 v15, 0x3b800000
	v_lshlrev_b32_e32 v11, 20, v11
	v_lshl_add_u32 v12, v12, 23, v15
	v_or3_b32 v11, v14, v12, v11
.LBB34_608:
	s_or_b64 exec, exec, s[6:7]
	s_nop 0
	v_mfma_f32_16x16x4f32 a[0:3], v10, v11, a[0:3]
	s_movk_i32 s4, 0x7f
	v_cmp_gt_i16_sdwa s[6:7], v17, s4 src0_sel:BYTE_0 src1_sel:DWORD
	s_mov_b64 s[4:5], 0
                                        ; implicit-def: $sgpr10
	s_and_saveexec_b64 s[8:9], s[6:7]
	s_xor_b64 s[6:7], exec, s[8:9]
	s_cbranch_execnz .LBB34_2657
; %bb.609:
	s_or_saveexec_b64 s[6:7], s[6:7]
	v_mov_b32_e32 v10, s10
	s_xor_b64 exec, exec, s[6:7]
	s_cbranch_execnz .LBB34_2660
.LBB34_610:
	s_or_b64 exec, exec, s[6:7]
	s_and_saveexec_b64 s[6:7], s[4:5]
	s_cbranch_execz .LBB34_612
.LBB34_611:
	v_and_b32_e32 v10, 7, v17
	v_ffbh_u32_e32 v12, v10
	v_min_u32_e32 v12, 32, v12
	v_lshrrev_b16_e32 v11, 3, v17
	v_subrev_u32_e32 v14, 28, v12
	v_and_b32_e32 v11, 15, v11
	v_lshlrev_b32_e32 v14, v14, v17
	v_sub_u32_e32 v12, 29, v12
	v_and_b32_e32 v14, 7, v14
	v_cmp_eq_u16_e32 vcc, 0, v11
	v_cndmask_b32_e32 v10, v10, v14, vcc
	v_cndmask_b32_e32 v11, v11, v12, vcc
	v_lshlrev_b32_e32 v12, 24, v17
	v_mov_b32_e32 v14, 0x3b800000
	v_lshlrev_b32_e32 v10, 20, v10
	v_and_b32_e32 v12, 0x80000000, v12
	v_lshl_add_u32 v11, v11, 23, v14
	v_or3_b32 v10, v12, v11, v10
.LBB34_612:
	s_or_b64 exec, exec, s[6:7]
	s_movk_i32 s4, 0x7f
	v_cmp_gt_i16_sdwa s[6:7], v13, s4 src0_sel:BYTE_0 src1_sel:DWORD
	s_mov_b64 s[4:5], 0
                                        ; implicit-def: $sgpr10
	s_and_saveexec_b64 s[8:9], s[6:7]
	s_xor_b64 s[6:7], exec, s[8:9]
	s_cbranch_execnz .LBB34_2661
; %bb.613:
	s_or_saveexec_b64 s[6:7], s[6:7]
	v_mov_b32_e32 v11, s10
	s_xor_b64 exec, exec, s[6:7]
	s_cbranch_execnz .LBB34_2664
.LBB34_614:
	s_or_b64 exec, exec, s[6:7]
	s_and_saveexec_b64 s[6:7], s[4:5]
	s_cbranch_execz .LBB34_616
.LBB34_615:
	v_and_b32_e32 v11, 7, v13
	v_ffbh_u32_e32 v14, v11
	v_min_u32_e32 v14, 32, v14
	v_lshrrev_b16_e32 v12, 3, v13
	v_subrev_u32_e32 v15, 28, v14
	v_and_b32_e32 v12, 15, v12
	v_lshlrev_b32_e32 v15, v15, v13
	v_sub_u32_e32 v14, 29, v14
	v_and_b32_e32 v15, 7, v15
	v_cmp_eq_u16_e32 vcc, 0, v12
	v_cndmask_b32_e32 v11, v11, v15, vcc
	v_cndmask_b32_e32 v12, v12, v14, vcc
	v_lshlrev_b32_e32 v14, 24, v13
	v_mov_b32_e32 v15, 0x3b800000
	v_lshlrev_b32_e32 v11, 20, v11
	v_and_b32_e32 v14, 0x80000000, v14
	v_lshl_add_u32 v12, v12, 23, v15
	v_or3_b32 v11, v14, v12, v11
.LBB34_616:
	s_or_b64 exec, exec, s[6:7]
	s_nop 0
	v_mfma_f32_16x16x4f32 a[0:3], v10, v11, a[0:3]
	v_lshrrev_b32_e32 v11, 8, v17
	s_movk_i32 s4, 0x7f
	v_cmp_gt_i16_sdwa s[6:7], v11, s4 src0_sel:BYTE_0 src1_sel:DWORD
	s_mov_b64 s[4:5], 0
                                        ; implicit-def: $sgpr10
	s_and_saveexec_b64 s[8:9], s[6:7]
	s_xor_b64 s[6:7], exec, s[8:9]
	s_cbranch_execnz .LBB34_2665
; %bb.617:
	s_or_saveexec_b64 s[6:7], s[6:7]
	v_mov_b32_e32 v10, s10
	s_xor_b64 exec, exec, s[6:7]
	s_cbranch_execnz .LBB34_2668
.LBB34_618:
	s_or_b64 exec, exec, s[6:7]
	s_and_saveexec_b64 s[6:7], s[4:5]
	s_cbranch_execz .LBB34_620
.LBB34_619:
	v_bfe_u32 v10, v17, 8, 3
	v_ffbh_u32_e32 v14, v10
	v_min_u32_e32 v14, 32, v14
	v_lshrrev_b16_e32 v12, 3, v11
	v_subrev_u32_e32 v15, 28, v14
	v_and_b32_e32 v12, 15, v12
	v_lshlrev_b32_e32 v11, v15, v11
	v_sub_u32_e32 v14, 29, v14
	v_and_b32_e32 v11, 7, v11
	v_cmp_eq_u16_e32 vcc, 0, v12
	v_cndmask_b32_e32 v10, v10, v11, vcc
	v_cndmask_b32_e32 v11, v12, v14, vcc
	v_lshlrev_b32_e32 v12, 16, v17
	v_mov_b32_e32 v14, 0x3b800000
	v_lshlrev_b32_e32 v10, 20, v10
	v_and_b32_e32 v12, 0x80000000, v12
	v_lshl_add_u32 v11, v11, 23, v14
	v_or3_b32 v10, v12, v11, v10
.LBB34_620:
	s_or_b64 exec, exec, s[6:7]
	v_lshrrev_b32_e32 v11, 8, v13
	s_movk_i32 s4, 0x7f
	v_cmp_gt_i16_sdwa s[6:7], v11, s4 src0_sel:BYTE_0 src1_sel:DWORD
	s_mov_b64 s[4:5], 0
                                        ; implicit-def: $sgpr10
	s_and_saveexec_b64 s[8:9], s[6:7]
	s_xor_b64 s[6:7], exec, s[8:9]
	s_cbranch_execnz .LBB34_2669
; %bb.621:
	s_or_saveexec_b64 s[6:7], s[6:7]
	v_mov_b32_e32 v12, s10
	s_xor_b64 exec, exec, s[6:7]
	s_cbranch_execnz .LBB34_2672
.LBB34_622:
	s_or_b64 exec, exec, s[6:7]
	s_and_saveexec_b64 s[6:7], s[4:5]
	s_cbranch_execz .LBB34_624
.LBB34_623:
	v_bfe_u32 v12, v13, 8, 3
	v_ffbh_u32_e32 v15, v12
	v_min_u32_e32 v15, 32, v15
	v_lshrrev_b16_e32 v14, 3, v11
	v_subrev_u32_e32 v16, 28, v15
	v_and_b32_e32 v14, 15, v14
	v_lshlrev_b32_e32 v11, v16, v11
	v_sub_u32_e32 v15, 29, v15
	v_and_b32_e32 v11, 7, v11
	v_cmp_eq_u16_e32 vcc, 0, v14
	v_cndmask_b32_e32 v11, v12, v11, vcc
	v_cndmask_b32_e32 v12, v14, v15, vcc
	v_lshlrev_b32_e32 v14, 16, v13
	v_mov_b32_e32 v15, 0x3b800000
	v_lshlrev_b32_e32 v11, 20, v11
	v_and_b32_e32 v14, 0x80000000, v14
	v_lshl_add_u32 v12, v12, 23, v15
	v_or3_b32 v12, v14, v12, v11
.LBB34_624:
	s_or_b64 exec, exec, s[6:7]
	s_nop 0
	v_mfma_f32_16x16x4f32 a[0:3], v10, v12, a[0:3]
	s_movk_i32 s4, 0xff
	v_and_b32_sdwa v11, v17, s4 dst_sel:DWORD dst_unused:UNUSED_PAD src0_sel:WORD_1 src1_sel:DWORD
	s_movk_i32 s4, 0x7f
	v_cmp_lt_i16_e32 vcc, s4, v11
	s_mov_b64 s[4:5], 0
                                        ; implicit-def: $sgpr10
	s_and_saveexec_b64 s[6:7], vcc
	s_xor_b64 s[6:7], exec, s[6:7]
	s_cbranch_execnz .LBB34_2673
; %bb.625:
	s_or_saveexec_b64 s[6:7], s[6:7]
	v_mov_b32_e32 v10, s10
	s_xor_b64 exec, exec, s[6:7]
	s_cbranch_execnz .LBB34_2676
.LBB34_626:
	s_or_b64 exec, exec, s[6:7]
	s_and_saveexec_b64 s[6:7], s[4:5]
	s_cbranch_execz .LBB34_628
.LBB34_627:
	v_bfe_u32 v10, v17, 16, 3
	v_ffbh_u32_e32 v14, v10
	v_min_u32_e32 v14, 32, v14
	v_lshrrev_b32_e32 v11, 19, v17
	v_subrev_u32_e32 v15, 28, v14
	v_and_b32_e32 v11, 15, v11
	v_lshlrev_b32_sdwa v15, v15, v17 dst_sel:DWORD dst_unused:UNUSED_PAD src0_sel:DWORD src1_sel:WORD_1
	v_bfe_u32 v12, v17, 19, 4
	v_sub_u32_e32 v14, 29, v14
	v_and_b32_e32 v15, 7, v15
	v_cmp_eq_u16_e32 vcc, 0, v11
	v_cndmask_b32_e32 v10, v10, v15, vcc
	v_cndmask_b32_e32 v11, v12, v14, vcc
	v_lshlrev_b32_e32 v12, 8, v17
	v_mov_b32_e32 v14, 0x3b800000
	v_lshlrev_b32_e32 v10, 20, v10
	v_and_b32_e32 v12, 0x80000000, v12
	v_lshl_add_u32 v11, v11, 23, v14
	v_or3_b32 v10, v12, v11, v10
.LBB34_628:
	s_or_b64 exec, exec, s[6:7]
	s_movk_i32 s4, 0xff
	v_and_b32_sdwa v11, v13, s4 dst_sel:DWORD dst_unused:UNUSED_PAD src0_sel:WORD_1 src1_sel:DWORD
	s_movk_i32 s4, 0x7f
	v_cmp_lt_i16_e32 vcc, s4, v11
	s_mov_b64 s[4:5], 0
                                        ; implicit-def: $sgpr10
	s_and_saveexec_b64 s[6:7], vcc
	s_xor_b64 s[6:7], exec, s[6:7]
	s_cbranch_execnz .LBB34_2677
; %bb.629:
	s_or_saveexec_b64 s[6:7], s[6:7]
	v_mov_b32_e32 v12, s10
	s_xor_b64 exec, exec, s[6:7]
	s_cbranch_execnz .LBB34_2680
.LBB34_630:
	s_or_b64 exec, exec, s[6:7]
	s_and_saveexec_b64 s[6:7], s[4:5]
	s_cbranch_execz .LBB34_632
.LBB34_631:
	v_bfe_u32 v11, v13, 16, 3
	v_ffbh_u32_e32 v15, v11
	v_min_u32_e32 v15, 32, v15
	v_lshrrev_b32_e32 v12, 19, v13
	v_subrev_u32_e32 v16, 28, v15
	v_and_b32_e32 v12, 15, v12
	v_lshlrev_b32_sdwa v16, v16, v13 dst_sel:DWORD dst_unused:UNUSED_PAD src0_sel:DWORD src1_sel:WORD_1
	v_bfe_u32 v14, v13, 19, 4
	v_sub_u32_e32 v15, 29, v15
	v_and_b32_e32 v16, 7, v16
	v_cmp_eq_u16_e32 vcc, 0, v12
	v_cndmask_b32_e32 v11, v11, v16, vcc
	v_cndmask_b32_e32 v12, v14, v15, vcc
	v_lshlrev_b32_e32 v14, 8, v13
	v_mov_b32_e32 v15, 0x3b800000
	v_lshlrev_b32_e32 v11, 20, v11
	v_and_b32_e32 v14, 0x80000000, v14
	v_lshl_add_u32 v12, v12, 23, v15
	v_or3_b32 v12, v14, v12, v11
.LBB34_632:
	s_or_b64 exec, exec, s[6:7]
	s_nop 0
	v_mfma_f32_16x16x4f32 a[0:3], v10, v12, a[0:3]
	s_movk_i32 s4, 0x7f
	v_cmp_gt_i16_sdwa s[6:7], v17, s4 src0_sel:BYTE_3 src1_sel:DWORD
	s_mov_b64 s[4:5], 0
                                        ; implicit-def: $sgpr10
	s_and_saveexec_b64 s[8:9], s[6:7]
	s_xor_b64 s[6:7], exec, s[8:9]
	s_cbranch_execnz .LBB34_2681
; %bb.633:
	s_or_saveexec_b64 s[6:7], s[6:7]
	v_mov_b32_e32 v10, s10
	s_xor_b64 exec, exec, s[6:7]
	s_cbranch_execnz .LBB34_2684
.LBB34_634:
	s_or_b64 exec, exec, s[6:7]
	s_and_saveexec_b64 s[6:7], s[4:5]
	s_cbranch_execz .LBB34_636
.LBB34_635:
	v_bfe_u32 v10, v17, 24, 3
	v_ffbh_u32_e32 v15, v10
	v_min_u32_e32 v15, 32, v15
	v_lshrrev_b32_e32 v12, 27, v17
	v_subrev_u32_e32 v16, 28, v15
	v_and_b32_e32 v12, 15, v12
	v_lshlrev_b32_sdwa v16, v16, v17 dst_sel:DWORD dst_unused:UNUSED_PAD src0_sel:DWORD src1_sel:BYTE_3
	v_bfe_u32 v14, v17, 27, 4
	v_sub_u32_e32 v15, 29, v15
	v_and_b32_e32 v16, 7, v16
	v_cmp_eq_u16_e32 vcc, 0, v12
	v_cndmask_b32_e32 v10, v10, v16, vcc
	v_cndmask_b32_e32 v12, v14, v15, vcc
	v_mov_b32_e32 v14, 0x3b800000
	v_and_b32_e32 v11, 0x80000000, v17
	v_lshlrev_b32_e32 v10, 20, v10
	v_lshl_add_u32 v12, v12, 23, v14
	v_or3_b32 v10, v11, v12, v10
.LBB34_636:
	s_or_b64 exec, exec, s[6:7]
	s_movk_i32 s4, 0x7f
	v_cmp_gt_i16_sdwa s[6:7], v13, s4 src0_sel:BYTE_3 src1_sel:DWORD
	s_mov_b64 s[4:5], 0
                                        ; implicit-def: $sgpr10
	s_and_saveexec_b64 s[8:9], s[6:7]
	s_xor_b64 s[6:7], exec, s[8:9]
	s_cbranch_execnz .LBB34_2685
; %bb.637:
	s_or_saveexec_b64 s[6:7], s[6:7]
	v_mov_b32_e32 v11, s10
	s_xor_b64 exec, exec, s[6:7]
	s_cbranch_execnz .LBB34_2688
.LBB34_638:
	s_or_b64 exec, exec, s[6:7]
	s_and_saveexec_b64 s[6:7], s[4:5]
	s_cbranch_execz .LBB34_640
.LBB34_639:
	v_bfe_u32 v11, v13, 24, 3
	v_ffbh_u32_e32 v16, v11
	v_min_u32_e32 v16, 32, v16
	v_lshrrev_b32_e32 v14, 27, v13
	v_subrev_u32_e32 v17, 28, v16
	v_and_b32_e32 v12, 0x80000000, v13
	v_and_b32_e32 v14, 15, v14
	v_bfe_u32 v15, v13, 27, 4
	v_lshlrev_b32_sdwa v13, v17, v13 dst_sel:DWORD dst_unused:UNUSED_PAD src0_sel:DWORD src1_sel:BYTE_3
	v_sub_u32_e32 v16, 29, v16
	v_and_b32_e32 v13, 7, v13
	v_cmp_eq_u16_e32 vcc, 0, v14
	v_cndmask_b32_e32 v11, v11, v13, vcc
	v_cndmask_b32_e32 v13, v15, v16, vcc
	v_mov_b32_e32 v14, 0x3b800000
	v_lshlrev_b32_e32 v11, 20, v11
	v_lshl_add_u32 v13, v13, 23, v14
	v_or3_b32 v11, v12, v13, v11
.LBB34_640:
	s_or_b64 exec, exec, s[6:7]
	s_nop 0
	v_mfma_f32_16x16x4f32 a[0:3], v10, v11, a[0:3]
	s_movk_i32 s4, 0x7f
	v_cmp_gt_i16_sdwa s[6:7], v6, s4 src0_sel:BYTE_0 src1_sel:DWORD
	s_mov_b64 s[4:5], 0
                                        ; implicit-def: $sgpr10
	s_and_saveexec_b64 s[8:9], s[6:7]
	s_xor_b64 s[6:7], exec, s[8:9]
	s_cbranch_execnz .LBB34_2689
; %bb.641:
	s_or_saveexec_b64 s[6:7], s[6:7]
	v_mov_b32_e32 v10, s10
	s_xor_b64 exec, exec, s[6:7]
	s_cbranch_execnz .LBB34_2692
.LBB34_642:
	s_or_b64 exec, exec, s[6:7]
	s_and_saveexec_b64 s[6:7], s[4:5]
	s_cbranch_execz .LBB34_644
.LBB34_643:
	v_and_b32_e32 v10, 7, v6
	v_ffbh_u32_e32 v12, v10
	v_min_u32_e32 v12, 32, v12
	v_lshrrev_b16_e32 v11, 3, v6
	v_subrev_u32_e32 v13, 28, v12
	v_and_b32_e32 v11, 15, v11
	v_lshlrev_b32_e32 v13, v13, v6
	v_sub_u32_e32 v12, 29, v12
	v_and_b32_e32 v13, 7, v13
	v_cmp_eq_u16_e32 vcc, 0, v11
	v_cndmask_b32_e32 v10, v10, v13, vcc
	v_cndmask_b32_e32 v11, v11, v12, vcc
	v_lshlrev_b32_e32 v12, 24, v6
	v_mov_b32_e32 v13, 0x3b800000
	v_lshlrev_b32_e32 v10, 20, v10
	v_and_b32_e32 v12, 0x80000000, v12
	v_lshl_add_u32 v11, v11, 23, v13
	v_or3_b32 v10, v12, v11, v10
.LBB34_644:
	s_or_b64 exec, exec, s[6:7]
	s_movk_i32 s4, 0x7f
	v_cmp_gt_i16_sdwa s[6:7], v2, s4 src0_sel:BYTE_0 src1_sel:DWORD
	s_mov_b64 s[4:5], 0
                                        ; implicit-def: $sgpr10
	s_and_saveexec_b64 s[8:9], s[6:7]
	s_xor_b64 s[6:7], exec, s[8:9]
	s_cbranch_execnz .LBB34_2693
; %bb.645:
	s_or_saveexec_b64 s[6:7], s[6:7]
	v_mov_b32_e32 v11, s10
	s_xor_b64 exec, exec, s[6:7]
	s_cbranch_execnz .LBB34_2696
.LBB34_646:
	s_or_b64 exec, exec, s[6:7]
	s_and_saveexec_b64 s[6:7], s[4:5]
	s_cbranch_execz .LBB34_648
.LBB34_647:
	v_and_b32_e32 v11, 7, v2
	v_ffbh_u32_e32 v13, v11
	v_min_u32_e32 v13, 32, v13
	v_lshrrev_b16_e32 v12, 3, v2
	v_subrev_u32_e32 v14, 28, v13
	v_and_b32_e32 v12, 15, v12
	v_lshlrev_b32_e32 v14, v14, v2
	v_sub_u32_e32 v13, 29, v13
	v_and_b32_e32 v14, 7, v14
	v_cmp_eq_u16_e32 vcc, 0, v12
	v_cndmask_b32_e32 v11, v11, v14, vcc
	v_cndmask_b32_e32 v12, v12, v13, vcc
	v_lshlrev_b32_e32 v13, 24, v2
	v_mov_b32_e32 v14, 0x3b800000
	v_lshlrev_b32_e32 v11, 20, v11
	v_and_b32_e32 v13, 0x80000000, v13
	v_lshl_add_u32 v12, v12, 23, v14
	v_or3_b32 v11, v13, v12, v11
.LBB34_648:
	s_or_b64 exec, exec, s[6:7]
	s_nop 0
	v_mfma_f32_16x16x4f32 a[0:3], v10, v11, a[0:3]
	v_lshrrev_b32_e32 v11, 8, v6
	s_movk_i32 s4, 0x7f
	v_cmp_gt_i16_sdwa s[6:7], v11, s4 src0_sel:BYTE_0 src1_sel:DWORD
	s_mov_b64 s[4:5], 0
                                        ; implicit-def: $sgpr10
	s_and_saveexec_b64 s[8:9], s[6:7]
	s_xor_b64 s[6:7], exec, s[8:9]
	s_cbranch_execnz .LBB34_2697
; %bb.649:
	s_or_saveexec_b64 s[6:7], s[6:7]
	v_mov_b32_e32 v10, s10
	s_xor_b64 exec, exec, s[6:7]
	s_cbranch_execnz .LBB34_2700
.LBB34_650:
	s_or_b64 exec, exec, s[6:7]
	s_and_saveexec_b64 s[6:7], s[4:5]
	s_cbranch_execz .LBB34_652
.LBB34_651:
	v_bfe_u32 v10, v6, 8, 3
	v_ffbh_u32_e32 v13, v10
	v_min_u32_e32 v13, 32, v13
	v_lshrrev_b16_e32 v12, 3, v11
	v_subrev_u32_e32 v14, 28, v13
	v_and_b32_e32 v12, 15, v12
	v_lshlrev_b32_e32 v11, v14, v11
	v_sub_u32_e32 v13, 29, v13
	v_and_b32_e32 v11, 7, v11
	v_cmp_eq_u16_e32 vcc, 0, v12
	v_cndmask_b32_e32 v10, v10, v11, vcc
	v_cndmask_b32_e32 v11, v12, v13, vcc
	v_lshlrev_b32_e32 v12, 16, v6
	v_mov_b32_e32 v13, 0x3b800000
	v_lshlrev_b32_e32 v10, 20, v10
	v_and_b32_e32 v12, 0x80000000, v12
	v_lshl_add_u32 v11, v11, 23, v13
	v_or3_b32 v10, v12, v11, v10
.LBB34_652:
	s_or_b64 exec, exec, s[6:7]
	v_lshrrev_b32_e32 v11, 8, v2
	s_movk_i32 s4, 0x7f
	v_cmp_gt_i16_sdwa s[6:7], v11, s4 src0_sel:BYTE_0 src1_sel:DWORD
	s_mov_b64 s[4:5], 0
                                        ; implicit-def: $sgpr10
	s_and_saveexec_b64 s[8:9], s[6:7]
	s_xor_b64 s[6:7], exec, s[8:9]
	s_cbranch_execnz .LBB34_2701
; %bb.653:
	s_or_saveexec_b64 s[6:7], s[6:7]
	v_mov_b32_e32 v12, s10
	s_xor_b64 exec, exec, s[6:7]
	s_cbranch_execnz .LBB34_2704
.LBB34_654:
	s_or_b64 exec, exec, s[6:7]
	s_and_saveexec_b64 s[6:7], s[4:5]
	s_cbranch_execz .LBB34_656
.LBB34_655:
	v_bfe_u32 v12, v2, 8, 3
	v_ffbh_u32_e32 v14, v12
	v_min_u32_e32 v14, 32, v14
	v_lshrrev_b16_e32 v13, 3, v11
	v_subrev_u32_e32 v15, 28, v14
	v_and_b32_e32 v13, 15, v13
	v_lshlrev_b32_e32 v11, v15, v11
	v_sub_u32_e32 v14, 29, v14
	v_and_b32_e32 v11, 7, v11
	v_cmp_eq_u16_e32 vcc, 0, v13
	v_cndmask_b32_e32 v11, v12, v11, vcc
	v_cndmask_b32_e32 v12, v13, v14, vcc
	v_lshlrev_b32_e32 v13, 16, v2
	v_mov_b32_e32 v14, 0x3b800000
	v_lshlrev_b32_e32 v11, 20, v11
	v_and_b32_e32 v13, 0x80000000, v13
	v_lshl_add_u32 v12, v12, 23, v14
	v_or3_b32 v12, v13, v12, v11
.LBB34_656:
	s_or_b64 exec, exec, s[6:7]
	s_nop 0
	v_mfma_f32_16x16x4f32 a[0:3], v10, v12, a[0:3]
	s_movk_i32 s4, 0xff
	v_and_b32_sdwa v11, v6, s4 dst_sel:DWORD dst_unused:UNUSED_PAD src0_sel:WORD_1 src1_sel:DWORD
	s_movk_i32 s4, 0x7f
	v_cmp_lt_i16_e32 vcc, s4, v11
	s_mov_b64 s[4:5], 0
                                        ; implicit-def: $sgpr10
	s_and_saveexec_b64 s[6:7], vcc
	s_xor_b64 s[6:7], exec, s[6:7]
	s_cbranch_execnz .LBB34_2705
; %bb.657:
	s_or_saveexec_b64 s[6:7], s[6:7]
	v_mov_b32_e32 v10, s10
	s_xor_b64 exec, exec, s[6:7]
	s_cbranch_execnz .LBB34_2708
.LBB34_658:
	s_or_b64 exec, exec, s[6:7]
	s_and_saveexec_b64 s[6:7], s[4:5]
	s_cbranch_execz .LBB34_660
.LBB34_659:
	v_bfe_u32 v10, v6, 16, 3
	v_ffbh_u32_e32 v13, v10
	v_min_u32_e32 v13, 32, v13
	v_lshrrev_b32_e32 v11, 19, v6
	v_subrev_u32_e32 v14, 28, v13
	v_and_b32_e32 v11, 15, v11
	v_lshlrev_b32_sdwa v14, v14, v6 dst_sel:DWORD dst_unused:UNUSED_PAD src0_sel:DWORD src1_sel:WORD_1
	v_bfe_u32 v12, v6, 19, 4
	v_sub_u32_e32 v13, 29, v13
	v_and_b32_e32 v14, 7, v14
	v_cmp_eq_u16_e32 vcc, 0, v11
	v_cndmask_b32_e32 v10, v10, v14, vcc
	v_cndmask_b32_e32 v11, v12, v13, vcc
	v_lshlrev_b32_e32 v12, 8, v6
	v_mov_b32_e32 v13, 0x3b800000
	v_lshlrev_b32_e32 v10, 20, v10
	v_and_b32_e32 v12, 0x80000000, v12
	v_lshl_add_u32 v11, v11, 23, v13
	v_or3_b32 v10, v12, v11, v10
.LBB34_660:
	s_or_b64 exec, exec, s[6:7]
	s_movk_i32 s4, 0xff
	v_and_b32_sdwa v11, v2, s4 dst_sel:DWORD dst_unused:UNUSED_PAD src0_sel:WORD_1 src1_sel:DWORD
	s_movk_i32 s4, 0x7f
	v_cmp_lt_i16_e32 vcc, s4, v11
	s_mov_b64 s[4:5], 0
                                        ; implicit-def: $sgpr10
	s_and_saveexec_b64 s[6:7], vcc
	s_xor_b64 s[6:7], exec, s[6:7]
	s_cbranch_execnz .LBB34_2709
; %bb.661:
	s_or_saveexec_b64 s[6:7], s[6:7]
	v_mov_b32_e32 v12, s10
	s_xor_b64 exec, exec, s[6:7]
	s_cbranch_execnz .LBB34_2712
.LBB34_662:
	s_or_b64 exec, exec, s[6:7]
	s_and_saveexec_b64 s[6:7], s[4:5]
	s_cbranch_execz .LBB34_664
.LBB34_663:
	v_bfe_u32 v11, v2, 16, 3
	v_ffbh_u32_e32 v14, v11
	v_min_u32_e32 v14, 32, v14
	v_lshrrev_b32_e32 v12, 19, v2
	v_subrev_u32_e32 v15, 28, v14
	v_and_b32_e32 v12, 15, v12
	v_lshlrev_b32_sdwa v15, v15, v2 dst_sel:DWORD dst_unused:UNUSED_PAD src0_sel:DWORD src1_sel:WORD_1
	v_bfe_u32 v13, v2, 19, 4
	v_sub_u32_e32 v14, 29, v14
	v_and_b32_e32 v15, 7, v15
	v_cmp_eq_u16_e32 vcc, 0, v12
	v_cndmask_b32_e32 v11, v11, v15, vcc
	v_cndmask_b32_e32 v12, v13, v14, vcc
	v_lshlrev_b32_e32 v13, 8, v2
	v_mov_b32_e32 v14, 0x3b800000
	v_lshlrev_b32_e32 v11, 20, v11
	v_and_b32_e32 v13, 0x80000000, v13
	v_lshl_add_u32 v12, v12, 23, v14
	v_or3_b32 v12, v13, v12, v11
.LBB34_664:
	s_or_b64 exec, exec, s[6:7]
	s_nop 0
	v_mfma_f32_16x16x4f32 a[0:3], v10, v12, a[0:3]
	s_movk_i32 s4, 0x7f
	v_cmp_gt_i16_sdwa s[6:7], v6, s4 src0_sel:BYTE_3 src1_sel:DWORD
	s_mov_b64 s[4:5], 0
                                        ; implicit-def: $sgpr10
	s_and_saveexec_b64 s[8:9], s[6:7]
	s_xor_b64 s[6:7], exec, s[8:9]
	s_cbranch_execnz .LBB34_2713
; %bb.665:
	s_or_saveexec_b64 s[6:7], s[6:7]
	v_mov_b32_e32 v10, s10
	s_xor_b64 exec, exec, s[6:7]
	s_cbranch_execnz .LBB34_2716
.LBB34_666:
	s_or_b64 exec, exec, s[6:7]
	s_and_saveexec_b64 s[6:7], s[4:5]
	s_cbranch_execz .LBB34_668
.LBB34_667:
	v_bfe_u32 v10, v6, 24, 3
	v_ffbh_u32_e32 v14, v10
	v_min_u32_e32 v14, 32, v14
	v_lshrrev_b32_e32 v12, 27, v6
	v_subrev_u32_e32 v15, 28, v14
	v_and_b32_e32 v11, 0x80000000, v6
	v_and_b32_e32 v12, 15, v12
	v_bfe_u32 v13, v6, 27, 4
	v_lshlrev_b32_sdwa v6, v15, v6 dst_sel:DWORD dst_unused:UNUSED_PAD src0_sel:DWORD src1_sel:BYTE_3
	v_sub_u32_e32 v14, 29, v14
	v_and_b32_e32 v6, 7, v6
	v_cmp_eq_u16_e32 vcc, 0, v12
	v_cndmask_b32_e32 v6, v10, v6, vcc
	v_cndmask_b32_e32 v10, v13, v14, vcc
	v_mov_b32_e32 v12, 0x3b800000
	v_lshlrev_b32_e32 v6, 20, v6
	v_lshl_add_u32 v10, v10, 23, v12
	v_or3_b32 v10, v11, v10, v6
.LBB34_668:
	s_or_b64 exec, exec, s[6:7]
	s_movk_i32 s4, 0x7f
	v_cmp_gt_i16_sdwa s[6:7], v2, s4 src0_sel:BYTE_3 src1_sel:DWORD
	s_mov_b64 s[4:5], 0
                                        ; implicit-def: $sgpr10
	s_and_saveexec_b64 s[8:9], s[6:7]
	s_xor_b64 s[6:7], exec, s[8:9]
	s_cbranch_execnz .LBB34_2717
; %bb.669:
	s_or_saveexec_b64 s[6:7], s[6:7]
	v_mov_b32_e32 v6, s10
	s_xor_b64 exec, exec, s[6:7]
	s_cbranch_execnz .LBB34_2720
.LBB34_670:
	s_or_b64 exec, exec, s[6:7]
	s_and_saveexec_b64 s[6:7], s[4:5]
	s_cbranch_execz .LBB34_672
.LBB34_671:
	v_bfe_u32 v6, v2, 24, 3
	v_ffbh_u32_e32 v14, v6
	v_min_u32_e32 v14, 32, v14
	v_lshrrev_b32_e32 v12, 27, v2
	v_subrev_u32_e32 v15, 28, v14
	v_and_b32_e32 v11, 0x80000000, v2
	v_and_b32_e32 v12, 15, v12
	v_bfe_u32 v13, v2, 27, 4
	v_lshlrev_b32_sdwa v2, v15, v2 dst_sel:DWORD dst_unused:UNUSED_PAD src0_sel:DWORD src1_sel:BYTE_3
	v_sub_u32_e32 v14, 29, v14
	v_and_b32_e32 v2, 7, v2
	v_cmp_eq_u16_e32 vcc, 0, v12
	v_cndmask_b32_e32 v2, v6, v2, vcc
	v_cndmask_b32_e32 v6, v13, v14, vcc
	v_mov_b32_e32 v12, 0x3b800000
	v_lshlrev_b32_e32 v2, 20, v2
	v_lshl_add_u32 v6, v6, 23, v12
	v_or3_b32 v6, v11, v6, v2
.LBB34_672:
	s_or_b64 exec, exec, s[6:7]
	s_nop 0
	v_mfma_f32_16x16x4f32 a[0:3], v10, v6, a[0:3]
	s_movk_i32 s4, 0x7f
	v_cmp_gt_i16_sdwa s[6:7], v7, s4 src0_sel:BYTE_0 src1_sel:DWORD
	s_mov_b64 s[4:5], 0
                                        ; implicit-def: $sgpr10
	s_and_saveexec_b64 s[8:9], s[6:7]
	s_xor_b64 s[6:7], exec, s[8:9]
	s_cbranch_execnz .LBB34_2721
; %bb.673:
	s_or_saveexec_b64 s[6:7], s[6:7]
	v_mov_b32_e32 v2, s10
	s_xor_b64 exec, exec, s[6:7]
	s_cbranch_execnz .LBB34_2724
.LBB34_674:
	s_or_b64 exec, exec, s[6:7]
	s_and_saveexec_b64 s[6:7], s[4:5]
	s_cbranch_execz .LBB34_676
.LBB34_675:
	v_and_b32_e32 v2, 7, v7
	v_ffbh_u32_e32 v10, v2
	v_min_u32_e32 v10, 32, v10
	v_lshrrev_b16_e32 v6, 3, v7
	v_subrev_u32_e32 v11, 28, v10
	v_and_b32_e32 v6, 15, v6
	v_lshlrev_b32_e32 v11, v11, v7
	v_sub_u32_e32 v10, 29, v10
	v_and_b32_e32 v11, 7, v11
	v_cmp_eq_u16_e32 vcc, 0, v6
	v_cndmask_b32_e32 v2, v2, v11, vcc
	v_cndmask_b32_e32 v6, v6, v10, vcc
	v_lshlrev_b32_e32 v10, 24, v7
	v_mov_b32_e32 v11, 0x3b800000
	v_lshlrev_b32_e32 v2, 20, v2
	v_and_b32_e32 v10, 0x80000000, v10
	v_lshl_add_u32 v6, v6, 23, v11
	v_or3_b32 v2, v10, v6, v2
.LBB34_676:
	s_or_b64 exec, exec, s[6:7]
	s_movk_i32 s4, 0x7f
	v_cmp_gt_i16_sdwa s[6:7], v3, s4 src0_sel:BYTE_0 src1_sel:DWORD
	s_mov_b64 s[4:5], 0
                                        ; implicit-def: $sgpr10
	s_and_saveexec_b64 s[8:9], s[6:7]
	s_xor_b64 s[6:7], exec, s[8:9]
	s_cbranch_execnz .LBB34_2725
; %bb.677:
	s_or_saveexec_b64 s[6:7], s[6:7]
	v_mov_b32_e32 v6, s10
	s_xor_b64 exec, exec, s[6:7]
	s_cbranch_execnz .LBB34_2728
.LBB34_678:
	s_or_b64 exec, exec, s[6:7]
	s_and_saveexec_b64 s[6:7], s[4:5]
	s_cbranch_execz .LBB34_680
.LBB34_679:
	v_and_b32_e32 v6, 7, v3
	v_ffbh_u32_e32 v11, v6
	v_min_u32_e32 v11, 32, v11
	v_lshrrev_b16_e32 v10, 3, v3
	v_subrev_u32_e32 v12, 28, v11
	v_and_b32_e32 v10, 15, v10
	v_lshlrev_b32_e32 v12, v12, v3
	v_sub_u32_e32 v11, 29, v11
	v_and_b32_e32 v12, 7, v12
	v_cmp_eq_u16_e32 vcc, 0, v10
	v_cndmask_b32_e32 v6, v6, v12, vcc
	v_cndmask_b32_e32 v10, v10, v11, vcc
	v_lshlrev_b32_e32 v11, 24, v3
	v_mov_b32_e32 v12, 0x3b800000
	v_lshlrev_b32_e32 v6, 20, v6
	v_and_b32_e32 v11, 0x80000000, v11
	v_lshl_add_u32 v10, v10, 23, v12
	v_or3_b32 v6, v11, v10, v6
.LBB34_680:
	s_or_b64 exec, exec, s[6:7]
	s_nop 0
	v_mfma_f32_16x16x4f32 a[0:3], v2, v6, a[0:3]
	v_lshrrev_b32_e32 v6, 8, v7
	s_movk_i32 s4, 0x7f
	v_cmp_gt_i16_sdwa s[6:7], v6, s4 src0_sel:BYTE_0 src1_sel:DWORD
	s_mov_b64 s[4:5], 0
                                        ; implicit-def: $sgpr10
	s_and_saveexec_b64 s[8:9], s[6:7]
	s_xor_b64 s[6:7], exec, s[8:9]
	s_cbranch_execnz .LBB34_2729
; %bb.681:
	s_or_saveexec_b64 s[6:7], s[6:7]
	v_mov_b32_e32 v2, s10
	s_xor_b64 exec, exec, s[6:7]
	s_cbranch_execnz .LBB34_2732
.LBB34_682:
	s_or_b64 exec, exec, s[6:7]
	s_and_saveexec_b64 s[6:7], s[4:5]
	s_cbranch_execz .LBB34_684
.LBB34_683:
	v_bfe_u32 v2, v7, 8, 3
	v_ffbh_u32_e32 v11, v2
	v_min_u32_e32 v11, 32, v11
	v_lshrrev_b16_e32 v10, 3, v6
	v_subrev_u32_e32 v12, 28, v11
	v_and_b32_e32 v10, 15, v10
	v_lshlrev_b32_e32 v6, v12, v6
	v_sub_u32_e32 v11, 29, v11
	v_and_b32_e32 v6, 7, v6
	v_cmp_eq_u16_e32 vcc, 0, v10
	v_cndmask_b32_e32 v2, v2, v6, vcc
	v_cndmask_b32_e32 v6, v10, v11, vcc
	v_lshlrev_b32_e32 v10, 16, v7
	v_mov_b32_e32 v11, 0x3b800000
	v_lshlrev_b32_e32 v2, 20, v2
	v_and_b32_e32 v10, 0x80000000, v10
	v_lshl_add_u32 v6, v6, 23, v11
	v_or3_b32 v2, v10, v6, v2
.LBB34_684:
	s_or_b64 exec, exec, s[6:7]
	v_lshrrev_b32_e32 v6, 8, v3
	s_movk_i32 s4, 0x7f
	v_cmp_gt_i16_sdwa s[6:7], v6, s4 src0_sel:BYTE_0 src1_sel:DWORD
	s_mov_b64 s[4:5], 0
                                        ; implicit-def: $sgpr10
	s_and_saveexec_b64 s[8:9], s[6:7]
	s_xor_b64 s[6:7], exec, s[8:9]
	s_cbranch_execnz .LBB34_2733
; %bb.685:
	s_or_saveexec_b64 s[6:7], s[6:7]
	v_mov_b32_e32 v10, s10
	s_xor_b64 exec, exec, s[6:7]
	s_cbranch_execnz .LBB34_2736
.LBB34_686:
	s_or_b64 exec, exec, s[6:7]
	s_and_saveexec_b64 s[6:7], s[4:5]
	s_cbranch_execz .LBB34_688
.LBB34_687:
	v_bfe_u32 v10, v3, 8, 3
	v_ffbh_u32_e32 v12, v10
	v_min_u32_e32 v12, 32, v12
	v_lshrrev_b16_e32 v11, 3, v6
	v_subrev_u32_e32 v13, 28, v12
	v_and_b32_e32 v11, 15, v11
	v_lshlrev_b32_e32 v6, v13, v6
	v_sub_u32_e32 v12, 29, v12
	v_and_b32_e32 v6, 7, v6
	v_cmp_eq_u16_e32 vcc, 0, v11
	v_cndmask_b32_e32 v6, v10, v6, vcc
	v_cndmask_b32_e32 v10, v11, v12, vcc
	v_lshlrev_b32_e32 v11, 16, v3
	v_mov_b32_e32 v12, 0x3b800000
	v_lshlrev_b32_e32 v6, 20, v6
	v_and_b32_e32 v11, 0x80000000, v11
	v_lshl_add_u32 v10, v10, 23, v12
	v_or3_b32 v10, v11, v10, v6
.LBB34_688:
	s_or_b64 exec, exec, s[6:7]
	s_nop 0
	v_mfma_f32_16x16x4f32 a[0:3], v2, v10, a[0:3]
	s_movk_i32 s4, 0xff
	v_and_b32_sdwa v6, v7, s4 dst_sel:DWORD dst_unused:UNUSED_PAD src0_sel:WORD_1 src1_sel:DWORD
	s_movk_i32 s4, 0x7f
	v_cmp_lt_i16_e32 vcc, s4, v6
	s_mov_b64 s[4:5], 0
                                        ; implicit-def: $sgpr10
	s_and_saveexec_b64 s[6:7], vcc
	s_xor_b64 s[6:7], exec, s[6:7]
	s_cbranch_execnz .LBB34_2737
; %bb.689:
	s_or_saveexec_b64 s[6:7], s[6:7]
	v_mov_b32_e32 v2, s10
	s_xor_b64 exec, exec, s[6:7]
	s_cbranch_execnz .LBB34_2740
.LBB34_690:
	s_or_b64 exec, exec, s[6:7]
	s_and_saveexec_b64 s[6:7], s[4:5]
	s_cbranch_execz .LBB34_692
.LBB34_691:
	v_bfe_u32 v2, v7, 16, 3
	v_ffbh_u32_e32 v11, v2
	v_min_u32_e32 v11, 32, v11
	v_lshrrev_b32_e32 v6, 19, v7
	v_subrev_u32_e32 v12, 28, v11
	v_and_b32_e32 v6, 15, v6
	v_lshlrev_b32_sdwa v12, v12, v7 dst_sel:DWORD dst_unused:UNUSED_PAD src0_sel:DWORD src1_sel:WORD_1
	v_bfe_u32 v10, v7, 19, 4
	v_sub_u32_e32 v11, 29, v11
	v_and_b32_e32 v12, 7, v12
	v_cmp_eq_u16_e32 vcc, 0, v6
	v_cndmask_b32_e32 v2, v2, v12, vcc
	v_cndmask_b32_e32 v6, v10, v11, vcc
	v_lshlrev_b32_e32 v10, 8, v7
	v_mov_b32_e32 v11, 0x3b800000
	v_lshlrev_b32_e32 v2, 20, v2
	v_and_b32_e32 v10, 0x80000000, v10
	v_lshl_add_u32 v6, v6, 23, v11
	v_or3_b32 v2, v10, v6, v2
.LBB34_692:
	s_or_b64 exec, exec, s[6:7]
	s_movk_i32 s4, 0xff
	v_and_b32_sdwa v6, v3, s4 dst_sel:DWORD dst_unused:UNUSED_PAD src0_sel:WORD_1 src1_sel:DWORD
	s_movk_i32 s4, 0x7f
	v_cmp_lt_i16_e32 vcc, s4, v6
	s_mov_b64 s[4:5], 0
                                        ; implicit-def: $sgpr10
	s_and_saveexec_b64 s[6:7], vcc
	s_xor_b64 s[6:7], exec, s[6:7]
	s_cbranch_execnz .LBB34_2741
; %bb.693:
	s_or_saveexec_b64 s[6:7], s[6:7]
	v_mov_b32_e32 v10, s10
	s_xor_b64 exec, exec, s[6:7]
	s_cbranch_execnz .LBB34_2744
.LBB34_694:
	s_or_b64 exec, exec, s[6:7]
	s_and_saveexec_b64 s[6:7], s[4:5]
	s_cbranch_execz .LBB34_696
.LBB34_695:
	v_bfe_u32 v6, v3, 16, 3
	v_ffbh_u32_e32 v12, v6
	v_min_u32_e32 v12, 32, v12
	v_lshrrev_b32_e32 v10, 19, v3
	v_subrev_u32_e32 v13, 28, v12
	v_and_b32_e32 v10, 15, v10
	v_lshlrev_b32_sdwa v13, v13, v3 dst_sel:DWORD dst_unused:UNUSED_PAD src0_sel:DWORD src1_sel:WORD_1
	v_bfe_u32 v11, v3, 19, 4
	v_sub_u32_e32 v12, 29, v12
	v_and_b32_e32 v13, 7, v13
	v_cmp_eq_u16_e32 vcc, 0, v10
	v_cndmask_b32_e32 v6, v6, v13, vcc
	v_cndmask_b32_e32 v10, v11, v12, vcc
	v_lshlrev_b32_e32 v11, 8, v3
	v_mov_b32_e32 v12, 0x3b800000
	v_lshlrev_b32_e32 v6, 20, v6
	v_and_b32_e32 v11, 0x80000000, v11
	v_lshl_add_u32 v10, v10, 23, v12
	v_or3_b32 v10, v11, v10, v6
.LBB34_696:
	s_or_b64 exec, exec, s[6:7]
	s_nop 0
	v_mfma_f32_16x16x4f32 a[0:3], v2, v10, a[0:3]
	s_movk_i32 s4, 0x7f
	v_cmp_gt_i16_sdwa s[6:7], v7, s4 src0_sel:BYTE_3 src1_sel:DWORD
	s_mov_b64 s[4:5], 0
                                        ; implicit-def: $sgpr10
	s_and_saveexec_b64 s[8:9], s[6:7]
	s_xor_b64 s[6:7], exec, s[8:9]
	s_cbranch_execnz .LBB34_2745
; %bb.697:
	s_or_saveexec_b64 s[6:7], s[6:7]
	v_mov_b32_e32 v2, s10
	s_xor_b64 exec, exec, s[6:7]
	s_cbranch_execnz .LBB34_2748
.LBB34_698:
	s_or_b64 exec, exec, s[6:7]
	s_and_saveexec_b64 s[6:7], s[4:5]
	s_cbranch_execz .LBB34_700
.LBB34_699:
	v_bfe_u32 v2, v7, 24, 3
	v_ffbh_u32_e32 v12, v2
	v_min_u32_e32 v12, 32, v12
	v_lshrrev_b32_e32 v10, 27, v7
	v_subrev_u32_e32 v13, 28, v12
	v_and_b32_e32 v6, 0x80000000, v7
	v_and_b32_e32 v10, 15, v10
	v_bfe_u32 v11, v7, 27, 4
	v_lshlrev_b32_sdwa v7, v13, v7 dst_sel:DWORD dst_unused:UNUSED_PAD src0_sel:DWORD src1_sel:BYTE_3
	v_sub_u32_e32 v12, 29, v12
	v_and_b32_e32 v7, 7, v7
	v_cmp_eq_u16_e32 vcc, 0, v10
	v_cndmask_b32_e32 v2, v2, v7, vcc
	v_cndmask_b32_e32 v7, v11, v12, vcc
	v_mov_b32_e32 v10, 0x3b800000
	v_lshlrev_b32_e32 v2, 20, v2
	v_lshl_add_u32 v7, v7, 23, v10
	v_or3_b32 v2, v6, v7, v2
.LBB34_700:
	s_or_b64 exec, exec, s[6:7]
	s_movk_i32 s4, 0x7f
	v_cmp_gt_i16_sdwa s[6:7], v3, s4 src0_sel:BYTE_3 src1_sel:DWORD
	s_mov_b64 s[4:5], 0
                                        ; implicit-def: $sgpr10
	s_and_saveexec_b64 s[8:9], s[6:7]
	s_xor_b64 s[6:7], exec, s[8:9]
	s_cbranch_execnz .LBB34_2749
; %bb.701:
	s_or_saveexec_b64 s[6:7], s[6:7]
	v_mov_b32_e32 v6, s10
	s_xor_b64 exec, exec, s[6:7]
	s_cbranch_execnz .LBB34_2752
.LBB34_702:
	s_or_b64 exec, exec, s[6:7]
	s_and_saveexec_b64 s[6:7], s[4:5]
	s_cbranch_execz .LBB34_704
.LBB34_703:
	v_bfe_u32 v6, v3, 24, 3
	v_ffbh_u32_e32 v12, v6
	v_min_u32_e32 v12, 32, v12
	v_lshrrev_b32_e32 v10, 27, v3
	v_subrev_u32_e32 v13, 28, v12
	v_and_b32_e32 v7, 0x80000000, v3
	v_and_b32_e32 v10, 15, v10
	v_bfe_u32 v11, v3, 27, 4
	v_lshlrev_b32_sdwa v3, v13, v3 dst_sel:DWORD dst_unused:UNUSED_PAD src0_sel:DWORD src1_sel:BYTE_3
	v_sub_u32_e32 v12, 29, v12
	v_and_b32_e32 v3, 7, v3
	v_cmp_eq_u16_e32 vcc, 0, v10
	v_cndmask_b32_e32 v3, v6, v3, vcc
	v_cndmask_b32_e32 v6, v11, v12, vcc
	v_mov_b32_e32 v10, 0x3b800000
	v_lshlrev_b32_e32 v3, 20, v3
	v_lshl_add_u32 v6, v6, 23, v10
	v_or3_b32 v6, v7, v6, v3
.LBB34_704:
	s_or_b64 exec, exec, s[6:7]
	s_nop 0
	v_mfma_f32_16x16x4f32 a[0:3], v2, v6, a[0:3]
	s_movk_i32 s4, 0x7f
	v_cmp_gt_i16_sdwa s[6:7], v8, s4 src0_sel:BYTE_0 src1_sel:DWORD
	s_mov_b64 s[4:5], 0
                                        ; implicit-def: $sgpr10
	s_and_saveexec_b64 s[8:9], s[6:7]
	s_xor_b64 s[6:7], exec, s[8:9]
	s_cbranch_execnz .LBB34_2753
; %bb.705:
	s_or_saveexec_b64 s[6:7], s[6:7]
	v_mov_b32_e32 v2, s10
	s_xor_b64 exec, exec, s[6:7]
	s_cbranch_execnz .LBB34_2756
.LBB34_706:
	s_or_b64 exec, exec, s[6:7]
	s_and_saveexec_b64 s[6:7], s[4:5]
	s_cbranch_execz .LBB34_708
.LBB34_707:
	v_and_b32_e32 v2, 7, v8
	v_ffbh_u32_e32 v6, v2
	v_min_u32_e32 v6, 32, v6
	v_lshrrev_b16_e32 v3, 3, v8
	v_subrev_u32_e32 v7, 28, v6
	v_and_b32_e32 v3, 15, v3
	v_lshlrev_b32_e32 v7, v7, v8
	v_sub_u32_e32 v6, 29, v6
	v_and_b32_e32 v7, 7, v7
	v_cmp_eq_u16_e32 vcc, 0, v3
	v_cndmask_b32_e32 v2, v2, v7, vcc
	v_cndmask_b32_e32 v3, v3, v6, vcc
	v_lshlrev_b32_e32 v6, 24, v8
	v_mov_b32_e32 v7, 0x3b800000
	v_lshlrev_b32_e32 v2, 20, v2
	v_and_b32_e32 v6, 0x80000000, v6
	v_lshl_add_u32 v3, v3, 23, v7
	v_or3_b32 v2, v6, v3, v2
.LBB34_708:
	s_or_b64 exec, exec, s[6:7]
	s_movk_i32 s4, 0x7f
	v_cmp_gt_i16_sdwa s[6:7], v4, s4 src0_sel:BYTE_0 src1_sel:DWORD
	s_mov_b64 s[4:5], 0
                                        ; implicit-def: $sgpr10
	s_and_saveexec_b64 s[8:9], s[6:7]
	s_xor_b64 s[6:7], exec, s[8:9]
	s_cbranch_execnz .LBB34_2757
; %bb.709:
	s_or_saveexec_b64 s[6:7], s[6:7]
	v_mov_b32_e32 v3, s10
	s_xor_b64 exec, exec, s[6:7]
	s_cbranch_execnz .LBB34_2760
.LBB34_710:
	s_or_b64 exec, exec, s[6:7]
	s_and_saveexec_b64 s[6:7], s[4:5]
	s_cbranch_execz .LBB34_712
.LBB34_711:
	v_and_b32_e32 v3, 7, v4
	v_ffbh_u32_e32 v7, v3
	v_min_u32_e32 v7, 32, v7
	v_lshrrev_b16_e32 v6, 3, v4
	v_subrev_u32_e32 v10, 28, v7
	v_and_b32_e32 v6, 15, v6
	v_lshlrev_b32_e32 v10, v10, v4
	v_sub_u32_e32 v7, 29, v7
	v_and_b32_e32 v10, 7, v10
	v_cmp_eq_u16_e32 vcc, 0, v6
	v_cndmask_b32_e32 v3, v3, v10, vcc
	v_cndmask_b32_e32 v6, v6, v7, vcc
	v_lshlrev_b32_e32 v7, 24, v4
	v_mov_b32_e32 v10, 0x3b800000
	v_lshlrev_b32_e32 v3, 20, v3
	v_and_b32_e32 v7, 0x80000000, v7
	v_lshl_add_u32 v6, v6, 23, v10
	v_or3_b32 v3, v7, v6, v3
.LBB34_712:
	s_or_b64 exec, exec, s[6:7]
	s_nop 0
	v_mfma_f32_16x16x4f32 a[0:3], v2, v3, a[0:3]
	v_lshrrev_b32_e32 v3, 8, v8
	s_movk_i32 s4, 0x7f
	v_cmp_gt_i16_sdwa s[6:7], v3, s4 src0_sel:BYTE_0 src1_sel:DWORD
	s_mov_b64 s[4:5], 0
                                        ; implicit-def: $sgpr10
	s_and_saveexec_b64 s[8:9], s[6:7]
	s_xor_b64 s[6:7], exec, s[8:9]
	s_cbranch_execnz .LBB34_2761
; %bb.713:
	s_or_saveexec_b64 s[6:7], s[6:7]
	v_mov_b32_e32 v2, s10
	s_xor_b64 exec, exec, s[6:7]
	s_cbranch_execnz .LBB34_2764
.LBB34_714:
	s_or_b64 exec, exec, s[6:7]
	s_and_saveexec_b64 s[6:7], s[4:5]
	s_cbranch_execz .LBB34_716
.LBB34_715:
	v_bfe_u32 v2, v8, 8, 3
	v_ffbh_u32_e32 v7, v2
	v_min_u32_e32 v7, 32, v7
	v_lshrrev_b16_e32 v6, 3, v3
	v_subrev_u32_e32 v10, 28, v7
	v_and_b32_e32 v6, 15, v6
	v_lshlrev_b32_e32 v3, v10, v3
	v_sub_u32_e32 v7, 29, v7
	v_and_b32_e32 v3, 7, v3
	v_cmp_eq_u16_e32 vcc, 0, v6
	v_cndmask_b32_e32 v2, v2, v3, vcc
	v_cndmask_b32_e32 v3, v6, v7, vcc
	v_lshlrev_b32_e32 v6, 16, v8
	v_mov_b32_e32 v7, 0x3b800000
	v_lshlrev_b32_e32 v2, 20, v2
	v_and_b32_e32 v6, 0x80000000, v6
	v_lshl_add_u32 v3, v3, 23, v7
	v_or3_b32 v2, v6, v3, v2
.LBB34_716:
	s_or_b64 exec, exec, s[6:7]
	v_lshrrev_b32_e32 v3, 8, v4
	s_movk_i32 s4, 0x7f
	v_cmp_gt_i16_sdwa s[6:7], v3, s4 src0_sel:BYTE_0 src1_sel:DWORD
	s_mov_b64 s[4:5], 0
                                        ; implicit-def: $sgpr10
	s_and_saveexec_b64 s[8:9], s[6:7]
	s_xor_b64 s[6:7], exec, s[8:9]
	s_cbranch_execnz .LBB34_2765
; %bb.717:
	s_or_saveexec_b64 s[6:7], s[6:7]
	v_mov_b32_e32 v6, s10
	s_xor_b64 exec, exec, s[6:7]
	s_cbranch_execnz .LBB34_2768
.LBB34_718:
	s_or_b64 exec, exec, s[6:7]
	s_and_saveexec_b64 s[6:7], s[4:5]
	s_cbranch_execz .LBB34_720
.LBB34_719:
	v_bfe_u32 v6, v4, 8, 3
	v_ffbh_u32_e32 v10, v6
	v_min_u32_e32 v10, 32, v10
	v_lshrrev_b16_e32 v7, 3, v3
	v_subrev_u32_e32 v11, 28, v10
	v_and_b32_e32 v7, 15, v7
	v_lshlrev_b32_e32 v3, v11, v3
	v_sub_u32_e32 v10, 29, v10
	v_and_b32_e32 v3, 7, v3
	v_cmp_eq_u16_e32 vcc, 0, v7
	v_cndmask_b32_e32 v3, v6, v3, vcc
	v_cndmask_b32_e32 v6, v7, v10, vcc
	v_lshlrev_b32_e32 v7, 16, v4
	v_mov_b32_e32 v10, 0x3b800000
	v_lshlrev_b32_e32 v3, 20, v3
	v_and_b32_e32 v7, 0x80000000, v7
	v_lshl_add_u32 v6, v6, 23, v10
	v_or3_b32 v6, v7, v6, v3
.LBB34_720:
	s_or_b64 exec, exec, s[6:7]
	s_nop 0
	v_mfma_f32_16x16x4f32 a[0:3], v2, v6, a[0:3]
	s_movk_i32 s4, 0xff
	v_and_b32_sdwa v3, v8, s4 dst_sel:DWORD dst_unused:UNUSED_PAD src0_sel:WORD_1 src1_sel:DWORD
	s_movk_i32 s4, 0x7f
	v_cmp_lt_i16_e32 vcc, s4, v3
	s_mov_b64 s[4:5], 0
                                        ; implicit-def: $sgpr10
	s_and_saveexec_b64 s[6:7], vcc
	s_xor_b64 s[6:7], exec, s[6:7]
	s_cbranch_execnz .LBB34_2769
; %bb.721:
	s_or_saveexec_b64 s[6:7], s[6:7]
	v_mov_b32_e32 v2, s10
	s_xor_b64 exec, exec, s[6:7]
	s_cbranch_execnz .LBB34_2772
.LBB34_722:
	s_or_b64 exec, exec, s[6:7]
	s_and_saveexec_b64 s[6:7], s[4:5]
	s_cbranch_execz .LBB34_724
.LBB34_723:
	v_bfe_u32 v2, v8, 16, 3
	v_ffbh_u32_e32 v7, v2
	v_min_u32_e32 v7, 32, v7
	v_lshrrev_b32_e32 v3, 19, v8
	v_subrev_u32_e32 v10, 28, v7
	v_and_b32_e32 v3, 15, v3
	v_lshlrev_b32_sdwa v10, v10, v8 dst_sel:DWORD dst_unused:UNUSED_PAD src0_sel:DWORD src1_sel:WORD_1
	v_bfe_u32 v6, v8, 19, 4
	v_sub_u32_e32 v7, 29, v7
	v_and_b32_e32 v10, 7, v10
	v_cmp_eq_u16_e32 vcc, 0, v3
	v_cndmask_b32_e32 v2, v2, v10, vcc
	v_cndmask_b32_e32 v3, v6, v7, vcc
	v_lshlrev_b32_e32 v6, 8, v8
	v_mov_b32_e32 v7, 0x3b800000
	v_lshlrev_b32_e32 v2, 20, v2
	v_and_b32_e32 v6, 0x80000000, v6
	v_lshl_add_u32 v3, v3, 23, v7
	v_or3_b32 v2, v6, v3, v2
.LBB34_724:
	s_or_b64 exec, exec, s[6:7]
	s_movk_i32 s4, 0xff
	v_and_b32_sdwa v3, v4, s4 dst_sel:DWORD dst_unused:UNUSED_PAD src0_sel:WORD_1 src1_sel:DWORD
	s_movk_i32 s4, 0x7f
	v_cmp_lt_i16_e32 vcc, s4, v3
	s_mov_b64 s[4:5], 0
                                        ; implicit-def: $sgpr10
	s_and_saveexec_b64 s[6:7], vcc
	s_xor_b64 s[6:7], exec, s[6:7]
	s_cbranch_execnz .LBB34_2773
; %bb.725:
	s_or_saveexec_b64 s[6:7], s[6:7]
	v_mov_b32_e32 v6, s10
	s_xor_b64 exec, exec, s[6:7]
	s_cbranch_execnz .LBB34_2776
.LBB34_726:
	s_or_b64 exec, exec, s[6:7]
	s_and_saveexec_b64 s[6:7], s[4:5]
	s_cbranch_execz .LBB34_728
.LBB34_727:
	v_bfe_u32 v3, v4, 16, 3
	v_ffbh_u32_e32 v10, v3
	v_min_u32_e32 v10, 32, v10
	v_lshrrev_b32_e32 v6, 19, v4
	v_subrev_u32_e32 v11, 28, v10
	v_and_b32_e32 v6, 15, v6
	v_lshlrev_b32_sdwa v11, v11, v4 dst_sel:DWORD dst_unused:UNUSED_PAD src0_sel:DWORD src1_sel:WORD_1
	v_bfe_u32 v7, v4, 19, 4
	v_sub_u32_e32 v10, 29, v10
	v_and_b32_e32 v11, 7, v11
	v_cmp_eq_u16_e32 vcc, 0, v6
	v_cndmask_b32_e32 v3, v3, v11, vcc
	v_cndmask_b32_e32 v6, v7, v10, vcc
	v_lshlrev_b32_e32 v7, 8, v4
	v_mov_b32_e32 v10, 0x3b800000
	v_lshlrev_b32_e32 v3, 20, v3
	v_and_b32_e32 v7, 0x80000000, v7
	v_lshl_add_u32 v6, v6, 23, v10
	v_or3_b32 v6, v7, v6, v3
.LBB34_728:
	s_or_b64 exec, exec, s[6:7]
	s_nop 0
	v_mfma_f32_16x16x4f32 a[0:3], v2, v6, a[0:3]
	s_movk_i32 s4, 0x7f
	v_cmp_gt_i16_sdwa s[6:7], v8, s4 src0_sel:BYTE_3 src1_sel:DWORD
	s_mov_b64 s[4:5], 0
                                        ; implicit-def: $sgpr10
	s_and_saveexec_b64 s[8:9], s[6:7]
	s_xor_b64 s[6:7], exec, s[8:9]
	s_cbranch_execnz .LBB34_2777
; %bb.729:
	s_or_saveexec_b64 s[6:7], s[6:7]
	v_mov_b32_e32 v2, s10
	s_xor_b64 exec, exec, s[6:7]
	s_cbranch_execnz .LBB34_2780
.LBB34_730:
	s_or_b64 exec, exec, s[6:7]
	s_and_saveexec_b64 s[6:7], s[4:5]
	s_cbranch_execz .LBB34_732
.LBB34_731:
	v_bfe_u32 v2, v8, 24, 3
	v_ffbh_u32_e32 v10, v2
	v_min_u32_e32 v10, 32, v10
	v_lshrrev_b32_e32 v6, 27, v8
	v_subrev_u32_e32 v11, 28, v10
	v_and_b32_e32 v3, 0x80000000, v8
	v_and_b32_e32 v6, 15, v6
	v_bfe_u32 v7, v8, 27, 4
	v_lshlrev_b32_sdwa v8, v11, v8 dst_sel:DWORD dst_unused:UNUSED_PAD src0_sel:DWORD src1_sel:BYTE_3
	v_sub_u32_e32 v10, 29, v10
	v_and_b32_e32 v8, 7, v8
	v_cmp_eq_u16_e32 vcc, 0, v6
	v_cndmask_b32_e32 v2, v2, v8, vcc
	v_cndmask_b32_e32 v6, v7, v10, vcc
	v_mov_b32_e32 v7, 0x3b800000
	v_lshlrev_b32_e32 v2, 20, v2
	v_lshl_add_u32 v6, v6, 23, v7
	v_or3_b32 v2, v3, v6, v2
.LBB34_732:
	s_or_b64 exec, exec, s[6:7]
	s_movk_i32 s4, 0x7f
	v_cmp_gt_i16_sdwa s[6:7], v4, s4 src0_sel:BYTE_3 src1_sel:DWORD
	s_mov_b64 s[4:5], 0
                                        ; implicit-def: $sgpr10
	s_and_saveexec_b64 s[8:9], s[6:7]
	s_xor_b64 s[6:7], exec, s[8:9]
	s_cbranch_execnz .LBB34_2781
; %bb.733:
	s_or_saveexec_b64 s[6:7], s[6:7]
	v_mov_b32_e32 v3, s10
	s_xor_b64 exec, exec, s[6:7]
	s_cbranch_execnz .LBB34_2784
.LBB34_734:
	s_or_b64 exec, exec, s[6:7]
	s_and_saveexec_b64 s[6:7], s[4:5]
	s_cbranch_execz .LBB34_736
.LBB34_735:
	v_bfe_u32 v3, v4, 24, 3
	v_ffbh_u32_e32 v10, v3
	v_min_u32_e32 v10, 32, v10
	v_lshrrev_b32_e32 v7, 27, v4
	v_subrev_u32_e32 v11, 28, v10
	v_and_b32_e32 v6, 0x80000000, v4
	v_and_b32_e32 v7, 15, v7
	v_bfe_u32 v8, v4, 27, 4
	v_lshlrev_b32_sdwa v4, v11, v4 dst_sel:DWORD dst_unused:UNUSED_PAD src0_sel:DWORD src1_sel:BYTE_3
	v_sub_u32_e32 v10, 29, v10
	v_and_b32_e32 v4, 7, v4
	v_cmp_eq_u16_e32 vcc, 0, v7
	v_cndmask_b32_e32 v3, v3, v4, vcc
	v_cndmask_b32_e32 v4, v8, v10, vcc
	v_mov_b32_e32 v7, 0x3b800000
	v_lshlrev_b32_e32 v3, 20, v3
	v_lshl_add_u32 v4, v4, 23, v7
	v_or3_b32 v3, v6, v4, v3
.LBB34_736:
	s_or_b64 exec, exec, s[6:7]
	s_nop 0
	v_mfma_f32_16x16x4f32 a[0:3], v2, v3, a[0:3]
	s_movk_i32 s4, 0x7f
	v_cmp_gt_i16_sdwa s[6:7], v9, s4 src0_sel:BYTE_0 src1_sel:DWORD
	s_mov_b64 s[4:5], 0
                                        ; implicit-def: $sgpr10
	s_and_saveexec_b64 s[8:9], s[6:7]
	s_xor_b64 s[6:7], exec, s[8:9]
	s_cbranch_execnz .LBB34_2785
; %bb.737:
	s_or_saveexec_b64 s[6:7], s[6:7]
	v_mov_b32_e32 v2, s10
	s_xor_b64 exec, exec, s[6:7]
	s_cbranch_execnz .LBB34_2788
.LBB34_738:
	s_or_b64 exec, exec, s[6:7]
	s_and_saveexec_b64 s[6:7], s[4:5]
	s_cbranch_execz .LBB34_740
.LBB34_739:
	v_mov_b32_e32 v2, 8
	v_and_b32_e32 v3, 7, v9
	v_lshrrev_b32_sdwa v2, v2, v9 dst_sel:BYTE_1 dst_unused:UNUSED_PAD src0_sel:DWORD src1_sel:DWORD
	v_ffbh_u32_e32 v4, v3
	v_or_b32_sdwa v2, v9, v2 dst_sel:DWORD dst_unused:UNUSED_PAD src0_sel:BYTE_0 src1_sel:DWORD
	v_min_u32_e32 v4, 32, v4
	v_lshrrev_b16_e32 v2, 3, v2
	v_subrev_u32_e32 v6, 28, v4
	v_and_b32_e32 v2, 15, v2
	v_lshlrev_b32_e32 v6, v6, v9
	v_sub_u32_e32 v4, 29, v4
	v_and_b32_e32 v6, 7, v6
	v_cmp_eq_u16_e32 vcc, 0, v2
	v_cndmask_b32_e32 v3, v3, v6, vcc
	v_cndmask_b32_e32 v2, v2, v4, vcc
	v_lshlrev_b32_e32 v4, 24, v9
	v_mov_b32_e32 v6, 0x3b800000
	v_lshlrev_b32_e32 v3, 20, v3
	v_and_b32_e32 v4, 0x80000000, v4
	v_lshl_add_u32 v2, v2, 23, v6
	v_or3_b32 v2, v4, v2, v3
.LBB34_740:
	s_or_b64 exec, exec, s[6:7]
	s_movk_i32 s4, 0x7f
	v_cmp_gt_i16_sdwa s[6:7], v5, s4 src0_sel:BYTE_0 src1_sel:DWORD
	s_mov_b64 s[4:5], 0
                                        ; implicit-def: $sgpr10
	s_and_saveexec_b64 s[8:9], s[6:7]
	s_xor_b64 s[6:7], exec, s[8:9]
	s_cbranch_execnz .LBB34_2789
; %bb.741:
	s_or_saveexec_b64 s[6:7], s[6:7]
	v_mov_b32_e32 v3, s10
	s_xor_b64 exec, exec, s[6:7]
	s_cbranch_execnz .LBB34_2792
.LBB34_742:
	s_or_b64 exec, exec, s[6:7]
	s_and_saveexec_b64 s[6:7], s[4:5]
	s_cbranch_execz .LBB34_744
.LBB34_743:
	v_mov_b32_e32 v3, 8
	v_and_b32_e32 v4, 7, v5
	v_lshrrev_b32_sdwa v3, v3, v5 dst_sel:BYTE_1 dst_unused:UNUSED_PAD src0_sel:DWORD src1_sel:DWORD
	v_ffbh_u32_e32 v6, v4
	v_or_b32_sdwa v3, v5, v3 dst_sel:DWORD dst_unused:UNUSED_PAD src0_sel:BYTE_0 src1_sel:DWORD
	v_min_u32_e32 v6, 32, v6
	v_lshrrev_b16_e32 v3, 3, v3
	v_subrev_u32_e32 v7, 28, v6
	v_and_b32_e32 v3, 15, v3
	v_lshlrev_b32_e32 v7, v7, v5
	v_sub_u32_e32 v6, 29, v6
	v_and_b32_e32 v7, 7, v7
	v_cmp_eq_u16_e32 vcc, 0, v3
	v_cndmask_b32_e32 v4, v4, v7, vcc
	v_cndmask_b32_e32 v3, v3, v6, vcc
	v_lshlrev_b32_e32 v6, 24, v5
	v_mov_b32_e32 v7, 0x3b800000
	v_lshlrev_b32_e32 v4, 20, v4
	v_and_b32_e32 v6, 0x80000000, v6
	v_lshl_add_u32 v3, v3, 23, v7
	v_or3_b32 v3, v6, v3, v4
.LBB34_744:
	s_or_b64 exec, exec, s[6:7]
	s_nop 0
	v_mfma_f32_16x16x4f32 a[0:3], v2, v3, a[0:3]
	v_lshrrev_b32_e32 v3, 8, v9
	s_movk_i32 s4, 0x7f
	v_cmp_gt_i16_sdwa s[6:7], v3, s4 src0_sel:BYTE_0 src1_sel:DWORD
	s_mov_b64 s[4:5], 0
                                        ; implicit-def: $sgpr10
	s_and_saveexec_b64 s[8:9], s[6:7]
	s_xor_b64 s[6:7], exec, s[8:9]
	s_cbranch_execnz .LBB34_2793
; %bb.745:
	s_or_saveexec_b64 s[6:7], s[6:7]
	v_mov_b32_e32 v2, s10
	s_xor_b64 exec, exec, s[6:7]
	s_cbranch_execnz .LBB34_2796
.LBB34_746:
	s_or_b64 exec, exec, s[6:7]
	s_and_saveexec_b64 s[6:7], s[4:5]
	s_cbranch_execz .LBB34_748
.LBB34_747:
	v_bfe_u32 v2, v9, 8, 3
	v_ffbh_u32_e32 v6, v2
	v_min_u32_e32 v6, 32, v6
	v_lshrrev_b16_e32 v4, 3, v3
	v_subrev_u32_e32 v7, 28, v6
	v_and_b32_e32 v4, 15, v4
	v_lshlrev_b32_e32 v3, v7, v3
	v_sub_u32_e32 v6, 29, v6
	v_and_b32_e32 v3, 7, v3
	v_cmp_eq_u16_e32 vcc, 0, v4
	v_cndmask_b32_e32 v2, v2, v3, vcc
	v_cndmask_b32_e32 v3, v4, v6, vcc
	v_lshlrev_b32_e32 v4, 16, v9
	v_mov_b32_e32 v6, 0x3b800000
	v_lshlrev_b32_e32 v2, 20, v2
	v_and_b32_e32 v4, 0x80000000, v4
	v_lshl_add_u32 v3, v3, 23, v6
	v_or3_b32 v2, v4, v3, v2
.LBB34_748:
	s_or_b64 exec, exec, s[6:7]
	v_lshrrev_b32_e32 v3, 8, v5
	s_movk_i32 s4, 0x7f
	v_cmp_gt_i16_sdwa s[6:7], v3, s4 src0_sel:BYTE_0 src1_sel:DWORD
	s_mov_b64 s[4:5], 0
                                        ; implicit-def: $sgpr10
	s_and_saveexec_b64 s[8:9], s[6:7]
	s_xor_b64 s[6:7], exec, s[8:9]
	s_cbranch_execnz .LBB34_2797
; %bb.749:
	s_or_saveexec_b64 s[6:7], s[6:7]
	v_mov_b32_e32 v4, s10
	s_xor_b64 exec, exec, s[6:7]
	s_cbranch_execnz .LBB34_2800
.LBB34_750:
	s_or_b64 exec, exec, s[6:7]
	s_and_saveexec_b64 s[6:7], s[4:5]
	s_cbranch_execz .LBB34_752
.LBB34_751:
	v_bfe_u32 v4, v5, 8, 3
	v_ffbh_u32_e32 v7, v4
	v_min_u32_e32 v7, 32, v7
	v_lshrrev_b16_e32 v6, 3, v3
	v_subrev_u32_e32 v8, 28, v7
	v_and_b32_e32 v6, 15, v6
	v_lshlrev_b32_e32 v3, v8, v3
	v_sub_u32_e32 v7, 29, v7
	v_and_b32_e32 v3, 7, v3
	v_cmp_eq_u16_e32 vcc, 0, v6
	v_cndmask_b32_e32 v3, v4, v3, vcc
	v_cndmask_b32_e32 v4, v6, v7, vcc
	v_lshlrev_b32_e32 v6, 16, v5
	v_mov_b32_e32 v7, 0x3b800000
	v_lshlrev_b32_e32 v3, 20, v3
	v_and_b32_e32 v6, 0x80000000, v6
	v_lshl_add_u32 v4, v4, 23, v7
	v_or3_b32 v4, v6, v4, v3
.LBB34_752:
	s_or_b64 exec, exec, s[6:7]
	s_nop 0
	v_mfma_f32_16x16x4f32 a[0:3], v2, v4, a[0:3]
	s_movk_i32 s4, 0xff
	v_and_b32_sdwa v3, v9, s4 dst_sel:DWORD dst_unused:UNUSED_PAD src0_sel:WORD_1 src1_sel:DWORD
	s_movk_i32 s4, 0x7f
	v_cmp_lt_i16_e32 vcc, s4, v3
	s_mov_b64 s[4:5], 0
                                        ; implicit-def: $sgpr10
	s_and_saveexec_b64 s[6:7], vcc
	s_xor_b64 s[6:7], exec, s[6:7]
	s_cbranch_execnz .LBB34_2801
; %bb.753:
	s_or_saveexec_b64 s[6:7], s[6:7]
	v_mov_b32_e32 v2, s10
	s_xor_b64 exec, exec, s[6:7]
	s_cbranch_execnz .LBB34_2804
.LBB34_754:
	s_or_b64 exec, exec, s[6:7]
	s_and_saveexec_b64 s[6:7], s[4:5]
	s_cbranch_execz .LBB34_756
.LBB34_755:
	v_bfe_u32 v2, v9, 16, 3
	v_ffbh_u32_e32 v6, v2
	v_min_u32_e32 v6, 32, v6
	v_lshrrev_b32_e32 v3, 19, v9
	v_subrev_u32_e32 v7, 28, v6
	v_and_b32_e32 v3, 15, v3
	v_lshlrev_b32_sdwa v7, v7, v9 dst_sel:DWORD dst_unused:UNUSED_PAD src0_sel:DWORD src1_sel:WORD_1
	v_bfe_u32 v4, v9, 19, 4
	v_sub_u32_e32 v6, 29, v6
	v_and_b32_e32 v7, 7, v7
	v_cmp_eq_u16_e32 vcc, 0, v3
	v_cndmask_b32_e32 v2, v2, v7, vcc
	v_cndmask_b32_e32 v3, v4, v6, vcc
	v_lshlrev_b32_e32 v4, 8, v9
	v_mov_b32_e32 v6, 0x3b800000
	v_lshlrev_b32_e32 v2, 20, v2
	v_and_b32_e32 v4, 0x80000000, v4
	v_lshl_add_u32 v3, v3, 23, v6
	v_or3_b32 v2, v4, v3, v2
.LBB34_756:
	s_or_b64 exec, exec, s[6:7]
	s_movk_i32 s4, 0xff
	v_and_b32_sdwa v3, v5, s4 dst_sel:DWORD dst_unused:UNUSED_PAD src0_sel:WORD_1 src1_sel:DWORD
	s_movk_i32 s4, 0x7f
	v_cmp_lt_i16_e32 vcc, s4, v3
	s_mov_b64 s[4:5], 0
                                        ; implicit-def: $sgpr10
	s_and_saveexec_b64 s[6:7], vcc
	s_xor_b64 s[6:7], exec, s[6:7]
	s_cbranch_execnz .LBB34_2805
; %bb.757:
	s_or_saveexec_b64 s[6:7], s[6:7]
	v_mov_b32_e32 v4, s10
	s_xor_b64 exec, exec, s[6:7]
	s_cbranch_execnz .LBB34_2808
.LBB34_758:
	s_or_b64 exec, exec, s[6:7]
	s_and_saveexec_b64 s[6:7], s[4:5]
	s_cbranch_execz .LBB34_760
.LBB34_759:
	v_bfe_u32 v3, v5, 16, 3
	v_ffbh_u32_e32 v7, v3
	v_min_u32_e32 v7, 32, v7
	v_lshrrev_b32_e32 v4, 19, v5
	v_subrev_u32_e32 v8, 28, v7
	v_and_b32_e32 v4, 15, v4
	v_lshlrev_b32_sdwa v8, v8, v5 dst_sel:DWORD dst_unused:UNUSED_PAD src0_sel:DWORD src1_sel:WORD_1
	v_bfe_u32 v6, v5, 19, 4
	v_sub_u32_e32 v7, 29, v7
	v_and_b32_e32 v8, 7, v8
	v_cmp_eq_u16_e32 vcc, 0, v4
	v_cndmask_b32_e32 v3, v3, v8, vcc
	v_cndmask_b32_e32 v4, v6, v7, vcc
	v_lshlrev_b32_e32 v6, 8, v5
	v_mov_b32_e32 v7, 0x3b800000
	v_lshlrev_b32_e32 v3, 20, v3
	v_and_b32_e32 v6, 0x80000000, v6
	v_lshl_add_u32 v4, v4, 23, v7
	v_or3_b32 v4, v6, v4, v3
.LBB34_760:
	s_or_b64 exec, exec, s[6:7]
	s_nop 0
	v_mfma_f32_16x16x4f32 a[0:3], v2, v4, a[0:3]
	s_movk_i32 s4, 0x7f
	v_cmp_gt_i16_sdwa s[6:7], v9, s4 src0_sel:BYTE_3 src1_sel:DWORD
	s_mov_b64 s[4:5], 0
                                        ; implicit-def: $sgpr10
	s_and_saveexec_b64 s[8:9], s[6:7]
	s_xor_b64 s[6:7], exec, s[8:9]
	s_cbranch_execnz .LBB34_2809
; %bb.761:
	s_or_saveexec_b64 s[6:7], s[6:7]
	v_mov_b32_e32 v2, s10
	s_xor_b64 exec, exec, s[6:7]
	s_cbranch_execnz .LBB34_2812
.LBB34_762:
	s_or_b64 exec, exec, s[6:7]
	s_and_saveexec_b64 s[6:7], s[4:5]
	s_cbranch_execz .LBB34_764
.LBB34_763:
	v_bfe_u32 v2, v9, 24, 3
	v_ffbh_u32_e32 v7, v2
	v_min_u32_e32 v7, 32, v7
	v_lshrrev_b32_e32 v4, 27, v9
	v_subrev_u32_e32 v8, 28, v7
	v_and_b32_e32 v4, 15, v4
	v_lshlrev_b32_sdwa v8, v8, v9 dst_sel:DWORD dst_unused:UNUSED_PAD src0_sel:DWORD src1_sel:BYTE_3
	v_bfe_u32 v6, v9, 27, 4
	v_sub_u32_e32 v7, 29, v7
	v_and_b32_e32 v8, 7, v8
	v_cmp_eq_u16_e32 vcc, 0, v4
	v_cndmask_b32_e32 v2, v2, v8, vcc
	v_cndmask_b32_e32 v4, v6, v7, vcc
	v_mov_b32_e32 v6, 0x3b800000
	v_and_b32_e32 v3, 0x80000000, v9
	v_lshlrev_b32_e32 v2, 20, v2
	v_lshl_add_u32 v4, v4, 23, v6
	v_or3_b32 v2, v3, v4, v2
.LBB34_764:
	s_or_b64 exec, exec, s[6:7]
	s_movk_i32 s4, 0x7f
	v_cmp_gt_i16_sdwa s[6:7], v5, s4 src0_sel:BYTE_3 src1_sel:DWORD
	s_mov_b64 s[4:5], 0
                                        ; implicit-def: $sgpr10
	s_and_saveexec_b64 s[8:9], s[6:7]
	s_xor_b64 s[6:7], exec, s[8:9]
	s_cbranch_execnz .LBB34_2813
; %bb.765:
	s_or_saveexec_b64 s[6:7], s[6:7]
	v_mov_b32_e32 v3, s10
	s_xor_b64 exec, exec, s[6:7]
	s_cbranch_execnz .LBB34_2816
.LBB34_766:
	s_or_b64 exec, exec, s[6:7]
	s_and_saveexec_b64 s[6:7], s[4:5]
	s_cbranch_execz .LBB34_768
.LBB34_767:
	v_bfe_u32 v3, v5, 24, 3
	v_ffbh_u32_e32 v8, v3
	v_min_u32_e32 v8, 32, v8
	v_lshrrev_b32_e32 v6, 27, v5
	v_subrev_u32_e32 v9, 28, v8
	v_and_b32_e32 v4, 0x80000000, v5
	v_and_b32_e32 v6, 15, v6
	v_bfe_u32 v7, v5, 27, 4
	v_lshlrev_b32_sdwa v5, v9, v5 dst_sel:DWORD dst_unused:UNUSED_PAD src0_sel:DWORD src1_sel:BYTE_3
	v_sub_u32_e32 v8, 29, v8
	v_and_b32_e32 v5, 7, v5
	v_cmp_eq_u16_e32 vcc, 0, v6
	v_cndmask_b32_e32 v3, v3, v5, vcc
	v_cndmask_b32_e32 v5, v7, v8, vcc
	v_mov_b32_e32 v6, 0x3b800000
	v_lshlrev_b32_e32 v3, 20, v3
	v_lshl_add_u32 v5, v5, 23, v6
	v_or3_b32 v3, v4, v5, v3
.LBB34_768:
	s_or_b64 exec, exec, s[6:7]
	s_nop 0
	v_mfma_f32_16x16x4f32 a[0:3], v2, v3, a[0:3]
	s_movk_i32 s4, 0x7f
                                        ; implicit-def: $sgpr10
	s_nop 7
	s_nop 1
	flat_store_dwordx4 v[18:19], a[0:3] offset:800
	flat_load_dwordx4 v[20:23], v[0:1] offset:16
	s_nop 0
	flat_load_dwordx2 v[18:19], v[0:1] offset:32
	s_waitcnt vmcnt(0) lgkmcnt(0)
	flat_load_dwordx4 v[14:17], v[20:21]
	flat_load_dwordx4 v[6:9], v[20:21] offset:16
	flat_load_dwordx4 v[10:13], v[22:23] offset:96
	;; [unrolled: 1-line block ×3, first 2 shown]
	s_waitcnt vmcnt(0) lgkmcnt(0)
	v_cmp_gt_i16_sdwa s[6:7], v14, s4 src0_sel:BYTE_0 src1_sel:DWORD
	s_mov_b64 s[4:5], 0
	s_and_saveexec_b64 s[8:9], s[6:7]
	s_xor_b64 s[6:7], exec, s[8:9]
	s_cbranch_execnz .LBB34_2817
; %bb.769:
	s_or_saveexec_b64 s[6:7], s[6:7]
	v_mov_b32_e32 v20, s10
	s_xor_b64 exec, exec, s[6:7]
	s_cbranch_execnz .LBB34_2820
.LBB34_770:
	s_or_b64 exec, exec, s[6:7]
	s_and_saveexec_b64 s[6:7], s[4:5]
	s_cbranch_execz .LBB34_772
.LBB34_771:
	v_and_b32_e32 v20, 7, v14
	v_ffbh_u32_e32 v22, v20
	v_min_u32_e32 v22, 32, v22
	v_lshrrev_b16_e32 v21, 3, v14
	v_subrev_u32_e32 v23, 28, v22
	v_and_b32_e32 v21, 15, v21
	v_lshlrev_b32_e32 v23, v23, v14
	v_sub_u32_e32 v22, 29, v22
	v_and_b32_e32 v23, 7, v23
	v_cmp_eq_u16_e32 vcc, 0, v21
	v_cndmask_b32_e32 v20, v20, v23, vcc
	v_cndmask_b32_e32 v21, v21, v22, vcc
	v_lshlrev_b32_e32 v22, 24, v14
	v_mov_b32_e32 v23, 0x3b800000
	v_lshlrev_b32_e32 v20, 20, v20
	v_and_b32_e32 v22, 0x80000000, v22
	v_lshl_add_u32 v21, v21, 23, v23
	v_or3_b32 v20, v22, v21, v20
.LBB34_772:
	s_or_b64 exec, exec, s[6:7]
	s_movk_i32 s4, 0x7f
	v_cmp_gt_i16_sdwa s[6:7], v10, s4 src0_sel:BYTE_0 src1_sel:DWORD
	s_mov_b64 s[4:5], 0
                                        ; implicit-def: $sgpr10
	s_and_saveexec_b64 s[8:9], s[6:7]
	s_xor_b64 s[6:7], exec, s[8:9]
	s_cbranch_execnz .LBB34_2821
; %bb.773:
	s_or_saveexec_b64 s[6:7], s[6:7]
	v_mov_b32_e32 v21, s10
	s_xor_b64 exec, exec, s[6:7]
	s_cbranch_execnz .LBB34_2824
.LBB34_774:
	s_or_b64 exec, exec, s[6:7]
	s_and_saveexec_b64 s[6:7], s[4:5]
	s_cbranch_execz .LBB34_776
.LBB34_775:
	v_and_b32_e32 v21, 7, v10
	v_ffbh_u32_e32 v23, v21
	v_min_u32_e32 v23, 32, v23
	v_lshrrev_b16_e32 v22, 3, v10
	v_subrev_u32_e32 v24, 28, v23
	v_and_b32_e32 v22, 15, v22
	v_lshlrev_b32_e32 v24, v24, v10
	v_sub_u32_e32 v23, 29, v23
	v_and_b32_e32 v24, 7, v24
	v_cmp_eq_u16_e32 vcc, 0, v22
	v_cndmask_b32_e32 v21, v21, v24, vcc
	v_cndmask_b32_e32 v22, v22, v23, vcc
	v_lshlrev_b32_e32 v23, 24, v10
	v_mov_b32_e32 v24, 0x3b800000
	v_lshlrev_b32_e32 v21, 20, v21
	v_and_b32_e32 v23, 0x80000000, v23
	v_lshl_add_u32 v22, v22, 23, v24
	v_or3_b32 v21, v23, v22, v21
.LBB34_776:
	s_or_b64 exec, exec, s[6:7]
	flat_load_dwordx4 a[0:3], v[18:19] offset:816
	s_movk_i32 s4, 0x7f
                                        ; implicit-def: $sgpr10
	s_waitcnt vmcnt(0) lgkmcnt(0)
	v_mfma_f32_16x16x4f32 a[0:3], v20, v21, a[0:3]
	v_lshrrev_b32_e32 v21, 8, v14
	v_cmp_gt_i16_sdwa s[6:7], v21, s4 src0_sel:BYTE_0 src1_sel:DWORD
	s_mov_b64 s[4:5], 0
	s_and_saveexec_b64 s[8:9], s[6:7]
	s_xor_b64 s[6:7], exec, s[8:9]
	s_cbranch_execnz .LBB34_2825
; %bb.777:
	s_or_saveexec_b64 s[6:7], s[6:7]
	v_mov_b32_e32 v20, s10
	s_xor_b64 exec, exec, s[6:7]
	s_cbranch_execnz .LBB34_2828
.LBB34_778:
	s_or_b64 exec, exec, s[6:7]
	s_and_saveexec_b64 s[6:7], s[4:5]
	s_cbranch_execz .LBB34_780
.LBB34_779:
	v_bfe_u32 v20, v14, 8, 3
	v_ffbh_u32_e32 v23, v20
	v_min_u32_e32 v23, 32, v23
	v_lshrrev_b16_e32 v22, 3, v21
	v_subrev_u32_e32 v24, 28, v23
	v_and_b32_e32 v22, 15, v22
	v_lshlrev_b32_e32 v21, v24, v21
	v_sub_u32_e32 v23, 29, v23
	v_and_b32_e32 v21, 7, v21
	v_cmp_eq_u16_e32 vcc, 0, v22
	v_cndmask_b32_e32 v20, v20, v21, vcc
	v_cndmask_b32_e32 v21, v22, v23, vcc
	v_lshlrev_b32_e32 v22, 16, v14
	v_mov_b32_e32 v23, 0x3b800000
	v_lshlrev_b32_e32 v20, 20, v20
	v_and_b32_e32 v22, 0x80000000, v22
	v_lshl_add_u32 v21, v21, 23, v23
	v_or3_b32 v20, v22, v21, v20
.LBB34_780:
	s_or_b64 exec, exec, s[6:7]
	v_lshrrev_b32_e32 v21, 8, v10
	s_movk_i32 s4, 0x7f
	v_cmp_gt_i16_sdwa s[6:7], v21, s4 src0_sel:BYTE_0 src1_sel:DWORD
	s_mov_b64 s[4:5], 0
                                        ; implicit-def: $sgpr10
	s_and_saveexec_b64 s[8:9], s[6:7]
	s_xor_b64 s[6:7], exec, s[8:9]
	s_cbranch_execnz .LBB34_2829
; %bb.781:
	s_or_saveexec_b64 s[6:7], s[6:7]
	v_mov_b32_e32 v22, s10
	s_xor_b64 exec, exec, s[6:7]
	s_cbranch_execnz .LBB34_2832
.LBB34_782:
	s_or_b64 exec, exec, s[6:7]
	s_and_saveexec_b64 s[6:7], s[4:5]
	s_cbranch_execz .LBB34_784
.LBB34_783:
	v_bfe_u32 v22, v10, 8, 3
	v_ffbh_u32_e32 v24, v22
	v_min_u32_e32 v24, 32, v24
	v_lshrrev_b16_e32 v23, 3, v21
	v_subrev_u32_e32 v25, 28, v24
	v_and_b32_e32 v23, 15, v23
	v_lshlrev_b32_e32 v21, v25, v21
	v_sub_u32_e32 v24, 29, v24
	v_and_b32_e32 v21, 7, v21
	v_cmp_eq_u16_e32 vcc, 0, v23
	v_cndmask_b32_e32 v21, v22, v21, vcc
	v_cndmask_b32_e32 v22, v23, v24, vcc
	v_lshlrev_b32_e32 v23, 16, v10
	v_mov_b32_e32 v24, 0x3b800000
	v_lshlrev_b32_e32 v21, 20, v21
	v_and_b32_e32 v23, 0x80000000, v23
	v_lshl_add_u32 v22, v22, 23, v24
	v_or3_b32 v22, v23, v22, v21
.LBB34_784:
	s_or_b64 exec, exec, s[6:7]
	s_nop 0
	v_mfma_f32_16x16x4f32 a[0:3], v20, v22, a[0:3]
	s_movk_i32 s4, 0xff
	v_and_b32_sdwa v21, v14, s4 dst_sel:DWORD dst_unused:UNUSED_PAD src0_sel:WORD_1 src1_sel:DWORD
	s_movk_i32 s4, 0x7f
	v_cmp_lt_i16_e32 vcc, s4, v21
	s_mov_b64 s[4:5], 0
                                        ; implicit-def: $sgpr10
	s_and_saveexec_b64 s[6:7], vcc
	s_xor_b64 s[6:7], exec, s[6:7]
	s_cbranch_execnz .LBB34_2833
; %bb.785:
	s_or_saveexec_b64 s[6:7], s[6:7]
	v_mov_b32_e32 v20, s10
	s_xor_b64 exec, exec, s[6:7]
	s_cbranch_execnz .LBB34_2836
.LBB34_786:
	s_or_b64 exec, exec, s[6:7]
	s_and_saveexec_b64 s[6:7], s[4:5]
	s_cbranch_execz .LBB34_788
.LBB34_787:
	v_bfe_u32 v20, v14, 16, 3
	v_ffbh_u32_e32 v23, v20
	v_min_u32_e32 v23, 32, v23
	v_lshrrev_b32_e32 v21, 19, v14
	v_subrev_u32_e32 v24, 28, v23
	v_and_b32_e32 v21, 15, v21
	v_lshlrev_b32_sdwa v24, v24, v14 dst_sel:DWORD dst_unused:UNUSED_PAD src0_sel:DWORD src1_sel:WORD_1
	v_bfe_u32 v22, v14, 19, 4
	v_sub_u32_e32 v23, 29, v23
	v_and_b32_e32 v24, 7, v24
	v_cmp_eq_u16_e32 vcc, 0, v21
	v_cndmask_b32_e32 v20, v20, v24, vcc
	v_cndmask_b32_e32 v21, v22, v23, vcc
	v_lshlrev_b32_e32 v22, 8, v14
	v_mov_b32_e32 v23, 0x3b800000
	v_lshlrev_b32_e32 v20, 20, v20
	v_and_b32_e32 v22, 0x80000000, v22
	v_lshl_add_u32 v21, v21, 23, v23
	v_or3_b32 v20, v22, v21, v20
.LBB34_788:
	s_or_b64 exec, exec, s[6:7]
	s_movk_i32 s4, 0xff
	v_and_b32_sdwa v21, v10, s4 dst_sel:DWORD dst_unused:UNUSED_PAD src0_sel:WORD_1 src1_sel:DWORD
	s_movk_i32 s4, 0x7f
	v_cmp_lt_i16_e32 vcc, s4, v21
	s_mov_b64 s[4:5], 0
                                        ; implicit-def: $sgpr10
	s_and_saveexec_b64 s[6:7], vcc
	s_xor_b64 s[6:7], exec, s[6:7]
	s_cbranch_execnz .LBB34_2837
; %bb.789:
	s_or_saveexec_b64 s[6:7], s[6:7]
	v_mov_b32_e32 v22, s10
	s_xor_b64 exec, exec, s[6:7]
	s_cbranch_execnz .LBB34_2840
.LBB34_790:
	s_or_b64 exec, exec, s[6:7]
	s_and_saveexec_b64 s[6:7], s[4:5]
	s_cbranch_execz .LBB34_792
.LBB34_791:
	v_bfe_u32 v21, v10, 16, 3
	v_ffbh_u32_e32 v24, v21
	v_min_u32_e32 v24, 32, v24
	v_lshrrev_b32_e32 v22, 19, v10
	v_subrev_u32_e32 v25, 28, v24
	v_and_b32_e32 v22, 15, v22
	v_lshlrev_b32_sdwa v25, v25, v10 dst_sel:DWORD dst_unused:UNUSED_PAD src0_sel:DWORD src1_sel:WORD_1
	v_bfe_u32 v23, v10, 19, 4
	v_sub_u32_e32 v24, 29, v24
	v_and_b32_e32 v25, 7, v25
	v_cmp_eq_u16_e32 vcc, 0, v22
	v_cndmask_b32_e32 v21, v21, v25, vcc
	v_cndmask_b32_e32 v22, v23, v24, vcc
	v_lshlrev_b32_e32 v23, 8, v10
	v_mov_b32_e32 v24, 0x3b800000
	v_lshlrev_b32_e32 v21, 20, v21
	v_and_b32_e32 v23, 0x80000000, v23
	v_lshl_add_u32 v22, v22, 23, v24
	v_or3_b32 v22, v23, v22, v21
.LBB34_792:
	s_or_b64 exec, exec, s[6:7]
	s_nop 0
	v_mfma_f32_16x16x4f32 a[0:3], v20, v22, a[0:3]
	s_movk_i32 s4, 0x7f
	v_cmp_gt_i16_sdwa s[6:7], v14, s4 src0_sel:BYTE_3 src1_sel:DWORD
	s_mov_b64 s[4:5], 0
                                        ; implicit-def: $sgpr10
	s_and_saveexec_b64 s[8:9], s[6:7]
	s_xor_b64 s[6:7], exec, s[8:9]
	s_cbranch_execnz .LBB34_2841
; %bb.793:
	s_or_saveexec_b64 s[6:7], s[6:7]
	v_mov_b32_e32 v20, s10
	s_xor_b64 exec, exec, s[6:7]
	s_cbranch_execnz .LBB34_2844
.LBB34_794:
	s_or_b64 exec, exec, s[6:7]
	s_and_saveexec_b64 s[6:7], s[4:5]
	s_cbranch_execz .LBB34_796
.LBB34_795:
	v_bfe_u32 v20, v14, 24, 3
	v_ffbh_u32_e32 v24, v20
	v_min_u32_e32 v24, 32, v24
	v_lshrrev_b32_e32 v22, 27, v14
	v_subrev_u32_e32 v25, 28, v24
	v_and_b32_e32 v21, 0x80000000, v14
	v_and_b32_e32 v22, 15, v22
	v_bfe_u32 v23, v14, 27, 4
	v_lshlrev_b32_sdwa v14, v25, v14 dst_sel:DWORD dst_unused:UNUSED_PAD src0_sel:DWORD src1_sel:BYTE_3
	v_sub_u32_e32 v24, 29, v24
	v_and_b32_e32 v14, 7, v14
	v_cmp_eq_u16_e32 vcc, 0, v22
	v_cndmask_b32_e32 v14, v20, v14, vcc
	v_cndmask_b32_e32 v20, v23, v24, vcc
	v_mov_b32_e32 v22, 0x3b800000
	v_lshlrev_b32_e32 v14, 20, v14
	v_lshl_add_u32 v20, v20, 23, v22
	v_or3_b32 v20, v21, v20, v14
.LBB34_796:
	s_or_b64 exec, exec, s[6:7]
	s_movk_i32 s4, 0x7f
	v_cmp_gt_i16_sdwa s[6:7], v10, s4 src0_sel:BYTE_3 src1_sel:DWORD
	s_mov_b64 s[4:5], 0
                                        ; implicit-def: $sgpr10
	s_and_saveexec_b64 s[8:9], s[6:7]
	s_xor_b64 s[6:7], exec, s[8:9]
	s_cbranch_execnz .LBB34_2845
; %bb.797:
	s_or_saveexec_b64 s[6:7], s[6:7]
	v_mov_b32_e32 v14, s10
	s_xor_b64 exec, exec, s[6:7]
	s_cbranch_execnz .LBB34_2848
.LBB34_798:
	s_or_b64 exec, exec, s[6:7]
	s_and_saveexec_b64 s[6:7], s[4:5]
	s_cbranch_execz .LBB34_800
.LBB34_799:
	v_bfe_u32 v14, v10, 24, 3
	v_ffbh_u32_e32 v24, v14
	v_min_u32_e32 v24, 32, v24
	v_lshrrev_b32_e32 v22, 27, v10
	v_subrev_u32_e32 v25, 28, v24
	v_and_b32_e32 v21, 0x80000000, v10
	v_and_b32_e32 v22, 15, v22
	v_bfe_u32 v23, v10, 27, 4
	v_lshlrev_b32_sdwa v10, v25, v10 dst_sel:DWORD dst_unused:UNUSED_PAD src0_sel:DWORD src1_sel:BYTE_3
	v_sub_u32_e32 v24, 29, v24
	v_and_b32_e32 v10, 7, v10
	v_cmp_eq_u16_e32 vcc, 0, v22
	v_cndmask_b32_e32 v10, v14, v10, vcc
	v_cndmask_b32_e32 v14, v23, v24, vcc
	v_mov_b32_e32 v22, 0x3b800000
	v_lshlrev_b32_e32 v10, 20, v10
	v_lshl_add_u32 v14, v14, 23, v22
	v_or3_b32 v14, v21, v14, v10
.LBB34_800:
	s_or_b64 exec, exec, s[6:7]
	s_nop 0
	v_mfma_f32_16x16x4f32 a[0:3], v20, v14, a[0:3]
	s_movk_i32 s4, 0x7f
	v_cmp_gt_i16_sdwa s[6:7], v15, s4 src0_sel:BYTE_0 src1_sel:DWORD
	s_mov_b64 s[4:5], 0
                                        ; implicit-def: $sgpr10
	s_and_saveexec_b64 s[8:9], s[6:7]
	s_xor_b64 s[6:7], exec, s[8:9]
	s_cbranch_execnz .LBB34_2849
; %bb.801:
	s_or_saveexec_b64 s[6:7], s[6:7]
	v_mov_b32_e32 v10, s10
	s_xor_b64 exec, exec, s[6:7]
	s_cbranch_execnz .LBB34_2852
.LBB34_802:
	s_or_b64 exec, exec, s[6:7]
	s_and_saveexec_b64 s[6:7], s[4:5]
	s_cbranch_execz .LBB34_804
.LBB34_803:
	v_and_b32_e32 v10, 7, v15
	v_ffbh_u32_e32 v20, v10
	v_min_u32_e32 v20, 32, v20
	v_lshrrev_b16_e32 v14, 3, v15
	v_subrev_u32_e32 v21, 28, v20
	v_and_b32_e32 v14, 15, v14
	v_lshlrev_b32_e32 v21, v21, v15
	v_sub_u32_e32 v20, 29, v20
	v_and_b32_e32 v21, 7, v21
	v_cmp_eq_u16_e32 vcc, 0, v14
	v_cndmask_b32_e32 v10, v10, v21, vcc
	v_cndmask_b32_e32 v14, v14, v20, vcc
	v_lshlrev_b32_e32 v20, 24, v15
	v_mov_b32_e32 v21, 0x3b800000
	v_lshlrev_b32_e32 v10, 20, v10
	v_and_b32_e32 v20, 0x80000000, v20
	v_lshl_add_u32 v14, v14, 23, v21
	v_or3_b32 v10, v20, v14, v10
.LBB34_804:
	s_or_b64 exec, exec, s[6:7]
	s_movk_i32 s4, 0x7f
	v_cmp_gt_i16_sdwa s[6:7], v11, s4 src0_sel:BYTE_0 src1_sel:DWORD
	s_mov_b64 s[4:5], 0
                                        ; implicit-def: $sgpr10
	s_and_saveexec_b64 s[8:9], s[6:7]
	s_xor_b64 s[6:7], exec, s[8:9]
	s_cbranch_execnz .LBB34_2853
; %bb.805:
	s_or_saveexec_b64 s[6:7], s[6:7]
	v_mov_b32_e32 v14, s10
	s_xor_b64 exec, exec, s[6:7]
	s_cbranch_execnz .LBB34_2856
.LBB34_806:
	s_or_b64 exec, exec, s[6:7]
	s_and_saveexec_b64 s[6:7], s[4:5]
	s_cbranch_execz .LBB34_808
.LBB34_807:
	v_and_b32_e32 v14, 7, v11
	v_ffbh_u32_e32 v21, v14
	v_min_u32_e32 v21, 32, v21
	v_lshrrev_b16_e32 v20, 3, v11
	v_subrev_u32_e32 v22, 28, v21
	v_and_b32_e32 v20, 15, v20
	v_lshlrev_b32_e32 v22, v22, v11
	v_sub_u32_e32 v21, 29, v21
	v_and_b32_e32 v22, 7, v22
	v_cmp_eq_u16_e32 vcc, 0, v20
	v_cndmask_b32_e32 v14, v14, v22, vcc
	v_cndmask_b32_e32 v20, v20, v21, vcc
	v_lshlrev_b32_e32 v21, 24, v11
	v_mov_b32_e32 v22, 0x3b800000
	v_lshlrev_b32_e32 v14, 20, v14
	v_and_b32_e32 v21, 0x80000000, v21
	v_lshl_add_u32 v20, v20, 23, v22
	v_or3_b32 v14, v21, v20, v14
.LBB34_808:
	s_or_b64 exec, exec, s[6:7]
	s_nop 0
	v_mfma_f32_16x16x4f32 a[0:3], v10, v14, a[0:3]
	v_lshrrev_b32_e32 v14, 8, v15
	s_movk_i32 s4, 0x7f
	v_cmp_gt_i16_sdwa s[6:7], v14, s4 src0_sel:BYTE_0 src1_sel:DWORD
	s_mov_b64 s[4:5], 0
                                        ; implicit-def: $sgpr10
	s_and_saveexec_b64 s[8:9], s[6:7]
	s_xor_b64 s[6:7], exec, s[8:9]
	s_cbranch_execnz .LBB34_2857
; %bb.809:
	s_or_saveexec_b64 s[6:7], s[6:7]
	v_mov_b32_e32 v10, s10
	s_xor_b64 exec, exec, s[6:7]
	s_cbranch_execnz .LBB34_2860
.LBB34_810:
	s_or_b64 exec, exec, s[6:7]
	s_and_saveexec_b64 s[6:7], s[4:5]
	s_cbranch_execz .LBB34_812
.LBB34_811:
	v_bfe_u32 v10, v15, 8, 3
	v_ffbh_u32_e32 v21, v10
	v_min_u32_e32 v21, 32, v21
	v_lshrrev_b16_e32 v20, 3, v14
	v_subrev_u32_e32 v22, 28, v21
	v_and_b32_e32 v20, 15, v20
	v_lshlrev_b32_e32 v14, v22, v14
	v_sub_u32_e32 v21, 29, v21
	v_and_b32_e32 v14, 7, v14
	v_cmp_eq_u16_e32 vcc, 0, v20
	v_cndmask_b32_e32 v10, v10, v14, vcc
	v_cndmask_b32_e32 v14, v20, v21, vcc
	v_lshlrev_b32_e32 v20, 16, v15
	v_mov_b32_e32 v21, 0x3b800000
	v_lshlrev_b32_e32 v10, 20, v10
	v_and_b32_e32 v20, 0x80000000, v20
	v_lshl_add_u32 v14, v14, 23, v21
	v_or3_b32 v10, v20, v14, v10
.LBB34_812:
	s_or_b64 exec, exec, s[6:7]
	v_lshrrev_b32_e32 v14, 8, v11
	s_movk_i32 s4, 0x7f
	v_cmp_gt_i16_sdwa s[6:7], v14, s4 src0_sel:BYTE_0 src1_sel:DWORD
	s_mov_b64 s[4:5], 0
                                        ; implicit-def: $sgpr10
	s_and_saveexec_b64 s[8:9], s[6:7]
	s_xor_b64 s[6:7], exec, s[8:9]
	s_cbranch_execnz .LBB34_2861
; %bb.813:
	s_or_saveexec_b64 s[6:7], s[6:7]
	v_mov_b32_e32 v20, s10
	s_xor_b64 exec, exec, s[6:7]
	s_cbranch_execnz .LBB34_2864
.LBB34_814:
	s_or_b64 exec, exec, s[6:7]
	s_and_saveexec_b64 s[6:7], s[4:5]
	s_cbranch_execz .LBB34_816
.LBB34_815:
	v_bfe_u32 v20, v11, 8, 3
	v_ffbh_u32_e32 v22, v20
	v_min_u32_e32 v22, 32, v22
	v_lshrrev_b16_e32 v21, 3, v14
	v_subrev_u32_e32 v23, 28, v22
	v_and_b32_e32 v21, 15, v21
	v_lshlrev_b32_e32 v14, v23, v14
	v_sub_u32_e32 v22, 29, v22
	v_and_b32_e32 v14, 7, v14
	v_cmp_eq_u16_e32 vcc, 0, v21
	v_cndmask_b32_e32 v14, v20, v14, vcc
	v_cndmask_b32_e32 v20, v21, v22, vcc
	v_lshlrev_b32_e32 v21, 16, v11
	v_mov_b32_e32 v22, 0x3b800000
	v_lshlrev_b32_e32 v14, 20, v14
	v_and_b32_e32 v21, 0x80000000, v21
	v_lshl_add_u32 v20, v20, 23, v22
	v_or3_b32 v20, v21, v20, v14
.LBB34_816:
	s_or_b64 exec, exec, s[6:7]
	s_nop 0
	v_mfma_f32_16x16x4f32 a[0:3], v10, v20, a[0:3]
	s_movk_i32 s4, 0xff
	v_and_b32_sdwa v14, v15, s4 dst_sel:DWORD dst_unused:UNUSED_PAD src0_sel:WORD_1 src1_sel:DWORD
	s_movk_i32 s4, 0x7f
	v_cmp_lt_i16_e32 vcc, s4, v14
	s_mov_b64 s[4:5], 0
                                        ; implicit-def: $sgpr10
	s_and_saveexec_b64 s[6:7], vcc
	s_xor_b64 s[6:7], exec, s[6:7]
	s_cbranch_execnz .LBB34_2865
; %bb.817:
	s_or_saveexec_b64 s[6:7], s[6:7]
	v_mov_b32_e32 v10, s10
	s_xor_b64 exec, exec, s[6:7]
	s_cbranch_execnz .LBB34_2868
.LBB34_818:
	s_or_b64 exec, exec, s[6:7]
	s_and_saveexec_b64 s[6:7], s[4:5]
	s_cbranch_execz .LBB34_820
.LBB34_819:
	v_bfe_u32 v10, v15, 16, 3
	v_ffbh_u32_e32 v21, v10
	v_min_u32_e32 v21, 32, v21
	v_lshrrev_b32_e32 v14, 19, v15
	v_subrev_u32_e32 v22, 28, v21
	v_and_b32_e32 v14, 15, v14
	v_lshlrev_b32_sdwa v22, v22, v15 dst_sel:DWORD dst_unused:UNUSED_PAD src0_sel:DWORD src1_sel:WORD_1
	v_bfe_u32 v20, v15, 19, 4
	v_sub_u32_e32 v21, 29, v21
	v_and_b32_e32 v22, 7, v22
	v_cmp_eq_u16_e32 vcc, 0, v14
	v_cndmask_b32_e32 v10, v10, v22, vcc
	v_cndmask_b32_e32 v14, v20, v21, vcc
	v_lshlrev_b32_e32 v20, 8, v15
	v_mov_b32_e32 v21, 0x3b800000
	v_lshlrev_b32_e32 v10, 20, v10
	v_and_b32_e32 v20, 0x80000000, v20
	v_lshl_add_u32 v14, v14, 23, v21
	v_or3_b32 v10, v20, v14, v10
.LBB34_820:
	s_or_b64 exec, exec, s[6:7]
	s_movk_i32 s4, 0xff
	v_and_b32_sdwa v14, v11, s4 dst_sel:DWORD dst_unused:UNUSED_PAD src0_sel:WORD_1 src1_sel:DWORD
	s_movk_i32 s4, 0x7f
	v_cmp_lt_i16_e32 vcc, s4, v14
	s_mov_b64 s[4:5], 0
                                        ; implicit-def: $sgpr10
	s_and_saveexec_b64 s[6:7], vcc
	s_xor_b64 s[6:7], exec, s[6:7]
	s_cbranch_execnz .LBB34_2869
; %bb.821:
	s_or_saveexec_b64 s[6:7], s[6:7]
	v_mov_b32_e32 v20, s10
	s_xor_b64 exec, exec, s[6:7]
	s_cbranch_execnz .LBB34_2872
.LBB34_822:
	s_or_b64 exec, exec, s[6:7]
	s_and_saveexec_b64 s[6:7], s[4:5]
	s_cbranch_execz .LBB34_824
.LBB34_823:
	v_bfe_u32 v14, v11, 16, 3
	v_ffbh_u32_e32 v22, v14
	v_min_u32_e32 v22, 32, v22
	v_lshrrev_b32_e32 v20, 19, v11
	v_subrev_u32_e32 v23, 28, v22
	v_and_b32_e32 v20, 15, v20
	v_lshlrev_b32_sdwa v23, v23, v11 dst_sel:DWORD dst_unused:UNUSED_PAD src0_sel:DWORD src1_sel:WORD_1
	v_bfe_u32 v21, v11, 19, 4
	v_sub_u32_e32 v22, 29, v22
	v_and_b32_e32 v23, 7, v23
	v_cmp_eq_u16_e32 vcc, 0, v20
	v_cndmask_b32_e32 v14, v14, v23, vcc
	v_cndmask_b32_e32 v20, v21, v22, vcc
	v_lshlrev_b32_e32 v21, 8, v11
	v_mov_b32_e32 v22, 0x3b800000
	v_lshlrev_b32_e32 v14, 20, v14
	v_and_b32_e32 v21, 0x80000000, v21
	v_lshl_add_u32 v20, v20, 23, v22
	v_or3_b32 v20, v21, v20, v14
.LBB34_824:
	s_or_b64 exec, exec, s[6:7]
	s_nop 0
	v_mfma_f32_16x16x4f32 a[0:3], v10, v20, a[0:3]
	s_movk_i32 s4, 0x7f
	v_cmp_gt_i16_sdwa s[6:7], v15, s4 src0_sel:BYTE_3 src1_sel:DWORD
	s_mov_b64 s[4:5], 0
                                        ; implicit-def: $sgpr10
	s_and_saveexec_b64 s[8:9], s[6:7]
	s_xor_b64 s[6:7], exec, s[8:9]
	s_cbranch_execnz .LBB34_2873
; %bb.825:
	s_or_saveexec_b64 s[6:7], s[6:7]
	v_mov_b32_e32 v10, s10
	s_xor_b64 exec, exec, s[6:7]
	s_cbranch_execnz .LBB34_2876
.LBB34_826:
	s_or_b64 exec, exec, s[6:7]
	s_and_saveexec_b64 s[6:7], s[4:5]
	s_cbranch_execz .LBB34_828
.LBB34_827:
	v_bfe_u32 v10, v15, 24, 3
	v_ffbh_u32_e32 v22, v10
	v_min_u32_e32 v22, 32, v22
	v_lshrrev_b32_e32 v20, 27, v15
	v_subrev_u32_e32 v23, 28, v22
	v_and_b32_e32 v14, 0x80000000, v15
	v_and_b32_e32 v20, 15, v20
	v_bfe_u32 v21, v15, 27, 4
	v_lshlrev_b32_sdwa v15, v23, v15 dst_sel:DWORD dst_unused:UNUSED_PAD src0_sel:DWORD src1_sel:BYTE_3
	v_sub_u32_e32 v22, 29, v22
	v_and_b32_e32 v15, 7, v15
	v_cmp_eq_u16_e32 vcc, 0, v20
	v_cndmask_b32_e32 v10, v10, v15, vcc
	v_cndmask_b32_e32 v15, v21, v22, vcc
	v_mov_b32_e32 v20, 0x3b800000
	v_lshlrev_b32_e32 v10, 20, v10
	v_lshl_add_u32 v15, v15, 23, v20
	v_or3_b32 v10, v14, v15, v10
.LBB34_828:
	s_or_b64 exec, exec, s[6:7]
	s_movk_i32 s4, 0x7f
	v_cmp_gt_i16_sdwa s[6:7], v11, s4 src0_sel:BYTE_3 src1_sel:DWORD
	s_mov_b64 s[4:5], 0
                                        ; implicit-def: $sgpr10
	s_and_saveexec_b64 s[8:9], s[6:7]
	s_xor_b64 s[6:7], exec, s[8:9]
	s_cbranch_execnz .LBB34_2877
; %bb.829:
	s_or_saveexec_b64 s[6:7], s[6:7]
	v_mov_b32_e32 v14, s10
	s_xor_b64 exec, exec, s[6:7]
	s_cbranch_execnz .LBB34_2880
.LBB34_830:
	s_or_b64 exec, exec, s[6:7]
	s_and_saveexec_b64 s[6:7], s[4:5]
	s_cbranch_execz .LBB34_832
.LBB34_831:
	v_bfe_u32 v14, v11, 24, 3
	v_ffbh_u32_e32 v22, v14
	v_min_u32_e32 v22, 32, v22
	v_lshrrev_b32_e32 v20, 27, v11
	v_subrev_u32_e32 v23, 28, v22
	v_and_b32_e32 v15, 0x80000000, v11
	v_and_b32_e32 v20, 15, v20
	v_bfe_u32 v21, v11, 27, 4
	v_lshlrev_b32_sdwa v11, v23, v11 dst_sel:DWORD dst_unused:UNUSED_PAD src0_sel:DWORD src1_sel:BYTE_3
	v_sub_u32_e32 v22, 29, v22
	v_and_b32_e32 v11, 7, v11
	v_cmp_eq_u16_e32 vcc, 0, v20
	v_cndmask_b32_e32 v11, v14, v11, vcc
	v_cndmask_b32_e32 v14, v21, v22, vcc
	v_mov_b32_e32 v20, 0x3b800000
	v_lshlrev_b32_e32 v11, 20, v11
	v_lshl_add_u32 v14, v14, 23, v20
	v_or3_b32 v14, v15, v14, v11
.LBB34_832:
	s_or_b64 exec, exec, s[6:7]
	s_nop 0
	v_mfma_f32_16x16x4f32 a[0:3], v10, v14, a[0:3]
	s_movk_i32 s4, 0x7f
	v_cmp_gt_i16_sdwa s[6:7], v16, s4 src0_sel:BYTE_0 src1_sel:DWORD
	s_mov_b64 s[4:5], 0
                                        ; implicit-def: $sgpr10
	s_and_saveexec_b64 s[8:9], s[6:7]
	s_xor_b64 s[6:7], exec, s[8:9]
	s_cbranch_execnz .LBB34_2881
; %bb.833:
	s_or_saveexec_b64 s[6:7], s[6:7]
	v_mov_b32_e32 v10, s10
	s_xor_b64 exec, exec, s[6:7]
	s_cbranch_execnz .LBB34_2884
.LBB34_834:
	s_or_b64 exec, exec, s[6:7]
	s_and_saveexec_b64 s[6:7], s[4:5]
	s_cbranch_execz .LBB34_836
.LBB34_835:
	v_and_b32_e32 v10, 7, v16
	v_ffbh_u32_e32 v14, v10
	v_min_u32_e32 v14, 32, v14
	v_lshrrev_b16_e32 v11, 3, v16
	v_subrev_u32_e32 v15, 28, v14
	v_and_b32_e32 v11, 15, v11
	v_lshlrev_b32_e32 v15, v15, v16
	v_sub_u32_e32 v14, 29, v14
	v_and_b32_e32 v15, 7, v15
	v_cmp_eq_u16_e32 vcc, 0, v11
	v_cndmask_b32_e32 v10, v10, v15, vcc
	v_cndmask_b32_e32 v11, v11, v14, vcc
	v_lshlrev_b32_e32 v14, 24, v16
	v_mov_b32_e32 v15, 0x3b800000
	v_lshlrev_b32_e32 v10, 20, v10
	v_and_b32_e32 v14, 0x80000000, v14
	v_lshl_add_u32 v11, v11, 23, v15
	v_or3_b32 v10, v14, v11, v10
.LBB34_836:
	s_or_b64 exec, exec, s[6:7]
	s_movk_i32 s4, 0x7f
	v_cmp_gt_i16_sdwa s[6:7], v12, s4 src0_sel:BYTE_0 src1_sel:DWORD
	s_mov_b64 s[4:5], 0
                                        ; implicit-def: $sgpr10
	s_and_saveexec_b64 s[8:9], s[6:7]
	s_xor_b64 s[6:7], exec, s[8:9]
	s_cbranch_execnz .LBB34_2885
; %bb.837:
	s_or_saveexec_b64 s[6:7], s[6:7]
	v_mov_b32_e32 v11, s10
	s_xor_b64 exec, exec, s[6:7]
	s_cbranch_execnz .LBB34_2888
.LBB34_838:
	s_or_b64 exec, exec, s[6:7]
	s_and_saveexec_b64 s[6:7], s[4:5]
	s_cbranch_execz .LBB34_840
.LBB34_839:
	v_and_b32_e32 v11, 7, v12
	v_ffbh_u32_e32 v15, v11
	v_min_u32_e32 v15, 32, v15
	v_lshrrev_b16_e32 v14, 3, v12
	v_subrev_u32_e32 v20, 28, v15
	v_and_b32_e32 v14, 15, v14
	v_lshlrev_b32_e32 v20, v20, v12
	v_sub_u32_e32 v15, 29, v15
	v_and_b32_e32 v20, 7, v20
	v_cmp_eq_u16_e32 vcc, 0, v14
	v_cndmask_b32_e32 v11, v11, v20, vcc
	v_cndmask_b32_e32 v14, v14, v15, vcc
	v_lshlrev_b32_e32 v15, 24, v12
	v_mov_b32_e32 v20, 0x3b800000
	v_lshlrev_b32_e32 v11, 20, v11
	v_and_b32_e32 v15, 0x80000000, v15
	v_lshl_add_u32 v14, v14, 23, v20
	v_or3_b32 v11, v15, v14, v11
.LBB34_840:
	s_or_b64 exec, exec, s[6:7]
	s_nop 0
	v_mfma_f32_16x16x4f32 a[0:3], v10, v11, a[0:3]
	v_lshrrev_b32_e32 v11, 8, v16
	s_movk_i32 s4, 0x7f
	v_cmp_gt_i16_sdwa s[6:7], v11, s4 src0_sel:BYTE_0 src1_sel:DWORD
	s_mov_b64 s[4:5], 0
                                        ; implicit-def: $sgpr10
	s_and_saveexec_b64 s[8:9], s[6:7]
	s_xor_b64 s[6:7], exec, s[8:9]
	s_cbranch_execnz .LBB34_2889
; %bb.841:
	s_or_saveexec_b64 s[6:7], s[6:7]
	v_mov_b32_e32 v10, s10
	s_xor_b64 exec, exec, s[6:7]
	s_cbranch_execnz .LBB34_2892
.LBB34_842:
	s_or_b64 exec, exec, s[6:7]
	s_and_saveexec_b64 s[6:7], s[4:5]
	s_cbranch_execz .LBB34_844
.LBB34_843:
	v_bfe_u32 v10, v16, 8, 3
	v_ffbh_u32_e32 v15, v10
	v_min_u32_e32 v15, 32, v15
	v_lshrrev_b16_e32 v14, 3, v11
	v_subrev_u32_e32 v20, 28, v15
	v_and_b32_e32 v14, 15, v14
	v_lshlrev_b32_e32 v11, v20, v11
	v_sub_u32_e32 v15, 29, v15
	v_and_b32_e32 v11, 7, v11
	v_cmp_eq_u16_e32 vcc, 0, v14
	v_cndmask_b32_e32 v10, v10, v11, vcc
	v_cndmask_b32_e32 v11, v14, v15, vcc
	v_lshlrev_b32_e32 v14, 16, v16
	v_mov_b32_e32 v15, 0x3b800000
	v_lshlrev_b32_e32 v10, 20, v10
	v_and_b32_e32 v14, 0x80000000, v14
	v_lshl_add_u32 v11, v11, 23, v15
	v_or3_b32 v10, v14, v11, v10
.LBB34_844:
	s_or_b64 exec, exec, s[6:7]
	v_lshrrev_b32_e32 v11, 8, v12
	s_movk_i32 s4, 0x7f
	v_cmp_gt_i16_sdwa s[6:7], v11, s4 src0_sel:BYTE_0 src1_sel:DWORD
	s_mov_b64 s[4:5], 0
                                        ; implicit-def: $sgpr10
	s_and_saveexec_b64 s[8:9], s[6:7]
	s_xor_b64 s[6:7], exec, s[8:9]
	s_cbranch_execnz .LBB34_2893
; %bb.845:
	s_or_saveexec_b64 s[6:7], s[6:7]
	v_mov_b32_e32 v14, s10
	s_xor_b64 exec, exec, s[6:7]
	s_cbranch_execnz .LBB34_2896
.LBB34_846:
	s_or_b64 exec, exec, s[6:7]
	s_and_saveexec_b64 s[6:7], s[4:5]
	s_cbranch_execz .LBB34_848
.LBB34_847:
	v_bfe_u32 v14, v12, 8, 3
	v_ffbh_u32_e32 v20, v14
	v_min_u32_e32 v20, 32, v20
	v_lshrrev_b16_e32 v15, 3, v11
	v_subrev_u32_e32 v21, 28, v20
	v_and_b32_e32 v15, 15, v15
	v_lshlrev_b32_e32 v11, v21, v11
	v_sub_u32_e32 v20, 29, v20
	v_and_b32_e32 v11, 7, v11
	v_cmp_eq_u16_e32 vcc, 0, v15
	v_cndmask_b32_e32 v11, v14, v11, vcc
	v_cndmask_b32_e32 v14, v15, v20, vcc
	v_lshlrev_b32_e32 v15, 16, v12
	v_mov_b32_e32 v20, 0x3b800000
	v_lshlrev_b32_e32 v11, 20, v11
	v_and_b32_e32 v15, 0x80000000, v15
	v_lshl_add_u32 v14, v14, 23, v20
	v_or3_b32 v14, v15, v14, v11
.LBB34_848:
	s_or_b64 exec, exec, s[6:7]
	s_nop 0
	v_mfma_f32_16x16x4f32 a[0:3], v10, v14, a[0:3]
	s_movk_i32 s4, 0xff
	v_and_b32_sdwa v11, v16, s4 dst_sel:DWORD dst_unused:UNUSED_PAD src0_sel:WORD_1 src1_sel:DWORD
	s_movk_i32 s4, 0x7f
	v_cmp_lt_i16_e32 vcc, s4, v11
	s_mov_b64 s[4:5], 0
                                        ; implicit-def: $sgpr10
	s_and_saveexec_b64 s[6:7], vcc
	s_xor_b64 s[6:7], exec, s[6:7]
	s_cbranch_execnz .LBB34_2897
; %bb.849:
	s_or_saveexec_b64 s[6:7], s[6:7]
	v_mov_b32_e32 v10, s10
	s_xor_b64 exec, exec, s[6:7]
	s_cbranch_execnz .LBB34_2900
.LBB34_850:
	s_or_b64 exec, exec, s[6:7]
	s_and_saveexec_b64 s[6:7], s[4:5]
	s_cbranch_execz .LBB34_852
.LBB34_851:
	v_bfe_u32 v10, v16, 16, 3
	v_ffbh_u32_e32 v15, v10
	v_min_u32_e32 v15, 32, v15
	v_lshrrev_b32_e32 v11, 19, v16
	v_subrev_u32_e32 v20, 28, v15
	v_and_b32_e32 v11, 15, v11
	v_lshlrev_b32_sdwa v20, v20, v16 dst_sel:DWORD dst_unused:UNUSED_PAD src0_sel:DWORD src1_sel:WORD_1
	v_bfe_u32 v14, v16, 19, 4
	v_sub_u32_e32 v15, 29, v15
	v_and_b32_e32 v20, 7, v20
	v_cmp_eq_u16_e32 vcc, 0, v11
	v_cndmask_b32_e32 v10, v10, v20, vcc
	v_cndmask_b32_e32 v11, v14, v15, vcc
	v_lshlrev_b32_e32 v14, 8, v16
	v_mov_b32_e32 v15, 0x3b800000
	v_lshlrev_b32_e32 v10, 20, v10
	v_and_b32_e32 v14, 0x80000000, v14
	v_lshl_add_u32 v11, v11, 23, v15
	v_or3_b32 v10, v14, v11, v10
.LBB34_852:
	s_or_b64 exec, exec, s[6:7]
	s_movk_i32 s4, 0xff
	v_and_b32_sdwa v11, v12, s4 dst_sel:DWORD dst_unused:UNUSED_PAD src0_sel:WORD_1 src1_sel:DWORD
	s_movk_i32 s4, 0x7f
	v_cmp_lt_i16_e32 vcc, s4, v11
	s_mov_b64 s[4:5], 0
                                        ; implicit-def: $sgpr10
	s_and_saveexec_b64 s[6:7], vcc
	s_xor_b64 s[6:7], exec, s[6:7]
	s_cbranch_execnz .LBB34_2901
; %bb.853:
	s_or_saveexec_b64 s[6:7], s[6:7]
	v_mov_b32_e32 v14, s10
	s_xor_b64 exec, exec, s[6:7]
	s_cbranch_execnz .LBB34_2904
.LBB34_854:
	s_or_b64 exec, exec, s[6:7]
	s_and_saveexec_b64 s[6:7], s[4:5]
	s_cbranch_execz .LBB34_856
.LBB34_855:
	v_bfe_u32 v11, v12, 16, 3
	v_ffbh_u32_e32 v20, v11
	v_min_u32_e32 v20, 32, v20
	v_lshrrev_b32_e32 v14, 19, v12
	v_subrev_u32_e32 v21, 28, v20
	v_and_b32_e32 v14, 15, v14
	v_lshlrev_b32_sdwa v21, v21, v12 dst_sel:DWORD dst_unused:UNUSED_PAD src0_sel:DWORD src1_sel:WORD_1
	v_bfe_u32 v15, v12, 19, 4
	v_sub_u32_e32 v20, 29, v20
	v_and_b32_e32 v21, 7, v21
	v_cmp_eq_u16_e32 vcc, 0, v14
	v_cndmask_b32_e32 v11, v11, v21, vcc
	v_cndmask_b32_e32 v14, v15, v20, vcc
	v_lshlrev_b32_e32 v15, 8, v12
	v_mov_b32_e32 v20, 0x3b800000
	v_lshlrev_b32_e32 v11, 20, v11
	v_and_b32_e32 v15, 0x80000000, v15
	v_lshl_add_u32 v14, v14, 23, v20
	v_or3_b32 v14, v15, v14, v11
.LBB34_856:
	s_or_b64 exec, exec, s[6:7]
	s_nop 0
	v_mfma_f32_16x16x4f32 a[0:3], v10, v14, a[0:3]
	s_movk_i32 s4, 0x7f
	v_cmp_gt_i16_sdwa s[6:7], v16, s4 src0_sel:BYTE_3 src1_sel:DWORD
	s_mov_b64 s[4:5], 0
                                        ; implicit-def: $sgpr10
	s_and_saveexec_b64 s[8:9], s[6:7]
	s_xor_b64 s[6:7], exec, s[8:9]
	s_cbranch_execnz .LBB34_2905
; %bb.857:
	s_or_saveexec_b64 s[6:7], s[6:7]
	v_mov_b32_e32 v10, s10
	s_xor_b64 exec, exec, s[6:7]
	s_cbranch_execnz .LBB34_2908
.LBB34_858:
	s_or_b64 exec, exec, s[6:7]
	s_and_saveexec_b64 s[6:7], s[4:5]
	s_cbranch_execz .LBB34_860
.LBB34_859:
	v_bfe_u32 v10, v16, 24, 3
	v_ffbh_u32_e32 v20, v10
	v_min_u32_e32 v20, 32, v20
	v_lshrrev_b32_e32 v14, 27, v16
	v_subrev_u32_e32 v21, 28, v20
	v_and_b32_e32 v11, 0x80000000, v16
	v_and_b32_e32 v14, 15, v14
	v_bfe_u32 v15, v16, 27, 4
	v_lshlrev_b32_sdwa v16, v21, v16 dst_sel:DWORD dst_unused:UNUSED_PAD src0_sel:DWORD src1_sel:BYTE_3
	v_sub_u32_e32 v20, 29, v20
	v_and_b32_e32 v16, 7, v16
	v_cmp_eq_u16_e32 vcc, 0, v14
	v_cndmask_b32_e32 v10, v10, v16, vcc
	v_cndmask_b32_e32 v14, v15, v20, vcc
	v_mov_b32_e32 v15, 0x3b800000
	v_lshlrev_b32_e32 v10, 20, v10
	v_lshl_add_u32 v14, v14, 23, v15
	v_or3_b32 v10, v11, v14, v10
.LBB34_860:
	s_or_b64 exec, exec, s[6:7]
	s_movk_i32 s4, 0x7f
	v_cmp_gt_i16_sdwa s[6:7], v12, s4 src0_sel:BYTE_3 src1_sel:DWORD
	s_mov_b64 s[4:5], 0
                                        ; implicit-def: $sgpr10
	s_and_saveexec_b64 s[8:9], s[6:7]
	s_xor_b64 s[6:7], exec, s[8:9]
	s_cbranch_execnz .LBB34_2909
; %bb.861:
	s_or_saveexec_b64 s[6:7], s[6:7]
	v_mov_b32_e32 v11, s10
	s_xor_b64 exec, exec, s[6:7]
	s_cbranch_execnz .LBB34_2912
.LBB34_862:
	s_or_b64 exec, exec, s[6:7]
	s_and_saveexec_b64 s[6:7], s[4:5]
	s_cbranch_execz .LBB34_864
.LBB34_863:
	v_bfe_u32 v11, v12, 24, 3
	v_ffbh_u32_e32 v20, v11
	v_min_u32_e32 v20, 32, v20
	v_lshrrev_b32_e32 v15, 27, v12
	v_subrev_u32_e32 v21, 28, v20
	v_and_b32_e32 v14, 0x80000000, v12
	v_and_b32_e32 v15, 15, v15
	v_bfe_u32 v16, v12, 27, 4
	v_lshlrev_b32_sdwa v12, v21, v12 dst_sel:DWORD dst_unused:UNUSED_PAD src0_sel:DWORD src1_sel:BYTE_3
	v_sub_u32_e32 v20, 29, v20
	v_and_b32_e32 v12, 7, v12
	v_cmp_eq_u16_e32 vcc, 0, v15
	v_cndmask_b32_e32 v11, v11, v12, vcc
	v_cndmask_b32_e32 v12, v16, v20, vcc
	v_mov_b32_e32 v15, 0x3b800000
	v_lshlrev_b32_e32 v11, 20, v11
	v_lshl_add_u32 v12, v12, 23, v15
	v_or3_b32 v11, v14, v12, v11
.LBB34_864:
	s_or_b64 exec, exec, s[6:7]
	s_nop 0
	v_mfma_f32_16x16x4f32 a[0:3], v10, v11, a[0:3]
	s_movk_i32 s4, 0x7f
	v_cmp_gt_i16_sdwa s[6:7], v17, s4 src0_sel:BYTE_0 src1_sel:DWORD
	s_mov_b64 s[4:5], 0
                                        ; implicit-def: $sgpr10
	s_and_saveexec_b64 s[8:9], s[6:7]
	s_xor_b64 s[6:7], exec, s[8:9]
	s_cbranch_execnz .LBB34_2913
; %bb.865:
	s_or_saveexec_b64 s[6:7], s[6:7]
	v_mov_b32_e32 v10, s10
	s_xor_b64 exec, exec, s[6:7]
	s_cbranch_execnz .LBB34_2916
.LBB34_866:
	s_or_b64 exec, exec, s[6:7]
	s_and_saveexec_b64 s[6:7], s[4:5]
	s_cbranch_execz .LBB34_868
.LBB34_867:
	v_and_b32_e32 v10, 7, v17
	v_ffbh_u32_e32 v12, v10
	v_min_u32_e32 v12, 32, v12
	v_lshrrev_b16_e32 v11, 3, v17
	v_subrev_u32_e32 v14, 28, v12
	v_and_b32_e32 v11, 15, v11
	v_lshlrev_b32_e32 v14, v14, v17
	v_sub_u32_e32 v12, 29, v12
	v_and_b32_e32 v14, 7, v14
	v_cmp_eq_u16_e32 vcc, 0, v11
	v_cndmask_b32_e32 v10, v10, v14, vcc
	v_cndmask_b32_e32 v11, v11, v12, vcc
	v_lshlrev_b32_e32 v12, 24, v17
	v_mov_b32_e32 v14, 0x3b800000
	v_lshlrev_b32_e32 v10, 20, v10
	v_and_b32_e32 v12, 0x80000000, v12
	v_lshl_add_u32 v11, v11, 23, v14
	v_or3_b32 v10, v12, v11, v10
.LBB34_868:
	s_or_b64 exec, exec, s[6:7]
	s_movk_i32 s4, 0x7f
	v_cmp_gt_i16_sdwa s[6:7], v13, s4 src0_sel:BYTE_0 src1_sel:DWORD
	s_mov_b64 s[4:5], 0
                                        ; implicit-def: $sgpr10
	s_and_saveexec_b64 s[8:9], s[6:7]
	s_xor_b64 s[6:7], exec, s[8:9]
	s_cbranch_execnz .LBB34_2917
; %bb.869:
	s_or_saveexec_b64 s[6:7], s[6:7]
	v_mov_b32_e32 v11, s10
	s_xor_b64 exec, exec, s[6:7]
	s_cbranch_execnz .LBB34_2920
.LBB34_870:
	s_or_b64 exec, exec, s[6:7]
	s_and_saveexec_b64 s[6:7], s[4:5]
	s_cbranch_execz .LBB34_872
.LBB34_871:
	v_and_b32_e32 v11, 7, v13
	v_ffbh_u32_e32 v14, v11
	v_min_u32_e32 v14, 32, v14
	v_lshrrev_b16_e32 v12, 3, v13
	v_subrev_u32_e32 v15, 28, v14
	v_and_b32_e32 v12, 15, v12
	v_lshlrev_b32_e32 v15, v15, v13
	v_sub_u32_e32 v14, 29, v14
	v_and_b32_e32 v15, 7, v15
	v_cmp_eq_u16_e32 vcc, 0, v12
	v_cndmask_b32_e32 v11, v11, v15, vcc
	v_cndmask_b32_e32 v12, v12, v14, vcc
	v_lshlrev_b32_e32 v14, 24, v13
	v_mov_b32_e32 v15, 0x3b800000
	v_lshlrev_b32_e32 v11, 20, v11
	v_and_b32_e32 v14, 0x80000000, v14
	v_lshl_add_u32 v12, v12, 23, v15
	v_or3_b32 v11, v14, v12, v11
.LBB34_872:
	s_or_b64 exec, exec, s[6:7]
	s_nop 0
	v_mfma_f32_16x16x4f32 a[0:3], v10, v11, a[0:3]
	v_lshrrev_b32_e32 v11, 8, v17
	s_movk_i32 s4, 0x7f
	v_cmp_gt_i16_sdwa s[6:7], v11, s4 src0_sel:BYTE_0 src1_sel:DWORD
	s_mov_b64 s[4:5], 0
                                        ; implicit-def: $sgpr10
	s_and_saveexec_b64 s[8:9], s[6:7]
	s_xor_b64 s[6:7], exec, s[8:9]
	s_cbranch_execnz .LBB34_2921
; %bb.873:
	s_or_saveexec_b64 s[6:7], s[6:7]
	v_mov_b32_e32 v10, s10
	s_xor_b64 exec, exec, s[6:7]
	s_cbranch_execnz .LBB34_2924
.LBB34_874:
	s_or_b64 exec, exec, s[6:7]
	s_and_saveexec_b64 s[6:7], s[4:5]
	s_cbranch_execz .LBB34_876
.LBB34_875:
	v_bfe_u32 v10, v17, 8, 3
	v_ffbh_u32_e32 v14, v10
	v_min_u32_e32 v14, 32, v14
	v_lshrrev_b16_e32 v12, 3, v11
	v_subrev_u32_e32 v15, 28, v14
	v_and_b32_e32 v12, 15, v12
	v_lshlrev_b32_e32 v11, v15, v11
	v_sub_u32_e32 v14, 29, v14
	v_and_b32_e32 v11, 7, v11
	v_cmp_eq_u16_e32 vcc, 0, v12
	v_cndmask_b32_e32 v10, v10, v11, vcc
	v_cndmask_b32_e32 v11, v12, v14, vcc
	v_lshlrev_b32_e32 v12, 16, v17
	v_mov_b32_e32 v14, 0x3b800000
	v_lshlrev_b32_e32 v10, 20, v10
	v_and_b32_e32 v12, 0x80000000, v12
	v_lshl_add_u32 v11, v11, 23, v14
	v_or3_b32 v10, v12, v11, v10
.LBB34_876:
	s_or_b64 exec, exec, s[6:7]
	v_lshrrev_b32_e32 v11, 8, v13
	s_movk_i32 s4, 0x7f
	v_cmp_gt_i16_sdwa s[6:7], v11, s4 src0_sel:BYTE_0 src1_sel:DWORD
	s_mov_b64 s[4:5], 0
                                        ; implicit-def: $sgpr10
	s_and_saveexec_b64 s[8:9], s[6:7]
	s_xor_b64 s[6:7], exec, s[8:9]
	s_cbranch_execnz .LBB34_2925
; %bb.877:
	s_or_saveexec_b64 s[6:7], s[6:7]
	v_mov_b32_e32 v12, s10
	s_xor_b64 exec, exec, s[6:7]
	s_cbranch_execnz .LBB34_2928
.LBB34_878:
	s_or_b64 exec, exec, s[6:7]
	s_and_saveexec_b64 s[6:7], s[4:5]
	s_cbranch_execz .LBB34_880
.LBB34_879:
	v_bfe_u32 v12, v13, 8, 3
	v_ffbh_u32_e32 v15, v12
	v_min_u32_e32 v15, 32, v15
	v_lshrrev_b16_e32 v14, 3, v11
	v_subrev_u32_e32 v16, 28, v15
	v_and_b32_e32 v14, 15, v14
	v_lshlrev_b32_e32 v11, v16, v11
	v_sub_u32_e32 v15, 29, v15
	v_and_b32_e32 v11, 7, v11
	v_cmp_eq_u16_e32 vcc, 0, v14
	v_cndmask_b32_e32 v11, v12, v11, vcc
	v_cndmask_b32_e32 v12, v14, v15, vcc
	v_lshlrev_b32_e32 v14, 16, v13
	v_mov_b32_e32 v15, 0x3b800000
	v_lshlrev_b32_e32 v11, 20, v11
	v_and_b32_e32 v14, 0x80000000, v14
	v_lshl_add_u32 v12, v12, 23, v15
	v_or3_b32 v12, v14, v12, v11
.LBB34_880:
	s_or_b64 exec, exec, s[6:7]
	s_nop 0
	v_mfma_f32_16x16x4f32 a[0:3], v10, v12, a[0:3]
	s_movk_i32 s4, 0xff
	v_and_b32_sdwa v11, v17, s4 dst_sel:DWORD dst_unused:UNUSED_PAD src0_sel:WORD_1 src1_sel:DWORD
	s_movk_i32 s4, 0x7f
	v_cmp_lt_i16_e32 vcc, s4, v11
	s_mov_b64 s[4:5], 0
                                        ; implicit-def: $sgpr10
	s_and_saveexec_b64 s[6:7], vcc
	s_xor_b64 s[6:7], exec, s[6:7]
	s_cbranch_execnz .LBB34_2929
; %bb.881:
	s_or_saveexec_b64 s[6:7], s[6:7]
	v_mov_b32_e32 v10, s10
	s_xor_b64 exec, exec, s[6:7]
	s_cbranch_execnz .LBB34_2932
.LBB34_882:
	s_or_b64 exec, exec, s[6:7]
	s_and_saveexec_b64 s[6:7], s[4:5]
	s_cbranch_execz .LBB34_884
.LBB34_883:
	v_bfe_u32 v10, v17, 16, 3
	v_ffbh_u32_e32 v14, v10
	v_min_u32_e32 v14, 32, v14
	v_lshrrev_b32_e32 v11, 19, v17
	v_subrev_u32_e32 v15, 28, v14
	v_and_b32_e32 v11, 15, v11
	v_lshlrev_b32_sdwa v15, v15, v17 dst_sel:DWORD dst_unused:UNUSED_PAD src0_sel:DWORD src1_sel:WORD_1
	v_bfe_u32 v12, v17, 19, 4
	v_sub_u32_e32 v14, 29, v14
	v_and_b32_e32 v15, 7, v15
	v_cmp_eq_u16_e32 vcc, 0, v11
	v_cndmask_b32_e32 v10, v10, v15, vcc
	v_cndmask_b32_e32 v11, v12, v14, vcc
	v_lshlrev_b32_e32 v12, 8, v17
	v_mov_b32_e32 v14, 0x3b800000
	v_lshlrev_b32_e32 v10, 20, v10
	v_and_b32_e32 v12, 0x80000000, v12
	v_lshl_add_u32 v11, v11, 23, v14
	v_or3_b32 v10, v12, v11, v10
.LBB34_884:
	s_or_b64 exec, exec, s[6:7]
	s_movk_i32 s4, 0xff
	v_and_b32_sdwa v11, v13, s4 dst_sel:DWORD dst_unused:UNUSED_PAD src0_sel:WORD_1 src1_sel:DWORD
	s_movk_i32 s4, 0x7f
	v_cmp_lt_i16_e32 vcc, s4, v11
	s_mov_b64 s[4:5], 0
                                        ; implicit-def: $sgpr10
	s_and_saveexec_b64 s[6:7], vcc
	s_xor_b64 s[6:7], exec, s[6:7]
	s_cbranch_execnz .LBB34_2933
; %bb.885:
	s_or_saveexec_b64 s[6:7], s[6:7]
	v_mov_b32_e32 v12, s10
	s_xor_b64 exec, exec, s[6:7]
	s_cbranch_execnz .LBB34_2936
.LBB34_886:
	s_or_b64 exec, exec, s[6:7]
	s_and_saveexec_b64 s[6:7], s[4:5]
	s_cbranch_execz .LBB34_888
.LBB34_887:
	v_bfe_u32 v11, v13, 16, 3
	v_ffbh_u32_e32 v15, v11
	v_min_u32_e32 v15, 32, v15
	v_lshrrev_b32_e32 v12, 19, v13
	v_subrev_u32_e32 v16, 28, v15
	v_and_b32_e32 v12, 15, v12
	v_lshlrev_b32_sdwa v16, v16, v13 dst_sel:DWORD dst_unused:UNUSED_PAD src0_sel:DWORD src1_sel:WORD_1
	v_bfe_u32 v14, v13, 19, 4
	v_sub_u32_e32 v15, 29, v15
	v_and_b32_e32 v16, 7, v16
	v_cmp_eq_u16_e32 vcc, 0, v12
	v_cndmask_b32_e32 v11, v11, v16, vcc
	v_cndmask_b32_e32 v12, v14, v15, vcc
	v_lshlrev_b32_e32 v14, 8, v13
	v_mov_b32_e32 v15, 0x3b800000
	v_lshlrev_b32_e32 v11, 20, v11
	v_and_b32_e32 v14, 0x80000000, v14
	v_lshl_add_u32 v12, v12, 23, v15
	v_or3_b32 v12, v14, v12, v11
.LBB34_888:
	s_or_b64 exec, exec, s[6:7]
	s_nop 0
	v_mfma_f32_16x16x4f32 a[0:3], v10, v12, a[0:3]
	s_movk_i32 s4, 0x7f
	v_cmp_gt_i16_sdwa s[6:7], v17, s4 src0_sel:BYTE_3 src1_sel:DWORD
	s_mov_b64 s[4:5], 0
                                        ; implicit-def: $sgpr10
	s_and_saveexec_b64 s[8:9], s[6:7]
	s_xor_b64 s[6:7], exec, s[8:9]
	s_cbranch_execnz .LBB34_2937
; %bb.889:
	s_or_saveexec_b64 s[6:7], s[6:7]
	v_mov_b32_e32 v10, s10
	s_xor_b64 exec, exec, s[6:7]
	s_cbranch_execnz .LBB34_2940
.LBB34_890:
	s_or_b64 exec, exec, s[6:7]
	s_and_saveexec_b64 s[6:7], s[4:5]
	s_cbranch_execz .LBB34_892
.LBB34_891:
	v_bfe_u32 v10, v17, 24, 3
	v_ffbh_u32_e32 v15, v10
	v_min_u32_e32 v15, 32, v15
	v_lshrrev_b32_e32 v12, 27, v17
	v_subrev_u32_e32 v16, 28, v15
	v_and_b32_e32 v12, 15, v12
	v_lshlrev_b32_sdwa v16, v16, v17 dst_sel:DWORD dst_unused:UNUSED_PAD src0_sel:DWORD src1_sel:BYTE_3
	v_bfe_u32 v14, v17, 27, 4
	v_sub_u32_e32 v15, 29, v15
	v_and_b32_e32 v16, 7, v16
	v_cmp_eq_u16_e32 vcc, 0, v12
	v_cndmask_b32_e32 v10, v10, v16, vcc
	v_cndmask_b32_e32 v12, v14, v15, vcc
	v_mov_b32_e32 v14, 0x3b800000
	v_and_b32_e32 v11, 0x80000000, v17
	v_lshlrev_b32_e32 v10, 20, v10
	v_lshl_add_u32 v12, v12, 23, v14
	v_or3_b32 v10, v11, v12, v10
.LBB34_892:
	s_or_b64 exec, exec, s[6:7]
	s_movk_i32 s4, 0x7f
	v_cmp_gt_i16_sdwa s[6:7], v13, s4 src0_sel:BYTE_3 src1_sel:DWORD
	s_mov_b64 s[4:5], 0
                                        ; implicit-def: $sgpr10
	s_and_saveexec_b64 s[8:9], s[6:7]
	s_xor_b64 s[6:7], exec, s[8:9]
	s_cbranch_execnz .LBB34_2941
; %bb.893:
	s_or_saveexec_b64 s[6:7], s[6:7]
	v_mov_b32_e32 v11, s10
	s_xor_b64 exec, exec, s[6:7]
	s_cbranch_execnz .LBB34_2944
.LBB34_894:
	s_or_b64 exec, exec, s[6:7]
	s_and_saveexec_b64 s[6:7], s[4:5]
	s_cbranch_execz .LBB34_896
.LBB34_895:
	v_bfe_u32 v11, v13, 24, 3
	v_ffbh_u32_e32 v16, v11
	v_min_u32_e32 v16, 32, v16
	v_lshrrev_b32_e32 v14, 27, v13
	v_subrev_u32_e32 v17, 28, v16
	v_and_b32_e32 v12, 0x80000000, v13
	v_and_b32_e32 v14, 15, v14
	v_bfe_u32 v15, v13, 27, 4
	v_lshlrev_b32_sdwa v13, v17, v13 dst_sel:DWORD dst_unused:UNUSED_PAD src0_sel:DWORD src1_sel:BYTE_3
	v_sub_u32_e32 v16, 29, v16
	v_and_b32_e32 v13, 7, v13
	v_cmp_eq_u16_e32 vcc, 0, v14
	v_cndmask_b32_e32 v11, v11, v13, vcc
	v_cndmask_b32_e32 v13, v15, v16, vcc
	v_mov_b32_e32 v14, 0x3b800000
	v_lshlrev_b32_e32 v11, 20, v11
	v_lshl_add_u32 v13, v13, 23, v14
	v_or3_b32 v11, v12, v13, v11
.LBB34_896:
	s_or_b64 exec, exec, s[6:7]
	s_nop 0
	v_mfma_f32_16x16x4f32 a[0:3], v10, v11, a[0:3]
	s_movk_i32 s4, 0x7f
	v_cmp_gt_i16_sdwa s[6:7], v6, s4 src0_sel:BYTE_0 src1_sel:DWORD
	s_mov_b64 s[4:5], 0
                                        ; implicit-def: $sgpr10
	s_and_saveexec_b64 s[8:9], s[6:7]
	s_xor_b64 s[6:7], exec, s[8:9]
	s_cbranch_execnz .LBB34_2945
; %bb.897:
	s_or_saveexec_b64 s[6:7], s[6:7]
	v_mov_b32_e32 v10, s10
	s_xor_b64 exec, exec, s[6:7]
	s_cbranch_execnz .LBB34_2948
.LBB34_898:
	s_or_b64 exec, exec, s[6:7]
	s_and_saveexec_b64 s[6:7], s[4:5]
	s_cbranch_execz .LBB34_900
.LBB34_899:
	v_and_b32_e32 v10, 7, v6
	v_ffbh_u32_e32 v12, v10
	v_min_u32_e32 v12, 32, v12
	v_lshrrev_b16_e32 v11, 3, v6
	v_subrev_u32_e32 v13, 28, v12
	v_and_b32_e32 v11, 15, v11
	v_lshlrev_b32_e32 v13, v13, v6
	v_sub_u32_e32 v12, 29, v12
	v_and_b32_e32 v13, 7, v13
	v_cmp_eq_u16_e32 vcc, 0, v11
	v_cndmask_b32_e32 v10, v10, v13, vcc
	v_cndmask_b32_e32 v11, v11, v12, vcc
	v_lshlrev_b32_e32 v12, 24, v6
	v_mov_b32_e32 v13, 0x3b800000
	v_lshlrev_b32_e32 v10, 20, v10
	v_and_b32_e32 v12, 0x80000000, v12
	v_lshl_add_u32 v11, v11, 23, v13
	v_or3_b32 v10, v12, v11, v10
.LBB34_900:
	s_or_b64 exec, exec, s[6:7]
	s_movk_i32 s4, 0x7f
	v_cmp_gt_i16_sdwa s[6:7], v2, s4 src0_sel:BYTE_0 src1_sel:DWORD
	s_mov_b64 s[4:5], 0
                                        ; implicit-def: $sgpr10
	s_and_saveexec_b64 s[8:9], s[6:7]
	s_xor_b64 s[6:7], exec, s[8:9]
	s_cbranch_execnz .LBB34_2949
; %bb.901:
	s_or_saveexec_b64 s[6:7], s[6:7]
	v_mov_b32_e32 v11, s10
	s_xor_b64 exec, exec, s[6:7]
	s_cbranch_execnz .LBB34_2952
.LBB34_902:
	s_or_b64 exec, exec, s[6:7]
	s_and_saveexec_b64 s[6:7], s[4:5]
	s_cbranch_execz .LBB34_904
.LBB34_903:
	v_and_b32_e32 v11, 7, v2
	v_ffbh_u32_e32 v13, v11
	v_min_u32_e32 v13, 32, v13
	v_lshrrev_b16_e32 v12, 3, v2
	v_subrev_u32_e32 v14, 28, v13
	v_and_b32_e32 v12, 15, v12
	v_lshlrev_b32_e32 v14, v14, v2
	v_sub_u32_e32 v13, 29, v13
	v_and_b32_e32 v14, 7, v14
	v_cmp_eq_u16_e32 vcc, 0, v12
	v_cndmask_b32_e32 v11, v11, v14, vcc
	v_cndmask_b32_e32 v12, v12, v13, vcc
	v_lshlrev_b32_e32 v13, 24, v2
	v_mov_b32_e32 v14, 0x3b800000
	v_lshlrev_b32_e32 v11, 20, v11
	v_and_b32_e32 v13, 0x80000000, v13
	v_lshl_add_u32 v12, v12, 23, v14
	v_or3_b32 v11, v13, v12, v11
.LBB34_904:
	s_or_b64 exec, exec, s[6:7]
	s_nop 0
	v_mfma_f32_16x16x4f32 a[0:3], v10, v11, a[0:3]
	v_lshrrev_b32_e32 v11, 8, v6
	s_movk_i32 s4, 0x7f
	v_cmp_gt_i16_sdwa s[6:7], v11, s4 src0_sel:BYTE_0 src1_sel:DWORD
	s_mov_b64 s[4:5], 0
                                        ; implicit-def: $sgpr10
	s_and_saveexec_b64 s[8:9], s[6:7]
	s_xor_b64 s[6:7], exec, s[8:9]
	s_cbranch_execnz .LBB34_2953
; %bb.905:
	s_or_saveexec_b64 s[6:7], s[6:7]
	v_mov_b32_e32 v10, s10
	s_xor_b64 exec, exec, s[6:7]
	s_cbranch_execnz .LBB34_2956
.LBB34_906:
	s_or_b64 exec, exec, s[6:7]
	s_and_saveexec_b64 s[6:7], s[4:5]
	s_cbranch_execz .LBB34_908
.LBB34_907:
	v_bfe_u32 v10, v6, 8, 3
	v_ffbh_u32_e32 v13, v10
	v_min_u32_e32 v13, 32, v13
	v_lshrrev_b16_e32 v12, 3, v11
	v_subrev_u32_e32 v14, 28, v13
	v_and_b32_e32 v12, 15, v12
	v_lshlrev_b32_e32 v11, v14, v11
	v_sub_u32_e32 v13, 29, v13
	v_and_b32_e32 v11, 7, v11
	v_cmp_eq_u16_e32 vcc, 0, v12
	v_cndmask_b32_e32 v10, v10, v11, vcc
	v_cndmask_b32_e32 v11, v12, v13, vcc
	v_lshlrev_b32_e32 v12, 16, v6
	v_mov_b32_e32 v13, 0x3b800000
	v_lshlrev_b32_e32 v10, 20, v10
	v_and_b32_e32 v12, 0x80000000, v12
	v_lshl_add_u32 v11, v11, 23, v13
	v_or3_b32 v10, v12, v11, v10
.LBB34_908:
	s_or_b64 exec, exec, s[6:7]
	v_lshrrev_b32_e32 v11, 8, v2
	s_movk_i32 s4, 0x7f
	v_cmp_gt_i16_sdwa s[6:7], v11, s4 src0_sel:BYTE_0 src1_sel:DWORD
	s_mov_b64 s[4:5], 0
                                        ; implicit-def: $sgpr10
	s_and_saveexec_b64 s[8:9], s[6:7]
	s_xor_b64 s[6:7], exec, s[8:9]
	s_cbranch_execnz .LBB34_2957
; %bb.909:
	s_or_saveexec_b64 s[6:7], s[6:7]
	v_mov_b32_e32 v12, s10
	s_xor_b64 exec, exec, s[6:7]
	s_cbranch_execnz .LBB34_2960
.LBB34_910:
	s_or_b64 exec, exec, s[6:7]
	s_and_saveexec_b64 s[6:7], s[4:5]
	s_cbranch_execz .LBB34_912
.LBB34_911:
	v_bfe_u32 v12, v2, 8, 3
	v_ffbh_u32_e32 v14, v12
	v_min_u32_e32 v14, 32, v14
	v_lshrrev_b16_e32 v13, 3, v11
	v_subrev_u32_e32 v15, 28, v14
	v_and_b32_e32 v13, 15, v13
	v_lshlrev_b32_e32 v11, v15, v11
	v_sub_u32_e32 v14, 29, v14
	v_and_b32_e32 v11, 7, v11
	v_cmp_eq_u16_e32 vcc, 0, v13
	v_cndmask_b32_e32 v11, v12, v11, vcc
	v_cndmask_b32_e32 v12, v13, v14, vcc
	v_lshlrev_b32_e32 v13, 16, v2
	v_mov_b32_e32 v14, 0x3b800000
	v_lshlrev_b32_e32 v11, 20, v11
	v_and_b32_e32 v13, 0x80000000, v13
	v_lshl_add_u32 v12, v12, 23, v14
	v_or3_b32 v12, v13, v12, v11
.LBB34_912:
	s_or_b64 exec, exec, s[6:7]
	s_nop 0
	v_mfma_f32_16x16x4f32 a[0:3], v10, v12, a[0:3]
	s_movk_i32 s4, 0xff
	v_and_b32_sdwa v11, v6, s4 dst_sel:DWORD dst_unused:UNUSED_PAD src0_sel:WORD_1 src1_sel:DWORD
	s_movk_i32 s4, 0x7f
	v_cmp_lt_i16_e32 vcc, s4, v11
	s_mov_b64 s[4:5], 0
                                        ; implicit-def: $sgpr10
	s_and_saveexec_b64 s[6:7], vcc
	s_xor_b64 s[6:7], exec, s[6:7]
	s_cbranch_execnz .LBB34_2961
; %bb.913:
	s_or_saveexec_b64 s[6:7], s[6:7]
	v_mov_b32_e32 v10, s10
	s_xor_b64 exec, exec, s[6:7]
	s_cbranch_execnz .LBB34_2964
.LBB34_914:
	s_or_b64 exec, exec, s[6:7]
	s_and_saveexec_b64 s[6:7], s[4:5]
	s_cbranch_execz .LBB34_916
.LBB34_915:
	v_bfe_u32 v10, v6, 16, 3
	v_ffbh_u32_e32 v13, v10
	v_min_u32_e32 v13, 32, v13
	v_lshrrev_b32_e32 v11, 19, v6
	v_subrev_u32_e32 v14, 28, v13
	v_and_b32_e32 v11, 15, v11
	v_lshlrev_b32_sdwa v14, v14, v6 dst_sel:DWORD dst_unused:UNUSED_PAD src0_sel:DWORD src1_sel:WORD_1
	v_bfe_u32 v12, v6, 19, 4
	v_sub_u32_e32 v13, 29, v13
	v_and_b32_e32 v14, 7, v14
	v_cmp_eq_u16_e32 vcc, 0, v11
	v_cndmask_b32_e32 v10, v10, v14, vcc
	v_cndmask_b32_e32 v11, v12, v13, vcc
	v_lshlrev_b32_e32 v12, 8, v6
	v_mov_b32_e32 v13, 0x3b800000
	v_lshlrev_b32_e32 v10, 20, v10
	v_and_b32_e32 v12, 0x80000000, v12
	v_lshl_add_u32 v11, v11, 23, v13
	v_or3_b32 v10, v12, v11, v10
.LBB34_916:
	s_or_b64 exec, exec, s[6:7]
	s_movk_i32 s4, 0xff
	v_and_b32_sdwa v11, v2, s4 dst_sel:DWORD dst_unused:UNUSED_PAD src0_sel:WORD_1 src1_sel:DWORD
	s_movk_i32 s4, 0x7f
	v_cmp_lt_i16_e32 vcc, s4, v11
	s_mov_b64 s[4:5], 0
                                        ; implicit-def: $sgpr10
	s_and_saveexec_b64 s[6:7], vcc
	s_xor_b64 s[6:7], exec, s[6:7]
	s_cbranch_execnz .LBB34_2965
; %bb.917:
	s_or_saveexec_b64 s[6:7], s[6:7]
	v_mov_b32_e32 v12, s10
	s_xor_b64 exec, exec, s[6:7]
	s_cbranch_execnz .LBB34_2968
.LBB34_918:
	s_or_b64 exec, exec, s[6:7]
	s_and_saveexec_b64 s[6:7], s[4:5]
	s_cbranch_execz .LBB34_920
.LBB34_919:
	v_bfe_u32 v11, v2, 16, 3
	v_ffbh_u32_e32 v14, v11
	v_min_u32_e32 v14, 32, v14
	v_lshrrev_b32_e32 v12, 19, v2
	v_subrev_u32_e32 v15, 28, v14
	v_and_b32_e32 v12, 15, v12
	v_lshlrev_b32_sdwa v15, v15, v2 dst_sel:DWORD dst_unused:UNUSED_PAD src0_sel:DWORD src1_sel:WORD_1
	v_bfe_u32 v13, v2, 19, 4
	v_sub_u32_e32 v14, 29, v14
	v_and_b32_e32 v15, 7, v15
	v_cmp_eq_u16_e32 vcc, 0, v12
	v_cndmask_b32_e32 v11, v11, v15, vcc
	v_cndmask_b32_e32 v12, v13, v14, vcc
	v_lshlrev_b32_e32 v13, 8, v2
	v_mov_b32_e32 v14, 0x3b800000
	v_lshlrev_b32_e32 v11, 20, v11
	v_and_b32_e32 v13, 0x80000000, v13
	v_lshl_add_u32 v12, v12, 23, v14
	v_or3_b32 v12, v13, v12, v11
.LBB34_920:
	s_or_b64 exec, exec, s[6:7]
	s_nop 0
	v_mfma_f32_16x16x4f32 a[0:3], v10, v12, a[0:3]
	s_movk_i32 s4, 0x7f
	v_cmp_gt_i16_sdwa s[6:7], v6, s4 src0_sel:BYTE_3 src1_sel:DWORD
	s_mov_b64 s[4:5], 0
                                        ; implicit-def: $sgpr10
	s_and_saveexec_b64 s[8:9], s[6:7]
	s_xor_b64 s[6:7], exec, s[8:9]
	s_cbranch_execnz .LBB34_2969
; %bb.921:
	s_or_saveexec_b64 s[6:7], s[6:7]
	v_mov_b32_e32 v10, s10
	s_xor_b64 exec, exec, s[6:7]
	s_cbranch_execnz .LBB34_2972
.LBB34_922:
	s_or_b64 exec, exec, s[6:7]
	s_and_saveexec_b64 s[6:7], s[4:5]
	s_cbranch_execz .LBB34_924
.LBB34_923:
	v_bfe_u32 v10, v6, 24, 3
	v_ffbh_u32_e32 v14, v10
	v_min_u32_e32 v14, 32, v14
	v_lshrrev_b32_e32 v12, 27, v6
	v_subrev_u32_e32 v15, 28, v14
	v_and_b32_e32 v11, 0x80000000, v6
	v_and_b32_e32 v12, 15, v12
	v_bfe_u32 v13, v6, 27, 4
	v_lshlrev_b32_sdwa v6, v15, v6 dst_sel:DWORD dst_unused:UNUSED_PAD src0_sel:DWORD src1_sel:BYTE_3
	v_sub_u32_e32 v14, 29, v14
	v_and_b32_e32 v6, 7, v6
	v_cmp_eq_u16_e32 vcc, 0, v12
	v_cndmask_b32_e32 v6, v10, v6, vcc
	v_cndmask_b32_e32 v10, v13, v14, vcc
	v_mov_b32_e32 v12, 0x3b800000
	v_lshlrev_b32_e32 v6, 20, v6
	v_lshl_add_u32 v10, v10, 23, v12
	v_or3_b32 v10, v11, v10, v6
.LBB34_924:
	s_or_b64 exec, exec, s[6:7]
	s_movk_i32 s4, 0x7f
	v_cmp_gt_i16_sdwa s[6:7], v2, s4 src0_sel:BYTE_3 src1_sel:DWORD
	s_mov_b64 s[4:5], 0
                                        ; implicit-def: $sgpr10
	s_and_saveexec_b64 s[8:9], s[6:7]
	s_xor_b64 s[6:7], exec, s[8:9]
	s_cbranch_execnz .LBB34_2973
; %bb.925:
	s_or_saveexec_b64 s[6:7], s[6:7]
	v_mov_b32_e32 v6, s10
	s_xor_b64 exec, exec, s[6:7]
	s_cbranch_execnz .LBB34_2976
.LBB34_926:
	s_or_b64 exec, exec, s[6:7]
	s_and_saveexec_b64 s[6:7], s[4:5]
	s_cbranch_execz .LBB34_928
.LBB34_927:
	v_bfe_u32 v6, v2, 24, 3
	v_ffbh_u32_e32 v14, v6
	v_min_u32_e32 v14, 32, v14
	v_lshrrev_b32_e32 v12, 27, v2
	v_subrev_u32_e32 v15, 28, v14
	v_and_b32_e32 v11, 0x80000000, v2
	v_and_b32_e32 v12, 15, v12
	v_bfe_u32 v13, v2, 27, 4
	v_lshlrev_b32_sdwa v2, v15, v2 dst_sel:DWORD dst_unused:UNUSED_PAD src0_sel:DWORD src1_sel:BYTE_3
	v_sub_u32_e32 v14, 29, v14
	v_and_b32_e32 v2, 7, v2
	v_cmp_eq_u16_e32 vcc, 0, v12
	v_cndmask_b32_e32 v2, v6, v2, vcc
	v_cndmask_b32_e32 v6, v13, v14, vcc
	v_mov_b32_e32 v12, 0x3b800000
	v_lshlrev_b32_e32 v2, 20, v2
	v_lshl_add_u32 v6, v6, 23, v12
	v_or3_b32 v6, v11, v6, v2
.LBB34_928:
	s_or_b64 exec, exec, s[6:7]
	s_nop 0
	v_mfma_f32_16x16x4f32 a[0:3], v10, v6, a[0:3]
	s_movk_i32 s4, 0x7f
	v_cmp_gt_i16_sdwa s[6:7], v7, s4 src0_sel:BYTE_0 src1_sel:DWORD
	s_mov_b64 s[4:5], 0
                                        ; implicit-def: $sgpr10
	s_and_saveexec_b64 s[8:9], s[6:7]
	s_xor_b64 s[6:7], exec, s[8:9]
	s_cbranch_execnz .LBB34_2977
; %bb.929:
	s_or_saveexec_b64 s[6:7], s[6:7]
	v_mov_b32_e32 v2, s10
	s_xor_b64 exec, exec, s[6:7]
	s_cbranch_execnz .LBB34_2980
.LBB34_930:
	s_or_b64 exec, exec, s[6:7]
	s_and_saveexec_b64 s[6:7], s[4:5]
	s_cbranch_execz .LBB34_932
.LBB34_931:
	v_and_b32_e32 v2, 7, v7
	v_ffbh_u32_e32 v10, v2
	v_min_u32_e32 v10, 32, v10
	v_lshrrev_b16_e32 v6, 3, v7
	v_subrev_u32_e32 v11, 28, v10
	v_and_b32_e32 v6, 15, v6
	v_lshlrev_b32_e32 v11, v11, v7
	v_sub_u32_e32 v10, 29, v10
	v_and_b32_e32 v11, 7, v11
	v_cmp_eq_u16_e32 vcc, 0, v6
	v_cndmask_b32_e32 v2, v2, v11, vcc
	v_cndmask_b32_e32 v6, v6, v10, vcc
	v_lshlrev_b32_e32 v10, 24, v7
	v_mov_b32_e32 v11, 0x3b800000
	v_lshlrev_b32_e32 v2, 20, v2
	v_and_b32_e32 v10, 0x80000000, v10
	v_lshl_add_u32 v6, v6, 23, v11
	v_or3_b32 v2, v10, v6, v2
.LBB34_932:
	s_or_b64 exec, exec, s[6:7]
	s_movk_i32 s4, 0x7f
	v_cmp_gt_i16_sdwa s[6:7], v3, s4 src0_sel:BYTE_0 src1_sel:DWORD
	s_mov_b64 s[4:5], 0
                                        ; implicit-def: $sgpr10
	s_and_saveexec_b64 s[8:9], s[6:7]
	s_xor_b64 s[6:7], exec, s[8:9]
	s_cbranch_execnz .LBB34_2981
; %bb.933:
	s_or_saveexec_b64 s[6:7], s[6:7]
	v_mov_b32_e32 v6, s10
	s_xor_b64 exec, exec, s[6:7]
	s_cbranch_execnz .LBB34_2984
.LBB34_934:
	s_or_b64 exec, exec, s[6:7]
	s_and_saveexec_b64 s[6:7], s[4:5]
	s_cbranch_execz .LBB34_936
.LBB34_935:
	v_and_b32_e32 v6, 7, v3
	v_ffbh_u32_e32 v11, v6
	v_min_u32_e32 v11, 32, v11
	v_lshrrev_b16_e32 v10, 3, v3
	v_subrev_u32_e32 v12, 28, v11
	v_and_b32_e32 v10, 15, v10
	v_lshlrev_b32_e32 v12, v12, v3
	v_sub_u32_e32 v11, 29, v11
	v_and_b32_e32 v12, 7, v12
	v_cmp_eq_u16_e32 vcc, 0, v10
	v_cndmask_b32_e32 v6, v6, v12, vcc
	v_cndmask_b32_e32 v10, v10, v11, vcc
	v_lshlrev_b32_e32 v11, 24, v3
	v_mov_b32_e32 v12, 0x3b800000
	v_lshlrev_b32_e32 v6, 20, v6
	v_and_b32_e32 v11, 0x80000000, v11
	v_lshl_add_u32 v10, v10, 23, v12
	v_or3_b32 v6, v11, v10, v6
.LBB34_936:
	s_or_b64 exec, exec, s[6:7]
	s_nop 0
	v_mfma_f32_16x16x4f32 a[0:3], v2, v6, a[0:3]
	v_lshrrev_b32_e32 v6, 8, v7
	s_movk_i32 s4, 0x7f
	v_cmp_gt_i16_sdwa s[6:7], v6, s4 src0_sel:BYTE_0 src1_sel:DWORD
	s_mov_b64 s[4:5], 0
                                        ; implicit-def: $sgpr10
	s_and_saveexec_b64 s[8:9], s[6:7]
	s_xor_b64 s[6:7], exec, s[8:9]
	s_cbranch_execnz .LBB34_2985
; %bb.937:
	s_or_saveexec_b64 s[6:7], s[6:7]
	v_mov_b32_e32 v2, s10
	s_xor_b64 exec, exec, s[6:7]
	s_cbranch_execnz .LBB34_2988
.LBB34_938:
	s_or_b64 exec, exec, s[6:7]
	s_and_saveexec_b64 s[6:7], s[4:5]
	s_cbranch_execz .LBB34_940
.LBB34_939:
	v_bfe_u32 v2, v7, 8, 3
	v_ffbh_u32_e32 v11, v2
	v_min_u32_e32 v11, 32, v11
	v_lshrrev_b16_e32 v10, 3, v6
	v_subrev_u32_e32 v12, 28, v11
	v_and_b32_e32 v10, 15, v10
	v_lshlrev_b32_e32 v6, v12, v6
	v_sub_u32_e32 v11, 29, v11
	v_and_b32_e32 v6, 7, v6
	v_cmp_eq_u16_e32 vcc, 0, v10
	v_cndmask_b32_e32 v2, v2, v6, vcc
	v_cndmask_b32_e32 v6, v10, v11, vcc
	v_lshlrev_b32_e32 v10, 16, v7
	v_mov_b32_e32 v11, 0x3b800000
	v_lshlrev_b32_e32 v2, 20, v2
	v_and_b32_e32 v10, 0x80000000, v10
	v_lshl_add_u32 v6, v6, 23, v11
	v_or3_b32 v2, v10, v6, v2
.LBB34_940:
	s_or_b64 exec, exec, s[6:7]
	v_lshrrev_b32_e32 v6, 8, v3
	s_movk_i32 s4, 0x7f
	v_cmp_gt_i16_sdwa s[6:7], v6, s4 src0_sel:BYTE_0 src1_sel:DWORD
	s_mov_b64 s[4:5], 0
                                        ; implicit-def: $sgpr10
	s_and_saveexec_b64 s[8:9], s[6:7]
	s_xor_b64 s[6:7], exec, s[8:9]
	s_cbranch_execnz .LBB34_2989
; %bb.941:
	s_or_saveexec_b64 s[6:7], s[6:7]
	v_mov_b32_e32 v10, s10
	s_xor_b64 exec, exec, s[6:7]
	s_cbranch_execnz .LBB34_2992
.LBB34_942:
	s_or_b64 exec, exec, s[6:7]
	s_and_saveexec_b64 s[6:7], s[4:5]
	s_cbranch_execz .LBB34_944
.LBB34_943:
	v_bfe_u32 v10, v3, 8, 3
	v_ffbh_u32_e32 v12, v10
	v_min_u32_e32 v12, 32, v12
	v_lshrrev_b16_e32 v11, 3, v6
	v_subrev_u32_e32 v13, 28, v12
	v_and_b32_e32 v11, 15, v11
	v_lshlrev_b32_e32 v6, v13, v6
	v_sub_u32_e32 v12, 29, v12
	v_and_b32_e32 v6, 7, v6
	v_cmp_eq_u16_e32 vcc, 0, v11
	v_cndmask_b32_e32 v6, v10, v6, vcc
	v_cndmask_b32_e32 v10, v11, v12, vcc
	v_lshlrev_b32_e32 v11, 16, v3
	v_mov_b32_e32 v12, 0x3b800000
	v_lshlrev_b32_e32 v6, 20, v6
	v_and_b32_e32 v11, 0x80000000, v11
	v_lshl_add_u32 v10, v10, 23, v12
	v_or3_b32 v10, v11, v10, v6
.LBB34_944:
	s_or_b64 exec, exec, s[6:7]
	s_nop 0
	v_mfma_f32_16x16x4f32 a[0:3], v2, v10, a[0:3]
	s_movk_i32 s4, 0xff
	v_and_b32_sdwa v6, v7, s4 dst_sel:DWORD dst_unused:UNUSED_PAD src0_sel:WORD_1 src1_sel:DWORD
	s_movk_i32 s4, 0x7f
	v_cmp_lt_i16_e32 vcc, s4, v6
	s_mov_b64 s[4:5], 0
                                        ; implicit-def: $sgpr10
	s_and_saveexec_b64 s[6:7], vcc
	s_xor_b64 s[6:7], exec, s[6:7]
	s_cbranch_execnz .LBB34_2993
; %bb.945:
	s_or_saveexec_b64 s[6:7], s[6:7]
	v_mov_b32_e32 v2, s10
	s_xor_b64 exec, exec, s[6:7]
	s_cbranch_execnz .LBB34_2996
.LBB34_946:
	s_or_b64 exec, exec, s[6:7]
	s_and_saveexec_b64 s[6:7], s[4:5]
	s_cbranch_execz .LBB34_948
.LBB34_947:
	v_bfe_u32 v2, v7, 16, 3
	v_ffbh_u32_e32 v11, v2
	v_min_u32_e32 v11, 32, v11
	v_lshrrev_b32_e32 v6, 19, v7
	v_subrev_u32_e32 v12, 28, v11
	v_and_b32_e32 v6, 15, v6
	v_lshlrev_b32_sdwa v12, v12, v7 dst_sel:DWORD dst_unused:UNUSED_PAD src0_sel:DWORD src1_sel:WORD_1
	v_bfe_u32 v10, v7, 19, 4
	v_sub_u32_e32 v11, 29, v11
	v_and_b32_e32 v12, 7, v12
	v_cmp_eq_u16_e32 vcc, 0, v6
	v_cndmask_b32_e32 v2, v2, v12, vcc
	v_cndmask_b32_e32 v6, v10, v11, vcc
	v_lshlrev_b32_e32 v10, 8, v7
	v_mov_b32_e32 v11, 0x3b800000
	v_lshlrev_b32_e32 v2, 20, v2
	v_and_b32_e32 v10, 0x80000000, v10
	v_lshl_add_u32 v6, v6, 23, v11
	v_or3_b32 v2, v10, v6, v2
.LBB34_948:
	s_or_b64 exec, exec, s[6:7]
	s_movk_i32 s4, 0xff
	v_and_b32_sdwa v6, v3, s4 dst_sel:DWORD dst_unused:UNUSED_PAD src0_sel:WORD_1 src1_sel:DWORD
	s_movk_i32 s4, 0x7f
	v_cmp_lt_i16_e32 vcc, s4, v6
	s_mov_b64 s[4:5], 0
                                        ; implicit-def: $sgpr10
	s_and_saveexec_b64 s[6:7], vcc
	s_xor_b64 s[6:7], exec, s[6:7]
	s_cbranch_execnz .LBB34_2997
; %bb.949:
	s_or_saveexec_b64 s[6:7], s[6:7]
	v_mov_b32_e32 v10, s10
	s_xor_b64 exec, exec, s[6:7]
	s_cbranch_execnz .LBB34_3000
.LBB34_950:
	s_or_b64 exec, exec, s[6:7]
	s_and_saveexec_b64 s[6:7], s[4:5]
	s_cbranch_execz .LBB34_952
.LBB34_951:
	v_bfe_u32 v6, v3, 16, 3
	v_ffbh_u32_e32 v12, v6
	v_min_u32_e32 v12, 32, v12
	v_lshrrev_b32_e32 v10, 19, v3
	v_subrev_u32_e32 v13, 28, v12
	v_and_b32_e32 v10, 15, v10
	v_lshlrev_b32_sdwa v13, v13, v3 dst_sel:DWORD dst_unused:UNUSED_PAD src0_sel:DWORD src1_sel:WORD_1
	v_bfe_u32 v11, v3, 19, 4
	v_sub_u32_e32 v12, 29, v12
	v_and_b32_e32 v13, 7, v13
	v_cmp_eq_u16_e32 vcc, 0, v10
	v_cndmask_b32_e32 v6, v6, v13, vcc
	v_cndmask_b32_e32 v10, v11, v12, vcc
	v_lshlrev_b32_e32 v11, 8, v3
	v_mov_b32_e32 v12, 0x3b800000
	v_lshlrev_b32_e32 v6, 20, v6
	v_and_b32_e32 v11, 0x80000000, v11
	v_lshl_add_u32 v10, v10, 23, v12
	v_or3_b32 v10, v11, v10, v6
.LBB34_952:
	s_or_b64 exec, exec, s[6:7]
	s_nop 0
	v_mfma_f32_16x16x4f32 a[0:3], v2, v10, a[0:3]
	s_movk_i32 s4, 0x7f
	v_cmp_gt_i16_sdwa s[6:7], v7, s4 src0_sel:BYTE_3 src1_sel:DWORD
	s_mov_b64 s[4:5], 0
                                        ; implicit-def: $sgpr10
	s_and_saveexec_b64 s[8:9], s[6:7]
	s_xor_b64 s[6:7], exec, s[8:9]
	s_cbranch_execnz .LBB34_3001
; %bb.953:
	s_or_saveexec_b64 s[6:7], s[6:7]
	v_mov_b32_e32 v2, s10
	s_xor_b64 exec, exec, s[6:7]
	s_cbranch_execnz .LBB34_3004
.LBB34_954:
	s_or_b64 exec, exec, s[6:7]
	s_and_saveexec_b64 s[6:7], s[4:5]
	s_cbranch_execz .LBB34_956
.LBB34_955:
	v_bfe_u32 v2, v7, 24, 3
	v_ffbh_u32_e32 v12, v2
	v_min_u32_e32 v12, 32, v12
	v_lshrrev_b32_e32 v10, 27, v7
	v_subrev_u32_e32 v13, 28, v12
	v_and_b32_e32 v6, 0x80000000, v7
	v_and_b32_e32 v10, 15, v10
	v_bfe_u32 v11, v7, 27, 4
	v_lshlrev_b32_sdwa v7, v13, v7 dst_sel:DWORD dst_unused:UNUSED_PAD src0_sel:DWORD src1_sel:BYTE_3
	v_sub_u32_e32 v12, 29, v12
	v_and_b32_e32 v7, 7, v7
	v_cmp_eq_u16_e32 vcc, 0, v10
	v_cndmask_b32_e32 v2, v2, v7, vcc
	v_cndmask_b32_e32 v7, v11, v12, vcc
	v_mov_b32_e32 v10, 0x3b800000
	v_lshlrev_b32_e32 v2, 20, v2
	v_lshl_add_u32 v7, v7, 23, v10
	v_or3_b32 v2, v6, v7, v2
.LBB34_956:
	s_or_b64 exec, exec, s[6:7]
	s_movk_i32 s4, 0x7f
	v_cmp_gt_i16_sdwa s[6:7], v3, s4 src0_sel:BYTE_3 src1_sel:DWORD
	s_mov_b64 s[4:5], 0
                                        ; implicit-def: $sgpr10
	s_and_saveexec_b64 s[8:9], s[6:7]
	s_xor_b64 s[6:7], exec, s[8:9]
	s_cbranch_execnz .LBB34_3005
; %bb.957:
	s_or_saveexec_b64 s[6:7], s[6:7]
	v_mov_b32_e32 v6, s10
	s_xor_b64 exec, exec, s[6:7]
	s_cbranch_execnz .LBB34_3008
.LBB34_958:
	s_or_b64 exec, exec, s[6:7]
	s_and_saveexec_b64 s[6:7], s[4:5]
	s_cbranch_execz .LBB34_960
.LBB34_959:
	v_bfe_u32 v6, v3, 24, 3
	v_ffbh_u32_e32 v12, v6
	v_min_u32_e32 v12, 32, v12
	v_lshrrev_b32_e32 v10, 27, v3
	v_subrev_u32_e32 v13, 28, v12
	v_and_b32_e32 v7, 0x80000000, v3
	v_and_b32_e32 v10, 15, v10
	v_bfe_u32 v11, v3, 27, 4
	v_lshlrev_b32_sdwa v3, v13, v3 dst_sel:DWORD dst_unused:UNUSED_PAD src0_sel:DWORD src1_sel:BYTE_3
	v_sub_u32_e32 v12, 29, v12
	v_and_b32_e32 v3, 7, v3
	v_cmp_eq_u16_e32 vcc, 0, v10
	v_cndmask_b32_e32 v3, v6, v3, vcc
	v_cndmask_b32_e32 v6, v11, v12, vcc
	v_mov_b32_e32 v10, 0x3b800000
	v_lshlrev_b32_e32 v3, 20, v3
	v_lshl_add_u32 v6, v6, 23, v10
	v_or3_b32 v6, v7, v6, v3
.LBB34_960:
	s_or_b64 exec, exec, s[6:7]
	s_nop 0
	v_mfma_f32_16x16x4f32 a[0:3], v2, v6, a[0:3]
	s_movk_i32 s4, 0x7f
	v_cmp_gt_i16_sdwa s[6:7], v8, s4 src0_sel:BYTE_0 src1_sel:DWORD
	s_mov_b64 s[4:5], 0
                                        ; implicit-def: $sgpr10
	s_and_saveexec_b64 s[8:9], s[6:7]
	s_xor_b64 s[6:7], exec, s[8:9]
	s_cbranch_execnz .LBB34_3009
; %bb.961:
	s_or_saveexec_b64 s[6:7], s[6:7]
	v_mov_b32_e32 v2, s10
	s_xor_b64 exec, exec, s[6:7]
	s_cbranch_execnz .LBB34_3012
.LBB34_962:
	s_or_b64 exec, exec, s[6:7]
	s_and_saveexec_b64 s[6:7], s[4:5]
	s_cbranch_execz .LBB34_964
.LBB34_963:
	v_and_b32_e32 v2, 7, v8
	v_ffbh_u32_e32 v6, v2
	v_min_u32_e32 v6, 32, v6
	v_lshrrev_b16_e32 v3, 3, v8
	v_subrev_u32_e32 v7, 28, v6
	v_and_b32_e32 v3, 15, v3
	v_lshlrev_b32_e32 v7, v7, v8
	v_sub_u32_e32 v6, 29, v6
	v_and_b32_e32 v7, 7, v7
	v_cmp_eq_u16_e32 vcc, 0, v3
	v_cndmask_b32_e32 v2, v2, v7, vcc
	v_cndmask_b32_e32 v3, v3, v6, vcc
	v_lshlrev_b32_e32 v6, 24, v8
	v_mov_b32_e32 v7, 0x3b800000
	v_lshlrev_b32_e32 v2, 20, v2
	v_and_b32_e32 v6, 0x80000000, v6
	v_lshl_add_u32 v3, v3, 23, v7
	v_or3_b32 v2, v6, v3, v2
.LBB34_964:
	s_or_b64 exec, exec, s[6:7]
	s_movk_i32 s4, 0x7f
	v_cmp_gt_i16_sdwa s[6:7], v4, s4 src0_sel:BYTE_0 src1_sel:DWORD
	s_mov_b64 s[4:5], 0
                                        ; implicit-def: $sgpr10
	s_and_saveexec_b64 s[8:9], s[6:7]
	s_xor_b64 s[6:7], exec, s[8:9]
	s_cbranch_execnz .LBB34_3013
; %bb.965:
	s_or_saveexec_b64 s[6:7], s[6:7]
	v_mov_b32_e32 v3, s10
	s_xor_b64 exec, exec, s[6:7]
	s_cbranch_execnz .LBB34_3016
.LBB34_966:
	s_or_b64 exec, exec, s[6:7]
	s_and_saveexec_b64 s[6:7], s[4:5]
	s_cbranch_execz .LBB34_968
.LBB34_967:
	v_and_b32_e32 v3, 7, v4
	v_ffbh_u32_e32 v7, v3
	v_min_u32_e32 v7, 32, v7
	v_lshrrev_b16_e32 v6, 3, v4
	v_subrev_u32_e32 v10, 28, v7
	v_and_b32_e32 v6, 15, v6
	v_lshlrev_b32_e32 v10, v10, v4
	v_sub_u32_e32 v7, 29, v7
	v_and_b32_e32 v10, 7, v10
	v_cmp_eq_u16_e32 vcc, 0, v6
	v_cndmask_b32_e32 v3, v3, v10, vcc
	v_cndmask_b32_e32 v6, v6, v7, vcc
	v_lshlrev_b32_e32 v7, 24, v4
	v_mov_b32_e32 v10, 0x3b800000
	v_lshlrev_b32_e32 v3, 20, v3
	v_and_b32_e32 v7, 0x80000000, v7
	v_lshl_add_u32 v6, v6, 23, v10
	v_or3_b32 v3, v7, v6, v3
.LBB34_968:
	s_or_b64 exec, exec, s[6:7]
	s_nop 0
	v_mfma_f32_16x16x4f32 a[0:3], v2, v3, a[0:3]
	v_lshrrev_b32_e32 v3, 8, v8
	s_movk_i32 s4, 0x7f
	v_cmp_gt_i16_sdwa s[6:7], v3, s4 src0_sel:BYTE_0 src1_sel:DWORD
	s_mov_b64 s[4:5], 0
                                        ; implicit-def: $sgpr10
	s_and_saveexec_b64 s[8:9], s[6:7]
	s_xor_b64 s[6:7], exec, s[8:9]
	s_cbranch_execnz .LBB34_3017
; %bb.969:
	s_or_saveexec_b64 s[6:7], s[6:7]
	v_mov_b32_e32 v2, s10
	s_xor_b64 exec, exec, s[6:7]
	s_cbranch_execnz .LBB34_3020
.LBB34_970:
	s_or_b64 exec, exec, s[6:7]
	s_and_saveexec_b64 s[6:7], s[4:5]
	s_cbranch_execz .LBB34_972
.LBB34_971:
	v_bfe_u32 v2, v8, 8, 3
	v_ffbh_u32_e32 v7, v2
	v_min_u32_e32 v7, 32, v7
	v_lshrrev_b16_e32 v6, 3, v3
	v_subrev_u32_e32 v10, 28, v7
	v_and_b32_e32 v6, 15, v6
	v_lshlrev_b32_e32 v3, v10, v3
	v_sub_u32_e32 v7, 29, v7
	v_and_b32_e32 v3, 7, v3
	v_cmp_eq_u16_e32 vcc, 0, v6
	v_cndmask_b32_e32 v2, v2, v3, vcc
	v_cndmask_b32_e32 v3, v6, v7, vcc
	v_lshlrev_b32_e32 v6, 16, v8
	v_mov_b32_e32 v7, 0x3b800000
	v_lshlrev_b32_e32 v2, 20, v2
	v_and_b32_e32 v6, 0x80000000, v6
	v_lshl_add_u32 v3, v3, 23, v7
	v_or3_b32 v2, v6, v3, v2
.LBB34_972:
	s_or_b64 exec, exec, s[6:7]
	v_lshrrev_b32_e32 v3, 8, v4
	s_movk_i32 s4, 0x7f
	v_cmp_gt_i16_sdwa s[6:7], v3, s4 src0_sel:BYTE_0 src1_sel:DWORD
	s_mov_b64 s[4:5], 0
                                        ; implicit-def: $sgpr10
	s_and_saveexec_b64 s[8:9], s[6:7]
	s_xor_b64 s[6:7], exec, s[8:9]
	s_cbranch_execnz .LBB34_3021
; %bb.973:
	s_or_saveexec_b64 s[6:7], s[6:7]
	v_mov_b32_e32 v6, s10
	s_xor_b64 exec, exec, s[6:7]
	s_cbranch_execnz .LBB34_3024
.LBB34_974:
	s_or_b64 exec, exec, s[6:7]
	s_and_saveexec_b64 s[6:7], s[4:5]
	s_cbranch_execz .LBB34_976
.LBB34_975:
	v_bfe_u32 v6, v4, 8, 3
	v_ffbh_u32_e32 v10, v6
	v_min_u32_e32 v10, 32, v10
	v_lshrrev_b16_e32 v7, 3, v3
	v_subrev_u32_e32 v11, 28, v10
	v_and_b32_e32 v7, 15, v7
	v_lshlrev_b32_e32 v3, v11, v3
	v_sub_u32_e32 v10, 29, v10
	v_and_b32_e32 v3, 7, v3
	v_cmp_eq_u16_e32 vcc, 0, v7
	v_cndmask_b32_e32 v3, v6, v3, vcc
	v_cndmask_b32_e32 v6, v7, v10, vcc
	v_lshlrev_b32_e32 v7, 16, v4
	v_mov_b32_e32 v10, 0x3b800000
	v_lshlrev_b32_e32 v3, 20, v3
	v_and_b32_e32 v7, 0x80000000, v7
	v_lshl_add_u32 v6, v6, 23, v10
	v_or3_b32 v6, v7, v6, v3
.LBB34_976:
	s_or_b64 exec, exec, s[6:7]
	s_nop 0
	v_mfma_f32_16x16x4f32 a[0:3], v2, v6, a[0:3]
	s_movk_i32 s4, 0xff
	v_and_b32_sdwa v3, v8, s4 dst_sel:DWORD dst_unused:UNUSED_PAD src0_sel:WORD_1 src1_sel:DWORD
	s_movk_i32 s4, 0x7f
	v_cmp_lt_i16_e32 vcc, s4, v3
	s_mov_b64 s[4:5], 0
                                        ; implicit-def: $sgpr10
	s_and_saveexec_b64 s[6:7], vcc
	s_xor_b64 s[6:7], exec, s[6:7]
	s_cbranch_execnz .LBB34_3025
; %bb.977:
	s_or_saveexec_b64 s[6:7], s[6:7]
	v_mov_b32_e32 v2, s10
	s_xor_b64 exec, exec, s[6:7]
	s_cbranch_execnz .LBB34_3028
.LBB34_978:
	s_or_b64 exec, exec, s[6:7]
	s_and_saveexec_b64 s[6:7], s[4:5]
	s_cbranch_execz .LBB34_980
.LBB34_979:
	v_bfe_u32 v2, v8, 16, 3
	v_ffbh_u32_e32 v7, v2
	v_min_u32_e32 v7, 32, v7
	v_lshrrev_b32_e32 v3, 19, v8
	v_subrev_u32_e32 v10, 28, v7
	v_and_b32_e32 v3, 15, v3
	v_lshlrev_b32_sdwa v10, v10, v8 dst_sel:DWORD dst_unused:UNUSED_PAD src0_sel:DWORD src1_sel:WORD_1
	v_bfe_u32 v6, v8, 19, 4
	v_sub_u32_e32 v7, 29, v7
	v_and_b32_e32 v10, 7, v10
	v_cmp_eq_u16_e32 vcc, 0, v3
	v_cndmask_b32_e32 v2, v2, v10, vcc
	v_cndmask_b32_e32 v3, v6, v7, vcc
	v_lshlrev_b32_e32 v6, 8, v8
	v_mov_b32_e32 v7, 0x3b800000
	v_lshlrev_b32_e32 v2, 20, v2
	v_and_b32_e32 v6, 0x80000000, v6
	v_lshl_add_u32 v3, v3, 23, v7
	v_or3_b32 v2, v6, v3, v2
.LBB34_980:
	s_or_b64 exec, exec, s[6:7]
	s_movk_i32 s4, 0xff
	v_and_b32_sdwa v3, v4, s4 dst_sel:DWORD dst_unused:UNUSED_PAD src0_sel:WORD_1 src1_sel:DWORD
	s_movk_i32 s4, 0x7f
	v_cmp_lt_i16_e32 vcc, s4, v3
	s_mov_b64 s[4:5], 0
                                        ; implicit-def: $sgpr10
	s_and_saveexec_b64 s[6:7], vcc
	s_xor_b64 s[6:7], exec, s[6:7]
	s_cbranch_execnz .LBB34_3029
; %bb.981:
	s_or_saveexec_b64 s[6:7], s[6:7]
	v_mov_b32_e32 v6, s10
	s_xor_b64 exec, exec, s[6:7]
	s_cbranch_execnz .LBB34_3032
.LBB34_982:
	s_or_b64 exec, exec, s[6:7]
	s_and_saveexec_b64 s[6:7], s[4:5]
	s_cbranch_execz .LBB34_984
.LBB34_983:
	v_bfe_u32 v3, v4, 16, 3
	v_ffbh_u32_e32 v10, v3
	v_min_u32_e32 v10, 32, v10
	v_lshrrev_b32_e32 v6, 19, v4
	v_subrev_u32_e32 v11, 28, v10
	v_and_b32_e32 v6, 15, v6
	v_lshlrev_b32_sdwa v11, v11, v4 dst_sel:DWORD dst_unused:UNUSED_PAD src0_sel:DWORD src1_sel:WORD_1
	v_bfe_u32 v7, v4, 19, 4
	v_sub_u32_e32 v10, 29, v10
	v_and_b32_e32 v11, 7, v11
	v_cmp_eq_u16_e32 vcc, 0, v6
	v_cndmask_b32_e32 v3, v3, v11, vcc
	v_cndmask_b32_e32 v6, v7, v10, vcc
	v_lshlrev_b32_e32 v7, 8, v4
	v_mov_b32_e32 v10, 0x3b800000
	v_lshlrev_b32_e32 v3, 20, v3
	v_and_b32_e32 v7, 0x80000000, v7
	v_lshl_add_u32 v6, v6, 23, v10
	v_or3_b32 v6, v7, v6, v3
.LBB34_984:
	s_or_b64 exec, exec, s[6:7]
	s_nop 0
	v_mfma_f32_16x16x4f32 a[0:3], v2, v6, a[0:3]
	s_movk_i32 s4, 0x7f
	v_cmp_gt_i16_sdwa s[6:7], v8, s4 src0_sel:BYTE_3 src1_sel:DWORD
	s_mov_b64 s[4:5], 0
                                        ; implicit-def: $sgpr10
	s_and_saveexec_b64 s[8:9], s[6:7]
	s_xor_b64 s[6:7], exec, s[8:9]
	s_cbranch_execnz .LBB34_3033
; %bb.985:
	s_or_saveexec_b64 s[6:7], s[6:7]
	v_mov_b32_e32 v2, s10
	s_xor_b64 exec, exec, s[6:7]
	s_cbranch_execnz .LBB34_3036
.LBB34_986:
	s_or_b64 exec, exec, s[6:7]
	s_and_saveexec_b64 s[6:7], s[4:5]
	s_cbranch_execz .LBB34_988
.LBB34_987:
	v_bfe_u32 v2, v8, 24, 3
	v_ffbh_u32_e32 v10, v2
	v_min_u32_e32 v10, 32, v10
	v_lshrrev_b32_e32 v6, 27, v8
	v_subrev_u32_e32 v11, 28, v10
	v_and_b32_e32 v3, 0x80000000, v8
	v_and_b32_e32 v6, 15, v6
	v_bfe_u32 v7, v8, 27, 4
	v_lshlrev_b32_sdwa v8, v11, v8 dst_sel:DWORD dst_unused:UNUSED_PAD src0_sel:DWORD src1_sel:BYTE_3
	v_sub_u32_e32 v10, 29, v10
	v_and_b32_e32 v8, 7, v8
	v_cmp_eq_u16_e32 vcc, 0, v6
	v_cndmask_b32_e32 v2, v2, v8, vcc
	v_cndmask_b32_e32 v6, v7, v10, vcc
	v_mov_b32_e32 v7, 0x3b800000
	v_lshlrev_b32_e32 v2, 20, v2
	v_lshl_add_u32 v6, v6, 23, v7
	v_or3_b32 v2, v3, v6, v2
.LBB34_988:
	s_or_b64 exec, exec, s[6:7]
	s_movk_i32 s4, 0x7f
	v_cmp_gt_i16_sdwa s[6:7], v4, s4 src0_sel:BYTE_3 src1_sel:DWORD
	s_mov_b64 s[4:5], 0
                                        ; implicit-def: $sgpr10
	s_and_saveexec_b64 s[8:9], s[6:7]
	s_xor_b64 s[6:7], exec, s[8:9]
	s_cbranch_execnz .LBB34_3037
; %bb.989:
	s_or_saveexec_b64 s[6:7], s[6:7]
	v_mov_b32_e32 v3, s10
	s_xor_b64 exec, exec, s[6:7]
	s_cbranch_execnz .LBB34_3040
.LBB34_990:
	s_or_b64 exec, exec, s[6:7]
	s_and_saveexec_b64 s[6:7], s[4:5]
	s_cbranch_execz .LBB34_992
.LBB34_991:
	v_bfe_u32 v3, v4, 24, 3
	v_ffbh_u32_e32 v10, v3
	v_min_u32_e32 v10, 32, v10
	v_lshrrev_b32_e32 v7, 27, v4
	v_subrev_u32_e32 v11, 28, v10
	v_and_b32_e32 v6, 0x80000000, v4
	v_and_b32_e32 v7, 15, v7
	v_bfe_u32 v8, v4, 27, 4
	v_lshlrev_b32_sdwa v4, v11, v4 dst_sel:DWORD dst_unused:UNUSED_PAD src0_sel:DWORD src1_sel:BYTE_3
	v_sub_u32_e32 v10, 29, v10
	v_and_b32_e32 v4, 7, v4
	v_cmp_eq_u16_e32 vcc, 0, v7
	v_cndmask_b32_e32 v3, v3, v4, vcc
	v_cndmask_b32_e32 v4, v8, v10, vcc
	v_mov_b32_e32 v7, 0x3b800000
	v_lshlrev_b32_e32 v3, 20, v3
	v_lshl_add_u32 v4, v4, 23, v7
	v_or3_b32 v3, v6, v4, v3
.LBB34_992:
	s_or_b64 exec, exec, s[6:7]
	s_nop 0
	v_mfma_f32_16x16x4f32 a[0:3], v2, v3, a[0:3]
	s_movk_i32 s4, 0x7f
	v_cmp_gt_i16_sdwa s[6:7], v9, s4 src0_sel:BYTE_0 src1_sel:DWORD
	s_mov_b64 s[4:5], 0
                                        ; implicit-def: $sgpr10
	s_and_saveexec_b64 s[8:9], s[6:7]
	s_xor_b64 s[6:7], exec, s[8:9]
	s_cbranch_execnz .LBB34_3041
; %bb.993:
	s_or_saveexec_b64 s[6:7], s[6:7]
	v_mov_b32_e32 v2, s10
	s_xor_b64 exec, exec, s[6:7]
	s_cbranch_execnz .LBB34_3044
.LBB34_994:
	s_or_b64 exec, exec, s[6:7]
	s_and_saveexec_b64 s[6:7], s[4:5]
	s_cbranch_execz .LBB34_996
.LBB34_995:
	v_mov_b32_e32 v2, 8
	v_and_b32_e32 v3, 7, v9
	v_lshrrev_b32_sdwa v2, v2, v9 dst_sel:BYTE_1 dst_unused:UNUSED_PAD src0_sel:DWORD src1_sel:DWORD
	v_ffbh_u32_e32 v4, v3
	v_or_b32_sdwa v2, v9, v2 dst_sel:DWORD dst_unused:UNUSED_PAD src0_sel:BYTE_0 src1_sel:DWORD
	v_min_u32_e32 v4, 32, v4
	v_lshrrev_b16_e32 v2, 3, v2
	v_subrev_u32_e32 v6, 28, v4
	v_and_b32_e32 v2, 15, v2
	v_lshlrev_b32_e32 v6, v6, v9
	v_sub_u32_e32 v4, 29, v4
	v_and_b32_e32 v6, 7, v6
	v_cmp_eq_u16_e32 vcc, 0, v2
	v_cndmask_b32_e32 v3, v3, v6, vcc
	v_cndmask_b32_e32 v2, v2, v4, vcc
	v_lshlrev_b32_e32 v4, 24, v9
	v_mov_b32_e32 v6, 0x3b800000
	v_lshlrev_b32_e32 v3, 20, v3
	v_and_b32_e32 v4, 0x80000000, v4
	v_lshl_add_u32 v2, v2, 23, v6
	v_or3_b32 v2, v4, v2, v3
.LBB34_996:
	s_or_b64 exec, exec, s[6:7]
	s_movk_i32 s4, 0x7f
	v_cmp_gt_i16_sdwa s[6:7], v5, s4 src0_sel:BYTE_0 src1_sel:DWORD
	s_mov_b64 s[4:5], 0
                                        ; implicit-def: $sgpr10
	s_and_saveexec_b64 s[8:9], s[6:7]
	s_xor_b64 s[6:7], exec, s[8:9]
	s_cbranch_execnz .LBB34_3045
; %bb.997:
	s_or_saveexec_b64 s[6:7], s[6:7]
	v_mov_b32_e32 v3, s10
	s_xor_b64 exec, exec, s[6:7]
	s_cbranch_execnz .LBB34_3048
.LBB34_998:
	s_or_b64 exec, exec, s[6:7]
	s_and_saveexec_b64 s[6:7], s[4:5]
	s_cbranch_execz .LBB34_1000
.LBB34_999:
	v_mov_b32_e32 v3, 8
	v_and_b32_e32 v4, 7, v5
	v_lshrrev_b32_sdwa v3, v3, v5 dst_sel:BYTE_1 dst_unused:UNUSED_PAD src0_sel:DWORD src1_sel:DWORD
	v_ffbh_u32_e32 v6, v4
	v_or_b32_sdwa v3, v5, v3 dst_sel:DWORD dst_unused:UNUSED_PAD src0_sel:BYTE_0 src1_sel:DWORD
	v_min_u32_e32 v6, 32, v6
	v_lshrrev_b16_e32 v3, 3, v3
	v_subrev_u32_e32 v7, 28, v6
	v_and_b32_e32 v3, 15, v3
	v_lshlrev_b32_e32 v7, v7, v5
	v_sub_u32_e32 v6, 29, v6
	v_and_b32_e32 v7, 7, v7
	v_cmp_eq_u16_e32 vcc, 0, v3
	v_cndmask_b32_e32 v4, v4, v7, vcc
	v_cndmask_b32_e32 v3, v3, v6, vcc
	v_lshlrev_b32_e32 v6, 24, v5
	v_mov_b32_e32 v7, 0x3b800000
	v_lshlrev_b32_e32 v4, 20, v4
	v_and_b32_e32 v6, 0x80000000, v6
	v_lshl_add_u32 v3, v3, 23, v7
	v_or3_b32 v3, v6, v3, v4
.LBB34_1000:
	s_or_b64 exec, exec, s[6:7]
	s_nop 0
	v_mfma_f32_16x16x4f32 a[0:3], v2, v3, a[0:3]
	v_lshrrev_b32_e32 v3, 8, v9
	s_movk_i32 s4, 0x7f
	v_cmp_gt_i16_sdwa s[6:7], v3, s4 src0_sel:BYTE_0 src1_sel:DWORD
	s_mov_b64 s[4:5], 0
                                        ; implicit-def: $sgpr10
	s_and_saveexec_b64 s[8:9], s[6:7]
	s_xor_b64 s[6:7], exec, s[8:9]
	s_cbranch_execnz .LBB34_3049
; %bb.1001:
	s_or_saveexec_b64 s[6:7], s[6:7]
	v_mov_b32_e32 v2, s10
	s_xor_b64 exec, exec, s[6:7]
	s_cbranch_execnz .LBB34_3052
.LBB34_1002:
	s_or_b64 exec, exec, s[6:7]
	s_and_saveexec_b64 s[6:7], s[4:5]
	s_cbranch_execz .LBB34_1004
.LBB34_1003:
	v_bfe_u32 v2, v9, 8, 3
	v_ffbh_u32_e32 v6, v2
	v_min_u32_e32 v6, 32, v6
	v_lshrrev_b16_e32 v4, 3, v3
	v_subrev_u32_e32 v7, 28, v6
	v_and_b32_e32 v4, 15, v4
	v_lshlrev_b32_e32 v3, v7, v3
	v_sub_u32_e32 v6, 29, v6
	v_and_b32_e32 v3, 7, v3
	v_cmp_eq_u16_e32 vcc, 0, v4
	v_cndmask_b32_e32 v2, v2, v3, vcc
	v_cndmask_b32_e32 v3, v4, v6, vcc
	v_lshlrev_b32_e32 v4, 16, v9
	v_mov_b32_e32 v6, 0x3b800000
	v_lshlrev_b32_e32 v2, 20, v2
	v_and_b32_e32 v4, 0x80000000, v4
	v_lshl_add_u32 v3, v3, 23, v6
	v_or3_b32 v2, v4, v3, v2
.LBB34_1004:
	s_or_b64 exec, exec, s[6:7]
	v_lshrrev_b32_e32 v3, 8, v5
	s_movk_i32 s4, 0x7f
	v_cmp_gt_i16_sdwa s[6:7], v3, s4 src0_sel:BYTE_0 src1_sel:DWORD
	s_mov_b64 s[4:5], 0
                                        ; implicit-def: $sgpr10
	s_and_saveexec_b64 s[8:9], s[6:7]
	s_xor_b64 s[6:7], exec, s[8:9]
	s_cbranch_execnz .LBB34_3053
; %bb.1005:
	s_or_saveexec_b64 s[6:7], s[6:7]
	v_mov_b32_e32 v4, s10
	s_xor_b64 exec, exec, s[6:7]
	s_cbranch_execnz .LBB34_3056
.LBB34_1006:
	s_or_b64 exec, exec, s[6:7]
	s_and_saveexec_b64 s[6:7], s[4:5]
	s_cbranch_execz .LBB34_1008
.LBB34_1007:
	v_bfe_u32 v4, v5, 8, 3
	v_ffbh_u32_e32 v7, v4
	v_min_u32_e32 v7, 32, v7
	v_lshrrev_b16_e32 v6, 3, v3
	v_subrev_u32_e32 v8, 28, v7
	v_and_b32_e32 v6, 15, v6
	v_lshlrev_b32_e32 v3, v8, v3
	v_sub_u32_e32 v7, 29, v7
	v_and_b32_e32 v3, 7, v3
	v_cmp_eq_u16_e32 vcc, 0, v6
	v_cndmask_b32_e32 v3, v4, v3, vcc
	v_cndmask_b32_e32 v4, v6, v7, vcc
	v_lshlrev_b32_e32 v6, 16, v5
	v_mov_b32_e32 v7, 0x3b800000
	v_lshlrev_b32_e32 v3, 20, v3
	v_and_b32_e32 v6, 0x80000000, v6
	v_lshl_add_u32 v4, v4, 23, v7
	v_or3_b32 v4, v6, v4, v3
.LBB34_1008:
	s_or_b64 exec, exec, s[6:7]
	s_nop 0
	v_mfma_f32_16x16x4f32 a[0:3], v2, v4, a[0:3]
	s_movk_i32 s4, 0xff
	v_and_b32_sdwa v3, v9, s4 dst_sel:DWORD dst_unused:UNUSED_PAD src0_sel:WORD_1 src1_sel:DWORD
	s_movk_i32 s4, 0x7f
	v_cmp_lt_i16_e32 vcc, s4, v3
	s_mov_b64 s[4:5], 0
                                        ; implicit-def: $sgpr10
	s_and_saveexec_b64 s[6:7], vcc
	s_xor_b64 s[6:7], exec, s[6:7]
	s_cbranch_execnz .LBB34_3057
; %bb.1009:
	s_or_saveexec_b64 s[6:7], s[6:7]
	v_mov_b32_e32 v2, s10
	s_xor_b64 exec, exec, s[6:7]
	s_cbranch_execnz .LBB34_3060
.LBB34_1010:
	s_or_b64 exec, exec, s[6:7]
	s_and_saveexec_b64 s[6:7], s[4:5]
	s_cbranch_execz .LBB34_1012
.LBB34_1011:
	v_bfe_u32 v2, v9, 16, 3
	v_ffbh_u32_e32 v6, v2
	v_min_u32_e32 v6, 32, v6
	v_lshrrev_b32_e32 v3, 19, v9
	v_subrev_u32_e32 v7, 28, v6
	v_and_b32_e32 v3, 15, v3
	v_lshlrev_b32_sdwa v7, v7, v9 dst_sel:DWORD dst_unused:UNUSED_PAD src0_sel:DWORD src1_sel:WORD_1
	v_bfe_u32 v4, v9, 19, 4
	v_sub_u32_e32 v6, 29, v6
	v_and_b32_e32 v7, 7, v7
	v_cmp_eq_u16_e32 vcc, 0, v3
	v_cndmask_b32_e32 v2, v2, v7, vcc
	v_cndmask_b32_e32 v3, v4, v6, vcc
	v_lshlrev_b32_e32 v4, 8, v9
	v_mov_b32_e32 v6, 0x3b800000
	v_lshlrev_b32_e32 v2, 20, v2
	v_and_b32_e32 v4, 0x80000000, v4
	v_lshl_add_u32 v3, v3, 23, v6
	v_or3_b32 v2, v4, v3, v2
.LBB34_1012:
	s_or_b64 exec, exec, s[6:7]
	s_movk_i32 s4, 0xff
	v_and_b32_sdwa v3, v5, s4 dst_sel:DWORD dst_unused:UNUSED_PAD src0_sel:WORD_1 src1_sel:DWORD
	s_movk_i32 s4, 0x7f
	v_cmp_lt_i16_e32 vcc, s4, v3
	s_mov_b64 s[4:5], 0
                                        ; implicit-def: $sgpr10
	s_and_saveexec_b64 s[6:7], vcc
	s_xor_b64 s[6:7], exec, s[6:7]
	s_cbranch_execnz .LBB34_3061
; %bb.1013:
	s_or_saveexec_b64 s[6:7], s[6:7]
	v_mov_b32_e32 v4, s10
	s_xor_b64 exec, exec, s[6:7]
	s_cbranch_execnz .LBB34_3064
.LBB34_1014:
	s_or_b64 exec, exec, s[6:7]
	s_and_saveexec_b64 s[6:7], s[4:5]
	s_cbranch_execz .LBB34_1016
.LBB34_1015:
	v_bfe_u32 v3, v5, 16, 3
	v_ffbh_u32_e32 v7, v3
	v_min_u32_e32 v7, 32, v7
	v_lshrrev_b32_e32 v4, 19, v5
	v_subrev_u32_e32 v8, 28, v7
	v_and_b32_e32 v4, 15, v4
	v_lshlrev_b32_sdwa v8, v8, v5 dst_sel:DWORD dst_unused:UNUSED_PAD src0_sel:DWORD src1_sel:WORD_1
	v_bfe_u32 v6, v5, 19, 4
	v_sub_u32_e32 v7, 29, v7
	v_and_b32_e32 v8, 7, v8
	v_cmp_eq_u16_e32 vcc, 0, v4
	v_cndmask_b32_e32 v3, v3, v8, vcc
	v_cndmask_b32_e32 v4, v6, v7, vcc
	v_lshlrev_b32_e32 v6, 8, v5
	v_mov_b32_e32 v7, 0x3b800000
	v_lshlrev_b32_e32 v3, 20, v3
	v_and_b32_e32 v6, 0x80000000, v6
	v_lshl_add_u32 v4, v4, 23, v7
	v_or3_b32 v4, v6, v4, v3
.LBB34_1016:
	s_or_b64 exec, exec, s[6:7]
	s_nop 0
	v_mfma_f32_16x16x4f32 a[0:3], v2, v4, a[0:3]
	s_movk_i32 s4, 0x7f
	v_cmp_gt_i16_sdwa s[6:7], v9, s4 src0_sel:BYTE_3 src1_sel:DWORD
	s_mov_b64 s[4:5], 0
                                        ; implicit-def: $sgpr10
	s_and_saveexec_b64 s[8:9], s[6:7]
	s_xor_b64 s[6:7], exec, s[8:9]
	s_cbranch_execnz .LBB34_3065
; %bb.1017:
	s_or_saveexec_b64 s[6:7], s[6:7]
	v_mov_b32_e32 v2, s10
	s_xor_b64 exec, exec, s[6:7]
	s_cbranch_execnz .LBB34_3068
.LBB34_1018:
	s_or_b64 exec, exec, s[6:7]
	s_and_saveexec_b64 s[6:7], s[4:5]
	s_cbranch_execz .LBB34_1020
.LBB34_1019:
	v_bfe_u32 v2, v9, 24, 3
	v_ffbh_u32_e32 v7, v2
	v_min_u32_e32 v7, 32, v7
	v_lshrrev_b32_e32 v4, 27, v9
	v_subrev_u32_e32 v8, 28, v7
	v_and_b32_e32 v4, 15, v4
	v_lshlrev_b32_sdwa v8, v8, v9 dst_sel:DWORD dst_unused:UNUSED_PAD src0_sel:DWORD src1_sel:BYTE_3
	v_bfe_u32 v6, v9, 27, 4
	v_sub_u32_e32 v7, 29, v7
	v_and_b32_e32 v8, 7, v8
	v_cmp_eq_u16_e32 vcc, 0, v4
	v_cndmask_b32_e32 v2, v2, v8, vcc
	v_cndmask_b32_e32 v4, v6, v7, vcc
	v_mov_b32_e32 v6, 0x3b800000
	v_and_b32_e32 v3, 0x80000000, v9
	v_lshlrev_b32_e32 v2, 20, v2
	v_lshl_add_u32 v4, v4, 23, v6
	v_or3_b32 v2, v3, v4, v2
.LBB34_1020:
	s_or_b64 exec, exec, s[6:7]
	s_movk_i32 s4, 0x7f
	v_cmp_gt_i16_sdwa s[6:7], v5, s4 src0_sel:BYTE_3 src1_sel:DWORD
	s_mov_b64 s[4:5], 0
                                        ; implicit-def: $sgpr10
	s_and_saveexec_b64 s[8:9], s[6:7]
	s_xor_b64 s[6:7], exec, s[8:9]
	s_cbranch_execnz .LBB34_3069
; %bb.1021:
	s_or_saveexec_b64 s[6:7], s[6:7]
	v_mov_b32_e32 v3, s10
	s_xor_b64 exec, exec, s[6:7]
	s_cbranch_execnz .LBB34_3072
.LBB34_1022:
	s_or_b64 exec, exec, s[6:7]
	s_and_saveexec_b64 s[6:7], s[4:5]
	s_cbranch_execz .LBB34_1024
.LBB34_1023:
	v_bfe_u32 v3, v5, 24, 3
	v_ffbh_u32_e32 v8, v3
	v_min_u32_e32 v8, 32, v8
	v_lshrrev_b32_e32 v6, 27, v5
	v_subrev_u32_e32 v9, 28, v8
	v_and_b32_e32 v4, 0x80000000, v5
	v_and_b32_e32 v6, 15, v6
	v_bfe_u32 v7, v5, 27, 4
	v_lshlrev_b32_sdwa v5, v9, v5 dst_sel:DWORD dst_unused:UNUSED_PAD src0_sel:DWORD src1_sel:BYTE_3
	v_sub_u32_e32 v8, 29, v8
	v_and_b32_e32 v5, 7, v5
	v_cmp_eq_u16_e32 vcc, 0, v6
	v_cndmask_b32_e32 v3, v3, v5, vcc
	v_cndmask_b32_e32 v5, v7, v8, vcc
	v_mov_b32_e32 v6, 0x3b800000
	v_lshlrev_b32_e32 v3, 20, v3
	v_lshl_add_u32 v5, v5, 23, v6
	v_or3_b32 v3, v4, v5, v3
.LBB34_1024:
	s_or_b64 exec, exec, s[6:7]
	s_nop 0
	v_mfma_f32_16x16x4f32 a[0:3], v2, v3, a[0:3]
	s_movk_i32 s4, 0x7f
                                        ; implicit-def: $sgpr10
	s_nop 7
	s_nop 1
	flat_store_dwordx4 v[18:19], a[0:3] offset:816
	flat_load_dwordx4 v[20:23], v[0:1] offset:16
	s_nop 0
	flat_load_dwordx2 v[18:19], v[0:1] offset:32
	s_waitcnt vmcnt(0) lgkmcnt(0)
	flat_load_dwordx4 v[14:17], v[20:21]
	flat_load_dwordx4 v[6:9], v[20:21] offset:16
	flat_load_dwordx4 v[10:13], v[22:23] offset:128
	;; [unrolled: 1-line block ×3, first 2 shown]
	s_waitcnt vmcnt(0) lgkmcnt(0)
	v_cmp_gt_i16_sdwa s[6:7], v14, s4 src0_sel:BYTE_0 src1_sel:DWORD
	s_mov_b64 s[4:5], 0
	s_and_saveexec_b64 s[8:9], s[6:7]
	s_xor_b64 s[6:7], exec, s[8:9]
	s_cbranch_execnz .LBB34_3073
; %bb.1025:
	s_or_saveexec_b64 s[6:7], s[6:7]
	v_mov_b32_e32 v20, s10
	s_xor_b64 exec, exec, s[6:7]
	s_cbranch_execnz .LBB34_3076
.LBB34_1026:
	s_or_b64 exec, exec, s[6:7]
	s_and_saveexec_b64 s[6:7], s[4:5]
	s_cbranch_execz .LBB34_1028
.LBB34_1027:
	v_and_b32_e32 v20, 7, v14
	v_ffbh_u32_e32 v22, v20
	v_min_u32_e32 v22, 32, v22
	v_lshrrev_b16_e32 v21, 3, v14
	v_subrev_u32_e32 v23, 28, v22
	v_and_b32_e32 v21, 15, v21
	v_lshlrev_b32_e32 v23, v23, v14
	v_sub_u32_e32 v22, 29, v22
	v_and_b32_e32 v23, 7, v23
	v_cmp_eq_u16_e32 vcc, 0, v21
	v_cndmask_b32_e32 v20, v20, v23, vcc
	v_cndmask_b32_e32 v21, v21, v22, vcc
	v_lshlrev_b32_e32 v22, 24, v14
	v_mov_b32_e32 v23, 0x3b800000
	v_lshlrev_b32_e32 v20, 20, v20
	v_and_b32_e32 v22, 0x80000000, v22
	v_lshl_add_u32 v21, v21, 23, v23
	v_or3_b32 v20, v22, v21, v20
.LBB34_1028:
	s_or_b64 exec, exec, s[6:7]
	s_movk_i32 s4, 0x7f
	v_cmp_gt_i16_sdwa s[6:7], v10, s4 src0_sel:BYTE_0 src1_sel:DWORD
	s_mov_b64 s[4:5], 0
                                        ; implicit-def: $sgpr10
	s_and_saveexec_b64 s[8:9], s[6:7]
	s_xor_b64 s[6:7], exec, s[8:9]
	s_cbranch_execnz .LBB34_3077
; %bb.1029:
	s_or_saveexec_b64 s[6:7], s[6:7]
	v_mov_b32_e32 v21, s10
	s_xor_b64 exec, exec, s[6:7]
	s_cbranch_execnz .LBB34_3080
.LBB34_1030:
	s_or_b64 exec, exec, s[6:7]
	s_and_saveexec_b64 s[6:7], s[4:5]
	s_cbranch_execz .LBB34_1032
.LBB34_1031:
	v_and_b32_e32 v21, 7, v10
	v_ffbh_u32_e32 v23, v21
	v_min_u32_e32 v23, 32, v23
	v_lshrrev_b16_e32 v22, 3, v10
	v_subrev_u32_e32 v24, 28, v23
	v_and_b32_e32 v22, 15, v22
	v_lshlrev_b32_e32 v24, v24, v10
	v_sub_u32_e32 v23, 29, v23
	v_and_b32_e32 v24, 7, v24
	v_cmp_eq_u16_e32 vcc, 0, v22
	v_cndmask_b32_e32 v21, v21, v24, vcc
	v_cndmask_b32_e32 v22, v22, v23, vcc
	v_lshlrev_b32_e32 v23, 24, v10
	v_mov_b32_e32 v24, 0x3b800000
	v_lshlrev_b32_e32 v21, 20, v21
	v_and_b32_e32 v23, 0x80000000, v23
	v_lshl_add_u32 v22, v22, 23, v24
	v_or3_b32 v21, v23, v22, v21
.LBB34_1032:
	s_or_b64 exec, exec, s[6:7]
	flat_load_dwordx4 a[0:3], v[18:19] offset:832
	s_movk_i32 s4, 0x7f
                                        ; implicit-def: $sgpr10
	s_waitcnt vmcnt(0) lgkmcnt(0)
	v_mfma_f32_16x16x4f32 a[0:3], v20, v21, a[0:3]
	v_lshrrev_b32_e32 v21, 8, v14
	v_cmp_gt_i16_sdwa s[6:7], v21, s4 src0_sel:BYTE_0 src1_sel:DWORD
	s_mov_b64 s[4:5], 0
	s_and_saveexec_b64 s[8:9], s[6:7]
	s_xor_b64 s[6:7], exec, s[8:9]
	s_cbranch_execnz .LBB34_3081
; %bb.1033:
	s_or_saveexec_b64 s[6:7], s[6:7]
	v_mov_b32_e32 v20, s10
	s_xor_b64 exec, exec, s[6:7]
	s_cbranch_execnz .LBB34_3084
.LBB34_1034:
	s_or_b64 exec, exec, s[6:7]
	s_and_saveexec_b64 s[6:7], s[4:5]
	s_cbranch_execz .LBB34_1036
.LBB34_1035:
	v_bfe_u32 v20, v14, 8, 3
	v_ffbh_u32_e32 v23, v20
	v_min_u32_e32 v23, 32, v23
	v_lshrrev_b16_e32 v22, 3, v21
	v_subrev_u32_e32 v24, 28, v23
	v_and_b32_e32 v22, 15, v22
	v_lshlrev_b32_e32 v21, v24, v21
	v_sub_u32_e32 v23, 29, v23
	v_and_b32_e32 v21, 7, v21
	v_cmp_eq_u16_e32 vcc, 0, v22
	v_cndmask_b32_e32 v20, v20, v21, vcc
	v_cndmask_b32_e32 v21, v22, v23, vcc
	v_lshlrev_b32_e32 v22, 16, v14
	v_mov_b32_e32 v23, 0x3b800000
	v_lshlrev_b32_e32 v20, 20, v20
	v_and_b32_e32 v22, 0x80000000, v22
	v_lshl_add_u32 v21, v21, 23, v23
	v_or3_b32 v20, v22, v21, v20
.LBB34_1036:
	s_or_b64 exec, exec, s[6:7]
	v_lshrrev_b32_e32 v21, 8, v10
	s_movk_i32 s4, 0x7f
	v_cmp_gt_i16_sdwa s[6:7], v21, s4 src0_sel:BYTE_0 src1_sel:DWORD
	s_mov_b64 s[4:5], 0
                                        ; implicit-def: $sgpr10
	s_and_saveexec_b64 s[8:9], s[6:7]
	s_xor_b64 s[6:7], exec, s[8:9]
	s_cbranch_execnz .LBB34_3085
; %bb.1037:
	s_or_saveexec_b64 s[6:7], s[6:7]
	v_mov_b32_e32 v22, s10
	s_xor_b64 exec, exec, s[6:7]
	s_cbranch_execnz .LBB34_3088
.LBB34_1038:
	s_or_b64 exec, exec, s[6:7]
	s_and_saveexec_b64 s[6:7], s[4:5]
	s_cbranch_execz .LBB34_1040
.LBB34_1039:
	v_bfe_u32 v22, v10, 8, 3
	v_ffbh_u32_e32 v24, v22
	v_min_u32_e32 v24, 32, v24
	v_lshrrev_b16_e32 v23, 3, v21
	v_subrev_u32_e32 v25, 28, v24
	v_and_b32_e32 v23, 15, v23
	v_lshlrev_b32_e32 v21, v25, v21
	v_sub_u32_e32 v24, 29, v24
	v_and_b32_e32 v21, 7, v21
	v_cmp_eq_u16_e32 vcc, 0, v23
	v_cndmask_b32_e32 v21, v22, v21, vcc
	v_cndmask_b32_e32 v22, v23, v24, vcc
	v_lshlrev_b32_e32 v23, 16, v10
	v_mov_b32_e32 v24, 0x3b800000
	v_lshlrev_b32_e32 v21, 20, v21
	v_and_b32_e32 v23, 0x80000000, v23
	v_lshl_add_u32 v22, v22, 23, v24
	v_or3_b32 v22, v23, v22, v21
.LBB34_1040:
	s_or_b64 exec, exec, s[6:7]
	s_nop 0
	v_mfma_f32_16x16x4f32 a[0:3], v20, v22, a[0:3]
	s_movk_i32 s4, 0xff
	v_and_b32_sdwa v21, v14, s4 dst_sel:DWORD dst_unused:UNUSED_PAD src0_sel:WORD_1 src1_sel:DWORD
	s_movk_i32 s4, 0x7f
	v_cmp_lt_i16_e32 vcc, s4, v21
	s_mov_b64 s[4:5], 0
                                        ; implicit-def: $sgpr10
	s_and_saveexec_b64 s[6:7], vcc
	s_xor_b64 s[6:7], exec, s[6:7]
	s_cbranch_execnz .LBB34_3089
; %bb.1041:
	s_or_saveexec_b64 s[6:7], s[6:7]
	v_mov_b32_e32 v20, s10
	s_xor_b64 exec, exec, s[6:7]
	s_cbranch_execnz .LBB34_3092
.LBB34_1042:
	s_or_b64 exec, exec, s[6:7]
	s_and_saveexec_b64 s[6:7], s[4:5]
	s_cbranch_execz .LBB34_1044
.LBB34_1043:
	v_bfe_u32 v20, v14, 16, 3
	v_ffbh_u32_e32 v23, v20
	v_min_u32_e32 v23, 32, v23
	v_lshrrev_b32_e32 v21, 19, v14
	v_subrev_u32_e32 v24, 28, v23
	v_and_b32_e32 v21, 15, v21
	v_lshlrev_b32_sdwa v24, v24, v14 dst_sel:DWORD dst_unused:UNUSED_PAD src0_sel:DWORD src1_sel:WORD_1
	v_bfe_u32 v22, v14, 19, 4
	v_sub_u32_e32 v23, 29, v23
	v_and_b32_e32 v24, 7, v24
	v_cmp_eq_u16_e32 vcc, 0, v21
	v_cndmask_b32_e32 v20, v20, v24, vcc
	v_cndmask_b32_e32 v21, v22, v23, vcc
	v_lshlrev_b32_e32 v22, 8, v14
	v_mov_b32_e32 v23, 0x3b800000
	v_lshlrev_b32_e32 v20, 20, v20
	v_and_b32_e32 v22, 0x80000000, v22
	v_lshl_add_u32 v21, v21, 23, v23
	v_or3_b32 v20, v22, v21, v20
.LBB34_1044:
	s_or_b64 exec, exec, s[6:7]
	s_movk_i32 s4, 0xff
	v_and_b32_sdwa v21, v10, s4 dst_sel:DWORD dst_unused:UNUSED_PAD src0_sel:WORD_1 src1_sel:DWORD
	s_movk_i32 s4, 0x7f
	v_cmp_lt_i16_e32 vcc, s4, v21
	s_mov_b64 s[4:5], 0
                                        ; implicit-def: $sgpr10
	s_and_saveexec_b64 s[6:7], vcc
	s_xor_b64 s[6:7], exec, s[6:7]
	s_cbranch_execnz .LBB34_3093
; %bb.1045:
	s_or_saveexec_b64 s[6:7], s[6:7]
	v_mov_b32_e32 v22, s10
	s_xor_b64 exec, exec, s[6:7]
	s_cbranch_execnz .LBB34_3096
.LBB34_1046:
	s_or_b64 exec, exec, s[6:7]
	s_and_saveexec_b64 s[6:7], s[4:5]
	s_cbranch_execz .LBB34_1048
.LBB34_1047:
	v_bfe_u32 v21, v10, 16, 3
	v_ffbh_u32_e32 v24, v21
	v_min_u32_e32 v24, 32, v24
	v_lshrrev_b32_e32 v22, 19, v10
	v_subrev_u32_e32 v25, 28, v24
	v_and_b32_e32 v22, 15, v22
	v_lshlrev_b32_sdwa v25, v25, v10 dst_sel:DWORD dst_unused:UNUSED_PAD src0_sel:DWORD src1_sel:WORD_1
	v_bfe_u32 v23, v10, 19, 4
	v_sub_u32_e32 v24, 29, v24
	v_and_b32_e32 v25, 7, v25
	v_cmp_eq_u16_e32 vcc, 0, v22
	v_cndmask_b32_e32 v21, v21, v25, vcc
	v_cndmask_b32_e32 v22, v23, v24, vcc
	v_lshlrev_b32_e32 v23, 8, v10
	v_mov_b32_e32 v24, 0x3b800000
	v_lshlrev_b32_e32 v21, 20, v21
	v_and_b32_e32 v23, 0x80000000, v23
	v_lshl_add_u32 v22, v22, 23, v24
	v_or3_b32 v22, v23, v22, v21
.LBB34_1048:
	s_or_b64 exec, exec, s[6:7]
	s_nop 0
	v_mfma_f32_16x16x4f32 a[0:3], v20, v22, a[0:3]
	s_movk_i32 s4, 0x7f
	v_cmp_gt_i16_sdwa s[6:7], v14, s4 src0_sel:BYTE_3 src1_sel:DWORD
	s_mov_b64 s[4:5], 0
                                        ; implicit-def: $sgpr10
	s_and_saveexec_b64 s[8:9], s[6:7]
	s_xor_b64 s[6:7], exec, s[8:9]
	s_cbranch_execnz .LBB34_3097
; %bb.1049:
	s_or_saveexec_b64 s[6:7], s[6:7]
	v_mov_b32_e32 v20, s10
	s_xor_b64 exec, exec, s[6:7]
	s_cbranch_execnz .LBB34_3100
.LBB34_1050:
	s_or_b64 exec, exec, s[6:7]
	s_and_saveexec_b64 s[6:7], s[4:5]
	s_cbranch_execz .LBB34_1052
.LBB34_1051:
	v_bfe_u32 v20, v14, 24, 3
	v_ffbh_u32_e32 v24, v20
	v_min_u32_e32 v24, 32, v24
	v_lshrrev_b32_e32 v22, 27, v14
	v_subrev_u32_e32 v25, 28, v24
	v_and_b32_e32 v21, 0x80000000, v14
	v_and_b32_e32 v22, 15, v22
	v_bfe_u32 v23, v14, 27, 4
	v_lshlrev_b32_sdwa v14, v25, v14 dst_sel:DWORD dst_unused:UNUSED_PAD src0_sel:DWORD src1_sel:BYTE_3
	v_sub_u32_e32 v24, 29, v24
	v_and_b32_e32 v14, 7, v14
	v_cmp_eq_u16_e32 vcc, 0, v22
	v_cndmask_b32_e32 v14, v20, v14, vcc
	v_cndmask_b32_e32 v20, v23, v24, vcc
	v_mov_b32_e32 v22, 0x3b800000
	v_lshlrev_b32_e32 v14, 20, v14
	v_lshl_add_u32 v20, v20, 23, v22
	v_or3_b32 v20, v21, v20, v14
.LBB34_1052:
	s_or_b64 exec, exec, s[6:7]
	s_movk_i32 s4, 0x7f
	v_cmp_gt_i16_sdwa s[6:7], v10, s4 src0_sel:BYTE_3 src1_sel:DWORD
	s_mov_b64 s[4:5], 0
                                        ; implicit-def: $sgpr10
	s_and_saveexec_b64 s[8:9], s[6:7]
	s_xor_b64 s[6:7], exec, s[8:9]
	s_cbranch_execnz .LBB34_3101
; %bb.1053:
	s_or_saveexec_b64 s[6:7], s[6:7]
	v_mov_b32_e32 v14, s10
	s_xor_b64 exec, exec, s[6:7]
	s_cbranch_execnz .LBB34_3104
.LBB34_1054:
	s_or_b64 exec, exec, s[6:7]
	s_and_saveexec_b64 s[6:7], s[4:5]
	s_cbranch_execz .LBB34_1056
.LBB34_1055:
	v_bfe_u32 v14, v10, 24, 3
	v_ffbh_u32_e32 v24, v14
	v_min_u32_e32 v24, 32, v24
	v_lshrrev_b32_e32 v22, 27, v10
	v_subrev_u32_e32 v25, 28, v24
	v_and_b32_e32 v21, 0x80000000, v10
	v_and_b32_e32 v22, 15, v22
	v_bfe_u32 v23, v10, 27, 4
	v_lshlrev_b32_sdwa v10, v25, v10 dst_sel:DWORD dst_unused:UNUSED_PAD src0_sel:DWORD src1_sel:BYTE_3
	v_sub_u32_e32 v24, 29, v24
	v_and_b32_e32 v10, 7, v10
	v_cmp_eq_u16_e32 vcc, 0, v22
	v_cndmask_b32_e32 v10, v14, v10, vcc
	v_cndmask_b32_e32 v14, v23, v24, vcc
	v_mov_b32_e32 v22, 0x3b800000
	v_lshlrev_b32_e32 v10, 20, v10
	v_lshl_add_u32 v14, v14, 23, v22
	v_or3_b32 v14, v21, v14, v10
.LBB34_1056:
	s_or_b64 exec, exec, s[6:7]
	s_nop 0
	v_mfma_f32_16x16x4f32 a[0:3], v20, v14, a[0:3]
	s_movk_i32 s4, 0x7f
	v_cmp_gt_i16_sdwa s[6:7], v15, s4 src0_sel:BYTE_0 src1_sel:DWORD
	s_mov_b64 s[4:5], 0
                                        ; implicit-def: $sgpr10
	s_and_saveexec_b64 s[8:9], s[6:7]
	s_xor_b64 s[6:7], exec, s[8:9]
	s_cbranch_execnz .LBB34_3105
; %bb.1057:
	s_or_saveexec_b64 s[6:7], s[6:7]
	v_mov_b32_e32 v10, s10
	s_xor_b64 exec, exec, s[6:7]
	s_cbranch_execnz .LBB34_3108
.LBB34_1058:
	s_or_b64 exec, exec, s[6:7]
	s_and_saveexec_b64 s[6:7], s[4:5]
	s_cbranch_execz .LBB34_1060
.LBB34_1059:
	v_and_b32_e32 v10, 7, v15
	v_ffbh_u32_e32 v20, v10
	v_min_u32_e32 v20, 32, v20
	v_lshrrev_b16_e32 v14, 3, v15
	v_subrev_u32_e32 v21, 28, v20
	v_and_b32_e32 v14, 15, v14
	v_lshlrev_b32_e32 v21, v21, v15
	v_sub_u32_e32 v20, 29, v20
	v_and_b32_e32 v21, 7, v21
	v_cmp_eq_u16_e32 vcc, 0, v14
	v_cndmask_b32_e32 v10, v10, v21, vcc
	v_cndmask_b32_e32 v14, v14, v20, vcc
	v_lshlrev_b32_e32 v20, 24, v15
	v_mov_b32_e32 v21, 0x3b800000
	v_lshlrev_b32_e32 v10, 20, v10
	v_and_b32_e32 v20, 0x80000000, v20
	v_lshl_add_u32 v14, v14, 23, v21
	v_or3_b32 v10, v20, v14, v10
.LBB34_1060:
	s_or_b64 exec, exec, s[6:7]
	s_movk_i32 s4, 0x7f
	v_cmp_gt_i16_sdwa s[6:7], v11, s4 src0_sel:BYTE_0 src1_sel:DWORD
	s_mov_b64 s[4:5], 0
                                        ; implicit-def: $sgpr10
	s_and_saveexec_b64 s[8:9], s[6:7]
	s_xor_b64 s[6:7], exec, s[8:9]
	s_cbranch_execnz .LBB34_3109
; %bb.1061:
	s_or_saveexec_b64 s[6:7], s[6:7]
	v_mov_b32_e32 v14, s10
	s_xor_b64 exec, exec, s[6:7]
	s_cbranch_execnz .LBB34_3112
.LBB34_1062:
	s_or_b64 exec, exec, s[6:7]
	s_and_saveexec_b64 s[6:7], s[4:5]
	s_cbranch_execz .LBB34_1064
.LBB34_1063:
	v_and_b32_e32 v14, 7, v11
	v_ffbh_u32_e32 v21, v14
	v_min_u32_e32 v21, 32, v21
	v_lshrrev_b16_e32 v20, 3, v11
	v_subrev_u32_e32 v22, 28, v21
	v_and_b32_e32 v20, 15, v20
	v_lshlrev_b32_e32 v22, v22, v11
	v_sub_u32_e32 v21, 29, v21
	v_and_b32_e32 v22, 7, v22
	v_cmp_eq_u16_e32 vcc, 0, v20
	v_cndmask_b32_e32 v14, v14, v22, vcc
	v_cndmask_b32_e32 v20, v20, v21, vcc
	v_lshlrev_b32_e32 v21, 24, v11
	v_mov_b32_e32 v22, 0x3b800000
	v_lshlrev_b32_e32 v14, 20, v14
	v_and_b32_e32 v21, 0x80000000, v21
	v_lshl_add_u32 v20, v20, 23, v22
	v_or3_b32 v14, v21, v20, v14
.LBB34_1064:
	s_or_b64 exec, exec, s[6:7]
	s_nop 0
	v_mfma_f32_16x16x4f32 a[0:3], v10, v14, a[0:3]
	v_lshrrev_b32_e32 v14, 8, v15
	s_movk_i32 s4, 0x7f
	v_cmp_gt_i16_sdwa s[6:7], v14, s4 src0_sel:BYTE_0 src1_sel:DWORD
	s_mov_b64 s[4:5], 0
                                        ; implicit-def: $sgpr10
	s_and_saveexec_b64 s[8:9], s[6:7]
	s_xor_b64 s[6:7], exec, s[8:9]
	s_cbranch_execnz .LBB34_3113
; %bb.1065:
	s_or_saveexec_b64 s[6:7], s[6:7]
	v_mov_b32_e32 v10, s10
	s_xor_b64 exec, exec, s[6:7]
	s_cbranch_execnz .LBB34_3116
.LBB34_1066:
	s_or_b64 exec, exec, s[6:7]
	s_and_saveexec_b64 s[6:7], s[4:5]
	s_cbranch_execz .LBB34_1068
.LBB34_1067:
	v_bfe_u32 v10, v15, 8, 3
	v_ffbh_u32_e32 v21, v10
	v_min_u32_e32 v21, 32, v21
	v_lshrrev_b16_e32 v20, 3, v14
	v_subrev_u32_e32 v22, 28, v21
	v_and_b32_e32 v20, 15, v20
	v_lshlrev_b32_e32 v14, v22, v14
	v_sub_u32_e32 v21, 29, v21
	v_and_b32_e32 v14, 7, v14
	v_cmp_eq_u16_e32 vcc, 0, v20
	v_cndmask_b32_e32 v10, v10, v14, vcc
	v_cndmask_b32_e32 v14, v20, v21, vcc
	v_lshlrev_b32_e32 v20, 16, v15
	v_mov_b32_e32 v21, 0x3b800000
	v_lshlrev_b32_e32 v10, 20, v10
	v_and_b32_e32 v20, 0x80000000, v20
	v_lshl_add_u32 v14, v14, 23, v21
	v_or3_b32 v10, v20, v14, v10
.LBB34_1068:
	s_or_b64 exec, exec, s[6:7]
	v_lshrrev_b32_e32 v14, 8, v11
	s_movk_i32 s4, 0x7f
	v_cmp_gt_i16_sdwa s[6:7], v14, s4 src0_sel:BYTE_0 src1_sel:DWORD
	s_mov_b64 s[4:5], 0
                                        ; implicit-def: $sgpr10
	s_and_saveexec_b64 s[8:9], s[6:7]
	s_xor_b64 s[6:7], exec, s[8:9]
	s_cbranch_execnz .LBB34_3117
; %bb.1069:
	s_or_saveexec_b64 s[6:7], s[6:7]
	v_mov_b32_e32 v20, s10
	s_xor_b64 exec, exec, s[6:7]
	s_cbranch_execnz .LBB34_3120
.LBB34_1070:
	s_or_b64 exec, exec, s[6:7]
	s_and_saveexec_b64 s[6:7], s[4:5]
	s_cbranch_execz .LBB34_1072
.LBB34_1071:
	v_bfe_u32 v20, v11, 8, 3
	v_ffbh_u32_e32 v22, v20
	v_min_u32_e32 v22, 32, v22
	v_lshrrev_b16_e32 v21, 3, v14
	v_subrev_u32_e32 v23, 28, v22
	v_and_b32_e32 v21, 15, v21
	v_lshlrev_b32_e32 v14, v23, v14
	v_sub_u32_e32 v22, 29, v22
	v_and_b32_e32 v14, 7, v14
	v_cmp_eq_u16_e32 vcc, 0, v21
	v_cndmask_b32_e32 v14, v20, v14, vcc
	v_cndmask_b32_e32 v20, v21, v22, vcc
	v_lshlrev_b32_e32 v21, 16, v11
	v_mov_b32_e32 v22, 0x3b800000
	v_lshlrev_b32_e32 v14, 20, v14
	v_and_b32_e32 v21, 0x80000000, v21
	v_lshl_add_u32 v20, v20, 23, v22
	v_or3_b32 v20, v21, v20, v14
.LBB34_1072:
	s_or_b64 exec, exec, s[6:7]
	s_nop 0
	v_mfma_f32_16x16x4f32 a[0:3], v10, v20, a[0:3]
	s_movk_i32 s4, 0xff
	v_and_b32_sdwa v14, v15, s4 dst_sel:DWORD dst_unused:UNUSED_PAD src0_sel:WORD_1 src1_sel:DWORD
	s_movk_i32 s4, 0x7f
	v_cmp_lt_i16_e32 vcc, s4, v14
	s_mov_b64 s[4:5], 0
                                        ; implicit-def: $sgpr10
	s_and_saveexec_b64 s[6:7], vcc
	s_xor_b64 s[6:7], exec, s[6:7]
	s_cbranch_execnz .LBB34_3121
; %bb.1073:
	s_or_saveexec_b64 s[6:7], s[6:7]
	v_mov_b32_e32 v10, s10
	s_xor_b64 exec, exec, s[6:7]
	s_cbranch_execnz .LBB34_3124
.LBB34_1074:
	s_or_b64 exec, exec, s[6:7]
	s_and_saveexec_b64 s[6:7], s[4:5]
	s_cbranch_execz .LBB34_1076
.LBB34_1075:
	v_bfe_u32 v10, v15, 16, 3
	v_ffbh_u32_e32 v21, v10
	v_min_u32_e32 v21, 32, v21
	v_lshrrev_b32_e32 v14, 19, v15
	v_subrev_u32_e32 v22, 28, v21
	v_and_b32_e32 v14, 15, v14
	v_lshlrev_b32_sdwa v22, v22, v15 dst_sel:DWORD dst_unused:UNUSED_PAD src0_sel:DWORD src1_sel:WORD_1
	v_bfe_u32 v20, v15, 19, 4
	v_sub_u32_e32 v21, 29, v21
	v_and_b32_e32 v22, 7, v22
	v_cmp_eq_u16_e32 vcc, 0, v14
	v_cndmask_b32_e32 v10, v10, v22, vcc
	v_cndmask_b32_e32 v14, v20, v21, vcc
	v_lshlrev_b32_e32 v20, 8, v15
	v_mov_b32_e32 v21, 0x3b800000
	v_lshlrev_b32_e32 v10, 20, v10
	v_and_b32_e32 v20, 0x80000000, v20
	v_lshl_add_u32 v14, v14, 23, v21
	v_or3_b32 v10, v20, v14, v10
.LBB34_1076:
	s_or_b64 exec, exec, s[6:7]
	s_movk_i32 s4, 0xff
	v_and_b32_sdwa v14, v11, s4 dst_sel:DWORD dst_unused:UNUSED_PAD src0_sel:WORD_1 src1_sel:DWORD
	s_movk_i32 s4, 0x7f
	v_cmp_lt_i16_e32 vcc, s4, v14
	s_mov_b64 s[4:5], 0
                                        ; implicit-def: $sgpr10
	s_and_saveexec_b64 s[6:7], vcc
	s_xor_b64 s[6:7], exec, s[6:7]
	s_cbranch_execnz .LBB34_3125
; %bb.1077:
	s_or_saveexec_b64 s[6:7], s[6:7]
	v_mov_b32_e32 v20, s10
	s_xor_b64 exec, exec, s[6:7]
	s_cbranch_execnz .LBB34_3128
.LBB34_1078:
	s_or_b64 exec, exec, s[6:7]
	s_and_saveexec_b64 s[6:7], s[4:5]
	s_cbranch_execz .LBB34_1080
.LBB34_1079:
	v_bfe_u32 v14, v11, 16, 3
	v_ffbh_u32_e32 v22, v14
	v_min_u32_e32 v22, 32, v22
	v_lshrrev_b32_e32 v20, 19, v11
	v_subrev_u32_e32 v23, 28, v22
	v_and_b32_e32 v20, 15, v20
	v_lshlrev_b32_sdwa v23, v23, v11 dst_sel:DWORD dst_unused:UNUSED_PAD src0_sel:DWORD src1_sel:WORD_1
	v_bfe_u32 v21, v11, 19, 4
	v_sub_u32_e32 v22, 29, v22
	v_and_b32_e32 v23, 7, v23
	v_cmp_eq_u16_e32 vcc, 0, v20
	v_cndmask_b32_e32 v14, v14, v23, vcc
	v_cndmask_b32_e32 v20, v21, v22, vcc
	v_lshlrev_b32_e32 v21, 8, v11
	v_mov_b32_e32 v22, 0x3b800000
	v_lshlrev_b32_e32 v14, 20, v14
	v_and_b32_e32 v21, 0x80000000, v21
	v_lshl_add_u32 v20, v20, 23, v22
	v_or3_b32 v20, v21, v20, v14
.LBB34_1080:
	s_or_b64 exec, exec, s[6:7]
	s_nop 0
	v_mfma_f32_16x16x4f32 a[0:3], v10, v20, a[0:3]
	s_movk_i32 s4, 0x7f
	v_cmp_gt_i16_sdwa s[6:7], v15, s4 src0_sel:BYTE_3 src1_sel:DWORD
	s_mov_b64 s[4:5], 0
                                        ; implicit-def: $sgpr10
	s_and_saveexec_b64 s[8:9], s[6:7]
	s_xor_b64 s[6:7], exec, s[8:9]
	s_cbranch_execnz .LBB34_3129
; %bb.1081:
	s_or_saveexec_b64 s[6:7], s[6:7]
	v_mov_b32_e32 v10, s10
	s_xor_b64 exec, exec, s[6:7]
	s_cbranch_execnz .LBB34_3132
.LBB34_1082:
	s_or_b64 exec, exec, s[6:7]
	s_and_saveexec_b64 s[6:7], s[4:5]
	s_cbranch_execz .LBB34_1084
.LBB34_1083:
	v_bfe_u32 v10, v15, 24, 3
	v_ffbh_u32_e32 v22, v10
	v_min_u32_e32 v22, 32, v22
	v_lshrrev_b32_e32 v20, 27, v15
	v_subrev_u32_e32 v23, 28, v22
	v_and_b32_e32 v14, 0x80000000, v15
	v_and_b32_e32 v20, 15, v20
	v_bfe_u32 v21, v15, 27, 4
	v_lshlrev_b32_sdwa v15, v23, v15 dst_sel:DWORD dst_unused:UNUSED_PAD src0_sel:DWORD src1_sel:BYTE_3
	v_sub_u32_e32 v22, 29, v22
	v_and_b32_e32 v15, 7, v15
	v_cmp_eq_u16_e32 vcc, 0, v20
	v_cndmask_b32_e32 v10, v10, v15, vcc
	v_cndmask_b32_e32 v15, v21, v22, vcc
	v_mov_b32_e32 v20, 0x3b800000
	v_lshlrev_b32_e32 v10, 20, v10
	v_lshl_add_u32 v15, v15, 23, v20
	v_or3_b32 v10, v14, v15, v10
.LBB34_1084:
	s_or_b64 exec, exec, s[6:7]
	s_movk_i32 s4, 0x7f
	v_cmp_gt_i16_sdwa s[6:7], v11, s4 src0_sel:BYTE_3 src1_sel:DWORD
	s_mov_b64 s[4:5], 0
                                        ; implicit-def: $sgpr10
	s_and_saveexec_b64 s[8:9], s[6:7]
	s_xor_b64 s[6:7], exec, s[8:9]
	s_cbranch_execnz .LBB34_3133
; %bb.1085:
	s_or_saveexec_b64 s[6:7], s[6:7]
	v_mov_b32_e32 v14, s10
	s_xor_b64 exec, exec, s[6:7]
	s_cbranch_execnz .LBB34_3136
.LBB34_1086:
	s_or_b64 exec, exec, s[6:7]
	s_and_saveexec_b64 s[6:7], s[4:5]
	s_cbranch_execz .LBB34_1088
.LBB34_1087:
	v_bfe_u32 v14, v11, 24, 3
	v_ffbh_u32_e32 v22, v14
	v_min_u32_e32 v22, 32, v22
	v_lshrrev_b32_e32 v20, 27, v11
	v_subrev_u32_e32 v23, 28, v22
	v_and_b32_e32 v15, 0x80000000, v11
	v_and_b32_e32 v20, 15, v20
	v_bfe_u32 v21, v11, 27, 4
	v_lshlrev_b32_sdwa v11, v23, v11 dst_sel:DWORD dst_unused:UNUSED_PAD src0_sel:DWORD src1_sel:BYTE_3
	v_sub_u32_e32 v22, 29, v22
	v_and_b32_e32 v11, 7, v11
	v_cmp_eq_u16_e32 vcc, 0, v20
	v_cndmask_b32_e32 v11, v14, v11, vcc
	v_cndmask_b32_e32 v14, v21, v22, vcc
	v_mov_b32_e32 v20, 0x3b800000
	v_lshlrev_b32_e32 v11, 20, v11
	v_lshl_add_u32 v14, v14, 23, v20
	v_or3_b32 v14, v15, v14, v11
.LBB34_1088:
	s_or_b64 exec, exec, s[6:7]
	s_nop 0
	v_mfma_f32_16x16x4f32 a[0:3], v10, v14, a[0:3]
	s_movk_i32 s4, 0x7f
	v_cmp_gt_i16_sdwa s[6:7], v16, s4 src0_sel:BYTE_0 src1_sel:DWORD
	s_mov_b64 s[4:5], 0
                                        ; implicit-def: $sgpr10
	s_and_saveexec_b64 s[8:9], s[6:7]
	s_xor_b64 s[6:7], exec, s[8:9]
	s_cbranch_execnz .LBB34_3137
; %bb.1089:
	s_or_saveexec_b64 s[6:7], s[6:7]
	v_mov_b32_e32 v10, s10
	s_xor_b64 exec, exec, s[6:7]
	s_cbranch_execnz .LBB34_3140
.LBB34_1090:
	s_or_b64 exec, exec, s[6:7]
	s_and_saveexec_b64 s[6:7], s[4:5]
	s_cbranch_execz .LBB34_1092
.LBB34_1091:
	v_and_b32_e32 v10, 7, v16
	v_ffbh_u32_e32 v14, v10
	v_min_u32_e32 v14, 32, v14
	v_lshrrev_b16_e32 v11, 3, v16
	v_subrev_u32_e32 v15, 28, v14
	v_and_b32_e32 v11, 15, v11
	v_lshlrev_b32_e32 v15, v15, v16
	v_sub_u32_e32 v14, 29, v14
	v_and_b32_e32 v15, 7, v15
	v_cmp_eq_u16_e32 vcc, 0, v11
	v_cndmask_b32_e32 v10, v10, v15, vcc
	v_cndmask_b32_e32 v11, v11, v14, vcc
	v_lshlrev_b32_e32 v14, 24, v16
	v_mov_b32_e32 v15, 0x3b800000
	v_lshlrev_b32_e32 v10, 20, v10
	v_and_b32_e32 v14, 0x80000000, v14
	v_lshl_add_u32 v11, v11, 23, v15
	v_or3_b32 v10, v14, v11, v10
.LBB34_1092:
	s_or_b64 exec, exec, s[6:7]
	s_movk_i32 s4, 0x7f
	v_cmp_gt_i16_sdwa s[6:7], v12, s4 src0_sel:BYTE_0 src1_sel:DWORD
	s_mov_b64 s[4:5], 0
                                        ; implicit-def: $sgpr10
	s_and_saveexec_b64 s[8:9], s[6:7]
	s_xor_b64 s[6:7], exec, s[8:9]
	s_cbranch_execnz .LBB34_3141
; %bb.1093:
	s_or_saveexec_b64 s[6:7], s[6:7]
	v_mov_b32_e32 v11, s10
	s_xor_b64 exec, exec, s[6:7]
	s_cbranch_execnz .LBB34_3144
.LBB34_1094:
	s_or_b64 exec, exec, s[6:7]
	s_and_saveexec_b64 s[6:7], s[4:5]
	s_cbranch_execz .LBB34_1096
.LBB34_1095:
	v_and_b32_e32 v11, 7, v12
	v_ffbh_u32_e32 v15, v11
	v_min_u32_e32 v15, 32, v15
	v_lshrrev_b16_e32 v14, 3, v12
	v_subrev_u32_e32 v20, 28, v15
	v_and_b32_e32 v14, 15, v14
	v_lshlrev_b32_e32 v20, v20, v12
	v_sub_u32_e32 v15, 29, v15
	v_and_b32_e32 v20, 7, v20
	v_cmp_eq_u16_e32 vcc, 0, v14
	v_cndmask_b32_e32 v11, v11, v20, vcc
	v_cndmask_b32_e32 v14, v14, v15, vcc
	v_lshlrev_b32_e32 v15, 24, v12
	v_mov_b32_e32 v20, 0x3b800000
	v_lshlrev_b32_e32 v11, 20, v11
	v_and_b32_e32 v15, 0x80000000, v15
	v_lshl_add_u32 v14, v14, 23, v20
	v_or3_b32 v11, v15, v14, v11
.LBB34_1096:
	s_or_b64 exec, exec, s[6:7]
	s_nop 0
	v_mfma_f32_16x16x4f32 a[0:3], v10, v11, a[0:3]
	v_lshrrev_b32_e32 v11, 8, v16
	s_movk_i32 s4, 0x7f
	v_cmp_gt_i16_sdwa s[6:7], v11, s4 src0_sel:BYTE_0 src1_sel:DWORD
	s_mov_b64 s[4:5], 0
                                        ; implicit-def: $sgpr10
	s_and_saveexec_b64 s[8:9], s[6:7]
	s_xor_b64 s[6:7], exec, s[8:9]
	s_cbranch_execnz .LBB34_3145
; %bb.1097:
	s_or_saveexec_b64 s[6:7], s[6:7]
	v_mov_b32_e32 v10, s10
	s_xor_b64 exec, exec, s[6:7]
	s_cbranch_execnz .LBB34_3148
.LBB34_1098:
	s_or_b64 exec, exec, s[6:7]
	s_and_saveexec_b64 s[6:7], s[4:5]
	s_cbranch_execz .LBB34_1100
.LBB34_1099:
	v_bfe_u32 v10, v16, 8, 3
	v_ffbh_u32_e32 v15, v10
	v_min_u32_e32 v15, 32, v15
	v_lshrrev_b16_e32 v14, 3, v11
	v_subrev_u32_e32 v20, 28, v15
	v_and_b32_e32 v14, 15, v14
	v_lshlrev_b32_e32 v11, v20, v11
	v_sub_u32_e32 v15, 29, v15
	v_and_b32_e32 v11, 7, v11
	v_cmp_eq_u16_e32 vcc, 0, v14
	v_cndmask_b32_e32 v10, v10, v11, vcc
	v_cndmask_b32_e32 v11, v14, v15, vcc
	v_lshlrev_b32_e32 v14, 16, v16
	v_mov_b32_e32 v15, 0x3b800000
	v_lshlrev_b32_e32 v10, 20, v10
	v_and_b32_e32 v14, 0x80000000, v14
	v_lshl_add_u32 v11, v11, 23, v15
	v_or3_b32 v10, v14, v11, v10
.LBB34_1100:
	s_or_b64 exec, exec, s[6:7]
	v_lshrrev_b32_e32 v11, 8, v12
	s_movk_i32 s4, 0x7f
	v_cmp_gt_i16_sdwa s[6:7], v11, s4 src0_sel:BYTE_0 src1_sel:DWORD
	s_mov_b64 s[4:5], 0
                                        ; implicit-def: $sgpr10
	s_and_saveexec_b64 s[8:9], s[6:7]
	s_xor_b64 s[6:7], exec, s[8:9]
	s_cbranch_execnz .LBB34_3149
; %bb.1101:
	s_or_saveexec_b64 s[6:7], s[6:7]
	v_mov_b32_e32 v14, s10
	s_xor_b64 exec, exec, s[6:7]
	s_cbranch_execnz .LBB34_3152
.LBB34_1102:
	s_or_b64 exec, exec, s[6:7]
	s_and_saveexec_b64 s[6:7], s[4:5]
	s_cbranch_execz .LBB34_1104
.LBB34_1103:
	v_bfe_u32 v14, v12, 8, 3
	v_ffbh_u32_e32 v20, v14
	v_min_u32_e32 v20, 32, v20
	v_lshrrev_b16_e32 v15, 3, v11
	v_subrev_u32_e32 v21, 28, v20
	v_and_b32_e32 v15, 15, v15
	v_lshlrev_b32_e32 v11, v21, v11
	v_sub_u32_e32 v20, 29, v20
	v_and_b32_e32 v11, 7, v11
	v_cmp_eq_u16_e32 vcc, 0, v15
	v_cndmask_b32_e32 v11, v14, v11, vcc
	v_cndmask_b32_e32 v14, v15, v20, vcc
	v_lshlrev_b32_e32 v15, 16, v12
	v_mov_b32_e32 v20, 0x3b800000
	v_lshlrev_b32_e32 v11, 20, v11
	v_and_b32_e32 v15, 0x80000000, v15
	v_lshl_add_u32 v14, v14, 23, v20
	v_or3_b32 v14, v15, v14, v11
.LBB34_1104:
	s_or_b64 exec, exec, s[6:7]
	s_nop 0
	v_mfma_f32_16x16x4f32 a[0:3], v10, v14, a[0:3]
	s_movk_i32 s4, 0xff
	v_and_b32_sdwa v11, v16, s4 dst_sel:DWORD dst_unused:UNUSED_PAD src0_sel:WORD_1 src1_sel:DWORD
	s_movk_i32 s4, 0x7f
	v_cmp_lt_i16_e32 vcc, s4, v11
	s_mov_b64 s[4:5], 0
                                        ; implicit-def: $sgpr10
	s_and_saveexec_b64 s[6:7], vcc
	s_xor_b64 s[6:7], exec, s[6:7]
	s_cbranch_execnz .LBB34_3153
; %bb.1105:
	s_or_saveexec_b64 s[6:7], s[6:7]
	v_mov_b32_e32 v10, s10
	s_xor_b64 exec, exec, s[6:7]
	s_cbranch_execnz .LBB34_3156
.LBB34_1106:
	s_or_b64 exec, exec, s[6:7]
	s_and_saveexec_b64 s[6:7], s[4:5]
	s_cbranch_execz .LBB34_1108
.LBB34_1107:
	v_bfe_u32 v10, v16, 16, 3
	v_ffbh_u32_e32 v15, v10
	v_min_u32_e32 v15, 32, v15
	v_lshrrev_b32_e32 v11, 19, v16
	v_subrev_u32_e32 v20, 28, v15
	v_and_b32_e32 v11, 15, v11
	v_lshlrev_b32_sdwa v20, v20, v16 dst_sel:DWORD dst_unused:UNUSED_PAD src0_sel:DWORD src1_sel:WORD_1
	v_bfe_u32 v14, v16, 19, 4
	v_sub_u32_e32 v15, 29, v15
	v_and_b32_e32 v20, 7, v20
	v_cmp_eq_u16_e32 vcc, 0, v11
	v_cndmask_b32_e32 v10, v10, v20, vcc
	v_cndmask_b32_e32 v11, v14, v15, vcc
	v_lshlrev_b32_e32 v14, 8, v16
	v_mov_b32_e32 v15, 0x3b800000
	v_lshlrev_b32_e32 v10, 20, v10
	v_and_b32_e32 v14, 0x80000000, v14
	v_lshl_add_u32 v11, v11, 23, v15
	v_or3_b32 v10, v14, v11, v10
.LBB34_1108:
	s_or_b64 exec, exec, s[6:7]
	s_movk_i32 s4, 0xff
	v_and_b32_sdwa v11, v12, s4 dst_sel:DWORD dst_unused:UNUSED_PAD src0_sel:WORD_1 src1_sel:DWORD
	s_movk_i32 s4, 0x7f
	v_cmp_lt_i16_e32 vcc, s4, v11
	s_mov_b64 s[4:5], 0
                                        ; implicit-def: $sgpr10
	s_and_saveexec_b64 s[6:7], vcc
	s_xor_b64 s[6:7], exec, s[6:7]
	s_cbranch_execnz .LBB34_3157
; %bb.1109:
	s_or_saveexec_b64 s[6:7], s[6:7]
	v_mov_b32_e32 v14, s10
	s_xor_b64 exec, exec, s[6:7]
	s_cbranch_execnz .LBB34_3160
.LBB34_1110:
	s_or_b64 exec, exec, s[6:7]
	s_and_saveexec_b64 s[6:7], s[4:5]
	s_cbranch_execz .LBB34_1112
.LBB34_1111:
	v_bfe_u32 v11, v12, 16, 3
	v_ffbh_u32_e32 v20, v11
	v_min_u32_e32 v20, 32, v20
	v_lshrrev_b32_e32 v14, 19, v12
	v_subrev_u32_e32 v21, 28, v20
	v_and_b32_e32 v14, 15, v14
	v_lshlrev_b32_sdwa v21, v21, v12 dst_sel:DWORD dst_unused:UNUSED_PAD src0_sel:DWORD src1_sel:WORD_1
	v_bfe_u32 v15, v12, 19, 4
	v_sub_u32_e32 v20, 29, v20
	v_and_b32_e32 v21, 7, v21
	v_cmp_eq_u16_e32 vcc, 0, v14
	v_cndmask_b32_e32 v11, v11, v21, vcc
	v_cndmask_b32_e32 v14, v15, v20, vcc
	v_lshlrev_b32_e32 v15, 8, v12
	v_mov_b32_e32 v20, 0x3b800000
	v_lshlrev_b32_e32 v11, 20, v11
	v_and_b32_e32 v15, 0x80000000, v15
	v_lshl_add_u32 v14, v14, 23, v20
	v_or3_b32 v14, v15, v14, v11
.LBB34_1112:
	s_or_b64 exec, exec, s[6:7]
	s_nop 0
	v_mfma_f32_16x16x4f32 a[0:3], v10, v14, a[0:3]
	s_movk_i32 s4, 0x7f
	v_cmp_gt_i16_sdwa s[6:7], v16, s4 src0_sel:BYTE_3 src1_sel:DWORD
	s_mov_b64 s[4:5], 0
                                        ; implicit-def: $sgpr10
	s_and_saveexec_b64 s[8:9], s[6:7]
	s_xor_b64 s[6:7], exec, s[8:9]
	s_cbranch_execnz .LBB34_3161
; %bb.1113:
	s_or_saveexec_b64 s[6:7], s[6:7]
	v_mov_b32_e32 v10, s10
	s_xor_b64 exec, exec, s[6:7]
	s_cbranch_execnz .LBB34_3164
.LBB34_1114:
	s_or_b64 exec, exec, s[6:7]
	s_and_saveexec_b64 s[6:7], s[4:5]
	s_cbranch_execz .LBB34_1116
.LBB34_1115:
	v_bfe_u32 v10, v16, 24, 3
	v_ffbh_u32_e32 v20, v10
	v_min_u32_e32 v20, 32, v20
	v_lshrrev_b32_e32 v14, 27, v16
	v_subrev_u32_e32 v21, 28, v20
	v_and_b32_e32 v11, 0x80000000, v16
	v_and_b32_e32 v14, 15, v14
	v_bfe_u32 v15, v16, 27, 4
	v_lshlrev_b32_sdwa v16, v21, v16 dst_sel:DWORD dst_unused:UNUSED_PAD src0_sel:DWORD src1_sel:BYTE_3
	v_sub_u32_e32 v20, 29, v20
	v_and_b32_e32 v16, 7, v16
	v_cmp_eq_u16_e32 vcc, 0, v14
	v_cndmask_b32_e32 v10, v10, v16, vcc
	v_cndmask_b32_e32 v14, v15, v20, vcc
	v_mov_b32_e32 v15, 0x3b800000
	v_lshlrev_b32_e32 v10, 20, v10
	v_lshl_add_u32 v14, v14, 23, v15
	v_or3_b32 v10, v11, v14, v10
.LBB34_1116:
	s_or_b64 exec, exec, s[6:7]
	s_movk_i32 s4, 0x7f
	v_cmp_gt_i16_sdwa s[6:7], v12, s4 src0_sel:BYTE_3 src1_sel:DWORD
	s_mov_b64 s[4:5], 0
                                        ; implicit-def: $sgpr10
	s_and_saveexec_b64 s[8:9], s[6:7]
	s_xor_b64 s[6:7], exec, s[8:9]
	s_cbranch_execnz .LBB34_3165
; %bb.1117:
	s_or_saveexec_b64 s[6:7], s[6:7]
	v_mov_b32_e32 v11, s10
	s_xor_b64 exec, exec, s[6:7]
	s_cbranch_execnz .LBB34_3168
.LBB34_1118:
	s_or_b64 exec, exec, s[6:7]
	s_and_saveexec_b64 s[6:7], s[4:5]
	s_cbranch_execz .LBB34_1120
.LBB34_1119:
	v_bfe_u32 v11, v12, 24, 3
	v_ffbh_u32_e32 v20, v11
	v_min_u32_e32 v20, 32, v20
	v_lshrrev_b32_e32 v15, 27, v12
	v_subrev_u32_e32 v21, 28, v20
	v_and_b32_e32 v14, 0x80000000, v12
	v_and_b32_e32 v15, 15, v15
	v_bfe_u32 v16, v12, 27, 4
	v_lshlrev_b32_sdwa v12, v21, v12 dst_sel:DWORD dst_unused:UNUSED_PAD src0_sel:DWORD src1_sel:BYTE_3
	v_sub_u32_e32 v20, 29, v20
	v_and_b32_e32 v12, 7, v12
	v_cmp_eq_u16_e32 vcc, 0, v15
	v_cndmask_b32_e32 v11, v11, v12, vcc
	v_cndmask_b32_e32 v12, v16, v20, vcc
	v_mov_b32_e32 v15, 0x3b800000
	v_lshlrev_b32_e32 v11, 20, v11
	v_lshl_add_u32 v12, v12, 23, v15
	v_or3_b32 v11, v14, v12, v11
.LBB34_1120:
	s_or_b64 exec, exec, s[6:7]
	s_nop 0
	v_mfma_f32_16x16x4f32 a[0:3], v10, v11, a[0:3]
	s_movk_i32 s4, 0x7f
	v_cmp_gt_i16_sdwa s[6:7], v17, s4 src0_sel:BYTE_0 src1_sel:DWORD
	s_mov_b64 s[4:5], 0
                                        ; implicit-def: $sgpr10
	s_and_saveexec_b64 s[8:9], s[6:7]
	s_xor_b64 s[6:7], exec, s[8:9]
	s_cbranch_execnz .LBB34_3169
; %bb.1121:
	s_or_saveexec_b64 s[6:7], s[6:7]
	v_mov_b32_e32 v10, s10
	s_xor_b64 exec, exec, s[6:7]
	s_cbranch_execnz .LBB34_3172
.LBB34_1122:
	s_or_b64 exec, exec, s[6:7]
	s_and_saveexec_b64 s[6:7], s[4:5]
	s_cbranch_execz .LBB34_1124
.LBB34_1123:
	v_and_b32_e32 v10, 7, v17
	v_ffbh_u32_e32 v12, v10
	v_min_u32_e32 v12, 32, v12
	v_lshrrev_b16_e32 v11, 3, v17
	v_subrev_u32_e32 v14, 28, v12
	v_and_b32_e32 v11, 15, v11
	v_lshlrev_b32_e32 v14, v14, v17
	v_sub_u32_e32 v12, 29, v12
	v_and_b32_e32 v14, 7, v14
	v_cmp_eq_u16_e32 vcc, 0, v11
	v_cndmask_b32_e32 v10, v10, v14, vcc
	v_cndmask_b32_e32 v11, v11, v12, vcc
	v_lshlrev_b32_e32 v12, 24, v17
	v_mov_b32_e32 v14, 0x3b800000
	v_lshlrev_b32_e32 v10, 20, v10
	v_and_b32_e32 v12, 0x80000000, v12
	v_lshl_add_u32 v11, v11, 23, v14
	v_or3_b32 v10, v12, v11, v10
.LBB34_1124:
	s_or_b64 exec, exec, s[6:7]
	s_movk_i32 s4, 0x7f
	v_cmp_gt_i16_sdwa s[6:7], v13, s4 src0_sel:BYTE_0 src1_sel:DWORD
	s_mov_b64 s[4:5], 0
                                        ; implicit-def: $sgpr10
	s_and_saveexec_b64 s[8:9], s[6:7]
	s_xor_b64 s[6:7], exec, s[8:9]
	s_cbranch_execnz .LBB34_3173
; %bb.1125:
	s_or_saveexec_b64 s[6:7], s[6:7]
	v_mov_b32_e32 v11, s10
	s_xor_b64 exec, exec, s[6:7]
	s_cbranch_execnz .LBB34_3176
.LBB34_1126:
	s_or_b64 exec, exec, s[6:7]
	s_and_saveexec_b64 s[6:7], s[4:5]
	s_cbranch_execz .LBB34_1128
.LBB34_1127:
	v_and_b32_e32 v11, 7, v13
	v_ffbh_u32_e32 v14, v11
	v_min_u32_e32 v14, 32, v14
	v_lshrrev_b16_e32 v12, 3, v13
	v_subrev_u32_e32 v15, 28, v14
	v_and_b32_e32 v12, 15, v12
	v_lshlrev_b32_e32 v15, v15, v13
	v_sub_u32_e32 v14, 29, v14
	v_and_b32_e32 v15, 7, v15
	v_cmp_eq_u16_e32 vcc, 0, v12
	v_cndmask_b32_e32 v11, v11, v15, vcc
	v_cndmask_b32_e32 v12, v12, v14, vcc
	v_lshlrev_b32_e32 v14, 24, v13
	v_mov_b32_e32 v15, 0x3b800000
	v_lshlrev_b32_e32 v11, 20, v11
	v_and_b32_e32 v14, 0x80000000, v14
	v_lshl_add_u32 v12, v12, 23, v15
	v_or3_b32 v11, v14, v12, v11
.LBB34_1128:
	s_or_b64 exec, exec, s[6:7]
	s_nop 0
	v_mfma_f32_16x16x4f32 a[0:3], v10, v11, a[0:3]
	v_lshrrev_b32_e32 v11, 8, v17
	s_movk_i32 s4, 0x7f
	v_cmp_gt_i16_sdwa s[6:7], v11, s4 src0_sel:BYTE_0 src1_sel:DWORD
	s_mov_b64 s[4:5], 0
                                        ; implicit-def: $sgpr10
	s_and_saveexec_b64 s[8:9], s[6:7]
	s_xor_b64 s[6:7], exec, s[8:9]
	s_cbranch_execnz .LBB34_3177
; %bb.1129:
	s_or_saveexec_b64 s[6:7], s[6:7]
	v_mov_b32_e32 v10, s10
	s_xor_b64 exec, exec, s[6:7]
	s_cbranch_execnz .LBB34_3180
.LBB34_1130:
	s_or_b64 exec, exec, s[6:7]
	s_and_saveexec_b64 s[6:7], s[4:5]
	s_cbranch_execz .LBB34_1132
.LBB34_1131:
	v_bfe_u32 v10, v17, 8, 3
	v_ffbh_u32_e32 v14, v10
	v_min_u32_e32 v14, 32, v14
	v_lshrrev_b16_e32 v12, 3, v11
	v_subrev_u32_e32 v15, 28, v14
	v_and_b32_e32 v12, 15, v12
	v_lshlrev_b32_e32 v11, v15, v11
	v_sub_u32_e32 v14, 29, v14
	v_and_b32_e32 v11, 7, v11
	v_cmp_eq_u16_e32 vcc, 0, v12
	v_cndmask_b32_e32 v10, v10, v11, vcc
	v_cndmask_b32_e32 v11, v12, v14, vcc
	v_lshlrev_b32_e32 v12, 16, v17
	v_mov_b32_e32 v14, 0x3b800000
	v_lshlrev_b32_e32 v10, 20, v10
	v_and_b32_e32 v12, 0x80000000, v12
	v_lshl_add_u32 v11, v11, 23, v14
	v_or3_b32 v10, v12, v11, v10
.LBB34_1132:
	s_or_b64 exec, exec, s[6:7]
	v_lshrrev_b32_e32 v11, 8, v13
	s_movk_i32 s4, 0x7f
	v_cmp_gt_i16_sdwa s[6:7], v11, s4 src0_sel:BYTE_0 src1_sel:DWORD
	s_mov_b64 s[4:5], 0
                                        ; implicit-def: $sgpr10
	s_and_saveexec_b64 s[8:9], s[6:7]
	s_xor_b64 s[6:7], exec, s[8:9]
	s_cbranch_execnz .LBB34_3181
; %bb.1133:
	s_or_saveexec_b64 s[6:7], s[6:7]
	v_mov_b32_e32 v12, s10
	s_xor_b64 exec, exec, s[6:7]
	s_cbranch_execnz .LBB34_3184
.LBB34_1134:
	s_or_b64 exec, exec, s[6:7]
	s_and_saveexec_b64 s[6:7], s[4:5]
	s_cbranch_execz .LBB34_1136
.LBB34_1135:
	v_bfe_u32 v12, v13, 8, 3
	v_ffbh_u32_e32 v15, v12
	v_min_u32_e32 v15, 32, v15
	v_lshrrev_b16_e32 v14, 3, v11
	v_subrev_u32_e32 v16, 28, v15
	v_and_b32_e32 v14, 15, v14
	v_lshlrev_b32_e32 v11, v16, v11
	v_sub_u32_e32 v15, 29, v15
	v_and_b32_e32 v11, 7, v11
	v_cmp_eq_u16_e32 vcc, 0, v14
	v_cndmask_b32_e32 v11, v12, v11, vcc
	v_cndmask_b32_e32 v12, v14, v15, vcc
	v_lshlrev_b32_e32 v14, 16, v13
	v_mov_b32_e32 v15, 0x3b800000
	v_lshlrev_b32_e32 v11, 20, v11
	v_and_b32_e32 v14, 0x80000000, v14
	v_lshl_add_u32 v12, v12, 23, v15
	v_or3_b32 v12, v14, v12, v11
.LBB34_1136:
	s_or_b64 exec, exec, s[6:7]
	s_nop 0
	v_mfma_f32_16x16x4f32 a[0:3], v10, v12, a[0:3]
	s_movk_i32 s4, 0xff
	v_and_b32_sdwa v11, v17, s4 dst_sel:DWORD dst_unused:UNUSED_PAD src0_sel:WORD_1 src1_sel:DWORD
	s_movk_i32 s4, 0x7f
	v_cmp_lt_i16_e32 vcc, s4, v11
	s_mov_b64 s[4:5], 0
                                        ; implicit-def: $sgpr10
	s_and_saveexec_b64 s[6:7], vcc
	s_xor_b64 s[6:7], exec, s[6:7]
	s_cbranch_execnz .LBB34_3185
; %bb.1137:
	s_or_saveexec_b64 s[6:7], s[6:7]
	v_mov_b32_e32 v10, s10
	s_xor_b64 exec, exec, s[6:7]
	s_cbranch_execnz .LBB34_3188
.LBB34_1138:
	s_or_b64 exec, exec, s[6:7]
	s_and_saveexec_b64 s[6:7], s[4:5]
	s_cbranch_execz .LBB34_1140
.LBB34_1139:
	v_bfe_u32 v10, v17, 16, 3
	v_ffbh_u32_e32 v14, v10
	v_min_u32_e32 v14, 32, v14
	v_lshrrev_b32_e32 v11, 19, v17
	v_subrev_u32_e32 v15, 28, v14
	v_and_b32_e32 v11, 15, v11
	v_lshlrev_b32_sdwa v15, v15, v17 dst_sel:DWORD dst_unused:UNUSED_PAD src0_sel:DWORD src1_sel:WORD_1
	v_bfe_u32 v12, v17, 19, 4
	v_sub_u32_e32 v14, 29, v14
	v_and_b32_e32 v15, 7, v15
	v_cmp_eq_u16_e32 vcc, 0, v11
	v_cndmask_b32_e32 v10, v10, v15, vcc
	v_cndmask_b32_e32 v11, v12, v14, vcc
	v_lshlrev_b32_e32 v12, 8, v17
	v_mov_b32_e32 v14, 0x3b800000
	v_lshlrev_b32_e32 v10, 20, v10
	v_and_b32_e32 v12, 0x80000000, v12
	v_lshl_add_u32 v11, v11, 23, v14
	v_or3_b32 v10, v12, v11, v10
.LBB34_1140:
	s_or_b64 exec, exec, s[6:7]
	s_movk_i32 s4, 0xff
	v_and_b32_sdwa v11, v13, s4 dst_sel:DWORD dst_unused:UNUSED_PAD src0_sel:WORD_1 src1_sel:DWORD
	s_movk_i32 s4, 0x7f
	v_cmp_lt_i16_e32 vcc, s4, v11
	s_mov_b64 s[4:5], 0
                                        ; implicit-def: $sgpr10
	s_and_saveexec_b64 s[6:7], vcc
	s_xor_b64 s[6:7], exec, s[6:7]
	s_cbranch_execnz .LBB34_3189
; %bb.1141:
	s_or_saveexec_b64 s[6:7], s[6:7]
	v_mov_b32_e32 v12, s10
	s_xor_b64 exec, exec, s[6:7]
	s_cbranch_execnz .LBB34_3192
.LBB34_1142:
	s_or_b64 exec, exec, s[6:7]
	s_and_saveexec_b64 s[6:7], s[4:5]
	s_cbranch_execz .LBB34_1144
.LBB34_1143:
	v_bfe_u32 v11, v13, 16, 3
	v_ffbh_u32_e32 v15, v11
	v_min_u32_e32 v15, 32, v15
	v_lshrrev_b32_e32 v12, 19, v13
	v_subrev_u32_e32 v16, 28, v15
	v_and_b32_e32 v12, 15, v12
	v_lshlrev_b32_sdwa v16, v16, v13 dst_sel:DWORD dst_unused:UNUSED_PAD src0_sel:DWORD src1_sel:WORD_1
	v_bfe_u32 v14, v13, 19, 4
	v_sub_u32_e32 v15, 29, v15
	v_and_b32_e32 v16, 7, v16
	v_cmp_eq_u16_e32 vcc, 0, v12
	v_cndmask_b32_e32 v11, v11, v16, vcc
	v_cndmask_b32_e32 v12, v14, v15, vcc
	v_lshlrev_b32_e32 v14, 8, v13
	v_mov_b32_e32 v15, 0x3b800000
	v_lshlrev_b32_e32 v11, 20, v11
	v_and_b32_e32 v14, 0x80000000, v14
	v_lshl_add_u32 v12, v12, 23, v15
	v_or3_b32 v12, v14, v12, v11
.LBB34_1144:
	s_or_b64 exec, exec, s[6:7]
	s_nop 0
	v_mfma_f32_16x16x4f32 a[0:3], v10, v12, a[0:3]
	s_movk_i32 s4, 0x7f
	v_cmp_gt_i16_sdwa s[6:7], v17, s4 src0_sel:BYTE_3 src1_sel:DWORD
	s_mov_b64 s[4:5], 0
                                        ; implicit-def: $sgpr10
	s_and_saveexec_b64 s[8:9], s[6:7]
	s_xor_b64 s[6:7], exec, s[8:9]
	s_cbranch_execnz .LBB34_3193
; %bb.1145:
	s_or_saveexec_b64 s[6:7], s[6:7]
	v_mov_b32_e32 v10, s10
	s_xor_b64 exec, exec, s[6:7]
	s_cbranch_execnz .LBB34_3196
.LBB34_1146:
	s_or_b64 exec, exec, s[6:7]
	s_and_saveexec_b64 s[6:7], s[4:5]
	s_cbranch_execz .LBB34_1148
.LBB34_1147:
	v_bfe_u32 v10, v17, 24, 3
	v_ffbh_u32_e32 v15, v10
	v_min_u32_e32 v15, 32, v15
	v_lshrrev_b32_e32 v12, 27, v17
	v_subrev_u32_e32 v16, 28, v15
	v_and_b32_e32 v12, 15, v12
	v_lshlrev_b32_sdwa v16, v16, v17 dst_sel:DWORD dst_unused:UNUSED_PAD src0_sel:DWORD src1_sel:BYTE_3
	v_bfe_u32 v14, v17, 27, 4
	v_sub_u32_e32 v15, 29, v15
	v_and_b32_e32 v16, 7, v16
	v_cmp_eq_u16_e32 vcc, 0, v12
	v_cndmask_b32_e32 v10, v10, v16, vcc
	v_cndmask_b32_e32 v12, v14, v15, vcc
	v_mov_b32_e32 v14, 0x3b800000
	v_and_b32_e32 v11, 0x80000000, v17
	v_lshlrev_b32_e32 v10, 20, v10
	v_lshl_add_u32 v12, v12, 23, v14
	v_or3_b32 v10, v11, v12, v10
.LBB34_1148:
	s_or_b64 exec, exec, s[6:7]
	s_movk_i32 s4, 0x7f
	v_cmp_gt_i16_sdwa s[6:7], v13, s4 src0_sel:BYTE_3 src1_sel:DWORD
	s_mov_b64 s[4:5], 0
                                        ; implicit-def: $sgpr10
	s_and_saveexec_b64 s[8:9], s[6:7]
	s_xor_b64 s[6:7], exec, s[8:9]
	s_cbranch_execnz .LBB34_3197
; %bb.1149:
	s_or_saveexec_b64 s[6:7], s[6:7]
	v_mov_b32_e32 v11, s10
	s_xor_b64 exec, exec, s[6:7]
	s_cbranch_execnz .LBB34_3200
.LBB34_1150:
	s_or_b64 exec, exec, s[6:7]
	s_and_saveexec_b64 s[6:7], s[4:5]
	s_cbranch_execz .LBB34_1152
.LBB34_1151:
	v_bfe_u32 v11, v13, 24, 3
	v_ffbh_u32_e32 v16, v11
	v_min_u32_e32 v16, 32, v16
	v_lshrrev_b32_e32 v14, 27, v13
	v_subrev_u32_e32 v17, 28, v16
	v_and_b32_e32 v12, 0x80000000, v13
	v_and_b32_e32 v14, 15, v14
	v_bfe_u32 v15, v13, 27, 4
	v_lshlrev_b32_sdwa v13, v17, v13 dst_sel:DWORD dst_unused:UNUSED_PAD src0_sel:DWORD src1_sel:BYTE_3
	v_sub_u32_e32 v16, 29, v16
	v_and_b32_e32 v13, 7, v13
	v_cmp_eq_u16_e32 vcc, 0, v14
	v_cndmask_b32_e32 v11, v11, v13, vcc
	v_cndmask_b32_e32 v13, v15, v16, vcc
	v_mov_b32_e32 v14, 0x3b800000
	v_lshlrev_b32_e32 v11, 20, v11
	v_lshl_add_u32 v13, v13, 23, v14
	v_or3_b32 v11, v12, v13, v11
.LBB34_1152:
	s_or_b64 exec, exec, s[6:7]
	s_nop 0
	v_mfma_f32_16x16x4f32 a[0:3], v10, v11, a[0:3]
	s_movk_i32 s4, 0x7f
	v_cmp_gt_i16_sdwa s[6:7], v6, s4 src0_sel:BYTE_0 src1_sel:DWORD
	s_mov_b64 s[4:5], 0
                                        ; implicit-def: $sgpr10
	s_and_saveexec_b64 s[8:9], s[6:7]
	s_xor_b64 s[6:7], exec, s[8:9]
	s_cbranch_execnz .LBB34_3201
; %bb.1153:
	s_or_saveexec_b64 s[6:7], s[6:7]
	v_mov_b32_e32 v10, s10
	s_xor_b64 exec, exec, s[6:7]
	s_cbranch_execnz .LBB34_3204
.LBB34_1154:
	s_or_b64 exec, exec, s[6:7]
	s_and_saveexec_b64 s[6:7], s[4:5]
	s_cbranch_execz .LBB34_1156
.LBB34_1155:
	v_and_b32_e32 v10, 7, v6
	v_ffbh_u32_e32 v12, v10
	v_min_u32_e32 v12, 32, v12
	v_lshrrev_b16_e32 v11, 3, v6
	v_subrev_u32_e32 v13, 28, v12
	v_and_b32_e32 v11, 15, v11
	v_lshlrev_b32_e32 v13, v13, v6
	v_sub_u32_e32 v12, 29, v12
	v_and_b32_e32 v13, 7, v13
	v_cmp_eq_u16_e32 vcc, 0, v11
	v_cndmask_b32_e32 v10, v10, v13, vcc
	v_cndmask_b32_e32 v11, v11, v12, vcc
	v_lshlrev_b32_e32 v12, 24, v6
	v_mov_b32_e32 v13, 0x3b800000
	v_lshlrev_b32_e32 v10, 20, v10
	v_and_b32_e32 v12, 0x80000000, v12
	v_lshl_add_u32 v11, v11, 23, v13
	v_or3_b32 v10, v12, v11, v10
.LBB34_1156:
	s_or_b64 exec, exec, s[6:7]
	s_movk_i32 s4, 0x7f
	v_cmp_gt_i16_sdwa s[6:7], v2, s4 src0_sel:BYTE_0 src1_sel:DWORD
	s_mov_b64 s[4:5], 0
                                        ; implicit-def: $sgpr10
	s_and_saveexec_b64 s[8:9], s[6:7]
	s_xor_b64 s[6:7], exec, s[8:9]
	s_cbranch_execnz .LBB34_3205
; %bb.1157:
	s_or_saveexec_b64 s[6:7], s[6:7]
	v_mov_b32_e32 v11, s10
	s_xor_b64 exec, exec, s[6:7]
	s_cbranch_execnz .LBB34_3208
.LBB34_1158:
	s_or_b64 exec, exec, s[6:7]
	s_and_saveexec_b64 s[6:7], s[4:5]
	s_cbranch_execz .LBB34_1160
.LBB34_1159:
	v_and_b32_e32 v11, 7, v2
	v_ffbh_u32_e32 v13, v11
	v_min_u32_e32 v13, 32, v13
	v_lshrrev_b16_e32 v12, 3, v2
	v_subrev_u32_e32 v14, 28, v13
	v_and_b32_e32 v12, 15, v12
	v_lshlrev_b32_e32 v14, v14, v2
	v_sub_u32_e32 v13, 29, v13
	v_and_b32_e32 v14, 7, v14
	v_cmp_eq_u16_e32 vcc, 0, v12
	v_cndmask_b32_e32 v11, v11, v14, vcc
	v_cndmask_b32_e32 v12, v12, v13, vcc
	v_lshlrev_b32_e32 v13, 24, v2
	v_mov_b32_e32 v14, 0x3b800000
	v_lshlrev_b32_e32 v11, 20, v11
	v_and_b32_e32 v13, 0x80000000, v13
	v_lshl_add_u32 v12, v12, 23, v14
	v_or3_b32 v11, v13, v12, v11
.LBB34_1160:
	s_or_b64 exec, exec, s[6:7]
	s_nop 0
	v_mfma_f32_16x16x4f32 a[0:3], v10, v11, a[0:3]
	v_lshrrev_b32_e32 v11, 8, v6
	s_movk_i32 s4, 0x7f
	v_cmp_gt_i16_sdwa s[6:7], v11, s4 src0_sel:BYTE_0 src1_sel:DWORD
	s_mov_b64 s[4:5], 0
                                        ; implicit-def: $sgpr10
	s_and_saveexec_b64 s[8:9], s[6:7]
	s_xor_b64 s[6:7], exec, s[8:9]
	s_cbranch_execnz .LBB34_3209
; %bb.1161:
	s_or_saveexec_b64 s[6:7], s[6:7]
	v_mov_b32_e32 v10, s10
	s_xor_b64 exec, exec, s[6:7]
	s_cbranch_execnz .LBB34_3212
.LBB34_1162:
	s_or_b64 exec, exec, s[6:7]
	s_and_saveexec_b64 s[6:7], s[4:5]
	s_cbranch_execz .LBB34_1164
.LBB34_1163:
	v_bfe_u32 v10, v6, 8, 3
	v_ffbh_u32_e32 v13, v10
	v_min_u32_e32 v13, 32, v13
	v_lshrrev_b16_e32 v12, 3, v11
	v_subrev_u32_e32 v14, 28, v13
	v_and_b32_e32 v12, 15, v12
	v_lshlrev_b32_e32 v11, v14, v11
	v_sub_u32_e32 v13, 29, v13
	v_and_b32_e32 v11, 7, v11
	v_cmp_eq_u16_e32 vcc, 0, v12
	v_cndmask_b32_e32 v10, v10, v11, vcc
	v_cndmask_b32_e32 v11, v12, v13, vcc
	v_lshlrev_b32_e32 v12, 16, v6
	v_mov_b32_e32 v13, 0x3b800000
	v_lshlrev_b32_e32 v10, 20, v10
	v_and_b32_e32 v12, 0x80000000, v12
	v_lshl_add_u32 v11, v11, 23, v13
	v_or3_b32 v10, v12, v11, v10
.LBB34_1164:
	s_or_b64 exec, exec, s[6:7]
	v_lshrrev_b32_e32 v11, 8, v2
	s_movk_i32 s4, 0x7f
	v_cmp_gt_i16_sdwa s[6:7], v11, s4 src0_sel:BYTE_0 src1_sel:DWORD
	s_mov_b64 s[4:5], 0
                                        ; implicit-def: $sgpr10
	s_and_saveexec_b64 s[8:9], s[6:7]
	s_xor_b64 s[6:7], exec, s[8:9]
	s_cbranch_execnz .LBB34_3213
; %bb.1165:
	s_or_saveexec_b64 s[6:7], s[6:7]
	v_mov_b32_e32 v12, s10
	s_xor_b64 exec, exec, s[6:7]
	s_cbranch_execnz .LBB34_3216
.LBB34_1166:
	s_or_b64 exec, exec, s[6:7]
	s_and_saveexec_b64 s[6:7], s[4:5]
	s_cbranch_execz .LBB34_1168
.LBB34_1167:
	v_bfe_u32 v12, v2, 8, 3
	v_ffbh_u32_e32 v14, v12
	v_min_u32_e32 v14, 32, v14
	v_lshrrev_b16_e32 v13, 3, v11
	v_subrev_u32_e32 v15, 28, v14
	v_and_b32_e32 v13, 15, v13
	v_lshlrev_b32_e32 v11, v15, v11
	v_sub_u32_e32 v14, 29, v14
	v_and_b32_e32 v11, 7, v11
	v_cmp_eq_u16_e32 vcc, 0, v13
	v_cndmask_b32_e32 v11, v12, v11, vcc
	v_cndmask_b32_e32 v12, v13, v14, vcc
	v_lshlrev_b32_e32 v13, 16, v2
	v_mov_b32_e32 v14, 0x3b800000
	v_lshlrev_b32_e32 v11, 20, v11
	v_and_b32_e32 v13, 0x80000000, v13
	v_lshl_add_u32 v12, v12, 23, v14
	v_or3_b32 v12, v13, v12, v11
.LBB34_1168:
	s_or_b64 exec, exec, s[6:7]
	s_nop 0
	v_mfma_f32_16x16x4f32 a[0:3], v10, v12, a[0:3]
	s_movk_i32 s4, 0xff
	v_and_b32_sdwa v11, v6, s4 dst_sel:DWORD dst_unused:UNUSED_PAD src0_sel:WORD_1 src1_sel:DWORD
	s_movk_i32 s4, 0x7f
	v_cmp_lt_i16_e32 vcc, s4, v11
	s_mov_b64 s[4:5], 0
                                        ; implicit-def: $sgpr10
	s_and_saveexec_b64 s[6:7], vcc
	s_xor_b64 s[6:7], exec, s[6:7]
	s_cbranch_execnz .LBB34_3217
; %bb.1169:
	s_or_saveexec_b64 s[6:7], s[6:7]
	v_mov_b32_e32 v10, s10
	s_xor_b64 exec, exec, s[6:7]
	s_cbranch_execnz .LBB34_3220
.LBB34_1170:
	s_or_b64 exec, exec, s[6:7]
	s_and_saveexec_b64 s[6:7], s[4:5]
	s_cbranch_execz .LBB34_1172
.LBB34_1171:
	v_bfe_u32 v10, v6, 16, 3
	v_ffbh_u32_e32 v13, v10
	v_min_u32_e32 v13, 32, v13
	v_lshrrev_b32_e32 v11, 19, v6
	v_subrev_u32_e32 v14, 28, v13
	v_and_b32_e32 v11, 15, v11
	v_lshlrev_b32_sdwa v14, v14, v6 dst_sel:DWORD dst_unused:UNUSED_PAD src0_sel:DWORD src1_sel:WORD_1
	v_bfe_u32 v12, v6, 19, 4
	v_sub_u32_e32 v13, 29, v13
	v_and_b32_e32 v14, 7, v14
	v_cmp_eq_u16_e32 vcc, 0, v11
	v_cndmask_b32_e32 v10, v10, v14, vcc
	v_cndmask_b32_e32 v11, v12, v13, vcc
	v_lshlrev_b32_e32 v12, 8, v6
	v_mov_b32_e32 v13, 0x3b800000
	v_lshlrev_b32_e32 v10, 20, v10
	v_and_b32_e32 v12, 0x80000000, v12
	v_lshl_add_u32 v11, v11, 23, v13
	v_or3_b32 v10, v12, v11, v10
.LBB34_1172:
	s_or_b64 exec, exec, s[6:7]
	s_movk_i32 s4, 0xff
	v_and_b32_sdwa v11, v2, s4 dst_sel:DWORD dst_unused:UNUSED_PAD src0_sel:WORD_1 src1_sel:DWORD
	s_movk_i32 s4, 0x7f
	v_cmp_lt_i16_e32 vcc, s4, v11
	s_mov_b64 s[4:5], 0
                                        ; implicit-def: $sgpr10
	s_and_saveexec_b64 s[6:7], vcc
	s_xor_b64 s[6:7], exec, s[6:7]
	s_cbranch_execnz .LBB34_3221
; %bb.1173:
	s_or_saveexec_b64 s[6:7], s[6:7]
	v_mov_b32_e32 v12, s10
	s_xor_b64 exec, exec, s[6:7]
	s_cbranch_execnz .LBB34_3224
.LBB34_1174:
	s_or_b64 exec, exec, s[6:7]
	s_and_saveexec_b64 s[6:7], s[4:5]
	s_cbranch_execz .LBB34_1176
.LBB34_1175:
	v_bfe_u32 v11, v2, 16, 3
	v_ffbh_u32_e32 v14, v11
	v_min_u32_e32 v14, 32, v14
	v_lshrrev_b32_e32 v12, 19, v2
	v_subrev_u32_e32 v15, 28, v14
	v_and_b32_e32 v12, 15, v12
	v_lshlrev_b32_sdwa v15, v15, v2 dst_sel:DWORD dst_unused:UNUSED_PAD src0_sel:DWORD src1_sel:WORD_1
	v_bfe_u32 v13, v2, 19, 4
	v_sub_u32_e32 v14, 29, v14
	v_and_b32_e32 v15, 7, v15
	v_cmp_eq_u16_e32 vcc, 0, v12
	v_cndmask_b32_e32 v11, v11, v15, vcc
	v_cndmask_b32_e32 v12, v13, v14, vcc
	v_lshlrev_b32_e32 v13, 8, v2
	v_mov_b32_e32 v14, 0x3b800000
	v_lshlrev_b32_e32 v11, 20, v11
	v_and_b32_e32 v13, 0x80000000, v13
	v_lshl_add_u32 v12, v12, 23, v14
	v_or3_b32 v12, v13, v12, v11
.LBB34_1176:
	s_or_b64 exec, exec, s[6:7]
	s_nop 0
	v_mfma_f32_16x16x4f32 a[0:3], v10, v12, a[0:3]
	s_movk_i32 s4, 0x7f
	v_cmp_gt_i16_sdwa s[6:7], v6, s4 src0_sel:BYTE_3 src1_sel:DWORD
	s_mov_b64 s[4:5], 0
                                        ; implicit-def: $sgpr10
	s_and_saveexec_b64 s[8:9], s[6:7]
	s_xor_b64 s[6:7], exec, s[8:9]
	s_cbranch_execnz .LBB34_3225
; %bb.1177:
	s_or_saveexec_b64 s[6:7], s[6:7]
	v_mov_b32_e32 v10, s10
	s_xor_b64 exec, exec, s[6:7]
	s_cbranch_execnz .LBB34_3228
.LBB34_1178:
	s_or_b64 exec, exec, s[6:7]
	s_and_saveexec_b64 s[6:7], s[4:5]
	s_cbranch_execz .LBB34_1180
.LBB34_1179:
	v_bfe_u32 v10, v6, 24, 3
	v_ffbh_u32_e32 v14, v10
	v_min_u32_e32 v14, 32, v14
	v_lshrrev_b32_e32 v12, 27, v6
	v_subrev_u32_e32 v15, 28, v14
	v_and_b32_e32 v11, 0x80000000, v6
	v_and_b32_e32 v12, 15, v12
	v_bfe_u32 v13, v6, 27, 4
	v_lshlrev_b32_sdwa v6, v15, v6 dst_sel:DWORD dst_unused:UNUSED_PAD src0_sel:DWORD src1_sel:BYTE_3
	v_sub_u32_e32 v14, 29, v14
	v_and_b32_e32 v6, 7, v6
	v_cmp_eq_u16_e32 vcc, 0, v12
	v_cndmask_b32_e32 v6, v10, v6, vcc
	v_cndmask_b32_e32 v10, v13, v14, vcc
	v_mov_b32_e32 v12, 0x3b800000
	v_lshlrev_b32_e32 v6, 20, v6
	v_lshl_add_u32 v10, v10, 23, v12
	v_or3_b32 v10, v11, v10, v6
.LBB34_1180:
	s_or_b64 exec, exec, s[6:7]
	s_movk_i32 s4, 0x7f
	v_cmp_gt_i16_sdwa s[6:7], v2, s4 src0_sel:BYTE_3 src1_sel:DWORD
	s_mov_b64 s[4:5], 0
                                        ; implicit-def: $sgpr10
	s_and_saveexec_b64 s[8:9], s[6:7]
	s_xor_b64 s[6:7], exec, s[8:9]
	s_cbranch_execnz .LBB34_3229
; %bb.1181:
	s_or_saveexec_b64 s[6:7], s[6:7]
	v_mov_b32_e32 v6, s10
	s_xor_b64 exec, exec, s[6:7]
	s_cbranch_execnz .LBB34_3232
.LBB34_1182:
	s_or_b64 exec, exec, s[6:7]
	s_and_saveexec_b64 s[6:7], s[4:5]
	s_cbranch_execz .LBB34_1184
.LBB34_1183:
	v_bfe_u32 v6, v2, 24, 3
	v_ffbh_u32_e32 v14, v6
	v_min_u32_e32 v14, 32, v14
	v_lshrrev_b32_e32 v12, 27, v2
	v_subrev_u32_e32 v15, 28, v14
	v_and_b32_e32 v11, 0x80000000, v2
	v_and_b32_e32 v12, 15, v12
	v_bfe_u32 v13, v2, 27, 4
	v_lshlrev_b32_sdwa v2, v15, v2 dst_sel:DWORD dst_unused:UNUSED_PAD src0_sel:DWORD src1_sel:BYTE_3
	v_sub_u32_e32 v14, 29, v14
	v_and_b32_e32 v2, 7, v2
	v_cmp_eq_u16_e32 vcc, 0, v12
	v_cndmask_b32_e32 v2, v6, v2, vcc
	v_cndmask_b32_e32 v6, v13, v14, vcc
	v_mov_b32_e32 v12, 0x3b800000
	v_lshlrev_b32_e32 v2, 20, v2
	v_lshl_add_u32 v6, v6, 23, v12
	v_or3_b32 v6, v11, v6, v2
.LBB34_1184:
	s_or_b64 exec, exec, s[6:7]
	s_nop 0
	v_mfma_f32_16x16x4f32 a[0:3], v10, v6, a[0:3]
	s_movk_i32 s4, 0x7f
	v_cmp_gt_i16_sdwa s[6:7], v7, s4 src0_sel:BYTE_0 src1_sel:DWORD
	s_mov_b64 s[4:5], 0
                                        ; implicit-def: $sgpr10
	s_and_saveexec_b64 s[8:9], s[6:7]
	s_xor_b64 s[6:7], exec, s[8:9]
	s_cbranch_execnz .LBB34_3233
; %bb.1185:
	s_or_saveexec_b64 s[6:7], s[6:7]
	v_mov_b32_e32 v2, s10
	s_xor_b64 exec, exec, s[6:7]
	s_cbranch_execnz .LBB34_3236
.LBB34_1186:
	s_or_b64 exec, exec, s[6:7]
	s_and_saveexec_b64 s[6:7], s[4:5]
	s_cbranch_execz .LBB34_1188
.LBB34_1187:
	v_and_b32_e32 v2, 7, v7
	v_ffbh_u32_e32 v10, v2
	v_min_u32_e32 v10, 32, v10
	v_lshrrev_b16_e32 v6, 3, v7
	v_subrev_u32_e32 v11, 28, v10
	v_and_b32_e32 v6, 15, v6
	v_lshlrev_b32_e32 v11, v11, v7
	v_sub_u32_e32 v10, 29, v10
	v_and_b32_e32 v11, 7, v11
	v_cmp_eq_u16_e32 vcc, 0, v6
	v_cndmask_b32_e32 v2, v2, v11, vcc
	v_cndmask_b32_e32 v6, v6, v10, vcc
	v_lshlrev_b32_e32 v10, 24, v7
	v_mov_b32_e32 v11, 0x3b800000
	v_lshlrev_b32_e32 v2, 20, v2
	v_and_b32_e32 v10, 0x80000000, v10
	v_lshl_add_u32 v6, v6, 23, v11
	v_or3_b32 v2, v10, v6, v2
.LBB34_1188:
	s_or_b64 exec, exec, s[6:7]
	s_movk_i32 s4, 0x7f
	v_cmp_gt_i16_sdwa s[6:7], v3, s4 src0_sel:BYTE_0 src1_sel:DWORD
	s_mov_b64 s[4:5], 0
                                        ; implicit-def: $sgpr10
	s_and_saveexec_b64 s[8:9], s[6:7]
	s_xor_b64 s[6:7], exec, s[8:9]
	s_cbranch_execnz .LBB34_3237
; %bb.1189:
	s_or_saveexec_b64 s[6:7], s[6:7]
	v_mov_b32_e32 v6, s10
	s_xor_b64 exec, exec, s[6:7]
	s_cbranch_execnz .LBB34_3240
.LBB34_1190:
	s_or_b64 exec, exec, s[6:7]
	s_and_saveexec_b64 s[6:7], s[4:5]
	s_cbranch_execz .LBB34_1192
.LBB34_1191:
	v_and_b32_e32 v6, 7, v3
	v_ffbh_u32_e32 v11, v6
	v_min_u32_e32 v11, 32, v11
	v_lshrrev_b16_e32 v10, 3, v3
	v_subrev_u32_e32 v12, 28, v11
	v_and_b32_e32 v10, 15, v10
	v_lshlrev_b32_e32 v12, v12, v3
	v_sub_u32_e32 v11, 29, v11
	v_and_b32_e32 v12, 7, v12
	v_cmp_eq_u16_e32 vcc, 0, v10
	v_cndmask_b32_e32 v6, v6, v12, vcc
	v_cndmask_b32_e32 v10, v10, v11, vcc
	v_lshlrev_b32_e32 v11, 24, v3
	v_mov_b32_e32 v12, 0x3b800000
	v_lshlrev_b32_e32 v6, 20, v6
	v_and_b32_e32 v11, 0x80000000, v11
	v_lshl_add_u32 v10, v10, 23, v12
	v_or3_b32 v6, v11, v10, v6
.LBB34_1192:
	s_or_b64 exec, exec, s[6:7]
	s_nop 0
	v_mfma_f32_16x16x4f32 a[0:3], v2, v6, a[0:3]
	v_lshrrev_b32_e32 v6, 8, v7
	s_movk_i32 s4, 0x7f
	v_cmp_gt_i16_sdwa s[6:7], v6, s4 src0_sel:BYTE_0 src1_sel:DWORD
	s_mov_b64 s[4:5], 0
                                        ; implicit-def: $sgpr10
	s_and_saveexec_b64 s[8:9], s[6:7]
	s_xor_b64 s[6:7], exec, s[8:9]
	s_cbranch_execnz .LBB34_3241
; %bb.1193:
	s_or_saveexec_b64 s[6:7], s[6:7]
	v_mov_b32_e32 v2, s10
	s_xor_b64 exec, exec, s[6:7]
	s_cbranch_execnz .LBB34_3244
.LBB34_1194:
	s_or_b64 exec, exec, s[6:7]
	s_and_saveexec_b64 s[6:7], s[4:5]
	s_cbranch_execz .LBB34_1196
.LBB34_1195:
	v_bfe_u32 v2, v7, 8, 3
	v_ffbh_u32_e32 v11, v2
	v_min_u32_e32 v11, 32, v11
	v_lshrrev_b16_e32 v10, 3, v6
	v_subrev_u32_e32 v12, 28, v11
	v_and_b32_e32 v10, 15, v10
	v_lshlrev_b32_e32 v6, v12, v6
	v_sub_u32_e32 v11, 29, v11
	v_and_b32_e32 v6, 7, v6
	v_cmp_eq_u16_e32 vcc, 0, v10
	v_cndmask_b32_e32 v2, v2, v6, vcc
	v_cndmask_b32_e32 v6, v10, v11, vcc
	v_lshlrev_b32_e32 v10, 16, v7
	v_mov_b32_e32 v11, 0x3b800000
	v_lshlrev_b32_e32 v2, 20, v2
	v_and_b32_e32 v10, 0x80000000, v10
	v_lshl_add_u32 v6, v6, 23, v11
	v_or3_b32 v2, v10, v6, v2
.LBB34_1196:
	s_or_b64 exec, exec, s[6:7]
	v_lshrrev_b32_e32 v6, 8, v3
	s_movk_i32 s4, 0x7f
	v_cmp_gt_i16_sdwa s[6:7], v6, s4 src0_sel:BYTE_0 src1_sel:DWORD
	s_mov_b64 s[4:5], 0
                                        ; implicit-def: $sgpr10
	s_and_saveexec_b64 s[8:9], s[6:7]
	s_xor_b64 s[6:7], exec, s[8:9]
	s_cbranch_execnz .LBB34_3245
; %bb.1197:
	s_or_saveexec_b64 s[6:7], s[6:7]
	v_mov_b32_e32 v10, s10
	s_xor_b64 exec, exec, s[6:7]
	s_cbranch_execnz .LBB34_3248
.LBB34_1198:
	s_or_b64 exec, exec, s[6:7]
	s_and_saveexec_b64 s[6:7], s[4:5]
	s_cbranch_execz .LBB34_1200
.LBB34_1199:
	v_bfe_u32 v10, v3, 8, 3
	v_ffbh_u32_e32 v12, v10
	v_min_u32_e32 v12, 32, v12
	v_lshrrev_b16_e32 v11, 3, v6
	v_subrev_u32_e32 v13, 28, v12
	v_and_b32_e32 v11, 15, v11
	v_lshlrev_b32_e32 v6, v13, v6
	v_sub_u32_e32 v12, 29, v12
	v_and_b32_e32 v6, 7, v6
	v_cmp_eq_u16_e32 vcc, 0, v11
	v_cndmask_b32_e32 v6, v10, v6, vcc
	v_cndmask_b32_e32 v10, v11, v12, vcc
	v_lshlrev_b32_e32 v11, 16, v3
	v_mov_b32_e32 v12, 0x3b800000
	v_lshlrev_b32_e32 v6, 20, v6
	v_and_b32_e32 v11, 0x80000000, v11
	v_lshl_add_u32 v10, v10, 23, v12
	v_or3_b32 v10, v11, v10, v6
.LBB34_1200:
	s_or_b64 exec, exec, s[6:7]
	s_nop 0
	v_mfma_f32_16x16x4f32 a[0:3], v2, v10, a[0:3]
	s_movk_i32 s4, 0xff
	v_and_b32_sdwa v6, v7, s4 dst_sel:DWORD dst_unused:UNUSED_PAD src0_sel:WORD_1 src1_sel:DWORD
	s_movk_i32 s4, 0x7f
	v_cmp_lt_i16_e32 vcc, s4, v6
	s_mov_b64 s[4:5], 0
                                        ; implicit-def: $sgpr10
	s_and_saveexec_b64 s[6:7], vcc
	s_xor_b64 s[6:7], exec, s[6:7]
	s_cbranch_execnz .LBB34_3249
; %bb.1201:
	s_or_saveexec_b64 s[6:7], s[6:7]
	v_mov_b32_e32 v2, s10
	s_xor_b64 exec, exec, s[6:7]
	s_cbranch_execnz .LBB34_3252
.LBB34_1202:
	s_or_b64 exec, exec, s[6:7]
	s_and_saveexec_b64 s[6:7], s[4:5]
	s_cbranch_execz .LBB34_1204
.LBB34_1203:
	v_bfe_u32 v2, v7, 16, 3
	v_ffbh_u32_e32 v11, v2
	v_min_u32_e32 v11, 32, v11
	v_lshrrev_b32_e32 v6, 19, v7
	v_subrev_u32_e32 v12, 28, v11
	v_and_b32_e32 v6, 15, v6
	v_lshlrev_b32_sdwa v12, v12, v7 dst_sel:DWORD dst_unused:UNUSED_PAD src0_sel:DWORD src1_sel:WORD_1
	v_bfe_u32 v10, v7, 19, 4
	v_sub_u32_e32 v11, 29, v11
	v_and_b32_e32 v12, 7, v12
	v_cmp_eq_u16_e32 vcc, 0, v6
	v_cndmask_b32_e32 v2, v2, v12, vcc
	v_cndmask_b32_e32 v6, v10, v11, vcc
	v_lshlrev_b32_e32 v10, 8, v7
	v_mov_b32_e32 v11, 0x3b800000
	v_lshlrev_b32_e32 v2, 20, v2
	v_and_b32_e32 v10, 0x80000000, v10
	v_lshl_add_u32 v6, v6, 23, v11
	v_or3_b32 v2, v10, v6, v2
.LBB34_1204:
	s_or_b64 exec, exec, s[6:7]
	s_movk_i32 s4, 0xff
	v_and_b32_sdwa v6, v3, s4 dst_sel:DWORD dst_unused:UNUSED_PAD src0_sel:WORD_1 src1_sel:DWORD
	s_movk_i32 s4, 0x7f
	v_cmp_lt_i16_e32 vcc, s4, v6
	s_mov_b64 s[4:5], 0
                                        ; implicit-def: $sgpr10
	s_and_saveexec_b64 s[6:7], vcc
	s_xor_b64 s[6:7], exec, s[6:7]
	s_cbranch_execnz .LBB34_3253
; %bb.1205:
	s_or_saveexec_b64 s[6:7], s[6:7]
	v_mov_b32_e32 v10, s10
	s_xor_b64 exec, exec, s[6:7]
	s_cbranch_execnz .LBB34_3256
.LBB34_1206:
	s_or_b64 exec, exec, s[6:7]
	s_and_saveexec_b64 s[6:7], s[4:5]
	s_cbranch_execz .LBB34_1208
.LBB34_1207:
	v_bfe_u32 v6, v3, 16, 3
	v_ffbh_u32_e32 v12, v6
	v_min_u32_e32 v12, 32, v12
	v_lshrrev_b32_e32 v10, 19, v3
	v_subrev_u32_e32 v13, 28, v12
	v_and_b32_e32 v10, 15, v10
	v_lshlrev_b32_sdwa v13, v13, v3 dst_sel:DWORD dst_unused:UNUSED_PAD src0_sel:DWORD src1_sel:WORD_1
	v_bfe_u32 v11, v3, 19, 4
	v_sub_u32_e32 v12, 29, v12
	v_and_b32_e32 v13, 7, v13
	v_cmp_eq_u16_e32 vcc, 0, v10
	v_cndmask_b32_e32 v6, v6, v13, vcc
	v_cndmask_b32_e32 v10, v11, v12, vcc
	v_lshlrev_b32_e32 v11, 8, v3
	v_mov_b32_e32 v12, 0x3b800000
	v_lshlrev_b32_e32 v6, 20, v6
	v_and_b32_e32 v11, 0x80000000, v11
	v_lshl_add_u32 v10, v10, 23, v12
	v_or3_b32 v10, v11, v10, v6
.LBB34_1208:
	s_or_b64 exec, exec, s[6:7]
	s_nop 0
	v_mfma_f32_16x16x4f32 a[0:3], v2, v10, a[0:3]
	s_movk_i32 s4, 0x7f
	v_cmp_gt_i16_sdwa s[6:7], v7, s4 src0_sel:BYTE_3 src1_sel:DWORD
	s_mov_b64 s[4:5], 0
                                        ; implicit-def: $sgpr10
	s_and_saveexec_b64 s[8:9], s[6:7]
	s_xor_b64 s[6:7], exec, s[8:9]
	s_cbranch_execnz .LBB34_3257
; %bb.1209:
	s_or_saveexec_b64 s[6:7], s[6:7]
	v_mov_b32_e32 v2, s10
	s_xor_b64 exec, exec, s[6:7]
	s_cbranch_execnz .LBB34_3260
.LBB34_1210:
	s_or_b64 exec, exec, s[6:7]
	s_and_saveexec_b64 s[6:7], s[4:5]
	s_cbranch_execz .LBB34_1212
.LBB34_1211:
	v_bfe_u32 v2, v7, 24, 3
	v_ffbh_u32_e32 v12, v2
	v_min_u32_e32 v12, 32, v12
	v_lshrrev_b32_e32 v10, 27, v7
	v_subrev_u32_e32 v13, 28, v12
	v_and_b32_e32 v6, 0x80000000, v7
	v_and_b32_e32 v10, 15, v10
	v_bfe_u32 v11, v7, 27, 4
	v_lshlrev_b32_sdwa v7, v13, v7 dst_sel:DWORD dst_unused:UNUSED_PAD src0_sel:DWORD src1_sel:BYTE_3
	v_sub_u32_e32 v12, 29, v12
	v_and_b32_e32 v7, 7, v7
	v_cmp_eq_u16_e32 vcc, 0, v10
	v_cndmask_b32_e32 v2, v2, v7, vcc
	v_cndmask_b32_e32 v7, v11, v12, vcc
	v_mov_b32_e32 v10, 0x3b800000
	v_lshlrev_b32_e32 v2, 20, v2
	v_lshl_add_u32 v7, v7, 23, v10
	v_or3_b32 v2, v6, v7, v2
.LBB34_1212:
	s_or_b64 exec, exec, s[6:7]
	s_movk_i32 s4, 0x7f
	v_cmp_gt_i16_sdwa s[6:7], v3, s4 src0_sel:BYTE_3 src1_sel:DWORD
	s_mov_b64 s[4:5], 0
                                        ; implicit-def: $sgpr10
	s_and_saveexec_b64 s[8:9], s[6:7]
	s_xor_b64 s[6:7], exec, s[8:9]
	s_cbranch_execnz .LBB34_3261
; %bb.1213:
	s_or_saveexec_b64 s[6:7], s[6:7]
	v_mov_b32_e32 v6, s10
	s_xor_b64 exec, exec, s[6:7]
	s_cbranch_execnz .LBB34_3264
.LBB34_1214:
	s_or_b64 exec, exec, s[6:7]
	s_and_saveexec_b64 s[6:7], s[4:5]
	s_cbranch_execz .LBB34_1216
.LBB34_1215:
	v_bfe_u32 v6, v3, 24, 3
	v_ffbh_u32_e32 v12, v6
	v_min_u32_e32 v12, 32, v12
	v_lshrrev_b32_e32 v10, 27, v3
	v_subrev_u32_e32 v13, 28, v12
	v_and_b32_e32 v7, 0x80000000, v3
	v_and_b32_e32 v10, 15, v10
	v_bfe_u32 v11, v3, 27, 4
	v_lshlrev_b32_sdwa v3, v13, v3 dst_sel:DWORD dst_unused:UNUSED_PAD src0_sel:DWORD src1_sel:BYTE_3
	v_sub_u32_e32 v12, 29, v12
	v_and_b32_e32 v3, 7, v3
	v_cmp_eq_u16_e32 vcc, 0, v10
	v_cndmask_b32_e32 v3, v6, v3, vcc
	v_cndmask_b32_e32 v6, v11, v12, vcc
	v_mov_b32_e32 v10, 0x3b800000
	v_lshlrev_b32_e32 v3, 20, v3
	v_lshl_add_u32 v6, v6, 23, v10
	v_or3_b32 v6, v7, v6, v3
.LBB34_1216:
	s_or_b64 exec, exec, s[6:7]
	s_nop 0
	v_mfma_f32_16x16x4f32 a[0:3], v2, v6, a[0:3]
	s_movk_i32 s4, 0x7f
	v_cmp_gt_i16_sdwa s[6:7], v8, s4 src0_sel:BYTE_0 src1_sel:DWORD
	s_mov_b64 s[4:5], 0
                                        ; implicit-def: $sgpr10
	s_and_saveexec_b64 s[8:9], s[6:7]
	s_xor_b64 s[6:7], exec, s[8:9]
	s_cbranch_execnz .LBB34_3265
; %bb.1217:
	s_or_saveexec_b64 s[6:7], s[6:7]
	v_mov_b32_e32 v2, s10
	s_xor_b64 exec, exec, s[6:7]
	s_cbranch_execnz .LBB34_3268
.LBB34_1218:
	s_or_b64 exec, exec, s[6:7]
	s_and_saveexec_b64 s[6:7], s[4:5]
	s_cbranch_execz .LBB34_1220
.LBB34_1219:
	v_and_b32_e32 v2, 7, v8
	v_ffbh_u32_e32 v6, v2
	v_min_u32_e32 v6, 32, v6
	v_lshrrev_b16_e32 v3, 3, v8
	v_subrev_u32_e32 v7, 28, v6
	v_and_b32_e32 v3, 15, v3
	v_lshlrev_b32_e32 v7, v7, v8
	v_sub_u32_e32 v6, 29, v6
	v_and_b32_e32 v7, 7, v7
	v_cmp_eq_u16_e32 vcc, 0, v3
	v_cndmask_b32_e32 v2, v2, v7, vcc
	v_cndmask_b32_e32 v3, v3, v6, vcc
	v_lshlrev_b32_e32 v6, 24, v8
	v_mov_b32_e32 v7, 0x3b800000
	v_lshlrev_b32_e32 v2, 20, v2
	v_and_b32_e32 v6, 0x80000000, v6
	v_lshl_add_u32 v3, v3, 23, v7
	v_or3_b32 v2, v6, v3, v2
.LBB34_1220:
	s_or_b64 exec, exec, s[6:7]
	s_movk_i32 s4, 0x7f
	v_cmp_gt_i16_sdwa s[6:7], v4, s4 src0_sel:BYTE_0 src1_sel:DWORD
	s_mov_b64 s[4:5], 0
                                        ; implicit-def: $sgpr10
	s_and_saveexec_b64 s[8:9], s[6:7]
	s_xor_b64 s[6:7], exec, s[8:9]
	s_cbranch_execnz .LBB34_3269
; %bb.1221:
	s_or_saveexec_b64 s[6:7], s[6:7]
	v_mov_b32_e32 v3, s10
	s_xor_b64 exec, exec, s[6:7]
	s_cbranch_execnz .LBB34_3272
.LBB34_1222:
	s_or_b64 exec, exec, s[6:7]
	s_and_saveexec_b64 s[6:7], s[4:5]
	s_cbranch_execz .LBB34_1224
.LBB34_1223:
	v_and_b32_e32 v3, 7, v4
	v_ffbh_u32_e32 v7, v3
	v_min_u32_e32 v7, 32, v7
	v_lshrrev_b16_e32 v6, 3, v4
	v_subrev_u32_e32 v10, 28, v7
	v_and_b32_e32 v6, 15, v6
	v_lshlrev_b32_e32 v10, v10, v4
	v_sub_u32_e32 v7, 29, v7
	v_and_b32_e32 v10, 7, v10
	v_cmp_eq_u16_e32 vcc, 0, v6
	v_cndmask_b32_e32 v3, v3, v10, vcc
	v_cndmask_b32_e32 v6, v6, v7, vcc
	v_lshlrev_b32_e32 v7, 24, v4
	v_mov_b32_e32 v10, 0x3b800000
	v_lshlrev_b32_e32 v3, 20, v3
	v_and_b32_e32 v7, 0x80000000, v7
	v_lshl_add_u32 v6, v6, 23, v10
	v_or3_b32 v3, v7, v6, v3
.LBB34_1224:
	s_or_b64 exec, exec, s[6:7]
	s_nop 0
	v_mfma_f32_16x16x4f32 a[0:3], v2, v3, a[0:3]
	v_lshrrev_b32_e32 v3, 8, v8
	s_movk_i32 s4, 0x7f
	v_cmp_gt_i16_sdwa s[6:7], v3, s4 src0_sel:BYTE_0 src1_sel:DWORD
	s_mov_b64 s[4:5], 0
                                        ; implicit-def: $sgpr10
	s_and_saveexec_b64 s[8:9], s[6:7]
	s_xor_b64 s[6:7], exec, s[8:9]
	s_cbranch_execnz .LBB34_3273
; %bb.1225:
	s_or_saveexec_b64 s[6:7], s[6:7]
	v_mov_b32_e32 v2, s10
	s_xor_b64 exec, exec, s[6:7]
	s_cbranch_execnz .LBB34_3276
.LBB34_1226:
	s_or_b64 exec, exec, s[6:7]
	s_and_saveexec_b64 s[6:7], s[4:5]
	s_cbranch_execz .LBB34_1228
.LBB34_1227:
	v_bfe_u32 v2, v8, 8, 3
	v_ffbh_u32_e32 v7, v2
	v_min_u32_e32 v7, 32, v7
	v_lshrrev_b16_e32 v6, 3, v3
	v_subrev_u32_e32 v10, 28, v7
	v_and_b32_e32 v6, 15, v6
	v_lshlrev_b32_e32 v3, v10, v3
	v_sub_u32_e32 v7, 29, v7
	v_and_b32_e32 v3, 7, v3
	v_cmp_eq_u16_e32 vcc, 0, v6
	v_cndmask_b32_e32 v2, v2, v3, vcc
	v_cndmask_b32_e32 v3, v6, v7, vcc
	v_lshlrev_b32_e32 v6, 16, v8
	v_mov_b32_e32 v7, 0x3b800000
	v_lshlrev_b32_e32 v2, 20, v2
	v_and_b32_e32 v6, 0x80000000, v6
	v_lshl_add_u32 v3, v3, 23, v7
	v_or3_b32 v2, v6, v3, v2
.LBB34_1228:
	s_or_b64 exec, exec, s[6:7]
	v_lshrrev_b32_e32 v3, 8, v4
	s_movk_i32 s4, 0x7f
	v_cmp_gt_i16_sdwa s[6:7], v3, s4 src0_sel:BYTE_0 src1_sel:DWORD
	s_mov_b64 s[4:5], 0
                                        ; implicit-def: $sgpr10
	s_and_saveexec_b64 s[8:9], s[6:7]
	s_xor_b64 s[6:7], exec, s[8:9]
	s_cbranch_execnz .LBB34_3277
; %bb.1229:
	s_or_saveexec_b64 s[6:7], s[6:7]
	v_mov_b32_e32 v6, s10
	s_xor_b64 exec, exec, s[6:7]
	s_cbranch_execnz .LBB34_3280
.LBB34_1230:
	s_or_b64 exec, exec, s[6:7]
	s_and_saveexec_b64 s[6:7], s[4:5]
	s_cbranch_execz .LBB34_1232
.LBB34_1231:
	v_bfe_u32 v6, v4, 8, 3
	v_ffbh_u32_e32 v10, v6
	v_min_u32_e32 v10, 32, v10
	v_lshrrev_b16_e32 v7, 3, v3
	v_subrev_u32_e32 v11, 28, v10
	v_and_b32_e32 v7, 15, v7
	v_lshlrev_b32_e32 v3, v11, v3
	v_sub_u32_e32 v10, 29, v10
	v_and_b32_e32 v3, 7, v3
	v_cmp_eq_u16_e32 vcc, 0, v7
	v_cndmask_b32_e32 v3, v6, v3, vcc
	v_cndmask_b32_e32 v6, v7, v10, vcc
	v_lshlrev_b32_e32 v7, 16, v4
	v_mov_b32_e32 v10, 0x3b800000
	v_lshlrev_b32_e32 v3, 20, v3
	v_and_b32_e32 v7, 0x80000000, v7
	v_lshl_add_u32 v6, v6, 23, v10
	v_or3_b32 v6, v7, v6, v3
.LBB34_1232:
	s_or_b64 exec, exec, s[6:7]
	s_nop 0
	v_mfma_f32_16x16x4f32 a[0:3], v2, v6, a[0:3]
	s_movk_i32 s4, 0xff
	v_and_b32_sdwa v3, v8, s4 dst_sel:DWORD dst_unused:UNUSED_PAD src0_sel:WORD_1 src1_sel:DWORD
	s_movk_i32 s4, 0x7f
	v_cmp_lt_i16_e32 vcc, s4, v3
	s_mov_b64 s[4:5], 0
                                        ; implicit-def: $sgpr10
	s_and_saveexec_b64 s[6:7], vcc
	s_xor_b64 s[6:7], exec, s[6:7]
	s_cbranch_execnz .LBB34_3281
; %bb.1233:
	s_or_saveexec_b64 s[6:7], s[6:7]
	v_mov_b32_e32 v2, s10
	s_xor_b64 exec, exec, s[6:7]
	s_cbranch_execnz .LBB34_3284
.LBB34_1234:
	s_or_b64 exec, exec, s[6:7]
	s_and_saveexec_b64 s[6:7], s[4:5]
	s_cbranch_execz .LBB34_1236
.LBB34_1235:
	v_bfe_u32 v2, v8, 16, 3
	v_ffbh_u32_e32 v7, v2
	v_min_u32_e32 v7, 32, v7
	v_lshrrev_b32_e32 v3, 19, v8
	v_subrev_u32_e32 v10, 28, v7
	v_and_b32_e32 v3, 15, v3
	v_lshlrev_b32_sdwa v10, v10, v8 dst_sel:DWORD dst_unused:UNUSED_PAD src0_sel:DWORD src1_sel:WORD_1
	v_bfe_u32 v6, v8, 19, 4
	v_sub_u32_e32 v7, 29, v7
	v_and_b32_e32 v10, 7, v10
	v_cmp_eq_u16_e32 vcc, 0, v3
	v_cndmask_b32_e32 v2, v2, v10, vcc
	v_cndmask_b32_e32 v3, v6, v7, vcc
	v_lshlrev_b32_e32 v6, 8, v8
	v_mov_b32_e32 v7, 0x3b800000
	v_lshlrev_b32_e32 v2, 20, v2
	v_and_b32_e32 v6, 0x80000000, v6
	v_lshl_add_u32 v3, v3, 23, v7
	v_or3_b32 v2, v6, v3, v2
.LBB34_1236:
	s_or_b64 exec, exec, s[6:7]
	s_movk_i32 s4, 0xff
	v_and_b32_sdwa v3, v4, s4 dst_sel:DWORD dst_unused:UNUSED_PAD src0_sel:WORD_1 src1_sel:DWORD
	s_movk_i32 s4, 0x7f
	v_cmp_lt_i16_e32 vcc, s4, v3
	s_mov_b64 s[4:5], 0
                                        ; implicit-def: $sgpr10
	s_and_saveexec_b64 s[6:7], vcc
	s_xor_b64 s[6:7], exec, s[6:7]
	s_cbranch_execnz .LBB34_3285
; %bb.1237:
	s_or_saveexec_b64 s[6:7], s[6:7]
	v_mov_b32_e32 v6, s10
	s_xor_b64 exec, exec, s[6:7]
	s_cbranch_execnz .LBB34_3288
.LBB34_1238:
	s_or_b64 exec, exec, s[6:7]
	s_and_saveexec_b64 s[6:7], s[4:5]
	s_cbranch_execz .LBB34_1240
.LBB34_1239:
	v_bfe_u32 v3, v4, 16, 3
	v_ffbh_u32_e32 v10, v3
	v_min_u32_e32 v10, 32, v10
	v_lshrrev_b32_e32 v6, 19, v4
	v_subrev_u32_e32 v11, 28, v10
	v_and_b32_e32 v6, 15, v6
	v_lshlrev_b32_sdwa v11, v11, v4 dst_sel:DWORD dst_unused:UNUSED_PAD src0_sel:DWORD src1_sel:WORD_1
	v_bfe_u32 v7, v4, 19, 4
	v_sub_u32_e32 v10, 29, v10
	v_and_b32_e32 v11, 7, v11
	v_cmp_eq_u16_e32 vcc, 0, v6
	v_cndmask_b32_e32 v3, v3, v11, vcc
	v_cndmask_b32_e32 v6, v7, v10, vcc
	v_lshlrev_b32_e32 v7, 8, v4
	v_mov_b32_e32 v10, 0x3b800000
	v_lshlrev_b32_e32 v3, 20, v3
	v_and_b32_e32 v7, 0x80000000, v7
	v_lshl_add_u32 v6, v6, 23, v10
	v_or3_b32 v6, v7, v6, v3
.LBB34_1240:
	s_or_b64 exec, exec, s[6:7]
	s_nop 0
	v_mfma_f32_16x16x4f32 a[0:3], v2, v6, a[0:3]
	s_movk_i32 s4, 0x7f
	v_cmp_gt_i16_sdwa s[6:7], v8, s4 src0_sel:BYTE_3 src1_sel:DWORD
	s_mov_b64 s[4:5], 0
                                        ; implicit-def: $sgpr10
	s_and_saveexec_b64 s[8:9], s[6:7]
	s_xor_b64 s[6:7], exec, s[8:9]
	s_cbranch_execnz .LBB34_3289
; %bb.1241:
	s_or_saveexec_b64 s[6:7], s[6:7]
	v_mov_b32_e32 v2, s10
	s_xor_b64 exec, exec, s[6:7]
	s_cbranch_execnz .LBB34_3292
.LBB34_1242:
	s_or_b64 exec, exec, s[6:7]
	s_and_saveexec_b64 s[6:7], s[4:5]
	s_cbranch_execz .LBB34_1244
.LBB34_1243:
	v_bfe_u32 v2, v8, 24, 3
	v_ffbh_u32_e32 v10, v2
	v_min_u32_e32 v10, 32, v10
	v_lshrrev_b32_e32 v6, 27, v8
	v_subrev_u32_e32 v11, 28, v10
	v_and_b32_e32 v3, 0x80000000, v8
	v_and_b32_e32 v6, 15, v6
	v_bfe_u32 v7, v8, 27, 4
	v_lshlrev_b32_sdwa v8, v11, v8 dst_sel:DWORD dst_unused:UNUSED_PAD src0_sel:DWORD src1_sel:BYTE_3
	v_sub_u32_e32 v10, 29, v10
	v_and_b32_e32 v8, 7, v8
	v_cmp_eq_u16_e32 vcc, 0, v6
	v_cndmask_b32_e32 v2, v2, v8, vcc
	v_cndmask_b32_e32 v6, v7, v10, vcc
	v_mov_b32_e32 v7, 0x3b800000
	v_lshlrev_b32_e32 v2, 20, v2
	v_lshl_add_u32 v6, v6, 23, v7
	v_or3_b32 v2, v3, v6, v2
.LBB34_1244:
	s_or_b64 exec, exec, s[6:7]
	s_movk_i32 s4, 0x7f
	v_cmp_gt_i16_sdwa s[6:7], v4, s4 src0_sel:BYTE_3 src1_sel:DWORD
	s_mov_b64 s[4:5], 0
                                        ; implicit-def: $sgpr10
	s_and_saveexec_b64 s[8:9], s[6:7]
	s_xor_b64 s[6:7], exec, s[8:9]
	s_cbranch_execnz .LBB34_3293
; %bb.1245:
	s_or_saveexec_b64 s[6:7], s[6:7]
	v_mov_b32_e32 v3, s10
	s_xor_b64 exec, exec, s[6:7]
	s_cbranch_execnz .LBB34_3296
.LBB34_1246:
	s_or_b64 exec, exec, s[6:7]
	s_and_saveexec_b64 s[6:7], s[4:5]
	s_cbranch_execz .LBB34_1248
.LBB34_1247:
	v_bfe_u32 v3, v4, 24, 3
	v_ffbh_u32_e32 v10, v3
	v_min_u32_e32 v10, 32, v10
	v_lshrrev_b32_e32 v7, 27, v4
	v_subrev_u32_e32 v11, 28, v10
	v_and_b32_e32 v6, 0x80000000, v4
	v_and_b32_e32 v7, 15, v7
	v_bfe_u32 v8, v4, 27, 4
	v_lshlrev_b32_sdwa v4, v11, v4 dst_sel:DWORD dst_unused:UNUSED_PAD src0_sel:DWORD src1_sel:BYTE_3
	v_sub_u32_e32 v10, 29, v10
	v_and_b32_e32 v4, 7, v4
	v_cmp_eq_u16_e32 vcc, 0, v7
	v_cndmask_b32_e32 v3, v3, v4, vcc
	v_cndmask_b32_e32 v4, v8, v10, vcc
	v_mov_b32_e32 v7, 0x3b800000
	v_lshlrev_b32_e32 v3, 20, v3
	v_lshl_add_u32 v4, v4, 23, v7
	v_or3_b32 v3, v6, v4, v3
.LBB34_1248:
	s_or_b64 exec, exec, s[6:7]
	s_nop 0
	v_mfma_f32_16x16x4f32 a[0:3], v2, v3, a[0:3]
	s_movk_i32 s4, 0x7f
	v_cmp_gt_i16_sdwa s[6:7], v9, s4 src0_sel:BYTE_0 src1_sel:DWORD
	s_mov_b64 s[4:5], 0
                                        ; implicit-def: $sgpr10
	s_and_saveexec_b64 s[8:9], s[6:7]
	s_xor_b64 s[6:7], exec, s[8:9]
	s_cbranch_execnz .LBB34_3297
; %bb.1249:
	s_or_saveexec_b64 s[6:7], s[6:7]
	v_mov_b32_e32 v2, s10
	s_xor_b64 exec, exec, s[6:7]
	s_cbranch_execnz .LBB34_3300
.LBB34_1250:
	s_or_b64 exec, exec, s[6:7]
	s_and_saveexec_b64 s[6:7], s[4:5]
	s_cbranch_execz .LBB34_1252
.LBB34_1251:
	v_mov_b32_e32 v2, 8
	v_and_b32_e32 v3, 7, v9
	v_lshrrev_b32_sdwa v2, v2, v9 dst_sel:BYTE_1 dst_unused:UNUSED_PAD src0_sel:DWORD src1_sel:DWORD
	v_ffbh_u32_e32 v4, v3
	v_or_b32_sdwa v2, v9, v2 dst_sel:DWORD dst_unused:UNUSED_PAD src0_sel:BYTE_0 src1_sel:DWORD
	v_min_u32_e32 v4, 32, v4
	v_lshrrev_b16_e32 v2, 3, v2
	v_subrev_u32_e32 v6, 28, v4
	v_and_b32_e32 v2, 15, v2
	v_lshlrev_b32_e32 v6, v6, v9
	v_sub_u32_e32 v4, 29, v4
	v_and_b32_e32 v6, 7, v6
	v_cmp_eq_u16_e32 vcc, 0, v2
	v_cndmask_b32_e32 v3, v3, v6, vcc
	v_cndmask_b32_e32 v2, v2, v4, vcc
	v_lshlrev_b32_e32 v4, 24, v9
	v_mov_b32_e32 v6, 0x3b800000
	v_lshlrev_b32_e32 v3, 20, v3
	v_and_b32_e32 v4, 0x80000000, v4
	v_lshl_add_u32 v2, v2, 23, v6
	v_or3_b32 v2, v4, v2, v3
.LBB34_1252:
	s_or_b64 exec, exec, s[6:7]
	s_movk_i32 s4, 0x7f
	v_cmp_gt_i16_sdwa s[6:7], v5, s4 src0_sel:BYTE_0 src1_sel:DWORD
	s_mov_b64 s[4:5], 0
                                        ; implicit-def: $sgpr10
	s_and_saveexec_b64 s[8:9], s[6:7]
	s_xor_b64 s[6:7], exec, s[8:9]
	s_cbranch_execnz .LBB34_3301
; %bb.1253:
	s_or_saveexec_b64 s[6:7], s[6:7]
	v_mov_b32_e32 v3, s10
	s_xor_b64 exec, exec, s[6:7]
	s_cbranch_execnz .LBB34_3304
.LBB34_1254:
	s_or_b64 exec, exec, s[6:7]
	s_and_saveexec_b64 s[6:7], s[4:5]
	s_cbranch_execz .LBB34_1256
.LBB34_1255:
	v_mov_b32_e32 v3, 8
	v_and_b32_e32 v4, 7, v5
	v_lshrrev_b32_sdwa v3, v3, v5 dst_sel:BYTE_1 dst_unused:UNUSED_PAD src0_sel:DWORD src1_sel:DWORD
	v_ffbh_u32_e32 v6, v4
	v_or_b32_sdwa v3, v5, v3 dst_sel:DWORD dst_unused:UNUSED_PAD src0_sel:BYTE_0 src1_sel:DWORD
	v_min_u32_e32 v6, 32, v6
	v_lshrrev_b16_e32 v3, 3, v3
	v_subrev_u32_e32 v7, 28, v6
	v_and_b32_e32 v3, 15, v3
	v_lshlrev_b32_e32 v7, v7, v5
	v_sub_u32_e32 v6, 29, v6
	v_and_b32_e32 v7, 7, v7
	v_cmp_eq_u16_e32 vcc, 0, v3
	v_cndmask_b32_e32 v4, v4, v7, vcc
	v_cndmask_b32_e32 v3, v3, v6, vcc
	v_lshlrev_b32_e32 v6, 24, v5
	v_mov_b32_e32 v7, 0x3b800000
	v_lshlrev_b32_e32 v4, 20, v4
	v_and_b32_e32 v6, 0x80000000, v6
	v_lshl_add_u32 v3, v3, 23, v7
	v_or3_b32 v3, v6, v3, v4
.LBB34_1256:
	s_or_b64 exec, exec, s[6:7]
	s_nop 0
	v_mfma_f32_16x16x4f32 a[0:3], v2, v3, a[0:3]
	v_lshrrev_b32_e32 v3, 8, v9
	s_movk_i32 s4, 0x7f
	v_cmp_gt_i16_sdwa s[6:7], v3, s4 src0_sel:BYTE_0 src1_sel:DWORD
	s_mov_b64 s[4:5], 0
                                        ; implicit-def: $sgpr10
	s_and_saveexec_b64 s[8:9], s[6:7]
	s_xor_b64 s[6:7], exec, s[8:9]
	s_cbranch_execnz .LBB34_3305
; %bb.1257:
	s_or_saveexec_b64 s[6:7], s[6:7]
	v_mov_b32_e32 v2, s10
	s_xor_b64 exec, exec, s[6:7]
	s_cbranch_execnz .LBB34_3308
.LBB34_1258:
	s_or_b64 exec, exec, s[6:7]
	s_and_saveexec_b64 s[6:7], s[4:5]
	s_cbranch_execz .LBB34_1260
.LBB34_1259:
	v_bfe_u32 v2, v9, 8, 3
	v_ffbh_u32_e32 v6, v2
	v_min_u32_e32 v6, 32, v6
	v_lshrrev_b16_e32 v4, 3, v3
	v_subrev_u32_e32 v7, 28, v6
	v_and_b32_e32 v4, 15, v4
	v_lshlrev_b32_e32 v3, v7, v3
	v_sub_u32_e32 v6, 29, v6
	v_and_b32_e32 v3, 7, v3
	v_cmp_eq_u16_e32 vcc, 0, v4
	v_cndmask_b32_e32 v2, v2, v3, vcc
	v_cndmask_b32_e32 v3, v4, v6, vcc
	v_lshlrev_b32_e32 v4, 16, v9
	v_mov_b32_e32 v6, 0x3b800000
	v_lshlrev_b32_e32 v2, 20, v2
	v_and_b32_e32 v4, 0x80000000, v4
	v_lshl_add_u32 v3, v3, 23, v6
	v_or3_b32 v2, v4, v3, v2
.LBB34_1260:
	s_or_b64 exec, exec, s[6:7]
	v_lshrrev_b32_e32 v3, 8, v5
	s_movk_i32 s4, 0x7f
	v_cmp_gt_i16_sdwa s[6:7], v3, s4 src0_sel:BYTE_0 src1_sel:DWORD
	s_mov_b64 s[4:5], 0
                                        ; implicit-def: $sgpr10
	s_and_saveexec_b64 s[8:9], s[6:7]
	s_xor_b64 s[6:7], exec, s[8:9]
	s_cbranch_execnz .LBB34_3309
; %bb.1261:
	s_or_saveexec_b64 s[6:7], s[6:7]
	v_mov_b32_e32 v4, s10
	s_xor_b64 exec, exec, s[6:7]
	s_cbranch_execnz .LBB34_3312
.LBB34_1262:
	s_or_b64 exec, exec, s[6:7]
	s_and_saveexec_b64 s[6:7], s[4:5]
	s_cbranch_execz .LBB34_1264
.LBB34_1263:
	v_bfe_u32 v4, v5, 8, 3
	v_ffbh_u32_e32 v7, v4
	v_min_u32_e32 v7, 32, v7
	v_lshrrev_b16_e32 v6, 3, v3
	v_subrev_u32_e32 v8, 28, v7
	v_and_b32_e32 v6, 15, v6
	v_lshlrev_b32_e32 v3, v8, v3
	v_sub_u32_e32 v7, 29, v7
	v_and_b32_e32 v3, 7, v3
	v_cmp_eq_u16_e32 vcc, 0, v6
	v_cndmask_b32_e32 v3, v4, v3, vcc
	v_cndmask_b32_e32 v4, v6, v7, vcc
	v_lshlrev_b32_e32 v6, 16, v5
	v_mov_b32_e32 v7, 0x3b800000
	v_lshlrev_b32_e32 v3, 20, v3
	v_and_b32_e32 v6, 0x80000000, v6
	v_lshl_add_u32 v4, v4, 23, v7
	v_or3_b32 v4, v6, v4, v3
.LBB34_1264:
	s_or_b64 exec, exec, s[6:7]
	s_nop 0
	v_mfma_f32_16x16x4f32 a[0:3], v2, v4, a[0:3]
	s_movk_i32 s4, 0xff
	v_and_b32_sdwa v3, v9, s4 dst_sel:DWORD dst_unused:UNUSED_PAD src0_sel:WORD_1 src1_sel:DWORD
	s_movk_i32 s4, 0x7f
	v_cmp_lt_i16_e32 vcc, s4, v3
	s_mov_b64 s[4:5], 0
                                        ; implicit-def: $sgpr10
	s_and_saveexec_b64 s[6:7], vcc
	s_xor_b64 s[6:7], exec, s[6:7]
	s_cbranch_execnz .LBB34_3313
; %bb.1265:
	s_or_saveexec_b64 s[6:7], s[6:7]
	v_mov_b32_e32 v2, s10
	s_xor_b64 exec, exec, s[6:7]
	s_cbranch_execnz .LBB34_3316
.LBB34_1266:
	s_or_b64 exec, exec, s[6:7]
	s_and_saveexec_b64 s[6:7], s[4:5]
	s_cbranch_execz .LBB34_1268
.LBB34_1267:
	v_bfe_u32 v2, v9, 16, 3
	v_ffbh_u32_e32 v6, v2
	v_min_u32_e32 v6, 32, v6
	v_lshrrev_b32_e32 v3, 19, v9
	v_subrev_u32_e32 v7, 28, v6
	v_and_b32_e32 v3, 15, v3
	v_lshlrev_b32_sdwa v7, v7, v9 dst_sel:DWORD dst_unused:UNUSED_PAD src0_sel:DWORD src1_sel:WORD_1
	v_bfe_u32 v4, v9, 19, 4
	v_sub_u32_e32 v6, 29, v6
	v_and_b32_e32 v7, 7, v7
	v_cmp_eq_u16_e32 vcc, 0, v3
	v_cndmask_b32_e32 v2, v2, v7, vcc
	v_cndmask_b32_e32 v3, v4, v6, vcc
	v_lshlrev_b32_e32 v4, 8, v9
	v_mov_b32_e32 v6, 0x3b800000
	v_lshlrev_b32_e32 v2, 20, v2
	v_and_b32_e32 v4, 0x80000000, v4
	v_lshl_add_u32 v3, v3, 23, v6
	v_or3_b32 v2, v4, v3, v2
.LBB34_1268:
	s_or_b64 exec, exec, s[6:7]
	s_movk_i32 s4, 0xff
	v_and_b32_sdwa v3, v5, s4 dst_sel:DWORD dst_unused:UNUSED_PAD src0_sel:WORD_1 src1_sel:DWORD
	s_movk_i32 s4, 0x7f
	v_cmp_lt_i16_e32 vcc, s4, v3
	s_mov_b64 s[4:5], 0
                                        ; implicit-def: $sgpr10
	s_and_saveexec_b64 s[6:7], vcc
	s_xor_b64 s[6:7], exec, s[6:7]
	s_cbranch_execnz .LBB34_3317
; %bb.1269:
	s_or_saveexec_b64 s[6:7], s[6:7]
	v_mov_b32_e32 v4, s10
	s_xor_b64 exec, exec, s[6:7]
	s_cbranch_execnz .LBB34_3320
.LBB34_1270:
	s_or_b64 exec, exec, s[6:7]
	s_and_saveexec_b64 s[6:7], s[4:5]
	s_cbranch_execz .LBB34_1272
.LBB34_1271:
	v_bfe_u32 v3, v5, 16, 3
	v_ffbh_u32_e32 v7, v3
	v_min_u32_e32 v7, 32, v7
	v_lshrrev_b32_e32 v4, 19, v5
	v_subrev_u32_e32 v8, 28, v7
	v_and_b32_e32 v4, 15, v4
	v_lshlrev_b32_sdwa v8, v8, v5 dst_sel:DWORD dst_unused:UNUSED_PAD src0_sel:DWORD src1_sel:WORD_1
	v_bfe_u32 v6, v5, 19, 4
	v_sub_u32_e32 v7, 29, v7
	v_and_b32_e32 v8, 7, v8
	v_cmp_eq_u16_e32 vcc, 0, v4
	v_cndmask_b32_e32 v3, v3, v8, vcc
	v_cndmask_b32_e32 v4, v6, v7, vcc
	v_lshlrev_b32_e32 v6, 8, v5
	v_mov_b32_e32 v7, 0x3b800000
	v_lshlrev_b32_e32 v3, 20, v3
	v_and_b32_e32 v6, 0x80000000, v6
	v_lshl_add_u32 v4, v4, 23, v7
	v_or3_b32 v4, v6, v4, v3
.LBB34_1272:
	s_or_b64 exec, exec, s[6:7]
	s_nop 0
	v_mfma_f32_16x16x4f32 a[0:3], v2, v4, a[0:3]
	s_movk_i32 s4, 0x7f
	v_cmp_gt_i16_sdwa s[6:7], v9, s4 src0_sel:BYTE_3 src1_sel:DWORD
	s_mov_b64 s[4:5], 0
                                        ; implicit-def: $sgpr10
	s_and_saveexec_b64 s[8:9], s[6:7]
	s_xor_b64 s[6:7], exec, s[8:9]
	s_cbranch_execnz .LBB34_3321
; %bb.1273:
	s_or_saveexec_b64 s[6:7], s[6:7]
	v_mov_b32_e32 v2, s10
	s_xor_b64 exec, exec, s[6:7]
	s_cbranch_execnz .LBB34_3324
.LBB34_1274:
	s_or_b64 exec, exec, s[6:7]
	s_and_saveexec_b64 s[6:7], s[4:5]
	s_cbranch_execz .LBB34_1276
.LBB34_1275:
	v_bfe_u32 v2, v9, 24, 3
	v_ffbh_u32_e32 v7, v2
	v_min_u32_e32 v7, 32, v7
	v_lshrrev_b32_e32 v4, 27, v9
	v_subrev_u32_e32 v8, 28, v7
	v_and_b32_e32 v4, 15, v4
	v_lshlrev_b32_sdwa v8, v8, v9 dst_sel:DWORD dst_unused:UNUSED_PAD src0_sel:DWORD src1_sel:BYTE_3
	v_bfe_u32 v6, v9, 27, 4
	v_sub_u32_e32 v7, 29, v7
	v_and_b32_e32 v8, 7, v8
	v_cmp_eq_u16_e32 vcc, 0, v4
	v_cndmask_b32_e32 v2, v2, v8, vcc
	v_cndmask_b32_e32 v4, v6, v7, vcc
	v_mov_b32_e32 v6, 0x3b800000
	v_and_b32_e32 v3, 0x80000000, v9
	v_lshlrev_b32_e32 v2, 20, v2
	v_lshl_add_u32 v4, v4, 23, v6
	v_or3_b32 v2, v3, v4, v2
.LBB34_1276:
	s_or_b64 exec, exec, s[6:7]
	s_movk_i32 s4, 0x7f
	v_cmp_gt_i16_sdwa s[6:7], v5, s4 src0_sel:BYTE_3 src1_sel:DWORD
	s_mov_b64 s[4:5], 0
                                        ; implicit-def: $sgpr10
	s_and_saveexec_b64 s[8:9], s[6:7]
	s_xor_b64 s[6:7], exec, s[8:9]
	s_cbranch_execnz .LBB34_3325
; %bb.1277:
	s_or_saveexec_b64 s[6:7], s[6:7]
	v_mov_b32_e32 v3, s10
	s_xor_b64 exec, exec, s[6:7]
	s_cbranch_execnz .LBB34_3328
.LBB34_1278:
	s_or_b64 exec, exec, s[6:7]
	s_and_saveexec_b64 s[6:7], s[4:5]
	s_cbranch_execz .LBB34_1280
.LBB34_1279:
	v_bfe_u32 v3, v5, 24, 3
	v_ffbh_u32_e32 v8, v3
	v_min_u32_e32 v8, 32, v8
	v_lshrrev_b32_e32 v6, 27, v5
	v_subrev_u32_e32 v9, 28, v8
	v_and_b32_e32 v4, 0x80000000, v5
	v_and_b32_e32 v6, 15, v6
	v_bfe_u32 v7, v5, 27, 4
	v_lshlrev_b32_sdwa v5, v9, v5 dst_sel:DWORD dst_unused:UNUSED_PAD src0_sel:DWORD src1_sel:BYTE_3
	v_sub_u32_e32 v8, 29, v8
	v_and_b32_e32 v5, 7, v5
	v_cmp_eq_u16_e32 vcc, 0, v6
	v_cndmask_b32_e32 v3, v3, v5, vcc
	v_cndmask_b32_e32 v5, v7, v8, vcc
	v_mov_b32_e32 v6, 0x3b800000
	v_lshlrev_b32_e32 v3, 20, v3
	v_lshl_add_u32 v5, v5, 23, v6
	v_or3_b32 v3, v4, v5, v3
.LBB34_1280:
	s_or_b64 exec, exec, s[6:7]
	s_nop 0
	v_mfma_f32_16x16x4f32 a[0:3], v2, v3, a[0:3]
	s_movk_i32 s4, 0x7f
                                        ; implicit-def: $sgpr10
	s_nop 7
	s_nop 1
	flat_store_dwordx4 v[18:19], a[0:3] offset:832
	flat_load_dwordx4 v[20:23], v[0:1] offset:16
	s_nop 0
	flat_load_dwordx2 v[18:19], v[0:1] offset:32
	s_waitcnt vmcnt(0) lgkmcnt(0)
	flat_load_dwordx4 v[14:17], v[20:21]
	flat_load_dwordx4 v[6:9], v[20:21] offset:16
	flat_load_dwordx4 v[10:13], v[22:23] offset:160
	;; [unrolled: 1-line block ×3, first 2 shown]
	s_waitcnt vmcnt(0) lgkmcnt(0)
	v_cmp_gt_i16_sdwa s[6:7], v14, s4 src0_sel:BYTE_0 src1_sel:DWORD
	s_mov_b64 s[4:5], 0
	s_and_saveexec_b64 s[8:9], s[6:7]
	s_xor_b64 s[6:7], exec, s[8:9]
	s_cbranch_execnz .LBB34_3329
; %bb.1281:
	s_or_saveexec_b64 s[6:7], s[6:7]
	v_mov_b32_e32 v20, s10
	s_xor_b64 exec, exec, s[6:7]
	s_cbranch_execnz .LBB34_3332
.LBB34_1282:
	s_or_b64 exec, exec, s[6:7]
	s_and_saveexec_b64 s[6:7], s[4:5]
	s_cbranch_execz .LBB34_1284
.LBB34_1283:
	v_and_b32_e32 v20, 7, v14
	v_ffbh_u32_e32 v22, v20
	v_min_u32_e32 v22, 32, v22
	v_lshrrev_b16_e32 v21, 3, v14
	v_subrev_u32_e32 v23, 28, v22
	v_and_b32_e32 v21, 15, v21
	v_lshlrev_b32_e32 v23, v23, v14
	v_sub_u32_e32 v22, 29, v22
	v_and_b32_e32 v23, 7, v23
	v_cmp_eq_u16_e32 vcc, 0, v21
	v_cndmask_b32_e32 v20, v20, v23, vcc
	v_cndmask_b32_e32 v21, v21, v22, vcc
	v_lshlrev_b32_e32 v22, 24, v14
	v_mov_b32_e32 v23, 0x3b800000
	v_lshlrev_b32_e32 v20, 20, v20
	v_and_b32_e32 v22, 0x80000000, v22
	v_lshl_add_u32 v21, v21, 23, v23
	v_or3_b32 v20, v22, v21, v20
.LBB34_1284:
	s_or_b64 exec, exec, s[6:7]
	s_movk_i32 s4, 0x7f
	v_cmp_gt_i16_sdwa s[6:7], v10, s4 src0_sel:BYTE_0 src1_sel:DWORD
	s_mov_b64 s[4:5], 0
                                        ; implicit-def: $sgpr10
	s_and_saveexec_b64 s[8:9], s[6:7]
	s_xor_b64 s[6:7], exec, s[8:9]
	s_cbranch_execnz .LBB34_3333
; %bb.1285:
	s_or_saveexec_b64 s[6:7], s[6:7]
	v_mov_b32_e32 v21, s10
	s_xor_b64 exec, exec, s[6:7]
	s_cbranch_execnz .LBB34_3336
.LBB34_1286:
	s_or_b64 exec, exec, s[6:7]
	s_and_saveexec_b64 s[6:7], s[4:5]
	s_cbranch_execz .LBB34_1288
.LBB34_1287:
	v_and_b32_e32 v21, 7, v10
	v_ffbh_u32_e32 v23, v21
	v_min_u32_e32 v23, 32, v23
	v_lshrrev_b16_e32 v22, 3, v10
	v_subrev_u32_e32 v24, 28, v23
	v_and_b32_e32 v22, 15, v22
	v_lshlrev_b32_e32 v24, v24, v10
	v_sub_u32_e32 v23, 29, v23
	v_and_b32_e32 v24, 7, v24
	v_cmp_eq_u16_e32 vcc, 0, v22
	v_cndmask_b32_e32 v21, v21, v24, vcc
	v_cndmask_b32_e32 v22, v22, v23, vcc
	v_lshlrev_b32_e32 v23, 24, v10
	v_mov_b32_e32 v24, 0x3b800000
	v_lshlrev_b32_e32 v21, 20, v21
	v_and_b32_e32 v23, 0x80000000, v23
	v_lshl_add_u32 v22, v22, 23, v24
	v_or3_b32 v21, v23, v22, v21
.LBB34_1288:
	s_or_b64 exec, exec, s[6:7]
	flat_load_dwordx4 a[0:3], v[18:19] offset:848
	s_movk_i32 s4, 0x7f
                                        ; implicit-def: $sgpr10
	s_waitcnt vmcnt(0) lgkmcnt(0)
	v_mfma_f32_16x16x4f32 a[0:3], v20, v21, a[0:3]
	v_lshrrev_b32_e32 v21, 8, v14
	v_cmp_gt_i16_sdwa s[6:7], v21, s4 src0_sel:BYTE_0 src1_sel:DWORD
	s_mov_b64 s[4:5], 0
	s_and_saveexec_b64 s[8:9], s[6:7]
	s_xor_b64 s[6:7], exec, s[8:9]
	s_cbranch_execnz .LBB34_3337
; %bb.1289:
	s_or_saveexec_b64 s[6:7], s[6:7]
	v_mov_b32_e32 v20, s10
	s_xor_b64 exec, exec, s[6:7]
	s_cbranch_execnz .LBB34_3340
.LBB34_1290:
	s_or_b64 exec, exec, s[6:7]
	s_and_saveexec_b64 s[6:7], s[4:5]
	s_cbranch_execz .LBB34_1292
.LBB34_1291:
	v_bfe_u32 v20, v14, 8, 3
	v_ffbh_u32_e32 v23, v20
	v_min_u32_e32 v23, 32, v23
	v_lshrrev_b16_e32 v22, 3, v21
	v_subrev_u32_e32 v24, 28, v23
	v_and_b32_e32 v22, 15, v22
	v_lshlrev_b32_e32 v21, v24, v21
	v_sub_u32_e32 v23, 29, v23
	v_and_b32_e32 v21, 7, v21
	v_cmp_eq_u16_e32 vcc, 0, v22
	v_cndmask_b32_e32 v20, v20, v21, vcc
	v_cndmask_b32_e32 v21, v22, v23, vcc
	v_lshlrev_b32_e32 v22, 16, v14
	v_mov_b32_e32 v23, 0x3b800000
	v_lshlrev_b32_e32 v20, 20, v20
	v_and_b32_e32 v22, 0x80000000, v22
	v_lshl_add_u32 v21, v21, 23, v23
	v_or3_b32 v20, v22, v21, v20
.LBB34_1292:
	s_or_b64 exec, exec, s[6:7]
	v_lshrrev_b32_e32 v21, 8, v10
	s_movk_i32 s4, 0x7f
	v_cmp_gt_i16_sdwa s[6:7], v21, s4 src0_sel:BYTE_0 src1_sel:DWORD
	s_mov_b64 s[4:5], 0
                                        ; implicit-def: $sgpr10
	s_and_saveexec_b64 s[8:9], s[6:7]
	s_xor_b64 s[6:7], exec, s[8:9]
	s_cbranch_execnz .LBB34_3341
; %bb.1293:
	s_or_saveexec_b64 s[6:7], s[6:7]
	v_mov_b32_e32 v22, s10
	s_xor_b64 exec, exec, s[6:7]
	s_cbranch_execnz .LBB34_3344
.LBB34_1294:
	s_or_b64 exec, exec, s[6:7]
	s_and_saveexec_b64 s[6:7], s[4:5]
	s_cbranch_execz .LBB34_1296
.LBB34_1295:
	v_bfe_u32 v22, v10, 8, 3
	v_ffbh_u32_e32 v24, v22
	v_min_u32_e32 v24, 32, v24
	v_lshrrev_b16_e32 v23, 3, v21
	v_subrev_u32_e32 v25, 28, v24
	v_and_b32_e32 v23, 15, v23
	v_lshlrev_b32_e32 v21, v25, v21
	v_sub_u32_e32 v24, 29, v24
	v_and_b32_e32 v21, 7, v21
	v_cmp_eq_u16_e32 vcc, 0, v23
	v_cndmask_b32_e32 v21, v22, v21, vcc
	v_cndmask_b32_e32 v22, v23, v24, vcc
	v_lshlrev_b32_e32 v23, 16, v10
	v_mov_b32_e32 v24, 0x3b800000
	v_lshlrev_b32_e32 v21, 20, v21
	v_and_b32_e32 v23, 0x80000000, v23
	v_lshl_add_u32 v22, v22, 23, v24
	v_or3_b32 v22, v23, v22, v21
.LBB34_1296:
	s_or_b64 exec, exec, s[6:7]
	s_nop 0
	v_mfma_f32_16x16x4f32 a[0:3], v20, v22, a[0:3]
	s_movk_i32 s4, 0xff
	v_and_b32_sdwa v21, v14, s4 dst_sel:DWORD dst_unused:UNUSED_PAD src0_sel:WORD_1 src1_sel:DWORD
	s_movk_i32 s4, 0x7f
	v_cmp_lt_i16_e32 vcc, s4, v21
	s_mov_b64 s[4:5], 0
                                        ; implicit-def: $sgpr10
	s_and_saveexec_b64 s[6:7], vcc
	s_xor_b64 s[6:7], exec, s[6:7]
	s_cbranch_execnz .LBB34_3345
; %bb.1297:
	s_or_saveexec_b64 s[6:7], s[6:7]
	v_mov_b32_e32 v20, s10
	s_xor_b64 exec, exec, s[6:7]
	s_cbranch_execnz .LBB34_3348
.LBB34_1298:
	s_or_b64 exec, exec, s[6:7]
	s_and_saveexec_b64 s[6:7], s[4:5]
	s_cbranch_execz .LBB34_1300
.LBB34_1299:
	v_bfe_u32 v20, v14, 16, 3
	v_ffbh_u32_e32 v23, v20
	v_min_u32_e32 v23, 32, v23
	v_lshrrev_b32_e32 v21, 19, v14
	v_subrev_u32_e32 v24, 28, v23
	v_and_b32_e32 v21, 15, v21
	v_lshlrev_b32_sdwa v24, v24, v14 dst_sel:DWORD dst_unused:UNUSED_PAD src0_sel:DWORD src1_sel:WORD_1
	v_bfe_u32 v22, v14, 19, 4
	v_sub_u32_e32 v23, 29, v23
	v_and_b32_e32 v24, 7, v24
	v_cmp_eq_u16_e32 vcc, 0, v21
	v_cndmask_b32_e32 v20, v20, v24, vcc
	v_cndmask_b32_e32 v21, v22, v23, vcc
	v_lshlrev_b32_e32 v22, 8, v14
	v_mov_b32_e32 v23, 0x3b800000
	v_lshlrev_b32_e32 v20, 20, v20
	v_and_b32_e32 v22, 0x80000000, v22
	v_lshl_add_u32 v21, v21, 23, v23
	v_or3_b32 v20, v22, v21, v20
.LBB34_1300:
	s_or_b64 exec, exec, s[6:7]
	s_movk_i32 s4, 0xff
	v_and_b32_sdwa v21, v10, s4 dst_sel:DWORD dst_unused:UNUSED_PAD src0_sel:WORD_1 src1_sel:DWORD
	s_movk_i32 s4, 0x7f
	v_cmp_lt_i16_e32 vcc, s4, v21
	s_mov_b64 s[4:5], 0
                                        ; implicit-def: $sgpr10
	s_and_saveexec_b64 s[6:7], vcc
	s_xor_b64 s[6:7], exec, s[6:7]
	s_cbranch_execnz .LBB34_3349
; %bb.1301:
	s_or_saveexec_b64 s[6:7], s[6:7]
	v_mov_b32_e32 v22, s10
	s_xor_b64 exec, exec, s[6:7]
	s_cbranch_execnz .LBB34_3352
.LBB34_1302:
	s_or_b64 exec, exec, s[6:7]
	s_and_saveexec_b64 s[6:7], s[4:5]
	s_cbranch_execz .LBB34_1304
.LBB34_1303:
	v_bfe_u32 v21, v10, 16, 3
	v_ffbh_u32_e32 v24, v21
	v_min_u32_e32 v24, 32, v24
	v_lshrrev_b32_e32 v22, 19, v10
	v_subrev_u32_e32 v25, 28, v24
	v_and_b32_e32 v22, 15, v22
	v_lshlrev_b32_sdwa v25, v25, v10 dst_sel:DWORD dst_unused:UNUSED_PAD src0_sel:DWORD src1_sel:WORD_1
	v_bfe_u32 v23, v10, 19, 4
	v_sub_u32_e32 v24, 29, v24
	v_and_b32_e32 v25, 7, v25
	v_cmp_eq_u16_e32 vcc, 0, v22
	v_cndmask_b32_e32 v21, v21, v25, vcc
	v_cndmask_b32_e32 v22, v23, v24, vcc
	v_lshlrev_b32_e32 v23, 8, v10
	v_mov_b32_e32 v24, 0x3b800000
	v_lshlrev_b32_e32 v21, 20, v21
	v_and_b32_e32 v23, 0x80000000, v23
	v_lshl_add_u32 v22, v22, 23, v24
	v_or3_b32 v22, v23, v22, v21
.LBB34_1304:
	s_or_b64 exec, exec, s[6:7]
	s_nop 0
	v_mfma_f32_16x16x4f32 a[0:3], v20, v22, a[0:3]
	s_movk_i32 s4, 0x7f
	v_cmp_gt_i16_sdwa s[6:7], v14, s4 src0_sel:BYTE_3 src1_sel:DWORD
	s_mov_b64 s[4:5], 0
                                        ; implicit-def: $sgpr10
	s_and_saveexec_b64 s[8:9], s[6:7]
	s_xor_b64 s[6:7], exec, s[8:9]
	s_cbranch_execnz .LBB34_3353
; %bb.1305:
	s_or_saveexec_b64 s[6:7], s[6:7]
	v_mov_b32_e32 v20, s10
	s_xor_b64 exec, exec, s[6:7]
	s_cbranch_execnz .LBB34_3356
.LBB34_1306:
	s_or_b64 exec, exec, s[6:7]
	s_and_saveexec_b64 s[6:7], s[4:5]
	s_cbranch_execz .LBB34_1308
.LBB34_1307:
	v_bfe_u32 v20, v14, 24, 3
	v_ffbh_u32_e32 v24, v20
	v_min_u32_e32 v24, 32, v24
	v_lshrrev_b32_e32 v22, 27, v14
	v_subrev_u32_e32 v25, 28, v24
	v_and_b32_e32 v21, 0x80000000, v14
	v_and_b32_e32 v22, 15, v22
	v_bfe_u32 v23, v14, 27, 4
	v_lshlrev_b32_sdwa v14, v25, v14 dst_sel:DWORD dst_unused:UNUSED_PAD src0_sel:DWORD src1_sel:BYTE_3
	v_sub_u32_e32 v24, 29, v24
	v_and_b32_e32 v14, 7, v14
	v_cmp_eq_u16_e32 vcc, 0, v22
	v_cndmask_b32_e32 v14, v20, v14, vcc
	v_cndmask_b32_e32 v20, v23, v24, vcc
	v_mov_b32_e32 v22, 0x3b800000
	v_lshlrev_b32_e32 v14, 20, v14
	v_lshl_add_u32 v20, v20, 23, v22
	v_or3_b32 v20, v21, v20, v14
.LBB34_1308:
	s_or_b64 exec, exec, s[6:7]
	s_movk_i32 s4, 0x7f
	v_cmp_gt_i16_sdwa s[6:7], v10, s4 src0_sel:BYTE_3 src1_sel:DWORD
	s_mov_b64 s[4:5], 0
                                        ; implicit-def: $sgpr10
	s_and_saveexec_b64 s[8:9], s[6:7]
	s_xor_b64 s[6:7], exec, s[8:9]
	s_cbranch_execnz .LBB34_3357
; %bb.1309:
	s_or_saveexec_b64 s[6:7], s[6:7]
	v_mov_b32_e32 v14, s10
	s_xor_b64 exec, exec, s[6:7]
	s_cbranch_execnz .LBB34_3360
.LBB34_1310:
	s_or_b64 exec, exec, s[6:7]
	s_and_saveexec_b64 s[6:7], s[4:5]
	s_cbranch_execz .LBB34_1312
.LBB34_1311:
	v_bfe_u32 v14, v10, 24, 3
	v_ffbh_u32_e32 v24, v14
	v_min_u32_e32 v24, 32, v24
	v_lshrrev_b32_e32 v22, 27, v10
	v_subrev_u32_e32 v25, 28, v24
	v_and_b32_e32 v21, 0x80000000, v10
	v_and_b32_e32 v22, 15, v22
	v_bfe_u32 v23, v10, 27, 4
	v_lshlrev_b32_sdwa v10, v25, v10 dst_sel:DWORD dst_unused:UNUSED_PAD src0_sel:DWORD src1_sel:BYTE_3
	v_sub_u32_e32 v24, 29, v24
	v_and_b32_e32 v10, 7, v10
	v_cmp_eq_u16_e32 vcc, 0, v22
	v_cndmask_b32_e32 v10, v14, v10, vcc
	v_cndmask_b32_e32 v14, v23, v24, vcc
	v_mov_b32_e32 v22, 0x3b800000
	v_lshlrev_b32_e32 v10, 20, v10
	v_lshl_add_u32 v14, v14, 23, v22
	v_or3_b32 v14, v21, v14, v10
.LBB34_1312:
	s_or_b64 exec, exec, s[6:7]
	s_nop 0
	v_mfma_f32_16x16x4f32 a[0:3], v20, v14, a[0:3]
	s_movk_i32 s4, 0x7f
	v_cmp_gt_i16_sdwa s[6:7], v15, s4 src0_sel:BYTE_0 src1_sel:DWORD
	s_mov_b64 s[4:5], 0
                                        ; implicit-def: $sgpr10
	s_and_saveexec_b64 s[8:9], s[6:7]
	s_xor_b64 s[6:7], exec, s[8:9]
	s_cbranch_execnz .LBB34_3361
; %bb.1313:
	s_or_saveexec_b64 s[6:7], s[6:7]
	v_mov_b32_e32 v10, s10
	s_xor_b64 exec, exec, s[6:7]
	s_cbranch_execnz .LBB34_3364
.LBB34_1314:
	s_or_b64 exec, exec, s[6:7]
	s_and_saveexec_b64 s[6:7], s[4:5]
	s_cbranch_execz .LBB34_1316
.LBB34_1315:
	v_and_b32_e32 v10, 7, v15
	v_ffbh_u32_e32 v20, v10
	v_min_u32_e32 v20, 32, v20
	v_lshrrev_b16_e32 v14, 3, v15
	v_subrev_u32_e32 v21, 28, v20
	v_and_b32_e32 v14, 15, v14
	v_lshlrev_b32_e32 v21, v21, v15
	v_sub_u32_e32 v20, 29, v20
	v_and_b32_e32 v21, 7, v21
	v_cmp_eq_u16_e32 vcc, 0, v14
	v_cndmask_b32_e32 v10, v10, v21, vcc
	v_cndmask_b32_e32 v14, v14, v20, vcc
	v_lshlrev_b32_e32 v20, 24, v15
	v_mov_b32_e32 v21, 0x3b800000
	v_lshlrev_b32_e32 v10, 20, v10
	v_and_b32_e32 v20, 0x80000000, v20
	v_lshl_add_u32 v14, v14, 23, v21
	v_or3_b32 v10, v20, v14, v10
.LBB34_1316:
	s_or_b64 exec, exec, s[6:7]
	s_movk_i32 s4, 0x7f
	v_cmp_gt_i16_sdwa s[6:7], v11, s4 src0_sel:BYTE_0 src1_sel:DWORD
	s_mov_b64 s[4:5], 0
                                        ; implicit-def: $sgpr10
	s_and_saveexec_b64 s[8:9], s[6:7]
	s_xor_b64 s[6:7], exec, s[8:9]
	s_cbranch_execnz .LBB34_3365
; %bb.1317:
	s_or_saveexec_b64 s[6:7], s[6:7]
	v_mov_b32_e32 v14, s10
	s_xor_b64 exec, exec, s[6:7]
	s_cbranch_execnz .LBB34_3368
.LBB34_1318:
	s_or_b64 exec, exec, s[6:7]
	s_and_saveexec_b64 s[6:7], s[4:5]
	s_cbranch_execz .LBB34_1320
.LBB34_1319:
	v_and_b32_e32 v14, 7, v11
	v_ffbh_u32_e32 v21, v14
	v_min_u32_e32 v21, 32, v21
	v_lshrrev_b16_e32 v20, 3, v11
	v_subrev_u32_e32 v22, 28, v21
	v_and_b32_e32 v20, 15, v20
	v_lshlrev_b32_e32 v22, v22, v11
	v_sub_u32_e32 v21, 29, v21
	v_and_b32_e32 v22, 7, v22
	v_cmp_eq_u16_e32 vcc, 0, v20
	v_cndmask_b32_e32 v14, v14, v22, vcc
	v_cndmask_b32_e32 v20, v20, v21, vcc
	v_lshlrev_b32_e32 v21, 24, v11
	v_mov_b32_e32 v22, 0x3b800000
	v_lshlrev_b32_e32 v14, 20, v14
	v_and_b32_e32 v21, 0x80000000, v21
	v_lshl_add_u32 v20, v20, 23, v22
	v_or3_b32 v14, v21, v20, v14
.LBB34_1320:
	s_or_b64 exec, exec, s[6:7]
	s_nop 0
	v_mfma_f32_16x16x4f32 a[0:3], v10, v14, a[0:3]
	v_lshrrev_b32_e32 v14, 8, v15
	s_movk_i32 s4, 0x7f
	v_cmp_gt_i16_sdwa s[6:7], v14, s4 src0_sel:BYTE_0 src1_sel:DWORD
	s_mov_b64 s[4:5], 0
                                        ; implicit-def: $sgpr10
	s_and_saveexec_b64 s[8:9], s[6:7]
	s_xor_b64 s[6:7], exec, s[8:9]
	s_cbranch_execnz .LBB34_3369
; %bb.1321:
	s_or_saveexec_b64 s[6:7], s[6:7]
	v_mov_b32_e32 v10, s10
	s_xor_b64 exec, exec, s[6:7]
	s_cbranch_execnz .LBB34_3372
.LBB34_1322:
	s_or_b64 exec, exec, s[6:7]
	s_and_saveexec_b64 s[6:7], s[4:5]
	s_cbranch_execz .LBB34_1324
.LBB34_1323:
	v_bfe_u32 v10, v15, 8, 3
	v_ffbh_u32_e32 v21, v10
	v_min_u32_e32 v21, 32, v21
	v_lshrrev_b16_e32 v20, 3, v14
	v_subrev_u32_e32 v22, 28, v21
	v_and_b32_e32 v20, 15, v20
	v_lshlrev_b32_e32 v14, v22, v14
	v_sub_u32_e32 v21, 29, v21
	v_and_b32_e32 v14, 7, v14
	v_cmp_eq_u16_e32 vcc, 0, v20
	v_cndmask_b32_e32 v10, v10, v14, vcc
	v_cndmask_b32_e32 v14, v20, v21, vcc
	v_lshlrev_b32_e32 v20, 16, v15
	v_mov_b32_e32 v21, 0x3b800000
	v_lshlrev_b32_e32 v10, 20, v10
	v_and_b32_e32 v20, 0x80000000, v20
	v_lshl_add_u32 v14, v14, 23, v21
	v_or3_b32 v10, v20, v14, v10
.LBB34_1324:
	s_or_b64 exec, exec, s[6:7]
	v_lshrrev_b32_e32 v14, 8, v11
	s_movk_i32 s4, 0x7f
	v_cmp_gt_i16_sdwa s[6:7], v14, s4 src0_sel:BYTE_0 src1_sel:DWORD
	s_mov_b64 s[4:5], 0
                                        ; implicit-def: $sgpr10
	s_and_saveexec_b64 s[8:9], s[6:7]
	s_xor_b64 s[6:7], exec, s[8:9]
	s_cbranch_execnz .LBB34_3373
; %bb.1325:
	s_or_saveexec_b64 s[6:7], s[6:7]
	v_mov_b32_e32 v20, s10
	s_xor_b64 exec, exec, s[6:7]
	s_cbranch_execnz .LBB34_3376
.LBB34_1326:
	s_or_b64 exec, exec, s[6:7]
	s_and_saveexec_b64 s[6:7], s[4:5]
	s_cbranch_execz .LBB34_1328
.LBB34_1327:
	v_bfe_u32 v20, v11, 8, 3
	v_ffbh_u32_e32 v22, v20
	v_min_u32_e32 v22, 32, v22
	v_lshrrev_b16_e32 v21, 3, v14
	v_subrev_u32_e32 v23, 28, v22
	v_and_b32_e32 v21, 15, v21
	v_lshlrev_b32_e32 v14, v23, v14
	v_sub_u32_e32 v22, 29, v22
	v_and_b32_e32 v14, 7, v14
	v_cmp_eq_u16_e32 vcc, 0, v21
	v_cndmask_b32_e32 v14, v20, v14, vcc
	v_cndmask_b32_e32 v20, v21, v22, vcc
	v_lshlrev_b32_e32 v21, 16, v11
	v_mov_b32_e32 v22, 0x3b800000
	v_lshlrev_b32_e32 v14, 20, v14
	v_and_b32_e32 v21, 0x80000000, v21
	v_lshl_add_u32 v20, v20, 23, v22
	v_or3_b32 v20, v21, v20, v14
.LBB34_1328:
	s_or_b64 exec, exec, s[6:7]
	s_nop 0
	v_mfma_f32_16x16x4f32 a[0:3], v10, v20, a[0:3]
	s_movk_i32 s4, 0xff
	v_and_b32_sdwa v14, v15, s4 dst_sel:DWORD dst_unused:UNUSED_PAD src0_sel:WORD_1 src1_sel:DWORD
	s_movk_i32 s4, 0x7f
	v_cmp_lt_i16_e32 vcc, s4, v14
	s_mov_b64 s[4:5], 0
                                        ; implicit-def: $sgpr10
	s_and_saveexec_b64 s[6:7], vcc
	s_xor_b64 s[6:7], exec, s[6:7]
	s_cbranch_execnz .LBB34_3377
; %bb.1329:
	s_or_saveexec_b64 s[6:7], s[6:7]
	v_mov_b32_e32 v10, s10
	s_xor_b64 exec, exec, s[6:7]
	s_cbranch_execnz .LBB34_3380
.LBB34_1330:
	s_or_b64 exec, exec, s[6:7]
	s_and_saveexec_b64 s[6:7], s[4:5]
	s_cbranch_execz .LBB34_1332
.LBB34_1331:
	v_bfe_u32 v10, v15, 16, 3
	v_ffbh_u32_e32 v21, v10
	v_min_u32_e32 v21, 32, v21
	v_lshrrev_b32_e32 v14, 19, v15
	v_subrev_u32_e32 v22, 28, v21
	v_and_b32_e32 v14, 15, v14
	v_lshlrev_b32_sdwa v22, v22, v15 dst_sel:DWORD dst_unused:UNUSED_PAD src0_sel:DWORD src1_sel:WORD_1
	v_bfe_u32 v20, v15, 19, 4
	v_sub_u32_e32 v21, 29, v21
	v_and_b32_e32 v22, 7, v22
	v_cmp_eq_u16_e32 vcc, 0, v14
	v_cndmask_b32_e32 v10, v10, v22, vcc
	v_cndmask_b32_e32 v14, v20, v21, vcc
	v_lshlrev_b32_e32 v20, 8, v15
	v_mov_b32_e32 v21, 0x3b800000
	v_lshlrev_b32_e32 v10, 20, v10
	v_and_b32_e32 v20, 0x80000000, v20
	v_lshl_add_u32 v14, v14, 23, v21
	v_or3_b32 v10, v20, v14, v10
.LBB34_1332:
	s_or_b64 exec, exec, s[6:7]
	s_movk_i32 s4, 0xff
	v_and_b32_sdwa v14, v11, s4 dst_sel:DWORD dst_unused:UNUSED_PAD src0_sel:WORD_1 src1_sel:DWORD
	s_movk_i32 s4, 0x7f
	v_cmp_lt_i16_e32 vcc, s4, v14
	s_mov_b64 s[4:5], 0
                                        ; implicit-def: $sgpr10
	s_and_saveexec_b64 s[6:7], vcc
	s_xor_b64 s[6:7], exec, s[6:7]
	s_cbranch_execnz .LBB34_3381
; %bb.1333:
	s_or_saveexec_b64 s[6:7], s[6:7]
	v_mov_b32_e32 v20, s10
	s_xor_b64 exec, exec, s[6:7]
	s_cbranch_execnz .LBB34_3384
.LBB34_1334:
	s_or_b64 exec, exec, s[6:7]
	s_and_saveexec_b64 s[6:7], s[4:5]
	s_cbranch_execz .LBB34_1336
.LBB34_1335:
	v_bfe_u32 v14, v11, 16, 3
	v_ffbh_u32_e32 v22, v14
	v_min_u32_e32 v22, 32, v22
	v_lshrrev_b32_e32 v20, 19, v11
	v_subrev_u32_e32 v23, 28, v22
	v_and_b32_e32 v20, 15, v20
	v_lshlrev_b32_sdwa v23, v23, v11 dst_sel:DWORD dst_unused:UNUSED_PAD src0_sel:DWORD src1_sel:WORD_1
	v_bfe_u32 v21, v11, 19, 4
	v_sub_u32_e32 v22, 29, v22
	v_and_b32_e32 v23, 7, v23
	v_cmp_eq_u16_e32 vcc, 0, v20
	v_cndmask_b32_e32 v14, v14, v23, vcc
	v_cndmask_b32_e32 v20, v21, v22, vcc
	v_lshlrev_b32_e32 v21, 8, v11
	v_mov_b32_e32 v22, 0x3b800000
	v_lshlrev_b32_e32 v14, 20, v14
	v_and_b32_e32 v21, 0x80000000, v21
	v_lshl_add_u32 v20, v20, 23, v22
	v_or3_b32 v20, v21, v20, v14
.LBB34_1336:
	s_or_b64 exec, exec, s[6:7]
	s_nop 0
	v_mfma_f32_16x16x4f32 a[0:3], v10, v20, a[0:3]
	s_movk_i32 s4, 0x7f
	v_cmp_gt_i16_sdwa s[6:7], v15, s4 src0_sel:BYTE_3 src1_sel:DWORD
	s_mov_b64 s[4:5], 0
                                        ; implicit-def: $sgpr10
	s_and_saveexec_b64 s[8:9], s[6:7]
	s_xor_b64 s[6:7], exec, s[8:9]
	s_cbranch_execnz .LBB34_3385
; %bb.1337:
	s_or_saveexec_b64 s[6:7], s[6:7]
	v_mov_b32_e32 v10, s10
	s_xor_b64 exec, exec, s[6:7]
	s_cbranch_execnz .LBB34_3388
.LBB34_1338:
	s_or_b64 exec, exec, s[6:7]
	s_and_saveexec_b64 s[6:7], s[4:5]
	s_cbranch_execz .LBB34_1340
.LBB34_1339:
	v_bfe_u32 v10, v15, 24, 3
	v_ffbh_u32_e32 v22, v10
	v_min_u32_e32 v22, 32, v22
	v_lshrrev_b32_e32 v20, 27, v15
	v_subrev_u32_e32 v23, 28, v22
	v_and_b32_e32 v14, 0x80000000, v15
	v_and_b32_e32 v20, 15, v20
	v_bfe_u32 v21, v15, 27, 4
	v_lshlrev_b32_sdwa v15, v23, v15 dst_sel:DWORD dst_unused:UNUSED_PAD src0_sel:DWORD src1_sel:BYTE_3
	v_sub_u32_e32 v22, 29, v22
	v_and_b32_e32 v15, 7, v15
	v_cmp_eq_u16_e32 vcc, 0, v20
	v_cndmask_b32_e32 v10, v10, v15, vcc
	v_cndmask_b32_e32 v15, v21, v22, vcc
	v_mov_b32_e32 v20, 0x3b800000
	v_lshlrev_b32_e32 v10, 20, v10
	v_lshl_add_u32 v15, v15, 23, v20
	v_or3_b32 v10, v14, v15, v10
.LBB34_1340:
	s_or_b64 exec, exec, s[6:7]
	s_movk_i32 s4, 0x7f
	v_cmp_gt_i16_sdwa s[6:7], v11, s4 src0_sel:BYTE_3 src1_sel:DWORD
	s_mov_b64 s[4:5], 0
                                        ; implicit-def: $sgpr10
	s_and_saveexec_b64 s[8:9], s[6:7]
	s_xor_b64 s[6:7], exec, s[8:9]
	s_cbranch_execnz .LBB34_3389
; %bb.1341:
	s_or_saveexec_b64 s[6:7], s[6:7]
	v_mov_b32_e32 v14, s10
	s_xor_b64 exec, exec, s[6:7]
	s_cbranch_execnz .LBB34_3392
.LBB34_1342:
	s_or_b64 exec, exec, s[6:7]
	s_and_saveexec_b64 s[6:7], s[4:5]
	s_cbranch_execz .LBB34_1344
.LBB34_1343:
	v_bfe_u32 v14, v11, 24, 3
	v_ffbh_u32_e32 v22, v14
	v_min_u32_e32 v22, 32, v22
	v_lshrrev_b32_e32 v20, 27, v11
	v_subrev_u32_e32 v23, 28, v22
	v_and_b32_e32 v15, 0x80000000, v11
	v_and_b32_e32 v20, 15, v20
	v_bfe_u32 v21, v11, 27, 4
	v_lshlrev_b32_sdwa v11, v23, v11 dst_sel:DWORD dst_unused:UNUSED_PAD src0_sel:DWORD src1_sel:BYTE_3
	v_sub_u32_e32 v22, 29, v22
	v_and_b32_e32 v11, 7, v11
	v_cmp_eq_u16_e32 vcc, 0, v20
	v_cndmask_b32_e32 v11, v14, v11, vcc
	v_cndmask_b32_e32 v14, v21, v22, vcc
	v_mov_b32_e32 v20, 0x3b800000
	v_lshlrev_b32_e32 v11, 20, v11
	v_lshl_add_u32 v14, v14, 23, v20
	v_or3_b32 v14, v15, v14, v11
.LBB34_1344:
	s_or_b64 exec, exec, s[6:7]
	s_nop 0
	v_mfma_f32_16x16x4f32 a[0:3], v10, v14, a[0:3]
	s_movk_i32 s4, 0x7f
	v_cmp_gt_i16_sdwa s[6:7], v16, s4 src0_sel:BYTE_0 src1_sel:DWORD
	s_mov_b64 s[4:5], 0
                                        ; implicit-def: $sgpr10
	s_and_saveexec_b64 s[8:9], s[6:7]
	s_xor_b64 s[6:7], exec, s[8:9]
	s_cbranch_execnz .LBB34_3393
; %bb.1345:
	s_or_saveexec_b64 s[6:7], s[6:7]
	v_mov_b32_e32 v10, s10
	s_xor_b64 exec, exec, s[6:7]
	s_cbranch_execnz .LBB34_3396
.LBB34_1346:
	s_or_b64 exec, exec, s[6:7]
	s_and_saveexec_b64 s[6:7], s[4:5]
	s_cbranch_execz .LBB34_1348
.LBB34_1347:
	v_and_b32_e32 v10, 7, v16
	v_ffbh_u32_e32 v14, v10
	v_min_u32_e32 v14, 32, v14
	v_lshrrev_b16_e32 v11, 3, v16
	v_subrev_u32_e32 v15, 28, v14
	v_and_b32_e32 v11, 15, v11
	v_lshlrev_b32_e32 v15, v15, v16
	v_sub_u32_e32 v14, 29, v14
	v_and_b32_e32 v15, 7, v15
	v_cmp_eq_u16_e32 vcc, 0, v11
	v_cndmask_b32_e32 v10, v10, v15, vcc
	v_cndmask_b32_e32 v11, v11, v14, vcc
	v_lshlrev_b32_e32 v14, 24, v16
	v_mov_b32_e32 v15, 0x3b800000
	v_lshlrev_b32_e32 v10, 20, v10
	v_and_b32_e32 v14, 0x80000000, v14
	v_lshl_add_u32 v11, v11, 23, v15
	v_or3_b32 v10, v14, v11, v10
.LBB34_1348:
	s_or_b64 exec, exec, s[6:7]
	s_movk_i32 s4, 0x7f
	v_cmp_gt_i16_sdwa s[6:7], v12, s4 src0_sel:BYTE_0 src1_sel:DWORD
	s_mov_b64 s[4:5], 0
                                        ; implicit-def: $sgpr10
	s_and_saveexec_b64 s[8:9], s[6:7]
	s_xor_b64 s[6:7], exec, s[8:9]
	s_cbranch_execnz .LBB34_3397
; %bb.1349:
	s_or_saveexec_b64 s[6:7], s[6:7]
	v_mov_b32_e32 v11, s10
	s_xor_b64 exec, exec, s[6:7]
	s_cbranch_execnz .LBB34_3400
.LBB34_1350:
	s_or_b64 exec, exec, s[6:7]
	s_and_saveexec_b64 s[6:7], s[4:5]
	s_cbranch_execz .LBB34_1352
.LBB34_1351:
	v_and_b32_e32 v11, 7, v12
	v_ffbh_u32_e32 v15, v11
	v_min_u32_e32 v15, 32, v15
	v_lshrrev_b16_e32 v14, 3, v12
	v_subrev_u32_e32 v20, 28, v15
	v_and_b32_e32 v14, 15, v14
	v_lshlrev_b32_e32 v20, v20, v12
	v_sub_u32_e32 v15, 29, v15
	v_and_b32_e32 v20, 7, v20
	v_cmp_eq_u16_e32 vcc, 0, v14
	v_cndmask_b32_e32 v11, v11, v20, vcc
	v_cndmask_b32_e32 v14, v14, v15, vcc
	v_lshlrev_b32_e32 v15, 24, v12
	v_mov_b32_e32 v20, 0x3b800000
	v_lshlrev_b32_e32 v11, 20, v11
	v_and_b32_e32 v15, 0x80000000, v15
	v_lshl_add_u32 v14, v14, 23, v20
	v_or3_b32 v11, v15, v14, v11
.LBB34_1352:
	s_or_b64 exec, exec, s[6:7]
	s_nop 0
	v_mfma_f32_16x16x4f32 a[0:3], v10, v11, a[0:3]
	v_lshrrev_b32_e32 v11, 8, v16
	s_movk_i32 s4, 0x7f
	v_cmp_gt_i16_sdwa s[6:7], v11, s4 src0_sel:BYTE_0 src1_sel:DWORD
	s_mov_b64 s[4:5], 0
                                        ; implicit-def: $sgpr10
	s_and_saveexec_b64 s[8:9], s[6:7]
	s_xor_b64 s[6:7], exec, s[8:9]
	s_cbranch_execnz .LBB34_3401
; %bb.1353:
	s_or_saveexec_b64 s[6:7], s[6:7]
	v_mov_b32_e32 v10, s10
	s_xor_b64 exec, exec, s[6:7]
	s_cbranch_execnz .LBB34_3404
.LBB34_1354:
	s_or_b64 exec, exec, s[6:7]
	s_and_saveexec_b64 s[6:7], s[4:5]
	s_cbranch_execz .LBB34_1356
.LBB34_1355:
	v_bfe_u32 v10, v16, 8, 3
	v_ffbh_u32_e32 v15, v10
	v_min_u32_e32 v15, 32, v15
	v_lshrrev_b16_e32 v14, 3, v11
	v_subrev_u32_e32 v20, 28, v15
	v_and_b32_e32 v14, 15, v14
	v_lshlrev_b32_e32 v11, v20, v11
	v_sub_u32_e32 v15, 29, v15
	v_and_b32_e32 v11, 7, v11
	v_cmp_eq_u16_e32 vcc, 0, v14
	v_cndmask_b32_e32 v10, v10, v11, vcc
	v_cndmask_b32_e32 v11, v14, v15, vcc
	v_lshlrev_b32_e32 v14, 16, v16
	v_mov_b32_e32 v15, 0x3b800000
	v_lshlrev_b32_e32 v10, 20, v10
	v_and_b32_e32 v14, 0x80000000, v14
	v_lshl_add_u32 v11, v11, 23, v15
	v_or3_b32 v10, v14, v11, v10
.LBB34_1356:
	s_or_b64 exec, exec, s[6:7]
	v_lshrrev_b32_e32 v11, 8, v12
	s_movk_i32 s4, 0x7f
	v_cmp_gt_i16_sdwa s[6:7], v11, s4 src0_sel:BYTE_0 src1_sel:DWORD
	s_mov_b64 s[4:5], 0
                                        ; implicit-def: $sgpr10
	s_and_saveexec_b64 s[8:9], s[6:7]
	s_xor_b64 s[6:7], exec, s[8:9]
	s_cbranch_execnz .LBB34_3405
; %bb.1357:
	s_or_saveexec_b64 s[6:7], s[6:7]
	v_mov_b32_e32 v14, s10
	s_xor_b64 exec, exec, s[6:7]
	s_cbranch_execnz .LBB34_3408
.LBB34_1358:
	s_or_b64 exec, exec, s[6:7]
	s_and_saveexec_b64 s[6:7], s[4:5]
	s_cbranch_execz .LBB34_1360
.LBB34_1359:
	v_bfe_u32 v14, v12, 8, 3
	v_ffbh_u32_e32 v20, v14
	v_min_u32_e32 v20, 32, v20
	v_lshrrev_b16_e32 v15, 3, v11
	v_subrev_u32_e32 v21, 28, v20
	v_and_b32_e32 v15, 15, v15
	v_lshlrev_b32_e32 v11, v21, v11
	v_sub_u32_e32 v20, 29, v20
	v_and_b32_e32 v11, 7, v11
	v_cmp_eq_u16_e32 vcc, 0, v15
	v_cndmask_b32_e32 v11, v14, v11, vcc
	v_cndmask_b32_e32 v14, v15, v20, vcc
	v_lshlrev_b32_e32 v15, 16, v12
	v_mov_b32_e32 v20, 0x3b800000
	v_lshlrev_b32_e32 v11, 20, v11
	v_and_b32_e32 v15, 0x80000000, v15
	v_lshl_add_u32 v14, v14, 23, v20
	v_or3_b32 v14, v15, v14, v11
.LBB34_1360:
	s_or_b64 exec, exec, s[6:7]
	s_nop 0
	v_mfma_f32_16x16x4f32 a[0:3], v10, v14, a[0:3]
	s_movk_i32 s4, 0xff
	v_and_b32_sdwa v11, v16, s4 dst_sel:DWORD dst_unused:UNUSED_PAD src0_sel:WORD_1 src1_sel:DWORD
	s_movk_i32 s4, 0x7f
	v_cmp_lt_i16_e32 vcc, s4, v11
	s_mov_b64 s[4:5], 0
                                        ; implicit-def: $sgpr10
	s_and_saveexec_b64 s[6:7], vcc
	s_xor_b64 s[6:7], exec, s[6:7]
	s_cbranch_execnz .LBB34_3409
; %bb.1361:
	s_or_saveexec_b64 s[6:7], s[6:7]
	v_mov_b32_e32 v10, s10
	s_xor_b64 exec, exec, s[6:7]
	s_cbranch_execnz .LBB34_3412
.LBB34_1362:
	s_or_b64 exec, exec, s[6:7]
	s_and_saveexec_b64 s[6:7], s[4:5]
	s_cbranch_execz .LBB34_1364
.LBB34_1363:
	v_bfe_u32 v10, v16, 16, 3
	v_ffbh_u32_e32 v15, v10
	v_min_u32_e32 v15, 32, v15
	v_lshrrev_b32_e32 v11, 19, v16
	v_subrev_u32_e32 v20, 28, v15
	v_and_b32_e32 v11, 15, v11
	v_lshlrev_b32_sdwa v20, v20, v16 dst_sel:DWORD dst_unused:UNUSED_PAD src0_sel:DWORD src1_sel:WORD_1
	v_bfe_u32 v14, v16, 19, 4
	v_sub_u32_e32 v15, 29, v15
	v_and_b32_e32 v20, 7, v20
	v_cmp_eq_u16_e32 vcc, 0, v11
	v_cndmask_b32_e32 v10, v10, v20, vcc
	v_cndmask_b32_e32 v11, v14, v15, vcc
	v_lshlrev_b32_e32 v14, 8, v16
	v_mov_b32_e32 v15, 0x3b800000
	v_lshlrev_b32_e32 v10, 20, v10
	v_and_b32_e32 v14, 0x80000000, v14
	v_lshl_add_u32 v11, v11, 23, v15
	v_or3_b32 v10, v14, v11, v10
.LBB34_1364:
	s_or_b64 exec, exec, s[6:7]
	s_movk_i32 s4, 0xff
	v_and_b32_sdwa v11, v12, s4 dst_sel:DWORD dst_unused:UNUSED_PAD src0_sel:WORD_1 src1_sel:DWORD
	s_movk_i32 s4, 0x7f
	v_cmp_lt_i16_e32 vcc, s4, v11
	s_mov_b64 s[4:5], 0
                                        ; implicit-def: $sgpr10
	s_and_saveexec_b64 s[6:7], vcc
	s_xor_b64 s[6:7], exec, s[6:7]
	s_cbranch_execnz .LBB34_3413
; %bb.1365:
	s_or_saveexec_b64 s[6:7], s[6:7]
	v_mov_b32_e32 v14, s10
	s_xor_b64 exec, exec, s[6:7]
	s_cbranch_execnz .LBB34_3416
.LBB34_1366:
	s_or_b64 exec, exec, s[6:7]
	s_and_saveexec_b64 s[6:7], s[4:5]
	s_cbranch_execz .LBB34_1368
.LBB34_1367:
	v_bfe_u32 v11, v12, 16, 3
	v_ffbh_u32_e32 v20, v11
	v_min_u32_e32 v20, 32, v20
	v_lshrrev_b32_e32 v14, 19, v12
	v_subrev_u32_e32 v21, 28, v20
	v_and_b32_e32 v14, 15, v14
	v_lshlrev_b32_sdwa v21, v21, v12 dst_sel:DWORD dst_unused:UNUSED_PAD src0_sel:DWORD src1_sel:WORD_1
	v_bfe_u32 v15, v12, 19, 4
	v_sub_u32_e32 v20, 29, v20
	v_and_b32_e32 v21, 7, v21
	v_cmp_eq_u16_e32 vcc, 0, v14
	v_cndmask_b32_e32 v11, v11, v21, vcc
	v_cndmask_b32_e32 v14, v15, v20, vcc
	v_lshlrev_b32_e32 v15, 8, v12
	v_mov_b32_e32 v20, 0x3b800000
	v_lshlrev_b32_e32 v11, 20, v11
	v_and_b32_e32 v15, 0x80000000, v15
	v_lshl_add_u32 v14, v14, 23, v20
	v_or3_b32 v14, v15, v14, v11
.LBB34_1368:
	s_or_b64 exec, exec, s[6:7]
	s_nop 0
	v_mfma_f32_16x16x4f32 a[0:3], v10, v14, a[0:3]
	s_movk_i32 s4, 0x7f
	v_cmp_gt_i16_sdwa s[6:7], v16, s4 src0_sel:BYTE_3 src1_sel:DWORD
	s_mov_b64 s[4:5], 0
                                        ; implicit-def: $sgpr10
	s_and_saveexec_b64 s[8:9], s[6:7]
	s_xor_b64 s[6:7], exec, s[8:9]
	s_cbranch_execnz .LBB34_3417
; %bb.1369:
	s_or_saveexec_b64 s[6:7], s[6:7]
	v_mov_b32_e32 v10, s10
	s_xor_b64 exec, exec, s[6:7]
	s_cbranch_execnz .LBB34_3420
.LBB34_1370:
	s_or_b64 exec, exec, s[6:7]
	s_and_saveexec_b64 s[6:7], s[4:5]
	s_cbranch_execz .LBB34_1372
.LBB34_1371:
	v_bfe_u32 v10, v16, 24, 3
	v_ffbh_u32_e32 v20, v10
	v_min_u32_e32 v20, 32, v20
	v_lshrrev_b32_e32 v14, 27, v16
	v_subrev_u32_e32 v21, 28, v20
	v_and_b32_e32 v11, 0x80000000, v16
	v_and_b32_e32 v14, 15, v14
	v_bfe_u32 v15, v16, 27, 4
	v_lshlrev_b32_sdwa v16, v21, v16 dst_sel:DWORD dst_unused:UNUSED_PAD src0_sel:DWORD src1_sel:BYTE_3
	v_sub_u32_e32 v20, 29, v20
	v_and_b32_e32 v16, 7, v16
	v_cmp_eq_u16_e32 vcc, 0, v14
	v_cndmask_b32_e32 v10, v10, v16, vcc
	v_cndmask_b32_e32 v14, v15, v20, vcc
	v_mov_b32_e32 v15, 0x3b800000
	v_lshlrev_b32_e32 v10, 20, v10
	v_lshl_add_u32 v14, v14, 23, v15
	v_or3_b32 v10, v11, v14, v10
.LBB34_1372:
	s_or_b64 exec, exec, s[6:7]
	s_movk_i32 s4, 0x7f
	v_cmp_gt_i16_sdwa s[6:7], v12, s4 src0_sel:BYTE_3 src1_sel:DWORD
	s_mov_b64 s[4:5], 0
                                        ; implicit-def: $sgpr10
	s_and_saveexec_b64 s[8:9], s[6:7]
	s_xor_b64 s[6:7], exec, s[8:9]
	s_cbranch_execnz .LBB34_3421
; %bb.1373:
	s_or_saveexec_b64 s[6:7], s[6:7]
	v_mov_b32_e32 v11, s10
	s_xor_b64 exec, exec, s[6:7]
	s_cbranch_execnz .LBB34_3424
.LBB34_1374:
	s_or_b64 exec, exec, s[6:7]
	s_and_saveexec_b64 s[6:7], s[4:5]
	s_cbranch_execz .LBB34_1376
.LBB34_1375:
	v_bfe_u32 v11, v12, 24, 3
	v_ffbh_u32_e32 v20, v11
	v_min_u32_e32 v20, 32, v20
	v_lshrrev_b32_e32 v15, 27, v12
	v_subrev_u32_e32 v21, 28, v20
	v_and_b32_e32 v14, 0x80000000, v12
	v_and_b32_e32 v15, 15, v15
	v_bfe_u32 v16, v12, 27, 4
	v_lshlrev_b32_sdwa v12, v21, v12 dst_sel:DWORD dst_unused:UNUSED_PAD src0_sel:DWORD src1_sel:BYTE_3
	v_sub_u32_e32 v20, 29, v20
	v_and_b32_e32 v12, 7, v12
	v_cmp_eq_u16_e32 vcc, 0, v15
	v_cndmask_b32_e32 v11, v11, v12, vcc
	v_cndmask_b32_e32 v12, v16, v20, vcc
	v_mov_b32_e32 v15, 0x3b800000
	v_lshlrev_b32_e32 v11, 20, v11
	v_lshl_add_u32 v12, v12, 23, v15
	v_or3_b32 v11, v14, v12, v11
.LBB34_1376:
	s_or_b64 exec, exec, s[6:7]
	s_nop 0
	v_mfma_f32_16x16x4f32 a[0:3], v10, v11, a[0:3]
	s_movk_i32 s4, 0x7f
	v_cmp_gt_i16_sdwa s[6:7], v17, s4 src0_sel:BYTE_0 src1_sel:DWORD
	s_mov_b64 s[4:5], 0
                                        ; implicit-def: $sgpr10
	s_and_saveexec_b64 s[8:9], s[6:7]
	s_xor_b64 s[6:7], exec, s[8:9]
	s_cbranch_execnz .LBB34_3425
; %bb.1377:
	s_or_saveexec_b64 s[6:7], s[6:7]
	v_mov_b32_e32 v10, s10
	s_xor_b64 exec, exec, s[6:7]
	s_cbranch_execnz .LBB34_3428
.LBB34_1378:
	s_or_b64 exec, exec, s[6:7]
	s_and_saveexec_b64 s[6:7], s[4:5]
	s_cbranch_execz .LBB34_1380
.LBB34_1379:
	v_and_b32_e32 v10, 7, v17
	v_ffbh_u32_e32 v12, v10
	v_min_u32_e32 v12, 32, v12
	v_lshrrev_b16_e32 v11, 3, v17
	v_subrev_u32_e32 v14, 28, v12
	v_and_b32_e32 v11, 15, v11
	v_lshlrev_b32_e32 v14, v14, v17
	v_sub_u32_e32 v12, 29, v12
	v_and_b32_e32 v14, 7, v14
	v_cmp_eq_u16_e32 vcc, 0, v11
	v_cndmask_b32_e32 v10, v10, v14, vcc
	v_cndmask_b32_e32 v11, v11, v12, vcc
	v_lshlrev_b32_e32 v12, 24, v17
	v_mov_b32_e32 v14, 0x3b800000
	v_lshlrev_b32_e32 v10, 20, v10
	v_and_b32_e32 v12, 0x80000000, v12
	v_lshl_add_u32 v11, v11, 23, v14
	v_or3_b32 v10, v12, v11, v10
.LBB34_1380:
	s_or_b64 exec, exec, s[6:7]
	s_movk_i32 s4, 0x7f
	v_cmp_gt_i16_sdwa s[6:7], v13, s4 src0_sel:BYTE_0 src1_sel:DWORD
	s_mov_b64 s[4:5], 0
                                        ; implicit-def: $sgpr10
	s_and_saveexec_b64 s[8:9], s[6:7]
	s_xor_b64 s[6:7], exec, s[8:9]
	s_cbranch_execnz .LBB34_3429
; %bb.1381:
	s_or_saveexec_b64 s[6:7], s[6:7]
	v_mov_b32_e32 v11, s10
	s_xor_b64 exec, exec, s[6:7]
	s_cbranch_execnz .LBB34_3432
.LBB34_1382:
	s_or_b64 exec, exec, s[6:7]
	s_and_saveexec_b64 s[6:7], s[4:5]
	s_cbranch_execz .LBB34_1384
.LBB34_1383:
	v_and_b32_e32 v11, 7, v13
	v_ffbh_u32_e32 v14, v11
	v_min_u32_e32 v14, 32, v14
	v_lshrrev_b16_e32 v12, 3, v13
	v_subrev_u32_e32 v15, 28, v14
	v_and_b32_e32 v12, 15, v12
	v_lshlrev_b32_e32 v15, v15, v13
	v_sub_u32_e32 v14, 29, v14
	v_and_b32_e32 v15, 7, v15
	v_cmp_eq_u16_e32 vcc, 0, v12
	v_cndmask_b32_e32 v11, v11, v15, vcc
	v_cndmask_b32_e32 v12, v12, v14, vcc
	v_lshlrev_b32_e32 v14, 24, v13
	v_mov_b32_e32 v15, 0x3b800000
	v_lshlrev_b32_e32 v11, 20, v11
	v_and_b32_e32 v14, 0x80000000, v14
	v_lshl_add_u32 v12, v12, 23, v15
	v_or3_b32 v11, v14, v12, v11
.LBB34_1384:
	s_or_b64 exec, exec, s[6:7]
	s_nop 0
	v_mfma_f32_16x16x4f32 a[0:3], v10, v11, a[0:3]
	v_lshrrev_b32_e32 v11, 8, v17
	s_movk_i32 s4, 0x7f
	v_cmp_gt_i16_sdwa s[6:7], v11, s4 src0_sel:BYTE_0 src1_sel:DWORD
	s_mov_b64 s[4:5], 0
                                        ; implicit-def: $sgpr10
	s_and_saveexec_b64 s[8:9], s[6:7]
	s_xor_b64 s[6:7], exec, s[8:9]
	s_cbranch_execnz .LBB34_3433
; %bb.1385:
	s_or_saveexec_b64 s[6:7], s[6:7]
	v_mov_b32_e32 v10, s10
	s_xor_b64 exec, exec, s[6:7]
	s_cbranch_execnz .LBB34_3436
.LBB34_1386:
	s_or_b64 exec, exec, s[6:7]
	s_and_saveexec_b64 s[6:7], s[4:5]
	s_cbranch_execz .LBB34_1388
.LBB34_1387:
	v_bfe_u32 v10, v17, 8, 3
	v_ffbh_u32_e32 v14, v10
	v_min_u32_e32 v14, 32, v14
	v_lshrrev_b16_e32 v12, 3, v11
	v_subrev_u32_e32 v15, 28, v14
	v_and_b32_e32 v12, 15, v12
	v_lshlrev_b32_e32 v11, v15, v11
	v_sub_u32_e32 v14, 29, v14
	v_and_b32_e32 v11, 7, v11
	v_cmp_eq_u16_e32 vcc, 0, v12
	v_cndmask_b32_e32 v10, v10, v11, vcc
	v_cndmask_b32_e32 v11, v12, v14, vcc
	v_lshlrev_b32_e32 v12, 16, v17
	v_mov_b32_e32 v14, 0x3b800000
	v_lshlrev_b32_e32 v10, 20, v10
	v_and_b32_e32 v12, 0x80000000, v12
	v_lshl_add_u32 v11, v11, 23, v14
	v_or3_b32 v10, v12, v11, v10
.LBB34_1388:
	s_or_b64 exec, exec, s[6:7]
	v_lshrrev_b32_e32 v11, 8, v13
	s_movk_i32 s4, 0x7f
	v_cmp_gt_i16_sdwa s[6:7], v11, s4 src0_sel:BYTE_0 src1_sel:DWORD
	s_mov_b64 s[4:5], 0
                                        ; implicit-def: $sgpr10
	s_and_saveexec_b64 s[8:9], s[6:7]
	s_xor_b64 s[6:7], exec, s[8:9]
	s_cbranch_execnz .LBB34_3437
; %bb.1389:
	s_or_saveexec_b64 s[6:7], s[6:7]
	v_mov_b32_e32 v12, s10
	s_xor_b64 exec, exec, s[6:7]
	s_cbranch_execnz .LBB34_3440
.LBB34_1390:
	s_or_b64 exec, exec, s[6:7]
	s_and_saveexec_b64 s[6:7], s[4:5]
	s_cbranch_execz .LBB34_1392
.LBB34_1391:
	v_bfe_u32 v12, v13, 8, 3
	v_ffbh_u32_e32 v15, v12
	v_min_u32_e32 v15, 32, v15
	v_lshrrev_b16_e32 v14, 3, v11
	v_subrev_u32_e32 v16, 28, v15
	v_and_b32_e32 v14, 15, v14
	v_lshlrev_b32_e32 v11, v16, v11
	v_sub_u32_e32 v15, 29, v15
	v_and_b32_e32 v11, 7, v11
	v_cmp_eq_u16_e32 vcc, 0, v14
	v_cndmask_b32_e32 v11, v12, v11, vcc
	v_cndmask_b32_e32 v12, v14, v15, vcc
	v_lshlrev_b32_e32 v14, 16, v13
	v_mov_b32_e32 v15, 0x3b800000
	v_lshlrev_b32_e32 v11, 20, v11
	v_and_b32_e32 v14, 0x80000000, v14
	v_lshl_add_u32 v12, v12, 23, v15
	v_or3_b32 v12, v14, v12, v11
.LBB34_1392:
	s_or_b64 exec, exec, s[6:7]
	s_nop 0
	v_mfma_f32_16x16x4f32 a[0:3], v10, v12, a[0:3]
	s_movk_i32 s4, 0xff
	v_and_b32_sdwa v11, v17, s4 dst_sel:DWORD dst_unused:UNUSED_PAD src0_sel:WORD_1 src1_sel:DWORD
	s_movk_i32 s4, 0x7f
	v_cmp_lt_i16_e32 vcc, s4, v11
	s_mov_b64 s[4:5], 0
                                        ; implicit-def: $sgpr10
	s_and_saveexec_b64 s[6:7], vcc
	s_xor_b64 s[6:7], exec, s[6:7]
	s_cbranch_execnz .LBB34_3441
; %bb.1393:
	s_or_saveexec_b64 s[6:7], s[6:7]
	v_mov_b32_e32 v10, s10
	s_xor_b64 exec, exec, s[6:7]
	s_cbranch_execnz .LBB34_3444
.LBB34_1394:
	s_or_b64 exec, exec, s[6:7]
	s_and_saveexec_b64 s[6:7], s[4:5]
	s_cbranch_execz .LBB34_1396
.LBB34_1395:
	v_bfe_u32 v10, v17, 16, 3
	v_ffbh_u32_e32 v14, v10
	v_min_u32_e32 v14, 32, v14
	v_lshrrev_b32_e32 v11, 19, v17
	v_subrev_u32_e32 v15, 28, v14
	v_and_b32_e32 v11, 15, v11
	v_lshlrev_b32_sdwa v15, v15, v17 dst_sel:DWORD dst_unused:UNUSED_PAD src0_sel:DWORD src1_sel:WORD_1
	v_bfe_u32 v12, v17, 19, 4
	v_sub_u32_e32 v14, 29, v14
	v_and_b32_e32 v15, 7, v15
	v_cmp_eq_u16_e32 vcc, 0, v11
	v_cndmask_b32_e32 v10, v10, v15, vcc
	v_cndmask_b32_e32 v11, v12, v14, vcc
	v_lshlrev_b32_e32 v12, 8, v17
	v_mov_b32_e32 v14, 0x3b800000
	v_lshlrev_b32_e32 v10, 20, v10
	v_and_b32_e32 v12, 0x80000000, v12
	v_lshl_add_u32 v11, v11, 23, v14
	v_or3_b32 v10, v12, v11, v10
.LBB34_1396:
	s_or_b64 exec, exec, s[6:7]
	s_movk_i32 s4, 0xff
	v_and_b32_sdwa v11, v13, s4 dst_sel:DWORD dst_unused:UNUSED_PAD src0_sel:WORD_1 src1_sel:DWORD
	s_movk_i32 s4, 0x7f
	v_cmp_lt_i16_e32 vcc, s4, v11
	s_mov_b64 s[4:5], 0
                                        ; implicit-def: $sgpr10
	s_and_saveexec_b64 s[6:7], vcc
	s_xor_b64 s[6:7], exec, s[6:7]
	s_cbranch_execnz .LBB34_3445
; %bb.1397:
	s_or_saveexec_b64 s[6:7], s[6:7]
	v_mov_b32_e32 v12, s10
	s_xor_b64 exec, exec, s[6:7]
	s_cbranch_execnz .LBB34_3448
.LBB34_1398:
	s_or_b64 exec, exec, s[6:7]
	s_and_saveexec_b64 s[6:7], s[4:5]
	s_cbranch_execz .LBB34_1400
.LBB34_1399:
	v_bfe_u32 v11, v13, 16, 3
	v_ffbh_u32_e32 v15, v11
	v_min_u32_e32 v15, 32, v15
	v_lshrrev_b32_e32 v12, 19, v13
	v_subrev_u32_e32 v16, 28, v15
	v_and_b32_e32 v12, 15, v12
	v_lshlrev_b32_sdwa v16, v16, v13 dst_sel:DWORD dst_unused:UNUSED_PAD src0_sel:DWORD src1_sel:WORD_1
	v_bfe_u32 v14, v13, 19, 4
	v_sub_u32_e32 v15, 29, v15
	v_and_b32_e32 v16, 7, v16
	v_cmp_eq_u16_e32 vcc, 0, v12
	v_cndmask_b32_e32 v11, v11, v16, vcc
	v_cndmask_b32_e32 v12, v14, v15, vcc
	v_lshlrev_b32_e32 v14, 8, v13
	v_mov_b32_e32 v15, 0x3b800000
	v_lshlrev_b32_e32 v11, 20, v11
	v_and_b32_e32 v14, 0x80000000, v14
	v_lshl_add_u32 v12, v12, 23, v15
	v_or3_b32 v12, v14, v12, v11
.LBB34_1400:
	s_or_b64 exec, exec, s[6:7]
	s_nop 0
	v_mfma_f32_16x16x4f32 a[0:3], v10, v12, a[0:3]
	s_movk_i32 s4, 0x7f
	v_cmp_gt_i16_sdwa s[6:7], v17, s4 src0_sel:BYTE_3 src1_sel:DWORD
	s_mov_b64 s[4:5], 0
                                        ; implicit-def: $sgpr10
	s_and_saveexec_b64 s[8:9], s[6:7]
	s_xor_b64 s[6:7], exec, s[8:9]
	s_cbranch_execnz .LBB34_3449
; %bb.1401:
	s_or_saveexec_b64 s[6:7], s[6:7]
	v_mov_b32_e32 v10, s10
	s_xor_b64 exec, exec, s[6:7]
	s_cbranch_execnz .LBB34_3452
.LBB34_1402:
	s_or_b64 exec, exec, s[6:7]
	s_and_saveexec_b64 s[6:7], s[4:5]
	s_cbranch_execz .LBB34_1404
.LBB34_1403:
	v_bfe_u32 v10, v17, 24, 3
	v_ffbh_u32_e32 v15, v10
	v_min_u32_e32 v15, 32, v15
	v_lshrrev_b32_e32 v12, 27, v17
	v_subrev_u32_e32 v16, 28, v15
	v_and_b32_e32 v12, 15, v12
	v_lshlrev_b32_sdwa v16, v16, v17 dst_sel:DWORD dst_unused:UNUSED_PAD src0_sel:DWORD src1_sel:BYTE_3
	v_bfe_u32 v14, v17, 27, 4
	v_sub_u32_e32 v15, 29, v15
	v_and_b32_e32 v16, 7, v16
	v_cmp_eq_u16_e32 vcc, 0, v12
	v_cndmask_b32_e32 v10, v10, v16, vcc
	v_cndmask_b32_e32 v12, v14, v15, vcc
	v_mov_b32_e32 v14, 0x3b800000
	v_and_b32_e32 v11, 0x80000000, v17
	v_lshlrev_b32_e32 v10, 20, v10
	v_lshl_add_u32 v12, v12, 23, v14
	v_or3_b32 v10, v11, v12, v10
.LBB34_1404:
	s_or_b64 exec, exec, s[6:7]
	s_movk_i32 s4, 0x7f
	v_cmp_gt_i16_sdwa s[6:7], v13, s4 src0_sel:BYTE_3 src1_sel:DWORD
	s_mov_b64 s[4:5], 0
                                        ; implicit-def: $sgpr10
	s_and_saveexec_b64 s[8:9], s[6:7]
	s_xor_b64 s[6:7], exec, s[8:9]
	s_cbranch_execnz .LBB34_3453
; %bb.1405:
	s_or_saveexec_b64 s[6:7], s[6:7]
	v_mov_b32_e32 v11, s10
	s_xor_b64 exec, exec, s[6:7]
	s_cbranch_execnz .LBB34_3456
.LBB34_1406:
	s_or_b64 exec, exec, s[6:7]
	s_and_saveexec_b64 s[6:7], s[4:5]
	s_cbranch_execz .LBB34_1408
.LBB34_1407:
	v_bfe_u32 v11, v13, 24, 3
	v_ffbh_u32_e32 v16, v11
	v_min_u32_e32 v16, 32, v16
	v_lshrrev_b32_e32 v14, 27, v13
	v_subrev_u32_e32 v17, 28, v16
	v_and_b32_e32 v12, 0x80000000, v13
	v_and_b32_e32 v14, 15, v14
	v_bfe_u32 v15, v13, 27, 4
	v_lshlrev_b32_sdwa v13, v17, v13 dst_sel:DWORD dst_unused:UNUSED_PAD src0_sel:DWORD src1_sel:BYTE_3
	v_sub_u32_e32 v16, 29, v16
	v_and_b32_e32 v13, 7, v13
	v_cmp_eq_u16_e32 vcc, 0, v14
	v_cndmask_b32_e32 v11, v11, v13, vcc
	v_cndmask_b32_e32 v13, v15, v16, vcc
	v_mov_b32_e32 v14, 0x3b800000
	v_lshlrev_b32_e32 v11, 20, v11
	v_lshl_add_u32 v13, v13, 23, v14
	v_or3_b32 v11, v12, v13, v11
.LBB34_1408:
	s_or_b64 exec, exec, s[6:7]
	s_nop 0
	v_mfma_f32_16x16x4f32 a[0:3], v10, v11, a[0:3]
	s_movk_i32 s4, 0x7f
	v_cmp_gt_i16_sdwa s[6:7], v6, s4 src0_sel:BYTE_0 src1_sel:DWORD
	s_mov_b64 s[4:5], 0
                                        ; implicit-def: $sgpr10
	s_and_saveexec_b64 s[8:9], s[6:7]
	s_xor_b64 s[6:7], exec, s[8:9]
	s_cbranch_execnz .LBB34_3457
; %bb.1409:
	s_or_saveexec_b64 s[6:7], s[6:7]
	v_mov_b32_e32 v10, s10
	s_xor_b64 exec, exec, s[6:7]
	s_cbranch_execnz .LBB34_3460
.LBB34_1410:
	s_or_b64 exec, exec, s[6:7]
	s_and_saveexec_b64 s[6:7], s[4:5]
	s_cbranch_execz .LBB34_1412
.LBB34_1411:
	v_and_b32_e32 v10, 7, v6
	v_ffbh_u32_e32 v12, v10
	v_min_u32_e32 v12, 32, v12
	v_lshrrev_b16_e32 v11, 3, v6
	v_subrev_u32_e32 v13, 28, v12
	v_and_b32_e32 v11, 15, v11
	v_lshlrev_b32_e32 v13, v13, v6
	v_sub_u32_e32 v12, 29, v12
	v_and_b32_e32 v13, 7, v13
	v_cmp_eq_u16_e32 vcc, 0, v11
	v_cndmask_b32_e32 v10, v10, v13, vcc
	v_cndmask_b32_e32 v11, v11, v12, vcc
	v_lshlrev_b32_e32 v12, 24, v6
	v_mov_b32_e32 v13, 0x3b800000
	v_lshlrev_b32_e32 v10, 20, v10
	v_and_b32_e32 v12, 0x80000000, v12
	v_lshl_add_u32 v11, v11, 23, v13
	v_or3_b32 v10, v12, v11, v10
.LBB34_1412:
	s_or_b64 exec, exec, s[6:7]
	s_movk_i32 s4, 0x7f
	v_cmp_gt_i16_sdwa s[6:7], v2, s4 src0_sel:BYTE_0 src1_sel:DWORD
	s_mov_b64 s[4:5], 0
                                        ; implicit-def: $sgpr10
	s_and_saveexec_b64 s[8:9], s[6:7]
	s_xor_b64 s[6:7], exec, s[8:9]
	s_cbranch_execnz .LBB34_3461
; %bb.1413:
	s_or_saveexec_b64 s[6:7], s[6:7]
	v_mov_b32_e32 v11, s10
	s_xor_b64 exec, exec, s[6:7]
	s_cbranch_execnz .LBB34_3464
.LBB34_1414:
	s_or_b64 exec, exec, s[6:7]
	s_and_saveexec_b64 s[6:7], s[4:5]
	s_cbranch_execz .LBB34_1416
.LBB34_1415:
	v_and_b32_e32 v11, 7, v2
	v_ffbh_u32_e32 v13, v11
	v_min_u32_e32 v13, 32, v13
	v_lshrrev_b16_e32 v12, 3, v2
	v_subrev_u32_e32 v14, 28, v13
	v_and_b32_e32 v12, 15, v12
	v_lshlrev_b32_e32 v14, v14, v2
	v_sub_u32_e32 v13, 29, v13
	v_and_b32_e32 v14, 7, v14
	v_cmp_eq_u16_e32 vcc, 0, v12
	v_cndmask_b32_e32 v11, v11, v14, vcc
	v_cndmask_b32_e32 v12, v12, v13, vcc
	v_lshlrev_b32_e32 v13, 24, v2
	v_mov_b32_e32 v14, 0x3b800000
	v_lshlrev_b32_e32 v11, 20, v11
	v_and_b32_e32 v13, 0x80000000, v13
	v_lshl_add_u32 v12, v12, 23, v14
	v_or3_b32 v11, v13, v12, v11
.LBB34_1416:
	s_or_b64 exec, exec, s[6:7]
	s_nop 0
	v_mfma_f32_16x16x4f32 a[0:3], v10, v11, a[0:3]
	v_lshrrev_b32_e32 v11, 8, v6
	s_movk_i32 s4, 0x7f
	v_cmp_gt_i16_sdwa s[6:7], v11, s4 src0_sel:BYTE_0 src1_sel:DWORD
	s_mov_b64 s[4:5], 0
                                        ; implicit-def: $sgpr10
	s_and_saveexec_b64 s[8:9], s[6:7]
	s_xor_b64 s[6:7], exec, s[8:9]
	s_cbranch_execnz .LBB34_3465
; %bb.1417:
	s_or_saveexec_b64 s[6:7], s[6:7]
	v_mov_b32_e32 v10, s10
	s_xor_b64 exec, exec, s[6:7]
	s_cbranch_execnz .LBB34_3468
.LBB34_1418:
	s_or_b64 exec, exec, s[6:7]
	s_and_saveexec_b64 s[6:7], s[4:5]
	s_cbranch_execz .LBB34_1420
.LBB34_1419:
	v_bfe_u32 v10, v6, 8, 3
	v_ffbh_u32_e32 v13, v10
	v_min_u32_e32 v13, 32, v13
	v_lshrrev_b16_e32 v12, 3, v11
	v_subrev_u32_e32 v14, 28, v13
	v_and_b32_e32 v12, 15, v12
	v_lshlrev_b32_e32 v11, v14, v11
	v_sub_u32_e32 v13, 29, v13
	v_and_b32_e32 v11, 7, v11
	v_cmp_eq_u16_e32 vcc, 0, v12
	v_cndmask_b32_e32 v10, v10, v11, vcc
	v_cndmask_b32_e32 v11, v12, v13, vcc
	v_lshlrev_b32_e32 v12, 16, v6
	v_mov_b32_e32 v13, 0x3b800000
	v_lshlrev_b32_e32 v10, 20, v10
	v_and_b32_e32 v12, 0x80000000, v12
	v_lshl_add_u32 v11, v11, 23, v13
	v_or3_b32 v10, v12, v11, v10
.LBB34_1420:
	s_or_b64 exec, exec, s[6:7]
	v_lshrrev_b32_e32 v11, 8, v2
	s_movk_i32 s4, 0x7f
	v_cmp_gt_i16_sdwa s[6:7], v11, s4 src0_sel:BYTE_0 src1_sel:DWORD
	s_mov_b64 s[4:5], 0
                                        ; implicit-def: $sgpr10
	s_and_saveexec_b64 s[8:9], s[6:7]
	s_xor_b64 s[6:7], exec, s[8:9]
	s_cbranch_execnz .LBB34_3469
; %bb.1421:
	s_or_saveexec_b64 s[6:7], s[6:7]
	v_mov_b32_e32 v12, s10
	s_xor_b64 exec, exec, s[6:7]
	s_cbranch_execnz .LBB34_3472
.LBB34_1422:
	s_or_b64 exec, exec, s[6:7]
	s_and_saveexec_b64 s[6:7], s[4:5]
	s_cbranch_execz .LBB34_1424
.LBB34_1423:
	v_bfe_u32 v12, v2, 8, 3
	v_ffbh_u32_e32 v14, v12
	v_min_u32_e32 v14, 32, v14
	v_lshrrev_b16_e32 v13, 3, v11
	v_subrev_u32_e32 v15, 28, v14
	v_and_b32_e32 v13, 15, v13
	v_lshlrev_b32_e32 v11, v15, v11
	v_sub_u32_e32 v14, 29, v14
	v_and_b32_e32 v11, 7, v11
	v_cmp_eq_u16_e32 vcc, 0, v13
	v_cndmask_b32_e32 v11, v12, v11, vcc
	v_cndmask_b32_e32 v12, v13, v14, vcc
	v_lshlrev_b32_e32 v13, 16, v2
	v_mov_b32_e32 v14, 0x3b800000
	v_lshlrev_b32_e32 v11, 20, v11
	v_and_b32_e32 v13, 0x80000000, v13
	v_lshl_add_u32 v12, v12, 23, v14
	v_or3_b32 v12, v13, v12, v11
.LBB34_1424:
	s_or_b64 exec, exec, s[6:7]
	s_nop 0
	v_mfma_f32_16x16x4f32 a[0:3], v10, v12, a[0:3]
	s_movk_i32 s4, 0xff
	v_and_b32_sdwa v11, v6, s4 dst_sel:DWORD dst_unused:UNUSED_PAD src0_sel:WORD_1 src1_sel:DWORD
	s_movk_i32 s4, 0x7f
	v_cmp_lt_i16_e32 vcc, s4, v11
	s_mov_b64 s[4:5], 0
                                        ; implicit-def: $sgpr10
	s_and_saveexec_b64 s[6:7], vcc
	s_xor_b64 s[6:7], exec, s[6:7]
	s_cbranch_execnz .LBB34_3473
; %bb.1425:
	s_or_saveexec_b64 s[6:7], s[6:7]
	v_mov_b32_e32 v10, s10
	s_xor_b64 exec, exec, s[6:7]
	s_cbranch_execnz .LBB34_3476
.LBB34_1426:
	s_or_b64 exec, exec, s[6:7]
	s_and_saveexec_b64 s[6:7], s[4:5]
	s_cbranch_execz .LBB34_1428
.LBB34_1427:
	v_bfe_u32 v10, v6, 16, 3
	v_ffbh_u32_e32 v13, v10
	v_min_u32_e32 v13, 32, v13
	v_lshrrev_b32_e32 v11, 19, v6
	v_subrev_u32_e32 v14, 28, v13
	v_and_b32_e32 v11, 15, v11
	v_lshlrev_b32_sdwa v14, v14, v6 dst_sel:DWORD dst_unused:UNUSED_PAD src0_sel:DWORD src1_sel:WORD_1
	v_bfe_u32 v12, v6, 19, 4
	v_sub_u32_e32 v13, 29, v13
	v_and_b32_e32 v14, 7, v14
	v_cmp_eq_u16_e32 vcc, 0, v11
	v_cndmask_b32_e32 v10, v10, v14, vcc
	v_cndmask_b32_e32 v11, v12, v13, vcc
	v_lshlrev_b32_e32 v12, 8, v6
	v_mov_b32_e32 v13, 0x3b800000
	v_lshlrev_b32_e32 v10, 20, v10
	v_and_b32_e32 v12, 0x80000000, v12
	v_lshl_add_u32 v11, v11, 23, v13
	v_or3_b32 v10, v12, v11, v10
.LBB34_1428:
	s_or_b64 exec, exec, s[6:7]
	s_movk_i32 s4, 0xff
	v_and_b32_sdwa v11, v2, s4 dst_sel:DWORD dst_unused:UNUSED_PAD src0_sel:WORD_1 src1_sel:DWORD
	s_movk_i32 s4, 0x7f
	v_cmp_lt_i16_e32 vcc, s4, v11
	s_mov_b64 s[4:5], 0
                                        ; implicit-def: $sgpr10
	s_and_saveexec_b64 s[6:7], vcc
	s_xor_b64 s[6:7], exec, s[6:7]
	s_cbranch_execnz .LBB34_3477
; %bb.1429:
	s_or_saveexec_b64 s[6:7], s[6:7]
	v_mov_b32_e32 v12, s10
	s_xor_b64 exec, exec, s[6:7]
	s_cbranch_execnz .LBB34_3480
.LBB34_1430:
	s_or_b64 exec, exec, s[6:7]
	s_and_saveexec_b64 s[6:7], s[4:5]
	s_cbranch_execz .LBB34_1432
.LBB34_1431:
	v_bfe_u32 v11, v2, 16, 3
	v_ffbh_u32_e32 v14, v11
	v_min_u32_e32 v14, 32, v14
	v_lshrrev_b32_e32 v12, 19, v2
	v_subrev_u32_e32 v15, 28, v14
	v_and_b32_e32 v12, 15, v12
	v_lshlrev_b32_sdwa v15, v15, v2 dst_sel:DWORD dst_unused:UNUSED_PAD src0_sel:DWORD src1_sel:WORD_1
	v_bfe_u32 v13, v2, 19, 4
	v_sub_u32_e32 v14, 29, v14
	v_and_b32_e32 v15, 7, v15
	v_cmp_eq_u16_e32 vcc, 0, v12
	v_cndmask_b32_e32 v11, v11, v15, vcc
	v_cndmask_b32_e32 v12, v13, v14, vcc
	v_lshlrev_b32_e32 v13, 8, v2
	v_mov_b32_e32 v14, 0x3b800000
	v_lshlrev_b32_e32 v11, 20, v11
	v_and_b32_e32 v13, 0x80000000, v13
	v_lshl_add_u32 v12, v12, 23, v14
	v_or3_b32 v12, v13, v12, v11
.LBB34_1432:
	s_or_b64 exec, exec, s[6:7]
	s_nop 0
	v_mfma_f32_16x16x4f32 a[0:3], v10, v12, a[0:3]
	s_movk_i32 s4, 0x7f
	v_cmp_gt_i16_sdwa s[6:7], v6, s4 src0_sel:BYTE_3 src1_sel:DWORD
	s_mov_b64 s[4:5], 0
                                        ; implicit-def: $sgpr10
	s_and_saveexec_b64 s[8:9], s[6:7]
	s_xor_b64 s[6:7], exec, s[8:9]
	s_cbranch_execnz .LBB34_3481
; %bb.1433:
	s_or_saveexec_b64 s[6:7], s[6:7]
	v_mov_b32_e32 v10, s10
	s_xor_b64 exec, exec, s[6:7]
	s_cbranch_execnz .LBB34_3484
.LBB34_1434:
	s_or_b64 exec, exec, s[6:7]
	s_and_saveexec_b64 s[6:7], s[4:5]
	s_cbranch_execz .LBB34_1436
.LBB34_1435:
	v_bfe_u32 v10, v6, 24, 3
	v_ffbh_u32_e32 v14, v10
	v_min_u32_e32 v14, 32, v14
	v_lshrrev_b32_e32 v12, 27, v6
	v_subrev_u32_e32 v15, 28, v14
	v_and_b32_e32 v11, 0x80000000, v6
	v_and_b32_e32 v12, 15, v12
	v_bfe_u32 v13, v6, 27, 4
	v_lshlrev_b32_sdwa v6, v15, v6 dst_sel:DWORD dst_unused:UNUSED_PAD src0_sel:DWORD src1_sel:BYTE_3
	v_sub_u32_e32 v14, 29, v14
	v_and_b32_e32 v6, 7, v6
	v_cmp_eq_u16_e32 vcc, 0, v12
	v_cndmask_b32_e32 v6, v10, v6, vcc
	v_cndmask_b32_e32 v10, v13, v14, vcc
	v_mov_b32_e32 v12, 0x3b800000
	v_lshlrev_b32_e32 v6, 20, v6
	v_lshl_add_u32 v10, v10, 23, v12
	v_or3_b32 v10, v11, v10, v6
.LBB34_1436:
	s_or_b64 exec, exec, s[6:7]
	s_movk_i32 s4, 0x7f
	v_cmp_gt_i16_sdwa s[6:7], v2, s4 src0_sel:BYTE_3 src1_sel:DWORD
	s_mov_b64 s[4:5], 0
                                        ; implicit-def: $sgpr10
	s_and_saveexec_b64 s[8:9], s[6:7]
	s_xor_b64 s[6:7], exec, s[8:9]
	s_cbranch_execnz .LBB34_3485
; %bb.1437:
	s_or_saveexec_b64 s[6:7], s[6:7]
	v_mov_b32_e32 v6, s10
	s_xor_b64 exec, exec, s[6:7]
	s_cbranch_execnz .LBB34_3488
.LBB34_1438:
	s_or_b64 exec, exec, s[6:7]
	s_and_saveexec_b64 s[6:7], s[4:5]
	s_cbranch_execz .LBB34_1440
.LBB34_1439:
	v_bfe_u32 v6, v2, 24, 3
	v_ffbh_u32_e32 v14, v6
	v_min_u32_e32 v14, 32, v14
	v_lshrrev_b32_e32 v12, 27, v2
	v_subrev_u32_e32 v15, 28, v14
	v_and_b32_e32 v11, 0x80000000, v2
	v_and_b32_e32 v12, 15, v12
	v_bfe_u32 v13, v2, 27, 4
	v_lshlrev_b32_sdwa v2, v15, v2 dst_sel:DWORD dst_unused:UNUSED_PAD src0_sel:DWORD src1_sel:BYTE_3
	v_sub_u32_e32 v14, 29, v14
	v_and_b32_e32 v2, 7, v2
	v_cmp_eq_u16_e32 vcc, 0, v12
	v_cndmask_b32_e32 v2, v6, v2, vcc
	v_cndmask_b32_e32 v6, v13, v14, vcc
	v_mov_b32_e32 v12, 0x3b800000
	v_lshlrev_b32_e32 v2, 20, v2
	v_lshl_add_u32 v6, v6, 23, v12
	v_or3_b32 v6, v11, v6, v2
.LBB34_1440:
	s_or_b64 exec, exec, s[6:7]
	s_nop 0
	v_mfma_f32_16x16x4f32 a[0:3], v10, v6, a[0:3]
	s_movk_i32 s4, 0x7f
	v_cmp_gt_i16_sdwa s[6:7], v7, s4 src0_sel:BYTE_0 src1_sel:DWORD
	s_mov_b64 s[4:5], 0
                                        ; implicit-def: $sgpr10
	s_and_saveexec_b64 s[8:9], s[6:7]
	s_xor_b64 s[6:7], exec, s[8:9]
	s_cbranch_execnz .LBB34_3489
; %bb.1441:
	s_or_saveexec_b64 s[6:7], s[6:7]
	v_mov_b32_e32 v2, s10
	s_xor_b64 exec, exec, s[6:7]
	s_cbranch_execnz .LBB34_3492
.LBB34_1442:
	s_or_b64 exec, exec, s[6:7]
	s_and_saveexec_b64 s[6:7], s[4:5]
	s_cbranch_execz .LBB34_1444
.LBB34_1443:
	v_and_b32_e32 v2, 7, v7
	v_ffbh_u32_e32 v10, v2
	v_min_u32_e32 v10, 32, v10
	v_lshrrev_b16_e32 v6, 3, v7
	v_subrev_u32_e32 v11, 28, v10
	v_and_b32_e32 v6, 15, v6
	v_lshlrev_b32_e32 v11, v11, v7
	v_sub_u32_e32 v10, 29, v10
	v_and_b32_e32 v11, 7, v11
	v_cmp_eq_u16_e32 vcc, 0, v6
	v_cndmask_b32_e32 v2, v2, v11, vcc
	v_cndmask_b32_e32 v6, v6, v10, vcc
	v_lshlrev_b32_e32 v10, 24, v7
	v_mov_b32_e32 v11, 0x3b800000
	v_lshlrev_b32_e32 v2, 20, v2
	v_and_b32_e32 v10, 0x80000000, v10
	v_lshl_add_u32 v6, v6, 23, v11
	v_or3_b32 v2, v10, v6, v2
.LBB34_1444:
	s_or_b64 exec, exec, s[6:7]
	s_movk_i32 s4, 0x7f
	v_cmp_gt_i16_sdwa s[6:7], v3, s4 src0_sel:BYTE_0 src1_sel:DWORD
	s_mov_b64 s[4:5], 0
                                        ; implicit-def: $sgpr10
	s_and_saveexec_b64 s[8:9], s[6:7]
	s_xor_b64 s[6:7], exec, s[8:9]
	s_cbranch_execnz .LBB34_3493
; %bb.1445:
	s_or_saveexec_b64 s[6:7], s[6:7]
	v_mov_b32_e32 v6, s10
	s_xor_b64 exec, exec, s[6:7]
	s_cbranch_execnz .LBB34_3496
.LBB34_1446:
	s_or_b64 exec, exec, s[6:7]
	s_and_saveexec_b64 s[6:7], s[4:5]
	s_cbranch_execz .LBB34_1448
.LBB34_1447:
	v_and_b32_e32 v6, 7, v3
	v_ffbh_u32_e32 v11, v6
	v_min_u32_e32 v11, 32, v11
	v_lshrrev_b16_e32 v10, 3, v3
	v_subrev_u32_e32 v12, 28, v11
	v_and_b32_e32 v10, 15, v10
	v_lshlrev_b32_e32 v12, v12, v3
	v_sub_u32_e32 v11, 29, v11
	v_and_b32_e32 v12, 7, v12
	v_cmp_eq_u16_e32 vcc, 0, v10
	v_cndmask_b32_e32 v6, v6, v12, vcc
	v_cndmask_b32_e32 v10, v10, v11, vcc
	v_lshlrev_b32_e32 v11, 24, v3
	v_mov_b32_e32 v12, 0x3b800000
	v_lshlrev_b32_e32 v6, 20, v6
	v_and_b32_e32 v11, 0x80000000, v11
	v_lshl_add_u32 v10, v10, 23, v12
	v_or3_b32 v6, v11, v10, v6
.LBB34_1448:
	s_or_b64 exec, exec, s[6:7]
	s_nop 0
	v_mfma_f32_16x16x4f32 a[0:3], v2, v6, a[0:3]
	v_lshrrev_b32_e32 v6, 8, v7
	s_movk_i32 s4, 0x7f
	v_cmp_gt_i16_sdwa s[6:7], v6, s4 src0_sel:BYTE_0 src1_sel:DWORD
	s_mov_b64 s[4:5], 0
                                        ; implicit-def: $sgpr10
	s_and_saveexec_b64 s[8:9], s[6:7]
	s_xor_b64 s[6:7], exec, s[8:9]
	s_cbranch_execnz .LBB34_3497
; %bb.1449:
	s_or_saveexec_b64 s[6:7], s[6:7]
	v_mov_b32_e32 v2, s10
	s_xor_b64 exec, exec, s[6:7]
	s_cbranch_execnz .LBB34_3500
.LBB34_1450:
	s_or_b64 exec, exec, s[6:7]
	s_and_saveexec_b64 s[6:7], s[4:5]
	s_cbranch_execz .LBB34_1452
.LBB34_1451:
	v_bfe_u32 v2, v7, 8, 3
	v_ffbh_u32_e32 v11, v2
	v_min_u32_e32 v11, 32, v11
	v_lshrrev_b16_e32 v10, 3, v6
	v_subrev_u32_e32 v12, 28, v11
	v_and_b32_e32 v10, 15, v10
	v_lshlrev_b32_e32 v6, v12, v6
	v_sub_u32_e32 v11, 29, v11
	v_and_b32_e32 v6, 7, v6
	v_cmp_eq_u16_e32 vcc, 0, v10
	v_cndmask_b32_e32 v2, v2, v6, vcc
	v_cndmask_b32_e32 v6, v10, v11, vcc
	v_lshlrev_b32_e32 v10, 16, v7
	v_mov_b32_e32 v11, 0x3b800000
	v_lshlrev_b32_e32 v2, 20, v2
	v_and_b32_e32 v10, 0x80000000, v10
	v_lshl_add_u32 v6, v6, 23, v11
	v_or3_b32 v2, v10, v6, v2
.LBB34_1452:
	s_or_b64 exec, exec, s[6:7]
	v_lshrrev_b32_e32 v6, 8, v3
	s_movk_i32 s4, 0x7f
	v_cmp_gt_i16_sdwa s[6:7], v6, s4 src0_sel:BYTE_0 src1_sel:DWORD
	s_mov_b64 s[4:5], 0
                                        ; implicit-def: $sgpr10
	s_and_saveexec_b64 s[8:9], s[6:7]
	s_xor_b64 s[6:7], exec, s[8:9]
	s_cbranch_execnz .LBB34_3501
; %bb.1453:
	s_or_saveexec_b64 s[6:7], s[6:7]
	v_mov_b32_e32 v10, s10
	s_xor_b64 exec, exec, s[6:7]
	s_cbranch_execnz .LBB34_3504
.LBB34_1454:
	s_or_b64 exec, exec, s[6:7]
	s_and_saveexec_b64 s[6:7], s[4:5]
	s_cbranch_execz .LBB34_1456
.LBB34_1455:
	v_bfe_u32 v10, v3, 8, 3
	v_ffbh_u32_e32 v12, v10
	v_min_u32_e32 v12, 32, v12
	v_lshrrev_b16_e32 v11, 3, v6
	v_subrev_u32_e32 v13, 28, v12
	v_and_b32_e32 v11, 15, v11
	v_lshlrev_b32_e32 v6, v13, v6
	v_sub_u32_e32 v12, 29, v12
	v_and_b32_e32 v6, 7, v6
	v_cmp_eq_u16_e32 vcc, 0, v11
	v_cndmask_b32_e32 v6, v10, v6, vcc
	v_cndmask_b32_e32 v10, v11, v12, vcc
	v_lshlrev_b32_e32 v11, 16, v3
	v_mov_b32_e32 v12, 0x3b800000
	v_lshlrev_b32_e32 v6, 20, v6
	v_and_b32_e32 v11, 0x80000000, v11
	v_lshl_add_u32 v10, v10, 23, v12
	v_or3_b32 v10, v11, v10, v6
.LBB34_1456:
	s_or_b64 exec, exec, s[6:7]
	s_nop 0
	v_mfma_f32_16x16x4f32 a[0:3], v2, v10, a[0:3]
	s_movk_i32 s4, 0xff
	v_and_b32_sdwa v6, v7, s4 dst_sel:DWORD dst_unused:UNUSED_PAD src0_sel:WORD_1 src1_sel:DWORD
	s_movk_i32 s4, 0x7f
	v_cmp_lt_i16_e32 vcc, s4, v6
	s_mov_b64 s[4:5], 0
                                        ; implicit-def: $sgpr10
	s_and_saveexec_b64 s[6:7], vcc
	s_xor_b64 s[6:7], exec, s[6:7]
	s_cbranch_execnz .LBB34_3505
; %bb.1457:
	s_or_saveexec_b64 s[6:7], s[6:7]
	v_mov_b32_e32 v2, s10
	s_xor_b64 exec, exec, s[6:7]
	s_cbranch_execnz .LBB34_3508
.LBB34_1458:
	s_or_b64 exec, exec, s[6:7]
	s_and_saveexec_b64 s[6:7], s[4:5]
	s_cbranch_execz .LBB34_1460
.LBB34_1459:
	v_bfe_u32 v2, v7, 16, 3
	v_ffbh_u32_e32 v11, v2
	v_min_u32_e32 v11, 32, v11
	v_lshrrev_b32_e32 v6, 19, v7
	v_subrev_u32_e32 v12, 28, v11
	v_and_b32_e32 v6, 15, v6
	v_lshlrev_b32_sdwa v12, v12, v7 dst_sel:DWORD dst_unused:UNUSED_PAD src0_sel:DWORD src1_sel:WORD_1
	v_bfe_u32 v10, v7, 19, 4
	v_sub_u32_e32 v11, 29, v11
	v_and_b32_e32 v12, 7, v12
	v_cmp_eq_u16_e32 vcc, 0, v6
	v_cndmask_b32_e32 v2, v2, v12, vcc
	v_cndmask_b32_e32 v6, v10, v11, vcc
	v_lshlrev_b32_e32 v10, 8, v7
	v_mov_b32_e32 v11, 0x3b800000
	v_lshlrev_b32_e32 v2, 20, v2
	v_and_b32_e32 v10, 0x80000000, v10
	v_lshl_add_u32 v6, v6, 23, v11
	v_or3_b32 v2, v10, v6, v2
.LBB34_1460:
	s_or_b64 exec, exec, s[6:7]
	s_movk_i32 s4, 0xff
	v_and_b32_sdwa v6, v3, s4 dst_sel:DWORD dst_unused:UNUSED_PAD src0_sel:WORD_1 src1_sel:DWORD
	s_movk_i32 s4, 0x7f
	v_cmp_lt_i16_e32 vcc, s4, v6
	s_mov_b64 s[4:5], 0
                                        ; implicit-def: $sgpr10
	s_and_saveexec_b64 s[6:7], vcc
	s_xor_b64 s[6:7], exec, s[6:7]
	s_cbranch_execnz .LBB34_3509
; %bb.1461:
	s_or_saveexec_b64 s[6:7], s[6:7]
	v_mov_b32_e32 v10, s10
	s_xor_b64 exec, exec, s[6:7]
	s_cbranch_execnz .LBB34_3512
.LBB34_1462:
	s_or_b64 exec, exec, s[6:7]
	s_and_saveexec_b64 s[6:7], s[4:5]
	s_cbranch_execz .LBB34_1464
.LBB34_1463:
	v_bfe_u32 v6, v3, 16, 3
	v_ffbh_u32_e32 v12, v6
	v_min_u32_e32 v12, 32, v12
	v_lshrrev_b32_e32 v10, 19, v3
	v_subrev_u32_e32 v13, 28, v12
	v_and_b32_e32 v10, 15, v10
	v_lshlrev_b32_sdwa v13, v13, v3 dst_sel:DWORD dst_unused:UNUSED_PAD src0_sel:DWORD src1_sel:WORD_1
	v_bfe_u32 v11, v3, 19, 4
	v_sub_u32_e32 v12, 29, v12
	v_and_b32_e32 v13, 7, v13
	v_cmp_eq_u16_e32 vcc, 0, v10
	v_cndmask_b32_e32 v6, v6, v13, vcc
	v_cndmask_b32_e32 v10, v11, v12, vcc
	v_lshlrev_b32_e32 v11, 8, v3
	v_mov_b32_e32 v12, 0x3b800000
	v_lshlrev_b32_e32 v6, 20, v6
	v_and_b32_e32 v11, 0x80000000, v11
	v_lshl_add_u32 v10, v10, 23, v12
	v_or3_b32 v10, v11, v10, v6
.LBB34_1464:
	s_or_b64 exec, exec, s[6:7]
	s_nop 0
	v_mfma_f32_16x16x4f32 a[0:3], v2, v10, a[0:3]
	s_movk_i32 s4, 0x7f
	v_cmp_gt_i16_sdwa s[6:7], v7, s4 src0_sel:BYTE_3 src1_sel:DWORD
	s_mov_b64 s[4:5], 0
                                        ; implicit-def: $sgpr10
	s_and_saveexec_b64 s[8:9], s[6:7]
	s_xor_b64 s[6:7], exec, s[8:9]
	s_cbranch_execnz .LBB34_3513
; %bb.1465:
	s_or_saveexec_b64 s[6:7], s[6:7]
	v_mov_b32_e32 v2, s10
	s_xor_b64 exec, exec, s[6:7]
	s_cbranch_execnz .LBB34_3516
.LBB34_1466:
	s_or_b64 exec, exec, s[6:7]
	s_and_saveexec_b64 s[6:7], s[4:5]
	s_cbranch_execz .LBB34_1468
.LBB34_1467:
	v_bfe_u32 v2, v7, 24, 3
	v_ffbh_u32_e32 v12, v2
	v_min_u32_e32 v12, 32, v12
	v_lshrrev_b32_e32 v10, 27, v7
	v_subrev_u32_e32 v13, 28, v12
	v_and_b32_e32 v6, 0x80000000, v7
	v_and_b32_e32 v10, 15, v10
	v_bfe_u32 v11, v7, 27, 4
	v_lshlrev_b32_sdwa v7, v13, v7 dst_sel:DWORD dst_unused:UNUSED_PAD src0_sel:DWORD src1_sel:BYTE_3
	v_sub_u32_e32 v12, 29, v12
	v_and_b32_e32 v7, 7, v7
	v_cmp_eq_u16_e32 vcc, 0, v10
	v_cndmask_b32_e32 v2, v2, v7, vcc
	v_cndmask_b32_e32 v7, v11, v12, vcc
	v_mov_b32_e32 v10, 0x3b800000
	v_lshlrev_b32_e32 v2, 20, v2
	v_lshl_add_u32 v7, v7, 23, v10
	v_or3_b32 v2, v6, v7, v2
.LBB34_1468:
	s_or_b64 exec, exec, s[6:7]
	s_movk_i32 s4, 0x7f
	v_cmp_gt_i16_sdwa s[6:7], v3, s4 src0_sel:BYTE_3 src1_sel:DWORD
	s_mov_b64 s[4:5], 0
                                        ; implicit-def: $sgpr10
	s_and_saveexec_b64 s[8:9], s[6:7]
	s_xor_b64 s[6:7], exec, s[8:9]
	s_cbranch_execnz .LBB34_3517
; %bb.1469:
	s_or_saveexec_b64 s[6:7], s[6:7]
	v_mov_b32_e32 v6, s10
	s_xor_b64 exec, exec, s[6:7]
	s_cbranch_execnz .LBB34_3520
.LBB34_1470:
	s_or_b64 exec, exec, s[6:7]
	s_and_saveexec_b64 s[6:7], s[4:5]
	s_cbranch_execz .LBB34_1472
.LBB34_1471:
	v_bfe_u32 v6, v3, 24, 3
	v_ffbh_u32_e32 v12, v6
	v_min_u32_e32 v12, 32, v12
	v_lshrrev_b32_e32 v10, 27, v3
	v_subrev_u32_e32 v13, 28, v12
	v_and_b32_e32 v7, 0x80000000, v3
	v_and_b32_e32 v10, 15, v10
	v_bfe_u32 v11, v3, 27, 4
	v_lshlrev_b32_sdwa v3, v13, v3 dst_sel:DWORD dst_unused:UNUSED_PAD src0_sel:DWORD src1_sel:BYTE_3
	v_sub_u32_e32 v12, 29, v12
	v_and_b32_e32 v3, 7, v3
	v_cmp_eq_u16_e32 vcc, 0, v10
	v_cndmask_b32_e32 v3, v6, v3, vcc
	v_cndmask_b32_e32 v6, v11, v12, vcc
	v_mov_b32_e32 v10, 0x3b800000
	v_lshlrev_b32_e32 v3, 20, v3
	v_lshl_add_u32 v6, v6, 23, v10
	v_or3_b32 v6, v7, v6, v3
.LBB34_1472:
	s_or_b64 exec, exec, s[6:7]
	s_nop 0
	v_mfma_f32_16x16x4f32 a[0:3], v2, v6, a[0:3]
	s_movk_i32 s4, 0x7f
	v_cmp_gt_i16_sdwa s[6:7], v8, s4 src0_sel:BYTE_0 src1_sel:DWORD
	s_mov_b64 s[4:5], 0
                                        ; implicit-def: $sgpr10
	s_and_saveexec_b64 s[8:9], s[6:7]
	s_xor_b64 s[6:7], exec, s[8:9]
	s_cbranch_execnz .LBB34_3521
; %bb.1473:
	s_or_saveexec_b64 s[6:7], s[6:7]
	v_mov_b32_e32 v2, s10
	s_xor_b64 exec, exec, s[6:7]
	s_cbranch_execnz .LBB34_3524
.LBB34_1474:
	s_or_b64 exec, exec, s[6:7]
	s_and_saveexec_b64 s[6:7], s[4:5]
	s_cbranch_execz .LBB34_1476
.LBB34_1475:
	v_and_b32_e32 v2, 7, v8
	v_ffbh_u32_e32 v6, v2
	v_min_u32_e32 v6, 32, v6
	v_lshrrev_b16_e32 v3, 3, v8
	v_subrev_u32_e32 v7, 28, v6
	v_and_b32_e32 v3, 15, v3
	v_lshlrev_b32_e32 v7, v7, v8
	v_sub_u32_e32 v6, 29, v6
	v_and_b32_e32 v7, 7, v7
	v_cmp_eq_u16_e32 vcc, 0, v3
	v_cndmask_b32_e32 v2, v2, v7, vcc
	v_cndmask_b32_e32 v3, v3, v6, vcc
	v_lshlrev_b32_e32 v6, 24, v8
	v_mov_b32_e32 v7, 0x3b800000
	v_lshlrev_b32_e32 v2, 20, v2
	v_and_b32_e32 v6, 0x80000000, v6
	v_lshl_add_u32 v3, v3, 23, v7
	v_or3_b32 v2, v6, v3, v2
.LBB34_1476:
	s_or_b64 exec, exec, s[6:7]
	s_movk_i32 s4, 0x7f
	v_cmp_gt_i16_sdwa s[6:7], v4, s4 src0_sel:BYTE_0 src1_sel:DWORD
	s_mov_b64 s[4:5], 0
                                        ; implicit-def: $sgpr10
	s_and_saveexec_b64 s[8:9], s[6:7]
	s_xor_b64 s[6:7], exec, s[8:9]
	s_cbranch_execnz .LBB34_3525
; %bb.1477:
	s_or_saveexec_b64 s[6:7], s[6:7]
	v_mov_b32_e32 v3, s10
	s_xor_b64 exec, exec, s[6:7]
	s_cbranch_execnz .LBB34_3528
.LBB34_1478:
	s_or_b64 exec, exec, s[6:7]
	s_and_saveexec_b64 s[6:7], s[4:5]
	s_cbranch_execz .LBB34_1480
.LBB34_1479:
	v_and_b32_e32 v3, 7, v4
	v_ffbh_u32_e32 v7, v3
	v_min_u32_e32 v7, 32, v7
	v_lshrrev_b16_e32 v6, 3, v4
	v_subrev_u32_e32 v10, 28, v7
	v_and_b32_e32 v6, 15, v6
	v_lshlrev_b32_e32 v10, v10, v4
	v_sub_u32_e32 v7, 29, v7
	v_and_b32_e32 v10, 7, v10
	v_cmp_eq_u16_e32 vcc, 0, v6
	v_cndmask_b32_e32 v3, v3, v10, vcc
	v_cndmask_b32_e32 v6, v6, v7, vcc
	v_lshlrev_b32_e32 v7, 24, v4
	v_mov_b32_e32 v10, 0x3b800000
	v_lshlrev_b32_e32 v3, 20, v3
	v_and_b32_e32 v7, 0x80000000, v7
	v_lshl_add_u32 v6, v6, 23, v10
	v_or3_b32 v3, v7, v6, v3
.LBB34_1480:
	s_or_b64 exec, exec, s[6:7]
	s_nop 0
	v_mfma_f32_16x16x4f32 a[0:3], v2, v3, a[0:3]
	v_lshrrev_b32_e32 v3, 8, v8
	s_movk_i32 s4, 0x7f
	v_cmp_gt_i16_sdwa s[6:7], v3, s4 src0_sel:BYTE_0 src1_sel:DWORD
	s_mov_b64 s[4:5], 0
                                        ; implicit-def: $sgpr10
	s_and_saveexec_b64 s[8:9], s[6:7]
	s_xor_b64 s[6:7], exec, s[8:9]
	s_cbranch_execnz .LBB34_3529
; %bb.1481:
	s_or_saveexec_b64 s[6:7], s[6:7]
	v_mov_b32_e32 v2, s10
	s_xor_b64 exec, exec, s[6:7]
	s_cbranch_execnz .LBB34_3532
.LBB34_1482:
	s_or_b64 exec, exec, s[6:7]
	s_and_saveexec_b64 s[6:7], s[4:5]
	s_cbranch_execz .LBB34_1484
.LBB34_1483:
	v_bfe_u32 v2, v8, 8, 3
	v_ffbh_u32_e32 v7, v2
	v_min_u32_e32 v7, 32, v7
	v_lshrrev_b16_e32 v6, 3, v3
	v_subrev_u32_e32 v10, 28, v7
	v_and_b32_e32 v6, 15, v6
	v_lshlrev_b32_e32 v3, v10, v3
	v_sub_u32_e32 v7, 29, v7
	v_and_b32_e32 v3, 7, v3
	v_cmp_eq_u16_e32 vcc, 0, v6
	v_cndmask_b32_e32 v2, v2, v3, vcc
	v_cndmask_b32_e32 v3, v6, v7, vcc
	v_lshlrev_b32_e32 v6, 16, v8
	v_mov_b32_e32 v7, 0x3b800000
	v_lshlrev_b32_e32 v2, 20, v2
	v_and_b32_e32 v6, 0x80000000, v6
	v_lshl_add_u32 v3, v3, 23, v7
	v_or3_b32 v2, v6, v3, v2
.LBB34_1484:
	s_or_b64 exec, exec, s[6:7]
	v_lshrrev_b32_e32 v3, 8, v4
	s_movk_i32 s4, 0x7f
	v_cmp_gt_i16_sdwa s[6:7], v3, s4 src0_sel:BYTE_0 src1_sel:DWORD
	s_mov_b64 s[4:5], 0
                                        ; implicit-def: $sgpr10
	s_and_saveexec_b64 s[8:9], s[6:7]
	s_xor_b64 s[6:7], exec, s[8:9]
	s_cbranch_execnz .LBB34_3533
; %bb.1485:
	s_or_saveexec_b64 s[6:7], s[6:7]
	v_mov_b32_e32 v6, s10
	s_xor_b64 exec, exec, s[6:7]
	s_cbranch_execnz .LBB34_3536
.LBB34_1486:
	s_or_b64 exec, exec, s[6:7]
	s_and_saveexec_b64 s[6:7], s[4:5]
	s_cbranch_execz .LBB34_1488
.LBB34_1487:
	v_bfe_u32 v6, v4, 8, 3
	v_ffbh_u32_e32 v10, v6
	v_min_u32_e32 v10, 32, v10
	v_lshrrev_b16_e32 v7, 3, v3
	v_subrev_u32_e32 v11, 28, v10
	v_and_b32_e32 v7, 15, v7
	v_lshlrev_b32_e32 v3, v11, v3
	v_sub_u32_e32 v10, 29, v10
	v_and_b32_e32 v3, 7, v3
	v_cmp_eq_u16_e32 vcc, 0, v7
	v_cndmask_b32_e32 v3, v6, v3, vcc
	v_cndmask_b32_e32 v6, v7, v10, vcc
	v_lshlrev_b32_e32 v7, 16, v4
	v_mov_b32_e32 v10, 0x3b800000
	v_lshlrev_b32_e32 v3, 20, v3
	v_and_b32_e32 v7, 0x80000000, v7
	v_lshl_add_u32 v6, v6, 23, v10
	v_or3_b32 v6, v7, v6, v3
.LBB34_1488:
	s_or_b64 exec, exec, s[6:7]
	s_nop 0
	v_mfma_f32_16x16x4f32 a[0:3], v2, v6, a[0:3]
	s_movk_i32 s4, 0xff
	v_and_b32_sdwa v3, v8, s4 dst_sel:DWORD dst_unused:UNUSED_PAD src0_sel:WORD_1 src1_sel:DWORD
	s_movk_i32 s4, 0x7f
	v_cmp_lt_i16_e32 vcc, s4, v3
	s_mov_b64 s[4:5], 0
                                        ; implicit-def: $sgpr10
	s_and_saveexec_b64 s[6:7], vcc
	s_xor_b64 s[6:7], exec, s[6:7]
	s_cbranch_execnz .LBB34_3537
; %bb.1489:
	s_or_saveexec_b64 s[6:7], s[6:7]
	v_mov_b32_e32 v2, s10
	s_xor_b64 exec, exec, s[6:7]
	s_cbranch_execnz .LBB34_3540
.LBB34_1490:
	s_or_b64 exec, exec, s[6:7]
	s_and_saveexec_b64 s[6:7], s[4:5]
	s_cbranch_execz .LBB34_1492
.LBB34_1491:
	v_bfe_u32 v2, v8, 16, 3
	v_ffbh_u32_e32 v7, v2
	v_min_u32_e32 v7, 32, v7
	v_lshrrev_b32_e32 v3, 19, v8
	v_subrev_u32_e32 v10, 28, v7
	v_and_b32_e32 v3, 15, v3
	v_lshlrev_b32_sdwa v10, v10, v8 dst_sel:DWORD dst_unused:UNUSED_PAD src0_sel:DWORD src1_sel:WORD_1
	v_bfe_u32 v6, v8, 19, 4
	v_sub_u32_e32 v7, 29, v7
	v_and_b32_e32 v10, 7, v10
	v_cmp_eq_u16_e32 vcc, 0, v3
	v_cndmask_b32_e32 v2, v2, v10, vcc
	v_cndmask_b32_e32 v3, v6, v7, vcc
	v_lshlrev_b32_e32 v6, 8, v8
	v_mov_b32_e32 v7, 0x3b800000
	v_lshlrev_b32_e32 v2, 20, v2
	v_and_b32_e32 v6, 0x80000000, v6
	v_lshl_add_u32 v3, v3, 23, v7
	v_or3_b32 v2, v6, v3, v2
.LBB34_1492:
	s_or_b64 exec, exec, s[6:7]
	s_movk_i32 s4, 0xff
	v_and_b32_sdwa v3, v4, s4 dst_sel:DWORD dst_unused:UNUSED_PAD src0_sel:WORD_1 src1_sel:DWORD
	s_movk_i32 s4, 0x7f
	v_cmp_lt_i16_e32 vcc, s4, v3
	s_mov_b64 s[4:5], 0
                                        ; implicit-def: $sgpr10
	s_and_saveexec_b64 s[6:7], vcc
	s_xor_b64 s[6:7], exec, s[6:7]
	s_cbranch_execnz .LBB34_3541
; %bb.1493:
	s_or_saveexec_b64 s[6:7], s[6:7]
	v_mov_b32_e32 v6, s10
	s_xor_b64 exec, exec, s[6:7]
	s_cbranch_execnz .LBB34_3544
.LBB34_1494:
	s_or_b64 exec, exec, s[6:7]
	s_and_saveexec_b64 s[6:7], s[4:5]
	s_cbranch_execz .LBB34_1496
.LBB34_1495:
	v_bfe_u32 v3, v4, 16, 3
	v_ffbh_u32_e32 v10, v3
	v_min_u32_e32 v10, 32, v10
	v_lshrrev_b32_e32 v6, 19, v4
	v_subrev_u32_e32 v11, 28, v10
	v_and_b32_e32 v6, 15, v6
	v_lshlrev_b32_sdwa v11, v11, v4 dst_sel:DWORD dst_unused:UNUSED_PAD src0_sel:DWORD src1_sel:WORD_1
	v_bfe_u32 v7, v4, 19, 4
	v_sub_u32_e32 v10, 29, v10
	v_and_b32_e32 v11, 7, v11
	v_cmp_eq_u16_e32 vcc, 0, v6
	v_cndmask_b32_e32 v3, v3, v11, vcc
	v_cndmask_b32_e32 v6, v7, v10, vcc
	v_lshlrev_b32_e32 v7, 8, v4
	v_mov_b32_e32 v10, 0x3b800000
	v_lshlrev_b32_e32 v3, 20, v3
	v_and_b32_e32 v7, 0x80000000, v7
	v_lshl_add_u32 v6, v6, 23, v10
	v_or3_b32 v6, v7, v6, v3
.LBB34_1496:
	s_or_b64 exec, exec, s[6:7]
	s_nop 0
	v_mfma_f32_16x16x4f32 a[0:3], v2, v6, a[0:3]
	s_movk_i32 s4, 0x7f
	v_cmp_gt_i16_sdwa s[6:7], v8, s4 src0_sel:BYTE_3 src1_sel:DWORD
	s_mov_b64 s[4:5], 0
                                        ; implicit-def: $sgpr10
	s_and_saveexec_b64 s[8:9], s[6:7]
	s_xor_b64 s[6:7], exec, s[8:9]
	s_cbranch_execnz .LBB34_3545
; %bb.1497:
	s_or_saveexec_b64 s[6:7], s[6:7]
	v_mov_b32_e32 v2, s10
	s_xor_b64 exec, exec, s[6:7]
	s_cbranch_execnz .LBB34_3548
.LBB34_1498:
	s_or_b64 exec, exec, s[6:7]
	s_and_saveexec_b64 s[6:7], s[4:5]
	s_cbranch_execz .LBB34_1500
.LBB34_1499:
	v_bfe_u32 v2, v8, 24, 3
	v_ffbh_u32_e32 v10, v2
	v_min_u32_e32 v10, 32, v10
	v_lshrrev_b32_e32 v6, 27, v8
	v_subrev_u32_e32 v11, 28, v10
	v_and_b32_e32 v3, 0x80000000, v8
	v_and_b32_e32 v6, 15, v6
	v_bfe_u32 v7, v8, 27, 4
	v_lshlrev_b32_sdwa v8, v11, v8 dst_sel:DWORD dst_unused:UNUSED_PAD src0_sel:DWORD src1_sel:BYTE_3
	v_sub_u32_e32 v10, 29, v10
	v_and_b32_e32 v8, 7, v8
	v_cmp_eq_u16_e32 vcc, 0, v6
	v_cndmask_b32_e32 v2, v2, v8, vcc
	v_cndmask_b32_e32 v6, v7, v10, vcc
	v_mov_b32_e32 v7, 0x3b800000
	v_lshlrev_b32_e32 v2, 20, v2
	v_lshl_add_u32 v6, v6, 23, v7
	v_or3_b32 v2, v3, v6, v2
.LBB34_1500:
	s_or_b64 exec, exec, s[6:7]
	s_movk_i32 s4, 0x7f
	v_cmp_gt_i16_sdwa s[6:7], v4, s4 src0_sel:BYTE_3 src1_sel:DWORD
	s_mov_b64 s[4:5], 0
                                        ; implicit-def: $sgpr10
	s_and_saveexec_b64 s[8:9], s[6:7]
	s_xor_b64 s[6:7], exec, s[8:9]
	s_cbranch_execnz .LBB34_3549
; %bb.1501:
	s_or_saveexec_b64 s[6:7], s[6:7]
	v_mov_b32_e32 v3, s10
	s_xor_b64 exec, exec, s[6:7]
	s_cbranch_execnz .LBB34_3552
.LBB34_1502:
	s_or_b64 exec, exec, s[6:7]
	s_and_saveexec_b64 s[6:7], s[4:5]
	s_cbranch_execz .LBB34_1504
.LBB34_1503:
	v_bfe_u32 v3, v4, 24, 3
	v_ffbh_u32_e32 v10, v3
	v_min_u32_e32 v10, 32, v10
	v_lshrrev_b32_e32 v7, 27, v4
	v_subrev_u32_e32 v11, 28, v10
	v_and_b32_e32 v6, 0x80000000, v4
	v_and_b32_e32 v7, 15, v7
	v_bfe_u32 v8, v4, 27, 4
	v_lshlrev_b32_sdwa v4, v11, v4 dst_sel:DWORD dst_unused:UNUSED_PAD src0_sel:DWORD src1_sel:BYTE_3
	v_sub_u32_e32 v10, 29, v10
	v_and_b32_e32 v4, 7, v4
	v_cmp_eq_u16_e32 vcc, 0, v7
	v_cndmask_b32_e32 v3, v3, v4, vcc
	v_cndmask_b32_e32 v4, v8, v10, vcc
	v_mov_b32_e32 v7, 0x3b800000
	v_lshlrev_b32_e32 v3, 20, v3
	v_lshl_add_u32 v4, v4, 23, v7
	v_or3_b32 v3, v6, v4, v3
.LBB34_1504:
	s_or_b64 exec, exec, s[6:7]
	s_nop 0
	v_mfma_f32_16x16x4f32 a[0:3], v2, v3, a[0:3]
	s_movk_i32 s4, 0x7f
	v_cmp_gt_i16_sdwa s[6:7], v9, s4 src0_sel:BYTE_0 src1_sel:DWORD
	s_mov_b64 s[4:5], 0
                                        ; implicit-def: $sgpr10
	s_and_saveexec_b64 s[8:9], s[6:7]
	s_xor_b64 s[6:7], exec, s[8:9]
	s_cbranch_execnz .LBB34_3553
; %bb.1505:
	s_or_saveexec_b64 s[6:7], s[6:7]
	v_mov_b32_e32 v2, s10
	s_xor_b64 exec, exec, s[6:7]
	s_cbranch_execnz .LBB34_3556
.LBB34_1506:
	s_or_b64 exec, exec, s[6:7]
	s_and_saveexec_b64 s[6:7], s[4:5]
	s_cbranch_execz .LBB34_1508
.LBB34_1507:
	v_mov_b32_e32 v2, 8
	v_and_b32_e32 v3, 7, v9
	v_lshrrev_b32_sdwa v2, v2, v9 dst_sel:BYTE_1 dst_unused:UNUSED_PAD src0_sel:DWORD src1_sel:DWORD
	v_ffbh_u32_e32 v4, v3
	v_or_b32_sdwa v2, v9, v2 dst_sel:DWORD dst_unused:UNUSED_PAD src0_sel:BYTE_0 src1_sel:DWORD
	v_min_u32_e32 v4, 32, v4
	v_lshrrev_b16_e32 v2, 3, v2
	v_subrev_u32_e32 v6, 28, v4
	v_and_b32_e32 v2, 15, v2
	v_lshlrev_b32_e32 v6, v6, v9
	v_sub_u32_e32 v4, 29, v4
	v_and_b32_e32 v6, 7, v6
	v_cmp_eq_u16_e32 vcc, 0, v2
	v_cndmask_b32_e32 v3, v3, v6, vcc
	v_cndmask_b32_e32 v2, v2, v4, vcc
	v_lshlrev_b32_e32 v4, 24, v9
	v_mov_b32_e32 v6, 0x3b800000
	v_lshlrev_b32_e32 v3, 20, v3
	v_and_b32_e32 v4, 0x80000000, v4
	v_lshl_add_u32 v2, v2, 23, v6
	v_or3_b32 v2, v4, v2, v3
.LBB34_1508:
	s_or_b64 exec, exec, s[6:7]
	s_movk_i32 s4, 0x7f
	v_cmp_gt_i16_sdwa s[6:7], v5, s4 src0_sel:BYTE_0 src1_sel:DWORD
	s_mov_b64 s[4:5], 0
                                        ; implicit-def: $sgpr10
	s_and_saveexec_b64 s[8:9], s[6:7]
	s_xor_b64 s[6:7], exec, s[8:9]
	s_cbranch_execnz .LBB34_3557
; %bb.1509:
	s_or_saveexec_b64 s[6:7], s[6:7]
	v_mov_b32_e32 v3, s10
	s_xor_b64 exec, exec, s[6:7]
	s_cbranch_execnz .LBB34_3560
.LBB34_1510:
	s_or_b64 exec, exec, s[6:7]
	s_and_saveexec_b64 s[6:7], s[4:5]
	s_cbranch_execz .LBB34_1512
.LBB34_1511:
	v_mov_b32_e32 v3, 8
	v_and_b32_e32 v4, 7, v5
	v_lshrrev_b32_sdwa v3, v3, v5 dst_sel:BYTE_1 dst_unused:UNUSED_PAD src0_sel:DWORD src1_sel:DWORD
	v_ffbh_u32_e32 v6, v4
	v_or_b32_sdwa v3, v5, v3 dst_sel:DWORD dst_unused:UNUSED_PAD src0_sel:BYTE_0 src1_sel:DWORD
	v_min_u32_e32 v6, 32, v6
	v_lshrrev_b16_e32 v3, 3, v3
	v_subrev_u32_e32 v7, 28, v6
	v_and_b32_e32 v3, 15, v3
	v_lshlrev_b32_e32 v7, v7, v5
	v_sub_u32_e32 v6, 29, v6
	v_and_b32_e32 v7, 7, v7
	v_cmp_eq_u16_e32 vcc, 0, v3
	v_cndmask_b32_e32 v4, v4, v7, vcc
	v_cndmask_b32_e32 v3, v3, v6, vcc
	v_lshlrev_b32_e32 v6, 24, v5
	v_mov_b32_e32 v7, 0x3b800000
	v_lshlrev_b32_e32 v4, 20, v4
	v_and_b32_e32 v6, 0x80000000, v6
	v_lshl_add_u32 v3, v3, 23, v7
	v_or3_b32 v3, v6, v3, v4
.LBB34_1512:
	s_or_b64 exec, exec, s[6:7]
	s_nop 0
	v_mfma_f32_16x16x4f32 a[0:3], v2, v3, a[0:3]
	v_lshrrev_b32_e32 v3, 8, v9
	s_movk_i32 s4, 0x7f
	v_cmp_gt_i16_sdwa s[6:7], v3, s4 src0_sel:BYTE_0 src1_sel:DWORD
	s_mov_b64 s[4:5], 0
                                        ; implicit-def: $sgpr10
	s_and_saveexec_b64 s[8:9], s[6:7]
	s_xor_b64 s[6:7], exec, s[8:9]
	s_cbranch_execnz .LBB34_3561
; %bb.1513:
	s_or_saveexec_b64 s[6:7], s[6:7]
	v_mov_b32_e32 v2, s10
	s_xor_b64 exec, exec, s[6:7]
	s_cbranch_execnz .LBB34_3564
.LBB34_1514:
	s_or_b64 exec, exec, s[6:7]
	s_and_saveexec_b64 s[6:7], s[4:5]
	s_cbranch_execz .LBB34_1516
.LBB34_1515:
	v_bfe_u32 v2, v9, 8, 3
	v_ffbh_u32_e32 v6, v2
	v_min_u32_e32 v6, 32, v6
	v_lshrrev_b16_e32 v4, 3, v3
	v_subrev_u32_e32 v7, 28, v6
	v_and_b32_e32 v4, 15, v4
	v_lshlrev_b32_e32 v3, v7, v3
	v_sub_u32_e32 v6, 29, v6
	v_and_b32_e32 v3, 7, v3
	v_cmp_eq_u16_e32 vcc, 0, v4
	v_cndmask_b32_e32 v2, v2, v3, vcc
	v_cndmask_b32_e32 v3, v4, v6, vcc
	v_lshlrev_b32_e32 v4, 16, v9
	v_mov_b32_e32 v6, 0x3b800000
	v_lshlrev_b32_e32 v2, 20, v2
	v_and_b32_e32 v4, 0x80000000, v4
	v_lshl_add_u32 v3, v3, 23, v6
	v_or3_b32 v2, v4, v3, v2
.LBB34_1516:
	s_or_b64 exec, exec, s[6:7]
	v_lshrrev_b32_e32 v3, 8, v5
	s_movk_i32 s4, 0x7f
	v_cmp_gt_i16_sdwa s[6:7], v3, s4 src0_sel:BYTE_0 src1_sel:DWORD
	s_mov_b64 s[4:5], 0
                                        ; implicit-def: $sgpr10
	s_and_saveexec_b64 s[8:9], s[6:7]
	s_xor_b64 s[6:7], exec, s[8:9]
	s_cbranch_execnz .LBB34_3565
; %bb.1517:
	s_or_saveexec_b64 s[6:7], s[6:7]
	v_mov_b32_e32 v4, s10
	s_xor_b64 exec, exec, s[6:7]
	s_cbranch_execnz .LBB34_3568
.LBB34_1518:
	s_or_b64 exec, exec, s[6:7]
	s_and_saveexec_b64 s[6:7], s[4:5]
	s_cbranch_execz .LBB34_1520
.LBB34_1519:
	v_bfe_u32 v4, v5, 8, 3
	v_ffbh_u32_e32 v7, v4
	v_min_u32_e32 v7, 32, v7
	v_lshrrev_b16_e32 v6, 3, v3
	v_subrev_u32_e32 v8, 28, v7
	v_and_b32_e32 v6, 15, v6
	v_lshlrev_b32_e32 v3, v8, v3
	v_sub_u32_e32 v7, 29, v7
	v_and_b32_e32 v3, 7, v3
	v_cmp_eq_u16_e32 vcc, 0, v6
	v_cndmask_b32_e32 v3, v4, v3, vcc
	v_cndmask_b32_e32 v4, v6, v7, vcc
	v_lshlrev_b32_e32 v6, 16, v5
	v_mov_b32_e32 v7, 0x3b800000
	v_lshlrev_b32_e32 v3, 20, v3
	v_and_b32_e32 v6, 0x80000000, v6
	v_lshl_add_u32 v4, v4, 23, v7
	v_or3_b32 v4, v6, v4, v3
.LBB34_1520:
	s_or_b64 exec, exec, s[6:7]
	s_nop 0
	v_mfma_f32_16x16x4f32 a[0:3], v2, v4, a[0:3]
	s_movk_i32 s4, 0xff
	v_and_b32_sdwa v3, v9, s4 dst_sel:DWORD dst_unused:UNUSED_PAD src0_sel:WORD_1 src1_sel:DWORD
	s_movk_i32 s4, 0x7f
	v_cmp_lt_i16_e32 vcc, s4, v3
	s_mov_b64 s[4:5], 0
                                        ; implicit-def: $sgpr10
	s_and_saveexec_b64 s[6:7], vcc
	s_xor_b64 s[6:7], exec, s[6:7]
	s_cbranch_execnz .LBB34_3569
; %bb.1521:
	s_or_saveexec_b64 s[6:7], s[6:7]
	v_mov_b32_e32 v2, s10
	s_xor_b64 exec, exec, s[6:7]
	s_cbranch_execnz .LBB34_3572
.LBB34_1522:
	s_or_b64 exec, exec, s[6:7]
	s_and_saveexec_b64 s[6:7], s[4:5]
	s_cbranch_execz .LBB34_1524
.LBB34_1523:
	v_bfe_u32 v2, v9, 16, 3
	v_ffbh_u32_e32 v6, v2
	v_min_u32_e32 v6, 32, v6
	v_lshrrev_b32_e32 v3, 19, v9
	v_subrev_u32_e32 v7, 28, v6
	v_and_b32_e32 v3, 15, v3
	v_lshlrev_b32_sdwa v7, v7, v9 dst_sel:DWORD dst_unused:UNUSED_PAD src0_sel:DWORD src1_sel:WORD_1
	v_bfe_u32 v4, v9, 19, 4
	v_sub_u32_e32 v6, 29, v6
	v_and_b32_e32 v7, 7, v7
	v_cmp_eq_u16_e32 vcc, 0, v3
	v_cndmask_b32_e32 v2, v2, v7, vcc
	v_cndmask_b32_e32 v3, v4, v6, vcc
	v_lshlrev_b32_e32 v4, 8, v9
	v_mov_b32_e32 v6, 0x3b800000
	v_lshlrev_b32_e32 v2, 20, v2
	v_and_b32_e32 v4, 0x80000000, v4
	v_lshl_add_u32 v3, v3, 23, v6
	v_or3_b32 v2, v4, v3, v2
.LBB34_1524:
	s_or_b64 exec, exec, s[6:7]
	s_movk_i32 s4, 0xff
	v_and_b32_sdwa v3, v5, s4 dst_sel:DWORD dst_unused:UNUSED_PAD src0_sel:WORD_1 src1_sel:DWORD
	s_movk_i32 s4, 0x7f
	v_cmp_lt_i16_e32 vcc, s4, v3
	s_mov_b64 s[4:5], 0
                                        ; implicit-def: $sgpr10
	s_and_saveexec_b64 s[6:7], vcc
	s_xor_b64 s[6:7], exec, s[6:7]
	s_cbranch_execnz .LBB34_3573
; %bb.1525:
	s_or_saveexec_b64 s[6:7], s[6:7]
	v_mov_b32_e32 v4, s10
	s_xor_b64 exec, exec, s[6:7]
	s_cbranch_execnz .LBB34_3576
.LBB34_1526:
	s_or_b64 exec, exec, s[6:7]
	s_and_saveexec_b64 s[6:7], s[4:5]
	s_cbranch_execz .LBB34_1528
.LBB34_1527:
	v_bfe_u32 v3, v5, 16, 3
	v_ffbh_u32_e32 v7, v3
	v_min_u32_e32 v7, 32, v7
	v_lshrrev_b32_e32 v4, 19, v5
	v_subrev_u32_e32 v8, 28, v7
	v_and_b32_e32 v4, 15, v4
	v_lshlrev_b32_sdwa v8, v8, v5 dst_sel:DWORD dst_unused:UNUSED_PAD src0_sel:DWORD src1_sel:WORD_1
	v_bfe_u32 v6, v5, 19, 4
	v_sub_u32_e32 v7, 29, v7
	v_and_b32_e32 v8, 7, v8
	v_cmp_eq_u16_e32 vcc, 0, v4
	v_cndmask_b32_e32 v3, v3, v8, vcc
	v_cndmask_b32_e32 v4, v6, v7, vcc
	v_lshlrev_b32_e32 v6, 8, v5
	v_mov_b32_e32 v7, 0x3b800000
	v_lshlrev_b32_e32 v3, 20, v3
	v_and_b32_e32 v6, 0x80000000, v6
	v_lshl_add_u32 v4, v4, 23, v7
	v_or3_b32 v4, v6, v4, v3
.LBB34_1528:
	s_or_b64 exec, exec, s[6:7]
	s_nop 0
	v_mfma_f32_16x16x4f32 a[0:3], v2, v4, a[0:3]
	s_movk_i32 s4, 0x7f
	v_cmp_gt_i16_sdwa s[6:7], v9, s4 src0_sel:BYTE_3 src1_sel:DWORD
	s_mov_b64 s[4:5], 0
                                        ; implicit-def: $sgpr10
	s_and_saveexec_b64 s[8:9], s[6:7]
	s_xor_b64 s[6:7], exec, s[8:9]
	s_cbranch_execnz .LBB34_3577
; %bb.1529:
	s_or_saveexec_b64 s[6:7], s[6:7]
	v_mov_b32_e32 v2, s10
	s_xor_b64 exec, exec, s[6:7]
	s_cbranch_execnz .LBB34_3580
.LBB34_1530:
	s_or_b64 exec, exec, s[6:7]
	s_and_saveexec_b64 s[6:7], s[4:5]
	s_cbranch_execz .LBB34_1532
.LBB34_1531:
	v_bfe_u32 v2, v9, 24, 3
	v_ffbh_u32_e32 v7, v2
	v_min_u32_e32 v7, 32, v7
	v_lshrrev_b32_e32 v4, 27, v9
	v_subrev_u32_e32 v8, 28, v7
	v_and_b32_e32 v4, 15, v4
	v_lshlrev_b32_sdwa v8, v8, v9 dst_sel:DWORD dst_unused:UNUSED_PAD src0_sel:DWORD src1_sel:BYTE_3
	v_bfe_u32 v6, v9, 27, 4
	v_sub_u32_e32 v7, 29, v7
	v_and_b32_e32 v8, 7, v8
	v_cmp_eq_u16_e32 vcc, 0, v4
	v_cndmask_b32_e32 v2, v2, v8, vcc
	v_cndmask_b32_e32 v4, v6, v7, vcc
	v_mov_b32_e32 v6, 0x3b800000
	v_and_b32_e32 v3, 0x80000000, v9
	v_lshlrev_b32_e32 v2, 20, v2
	v_lshl_add_u32 v4, v4, 23, v6
	v_or3_b32 v2, v3, v4, v2
.LBB34_1532:
	s_or_b64 exec, exec, s[6:7]
	s_movk_i32 s4, 0x7f
	v_cmp_gt_i16_sdwa s[6:7], v5, s4 src0_sel:BYTE_3 src1_sel:DWORD
	s_mov_b64 s[4:5], 0
                                        ; implicit-def: $sgpr10
	s_and_saveexec_b64 s[8:9], s[6:7]
	s_xor_b64 s[6:7], exec, s[8:9]
	s_cbranch_execnz .LBB34_3581
; %bb.1533:
	s_or_saveexec_b64 s[6:7], s[6:7]
	v_mov_b32_e32 v3, s10
	s_xor_b64 exec, exec, s[6:7]
	s_cbranch_execnz .LBB34_3584
.LBB34_1534:
	s_or_b64 exec, exec, s[6:7]
	s_and_saveexec_b64 s[6:7], s[4:5]
	s_cbranch_execz .LBB34_1536
.LBB34_1535:
	v_bfe_u32 v3, v5, 24, 3
	v_ffbh_u32_e32 v8, v3
	v_min_u32_e32 v8, 32, v8
	v_lshrrev_b32_e32 v6, 27, v5
	v_subrev_u32_e32 v9, 28, v8
	v_and_b32_e32 v4, 0x80000000, v5
	v_and_b32_e32 v6, 15, v6
	v_bfe_u32 v7, v5, 27, 4
	v_lshlrev_b32_sdwa v5, v9, v5 dst_sel:DWORD dst_unused:UNUSED_PAD src0_sel:DWORD src1_sel:BYTE_3
	v_sub_u32_e32 v8, 29, v8
	v_and_b32_e32 v5, 7, v5
	v_cmp_eq_u16_e32 vcc, 0, v6
	v_cndmask_b32_e32 v3, v3, v5, vcc
	v_cndmask_b32_e32 v5, v7, v8, vcc
	v_mov_b32_e32 v6, 0x3b800000
	v_lshlrev_b32_e32 v3, 20, v3
	v_lshl_add_u32 v5, v5, 23, v6
	v_or3_b32 v3, v4, v5, v3
.LBB34_1536:
	s_or_b64 exec, exec, s[6:7]
	s_nop 0
	v_mfma_f32_16x16x4f32 a[0:3], v2, v3, a[0:3]
	s_movk_i32 s4, 0x7f
                                        ; implicit-def: $sgpr10
	s_nop 7
	s_nop 1
	flat_store_dwordx4 v[18:19], a[0:3] offset:848
	flat_load_dwordx4 v[20:23], v[0:1] offset:16
	s_nop 0
	flat_load_dwordx2 v[18:19], v[0:1] offset:32
	s_waitcnt vmcnt(0) lgkmcnt(0)
	flat_load_dwordx4 v[14:17], v[20:21]
	flat_load_dwordx4 v[6:9], v[20:21] offset:16
	flat_load_dwordx4 v[10:13], v[22:23] offset:192
	flat_load_dwordx4 v[2:5], v[22:23] offset:208
	s_waitcnt vmcnt(0) lgkmcnt(0)
	v_cmp_gt_i16_sdwa s[6:7], v14, s4 src0_sel:BYTE_0 src1_sel:DWORD
	s_mov_b64 s[4:5], 0
	s_and_saveexec_b64 s[8:9], s[6:7]
	s_xor_b64 s[6:7], exec, s[8:9]
	s_cbranch_execnz .LBB34_3585
; %bb.1537:
	s_or_saveexec_b64 s[6:7], s[6:7]
	v_mov_b32_e32 v20, s10
	s_xor_b64 exec, exec, s[6:7]
	s_cbranch_execnz .LBB34_3588
.LBB34_1538:
	s_or_b64 exec, exec, s[6:7]
	s_and_saveexec_b64 s[6:7], s[4:5]
	s_cbranch_execz .LBB34_1540
.LBB34_1539:
	v_and_b32_e32 v20, 7, v14
	v_ffbh_u32_e32 v22, v20
	v_min_u32_e32 v22, 32, v22
	v_lshrrev_b16_e32 v21, 3, v14
	v_subrev_u32_e32 v23, 28, v22
	v_and_b32_e32 v21, 15, v21
	v_lshlrev_b32_e32 v23, v23, v14
	v_sub_u32_e32 v22, 29, v22
	v_and_b32_e32 v23, 7, v23
	v_cmp_eq_u16_e32 vcc, 0, v21
	v_cndmask_b32_e32 v20, v20, v23, vcc
	v_cndmask_b32_e32 v21, v21, v22, vcc
	v_lshlrev_b32_e32 v22, 24, v14
	v_mov_b32_e32 v23, 0x3b800000
	v_lshlrev_b32_e32 v20, 20, v20
	v_and_b32_e32 v22, 0x80000000, v22
	v_lshl_add_u32 v21, v21, 23, v23
	v_or3_b32 v20, v22, v21, v20
.LBB34_1540:
	s_or_b64 exec, exec, s[6:7]
	s_movk_i32 s4, 0x7f
	v_cmp_gt_i16_sdwa s[6:7], v10, s4 src0_sel:BYTE_0 src1_sel:DWORD
	s_mov_b64 s[4:5], 0
                                        ; implicit-def: $sgpr10
	s_and_saveexec_b64 s[8:9], s[6:7]
	s_xor_b64 s[6:7], exec, s[8:9]
	s_cbranch_execnz .LBB34_3589
; %bb.1541:
	s_or_saveexec_b64 s[6:7], s[6:7]
	v_mov_b32_e32 v21, s10
	s_xor_b64 exec, exec, s[6:7]
	s_cbranch_execnz .LBB34_3592
.LBB34_1542:
	s_or_b64 exec, exec, s[6:7]
	s_and_saveexec_b64 s[6:7], s[4:5]
	s_cbranch_execz .LBB34_1544
.LBB34_1543:
	v_and_b32_e32 v21, 7, v10
	v_ffbh_u32_e32 v23, v21
	v_min_u32_e32 v23, 32, v23
	v_lshrrev_b16_e32 v22, 3, v10
	v_subrev_u32_e32 v24, 28, v23
	v_and_b32_e32 v22, 15, v22
	v_lshlrev_b32_e32 v24, v24, v10
	v_sub_u32_e32 v23, 29, v23
	v_and_b32_e32 v24, 7, v24
	v_cmp_eq_u16_e32 vcc, 0, v22
	v_cndmask_b32_e32 v21, v21, v24, vcc
	v_cndmask_b32_e32 v22, v22, v23, vcc
	v_lshlrev_b32_e32 v23, 24, v10
	v_mov_b32_e32 v24, 0x3b800000
	v_lshlrev_b32_e32 v21, 20, v21
	v_and_b32_e32 v23, 0x80000000, v23
	v_lshl_add_u32 v22, v22, 23, v24
	v_or3_b32 v21, v23, v22, v21
.LBB34_1544:
	s_or_b64 exec, exec, s[6:7]
	flat_load_dwordx4 a[0:3], v[18:19] offset:864
	s_movk_i32 s4, 0x7f
                                        ; implicit-def: $sgpr10
	s_waitcnt vmcnt(0) lgkmcnt(0)
	v_mfma_f32_16x16x4f32 a[0:3], v20, v21, a[0:3]
	v_lshrrev_b32_e32 v21, 8, v14
	v_cmp_gt_i16_sdwa s[6:7], v21, s4 src0_sel:BYTE_0 src1_sel:DWORD
	s_mov_b64 s[4:5], 0
	s_and_saveexec_b64 s[8:9], s[6:7]
	s_xor_b64 s[6:7], exec, s[8:9]
	s_cbranch_execnz .LBB34_3593
; %bb.1545:
	s_or_saveexec_b64 s[6:7], s[6:7]
	v_mov_b32_e32 v20, s10
	s_xor_b64 exec, exec, s[6:7]
	s_cbranch_execnz .LBB34_3596
.LBB34_1546:
	s_or_b64 exec, exec, s[6:7]
	s_and_saveexec_b64 s[6:7], s[4:5]
	s_cbranch_execz .LBB34_1548
.LBB34_1547:
	v_bfe_u32 v20, v14, 8, 3
	v_ffbh_u32_e32 v23, v20
	v_min_u32_e32 v23, 32, v23
	v_lshrrev_b16_e32 v22, 3, v21
	v_subrev_u32_e32 v24, 28, v23
	v_and_b32_e32 v22, 15, v22
	v_lshlrev_b32_e32 v21, v24, v21
	v_sub_u32_e32 v23, 29, v23
	v_and_b32_e32 v21, 7, v21
	v_cmp_eq_u16_e32 vcc, 0, v22
	v_cndmask_b32_e32 v20, v20, v21, vcc
	v_cndmask_b32_e32 v21, v22, v23, vcc
	v_lshlrev_b32_e32 v22, 16, v14
	v_mov_b32_e32 v23, 0x3b800000
	v_lshlrev_b32_e32 v20, 20, v20
	v_and_b32_e32 v22, 0x80000000, v22
	v_lshl_add_u32 v21, v21, 23, v23
	v_or3_b32 v20, v22, v21, v20
.LBB34_1548:
	s_or_b64 exec, exec, s[6:7]
	v_lshrrev_b32_e32 v21, 8, v10
	s_movk_i32 s4, 0x7f
	v_cmp_gt_i16_sdwa s[6:7], v21, s4 src0_sel:BYTE_0 src1_sel:DWORD
	s_mov_b64 s[4:5], 0
                                        ; implicit-def: $sgpr10
	s_and_saveexec_b64 s[8:9], s[6:7]
	s_xor_b64 s[6:7], exec, s[8:9]
	s_cbranch_execnz .LBB34_3597
; %bb.1549:
	s_or_saveexec_b64 s[6:7], s[6:7]
	v_mov_b32_e32 v22, s10
	s_xor_b64 exec, exec, s[6:7]
	s_cbranch_execnz .LBB34_3600
.LBB34_1550:
	s_or_b64 exec, exec, s[6:7]
	s_and_saveexec_b64 s[6:7], s[4:5]
	s_cbranch_execz .LBB34_1552
.LBB34_1551:
	v_bfe_u32 v22, v10, 8, 3
	v_ffbh_u32_e32 v24, v22
	v_min_u32_e32 v24, 32, v24
	v_lshrrev_b16_e32 v23, 3, v21
	v_subrev_u32_e32 v25, 28, v24
	v_and_b32_e32 v23, 15, v23
	v_lshlrev_b32_e32 v21, v25, v21
	v_sub_u32_e32 v24, 29, v24
	v_and_b32_e32 v21, 7, v21
	v_cmp_eq_u16_e32 vcc, 0, v23
	v_cndmask_b32_e32 v21, v22, v21, vcc
	v_cndmask_b32_e32 v22, v23, v24, vcc
	v_lshlrev_b32_e32 v23, 16, v10
	v_mov_b32_e32 v24, 0x3b800000
	v_lshlrev_b32_e32 v21, 20, v21
	v_and_b32_e32 v23, 0x80000000, v23
	v_lshl_add_u32 v22, v22, 23, v24
	v_or3_b32 v22, v23, v22, v21
.LBB34_1552:
	s_or_b64 exec, exec, s[6:7]
	s_nop 0
	v_mfma_f32_16x16x4f32 a[0:3], v20, v22, a[0:3]
	s_movk_i32 s4, 0xff
	v_and_b32_sdwa v21, v14, s4 dst_sel:DWORD dst_unused:UNUSED_PAD src0_sel:WORD_1 src1_sel:DWORD
	s_movk_i32 s4, 0x7f
	v_cmp_lt_i16_e32 vcc, s4, v21
	s_mov_b64 s[4:5], 0
                                        ; implicit-def: $sgpr10
	s_and_saveexec_b64 s[6:7], vcc
	s_xor_b64 s[6:7], exec, s[6:7]
	s_cbranch_execnz .LBB34_3601
; %bb.1553:
	s_or_saveexec_b64 s[6:7], s[6:7]
	v_mov_b32_e32 v20, s10
	s_xor_b64 exec, exec, s[6:7]
	s_cbranch_execnz .LBB34_3604
.LBB34_1554:
	s_or_b64 exec, exec, s[6:7]
	s_and_saveexec_b64 s[6:7], s[4:5]
	s_cbranch_execz .LBB34_1556
.LBB34_1555:
	v_bfe_u32 v20, v14, 16, 3
	v_ffbh_u32_e32 v23, v20
	v_min_u32_e32 v23, 32, v23
	v_lshrrev_b32_e32 v21, 19, v14
	v_subrev_u32_e32 v24, 28, v23
	v_and_b32_e32 v21, 15, v21
	v_lshlrev_b32_sdwa v24, v24, v14 dst_sel:DWORD dst_unused:UNUSED_PAD src0_sel:DWORD src1_sel:WORD_1
	v_bfe_u32 v22, v14, 19, 4
	v_sub_u32_e32 v23, 29, v23
	v_and_b32_e32 v24, 7, v24
	v_cmp_eq_u16_e32 vcc, 0, v21
	v_cndmask_b32_e32 v20, v20, v24, vcc
	v_cndmask_b32_e32 v21, v22, v23, vcc
	v_lshlrev_b32_e32 v22, 8, v14
	v_mov_b32_e32 v23, 0x3b800000
	v_lshlrev_b32_e32 v20, 20, v20
	v_and_b32_e32 v22, 0x80000000, v22
	v_lshl_add_u32 v21, v21, 23, v23
	v_or3_b32 v20, v22, v21, v20
.LBB34_1556:
	s_or_b64 exec, exec, s[6:7]
	s_movk_i32 s4, 0xff
	v_and_b32_sdwa v21, v10, s4 dst_sel:DWORD dst_unused:UNUSED_PAD src0_sel:WORD_1 src1_sel:DWORD
	s_movk_i32 s4, 0x7f
	v_cmp_lt_i16_e32 vcc, s4, v21
	s_mov_b64 s[4:5], 0
                                        ; implicit-def: $sgpr10
	s_and_saveexec_b64 s[6:7], vcc
	s_xor_b64 s[6:7], exec, s[6:7]
	s_cbranch_execnz .LBB34_3605
; %bb.1557:
	s_or_saveexec_b64 s[6:7], s[6:7]
	v_mov_b32_e32 v22, s10
	s_xor_b64 exec, exec, s[6:7]
	s_cbranch_execnz .LBB34_3608
.LBB34_1558:
	s_or_b64 exec, exec, s[6:7]
	s_and_saveexec_b64 s[6:7], s[4:5]
	s_cbranch_execz .LBB34_1560
.LBB34_1559:
	v_bfe_u32 v21, v10, 16, 3
	v_ffbh_u32_e32 v24, v21
	v_min_u32_e32 v24, 32, v24
	v_lshrrev_b32_e32 v22, 19, v10
	v_subrev_u32_e32 v25, 28, v24
	v_and_b32_e32 v22, 15, v22
	v_lshlrev_b32_sdwa v25, v25, v10 dst_sel:DWORD dst_unused:UNUSED_PAD src0_sel:DWORD src1_sel:WORD_1
	v_bfe_u32 v23, v10, 19, 4
	v_sub_u32_e32 v24, 29, v24
	v_and_b32_e32 v25, 7, v25
	v_cmp_eq_u16_e32 vcc, 0, v22
	v_cndmask_b32_e32 v21, v21, v25, vcc
	v_cndmask_b32_e32 v22, v23, v24, vcc
	v_lshlrev_b32_e32 v23, 8, v10
	v_mov_b32_e32 v24, 0x3b800000
	v_lshlrev_b32_e32 v21, 20, v21
	v_and_b32_e32 v23, 0x80000000, v23
	v_lshl_add_u32 v22, v22, 23, v24
	v_or3_b32 v22, v23, v22, v21
.LBB34_1560:
	s_or_b64 exec, exec, s[6:7]
	s_nop 0
	v_mfma_f32_16x16x4f32 a[0:3], v20, v22, a[0:3]
	s_movk_i32 s4, 0x7f
	v_cmp_gt_i16_sdwa s[6:7], v14, s4 src0_sel:BYTE_3 src1_sel:DWORD
	s_mov_b64 s[4:5], 0
                                        ; implicit-def: $sgpr10
	s_and_saveexec_b64 s[8:9], s[6:7]
	s_xor_b64 s[6:7], exec, s[8:9]
	s_cbranch_execnz .LBB34_3609
; %bb.1561:
	s_or_saveexec_b64 s[6:7], s[6:7]
	v_mov_b32_e32 v20, s10
	s_xor_b64 exec, exec, s[6:7]
	s_cbranch_execnz .LBB34_3612
.LBB34_1562:
	s_or_b64 exec, exec, s[6:7]
	s_and_saveexec_b64 s[6:7], s[4:5]
	s_cbranch_execz .LBB34_1564
.LBB34_1563:
	v_bfe_u32 v20, v14, 24, 3
	v_ffbh_u32_e32 v24, v20
	v_min_u32_e32 v24, 32, v24
	v_lshrrev_b32_e32 v22, 27, v14
	v_subrev_u32_e32 v25, 28, v24
	v_and_b32_e32 v21, 0x80000000, v14
	v_and_b32_e32 v22, 15, v22
	v_bfe_u32 v23, v14, 27, 4
	v_lshlrev_b32_sdwa v14, v25, v14 dst_sel:DWORD dst_unused:UNUSED_PAD src0_sel:DWORD src1_sel:BYTE_3
	v_sub_u32_e32 v24, 29, v24
	v_and_b32_e32 v14, 7, v14
	v_cmp_eq_u16_e32 vcc, 0, v22
	v_cndmask_b32_e32 v14, v20, v14, vcc
	v_cndmask_b32_e32 v20, v23, v24, vcc
	v_mov_b32_e32 v22, 0x3b800000
	v_lshlrev_b32_e32 v14, 20, v14
	v_lshl_add_u32 v20, v20, 23, v22
	v_or3_b32 v20, v21, v20, v14
.LBB34_1564:
	s_or_b64 exec, exec, s[6:7]
	s_movk_i32 s4, 0x7f
	v_cmp_gt_i16_sdwa s[6:7], v10, s4 src0_sel:BYTE_3 src1_sel:DWORD
	s_mov_b64 s[4:5], 0
                                        ; implicit-def: $sgpr10
	s_and_saveexec_b64 s[8:9], s[6:7]
	s_xor_b64 s[6:7], exec, s[8:9]
	s_cbranch_execnz .LBB34_3613
; %bb.1565:
	s_or_saveexec_b64 s[6:7], s[6:7]
	v_mov_b32_e32 v14, s10
	s_xor_b64 exec, exec, s[6:7]
	s_cbranch_execnz .LBB34_3616
.LBB34_1566:
	s_or_b64 exec, exec, s[6:7]
	s_and_saveexec_b64 s[6:7], s[4:5]
	s_cbranch_execz .LBB34_1568
.LBB34_1567:
	v_bfe_u32 v14, v10, 24, 3
	v_ffbh_u32_e32 v24, v14
	v_min_u32_e32 v24, 32, v24
	v_lshrrev_b32_e32 v22, 27, v10
	v_subrev_u32_e32 v25, 28, v24
	v_and_b32_e32 v21, 0x80000000, v10
	v_and_b32_e32 v22, 15, v22
	v_bfe_u32 v23, v10, 27, 4
	v_lshlrev_b32_sdwa v10, v25, v10 dst_sel:DWORD dst_unused:UNUSED_PAD src0_sel:DWORD src1_sel:BYTE_3
	v_sub_u32_e32 v24, 29, v24
	v_and_b32_e32 v10, 7, v10
	v_cmp_eq_u16_e32 vcc, 0, v22
	v_cndmask_b32_e32 v10, v14, v10, vcc
	v_cndmask_b32_e32 v14, v23, v24, vcc
	v_mov_b32_e32 v22, 0x3b800000
	v_lshlrev_b32_e32 v10, 20, v10
	v_lshl_add_u32 v14, v14, 23, v22
	v_or3_b32 v14, v21, v14, v10
.LBB34_1568:
	s_or_b64 exec, exec, s[6:7]
	s_nop 0
	v_mfma_f32_16x16x4f32 a[0:3], v20, v14, a[0:3]
	s_movk_i32 s4, 0x7f
	v_cmp_gt_i16_sdwa s[6:7], v15, s4 src0_sel:BYTE_0 src1_sel:DWORD
	s_mov_b64 s[4:5], 0
                                        ; implicit-def: $sgpr10
	s_and_saveexec_b64 s[8:9], s[6:7]
	s_xor_b64 s[6:7], exec, s[8:9]
	s_cbranch_execnz .LBB34_3617
; %bb.1569:
	s_or_saveexec_b64 s[6:7], s[6:7]
	v_mov_b32_e32 v10, s10
	s_xor_b64 exec, exec, s[6:7]
	s_cbranch_execnz .LBB34_3620
.LBB34_1570:
	s_or_b64 exec, exec, s[6:7]
	s_and_saveexec_b64 s[6:7], s[4:5]
	s_cbranch_execz .LBB34_1572
.LBB34_1571:
	v_and_b32_e32 v10, 7, v15
	v_ffbh_u32_e32 v20, v10
	v_min_u32_e32 v20, 32, v20
	v_lshrrev_b16_e32 v14, 3, v15
	v_subrev_u32_e32 v21, 28, v20
	v_and_b32_e32 v14, 15, v14
	v_lshlrev_b32_e32 v21, v21, v15
	v_sub_u32_e32 v20, 29, v20
	v_and_b32_e32 v21, 7, v21
	v_cmp_eq_u16_e32 vcc, 0, v14
	v_cndmask_b32_e32 v10, v10, v21, vcc
	v_cndmask_b32_e32 v14, v14, v20, vcc
	v_lshlrev_b32_e32 v20, 24, v15
	v_mov_b32_e32 v21, 0x3b800000
	v_lshlrev_b32_e32 v10, 20, v10
	v_and_b32_e32 v20, 0x80000000, v20
	v_lshl_add_u32 v14, v14, 23, v21
	v_or3_b32 v10, v20, v14, v10
.LBB34_1572:
	s_or_b64 exec, exec, s[6:7]
	s_movk_i32 s4, 0x7f
	v_cmp_gt_i16_sdwa s[6:7], v11, s4 src0_sel:BYTE_0 src1_sel:DWORD
	s_mov_b64 s[4:5], 0
                                        ; implicit-def: $sgpr10
	s_and_saveexec_b64 s[8:9], s[6:7]
	s_xor_b64 s[6:7], exec, s[8:9]
	s_cbranch_execnz .LBB34_3621
; %bb.1573:
	s_or_saveexec_b64 s[6:7], s[6:7]
	v_mov_b32_e32 v14, s10
	s_xor_b64 exec, exec, s[6:7]
	s_cbranch_execnz .LBB34_3624
.LBB34_1574:
	s_or_b64 exec, exec, s[6:7]
	s_and_saveexec_b64 s[6:7], s[4:5]
	s_cbranch_execz .LBB34_1576
.LBB34_1575:
	v_and_b32_e32 v14, 7, v11
	v_ffbh_u32_e32 v21, v14
	v_min_u32_e32 v21, 32, v21
	v_lshrrev_b16_e32 v20, 3, v11
	v_subrev_u32_e32 v22, 28, v21
	v_and_b32_e32 v20, 15, v20
	v_lshlrev_b32_e32 v22, v22, v11
	v_sub_u32_e32 v21, 29, v21
	v_and_b32_e32 v22, 7, v22
	v_cmp_eq_u16_e32 vcc, 0, v20
	v_cndmask_b32_e32 v14, v14, v22, vcc
	v_cndmask_b32_e32 v20, v20, v21, vcc
	v_lshlrev_b32_e32 v21, 24, v11
	v_mov_b32_e32 v22, 0x3b800000
	v_lshlrev_b32_e32 v14, 20, v14
	v_and_b32_e32 v21, 0x80000000, v21
	v_lshl_add_u32 v20, v20, 23, v22
	v_or3_b32 v14, v21, v20, v14
.LBB34_1576:
	s_or_b64 exec, exec, s[6:7]
	s_nop 0
	v_mfma_f32_16x16x4f32 a[0:3], v10, v14, a[0:3]
	v_lshrrev_b32_e32 v14, 8, v15
	s_movk_i32 s4, 0x7f
	v_cmp_gt_i16_sdwa s[6:7], v14, s4 src0_sel:BYTE_0 src1_sel:DWORD
	s_mov_b64 s[4:5], 0
                                        ; implicit-def: $sgpr10
	s_and_saveexec_b64 s[8:9], s[6:7]
	s_xor_b64 s[6:7], exec, s[8:9]
	s_cbranch_execnz .LBB34_3625
; %bb.1577:
	s_or_saveexec_b64 s[6:7], s[6:7]
	v_mov_b32_e32 v10, s10
	s_xor_b64 exec, exec, s[6:7]
	s_cbranch_execnz .LBB34_3628
.LBB34_1578:
	s_or_b64 exec, exec, s[6:7]
	s_and_saveexec_b64 s[6:7], s[4:5]
	s_cbranch_execz .LBB34_1580
.LBB34_1579:
	v_bfe_u32 v10, v15, 8, 3
	v_ffbh_u32_e32 v21, v10
	v_min_u32_e32 v21, 32, v21
	v_lshrrev_b16_e32 v20, 3, v14
	v_subrev_u32_e32 v22, 28, v21
	v_and_b32_e32 v20, 15, v20
	v_lshlrev_b32_e32 v14, v22, v14
	v_sub_u32_e32 v21, 29, v21
	v_and_b32_e32 v14, 7, v14
	v_cmp_eq_u16_e32 vcc, 0, v20
	v_cndmask_b32_e32 v10, v10, v14, vcc
	v_cndmask_b32_e32 v14, v20, v21, vcc
	v_lshlrev_b32_e32 v20, 16, v15
	v_mov_b32_e32 v21, 0x3b800000
	v_lshlrev_b32_e32 v10, 20, v10
	v_and_b32_e32 v20, 0x80000000, v20
	v_lshl_add_u32 v14, v14, 23, v21
	v_or3_b32 v10, v20, v14, v10
.LBB34_1580:
	s_or_b64 exec, exec, s[6:7]
	v_lshrrev_b32_e32 v14, 8, v11
	s_movk_i32 s4, 0x7f
	v_cmp_gt_i16_sdwa s[6:7], v14, s4 src0_sel:BYTE_0 src1_sel:DWORD
	s_mov_b64 s[4:5], 0
                                        ; implicit-def: $sgpr10
	s_and_saveexec_b64 s[8:9], s[6:7]
	s_xor_b64 s[6:7], exec, s[8:9]
	s_cbranch_execnz .LBB34_3629
; %bb.1581:
	s_or_saveexec_b64 s[6:7], s[6:7]
	v_mov_b32_e32 v20, s10
	s_xor_b64 exec, exec, s[6:7]
	s_cbranch_execnz .LBB34_3632
.LBB34_1582:
	s_or_b64 exec, exec, s[6:7]
	s_and_saveexec_b64 s[6:7], s[4:5]
	s_cbranch_execz .LBB34_1584
.LBB34_1583:
	v_bfe_u32 v20, v11, 8, 3
	v_ffbh_u32_e32 v22, v20
	v_min_u32_e32 v22, 32, v22
	v_lshrrev_b16_e32 v21, 3, v14
	v_subrev_u32_e32 v23, 28, v22
	v_and_b32_e32 v21, 15, v21
	v_lshlrev_b32_e32 v14, v23, v14
	v_sub_u32_e32 v22, 29, v22
	v_and_b32_e32 v14, 7, v14
	v_cmp_eq_u16_e32 vcc, 0, v21
	v_cndmask_b32_e32 v14, v20, v14, vcc
	v_cndmask_b32_e32 v20, v21, v22, vcc
	v_lshlrev_b32_e32 v21, 16, v11
	v_mov_b32_e32 v22, 0x3b800000
	v_lshlrev_b32_e32 v14, 20, v14
	v_and_b32_e32 v21, 0x80000000, v21
	v_lshl_add_u32 v20, v20, 23, v22
	v_or3_b32 v20, v21, v20, v14
.LBB34_1584:
	s_or_b64 exec, exec, s[6:7]
	s_nop 0
	v_mfma_f32_16x16x4f32 a[0:3], v10, v20, a[0:3]
	s_movk_i32 s4, 0xff
	v_and_b32_sdwa v14, v15, s4 dst_sel:DWORD dst_unused:UNUSED_PAD src0_sel:WORD_1 src1_sel:DWORD
	s_movk_i32 s4, 0x7f
	v_cmp_lt_i16_e32 vcc, s4, v14
	s_mov_b64 s[4:5], 0
                                        ; implicit-def: $sgpr10
	s_and_saveexec_b64 s[6:7], vcc
	s_xor_b64 s[6:7], exec, s[6:7]
	s_cbranch_execnz .LBB34_3633
; %bb.1585:
	s_or_saveexec_b64 s[6:7], s[6:7]
	v_mov_b32_e32 v10, s10
	s_xor_b64 exec, exec, s[6:7]
	s_cbranch_execnz .LBB34_3636
.LBB34_1586:
	s_or_b64 exec, exec, s[6:7]
	s_and_saveexec_b64 s[6:7], s[4:5]
	s_cbranch_execz .LBB34_1588
.LBB34_1587:
	v_bfe_u32 v10, v15, 16, 3
	v_ffbh_u32_e32 v21, v10
	v_min_u32_e32 v21, 32, v21
	v_lshrrev_b32_e32 v14, 19, v15
	v_subrev_u32_e32 v22, 28, v21
	v_and_b32_e32 v14, 15, v14
	v_lshlrev_b32_sdwa v22, v22, v15 dst_sel:DWORD dst_unused:UNUSED_PAD src0_sel:DWORD src1_sel:WORD_1
	v_bfe_u32 v20, v15, 19, 4
	v_sub_u32_e32 v21, 29, v21
	v_and_b32_e32 v22, 7, v22
	v_cmp_eq_u16_e32 vcc, 0, v14
	v_cndmask_b32_e32 v10, v10, v22, vcc
	v_cndmask_b32_e32 v14, v20, v21, vcc
	v_lshlrev_b32_e32 v20, 8, v15
	v_mov_b32_e32 v21, 0x3b800000
	v_lshlrev_b32_e32 v10, 20, v10
	v_and_b32_e32 v20, 0x80000000, v20
	v_lshl_add_u32 v14, v14, 23, v21
	v_or3_b32 v10, v20, v14, v10
.LBB34_1588:
	s_or_b64 exec, exec, s[6:7]
	s_movk_i32 s4, 0xff
	v_and_b32_sdwa v14, v11, s4 dst_sel:DWORD dst_unused:UNUSED_PAD src0_sel:WORD_1 src1_sel:DWORD
	s_movk_i32 s4, 0x7f
	v_cmp_lt_i16_e32 vcc, s4, v14
	s_mov_b64 s[4:5], 0
                                        ; implicit-def: $sgpr10
	s_and_saveexec_b64 s[6:7], vcc
	s_xor_b64 s[6:7], exec, s[6:7]
	s_cbranch_execnz .LBB34_3637
; %bb.1589:
	s_or_saveexec_b64 s[6:7], s[6:7]
	v_mov_b32_e32 v20, s10
	s_xor_b64 exec, exec, s[6:7]
	s_cbranch_execnz .LBB34_3640
.LBB34_1590:
	s_or_b64 exec, exec, s[6:7]
	s_and_saveexec_b64 s[6:7], s[4:5]
	s_cbranch_execz .LBB34_1592
.LBB34_1591:
	v_bfe_u32 v14, v11, 16, 3
	v_ffbh_u32_e32 v22, v14
	v_min_u32_e32 v22, 32, v22
	v_lshrrev_b32_e32 v20, 19, v11
	v_subrev_u32_e32 v23, 28, v22
	v_and_b32_e32 v20, 15, v20
	v_lshlrev_b32_sdwa v23, v23, v11 dst_sel:DWORD dst_unused:UNUSED_PAD src0_sel:DWORD src1_sel:WORD_1
	v_bfe_u32 v21, v11, 19, 4
	v_sub_u32_e32 v22, 29, v22
	v_and_b32_e32 v23, 7, v23
	v_cmp_eq_u16_e32 vcc, 0, v20
	v_cndmask_b32_e32 v14, v14, v23, vcc
	v_cndmask_b32_e32 v20, v21, v22, vcc
	v_lshlrev_b32_e32 v21, 8, v11
	v_mov_b32_e32 v22, 0x3b800000
	v_lshlrev_b32_e32 v14, 20, v14
	v_and_b32_e32 v21, 0x80000000, v21
	v_lshl_add_u32 v20, v20, 23, v22
	v_or3_b32 v20, v21, v20, v14
.LBB34_1592:
	s_or_b64 exec, exec, s[6:7]
	s_nop 0
	v_mfma_f32_16x16x4f32 a[0:3], v10, v20, a[0:3]
	s_movk_i32 s4, 0x7f
	v_cmp_gt_i16_sdwa s[6:7], v15, s4 src0_sel:BYTE_3 src1_sel:DWORD
	s_mov_b64 s[4:5], 0
                                        ; implicit-def: $sgpr10
	s_and_saveexec_b64 s[8:9], s[6:7]
	s_xor_b64 s[6:7], exec, s[8:9]
	s_cbranch_execnz .LBB34_3641
; %bb.1593:
	s_or_saveexec_b64 s[6:7], s[6:7]
	v_mov_b32_e32 v10, s10
	s_xor_b64 exec, exec, s[6:7]
	s_cbranch_execnz .LBB34_3644
.LBB34_1594:
	s_or_b64 exec, exec, s[6:7]
	s_and_saveexec_b64 s[6:7], s[4:5]
	s_cbranch_execz .LBB34_1596
.LBB34_1595:
	v_bfe_u32 v10, v15, 24, 3
	v_ffbh_u32_e32 v22, v10
	v_min_u32_e32 v22, 32, v22
	v_lshrrev_b32_e32 v20, 27, v15
	v_subrev_u32_e32 v23, 28, v22
	v_and_b32_e32 v14, 0x80000000, v15
	v_and_b32_e32 v20, 15, v20
	v_bfe_u32 v21, v15, 27, 4
	v_lshlrev_b32_sdwa v15, v23, v15 dst_sel:DWORD dst_unused:UNUSED_PAD src0_sel:DWORD src1_sel:BYTE_3
	v_sub_u32_e32 v22, 29, v22
	v_and_b32_e32 v15, 7, v15
	v_cmp_eq_u16_e32 vcc, 0, v20
	v_cndmask_b32_e32 v10, v10, v15, vcc
	v_cndmask_b32_e32 v15, v21, v22, vcc
	v_mov_b32_e32 v20, 0x3b800000
	v_lshlrev_b32_e32 v10, 20, v10
	v_lshl_add_u32 v15, v15, 23, v20
	v_or3_b32 v10, v14, v15, v10
.LBB34_1596:
	s_or_b64 exec, exec, s[6:7]
	s_movk_i32 s4, 0x7f
	v_cmp_gt_i16_sdwa s[6:7], v11, s4 src0_sel:BYTE_3 src1_sel:DWORD
	s_mov_b64 s[4:5], 0
                                        ; implicit-def: $sgpr10
	s_and_saveexec_b64 s[8:9], s[6:7]
	s_xor_b64 s[6:7], exec, s[8:9]
	s_cbranch_execnz .LBB34_3645
; %bb.1597:
	s_or_saveexec_b64 s[6:7], s[6:7]
	v_mov_b32_e32 v14, s10
	s_xor_b64 exec, exec, s[6:7]
	s_cbranch_execnz .LBB34_3648
.LBB34_1598:
	s_or_b64 exec, exec, s[6:7]
	s_and_saveexec_b64 s[6:7], s[4:5]
	s_cbranch_execz .LBB34_1600
.LBB34_1599:
	v_bfe_u32 v14, v11, 24, 3
	v_ffbh_u32_e32 v22, v14
	v_min_u32_e32 v22, 32, v22
	v_lshrrev_b32_e32 v20, 27, v11
	v_subrev_u32_e32 v23, 28, v22
	v_and_b32_e32 v15, 0x80000000, v11
	v_and_b32_e32 v20, 15, v20
	v_bfe_u32 v21, v11, 27, 4
	v_lshlrev_b32_sdwa v11, v23, v11 dst_sel:DWORD dst_unused:UNUSED_PAD src0_sel:DWORD src1_sel:BYTE_3
	v_sub_u32_e32 v22, 29, v22
	v_and_b32_e32 v11, 7, v11
	v_cmp_eq_u16_e32 vcc, 0, v20
	v_cndmask_b32_e32 v11, v14, v11, vcc
	v_cndmask_b32_e32 v14, v21, v22, vcc
	v_mov_b32_e32 v20, 0x3b800000
	v_lshlrev_b32_e32 v11, 20, v11
	v_lshl_add_u32 v14, v14, 23, v20
	v_or3_b32 v14, v15, v14, v11
.LBB34_1600:
	s_or_b64 exec, exec, s[6:7]
	s_nop 0
	v_mfma_f32_16x16x4f32 a[0:3], v10, v14, a[0:3]
	s_movk_i32 s4, 0x7f
	v_cmp_gt_i16_sdwa s[6:7], v16, s4 src0_sel:BYTE_0 src1_sel:DWORD
	s_mov_b64 s[4:5], 0
                                        ; implicit-def: $sgpr10
	s_and_saveexec_b64 s[8:9], s[6:7]
	s_xor_b64 s[6:7], exec, s[8:9]
	s_cbranch_execnz .LBB34_3649
; %bb.1601:
	s_or_saveexec_b64 s[6:7], s[6:7]
	v_mov_b32_e32 v10, s10
	s_xor_b64 exec, exec, s[6:7]
	s_cbranch_execnz .LBB34_3652
.LBB34_1602:
	s_or_b64 exec, exec, s[6:7]
	s_and_saveexec_b64 s[6:7], s[4:5]
	s_cbranch_execz .LBB34_1604
.LBB34_1603:
	v_and_b32_e32 v10, 7, v16
	v_ffbh_u32_e32 v14, v10
	v_min_u32_e32 v14, 32, v14
	v_lshrrev_b16_e32 v11, 3, v16
	v_subrev_u32_e32 v15, 28, v14
	v_and_b32_e32 v11, 15, v11
	v_lshlrev_b32_e32 v15, v15, v16
	v_sub_u32_e32 v14, 29, v14
	v_and_b32_e32 v15, 7, v15
	v_cmp_eq_u16_e32 vcc, 0, v11
	v_cndmask_b32_e32 v10, v10, v15, vcc
	v_cndmask_b32_e32 v11, v11, v14, vcc
	v_lshlrev_b32_e32 v14, 24, v16
	v_mov_b32_e32 v15, 0x3b800000
	v_lshlrev_b32_e32 v10, 20, v10
	v_and_b32_e32 v14, 0x80000000, v14
	v_lshl_add_u32 v11, v11, 23, v15
	v_or3_b32 v10, v14, v11, v10
.LBB34_1604:
	s_or_b64 exec, exec, s[6:7]
	s_movk_i32 s4, 0x7f
	v_cmp_gt_i16_sdwa s[6:7], v12, s4 src0_sel:BYTE_0 src1_sel:DWORD
	s_mov_b64 s[4:5], 0
                                        ; implicit-def: $sgpr10
	s_and_saveexec_b64 s[8:9], s[6:7]
	s_xor_b64 s[6:7], exec, s[8:9]
	s_cbranch_execnz .LBB34_3653
; %bb.1605:
	s_or_saveexec_b64 s[6:7], s[6:7]
	v_mov_b32_e32 v11, s10
	s_xor_b64 exec, exec, s[6:7]
	s_cbranch_execnz .LBB34_3656
.LBB34_1606:
	s_or_b64 exec, exec, s[6:7]
	s_and_saveexec_b64 s[6:7], s[4:5]
	s_cbranch_execz .LBB34_1608
.LBB34_1607:
	v_and_b32_e32 v11, 7, v12
	v_ffbh_u32_e32 v15, v11
	v_min_u32_e32 v15, 32, v15
	v_lshrrev_b16_e32 v14, 3, v12
	v_subrev_u32_e32 v20, 28, v15
	v_and_b32_e32 v14, 15, v14
	v_lshlrev_b32_e32 v20, v20, v12
	v_sub_u32_e32 v15, 29, v15
	v_and_b32_e32 v20, 7, v20
	v_cmp_eq_u16_e32 vcc, 0, v14
	v_cndmask_b32_e32 v11, v11, v20, vcc
	v_cndmask_b32_e32 v14, v14, v15, vcc
	v_lshlrev_b32_e32 v15, 24, v12
	v_mov_b32_e32 v20, 0x3b800000
	v_lshlrev_b32_e32 v11, 20, v11
	v_and_b32_e32 v15, 0x80000000, v15
	v_lshl_add_u32 v14, v14, 23, v20
	v_or3_b32 v11, v15, v14, v11
.LBB34_1608:
	s_or_b64 exec, exec, s[6:7]
	s_nop 0
	v_mfma_f32_16x16x4f32 a[0:3], v10, v11, a[0:3]
	v_lshrrev_b32_e32 v11, 8, v16
	s_movk_i32 s4, 0x7f
	v_cmp_gt_i16_sdwa s[6:7], v11, s4 src0_sel:BYTE_0 src1_sel:DWORD
	s_mov_b64 s[4:5], 0
                                        ; implicit-def: $sgpr10
	s_and_saveexec_b64 s[8:9], s[6:7]
	s_xor_b64 s[6:7], exec, s[8:9]
	s_cbranch_execnz .LBB34_3657
; %bb.1609:
	s_or_saveexec_b64 s[6:7], s[6:7]
	v_mov_b32_e32 v10, s10
	s_xor_b64 exec, exec, s[6:7]
	s_cbranch_execnz .LBB34_3660
.LBB34_1610:
	s_or_b64 exec, exec, s[6:7]
	s_and_saveexec_b64 s[6:7], s[4:5]
	s_cbranch_execz .LBB34_1612
.LBB34_1611:
	v_bfe_u32 v10, v16, 8, 3
	v_ffbh_u32_e32 v15, v10
	v_min_u32_e32 v15, 32, v15
	v_lshrrev_b16_e32 v14, 3, v11
	v_subrev_u32_e32 v20, 28, v15
	v_and_b32_e32 v14, 15, v14
	v_lshlrev_b32_e32 v11, v20, v11
	v_sub_u32_e32 v15, 29, v15
	v_and_b32_e32 v11, 7, v11
	v_cmp_eq_u16_e32 vcc, 0, v14
	v_cndmask_b32_e32 v10, v10, v11, vcc
	v_cndmask_b32_e32 v11, v14, v15, vcc
	v_lshlrev_b32_e32 v14, 16, v16
	v_mov_b32_e32 v15, 0x3b800000
	v_lshlrev_b32_e32 v10, 20, v10
	v_and_b32_e32 v14, 0x80000000, v14
	v_lshl_add_u32 v11, v11, 23, v15
	v_or3_b32 v10, v14, v11, v10
.LBB34_1612:
	s_or_b64 exec, exec, s[6:7]
	v_lshrrev_b32_e32 v11, 8, v12
	s_movk_i32 s4, 0x7f
	v_cmp_gt_i16_sdwa s[6:7], v11, s4 src0_sel:BYTE_0 src1_sel:DWORD
	s_mov_b64 s[4:5], 0
                                        ; implicit-def: $sgpr10
	s_and_saveexec_b64 s[8:9], s[6:7]
	s_xor_b64 s[6:7], exec, s[8:9]
	s_cbranch_execnz .LBB34_3661
; %bb.1613:
	s_or_saveexec_b64 s[6:7], s[6:7]
	v_mov_b32_e32 v14, s10
	s_xor_b64 exec, exec, s[6:7]
	s_cbranch_execnz .LBB34_3664
.LBB34_1614:
	s_or_b64 exec, exec, s[6:7]
	s_and_saveexec_b64 s[6:7], s[4:5]
	s_cbranch_execz .LBB34_1616
.LBB34_1615:
	v_bfe_u32 v14, v12, 8, 3
	v_ffbh_u32_e32 v20, v14
	v_min_u32_e32 v20, 32, v20
	v_lshrrev_b16_e32 v15, 3, v11
	v_subrev_u32_e32 v21, 28, v20
	v_and_b32_e32 v15, 15, v15
	v_lshlrev_b32_e32 v11, v21, v11
	v_sub_u32_e32 v20, 29, v20
	v_and_b32_e32 v11, 7, v11
	v_cmp_eq_u16_e32 vcc, 0, v15
	v_cndmask_b32_e32 v11, v14, v11, vcc
	v_cndmask_b32_e32 v14, v15, v20, vcc
	v_lshlrev_b32_e32 v15, 16, v12
	v_mov_b32_e32 v20, 0x3b800000
	v_lshlrev_b32_e32 v11, 20, v11
	v_and_b32_e32 v15, 0x80000000, v15
	v_lshl_add_u32 v14, v14, 23, v20
	v_or3_b32 v14, v15, v14, v11
.LBB34_1616:
	s_or_b64 exec, exec, s[6:7]
	s_nop 0
	v_mfma_f32_16x16x4f32 a[0:3], v10, v14, a[0:3]
	s_movk_i32 s4, 0xff
	v_and_b32_sdwa v11, v16, s4 dst_sel:DWORD dst_unused:UNUSED_PAD src0_sel:WORD_1 src1_sel:DWORD
	s_movk_i32 s4, 0x7f
	v_cmp_lt_i16_e32 vcc, s4, v11
	s_mov_b64 s[4:5], 0
                                        ; implicit-def: $sgpr10
	s_and_saveexec_b64 s[6:7], vcc
	s_xor_b64 s[6:7], exec, s[6:7]
	s_cbranch_execnz .LBB34_3665
; %bb.1617:
	s_or_saveexec_b64 s[6:7], s[6:7]
	v_mov_b32_e32 v10, s10
	s_xor_b64 exec, exec, s[6:7]
	s_cbranch_execnz .LBB34_3668
.LBB34_1618:
	s_or_b64 exec, exec, s[6:7]
	s_and_saveexec_b64 s[6:7], s[4:5]
	s_cbranch_execz .LBB34_1620
.LBB34_1619:
	v_bfe_u32 v10, v16, 16, 3
	v_ffbh_u32_e32 v15, v10
	v_min_u32_e32 v15, 32, v15
	v_lshrrev_b32_e32 v11, 19, v16
	v_subrev_u32_e32 v20, 28, v15
	v_and_b32_e32 v11, 15, v11
	v_lshlrev_b32_sdwa v20, v20, v16 dst_sel:DWORD dst_unused:UNUSED_PAD src0_sel:DWORD src1_sel:WORD_1
	v_bfe_u32 v14, v16, 19, 4
	v_sub_u32_e32 v15, 29, v15
	v_and_b32_e32 v20, 7, v20
	v_cmp_eq_u16_e32 vcc, 0, v11
	v_cndmask_b32_e32 v10, v10, v20, vcc
	v_cndmask_b32_e32 v11, v14, v15, vcc
	v_lshlrev_b32_e32 v14, 8, v16
	v_mov_b32_e32 v15, 0x3b800000
	v_lshlrev_b32_e32 v10, 20, v10
	v_and_b32_e32 v14, 0x80000000, v14
	v_lshl_add_u32 v11, v11, 23, v15
	v_or3_b32 v10, v14, v11, v10
.LBB34_1620:
	s_or_b64 exec, exec, s[6:7]
	s_movk_i32 s4, 0xff
	v_and_b32_sdwa v11, v12, s4 dst_sel:DWORD dst_unused:UNUSED_PAD src0_sel:WORD_1 src1_sel:DWORD
	s_movk_i32 s4, 0x7f
	v_cmp_lt_i16_e32 vcc, s4, v11
	s_mov_b64 s[4:5], 0
                                        ; implicit-def: $sgpr10
	s_and_saveexec_b64 s[6:7], vcc
	s_xor_b64 s[6:7], exec, s[6:7]
	s_cbranch_execnz .LBB34_3669
; %bb.1621:
	s_or_saveexec_b64 s[6:7], s[6:7]
	v_mov_b32_e32 v14, s10
	s_xor_b64 exec, exec, s[6:7]
	s_cbranch_execnz .LBB34_3672
.LBB34_1622:
	s_or_b64 exec, exec, s[6:7]
	s_and_saveexec_b64 s[6:7], s[4:5]
	s_cbranch_execz .LBB34_1624
.LBB34_1623:
	v_bfe_u32 v11, v12, 16, 3
	v_ffbh_u32_e32 v20, v11
	v_min_u32_e32 v20, 32, v20
	v_lshrrev_b32_e32 v14, 19, v12
	v_subrev_u32_e32 v21, 28, v20
	v_and_b32_e32 v14, 15, v14
	v_lshlrev_b32_sdwa v21, v21, v12 dst_sel:DWORD dst_unused:UNUSED_PAD src0_sel:DWORD src1_sel:WORD_1
	v_bfe_u32 v15, v12, 19, 4
	v_sub_u32_e32 v20, 29, v20
	v_and_b32_e32 v21, 7, v21
	v_cmp_eq_u16_e32 vcc, 0, v14
	v_cndmask_b32_e32 v11, v11, v21, vcc
	v_cndmask_b32_e32 v14, v15, v20, vcc
	v_lshlrev_b32_e32 v15, 8, v12
	v_mov_b32_e32 v20, 0x3b800000
	v_lshlrev_b32_e32 v11, 20, v11
	v_and_b32_e32 v15, 0x80000000, v15
	v_lshl_add_u32 v14, v14, 23, v20
	v_or3_b32 v14, v15, v14, v11
.LBB34_1624:
	s_or_b64 exec, exec, s[6:7]
	s_nop 0
	v_mfma_f32_16x16x4f32 a[0:3], v10, v14, a[0:3]
	s_movk_i32 s4, 0x7f
	v_cmp_gt_i16_sdwa s[6:7], v16, s4 src0_sel:BYTE_3 src1_sel:DWORD
	s_mov_b64 s[4:5], 0
                                        ; implicit-def: $sgpr10
	s_and_saveexec_b64 s[8:9], s[6:7]
	s_xor_b64 s[6:7], exec, s[8:9]
	s_cbranch_execnz .LBB34_3673
; %bb.1625:
	s_or_saveexec_b64 s[6:7], s[6:7]
	v_mov_b32_e32 v10, s10
	s_xor_b64 exec, exec, s[6:7]
	s_cbranch_execnz .LBB34_3676
.LBB34_1626:
	s_or_b64 exec, exec, s[6:7]
	s_and_saveexec_b64 s[6:7], s[4:5]
	s_cbranch_execz .LBB34_1628
.LBB34_1627:
	v_bfe_u32 v10, v16, 24, 3
	v_ffbh_u32_e32 v20, v10
	v_min_u32_e32 v20, 32, v20
	v_lshrrev_b32_e32 v14, 27, v16
	v_subrev_u32_e32 v21, 28, v20
	v_and_b32_e32 v11, 0x80000000, v16
	v_and_b32_e32 v14, 15, v14
	v_bfe_u32 v15, v16, 27, 4
	v_lshlrev_b32_sdwa v16, v21, v16 dst_sel:DWORD dst_unused:UNUSED_PAD src0_sel:DWORD src1_sel:BYTE_3
	v_sub_u32_e32 v20, 29, v20
	v_and_b32_e32 v16, 7, v16
	v_cmp_eq_u16_e32 vcc, 0, v14
	v_cndmask_b32_e32 v10, v10, v16, vcc
	v_cndmask_b32_e32 v14, v15, v20, vcc
	v_mov_b32_e32 v15, 0x3b800000
	v_lshlrev_b32_e32 v10, 20, v10
	v_lshl_add_u32 v14, v14, 23, v15
	v_or3_b32 v10, v11, v14, v10
.LBB34_1628:
	s_or_b64 exec, exec, s[6:7]
	s_movk_i32 s4, 0x7f
	v_cmp_gt_i16_sdwa s[6:7], v12, s4 src0_sel:BYTE_3 src1_sel:DWORD
	s_mov_b64 s[4:5], 0
                                        ; implicit-def: $sgpr10
	s_and_saveexec_b64 s[8:9], s[6:7]
	s_xor_b64 s[6:7], exec, s[8:9]
	s_cbranch_execnz .LBB34_3677
; %bb.1629:
	s_or_saveexec_b64 s[6:7], s[6:7]
	v_mov_b32_e32 v11, s10
	s_xor_b64 exec, exec, s[6:7]
	s_cbranch_execnz .LBB34_3680
.LBB34_1630:
	s_or_b64 exec, exec, s[6:7]
	s_and_saveexec_b64 s[6:7], s[4:5]
	s_cbranch_execz .LBB34_1632
.LBB34_1631:
	v_bfe_u32 v11, v12, 24, 3
	v_ffbh_u32_e32 v20, v11
	v_min_u32_e32 v20, 32, v20
	v_lshrrev_b32_e32 v15, 27, v12
	v_subrev_u32_e32 v21, 28, v20
	v_and_b32_e32 v14, 0x80000000, v12
	v_and_b32_e32 v15, 15, v15
	v_bfe_u32 v16, v12, 27, 4
	v_lshlrev_b32_sdwa v12, v21, v12 dst_sel:DWORD dst_unused:UNUSED_PAD src0_sel:DWORD src1_sel:BYTE_3
	v_sub_u32_e32 v20, 29, v20
	v_and_b32_e32 v12, 7, v12
	v_cmp_eq_u16_e32 vcc, 0, v15
	v_cndmask_b32_e32 v11, v11, v12, vcc
	v_cndmask_b32_e32 v12, v16, v20, vcc
	v_mov_b32_e32 v15, 0x3b800000
	v_lshlrev_b32_e32 v11, 20, v11
	v_lshl_add_u32 v12, v12, 23, v15
	v_or3_b32 v11, v14, v12, v11
.LBB34_1632:
	s_or_b64 exec, exec, s[6:7]
	s_nop 0
	v_mfma_f32_16x16x4f32 a[0:3], v10, v11, a[0:3]
	s_movk_i32 s4, 0x7f
	v_cmp_gt_i16_sdwa s[6:7], v17, s4 src0_sel:BYTE_0 src1_sel:DWORD
	s_mov_b64 s[4:5], 0
                                        ; implicit-def: $sgpr10
	s_and_saveexec_b64 s[8:9], s[6:7]
	s_xor_b64 s[6:7], exec, s[8:9]
	s_cbranch_execnz .LBB34_3681
; %bb.1633:
	s_or_saveexec_b64 s[6:7], s[6:7]
	v_mov_b32_e32 v10, s10
	s_xor_b64 exec, exec, s[6:7]
	s_cbranch_execnz .LBB34_3684
.LBB34_1634:
	s_or_b64 exec, exec, s[6:7]
	s_and_saveexec_b64 s[6:7], s[4:5]
	s_cbranch_execz .LBB34_1636
.LBB34_1635:
	v_and_b32_e32 v10, 7, v17
	v_ffbh_u32_e32 v12, v10
	v_min_u32_e32 v12, 32, v12
	v_lshrrev_b16_e32 v11, 3, v17
	v_subrev_u32_e32 v14, 28, v12
	v_and_b32_e32 v11, 15, v11
	v_lshlrev_b32_e32 v14, v14, v17
	v_sub_u32_e32 v12, 29, v12
	v_and_b32_e32 v14, 7, v14
	v_cmp_eq_u16_e32 vcc, 0, v11
	v_cndmask_b32_e32 v10, v10, v14, vcc
	v_cndmask_b32_e32 v11, v11, v12, vcc
	v_lshlrev_b32_e32 v12, 24, v17
	v_mov_b32_e32 v14, 0x3b800000
	v_lshlrev_b32_e32 v10, 20, v10
	v_and_b32_e32 v12, 0x80000000, v12
	v_lshl_add_u32 v11, v11, 23, v14
	v_or3_b32 v10, v12, v11, v10
.LBB34_1636:
	s_or_b64 exec, exec, s[6:7]
	s_movk_i32 s4, 0x7f
	v_cmp_gt_i16_sdwa s[6:7], v13, s4 src0_sel:BYTE_0 src1_sel:DWORD
	s_mov_b64 s[4:5], 0
                                        ; implicit-def: $sgpr10
	s_and_saveexec_b64 s[8:9], s[6:7]
	s_xor_b64 s[6:7], exec, s[8:9]
	s_cbranch_execnz .LBB34_3685
; %bb.1637:
	s_or_saveexec_b64 s[6:7], s[6:7]
	v_mov_b32_e32 v11, s10
	s_xor_b64 exec, exec, s[6:7]
	s_cbranch_execnz .LBB34_3688
.LBB34_1638:
	s_or_b64 exec, exec, s[6:7]
	s_and_saveexec_b64 s[6:7], s[4:5]
	s_cbranch_execz .LBB34_1640
.LBB34_1639:
	v_and_b32_e32 v11, 7, v13
	v_ffbh_u32_e32 v14, v11
	v_min_u32_e32 v14, 32, v14
	v_lshrrev_b16_e32 v12, 3, v13
	v_subrev_u32_e32 v15, 28, v14
	v_and_b32_e32 v12, 15, v12
	v_lshlrev_b32_e32 v15, v15, v13
	v_sub_u32_e32 v14, 29, v14
	v_and_b32_e32 v15, 7, v15
	v_cmp_eq_u16_e32 vcc, 0, v12
	v_cndmask_b32_e32 v11, v11, v15, vcc
	v_cndmask_b32_e32 v12, v12, v14, vcc
	v_lshlrev_b32_e32 v14, 24, v13
	v_mov_b32_e32 v15, 0x3b800000
	v_lshlrev_b32_e32 v11, 20, v11
	v_and_b32_e32 v14, 0x80000000, v14
	v_lshl_add_u32 v12, v12, 23, v15
	v_or3_b32 v11, v14, v12, v11
.LBB34_1640:
	s_or_b64 exec, exec, s[6:7]
	s_nop 0
	v_mfma_f32_16x16x4f32 a[0:3], v10, v11, a[0:3]
	v_lshrrev_b32_e32 v11, 8, v17
	s_movk_i32 s4, 0x7f
	v_cmp_gt_i16_sdwa s[6:7], v11, s4 src0_sel:BYTE_0 src1_sel:DWORD
	s_mov_b64 s[4:5], 0
                                        ; implicit-def: $sgpr10
	s_and_saveexec_b64 s[8:9], s[6:7]
	s_xor_b64 s[6:7], exec, s[8:9]
	s_cbranch_execnz .LBB34_3689
; %bb.1641:
	s_or_saveexec_b64 s[6:7], s[6:7]
	v_mov_b32_e32 v10, s10
	s_xor_b64 exec, exec, s[6:7]
	s_cbranch_execnz .LBB34_3692
.LBB34_1642:
	s_or_b64 exec, exec, s[6:7]
	s_and_saveexec_b64 s[6:7], s[4:5]
	s_cbranch_execz .LBB34_1644
.LBB34_1643:
	v_bfe_u32 v10, v17, 8, 3
	v_ffbh_u32_e32 v14, v10
	v_min_u32_e32 v14, 32, v14
	v_lshrrev_b16_e32 v12, 3, v11
	v_subrev_u32_e32 v15, 28, v14
	v_and_b32_e32 v12, 15, v12
	v_lshlrev_b32_e32 v11, v15, v11
	v_sub_u32_e32 v14, 29, v14
	v_and_b32_e32 v11, 7, v11
	v_cmp_eq_u16_e32 vcc, 0, v12
	v_cndmask_b32_e32 v10, v10, v11, vcc
	v_cndmask_b32_e32 v11, v12, v14, vcc
	v_lshlrev_b32_e32 v12, 16, v17
	v_mov_b32_e32 v14, 0x3b800000
	v_lshlrev_b32_e32 v10, 20, v10
	v_and_b32_e32 v12, 0x80000000, v12
	v_lshl_add_u32 v11, v11, 23, v14
	v_or3_b32 v10, v12, v11, v10
.LBB34_1644:
	s_or_b64 exec, exec, s[6:7]
	v_lshrrev_b32_e32 v11, 8, v13
	s_movk_i32 s4, 0x7f
	v_cmp_gt_i16_sdwa s[6:7], v11, s4 src0_sel:BYTE_0 src1_sel:DWORD
	s_mov_b64 s[4:5], 0
                                        ; implicit-def: $sgpr10
	s_and_saveexec_b64 s[8:9], s[6:7]
	s_xor_b64 s[6:7], exec, s[8:9]
	s_cbranch_execnz .LBB34_3693
; %bb.1645:
	s_or_saveexec_b64 s[6:7], s[6:7]
	v_mov_b32_e32 v12, s10
	s_xor_b64 exec, exec, s[6:7]
	s_cbranch_execnz .LBB34_3696
.LBB34_1646:
	s_or_b64 exec, exec, s[6:7]
	s_and_saveexec_b64 s[6:7], s[4:5]
	s_cbranch_execz .LBB34_1648
.LBB34_1647:
	v_bfe_u32 v12, v13, 8, 3
	v_ffbh_u32_e32 v15, v12
	v_min_u32_e32 v15, 32, v15
	v_lshrrev_b16_e32 v14, 3, v11
	v_subrev_u32_e32 v16, 28, v15
	v_and_b32_e32 v14, 15, v14
	v_lshlrev_b32_e32 v11, v16, v11
	v_sub_u32_e32 v15, 29, v15
	v_and_b32_e32 v11, 7, v11
	v_cmp_eq_u16_e32 vcc, 0, v14
	v_cndmask_b32_e32 v11, v12, v11, vcc
	v_cndmask_b32_e32 v12, v14, v15, vcc
	v_lshlrev_b32_e32 v14, 16, v13
	v_mov_b32_e32 v15, 0x3b800000
	v_lshlrev_b32_e32 v11, 20, v11
	v_and_b32_e32 v14, 0x80000000, v14
	v_lshl_add_u32 v12, v12, 23, v15
	v_or3_b32 v12, v14, v12, v11
.LBB34_1648:
	s_or_b64 exec, exec, s[6:7]
	s_nop 0
	v_mfma_f32_16x16x4f32 a[0:3], v10, v12, a[0:3]
	s_movk_i32 s4, 0xff
	v_and_b32_sdwa v11, v17, s4 dst_sel:DWORD dst_unused:UNUSED_PAD src0_sel:WORD_1 src1_sel:DWORD
	s_movk_i32 s4, 0x7f
	v_cmp_lt_i16_e32 vcc, s4, v11
	s_mov_b64 s[4:5], 0
                                        ; implicit-def: $sgpr10
	s_and_saveexec_b64 s[6:7], vcc
	s_xor_b64 s[6:7], exec, s[6:7]
	s_cbranch_execnz .LBB34_3697
; %bb.1649:
	s_or_saveexec_b64 s[6:7], s[6:7]
	v_mov_b32_e32 v10, s10
	s_xor_b64 exec, exec, s[6:7]
	s_cbranch_execnz .LBB34_3700
.LBB34_1650:
	s_or_b64 exec, exec, s[6:7]
	s_and_saveexec_b64 s[6:7], s[4:5]
	s_cbranch_execz .LBB34_1652
.LBB34_1651:
	v_bfe_u32 v10, v17, 16, 3
	v_ffbh_u32_e32 v14, v10
	v_min_u32_e32 v14, 32, v14
	v_lshrrev_b32_e32 v11, 19, v17
	v_subrev_u32_e32 v15, 28, v14
	v_and_b32_e32 v11, 15, v11
	v_lshlrev_b32_sdwa v15, v15, v17 dst_sel:DWORD dst_unused:UNUSED_PAD src0_sel:DWORD src1_sel:WORD_1
	v_bfe_u32 v12, v17, 19, 4
	v_sub_u32_e32 v14, 29, v14
	v_and_b32_e32 v15, 7, v15
	v_cmp_eq_u16_e32 vcc, 0, v11
	v_cndmask_b32_e32 v10, v10, v15, vcc
	v_cndmask_b32_e32 v11, v12, v14, vcc
	v_lshlrev_b32_e32 v12, 8, v17
	v_mov_b32_e32 v14, 0x3b800000
	v_lshlrev_b32_e32 v10, 20, v10
	v_and_b32_e32 v12, 0x80000000, v12
	v_lshl_add_u32 v11, v11, 23, v14
	v_or3_b32 v10, v12, v11, v10
.LBB34_1652:
	s_or_b64 exec, exec, s[6:7]
	s_movk_i32 s4, 0xff
	v_and_b32_sdwa v11, v13, s4 dst_sel:DWORD dst_unused:UNUSED_PAD src0_sel:WORD_1 src1_sel:DWORD
	s_movk_i32 s4, 0x7f
	v_cmp_lt_i16_e32 vcc, s4, v11
	s_mov_b64 s[4:5], 0
                                        ; implicit-def: $sgpr10
	s_and_saveexec_b64 s[6:7], vcc
	s_xor_b64 s[6:7], exec, s[6:7]
	s_cbranch_execnz .LBB34_3701
; %bb.1653:
	s_or_saveexec_b64 s[6:7], s[6:7]
	v_mov_b32_e32 v12, s10
	s_xor_b64 exec, exec, s[6:7]
	s_cbranch_execnz .LBB34_3704
.LBB34_1654:
	s_or_b64 exec, exec, s[6:7]
	s_and_saveexec_b64 s[6:7], s[4:5]
	s_cbranch_execz .LBB34_1656
.LBB34_1655:
	v_bfe_u32 v11, v13, 16, 3
	v_ffbh_u32_e32 v15, v11
	v_min_u32_e32 v15, 32, v15
	v_lshrrev_b32_e32 v12, 19, v13
	v_subrev_u32_e32 v16, 28, v15
	v_and_b32_e32 v12, 15, v12
	v_lshlrev_b32_sdwa v16, v16, v13 dst_sel:DWORD dst_unused:UNUSED_PAD src0_sel:DWORD src1_sel:WORD_1
	v_bfe_u32 v14, v13, 19, 4
	v_sub_u32_e32 v15, 29, v15
	v_and_b32_e32 v16, 7, v16
	v_cmp_eq_u16_e32 vcc, 0, v12
	v_cndmask_b32_e32 v11, v11, v16, vcc
	v_cndmask_b32_e32 v12, v14, v15, vcc
	v_lshlrev_b32_e32 v14, 8, v13
	v_mov_b32_e32 v15, 0x3b800000
	v_lshlrev_b32_e32 v11, 20, v11
	v_and_b32_e32 v14, 0x80000000, v14
	v_lshl_add_u32 v12, v12, 23, v15
	v_or3_b32 v12, v14, v12, v11
.LBB34_1656:
	s_or_b64 exec, exec, s[6:7]
	s_nop 0
	v_mfma_f32_16x16x4f32 a[0:3], v10, v12, a[0:3]
	s_movk_i32 s4, 0x7f
	v_cmp_gt_i16_sdwa s[6:7], v17, s4 src0_sel:BYTE_3 src1_sel:DWORD
	s_mov_b64 s[4:5], 0
                                        ; implicit-def: $sgpr10
	s_and_saveexec_b64 s[8:9], s[6:7]
	s_xor_b64 s[6:7], exec, s[8:9]
	s_cbranch_execnz .LBB34_3705
; %bb.1657:
	s_or_saveexec_b64 s[6:7], s[6:7]
	v_mov_b32_e32 v10, s10
	s_xor_b64 exec, exec, s[6:7]
	s_cbranch_execnz .LBB34_3708
.LBB34_1658:
	s_or_b64 exec, exec, s[6:7]
	s_and_saveexec_b64 s[6:7], s[4:5]
	s_cbranch_execz .LBB34_1660
.LBB34_1659:
	v_bfe_u32 v10, v17, 24, 3
	v_ffbh_u32_e32 v15, v10
	v_min_u32_e32 v15, 32, v15
	v_lshrrev_b32_e32 v12, 27, v17
	v_subrev_u32_e32 v16, 28, v15
	v_and_b32_e32 v12, 15, v12
	v_lshlrev_b32_sdwa v16, v16, v17 dst_sel:DWORD dst_unused:UNUSED_PAD src0_sel:DWORD src1_sel:BYTE_3
	v_bfe_u32 v14, v17, 27, 4
	v_sub_u32_e32 v15, 29, v15
	v_and_b32_e32 v16, 7, v16
	v_cmp_eq_u16_e32 vcc, 0, v12
	v_cndmask_b32_e32 v10, v10, v16, vcc
	v_cndmask_b32_e32 v12, v14, v15, vcc
	v_mov_b32_e32 v14, 0x3b800000
	v_and_b32_e32 v11, 0x80000000, v17
	v_lshlrev_b32_e32 v10, 20, v10
	v_lshl_add_u32 v12, v12, 23, v14
	v_or3_b32 v10, v11, v12, v10
.LBB34_1660:
	s_or_b64 exec, exec, s[6:7]
	s_movk_i32 s4, 0x7f
	v_cmp_gt_i16_sdwa s[6:7], v13, s4 src0_sel:BYTE_3 src1_sel:DWORD
	s_mov_b64 s[4:5], 0
                                        ; implicit-def: $sgpr10
	s_and_saveexec_b64 s[8:9], s[6:7]
	s_xor_b64 s[6:7], exec, s[8:9]
	s_cbranch_execnz .LBB34_3709
; %bb.1661:
	s_or_saveexec_b64 s[6:7], s[6:7]
	v_mov_b32_e32 v11, s10
	s_xor_b64 exec, exec, s[6:7]
	s_cbranch_execnz .LBB34_3712
.LBB34_1662:
	s_or_b64 exec, exec, s[6:7]
	s_and_saveexec_b64 s[6:7], s[4:5]
	s_cbranch_execz .LBB34_1664
.LBB34_1663:
	v_bfe_u32 v11, v13, 24, 3
	v_ffbh_u32_e32 v16, v11
	v_min_u32_e32 v16, 32, v16
	v_lshrrev_b32_e32 v14, 27, v13
	v_subrev_u32_e32 v17, 28, v16
	v_and_b32_e32 v12, 0x80000000, v13
	v_and_b32_e32 v14, 15, v14
	v_bfe_u32 v15, v13, 27, 4
	v_lshlrev_b32_sdwa v13, v17, v13 dst_sel:DWORD dst_unused:UNUSED_PAD src0_sel:DWORD src1_sel:BYTE_3
	v_sub_u32_e32 v16, 29, v16
	v_and_b32_e32 v13, 7, v13
	v_cmp_eq_u16_e32 vcc, 0, v14
	v_cndmask_b32_e32 v11, v11, v13, vcc
	v_cndmask_b32_e32 v13, v15, v16, vcc
	v_mov_b32_e32 v14, 0x3b800000
	v_lshlrev_b32_e32 v11, 20, v11
	v_lshl_add_u32 v13, v13, 23, v14
	v_or3_b32 v11, v12, v13, v11
.LBB34_1664:
	s_or_b64 exec, exec, s[6:7]
	s_nop 0
	v_mfma_f32_16x16x4f32 a[0:3], v10, v11, a[0:3]
	s_movk_i32 s4, 0x7f
	v_cmp_gt_i16_sdwa s[6:7], v6, s4 src0_sel:BYTE_0 src1_sel:DWORD
	s_mov_b64 s[4:5], 0
                                        ; implicit-def: $sgpr10
	s_and_saveexec_b64 s[8:9], s[6:7]
	s_xor_b64 s[6:7], exec, s[8:9]
	s_cbranch_execnz .LBB34_3713
; %bb.1665:
	s_or_saveexec_b64 s[6:7], s[6:7]
	v_mov_b32_e32 v10, s10
	s_xor_b64 exec, exec, s[6:7]
	s_cbranch_execnz .LBB34_3716
.LBB34_1666:
	s_or_b64 exec, exec, s[6:7]
	s_and_saveexec_b64 s[6:7], s[4:5]
	s_cbranch_execz .LBB34_1668
.LBB34_1667:
	v_and_b32_e32 v10, 7, v6
	v_ffbh_u32_e32 v12, v10
	v_min_u32_e32 v12, 32, v12
	v_lshrrev_b16_e32 v11, 3, v6
	v_subrev_u32_e32 v13, 28, v12
	v_and_b32_e32 v11, 15, v11
	v_lshlrev_b32_e32 v13, v13, v6
	v_sub_u32_e32 v12, 29, v12
	v_and_b32_e32 v13, 7, v13
	v_cmp_eq_u16_e32 vcc, 0, v11
	v_cndmask_b32_e32 v10, v10, v13, vcc
	v_cndmask_b32_e32 v11, v11, v12, vcc
	v_lshlrev_b32_e32 v12, 24, v6
	v_mov_b32_e32 v13, 0x3b800000
	v_lshlrev_b32_e32 v10, 20, v10
	v_and_b32_e32 v12, 0x80000000, v12
	v_lshl_add_u32 v11, v11, 23, v13
	v_or3_b32 v10, v12, v11, v10
.LBB34_1668:
	s_or_b64 exec, exec, s[6:7]
	s_movk_i32 s4, 0x7f
	v_cmp_gt_i16_sdwa s[6:7], v2, s4 src0_sel:BYTE_0 src1_sel:DWORD
	s_mov_b64 s[4:5], 0
                                        ; implicit-def: $sgpr10
	s_and_saveexec_b64 s[8:9], s[6:7]
	s_xor_b64 s[6:7], exec, s[8:9]
	s_cbranch_execnz .LBB34_3717
; %bb.1669:
	s_or_saveexec_b64 s[6:7], s[6:7]
	v_mov_b32_e32 v11, s10
	s_xor_b64 exec, exec, s[6:7]
	s_cbranch_execnz .LBB34_3720
.LBB34_1670:
	s_or_b64 exec, exec, s[6:7]
	s_and_saveexec_b64 s[6:7], s[4:5]
	s_cbranch_execz .LBB34_1672
.LBB34_1671:
	v_and_b32_e32 v11, 7, v2
	v_ffbh_u32_e32 v13, v11
	v_min_u32_e32 v13, 32, v13
	v_lshrrev_b16_e32 v12, 3, v2
	v_subrev_u32_e32 v14, 28, v13
	v_and_b32_e32 v12, 15, v12
	v_lshlrev_b32_e32 v14, v14, v2
	v_sub_u32_e32 v13, 29, v13
	v_and_b32_e32 v14, 7, v14
	v_cmp_eq_u16_e32 vcc, 0, v12
	v_cndmask_b32_e32 v11, v11, v14, vcc
	v_cndmask_b32_e32 v12, v12, v13, vcc
	v_lshlrev_b32_e32 v13, 24, v2
	v_mov_b32_e32 v14, 0x3b800000
	v_lshlrev_b32_e32 v11, 20, v11
	v_and_b32_e32 v13, 0x80000000, v13
	v_lshl_add_u32 v12, v12, 23, v14
	v_or3_b32 v11, v13, v12, v11
.LBB34_1672:
	s_or_b64 exec, exec, s[6:7]
	s_nop 0
	v_mfma_f32_16x16x4f32 a[0:3], v10, v11, a[0:3]
	v_lshrrev_b32_e32 v11, 8, v6
	s_movk_i32 s4, 0x7f
	v_cmp_gt_i16_sdwa s[6:7], v11, s4 src0_sel:BYTE_0 src1_sel:DWORD
	s_mov_b64 s[4:5], 0
                                        ; implicit-def: $sgpr10
	s_and_saveexec_b64 s[8:9], s[6:7]
	s_xor_b64 s[6:7], exec, s[8:9]
	s_cbranch_execnz .LBB34_3721
; %bb.1673:
	s_or_saveexec_b64 s[6:7], s[6:7]
	v_mov_b32_e32 v10, s10
	s_xor_b64 exec, exec, s[6:7]
	s_cbranch_execnz .LBB34_3724
.LBB34_1674:
	s_or_b64 exec, exec, s[6:7]
	s_and_saveexec_b64 s[6:7], s[4:5]
	s_cbranch_execz .LBB34_1676
.LBB34_1675:
	v_bfe_u32 v10, v6, 8, 3
	v_ffbh_u32_e32 v13, v10
	v_min_u32_e32 v13, 32, v13
	v_lshrrev_b16_e32 v12, 3, v11
	v_subrev_u32_e32 v14, 28, v13
	v_and_b32_e32 v12, 15, v12
	v_lshlrev_b32_e32 v11, v14, v11
	v_sub_u32_e32 v13, 29, v13
	v_and_b32_e32 v11, 7, v11
	v_cmp_eq_u16_e32 vcc, 0, v12
	v_cndmask_b32_e32 v10, v10, v11, vcc
	v_cndmask_b32_e32 v11, v12, v13, vcc
	v_lshlrev_b32_e32 v12, 16, v6
	v_mov_b32_e32 v13, 0x3b800000
	v_lshlrev_b32_e32 v10, 20, v10
	v_and_b32_e32 v12, 0x80000000, v12
	v_lshl_add_u32 v11, v11, 23, v13
	v_or3_b32 v10, v12, v11, v10
.LBB34_1676:
	s_or_b64 exec, exec, s[6:7]
	v_lshrrev_b32_e32 v11, 8, v2
	s_movk_i32 s4, 0x7f
	v_cmp_gt_i16_sdwa s[6:7], v11, s4 src0_sel:BYTE_0 src1_sel:DWORD
	s_mov_b64 s[4:5], 0
                                        ; implicit-def: $sgpr10
	s_and_saveexec_b64 s[8:9], s[6:7]
	s_xor_b64 s[6:7], exec, s[8:9]
	s_cbranch_execnz .LBB34_3725
; %bb.1677:
	s_or_saveexec_b64 s[6:7], s[6:7]
	v_mov_b32_e32 v12, s10
	s_xor_b64 exec, exec, s[6:7]
	s_cbranch_execnz .LBB34_3728
.LBB34_1678:
	s_or_b64 exec, exec, s[6:7]
	s_and_saveexec_b64 s[6:7], s[4:5]
	s_cbranch_execz .LBB34_1680
.LBB34_1679:
	v_bfe_u32 v12, v2, 8, 3
	v_ffbh_u32_e32 v14, v12
	v_min_u32_e32 v14, 32, v14
	v_lshrrev_b16_e32 v13, 3, v11
	v_subrev_u32_e32 v15, 28, v14
	v_and_b32_e32 v13, 15, v13
	v_lshlrev_b32_e32 v11, v15, v11
	v_sub_u32_e32 v14, 29, v14
	v_and_b32_e32 v11, 7, v11
	v_cmp_eq_u16_e32 vcc, 0, v13
	v_cndmask_b32_e32 v11, v12, v11, vcc
	v_cndmask_b32_e32 v12, v13, v14, vcc
	v_lshlrev_b32_e32 v13, 16, v2
	v_mov_b32_e32 v14, 0x3b800000
	v_lshlrev_b32_e32 v11, 20, v11
	v_and_b32_e32 v13, 0x80000000, v13
	v_lshl_add_u32 v12, v12, 23, v14
	v_or3_b32 v12, v13, v12, v11
.LBB34_1680:
	s_or_b64 exec, exec, s[6:7]
	s_nop 0
	v_mfma_f32_16x16x4f32 a[0:3], v10, v12, a[0:3]
	s_movk_i32 s4, 0xff
	v_and_b32_sdwa v11, v6, s4 dst_sel:DWORD dst_unused:UNUSED_PAD src0_sel:WORD_1 src1_sel:DWORD
	s_movk_i32 s4, 0x7f
	v_cmp_lt_i16_e32 vcc, s4, v11
	s_mov_b64 s[4:5], 0
                                        ; implicit-def: $sgpr10
	s_and_saveexec_b64 s[6:7], vcc
	s_xor_b64 s[6:7], exec, s[6:7]
	s_cbranch_execnz .LBB34_3729
; %bb.1681:
	s_or_saveexec_b64 s[6:7], s[6:7]
	v_mov_b32_e32 v10, s10
	s_xor_b64 exec, exec, s[6:7]
	s_cbranch_execnz .LBB34_3732
.LBB34_1682:
	s_or_b64 exec, exec, s[6:7]
	s_and_saveexec_b64 s[6:7], s[4:5]
	s_cbranch_execz .LBB34_1684
.LBB34_1683:
	v_bfe_u32 v10, v6, 16, 3
	v_ffbh_u32_e32 v13, v10
	v_min_u32_e32 v13, 32, v13
	v_lshrrev_b32_e32 v11, 19, v6
	v_subrev_u32_e32 v14, 28, v13
	v_and_b32_e32 v11, 15, v11
	v_lshlrev_b32_sdwa v14, v14, v6 dst_sel:DWORD dst_unused:UNUSED_PAD src0_sel:DWORD src1_sel:WORD_1
	v_bfe_u32 v12, v6, 19, 4
	v_sub_u32_e32 v13, 29, v13
	v_and_b32_e32 v14, 7, v14
	v_cmp_eq_u16_e32 vcc, 0, v11
	v_cndmask_b32_e32 v10, v10, v14, vcc
	v_cndmask_b32_e32 v11, v12, v13, vcc
	v_lshlrev_b32_e32 v12, 8, v6
	v_mov_b32_e32 v13, 0x3b800000
	v_lshlrev_b32_e32 v10, 20, v10
	v_and_b32_e32 v12, 0x80000000, v12
	v_lshl_add_u32 v11, v11, 23, v13
	v_or3_b32 v10, v12, v11, v10
.LBB34_1684:
	s_or_b64 exec, exec, s[6:7]
	s_movk_i32 s4, 0xff
	v_and_b32_sdwa v11, v2, s4 dst_sel:DWORD dst_unused:UNUSED_PAD src0_sel:WORD_1 src1_sel:DWORD
	s_movk_i32 s4, 0x7f
	v_cmp_lt_i16_e32 vcc, s4, v11
	s_mov_b64 s[4:5], 0
                                        ; implicit-def: $sgpr10
	s_and_saveexec_b64 s[6:7], vcc
	s_xor_b64 s[6:7], exec, s[6:7]
	s_cbranch_execnz .LBB34_3733
; %bb.1685:
	s_or_saveexec_b64 s[6:7], s[6:7]
	v_mov_b32_e32 v12, s10
	s_xor_b64 exec, exec, s[6:7]
	s_cbranch_execnz .LBB34_3736
.LBB34_1686:
	s_or_b64 exec, exec, s[6:7]
	s_and_saveexec_b64 s[6:7], s[4:5]
	s_cbranch_execz .LBB34_1688
.LBB34_1687:
	v_bfe_u32 v11, v2, 16, 3
	v_ffbh_u32_e32 v14, v11
	v_min_u32_e32 v14, 32, v14
	v_lshrrev_b32_e32 v12, 19, v2
	v_subrev_u32_e32 v15, 28, v14
	v_and_b32_e32 v12, 15, v12
	v_lshlrev_b32_sdwa v15, v15, v2 dst_sel:DWORD dst_unused:UNUSED_PAD src0_sel:DWORD src1_sel:WORD_1
	v_bfe_u32 v13, v2, 19, 4
	v_sub_u32_e32 v14, 29, v14
	v_and_b32_e32 v15, 7, v15
	v_cmp_eq_u16_e32 vcc, 0, v12
	v_cndmask_b32_e32 v11, v11, v15, vcc
	v_cndmask_b32_e32 v12, v13, v14, vcc
	v_lshlrev_b32_e32 v13, 8, v2
	v_mov_b32_e32 v14, 0x3b800000
	v_lshlrev_b32_e32 v11, 20, v11
	v_and_b32_e32 v13, 0x80000000, v13
	v_lshl_add_u32 v12, v12, 23, v14
	v_or3_b32 v12, v13, v12, v11
.LBB34_1688:
	s_or_b64 exec, exec, s[6:7]
	s_nop 0
	v_mfma_f32_16x16x4f32 a[0:3], v10, v12, a[0:3]
	s_movk_i32 s4, 0x7f
	v_cmp_gt_i16_sdwa s[6:7], v6, s4 src0_sel:BYTE_3 src1_sel:DWORD
	s_mov_b64 s[4:5], 0
                                        ; implicit-def: $sgpr10
	s_and_saveexec_b64 s[8:9], s[6:7]
	s_xor_b64 s[6:7], exec, s[8:9]
	s_cbranch_execnz .LBB34_3737
; %bb.1689:
	s_or_saveexec_b64 s[6:7], s[6:7]
	v_mov_b32_e32 v10, s10
	s_xor_b64 exec, exec, s[6:7]
	s_cbranch_execnz .LBB34_3740
.LBB34_1690:
	s_or_b64 exec, exec, s[6:7]
	s_and_saveexec_b64 s[6:7], s[4:5]
	s_cbranch_execz .LBB34_1692
.LBB34_1691:
	v_bfe_u32 v10, v6, 24, 3
	v_ffbh_u32_e32 v14, v10
	v_min_u32_e32 v14, 32, v14
	v_lshrrev_b32_e32 v12, 27, v6
	v_subrev_u32_e32 v15, 28, v14
	v_and_b32_e32 v11, 0x80000000, v6
	v_and_b32_e32 v12, 15, v12
	v_bfe_u32 v13, v6, 27, 4
	v_lshlrev_b32_sdwa v6, v15, v6 dst_sel:DWORD dst_unused:UNUSED_PAD src0_sel:DWORD src1_sel:BYTE_3
	v_sub_u32_e32 v14, 29, v14
	v_and_b32_e32 v6, 7, v6
	v_cmp_eq_u16_e32 vcc, 0, v12
	v_cndmask_b32_e32 v6, v10, v6, vcc
	v_cndmask_b32_e32 v10, v13, v14, vcc
	v_mov_b32_e32 v12, 0x3b800000
	v_lshlrev_b32_e32 v6, 20, v6
	v_lshl_add_u32 v10, v10, 23, v12
	v_or3_b32 v10, v11, v10, v6
.LBB34_1692:
	s_or_b64 exec, exec, s[6:7]
	s_movk_i32 s4, 0x7f
	v_cmp_gt_i16_sdwa s[6:7], v2, s4 src0_sel:BYTE_3 src1_sel:DWORD
	s_mov_b64 s[4:5], 0
                                        ; implicit-def: $sgpr10
	s_and_saveexec_b64 s[8:9], s[6:7]
	s_xor_b64 s[6:7], exec, s[8:9]
	s_cbranch_execnz .LBB34_3741
; %bb.1693:
	s_or_saveexec_b64 s[6:7], s[6:7]
	v_mov_b32_e32 v6, s10
	s_xor_b64 exec, exec, s[6:7]
	s_cbranch_execnz .LBB34_3744
.LBB34_1694:
	s_or_b64 exec, exec, s[6:7]
	s_and_saveexec_b64 s[6:7], s[4:5]
	s_cbranch_execz .LBB34_1696
.LBB34_1695:
	v_bfe_u32 v6, v2, 24, 3
	v_ffbh_u32_e32 v14, v6
	v_min_u32_e32 v14, 32, v14
	v_lshrrev_b32_e32 v12, 27, v2
	v_subrev_u32_e32 v15, 28, v14
	v_and_b32_e32 v11, 0x80000000, v2
	v_and_b32_e32 v12, 15, v12
	v_bfe_u32 v13, v2, 27, 4
	v_lshlrev_b32_sdwa v2, v15, v2 dst_sel:DWORD dst_unused:UNUSED_PAD src0_sel:DWORD src1_sel:BYTE_3
	v_sub_u32_e32 v14, 29, v14
	v_and_b32_e32 v2, 7, v2
	v_cmp_eq_u16_e32 vcc, 0, v12
	v_cndmask_b32_e32 v2, v6, v2, vcc
	v_cndmask_b32_e32 v6, v13, v14, vcc
	v_mov_b32_e32 v12, 0x3b800000
	v_lshlrev_b32_e32 v2, 20, v2
	v_lshl_add_u32 v6, v6, 23, v12
	v_or3_b32 v6, v11, v6, v2
.LBB34_1696:
	s_or_b64 exec, exec, s[6:7]
	s_nop 0
	v_mfma_f32_16x16x4f32 a[0:3], v10, v6, a[0:3]
	s_movk_i32 s4, 0x7f
	v_cmp_gt_i16_sdwa s[6:7], v7, s4 src0_sel:BYTE_0 src1_sel:DWORD
	s_mov_b64 s[4:5], 0
                                        ; implicit-def: $sgpr10
	s_and_saveexec_b64 s[8:9], s[6:7]
	s_xor_b64 s[6:7], exec, s[8:9]
	s_cbranch_execnz .LBB34_3745
; %bb.1697:
	s_or_saveexec_b64 s[6:7], s[6:7]
	v_mov_b32_e32 v2, s10
	s_xor_b64 exec, exec, s[6:7]
	s_cbranch_execnz .LBB34_3748
.LBB34_1698:
	s_or_b64 exec, exec, s[6:7]
	s_and_saveexec_b64 s[6:7], s[4:5]
	s_cbranch_execz .LBB34_1700
.LBB34_1699:
	v_and_b32_e32 v2, 7, v7
	v_ffbh_u32_e32 v10, v2
	v_min_u32_e32 v10, 32, v10
	v_lshrrev_b16_e32 v6, 3, v7
	v_subrev_u32_e32 v11, 28, v10
	v_and_b32_e32 v6, 15, v6
	v_lshlrev_b32_e32 v11, v11, v7
	v_sub_u32_e32 v10, 29, v10
	v_and_b32_e32 v11, 7, v11
	v_cmp_eq_u16_e32 vcc, 0, v6
	v_cndmask_b32_e32 v2, v2, v11, vcc
	v_cndmask_b32_e32 v6, v6, v10, vcc
	v_lshlrev_b32_e32 v10, 24, v7
	v_mov_b32_e32 v11, 0x3b800000
	v_lshlrev_b32_e32 v2, 20, v2
	v_and_b32_e32 v10, 0x80000000, v10
	v_lshl_add_u32 v6, v6, 23, v11
	v_or3_b32 v2, v10, v6, v2
.LBB34_1700:
	s_or_b64 exec, exec, s[6:7]
	s_movk_i32 s4, 0x7f
	v_cmp_gt_i16_sdwa s[6:7], v3, s4 src0_sel:BYTE_0 src1_sel:DWORD
	s_mov_b64 s[4:5], 0
                                        ; implicit-def: $sgpr10
	s_and_saveexec_b64 s[8:9], s[6:7]
	s_xor_b64 s[6:7], exec, s[8:9]
	s_cbranch_execnz .LBB34_3749
; %bb.1701:
	s_or_saveexec_b64 s[6:7], s[6:7]
	v_mov_b32_e32 v6, s10
	s_xor_b64 exec, exec, s[6:7]
	s_cbranch_execnz .LBB34_3752
.LBB34_1702:
	s_or_b64 exec, exec, s[6:7]
	s_and_saveexec_b64 s[6:7], s[4:5]
	s_cbranch_execz .LBB34_1704
.LBB34_1703:
	v_and_b32_e32 v6, 7, v3
	v_ffbh_u32_e32 v11, v6
	v_min_u32_e32 v11, 32, v11
	v_lshrrev_b16_e32 v10, 3, v3
	v_subrev_u32_e32 v12, 28, v11
	v_and_b32_e32 v10, 15, v10
	v_lshlrev_b32_e32 v12, v12, v3
	v_sub_u32_e32 v11, 29, v11
	v_and_b32_e32 v12, 7, v12
	v_cmp_eq_u16_e32 vcc, 0, v10
	v_cndmask_b32_e32 v6, v6, v12, vcc
	v_cndmask_b32_e32 v10, v10, v11, vcc
	v_lshlrev_b32_e32 v11, 24, v3
	v_mov_b32_e32 v12, 0x3b800000
	v_lshlrev_b32_e32 v6, 20, v6
	v_and_b32_e32 v11, 0x80000000, v11
	v_lshl_add_u32 v10, v10, 23, v12
	v_or3_b32 v6, v11, v10, v6
.LBB34_1704:
	s_or_b64 exec, exec, s[6:7]
	s_nop 0
	v_mfma_f32_16x16x4f32 a[0:3], v2, v6, a[0:3]
	v_lshrrev_b32_e32 v6, 8, v7
	s_movk_i32 s4, 0x7f
	v_cmp_gt_i16_sdwa s[6:7], v6, s4 src0_sel:BYTE_0 src1_sel:DWORD
	s_mov_b64 s[4:5], 0
                                        ; implicit-def: $sgpr10
	s_and_saveexec_b64 s[8:9], s[6:7]
	s_xor_b64 s[6:7], exec, s[8:9]
	s_cbranch_execnz .LBB34_3753
; %bb.1705:
	s_or_saveexec_b64 s[6:7], s[6:7]
	v_mov_b32_e32 v2, s10
	s_xor_b64 exec, exec, s[6:7]
	s_cbranch_execnz .LBB34_3756
.LBB34_1706:
	s_or_b64 exec, exec, s[6:7]
	s_and_saveexec_b64 s[6:7], s[4:5]
	s_cbranch_execz .LBB34_1708
.LBB34_1707:
	v_bfe_u32 v2, v7, 8, 3
	v_ffbh_u32_e32 v11, v2
	v_min_u32_e32 v11, 32, v11
	v_lshrrev_b16_e32 v10, 3, v6
	v_subrev_u32_e32 v12, 28, v11
	v_and_b32_e32 v10, 15, v10
	v_lshlrev_b32_e32 v6, v12, v6
	v_sub_u32_e32 v11, 29, v11
	v_and_b32_e32 v6, 7, v6
	v_cmp_eq_u16_e32 vcc, 0, v10
	v_cndmask_b32_e32 v2, v2, v6, vcc
	v_cndmask_b32_e32 v6, v10, v11, vcc
	v_lshlrev_b32_e32 v10, 16, v7
	v_mov_b32_e32 v11, 0x3b800000
	v_lshlrev_b32_e32 v2, 20, v2
	v_and_b32_e32 v10, 0x80000000, v10
	v_lshl_add_u32 v6, v6, 23, v11
	v_or3_b32 v2, v10, v6, v2
.LBB34_1708:
	s_or_b64 exec, exec, s[6:7]
	v_lshrrev_b32_e32 v6, 8, v3
	s_movk_i32 s4, 0x7f
	v_cmp_gt_i16_sdwa s[6:7], v6, s4 src0_sel:BYTE_0 src1_sel:DWORD
	s_mov_b64 s[4:5], 0
                                        ; implicit-def: $sgpr10
	s_and_saveexec_b64 s[8:9], s[6:7]
	s_xor_b64 s[6:7], exec, s[8:9]
	s_cbranch_execnz .LBB34_3757
; %bb.1709:
	s_or_saveexec_b64 s[6:7], s[6:7]
	v_mov_b32_e32 v10, s10
	s_xor_b64 exec, exec, s[6:7]
	s_cbranch_execnz .LBB34_3760
.LBB34_1710:
	s_or_b64 exec, exec, s[6:7]
	s_and_saveexec_b64 s[6:7], s[4:5]
	s_cbranch_execz .LBB34_1712
.LBB34_1711:
	v_bfe_u32 v10, v3, 8, 3
	v_ffbh_u32_e32 v12, v10
	v_min_u32_e32 v12, 32, v12
	v_lshrrev_b16_e32 v11, 3, v6
	v_subrev_u32_e32 v13, 28, v12
	v_and_b32_e32 v11, 15, v11
	v_lshlrev_b32_e32 v6, v13, v6
	v_sub_u32_e32 v12, 29, v12
	v_and_b32_e32 v6, 7, v6
	v_cmp_eq_u16_e32 vcc, 0, v11
	v_cndmask_b32_e32 v6, v10, v6, vcc
	v_cndmask_b32_e32 v10, v11, v12, vcc
	v_lshlrev_b32_e32 v11, 16, v3
	v_mov_b32_e32 v12, 0x3b800000
	v_lshlrev_b32_e32 v6, 20, v6
	v_and_b32_e32 v11, 0x80000000, v11
	v_lshl_add_u32 v10, v10, 23, v12
	v_or3_b32 v10, v11, v10, v6
.LBB34_1712:
	s_or_b64 exec, exec, s[6:7]
	s_nop 0
	v_mfma_f32_16x16x4f32 a[0:3], v2, v10, a[0:3]
	s_movk_i32 s4, 0xff
	v_and_b32_sdwa v6, v7, s4 dst_sel:DWORD dst_unused:UNUSED_PAD src0_sel:WORD_1 src1_sel:DWORD
	s_movk_i32 s4, 0x7f
	v_cmp_lt_i16_e32 vcc, s4, v6
	s_mov_b64 s[4:5], 0
                                        ; implicit-def: $sgpr10
	s_and_saveexec_b64 s[6:7], vcc
	s_xor_b64 s[6:7], exec, s[6:7]
	s_cbranch_execnz .LBB34_3761
; %bb.1713:
	s_or_saveexec_b64 s[6:7], s[6:7]
	v_mov_b32_e32 v2, s10
	s_xor_b64 exec, exec, s[6:7]
	s_cbranch_execnz .LBB34_3764
.LBB34_1714:
	s_or_b64 exec, exec, s[6:7]
	s_and_saveexec_b64 s[6:7], s[4:5]
	s_cbranch_execz .LBB34_1716
.LBB34_1715:
	v_bfe_u32 v2, v7, 16, 3
	v_ffbh_u32_e32 v11, v2
	v_min_u32_e32 v11, 32, v11
	v_lshrrev_b32_e32 v6, 19, v7
	v_subrev_u32_e32 v12, 28, v11
	v_and_b32_e32 v6, 15, v6
	v_lshlrev_b32_sdwa v12, v12, v7 dst_sel:DWORD dst_unused:UNUSED_PAD src0_sel:DWORD src1_sel:WORD_1
	v_bfe_u32 v10, v7, 19, 4
	v_sub_u32_e32 v11, 29, v11
	v_and_b32_e32 v12, 7, v12
	v_cmp_eq_u16_e32 vcc, 0, v6
	v_cndmask_b32_e32 v2, v2, v12, vcc
	v_cndmask_b32_e32 v6, v10, v11, vcc
	v_lshlrev_b32_e32 v10, 8, v7
	v_mov_b32_e32 v11, 0x3b800000
	v_lshlrev_b32_e32 v2, 20, v2
	v_and_b32_e32 v10, 0x80000000, v10
	v_lshl_add_u32 v6, v6, 23, v11
	v_or3_b32 v2, v10, v6, v2
.LBB34_1716:
	s_or_b64 exec, exec, s[6:7]
	s_movk_i32 s4, 0xff
	v_and_b32_sdwa v6, v3, s4 dst_sel:DWORD dst_unused:UNUSED_PAD src0_sel:WORD_1 src1_sel:DWORD
	s_movk_i32 s4, 0x7f
	v_cmp_lt_i16_e32 vcc, s4, v6
	s_mov_b64 s[4:5], 0
                                        ; implicit-def: $sgpr10
	s_and_saveexec_b64 s[6:7], vcc
	s_xor_b64 s[6:7], exec, s[6:7]
	s_cbranch_execnz .LBB34_3765
; %bb.1717:
	s_or_saveexec_b64 s[6:7], s[6:7]
	v_mov_b32_e32 v10, s10
	s_xor_b64 exec, exec, s[6:7]
	s_cbranch_execnz .LBB34_3768
.LBB34_1718:
	s_or_b64 exec, exec, s[6:7]
	s_and_saveexec_b64 s[6:7], s[4:5]
	s_cbranch_execz .LBB34_1720
.LBB34_1719:
	v_bfe_u32 v6, v3, 16, 3
	v_ffbh_u32_e32 v12, v6
	v_min_u32_e32 v12, 32, v12
	v_lshrrev_b32_e32 v10, 19, v3
	v_subrev_u32_e32 v13, 28, v12
	v_and_b32_e32 v10, 15, v10
	v_lshlrev_b32_sdwa v13, v13, v3 dst_sel:DWORD dst_unused:UNUSED_PAD src0_sel:DWORD src1_sel:WORD_1
	v_bfe_u32 v11, v3, 19, 4
	v_sub_u32_e32 v12, 29, v12
	v_and_b32_e32 v13, 7, v13
	v_cmp_eq_u16_e32 vcc, 0, v10
	v_cndmask_b32_e32 v6, v6, v13, vcc
	v_cndmask_b32_e32 v10, v11, v12, vcc
	v_lshlrev_b32_e32 v11, 8, v3
	v_mov_b32_e32 v12, 0x3b800000
	v_lshlrev_b32_e32 v6, 20, v6
	v_and_b32_e32 v11, 0x80000000, v11
	v_lshl_add_u32 v10, v10, 23, v12
	v_or3_b32 v10, v11, v10, v6
.LBB34_1720:
	s_or_b64 exec, exec, s[6:7]
	s_nop 0
	v_mfma_f32_16x16x4f32 a[0:3], v2, v10, a[0:3]
	s_movk_i32 s4, 0x7f
	v_cmp_gt_i16_sdwa s[6:7], v7, s4 src0_sel:BYTE_3 src1_sel:DWORD
	s_mov_b64 s[4:5], 0
                                        ; implicit-def: $sgpr10
	s_and_saveexec_b64 s[8:9], s[6:7]
	s_xor_b64 s[6:7], exec, s[8:9]
	s_cbranch_execnz .LBB34_3769
; %bb.1721:
	s_or_saveexec_b64 s[6:7], s[6:7]
	v_mov_b32_e32 v2, s10
	s_xor_b64 exec, exec, s[6:7]
	s_cbranch_execnz .LBB34_3772
.LBB34_1722:
	s_or_b64 exec, exec, s[6:7]
	s_and_saveexec_b64 s[6:7], s[4:5]
	s_cbranch_execz .LBB34_1724
.LBB34_1723:
	v_bfe_u32 v2, v7, 24, 3
	v_ffbh_u32_e32 v12, v2
	v_min_u32_e32 v12, 32, v12
	v_lshrrev_b32_e32 v10, 27, v7
	v_subrev_u32_e32 v13, 28, v12
	v_and_b32_e32 v6, 0x80000000, v7
	v_and_b32_e32 v10, 15, v10
	v_bfe_u32 v11, v7, 27, 4
	v_lshlrev_b32_sdwa v7, v13, v7 dst_sel:DWORD dst_unused:UNUSED_PAD src0_sel:DWORD src1_sel:BYTE_3
	v_sub_u32_e32 v12, 29, v12
	v_and_b32_e32 v7, 7, v7
	v_cmp_eq_u16_e32 vcc, 0, v10
	v_cndmask_b32_e32 v2, v2, v7, vcc
	v_cndmask_b32_e32 v7, v11, v12, vcc
	v_mov_b32_e32 v10, 0x3b800000
	v_lshlrev_b32_e32 v2, 20, v2
	v_lshl_add_u32 v7, v7, 23, v10
	v_or3_b32 v2, v6, v7, v2
.LBB34_1724:
	s_or_b64 exec, exec, s[6:7]
	s_movk_i32 s4, 0x7f
	v_cmp_gt_i16_sdwa s[6:7], v3, s4 src0_sel:BYTE_3 src1_sel:DWORD
	s_mov_b64 s[4:5], 0
                                        ; implicit-def: $sgpr10
	s_and_saveexec_b64 s[8:9], s[6:7]
	s_xor_b64 s[6:7], exec, s[8:9]
	s_cbranch_execnz .LBB34_3773
; %bb.1725:
	s_or_saveexec_b64 s[6:7], s[6:7]
	v_mov_b32_e32 v6, s10
	s_xor_b64 exec, exec, s[6:7]
	s_cbranch_execnz .LBB34_3776
.LBB34_1726:
	s_or_b64 exec, exec, s[6:7]
	s_and_saveexec_b64 s[6:7], s[4:5]
	s_cbranch_execz .LBB34_1728
.LBB34_1727:
	v_bfe_u32 v6, v3, 24, 3
	v_ffbh_u32_e32 v12, v6
	v_min_u32_e32 v12, 32, v12
	v_lshrrev_b32_e32 v10, 27, v3
	v_subrev_u32_e32 v13, 28, v12
	v_and_b32_e32 v7, 0x80000000, v3
	v_and_b32_e32 v10, 15, v10
	v_bfe_u32 v11, v3, 27, 4
	v_lshlrev_b32_sdwa v3, v13, v3 dst_sel:DWORD dst_unused:UNUSED_PAD src0_sel:DWORD src1_sel:BYTE_3
	v_sub_u32_e32 v12, 29, v12
	v_and_b32_e32 v3, 7, v3
	v_cmp_eq_u16_e32 vcc, 0, v10
	v_cndmask_b32_e32 v3, v6, v3, vcc
	v_cndmask_b32_e32 v6, v11, v12, vcc
	v_mov_b32_e32 v10, 0x3b800000
	v_lshlrev_b32_e32 v3, 20, v3
	v_lshl_add_u32 v6, v6, 23, v10
	v_or3_b32 v6, v7, v6, v3
.LBB34_1728:
	s_or_b64 exec, exec, s[6:7]
	s_nop 0
	v_mfma_f32_16x16x4f32 a[0:3], v2, v6, a[0:3]
	s_movk_i32 s4, 0x7f
	v_cmp_gt_i16_sdwa s[6:7], v8, s4 src0_sel:BYTE_0 src1_sel:DWORD
	s_mov_b64 s[4:5], 0
                                        ; implicit-def: $sgpr10
	s_and_saveexec_b64 s[8:9], s[6:7]
	s_xor_b64 s[6:7], exec, s[8:9]
	s_cbranch_execnz .LBB34_3777
; %bb.1729:
	s_or_saveexec_b64 s[6:7], s[6:7]
	v_mov_b32_e32 v2, s10
	s_xor_b64 exec, exec, s[6:7]
	s_cbranch_execnz .LBB34_3780
.LBB34_1730:
	s_or_b64 exec, exec, s[6:7]
	s_and_saveexec_b64 s[6:7], s[4:5]
	s_cbranch_execz .LBB34_1732
.LBB34_1731:
	v_and_b32_e32 v2, 7, v8
	v_ffbh_u32_e32 v6, v2
	v_min_u32_e32 v6, 32, v6
	v_lshrrev_b16_e32 v3, 3, v8
	v_subrev_u32_e32 v7, 28, v6
	v_and_b32_e32 v3, 15, v3
	v_lshlrev_b32_e32 v7, v7, v8
	v_sub_u32_e32 v6, 29, v6
	v_and_b32_e32 v7, 7, v7
	v_cmp_eq_u16_e32 vcc, 0, v3
	v_cndmask_b32_e32 v2, v2, v7, vcc
	v_cndmask_b32_e32 v3, v3, v6, vcc
	v_lshlrev_b32_e32 v6, 24, v8
	v_mov_b32_e32 v7, 0x3b800000
	v_lshlrev_b32_e32 v2, 20, v2
	v_and_b32_e32 v6, 0x80000000, v6
	v_lshl_add_u32 v3, v3, 23, v7
	v_or3_b32 v2, v6, v3, v2
.LBB34_1732:
	s_or_b64 exec, exec, s[6:7]
	s_movk_i32 s4, 0x7f
	v_cmp_gt_i16_sdwa s[6:7], v4, s4 src0_sel:BYTE_0 src1_sel:DWORD
	s_mov_b64 s[4:5], 0
                                        ; implicit-def: $sgpr10
	s_and_saveexec_b64 s[8:9], s[6:7]
	s_xor_b64 s[6:7], exec, s[8:9]
	s_cbranch_execnz .LBB34_3781
; %bb.1733:
	s_or_saveexec_b64 s[6:7], s[6:7]
	v_mov_b32_e32 v3, s10
	s_xor_b64 exec, exec, s[6:7]
	s_cbranch_execnz .LBB34_3784
.LBB34_1734:
	s_or_b64 exec, exec, s[6:7]
	s_and_saveexec_b64 s[6:7], s[4:5]
	s_cbranch_execz .LBB34_1736
.LBB34_1735:
	v_and_b32_e32 v3, 7, v4
	v_ffbh_u32_e32 v7, v3
	v_min_u32_e32 v7, 32, v7
	v_lshrrev_b16_e32 v6, 3, v4
	v_subrev_u32_e32 v10, 28, v7
	v_and_b32_e32 v6, 15, v6
	v_lshlrev_b32_e32 v10, v10, v4
	v_sub_u32_e32 v7, 29, v7
	v_and_b32_e32 v10, 7, v10
	v_cmp_eq_u16_e32 vcc, 0, v6
	v_cndmask_b32_e32 v3, v3, v10, vcc
	v_cndmask_b32_e32 v6, v6, v7, vcc
	v_lshlrev_b32_e32 v7, 24, v4
	v_mov_b32_e32 v10, 0x3b800000
	v_lshlrev_b32_e32 v3, 20, v3
	v_and_b32_e32 v7, 0x80000000, v7
	v_lshl_add_u32 v6, v6, 23, v10
	v_or3_b32 v3, v7, v6, v3
.LBB34_1736:
	s_or_b64 exec, exec, s[6:7]
	s_nop 0
	v_mfma_f32_16x16x4f32 a[0:3], v2, v3, a[0:3]
	v_lshrrev_b32_e32 v3, 8, v8
	s_movk_i32 s4, 0x7f
	v_cmp_gt_i16_sdwa s[6:7], v3, s4 src0_sel:BYTE_0 src1_sel:DWORD
	s_mov_b64 s[4:5], 0
                                        ; implicit-def: $sgpr10
	s_and_saveexec_b64 s[8:9], s[6:7]
	s_xor_b64 s[6:7], exec, s[8:9]
	s_cbranch_execnz .LBB34_3785
; %bb.1737:
	s_or_saveexec_b64 s[6:7], s[6:7]
	v_mov_b32_e32 v2, s10
	s_xor_b64 exec, exec, s[6:7]
	s_cbranch_execnz .LBB34_3788
.LBB34_1738:
	s_or_b64 exec, exec, s[6:7]
	s_and_saveexec_b64 s[6:7], s[4:5]
	s_cbranch_execz .LBB34_1740
.LBB34_1739:
	v_bfe_u32 v2, v8, 8, 3
	v_ffbh_u32_e32 v7, v2
	v_min_u32_e32 v7, 32, v7
	v_lshrrev_b16_e32 v6, 3, v3
	v_subrev_u32_e32 v10, 28, v7
	v_and_b32_e32 v6, 15, v6
	v_lshlrev_b32_e32 v3, v10, v3
	v_sub_u32_e32 v7, 29, v7
	v_and_b32_e32 v3, 7, v3
	v_cmp_eq_u16_e32 vcc, 0, v6
	v_cndmask_b32_e32 v2, v2, v3, vcc
	v_cndmask_b32_e32 v3, v6, v7, vcc
	v_lshlrev_b32_e32 v6, 16, v8
	v_mov_b32_e32 v7, 0x3b800000
	v_lshlrev_b32_e32 v2, 20, v2
	v_and_b32_e32 v6, 0x80000000, v6
	v_lshl_add_u32 v3, v3, 23, v7
	v_or3_b32 v2, v6, v3, v2
.LBB34_1740:
	s_or_b64 exec, exec, s[6:7]
	v_lshrrev_b32_e32 v3, 8, v4
	s_movk_i32 s4, 0x7f
	v_cmp_gt_i16_sdwa s[6:7], v3, s4 src0_sel:BYTE_0 src1_sel:DWORD
	s_mov_b64 s[4:5], 0
                                        ; implicit-def: $sgpr10
	s_and_saveexec_b64 s[8:9], s[6:7]
	s_xor_b64 s[6:7], exec, s[8:9]
	s_cbranch_execnz .LBB34_3789
; %bb.1741:
	s_or_saveexec_b64 s[6:7], s[6:7]
	v_mov_b32_e32 v6, s10
	s_xor_b64 exec, exec, s[6:7]
	s_cbranch_execnz .LBB34_3792
.LBB34_1742:
	s_or_b64 exec, exec, s[6:7]
	s_and_saveexec_b64 s[6:7], s[4:5]
	s_cbranch_execz .LBB34_1744
.LBB34_1743:
	v_bfe_u32 v6, v4, 8, 3
	v_ffbh_u32_e32 v10, v6
	v_min_u32_e32 v10, 32, v10
	v_lshrrev_b16_e32 v7, 3, v3
	v_subrev_u32_e32 v11, 28, v10
	v_and_b32_e32 v7, 15, v7
	v_lshlrev_b32_e32 v3, v11, v3
	v_sub_u32_e32 v10, 29, v10
	v_and_b32_e32 v3, 7, v3
	v_cmp_eq_u16_e32 vcc, 0, v7
	v_cndmask_b32_e32 v3, v6, v3, vcc
	v_cndmask_b32_e32 v6, v7, v10, vcc
	v_lshlrev_b32_e32 v7, 16, v4
	v_mov_b32_e32 v10, 0x3b800000
	v_lshlrev_b32_e32 v3, 20, v3
	v_and_b32_e32 v7, 0x80000000, v7
	v_lshl_add_u32 v6, v6, 23, v10
	v_or3_b32 v6, v7, v6, v3
.LBB34_1744:
	s_or_b64 exec, exec, s[6:7]
	s_nop 0
	v_mfma_f32_16x16x4f32 a[0:3], v2, v6, a[0:3]
	s_movk_i32 s4, 0xff
	v_and_b32_sdwa v3, v8, s4 dst_sel:DWORD dst_unused:UNUSED_PAD src0_sel:WORD_1 src1_sel:DWORD
	s_movk_i32 s4, 0x7f
	v_cmp_lt_i16_e32 vcc, s4, v3
	s_mov_b64 s[4:5], 0
                                        ; implicit-def: $sgpr10
	s_and_saveexec_b64 s[6:7], vcc
	s_xor_b64 s[6:7], exec, s[6:7]
	s_cbranch_execnz .LBB34_3793
; %bb.1745:
	s_or_saveexec_b64 s[6:7], s[6:7]
	v_mov_b32_e32 v2, s10
	s_xor_b64 exec, exec, s[6:7]
	s_cbranch_execnz .LBB34_3796
.LBB34_1746:
	s_or_b64 exec, exec, s[6:7]
	s_and_saveexec_b64 s[6:7], s[4:5]
	s_cbranch_execz .LBB34_1748
.LBB34_1747:
	v_bfe_u32 v2, v8, 16, 3
	v_ffbh_u32_e32 v7, v2
	v_min_u32_e32 v7, 32, v7
	v_lshrrev_b32_e32 v3, 19, v8
	v_subrev_u32_e32 v10, 28, v7
	v_and_b32_e32 v3, 15, v3
	v_lshlrev_b32_sdwa v10, v10, v8 dst_sel:DWORD dst_unused:UNUSED_PAD src0_sel:DWORD src1_sel:WORD_1
	v_bfe_u32 v6, v8, 19, 4
	v_sub_u32_e32 v7, 29, v7
	v_and_b32_e32 v10, 7, v10
	v_cmp_eq_u16_e32 vcc, 0, v3
	v_cndmask_b32_e32 v2, v2, v10, vcc
	v_cndmask_b32_e32 v3, v6, v7, vcc
	v_lshlrev_b32_e32 v6, 8, v8
	v_mov_b32_e32 v7, 0x3b800000
	v_lshlrev_b32_e32 v2, 20, v2
	v_and_b32_e32 v6, 0x80000000, v6
	v_lshl_add_u32 v3, v3, 23, v7
	v_or3_b32 v2, v6, v3, v2
.LBB34_1748:
	s_or_b64 exec, exec, s[6:7]
	s_movk_i32 s4, 0xff
	v_and_b32_sdwa v3, v4, s4 dst_sel:DWORD dst_unused:UNUSED_PAD src0_sel:WORD_1 src1_sel:DWORD
	s_movk_i32 s4, 0x7f
	v_cmp_lt_i16_e32 vcc, s4, v3
	s_mov_b64 s[4:5], 0
                                        ; implicit-def: $sgpr10
	s_and_saveexec_b64 s[6:7], vcc
	s_xor_b64 s[6:7], exec, s[6:7]
	s_cbranch_execnz .LBB34_3797
; %bb.1749:
	s_or_saveexec_b64 s[6:7], s[6:7]
	v_mov_b32_e32 v6, s10
	s_xor_b64 exec, exec, s[6:7]
	s_cbranch_execnz .LBB34_3800
.LBB34_1750:
	s_or_b64 exec, exec, s[6:7]
	s_and_saveexec_b64 s[6:7], s[4:5]
	s_cbranch_execz .LBB34_1752
.LBB34_1751:
	v_bfe_u32 v3, v4, 16, 3
	v_ffbh_u32_e32 v10, v3
	v_min_u32_e32 v10, 32, v10
	v_lshrrev_b32_e32 v6, 19, v4
	v_subrev_u32_e32 v11, 28, v10
	v_and_b32_e32 v6, 15, v6
	v_lshlrev_b32_sdwa v11, v11, v4 dst_sel:DWORD dst_unused:UNUSED_PAD src0_sel:DWORD src1_sel:WORD_1
	v_bfe_u32 v7, v4, 19, 4
	v_sub_u32_e32 v10, 29, v10
	v_and_b32_e32 v11, 7, v11
	v_cmp_eq_u16_e32 vcc, 0, v6
	v_cndmask_b32_e32 v3, v3, v11, vcc
	v_cndmask_b32_e32 v6, v7, v10, vcc
	v_lshlrev_b32_e32 v7, 8, v4
	v_mov_b32_e32 v10, 0x3b800000
	v_lshlrev_b32_e32 v3, 20, v3
	v_and_b32_e32 v7, 0x80000000, v7
	v_lshl_add_u32 v6, v6, 23, v10
	v_or3_b32 v6, v7, v6, v3
.LBB34_1752:
	s_or_b64 exec, exec, s[6:7]
	s_nop 0
	v_mfma_f32_16x16x4f32 a[0:3], v2, v6, a[0:3]
	s_movk_i32 s4, 0x7f
	v_cmp_gt_i16_sdwa s[6:7], v8, s4 src0_sel:BYTE_3 src1_sel:DWORD
	s_mov_b64 s[4:5], 0
                                        ; implicit-def: $sgpr10
	s_and_saveexec_b64 s[8:9], s[6:7]
	s_xor_b64 s[6:7], exec, s[8:9]
	s_cbranch_execnz .LBB34_3801
; %bb.1753:
	s_or_saveexec_b64 s[6:7], s[6:7]
	v_mov_b32_e32 v2, s10
	s_xor_b64 exec, exec, s[6:7]
	s_cbranch_execnz .LBB34_3804
.LBB34_1754:
	s_or_b64 exec, exec, s[6:7]
	s_and_saveexec_b64 s[6:7], s[4:5]
	s_cbranch_execz .LBB34_1756
.LBB34_1755:
	v_bfe_u32 v2, v8, 24, 3
	v_ffbh_u32_e32 v10, v2
	v_min_u32_e32 v10, 32, v10
	v_lshrrev_b32_e32 v6, 27, v8
	v_subrev_u32_e32 v11, 28, v10
	v_and_b32_e32 v3, 0x80000000, v8
	v_and_b32_e32 v6, 15, v6
	v_bfe_u32 v7, v8, 27, 4
	v_lshlrev_b32_sdwa v8, v11, v8 dst_sel:DWORD dst_unused:UNUSED_PAD src0_sel:DWORD src1_sel:BYTE_3
	v_sub_u32_e32 v10, 29, v10
	v_and_b32_e32 v8, 7, v8
	v_cmp_eq_u16_e32 vcc, 0, v6
	v_cndmask_b32_e32 v2, v2, v8, vcc
	v_cndmask_b32_e32 v6, v7, v10, vcc
	v_mov_b32_e32 v7, 0x3b800000
	v_lshlrev_b32_e32 v2, 20, v2
	v_lshl_add_u32 v6, v6, 23, v7
	v_or3_b32 v2, v3, v6, v2
.LBB34_1756:
	s_or_b64 exec, exec, s[6:7]
	s_movk_i32 s4, 0x7f
	v_cmp_gt_i16_sdwa s[6:7], v4, s4 src0_sel:BYTE_3 src1_sel:DWORD
	s_mov_b64 s[4:5], 0
                                        ; implicit-def: $sgpr10
	s_and_saveexec_b64 s[8:9], s[6:7]
	s_xor_b64 s[6:7], exec, s[8:9]
	s_cbranch_execnz .LBB34_3805
; %bb.1757:
	s_or_saveexec_b64 s[6:7], s[6:7]
	v_mov_b32_e32 v3, s10
	s_xor_b64 exec, exec, s[6:7]
	s_cbranch_execnz .LBB34_3808
.LBB34_1758:
	s_or_b64 exec, exec, s[6:7]
	s_and_saveexec_b64 s[6:7], s[4:5]
	s_cbranch_execz .LBB34_1760
.LBB34_1759:
	v_bfe_u32 v3, v4, 24, 3
	v_ffbh_u32_e32 v10, v3
	v_min_u32_e32 v10, 32, v10
	v_lshrrev_b32_e32 v7, 27, v4
	v_subrev_u32_e32 v11, 28, v10
	v_and_b32_e32 v6, 0x80000000, v4
	v_and_b32_e32 v7, 15, v7
	v_bfe_u32 v8, v4, 27, 4
	v_lshlrev_b32_sdwa v4, v11, v4 dst_sel:DWORD dst_unused:UNUSED_PAD src0_sel:DWORD src1_sel:BYTE_3
	v_sub_u32_e32 v10, 29, v10
	v_and_b32_e32 v4, 7, v4
	v_cmp_eq_u16_e32 vcc, 0, v7
	v_cndmask_b32_e32 v3, v3, v4, vcc
	v_cndmask_b32_e32 v4, v8, v10, vcc
	v_mov_b32_e32 v7, 0x3b800000
	v_lshlrev_b32_e32 v3, 20, v3
	v_lshl_add_u32 v4, v4, 23, v7
	v_or3_b32 v3, v6, v4, v3
.LBB34_1760:
	s_or_b64 exec, exec, s[6:7]
	s_nop 0
	v_mfma_f32_16x16x4f32 a[0:3], v2, v3, a[0:3]
	s_movk_i32 s4, 0x7f
	v_cmp_gt_i16_sdwa s[6:7], v9, s4 src0_sel:BYTE_0 src1_sel:DWORD
	s_mov_b64 s[4:5], 0
                                        ; implicit-def: $sgpr10
	s_and_saveexec_b64 s[8:9], s[6:7]
	s_xor_b64 s[6:7], exec, s[8:9]
	s_cbranch_execnz .LBB34_3809
; %bb.1761:
	s_or_saveexec_b64 s[6:7], s[6:7]
	v_mov_b32_e32 v2, s10
	s_xor_b64 exec, exec, s[6:7]
	s_cbranch_execnz .LBB34_3812
.LBB34_1762:
	s_or_b64 exec, exec, s[6:7]
	s_and_saveexec_b64 s[6:7], s[4:5]
	s_cbranch_execz .LBB34_1764
.LBB34_1763:
	v_mov_b32_e32 v2, 8
	v_and_b32_e32 v3, 7, v9
	v_lshrrev_b32_sdwa v2, v2, v9 dst_sel:BYTE_1 dst_unused:UNUSED_PAD src0_sel:DWORD src1_sel:DWORD
	v_ffbh_u32_e32 v4, v3
	v_or_b32_sdwa v2, v9, v2 dst_sel:DWORD dst_unused:UNUSED_PAD src0_sel:BYTE_0 src1_sel:DWORD
	v_min_u32_e32 v4, 32, v4
	v_lshrrev_b16_e32 v2, 3, v2
	v_subrev_u32_e32 v6, 28, v4
	v_and_b32_e32 v2, 15, v2
	v_lshlrev_b32_e32 v6, v6, v9
	v_sub_u32_e32 v4, 29, v4
	v_and_b32_e32 v6, 7, v6
	v_cmp_eq_u16_e32 vcc, 0, v2
	v_cndmask_b32_e32 v3, v3, v6, vcc
	v_cndmask_b32_e32 v2, v2, v4, vcc
	v_lshlrev_b32_e32 v4, 24, v9
	v_mov_b32_e32 v6, 0x3b800000
	v_lshlrev_b32_e32 v3, 20, v3
	v_and_b32_e32 v4, 0x80000000, v4
	v_lshl_add_u32 v2, v2, 23, v6
	v_or3_b32 v2, v4, v2, v3
.LBB34_1764:
	s_or_b64 exec, exec, s[6:7]
	s_movk_i32 s4, 0x7f
	v_cmp_gt_i16_sdwa s[6:7], v5, s4 src0_sel:BYTE_0 src1_sel:DWORD
	s_mov_b64 s[4:5], 0
                                        ; implicit-def: $sgpr10
	s_and_saveexec_b64 s[8:9], s[6:7]
	s_xor_b64 s[6:7], exec, s[8:9]
	s_cbranch_execnz .LBB34_3813
; %bb.1765:
	s_or_saveexec_b64 s[6:7], s[6:7]
	v_mov_b32_e32 v3, s10
	s_xor_b64 exec, exec, s[6:7]
	s_cbranch_execnz .LBB34_3816
.LBB34_1766:
	s_or_b64 exec, exec, s[6:7]
	s_and_saveexec_b64 s[6:7], s[4:5]
	s_cbranch_execz .LBB34_1768
.LBB34_1767:
	v_mov_b32_e32 v3, 8
	v_and_b32_e32 v4, 7, v5
	v_lshrrev_b32_sdwa v3, v3, v5 dst_sel:BYTE_1 dst_unused:UNUSED_PAD src0_sel:DWORD src1_sel:DWORD
	v_ffbh_u32_e32 v6, v4
	v_or_b32_sdwa v3, v5, v3 dst_sel:DWORD dst_unused:UNUSED_PAD src0_sel:BYTE_0 src1_sel:DWORD
	v_min_u32_e32 v6, 32, v6
	v_lshrrev_b16_e32 v3, 3, v3
	v_subrev_u32_e32 v7, 28, v6
	v_and_b32_e32 v3, 15, v3
	v_lshlrev_b32_e32 v7, v7, v5
	v_sub_u32_e32 v6, 29, v6
	v_and_b32_e32 v7, 7, v7
	v_cmp_eq_u16_e32 vcc, 0, v3
	v_cndmask_b32_e32 v4, v4, v7, vcc
	v_cndmask_b32_e32 v3, v3, v6, vcc
	v_lshlrev_b32_e32 v6, 24, v5
	v_mov_b32_e32 v7, 0x3b800000
	v_lshlrev_b32_e32 v4, 20, v4
	v_and_b32_e32 v6, 0x80000000, v6
	v_lshl_add_u32 v3, v3, 23, v7
	v_or3_b32 v3, v6, v3, v4
.LBB34_1768:
	s_or_b64 exec, exec, s[6:7]
	s_nop 0
	v_mfma_f32_16x16x4f32 a[0:3], v2, v3, a[0:3]
	v_lshrrev_b32_e32 v3, 8, v9
	s_movk_i32 s4, 0x7f
	v_cmp_gt_i16_sdwa s[6:7], v3, s4 src0_sel:BYTE_0 src1_sel:DWORD
	s_mov_b64 s[4:5], 0
                                        ; implicit-def: $sgpr10
	s_and_saveexec_b64 s[8:9], s[6:7]
	s_xor_b64 s[6:7], exec, s[8:9]
	s_cbranch_execnz .LBB34_3817
; %bb.1769:
	s_or_saveexec_b64 s[6:7], s[6:7]
	v_mov_b32_e32 v2, s10
	s_xor_b64 exec, exec, s[6:7]
	s_cbranch_execnz .LBB34_3820
.LBB34_1770:
	s_or_b64 exec, exec, s[6:7]
	s_and_saveexec_b64 s[6:7], s[4:5]
	s_cbranch_execz .LBB34_1772
.LBB34_1771:
	v_bfe_u32 v2, v9, 8, 3
	v_ffbh_u32_e32 v6, v2
	v_min_u32_e32 v6, 32, v6
	v_lshrrev_b16_e32 v4, 3, v3
	v_subrev_u32_e32 v7, 28, v6
	v_and_b32_e32 v4, 15, v4
	v_lshlrev_b32_e32 v3, v7, v3
	v_sub_u32_e32 v6, 29, v6
	v_and_b32_e32 v3, 7, v3
	v_cmp_eq_u16_e32 vcc, 0, v4
	v_cndmask_b32_e32 v2, v2, v3, vcc
	v_cndmask_b32_e32 v3, v4, v6, vcc
	v_lshlrev_b32_e32 v4, 16, v9
	v_mov_b32_e32 v6, 0x3b800000
	v_lshlrev_b32_e32 v2, 20, v2
	v_and_b32_e32 v4, 0x80000000, v4
	v_lshl_add_u32 v3, v3, 23, v6
	v_or3_b32 v2, v4, v3, v2
.LBB34_1772:
	s_or_b64 exec, exec, s[6:7]
	v_lshrrev_b32_e32 v3, 8, v5
	s_movk_i32 s4, 0x7f
	v_cmp_gt_i16_sdwa s[6:7], v3, s4 src0_sel:BYTE_0 src1_sel:DWORD
	s_mov_b64 s[4:5], 0
                                        ; implicit-def: $sgpr10
	s_and_saveexec_b64 s[8:9], s[6:7]
	s_xor_b64 s[6:7], exec, s[8:9]
	s_cbranch_execnz .LBB34_3821
; %bb.1773:
	s_or_saveexec_b64 s[6:7], s[6:7]
	v_mov_b32_e32 v4, s10
	s_xor_b64 exec, exec, s[6:7]
	s_cbranch_execnz .LBB34_3824
.LBB34_1774:
	s_or_b64 exec, exec, s[6:7]
	s_and_saveexec_b64 s[6:7], s[4:5]
	s_cbranch_execz .LBB34_1776
.LBB34_1775:
	v_bfe_u32 v4, v5, 8, 3
	v_ffbh_u32_e32 v7, v4
	v_min_u32_e32 v7, 32, v7
	v_lshrrev_b16_e32 v6, 3, v3
	v_subrev_u32_e32 v8, 28, v7
	v_and_b32_e32 v6, 15, v6
	v_lshlrev_b32_e32 v3, v8, v3
	v_sub_u32_e32 v7, 29, v7
	v_and_b32_e32 v3, 7, v3
	v_cmp_eq_u16_e32 vcc, 0, v6
	v_cndmask_b32_e32 v3, v4, v3, vcc
	v_cndmask_b32_e32 v4, v6, v7, vcc
	v_lshlrev_b32_e32 v6, 16, v5
	v_mov_b32_e32 v7, 0x3b800000
	v_lshlrev_b32_e32 v3, 20, v3
	v_and_b32_e32 v6, 0x80000000, v6
	v_lshl_add_u32 v4, v4, 23, v7
	v_or3_b32 v4, v6, v4, v3
.LBB34_1776:
	s_or_b64 exec, exec, s[6:7]
	s_nop 0
	v_mfma_f32_16x16x4f32 a[0:3], v2, v4, a[0:3]
	s_movk_i32 s4, 0xff
	v_and_b32_sdwa v3, v9, s4 dst_sel:DWORD dst_unused:UNUSED_PAD src0_sel:WORD_1 src1_sel:DWORD
	s_movk_i32 s4, 0x7f
	v_cmp_lt_i16_e32 vcc, s4, v3
	s_mov_b64 s[4:5], 0
                                        ; implicit-def: $sgpr10
	s_and_saveexec_b64 s[6:7], vcc
	s_xor_b64 s[6:7], exec, s[6:7]
	s_cbranch_execnz .LBB34_3825
; %bb.1777:
	s_or_saveexec_b64 s[6:7], s[6:7]
	v_mov_b32_e32 v2, s10
	s_xor_b64 exec, exec, s[6:7]
	s_cbranch_execnz .LBB34_3828
.LBB34_1778:
	s_or_b64 exec, exec, s[6:7]
	s_and_saveexec_b64 s[6:7], s[4:5]
	s_cbranch_execz .LBB34_1780
.LBB34_1779:
	v_bfe_u32 v2, v9, 16, 3
	v_ffbh_u32_e32 v6, v2
	v_min_u32_e32 v6, 32, v6
	v_lshrrev_b32_e32 v3, 19, v9
	v_subrev_u32_e32 v7, 28, v6
	v_and_b32_e32 v3, 15, v3
	v_lshlrev_b32_sdwa v7, v7, v9 dst_sel:DWORD dst_unused:UNUSED_PAD src0_sel:DWORD src1_sel:WORD_1
	v_bfe_u32 v4, v9, 19, 4
	v_sub_u32_e32 v6, 29, v6
	v_and_b32_e32 v7, 7, v7
	v_cmp_eq_u16_e32 vcc, 0, v3
	v_cndmask_b32_e32 v2, v2, v7, vcc
	v_cndmask_b32_e32 v3, v4, v6, vcc
	v_lshlrev_b32_e32 v4, 8, v9
	v_mov_b32_e32 v6, 0x3b800000
	v_lshlrev_b32_e32 v2, 20, v2
	v_and_b32_e32 v4, 0x80000000, v4
	v_lshl_add_u32 v3, v3, 23, v6
	v_or3_b32 v2, v4, v3, v2
.LBB34_1780:
	s_or_b64 exec, exec, s[6:7]
	s_movk_i32 s4, 0xff
	v_and_b32_sdwa v3, v5, s4 dst_sel:DWORD dst_unused:UNUSED_PAD src0_sel:WORD_1 src1_sel:DWORD
	s_movk_i32 s4, 0x7f
	v_cmp_lt_i16_e32 vcc, s4, v3
	s_mov_b64 s[4:5], 0
                                        ; implicit-def: $sgpr10
	s_and_saveexec_b64 s[6:7], vcc
	s_xor_b64 s[6:7], exec, s[6:7]
	s_cbranch_execnz .LBB34_3829
; %bb.1781:
	s_or_saveexec_b64 s[6:7], s[6:7]
	v_mov_b32_e32 v4, s10
	s_xor_b64 exec, exec, s[6:7]
	s_cbranch_execnz .LBB34_3832
.LBB34_1782:
	s_or_b64 exec, exec, s[6:7]
	s_and_saveexec_b64 s[6:7], s[4:5]
	s_cbranch_execz .LBB34_1784
.LBB34_1783:
	v_bfe_u32 v3, v5, 16, 3
	v_ffbh_u32_e32 v7, v3
	v_min_u32_e32 v7, 32, v7
	v_lshrrev_b32_e32 v4, 19, v5
	v_subrev_u32_e32 v8, 28, v7
	v_and_b32_e32 v4, 15, v4
	v_lshlrev_b32_sdwa v8, v8, v5 dst_sel:DWORD dst_unused:UNUSED_PAD src0_sel:DWORD src1_sel:WORD_1
	v_bfe_u32 v6, v5, 19, 4
	v_sub_u32_e32 v7, 29, v7
	v_and_b32_e32 v8, 7, v8
	v_cmp_eq_u16_e32 vcc, 0, v4
	v_cndmask_b32_e32 v3, v3, v8, vcc
	v_cndmask_b32_e32 v4, v6, v7, vcc
	v_lshlrev_b32_e32 v6, 8, v5
	v_mov_b32_e32 v7, 0x3b800000
	v_lshlrev_b32_e32 v3, 20, v3
	v_and_b32_e32 v6, 0x80000000, v6
	v_lshl_add_u32 v4, v4, 23, v7
	v_or3_b32 v4, v6, v4, v3
.LBB34_1784:
	s_or_b64 exec, exec, s[6:7]
	s_nop 0
	v_mfma_f32_16x16x4f32 a[0:3], v2, v4, a[0:3]
	s_movk_i32 s4, 0x7f
	v_cmp_gt_i16_sdwa s[6:7], v9, s4 src0_sel:BYTE_3 src1_sel:DWORD
	s_mov_b64 s[4:5], 0
                                        ; implicit-def: $sgpr10
	s_and_saveexec_b64 s[8:9], s[6:7]
	s_xor_b64 s[6:7], exec, s[8:9]
	s_cbranch_execnz .LBB34_3833
; %bb.1785:
	s_or_saveexec_b64 s[6:7], s[6:7]
	v_mov_b32_e32 v2, s10
	s_xor_b64 exec, exec, s[6:7]
	s_cbranch_execnz .LBB34_3836
.LBB34_1786:
	s_or_b64 exec, exec, s[6:7]
	s_and_saveexec_b64 s[6:7], s[4:5]
	s_cbranch_execz .LBB34_1788
.LBB34_1787:
	v_bfe_u32 v2, v9, 24, 3
	v_ffbh_u32_e32 v7, v2
	v_min_u32_e32 v7, 32, v7
	v_lshrrev_b32_e32 v4, 27, v9
	v_subrev_u32_e32 v8, 28, v7
	v_and_b32_e32 v4, 15, v4
	v_lshlrev_b32_sdwa v8, v8, v9 dst_sel:DWORD dst_unused:UNUSED_PAD src0_sel:DWORD src1_sel:BYTE_3
	v_bfe_u32 v6, v9, 27, 4
	v_sub_u32_e32 v7, 29, v7
	v_and_b32_e32 v8, 7, v8
	v_cmp_eq_u16_e32 vcc, 0, v4
	v_cndmask_b32_e32 v2, v2, v8, vcc
	v_cndmask_b32_e32 v4, v6, v7, vcc
	v_mov_b32_e32 v6, 0x3b800000
	v_and_b32_e32 v3, 0x80000000, v9
	v_lshlrev_b32_e32 v2, 20, v2
	v_lshl_add_u32 v4, v4, 23, v6
	v_or3_b32 v2, v3, v4, v2
.LBB34_1788:
	s_or_b64 exec, exec, s[6:7]
	s_movk_i32 s4, 0x7f
	v_cmp_gt_i16_sdwa s[6:7], v5, s4 src0_sel:BYTE_3 src1_sel:DWORD
	s_mov_b64 s[4:5], 0
                                        ; implicit-def: $sgpr10
	s_and_saveexec_b64 s[8:9], s[6:7]
	s_xor_b64 s[6:7], exec, s[8:9]
	s_cbranch_execnz .LBB34_3837
; %bb.1789:
	s_or_saveexec_b64 s[6:7], s[6:7]
	v_mov_b32_e32 v3, s10
	s_xor_b64 exec, exec, s[6:7]
	s_cbranch_execnz .LBB34_3840
.LBB34_1790:
	s_or_b64 exec, exec, s[6:7]
	s_and_saveexec_b64 s[6:7], s[4:5]
	s_cbranch_execz .LBB34_1792
.LBB34_1791:
	v_bfe_u32 v3, v5, 24, 3
	v_ffbh_u32_e32 v8, v3
	v_min_u32_e32 v8, 32, v8
	v_lshrrev_b32_e32 v6, 27, v5
	v_subrev_u32_e32 v9, 28, v8
	v_and_b32_e32 v4, 0x80000000, v5
	v_and_b32_e32 v6, 15, v6
	v_bfe_u32 v7, v5, 27, 4
	v_lshlrev_b32_sdwa v5, v9, v5 dst_sel:DWORD dst_unused:UNUSED_PAD src0_sel:DWORD src1_sel:BYTE_3
	v_sub_u32_e32 v8, 29, v8
	v_and_b32_e32 v5, 7, v5
	v_cmp_eq_u16_e32 vcc, 0, v6
	v_cndmask_b32_e32 v3, v3, v5, vcc
	v_cndmask_b32_e32 v5, v7, v8, vcc
	v_mov_b32_e32 v6, 0x3b800000
	v_lshlrev_b32_e32 v3, 20, v3
	v_lshl_add_u32 v5, v5, 23, v6
	v_or3_b32 v3, v4, v5, v3
.LBB34_1792:
	s_or_b64 exec, exec, s[6:7]
	s_nop 0
	v_mfma_f32_16x16x4f32 a[0:3], v2, v3, a[0:3]
	s_movk_i32 s4, 0x7f
                                        ; implicit-def: $sgpr10
	s_nop 7
	s_nop 1
	flat_store_dwordx4 v[18:19], a[0:3] offset:864
	flat_load_dwordx4 v[18:21], v[0:1] offset:16
	s_nop 0
	flat_load_dwordx2 v[16:17], v[0:1] offset:32
	s_waitcnt vmcnt(0) lgkmcnt(0)
	flat_load_dwordx4 v[12:15], v[18:19]
	flat_load_dwordx4 v[4:7], v[18:19] offset:16
	flat_load_dwordx4 v[8:11], v[20:21] offset:224
	;; [unrolled: 1-line block ×3, first 2 shown]
	s_waitcnt vmcnt(0) lgkmcnt(0)
	v_cmp_gt_i16_sdwa s[6:7], v12, s4 src0_sel:BYTE_0 src1_sel:DWORD
	s_mov_b64 s[4:5], 0
	s_and_saveexec_b64 s[8:9], s[6:7]
	s_xor_b64 s[6:7], exec, s[8:9]
	s_cbranch_execnz .LBB34_3841
; %bb.1793:
	s_or_saveexec_b64 s[6:7], s[6:7]
	v_mov_b32_e32 v18, s10
	s_xor_b64 exec, exec, s[6:7]
	s_cbranch_execnz .LBB34_3844
.LBB34_1794:
	s_or_b64 exec, exec, s[6:7]
	s_and_saveexec_b64 s[6:7], s[4:5]
	s_cbranch_execz .LBB34_1796
.LBB34_1795:
	v_and_b32_e32 v18, 7, v12
	v_ffbh_u32_e32 v20, v18
	v_min_u32_e32 v20, 32, v20
	v_lshrrev_b16_e32 v19, 3, v12
	v_subrev_u32_e32 v21, 28, v20
	v_and_b32_e32 v19, 15, v19
	v_lshlrev_b32_e32 v21, v21, v12
	v_sub_u32_e32 v20, 29, v20
	v_and_b32_e32 v21, 7, v21
	v_cmp_eq_u16_e32 vcc, 0, v19
	v_cndmask_b32_e32 v18, v18, v21, vcc
	v_cndmask_b32_e32 v19, v19, v20, vcc
	v_lshlrev_b32_e32 v20, 24, v12
	v_mov_b32_e32 v21, 0x3b800000
	v_lshlrev_b32_e32 v18, 20, v18
	v_and_b32_e32 v20, 0x80000000, v20
	v_lshl_add_u32 v19, v19, 23, v21
	v_or3_b32 v18, v20, v19, v18
.LBB34_1796:
	s_or_b64 exec, exec, s[6:7]
	s_movk_i32 s4, 0x7f
	v_cmp_gt_i16_sdwa s[6:7], v8, s4 src0_sel:BYTE_0 src1_sel:DWORD
	s_mov_b64 s[4:5], 0
                                        ; implicit-def: $sgpr10
	s_and_saveexec_b64 s[8:9], s[6:7]
	s_xor_b64 s[6:7], exec, s[8:9]
	s_cbranch_execnz .LBB34_3845
; %bb.1797:
	s_or_saveexec_b64 s[6:7], s[6:7]
	v_mov_b32_e32 v19, s10
	s_xor_b64 exec, exec, s[6:7]
	s_cbranch_execnz .LBB34_3848
.LBB34_1798:
	s_or_b64 exec, exec, s[6:7]
	s_and_saveexec_b64 s[6:7], s[4:5]
	s_cbranch_execz .LBB34_1800
.LBB34_1799:
	v_and_b32_e32 v19, 7, v8
	v_ffbh_u32_e32 v21, v19
	v_min_u32_e32 v21, 32, v21
	v_lshrrev_b16_e32 v20, 3, v8
	v_subrev_u32_e32 v22, 28, v21
	v_and_b32_e32 v20, 15, v20
	v_lshlrev_b32_e32 v22, v22, v8
	v_sub_u32_e32 v21, 29, v21
	v_and_b32_e32 v22, 7, v22
	v_cmp_eq_u16_e32 vcc, 0, v20
	v_cndmask_b32_e32 v19, v19, v22, vcc
	v_cndmask_b32_e32 v20, v20, v21, vcc
	v_lshlrev_b32_e32 v21, 24, v8
	v_mov_b32_e32 v22, 0x3b800000
	v_lshlrev_b32_e32 v19, 20, v19
	v_and_b32_e32 v21, 0x80000000, v21
	v_lshl_add_u32 v20, v20, 23, v22
	v_or3_b32 v19, v21, v20, v19
.LBB34_1800:
	s_or_b64 exec, exec, s[6:7]
	flat_load_dwordx4 a[0:3], v[16:17] offset:880
	s_movk_i32 s4, 0x7f
                                        ; implicit-def: $sgpr10
	s_waitcnt vmcnt(0) lgkmcnt(0)
	v_mfma_f32_16x16x4f32 a[0:3], v18, v19, a[0:3]
	v_lshrrev_b32_e32 v19, 8, v12
	v_cmp_gt_i16_sdwa s[6:7], v19, s4 src0_sel:BYTE_0 src1_sel:DWORD
	s_mov_b64 s[4:5], 0
	s_and_saveexec_b64 s[8:9], s[6:7]
	s_xor_b64 s[6:7], exec, s[8:9]
	s_cbranch_execnz .LBB34_3849
; %bb.1801:
	s_or_saveexec_b64 s[6:7], s[6:7]
	v_mov_b32_e32 v18, s10
	s_xor_b64 exec, exec, s[6:7]
	s_cbranch_execnz .LBB34_3852
.LBB34_1802:
	s_or_b64 exec, exec, s[6:7]
	s_and_saveexec_b64 s[6:7], s[4:5]
	s_cbranch_execz .LBB34_1804
.LBB34_1803:
	v_bfe_u32 v18, v12, 8, 3
	v_ffbh_u32_e32 v21, v18
	v_min_u32_e32 v21, 32, v21
	v_lshrrev_b16_e32 v20, 3, v19
	v_subrev_u32_e32 v22, 28, v21
	v_and_b32_e32 v20, 15, v20
	v_lshlrev_b32_e32 v19, v22, v19
	v_sub_u32_e32 v21, 29, v21
	v_and_b32_e32 v19, 7, v19
	v_cmp_eq_u16_e32 vcc, 0, v20
	v_cndmask_b32_e32 v18, v18, v19, vcc
	v_cndmask_b32_e32 v19, v20, v21, vcc
	v_lshlrev_b32_e32 v20, 16, v12
	v_mov_b32_e32 v21, 0x3b800000
	v_lshlrev_b32_e32 v18, 20, v18
	v_and_b32_e32 v20, 0x80000000, v20
	v_lshl_add_u32 v19, v19, 23, v21
	v_or3_b32 v18, v20, v19, v18
.LBB34_1804:
	s_or_b64 exec, exec, s[6:7]
	v_lshrrev_b32_e32 v19, 8, v8
	s_movk_i32 s4, 0x7f
	v_cmp_gt_i16_sdwa s[6:7], v19, s4 src0_sel:BYTE_0 src1_sel:DWORD
	s_mov_b64 s[4:5], 0
                                        ; implicit-def: $sgpr10
	s_and_saveexec_b64 s[8:9], s[6:7]
	s_xor_b64 s[6:7], exec, s[8:9]
	s_cbranch_execnz .LBB34_3853
; %bb.1805:
	s_or_saveexec_b64 s[6:7], s[6:7]
	v_mov_b32_e32 v20, s10
	s_xor_b64 exec, exec, s[6:7]
	s_cbranch_execnz .LBB34_3856
.LBB34_1806:
	s_or_b64 exec, exec, s[6:7]
	s_and_saveexec_b64 s[6:7], s[4:5]
	s_cbranch_execz .LBB34_1808
.LBB34_1807:
	v_bfe_u32 v20, v8, 8, 3
	v_ffbh_u32_e32 v22, v20
	v_min_u32_e32 v22, 32, v22
	v_lshrrev_b16_e32 v21, 3, v19
	v_subrev_u32_e32 v23, 28, v22
	v_and_b32_e32 v21, 15, v21
	v_lshlrev_b32_e32 v19, v23, v19
	v_sub_u32_e32 v22, 29, v22
	v_and_b32_e32 v19, 7, v19
	v_cmp_eq_u16_e32 vcc, 0, v21
	v_cndmask_b32_e32 v19, v20, v19, vcc
	v_cndmask_b32_e32 v20, v21, v22, vcc
	v_lshlrev_b32_e32 v21, 16, v8
	v_mov_b32_e32 v22, 0x3b800000
	v_lshlrev_b32_e32 v19, 20, v19
	v_and_b32_e32 v21, 0x80000000, v21
	v_lshl_add_u32 v20, v20, 23, v22
	v_or3_b32 v20, v21, v20, v19
.LBB34_1808:
	s_or_b64 exec, exec, s[6:7]
	s_nop 0
	v_mfma_f32_16x16x4f32 a[0:3], v18, v20, a[0:3]
	s_movk_i32 s4, 0xff
	v_and_b32_sdwa v19, v12, s4 dst_sel:DWORD dst_unused:UNUSED_PAD src0_sel:WORD_1 src1_sel:DWORD
	s_movk_i32 s4, 0x7f
	v_cmp_lt_i16_e32 vcc, s4, v19
	s_mov_b64 s[4:5], 0
                                        ; implicit-def: $sgpr10
	s_and_saveexec_b64 s[6:7], vcc
	s_xor_b64 s[6:7], exec, s[6:7]
	s_cbranch_execnz .LBB34_3857
; %bb.1809:
	s_or_saveexec_b64 s[6:7], s[6:7]
	v_mov_b32_e32 v18, s10
	s_xor_b64 exec, exec, s[6:7]
	s_cbranch_execnz .LBB34_3860
.LBB34_1810:
	s_or_b64 exec, exec, s[6:7]
	s_and_saveexec_b64 s[6:7], s[4:5]
	s_cbranch_execz .LBB34_1812
.LBB34_1811:
	v_bfe_u32 v18, v12, 16, 3
	v_ffbh_u32_e32 v21, v18
	v_min_u32_e32 v21, 32, v21
	v_lshrrev_b32_e32 v19, 19, v12
	v_subrev_u32_e32 v22, 28, v21
	v_and_b32_e32 v19, 15, v19
	v_lshlrev_b32_sdwa v22, v22, v12 dst_sel:DWORD dst_unused:UNUSED_PAD src0_sel:DWORD src1_sel:WORD_1
	v_bfe_u32 v20, v12, 19, 4
	v_sub_u32_e32 v21, 29, v21
	v_and_b32_e32 v22, 7, v22
	v_cmp_eq_u16_e32 vcc, 0, v19
	v_cndmask_b32_e32 v18, v18, v22, vcc
	v_cndmask_b32_e32 v19, v20, v21, vcc
	v_lshlrev_b32_e32 v20, 8, v12
	v_mov_b32_e32 v21, 0x3b800000
	v_lshlrev_b32_e32 v18, 20, v18
	v_and_b32_e32 v20, 0x80000000, v20
	v_lshl_add_u32 v19, v19, 23, v21
	v_or3_b32 v18, v20, v19, v18
.LBB34_1812:
	s_or_b64 exec, exec, s[6:7]
	s_movk_i32 s4, 0xff
	v_and_b32_sdwa v19, v8, s4 dst_sel:DWORD dst_unused:UNUSED_PAD src0_sel:WORD_1 src1_sel:DWORD
	s_movk_i32 s4, 0x7f
	v_cmp_lt_i16_e32 vcc, s4, v19
	s_mov_b64 s[4:5], 0
                                        ; implicit-def: $sgpr10
	s_and_saveexec_b64 s[6:7], vcc
	s_xor_b64 s[6:7], exec, s[6:7]
	s_cbranch_execnz .LBB34_3861
; %bb.1813:
	s_or_saveexec_b64 s[6:7], s[6:7]
	v_mov_b32_e32 v20, s10
	s_xor_b64 exec, exec, s[6:7]
	s_cbranch_execnz .LBB34_3864
.LBB34_1814:
	s_or_b64 exec, exec, s[6:7]
	s_and_saveexec_b64 s[6:7], s[4:5]
	s_cbranch_execz .LBB34_1816
.LBB34_1815:
	v_bfe_u32 v19, v8, 16, 3
	v_ffbh_u32_e32 v22, v19
	v_min_u32_e32 v22, 32, v22
	v_lshrrev_b32_e32 v20, 19, v8
	v_subrev_u32_e32 v23, 28, v22
	v_and_b32_e32 v20, 15, v20
	v_lshlrev_b32_sdwa v23, v23, v8 dst_sel:DWORD dst_unused:UNUSED_PAD src0_sel:DWORD src1_sel:WORD_1
	v_bfe_u32 v21, v8, 19, 4
	v_sub_u32_e32 v22, 29, v22
	v_and_b32_e32 v23, 7, v23
	v_cmp_eq_u16_e32 vcc, 0, v20
	v_cndmask_b32_e32 v19, v19, v23, vcc
	v_cndmask_b32_e32 v20, v21, v22, vcc
	v_lshlrev_b32_e32 v21, 8, v8
	v_mov_b32_e32 v22, 0x3b800000
	v_lshlrev_b32_e32 v19, 20, v19
	v_and_b32_e32 v21, 0x80000000, v21
	v_lshl_add_u32 v20, v20, 23, v22
	v_or3_b32 v20, v21, v20, v19
.LBB34_1816:
	s_or_b64 exec, exec, s[6:7]
	s_nop 0
	v_mfma_f32_16x16x4f32 a[0:3], v18, v20, a[0:3]
	s_movk_i32 s4, 0x7f
	v_cmp_gt_i16_sdwa s[6:7], v12, s4 src0_sel:BYTE_3 src1_sel:DWORD
	s_mov_b64 s[4:5], 0
                                        ; implicit-def: $sgpr10
	s_and_saveexec_b64 s[8:9], s[6:7]
	s_xor_b64 s[6:7], exec, s[8:9]
	s_cbranch_execnz .LBB34_3865
; %bb.1817:
	s_or_saveexec_b64 s[6:7], s[6:7]
	v_mov_b32_e32 v18, s10
	s_xor_b64 exec, exec, s[6:7]
	s_cbranch_execnz .LBB34_3868
.LBB34_1818:
	s_or_b64 exec, exec, s[6:7]
	s_and_saveexec_b64 s[6:7], s[4:5]
	s_cbranch_execz .LBB34_1820
.LBB34_1819:
	v_bfe_u32 v18, v12, 24, 3
	v_ffbh_u32_e32 v22, v18
	v_min_u32_e32 v22, 32, v22
	v_lshrrev_b32_e32 v20, 27, v12
	v_subrev_u32_e32 v23, 28, v22
	v_and_b32_e32 v19, 0x80000000, v12
	v_and_b32_e32 v20, 15, v20
	v_bfe_u32 v21, v12, 27, 4
	v_lshlrev_b32_sdwa v12, v23, v12 dst_sel:DWORD dst_unused:UNUSED_PAD src0_sel:DWORD src1_sel:BYTE_3
	v_sub_u32_e32 v22, 29, v22
	v_and_b32_e32 v12, 7, v12
	v_cmp_eq_u16_e32 vcc, 0, v20
	v_cndmask_b32_e32 v12, v18, v12, vcc
	v_cndmask_b32_e32 v18, v21, v22, vcc
	v_mov_b32_e32 v20, 0x3b800000
	v_lshlrev_b32_e32 v12, 20, v12
	v_lshl_add_u32 v18, v18, 23, v20
	v_or3_b32 v18, v19, v18, v12
.LBB34_1820:
	s_or_b64 exec, exec, s[6:7]
	s_movk_i32 s4, 0x7f
	v_cmp_gt_i16_sdwa s[6:7], v8, s4 src0_sel:BYTE_3 src1_sel:DWORD
	s_mov_b64 s[4:5], 0
                                        ; implicit-def: $sgpr10
	s_and_saveexec_b64 s[8:9], s[6:7]
	s_xor_b64 s[6:7], exec, s[8:9]
	s_cbranch_execnz .LBB34_3869
; %bb.1821:
	s_or_saveexec_b64 s[6:7], s[6:7]
	v_mov_b32_e32 v12, s10
	s_xor_b64 exec, exec, s[6:7]
	s_cbranch_execnz .LBB34_3872
.LBB34_1822:
	s_or_b64 exec, exec, s[6:7]
	s_and_saveexec_b64 s[6:7], s[4:5]
	s_cbranch_execz .LBB34_1824
.LBB34_1823:
	v_bfe_u32 v12, v8, 24, 3
	v_ffbh_u32_e32 v22, v12
	v_min_u32_e32 v22, 32, v22
	v_lshrrev_b32_e32 v20, 27, v8
	v_subrev_u32_e32 v23, 28, v22
	v_and_b32_e32 v19, 0x80000000, v8
	v_and_b32_e32 v20, 15, v20
	v_bfe_u32 v21, v8, 27, 4
	v_lshlrev_b32_sdwa v8, v23, v8 dst_sel:DWORD dst_unused:UNUSED_PAD src0_sel:DWORD src1_sel:BYTE_3
	v_sub_u32_e32 v22, 29, v22
	v_and_b32_e32 v8, 7, v8
	v_cmp_eq_u16_e32 vcc, 0, v20
	v_cndmask_b32_e32 v8, v12, v8, vcc
	v_cndmask_b32_e32 v12, v21, v22, vcc
	v_mov_b32_e32 v20, 0x3b800000
	v_lshlrev_b32_e32 v8, 20, v8
	v_lshl_add_u32 v12, v12, 23, v20
	v_or3_b32 v12, v19, v12, v8
.LBB34_1824:
	s_or_b64 exec, exec, s[6:7]
	s_nop 0
	v_mfma_f32_16x16x4f32 a[0:3], v18, v12, a[0:3]
	s_movk_i32 s4, 0x7f
	v_cmp_gt_i16_sdwa s[6:7], v13, s4 src0_sel:BYTE_0 src1_sel:DWORD
	s_mov_b64 s[4:5], 0
                                        ; implicit-def: $sgpr10
	s_and_saveexec_b64 s[8:9], s[6:7]
	s_xor_b64 s[6:7], exec, s[8:9]
	s_cbranch_execnz .LBB34_3873
; %bb.1825:
	s_or_saveexec_b64 s[6:7], s[6:7]
	v_mov_b32_e32 v8, s10
	s_xor_b64 exec, exec, s[6:7]
	s_cbranch_execnz .LBB34_3876
.LBB34_1826:
	s_or_b64 exec, exec, s[6:7]
	s_and_saveexec_b64 s[6:7], s[4:5]
	s_cbranch_execz .LBB34_1828
.LBB34_1827:
	v_and_b32_e32 v8, 7, v13
	v_ffbh_u32_e32 v18, v8
	v_min_u32_e32 v18, 32, v18
	v_lshrrev_b16_e32 v12, 3, v13
	v_subrev_u32_e32 v19, 28, v18
	v_and_b32_e32 v12, 15, v12
	v_lshlrev_b32_e32 v19, v19, v13
	v_sub_u32_e32 v18, 29, v18
	v_and_b32_e32 v19, 7, v19
	v_cmp_eq_u16_e32 vcc, 0, v12
	v_cndmask_b32_e32 v8, v8, v19, vcc
	v_cndmask_b32_e32 v12, v12, v18, vcc
	v_lshlrev_b32_e32 v18, 24, v13
	v_mov_b32_e32 v19, 0x3b800000
	v_lshlrev_b32_e32 v8, 20, v8
	v_and_b32_e32 v18, 0x80000000, v18
	v_lshl_add_u32 v12, v12, 23, v19
	v_or3_b32 v8, v18, v12, v8
.LBB34_1828:
	s_or_b64 exec, exec, s[6:7]
	s_movk_i32 s4, 0x7f
	v_cmp_gt_i16_sdwa s[6:7], v9, s4 src0_sel:BYTE_0 src1_sel:DWORD
	s_mov_b64 s[4:5], 0
                                        ; implicit-def: $sgpr10
	s_and_saveexec_b64 s[8:9], s[6:7]
	s_xor_b64 s[6:7], exec, s[8:9]
	s_cbranch_execnz .LBB34_3877
; %bb.1829:
	s_or_saveexec_b64 s[6:7], s[6:7]
	v_mov_b32_e32 v12, s10
	s_xor_b64 exec, exec, s[6:7]
	s_cbranch_execnz .LBB34_3880
.LBB34_1830:
	s_or_b64 exec, exec, s[6:7]
	s_and_saveexec_b64 s[6:7], s[4:5]
	s_cbranch_execz .LBB34_1832
.LBB34_1831:
	v_and_b32_e32 v12, 7, v9
	v_ffbh_u32_e32 v19, v12
	v_min_u32_e32 v19, 32, v19
	v_lshrrev_b16_e32 v18, 3, v9
	v_subrev_u32_e32 v20, 28, v19
	v_and_b32_e32 v18, 15, v18
	v_lshlrev_b32_e32 v20, v20, v9
	v_sub_u32_e32 v19, 29, v19
	v_and_b32_e32 v20, 7, v20
	v_cmp_eq_u16_e32 vcc, 0, v18
	v_cndmask_b32_e32 v12, v12, v20, vcc
	v_cndmask_b32_e32 v18, v18, v19, vcc
	v_lshlrev_b32_e32 v19, 24, v9
	v_mov_b32_e32 v20, 0x3b800000
	v_lshlrev_b32_e32 v12, 20, v12
	v_and_b32_e32 v19, 0x80000000, v19
	v_lshl_add_u32 v18, v18, 23, v20
	v_or3_b32 v12, v19, v18, v12
.LBB34_1832:
	s_or_b64 exec, exec, s[6:7]
	s_nop 0
	v_mfma_f32_16x16x4f32 a[0:3], v8, v12, a[0:3]
	v_lshrrev_b32_e32 v12, 8, v13
	s_movk_i32 s4, 0x7f
	v_cmp_gt_i16_sdwa s[6:7], v12, s4 src0_sel:BYTE_0 src1_sel:DWORD
	s_mov_b64 s[4:5], 0
                                        ; implicit-def: $sgpr10
	s_and_saveexec_b64 s[8:9], s[6:7]
	s_xor_b64 s[6:7], exec, s[8:9]
	s_cbranch_execnz .LBB34_3881
; %bb.1833:
	s_or_saveexec_b64 s[6:7], s[6:7]
	v_mov_b32_e32 v8, s10
	s_xor_b64 exec, exec, s[6:7]
	s_cbranch_execnz .LBB34_3884
.LBB34_1834:
	s_or_b64 exec, exec, s[6:7]
	s_and_saveexec_b64 s[6:7], s[4:5]
	s_cbranch_execz .LBB34_1836
.LBB34_1835:
	v_bfe_u32 v8, v13, 8, 3
	v_ffbh_u32_e32 v19, v8
	v_min_u32_e32 v19, 32, v19
	v_lshrrev_b16_e32 v18, 3, v12
	v_subrev_u32_e32 v20, 28, v19
	v_and_b32_e32 v18, 15, v18
	v_lshlrev_b32_e32 v12, v20, v12
	v_sub_u32_e32 v19, 29, v19
	v_and_b32_e32 v12, 7, v12
	v_cmp_eq_u16_e32 vcc, 0, v18
	v_cndmask_b32_e32 v8, v8, v12, vcc
	v_cndmask_b32_e32 v12, v18, v19, vcc
	v_lshlrev_b32_e32 v18, 16, v13
	v_mov_b32_e32 v19, 0x3b800000
	v_lshlrev_b32_e32 v8, 20, v8
	v_and_b32_e32 v18, 0x80000000, v18
	v_lshl_add_u32 v12, v12, 23, v19
	v_or3_b32 v8, v18, v12, v8
.LBB34_1836:
	s_or_b64 exec, exec, s[6:7]
	v_lshrrev_b32_e32 v12, 8, v9
	s_movk_i32 s4, 0x7f
	v_cmp_gt_i16_sdwa s[6:7], v12, s4 src0_sel:BYTE_0 src1_sel:DWORD
	s_mov_b64 s[4:5], 0
                                        ; implicit-def: $sgpr10
	s_and_saveexec_b64 s[8:9], s[6:7]
	s_xor_b64 s[6:7], exec, s[8:9]
	s_cbranch_execnz .LBB34_3885
; %bb.1837:
	s_or_saveexec_b64 s[6:7], s[6:7]
	v_mov_b32_e32 v18, s10
	s_xor_b64 exec, exec, s[6:7]
	s_cbranch_execnz .LBB34_3888
.LBB34_1838:
	s_or_b64 exec, exec, s[6:7]
	s_and_saveexec_b64 s[6:7], s[4:5]
	s_cbranch_execz .LBB34_1840
.LBB34_1839:
	v_bfe_u32 v18, v9, 8, 3
	v_ffbh_u32_e32 v20, v18
	v_min_u32_e32 v20, 32, v20
	v_lshrrev_b16_e32 v19, 3, v12
	v_subrev_u32_e32 v21, 28, v20
	v_and_b32_e32 v19, 15, v19
	v_lshlrev_b32_e32 v12, v21, v12
	v_sub_u32_e32 v20, 29, v20
	v_and_b32_e32 v12, 7, v12
	v_cmp_eq_u16_e32 vcc, 0, v19
	v_cndmask_b32_e32 v12, v18, v12, vcc
	v_cndmask_b32_e32 v18, v19, v20, vcc
	v_lshlrev_b32_e32 v19, 16, v9
	v_mov_b32_e32 v20, 0x3b800000
	v_lshlrev_b32_e32 v12, 20, v12
	v_and_b32_e32 v19, 0x80000000, v19
	v_lshl_add_u32 v18, v18, 23, v20
	v_or3_b32 v18, v19, v18, v12
.LBB34_1840:
	s_or_b64 exec, exec, s[6:7]
	s_nop 0
	v_mfma_f32_16x16x4f32 a[0:3], v8, v18, a[0:3]
	s_movk_i32 s4, 0xff
	v_and_b32_sdwa v12, v13, s4 dst_sel:DWORD dst_unused:UNUSED_PAD src0_sel:WORD_1 src1_sel:DWORD
	s_movk_i32 s4, 0x7f
	v_cmp_lt_i16_e32 vcc, s4, v12
	s_mov_b64 s[4:5], 0
                                        ; implicit-def: $sgpr10
	s_and_saveexec_b64 s[6:7], vcc
	s_xor_b64 s[6:7], exec, s[6:7]
	s_cbranch_execnz .LBB34_3889
; %bb.1841:
	s_or_saveexec_b64 s[6:7], s[6:7]
	v_mov_b32_e32 v8, s10
	s_xor_b64 exec, exec, s[6:7]
	s_cbranch_execnz .LBB34_3892
.LBB34_1842:
	s_or_b64 exec, exec, s[6:7]
	s_and_saveexec_b64 s[6:7], s[4:5]
	s_cbranch_execz .LBB34_1844
.LBB34_1843:
	v_bfe_u32 v8, v13, 16, 3
	v_ffbh_u32_e32 v19, v8
	v_min_u32_e32 v19, 32, v19
	v_lshrrev_b32_e32 v12, 19, v13
	v_subrev_u32_e32 v20, 28, v19
	v_and_b32_e32 v12, 15, v12
	v_lshlrev_b32_sdwa v20, v20, v13 dst_sel:DWORD dst_unused:UNUSED_PAD src0_sel:DWORD src1_sel:WORD_1
	v_bfe_u32 v18, v13, 19, 4
	v_sub_u32_e32 v19, 29, v19
	v_and_b32_e32 v20, 7, v20
	v_cmp_eq_u16_e32 vcc, 0, v12
	v_cndmask_b32_e32 v8, v8, v20, vcc
	v_cndmask_b32_e32 v12, v18, v19, vcc
	v_lshlrev_b32_e32 v18, 8, v13
	v_mov_b32_e32 v19, 0x3b800000
	v_lshlrev_b32_e32 v8, 20, v8
	v_and_b32_e32 v18, 0x80000000, v18
	v_lshl_add_u32 v12, v12, 23, v19
	v_or3_b32 v8, v18, v12, v8
.LBB34_1844:
	s_or_b64 exec, exec, s[6:7]
	s_movk_i32 s4, 0xff
	v_and_b32_sdwa v12, v9, s4 dst_sel:DWORD dst_unused:UNUSED_PAD src0_sel:WORD_1 src1_sel:DWORD
	s_movk_i32 s4, 0x7f
	v_cmp_lt_i16_e32 vcc, s4, v12
	s_mov_b64 s[4:5], 0
                                        ; implicit-def: $sgpr10
	s_and_saveexec_b64 s[6:7], vcc
	s_xor_b64 s[6:7], exec, s[6:7]
	s_cbranch_execnz .LBB34_3893
; %bb.1845:
	s_or_saveexec_b64 s[6:7], s[6:7]
	v_mov_b32_e32 v18, s10
	s_xor_b64 exec, exec, s[6:7]
	s_cbranch_execnz .LBB34_3896
.LBB34_1846:
	s_or_b64 exec, exec, s[6:7]
	s_and_saveexec_b64 s[6:7], s[4:5]
	s_cbranch_execz .LBB34_1848
.LBB34_1847:
	v_bfe_u32 v12, v9, 16, 3
	v_ffbh_u32_e32 v20, v12
	v_min_u32_e32 v20, 32, v20
	v_lshrrev_b32_e32 v18, 19, v9
	v_subrev_u32_e32 v21, 28, v20
	v_and_b32_e32 v18, 15, v18
	v_lshlrev_b32_sdwa v21, v21, v9 dst_sel:DWORD dst_unused:UNUSED_PAD src0_sel:DWORD src1_sel:WORD_1
	v_bfe_u32 v19, v9, 19, 4
	v_sub_u32_e32 v20, 29, v20
	v_and_b32_e32 v21, 7, v21
	v_cmp_eq_u16_e32 vcc, 0, v18
	v_cndmask_b32_e32 v12, v12, v21, vcc
	v_cndmask_b32_e32 v18, v19, v20, vcc
	v_lshlrev_b32_e32 v19, 8, v9
	v_mov_b32_e32 v20, 0x3b800000
	v_lshlrev_b32_e32 v12, 20, v12
	v_and_b32_e32 v19, 0x80000000, v19
	v_lshl_add_u32 v18, v18, 23, v20
	v_or3_b32 v18, v19, v18, v12
.LBB34_1848:
	s_or_b64 exec, exec, s[6:7]
	s_nop 0
	v_mfma_f32_16x16x4f32 a[0:3], v8, v18, a[0:3]
	s_movk_i32 s4, 0x7f
	v_cmp_gt_i16_sdwa s[6:7], v13, s4 src0_sel:BYTE_3 src1_sel:DWORD
	s_mov_b64 s[4:5], 0
                                        ; implicit-def: $sgpr10
	s_and_saveexec_b64 s[8:9], s[6:7]
	s_xor_b64 s[6:7], exec, s[8:9]
	s_cbranch_execnz .LBB34_3897
; %bb.1849:
	s_or_saveexec_b64 s[6:7], s[6:7]
	v_mov_b32_e32 v8, s10
	s_xor_b64 exec, exec, s[6:7]
	s_cbranch_execnz .LBB34_3900
.LBB34_1850:
	s_or_b64 exec, exec, s[6:7]
	s_and_saveexec_b64 s[6:7], s[4:5]
	s_cbranch_execz .LBB34_1852
.LBB34_1851:
	v_bfe_u32 v8, v13, 24, 3
	v_ffbh_u32_e32 v20, v8
	v_min_u32_e32 v20, 32, v20
	v_lshrrev_b32_e32 v18, 27, v13
	v_subrev_u32_e32 v21, 28, v20
	v_and_b32_e32 v12, 0x80000000, v13
	v_and_b32_e32 v18, 15, v18
	v_bfe_u32 v19, v13, 27, 4
	v_lshlrev_b32_sdwa v13, v21, v13 dst_sel:DWORD dst_unused:UNUSED_PAD src0_sel:DWORD src1_sel:BYTE_3
	v_sub_u32_e32 v20, 29, v20
	v_and_b32_e32 v13, 7, v13
	v_cmp_eq_u16_e32 vcc, 0, v18
	v_cndmask_b32_e32 v8, v8, v13, vcc
	v_cndmask_b32_e32 v13, v19, v20, vcc
	v_mov_b32_e32 v18, 0x3b800000
	v_lshlrev_b32_e32 v8, 20, v8
	v_lshl_add_u32 v13, v13, 23, v18
	v_or3_b32 v8, v12, v13, v8
.LBB34_1852:
	s_or_b64 exec, exec, s[6:7]
	s_movk_i32 s4, 0x7f
	v_cmp_gt_i16_sdwa s[6:7], v9, s4 src0_sel:BYTE_3 src1_sel:DWORD
	s_mov_b64 s[4:5], 0
                                        ; implicit-def: $sgpr10
	s_and_saveexec_b64 s[8:9], s[6:7]
	s_xor_b64 s[6:7], exec, s[8:9]
	s_cbranch_execnz .LBB34_3901
; %bb.1853:
	s_or_saveexec_b64 s[6:7], s[6:7]
	v_mov_b32_e32 v12, s10
	s_xor_b64 exec, exec, s[6:7]
	s_cbranch_execnz .LBB34_3904
.LBB34_1854:
	s_or_b64 exec, exec, s[6:7]
	s_and_saveexec_b64 s[6:7], s[4:5]
	s_cbranch_execz .LBB34_1856
.LBB34_1855:
	v_bfe_u32 v12, v9, 24, 3
	v_ffbh_u32_e32 v20, v12
	v_min_u32_e32 v20, 32, v20
	v_lshrrev_b32_e32 v18, 27, v9
	v_subrev_u32_e32 v21, 28, v20
	v_and_b32_e32 v13, 0x80000000, v9
	v_and_b32_e32 v18, 15, v18
	v_bfe_u32 v19, v9, 27, 4
	v_lshlrev_b32_sdwa v9, v21, v9 dst_sel:DWORD dst_unused:UNUSED_PAD src0_sel:DWORD src1_sel:BYTE_3
	v_sub_u32_e32 v20, 29, v20
	v_and_b32_e32 v9, 7, v9
	v_cmp_eq_u16_e32 vcc, 0, v18
	v_cndmask_b32_e32 v9, v12, v9, vcc
	v_cndmask_b32_e32 v12, v19, v20, vcc
	v_mov_b32_e32 v18, 0x3b800000
	v_lshlrev_b32_e32 v9, 20, v9
	v_lshl_add_u32 v12, v12, 23, v18
	v_or3_b32 v12, v13, v12, v9
.LBB34_1856:
	s_or_b64 exec, exec, s[6:7]
	s_nop 0
	v_mfma_f32_16x16x4f32 a[0:3], v8, v12, a[0:3]
	s_movk_i32 s4, 0x7f
	v_cmp_gt_i16_sdwa s[6:7], v14, s4 src0_sel:BYTE_0 src1_sel:DWORD
	s_mov_b64 s[4:5], 0
                                        ; implicit-def: $sgpr10
	s_and_saveexec_b64 s[8:9], s[6:7]
	s_xor_b64 s[6:7], exec, s[8:9]
	s_cbranch_execnz .LBB34_3905
; %bb.1857:
	s_or_saveexec_b64 s[6:7], s[6:7]
	v_mov_b32_e32 v8, s10
	s_xor_b64 exec, exec, s[6:7]
	s_cbranch_execnz .LBB34_3908
.LBB34_1858:
	s_or_b64 exec, exec, s[6:7]
	s_and_saveexec_b64 s[6:7], s[4:5]
	s_cbranch_execz .LBB34_1860
.LBB34_1859:
	v_and_b32_e32 v8, 7, v14
	v_ffbh_u32_e32 v12, v8
	v_min_u32_e32 v12, 32, v12
	v_lshrrev_b16_e32 v9, 3, v14
	v_subrev_u32_e32 v13, 28, v12
	v_and_b32_e32 v9, 15, v9
	v_lshlrev_b32_e32 v13, v13, v14
	v_sub_u32_e32 v12, 29, v12
	v_and_b32_e32 v13, 7, v13
	v_cmp_eq_u16_e32 vcc, 0, v9
	v_cndmask_b32_e32 v8, v8, v13, vcc
	v_cndmask_b32_e32 v9, v9, v12, vcc
	v_lshlrev_b32_e32 v12, 24, v14
	v_mov_b32_e32 v13, 0x3b800000
	v_lshlrev_b32_e32 v8, 20, v8
	v_and_b32_e32 v12, 0x80000000, v12
	v_lshl_add_u32 v9, v9, 23, v13
	v_or3_b32 v8, v12, v9, v8
.LBB34_1860:
	s_or_b64 exec, exec, s[6:7]
	s_movk_i32 s4, 0x7f
	v_cmp_gt_i16_sdwa s[6:7], v10, s4 src0_sel:BYTE_0 src1_sel:DWORD
	s_mov_b64 s[4:5], 0
                                        ; implicit-def: $sgpr10
	s_and_saveexec_b64 s[8:9], s[6:7]
	s_xor_b64 s[6:7], exec, s[8:9]
	s_cbranch_execnz .LBB34_3909
; %bb.1861:
	s_or_saveexec_b64 s[6:7], s[6:7]
	v_mov_b32_e32 v9, s10
	s_xor_b64 exec, exec, s[6:7]
	s_cbranch_execnz .LBB34_3912
.LBB34_1862:
	s_or_b64 exec, exec, s[6:7]
	s_and_saveexec_b64 s[6:7], s[4:5]
	s_cbranch_execz .LBB34_1864
.LBB34_1863:
	v_and_b32_e32 v9, 7, v10
	v_ffbh_u32_e32 v13, v9
	v_min_u32_e32 v13, 32, v13
	v_lshrrev_b16_e32 v12, 3, v10
	v_subrev_u32_e32 v18, 28, v13
	v_and_b32_e32 v12, 15, v12
	v_lshlrev_b32_e32 v18, v18, v10
	v_sub_u32_e32 v13, 29, v13
	v_and_b32_e32 v18, 7, v18
	v_cmp_eq_u16_e32 vcc, 0, v12
	v_cndmask_b32_e32 v9, v9, v18, vcc
	v_cndmask_b32_e32 v12, v12, v13, vcc
	v_lshlrev_b32_e32 v13, 24, v10
	v_mov_b32_e32 v18, 0x3b800000
	v_lshlrev_b32_e32 v9, 20, v9
	v_and_b32_e32 v13, 0x80000000, v13
	v_lshl_add_u32 v12, v12, 23, v18
	v_or3_b32 v9, v13, v12, v9
.LBB34_1864:
	s_or_b64 exec, exec, s[6:7]
	s_nop 0
	v_mfma_f32_16x16x4f32 a[0:3], v8, v9, a[0:3]
	v_lshrrev_b32_e32 v9, 8, v14
	s_movk_i32 s4, 0x7f
	v_cmp_gt_i16_sdwa s[6:7], v9, s4 src0_sel:BYTE_0 src1_sel:DWORD
	s_mov_b64 s[4:5], 0
                                        ; implicit-def: $sgpr10
	s_and_saveexec_b64 s[8:9], s[6:7]
	s_xor_b64 s[6:7], exec, s[8:9]
	s_cbranch_execnz .LBB34_3913
; %bb.1865:
	s_or_saveexec_b64 s[6:7], s[6:7]
	v_mov_b32_e32 v8, s10
	s_xor_b64 exec, exec, s[6:7]
	s_cbranch_execnz .LBB34_3916
.LBB34_1866:
	s_or_b64 exec, exec, s[6:7]
	s_and_saveexec_b64 s[6:7], s[4:5]
	s_cbranch_execz .LBB34_1868
.LBB34_1867:
	v_bfe_u32 v8, v14, 8, 3
	v_ffbh_u32_e32 v13, v8
	v_min_u32_e32 v13, 32, v13
	v_lshrrev_b16_e32 v12, 3, v9
	v_subrev_u32_e32 v18, 28, v13
	v_and_b32_e32 v12, 15, v12
	v_lshlrev_b32_e32 v9, v18, v9
	v_sub_u32_e32 v13, 29, v13
	v_and_b32_e32 v9, 7, v9
	v_cmp_eq_u16_e32 vcc, 0, v12
	v_cndmask_b32_e32 v8, v8, v9, vcc
	v_cndmask_b32_e32 v9, v12, v13, vcc
	v_lshlrev_b32_e32 v12, 16, v14
	v_mov_b32_e32 v13, 0x3b800000
	v_lshlrev_b32_e32 v8, 20, v8
	v_and_b32_e32 v12, 0x80000000, v12
	v_lshl_add_u32 v9, v9, 23, v13
	v_or3_b32 v8, v12, v9, v8
.LBB34_1868:
	s_or_b64 exec, exec, s[6:7]
	v_lshrrev_b32_e32 v9, 8, v10
	s_movk_i32 s4, 0x7f
	v_cmp_gt_i16_sdwa s[6:7], v9, s4 src0_sel:BYTE_0 src1_sel:DWORD
	s_mov_b64 s[4:5], 0
                                        ; implicit-def: $sgpr10
	s_and_saveexec_b64 s[8:9], s[6:7]
	s_xor_b64 s[6:7], exec, s[8:9]
	s_cbranch_execnz .LBB34_3917
; %bb.1869:
	s_or_saveexec_b64 s[6:7], s[6:7]
	v_mov_b32_e32 v12, s10
	s_xor_b64 exec, exec, s[6:7]
	s_cbranch_execnz .LBB34_3920
.LBB34_1870:
	s_or_b64 exec, exec, s[6:7]
	s_and_saveexec_b64 s[6:7], s[4:5]
	s_cbranch_execz .LBB34_1872
.LBB34_1871:
	v_bfe_u32 v12, v10, 8, 3
	v_ffbh_u32_e32 v18, v12
	v_min_u32_e32 v18, 32, v18
	v_lshrrev_b16_e32 v13, 3, v9
	v_subrev_u32_e32 v19, 28, v18
	v_and_b32_e32 v13, 15, v13
	v_lshlrev_b32_e32 v9, v19, v9
	v_sub_u32_e32 v18, 29, v18
	v_and_b32_e32 v9, 7, v9
	v_cmp_eq_u16_e32 vcc, 0, v13
	v_cndmask_b32_e32 v9, v12, v9, vcc
	v_cndmask_b32_e32 v12, v13, v18, vcc
	v_lshlrev_b32_e32 v13, 16, v10
	v_mov_b32_e32 v18, 0x3b800000
	v_lshlrev_b32_e32 v9, 20, v9
	v_and_b32_e32 v13, 0x80000000, v13
	v_lshl_add_u32 v12, v12, 23, v18
	v_or3_b32 v12, v13, v12, v9
.LBB34_1872:
	s_or_b64 exec, exec, s[6:7]
	s_nop 0
	v_mfma_f32_16x16x4f32 a[0:3], v8, v12, a[0:3]
	s_movk_i32 s4, 0xff
	v_and_b32_sdwa v9, v14, s4 dst_sel:DWORD dst_unused:UNUSED_PAD src0_sel:WORD_1 src1_sel:DWORD
	s_movk_i32 s4, 0x7f
	v_cmp_lt_i16_e32 vcc, s4, v9
	s_mov_b64 s[4:5], 0
                                        ; implicit-def: $sgpr10
	s_and_saveexec_b64 s[6:7], vcc
	s_xor_b64 s[6:7], exec, s[6:7]
	s_cbranch_execnz .LBB34_3921
; %bb.1873:
	s_or_saveexec_b64 s[6:7], s[6:7]
	v_mov_b32_e32 v8, s10
	s_xor_b64 exec, exec, s[6:7]
	s_cbranch_execnz .LBB34_3924
.LBB34_1874:
	s_or_b64 exec, exec, s[6:7]
	s_and_saveexec_b64 s[6:7], s[4:5]
	s_cbranch_execz .LBB34_1876
.LBB34_1875:
	v_bfe_u32 v8, v14, 16, 3
	v_ffbh_u32_e32 v13, v8
	v_min_u32_e32 v13, 32, v13
	v_lshrrev_b32_e32 v9, 19, v14
	v_subrev_u32_e32 v18, 28, v13
	v_and_b32_e32 v9, 15, v9
	v_lshlrev_b32_sdwa v18, v18, v14 dst_sel:DWORD dst_unused:UNUSED_PAD src0_sel:DWORD src1_sel:WORD_1
	v_bfe_u32 v12, v14, 19, 4
	v_sub_u32_e32 v13, 29, v13
	v_and_b32_e32 v18, 7, v18
	v_cmp_eq_u16_e32 vcc, 0, v9
	v_cndmask_b32_e32 v8, v8, v18, vcc
	v_cndmask_b32_e32 v9, v12, v13, vcc
	v_lshlrev_b32_e32 v12, 8, v14
	v_mov_b32_e32 v13, 0x3b800000
	v_lshlrev_b32_e32 v8, 20, v8
	v_and_b32_e32 v12, 0x80000000, v12
	v_lshl_add_u32 v9, v9, 23, v13
	v_or3_b32 v8, v12, v9, v8
.LBB34_1876:
	s_or_b64 exec, exec, s[6:7]
	s_movk_i32 s4, 0xff
	v_and_b32_sdwa v9, v10, s4 dst_sel:DWORD dst_unused:UNUSED_PAD src0_sel:WORD_1 src1_sel:DWORD
	s_movk_i32 s4, 0x7f
	v_cmp_lt_i16_e32 vcc, s4, v9
	s_mov_b64 s[4:5], 0
                                        ; implicit-def: $sgpr10
	s_and_saveexec_b64 s[6:7], vcc
	s_xor_b64 s[6:7], exec, s[6:7]
	s_cbranch_execnz .LBB34_3925
; %bb.1877:
	s_or_saveexec_b64 s[6:7], s[6:7]
	v_mov_b32_e32 v12, s10
	s_xor_b64 exec, exec, s[6:7]
	s_cbranch_execnz .LBB34_3928
.LBB34_1878:
	s_or_b64 exec, exec, s[6:7]
	s_and_saveexec_b64 s[6:7], s[4:5]
	s_cbranch_execz .LBB34_1880
.LBB34_1879:
	v_bfe_u32 v9, v10, 16, 3
	v_ffbh_u32_e32 v18, v9
	v_min_u32_e32 v18, 32, v18
	v_lshrrev_b32_e32 v12, 19, v10
	v_subrev_u32_e32 v19, 28, v18
	v_and_b32_e32 v12, 15, v12
	v_lshlrev_b32_sdwa v19, v19, v10 dst_sel:DWORD dst_unused:UNUSED_PAD src0_sel:DWORD src1_sel:WORD_1
	v_bfe_u32 v13, v10, 19, 4
	v_sub_u32_e32 v18, 29, v18
	v_and_b32_e32 v19, 7, v19
	v_cmp_eq_u16_e32 vcc, 0, v12
	v_cndmask_b32_e32 v9, v9, v19, vcc
	v_cndmask_b32_e32 v12, v13, v18, vcc
	v_lshlrev_b32_e32 v13, 8, v10
	v_mov_b32_e32 v18, 0x3b800000
	v_lshlrev_b32_e32 v9, 20, v9
	v_and_b32_e32 v13, 0x80000000, v13
	v_lshl_add_u32 v12, v12, 23, v18
	v_or3_b32 v12, v13, v12, v9
.LBB34_1880:
	s_or_b64 exec, exec, s[6:7]
	s_nop 0
	v_mfma_f32_16x16x4f32 a[0:3], v8, v12, a[0:3]
	s_movk_i32 s4, 0x7f
	v_cmp_gt_i16_sdwa s[6:7], v14, s4 src0_sel:BYTE_3 src1_sel:DWORD
	s_mov_b64 s[4:5], 0
                                        ; implicit-def: $sgpr10
	s_and_saveexec_b64 s[8:9], s[6:7]
	s_xor_b64 s[6:7], exec, s[8:9]
	s_cbranch_execnz .LBB34_3929
; %bb.1881:
	s_or_saveexec_b64 s[6:7], s[6:7]
	v_mov_b32_e32 v8, s10
	s_xor_b64 exec, exec, s[6:7]
	s_cbranch_execnz .LBB34_3932
.LBB34_1882:
	s_or_b64 exec, exec, s[6:7]
	s_and_saveexec_b64 s[6:7], s[4:5]
	s_cbranch_execz .LBB34_1884
.LBB34_1883:
	v_bfe_u32 v8, v14, 24, 3
	v_ffbh_u32_e32 v18, v8
	v_min_u32_e32 v18, 32, v18
	v_lshrrev_b32_e32 v12, 27, v14
	v_subrev_u32_e32 v19, 28, v18
	v_and_b32_e32 v9, 0x80000000, v14
	v_and_b32_e32 v12, 15, v12
	v_bfe_u32 v13, v14, 27, 4
	v_lshlrev_b32_sdwa v14, v19, v14 dst_sel:DWORD dst_unused:UNUSED_PAD src0_sel:DWORD src1_sel:BYTE_3
	v_sub_u32_e32 v18, 29, v18
	v_and_b32_e32 v14, 7, v14
	v_cmp_eq_u16_e32 vcc, 0, v12
	v_cndmask_b32_e32 v8, v8, v14, vcc
	v_cndmask_b32_e32 v12, v13, v18, vcc
	v_mov_b32_e32 v13, 0x3b800000
	v_lshlrev_b32_e32 v8, 20, v8
	v_lshl_add_u32 v12, v12, 23, v13
	v_or3_b32 v8, v9, v12, v8
.LBB34_1884:
	s_or_b64 exec, exec, s[6:7]
	s_movk_i32 s4, 0x7f
	v_cmp_gt_i16_sdwa s[6:7], v10, s4 src0_sel:BYTE_3 src1_sel:DWORD
	s_mov_b64 s[4:5], 0
                                        ; implicit-def: $sgpr10
	s_and_saveexec_b64 s[8:9], s[6:7]
	s_xor_b64 s[6:7], exec, s[8:9]
	s_cbranch_execnz .LBB34_3933
; %bb.1885:
	s_or_saveexec_b64 s[6:7], s[6:7]
	v_mov_b32_e32 v9, s10
	s_xor_b64 exec, exec, s[6:7]
	s_cbranch_execnz .LBB34_3936
.LBB34_1886:
	s_or_b64 exec, exec, s[6:7]
	s_and_saveexec_b64 s[6:7], s[4:5]
	s_cbranch_execz .LBB34_1888
.LBB34_1887:
	v_bfe_u32 v9, v10, 24, 3
	v_ffbh_u32_e32 v18, v9
	v_min_u32_e32 v18, 32, v18
	v_lshrrev_b32_e32 v13, 27, v10
	v_subrev_u32_e32 v19, 28, v18
	v_and_b32_e32 v12, 0x80000000, v10
	v_and_b32_e32 v13, 15, v13
	v_bfe_u32 v14, v10, 27, 4
	v_lshlrev_b32_sdwa v10, v19, v10 dst_sel:DWORD dst_unused:UNUSED_PAD src0_sel:DWORD src1_sel:BYTE_3
	v_sub_u32_e32 v18, 29, v18
	v_and_b32_e32 v10, 7, v10
	v_cmp_eq_u16_e32 vcc, 0, v13
	v_cndmask_b32_e32 v9, v9, v10, vcc
	v_cndmask_b32_e32 v10, v14, v18, vcc
	v_mov_b32_e32 v13, 0x3b800000
	v_lshlrev_b32_e32 v9, 20, v9
	v_lshl_add_u32 v10, v10, 23, v13
	v_or3_b32 v9, v12, v10, v9
.LBB34_1888:
	s_or_b64 exec, exec, s[6:7]
	s_nop 0
	v_mfma_f32_16x16x4f32 a[0:3], v8, v9, a[0:3]
	s_movk_i32 s4, 0x7f
	v_cmp_gt_i16_sdwa s[6:7], v15, s4 src0_sel:BYTE_0 src1_sel:DWORD
	s_mov_b64 s[4:5], 0
                                        ; implicit-def: $sgpr10
	s_and_saveexec_b64 s[8:9], s[6:7]
	s_xor_b64 s[6:7], exec, s[8:9]
	s_cbranch_execnz .LBB34_3937
; %bb.1889:
	s_or_saveexec_b64 s[6:7], s[6:7]
	v_mov_b32_e32 v8, s10
	s_xor_b64 exec, exec, s[6:7]
	s_cbranch_execnz .LBB34_3940
.LBB34_1890:
	s_or_b64 exec, exec, s[6:7]
	s_and_saveexec_b64 s[6:7], s[4:5]
	s_cbranch_execz .LBB34_1892
.LBB34_1891:
	v_and_b32_e32 v8, 7, v15
	v_ffbh_u32_e32 v10, v8
	v_min_u32_e32 v10, 32, v10
	v_lshrrev_b16_e32 v9, 3, v15
	v_subrev_u32_e32 v12, 28, v10
	v_and_b32_e32 v9, 15, v9
	v_lshlrev_b32_e32 v12, v12, v15
	v_sub_u32_e32 v10, 29, v10
	v_and_b32_e32 v12, 7, v12
	v_cmp_eq_u16_e32 vcc, 0, v9
	v_cndmask_b32_e32 v8, v8, v12, vcc
	v_cndmask_b32_e32 v9, v9, v10, vcc
	v_lshlrev_b32_e32 v10, 24, v15
	v_mov_b32_e32 v12, 0x3b800000
	v_lshlrev_b32_e32 v8, 20, v8
	v_and_b32_e32 v10, 0x80000000, v10
	v_lshl_add_u32 v9, v9, 23, v12
	v_or3_b32 v8, v10, v9, v8
.LBB34_1892:
	s_or_b64 exec, exec, s[6:7]
	s_movk_i32 s4, 0x7f
	v_cmp_gt_i16_sdwa s[6:7], v11, s4 src0_sel:BYTE_0 src1_sel:DWORD
	s_mov_b64 s[4:5], 0
                                        ; implicit-def: $sgpr10
	s_and_saveexec_b64 s[8:9], s[6:7]
	s_xor_b64 s[6:7], exec, s[8:9]
	s_cbranch_execnz .LBB34_3941
; %bb.1893:
	s_or_saveexec_b64 s[6:7], s[6:7]
	v_mov_b32_e32 v9, s10
	s_xor_b64 exec, exec, s[6:7]
	s_cbranch_execnz .LBB34_3944
.LBB34_1894:
	s_or_b64 exec, exec, s[6:7]
	s_and_saveexec_b64 s[6:7], s[4:5]
	s_cbranch_execz .LBB34_1896
.LBB34_1895:
	v_and_b32_e32 v9, 7, v11
	v_ffbh_u32_e32 v12, v9
	v_min_u32_e32 v12, 32, v12
	v_lshrrev_b16_e32 v10, 3, v11
	v_subrev_u32_e32 v13, 28, v12
	v_and_b32_e32 v10, 15, v10
	v_lshlrev_b32_e32 v13, v13, v11
	v_sub_u32_e32 v12, 29, v12
	v_and_b32_e32 v13, 7, v13
	v_cmp_eq_u16_e32 vcc, 0, v10
	v_cndmask_b32_e32 v9, v9, v13, vcc
	v_cndmask_b32_e32 v10, v10, v12, vcc
	v_lshlrev_b32_e32 v12, 24, v11
	v_mov_b32_e32 v13, 0x3b800000
	v_lshlrev_b32_e32 v9, 20, v9
	v_and_b32_e32 v12, 0x80000000, v12
	v_lshl_add_u32 v10, v10, 23, v13
	v_or3_b32 v9, v12, v10, v9
.LBB34_1896:
	s_or_b64 exec, exec, s[6:7]
	s_nop 0
	v_mfma_f32_16x16x4f32 a[0:3], v8, v9, a[0:3]
	v_lshrrev_b32_e32 v9, 8, v15
	s_movk_i32 s4, 0x7f
	v_cmp_gt_i16_sdwa s[6:7], v9, s4 src0_sel:BYTE_0 src1_sel:DWORD
	s_mov_b64 s[4:5], 0
                                        ; implicit-def: $sgpr10
	s_and_saveexec_b64 s[8:9], s[6:7]
	s_xor_b64 s[6:7], exec, s[8:9]
	s_cbranch_execnz .LBB34_3945
; %bb.1897:
	s_or_saveexec_b64 s[6:7], s[6:7]
	v_mov_b32_e32 v8, s10
	s_xor_b64 exec, exec, s[6:7]
	s_cbranch_execnz .LBB34_3948
.LBB34_1898:
	s_or_b64 exec, exec, s[6:7]
	s_and_saveexec_b64 s[6:7], s[4:5]
	s_cbranch_execz .LBB34_1900
.LBB34_1899:
	v_bfe_u32 v8, v15, 8, 3
	v_ffbh_u32_e32 v12, v8
	v_min_u32_e32 v12, 32, v12
	v_lshrrev_b16_e32 v10, 3, v9
	v_subrev_u32_e32 v13, 28, v12
	v_and_b32_e32 v10, 15, v10
	v_lshlrev_b32_e32 v9, v13, v9
	v_sub_u32_e32 v12, 29, v12
	v_and_b32_e32 v9, 7, v9
	v_cmp_eq_u16_e32 vcc, 0, v10
	v_cndmask_b32_e32 v8, v8, v9, vcc
	v_cndmask_b32_e32 v9, v10, v12, vcc
	v_lshlrev_b32_e32 v10, 16, v15
	v_mov_b32_e32 v12, 0x3b800000
	v_lshlrev_b32_e32 v8, 20, v8
	v_and_b32_e32 v10, 0x80000000, v10
	v_lshl_add_u32 v9, v9, 23, v12
	v_or3_b32 v8, v10, v9, v8
.LBB34_1900:
	s_or_b64 exec, exec, s[6:7]
	v_lshrrev_b32_e32 v9, 8, v11
	s_movk_i32 s4, 0x7f
	v_cmp_gt_i16_sdwa s[6:7], v9, s4 src0_sel:BYTE_0 src1_sel:DWORD
	s_mov_b64 s[4:5], 0
                                        ; implicit-def: $sgpr10
	s_and_saveexec_b64 s[8:9], s[6:7]
	s_xor_b64 s[6:7], exec, s[8:9]
	s_cbranch_execnz .LBB34_3949
; %bb.1901:
	s_or_saveexec_b64 s[6:7], s[6:7]
	v_mov_b32_e32 v10, s10
	s_xor_b64 exec, exec, s[6:7]
	s_cbranch_execnz .LBB34_3952
.LBB34_1902:
	s_or_b64 exec, exec, s[6:7]
	s_and_saveexec_b64 s[6:7], s[4:5]
	s_cbranch_execz .LBB34_1904
.LBB34_1903:
	v_bfe_u32 v10, v11, 8, 3
	v_ffbh_u32_e32 v13, v10
	v_min_u32_e32 v13, 32, v13
	v_lshrrev_b16_e32 v12, 3, v9
	v_subrev_u32_e32 v14, 28, v13
	v_and_b32_e32 v12, 15, v12
	v_lshlrev_b32_e32 v9, v14, v9
	v_sub_u32_e32 v13, 29, v13
	v_and_b32_e32 v9, 7, v9
	v_cmp_eq_u16_e32 vcc, 0, v12
	v_cndmask_b32_e32 v9, v10, v9, vcc
	v_cndmask_b32_e32 v10, v12, v13, vcc
	v_lshlrev_b32_e32 v12, 16, v11
	v_mov_b32_e32 v13, 0x3b800000
	v_lshlrev_b32_e32 v9, 20, v9
	v_and_b32_e32 v12, 0x80000000, v12
	v_lshl_add_u32 v10, v10, 23, v13
	v_or3_b32 v10, v12, v10, v9
.LBB34_1904:
	s_or_b64 exec, exec, s[6:7]
	s_nop 0
	v_mfma_f32_16x16x4f32 a[0:3], v8, v10, a[0:3]
	s_movk_i32 s4, 0xff
	v_and_b32_sdwa v9, v15, s4 dst_sel:DWORD dst_unused:UNUSED_PAD src0_sel:WORD_1 src1_sel:DWORD
	s_movk_i32 s4, 0x7f
	v_cmp_lt_i16_e32 vcc, s4, v9
	s_mov_b64 s[4:5], 0
                                        ; implicit-def: $sgpr10
	s_and_saveexec_b64 s[6:7], vcc
	s_xor_b64 s[6:7], exec, s[6:7]
	s_cbranch_execnz .LBB34_3953
; %bb.1905:
	s_or_saveexec_b64 s[6:7], s[6:7]
	v_mov_b32_e32 v8, s10
	s_xor_b64 exec, exec, s[6:7]
	s_cbranch_execnz .LBB34_3956
.LBB34_1906:
	s_or_b64 exec, exec, s[6:7]
	s_and_saveexec_b64 s[6:7], s[4:5]
	s_cbranch_execz .LBB34_1908
.LBB34_1907:
	v_bfe_u32 v8, v15, 16, 3
	v_ffbh_u32_e32 v12, v8
	v_min_u32_e32 v12, 32, v12
	v_lshrrev_b32_e32 v9, 19, v15
	v_subrev_u32_e32 v13, 28, v12
	v_and_b32_e32 v9, 15, v9
	v_lshlrev_b32_sdwa v13, v13, v15 dst_sel:DWORD dst_unused:UNUSED_PAD src0_sel:DWORD src1_sel:WORD_1
	v_bfe_u32 v10, v15, 19, 4
	v_sub_u32_e32 v12, 29, v12
	v_and_b32_e32 v13, 7, v13
	v_cmp_eq_u16_e32 vcc, 0, v9
	v_cndmask_b32_e32 v8, v8, v13, vcc
	v_cndmask_b32_e32 v9, v10, v12, vcc
	v_lshlrev_b32_e32 v10, 8, v15
	v_mov_b32_e32 v12, 0x3b800000
	v_lshlrev_b32_e32 v8, 20, v8
	v_and_b32_e32 v10, 0x80000000, v10
	v_lshl_add_u32 v9, v9, 23, v12
	v_or3_b32 v8, v10, v9, v8
.LBB34_1908:
	s_or_b64 exec, exec, s[6:7]
	s_movk_i32 s4, 0xff
	v_and_b32_sdwa v9, v11, s4 dst_sel:DWORD dst_unused:UNUSED_PAD src0_sel:WORD_1 src1_sel:DWORD
	s_movk_i32 s4, 0x7f
	v_cmp_lt_i16_e32 vcc, s4, v9
	s_mov_b64 s[4:5], 0
                                        ; implicit-def: $sgpr10
	s_and_saveexec_b64 s[6:7], vcc
	s_xor_b64 s[6:7], exec, s[6:7]
	s_cbranch_execnz .LBB34_3957
; %bb.1909:
	s_or_saveexec_b64 s[6:7], s[6:7]
	v_mov_b32_e32 v10, s10
	s_xor_b64 exec, exec, s[6:7]
	s_cbranch_execnz .LBB34_3960
.LBB34_1910:
	s_or_b64 exec, exec, s[6:7]
	s_and_saveexec_b64 s[6:7], s[4:5]
	s_cbranch_execz .LBB34_1912
.LBB34_1911:
	v_bfe_u32 v9, v11, 16, 3
	v_ffbh_u32_e32 v13, v9
	v_min_u32_e32 v13, 32, v13
	v_lshrrev_b32_e32 v10, 19, v11
	v_subrev_u32_e32 v14, 28, v13
	v_and_b32_e32 v10, 15, v10
	v_lshlrev_b32_sdwa v14, v14, v11 dst_sel:DWORD dst_unused:UNUSED_PAD src0_sel:DWORD src1_sel:WORD_1
	v_bfe_u32 v12, v11, 19, 4
	v_sub_u32_e32 v13, 29, v13
	v_and_b32_e32 v14, 7, v14
	v_cmp_eq_u16_e32 vcc, 0, v10
	v_cndmask_b32_e32 v9, v9, v14, vcc
	v_cndmask_b32_e32 v10, v12, v13, vcc
	v_lshlrev_b32_e32 v12, 8, v11
	v_mov_b32_e32 v13, 0x3b800000
	v_lshlrev_b32_e32 v9, 20, v9
	v_and_b32_e32 v12, 0x80000000, v12
	v_lshl_add_u32 v10, v10, 23, v13
	v_or3_b32 v10, v12, v10, v9
.LBB34_1912:
	s_or_b64 exec, exec, s[6:7]
	s_nop 0
	v_mfma_f32_16x16x4f32 a[0:3], v8, v10, a[0:3]
	s_movk_i32 s4, 0x7f
	v_cmp_gt_i16_sdwa s[6:7], v15, s4 src0_sel:BYTE_3 src1_sel:DWORD
	s_mov_b64 s[4:5], 0
                                        ; implicit-def: $sgpr10
	s_and_saveexec_b64 s[8:9], s[6:7]
	s_xor_b64 s[6:7], exec, s[8:9]
	s_cbranch_execnz .LBB34_3961
; %bb.1913:
	s_or_saveexec_b64 s[6:7], s[6:7]
	v_mov_b32_e32 v8, s10
	s_xor_b64 exec, exec, s[6:7]
	s_cbranch_execnz .LBB34_3964
.LBB34_1914:
	s_or_b64 exec, exec, s[6:7]
	s_and_saveexec_b64 s[6:7], s[4:5]
	s_cbranch_execz .LBB34_1916
.LBB34_1915:
	v_bfe_u32 v8, v15, 24, 3
	v_ffbh_u32_e32 v13, v8
	v_min_u32_e32 v13, 32, v13
	v_lshrrev_b32_e32 v10, 27, v15
	v_subrev_u32_e32 v14, 28, v13
	v_and_b32_e32 v10, 15, v10
	v_lshlrev_b32_sdwa v14, v14, v15 dst_sel:DWORD dst_unused:UNUSED_PAD src0_sel:DWORD src1_sel:BYTE_3
	v_bfe_u32 v12, v15, 27, 4
	v_sub_u32_e32 v13, 29, v13
	v_and_b32_e32 v14, 7, v14
	v_cmp_eq_u16_e32 vcc, 0, v10
	v_cndmask_b32_e32 v8, v8, v14, vcc
	v_cndmask_b32_e32 v10, v12, v13, vcc
	v_mov_b32_e32 v12, 0x3b800000
	v_and_b32_e32 v9, 0x80000000, v15
	v_lshlrev_b32_e32 v8, 20, v8
	v_lshl_add_u32 v10, v10, 23, v12
	v_or3_b32 v8, v9, v10, v8
.LBB34_1916:
	s_or_b64 exec, exec, s[6:7]
	s_movk_i32 s4, 0x7f
	v_cmp_gt_i16_sdwa s[6:7], v11, s4 src0_sel:BYTE_3 src1_sel:DWORD
	s_mov_b64 s[4:5], 0
                                        ; implicit-def: $sgpr10
	s_and_saveexec_b64 s[8:9], s[6:7]
	s_xor_b64 s[6:7], exec, s[8:9]
	s_cbranch_execnz .LBB34_3965
; %bb.1917:
	s_or_saveexec_b64 s[6:7], s[6:7]
	v_mov_b32_e32 v9, s10
	s_xor_b64 exec, exec, s[6:7]
	s_cbranch_execnz .LBB34_3968
.LBB34_1918:
	s_or_b64 exec, exec, s[6:7]
	s_and_saveexec_b64 s[6:7], s[4:5]
	s_cbranch_execz .LBB34_1920
.LBB34_1919:
	v_bfe_u32 v9, v11, 24, 3
	v_ffbh_u32_e32 v14, v9
	v_min_u32_e32 v14, 32, v14
	v_lshrrev_b32_e32 v12, 27, v11
	v_subrev_u32_e32 v15, 28, v14
	v_and_b32_e32 v10, 0x80000000, v11
	v_and_b32_e32 v12, 15, v12
	v_bfe_u32 v13, v11, 27, 4
	v_lshlrev_b32_sdwa v11, v15, v11 dst_sel:DWORD dst_unused:UNUSED_PAD src0_sel:DWORD src1_sel:BYTE_3
	v_sub_u32_e32 v14, 29, v14
	v_and_b32_e32 v11, 7, v11
	v_cmp_eq_u16_e32 vcc, 0, v12
	v_cndmask_b32_e32 v9, v9, v11, vcc
	v_cndmask_b32_e32 v11, v13, v14, vcc
	v_mov_b32_e32 v12, 0x3b800000
	v_lshlrev_b32_e32 v9, 20, v9
	v_lshl_add_u32 v11, v11, 23, v12
	v_or3_b32 v9, v10, v11, v9
.LBB34_1920:
	s_or_b64 exec, exec, s[6:7]
	s_nop 0
	v_mfma_f32_16x16x4f32 a[0:3], v8, v9, a[0:3]
	s_movk_i32 s4, 0x7f
	v_cmp_gt_i16_sdwa s[6:7], v4, s4 src0_sel:BYTE_0 src1_sel:DWORD
	s_mov_b64 s[4:5], 0
                                        ; implicit-def: $sgpr10
	s_and_saveexec_b64 s[8:9], s[6:7]
	s_xor_b64 s[6:7], exec, s[8:9]
	s_cbranch_execnz .LBB34_3969
; %bb.1921:
	s_or_saveexec_b64 s[6:7], s[6:7]
	v_mov_b32_e32 v8, s10
	s_xor_b64 exec, exec, s[6:7]
	s_cbranch_execnz .LBB34_3972
.LBB34_1922:
	s_or_b64 exec, exec, s[6:7]
	s_and_saveexec_b64 s[6:7], s[4:5]
	s_cbranch_execz .LBB34_1924
.LBB34_1923:
	v_and_b32_e32 v8, 7, v4
	v_ffbh_u32_e32 v10, v8
	v_min_u32_e32 v10, 32, v10
	v_lshrrev_b16_e32 v9, 3, v4
	v_subrev_u32_e32 v11, 28, v10
	v_and_b32_e32 v9, 15, v9
	v_lshlrev_b32_e32 v11, v11, v4
	v_sub_u32_e32 v10, 29, v10
	v_and_b32_e32 v11, 7, v11
	v_cmp_eq_u16_e32 vcc, 0, v9
	v_cndmask_b32_e32 v8, v8, v11, vcc
	v_cndmask_b32_e32 v9, v9, v10, vcc
	v_lshlrev_b32_e32 v10, 24, v4
	v_mov_b32_e32 v11, 0x3b800000
	v_lshlrev_b32_e32 v8, 20, v8
	v_and_b32_e32 v10, 0x80000000, v10
	v_lshl_add_u32 v9, v9, 23, v11
	v_or3_b32 v8, v10, v9, v8
.LBB34_1924:
	s_or_b64 exec, exec, s[6:7]
	s_movk_i32 s4, 0x7f
	v_cmp_gt_i16_sdwa s[6:7], v0, s4 src0_sel:BYTE_0 src1_sel:DWORD
	s_mov_b64 s[4:5], 0
                                        ; implicit-def: $sgpr10
	s_and_saveexec_b64 s[8:9], s[6:7]
	s_xor_b64 s[6:7], exec, s[8:9]
	s_cbranch_execnz .LBB34_3973
; %bb.1925:
	s_or_saveexec_b64 s[6:7], s[6:7]
	v_mov_b32_e32 v9, s10
	s_xor_b64 exec, exec, s[6:7]
	s_cbranch_execnz .LBB34_3976
.LBB34_1926:
	s_or_b64 exec, exec, s[6:7]
	s_and_saveexec_b64 s[6:7], s[4:5]
	s_cbranch_execz .LBB34_1928
.LBB34_1927:
	v_and_b32_e32 v9, 7, v0
	v_ffbh_u32_e32 v11, v9
	v_min_u32_e32 v11, 32, v11
	v_lshrrev_b16_e32 v10, 3, v0
	v_subrev_u32_e32 v12, 28, v11
	v_and_b32_e32 v10, 15, v10
	v_lshlrev_b32_e32 v12, v12, v0
	v_sub_u32_e32 v11, 29, v11
	v_and_b32_e32 v12, 7, v12
	v_cmp_eq_u16_e32 vcc, 0, v10
	v_cndmask_b32_e32 v9, v9, v12, vcc
	v_cndmask_b32_e32 v10, v10, v11, vcc
	v_lshlrev_b32_e32 v11, 24, v0
	v_mov_b32_e32 v12, 0x3b800000
	v_lshlrev_b32_e32 v9, 20, v9
	v_and_b32_e32 v11, 0x80000000, v11
	v_lshl_add_u32 v10, v10, 23, v12
	v_or3_b32 v9, v11, v10, v9
.LBB34_1928:
	s_or_b64 exec, exec, s[6:7]
	s_nop 0
	v_mfma_f32_16x16x4f32 a[0:3], v8, v9, a[0:3]
	v_lshrrev_b32_e32 v9, 8, v4
	s_movk_i32 s4, 0x7f
	v_cmp_gt_i16_sdwa s[6:7], v9, s4 src0_sel:BYTE_0 src1_sel:DWORD
	s_mov_b64 s[4:5], 0
                                        ; implicit-def: $sgpr10
	s_and_saveexec_b64 s[8:9], s[6:7]
	s_xor_b64 s[6:7], exec, s[8:9]
	s_cbranch_execnz .LBB34_3977
; %bb.1929:
	s_or_saveexec_b64 s[6:7], s[6:7]
	v_mov_b32_e32 v8, s10
	s_xor_b64 exec, exec, s[6:7]
	s_cbranch_execnz .LBB34_3980
.LBB34_1930:
	s_or_b64 exec, exec, s[6:7]
	s_and_saveexec_b64 s[6:7], s[4:5]
	s_cbranch_execz .LBB34_1932
.LBB34_1931:
	v_bfe_u32 v8, v4, 8, 3
	v_ffbh_u32_e32 v11, v8
	v_min_u32_e32 v11, 32, v11
	v_lshrrev_b16_e32 v10, 3, v9
	v_subrev_u32_e32 v12, 28, v11
	v_and_b32_e32 v10, 15, v10
	v_lshlrev_b32_e32 v9, v12, v9
	v_sub_u32_e32 v11, 29, v11
	v_and_b32_e32 v9, 7, v9
	v_cmp_eq_u16_e32 vcc, 0, v10
	v_cndmask_b32_e32 v8, v8, v9, vcc
	v_cndmask_b32_e32 v9, v10, v11, vcc
	v_lshlrev_b32_e32 v10, 16, v4
	v_mov_b32_e32 v11, 0x3b800000
	v_lshlrev_b32_e32 v8, 20, v8
	v_and_b32_e32 v10, 0x80000000, v10
	v_lshl_add_u32 v9, v9, 23, v11
	v_or3_b32 v8, v10, v9, v8
.LBB34_1932:
	s_or_b64 exec, exec, s[6:7]
	v_lshrrev_b32_e32 v9, 8, v0
	s_movk_i32 s4, 0x7f
	v_cmp_gt_i16_sdwa s[6:7], v9, s4 src0_sel:BYTE_0 src1_sel:DWORD
	s_mov_b64 s[4:5], 0
                                        ; implicit-def: $sgpr10
	s_and_saveexec_b64 s[8:9], s[6:7]
	s_xor_b64 s[6:7], exec, s[8:9]
	s_cbranch_execnz .LBB34_3981
; %bb.1933:
	s_or_saveexec_b64 s[6:7], s[6:7]
	v_mov_b32_e32 v10, s10
	s_xor_b64 exec, exec, s[6:7]
	s_cbranch_execnz .LBB34_3984
.LBB34_1934:
	s_or_b64 exec, exec, s[6:7]
	s_and_saveexec_b64 s[6:7], s[4:5]
	s_cbranch_execz .LBB34_1936
.LBB34_1935:
	v_bfe_u32 v10, v0, 8, 3
	v_ffbh_u32_e32 v12, v10
	v_min_u32_e32 v12, 32, v12
	v_lshrrev_b16_e32 v11, 3, v9
	v_subrev_u32_e32 v13, 28, v12
	v_and_b32_e32 v11, 15, v11
	v_lshlrev_b32_e32 v9, v13, v9
	v_sub_u32_e32 v12, 29, v12
	v_and_b32_e32 v9, 7, v9
	v_cmp_eq_u16_e32 vcc, 0, v11
	v_cndmask_b32_e32 v9, v10, v9, vcc
	v_cndmask_b32_e32 v10, v11, v12, vcc
	v_lshlrev_b32_e32 v11, 16, v0
	v_mov_b32_e32 v12, 0x3b800000
	v_lshlrev_b32_e32 v9, 20, v9
	v_and_b32_e32 v11, 0x80000000, v11
	v_lshl_add_u32 v10, v10, 23, v12
	v_or3_b32 v10, v11, v10, v9
.LBB34_1936:
	s_or_b64 exec, exec, s[6:7]
	s_nop 0
	v_mfma_f32_16x16x4f32 a[0:3], v8, v10, a[0:3]
	s_movk_i32 s4, 0xff
	v_and_b32_sdwa v9, v4, s4 dst_sel:DWORD dst_unused:UNUSED_PAD src0_sel:WORD_1 src1_sel:DWORD
	s_movk_i32 s4, 0x7f
	v_cmp_lt_i16_e32 vcc, s4, v9
	s_mov_b64 s[4:5], 0
                                        ; implicit-def: $sgpr10
	s_and_saveexec_b64 s[6:7], vcc
	s_xor_b64 s[6:7], exec, s[6:7]
	s_cbranch_execnz .LBB34_3985
; %bb.1937:
	s_or_saveexec_b64 s[6:7], s[6:7]
	v_mov_b32_e32 v8, s10
	s_xor_b64 exec, exec, s[6:7]
	s_cbranch_execnz .LBB34_3988
.LBB34_1938:
	s_or_b64 exec, exec, s[6:7]
	s_and_saveexec_b64 s[6:7], s[4:5]
	s_cbranch_execz .LBB34_1940
.LBB34_1939:
	v_bfe_u32 v8, v4, 16, 3
	v_ffbh_u32_e32 v11, v8
	v_min_u32_e32 v11, 32, v11
	v_lshrrev_b32_e32 v9, 19, v4
	v_subrev_u32_e32 v12, 28, v11
	v_and_b32_e32 v9, 15, v9
	v_lshlrev_b32_sdwa v12, v12, v4 dst_sel:DWORD dst_unused:UNUSED_PAD src0_sel:DWORD src1_sel:WORD_1
	v_bfe_u32 v10, v4, 19, 4
	v_sub_u32_e32 v11, 29, v11
	v_and_b32_e32 v12, 7, v12
	v_cmp_eq_u16_e32 vcc, 0, v9
	v_cndmask_b32_e32 v8, v8, v12, vcc
	v_cndmask_b32_e32 v9, v10, v11, vcc
	v_lshlrev_b32_e32 v10, 8, v4
	v_mov_b32_e32 v11, 0x3b800000
	v_lshlrev_b32_e32 v8, 20, v8
	v_and_b32_e32 v10, 0x80000000, v10
	v_lshl_add_u32 v9, v9, 23, v11
	v_or3_b32 v8, v10, v9, v8
.LBB34_1940:
	s_or_b64 exec, exec, s[6:7]
	s_movk_i32 s4, 0xff
	v_and_b32_sdwa v9, v0, s4 dst_sel:DWORD dst_unused:UNUSED_PAD src0_sel:WORD_1 src1_sel:DWORD
	s_movk_i32 s4, 0x7f
	v_cmp_lt_i16_e32 vcc, s4, v9
	s_mov_b64 s[4:5], 0
                                        ; implicit-def: $sgpr10
	s_and_saveexec_b64 s[6:7], vcc
	s_xor_b64 s[6:7], exec, s[6:7]
	s_cbranch_execnz .LBB34_3989
; %bb.1941:
	s_or_saveexec_b64 s[6:7], s[6:7]
	v_mov_b32_e32 v10, s10
	s_xor_b64 exec, exec, s[6:7]
	s_cbranch_execnz .LBB34_3992
.LBB34_1942:
	s_or_b64 exec, exec, s[6:7]
	s_and_saveexec_b64 s[6:7], s[4:5]
	s_cbranch_execz .LBB34_1944
.LBB34_1943:
	v_bfe_u32 v9, v0, 16, 3
	v_ffbh_u32_e32 v12, v9
	v_min_u32_e32 v12, 32, v12
	v_lshrrev_b32_e32 v10, 19, v0
	v_subrev_u32_e32 v13, 28, v12
	v_and_b32_e32 v10, 15, v10
	v_lshlrev_b32_sdwa v13, v13, v0 dst_sel:DWORD dst_unused:UNUSED_PAD src0_sel:DWORD src1_sel:WORD_1
	v_bfe_u32 v11, v0, 19, 4
	v_sub_u32_e32 v12, 29, v12
	v_and_b32_e32 v13, 7, v13
	v_cmp_eq_u16_e32 vcc, 0, v10
	v_cndmask_b32_e32 v9, v9, v13, vcc
	v_cndmask_b32_e32 v10, v11, v12, vcc
	v_lshlrev_b32_e32 v11, 8, v0
	v_mov_b32_e32 v12, 0x3b800000
	v_lshlrev_b32_e32 v9, 20, v9
	v_and_b32_e32 v11, 0x80000000, v11
	v_lshl_add_u32 v10, v10, 23, v12
	v_or3_b32 v10, v11, v10, v9
.LBB34_1944:
	s_or_b64 exec, exec, s[6:7]
	s_nop 0
	v_mfma_f32_16x16x4f32 a[0:3], v8, v10, a[0:3]
	s_movk_i32 s4, 0x7f
	v_cmp_gt_i16_sdwa s[6:7], v4, s4 src0_sel:BYTE_3 src1_sel:DWORD
	s_mov_b64 s[4:5], 0
                                        ; implicit-def: $sgpr10
	s_and_saveexec_b64 s[8:9], s[6:7]
	s_xor_b64 s[6:7], exec, s[8:9]
	s_cbranch_execnz .LBB34_3993
; %bb.1945:
	s_or_saveexec_b64 s[6:7], s[6:7]
	v_mov_b32_e32 v8, s10
	s_xor_b64 exec, exec, s[6:7]
	s_cbranch_execnz .LBB34_3996
.LBB34_1946:
	s_or_b64 exec, exec, s[6:7]
	s_and_saveexec_b64 s[6:7], s[4:5]
	s_cbranch_execz .LBB34_1948
.LBB34_1947:
	v_bfe_u32 v8, v4, 24, 3
	v_ffbh_u32_e32 v12, v8
	v_min_u32_e32 v12, 32, v12
	v_lshrrev_b32_e32 v10, 27, v4
	v_subrev_u32_e32 v13, 28, v12
	v_and_b32_e32 v9, 0x80000000, v4
	v_and_b32_e32 v10, 15, v10
	v_bfe_u32 v11, v4, 27, 4
	v_lshlrev_b32_sdwa v4, v13, v4 dst_sel:DWORD dst_unused:UNUSED_PAD src0_sel:DWORD src1_sel:BYTE_3
	v_sub_u32_e32 v12, 29, v12
	v_and_b32_e32 v4, 7, v4
	v_cmp_eq_u16_e32 vcc, 0, v10
	v_cndmask_b32_e32 v4, v8, v4, vcc
	v_cndmask_b32_e32 v8, v11, v12, vcc
	v_mov_b32_e32 v10, 0x3b800000
	v_lshlrev_b32_e32 v4, 20, v4
	v_lshl_add_u32 v8, v8, 23, v10
	v_or3_b32 v8, v9, v8, v4
.LBB34_1948:
	s_or_b64 exec, exec, s[6:7]
	s_movk_i32 s4, 0x7f
	v_cmp_gt_i16_sdwa s[6:7], v0, s4 src0_sel:BYTE_3 src1_sel:DWORD
	s_mov_b64 s[4:5], 0
                                        ; implicit-def: $sgpr10
	s_and_saveexec_b64 s[8:9], s[6:7]
	s_xor_b64 s[6:7], exec, s[8:9]
	s_cbranch_execnz .LBB34_3997
; %bb.1949:
	s_or_saveexec_b64 s[6:7], s[6:7]
	v_mov_b32_e32 v4, s10
	s_xor_b64 exec, exec, s[6:7]
	s_cbranch_execnz .LBB34_4000
.LBB34_1950:
	s_or_b64 exec, exec, s[6:7]
	s_and_saveexec_b64 s[6:7], s[4:5]
	s_cbranch_execz .LBB34_1952
.LBB34_1951:
	v_bfe_u32 v4, v0, 24, 3
	v_ffbh_u32_e32 v12, v4
	v_min_u32_e32 v12, 32, v12
	v_lshrrev_b32_e32 v10, 27, v0
	v_subrev_u32_e32 v13, 28, v12
	v_and_b32_e32 v9, 0x80000000, v0
	v_and_b32_e32 v10, 15, v10
	v_bfe_u32 v11, v0, 27, 4
	v_lshlrev_b32_sdwa v0, v13, v0 dst_sel:DWORD dst_unused:UNUSED_PAD src0_sel:DWORD src1_sel:BYTE_3
	v_sub_u32_e32 v12, 29, v12
	v_and_b32_e32 v0, 7, v0
	v_cmp_eq_u16_e32 vcc, 0, v10
	v_cndmask_b32_e32 v0, v4, v0, vcc
	v_cndmask_b32_e32 v4, v11, v12, vcc
	v_mov_b32_e32 v10, 0x3b800000
	v_lshlrev_b32_e32 v0, 20, v0
	v_lshl_add_u32 v4, v4, 23, v10
	v_or3_b32 v4, v9, v4, v0
.LBB34_1952:
	s_or_b64 exec, exec, s[6:7]
	s_nop 0
	v_mfma_f32_16x16x4f32 a[0:3], v8, v4, a[0:3]
	s_movk_i32 s4, 0x7f
	v_cmp_gt_i16_sdwa s[6:7], v5, s4 src0_sel:BYTE_0 src1_sel:DWORD
	s_mov_b64 s[4:5], 0
                                        ; implicit-def: $sgpr10
	s_and_saveexec_b64 s[8:9], s[6:7]
	s_xor_b64 s[6:7], exec, s[8:9]
	s_cbranch_execnz .LBB34_4001
; %bb.1953:
	s_or_saveexec_b64 s[6:7], s[6:7]
	v_mov_b32_e32 v0, s10
	s_xor_b64 exec, exec, s[6:7]
	s_cbranch_execnz .LBB34_4004
.LBB34_1954:
	s_or_b64 exec, exec, s[6:7]
	s_and_saveexec_b64 s[6:7], s[4:5]
	s_cbranch_execz .LBB34_1956
.LBB34_1955:
	v_and_b32_e32 v0, 7, v5
	v_ffbh_u32_e32 v8, v0
	v_min_u32_e32 v8, 32, v8
	v_lshrrev_b16_e32 v4, 3, v5
	v_subrev_u32_e32 v9, 28, v8
	v_and_b32_e32 v4, 15, v4
	v_lshlrev_b32_e32 v9, v9, v5
	v_sub_u32_e32 v8, 29, v8
	v_and_b32_e32 v9, 7, v9
	v_cmp_eq_u16_e32 vcc, 0, v4
	v_cndmask_b32_e32 v0, v0, v9, vcc
	v_cndmask_b32_e32 v4, v4, v8, vcc
	v_lshlrev_b32_e32 v8, 24, v5
	v_mov_b32_e32 v9, 0x3b800000
	v_lshlrev_b32_e32 v0, 20, v0
	v_and_b32_e32 v8, 0x80000000, v8
	v_lshl_add_u32 v4, v4, 23, v9
	v_or3_b32 v0, v8, v4, v0
.LBB34_1956:
	s_or_b64 exec, exec, s[6:7]
	s_movk_i32 s4, 0x7f
	v_cmp_gt_i16_sdwa s[6:7], v1, s4 src0_sel:BYTE_0 src1_sel:DWORD
	s_mov_b64 s[4:5], 0
                                        ; implicit-def: $sgpr10
	s_and_saveexec_b64 s[8:9], s[6:7]
	s_xor_b64 s[6:7], exec, s[8:9]
	s_cbranch_execnz .LBB34_4005
; %bb.1957:
	s_or_saveexec_b64 s[6:7], s[6:7]
	v_mov_b32_e32 v4, s10
	s_xor_b64 exec, exec, s[6:7]
	s_cbranch_execnz .LBB34_4008
.LBB34_1958:
	s_or_b64 exec, exec, s[6:7]
	s_and_saveexec_b64 s[6:7], s[4:5]
	s_cbranch_execz .LBB34_1960
.LBB34_1959:
	v_and_b32_e32 v4, 7, v1
	v_ffbh_u32_e32 v9, v4
	v_min_u32_e32 v9, 32, v9
	v_lshrrev_b16_e32 v8, 3, v1
	v_subrev_u32_e32 v10, 28, v9
	v_and_b32_e32 v8, 15, v8
	v_lshlrev_b32_e32 v10, v10, v1
	v_sub_u32_e32 v9, 29, v9
	v_and_b32_e32 v10, 7, v10
	v_cmp_eq_u16_e32 vcc, 0, v8
	v_cndmask_b32_e32 v4, v4, v10, vcc
	v_cndmask_b32_e32 v8, v8, v9, vcc
	v_lshlrev_b32_e32 v9, 24, v1
	v_mov_b32_e32 v10, 0x3b800000
	v_lshlrev_b32_e32 v4, 20, v4
	v_and_b32_e32 v9, 0x80000000, v9
	v_lshl_add_u32 v8, v8, 23, v10
	v_or3_b32 v4, v9, v8, v4
.LBB34_1960:
	s_or_b64 exec, exec, s[6:7]
	s_nop 0
	v_mfma_f32_16x16x4f32 a[0:3], v0, v4, a[0:3]
	v_lshrrev_b32_e32 v4, 8, v5
	s_movk_i32 s4, 0x7f
	v_cmp_gt_i16_sdwa s[6:7], v4, s4 src0_sel:BYTE_0 src1_sel:DWORD
	s_mov_b64 s[4:5], 0
                                        ; implicit-def: $sgpr10
	s_and_saveexec_b64 s[8:9], s[6:7]
	s_xor_b64 s[6:7], exec, s[8:9]
	s_cbranch_execnz .LBB34_4009
; %bb.1961:
	s_or_saveexec_b64 s[6:7], s[6:7]
	v_mov_b32_e32 v0, s10
	s_xor_b64 exec, exec, s[6:7]
	s_cbranch_execnz .LBB34_4012
.LBB34_1962:
	s_or_b64 exec, exec, s[6:7]
	s_and_saveexec_b64 s[6:7], s[4:5]
	s_cbranch_execz .LBB34_1964
.LBB34_1963:
	v_bfe_u32 v0, v5, 8, 3
	v_ffbh_u32_e32 v9, v0
	v_min_u32_e32 v9, 32, v9
	v_lshrrev_b16_e32 v8, 3, v4
	v_subrev_u32_e32 v10, 28, v9
	v_and_b32_e32 v8, 15, v8
	v_lshlrev_b32_e32 v4, v10, v4
	v_sub_u32_e32 v9, 29, v9
	v_and_b32_e32 v4, 7, v4
	v_cmp_eq_u16_e32 vcc, 0, v8
	v_cndmask_b32_e32 v0, v0, v4, vcc
	v_cndmask_b32_e32 v4, v8, v9, vcc
	v_lshlrev_b32_e32 v8, 16, v5
	v_mov_b32_e32 v9, 0x3b800000
	v_lshlrev_b32_e32 v0, 20, v0
	v_and_b32_e32 v8, 0x80000000, v8
	v_lshl_add_u32 v4, v4, 23, v9
	v_or3_b32 v0, v8, v4, v0
.LBB34_1964:
	s_or_b64 exec, exec, s[6:7]
	v_lshrrev_b32_e32 v4, 8, v1
	s_movk_i32 s4, 0x7f
	v_cmp_gt_i16_sdwa s[6:7], v4, s4 src0_sel:BYTE_0 src1_sel:DWORD
	s_mov_b64 s[4:5], 0
                                        ; implicit-def: $sgpr10
	s_and_saveexec_b64 s[8:9], s[6:7]
	s_xor_b64 s[6:7], exec, s[8:9]
	s_cbranch_execnz .LBB34_4013
; %bb.1965:
	s_or_saveexec_b64 s[6:7], s[6:7]
	v_mov_b32_e32 v8, s10
	s_xor_b64 exec, exec, s[6:7]
	s_cbranch_execnz .LBB34_4016
.LBB34_1966:
	s_or_b64 exec, exec, s[6:7]
	s_and_saveexec_b64 s[6:7], s[4:5]
	s_cbranch_execz .LBB34_1968
.LBB34_1967:
	v_bfe_u32 v8, v1, 8, 3
	v_ffbh_u32_e32 v10, v8
	v_min_u32_e32 v10, 32, v10
	v_lshrrev_b16_e32 v9, 3, v4
	v_subrev_u32_e32 v11, 28, v10
	v_and_b32_e32 v9, 15, v9
	v_lshlrev_b32_e32 v4, v11, v4
	v_sub_u32_e32 v10, 29, v10
	v_and_b32_e32 v4, 7, v4
	v_cmp_eq_u16_e32 vcc, 0, v9
	v_cndmask_b32_e32 v4, v8, v4, vcc
	v_cndmask_b32_e32 v8, v9, v10, vcc
	v_lshlrev_b32_e32 v9, 16, v1
	v_mov_b32_e32 v10, 0x3b800000
	v_lshlrev_b32_e32 v4, 20, v4
	v_and_b32_e32 v9, 0x80000000, v9
	v_lshl_add_u32 v8, v8, 23, v10
	v_or3_b32 v8, v9, v8, v4
.LBB34_1968:
	s_or_b64 exec, exec, s[6:7]
	s_nop 0
	v_mfma_f32_16x16x4f32 a[0:3], v0, v8, a[0:3]
	s_movk_i32 s4, 0xff
	v_and_b32_sdwa v4, v5, s4 dst_sel:DWORD dst_unused:UNUSED_PAD src0_sel:WORD_1 src1_sel:DWORD
	s_movk_i32 s4, 0x7f
	v_cmp_lt_i16_e32 vcc, s4, v4
	s_mov_b64 s[4:5], 0
                                        ; implicit-def: $sgpr10
	s_and_saveexec_b64 s[6:7], vcc
	s_xor_b64 s[6:7], exec, s[6:7]
	s_cbranch_execnz .LBB34_4017
; %bb.1969:
	s_or_saveexec_b64 s[6:7], s[6:7]
	v_mov_b32_e32 v0, s10
	s_xor_b64 exec, exec, s[6:7]
	s_cbranch_execnz .LBB34_4020
.LBB34_1970:
	s_or_b64 exec, exec, s[6:7]
	s_and_saveexec_b64 s[6:7], s[4:5]
	s_cbranch_execz .LBB34_1972
.LBB34_1971:
	v_bfe_u32 v0, v5, 16, 3
	v_ffbh_u32_e32 v9, v0
	v_min_u32_e32 v9, 32, v9
	v_lshrrev_b32_e32 v4, 19, v5
	v_subrev_u32_e32 v10, 28, v9
	v_and_b32_e32 v4, 15, v4
	v_lshlrev_b32_sdwa v10, v10, v5 dst_sel:DWORD dst_unused:UNUSED_PAD src0_sel:DWORD src1_sel:WORD_1
	v_bfe_u32 v8, v5, 19, 4
	v_sub_u32_e32 v9, 29, v9
	v_and_b32_e32 v10, 7, v10
	v_cmp_eq_u16_e32 vcc, 0, v4
	v_cndmask_b32_e32 v0, v0, v10, vcc
	v_cndmask_b32_e32 v4, v8, v9, vcc
	v_lshlrev_b32_e32 v8, 8, v5
	v_mov_b32_e32 v9, 0x3b800000
	v_lshlrev_b32_e32 v0, 20, v0
	v_and_b32_e32 v8, 0x80000000, v8
	v_lshl_add_u32 v4, v4, 23, v9
	v_or3_b32 v0, v8, v4, v0
.LBB34_1972:
	s_or_b64 exec, exec, s[6:7]
	s_movk_i32 s4, 0xff
	v_and_b32_sdwa v4, v1, s4 dst_sel:DWORD dst_unused:UNUSED_PAD src0_sel:WORD_1 src1_sel:DWORD
	s_movk_i32 s4, 0x7f
	v_cmp_lt_i16_e32 vcc, s4, v4
	s_mov_b64 s[4:5], 0
                                        ; implicit-def: $sgpr10
	s_and_saveexec_b64 s[6:7], vcc
	s_xor_b64 s[6:7], exec, s[6:7]
	s_cbranch_execnz .LBB34_4021
; %bb.1973:
	s_or_saveexec_b64 s[6:7], s[6:7]
	v_mov_b32_e32 v8, s10
	s_xor_b64 exec, exec, s[6:7]
	s_cbranch_execnz .LBB34_4024
.LBB34_1974:
	s_or_b64 exec, exec, s[6:7]
	s_and_saveexec_b64 s[6:7], s[4:5]
	s_cbranch_execz .LBB34_1976
.LBB34_1975:
	v_bfe_u32 v4, v1, 16, 3
	v_ffbh_u32_e32 v10, v4
	v_min_u32_e32 v10, 32, v10
	v_lshrrev_b32_e32 v8, 19, v1
	v_subrev_u32_e32 v11, 28, v10
	v_and_b32_e32 v8, 15, v8
	v_lshlrev_b32_sdwa v11, v11, v1 dst_sel:DWORD dst_unused:UNUSED_PAD src0_sel:DWORD src1_sel:WORD_1
	v_bfe_u32 v9, v1, 19, 4
	v_sub_u32_e32 v10, 29, v10
	v_and_b32_e32 v11, 7, v11
	v_cmp_eq_u16_e32 vcc, 0, v8
	v_cndmask_b32_e32 v4, v4, v11, vcc
	v_cndmask_b32_e32 v8, v9, v10, vcc
	v_lshlrev_b32_e32 v9, 8, v1
	v_mov_b32_e32 v10, 0x3b800000
	v_lshlrev_b32_e32 v4, 20, v4
	v_and_b32_e32 v9, 0x80000000, v9
	v_lshl_add_u32 v8, v8, 23, v10
	v_or3_b32 v8, v9, v8, v4
.LBB34_1976:
	s_or_b64 exec, exec, s[6:7]
	s_nop 0
	v_mfma_f32_16x16x4f32 a[0:3], v0, v8, a[0:3]
	s_movk_i32 s4, 0x7f
	v_cmp_gt_i16_sdwa s[6:7], v5, s4 src0_sel:BYTE_3 src1_sel:DWORD
	s_mov_b64 s[4:5], 0
                                        ; implicit-def: $sgpr10
	s_and_saveexec_b64 s[8:9], s[6:7]
	s_xor_b64 s[6:7], exec, s[8:9]
	s_cbranch_execnz .LBB34_4025
; %bb.1977:
	s_or_saveexec_b64 s[6:7], s[6:7]
	v_mov_b32_e32 v0, s10
	s_xor_b64 exec, exec, s[6:7]
	s_cbranch_execnz .LBB34_4028
.LBB34_1978:
	s_or_b64 exec, exec, s[6:7]
	s_and_saveexec_b64 s[6:7], s[4:5]
	s_cbranch_execz .LBB34_1980
.LBB34_1979:
	v_bfe_u32 v0, v5, 24, 3
	v_ffbh_u32_e32 v10, v0
	v_min_u32_e32 v10, 32, v10
	v_lshrrev_b32_e32 v8, 27, v5
	v_subrev_u32_e32 v11, 28, v10
	v_and_b32_e32 v4, 0x80000000, v5
	v_and_b32_e32 v8, 15, v8
	v_bfe_u32 v9, v5, 27, 4
	v_lshlrev_b32_sdwa v5, v11, v5 dst_sel:DWORD dst_unused:UNUSED_PAD src0_sel:DWORD src1_sel:BYTE_3
	v_sub_u32_e32 v10, 29, v10
	v_and_b32_e32 v5, 7, v5
	v_cmp_eq_u16_e32 vcc, 0, v8
	v_cndmask_b32_e32 v0, v0, v5, vcc
	v_cndmask_b32_e32 v5, v9, v10, vcc
	v_mov_b32_e32 v8, 0x3b800000
	v_lshlrev_b32_e32 v0, 20, v0
	v_lshl_add_u32 v5, v5, 23, v8
	v_or3_b32 v0, v4, v5, v0
.LBB34_1980:
	s_or_b64 exec, exec, s[6:7]
	s_movk_i32 s4, 0x7f
	v_cmp_gt_i16_sdwa s[6:7], v1, s4 src0_sel:BYTE_3 src1_sel:DWORD
	s_mov_b64 s[4:5], 0
                                        ; implicit-def: $sgpr10
	s_and_saveexec_b64 s[8:9], s[6:7]
	s_xor_b64 s[6:7], exec, s[8:9]
	s_cbranch_execnz .LBB34_4029
; %bb.1981:
	s_or_saveexec_b64 s[6:7], s[6:7]
	v_mov_b32_e32 v4, s10
	s_xor_b64 exec, exec, s[6:7]
	s_cbranch_execnz .LBB34_4032
.LBB34_1982:
	s_or_b64 exec, exec, s[6:7]
	s_and_saveexec_b64 s[6:7], s[4:5]
	s_cbranch_execz .LBB34_1984
.LBB34_1983:
	v_bfe_u32 v4, v1, 24, 3
	v_ffbh_u32_e32 v10, v4
	v_min_u32_e32 v10, 32, v10
	v_lshrrev_b32_e32 v8, 27, v1
	v_subrev_u32_e32 v11, 28, v10
	v_and_b32_e32 v5, 0x80000000, v1
	v_and_b32_e32 v8, 15, v8
	v_bfe_u32 v9, v1, 27, 4
	v_lshlrev_b32_sdwa v1, v11, v1 dst_sel:DWORD dst_unused:UNUSED_PAD src0_sel:DWORD src1_sel:BYTE_3
	v_sub_u32_e32 v10, 29, v10
	v_and_b32_e32 v1, 7, v1
	v_cmp_eq_u16_e32 vcc, 0, v8
	v_cndmask_b32_e32 v1, v4, v1, vcc
	v_cndmask_b32_e32 v4, v9, v10, vcc
	v_mov_b32_e32 v8, 0x3b800000
	v_lshlrev_b32_e32 v1, 20, v1
	v_lshl_add_u32 v4, v4, 23, v8
	v_or3_b32 v4, v5, v4, v1
.LBB34_1984:
	s_or_b64 exec, exec, s[6:7]
	s_nop 0
	v_mfma_f32_16x16x4f32 a[0:3], v0, v4, a[0:3]
	s_movk_i32 s4, 0x7f
	v_cmp_gt_i16_sdwa s[6:7], v6, s4 src0_sel:BYTE_0 src1_sel:DWORD
	s_mov_b64 s[4:5], 0
                                        ; implicit-def: $sgpr10
	s_and_saveexec_b64 s[8:9], s[6:7]
	s_xor_b64 s[6:7], exec, s[8:9]
	s_cbranch_execnz .LBB34_4033
; %bb.1985:
	s_or_saveexec_b64 s[6:7], s[6:7]
	v_mov_b32_e32 v0, s10
	s_xor_b64 exec, exec, s[6:7]
	s_cbranch_execnz .LBB34_4036
.LBB34_1986:
	s_or_b64 exec, exec, s[6:7]
	s_and_saveexec_b64 s[6:7], s[4:5]
	s_cbranch_execz .LBB34_1988
.LBB34_1987:
	v_and_b32_e32 v0, 7, v6
	v_ffbh_u32_e32 v4, v0
	v_min_u32_e32 v4, 32, v4
	v_lshrrev_b16_e32 v1, 3, v6
	v_subrev_u32_e32 v5, 28, v4
	v_and_b32_e32 v1, 15, v1
	v_lshlrev_b32_e32 v5, v5, v6
	v_sub_u32_e32 v4, 29, v4
	v_and_b32_e32 v5, 7, v5
	v_cmp_eq_u16_e32 vcc, 0, v1
	v_cndmask_b32_e32 v0, v0, v5, vcc
	v_cndmask_b32_e32 v1, v1, v4, vcc
	v_lshlrev_b32_e32 v4, 24, v6
	v_mov_b32_e32 v5, 0x3b800000
	v_lshlrev_b32_e32 v0, 20, v0
	v_and_b32_e32 v4, 0x80000000, v4
	v_lshl_add_u32 v1, v1, 23, v5
	v_or3_b32 v0, v4, v1, v0
.LBB34_1988:
	s_or_b64 exec, exec, s[6:7]
	s_movk_i32 s4, 0x7f
	v_cmp_gt_i16_sdwa s[6:7], v2, s4 src0_sel:BYTE_0 src1_sel:DWORD
	s_mov_b64 s[4:5], 0
                                        ; implicit-def: $sgpr10
	s_and_saveexec_b64 s[8:9], s[6:7]
	s_xor_b64 s[6:7], exec, s[8:9]
	s_cbranch_execnz .LBB34_4037
; %bb.1989:
	s_or_saveexec_b64 s[6:7], s[6:7]
	v_mov_b32_e32 v1, s10
	s_xor_b64 exec, exec, s[6:7]
	s_cbranch_execnz .LBB34_4040
.LBB34_1990:
	s_or_b64 exec, exec, s[6:7]
	s_and_saveexec_b64 s[6:7], s[4:5]
	s_cbranch_execz .LBB34_1992
.LBB34_1991:
	v_and_b32_e32 v1, 7, v2
	v_ffbh_u32_e32 v5, v1
	v_min_u32_e32 v5, 32, v5
	v_lshrrev_b16_e32 v4, 3, v2
	v_subrev_u32_e32 v8, 28, v5
	v_and_b32_e32 v4, 15, v4
	v_lshlrev_b32_e32 v8, v8, v2
	v_sub_u32_e32 v5, 29, v5
	v_and_b32_e32 v8, 7, v8
	v_cmp_eq_u16_e32 vcc, 0, v4
	v_cndmask_b32_e32 v1, v1, v8, vcc
	v_cndmask_b32_e32 v4, v4, v5, vcc
	v_lshlrev_b32_e32 v5, 24, v2
	v_mov_b32_e32 v8, 0x3b800000
	v_lshlrev_b32_e32 v1, 20, v1
	v_and_b32_e32 v5, 0x80000000, v5
	v_lshl_add_u32 v4, v4, 23, v8
	v_or3_b32 v1, v5, v4, v1
.LBB34_1992:
	s_or_b64 exec, exec, s[6:7]
	s_nop 0
	v_mfma_f32_16x16x4f32 a[0:3], v0, v1, a[0:3]
	v_lshrrev_b32_e32 v1, 8, v6
	s_movk_i32 s4, 0x7f
	v_cmp_gt_i16_sdwa s[6:7], v1, s4 src0_sel:BYTE_0 src1_sel:DWORD
	s_mov_b64 s[4:5], 0
                                        ; implicit-def: $sgpr10
	s_and_saveexec_b64 s[8:9], s[6:7]
	s_xor_b64 s[6:7], exec, s[8:9]
	s_cbranch_execnz .LBB34_4041
; %bb.1993:
	s_or_saveexec_b64 s[6:7], s[6:7]
	v_mov_b32_e32 v0, s10
	s_xor_b64 exec, exec, s[6:7]
	s_cbranch_execnz .LBB34_4044
.LBB34_1994:
	s_or_b64 exec, exec, s[6:7]
	s_and_saveexec_b64 s[6:7], s[4:5]
	s_cbranch_execz .LBB34_1996
.LBB34_1995:
	v_bfe_u32 v0, v6, 8, 3
	v_ffbh_u32_e32 v5, v0
	v_min_u32_e32 v5, 32, v5
	v_lshrrev_b16_e32 v4, 3, v1
	v_subrev_u32_e32 v8, 28, v5
	v_and_b32_e32 v4, 15, v4
	v_lshlrev_b32_e32 v1, v8, v1
	v_sub_u32_e32 v5, 29, v5
	v_and_b32_e32 v1, 7, v1
	v_cmp_eq_u16_e32 vcc, 0, v4
	v_cndmask_b32_e32 v0, v0, v1, vcc
	v_cndmask_b32_e32 v1, v4, v5, vcc
	v_lshlrev_b32_e32 v4, 16, v6
	v_mov_b32_e32 v5, 0x3b800000
	v_lshlrev_b32_e32 v0, 20, v0
	v_and_b32_e32 v4, 0x80000000, v4
	v_lshl_add_u32 v1, v1, 23, v5
	v_or3_b32 v0, v4, v1, v0
.LBB34_1996:
	s_or_b64 exec, exec, s[6:7]
	v_lshrrev_b32_e32 v1, 8, v2
	s_movk_i32 s4, 0x7f
	v_cmp_gt_i16_sdwa s[6:7], v1, s4 src0_sel:BYTE_0 src1_sel:DWORD
	s_mov_b64 s[4:5], 0
                                        ; implicit-def: $sgpr10
	s_and_saveexec_b64 s[8:9], s[6:7]
	s_xor_b64 s[6:7], exec, s[8:9]
	s_cbranch_execnz .LBB34_4045
; %bb.1997:
	s_or_saveexec_b64 s[6:7], s[6:7]
	v_mov_b32_e32 v4, s10
	s_xor_b64 exec, exec, s[6:7]
	s_cbranch_execnz .LBB34_4048
.LBB34_1998:
	s_or_b64 exec, exec, s[6:7]
	s_and_saveexec_b64 s[6:7], s[4:5]
	s_cbranch_execz .LBB34_2000
.LBB34_1999:
	v_bfe_u32 v4, v2, 8, 3
	v_ffbh_u32_e32 v8, v4
	v_min_u32_e32 v8, 32, v8
	v_lshrrev_b16_e32 v5, 3, v1
	v_subrev_u32_e32 v9, 28, v8
	v_and_b32_e32 v5, 15, v5
	v_lshlrev_b32_e32 v1, v9, v1
	v_sub_u32_e32 v8, 29, v8
	v_and_b32_e32 v1, 7, v1
	v_cmp_eq_u16_e32 vcc, 0, v5
	v_cndmask_b32_e32 v1, v4, v1, vcc
	v_cndmask_b32_e32 v4, v5, v8, vcc
	v_lshlrev_b32_e32 v5, 16, v2
	v_mov_b32_e32 v8, 0x3b800000
	v_lshlrev_b32_e32 v1, 20, v1
	v_and_b32_e32 v5, 0x80000000, v5
	v_lshl_add_u32 v4, v4, 23, v8
	v_or3_b32 v4, v5, v4, v1
.LBB34_2000:
	s_or_b64 exec, exec, s[6:7]
	s_nop 0
	v_mfma_f32_16x16x4f32 a[0:3], v0, v4, a[0:3]
	s_movk_i32 s4, 0xff
	v_and_b32_sdwa v1, v6, s4 dst_sel:DWORD dst_unused:UNUSED_PAD src0_sel:WORD_1 src1_sel:DWORD
	s_movk_i32 s4, 0x7f
	v_cmp_lt_i16_e32 vcc, s4, v1
	s_mov_b64 s[4:5], 0
                                        ; implicit-def: $sgpr10
	s_and_saveexec_b64 s[6:7], vcc
	s_xor_b64 s[6:7], exec, s[6:7]
	s_cbranch_execnz .LBB34_4049
; %bb.2001:
	s_or_saveexec_b64 s[6:7], s[6:7]
	v_mov_b32_e32 v0, s10
	s_xor_b64 exec, exec, s[6:7]
	s_cbranch_execnz .LBB34_4052
.LBB34_2002:
	s_or_b64 exec, exec, s[6:7]
	s_and_saveexec_b64 s[6:7], s[4:5]
	s_cbranch_execz .LBB34_2004
.LBB34_2003:
	v_bfe_u32 v0, v6, 16, 3
	v_ffbh_u32_e32 v5, v0
	v_min_u32_e32 v5, 32, v5
	v_lshrrev_b32_e32 v1, 19, v6
	v_subrev_u32_e32 v8, 28, v5
	v_and_b32_e32 v1, 15, v1
	v_lshlrev_b32_sdwa v8, v8, v6 dst_sel:DWORD dst_unused:UNUSED_PAD src0_sel:DWORD src1_sel:WORD_1
	v_bfe_u32 v4, v6, 19, 4
	v_sub_u32_e32 v5, 29, v5
	v_and_b32_e32 v8, 7, v8
	v_cmp_eq_u16_e32 vcc, 0, v1
	v_cndmask_b32_e32 v0, v0, v8, vcc
	v_cndmask_b32_e32 v1, v4, v5, vcc
	v_lshlrev_b32_e32 v4, 8, v6
	v_mov_b32_e32 v5, 0x3b800000
	v_lshlrev_b32_e32 v0, 20, v0
	v_and_b32_e32 v4, 0x80000000, v4
	v_lshl_add_u32 v1, v1, 23, v5
	v_or3_b32 v0, v4, v1, v0
.LBB34_2004:
	s_or_b64 exec, exec, s[6:7]
	s_movk_i32 s4, 0xff
	v_and_b32_sdwa v1, v2, s4 dst_sel:DWORD dst_unused:UNUSED_PAD src0_sel:WORD_1 src1_sel:DWORD
	s_movk_i32 s4, 0x7f
	v_cmp_lt_i16_e32 vcc, s4, v1
	s_mov_b64 s[4:5], 0
                                        ; implicit-def: $sgpr10
	s_and_saveexec_b64 s[6:7], vcc
	s_xor_b64 s[6:7], exec, s[6:7]
	s_cbranch_execnz .LBB34_4053
; %bb.2005:
	s_or_saveexec_b64 s[6:7], s[6:7]
	v_mov_b32_e32 v4, s10
	s_xor_b64 exec, exec, s[6:7]
	s_cbranch_execnz .LBB34_4056
.LBB34_2006:
	s_or_b64 exec, exec, s[6:7]
	s_and_saveexec_b64 s[6:7], s[4:5]
	s_cbranch_execz .LBB34_2008
.LBB34_2007:
	v_bfe_u32 v1, v2, 16, 3
	v_ffbh_u32_e32 v8, v1
	v_min_u32_e32 v8, 32, v8
	v_lshrrev_b32_e32 v4, 19, v2
	v_subrev_u32_e32 v9, 28, v8
	v_and_b32_e32 v4, 15, v4
	v_lshlrev_b32_sdwa v9, v9, v2 dst_sel:DWORD dst_unused:UNUSED_PAD src0_sel:DWORD src1_sel:WORD_1
	v_bfe_u32 v5, v2, 19, 4
	v_sub_u32_e32 v8, 29, v8
	v_and_b32_e32 v9, 7, v9
	v_cmp_eq_u16_e32 vcc, 0, v4
	v_cndmask_b32_e32 v1, v1, v9, vcc
	v_cndmask_b32_e32 v4, v5, v8, vcc
	v_lshlrev_b32_e32 v5, 8, v2
	v_mov_b32_e32 v8, 0x3b800000
	v_lshlrev_b32_e32 v1, 20, v1
	v_and_b32_e32 v5, 0x80000000, v5
	v_lshl_add_u32 v4, v4, 23, v8
	v_or3_b32 v4, v5, v4, v1
.LBB34_2008:
	s_or_b64 exec, exec, s[6:7]
	s_nop 0
	v_mfma_f32_16x16x4f32 a[0:3], v0, v4, a[0:3]
	s_movk_i32 s4, 0x7f
	v_cmp_gt_i16_sdwa s[6:7], v6, s4 src0_sel:BYTE_3 src1_sel:DWORD
	s_mov_b64 s[4:5], 0
                                        ; implicit-def: $sgpr10
	s_and_saveexec_b64 s[8:9], s[6:7]
	s_xor_b64 s[6:7], exec, s[8:9]
	s_cbranch_execnz .LBB34_4057
; %bb.2009:
	s_or_saveexec_b64 s[6:7], s[6:7]
	v_mov_b32_e32 v0, s10
	s_xor_b64 exec, exec, s[6:7]
	s_cbranch_execnz .LBB34_4060
.LBB34_2010:
	s_or_b64 exec, exec, s[6:7]
	s_and_saveexec_b64 s[6:7], s[4:5]
	s_cbranch_execz .LBB34_2012
.LBB34_2011:
	v_bfe_u32 v0, v6, 24, 3
	v_ffbh_u32_e32 v8, v0
	v_min_u32_e32 v8, 32, v8
	v_lshrrev_b32_e32 v4, 27, v6
	v_subrev_u32_e32 v9, 28, v8
	v_and_b32_e32 v1, 0x80000000, v6
	v_and_b32_e32 v4, 15, v4
	v_bfe_u32 v5, v6, 27, 4
	v_lshlrev_b32_sdwa v6, v9, v6 dst_sel:DWORD dst_unused:UNUSED_PAD src0_sel:DWORD src1_sel:BYTE_3
	v_sub_u32_e32 v8, 29, v8
	v_and_b32_e32 v6, 7, v6
	v_cmp_eq_u16_e32 vcc, 0, v4
	v_cndmask_b32_e32 v0, v0, v6, vcc
	v_cndmask_b32_e32 v4, v5, v8, vcc
	v_mov_b32_e32 v5, 0x3b800000
	v_lshlrev_b32_e32 v0, 20, v0
	v_lshl_add_u32 v4, v4, 23, v5
	v_or3_b32 v0, v1, v4, v0
.LBB34_2012:
	s_or_b64 exec, exec, s[6:7]
	s_movk_i32 s4, 0x7f
	v_cmp_gt_i16_sdwa s[6:7], v2, s4 src0_sel:BYTE_3 src1_sel:DWORD
	s_mov_b64 s[4:5], 0
                                        ; implicit-def: $sgpr10
	s_and_saveexec_b64 s[8:9], s[6:7]
	s_xor_b64 s[6:7], exec, s[8:9]
	s_cbranch_execnz .LBB34_4061
; %bb.2013:
	s_or_saveexec_b64 s[6:7], s[6:7]
	v_mov_b32_e32 v1, s10
	s_xor_b64 exec, exec, s[6:7]
	s_cbranch_execnz .LBB34_4064
.LBB34_2014:
	s_or_b64 exec, exec, s[6:7]
	s_and_saveexec_b64 s[6:7], s[4:5]
	s_cbranch_execz .LBB34_2016
.LBB34_2015:
	v_bfe_u32 v1, v2, 24, 3
	v_ffbh_u32_e32 v8, v1
	v_min_u32_e32 v8, 32, v8
	v_lshrrev_b32_e32 v5, 27, v2
	v_subrev_u32_e32 v9, 28, v8
	v_and_b32_e32 v4, 0x80000000, v2
	v_and_b32_e32 v5, 15, v5
	v_bfe_u32 v6, v2, 27, 4
	v_lshlrev_b32_sdwa v2, v9, v2 dst_sel:DWORD dst_unused:UNUSED_PAD src0_sel:DWORD src1_sel:BYTE_3
	v_sub_u32_e32 v8, 29, v8
	v_and_b32_e32 v2, 7, v2
	v_cmp_eq_u16_e32 vcc, 0, v5
	v_cndmask_b32_e32 v1, v1, v2, vcc
	v_cndmask_b32_e32 v2, v6, v8, vcc
	v_mov_b32_e32 v5, 0x3b800000
	v_lshlrev_b32_e32 v1, 20, v1
	v_lshl_add_u32 v2, v2, 23, v5
	v_or3_b32 v1, v4, v2, v1
.LBB34_2016:
	s_or_b64 exec, exec, s[6:7]
	s_nop 0
	v_mfma_f32_16x16x4f32 a[0:3], v0, v1, a[0:3]
	s_movk_i32 s4, 0x7f
	v_cmp_gt_i16_sdwa s[6:7], v7, s4 src0_sel:BYTE_0 src1_sel:DWORD
	s_mov_b64 s[4:5], 0
                                        ; implicit-def: $sgpr10
	s_and_saveexec_b64 s[8:9], s[6:7]
	s_xor_b64 s[6:7], exec, s[8:9]
	s_cbranch_execnz .LBB34_4065
; %bb.2017:
	s_or_saveexec_b64 s[6:7], s[6:7]
	v_mov_b32_e32 v0, s10
	s_xor_b64 exec, exec, s[6:7]
	s_cbranch_execnz .LBB34_4068
.LBB34_2018:
	s_or_b64 exec, exec, s[6:7]
	s_and_saveexec_b64 s[6:7], s[4:5]
	s_cbranch_execz .LBB34_2020
.LBB34_2019:
	v_mov_b32_e32 v0, 8
	v_and_b32_e32 v1, 7, v7
	v_lshrrev_b32_sdwa v0, v0, v7 dst_sel:BYTE_1 dst_unused:UNUSED_PAD src0_sel:DWORD src1_sel:DWORD
	v_ffbh_u32_e32 v2, v1
	v_or_b32_sdwa v0, v7, v0 dst_sel:DWORD dst_unused:UNUSED_PAD src0_sel:BYTE_0 src1_sel:DWORD
	v_min_u32_e32 v2, 32, v2
	v_lshrrev_b16_e32 v0, 3, v0
	v_subrev_u32_e32 v4, 28, v2
	v_and_b32_e32 v0, 15, v0
	v_lshlrev_b32_e32 v4, v4, v7
	v_sub_u32_e32 v2, 29, v2
	v_and_b32_e32 v4, 7, v4
	v_cmp_eq_u16_e32 vcc, 0, v0
	v_cndmask_b32_e32 v1, v1, v4, vcc
	v_cndmask_b32_e32 v0, v0, v2, vcc
	v_lshlrev_b32_e32 v2, 24, v7
	v_mov_b32_e32 v4, 0x3b800000
	v_lshlrev_b32_e32 v1, 20, v1
	v_and_b32_e32 v2, 0x80000000, v2
	v_lshl_add_u32 v0, v0, 23, v4
	v_or3_b32 v0, v2, v0, v1
.LBB34_2020:
	s_or_b64 exec, exec, s[6:7]
	s_movk_i32 s4, 0x7f
	v_cmp_gt_i16_sdwa s[6:7], v3, s4 src0_sel:BYTE_0 src1_sel:DWORD
	s_mov_b64 s[4:5], 0
                                        ; implicit-def: $sgpr10
	s_and_saveexec_b64 s[8:9], s[6:7]
	s_xor_b64 s[6:7], exec, s[8:9]
	s_cbranch_execnz .LBB34_4069
; %bb.2021:
	s_or_saveexec_b64 s[6:7], s[6:7]
	v_mov_b32_e32 v1, s10
	s_xor_b64 exec, exec, s[6:7]
	s_cbranch_execnz .LBB34_4072
.LBB34_2022:
	s_or_b64 exec, exec, s[6:7]
	s_and_saveexec_b64 s[6:7], s[4:5]
	s_cbranch_execz .LBB34_2024
.LBB34_2023:
	v_mov_b32_e32 v1, 8
	v_and_b32_e32 v2, 7, v3
	v_lshrrev_b32_sdwa v1, v1, v3 dst_sel:BYTE_1 dst_unused:UNUSED_PAD src0_sel:DWORD src1_sel:DWORD
	v_ffbh_u32_e32 v4, v2
	v_or_b32_sdwa v1, v3, v1 dst_sel:DWORD dst_unused:UNUSED_PAD src0_sel:BYTE_0 src1_sel:DWORD
	v_min_u32_e32 v4, 32, v4
	v_lshrrev_b16_e32 v1, 3, v1
	v_subrev_u32_e32 v5, 28, v4
	v_and_b32_e32 v1, 15, v1
	v_lshlrev_b32_e32 v5, v5, v3
	v_sub_u32_e32 v4, 29, v4
	v_and_b32_e32 v5, 7, v5
	v_cmp_eq_u16_e32 vcc, 0, v1
	v_cndmask_b32_e32 v2, v2, v5, vcc
	v_cndmask_b32_e32 v1, v1, v4, vcc
	v_lshlrev_b32_e32 v4, 24, v3
	v_mov_b32_e32 v5, 0x3b800000
	v_lshlrev_b32_e32 v2, 20, v2
	v_and_b32_e32 v4, 0x80000000, v4
	v_lshl_add_u32 v1, v1, 23, v5
	v_or3_b32 v1, v4, v1, v2
.LBB34_2024:
	s_or_b64 exec, exec, s[6:7]
	s_nop 0
	v_mfma_f32_16x16x4f32 a[0:3], v0, v1, a[0:3]
	v_lshrrev_b32_e32 v1, 8, v7
	s_movk_i32 s4, 0x7f
	v_cmp_gt_i16_sdwa s[6:7], v1, s4 src0_sel:BYTE_0 src1_sel:DWORD
	s_mov_b64 s[4:5], 0
                                        ; implicit-def: $sgpr10
	s_and_saveexec_b64 s[8:9], s[6:7]
	s_xor_b64 s[6:7], exec, s[8:9]
	s_cbranch_execnz .LBB34_4073
; %bb.2025:
	s_or_saveexec_b64 s[6:7], s[6:7]
	v_mov_b32_e32 v0, s10
	s_xor_b64 exec, exec, s[6:7]
	s_cbranch_execnz .LBB34_4076
.LBB34_2026:
	s_or_b64 exec, exec, s[6:7]
	s_and_saveexec_b64 s[6:7], s[4:5]
	s_cbranch_execz .LBB34_2028
.LBB34_2027:
	v_bfe_u32 v0, v7, 8, 3
	v_ffbh_u32_e32 v4, v0
	v_min_u32_e32 v4, 32, v4
	v_lshrrev_b16_e32 v2, 3, v1
	v_subrev_u32_e32 v5, 28, v4
	v_and_b32_e32 v2, 15, v2
	v_lshlrev_b32_e32 v1, v5, v1
	v_sub_u32_e32 v4, 29, v4
	v_and_b32_e32 v1, 7, v1
	v_cmp_eq_u16_e32 vcc, 0, v2
	v_cndmask_b32_e32 v0, v0, v1, vcc
	v_cndmask_b32_e32 v1, v2, v4, vcc
	v_lshlrev_b32_e32 v2, 16, v7
	v_mov_b32_e32 v4, 0x3b800000
	v_lshlrev_b32_e32 v0, 20, v0
	v_and_b32_e32 v2, 0x80000000, v2
	v_lshl_add_u32 v1, v1, 23, v4
	v_or3_b32 v0, v2, v1, v0
.LBB34_2028:
	s_or_b64 exec, exec, s[6:7]
	v_lshrrev_b32_e32 v1, 8, v3
	s_movk_i32 s4, 0x7f
	v_cmp_gt_i16_sdwa s[6:7], v1, s4 src0_sel:BYTE_0 src1_sel:DWORD
	s_mov_b64 s[4:5], 0
                                        ; implicit-def: $sgpr10
	s_and_saveexec_b64 s[8:9], s[6:7]
	s_xor_b64 s[6:7], exec, s[8:9]
	s_cbranch_execnz .LBB34_4077
; %bb.2029:
	s_or_saveexec_b64 s[6:7], s[6:7]
	v_mov_b32_e32 v2, s10
	s_xor_b64 exec, exec, s[6:7]
	s_cbranch_execnz .LBB34_4080
.LBB34_2030:
	s_or_b64 exec, exec, s[6:7]
	s_and_saveexec_b64 s[6:7], s[4:5]
	s_cbranch_execz .LBB34_2032
.LBB34_2031:
	v_bfe_u32 v2, v3, 8, 3
	v_ffbh_u32_e32 v5, v2
	v_min_u32_e32 v5, 32, v5
	v_lshrrev_b16_e32 v4, 3, v1
	v_subrev_u32_e32 v6, 28, v5
	v_and_b32_e32 v4, 15, v4
	v_lshlrev_b32_e32 v1, v6, v1
	v_sub_u32_e32 v5, 29, v5
	v_and_b32_e32 v1, 7, v1
	v_cmp_eq_u16_e32 vcc, 0, v4
	v_cndmask_b32_e32 v1, v2, v1, vcc
	v_cndmask_b32_e32 v2, v4, v5, vcc
	v_lshlrev_b32_e32 v4, 16, v3
	v_mov_b32_e32 v5, 0x3b800000
	v_lshlrev_b32_e32 v1, 20, v1
	v_and_b32_e32 v4, 0x80000000, v4
	v_lshl_add_u32 v2, v2, 23, v5
	v_or3_b32 v2, v4, v2, v1
.LBB34_2032:
	s_or_b64 exec, exec, s[6:7]
	s_nop 0
	v_mfma_f32_16x16x4f32 a[0:3], v0, v2, a[0:3]
	s_movk_i32 s4, 0xff
	v_and_b32_sdwa v1, v7, s4 dst_sel:DWORD dst_unused:UNUSED_PAD src0_sel:WORD_1 src1_sel:DWORD
	s_movk_i32 s4, 0x7f
	v_cmp_lt_i16_e32 vcc, s4, v1
	s_mov_b64 s[4:5], 0
                                        ; implicit-def: $sgpr10
	s_and_saveexec_b64 s[6:7], vcc
	s_xor_b64 s[6:7], exec, s[6:7]
	s_cbranch_execnz .LBB34_4081
; %bb.2033:
	s_or_saveexec_b64 s[6:7], s[6:7]
	v_mov_b32_e32 v0, s10
	s_xor_b64 exec, exec, s[6:7]
	s_cbranch_execnz .LBB34_4084
.LBB34_2034:
	s_or_b64 exec, exec, s[6:7]
	s_and_saveexec_b64 s[6:7], s[4:5]
	s_cbranch_execz .LBB34_2036
.LBB34_2035:
	v_bfe_u32 v0, v7, 16, 3
	v_ffbh_u32_e32 v4, v0
	v_min_u32_e32 v4, 32, v4
	v_lshrrev_b32_e32 v1, 19, v7
	v_subrev_u32_e32 v5, 28, v4
	v_and_b32_e32 v1, 15, v1
	v_lshlrev_b32_sdwa v5, v5, v7 dst_sel:DWORD dst_unused:UNUSED_PAD src0_sel:DWORD src1_sel:WORD_1
	v_bfe_u32 v2, v7, 19, 4
	v_sub_u32_e32 v4, 29, v4
	v_and_b32_e32 v5, 7, v5
	v_cmp_eq_u16_e32 vcc, 0, v1
	v_cndmask_b32_e32 v0, v0, v5, vcc
	v_cndmask_b32_e32 v1, v2, v4, vcc
	v_lshlrev_b32_e32 v2, 8, v7
	v_mov_b32_e32 v4, 0x3b800000
	v_lshlrev_b32_e32 v0, 20, v0
	v_and_b32_e32 v2, 0x80000000, v2
	v_lshl_add_u32 v1, v1, 23, v4
	v_or3_b32 v0, v2, v1, v0
.LBB34_2036:
	s_or_b64 exec, exec, s[6:7]
	s_movk_i32 s4, 0xff
	v_and_b32_sdwa v1, v3, s4 dst_sel:DWORD dst_unused:UNUSED_PAD src0_sel:WORD_1 src1_sel:DWORD
	s_movk_i32 s4, 0x7f
	v_cmp_lt_i16_e32 vcc, s4, v1
	s_mov_b64 s[4:5], 0
                                        ; implicit-def: $sgpr10
	s_and_saveexec_b64 s[6:7], vcc
	s_xor_b64 s[6:7], exec, s[6:7]
	s_cbranch_execnz .LBB34_4085
; %bb.2037:
	s_or_saveexec_b64 s[6:7], s[6:7]
	v_mov_b32_e32 v2, s10
	s_xor_b64 exec, exec, s[6:7]
	s_cbranch_execnz .LBB34_4088
.LBB34_2038:
	s_or_b64 exec, exec, s[6:7]
	s_and_saveexec_b64 s[6:7], s[4:5]
	s_cbranch_execz .LBB34_2040
.LBB34_2039:
	v_bfe_u32 v1, v3, 16, 3
	v_ffbh_u32_e32 v5, v1
	v_min_u32_e32 v5, 32, v5
	v_lshrrev_b32_e32 v2, 19, v3
	v_subrev_u32_e32 v6, 28, v5
	v_and_b32_e32 v2, 15, v2
	v_lshlrev_b32_sdwa v6, v6, v3 dst_sel:DWORD dst_unused:UNUSED_PAD src0_sel:DWORD src1_sel:WORD_1
	v_bfe_u32 v4, v3, 19, 4
	v_sub_u32_e32 v5, 29, v5
	v_and_b32_e32 v6, 7, v6
	v_cmp_eq_u16_e32 vcc, 0, v2
	v_cndmask_b32_e32 v1, v1, v6, vcc
	v_cndmask_b32_e32 v2, v4, v5, vcc
	v_lshlrev_b32_e32 v4, 8, v3
	v_mov_b32_e32 v5, 0x3b800000
	v_lshlrev_b32_e32 v1, 20, v1
	v_and_b32_e32 v4, 0x80000000, v4
	v_lshl_add_u32 v2, v2, 23, v5
	v_or3_b32 v2, v4, v2, v1
.LBB34_2040:
	s_or_b64 exec, exec, s[6:7]
	s_nop 0
	v_mfma_f32_16x16x4f32 a[0:3], v0, v2, a[0:3]
	s_movk_i32 s4, 0x7f
	v_cmp_gt_i16_sdwa s[6:7], v7, s4 src0_sel:BYTE_3 src1_sel:DWORD
	s_mov_b64 s[4:5], 0
                                        ; implicit-def: $sgpr10
	s_and_saveexec_b64 s[8:9], s[6:7]
	s_xor_b64 s[6:7], exec, s[8:9]
	s_cbranch_execnz .LBB34_4089
; %bb.2041:
	s_or_saveexec_b64 s[6:7], s[6:7]
	v_mov_b32_e32 v0, s10
	s_xor_b64 exec, exec, s[6:7]
	s_cbranch_execnz .LBB34_4092
.LBB34_2042:
	s_or_b64 exec, exec, s[6:7]
	s_and_saveexec_b64 s[6:7], s[4:5]
	s_cbranch_execz .LBB34_2044
.LBB34_2043:
	v_bfe_u32 v0, v7, 24, 3
	v_ffbh_u32_e32 v5, v0
	v_min_u32_e32 v5, 32, v5
	v_lshrrev_b32_e32 v2, 27, v7
	v_subrev_u32_e32 v6, 28, v5
	v_and_b32_e32 v2, 15, v2
	v_lshlrev_b32_sdwa v6, v6, v7 dst_sel:DWORD dst_unused:UNUSED_PAD src0_sel:DWORD src1_sel:BYTE_3
	v_bfe_u32 v4, v7, 27, 4
	v_sub_u32_e32 v5, 29, v5
	v_and_b32_e32 v6, 7, v6
	v_cmp_eq_u16_e32 vcc, 0, v2
	v_cndmask_b32_e32 v0, v0, v6, vcc
	v_cndmask_b32_e32 v2, v4, v5, vcc
	v_mov_b32_e32 v4, 0x3b800000
	v_and_b32_e32 v1, 0x80000000, v7
	v_lshlrev_b32_e32 v0, 20, v0
	v_lshl_add_u32 v2, v2, 23, v4
	v_or3_b32 v0, v1, v2, v0
.LBB34_2044:
	s_or_b64 exec, exec, s[6:7]
	s_movk_i32 s4, 0x7f
	v_cmp_gt_i16_sdwa s[6:7], v3, s4 src0_sel:BYTE_3 src1_sel:DWORD
	s_mov_b64 s[4:5], 0
                                        ; implicit-def: $sgpr10
	s_and_saveexec_b64 s[8:9], s[6:7]
	s_xor_b64 s[6:7], exec, s[8:9]
	s_cbranch_execnz .LBB34_4093
; %bb.2045:
	s_or_saveexec_b64 s[6:7], s[6:7]
	v_mov_b32_e32 v1, s10
	s_xor_b64 exec, exec, s[6:7]
	s_cbranch_execnz .LBB34_4096
.LBB34_2046:
	s_or_b64 exec, exec, s[6:7]
	s_and_saveexec_b64 s[6:7], s[4:5]
	s_cbranch_execz .LBB34_2048
.LBB34_2047:
	v_bfe_u32 v1, v3, 24, 3
	v_ffbh_u32_e32 v6, v1
	v_min_u32_e32 v6, 32, v6
	v_lshrrev_b32_e32 v4, 27, v3
	v_subrev_u32_e32 v7, 28, v6
	v_and_b32_e32 v2, 0x80000000, v3
	v_and_b32_e32 v4, 15, v4
	v_bfe_u32 v5, v3, 27, 4
	v_lshlrev_b32_sdwa v3, v7, v3 dst_sel:DWORD dst_unused:UNUSED_PAD src0_sel:DWORD src1_sel:BYTE_3
	v_sub_u32_e32 v6, 29, v6
	v_and_b32_e32 v3, 7, v3
	v_cmp_eq_u16_e32 vcc, 0, v4
	v_cndmask_b32_e32 v1, v1, v3, vcc
	v_cndmask_b32_e32 v3, v5, v6, vcc
	v_mov_b32_e32 v4, 0x3b800000
	v_lshlrev_b32_e32 v1, 20, v1
	v_lshl_add_u32 v3, v3, 23, v4
	v_or3_b32 v1, v2, v3, v1
.LBB34_2048:
	s_or_b64 exec, exec, s[6:7]
	s_nop 0
	v_mfma_f32_16x16x4f32 a[0:3], v0, v1, a[0:3]
	s_nop 7
	s_nop 2
	flat_store_dwordx4 v[16:17], a[0:3] offset:880
	s_waitcnt vmcnt(0) lgkmcnt(0)
	s_setpc_b64 s[30:31]
.LBB34_2049:
	s_movk_i32 s4, 0x80
	v_cmp_eq_u16_sdwa s[12:13], v14, s4 src0_sel:BYTE_0 src1_sel:DWORD
	s_mov_b64 s[4:5], -1
                                        ; implicit-def: $sgpr10
	s_and_saveexec_b64 s[8:9], s[12:13]
; %bb.2050:
	s_mov_b32 s10, 0x7f800001
	s_xor_b64 s[4:5], exec, -1
; %bb.2051:
	s_or_b64 exec, exec, s[8:9]
	s_and_b64 s[4:5], s[4:5], exec
	s_or_saveexec_b64 s[6:7], s[6:7]
	v_mov_b32_e32 v20, s10
	s_xor_b64 exec, exec, s[6:7]
	s_cbranch_execz .LBB34_2
.LBB34_2052:
	v_mov_b32_e32 v20, 0
	v_cmp_ne_u16_sdwa s[8:9], v14, v20 src0_sel:BYTE_0 src1_sel:DWORD
	s_andn2_b64 s[4:5], s[4:5], exec
	s_and_b64 s[8:9], s[8:9], exec
	s_or_b64 s[4:5], s[4:5], s[8:9]
	s_or_b64 exec, exec, s[6:7]
	s_and_saveexec_b64 s[6:7], s[4:5]
	s_cbranch_execnz .LBB34_3
	s_branch .LBB34_4
.LBB34_2053:
	s_movk_i32 s4, 0x80
	v_cmp_eq_u16_sdwa s[12:13], v10, s4 src0_sel:BYTE_0 src1_sel:DWORD
	s_mov_b64 s[4:5], -1
                                        ; implicit-def: $sgpr10
	s_and_saveexec_b64 s[8:9], s[12:13]
; %bb.2054:
	s_mov_b32 s10, 0x7f800001
	s_xor_b64 s[4:5], exec, -1
; %bb.2055:
	s_or_b64 exec, exec, s[8:9]
	s_and_b64 s[4:5], s[4:5], exec
	s_or_saveexec_b64 s[6:7], s[6:7]
	v_mov_b32_e32 v21, s10
	s_xor_b64 exec, exec, s[6:7]
	s_cbranch_execz .LBB34_6
.LBB34_2056:
	v_mov_b32_e32 v21, 0
	v_cmp_ne_u16_sdwa s[8:9], v10, v21 src0_sel:BYTE_0 src1_sel:DWORD
	s_andn2_b64 s[4:5], s[4:5], exec
	s_and_b64 s[8:9], s[8:9], exec
	s_or_b64 s[4:5], s[4:5], s[8:9]
	s_or_b64 exec, exec, s[6:7]
	s_and_saveexec_b64 s[6:7], s[4:5]
	s_cbranch_execnz .LBB34_7
	s_branch .LBB34_8
.LBB34_2057:
	s_movk_i32 s4, 0x80
	v_cmp_eq_u16_sdwa s[12:13], v21, s4 src0_sel:BYTE_0 src1_sel:DWORD
	s_mov_b64 s[4:5], -1
                                        ; implicit-def: $sgpr10
	s_and_saveexec_b64 s[8:9], s[12:13]
; %bb.2058:
	s_mov_b32 s10, 0x7f800001
	s_xor_b64 s[4:5], exec, -1
; %bb.2059:
	s_or_b64 exec, exec, s[8:9]
	s_and_b64 s[4:5], s[4:5], exec
	s_or_saveexec_b64 s[6:7], s[6:7]
	v_mov_b32_e32 v20, s10
	s_xor_b64 exec, exec, s[6:7]
	s_cbranch_execz .LBB34_10
.LBB34_2060:
	v_mov_b32_e32 v20, 0
	v_cmp_ne_u16_sdwa s[8:9], v21, v20 src0_sel:BYTE_0 src1_sel:DWORD
	s_andn2_b64 s[4:5], s[4:5], exec
	s_and_b64 s[8:9], s[8:9], exec
	s_or_b64 s[4:5], s[4:5], s[8:9]
	s_or_b64 exec, exec, s[6:7]
	s_and_saveexec_b64 s[6:7], s[4:5]
	s_cbranch_execnz .LBB34_11
	s_branch .LBB34_12
.LBB34_2061:
	s_movk_i32 s4, 0x80
	v_cmp_eq_u16_sdwa s[12:13], v21, s4 src0_sel:BYTE_0 src1_sel:DWORD
	s_mov_b64 s[4:5], -1
                                        ; implicit-def: $sgpr10
	s_and_saveexec_b64 s[8:9], s[12:13]
; %bb.2062:
	s_mov_b32 s10, 0x7f800001
	s_xor_b64 s[4:5], exec, -1
; %bb.2063:
	s_or_b64 exec, exec, s[8:9]
	s_and_b64 s[4:5], s[4:5], exec
	s_or_saveexec_b64 s[6:7], s[6:7]
	v_mov_b32_e32 v22, s10
	s_xor_b64 exec, exec, s[6:7]
	s_cbranch_execz .LBB34_14
.LBB34_2064:
	v_mov_b32_e32 v22, 0
	v_cmp_ne_u16_sdwa s[8:9], v21, v22 src0_sel:BYTE_0 src1_sel:DWORD
	s_andn2_b64 s[4:5], s[4:5], exec
	s_and_b64 s[8:9], s[8:9], exec
	s_or_b64 s[4:5], s[4:5], s[8:9]
	s_or_b64 exec, exec, s[6:7]
	s_and_saveexec_b64 s[6:7], s[4:5]
	s_cbranch_execnz .LBB34_15
	s_branch .LBB34_16
.LBB34_2065:
	s_movk_i32 s4, 0x80
	v_cmp_eq_u16_e32 vcc, s4, v21
	s_mov_b64 s[4:5], -1
                                        ; implicit-def: $sgpr10
	s_and_saveexec_b64 s[8:9], vcc
; %bb.2066:
	s_mov_b32 s10, 0x7f800001
	s_xor_b64 s[4:5], exec, -1
; %bb.2067:
	s_or_b64 exec, exec, s[8:9]
	s_and_b64 s[4:5], s[4:5], exec
                                        ; implicit-def: $vgpr21
	s_or_saveexec_b64 s[6:7], s[6:7]
	v_mov_b32_e32 v20, s10
	s_xor_b64 exec, exec, s[6:7]
	s_cbranch_execz .LBB34_18
.LBB34_2068:
	v_cmp_ne_u16_e32 vcc, 0, v21
	s_andn2_b64 s[4:5], s[4:5], exec
	s_and_b64 s[8:9], vcc, exec
	v_mov_b32_e32 v20, 0
	s_or_b64 s[4:5], s[4:5], s[8:9]
	s_or_b64 exec, exec, s[6:7]
	s_and_saveexec_b64 s[6:7], s[4:5]
	s_cbranch_execnz .LBB34_19
	s_branch .LBB34_20
.LBB34_2069:
	s_movk_i32 s4, 0x80
	v_cmp_eq_u16_e32 vcc, s4, v21
	s_mov_b64 s[4:5], -1
                                        ; implicit-def: $sgpr10
	s_and_saveexec_b64 s[8:9], vcc
; %bb.2070:
	s_mov_b32 s10, 0x7f800001
	s_xor_b64 s[4:5], exec, -1
; %bb.2071:
	s_or_b64 exec, exec, s[8:9]
	s_and_b64 s[4:5], s[4:5], exec
                                        ; implicit-def: $vgpr21
	s_or_saveexec_b64 s[6:7], s[6:7]
	v_mov_b32_e32 v22, s10
	s_xor_b64 exec, exec, s[6:7]
	s_cbranch_execz .LBB34_22
.LBB34_2072:
	v_cmp_ne_u16_e32 vcc, 0, v21
	s_andn2_b64 s[4:5], s[4:5], exec
	s_and_b64 s[8:9], vcc, exec
	v_mov_b32_e32 v22, 0
	s_or_b64 s[4:5], s[4:5], s[8:9]
	s_or_b64 exec, exec, s[6:7]
	s_and_saveexec_b64 s[6:7], s[4:5]
	s_cbranch_execnz .LBB34_23
	s_branch .LBB34_24
.LBB34_2073:
	s_movk_i32 s4, 0x80
	v_cmp_eq_u16_sdwa s[12:13], v14, s4 src0_sel:BYTE_3 src1_sel:DWORD
	s_mov_b64 s[4:5], -1
                                        ; implicit-def: $sgpr10
	s_and_saveexec_b64 s[8:9], s[12:13]
; %bb.2074:
	s_mov_b32 s10, 0x7f800001
	s_xor_b64 s[4:5], exec, -1
; %bb.2075:
	s_or_b64 exec, exec, s[8:9]
	s_and_b64 s[4:5], s[4:5], exec
	s_or_saveexec_b64 s[6:7], s[6:7]
	v_mov_b32_e32 v20, s10
	s_xor_b64 exec, exec, s[6:7]
	s_cbranch_execz .LBB34_26
.LBB34_2076:
	v_mov_b32_e32 v20, 0
	v_cmp_ne_u16_sdwa s[8:9], v14, v20 src0_sel:BYTE_3 src1_sel:DWORD
	s_andn2_b64 s[4:5], s[4:5], exec
	s_and_b64 s[8:9], s[8:9], exec
	s_or_b64 s[4:5], s[4:5], s[8:9]
	s_or_b64 exec, exec, s[6:7]
	s_and_saveexec_b64 s[6:7], s[4:5]
	s_cbranch_execnz .LBB34_27
	s_branch .LBB34_28
.LBB34_2077:
	s_movk_i32 s4, 0x80
	v_cmp_eq_u16_sdwa s[12:13], v10, s4 src0_sel:BYTE_3 src1_sel:DWORD
	s_mov_b64 s[4:5], -1
                                        ; implicit-def: $sgpr10
	s_and_saveexec_b64 s[8:9], s[12:13]
; %bb.2078:
	s_mov_b32 s10, 0x7f800001
	s_xor_b64 s[4:5], exec, -1
; %bb.2079:
	s_or_b64 exec, exec, s[8:9]
	s_and_b64 s[4:5], s[4:5], exec
	s_or_saveexec_b64 s[6:7], s[6:7]
	v_mov_b32_e32 v14, s10
	s_xor_b64 exec, exec, s[6:7]
	s_cbranch_execz .LBB34_30
.LBB34_2080:
	v_mov_b32_e32 v14, 0
	v_cmp_ne_u16_sdwa s[8:9], v10, v14 src0_sel:BYTE_3 src1_sel:DWORD
	s_andn2_b64 s[4:5], s[4:5], exec
	s_and_b64 s[8:9], s[8:9], exec
	s_or_b64 s[4:5], s[4:5], s[8:9]
	s_or_b64 exec, exec, s[6:7]
	s_and_saveexec_b64 s[6:7], s[4:5]
	s_cbranch_execnz .LBB34_31
	s_branch .LBB34_32
.LBB34_2081:
	s_movk_i32 s4, 0x80
	v_cmp_eq_u16_sdwa s[12:13], v15, s4 src0_sel:BYTE_0 src1_sel:DWORD
	s_mov_b64 s[4:5], -1
                                        ; implicit-def: $sgpr10
	s_and_saveexec_b64 s[8:9], s[12:13]
; %bb.2082:
	s_mov_b32 s10, 0x7f800001
	s_xor_b64 s[4:5], exec, -1
; %bb.2083:
	s_or_b64 exec, exec, s[8:9]
	s_and_b64 s[4:5], s[4:5], exec
	s_or_saveexec_b64 s[6:7], s[6:7]
	v_mov_b32_e32 v10, s10
	s_xor_b64 exec, exec, s[6:7]
	s_cbranch_execz .LBB34_34
.LBB34_2084:
	v_mov_b32_e32 v10, 0
	v_cmp_ne_u16_sdwa s[8:9], v15, v10 src0_sel:BYTE_0 src1_sel:DWORD
	s_andn2_b64 s[4:5], s[4:5], exec
	s_and_b64 s[8:9], s[8:9], exec
	s_or_b64 s[4:5], s[4:5], s[8:9]
	s_or_b64 exec, exec, s[6:7]
	s_and_saveexec_b64 s[6:7], s[4:5]
	s_cbranch_execnz .LBB34_35
	s_branch .LBB34_36
.LBB34_2085:
	s_movk_i32 s4, 0x80
	v_cmp_eq_u16_sdwa s[12:13], v11, s4 src0_sel:BYTE_0 src1_sel:DWORD
	s_mov_b64 s[4:5], -1
                                        ; implicit-def: $sgpr10
	s_and_saveexec_b64 s[8:9], s[12:13]
; %bb.2086:
	s_mov_b32 s10, 0x7f800001
	s_xor_b64 s[4:5], exec, -1
; %bb.2087:
	s_or_b64 exec, exec, s[8:9]
	s_and_b64 s[4:5], s[4:5], exec
	s_or_saveexec_b64 s[6:7], s[6:7]
	v_mov_b32_e32 v14, s10
	s_xor_b64 exec, exec, s[6:7]
	s_cbranch_execz .LBB34_38
.LBB34_2088:
	v_mov_b32_e32 v14, 0
	v_cmp_ne_u16_sdwa s[8:9], v11, v14 src0_sel:BYTE_0 src1_sel:DWORD
	s_andn2_b64 s[4:5], s[4:5], exec
	s_and_b64 s[8:9], s[8:9], exec
	s_or_b64 s[4:5], s[4:5], s[8:9]
	s_or_b64 exec, exec, s[6:7]
	s_and_saveexec_b64 s[6:7], s[4:5]
	s_cbranch_execnz .LBB34_39
	s_branch .LBB34_40
.LBB34_2089:
	s_movk_i32 s4, 0x80
	v_cmp_eq_u16_sdwa s[12:13], v14, s4 src0_sel:BYTE_0 src1_sel:DWORD
	s_mov_b64 s[4:5], -1
                                        ; implicit-def: $sgpr10
	s_and_saveexec_b64 s[8:9], s[12:13]
; %bb.2090:
	s_mov_b32 s10, 0x7f800001
	s_xor_b64 s[4:5], exec, -1
; %bb.2091:
	s_or_b64 exec, exec, s[8:9]
	s_and_b64 s[4:5], s[4:5], exec
	s_or_saveexec_b64 s[6:7], s[6:7]
	v_mov_b32_e32 v10, s10
	s_xor_b64 exec, exec, s[6:7]
	s_cbranch_execz .LBB34_42
.LBB34_2092:
	v_mov_b32_e32 v10, 0
	v_cmp_ne_u16_sdwa s[8:9], v14, v10 src0_sel:BYTE_0 src1_sel:DWORD
	s_andn2_b64 s[4:5], s[4:5], exec
	s_and_b64 s[8:9], s[8:9], exec
	s_or_b64 s[4:5], s[4:5], s[8:9]
	s_or_b64 exec, exec, s[6:7]
	s_and_saveexec_b64 s[6:7], s[4:5]
	s_cbranch_execnz .LBB34_43
	s_branch .LBB34_44
.LBB34_2093:
	s_movk_i32 s4, 0x80
	v_cmp_eq_u16_sdwa s[12:13], v14, s4 src0_sel:BYTE_0 src1_sel:DWORD
	s_mov_b64 s[4:5], -1
                                        ; implicit-def: $sgpr10
	s_and_saveexec_b64 s[8:9], s[12:13]
; %bb.2094:
	s_mov_b32 s10, 0x7f800001
	s_xor_b64 s[4:5], exec, -1
; %bb.2095:
	s_or_b64 exec, exec, s[8:9]
	s_and_b64 s[4:5], s[4:5], exec
	s_or_saveexec_b64 s[6:7], s[6:7]
	v_mov_b32_e32 v20, s10
	s_xor_b64 exec, exec, s[6:7]
	s_cbranch_execz .LBB34_46
.LBB34_2096:
	v_mov_b32_e32 v20, 0
	v_cmp_ne_u16_sdwa s[8:9], v14, v20 src0_sel:BYTE_0 src1_sel:DWORD
	s_andn2_b64 s[4:5], s[4:5], exec
	s_and_b64 s[8:9], s[8:9], exec
	s_or_b64 s[4:5], s[4:5], s[8:9]
	s_or_b64 exec, exec, s[6:7]
	s_and_saveexec_b64 s[6:7], s[4:5]
	s_cbranch_execnz .LBB34_47
	s_branch .LBB34_48
.LBB34_2097:
	s_movk_i32 s4, 0x80
	v_cmp_eq_u16_e32 vcc, s4, v14
	s_mov_b64 s[4:5], -1
                                        ; implicit-def: $sgpr10
	s_and_saveexec_b64 s[8:9], vcc
; %bb.2098:
	s_mov_b32 s10, 0x7f800001
	s_xor_b64 s[4:5], exec, -1
; %bb.2099:
	s_or_b64 exec, exec, s[8:9]
	s_and_b64 s[4:5], s[4:5], exec
                                        ; implicit-def: $vgpr14
	s_or_saveexec_b64 s[6:7], s[6:7]
	v_mov_b32_e32 v10, s10
	s_xor_b64 exec, exec, s[6:7]
	s_cbranch_execz .LBB34_50
.LBB34_2100:
	v_cmp_ne_u16_e32 vcc, 0, v14
	s_andn2_b64 s[4:5], s[4:5], exec
	s_and_b64 s[8:9], vcc, exec
	v_mov_b32_e32 v10, 0
	s_or_b64 s[4:5], s[4:5], s[8:9]
	s_or_b64 exec, exec, s[6:7]
	s_and_saveexec_b64 s[6:7], s[4:5]
	s_cbranch_execnz .LBB34_51
	s_branch .LBB34_52
.LBB34_2101:
	s_movk_i32 s4, 0x80
	v_cmp_eq_u16_e32 vcc, s4, v14
	s_mov_b64 s[4:5], -1
                                        ; implicit-def: $sgpr10
	s_and_saveexec_b64 s[8:9], vcc
; %bb.2102:
	s_mov_b32 s10, 0x7f800001
	s_xor_b64 s[4:5], exec, -1
; %bb.2103:
	s_or_b64 exec, exec, s[8:9]
	s_and_b64 s[4:5], s[4:5], exec
                                        ; implicit-def: $vgpr14
	s_or_saveexec_b64 s[6:7], s[6:7]
	v_mov_b32_e32 v20, s10
	s_xor_b64 exec, exec, s[6:7]
	s_cbranch_execz .LBB34_54
.LBB34_2104:
	v_cmp_ne_u16_e32 vcc, 0, v14
	s_andn2_b64 s[4:5], s[4:5], exec
	s_and_b64 s[8:9], vcc, exec
	v_mov_b32_e32 v20, 0
	s_or_b64 s[4:5], s[4:5], s[8:9]
	s_or_b64 exec, exec, s[6:7]
	s_and_saveexec_b64 s[6:7], s[4:5]
	s_cbranch_execnz .LBB34_55
	s_branch .LBB34_56
.LBB34_2105:
	s_movk_i32 s4, 0x80
	v_cmp_eq_u16_sdwa s[12:13], v15, s4 src0_sel:BYTE_3 src1_sel:DWORD
	s_mov_b64 s[4:5], -1
                                        ; implicit-def: $sgpr10
	s_and_saveexec_b64 s[8:9], s[12:13]
; %bb.2106:
	s_mov_b32 s10, 0x7f800001
	s_xor_b64 s[4:5], exec, -1
; %bb.2107:
	s_or_b64 exec, exec, s[8:9]
	s_and_b64 s[4:5], s[4:5], exec
	s_or_saveexec_b64 s[6:7], s[6:7]
	v_mov_b32_e32 v10, s10
	s_xor_b64 exec, exec, s[6:7]
	s_cbranch_execz .LBB34_58
.LBB34_2108:
	v_mov_b32_e32 v10, 0
	v_cmp_ne_u16_sdwa s[8:9], v15, v10 src0_sel:BYTE_3 src1_sel:DWORD
	s_andn2_b64 s[4:5], s[4:5], exec
	s_and_b64 s[8:9], s[8:9], exec
	s_or_b64 s[4:5], s[4:5], s[8:9]
	s_or_b64 exec, exec, s[6:7]
	s_and_saveexec_b64 s[6:7], s[4:5]
	s_cbranch_execnz .LBB34_59
	s_branch .LBB34_60
.LBB34_2109:
	s_movk_i32 s4, 0x80
	v_cmp_eq_u16_sdwa s[12:13], v11, s4 src0_sel:BYTE_3 src1_sel:DWORD
	s_mov_b64 s[4:5], -1
                                        ; implicit-def: $sgpr10
	s_and_saveexec_b64 s[8:9], s[12:13]
; %bb.2110:
	s_mov_b32 s10, 0x7f800001
	s_xor_b64 s[4:5], exec, -1
; %bb.2111:
	s_or_b64 exec, exec, s[8:9]
	s_and_b64 s[4:5], s[4:5], exec
	s_or_saveexec_b64 s[6:7], s[6:7]
	v_mov_b32_e32 v14, s10
	s_xor_b64 exec, exec, s[6:7]
	s_cbranch_execz .LBB34_62
.LBB34_2112:
	v_mov_b32_e32 v14, 0
	v_cmp_ne_u16_sdwa s[8:9], v11, v14 src0_sel:BYTE_3 src1_sel:DWORD
	s_andn2_b64 s[4:5], s[4:5], exec
	s_and_b64 s[8:9], s[8:9], exec
	s_or_b64 s[4:5], s[4:5], s[8:9]
	s_or_b64 exec, exec, s[6:7]
	s_and_saveexec_b64 s[6:7], s[4:5]
	s_cbranch_execnz .LBB34_63
	s_branch .LBB34_64
.LBB34_2113:
	s_movk_i32 s4, 0x80
	v_cmp_eq_u16_sdwa s[12:13], v16, s4 src0_sel:BYTE_0 src1_sel:DWORD
	s_mov_b64 s[4:5], -1
                                        ; implicit-def: $sgpr10
	s_and_saveexec_b64 s[8:9], s[12:13]
; %bb.2114:
	s_mov_b32 s10, 0x7f800001
	s_xor_b64 s[4:5], exec, -1
; %bb.2115:
	s_or_b64 exec, exec, s[8:9]
	s_and_b64 s[4:5], s[4:5], exec
	s_or_saveexec_b64 s[6:7], s[6:7]
	v_mov_b32_e32 v10, s10
	s_xor_b64 exec, exec, s[6:7]
	s_cbranch_execz .LBB34_66
.LBB34_2116:
	v_mov_b32_e32 v10, 0
	v_cmp_ne_u16_sdwa s[8:9], v16, v10 src0_sel:BYTE_0 src1_sel:DWORD
	s_andn2_b64 s[4:5], s[4:5], exec
	s_and_b64 s[8:9], s[8:9], exec
	s_or_b64 s[4:5], s[4:5], s[8:9]
	s_or_b64 exec, exec, s[6:7]
	s_and_saveexec_b64 s[6:7], s[4:5]
	s_cbranch_execnz .LBB34_67
	s_branch .LBB34_68
.LBB34_2117:
	s_movk_i32 s4, 0x80
	v_cmp_eq_u16_sdwa s[12:13], v12, s4 src0_sel:BYTE_0 src1_sel:DWORD
	s_mov_b64 s[4:5], -1
                                        ; implicit-def: $sgpr10
	s_and_saveexec_b64 s[8:9], s[12:13]
; %bb.2118:
	s_mov_b32 s10, 0x7f800001
	s_xor_b64 s[4:5], exec, -1
; %bb.2119:
	s_or_b64 exec, exec, s[8:9]
	s_and_b64 s[4:5], s[4:5], exec
	s_or_saveexec_b64 s[6:7], s[6:7]
	v_mov_b32_e32 v11, s10
	s_xor_b64 exec, exec, s[6:7]
	s_cbranch_execz .LBB34_70
.LBB34_2120:
	v_mov_b32_e32 v11, 0
	v_cmp_ne_u16_sdwa s[8:9], v12, v11 src0_sel:BYTE_0 src1_sel:DWORD
	s_andn2_b64 s[4:5], s[4:5], exec
	s_and_b64 s[8:9], s[8:9], exec
	s_or_b64 s[4:5], s[4:5], s[8:9]
	s_or_b64 exec, exec, s[6:7]
	s_and_saveexec_b64 s[6:7], s[4:5]
	s_cbranch_execnz .LBB34_71
	s_branch .LBB34_72
.LBB34_2121:
	s_movk_i32 s4, 0x80
	v_cmp_eq_u16_sdwa s[12:13], v11, s4 src0_sel:BYTE_0 src1_sel:DWORD
	s_mov_b64 s[4:5], -1
                                        ; implicit-def: $sgpr10
	s_and_saveexec_b64 s[8:9], s[12:13]
; %bb.2122:
	s_mov_b32 s10, 0x7f800001
	s_xor_b64 s[4:5], exec, -1
; %bb.2123:
	s_or_b64 exec, exec, s[8:9]
	s_and_b64 s[4:5], s[4:5], exec
	s_or_saveexec_b64 s[6:7], s[6:7]
	v_mov_b32_e32 v10, s10
	s_xor_b64 exec, exec, s[6:7]
	s_cbranch_execz .LBB34_74
.LBB34_2124:
	v_mov_b32_e32 v10, 0
	v_cmp_ne_u16_sdwa s[8:9], v11, v10 src0_sel:BYTE_0 src1_sel:DWORD
	s_andn2_b64 s[4:5], s[4:5], exec
	s_and_b64 s[8:9], s[8:9], exec
	s_or_b64 s[4:5], s[4:5], s[8:9]
	s_or_b64 exec, exec, s[6:7]
	s_and_saveexec_b64 s[6:7], s[4:5]
	s_cbranch_execnz .LBB34_75
	s_branch .LBB34_76
.LBB34_2125:
	s_movk_i32 s4, 0x80
	v_cmp_eq_u16_sdwa s[12:13], v11, s4 src0_sel:BYTE_0 src1_sel:DWORD
	s_mov_b64 s[4:5], -1
                                        ; implicit-def: $sgpr10
	s_and_saveexec_b64 s[8:9], s[12:13]
; %bb.2126:
	s_mov_b32 s10, 0x7f800001
	s_xor_b64 s[4:5], exec, -1
; %bb.2127:
	s_or_b64 exec, exec, s[8:9]
	s_and_b64 s[4:5], s[4:5], exec
	s_or_saveexec_b64 s[6:7], s[6:7]
	v_mov_b32_e32 v14, s10
	s_xor_b64 exec, exec, s[6:7]
	s_cbranch_execz .LBB34_78
.LBB34_2128:
	v_mov_b32_e32 v14, 0
	v_cmp_ne_u16_sdwa s[8:9], v11, v14 src0_sel:BYTE_0 src1_sel:DWORD
	s_andn2_b64 s[4:5], s[4:5], exec
	s_and_b64 s[8:9], s[8:9], exec
	s_or_b64 s[4:5], s[4:5], s[8:9]
	s_or_b64 exec, exec, s[6:7]
	s_and_saveexec_b64 s[6:7], s[4:5]
	s_cbranch_execnz .LBB34_79
	s_branch .LBB34_80
.LBB34_2129:
	s_movk_i32 s4, 0x80
	v_cmp_eq_u16_e32 vcc, s4, v11
	s_mov_b64 s[4:5], -1
                                        ; implicit-def: $sgpr10
	s_and_saveexec_b64 s[8:9], vcc
; %bb.2130:
	s_mov_b32 s10, 0x7f800001
	s_xor_b64 s[4:5], exec, -1
; %bb.2131:
	s_or_b64 exec, exec, s[8:9]
	s_and_b64 s[4:5], s[4:5], exec
                                        ; implicit-def: $vgpr11
	s_or_saveexec_b64 s[6:7], s[6:7]
	v_mov_b32_e32 v10, s10
	s_xor_b64 exec, exec, s[6:7]
	s_cbranch_execz .LBB34_82
.LBB34_2132:
	v_cmp_ne_u16_e32 vcc, 0, v11
	s_andn2_b64 s[4:5], s[4:5], exec
	s_and_b64 s[8:9], vcc, exec
	v_mov_b32_e32 v10, 0
	s_or_b64 s[4:5], s[4:5], s[8:9]
	s_or_b64 exec, exec, s[6:7]
	s_and_saveexec_b64 s[6:7], s[4:5]
	s_cbranch_execnz .LBB34_83
	s_branch .LBB34_84
.LBB34_2133:
	s_movk_i32 s4, 0x80
	v_cmp_eq_u16_e32 vcc, s4, v11
	s_mov_b64 s[4:5], -1
                                        ; implicit-def: $sgpr10
	s_and_saveexec_b64 s[8:9], vcc
; %bb.2134:
	s_mov_b32 s10, 0x7f800001
	s_xor_b64 s[4:5], exec, -1
; %bb.2135:
	s_or_b64 exec, exec, s[8:9]
	s_and_b64 s[4:5], s[4:5], exec
                                        ; implicit-def: $vgpr11
	s_or_saveexec_b64 s[6:7], s[6:7]
	v_mov_b32_e32 v14, s10
	s_xor_b64 exec, exec, s[6:7]
	s_cbranch_execz .LBB34_86
.LBB34_2136:
	v_cmp_ne_u16_e32 vcc, 0, v11
	s_andn2_b64 s[4:5], s[4:5], exec
	s_and_b64 s[8:9], vcc, exec
	v_mov_b32_e32 v14, 0
	s_or_b64 s[4:5], s[4:5], s[8:9]
	s_or_b64 exec, exec, s[6:7]
	s_and_saveexec_b64 s[6:7], s[4:5]
	s_cbranch_execnz .LBB34_87
	s_branch .LBB34_88
.LBB34_2137:
	s_movk_i32 s4, 0x80
	v_cmp_eq_u16_sdwa s[12:13], v16, s4 src0_sel:BYTE_3 src1_sel:DWORD
	s_mov_b64 s[4:5], -1
                                        ; implicit-def: $sgpr10
	s_and_saveexec_b64 s[8:9], s[12:13]
; %bb.2138:
	s_mov_b32 s10, 0x7f800001
	s_xor_b64 s[4:5], exec, -1
; %bb.2139:
	s_or_b64 exec, exec, s[8:9]
	s_and_b64 s[4:5], s[4:5], exec
	s_or_saveexec_b64 s[6:7], s[6:7]
	v_mov_b32_e32 v10, s10
	s_xor_b64 exec, exec, s[6:7]
	s_cbranch_execz .LBB34_90
.LBB34_2140:
	v_mov_b32_e32 v10, 0
	v_cmp_ne_u16_sdwa s[8:9], v16, v10 src0_sel:BYTE_3 src1_sel:DWORD
	s_andn2_b64 s[4:5], s[4:5], exec
	s_and_b64 s[8:9], s[8:9], exec
	s_or_b64 s[4:5], s[4:5], s[8:9]
	s_or_b64 exec, exec, s[6:7]
	s_and_saveexec_b64 s[6:7], s[4:5]
	s_cbranch_execnz .LBB34_91
	s_branch .LBB34_92
.LBB34_2141:
	s_movk_i32 s4, 0x80
	v_cmp_eq_u16_sdwa s[12:13], v12, s4 src0_sel:BYTE_3 src1_sel:DWORD
	s_mov_b64 s[4:5], -1
                                        ; implicit-def: $sgpr10
	s_and_saveexec_b64 s[8:9], s[12:13]
; %bb.2142:
	s_mov_b32 s10, 0x7f800001
	s_xor_b64 s[4:5], exec, -1
; %bb.2143:
	s_or_b64 exec, exec, s[8:9]
	s_and_b64 s[4:5], s[4:5], exec
	s_or_saveexec_b64 s[6:7], s[6:7]
	v_mov_b32_e32 v11, s10
	s_xor_b64 exec, exec, s[6:7]
	s_cbranch_execz .LBB34_94
.LBB34_2144:
	v_mov_b32_e32 v11, 0
	v_cmp_ne_u16_sdwa s[8:9], v12, v11 src0_sel:BYTE_3 src1_sel:DWORD
	s_andn2_b64 s[4:5], s[4:5], exec
	s_and_b64 s[8:9], s[8:9], exec
	s_or_b64 s[4:5], s[4:5], s[8:9]
	s_or_b64 exec, exec, s[6:7]
	s_and_saveexec_b64 s[6:7], s[4:5]
	s_cbranch_execnz .LBB34_95
	s_branch .LBB34_96
.LBB34_2145:
	s_movk_i32 s4, 0x80
	v_cmp_eq_u16_sdwa s[12:13], v17, s4 src0_sel:BYTE_0 src1_sel:DWORD
	s_mov_b64 s[4:5], -1
                                        ; implicit-def: $sgpr10
	s_and_saveexec_b64 s[8:9], s[12:13]
; %bb.2146:
	s_mov_b32 s10, 0x7f800001
	s_xor_b64 s[4:5], exec, -1
; %bb.2147:
	s_or_b64 exec, exec, s[8:9]
	s_and_b64 s[4:5], s[4:5], exec
	s_or_saveexec_b64 s[6:7], s[6:7]
	v_mov_b32_e32 v10, s10
	s_xor_b64 exec, exec, s[6:7]
	s_cbranch_execz .LBB34_98
.LBB34_2148:
	v_mov_b32_e32 v10, 0
	v_cmp_ne_u16_sdwa s[8:9], v17, v10 src0_sel:BYTE_0 src1_sel:DWORD
	s_andn2_b64 s[4:5], s[4:5], exec
	s_and_b64 s[8:9], s[8:9], exec
	s_or_b64 s[4:5], s[4:5], s[8:9]
	s_or_b64 exec, exec, s[6:7]
	s_and_saveexec_b64 s[6:7], s[4:5]
	s_cbranch_execnz .LBB34_99
	s_branch .LBB34_100
.LBB34_2149:
	s_movk_i32 s4, 0x80
	v_cmp_eq_u16_sdwa s[12:13], v13, s4 src0_sel:BYTE_0 src1_sel:DWORD
	s_mov_b64 s[4:5], -1
                                        ; implicit-def: $sgpr10
	s_and_saveexec_b64 s[8:9], s[12:13]
; %bb.2150:
	s_mov_b32 s10, 0x7f800001
	s_xor_b64 s[4:5], exec, -1
; %bb.2151:
	s_or_b64 exec, exec, s[8:9]
	s_and_b64 s[4:5], s[4:5], exec
	s_or_saveexec_b64 s[6:7], s[6:7]
	v_mov_b32_e32 v11, s10
	s_xor_b64 exec, exec, s[6:7]
	s_cbranch_execz .LBB34_102
.LBB34_2152:
	v_mov_b32_e32 v11, 0
	v_cmp_ne_u16_sdwa s[8:9], v13, v11 src0_sel:BYTE_0 src1_sel:DWORD
	s_andn2_b64 s[4:5], s[4:5], exec
	s_and_b64 s[8:9], s[8:9], exec
	s_or_b64 s[4:5], s[4:5], s[8:9]
	s_or_b64 exec, exec, s[6:7]
	s_and_saveexec_b64 s[6:7], s[4:5]
	s_cbranch_execnz .LBB34_103
	s_branch .LBB34_104
.LBB34_2153:
	s_movk_i32 s4, 0x80
	v_cmp_eq_u16_sdwa s[12:13], v11, s4 src0_sel:BYTE_0 src1_sel:DWORD
	s_mov_b64 s[4:5], -1
                                        ; implicit-def: $sgpr10
	s_and_saveexec_b64 s[8:9], s[12:13]
; %bb.2154:
	s_mov_b32 s10, 0x7f800001
	s_xor_b64 s[4:5], exec, -1
; %bb.2155:
	s_or_b64 exec, exec, s[8:9]
	s_and_b64 s[4:5], s[4:5], exec
	s_or_saveexec_b64 s[6:7], s[6:7]
	v_mov_b32_e32 v10, s10
	s_xor_b64 exec, exec, s[6:7]
	s_cbranch_execz .LBB34_106
.LBB34_2156:
	v_mov_b32_e32 v10, 0
	v_cmp_ne_u16_sdwa s[8:9], v11, v10 src0_sel:BYTE_0 src1_sel:DWORD
	s_andn2_b64 s[4:5], s[4:5], exec
	s_and_b64 s[8:9], s[8:9], exec
	s_or_b64 s[4:5], s[4:5], s[8:9]
	s_or_b64 exec, exec, s[6:7]
	s_and_saveexec_b64 s[6:7], s[4:5]
	s_cbranch_execnz .LBB34_107
	s_branch .LBB34_108
.LBB34_2157:
	s_movk_i32 s4, 0x80
	v_cmp_eq_u16_sdwa s[12:13], v11, s4 src0_sel:BYTE_0 src1_sel:DWORD
	s_mov_b64 s[4:5], -1
                                        ; implicit-def: $sgpr10
	s_and_saveexec_b64 s[8:9], s[12:13]
; %bb.2158:
	s_mov_b32 s10, 0x7f800001
	s_xor_b64 s[4:5], exec, -1
; %bb.2159:
	s_or_b64 exec, exec, s[8:9]
	s_and_b64 s[4:5], s[4:5], exec
	s_or_saveexec_b64 s[6:7], s[6:7]
	v_mov_b32_e32 v12, s10
	s_xor_b64 exec, exec, s[6:7]
	s_cbranch_execz .LBB34_110
.LBB34_2160:
	v_mov_b32_e32 v12, 0
	v_cmp_ne_u16_sdwa s[8:9], v11, v12 src0_sel:BYTE_0 src1_sel:DWORD
	s_andn2_b64 s[4:5], s[4:5], exec
	s_and_b64 s[8:9], s[8:9], exec
	s_or_b64 s[4:5], s[4:5], s[8:9]
	s_or_b64 exec, exec, s[6:7]
	s_and_saveexec_b64 s[6:7], s[4:5]
	s_cbranch_execnz .LBB34_111
	s_branch .LBB34_112
.LBB34_2161:
	s_movk_i32 s4, 0x80
	v_cmp_eq_u16_e32 vcc, s4, v11
	s_mov_b64 s[4:5], -1
                                        ; implicit-def: $sgpr10
	s_and_saveexec_b64 s[8:9], vcc
; %bb.2162:
	s_mov_b32 s10, 0x7f800001
	s_xor_b64 s[4:5], exec, -1
; %bb.2163:
	s_or_b64 exec, exec, s[8:9]
	s_and_b64 s[4:5], s[4:5], exec
                                        ; implicit-def: $vgpr11
	s_or_saveexec_b64 s[6:7], s[6:7]
	v_mov_b32_e32 v10, s10
	s_xor_b64 exec, exec, s[6:7]
	s_cbranch_execz .LBB34_114
.LBB34_2164:
	v_cmp_ne_u16_e32 vcc, 0, v11
	s_andn2_b64 s[4:5], s[4:5], exec
	s_and_b64 s[8:9], vcc, exec
	v_mov_b32_e32 v10, 0
	s_or_b64 s[4:5], s[4:5], s[8:9]
	s_or_b64 exec, exec, s[6:7]
	s_and_saveexec_b64 s[6:7], s[4:5]
	s_cbranch_execnz .LBB34_115
	s_branch .LBB34_116
.LBB34_2165:
	s_movk_i32 s4, 0x80
	v_cmp_eq_u16_e32 vcc, s4, v11
	s_mov_b64 s[4:5], -1
                                        ; implicit-def: $sgpr10
	s_and_saveexec_b64 s[8:9], vcc
; %bb.2166:
	s_mov_b32 s10, 0x7f800001
	s_xor_b64 s[4:5], exec, -1
; %bb.2167:
	s_or_b64 exec, exec, s[8:9]
	s_and_b64 s[4:5], s[4:5], exec
                                        ; implicit-def: $vgpr11
	s_or_saveexec_b64 s[6:7], s[6:7]
	v_mov_b32_e32 v12, s10
	s_xor_b64 exec, exec, s[6:7]
	s_cbranch_execz .LBB34_118
.LBB34_2168:
	v_cmp_ne_u16_e32 vcc, 0, v11
	s_andn2_b64 s[4:5], s[4:5], exec
	s_and_b64 s[8:9], vcc, exec
	v_mov_b32_e32 v12, 0
	s_or_b64 s[4:5], s[4:5], s[8:9]
	s_or_b64 exec, exec, s[6:7]
	s_and_saveexec_b64 s[6:7], s[4:5]
	s_cbranch_execnz .LBB34_119
	s_branch .LBB34_120
.LBB34_2169:
	s_movk_i32 s4, 0x80
	v_cmp_eq_u16_sdwa s[12:13], v17, s4 src0_sel:BYTE_3 src1_sel:DWORD
	s_mov_b64 s[4:5], -1
                                        ; implicit-def: $sgpr10
	s_and_saveexec_b64 s[8:9], s[12:13]
; %bb.2170:
	s_mov_b32 s10, 0x7f800001
	s_xor_b64 s[4:5], exec, -1
; %bb.2171:
	s_or_b64 exec, exec, s[8:9]
	s_and_b64 s[4:5], s[4:5], exec
	s_or_saveexec_b64 s[6:7], s[6:7]
	v_mov_b32_e32 v10, s10
	s_xor_b64 exec, exec, s[6:7]
	s_cbranch_execz .LBB34_122
.LBB34_2172:
	v_mov_b32_e32 v10, 0
	v_cmp_ne_u16_sdwa s[8:9], v17, v10 src0_sel:BYTE_3 src1_sel:DWORD
	s_andn2_b64 s[4:5], s[4:5], exec
	s_and_b64 s[8:9], s[8:9], exec
	s_or_b64 s[4:5], s[4:5], s[8:9]
	s_or_b64 exec, exec, s[6:7]
	s_and_saveexec_b64 s[6:7], s[4:5]
	s_cbranch_execnz .LBB34_123
	s_branch .LBB34_124
.LBB34_2173:
	s_movk_i32 s4, 0x80
	v_cmp_eq_u16_sdwa s[12:13], v13, s4 src0_sel:BYTE_3 src1_sel:DWORD
	s_mov_b64 s[4:5], -1
                                        ; implicit-def: $sgpr10
	s_and_saveexec_b64 s[8:9], s[12:13]
; %bb.2174:
	s_mov_b32 s10, 0x7f800001
	s_xor_b64 s[4:5], exec, -1
; %bb.2175:
	s_or_b64 exec, exec, s[8:9]
	s_and_b64 s[4:5], s[4:5], exec
	s_or_saveexec_b64 s[6:7], s[6:7]
	v_mov_b32_e32 v11, s10
	s_xor_b64 exec, exec, s[6:7]
	s_cbranch_execz .LBB34_126
.LBB34_2176:
	v_mov_b32_e32 v11, 0
	v_cmp_ne_u16_sdwa s[8:9], v13, v11 src0_sel:BYTE_3 src1_sel:DWORD
	s_andn2_b64 s[4:5], s[4:5], exec
	s_and_b64 s[8:9], s[8:9], exec
	s_or_b64 s[4:5], s[4:5], s[8:9]
	s_or_b64 exec, exec, s[6:7]
	s_and_saveexec_b64 s[6:7], s[4:5]
	s_cbranch_execnz .LBB34_127
	s_branch .LBB34_128
.LBB34_2177:
	s_movk_i32 s4, 0x80
	v_cmp_eq_u16_sdwa s[12:13], v6, s4 src0_sel:BYTE_0 src1_sel:DWORD
	s_mov_b64 s[4:5], -1
                                        ; implicit-def: $sgpr10
	s_and_saveexec_b64 s[8:9], s[12:13]
; %bb.2178:
	s_mov_b32 s10, 0x7f800001
	s_xor_b64 s[4:5], exec, -1
; %bb.2179:
	s_or_b64 exec, exec, s[8:9]
	s_and_b64 s[4:5], s[4:5], exec
	s_or_saveexec_b64 s[6:7], s[6:7]
	v_mov_b32_e32 v10, s10
	s_xor_b64 exec, exec, s[6:7]
	s_cbranch_execz .LBB34_130
.LBB34_2180:
	v_mov_b32_e32 v10, 0
	v_cmp_ne_u16_sdwa s[8:9], v6, v10 src0_sel:BYTE_0 src1_sel:DWORD
	s_andn2_b64 s[4:5], s[4:5], exec
	s_and_b64 s[8:9], s[8:9], exec
	s_or_b64 s[4:5], s[4:5], s[8:9]
	s_or_b64 exec, exec, s[6:7]
	s_and_saveexec_b64 s[6:7], s[4:5]
	s_cbranch_execnz .LBB34_131
	s_branch .LBB34_132
.LBB34_2181:
	s_movk_i32 s4, 0x80
	v_cmp_eq_u16_sdwa s[12:13], v2, s4 src0_sel:BYTE_0 src1_sel:DWORD
	s_mov_b64 s[4:5], -1
                                        ; implicit-def: $sgpr10
	s_and_saveexec_b64 s[8:9], s[12:13]
; %bb.2182:
	s_mov_b32 s10, 0x7f800001
	s_xor_b64 s[4:5], exec, -1
; %bb.2183:
	s_or_b64 exec, exec, s[8:9]
	s_and_b64 s[4:5], s[4:5], exec
	s_or_saveexec_b64 s[6:7], s[6:7]
	v_mov_b32_e32 v11, s10
	s_xor_b64 exec, exec, s[6:7]
	s_cbranch_execz .LBB34_134
.LBB34_2184:
	v_mov_b32_e32 v11, 0
	v_cmp_ne_u16_sdwa s[8:9], v2, v11 src0_sel:BYTE_0 src1_sel:DWORD
	s_andn2_b64 s[4:5], s[4:5], exec
	s_and_b64 s[8:9], s[8:9], exec
	s_or_b64 s[4:5], s[4:5], s[8:9]
	s_or_b64 exec, exec, s[6:7]
	s_and_saveexec_b64 s[6:7], s[4:5]
	s_cbranch_execnz .LBB34_135
	s_branch .LBB34_136
.LBB34_2185:
	s_movk_i32 s4, 0x80
	v_cmp_eq_u16_sdwa s[12:13], v11, s4 src0_sel:BYTE_0 src1_sel:DWORD
	s_mov_b64 s[4:5], -1
                                        ; implicit-def: $sgpr10
	s_and_saveexec_b64 s[8:9], s[12:13]
; %bb.2186:
	s_mov_b32 s10, 0x7f800001
	s_xor_b64 s[4:5], exec, -1
; %bb.2187:
	s_or_b64 exec, exec, s[8:9]
	s_and_b64 s[4:5], s[4:5], exec
	s_or_saveexec_b64 s[6:7], s[6:7]
	v_mov_b32_e32 v10, s10
	s_xor_b64 exec, exec, s[6:7]
	s_cbranch_execz .LBB34_138
.LBB34_2188:
	v_mov_b32_e32 v10, 0
	v_cmp_ne_u16_sdwa s[8:9], v11, v10 src0_sel:BYTE_0 src1_sel:DWORD
	s_andn2_b64 s[4:5], s[4:5], exec
	s_and_b64 s[8:9], s[8:9], exec
	s_or_b64 s[4:5], s[4:5], s[8:9]
	s_or_b64 exec, exec, s[6:7]
	s_and_saveexec_b64 s[6:7], s[4:5]
	s_cbranch_execnz .LBB34_139
	s_branch .LBB34_140
.LBB34_2189:
	s_movk_i32 s4, 0x80
	v_cmp_eq_u16_sdwa s[12:13], v11, s4 src0_sel:BYTE_0 src1_sel:DWORD
	s_mov_b64 s[4:5], -1
                                        ; implicit-def: $sgpr10
	s_and_saveexec_b64 s[8:9], s[12:13]
; %bb.2190:
	s_mov_b32 s10, 0x7f800001
	s_xor_b64 s[4:5], exec, -1
; %bb.2191:
	s_or_b64 exec, exec, s[8:9]
	s_and_b64 s[4:5], s[4:5], exec
	s_or_saveexec_b64 s[6:7], s[6:7]
	v_mov_b32_e32 v12, s10
	s_xor_b64 exec, exec, s[6:7]
	s_cbranch_execz .LBB34_142
.LBB34_2192:
	v_mov_b32_e32 v12, 0
	v_cmp_ne_u16_sdwa s[8:9], v11, v12 src0_sel:BYTE_0 src1_sel:DWORD
	s_andn2_b64 s[4:5], s[4:5], exec
	s_and_b64 s[8:9], s[8:9], exec
	s_or_b64 s[4:5], s[4:5], s[8:9]
	s_or_b64 exec, exec, s[6:7]
	s_and_saveexec_b64 s[6:7], s[4:5]
	s_cbranch_execnz .LBB34_143
	s_branch .LBB34_144
.LBB34_2193:
	s_movk_i32 s4, 0x80
	v_cmp_eq_u16_e32 vcc, s4, v11
	s_mov_b64 s[4:5], -1
                                        ; implicit-def: $sgpr10
	s_and_saveexec_b64 s[8:9], vcc
; %bb.2194:
	s_mov_b32 s10, 0x7f800001
	s_xor_b64 s[4:5], exec, -1
; %bb.2195:
	s_or_b64 exec, exec, s[8:9]
	s_and_b64 s[4:5], s[4:5], exec
                                        ; implicit-def: $vgpr11
	s_or_saveexec_b64 s[6:7], s[6:7]
	v_mov_b32_e32 v10, s10
	s_xor_b64 exec, exec, s[6:7]
	s_cbranch_execz .LBB34_146
.LBB34_2196:
	v_cmp_ne_u16_e32 vcc, 0, v11
	s_andn2_b64 s[4:5], s[4:5], exec
	s_and_b64 s[8:9], vcc, exec
	v_mov_b32_e32 v10, 0
	s_or_b64 s[4:5], s[4:5], s[8:9]
	s_or_b64 exec, exec, s[6:7]
	s_and_saveexec_b64 s[6:7], s[4:5]
	s_cbranch_execnz .LBB34_147
	s_branch .LBB34_148
.LBB34_2197:
	s_movk_i32 s4, 0x80
	v_cmp_eq_u16_e32 vcc, s4, v11
	s_mov_b64 s[4:5], -1
                                        ; implicit-def: $sgpr10
	s_and_saveexec_b64 s[8:9], vcc
; %bb.2198:
	s_mov_b32 s10, 0x7f800001
	s_xor_b64 s[4:5], exec, -1
; %bb.2199:
	s_or_b64 exec, exec, s[8:9]
	s_and_b64 s[4:5], s[4:5], exec
                                        ; implicit-def: $vgpr11
	s_or_saveexec_b64 s[6:7], s[6:7]
	v_mov_b32_e32 v12, s10
	s_xor_b64 exec, exec, s[6:7]
	s_cbranch_execz .LBB34_150
.LBB34_2200:
	v_cmp_ne_u16_e32 vcc, 0, v11
	s_andn2_b64 s[4:5], s[4:5], exec
	s_and_b64 s[8:9], vcc, exec
	v_mov_b32_e32 v12, 0
	s_or_b64 s[4:5], s[4:5], s[8:9]
	s_or_b64 exec, exec, s[6:7]
	s_and_saveexec_b64 s[6:7], s[4:5]
	s_cbranch_execnz .LBB34_151
	s_branch .LBB34_152
.LBB34_2201:
	s_movk_i32 s4, 0x80
	v_cmp_eq_u16_sdwa s[12:13], v6, s4 src0_sel:BYTE_3 src1_sel:DWORD
	s_mov_b64 s[4:5], -1
                                        ; implicit-def: $sgpr10
	s_and_saveexec_b64 s[8:9], s[12:13]
; %bb.2202:
	s_mov_b32 s10, 0x7f800001
	s_xor_b64 s[4:5], exec, -1
; %bb.2203:
	s_or_b64 exec, exec, s[8:9]
	s_and_b64 s[4:5], s[4:5], exec
	s_or_saveexec_b64 s[6:7], s[6:7]
	v_mov_b32_e32 v10, s10
	s_xor_b64 exec, exec, s[6:7]
	s_cbranch_execz .LBB34_154
.LBB34_2204:
	v_mov_b32_e32 v10, 0
	v_cmp_ne_u16_sdwa s[8:9], v6, v10 src0_sel:BYTE_3 src1_sel:DWORD
	s_andn2_b64 s[4:5], s[4:5], exec
	s_and_b64 s[8:9], s[8:9], exec
	s_or_b64 s[4:5], s[4:5], s[8:9]
	s_or_b64 exec, exec, s[6:7]
	s_and_saveexec_b64 s[6:7], s[4:5]
	s_cbranch_execnz .LBB34_155
	s_branch .LBB34_156
.LBB34_2205:
	s_movk_i32 s4, 0x80
	v_cmp_eq_u16_sdwa s[12:13], v2, s4 src0_sel:BYTE_3 src1_sel:DWORD
	s_mov_b64 s[4:5], -1
                                        ; implicit-def: $sgpr10
	s_and_saveexec_b64 s[8:9], s[12:13]
; %bb.2206:
	s_mov_b32 s10, 0x7f800001
	s_xor_b64 s[4:5], exec, -1
; %bb.2207:
	s_or_b64 exec, exec, s[8:9]
	s_and_b64 s[4:5], s[4:5], exec
	s_or_saveexec_b64 s[6:7], s[6:7]
	v_mov_b32_e32 v6, s10
	s_xor_b64 exec, exec, s[6:7]
	s_cbranch_execz .LBB34_158
.LBB34_2208:
	v_mov_b32_e32 v6, 0
	v_cmp_ne_u16_sdwa s[8:9], v2, v6 src0_sel:BYTE_3 src1_sel:DWORD
	s_andn2_b64 s[4:5], s[4:5], exec
	s_and_b64 s[8:9], s[8:9], exec
	s_or_b64 s[4:5], s[4:5], s[8:9]
	s_or_b64 exec, exec, s[6:7]
	s_and_saveexec_b64 s[6:7], s[4:5]
	s_cbranch_execnz .LBB34_159
	s_branch .LBB34_160
.LBB34_2209:
	s_movk_i32 s4, 0x80
	v_cmp_eq_u16_sdwa s[12:13], v7, s4 src0_sel:BYTE_0 src1_sel:DWORD
	s_mov_b64 s[4:5], -1
                                        ; implicit-def: $sgpr10
	s_and_saveexec_b64 s[8:9], s[12:13]
; %bb.2210:
	s_mov_b32 s10, 0x7f800001
	s_xor_b64 s[4:5], exec, -1
; %bb.2211:
	s_or_b64 exec, exec, s[8:9]
	s_and_b64 s[4:5], s[4:5], exec
	s_or_saveexec_b64 s[6:7], s[6:7]
	v_mov_b32_e32 v2, s10
	s_xor_b64 exec, exec, s[6:7]
	s_cbranch_execz .LBB34_162
.LBB34_2212:
	v_mov_b32_e32 v2, 0
	v_cmp_ne_u16_sdwa s[8:9], v7, v2 src0_sel:BYTE_0 src1_sel:DWORD
	s_andn2_b64 s[4:5], s[4:5], exec
	s_and_b64 s[8:9], s[8:9], exec
	s_or_b64 s[4:5], s[4:5], s[8:9]
	s_or_b64 exec, exec, s[6:7]
	s_and_saveexec_b64 s[6:7], s[4:5]
	s_cbranch_execnz .LBB34_163
	s_branch .LBB34_164
.LBB34_2213:
	s_movk_i32 s4, 0x80
	v_cmp_eq_u16_sdwa s[12:13], v3, s4 src0_sel:BYTE_0 src1_sel:DWORD
	s_mov_b64 s[4:5], -1
                                        ; implicit-def: $sgpr10
	s_and_saveexec_b64 s[8:9], s[12:13]
; %bb.2214:
	s_mov_b32 s10, 0x7f800001
	s_xor_b64 s[4:5], exec, -1
; %bb.2215:
	s_or_b64 exec, exec, s[8:9]
	s_and_b64 s[4:5], s[4:5], exec
	s_or_saveexec_b64 s[6:7], s[6:7]
	v_mov_b32_e32 v6, s10
	s_xor_b64 exec, exec, s[6:7]
	s_cbranch_execz .LBB34_166
.LBB34_2216:
	v_mov_b32_e32 v6, 0
	v_cmp_ne_u16_sdwa s[8:9], v3, v6 src0_sel:BYTE_0 src1_sel:DWORD
	s_andn2_b64 s[4:5], s[4:5], exec
	s_and_b64 s[8:9], s[8:9], exec
	s_or_b64 s[4:5], s[4:5], s[8:9]
	s_or_b64 exec, exec, s[6:7]
	s_and_saveexec_b64 s[6:7], s[4:5]
	s_cbranch_execnz .LBB34_167
	s_branch .LBB34_168
.LBB34_2217:
	s_movk_i32 s4, 0x80
	v_cmp_eq_u16_sdwa s[12:13], v6, s4 src0_sel:BYTE_0 src1_sel:DWORD
	s_mov_b64 s[4:5], -1
                                        ; implicit-def: $sgpr10
	s_and_saveexec_b64 s[8:9], s[12:13]
; %bb.2218:
	s_mov_b32 s10, 0x7f800001
	s_xor_b64 s[4:5], exec, -1
; %bb.2219:
	s_or_b64 exec, exec, s[8:9]
	s_and_b64 s[4:5], s[4:5], exec
	s_or_saveexec_b64 s[6:7], s[6:7]
	v_mov_b32_e32 v2, s10
	s_xor_b64 exec, exec, s[6:7]
	s_cbranch_execz .LBB34_170
.LBB34_2220:
	v_mov_b32_e32 v2, 0
	v_cmp_ne_u16_sdwa s[8:9], v6, v2 src0_sel:BYTE_0 src1_sel:DWORD
	s_andn2_b64 s[4:5], s[4:5], exec
	s_and_b64 s[8:9], s[8:9], exec
	s_or_b64 s[4:5], s[4:5], s[8:9]
	s_or_b64 exec, exec, s[6:7]
	s_and_saveexec_b64 s[6:7], s[4:5]
	s_cbranch_execnz .LBB34_171
	s_branch .LBB34_172
.LBB34_2221:
	s_movk_i32 s4, 0x80
	v_cmp_eq_u16_sdwa s[12:13], v6, s4 src0_sel:BYTE_0 src1_sel:DWORD
	s_mov_b64 s[4:5], -1
                                        ; implicit-def: $sgpr10
	s_and_saveexec_b64 s[8:9], s[12:13]
; %bb.2222:
	s_mov_b32 s10, 0x7f800001
	s_xor_b64 s[4:5], exec, -1
; %bb.2223:
	s_or_b64 exec, exec, s[8:9]
	s_and_b64 s[4:5], s[4:5], exec
	s_or_saveexec_b64 s[6:7], s[6:7]
	v_mov_b32_e32 v10, s10
	s_xor_b64 exec, exec, s[6:7]
	s_cbranch_execz .LBB34_174
.LBB34_2224:
	v_mov_b32_e32 v10, 0
	v_cmp_ne_u16_sdwa s[8:9], v6, v10 src0_sel:BYTE_0 src1_sel:DWORD
	s_andn2_b64 s[4:5], s[4:5], exec
	s_and_b64 s[8:9], s[8:9], exec
	s_or_b64 s[4:5], s[4:5], s[8:9]
	s_or_b64 exec, exec, s[6:7]
	s_and_saveexec_b64 s[6:7], s[4:5]
	s_cbranch_execnz .LBB34_175
	s_branch .LBB34_176
.LBB34_2225:
	s_movk_i32 s4, 0x80
	v_cmp_eq_u16_e32 vcc, s4, v6
	s_mov_b64 s[4:5], -1
                                        ; implicit-def: $sgpr10
	s_and_saveexec_b64 s[8:9], vcc
; %bb.2226:
	s_mov_b32 s10, 0x7f800001
	s_xor_b64 s[4:5], exec, -1
; %bb.2227:
	s_or_b64 exec, exec, s[8:9]
	s_and_b64 s[4:5], s[4:5], exec
                                        ; implicit-def: $vgpr6
	s_or_saveexec_b64 s[6:7], s[6:7]
	v_mov_b32_e32 v2, s10
	s_xor_b64 exec, exec, s[6:7]
	s_cbranch_execz .LBB34_178
.LBB34_2228:
	v_cmp_ne_u16_e32 vcc, 0, v6
	s_andn2_b64 s[4:5], s[4:5], exec
	s_and_b64 s[8:9], vcc, exec
	v_mov_b32_e32 v2, 0
	s_or_b64 s[4:5], s[4:5], s[8:9]
	s_or_b64 exec, exec, s[6:7]
	s_and_saveexec_b64 s[6:7], s[4:5]
	s_cbranch_execnz .LBB34_179
	s_branch .LBB34_180
.LBB34_2229:
	s_movk_i32 s4, 0x80
	v_cmp_eq_u16_e32 vcc, s4, v6
	s_mov_b64 s[4:5], -1
                                        ; implicit-def: $sgpr10
	s_and_saveexec_b64 s[8:9], vcc
; %bb.2230:
	s_mov_b32 s10, 0x7f800001
	s_xor_b64 s[4:5], exec, -1
; %bb.2231:
	s_or_b64 exec, exec, s[8:9]
	s_and_b64 s[4:5], s[4:5], exec
                                        ; implicit-def: $vgpr6
	s_or_saveexec_b64 s[6:7], s[6:7]
	v_mov_b32_e32 v10, s10
	s_xor_b64 exec, exec, s[6:7]
	s_cbranch_execz .LBB34_182
.LBB34_2232:
	v_cmp_ne_u16_e32 vcc, 0, v6
	s_andn2_b64 s[4:5], s[4:5], exec
	s_and_b64 s[8:9], vcc, exec
	v_mov_b32_e32 v10, 0
	s_or_b64 s[4:5], s[4:5], s[8:9]
	s_or_b64 exec, exec, s[6:7]
	s_and_saveexec_b64 s[6:7], s[4:5]
	s_cbranch_execnz .LBB34_183
	s_branch .LBB34_184
.LBB34_2233:
	s_movk_i32 s4, 0x80
	v_cmp_eq_u16_sdwa s[12:13], v7, s4 src0_sel:BYTE_3 src1_sel:DWORD
	s_mov_b64 s[4:5], -1
                                        ; implicit-def: $sgpr10
	s_and_saveexec_b64 s[8:9], s[12:13]
; %bb.2234:
	s_mov_b32 s10, 0x7f800001
	s_xor_b64 s[4:5], exec, -1
; %bb.2235:
	s_or_b64 exec, exec, s[8:9]
	s_and_b64 s[4:5], s[4:5], exec
	s_or_saveexec_b64 s[6:7], s[6:7]
	v_mov_b32_e32 v2, s10
	s_xor_b64 exec, exec, s[6:7]
	s_cbranch_execz .LBB34_186
.LBB34_2236:
	v_mov_b32_e32 v2, 0
	v_cmp_ne_u16_sdwa s[8:9], v7, v2 src0_sel:BYTE_3 src1_sel:DWORD
	s_andn2_b64 s[4:5], s[4:5], exec
	s_and_b64 s[8:9], s[8:9], exec
	s_or_b64 s[4:5], s[4:5], s[8:9]
	s_or_b64 exec, exec, s[6:7]
	s_and_saveexec_b64 s[6:7], s[4:5]
	s_cbranch_execnz .LBB34_187
	s_branch .LBB34_188
.LBB34_2237:
	s_movk_i32 s4, 0x80
	v_cmp_eq_u16_sdwa s[12:13], v3, s4 src0_sel:BYTE_3 src1_sel:DWORD
	s_mov_b64 s[4:5], -1
                                        ; implicit-def: $sgpr10
	s_and_saveexec_b64 s[8:9], s[12:13]
; %bb.2238:
	s_mov_b32 s10, 0x7f800001
	s_xor_b64 s[4:5], exec, -1
; %bb.2239:
	s_or_b64 exec, exec, s[8:9]
	s_and_b64 s[4:5], s[4:5], exec
	s_or_saveexec_b64 s[6:7], s[6:7]
	v_mov_b32_e32 v6, s10
	s_xor_b64 exec, exec, s[6:7]
	s_cbranch_execz .LBB34_190
.LBB34_2240:
	v_mov_b32_e32 v6, 0
	v_cmp_ne_u16_sdwa s[8:9], v3, v6 src0_sel:BYTE_3 src1_sel:DWORD
	s_andn2_b64 s[4:5], s[4:5], exec
	s_and_b64 s[8:9], s[8:9], exec
	s_or_b64 s[4:5], s[4:5], s[8:9]
	s_or_b64 exec, exec, s[6:7]
	s_and_saveexec_b64 s[6:7], s[4:5]
	s_cbranch_execnz .LBB34_191
	s_branch .LBB34_192
.LBB34_2241:
	s_movk_i32 s4, 0x80
	v_cmp_eq_u16_sdwa s[12:13], v8, s4 src0_sel:BYTE_0 src1_sel:DWORD
	s_mov_b64 s[4:5], -1
                                        ; implicit-def: $sgpr10
	s_and_saveexec_b64 s[8:9], s[12:13]
; %bb.2242:
	s_mov_b32 s10, 0x7f800001
	s_xor_b64 s[4:5], exec, -1
; %bb.2243:
	s_or_b64 exec, exec, s[8:9]
	s_and_b64 s[4:5], s[4:5], exec
	s_or_saveexec_b64 s[6:7], s[6:7]
	v_mov_b32_e32 v2, s10
	s_xor_b64 exec, exec, s[6:7]
	s_cbranch_execz .LBB34_194
.LBB34_2244:
	v_mov_b32_e32 v2, 0
	v_cmp_ne_u16_sdwa s[8:9], v8, v2 src0_sel:BYTE_0 src1_sel:DWORD
	s_andn2_b64 s[4:5], s[4:5], exec
	s_and_b64 s[8:9], s[8:9], exec
	s_or_b64 s[4:5], s[4:5], s[8:9]
	s_or_b64 exec, exec, s[6:7]
	s_and_saveexec_b64 s[6:7], s[4:5]
	s_cbranch_execnz .LBB34_195
	s_branch .LBB34_196
.LBB34_2245:
	s_movk_i32 s4, 0x80
	v_cmp_eq_u16_sdwa s[12:13], v4, s4 src0_sel:BYTE_0 src1_sel:DWORD
	s_mov_b64 s[4:5], -1
                                        ; implicit-def: $sgpr10
	s_and_saveexec_b64 s[8:9], s[12:13]
; %bb.2246:
	s_mov_b32 s10, 0x7f800001
	s_xor_b64 s[4:5], exec, -1
; %bb.2247:
	s_or_b64 exec, exec, s[8:9]
	s_and_b64 s[4:5], s[4:5], exec
	s_or_saveexec_b64 s[6:7], s[6:7]
	v_mov_b32_e32 v3, s10
	s_xor_b64 exec, exec, s[6:7]
	s_cbranch_execz .LBB34_198
.LBB34_2248:
	v_mov_b32_e32 v3, 0
	v_cmp_ne_u16_sdwa s[8:9], v4, v3 src0_sel:BYTE_0 src1_sel:DWORD
	s_andn2_b64 s[4:5], s[4:5], exec
	s_and_b64 s[8:9], s[8:9], exec
	s_or_b64 s[4:5], s[4:5], s[8:9]
	s_or_b64 exec, exec, s[6:7]
	s_and_saveexec_b64 s[6:7], s[4:5]
	s_cbranch_execnz .LBB34_199
	s_branch .LBB34_200
.LBB34_2249:
	s_movk_i32 s4, 0x80
	v_cmp_eq_u16_sdwa s[12:13], v3, s4 src0_sel:BYTE_0 src1_sel:DWORD
	s_mov_b64 s[4:5], -1
                                        ; implicit-def: $sgpr10
	s_and_saveexec_b64 s[8:9], s[12:13]
; %bb.2250:
	s_mov_b32 s10, 0x7f800001
	s_xor_b64 s[4:5], exec, -1
; %bb.2251:
	s_or_b64 exec, exec, s[8:9]
	s_and_b64 s[4:5], s[4:5], exec
	s_or_saveexec_b64 s[6:7], s[6:7]
	v_mov_b32_e32 v2, s10
	s_xor_b64 exec, exec, s[6:7]
	s_cbranch_execz .LBB34_202
.LBB34_2252:
	v_mov_b32_e32 v2, 0
	v_cmp_ne_u16_sdwa s[8:9], v3, v2 src0_sel:BYTE_0 src1_sel:DWORD
	s_andn2_b64 s[4:5], s[4:5], exec
	s_and_b64 s[8:9], s[8:9], exec
	s_or_b64 s[4:5], s[4:5], s[8:9]
	s_or_b64 exec, exec, s[6:7]
	s_and_saveexec_b64 s[6:7], s[4:5]
	s_cbranch_execnz .LBB34_203
	s_branch .LBB34_204
.LBB34_2253:
	s_movk_i32 s4, 0x80
	v_cmp_eq_u16_sdwa s[12:13], v3, s4 src0_sel:BYTE_0 src1_sel:DWORD
	s_mov_b64 s[4:5], -1
                                        ; implicit-def: $sgpr10
	s_and_saveexec_b64 s[8:9], s[12:13]
; %bb.2254:
	s_mov_b32 s10, 0x7f800001
	s_xor_b64 s[4:5], exec, -1
; %bb.2255:
	s_or_b64 exec, exec, s[8:9]
	s_and_b64 s[4:5], s[4:5], exec
	s_or_saveexec_b64 s[6:7], s[6:7]
	v_mov_b32_e32 v6, s10
	s_xor_b64 exec, exec, s[6:7]
	s_cbranch_execz .LBB34_206
.LBB34_2256:
	v_mov_b32_e32 v6, 0
	v_cmp_ne_u16_sdwa s[8:9], v3, v6 src0_sel:BYTE_0 src1_sel:DWORD
	s_andn2_b64 s[4:5], s[4:5], exec
	s_and_b64 s[8:9], s[8:9], exec
	s_or_b64 s[4:5], s[4:5], s[8:9]
	s_or_b64 exec, exec, s[6:7]
	s_and_saveexec_b64 s[6:7], s[4:5]
	s_cbranch_execnz .LBB34_207
	s_branch .LBB34_208
.LBB34_2257:
	s_movk_i32 s4, 0x80
	v_cmp_eq_u16_e32 vcc, s4, v3
	s_mov_b64 s[4:5], -1
                                        ; implicit-def: $sgpr10
	s_and_saveexec_b64 s[8:9], vcc
; %bb.2258:
	s_mov_b32 s10, 0x7f800001
	s_xor_b64 s[4:5], exec, -1
; %bb.2259:
	s_or_b64 exec, exec, s[8:9]
	s_and_b64 s[4:5], s[4:5], exec
                                        ; implicit-def: $vgpr3
	s_or_saveexec_b64 s[6:7], s[6:7]
	v_mov_b32_e32 v2, s10
	s_xor_b64 exec, exec, s[6:7]
	s_cbranch_execz .LBB34_210
.LBB34_2260:
	v_cmp_ne_u16_e32 vcc, 0, v3
	s_andn2_b64 s[4:5], s[4:5], exec
	s_and_b64 s[8:9], vcc, exec
	v_mov_b32_e32 v2, 0
	s_or_b64 s[4:5], s[4:5], s[8:9]
	s_or_b64 exec, exec, s[6:7]
	s_and_saveexec_b64 s[6:7], s[4:5]
	s_cbranch_execnz .LBB34_211
	s_branch .LBB34_212
.LBB34_2261:
	s_movk_i32 s4, 0x80
	v_cmp_eq_u16_e32 vcc, s4, v3
	s_mov_b64 s[4:5], -1
                                        ; implicit-def: $sgpr10
	s_and_saveexec_b64 s[8:9], vcc
; %bb.2262:
	s_mov_b32 s10, 0x7f800001
	s_xor_b64 s[4:5], exec, -1
; %bb.2263:
	s_or_b64 exec, exec, s[8:9]
	s_and_b64 s[4:5], s[4:5], exec
                                        ; implicit-def: $vgpr3
	s_or_saveexec_b64 s[6:7], s[6:7]
	v_mov_b32_e32 v6, s10
	s_xor_b64 exec, exec, s[6:7]
	s_cbranch_execz .LBB34_214
.LBB34_2264:
	v_cmp_ne_u16_e32 vcc, 0, v3
	s_andn2_b64 s[4:5], s[4:5], exec
	s_and_b64 s[8:9], vcc, exec
	v_mov_b32_e32 v6, 0
	s_or_b64 s[4:5], s[4:5], s[8:9]
	s_or_b64 exec, exec, s[6:7]
	s_and_saveexec_b64 s[6:7], s[4:5]
	s_cbranch_execnz .LBB34_215
	s_branch .LBB34_216
.LBB34_2265:
	s_movk_i32 s4, 0x80
	v_cmp_eq_u16_sdwa s[12:13], v8, s4 src0_sel:BYTE_3 src1_sel:DWORD
	s_mov_b64 s[4:5], -1
                                        ; implicit-def: $sgpr10
	s_and_saveexec_b64 s[8:9], s[12:13]
; %bb.2266:
	s_mov_b32 s10, 0x7f800001
	s_xor_b64 s[4:5], exec, -1
; %bb.2267:
	s_or_b64 exec, exec, s[8:9]
	s_and_b64 s[4:5], s[4:5], exec
	s_or_saveexec_b64 s[6:7], s[6:7]
	v_mov_b32_e32 v2, s10
	s_xor_b64 exec, exec, s[6:7]
	s_cbranch_execz .LBB34_218
.LBB34_2268:
	v_mov_b32_e32 v2, 0
	v_cmp_ne_u16_sdwa s[8:9], v8, v2 src0_sel:BYTE_3 src1_sel:DWORD
	s_andn2_b64 s[4:5], s[4:5], exec
	s_and_b64 s[8:9], s[8:9], exec
	s_or_b64 s[4:5], s[4:5], s[8:9]
	s_or_b64 exec, exec, s[6:7]
	s_and_saveexec_b64 s[6:7], s[4:5]
	s_cbranch_execnz .LBB34_219
	s_branch .LBB34_220
.LBB34_2269:
	s_movk_i32 s4, 0x80
	v_cmp_eq_u16_sdwa s[12:13], v4, s4 src0_sel:BYTE_3 src1_sel:DWORD
	s_mov_b64 s[4:5], -1
                                        ; implicit-def: $sgpr10
	s_and_saveexec_b64 s[8:9], s[12:13]
; %bb.2270:
	s_mov_b32 s10, 0x7f800001
	s_xor_b64 s[4:5], exec, -1
; %bb.2271:
	s_or_b64 exec, exec, s[8:9]
	s_and_b64 s[4:5], s[4:5], exec
	s_or_saveexec_b64 s[6:7], s[6:7]
	v_mov_b32_e32 v3, s10
	s_xor_b64 exec, exec, s[6:7]
	s_cbranch_execz .LBB34_222
.LBB34_2272:
	v_mov_b32_e32 v3, 0
	v_cmp_ne_u16_sdwa s[8:9], v4, v3 src0_sel:BYTE_3 src1_sel:DWORD
	s_andn2_b64 s[4:5], s[4:5], exec
	s_and_b64 s[8:9], s[8:9], exec
	s_or_b64 s[4:5], s[4:5], s[8:9]
	s_or_b64 exec, exec, s[6:7]
	s_and_saveexec_b64 s[6:7], s[4:5]
	s_cbranch_execnz .LBB34_223
	s_branch .LBB34_224
.LBB34_2273:
	s_movk_i32 s4, 0x80
	v_cmp_eq_u16_sdwa s[12:13], v9, s4 src0_sel:BYTE_0 src1_sel:DWORD
	s_mov_b64 s[4:5], -1
                                        ; implicit-def: $sgpr10
	s_and_saveexec_b64 s[8:9], s[12:13]
; %bb.2274:
	s_mov_b32 s10, 0x7f800001
	s_xor_b64 s[4:5], exec, -1
; %bb.2275:
	s_or_b64 exec, exec, s[8:9]
	s_and_b64 s[4:5], s[4:5], exec
	s_or_saveexec_b64 s[6:7], s[6:7]
	v_mov_b32_e32 v2, s10
	s_xor_b64 exec, exec, s[6:7]
	s_cbranch_execz .LBB34_226
.LBB34_2276:
	v_mov_b32_e32 v2, 0
	v_cmp_ne_u16_sdwa s[8:9], v9, v2 src0_sel:BYTE_0 src1_sel:DWORD
	s_andn2_b64 s[4:5], s[4:5], exec
	s_and_b64 s[8:9], s[8:9], exec
	s_or_b64 s[4:5], s[4:5], s[8:9]
	s_or_b64 exec, exec, s[6:7]
	s_and_saveexec_b64 s[6:7], s[4:5]
	s_cbranch_execnz .LBB34_227
	s_branch .LBB34_228
.LBB34_2277:
	s_movk_i32 s4, 0x80
	v_cmp_eq_u16_sdwa s[12:13], v5, s4 src0_sel:BYTE_0 src1_sel:DWORD
	s_mov_b64 s[4:5], -1
                                        ; implicit-def: $sgpr10
	s_and_saveexec_b64 s[8:9], s[12:13]
; %bb.2278:
	s_mov_b32 s10, 0x7f800001
	s_xor_b64 s[4:5], exec, -1
; %bb.2279:
	s_or_b64 exec, exec, s[8:9]
	s_and_b64 s[4:5], s[4:5], exec
	s_or_saveexec_b64 s[6:7], s[6:7]
	v_mov_b32_e32 v3, s10
	s_xor_b64 exec, exec, s[6:7]
	s_cbranch_execz .LBB34_230
.LBB34_2280:
	v_mov_b32_e32 v3, 0
	v_cmp_ne_u16_sdwa s[8:9], v5, v3 src0_sel:BYTE_0 src1_sel:DWORD
	s_andn2_b64 s[4:5], s[4:5], exec
	s_and_b64 s[8:9], s[8:9], exec
	s_or_b64 s[4:5], s[4:5], s[8:9]
	s_or_b64 exec, exec, s[6:7]
	s_and_saveexec_b64 s[6:7], s[4:5]
	s_cbranch_execnz .LBB34_231
	s_branch .LBB34_232
.LBB34_2281:
	s_movk_i32 s4, 0x80
	v_cmp_eq_u16_sdwa s[12:13], v3, s4 src0_sel:BYTE_0 src1_sel:DWORD
	s_mov_b64 s[4:5], -1
                                        ; implicit-def: $sgpr10
	s_and_saveexec_b64 s[8:9], s[12:13]
; %bb.2282:
	s_mov_b32 s10, 0x7f800001
	s_xor_b64 s[4:5], exec, -1
; %bb.2283:
	s_or_b64 exec, exec, s[8:9]
	s_and_b64 s[4:5], s[4:5], exec
	s_or_saveexec_b64 s[6:7], s[6:7]
	v_mov_b32_e32 v2, s10
	s_xor_b64 exec, exec, s[6:7]
	s_cbranch_execz .LBB34_234
.LBB34_2284:
	v_mov_b32_e32 v2, 0
	v_cmp_ne_u16_sdwa s[8:9], v3, v2 src0_sel:BYTE_0 src1_sel:DWORD
	s_andn2_b64 s[4:5], s[4:5], exec
	s_and_b64 s[8:9], s[8:9], exec
	s_or_b64 s[4:5], s[4:5], s[8:9]
	s_or_b64 exec, exec, s[6:7]
	s_and_saveexec_b64 s[6:7], s[4:5]
	s_cbranch_execnz .LBB34_235
	s_branch .LBB34_236
.LBB34_2285:
	s_movk_i32 s4, 0x80
	v_cmp_eq_u16_sdwa s[12:13], v3, s4 src0_sel:BYTE_0 src1_sel:DWORD
	s_mov_b64 s[4:5], -1
                                        ; implicit-def: $sgpr10
	s_and_saveexec_b64 s[8:9], s[12:13]
; %bb.2286:
	s_mov_b32 s10, 0x7f800001
	s_xor_b64 s[4:5], exec, -1
; %bb.2287:
	s_or_b64 exec, exec, s[8:9]
	s_and_b64 s[4:5], s[4:5], exec
	s_or_saveexec_b64 s[6:7], s[6:7]
	v_mov_b32_e32 v4, s10
	s_xor_b64 exec, exec, s[6:7]
	s_cbranch_execz .LBB34_238
.LBB34_2288:
	v_mov_b32_e32 v4, 0
	v_cmp_ne_u16_sdwa s[8:9], v3, v4 src0_sel:BYTE_0 src1_sel:DWORD
	s_andn2_b64 s[4:5], s[4:5], exec
	s_and_b64 s[8:9], s[8:9], exec
	s_or_b64 s[4:5], s[4:5], s[8:9]
	s_or_b64 exec, exec, s[6:7]
	s_and_saveexec_b64 s[6:7], s[4:5]
	s_cbranch_execnz .LBB34_239
	s_branch .LBB34_240
.LBB34_2289:
	s_movk_i32 s4, 0x80
	v_cmp_eq_u16_e32 vcc, s4, v3
	s_mov_b64 s[4:5], -1
                                        ; implicit-def: $sgpr10
	s_and_saveexec_b64 s[8:9], vcc
; %bb.2290:
	s_mov_b32 s10, 0x7f800001
	s_xor_b64 s[4:5], exec, -1
; %bb.2291:
	s_or_b64 exec, exec, s[8:9]
	s_and_b64 s[4:5], s[4:5], exec
                                        ; implicit-def: $vgpr3
	s_or_saveexec_b64 s[6:7], s[6:7]
	v_mov_b32_e32 v2, s10
	s_xor_b64 exec, exec, s[6:7]
	s_cbranch_execz .LBB34_242
.LBB34_2292:
	v_cmp_ne_u16_e32 vcc, 0, v3
	s_andn2_b64 s[4:5], s[4:5], exec
	s_and_b64 s[8:9], vcc, exec
	v_mov_b32_e32 v2, 0
	s_or_b64 s[4:5], s[4:5], s[8:9]
	s_or_b64 exec, exec, s[6:7]
	s_and_saveexec_b64 s[6:7], s[4:5]
	s_cbranch_execnz .LBB34_243
	s_branch .LBB34_244
.LBB34_2293:
	s_movk_i32 s4, 0x80
	v_cmp_eq_u16_e32 vcc, s4, v3
	s_mov_b64 s[4:5], -1
                                        ; implicit-def: $sgpr10
	s_and_saveexec_b64 s[8:9], vcc
; %bb.2294:
	s_mov_b32 s10, 0x7f800001
	s_xor_b64 s[4:5], exec, -1
; %bb.2295:
	s_or_b64 exec, exec, s[8:9]
	s_and_b64 s[4:5], s[4:5], exec
                                        ; implicit-def: $vgpr3
	s_or_saveexec_b64 s[6:7], s[6:7]
	v_mov_b32_e32 v4, s10
	s_xor_b64 exec, exec, s[6:7]
	s_cbranch_execz .LBB34_246
.LBB34_2296:
	v_cmp_ne_u16_e32 vcc, 0, v3
	s_andn2_b64 s[4:5], s[4:5], exec
	s_and_b64 s[8:9], vcc, exec
	v_mov_b32_e32 v4, 0
	s_or_b64 s[4:5], s[4:5], s[8:9]
	s_or_b64 exec, exec, s[6:7]
	s_and_saveexec_b64 s[6:7], s[4:5]
	s_cbranch_execnz .LBB34_247
	s_branch .LBB34_248
.LBB34_2297:
	s_movk_i32 s4, 0x80
	v_cmp_eq_u16_sdwa s[12:13], v9, s4 src0_sel:BYTE_3 src1_sel:DWORD
	s_mov_b64 s[4:5], -1
                                        ; implicit-def: $sgpr10
	s_and_saveexec_b64 s[8:9], s[12:13]
; %bb.2298:
	s_mov_b32 s10, 0x7f800001
	s_xor_b64 s[4:5], exec, -1
; %bb.2299:
	s_or_b64 exec, exec, s[8:9]
	s_and_b64 s[4:5], s[4:5], exec
	s_or_saveexec_b64 s[6:7], s[6:7]
	v_mov_b32_e32 v2, s10
	s_xor_b64 exec, exec, s[6:7]
	s_cbranch_execz .LBB34_250
.LBB34_2300:
	v_mov_b32_e32 v2, 0
	v_cmp_ne_u16_sdwa s[8:9], v9, v2 src0_sel:BYTE_3 src1_sel:DWORD
	s_andn2_b64 s[4:5], s[4:5], exec
	s_and_b64 s[8:9], s[8:9], exec
	s_or_b64 s[4:5], s[4:5], s[8:9]
	s_or_b64 exec, exec, s[6:7]
	s_and_saveexec_b64 s[6:7], s[4:5]
	s_cbranch_execnz .LBB34_251
	s_branch .LBB34_252
.LBB34_2301:
	s_movk_i32 s4, 0x80
	v_cmp_eq_u16_sdwa s[12:13], v5, s4 src0_sel:BYTE_3 src1_sel:DWORD
	s_mov_b64 s[4:5], -1
                                        ; implicit-def: $sgpr10
	s_and_saveexec_b64 s[8:9], s[12:13]
; %bb.2302:
	s_mov_b32 s10, 0x7f800001
	s_xor_b64 s[4:5], exec, -1
; %bb.2303:
	s_or_b64 exec, exec, s[8:9]
	s_and_b64 s[4:5], s[4:5], exec
	s_or_saveexec_b64 s[6:7], s[6:7]
	v_mov_b32_e32 v3, s10
	s_xor_b64 exec, exec, s[6:7]
	s_cbranch_execz .LBB34_254
.LBB34_2304:
	v_mov_b32_e32 v3, 0
	v_cmp_ne_u16_sdwa s[8:9], v5, v3 src0_sel:BYTE_3 src1_sel:DWORD
	s_andn2_b64 s[4:5], s[4:5], exec
	s_and_b64 s[8:9], s[8:9], exec
	s_or_b64 s[4:5], s[4:5], s[8:9]
	s_or_b64 exec, exec, s[6:7]
	s_and_saveexec_b64 s[6:7], s[4:5]
	s_cbranch_execnz .LBB34_255
	s_branch .LBB34_256
.LBB34_2305:
	s_movk_i32 s4, 0x80
	v_cmp_eq_u16_sdwa s[12:13], v14, s4 src0_sel:BYTE_0 src1_sel:DWORD
	s_mov_b64 s[4:5], -1
                                        ; implicit-def: $sgpr10
	s_and_saveexec_b64 s[8:9], s[12:13]
; %bb.2306:
	s_mov_b32 s10, 0x7f800001
	s_xor_b64 s[4:5], exec, -1
; %bb.2307:
	s_or_b64 exec, exec, s[8:9]
	s_and_b64 s[4:5], s[4:5], exec
	s_or_saveexec_b64 s[6:7], s[6:7]
	v_mov_b32_e32 v20, s10
	s_xor_b64 exec, exec, s[6:7]
	s_cbranch_execz .LBB34_258
.LBB34_2308:
	v_mov_b32_e32 v20, 0
	v_cmp_ne_u16_sdwa s[8:9], v14, v20 src0_sel:BYTE_0 src1_sel:DWORD
	s_andn2_b64 s[4:5], s[4:5], exec
	s_and_b64 s[8:9], s[8:9], exec
	s_or_b64 s[4:5], s[4:5], s[8:9]
	s_or_b64 exec, exec, s[6:7]
	s_and_saveexec_b64 s[6:7], s[4:5]
	s_cbranch_execnz .LBB34_259
	s_branch .LBB34_260
.LBB34_2309:
	s_movk_i32 s4, 0x80
	v_cmp_eq_u16_sdwa s[12:13], v10, s4 src0_sel:BYTE_0 src1_sel:DWORD
	s_mov_b64 s[4:5], -1
                                        ; implicit-def: $sgpr10
	s_and_saveexec_b64 s[8:9], s[12:13]
; %bb.2310:
	s_mov_b32 s10, 0x7f800001
	s_xor_b64 s[4:5], exec, -1
; %bb.2311:
	s_or_b64 exec, exec, s[8:9]
	s_and_b64 s[4:5], s[4:5], exec
	s_or_saveexec_b64 s[6:7], s[6:7]
	v_mov_b32_e32 v21, s10
	s_xor_b64 exec, exec, s[6:7]
	s_cbranch_execz .LBB34_262
.LBB34_2312:
	v_mov_b32_e32 v21, 0
	v_cmp_ne_u16_sdwa s[8:9], v10, v21 src0_sel:BYTE_0 src1_sel:DWORD
	s_andn2_b64 s[4:5], s[4:5], exec
	s_and_b64 s[8:9], s[8:9], exec
	s_or_b64 s[4:5], s[4:5], s[8:9]
	s_or_b64 exec, exec, s[6:7]
	s_and_saveexec_b64 s[6:7], s[4:5]
	s_cbranch_execnz .LBB34_263
	s_branch .LBB34_264
.LBB34_2313:
	s_movk_i32 s4, 0x80
	v_cmp_eq_u16_sdwa s[12:13], v21, s4 src0_sel:BYTE_0 src1_sel:DWORD
	s_mov_b64 s[4:5], -1
                                        ; implicit-def: $sgpr10
	s_and_saveexec_b64 s[8:9], s[12:13]
; %bb.2314:
	s_mov_b32 s10, 0x7f800001
	s_xor_b64 s[4:5], exec, -1
; %bb.2315:
	s_or_b64 exec, exec, s[8:9]
	s_and_b64 s[4:5], s[4:5], exec
	s_or_saveexec_b64 s[6:7], s[6:7]
	v_mov_b32_e32 v20, s10
	s_xor_b64 exec, exec, s[6:7]
	s_cbranch_execz .LBB34_266
.LBB34_2316:
	v_mov_b32_e32 v20, 0
	v_cmp_ne_u16_sdwa s[8:9], v21, v20 src0_sel:BYTE_0 src1_sel:DWORD
	s_andn2_b64 s[4:5], s[4:5], exec
	s_and_b64 s[8:9], s[8:9], exec
	s_or_b64 s[4:5], s[4:5], s[8:9]
	s_or_b64 exec, exec, s[6:7]
	s_and_saveexec_b64 s[6:7], s[4:5]
	s_cbranch_execnz .LBB34_267
	s_branch .LBB34_268
.LBB34_2317:
	s_movk_i32 s4, 0x80
	v_cmp_eq_u16_sdwa s[12:13], v21, s4 src0_sel:BYTE_0 src1_sel:DWORD
	s_mov_b64 s[4:5], -1
                                        ; implicit-def: $sgpr10
	s_and_saveexec_b64 s[8:9], s[12:13]
; %bb.2318:
	s_mov_b32 s10, 0x7f800001
	s_xor_b64 s[4:5], exec, -1
; %bb.2319:
	s_or_b64 exec, exec, s[8:9]
	s_and_b64 s[4:5], s[4:5], exec
	s_or_saveexec_b64 s[6:7], s[6:7]
	v_mov_b32_e32 v22, s10
	s_xor_b64 exec, exec, s[6:7]
	s_cbranch_execz .LBB34_270
.LBB34_2320:
	v_mov_b32_e32 v22, 0
	v_cmp_ne_u16_sdwa s[8:9], v21, v22 src0_sel:BYTE_0 src1_sel:DWORD
	s_andn2_b64 s[4:5], s[4:5], exec
	s_and_b64 s[8:9], s[8:9], exec
	s_or_b64 s[4:5], s[4:5], s[8:9]
	s_or_b64 exec, exec, s[6:7]
	s_and_saveexec_b64 s[6:7], s[4:5]
	s_cbranch_execnz .LBB34_271
	s_branch .LBB34_272
.LBB34_2321:
	s_movk_i32 s4, 0x80
	v_cmp_eq_u16_e32 vcc, s4, v21
	s_mov_b64 s[4:5], -1
                                        ; implicit-def: $sgpr10
	s_and_saveexec_b64 s[8:9], vcc
; %bb.2322:
	s_mov_b32 s10, 0x7f800001
	s_xor_b64 s[4:5], exec, -1
; %bb.2323:
	s_or_b64 exec, exec, s[8:9]
	s_and_b64 s[4:5], s[4:5], exec
                                        ; implicit-def: $vgpr21
	s_or_saveexec_b64 s[6:7], s[6:7]
	v_mov_b32_e32 v20, s10
	s_xor_b64 exec, exec, s[6:7]
	s_cbranch_execz .LBB34_274
.LBB34_2324:
	v_cmp_ne_u16_e32 vcc, 0, v21
	s_andn2_b64 s[4:5], s[4:5], exec
	s_and_b64 s[8:9], vcc, exec
	v_mov_b32_e32 v20, 0
	s_or_b64 s[4:5], s[4:5], s[8:9]
	s_or_b64 exec, exec, s[6:7]
	s_and_saveexec_b64 s[6:7], s[4:5]
	s_cbranch_execnz .LBB34_275
	s_branch .LBB34_276
.LBB34_2325:
	s_movk_i32 s4, 0x80
	v_cmp_eq_u16_e32 vcc, s4, v21
	s_mov_b64 s[4:5], -1
                                        ; implicit-def: $sgpr10
	s_and_saveexec_b64 s[8:9], vcc
; %bb.2326:
	s_mov_b32 s10, 0x7f800001
	s_xor_b64 s[4:5], exec, -1
; %bb.2327:
	s_or_b64 exec, exec, s[8:9]
	s_and_b64 s[4:5], s[4:5], exec
                                        ; implicit-def: $vgpr21
	s_or_saveexec_b64 s[6:7], s[6:7]
	v_mov_b32_e32 v22, s10
	s_xor_b64 exec, exec, s[6:7]
	s_cbranch_execz .LBB34_278
.LBB34_2328:
	v_cmp_ne_u16_e32 vcc, 0, v21
	s_andn2_b64 s[4:5], s[4:5], exec
	s_and_b64 s[8:9], vcc, exec
	v_mov_b32_e32 v22, 0
	s_or_b64 s[4:5], s[4:5], s[8:9]
	s_or_b64 exec, exec, s[6:7]
	s_and_saveexec_b64 s[6:7], s[4:5]
	s_cbranch_execnz .LBB34_279
	s_branch .LBB34_280
.LBB34_2329:
	s_movk_i32 s4, 0x80
	v_cmp_eq_u16_sdwa s[12:13], v14, s4 src0_sel:BYTE_3 src1_sel:DWORD
	s_mov_b64 s[4:5], -1
                                        ; implicit-def: $sgpr10
	s_and_saveexec_b64 s[8:9], s[12:13]
; %bb.2330:
	s_mov_b32 s10, 0x7f800001
	s_xor_b64 s[4:5], exec, -1
; %bb.2331:
	s_or_b64 exec, exec, s[8:9]
	s_and_b64 s[4:5], s[4:5], exec
	s_or_saveexec_b64 s[6:7], s[6:7]
	v_mov_b32_e32 v20, s10
	s_xor_b64 exec, exec, s[6:7]
	s_cbranch_execz .LBB34_282
.LBB34_2332:
	v_mov_b32_e32 v20, 0
	v_cmp_ne_u16_sdwa s[8:9], v14, v20 src0_sel:BYTE_3 src1_sel:DWORD
	s_andn2_b64 s[4:5], s[4:5], exec
	s_and_b64 s[8:9], s[8:9], exec
	s_or_b64 s[4:5], s[4:5], s[8:9]
	s_or_b64 exec, exec, s[6:7]
	s_and_saveexec_b64 s[6:7], s[4:5]
	s_cbranch_execnz .LBB34_283
	s_branch .LBB34_284
.LBB34_2333:
	s_movk_i32 s4, 0x80
	v_cmp_eq_u16_sdwa s[12:13], v10, s4 src0_sel:BYTE_3 src1_sel:DWORD
	s_mov_b64 s[4:5], -1
                                        ; implicit-def: $sgpr10
	s_and_saveexec_b64 s[8:9], s[12:13]
; %bb.2334:
	s_mov_b32 s10, 0x7f800001
	s_xor_b64 s[4:5], exec, -1
; %bb.2335:
	s_or_b64 exec, exec, s[8:9]
	s_and_b64 s[4:5], s[4:5], exec
	s_or_saveexec_b64 s[6:7], s[6:7]
	v_mov_b32_e32 v14, s10
	s_xor_b64 exec, exec, s[6:7]
	s_cbranch_execz .LBB34_286
.LBB34_2336:
	v_mov_b32_e32 v14, 0
	v_cmp_ne_u16_sdwa s[8:9], v10, v14 src0_sel:BYTE_3 src1_sel:DWORD
	s_andn2_b64 s[4:5], s[4:5], exec
	s_and_b64 s[8:9], s[8:9], exec
	s_or_b64 s[4:5], s[4:5], s[8:9]
	s_or_b64 exec, exec, s[6:7]
	s_and_saveexec_b64 s[6:7], s[4:5]
	s_cbranch_execnz .LBB34_287
	s_branch .LBB34_288
.LBB34_2337:
	s_movk_i32 s4, 0x80
	v_cmp_eq_u16_sdwa s[12:13], v15, s4 src0_sel:BYTE_0 src1_sel:DWORD
	s_mov_b64 s[4:5], -1
                                        ; implicit-def: $sgpr10
	s_and_saveexec_b64 s[8:9], s[12:13]
; %bb.2338:
	s_mov_b32 s10, 0x7f800001
	s_xor_b64 s[4:5], exec, -1
; %bb.2339:
	s_or_b64 exec, exec, s[8:9]
	s_and_b64 s[4:5], s[4:5], exec
	s_or_saveexec_b64 s[6:7], s[6:7]
	v_mov_b32_e32 v10, s10
	s_xor_b64 exec, exec, s[6:7]
	s_cbranch_execz .LBB34_290
.LBB34_2340:
	v_mov_b32_e32 v10, 0
	v_cmp_ne_u16_sdwa s[8:9], v15, v10 src0_sel:BYTE_0 src1_sel:DWORD
	s_andn2_b64 s[4:5], s[4:5], exec
	s_and_b64 s[8:9], s[8:9], exec
	s_or_b64 s[4:5], s[4:5], s[8:9]
	s_or_b64 exec, exec, s[6:7]
	s_and_saveexec_b64 s[6:7], s[4:5]
	s_cbranch_execnz .LBB34_291
	s_branch .LBB34_292
.LBB34_2341:
	s_movk_i32 s4, 0x80
	v_cmp_eq_u16_sdwa s[12:13], v11, s4 src0_sel:BYTE_0 src1_sel:DWORD
	s_mov_b64 s[4:5], -1
                                        ; implicit-def: $sgpr10
	s_and_saveexec_b64 s[8:9], s[12:13]
; %bb.2342:
	s_mov_b32 s10, 0x7f800001
	s_xor_b64 s[4:5], exec, -1
; %bb.2343:
	s_or_b64 exec, exec, s[8:9]
	s_and_b64 s[4:5], s[4:5], exec
	s_or_saveexec_b64 s[6:7], s[6:7]
	v_mov_b32_e32 v14, s10
	s_xor_b64 exec, exec, s[6:7]
	s_cbranch_execz .LBB34_294
.LBB34_2344:
	v_mov_b32_e32 v14, 0
	v_cmp_ne_u16_sdwa s[8:9], v11, v14 src0_sel:BYTE_0 src1_sel:DWORD
	s_andn2_b64 s[4:5], s[4:5], exec
	s_and_b64 s[8:9], s[8:9], exec
	s_or_b64 s[4:5], s[4:5], s[8:9]
	s_or_b64 exec, exec, s[6:7]
	s_and_saveexec_b64 s[6:7], s[4:5]
	s_cbranch_execnz .LBB34_295
	s_branch .LBB34_296
.LBB34_2345:
	s_movk_i32 s4, 0x80
	v_cmp_eq_u16_sdwa s[12:13], v14, s4 src0_sel:BYTE_0 src1_sel:DWORD
	s_mov_b64 s[4:5], -1
                                        ; implicit-def: $sgpr10
	s_and_saveexec_b64 s[8:9], s[12:13]
; %bb.2346:
	s_mov_b32 s10, 0x7f800001
	s_xor_b64 s[4:5], exec, -1
; %bb.2347:
	s_or_b64 exec, exec, s[8:9]
	s_and_b64 s[4:5], s[4:5], exec
	s_or_saveexec_b64 s[6:7], s[6:7]
	v_mov_b32_e32 v10, s10
	s_xor_b64 exec, exec, s[6:7]
	s_cbranch_execz .LBB34_298
.LBB34_2348:
	v_mov_b32_e32 v10, 0
	v_cmp_ne_u16_sdwa s[8:9], v14, v10 src0_sel:BYTE_0 src1_sel:DWORD
	s_andn2_b64 s[4:5], s[4:5], exec
	s_and_b64 s[8:9], s[8:9], exec
	s_or_b64 s[4:5], s[4:5], s[8:9]
	s_or_b64 exec, exec, s[6:7]
	s_and_saveexec_b64 s[6:7], s[4:5]
	s_cbranch_execnz .LBB34_299
	s_branch .LBB34_300
.LBB34_2349:
	s_movk_i32 s4, 0x80
	v_cmp_eq_u16_sdwa s[12:13], v14, s4 src0_sel:BYTE_0 src1_sel:DWORD
	s_mov_b64 s[4:5], -1
                                        ; implicit-def: $sgpr10
	s_and_saveexec_b64 s[8:9], s[12:13]
; %bb.2350:
	s_mov_b32 s10, 0x7f800001
	s_xor_b64 s[4:5], exec, -1
; %bb.2351:
	s_or_b64 exec, exec, s[8:9]
	s_and_b64 s[4:5], s[4:5], exec
	s_or_saveexec_b64 s[6:7], s[6:7]
	v_mov_b32_e32 v20, s10
	s_xor_b64 exec, exec, s[6:7]
	s_cbranch_execz .LBB34_302
.LBB34_2352:
	v_mov_b32_e32 v20, 0
	v_cmp_ne_u16_sdwa s[8:9], v14, v20 src0_sel:BYTE_0 src1_sel:DWORD
	s_andn2_b64 s[4:5], s[4:5], exec
	s_and_b64 s[8:9], s[8:9], exec
	s_or_b64 s[4:5], s[4:5], s[8:9]
	s_or_b64 exec, exec, s[6:7]
	s_and_saveexec_b64 s[6:7], s[4:5]
	s_cbranch_execnz .LBB34_303
	s_branch .LBB34_304
.LBB34_2353:
	s_movk_i32 s4, 0x80
	v_cmp_eq_u16_e32 vcc, s4, v14
	s_mov_b64 s[4:5], -1
                                        ; implicit-def: $sgpr10
	s_and_saveexec_b64 s[8:9], vcc
; %bb.2354:
	s_mov_b32 s10, 0x7f800001
	s_xor_b64 s[4:5], exec, -1
; %bb.2355:
	s_or_b64 exec, exec, s[8:9]
	s_and_b64 s[4:5], s[4:5], exec
                                        ; implicit-def: $vgpr14
	s_or_saveexec_b64 s[6:7], s[6:7]
	v_mov_b32_e32 v10, s10
	s_xor_b64 exec, exec, s[6:7]
	s_cbranch_execz .LBB34_306
.LBB34_2356:
	v_cmp_ne_u16_e32 vcc, 0, v14
	s_andn2_b64 s[4:5], s[4:5], exec
	s_and_b64 s[8:9], vcc, exec
	v_mov_b32_e32 v10, 0
	s_or_b64 s[4:5], s[4:5], s[8:9]
	s_or_b64 exec, exec, s[6:7]
	s_and_saveexec_b64 s[6:7], s[4:5]
	s_cbranch_execnz .LBB34_307
	s_branch .LBB34_308
.LBB34_2357:
	s_movk_i32 s4, 0x80
	v_cmp_eq_u16_e32 vcc, s4, v14
	s_mov_b64 s[4:5], -1
                                        ; implicit-def: $sgpr10
	s_and_saveexec_b64 s[8:9], vcc
; %bb.2358:
	s_mov_b32 s10, 0x7f800001
	s_xor_b64 s[4:5], exec, -1
; %bb.2359:
	s_or_b64 exec, exec, s[8:9]
	s_and_b64 s[4:5], s[4:5], exec
                                        ; implicit-def: $vgpr14
	s_or_saveexec_b64 s[6:7], s[6:7]
	v_mov_b32_e32 v20, s10
	s_xor_b64 exec, exec, s[6:7]
	s_cbranch_execz .LBB34_310
.LBB34_2360:
	v_cmp_ne_u16_e32 vcc, 0, v14
	s_andn2_b64 s[4:5], s[4:5], exec
	s_and_b64 s[8:9], vcc, exec
	v_mov_b32_e32 v20, 0
	s_or_b64 s[4:5], s[4:5], s[8:9]
	s_or_b64 exec, exec, s[6:7]
	s_and_saveexec_b64 s[6:7], s[4:5]
	s_cbranch_execnz .LBB34_311
	s_branch .LBB34_312
.LBB34_2361:
	s_movk_i32 s4, 0x80
	v_cmp_eq_u16_sdwa s[12:13], v15, s4 src0_sel:BYTE_3 src1_sel:DWORD
	s_mov_b64 s[4:5], -1
                                        ; implicit-def: $sgpr10
	s_and_saveexec_b64 s[8:9], s[12:13]
; %bb.2362:
	s_mov_b32 s10, 0x7f800001
	s_xor_b64 s[4:5], exec, -1
; %bb.2363:
	s_or_b64 exec, exec, s[8:9]
	s_and_b64 s[4:5], s[4:5], exec
	s_or_saveexec_b64 s[6:7], s[6:7]
	v_mov_b32_e32 v10, s10
	s_xor_b64 exec, exec, s[6:7]
	s_cbranch_execz .LBB34_314
.LBB34_2364:
	v_mov_b32_e32 v10, 0
	v_cmp_ne_u16_sdwa s[8:9], v15, v10 src0_sel:BYTE_3 src1_sel:DWORD
	s_andn2_b64 s[4:5], s[4:5], exec
	s_and_b64 s[8:9], s[8:9], exec
	s_or_b64 s[4:5], s[4:5], s[8:9]
	s_or_b64 exec, exec, s[6:7]
	s_and_saveexec_b64 s[6:7], s[4:5]
	s_cbranch_execnz .LBB34_315
	s_branch .LBB34_316
.LBB34_2365:
	s_movk_i32 s4, 0x80
	v_cmp_eq_u16_sdwa s[12:13], v11, s4 src0_sel:BYTE_3 src1_sel:DWORD
	s_mov_b64 s[4:5], -1
                                        ; implicit-def: $sgpr10
	s_and_saveexec_b64 s[8:9], s[12:13]
; %bb.2366:
	s_mov_b32 s10, 0x7f800001
	s_xor_b64 s[4:5], exec, -1
; %bb.2367:
	s_or_b64 exec, exec, s[8:9]
	s_and_b64 s[4:5], s[4:5], exec
	s_or_saveexec_b64 s[6:7], s[6:7]
	v_mov_b32_e32 v14, s10
	s_xor_b64 exec, exec, s[6:7]
	s_cbranch_execz .LBB34_318
.LBB34_2368:
	v_mov_b32_e32 v14, 0
	v_cmp_ne_u16_sdwa s[8:9], v11, v14 src0_sel:BYTE_3 src1_sel:DWORD
	s_andn2_b64 s[4:5], s[4:5], exec
	s_and_b64 s[8:9], s[8:9], exec
	s_or_b64 s[4:5], s[4:5], s[8:9]
	s_or_b64 exec, exec, s[6:7]
	s_and_saveexec_b64 s[6:7], s[4:5]
	s_cbranch_execnz .LBB34_319
	s_branch .LBB34_320
.LBB34_2369:
	s_movk_i32 s4, 0x80
	v_cmp_eq_u16_sdwa s[12:13], v16, s4 src0_sel:BYTE_0 src1_sel:DWORD
	s_mov_b64 s[4:5], -1
                                        ; implicit-def: $sgpr10
	s_and_saveexec_b64 s[8:9], s[12:13]
; %bb.2370:
	s_mov_b32 s10, 0x7f800001
	s_xor_b64 s[4:5], exec, -1
; %bb.2371:
	s_or_b64 exec, exec, s[8:9]
	s_and_b64 s[4:5], s[4:5], exec
	s_or_saveexec_b64 s[6:7], s[6:7]
	v_mov_b32_e32 v10, s10
	s_xor_b64 exec, exec, s[6:7]
	s_cbranch_execz .LBB34_322
.LBB34_2372:
	v_mov_b32_e32 v10, 0
	v_cmp_ne_u16_sdwa s[8:9], v16, v10 src0_sel:BYTE_0 src1_sel:DWORD
	s_andn2_b64 s[4:5], s[4:5], exec
	s_and_b64 s[8:9], s[8:9], exec
	s_or_b64 s[4:5], s[4:5], s[8:9]
	s_or_b64 exec, exec, s[6:7]
	s_and_saveexec_b64 s[6:7], s[4:5]
	s_cbranch_execnz .LBB34_323
	s_branch .LBB34_324
.LBB34_2373:
	s_movk_i32 s4, 0x80
	v_cmp_eq_u16_sdwa s[12:13], v12, s4 src0_sel:BYTE_0 src1_sel:DWORD
	s_mov_b64 s[4:5], -1
                                        ; implicit-def: $sgpr10
	s_and_saveexec_b64 s[8:9], s[12:13]
; %bb.2374:
	s_mov_b32 s10, 0x7f800001
	s_xor_b64 s[4:5], exec, -1
; %bb.2375:
	s_or_b64 exec, exec, s[8:9]
	s_and_b64 s[4:5], s[4:5], exec
	s_or_saveexec_b64 s[6:7], s[6:7]
	v_mov_b32_e32 v11, s10
	s_xor_b64 exec, exec, s[6:7]
	s_cbranch_execz .LBB34_326
.LBB34_2376:
	v_mov_b32_e32 v11, 0
	v_cmp_ne_u16_sdwa s[8:9], v12, v11 src0_sel:BYTE_0 src1_sel:DWORD
	s_andn2_b64 s[4:5], s[4:5], exec
	s_and_b64 s[8:9], s[8:9], exec
	s_or_b64 s[4:5], s[4:5], s[8:9]
	s_or_b64 exec, exec, s[6:7]
	s_and_saveexec_b64 s[6:7], s[4:5]
	s_cbranch_execnz .LBB34_327
	s_branch .LBB34_328
.LBB34_2377:
	s_movk_i32 s4, 0x80
	v_cmp_eq_u16_sdwa s[12:13], v11, s4 src0_sel:BYTE_0 src1_sel:DWORD
	s_mov_b64 s[4:5], -1
                                        ; implicit-def: $sgpr10
	s_and_saveexec_b64 s[8:9], s[12:13]
; %bb.2378:
	s_mov_b32 s10, 0x7f800001
	s_xor_b64 s[4:5], exec, -1
; %bb.2379:
	s_or_b64 exec, exec, s[8:9]
	s_and_b64 s[4:5], s[4:5], exec
	s_or_saveexec_b64 s[6:7], s[6:7]
	v_mov_b32_e32 v10, s10
	s_xor_b64 exec, exec, s[6:7]
	s_cbranch_execz .LBB34_330
.LBB34_2380:
	v_mov_b32_e32 v10, 0
	v_cmp_ne_u16_sdwa s[8:9], v11, v10 src0_sel:BYTE_0 src1_sel:DWORD
	s_andn2_b64 s[4:5], s[4:5], exec
	s_and_b64 s[8:9], s[8:9], exec
	s_or_b64 s[4:5], s[4:5], s[8:9]
	s_or_b64 exec, exec, s[6:7]
	s_and_saveexec_b64 s[6:7], s[4:5]
	s_cbranch_execnz .LBB34_331
	s_branch .LBB34_332
.LBB34_2381:
	s_movk_i32 s4, 0x80
	v_cmp_eq_u16_sdwa s[12:13], v11, s4 src0_sel:BYTE_0 src1_sel:DWORD
	s_mov_b64 s[4:5], -1
                                        ; implicit-def: $sgpr10
	s_and_saveexec_b64 s[8:9], s[12:13]
; %bb.2382:
	s_mov_b32 s10, 0x7f800001
	s_xor_b64 s[4:5], exec, -1
; %bb.2383:
	s_or_b64 exec, exec, s[8:9]
	s_and_b64 s[4:5], s[4:5], exec
	s_or_saveexec_b64 s[6:7], s[6:7]
	v_mov_b32_e32 v14, s10
	s_xor_b64 exec, exec, s[6:7]
	s_cbranch_execz .LBB34_334
.LBB34_2384:
	v_mov_b32_e32 v14, 0
	v_cmp_ne_u16_sdwa s[8:9], v11, v14 src0_sel:BYTE_0 src1_sel:DWORD
	s_andn2_b64 s[4:5], s[4:5], exec
	s_and_b64 s[8:9], s[8:9], exec
	s_or_b64 s[4:5], s[4:5], s[8:9]
	s_or_b64 exec, exec, s[6:7]
	s_and_saveexec_b64 s[6:7], s[4:5]
	s_cbranch_execnz .LBB34_335
	s_branch .LBB34_336
.LBB34_2385:
	s_movk_i32 s4, 0x80
	v_cmp_eq_u16_e32 vcc, s4, v11
	s_mov_b64 s[4:5], -1
                                        ; implicit-def: $sgpr10
	s_and_saveexec_b64 s[8:9], vcc
; %bb.2386:
	s_mov_b32 s10, 0x7f800001
	s_xor_b64 s[4:5], exec, -1
; %bb.2387:
	s_or_b64 exec, exec, s[8:9]
	s_and_b64 s[4:5], s[4:5], exec
                                        ; implicit-def: $vgpr11
	s_or_saveexec_b64 s[6:7], s[6:7]
	v_mov_b32_e32 v10, s10
	s_xor_b64 exec, exec, s[6:7]
	s_cbranch_execz .LBB34_338
.LBB34_2388:
	v_cmp_ne_u16_e32 vcc, 0, v11
	s_andn2_b64 s[4:5], s[4:5], exec
	s_and_b64 s[8:9], vcc, exec
	v_mov_b32_e32 v10, 0
	s_or_b64 s[4:5], s[4:5], s[8:9]
	s_or_b64 exec, exec, s[6:7]
	s_and_saveexec_b64 s[6:7], s[4:5]
	s_cbranch_execnz .LBB34_339
	s_branch .LBB34_340
.LBB34_2389:
	s_movk_i32 s4, 0x80
	v_cmp_eq_u16_e32 vcc, s4, v11
	s_mov_b64 s[4:5], -1
                                        ; implicit-def: $sgpr10
	s_and_saveexec_b64 s[8:9], vcc
; %bb.2390:
	s_mov_b32 s10, 0x7f800001
	s_xor_b64 s[4:5], exec, -1
; %bb.2391:
	s_or_b64 exec, exec, s[8:9]
	s_and_b64 s[4:5], s[4:5], exec
                                        ; implicit-def: $vgpr11
	s_or_saveexec_b64 s[6:7], s[6:7]
	v_mov_b32_e32 v14, s10
	s_xor_b64 exec, exec, s[6:7]
	s_cbranch_execz .LBB34_342
.LBB34_2392:
	v_cmp_ne_u16_e32 vcc, 0, v11
	s_andn2_b64 s[4:5], s[4:5], exec
	s_and_b64 s[8:9], vcc, exec
	v_mov_b32_e32 v14, 0
	s_or_b64 s[4:5], s[4:5], s[8:9]
	s_or_b64 exec, exec, s[6:7]
	s_and_saveexec_b64 s[6:7], s[4:5]
	s_cbranch_execnz .LBB34_343
	s_branch .LBB34_344
.LBB34_2393:
	s_movk_i32 s4, 0x80
	v_cmp_eq_u16_sdwa s[12:13], v16, s4 src0_sel:BYTE_3 src1_sel:DWORD
	s_mov_b64 s[4:5], -1
                                        ; implicit-def: $sgpr10
	s_and_saveexec_b64 s[8:9], s[12:13]
; %bb.2394:
	s_mov_b32 s10, 0x7f800001
	s_xor_b64 s[4:5], exec, -1
; %bb.2395:
	s_or_b64 exec, exec, s[8:9]
	s_and_b64 s[4:5], s[4:5], exec
	s_or_saveexec_b64 s[6:7], s[6:7]
	v_mov_b32_e32 v10, s10
	s_xor_b64 exec, exec, s[6:7]
	s_cbranch_execz .LBB34_346
.LBB34_2396:
	v_mov_b32_e32 v10, 0
	v_cmp_ne_u16_sdwa s[8:9], v16, v10 src0_sel:BYTE_3 src1_sel:DWORD
	s_andn2_b64 s[4:5], s[4:5], exec
	s_and_b64 s[8:9], s[8:9], exec
	s_or_b64 s[4:5], s[4:5], s[8:9]
	s_or_b64 exec, exec, s[6:7]
	s_and_saveexec_b64 s[6:7], s[4:5]
	s_cbranch_execnz .LBB34_347
	s_branch .LBB34_348
.LBB34_2397:
	s_movk_i32 s4, 0x80
	v_cmp_eq_u16_sdwa s[12:13], v12, s4 src0_sel:BYTE_3 src1_sel:DWORD
	s_mov_b64 s[4:5], -1
                                        ; implicit-def: $sgpr10
	s_and_saveexec_b64 s[8:9], s[12:13]
; %bb.2398:
	s_mov_b32 s10, 0x7f800001
	s_xor_b64 s[4:5], exec, -1
; %bb.2399:
	s_or_b64 exec, exec, s[8:9]
	s_and_b64 s[4:5], s[4:5], exec
	s_or_saveexec_b64 s[6:7], s[6:7]
	v_mov_b32_e32 v11, s10
	s_xor_b64 exec, exec, s[6:7]
	s_cbranch_execz .LBB34_350
.LBB34_2400:
	v_mov_b32_e32 v11, 0
	v_cmp_ne_u16_sdwa s[8:9], v12, v11 src0_sel:BYTE_3 src1_sel:DWORD
	s_andn2_b64 s[4:5], s[4:5], exec
	s_and_b64 s[8:9], s[8:9], exec
	s_or_b64 s[4:5], s[4:5], s[8:9]
	s_or_b64 exec, exec, s[6:7]
	s_and_saveexec_b64 s[6:7], s[4:5]
	s_cbranch_execnz .LBB34_351
	s_branch .LBB34_352
.LBB34_2401:
	s_movk_i32 s4, 0x80
	v_cmp_eq_u16_sdwa s[12:13], v17, s4 src0_sel:BYTE_0 src1_sel:DWORD
	s_mov_b64 s[4:5], -1
                                        ; implicit-def: $sgpr10
	s_and_saveexec_b64 s[8:9], s[12:13]
; %bb.2402:
	s_mov_b32 s10, 0x7f800001
	s_xor_b64 s[4:5], exec, -1
; %bb.2403:
	s_or_b64 exec, exec, s[8:9]
	s_and_b64 s[4:5], s[4:5], exec
	s_or_saveexec_b64 s[6:7], s[6:7]
	v_mov_b32_e32 v10, s10
	s_xor_b64 exec, exec, s[6:7]
	s_cbranch_execz .LBB34_354
.LBB34_2404:
	v_mov_b32_e32 v10, 0
	v_cmp_ne_u16_sdwa s[8:9], v17, v10 src0_sel:BYTE_0 src1_sel:DWORD
	s_andn2_b64 s[4:5], s[4:5], exec
	s_and_b64 s[8:9], s[8:9], exec
	s_or_b64 s[4:5], s[4:5], s[8:9]
	s_or_b64 exec, exec, s[6:7]
	s_and_saveexec_b64 s[6:7], s[4:5]
	s_cbranch_execnz .LBB34_355
	s_branch .LBB34_356
.LBB34_2405:
	s_movk_i32 s4, 0x80
	v_cmp_eq_u16_sdwa s[12:13], v13, s4 src0_sel:BYTE_0 src1_sel:DWORD
	s_mov_b64 s[4:5], -1
                                        ; implicit-def: $sgpr10
	s_and_saveexec_b64 s[8:9], s[12:13]
; %bb.2406:
	s_mov_b32 s10, 0x7f800001
	s_xor_b64 s[4:5], exec, -1
; %bb.2407:
	s_or_b64 exec, exec, s[8:9]
	s_and_b64 s[4:5], s[4:5], exec
	s_or_saveexec_b64 s[6:7], s[6:7]
	v_mov_b32_e32 v11, s10
	s_xor_b64 exec, exec, s[6:7]
	s_cbranch_execz .LBB34_358
.LBB34_2408:
	v_mov_b32_e32 v11, 0
	v_cmp_ne_u16_sdwa s[8:9], v13, v11 src0_sel:BYTE_0 src1_sel:DWORD
	s_andn2_b64 s[4:5], s[4:5], exec
	s_and_b64 s[8:9], s[8:9], exec
	s_or_b64 s[4:5], s[4:5], s[8:9]
	s_or_b64 exec, exec, s[6:7]
	s_and_saveexec_b64 s[6:7], s[4:5]
	s_cbranch_execnz .LBB34_359
	s_branch .LBB34_360
.LBB34_2409:
	s_movk_i32 s4, 0x80
	v_cmp_eq_u16_sdwa s[12:13], v11, s4 src0_sel:BYTE_0 src1_sel:DWORD
	s_mov_b64 s[4:5], -1
                                        ; implicit-def: $sgpr10
	s_and_saveexec_b64 s[8:9], s[12:13]
; %bb.2410:
	s_mov_b32 s10, 0x7f800001
	s_xor_b64 s[4:5], exec, -1
; %bb.2411:
	s_or_b64 exec, exec, s[8:9]
	s_and_b64 s[4:5], s[4:5], exec
	s_or_saveexec_b64 s[6:7], s[6:7]
	v_mov_b32_e32 v10, s10
	s_xor_b64 exec, exec, s[6:7]
	s_cbranch_execz .LBB34_362
.LBB34_2412:
	v_mov_b32_e32 v10, 0
	v_cmp_ne_u16_sdwa s[8:9], v11, v10 src0_sel:BYTE_0 src1_sel:DWORD
	s_andn2_b64 s[4:5], s[4:5], exec
	s_and_b64 s[8:9], s[8:9], exec
	s_or_b64 s[4:5], s[4:5], s[8:9]
	s_or_b64 exec, exec, s[6:7]
	s_and_saveexec_b64 s[6:7], s[4:5]
	s_cbranch_execnz .LBB34_363
	s_branch .LBB34_364
.LBB34_2413:
	s_movk_i32 s4, 0x80
	v_cmp_eq_u16_sdwa s[12:13], v11, s4 src0_sel:BYTE_0 src1_sel:DWORD
	s_mov_b64 s[4:5], -1
                                        ; implicit-def: $sgpr10
	s_and_saveexec_b64 s[8:9], s[12:13]
; %bb.2414:
	s_mov_b32 s10, 0x7f800001
	s_xor_b64 s[4:5], exec, -1
; %bb.2415:
	s_or_b64 exec, exec, s[8:9]
	s_and_b64 s[4:5], s[4:5], exec
	s_or_saveexec_b64 s[6:7], s[6:7]
	v_mov_b32_e32 v12, s10
	s_xor_b64 exec, exec, s[6:7]
	s_cbranch_execz .LBB34_366
.LBB34_2416:
	v_mov_b32_e32 v12, 0
	v_cmp_ne_u16_sdwa s[8:9], v11, v12 src0_sel:BYTE_0 src1_sel:DWORD
	s_andn2_b64 s[4:5], s[4:5], exec
	s_and_b64 s[8:9], s[8:9], exec
	s_or_b64 s[4:5], s[4:5], s[8:9]
	s_or_b64 exec, exec, s[6:7]
	s_and_saveexec_b64 s[6:7], s[4:5]
	s_cbranch_execnz .LBB34_367
	s_branch .LBB34_368
.LBB34_2417:
	s_movk_i32 s4, 0x80
	v_cmp_eq_u16_e32 vcc, s4, v11
	s_mov_b64 s[4:5], -1
                                        ; implicit-def: $sgpr10
	s_and_saveexec_b64 s[8:9], vcc
; %bb.2418:
	s_mov_b32 s10, 0x7f800001
	s_xor_b64 s[4:5], exec, -1
; %bb.2419:
	s_or_b64 exec, exec, s[8:9]
	s_and_b64 s[4:5], s[4:5], exec
                                        ; implicit-def: $vgpr11
	s_or_saveexec_b64 s[6:7], s[6:7]
	v_mov_b32_e32 v10, s10
	s_xor_b64 exec, exec, s[6:7]
	s_cbranch_execz .LBB34_370
.LBB34_2420:
	v_cmp_ne_u16_e32 vcc, 0, v11
	s_andn2_b64 s[4:5], s[4:5], exec
	s_and_b64 s[8:9], vcc, exec
	v_mov_b32_e32 v10, 0
	s_or_b64 s[4:5], s[4:5], s[8:9]
	s_or_b64 exec, exec, s[6:7]
	s_and_saveexec_b64 s[6:7], s[4:5]
	s_cbranch_execnz .LBB34_371
	s_branch .LBB34_372
.LBB34_2421:
	s_movk_i32 s4, 0x80
	v_cmp_eq_u16_e32 vcc, s4, v11
	s_mov_b64 s[4:5], -1
                                        ; implicit-def: $sgpr10
	s_and_saveexec_b64 s[8:9], vcc
; %bb.2422:
	s_mov_b32 s10, 0x7f800001
	s_xor_b64 s[4:5], exec, -1
; %bb.2423:
	s_or_b64 exec, exec, s[8:9]
	s_and_b64 s[4:5], s[4:5], exec
                                        ; implicit-def: $vgpr11
	s_or_saveexec_b64 s[6:7], s[6:7]
	v_mov_b32_e32 v12, s10
	s_xor_b64 exec, exec, s[6:7]
	s_cbranch_execz .LBB34_374
.LBB34_2424:
	v_cmp_ne_u16_e32 vcc, 0, v11
	s_andn2_b64 s[4:5], s[4:5], exec
	s_and_b64 s[8:9], vcc, exec
	v_mov_b32_e32 v12, 0
	s_or_b64 s[4:5], s[4:5], s[8:9]
	s_or_b64 exec, exec, s[6:7]
	s_and_saveexec_b64 s[6:7], s[4:5]
	s_cbranch_execnz .LBB34_375
	s_branch .LBB34_376
.LBB34_2425:
	s_movk_i32 s4, 0x80
	v_cmp_eq_u16_sdwa s[12:13], v17, s4 src0_sel:BYTE_3 src1_sel:DWORD
	s_mov_b64 s[4:5], -1
                                        ; implicit-def: $sgpr10
	s_and_saveexec_b64 s[8:9], s[12:13]
; %bb.2426:
	s_mov_b32 s10, 0x7f800001
	s_xor_b64 s[4:5], exec, -1
; %bb.2427:
	s_or_b64 exec, exec, s[8:9]
	s_and_b64 s[4:5], s[4:5], exec
	s_or_saveexec_b64 s[6:7], s[6:7]
	v_mov_b32_e32 v10, s10
	s_xor_b64 exec, exec, s[6:7]
	s_cbranch_execz .LBB34_378
.LBB34_2428:
	v_mov_b32_e32 v10, 0
	v_cmp_ne_u16_sdwa s[8:9], v17, v10 src0_sel:BYTE_3 src1_sel:DWORD
	s_andn2_b64 s[4:5], s[4:5], exec
	s_and_b64 s[8:9], s[8:9], exec
	s_or_b64 s[4:5], s[4:5], s[8:9]
	s_or_b64 exec, exec, s[6:7]
	s_and_saveexec_b64 s[6:7], s[4:5]
	s_cbranch_execnz .LBB34_379
	s_branch .LBB34_380
.LBB34_2429:
	s_movk_i32 s4, 0x80
	v_cmp_eq_u16_sdwa s[12:13], v13, s4 src0_sel:BYTE_3 src1_sel:DWORD
	s_mov_b64 s[4:5], -1
                                        ; implicit-def: $sgpr10
	s_and_saveexec_b64 s[8:9], s[12:13]
; %bb.2430:
	s_mov_b32 s10, 0x7f800001
	s_xor_b64 s[4:5], exec, -1
; %bb.2431:
	s_or_b64 exec, exec, s[8:9]
	s_and_b64 s[4:5], s[4:5], exec
	s_or_saveexec_b64 s[6:7], s[6:7]
	v_mov_b32_e32 v11, s10
	s_xor_b64 exec, exec, s[6:7]
	s_cbranch_execz .LBB34_382
.LBB34_2432:
	v_mov_b32_e32 v11, 0
	v_cmp_ne_u16_sdwa s[8:9], v13, v11 src0_sel:BYTE_3 src1_sel:DWORD
	s_andn2_b64 s[4:5], s[4:5], exec
	s_and_b64 s[8:9], s[8:9], exec
	s_or_b64 s[4:5], s[4:5], s[8:9]
	s_or_b64 exec, exec, s[6:7]
	s_and_saveexec_b64 s[6:7], s[4:5]
	s_cbranch_execnz .LBB34_383
	s_branch .LBB34_384
.LBB34_2433:
	s_movk_i32 s4, 0x80
	v_cmp_eq_u16_sdwa s[12:13], v6, s4 src0_sel:BYTE_0 src1_sel:DWORD
	s_mov_b64 s[4:5], -1
                                        ; implicit-def: $sgpr10
	s_and_saveexec_b64 s[8:9], s[12:13]
; %bb.2434:
	s_mov_b32 s10, 0x7f800001
	s_xor_b64 s[4:5], exec, -1
; %bb.2435:
	s_or_b64 exec, exec, s[8:9]
	s_and_b64 s[4:5], s[4:5], exec
	s_or_saveexec_b64 s[6:7], s[6:7]
	v_mov_b32_e32 v10, s10
	s_xor_b64 exec, exec, s[6:7]
	s_cbranch_execz .LBB34_386
.LBB34_2436:
	v_mov_b32_e32 v10, 0
	v_cmp_ne_u16_sdwa s[8:9], v6, v10 src0_sel:BYTE_0 src1_sel:DWORD
	s_andn2_b64 s[4:5], s[4:5], exec
	s_and_b64 s[8:9], s[8:9], exec
	s_or_b64 s[4:5], s[4:5], s[8:9]
	s_or_b64 exec, exec, s[6:7]
	s_and_saveexec_b64 s[6:7], s[4:5]
	s_cbranch_execnz .LBB34_387
	s_branch .LBB34_388
.LBB34_2437:
	s_movk_i32 s4, 0x80
	v_cmp_eq_u16_sdwa s[12:13], v2, s4 src0_sel:BYTE_0 src1_sel:DWORD
	s_mov_b64 s[4:5], -1
                                        ; implicit-def: $sgpr10
	s_and_saveexec_b64 s[8:9], s[12:13]
; %bb.2438:
	s_mov_b32 s10, 0x7f800001
	s_xor_b64 s[4:5], exec, -1
; %bb.2439:
	s_or_b64 exec, exec, s[8:9]
	s_and_b64 s[4:5], s[4:5], exec
	s_or_saveexec_b64 s[6:7], s[6:7]
	v_mov_b32_e32 v11, s10
	s_xor_b64 exec, exec, s[6:7]
	s_cbranch_execz .LBB34_390
.LBB34_2440:
	v_mov_b32_e32 v11, 0
	v_cmp_ne_u16_sdwa s[8:9], v2, v11 src0_sel:BYTE_0 src1_sel:DWORD
	s_andn2_b64 s[4:5], s[4:5], exec
	s_and_b64 s[8:9], s[8:9], exec
	s_or_b64 s[4:5], s[4:5], s[8:9]
	s_or_b64 exec, exec, s[6:7]
	s_and_saveexec_b64 s[6:7], s[4:5]
	s_cbranch_execnz .LBB34_391
	s_branch .LBB34_392
.LBB34_2441:
	s_movk_i32 s4, 0x80
	v_cmp_eq_u16_sdwa s[12:13], v11, s4 src0_sel:BYTE_0 src1_sel:DWORD
	s_mov_b64 s[4:5], -1
                                        ; implicit-def: $sgpr10
	s_and_saveexec_b64 s[8:9], s[12:13]
; %bb.2442:
	s_mov_b32 s10, 0x7f800001
	s_xor_b64 s[4:5], exec, -1
; %bb.2443:
	s_or_b64 exec, exec, s[8:9]
	s_and_b64 s[4:5], s[4:5], exec
	s_or_saveexec_b64 s[6:7], s[6:7]
	v_mov_b32_e32 v10, s10
	s_xor_b64 exec, exec, s[6:7]
	s_cbranch_execz .LBB34_394
.LBB34_2444:
	v_mov_b32_e32 v10, 0
	v_cmp_ne_u16_sdwa s[8:9], v11, v10 src0_sel:BYTE_0 src1_sel:DWORD
	s_andn2_b64 s[4:5], s[4:5], exec
	s_and_b64 s[8:9], s[8:9], exec
	s_or_b64 s[4:5], s[4:5], s[8:9]
	s_or_b64 exec, exec, s[6:7]
	s_and_saveexec_b64 s[6:7], s[4:5]
	s_cbranch_execnz .LBB34_395
	s_branch .LBB34_396
.LBB34_2445:
	s_movk_i32 s4, 0x80
	v_cmp_eq_u16_sdwa s[12:13], v11, s4 src0_sel:BYTE_0 src1_sel:DWORD
	s_mov_b64 s[4:5], -1
                                        ; implicit-def: $sgpr10
	s_and_saveexec_b64 s[8:9], s[12:13]
; %bb.2446:
	s_mov_b32 s10, 0x7f800001
	s_xor_b64 s[4:5], exec, -1
; %bb.2447:
	s_or_b64 exec, exec, s[8:9]
	s_and_b64 s[4:5], s[4:5], exec
	s_or_saveexec_b64 s[6:7], s[6:7]
	v_mov_b32_e32 v12, s10
	s_xor_b64 exec, exec, s[6:7]
	s_cbranch_execz .LBB34_398
.LBB34_2448:
	v_mov_b32_e32 v12, 0
	v_cmp_ne_u16_sdwa s[8:9], v11, v12 src0_sel:BYTE_0 src1_sel:DWORD
	s_andn2_b64 s[4:5], s[4:5], exec
	s_and_b64 s[8:9], s[8:9], exec
	s_or_b64 s[4:5], s[4:5], s[8:9]
	s_or_b64 exec, exec, s[6:7]
	s_and_saveexec_b64 s[6:7], s[4:5]
	s_cbranch_execnz .LBB34_399
	s_branch .LBB34_400
.LBB34_2449:
	s_movk_i32 s4, 0x80
	v_cmp_eq_u16_e32 vcc, s4, v11
	s_mov_b64 s[4:5], -1
                                        ; implicit-def: $sgpr10
	s_and_saveexec_b64 s[8:9], vcc
; %bb.2450:
	s_mov_b32 s10, 0x7f800001
	s_xor_b64 s[4:5], exec, -1
; %bb.2451:
	s_or_b64 exec, exec, s[8:9]
	s_and_b64 s[4:5], s[4:5], exec
                                        ; implicit-def: $vgpr11
	s_or_saveexec_b64 s[6:7], s[6:7]
	v_mov_b32_e32 v10, s10
	s_xor_b64 exec, exec, s[6:7]
	s_cbranch_execz .LBB34_402
.LBB34_2452:
	v_cmp_ne_u16_e32 vcc, 0, v11
	s_andn2_b64 s[4:5], s[4:5], exec
	s_and_b64 s[8:9], vcc, exec
	v_mov_b32_e32 v10, 0
	s_or_b64 s[4:5], s[4:5], s[8:9]
	s_or_b64 exec, exec, s[6:7]
	s_and_saveexec_b64 s[6:7], s[4:5]
	s_cbranch_execnz .LBB34_403
	s_branch .LBB34_404
.LBB34_2453:
	s_movk_i32 s4, 0x80
	v_cmp_eq_u16_e32 vcc, s4, v11
	s_mov_b64 s[4:5], -1
                                        ; implicit-def: $sgpr10
	s_and_saveexec_b64 s[8:9], vcc
; %bb.2454:
	s_mov_b32 s10, 0x7f800001
	s_xor_b64 s[4:5], exec, -1
; %bb.2455:
	s_or_b64 exec, exec, s[8:9]
	s_and_b64 s[4:5], s[4:5], exec
                                        ; implicit-def: $vgpr11
	s_or_saveexec_b64 s[6:7], s[6:7]
	v_mov_b32_e32 v12, s10
	s_xor_b64 exec, exec, s[6:7]
	s_cbranch_execz .LBB34_406
.LBB34_2456:
	v_cmp_ne_u16_e32 vcc, 0, v11
	s_andn2_b64 s[4:5], s[4:5], exec
	s_and_b64 s[8:9], vcc, exec
	v_mov_b32_e32 v12, 0
	s_or_b64 s[4:5], s[4:5], s[8:9]
	s_or_b64 exec, exec, s[6:7]
	s_and_saveexec_b64 s[6:7], s[4:5]
	s_cbranch_execnz .LBB34_407
	s_branch .LBB34_408
.LBB34_2457:
	s_movk_i32 s4, 0x80
	v_cmp_eq_u16_sdwa s[12:13], v6, s4 src0_sel:BYTE_3 src1_sel:DWORD
	s_mov_b64 s[4:5], -1
                                        ; implicit-def: $sgpr10
	s_and_saveexec_b64 s[8:9], s[12:13]
; %bb.2458:
	s_mov_b32 s10, 0x7f800001
	s_xor_b64 s[4:5], exec, -1
; %bb.2459:
	s_or_b64 exec, exec, s[8:9]
	s_and_b64 s[4:5], s[4:5], exec
	s_or_saveexec_b64 s[6:7], s[6:7]
	v_mov_b32_e32 v10, s10
	s_xor_b64 exec, exec, s[6:7]
	s_cbranch_execz .LBB34_410
.LBB34_2460:
	v_mov_b32_e32 v10, 0
	v_cmp_ne_u16_sdwa s[8:9], v6, v10 src0_sel:BYTE_3 src1_sel:DWORD
	s_andn2_b64 s[4:5], s[4:5], exec
	s_and_b64 s[8:9], s[8:9], exec
	s_or_b64 s[4:5], s[4:5], s[8:9]
	s_or_b64 exec, exec, s[6:7]
	s_and_saveexec_b64 s[6:7], s[4:5]
	s_cbranch_execnz .LBB34_411
	s_branch .LBB34_412
.LBB34_2461:
	s_movk_i32 s4, 0x80
	v_cmp_eq_u16_sdwa s[12:13], v2, s4 src0_sel:BYTE_3 src1_sel:DWORD
	s_mov_b64 s[4:5], -1
                                        ; implicit-def: $sgpr10
	s_and_saveexec_b64 s[8:9], s[12:13]
; %bb.2462:
	s_mov_b32 s10, 0x7f800001
	s_xor_b64 s[4:5], exec, -1
; %bb.2463:
	s_or_b64 exec, exec, s[8:9]
	s_and_b64 s[4:5], s[4:5], exec
	s_or_saveexec_b64 s[6:7], s[6:7]
	v_mov_b32_e32 v6, s10
	s_xor_b64 exec, exec, s[6:7]
	s_cbranch_execz .LBB34_414
.LBB34_2464:
	v_mov_b32_e32 v6, 0
	v_cmp_ne_u16_sdwa s[8:9], v2, v6 src0_sel:BYTE_3 src1_sel:DWORD
	s_andn2_b64 s[4:5], s[4:5], exec
	s_and_b64 s[8:9], s[8:9], exec
	s_or_b64 s[4:5], s[4:5], s[8:9]
	s_or_b64 exec, exec, s[6:7]
	s_and_saveexec_b64 s[6:7], s[4:5]
	s_cbranch_execnz .LBB34_415
	s_branch .LBB34_416
.LBB34_2465:
	s_movk_i32 s4, 0x80
	v_cmp_eq_u16_sdwa s[12:13], v7, s4 src0_sel:BYTE_0 src1_sel:DWORD
	s_mov_b64 s[4:5], -1
                                        ; implicit-def: $sgpr10
	s_and_saveexec_b64 s[8:9], s[12:13]
; %bb.2466:
	s_mov_b32 s10, 0x7f800001
	s_xor_b64 s[4:5], exec, -1
; %bb.2467:
	s_or_b64 exec, exec, s[8:9]
	s_and_b64 s[4:5], s[4:5], exec
	s_or_saveexec_b64 s[6:7], s[6:7]
	v_mov_b32_e32 v2, s10
	s_xor_b64 exec, exec, s[6:7]
	s_cbranch_execz .LBB34_418
.LBB34_2468:
	v_mov_b32_e32 v2, 0
	v_cmp_ne_u16_sdwa s[8:9], v7, v2 src0_sel:BYTE_0 src1_sel:DWORD
	s_andn2_b64 s[4:5], s[4:5], exec
	s_and_b64 s[8:9], s[8:9], exec
	s_or_b64 s[4:5], s[4:5], s[8:9]
	s_or_b64 exec, exec, s[6:7]
	s_and_saveexec_b64 s[6:7], s[4:5]
	s_cbranch_execnz .LBB34_419
	s_branch .LBB34_420
.LBB34_2469:
	s_movk_i32 s4, 0x80
	v_cmp_eq_u16_sdwa s[12:13], v3, s4 src0_sel:BYTE_0 src1_sel:DWORD
	s_mov_b64 s[4:5], -1
                                        ; implicit-def: $sgpr10
	s_and_saveexec_b64 s[8:9], s[12:13]
; %bb.2470:
	s_mov_b32 s10, 0x7f800001
	s_xor_b64 s[4:5], exec, -1
; %bb.2471:
	s_or_b64 exec, exec, s[8:9]
	s_and_b64 s[4:5], s[4:5], exec
	s_or_saveexec_b64 s[6:7], s[6:7]
	v_mov_b32_e32 v6, s10
	s_xor_b64 exec, exec, s[6:7]
	s_cbranch_execz .LBB34_422
.LBB34_2472:
	v_mov_b32_e32 v6, 0
	v_cmp_ne_u16_sdwa s[8:9], v3, v6 src0_sel:BYTE_0 src1_sel:DWORD
	s_andn2_b64 s[4:5], s[4:5], exec
	s_and_b64 s[8:9], s[8:9], exec
	s_or_b64 s[4:5], s[4:5], s[8:9]
	s_or_b64 exec, exec, s[6:7]
	s_and_saveexec_b64 s[6:7], s[4:5]
	s_cbranch_execnz .LBB34_423
	s_branch .LBB34_424
.LBB34_2473:
	s_movk_i32 s4, 0x80
	v_cmp_eq_u16_sdwa s[12:13], v6, s4 src0_sel:BYTE_0 src1_sel:DWORD
	s_mov_b64 s[4:5], -1
                                        ; implicit-def: $sgpr10
	s_and_saveexec_b64 s[8:9], s[12:13]
; %bb.2474:
	s_mov_b32 s10, 0x7f800001
	s_xor_b64 s[4:5], exec, -1
; %bb.2475:
	s_or_b64 exec, exec, s[8:9]
	s_and_b64 s[4:5], s[4:5], exec
	s_or_saveexec_b64 s[6:7], s[6:7]
	v_mov_b32_e32 v2, s10
	s_xor_b64 exec, exec, s[6:7]
	s_cbranch_execz .LBB34_426
.LBB34_2476:
	v_mov_b32_e32 v2, 0
	v_cmp_ne_u16_sdwa s[8:9], v6, v2 src0_sel:BYTE_0 src1_sel:DWORD
	s_andn2_b64 s[4:5], s[4:5], exec
	s_and_b64 s[8:9], s[8:9], exec
	s_or_b64 s[4:5], s[4:5], s[8:9]
	s_or_b64 exec, exec, s[6:7]
	s_and_saveexec_b64 s[6:7], s[4:5]
	s_cbranch_execnz .LBB34_427
	s_branch .LBB34_428
.LBB34_2477:
	s_movk_i32 s4, 0x80
	v_cmp_eq_u16_sdwa s[12:13], v6, s4 src0_sel:BYTE_0 src1_sel:DWORD
	s_mov_b64 s[4:5], -1
                                        ; implicit-def: $sgpr10
	s_and_saveexec_b64 s[8:9], s[12:13]
; %bb.2478:
	s_mov_b32 s10, 0x7f800001
	s_xor_b64 s[4:5], exec, -1
; %bb.2479:
	s_or_b64 exec, exec, s[8:9]
	s_and_b64 s[4:5], s[4:5], exec
	s_or_saveexec_b64 s[6:7], s[6:7]
	v_mov_b32_e32 v10, s10
	s_xor_b64 exec, exec, s[6:7]
	s_cbranch_execz .LBB34_430
.LBB34_2480:
	v_mov_b32_e32 v10, 0
	v_cmp_ne_u16_sdwa s[8:9], v6, v10 src0_sel:BYTE_0 src1_sel:DWORD
	s_andn2_b64 s[4:5], s[4:5], exec
	s_and_b64 s[8:9], s[8:9], exec
	s_or_b64 s[4:5], s[4:5], s[8:9]
	s_or_b64 exec, exec, s[6:7]
	s_and_saveexec_b64 s[6:7], s[4:5]
	s_cbranch_execnz .LBB34_431
	s_branch .LBB34_432
.LBB34_2481:
	s_movk_i32 s4, 0x80
	v_cmp_eq_u16_e32 vcc, s4, v6
	s_mov_b64 s[4:5], -1
                                        ; implicit-def: $sgpr10
	s_and_saveexec_b64 s[8:9], vcc
; %bb.2482:
	s_mov_b32 s10, 0x7f800001
	s_xor_b64 s[4:5], exec, -1
; %bb.2483:
	s_or_b64 exec, exec, s[8:9]
	s_and_b64 s[4:5], s[4:5], exec
                                        ; implicit-def: $vgpr6
	s_or_saveexec_b64 s[6:7], s[6:7]
	v_mov_b32_e32 v2, s10
	s_xor_b64 exec, exec, s[6:7]
	s_cbranch_execz .LBB34_434
.LBB34_2484:
	v_cmp_ne_u16_e32 vcc, 0, v6
	s_andn2_b64 s[4:5], s[4:5], exec
	s_and_b64 s[8:9], vcc, exec
	v_mov_b32_e32 v2, 0
	s_or_b64 s[4:5], s[4:5], s[8:9]
	s_or_b64 exec, exec, s[6:7]
	s_and_saveexec_b64 s[6:7], s[4:5]
	s_cbranch_execnz .LBB34_435
	s_branch .LBB34_436
.LBB34_2485:
	s_movk_i32 s4, 0x80
	v_cmp_eq_u16_e32 vcc, s4, v6
	s_mov_b64 s[4:5], -1
                                        ; implicit-def: $sgpr10
	s_and_saveexec_b64 s[8:9], vcc
; %bb.2486:
	s_mov_b32 s10, 0x7f800001
	s_xor_b64 s[4:5], exec, -1
; %bb.2487:
	s_or_b64 exec, exec, s[8:9]
	s_and_b64 s[4:5], s[4:5], exec
                                        ; implicit-def: $vgpr6
	s_or_saveexec_b64 s[6:7], s[6:7]
	v_mov_b32_e32 v10, s10
	s_xor_b64 exec, exec, s[6:7]
	s_cbranch_execz .LBB34_438
.LBB34_2488:
	v_cmp_ne_u16_e32 vcc, 0, v6
	s_andn2_b64 s[4:5], s[4:5], exec
	s_and_b64 s[8:9], vcc, exec
	v_mov_b32_e32 v10, 0
	s_or_b64 s[4:5], s[4:5], s[8:9]
	s_or_b64 exec, exec, s[6:7]
	s_and_saveexec_b64 s[6:7], s[4:5]
	s_cbranch_execnz .LBB34_439
	s_branch .LBB34_440
.LBB34_2489:
	s_movk_i32 s4, 0x80
	v_cmp_eq_u16_sdwa s[12:13], v7, s4 src0_sel:BYTE_3 src1_sel:DWORD
	s_mov_b64 s[4:5], -1
                                        ; implicit-def: $sgpr10
	s_and_saveexec_b64 s[8:9], s[12:13]
; %bb.2490:
	s_mov_b32 s10, 0x7f800001
	s_xor_b64 s[4:5], exec, -1
; %bb.2491:
	s_or_b64 exec, exec, s[8:9]
	s_and_b64 s[4:5], s[4:5], exec
	s_or_saveexec_b64 s[6:7], s[6:7]
	v_mov_b32_e32 v2, s10
	s_xor_b64 exec, exec, s[6:7]
	s_cbranch_execz .LBB34_442
.LBB34_2492:
	v_mov_b32_e32 v2, 0
	v_cmp_ne_u16_sdwa s[8:9], v7, v2 src0_sel:BYTE_3 src1_sel:DWORD
	s_andn2_b64 s[4:5], s[4:5], exec
	s_and_b64 s[8:9], s[8:9], exec
	s_or_b64 s[4:5], s[4:5], s[8:9]
	s_or_b64 exec, exec, s[6:7]
	s_and_saveexec_b64 s[6:7], s[4:5]
	s_cbranch_execnz .LBB34_443
	s_branch .LBB34_444
.LBB34_2493:
	s_movk_i32 s4, 0x80
	v_cmp_eq_u16_sdwa s[12:13], v3, s4 src0_sel:BYTE_3 src1_sel:DWORD
	s_mov_b64 s[4:5], -1
                                        ; implicit-def: $sgpr10
	s_and_saveexec_b64 s[8:9], s[12:13]
; %bb.2494:
	s_mov_b32 s10, 0x7f800001
	s_xor_b64 s[4:5], exec, -1
; %bb.2495:
	s_or_b64 exec, exec, s[8:9]
	s_and_b64 s[4:5], s[4:5], exec
	s_or_saveexec_b64 s[6:7], s[6:7]
	v_mov_b32_e32 v6, s10
	s_xor_b64 exec, exec, s[6:7]
	s_cbranch_execz .LBB34_446
.LBB34_2496:
	v_mov_b32_e32 v6, 0
	v_cmp_ne_u16_sdwa s[8:9], v3, v6 src0_sel:BYTE_3 src1_sel:DWORD
	s_andn2_b64 s[4:5], s[4:5], exec
	s_and_b64 s[8:9], s[8:9], exec
	s_or_b64 s[4:5], s[4:5], s[8:9]
	s_or_b64 exec, exec, s[6:7]
	s_and_saveexec_b64 s[6:7], s[4:5]
	s_cbranch_execnz .LBB34_447
	s_branch .LBB34_448
.LBB34_2497:
	s_movk_i32 s4, 0x80
	v_cmp_eq_u16_sdwa s[12:13], v8, s4 src0_sel:BYTE_0 src1_sel:DWORD
	s_mov_b64 s[4:5], -1
                                        ; implicit-def: $sgpr10
	s_and_saveexec_b64 s[8:9], s[12:13]
; %bb.2498:
	s_mov_b32 s10, 0x7f800001
	s_xor_b64 s[4:5], exec, -1
; %bb.2499:
	s_or_b64 exec, exec, s[8:9]
	s_and_b64 s[4:5], s[4:5], exec
	s_or_saveexec_b64 s[6:7], s[6:7]
	v_mov_b32_e32 v2, s10
	s_xor_b64 exec, exec, s[6:7]
	s_cbranch_execz .LBB34_450
.LBB34_2500:
	v_mov_b32_e32 v2, 0
	v_cmp_ne_u16_sdwa s[8:9], v8, v2 src0_sel:BYTE_0 src1_sel:DWORD
	s_andn2_b64 s[4:5], s[4:5], exec
	s_and_b64 s[8:9], s[8:9], exec
	s_or_b64 s[4:5], s[4:5], s[8:9]
	s_or_b64 exec, exec, s[6:7]
	s_and_saveexec_b64 s[6:7], s[4:5]
	s_cbranch_execnz .LBB34_451
	s_branch .LBB34_452
.LBB34_2501:
	s_movk_i32 s4, 0x80
	v_cmp_eq_u16_sdwa s[12:13], v4, s4 src0_sel:BYTE_0 src1_sel:DWORD
	s_mov_b64 s[4:5], -1
                                        ; implicit-def: $sgpr10
	s_and_saveexec_b64 s[8:9], s[12:13]
; %bb.2502:
	s_mov_b32 s10, 0x7f800001
	s_xor_b64 s[4:5], exec, -1
; %bb.2503:
	s_or_b64 exec, exec, s[8:9]
	s_and_b64 s[4:5], s[4:5], exec
	s_or_saveexec_b64 s[6:7], s[6:7]
	v_mov_b32_e32 v3, s10
	s_xor_b64 exec, exec, s[6:7]
	s_cbranch_execz .LBB34_454
.LBB34_2504:
	v_mov_b32_e32 v3, 0
	v_cmp_ne_u16_sdwa s[8:9], v4, v3 src0_sel:BYTE_0 src1_sel:DWORD
	s_andn2_b64 s[4:5], s[4:5], exec
	s_and_b64 s[8:9], s[8:9], exec
	s_or_b64 s[4:5], s[4:5], s[8:9]
	s_or_b64 exec, exec, s[6:7]
	s_and_saveexec_b64 s[6:7], s[4:5]
	s_cbranch_execnz .LBB34_455
	s_branch .LBB34_456
.LBB34_2505:
	s_movk_i32 s4, 0x80
	v_cmp_eq_u16_sdwa s[12:13], v3, s4 src0_sel:BYTE_0 src1_sel:DWORD
	s_mov_b64 s[4:5], -1
                                        ; implicit-def: $sgpr10
	s_and_saveexec_b64 s[8:9], s[12:13]
; %bb.2506:
	s_mov_b32 s10, 0x7f800001
	s_xor_b64 s[4:5], exec, -1
; %bb.2507:
	s_or_b64 exec, exec, s[8:9]
	s_and_b64 s[4:5], s[4:5], exec
	s_or_saveexec_b64 s[6:7], s[6:7]
	v_mov_b32_e32 v2, s10
	s_xor_b64 exec, exec, s[6:7]
	s_cbranch_execz .LBB34_458
.LBB34_2508:
	v_mov_b32_e32 v2, 0
	v_cmp_ne_u16_sdwa s[8:9], v3, v2 src0_sel:BYTE_0 src1_sel:DWORD
	s_andn2_b64 s[4:5], s[4:5], exec
	s_and_b64 s[8:9], s[8:9], exec
	s_or_b64 s[4:5], s[4:5], s[8:9]
	s_or_b64 exec, exec, s[6:7]
	s_and_saveexec_b64 s[6:7], s[4:5]
	s_cbranch_execnz .LBB34_459
	s_branch .LBB34_460
.LBB34_2509:
	s_movk_i32 s4, 0x80
	v_cmp_eq_u16_sdwa s[12:13], v3, s4 src0_sel:BYTE_0 src1_sel:DWORD
	s_mov_b64 s[4:5], -1
                                        ; implicit-def: $sgpr10
	s_and_saveexec_b64 s[8:9], s[12:13]
; %bb.2510:
	s_mov_b32 s10, 0x7f800001
	s_xor_b64 s[4:5], exec, -1
; %bb.2511:
	s_or_b64 exec, exec, s[8:9]
	s_and_b64 s[4:5], s[4:5], exec
	s_or_saveexec_b64 s[6:7], s[6:7]
	v_mov_b32_e32 v6, s10
	s_xor_b64 exec, exec, s[6:7]
	s_cbranch_execz .LBB34_462
.LBB34_2512:
	v_mov_b32_e32 v6, 0
	v_cmp_ne_u16_sdwa s[8:9], v3, v6 src0_sel:BYTE_0 src1_sel:DWORD
	s_andn2_b64 s[4:5], s[4:5], exec
	s_and_b64 s[8:9], s[8:9], exec
	s_or_b64 s[4:5], s[4:5], s[8:9]
	s_or_b64 exec, exec, s[6:7]
	s_and_saveexec_b64 s[6:7], s[4:5]
	s_cbranch_execnz .LBB34_463
	s_branch .LBB34_464
.LBB34_2513:
	s_movk_i32 s4, 0x80
	v_cmp_eq_u16_e32 vcc, s4, v3
	s_mov_b64 s[4:5], -1
                                        ; implicit-def: $sgpr10
	s_and_saveexec_b64 s[8:9], vcc
; %bb.2514:
	s_mov_b32 s10, 0x7f800001
	s_xor_b64 s[4:5], exec, -1
; %bb.2515:
	s_or_b64 exec, exec, s[8:9]
	s_and_b64 s[4:5], s[4:5], exec
                                        ; implicit-def: $vgpr3
	s_or_saveexec_b64 s[6:7], s[6:7]
	v_mov_b32_e32 v2, s10
	s_xor_b64 exec, exec, s[6:7]
	s_cbranch_execz .LBB34_466
.LBB34_2516:
	v_cmp_ne_u16_e32 vcc, 0, v3
	s_andn2_b64 s[4:5], s[4:5], exec
	s_and_b64 s[8:9], vcc, exec
	v_mov_b32_e32 v2, 0
	s_or_b64 s[4:5], s[4:5], s[8:9]
	s_or_b64 exec, exec, s[6:7]
	s_and_saveexec_b64 s[6:7], s[4:5]
	s_cbranch_execnz .LBB34_467
	s_branch .LBB34_468
.LBB34_2517:
	s_movk_i32 s4, 0x80
	v_cmp_eq_u16_e32 vcc, s4, v3
	s_mov_b64 s[4:5], -1
                                        ; implicit-def: $sgpr10
	s_and_saveexec_b64 s[8:9], vcc
; %bb.2518:
	s_mov_b32 s10, 0x7f800001
	s_xor_b64 s[4:5], exec, -1
; %bb.2519:
	s_or_b64 exec, exec, s[8:9]
	s_and_b64 s[4:5], s[4:5], exec
                                        ; implicit-def: $vgpr3
	s_or_saveexec_b64 s[6:7], s[6:7]
	v_mov_b32_e32 v6, s10
	s_xor_b64 exec, exec, s[6:7]
	s_cbranch_execz .LBB34_470
.LBB34_2520:
	v_cmp_ne_u16_e32 vcc, 0, v3
	s_andn2_b64 s[4:5], s[4:5], exec
	s_and_b64 s[8:9], vcc, exec
	v_mov_b32_e32 v6, 0
	s_or_b64 s[4:5], s[4:5], s[8:9]
	s_or_b64 exec, exec, s[6:7]
	s_and_saveexec_b64 s[6:7], s[4:5]
	s_cbranch_execnz .LBB34_471
	s_branch .LBB34_472
.LBB34_2521:
	s_movk_i32 s4, 0x80
	v_cmp_eq_u16_sdwa s[12:13], v8, s4 src0_sel:BYTE_3 src1_sel:DWORD
	s_mov_b64 s[4:5], -1
                                        ; implicit-def: $sgpr10
	s_and_saveexec_b64 s[8:9], s[12:13]
; %bb.2522:
	s_mov_b32 s10, 0x7f800001
	s_xor_b64 s[4:5], exec, -1
; %bb.2523:
	s_or_b64 exec, exec, s[8:9]
	s_and_b64 s[4:5], s[4:5], exec
	s_or_saveexec_b64 s[6:7], s[6:7]
	v_mov_b32_e32 v2, s10
	s_xor_b64 exec, exec, s[6:7]
	s_cbranch_execz .LBB34_474
.LBB34_2524:
	v_mov_b32_e32 v2, 0
	v_cmp_ne_u16_sdwa s[8:9], v8, v2 src0_sel:BYTE_3 src1_sel:DWORD
	s_andn2_b64 s[4:5], s[4:5], exec
	s_and_b64 s[8:9], s[8:9], exec
	s_or_b64 s[4:5], s[4:5], s[8:9]
	s_or_b64 exec, exec, s[6:7]
	s_and_saveexec_b64 s[6:7], s[4:5]
	s_cbranch_execnz .LBB34_475
	s_branch .LBB34_476
.LBB34_2525:
	s_movk_i32 s4, 0x80
	v_cmp_eq_u16_sdwa s[12:13], v4, s4 src0_sel:BYTE_3 src1_sel:DWORD
	s_mov_b64 s[4:5], -1
                                        ; implicit-def: $sgpr10
	s_and_saveexec_b64 s[8:9], s[12:13]
; %bb.2526:
	s_mov_b32 s10, 0x7f800001
	s_xor_b64 s[4:5], exec, -1
; %bb.2527:
	s_or_b64 exec, exec, s[8:9]
	s_and_b64 s[4:5], s[4:5], exec
	s_or_saveexec_b64 s[6:7], s[6:7]
	v_mov_b32_e32 v3, s10
	s_xor_b64 exec, exec, s[6:7]
	s_cbranch_execz .LBB34_478
.LBB34_2528:
	v_mov_b32_e32 v3, 0
	v_cmp_ne_u16_sdwa s[8:9], v4, v3 src0_sel:BYTE_3 src1_sel:DWORD
	s_andn2_b64 s[4:5], s[4:5], exec
	s_and_b64 s[8:9], s[8:9], exec
	s_or_b64 s[4:5], s[4:5], s[8:9]
	s_or_b64 exec, exec, s[6:7]
	s_and_saveexec_b64 s[6:7], s[4:5]
	s_cbranch_execnz .LBB34_479
	s_branch .LBB34_480
.LBB34_2529:
	s_movk_i32 s4, 0x80
	v_cmp_eq_u16_sdwa s[12:13], v9, s4 src0_sel:BYTE_0 src1_sel:DWORD
	s_mov_b64 s[4:5], -1
                                        ; implicit-def: $sgpr10
	s_and_saveexec_b64 s[8:9], s[12:13]
; %bb.2530:
	s_mov_b32 s10, 0x7f800001
	s_xor_b64 s[4:5], exec, -1
; %bb.2531:
	s_or_b64 exec, exec, s[8:9]
	s_and_b64 s[4:5], s[4:5], exec
	s_or_saveexec_b64 s[6:7], s[6:7]
	v_mov_b32_e32 v2, s10
	s_xor_b64 exec, exec, s[6:7]
	s_cbranch_execz .LBB34_482
.LBB34_2532:
	v_mov_b32_e32 v2, 0
	v_cmp_ne_u16_sdwa s[8:9], v9, v2 src0_sel:BYTE_0 src1_sel:DWORD
	s_andn2_b64 s[4:5], s[4:5], exec
	s_and_b64 s[8:9], s[8:9], exec
	s_or_b64 s[4:5], s[4:5], s[8:9]
	s_or_b64 exec, exec, s[6:7]
	s_and_saveexec_b64 s[6:7], s[4:5]
	s_cbranch_execnz .LBB34_483
	s_branch .LBB34_484
.LBB34_2533:
	s_movk_i32 s4, 0x80
	v_cmp_eq_u16_sdwa s[12:13], v5, s4 src0_sel:BYTE_0 src1_sel:DWORD
	s_mov_b64 s[4:5], -1
                                        ; implicit-def: $sgpr10
	s_and_saveexec_b64 s[8:9], s[12:13]
; %bb.2534:
	s_mov_b32 s10, 0x7f800001
	s_xor_b64 s[4:5], exec, -1
; %bb.2535:
	s_or_b64 exec, exec, s[8:9]
	s_and_b64 s[4:5], s[4:5], exec
	s_or_saveexec_b64 s[6:7], s[6:7]
	v_mov_b32_e32 v3, s10
	s_xor_b64 exec, exec, s[6:7]
	s_cbranch_execz .LBB34_486
.LBB34_2536:
	v_mov_b32_e32 v3, 0
	v_cmp_ne_u16_sdwa s[8:9], v5, v3 src0_sel:BYTE_0 src1_sel:DWORD
	s_andn2_b64 s[4:5], s[4:5], exec
	s_and_b64 s[8:9], s[8:9], exec
	s_or_b64 s[4:5], s[4:5], s[8:9]
	s_or_b64 exec, exec, s[6:7]
	s_and_saveexec_b64 s[6:7], s[4:5]
	s_cbranch_execnz .LBB34_487
	s_branch .LBB34_488
.LBB34_2537:
	s_movk_i32 s4, 0x80
	v_cmp_eq_u16_sdwa s[12:13], v3, s4 src0_sel:BYTE_0 src1_sel:DWORD
	s_mov_b64 s[4:5], -1
                                        ; implicit-def: $sgpr10
	s_and_saveexec_b64 s[8:9], s[12:13]
; %bb.2538:
	s_mov_b32 s10, 0x7f800001
	s_xor_b64 s[4:5], exec, -1
; %bb.2539:
	s_or_b64 exec, exec, s[8:9]
	s_and_b64 s[4:5], s[4:5], exec
	s_or_saveexec_b64 s[6:7], s[6:7]
	v_mov_b32_e32 v2, s10
	s_xor_b64 exec, exec, s[6:7]
	s_cbranch_execz .LBB34_490
.LBB34_2540:
	v_mov_b32_e32 v2, 0
	v_cmp_ne_u16_sdwa s[8:9], v3, v2 src0_sel:BYTE_0 src1_sel:DWORD
	s_andn2_b64 s[4:5], s[4:5], exec
	s_and_b64 s[8:9], s[8:9], exec
	s_or_b64 s[4:5], s[4:5], s[8:9]
	s_or_b64 exec, exec, s[6:7]
	s_and_saveexec_b64 s[6:7], s[4:5]
	s_cbranch_execnz .LBB34_491
	s_branch .LBB34_492
.LBB34_2541:
	s_movk_i32 s4, 0x80
	v_cmp_eq_u16_sdwa s[12:13], v3, s4 src0_sel:BYTE_0 src1_sel:DWORD
	s_mov_b64 s[4:5], -1
                                        ; implicit-def: $sgpr10
	s_and_saveexec_b64 s[8:9], s[12:13]
; %bb.2542:
	s_mov_b32 s10, 0x7f800001
	s_xor_b64 s[4:5], exec, -1
; %bb.2543:
	s_or_b64 exec, exec, s[8:9]
	s_and_b64 s[4:5], s[4:5], exec
	s_or_saveexec_b64 s[6:7], s[6:7]
	v_mov_b32_e32 v4, s10
	s_xor_b64 exec, exec, s[6:7]
	s_cbranch_execz .LBB34_494
.LBB34_2544:
	v_mov_b32_e32 v4, 0
	v_cmp_ne_u16_sdwa s[8:9], v3, v4 src0_sel:BYTE_0 src1_sel:DWORD
	s_andn2_b64 s[4:5], s[4:5], exec
	s_and_b64 s[8:9], s[8:9], exec
	s_or_b64 s[4:5], s[4:5], s[8:9]
	s_or_b64 exec, exec, s[6:7]
	s_and_saveexec_b64 s[6:7], s[4:5]
	s_cbranch_execnz .LBB34_495
	s_branch .LBB34_496
.LBB34_2545:
	s_movk_i32 s4, 0x80
	v_cmp_eq_u16_e32 vcc, s4, v3
	s_mov_b64 s[4:5], -1
                                        ; implicit-def: $sgpr10
	s_and_saveexec_b64 s[8:9], vcc
; %bb.2546:
	s_mov_b32 s10, 0x7f800001
	s_xor_b64 s[4:5], exec, -1
; %bb.2547:
	s_or_b64 exec, exec, s[8:9]
	s_and_b64 s[4:5], s[4:5], exec
                                        ; implicit-def: $vgpr3
	s_or_saveexec_b64 s[6:7], s[6:7]
	v_mov_b32_e32 v2, s10
	s_xor_b64 exec, exec, s[6:7]
	s_cbranch_execz .LBB34_498
.LBB34_2548:
	v_cmp_ne_u16_e32 vcc, 0, v3
	s_andn2_b64 s[4:5], s[4:5], exec
	s_and_b64 s[8:9], vcc, exec
	v_mov_b32_e32 v2, 0
	s_or_b64 s[4:5], s[4:5], s[8:9]
	s_or_b64 exec, exec, s[6:7]
	s_and_saveexec_b64 s[6:7], s[4:5]
	s_cbranch_execnz .LBB34_499
	s_branch .LBB34_500
.LBB34_2549:
	s_movk_i32 s4, 0x80
	v_cmp_eq_u16_e32 vcc, s4, v3
	s_mov_b64 s[4:5], -1
                                        ; implicit-def: $sgpr10
	s_and_saveexec_b64 s[8:9], vcc
; %bb.2550:
	s_mov_b32 s10, 0x7f800001
	s_xor_b64 s[4:5], exec, -1
; %bb.2551:
	s_or_b64 exec, exec, s[8:9]
	s_and_b64 s[4:5], s[4:5], exec
                                        ; implicit-def: $vgpr3
	s_or_saveexec_b64 s[6:7], s[6:7]
	v_mov_b32_e32 v4, s10
	s_xor_b64 exec, exec, s[6:7]
	s_cbranch_execz .LBB34_502
.LBB34_2552:
	v_cmp_ne_u16_e32 vcc, 0, v3
	s_andn2_b64 s[4:5], s[4:5], exec
	s_and_b64 s[8:9], vcc, exec
	v_mov_b32_e32 v4, 0
	s_or_b64 s[4:5], s[4:5], s[8:9]
	s_or_b64 exec, exec, s[6:7]
	s_and_saveexec_b64 s[6:7], s[4:5]
	s_cbranch_execnz .LBB34_503
	s_branch .LBB34_504
.LBB34_2553:
	s_movk_i32 s4, 0x80
	v_cmp_eq_u16_sdwa s[12:13], v9, s4 src0_sel:BYTE_3 src1_sel:DWORD
	s_mov_b64 s[4:5], -1
                                        ; implicit-def: $sgpr10
	s_and_saveexec_b64 s[8:9], s[12:13]
; %bb.2554:
	s_mov_b32 s10, 0x7f800001
	s_xor_b64 s[4:5], exec, -1
; %bb.2555:
	s_or_b64 exec, exec, s[8:9]
	s_and_b64 s[4:5], s[4:5], exec
	s_or_saveexec_b64 s[6:7], s[6:7]
	v_mov_b32_e32 v2, s10
	s_xor_b64 exec, exec, s[6:7]
	s_cbranch_execz .LBB34_506
.LBB34_2556:
	v_mov_b32_e32 v2, 0
	v_cmp_ne_u16_sdwa s[8:9], v9, v2 src0_sel:BYTE_3 src1_sel:DWORD
	s_andn2_b64 s[4:5], s[4:5], exec
	s_and_b64 s[8:9], s[8:9], exec
	s_or_b64 s[4:5], s[4:5], s[8:9]
	s_or_b64 exec, exec, s[6:7]
	s_and_saveexec_b64 s[6:7], s[4:5]
	s_cbranch_execnz .LBB34_507
	s_branch .LBB34_508
.LBB34_2557:
	s_movk_i32 s4, 0x80
	v_cmp_eq_u16_sdwa s[12:13], v5, s4 src0_sel:BYTE_3 src1_sel:DWORD
	s_mov_b64 s[4:5], -1
                                        ; implicit-def: $sgpr10
	s_and_saveexec_b64 s[8:9], s[12:13]
; %bb.2558:
	s_mov_b32 s10, 0x7f800001
	s_xor_b64 s[4:5], exec, -1
; %bb.2559:
	s_or_b64 exec, exec, s[8:9]
	s_and_b64 s[4:5], s[4:5], exec
	s_or_saveexec_b64 s[6:7], s[6:7]
	v_mov_b32_e32 v3, s10
	s_xor_b64 exec, exec, s[6:7]
	s_cbranch_execz .LBB34_510
.LBB34_2560:
	v_mov_b32_e32 v3, 0
	v_cmp_ne_u16_sdwa s[8:9], v5, v3 src0_sel:BYTE_3 src1_sel:DWORD
	s_andn2_b64 s[4:5], s[4:5], exec
	s_and_b64 s[8:9], s[8:9], exec
	s_or_b64 s[4:5], s[4:5], s[8:9]
	s_or_b64 exec, exec, s[6:7]
	s_and_saveexec_b64 s[6:7], s[4:5]
	s_cbranch_execnz .LBB34_511
	s_branch .LBB34_512
.LBB34_2561:
	s_movk_i32 s4, 0x80
	v_cmp_eq_u16_sdwa s[12:13], v14, s4 src0_sel:BYTE_0 src1_sel:DWORD
	s_mov_b64 s[4:5], -1
                                        ; implicit-def: $sgpr10
	s_and_saveexec_b64 s[8:9], s[12:13]
; %bb.2562:
	s_mov_b32 s10, 0x7f800001
	s_xor_b64 s[4:5], exec, -1
; %bb.2563:
	s_or_b64 exec, exec, s[8:9]
	s_and_b64 s[4:5], s[4:5], exec
	s_or_saveexec_b64 s[6:7], s[6:7]
	v_mov_b32_e32 v20, s10
	s_xor_b64 exec, exec, s[6:7]
	s_cbranch_execz .LBB34_514
.LBB34_2564:
	v_mov_b32_e32 v20, 0
	v_cmp_ne_u16_sdwa s[8:9], v14, v20 src0_sel:BYTE_0 src1_sel:DWORD
	s_andn2_b64 s[4:5], s[4:5], exec
	s_and_b64 s[8:9], s[8:9], exec
	s_or_b64 s[4:5], s[4:5], s[8:9]
	s_or_b64 exec, exec, s[6:7]
	s_and_saveexec_b64 s[6:7], s[4:5]
	s_cbranch_execnz .LBB34_515
	s_branch .LBB34_516
.LBB34_2565:
	s_movk_i32 s4, 0x80
	v_cmp_eq_u16_sdwa s[12:13], v10, s4 src0_sel:BYTE_0 src1_sel:DWORD
	s_mov_b64 s[4:5], -1
                                        ; implicit-def: $sgpr10
	s_and_saveexec_b64 s[8:9], s[12:13]
; %bb.2566:
	s_mov_b32 s10, 0x7f800001
	s_xor_b64 s[4:5], exec, -1
; %bb.2567:
	s_or_b64 exec, exec, s[8:9]
	s_and_b64 s[4:5], s[4:5], exec
	s_or_saveexec_b64 s[6:7], s[6:7]
	v_mov_b32_e32 v21, s10
	s_xor_b64 exec, exec, s[6:7]
	s_cbranch_execz .LBB34_518
.LBB34_2568:
	v_mov_b32_e32 v21, 0
	v_cmp_ne_u16_sdwa s[8:9], v10, v21 src0_sel:BYTE_0 src1_sel:DWORD
	s_andn2_b64 s[4:5], s[4:5], exec
	s_and_b64 s[8:9], s[8:9], exec
	s_or_b64 s[4:5], s[4:5], s[8:9]
	s_or_b64 exec, exec, s[6:7]
	s_and_saveexec_b64 s[6:7], s[4:5]
	s_cbranch_execnz .LBB34_519
	s_branch .LBB34_520
.LBB34_2569:
	s_movk_i32 s4, 0x80
	v_cmp_eq_u16_sdwa s[12:13], v21, s4 src0_sel:BYTE_0 src1_sel:DWORD
	s_mov_b64 s[4:5], -1
                                        ; implicit-def: $sgpr10
	s_and_saveexec_b64 s[8:9], s[12:13]
; %bb.2570:
	s_mov_b32 s10, 0x7f800001
	s_xor_b64 s[4:5], exec, -1
; %bb.2571:
	s_or_b64 exec, exec, s[8:9]
	s_and_b64 s[4:5], s[4:5], exec
	s_or_saveexec_b64 s[6:7], s[6:7]
	v_mov_b32_e32 v20, s10
	s_xor_b64 exec, exec, s[6:7]
	s_cbranch_execz .LBB34_522
.LBB34_2572:
	v_mov_b32_e32 v20, 0
	v_cmp_ne_u16_sdwa s[8:9], v21, v20 src0_sel:BYTE_0 src1_sel:DWORD
	s_andn2_b64 s[4:5], s[4:5], exec
	s_and_b64 s[8:9], s[8:9], exec
	s_or_b64 s[4:5], s[4:5], s[8:9]
	s_or_b64 exec, exec, s[6:7]
	s_and_saveexec_b64 s[6:7], s[4:5]
	s_cbranch_execnz .LBB34_523
	s_branch .LBB34_524
.LBB34_2573:
	s_movk_i32 s4, 0x80
	v_cmp_eq_u16_sdwa s[12:13], v21, s4 src0_sel:BYTE_0 src1_sel:DWORD
	s_mov_b64 s[4:5], -1
                                        ; implicit-def: $sgpr10
	s_and_saveexec_b64 s[8:9], s[12:13]
; %bb.2574:
	s_mov_b32 s10, 0x7f800001
	s_xor_b64 s[4:5], exec, -1
; %bb.2575:
	s_or_b64 exec, exec, s[8:9]
	s_and_b64 s[4:5], s[4:5], exec
	s_or_saveexec_b64 s[6:7], s[6:7]
	v_mov_b32_e32 v22, s10
	s_xor_b64 exec, exec, s[6:7]
	s_cbranch_execz .LBB34_526
.LBB34_2576:
	v_mov_b32_e32 v22, 0
	v_cmp_ne_u16_sdwa s[8:9], v21, v22 src0_sel:BYTE_0 src1_sel:DWORD
	s_andn2_b64 s[4:5], s[4:5], exec
	s_and_b64 s[8:9], s[8:9], exec
	s_or_b64 s[4:5], s[4:5], s[8:9]
	s_or_b64 exec, exec, s[6:7]
	s_and_saveexec_b64 s[6:7], s[4:5]
	s_cbranch_execnz .LBB34_527
	s_branch .LBB34_528
.LBB34_2577:
	s_movk_i32 s4, 0x80
	v_cmp_eq_u16_e32 vcc, s4, v21
	s_mov_b64 s[4:5], -1
                                        ; implicit-def: $sgpr10
	s_and_saveexec_b64 s[8:9], vcc
; %bb.2578:
	s_mov_b32 s10, 0x7f800001
	s_xor_b64 s[4:5], exec, -1
; %bb.2579:
	s_or_b64 exec, exec, s[8:9]
	s_and_b64 s[4:5], s[4:5], exec
                                        ; implicit-def: $vgpr21
	s_or_saveexec_b64 s[6:7], s[6:7]
	v_mov_b32_e32 v20, s10
	s_xor_b64 exec, exec, s[6:7]
	s_cbranch_execz .LBB34_530
.LBB34_2580:
	v_cmp_ne_u16_e32 vcc, 0, v21
	s_andn2_b64 s[4:5], s[4:5], exec
	s_and_b64 s[8:9], vcc, exec
	v_mov_b32_e32 v20, 0
	s_or_b64 s[4:5], s[4:5], s[8:9]
	s_or_b64 exec, exec, s[6:7]
	s_and_saveexec_b64 s[6:7], s[4:5]
	s_cbranch_execnz .LBB34_531
	s_branch .LBB34_532
.LBB34_2581:
	s_movk_i32 s4, 0x80
	v_cmp_eq_u16_e32 vcc, s4, v21
	s_mov_b64 s[4:5], -1
                                        ; implicit-def: $sgpr10
	s_and_saveexec_b64 s[8:9], vcc
; %bb.2582:
	s_mov_b32 s10, 0x7f800001
	s_xor_b64 s[4:5], exec, -1
; %bb.2583:
	s_or_b64 exec, exec, s[8:9]
	s_and_b64 s[4:5], s[4:5], exec
                                        ; implicit-def: $vgpr21
	s_or_saveexec_b64 s[6:7], s[6:7]
	v_mov_b32_e32 v22, s10
	s_xor_b64 exec, exec, s[6:7]
	s_cbranch_execz .LBB34_534
.LBB34_2584:
	v_cmp_ne_u16_e32 vcc, 0, v21
	s_andn2_b64 s[4:5], s[4:5], exec
	s_and_b64 s[8:9], vcc, exec
	v_mov_b32_e32 v22, 0
	s_or_b64 s[4:5], s[4:5], s[8:9]
	s_or_b64 exec, exec, s[6:7]
	s_and_saveexec_b64 s[6:7], s[4:5]
	s_cbranch_execnz .LBB34_535
	s_branch .LBB34_536
.LBB34_2585:
	s_movk_i32 s4, 0x80
	v_cmp_eq_u16_sdwa s[12:13], v14, s4 src0_sel:BYTE_3 src1_sel:DWORD
	s_mov_b64 s[4:5], -1
                                        ; implicit-def: $sgpr10
	s_and_saveexec_b64 s[8:9], s[12:13]
; %bb.2586:
	s_mov_b32 s10, 0x7f800001
	s_xor_b64 s[4:5], exec, -1
; %bb.2587:
	s_or_b64 exec, exec, s[8:9]
	s_and_b64 s[4:5], s[4:5], exec
	s_or_saveexec_b64 s[6:7], s[6:7]
	v_mov_b32_e32 v20, s10
	s_xor_b64 exec, exec, s[6:7]
	s_cbranch_execz .LBB34_538
.LBB34_2588:
	v_mov_b32_e32 v20, 0
	v_cmp_ne_u16_sdwa s[8:9], v14, v20 src0_sel:BYTE_3 src1_sel:DWORD
	s_andn2_b64 s[4:5], s[4:5], exec
	s_and_b64 s[8:9], s[8:9], exec
	s_or_b64 s[4:5], s[4:5], s[8:9]
	s_or_b64 exec, exec, s[6:7]
	s_and_saveexec_b64 s[6:7], s[4:5]
	s_cbranch_execnz .LBB34_539
	s_branch .LBB34_540
.LBB34_2589:
	s_movk_i32 s4, 0x80
	v_cmp_eq_u16_sdwa s[12:13], v10, s4 src0_sel:BYTE_3 src1_sel:DWORD
	s_mov_b64 s[4:5], -1
                                        ; implicit-def: $sgpr10
	s_and_saveexec_b64 s[8:9], s[12:13]
; %bb.2590:
	s_mov_b32 s10, 0x7f800001
	s_xor_b64 s[4:5], exec, -1
; %bb.2591:
	s_or_b64 exec, exec, s[8:9]
	s_and_b64 s[4:5], s[4:5], exec
	s_or_saveexec_b64 s[6:7], s[6:7]
	v_mov_b32_e32 v14, s10
	s_xor_b64 exec, exec, s[6:7]
	s_cbranch_execz .LBB34_542
.LBB34_2592:
	v_mov_b32_e32 v14, 0
	v_cmp_ne_u16_sdwa s[8:9], v10, v14 src0_sel:BYTE_3 src1_sel:DWORD
	s_andn2_b64 s[4:5], s[4:5], exec
	s_and_b64 s[8:9], s[8:9], exec
	s_or_b64 s[4:5], s[4:5], s[8:9]
	s_or_b64 exec, exec, s[6:7]
	s_and_saveexec_b64 s[6:7], s[4:5]
	s_cbranch_execnz .LBB34_543
	s_branch .LBB34_544
.LBB34_2593:
	s_movk_i32 s4, 0x80
	v_cmp_eq_u16_sdwa s[12:13], v15, s4 src0_sel:BYTE_0 src1_sel:DWORD
	s_mov_b64 s[4:5], -1
                                        ; implicit-def: $sgpr10
	s_and_saveexec_b64 s[8:9], s[12:13]
; %bb.2594:
	s_mov_b32 s10, 0x7f800001
	s_xor_b64 s[4:5], exec, -1
; %bb.2595:
	s_or_b64 exec, exec, s[8:9]
	s_and_b64 s[4:5], s[4:5], exec
	s_or_saveexec_b64 s[6:7], s[6:7]
	v_mov_b32_e32 v10, s10
	s_xor_b64 exec, exec, s[6:7]
	s_cbranch_execz .LBB34_546
.LBB34_2596:
	v_mov_b32_e32 v10, 0
	v_cmp_ne_u16_sdwa s[8:9], v15, v10 src0_sel:BYTE_0 src1_sel:DWORD
	s_andn2_b64 s[4:5], s[4:5], exec
	s_and_b64 s[8:9], s[8:9], exec
	s_or_b64 s[4:5], s[4:5], s[8:9]
	s_or_b64 exec, exec, s[6:7]
	s_and_saveexec_b64 s[6:7], s[4:5]
	s_cbranch_execnz .LBB34_547
	s_branch .LBB34_548
.LBB34_2597:
	s_movk_i32 s4, 0x80
	v_cmp_eq_u16_sdwa s[12:13], v11, s4 src0_sel:BYTE_0 src1_sel:DWORD
	s_mov_b64 s[4:5], -1
                                        ; implicit-def: $sgpr10
	s_and_saveexec_b64 s[8:9], s[12:13]
; %bb.2598:
	s_mov_b32 s10, 0x7f800001
	s_xor_b64 s[4:5], exec, -1
; %bb.2599:
	s_or_b64 exec, exec, s[8:9]
	s_and_b64 s[4:5], s[4:5], exec
	s_or_saveexec_b64 s[6:7], s[6:7]
	v_mov_b32_e32 v14, s10
	s_xor_b64 exec, exec, s[6:7]
	s_cbranch_execz .LBB34_550
.LBB34_2600:
	v_mov_b32_e32 v14, 0
	v_cmp_ne_u16_sdwa s[8:9], v11, v14 src0_sel:BYTE_0 src1_sel:DWORD
	s_andn2_b64 s[4:5], s[4:5], exec
	s_and_b64 s[8:9], s[8:9], exec
	s_or_b64 s[4:5], s[4:5], s[8:9]
	s_or_b64 exec, exec, s[6:7]
	s_and_saveexec_b64 s[6:7], s[4:5]
	s_cbranch_execnz .LBB34_551
	s_branch .LBB34_552
.LBB34_2601:
	s_movk_i32 s4, 0x80
	v_cmp_eq_u16_sdwa s[12:13], v14, s4 src0_sel:BYTE_0 src1_sel:DWORD
	s_mov_b64 s[4:5], -1
                                        ; implicit-def: $sgpr10
	s_and_saveexec_b64 s[8:9], s[12:13]
; %bb.2602:
	s_mov_b32 s10, 0x7f800001
	s_xor_b64 s[4:5], exec, -1
; %bb.2603:
	s_or_b64 exec, exec, s[8:9]
	s_and_b64 s[4:5], s[4:5], exec
	s_or_saveexec_b64 s[6:7], s[6:7]
	v_mov_b32_e32 v10, s10
	s_xor_b64 exec, exec, s[6:7]
	s_cbranch_execz .LBB34_554
.LBB34_2604:
	v_mov_b32_e32 v10, 0
	v_cmp_ne_u16_sdwa s[8:9], v14, v10 src0_sel:BYTE_0 src1_sel:DWORD
	s_andn2_b64 s[4:5], s[4:5], exec
	s_and_b64 s[8:9], s[8:9], exec
	s_or_b64 s[4:5], s[4:5], s[8:9]
	s_or_b64 exec, exec, s[6:7]
	s_and_saveexec_b64 s[6:7], s[4:5]
	s_cbranch_execnz .LBB34_555
	s_branch .LBB34_556
.LBB34_2605:
	s_movk_i32 s4, 0x80
	v_cmp_eq_u16_sdwa s[12:13], v14, s4 src0_sel:BYTE_0 src1_sel:DWORD
	s_mov_b64 s[4:5], -1
                                        ; implicit-def: $sgpr10
	s_and_saveexec_b64 s[8:9], s[12:13]
; %bb.2606:
	s_mov_b32 s10, 0x7f800001
	s_xor_b64 s[4:5], exec, -1
; %bb.2607:
	s_or_b64 exec, exec, s[8:9]
	s_and_b64 s[4:5], s[4:5], exec
	s_or_saveexec_b64 s[6:7], s[6:7]
	v_mov_b32_e32 v20, s10
	s_xor_b64 exec, exec, s[6:7]
	s_cbranch_execz .LBB34_558
.LBB34_2608:
	v_mov_b32_e32 v20, 0
	v_cmp_ne_u16_sdwa s[8:9], v14, v20 src0_sel:BYTE_0 src1_sel:DWORD
	s_andn2_b64 s[4:5], s[4:5], exec
	s_and_b64 s[8:9], s[8:9], exec
	s_or_b64 s[4:5], s[4:5], s[8:9]
	s_or_b64 exec, exec, s[6:7]
	s_and_saveexec_b64 s[6:7], s[4:5]
	s_cbranch_execnz .LBB34_559
	s_branch .LBB34_560
.LBB34_2609:
	s_movk_i32 s4, 0x80
	v_cmp_eq_u16_e32 vcc, s4, v14
	s_mov_b64 s[4:5], -1
                                        ; implicit-def: $sgpr10
	s_and_saveexec_b64 s[8:9], vcc
; %bb.2610:
	s_mov_b32 s10, 0x7f800001
	s_xor_b64 s[4:5], exec, -1
; %bb.2611:
	s_or_b64 exec, exec, s[8:9]
	s_and_b64 s[4:5], s[4:5], exec
                                        ; implicit-def: $vgpr14
	s_or_saveexec_b64 s[6:7], s[6:7]
	v_mov_b32_e32 v10, s10
	s_xor_b64 exec, exec, s[6:7]
	s_cbranch_execz .LBB34_562
.LBB34_2612:
	v_cmp_ne_u16_e32 vcc, 0, v14
	s_andn2_b64 s[4:5], s[4:5], exec
	s_and_b64 s[8:9], vcc, exec
	v_mov_b32_e32 v10, 0
	s_or_b64 s[4:5], s[4:5], s[8:9]
	s_or_b64 exec, exec, s[6:7]
	s_and_saveexec_b64 s[6:7], s[4:5]
	s_cbranch_execnz .LBB34_563
	s_branch .LBB34_564
.LBB34_2613:
	s_movk_i32 s4, 0x80
	v_cmp_eq_u16_e32 vcc, s4, v14
	s_mov_b64 s[4:5], -1
                                        ; implicit-def: $sgpr10
	s_and_saveexec_b64 s[8:9], vcc
; %bb.2614:
	s_mov_b32 s10, 0x7f800001
	s_xor_b64 s[4:5], exec, -1
; %bb.2615:
	s_or_b64 exec, exec, s[8:9]
	s_and_b64 s[4:5], s[4:5], exec
                                        ; implicit-def: $vgpr14
	s_or_saveexec_b64 s[6:7], s[6:7]
	v_mov_b32_e32 v20, s10
	s_xor_b64 exec, exec, s[6:7]
	s_cbranch_execz .LBB34_566
.LBB34_2616:
	v_cmp_ne_u16_e32 vcc, 0, v14
	s_andn2_b64 s[4:5], s[4:5], exec
	s_and_b64 s[8:9], vcc, exec
	v_mov_b32_e32 v20, 0
	s_or_b64 s[4:5], s[4:5], s[8:9]
	s_or_b64 exec, exec, s[6:7]
	s_and_saveexec_b64 s[6:7], s[4:5]
	s_cbranch_execnz .LBB34_567
	s_branch .LBB34_568
.LBB34_2617:
	s_movk_i32 s4, 0x80
	v_cmp_eq_u16_sdwa s[12:13], v15, s4 src0_sel:BYTE_3 src1_sel:DWORD
	s_mov_b64 s[4:5], -1
                                        ; implicit-def: $sgpr10
	s_and_saveexec_b64 s[8:9], s[12:13]
; %bb.2618:
	s_mov_b32 s10, 0x7f800001
	s_xor_b64 s[4:5], exec, -1
; %bb.2619:
	s_or_b64 exec, exec, s[8:9]
	s_and_b64 s[4:5], s[4:5], exec
	s_or_saveexec_b64 s[6:7], s[6:7]
	v_mov_b32_e32 v10, s10
	s_xor_b64 exec, exec, s[6:7]
	s_cbranch_execz .LBB34_570
.LBB34_2620:
	v_mov_b32_e32 v10, 0
	v_cmp_ne_u16_sdwa s[8:9], v15, v10 src0_sel:BYTE_3 src1_sel:DWORD
	s_andn2_b64 s[4:5], s[4:5], exec
	s_and_b64 s[8:9], s[8:9], exec
	s_or_b64 s[4:5], s[4:5], s[8:9]
	s_or_b64 exec, exec, s[6:7]
	s_and_saveexec_b64 s[6:7], s[4:5]
	s_cbranch_execnz .LBB34_571
	s_branch .LBB34_572
.LBB34_2621:
	s_movk_i32 s4, 0x80
	v_cmp_eq_u16_sdwa s[12:13], v11, s4 src0_sel:BYTE_3 src1_sel:DWORD
	s_mov_b64 s[4:5], -1
                                        ; implicit-def: $sgpr10
	s_and_saveexec_b64 s[8:9], s[12:13]
; %bb.2622:
	s_mov_b32 s10, 0x7f800001
	s_xor_b64 s[4:5], exec, -1
; %bb.2623:
	s_or_b64 exec, exec, s[8:9]
	s_and_b64 s[4:5], s[4:5], exec
	s_or_saveexec_b64 s[6:7], s[6:7]
	v_mov_b32_e32 v14, s10
	s_xor_b64 exec, exec, s[6:7]
	s_cbranch_execz .LBB34_574
.LBB34_2624:
	v_mov_b32_e32 v14, 0
	v_cmp_ne_u16_sdwa s[8:9], v11, v14 src0_sel:BYTE_3 src1_sel:DWORD
	s_andn2_b64 s[4:5], s[4:5], exec
	s_and_b64 s[8:9], s[8:9], exec
	s_or_b64 s[4:5], s[4:5], s[8:9]
	s_or_b64 exec, exec, s[6:7]
	s_and_saveexec_b64 s[6:7], s[4:5]
	s_cbranch_execnz .LBB34_575
	s_branch .LBB34_576
.LBB34_2625:
	s_movk_i32 s4, 0x80
	v_cmp_eq_u16_sdwa s[12:13], v16, s4 src0_sel:BYTE_0 src1_sel:DWORD
	s_mov_b64 s[4:5], -1
                                        ; implicit-def: $sgpr10
	s_and_saveexec_b64 s[8:9], s[12:13]
; %bb.2626:
	s_mov_b32 s10, 0x7f800001
	s_xor_b64 s[4:5], exec, -1
; %bb.2627:
	s_or_b64 exec, exec, s[8:9]
	s_and_b64 s[4:5], s[4:5], exec
	s_or_saveexec_b64 s[6:7], s[6:7]
	v_mov_b32_e32 v10, s10
	s_xor_b64 exec, exec, s[6:7]
	s_cbranch_execz .LBB34_578
.LBB34_2628:
	v_mov_b32_e32 v10, 0
	v_cmp_ne_u16_sdwa s[8:9], v16, v10 src0_sel:BYTE_0 src1_sel:DWORD
	s_andn2_b64 s[4:5], s[4:5], exec
	s_and_b64 s[8:9], s[8:9], exec
	s_or_b64 s[4:5], s[4:5], s[8:9]
	s_or_b64 exec, exec, s[6:7]
	s_and_saveexec_b64 s[6:7], s[4:5]
	s_cbranch_execnz .LBB34_579
	s_branch .LBB34_580
.LBB34_2629:
	s_movk_i32 s4, 0x80
	v_cmp_eq_u16_sdwa s[12:13], v12, s4 src0_sel:BYTE_0 src1_sel:DWORD
	s_mov_b64 s[4:5], -1
                                        ; implicit-def: $sgpr10
	s_and_saveexec_b64 s[8:9], s[12:13]
; %bb.2630:
	s_mov_b32 s10, 0x7f800001
	s_xor_b64 s[4:5], exec, -1
; %bb.2631:
	s_or_b64 exec, exec, s[8:9]
	s_and_b64 s[4:5], s[4:5], exec
	s_or_saveexec_b64 s[6:7], s[6:7]
	v_mov_b32_e32 v11, s10
	s_xor_b64 exec, exec, s[6:7]
	s_cbranch_execz .LBB34_582
.LBB34_2632:
	v_mov_b32_e32 v11, 0
	v_cmp_ne_u16_sdwa s[8:9], v12, v11 src0_sel:BYTE_0 src1_sel:DWORD
	s_andn2_b64 s[4:5], s[4:5], exec
	s_and_b64 s[8:9], s[8:9], exec
	s_or_b64 s[4:5], s[4:5], s[8:9]
	s_or_b64 exec, exec, s[6:7]
	s_and_saveexec_b64 s[6:7], s[4:5]
	s_cbranch_execnz .LBB34_583
	s_branch .LBB34_584
.LBB34_2633:
	s_movk_i32 s4, 0x80
	v_cmp_eq_u16_sdwa s[12:13], v11, s4 src0_sel:BYTE_0 src1_sel:DWORD
	s_mov_b64 s[4:5], -1
                                        ; implicit-def: $sgpr10
	s_and_saveexec_b64 s[8:9], s[12:13]
; %bb.2634:
	s_mov_b32 s10, 0x7f800001
	s_xor_b64 s[4:5], exec, -1
; %bb.2635:
	s_or_b64 exec, exec, s[8:9]
	s_and_b64 s[4:5], s[4:5], exec
	s_or_saveexec_b64 s[6:7], s[6:7]
	v_mov_b32_e32 v10, s10
	s_xor_b64 exec, exec, s[6:7]
	s_cbranch_execz .LBB34_586
.LBB34_2636:
	v_mov_b32_e32 v10, 0
	v_cmp_ne_u16_sdwa s[8:9], v11, v10 src0_sel:BYTE_0 src1_sel:DWORD
	s_andn2_b64 s[4:5], s[4:5], exec
	s_and_b64 s[8:9], s[8:9], exec
	s_or_b64 s[4:5], s[4:5], s[8:9]
	s_or_b64 exec, exec, s[6:7]
	s_and_saveexec_b64 s[6:7], s[4:5]
	s_cbranch_execnz .LBB34_587
	s_branch .LBB34_588
.LBB34_2637:
	s_movk_i32 s4, 0x80
	v_cmp_eq_u16_sdwa s[12:13], v11, s4 src0_sel:BYTE_0 src1_sel:DWORD
	s_mov_b64 s[4:5], -1
                                        ; implicit-def: $sgpr10
	s_and_saveexec_b64 s[8:9], s[12:13]
; %bb.2638:
	s_mov_b32 s10, 0x7f800001
	s_xor_b64 s[4:5], exec, -1
; %bb.2639:
	s_or_b64 exec, exec, s[8:9]
	s_and_b64 s[4:5], s[4:5], exec
	s_or_saveexec_b64 s[6:7], s[6:7]
	v_mov_b32_e32 v14, s10
	s_xor_b64 exec, exec, s[6:7]
	s_cbranch_execz .LBB34_590
.LBB34_2640:
	v_mov_b32_e32 v14, 0
	v_cmp_ne_u16_sdwa s[8:9], v11, v14 src0_sel:BYTE_0 src1_sel:DWORD
	s_andn2_b64 s[4:5], s[4:5], exec
	s_and_b64 s[8:9], s[8:9], exec
	s_or_b64 s[4:5], s[4:5], s[8:9]
	s_or_b64 exec, exec, s[6:7]
	s_and_saveexec_b64 s[6:7], s[4:5]
	s_cbranch_execnz .LBB34_591
	s_branch .LBB34_592
.LBB34_2641:
	s_movk_i32 s4, 0x80
	v_cmp_eq_u16_e32 vcc, s4, v11
	s_mov_b64 s[4:5], -1
                                        ; implicit-def: $sgpr10
	s_and_saveexec_b64 s[8:9], vcc
; %bb.2642:
	s_mov_b32 s10, 0x7f800001
	s_xor_b64 s[4:5], exec, -1
; %bb.2643:
	s_or_b64 exec, exec, s[8:9]
	s_and_b64 s[4:5], s[4:5], exec
                                        ; implicit-def: $vgpr11
	s_or_saveexec_b64 s[6:7], s[6:7]
	v_mov_b32_e32 v10, s10
	s_xor_b64 exec, exec, s[6:7]
	s_cbranch_execz .LBB34_594
.LBB34_2644:
	v_cmp_ne_u16_e32 vcc, 0, v11
	s_andn2_b64 s[4:5], s[4:5], exec
	s_and_b64 s[8:9], vcc, exec
	v_mov_b32_e32 v10, 0
	s_or_b64 s[4:5], s[4:5], s[8:9]
	s_or_b64 exec, exec, s[6:7]
	s_and_saveexec_b64 s[6:7], s[4:5]
	s_cbranch_execnz .LBB34_595
	s_branch .LBB34_596
.LBB34_2645:
	s_movk_i32 s4, 0x80
	v_cmp_eq_u16_e32 vcc, s4, v11
	s_mov_b64 s[4:5], -1
                                        ; implicit-def: $sgpr10
	s_and_saveexec_b64 s[8:9], vcc
; %bb.2646:
	s_mov_b32 s10, 0x7f800001
	s_xor_b64 s[4:5], exec, -1
; %bb.2647:
	s_or_b64 exec, exec, s[8:9]
	s_and_b64 s[4:5], s[4:5], exec
                                        ; implicit-def: $vgpr11
	s_or_saveexec_b64 s[6:7], s[6:7]
	v_mov_b32_e32 v14, s10
	s_xor_b64 exec, exec, s[6:7]
	s_cbranch_execz .LBB34_598
.LBB34_2648:
	v_cmp_ne_u16_e32 vcc, 0, v11
	s_andn2_b64 s[4:5], s[4:5], exec
	s_and_b64 s[8:9], vcc, exec
	v_mov_b32_e32 v14, 0
	s_or_b64 s[4:5], s[4:5], s[8:9]
	s_or_b64 exec, exec, s[6:7]
	s_and_saveexec_b64 s[6:7], s[4:5]
	s_cbranch_execnz .LBB34_599
	s_branch .LBB34_600
.LBB34_2649:
	s_movk_i32 s4, 0x80
	v_cmp_eq_u16_sdwa s[12:13], v16, s4 src0_sel:BYTE_3 src1_sel:DWORD
	s_mov_b64 s[4:5], -1
                                        ; implicit-def: $sgpr10
	s_and_saveexec_b64 s[8:9], s[12:13]
; %bb.2650:
	s_mov_b32 s10, 0x7f800001
	s_xor_b64 s[4:5], exec, -1
; %bb.2651:
	s_or_b64 exec, exec, s[8:9]
	s_and_b64 s[4:5], s[4:5], exec
	s_or_saveexec_b64 s[6:7], s[6:7]
	v_mov_b32_e32 v10, s10
	s_xor_b64 exec, exec, s[6:7]
	s_cbranch_execz .LBB34_602
.LBB34_2652:
	v_mov_b32_e32 v10, 0
	v_cmp_ne_u16_sdwa s[8:9], v16, v10 src0_sel:BYTE_3 src1_sel:DWORD
	s_andn2_b64 s[4:5], s[4:5], exec
	s_and_b64 s[8:9], s[8:9], exec
	s_or_b64 s[4:5], s[4:5], s[8:9]
	s_or_b64 exec, exec, s[6:7]
	s_and_saveexec_b64 s[6:7], s[4:5]
	s_cbranch_execnz .LBB34_603
	s_branch .LBB34_604
.LBB34_2653:
	s_movk_i32 s4, 0x80
	v_cmp_eq_u16_sdwa s[12:13], v12, s4 src0_sel:BYTE_3 src1_sel:DWORD
	s_mov_b64 s[4:5], -1
                                        ; implicit-def: $sgpr10
	s_and_saveexec_b64 s[8:9], s[12:13]
; %bb.2654:
	s_mov_b32 s10, 0x7f800001
	s_xor_b64 s[4:5], exec, -1
; %bb.2655:
	s_or_b64 exec, exec, s[8:9]
	s_and_b64 s[4:5], s[4:5], exec
	s_or_saveexec_b64 s[6:7], s[6:7]
	v_mov_b32_e32 v11, s10
	s_xor_b64 exec, exec, s[6:7]
	s_cbranch_execz .LBB34_606
.LBB34_2656:
	v_mov_b32_e32 v11, 0
	v_cmp_ne_u16_sdwa s[8:9], v12, v11 src0_sel:BYTE_3 src1_sel:DWORD
	s_andn2_b64 s[4:5], s[4:5], exec
	s_and_b64 s[8:9], s[8:9], exec
	s_or_b64 s[4:5], s[4:5], s[8:9]
	s_or_b64 exec, exec, s[6:7]
	s_and_saveexec_b64 s[6:7], s[4:5]
	s_cbranch_execnz .LBB34_607
	s_branch .LBB34_608
.LBB34_2657:
	s_movk_i32 s4, 0x80
	v_cmp_eq_u16_sdwa s[12:13], v17, s4 src0_sel:BYTE_0 src1_sel:DWORD
	s_mov_b64 s[4:5], -1
                                        ; implicit-def: $sgpr10
	s_and_saveexec_b64 s[8:9], s[12:13]
; %bb.2658:
	s_mov_b32 s10, 0x7f800001
	s_xor_b64 s[4:5], exec, -1
; %bb.2659:
	s_or_b64 exec, exec, s[8:9]
	s_and_b64 s[4:5], s[4:5], exec
	s_or_saveexec_b64 s[6:7], s[6:7]
	v_mov_b32_e32 v10, s10
	s_xor_b64 exec, exec, s[6:7]
	s_cbranch_execz .LBB34_610
.LBB34_2660:
	v_mov_b32_e32 v10, 0
	v_cmp_ne_u16_sdwa s[8:9], v17, v10 src0_sel:BYTE_0 src1_sel:DWORD
	s_andn2_b64 s[4:5], s[4:5], exec
	s_and_b64 s[8:9], s[8:9], exec
	s_or_b64 s[4:5], s[4:5], s[8:9]
	s_or_b64 exec, exec, s[6:7]
	s_and_saveexec_b64 s[6:7], s[4:5]
	s_cbranch_execnz .LBB34_611
	s_branch .LBB34_612
.LBB34_2661:
	s_movk_i32 s4, 0x80
	v_cmp_eq_u16_sdwa s[12:13], v13, s4 src0_sel:BYTE_0 src1_sel:DWORD
	s_mov_b64 s[4:5], -1
                                        ; implicit-def: $sgpr10
	s_and_saveexec_b64 s[8:9], s[12:13]
; %bb.2662:
	s_mov_b32 s10, 0x7f800001
	s_xor_b64 s[4:5], exec, -1
; %bb.2663:
	s_or_b64 exec, exec, s[8:9]
	s_and_b64 s[4:5], s[4:5], exec
	s_or_saveexec_b64 s[6:7], s[6:7]
	v_mov_b32_e32 v11, s10
	s_xor_b64 exec, exec, s[6:7]
	s_cbranch_execz .LBB34_614
.LBB34_2664:
	v_mov_b32_e32 v11, 0
	v_cmp_ne_u16_sdwa s[8:9], v13, v11 src0_sel:BYTE_0 src1_sel:DWORD
	s_andn2_b64 s[4:5], s[4:5], exec
	s_and_b64 s[8:9], s[8:9], exec
	s_or_b64 s[4:5], s[4:5], s[8:9]
	s_or_b64 exec, exec, s[6:7]
	s_and_saveexec_b64 s[6:7], s[4:5]
	s_cbranch_execnz .LBB34_615
	s_branch .LBB34_616
.LBB34_2665:
	s_movk_i32 s4, 0x80
	v_cmp_eq_u16_sdwa s[12:13], v11, s4 src0_sel:BYTE_0 src1_sel:DWORD
	s_mov_b64 s[4:5], -1
                                        ; implicit-def: $sgpr10
	s_and_saveexec_b64 s[8:9], s[12:13]
; %bb.2666:
	s_mov_b32 s10, 0x7f800001
	s_xor_b64 s[4:5], exec, -1
; %bb.2667:
	s_or_b64 exec, exec, s[8:9]
	s_and_b64 s[4:5], s[4:5], exec
	s_or_saveexec_b64 s[6:7], s[6:7]
	v_mov_b32_e32 v10, s10
	s_xor_b64 exec, exec, s[6:7]
	s_cbranch_execz .LBB34_618
.LBB34_2668:
	v_mov_b32_e32 v10, 0
	v_cmp_ne_u16_sdwa s[8:9], v11, v10 src0_sel:BYTE_0 src1_sel:DWORD
	s_andn2_b64 s[4:5], s[4:5], exec
	s_and_b64 s[8:9], s[8:9], exec
	s_or_b64 s[4:5], s[4:5], s[8:9]
	s_or_b64 exec, exec, s[6:7]
	s_and_saveexec_b64 s[6:7], s[4:5]
	s_cbranch_execnz .LBB34_619
	s_branch .LBB34_620
.LBB34_2669:
	s_movk_i32 s4, 0x80
	v_cmp_eq_u16_sdwa s[12:13], v11, s4 src0_sel:BYTE_0 src1_sel:DWORD
	s_mov_b64 s[4:5], -1
                                        ; implicit-def: $sgpr10
	s_and_saveexec_b64 s[8:9], s[12:13]
; %bb.2670:
	s_mov_b32 s10, 0x7f800001
	s_xor_b64 s[4:5], exec, -1
; %bb.2671:
	s_or_b64 exec, exec, s[8:9]
	s_and_b64 s[4:5], s[4:5], exec
	s_or_saveexec_b64 s[6:7], s[6:7]
	v_mov_b32_e32 v12, s10
	s_xor_b64 exec, exec, s[6:7]
	s_cbranch_execz .LBB34_622
.LBB34_2672:
	v_mov_b32_e32 v12, 0
	v_cmp_ne_u16_sdwa s[8:9], v11, v12 src0_sel:BYTE_0 src1_sel:DWORD
	s_andn2_b64 s[4:5], s[4:5], exec
	s_and_b64 s[8:9], s[8:9], exec
	s_or_b64 s[4:5], s[4:5], s[8:9]
	s_or_b64 exec, exec, s[6:7]
	s_and_saveexec_b64 s[6:7], s[4:5]
	s_cbranch_execnz .LBB34_623
	s_branch .LBB34_624
.LBB34_2673:
	s_movk_i32 s4, 0x80
	v_cmp_eq_u16_e32 vcc, s4, v11
	s_mov_b64 s[4:5], -1
                                        ; implicit-def: $sgpr10
	s_and_saveexec_b64 s[8:9], vcc
; %bb.2674:
	s_mov_b32 s10, 0x7f800001
	s_xor_b64 s[4:5], exec, -1
; %bb.2675:
	s_or_b64 exec, exec, s[8:9]
	s_and_b64 s[4:5], s[4:5], exec
                                        ; implicit-def: $vgpr11
	s_or_saveexec_b64 s[6:7], s[6:7]
	v_mov_b32_e32 v10, s10
	s_xor_b64 exec, exec, s[6:7]
	s_cbranch_execz .LBB34_626
.LBB34_2676:
	v_cmp_ne_u16_e32 vcc, 0, v11
	s_andn2_b64 s[4:5], s[4:5], exec
	s_and_b64 s[8:9], vcc, exec
	v_mov_b32_e32 v10, 0
	s_or_b64 s[4:5], s[4:5], s[8:9]
	s_or_b64 exec, exec, s[6:7]
	s_and_saveexec_b64 s[6:7], s[4:5]
	s_cbranch_execnz .LBB34_627
	s_branch .LBB34_628
.LBB34_2677:
	s_movk_i32 s4, 0x80
	v_cmp_eq_u16_e32 vcc, s4, v11
	s_mov_b64 s[4:5], -1
                                        ; implicit-def: $sgpr10
	s_and_saveexec_b64 s[8:9], vcc
; %bb.2678:
	s_mov_b32 s10, 0x7f800001
	s_xor_b64 s[4:5], exec, -1
; %bb.2679:
	s_or_b64 exec, exec, s[8:9]
	s_and_b64 s[4:5], s[4:5], exec
                                        ; implicit-def: $vgpr11
	s_or_saveexec_b64 s[6:7], s[6:7]
	v_mov_b32_e32 v12, s10
	s_xor_b64 exec, exec, s[6:7]
	s_cbranch_execz .LBB34_630
.LBB34_2680:
	v_cmp_ne_u16_e32 vcc, 0, v11
	s_andn2_b64 s[4:5], s[4:5], exec
	s_and_b64 s[8:9], vcc, exec
	v_mov_b32_e32 v12, 0
	s_or_b64 s[4:5], s[4:5], s[8:9]
	s_or_b64 exec, exec, s[6:7]
	s_and_saveexec_b64 s[6:7], s[4:5]
	s_cbranch_execnz .LBB34_631
	s_branch .LBB34_632
.LBB34_2681:
	s_movk_i32 s4, 0x80
	v_cmp_eq_u16_sdwa s[12:13], v17, s4 src0_sel:BYTE_3 src1_sel:DWORD
	s_mov_b64 s[4:5], -1
                                        ; implicit-def: $sgpr10
	s_and_saveexec_b64 s[8:9], s[12:13]
; %bb.2682:
	s_mov_b32 s10, 0x7f800001
	s_xor_b64 s[4:5], exec, -1
; %bb.2683:
	s_or_b64 exec, exec, s[8:9]
	s_and_b64 s[4:5], s[4:5], exec
	s_or_saveexec_b64 s[6:7], s[6:7]
	v_mov_b32_e32 v10, s10
	s_xor_b64 exec, exec, s[6:7]
	s_cbranch_execz .LBB34_634
.LBB34_2684:
	v_mov_b32_e32 v10, 0
	v_cmp_ne_u16_sdwa s[8:9], v17, v10 src0_sel:BYTE_3 src1_sel:DWORD
	s_andn2_b64 s[4:5], s[4:5], exec
	s_and_b64 s[8:9], s[8:9], exec
	s_or_b64 s[4:5], s[4:5], s[8:9]
	s_or_b64 exec, exec, s[6:7]
	s_and_saveexec_b64 s[6:7], s[4:5]
	s_cbranch_execnz .LBB34_635
	s_branch .LBB34_636
.LBB34_2685:
	s_movk_i32 s4, 0x80
	v_cmp_eq_u16_sdwa s[12:13], v13, s4 src0_sel:BYTE_3 src1_sel:DWORD
	s_mov_b64 s[4:5], -1
                                        ; implicit-def: $sgpr10
	s_and_saveexec_b64 s[8:9], s[12:13]
; %bb.2686:
	s_mov_b32 s10, 0x7f800001
	s_xor_b64 s[4:5], exec, -1
; %bb.2687:
	s_or_b64 exec, exec, s[8:9]
	s_and_b64 s[4:5], s[4:5], exec
	s_or_saveexec_b64 s[6:7], s[6:7]
	v_mov_b32_e32 v11, s10
	s_xor_b64 exec, exec, s[6:7]
	s_cbranch_execz .LBB34_638
.LBB34_2688:
	v_mov_b32_e32 v11, 0
	v_cmp_ne_u16_sdwa s[8:9], v13, v11 src0_sel:BYTE_3 src1_sel:DWORD
	s_andn2_b64 s[4:5], s[4:5], exec
	s_and_b64 s[8:9], s[8:9], exec
	s_or_b64 s[4:5], s[4:5], s[8:9]
	s_or_b64 exec, exec, s[6:7]
	s_and_saveexec_b64 s[6:7], s[4:5]
	s_cbranch_execnz .LBB34_639
	s_branch .LBB34_640
.LBB34_2689:
	s_movk_i32 s4, 0x80
	v_cmp_eq_u16_sdwa s[12:13], v6, s4 src0_sel:BYTE_0 src1_sel:DWORD
	s_mov_b64 s[4:5], -1
                                        ; implicit-def: $sgpr10
	s_and_saveexec_b64 s[8:9], s[12:13]
; %bb.2690:
	s_mov_b32 s10, 0x7f800001
	s_xor_b64 s[4:5], exec, -1
; %bb.2691:
	s_or_b64 exec, exec, s[8:9]
	s_and_b64 s[4:5], s[4:5], exec
	s_or_saveexec_b64 s[6:7], s[6:7]
	v_mov_b32_e32 v10, s10
	s_xor_b64 exec, exec, s[6:7]
	s_cbranch_execz .LBB34_642
.LBB34_2692:
	v_mov_b32_e32 v10, 0
	v_cmp_ne_u16_sdwa s[8:9], v6, v10 src0_sel:BYTE_0 src1_sel:DWORD
	s_andn2_b64 s[4:5], s[4:5], exec
	s_and_b64 s[8:9], s[8:9], exec
	s_or_b64 s[4:5], s[4:5], s[8:9]
	s_or_b64 exec, exec, s[6:7]
	s_and_saveexec_b64 s[6:7], s[4:5]
	s_cbranch_execnz .LBB34_643
	s_branch .LBB34_644
.LBB34_2693:
	s_movk_i32 s4, 0x80
	v_cmp_eq_u16_sdwa s[12:13], v2, s4 src0_sel:BYTE_0 src1_sel:DWORD
	s_mov_b64 s[4:5], -1
                                        ; implicit-def: $sgpr10
	s_and_saveexec_b64 s[8:9], s[12:13]
; %bb.2694:
	s_mov_b32 s10, 0x7f800001
	s_xor_b64 s[4:5], exec, -1
; %bb.2695:
	s_or_b64 exec, exec, s[8:9]
	s_and_b64 s[4:5], s[4:5], exec
	s_or_saveexec_b64 s[6:7], s[6:7]
	v_mov_b32_e32 v11, s10
	s_xor_b64 exec, exec, s[6:7]
	s_cbranch_execz .LBB34_646
.LBB34_2696:
	v_mov_b32_e32 v11, 0
	v_cmp_ne_u16_sdwa s[8:9], v2, v11 src0_sel:BYTE_0 src1_sel:DWORD
	s_andn2_b64 s[4:5], s[4:5], exec
	s_and_b64 s[8:9], s[8:9], exec
	s_or_b64 s[4:5], s[4:5], s[8:9]
	s_or_b64 exec, exec, s[6:7]
	s_and_saveexec_b64 s[6:7], s[4:5]
	s_cbranch_execnz .LBB34_647
	s_branch .LBB34_648
.LBB34_2697:
	s_movk_i32 s4, 0x80
	v_cmp_eq_u16_sdwa s[12:13], v11, s4 src0_sel:BYTE_0 src1_sel:DWORD
	s_mov_b64 s[4:5], -1
                                        ; implicit-def: $sgpr10
	s_and_saveexec_b64 s[8:9], s[12:13]
; %bb.2698:
	s_mov_b32 s10, 0x7f800001
	s_xor_b64 s[4:5], exec, -1
; %bb.2699:
	s_or_b64 exec, exec, s[8:9]
	s_and_b64 s[4:5], s[4:5], exec
	s_or_saveexec_b64 s[6:7], s[6:7]
	v_mov_b32_e32 v10, s10
	s_xor_b64 exec, exec, s[6:7]
	s_cbranch_execz .LBB34_650
.LBB34_2700:
	v_mov_b32_e32 v10, 0
	v_cmp_ne_u16_sdwa s[8:9], v11, v10 src0_sel:BYTE_0 src1_sel:DWORD
	s_andn2_b64 s[4:5], s[4:5], exec
	s_and_b64 s[8:9], s[8:9], exec
	s_or_b64 s[4:5], s[4:5], s[8:9]
	s_or_b64 exec, exec, s[6:7]
	s_and_saveexec_b64 s[6:7], s[4:5]
	s_cbranch_execnz .LBB34_651
	s_branch .LBB34_652
.LBB34_2701:
	s_movk_i32 s4, 0x80
	v_cmp_eq_u16_sdwa s[12:13], v11, s4 src0_sel:BYTE_0 src1_sel:DWORD
	s_mov_b64 s[4:5], -1
                                        ; implicit-def: $sgpr10
	s_and_saveexec_b64 s[8:9], s[12:13]
; %bb.2702:
	s_mov_b32 s10, 0x7f800001
	s_xor_b64 s[4:5], exec, -1
; %bb.2703:
	s_or_b64 exec, exec, s[8:9]
	s_and_b64 s[4:5], s[4:5], exec
	s_or_saveexec_b64 s[6:7], s[6:7]
	v_mov_b32_e32 v12, s10
	s_xor_b64 exec, exec, s[6:7]
	s_cbranch_execz .LBB34_654
.LBB34_2704:
	v_mov_b32_e32 v12, 0
	v_cmp_ne_u16_sdwa s[8:9], v11, v12 src0_sel:BYTE_0 src1_sel:DWORD
	s_andn2_b64 s[4:5], s[4:5], exec
	s_and_b64 s[8:9], s[8:9], exec
	s_or_b64 s[4:5], s[4:5], s[8:9]
	s_or_b64 exec, exec, s[6:7]
	s_and_saveexec_b64 s[6:7], s[4:5]
	s_cbranch_execnz .LBB34_655
	s_branch .LBB34_656
.LBB34_2705:
	s_movk_i32 s4, 0x80
	v_cmp_eq_u16_e32 vcc, s4, v11
	s_mov_b64 s[4:5], -1
                                        ; implicit-def: $sgpr10
	s_and_saveexec_b64 s[8:9], vcc
; %bb.2706:
	s_mov_b32 s10, 0x7f800001
	s_xor_b64 s[4:5], exec, -1
; %bb.2707:
	s_or_b64 exec, exec, s[8:9]
	s_and_b64 s[4:5], s[4:5], exec
                                        ; implicit-def: $vgpr11
	s_or_saveexec_b64 s[6:7], s[6:7]
	v_mov_b32_e32 v10, s10
	s_xor_b64 exec, exec, s[6:7]
	s_cbranch_execz .LBB34_658
.LBB34_2708:
	v_cmp_ne_u16_e32 vcc, 0, v11
	s_andn2_b64 s[4:5], s[4:5], exec
	s_and_b64 s[8:9], vcc, exec
	v_mov_b32_e32 v10, 0
	s_or_b64 s[4:5], s[4:5], s[8:9]
	s_or_b64 exec, exec, s[6:7]
	s_and_saveexec_b64 s[6:7], s[4:5]
	s_cbranch_execnz .LBB34_659
	s_branch .LBB34_660
.LBB34_2709:
	s_movk_i32 s4, 0x80
	v_cmp_eq_u16_e32 vcc, s4, v11
	s_mov_b64 s[4:5], -1
                                        ; implicit-def: $sgpr10
	s_and_saveexec_b64 s[8:9], vcc
; %bb.2710:
	s_mov_b32 s10, 0x7f800001
	s_xor_b64 s[4:5], exec, -1
; %bb.2711:
	s_or_b64 exec, exec, s[8:9]
	s_and_b64 s[4:5], s[4:5], exec
                                        ; implicit-def: $vgpr11
	s_or_saveexec_b64 s[6:7], s[6:7]
	v_mov_b32_e32 v12, s10
	s_xor_b64 exec, exec, s[6:7]
	s_cbranch_execz .LBB34_662
.LBB34_2712:
	v_cmp_ne_u16_e32 vcc, 0, v11
	s_andn2_b64 s[4:5], s[4:5], exec
	s_and_b64 s[8:9], vcc, exec
	v_mov_b32_e32 v12, 0
	s_or_b64 s[4:5], s[4:5], s[8:9]
	s_or_b64 exec, exec, s[6:7]
	s_and_saveexec_b64 s[6:7], s[4:5]
	s_cbranch_execnz .LBB34_663
	s_branch .LBB34_664
.LBB34_2713:
	s_movk_i32 s4, 0x80
	v_cmp_eq_u16_sdwa s[12:13], v6, s4 src0_sel:BYTE_3 src1_sel:DWORD
	s_mov_b64 s[4:5], -1
                                        ; implicit-def: $sgpr10
	s_and_saveexec_b64 s[8:9], s[12:13]
; %bb.2714:
	s_mov_b32 s10, 0x7f800001
	s_xor_b64 s[4:5], exec, -1
; %bb.2715:
	s_or_b64 exec, exec, s[8:9]
	s_and_b64 s[4:5], s[4:5], exec
	s_or_saveexec_b64 s[6:7], s[6:7]
	v_mov_b32_e32 v10, s10
	s_xor_b64 exec, exec, s[6:7]
	s_cbranch_execz .LBB34_666
.LBB34_2716:
	v_mov_b32_e32 v10, 0
	v_cmp_ne_u16_sdwa s[8:9], v6, v10 src0_sel:BYTE_3 src1_sel:DWORD
	s_andn2_b64 s[4:5], s[4:5], exec
	s_and_b64 s[8:9], s[8:9], exec
	s_or_b64 s[4:5], s[4:5], s[8:9]
	s_or_b64 exec, exec, s[6:7]
	s_and_saveexec_b64 s[6:7], s[4:5]
	s_cbranch_execnz .LBB34_667
	s_branch .LBB34_668
.LBB34_2717:
	s_movk_i32 s4, 0x80
	v_cmp_eq_u16_sdwa s[12:13], v2, s4 src0_sel:BYTE_3 src1_sel:DWORD
	s_mov_b64 s[4:5], -1
                                        ; implicit-def: $sgpr10
	s_and_saveexec_b64 s[8:9], s[12:13]
; %bb.2718:
	s_mov_b32 s10, 0x7f800001
	s_xor_b64 s[4:5], exec, -1
; %bb.2719:
	s_or_b64 exec, exec, s[8:9]
	s_and_b64 s[4:5], s[4:5], exec
	s_or_saveexec_b64 s[6:7], s[6:7]
	v_mov_b32_e32 v6, s10
	s_xor_b64 exec, exec, s[6:7]
	s_cbranch_execz .LBB34_670
.LBB34_2720:
	v_mov_b32_e32 v6, 0
	v_cmp_ne_u16_sdwa s[8:9], v2, v6 src0_sel:BYTE_3 src1_sel:DWORD
	s_andn2_b64 s[4:5], s[4:5], exec
	s_and_b64 s[8:9], s[8:9], exec
	s_or_b64 s[4:5], s[4:5], s[8:9]
	s_or_b64 exec, exec, s[6:7]
	s_and_saveexec_b64 s[6:7], s[4:5]
	s_cbranch_execnz .LBB34_671
	s_branch .LBB34_672
.LBB34_2721:
	s_movk_i32 s4, 0x80
	v_cmp_eq_u16_sdwa s[12:13], v7, s4 src0_sel:BYTE_0 src1_sel:DWORD
	s_mov_b64 s[4:5], -1
                                        ; implicit-def: $sgpr10
	s_and_saveexec_b64 s[8:9], s[12:13]
; %bb.2722:
	s_mov_b32 s10, 0x7f800001
	s_xor_b64 s[4:5], exec, -1
; %bb.2723:
	s_or_b64 exec, exec, s[8:9]
	s_and_b64 s[4:5], s[4:5], exec
	s_or_saveexec_b64 s[6:7], s[6:7]
	v_mov_b32_e32 v2, s10
	s_xor_b64 exec, exec, s[6:7]
	s_cbranch_execz .LBB34_674
.LBB34_2724:
	v_mov_b32_e32 v2, 0
	v_cmp_ne_u16_sdwa s[8:9], v7, v2 src0_sel:BYTE_0 src1_sel:DWORD
	s_andn2_b64 s[4:5], s[4:5], exec
	s_and_b64 s[8:9], s[8:9], exec
	s_or_b64 s[4:5], s[4:5], s[8:9]
	s_or_b64 exec, exec, s[6:7]
	s_and_saveexec_b64 s[6:7], s[4:5]
	s_cbranch_execnz .LBB34_675
	s_branch .LBB34_676
.LBB34_2725:
	s_movk_i32 s4, 0x80
	v_cmp_eq_u16_sdwa s[12:13], v3, s4 src0_sel:BYTE_0 src1_sel:DWORD
	s_mov_b64 s[4:5], -1
                                        ; implicit-def: $sgpr10
	s_and_saveexec_b64 s[8:9], s[12:13]
; %bb.2726:
	s_mov_b32 s10, 0x7f800001
	s_xor_b64 s[4:5], exec, -1
; %bb.2727:
	s_or_b64 exec, exec, s[8:9]
	s_and_b64 s[4:5], s[4:5], exec
	s_or_saveexec_b64 s[6:7], s[6:7]
	v_mov_b32_e32 v6, s10
	s_xor_b64 exec, exec, s[6:7]
	s_cbranch_execz .LBB34_678
.LBB34_2728:
	v_mov_b32_e32 v6, 0
	v_cmp_ne_u16_sdwa s[8:9], v3, v6 src0_sel:BYTE_0 src1_sel:DWORD
	s_andn2_b64 s[4:5], s[4:5], exec
	s_and_b64 s[8:9], s[8:9], exec
	s_or_b64 s[4:5], s[4:5], s[8:9]
	s_or_b64 exec, exec, s[6:7]
	s_and_saveexec_b64 s[6:7], s[4:5]
	s_cbranch_execnz .LBB34_679
	s_branch .LBB34_680
.LBB34_2729:
	s_movk_i32 s4, 0x80
	v_cmp_eq_u16_sdwa s[12:13], v6, s4 src0_sel:BYTE_0 src1_sel:DWORD
	s_mov_b64 s[4:5], -1
                                        ; implicit-def: $sgpr10
	s_and_saveexec_b64 s[8:9], s[12:13]
; %bb.2730:
	s_mov_b32 s10, 0x7f800001
	s_xor_b64 s[4:5], exec, -1
; %bb.2731:
	s_or_b64 exec, exec, s[8:9]
	s_and_b64 s[4:5], s[4:5], exec
	s_or_saveexec_b64 s[6:7], s[6:7]
	v_mov_b32_e32 v2, s10
	s_xor_b64 exec, exec, s[6:7]
	s_cbranch_execz .LBB34_682
.LBB34_2732:
	v_mov_b32_e32 v2, 0
	v_cmp_ne_u16_sdwa s[8:9], v6, v2 src0_sel:BYTE_0 src1_sel:DWORD
	s_andn2_b64 s[4:5], s[4:5], exec
	s_and_b64 s[8:9], s[8:9], exec
	s_or_b64 s[4:5], s[4:5], s[8:9]
	s_or_b64 exec, exec, s[6:7]
	s_and_saveexec_b64 s[6:7], s[4:5]
	s_cbranch_execnz .LBB34_683
	s_branch .LBB34_684
.LBB34_2733:
	s_movk_i32 s4, 0x80
	v_cmp_eq_u16_sdwa s[12:13], v6, s4 src0_sel:BYTE_0 src1_sel:DWORD
	s_mov_b64 s[4:5], -1
                                        ; implicit-def: $sgpr10
	s_and_saveexec_b64 s[8:9], s[12:13]
; %bb.2734:
	s_mov_b32 s10, 0x7f800001
	s_xor_b64 s[4:5], exec, -1
; %bb.2735:
	s_or_b64 exec, exec, s[8:9]
	s_and_b64 s[4:5], s[4:5], exec
	s_or_saveexec_b64 s[6:7], s[6:7]
	v_mov_b32_e32 v10, s10
	s_xor_b64 exec, exec, s[6:7]
	s_cbranch_execz .LBB34_686
.LBB34_2736:
	v_mov_b32_e32 v10, 0
	v_cmp_ne_u16_sdwa s[8:9], v6, v10 src0_sel:BYTE_0 src1_sel:DWORD
	s_andn2_b64 s[4:5], s[4:5], exec
	s_and_b64 s[8:9], s[8:9], exec
	s_or_b64 s[4:5], s[4:5], s[8:9]
	s_or_b64 exec, exec, s[6:7]
	s_and_saveexec_b64 s[6:7], s[4:5]
	s_cbranch_execnz .LBB34_687
	s_branch .LBB34_688
.LBB34_2737:
	s_movk_i32 s4, 0x80
	v_cmp_eq_u16_e32 vcc, s4, v6
	s_mov_b64 s[4:5], -1
                                        ; implicit-def: $sgpr10
	s_and_saveexec_b64 s[8:9], vcc
; %bb.2738:
	s_mov_b32 s10, 0x7f800001
	s_xor_b64 s[4:5], exec, -1
; %bb.2739:
	s_or_b64 exec, exec, s[8:9]
	s_and_b64 s[4:5], s[4:5], exec
                                        ; implicit-def: $vgpr6
	s_or_saveexec_b64 s[6:7], s[6:7]
	v_mov_b32_e32 v2, s10
	s_xor_b64 exec, exec, s[6:7]
	s_cbranch_execz .LBB34_690
.LBB34_2740:
	v_cmp_ne_u16_e32 vcc, 0, v6
	s_andn2_b64 s[4:5], s[4:5], exec
	s_and_b64 s[8:9], vcc, exec
	v_mov_b32_e32 v2, 0
	s_or_b64 s[4:5], s[4:5], s[8:9]
	s_or_b64 exec, exec, s[6:7]
	s_and_saveexec_b64 s[6:7], s[4:5]
	s_cbranch_execnz .LBB34_691
	s_branch .LBB34_692
.LBB34_2741:
	s_movk_i32 s4, 0x80
	v_cmp_eq_u16_e32 vcc, s4, v6
	s_mov_b64 s[4:5], -1
                                        ; implicit-def: $sgpr10
	s_and_saveexec_b64 s[8:9], vcc
; %bb.2742:
	s_mov_b32 s10, 0x7f800001
	s_xor_b64 s[4:5], exec, -1
; %bb.2743:
	s_or_b64 exec, exec, s[8:9]
	s_and_b64 s[4:5], s[4:5], exec
                                        ; implicit-def: $vgpr6
	s_or_saveexec_b64 s[6:7], s[6:7]
	v_mov_b32_e32 v10, s10
	s_xor_b64 exec, exec, s[6:7]
	s_cbranch_execz .LBB34_694
.LBB34_2744:
	v_cmp_ne_u16_e32 vcc, 0, v6
	s_andn2_b64 s[4:5], s[4:5], exec
	s_and_b64 s[8:9], vcc, exec
	v_mov_b32_e32 v10, 0
	s_or_b64 s[4:5], s[4:5], s[8:9]
	s_or_b64 exec, exec, s[6:7]
	s_and_saveexec_b64 s[6:7], s[4:5]
	s_cbranch_execnz .LBB34_695
	s_branch .LBB34_696
.LBB34_2745:
	s_movk_i32 s4, 0x80
	v_cmp_eq_u16_sdwa s[12:13], v7, s4 src0_sel:BYTE_3 src1_sel:DWORD
	s_mov_b64 s[4:5], -1
                                        ; implicit-def: $sgpr10
	s_and_saveexec_b64 s[8:9], s[12:13]
; %bb.2746:
	s_mov_b32 s10, 0x7f800001
	s_xor_b64 s[4:5], exec, -1
; %bb.2747:
	s_or_b64 exec, exec, s[8:9]
	s_and_b64 s[4:5], s[4:5], exec
	s_or_saveexec_b64 s[6:7], s[6:7]
	v_mov_b32_e32 v2, s10
	s_xor_b64 exec, exec, s[6:7]
	s_cbranch_execz .LBB34_698
.LBB34_2748:
	v_mov_b32_e32 v2, 0
	v_cmp_ne_u16_sdwa s[8:9], v7, v2 src0_sel:BYTE_3 src1_sel:DWORD
	s_andn2_b64 s[4:5], s[4:5], exec
	s_and_b64 s[8:9], s[8:9], exec
	s_or_b64 s[4:5], s[4:5], s[8:9]
	s_or_b64 exec, exec, s[6:7]
	s_and_saveexec_b64 s[6:7], s[4:5]
	s_cbranch_execnz .LBB34_699
	s_branch .LBB34_700
.LBB34_2749:
	s_movk_i32 s4, 0x80
	v_cmp_eq_u16_sdwa s[12:13], v3, s4 src0_sel:BYTE_3 src1_sel:DWORD
	s_mov_b64 s[4:5], -1
                                        ; implicit-def: $sgpr10
	s_and_saveexec_b64 s[8:9], s[12:13]
; %bb.2750:
	s_mov_b32 s10, 0x7f800001
	s_xor_b64 s[4:5], exec, -1
; %bb.2751:
	s_or_b64 exec, exec, s[8:9]
	s_and_b64 s[4:5], s[4:5], exec
	s_or_saveexec_b64 s[6:7], s[6:7]
	v_mov_b32_e32 v6, s10
	s_xor_b64 exec, exec, s[6:7]
	s_cbranch_execz .LBB34_702
.LBB34_2752:
	v_mov_b32_e32 v6, 0
	v_cmp_ne_u16_sdwa s[8:9], v3, v6 src0_sel:BYTE_3 src1_sel:DWORD
	s_andn2_b64 s[4:5], s[4:5], exec
	s_and_b64 s[8:9], s[8:9], exec
	s_or_b64 s[4:5], s[4:5], s[8:9]
	s_or_b64 exec, exec, s[6:7]
	s_and_saveexec_b64 s[6:7], s[4:5]
	s_cbranch_execnz .LBB34_703
	s_branch .LBB34_704
.LBB34_2753:
	s_movk_i32 s4, 0x80
	v_cmp_eq_u16_sdwa s[12:13], v8, s4 src0_sel:BYTE_0 src1_sel:DWORD
	s_mov_b64 s[4:5], -1
                                        ; implicit-def: $sgpr10
	s_and_saveexec_b64 s[8:9], s[12:13]
; %bb.2754:
	s_mov_b32 s10, 0x7f800001
	s_xor_b64 s[4:5], exec, -1
; %bb.2755:
	s_or_b64 exec, exec, s[8:9]
	s_and_b64 s[4:5], s[4:5], exec
	s_or_saveexec_b64 s[6:7], s[6:7]
	v_mov_b32_e32 v2, s10
	s_xor_b64 exec, exec, s[6:7]
	s_cbranch_execz .LBB34_706
.LBB34_2756:
	v_mov_b32_e32 v2, 0
	v_cmp_ne_u16_sdwa s[8:9], v8, v2 src0_sel:BYTE_0 src1_sel:DWORD
	s_andn2_b64 s[4:5], s[4:5], exec
	s_and_b64 s[8:9], s[8:9], exec
	s_or_b64 s[4:5], s[4:5], s[8:9]
	s_or_b64 exec, exec, s[6:7]
	s_and_saveexec_b64 s[6:7], s[4:5]
	s_cbranch_execnz .LBB34_707
	s_branch .LBB34_708
.LBB34_2757:
	s_movk_i32 s4, 0x80
	v_cmp_eq_u16_sdwa s[12:13], v4, s4 src0_sel:BYTE_0 src1_sel:DWORD
	s_mov_b64 s[4:5], -1
                                        ; implicit-def: $sgpr10
	s_and_saveexec_b64 s[8:9], s[12:13]
; %bb.2758:
	s_mov_b32 s10, 0x7f800001
	s_xor_b64 s[4:5], exec, -1
; %bb.2759:
	s_or_b64 exec, exec, s[8:9]
	s_and_b64 s[4:5], s[4:5], exec
	s_or_saveexec_b64 s[6:7], s[6:7]
	v_mov_b32_e32 v3, s10
	s_xor_b64 exec, exec, s[6:7]
	s_cbranch_execz .LBB34_710
.LBB34_2760:
	v_mov_b32_e32 v3, 0
	v_cmp_ne_u16_sdwa s[8:9], v4, v3 src0_sel:BYTE_0 src1_sel:DWORD
	s_andn2_b64 s[4:5], s[4:5], exec
	s_and_b64 s[8:9], s[8:9], exec
	s_or_b64 s[4:5], s[4:5], s[8:9]
	s_or_b64 exec, exec, s[6:7]
	s_and_saveexec_b64 s[6:7], s[4:5]
	s_cbranch_execnz .LBB34_711
	s_branch .LBB34_712
.LBB34_2761:
	s_movk_i32 s4, 0x80
	v_cmp_eq_u16_sdwa s[12:13], v3, s4 src0_sel:BYTE_0 src1_sel:DWORD
	s_mov_b64 s[4:5], -1
                                        ; implicit-def: $sgpr10
	s_and_saveexec_b64 s[8:9], s[12:13]
; %bb.2762:
	s_mov_b32 s10, 0x7f800001
	s_xor_b64 s[4:5], exec, -1
; %bb.2763:
	s_or_b64 exec, exec, s[8:9]
	s_and_b64 s[4:5], s[4:5], exec
	s_or_saveexec_b64 s[6:7], s[6:7]
	v_mov_b32_e32 v2, s10
	s_xor_b64 exec, exec, s[6:7]
	s_cbranch_execz .LBB34_714
.LBB34_2764:
	v_mov_b32_e32 v2, 0
	v_cmp_ne_u16_sdwa s[8:9], v3, v2 src0_sel:BYTE_0 src1_sel:DWORD
	s_andn2_b64 s[4:5], s[4:5], exec
	s_and_b64 s[8:9], s[8:9], exec
	s_or_b64 s[4:5], s[4:5], s[8:9]
	s_or_b64 exec, exec, s[6:7]
	s_and_saveexec_b64 s[6:7], s[4:5]
	s_cbranch_execnz .LBB34_715
	s_branch .LBB34_716
.LBB34_2765:
	s_movk_i32 s4, 0x80
	v_cmp_eq_u16_sdwa s[12:13], v3, s4 src0_sel:BYTE_0 src1_sel:DWORD
	s_mov_b64 s[4:5], -1
                                        ; implicit-def: $sgpr10
	s_and_saveexec_b64 s[8:9], s[12:13]
; %bb.2766:
	s_mov_b32 s10, 0x7f800001
	s_xor_b64 s[4:5], exec, -1
; %bb.2767:
	s_or_b64 exec, exec, s[8:9]
	s_and_b64 s[4:5], s[4:5], exec
	s_or_saveexec_b64 s[6:7], s[6:7]
	v_mov_b32_e32 v6, s10
	s_xor_b64 exec, exec, s[6:7]
	s_cbranch_execz .LBB34_718
.LBB34_2768:
	v_mov_b32_e32 v6, 0
	v_cmp_ne_u16_sdwa s[8:9], v3, v6 src0_sel:BYTE_0 src1_sel:DWORD
	s_andn2_b64 s[4:5], s[4:5], exec
	s_and_b64 s[8:9], s[8:9], exec
	s_or_b64 s[4:5], s[4:5], s[8:9]
	s_or_b64 exec, exec, s[6:7]
	s_and_saveexec_b64 s[6:7], s[4:5]
	s_cbranch_execnz .LBB34_719
	s_branch .LBB34_720
.LBB34_2769:
	s_movk_i32 s4, 0x80
	v_cmp_eq_u16_e32 vcc, s4, v3
	s_mov_b64 s[4:5], -1
                                        ; implicit-def: $sgpr10
	s_and_saveexec_b64 s[8:9], vcc
; %bb.2770:
	s_mov_b32 s10, 0x7f800001
	s_xor_b64 s[4:5], exec, -1
; %bb.2771:
	s_or_b64 exec, exec, s[8:9]
	s_and_b64 s[4:5], s[4:5], exec
                                        ; implicit-def: $vgpr3
	s_or_saveexec_b64 s[6:7], s[6:7]
	v_mov_b32_e32 v2, s10
	s_xor_b64 exec, exec, s[6:7]
	s_cbranch_execz .LBB34_722
.LBB34_2772:
	v_cmp_ne_u16_e32 vcc, 0, v3
	s_andn2_b64 s[4:5], s[4:5], exec
	s_and_b64 s[8:9], vcc, exec
	v_mov_b32_e32 v2, 0
	s_or_b64 s[4:5], s[4:5], s[8:9]
	s_or_b64 exec, exec, s[6:7]
	s_and_saveexec_b64 s[6:7], s[4:5]
	s_cbranch_execnz .LBB34_723
	s_branch .LBB34_724
.LBB34_2773:
	s_movk_i32 s4, 0x80
	v_cmp_eq_u16_e32 vcc, s4, v3
	s_mov_b64 s[4:5], -1
                                        ; implicit-def: $sgpr10
	s_and_saveexec_b64 s[8:9], vcc
; %bb.2774:
	s_mov_b32 s10, 0x7f800001
	s_xor_b64 s[4:5], exec, -1
; %bb.2775:
	s_or_b64 exec, exec, s[8:9]
	s_and_b64 s[4:5], s[4:5], exec
                                        ; implicit-def: $vgpr3
	s_or_saveexec_b64 s[6:7], s[6:7]
	v_mov_b32_e32 v6, s10
	s_xor_b64 exec, exec, s[6:7]
	s_cbranch_execz .LBB34_726
.LBB34_2776:
	v_cmp_ne_u16_e32 vcc, 0, v3
	s_andn2_b64 s[4:5], s[4:5], exec
	s_and_b64 s[8:9], vcc, exec
	v_mov_b32_e32 v6, 0
	s_or_b64 s[4:5], s[4:5], s[8:9]
	s_or_b64 exec, exec, s[6:7]
	s_and_saveexec_b64 s[6:7], s[4:5]
	s_cbranch_execnz .LBB34_727
	s_branch .LBB34_728
.LBB34_2777:
	s_movk_i32 s4, 0x80
	v_cmp_eq_u16_sdwa s[12:13], v8, s4 src0_sel:BYTE_3 src1_sel:DWORD
	s_mov_b64 s[4:5], -1
                                        ; implicit-def: $sgpr10
	s_and_saveexec_b64 s[8:9], s[12:13]
; %bb.2778:
	s_mov_b32 s10, 0x7f800001
	s_xor_b64 s[4:5], exec, -1
; %bb.2779:
	s_or_b64 exec, exec, s[8:9]
	s_and_b64 s[4:5], s[4:5], exec
	s_or_saveexec_b64 s[6:7], s[6:7]
	v_mov_b32_e32 v2, s10
	s_xor_b64 exec, exec, s[6:7]
	s_cbranch_execz .LBB34_730
.LBB34_2780:
	v_mov_b32_e32 v2, 0
	v_cmp_ne_u16_sdwa s[8:9], v8, v2 src0_sel:BYTE_3 src1_sel:DWORD
	s_andn2_b64 s[4:5], s[4:5], exec
	s_and_b64 s[8:9], s[8:9], exec
	s_or_b64 s[4:5], s[4:5], s[8:9]
	s_or_b64 exec, exec, s[6:7]
	s_and_saveexec_b64 s[6:7], s[4:5]
	s_cbranch_execnz .LBB34_731
	s_branch .LBB34_732
.LBB34_2781:
	s_movk_i32 s4, 0x80
	v_cmp_eq_u16_sdwa s[12:13], v4, s4 src0_sel:BYTE_3 src1_sel:DWORD
	s_mov_b64 s[4:5], -1
                                        ; implicit-def: $sgpr10
	s_and_saveexec_b64 s[8:9], s[12:13]
; %bb.2782:
	s_mov_b32 s10, 0x7f800001
	s_xor_b64 s[4:5], exec, -1
; %bb.2783:
	s_or_b64 exec, exec, s[8:9]
	s_and_b64 s[4:5], s[4:5], exec
	s_or_saveexec_b64 s[6:7], s[6:7]
	v_mov_b32_e32 v3, s10
	s_xor_b64 exec, exec, s[6:7]
	s_cbranch_execz .LBB34_734
.LBB34_2784:
	v_mov_b32_e32 v3, 0
	v_cmp_ne_u16_sdwa s[8:9], v4, v3 src0_sel:BYTE_3 src1_sel:DWORD
	s_andn2_b64 s[4:5], s[4:5], exec
	s_and_b64 s[8:9], s[8:9], exec
	s_or_b64 s[4:5], s[4:5], s[8:9]
	s_or_b64 exec, exec, s[6:7]
	s_and_saveexec_b64 s[6:7], s[4:5]
	s_cbranch_execnz .LBB34_735
	s_branch .LBB34_736
.LBB34_2785:
	s_movk_i32 s4, 0x80
	v_cmp_eq_u16_sdwa s[12:13], v9, s4 src0_sel:BYTE_0 src1_sel:DWORD
	s_mov_b64 s[4:5], -1
                                        ; implicit-def: $sgpr10
	s_and_saveexec_b64 s[8:9], s[12:13]
; %bb.2786:
	s_mov_b32 s10, 0x7f800001
	s_xor_b64 s[4:5], exec, -1
; %bb.2787:
	s_or_b64 exec, exec, s[8:9]
	s_and_b64 s[4:5], s[4:5], exec
	s_or_saveexec_b64 s[6:7], s[6:7]
	v_mov_b32_e32 v2, s10
	s_xor_b64 exec, exec, s[6:7]
	s_cbranch_execz .LBB34_738
.LBB34_2788:
	v_mov_b32_e32 v2, 0
	v_cmp_ne_u16_sdwa s[8:9], v9, v2 src0_sel:BYTE_0 src1_sel:DWORD
	s_andn2_b64 s[4:5], s[4:5], exec
	s_and_b64 s[8:9], s[8:9], exec
	s_or_b64 s[4:5], s[4:5], s[8:9]
	s_or_b64 exec, exec, s[6:7]
	s_and_saveexec_b64 s[6:7], s[4:5]
	s_cbranch_execnz .LBB34_739
	s_branch .LBB34_740
.LBB34_2789:
	s_movk_i32 s4, 0x80
	v_cmp_eq_u16_sdwa s[12:13], v5, s4 src0_sel:BYTE_0 src1_sel:DWORD
	s_mov_b64 s[4:5], -1
                                        ; implicit-def: $sgpr10
	s_and_saveexec_b64 s[8:9], s[12:13]
; %bb.2790:
	s_mov_b32 s10, 0x7f800001
	s_xor_b64 s[4:5], exec, -1
; %bb.2791:
	s_or_b64 exec, exec, s[8:9]
	s_and_b64 s[4:5], s[4:5], exec
	s_or_saveexec_b64 s[6:7], s[6:7]
	v_mov_b32_e32 v3, s10
	s_xor_b64 exec, exec, s[6:7]
	s_cbranch_execz .LBB34_742
.LBB34_2792:
	v_mov_b32_e32 v3, 0
	v_cmp_ne_u16_sdwa s[8:9], v5, v3 src0_sel:BYTE_0 src1_sel:DWORD
	s_andn2_b64 s[4:5], s[4:5], exec
	s_and_b64 s[8:9], s[8:9], exec
	s_or_b64 s[4:5], s[4:5], s[8:9]
	s_or_b64 exec, exec, s[6:7]
	s_and_saveexec_b64 s[6:7], s[4:5]
	s_cbranch_execnz .LBB34_743
	s_branch .LBB34_744
.LBB34_2793:
	s_movk_i32 s4, 0x80
	v_cmp_eq_u16_sdwa s[12:13], v3, s4 src0_sel:BYTE_0 src1_sel:DWORD
	s_mov_b64 s[4:5], -1
                                        ; implicit-def: $sgpr10
	s_and_saveexec_b64 s[8:9], s[12:13]
; %bb.2794:
	s_mov_b32 s10, 0x7f800001
	s_xor_b64 s[4:5], exec, -1
; %bb.2795:
	s_or_b64 exec, exec, s[8:9]
	s_and_b64 s[4:5], s[4:5], exec
	s_or_saveexec_b64 s[6:7], s[6:7]
	v_mov_b32_e32 v2, s10
	s_xor_b64 exec, exec, s[6:7]
	s_cbranch_execz .LBB34_746
.LBB34_2796:
	v_mov_b32_e32 v2, 0
	v_cmp_ne_u16_sdwa s[8:9], v3, v2 src0_sel:BYTE_0 src1_sel:DWORD
	s_andn2_b64 s[4:5], s[4:5], exec
	s_and_b64 s[8:9], s[8:9], exec
	s_or_b64 s[4:5], s[4:5], s[8:9]
	s_or_b64 exec, exec, s[6:7]
	s_and_saveexec_b64 s[6:7], s[4:5]
	s_cbranch_execnz .LBB34_747
	s_branch .LBB34_748
.LBB34_2797:
	s_movk_i32 s4, 0x80
	v_cmp_eq_u16_sdwa s[12:13], v3, s4 src0_sel:BYTE_0 src1_sel:DWORD
	s_mov_b64 s[4:5], -1
                                        ; implicit-def: $sgpr10
	s_and_saveexec_b64 s[8:9], s[12:13]
; %bb.2798:
	s_mov_b32 s10, 0x7f800001
	s_xor_b64 s[4:5], exec, -1
; %bb.2799:
	s_or_b64 exec, exec, s[8:9]
	s_and_b64 s[4:5], s[4:5], exec
	s_or_saveexec_b64 s[6:7], s[6:7]
	v_mov_b32_e32 v4, s10
	s_xor_b64 exec, exec, s[6:7]
	s_cbranch_execz .LBB34_750
.LBB34_2800:
	v_mov_b32_e32 v4, 0
	v_cmp_ne_u16_sdwa s[8:9], v3, v4 src0_sel:BYTE_0 src1_sel:DWORD
	s_andn2_b64 s[4:5], s[4:5], exec
	s_and_b64 s[8:9], s[8:9], exec
	s_or_b64 s[4:5], s[4:5], s[8:9]
	s_or_b64 exec, exec, s[6:7]
	s_and_saveexec_b64 s[6:7], s[4:5]
	s_cbranch_execnz .LBB34_751
	s_branch .LBB34_752
.LBB34_2801:
	s_movk_i32 s4, 0x80
	v_cmp_eq_u16_e32 vcc, s4, v3
	s_mov_b64 s[4:5], -1
                                        ; implicit-def: $sgpr10
	s_and_saveexec_b64 s[8:9], vcc
; %bb.2802:
	s_mov_b32 s10, 0x7f800001
	s_xor_b64 s[4:5], exec, -1
; %bb.2803:
	s_or_b64 exec, exec, s[8:9]
	s_and_b64 s[4:5], s[4:5], exec
                                        ; implicit-def: $vgpr3
	s_or_saveexec_b64 s[6:7], s[6:7]
	v_mov_b32_e32 v2, s10
	s_xor_b64 exec, exec, s[6:7]
	s_cbranch_execz .LBB34_754
.LBB34_2804:
	v_cmp_ne_u16_e32 vcc, 0, v3
	s_andn2_b64 s[4:5], s[4:5], exec
	s_and_b64 s[8:9], vcc, exec
	v_mov_b32_e32 v2, 0
	s_or_b64 s[4:5], s[4:5], s[8:9]
	s_or_b64 exec, exec, s[6:7]
	s_and_saveexec_b64 s[6:7], s[4:5]
	s_cbranch_execnz .LBB34_755
	s_branch .LBB34_756
.LBB34_2805:
	s_movk_i32 s4, 0x80
	v_cmp_eq_u16_e32 vcc, s4, v3
	s_mov_b64 s[4:5], -1
                                        ; implicit-def: $sgpr10
	s_and_saveexec_b64 s[8:9], vcc
; %bb.2806:
	s_mov_b32 s10, 0x7f800001
	s_xor_b64 s[4:5], exec, -1
; %bb.2807:
	s_or_b64 exec, exec, s[8:9]
	s_and_b64 s[4:5], s[4:5], exec
                                        ; implicit-def: $vgpr3
	s_or_saveexec_b64 s[6:7], s[6:7]
	v_mov_b32_e32 v4, s10
	s_xor_b64 exec, exec, s[6:7]
	s_cbranch_execz .LBB34_758
.LBB34_2808:
	v_cmp_ne_u16_e32 vcc, 0, v3
	s_andn2_b64 s[4:5], s[4:5], exec
	s_and_b64 s[8:9], vcc, exec
	v_mov_b32_e32 v4, 0
	s_or_b64 s[4:5], s[4:5], s[8:9]
	s_or_b64 exec, exec, s[6:7]
	s_and_saveexec_b64 s[6:7], s[4:5]
	s_cbranch_execnz .LBB34_759
	s_branch .LBB34_760
.LBB34_2809:
	s_movk_i32 s4, 0x80
	v_cmp_eq_u16_sdwa s[12:13], v9, s4 src0_sel:BYTE_3 src1_sel:DWORD
	s_mov_b64 s[4:5], -1
                                        ; implicit-def: $sgpr10
	s_and_saveexec_b64 s[8:9], s[12:13]
; %bb.2810:
	s_mov_b32 s10, 0x7f800001
	s_xor_b64 s[4:5], exec, -1
; %bb.2811:
	s_or_b64 exec, exec, s[8:9]
	s_and_b64 s[4:5], s[4:5], exec
	s_or_saveexec_b64 s[6:7], s[6:7]
	v_mov_b32_e32 v2, s10
	s_xor_b64 exec, exec, s[6:7]
	s_cbranch_execz .LBB34_762
.LBB34_2812:
	v_mov_b32_e32 v2, 0
	v_cmp_ne_u16_sdwa s[8:9], v9, v2 src0_sel:BYTE_3 src1_sel:DWORD
	s_andn2_b64 s[4:5], s[4:5], exec
	s_and_b64 s[8:9], s[8:9], exec
	s_or_b64 s[4:5], s[4:5], s[8:9]
	s_or_b64 exec, exec, s[6:7]
	s_and_saveexec_b64 s[6:7], s[4:5]
	s_cbranch_execnz .LBB34_763
	s_branch .LBB34_764
.LBB34_2813:
	s_movk_i32 s4, 0x80
	v_cmp_eq_u16_sdwa s[12:13], v5, s4 src0_sel:BYTE_3 src1_sel:DWORD
	s_mov_b64 s[4:5], -1
                                        ; implicit-def: $sgpr10
	s_and_saveexec_b64 s[8:9], s[12:13]
; %bb.2814:
	s_mov_b32 s10, 0x7f800001
	s_xor_b64 s[4:5], exec, -1
; %bb.2815:
	s_or_b64 exec, exec, s[8:9]
	s_and_b64 s[4:5], s[4:5], exec
	s_or_saveexec_b64 s[6:7], s[6:7]
	v_mov_b32_e32 v3, s10
	s_xor_b64 exec, exec, s[6:7]
	s_cbranch_execz .LBB34_766
.LBB34_2816:
	v_mov_b32_e32 v3, 0
	v_cmp_ne_u16_sdwa s[8:9], v5, v3 src0_sel:BYTE_3 src1_sel:DWORD
	s_andn2_b64 s[4:5], s[4:5], exec
	s_and_b64 s[8:9], s[8:9], exec
	s_or_b64 s[4:5], s[4:5], s[8:9]
	s_or_b64 exec, exec, s[6:7]
	s_and_saveexec_b64 s[6:7], s[4:5]
	s_cbranch_execnz .LBB34_767
	s_branch .LBB34_768
.LBB34_2817:
	s_movk_i32 s4, 0x80
	v_cmp_eq_u16_sdwa s[12:13], v14, s4 src0_sel:BYTE_0 src1_sel:DWORD
	s_mov_b64 s[4:5], -1
                                        ; implicit-def: $sgpr10
	s_and_saveexec_b64 s[8:9], s[12:13]
; %bb.2818:
	s_mov_b32 s10, 0x7f800001
	s_xor_b64 s[4:5], exec, -1
; %bb.2819:
	s_or_b64 exec, exec, s[8:9]
	s_and_b64 s[4:5], s[4:5], exec
	s_or_saveexec_b64 s[6:7], s[6:7]
	v_mov_b32_e32 v20, s10
	s_xor_b64 exec, exec, s[6:7]
	s_cbranch_execz .LBB34_770
.LBB34_2820:
	v_mov_b32_e32 v20, 0
	v_cmp_ne_u16_sdwa s[8:9], v14, v20 src0_sel:BYTE_0 src1_sel:DWORD
	s_andn2_b64 s[4:5], s[4:5], exec
	s_and_b64 s[8:9], s[8:9], exec
	s_or_b64 s[4:5], s[4:5], s[8:9]
	s_or_b64 exec, exec, s[6:7]
	s_and_saveexec_b64 s[6:7], s[4:5]
	s_cbranch_execnz .LBB34_771
	s_branch .LBB34_772
.LBB34_2821:
	s_movk_i32 s4, 0x80
	v_cmp_eq_u16_sdwa s[12:13], v10, s4 src0_sel:BYTE_0 src1_sel:DWORD
	s_mov_b64 s[4:5], -1
                                        ; implicit-def: $sgpr10
	s_and_saveexec_b64 s[8:9], s[12:13]
; %bb.2822:
	s_mov_b32 s10, 0x7f800001
	s_xor_b64 s[4:5], exec, -1
; %bb.2823:
	s_or_b64 exec, exec, s[8:9]
	s_and_b64 s[4:5], s[4:5], exec
	s_or_saveexec_b64 s[6:7], s[6:7]
	v_mov_b32_e32 v21, s10
	s_xor_b64 exec, exec, s[6:7]
	s_cbranch_execz .LBB34_774
.LBB34_2824:
	v_mov_b32_e32 v21, 0
	v_cmp_ne_u16_sdwa s[8:9], v10, v21 src0_sel:BYTE_0 src1_sel:DWORD
	s_andn2_b64 s[4:5], s[4:5], exec
	s_and_b64 s[8:9], s[8:9], exec
	s_or_b64 s[4:5], s[4:5], s[8:9]
	s_or_b64 exec, exec, s[6:7]
	s_and_saveexec_b64 s[6:7], s[4:5]
	s_cbranch_execnz .LBB34_775
	s_branch .LBB34_776
.LBB34_2825:
	s_movk_i32 s4, 0x80
	v_cmp_eq_u16_sdwa s[12:13], v21, s4 src0_sel:BYTE_0 src1_sel:DWORD
	s_mov_b64 s[4:5], -1
                                        ; implicit-def: $sgpr10
	s_and_saveexec_b64 s[8:9], s[12:13]
; %bb.2826:
	s_mov_b32 s10, 0x7f800001
	s_xor_b64 s[4:5], exec, -1
; %bb.2827:
	s_or_b64 exec, exec, s[8:9]
	s_and_b64 s[4:5], s[4:5], exec
	s_or_saveexec_b64 s[6:7], s[6:7]
	v_mov_b32_e32 v20, s10
	s_xor_b64 exec, exec, s[6:7]
	s_cbranch_execz .LBB34_778
.LBB34_2828:
	v_mov_b32_e32 v20, 0
	v_cmp_ne_u16_sdwa s[8:9], v21, v20 src0_sel:BYTE_0 src1_sel:DWORD
	s_andn2_b64 s[4:5], s[4:5], exec
	s_and_b64 s[8:9], s[8:9], exec
	s_or_b64 s[4:5], s[4:5], s[8:9]
	s_or_b64 exec, exec, s[6:7]
	s_and_saveexec_b64 s[6:7], s[4:5]
	s_cbranch_execnz .LBB34_779
	s_branch .LBB34_780
.LBB34_2829:
	s_movk_i32 s4, 0x80
	v_cmp_eq_u16_sdwa s[12:13], v21, s4 src0_sel:BYTE_0 src1_sel:DWORD
	s_mov_b64 s[4:5], -1
                                        ; implicit-def: $sgpr10
	s_and_saveexec_b64 s[8:9], s[12:13]
; %bb.2830:
	s_mov_b32 s10, 0x7f800001
	s_xor_b64 s[4:5], exec, -1
; %bb.2831:
	s_or_b64 exec, exec, s[8:9]
	s_and_b64 s[4:5], s[4:5], exec
	s_or_saveexec_b64 s[6:7], s[6:7]
	v_mov_b32_e32 v22, s10
	s_xor_b64 exec, exec, s[6:7]
	s_cbranch_execz .LBB34_782
.LBB34_2832:
	v_mov_b32_e32 v22, 0
	v_cmp_ne_u16_sdwa s[8:9], v21, v22 src0_sel:BYTE_0 src1_sel:DWORD
	s_andn2_b64 s[4:5], s[4:5], exec
	s_and_b64 s[8:9], s[8:9], exec
	s_or_b64 s[4:5], s[4:5], s[8:9]
	s_or_b64 exec, exec, s[6:7]
	s_and_saveexec_b64 s[6:7], s[4:5]
	s_cbranch_execnz .LBB34_783
	s_branch .LBB34_784
.LBB34_2833:
	s_movk_i32 s4, 0x80
	v_cmp_eq_u16_e32 vcc, s4, v21
	s_mov_b64 s[4:5], -1
                                        ; implicit-def: $sgpr10
	s_and_saveexec_b64 s[8:9], vcc
; %bb.2834:
	s_mov_b32 s10, 0x7f800001
	s_xor_b64 s[4:5], exec, -1
; %bb.2835:
	s_or_b64 exec, exec, s[8:9]
	s_and_b64 s[4:5], s[4:5], exec
                                        ; implicit-def: $vgpr21
	s_or_saveexec_b64 s[6:7], s[6:7]
	v_mov_b32_e32 v20, s10
	s_xor_b64 exec, exec, s[6:7]
	s_cbranch_execz .LBB34_786
.LBB34_2836:
	v_cmp_ne_u16_e32 vcc, 0, v21
	s_andn2_b64 s[4:5], s[4:5], exec
	s_and_b64 s[8:9], vcc, exec
	v_mov_b32_e32 v20, 0
	s_or_b64 s[4:5], s[4:5], s[8:9]
	s_or_b64 exec, exec, s[6:7]
	s_and_saveexec_b64 s[6:7], s[4:5]
	s_cbranch_execnz .LBB34_787
	s_branch .LBB34_788
.LBB34_2837:
	s_movk_i32 s4, 0x80
	v_cmp_eq_u16_e32 vcc, s4, v21
	s_mov_b64 s[4:5], -1
                                        ; implicit-def: $sgpr10
	s_and_saveexec_b64 s[8:9], vcc
; %bb.2838:
	s_mov_b32 s10, 0x7f800001
	s_xor_b64 s[4:5], exec, -1
; %bb.2839:
	s_or_b64 exec, exec, s[8:9]
	s_and_b64 s[4:5], s[4:5], exec
                                        ; implicit-def: $vgpr21
	s_or_saveexec_b64 s[6:7], s[6:7]
	v_mov_b32_e32 v22, s10
	s_xor_b64 exec, exec, s[6:7]
	s_cbranch_execz .LBB34_790
.LBB34_2840:
	v_cmp_ne_u16_e32 vcc, 0, v21
	s_andn2_b64 s[4:5], s[4:5], exec
	s_and_b64 s[8:9], vcc, exec
	v_mov_b32_e32 v22, 0
	s_or_b64 s[4:5], s[4:5], s[8:9]
	s_or_b64 exec, exec, s[6:7]
	s_and_saveexec_b64 s[6:7], s[4:5]
	s_cbranch_execnz .LBB34_791
	s_branch .LBB34_792
.LBB34_2841:
	s_movk_i32 s4, 0x80
	v_cmp_eq_u16_sdwa s[12:13], v14, s4 src0_sel:BYTE_3 src1_sel:DWORD
	s_mov_b64 s[4:5], -1
                                        ; implicit-def: $sgpr10
	s_and_saveexec_b64 s[8:9], s[12:13]
; %bb.2842:
	s_mov_b32 s10, 0x7f800001
	s_xor_b64 s[4:5], exec, -1
; %bb.2843:
	s_or_b64 exec, exec, s[8:9]
	s_and_b64 s[4:5], s[4:5], exec
	s_or_saveexec_b64 s[6:7], s[6:7]
	v_mov_b32_e32 v20, s10
	s_xor_b64 exec, exec, s[6:7]
	s_cbranch_execz .LBB34_794
.LBB34_2844:
	v_mov_b32_e32 v20, 0
	v_cmp_ne_u16_sdwa s[8:9], v14, v20 src0_sel:BYTE_3 src1_sel:DWORD
	s_andn2_b64 s[4:5], s[4:5], exec
	s_and_b64 s[8:9], s[8:9], exec
	s_or_b64 s[4:5], s[4:5], s[8:9]
	s_or_b64 exec, exec, s[6:7]
	s_and_saveexec_b64 s[6:7], s[4:5]
	s_cbranch_execnz .LBB34_795
	s_branch .LBB34_796
.LBB34_2845:
	s_movk_i32 s4, 0x80
	v_cmp_eq_u16_sdwa s[12:13], v10, s4 src0_sel:BYTE_3 src1_sel:DWORD
	s_mov_b64 s[4:5], -1
                                        ; implicit-def: $sgpr10
	s_and_saveexec_b64 s[8:9], s[12:13]
; %bb.2846:
	s_mov_b32 s10, 0x7f800001
	s_xor_b64 s[4:5], exec, -1
; %bb.2847:
	s_or_b64 exec, exec, s[8:9]
	s_and_b64 s[4:5], s[4:5], exec
	s_or_saveexec_b64 s[6:7], s[6:7]
	v_mov_b32_e32 v14, s10
	s_xor_b64 exec, exec, s[6:7]
	s_cbranch_execz .LBB34_798
.LBB34_2848:
	v_mov_b32_e32 v14, 0
	v_cmp_ne_u16_sdwa s[8:9], v10, v14 src0_sel:BYTE_3 src1_sel:DWORD
	s_andn2_b64 s[4:5], s[4:5], exec
	s_and_b64 s[8:9], s[8:9], exec
	s_or_b64 s[4:5], s[4:5], s[8:9]
	s_or_b64 exec, exec, s[6:7]
	s_and_saveexec_b64 s[6:7], s[4:5]
	s_cbranch_execnz .LBB34_799
	s_branch .LBB34_800
.LBB34_2849:
	s_movk_i32 s4, 0x80
	v_cmp_eq_u16_sdwa s[12:13], v15, s4 src0_sel:BYTE_0 src1_sel:DWORD
	s_mov_b64 s[4:5], -1
                                        ; implicit-def: $sgpr10
	s_and_saveexec_b64 s[8:9], s[12:13]
; %bb.2850:
	s_mov_b32 s10, 0x7f800001
	s_xor_b64 s[4:5], exec, -1
; %bb.2851:
	s_or_b64 exec, exec, s[8:9]
	s_and_b64 s[4:5], s[4:5], exec
	s_or_saveexec_b64 s[6:7], s[6:7]
	v_mov_b32_e32 v10, s10
	s_xor_b64 exec, exec, s[6:7]
	s_cbranch_execz .LBB34_802
.LBB34_2852:
	v_mov_b32_e32 v10, 0
	v_cmp_ne_u16_sdwa s[8:9], v15, v10 src0_sel:BYTE_0 src1_sel:DWORD
	s_andn2_b64 s[4:5], s[4:5], exec
	s_and_b64 s[8:9], s[8:9], exec
	s_or_b64 s[4:5], s[4:5], s[8:9]
	s_or_b64 exec, exec, s[6:7]
	s_and_saveexec_b64 s[6:7], s[4:5]
	s_cbranch_execnz .LBB34_803
	s_branch .LBB34_804
.LBB34_2853:
	s_movk_i32 s4, 0x80
	v_cmp_eq_u16_sdwa s[12:13], v11, s4 src0_sel:BYTE_0 src1_sel:DWORD
	s_mov_b64 s[4:5], -1
                                        ; implicit-def: $sgpr10
	s_and_saveexec_b64 s[8:9], s[12:13]
; %bb.2854:
	s_mov_b32 s10, 0x7f800001
	s_xor_b64 s[4:5], exec, -1
; %bb.2855:
	s_or_b64 exec, exec, s[8:9]
	s_and_b64 s[4:5], s[4:5], exec
	s_or_saveexec_b64 s[6:7], s[6:7]
	v_mov_b32_e32 v14, s10
	s_xor_b64 exec, exec, s[6:7]
	s_cbranch_execz .LBB34_806
.LBB34_2856:
	v_mov_b32_e32 v14, 0
	v_cmp_ne_u16_sdwa s[8:9], v11, v14 src0_sel:BYTE_0 src1_sel:DWORD
	s_andn2_b64 s[4:5], s[4:5], exec
	s_and_b64 s[8:9], s[8:9], exec
	s_or_b64 s[4:5], s[4:5], s[8:9]
	s_or_b64 exec, exec, s[6:7]
	s_and_saveexec_b64 s[6:7], s[4:5]
	s_cbranch_execnz .LBB34_807
	s_branch .LBB34_808
.LBB34_2857:
	s_movk_i32 s4, 0x80
	v_cmp_eq_u16_sdwa s[12:13], v14, s4 src0_sel:BYTE_0 src1_sel:DWORD
	s_mov_b64 s[4:5], -1
                                        ; implicit-def: $sgpr10
	s_and_saveexec_b64 s[8:9], s[12:13]
; %bb.2858:
	s_mov_b32 s10, 0x7f800001
	s_xor_b64 s[4:5], exec, -1
; %bb.2859:
	s_or_b64 exec, exec, s[8:9]
	s_and_b64 s[4:5], s[4:5], exec
	s_or_saveexec_b64 s[6:7], s[6:7]
	v_mov_b32_e32 v10, s10
	s_xor_b64 exec, exec, s[6:7]
	s_cbranch_execz .LBB34_810
.LBB34_2860:
	v_mov_b32_e32 v10, 0
	v_cmp_ne_u16_sdwa s[8:9], v14, v10 src0_sel:BYTE_0 src1_sel:DWORD
	s_andn2_b64 s[4:5], s[4:5], exec
	s_and_b64 s[8:9], s[8:9], exec
	s_or_b64 s[4:5], s[4:5], s[8:9]
	s_or_b64 exec, exec, s[6:7]
	s_and_saveexec_b64 s[6:7], s[4:5]
	s_cbranch_execnz .LBB34_811
	s_branch .LBB34_812
.LBB34_2861:
	s_movk_i32 s4, 0x80
	v_cmp_eq_u16_sdwa s[12:13], v14, s4 src0_sel:BYTE_0 src1_sel:DWORD
	s_mov_b64 s[4:5], -1
                                        ; implicit-def: $sgpr10
	s_and_saveexec_b64 s[8:9], s[12:13]
; %bb.2862:
	s_mov_b32 s10, 0x7f800001
	s_xor_b64 s[4:5], exec, -1
; %bb.2863:
	s_or_b64 exec, exec, s[8:9]
	s_and_b64 s[4:5], s[4:5], exec
	s_or_saveexec_b64 s[6:7], s[6:7]
	v_mov_b32_e32 v20, s10
	s_xor_b64 exec, exec, s[6:7]
	s_cbranch_execz .LBB34_814
.LBB34_2864:
	v_mov_b32_e32 v20, 0
	v_cmp_ne_u16_sdwa s[8:9], v14, v20 src0_sel:BYTE_0 src1_sel:DWORD
	s_andn2_b64 s[4:5], s[4:5], exec
	s_and_b64 s[8:9], s[8:9], exec
	s_or_b64 s[4:5], s[4:5], s[8:9]
	s_or_b64 exec, exec, s[6:7]
	s_and_saveexec_b64 s[6:7], s[4:5]
	s_cbranch_execnz .LBB34_815
	s_branch .LBB34_816
.LBB34_2865:
	s_movk_i32 s4, 0x80
	v_cmp_eq_u16_e32 vcc, s4, v14
	s_mov_b64 s[4:5], -1
                                        ; implicit-def: $sgpr10
	s_and_saveexec_b64 s[8:9], vcc
; %bb.2866:
	s_mov_b32 s10, 0x7f800001
	s_xor_b64 s[4:5], exec, -1
; %bb.2867:
	s_or_b64 exec, exec, s[8:9]
	s_and_b64 s[4:5], s[4:5], exec
                                        ; implicit-def: $vgpr14
	s_or_saveexec_b64 s[6:7], s[6:7]
	v_mov_b32_e32 v10, s10
	s_xor_b64 exec, exec, s[6:7]
	s_cbranch_execz .LBB34_818
.LBB34_2868:
	v_cmp_ne_u16_e32 vcc, 0, v14
	s_andn2_b64 s[4:5], s[4:5], exec
	s_and_b64 s[8:9], vcc, exec
	v_mov_b32_e32 v10, 0
	s_or_b64 s[4:5], s[4:5], s[8:9]
	s_or_b64 exec, exec, s[6:7]
	s_and_saveexec_b64 s[6:7], s[4:5]
	s_cbranch_execnz .LBB34_819
	s_branch .LBB34_820
.LBB34_2869:
	s_movk_i32 s4, 0x80
	v_cmp_eq_u16_e32 vcc, s4, v14
	s_mov_b64 s[4:5], -1
                                        ; implicit-def: $sgpr10
	s_and_saveexec_b64 s[8:9], vcc
; %bb.2870:
	s_mov_b32 s10, 0x7f800001
	s_xor_b64 s[4:5], exec, -1
; %bb.2871:
	s_or_b64 exec, exec, s[8:9]
	s_and_b64 s[4:5], s[4:5], exec
                                        ; implicit-def: $vgpr14
	s_or_saveexec_b64 s[6:7], s[6:7]
	v_mov_b32_e32 v20, s10
	s_xor_b64 exec, exec, s[6:7]
	s_cbranch_execz .LBB34_822
.LBB34_2872:
	v_cmp_ne_u16_e32 vcc, 0, v14
	s_andn2_b64 s[4:5], s[4:5], exec
	s_and_b64 s[8:9], vcc, exec
	v_mov_b32_e32 v20, 0
	s_or_b64 s[4:5], s[4:5], s[8:9]
	s_or_b64 exec, exec, s[6:7]
	s_and_saveexec_b64 s[6:7], s[4:5]
	s_cbranch_execnz .LBB34_823
	s_branch .LBB34_824
.LBB34_2873:
	s_movk_i32 s4, 0x80
	v_cmp_eq_u16_sdwa s[12:13], v15, s4 src0_sel:BYTE_3 src1_sel:DWORD
	s_mov_b64 s[4:5], -1
                                        ; implicit-def: $sgpr10
	s_and_saveexec_b64 s[8:9], s[12:13]
; %bb.2874:
	s_mov_b32 s10, 0x7f800001
	s_xor_b64 s[4:5], exec, -1
; %bb.2875:
	s_or_b64 exec, exec, s[8:9]
	s_and_b64 s[4:5], s[4:5], exec
	s_or_saveexec_b64 s[6:7], s[6:7]
	v_mov_b32_e32 v10, s10
	s_xor_b64 exec, exec, s[6:7]
	s_cbranch_execz .LBB34_826
.LBB34_2876:
	v_mov_b32_e32 v10, 0
	v_cmp_ne_u16_sdwa s[8:9], v15, v10 src0_sel:BYTE_3 src1_sel:DWORD
	s_andn2_b64 s[4:5], s[4:5], exec
	s_and_b64 s[8:9], s[8:9], exec
	s_or_b64 s[4:5], s[4:5], s[8:9]
	s_or_b64 exec, exec, s[6:7]
	s_and_saveexec_b64 s[6:7], s[4:5]
	s_cbranch_execnz .LBB34_827
	s_branch .LBB34_828
.LBB34_2877:
	s_movk_i32 s4, 0x80
	v_cmp_eq_u16_sdwa s[12:13], v11, s4 src0_sel:BYTE_3 src1_sel:DWORD
	s_mov_b64 s[4:5], -1
                                        ; implicit-def: $sgpr10
	s_and_saveexec_b64 s[8:9], s[12:13]
; %bb.2878:
	s_mov_b32 s10, 0x7f800001
	s_xor_b64 s[4:5], exec, -1
; %bb.2879:
	s_or_b64 exec, exec, s[8:9]
	s_and_b64 s[4:5], s[4:5], exec
	s_or_saveexec_b64 s[6:7], s[6:7]
	v_mov_b32_e32 v14, s10
	s_xor_b64 exec, exec, s[6:7]
	s_cbranch_execz .LBB34_830
.LBB34_2880:
	v_mov_b32_e32 v14, 0
	v_cmp_ne_u16_sdwa s[8:9], v11, v14 src0_sel:BYTE_3 src1_sel:DWORD
	s_andn2_b64 s[4:5], s[4:5], exec
	s_and_b64 s[8:9], s[8:9], exec
	s_or_b64 s[4:5], s[4:5], s[8:9]
	s_or_b64 exec, exec, s[6:7]
	s_and_saveexec_b64 s[6:7], s[4:5]
	s_cbranch_execnz .LBB34_831
	s_branch .LBB34_832
.LBB34_2881:
	s_movk_i32 s4, 0x80
	v_cmp_eq_u16_sdwa s[12:13], v16, s4 src0_sel:BYTE_0 src1_sel:DWORD
	s_mov_b64 s[4:5], -1
                                        ; implicit-def: $sgpr10
	s_and_saveexec_b64 s[8:9], s[12:13]
; %bb.2882:
	s_mov_b32 s10, 0x7f800001
	s_xor_b64 s[4:5], exec, -1
; %bb.2883:
	s_or_b64 exec, exec, s[8:9]
	s_and_b64 s[4:5], s[4:5], exec
	s_or_saveexec_b64 s[6:7], s[6:7]
	v_mov_b32_e32 v10, s10
	s_xor_b64 exec, exec, s[6:7]
	s_cbranch_execz .LBB34_834
.LBB34_2884:
	v_mov_b32_e32 v10, 0
	v_cmp_ne_u16_sdwa s[8:9], v16, v10 src0_sel:BYTE_0 src1_sel:DWORD
	s_andn2_b64 s[4:5], s[4:5], exec
	s_and_b64 s[8:9], s[8:9], exec
	s_or_b64 s[4:5], s[4:5], s[8:9]
	s_or_b64 exec, exec, s[6:7]
	s_and_saveexec_b64 s[6:7], s[4:5]
	s_cbranch_execnz .LBB34_835
	s_branch .LBB34_836
.LBB34_2885:
	s_movk_i32 s4, 0x80
	v_cmp_eq_u16_sdwa s[12:13], v12, s4 src0_sel:BYTE_0 src1_sel:DWORD
	s_mov_b64 s[4:5], -1
                                        ; implicit-def: $sgpr10
	s_and_saveexec_b64 s[8:9], s[12:13]
; %bb.2886:
	s_mov_b32 s10, 0x7f800001
	s_xor_b64 s[4:5], exec, -1
; %bb.2887:
	s_or_b64 exec, exec, s[8:9]
	s_and_b64 s[4:5], s[4:5], exec
	s_or_saveexec_b64 s[6:7], s[6:7]
	v_mov_b32_e32 v11, s10
	s_xor_b64 exec, exec, s[6:7]
	s_cbranch_execz .LBB34_838
.LBB34_2888:
	v_mov_b32_e32 v11, 0
	v_cmp_ne_u16_sdwa s[8:9], v12, v11 src0_sel:BYTE_0 src1_sel:DWORD
	s_andn2_b64 s[4:5], s[4:5], exec
	s_and_b64 s[8:9], s[8:9], exec
	s_or_b64 s[4:5], s[4:5], s[8:9]
	s_or_b64 exec, exec, s[6:7]
	s_and_saveexec_b64 s[6:7], s[4:5]
	s_cbranch_execnz .LBB34_839
	s_branch .LBB34_840
.LBB34_2889:
	s_movk_i32 s4, 0x80
	v_cmp_eq_u16_sdwa s[12:13], v11, s4 src0_sel:BYTE_0 src1_sel:DWORD
	s_mov_b64 s[4:5], -1
                                        ; implicit-def: $sgpr10
	s_and_saveexec_b64 s[8:9], s[12:13]
; %bb.2890:
	s_mov_b32 s10, 0x7f800001
	s_xor_b64 s[4:5], exec, -1
; %bb.2891:
	s_or_b64 exec, exec, s[8:9]
	s_and_b64 s[4:5], s[4:5], exec
	s_or_saveexec_b64 s[6:7], s[6:7]
	v_mov_b32_e32 v10, s10
	s_xor_b64 exec, exec, s[6:7]
	s_cbranch_execz .LBB34_842
.LBB34_2892:
	v_mov_b32_e32 v10, 0
	v_cmp_ne_u16_sdwa s[8:9], v11, v10 src0_sel:BYTE_0 src1_sel:DWORD
	s_andn2_b64 s[4:5], s[4:5], exec
	s_and_b64 s[8:9], s[8:9], exec
	s_or_b64 s[4:5], s[4:5], s[8:9]
	s_or_b64 exec, exec, s[6:7]
	s_and_saveexec_b64 s[6:7], s[4:5]
	s_cbranch_execnz .LBB34_843
	s_branch .LBB34_844
.LBB34_2893:
	s_movk_i32 s4, 0x80
	v_cmp_eq_u16_sdwa s[12:13], v11, s4 src0_sel:BYTE_0 src1_sel:DWORD
	s_mov_b64 s[4:5], -1
                                        ; implicit-def: $sgpr10
	s_and_saveexec_b64 s[8:9], s[12:13]
; %bb.2894:
	s_mov_b32 s10, 0x7f800001
	s_xor_b64 s[4:5], exec, -1
; %bb.2895:
	s_or_b64 exec, exec, s[8:9]
	s_and_b64 s[4:5], s[4:5], exec
	s_or_saveexec_b64 s[6:7], s[6:7]
	v_mov_b32_e32 v14, s10
	s_xor_b64 exec, exec, s[6:7]
	s_cbranch_execz .LBB34_846
.LBB34_2896:
	v_mov_b32_e32 v14, 0
	v_cmp_ne_u16_sdwa s[8:9], v11, v14 src0_sel:BYTE_0 src1_sel:DWORD
	s_andn2_b64 s[4:5], s[4:5], exec
	s_and_b64 s[8:9], s[8:9], exec
	s_or_b64 s[4:5], s[4:5], s[8:9]
	s_or_b64 exec, exec, s[6:7]
	s_and_saveexec_b64 s[6:7], s[4:5]
	s_cbranch_execnz .LBB34_847
	s_branch .LBB34_848
.LBB34_2897:
	s_movk_i32 s4, 0x80
	v_cmp_eq_u16_e32 vcc, s4, v11
	s_mov_b64 s[4:5], -1
                                        ; implicit-def: $sgpr10
	s_and_saveexec_b64 s[8:9], vcc
; %bb.2898:
	s_mov_b32 s10, 0x7f800001
	s_xor_b64 s[4:5], exec, -1
; %bb.2899:
	s_or_b64 exec, exec, s[8:9]
	s_and_b64 s[4:5], s[4:5], exec
                                        ; implicit-def: $vgpr11
	s_or_saveexec_b64 s[6:7], s[6:7]
	v_mov_b32_e32 v10, s10
	s_xor_b64 exec, exec, s[6:7]
	s_cbranch_execz .LBB34_850
.LBB34_2900:
	v_cmp_ne_u16_e32 vcc, 0, v11
	s_andn2_b64 s[4:5], s[4:5], exec
	s_and_b64 s[8:9], vcc, exec
	v_mov_b32_e32 v10, 0
	s_or_b64 s[4:5], s[4:5], s[8:9]
	s_or_b64 exec, exec, s[6:7]
	s_and_saveexec_b64 s[6:7], s[4:5]
	s_cbranch_execnz .LBB34_851
	s_branch .LBB34_852
.LBB34_2901:
	s_movk_i32 s4, 0x80
	v_cmp_eq_u16_e32 vcc, s4, v11
	s_mov_b64 s[4:5], -1
                                        ; implicit-def: $sgpr10
	s_and_saveexec_b64 s[8:9], vcc
; %bb.2902:
	s_mov_b32 s10, 0x7f800001
	s_xor_b64 s[4:5], exec, -1
; %bb.2903:
	s_or_b64 exec, exec, s[8:9]
	s_and_b64 s[4:5], s[4:5], exec
                                        ; implicit-def: $vgpr11
	s_or_saveexec_b64 s[6:7], s[6:7]
	v_mov_b32_e32 v14, s10
	s_xor_b64 exec, exec, s[6:7]
	s_cbranch_execz .LBB34_854
.LBB34_2904:
	v_cmp_ne_u16_e32 vcc, 0, v11
	s_andn2_b64 s[4:5], s[4:5], exec
	s_and_b64 s[8:9], vcc, exec
	v_mov_b32_e32 v14, 0
	s_or_b64 s[4:5], s[4:5], s[8:9]
	s_or_b64 exec, exec, s[6:7]
	s_and_saveexec_b64 s[6:7], s[4:5]
	s_cbranch_execnz .LBB34_855
	s_branch .LBB34_856
.LBB34_2905:
	s_movk_i32 s4, 0x80
	v_cmp_eq_u16_sdwa s[12:13], v16, s4 src0_sel:BYTE_3 src1_sel:DWORD
	s_mov_b64 s[4:5], -1
                                        ; implicit-def: $sgpr10
	s_and_saveexec_b64 s[8:9], s[12:13]
; %bb.2906:
	s_mov_b32 s10, 0x7f800001
	s_xor_b64 s[4:5], exec, -1
; %bb.2907:
	s_or_b64 exec, exec, s[8:9]
	s_and_b64 s[4:5], s[4:5], exec
	s_or_saveexec_b64 s[6:7], s[6:7]
	v_mov_b32_e32 v10, s10
	s_xor_b64 exec, exec, s[6:7]
	s_cbranch_execz .LBB34_858
.LBB34_2908:
	v_mov_b32_e32 v10, 0
	v_cmp_ne_u16_sdwa s[8:9], v16, v10 src0_sel:BYTE_3 src1_sel:DWORD
	s_andn2_b64 s[4:5], s[4:5], exec
	s_and_b64 s[8:9], s[8:9], exec
	s_or_b64 s[4:5], s[4:5], s[8:9]
	s_or_b64 exec, exec, s[6:7]
	s_and_saveexec_b64 s[6:7], s[4:5]
	s_cbranch_execnz .LBB34_859
	s_branch .LBB34_860
.LBB34_2909:
	s_movk_i32 s4, 0x80
	v_cmp_eq_u16_sdwa s[12:13], v12, s4 src0_sel:BYTE_3 src1_sel:DWORD
	s_mov_b64 s[4:5], -1
                                        ; implicit-def: $sgpr10
	s_and_saveexec_b64 s[8:9], s[12:13]
; %bb.2910:
	s_mov_b32 s10, 0x7f800001
	s_xor_b64 s[4:5], exec, -1
; %bb.2911:
	s_or_b64 exec, exec, s[8:9]
	s_and_b64 s[4:5], s[4:5], exec
	s_or_saveexec_b64 s[6:7], s[6:7]
	v_mov_b32_e32 v11, s10
	s_xor_b64 exec, exec, s[6:7]
	s_cbranch_execz .LBB34_862
.LBB34_2912:
	v_mov_b32_e32 v11, 0
	v_cmp_ne_u16_sdwa s[8:9], v12, v11 src0_sel:BYTE_3 src1_sel:DWORD
	s_andn2_b64 s[4:5], s[4:5], exec
	s_and_b64 s[8:9], s[8:9], exec
	s_or_b64 s[4:5], s[4:5], s[8:9]
	s_or_b64 exec, exec, s[6:7]
	s_and_saveexec_b64 s[6:7], s[4:5]
	s_cbranch_execnz .LBB34_863
	s_branch .LBB34_864
.LBB34_2913:
	s_movk_i32 s4, 0x80
	v_cmp_eq_u16_sdwa s[12:13], v17, s4 src0_sel:BYTE_0 src1_sel:DWORD
	s_mov_b64 s[4:5], -1
                                        ; implicit-def: $sgpr10
	s_and_saveexec_b64 s[8:9], s[12:13]
; %bb.2914:
	s_mov_b32 s10, 0x7f800001
	s_xor_b64 s[4:5], exec, -1
; %bb.2915:
	s_or_b64 exec, exec, s[8:9]
	s_and_b64 s[4:5], s[4:5], exec
	s_or_saveexec_b64 s[6:7], s[6:7]
	v_mov_b32_e32 v10, s10
	s_xor_b64 exec, exec, s[6:7]
	s_cbranch_execz .LBB34_866
.LBB34_2916:
	v_mov_b32_e32 v10, 0
	v_cmp_ne_u16_sdwa s[8:9], v17, v10 src0_sel:BYTE_0 src1_sel:DWORD
	s_andn2_b64 s[4:5], s[4:5], exec
	s_and_b64 s[8:9], s[8:9], exec
	s_or_b64 s[4:5], s[4:5], s[8:9]
	s_or_b64 exec, exec, s[6:7]
	s_and_saveexec_b64 s[6:7], s[4:5]
	s_cbranch_execnz .LBB34_867
	s_branch .LBB34_868
.LBB34_2917:
	s_movk_i32 s4, 0x80
	v_cmp_eq_u16_sdwa s[12:13], v13, s4 src0_sel:BYTE_0 src1_sel:DWORD
	s_mov_b64 s[4:5], -1
                                        ; implicit-def: $sgpr10
	s_and_saveexec_b64 s[8:9], s[12:13]
; %bb.2918:
	s_mov_b32 s10, 0x7f800001
	s_xor_b64 s[4:5], exec, -1
; %bb.2919:
	s_or_b64 exec, exec, s[8:9]
	s_and_b64 s[4:5], s[4:5], exec
	s_or_saveexec_b64 s[6:7], s[6:7]
	v_mov_b32_e32 v11, s10
	s_xor_b64 exec, exec, s[6:7]
	s_cbranch_execz .LBB34_870
.LBB34_2920:
	v_mov_b32_e32 v11, 0
	v_cmp_ne_u16_sdwa s[8:9], v13, v11 src0_sel:BYTE_0 src1_sel:DWORD
	s_andn2_b64 s[4:5], s[4:5], exec
	s_and_b64 s[8:9], s[8:9], exec
	s_or_b64 s[4:5], s[4:5], s[8:9]
	s_or_b64 exec, exec, s[6:7]
	s_and_saveexec_b64 s[6:7], s[4:5]
	s_cbranch_execnz .LBB34_871
	s_branch .LBB34_872
.LBB34_2921:
	s_movk_i32 s4, 0x80
	v_cmp_eq_u16_sdwa s[12:13], v11, s4 src0_sel:BYTE_0 src1_sel:DWORD
	s_mov_b64 s[4:5], -1
                                        ; implicit-def: $sgpr10
	s_and_saveexec_b64 s[8:9], s[12:13]
; %bb.2922:
	s_mov_b32 s10, 0x7f800001
	s_xor_b64 s[4:5], exec, -1
; %bb.2923:
	s_or_b64 exec, exec, s[8:9]
	s_and_b64 s[4:5], s[4:5], exec
	s_or_saveexec_b64 s[6:7], s[6:7]
	v_mov_b32_e32 v10, s10
	s_xor_b64 exec, exec, s[6:7]
	s_cbranch_execz .LBB34_874
.LBB34_2924:
	v_mov_b32_e32 v10, 0
	v_cmp_ne_u16_sdwa s[8:9], v11, v10 src0_sel:BYTE_0 src1_sel:DWORD
	s_andn2_b64 s[4:5], s[4:5], exec
	s_and_b64 s[8:9], s[8:9], exec
	s_or_b64 s[4:5], s[4:5], s[8:9]
	s_or_b64 exec, exec, s[6:7]
	s_and_saveexec_b64 s[6:7], s[4:5]
	s_cbranch_execnz .LBB34_875
	s_branch .LBB34_876
.LBB34_2925:
	s_movk_i32 s4, 0x80
	v_cmp_eq_u16_sdwa s[12:13], v11, s4 src0_sel:BYTE_0 src1_sel:DWORD
	s_mov_b64 s[4:5], -1
                                        ; implicit-def: $sgpr10
	s_and_saveexec_b64 s[8:9], s[12:13]
; %bb.2926:
	s_mov_b32 s10, 0x7f800001
	s_xor_b64 s[4:5], exec, -1
; %bb.2927:
	s_or_b64 exec, exec, s[8:9]
	s_and_b64 s[4:5], s[4:5], exec
	s_or_saveexec_b64 s[6:7], s[6:7]
	v_mov_b32_e32 v12, s10
	s_xor_b64 exec, exec, s[6:7]
	s_cbranch_execz .LBB34_878
.LBB34_2928:
	v_mov_b32_e32 v12, 0
	v_cmp_ne_u16_sdwa s[8:9], v11, v12 src0_sel:BYTE_0 src1_sel:DWORD
	s_andn2_b64 s[4:5], s[4:5], exec
	s_and_b64 s[8:9], s[8:9], exec
	s_or_b64 s[4:5], s[4:5], s[8:9]
	s_or_b64 exec, exec, s[6:7]
	s_and_saveexec_b64 s[6:7], s[4:5]
	s_cbranch_execnz .LBB34_879
	s_branch .LBB34_880
.LBB34_2929:
	s_movk_i32 s4, 0x80
	v_cmp_eq_u16_e32 vcc, s4, v11
	s_mov_b64 s[4:5], -1
                                        ; implicit-def: $sgpr10
	s_and_saveexec_b64 s[8:9], vcc
; %bb.2930:
	s_mov_b32 s10, 0x7f800001
	s_xor_b64 s[4:5], exec, -1
; %bb.2931:
	s_or_b64 exec, exec, s[8:9]
	s_and_b64 s[4:5], s[4:5], exec
                                        ; implicit-def: $vgpr11
	s_or_saveexec_b64 s[6:7], s[6:7]
	v_mov_b32_e32 v10, s10
	s_xor_b64 exec, exec, s[6:7]
	s_cbranch_execz .LBB34_882
.LBB34_2932:
	v_cmp_ne_u16_e32 vcc, 0, v11
	s_andn2_b64 s[4:5], s[4:5], exec
	s_and_b64 s[8:9], vcc, exec
	v_mov_b32_e32 v10, 0
	s_or_b64 s[4:5], s[4:5], s[8:9]
	s_or_b64 exec, exec, s[6:7]
	s_and_saveexec_b64 s[6:7], s[4:5]
	s_cbranch_execnz .LBB34_883
	s_branch .LBB34_884
.LBB34_2933:
	s_movk_i32 s4, 0x80
	v_cmp_eq_u16_e32 vcc, s4, v11
	s_mov_b64 s[4:5], -1
                                        ; implicit-def: $sgpr10
	s_and_saveexec_b64 s[8:9], vcc
; %bb.2934:
	s_mov_b32 s10, 0x7f800001
	s_xor_b64 s[4:5], exec, -1
; %bb.2935:
	s_or_b64 exec, exec, s[8:9]
	s_and_b64 s[4:5], s[4:5], exec
                                        ; implicit-def: $vgpr11
	s_or_saveexec_b64 s[6:7], s[6:7]
	v_mov_b32_e32 v12, s10
	s_xor_b64 exec, exec, s[6:7]
	s_cbranch_execz .LBB34_886
.LBB34_2936:
	v_cmp_ne_u16_e32 vcc, 0, v11
	s_andn2_b64 s[4:5], s[4:5], exec
	s_and_b64 s[8:9], vcc, exec
	v_mov_b32_e32 v12, 0
	s_or_b64 s[4:5], s[4:5], s[8:9]
	s_or_b64 exec, exec, s[6:7]
	s_and_saveexec_b64 s[6:7], s[4:5]
	s_cbranch_execnz .LBB34_887
	s_branch .LBB34_888
.LBB34_2937:
	s_movk_i32 s4, 0x80
	v_cmp_eq_u16_sdwa s[12:13], v17, s4 src0_sel:BYTE_3 src1_sel:DWORD
	s_mov_b64 s[4:5], -1
                                        ; implicit-def: $sgpr10
	s_and_saveexec_b64 s[8:9], s[12:13]
; %bb.2938:
	s_mov_b32 s10, 0x7f800001
	s_xor_b64 s[4:5], exec, -1
; %bb.2939:
	s_or_b64 exec, exec, s[8:9]
	s_and_b64 s[4:5], s[4:5], exec
	s_or_saveexec_b64 s[6:7], s[6:7]
	v_mov_b32_e32 v10, s10
	s_xor_b64 exec, exec, s[6:7]
	s_cbranch_execz .LBB34_890
.LBB34_2940:
	v_mov_b32_e32 v10, 0
	v_cmp_ne_u16_sdwa s[8:9], v17, v10 src0_sel:BYTE_3 src1_sel:DWORD
	s_andn2_b64 s[4:5], s[4:5], exec
	s_and_b64 s[8:9], s[8:9], exec
	s_or_b64 s[4:5], s[4:5], s[8:9]
	s_or_b64 exec, exec, s[6:7]
	s_and_saveexec_b64 s[6:7], s[4:5]
	s_cbranch_execnz .LBB34_891
	s_branch .LBB34_892
.LBB34_2941:
	s_movk_i32 s4, 0x80
	v_cmp_eq_u16_sdwa s[12:13], v13, s4 src0_sel:BYTE_3 src1_sel:DWORD
	s_mov_b64 s[4:5], -1
                                        ; implicit-def: $sgpr10
	s_and_saveexec_b64 s[8:9], s[12:13]
; %bb.2942:
	s_mov_b32 s10, 0x7f800001
	s_xor_b64 s[4:5], exec, -1
; %bb.2943:
	s_or_b64 exec, exec, s[8:9]
	s_and_b64 s[4:5], s[4:5], exec
	s_or_saveexec_b64 s[6:7], s[6:7]
	v_mov_b32_e32 v11, s10
	s_xor_b64 exec, exec, s[6:7]
	s_cbranch_execz .LBB34_894
.LBB34_2944:
	v_mov_b32_e32 v11, 0
	v_cmp_ne_u16_sdwa s[8:9], v13, v11 src0_sel:BYTE_3 src1_sel:DWORD
	s_andn2_b64 s[4:5], s[4:5], exec
	s_and_b64 s[8:9], s[8:9], exec
	s_or_b64 s[4:5], s[4:5], s[8:9]
	s_or_b64 exec, exec, s[6:7]
	s_and_saveexec_b64 s[6:7], s[4:5]
	s_cbranch_execnz .LBB34_895
	s_branch .LBB34_896
.LBB34_2945:
	s_movk_i32 s4, 0x80
	v_cmp_eq_u16_sdwa s[12:13], v6, s4 src0_sel:BYTE_0 src1_sel:DWORD
	s_mov_b64 s[4:5], -1
                                        ; implicit-def: $sgpr10
	s_and_saveexec_b64 s[8:9], s[12:13]
; %bb.2946:
	s_mov_b32 s10, 0x7f800001
	s_xor_b64 s[4:5], exec, -1
; %bb.2947:
	s_or_b64 exec, exec, s[8:9]
	s_and_b64 s[4:5], s[4:5], exec
	s_or_saveexec_b64 s[6:7], s[6:7]
	v_mov_b32_e32 v10, s10
	s_xor_b64 exec, exec, s[6:7]
	s_cbranch_execz .LBB34_898
.LBB34_2948:
	v_mov_b32_e32 v10, 0
	v_cmp_ne_u16_sdwa s[8:9], v6, v10 src0_sel:BYTE_0 src1_sel:DWORD
	s_andn2_b64 s[4:5], s[4:5], exec
	s_and_b64 s[8:9], s[8:9], exec
	s_or_b64 s[4:5], s[4:5], s[8:9]
	s_or_b64 exec, exec, s[6:7]
	s_and_saveexec_b64 s[6:7], s[4:5]
	s_cbranch_execnz .LBB34_899
	s_branch .LBB34_900
.LBB34_2949:
	s_movk_i32 s4, 0x80
	v_cmp_eq_u16_sdwa s[12:13], v2, s4 src0_sel:BYTE_0 src1_sel:DWORD
	s_mov_b64 s[4:5], -1
                                        ; implicit-def: $sgpr10
	s_and_saveexec_b64 s[8:9], s[12:13]
; %bb.2950:
	s_mov_b32 s10, 0x7f800001
	s_xor_b64 s[4:5], exec, -1
; %bb.2951:
	s_or_b64 exec, exec, s[8:9]
	s_and_b64 s[4:5], s[4:5], exec
	s_or_saveexec_b64 s[6:7], s[6:7]
	v_mov_b32_e32 v11, s10
	s_xor_b64 exec, exec, s[6:7]
	s_cbranch_execz .LBB34_902
.LBB34_2952:
	v_mov_b32_e32 v11, 0
	v_cmp_ne_u16_sdwa s[8:9], v2, v11 src0_sel:BYTE_0 src1_sel:DWORD
	s_andn2_b64 s[4:5], s[4:5], exec
	s_and_b64 s[8:9], s[8:9], exec
	s_or_b64 s[4:5], s[4:5], s[8:9]
	s_or_b64 exec, exec, s[6:7]
	s_and_saveexec_b64 s[6:7], s[4:5]
	s_cbranch_execnz .LBB34_903
	s_branch .LBB34_904
.LBB34_2953:
	s_movk_i32 s4, 0x80
	v_cmp_eq_u16_sdwa s[12:13], v11, s4 src0_sel:BYTE_0 src1_sel:DWORD
	s_mov_b64 s[4:5], -1
                                        ; implicit-def: $sgpr10
	s_and_saveexec_b64 s[8:9], s[12:13]
; %bb.2954:
	s_mov_b32 s10, 0x7f800001
	s_xor_b64 s[4:5], exec, -1
; %bb.2955:
	s_or_b64 exec, exec, s[8:9]
	s_and_b64 s[4:5], s[4:5], exec
	s_or_saveexec_b64 s[6:7], s[6:7]
	v_mov_b32_e32 v10, s10
	s_xor_b64 exec, exec, s[6:7]
	s_cbranch_execz .LBB34_906
.LBB34_2956:
	v_mov_b32_e32 v10, 0
	v_cmp_ne_u16_sdwa s[8:9], v11, v10 src0_sel:BYTE_0 src1_sel:DWORD
	s_andn2_b64 s[4:5], s[4:5], exec
	s_and_b64 s[8:9], s[8:9], exec
	s_or_b64 s[4:5], s[4:5], s[8:9]
	s_or_b64 exec, exec, s[6:7]
	s_and_saveexec_b64 s[6:7], s[4:5]
	s_cbranch_execnz .LBB34_907
	s_branch .LBB34_908
.LBB34_2957:
	s_movk_i32 s4, 0x80
	v_cmp_eq_u16_sdwa s[12:13], v11, s4 src0_sel:BYTE_0 src1_sel:DWORD
	s_mov_b64 s[4:5], -1
                                        ; implicit-def: $sgpr10
	s_and_saveexec_b64 s[8:9], s[12:13]
; %bb.2958:
	s_mov_b32 s10, 0x7f800001
	s_xor_b64 s[4:5], exec, -1
; %bb.2959:
	s_or_b64 exec, exec, s[8:9]
	s_and_b64 s[4:5], s[4:5], exec
	s_or_saveexec_b64 s[6:7], s[6:7]
	v_mov_b32_e32 v12, s10
	s_xor_b64 exec, exec, s[6:7]
	s_cbranch_execz .LBB34_910
.LBB34_2960:
	v_mov_b32_e32 v12, 0
	v_cmp_ne_u16_sdwa s[8:9], v11, v12 src0_sel:BYTE_0 src1_sel:DWORD
	s_andn2_b64 s[4:5], s[4:5], exec
	s_and_b64 s[8:9], s[8:9], exec
	s_or_b64 s[4:5], s[4:5], s[8:9]
	s_or_b64 exec, exec, s[6:7]
	s_and_saveexec_b64 s[6:7], s[4:5]
	s_cbranch_execnz .LBB34_911
	s_branch .LBB34_912
.LBB34_2961:
	s_movk_i32 s4, 0x80
	v_cmp_eq_u16_e32 vcc, s4, v11
	s_mov_b64 s[4:5], -1
                                        ; implicit-def: $sgpr10
	s_and_saveexec_b64 s[8:9], vcc
; %bb.2962:
	s_mov_b32 s10, 0x7f800001
	s_xor_b64 s[4:5], exec, -1
; %bb.2963:
	s_or_b64 exec, exec, s[8:9]
	s_and_b64 s[4:5], s[4:5], exec
                                        ; implicit-def: $vgpr11
	s_or_saveexec_b64 s[6:7], s[6:7]
	v_mov_b32_e32 v10, s10
	s_xor_b64 exec, exec, s[6:7]
	s_cbranch_execz .LBB34_914
.LBB34_2964:
	v_cmp_ne_u16_e32 vcc, 0, v11
	s_andn2_b64 s[4:5], s[4:5], exec
	s_and_b64 s[8:9], vcc, exec
	v_mov_b32_e32 v10, 0
	s_or_b64 s[4:5], s[4:5], s[8:9]
	s_or_b64 exec, exec, s[6:7]
	s_and_saveexec_b64 s[6:7], s[4:5]
	s_cbranch_execnz .LBB34_915
	s_branch .LBB34_916
.LBB34_2965:
	s_movk_i32 s4, 0x80
	v_cmp_eq_u16_e32 vcc, s4, v11
	s_mov_b64 s[4:5], -1
                                        ; implicit-def: $sgpr10
	s_and_saveexec_b64 s[8:9], vcc
; %bb.2966:
	s_mov_b32 s10, 0x7f800001
	s_xor_b64 s[4:5], exec, -1
; %bb.2967:
	s_or_b64 exec, exec, s[8:9]
	s_and_b64 s[4:5], s[4:5], exec
                                        ; implicit-def: $vgpr11
	s_or_saveexec_b64 s[6:7], s[6:7]
	v_mov_b32_e32 v12, s10
	s_xor_b64 exec, exec, s[6:7]
	s_cbranch_execz .LBB34_918
.LBB34_2968:
	v_cmp_ne_u16_e32 vcc, 0, v11
	s_andn2_b64 s[4:5], s[4:5], exec
	s_and_b64 s[8:9], vcc, exec
	v_mov_b32_e32 v12, 0
	s_or_b64 s[4:5], s[4:5], s[8:9]
	s_or_b64 exec, exec, s[6:7]
	s_and_saveexec_b64 s[6:7], s[4:5]
	s_cbranch_execnz .LBB34_919
	s_branch .LBB34_920
.LBB34_2969:
	s_movk_i32 s4, 0x80
	v_cmp_eq_u16_sdwa s[12:13], v6, s4 src0_sel:BYTE_3 src1_sel:DWORD
	s_mov_b64 s[4:5], -1
                                        ; implicit-def: $sgpr10
	s_and_saveexec_b64 s[8:9], s[12:13]
; %bb.2970:
	s_mov_b32 s10, 0x7f800001
	s_xor_b64 s[4:5], exec, -1
; %bb.2971:
	s_or_b64 exec, exec, s[8:9]
	s_and_b64 s[4:5], s[4:5], exec
	s_or_saveexec_b64 s[6:7], s[6:7]
	v_mov_b32_e32 v10, s10
	s_xor_b64 exec, exec, s[6:7]
	s_cbranch_execz .LBB34_922
.LBB34_2972:
	v_mov_b32_e32 v10, 0
	v_cmp_ne_u16_sdwa s[8:9], v6, v10 src0_sel:BYTE_3 src1_sel:DWORD
	s_andn2_b64 s[4:5], s[4:5], exec
	s_and_b64 s[8:9], s[8:9], exec
	s_or_b64 s[4:5], s[4:5], s[8:9]
	s_or_b64 exec, exec, s[6:7]
	s_and_saveexec_b64 s[6:7], s[4:5]
	s_cbranch_execnz .LBB34_923
	s_branch .LBB34_924
.LBB34_2973:
	s_movk_i32 s4, 0x80
	v_cmp_eq_u16_sdwa s[12:13], v2, s4 src0_sel:BYTE_3 src1_sel:DWORD
	s_mov_b64 s[4:5], -1
                                        ; implicit-def: $sgpr10
	s_and_saveexec_b64 s[8:9], s[12:13]
; %bb.2974:
	s_mov_b32 s10, 0x7f800001
	s_xor_b64 s[4:5], exec, -1
; %bb.2975:
	s_or_b64 exec, exec, s[8:9]
	s_and_b64 s[4:5], s[4:5], exec
	s_or_saveexec_b64 s[6:7], s[6:7]
	v_mov_b32_e32 v6, s10
	s_xor_b64 exec, exec, s[6:7]
	s_cbranch_execz .LBB34_926
.LBB34_2976:
	v_mov_b32_e32 v6, 0
	v_cmp_ne_u16_sdwa s[8:9], v2, v6 src0_sel:BYTE_3 src1_sel:DWORD
	s_andn2_b64 s[4:5], s[4:5], exec
	s_and_b64 s[8:9], s[8:9], exec
	s_or_b64 s[4:5], s[4:5], s[8:9]
	s_or_b64 exec, exec, s[6:7]
	s_and_saveexec_b64 s[6:7], s[4:5]
	s_cbranch_execnz .LBB34_927
	s_branch .LBB34_928
.LBB34_2977:
	s_movk_i32 s4, 0x80
	v_cmp_eq_u16_sdwa s[12:13], v7, s4 src0_sel:BYTE_0 src1_sel:DWORD
	s_mov_b64 s[4:5], -1
                                        ; implicit-def: $sgpr10
	s_and_saveexec_b64 s[8:9], s[12:13]
; %bb.2978:
	s_mov_b32 s10, 0x7f800001
	s_xor_b64 s[4:5], exec, -1
; %bb.2979:
	s_or_b64 exec, exec, s[8:9]
	s_and_b64 s[4:5], s[4:5], exec
	s_or_saveexec_b64 s[6:7], s[6:7]
	v_mov_b32_e32 v2, s10
	s_xor_b64 exec, exec, s[6:7]
	s_cbranch_execz .LBB34_930
.LBB34_2980:
	v_mov_b32_e32 v2, 0
	v_cmp_ne_u16_sdwa s[8:9], v7, v2 src0_sel:BYTE_0 src1_sel:DWORD
	s_andn2_b64 s[4:5], s[4:5], exec
	s_and_b64 s[8:9], s[8:9], exec
	s_or_b64 s[4:5], s[4:5], s[8:9]
	s_or_b64 exec, exec, s[6:7]
	s_and_saveexec_b64 s[6:7], s[4:5]
	s_cbranch_execnz .LBB34_931
	s_branch .LBB34_932
.LBB34_2981:
	s_movk_i32 s4, 0x80
	v_cmp_eq_u16_sdwa s[12:13], v3, s4 src0_sel:BYTE_0 src1_sel:DWORD
	s_mov_b64 s[4:5], -1
                                        ; implicit-def: $sgpr10
	s_and_saveexec_b64 s[8:9], s[12:13]
; %bb.2982:
	s_mov_b32 s10, 0x7f800001
	s_xor_b64 s[4:5], exec, -1
; %bb.2983:
	s_or_b64 exec, exec, s[8:9]
	s_and_b64 s[4:5], s[4:5], exec
	s_or_saveexec_b64 s[6:7], s[6:7]
	v_mov_b32_e32 v6, s10
	s_xor_b64 exec, exec, s[6:7]
	s_cbranch_execz .LBB34_934
.LBB34_2984:
	v_mov_b32_e32 v6, 0
	v_cmp_ne_u16_sdwa s[8:9], v3, v6 src0_sel:BYTE_0 src1_sel:DWORD
	s_andn2_b64 s[4:5], s[4:5], exec
	s_and_b64 s[8:9], s[8:9], exec
	s_or_b64 s[4:5], s[4:5], s[8:9]
	s_or_b64 exec, exec, s[6:7]
	s_and_saveexec_b64 s[6:7], s[4:5]
	s_cbranch_execnz .LBB34_935
	s_branch .LBB34_936
.LBB34_2985:
	s_movk_i32 s4, 0x80
	v_cmp_eq_u16_sdwa s[12:13], v6, s4 src0_sel:BYTE_0 src1_sel:DWORD
	s_mov_b64 s[4:5], -1
                                        ; implicit-def: $sgpr10
	s_and_saveexec_b64 s[8:9], s[12:13]
; %bb.2986:
	s_mov_b32 s10, 0x7f800001
	s_xor_b64 s[4:5], exec, -1
; %bb.2987:
	s_or_b64 exec, exec, s[8:9]
	s_and_b64 s[4:5], s[4:5], exec
	s_or_saveexec_b64 s[6:7], s[6:7]
	v_mov_b32_e32 v2, s10
	s_xor_b64 exec, exec, s[6:7]
	s_cbranch_execz .LBB34_938
.LBB34_2988:
	v_mov_b32_e32 v2, 0
	v_cmp_ne_u16_sdwa s[8:9], v6, v2 src0_sel:BYTE_0 src1_sel:DWORD
	s_andn2_b64 s[4:5], s[4:5], exec
	s_and_b64 s[8:9], s[8:9], exec
	s_or_b64 s[4:5], s[4:5], s[8:9]
	s_or_b64 exec, exec, s[6:7]
	s_and_saveexec_b64 s[6:7], s[4:5]
	s_cbranch_execnz .LBB34_939
	s_branch .LBB34_940
.LBB34_2989:
	s_movk_i32 s4, 0x80
	v_cmp_eq_u16_sdwa s[12:13], v6, s4 src0_sel:BYTE_0 src1_sel:DWORD
	s_mov_b64 s[4:5], -1
                                        ; implicit-def: $sgpr10
	s_and_saveexec_b64 s[8:9], s[12:13]
; %bb.2990:
	s_mov_b32 s10, 0x7f800001
	s_xor_b64 s[4:5], exec, -1
; %bb.2991:
	s_or_b64 exec, exec, s[8:9]
	s_and_b64 s[4:5], s[4:5], exec
	s_or_saveexec_b64 s[6:7], s[6:7]
	v_mov_b32_e32 v10, s10
	s_xor_b64 exec, exec, s[6:7]
	s_cbranch_execz .LBB34_942
.LBB34_2992:
	v_mov_b32_e32 v10, 0
	v_cmp_ne_u16_sdwa s[8:9], v6, v10 src0_sel:BYTE_0 src1_sel:DWORD
	s_andn2_b64 s[4:5], s[4:5], exec
	s_and_b64 s[8:9], s[8:9], exec
	s_or_b64 s[4:5], s[4:5], s[8:9]
	s_or_b64 exec, exec, s[6:7]
	s_and_saveexec_b64 s[6:7], s[4:5]
	s_cbranch_execnz .LBB34_943
	s_branch .LBB34_944
.LBB34_2993:
	s_movk_i32 s4, 0x80
	v_cmp_eq_u16_e32 vcc, s4, v6
	s_mov_b64 s[4:5], -1
                                        ; implicit-def: $sgpr10
	s_and_saveexec_b64 s[8:9], vcc
; %bb.2994:
	s_mov_b32 s10, 0x7f800001
	s_xor_b64 s[4:5], exec, -1
; %bb.2995:
	s_or_b64 exec, exec, s[8:9]
	s_and_b64 s[4:5], s[4:5], exec
                                        ; implicit-def: $vgpr6
	s_or_saveexec_b64 s[6:7], s[6:7]
	v_mov_b32_e32 v2, s10
	s_xor_b64 exec, exec, s[6:7]
	s_cbranch_execz .LBB34_946
.LBB34_2996:
	v_cmp_ne_u16_e32 vcc, 0, v6
	s_andn2_b64 s[4:5], s[4:5], exec
	s_and_b64 s[8:9], vcc, exec
	v_mov_b32_e32 v2, 0
	s_or_b64 s[4:5], s[4:5], s[8:9]
	s_or_b64 exec, exec, s[6:7]
	s_and_saveexec_b64 s[6:7], s[4:5]
	s_cbranch_execnz .LBB34_947
	s_branch .LBB34_948
.LBB34_2997:
	s_movk_i32 s4, 0x80
	v_cmp_eq_u16_e32 vcc, s4, v6
	s_mov_b64 s[4:5], -1
                                        ; implicit-def: $sgpr10
	s_and_saveexec_b64 s[8:9], vcc
; %bb.2998:
	s_mov_b32 s10, 0x7f800001
	s_xor_b64 s[4:5], exec, -1
; %bb.2999:
	s_or_b64 exec, exec, s[8:9]
	s_and_b64 s[4:5], s[4:5], exec
                                        ; implicit-def: $vgpr6
	s_or_saveexec_b64 s[6:7], s[6:7]
	v_mov_b32_e32 v10, s10
	s_xor_b64 exec, exec, s[6:7]
	s_cbranch_execz .LBB34_950
.LBB34_3000:
	v_cmp_ne_u16_e32 vcc, 0, v6
	s_andn2_b64 s[4:5], s[4:5], exec
	s_and_b64 s[8:9], vcc, exec
	v_mov_b32_e32 v10, 0
	s_or_b64 s[4:5], s[4:5], s[8:9]
	s_or_b64 exec, exec, s[6:7]
	s_and_saveexec_b64 s[6:7], s[4:5]
	s_cbranch_execnz .LBB34_951
	s_branch .LBB34_952
.LBB34_3001:
	s_movk_i32 s4, 0x80
	v_cmp_eq_u16_sdwa s[12:13], v7, s4 src0_sel:BYTE_3 src1_sel:DWORD
	s_mov_b64 s[4:5], -1
                                        ; implicit-def: $sgpr10
	s_and_saveexec_b64 s[8:9], s[12:13]
; %bb.3002:
	s_mov_b32 s10, 0x7f800001
	s_xor_b64 s[4:5], exec, -1
; %bb.3003:
	s_or_b64 exec, exec, s[8:9]
	s_and_b64 s[4:5], s[4:5], exec
	s_or_saveexec_b64 s[6:7], s[6:7]
	v_mov_b32_e32 v2, s10
	s_xor_b64 exec, exec, s[6:7]
	s_cbranch_execz .LBB34_954
.LBB34_3004:
	v_mov_b32_e32 v2, 0
	v_cmp_ne_u16_sdwa s[8:9], v7, v2 src0_sel:BYTE_3 src1_sel:DWORD
	s_andn2_b64 s[4:5], s[4:5], exec
	s_and_b64 s[8:9], s[8:9], exec
	s_or_b64 s[4:5], s[4:5], s[8:9]
	s_or_b64 exec, exec, s[6:7]
	s_and_saveexec_b64 s[6:7], s[4:5]
	s_cbranch_execnz .LBB34_955
	s_branch .LBB34_956
.LBB34_3005:
	s_movk_i32 s4, 0x80
	v_cmp_eq_u16_sdwa s[12:13], v3, s4 src0_sel:BYTE_3 src1_sel:DWORD
	s_mov_b64 s[4:5], -1
                                        ; implicit-def: $sgpr10
	s_and_saveexec_b64 s[8:9], s[12:13]
; %bb.3006:
	s_mov_b32 s10, 0x7f800001
	s_xor_b64 s[4:5], exec, -1
; %bb.3007:
	s_or_b64 exec, exec, s[8:9]
	s_and_b64 s[4:5], s[4:5], exec
	s_or_saveexec_b64 s[6:7], s[6:7]
	v_mov_b32_e32 v6, s10
	s_xor_b64 exec, exec, s[6:7]
	s_cbranch_execz .LBB34_958
.LBB34_3008:
	v_mov_b32_e32 v6, 0
	v_cmp_ne_u16_sdwa s[8:9], v3, v6 src0_sel:BYTE_3 src1_sel:DWORD
	s_andn2_b64 s[4:5], s[4:5], exec
	s_and_b64 s[8:9], s[8:9], exec
	s_or_b64 s[4:5], s[4:5], s[8:9]
	s_or_b64 exec, exec, s[6:7]
	s_and_saveexec_b64 s[6:7], s[4:5]
	s_cbranch_execnz .LBB34_959
	s_branch .LBB34_960
.LBB34_3009:
	s_movk_i32 s4, 0x80
	v_cmp_eq_u16_sdwa s[12:13], v8, s4 src0_sel:BYTE_0 src1_sel:DWORD
	s_mov_b64 s[4:5], -1
                                        ; implicit-def: $sgpr10
	s_and_saveexec_b64 s[8:9], s[12:13]
; %bb.3010:
	s_mov_b32 s10, 0x7f800001
	s_xor_b64 s[4:5], exec, -1
; %bb.3011:
	s_or_b64 exec, exec, s[8:9]
	s_and_b64 s[4:5], s[4:5], exec
	s_or_saveexec_b64 s[6:7], s[6:7]
	v_mov_b32_e32 v2, s10
	s_xor_b64 exec, exec, s[6:7]
	s_cbranch_execz .LBB34_962
.LBB34_3012:
	v_mov_b32_e32 v2, 0
	v_cmp_ne_u16_sdwa s[8:9], v8, v2 src0_sel:BYTE_0 src1_sel:DWORD
	s_andn2_b64 s[4:5], s[4:5], exec
	s_and_b64 s[8:9], s[8:9], exec
	s_or_b64 s[4:5], s[4:5], s[8:9]
	s_or_b64 exec, exec, s[6:7]
	s_and_saveexec_b64 s[6:7], s[4:5]
	s_cbranch_execnz .LBB34_963
	s_branch .LBB34_964
.LBB34_3013:
	s_movk_i32 s4, 0x80
	v_cmp_eq_u16_sdwa s[12:13], v4, s4 src0_sel:BYTE_0 src1_sel:DWORD
	s_mov_b64 s[4:5], -1
                                        ; implicit-def: $sgpr10
	s_and_saveexec_b64 s[8:9], s[12:13]
; %bb.3014:
	s_mov_b32 s10, 0x7f800001
	s_xor_b64 s[4:5], exec, -1
; %bb.3015:
	s_or_b64 exec, exec, s[8:9]
	s_and_b64 s[4:5], s[4:5], exec
	s_or_saveexec_b64 s[6:7], s[6:7]
	v_mov_b32_e32 v3, s10
	s_xor_b64 exec, exec, s[6:7]
	s_cbranch_execz .LBB34_966
.LBB34_3016:
	v_mov_b32_e32 v3, 0
	v_cmp_ne_u16_sdwa s[8:9], v4, v3 src0_sel:BYTE_0 src1_sel:DWORD
	s_andn2_b64 s[4:5], s[4:5], exec
	s_and_b64 s[8:9], s[8:9], exec
	s_or_b64 s[4:5], s[4:5], s[8:9]
	s_or_b64 exec, exec, s[6:7]
	s_and_saveexec_b64 s[6:7], s[4:5]
	s_cbranch_execnz .LBB34_967
	s_branch .LBB34_968
.LBB34_3017:
	s_movk_i32 s4, 0x80
	v_cmp_eq_u16_sdwa s[12:13], v3, s4 src0_sel:BYTE_0 src1_sel:DWORD
	s_mov_b64 s[4:5], -1
                                        ; implicit-def: $sgpr10
	s_and_saveexec_b64 s[8:9], s[12:13]
; %bb.3018:
	s_mov_b32 s10, 0x7f800001
	s_xor_b64 s[4:5], exec, -1
; %bb.3019:
	s_or_b64 exec, exec, s[8:9]
	s_and_b64 s[4:5], s[4:5], exec
	s_or_saveexec_b64 s[6:7], s[6:7]
	v_mov_b32_e32 v2, s10
	s_xor_b64 exec, exec, s[6:7]
	s_cbranch_execz .LBB34_970
.LBB34_3020:
	v_mov_b32_e32 v2, 0
	v_cmp_ne_u16_sdwa s[8:9], v3, v2 src0_sel:BYTE_0 src1_sel:DWORD
	s_andn2_b64 s[4:5], s[4:5], exec
	s_and_b64 s[8:9], s[8:9], exec
	s_or_b64 s[4:5], s[4:5], s[8:9]
	s_or_b64 exec, exec, s[6:7]
	s_and_saveexec_b64 s[6:7], s[4:5]
	s_cbranch_execnz .LBB34_971
	s_branch .LBB34_972
.LBB34_3021:
	s_movk_i32 s4, 0x80
	v_cmp_eq_u16_sdwa s[12:13], v3, s4 src0_sel:BYTE_0 src1_sel:DWORD
	s_mov_b64 s[4:5], -1
                                        ; implicit-def: $sgpr10
	s_and_saveexec_b64 s[8:9], s[12:13]
; %bb.3022:
	s_mov_b32 s10, 0x7f800001
	s_xor_b64 s[4:5], exec, -1
; %bb.3023:
	s_or_b64 exec, exec, s[8:9]
	s_and_b64 s[4:5], s[4:5], exec
	s_or_saveexec_b64 s[6:7], s[6:7]
	v_mov_b32_e32 v6, s10
	s_xor_b64 exec, exec, s[6:7]
	s_cbranch_execz .LBB34_974
.LBB34_3024:
	v_mov_b32_e32 v6, 0
	v_cmp_ne_u16_sdwa s[8:9], v3, v6 src0_sel:BYTE_0 src1_sel:DWORD
	s_andn2_b64 s[4:5], s[4:5], exec
	s_and_b64 s[8:9], s[8:9], exec
	s_or_b64 s[4:5], s[4:5], s[8:9]
	s_or_b64 exec, exec, s[6:7]
	s_and_saveexec_b64 s[6:7], s[4:5]
	s_cbranch_execnz .LBB34_975
	s_branch .LBB34_976
.LBB34_3025:
	s_movk_i32 s4, 0x80
	v_cmp_eq_u16_e32 vcc, s4, v3
	s_mov_b64 s[4:5], -1
                                        ; implicit-def: $sgpr10
	s_and_saveexec_b64 s[8:9], vcc
; %bb.3026:
	s_mov_b32 s10, 0x7f800001
	s_xor_b64 s[4:5], exec, -1
; %bb.3027:
	s_or_b64 exec, exec, s[8:9]
	s_and_b64 s[4:5], s[4:5], exec
                                        ; implicit-def: $vgpr3
	s_or_saveexec_b64 s[6:7], s[6:7]
	v_mov_b32_e32 v2, s10
	s_xor_b64 exec, exec, s[6:7]
	s_cbranch_execz .LBB34_978
.LBB34_3028:
	v_cmp_ne_u16_e32 vcc, 0, v3
	s_andn2_b64 s[4:5], s[4:5], exec
	s_and_b64 s[8:9], vcc, exec
	v_mov_b32_e32 v2, 0
	s_or_b64 s[4:5], s[4:5], s[8:9]
	s_or_b64 exec, exec, s[6:7]
	s_and_saveexec_b64 s[6:7], s[4:5]
	s_cbranch_execnz .LBB34_979
	s_branch .LBB34_980
.LBB34_3029:
	s_movk_i32 s4, 0x80
	v_cmp_eq_u16_e32 vcc, s4, v3
	s_mov_b64 s[4:5], -1
                                        ; implicit-def: $sgpr10
	s_and_saveexec_b64 s[8:9], vcc
; %bb.3030:
	s_mov_b32 s10, 0x7f800001
	s_xor_b64 s[4:5], exec, -1
; %bb.3031:
	s_or_b64 exec, exec, s[8:9]
	s_and_b64 s[4:5], s[4:5], exec
                                        ; implicit-def: $vgpr3
	s_or_saveexec_b64 s[6:7], s[6:7]
	v_mov_b32_e32 v6, s10
	s_xor_b64 exec, exec, s[6:7]
	s_cbranch_execz .LBB34_982
.LBB34_3032:
	v_cmp_ne_u16_e32 vcc, 0, v3
	s_andn2_b64 s[4:5], s[4:5], exec
	s_and_b64 s[8:9], vcc, exec
	v_mov_b32_e32 v6, 0
	s_or_b64 s[4:5], s[4:5], s[8:9]
	s_or_b64 exec, exec, s[6:7]
	s_and_saveexec_b64 s[6:7], s[4:5]
	s_cbranch_execnz .LBB34_983
	s_branch .LBB34_984
.LBB34_3033:
	s_movk_i32 s4, 0x80
	v_cmp_eq_u16_sdwa s[12:13], v8, s4 src0_sel:BYTE_3 src1_sel:DWORD
	s_mov_b64 s[4:5], -1
                                        ; implicit-def: $sgpr10
	s_and_saveexec_b64 s[8:9], s[12:13]
; %bb.3034:
	s_mov_b32 s10, 0x7f800001
	s_xor_b64 s[4:5], exec, -1
; %bb.3035:
	s_or_b64 exec, exec, s[8:9]
	s_and_b64 s[4:5], s[4:5], exec
	s_or_saveexec_b64 s[6:7], s[6:7]
	v_mov_b32_e32 v2, s10
	s_xor_b64 exec, exec, s[6:7]
	s_cbranch_execz .LBB34_986
.LBB34_3036:
	v_mov_b32_e32 v2, 0
	v_cmp_ne_u16_sdwa s[8:9], v8, v2 src0_sel:BYTE_3 src1_sel:DWORD
	s_andn2_b64 s[4:5], s[4:5], exec
	s_and_b64 s[8:9], s[8:9], exec
	s_or_b64 s[4:5], s[4:5], s[8:9]
	s_or_b64 exec, exec, s[6:7]
	s_and_saveexec_b64 s[6:7], s[4:5]
	s_cbranch_execnz .LBB34_987
	s_branch .LBB34_988
.LBB34_3037:
	s_movk_i32 s4, 0x80
	v_cmp_eq_u16_sdwa s[12:13], v4, s4 src0_sel:BYTE_3 src1_sel:DWORD
	s_mov_b64 s[4:5], -1
                                        ; implicit-def: $sgpr10
	s_and_saveexec_b64 s[8:9], s[12:13]
; %bb.3038:
	s_mov_b32 s10, 0x7f800001
	s_xor_b64 s[4:5], exec, -1
; %bb.3039:
	s_or_b64 exec, exec, s[8:9]
	s_and_b64 s[4:5], s[4:5], exec
	s_or_saveexec_b64 s[6:7], s[6:7]
	v_mov_b32_e32 v3, s10
	s_xor_b64 exec, exec, s[6:7]
	s_cbranch_execz .LBB34_990
.LBB34_3040:
	v_mov_b32_e32 v3, 0
	v_cmp_ne_u16_sdwa s[8:9], v4, v3 src0_sel:BYTE_3 src1_sel:DWORD
	s_andn2_b64 s[4:5], s[4:5], exec
	s_and_b64 s[8:9], s[8:9], exec
	s_or_b64 s[4:5], s[4:5], s[8:9]
	s_or_b64 exec, exec, s[6:7]
	s_and_saveexec_b64 s[6:7], s[4:5]
	s_cbranch_execnz .LBB34_991
	s_branch .LBB34_992
.LBB34_3041:
	s_movk_i32 s4, 0x80
	v_cmp_eq_u16_sdwa s[12:13], v9, s4 src0_sel:BYTE_0 src1_sel:DWORD
	s_mov_b64 s[4:5], -1
                                        ; implicit-def: $sgpr10
	s_and_saveexec_b64 s[8:9], s[12:13]
; %bb.3042:
	s_mov_b32 s10, 0x7f800001
	s_xor_b64 s[4:5], exec, -1
; %bb.3043:
	s_or_b64 exec, exec, s[8:9]
	s_and_b64 s[4:5], s[4:5], exec
	s_or_saveexec_b64 s[6:7], s[6:7]
	v_mov_b32_e32 v2, s10
	s_xor_b64 exec, exec, s[6:7]
	s_cbranch_execz .LBB34_994
.LBB34_3044:
	v_mov_b32_e32 v2, 0
	v_cmp_ne_u16_sdwa s[8:9], v9, v2 src0_sel:BYTE_0 src1_sel:DWORD
	s_andn2_b64 s[4:5], s[4:5], exec
	s_and_b64 s[8:9], s[8:9], exec
	s_or_b64 s[4:5], s[4:5], s[8:9]
	s_or_b64 exec, exec, s[6:7]
	s_and_saveexec_b64 s[6:7], s[4:5]
	s_cbranch_execnz .LBB34_995
	s_branch .LBB34_996
.LBB34_3045:
	s_movk_i32 s4, 0x80
	v_cmp_eq_u16_sdwa s[12:13], v5, s4 src0_sel:BYTE_0 src1_sel:DWORD
	s_mov_b64 s[4:5], -1
                                        ; implicit-def: $sgpr10
	s_and_saveexec_b64 s[8:9], s[12:13]
; %bb.3046:
	s_mov_b32 s10, 0x7f800001
	s_xor_b64 s[4:5], exec, -1
; %bb.3047:
	s_or_b64 exec, exec, s[8:9]
	s_and_b64 s[4:5], s[4:5], exec
	s_or_saveexec_b64 s[6:7], s[6:7]
	v_mov_b32_e32 v3, s10
	s_xor_b64 exec, exec, s[6:7]
	s_cbranch_execz .LBB34_998
.LBB34_3048:
	v_mov_b32_e32 v3, 0
	v_cmp_ne_u16_sdwa s[8:9], v5, v3 src0_sel:BYTE_0 src1_sel:DWORD
	s_andn2_b64 s[4:5], s[4:5], exec
	s_and_b64 s[8:9], s[8:9], exec
	s_or_b64 s[4:5], s[4:5], s[8:9]
	s_or_b64 exec, exec, s[6:7]
	s_and_saveexec_b64 s[6:7], s[4:5]
	s_cbranch_execnz .LBB34_999
	s_branch .LBB34_1000
.LBB34_3049:
	s_movk_i32 s4, 0x80
	v_cmp_eq_u16_sdwa s[12:13], v3, s4 src0_sel:BYTE_0 src1_sel:DWORD
	s_mov_b64 s[4:5], -1
                                        ; implicit-def: $sgpr10
	s_and_saveexec_b64 s[8:9], s[12:13]
; %bb.3050:
	s_mov_b32 s10, 0x7f800001
	s_xor_b64 s[4:5], exec, -1
; %bb.3051:
	s_or_b64 exec, exec, s[8:9]
	s_and_b64 s[4:5], s[4:5], exec
	s_or_saveexec_b64 s[6:7], s[6:7]
	v_mov_b32_e32 v2, s10
	s_xor_b64 exec, exec, s[6:7]
	s_cbranch_execz .LBB34_1002
.LBB34_3052:
	v_mov_b32_e32 v2, 0
	v_cmp_ne_u16_sdwa s[8:9], v3, v2 src0_sel:BYTE_0 src1_sel:DWORD
	s_andn2_b64 s[4:5], s[4:5], exec
	s_and_b64 s[8:9], s[8:9], exec
	s_or_b64 s[4:5], s[4:5], s[8:9]
	s_or_b64 exec, exec, s[6:7]
	s_and_saveexec_b64 s[6:7], s[4:5]
	s_cbranch_execnz .LBB34_1003
	s_branch .LBB34_1004
.LBB34_3053:
	s_movk_i32 s4, 0x80
	v_cmp_eq_u16_sdwa s[12:13], v3, s4 src0_sel:BYTE_0 src1_sel:DWORD
	s_mov_b64 s[4:5], -1
                                        ; implicit-def: $sgpr10
	s_and_saveexec_b64 s[8:9], s[12:13]
; %bb.3054:
	s_mov_b32 s10, 0x7f800001
	s_xor_b64 s[4:5], exec, -1
; %bb.3055:
	s_or_b64 exec, exec, s[8:9]
	s_and_b64 s[4:5], s[4:5], exec
	s_or_saveexec_b64 s[6:7], s[6:7]
	v_mov_b32_e32 v4, s10
	s_xor_b64 exec, exec, s[6:7]
	s_cbranch_execz .LBB34_1006
.LBB34_3056:
	v_mov_b32_e32 v4, 0
	v_cmp_ne_u16_sdwa s[8:9], v3, v4 src0_sel:BYTE_0 src1_sel:DWORD
	s_andn2_b64 s[4:5], s[4:5], exec
	s_and_b64 s[8:9], s[8:9], exec
	s_or_b64 s[4:5], s[4:5], s[8:9]
	s_or_b64 exec, exec, s[6:7]
	s_and_saveexec_b64 s[6:7], s[4:5]
	s_cbranch_execnz .LBB34_1007
	s_branch .LBB34_1008
.LBB34_3057:
	s_movk_i32 s4, 0x80
	v_cmp_eq_u16_e32 vcc, s4, v3
	s_mov_b64 s[4:5], -1
                                        ; implicit-def: $sgpr10
	s_and_saveexec_b64 s[8:9], vcc
; %bb.3058:
	s_mov_b32 s10, 0x7f800001
	s_xor_b64 s[4:5], exec, -1
; %bb.3059:
	s_or_b64 exec, exec, s[8:9]
	s_and_b64 s[4:5], s[4:5], exec
                                        ; implicit-def: $vgpr3
	s_or_saveexec_b64 s[6:7], s[6:7]
	v_mov_b32_e32 v2, s10
	s_xor_b64 exec, exec, s[6:7]
	s_cbranch_execz .LBB34_1010
.LBB34_3060:
	v_cmp_ne_u16_e32 vcc, 0, v3
	s_andn2_b64 s[4:5], s[4:5], exec
	s_and_b64 s[8:9], vcc, exec
	v_mov_b32_e32 v2, 0
	s_or_b64 s[4:5], s[4:5], s[8:9]
	s_or_b64 exec, exec, s[6:7]
	s_and_saveexec_b64 s[6:7], s[4:5]
	s_cbranch_execnz .LBB34_1011
	s_branch .LBB34_1012
.LBB34_3061:
	s_movk_i32 s4, 0x80
	v_cmp_eq_u16_e32 vcc, s4, v3
	s_mov_b64 s[4:5], -1
                                        ; implicit-def: $sgpr10
	s_and_saveexec_b64 s[8:9], vcc
; %bb.3062:
	s_mov_b32 s10, 0x7f800001
	s_xor_b64 s[4:5], exec, -1
; %bb.3063:
	s_or_b64 exec, exec, s[8:9]
	s_and_b64 s[4:5], s[4:5], exec
                                        ; implicit-def: $vgpr3
	s_or_saveexec_b64 s[6:7], s[6:7]
	v_mov_b32_e32 v4, s10
	s_xor_b64 exec, exec, s[6:7]
	s_cbranch_execz .LBB34_1014
.LBB34_3064:
	v_cmp_ne_u16_e32 vcc, 0, v3
	s_andn2_b64 s[4:5], s[4:5], exec
	s_and_b64 s[8:9], vcc, exec
	v_mov_b32_e32 v4, 0
	s_or_b64 s[4:5], s[4:5], s[8:9]
	s_or_b64 exec, exec, s[6:7]
	s_and_saveexec_b64 s[6:7], s[4:5]
	s_cbranch_execnz .LBB34_1015
	s_branch .LBB34_1016
.LBB34_3065:
	s_movk_i32 s4, 0x80
	v_cmp_eq_u16_sdwa s[12:13], v9, s4 src0_sel:BYTE_3 src1_sel:DWORD
	s_mov_b64 s[4:5], -1
                                        ; implicit-def: $sgpr10
	s_and_saveexec_b64 s[8:9], s[12:13]
; %bb.3066:
	s_mov_b32 s10, 0x7f800001
	s_xor_b64 s[4:5], exec, -1
; %bb.3067:
	s_or_b64 exec, exec, s[8:9]
	s_and_b64 s[4:5], s[4:5], exec
	s_or_saveexec_b64 s[6:7], s[6:7]
	v_mov_b32_e32 v2, s10
	s_xor_b64 exec, exec, s[6:7]
	s_cbranch_execz .LBB34_1018
.LBB34_3068:
	v_mov_b32_e32 v2, 0
	v_cmp_ne_u16_sdwa s[8:9], v9, v2 src0_sel:BYTE_3 src1_sel:DWORD
	s_andn2_b64 s[4:5], s[4:5], exec
	s_and_b64 s[8:9], s[8:9], exec
	s_or_b64 s[4:5], s[4:5], s[8:9]
	s_or_b64 exec, exec, s[6:7]
	s_and_saveexec_b64 s[6:7], s[4:5]
	s_cbranch_execnz .LBB34_1019
	s_branch .LBB34_1020
.LBB34_3069:
	s_movk_i32 s4, 0x80
	v_cmp_eq_u16_sdwa s[12:13], v5, s4 src0_sel:BYTE_3 src1_sel:DWORD
	s_mov_b64 s[4:5], -1
                                        ; implicit-def: $sgpr10
	s_and_saveexec_b64 s[8:9], s[12:13]
; %bb.3070:
	s_mov_b32 s10, 0x7f800001
	s_xor_b64 s[4:5], exec, -1
; %bb.3071:
	s_or_b64 exec, exec, s[8:9]
	s_and_b64 s[4:5], s[4:5], exec
	s_or_saveexec_b64 s[6:7], s[6:7]
	v_mov_b32_e32 v3, s10
	s_xor_b64 exec, exec, s[6:7]
	s_cbranch_execz .LBB34_1022
.LBB34_3072:
	v_mov_b32_e32 v3, 0
	v_cmp_ne_u16_sdwa s[8:9], v5, v3 src0_sel:BYTE_3 src1_sel:DWORD
	s_andn2_b64 s[4:5], s[4:5], exec
	s_and_b64 s[8:9], s[8:9], exec
	s_or_b64 s[4:5], s[4:5], s[8:9]
	s_or_b64 exec, exec, s[6:7]
	s_and_saveexec_b64 s[6:7], s[4:5]
	s_cbranch_execnz .LBB34_1023
	s_branch .LBB34_1024
.LBB34_3073:
	s_movk_i32 s4, 0x80
	v_cmp_eq_u16_sdwa s[12:13], v14, s4 src0_sel:BYTE_0 src1_sel:DWORD
	s_mov_b64 s[4:5], -1
                                        ; implicit-def: $sgpr10
	s_and_saveexec_b64 s[8:9], s[12:13]
; %bb.3074:
	s_mov_b32 s10, 0x7f800001
	s_xor_b64 s[4:5], exec, -1
; %bb.3075:
	s_or_b64 exec, exec, s[8:9]
	s_and_b64 s[4:5], s[4:5], exec
	s_or_saveexec_b64 s[6:7], s[6:7]
	v_mov_b32_e32 v20, s10
	s_xor_b64 exec, exec, s[6:7]
	s_cbranch_execz .LBB34_1026
.LBB34_3076:
	v_mov_b32_e32 v20, 0
	v_cmp_ne_u16_sdwa s[8:9], v14, v20 src0_sel:BYTE_0 src1_sel:DWORD
	s_andn2_b64 s[4:5], s[4:5], exec
	s_and_b64 s[8:9], s[8:9], exec
	s_or_b64 s[4:5], s[4:5], s[8:9]
	s_or_b64 exec, exec, s[6:7]
	s_and_saveexec_b64 s[6:7], s[4:5]
	s_cbranch_execnz .LBB34_1027
	s_branch .LBB34_1028
.LBB34_3077:
	s_movk_i32 s4, 0x80
	v_cmp_eq_u16_sdwa s[12:13], v10, s4 src0_sel:BYTE_0 src1_sel:DWORD
	s_mov_b64 s[4:5], -1
                                        ; implicit-def: $sgpr10
	s_and_saveexec_b64 s[8:9], s[12:13]
; %bb.3078:
	s_mov_b32 s10, 0x7f800001
	s_xor_b64 s[4:5], exec, -1
; %bb.3079:
	s_or_b64 exec, exec, s[8:9]
	s_and_b64 s[4:5], s[4:5], exec
	s_or_saveexec_b64 s[6:7], s[6:7]
	v_mov_b32_e32 v21, s10
	s_xor_b64 exec, exec, s[6:7]
	s_cbranch_execz .LBB34_1030
.LBB34_3080:
	v_mov_b32_e32 v21, 0
	v_cmp_ne_u16_sdwa s[8:9], v10, v21 src0_sel:BYTE_0 src1_sel:DWORD
	s_andn2_b64 s[4:5], s[4:5], exec
	s_and_b64 s[8:9], s[8:9], exec
	s_or_b64 s[4:5], s[4:5], s[8:9]
	s_or_b64 exec, exec, s[6:7]
	s_and_saveexec_b64 s[6:7], s[4:5]
	s_cbranch_execnz .LBB34_1031
	s_branch .LBB34_1032
.LBB34_3081:
	s_movk_i32 s4, 0x80
	v_cmp_eq_u16_sdwa s[12:13], v21, s4 src0_sel:BYTE_0 src1_sel:DWORD
	s_mov_b64 s[4:5], -1
                                        ; implicit-def: $sgpr10
	s_and_saveexec_b64 s[8:9], s[12:13]
; %bb.3082:
	s_mov_b32 s10, 0x7f800001
	s_xor_b64 s[4:5], exec, -1
; %bb.3083:
	s_or_b64 exec, exec, s[8:9]
	s_and_b64 s[4:5], s[4:5], exec
	s_or_saveexec_b64 s[6:7], s[6:7]
	v_mov_b32_e32 v20, s10
	s_xor_b64 exec, exec, s[6:7]
	s_cbranch_execz .LBB34_1034
.LBB34_3084:
	v_mov_b32_e32 v20, 0
	v_cmp_ne_u16_sdwa s[8:9], v21, v20 src0_sel:BYTE_0 src1_sel:DWORD
	s_andn2_b64 s[4:5], s[4:5], exec
	s_and_b64 s[8:9], s[8:9], exec
	s_or_b64 s[4:5], s[4:5], s[8:9]
	s_or_b64 exec, exec, s[6:7]
	s_and_saveexec_b64 s[6:7], s[4:5]
	s_cbranch_execnz .LBB34_1035
	s_branch .LBB34_1036
.LBB34_3085:
	s_movk_i32 s4, 0x80
	v_cmp_eq_u16_sdwa s[12:13], v21, s4 src0_sel:BYTE_0 src1_sel:DWORD
	s_mov_b64 s[4:5], -1
                                        ; implicit-def: $sgpr10
	s_and_saveexec_b64 s[8:9], s[12:13]
; %bb.3086:
	s_mov_b32 s10, 0x7f800001
	s_xor_b64 s[4:5], exec, -1
; %bb.3087:
	s_or_b64 exec, exec, s[8:9]
	s_and_b64 s[4:5], s[4:5], exec
	s_or_saveexec_b64 s[6:7], s[6:7]
	v_mov_b32_e32 v22, s10
	s_xor_b64 exec, exec, s[6:7]
	s_cbranch_execz .LBB34_1038
.LBB34_3088:
	v_mov_b32_e32 v22, 0
	v_cmp_ne_u16_sdwa s[8:9], v21, v22 src0_sel:BYTE_0 src1_sel:DWORD
	s_andn2_b64 s[4:5], s[4:5], exec
	s_and_b64 s[8:9], s[8:9], exec
	s_or_b64 s[4:5], s[4:5], s[8:9]
	s_or_b64 exec, exec, s[6:7]
	s_and_saveexec_b64 s[6:7], s[4:5]
	s_cbranch_execnz .LBB34_1039
	s_branch .LBB34_1040
.LBB34_3089:
	s_movk_i32 s4, 0x80
	v_cmp_eq_u16_e32 vcc, s4, v21
	s_mov_b64 s[4:5], -1
                                        ; implicit-def: $sgpr10
	s_and_saveexec_b64 s[8:9], vcc
; %bb.3090:
	s_mov_b32 s10, 0x7f800001
	s_xor_b64 s[4:5], exec, -1
; %bb.3091:
	s_or_b64 exec, exec, s[8:9]
	s_and_b64 s[4:5], s[4:5], exec
                                        ; implicit-def: $vgpr21
	s_or_saveexec_b64 s[6:7], s[6:7]
	v_mov_b32_e32 v20, s10
	s_xor_b64 exec, exec, s[6:7]
	s_cbranch_execz .LBB34_1042
.LBB34_3092:
	v_cmp_ne_u16_e32 vcc, 0, v21
	s_andn2_b64 s[4:5], s[4:5], exec
	s_and_b64 s[8:9], vcc, exec
	v_mov_b32_e32 v20, 0
	s_or_b64 s[4:5], s[4:5], s[8:9]
	s_or_b64 exec, exec, s[6:7]
	s_and_saveexec_b64 s[6:7], s[4:5]
	s_cbranch_execnz .LBB34_1043
	s_branch .LBB34_1044
.LBB34_3093:
	s_movk_i32 s4, 0x80
	v_cmp_eq_u16_e32 vcc, s4, v21
	s_mov_b64 s[4:5], -1
                                        ; implicit-def: $sgpr10
	s_and_saveexec_b64 s[8:9], vcc
; %bb.3094:
	s_mov_b32 s10, 0x7f800001
	s_xor_b64 s[4:5], exec, -1
; %bb.3095:
	s_or_b64 exec, exec, s[8:9]
	s_and_b64 s[4:5], s[4:5], exec
                                        ; implicit-def: $vgpr21
	s_or_saveexec_b64 s[6:7], s[6:7]
	v_mov_b32_e32 v22, s10
	s_xor_b64 exec, exec, s[6:7]
	s_cbranch_execz .LBB34_1046
.LBB34_3096:
	v_cmp_ne_u16_e32 vcc, 0, v21
	s_andn2_b64 s[4:5], s[4:5], exec
	s_and_b64 s[8:9], vcc, exec
	v_mov_b32_e32 v22, 0
	s_or_b64 s[4:5], s[4:5], s[8:9]
	s_or_b64 exec, exec, s[6:7]
	s_and_saveexec_b64 s[6:7], s[4:5]
	s_cbranch_execnz .LBB34_1047
	s_branch .LBB34_1048
.LBB34_3097:
	s_movk_i32 s4, 0x80
	v_cmp_eq_u16_sdwa s[12:13], v14, s4 src0_sel:BYTE_3 src1_sel:DWORD
	s_mov_b64 s[4:5], -1
                                        ; implicit-def: $sgpr10
	s_and_saveexec_b64 s[8:9], s[12:13]
; %bb.3098:
	s_mov_b32 s10, 0x7f800001
	s_xor_b64 s[4:5], exec, -1
; %bb.3099:
	s_or_b64 exec, exec, s[8:9]
	s_and_b64 s[4:5], s[4:5], exec
	s_or_saveexec_b64 s[6:7], s[6:7]
	v_mov_b32_e32 v20, s10
	s_xor_b64 exec, exec, s[6:7]
	s_cbranch_execz .LBB34_1050
.LBB34_3100:
	v_mov_b32_e32 v20, 0
	v_cmp_ne_u16_sdwa s[8:9], v14, v20 src0_sel:BYTE_3 src1_sel:DWORD
	s_andn2_b64 s[4:5], s[4:5], exec
	s_and_b64 s[8:9], s[8:9], exec
	s_or_b64 s[4:5], s[4:5], s[8:9]
	s_or_b64 exec, exec, s[6:7]
	s_and_saveexec_b64 s[6:7], s[4:5]
	s_cbranch_execnz .LBB34_1051
	s_branch .LBB34_1052
.LBB34_3101:
	s_movk_i32 s4, 0x80
	v_cmp_eq_u16_sdwa s[12:13], v10, s4 src0_sel:BYTE_3 src1_sel:DWORD
	s_mov_b64 s[4:5], -1
                                        ; implicit-def: $sgpr10
	s_and_saveexec_b64 s[8:9], s[12:13]
; %bb.3102:
	s_mov_b32 s10, 0x7f800001
	s_xor_b64 s[4:5], exec, -1
; %bb.3103:
	s_or_b64 exec, exec, s[8:9]
	s_and_b64 s[4:5], s[4:5], exec
	s_or_saveexec_b64 s[6:7], s[6:7]
	v_mov_b32_e32 v14, s10
	s_xor_b64 exec, exec, s[6:7]
	s_cbranch_execz .LBB34_1054
.LBB34_3104:
	v_mov_b32_e32 v14, 0
	v_cmp_ne_u16_sdwa s[8:9], v10, v14 src0_sel:BYTE_3 src1_sel:DWORD
	s_andn2_b64 s[4:5], s[4:5], exec
	s_and_b64 s[8:9], s[8:9], exec
	s_or_b64 s[4:5], s[4:5], s[8:9]
	s_or_b64 exec, exec, s[6:7]
	s_and_saveexec_b64 s[6:7], s[4:5]
	s_cbranch_execnz .LBB34_1055
	s_branch .LBB34_1056
.LBB34_3105:
	s_movk_i32 s4, 0x80
	v_cmp_eq_u16_sdwa s[12:13], v15, s4 src0_sel:BYTE_0 src1_sel:DWORD
	s_mov_b64 s[4:5], -1
                                        ; implicit-def: $sgpr10
	s_and_saveexec_b64 s[8:9], s[12:13]
; %bb.3106:
	s_mov_b32 s10, 0x7f800001
	s_xor_b64 s[4:5], exec, -1
; %bb.3107:
	s_or_b64 exec, exec, s[8:9]
	s_and_b64 s[4:5], s[4:5], exec
	s_or_saveexec_b64 s[6:7], s[6:7]
	v_mov_b32_e32 v10, s10
	s_xor_b64 exec, exec, s[6:7]
	s_cbranch_execz .LBB34_1058
.LBB34_3108:
	v_mov_b32_e32 v10, 0
	v_cmp_ne_u16_sdwa s[8:9], v15, v10 src0_sel:BYTE_0 src1_sel:DWORD
	s_andn2_b64 s[4:5], s[4:5], exec
	s_and_b64 s[8:9], s[8:9], exec
	s_or_b64 s[4:5], s[4:5], s[8:9]
	s_or_b64 exec, exec, s[6:7]
	s_and_saveexec_b64 s[6:7], s[4:5]
	s_cbranch_execnz .LBB34_1059
	s_branch .LBB34_1060
.LBB34_3109:
	s_movk_i32 s4, 0x80
	v_cmp_eq_u16_sdwa s[12:13], v11, s4 src0_sel:BYTE_0 src1_sel:DWORD
	s_mov_b64 s[4:5], -1
                                        ; implicit-def: $sgpr10
	s_and_saveexec_b64 s[8:9], s[12:13]
; %bb.3110:
	s_mov_b32 s10, 0x7f800001
	s_xor_b64 s[4:5], exec, -1
; %bb.3111:
	s_or_b64 exec, exec, s[8:9]
	s_and_b64 s[4:5], s[4:5], exec
	s_or_saveexec_b64 s[6:7], s[6:7]
	v_mov_b32_e32 v14, s10
	s_xor_b64 exec, exec, s[6:7]
	s_cbranch_execz .LBB34_1062
.LBB34_3112:
	v_mov_b32_e32 v14, 0
	v_cmp_ne_u16_sdwa s[8:9], v11, v14 src0_sel:BYTE_0 src1_sel:DWORD
	s_andn2_b64 s[4:5], s[4:5], exec
	s_and_b64 s[8:9], s[8:9], exec
	s_or_b64 s[4:5], s[4:5], s[8:9]
	s_or_b64 exec, exec, s[6:7]
	s_and_saveexec_b64 s[6:7], s[4:5]
	s_cbranch_execnz .LBB34_1063
	s_branch .LBB34_1064
.LBB34_3113:
	s_movk_i32 s4, 0x80
	v_cmp_eq_u16_sdwa s[12:13], v14, s4 src0_sel:BYTE_0 src1_sel:DWORD
	s_mov_b64 s[4:5], -1
                                        ; implicit-def: $sgpr10
	s_and_saveexec_b64 s[8:9], s[12:13]
; %bb.3114:
	s_mov_b32 s10, 0x7f800001
	s_xor_b64 s[4:5], exec, -1
; %bb.3115:
	s_or_b64 exec, exec, s[8:9]
	s_and_b64 s[4:5], s[4:5], exec
	s_or_saveexec_b64 s[6:7], s[6:7]
	v_mov_b32_e32 v10, s10
	s_xor_b64 exec, exec, s[6:7]
	s_cbranch_execz .LBB34_1066
.LBB34_3116:
	v_mov_b32_e32 v10, 0
	v_cmp_ne_u16_sdwa s[8:9], v14, v10 src0_sel:BYTE_0 src1_sel:DWORD
	s_andn2_b64 s[4:5], s[4:5], exec
	s_and_b64 s[8:9], s[8:9], exec
	s_or_b64 s[4:5], s[4:5], s[8:9]
	s_or_b64 exec, exec, s[6:7]
	s_and_saveexec_b64 s[6:7], s[4:5]
	s_cbranch_execnz .LBB34_1067
	s_branch .LBB34_1068
.LBB34_3117:
	s_movk_i32 s4, 0x80
	v_cmp_eq_u16_sdwa s[12:13], v14, s4 src0_sel:BYTE_0 src1_sel:DWORD
	s_mov_b64 s[4:5], -1
                                        ; implicit-def: $sgpr10
	s_and_saveexec_b64 s[8:9], s[12:13]
; %bb.3118:
	s_mov_b32 s10, 0x7f800001
	s_xor_b64 s[4:5], exec, -1
; %bb.3119:
	s_or_b64 exec, exec, s[8:9]
	s_and_b64 s[4:5], s[4:5], exec
	s_or_saveexec_b64 s[6:7], s[6:7]
	v_mov_b32_e32 v20, s10
	s_xor_b64 exec, exec, s[6:7]
	s_cbranch_execz .LBB34_1070
.LBB34_3120:
	v_mov_b32_e32 v20, 0
	v_cmp_ne_u16_sdwa s[8:9], v14, v20 src0_sel:BYTE_0 src1_sel:DWORD
	s_andn2_b64 s[4:5], s[4:5], exec
	s_and_b64 s[8:9], s[8:9], exec
	s_or_b64 s[4:5], s[4:5], s[8:9]
	s_or_b64 exec, exec, s[6:7]
	s_and_saveexec_b64 s[6:7], s[4:5]
	s_cbranch_execnz .LBB34_1071
	s_branch .LBB34_1072
.LBB34_3121:
	s_movk_i32 s4, 0x80
	v_cmp_eq_u16_e32 vcc, s4, v14
	s_mov_b64 s[4:5], -1
                                        ; implicit-def: $sgpr10
	s_and_saveexec_b64 s[8:9], vcc
; %bb.3122:
	s_mov_b32 s10, 0x7f800001
	s_xor_b64 s[4:5], exec, -1
; %bb.3123:
	s_or_b64 exec, exec, s[8:9]
	s_and_b64 s[4:5], s[4:5], exec
                                        ; implicit-def: $vgpr14
	s_or_saveexec_b64 s[6:7], s[6:7]
	v_mov_b32_e32 v10, s10
	s_xor_b64 exec, exec, s[6:7]
	s_cbranch_execz .LBB34_1074
.LBB34_3124:
	v_cmp_ne_u16_e32 vcc, 0, v14
	s_andn2_b64 s[4:5], s[4:5], exec
	s_and_b64 s[8:9], vcc, exec
	v_mov_b32_e32 v10, 0
	s_or_b64 s[4:5], s[4:5], s[8:9]
	s_or_b64 exec, exec, s[6:7]
	s_and_saveexec_b64 s[6:7], s[4:5]
	s_cbranch_execnz .LBB34_1075
	s_branch .LBB34_1076
.LBB34_3125:
	s_movk_i32 s4, 0x80
	v_cmp_eq_u16_e32 vcc, s4, v14
	s_mov_b64 s[4:5], -1
                                        ; implicit-def: $sgpr10
	s_and_saveexec_b64 s[8:9], vcc
; %bb.3126:
	s_mov_b32 s10, 0x7f800001
	s_xor_b64 s[4:5], exec, -1
; %bb.3127:
	s_or_b64 exec, exec, s[8:9]
	s_and_b64 s[4:5], s[4:5], exec
                                        ; implicit-def: $vgpr14
	s_or_saveexec_b64 s[6:7], s[6:7]
	v_mov_b32_e32 v20, s10
	s_xor_b64 exec, exec, s[6:7]
	s_cbranch_execz .LBB34_1078
.LBB34_3128:
	v_cmp_ne_u16_e32 vcc, 0, v14
	s_andn2_b64 s[4:5], s[4:5], exec
	s_and_b64 s[8:9], vcc, exec
	v_mov_b32_e32 v20, 0
	s_or_b64 s[4:5], s[4:5], s[8:9]
	s_or_b64 exec, exec, s[6:7]
	s_and_saveexec_b64 s[6:7], s[4:5]
	s_cbranch_execnz .LBB34_1079
	s_branch .LBB34_1080
.LBB34_3129:
	s_movk_i32 s4, 0x80
	v_cmp_eq_u16_sdwa s[12:13], v15, s4 src0_sel:BYTE_3 src1_sel:DWORD
	s_mov_b64 s[4:5], -1
                                        ; implicit-def: $sgpr10
	s_and_saveexec_b64 s[8:9], s[12:13]
; %bb.3130:
	s_mov_b32 s10, 0x7f800001
	s_xor_b64 s[4:5], exec, -1
; %bb.3131:
	s_or_b64 exec, exec, s[8:9]
	s_and_b64 s[4:5], s[4:5], exec
	s_or_saveexec_b64 s[6:7], s[6:7]
	v_mov_b32_e32 v10, s10
	s_xor_b64 exec, exec, s[6:7]
	s_cbranch_execz .LBB34_1082
.LBB34_3132:
	v_mov_b32_e32 v10, 0
	v_cmp_ne_u16_sdwa s[8:9], v15, v10 src0_sel:BYTE_3 src1_sel:DWORD
	s_andn2_b64 s[4:5], s[4:5], exec
	s_and_b64 s[8:9], s[8:9], exec
	s_or_b64 s[4:5], s[4:5], s[8:9]
	s_or_b64 exec, exec, s[6:7]
	s_and_saveexec_b64 s[6:7], s[4:5]
	s_cbranch_execnz .LBB34_1083
	s_branch .LBB34_1084
.LBB34_3133:
	s_movk_i32 s4, 0x80
	v_cmp_eq_u16_sdwa s[12:13], v11, s4 src0_sel:BYTE_3 src1_sel:DWORD
	s_mov_b64 s[4:5], -1
                                        ; implicit-def: $sgpr10
	s_and_saveexec_b64 s[8:9], s[12:13]
; %bb.3134:
	s_mov_b32 s10, 0x7f800001
	s_xor_b64 s[4:5], exec, -1
; %bb.3135:
	s_or_b64 exec, exec, s[8:9]
	s_and_b64 s[4:5], s[4:5], exec
	s_or_saveexec_b64 s[6:7], s[6:7]
	v_mov_b32_e32 v14, s10
	s_xor_b64 exec, exec, s[6:7]
	s_cbranch_execz .LBB34_1086
.LBB34_3136:
	v_mov_b32_e32 v14, 0
	v_cmp_ne_u16_sdwa s[8:9], v11, v14 src0_sel:BYTE_3 src1_sel:DWORD
	s_andn2_b64 s[4:5], s[4:5], exec
	s_and_b64 s[8:9], s[8:9], exec
	s_or_b64 s[4:5], s[4:5], s[8:9]
	s_or_b64 exec, exec, s[6:7]
	s_and_saveexec_b64 s[6:7], s[4:5]
	s_cbranch_execnz .LBB34_1087
	s_branch .LBB34_1088
.LBB34_3137:
	s_movk_i32 s4, 0x80
	v_cmp_eq_u16_sdwa s[12:13], v16, s4 src0_sel:BYTE_0 src1_sel:DWORD
	s_mov_b64 s[4:5], -1
                                        ; implicit-def: $sgpr10
	s_and_saveexec_b64 s[8:9], s[12:13]
; %bb.3138:
	s_mov_b32 s10, 0x7f800001
	s_xor_b64 s[4:5], exec, -1
; %bb.3139:
	s_or_b64 exec, exec, s[8:9]
	s_and_b64 s[4:5], s[4:5], exec
	s_or_saveexec_b64 s[6:7], s[6:7]
	v_mov_b32_e32 v10, s10
	s_xor_b64 exec, exec, s[6:7]
	s_cbranch_execz .LBB34_1090
.LBB34_3140:
	v_mov_b32_e32 v10, 0
	v_cmp_ne_u16_sdwa s[8:9], v16, v10 src0_sel:BYTE_0 src1_sel:DWORD
	s_andn2_b64 s[4:5], s[4:5], exec
	s_and_b64 s[8:9], s[8:9], exec
	s_or_b64 s[4:5], s[4:5], s[8:9]
	s_or_b64 exec, exec, s[6:7]
	s_and_saveexec_b64 s[6:7], s[4:5]
	s_cbranch_execnz .LBB34_1091
	s_branch .LBB34_1092
.LBB34_3141:
	s_movk_i32 s4, 0x80
	v_cmp_eq_u16_sdwa s[12:13], v12, s4 src0_sel:BYTE_0 src1_sel:DWORD
	s_mov_b64 s[4:5], -1
                                        ; implicit-def: $sgpr10
	s_and_saveexec_b64 s[8:9], s[12:13]
; %bb.3142:
	s_mov_b32 s10, 0x7f800001
	s_xor_b64 s[4:5], exec, -1
; %bb.3143:
	s_or_b64 exec, exec, s[8:9]
	s_and_b64 s[4:5], s[4:5], exec
	s_or_saveexec_b64 s[6:7], s[6:7]
	v_mov_b32_e32 v11, s10
	s_xor_b64 exec, exec, s[6:7]
	s_cbranch_execz .LBB34_1094
.LBB34_3144:
	v_mov_b32_e32 v11, 0
	v_cmp_ne_u16_sdwa s[8:9], v12, v11 src0_sel:BYTE_0 src1_sel:DWORD
	s_andn2_b64 s[4:5], s[4:5], exec
	s_and_b64 s[8:9], s[8:9], exec
	s_or_b64 s[4:5], s[4:5], s[8:9]
	s_or_b64 exec, exec, s[6:7]
	s_and_saveexec_b64 s[6:7], s[4:5]
	s_cbranch_execnz .LBB34_1095
	s_branch .LBB34_1096
.LBB34_3145:
	s_movk_i32 s4, 0x80
	v_cmp_eq_u16_sdwa s[12:13], v11, s4 src0_sel:BYTE_0 src1_sel:DWORD
	s_mov_b64 s[4:5], -1
                                        ; implicit-def: $sgpr10
	s_and_saveexec_b64 s[8:9], s[12:13]
; %bb.3146:
	s_mov_b32 s10, 0x7f800001
	s_xor_b64 s[4:5], exec, -1
; %bb.3147:
	s_or_b64 exec, exec, s[8:9]
	s_and_b64 s[4:5], s[4:5], exec
	s_or_saveexec_b64 s[6:7], s[6:7]
	v_mov_b32_e32 v10, s10
	s_xor_b64 exec, exec, s[6:7]
	s_cbranch_execz .LBB34_1098
.LBB34_3148:
	v_mov_b32_e32 v10, 0
	v_cmp_ne_u16_sdwa s[8:9], v11, v10 src0_sel:BYTE_0 src1_sel:DWORD
	s_andn2_b64 s[4:5], s[4:5], exec
	s_and_b64 s[8:9], s[8:9], exec
	s_or_b64 s[4:5], s[4:5], s[8:9]
	s_or_b64 exec, exec, s[6:7]
	s_and_saveexec_b64 s[6:7], s[4:5]
	s_cbranch_execnz .LBB34_1099
	s_branch .LBB34_1100
.LBB34_3149:
	s_movk_i32 s4, 0x80
	v_cmp_eq_u16_sdwa s[12:13], v11, s4 src0_sel:BYTE_0 src1_sel:DWORD
	s_mov_b64 s[4:5], -1
                                        ; implicit-def: $sgpr10
	s_and_saveexec_b64 s[8:9], s[12:13]
; %bb.3150:
	s_mov_b32 s10, 0x7f800001
	s_xor_b64 s[4:5], exec, -1
; %bb.3151:
	s_or_b64 exec, exec, s[8:9]
	s_and_b64 s[4:5], s[4:5], exec
	s_or_saveexec_b64 s[6:7], s[6:7]
	v_mov_b32_e32 v14, s10
	s_xor_b64 exec, exec, s[6:7]
	s_cbranch_execz .LBB34_1102
.LBB34_3152:
	v_mov_b32_e32 v14, 0
	v_cmp_ne_u16_sdwa s[8:9], v11, v14 src0_sel:BYTE_0 src1_sel:DWORD
	s_andn2_b64 s[4:5], s[4:5], exec
	s_and_b64 s[8:9], s[8:9], exec
	s_or_b64 s[4:5], s[4:5], s[8:9]
	s_or_b64 exec, exec, s[6:7]
	s_and_saveexec_b64 s[6:7], s[4:5]
	s_cbranch_execnz .LBB34_1103
	s_branch .LBB34_1104
.LBB34_3153:
	s_movk_i32 s4, 0x80
	v_cmp_eq_u16_e32 vcc, s4, v11
	s_mov_b64 s[4:5], -1
                                        ; implicit-def: $sgpr10
	s_and_saveexec_b64 s[8:9], vcc
; %bb.3154:
	s_mov_b32 s10, 0x7f800001
	s_xor_b64 s[4:5], exec, -1
; %bb.3155:
	s_or_b64 exec, exec, s[8:9]
	s_and_b64 s[4:5], s[4:5], exec
                                        ; implicit-def: $vgpr11
	s_or_saveexec_b64 s[6:7], s[6:7]
	v_mov_b32_e32 v10, s10
	s_xor_b64 exec, exec, s[6:7]
	s_cbranch_execz .LBB34_1106
.LBB34_3156:
	v_cmp_ne_u16_e32 vcc, 0, v11
	s_andn2_b64 s[4:5], s[4:5], exec
	s_and_b64 s[8:9], vcc, exec
	v_mov_b32_e32 v10, 0
	s_or_b64 s[4:5], s[4:5], s[8:9]
	s_or_b64 exec, exec, s[6:7]
	s_and_saveexec_b64 s[6:7], s[4:5]
	s_cbranch_execnz .LBB34_1107
	s_branch .LBB34_1108
.LBB34_3157:
	s_movk_i32 s4, 0x80
	v_cmp_eq_u16_e32 vcc, s4, v11
	s_mov_b64 s[4:5], -1
                                        ; implicit-def: $sgpr10
	s_and_saveexec_b64 s[8:9], vcc
; %bb.3158:
	s_mov_b32 s10, 0x7f800001
	s_xor_b64 s[4:5], exec, -1
; %bb.3159:
	s_or_b64 exec, exec, s[8:9]
	s_and_b64 s[4:5], s[4:5], exec
                                        ; implicit-def: $vgpr11
	s_or_saveexec_b64 s[6:7], s[6:7]
	v_mov_b32_e32 v14, s10
	s_xor_b64 exec, exec, s[6:7]
	s_cbranch_execz .LBB34_1110
.LBB34_3160:
	v_cmp_ne_u16_e32 vcc, 0, v11
	s_andn2_b64 s[4:5], s[4:5], exec
	s_and_b64 s[8:9], vcc, exec
	v_mov_b32_e32 v14, 0
	s_or_b64 s[4:5], s[4:5], s[8:9]
	s_or_b64 exec, exec, s[6:7]
	s_and_saveexec_b64 s[6:7], s[4:5]
	s_cbranch_execnz .LBB34_1111
	s_branch .LBB34_1112
.LBB34_3161:
	s_movk_i32 s4, 0x80
	v_cmp_eq_u16_sdwa s[12:13], v16, s4 src0_sel:BYTE_3 src1_sel:DWORD
	s_mov_b64 s[4:5], -1
                                        ; implicit-def: $sgpr10
	s_and_saveexec_b64 s[8:9], s[12:13]
; %bb.3162:
	s_mov_b32 s10, 0x7f800001
	s_xor_b64 s[4:5], exec, -1
; %bb.3163:
	s_or_b64 exec, exec, s[8:9]
	s_and_b64 s[4:5], s[4:5], exec
	s_or_saveexec_b64 s[6:7], s[6:7]
	v_mov_b32_e32 v10, s10
	s_xor_b64 exec, exec, s[6:7]
	s_cbranch_execz .LBB34_1114
.LBB34_3164:
	v_mov_b32_e32 v10, 0
	v_cmp_ne_u16_sdwa s[8:9], v16, v10 src0_sel:BYTE_3 src1_sel:DWORD
	s_andn2_b64 s[4:5], s[4:5], exec
	s_and_b64 s[8:9], s[8:9], exec
	s_or_b64 s[4:5], s[4:5], s[8:9]
	s_or_b64 exec, exec, s[6:7]
	s_and_saveexec_b64 s[6:7], s[4:5]
	s_cbranch_execnz .LBB34_1115
	s_branch .LBB34_1116
.LBB34_3165:
	s_movk_i32 s4, 0x80
	v_cmp_eq_u16_sdwa s[12:13], v12, s4 src0_sel:BYTE_3 src1_sel:DWORD
	s_mov_b64 s[4:5], -1
                                        ; implicit-def: $sgpr10
	s_and_saveexec_b64 s[8:9], s[12:13]
; %bb.3166:
	s_mov_b32 s10, 0x7f800001
	s_xor_b64 s[4:5], exec, -1
; %bb.3167:
	s_or_b64 exec, exec, s[8:9]
	s_and_b64 s[4:5], s[4:5], exec
	s_or_saveexec_b64 s[6:7], s[6:7]
	v_mov_b32_e32 v11, s10
	s_xor_b64 exec, exec, s[6:7]
	s_cbranch_execz .LBB34_1118
.LBB34_3168:
	v_mov_b32_e32 v11, 0
	v_cmp_ne_u16_sdwa s[8:9], v12, v11 src0_sel:BYTE_3 src1_sel:DWORD
	s_andn2_b64 s[4:5], s[4:5], exec
	s_and_b64 s[8:9], s[8:9], exec
	s_or_b64 s[4:5], s[4:5], s[8:9]
	s_or_b64 exec, exec, s[6:7]
	s_and_saveexec_b64 s[6:7], s[4:5]
	s_cbranch_execnz .LBB34_1119
	s_branch .LBB34_1120
.LBB34_3169:
	s_movk_i32 s4, 0x80
	v_cmp_eq_u16_sdwa s[12:13], v17, s4 src0_sel:BYTE_0 src1_sel:DWORD
	s_mov_b64 s[4:5], -1
                                        ; implicit-def: $sgpr10
	s_and_saveexec_b64 s[8:9], s[12:13]
; %bb.3170:
	s_mov_b32 s10, 0x7f800001
	s_xor_b64 s[4:5], exec, -1
; %bb.3171:
	s_or_b64 exec, exec, s[8:9]
	s_and_b64 s[4:5], s[4:5], exec
	s_or_saveexec_b64 s[6:7], s[6:7]
	v_mov_b32_e32 v10, s10
	s_xor_b64 exec, exec, s[6:7]
	s_cbranch_execz .LBB34_1122
.LBB34_3172:
	v_mov_b32_e32 v10, 0
	v_cmp_ne_u16_sdwa s[8:9], v17, v10 src0_sel:BYTE_0 src1_sel:DWORD
	s_andn2_b64 s[4:5], s[4:5], exec
	s_and_b64 s[8:9], s[8:9], exec
	s_or_b64 s[4:5], s[4:5], s[8:9]
	s_or_b64 exec, exec, s[6:7]
	s_and_saveexec_b64 s[6:7], s[4:5]
	s_cbranch_execnz .LBB34_1123
	s_branch .LBB34_1124
.LBB34_3173:
	s_movk_i32 s4, 0x80
	v_cmp_eq_u16_sdwa s[12:13], v13, s4 src0_sel:BYTE_0 src1_sel:DWORD
	s_mov_b64 s[4:5], -1
                                        ; implicit-def: $sgpr10
	s_and_saveexec_b64 s[8:9], s[12:13]
; %bb.3174:
	s_mov_b32 s10, 0x7f800001
	s_xor_b64 s[4:5], exec, -1
; %bb.3175:
	s_or_b64 exec, exec, s[8:9]
	s_and_b64 s[4:5], s[4:5], exec
	s_or_saveexec_b64 s[6:7], s[6:7]
	v_mov_b32_e32 v11, s10
	s_xor_b64 exec, exec, s[6:7]
	s_cbranch_execz .LBB34_1126
.LBB34_3176:
	v_mov_b32_e32 v11, 0
	v_cmp_ne_u16_sdwa s[8:9], v13, v11 src0_sel:BYTE_0 src1_sel:DWORD
	s_andn2_b64 s[4:5], s[4:5], exec
	s_and_b64 s[8:9], s[8:9], exec
	s_or_b64 s[4:5], s[4:5], s[8:9]
	s_or_b64 exec, exec, s[6:7]
	s_and_saveexec_b64 s[6:7], s[4:5]
	s_cbranch_execnz .LBB34_1127
	s_branch .LBB34_1128
.LBB34_3177:
	s_movk_i32 s4, 0x80
	v_cmp_eq_u16_sdwa s[12:13], v11, s4 src0_sel:BYTE_0 src1_sel:DWORD
	s_mov_b64 s[4:5], -1
                                        ; implicit-def: $sgpr10
	s_and_saveexec_b64 s[8:9], s[12:13]
; %bb.3178:
	s_mov_b32 s10, 0x7f800001
	s_xor_b64 s[4:5], exec, -1
; %bb.3179:
	s_or_b64 exec, exec, s[8:9]
	s_and_b64 s[4:5], s[4:5], exec
	s_or_saveexec_b64 s[6:7], s[6:7]
	v_mov_b32_e32 v10, s10
	s_xor_b64 exec, exec, s[6:7]
	s_cbranch_execz .LBB34_1130
.LBB34_3180:
	v_mov_b32_e32 v10, 0
	v_cmp_ne_u16_sdwa s[8:9], v11, v10 src0_sel:BYTE_0 src1_sel:DWORD
	s_andn2_b64 s[4:5], s[4:5], exec
	s_and_b64 s[8:9], s[8:9], exec
	s_or_b64 s[4:5], s[4:5], s[8:9]
	s_or_b64 exec, exec, s[6:7]
	s_and_saveexec_b64 s[6:7], s[4:5]
	s_cbranch_execnz .LBB34_1131
	s_branch .LBB34_1132
.LBB34_3181:
	s_movk_i32 s4, 0x80
	v_cmp_eq_u16_sdwa s[12:13], v11, s4 src0_sel:BYTE_0 src1_sel:DWORD
	s_mov_b64 s[4:5], -1
                                        ; implicit-def: $sgpr10
	s_and_saveexec_b64 s[8:9], s[12:13]
; %bb.3182:
	s_mov_b32 s10, 0x7f800001
	s_xor_b64 s[4:5], exec, -1
; %bb.3183:
	s_or_b64 exec, exec, s[8:9]
	s_and_b64 s[4:5], s[4:5], exec
	s_or_saveexec_b64 s[6:7], s[6:7]
	v_mov_b32_e32 v12, s10
	s_xor_b64 exec, exec, s[6:7]
	s_cbranch_execz .LBB34_1134
.LBB34_3184:
	v_mov_b32_e32 v12, 0
	v_cmp_ne_u16_sdwa s[8:9], v11, v12 src0_sel:BYTE_0 src1_sel:DWORD
	s_andn2_b64 s[4:5], s[4:5], exec
	s_and_b64 s[8:9], s[8:9], exec
	s_or_b64 s[4:5], s[4:5], s[8:9]
	s_or_b64 exec, exec, s[6:7]
	s_and_saveexec_b64 s[6:7], s[4:5]
	s_cbranch_execnz .LBB34_1135
	s_branch .LBB34_1136
.LBB34_3185:
	s_movk_i32 s4, 0x80
	v_cmp_eq_u16_e32 vcc, s4, v11
	s_mov_b64 s[4:5], -1
                                        ; implicit-def: $sgpr10
	s_and_saveexec_b64 s[8:9], vcc
; %bb.3186:
	s_mov_b32 s10, 0x7f800001
	s_xor_b64 s[4:5], exec, -1
; %bb.3187:
	s_or_b64 exec, exec, s[8:9]
	s_and_b64 s[4:5], s[4:5], exec
                                        ; implicit-def: $vgpr11
	s_or_saveexec_b64 s[6:7], s[6:7]
	v_mov_b32_e32 v10, s10
	s_xor_b64 exec, exec, s[6:7]
	s_cbranch_execz .LBB34_1138
.LBB34_3188:
	v_cmp_ne_u16_e32 vcc, 0, v11
	s_andn2_b64 s[4:5], s[4:5], exec
	s_and_b64 s[8:9], vcc, exec
	v_mov_b32_e32 v10, 0
	s_or_b64 s[4:5], s[4:5], s[8:9]
	s_or_b64 exec, exec, s[6:7]
	s_and_saveexec_b64 s[6:7], s[4:5]
	s_cbranch_execnz .LBB34_1139
	s_branch .LBB34_1140
.LBB34_3189:
	s_movk_i32 s4, 0x80
	v_cmp_eq_u16_e32 vcc, s4, v11
	s_mov_b64 s[4:5], -1
                                        ; implicit-def: $sgpr10
	s_and_saveexec_b64 s[8:9], vcc
; %bb.3190:
	s_mov_b32 s10, 0x7f800001
	s_xor_b64 s[4:5], exec, -1
; %bb.3191:
	s_or_b64 exec, exec, s[8:9]
	s_and_b64 s[4:5], s[4:5], exec
                                        ; implicit-def: $vgpr11
	s_or_saveexec_b64 s[6:7], s[6:7]
	v_mov_b32_e32 v12, s10
	s_xor_b64 exec, exec, s[6:7]
	s_cbranch_execz .LBB34_1142
.LBB34_3192:
	v_cmp_ne_u16_e32 vcc, 0, v11
	s_andn2_b64 s[4:5], s[4:5], exec
	s_and_b64 s[8:9], vcc, exec
	v_mov_b32_e32 v12, 0
	s_or_b64 s[4:5], s[4:5], s[8:9]
	s_or_b64 exec, exec, s[6:7]
	s_and_saveexec_b64 s[6:7], s[4:5]
	s_cbranch_execnz .LBB34_1143
	s_branch .LBB34_1144
.LBB34_3193:
	s_movk_i32 s4, 0x80
	v_cmp_eq_u16_sdwa s[12:13], v17, s4 src0_sel:BYTE_3 src1_sel:DWORD
	s_mov_b64 s[4:5], -1
                                        ; implicit-def: $sgpr10
	s_and_saveexec_b64 s[8:9], s[12:13]
; %bb.3194:
	s_mov_b32 s10, 0x7f800001
	s_xor_b64 s[4:5], exec, -1
; %bb.3195:
	s_or_b64 exec, exec, s[8:9]
	s_and_b64 s[4:5], s[4:5], exec
	s_or_saveexec_b64 s[6:7], s[6:7]
	v_mov_b32_e32 v10, s10
	s_xor_b64 exec, exec, s[6:7]
	s_cbranch_execz .LBB34_1146
.LBB34_3196:
	v_mov_b32_e32 v10, 0
	v_cmp_ne_u16_sdwa s[8:9], v17, v10 src0_sel:BYTE_3 src1_sel:DWORD
	s_andn2_b64 s[4:5], s[4:5], exec
	s_and_b64 s[8:9], s[8:9], exec
	s_or_b64 s[4:5], s[4:5], s[8:9]
	s_or_b64 exec, exec, s[6:7]
	s_and_saveexec_b64 s[6:7], s[4:5]
	s_cbranch_execnz .LBB34_1147
	s_branch .LBB34_1148
.LBB34_3197:
	s_movk_i32 s4, 0x80
	v_cmp_eq_u16_sdwa s[12:13], v13, s4 src0_sel:BYTE_3 src1_sel:DWORD
	s_mov_b64 s[4:5], -1
                                        ; implicit-def: $sgpr10
	s_and_saveexec_b64 s[8:9], s[12:13]
; %bb.3198:
	s_mov_b32 s10, 0x7f800001
	s_xor_b64 s[4:5], exec, -1
; %bb.3199:
	s_or_b64 exec, exec, s[8:9]
	s_and_b64 s[4:5], s[4:5], exec
	s_or_saveexec_b64 s[6:7], s[6:7]
	v_mov_b32_e32 v11, s10
	s_xor_b64 exec, exec, s[6:7]
	s_cbranch_execz .LBB34_1150
.LBB34_3200:
	v_mov_b32_e32 v11, 0
	v_cmp_ne_u16_sdwa s[8:9], v13, v11 src0_sel:BYTE_3 src1_sel:DWORD
	s_andn2_b64 s[4:5], s[4:5], exec
	s_and_b64 s[8:9], s[8:9], exec
	s_or_b64 s[4:5], s[4:5], s[8:9]
	s_or_b64 exec, exec, s[6:7]
	s_and_saveexec_b64 s[6:7], s[4:5]
	s_cbranch_execnz .LBB34_1151
	s_branch .LBB34_1152
.LBB34_3201:
	s_movk_i32 s4, 0x80
	v_cmp_eq_u16_sdwa s[12:13], v6, s4 src0_sel:BYTE_0 src1_sel:DWORD
	s_mov_b64 s[4:5], -1
                                        ; implicit-def: $sgpr10
	s_and_saveexec_b64 s[8:9], s[12:13]
; %bb.3202:
	s_mov_b32 s10, 0x7f800001
	s_xor_b64 s[4:5], exec, -1
; %bb.3203:
	s_or_b64 exec, exec, s[8:9]
	s_and_b64 s[4:5], s[4:5], exec
	s_or_saveexec_b64 s[6:7], s[6:7]
	v_mov_b32_e32 v10, s10
	s_xor_b64 exec, exec, s[6:7]
	s_cbranch_execz .LBB34_1154
.LBB34_3204:
	v_mov_b32_e32 v10, 0
	v_cmp_ne_u16_sdwa s[8:9], v6, v10 src0_sel:BYTE_0 src1_sel:DWORD
	s_andn2_b64 s[4:5], s[4:5], exec
	s_and_b64 s[8:9], s[8:9], exec
	s_or_b64 s[4:5], s[4:5], s[8:9]
	s_or_b64 exec, exec, s[6:7]
	s_and_saveexec_b64 s[6:7], s[4:5]
	s_cbranch_execnz .LBB34_1155
	s_branch .LBB34_1156
.LBB34_3205:
	s_movk_i32 s4, 0x80
	v_cmp_eq_u16_sdwa s[12:13], v2, s4 src0_sel:BYTE_0 src1_sel:DWORD
	s_mov_b64 s[4:5], -1
                                        ; implicit-def: $sgpr10
	s_and_saveexec_b64 s[8:9], s[12:13]
; %bb.3206:
	s_mov_b32 s10, 0x7f800001
	s_xor_b64 s[4:5], exec, -1
; %bb.3207:
	s_or_b64 exec, exec, s[8:9]
	s_and_b64 s[4:5], s[4:5], exec
	s_or_saveexec_b64 s[6:7], s[6:7]
	v_mov_b32_e32 v11, s10
	s_xor_b64 exec, exec, s[6:7]
	s_cbranch_execz .LBB34_1158
.LBB34_3208:
	v_mov_b32_e32 v11, 0
	v_cmp_ne_u16_sdwa s[8:9], v2, v11 src0_sel:BYTE_0 src1_sel:DWORD
	s_andn2_b64 s[4:5], s[4:5], exec
	s_and_b64 s[8:9], s[8:9], exec
	s_or_b64 s[4:5], s[4:5], s[8:9]
	s_or_b64 exec, exec, s[6:7]
	s_and_saveexec_b64 s[6:7], s[4:5]
	s_cbranch_execnz .LBB34_1159
	s_branch .LBB34_1160
.LBB34_3209:
	s_movk_i32 s4, 0x80
	v_cmp_eq_u16_sdwa s[12:13], v11, s4 src0_sel:BYTE_0 src1_sel:DWORD
	s_mov_b64 s[4:5], -1
                                        ; implicit-def: $sgpr10
	s_and_saveexec_b64 s[8:9], s[12:13]
; %bb.3210:
	s_mov_b32 s10, 0x7f800001
	s_xor_b64 s[4:5], exec, -1
; %bb.3211:
	s_or_b64 exec, exec, s[8:9]
	s_and_b64 s[4:5], s[4:5], exec
	s_or_saveexec_b64 s[6:7], s[6:7]
	v_mov_b32_e32 v10, s10
	s_xor_b64 exec, exec, s[6:7]
	s_cbranch_execz .LBB34_1162
.LBB34_3212:
	v_mov_b32_e32 v10, 0
	v_cmp_ne_u16_sdwa s[8:9], v11, v10 src0_sel:BYTE_0 src1_sel:DWORD
	s_andn2_b64 s[4:5], s[4:5], exec
	s_and_b64 s[8:9], s[8:9], exec
	s_or_b64 s[4:5], s[4:5], s[8:9]
	s_or_b64 exec, exec, s[6:7]
	s_and_saveexec_b64 s[6:7], s[4:5]
	s_cbranch_execnz .LBB34_1163
	s_branch .LBB34_1164
.LBB34_3213:
	s_movk_i32 s4, 0x80
	v_cmp_eq_u16_sdwa s[12:13], v11, s4 src0_sel:BYTE_0 src1_sel:DWORD
	s_mov_b64 s[4:5], -1
                                        ; implicit-def: $sgpr10
	s_and_saveexec_b64 s[8:9], s[12:13]
; %bb.3214:
	s_mov_b32 s10, 0x7f800001
	s_xor_b64 s[4:5], exec, -1
; %bb.3215:
	s_or_b64 exec, exec, s[8:9]
	s_and_b64 s[4:5], s[4:5], exec
	s_or_saveexec_b64 s[6:7], s[6:7]
	v_mov_b32_e32 v12, s10
	s_xor_b64 exec, exec, s[6:7]
	s_cbranch_execz .LBB34_1166
.LBB34_3216:
	v_mov_b32_e32 v12, 0
	v_cmp_ne_u16_sdwa s[8:9], v11, v12 src0_sel:BYTE_0 src1_sel:DWORD
	s_andn2_b64 s[4:5], s[4:5], exec
	s_and_b64 s[8:9], s[8:9], exec
	s_or_b64 s[4:5], s[4:5], s[8:9]
	s_or_b64 exec, exec, s[6:7]
	s_and_saveexec_b64 s[6:7], s[4:5]
	s_cbranch_execnz .LBB34_1167
	s_branch .LBB34_1168
.LBB34_3217:
	s_movk_i32 s4, 0x80
	v_cmp_eq_u16_e32 vcc, s4, v11
	s_mov_b64 s[4:5], -1
                                        ; implicit-def: $sgpr10
	s_and_saveexec_b64 s[8:9], vcc
; %bb.3218:
	s_mov_b32 s10, 0x7f800001
	s_xor_b64 s[4:5], exec, -1
; %bb.3219:
	s_or_b64 exec, exec, s[8:9]
	s_and_b64 s[4:5], s[4:5], exec
                                        ; implicit-def: $vgpr11
	s_or_saveexec_b64 s[6:7], s[6:7]
	v_mov_b32_e32 v10, s10
	s_xor_b64 exec, exec, s[6:7]
	s_cbranch_execz .LBB34_1170
.LBB34_3220:
	v_cmp_ne_u16_e32 vcc, 0, v11
	s_andn2_b64 s[4:5], s[4:5], exec
	s_and_b64 s[8:9], vcc, exec
	v_mov_b32_e32 v10, 0
	s_or_b64 s[4:5], s[4:5], s[8:9]
	s_or_b64 exec, exec, s[6:7]
	s_and_saveexec_b64 s[6:7], s[4:5]
	s_cbranch_execnz .LBB34_1171
	s_branch .LBB34_1172
.LBB34_3221:
	s_movk_i32 s4, 0x80
	v_cmp_eq_u16_e32 vcc, s4, v11
	s_mov_b64 s[4:5], -1
                                        ; implicit-def: $sgpr10
	s_and_saveexec_b64 s[8:9], vcc
; %bb.3222:
	s_mov_b32 s10, 0x7f800001
	s_xor_b64 s[4:5], exec, -1
; %bb.3223:
	s_or_b64 exec, exec, s[8:9]
	s_and_b64 s[4:5], s[4:5], exec
                                        ; implicit-def: $vgpr11
	s_or_saveexec_b64 s[6:7], s[6:7]
	v_mov_b32_e32 v12, s10
	s_xor_b64 exec, exec, s[6:7]
	s_cbranch_execz .LBB34_1174
.LBB34_3224:
	v_cmp_ne_u16_e32 vcc, 0, v11
	s_andn2_b64 s[4:5], s[4:5], exec
	s_and_b64 s[8:9], vcc, exec
	v_mov_b32_e32 v12, 0
	s_or_b64 s[4:5], s[4:5], s[8:9]
	s_or_b64 exec, exec, s[6:7]
	s_and_saveexec_b64 s[6:7], s[4:5]
	s_cbranch_execnz .LBB34_1175
	s_branch .LBB34_1176
.LBB34_3225:
	s_movk_i32 s4, 0x80
	v_cmp_eq_u16_sdwa s[12:13], v6, s4 src0_sel:BYTE_3 src1_sel:DWORD
	s_mov_b64 s[4:5], -1
                                        ; implicit-def: $sgpr10
	s_and_saveexec_b64 s[8:9], s[12:13]
; %bb.3226:
	s_mov_b32 s10, 0x7f800001
	s_xor_b64 s[4:5], exec, -1
; %bb.3227:
	s_or_b64 exec, exec, s[8:9]
	s_and_b64 s[4:5], s[4:5], exec
	s_or_saveexec_b64 s[6:7], s[6:7]
	v_mov_b32_e32 v10, s10
	s_xor_b64 exec, exec, s[6:7]
	s_cbranch_execz .LBB34_1178
.LBB34_3228:
	v_mov_b32_e32 v10, 0
	v_cmp_ne_u16_sdwa s[8:9], v6, v10 src0_sel:BYTE_3 src1_sel:DWORD
	s_andn2_b64 s[4:5], s[4:5], exec
	s_and_b64 s[8:9], s[8:9], exec
	s_or_b64 s[4:5], s[4:5], s[8:9]
	s_or_b64 exec, exec, s[6:7]
	s_and_saveexec_b64 s[6:7], s[4:5]
	s_cbranch_execnz .LBB34_1179
	s_branch .LBB34_1180
.LBB34_3229:
	s_movk_i32 s4, 0x80
	v_cmp_eq_u16_sdwa s[12:13], v2, s4 src0_sel:BYTE_3 src1_sel:DWORD
	s_mov_b64 s[4:5], -1
                                        ; implicit-def: $sgpr10
	s_and_saveexec_b64 s[8:9], s[12:13]
; %bb.3230:
	s_mov_b32 s10, 0x7f800001
	s_xor_b64 s[4:5], exec, -1
; %bb.3231:
	s_or_b64 exec, exec, s[8:9]
	s_and_b64 s[4:5], s[4:5], exec
	s_or_saveexec_b64 s[6:7], s[6:7]
	v_mov_b32_e32 v6, s10
	s_xor_b64 exec, exec, s[6:7]
	s_cbranch_execz .LBB34_1182
.LBB34_3232:
	v_mov_b32_e32 v6, 0
	v_cmp_ne_u16_sdwa s[8:9], v2, v6 src0_sel:BYTE_3 src1_sel:DWORD
	s_andn2_b64 s[4:5], s[4:5], exec
	s_and_b64 s[8:9], s[8:9], exec
	s_or_b64 s[4:5], s[4:5], s[8:9]
	s_or_b64 exec, exec, s[6:7]
	s_and_saveexec_b64 s[6:7], s[4:5]
	s_cbranch_execnz .LBB34_1183
	s_branch .LBB34_1184
.LBB34_3233:
	s_movk_i32 s4, 0x80
	v_cmp_eq_u16_sdwa s[12:13], v7, s4 src0_sel:BYTE_0 src1_sel:DWORD
	s_mov_b64 s[4:5], -1
                                        ; implicit-def: $sgpr10
	s_and_saveexec_b64 s[8:9], s[12:13]
; %bb.3234:
	s_mov_b32 s10, 0x7f800001
	s_xor_b64 s[4:5], exec, -1
; %bb.3235:
	s_or_b64 exec, exec, s[8:9]
	s_and_b64 s[4:5], s[4:5], exec
	s_or_saveexec_b64 s[6:7], s[6:7]
	v_mov_b32_e32 v2, s10
	s_xor_b64 exec, exec, s[6:7]
	s_cbranch_execz .LBB34_1186
.LBB34_3236:
	v_mov_b32_e32 v2, 0
	v_cmp_ne_u16_sdwa s[8:9], v7, v2 src0_sel:BYTE_0 src1_sel:DWORD
	s_andn2_b64 s[4:5], s[4:5], exec
	s_and_b64 s[8:9], s[8:9], exec
	s_or_b64 s[4:5], s[4:5], s[8:9]
	s_or_b64 exec, exec, s[6:7]
	s_and_saveexec_b64 s[6:7], s[4:5]
	s_cbranch_execnz .LBB34_1187
	s_branch .LBB34_1188
.LBB34_3237:
	s_movk_i32 s4, 0x80
	v_cmp_eq_u16_sdwa s[12:13], v3, s4 src0_sel:BYTE_0 src1_sel:DWORD
	s_mov_b64 s[4:5], -1
                                        ; implicit-def: $sgpr10
	s_and_saveexec_b64 s[8:9], s[12:13]
; %bb.3238:
	s_mov_b32 s10, 0x7f800001
	s_xor_b64 s[4:5], exec, -1
; %bb.3239:
	s_or_b64 exec, exec, s[8:9]
	s_and_b64 s[4:5], s[4:5], exec
	s_or_saveexec_b64 s[6:7], s[6:7]
	v_mov_b32_e32 v6, s10
	s_xor_b64 exec, exec, s[6:7]
	s_cbranch_execz .LBB34_1190
.LBB34_3240:
	v_mov_b32_e32 v6, 0
	v_cmp_ne_u16_sdwa s[8:9], v3, v6 src0_sel:BYTE_0 src1_sel:DWORD
	s_andn2_b64 s[4:5], s[4:5], exec
	s_and_b64 s[8:9], s[8:9], exec
	s_or_b64 s[4:5], s[4:5], s[8:9]
	s_or_b64 exec, exec, s[6:7]
	s_and_saveexec_b64 s[6:7], s[4:5]
	s_cbranch_execnz .LBB34_1191
	s_branch .LBB34_1192
.LBB34_3241:
	s_movk_i32 s4, 0x80
	v_cmp_eq_u16_sdwa s[12:13], v6, s4 src0_sel:BYTE_0 src1_sel:DWORD
	s_mov_b64 s[4:5], -1
                                        ; implicit-def: $sgpr10
	s_and_saveexec_b64 s[8:9], s[12:13]
; %bb.3242:
	s_mov_b32 s10, 0x7f800001
	s_xor_b64 s[4:5], exec, -1
; %bb.3243:
	s_or_b64 exec, exec, s[8:9]
	s_and_b64 s[4:5], s[4:5], exec
	s_or_saveexec_b64 s[6:7], s[6:7]
	v_mov_b32_e32 v2, s10
	s_xor_b64 exec, exec, s[6:7]
	s_cbranch_execz .LBB34_1194
.LBB34_3244:
	v_mov_b32_e32 v2, 0
	v_cmp_ne_u16_sdwa s[8:9], v6, v2 src0_sel:BYTE_0 src1_sel:DWORD
	s_andn2_b64 s[4:5], s[4:5], exec
	s_and_b64 s[8:9], s[8:9], exec
	s_or_b64 s[4:5], s[4:5], s[8:9]
	s_or_b64 exec, exec, s[6:7]
	s_and_saveexec_b64 s[6:7], s[4:5]
	s_cbranch_execnz .LBB34_1195
	s_branch .LBB34_1196
.LBB34_3245:
	s_movk_i32 s4, 0x80
	v_cmp_eq_u16_sdwa s[12:13], v6, s4 src0_sel:BYTE_0 src1_sel:DWORD
	s_mov_b64 s[4:5], -1
                                        ; implicit-def: $sgpr10
	s_and_saveexec_b64 s[8:9], s[12:13]
; %bb.3246:
	s_mov_b32 s10, 0x7f800001
	s_xor_b64 s[4:5], exec, -1
; %bb.3247:
	s_or_b64 exec, exec, s[8:9]
	s_and_b64 s[4:5], s[4:5], exec
	s_or_saveexec_b64 s[6:7], s[6:7]
	v_mov_b32_e32 v10, s10
	s_xor_b64 exec, exec, s[6:7]
	s_cbranch_execz .LBB34_1198
.LBB34_3248:
	v_mov_b32_e32 v10, 0
	v_cmp_ne_u16_sdwa s[8:9], v6, v10 src0_sel:BYTE_0 src1_sel:DWORD
	s_andn2_b64 s[4:5], s[4:5], exec
	s_and_b64 s[8:9], s[8:9], exec
	s_or_b64 s[4:5], s[4:5], s[8:9]
	s_or_b64 exec, exec, s[6:7]
	s_and_saveexec_b64 s[6:7], s[4:5]
	s_cbranch_execnz .LBB34_1199
	s_branch .LBB34_1200
.LBB34_3249:
	s_movk_i32 s4, 0x80
	v_cmp_eq_u16_e32 vcc, s4, v6
	s_mov_b64 s[4:5], -1
                                        ; implicit-def: $sgpr10
	s_and_saveexec_b64 s[8:9], vcc
; %bb.3250:
	s_mov_b32 s10, 0x7f800001
	s_xor_b64 s[4:5], exec, -1
; %bb.3251:
	s_or_b64 exec, exec, s[8:9]
	s_and_b64 s[4:5], s[4:5], exec
                                        ; implicit-def: $vgpr6
	s_or_saveexec_b64 s[6:7], s[6:7]
	v_mov_b32_e32 v2, s10
	s_xor_b64 exec, exec, s[6:7]
	s_cbranch_execz .LBB34_1202
.LBB34_3252:
	v_cmp_ne_u16_e32 vcc, 0, v6
	s_andn2_b64 s[4:5], s[4:5], exec
	s_and_b64 s[8:9], vcc, exec
	v_mov_b32_e32 v2, 0
	s_or_b64 s[4:5], s[4:5], s[8:9]
	s_or_b64 exec, exec, s[6:7]
	s_and_saveexec_b64 s[6:7], s[4:5]
	s_cbranch_execnz .LBB34_1203
	s_branch .LBB34_1204
.LBB34_3253:
	s_movk_i32 s4, 0x80
	v_cmp_eq_u16_e32 vcc, s4, v6
	s_mov_b64 s[4:5], -1
                                        ; implicit-def: $sgpr10
	s_and_saveexec_b64 s[8:9], vcc
; %bb.3254:
	s_mov_b32 s10, 0x7f800001
	s_xor_b64 s[4:5], exec, -1
; %bb.3255:
	s_or_b64 exec, exec, s[8:9]
	s_and_b64 s[4:5], s[4:5], exec
                                        ; implicit-def: $vgpr6
	s_or_saveexec_b64 s[6:7], s[6:7]
	v_mov_b32_e32 v10, s10
	s_xor_b64 exec, exec, s[6:7]
	s_cbranch_execz .LBB34_1206
.LBB34_3256:
	v_cmp_ne_u16_e32 vcc, 0, v6
	s_andn2_b64 s[4:5], s[4:5], exec
	s_and_b64 s[8:9], vcc, exec
	v_mov_b32_e32 v10, 0
	s_or_b64 s[4:5], s[4:5], s[8:9]
	s_or_b64 exec, exec, s[6:7]
	s_and_saveexec_b64 s[6:7], s[4:5]
	s_cbranch_execnz .LBB34_1207
	s_branch .LBB34_1208
.LBB34_3257:
	s_movk_i32 s4, 0x80
	v_cmp_eq_u16_sdwa s[12:13], v7, s4 src0_sel:BYTE_3 src1_sel:DWORD
	s_mov_b64 s[4:5], -1
                                        ; implicit-def: $sgpr10
	s_and_saveexec_b64 s[8:9], s[12:13]
; %bb.3258:
	s_mov_b32 s10, 0x7f800001
	s_xor_b64 s[4:5], exec, -1
; %bb.3259:
	s_or_b64 exec, exec, s[8:9]
	s_and_b64 s[4:5], s[4:5], exec
	s_or_saveexec_b64 s[6:7], s[6:7]
	v_mov_b32_e32 v2, s10
	s_xor_b64 exec, exec, s[6:7]
	s_cbranch_execz .LBB34_1210
.LBB34_3260:
	v_mov_b32_e32 v2, 0
	v_cmp_ne_u16_sdwa s[8:9], v7, v2 src0_sel:BYTE_3 src1_sel:DWORD
	s_andn2_b64 s[4:5], s[4:5], exec
	s_and_b64 s[8:9], s[8:9], exec
	s_or_b64 s[4:5], s[4:5], s[8:9]
	s_or_b64 exec, exec, s[6:7]
	s_and_saveexec_b64 s[6:7], s[4:5]
	s_cbranch_execnz .LBB34_1211
	s_branch .LBB34_1212
.LBB34_3261:
	s_movk_i32 s4, 0x80
	v_cmp_eq_u16_sdwa s[12:13], v3, s4 src0_sel:BYTE_3 src1_sel:DWORD
	s_mov_b64 s[4:5], -1
                                        ; implicit-def: $sgpr10
	s_and_saveexec_b64 s[8:9], s[12:13]
; %bb.3262:
	s_mov_b32 s10, 0x7f800001
	s_xor_b64 s[4:5], exec, -1
; %bb.3263:
	s_or_b64 exec, exec, s[8:9]
	s_and_b64 s[4:5], s[4:5], exec
	s_or_saveexec_b64 s[6:7], s[6:7]
	v_mov_b32_e32 v6, s10
	s_xor_b64 exec, exec, s[6:7]
	s_cbranch_execz .LBB34_1214
.LBB34_3264:
	v_mov_b32_e32 v6, 0
	v_cmp_ne_u16_sdwa s[8:9], v3, v6 src0_sel:BYTE_3 src1_sel:DWORD
	s_andn2_b64 s[4:5], s[4:5], exec
	s_and_b64 s[8:9], s[8:9], exec
	s_or_b64 s[4:5], s[4:5], s[8:9]
	s_or_b64 exec, exec, s[6:7]
	s_and_saveexec_b64 s[6:7], s[4:5]
	s_cbranch_execnz .LBB34_1215
	s_branch .LBB34_1216
.LBB34_3265:
	s_movk_i32 s4, 0x80
	v_cmp_eq_u16_sdwa s[12:13], v8, s4 src0_sel:BYTE_0 src1_sel:DWORD
	s_mov_b64 s[4:5], -1
                                        ; implicit-def: $sgpr10
	s_and_saveexec_b64 s[8:9], s[12:13]
; %bb.3266:
	s_mov_b32 s10, 0x7f800001
	s_xor_b64 s[4:5], exec, -1
; %bb.3267:
	s_or_b64 exec, exec, s[8:9]
	s_and_b64 s[4:5], s[4:5], exec
	s_or_saveexec_b64 s[6:7], s[6:7]
	v_mov_b32_e32 v2, s10
	s_xor_b64 exec, exec, s[6:7]
	s_cbranch_execz .LBB34_1218
.LBB34_3268:
	v_mov_b32_e32 v2, 0
	v_cmp_ne_u16_sdwa s[8:9], v8, v2 src0_sel:BYTE_0 src1_sel:DWORD
	s_andn2_b64 s[4:5], s[4:5], exec
	s_and_b64 s[8:9], s[8:9], exec
	s_or_b64 s[4:5], s[4:5], s[8:9]
	s_or_b64 exec, exec, s[6:7]
	s_and_saveexec_b64 s[6:7], s[4:5]
	s_cbranch_execnz .LBB34_1219
	s_branch .LBB34_1220
.LBB34_3269:
	s_movk_i32 s4, 0x80
	v_cmp_eq_u16_sdwa s[12:13], v4, s4 src0_sel:BYTE_0 src1_sel:DWORD
	s_mov_b64 s[4:5], -1
                                        ; implicit-def: $sgpr10
	s_and_saveexec_b64 s[8:9], s[12:13]
; %bb.3270:
	s_mov_b32 s10, 0x7f800001
	s_xor_b64 s[4:5], exec, -1
; %bb.3271:
	s_or_b64 exec, exec, s[8:9]
	s_and_b64 s[4:5], s[4:5], exec
	s_or_saveexec_b64 s[6:7], s[6:7]
	v_mov_b32_e32 v3, s10
	s_xor_b64 exec, exec, s[6:7]
	s_cbranch_execz .LBB34_1222
.LBB34_3272:
	v_mov_b32_e32 v3, 0
	v_cmp_ne_u16_sdwa s[8:9], v4, v3 src0_sel:BYTE_0 src1_sel:DWORD
	s_andn2_b64 s[4:5], s[4:5], exec
	s_and_b64 s[8:9], s[8:9], exec
	s_or_b64 s[4:5], s[4:5], s[8:9]
	s_or_b64 exec, exec, s[6:7]
	s_and_saveexec_b64 s[6:7], s[4:5]
	s_cbranch_execnz .LBB34_1223
	s_branch .LBB34_1224
.LBB34_3273:
	s_movk_i32 s4, 0x80
	v_cmp_eq_u16_sdwa s[12:13], v3, s4 src0_sel:BYTE_0 src1_sel:DWORD
	s_mov_b64 s[4:5], -1
                                        ; implicit-def: $sgpr10
	s_and_saveexec_b64 s[8:9], s[12:13]
; %bb.3274:
	s_mov_b32 s10, 0x7f800001
	s_xor_b64 s[4:5], exec, -1
; %bb.3275:
	s_or_b64 exec, exec, s[8:9]
	s_and_b64 s[4:5], s[4:5], exec
	s_or_saveexec_b64 s[6:7], s[6:7]
	v_mov_b32_e32 v2, s10
	s_xor_b64 exec, exec, s[6:7]
	s_cbranch_execz .LBB34_1226
.LBB34_3276:
	v_mov_b32_e32 v2, 0
	v_cmp_ne_u16_sdwa s[8:9], v3, v2 src0_sel:BYTE_0 src1_sel:DWORD
	s_andn2_b64 s[4:5], s[4:5], exec
	s_and_b64 s[8:9], s[8:9], exec
	s_or_b64 s[4:5], s[4:5], s[8:9]
	s_or_b64 exec, exec, s[6:7]
	s_and_saveexec_b64 s[6:7], s[4:5]
	s_cbranch_execnz .LBB34_1227
	s_branch .LBB34_1228
.LBB34_3277:
	s_movk_i32 s4, 0x80
	v_cmp_eq_u16_sdwa s[12:13], v3, s4 src0_sel:BYTE_0 src1_sel:DWORD
	s_mov_b64 s[4:5], -1
                                        ; implicit-def: $sgpr10
	s_and_saveexec_b64 s[8:9], s[12:13]
; %bb.3278:
	s_mov_b32 s10, 0x7f800001
	s_xor_b64 s[4:5], exec, -1
; %bb.3279:
	s_or_b64 exec, exec, s[8:9]
	s_and_b64 s[4:5], s[4:5], exec
	s_or_saveexec_b64 s[6:7], s[6:7]
	v_mov_b32_e32 v6, s10
	s_xor_b64 exec, exec, s[6:7]
	s_cbranch_execz .LBB34_1230
.LBB34_3280:
	v_mov_b32_e32 v6, 0
	v_cmp_ne_u16_sdwa s[8:9], v3, v6 src0_sel:BYTE_0 src1_sel:DWORD
	s_andn2_b64 s[4:5], s[4:5], exec
	s_and_b64 s[8:9], s[8:9], exec
	s_or_b64 s[4:5], s[4:5], s[8:9]
	s_or_b64 exec, exec, s[6:7]
	s_and_saveexec_b64 s[6:7], s[4:5]
	s_cbranch_execnz .LBB34_1231
	s_branch .LBB34_1232
.LBB34_3281:
	s_movk_i32 s4, 0x80
	v_cmp_eq_u16_e32 vcc, s4, v3
	s_mov_b64 s[4:5], -1
                                        ; implicit-def: $sgpr10
	s_and_saveexec_b64 s[8:9], vcc
; %bb.3282:
	s_mov_b32 s10, 0x7f800001
	s_xor_b64 s[4:5], exec, -1
; %bb.3283:
	s_or_b64 exec, exec, s[8:9]
	s_and_b64 s[4:5], s[4:5], exec
                                        ; implicit-def: $vgpr3
	s_or_saveexec_b64 s[6:7], s[6:7]
	v_mov_b32_e32 v2, s10
	s_xor_b64 exec, exec, s[6:7]
	s_cbranch_execz .LBB34_1234
.LBB34_3284:
	v_cmp_ne_u16_e32 vcc, 0, v3
	s_andn2_b64 s[4:5], s[4:5], exec
	s_and_b64 s[8:9], vcc, exec
	v_mov_b32_e32 v2, 0
	s_or_b64 s[4:5], s[4:5], s[8:9]
	s_or_b64 exec, exec, s[6:7]
	s_and_saveexec_b64 s[6:7], s[4:5]
	s_cbranch_execnz .LBB34_1235
	s_branch .LBB34_1236
.LBB34_3285:
	s_movk_i32 s4, 0x80
	v_cmp_eq_u16_e32 vcc, s4, v3
	s_mov_b64 s[4:5], -1
                                        ; implicit-def: $sgpr10
	s_and_saveexec_b64 s[8:9], vcc
; %bb.3286:
	s_mov_b32 s10, 0x7f800001
	s_xor_b64 s[4:5], exec, -1
; %bb.3287:
	s_or_b64 exec, exec, s[8:9]
	s_and_b64 s[4:5], s[4:5], exec
                                        ; implicit-def: $vgpr3
	s_or_saveexec_b64 s[6:7], s[6:7]
	v_mov_b32_e32 v6, s10
	s_xor_b64 exec, exec, s[6:7]
	s_cbranch_execz .LBB34_1238
.LBB34_3288:
	v_cmp_ne_u16_e32 vcc, 0, v3
	s_andn2_b64 s[4:5], s[4:5], exec
	s_and_b64 s[8:9], vcc, exec
	v_mov_b32_e32 v6, 0
	s_or_b64 s[4:5], s[4:5], s[8:9]
	s_or_b64 exec, exec, s[6:7]
	s_and_saveexec_b64 s[6:7], s[4:5]
	s_cbranch_execnz .LBB34_1239
	s_branch .LBB34_1240
.LBB34_3289:
	s_movk_i32 s4, 0x80
	v_cmp_eq_u16_sdwa s[12:13], v8, s4 src0_sel:BYTE_3 src1_sel:DWORD
	s_mov_b64 s[4:5], -1
                                        ; implicit-def: $sgpr10
	s_and_saveexec_b64 s[8:9], s[12:13]
; %bb.3290:
	s_mov_b32 s10, 0x7f800001
	s_xor_b64 s[4:5], exec, -1
; %bb.3291:
	s_or_b64 exec, exec, s[8:9]
	s_and_b64 s[4:5], s[4:5], exec
	s_or_saveexec_b64 s[6:7], s[6:7]
	v_mov_b32_e32 v2, s10
	s_xor_b64 exec, exec, s[6:7]
	s_cbranch_execz .LBB34_1242
.LBB34_3292:
	v_mov_b32_e32 v2, 0
	v_cmp_ne_u16_sdwa s[8:9], v8, v2 src0_sel:BYTE_3 src1_sel:DWORD
	s_andn2_b64 s[4:5], s[4:5], exec
	s_and_b64 s[8:9], s[8:9], exec
	s_or_b64 s[4:5], s[4:5], s[8:9]
	s_or_b64 exec, exec, s[6:7]
	s_and_saveexec_b64 s[6:7], s[4:5]
	s_cbranch_execnz .LBB34_1243
	s_branch .LBB34_1244
.LBB34_3293:
	s_movk_i32 s4, 0x80
	v_cmp_eq_u16_sdwa s[12:13], v4, s4 src0_sel:BYTE_3 src1_sel:DWORD
	s_mov_b64 s[4:5], -1
                                        ; implicit-def: $sgpr10
	s_and_saveexec_b64 s[8:9], s[12:13]
; %bb.3294:
	s_mov_b32 s10, 0x7f800001
	s_xor_b64 s[4:5], exec, -1
; %bb.3295:
	s_or_b64 exec, exec, s[8:9]
	s_and_b64 s[4:5], s[4:5], exec
	s_or_saveexec_b64 s[6:7], s[6:7]
	v_mov_b32_e32 v3, s10
	s_xor_b64 exec, exec, s[6:7]
	s_cbranch_execz .LBB34_1246
.LBB34_3296:
	v_mov_b32_e32 v3, 0
	v_cmp_ne_u16_sdwa s[8:9], v4, v3 src0_sel:BYTE_3 src1_sel:DWORD
	s_andn2_b64 s[4:5], s[4:5], exec
	s_and_b64 s[8:9], s[8:9], exec
	s_or_b64 s[4:5], s[4:5], s[8:9]
	s_or_b64 exec, exec, s[6:7]
	s_and_saveexec_b64 s[6:7], s[4:5]
	s_cbranch_execnz .LBB34_1247
	s_branch .LBB34_1248
.LBB34_3297:
	s_movk_i32 s4, 0x80
	v_cmp_eq_u16_sdwa s[12:13], v9, s4 src0_sel:BYTE_0 src1_sel:DWORD
	s_mov_b64 s[4:5], -1
                                        ; implicit-def: $sgpr10
	s_and_saveexec_b64 s[8:9], s[12:13]
; %bb.3298:
	s_mov_b32 s10, 0x7f800001
	s_xor_b64 s[4:5], exec, -1
; %bb.3299:
	s_or_b64 exec, exec, s[8:9]
	s_and_b64 s[4:5], s[4:5], exec
	s_or_saveexec_b64 s[6:7], s[6:7]
	v_mov_b32_e32 v2, s10
	s_xor_b64 exec, exec, s[6:7]
	s_cbranch_execz .LBB34_1250
.LBB34_3300:
	v_mov_b32_e32 v2, 0
	v_cmp_ne_u16_sdwa s[8:9], v9, v2 src0_sel:BYTE_0 src1_sel:DWORD
	s_andn2_b64 s[4:5], s[4:5], exec
	s_and_b64 s[8:9], s[8:9], exec
	s_or_b64 s[4:5], s[4:5], s[8:9]
	s_or_b64 exec, exec, s[6:7]
	s_and_saveexec_b64 s[6:7], s[4:5]
	s_cbranch_execnz .LBB34_1251
	s_branch .LBB34_1252
.LBB34_3301:
	s_movk_i32 s4, 0x80
	v_cmp_eq_u16_sdwa s[12:13], v5, s4 src0_sel:BYTE_0 src1_sel:DWORD
	s_mov_b64 s[4:5], -1
                                        ; implicit-def: $sgpr10
	s_and_saveexec_b64 s[8:9], s[12:13]
; %bb.3302:
	s_mov_b32 s10, 0x7f800001
	s_xor_b64 s[4:5], exec, -1
; %bb.3303:
	s_or_b64 exec, exec, s[8:9]
	s_and_b64 s[4:5], s[4:5], exec
	s_or_saveexec_b64 s[6:7], s[6:7]
	v_mov_b32_e32 v3, s10
	s_xor_b64 exec, exec, s[6:7]
	s_cbranch_execz .LBB34_1254
.LBB34_3304:
	v_mov_b32_e32 v3, 0
	v_cmp_ne_u16_sdwa s[8:9], v5, v3 src0_sel:BYTE_0 src1_sel:DWORD
	s_andn2_b64 s[4:5], s[4:5], exec
	s_and_b64 s[8:9], s[8:9], exec
	s_or_b64 s[4:5], s[4:5], s[8:9]
	s_or_b64 exec, exec, s[6:7]
	s_and_saveexec_b64 s[6:7], s[4:5]
	s_cbranch_execnz .LBB34_1255
	s_branch .LBB34_1256
.LBB34_3305:
	s_movk_i32 s4, 0x80
	v_cmp_eq_u16_sdwa s[12:13], v3, s4 src0_sel:BYTE_0 src1_sel:DWORD
	s_mov_b64 s[4:5], -1
                                        ; implicit-def: $sgpr10
	s_and_saveexec_b64 s[8:9], s[12:13]
; %bb.3306:
	s_mov_b32 s10, 0x7f800001
	s_xor_b64 s[4:5], exec, -1
; %bb.3307:
	s_or_b64 exec, exec, s[8:9]
	s_and_b64 s[4:5], s[4:5], exec
	s_or_saveexec_b64 s[6:7], s[6:7]
	v_mov_b32_e32 v2, s10
	s_xor_b64 exec, exec, s[6:7]
	s_cbranch_execz .LBB34_1258
.LBB34_3308:
	v_mov_b32_e32 v2, 0
	v_cmp_ne_u16_sdwa s[8:9], v3, v2 src0_sel:BYTE_0 src1_sel:DWORD
	s_andn2_b64 s[4:5], s[4:5], exec
	s_and_b64 s[8:9], s[8:9], exec
	s_or_b64 s[4:5], s[4:5], s[8:9]
	s_or_b64 exec, exec, s[6:7]
	s_and_saveexec_b64 s[6:7], s[4:5]
	s_cbranch_execnz .LBB34_1259
	s_branch .LBB34_1260
.LBB34_3309:
	s_movk_i32 s4, 0x80
	v_cmp_eq_u16_sdwa s[12:13], v3, s4 src0_sel:BYTE_0 src1_sel:DWORD
	s_mov_b64 s[4:5], -1
                                        ; implicit-def: $sgpr10
	s_and_saveexec_b64 s[8:9], s[12:13]
; %bb.3310:
	s_mov_b32 s10, 0x7f800001
	s_xor_b64 s[4:5], exec, -1
; %bb.3311:
	s_or_b64 exec, exec, s[8:9]
	s_and_b64 s[4:5], s[4:5], exec
	s_or_saveexec_b64 s[6:7], s[6:7]
	v_mov_b32_e32 v4, s10
	s_xor_b64 exec, exec, s[6:7]
	s_cbranch_execz .LBB34_1262
.LBB34_3312:
	v_mov_b32_e32 v4, 0
	v_cmp_ne_u16_sdwa s[8:9], v3, v4 src0_sel:BYTE_0 src1_sel:DWORD
	s_andn2_b64 s[4:5], s[4:5], exec
	s_and_b64 s[8:9], s[8:9], exec
	s_or_b64 s[4:5], s[4:5], s[8:9]
	s_or_b64 exec, exec, s[6:7]
	s_and_saveexec_b64 s[6:7], s[4:5]
	s_cbranch_execnz .LBB34_1263
	s_branch .LBB34_1264
.LBB34_3313:
	s_movk_i32 s4, 0x80
	v_cmp_eq_u16_e32 vcc, s4, v3
	s_mov_b64 s[4:5], -1
                                        ; implicit-def: $sgpr10
	s_and_saveexec_b64 s[8:9], vcc
; %bb.3314:
	s_mov_b32 s10, 0x7f800001
	s_xor_b64 s[4:5], exec, -1
; %bb.3315:
	s_or_b64 exec, exec, s[8:9]
	s_and_b64 s[4:5], s[4:5], exec
                                        ; implicit-def: $vgpr3
	s_or_saveexec_b64 s[6:7], s[6:7]
	v_mov_b32_e32 v2, s10
	s_xor_b64 exec, exec, s[6:7]
	s_cbranch_execz .LBB34_1266
.LBB34_3316:
	v_cmp_ne_u16_e32 vcc, 0, v3
	s_andn2_b64 s[4:5], s[4:5], exec
	s_and_b64 s[8:9], vcc, exec
	v_mov_b32_e32 v2, 0
	s_or_b64 s[4:5], s[4:5], s[8:9]
	s_or_b64 exec, exec, s[6:7]
	s_and_saveexec_b64 s[6:7], s[4:5]
	s_cbranch_execnz .LBB34_1267
	s_branch .LBB34_1268
.LBB34_3317:
	s_movk_i32 s4, 0x80
	v_cmp_eq_u16_e32 vcc, s4, v3
	s_mov_b64 s[4:5], -1
                                        ; implicit-def: $sgpr10
	s_and_saveexec_b64 s[8:9], vcc
; %bb.3318:
	s_mov_b32 s10, 0x7f800001
	s_xor_b64 s[4:5], exec, -1
; %bb.3319:
	s_or_b64 exec, exec, s[8:9]
	s_and_b64 s[4:5], s[4:5], exec
                                        ; implicit-def: $vgpr3
	s_or_saveexec_b64 s[6:7], s[6:7]
	v_mov_b32_e32 v4, s10
	s_xor_b64 exec, exec, s[6:7]
	s_cbranch_execz .LBB34_1270
.LBB34_3320:
	v_cmp_ne_u16_e32 vcc, 0, v3
	s_andn2_b64 s[4:5], s[4:5], exec
	s_and_b64 s[8:9], vcc, exec
	v_mov_b32_e32 v4, 0
	s_or_b64 s[4:5], s[4:5], s[8:9]
	s_or_b64 exec, exec, s[6:7]
	s_and_saveexec_b64 s[6:7], s[4:5]
	s_cbranch_execnz .LBB34_1271
	s_branch .LBB34_1272
.LBB34_3321:
	s_movk_i32 s4, 0x80
	v_cmp_eq_u16_sdwa s[12:13], v9, s4 src0_sel:BYTE_3 src1_sel:DWORD
	s_mov_b64 s[4:5], -1
                                        ; implicit-def: $sgpr10
	s_and_saveexec_b64 s[8:9], s[12:13]
; %bb.3322:
	s_mov_b32 s10, 0x7f800001
	s_xor_b64 s[4:5], exec, -1
; %bb.3323:
	s_or_b64 exec, exec, s[8:9]
	s_and_b64 s[4:5], s[4:5], exec
	s_or_saveexec_b64 s[6:7], s[6:7]
	v_mov_b32_e32 v2, s10
	s_xor_b64 exec, exec, s[6:7]
	s_cbranch_execz .LBB34_1274
.LBB34_3324:
	v_mov_b32_e32 v2, 0
	v_cmp_ne_u16_sdwa s[8:9], v9, v2 src0_sel:BYTE_3 src1_sel:DWORD
	s_andn2_b64 s[4:5], s[4:5], exec
	s_and_b64 s[8:9], s[8:9], exec
	s_or_b64 s[4:5], s[4:5], s[8:9]
	s_or_b64 exec, exec, s[6:7]
	s_and_saveexec_b64 s[6:7], s[4:5]
	s_cbranch_execnz .LBB34_1275
	s_branch .LBB34_1276
.LBB34_3325:
	s_movk_i32 s4, 0x80
	v_cmp_eq_u16_sdwa s[12:13], v5, s4 src0_sel:BYTE_3 src1_sel:DWORD
	s_mov_b64 s[4:5], -1
                                        ; implicit-def: $sgpr10
	s_and_saveexec_b64 s[8:9], s[12:13]
; %bb.3326:
	s_mov_b32 s10, 0x7f800001
	s_xor_b64 s[4:5], exec, -1
; %bb.3327:
	s_or_b64 exec, exec, s[8:9]
	s_and_b64 s[4:5], s[4:5], exec
	s_or_saveexec_b64 s[6:7], s[6:7]
	v_mov_b32_e32 v3, s10
	s_xor_b64 exec, exec, s[6:7]
	s_cbranch_execz .LBB34_1278
.LBB34_3328:
	v_mov_b32_e32 v3, 0
	v_cmp_ne_u16_sdwa s[8:9], v5, v3 src0_sel:BYTE_3 src1_sel:DWORD
	s_andn2_b64 s[4:5], s[4:5], exec
	s_and_b64 s[8:9], s[8:9], exec
	s_or_b64 s[4:5], s[4:5], s[8:9]
	s_or_b64 exec, exec, s[6:7]
	s_and_saveexec_b64 s[6:7], s[4:5]
	s_cbranch_execnz .LBB34_1279
	s_branch .LBB34_1280
.LBB34_3329:
	s_movk_i32 s4, 0x80
	v_cmp_eq_u16_sdwa s[12:13], v14, s4 src0_sel:BYTE_0 src1_sel:DWORD
	s_mov_b64 s[4:5], -1
                                        ; implicit-def: $sgpr10
	s_and_saveexec_b64 s[8:9], s[12:13]
; %bb.3330:
	s_mov_b32 s10, 0x7f800001
	s_xor_b64 s[4:5], exec, -1
; %bb.3331:
	s_or_b64 exec, exec, s[8:9]
	s_and_b64 s[4:5], s[4:5], exec
	s_or_saveexec_b64 s[6:7], s[6:7]
	v_mov_b32_e32 v20, s10
	s_xor_b64 exec, exec, s[6:7]
	s_cbranch_execz .LBB34_1282
.LBB34_3332:
	v_mov_b32_e32 v20, 0
	v_cmp_ne_u16_sdwa s[8:9], v14, v20 src0_sel:BYTE_0 src1_sel:DWORD
	s_andn2_b64 s[4:5], s[4:5], exec
	s_and_b64 s[8:9], s[8:9], exec
	s_or_b64 s[4:5], s[4:5], s[8:9]
	s_or_b64 exec, exec, s[6:7]
	s_and_saveexec_b64 s[6:7], s[4:5]
	s_cbranch_execnz .LBB34_1283
	s_branch .LBB34_1284
.LBB34_3333:
	s_movk_i32 s4, 0x80
	v_cmp_eq_u16_sdwa s[12:13], v10, s4 src0_sel:BYTE_0 src1_sel:DWORD
	s_mov_b64 s[4:5], -1
                                        ; implicit-def: $sgpr10
	s_and_saveexec_b64 s[8:9], s[12:13]
; %bb.3334:
	s_mov_b32 s10, 0x7f800001
	s_xor_b64 s[4:5], exec, -1
; %bb.3335:
	s_or_b64 exec, exec, s[8:9]
	s_and_b64 s[4:5], s[4:5], exec
	s_or_saveexec_b64 s[6:7], s[6:7]
	v_mov_b32_e32 v21, s10
	s_xor_b64 exec, exec, s[6:7]
	s_cbranch_execz .LBB34_1286
.LBB34_3336:
	v_mov_b32_e32 v21, 0
	v_cmp_ne_u16_sdwa s[8:9], v10, v21 src0_sel:BYTE_0 src1_sel:DWORD
	s_andn2_b64 s[4:5], s[4:5], exec
	s_and_b64 s[8:9], s[8:9], exec
	s_or_b64 s[4:5], s[4:5], s[8:9]
	s_or_b64 exec, exec, s[6:7]
	s_and_saveexec_b64 s[6:7], s[4:5]
	s_cbranch_execnz .LBB34_1287
	s_branch .LBB34_1288
.LBB34_3337:
	s_movk_i32 s4, 0x80
	v_cmp_eq_u16_sdwa s[12:13], v21, s4 src0_sel:BYTE_0 src1_sel:DWORD
	s_mov_b64 s[4:5], -1
                                        ; implicit-def: $sgpr10
	s_and_saveexec_b64 s[8:9], s[12:13]
; %bb.3338:
	s_mov_b32 s10, 0x7f800001
	s_xor_b64 s[4:5], exec, -1
; %bb.3339:
	s_or_b64 exec, exec, s[8:9]
	s_and_b64 s[4:5], s[4:5], exec
	s_or_saveexec_b64 s[6:7], s[6:7]
	v_mov_b32_e32 v20, s10
	s_xor_b64 exec, exec, s[6:7]
	s_cbranch_execz .LBB34_1290
.LBB34_3340:
	v_mov_b32_e32 v20, 0
	v_cmp_ne_u16_sdwa s[8:9], v21, v20 src0_sel:BYTE_0 src1_sel:DWORD
	s_andn2_b64 s[4:5], s[4:5], exec
	s_and_b64 s[8:9], s[8:9], exec
	s_or_b64 s[4:5], s[4:5], s[8:9]
	s_or_b64 exec, exec, s[6:7]
	s_and_saveexec_b64 s[6:7], s[4:5]
	s_cbranch_execnz .LBB34_1291
	s_branch .LBB34_1292
.LBB34_3341:
	s_movk_i32 s4, 0x80
	v_cmp_eq_u16_sdwa s[12:13], v21, s4 src0_sel:BYTE_0 src1_sel:DWORD
	s_mov_b64 s[4:5], -1
                                        ; implicit-def: $sgpr10
	s_and_saveexec_b64 s[8:9], s[12:13]
; %bb.3342:
	s_mov_b32 s10, 0x7f800001
	s_xor_b64 s[4:5], exec, -1
; %bb.3343:
	s_or_b64 exec, exec, s[8:9]
	s_and_b64 s[4:5], s[4:5], exec
	s_or_saveexec_b64 s[6:7], s[6:7]
	v_mov_b32_e32 v22, s10
	s_xor_b64 exec, exec, s[6:7]
	s_cbranch_execz .LBB34_1294
.LBB34_3344:
	v_mov_b32_e32 v22, 0
	v_cmp_ne_u16_sdwa s[8:9], v21, v22 src0_sel:BYTE_0 src1_sel:DWORD
	s_andn2_b64 s[4:5], s[4:5], exec
	s_and_b64 s[8:9], s[8:9], exec
	s_or_b64 s[4:5], s[4:5], s[8:9]
	s_or_b64 exec, exec, s[6:7]
	s_and_saveexec_b64 s[6:7], s[4:5]
	s_cbranch_execnz .LBB34_1295
	s_branch .LBB34_1296
.LBB34_3345:
	s_movk_i32 s4, 0x80
	v_cmp_eq_u16_e32 vcc, s4, v21
	s_mov_b64 s[4:5], -1
                                        ; implicit-def: $sgpr10
	s_and_saveexec_b64 s[8:9], vcc
; %bb.3346:
	s_mov_b32 s10, 0x7f800001
	s_xor_b64 s[4:5], exec, -1
; %bb.3347:
	s_or_b64 exec, exec, s[8:9]
	s_and_b64 s[4:5], s[4:5], exec
                                        ; implicit-def: $vgpr21
	s_or_saveexec_b64 s[6:7], s[6:7]
	v_mov_b32_e32 v20, s10
	s_xor_b64 exec, exec, s[6:7]
	s_cbranch_execz .LBB34_1298
.LBB34_3348:
	v_cmp_ne_u16_e32 vcc, 0, v21
	s_andn2_b64 s[4:5], s[4:5], exec
	s_and_b64 s[8:9], vcc, exec
	v_mov_b32_e32 v20, 0
	s_or_b64 s[4:5], s[4:5], s[8:9]
	s_or_b64 exec, exec, s[6:7]
	s_and_saveexec_b64 s[6:7], s[4:5]
	s_cbranch_execnz .LBB34_1299
	s_branch .LBB34_1300
.LBB34_3349:
	s_movk_i32 s4, 0x80
	v_cmp_eq_u16_e32 vcc, s4, v21
	s_mov_b64 s[4:5], -1
                                        ; implicit-def: $sgpr10
	s_and_saveexec_b64 s[8:9], vcc
; %bb.3350:
	s_mov_b32 s10, 0x7f800001
	s_xor_b64 s[4:5], exec, -1
; %bb.3351:
	s_or_b64 exec, exec, s[8:9]
	s_and_b64 s[4:5], s[4:5], exec
                                        ; implicit-def: $vgpr21
	s_or_saveexec_b64 s[6:7], s[6:7]
	v_mov_b32_e32 v22, s10
	s_xor_b64 exec, exec, s[6:7]
	s_cbranch_execz .LBB34_1302
.LBB34_3352:
	v_cmp_ne_u16_e32 vcc, 0, v21
	s_andn2_b64 s[4:5], s[4:5], exec
	s_and_b64 s[8:9], vcc, exec
	v_mov_b32_e32 v22, 0
	s_or_b64 s[4:5], s[4:5], s[8:9]
	s_or_b64 exec, exec, s[6:7]
	s_and_saveexec_b64 s[6:7], s[4:5]
	s_cbranch_execnz .LBB34_1303
	s_branch .LBB34_1304
.LBB34_3353:
	s_movk_i32 s4, 0x80
	v_cmp_eq_u16_sdwa s[12:13], v14, s4 src0_sel:BYTE_3 src1_sel:DWORD
	s_mov_b64 s[4:5], -1
                                        ; implicit-def: $sgpr10
	s_and_saveexec_b64 s[8:9], s[12:13]
; %bb.3354:
	s_mov_b32 s10, 0x7f800001
	s_xor_b64 s[4:5], exec, -1
; %bb.3355:
	s_or_b64 exec, exec, s[8:9]
	s_and_b64 s[4:5], s[4:5], exec
	s_or_saveexec_b64 s[6:7], s[6:7]
	v_mov_b32_e32 v20, s10
	s_xor_b64 exec, exec, s[6:7]
	s_cbranch_execz .LBB34_1306
.LBB34_3356:
	v_mov_b32_e32 v20, 0
	v_cmp_ne_u16_sdwa s[8:9], v14, v20 src0_sel:BYTE_3 src1_sel:DWORD
	s_andn2_b64 s[4:5], s[4:5], exec
	s_and_b64 s[8:9], s[8:9], exec
	s_or_b64 s[4:5], s[4:5], s[8:9]
	s_or_b64 exec, exec, s[6:7]
	s_and_saveexec_b64 s[6:7], s[4:5]
	s_cbranch_execnz .LBB34_1307
	s_branch .LBB34_1308
.LBB34_3357:
	s_movk_i32 s4, 0x80
	v_cmp_eq_u16_sdwa s[12:13], v10, s4 src0_sel:BYTE_3 src1_sel:DWORD
	s_mov_b64 s[4:5], -1
                                        ; implicit-def: $sgpr10
	s_and_saveexec_b64 s[8:9], s[12:13]
; %bb.3358:
	s_mov_b32 s10, 0x7f800001
	s_xor_b64 s[4:5], exec, -1
; %bb.3359:
	s_or_b64 exec, exec, s[8:9]
	s_and_b64 s[4:5], s[4:5], exec
	s_or_saveexec_b64 s[6:7], s[6:7]
	v_mov_b32_e32 v14, s10
	s_xor_b64 exec, exec, s[6:7]
	s_cbranch_execz .LBB34_1310
.LBB34_3360:
	v_mov_b32_e32 v14, 0
	v_cmp_ne_u16_sdwa s[8:9], v10, v14 src0_sel:BYTE_3 src1_sel:DWORD
	s_andn2_b64 s[4:5], s[4:5], exec
	s_and_b64 s[8:9], s[8:9], exec
	s_or_b64 s[4:5], s[4:5], s[8:9]
	s_or_b64 exec, exec, s[6:7]
	s_and_saveexec_b64 s[6:7], s[4:5]
	s_cbranch_execnz .LBB34_1311
	s_branch .LBB34_1312
.LBB34_3361:
	s_movk_i32 s4, 0x80
	v_cmp_eq_u16_sdwa s[12:13], v15, s4 src0_sel:BYTE_0 src1_sel:DWORD
	s_mov_b64 s[4:5], -1
                                        ; implicit-def: $sgpr10
	s_and_saveexec_b64 s[8:9], s[12:13]
; %bb.3362:
	s_mov_b32 s10, 0x7f800001
	s_xor_b64 s[4:5], exec, -1
; %bb.3363:
	s_or_b64 exec, exec, s[8:9]
	s_and_b64 s[4:5], s[4:5], exec
	s_or_saveexec_b64 s[6:7], s[6:7]
	v_mov_b32_e32 v10, s10
	s_xor_b64 exec, exec, s[6:7]
	s_cbranch_execz .LBB34_1314
.LBB34_3364:
	v_mov_b32_e32 v10, 0
	v_cmp_ne_u16_sdwa s[8:9], v15, v10 src0_sel:BYTE_0 src1_sel:DWORD
	s_andn2_b64 s[4:5], s[4:5], exec
	s_and_b64 s[8:9], s[8:9], exec
	s_or_b64 s[4:5], s[4:5], s[8:9]
	s_or_b64 exec, exec, s[6:7]
	s_and_saveexec_b64 s[6:7], s[4:5]
	s_cbranch_execnz .LBB34_1315
	s_branch .LBB34_1316
.LBB34_3365:
	s_movk_i32 s4, 0x80
	v_cmp_eq_u16_sdwa s[12:13], v11, s4 src0_sel:BYTE_0 src1_sel:DWORD
	s_mov_b64 s[4:5], -1
                                        ; implicit-def: $sgpr10
	s_and_saveexec_b64 s[8:9], s[12:13]
; %bb.3366:
	s_mov_b32 s10, 0x7f800001
	s_xor_b64 s[4:5], exec, -1
; %bb.3367:
	s_or_b64 exec, exec, s[8:9]
	s_and_b64 s[4:5], s[4:5], exec
	s_or_saveexec_b64 s[6:7], s[6:7]
	v_mov_b32_e32 v14, s10
	s_xor_b64 exec, exec, s[6:7]
	s_cbranch_execz .LBB34_1318
.LBB34_3368:
	v_mov_b32_e32 v14, 0
	v_cmp_ne_u16_sdwa s[8:9], v11, v14 src0_sel:BYTE_0 src1_sel:DWORD
	s_andn2_b64 s[4:5], s[4:5], exec
	s_and_b64 s[8:9], s[8:9], exec
	s_or_b64 s[4:5], s[4:5], s[8:9]
	s_or_b64 exec, exec, s[6:7]
	s_and_saveexec_b64 s[6:7], s[4:5]
	s_cbranch_execnz .LBB34_1319
	s_branch .LBB34_1320
.LBB34_3369:
	s_movk_i32 s4, 0x80
	v_cmp_eq_u16_sdwa s[12:13], v14, s4 src0_sel:BYTE_0 src1_sel:DWORD
	s_mov_b64 s[4:5], -1
                                        ; implicit-def: $sgpr10
	s_and_saveexec_b64 s[8:9], s[12:13]
; %bb.3370:
	s_mov_b32 s10, 0x7f800001
	s_xor_b64 s[4:5], exec, -1
; %bb.3371:
	s_or_b64 exec, exec, s[8:9]
	s_and_b64 s[4:5], s[4:5], exec
	s_or_saveexec_b64 s[6:7], s[6:7]
	v_mov_b32_e32 v10, s10
	s_xor_b64 exec, exec, s[6:7]
	s_cbranch_execz .LBB34_1322
.LBB34_3372:
	v_mov_b32_e32 v10, 0
	v_cmp_ne_u16_sdwa s[8:9], v14, v10 src0_sel:BYTE_0 src1_sel:DWORD
	s_andn2_b64 s[4:5], s[4:5], exec
	s_and_b64 s[8:9], s[8:9], exec
	s_or_b64 s[4:5], s[4:5], s[8:9]
	s_or_b64 exec, exec, s[6:7]
	s_and_saveexec_b64 s[6:7], s[4:5]
	s_cbranch_execnz .LBB34_1323
	s_branch .LBB34_1324
.LBB34_3373:
	s_movk_i32 s4, 0x80
	v_cmp_eq_u16_sdwa s[12:13], v14, s4 src0_sel:BYTE_0 src1_sel:DWORD
	s_mov_b64 s[4:5], -1
                                        ; implicit-def: $sgpr10
	s_and_saveexec_b64 s[8:9], s[12:13]
; %bb.3374:
	s_mov_b32 s10, 0x7f800001
	s_xor_b64 s[4:5], exec, -1
; %bb.3375:
	s_or_b64 exec, exec, s[8:9]
	s_and_b64 s[4:5], s[4:5], exec
	s_or_saveexec_b64 s[6:7], s[6:7]
	v_mov_b32_e32 v20, s10
	s_xor_b64 exec, exec, s[6:7]
	s_cbranch_execz .LBB34_1326
.LBB34_3376:
	v_mov_b32_e32 v20, 0
	v_cmp_ne_u16_sdwa s[8:9], v14, v20 src0_sel:BYTE_0 src1_sel:DWORD
	s_andn2_b64 s[4:5], s[4:5], exec
	s_and_b64 s[8:9], s[8:9], exec
	s_or_b64 s[4:5], s[4:5], s[8:9]
	s_or_b64 exec, exec, s[6:7]
	s_and_saveexec_b64 s[6:7], s[4:5]
	s_cbranch_execnz .LBB34_1327
	s_branch .LBB34_1328
.LBB34_3377:
	s_movk_i32 s4, 0x80
	v_cmp_eq_u16_e32 vcc, s4, v14
	s_mov_b64 s[4:5], -1
                                        ; implicit-def: $sgpr10
	s_and_saveexec_b64 s[8:9], vcc
; %bb.3378:
	s_mov_b32 s10, 0x7f800001
	s_xor_b64 s[4:5], exec, -1
; %bb.3379:
	s_or_b64 exec, exec, s[8:9]
	s_and_b64 s[4:5], s[4:5], exec
                                        ; implicit-def: $vgpr14
	s_or_saveexec_b64 s[6:7], s[6:7]
	v_mov_b32_e32 v10, s10
	s_xor_b64 exec, exec, s[6:7]
	s_cbranch_execz .LBB34_1330
.LBB34_3380:
	v_cmp_ne_u16_e32 vcc, 0, v14
	s_andn2_b64 s[4:5], s[4:5], exec
	s_and_b64 s[8:9], vcc, exec
	v_mov_b32_e32 v10, 0
	s_or_b64 s[4:5], s[4:5], s[8:9]
	s_or_b64 exec, exec, s[6:7]
	s_and_saveexec_b64 s[6:7], s[4:5]
	s_cbranch_execnz .LBB34_1331
	s_branch .LBB34_1332
.LBB34_3381:
	s_movk_i32 s4, 0x80
	v_cmp_eq_u16_e32 vcc, s4, v14
	s_mov_b64 s[4:5], -1
                                        ; implicit-def: $sgpr10
	s_and_saveexec_b64 s[8:9], vcc
; %bb.3382:
	s_mov_b32 s10, 0x7f800001
	s_xor_b64 s[4:5], exec, -1
; %bb.3383:
	s_or_b64 exec, exec, s[8:9]
	s_and_b64 s[4:5], s[4:5], exec
                                        ; implicit-def: $vgpr14
	s_or_saveexec_b64 s[6:7], s[6:7]
	v_mov_b32_e32 v20, s10
	s_xor_b64 exec, exec, s[6:7]
	s_cbranch_execz .LBB34_1334
.LBB34_3384:
	v_cmp_ne_u16_e32 vcc, 0, v14
	s_andn2_b64 s[4:5], s[4:5], exec
	s_and_b64 s[8:9], vcc, exec
	v_mov_b32_e32 v20, 0
	s_or_b64 s[4:5], s[4:5], s[8:9]
	s_or_b64 exec, exec, s[6:7]
	s_and_saveexec_b64 s[6:7], s[4:5]
	s_cbranch_execnz .LBB34_1335
	s_branch .LBB34_1336
.LBB34_3385:
	s_movk_i32 s4, 0x80
	v_cmp_eq_u16_sdwa s[12:13], v15, s4 src0_sel:BYTE_3 src1_sel:DWORD
	s_mov_b64 s[4:5], -1
                                        ; implicit-def: $sgpr10
	s_and_saveexec_b64 s[8:9], s[12:13]
; %bb.3386:
	s_mov_b32 s10, 0x7f800001
	s_xor_b64 s[4:5], exec, -1
; %bb.3387:
	s_or_b64 exec, exec, s[8:9]
	s_and_b64 s[4:5], s[4:5], exec
	s_or_saveexec_b64 s[6:7], s[6:7]
	v_mov_b32_e32 v10, s10
	s_xor_b64 exec, exec, s[6:7]
	s_cbranch_execz .LBB34_1338
.LBB34_3388:
	v_mov_b32_e32 v10, 0
	v_cmp_ne_u16_sdwa s[8:9], v15, v10 src0_sel:BYTE_3 src1_sel:DWORD
	s_andn2_b64 s[4:5], s[4:5], exec
	s_and_b64 s[8:9], s[8:9], exec
	s_or_b64 s[4:5], s[4:5], s[8:9]
	s_or_b64 exec, exec, s[6:7]
	s_and_saveexec_b64 s[6:7], s[4:5]
	s_cbranch_execnz .LBB34_1339
	s_branch .LBB34_1340
.LBB34_3389:
	s_movk_i32 s4, 0x80
	v_cmp_eq_u16_sdwa s[12:13], v11, s4 src0_sel:BYTE_3 src1_sel:DWORD
	s_mov_b64 s[4:5], -1
                                        ; implicit-def: $sgpr10
	s_and_saveexec_b64 s[8:9], s[12:13]
; %bb.3390:
	s_mov_b32 s10, 0x7f800001
	s_xor_b64 s[4:5], exec, -1
; %bb.3391:
	s_or_b64 exec, exec, s[8:9]
	s_and_b64 s[4:5], s[4:5], exec
	s_or_saveexec_b64 s[6:7], s[6:7]
	v_mov_b32_e32 v14, s10
	s_xor_b64 exec, exec, s[6:7]
	s_cbranch_execz .LBB34_1342
.LBB34_3392:
	v_mov_b32_e32 v14, 0
	v_cmp_ne_u16_sdwa s[8:9], v11, v14 src0_sel:BYTE_3 src1_sel:DWORD
	s_andn2_b64 s[4:5], s[4:5], exec
	s_and_b64 s[8:9], s[8:9], exec
	s_or_b64 s[4:5], s[4:5], s[8:9]
	s_or_b64 exec, exec, s[6:7]
	s_and_saveexec_b64 s[6:7], s[4:5]
	s_cbranch_execnz .LBB34_1343
	s_branch .LBB34_1344
.LBB34_3393:
	s_movk_i32 s4, 0x80
	v_cmp_eq_u16_sdwa s[12:13], v16, s4 src0_sel:BYTE_0 src1_sel:DWORD
	s_mov_b64 s[4:5], -1
                                        ; implicit-def: $sgpr10
	s_and_saveexec_b64 s[8:9], s[12:13]
; %bb.3394:
	s_mov_b32 s10, 0x7f800001
	s_xor_b64 s[4:5], exec, -1
; %bb.3395:
	s_or_b64 exec, exec, s[8:9]
	s_and_b64 s[4:5], s[4:5], exec
	s_or_saveexec_b64 s[6:7], s[6:7]
	v_mov_b32_e32 v10, s10
	s_xor_b64 exec, exec, s[6:7]
	s_cbranch_execz .LBB34_1346
.LBB34_3396:
	v_mov_b32_e32 v10, 0
	v_cmp_ne_u16_sdwa s[8:9], v16, v10 src0_sel:BYTE_0 src1_sel:DWORD
	s_andn2_b64 s[4:5], s[4:5], exec
	s_and_b64 s[8:9], s[8:9], exec
	s_or_b64 s[4:5], s[4:5], s[8:9]
	s_or_b64 exec, exec, s[6:7]
	s_and_saveexec_b64 s[6:7], s[4:5]
	s_cbranch_execnz .LBB34_1347
	s_branch .LBB34_1348
.LBB34_3397:
	s_movk_i32 s4, 0x80
	v_cmp_eq_u16_sdwa s[12:13], v12, s4 src0_sel:BYTE_0 src1_sel:DWORD
	s_mov_b64 s[4:5], -1
                                        ; implicit-def: $sgpr10
	s_and_saveexec_b64 s[8:9], s[12:13]
; %bb.3398:
	s_mov_b32 s10, 0x7f800001
	s_xor_b64 s[4:5], exec, -1
; %bb.3399:
	s_or_b64 exec, exec, s[8:9]
	s_and_b64 s[4:5], s[4:5], exec
	s_or_saveexec_b64 s[6:7], s[6:7]
	v_mov_b32_e32 v11, s10
	s_xor_b64 exec, exec, s[6:7]
	s_cbranch_execz .LBB34_1350
.LBB34_3400:
	v_mov_b32_e32 v11, 0
	v_cmp_ne_u16_sdwa s[8:9], v12, v11 src0_sel:BYTE_0 src1_sel:DWORD
	s_andn2_b64 s[4:5], s[4:5], exec
	s_and_b64 s[8:9], s[8:9], exec
	s_or_b64 s[4:5], s[4:5], s[8:9]
	s_or_b64 exec, exec, s[6:7]
	s_and_saveexec_b64 s[6:7], s[4:5]
	s_cbranch_execnz .LBB34_1351
	s_branch .LBB34_1352
.LBB34_3401:
	s_movk_i32 s4, 0x80
	v_cmp_eq_u16_sdwa s[12:13], v11, s4 src0_sel:BYTE_0 src1_sel:DWORD
	s_mov_b64 s[4:5], -1
                                        ; implicit-def: $sgpr10
	s_and_saveexec_b64 s[8:9], s[12:13]
; %bb.3402:
	s_mov_b32 s10, 0x7f800001
	s_xor_b64 s[4:5], exec, -1
; %bb.3403:
	s_or_b64 exec, exec, s[8:9]
	s_and_b64 s[4:5], s[4:5], exec
	s_or_saveexec_b64 s[6:7], s[6:7]
	v_mov_b32_e32 v10, s10
	s_xor_b64 exec, exec, s[6:7]
	s_cbranch_execz .LBB34_1354
.LBB34_3404:
	v_mov_b32_e32 v10, 0
	v_cmp_ne_u16_sdwa s[8:9], v11, v10 src0_sel:BYTE_0 src1_sel:DWORD
	s_andn2_b64 s[4:5], s[4:5], exec
	s_and_b64 s[8:9], s[8:9], exec
	s_or_b64 s[4:5], s[4:5], s[8:9]
	s_or_b64 exec, exec, s[6:7]
	s_and_saveexec_b64 s[6:7], s[4:5]
	s_cbranch_execnz .LBB34_1355
	s_branch .LBB34_1356
.LBB34_3405:
	s_movk_i32 s4, 0x80
	v_cmp_eq_u16_sdwa s[12:13], v11, s4 src0_sel:BYTE_0 src1_sel:DWORD
	s_mov_b64 s[4:5], -1
                                        ; implicit-def: $sgpr10
	s_and_saveexec_b64 s[8:9], s[12:13]
; %bb.3406:
	s_mov_b32 s10, 0x7f800001
	s_xor_b64 s[4:5], exec, -1
; %bb.3407:
	s_or_b64 exec, exec, s[8:9]
	s_and_b64 s[4:5], s[4:5], exec
	s_or_saveexec_b64 s[6:7], s[6:7]
	v_mov_b32_e32 v14, s10
	s_xor_b64 exec, exec, s[6:7]
	s_cbranch_execz .LBB34_1358
.LBB34_3408:
	v_mov_b32_e32 v14, 0
	v_cmp_ne_u16_sdwa s[8:9], v11, v14 src0_sel:BYTE_0 src1_sel:DWORD
	s_andn2_b64 s[4:5], s[4:5], exec
	s_and_b64 s[8:9], s[8:9], exec
	s_or_b64 s[4:5], s[4:5], s[8:9]
	s_or_b64 exec, exec, s[6:7]
	s_and_saveexec_b64 s[6:7], s[4:5]
	s_cbranch_execnz .LBB34_1359
	s_branch .LBB34_1360
.LBB34_3409:
	s_movk_i32 s4, 0x80
	v_cmp_eq_u16_e32 vcc, s4, v11
	s_mov_b64 s[4:5], -1
                                        ; implicit-def: $sgpr10
	s_and_saveexec_b64 s[8:9], vcc
; %bb.3410:
	s_mov_b32 s10, 0x7f800001
	s_xor_b64 s[4:5], exec, -1
; %bb.3411:
	s_or_b64 exec, exec, s[8:9]
	s_and_b64 s[4:5], s[4:5], exec
                                        ; implicit-def: $vgpr11
	s_or_saveexec_b64 s[6:7], s[6:7]
	v_mov_b32_e32 v10, s10
	s_xor_b64 exec, exec, s[6:7]
	s_cbranch_execz .LBB34_1362
.LBB34_3412:
	v_cmp_ne_u16_e32 vcc, 0, v11
	s_andn2_b64 s[4:5], s[4:5], exec
	s_and_b64 s[8:9], vcc, exec
	v_mov_b32_e32 v10, 0
	s_or_b64 s[4:5], s[4:5], s[8:9]
	s_or_b64 exec, exec, s[6:7]
	s_and_saveexec_b64 s[6:7], s[4:5]
	s_cbranch_execnz .LBB34_1363
	s_branch .LBB34_1364
.LBB34_3413:
	s_movk_i32 s4, 0x80
	v_cmp_eq_u16_e32 vcc, s4, v11
	s_mov_b64 s[4:5], -1
                                        ; implicit-def: $sgpr10
	s_and_saveexec_b64 s[8:9], vcc
; %bb.3414:
	s_mov_b32 s10, 0x7f800001
	s_xor_b64 s[4:5], exec, -1
; %bb.3415:
	s_or_b64 exec, exec, s[8:9]
	s_and_b64 s[4:5], s[4:5], exec
                                        ; implicit-def: $vgpr11
	s_or_saveexec_b64 s[6:7], s[6:7]
	v_mov_b32_e32 v14, s10
	s_xor_b64 exec, exec, s[6:7]
	s_cbranch_execz .LBB34_1366
.LBB34_3416:
	v_cmp_ne_u16_e32 vcc, 0, v11
	s_andn2_b64 s[4:5], s[4:5], exec
	s_and_b64 s[8:9], vcc, exec
	v_mov_b32_e32 v14, 0
	s_or_b64 s[4:5], s[4:5], s[8:9]
	s_or_b64 exec, exec, s[6:7]
	s_and_saveexec_b64 s[6:7], s[4:5]
	s_cbranch_execnz .LBB34_1367
	s_branch .LBB34_1368
.LBB34_3417:
	s_movk_i32 s4, 0x80
	v_cmp_eq_u16_sdwa s[12:13], v16, s4 src0_sel:BYTE_3 src1_sel:DWORD
	s_mov_b64 s[4:5], -1
                                        ; implicit-def: $sgpr10
	s_and_saveexec_b64 s[8:9], s[12:13]
; %bb.3418:
	s_mov_b32 s10, 0x7f800001
	s_xor_b64 s[4:5], exec, -1
; %bb.3419:
	s_or_b64 exec, exec, s[8:9]
	s_and_b64 s[4:5], s[4:5], exec
	s_or_saveexec_b64 s[6:7], s[6:7]
	v_mov_b32_e32 v10, s10
	s_xor_b64 exec, exec, s[6:7]
	s_cbranch_execz .LBB34_1370
.LBB34_3420:
	v_mov_b32_e32 v10, 0
	v_cmp_ne_u16_sdwa s[8:9], v16, v10 src0_sel:BYTE_3 src1_sel:DWORD
	s_andn2_b64 s[4:5], s[4:5], exec
	s_and_b64 s[8:9], s[8:9], exec
	s_or_b64 s[4:5], s[4:5], s[8:9]
	s_or_b64 exec, exec, s[6:7]
	s_and_saveexec_b64 s[6:7], s[4:5]
	s_cbranch_execnz .LBB34_1371
	s_branch .LBB34_1372
.LBB34_3421:
	s_movk_i32 s4, 0x80
	v_cmp_eq_u16_sdwa s[12:13], v12, s4 src0_sel:BYTE_3 src1_sel:DWORD
	s_mov_b64 s[4:5], -1
                                        ; implicit-def: $sgpr10
	s_and_saveexec_b64 s[8:9], s[12:13]
; %bb.3422:
	s_mov_b32 s10, 0x7f800001
	s_xor_b64 s[4:5], exec, -1
; %bb.3423:
	s_or_b64 exec, exec, s[8:9]
	s_and_b64 s[4:5], s[4:5], exec
	s_or_saveexec_b64 s[6:7], s[6:7]
	v_mov_b32_e32 v11, s10
	s_xor_b64 exec, exec, s[6:7]
	s_cbranch_execz .LBB34_1374
.LBB34_3424:
	v_mov_b32_e32 v11, 0
	v_cmp_ne_u16_sdwa s[8:9], v12, v11 src0_sel:BYTE_3 src1_sel:DWORD
	s_andn2_b64 s[4:5], s[4:5], exec
	s_and_b64 s[8:9], s[8:9], exec
	s_or_b64 s[4:5], s[4:5], s[8:9]
	s_or_b64 exec, exec, s[6:7]
	s_and_saveexec_b64 s[6:7], s[4:5]
	s_cbranch_execnz .LBB34_1375
	s_branch .LBB34_1376
.LBB34_3425:
	s_movk_i32 s4, 0x80
	v_cmp_eq_u16_sdwa s[12:13], v17, s4 src0_sel:BYTE_0 src1_sel:DWORD
	s_mov_b64 s[4:5], -1
                                        ; implicit-def: $sgpr10
	s_and_saveexec_b64 s[8:9], s[12:13]
; %bb.3426:
	s_mov_b32 s10, 0x7f800001
	s_xor_b64 s[4:5], exec, -1
; %bb.3427:
	s_or_b64 exec, exec, s[8:9]
	s_and_b64 s[4:5], s[4:5], exec
	s_or_saveexec_b64 s[6:7], s[6:7]
	v_mov_b32_e32 v10, s10
	s_xor_b64 exec, exec, s[6:7]
	s_cbranch_execz .LBB34_1378
.LBB34_3428:
	v_mov_b32_e32 v10, 0
	v_cmp_ne_u16_sdwa s[8:9], v17, v10 src0_sel:BYTE_0 src1_sel:DWORD
	s_andn2_b64 s[4:5], s[4:5], exec
	s_and_b64 s[8:9], s[8:9], exec
	s_or_b64 s[4:5], s[4:5], s[8:9]
	s_or_b64 exec, exec, s[6:7]
	s_and_saveexec_b64 s[6:7], s[4:5]
	s_cbranch_execnz .LBB34_1379
	s_branch .LBB34_1380
.LBB34_3429:
	s_movk_i32 s4, 0x80
	v_cmp_eq_u16_sdwa s[12:13], v13, s4 src0_sel:BYTE_0 src1_sel:DWORD
	s_mov_b64 s[4:5], -1
                                        ; implicit-def: $sgpr10
	s_and_saveexec_b64 s[8:9], s[12:13]
; %bb.3430:
	s_mov_b32 s10, 0x7f800001
	s_xor_b64 s[4:5], exec, -1
; %bb.3431:
	s_or_b64 exec, exec, s[8:9]
	s_and_b64 s[4:5], s[4:5], exec
	s_or_saveexec_b64 s[6:7], s[6:7]
	v_mov_b32_e32 v11, s10
	s_xor_b64 exec, exec, s[6:7]
	s_cbranch_execz .LBB34_1382
.LBB34_3432:
	v_mov_b32_e32 v11, 0
	v_cmp_ne_u16_sdwa s[8:9], v13, v11 src0_sel:BYTE_0 src1_sel:DWORD
	s_andn2_b64 s[4:5], s[4:5], exec
	s_and_b64 s[8:9], s[8:9], exec
	s_or_b64 s[4:5], s[4:5], s[8:9]
	s_or_b64 exec, exec, s[6:7]
	s_and_saveexec_b64 s[6:7], s[4:5]
	s_cbranch_execnz .LBB34_1383
	s_branch .LBB34_1384
.LBB34_3433:
	s_movk_i32 s4, 0x80
	v_cmp_eq_u16_sdwa s[12:13], v11, s4 src0_sel:BYTE_0 src1_sel:DWORD
	s_mov_b64 s[4:5], -1
                                        ; implicit-def: $sgpr10
	s_and_saveexec_b64 s[8:9], s[12:13]
; %bb.3434:
	s_mov_b32 s10, 0x7f800001
	s_xor_b64 s[4:5], exec, -1
; %bb.3435:
	s_or_b64 exec, exec, s[8:9]
	s_and_b64 s[4:5], s[4:5], exec
	s_or_saveexec_b64 s[6:7], s[6:7]
	v_mov_b32_e32 v10, s10
	s_xor_b64 exec, exec, s[6:7]
	s_cbranch_execz .LBB34_1386
.LBB34_3436:
	v_mov_b32_e32 v10, 0
	v_cmp_ne_u16_sdwa s[8:9], v11, v10 src0_sel:BYTE_0 src1_sel:DWORD
	s_andn2_b64 s[4:5], s[4:5], exec
	s_and_b64 s[8:9], s[8:9], exec
	s_or_b64 s[4:5], s[4:5], s[8:9]
	s_or_b64 exec, exec, s[6:7]
	s_and_saveexec_b64 s[6:7], s[4:5]
	s_cbranch_execnz .LBB34_1387
	s_branch .LBB34_1388
.LBB34_3437:
	s_movk_i32 s4, 0x80
	v_cmp_eq_u16_sdwa s[12:13], v11, s4 src0_sel:BYTE_0 src1_sel:DWORD
	s_mov_b64 s[4:5], -1
                                        ; implicit-def: $sgpr10
	s_and_saveexec_b64 s[8:9], s[12:13]
; %bb.3438:
	s_mov_b32 s10, 0x7f800001
	s_xor_b64 s[4:5], exec, -1
; %bb.3439:
	s_or_b64 exec, exec, s[8:9]
	s_and_b64 s[4:5], s[4:5], exec
	s_or_saveexec_b64 s[6:7], s[6:7]
	v_mov_b32_e32 v12, s10
	s_xor_b64 exec, exec, s[6:7]
	s_cbranch_execz .LBB34_1390
.LBB34_3440:
	v_mov_b32_e32 v12, 0
	v_cmp_ne_u16_sdwa s[8:9], v11, v12 src0_sel:BYTE_0 src1_sel:DWORD
	s_andn2_b64 s[4:5], s[4:5], exec
	s_and_b64 s[8:9], s[8:9], exec
	s_or_b64 s[4:5], s[4:5], s[8:9]
	s_or_b64 exec, exec, s[6:7]
	s_and_saveexec_b64 s[6:7], s[4:5]
	s_cbranch_execnz .LBB34_1391
	s_branch .LBB34_1392
.LBB34_3441:
	s_movk_i32 s4, 0x80
	v_cmp_eq_u16_e32 vcc, s4, v11
	s_mov_b64 s[4:5], -1
                                        ; implicit-def: $sgpr10
	s_and_saveexec_b64 s[8:9], vcc
; %bb.3442:
	s_mov_b32 s10, 0x7f800001
	s_xor_b64 s[4:5], exec, -1
; %bb.3443:
	s_or_b64 exec, exec, s[8:9]
	s_and_b64 s[4:5], s[4:5], exec
                                        ; implicit-def: $vgpr11
	s_or_saveexec_b64 s[6:7], s[6:7]
	v_mov_b32_e32 v10, s10
	s_xor_b64 exec, exec, s[6:7]
	s_cbranch_execz .LBB34_1394
.LBB34_3444:
	v_cmp_ne_u16_e32 vcc, 0, v11
	s_andn2_b64 s[4:5], s[4:5], exec
	s_and_b64 s[8:9], vcc, exec
	v_mov_b32_e32 v10, 0
	s_or_b64 s[4:5], s[4:5], s[8:9]
	s_or_b64 exec, exec, s[6:7]
	s_and_saveexec_b64 s[6:7], s[4:5]
	s_cbranch_execnz .LBB34_1395
	s_branch .LBB34_1396
.LBB34_3445:
	s_movk_i32 s4, 0x80
	v_cmp_eq_u16_e32 vcc, s4, v11
	s_mov_b64 s[4:5], -1
                                        ; implicit-def: $sgpr10
	s_and_saveexec_b64 s[8:9], vcc
; %bb.3446:
	s_mov_b32 s10, 0x7f800001
	s_xor_b64 s[4:5], exec, -1
; %bb.3447:
	s_or_b64 exec, exec, s[8:9]
	s_and_b64 s[4:5], s[4:5], exec
                                        ; implicit-def: $vgpr11
	s_or_saveexec_b64 s[6:7], s[6:7]
	v_mov_b32_e32 v12, s10
	s_xor_b64 exec, exec, s[6:7]
	s_cbranch_execz .LBB34_1398
.LBB34_3448:
	v_cmp_ne_u16_e32 vcc, 0, v11
	s_andn2_b64 s[4:5], s[4:5], exec
	s_and_b64 s[8:9], vcc, exec
	v_mov_b32_e32 v12, 0
	s_or_b64 s[4:5], s[4:5], s[8:9]
	s_or_b64 exec, exec, s[6:7]
	s_and_saveexec_b64 s[6:7], s[4:5]
	s_cbranch_execnz .LBB34_1399
	s_branch .LBB34_1400
.LBB34_3449:
	s_movk_i32 s4, 0x80
	v_cmp_eq_u16_sdwa s[12:13], v17, s4 src0_sel:BYTE_3 src1_sel:DWORD
	s_mov_b64 s[4:5], -1
                                        ; implicit-def: $sgpr10
	s_and_saveexec_b64 s[8:9], s[12:13]
; %bb.3450:
	s_mov_b32 s10, 0x7f800001
	s_xor_b64 s[4:5], exec, -1
; %bb.3451:
	s_or_b64 exec, exec, s[8:9]
	s_and_b64 s[4:5], s[4:5], exec
	s_or_saveexec_b64 s[6:7], s[6:7]
	v_mov_b32_e32 v10, s10
	s_xor_b64 exec, exec, s[6:7]
	s_cbranch_execz .LBB34_1402
.LBB34_3452:
	v_mov_b32_e32 v10, 0
	v_cmp_ne_u16_sdwa s[8:9], v17, v10 src0_sel:BYTE_3 src1_sel:DWORD
	s_andn2_b64 s[4:5], s[4:5], exec
	s_and_b64 s[8:9], s[8:9], exec
	s_or_b64 s[4:5], s[4:5], s[8:9]
	s_or_b64 exec, exec, s[6:7]
	s_and_saveexec_b64 s[6:7], s[4:5]
	s_cbranch_execnz .LBB34_1403
	s_branch .LBB34_1404
.LBB34_3453:
	s_movk_i32 s4, 0x80
	v_cmp_eq_u16_sdwa s[12:13], v13, s4 src0_sel:BYTE_3 src1_sel:DWORD
	s_mov_b64 s[4:5], -1
                                        ; implicit-def: $sgpr10
	s_and_saveexec_b64 s[8:9], s[12:13]
; %bb.3454:
	s_mov_b32 s10, 0x7f800001
	s_xor_b64 s[4:5], exec, -1
; %bb.3455:
	s_or_b64 exec, exec, s[8:9]
	s_and_b64 s[4:5], s[4:5], exec
	s_or_saveexec_b64 s[6:7], s[6:7]
	v_mov_b32_e32 v11, s10
	s_xor_b64 exec, exec, s[6:7]
	s_cbranch_execz .LBB34_1406
.LBB34_3456:
	v_mov_b32_e32 v11, 0
	v_cmp_ne_u16_sdwa s[8:9], v13, v11 src0_sel:BYTE_3 src1_sel:DWORD
	s_andn2_b64 s[4:5], s[4:5], exec
	s_and_b64 s[8:9], s[8:9], exec
	s_or_b64 s[4:5], s[4:5], s[8:9]
	s_or_b64 exec, exec, s[6:7]
	s_and_saveexec_b64 s[6:7], s[4:5]
	s_cbranch_execnz .LBB34_1407
	s_branch .LBB34_1408
.LBB34_3457:
	s_movk_i32 s4, 0x80
	v_cmp_eq_u16_sdwa s[12:13], v6, s4 src0_sel:BYTE_0 src1_sel:DWORD
	s_mov_b64 s[4:5], -1
                                        ; implicit-def: $sgpr10
	s_and_saveexec_b64 s[8:9], s[12:13]
; %bb.3458:
	s_mov_b32 s10, 0x7f800001
	s_xor_b64 s[4:5], exec, -1
; %bb.3459:
	s_or_b64 exec, exec, s[8:9]
	s_and_b64 s[4:5], s[4:5], exec
	s_or_saveexec_b64 s[6:7], s[6:7]
	v_mov_b32_e32 v10, s10
	s_xor_b64 exec, exec, s[6:7]
	s_cbranch_execz .LBB34_1410
.LBB34_3460:
	v_mov_b32_e32 v10, 0
	v_cmp_ne_u16_sdwa s[8:9], v6, v10 src0_sel:BYTE_0 src1_sel:DWORD
	s_andn2_b64 s[4:5], s[4:5], exec
	s_and_b64 s[8:9], s[8:9], exec
	s_or_b64 s[4:5], s[4:5], s[8:9]
	s_or_b64 exec, exec, s[6:7]
	s_and_saveexec_b64 s[6:7], s[4:5]
	s_cbranch_execnz .LBB34_1411
	s_branch .LBB34_1412
.LBB34_3461:
	s_movk_i32 s4, 0x80
	v_cmp_eq_u16_sdwa s[12:13], v2, s4 src0_sel:BYTE_0 src1_sel:DWORD
	s_mov_b64 s[4:5], -1
                                        ; implicit-def: $sgpr10
	s_and_saveexec_b64 s[8:9], s[12:13]
; %bb.3462:
	s_mov_b32 s10, 0x7f800001
	s_xor_b64 s[4:5], exec, -1
; %bb.3463:
	s_or_b64 exec, exec, s[8:9]
	s_and_b64 s[4:5], s[4:5], exec
	s_or_saveexec_b64 s[6:7], s[6:7]
	v_mov_b32_e32 v11, s10
	s_xor_b64 exec, exec, s[6:7]
	s_cbranch_execz .LBB34_1414
.LBB34_3464:
	v_mov_b32_e32 v11, 0
	v_cmp_ne_u16_sdwa s[8:9], v2, v11 src0_sel:BYTE_0 src1_sel:DWORD
	s_andn2_b64 s[4:5], s[4:5], exec
	s_and_b64 s[8:9], s[8:9], exec
	s_or_b64 s[4:5], s[4:5], s[8:9]
	s_or_b64 exec, exec, s[6:7]
	s_and_saveexec_b64 s[6:7], s[4:5]
	s_cbranch_execnz .LBB34_1415
	s_branch .LBB34_1416
.LBB34_3465:
	s_movk_i32 s4, 0x80
	v_cmp_eq_u16_sdwa s[12:13], v11, s4 src0_sel:BYTE_0 src1_sel:DWORD
	s_mov_b64 s[4:5], -1
                                        ; implicit-def: $sgpr10
	s_and_saveexec_b64 s[8:9], s[12:13]
; %bb.3466:
	s_mov_b32 s10, 0x7f800001
	s_xor_b64 s[4:5], exec, -1
; %bb.3467:
	s_or_b64 exec, exec, s[8:9]
	s_and_b64 s[4:5], s[4:5], exec
	s_or_saveexec_b64 s[6:7], s[6:7]
	v_mov_b32_e32 v10, s10
	s_xor_b64 exec, exec, s[6:7]
	s_cbranch_execz .LBB34_1418
.LBB34_3468:
	v_mov_b32_e32 v10, 0
	v_cmp_ne_u16_sdwa s[8:9], v11, v10 src0_sel:BYTE_0 src1_sel:DWORD
	s_andn2_b64 s[4:5], s[4:5], exec
	s_and_b64 s[8:9], s[8:9], exec
	s_or_b64 s[4:5], s[4:5], s[8:9]
	s_or_b64 exec, exec, s[6:7]
	s_and_saveexec_b64 s[6:7], s[4:5]
	s_cbranch_execnz .LBB34_1419
	s_branch .LBB34_1420
.LBB34_3469:
	s_movk_i32 s4, 0x80
	v_cmp_eq_u16_sdwa s[12:13], v11, s4 src0_sel:BYTE_0 src1_sel:DWORD
	s_mov_b64 s[4:5], -1
                                        ; implicit-def: $sgpr10
	s_and_saveexec_b64 s[8:9], s[12:13]
; %bb.3470:
	s_mov_b32 s10, 0x7f800001
	s_xor_b64 s[4:5], exec, -1
; %bb.3471:
	s_or_b64 exec, exec, s[8:9]
	s_and_b64 s[4:5], s[4:5], exec
	s_or_saveexec_b64 s[6:7], s[6:7]
	v_mov_b32_e32 v12, s10
	s_xor_b64 exec, exec, s[6:7]
	s_cbranch_execz .LBB34_1422
.LBB34_3472:
	v_mov_b32_e32 v12, 0
	v_cmp_ne_u16_sdwa s[8:9], v11, v12 src0_sel:BYTE_0 src1_sel:DWORD
	s_andn2_b64 s[4:5], s[4:5], exec
	s_and_b64 s[8:9], s[8:9], exec
	s_or_b64 s[4:5], s[4:5], s[8:9]
	s_or_b64 exec, exec, s[6:7]
	s_and_saveexec_b64 s[6:7], s[4:5]
	s_cbranch_execnz .LBB34_1423
	s_branch .LBB34_1424
.LBB34_3473:
	s_movk_i32 s4, 0x80
	v_cmp_eq_u16_e32 vcc, s4, v11
	s_mov_b64 s[4:5], -1
                                        ; implicit-def: $sgpr10
	s_and_saveexec_b64 s[8:9], vcc
; %bb.3474:
	s_mov_b32 s10, 0x7f800001
	s_xor_b64 s[4:5], exec, -1
; %bb.3475:
	s_or_b64 exec, exec, s[8:9]
	s_and_b64 s[4:5], s[4:5], exec
                                        ; implicit-def: $vgpr11
	s_or_saveexec_b64 s[6:7], s[6:7]
	v_mov_b32_e32 v10, s10
	s_xor_b64 exec, exec, s[6:7]
	s_cbranch_execz .LBB34_1426
.LBB34_3476:
	v_cmp_ne_u16_e32 vcc, 0, v11
	s_andn2_b64 s[4:5], s[4:5], exec
	s_and_b64 s[8:9], vcc, exec
	v_mov_b32_e32 v10, 0
	s_or_b64 s[4:5], s[4:5], s[8:9]
	s_or_b64 exec, exec, s[6:7]
	s_and_saveexec_b64 s[6:7], s[4:5]
	s_cbranch_execnz .LBB34_1427
	s_branch .LBB34_1428
.LBB34_3477:
	s_movk_i32 s4, 0x80
	v_cmp_eq_u16_e32 vcc, s4, v11
	s_mov_b64 s[4:5], -1
                                        ; implicit-def: $sgpr10
	s_and_saveexec_b64 s[8:9], vcc
; %bb.3478:
	s_mov_b32 s10, 0x7f800001
	s_xor_b64 s[4:5], exec, -1
; %bb.3479:
	s_or_b64 exec, exec, s[8:9]
	s_and_b64 s[4:5], s[4:5], exec
                                        ; implicit-def: $vgpr11
	s_or_saveexec_b64 s[6:7], s[6:7]
	v_mov_b32_e32 v12, s10
	s_xor_b64 exec, exec, s[6:7]
	s_cbranch_execz .LBB34_1430
.LBB34_3480:
	v_cmp_ne_u16_e32 vcc, 0, v11
	s_andn2_b64 s[4:5], s[4:5], exec
	s_and_b64 s[8:9], vcc, exec
	v_mov_b32_e32 v12, 0
	s_or_b64 s[4:5], s[4:5], s[8:9]
	s_or_b64 exec, exec, s[6:7]
	s_and_saveexec_b64 s[6:7], s[4:5]
	s_cbranch_execnz .LBB34_1431
	s_branch .LBB34_1432
.LBB34_3481:
	s_movk_i32 s4, 0x80
	v_cmp_eq_u16_sdwa s[12:13], v6, s4 src0_sel:BYTE_3 src1_sel:DWORD
	s_mov_b64 s[4:5], -1
                                        ; implicit-def: $sgpr10
	s_and_saveexec_b64 s[8:9], s[12:13]
; %bb.3482:
	s_mov_b32 s10, 0x7f800001
	s_xor_b64 s[4:5], exec, -1
; %bb.3483:
	s_or_b64 exec, exec, s[8:9]
	s_and_b64 s[4:5], s[4:5], exec
	s_or_saveexec_b64 s[6:7], s[6:7]
	v_mov_b32_e32 v10, s10
	s_xor_b64 exec, exec, s[6:7]
	s_cbranch_execz .LBB34_1434
.LBB34_3484:
	v_mov_b32_e32 v10, 0
	v_cmp_ne_u16_sdwa s[8:9], v6, v10 src0_sel:BYTE_3 src1_sel:DWORD
	s_andn2_b64 s[4:5], s[4:5], exec
	s_and_b64 s[8:9], s[8:9], exec
	s_or_b64 s[4:5], s[4:5], s[8:9]
	s_or_b64 exec, exec, s[6:7]
	s_and_saveexec_b64 s[6:7], s[4:5]
	s_cbranch_execnz .LBB34_1435
	s_branch .LBB34_1436
.LBB34_3485:
	s_movk_i32 s4, 0x80
	v_cmp_eq_u16_sdwa s[12:13], v2, s4 src0_sel:BYTE_3 src1_sel:DWORD
	s_mov_b64 s[4:5], -1
                                        ; implicit-def: $sgpr10
	s_and_saveexec_b64 s[8:9], s[12:13]
; %bb.3486:
	s_mov_b32 s10, 0x7f800001
	s_xor_b64 s[4:5], exec, -1
; %bb.3487:
	s_or_b64 exec, exec, s[8:9]
	s_and_b64 s[4:5], s[4:5], exec
	s_or_saveexec_b64 s[6:7], s[6:7]
	v_mov_b32_e32 v6, s10
	s_xor_b64 exec, exec, s[6:7]
	s_cbranch_execz .LBB34_1438
.LBB34_3488:
	v_mov_b32_e32 v6, 0
	v_cmp_ne_u16_sdwa s[8:9], v2, v6 src0_sel:BYTE_3 src1_sel:DWORD
	s_andn2_b64 s[4:5], s[4:5], exec
	s_and_b64 s[8:9], s[8:9], exec
	s_or_b64 s[4:5], s[4:5], s[8:9]
	s_or_b64 exec, exec, s[6:7]
	s_and_saveexec_b64 s[6:7], s[4:5]
	s_cbranch_execnz .LBB34_1439
	s_branch .LBB34_1440
.LBB34_3489:
	s_movk_i32 s4, 0x80
	v_cmp_eq_u16_sdwa s[12:13], v7, s4 src0_sel:BYTE_0 src1_sel:DWORD
	s_mov_b64 s[4:5], -1
                                        ; implicit-def: $sgpr10
	s_and_saveexec_b64 s[8:9], s[12:13]
; %bb.3490:
	s_mov_b32 s10, 0x7f800001
	s_xor_b64 s[4:5], exec, -1
; %bb.3491:
	s_or_b64 exec, exec, s[8:9]
	s_and_b64 s[4:5], s[4:5], exec
	s_or_saveexec_b64 s[6:7], s[6:7]
	v_mov_b32_e32 v2, s10
	s_xor_b64 exec, exec, s[6:7]
	s_cbranch_execz .LBB34_1442
.LBB34_3492:
	v_mov_b32_e32 v2, 0
	v_cmp_ne_u16_sdwa s[8:9], v7, v2 src0_sel:BYTE_0 src1_sel:DWORD
	s_andn2_b64 s[4:5], s[4:5], exec
	s_and_b64 s[8:9], s[8:9], exec
	s_or_b64 s[4:5], s[4:5], s[8:9]
	s_or_b64 exec, exec, s[6:7]
	s_and_saveexec_b64 s[6:7], s[4:5]
	s_cbranch_execnz .LBB34_1443
	s_branch .LBB34_1444
.LBB34_3493:
	s_movk_i32 s4, 0x80
	v_cmp_eq_u16_sdwa s[12:13], v3, s4 src0_sel:BYTE_0 src1_sel:DWORD
	s_mov_b64 s[4:5], -1
                                        ; implicit-def: $sgpr10
	s_and_saveexec_b64 s[8:9], s[12:13]
; %bb.3494:
	s_mov_b32 s10, 0x7f800001
	s_xor_b64 s[4:5], exec, -1
; %bb.3495:
	s_or_b64 exec, exec, s[8:9]
	s_and_b64 s[4:5], s[4:5], exec
	s_or_saveexec_b64 s[6:7], s[6:7]
	v_mov_b32_e32 v6, s10
	s_xor_b64 exec, exec, s[6:7]
	s_cbranch_execz .LBB34_1446
.LBB34_3496:
	v_mov_b32_e32 v6, 0
	v_cmp_ne_u16_sdwa s[8:9], v3, v6 src0_sel:BYTE_0 src1_sel:DWORD
	s_andn2_b64 s[4:5], s[4:5], exec
	s_and_b64 s[8:9], s[8:9], exec
	s_or_b64 s[4:5], s[4:5], s[8:9]
	s_or_b64 exec, exec, s[6:7]
	s_and_saveexec_b64 s[6:7], s[4:5]
	s_cbranch_execnz .LBB34_1447
	s_branch .LBB34_1448
.LBB34_3497:
	s_movk_i32 s4, 0x80
	v_cmp_eq_u16_sdwa s[12:13], v6, s4 src0_sel:BYTE_0 src1_sel:DWORD
	s_mov_b64 s[4:5], -1
                                        ; implicit-def: $sgpr10
	s_and_saveexec_b64 s[8:9], s[12:13]
; %bb.3498:
	s_mov_b32 s10, 0x7f800001
	s_xor_b64 s[4:5], exec, -1
; %bb.3499:
	s_or_b64 exec, exec, s[8:9]
	s_and_b64 s[4:5], s[4:5], exec
	s_or_saveexec_b64 s[6:7], s[6:7]
	v_mov_b32_e32 v2, s10
	s_xor_b64 exec, exec, s[6:7]
	s_cbranch_execz .LBB34_1450
.LBB34_3500:
	v_mov_b32_e32 v2, 0
	v_cmp_ne_u16_sdwa s[8:9], v6, v2 src0_sel:BYTE_0 src1_sel:DWORD
	s_andn2_b64 s[4:5], s[4:5], exec
	s_and_b64 s[8:9], s[8:9], exec
	s_or_b64 s[4:5], s[4:5], s[8:9]
	s_or_b64 exec, exec, s[6:7]
	s_and_saveexec_b64 s[6:7], s[4:5]
	s_cbranch_execnz .LBB34_1451
	s_branch .LBB34_1452
.LBB34_3501:
	s_movk_i32 s4, 0x80
	v_cmp_eq_u16_sdwa s[12:13], v6, s4 src0_sel:BYTE_0 src1_sel:DWORD
	s_mov_b64 s[4:5], -1
                                        ; implicit-def: $sgpr10
	s_and_saveexec_b64 s[8:9], s[12:13]
; %bb.3502:
	s_mov_b32 s10, 0x7f800001
	s_xor_b64 s[4:5], exec, -1
; %bb.3503:
	s_or_b64 exec, exec, s[8:9]
	s_and_b64 s[4:5], s[4:5], exec
	s_or_saveexec_b64 s[6:7], s[6:7]
	v_mov_b32_e32 v10, s10
	s_xor_b64 exec, exec, s[6:7]
	s_cbranch_execz .LBB34_1454
.LBB34_3504:
	v_mov_b32_e32 v10, 0
	v_cmp_ne_u16_sdwa s[8:9], v6, v10 src0_sel:BYTE_0 src1_sel:DWORD
	s_andn2_b64 s[4:5], s[4:5], exec
	s_and_b64 s[8:9], s[8:9], exec
	s_or_b64 s[4:5], s[4:5], s[8:9]
	s_or_b64 exec, exec, s[6:7]
	s_and_saveexec_b64 s[6:7], s[4:5]
	s_cbranch_execnz .LBB34_1455
	s_branch .LBB34_1456
.LBB34_3505:
	s_movk_i32 s4, 0x80
	v_cmp_eq_u16_e32 vcc, s4, v6
	s_mov_b64 s[4:5], -1
                                        ; implicit-def: $sgpr10
	s_and_saveexec_b64 s[8:9], vcc
; %bb.3506:
	s_mov_b32 s10, 0x7f800001
	s_xor_b64 s[4:5], exec, -1
; %bb.3507:
	s_or_b64 exec, exec, s[8:9]
	s_and_b64 s[4:5], s[4:5], exec
                                        ; implicit-def: $vgpr6
	s_or_saveexec_b64 s[6:7], s[6:7]
	v_mov_b32_e32 v2, s10
	s_xor_b64 exec, exec, s[6:7]
	s_cbranch_execz .LBB34_1458
.LBB34_3508:
	v_cmp_ne_u16_e32 vcc, 0, v6
	s_andn2_b64 s[4:5], s[4:5], exec
	s_and_b64 s[8:9], vcc, exec
	v_mov_b32_e32 v2, 0
	s_or_b64 s[4:5], s[4:5], s[8:9]
	s_or_b64 exec, exec, s[6:7]
	s_and_saveexec_b64 s[6:7], s[4:5]
	s_cbranch_execnz .LBB34_1459
	s_branch .LBB34_1460
.LBB34_3509:
	s_movk_i32 s4, 0x80
	v_cmp_eq_u16_e32 vcc, s4, v6
	s_mov_b64 s[4:5], -1
                                        ; implicit-def: $sgpr10
	s_and_saveexec_b64 s[8:9], vcc
; %bb.3510:
	s_mov_b32 s10, 0x7f800001
	s_xor_b64 s[4:5], exec, -1
; %bb.3511:
	s_or_b64 exec, exec, s[8:9]
	s_and_b64 s[4:5], s[4:5], exec
                                        ; implicit-def: $vgpr6
	s_or_saveexec_b64 s[6:7], s[6:7]
	v_mov_b32_e32 v10, s10
	s_xor_b64 exec, exec, s[6:7]
	s_cbranch_execz .LBB34_1462
.LBB34_3512:
	v_cmp_ne_u16_e32 vcc, 0, v6
	s_andn2_b64 s[4:5], s[4:5], exec
	s_and_b64 s[8:9], vcc, exec
	v_mov_b32_e32 v10, 0
	s_or_b64 s[4:5], s[4:5], s[8:9]
	s_or_b64 exec, exec, s[6:7]
	s_and_saveexec_b64 s[6:7], s[4:5]
	s_cbranch_execnz .LBB34_1463
	s_branch .LBB34_1464
.LBB34_3513:
	s_movk_i32 s4, 0x80
	v_cmp_eq_u16_sdwa s[12:13], v7, s4 src0_sel:BYTE_3 src1_sel:DWORD
	s_mov_b64 s[4:5], -1
                                        ; implicit-def: $sgpr10
	s_and_saveexec_b64 s[8:9], s[12:13]
; %bb.3514:
	s_mov_b32 s10, 0x7f800001
	s_xor_b64 s[4:5], exec, -1
; %bb.3515:
	s_or_b64 exec, exec, s[8:9]
	s_and_b64 s[4:5], s[4:5], exec
	s_or_saveexec_b64 s[6:7], s[6:7]
	v_mov_b32_e32 v2, s10
	s_xor_b64 exec, exec, s[6:7]
	s_cbranch_execz .LBB34_1466
.LBB34_3516:
	v_mov_b32_e32 v2, 0
	v_cmp_ne_u16_sdwa s[8:9], v7, v2 src0_sel:BYTE_3 src1_sel:DWORD
	s_andn2_b64 s[4:5], s[4:5], exec
	s_and_b64 s[8:9], s[8:9], exec
	s_or_b64 s[4:5], s[4:5], s[8:9]
	s_or_b64 exec, exec, s[6:7]
	s_and_saveexec_b64 s[6:7], s[4:5]
	s_cbranch_execnz .LBB34_1467
	s_branch .LBB34_1468
.LBB34_3517:
	s_movk_i32 s4, 0x80
	v_cmp_eq_u16_sdwa s[12:13], v3, s4 src0_sel:BYTE_3 src1_sel:DWORD
	s_mov_b64 s[4:5], -1
                                        ; implicit-def: $sgpr10
	s_and_saveexec_b64 s[8:9], s[12:13]
; %bb.3518:
	s_mov_b32 s10, 0x7f800001
	s_xor_b64 s[4:5], exec, -1
; %bb.3519:
	s_or_b64 exec, exec, s[8:9]
	s_and_b64 s[4:5], s[4:5], exec
	s_or_saveexec_b64 s[6:7], s[6:7]
	v_mov_b32_e32 v6, s10
	s_xor_b64 exec, exec, s[6:7]
	s_cbranch_execz .LBB34_1470
.LBB34_3520:
	v_mov_b32_e32 v6, 0
	v_cmp_ne_u16_sdwa s[8:9], v3, v6 src0_sel:BYTE_3 src1_sel:DWORD
	s_andn2_b64 s[4:5], s[4:5], exec
	s_and_b64 s[8:9], s[8:9], exec
	s_or_b64 s[4:5], s[4:5], s[8:9]
	s_or_b64 exec, exec, s[6:7]
	s_and_saveexec_b64 s[6:7], s[4:5]
	s_cbranch_execnz .LBB34_1471
	s_branch .LBB34_1472
.LBB34_3521:
	s_movk_i32 s4, 0x80
	v_cmp_eq_u16_sdwa s[12:13], v8, s4 src0_sel:BYTE_0 src1_sel:DWORD
	s_mov_b64 s[4:5], -1
                                        ; implicit-def: $sgpr10
	s_and_saveexec_b64 s[8:9], s[12:13]
; %bb.3522:
	s_mov_b32 s10, 0x7f800001
	s_xor_b64 s[4:5], exec, -1
; %bb.3523:
	s_or_b64 exec, exec, s[8:9]
	s_and_b64 s[4:5], s[4:5], exec
	s_or_saveexec_b64 s[6:7], s[6:7]
	v_mov_b32_e32 v2, s10
	s_xor_b64 exec, exec, s[6:7]
	s_cbranch_execz .LBB34_1474
.LBB34_3524:
	v_mov_b32_e32 v2, 0
	v_cmp_ne_u16_sdwa s[8:9], v8, v2 src0_sel:BYTE_0 src1_sel:DWORD
	s_andn2_b64 s[4:5], s[4:5], exec
	s_and_b64 s[8:9], s[8:9], exec
	s_or_b64 s[4:5], s[4:5], s[8:9]
	s_or_b64 exec, exec, s[6:7]
	s_and_saveexec_b64 s[6:7], s[4:5]
	s_cbranch_execnz .LBB34_1475
	s_branch .LBB34_1476
.LBB34_3525:
	s_movk_i32 s4, 0x80
	v_cmp_eq_u16_sdwa s[12:13], v4, s4 src0_sel:BYTE_0 src1_sel:DWORD
	s_mov_b64 s[4:5], -1
                                        ; implicit-def: $sgpr10
	s_and_saveexec_b64 s[8:9], s[12:13]
; %bb.3526:
	s_mov_b32 s10, 0x7f800001
	s_xor_b64 s[4:5], exec, -1
; %bb.3527:
	s_or_b64 exec, exec, s[8:9]
	s_and_b64 s[4:5], s[4:5], exec
	s_or_saveexec_b64 s[6:7], s[6:7]
	v_mov_b32_e32 v3, s10
	s_xor_b64 exec, exec, s[6:7]
	s_cbranch_execz .LBB34_1478
.LBB34_3528:
	v_mov_b32_e32 v3, 0
	v_cmp_ne_u16_sdwa s[8:9], v4, v3 src0_sel:BYTE_0 src1_sel:DWORD
	s_andn2_b64 s[4:5], s[4:5], exec
	s_and_b64 s[8:9], s[8:9], exec
	s_or_b64 s[4:5], s[4:5], s[8:9]
	s_or_b64 exec, exec, s[6:7]
	s_and_saveexec_b64 s[6:7], s[4:5]
	s_cbranch_execnz .LBB34_1479
	s_branch .LBB34_1480
.LBB34_3529:
	s_movk_i32 s4, 0x80
	v_cmp_eq_u16_sdwa s[12:13], v3, s4 src0_sel:BYTE_0 src1_sel:DWORD
	s_mov_b64 s[4:5], -1
                                        ; implicit-def: $sgpr10
	s_and_saveexec_b64 s[8:9], s[12:13]
; %bb.3530:
	s_mov_b32 s10, 0x7f800001
	s_xor_b64 s[4:5], exec, -1
; %bb.3531:
	s_or_b64 exec, exec, s[8:9]
	s_and_b64 s[4:5], s[4:5], exec
	s_or_saveexec_b64 s[6:7], s[6:7]
	v_mov_b32_e32 v2, s10
	s_xor_b64 exec, exec, s[6:7]
	s_cbranch_execz .LBB34_1482
.LBB34_3532:
	v_mov_b32_e32 v2, 0
	v_cmp_ne_u16_sdwa s[8:9], v3, v2 src0_sel:BYTE_0 src1_sel:DWORD
	s_andn2_b64 s[4:5], s[4:5], exec
	s_and_b64 s[8:9], s[8:9], exec
	s_or_b64 s[4:5], s[4:5], s[8:9]
	s_or_b64 exec, exec, s[6:7]
	s_and_saveexec_b64 s[6:7], s[4:5]
	s_cbranch_execnz .LBB34_1483
	s_branch .LBB34_1484
.LBB34_3533:
	s_movk_i32 s4, 0x80
	v_cmp_eq_u16_sdwa s[12:13], v3, s4 src0_sel:BYTE_0 src1_sel:DWORD
	s_mov_b64 s[4:5], -1
                                        ; implicit-def: $sgpr10
	s_and_saveexec_b64 s[8:9], s[12:13]
; %bb.3534:
	s_mov_b32 s10, 0x7f800001
	s_xor_b64 s[4:5], exec, -1
; %bb.3535:
	s_or_b64 exec, exec, s[8:9]
	s_and_b64 s[4:5], s[4:5], exec
	s_or_saveexec_b64 s[6:7], s[6:7]
	v_mov_b32_e32 v6, s10
	s_xor_b64 exec, exec, s[6:7]
	s_cbranch_execz .LBB34_1486
.LBB34_3536:
	v_mov_b32_e32 v6, 0
	v_cmp_ne_u16_sdwa s[8:9], v3, v6 src0_sel:BYTE_0 src1_sel:DWORD
	s_andn2_b64 s[4:5], s[4:5], exec
	s_and_b64 s[8:9], s[8:9], exec
	s_or_b64 s[4:5], s[4:5], s[8:9]
	s_or_b64 exec, exec, s[6:7]
	s_and_saveexec_b64 s[6:7], s[4:5]
	s_cbranch_execnz .LBB34_1487
	s_branch .LBB34_1488
.LBB34_3537:
	s_movk_i32 s4, 0x80
	v_cmp_eq_u16_e32 vcc, s4, v3
	s_mov_b64 s[4:5], -1
                                        ; implicit-def: $sgpr10
	s_and_saveexec_b64 s[8:9], vcc
; %bb.3538:
	s_mov_b32 s10, 0x7f800001
	s_xor_b64 s[4:5], exec, -1
; %bb.3539:
	s_or_b64 exec, exec, s[8:9]
	s_and_b64 s[4:5], s[4:5], exec
                                        ; implicit-def: $vgpr3
	s_or_saveexec_b64 s[6:7], s[6:7]
	v_mov_b32_e32 v2, s10
	s_xor_b64 exec, exec, s[6:7]
	s_cbranch_execz .LBB34_1490
.LBB34_3540:
	v_cmp_ne_u16_e32 vcc, 0, v3
	s_andn2_b64 s[4:5], s[4:5], exec
	s_and_b64 s[8:9], vcc, exec
	v_mov_b32_e32 v2, 0
	s_or_b64 s[4:5], s[4:5], s[8:9]
	s_or_b64 exec, exec, s[6:7]
	s_and_saveexec_b64 s[6:7], s[4:5]
	s_cbranch_execnz .LBB34_1491
	s_branch .LBB34_1492
.LBB34_3541:
	s_movk_i32 s4, 0x80
	v_cmp_eq_u16_e32 vcc, s4, v3
	s_mov_b64 s[4:5], -1
                                        ; implicit-def: $sgpr10
	s_and_saveexec_b64 s[8:9], vcc
; %bb.3542:
	s_mov_b32 s10, 0x7f800001
	s_xor_b64 s[4:5], exec, -1
; %bb.3543:
	s_or_b64 exec, exec, s[8:9]
	s_and_b64 s[4:5], s[4:5], exec
                                        ; implicit-def: $vgpr3
	s_or_saveexec_b64 s[6:7], s[6:7]
	v_mov_b32_e32 v6, s10
	s_xor_b64 exec, exec, s[6:7]
	s_cbranch_execz .LBB34_1494
.LBB34_3544:
	v_cmp_ne_u16_e32 vcc, 0, v3
	s_andn2_b64 s[4:5], s[4:5], exec
	s_and_b64 s[8:9], vcc, exec
	v_mov_b32_e32 v6, 0
	s_or_b64 s[4:5], s[4:5], s[8:9]
	s_or_b64 exec, exec, s[6:7]
	s_and_saveexec_b64 s[6:7], s[4:5]
	s_cbranch_execnz .LBB34_1495
	s_branch .LBB34_1496
.LBB34_3545:
	s_movk_i32 s4, 0x80
	v_cmp_eq_u16_sdwa s[12:13], v8, s4 src0_sel:BYTE_3 src1_sel:DWORD
	s_mov_b64 s[4:5], -1
                                        ; implicit-def: $sgpr10
	s_and_saveexec_b64 s[8:9], s[12:13]
; %bb.3546:
	s_mov_b32 s10, 0x7f800001
	s_xor_b64 s[4:5], exec, -1
; %bb.3547:
	s_or_b64 exec, exec, s[8:9]
	s_and_b64 s[4:5], s[4:5], exec
	s_or_saveexec_b64 s[6:7], s[6:7]
	v_mov_b32_e32 v2, s10
	s_xor_b64 exec, exec, s[6:7]
	s_cbranch_execz .LBB34_1498
.LBB34_3548:
	v_mov_b32_e32 v2, 0
	v_cmp_ne_u16_sdwa s[8:9], v8, v2 src0_sel:BYTE_3 src1_sel:DWORD
	s_andn2_b64 s[4:5], s[4:5], exec
	s_and_b64 s[8:9], s[8:9], exec
	s_or_b64 s[4:5], s[4:5], s[8:9]
	s_or_b64 exec, exec, s[6:7]
	s_and_saveexec_b64 s[6:7], s[4:5]
	s_cbranch_execnz .LBB34_1499
	s_branch .LBB34_1500
.LBB34_3549:
	s_movk_i32 s4, 0x80
	v_cmp_eq_u16_sdwa s[12:13], v4, s4 src0_sel:BYTE_3 src1_sel:DWORD
	s_mov_b64 s[4:5], -1
                                        ; implicit-def: $sgpr10
	s_and_saveexec_b64 s[8:9], s[12:13]
; %bb.3550:
	s_mov_b32 s10, 0x7f800001
	s_xor_b64 s[4:5], exec, -1
; %bb.3551:
	s_or_b64 exec, exec, s[8:9]
	s_and_b64 s[4:5], s[4:5], exec
	s_or_saveexec_b64 s[6:7], s[6:7]
	v_mov_b32_e32 v3, s10
	s_xor_b64 exec, exec, s[6:7]
	s_cbranch_execz .LBB34_1502
.LBB34_3552:
	v_mov_b32_e32 v3, 0
	v_cmp_ne_u16_sdwa s[8:9], v4, v3 src0_sel:BYTE_3 src1_sel:DWORD
	s_andn2_b64 s[4:5], s[4:5], exec
	s_and_b64 s[8:9], s[8:9], exec
	s_or_b64 s[4:5], s[4:5], s[8:9]
	s_or_b64 exec, exec, s[6:7]
	s_and_saveexec_b64 s[6:7], s[4:5]
	s_cbranch_execnz .LBB34_1503
	s_branch .LBB34_1504
.LBB34_3553:
	s_movk_i32 s4, 0x80
	v_cmp_eq_u16_sdwa s[12:13], v9, s4 src0_sel:BYTE_0 src1_sel:DWORD
	s_mov_b64 s[4:5], -1
                                        ; implicit-def: $sgpr10
	s_and_saveexec_b64 s[8:9], s[12:13]
; %bb.3554:
	s_mov_b32 s10, 0x7f800001
	s_xor_b64 s[4:5], exec, -1
; %bb.3555:
	s_or_b64 exec, exec, s[8:9]
	s_and_b64 s[4:5], s[4:5], exec
	s_or_saveexec_b64 s[6:7], s[6:7]
	v_mov_b32_e32 v2, s10
	s_xor_b64 exec, exec, s[6:7]
	s_cbranch_execz .LBB34_1506
.LBB34_3556:
	v_mov_b32_e32 v2, 0
	v_cmp_ne_u16_sdwa s[8:9], v9, v2 src0_sel:BYTE_0 src1_sel:DWORD
	s_andn2_b64 s[4:5], s[4:5], exec
	s_and_b64 s[8:9], s[8:9], exec
	s_or_b64 s[4:5], s[4:5], s[8:9]
	s_or_b64 exec, exec, s[6:7]
	s_and_saveexec_b64 s[6:7], s[4:5]
	s_cbranch_execnz .LBB34_1507
	s_branch .LBB34_1508
.LBB34_3557:
	s_movk_i32 s4, 0x80
	v_cmp_eq_u16_sdwa s[12:13], v5, s4 src0_sel:BYTE_0 src1_sel:DWORD
	s_mov_b64 s[4:5], -1
                                        ; implicit-def: $sgpr10
	s_and_saveexec_b64 s[8:9], s[12:13]
; %bb.3558:
	s_mov_b32 s10, 0x7f800001
	s_xor_b64 s[4:5], exec, -1
; %bb.3559:
	s_or_b64 exec, exec, s[8:9]
	s_and_b64 s[4:5], s[4:5], exec
	s_or_saveexec_b64 s[6:7], s[6:7]
	v_mov_b32_e32 v3, s10
	s_xor_b64 exec, exec, s[6:7]
	s_cbranch_execz .LBB34_1510
.LBB34_3560:
	v_mov_b32_e32 v3, 0
	v_cmp_ne_u16_sdwa s[8:9], v5, v3 src0_sel:BYTE_0 src1_sel:DWORD
	s_andn2_b64 s[4:5], s[4:5], exec
	s_and_b64 s[8:9], s[8:9], exec
	s_or_b64 s[4:5], s[4:5], s[8:9]
	s_or_b64 exec, exec, s[6:7]
	s_and_saveexec_b64 s[6:7], s[4:5]
	s_cbranch_execnz .LBB34_1511
	s_branch .LBB34_1512
.LBB34_3561:
	s_movk_i32 s4, 0x80
	v_cmp_eq_u16_sdwa s[12:13], v3, s4 src0_sel:BYTE_0 src1_sel:DWORD
	s_mov_b64 s[4:5], -1
                                        ; implicit-def: $sgpr10
	s_and_saveexec_b64 s[8:9], s[12:13]
; %bb.3562:
	s_mov_b32 s10, 0x7f800001
	s_xor_b64 s[4:5], exec, -1
; %bb.3563:
	s_or_b64 exec, exec, s[8:9]
	s_and_b64 s[4:5], s[4:5], exec
	s_or_saveexec_b64 s[6:7], s[6:7]
	v_mov_b32_e32 v2, s10
	s_xor_b64 exec, exec, s[6:7]
	s_cbranch_execz .LBB34_1514
.LBB34_3564:
	v_mov_b32_e32 v2, 0
	v_cmp_ne_u16_sdwa s[8:9], v3, v2 src0_sel:BYTE_0 src1_sel:DWORD
	s_andn2_b64 s[4:5], s[4:5], exec
	s_and_b64 s[8:9], s[8:9], exec
	s_or_b64 s[4:5], s[4:5], s[8:9]
	s_or_b64 exec, exec, s[6:7]
	s_and_saveexec_b64 s[6:7], s[4:5]
	s_cbranch_execnz .LBB34_1515
	s_branch .LBB34_1516
.LBB34_3565:
	s_movk_i32 s4, 0x80
	v_cmp_eq_u16_sdwa s[12:13], v3, s4 src0_sel:BYTE_0 src1_sel:DWORD
	s_mov_b64 s[4:5], -1
                                        ; implicit-def: $sgpr10
	s_and_saveexec_b64 s[8:9], s[12:13]
; %bb.3566:
	s_mov_b32 s10, 0x7f800001
	s_xor_b64 s[4:5], exec, -1
; %bb.3567:
	s_or_b64 exec, exec, s[8:9]
	s_and_b64 s[4:5], s[4:5], exec
	s_or_saveexec_b64 s[6:7], s[6:7]
	v_mov_b32_e32 v4, s10
	s_xor_b64 exec, exec, s[6:7]
	s_cbranch_execz .LBB34_1518
.LBB34_3568:
	v_mov_b32_e32 v4, 0
	v_cmp_ne_u16_sdwa s[8:9], v3, v4 src0_sel:BYTE_0 src1_sel:DWORD
	s_andn2_b64 s[4:5], s[4:5], exec
	s_and_b64 s[8:9], s[8:9], exec
	s_or_b64 s[4:5], s[4:5], s[8:9]
	s_or_b64 exec, exec, s[6:7]
	s_and_saveexec_b64 s[6:7], s[4:5]
	s_cbranch_execnz .LBB34_1519
	s_branch .LBB34_1520
.LBB34_3569:
	s_movk_i32 s4, 0x80
	v_cmp_eq_u16_e32 vcc, s4, v3
	s_mov_b64 s[4:5], -1
                                        ; implicit-def: $sgpr10
	s_and_saveexec_b64 s[8:9], vcc
; %bb.3570:
	s_mov_b32 s10, 0x7f800001
	s_xor_b64 s[4:5], exec, -1
; %bb.3571:
	s_or_b64 exec, exec, s[8:9]
	s_and_b64 s[4:5], s[4:5], exec
                                        ; implicit-def: $vgpr3
	s_or_saveexec_b64 s[6:7], s[6:7]
	v_mov_b32_e32 v2, s10
	s_xor_b64 exec, exec, s[6:7]
	s_cbranch_execz .LBB34_1522
.LBB34_3572:
	v_cmp_ne_u16_e32 vcc, 0, v3
	s_andn2_b64 s[4:5], s[4:5], exec
	s_and_b64 s[8:9], vcc, exec
	v_mov_b32_e32 v2, 0
	s_or_b64 s[4:5], s[4:5], s[8:9]
	s_or_b64 exec, exec, s[6:7]
	s_and_saveexec_b64 s[6:7], s[4:5]
	s_cbranch_execnz .LBB34_1523
	s_branch .LBB34_1524
.LBB34_3573:
	s_movk_i32 s4, 0x80
	v_cmp_eq_u16_e32 vcc, s4, v3
	s_mov_b64 s[4:5], -1
                                        ; implicit-def: $sgpr10
	s_and_saveexec_b64 s[8:9], vcc
; %bb.3574:
	s_mov_b32 s10, 0x7f800001
	s_xor_b64 s[4:5], exec, -1
; %bb.3575:
	s_or_b64 exec, exec, s[8:9]
	s_and_b64 s[4:5], s[4:5], exec
                                        ; implicit-def: $vgpr3
	s_or_saveexec_b64 s[6:7], s[6:7]
	v_mov_b32_e32 v4, s10
	s_xor_b64 exec, exec, s[6:7]
	s_cbranch_execz .LBB34_1526
.LBB34_3576:
	v_cmp_ne_u16_e32 vcc, 0, v3
	s_andn2_b64 s[4:5], s[4:5], exec
	s_and_b64 s[8:9], vcc, exec
	v_mov_b32_e32 v4, 0
	s_or_b64 s[4:5], s[4:5], s[8:9]
	s_or_b64 exec, exec, s[6:7]
	s_and_saveexec_b64 s[6:7], s[4:5]
	s_cbranch_execnz .LBB34_1527
	s_branch .LBB34_1528
.LBB34_3577:
	s_movk_i32 s4, 0x80
	v_cmp_eq_u16_sdwa s[12:13], v9, s4 src0_sel:BYTE_3 src1_sel:DWORD
	s_mov_b64 s[4:5], -1
                                        ; implicit-def: $sgpr10
	s_and_saveexec_b64 s[8:9], s[12:13]
; %bb.3578:
	s_mov_b32 s10, 0x7f800001
	s_xor_b64 s[4:5], exec, -1
; %bb.3579:
	s_or_b64 exec, exec, s[8:9]
	s_and_b64 s[4:5], s[4:5], exec
	s_or_saveexec_b64 s[6:7], s[6:7]
	v_mov_b32_e32 v2, s10
	s_xor_b64 exec, exec, s[6:7]
	s_cbranch_execz .LBB34_1530
.LBB34_3580:
	v_mov_b32_e32 v2, 0
	v_cmp_ne_u16_sdwa s[8:9], v9, v2 src0_sel:BYTE_3 src1_sel:DWORD
	s_andn2_b64 s[4:5], s[4:5], exec
	s_and_b64 s[8:9], s[8:9], exec
	s_or_b64 s[4:5], s[4:5], s[8:9]
	s_or_b64 exec, exec, s[6:7]
	s_and_saveexec_b64 s[6:7], s[4:5]
	s_cbranch_execnz .LBB34_1531
	s_branch .LBB34_1532
.LBB34_3581:
	s_movk_i32 s4, 0x80
	v_cmp_eq_u16_sdwa s[12:13], v5, s4 src0_sel:BYTE_3 src1_sel:DWORD
	s_mov_b64 s[4:5], -1
                                        ; implicit-def: $sgpr10
	s_and_saveexec_b64 s[8:9], s[12:13]
; %bb.3582:
	s_mov_b32 s10, 0x7f800001
	s_xor_b64 s[4:5], exec, -1
; %bb.3583:
	s_or_b64 exec, exec, s[8:9]
	s_and_b64 s[4:5], s[4:5], exec
	s_or_saveexec_b64 s[6:7], s[6:7]
	v_mov_b32_e32 v3, s10
	s_xor_b64 exec, exec, s[6:7]
	s_cbranch_execz .LBB34_1534
.LBB34_3584:
	v_mov_b32_e32 v3, 0
	v_cmp_ne_u16_sdwa s[8:9], v5, v3 src0_sel:BYTE_3 src1_sel:DWORD
	s_andn2_b64 s[4:5], s[4:5], exec
	s_and_b64 s[8:9], s[8:9], exec
	s_or_b64 s[4:5], s[4:5], s[8:9]
	s_or_b64 exec, exec, s[6:7]
	s_and_saveexec_b64 s[6:7], s[4:5]
	s_cbranch_execnz .LBB34_1535
	s_branch .LBB34_1536
.LBB34_3585:
	s_movk_i32 s4, 0x80
	v_cmp_eq_u16_sdwa s[12:13], v14, s4 src0_sel:BYTE_0 src1_sel:DWORD
	s_mov_b64 s[4:5], -1
                                        ; implicit-def: $sgpr10
	s_and_saveexec_b64 s[8:9], s[12:13]
; %bb.3586:
	s_mov_b32 s10, 0x7f800001
	s_xor_b64 s[4:5], exec, -1
; %bb.3587:
	s_or_b64 exec, exec, s[8:9]
	s_and_b64 s[4:5], s[4:5], exec
	s_or_saveexec_b64 s[6:7], s[6:7]
	v_mov_b32_e32 v20, s10
	s_xor_b64 exec, exec, s[6:7]
	s_cbranch_execz .LBB34_1538
.LBB34_3588:
	v_mov_b32_e32 v20, 0
	v_cmp_ne_u16_sdwa s[8:9], v14, v20 src0_sel:BYTE_0 src1_sel:DWORD
	s_andn2_b64 s[4:5], s[4:5], exec
	s_and_b64 s[8:9], s[8:9], exec
	s_or_b64 s[4:5], s[4:5], s[8:9]
	s_or_b64 exec, exec, s[6:7]
	s_and_saveexec_b64 s[6:7], s[4:5]
	s_cbranch_execnz .LBB34_1539
	s_branch .LBB34_1540
.LBB34_3589:
	s_movk_i32 s4, 0x80
	v_cmp_eq_u16_sdwa s[12:13], v10, s4 src0_sel:BYTE_0 src1_sel:DWORD
	s_mov_b64 s[4:5], -1
                                        ; implicit-def: $sgpr10
	s_and_saveexec_b64 s[8:9], s[12:13]
; %bb.3590:
	s_mov_b32 s10, 0x7f800001
	s_xor_b64 s[4:5], exec, -1
; %bb.3591:
	s_or_b64 exec, exec, s[8:9]
	s_and_b64 s[4:5], s[4:5], exec
	s_or_saveexec_b64 s[6:7], s[6:7]
	v_mov_b32_e32 v21, s10
	s_xor_b64 exec, exec, s[6:7]
	s_cbranch_execz .LBB34_1542
.LBB34_3592:
	v_mov_b32_e32 v21, 0
	v_cmp_ne_u16_sdwa s[8:9], v10, v21 src0_sel:BYTE_0 src1_sel:DWORD
	s_andn2_b64 s[4:5], s[4:5], exec
	s_and_b64 s[8:9], s[8:9], exec
	s_or_b64 s[4:5], s[4:5], s[8:9]
	s_or_b64 exec, exec, s[6:7]
	s_and_saveexec_b64 s[6:7], s[4:5]
	s_cbranch_execnz .LBB34_1543
	s_branch .LBB34_1544
.LBB34_3593:
	s_movk_i32 s4, 0x80
	v_cmp_eq_u16_sdwa s[12:13], v21, s4 src0_sel:BYTE_0 src1_sel:DWORD
	s_mov_b64 s[4:5], -1
                                        ; implicit-def: $sgpr10
	s_and_saveexec_b64 s[8:9], s[12:13]
; %bb.3594:
	s_mov_b32 s10, 0x7f800001
	s_xor_b64 s[4:5], exec, -1
; %bb.3595:
	s_or_b64 exec, exec, s[8:9]
	s_and_b64 s[4:5], s[4:5], exec
	s_or_saveexec_b64 s[6:7], s[6:7]
	v_mov_b32_e32 v20, s10
	s_xor_b64 exec, exec, s[6:7]
	s_cbranch_execz .LBB34_1546
.LBB34_3596:
	v_mov_b32_e32 v20, 0
	v_cmp_ne_u16_sdwa s[8:9], v21, v20 src0_sel:BYTE_0 src1_sel:DWORD
	s_andn2_b64 s[4:5], s[4:5], exec
	s_and_b64 s[8:9], s[8:9], exec
	s_or_b64 s[4:5], s[4:5], s[8:9]
	s_or_b64 exec, exec, s[6:7]
	s_and_saveexec_b64 s[6:7], s[4:5]
	s_cbranch_execnz .LBB34_1547
	s_branch .LBB34_1548
.LBB34_3597:
	s_movk_i32 s4, 0x80
	v_cmp_eq_u16_sdwa s[12:13], v21, s4 src0_sel:BYTE_0 src1_sel:DWORD
	s_mov_b64 s[4:5], -1
                                        ; implicit-def: $sgpr10
	s_and_saveexec_b64 s[8:9], s[12:13]
; %bb.3598:
	s_mov_b32 s10, 0x7f800001
	s_xor_b64 s[4:5], exec, -1
; %bb.3599:
	s_or_b64 exec, exec, s[8:9]
	s_and_b64 s[4:5], s[4:5], exec
	s_or_saveexec_b64 s[6:7], s[6:7]
	v_mov_b32_e32 v22, s10
	s_xor_b64 exec, exec, s[6:7]
	s_cbranch_execz .LBB34_1550
.LBB34_3600:
	v_mov_b32_e32 v22, 0
	v_cmp_ne_u16_sdwa s[8:9], v21, v22 src0_sel:BYTE_0 src1_sel:DWORD
	s_andn2_b64 s[4:5], s[4:5], exec
	s_and_b64 s[8:9], s[8:9], exec
	s_or_b64 s[4:5], s[4:5], s[8:9]
	s_or_b64 exec, exec, s[6:7]
	s_and_saveexec_b64 s[6:7], s[4:5]
	s_cbranch_execnz .LBB34_1551
	s_branch .LBB34_1552
.LBB34_3601:
	s_movk_i32 s4, 0x80
	v_cmp_eq_u16_e32 vcc, s4, v21
	s_mov_b64 s[4:5], -1
                                        ; implicit-def: $sgpr10
	s_and_saveexec_b64 s[8:9], vcc
; %bb.3602:
	s_mov_b32 s10, 0x7f800001
	s_xor_b64 s[4:5], exec, -1
; %bb.3603:
	s_or_b64 exec, exec, s[8:9]
	s_and_b64 s[4:5], s[4:5], exec
                                        ; implicit-def: $vgpr21
	s_or_saveexec_b64 s[6:7], s[6:7]
	v_mov_b32_e32 v20, s10
	s_xor_b64 exec, exec, s[6:7]
	s_cbranch_execz .LBB34_1554
.LBB34_3604:
	v_cmp_ne_u16_e32 vcc, 0, v21
	s_andn2_b64 s[4:5], s[4:5], exec
	s_and_b64 s[8:9], vcc, exec
	v_mov_b32_e32 v20, 0
	s_or_b64 s[4:5], s[4:5], s[8:9]
	s_or_b64 exec, exec, s[6:7]
	s_and_saveexec_b64 s[6:7], s[4:5]
	s_cbranch_execnz .LBB34_1555
	s_branch .LBB34_1556
.LBB34_3605:
	s_movk_i32 s4, 0x80
	v_cmp_eq_u16_e32 vcc, s4, v21
	s_mov_b64 s[4:5], -1
                                        ; implicit-def: $sgpr10
	s_and_saveexec_b64 s[8:9], vcc
; %bb.3606:
	s_mov_b32 s10, 0x7f800001
	s_xor_b64 s[4:5], exec, -1
; %bb.3607:
	s_or_b64 exec, exec, s[8:9]
	s_and_b64 s[4:5], s[4:5], exec
                                        ; implicit-def: $vgpr21
	s_or_saveexec_b64 s[6:7], s[6:7]
	v_mov_b32_e32 v22, s10
	s_xor_b64 exec, exec, s[6:7]
	s_cbranch_execz .LBB34_1558
.LBB34_3608:
	v_cmp_ne_u16_e32 vcc, 0, v21
	s_andn2_b64 s[4:5], s[4:5], exec
	s_and_b64 s[8:9], vcc, exec
	v_mov_b32_e32 v22, 0
	s_or_b64 s[4:5], s[4:5], s[8:9]
	s_or_b64 exec, exec, s[6:7]
	s_and_saveexec_b64 s[6:7], s[4:5]
	s_cbranch_execnz .LBB34_1559
	s_branch .LBB34_1560
.LBB34_3609:
	s_movk_i32 s4, 0x80
	v_cmp_eq_u16_sdwa s[12:13], v14, s4 src0_sel:BYTE_3 src1_sel:DWORD
	s_mov_b64 s[4:5], -1
                                        ; implicit-def: $sgpr10
	s_and_saveexec_b64 s[8:9], s[12:13]
; %bb.3610:
	s_mov_b32 s10, 0x7f800001
	s_xor_b64 s[4:5], exec, -1
; %bb.3611:
	s_or_b64 exec, exec, s[8:9]
	s_and_b64 s[4:5], s[4:5], exec
	s_or_saveexec_b64 s[6:7], s[6:7]
	v_mov_b32_e32 v20, s10
	s_xor_b64 exec, exec, s[6:7]
	s_cbranch_execz .LBB34_1562
.LBB34_3612:
	v_mov_b32_e32 v20, 0
	v_cmp_ne_u16_sdwa s[8:9], v14, v20 src0_sel:BYTE_3 src1_sel:DWORD
	s_andn2_b64 s[4:5], s[4:5], exec
	s_and_b64 s[8:9], s[8:9], exec
	s_or_b64 s[4:5], s[4:5], s[8:9]
	s_or_b64 exec, exec, s[6:7]
	s_and_saveexec_b64 s[6:7], s[4:5]
	s_cbranch_execnz .LBB34_1563
	s_branch .LBB34_1564
.LBB34_3613:
	s_movk_i32 s4, 0x80
	v_cmp_eq_u16_sdwa s[12:13], v10, s4 src0_sel:BYTE_3 src1_sel:DWORD
	s_mov_b64 s[4:5], -1
                                        ; implicit-def: $sgpr10
	s_and_saveexec_b64 s[8:9], s[12:13]
; %bb.3614:
	s_mov_b32 s10, 0x7f800001
	s_xor_b64 s[4:5], exec, -1
; %bb.3615:
	s_or_b64 exec, exec, s[8:9]
	s_and_b64 s[4:5], s[4:5], exec
	s_or_saveexec_b64 s[6:7], s[6:7]
	v_mov_b32_e32 v14, s10
	s_xor_b64 exec, exec, s[6:7]
	s_cbranch_execz .LBB34_1566
.LBB34_3616:
	v_mov_b32_e32 v14, 0
	v_cmp_ne_u16_sdwa s[8:9], v10, v14 src0_sel:BYTE_3 src1_sel:DWORD
	s_andn2_b64 s[4:5], s[4:5], exec
	s_and_b64 s[8:9], s[8:9], exec
	s_or_b64 s[4:5], s[4:5], s[8:9]
	s_or_b64 exec, exec, s[6:7]
	s_and_saveexec_b64 s[6:7], s[4:5]
	s_cbranch_execnz .LBB34_1567
	s_branch .LBB34_1568
.LBB34_3617:
	s_movk_i32 s4, 0x80
	v_cmp_eq_u16_sdwa s[12:13], v15, s4 src0_sel:BYTE_0 src1_sel:DWORD
	s_mov_b64 s[4:5], -1
                                        ; implicit-def: $sgpr10
	s_and_saveexec_b64 s[8:9], s[12:13]
; %bb.3618:
	s_mov_b32 s10, 0x7f800001
	s_xor_b64 s[4:5], exec, -1
; %bb.3619:
	s_or_b64 exec, exec, s[8:9]
	s_and_b64 s[4:5], s[4:5], exec
	s_or_saveexec_b64 s[6:7], s[6:7]
	v_mov_b32_e32 v10, s10
	s_xor_b64 exec, exec, s[6:7]
	s_cbranch_execz .LBB34_1570
.LBB34_3620:
	v_mov_b32_e32 v10, 0
	v_cmp_ne_u16_sdwa s[8:9], v15, v10 src0_sel:BYTE_0 src1_sel:DWORD
	s_andn2_b64 s[4:5], s[4:5], exec
	s_and_b64 s[8:9], s[8:9], exec
	s_or_b64 s[4:5], s[4:5], s[8:9]
	s_or_b64 exec, exec, s[6:7]
	s_and_saveexec_b64 s[6:7], s[4:5]
	s_cbranch_execnz .LBB34_1571
	s_branch .LBB34_1572
.LBB34_3621:
	s_movk_i32 s4, 0x80
	v_cmp_eq_u16_sdwa s[12:13], v11, s4 src0_sel:BYTE_0 src1_sel:DWORD
	s_mov_b64 s[4:5], -1
                                        ; implicit-def: $sgpr10
	s_and_saveexec_b64 s[8:9], s[12:13]
; %bb.3622:
	s_mov_b32 s10, 0x7f800001
	s_xor_b64 s[4:5], exec, -1
; %bb.3623:
	s_or_b64 exec, exec, s[8:9]
	s_and_b64 s[4:5], s[4:5], exec
	s_or_saveexec_b64 s[6:7], s[6:7]
	v_mov_b32_e32 v14, s10
	s_xor_b64 exec, exec, s[6:7]
	s_cbranch_execz .LBB34_1574
.LBB34_3624:
	v_mov_b32_e32 v14, 0
	v_cmp_ne_u16_sdwa s[8:9], v11, v14 src0_sel:BYTE_0 src1_sel:DWORD
	s_andn2_b64 s[4:5], s[4:5], exec
	s_and_b64 s[8:9], s[8:9], exec
	s_or_b64 s[4:5], s[4:5], s[8:9]
	s_or_b64 exec, exec, s[6:7]
	s_and_saveexec_b64 s[6:7], s[4:5]
	s_cbranch_execnz .LBB34_1575
	s_branch .LBB34_1576
.LBB34_3625:
	s_movk_i32 s4, 0x80
	v_cmp_eq_u16_sdwa s[12:13], v14, s4 src0_sel:BYTE_0 src1_sel:DWORD
	s_mov_b64 s[4:5], -1
                                        ; implicit-def: $sgpr10
	s_and_saveexec_b64 s[8:9], s[12:13]
; %bb.3626:
	s_mov_b32 s10, 0x7f800001
	s_xor_b64 s[4:5], exec, -1
; %bb.3627:
	s_or_b64 exec, exec, s[8:9]
	s_and_b64 s[4:5], s[4:5], exec
	s_or_saveexec_b64 s[6:7], s[6:7]
	v_mov_b32_e32 v10, s10
	s_xor_b64 exec, exec, s[6:7]
	s_cbranch_execz .LBB34_1578
.LBB34_3628:
	v_mov_b32_e32 v10, 0
	v_cmp_ne_u16_sdwa s[8:9], v14, v10 src0_sel:BYTE_0 src1_sel:DWORD
	s_andn2_b64 s[4:5], s[4:5], exec
	s_and_b64 s[8:9], s[8:9], exec
	s_or_b64 s[4:5], s[4:5], s[8:9]
	s_or_b64 exec, exec, s[6:7]
	s_and_saveexec_b64 s[6:7], s[4:5]
	s_cbranch_execnz .LBB34_1579
	s_branch .LBB34_1580
.LBB34_3629:
	s_movk_i32 s4, 0x80
	v_cmp_eq_u16_sdwa s[12:13], v14, s4 src0_sel:BYTE_0 src1_sel:DWORD
	s_mov_b64 s[4:5], -1
                                        ; implicit-def: $sgpr10
	s_and_saveexec_b64 s[8:9], s[12:13]
; %bb.3630:
	s_mov_b32 s10, 0x7f800001
	s_xor_b64 s[4:5], exec, -1
; %bb.3631:
	s_or_b64 exec, exec, s[8:9]
	s_and_b64 s[4:5], s[4:5], exec
	s_or_saveexec_b64 s[6:7], s[6:7]
	v_mov_b32_e32 v20, s10
	s_xor_b64 exec, exec, s[6:7]
	s_cbranch_execz .LBB34_1582
.LBB34_3632:
	v_mov_b32_e32 v20, 0
	v_cmp_ne_u16_sdwa s[8:9], v14, v20 src0_sel:BYTE_0 src1_sel:DWORD
	s_andn2_b64 s[4:5], s[4:5], exec
	s_and_b64 s[8:9], s[8:9], exec
	s_or_b64 s[4:5], s[4:5], s[8:9]
	s_or_b64 exec, exec, s[6:7]
	s_and_saveexec_b64 s[6:7], s[4:5]
	s_cbranch_execnz .LBB34_1583
	s_branch .LBB34_1584
.LBB34_3633:
	s_movk_i32 s4, 0x80
	v_cmp_eq_u16_e32 vcc, s4, v14
	s_mov_b64 s[4:5], -1
                                        ; implicit-def: $sgpr10
	s_and_saveexec_b64 s[8:9], vcc
; %bb.3634:
	s_mov_b32 s10, 0x7f800001
	s_xor_b64 s[4:5], exec, -1
; %bb.3635:
	s_or_b64 exec, exec, s[8:9]
	s_and_b64 s[4:5], s[4:5], exec
                                        ; implicit-def: $vgpr14
	s_or_saveexec_b64 s[6:7], s[6:7]
	v_mov_b32_e32 v10, s10
	s_xor_b64 exec, exec, s[6:7]
	s_cbranch_execz .LBB34_1586
.LBB34_3636:
	v_cmp_ne_u16_e32 vcc, 0, v14
	s_andn2_b64 s[4:5], s[4:5], exec
	s_and_b64 s[8:9], vcc, exec
	v_mov_b32_e32 v10, 0
	s_or_b64 s[4:5], s[4:5], s[8:9]
	s_or_b64 exec, exec, s[6:7]
	s_and_saveexec_b64 s[6:7], s[4:5]
	s_cbranch_execnz .LBB34_1587
	s_branch .LBB34_1588
.LBB34_3637:
	s_movk_i32 s4, 0x80
	v_cmp_eq_u16_e32 vcc, s4, v14
	s_mov_b64 s[4:5], -1
                                        ; implicit-def: $sgpr10
	s_and_saveexec_b64 s[8:9], vcc
; %bb.3638:
	s_mov_b32 s10, 0x7f800001
	s_xor_b64 s[4:5], exec, -1
; %bb.3639:
	s_or_b64 exec, exec, s[8:9]
	s_and_b64 s[4:5], s[4:5], exec
                                        ; implicit-def: $vgpr14
	s_or_saveexec_b64 s[6:7], s[6:7]
	v_mov_b32_e32 v20, s10
	s_xor_b64 exec, exec, s[6:7]
	s_cbranch_execz .LBB34_1590
.LBB34_3640:
	v_cmp_ne_u16_e32 vcc, 0, v14
	s_andn2_b64 s[4:5], s[4:5], exec
	s_and_b64 s[8:9], vcc, exec
	v_mov_b32_e32 v20, 0
	s_or_b64 s[4:5], s[4:5], s[8:9]
	s_or_b64 exec, exec, s[6:7]
	s_and_saveexec_b64 s[6:7], s[4:5]
	s_cbranch_execnz .LBB34_1591
	s_branch .LBB34_1592
.LBB34_3641:
	s_movk_i32 s4, 0x80
	v_cmp_eq_u16_sdwa s[12:13], v15, s4 src0_sel:BYTE_3 src1_sel:DWORD
	s_mov_b64 s[4:5], -1
                                        ; implicit-def: $sgpr10
	s_and_saveexec_b64 s[8:9], s[12:13]
; %bb.3642:
	s_mov_b32 s10, 0x7f800001
	s_xor_b64 s[4:5], exec, -1
; %bb.3643:
	s_or_b64 exec, exec, s[8:9]
	s_and_b64 s[4:5], s[4:5], exec
	s_or_saveexec_b64 s[6:7], s[6:7]
	v_mov_b32_e32 v10, s10
	s_xor_b64 exec, exec, s[6:7]
	s_cbranch_execz .LBB34_1594
.LBB34_3644:
	v_mov_b32_e32 v10, 0
	v_cmp_ne_u16_sdwa s[8:9], v15, v10 src0_sel:BYTE_3 src1_sel:DWORD
	s_andn2_b64 s[4:5], s[4:5], exec
	s_and_b64 s[8:9], s[8:9], exec
	s_or_b64 s[4:5], s[4:5], s[8:9]
	s_or_b64 exec, exec, s[6:7]
	s_and_saveexec_b64 s[6:7], s[4:5]
	s_cbranch_execnz .LBB34_1595
	s_branch .LBB34_1596
.LBB34_3645:
	s_movk_i32 s4, 0x80
	v_cmp_eq_u16_sdwa s[12:13], v11, s4 src0_sel:BYTE_3 src1_sel:DWORD
	s_mov_b64 s[4:5], -1
                                        ; implicit-def: $sgpr10
	s_and_saveexec_b64 s[8:9], s[12:13]
; %bb.3646:
	s_mov_b32 s10, 0x7f800001
	s_xor_b64 s[4:5], exec, -1
; %bb.3647:
	s_or_b64 exec, exec, s[8:9]
	s_and_b64 s[4:5], s[4:5], exec
	s_or_saveexec_b64 s[6:7], s[6:7]
	v_mov_b32_e32 v14, s10
	s_xor_b64 exec, exec, s[6:7]
	s_cbranch_execz .LBB34_1598
.LBB34_3648:
	v_mov_b32_e32 v14, 0
	v_cmp_ne_u16_sdwa s[8:9], v11, v14 src0_sel:BYTE_3 src1_sel:DWORD
	s_andn2_b64 s[4:5], s[4:5], exec
	s_and_b64 s[8:9], s[8:9], exec
	s_or_b64 s[4:5], s[4:5], s[8:9]
	s_or_b64 exec, exec, s[6:7]
	s_and_saveexec_b64 s[6:7], s[4:5]
	s_cbranch_execnz .LBB34_1599
	s_branch .LBB34_1600
.LBB34_3649:
	s_movk_i32 s4, 0x80
	v_cmp_eq_u16_sdwa s[12:13], v16, s4 src0_sel:BYTE_0 src1_sel:DWORD
	s_mov_b64 s[4:5], -1
                                        ; implicit-def: $sgpr10
	s_and_saveexec_b64 s[8:9], s[12:13]
; %bb.3650:
	s_mov_b32 s10, 0x7f800001
	s_xor_b64 s[4:5], exec, -1
; %bb.3651:
	s_or_b64 exec, exec, s[8:9]
	s_and_b64 s[4:5], s[4:5], exec
	s_or_saveexec_b64 s[6:7], s[6:7]
	v_mov_b32_e32 v10, s10
	s_xor_b64 exec, exec, s[6:7]
	s_cbranch_execz .LBB34_1602
.LBB34_3652:
	v_mov_b32_e32 v10, 0
	v_cmp_ne_u16_sdwa s[8:9], v16, v10 src0_sel:BYTE_0 src1_sel:DWORD
	s_andn2_b64 s[4:5], s[4:5], exec
	s_and_b64 s[8:9], s[8:9], exec
	s_or_b64 s[4:5], s[4:5], s[8:9]
	s_or_b64 exec, exec, s[6:7]
	s_and_saveexec_b64 s[6:7], s[4:5]
	s_cbranch_execnz .LBB34_1603
	s_branch .LBB34_1604
.LBB34_3653:
	s_movk_i32 s4, 0x80
	v_cmp_eq_u16_sdwa s[12:13], v12, s4 src0_sel:BYTE_0 src1_sel:DWORD
	s_mov_b64 s[4:5], -1
                                        ; implicit-def: $sgpr10
	s_and_saveexec_b64 s[8:9], s[12:13]
; %bb.3654:
	s_mov_b32 s10, 0x7f800001
	s_xor_b64 s[4:5], exec, -1
; %bb.3655:
	s_or_b64 exec, exec, s[8:9]
	s_and_b64 s[4:5], s[4:5], exec
	s_or_saveexec_b64 s[6:7], s[6:7]
	v_mov_b32_e32 v11, s10
	s_xor_b64 exec, exec, s[6:7]
	s_cbranch_execz .LBB34_1606
.LBB34_3656:
	v_mov_b32_e32 v11, 0
	v_cmp_ne_u16_sdwa s[8:9], v12, v11 src0_sel:BYTE_0 src1_sel:DWORD
	s_andn2_b64 s[4:5], s[4:5], exec
	s_and_b64 s[8:9], s[8:9], exec
	s_or_b64 s[4:5], s[4:5], s[8:9]
	s_or_b64 exec, exec, s[6:7]
	s_and_saveexec_b64 s[6:7], s[4:5]
	s_cbranch_execnz .LBB34_1607
	s_branch .LBB34_1608
.LBB34_3657:
	s_movk_i32 s4, 0x80
	v_cmp_eq_u16_sdwa s[12:13], v11, s4 src0_sel:BYTE_0 src1_sel:DWORD
	s_mov_b64 s[4:5], -1
                                        ; implicit-def: $sgpr10
	s_and_saveexec_b64 s[8:9], s[12:13]
; %bb.3658:
	s_mov_b32 s10, 0x7f800001
	s_xor_b64 s[4:5], exec, -1
; %bb.3659:
	s_or_b64 exec, exec, s[8:9]
	s_and_b64 s[4:5], s[4:5], exec
	s_or_saveexec_b64 s[6:7], s[6:7]
	v_mov_b32_e32 v10, s10
	s_xor_b64 exec, exec, s[6:7]
	s_cbranch_execz .LBB34_1610
.LBB34_3660:
	v_mov_b32_e32 v10, 0
	v_cmp_ne_u16_sdwa s[8:9], v11, v10 src0_sel:BYTE_0 src1_sel:DWORD
	s_andn2_b64 s[4:5], s[4:5], exec
	s_and_b64 s[8:9], s[8:9], exec
	s_or_b64 s[4:5], s[4:5], s[8:9]
	s_or_b64 exec, exec, s[6:7]
	s_and_saveexec_b64 s[6:7], s[4:5]
	s_cbranch_execnz .LBB34_1611
	s_branch .LBB34_1612
.LBB34_3661:
	s_movk_i32 s4, 0x80
	v_cmp_eq_u16_sdwa s[12:13], v11, s4 src0_sel:BYTE_0 src1_sel:DWORD
	s_mov_b64 s[4:5], -1
                                        ; implicit-def: $sgpr10
	s_and_saveexec_b64 s[8:9], s[12:13]
; %bb.3662:
	s_mov_b32 s10, 0x7f800001
	s_xor_b64 s[4:5], exec, -1
; %bb.3663:
	s_or_b64 exec, exec, s[8:9]
	s_and_b64 s[4:5], s[4:5], exec
	s_or_saveexec_b64 s[6:7], s[6:7]
	v_mov_b32_e32 v14, s10
	s_xor_b64 exec, exec, s[6:7]
	s_cbranch_execz .LBB34_1614
.LBB34_3664:
	v_mov_b32_e32 v14, 0
	v_cmp_ne_u16_sdwa s[8:9], v11, v14 src0_sel:BYTE_0 src1_sel:DWORD
	s_andn2_b64 s[4:5], s[4:5], exec
	s_and_b64 s[8:9], s[8:9], exec
	s_or_b64 s[4:5], s[4:5], s[8:9]
	s_or_b64 exec, exec, s[6:7]
	s_and_saveexec_b64 s[6:7], s[4:5]
	s_cbranch_execnz .LBB34_1615
	s_branch .LBB34_1616
.LBB34_3665:
	s_movk_i32 s4, 0x80
	v_cmp_eq_u16_e32 vcc, s4, v11
	s_mov_b64 s[4:5], -1
                                        ; implicit-def: $sgpr10
	s_and_saveexec_b64 s[8:9], vcc
; %bb.3666:
	s_mov_b32 s10, 0x7f800001
	s_xor_b64 s[4:5], exec, -1
; %bb.3667:
	s_or_b64 exec, exec, s[8:9]
	s_and_b64 s[4:5], s[4:5], exec
                                        ; implicit-def: $vgpr11
	s_or_saveexec_b64 s[6:7], s[6:7]
	v_mov_b32_e32 v10, s10
	s_xor_b64 exec, exec, s[6:7]
	s_cbranch_execz .LBB34_1618
.LBB34_3668:
	v_cmp_ne_u16_e32 vcc, 0, v11
	s_andn2_b64 s[4:5], s[4:5], exec
	s_and_b64 s[8:9], vcc, exec
	v_mov_b32_e32 v10, 0
	s_or_b64 s[4:5], s[4:5], s[8:9]
	s_or_b64 exec, exec, s[6:7]
	s_and_saveexec_b64 s[6:7], s[4:5]
	s_cbranch_execnz .LBB34_1619
	s_branch .LBB34_1620
.LBB34_3669:
	s_movk_i32 s4, 0x80
	v_cmp_eq_u16_e32 vcc, s4, v11
	s_mov_b64 s[4:5], -1
                                        ; implicit-def: $sgpr10
	s_and_saveexec_b64 s[8:9], vcc
; %bb.3670:
	s_mov_b32 s10, 0x7f800001
	s_xor_b64 s[4:5], exec, -1
; %bb.3671:
	s_or_b64 exec, exec, s[8:9]
	s_and_b64 s[4:5], s[4:5], exec
                                        ; implicit-def: $vgpr11
	s_or_saveexec_b64 s[6:7], s[6:7]
	v_mov_b32_e32 v14, s10
	s_xor_b64 exec, exec, s[6:7]
	s_cbranch_execz .LBB34_1622
.LBB34_3672:
	v_cmp_ne_u16_e32 vcc, 0, v11
	s_andn2_b64 s[4:5], s[4:5], exec
	s_and_b64 s[8:9], vcc, exec
	v_mov_b32_e32 v14, 0
	s_or_b64 s[4:5], s[4:5], s[8:9]
	s_or_b64 exec, exec, s[6:7]
	s_and_saveexec_b64 s[6:7], s[4:5]
	s_cbranch_execnz .LBB34_1623
	s_branch .LBB34_1624
.LBB34_3673:
	s_movk_i32 s4, 0x80
	v_cmp_eq_u16_sdwa s[12:13], v16, s4 src0_sel:BYTE_3 src1_sel:DWORD
	s_mov_b64 s[4:5], -1
                                        ; implicit-def: $sgpr10
	s_and_saveexec_b64 s[8:9], s[12:13]
; %bb.3674:
	s_mov_b32 s10, 0x7f800001
	s_xor_b64 s[4:5], exec, -1
; %bb.3675:
	s_or_b64 exec, exec, s[8:9]
	s_and_b64 s[4:5], s[4:5], exec
	s_or_saveexec_b64 s[6:7], s[6:7]
	v_mov_b32_e32 v10, s10
	s_xor_b64 exec, exec, s[6:7]
	s_cbranch_execz .LBB34_1626
.LBB34_3676:
	v_mov_b32_e32 v10, 0
	v_cmp_ne_u16_sdwa s[8:9], v16, v10 src0_sel:BYTE_3 src1_sel:DWORD
	s_andn2_b64 s[4:5], s[4:5], exec
	s_and_b64 s[8:9], s[8:9], exec
	s_or_b64 s[4:5], s[4:5], s[8:9]
	s_or_b64 exec, exec, s[6:7]
	s_and_saveexec_b64 s[6:7], s[4:5]
	s_cbranch_execnz .LBB34_1627
	s_branch .LBB34_1628
.LBB34_3677:
	s_movk_i32 s4, 0x80
	v_cmp_eq_u16_sdwa s[12:13], v12, s4 src0_sel:BYTE_3 src1_sel:DWORD
	s_mov_b64 s[4:5], -1
                                        ; implicit-def: $sgpr10
	s_and_saveexec_b64 s[8:9], s[12:13]
; %bb.3678:
	s_mov_b32 s10, 0x7f800001
	s_xor_b64 s[4:5], exec, -1
; %bb.3679:
	s_or_b64 exec, exec, s[8:9]
	s_and_b64 s[4:5], s[4:5], exec
	s_or_saveexec_b64 s[6:7], s[6:7]
	v_mov_b32_e32 v11, s10
	s_xor_b64 exec, exec, s[6:7]
	s_cbranch_execz .LBB34_1630
.LBB34_3680:
	v_mov_b32_e32 v11, 0
	v_cmp_ne_u16_sdwa s[8:9], v12, v11 src0_sel:BYTE_3 src1_sel:DWORD
	s_andn2_b64 s[4:5], s[4:5], exec
	s_and_b64 s[8:9], s[8:9], exec
	s_or_b64 s[4:5], s[4:5], s[8:9]
	s_or_b64 exec, exec, s[6:7]
	s_and_saveexec_b64 s[6:7], s[4:5]
	s_cbranch_execnz .LBB34_1631
	s_branch .LBB34_1632
.LBB34_3681:
	s_movk_i32 s4, 0x80
	v_cmp_eq_u16_sdwa s[12:13], v17, s4 src0_sel:BYTE_0 src1_sel:DWORD
	s_mov_b64 s[4:5], -1
                                        ; implicit-def: $sgpr10
	s_and_saveexec_b64 s[8:9], s[12:13]
; %bb.3682:
	s_mov_b32 s10, 0x7f800001
	s_xor_b64 s[4:5], exec, -1
; %bb.3683:
	s_or_b64 exec, exec, s[8:9]
	s_and_b64 s[4:5], s[4:5], exec
	s_or_saveexec_b64 s[6:7], s[6:7]
	v_mov_b32_e32 v10, s10
	s_xor_b64 exec, exec, s[6:7]
	s_cbranch_execz .LBB34_1634
.LBB34_3684:
	v_mov_b32_e32 v10, 0
	v_cmp_ne_u16_sdwa s[8:9], v17, v10 src0_sel:BYTE_0 src1_sel:DWORD
	s_andn2_b64 s[4:5], s[4:5], exec
	s_and_b64 s[8:9], s[8:9], exec
	s_or_b64 s[4:5], s[4:5], s[8:9]
	s_or_b64 exec, exec, s[6:7]
	s_and_saveexec_b64 s[6:7], s[4:5]
	s_cbranch_execnz .LBB34_1635
	s_branch .LBB34_1636
.LBB34_3685:
	s_movk_i32 s4, 0x80
	v_cmp_eq_u16_sdwa s[12:13], v13, s4 src0_sel:BYTE_0 src1_sel:DWORD
	s_mov_b64 s[4:5], -1
                                        ; implicit-def: $sgpr10
	s_and_saveexec_b64 s[8:9], s[12:13]
; %bb.3686:
	s_mov_b32 s10, 0x7f800001
	s_xor_b64 s[4:5], exec, -1
; %bb.3687:
	s_or_b64 exec, exec, s[8:9]
	s_and_b64 s[4:5], s[4:5], exec
	s_or_saveexec_b64 s[6:7], s[6:7]
	v_mov_b32_e32 v11, s10
	s_xor_b64 exec, exec, s[6:7]
	s_cbranch_execz .LBB34_1638
.LBB34_3688:
	v_mov_b32_e32 v11, 0
	v_cmp_ne_u16_sdwa s[8:9], v13, v11 src0_sel:BYTE_0 src1_sel:DWORD
	s_andn2_b64 s[4:5], s[4:5], exec
	s_and_b64 s[8:9], s[8:9], exec
	s_or_b64 s[4:5], s[4:5], s[8:9]
	s_or_b64 exec, exec, s[6:7]
	s_and_saveexec_b64 s[6:7], s[4:5]
	s_cbranch_execnz .LBB34_1639
	s_branch .LBB34_1640
.LBB34_3689:
	s_movk_i32 s4, 0x80
	v_cmp_eq_u16_sdwa s[12:13], v11, s4 src0_sel:BYTE_0 src1_sel:DWORD
	s_mov_b64 s[4:5], -1
                                        ; implicit-def: $sgpr10
	s_and_saveexec_b64 s[8:9], s[12:13]
; %bb.3690:
	s_mov_b32 s10, 0x7f800001
	s_xor_b64 s[4:5], exec, -1
; %bb.3691:
	s_or_b64 exec, exec, s[8:9]
	s_and_b64 s[4:5], s[4:5], exec
	s_or_saveexec_b64 s[6:7], s[6:7]
	v_mov_b32_e32 v10, s10
	s_xor_b64 exec, exec, s[6:7]
	s_cbranch_execz .LBB34_1642
.LBB34_3692:
	v_mov_b32_e32 v10, 0
	v_cmp_ne_u16_sdwa s[8:9], v11, v10 src0_sel:BYTE_0 src1_sel:DWORD
	s_andn2_b64 s[4:5], s[4:5], exec
	s_and_b64 s[8:9], s[8:9], exec
	s_or_b64 s[4:5], s[4:5], s[8:9]
	s_or_b64 exec, exec, s[6:7]
	s_and_saveexec_b64 s[6:7], s[4:5]
	s_cbranch_execnz .LBB34_1643
	s_branch .LBB34_1644
.LBB34_3693:
	s_movk_i32 s4, 0x80
	v_cmp_eq_u16_sdwa s[12:13], v11, s4 src0_sel:BYTE_0 src1_sel:DWORD
	s_mov_b64 s[4:5], -1
                                        ; implicit-def: $sgpr10
	s_and_saveexec_b64 s[8:9], s[12:13]
; %bb.3694:
	s_mov_b32 s10, 0x7f800001
	s_xor_b64 s[4:5], exec, -1
; %bb.3695:
	s_or_b64 exec, exec, s[8:9]
	s_and_b64 s[4:5], s[4:5], exec
	s_or_saveexec_b64 s[6:7], s[6:7]
	v_mov_b32_e32 v12, s10
	s_xor_b64 exec, exec, s[6:7]
	s_cbranch_execz .LBB34_1646
.LBB34_3696:
	v_mov_b32_e32 v12, 0
	v_cmp_ne_u16_sdwa s[8:9], v11, v12 src0_sel:BYTE_0 src1_sel:DWORD
	s_andn2_b64 s[4:5], s[4:5], exec
	s_and_b64 s[8:9], s[8:9], exec
	s_or_b64 s[4:5], s[4:5], s[8:9]
	s_or_b64 exec, exec, s[6:7]
	s_and_saveexec_b64 s[6:7], s[4:5]
	s_cbranch_execnz .LBB34_1647
	s_branch .LBB34_1648
.LBB34_3697:
	s_movk_i32 s4, 0x80
	v_cmp_eq_u16_e32 vcc, s4, v11
	s_mov_b64 s[4:5], -1
                                        ; implicit-def: $sgpr10
	s_and_saveexec_b64 s[8:9], vcc
; %bb.3698:
	s_mov_b32 s10, 0x7f800001
	s_xor_b64 s[4:5], exec, -1
; %bb.3699:
	s_or_b64 exec, exec, s[8:9]
	s_and_b64 s[4:5], s[4:5], exec
                                        ; implicit-def: $vgpr11
	s_or_saveexec_b64 s[6:7], s[6:7]
	v_mov_b32_e32 v10, s10
	s_xor_b64 exec, exec, s[6:7]
	s_cbranch_execz .LBB34_1650
.LBB34_3700:
	v_cmp_ne_u16_e32 vcc, 0, v11
	s_andn2_b64 s[4:5], s[4:5], exec
	s_and_b64 s[8:9], vcc, exec
	v_mov_b32_e32 v10, 0
	s_or_b64 s[4:5], s[4:5], s[8:9]
	s_or_b64 exec, exec, s[6:7]
	s_and_saveexec_b64 s[6:7], s[4:5]
	s_cbranch_execnz .LBB34_1651
	s_branch .LBB34_1652
.LBB34_3701:
	s_movk_i32 s4, 0x80
	v_cmp_eq_u16_e32 vcc, s4, v11
	s_mov_b64 s[4:5], -1
                                        ; implicit-def: $sgpr10
	s_and_saveexec_b64 s[8:9], vcc
; %bb.3702:
	s_mov_b32 s10, 0x7f800001
	s_xor_b64 s[4:5], exec, -1
; %bb.3703:
	s_or_b64 exec, exec, s[8:9]
	s_and_b64 s[4:5], s[4:5], exec
                                        ; implicit-def: $vgpr11
	s_or_saveexec_b64 s[6:7], s[6:7]
	v_mov_b32_e32 v12, s10
	s_xor_b64 exec, exec, s[6:7]
	s_cbranch_execz .LBB34_1654
.LBB34_3704:
	v_cmp_ne_u16_e32 vcc, 0, v11
	s_andn2_b64 s[4:5], s[4:5], exec
	s_and_b64 s[8:9], vcc, exec
	v_mov_b32_e32 v12, 0
	s_or_b64 s[4:5], s[4:5], s[8:9]
	s_or_b64 exec, exec, s[6:7]
	s_and_saveexec_b64 s[6:7], s[4:5]
	s_cbranch_execnz .LBB34_1655
	s_branch .LBB34_1656
.LBB34_3705:
	s_movk_i32 s4, 0x80
	v_cmp_eq_u16_sdwa s[12:13], v17, s4 src0_sel:BYTE_3 src1_sel:DWORD
	s_mov_b64 s[4:5], -1
                                        ; implicit-def: $sgpr10
	s_and_saveexec_b64 s[8:9], s[12:13]
; %bb.3706:
	s_mov_b32 s10, 0x7f800001
	s_xor_b64 s[4:5], exec, -1
; %bb.3707:
	s_or_b64 exec, exec, s[8:9]
	s_and_b64 s[4:5], s[4:5], exec
	s_or_saveexec_b64 s[6:7], s[6:7]
	v_mov_b32_e32 v10, s10
	s_xor_b64 exec, exec, s[6:7]
	s_cbranch_execz .LBB34_1658
.LBB34_3708:
	v_mov_b32_e32 v10, 0
	v_cmp_ne_u16_sdwa s[8:9], v17, v10 src0_sel:BYTE_3 src1_sel:DWORD
	s_andn2_b64 s[4:5], s[4:5], exec
	s_and_b64 s[8:9], s[8:9], exec
	s_or_b64 s[4:5], s[4:5], s[8:9]
	s_or_b64 exec, exec, s[6:7]
	s_and_saveexec_b64 s[6:7], s[4:5]
	s_cbranch_execnz .LBB34_1659
	s_branch .LBB34_1660
.LBB34_3709:
	s_movk_i32 s4, 0x80
	v_cmp_eq_u16_sdwa s[12:13], v13, s4 src0_sel:BYTE_3 src1_sel:DWORD
	s_mov_b64 s[4:5], -1
                                        ; implicit-def: $sgpr10
	s_and_saveexec_b64 s[8:9], s[12:13]
; %bb.3710:
	s_mov_b32 s10, 0x7f800001
	s_xor_b64 s[4:5], exec, -1
; %bb.3711:
	s_or_b64 exec, exec, s[8:9]
	s_and_b64 s[4:5], s[4:5], exec
	s_or_saveexec_b64 s[6:7], s[6:7]
	v_mov_b32_e32 v11, s10
	s_xor_b64 exec, exec, s[6:7]
	s_cbranch_execz .LBB34_1662
.LBB34_3712:
	v_mov_b32_e32 v11, 0
	v_cmp_ne_u16_sdwa s[8:9], v13, v11 src0_sel:BYTE_3 src1_sel:DWORD
	s_andn2_b64 s[4:5], s[4:5], exec
	s_and_b64 s[8:9], s[8:9], exec
	s_or_b64 s[4:5], s[4:5], s[8:9]
	s_or_b64 exec, exec, s[6:7]
	s_and_saveexec_b64 s[6:7], s[4:5]
	s_cbranch_execnz .LBB34_1663
	s_branch .LBB34_1664
.LBB34_3713:
	s_movk_i32 s4, 0x80
	v_cmp_eq_u16_sdwa s[12:13], v6, s4 src0_sel:BYTE_0 src1_sel:DWORD
	s_mov_b64 s[4:5], -1
                                        ; implicit-def: $sgpr10
	s_and_saveexec_b64 s[8:9], s[12:13]
; %bb.3714:
	s_mov_b32 s10, 0x7f800001
	s_xor_b64 s[4:5], exec, -1
; %bb.3715:
	s_or_b64 exec, exec, s[8:9]
	s_and_b64 s[4:5], s[4:5], exec
	s_or_saveexec_b64 s[6:7], s[6:7]
	v_mov_b32_e32 v10, s10
	s_xor_b64 exec, exec, s[6:7]
	s_cbranch_execz .LBB34_1666
.LBB34_3716:
	v_mov_b32_e32 v10, 0
	v_cmp_ne_u16_sdwa s[8:9], v6, v10 src0_sel:BYTE_0 src1_sel:DWORD
	s_andn2_b64 s[4:5], s[4:5], exec
	s_and_b64 s[8:9], s[8:9], exec
	s_or_b64 s[4:5], s[4:5], s[8:9]
	s_or_b64 exec, exec, s[6:7]
	s_and_saveexec_b64 s[6:7], s[4:5]
	s_cbranch_execnz .LBB34_1667
	s_branch .LBB34_1668
.LBB34_3717:
	s_movk_i32 s4, 0x80
	v_cmp_eq_u16_sdwa s[12:13], v2, s4 src0_sel:BYTE_0 src1_sel:DWORD
	s_mov_b64 s[4:5], -1
                                        ; implicit-def: $sgpr10
	s_and_saveexec_b64 s[8:9], s[12:13]
; %bb.3718:
	s_mov_b32 s10, 0x7f800001
	s_xor_b64 s[4:5], exec, -1
; %bb.3719:
	s_or_b64 exec, exec, s[8:9]
	s_and_b64 s[4:5], s[4:5], exec
	s_or_saveexec_b64 s[6:7], s[6:7]
	v_mov_b32_e32 v11, s10
	s_xor_b64 exec, exec, s[6:7]
	s_cbranch_execz .LBB34_1670
.LBB34_3720:
	v_mov_b32_e32 v11, 0
	v_cmp_ne_u16_sdwa s[8:9], v2, v11 src0_sel:BYTE_0 src1_sel:DWORD
	s_andn2_b64 s[4:5], s[4:5], exec
	s_and_b64 s[8:9], s[8:9], exec
	s_or_b64 s[4:5], s[4:5], s[8:9]
	s_or_b64 exec, exec, s[6:7]
	s_and_saveexec_b64 s[6:7], s[4:5]
	s_cbranch_execnz .LBB34_1671
	s_branch .LBB34_1672
.LBB34_3721:
	s_movk_i32 s4, 0x80
	v_cmp_eq_u16_sdwa s[12:13], v11, s4 src0_sel:BYTE_0 src1_sel:DWORD
	s_mov_b64 s[4:5], -1
                                        ; implicit-def: $sgpr10
	s_and_saveexec_b64 s[8:9], s[12:13]
; %bb.3722:
	s_mov_b32 s10, 0x7f800001
	s_xor_b64 s[4:5], exec, -1
; %bb.3723:
	s_or_b64 exec, exec, s[8:9]
	s_and_b64 s[4:5], s[4:5], exec
	s_or_saveexec_b64 s[6:7], s[6:7]
	v_mov_b32_e32 v10, s10
	s_xor_b64 exec, exec, s[6:7]
	s_cbranch_execz .LBB34_1674
.LBB34_3724:
	v_mov_b32_e32 v10, 0
	v_cmp_ne_u16_sdwa s[8:9], v11, v10 src0_sel:BYTE_0 src1_sel:DWORD
	s_andn2_b64 s[4:5], s[4:5], exec
	s_and_b64 s[8:9], s[8:9], exec
	s_or_b64 s[4:5], s[4:5], s[8:9]
	s_or_b64 exec, exec, s[6:7]
	s_and_saveexec_b64 s[6:7], s[4:5]
	s_cbranch_execnz .LBB34_1675
	s_branch .LBB34_1676
.LBB34_3725:
	s_movk_i32 s4, 0x80
	v_cmp_eq_u16_sdwa s[12:13], v11, s4 src0_sel:BYTE_0 src1_sel:DWORD
	s_mov_b64 s[4:5], -1
                                        ; implicit-def: $sgpr10
	s_and_saveexec_b64 s[8:9], s[12:13]
; %bb.3726:
	s_mov_b32 s10, 0x7f800001
	s_xor_b64 s[4:5], exec, -1
; %bb.3727:
	s_or_b64 exec, exec, s[8:9]
	s_and_b64 s[4:5], s[4:5], exec
	s_or_saveexec_b64 s[6:7], s[6:7]
	v_mov_b32_e32 v12, s10
	s_xor_b64 exec, exec, s[6:7]
	s_cbranch_execz .LBB34_1678
.LBB34_3728:
	v_mov_b32_e32 v12, 0
	v_cmp_ne_u16_sdwa s[8:9], v11, v12 src0_sel:BYTE_0 src1_sel:DWORD
	s_andn2_b64 s[4:5], s[4:5], exec
	s_and_b64 s[8:9], s[8:9], exec
	s_or_b64 s[4:5], s[4:5], s[8:9]
	s_or_b64 exec, exec, s[6:7]
	s_and_saveexec_b64 s[6:7], s[4:5]
	s_cbranch_execnz .LBB34_1679
	s_branch .LBB34_1680
.LBB34_3729:
	s_movk_i32 s4, 0x80
	v_cmp_eq_u16_e32 vcc, s4, v11
	s_mov_b64 s[4:5], -1
                                        ; implicit-def: $sgpr10
	s_and_saveexec_b64 s[8:9], vcc
; %bb.3730:
	s_mov_b32 s10, 0x7f800001
	s_xor_b64 s[4:5], exec, -1
; %bb.3731:
	s_or_b64 exec, exec, s[8:9]
	s_and_b64 s[4:5], s[4:5], exec
                                        ; implicit-def: $vgpr11
	s_or_saveexec_b64 s[6:7], s[6:7]
	v_mov_b32_e32 v10, s10
	s_xor_b64 exec, exec, s[6:7]
	s_cbranch_execz .LBB34_1682
.LBB34_3732:
	v_cmp_ne_u16_e32 vcc, 0, v11
	s_andn2_b64 s[4:5], s[4:5], exec
	s_and_b64 s[8:9], vcc, exec
	v_mov_b32_e32 v10, 0
	s_or_b64 s[4:5], s[4:5], s[8:9]
	s_or_b64 exec, exec, s[6:7]
	s_and_saveexec_b64 s[6:7], s[4:5]
	s_cbranch_execnz .LBB34_1683
	s_branch .LBB34_1684
.LBB34_3733:
	s_movk_i32 s4, 0x80
	v_cmp_eq_u16_e32 vcc, s4, v11
	s_mov_b64 s[4:5], -1
                                        ; implicit-def: $sgpr10
	s_and_saveexec_b64 s[8:9], vcc
; %bb.3734:
	s_mov_b32 s10, 0x7f800001
	s_xor_b64 s[4:5], exec, -1
; %bb.3735:
	s_or_b64 exec, exec, s[8:9]
	s_and_b64 s[4:5], s[4:5], exec
                                        ; implicit-def: $vgpr11
	s_or_saveexec_b64 s[6:7], s[6:7]
	v_mov_b32_e32 v12, s10
	s_xor_b64 exec, exec, s[6:7]
	s_cbranch_execz .LBB34_1686
.LBB34_3736:
	v_cmp_ne_u16_e32 vcc, 0, v11
	s_andn2_b64 s[4:5], s[4:5], exec
	s_and_b64 s[8:9], vcc, exec
	v_mov_b32_e32 v12, 0
	s_or_b64 s[4:5], s[4:5], s[8:9]
	s_or_b64 exec, exec, s[6:7]
	s_and_saveexec_b64 s[6:7], s[4:5]
	s_cbranch_execnz .LBB34_1687
	s_branch .LBB34_1688
.LBB34_3737:
	s_movk_i32 s4, 0x80
	v_cmp_eq_u16_sdwa s[12:13], v6, s4 src0_sel:BYTE_3 src1_sel:DWORD
	s_mov_b64 s[4:5], -1
                                        ; implicit-def: $sgpr10
	s_and_saveexec_b64 s[8:9], s[12:13]
; %bb.3738:
	s_mov_b32 s10, 0x7f800001
	s_xor_b64 s[4:5], exec, -1
; %bb.3739:
	s_or_b64 exec, exec, s[8:9]
	s_and_b64 s[4:5], s[4:5], exec
	s_or_saveexec_b64 s[6:7], s[6:7]
	v_mov_b32_e32 v10, s10
	s_xor_b64 exec, exec, s[6:7]
	s_cbranch_execz .LBB34_1690
.LBB34_3740:
	v_mov_b32_e32 v10, 0
	v_cmp_ne_u16_sdwa s[8:9], v6, v10 src0_sel:BYTE_3 src1_sel:DWORD
	s_andn2_b64 s[4:5], s[4:5], exec
	s_and_b64 s[8:9], s[8:9], exec
	s_or_b64 s[4:5], s[4:5], s[8:9]
	s_or_b64 exec, exec, s[6:7]
	s_and_saveexec_b64 s[6:7], s[4:5]
	s_cbranch_execnz .LBB34_1691
	s_branch .LBB34_1692
.LBB34_3741:
	s_movk_i32 s4, 0x80
	v_cmp_eq_u16_sdwa s[12:13], v2, s4 src0_sel:BYTE_3 src1_sel:DWORD
	s_mov_b64 s[4:5], -1
                                        ; implicit-def: $sgpr10
	s_and_saveexec_b64 s[8:9], s[12:13]
; %bb.3742:
	s_mov_b32 s10, 0x7f800001
	s_xor_b64 s[4:5], exec, -1
; %bb.3743:
	s_or_b64 exec, exec, s[8:9]
	s_and_b64 s[4:5], s[4:5], exec
	s_or_saveexec_b64 s[6:7], s[6:7]
	v_mov_b32_e32 v6, s10
	s_xor_b64 exec, exec, s[6:7]
	s_cbranch_execz .LBB34_1694
.LBB34_3744:
	v_mov_b32_e32 v6, 0
	v_cmp_ne_u16_sdwa s[8:9], v2, v6 src0_sel:BYTE_3 src1_sel:DWORD
	s_andn2_b64 s[4:5], s[4:5], exec
	s_and_b64 s[8:9], s[8:9], exec
	s_or_b64 s[4:5], s[4:5], s[8:9]
	s_or_b64 exec, exec, s[6:7]
	s_and_saveexec_b64 s[6:7], s[4:5]
	s_cbranch_execnz .LBB34_1695
	s_branch .LBB34_1696
.LBB34_3745:
	s_movk_i32 s4, 0x80
	v_cmp_eq_u16_sdwa s[12:13], v7, s4 src0_sel:BYTE_0 src1_sel:DWORD
	s_mov_b64 s[4:5], -1
                                        ; implicit-def: $sgpr10
	s_and_saveexec_b64 s[8:9], s[12:13]
; %bb.3746:
	s_mov_b32 s10, 0x7f800001
	s_xor_b64 s[4:5], exec, -1
; %bb.3747:
	s_or_b64 exec, exec, s[8:9]
	s_and_b64 s[4:5], s[4:5], exec
	s_or_saveexec_b64 s[6:7], s[6:7]
	v_mov_b32_e32 v2, s10
	s_xor_b64 exec, exec, s[6:7]
	s_cbranch_execz .LBB34_1698
.LBB34_3748:
	v_mov_b32_e32 v2, 0
	v_cmp_ne_u16_sdwa s[8:9], v7, v2 src0_sel:BYTE_0 src1_sel:DWORD
	s_andn2_b64 s[4:5], s[4:5], exec
	s_and_b64 s[8:9], s[8:9], exec
	s_or_b64 s[4:5], s[4:5], s[8:9]
	s_or_b64 exec, exec, s[6:7]
	s_and_saveexec_b64 s[6:7], s[4:5]
	s_cbranch_execnz .LBB34_1699
	s_branch .LBB34_1700
.LBB34_3749:
	s_movk_i32 s4, 0x80
	v_cmp_eq_u16_sdwa s[12:13], v3, s4 src0_sel:BYTE_0 src1_sel:DWORD
	s_mov_b64 s[4:5], -1
                                        ; implicit-def: $sgpr10
	s_and_saveexec_b64 s[8:9], s[12:13]
; %bb.3750:
	s_mov_b32 s10, 0x7f800001
	s_xor_b64 s[4:5], exec, -1
; %bb.3751:
	s_or_b64 exec, exec, s[8:9]
	s_and_b64 s[4:5], s[4:5], exec
	s_or_saveexec_b64 s[6:7], s[6:7]
	v_mov_b32_e32 v6, s10
	s_xor_b64 exec, exec, s[6:7]
	s_cbranch_execz .LBB34_1702
.LBB34_3752:
	v_mov_b32_e32 v6, 0
	v_cmp_ne_u16_sdwa s[8:9], v3, v6 src0_sel:BYTE_0 src1_sel:DWORD
	s_andn2_b64 s[4:5], s[4:5], exec
	s_and_b64 s[8:9], s[8:9], exec
	s_or_b64 s[4:5], s[4:5], s[8:9]
	s_or_b64 exec, exec, s[6:7]
	s_and_saveexec_b64 s[6:7], s[4:5]
	s_cbranch_execnz .LBB34_1703
	s_branch .LBB34_1704
.LBB34_3753:
	s_movk_i32 s4, 0x80
	v_cmp_eq_u16_sdwa s[12:13], v6, s4 src0_sel:BYTE_0 src1_sel:DWORD
	s_mov_b64 s[4:5], -1
                                        ; implicit-def: $sgpr10
	s_and_saveexec_b64 s[8:9], s[12:13]
; %bb.3754:
	s_mov_b32 s10, 0x7f800001
	s_xor_b64 s[4:5], exec, -1
; %bb.3755:
	s_or_b64 exec, exec, s[8:9]
	s_and_b64 s[4:5], s[4:5], exec
	s_or_saveexec_b64 s[6:7], s[6:7]
	v_mov_b32_e32 v2, s10
	s_xor_b64 exec, exec, s[6:7]
	s_cbranch_execz .LBB34_1706
.LBB34_3756:
	v_mov_b32_e32 v2, 0
	v_cmp_ne_u16_sdwa s[8:9], v6, v2 src0_sel:BYTE_0 src1_sel:DWORD
	s_andn2_b64 s[4:5], s[4:5], exec
	s_and_b64 s[8:9], s[8:9], exec
	s_or_b64 s[4:5], s[4:5], s[8:9]
	s_or_b64 exec, exec, s[6:7]
	s_and_saveexec_b64 s[6:7], s[4:5]
	s_cbranch_execnz .LBB34_1707
	s_branch .LBB34_1708
.LBB34_3757:
	s_movk_i32 s4, 0x80
	v_cmp_eq_u16_sdwa s[12:13], v6, s4 src0_sel:BYTE_0 src1_sel:DWORD
	s_mov_b64 s[4:5], -1
                                        ; implicit-def: $sgpr10
	s_and_saveexec_b64 s[8:9], s[12:13]
; %bb.3758:
	s_mov_b32 s10, 0x7f800001
	s_xor_b64 s[4:5], exec, -1
; %bb.3759:
	s_or_b64 exec, exec, s[8:9]
	s_and_b64 s[4:5], s[4:5], exec
	s_or_saveexec_b64 s[6:7], s[6:7]
	v_mov_b32_e32 v10, s10
	s_xor_b64 exec, exec, s[6:7]
	s_cbranch_execz .LBB34_1710
.LBB34_3760:
	v_mov_b32_e32 v10, 0
	v_cmp_ne_u16_sdwa s[8:9], v6, v10 src0_sel:BYTE_0 src1_sel:DWORD
	s_andn2_b64 s[4:5], s[4:5], exec
	s_and_b64 s[8:9], s[8:9], exec
	s_or_b64 s[4:5], s[4:5], s[8:9]
	s_or_b64 exec, exec, s[6:7]
	s_and_saveexec_b64 s[6:7], s[4:5]
	s_cbranch_execnz .LBB34_1711
	s_branch .LBB34_1712
.LBB34_3761:
	s_movk_i32 s4, 0x80
	v_cmp_eq_u16_e32 vcc, s4, v6
	s_mov_b64 s[4:5], -1
                                        ; implicit-def: $sgpr10
	s_and_saveexec_b64 s[8:9], vcc
; %bb.3762:
	s_mov_b32 s10, 0x7f800001
	s_xor_b64 s[4:5], exec, -1
; %bb.3763:
	s_or_b64 exec, exec, s[8:9]
	s_and_b64 s[4:5], s[4:5], exec
                                        ; implicit-def: $vgpr6
	s_or_saveexec_b64 s[6:7], s[6:7]
	v_mov_b32_e32 v2, s10
	s_xor_b64 exec, exec, s[6:7]
	s_cbranch_execz .LBB34_1714
.LBB34_3764:
	v_cmp_ne_u16_e32 vcc, 0, v6
	s_andn2_b64 s[4:5], s[4:5], exec
	s_and_b64 s[8:9], vcc, exec
	v_mov_b32_e32 v2, 0
	s_or_b64 s[4:5], s[4:5], s[8:9]
	s_or_b64 exec, exec, s[6:7]
	s_and_saveexec_b64 s[6:7], s[4:5]
	s_cbranch_execnz .LBB34_1715
	s_branch .LBB34_1716
.LBB34_3765:
	s_movk_i32 s4, 0x80
	v_cmp_eq_u16_e32 vcc, s4, v6
	s_mov_b64 s[4:5], -1
                                        ; implicit-def: $sgpr10
	s_and_saveexec_b64 s[8:9], vcc
; %bb.3766:
	s_mov_b32 s10, 0x7f800001
	s_xor_b64 s[4:5], exec, -1
; %bb.3767:
	s_or_b64 exec, exec, s[8:9]
	s_and_b64 s[4:5], s[4:5], exec
                                        ; implicit-def: $vgpr6
	s_or_saveexec_b64 s[6:7], s[6:7]
	v_mov_b32_e32 v10, s10
	s_xor_b64 exec, exec, s[6:7]
	s_cbranch_execz .LBB34_1718
.LBB34_3768:
	v_cmp_ne_u16_e32 vcc, 0, v6
	s_andn2_b64 s[4:5], s[4:5], exec
	s_and_b64 s[8:9], vcc, exec
	v_mov_b32_e32 v10, 0
	s_or_b64 s[4:5], s[4:5], s[8:9]
	s_or_b64 exec, exec, s[6:7]
	s_and_saveexec_b64 s[6:7], s[4:5]
	s_cbranch_execnz .LBB34_1719
	s_branch .LBB34_1720
.LBB34_3769:
	s_movk_i32 s4, 0x80
	v_cmp_eq_u16_sdwa s[12:13], v7, s4 src0_sel:BYTE_3 src1_sel:DWORD
	s_mov_b64 s[4:5], -1
                                        ; implicit-def: $sgpr10
	s_and_saveexec_b64 s[8:9], s[12:13]
; %bb.3770:
	s_mov_b32 s10, 0x7f800001
	s_xor_b64 s[4:5], exec, -1
; %bb.3771:
	s_or_b64 exec, exec, s[8:9]
	s_and_b64 s[4:5], s[4:5], exec
	s_or_saveexec_b64 s[6:7], s[6:7]
	v_mov_b32_e32 v2, s10
	s_xor_b64 exec, exec, s[6:7]
	s_cbranch_execz .LBB34_1722
.LBB34_3772:
	v_mov_b32_e32 v2, 0
	v_cmp_ne_u16_sdwa s[8:9], v7, v2 src0_sel:BYTE_3 src1_sel:DWORD
	s_andn2_b64 s[4:5], s[4:5], exec
	s_and_b64 s[8:9], s[8:9], exec
	s_or_b64 s[4:5], s[4:5], s[8:9]
	s_or_b64 exec, exec, s[6:7]
	s_and_saveexec_b64 s[6:7], s[4:5]
	s_cbranch_execnz .LBB34_1723
	s_branch .LBB34_1724
.LBB34_3773:
	s_movk_i32 s4, 0x80
	v_cmp_eq_u16_sdwa s[12:13], v3, s4 src0_sel:BYTE_3 src1_sel:DWORD
	s_mov_b64 s[4:5], -1
                                        ; implicit-def: $sgpr10
	s_and_saveexec_b64 s[8:9], s[12:13]
; %bb.3774:
	s_mov_b32 s10, 0x7f800001
	s_xor_b64 s[4:5], exec, -1
; %bb.3775:
	s_or_b64 exec, exec, s[8:9]
	s_and_b64 s[4:5], s[4:5], exec
	s_or_saveexec_b64 s[6:7], s[6:7]
	v_mov_b32_e32 v6, s10
	s_xor_b64 exec, exec, s[6:7]
	s_cbranch_execz .LBB34_1726
.LBB34_3776:
	v_mov_b32_e32 v6, 0
	v_cmp_ne_u16_sdwa s[8:9], v3, v6 src0_sel:BYTE_3 src1_sel:DWORD
	s_andn2_b64 s[4:5], s[4:5], exec
	s_and_b64 s[8:9], s[8:9], exec
	s_or_b64 s[4:5], s[4:5], s[8:9]
	s_or_b64 exec, exec, s[6:7]
	s_and_saveexec_b64 s[6:7], s[4:5]
	s_cbranch_execnz .LBB34_1727
	s_branch .LBB34_1728
.LBB34_3777:
	s_movk_i32 s4, 0x80
	v_cmp_eq_u16_sdwa s[12:13], v8, s4 src0_sel:BYTE_0 src1_sel:DWORD
	s_mov_b64 s[4:5], -1
                                        ; implicit-def: $sgpr10
	s_and_saveexec_b64 s[8:9], s[12:13]
; %bb.3778:
	s_mov_b32 s10, 0x7f800001
	s_xor_b64 s[4:5], exec, -1
; %bb.3779:
	s_or_b64 exec, exec, s[8:9]
	s_and_b64 s[4:5], s[4:5], exec
	s_or_saveexec_b64 s[6:7], s[6:7]
	v_mov_b32_e32 v2, s10
	s_xor_b64 exec, exec, s[6:7]
	s_cbranch_execz .LBB34_1730
.LBB34_3780:
	v_mov_b32_e32 v2, 0
	v_cmp_ne_u16_sdwa s[8:9], v8, v2 src0_sel:BYTE_0 src1_sel:DWORD
	s_andn2_b64 s[4:5], s[4:5], exec
	s_and_b64 s[8:9], s[8:9], exec
	s_or_b64 s[4:5], s[4:5], s[8:9]
	s_or_b64 exec, exec, s[6:7]
	s_and_saveexec_b64 s[6:7], s[4:5]
	s_cbranch_execnz .LBB34_1731
	s_branch .LBB34_1732
.LBB34_3781:
	s_movk_i32 s4, 0x80
	v_cmp_eq_u16_sdwa s[12:13], v4, s4 src0_sel:BYTE_0 src1_sel:DWORD
	s_mov_b64 s[4:5], -1
                                        ; implicit-def: $sgpr10
	s_and_saveexec_b64 s[8:9], s[12:13]
; %bb.3782:
	s_mov_b32 s10, 0x7f800001
	s_xor_b64 s[4:5], exec, -1
; %bb.3783:
	s_or_b64 exec, exec, s[8:9]
	s_and_b64 s[4:5], s[4:5], exec
	s_or_saveexec_b64 s[6:7], s[6:7]
	v_mov_b32_e32 v3, s10
	s_xor_b64 exec, exec, s[6:7]
	s_cbranch_execz .LBB34_1734
.LBB34_3784:
	v_mov_b32_e32 v3, 0
	v_cmp_ne_u16_sdwa s[8:9], v4, v3 src0_sel:BYTE_0 src1_sel:DWORD
	s_andn2_b64 s[4:5], s[4:5], exec
	s_and_b64 s[8:9], s[8:9], exec
	s_or_b64 s[4:5], s[4:5], s[8:9]
	s_or_b64 exec, exec, s[6:7]
	s_and_saveexec_b64 s[6:7], s[4:5]
	s_cbranch_execnz .LBB34_1735
	s_branch .LBB34_1736
.LBB34_3785:
	s_movk_i32 s4, 0x80
	v_cmp_eq_u16_sdwa s[12:13], v3, s4 src0_sel:BYTE_0 src1_sel:DWORD
	s_mov_b64 s[4:5], -1
                                        ; implicit-def: $sgpr10
	s_and_saveexec_b64 s[8:9], s[12:13]
; %bb.3786:
	s_mov_b32 s10, 0x7f800001
	s_xor_b64 s[4:5], exec, -1
; %bb.3787:
	s_or_b64 exec, exec, s[8:9]
	s_and_b64 s[4:5], s[4:5], exec
	s_or_saveexec_b64 s[6:7], s[6:7]
	v_mov_b32_e32 v2, s10
	s_xor_b64 exec, exec, s[6:7]
	s_cbranch_execz .LBB34_1738
.LBB34_3788:
	v_mov_b32_e32 v2, 0
	v_cmp_ne_u16_sdwa s[8:9], v3, v2 src0_sel:BYTE_0 src1_sel:DWORD
	s_andn2_b64 s[4:5], s[4:5], exec
	s_and_b64 s[8:9], s[8:9], exec
	s_or_b64 s[4:5], s[4:5], s[8:9]
	s_or_b64 exec, exec, s[6:7]
	s_and_saveexec_b64 s[6:7], s[4:5]
	s_cbranch_execnz .LBB34_1739
	s_branch .LBB34_1740
.LBB34_3789:
	s_movk_i32 s4, 0x80
	v_cmp_eq_u16_sdwa s[12:13], v3, s4 src0_sel:BYTE_0 src1_sel:DWORD
	s_mov_b64 s[4:5], -1
                                        ; implicit-def: $sgpr10
	s_and_saveexec_b64 s[8:9], s[12:13]
; %bb.3790:
	s_mov_b32 s10, 0x7f800001
	s_xor_b64 s[4:5], exec, -1
; %bb.3791:
	s_or_b64 exec, exec, s[8:9]
	s_and_b64 s[4:5], s[4:5], exec
	s_or_saveexec_b64 s[6:7], s[6:7]
	v_mov_b32_e32 v6, s10
	s_xor_b64 exec, exec, s[6:7]
	s_cbranch_execz .LBB34_1742
.LBB34_3792:
	v_mov_b32_e32 v6, 0
	v_cmp_ne_u16_sdwa s[8:9], v3, v6 src0_sel:BYTE_0 src1_sel:DWORD
	s_andn2_b64 s[4:5], s[4:5], exec
	s_and_b64 s[8:9], s[8:9], exec
	s_or_b64 s[4:5], s[4:5], s[8:9]
	s_or_b64 exec, exec, s[6:7]
	s_and_saveexec_b64 s[6:7], s[4:5]
	s_cbranch_execnz .LBB34_1743
	s_branch .LBB34_1744
.LBB34_3793:
	s_movk_i32 s4, 0x80
	v_cmp_eq_u16_e32 vcc, s4, v3
	s_mov_b64 s[4:5], -1
                                        ; implicit-def: $sgpr10
	s_and_saveexec_b64 s[8:9], vcc
; %bb.3794:
	s_mov_b32 s10, 0x7f800001
	s_xor_b64 s[4:5], exec, -1
; %bb.3795:
	s_or_b64 exec, exec, s[8:9]
	s_and_b64 s[4:5], s[4:5], exec
                                        ; implicit-def: $vgpr3
	s_or_saveexec_b64 s[6:7], s[6:7]
	v_mov_b32_e32 v2, s10
	s_xor_b64 exec, exec, s[6:7]
	s_cbranch_execz .LBB34_1746
.LBB34_3796:
	v_cmp_ne_u16_e32 vcc, 0, v3
	s_andn2_b64 s[4:5], s[4:5], exec
	s_and_b64 s[8:9], vcc, exec
	v_mov_b32_e32 v2, 0
	s_or_b64 s[4:5], s[4:5], s[8:9]
	s_or_b64 exec, exec, s[6:7]
	s_and_saveexec_b64 s[6:7], s[4:5]
	s_cbranch_execnz .LBB34_1747
	s_branch .LBB34_1748
.LBB34_3797:
	s_movk_i32 s4, 0x80
	v_cmp_eq_u16_e32 vcc, s4, v3
	s_mov_b64 s[4:5], -1
                                        ; implicit-def: $sgpr10
	s_and_saveexec_b64 s[8:9], vcc
; %bb.3798:
	s_mov_b32 s10, 0x7f800001
	s_xor_b64 s[4:5], exec, -1
; %bb.3799:
	s_or_b64 exec, exec, s[8:9]
	s_and_b64 s[4:5], s[4:5], exec
                                        ; implicit-def: $vgpr3
	s_or_saveexec_b64 s[6:7], s[6:7]
	v_mov_b32_e32 v6, s10
	s_xor_b64 exec, exec, s[6:7]
	s_cbranch_execz .LBB34_1750
.LBB34_3800:
	v_cmp_ne_u16_e32 vcc, 0, v3
	s_andn2_b64 s[4:5], s[4:5], exec
	s_and_b64 s[8:9], vcc, exec
	v_mov_b32_e32 v6, 0
	s_or_b64 s[4:5], s[4:5], s[8:9]
	s_or_b64 exec, exec, s[6:7]
	s_and_saveexec_b64 s[6:7], s[4:5]
	s_cbranch_execnz .LBB34_1751
	s_branch .LBB34_1752
.LBB34_3801:
	s_movk_i32 s4, 0x80
	v_cmp_eq_u16_sdwa s[12:13], v8, s4 src0_sel:BYTE_3 src1_sel:DWORD
	s_mov_b64 s[4:5], -1
                                        ; implicit-def: $sgpr10
	s_and_saveexec_b64 s[8:9], s[12:13]
; %bb.3802:
	s_mov_b32 s10, 0x7f800001
	s_xor_b64 s[4:5], exec, -1
; %bb.3803:
	s_or_b64 exec, exec, s[8:9]
	s_and_b64 s[4:5], s[4:5], exec
	s_or_saveexec_b64 s[6:7], s[6:7]
	v_mov_b32_e32 v2, s10
	s_xor_b64 exec, exec, s[6:7]
	s_cbranch_execz .LBB34_1754
.LBB34_3804:
	v_mov_b32_e32 v2, 0
	v_cmp_ne_u16_sdwa s[8:9], v8, v2 src0_sel:BYTE_3 src1_sel:DWORD
	s_andn2_b64 s[4:5], s[4:5], exec
	s_and_b64 s[8:9], s[8:9], exec
	s_or_b64 s[4:5], s[4:5], s[8:9]
	s_or_b64 exec, exec, s[6:7]
	s_and_saveexec_b64 s[6:7], s[4:5]
	s_cbranch_execnz .LBB34_1755
	s_branch .LBB34_1756
.LBB34_3805:
	s_movk_i32 s4, 0x80
	v_cmp_eq_u16_sdwa s[12:13], v4, s4 src0_sel:BYTE_3 src1_sel:DWORD
	s_mov_b64 s[4:5], -1
                                        ; implicit-def: $sgpr10
	s_and_saveexec_b64 s[8:9], s[12:13]
; %bb.3806:
	s_mov_b32 s10, 0x7f800001
	s_xor_b64 s[4:5], exec, -1
; %bb.3807:
	s_or_b64 exec, exec, s[8:9]
	s_and_b64 s[4:5], s[4:5], exec
	s_or_saveexec_b64 s[6:7], s[6:7]
	v_mov_b32_e32 v3, s10
	s_xor_b64 exec, exec, s[6:7]
	s_cbranch_execz .LBB34_1758
.LBB34_3808:
	v_mov_b32_e32 v3, 0
	v_cmp_ne_u16_sdwa s[8:9], v4, v3 src0_sel:BYTE_3 src1_sel:DWORD
	s_andn2_b64 s[4:5], s[4:5], exec
	s_and_b64 s[8:9], s[8:9], exec
	s_or_b64 s[4:5], s[4:5], s[8:9]
	s_or_b64 exec, exec, s[6:7]
	s_and_saveexec_b64 s[6:7], s[4:5]
	s_cbranch_execnz .LBB34_1759
	s_branch .LBB34_1760
.LBB34_3809:
	s_movk_i32 s4, 0x80
	v_cmp_eq_u16_sdwa s[12:13], v9, s4 src0_sel:BYTE_0 src1_sel:DWORD
	s_mov_b64 s[4:5], -1
                                        ; implicit-def: $sgpr10
	s_and_saveexec_b64 s[8:9], s[12:13]
; %bb.3810:
	s_mov_b32 s10, 0x7f800001
	s_xor_b64 s[4:5], exec, -1
; %bb.3811:
	s_or_b64 exec, exec, s[8:9]
	s_and_b64 s[4:5], s[4:5], exec
	s_or_saveexec_b64 s[6:7], s[6:7]
	v_mov_b32_e32 v2, s10
	s_xor_b64 exec, exec, s[6:7]
	s_cbranch_execz .LBB34_1762
.LBB34_3812:
	v_mov_b32_e32 v2, 0
	v_cmp_ne_u16_sdwa s[8:9], v9, v2 src0_sel:BYTE_0 src1_sel:DWORD
	s_andn2_b64 s[4:5], s[4:5], exec
	s_and_b64 s[8:9], s[8:9], exec
	s_or_b64 s[4:5], s[4:5], s[8:9]
	s_or_b64 exec, exec, s[6:7]
	s_and_saveexec_b64 s[6:7], s[4:5]
	s_cbranch_execnz .LBB34_1763
	s_branch .LBB34_1764
.LBB34_3813:
	s_movk_i32 s4, 0x80
	v_cmp_eq_u16_sdwa s[12:13], v5, s4 src0_sel:BYTE_0 src1_sel:DWORD
	s_mov_b64 s[4:5], -1
                                        ; implicit-def: $sgpr10
	s_and_saveexec_b64 s[8:9], s[12:13]
; %bb.3814:
	s_mov_b32 s10, 0x7f800001
	s_xor_b64 s[4:5], exec, -1
; %bb.3815:
	s_or_b64 exec, exec, s[8:9]
	s_and_b64 s[4:5], s[4:5], exec
	s_or_saveexec_b64 s[6:7], s[6:7]
	v_mov_b32_e32 v3, s10
	s_xor_b64 exec, exec, s[6:7]
	s_cbranch_execz .LBB34_1766
.LBB34_3816:
	v_mov_b32_e32 v3, 0
	v_cmp_ne_u16_sdwa s[8:9], v5, v3 src0_sel:BYTE_0 src1_sel:DWORD
	s_andn2_b64 s[4:5], s[4:5], exec
	s_and_b64 s[8:9], s[8:9], exec
	s_or_b64 s[4:5], s[4:5], s[8:9]
	s_or_b64 exec, exec, s[6:7]
	s_and_saveexec_b64 s[6:7], s[4:5]
	s_cbranch_execnz .LBB34_1767
	s_branch .LBB34_1768
.LBB34_3817:
	s_movk_i32 s4, 0x80
	v_cmp_eq_u16_sdwa s[12:13], v3, s4 src0_sel:BYTE_0 src1_sel:DWORD
	s_mov_b64 s[4:5], -1
                                        ; implicit-def: $sgpr10
	s_and_saveexec_b64 s[8:9], s[12:13]
; %bb.3818:
	s_mov_b32 s10, 0x7f800001
	s_xor_b64 s[4:5], exec, -1
; %bb.3819:
	s_or_b64 exec, exec, s[8:9]
	s_and_b64 s[4:5], s[4:5], exec
	s_or_saveexec_b64 s[6:7], s[6:7]
	v_mov_b32_e32 v2, s10
	s_xor_b64 exec, exec, s[6:7]
	s_cbranch_execz .LBB34_1770
.LBB34_3820:
	v_mov_b32_e32 v2, 0
	v_cmp_ne_u16_sdwa s[8:9], v3, v2 src0_sel:BYTE_0 src1_sel:DWORD
	s_andn2_b64 s[4:5], s[4:5], exec
	s_and_b64 s[8:9], s[8:9], exec
	s_or_b64 s[4:5], s[4:5], s[8:9]
	s_or_b64 exec, exec, s[6:7]
	s_and_saveexec_b64 s[6:7], s[4:5]
	s_cbranch_execnz .LBB34_1771
	s_branch .LBB34_1772
.LBB34_3821:
	s_movk_i32 s4, 0x80
	v_cmp_eq_u16_sdwa s[12:13], v3, s4 src0_sel:BYTE_0 src1_sel:DWORD
	s_mov_b64 s[4:5], -1
                                        ; implicit-def: $sgpr10
	s_and_saveexec_b64 s[8:9], s[12:13]
; %bb.3822:
	s_mov_b32 s10, 0x7f800001
	s_xor_b64 s[4:5], exec, -1
; %bb.3823:
	s_or_b64 exec, exec, s[8:9]
	s_and_b64 s[4:5], s[4:5], exec
	s_or_saveexec_b64 s[6:7], s[6:7]
	v_mov_b32_e32 v4, s10
	s_xor_b64 exec, exec, s[6:7]
	s_cbranch_execz .LBB34_1774
.LBB34_3824:
	v_mov_b32_e32 v4, 0
	v_cmp_ne_u16_sdwa s[8:9], v3, v4 src0_sel:BYTE_0 src1_sel:DWORD
	s_andn2_b64 s[4:5], s[4:5], exec
	s_and_b64 s[8:9], s[8:9], exec
	s_or_b64 s[4:5], s[4:5], s[8:9]
	s_or_b64 exec, exec, s[6:7]
	s_and_saveexec_b64 s[6:7], s[4:5]
	s_cbranch_execnz .LBB34_1775
	s_branch .LBB34_1776
.LBB34_3825:
	s_movk_i32 s4, 0x80
	v_cmp_eq_u16_e32 vcc, s4, v3
	s_mov_b64 s[4:5], -1
                                        ; implicit-def: $sgpr10
	s_and_saveexec_b64 s[8:9], vcc
; %bb.3826:
	s_mov_b32 s10, 0x7f800001
	s_xor_b64 s[4:5], exec, -1
; %bb.3827:
	s_or_b64 exec, exec, s[8:9]
	s_and_b64 s[4:5], s[4:5], exec
                                        ; implicit-def: $vgpr3
	s_or_saveexec_b64 s[6:7], s[6:7]
	v_mov_b32_e32 v2, s10
	s_xor_b64 exec, exec, s[6:7]
	s_cbranch_execz .LBB34_1778
.LBB34_3828:
	v_cmp_ne_u16_e32 vcc, 0, v3
	s_andn2_b64 s[4:5], s[4:5], exec
	s_and_b64 s[8:9], vcc, exec
	v_mov_b32_e32 v2, 0
	s_or_b64 s[4:5], s[4:5], s[8:9]
	s_or_b64 exec, exec, s[6:7]
	s_and_saveexec_b64 s[6:7], s[4:5]
	s_cbranch_execnz .LBB34_1779
	s_branch .LBB34_1780
.LBB34_3829:
	s_movk_i32 s4, 0x80
	v_cmp_eq_u16_e32 vcc, s4, v3
	s_mov_b64 s[4:5], -1
                                        ; implicit-def: $sgpr10
	s_and_saveexec_b64 s[8:9], vcc
; %bb.3830:
	s_mov_b32 s10, 0x7f800001
	s_xor_b64 s[4:5], exec, -1
; %bb.3831:
	s_or_b64 exec, exec, s[8:9]
	s_and_b64 s[4:5], s[4:5], exec
                                        ; implicit-def: $vgpr3
	s_or_saveexec_b64 s[6:7], s[6:7]
	v_mov_b32_e32 v4, s10
	s_xor_b64 exec, exec, s[6:7]
	s_cbranch_execz .LBB34_1782
.LBB34_3832:
	v_cmp_ne_u16_e32 vcc, 0, v3
	s_andn2_b64 s[4:5], s[4:5], exec
	s_and_b64 s[8:9], vcc, exec
	v_mov_b32_e32 v4, 0
	s_or_b64 s[4:5], s[4:5], s[8:9]
	s_or_b64 exec, exec, s[6:7]
	s_and_saveexec_b64 s[6:7], s[4:5]
	s_cbranch_execnz .LBB34_1783
	s_branch .LBB34_1784
.LBB34_3833:
	s_movk_i32 s4, 0x80
	v_cmp_eq_u16_sdwa s[12:13], v9, s4 src0_sel:BYTE_3 src1_sel:DWORD
	s_mov_b64 s[4:5], -1
                                        ; implicit-def: $sgpr10
	s_and_saveexec_b64 s[8:9], s[12:13]
; %bb.3834:
	s_mov_b32 s10, 0x7f800001
	s_xor_b64 s[4:5], exec, -1
; %bb.3835:
	s_or_b64 exec, exec, s[8:9]
	s_and_b64 s[4:5], s[4:5], exec
	s_or_saveexec_b64 s[6:7], s[6:7]
	v_mov_b32_e32 v2, s10
	s_xor_b64 exec, exec, s[6:7]
	s_cbranch_execz .LBB34_1786
.LBB34_3836:
	v_mov_b32_e32 v2, 0
	v_cmp_ne_u16_sdwa s[8:9], v9, v2 src0_sel:BYTE_3 src1_sel:DWORD
	s_andn2_b64 s[4:5], s[4:5], exec
	s_and_b64 s[8:9], s[8:9], exec
	s_or_b64 s[4:5], s[4:5], s[8:9]
	s_or_b64 exec, exec, s[6:7]
	s_and_saveexec_b64 s[6:7], s[4:5]
	s_cbranch_execnz .LBB34_1787
	s_branch .LBB34_1788
.LBB34_3837:
	s_movk_i32 s4, 0x80
	v_cmp_eq_u16_sdwa s[12:13], v5, s4 src0_sel:BYTE_3 src1_sel:DWORD
	s_mov_b64 s[4:5], -1
                                        ; implicit-def: $sgpr10
	s_and_saveexec_b64 s[8:9], s[12:13]
; %bb.3838:
	s_mov_b32 s10, 0x7f800001
	s_xor_b64 s[4:5], exec, -1
; %bb.3839:
	s_or_b64 exec, exec, s[8:9]
	s_and_b64 s[4:5], s[4:5], exec
	s_or_saveexec_b64 s[6:7], s[6:7]
	v_mov_b32_e32 v3, s10
	s_xor_b64 exec, exec, s[6:7]
	s_cbranch_execz .LBB34_1790
.LBB34_3840:
	v_mov_b32_e32 v3, 0
	v_cmp_ne_u16_sdwa s[8:9], v5, v3 src0_sel:BYTE_3 src1_sel:DWORD
	s_andn2_b64 s[4:5], s[4:5], exec
	s_and_b64 s[8:9], s[8:9], exec
	s_or_b64 s[4:5], s[4:5], s[8:9]
	s_or_b64 exec, exec, s[6:7]
	s_and_saveexec_b64 s[6:7], s[4:5]
	s_cbranch_execnz .LBB34_1791
	s_branch .LBB34_1792
.LBB34_3841:
	s_movk_i32 s4, 0x80
	v_cmp_eq_u16_sdwa s[12:13], v12, s4 src0_sel:BYTE_0 src1_sel:DWORD
	s_mov_b64 s[4:5], -1
                                        ; implicit-def: $sgpr10
	s_and_saveexec_b64 s[8:9], s[12:13]
; %bb.3842:
	s_mov_b32 s10, 0x7f800001
	s_xor_b64 s[4:5], exec, -1
; %bb.3843:
	s_or_b64 exec, exec, s[8:9]
	s_and_b64 s[4:5], s[4:5], exec
	s_or_saveexec_b64 s[6:7], s[6:7]
	v_mov_b32_e32 v18, s10
	s_xor_b64 exec, exec, s[6:7]
	s_cbranch_execz .LBB34_1794
.LBB34_3844:
	v_mov_b32_e32 v18, 0
	v_cmp_ne_u16_sdwa s[8:9], v12, v18 src0_sel:BYTE_0 src1_sel:DWORD
	s_andn2_b64 s[4:5], s[4:5], exec
	s_and_b64 s[8:9], s[8:9], exec
	s_or_b64 s[4:5], s[4:5], s[8:9]
	s_or_b64 exec, exec, s[6:7]
	s_and_saveexec_b64 s[6:7], s[4:5]
	s_cbranch_execnz .LBB34_1795
	s_branch .LBB34_1796
.LBB34_3845:
	s_movk_i32 s4, 0x80
	v_cmp_eq_u16_sdwa s[12:13], v8, s4 src0_sel:BYTE_0 src1_sel:DWORD
	s_mov_b64 s[4:5], -1
                                        ; implicit-def: $sgpr10
	s_and_saveexec_b64 s[8:9], s[12:13]
; %bb.3846:
	s_mov_b32 s10, 0x7f800001
	s_xor_b64 s[4:5], exec, -1
; %bb.3847:
	s_or_b64 exec, exec, s[8:9]
	s_and_b64 s[4:5], s[4:5], exec
	s_or_saveexec_b64 s[6:7], s[6:7]
	v_mov_b32_e32 v19, s10
	s_xor_b64 exec, exec, s[6:7]
	s_cbranch_execz .LBB34_1798
.LBB34_3848:
	v_mov_b32_e32 v19, 0
	v_cmp_ne_u16_sdwa s[8:9], v8, v19 src0_sel:BYTE_0 src1_sel:DWORD
	s_andn2_b64 s[4:5], s[4:5], exec
	s_and_b64 s[8:9], s[8:9], exec
	s_or_b64 s[4:5], s[4:5], s[8:9]
	s_or_b64 exec, exec, s[6:7]
	s_and_saveexec_b64 s[6:7], s[4:5]
	s_cbranch_execnz .LBB34_1799
	s_branch .LBB34_1800
.LBB34_3849:
	s_movk_i32 s4, 0x80
	v_cmp_eq_u16_sdwa s[12:13], v19, s4 src0_sel:BYTE_0 src1_sel:DWORD
	s_mov_b64 s[4:5], -1
                                        ; implicit-def: $sgpr10
	s_and_saveexec_b64 s[8:9], s[12:13]
; %bb.3850:
	s_mov_b32 s10, 0x7f800001
	s_xor_b64 s[4:5], exec, -1
; %bb.3851:
	s_or_b64 exec, exec, s[8:9]
	s_and_b64 s[4:5], s[4:5], exec
	s_or_saveexec_b64 s[6:7], s[6:7]
	v_mov_b32_e32 v18, s10
	s_xor_b64 exec, exec, s[6:7]
	s_cbranch_execz .LBB34_1802
.LBB34_3852:
	v_mov_b32_e32 v18, 0
	v_cmp_ne_u16_sdwa s[8:9], v19, v18 src0_sel:BYTE_0 src1_sel:DWORD
	s_andn2_b64 s[4:5], s[4:5], exec
	s_and_b64 s[8:9], s[8:9], exec
	s_or_b64 s[4:5], s[4:5], s[8:9]
	s_or_b64 exec, exec, s[6:7]
	s_and_saveexec_b64 s[6:7], s[4:5]
	s_cbranch_execnz .LBB34_1803
	s_branch .LBB34_1804
.LBB34_3853:
	s_movk_i32 s4, 0x80
	v_cmp_eq_u16_sdwa s[12:13], v19, s4 src0_sel:BYTE_0 src1_sel:DWORD
	s_mov_b64 s[4:5], -1
                                        ; implicit-def: $sgpr10
	s_and_saveexec_b64 s[8:9], s[12:13]
; %bb.3854:
	s_mov_b32 s10, 0x7f800001
	s_xor_b64 s[4:5], exec, -1
; %bb.3855:
	s_or_b64 exec, exec, s[8:9]
	s_and_b64 s[4:5], s[4:5], exec
	s_or_saveexec_b64 s[6:7], s[6:7]
	v_mov_b32_e32 v20, s10
	s_xor_b64 exec, exec, s[6:7]
	s_cbranch_execz .LBB34_1806
.LBB34_3856:
	v_mov_b32_e32 v20, 0
	v_cmp_ne_u16_sdwa s[8:9], v19, v20 src0_sel:BYTE_0 src1_sel:DWORD
	s_andn2_b64 s[4:5], s[4:5], exec
	s_and_b64 s[8:9], s[8:9], exec
	s_or_b64 s[4:5], s[4:5], s[8:9]
	s_or_b64 exec, exec, s[6:7]
	s_and_saveexec_b64 s[6:7], s[4:5]
	s_cbranch_execnz .LBB34_1807
	s_branch .LBB34_1808
.LBB34_3857:
	s_movk_i32 s4, 0x80
	v_cmp_eq_u16_e32 vcc, s4, v19
	s_mov_b64 s[4:5], -1
                                        ; implicit-def: $sgpr10
	s_and_saveexec_b64 s[8:9], vcc
; %bb.3858:
	s_mov_b32 s10, 0x7f800001
	s_xor_b64 s[4:5], exec, -1
; %bb.3859:
	s_or_b64 exec, exec, s[8:9]
	s_and_b64 s[4:5], s[4:5], exec
                                        ; implicit-def: $vgpr19
	s_or_saveexec_b64 s[6:7], s[6:7]
	v_mov_b32_e32 v18, s10
	s_xor_b64 exec, exec, s[6:7]
	s_cbranch_execz .LBB34_1810
.LBB34_3860:
	v_cmp_ne_u16_e32 vcc, 0, v19
	s_andn2_b64 s[4:5], s[4:5], exec
	s_and_b64 s[8:9], vcc, exec
	v_mov_b32_e32 v18, 0
	s_or_b64 s[4:5], s[4:5], s[8:9]
	s_or_b64 exec, exec, s[6:7]
	s_and_saveexec_b64 s[6:7], s[4:5]
	s_cbranch_execnz .LBB34_1811
	s_branch .LBB34_1812
.LBB34_3861:
	s_movk_i32 s4, 0x80
	v_cmp_eq_u16_e32 vcc, s4, v19
	s_mov_b64 s[4:5], -1
                                        ; implicit-def: $sgpr10
	s_and_saveexec_b64 s[8:9], vcc
; %bb.3862:
	s_mov_b32 s10, 0x7f800001
	s_xor_b64 s[4:5], exec, -1
; %bb.3863:
	s_or_b64 exec, exec, s[8:9]
	s_and_b64 s[4:5], s[4:5], exec
                                        ; implicit-def: $vgpr19
	s_or_saveexec_b64 s[6:7], s[6:7]
	v_mov_b32_e32 v20, s10
	s_xor_b64 exec, exec, s[6:7]
	s_cbranch_execz .LBB34_1814
.LBB34_3864:
	v_cmp_ne_u16_e32 vcc, 0, v19
	s_andn2_b64 s[4:5], s[4:5], exec
	s_and_b64 s[8:9], vcc, exec
	v_mov_b32_e32 v20, 0
	s_or_b64 s[4:5], s[4:5], s[8:9]
	s_or_b64 exec, exec, s[6:7]
	s_and_saveexec_b64 s[6:7], s[4:5]
	s_cbranch_execnz .LBB34_1815
	s_branch .LBB34_1816
.LBB34_3865:
	s_movk_i32 s4, 0x80
	v_cmp_eq_u16_sdwa s[12:13], v12, s4 src0_sel:BYTE_3 src1_sel:DWORD
	s_mov_b64 s[4:5], -1
                                        ; implicit-def: $sgpr10
	s_and_saveexec_b64 s[8:9], s[12:13]
; %bb.3866:
	s_mov_b32 s10, 0x7f800001
	s_xor_b64 s[4:5], exec, -1
; %bb.3867:
	s_or_b64 exec, exec, s[8:9]
	s_and_b64 s[4:5], s[4:5], exec
	s_or_saveexec_b64 s[6:7], s[6:7]
	v_mov_b32_e32 v18, s10
	s_xor_b64 exec, exec, s[6:7]
	s_cbranch_execz .LBB34_1818
.LBB34_3868:
	v_mov_b32_e32 v18, 0
	v_cmp_ne_u16_sdwa s[8:9], v12, v18 src0_sel:BYTE_3 src1_sel:DWORD
	s_andn2_b64 s[4:5], s[4:5], exec
	s_and_b64 s[8:9], s[8:9], exec
	s_or_b64 s[4:5], s[4:5], s[8:9]
	s_or_b64 exec, exec, s[6:7]
	s_and_saveexec_b64 s[6:7], s[4:5]
	s_cbranch_execnz .LBB34_1819
	s_branch .LBB34_1820
.LBB34_3869:
	s_movk_i32 s4, 0x80
	v_cmp_eq_u16_sdwa s[12:13], v8, s4 src0_sel:BYTE_3 src1_sel:DWORD
	s_mov_b64 s[4:5], -1
                                        ; implicit-def: $sgpr10
	s_and_saveexec_b64 s[8:9], s[12:13]
; %bb.3870:
	s_mov_b32 s10, 0x7f800001
	s_xor_b64 s[4:5], exec, -1
; %bb.3871:
	s_or_b64 exec, exec, s[8:9]
	s_and_b64 s[4:5], s[4:5], exec
	s_or_saveexec_b64 s[6:7], s[6:7]
	v_mov_b32_e32 v12, s10
	s_xor_b64 exec, exec, s[6:7]
	s_cbranch_execz .LBB34_1822
.LBB34_3872:
	v_mov_b32_e32 v12, 0
	v_cmp_ne_u16_sdwa s[8:9], v8, v12 src0_sel:BYTE_3 src1_sel:DWORD
	s_andn2_b64 s[4:5], s[4:5], exec
	s_and_b64 s[8:9], s[8:9], exec
	s_or_b64 s[4:5], s[4:5], s[8:9]
	s_or_b64 exec, exec, s[6:7]
	s_and_saveexec_b64 s[6:7], s[4:5]
	s_cbranch_execnz .LBB34_1823
	s_branch .LBB34_1824
.LBB34_3873:
	s_movk_i32 s4, 0x80
	v_cmp_eq_u16_sdwa s[12:13], v13, s4 src0_sel:BYTE_0 src1_sel:DWORD
	s_mov_b64 s[4:5], -1
                                        ; implicit-def: $sgpr10
	s_and_saveexec_b64 s[8:9], s[12:13]
; %bb.3874:
	s_mov_b32 s10, 0x7f800001
	s_xor_b64 s[4:5], exec, -1
; %bb.3875:
	s_or_b64 exec, exec, s[8:9]
	s_and_b64 s[4:5], s[4:5], exec
	s_or_saveexec_b64 s[6:7], s[6:7]
	v_mov_b32_e32 v8, s10
	s_xor_b64 exec, exec, s[6:7]
	s_cbranch_execz .LBB34_1826
.LBB34_3876:
	v_mov_b32_e32 v8, 0
	v_cmp_ne_u16_sdwa s[8:9], v13, v8 src0_sel:BYTE_0 src1_sel:DWORD
	s_andn2_b64 s[4:5], s[4:5], exec
	s_and_b64 s[8:9], s[8:9], exec
	s_or_b64 s[4:5], s[4:5], s[8:9]
	s_or_b64 exec, exec, s[6:7]
	s_and_saveexec_b64 s[6:7], s[4:5]
	s_cbranch_execnz .LBB34_1827
	s_branch .LBB34_1828
.LBB34_3877:
	s_movk_i32 s4, 0x80
	v_cmp_eq_u16_sdwa s[12:13], v9, s4 src0_sel:BYTE_0 src1_sel:DWORD
	s_mov_b64 s[4:5], -1
                                        ; implicit-def: $sgpr10
	s_and_saveexec_b64 s[8:9], s[12:13]
; %bb.3878:
	s_mov_b32 s10, 0x7f800001
	s_xor_b64 s[4:5], exec, -1
; %bb.3879:
	s_or_b64 exec, exec, s[8:9]
	s_and_b64 s[4:5], s[4:5], exec
	s_or_saveexec_b64 s[6:7], s[6:7]
	v_mov_b32_e32 v12, s10
	s_xor_b64 exec, exec, s[6:7]
	s_cbranch_execz .LBB34_1830
.LBB34_3880:
	v_mov_b32_e32 v12, 0
	v_cmp_ne_u16_sdwa s[8:9], v9, v12 src0_sel:BYTE_0 src1_sel:DWORD
	s_andn2_b64 s[4:5], s[4:5], exec
	s_and_b64 s[8:9], s[8:9], exec
	s_or_b64 s[4:5], s[4:5], s[8:9]
	s_or_b64 exec, exec, s[6:7]
	s_and_saveexec_b64 s[6:7], s[4:5]
	s_cbranch_execnz .LBB34_1831
	s_branch .LBB34_1832
.LBB34_3881:
	s_movk_i32 s4, 0x80
	v_cmp_eq_u16_sdwa s[12:13], v12, s4 src0_sel:BYTE_0 src1_sel:DWORD
	s_mov_b64 s[4:5], -1
                                        ; implicit-def: $sgpr10
	s_and_saveexec_b64 s[8:9], s[12:13]
; %bb.3882:
	s_mov_b32 s10, 0x7f800001
	s_xor_b64 s[4:5], exec, -1
; %bb.3883:
	s_or_b64 exec, exec, s[8:9]
	s_and_b64 s[4:5], s[4:5], exec
	s_or_saveexec_b64 s[6:7], s[6:7]
	v_mov_b32_e32 v8, s10
	s_xor_b64 exec, exec, s[6:7]
	s_cbranch_execz .LBB34_1834
.LBB34_3884:
	v_mov_b32_e32 v8, 0
	v_cmp_ne_u16_sdwa s[8:9], v12, v8 src0_sel:BYTE_0 src1_sel:DWORD
	s_andn2_b64 s[4:5], s[4:5], exec
	s_and_b64 s[8:9], s[8:9], exec
	s_or_b64 s[4:5], s[4:5], s[8:9]
	s_or_b64 exec, exec, s[6:7]
	s_and_saveexec_b64 s[6:7], s[4:5]
	s_cbranch_execnz .LBB34_1835
	s_branch .LBB34_1836
.LBB34_3885:
	s_movk_i32 s4, 0x80
	v_cmp_eq_u16_sdwa s[12:13], v12, s4 src0_sel:BYTE_0 src1_sel:DWORD
	s_mov_b64 s[4:5], -1
                                        ; implicit-def: $sgpr10
	s_and_saveexec_b64 s[8:9], s[12:13]
; %bb.3886:
	s_mov_b32 s10, 0x7f800001
	s_xor_b64 s[4:5], exec, -1
; %bb.3887:
	s_or_b64 exec, exec, s[8:9]
	s_and_b64 s[4:5], s[4:5], exec
	s_or_saveexec_b64 s[6:7], s[6:7]
	v_mov_b32_e32 v18, s10
	s_xor_b64 exec, exec, s[6:7]
	s_cbranch_execz .LBB34_1838
.LBB34_3888:
	v_mov_b32_e32 v18, 0
	v_cmp_ne_u16_sdwa s[8:9], v12, v18 src0_sel:BYTE_0 src1_sel:DWORD
	s_andn2_b64 s[4:5], s[4:5], exec
	s_and_b64 s[8:9], s[8:9], exec
	s_or_b64 s[4:5], s[4:5], s[8:9]
	s_or_b64 exec, exec, s[6:7]
	s_and_saveexec_b64 s[6:7], s[4:5]
	s_cbranch_execnz .LBB34_1839
	s_branch .LBB34_1840
.LBB34_3889:
	s_movk_i32 s4, 0x80
	v_cmp_eq_u16_e32 vcc, s4, v12
	s_mov_b64 s[4:5], -1
                                        ; implicit-def: $sgpr10
	s_and_saveexec_b64 s[8:9], vcc
; %bb.3890:
	s_mov_b32 s10, 0x7f800001
	s_xor_b64 s[4:5], exec, -1
; %bb.3891:
	s_or_b64 exec, exec, s[8:9]
	s_and_b64 s[4:5], s[4:5], exec
                                        ; implicit-def: $vgpr12
	s_or_saveexec_b64 s[6:7], s[6:7]
	v_mov_b32_e32 v8, s10
	s_xor_b64 exec, exec, s[6:7]
	s_cbranch_execz .LBB34_1842
.LBB34_3892:
	v_cmp_ne_u16_e32 vcc, 0, v12
	s_andn2_b64 s[4:5], s[4:5], exec
	s_and_b64 s[8:9], vcc, exec
	v_mov_b32_e32 v8, 0
	s_or_b64 s[4:5], s[4:5], s[8:9]
	s_or_b64 exec, exec, s[6:7]
	s_and_saveexec_b64 s[6:7], s[4:5]
	s_cbranch_execnz .LBB34_1843
	s_branch .LBB34_1844
.LBB34_3893:
	s_movk_i32 s4, 0x80
	v_cmp_eq_u16_e32 vcc, s4, v12
	s_mov_b64 s[4:5], -1
                                        ; implicit-def: $sgpr10
	s_and_saveexec_b64 s[8:9], vcc
; %bb.3894:
	s_mov_b32 s10, 0x7f800001
	s_xor_b64 s[4:5], exec, -1
; %bb.3895:
	s_or_b64 exec, exec, s[8:9]
	s_and_b64 s[4:5], s[4:5], exec
                                        ; implicit-def: $vgpr12
	s_or_saveexec_b64 s[6:7], s[6:7]
	v_mov_b32_e32 v18, s10
	s_xor_b64 exec, exec, s[6:7]
	s_cbranch_execz .LBB34_1846
.LBB34_3896:
	v_cmp_ne_u16_e32 vcc, 0, v12
	s_andn2_b64 s[4:5], s[4:5], exec
	s_and_b64 s[8:9], vcc, exec
	v_mov_b32_e32 v18, 0
	s_or_b64 s[4:5], s[4:5], s[8:9]
	s_or_b64 exec, exec, s[6:7]
	s_and_saveexec_b64 s[6:7], s[4:5]
	s_cbranch_execnz .LBB34_1847
	s_branch .LBB34_1848
.LBB34_3897:
	s_movk_i32 s4, 0x80
	v_cmp_eq_u16_sdwa s[12:13], v13, s4 src0_sel:BYTE_3 src1_sel:DWORD
	s_mov_b64 s[4:5], -1
                                        ; implicit-def: $sgpr10
	s_and_saveexec_b64 s[8:9], s[12:13]
; %bb.3898:
	s_mov_b32 s10, 0x7f800001
	s_xor_b64 s[4:5], exec, -1
; %bb.3899:
	s_or_b64 exec, exec, s[8:9]
	s_and_b64 s[4:5], s[4:5], exec
	s_or_saveexec_b64 s[6:7], s[6:7]
	v_mov_b32_e32 v8, s10
	s_xor_b64 exec, exec, s[6:7]
	s_cbranch_execz .LBB34_1850
.LBB34_3900:
	v_mov_b32_e32 v8, 0
	v_cmp_ne_u16_sdwa s[8:9], v13, v8 src0_sel:BYTE_3 src1_sel:DWORD
	s_andn2_b64 s[4:5], s[4:5], exec
	s_and_b64 s[8:9], s[8:9], exec
	s_or_b64 s[4:5], s[4:5], s[8:9]
	s_or_b64 exec, exec, s[6:7]
	s_and_saveexec_b64 s[6:7], s[4:5]
	s_cbranch_execnz .LBB34_1851
	s_branch .LBB34_1852
.LBB34_3901:
	s_movk_i32 s4, 0x80
	v_cmp_eq_u16_sdwa s[12:13], v9, s4 src0_sel:BYTE_3 src1_sel:DWORD
	s_mov_b64 s[4:5], -1
                                        ; implicit-def: $sgpr10
	s_and_saveexec_b64 s[8:9], s[12:13]
; %bb.3902:
	s_mov_b32 s10, 0x7f800001
	s_xor_b64 s[4:5], exec, -1
; %bb.3903:
	s_or_b64 exec, exec, s[8:9]
	s_and_b64 s[4:5], s[4:5], exec
	s_or_saveexec_b64 s[6:7], s[6:7]
	v_mov_b32_e32 v12, s10
	s_xor_b64 exec, exec, s[6:7]
	s_cbranch_execz .LBB34_1854
.LBB34_3904:
	v_mov_b32_e32 v12, 0
	v_cmp_ne_u16_sdwa s[8:9], v9, v12 src0_sel:BYTE_3 src1_sel:DWORD
	s_andn2_b64 s[4:5], s[4:5], exec
	s_and_b64 s[8:9], s[8:9], exec
	s_or_b64 s[4:5], s[4:5], s[8:9]
	s_or_b64 exec, exec, s[6:7]
	s_and_saveexec_b64 s[6:7], s[4:5]
	s_cbranch_execnz .LBB34_1855
	s_branch .LBB34_1856
.LBB34_3905:
	s_movk_i32 s4, 0x80
	v_cmp_eq_u16_sdwa s[12:13], v14, s4 src0_sel:BYTE_0 src1_sel:DWORD
	s_mov_b64 s[4:5], -1
                                        ; implicit-def: $sgpr10
	s_and_saveexec_b64 s[8:9], s[12:13]
; %bb.3906:
	s_mov_b32 s10, 0x7f800001
	s_xor_b64 s[4:5], exec, -1
; %bb.3907:
	s_or_b64 exec, exec, s[8:9]
	s_and_b64 s[4:5], s[4:5], exec
	s_or_saveexec_b64 s[6:7], s[6:7]
	v_mov_b32_e32 v8, s10
	s_xor_b64 exec, exec, s[6:7]
	s_cbranch_execz .LBB34_1858
.LBB34_3908:
	v_mov_b32_e32 v8, 0
	v_cmp_ne_u16_sdwa s[8:9], v14, v8 src0_sel:BYTE_0 src1_sel:DWORD
	s_andn2_b64 s[4:5], s[4:5], exec
	s_and_b64 s[8:9], s[8:9], exec
	s_or_b64 s[4:5], s[4:5], s[8:9]
	s_or_b64 exec, exec, s[6:7]
	s_and_saveexec_b64 s[6:7], s[4:5]
	s_cbranch_execnz .LBB34_1859
	s_branch .LBB34_1860
.LBB34_3909:
	s_movk_i32 s4, 0x80
	v_cmp_eq_u16_sdwa s[12:13], v10, s4 src0_sel:BYTE_0 src1_sel:DWORD
	s_mov_b64 s[4:5], -1
                                        ; implicit-def: $sgpr10
	s_and_saveexec_b64 s[8:9], s[12:13]
; %bb.3910:
	s_mov_b32 s10, 0x7f800001
	s_xor_b64 s[4:5], exec, -1
; %bb.3911:
	s_or_b64 exec, exec, s[8:9]
	s_and_b64 s[4:5], s[4:5], exec
	s_or_saveexec_b64 s[6:7], s[6:7]
	v_mov_b32_e32 v9, s10
	s_xor_b64 exec, exec, s[6:7]
	s_cbranch_execz .LBB34_1862
.LBB34_3912:
	v_mov_b32_e32 v9, 0
	v_cmp_ne_u16_sdwa s[8:9], v10, v9 src0_sel:BYTE_0 src1_sel:DWORD
	s_andn2_b64 s[4:5], s[4:5], exec
	s_and_b64 s[8:9], s[8:9], exec
	s_or_b64 s[4:5], s[4:5], s[8:9]
	s_or_b64 exec, exec, s[6:7]
	s_and_saveexec_b64 s[6:7], s[4:5]
	s_cbranch_execnz .LBB34_1863
	s_branch .LBB34_1864
.LBB34_3913:
	s_movk_i32 s4, 0x80
	v_cmp_eq_u16_sdwa s[12:13], v9, s4 src0_sel:BYTE_0 src1_sel:DWORD
	s_mov_b64 s[4:5], -1
                                        ; implicit-def: $sgpr10
	s_and_saveexec_b64 s[8:9], s[12:13]
; %bb.3914:
	s_mov_b32 s10, 0x7f800001
	s_xor_b64 s[4:5], exec, -1
; %bb.3915:
	s_or_b64 exec, exec, s[8:9]
	s_and_b64 s[4:5], s[4:5], exec
	s_or_saveexec_b64 s[6:7], s[6:7]
	v_mov_b32_e32 v8, s10
	s_xor_b64 exec, exec, s[6:7]
	s_cbranch_execz .LBB34_1866
.LBB34_3916:
	v_mov_b32_e32 v8, 0
	v_cmp_ne_u16_sdwa s[8:9], v9, v8 src0_sel:BYTE_0 src1_sel:DWORD
	s_andn2_b64 s[4:5], s[4:5], exec
	s_and_b64 s[8:9], s[8:9], exec
	s_or_b64 s[4:5], s[4:5], s[8:9]
	s_or_b64 exec, exec, s[6:7]
	s_and_saveexec_b64 s[6:7], s[4:5]
	s_cbranch_execnz .LBB34_1867
	s_branch .LBB34_1868
.LBB34_3917:
	s_movk_i32 s4, 0x80
	v_cmp_eq_u16_sdwa s[12:13], v9, s4 src0_sel:BYTE_0 src1_sel:DWORD
	s_mov_b64 s[4:5], -1
                                        ; implicit-def: $sgpr10
	s_and_saveexec_b64 s[8:9], s[12:13]
; %bb.3918:
	s_mov_b32 s10, 0x7f800001
	s_xor_b64 s[4:5], exec, -1
; %bb.3919:
	s_or_b64 exec, exec, s[8:9]
	s_and_b64 s[4:5], s[4:5], exec
	s_or_saveexec_b64 s[6:7], s[6:7]
	v_mov_b32_e32 v12, s10
	s_xor_b64 exec, exec, s[6:7]
	s_cbranch_execz .LBB34_1870
.LBB34_3920:
	v_mov_b32_e32 v12, 0
	v_cmp_ne_u16_sdwa s[8:9], v9, v12 src0_sel:BYTE_0 src1_sel:DWORD
	s_andn2_b64 s[4:5], s[4:5], exec
	s_and_b64 s[8:9], s[8:9], exec
	s_or_b64 s[4:5], s[4:5], s[8:9]
	s_or_b64 exec, exec, s[6:7]
	s_and_saveexec_b64 s[6:7], s[4:5]
	s_cbranch_execnz .LBB34_1871
	s_branch .LBB34_1872
.LBB34_3921:
	s_movk_i32 s4, 0x80
	v_cmp_eq_u16_e32 vcc, s4, v9
	s_mov_b64 s[4:5], -1
                                        ; implicit-def: $sgpr10
	s_and_saveexec_b64 s[8:9], vcc
; %bb.3922:
	s_mov_b32 s10, 0x7f800001
	s_xor_b64 s[4:5], exec, -1
; %bb.3923:
	s_or_b64 exec, exec, s[8:9]
	s_and_b64 s[4:5], s[4:5], exec
                                        ; implicit-def: $vgpr9
	s_or_saveexec_b64 s[6:7], s[6:7]
	v_mov_b32_e32 v8, s10
	s_xor_b64 exec, exec, s[6:7]
	s_cbranch_execz .LBB34_1874
.LBB34_3924:
	v_cmp_ne_u16_e32 vcc, 0, v9
	s_andn2_b64 s[4:5], s[4:5], exec
	s_and_b64 s[8:9], vcc, exec
	v_mov_b32_e32 v8, 0
	s_or_b64 s[4:5], s[4:5], s[8:9]
	s_or_b64 exec, exec, s[6:7]
	s_and_saveexec_b64 s[6:7], s[4:5]
	s_cbranch_execnz .LBB34_1875
	s_branch .LBB34_1876
.LBB34_3925:
	s_movk_i32 s4, 0x80
	v_cmp_eq_u16_e32 vcc, s4, v9
	s_mov_b64 s[4:5], -1
                                        ; implicit-def: $sgpr10
	s_and_saveexec_b64 s[8:9], vcc
; %bb.3926:
	s_mov_b32 s10, 0x7f800001
	s_xor_b64 s[4:5], exec, -1
; %bb.3927:
	s_or_b64 exec, exec, s[8:9]
	s_and_b64 s[4:5], s[4:5], exec
                                        ; implicit-def: $vgpr9
	s_or_saveexec_b64 s[6:7], s[6:7]
	v_mov_b32_e32 v12, s10
	s_xor_b64 exec, exec, s[6:7]
	s_cbranch_execz .LBB34_1878
.LBB34_3928:
	v_cmp_ne_u16_e32 vcc, 0, v9
	s_andn2_b64 s[4:5], s[4:5], exec
	s_and_b64 s[8:9], vcc, exec
	v_mov_b32_e32 v12, 0
	s_or_b64 s[4:5], s[4:5], s[8:9]
	s_or_b64 exec, exec, s[6:7]
	s_and_saveexec_b64 s[6:7], s[4:5]
	s_cbranch_execnz .LBB34_1879
	s_branch .LBB34_1880
.LBB34_3929:
	s_movk_i32 s4, 0x80
	v_cmp_eq_u16_sdwa s[12:13], v14, s4 src0_sel:BYTE_3 src1_sel:DWORD
	s_mov_b64 s[4:5], -1
                                        ; implicit-def: $sgpr10
	s_and_saveexec_b64 s[8:9], s[12:13]
; %bb.3930:
	s_mov_b32 s10, 0x7f800001
	s_xor_b64 s[4:5], exec, -1
; %bb.3931:
	s_or_b64 exec, exec, s[8:9]
	s_and_b64 s[4:5], s[4:5], exec
	s_or_saveexec_b64 s[6:7], s[6:7]
	v_mov_b32_e32 v8, s10
	s_xor_b64 exec, exec, s[6:7]
	s_cbranch_execz .LBB34_1882
.LBB34_3932:
	v_mov_b32_e32 v8, 0
	v_cmp_ne_u16_sdwa s[8:9], v14, v8 src0_sel:BYTE_3 src1_sel:DWORD
	s_andn2_b64 s[4:5], s[4:5], exec
	s_and_b64 s[8:9], s[8:9], exec
	s_or_b64 s[4:5], s[4:5], s[8:9]
	s_or_b64 exec, exec, s[6:7]
	s_and_saveexec_b64 s[6:7], s[4:5]
	s_cbranch_execnz .LBB34_1883
	s_branch .LBB34_1884
.LBB34_3933:
	s_movk_i32 s4, 0x80
	v_cmp_eq_u16_sdwa s[12:13], v10, s4 src0_sel:BYTE_3 src1_sel:DWORD
	s_mov_b64 s[4:5], -1
                                        ; implicit-def: $sgpr10
	s_and_saveexec_b64 s[8:9], s[12:13]
; %bb.3934:
	s_mov_b32 s10, 0x7f800001
	s_xor_b64 s[4:5], exec, -1
; %bb.3935:
	s_or_b64 exec, exec, s[8:9]
	s_and_b64 s[4:5], s[4:5], exec
	s_or_saveexec_b64 s[6:7], s[6:7]
	v_mov_b32_e32 v9, s10
	s_xor_b64 exec, exec, s[6:7]
	s_cbranch_execz .LBB34_1886
.LBB34_3936:
	v_mov_b32_e32 v9, 0
	v_cmp_ne_u16_sdwa s[8:9], v10, v9 src0_sel:BYTE_3 src1_sel:DWORD
	s_andn2_b64 s[4:5], s[4:5], exec
	s_and_b64 s[8:9], s[8:9], exec
	s_or_b64 s[4:5], s[4:5], s[8:9]
	s_or_b64 exec, exec, s[6:7]
	s_and_saveexec_b64 s[6:7], s[4:5]
	s_cbranch_execnz .LBB34_1887
	s_branch .LBB34_1888
.LBB34_3937:
	s_movk_i32 s4, 0x80
	v_cmp_eq_u16_sdwa s[12:13], v15, s4 src0_sel:BYTE_0 src1_sel:DWORD
	s_mov_b64 s[4:5], -1
                                        ; implicit-def: $sgpr10
	s_and_saveexec_b64 s[8:9], s[12:13]
; %bb.3938:
	s_mov_b32 s10, 0x7f800001
	s_xor_b64 s[4:5], exec, -1
; %bb.3939:
	s_or_b64 exec, exec, s[8:9]
	s_and_b64 s[4:5], s[4:5], exec
	s_or_saveexec_b64 s[6:7], s[6:7]
	v_mov_b32_e32 v8, s10
	s_xor_b64 exec, exec, s[6:7]
	s_cbranch_execz .LBB34_1890
.LBB34_3940:
	v_mov_b32_e32 v8, 0
	v_cmp_ne_u16_sdwa s[8:9], v15, v8 src0_sel:BYTE_0 src1_sel:DWORD
	s_andn2_b64 s[4:5], s[4:5], exec
	s_and_b64 s[8:9], s[8:9], exec
	s_or_b64 s[4:5], s[4:5], s[8:9]
	s_or_b64 exec, exec, s[6:7]
	s_and_saveexec_b64 s[6:7], s[4:5]
	s_cbranch_execnz .LBB34_1891
	s_branch .LBB34_1892
.LBB34_3941:
	s_movk_i32 s4, 0x80
	v_cmp_eq_u16_sdwa s[12:13], v11, s4 src0_sel:BYTE_0 src1_sel:DWORD
	s_mov_b64 s[4:5], -1
                                        ; implicit-def: $sgpr10
	s_and_saveexec_b64 s[8:9], s[12:13]
; %bb.3942:
	s_mov_b32 s10, 0x7f800001
	s_xor_b64 s[4:5], exec, -1
; %bb.3943:
	s_or_b64 exec, exec, s[8:9]
	s_and_b64 s[4:5], s[4:5], exec
	s_or_saveexec_b64 s[6:7], s[6:7]
	v_mov_b32_e32 v9, s10
	s_xor_b64 exec, exec, s[6:7]
	s_cbranch_execz .LBB34_1894
.LBB34_3944:
	v_mov_b32_e32 v9, 0
	v_cmp_ne_u16_sdwa s[8:9], v11, v9 src0_sel:BYTE_0 src1_sel:DWORD
	s_andn2_b64 s[4:5], s[4:5], exec
	s_and_b64 s[8:9], s[8:9], exec
	s_or_b64 s[4:5], s[4:5], s[8:9]
	s_or_b64 exec, exec, s[6:7]
	s_and_saveexec_b64 s[6:7], s[4:5]
	s_cbranch_execnz .LBB34_1895
	s_branch .LBB34_1896
.LBB34_3945:
	s_movk_i32 s4, 0x80
	v_cmp_eq_u16_sdwa s[12:13], v9, s4 src0_sel:BYTE_0 src1_sel:DWORD
	s_mov_b64 s[4:5], -1
                                        ; implicit-def: $sgpr10
	s_and_saveexec_b64 s[8:9], s[12:13]
; %bb.3946:
	s_mov_b32 s10, 0x7f800001
	s_xor_b64 s[4:5], exec, -1
; %bb.3947:
	s_or_b64 exec, exec, s[8:9]
	s_and_b64 s[4:5], s[4:5], exec
	s_or_saveexec_b64 s[6:7], s[6:7]
	v_mov_b32_e32 v8, s10
	s_xor_b64 exec, exec, s[6:7]
	s_cbranch_execz .LBB34_1898
.LBB34_3948:
	v_mov_b32_e32 v8, 0
	v_cmp_ne_u16_sdwa s[8:9], v9, v8 src0_sel:BYTE_0 src1_sel:DWORD
	s_andn2_b64 s[4:5], s[4:5], exec
	s_and_b64 s[8:9], s[8:9], exec
	s_or_b64 s[4:5], s[4:5], s[8:9]
	s_or_b64 exec, exec, s[6:7]
	s_and_saveexec_b64 s[6:7], s[4:5]
	s_cbranch_execnz .LBB34_1899
	s_branch .LBB34_1900
.LBB34_3949:
	s_movk_i32 s4, 0x80
	v_cmp_eq_u16_sdwa s[12:13], v9, s4 src0_sel:BYTE_0 src1_sel:DWORD
	s_mov_b64 s[4:5], -1
                                        ; implicit-def: $sgpr10
	s_and_saveexec_b64 s[8:9], s[12:13]
; %bb.3950:
	s_mov_b32 s10, 0x7f800001
	s_xor_b64 s[4:5], exec, -1
; %bb.3951:
	s_or_b64 exec, exec, s[8:9]
	s_and_b64 s[4:5], s[4:5], exec
	s_or_saveexec_b64 s[6:7], s[6:7]
	v_mov_b32_e32 v10, s10
	s_xor_b64 exec, exec, s[6:7]
	s_cbranch_execz .LBB34_1902
.LBB34_3952:
	v_mov_b32_e32 v10, 0
	v_cmp_ne_u16_sdwa s[8:9], v9, v10 src0_sel:BYTE_0 src1_sel:DWORD
	s_andn2_b64 s[4:5], s[4:5], exec
	s_and_b64 s[8:9], s[8:9], exec
	s_or_b64 s[4:5], s[4:5], s[8:9]
	s_or_b64 exec, exec, s[6:7]
	s_and_saveexec_b64 s[6:7], s[4:5]
	s_cbranch_execnz .LBB34_1903
	s_branch .LBB34_1904
.LBB34_3953:
	s_movk_i32 s4, 0x80
	v_cmp_eq_u16_e32 vcc, s4, v9
	s_mov_b64 s[4:5], -1
                                        ; implicit-def: $sgpr10
	s_and_saveexec_b64 s[8:9], vcc
; %bb.3954:
	s_mov_b32 s10, 0x7f800001
	s_xor_b64 s[4:5], exec, -1
; %bb.3955:
	s_or_b64 exec, exec, s[8:9]
	s_and_b64 s[4:5], s[4:5], exec
                                        ; implicit-def: $vgpr9
	s_or_saveexec_b64 s[6:7], s[6:7]
	v_mov_b32_e32 v8, s10
	s_xor_b64 exec, exec, s[6:7]
	s_cbranch_execz .LBB34_1906
.LBB34_3956:
	v_cmp_ne_u16_e32 vcc, 0, v9
	s_andn2_b64 s[4:5], s[4:5], exec
	s_and_b64 s[8:9], vcc, exec
	v_mov_b32_e32 v8, 0
	s_or_b64 s[4:5], s[4:5], s[8:9]
	s_or_b64 exec, exec, s[6:7]
	s_and_saveexec_b64 s[6:7], s[4:5]
	s_cbranch_execnz .LBB34_1907
	s_branch .LBB34_1908
.LBB34_3957:
	s_movk_i32 s4, 0x80
	v_cmp_eq_u16_e32 vcc, s4, v9
	s_mov_b64 s[4:5], -1
                                        ; implicit-def: $sgpr10
	s_and_saveexec_b64 s[8:9], vcc
; %bb.3958:
	s_mov_b32 s10, 0x7f800001
	s_xor_b64 s[4:5], exec, -1
; %bb.3959:
	s_or_b64 exec, exec, s[8:9]
	s_and_b64 s[4:5], s[4:5], exec
                                        ; implicit-def: $vgpr9
	s_or_saveexec_b64 s[6:7], s[6:7]
	v_mov_b32_e32 v10, s10
	s_xor_b64 exec, exec, s[6:7]
	s_cbranch_execz .LBB34_1910
.LBB34_3960:
	v_cmp_ne_u16_e32 vcc, 0, v9
	s_andn2_b64 s[4:5], s[4:5], exec
	s_and_b64 s[8:9], vcc, exec
	v_mov_b32_e32 v10, 0
	s_or_b64 s[4:5], s[4:5], s[8:9]
	s_or_b64 exec, exec, s[6:7]
	s_and_saveexec_b64 s[6:7], s[4:5]
	s_cbranch_execnz .LBB34_1911
	s_branch .LBB34_1912
.LBB34_3961:
	s_movk_i32 s4, 0x80
	v_cmp_eq_u16_sdwa s[12:13], v15, s4 src0_sel:BYTE_3 src1_sel:DWORD
	s_mov_b64 s[4:5], -1
                                        ; implicit-def: $sgpr10
	s_and_saveexec_b64 s[8:9], s[12:13]
; %bb.3962:
	s_mov_b32 s10, 0x7f800001
	s_xor_b64 s[4:5], exec, -1
; %bb.3963:
	s_or_b64 exec, exec, s[8:9]
	s_and_b64 s[4:5], s[4:5], exec
	s_or_saveexec_b64 s[6:7], s[6:7]
	v_mov_b32_e32 v8, s10
	s_xor_b64 exec, exec, s[6:7]
	s_cbranch_execz .LBB34_1914
.LBB34_3964:
	v_mov_b32_e32 v8, 0
	v_cmp_ne_u16_sdwa s[8:9], v15, v8 src0_sel:BYTE_3 src1_sel:DWORD
	s_andn2_b64 s[4:5], s[4:5], exec
	s_and_b64 s[8:9], s[8:9], exec
	s_or_b64 s[4:5], s[4:5], s[8:9]
	s_or_b64 exec, exec, s[6:7]
	s_and_saveexec_b64 s[6:7], s[4:5]
	s_cbranch_execnz .LBB34_1915
	s_branch .LBB34_1916
.LBB34_3965:
	s_movk_i32 s4, 0x80
	v_cmp_eq_u16_sdwa s[12:13], v11, s4 src0_sel:BYTE_3 src1_sel:DWORD
	s_mov_b64 s[4:5], -1
                                        ; implicit-def: $sgpr10
	s_and_saveexec_b64 s[8:9], s[12:13]
; %bb.3966:
	s_mov_b32 s10, 0x7f800001
	s_xor_b64 s[4:5], exec, -1
; %bb.3967:
	s_or_b64 exec, exec, s[8:9]
	s_and_b64 s[4:5], s[4:5], exec
	s_or_saveexec_b64 s[6:7], s[6:7]
	v_mov_b32_e32 v9, s10
	s_xor_b64 exec, exec, s[6:7]
	s_cbranch_execz .LBB34_1918
.LBB34_3968:
	v_mov_b32_e32 v9, 0
	v_cmp_ne_u16_sdwa s[8:9], v11, v9 src0_sel:BYTE_3 src1_sel:DWORD
	s_andn2_b64 s[4:5], s[4:5], exec
	s_and_b64 s[8:9], s[8:9], exec
	s_or_b64 s[4:5], s[4:5], s[8:9]
	s_or_b64 exec, exec, s[6:7]
	s_and_saveexec_b64 s[6:7], s[4:5]
	s_cbranch_execnz .LBB34_1919
	s_branch .LBB34_1920
.LBB34_3969:
	s_movk_i32 s4, 0x80
	v_cmp_eq_u16_sdwa s[12:13], v4, s4 src0_sel:BYTE_0 src1_sel:DWORD
	s_mov_b64 s[4:5], -1
                                        ; implicit-def: $sgpr10
	s_and_saveexec_b64 s[8:9], s[12:13]
; %bb.3970:
	s_mov_b32 s10, 0x7f800001
	s_xor_b64 s[4:5], exec, -1
; %bb.3971:
	s_or_b64 exec, exec, s[8:9]
	s_and_b64 s[4:5], s[4:5], exec
	s_or_saveexec_b64 s[6:7], s[6:7]
	v_mov_b32_e32 v8, s10
	s_xor_b64 exec, exec, s[6:7]
	s_cbranch_execz .LBB34_1922
.LBB34_3972:
	v_mov_b32_e32 v8, 0
	v_cmp_ne_u16_sdwa s[8:9], v4, v8 src0_sel:BYTE_0 src1_sel:DWORD
	s_andn2_b64 s[4:5], s[4:5], exec
	s_and_b64 s[8:9], s[8:9], exec
	s_or_b64 s[4:5], s[4:5], s[8:9]
	s_or_b64 exec, exec, s[6:7]
	s_and_saveexec_b64 s[6:7], s[4:5]
	s_cbranch_execnz .LBB34_1923
	s_branch .LBB34_1924
.LBB34_3973:
	s_movk_i32 s4, 0x80
	v_cmp_eq_u16_sdwa s[12:13], v0, s4 src0_sel:BYTE_0 src1_sel:DWORD
	s_mov_b64 s[4:5], -1
                                        ; implicit-def: $sgpr10
	s_and_saveexec_b64 s[8:9], s[12:13]
; %bb.3974:
	s_mov_b32 s10, 0x7f800001
	s_xor_b64 s[4:5], exec, -1
; %bb.3975:
	s_or_b64 exec, exec, s[8:9]
	s_and_b64 s[4:5], s[4:5], exec
	s_or_saveexec_b64 s[6:7], s[6:7]
	v_mov_b32_e32 v9, s10
	s_xor_b64 exec, exec, s[6:7]
	s_cbranch_execz .LBB34_1926
.LBB34_3976:
	v_mov_b32_e32 v9, 0
	v_cmp_ne_u16_sdwa s[8:9], v0, v9 src0_sel:BYTE_0 src1_sel:DWORD
	s_andn2_b64 s[4:5], s[4:5], exec
	s_and_b64 s[8:9], s[8:9], exec
	s_or_b64 s[4:5], s[4:5], s[8:9]
	s_or_b64 exec, exec, s[6:7]
	s_and_saveexec_b64 s[6:7], s[4:5]
	s_cbranch_execnz .LBB34_1927
	s_branch .LBB34_1928
.LBB34_3977:
	s_movk_i32 s4, 0x80
	v_cmp_eq_u16_sdwa s[12:13], v9, s4 src0_sel:BYTE_0 src1_sel:DWORD
	s_mov_b64 s[4:5], -1
                                        ; implicit-def: $sgpr10
	s_and_saveexec_b64 s[8:9], s[12:13]
; %bb.3978:
	s_mov_b32 s10, 0x7f800001
	s_xor_b64 s[4:5], exec, -1
; %bb.3979:
	s_or_b64 exec, exec, s[8:9]
	s_and_b64 s[4:5], s[4:5], exec
	s_or_saveexec_b64 s[6:7], s[6:7]
	v_mov_b32_e32 v8, s10
	s_xor_b64 exec, exec, s[6:7]
	s_cbranch_execz .LBB34_1930
.LBB34_3980:
	v_mov_b32_e32 v8, 0
	v_cmp_ne_u16_sdwa s[8:9], v9, v8 src0_sel:BYTE_0 src1_sel:DWORD
	s_andn2_b64 s[4:5], s[4:5], exec
	s_and_b64 s[8:9], s[8:9], exec
	s_or_b64 s[4:5], s[4:5], s[8:9]
	s_or_b64 exec, exec, s[6:7]
	s_and_saveexec_b64 s[6:7], s[4:5]
	s_cbranch_execnz .LBB34_1931
	s_branch .LBB34_1932
.LBB34_3981:
	s_movk_i32 s4, 0x80
	v_cmp_eq_u16_sdwa s[12:13], v9, s4 src0_sel:BYTE_0 src1_sel:DWORD
	s_mov_b64 s[4:5], -1
                                        ; implicit-def: $sgpr10
	s_and_saveexec_b64 s[8:9], s[12:13]
; %bb.3982:
	s_mov_b32 s10, 0x7f800001
	s_xor_b64 s[4:5], exec, -1
; %bb.3983:
	s_or_b64 exec, exec, s[8:9]
	s_and_b64 s[4:5], s[4:5], exec
	s_or_saveexec_b64 s[6:7], s[6:7]
	v_mov_b32_e32 v10, s10
	s_xor_b64 exec, exec, s[6:7]
	s_cbranch_execz .LBB34_1934
.LBB34_3984:
	v_mov_b32_e32 v10, 0
	v_cmp_ne_u16_sdwa s[8:9], v9, v10 src0_sel:BYTE_0 src1_sel:DWORD
	s_andn2_b64 s[4:5], s[4:5], exec
	s_and_b64 s[8:9], s[8:9], exec
	s_or_b64 s[4:5], s[4:5], s[8:9]
	s_or_b64 exec, exec, s[6:7]
	s_and_saveexec_b64 s[6:7], s[4:5]
	s_cbranch_execnz .LBB34_1935
	s_branch .LBB34_1936
.LBB34_3985:
	s_movk_i32 s4, 0x80
	v_cmp_eq_u16_e32 vcc, s4, v9
	s_mov_b64 s[4:5], -1
                                        ; implicit-def: $sgpr10
	s_and_saveexec_b64 s[8:9], vcc
; %bb.3986:
	s_mov_b32 s10, 0x7f800001
	s_xor_b64 s[4:5], exec, -1
; %bb.3987:
	s_or_b64 exec, exec, s[8:9]
	s_and_b64 s[4:5], s[4:5], exec
                                        ; implicit-def: $vgpr9
	s_or_saveexec_b64 s[6:7], s[6:7]
	v_mov_b32_e32 v8, s10
	s_xor_b64 exec, exec, s[6:7]
	s_cbranch_execz .LBB34_1938
.LBB34_3988:
	v_cmp_ne_u16_e32 vcc, 0, v9
	s_andn2_b64 s[4:5], s[4:5], exec
	s_and_b64 s[8:9], vcc, exec
	v_mov_b32_e32 v8, 0
	s_or_b64 s[4:5], s[4:5], s[8:9]
	s_or_b64 exec, exec, s[6:7]
	s_and_saveexec_b64 s[6:7], s[4:5]
	s_cbranch_execnz .LBB34_1939
	s_branch .LBB34_1940
.LBB34_3989:
	s_movk_i32 s4, 0x80
	v_cmp_eq_u16_e32 vcc, s4, v9
	s_mov_b64 s[4:5], -1
                                        ; implicit-def: $sgpr10
	s_and_saveexec_b64 s[8:9], vcc
; %bb.3990:
	s_mov_b32 s10, 0x7f800001
	s_xor_b64 s[4:5], exec, -1
; %bb.3991:
	s_or_b64 exec, exec, s[8:9]
	s_and_b64 s[4:5], s[4:5], exec
                                        ; implicit-def: $vgpr9
	s_or_saveexec_b64 s[6:7], s[6:7]
	v_mov_b32_e32 v10, s10
	s_xor_b64 exec, exec, s[6:7]
	s_cbranch_execz .LBB34_1942
.LBB34_3992:
	v_cmp_ne_u16_e32 vcc, 0, v9
	s_andn2_b64 s[4:5], s[4:5], exec
	s_and_b64 s[8:9], vcc, exec
	v_mov_b32_e32 v10, 0
	s_or_b64 s[4:5], s[4:5], s[8:9]
	s_or_b64 exec, exec, s[6:7]
	s_and_saveexec_b64 s[6:7], s[4:5]
	s_cbranch_execnz .LBB34_1943
	s_branch .LBB34_1944
.LBB34_3993:
	s_movk_i32 s4, 0x80
	v_cmp_eq_u16_sdwa s[12:13], v4, s4 src0_sel:BYTE_3 src1_sel:DWORD
	s_mov_b64 s[4:5], -1
                                        ; implicit-def: $sgpr10
	s_and_saveexec_b64 s[8:9], s[12:13]
; %bb.3994:
	s_mov_b32 s10, 0x7f800001
	s_xor_b64 s[4:5], exec, -1
; %bb.3995:
	s_or_b64 exec, exec, s[8:9]
	s_and_b64 s[4:5], s[4:5], exec
	s_or_saveexec_b64 s[6:7], s[6:7]
	v_mov_b32_e32 v8, s10
	s_xor_b64 exec, exec, s[6:7]
	s_cbranch_execz .LBB34_1946
.LBB34_3996:
	v_mov_b32_e32 v8, 0
	v_cmp_ne_u16_sdwa s[8:9], v4, v8 src0_sel:BYTE_3 src1_sel:DWORD
	s_andn2_b64 s[4:5], s[4:5], exec
	s_and_b64 s[8:9], s[8:9], exec
	s_or_b64 s[4:5], s[4:5], s[8:9]
	s_or_b64 exec, exec, s[6:7]
	s_and_saveexec_b64 s[6:7], s[4:5]
	s_cbranch_execnz .LBB34_1947
	s_branch .LBB34_1948
.LBB34_3997:
	s_movk_i32 s4, 0x80
	v_cmp_eq_u16_sdwa s[12:13], v0, s4 src0_sel:BYTE_3 src1_sel:DWORD
	s_mov_b64 s[4:5], -1
                                        ; implicit-def: $sgpr10
	s_and_saveexec_b64 s[8:9], s[12:13]
; %bb.3998:
	s_mov_b32 s10, 0x7f800001
	s_xor_b64 s[4:5], exec, -1
; %bb.3999:
	s_or_b64 exec, exec, s[8:9]
	s_and_b64 s[4:5], s[4:5], exec
	s_or_saveexec_b64 s[6:7], s[6:7]
	v_mov_b32_e32 v4, s10
	s_xor_b64 exec, exec, s[6:7]
	s_cbranch_execz .LBB34_1950
.LBB34_4000:
	v_mov_b32_e32 v4, 0
	v_cmp_ne_u16_sdwa s[8:9], v0, v4 src0_sel:BYTE_3 src1_sel:DWORD
	s_andn2_b64 s[4:5], s[4:5], exec
	s_and_b64 s[8:9], s[8:9], exec
	s_or_b64 s[4:5], s[4:5], s[8:9]
	s_or_b64 exec, exec, s[6:7]
	s_and_saveexec_b64 s[6:7], s[4:5]
	s_cbranch_execnz .LBB34_1951
	s_branch .LBB34_1952
.LBB34_4001:
	s_movk_i32 s4, 0x80
	v_cmp_eq_u16_sdwa s[12:13], v5, s4 src0_sel:BYTE_0 src1_sel:DWORD
	s_mov_b64 s[4:5], -1
                                        ; implicit-def: $sgpr10
	s_and_saveexec_b64 s[8:9], s[12:13]
; %bb.4002:
	s_mov_b32 s10, 0x7f800001
	s_xor_b64 s[4:5], exec, -1
; %bb.4003:
	s_or_b64 exec, exec, s[8:9]
	s_and_b64 s[4:5], s[4:5], exec
	s_or_saveexec_b64 s[6:7], s[6:7]
	v_mov_b32_e32 v0, s10
	s_xor_b64 exec, exec, s[6:7]
	s_cbranch_execz .LBB34_1954
.LBB34_4004:
	v_mov_b32_e32 v0, 0
	v_cmp_ne_u16_sdwa s[8:9], v5, v0 src0_sel:BYTE_0 src1_sel:DWORD
	s_andn2_b64 s[4:5], s[4:5], exec
	s_and_b64 s[8:9], s[8:9], exec
	s_or_b64 s[4:5], s[4:5], s[8:9]
	s_or_b64 exec, exec, s[6:7]
	s_and_saveexec_b64 s[6:7], s[4:5]
	s_cbranch_execnz .LBB34_1955
	s_branch .LBB34_1956
.LBB34_4005:
	s_movk_i32 s4, 0x80
	v_cmp_eq_u16_sdwa s[12:13], v1, s4 src0_sel:BYTE_0 src1_sel:DWORD
	s_mov_b64 s[4:5], -1
                                        ; implicit-def: $sgpr10
	s_and_saveexec_b64 s[8:9], s[12:13]
; %bb.4006:
	s_mov_b32 s10, 0x7f800001
	s_xor_b64 s[4:5], exec, -1
; %bb.4007:
	s_or_b64 exec, exec, s[8:9]
	s_and_b64 s[4:5], s[4:5], exec
	s_or_saveexec_b64 s[6:7], s[6:7]
	v_mov_b32_e32 v4, s10
	s_xor_b64 exec, exec, s[6:7]
	s_cbranch_execz .LBB34_1958
.LBB34_4008:
	v_mov_b32_e32 v4, 0
	v_cmp_ne_u16_sdwa s[8:9], v1, v4 src0_sel:BYTE_0 src1_sel:DWORD
	s_andn2_b64 s[4:5], s[4:5], exec
	s_and_b64 s[8:9], s[8:9], exec
	s_or_b64 s[4:5], s[4:5], s[8:9]
	s_or_b64 exec, exec, s[6:7]
	s_and_saveexec_b64 s[6:7], s[4:5]
	s_cbranch_execnz .LBB34_1959
	s_branch .LBB34_1960
.LBB34_4009:
	s_movk_i32 s4, 0x80
	v_cmp_eq_u16_sdwa s[12:13], v4, s4 src0_sel:BYTE_0 src1_sel:DWORD
	s_mov_b64 s[4:5], -1
                                        ; implicit-def: $sgpr10
	s_and_saveexec_b64 s[8:9], s[12:13]
; %bb.4010:
	s_mov_b32 s10, 0x7f800001
	s_xor_b64 s[4:5], exec, -1
; %bb.4011:
	s_or_b64 exec, exec, s[8:9]
	s_and_b64 s[4:5], s[4:5], exec
	s_or_saveexec_b64 s[6:7], s[6:7]
	v_mov_b32_e32 v0, s10
	s_xor_b64 exec, exec, s[6:7]
	s_cbranch_execz .LBB34_1962
.LBB34_4012:
	v_mov_b32_e32 v0, 0
	v_cmp_ne_u16_sdwa s[8:9], v4, v0 src0_sel:BYTE_0 src1_sel:DWORD
	s_andn2_b64 s[4:5], s[4:5], exec
	s_and_b64 s[8:9], s[8:9], exec
	s_or_b64 s[4:5], s[4:5], s[8:9]
	s_or_b64 exec, exec, s[6:7]
	s_and_saveexec_b64 s[6:7], s[4:5]
	s_cbranch_execnz .LBB34_1963
	s_branch .LBB34_1964
.LBB34_4013:
	s_movk_i32 s4, 0x80
	v_cmp_eq_u16_sdwa s[12:13], v4, s4 src0_sel:BYTE_0 src1_sel:DWORD
	s_mov_b64 s[4:5], -1
                                        ; implicit-def: $sgpr10
	s_and_saveexec_b64 s[8:9], s[12:13]
; %bb.4014:
	s_mov_b32 s10, 0x7f800001
	s_xor_b64 s[4:5], exec, -1
; %bb.4015:
	s_or_b64 exec, exec, s[8:9]
	s_and_b64 s[4:5], s[4:5], exec
	s_or_saveexec_b64 s[6:7], s[6:7]
	v_mov_b32_e32 v8, s10
	s_xor_b64 exec, exec, s[6:7]
	s_cbranch_execz .LBB34_1966
.LBB34_4016:
	v_mov_b32_e32 v8, 0
	v_cmp_ne_u16_sdwa s[8:9], v4, v8 src0_sel:BYTE_0 src1_sel:DWORD
	s_andn2_b64 s[4:5], s[4:5], exec
	s_and_b64 s[8:9], s[8:9], exec
	s_or_b64 s[4:5], s[4:5], s[8:9]
	s_or_b64 exec, exec, s[6:7]
	s_and_saveexec_b64 s[6:7], s[4:5]
	s_cbranch_execnz .LBB34_1967
	s_branch .LBB34_1968
.LBB34_4017:
	s_movk_i32 s4, 0x80
	v_cmp_eq_u16_e32 vcc, s4, v4
	s_mov_b64 s[4:5], -1
                                        ; implicit-def: $sgpr10
	s_and_saveexec_b64 s[8:9], vcc
; %bb.4018:
	s_mov_b32 s10, 0x7f800001
	s_xor_b64 s[4:5], exec, -1
; %bb.4019:
	s_or_b64 exec, exec, s[8:9]
	s_and_b64 s[4:5], s[4:5], exec
                                        ; implicit-def: $vgpr4
	s_or_saveexec_b64 s[6:7], s[6:7]
	v_mov_b32_e32 v0, s10
	s_xor_b64 exec, exec, s[6:7]
	s_cbranch_execz .LBB34_1970
.LBB34_4020:
	v_cmp_ne_u16_e32 vcc, 0, v4
	s_andn2_b64 s[4:5], s[4:5], exec
	s_and_b64 s[8:9], vcc, exec
	v_mov_b32_e32 v0, 0
	s_or_b64 s[4:5], s[4:5], s[8:9]
	s_or_b64 exec, exec, s[6:7]
	s_and_saveexec_b64 s[6:7], s[4:5]
	s_cbranch_execnz .LBB34_1971
	s_branch .LBB34_1972
.LBB34_4021:
	s_movk_i32 s4, 0x80
	v_cmp_eq_u16_e32 vcc, s4, v4
	s_mov_b64 s[4:5], -1
                                        ; implicit-def: $sgpr10
	s_and_saveexec_b64 s[8:9], vcc
; %bb.4022:
	s_mov_b32 s10, 0x7f800001
	s_xor_b64 s[4:5], exec, -1
; %bb.4023:
	s_or_b64 exec, exec, s[8:9]
	s_and_b64 s[4:5], s[4:5], exec
                                        ; implicit-def: $vgpr4
	s_or_saveexec_b64 s[6:7], s[6:7]
	v_mov_b32_e32 v8, s10
	s_xor_b64 exec, exec, s[6:7]
	s_cbranch_execz .LBB34_1974
.LBB34_4024:
	v_cmp_ne_u16_e32 vcc, 0, v4
	s_andn2_b64 s[4:5], s[4:5], exec
	s_and_b64 s[8:9], vcc, exec
	v_mov_b32_e32 v8, 0
	s_or_b64 s[4:5], s[4:5], s[8:9]
	s_or_b64 exec, exec, s[6:7]
	s_and_saveexec_b64 s[6:7], s[4:5]
	s_cbranch_execnz .LBB34_1975
	s_branch .LBB34_1976
.LBB34_4025:
	s_movk_i32 s4, 0x80
	v_cmp_eq_u16_sdwa s[12:13], v5, s4 src0_sel:BYTE_3 src1_sel:DWORD
	s_mov_b64 s[4:5], -1
                                        ; implicit-def: $sgpr10
	s_and_saveexec_b64 s[8:9], s[12:13]
; %bb.4026:
	s_mov_b32 s10, 0x7f800001
	s_xor_b64 s[4:5], exec, -1
; %bb.4027:
	s_or_b64 exec, exec, s[8:9]
	s_and_b64 s[4:5], s[4:5], exec
	s_or_saveexec_b64 s[6:7], s[6:7]
	v_mov_b32_e32 v0, s10
	s_xor_b64 exec, exec, s[6:7]
	s_cbranch_execz .LBB34_1978
.LBB34_4028:
	v_mov_b32_e32 v0, 0
	v_cmp_ne_u16_sdwa s[8:9], v5, v0 src0_sel:BYTE_3 src1_sel:DWORD
	s_andn2_b64 s[4:5], s[4:5], exec
	s_and_b64 s[8:9], s[8:9], exec
	s_or_b64 s[4:5], s[4:5], s[8:9]
	s_or_b64 exec, exec, s[6:7]
	s_and_saveexec_b64 s[6:7], s[4:5]
	s_cbranch_execnz .LBB34_1979
	s_branch .LBB34_1980
.LBB34_4029:
	s_movk_i32 s4, 0x80
	v_cmp_eq_u16_sdwa s[12:13], v1, s4 src0_sel:BYTE_3 src1_sel:DWORD
	s_mov_b64 s[4:5], -1
                                        ; implicit-def: $sgpr10
	s_and_saveexec_b64 s[8:9], s[12:13]
; %bb.4030:
	s_mov_b32 s10, 0x7f800001
	s_xor_b64 s[4:5], exec, -1
; %bb.4031:
	s_or_b64 exec, exec, s[8:9]
	s_and_b64 s[4:5], s[4:5], exec
	s_or_saveexec_b64 s[6:7], s[6:7]
	v_mov_b32_e32 v4, s10
	s_xor_b64 exec, exec, s[6:7]
	s_cbranch_execz .LBB34_1982
.LBB34_4032:
	v_mov_b32_e32 v4, 0
	v_cmp_ne_u16_sdwa s[8:9], v1, v4 src0_sel:BYTE_3 src1_sel:DWORD
	s_andn2_b64 s[4:5], s[4:5], exec
	s_and_b64 s[8:9], s[8:9], exec
	s_or_b64 s[4:5], s[4:5], s[8:9]
	s_or_b64 exec, exec, s[6:7]
	s_and_saveexec_b64 s[6:7], s[4:5]
	s_cbranch_execnz .LBB34_1983
	s_branch .LBB34_1984
.LBB34_4033:
	s_movk_i32 s4, 0x80
	v_cmp_eq_u16_sdwa s[12:13], v6, s4 src0_sel:BYTE_0 src1_sel:DWORD
	s_mov_b64 s[4:5], -1
                                        ; implicit-def: $sgpr10
	s_and_saveexec_b64 s[8:9], s[12:13]
; %bb.4034:
	s_mov_b32 s10, 0x7f800001
	s_xor_b64 s[4:5], exec, -1
; %bb.4035:
	s_or_b64 exec, exec, s[8:9]
	s_and_b64 s[4:5], s[4:5], exec
	s_or_saveexec_b64 s[6:7], s[6:7]
	v_mov_b32_e32 v0, s10
	s_xor_b64 exec, exec, s[6:7]
	s_cbranch_execz .LBB34_1986
.LBB34_4036:
	v_mov_b32_e32 v0, 0
	v_cmp_ne_u16_sdwa s[8:9], v6, v0 src0_sel:BYTE_0 src1_sel:DWORD
	s_andn2_b64 s[4:5], s[4:5], exec
	s_and_b64 s[8:9], s[8:9], exec
	s_or_b64 s[4:5], s[4:5], s[8:9]
	s_or_b64 exec, exec, s[6:7]
	s_and_saveexec_b64 s[6:7], s[4:5]
	s_cbranch_execnz .LBB34_1987
	s_branch .LBB34_1988
.LBB34_4037:
	s_movk_i32 s4, 0x80
	v_cmp_eq_u16_sdwa s[12:13], v2, s4 src0_sel:BYTE_0 src1_sel:DWORD
	s_mov_b64 s[4:5], -1
                                        ; implicit-def: $sgpr10
	s_and_saveexec_b64 s[8:9], s[12:13]
; %bb.4038:
	s_mov_b32 s10, 0x7f800001
	s_xor_b64 s[4:5], exec, -1
; %bb.4039:
	s_or_b64 exec, exec, s[8:9]
	s_and_b64 s[4:5], s[4:5], exec
	s_or_saveexec_b64 s[6:7], s[6:7]
	v_mov_b32_e32 v1, s10
	s_xor_b64 exec, exec, s[6:7]
	s_cbranch_execz .LBB34_1990
.LBB34_4040:
	v_mov_b32_e32 v1, 0
	v_cmp_ne_u16_sdwa s[8:9], v2, v1 src0_sel:BYTE_0 src1_sel:DWORD
	s_andn2_b64 s[4:5], s[4:5], exec
	s_and_b64 s[8:9], s[8:9], exec
	s_or_b64 s[4:5], s[4:5], s[8:9]
	s_or_b64 exec, exec, s[6:7]
	s_and_saveexec_b64 s[6:7], s[4:5]
	s_cbranch_execnz .LBB34_1991
	s_branch .LBB34_1992
.LBB34_4041:
	s_movk_i32 s4, 0x80
	v_cmp_eq_u16_sdwa s[12:13], v1, s4 src0_sel:BYTE_0 src1_sel:DWORD
	s_mov_b64 s[4:5], -1
                                        ; implicit-def: $sgpr10
	s_and_saveexec_b64 s[8:9], s[12:13]
; %bb.4042:
	s_mov_b32 s10, 0x7f800001
	s_xor_b64 s[4:5], exec, -1
; %bb.4043:
	s_or_b64 exec, exec, s[8:9]
	s_and_b64 s[4:5], s[4:5], exec
	s_or_saveexec_b64 s[6:7], s[6:7]
	v_mov_b32_e32 v0, s10
	s_xor_b64 exec, exec, s[6:7]
	s_cbranch_execz .LBB34_1994
.LBB34_4044:
	v_mov_b32_e32 v0, 0
	v_cmp_ne_u16_sdwa s[8:9], v1, v0 src0_sel:BYTE_0 src1_sel:DWORD
	s_andn2_b64 s[4:5], s[4:5], exec
	s_and_b64 s[8:9], s[8:9], exec
	s_or_b64 s[4:5], s[4:5], s[8:9]
	s_or_b64 exec, exec, s[6:7]
	s_and_saveexec_b64 s[6:7], s[4:5]
	s_cbranch_execnz .LBB34_1995
	s_branch .LBB34_1996
.LBB34_4045:
	s_movk_i32 s4, 0x80
	v_cmp_eq_u16_sdwa s[12:13], v1, s4 src0_sel:BYTE_0 src1_sel:DWORD
	s_mov_b64 s[4:5], -1
                                        ; implicit-def: $sgpr10
	s_and_saveexec_b64 s[8:9], s[12:13]
; %bb.4046:
	s_mov_b32 s10, 0x7f800001
	s_xor_b64 s[4:5], exec, -1
; %bb.4047:
	s_or_b64 exec, exec, s[8:9]
	s_and_b64 s[4:5], s[4:5], exec
	s_or_saveexec_b64 s[6:7], s[6:7]
	v_mov_b32_e32 v4, s10
	s_xor_b64 exec, exec, s[6:7]
	s_cbranch_execz .LBB34_1998
.LBB34_4048:
	v_mov_b32_e32 v4, 0
	v_cmp_ne_u16_sdwa s[8:9], v1, v4 src0_sel:BYTE_0 src1_sel:DWORD
	s_andn2_b64 s[4:5], s[4:5], exec
	s_and_b64 s[8:9], s[8:9], exec
	s_or_b64 s[4:5], s[4:5], s[8:9]
	s_or_b64 exec, exec, s[6:7]
	s_and_saveexec_b64 s[6:7], s[4:5]
	s_cbranch_execnz .LBB34_1999
	s_branch .LBB34_2000
.LBB34_4049:
	s_movk_i32 s4, 0x80
	v_cmp_eq_u16_e32 vcc, s4, v1
	s_mov_b64 s[4:5], -1
                                        ; implicit-def: $sgpr10
	s_and_saveexec_b64 s[8:9], vcc
; %bb.4050:
	s_mov_b32 s10, 0x7f800001
	s_xor_b64 s[4:5], exec, -1
; %bb.4051:
	s_or_b64 exec, exec, s[8:9]
	s_and_b64 s[4:5], s[4:5], exec
                                        ; implicit-def: $vgpr1
	s_or_saveexec_b64 s[6:7], s[6:7]
	v_mov_b32_e32 v0, s10
	s_xor_b64 exec, exec, s[6:7]
	s_cbranch_execz .LBB34_2002
.LBB34_4052:
	v_cmp_ne_u16_e32 vcc, 0, v1
	s_andn2_b64 s[4:5], s[4:5], exec
	s_and_b64 s[8:9], vcc, exec
	v_mov_b32_e32 v0, 0
	s_or_b64 s[4:5], s[4:5], s[8:9]
	s_or_b64 exec, exec, s[6:7]
	s_and_saveexec_b64 s[6:7], s[4:5]
	s_cbranch_execnz .LBB34_2003
	s_branch .LBB34_2004
.LBB34_4053:
	s_movk_i32 s4, 0x80
	v_cmp_eq_u16_e32 vcc, s4, v1
	s_mov_b64 s[4:5], -1
                                        ; implicit-def: $sgpr10
	s_and_saveexec_b64 s[8:9], vcc
; %bb.4054:
	s_mov_b32 s10, 0x7f800001
	s_xor_b64 s[4:5], exec, -1
; %bb.4055:
	s_or_b64 exec, exec, s[8:9]
	s_and_b64 s[4:5], s[4:5], exec
                                        ; implicit-def: $vgpr1
	s_or_saveexec_b64 s[6:7], s[6:7]
	v_mov_b32_e32 v4, s10
	s_xor_b64 exec, exec, s[6:7]
	s_cbranch_execz .LBB34_2006
.LBB34_4056:
	v_cmp_ne_u16_e32 vcc, 0, v1
	s_andn2_b64 s[4:5], s[4:5], exec
	s_and_b64 s[8:9], vcc, exec
	v_mov_b32_e32 v4, 0
	s_or_b64 s[4:5], s[4:5], s[8:9]
	s_or_b64 exec, exec, s[6:7]
	s_and_saveexec_b64 s[6:7], s[4:5]
	s_cbranch_execnz .LBB34_2007
	s_branch .LBB34_2008
.LBB34_4057:
	s_movk_i32 s4, 0x80
	v_cmp_eq_u16_sdwa s[12:13], v6, s4 src0_sel:BYTE_3 src1_sel:DWORD
	s_mov_b64 s[4:5], -1
                                        ; implicit-def: $sgpr10
	s_and_saveexec_b64 s[8:9], s[12:13]
; %bb.4058:
	s_mov_b32 s10, 0x7f800001
	s_xor_b64 s[4:5], exec, -1
; %bb.4059:
	s_or_b64 exec, exec, s[8:9]
	s_and_b64 s[4:5], s[4:5], exec
	s_or_saveexec_b64 s[6:7], s[6:7]
	v_mov_b32_e32 v0, s10
	s_xor_b64 exec, exec, s[6:7]
	s_cbranch_execz .LBB34_2010
.LBB34_4060:
	v_mov_b32_e32 v0, 0
	v_cmp_ne_u16_sdwa s[8:9], v6, v0 src0_sel:BYTE_3 src1_sel:DWORD
	s_andn2_b64 s[4:5], s[4:5], exec
	s_and_b64 s[8:9], s[8:9], exec
	s_or_b64 s[4:5], s[4:5], s[8:9]
	s_or_b64 exec, exec, s[6:7]
	s_and_saveexec_b64 s[6:7], s[4:5]
	s_cbranch_execnz .LBB34_2011
	s_branch .LBB34_2012
.LBB34_4061:
	s_movk_i32 s4, 0x80
	v_cmp_eq_u16_sdwa s[12:13], v2, s4 src0_sel:BYTE_3 src1_sel:DWORD
	s_mov_b64 s[4:5], -1
                                        ; implicit-def: $sgpr10
	s_and_saveexec_b64 s[8:9], s[12:13]
; %bb.4062:
	s_mov_b32 s10, 0x7f800001
	s_xor_b64 s[4:5], exec, -1
; %bb.4063:
	s_or_b64 exec, exec, s[8:9]
	s_and_b64 s[4:5], s[4:5], exec
	s_or_saveexec_b64 s[6:7], s[6:7]
	v_mov_b32_e32 v1, s10
	s_xor_b64 exec, exec, s[6:7]
	s_cbranch_execz .LBB34_2014
.LBB34_4064:
	v_mov_b32_e32 v1, 0
	v_cmp_ne_u16_sdwa s[8:9], v2, v1 src0_sel:BYTE_3 src1_sel:DWORD
	s_andn2_b64 s[4:5], s[4:5], exec
	s_and_b64 s[8:9], s[8:9], exec
	s_or_b64 s[4:5], s[4:5], s[8:9]
	s_or_b64 exec, exec, s[6:7]
	s_and_saveexec_b64 s[6:7], s[4:5]
	s_cbranch_execnz .LBB34_2015
	s_branch .LBB34_2016
.LBB34_4065:
	s_movk_i32 s4, 0x80
	v_cmp_eq_u16_sdwa s[12:13], v7, s4 src0_sel:BYTE_0 src1_sel:DWORD
	s_mov_b64 s[4:5], -1
                                        ; implicit-def: $sgpr10
	s_and_saveexec_b64 s[8:9], s[12:13]
; %bb.4066:
	s_mov_b32 s10, 0x7f800001
	s_xor_b64 s[4:5], exec, -1
; %bb.4067:
	s_or_b64 exec, exec, s[8:9]
	s_and_b64 s[4:5], s[4:5], exec
	s_or_saveexec_b64 s[6:7], s[6:7]
	v_mov_b32_e32 v0, s10
	s_xor_b64 exec, exec, s[6:7]
	s_cbranch_execz .LBB34_2018
.LBB34_4068:
	v_mov_b32_e32 v0, 0
	v_cmp_ne_u16_sdwa s[8:9], v7, v0 src0_sel:BYTE_0 src1_sel:DWORD
	s_andn2_b64 s[4:5], s[4:5], exec
	s_and_b64 s[8:9], s[8:9], exec
	s_or_b64 s[4:5], s[4:5], s[8:9]
	s_or_b64 exec, exec, s[6:7]
	s_and_saveexec_b64 s[6:7], s[4:5]
	s_cbranch_execnz .LBB34_2019
	s_branch .LBB34_2020
.LBB34_4069:
	s_movk_i32 s4, 0x80
	v_cmp_eq_u16_sdwa s[12:13], v3, s4 src0_sel:BYTE_0 src1_sel:DWORD
	s_mov_b64 s[4:5], -1
                                        ; implicit-def: $sgpr10
	s_and_saveexec_b64 s[8:9], s[12:13]
; %bb.4070:
	s_mov_b32 s10, 0x7f800001
	s_xor_b64 s[4:5], exec, -1
; %bb.4071:
	s_or_b64 exec, exec, s[8:9]
	s_and_b64 s[4:5], s[4:5], exec
	s_or_saveexec_b64 s[6:7], s[6:7]
	v_mov_b32_e32 v1, s10
	s_xor_b64 exec, exec, s[6:7]
	s_cbranch_execz .LBB34_2022
.LBB34_4072:
	v_mov_b32_e32 v1, 0
	v_cmp_ne_u16_sdwa s[8:9], v3, v1 src0_sel:BYTE_0 src1_sel:DWORD
	s_andn2_b64 s[4:5], s[4:5], exec
	s_and_b64 s[8:9], s[8:9], exec
	s_or_b64 s[4:5], s[4:5], s[8:9]
	s_or_b64 exec, exec, s[6:7]
	s_and_saveexec_b64 s[6:7], s[4:5]
	s_cbranch_execnz .LBB34_2023
	s_branch .LBB34_2024
.LBB34_4073:
	s_movk_i32 s4, 0x80
	v_cmp_eq_u16_sdwa s[12:13], v1, s4 src0_sel:BYTE_0 src1_sel:DWORD
	s_mov_b64 s[4:5], -1
                                        ; implicit-def: $sgpr10
	s_and_saveexec_b64 s[8:9], s[12:13]
; %bb.4074:
	s_mov_b32 s10, 0x7f800001
	s_xor_b64 s[4:5], exec, -1
; %bb.4075:
	s_or_b64 exec, exec, s[8:9]
	s_and_b64 s[4:5], s[4:5], exec
	s_or_saveexec_b64 s[6:7], s[6:7]
	v_mov_b32_e32 v0, s10
	s_xor_b64 exec, exec, s[6:7]
	s_cbranch_execz .LBB34_2026
.LBB34_4076:
	v_mov_b32_e32 v0, 0
	v_cmp_ne_u16_sdwa s[8:9], v1, v0 src0_sel:BYTE_0 src1_sel:DWORD
	s_andn2_b64 s[4:5], s[4:5], exec
	s_and_b64 s[8:9], s[8:9], exec
	s_or_b64 s[4:5], s[4:5], s[8:9]
	s_or_b64 exec, exec, s[6:7]
	s_and_saveexec_b64 s[6:7], s[4:5]
	s_cbranch_execnz .LBB34_2027
	s_branch .LBB34_2028
.LBB34_4077:
	s_movk_i32 s4, 0x80
	v_cmp_eq_u16_sdwa s[12:13], v1, s4 src0_sel:BYTE_0 src1_sel:DWORD
	s_mov_b64 s[4:5], -1
                                        ; implicit-def: $sgpr10
	s_and_saveexec_b64 s[8:9], s[12:13]
; %bb.4078:
	s_mov_b32 s10, 0x7f800001
	s_xor_b64 s[4:5], exec, -1
; %bb.4079:
	s_or_b64 exec, exec, s[8:9]
	s_and_b64 s[4:5], s[4:5], exec
	s_or_saveexec_b64 s[6:7], s[6:7]
	v_mov_b32_e32 v2, s10
	s_xor_b64 exec, exec, s[6:7]
	s_cbranch_execz .LBB34_2030
.LBB34_4080:
	v_mov_b32_e32 v2, 0
	v_cmp_ne_u16_sdwa s[8:9], v1, v2 src0_sel:BYTE_0 src1_sel:DWORD
	s_andn2_b64 s[4:5], s[4:5], exec
	s_and_b64 s[8:9], s[8:9], exec
	s_or_b64 s[4:5], s[4:5], s[8:9]
	s_or_b64 exec, exec, s[6:7]
	s_and_saveexec_b64 s[6:7], s[4:5]
	s_cbranch_execnz .LBB34_2031
	s_branch .LBB34_2032
.LBB34_4081:
	s_movk_i32 s4, 0x80
	v_cmp_eq_u16_e32 vcc, s4, v1
	s_mov_b64 s[4:5], -1
                                        ; implicit-def: $sgpr10
	s_and_saveexec_b64 s[8:9], vcc
; %bb.4082:
	s_mov_b32 s10, 0x7f800001
	s_xor_b64 s[4:5], exec, -1
; %bb.4083:
	s_or_b64 exec, exec, s[8:9]
	s_and_b64 s[4:5], s[4:5], exec
                                        ; implicit-def: $vgpr1
	s_or_saveexec_b64 s[6:7], s[6:7]
	v_mov_b32_e32 v0, s10
	s_xor_b64 exec, exec, s[6:7]
	s_cbranch_execz .LBB34_2034
.LBB34_4084:
	v_cmp_ne_u16_e32 vcc, 0, v1
	s_andn2_b64 s[4:5], s[4:5], exec
	s_and_b64 s[8:9], vcc, exec
	v_mov_b32_e32 v0, 0
	s_or_b64 s[4:5], s[4:5], s[8:9]
	s_or_b64 exec, exec, s[6:7]
	s_and_saveexec_b64 s[6:7], s[4:5]
	s_cbranch_execnz .LBB34_2035
	s_branch .LBB34_2036
.LBB34_4085:
	s_movk_i32 s4, 0x80
	v_cmp_eq_u16_e32 vcc, s4, v1
	s_mov_b64 s[4:5], -1
                                        ; implicit-def: $sgpr10
	s_and_saveexec_b64 s[8:9], vcc
; %bb.4086:
	s_mov_b32 s10, 0x7f800001
	s_xor_b64 s[4:5], exec, -1
; %bb.4087:
	s_or_b64 exec, exec, s[8:9]
	s_and_b64 s[4:5], s[4:5], exec
                                        ; implicit-def: $vgpr1
	s_or_saveexec_b64 s[6:7], s[6:7]
	v_mov_b32_e32 v2, s10
	s_xor_b64 exec, exec, s[6:7]
	s_cbranch_execz .LBB34_2038
.LBB34_4088:
	v_cmp_ne_u16_e32 vcc, 0, v1
	s_andn2_b64 s[4:5], s[4:5], exec
	s_and_b64 s[8:9], vcc, exec
	v_mov_b32_e32 v2, 0
	s_or_b64 s[4:5], s[4:5], s[8:9]
	s_or_b64 exec, exec, s[6:7]
	s_and_saveexec_b64 s[6:7], s[4:5]
	s_cbranch_execnz .LBB34_2039
	s_branch .LBB34_2040
.LBB34_4089:
	s_movk_i32 s4, 0x80
	v_cmp_eq_u16_sdwa s[12:13], v7, s4 src0_sel:BYTE_3 src1_sel:DWORD
	s_mov_b64 s[4:5], -1
                                        ; implicit-def: $sgpr10
	s_and_saveexec_b64 s[8:9], s[12:13]
; %bb.4090:
	s_mov_b32 s10, 0x7f800001
	s_xor_b64 s[4:5], exec, -1
; %bb.4091:
	s_or_b64 exec, exec, s[8:9]
	s_and_b64 s[4:5], s[4:5], exec
	s_or_saveexec_b64 s[6:7], s[6:7]
	v_mov_b32_e32 v0, s10
	s_xor_b64 exec, exec, s[6:7]
	s_cbranch_execz .LBB34_2042
.LBB34_4092:
	v_mov_b32_e32 v0, 0
	v_cmp_ne_u16_sdwa s[8:9], v7, v0 src0_sel:BYTE_3 src1_sel:DWORD
	s_andn2_b64 s[4:5], s[4:5], exec
	s_and_b64 s[8:9], s[8:9], exec
	s_or_b64 s[4:5], s[4:5], s[8:9]
	s_or_b64 exec, exec, s[6:7]
	s_and_saveexec_b64 s[6:7], s[4:5]
	s_cbranch_execnz .LBB34_2043
	s_branch .LBB34_2044
.LBB34_4093:
	s_movk_i32 s4, 0x80
	v_cmp_eq_u16_sdwa s[12:13], v3, s4 src0_sel:BYTE_3 src1_sel:DWORD
	s_mov_b64 s[4:5], -1
                                        ; implicit-def: $sgpr10
	s_and_saveexec_b64 s[8:9], s[12:13]
; %bb.4094:
	s_mov_b32 s10, 0x7f800001
	s_xor_b64 s[4:5], exec, -1
; %bb.4095:
	s_or_b64 exec, exec, s[8:9]
	s_and_b64 s[4:5], s[4:5], exec
	s_or_saveexec_b64 s[6:7], s[6:7]
	v_mov_b32_e32 v1, s10
	s_xor_b64 exec, exec, s[6:7]
	s_cbranch_execz .LBB34_2046
.LBB34_4096:
	v_mov_b32_e32 v1, 0
	v_cmp_ne_u16_sdwa s[8:9], v3, v1 src0_sel:BYTE_3 src1_sel:DWORD
	s_andn2_b64 s[4:5], s[4:5], exec
	s_and_b64 s[8:9], s[8:9], exec
	s_or_b64 s[4:5], s[4:5], s[8:9]
	s_or_b64 exec, exec, s[6:7]
	s_and_saveexec_b64 s[6:7], s[4:5]
	s_cbranch_execnz .LBB34_2047
	s_branch .LBB34_2048
.Lfunc_end34:
	.size	_ZNK2ck6detail7applierIiJLi0ELi1ELi2ELi3ELi4ELi5ELi6ELi7EEEclIZNKS_11static_fordINS_8SequenceIJLi1ELi8EEEENS5_IJLi0ELi1EEEEEclIZZZNKS_52BlockwiseGemmXdlops_pipeline_bpreshuffle_bdequant_v3ILNS_26BlockGemmPipelineSchedulerE0ELi256ENS_9f8_fnuz_tENS_7pk_i4_tESC_fNS_16TensorDescriptorINS_5TupleIJNS_5EmbedINSF_IJNS_17integral_constantIiLi8EEENSH_IiLi256EEENSH_IiLi16EEEEEENSF_IJSK_NSH_IiLi128EEENSH_IiLi1EEEEEELb0EEENS_3XorINSF_IJSJ_SI_EEELb1EEENS_11PassThroughISK_EENS_7UnMergeINSF_IJSI_SN_EEELb0EEENST_ISJ_EESU_NST_ISI_EENS_21Merge_v3_division_modINSF_IJSJ_SN_EEEEESU_EEENSF_IJNS5_IJLi0EEEENS5_IJLi2ELi1EEEENS5_IJLi3EEEENS5_IJLi5EEEENS5_IJLi4EEEENS5_IJLi6EEEENS5_IJLi7EEEENS5_IJLi9ELi8EEEENS5_IJLi10EEEEEEENSF_IJNS5_IJLi1ELi2ELi3EEEENS5_IJLi4ELi5EEEES19_NS5_IJLi7ELi8EEEENS5_IJLi9EEEES1C_NS5_IJLi11EEEENS5_IJLi12EEEENS5_IJLi13EEEEEEENS5_IJLi11ELi12ELi13EEEENSH_IlLl32768EEEEENSE_INSF_IJNSV_INSF_IJSI_SN_SN_NSH_IiLi32EEEEEELb0EEEEEENSF_IJS14_EEENSF_IJNS5_IJLi1ELi2ELi3ELi4EEEEEEES1U_NSH_IlLl256EEEEENSE_INSF_IJSP_SS_SU_SX_SY_SU_SZ_S12_SU_NS10_INSF_IJSI_SK_EEEEENSV_INSF_IJSI_NSH_IiLi2EEESK_EEELb0EEEEEENSF_IJS14_S15_S16_S17_S18_S19_S1A_S1B_S1C_NS5_IJLi11ELi13EEEES1J_EEENSF_IJS1E_S1F_S19_S1G_S1H_S1C_S1I_S1J_S1K_NS5_IJLi14EEEENS5_IJLi15ELi16ELi17EEEEEEENS5_IJLi15ELi16ELi17ELi14EEEES1N_EENSE_INSF_IJS1R_NS10_ISW_EES22_EEENSF_IJS14_NS5_IJLi1ELi3EEEENS5_IJLi2EEEEEEENSF_IJS1U_S17_NS5_IJLi6ELi7ELi8EEEEEEENS5_IJLi6ELi7ELi8ELi5EEEES1W_EELi16ELi32ELi256ELi256ELi128ELi16ELi16ELi8ELi8ELi32ELb0EE3RunILb1ELNS_10TailNumberE1ENSE_INSF_IJNSG_INSF_IJiiEEENSF_IJiSN_EEELb0EEENSV_IS2N_Lb0EEENST_IiEEEEENSF_IJS14_S2E_NS5_IJLi1EEEEEEENSF_IJNS5_IJLi1ELi2EEEENS5_IJLi3ELi4EEEES17_EEENS5_IJLi3ELi5ELi4EEEElEES1O_NS_35ThreadGroupTensorSliceTransfer_v4r1INS_15ThisThreadBlockILi256EEENS_16tensor_operation12element_wise11PassThroughES35_LNS_25InMemoryDataOperationEnumE0ENS5_IJLi8ELi256ELi16EEEENS5_IJLi8ELi32ELi1EEEENS5_IJLi1ELi0ELi2EEEESC_SC_RKS2Z_KS1O_S39_NS5_IJLi0ELi1ELi2EEEELi2ELi2ELi16ELi16ELi1ELi1ELb0ELb1ELi2EiEENS_13DynamicBufferILNS_16AddressSpaceEnumE1EKSC_lLb1ELNS_22AmdBufferCoherenceEnumE0EiEENSF_IJNS3F_ILS3G_2ESC_S1N_Lb1ELS3I_0EiEES3K_EEENSF_IJiiiEEENSE_INSF_IJNSG_INSF_IJiiiiEEENSF_IJiiiSN_EEELb0EEEEEES1T_S1V_S1U_lEENS_32ThreadwiseTensorSliceTransfer_v2ISD_SD_RKS3R_KS1X_NS5_IJLi8ELi1ELi1ELi32EEEENS5_IJLi1ELi2ELi0ELi3EEEELi3ELi32ELi0ELb1ELb0ELb0EEENS3F_ILS3G_1EKSD_lLb1ELS3I_0EiEENSF_IJNS_12StaticBufferILS3G_4ESD_Li256ELb1EEES42_EEES3N_NS_25StaticBufferTupleOfVectorILS3G_4EfLi64ELi4ELb1ELb0EEEEEvRKT1_RKT2_RT3_RKT4_RT5_RKT6_RKT7_RT8_RKT9_RT10_RKT11_RT12_iENKUlT_T0_E_clINSH_IiLi0EEESN_EEDaS51_S52_ENKUlS51_E_clINSH_IiLi6EEEEEDaS51_EUlS51_E_EEvS51_EUlS51_E_EEvS51_, .Lfunc_end34-_ZNK2ck6detail7applierIiJLi0ELi1ELi2ELi3ELi4ELi5ELi6ELi7EEEclIZNKS_11static_fordINS_8SequenceIJLi1ELi8EEEENS5_IJLi0ELi1EEEEEclIZZZNKS_52BlockwiseGemmXdlops_pipeline_bpreshuffle_bdequant_v3ILNS_26BlockGemmPipelineSchedulerE0ELi256ENS_9f8_fnuz_tENS_7pk_i4_tESC_fNS_16TensorDescriptorINS_5TupleIJNS_5EmbedINSF_IJNS_17integral_constantIiLi8EEENSH_IiLi256EEENSH_IiLi16EEEEEENSF_IJSK_NSH_IiLi128EEENSH_IiLi1EEEEEELb0EEENS_3XorINSF_IJSJ_SI_EEELb1EEENS_11PassThroughISK_EENS_7UnMergeINSF_IJSI_SN_EEELb0EEENST_ISJ_EESU_NST_ISI_EENS_21Merge_v3_division_modINSF_IJSJ_SN_EEEEESU_EEENSF_IJNS5_IJLi0EEEENS5_IJLi2ELi1EEEENS5_IJLi3EEEENS5_IJLi5EEEENS5_IJLi4EEEENS5_IJLi6EEEENS5_IJLi7EEEENS5_IJLi9ELi8EEEENS5_IJLi10EEEEEEENSF_IJNS5_IJLi1ELi2ELi3EEEENS5_IJLi4ELi5EEEES19_NS5_IJLi7ELi8EEEENS5_IJLi9EEEES1C_NS5_IJLi11EEEENS5_IJLi12EEEENS5_IJLi13EEEEEEENS5_IJLi11ELi12ELi13EEEENSH_IlLl32768EEEEENSE_INSF_IJNSV_INSF_IJSI_SN_SN_NSH_IiLi32EEEEEELb0EEEEEENSF_IJS14_EEENSF_IJNS5_IJLi1ELi2ELi3ELi4EEEEEEES1U_NSH_IlLl256EEEEENSE_INSF_IJSP_SS_SU_SX_SY_SU_SZ_S12_SU_NS10_INSF_IJSI_SK_EEEEENSV_INSF_IJSI_NSH_IiLi2EEESK_EEELb0EEEEEENSF_IJS14_S15_S16_S17_S18_S19_S1A_S1B_S1C_NS5_IJLi11ELi13EEEES1J_EEENSF_IJS1E_S1F_S19_S1G_S1H_S1C_S1I_S1J_S1K_NS5_IJLi14EEEENS5_IJLi15ELi16ELi17EEEEEEENS5_IJLi15ELi16ELi17ELi14EEEES1N_EENSE_INSF_IJS1R_NS10_ISW_EES22_EEENSF_IJS14_NS5_IJLi1ELi3EEEENS5_IJLi2EEEEEEENSF_IJS1U_S17_NS5_IJLi6ELi7ELi8EEEEEEENS5_IJLi6ELi7ELi8ELi5EEEES1W_EELi16ELi32ELi256ELi256ELi128ELi16ELi16ELi8ELi8ELi32ELb0EE3RunILb1ELNS_10TailNumberE1ENSE_INSF_IJNSG_INSF_IJiiEEENSF_IJiSN_EEELb0EEENSV_IS2N_Lb0EEENST_IiEEEEENSF_IJS14_S2E_NS5_IJLi1EEEEEEENSF_IJNS5_IJLi1ELi2EEEENS5_IJLi3ELi4EEEES17_EEENS5_IJLi3ELi5ELi4EEEElEES1O_NS_35ThreadGroupTensorSliceTransfer_v4r1INS_15ThisThreadBlockILi256EEENS_16tensor_operation12element_wise11PassThroughES35_LNS_25InMemoryDataOperationEnumE0ENS5_IJLi8ELi256ELi16EEEENS5_IJLi8ELi32ELi1EEEENS5_IJLi1ELi0ELi2EEEESC_SC_RKS2Z_KS1O_S39_NS5_IJLi0ELi1ELi2EEEELi2ELi2ELi16ELi16ELi1ELi1ELb0ELb1ELi2EiEENS_13DynamicBufferILNS_16AddressSpaceEnumE1EKSC_lLb1ELNS_22AmdBufferCoherenceEnumE0EiEENSF_IJNS3F_ILS3G_2ESC_S1N_Lb1ELS3I_0EiEES3K_EEENSF_IJiiiEEENSE_INSF_IJNSG_INSF_IJiiiiEEENSF_IJiiiSN_EEELb0EEEEEES1T_S1V_S1U_lEENS_32ThreadwiseTensorSliceTransfer_v2ISD_SD_RKS3R_KS1X_NS5_IJLi8ELi1ELi1ELi32EEEENS5_IJLi1ELi2ELi0ELi3EEEELi3ELi32ELi0ELb1ELb0ELb0EEENS3F_ILS3G_1EKSD_lLb1ELS3I_0EiEENSF_IJNS_12StaticBufferILS3G_4ESD_Li256ELb1EEES42_EEES3N_NS_25StaticBufferTupleOfVectorILS3G_4EfLi64ELi4ELb1ELb0EEEEEvRKT1_RKT2_RT3_RKT4_RT5_RKT6_RKT7_RT8_RKT9_RT10_RKT11_RT12_iENKUlT_T0_E_clINSH_IiLi0EEESN_EEDaS51_S52_ENKUlS51_E_clINSH_IiLi6EEEEEDaS51_EUlS51_E_EEvS51_EUlS51_E_EEvS51_
                                        ; -- End function
	.section	.AMDGPU.csdata,"",@progbits
; Function info:
; codeLenInByte = 133608
; NumSgprs: 36
; NumVgprs: 26
; NumAgprs: 4
; TotalNumVgprs: 32
; ScratchSize: 0
; MemoryBound: 1
	.text
	.p2align	2                               ; -- Begin function _ZNK2ck6detail7applierIiJLi0ELi1ELi2ELi3ELi4ELi5ELi6ELi7EEEclIZNKS_11static_fordINS_8SequenceIJLi1ELi8EEEENS5_IJLi0ELi1EEEEEclIZZZNKS_52BlockwiseGemmXdlops_pipeline_bpreshuffle_bdequant_v3ILNS_26BlockGemmPipelineSchedulerE0ELi256ENS_9f8_fnuz_tENS_7pk_i4_tESC_fNS_16TensorDescriptorINS_5TupleIJNS_5EmbedINSF_IJNS_17integral_constantIiLi8EEENSH_IiLi256EEENSH_IiLi16EEEEEENSF_IJSK_NSH_IiLi128EEENSH_IiLi1EEEEEELb0EEENS_3XorINSF_IJSJ_SI_EEELb1EEENS_11PassThroughISK_EENS_7UnMergeINSF_IJSI_SN_EEELb0EEENST_ISJ_EESU_NST_ISI_EENS_21Merge_v3_division_modINSF_IJSJ_SN_EEEEESU_EEENSF_IJNS5_IJLi0EEEENS5_IJLi2ELi1EEEENS5_IJLi3EEEENS5_IJLi5EEEENS5_IJLi4EEEENS5_IJLi6EEEENS5_IJLi7EEEENS5_IJLi9ELi8EEEENS5_IJLi10EEEEEEENSF_IJNS5_IJLi1ELi2ELi3EEEENS5_IJLi4ELi5EEEES19_NS5_IJLi7ELi8EEEENS5_IJLi9EEEES1C_NS5_IJLi11EEEENS5_IJLi12EEEENS5_IJLi13EEEEEEENS5_IJLi11ELi12ELi13EEEENSH_IlLl32768EEEEENSE_INSF_IJNSV_INSF_IJSI_SN_SN_NSH_IiLi32EEEEEELb0EEEEEENSF_IJS14_EEENSF_IJNS5_IJLi1ELi2ELi3ELi4EEEEEEES1U_NSH_IlLl256EEEEENSE_INSF_IJSP_SS_SU_SX_SY_SU_SZ_S12_SU_NS10_INSF_IJSI_SK_EEEEENSV_INSF_IJSI_NSH_IiLi2EEESK_EEELb0EEEEEENSF_IJS14_S15_S16_S17_S18_S19_S1A_S1B_S1C_NS5_IJLi11ELi13EEEES1J_EEENSF_IJS1E_S1F_S19_S1G_S1H_S1C_S1I_S1J_S1K_NS5_IJLi14EEEENS5_IJLi15ELi16ELi17EEEEEEENS5_IJLi15ELi16ELi17ELi14EEEES1N_EENSE_INSF_IJS1R_NS10_ISW_EES22_EEENSF_IJS14_NS5_IJLi1ELi3EEEENS5_IJLi2EEEEEEENSF_IJS1U_S17_NS5_IJLi6ELi7ELi8EEEEEEENS5_IJLi6ELi7ELi8ELi5EEEES1W_EELi16ELi32ELi256ELi256ELi128ELi16ELi16ELi8ELi8ELi32ELb0EE3RunILb1ELNS_10TailNumberE1ENSE_INSF_IJNSG_INSF_IJiiEEENSF_IJiSN_EEELb0EEENSV_IS2N_Lb0EEENST_IiEEEEENSF_IJS14_S2E_NS5_IJLi1EEEEEEENSF_IJNS5_IJLi1ELi2EEEENS5_IJLi3ELi4EEEES17_EEENS5_IJLi3ELi5ELi4EEEElEES1O_NS_35ThreadGroupTensorSliceTransfer_v4r1INS_15ThisThreadBlockILi256EEENS_16tensor_operation12element_wise11PassThroughES35_LNS_25InMemoryDataOperationEnumE0ENS5_IJLi8ELi256ELi16EEEENS5_IJLi8ELi32ELi1EEEENS5_IJLi1ELi0ELi2EEEESC_SC_RKS2Z_KS1O_S39_NS5_IJLi0ELi1ELi2EEEELi2ELi2ELi16ELi16ELi1ELi1ELb0ELb1ELi2EiEENS_13DynamicBufferILNS_16AddressSpaceEnumE1EKSC_lLb1ELNS_22AmdBufferCoherenceEnumE0EiEENSF_IJNS3F_ILS3G_2ESC_S1N_Lb1ELS3I_0EiEES3K_EEENSF_IJiiiEEENSE_INSF_IJNSG_INSF_IJiiiiEEENSF_IJiiiSN_EEELb0EEEEEES1T_S1V_S1U_lEENS_32ThreadwiseTensorSliceTransfer_v2ISD_SD_RKS3R_KS1X_NS5_IJLi8ELi1ELi1ELi32EEEENS5_IJLi1ELi2ELi0ELi3EEEELi3ELi32ELi0ELb1ELb0ELb0EEENS3F_ILS3G_1EKSD_lLb1ELS3I_0EiEENSF_IJNS_12StaticBufferILS3G_4ESD_Li256ELb1EEES42_EEES3N_NS_25StaticBufferTupleOfVectorILS3G_4EfLi64ELi4ELb1ELb0EEEEEvRKT1_RKT2_RT3_RKT4_RT5_RKT6_RKT7_RT8_RKT9_RT10_RKT11_RT12_iENKUlT_T0_E_clINSH_IiLi0EEESN_EEDaS51_S52_ENKUlS51_E_clINSH_IiLi7EEEEEDaS51_EUlS51_E_EEvS51_EUlS51_E_EEvS51_
	.type	_ZNK2ck6detail7applierIiJLi0ELi1ELi2ELi3ELi4ELi5ELi6ELi7EEEclIZNKS_11static_fordINS_8SequenceIJLi1ELi8EEEENS5_IJLi0ELi1EEEEEclIZZZNKS_52BlockwiseGemmXdlops_pipeline_bpreshuffle_bdequant_v3ILNS_26BlockGemmPipelineSchedulerE0ELi256ENS_9f8_fnuz_tENS_7pk_i4_tESC_fNS_16TensorDescriptorINS_5TupleIJNS_5EmbedINSF_IJNS_17integral_constantIiLi8EEENSH_IiLi256EEENSH_IiLi16EEEEEENSF_IJSK_NSH_IiLi128EEENSH_IiLi1EEEEEELb0EEENS_3XorINSF_IJSJ_SI_EEELb1EEENS_11PassThroughISK_EENS_7UnMergeINSF_IJSI_SN_EEELb0EEENST_ISJ_EESU_NST_ISI_EENS_21Merge_v3_division_modINSF_IJSJ_SN_EEEEESU_EEENSF_IJNS5_IJLi0EEEENS5_IJLi2ELi1EEEENS5_IJLi3EEEENS5_IJLi5EEEENS5_IJLi4EEEENS5_IJLi6EEEENS5_IJLi7EEEENS5_IJLi9ELi8EEEENS5_IJLi10EEEEEEENSF_IJNS5_IJLi1ELi2ELi3EEEENS5_IJLi4ELi5EEEES19_NS5_IJLi7ELi8EEEENS5_IJLi9EEEES1C_NS5_IJLi11EEEENS5_IJLi12EEEENS5_IJLi13EEEEEEENS5_IJLi11ELi12ELi13EEEENSH_IlLl32768EEEEENSE_INSF_IJNSV_INSF_IJSI_SN_SN_NSH_IiLi32EEEEEELb0EEEEEENSF_IJS14_EEENSF_IJNS5_IJLi1ELi2ELi3ELi4EEEEEEES1U_NSH_IlLl256EEEEENSE_INSF_IJSP_SS_SU_SX_SY_SU_SZ_S12_SU_NS10_INSF_IJSI_SK_EEEEENSV_INSF_IJSI_NSH_IiLi2EEESK_EEELb0EEEEEENSF_IJS14_S15_S16_S17_S18_S19_S1A_S1B_S1C_NS5_IJLi11ELi13EEEES1J_EEENSF_IJS1E_S1F_S19_S1G_S1H_S1C_S1I_S1J_S1K_NS5_IJLi14EEEENS5_IJLi15ELi16ELi17EEEEEEENS5_IJLi15ELi16ELi17ELi14EEEES1N_EENSE_INSF_IJS1R_NS10_ISW_EES22_EEENSF_IJS14_NS5_IJLi1ELi3EEEENS5_IJLi2EEEEEEENSF_IJS1U_S17_NS5_IJLi6ELi7ELi8EEEEEEENS5_IJLi6ELi7ELi8ELi5EEEES1W_EELi16ELi32ELi256ELi256ELi128ELi16ELi16ELi8ELi8ELi32ELb0EE3RunILb1ELNS_10TailNumberE1ENSE_INSF_IJNSG_INSF_IJiiEEENSF_IJiSN_EEELb0EEENSV_IS2N_Lb0EEENST_IiEEEEENSF_IJS14_S2E_NS5_IJLi1EEEEEEENSF_IJNS5_IJLi1ELi2EEEENS5_IJLi3ELi4EEEES17_EEENS5_IJLi3ELi5ELi4EEEElEES1O_NS_35ThreadGroupTensorSliceTransfer_v4r1INS_15ThisThreadBlockILi256EEENS_16tensor_operation12element_wise11PassThroughES35_LNS_25InMemoryDataOperationEnumE0ENS5_IJLi8ELi256ELi16EEEENS5_IJLi8ELi32ELi1EEEENS5_IJLi1ELi0ELi2EEEESC_SC_RKS2Z_KS1O_S39_NS5_IJLi0ELi1ELi2EEEELi2ELi2ELi16ELi16ELi1ELi1ELb0ELb1ELi2EiEENS_13DynamicBufferILNS_16AddressSpaceEnumE1EKSC_lLb1ELNS_22AmdBufferCoherenceEnumE0EiEENSF_IJNS3F_ILS3G_2ESC_S1N_Lb1ELS3I_0EiEES3K_EEENSF_IJiiiEEENSE_INSF_IJNSG_INSF_IJiiiiEEENSF_IJiiiSN_EEELb0EEEEEES1T_S1V_S1U_lEENS_32ThreadwiseTensorSliceTransfer_v2ISD_SD_RKS3R_KS1X_NS5_IJLi8ELi1ELi1ELi32EEEENS5_IJLi1ELi2ELi0ELi3EEEELi3ELi32ELi0ELb1ELb0ELb0EEENS3F_ILS3G_1EKSD_lLb1ELS3I_0EiEENSF_IJNS_12StaticBufferILS3G_4ESD_Li256ELb1EEES42_EEES3N_NS_25StaticBufferTupleOfVectorILS3G_4EfLi64ELi4ELb1ELb0EEEEEvRKT1_RKT2_RT3_RKT4_RT5_RKT6_RKT7_RT8_RKT9_RT10_RKT11_RT12_iENKUlT_T0_E_clINSH_IiLi0EEESN_EEDaS51_S52_ENKUlS51_E_clINSH_IiLi7EEEEEDaS51_EUlS51_E_EEvS51_EUlS51_E_EEvS51_,@function
_ZNK2ck6detail7applierIiJLi0ELi1ELi2ELi3ELi4ELi5ELi6ELi7EEEclIZNKS_11static_fordINS_8SequenceIJLi1ELi8EEEENS5_IJLi0ELi1EEEEEclIZZZNKS_52BlockwiseGemmXdlops_pipeline_bpreshuffle_bdequant_v3ILNS_26BlockGemmPipelineSchedulerE0ELi256ENS_9f8_fnuz_tENS_7pk_i4_tESC_fNS_16TensorDescriptorINS_5TupleIJNS_5EmbedINSF_IJNS_17integral_constantIiLi8EEENSH_IiLi256EEENSH_IiLi16EEEEEENSF_IJSK_NSH_IiLi128EEENSH_IiLi1EEEEEELb0EEENS_3XorINSF_IJSJ_SI_EEELb1EEENS_11PassThroughISK_EENS_7UnMergeINSF_IJSI_SN_EEELb0EEENST_ISJ_EESU_NST_ISI_EENS_21Merge_v3_division_modINSF_IJSJ_SN_EEEEESU_EEENSF_IJNS5_IJLi0EEEENS5_IJLi2ELi1EEEENS5_IJLi3EEEENS5_IJLi5EEEENS5_IJLi4EEEENS5_IJLi6EEEENS5_IJLi7EEEENS5_IJLi9ELi8EEEENS5_IJLi10EEEEEEENSF_IJNS5_IJLi1ELi2ELi3EEEENS5_IJLi4ELi5EEEES19_NS5_IJLi7ELi8EEEENS5_IJLi9EEEES1C_NS5_IJLi11EEEENS5_IJLi12EEEENS5_IJLi13EEEEEEENS5_IJLi11ELi12ELi13EEEENSH_IlLl32768EEEEENSE_INSF_IJNSV_INSF_IJSI_SN_SN_NSH_IiLi32EEEEEELb0EEEEEENSF_IJS14_EEENSF_IJNS5_IJLi1ELi2ELi3ELi4EEEEEEES1U_NSH_IlLl256EEEEENSE_INSF_IJSP_SS_SU_SX_SY_SU_SZ_S12_SU_NS10_INSF_IJSI_SK_EEEEENSV_INSF_IJSI_NSH_IiLi2EEESK_EEELb0EEEEEENSF_IJS14_S15_S16_S17_S18_S19_S1A_S1B_S1C_NS5_IJLi11ELi13EEEES1J_EEENSF_IJS1E_S1F_S19_S1G_S1H_S1C_S1I_S1J_S1K_NS5_IJLi14EEEENS5_IJLi15ELi16ELi17EEEEEEENS5_IJLi15ELi16ELi17ELi14EEEES1N_EENSE_INSF_IJS1R_NS10_ISW_EES22_EEENSF_IJS14_NS5_IJLi1ELi3EEEENS5_IJLi2EEEEEEENSF_IJS1U_S17_NS5_IJLi6ELi7ELi8EEEEEEENS5_IJLi6ELi7ELi8ELi5EEEES1W_EELi16ELi32ELi256ELi256ELi128ELi16ELi16ELi8ELi8ELi32ELb0EE3RunILb1ELNS_10TailNumberE1ENSE_INSF_IJNSG_INSF_IJiiEEENSF_IJiSN_EEELb0EEENSV_IS2N_Lb0EEENST_IiEEEEENSF_IJS14_S2E_NS5_IJLi1EEEEEEENSF_IJNS5_IJLi1ELi2EEEENS5_IJLi3ELi4EEEES17_EEENS5_IJLi3ELi5ELi4EEEElEES1O_NS_35ThreadGroupTensorSliceTransfer_v4r1INS_15ThisThreadBlockILi256EEENS_16tensor_operation12element_wise11PassThroughES35_LNS_25InMemoryDataOperationEnumE0ENS5_IJLi8ELi256ELi16EEEENS5_IJLi8ELi32ELi1EEEENS5_IJLi1ELi0ELi2EEEESC_SC_RKS2Z_KS1O_S39_NS5_IJLi0ELi1ELi2EEEELi2ELi2ELi16ELi16ELi1ELi1ELb0ELb1ELi2EiEENS_13DynamicBufferILNS_16AddressSpaceEnumE1EKSC_lLb1ELNS_22AmdBufferCoherenceEnumE0EiEENSF_IJNS3F_ILS3G_2ESC_S1N_Lb1ELS3I_0EiEES3K_EEENSF_IJiiiEEENSE_INSF_IJNSG_INSF_IJiiiiEEENSF_IJiiiSN_EEELb0EEEEEES1T_S1V_S1U_lEENS_32ThreadwiseTensorSliceTransfer_v2ISD_SD_RKS3R_KS1X_NS5_IJLi8ELi1ELi1ELi32EEEENS5_IJLi1ELi2ELi0ELi3EEEELi3ELi32ELi0ELb1ELb0ELb0EEENS3F_ILS3G_1EKSD_lLb1ELS3I_0EiEENSF_IJNS_12StaticBufferILS3G_4ESD_Li256ELb1EEES42_EEES3N_NS_25StaticBufferTupleOfVectorILS3G_4EfLi64ELi4ELb1ELb0EEEEEvRKT1_RKT2_RT3_RKT4_RT5_RKT6_RKT7_RT8_RKT9_RT10_RKT11_RT12_iENKUlT_T0_E_clINSH_IiLi0EEESN_EEDaS51_S52_ENKUlS51_E_clINSH_IiLi7EEEEEDaS51_EUlS51_E_EEvS51_EUlS51_E_EEvS51_: ; @_ZNK2ck6detail7applierIiJLi0ELi1ELi2ELi3ELi4ELi5ELi6ELi7EEEclIZNKS_11static_fordINS_8SequenceIJLi1ELi8EEEENS5_IJLi0ELi1EEEEEclIZZZNKS_52BlockwiseGemmXdlops_pipeline_bpreshuffle_bdequant_v3ILNS_26BlockGemmPipelineSchedulerE0ELi256ENS_9f8_fnuz_tENS_7pk_i4_tESC_fNS_16TensorDescriptorINS_5TupleIJNS_5EmbedINSF_IJNS_17integral_constantIiLi8EEENSH_IiLi256EEENSH_IiLi16EEEEEENSF_IJSK_NSH_IiLi128EEENSH_IiLi1EEEEEELb0EEENS_3XorINSF_IJSJ_SI_EEELb1EEENS_11PassThroughISK_EENS_7UnMergeINSF_IJSI_SN_EEELb0EEENST_ISJ_EESU_NST_ISI_EENS_21Merge_v3_division_modINSF_IJSJ_SN_EEEEESU_EEENSF_IJNS5_IJLi0EEEENS5_IJLi2ELi1EEEENS5_IJLi3EEEENS5_IJLi5EEEENS5_IJLi4EEEENS5_IJLi6EEEENS5_IJLi7EEEENS5_IJLi9ELi8EEEENS5_IJLi10EEEEEEENSF_IJNS5_IJLi1ELi2ELi3EEEENS5_IJLi4ELi5EEEES19_NS5_IJLi7ELi8EEEENS5_IJLi9EEEES1C_NS5_IJLi11EEEENS5_IJLi12EEEENS5_IJLi13EEEEEEENS5_IJLi11ELi12ELi13EEEENSH_IlLl32768EEEEENSE_INSF_IJNSV_INSF_IJSI_SN_SN_NSH_IiLi32EEEEEELb0EEEEEENSF_IJS14_EEENSF_IJNS5_IJLi1ELi2ELi3ELi4EEEEEEES1U_NSH_IlLl256EEEEENSE_INSF_IJSP_SS_SU_SX_SY_SU_SZ_S12_SU_NS10_INSF_IJSI_SK_EEEEENSV_INSF_IJSI_NSH_IiLi2EEESK_EEELb0EEEEEENSF_IJS14_S15_S16_S17_S18_S19_S1A_S1B_S1C_NS5_IJLi11ELi13EEEES1J_EEENSF_IJS1E_S1F_S19_S1G_S1H_S1C_S1I_S1J_S1K_NS5_IJLi14EEEENS5_IJLi15ELi16ELi17EEEEEEENS5_IJLi15ELi16ELi17ELi14EEEES1N_EENSE_INSF_IJS1R_NS10_ISW_EES22_EEENSF_IJS14_NS5_IJLi1ELi3EEEENS5_IJLi2EEEEEEENSF_IJS1U_S17_NS5_IJLi6ELi7ELi8EEEEEEENS5_IJLi6ELi7ELi8ELi5EEEES1W_EELi16ELi32ELi256ELi256ELi128ELi16ELi16ELi8ELi8ELi32ELb0EE3RunILb1ELNS_10TailNumberE1ENSE_INSF_IJNSG_INSF_IJiiEEENSF_IJiSN_EEELb0EEENSV_IS2N_Lb0EEENST_IiEEEEENSF_IJS14_S2E_NS5_IJLi1EEEEEEENSF_IJNS5_IJLi1ELi2EEEENS5_IJLi3ELi4EEEES17_EEENS5_IJLi3ELi5ELi4EEEElEES1O_NS_35ThreadGroupTensorSliceTransfer_v4r1INS_15ThisThreadBlockILi256EEENS_16tensor_operation12element_wise11PassThroughES35_LNS_25InMemoryDataOperationEnumE0ENS5_IJLi8ELi256ELi16EEEENS5_IJLi8ELi32ELi1EEEENS5_IJLi1ELi0ELi2EEEESC_SC_RKS2Z_KS1O_S39_NS5_IJLi0ELi1ELi2EEEELi2ELi2ELi16ELi16ELi1ELi1ELb0ELb1ELi2EiEENS_13DynamicBufferILNS_16AddressSpaceEnumE1EKSC_lLb1ELNS_22AmdBufferCoherenceEnumE0EiEENSF_IJNS3F_ILS3G_2ESC_S1N_Lb1ELS3I_0EiEES3K_EEENSF_IJiiiEEENSE_INSF_IJNSG_INSF_IJiiiiEEENSF_IJiiiSN_EEELb0EEEEEES1T_S1V_S1U_lEENS_32ThreadwiseTensorSliceTransfer_v2ISD_SD_RKS3R_KS1X_NS5_IJLi8ELi1ELi1ELi32EEEENS5_IJLi1ELi2ELi0ELi3EEEELi3ELi32ELi0ELb1ELb0ELb0EEENS3F_ILS3G_1EKSD_lLb1ELS3I_0EiEENSF_IJNS_12StaticBufferILS3G_4ESD_Li256ELb1EEES42_EEES3N_NS_25StaticBufferTupleOfVectorILS3G_4EfLi64ELi4ELb1ELb0EEEEEvRKT1_RKT2_RT3_RKT4_RT5_RKT6_RKT7_RT8_RKT9_RT10_RKT11_RT12_iENKUlT_T0_E_clINSH_IiLi0EEESN_EEDaS51_S52_ENKUlS51_E_clINSH_IiLi7EEEEEDaS51_EUlS51_E_EEvS51_EUlS51_E_EEvS51_
; %bb.0:
	s_waitcnt vmcnt(0) expcnt(0) lgkmcnt(0)
	flat_load_dwordx4 v[20:23], v[0:1] offset:16
	flat_load_dwordx2 v[18:19], v[0:1] offset:32
	s_movk_i32 s4, 0x7f
                                        ; implicit-def: $sgpr10
	s_waitcnt vmcnt(0) lgkmcnt(0)
	flat_load_dwordx4 v[14:17], v[20:21] offset:32
	flat_load_dwordx4 v[6:9], v[20:21] offset:48
	flat_load_dwordx4 v[10:13], v[22:23]
	flat_load_dwordx4 v[2:5], v[22:23] offset:16
	s_waitcnt vmcnt(0) lgkmcnt(0)
	v_cmp_gt_i16_sdwa s[6:7], v14, s4 src0_sel:BYTE_0 src1_sel:DWORD
	s_mov_b64 s[4:5], 0
	s_and_saveexec_b64 s[8:9], s[6:7]
	s_xor_b64 s[6:7], exec, s[8:9]
	s_cbranch_execnz .LBB35_2049
; %bb.1:
	s_or_saveexec_b64 s[6:7], s[6:7]
	v_mov_b32_e32 v20, s10
	s_xor_b64 exec, exec, s[6:7]
	s_cbranch_execnz .LBB35_2052
.LBB35_2:
	s_or_b64 exec, exec, s[6:7]
	s_and_saveexec_b64 s[6:7], s[4:5]
	s_cbranch_execz .LBB35_4
.LBB35_3:
	v_and_b32_e32 v20, 7, v14
	v_ffbh_u32_e32 v22, v20
	v_min_u32_e32 v22, 32, v22
	v_lshrrev_b16_e32 v21, 3, v14
	v_subrev_u32_e32 v23, 28, v22
	v_and_b32_e32 v21, 15, v21
	v_lshlrev_b32_e32 v23, v23, v14
	v_sub_u32_e32 v22, 29, v22
	v_and_b32_e32 v23, 7, v23
	v_cmp_eq_u16_e32 vcc, 0, v21
	v_cndmask_b32_e32 v20, v20, v23, vcc
	v_cndmask_b32_e32 v21, v21, v22, vcc
	v_lshlrev_b32_e32 v22, 24, v14
	v_mov_b32_e32 v23, 0x3b800000
	v_lshlrev_b32_e32 v20, 20, v20
	v_and_b32_e32 v22, 0x80000000, v22
	v_lshl_add_u32 v21, v21, 23, v23
	v_or3_b32 v20, v22, v21, v20
.LBB35_4:
	s_or_b64 exec, exec, s[6:7]
	s_movk_i32 s4, 0x7f
	v_cmp_gt_i16_sdwa s[6:7], v10, s4 src0_sel:BYTE_0 src1_sel:DWORD
	s_mov_b64 s[4:5], 0
                                        ; implicit-def: $sgpr10
	s_and_saveexec_b64 s[8:9], s[6:7]
	s_xor_b64 s[6:7], exec, s[8:9]
	s_cbranch_execnz .LBB35_2053
; %bb.5:
	s_or_saveexec_b64 s[6:7], s[6:7]
	v_mov_b32_e32 v21, s10
	s_xor_b64 exec, exec, s[6:7]
	s_cbranch_execnz .LBB35_2056
.LBB35_6:
	s_or_b64 exec, exec, s[6:7]
	s_and_saveexec_b64 s[6:7], s[4:5]
	s_cbranch_execz .LBB35_8
.LBB35_7:
	v_and_b32_e32 v21, 7, v10
	v_ffbh_u32_e32 v23, v21
	v_min_u32_e32 v23, 32, v23
	v_lshrrev_b16_e32 v22, 3, v10
	v_subrev_u32_e32 v24, 28, v23
	v_and_b32_e32 v22, 15, v22
	v_lshlrev_b32_e32 v24, v24, v10
	v_sub_u32_e32 v23, 29, v23
	v_and_b32_e32 v24, 7, v24
	v_cmp_eq_u16_e32 vcc, 0, v22
	v_cndmask_b32_e32 v21, v21, v24, vcc
	v_cndmask_b32_e32 v22, v22, v23, vcc
	v_lshlrev_b32_e32 v23, 24, v10
	v_mov_b32_e32 v24, 0x3b800000
	v_lshlrev_b32_e32 v21, 20, v21
	v_and_b32_e32 v23, 0x80000000, v23
	v_lshl_add_u32 v22, v22, 23, v24
	v_or3_b32 v21, v23, v22, v21
.LBB35_8:
	s_or_b64 exec, exec, s[6:7]
	flat_load_dwordx4 a[0:3], v[18:19] offset:896
	s_movk_i32 s4, 0x7f
                                        ; implicit-def: $sgpr10
	s_waitcnt vmcnt(0) lgkmcnt(0)
	v_mfma_f32_16x16x4f32 a[0:3], v20, v21, a[0:3]
	v_lshrrev_b32_e32 v21, 8, v14
	v_cmp_gt_i16_sdwa s[6:7], v21, s4 src0_sel:BYTE_0 src1_sel:DWORD
	s_mov_b64 s[4:5], 0
	s_and_saveexec_b64 s[8:9], s[6:7]
	s_xor_b64 s[6:7], exec, s[8:9]
	s_cbranch_execnz .LBB35_2057
; %bb.9:
	s_or_saveexec_b64 s[6:7], s[6:7]
	v_mov_b32_e32 v20, s10
	s_xor_b64 exec, exec, s[6:7]
	s_cbranch_execnz .LBB35_2060
.LBB35_10:
	s_or_b64 exec, exec, s[6:7]
	s_and_saveexec_b64 s[6:7], s[4:5]
	s_cbranch_execz .LBB35_12
.LBB35_11:
	v_bfe_u32 v20, v14, 8, 3
	v_ffbh_u32_e32 v23, v20
	v_min_u32_e32 v23, 32, v23
	v_lshrrev_b16_e32 v22, 3, v21
	v_subrev_u32_e32 v24, 28, v23
	v_and_b32_e32 v22, 15, v22
	v_lshlrev_b32_e32 v21, v24, v21
	v_sub_u32_e32 v23, 29, v23
	v_and_b32_e32 v21, 7, v21
	v_cmp_eq_u16_e32 vcc, 0, v22
	v_cndmask_b32_e32 v20, v20, v21, vcc
	v_cndmask_b32_e32 v21, v22, v23, vcc
	v_lshlrev_b32_e32 v22, 16, v14
	v_mov_b32_e32 v23, 0x3b800000
	v_lshlrev_b32_e32 v20, 20, v20
	v_and_b32_e32 v22, 0x80000000, v22
	v_lshl_add_u32 v21, v21, 23, v23
	v_or3_b32 v20, v22, v21, v20
.LBB35_12:
	s_or_b64 exec, exec, s[6:7]
	v_lshrrev_b32_e32 v21, 8, v10
	s_movk_i32 s4, 0x7f
	v_cmp_gt_i16_sdwa s[6:7], v21, s4 src0_sel:BYTE_0 src1_sel:DWORD
	s_mov_b64 s[4:5], 0
                                        ; implicit-def: $sgpr10
	s_and_saveexec_b64 s[8:9], s[6:7]
	s_xor_b64 s[6:7], exec, s[8:9]
	s_cbranch_execnz .LBB35_2061
; %bb.13:
	s_or_saveexec_b64 s[6:7], s[6:7]
	v_mov_b32_e32 v22, s10
	s_xor_b64 exec, exec, s[6:7]
	s_cbranch_execnz .LBB35_2064
.LBB35_14:
	s_or_b64 exec, exec, s[6:7]
	s_and_saveexec_b64 s[6:7], s[4:5]
	s_cbranch_execz .LBB35_16
.LBB35_15:
	v_bfe_u32 v22, v10, 8, 3
	v_ffbh_u32_e32 v24, v22
	v_min_u32_e32 v24, 32, v24
	v_lshrrev_b16_e32 v23, 3, v21
	v_subrev_u32_e32 v25, 28, v24
	v_and_b32_e32 v23, 15, v23
	v_lshlrev_b32_e32 v21, v25, v21
	v_sub_u32_e32 v24, 29, v24
	v_and_b32_e32 v21, 7, v21
	v_cmp_eq_u16_e32 vcc, 0, v23
	v_cndmask_b32_e32 v21, v22, v21, vcc
	v_cndmask_b32_e32 v22, v23, v24, vcc
	v_lshlrev_b32_e32 v23, 16, v10
	v_mov_b32_e32 v24, 0x3b800000
	v_lshlrev_b32_e32 v21, 20, v21
	v_and_b32_e32 v23, 0x80000000, v23
	v_lshl_add_u32 v22, v22, 23, v24
	v_or3_b32 v22, v23, v22, v21
.LBB35_16:
	s_or_b64 exec, exec, s[6:7]
	s_nop 0
	v_mfma_f32_16x16x4f32 a[0:3], v20, v22, a[0:3]
	s_movk_i32 s4, 0xff
	v_and_b32_sdwa v21, v14, s4 dst_sel:DWORD dst_unused:UNUSED_PAD src0_sel:WORD_1 src1_sel:DWORD
	s_movk_i32 s4, 0x7f
	v_cmp_lt_i16_e32 vcc, s4, v21
	s_mov_b64 s[4:5], 0
                                        ; implicit-def: $sgpr10
	s_and_saveexec_b64 s[6:7], vcc
	s_xor_b64 s[6:7], exec, s[6:7]
	s_cbranch_execnz .LBB35_2065
; %bb.17:
	s_or_saveexec_b64 s[6:7], s[6:7]
	v_mov_b32_e32 v20, s10
	s_xor_b64 exec, exec, s[6:7]
	s_cbranch_execnz .LBB35_2068
.LBB35_18:
	s_or_b64 exec, exec, s[6:7]
	s_and_saveexec_b64 s[6:7], s[4:5]
	s_cbranch_execz .LBB35_20
.LBB35_19:
	v_bfe_u32 v20, v14, 16, 3
	v_ffbh_u32_e32 v23, v20
	v_min_u32_e32 v23, 32, v23
	v_lshrrev_b32_e32 v21, 19, v14
	v_subrev_u32_e32 v24, 28, v23
	v_and_b32_e32 v21, 15, v21
	v_lshlrev_b32_sdwa v24, v24, v14 dst_sel:DWORD dst_unused:UNUSED_PAD src0_sel:DWORD src1_sel:WORD_1
	v_bfe_u32 v22, v14, 19, 4
	v_sub_u32_e32 v23, 29, v23
	v_and_b32_e32 v24, 7, v24
	v_cmp_eq_u16_e32 vcc, 0, v21
	v_cndmask_b32_e32 v20, v20, v24, vcc
	v_cndmask_b32_e32 v21, v22, v23, vcc
	v_lshlrev_b32_e32 v22, 8, v14
	v_mov_b32_e32 v23, 0x3b800000
	v_lshlrev_b32_e32 v20, 20, v20
	v_and_b32_e32 v22, 0x80000000, v22
	v_lshl_add_u32 v21, v21, 23, v23
	v_or3_b32 v20, v22, v21, v20
.LBB35_20:
	s_or_b64 exec, exec, s[6:7]
	s_movk_i32 s4, 0xff
	v_and_b32_sdwa v21, v10, s4 dst_sel:DWORD dst_unused:UNUSED_PAD src0_sel:WORD_1 src1_sel:DWORD
	s_movk_i32 s4, 0x7f
	v_cmp_lt_i16_e32 vcc, s4, v21
	s_mov_b64 s[4:5], 0
                                        ; implicit-def: $sgpr10
	s_and_saveexec_b64 s[6:7], vcc
	s_xor_b64 s[6:7], exec, s[6:7]
	s_cbranch_execnz .LBB35_2069
; %bb.21:
	s_or_saveexec_b64 s[6:7], s[6:7]
	v_mov_b32_e32 v22, s10
	s_xor_b64 exec, exec, s[6:7]
	s_cbranch_execnz .LBB35_2072
.LBB35_22:
	s_or_b64 exec, exec, s[6:7]
	s_and_saveexec_b64 s[6:7], s[4:5]
	s_cbranch_execz .LBB35_24
.LBB35_23:
	v_bfe_u32 v21, v10, 16, 3
	v_ffbh_u32_e32 v24, v21
	v_min_u32_e32 v24, 32, v24
	v_lshrrev_b32_e32 v22, 19, v10
	v_subrev_u32_e32 v25, 28, v24
	v_and_b32_e32 v22, 15, v22
	v_lshlrev_b32_sdwa v25, v25, v10 dst_sel:DWORD dst_unused:UNUSED_PAD src0_sel:DWORD src1_sel:WORD_1
	v_bfe_u32 v23, v10, 19, 4
	v_sub_u32_e32 v24, 29, v24
	v_and_b32_e32 v25, 7, v25
	v_cmp_eq_u16_e32 vcc, 0, v22
	v_cndmask_b32_e32 v21, v21, v25, vcc
	v_cndmask_b32_e32 v22, v23, v24, vcc
	v_lshlrev_b32_e32 v23, 8, v10
	v_mov_b32_e32 v24, 0x3b800000
	v_lshlrev_b32_e32 v21, 20, v21
	v_and_b32_e32 v23, 0x80000000, v23
	v_lshl_add_u32 v22, v22, 23, v24
	v_or3_b32 v22, v23, v22, v21
.LBB35_24:
	s_or_b64 exec, exec, s[6:7]
	s_nop 0
	v_mfma_f32_16x16x4f32 a[0:3], v20, v22, a[0:3]
	s_movk_i32 s4, 0x7f
	v_cmp_gt_i16_sdwa s[6:7], v14, s4 src0_sel:BYTE_3 src1_sel:DWORD
	s_mov_b64 s[4:5], 0
                                        ; implicit-def: $sgpr10
	s_and_saveexec_b64 s[8:9], s[6:7]
	s_xor_b64 s[6:7], exec, s[8:9]
	s_cbranch_execnz .LBB35_2073
; %bb.25:
	s_or_saveexec_b64 s[6:7], s[6:7]
	v_mov_b32_e32 v20, s10
	s_xor_b64 exec, exec, s[6:7]
	s_cbranch_execnz .LBB35_2076
.LBB35_26:
	s_or_b64 exec, exec, s[6:7]
	s_and_saveexec_b64 s[6:7], s[4:5]
	s_cbranch_execz .LBB35_28
.LBB35_27:
	v_bfe_u32 v20, v14, 24, 3
	v_ffbh_u32_e32 v24, v20
	v_min_u32_e32 v24, 32, v24
	v_lshrrev_b32_e32 v22, 27, v14
	v_subrev_u32_e32 v25, 28, v24
	v_and_b32_e32 v21, 0x80000000, v14
	v_and_b32_e32 v22, 15, v22
	v_bfe_u32 v23, v14, 27, 4
	v_lshlrev_b32_sdwa v14, v25, v14 dst_sel:DWORD dst_unused:UNUSED_PAD src0_sel:DWORD src1_sel:BYTE_3
	v_sub_u32_e32 v24, 29, v24
	v_and_b32_e32 v14, 7, v14
	v_cmp_eq_u16_e32 vcc, 0, v22
	v_cndmask_b32_e32 v14, v20, v14, vcc
	v_cndmask_b32_e32 v20, v23, v24, vcc
	v_mov_b32_e32 v22, 0x3b800000
	v_lshlrev_b32_e32 v14, 20, v14
	v_lshl_add_u32 v20, v20, 23, v22
	v_or3_b32 v20, v21, v20, v14
.LBB35_28:
	s_or_b64 exec, exec, s[6:7]
	s_movk_i32 s4, 0x7f
	v_cmp_gt_i16_sdwa s[6:7], v10, s4 src0_sel:BYTE_3 src1_sel:DWORD
	s_mov_b64 s[4:5], 0
                                        ; implicit-def: $sgpr10
	s_and_saveexec_b64 s[8:9], s[6:7]
	s_xor_b64 s[6:7], exec, s[8:9]
	s_cbranch_execnz .LBB35_2077
; %bb.29:
	s_or_saveexec_b64 s[6:7], s[6:7]
	v_mov_b32_e32 v14, s10
	s_xor_b64 exec, exec, s[6:7]
	s_cbranch_execnz .LBB35_2080
.LBB35_30:
	s_or_b64 exec, exec, s[6:7]
	s_and_saveexec_b64 s[6:7], s[4:5]
	s_cbranch_execz .LBB35_32
.LBB35_31:
	v_bfe_u32 v14, v10, 24, 3
	v_ffbh_u32_e32 v24, v14
	v_min_u32_e32 v24, 32, v24
	v_lshrrev_b32_e32 v22, 27, v10
	v_subrev_u32_e32 v25, 28, v24
	v_and_b32_e32 v21, 0x80000000, v10
	v_and_b32_e32 v22, 15, v22
	v_bfe_u32 v23, v10, 27, 4
	v_lshlrev_b32_sdwa v10, v25, v10 dst_sel:DWORD dst_unused:UNUSED_PAD src0_sel:DWORD src1_sel:BYTE_3
	v_sub_u32_e32 v24, 29, v24
	v_and_b32_e32 v10, 7, v10
	v_cmp_eq_u16_e32 vcc, 0, v22
	v_cndmask_b32_e32 v10, v14, v10, vcc
	v_cndmask_b32_e32 v14, v23, v24, vcc
	v_mov_b32_e32 v22, 0x3b800000
	v_lshlrev_b32_e32 v10, 20, v10
	v_lshl_add_u32 v14, v14, 23, v22
	v_or3_b32 v14, v21, v14, v10
.LBB35_32:
	s_or_b64 exec, exec, s[6:7]
	s_nop 0
	v_mfma_f32_16x16x4f32 a[0:3], v20, v14, a[0:3]
	s_movk_i32 s4, 0x7f
	v_cmp_gt_i16_sdwa s[6:7], v15, s4 src0_sel:BYTE_0 src1_sel:DWORD
	s_mov_b64 s[4:5], 0
                                        ; implicit-def: $sgpr10
	s_and_saveexec_b64 s[8:9], s[6:7]
	s_xor_b64 s[6:7], exec, s[8:9]
	s_cbranch_execnz .LBB35_2081
; %bb.33:
	s_or_saveexec_b64 s[6:7], s[6:7]
	v_mov_b32_e32 v10, s10
	s_xor_b64 exec, exec, s[6:7]
	s_cbranch_execnz .LBB35_2084
.LBB35_34:
	s_or_b64 exec, exec, s[6:7]
	s_and_saveexec_b64 s[6:7], s[4:5]
	s_cbranch_execz .LBB35_36
.LBB35_35:
	v_and_b32_e32 v10, 7, v15
	v_ffbh_u32_e32 v20, v10
	v_min_u32_e32 v20, 32, v20
	v_lshrrev_b16_e32 v14, 3, v15
	v_subrev_u32_e32 v21, 28, v20
	v_and_b32_e32 v14, 15, v14
	v_lshlrev_b32_e32 v21, v21, v15
	v_sub_u32_e32 v20, 29, v20
	v_and_b32_e32 v21, 7, v21
	v_cmp_eq_u16_e32 vcc, 0, v14
	v_cndmask_b32_e32 v10, v10, v21, vcc
	v_cndmask_b32_e32 v14, v14, v20, vcc
	v_lshlrev_b32_e32 v20, 24, v15
	v_mov_b32_e32 v21, 0x3b800000
	v_lshlrev_b32_e32 v10, 20, v10
	v_and_b32_e32 v20, 0x80000000, v20
	v_lshl_add_u32 v14, v14, 23, v21
	v_or3_b32 v10, v20, v14, v10
.LBB35_36:
	s_or_b64 exec, exec, s[6:7]
	s_movk_i32 s4, 0x7f
	v_cmp_gt_i16_sdwa s[6:7], v11, s4 src0_sel:BYTE_0 src1_sel:DWORD
	s_mov_b64 s[4:5], 0
                                        ; implicit-def: $sgpr10
	s_and_saveexec_b64 s[8:9], s[6:7]
	s_xor_b64 s[6:7], exec, s[8:9]
	s_cbranch_execnz .LBB35_2085
; %bb.37:
	s_or_saveexec_b64 s[6:7], s[6:7]
	v_mov_b32_e32 v14, s10
	s_xor_b64 exec, exec, s[6:7]
	s_cbranch_execnz .LBB35_2088
.LBB35_38:
	s_or_b64 exec, exec, s[6:7]
	s_and_saveexec_b64 s[6:7], s[4:5]
	s_cbranch_execz .LBB35_40
.LBB35_39:
	v_and_b32_e32 v14, 7, v11
	v_ffbh_u32_e32 v21, v14
	v_min_u32_e32 v21, 32, v21
	v_lshrrev_b16_e32 v20, 3, v11
	v_subrev_u32_e32 v22, 28, v21
	v_and_b32_e32 v20, 15, v20
	v_lshlrev_b32_e32 v22, v22, v11
	v_sub_u32_e32 v21, 29, v21
	v_and_b32_e32 v22, 7, v22
	v_cmp_eq_u16_e32 vcc, 0, v20
	v_cndmask_b32_e32 v14, v14, v22, vcc
	v_cndmask_b32_e32 v20, v20, v21, vcc
	v_lshlrev_b32_e32 v21, 24, v11
	v_mov_b32_e32 v22, 0x3b800000
	v_lshlrev_b32_e32 v14, 20, v14
	v_and_b32_e32 v21, 0x80000000, v21
	v_lshl_add_u32 v20, v20, 23, v22
	v_or3_b32 v14, v21, v20, v14
.LBB35_40:
	s_or_b64 exec, exec, s[6:7]
	s_nop 0
	v_mfma_f32_16x16x4f32 a[0:3], v10, v14, a[0:3]
	v_lshrrev_b32_e32 v14, 8, v15
	s_movk_i32 s4, 0x7f
	v_cmp_gt_i16_sdwa s[6:7], v14, s4 src0_sel:BYTE_0 src1_sel:DWORD
	s_mov_b64 s[4:5], 0
                                        ; implicit-def: $sgpr10
	s_and_saveexec_b64 s[8:9], s[6:7]
	s_xor_b64 s[6:7], exec, s[8:9]
	s_cbranch_execnz .LBB35_2089
; %bb.41:
	s_or_saveexec_b64 s[6:7], s[6:7]
	v_mov_b32_e32 v10, s10
	s_xor_b64 exec, exec, s[6:7]
	s_cbranch_execnz .LBB35_2092
.LBB35_42:
	s_or_b64 exec, exec, s[6:7]
	s_and_saveexec_b64 s[6:7], s[4:5]
	s_cbranch_execz .LBB35_44
.LBB35_43:
	v_bfe_u32 v10, v15, 8, 3
	v_ffbh_u32_e32 v21, v10
	v_min_u32_e32 v21, 32, v21
	v_lshrrev_b16_e32 v20, 3, v14
	v_subrev_u32_e32 v22, 28, v21
	v_and_b32_e32 v20, 15, v20
	v_lshlrev_b32_e32 v14, v22, v14
	v_sub_u32_e32 v21, 29, v21
	v_and_b32_e32 v14, 7, v14
	v_cmp_eq_u16_e32 vcc, 0, v20
	v_cndmask_b32_e32 v10, v10, v14, vcc
	v_cndmask_b32_e32 v14, v20, v21, vcc
	v_lshlrev_b32_e32 v20, 16, v15
	v_mov_b32_e32 v21, 0x3b800000
	v_lshlrev_b32_e32 v10, 20, v10
	v_and_b32_e32 v20, 0x80000000, v20
	v_lshl_add_u32 v14, v14, 23, v21
	v_or3_b32 v10, v20, v14, v10
.LBB35_44:
	s_or_b64 exec, exec, s[6:7]
	v_lshrrev_b32_e32 v14, 8, v11
	s_movk_i32 s4, 0x7f
	v_cmp_gt_i16_sdwa s[6:7], v14, s4 src0_sel:BYTE_0 src1_sel:DWORD
	s_mov_b64 s[4:5], 0
                                        ; implicit-def: $sgpr10
	s_and_saveexec_b64 s[8:9], s[6:7]
	s_xor_b64 s[6:7], exec, s[8:9]
	s_cbranch_execnz .LBB35_2093
; %bb.45:
	s_or_saveexec_b64 s[6:7], s[6:7]
	v_mov_b32_e32 v20, s10
	s_xor_b64 exec, exec, s[6:7]
	s_cbranch_execnz .LBB35_2096
.LBB35_46:
	s_or_b64 exec, exec, s[6:7]
	s_and_saveexec_b64 s[6:7], s[4:5]
	s_cbranch_execz .LBB35_48
.LBB35_47:
	v_bfe_u32 v20, v11, 8, 3
	v_ffbh_u32_e32 v22, v20
	v_min_u32_e32 v22, 32, v22
	v_lshrrev_b16_e32 v21, 3, v14
	v_subrev_u32_e32 v23, 28, v22
	v_and_b32_e32 v21, 15, v21
	v_lshlrev_b32_e32 v14, v23, v14
	v_sub_u32_e32 v22, 29, v22
	v_and_b32_e32 v14, 7, v14
	v_cmp_eq_u16_e32 vcc, 0, v21
	v_cndmask_b32_e32 v14, v20, v14, vcc
	v_cndmask_b32_e32 v20, v21, v22, vcc
	v_lshlrev_b32_e32 v21, 16, v11
	v_mov_b32_e32 v22, 0x3b800000
	v_lshlrev_b32_e32 v14, 20, v14
	v_and_b32_e32 v21, 0x80000000, v21
	v_lshl_add_u32 v20, v20, 23, v22
	v_or3_b32 v20, v21, v20, v14
.LBB35_48:
	s_or_b64 exec, exec, s[6:7]
	s_nop 0
	v_mfma_f32_16x16x4f32 a[0:3], v10, v20, a[0:3]
	s_movk_i32 s4, 0xff
	v_and_b32_sdwa v14, v15, s4 dst_sel:DWORD dst_unused:UNUSED_PAD src0_sel:WORD_1 src1_sel:DWORD
	s_movk_i32 s4, 0x7f
	v_cmp_lt_i16_e32 vcc, s4, v14
	s_mov_b64 s[4:5], 0
                                        ; implicit-def: $sgpr10
	s_and_saveexec_b64 s[6:7], vcc
	s_xor_b64 s[6:7], exec, s[6:7]
	s_cbranch_execnz .LBB35_2097
; %bb.49:
	s_or_saveexec_b64 s[6:7], s[6:7]
	v_mov_b32_e32 v10, s10
	s_xor_b64 exec, exec, s[6:7]
	s_cbranch_execnz .LBB35_2100
.LBB35_50:
	s_or_b64 exec, exec, s[6:7]
	s_and_saveexec_b64 s[6:7], s[4:5]
	s_cbranch_execz .LBB35_52
.LBB35_51:
	v_bfe_u32 v10, v15, 16, 3
	v_ffbh_u32_e32 v21, v10
	v_min_u32_e32 v21, 32, v21
	v_lshrrev_b32_e32 v14, 19, v15
	v_subrev_u32_e32 v22, 28, v21
	v_and_b32_e32 v14, 15, v14
	v_lshlrev_b32_sdwa v22, v22, v15 dst_sel:DWORD dst_unused:UNUSED_PAD src0_sel:DWORD src1_sel:WORD_1
	v_bfe_u32 v20, v15, 19, 4
	v_sub_u32_e32 v21, 29, v21
	v_and_b32_e32 v22, 7, v22
	v_cmp_eq_u16_e32 vcc, 0, v14
	v_cndmask_b32_e32 v10, v10, v22, vcc
	v_cndmask_b32_e32 v14, v20, v21, vcc
	v_lshlrev_b32_e32 v20, 8, v15
	v_mov_b32_e32 v21, 0x3b800000
	v_lshlrev_b32_e32 v10, 20, v10
	v_and_b32_e32 v20, 0x80000000, v20
	v_lshl_add_u32 v14, v14, 23, v21
	v_or3_b32 v10, v20, v14, v10
.LBB35_52:
	s_or_b64 exec, exec, s[6:7]
	s_movk_i32 s4, 0xff
	v_and_b32_sdwa v14, v11, s4 dst_sel:DWORD dst_unused:UNUSED_PAD src0_sel:WORD_1 src1_sel:DWORD
	s_movk_i32 s4, 0x7f
	v_cmp_lt_i16_e32 vcc, s4, v14
	s_mov_b64 s[4:5], 0
                                        ; implicit-def: $sgpr10
	s_and_saveexec_b64 s[6:7], vcc
	s_xor_b64 s[6:7], exec, s[6:7]
	s_cbranch_execnz .LBB35_2101
; %bb.53:
	s_or_saveexec_b64 s[6:7], s[6:7]
	v_mov_b32_e32 v20, s10
	s_xor_b64 exec, exec, s[6:7]
	s_cbranch_execnz .LBB35_2104
.LBB35_54:
	s_or_b64 exec, exec, s[6:7]
	s_and_saveexec_b64 s[6:7], s[4:5]
	s_cbranch_execz .LBB35_56
.LBB35_55:
	v_bfe_u32 v14, v11, 16, 3
	v_ffbh_u32_e32 v22, v14
	v_min_u32_e32 v22, 32, v22
	v_lshrrev_b32_e32 v20, 19, v11
	v_subrev_u32_e32 v23, 28, v22
	v_and_b32_e32 v20, 15, v20
	v_lshlrev_b32_sdwa v23, v23, v11 dst_sel:DWORD dst_unused:UNUSED_PAD src0_sel:DWORD src1_sel:WORD_1
	v_bfe_u32 v21, v11, 19, 4
	v_sub_u32_e32 v22, 29, v22
	v_and_b32_e32 v23, 7, v23
	v_cmp_eq_u16_e32 vcc, 0, v20
	v_cndmask_b32_e32 v14, v14, v23, vcc
	v_cndmask_b32_e32 v20, v21, v22, vcc
	v_lshlrev_b32_e32 v21, 8, v11
	v_mov_b32_e32 v22, 0x3b800000
	v_lshlrev_b32_e32 v14, 20, v14
	v_and_b32_e32 v21, 0x80000000, v21
	v_lshl_add_u32 v20, v20, 23, v22
	v_or3_b32 v20, v21, v20, v14
.LBB35_56:
	s_or_b64 exec, exec, s[6:7]
	s_nop 0
	v_mfma_f32_16x16x4f32 a[0:3], v10, v20, a[0:3]
	s_movk_i32 s4, 0x7f
	v_cmp_gt_i16_sdwa s[6:7], v15, s4 src0_sel:BYTE_3 src1_sel:DWORD
	s_mov_b64 s[4:5], 0
                                        ; implicit-def: $sgpr10
	s_and_saveexec_b64 s[8:9], s[6:7]
	s_xor_b64 s[6:7], exec, s[8:9]
	s_cbranch_execnz .LBB35_2105
; %bb.57:
	s_or_saveexec_b64 s[6:7], s[6:7]
	v_mov_b32_e32 v10, s10
	s_xor_b64 exec, exec, s[6:7]
	s_cbranch_execnz .LBB35_2108
.LBB35_58:
	s_or_b64 exec, exec, s[6:7]
	s_and_saveexec_b64 s[6:7], s[4:5]
	s_cbranch_execz .LBB35_60
.LBB35_59:
	v_bfe_u32 v10, v15, 24, 3
	v_ffbh_u32_e32 v22, v10
	v_min_u32_e32 v22, 32, v22
	v_lshrrev_b32_e32 v20, 27, v15
	v_subrev_u32_e32 v23, 28, v22
	v_and_b32_e32 v14, 0x80000000, v15
	v_and_b32_e32 v20, 15, v20
	v_bfe_u32 v21, v15, 27, 4
	v_lshlrev_b32_sdwa v15, v23, v15 dst_sel:DWORD dst_unused:UNUSED_PAD src0_sel:DWORD src1_sel:BYTE_3
	v_sub_u32_e32 v22, 29, v22
	v_and_b32_e32 v15, 7, v15
	v_cmp_eq_u16_e32 vcc, 0, v20
	v_cndmask_b32_e32 v10, v10, v15, vcc
	v_cndmask_b32_e32 v15, v21, v22, vcc
	v_mov_b32_e32 v20, 0x3b800000
	v_lshlrev_b32_e32 v10, 20, v10
	v_lshl_add_u32 v15, v15, 23, v20
	v_or3_b32 v10, v14, v15, v10
.LBB35_60:
	s_or_b64 exec, exec, s[6:7]
	s_movk_i32 s4, 0x7f
	v_cmp_gt_i16_sdwa s[6:7], v11, s4 src0_sel:BYTE_3 src1_sel:DWORD
	s_mov_b64 s[4:5], 0
                                        ; implicit-def: $sgpr10
	s_and_saveexec_b64 s[8:9], s[6:7]
	s_xor_b64 s[6:7], exec, s[8:9]
	s_cbranch_execnz .LBB35_2109
; %bb.61:
	s_or_saveexec_b64 s[6:7], s[6:7]
	v_mov_b32_e32 v14, s10
	s_xor_b64 exec, exec, s[6:7]
	s_cbranch_execnz .LBB35_2112
.LBB35_62:
	s_or_b64 exec, exec, s[6:7]
	s_and_saveexec_b64 s[6:7], s[4:5]
	s_cbranch_execz .LBB35_64
.LBB35_63:
	v_bfe_u32 v14, v11, 24, 3
	v_ffbh_u32_e32 v22, v14
	v_min_u32_e32 v22, 32, v22
	v_lshrrev_b32_e32 v20, 27, v11
	v_subrev_u32_e32 v23, 28, v22
	v_and_b32_e32 v15, 0x80000000, v11
	v_and_b32_e32 v20, 15, v20
	v_bfe_u32 v21, v11, 27, 4
	v_lshlrev_b32_sdwa v11, v23, v11 dst_sel:DWORD dst_unused:UNUSED_PAD src0_sel:DWORD src1_sel:BYTE_3
	v_sub_u32_e32 v22, 29, v22
	v_and_b32_e32 v11, 7, v11
	v_cmp_eq_u16_e32 vcc, 0, v20
	v_cndmask_b32_e32 v11, v14, v11, vcc
	v_cndmask_b32_e32 v14, v21, v22, vcc
	v_mov_b32_e32 v20, 0x3b800000
	v_lshlrev_b32_e32 v11, 20, v11
	v_lshl_add_u32 v14, v14, 23, v20
	v_or3_b32 v14, v15, v14, v11
.LBB35_64:
	s_or_b64 exec, exec, s[6:7]
	s_nop 0
	v_mfma_f32_16x16x4f32 a[0:3], v10, v14, a[0:3]
	s_movk_i32 s4, 0x7f
	v_cmp_gt_i16_sdwa s[6:7], v16, s4 src0_sel:BYTE_0 src1_sel:DWORD
	s_mov_b64 s[4:5], 0
                                        ; implicit-def: $sgpr10
	s_and_saveexec_b64 s[8:9], s[6:7]
	s_xor_b64 s[6:7], exec, s[8:9]
	s_cbranch_execnz .LBB35_2113
; %bb.65:
	s_or_saveexec_b64 s[6:7], s[6:7]
	v_mov_b32_e32 v10, s10
	s_xor_b64 exec, exec, s[6:7]
	s_cbranch_execnz .LBB35_2116
.LBB35_66:
	s_or_b64 exec, exec, s[6:7]
	s_and_saveexec_b64 s[6:7], s[4:5]
	s_cbranch_execz .LBB35_68
.LBB35_67:
	v_and_b32_e32 v10, 7, v16
	v_ffbh_u32_e32 v14, v10
	v_min_u32_e32 v14, 32, v14
	v_lshrrev_b16_e32 v11, 3, v16
	v_subrev_u32_e32 v15, 28, v14
	v_and_b32_e32 v11, 15, v11
	v_lshlrev_b32_e32 v15, v15, v16
	v_sub_u32_e32 v14, 29, v14
	v_and_b32_e32 v15, 7, v15
	v_cmp_eq_u16_e32 vcc, 0, v11
	v_cndmask_b32_e32 v10, v10, v15, vcc
	v_cndmask_b32_e32 v11, v11, v14, vcc
	v_lshlrev_b32_e32 v14, 24, v16
	v_mov_b32_e32 v15, 0x3b800000
	v_lshlrev_b32_e32 v10, 20, v10
	v_and_b32_e32 v14, 0x80000000, v14
	v_lshl_add_u32 v11, v11, 23, v15
	v_or3_b32 v10, v14, v11, v10
.LBB35_68:
	s_or_b64 exec, exec, s[6:7]
	s_movk_i32 s4, 0x7f
	v_cmp_gt_i16_sdwa s[6:7], v12, s4 src0_sel:BYTE_0 src1_sel:DWORD
	s_mov_b64 s[4:5], 0
                                        ; implicit-def: $sgpr10
	s_and_saveexec_b64 s[8:9], s[6:7]
	s_xor_b64 s[6:7], exec, s[8:9]
	s_cbranch_execnz .LBB35_2117
; %bb.69:
	s_or_saveexec_b64 s[6:7], s[6:7]
	v_mov_b32_e32 v11, s10
	s_xor_b64 exec, exec, s[6:7]
	s_cbranch_execnz .LBB35_2120
.LBB35_70:
	s_or_b64 exec, exec, s[6:7]
	s_and_saveexec_b64 s[6:7], s[4:5]
	s_cbranch_execz .LBB35_72
.LBB35_71:
	v_and_b32_e32 v11, 7, v12
	v_ffbh_u32_e32 v15, v11
	v_min_u32_e32 v15, 32, v15
	v_lshrrev_b16_e32 v14, 3, v12
	v_subrev_u32_e32 v20, 28, v15
	v_and_b32_e32 v14, 15, v14
	v_lshlrev_b32_e32 v20, v20, v12
	v_sub_u32_e32 v15, 29, v15
	v_and_b32_e32 v20, 7, v20
	v_cmp_eq_u16_e32 vcc, 0, v14
	v_cndmask_b32_e32 v11, v11, v20, vcc
	v_cndmask_b32_e32 v14, v14, v15, vcc
	v_lshlrev_b32_e32 v15, 24, v12
	v_mov_b32_e32 v20, 0x3b800000
	v_lshlrev_b32_e32 v11, 20, v11
	v_and_b32_e32 v15, 0x80000000, v15
	v_lshl_add_u32 v14, v14, 23, v20
	v_or3_b32 v11, v15, v14, v11
.LBB35_72:
	s_or_b64 exec, exec, s[6:7]
	s_nop 0
	v_mfma_f32_16x16x4f32 a[0:3], v10, v11, a[0:3]
	v_lshrrev_b32_e32 v11, 8, v16
	s_movk_i32 s4, 0x7f
	v_cmp_gt_i16_sdwa s[6:7], v11, s4 src0_sel:BYTE_0 src1_sel:DWORD
	s_mov_b64 s[4:5], 0
                                        ; implicit-def: $sgpr10
	s_and_saveexec_b64 s[8:9], s[6:7]
	s_xor_b64 s[6:7], exec, s[8:9]
	s_cbranch_execnz .LBB35_2121
; %bb.73:
	s_or_saveexec_b64 s[6:7], s[6:7]
	v_mov_b32_e32 v10, s10
	s_xor_b64 exec, exec, s[6:7]
	s_cbranch_execnz .LBB35_2124
.LBB35_74:
	s_or_b64 exec, exec, s[6:7]
	s_and_saveexec_b64 s[6:7], s[4:5]
	s_cbranch_execz .LBB35_76
.LBB35_75:
	v_bfe_u32 v10, v16, 8, 3
	v_ffbh_u32_e32 v15, v10
	v_min_u32_e32 v15, 32, v15
	v_lshrrev_b16_e32 v14, 3, v11
	v_subrev_u32_e32 v20, 28, v15
	v_and_b32_e32 v14, 15, v14
	v_lshlrev_b32_e32 v11, v20, v11
	v_sub_u32_e32 v15, 29, v15
	v_and_b32_e32 v11, 7, v11
	v_cmp_eq_u16_e32 vcc, 0, v14
	v_cndmask_b32_e32 v10, v10, v11, vcc
	v_cndmask_b32_e32 v11, v14, v15, vcc
	v_lshlrev_b32_e32 v14, 16, v16
	v_mov_b32_e32 v15, 0x3b800000
	v_lshlrev_b32_e32 v10, 20, v10
	v_and_b32_e32 v14, 0x80000000, v14
	v_lshl_add_u32 v11, v11, 23, v15
	v_or3_b32 v10, v14, v11, v10
.LBB35_76:
	s_or_b64 exec, exec, s[6:7]
	v_lshrrev_b32_e32 v11, 8, v12
	s_movk_i32 s4, 0x7f
	v_cmp_gt_i16_sdwa s[6:7], v11, s4 src0_sel:BYTE_0 src1_sel:DWORD
	s_mov_b64 s[4:5], 0
                                        ; implicit-def: $sgpr10
	s_and_saveexec_b64 s[8:9], s[6:7]
	s_xor_b64 s[6:7], exec, s[8:9]
	s_cbranch_execnz .LBB35_2125
; %bb.77:
	s_or_saveexec_b64 s[6:7], s[6:7]
	v_mov_b32_e32 v14, s10
	s_xor_b64 exec, exec, s[6:7]
	s_cbranch_execnz .LBB35_2128
.LBB35_78:
	s_or_b64 exec, exec, s[6:7]
	s_and_saveexec_b64 s[6:7], s[4:5]
	s_cbranch_execz .LBB35_80
.LBB35_79:
	v_bfe_u32 v14, v12, 8, 3
	v_ffbh_u32_e32 v20, v14
	v_min_u32_e32 v20, 32, v20
	v_lshrrev_b16_e32 v15, 3, v11
	v_subrev_u32_e32 v21, 28, v20
	v_and_b32_e32 v15, 15, v15
	v_lshlrev_b32_e32 v11, v21, v11
	v_sub_u32_e32 v20, 29, v20
	v_and_b32_e32 v11, 7, v11
	v_cmp_eq_u16_e32 vcc, 0, v15
	v_cndmask_b32_e32 v11, v14, v11, vcc
	v_cndmask_b32_e32 v14, v15, v20, vcc
	v_lshlrev_b32_e32 v15, 16, v12
	v_mov_b32_e32 v20, 0x3b800000
	v_lshlrev_b32_e32 v11, 20, v11
	v_and_b32_e32 v15, 0x80000000, v15
	v_lshl_add_u32 v14, v14, 23, v20
	v_or3_b32 v14, v15, v14, v11
.LBB35_80:
	s_or_b64 exec, exec, s[6:7]
	s_nop 0
	v_mfma_f32_16x16x4f32 a[0:3], v10, v14, a[0:3]
	s_movk_i32 s4, 0xff
	v_and_b32_sdwa v11, v16, s4 dst_sel:DWORD dst_unused:UNUSED_PAD src0_sel:WORD_1 src1_sel:DWORD
	s_movk_i32 s4, 0x7f
	v_cmp_lt_i16_e32 vcc, s4, v11
	s_mov_b64 s[4:5], 0
                                        ; implicit-def: $sgpr10
	s_and_saveexec_b64 s[6:7], vcc
	s_xor_b64 s[6:7], exec, s[6:7]
	s_cbranch_execnz .LBB35_2129
; %bb.81:
	s_or_saveexec_b64 s[6:7], s[6:7]
	v_mov_b32_e32 v10, s10
	s_xor_b64 exec, exec, s[6:7]
	s_cbranch_execnz .LBB35_2132
.LBB35_82:
	s_or_b64 exec, exec, s[6:7]
	s_and_saveexec_b64 s[6:7], s[4:5]
	s_cbranch_execz .LBB35_84
.LBB35_83:
	v_bfe_u32 v10, v16, 16, 3
	v_ffbh_u32_e32 v15, v10
	v_min_u32_e32 v15, 32, v15
	v_lshrrev_b32_e32 v11, 19, v16
	v_subrev_u32_e32 v20, 28, v15
	v_and_b32_e32 v11, 15, v11
	v_lshlrev_b32_sdwa v20, v20, v16 dst_sel:DWORD dst_unused:UNUSED_PAD src0_sel:DWORD src1_sel:WORD_1
	v_bfe_u32 v14, v16, 19, 4
	v_sub_u32_e32 v15, 29, v15
	v_and_b32_e32 v20, 7, v20
	v_cmp_eq_u16_e32 vcc, 0, v11
	v_cndmask_b32_e32 v10, v10, v20, vcc
	v_cndmask_b32_e32 v11, v14, v15, vcc
	v_lshlrev_b32_e32 v14, 8, v16
	v_mov_b32_e32 v15, 0x3b800000
	v_lshlrev_b32_e32 v10, 20, v10
	v_and_b32_e32 v14, 0x80000000, v14
	v_lshl_add_u32 v11, v11, 23, v15
	v_or3_b32 v10, v14, v11, v10
.LBB35_84:
	s_or_b64 exec, exec, s[6:7]
	s_movk_i32 s4, 0xff
	v_and_b32_sdwa v11, v12, s4 dst_sel:DWORD dst_unused:UNUSED_PAD src0_sel:WORD_1 src1_sel:DWORD
	s_movk_i32 s4, 0x7f
	v_cmp_lt_i16_e32 vcc, s4, v11
	s_mov_b64 s[4:5], 0
                                        ; implicit-def: $sgpr10
	s_and_saveexec_b64 s[6:7], vcc
	s_xor_b64 s[6:7], exec, s[6:7]
	s_cbranch_execnz .LBB35_2133
; %bb.85:
	s_or_saveexec_b64 s[6:7], s[6:7]
	v_mov_b32_e32 v14, s10
	s_xor_b64 exec, exec, s[6:7]
	s_cbranch_execnz .LBB35_2136
.LBB35_86:
	s_or_b64 exec, exec, s[6:7]
	s_and_saveexec_b64 s[6:7], s[4:5]
	s_cbranch_execz .LBB35_88
.LBB35_87:
	v_bfe_u32 v11, v12, 16, 3
	v_ffbh_u32_e32 v20, v11
	v_min_u32_e32 v20, 32, v20
	v_lshrrev_b32_e32 v14, 19, v12
	v_subrev_u32_e32 v21, 28, v20
	v_and_b32_e32 v14, 15, v14
	v_lshlrev_b32_sdwa v21, v21, v12 dst_sel:DWORD dst_unused:UNUSED_PAD src0_sel:DWORD src1_sel:WORD_1
	v_bfe_u32 v15, v12, 19, 4
	v_sub_u32_e32 v20, 29, v20
	v_and_b32_e32 v21, 7, v21
	v_cmp_eq_u16_e32 vcc, 0, v14
	v_cndmask_b32_e32 v11, v11, v21, vcc
	v_cndmask_b32_e32 v14, v15, v20, vcc
	v_lshlrev_b32_e32 v15, 8, v12
	v_mov_b32_e32 v20, 0x3b800000
	v_lshlrev_b32_e32 v11, 20, v11
	v_and_b32_e32 v15, 0x80000000, v15
	v_lshl_add_u32 v14, v14, 23, v20
	v_or3_b32 v14, v15, v14, v11
.LBB35_88:
	s_or_b64 exec, exec, s[6:7]
	s_nop 0
	v_mfma_f32_16x16x4f32 a[0:3], v10, v14, a[0:3]
	s_movk_i32 s4, 0x7f
	v_cmp_gt_i16_sdwa s[6:7], v16, s4 src0_sel:BYTE_3 src1_sel:DWORD
	s_mov_b64 s[4:5], 0
                                        ; implicit-def: $sgpr10
	s_and_saveexec_b64 s[8:9], s[6:7]
	s_xor_b64 s[6:7], exec, s[8:9]
	s_cbranch_execnz .LBB35_2137
; %bb.89:
	s_or_saveexec_b64 s[6:7], s[6:7]
	v_mov_b32_e32 v10, s10
	s_xor_b64 exec, exec, s[6:7]
	s_cbranch_execnz .LBB35_2140
.LBB35_90:
	s_or_b64 exec, exec, s[6:7]
	s_and_saveexec_b64 s[6:7], s[4:5]
	s_cbranch_execz .LBB35_92
.LBB35_91:
	v_bfe_u32 v10, v16, 24, 3
	v_ffbh_u32_e32 v20, v10
	v_min_u32_e32 v20, 32, v20
	v_lshrrev_b32_e32 v14, 27, v16
	v_subrev_u32_e32 v21, 28, v20
	v_and_b32_e32 v11, 0x80000000, v16
	v_and_b32_e32 v14, 15, v14
	v_bfe_u32 v15, v16, 27, 4
	v_lshlrev_b32_sdwa v16, v21, v16 dst_sel:DWORD dst_unused:UNUSED_PAD src0_sel:DWORD src1_sel:BYTE_3
	v_sub_u32_e32 v20, 29, v20
	v_and_b32_e32 v16, 7, v16
	v_cmp_eq_u16_e32 vcc, 0, v14
	v_cndmask_b32_e32 v10, v10, v16, vcc
	v_cndmask_b32_e32 v14, v15, v20, vcc
	v_mov_b32_e32 v15, 0x3b800000
	v_lshlrev_b32_e32 v10, 20, v10
	v_lshl_add_u32 v14, v14, 23, v15
	v_or3_b32 v10, v11, v14, v10
.LBB35_92:
	s_or_b64 exec, exec, s[6:7]
	s_movk_i32 s4, 0x7f
	v_cmp_gt_i16_sdwa s[6:7], v12, s4 src0_sel:BYTE_3 src1_sel:DWORD
	s_mov_b64 s[4:5], 0
                                        ; implicit-def: $sgpr10
	s_and_saveexec_b64 s[8:9], s[6:7]
	s_xor_b64 s[6:7], exec, s[8:9]
	s_cbranch_execnz .LBB35_2141
; %bb.93:
	s_or_saveexec_b64 s[6:7], s[6:7]
	v_mov_b32_e32 v11, s10
	s_xor_b64 exec, exec, s[6:7]
	s_cbranch_execnz .LBB35_2144
.LBB35_94:
	s_or_b64 exec, exec, s[6:7]
	s_and_saveexec_b64 s[6:7], s[4:5]
	s_cbranch_execz .LBB35_96
.LBB35_95:
	v_bfe_u32 v11, v12, 24, 3
	v_ffbh_u32_e32 v20, v11
	v_min_u32_e32 v20, 32, v20
	v_lshrrev_b32_e32 v15, 27, v12
	v_subrev_u32_e32 v21, 28, v20
	v_and_b32_e32 v14, 0x80000000, v12
	v_and_b32_e32 v15, 15, v15
	v_bfe_u32 v16, v12, 27, 4
	v_lshlrev_b32_sdwa v12, v21, v12 dst_sel:DWORD dst_unused:UNUSED_PAD src0_sel:DWORD src1_sel:BYTE_3
	v_sub_u32_e32 v20, 29, v20
	v_and_b32_e32 v12, 7, v12
	v_cmp_eq_u16_e32 vcc, 0, v15
	v_cndmask_b32_e32 v11, v11, v12, vcc
	v_cndmask_b32_e32 v12, v16, v20, vcc
	v_mov_b32_e32 v15, 0x3b800000
	v_lshlrev_b32_e32 v11, 20, v11
	v_lshl_add_u32 v12, v12, 23, v15
	v_or3_b32 v11, v14, v12, v11
.LBB35_96:
	s_or_b64 exec, exec, s[6:7]
	s_nop 0
	v_mfma_f32_16x16x4f32 a[0:3], v10, v11, a[0:3]
	s_movk_i32 s4, 0x7f
	v_cmp_gt_i16_sdwa s[6:7], v17, s4 src0_sel:BYTE_0 src1_sel:DWORD
	s_mov_b64 s[4:5], 0
                                        ; implicit-def: $sgpr10
	s_and_saveexec_b64 s[8:9], s[6:7]
	s_xor_b64 s[6:7], exec, s[8:9]
	s_cbranch_execnz .LBB35_2145
; %bb.97:
	s_or_saveexec_b64 s[6:7], s[6:7]
	v_mov_b32_e32 v10, s10
	s_xor_b64 exec, exec, s[6:7]
	s_cbranch_execnz .LBB35_2148
.LBB35_98:
	s_or_b64 exec, exec, s[6:7]
	s_and_saveexec_b64 s[6:7], s[4:5]
	s_cbranch_execz .LBB35_100
.LBB35_99:
	v_and_b32_e32 v10, 7, v17
	v_ffbh_u32_e32 v12, v10
	v_min_u32_e32 v12, 32, v12
	v_lshrrev_b16_e32 v11, 3, v17
	v_subrev_u32_e32 v14, 28, v12
	v_and_b32_e32 v11, 15, v11
	v_lshlrev_b32_e32 v14, v14, v17
	v_sub_u32_e32 v12, 29, v12
	v_and_b32_e32 v14, 7, v14
	v_cmp_eq_u16_e32 vcc, 0, v11
	v_cndmask_b32_e32 v10, v10, v14, vcc
	v_cndmask_b32_e32 v11, v11, v12, vcc
	v_lshlrev_b32_e32 v12, 24, v17
	v_mov_b32_e32 v14, 0x3b800000
	v_lshlrev_b32_e32 v10, 20, v10
	v_and_b32_e32 v12, 0x80000000, v12
	v_lshl_add_u32 v11, v11, 23, v14
	v_or3_b32 v10, v12, v11, v10
.LBB35_100:
	s_or_b64 exec, exec, s[6:7]
	s_movk_i32 s4, 0x7f
	v_cmp_gt_i16_sdwa s[6:7], v13, s4 src0_sel:BYTE_0 src1_sel:DWORD
	s_mov_b64 s[4:5], 0
                                        ; implicit-def: $sgpr10
	s_and_saveexec_b64 s[8:9], s[6:7]
	s_xor_b64 s[6:7], exec, s[8:9]
	s_cbranch_execnz .LBB35_2149
; %bb.101:
	s_or_saveexec_b64 s[6:7], s[6:7]
	v_mov_b32_e32 v11, s10
	s_xor_b64 exec, exec, s[6:7]
	s_cbranch_execnz .LBB35_2152
.LBB35_102:
	s_or_b64 exec, exec, s[6:7]
	s_and_saveexec_b64 s[6:7], s[4:5]
	s_cbranch_execz .LBB35_104
.LBB35_103:
	v_and_b32_e32 v11, 7, v13
	v_ffbh_u32_e32 v14, v11
	v_min_u32_e32 v14, 32, v14
	v_lshrrev_b16_e32 v12, 3, v13
	v_subrev_u32_e32 v15, 28, v14
	v_and_b32_e32 v12, 15, v12
	v_lshlrev_b32_e32 v15, v15, v13
	v_sub_u32_e32 v14, 29, v14
	v_and_b32_e32 v15, 7, v15
	v_cmp_eq_u16_e32 vcc, 0, v12
	v_cndmask_b32_e32 v11, v11, v15, vcc
	v_cndmask_b32_e32 v12, v12, v14, vcc
	v_lshlrev_b32_e32 v14, 24, v13
	v_mov_b32_e32 v15, 0x3b800000
	v_lshlrev_b32_e32 v11, 20, v11
	v_and_b32_e32 v14, 0x80000000, v14
	v_lshl_add_u32 v12, v12, 23, v15
	v_or3_b32 v11, v14, v12, v11
.LBB35_104:
	s_or_b64 exec, exec, s[6:7]
	s_nop 0
	v_mfma_f32_16x16x4f32 a[0:3], v10, v11, a[0:3]
	v_lshrrev_b32_e32 v11, 8, v17
	s_movk_i32 s4, 0x7f
	v_cmp_gt_i16_sdwa s[6:7], v11, s4 src0_sel:BYTE_0 src1_sel:DWORD
	s_mov_b64 s[4:5], 0
                                        ; implicit-def: $sgpr10
	s_and_saveexec_b64 s[8:9], s[6:7]
	s_xor_b64 s[6:7], exec, s[8:9]
	s_cbranch_execnz .LBB35_2153
; %bb.105:
	s_or_saveexec_b64 s[6:7], s[6:7]
	v_mov_b32_e32 v10, s10
	s_xor_b64 exec, exec, s[6:7]
	s_cbranch_execnz .LBB35_2156
.LBB35_106:
	s_or_b64 exec, exec, s[6:7]
	s_and_saveexec_b64 s[6:7], s[4:5]
	s_cbranch_execz .LBB35_108
.LBB35_107:
	v_bfe_u32 v10, v17, 8, 3
	v_ffbh_u32_e32 v14, v10
	v_min_u32_e32 v14, 32, v14
	v_lshrrev_b16_e32 v12, 3, v11
	v_subrev_u32_e32 v15, 28, v14
	v_and_b32_e32 v12, 15, v12
	v_lshlrev_b32_e32 v11, v15, v11
	v_sub_u32_e32 v14, 29, v14
	v_and_b32_e32 v11, 7, v11
	v_cmp_eq_u16_e32 vcc, 0, v12
	v_cndmask_b32_e32 v10, v10, v11, vcc
	v_cndmask_b32_e32 v11, v12, v14, vcc
	v_lshlrev_b32_e32 v12, 16, v17
	v_mov_b32_e32 v14, 0x3b800000
	v_lshlrev_b32_e32 v10, 20, v10
	v_and_b32_e32 v12, 0x80000000, v12
	v_lshl_add_u32 v11, v11, 23, v14
	v_or3_b32 v10, v12, v11, v10
.LBB35_108:
	s_or_b64 exec, exec, s[6:7]
	v_lshrrev_b32_e32 v11, 8, v13
	s_movk_i32 s4, 0x7f
	v_cmp_gt_i16_sdwa s[6:7], v11, s4 src0_sel:BYTE_0 src1_sel:DWORD
	s_mov_b64 s[4:5], 0
                                        ; implicit-def: $sgpr10
	s_and_saveexec_b64 s[8:9], s[6:7]
	s_xor_b64 s[6:7], exec, s[8:9]
	s_cbranch_execnz .LBB35_2157
; %bb.109:
	s_or_saveexec_b64 s[6:7], s[6:7]
	v_mov_b32_e32 v12, s10
	s_xor_b64 exec, exec, s[6:7]
	s_cbranch_execnz .LBB35_2160
.LBB35_110:
	s_or_b64 exec, exec, s[6:7]
	s_and_saveexec_b64 s[6:7], s[4:5]
	s_cbranch_execz .LBB35_112
.LBB35_111:
	v_bfe_u32 v12, v13, 8, 3
	v_ffbh_u32_e32 v15, v12
	v_min_u32_e32 v15, 32, v15
	v_lshrrev_b16_e32 v14, 3, v11
	v_subrev_u32_e32 v16, 28, v15
	v_and_b32_e32 v14, 15, v14
	v_lshlrev_b32_e32 v11, v16, v11
	v_sub_u32_e32 v15, 29, v15
	v_and_b32_e32 v11, 7, v11
	v_cmp_eq_u16_e32 vcc, 0, v14
	v_cndmask_b32_e32 v11, v12, v11, vcc
	v_cndmask_b32_e32 v12, v14, v15, vcc
	v_lshlrev_b32_e32 v14, 16, v13
	v_mov_b32_e32 v15, 0x3b800000
	v_lshlrev_b32_e32 v11, 20, v11
	v_and_b32_e32 v14, 0x80000000, v14
	v_lshl_add_u32 v12, v12, 23, v15
	v_or3_b32 v12, v14, v12, v11
.LBB35_112:
	s_or_b64 exec, exec, s[6:7]
	s_nop 0
	v_mfma_f32_16x16x4f32 a[0:3], v10, v12, a[0:3]
	s_movk_i32 s4, 0xff
	v_and_b32_sdwa v11, v17, s4 dst_sel:DWORD dst_unused:UNUSED_PAD src0_sel:WORD_1 src1_sel:DWORD
	s_movk_i32 s4, 0x7f
	v_cmp_lt_i16_e32 vcc, s4, v11
	s_mov_b64 s[4:5], 0
                                        ; implicit-def: $sgpr10
	s_and_saveexec_b64 s[6:7], vcc
	s_xor_b64 s[6:7], exec, s[6:7]
	s_cbranch_execnz .LBB35_2161
; %bb.113:
	s_or_saveexec_b64 s[6:7], s[6:7]
	v_mov_b32_e32 v10, s10
	s_xor_b64 exec, exec, s[6:7]
	s_cbranch_execnz .LBB35_2164
.LBB35_114:
	s_or_b64 exec, exec, s[6:7]
	s_and_saveexec_b64 s[6:7], s[4:5]
	s_cbranch_execz .LBB35_116
.LBB35_115:
	v_bfe_u32 v10, v17, 16, 3
	v_ffbh_u32_e32 v14, v10
	v_min_u32_e32 v14, 32, v14
	v_lshrrev_b32_e32 v11, 19, v17
	v_subrev_u32_e32 v15, 28, v14
	v_and_b32_e32 v11, 15, v11
	v_lshlrev_b32_sdwa v15, v15, v17 dst_sel:DWORD dst_unused:UNUSED_PAD src0_sel:DWORD src1_sel:WORD_1
	v_bfe_u32 v12, v17, 19, 4
	v_sub_u32_e32 v14, 29, v14
	v_and_b32_e32 v15, 7, v15
	v_cmp_eq_u16_e32 vcc, 0, v11
	v_cndmask_b32_e32 v10, v10, v15, vcc
	v_cndmask_b32_e32 v11, v12, v14, vcc
	v_lshlrev_b32_e32 v12, 8, v17
	v_mov_b32_e32 v14, 0x3b800000
	v_lshlrev_b32_e32 v10, 20, v10
	v_and_b32_e32 v12, 0x80000000, v12
	v_lshl_add_u32 v11, v11, 23, v14
	v_or3_b32 v10, v12, v11, v10
.LBB35_116:
	s_or_b64 exec, exec, s[6:7]
	s_movk_i32 s4, 0xff
	v_and_b32_sdwa v11, v13, s4 dst_sel:DWORD dst_unused:UNUSED_PAD src0_sel:WORD_1 src1_sel:DWORD
	s_movk_i32 s4, 0x7f
	v_cmp_lt_i16_e32 vcc, s4, v11
	s_mov_b64 s[4:5], 0
                                        ; implicit-def: $sgpr10
	s_and_saveexec_b64 s[6:7], vcc
	s_xor_b64 s[6:7], exec, s[6:7]
	s_cbranch_execnz .LBB35_2165
; %bb.117:
	s_or_saveexec_b64 s[6:7], s[6:7]
	v_mov_b32_e32 v12, s10
	s_xor_b64 exec, exec, s[6:7]
	s_cbranch_execnz .LBB35_2168
.LBB35_118:
	s_or_b64 exec, exec, s[6:7]
	s_and_saveexec_b64 s[6:7], s[4:5]
	s_cbranch_execz .LBB35_120
.LBB35_119:
	v_bfe_u32 v11, v13, 16, 3
	v_ffbh_u32_e32 v15, v11
	v_min_u32_e32 v15, 32, v15
	v_lshrrev_b32_e32 v12, 19, v13
	v_subrev_u32_e32 v16, 28, v15
	v_and_b32_e32 v12, 15, v12
	v_lshlrev_b32_sdwa v16, v16, v13 dst_sel:DWORD dst_unused:UNUSED_PAD src0_sel:DWORD src1_sel:WORD_1
	v_bfe_u32 v14, v13, 19, 4
	v_sub_u32_e32 v15, 29, v15
	v_and_b32_e32 v16, 7, v16
	v_cmp_eq_u16_e32 vcc, 0, v12
	v_cndmask_b32_e32 v11, v11, v16, vcc
	v_cndmask_b32_e32 v12, v14, v15, vcc
	v_lshlrev_b32_e32 v14, 8, v13
	v_mov_b32_e32 v15, 0x3b800000
	v_lshlrev_b32_e32 v11, 20, v11
	v_and_b32_e32 v14, 0x80000000, v14
	v_lshl_add_u32 v12, v12, 23, v15
	v_or3_b32 v12, v14, v12, v11
.LBB35_120:
	s_or_b64 exec, exec, s[6:7]
	s_nop 0
	v_mfma_f32_16x16x4f32 a[0:3], v10, v12, a[0:3]
	s_movk_i32 s4, 0x7f
	v_cmp_gt_i16_sdwa s[6:7], v17, s4 src0_sel:BYTE_3 src1_sel:DWORD
	s_mov_b64 s[4:5], 0
                                        ; implicit-def: $sgpr10
	s_and_saveexec_b64 s[8:9], s[6:7]
	s_xor_b64 s[6:7], exec, s[8:9]
	s_cbranch_execnz .LBB35_2169
; %bb.121:
	s_or_saveexec_b64 s[6:7], s[6:7]
	v_mov_b32_e32 v10, s10
	s_xor_b64 exec, exec, s[6:7]
	s_cbranch_execnz .LBB35_2172
.LBB35_122:
	s_or_b64 exec, exec, s[6:7]
	s_and_saveexec_b64 s[6:7], s[4:5]
	s_cbranch_execz .LBB35_124
.LBB35_123:
	v_bfe_u32 v10, v17, 24, 3
	v_ffbh_u32_e32 v15, v10
	v_min_u32_e32 v15, 32, v15
	v_lshrrev_b32_e32 v12, 27, v17
	v_subrev_u32_e32 v16, 28, v15
	v_and_b32_e32 v12, 15, v12
	v_lshlrev_b32_sdwa v16, v16, v17 dst_sel:DWORD dst_unused:UNUSED_PAD src0_sel:DWORD src1_sel:BYTE_3
	v_bfe_u32 v14, v17, 27, 4
	v_sub_u32_e32 v15, 29, v15
	v_and_b32_e32 v16, 7, v16
	v_cmp_eq_u16_e32 vcc, 0, v12
	v_cndmask_b32_e32 v10, v10, v16, vcc
	v_cndmask_b32_e32 v12, v14, v15, vcc
	v_mov_b32_e32 v14, 0x3b800000
	v_and_b32_e32 v11, 0x80000000, v17
	v_lshlrev_b32_e32 v10, 20, v10
	v_lshl_add_u32 v12, v12, 23, v14
	v_or3_b32 v10, v11, v12, v10
.LBB35_124:
	s_or_b64 exec, exec, s[6:7]
	s_movk_i32 s4, 0x7f
	v_cmp_gt_i16_sdwa s[6:7], v13, s4 src0_sel:BYTE_3 src1_sel:DWORD
	s_mov_b64 s[4:5], 0
                                        ; implicit-def: $sgpr10
	s_and_saveexec_b64 s[8:9], s[6:7]
	s_xor_b64 s[6:7], exec, s[8:9]
	s_cbranch_execnz .LBB35_2173
; %bb.125:
	s_or_saveexec_b64 s[6:7], s[6:7]
	v_mov_b32_e32 v11, s10
	s_xor_b64 exec, exec, s[6:7]
	s_cbranch_execnz .LBB35_2176
.LBB35_126:
	s_or_b64 exec, exec, s[6:7]
	s_and_saveexec_b64 s[6:7], s[4:5]
	s_cbranch_execz .LBB35_128
.LBB35_127:
	v_bfe_u32 v11, v13, 24, 3
	v_ffbh_u32_e32 v16, v11
	v_min_u32_e32 v16, 32, v16
	v_lshrrev_b32_e32 v14, 27, v13
	v_subrev_u32_e32 v17, 28, v16
	v_and_b32_e32 v12, 0x80000000, v13
	v_and_b32_e32 v14, 15, v14
	v_bfe_u32 v15, v13, 27, 4
	v_lshlrev_b32_sdwa v13, v17, v13 dst_sel:DWORD dst_unused:UNUSED_PAD src0_sel:DWORD src1_sel:BYTE_3
	v_sub_u32_e32 v16, 29, v16
	v_and_b32_e32 v13, 7, v13
	v_cmp_eq_u16_e32 vcc, 0, v14
	v_cndmask_b32_e32 v11, v11, v13, vcc
	v_cndmask_b32_e32 v13, v15, v16, vcc
	v_mov_b32_e32 v14, 0x3b800000
	v_lshlrev_b32_e32 v11, 20, v11
	v_lshl_add_u32 v13, v13, 23, v14
	v_or3_b32 v11, v12, v13, v11
.LBB35_128:
	s_or_b64 exec, exec, s[6:7]
	s_nop 0
	v_mfma_f32_16x16x4f32 a[0:3], v10, v11, a[0:3]
	s_movk_i32 s4, 0x7f
	v_cmp_gt_i16_sdwa s[6:7], v6, s4 src0_sel:BYTE_0 src1_sel:DWORD
	s_mov_b64 s[4:5], 0
                                        ; implicit-def: $sgpr10
	s_and_saveexec_b64 s[8:9], s[6:7]
	s_xor_b64 s[6:7], exec, s[8:9]
	s_cbranch_execnz .LBB35_2177
; %bb.129:
	s_or_saveexec_b64 s[6:7], s[6:7]
	v_mov_b32_e32 v10, s10
	s_xor_b64 exec, exec, s[6:7]
	s_cbranch_execnz .LBB35_2180
.LBB35_130:
	s_or_b64 exec, exec, s[6:7]
	s_and_saveexec_b64 s[6:7], s[4:5]
	s_cbranch_execz .LBB35_132
.LBB35_131:
	v_and_b32_e32 v10, 7, v6
	v_ffbh_u32_e32 v12, v10
	v_min_u32_e32 v12, 32, v12
	v_lshrrev_b16_e32 v11, 3, v6
	v_subrev_u32_e32 v13, 28, v12
	v_and_b32_e32 v11, 15, v11
	v_lshlrev_b32_e32 v13, v13, v6
	v_sub_u32_e32 v12, 29, v12
	v_and_b32_e32 v13, 7, v13
	v_cmp_eq_u16_e32 vcc, 0, v11
	v_cndmask_b32_e32 v10, v10, v13, vcc
	v_cndmask_b32_e32 v11, v11, v12, vcc
	v_lshlrev_b32_e32 v12, 24, v6
	v_mov_b32_e32 v13, 0x3b800000
	v_lshlrev_b32_e32 v10, 20, v10
	v_and_b32_e32 v12, 0x80000000, v12
	v_lshl_add_u32 v11, v11, 23, v13
	v_or3_b32 v10, v12, v11, v10
.LBB35_132:
	s_or_b64 exec, exec, s[6:7]
	s_movk_i32 s4, 0x7f
	v_cmp_gt_i16_sdwa s[6:7], v2, s4 src0_sel:BYTE_0 src1_sel:DWORD
	s_mov_b64 s[4:5], 0
                                        ; implicit-def: $sgpr10
	s_and_saveexec_b64 s[8:9], s[6:7]
	s_xor_b64 s[6:7], exec, s[8:9]
	s_cbranch_execnz .LBB35_2181
; %bb.133:
	s_or_saveexec_b64 s[6:7], s[6:7]
	v_mov_b32_e32 v11, s10
	s_xor_b64 exec, exec, s[6:7]
	s_cbranch_execnz .LBB35_2184
.LBB35_134:
	s_or_b64 exec, exec, s[6:7]
	s_and_saveexec_b64 s[6:7], s[4:5]
	s_cbranch_execz .LBB35_136
.LBB35_135:
	v_and_b32_e32 v11, 7, v2
	v_ffbh_u32_e32 v13, v11
	v_min_u32_e32 v13, 32, v13
	v_lshrrev_b16_e32 v12, 3, v2
	v_subrev_u32_e32 v14, 28, v13
	v_and_b32_e32 v12, 15, v12
	v_lshlrev_b32_e32 v14, v14, v2
	v_sub_u32_e32 v13, 29, v13
	v_and_b32_e32 v14, 7, v14
	v_cmp_eq_u16_e32 vcc, 0, v12
	v_cndmask_b32_e32 v11, v11, v14, vcc
	v_cndmask_b32_e32 v12, v12, v13, vcc
	v_lshlrev_b32_e32 v13, 24, v2
	v_mov_b32_e32 v14, 0x3b800000
	v_lshlrev_b32_e32 v11, 20, v11
	v_and_b32_e32 v13, 0x80000000, v13
	v_lshl_add_u32 v12, v12, 23, v14
	v_or3_b32 v11, v13, v12, v11
.LBB35_136:
	s_or_b64 exec, exec, s[6:7]
	s_nop 0
	v_mfma_f32_16x16x4f32 a[0:3], v10, v11, a[0:3]
	v_lshrrev_b32_e32 v11, 8, v6
	s_movk_i32 s4, 0x7f
	v_cmp_gt_i16_sdwa s[6:7], v11, s4 src0_sel:BYTE_0 src1_sel:DWORD
	s_mov_b64 s[4:5], 0
                                        ; implicit-def: $sgpr10
	s_and_saveexec_b64 s[8:9], s[6:7]
	s_xor_b64 s[6:7], exec, s[8:9]
	s_cbranch_execnz .LBB35_2185
; %bb.137:
	s_or_saveexec_b64 s[6:7], s[6:7]
	v_mov_b32_e32 v10, s10
	s_xor_b64 exec, exec, s[6:7]
	s_cbranch_execnz .LBB35_2188
.LBB35_138:
	s_or_b64 exec, exec, s[6:7]
	s_and_saveexec_b64 s[6:7], s[4:5]
	s_cbranch_execz .LBB35_140
.LBB35_139:
	v_bfe_u32 v10, v6, 8, 3
	v_ffbh_u32_e32 v13, v10
	v_min_u32_e32 v13, 32, v13
	v_lshrrev_b16_e32 v12, 3, v11
	v_subrev_u32_e32 v14, 28, v13
	v_and_b32_e32 v12, 15, v12
	v_lshlrev_b32_e32 v11, v14, v11
	v_sub_u32_e32 v13, 29, v13
	v_and_b32_e32 v11, 7, v11
	v_cmp_eq_u16_e32 vcc, 0, v12
	v_cndmask_b32_e32 v10, v10, v11, vcc
	v_cndmask_b32_e32 v11, v12, v13, vcc
	v_lshlrev_b32_e32 v12, 16, v6
	v_mov_b32_e32 v13, 0x3b800000
	v_lshlrev_b32_e32 v10, 20, v10
	v_and_b32_e32 v12, 0x80000000, v12
	v_lshl_add_u32 v11, v11, 23, v13
	v_or3_b32 v10, v12, v11, v10
.LBB35_140:
	s_or_b64 exec, exec, s[6:7]
	v_lshrrev_b32_e32 v11, 8, v2
	s_movk_i32 s4, 0x7f
	v_cmp_gt_i16_sdwa s[6:7], v11, s4 src0_sel:BYTE_0 src1_sel:DWORD
	s_mov_b64 s[4:5], 0
                                        ; implicit-def: $sgpr10
	s_and_saveexec_b64 s[8:9], s[6:7]
	s_xor_b64 s[6:7], exec, s[8:9]
	s_cbranch_execnz .LBB35_2189
; %bb.141:
	s_or_saveexec_b64 s[6:7], s[6:7]
	v_mov_b32_e32 v12, s10
	s_xor_b64 exec, exec, s[6:7]
	s_cbranch_execnz .LBB35_2192
.LBB35_142:
	s_or_b64 exec, exec, s[6:7]
	s_and_saveexec_b64 s[6:7], s[4:5]
	s_cbranch_execz .LBB35_144
.LBB35_143:
	v_bfe_u32 v12, v2, 8, 3
	v_ffbh_u32_e32 v14, v12
	v_min_u32_e32 v14, 32, v14
	v_lshrrev_b16_e32 v13, 3, v11
	v_subrev_u32_e32 v15, 28, v14
	v_and_b32_e32 v13, 15, v13
	v_lshlrev_b32_e32 v11, v15, v11
	v_sub_u32_e32 v14, 29, v14
	v_and_b32_e32 v11, 7, v11
	v_cmp_eq_u16_e32 vcc, 0, v13
	v_cndmask_b32_e32 v11, v12, v11, vcc
	v_cndmask_b32_e32 v12, v13, v14, vcc
	v_lshlrev_b32_e32 v13, 16, v2
	v_mov_b32_e32 v14, 0x3b800000
	v_lshlrev_b32_e32 v11, 20, v11
	v_and_b32_e32 v13, 0x80000000, v13
	v_lshl_add_u32 v12, v12, 23, v14
	v_or3_b32 v12, v13, v12, v11
.LBB35_144:
	s_or_b64 exec, exec, s[6:7]
	s_nop 0
	v_mfma_f32_16x16x4f32 a[0:3], v10, v12, a[0:3]
	s_movk_i32 s4, 0xff
	v_and_b32_sdwa v11, v6, s4 dst_sel:DWORD dst_unused:UNUSED_PAD src0_sel:WORD_1 src1_sel:DWORD
	s_movk_i32 s4, 0x7f
	v_cmp_lt_i16_e32 vcc, s4, v11
	s_mov_b64 s[4:5], 0
                                        ; implicit-def: $sgpr10
	s_and_saveexec_b64 s[6:7], vcc
	s_xor_b64 s[6:7], exec, s[6:7]
	s_cbranch_execnz .LBB35_2193
; %bb.145:
	s_or_saveexec_b64 s[6:7], s[6:7]
	v_mov_b32_e32 v10, s10
	s_xor_b64 exec, exec, s[6:7]
	s_cbranch_execnz .LBB35_2196
.LBB35_146:
	s_or_b64 exec, exec, s[6:7]
	s_and_saveexec_b64 s[6:7], s[4:5]
	s_cbranch_execz .LBB35_148
.LBB35_147:
	v_bfe_u32 v10, v6, 16, 3
	v_ffbh_u32_e32 v13, v10
	v_min_u32_e32 v13, 32, v13
	v_lshrrev_b32_e32 v11, 19, v6
	v_subrev_u32_e32 v14, 28, v13
	v_and_b32_e32 v11, 15, v11
	v_lshlrev_b32_sdwa v14, v14, v6 dst_sel:DWORD dst_unused:UNUSED_PAD src0_sel:DWORD src1_sel:WORD_1
	v_bfe_u32 v12, v6, 19, 4
	v_sub_u32_e32 v13, 29, v13
	v_and_b32_e32 v14, 7, v14
	v_cmp_eq_u16_e32 vcc, 0, v11
	v_cndmask_b32_e32 v10, v10, v14, vcc
	v_cndmask_b32_e32 v11, v12, v13, vcc
	v_lshlrev_b32_e32 v12, 8, v6
	v_mov_b32_e32 v13, 0x3b800000
	v_lshlrev_b32_e32 v10, 20, v10
	v_and_b32_e32 v12, 0x80000000, v12
	v_lshl_add_u32 v11, v11, 23, v13
	v_or3_b32 v10, v12, v11, v10
.LBB35_148:
	s_or_b64 exec, exec, s[6:7]
	s_movk_i32 s4, 0xff
	v_and_b32_sdwa v11, v2, s4 dst_sel:DWORD dst_unused:UNUSED_PAD src0_sel:WORD_1 src1_sel:DWORD
	s_movk_i32 s4, 0x7f
	v_cmp_lt_i16_e32 vcc, s4, v11
	s_mov_b64 s[4:5], 0
                                        ; implicit-def: $sgpr10
	s_and_saveexec_b64 s[6:7], vcc
	s_xor_b64 s[6:7], exec, s[6:7]
	s_cbranch_execnz .LBB35_2197
; %bb.149:
	s_or_saveexec_b64 s[6:7], s[6:7]
	v_mov_b32_e32 v12, s10
	s_xor_b64 exec, exec, s[6:7]
	s_cbranch_execnz .LBB35_2200
.LBB35_150:
	s_or_b64 exec, exec, s[6:7]
	s_and_saveexec_b64 s[6:7], s[4:5]
	s_cbranch_execz .LBB35_152
.LBB35_151:
	v_bfe_u32 v11, v2, 16, 3
	v_ffbh_u32_e32 v14, v11
	v_min_u32_e32 v14, 32, v14
	v_lshrrev_b32_e32 v12, 19, v2
	v_subrev_u32_e32 v15, 28, v14
	v_and_b32_e32 v12, 15, v12
	v_lshlrev_b32_sdwa v15, v15, v2 dst_sel:DWORD dst_unused:UNUSED_PAD src0_sel:DWORD src1_sel:WORD_1
	v_bfe_u32 v13, v2, 19, 4
	v_sub_u32_e32 v14, 29, v14
	v_and_b32_e32 v15, 7, v15
	v_cmp_eq_u16_e32 vcc, 0, v12
	v_cndmask_b32_e32 v11, v11, v15, vcc
	v_cndmask_b32_e32 v12, v13, v14, vcc
	v_lshlrev_b32_e32 v13, 8, v2
	v_mov_b32_e32 v14, 0x3b800000
	v_lshlrev_b32_e32 v11, 20, v11
	v_and_b32_e32 v13, 0x80000000, v13
	v_lshl_add_u32 v12, v12, 23, v14
	v_or3_b32 v12, v13, v12, v11
.LBB35_152:
	s_or_b64 exec, exec, s[6:7]
	s_nop 0
	v_mfma_f32_16x16x4f32 a[0:3], v10, v12, a[0:3]
	s_movk_i32 s4, 0x7f
	v_cmp_gt_i16_sdwa s[6:7], v6, s4 src0_sel:BYTE_3 src1_sel:DWORD
	s_mov_b64 s[4:5], 0
                                        ; implicit-def: $sgpr10
	s_and_saveexec_b64 s[8:9], s[6:7]
	s_xor_b64 s[6:7], exec, s[8:9]
	s_cbranch_execnz .LBB35_2201
; %bb.153:
	s_or_saveexec_b64 s[6:7], s[6:7]
	v_mov_b32_e32 v10, s10
	s_xor_b64 exec, exec, s[6:7]
	s_cbranch_execnz .LBB35_2204
.LBB35_154:
	s_or_b64 exec, exec, s[6:7]
	s_and_saveexec_b64 s[6:7], s[4:5]
	s_cbranch_execz .LBB35_156
.LBB35_155:
	v_bfe_u32 v10, v6, 24, 3
	v_ffbh_u32_e32 v14, v10
	v_min_u32_e32 v14, 32, v14
	v_lshrrev_b32_e32 v12, 27, v6
	v_subrev_u32_e32 v15, 28, v14
	v_and_b32_e32 v11, 0x80000000, v6
	v_and_b32_e32 v12, 15, v12
	v_bfe_u32 v13, v6, 27, 4
	v_lshlrev_b32_sdwa v6, v15, v6 dst_sel:DWORD dst_unused:UNUSED_PAD src0_sel:DWORD src1_sel:BYTE_3
	v_sub_u32_e32 v14, 29, v14
	v_and_b32_e32 v6, 7, v6
	v_cmp_eq_u16_e32 vcc, 0, v12
	v_cndmask_b32_e32 v6, v10, v6, vcc
	v_cndmask_b32_e32 v10, v13, v14, vcc
	v_mov_b32_e32 v12, 0x3b800000
	v_lshlrev_b32_e32 v6, 20, v6
	v_lshl_add_u32 v10, v10, 23, v12
	v_or3_b32 v10, v11, v10, v6
.LBB35_156:
	s_or_b64 exec, exec, s[6:7]
	s_movk_i32 s4, 0x7f
	v_cmp_gt_i16_sdwa s[6:7], v2, s4 src0_sel:BYTE_3 src1_sel:DWORD
	s_mov_b64 s[4:5], 0
                                        ; implicit-def: $sgpr10
	s_and_saveexec_b64 s[8:9], s[6:7]
	s_xor_b64 s[6:7], exec, s[8:9]
	s_cbranch_execnz .LBB35_2205
; %bb.157:
	s_or_saveexec_b64 s[6:7], s[6:7]
	v_mov_b32_e32 v6, s10
	s_xor_b64 exec, exec, s[6:7]
	s_cbranch_execnz .LBB35_2208
.LBB35_158:
	s_or_b64 exec, exec, s[6:7]
	s_and_saveexec_b64 s[6:7], s[4:5]
	s_cbranch_execz .LBB35_160
.LBB35_159:
	v_bfe_u32 v6, v2, 24, 3
	v_ffbh_u32_e32 v14, v6
	v_min_u32_e32 v14, 32, v14
	v_lshrrev_b32_e32 v12, 27, v2
	v_subrev_u32_e32 v15, 28, v14
	v_and_b32_e32 v11, 0x80000000, v2
	v_and_b32_e32 v12, 15, v12
	v_bfe_u32 v13, v2, 27, 4
	v_lshlrev_b32_sdwa v2, v15, v2 dst_sel:DWORD dst_unused:UNUSED_PAD src0_sel:DWORD src1_sel:BYTE_3
	v_sub_u32_e32 v14, 29, v14
	v_and_b32_e32 v2, 7, v2
	v_cmp_eq_u16_e32 vcc, 0, v12
	v_cndmask_b32_e32 v2, v6, v2, vcc
	v_cndmask_b32_e32 v6, v13, v14, vcc
	v_mov_b32_e32 v12, 0x3b800000
	v_lshlrev_b32_e32 v2, 20, v2
	v_lshl_add_u32 v6, v6, 23, v12
	v_or3_b32 v6, v11, v6, v2
.LBB35_160:
	s_or_b64 exec, exec, s[6:7]
	s_nop 0
	v_mfma_f32_16x16x4f32 a[0:3], v10, v6, a[0:3]
	s_movk_i32 s4, 0x7f
	v_cmp_gt_i16_sdwa s[6:7], v7, s4 src0_sel:BYTE_0 src1_sel:DWORD
	s_mov_b64 s[4:5], 0
                                        ; implicit-def: $sgpr10
	s_and_saveexec_b64 s[8:9], s[6:7]
	s_xor_b64 s[6:7], exec, s[8:9]
	s_cbranch_execnz .LBB35_2209
; %bb.161:
	s_or_saveexec_b64 s[6:7], s[6:7]
	v_mov_b32_e32 v2, s10
	s_xor_b64 exec, exec, s[6:7]
	s_cbranch_execnz .LBB35_2212
.LBB35_162:
	s_or_b64 exec, exec, s[6:7]
	s_and_saveexec_b64 s[6:7], s[4:5]
	s_cbranch_execz .LBB35_164
.LBB35_163:
	v_and_b32_e32 v2, 7, v7
	v_ffbh_u32_e32 v10, v2
	v_min_u32_e32 v10, 32, v10
	v_lshrrev_b16_e32 v6, 3, v7
	v_subrev_u32_e32 v11, 28, v10
	v_and_b32_e32 v6, 15, v6
	v_lshlrev_b32_e32 v11, v11, v7
	v_sub_u32_e32 v10, 29, v10
	v_and_b32_e32 v11, 7, v11
	v_cmp_eq_u16_e32 vcc, 0, v6
	v_cndmask_b32_e32 v2, v2, v11, vcc
	v_cndmask_b32_e32 v6, v6, v10, vcc
	v_lshlrev_b32_e32 v10, 24, v7
	v_mov_b32_e32 v11, 0x3b800000
	v_lshlrev_b32_e32 v2, 20, v2
	v_and_b32_e32 v10, 0x80000000, v10
	v_lshl_add_u32 v6, v6, 23, v11
	v_or3_b32 v2, v10, v6, v2
.LBB35_164:
	s_or_b64 exec, exec, s[6:7]
	s_movk_i32 s4, 0x7f
	v_cmp_gt_i16_sdwa s[6:7], v3, s4 src0_sel:BYTE_0 src1_sel:DWORD
	s_mov_b64 s[4:5], 0
                                        ; implicit-def: $sgpr10
	s_and_saveexec_b64 s[8:9], s[6:7]
	s_xor_b64 s[6:7], exec, s[8:9]
	s_cbranch_execnz .LBB35_2213
; %bb.165:
	s_or_saveexec_b64 s[6:7], s[6:7]
	v_mov_b32_e32 v6, s10
	s_xor_b64 exec, exec, s[6:7]
	s_cbranch_execnz .LBB35_2216
.LBB35_166:
	s_or_b64 exec, exec, s[6:7]
	s_and_saveexec_b64 s[6:7], s[4:5]
	s_cbranch_execz .LBB35_168
.LBB35_167:
	v_and_b32_e32 v6, 7, v3
	v_ffbh_u32_e32 v11, v6
	v_min_u32_e32 v11, 32, v11
	v_lshrrev_b16_e32 v10, 3, v3
	v_subrev_u32_e32 v12, 28, v11
	v_and_b32_e32 v10, 15, v10
	v_lshlrev_b32_e32 v12, v12, v3
	v_sub_u32_e32 v11, 29, v11
	v_and_b32_e32 v12, 7, v12
	v_cmp_eq_u16_e32 vcc, 0, v10
	v_cndmask_b32_e32 v6, v6, v12, vcc
	v_cndmask_b32_e32 v10, v10, v11, vcc
	v_lshlrev_b32_e32 v11, 24, v3
	v_mov_b32_e32 v12, 0x3b800000
	v_lshlrev_b32_e32 v6, 20, v6
	v_and_b32_e32 v11, 0x80000000, v11
	v_lshl_add_u32 v10, v10, 23, v12
	v_or3_b32 v6, v11, v10, v6
.LBB35_168:
	s_or_b64 exec, exec, s[6:7]
	s_nop 0
	v_mfma_f32_16x16x4f32 a[0:3], v2, v6, a[0:3]
	v_lshrrev_b32_e32 v6, 8, v7
	s_movk_i32 s4, 0x7f
	v_cmp_gt_i16_sdwa s[6:7], v6, s4 src0_sel:BYTE_0 src1_sel:DWORD
	s_mov_b64 s[4:5], 0
                                        ; implicit-def: $sgpr10
	s_and_saveexec_b64 s[8:9], s[6:7]
	s_xor_b64 s[6:7], exec, s[8:9]
	s_cbranch_execnz .LBB35_2217
; %bb.169:
	s_or_saveexec_b64 s[6:7], s[6:7]
	v_mov_b32_e32 v2, s10
	s_xor_b64 exec, exec, s[6:7]
	s_cbranch_execnz .LBB35_2220
.LBB35_170:
	s_or_b64 exec, exec, s[6:7]
	s_and_saveexec_b64 s[6:7], s[4:5]
	s_cbranch_execz .LBB35_172
.LBB35_171:
	v_bfe_u32 v2, v7, 8, 3
	v_ffbh_u32_e32 v11, v2
	v_min_u32_e32 v11, 32, v11
	v_lshrrev_b16_e32 v10, 3, v6
	v_subrev_u32_e32 v12, 28, v11
	v_and_b32_e32 v10, 15, v10
	v_lshlrev_b32_e32 v6, v12, v6
	v_sub_u32_e32 v11, 29, v11
	v_and_b32_e32 v6, 7, v6
	v_cmp_eq_u16_e32 vcc, 0, v10
	v_cndmask_b32_e32 v2, v2, v6, vcc
	v_cndmask_b32_e32 v6, v10, v11, vcc
	v_lshlrev_b32_e32 v10, 16, v7
	v_mov_b32_e32 v11, 0x3b800000
	v_lshlrev_b32_e32 v2, 20, v2
	v_and_b32_e32 v10, 0x80000000, v10
	v_lshl_add_u32 v6, v6, 23, v11
	v_or3_b32 v2, v10, v6, v2
.LBB35_172:
	s_or_b64 exec, exec, s[6:7]
	v_lshrrev_b32_e32 v6, 8, v3
	s_movk_i32 s4, 0x7f
	v_cmp_gt_i16_sdwa s[6:7], v6, s4 src0_sel:BYTE_0 src1_sel:DWORD
	s_mov_b64 s[4:5], 0
                                        ; implicit-def: $sgpr10
	s_and_saveexec_b64 s[8:9], s[6:7]
	s_xor_b64 s[6:7], exec, s[8:9]
	s_cbranch_execnz .LBB35_2221
; %bb.173:
	s_or_saveexec_b64 s[6:7], s[6:7]
	v_mov_b32_e32 v10, s10
	s_xor_b64 exec, exec, s[6:7]
	s_cbranch_execnz .LBB35_2224
.LBB35_174:
	s_or_b64 exec, exec, s[6:7]
	s_and_saveexec_b64 s[6:7], s[4:5]
	s_cbranch_execz .LBB35_176
.LBB35_175:
	v_bfe_u32 v10, v3, 8, 3
	v_ffbh_u32_e32 v12, v10
	v_min_u32_e32 v12, 32, v12
	v_lshrrev_b16_e32 v11, 3, v6
	v_subrev_u32_e32 v13, 28, v12
	v_and_b32_e32 v11, 15, v11
	v_lshlrev_b32_e32 v6, v13, v6
	v_sub_u32_e32 v12, 29, v12
	v_and_b32_e32 v6, 7, v6
	v_cmp_eq_u16_e32 vcc, 0, v11
	v_cndmask_b32_e32 v6, v10, v6, vcc
	v_cndmask_b32_e32 v10, v11, v12, vcc
	v_lshlrev_b32_e32 v11, 16, v3
	v_mov_b32_e32 v12, 0x3b800000
	v_lshlrev_b32_e32 v6, 20, v6
	v_and_b32_e32 v11, 0x80000000, v11
	v_lshl_add_u32 v10, v10, 23, v12
	v_or3_b32 v10, v11, v10, v6
.LBB35_176:
	s_or_b64 exec, exec, s[6:7]
	s_nop 0
	v_mfma_f32_16x16x4f32 a[0:3], v2, v10, a[0:3]
	s_movk_i32 s4, 0xff
	v_and_b32_sdwa v6, v7, s4 dst_sel:DWORD dst_unused:UNUSED_PAD src0_sel:WORD_1 src1_sel:DWORD
	s_movk_i32 s4, 0x7f
	v_cmp_lt_i16_e32 vcc, s4, v6
	s_mov_b64 s[4:5], 0
                                        ; implicit-def: $sgpr10
	s_and_saveexec_b64 s[6:7], vcc
	s_xor_b64 s[6:7], exec, s[6:7]
	s_cbranch_execnz .LBB35_2225
; %bb.177:
	s_or_saveexec_b64 s[6:7], s[6:7]
	v_mov_b32_e32 v2, s10
	s_xor_b64 exec, exec, s[6:7]
	s_cbranch_execnz .LBB35_2228
.LBB35_178:
	s_or_b64 exec, exec, s[6:7]
	s_and_saveexec_b64 s[6:7], s[4:5]
	s_cbranch_execz .LBB35_180
.LBB35_179:
	v_bfe_u32 v2, v7, 16, 3
	v_ffbh_u32_e32 v11, v2
	v_min_u32_e32 v11, 32, v11
	v_lshrrev_b32_e32 v6, 19, v7
	v_subrev_u32_e32 v12, 28, v11
	v_and_b32_e32 v6, 15, v6
	v_lshlrev_b32_sdwa v12, v12, v7 dst_sel:DWORD dst_unused:UNUSED_PAD src0_sel:DWORD src1_sel:WORD_1
	v_bfe_u32 v10, v7, 19, 4
	v_sub_u32_e32 v11, 29, v11
	v_and_b32_e32 v12, 7, v12
	v_cmp_eq_u16_e32 vcc, 0, v6
	v_cndmask_b32_e32 v2, v2, v12, vcc
	v_cndmask_b32_e32 v6, v10, v11, vcc
	v_lshlrev_b32_e32 v10, 8, v7
	v_mov_b32_e32 v11, 0x3b800000
	v_lshlrev_b32_e32 v2, 20, v2
	v_and_b32_e32 v10, 0x80000000, v10
	v_lshl_add_u32 v6, v6, 23, v11
	v_or3_b32 v2, v10, v6, v2
.LBB35_180:
	s_or_b64 exec, exec, s[6:7]
	s_movk_i32 s4, 0xff
	v_and_b32_sdwa v6, v3, s4 dst_sel:DWORD dst_unused:UNUSED_PAD src0_sel:WORD_1 src1_sel:DWORD
	s_movk_i32 s4, 0x7f
	v_cmp_lt_i16_e32 vcc, s4, v6
	s_mov_b64 s[4:5], 0
                                        ; implicit-def: $sgpr10
	s_and_saveexec_b64 s[6:7], vcc
	s_xor_b64 s[6:7], exec, s[6:7]
	s_cbranch_execnz .LBB35_2229
; %bb.181:
	s_or_saveexec_b64 s[6:7], s[6:7]
	v_mov_b32_e32 v10, s10
	s_xor_b64 exec, exec, s[6:7]
	s_cbranch_execnz .LBB35_2232
.LBB35_182:
	s_or_b64 exec, exec, s[6:7]
	s_and_saveexec_b64 s[6:7], s[4:5]
	s_cbranch_execz .LBB35_184
.LBB35_183:
	v_bfe_u32 v6, v3, 16, 3
	v_ffbh_u32_e32 v12, v6
	v_min_u32_e32 v12, 32, v12
	v_lshrrev_b32_e32 v10, 19, v3
	v_subrev_u32_e32 v13, 28, v12
	v_and_b32_e32 v10, 15, v10
	v_lshlrev_b32_sdwa v13, v13, v3 dst_sel:DWORD dst_unused:UNUSED_PAD src0_sel:DWORD src1_sel:WORD_1
	v_bfe_u32 v11, v3, 19, 4
	v_sub_u32_e32 v12, 29, v12
	v_and_b32_e32 v13, 7, v13
	v_cmp_eq_u16_e32 vcc, 0, v10
	v_cndmask_b32_e32 v6, v6, v13, vcc
	v_cndmask_b32_e32 v10, v11, v12, vcc
	v_lshlrev_b32_e32 v11, 8, v3
	v_mov_b32_e32 v12, 0x3b800000
	v_lshlrev_b32_e32 v6, 20, v6
	v_and_b32_e32 v11, 0x80000000, v11
	v_lshl_add_u32 v10, v10, 23, v12
	v_or3_b32 v10, v11, v10, v6
.LBB35_184:
	s_or_b64 exec, exec, s[6:7]
	s_nop 0
	v_mfma_f32_16x16x4f32 a[0:3], v2, v10, a[0:3]
	s_movk_i32 s4, 0x7f
	v_cmp_gt_i16_sdwa s[6:7], v7, s4 src0_sel:BYTE_3 src1_sel:DWORD
	s_mov_b64 s[4:5], 0
                                        ; implicit-def: $sgpr10
	s_and_saveexec_b64 s[8:9], s[6:7]
	s_xor_b64 s[6:7], exec, s[8:9]
	s_cbranch_execnz .LBB35_2233
; %bb.185:
	s_or_saveexec_b64 s[6:7], s[6:7]
	v_mov_b32_e32 v2, s10
	s_xor_b64 exec, exec, s[6:7]
	s_cbranch_execnz .LBB35_2236
.LBB35_186:
	s_or_b64 exec, exec, s[6:7]
	s_and_saveexec_b64 s[6:7], s[4:5]
	s_cbranch_execz .LBB35_188
.LBB35_187:
	v_bfe_u32 v2, v7, 24, 3
	v_ffbh_u32_e32 v12, v2
	v_min_u32_e32 v12, 32, v12
	v_lshrrev_b32_e32 v10, 27, v7
	v_subrev_u32_e32 v13, 28, v12
	v_and_b32_e32 v6, 0x80000000, v7
	v_and_b32_e32 v10, 15, v10
	v_bfe_u32 v11, v7, 27, 4
	v_lshlrev_b32_sdwa v7, v13, v7 dst_sel:DWORD dst_unused:UNUSED_PAD src0_sel:DWORD src1_sel:BYTE_3
	v_sub_u32_e32 v12, 29, v12
	v_and_b32_e32 v7, 7, v7
	v_cmp_eq_u16_e32 vcc, 0, v10
	v_cndmask_b32_e32 v2, v2, v7, vcc
	v_cndmask_b32_e32 v7, v11, v12, vcc
	v_mov_b32_e32 v10, 0x3b800000
	v_lshlrev_b32_e32 v2, 20, v2
	v_lshl_add_u32 v7, v7, 23, v10
	v_or3_b32 v2, v6, v7, v2
.LBB35_188:
	s_or_b64 exec, exec, s[6:7]
	s_movk_i32 s4, 0x7f
	v_cmp_gt_i16_sdwa s[6:7], v3, s4 src0_sel:BYTE_3 src1_sel:DWORD
	s_mov_b64 s[4:5], 0
                                        ; implicit-def: $sgpr10
	s_and_saveexec_b64 s[8:9], s[6:7]
	s_xor_b64 s[6:7], exec, s[8:9]
	s_cbranch_execnz .LBB35_2237
; %bb.189:
	s_or_saveexec_b64 s[6:7], s[6:7]
	v_mov_b32_e32 v6, s10
	s_xor_b64 exec, exec, s[6:7]
	s_cbranch_execnz .LBB35_2240
.LBB35_190:
	s_or_b64 exec, exec, s[6:7]
	s_and_saveexec_b64 s[6:7], s[4:5]
	s_cbranch_execz .LBB35_192
.LBB35_191:
	v_bfe_u32 v6, v3, 24, 3
	v_ffbh_u32_e32 v12, v6
	v_min_u32_e32 v12, 32, v12
	v_lshrrev_b32_e32 v10, 27, v3
	v_subrev_u32_e32 v13, 28, v12
	v_and_b32_e32 v7, 0x80000000, v3
	v_and_b32_e32 v10, 15, v10
	v_bfe_u32 v11, v3, 27, 4
	v_lshlrev_b32_sdwa v3, v13, v3 dst_sel:DWORD dst_unused:UNUSED_PAD src0_sel:DWORD src1_sel:BYTE_3
	v_sub_u32_e32 v12, 29, v12
	v_and_b32_e32 v3, 7, v3
	v_cmp_eq_u16_e32 vcc, 0, v10
	v_cndmask_b32_e32 v3, v6, v3, vcc
	v_cndmask_b32_e32 v6, v11, v12, vcc
	v_mov_b32_e32 v10, 0x3b800000
	v_lshlrev_b32_e32 v3, 20, v3
	v_lshl_add_u32 v6, v6, 23, v10
	v_or3_b32 v6, v7, v6, v3
.LBB35_192:
	s_or_b64 exec, exec, s[6:7]
	s_nop 0
	v_mfma_f32_16x16x4f32 a[0:3], v2, v6, a[0:3]
	s_movk_i32 s4, 0x7f
	v_cmp_gt_i16_sdwa s[6:7], v8, s4 src0_sel:BYTE_0 src1_sel:DWORD
	s_mov_b64 s[4:5], 0
                                        ; implicit-def: $sgpr10
	s_and_saveexec_b64 s[8:9], s[6:7]
	s_xor_b64 s[6:7], exec, s[8:9]
	s_cbranch_execnz .LBB35_2241
; %bb.193:
	s_or_saveexec_b64 s[6:7], s[6:7]
	v_mov_b32_e32 v2, s10
	s_xor_b64 exec, exec, s[6:7]
	s_cbranch_execnz .LBB35_2244
.LBB35_194:
	s_or_b64 exec, exec, s[6:7]
	s_and_saveexec_b64 s[6:7], s[4:5]
	s_cbranch_execz .LBB35_196
.LBB35_195:
	v_and_b32_e32 v2, 7, v8
	v_ffbh_u32_e32 v6, v2
	v_min_u32_e32 v6, 32, v6
	v_lshrrev_b16_e32 v3, 3, v8
	v_subrev_u32_e32 v7, 28, v6
	v_and_b32_e32 v3, 15, v3
	v_lshlrev_b32_e32 v7, v7, v8
	v_sub_u32_e32 v6, 29, v6
	v_and_b32_e32 v7, 7, v7
	v_cmp_eq_u16_e32 vcc, 0, v3
	v_cndmask_b32_e32 v2, v2, v7, vcc
	v_cndmask_b32_e32 v3, v3, v6, vcc
	v_lshlrev_b32_e32 v6, 24, v8
	v_mov_b32_e32 v7, 0x3b800000
	v_lshlrev_b32_e32 v2, 20, v2
	v_and_b32_e32 v6, 0x80000000, v6
	v_lshl_add_u32 v3, v3, 23, v7
	v_or3_b32 v2, v6, v3, v2
.LBB35_196:
	s_or_b64 exec, exec, s[6:7]
	s_movk_i32 s4, 0x7f
	v_cmp_gt_i16_sdwa s[6:7], v4, s4 src0_sel:BYTE_0 src1_sel:DWORD
	s_mov_b64 s[4:5], 0
                                        ; implicit-def: $sgpr10
	s_and_saveexec_b64 s[8:9], s[6:7]
	s_xor_b64 s[6:7], exec, s[8:9]
	s_cbranch_execnz .LBB35_2245
; %bb.197:
	s_or_saveexec_b64 s[6:7], s[6:7]
	v_mov_b32_e32 v3, s10
	s_xor_b64 exec, exec, s[6:7]
	s_cbranch_execnz .LBB35_2248
.LBB35_198:
	s_or_b64 exec, exec, s[6:7]
	s_and_saveexec_b64 s[6:7], s[4:5]
	s_cbranch_execz .LBB35_200
.LBB35_199:
	v_and_b32_e32 v3, 7, v4
	v_ffbh_u32_e32 v7, v3
	v_min_u32_e32 v7, 32, v7
	v_lshrrev_b16_e32 v6, 3, v4
	v_subrev_u32_e32 v10, 28, v7
	v_and_b32_e32 v6, 15, v6
	v_lshlrev_b32_e32 v10, v10, v4
	v_sub_u32_e32 v7, 29, v7
	v_and_b32_e32 v10, 7, v10
	v_cmp_eq_u16_e32 vcc, 0, v6
	v_cndmask_b32_e32 v3, v3, v10, vcc
	v_cndmask_b32_e32 v6, v6, v7, vcc
	v_lshlrev_b32_e32 v7, 24, v4
	v_mov_b32_e32 v10, 0x3b800000
	v_lshlrev_b32_e32 v3, 20, v3
	v_and_b32_e32 v7, 0x80000000, v7
	v_lshl_add_u32 v6, v6, 23, v10
	v_or3_b32 v3, v7, v6, v3
.LBB35_200:
	s_or_b64 exec, exec, s[6:7]
	s_nop 0
	v_mfma_f32_16x16x4f32 a[0:3], v2, v3, a[0:3]
	v_lshrrev_b32_e32 v3, 8, v8
	s_movk_i32 s4, 0x7f
	v_cmp_gt_i16_sdwa s[6:7], v3, s4 src0_sel:BYTE_0 src1_sel:DWORD
	s_mov_b64 s[4:5], 0
                                        ; implicit-def: $sgpr10
	s_and_saveexec_b64 s[8:9], s[6:7]
	s_xor_b64 s[6:7], exec, s[8:9]
	s_cbranch_execnz .LBB35_2249
; %bb.201:
	s_or_saveexec_b64 s[6:7], s[6:7]
	v_mov_b32_e32 v2, s10
	s_xor_b64 exec, exec, s[6:7]
	s_cbranch_execnz .LBB35_2252
.LBB35_202:
	s_or_b64 exec, exec, s[6:7]
	s_and_saveexec_b64 s[6:7], s[4:5]
	s_cbranch_execz .LBB35_204
.LBB35_203:
	v_bfe_u32 v2, v8, 8, 3
	v_ffbh_u32_e32 v7, v2
	v_min_u32_e32 v7, 32, v7
	v_lshrrev_b16_e32 v6, 3, v3
	v_subrev_u32_e32 v10, 28, v7
	v_and_b32_e32 v6, 15, v6
	v_lshlrev_b32_e32 v3, v10, v3
	v_sub_u32_e32 v7, 29, v7
	v_and_b32_e32 v3, 7, v3
	v_cmp_eq_u16_e32 vcc, 0, v6
	v_cndmask_b32_e32 v2, v2, v3, vcc
	v_cndmask_b32_e32 v3, v6, v7, vcc
	v_lshlrev_b32_e32 v6, 16, v8
	v_mov_b32_e32 v7, 0x3b800000
	v_lshlrev_b32_e32 v2, 20, v2
	v_and_b32_e32 v6, 0x80000000, v6
	v_lshl_add_u32 v3, v3, 23, v7
	v_or3_b32 v2, v6, v3, v2
.LBB35_204:
	s_or_b64 exec, exec, s[6:7]
	v_lshrrev_b32_e32 v3, 8, v4
	s_movk_i32 s4, 0x7f
	v_cmp_gt_i16_sdwa s[6:7], v3, s4 src0_sel:BYTE_0 src1_sel:DWORD
	s_mov_b64 s[4:5], 0
                                        ; implicit-def: $sgpr10
	s_and_saveexec_b64 s[8:9], s[6:7]
	s_xor_b64 s[6:7], exec, s[8:9]
	s_cbranch_execnz .LBB35_2253
; %bb.205:
	s_or_saveexec_b64 s[6:7], s[6:7]
	v_mov_b32_e32 v6, s10
	s_xor_b64 exec, exec, s[6:7]
	s_cbranch_execnz .LBB35_2256
.LBB35_206:
	s_or_b64 exec, exec, s[6:7]
	s_and_saveexec_b64 s[6:7], s[4:5]
	s_cbranch_execz .LBB35_208
.LBB35_207:
	v_bfe_u32 v6, v4, 8, 3
	v_ffbh_u32_e32 v10, v6
	v_min_u32_e32 v10, 32, v10
	v_lshrrev_b16_e32 v7, 3, v3
	v_subrev_u32_e32 v11, 28, v10
	v_and_b32_e32 v7, 15, v7
	v_lshlrev_b32_e32 v3, v11, v3
	v_sub_u32_e32 v10, 29, v10
	v_and_b32_e32 v3, 7, v3
	v_cmp_eq_u16_e32 vcc, 0, v7
	v_cndmask_b32_e32 v3, v6, v3, vcc
	v_cndmask_b32_e32 v6, v7, v10, vcc
	v_lshlrev_b32_e32 v7, 16, v4
	v_mov_b32_e32 v10, 0x3b800000
	v_lshlrev_b32_e32 v3, 20, v3
	v_and_b32_e32 v7, 0x80000000, v7
	v_lshl_add_u32 v6, v6, 23, v10
	v_or3_b32 v6, v7, v6, v3
.LBB35_208:
	s_or_b64 exec, exec, s[6:7]
	s_nop 0
	v_mfma_f32_16x16x4f32 a[0:3], v2, v6, a[0:3]
	s_movk_i32 s4, 0xff
	v_and_b32_sdwa v3, v8, s4 dst_sel:DWORD dst_unused:UNUSED_PAD src0_sel:WORD_1 src1_sel:DWORD
	s_movk_i32 s4, 0x7f
	v_cmp_lt_i16_e32 vcc, s4, v3
	s_mov_b64 s[4:5], 0
                                        ; implicit-def: $sgpr10
	s_and_saveexec_b64 s[6:7], vcc
	s_xor_b64 s[6:7], exec, s[6:7]
	s_cbranch_execnz .LBB35_2257
; %bb.209:
	s_or_saveexec_b64 s[6:7], s[6:7]
	v_mov_b32_e32 v2, s10
	s_xor_b64 exec, exec, s[6:7]
	s_cbranch_execnz .LBB35_2260
.LBB35_210:
	s_or_b64 exec, exec, s[6:7]
	s_and_saveexec_b64 s[6:7], s[4:5]
	s_cbranch_execz .LBB35_212
.LBB35_211:
	v_bfe_u32 v2, v8, 16, 3
	v_ffbh_u32_e32 v7, v2
	v_min_u32_e32 v7, 32, v7
	v_lshrrev_b32_e32 v3, 19, v8
	v_subrev_u32_e32 v10, 28, v7
	v_and_b32_e32 v3, 15, v3
	v_lshlrev_b32_sdwa v10, v10, v8 dst_sel:DWORD dst_unused:UNUSED_PAD src0_sel:DWORD src1_sel:WORD_1
	v_bfe_u32 v6, v8, 19, 4
	v_sub_u32_e32 v7, 29, v7
	v_and_b32_e32 v10, 7, v10
	v_cmp_eq_u16_e32 vcc, 0, v3
	v_cndmask_b32_e32 v2, v2, v10, vcc
	v_cndmask_b32_e32 v3, v6, v7, vcc
	v_lshlrev_b32_e32 v6, 8, v8
	v_mov_b32_e32 v7, 0x3b800000
	v_lshlrev_b32_e32 v2, 20, v2
	v_and_b32_e32 v6, 0x80000000, v6
	v_lshl_add_u32 v3, v3, 23, v7
	v_or3_b32 v2, v6, v3, v2
.LBB35_212:
	s_or_b64 exec, exec, s[6:7]
	s_movk_i32 s4, 0xff
	v_and_b32_sdwa v3, v4, s4 dst_sel:DWORD dst_unused:UNUSED_PAD src0_sel:WORD_1 src1_sel:DWORD
	s_movk_i32 s4, 0x7f
	v_cmp_lt_i16_e32 vcc, s4, v3
	s_mov_b64 s[4:5], 0
                                        ; implicit-def: $sgpr10
	s_and_saveexec_b64 s[6:7], vcc
	s_xor_b64 s[6:7], exec, s[6:7]
	s_cbranch_execnz .LBB35_2261
; %bb.213:
	s_or_saveexec_b64 s[6:7], s[6:7]
	v_mov_b32_e32 v6, s10
	s_xor_b64 exec, exec, s[6:7]
	s_cbranch_execnz .LBB35_2264
.LBB35_214:
	s_or_b64 exec, exec, s[6:7]
	s_and_saveexec_b64 s[6:7], s[4:5]
	s_cbranch_execz .LBB35_216
.LBB35_215:
	v_bfe_u32 v3, v4, 16, 3
	v_ffbh_u32_e32 v10, v3
	v_min_u32_e32 v10, 32, v10
	v_lshrrev_b32_e32 v6, 19, v4
	v_subrev_u32_e32 v11, 28, v10
	v_and_b32_e32 v6, 15, v6
	v_lshlrev_b32_sdwa v11, v11, v4 dst_sel:DWORD dst_unused:UNUSED_PAD src0_sel:DWORD src1_sel:WORD_1
	v_bfe_u32 v7, v4, 19, 4
	v_sub_u32_e32 v10, 29, v10
	v_and_b32_e32 v11, 7, v11
	v_cmp_eq_u16_e32 vcc, 0, v6
	v_cndmask_b32_e32 v3, v3, v11, vcc
	v_cndmask_b32_e32 v6, v7, v10, vcc
	v_lshlrev_b32_e32 v7, 8, v4
	v_mov_b32_e32 v10, 0x3b800000
	v_lshlrev_b32_e32 v3, 20, v3
	v_and_b32_e32 v7, 0x80000000, v7
	v_lshl_add_u32 v6, v6, 23, v10
	v_or3_b32 v6, v7, v6, v3
.LBB35_216:
	s_or_b64 exec, exec, s[6:7]
	s_nop 0
	v_mfma_f32_16x16x4f32 a[0:3], v2, v6, a[0:3]
	s_movk_i32 s4, 0x7f
	v_cmp_gt_i16_sdwa s[6:7], v8, s4 src0_sel:BYTE_3 src1_sel:DWORD
	s_mov_b64 s[4:5], 0
                                        ; implicit-def: $sgpr10
	s_and_saveexec_b64 s[8:9], s[6:7]
	s_xor_b64 s[6:7], exec, s[8:9]
	s_cbranch_execnz .LBB35_2265
; %bb.217:
	s_or_saveexec_b64 s[6:7], s[6:7]
	v_mov_b32_e32 v2, s10
	s_xor_b64 exec, exec, s[6:7]
	s_cbranch_execnz .LBB35_2268
.LBB35_218:
	s_or_b64 exec, exec, s[6:7]
	s_and_saveexec_b64 s[6:7], s[4:5]
	s_cbranch_execz .LBB35_220
.LBB35_219:
	v_bfe_u32 v2, v8, 24, 3
	v_ffbh_u32_e32 v10, v2
	v_min_u32_e32 v10, 32, v10
	v_lshrrev_b32_e32 v6, 27, v8
	v_subrev_u32_e32 v11, 28, v10
	v_and_b32_e32 v3, 0x80000000, v8
	v_and_b32_e32 v6, 15, v6
	v_bfe_u32 v7, v8, 27, 4
	v_lshlrev_b32_sdwa v8, v11, v8 dst_sel:DWORD dst_unused:UNUSED_PAD src0_sel:DWORD src1_sel:BYTE_3
	v_sub_u32_e32 v10, 29, v10
	v_and_b32_e32 v8, 7, v8
	v_cmp_eq_u16_e32 vcc, 0, v6
	v_cndmask_b32_e32 v2, v2, v8, vcc
	v_cndmask_b32_e32 v6, v7, v10, vcc
	v_mov_b32_e32 v7, 0x3b800000
	v_lshlrev_b32_e32 v2, 20, v2
	v_lshl_add_u32 v6, v6, 23, v7
	v_or3_b32 v2, v3, v6, v2
.LBB35_220:
	s_or_b64 exec, exec, s[6:7]
	s_movk_i32 s4, 0x7f
	v_cmp_gt_i16_sdwa s[6:7], v4, s4 src0_sel:BYTE_3 src1_sel:DWORD
	s_mov_b64 s[4:5], 0
                                        ; implicit-def: $sgpr10
	s_and_saveexec_b64 s[8:9], s[6:7]
	s_xor_b64 s[6:7], exec, s[8:9]
	s_cbranch_execnz .LBB35_2269
; %bb.221:
	s_or_saveexec_b64 s[6:7], s[6:7]
	v_mov_b32_e32 v3, s10
	s_xor_b64 exec, exec, s[6:7]
	s_cbranch_execnz .LBB35_2272
.LBB35_222:
	s_or_b64 exec, exec, s[6:7]
	s_and_saveexec_b64 s[6:7], s[4:5]
	s_cbranch_execz .LBB35_224
.LBB35_223:
	v_bfe_u32 v3, v4, 24, 3
	v_ffbh_u32_e32 v10, v3
	v_min_u32_e32 v10, 32, v10
	v_lshrrev_b32_e32 v7, 27, v4
	v_subrev_u32_e32 v11, 28, v10
	v_and_b32_e32 v6, 0x80000000, v4
	v_and_b32_e32 v7, 15, v7
	v_bfe_u32 v8, v4, 27, 4
	v_lshlrev_b32_sdwa v4, v11, v4 dst_sel:DWORD dst_unused:UNUSED_PAD src0_sel:DWORD src1_sel:BYTE_3
	v_sub_u32_e32 v10, 29, v10
	v_and_b32_e32 v4, 7, v4
	v_cmp_eq_u16_e32 vcc, 0, v7
	v_cndmask_b32_e32 v3, v3, v4, vcc
	v_cndmask_b32_e32 v4, v8, v10, vcc
	v_mov_b32_e32 v7, 0x3b800000
	v_lshlrev_b32_e32 v3, 20, v3
	v_lshl_add_u32 v4, v4, 23, v7
	v_or3_b32 v3, v6, v4, v3
.LBB35_224:
	s_or_b64 exec, exec, s[6:7]
	s_nop 0
	v_mfma_f32_16x16x4f32 a[0:3], v2, v3, a[0:3]
	s_movk_i32 s4, 0x7f
	v_cmp_gt_i16_sdwa s[6:7], v9, s4 src0_sel:BYTE_0 src1_sel:DWORD
	s_mov_b64 s[4:5], 0
                                        ; implicit-def: $sgpr10
	s_and_saveexec_b64 s[8:9], s[6:7]
	s_xor_b64 s[6:7], exec, s[8:9]
	s_cbranch_execnz .LBB35_2273
; %bb.225:
	s_or_saveexec_b64 s[6:7], s[6:7]
	v_mov_b32_e32 v2, s10
	s_xor_b64 exec, exec, s[6:7]
	s_cbranch_execnz .LBB35_2276
.LBB35_226:
	s_or_b64 exec, exec, s[6:7]
	s_and_saveexec_b64 s[6:7], s[4:5]
	s_cbranch_execz .LBB35_228
.LBB35_227:
	v_mov_b32_e32 v2, 8
	v_and_b32_e32 v3, 7, v9
	v_lshrrev_b32_sdwa v2, v2, v9 dst_sel:BYTE_1 dst_unused:UNUSED_PAD src0_sel:DWORD src1_sel:DWORD
	v_ffbh_u32_e32 v4, v3
	v_or_b32_sdwa v2, v9, v2 dst_sel:DWORD dst_unused:UNUSED_PAD src0_sel:BYTE_0 src1_sel:DWORD
	v_min_u32_e32 v4, 32, v4
	v_lshrrev_b16_e32 v2, 3, v2
	v_subrev_u32_e32 v6, 28, v4
	v_and_b32_e32 v2, 15, v2
	v_lshlrev_b32_e32 v6, v6, v9
	v_sub_u32_e32 v4, 29, v4
	v_and_b32_e32 v6, 7, v6
	v_cmp_eq_u16_e32 vcc, 0, v2
	v_cndmask_b32_e32 v3, v3, v6, vcc
	v_cndmask_b32_e32 v2, v2, v4, vcc
	v_lshlrev_b32_e32 v4, 24, v9
	v_mov_b32_e32 v6, 0x3b800000
	v_lshlrev_b32_e32 v3, 20, v3
	v_and_b32_e32 v4, 0x80000000, v4
	v_lshl_add_u32 v2, v2, 23, v6
	v_or3_b32 v2, v4, v2, v3
.LBB35_228:
	s_or_b64 exec, exec, s[6:7]
	s_movk_i32 s4, 0x7f
	v_cmp_gt_i16_sdwa s[6:7], v5, s4 src0_sel:BYTE_0 src1_sel:DWORD
	s_mov_b64 s[4:5], 0
                                        ; implicit-def: $sgpr10
	s_and_saveexec_b64 s[8:9], s[6:7]
	s_xor_b64 s[6:7], exec, s[8:9]
	s_cbranch_execnz .LBB35_2277
; %bb.229:
	s_or_saveexec_b64 s[6:7], s[6:7]
	v_mov_b32_e32 v3, s10
	s_xor_b64 exec, exec, s[6:7]
	s_cbranch_execnz .LBB35_2280
.LBB35_230:
	s_or_b64 exec, exec, s[6:7]
	s_and_saveexec_b64 s[6:7], s[4:5]
	s_cbranch_execz .LBB35_232
.LBB35_231:
	v_mov_b32_e32 v3, 8
	v_and_b32_e32 v4, 7, v5
	v_lshrrev_b32_sdwa v3, v3, v5 dst_sel:BYTE_1 dst_unused:UNUSED_PAD src0_sel:DWORD src1_sel:DWORD
	v_ffbh_u32_e32 v6, v4
	v_or_b32_sdwa v3, v5, v3 dst_sel:DWORD dst_unused:UNUSED_PAD src0_sel:BYTE_0 src1_sel:DWORD
	v_min_u32_e32 v6, 32, v6
	v_lshrrev_b16_e32 v3, 3, v3
	v_subrev_u32_e32 v7, 28, v6
	v_and_b32_e32 v3, 15, v3
	v_lshlrev_b32_e32 v7, v7, v5
	v_sub_u32_e32 v6, 29, v6
	v_and_b32_e32 v7, 7, v7
	v_cmp_eq_u16_e32 vcc, 0, v3
	v_cndmask_b32_e32 v4, v4, v7, vcc
	v_cndmask_b32_e32 v3, v3, v6, vcc
	v_lshlrev_b32_e32 v6, 24, v5
	v_mov_b32_e32 v7, 0x3b800000
	v_lshlrev_b32_e32 v4, 20, v4
	v_and_b32_e32 v6, 0x80000000, v6
	v_lshl_add_u32 v3, v3, 23, v7
	v_or3_b32 v3, v6, v3, v4
.LBB35_232:
	s_or_b64 exec, exec, s[6:7]
	s_nop 0
	v_mfma_f32_16x16x4f32 a[0:3], v2, v3, a[0:3]
	v_lshrrev_b32_e32 v3, 8, v9
	s_movk_i32 s4, 0x7f
	v_cmp_gt_i16_sdwa s[6:7], v3, s4 src0_sel:BYTE_0 src1_sel:DWORD
	s_mov_b64 s[4:5], 0
                                        ; implicit-def: $sgpr10
	s_and_saveexec_b64 s[8:9], s[6:7]
	s_xor_b64 s[6:7], exec, s[8:9]
	s_cbranch_execnz .LBB35_2281
; %bb.233:
	s_or_saveexec_b64 s[6:7], s[6:7]
	v_mov_b32_e32 v2, s10
	s_xor_b64 exec, exec, s[6:7]
	s_cbranch_execnz .LBB35_2284
.LBB35_234:
	s_or_b64 exec, exec, s[6:7]
	s_and_saveexec_b64 s[6:7], s[4:5]
	s_cbranch_execz .LBB35_236
.LBB35_235:
	v_bfe_u32 v2, v9, 8, 3
	v_ffbh_u32_e32 v6, v2
	v_min_u32_e32 v6, 32, v6
	v_lshrrev_b16_e32 v4, 3, v3
	v_subrev_u32_e32 v7, 28, v6
	v_and_b32_e32 v4, 15, v4
	v_lshlrev_b32_e32 v3, v7, v3
	v_sub_u32_e32 v6, 29, v6
	v_and_b32_e32 v3, 7, v3
	v_cmp_eq_u16_e32 vcc, 0, v4
	v_cndmask_b32_e32 v2, v2, v3, vcc
	v_cndmask_b32_e32 v3, v4, v6, vcc
	v_lshlrev_b32_e32 v4, 16, v9
	v_mov_b32_e32 v6, 0x3b800000
	v_lshlrev_b32_e32 v2, 20, v2
	v_and_b32_e32 v4, 0x80000000, v4
	v_lshl_add_u32 v3, v3, 23, v6
	v_or3_b32 v2, v4, v3, v2
.LBB35_236:
	s_or_b64 exec, exec, s[6:7]
	v_lshrrev_b32_e32 v3, 8, v5
	s_movk_i32 s4, 0x7f
	v_cmp_gt_i16_sdwa s[6:7], v3, s4 src0_sel:BYTE_0 src1_sel:DWORD
	s_mov_b64 s[4:5], 0
                                        ; implicit-def: $sgpr10
	s_and_saveexec_b64 s[8:9], s[6:7]
	s_xor_b64 s[6:7], exec, s[8:9]
	s_cbranch_execnz .LBB35_2285
; %bb.237:
	s_or_saveexec_b64 s[6:7], s[6:7]
	v_mov_b32_e32 v4, s10
	s_xor_b64 exec, exec, s[6:7]
	s_cbranch_execnz .LBB35_2288
.LBB35_238:
	s_or_b64 exec, exec, s[6:7]
	s_and_saveexec_b64 s[6:7], s[4:5]
	s_cbranch_execz .LBB35_240
.LBB35_239:
	v_bfe_u32 v4, v5, 8, 3
	v_ffbh_u32_e32 v7, v4
	v_min_u32_e32 v7, 32, v7
	v_lshrrev_b16_e32 v6, 3, v3
	v_subrev_u32_e32 v8, 28, v7
	v_and_b32_e32 v6, 15, v6
	v_lshlrev_b32_e32 v3, v8, v3
	v_sub_u32_e32 v7, 29, v7
	v_and_b32_e32 v3, 7, v3
	v_cmp_eq_u16_e32 vcc, 0, v6
	v_cndmask_b32_e32 v3, v4, v3, vcc
	v_cndmask_b32_e32 v4, v6, v7, vcc
	v_lshlrev_b32_e32 v6, 16, v5
	v_mov_b32_e32 v7, 0x3b800000
	v_lshlrev_b32_e32 v3, 20, v3
	v_and_b32_e32 v6, 0x80000000, v6
	v_lshl_add_u32 v4, v4, 23, v7
	v_or3_b32 v4, v6, v4, v3
.LBB35_240:
	s_or_b64 exec, exec, s[6:7]
	s_nop 0
	v_mfma_f32_16x16x4f32 a[0:3], v2, v4, a[0:3]
	s_movk_i32 s4, 0xff
	v_and_b32_sdwa v3, v9, s4 dst_sel:DWORD dst_unused:UNUSED_PAD src0_sel:WORD_1 src1_sel:DWORD
	s_movk_i32 s4, 0x7f
	v_cmp_lt_i16_e32 vcc, s4, v3
	s_mov_b64 s[4:5], 0
                                        ; implicit-def: $sgpr10
	s_and_saveexec_b64 s[6:7], vcc
	s_xor_b64 s[6:7], exec, s[6:7]
	s_cbranch_execnz .LBB35_2289
; %bb.241:
	s_or_saveexec_b64 s[6:7], s[6:7]
	v_mov_b32_e32 v2, s10
	s_xor_b64 exec, exec, s[6:7]
	s_cbranch_execnz .LBB35_2292
.LBB35_242:
	s_or_b64 exec, exec, s[6:7]
	s_and_saveexec_b64 s[6:7], s[4:5]
	s_cbranch_execz .LBB35_244
.LBB35_243:
	v_bfe_u32 v2, v9, 16, 3
	v_ffbh_u32_e32 v6, v2
	v_min_u32_e32 v6, 32, v6
	v_lshrrev_b32_e32 v3, 19, v9
	v_subrev_u32_e32 v7, 28, v6
	v_and_b32_e32 v3, 15, v3
	v_lshlrev_b32_sdwa v7, v7, v9 dst_sel:DWORD dst_unused:UNUSED_PAD src0_sel:DWORD src1_sel:WORD_1
	v_bfe_u32 v4, v9, 19, 4
	v_sub_u32_e32 v6, 29, v6
	v_and_b32_e32 v7, 7, v7
	v_cmp_eq_u16_e32 vcc, 0, v3
	v_cndmask_b32_e32 v2, v2, v7, vcc
	v_cndmask_b32_e32 v3, v4, v6, vcc
	v_lshlrev_b32_e32 v4, 8, v9
	v_mov_b32_e32 v6, 0x3b800000
	v_lshlrev_b32_e32 v2, 20, v2
	v_and_b32_e32 v4, 0x80000000, v4
	v_lshl_add_u32 v3, v3, 23, v6
	v_or3_b32 v2, v4, v3, v2
.LBB35_244:
	s_or_b64 exec, exec, s[6:7]
	s_movk_i32 s4, 0xff
	v_and_b32_sdwa v3, v5, s4 dst_sel:DWORD dst_unused:UNUSED_PAD src0_sel:WORD_1 src1_sel:DWORD
	s_movk_i32 s4, 0x7f
	v_cmp_lt_i16_e32 vcc, s4, v3
	s_mov_b64 s[4:5], 0
                                        ; implicit-def: $sgpr10
	s_and_saveexec_b64 s[6:7], vcc
	s_xor_b64 s[6:7], exec, s[6:7]
	s_cbranch_execnz .LBB35_2293
; %bb.245:
	s_or_saveexec_b64 s[6:7], s[6:7]
	v_mov_b32_e32 v4, s10
	s_xor_b64 exec, exec, s[6:7]
	s_cbranch_execnz .LBB35_2296
.LBB35_246:
	s_or_b64 exec, exec, s[6:7]
	s_and_saveexec_b64 s[6:7], s[4:5]
	s_cbranch_execz .LBB35_248
.LBB35_247:
	v_bfe_u32 v3, v5, 16, 3
	v_ffbh_u32_e32 v7, v3
	v_min_u32_e32 v7, 32, v7
	v_lshrrev_b32_e32 v4, 19, v5
	v_subrev_u32_e32 v8, 28, v7
	v_and_b32_e32 v4, 15, v4
	v_lshlrev_b32_sdwa v8, v8, v5 dst_sel:DWORD dst_unused:UNUSED_PAD src0_sel:DWORD src1_sel:WORD_1
	v_bfe_u32 v6, v5, 19, 4
	v_sub_u32_e32 v7, 29, v7
	v_and_b32_e32 v8, 7, v8
	v_cmp_eq_u16_e32 vcc, 0, v4
	v_cndmask_b32_e32 v3, v3, v8, vcc
	v_cndmask_b32_e32 v4, v6, v7, vcc
	v_lshlrev_b32_e32 v6, 8, v5
	v_mov_b32_e32 v7, 0x3b800000
	v_lshlrev_b32_e32 v3, 20, v3
	v_and_b32_e32 v6, 0x80000000, v6
	v_lshl_add_u32 v4, v4, 23, v7
	v_or3_b32 v4, v6, v4, v3
.LBB35_248:
	s_or_b64 exec, exec, s[6:7]
	s_nop 0
	v_mfma_f32_16x16x4f32 a[0:3], v2, v4, a[0:3]
	s_movk_i32 s4, 0x7f
	v_cmp_gt_i16_sdwa s[6:7], v9, s4 src0_sel:BYTE_3 src1_sel:DWORD
	s_mov_b64 s[4:5], 0
                                        ; implicit-def: $sgpr10
	s_and_saveexec_b64 s[8:9], s[6:7]
	s_xor_b64 s[6:7], exec, s[8:9]
	s_cbranch_execnz .LBB35_2297
; %bb.249:
	s_or_saveexec_b64 s[6:7], s[6:7]
	v_mov_b32_e32 v2, s10
	s_xor_b64 exec, exec, s[6:7]
	s_cbranch_execnz .LBB35_2300
.LBB35_250:
	s_or_b64 exec, exec, s[6:7]
	s_and_saveexec_b64 s[6:7], s[4:5]
	s_cbranch_execz .LBB35_252
.LBB35_251:
	v_bfe_u32 v2, v9, 24, 3
	v_ffbh_u32_e32 v7, v2
	v_min_u32_e32 v7, 32, v7
	v_lshrrev_b32_e32 v4, 27, v9
	v_subrev_u32_e32 v8, 28, v7
	v_and_b32_e32 v4, 15, v4
	v_lshlrev_b32_sdwa v8, v8, v9 dst_sel:DWORD dst_unused:UNUSED_PAD src0_sel:DWORD src1_sel:BYTE_3
	v_bfe_u32 v6, v9, 27, 4
	v_sub_u32_e32 v7, 29, v7
	v_and_b32_e32 v8, 7, v8
	v_cmp_eq_u16_e32 vcc, 0, v4
	v_cndmask_b32_e32 v2, v2, v8, vcc
	v_cndmask_b32_e32 v4, v6, v7, vcc
	v_mov_b32_e32 v6, 0x3b800000
	v_and_b32_e32 v3, 0x80000000, v9
	v_lshlrev_b32_e32 v2, 20, v2
	v_lshl_add_u32 v4, v4, 23, v6
	v_or3_b32 v2, v3, v4, v2
.LBB35_252:
	s_or_b64 exec, exec, s[6:7]
	s_movk_i32 s4, 0x7f
	v_cmp_gt_i16_sdwa s[6:7], v5, s4 src0_sel:BYTE_3 src1_sel:DWORD
	s_mov_b64 s[4:5], 0
                                        ; implicit-def: $sgpr10
	s_and_saveexec_b64 s[8:9], s[6:7]
	s_xor_b64 s[6:7], exec, s[8:9]
	s_cbranch_execnz .LBB35_2301
; %bb.253:
	s_or_saveexec_b64 s[6:7], s[6:7]
	v_mov_b32_e32 v3, s10
	s_xor_b64 exec, exec, s[6:7]
	s_cbranch_execnz .LBB35_2304
.LBB35_254:
	s_or_b64 exec, exec, s[6:7]
	s_and_saveexec_b64 s[6:7], s[4:5]
	s_cbranch_execz .LBB35_256
.LBB35_255:
	v_bfe_u32 v3, v5, 24, 3
	v_ffbh_u32_e32 v8, v3
	v_min_u32_e32 v8, 32, v8
	v_lshrrev_b32_e32 v6, 27, v5
	v_subrev_u32_e32 v9, 28, v8
	v_and_b32_e32 v4, 0x80000000, v5
	v_and_b32_e32 v6, 15, v6
	v_bfe_u32 v7, v5, 27, 4
	v_lshlrev_b32_sdwa v5, v9, v5 dst_sel:DWORD dst_unused:UNUSED_PAD src0_sel:DWORD src1_sel:BYTE_3
	v_sub_u32_e32 v8, 29, v8
	v_and_b32_e32 v5, 7, v5
	v_cmp_eq_u16_e32 vcc, 0, v6
	v_cndmask_b32_e32 v3, v3, v5, vcc
	v_cndmask_b32_e32 v5, v7, v8, vcc
	v_mov_b32_e32 v6, 0x3b800000
	v_lshlrev_b32_e32 v3, 20, v3
	v_lshl_add_u32 v5, v5, 23, v6
	v_or3_b32 v3, v4, v5, v3
.LBB35_256:
	s_or_b64 exec, exec, s[6:7]
	s_nop 0
	v_mfma_f32_16x16x4f32 a[0:3], v2, v3, a[0:3]
	s_movk_i32 s4, 0x7f
                                        ; implicit-def: $sgpr10
	s_nop 7
	s_nop 1
	flat_store_dwordx4 v[18:19], a[0:3] offset:896
	flat_load_dwordx4 v[20:23], v[0:1] offset:16
	s_nop 0
	flat_load_dwordx2 v[18:19], v[0:1] offset:32
	s_waitcnt vmcnt(0) lgkmcnt(0)
	flat_load_dwordx4 v[14:17], v[20:21] offset:32
	flat_load_dwordx4 v[10:13], v[22:23] offset:32
	;; [unrolled: 1-line block ×4, first 2 shown]
	s_waitcnt vmcnt(0) lgkmcnt(0)
	v_cmp_gt_i16_sdwa s[6:7], v14, s4 src0_sel:BYTE_0 src1_sel:DWORD
	s_mov_b64 s[4:5], 0
	s_and_saveexec_b64 s[8:9], s[6:7]
	s_xor_b64 s[6:7], exec, s[8:9]
	s_cbranch_execnz .LBB35_2305
; %bb.257:
	s_or_saveexec_b64 s[6:7], s[6:7]
	v_mov_b32_e32 v20, s10
	s_xor_b64 exec, exec, s[6:7]
	s_cbranch_execnz .LBB35_2308
.LBB35_258:
	s_or_b64 exec, exec, s[6:7]
	s_and_saveexec_b64 s[6:7], s[4:5]
	s_cbranch_execz .LBB35_260
.LBB35_259:
	v_and_b32_e32 v20, 7, v14
	v_ffbh_u32_e32 v22, v20
	v_min_u32_e32 v22, 32, v22
	v_lshrrev_b16_e32 v21, 3, v14
	v_subrev_u32_e32 v23, 28, v22
	v_and_b32_e32 v21, 15, v21
	v_lshlrev_b32_e32 v23, v23, v14
	v_sub_u32_e32 v22, 29, v22
	v_and_b32_e32 v23, 7, v23
	v_cmp_eq_u16_e32 vcc, 0, v21
	v_cndmask_b32_e32 v20, v20, v23, vcc
	v_cndmask_b32_e32 v21, v21, v22, vcc
	v_lshlrev_b32_e32 v22, 24, v14
	v_mov_b32_e32 v23, 0x3b800000
	v_lshlrev_b32_e32 v20, 20, v20
	v_and_b32_e32 v22, 0x80000000, v22
	v_lshl_add_u32 v21, v21, 23, v23
	v_or3_b32 v20, v22, v21, v20
.LBB35_260:
	s_or_b64 exec, exec, s[6:7]
	s_movk_i32 s4, 0x7f
	v_cmp_gt_i16_sdwa s[6:7], v10, s4 src0_sel:BYTE_0 src1_sel:DWORD
	s_mov_b64 s[4:5], 0
                                        ; implicit-def: $sgpr10
	s_and_saveexec_b64 s[8:9], s[6:7]
	s_xor_b64 s[6:7], exec, s[8:9]
	s_cbranch_execnz .LBB35_2309
; %bb.261:
	s_or_saveexec_b64 s[6:7], s[6:7]
	v_mov_b32_e32 v21, s10
	s_xor_b64 exec, exec, s[6:7]
	s_cbranch_execnz .LBB35_2312
.LBB35_262:
	s_or_b64 exec, exec, s[6:7]
	s_and_saveexec_b64 s[6:7], s[4:5]
	s_cbranch_execz .LBB35_264
.LBB35_263:
	v_and_b32_e32 v21, 7, v10
	v_ffbh_u32_e32 v23, v21
	v_min_u32_e32 v23, 32, v23
	v_lshrrev_b16_e32 v22, 3, v10
	v_subrev_u32_e32 v24, 28, v23
	v_and_b32_e32 v22, 15, v22
	v_lshlrev_b32_e32 v24, v24, v10
	v_sub_u32_e32 v23, 29, v23
	v_and_b32_e32 v24, 7, v24
	v_cmp_eq_u16_e32 vcc, 0, v22
	v_cndmask_b32_e32 v21, v21, v24, vcc
	v_cndmask_b32_e32 v22, v22, v23, vcc
	v_lshlrev_b32_e32 v23, 24, v10
	v_mov_b32_e32 v24, 0x3b800000
	v_lshlrev_b32_e32 v21, 20, v21
	v_and_b32_e32 v23, 0x80000000, v23
	v_lshl_add_u32 v22, v22, 23, v24
	v_or3_b32 v21, v23, v22, v21
.LBB35_264:
	s_or_b64 exec, exec, s[6:7]
	flat_load_dwordx4 a[0:3], v[18:19] offset:912
	s_movk_i32 s4, 0x7f
                                        ; implicit-def: $sgpr10
	s_waitcnt vmcnt(0) lgkmcnt(0)
	v_mfma_f32_16x16x4f32 a[0:3], v20, v21, a[0:3]
	v_lshrrev_b32_e32 v21, 8, v14
	v_cmp_gt_i16_sdwa s[6:7], v21, s4 src0_sel:BYTE_0 src1_sel:DWORD
	s_mov_b64 s[4:5], 0
	s_and_saveexec_b64 s[8:9], s[6:7]
	s_xor_b64 s[6:7], exec, s[8:9]
	s_cbranch_execnz .LBB35_2313
; %bb.265:
	s_or_saveexec_b64 s[6:7], s[6:7]
	v_mov_b32_e32 v20, s10
	s_xor_b64 exec, exec, s[6:7]
	s_cbranch_execnz .LBB35_2316
.LBB35_266:
	s_or_b64 exec, exec, s[6:7]
	s_and_saveexec_b64 s[6:7], s[4:5]
	s_cbranch_execz .LBB35_268
.LBB35_267:
	v_bfe_u32 v20, v14, 8, 3
	v_ffbh_u32_e32 v23, v20
	v_min_u32_e32 v23, 32, v23
	v_lshrrev_b16_e32 v22, 3, v21
	v_subrev_u32_e32 v24, 28, v23
	v_and_b32_e32 v22, 15, v22
	v_lshlrev_b32_e32 v21, v24, v21
	v_sub_u32_e32 v23, 29, v23
	v_and_b32_e32 v21, 7, v21
	v_cmp_eq_u16_e32 vcc, 0, v22
	v_cndmask_b32_e32 v20, v20, v21, vcc
	v_cndmask_b32_e32 v21, v22, v23, vcc
	v_lshlrev_b32_e32 v22, 16, v14
	v_mov_b32_e32 v23, 0x3b800000
	v_lshlrev_b32_e32 v20, 20, v20
	v_and_b32_e32 v22, 0x80000000, v22
	v_lshl_add_u32 v21, v21, 23, v23
	v_or3_b32 v20, v22, v21, v20
.LBB35_268:
	s_or_b64 exec, exec, s[6:7]
	v_lshrrev_b32_e32 v21, 8, v10
	s_movk_i32 s4, 0x7f
	v_cmp_gt_i16_sdwa s[6:7], v21, s4 src0_sel:BYTE_0 src1_sel:DWORD
	s_mov_b64 s[4:5], 0
                                        ; implicit-def: $sgpr10
	s_and_saveexec_b64 s[8:9], s[6:7]
	s_xor_b64 s[6:7], exec, s[8:9]
	s_cbranch_execnz .LBB35_2317
; %bb.269:
	s_or_saveexec_b64 s[6:7], s[6:7]
	v_mov_b32_e32 v22, s10
	s_xor_b64 exec, exec, s[6:7]
	s_cbranch_execnz .LBB35_2320
.LBB35_270:
	s_or_b64 exec, exec, s[6:7]
	s_and_saveexec_b64 s[6:7], s[4:5]
	s_cbranch_execz .LBB35_272
.LBB35_271:
	v_bfe_u32 v22, v10, 8, 3
	v_ffbh_u32_e32 v24, v22
	v_min_u32_e32 v24, 32, v24
	v_lshrrev_b16_e32 v23, 3, v21
	v_subrev_u32_e32 v25, 28, v24
	v_and_b32_e32 v23, 15, v23
	v_lshlrev_b32_e32 v21, v25, v21
	v_sub_u32_e32 v24, 29, v24
	v_and_b32_e32 v21, 7, v21
	v_cmp_eq_u16_e32 vcc, 0, v23
	v_cndmask_b32_e32 v21, v22, v21, vcc
	v_cndmask_b32_e32 v22, v23, v24, vcc
	v_lshlrev_b32_e32 v23, 16, v10
	v_mov_b32_e32 v24, 0x3b800000
	v_lshlrev_b32_e32 v21, 20, v21
	v_and_b32_e32 v23, 0x80000000, v23
	v_lshl_add_u32 v22, v22, 23, v24
	v_or3_b32 v22, v23, v22, v21
.LBB35_272:
	s_or_b64 exec, exec, s[6:7]
	s_nop 0
	v_mfma_f32_16x16x4f32 a[0:3], v20, v22, a[0:3]
	s_movk_i32 s4, 0xff
	v_and_b32_sdwa v21, v14, s4 dst_sel:DWORD dst_unused:UNUSED_PAD src0_sel:WORD_1 src1_sel:DWORD
	s_movk_i32 s4, 0x7f
	v_cmp_lt_i16_e32 vcc, s4, v21
	s_mov_b64 s[4:5], 0
                                        ; implicit-def: $sgpr10
	s_and_saveexec_b64 s[6:7], vcc
	s_xor_b64 s[6:7], exec, s[6:7]
	s_cbranch_execnz .LBB35_2321
; %bb.273:
	s_or_saveexec_b64 s[6:7], s[6:7]
	v_mov_b32_e32 v20, s10
	s_xor_b64 exec, exec, s[6:7]
	s_cbranch_execnz .LBB35_2324
.LBB35_274:
	s_or_b64 exec, exec, s[6:7]
	s_and_saveexec_b64 s[6:7], s[4:5]
	s_cbranch_execz .LBB35_276
.LBB35_275:
	v_bfe_u32 v20, v14, 16, 3
	v_ffbh_u32_e32 v23, v20
	v_min_u32_e32 v23, 32, v23
	v_lshrrev_b32_e32 v21, 19, v14
	v_subrev_u32_e32 v24, 28, v23
	v_and_b32_e32 v21, 15, v21
	v_lshlrev_b32_sdwa v24, v24, v14 dst_sel:DWORD dst_unused:UNUSED_PAD src0_sel:DWORD src1_sel:WORD_1
	v_bfe_u32 v22, v14, 19, 4
	v_sub_u32_e32 v23, 29, v23
	v_and_b32_e32 v24, 7, v24
	v_cmp_eq_u16_e32 vcc, 0, v21
	v_cndmask_b32_e32 v20, v20, v24, vcc
	v_cndmask_b32_e32 v21, v22, v23, vcc
	v_lshlrev_b32_e32 v22, 8, v14
	v_mov_b32_e32 v23, 0x3b800000
	v_lshlrev_b32_e32 v20, 20, v20
	v_and_b32_e32 v22, 0x80000000, v22
	v_lshl_add_u32 v21, v21, 23, v23
	v_or3_b32 v20, v22, v21, v20
.LBB35_276:
	s_or_b64 exec, exec, s[6:7]
	s_movk_i32 s4, 0xff
	v_and_b32_sdwa v21, v10, s4 dst_sel:DWORD dst_unused:UNUSED_PAD src0_sel:WORD_1 src1_sel:DWORD
	s_movk_i32 s4, 0x7f
	v_cmp_lt_i16_e32 vcc, s4, v21
	s_mov_b64 s[4:5], 0
                                        ; implicit-def: $sgpr10
	s_and_saveexec_b64 s[6:7], vcc
	s_xor_b64 s[6:7], exec, s[6:7]
	s_cbranch_execnz .LBB35_2325
; %bb.277:
	s_or_saveexec_b64 s[6:7], s[6:7]
	v_mov_b32_e32 v22, s10
	s_xor_b64 exec, exec, s[6:7]
	s_cbranch_execnz .LBB35_2328
.LBB35_278:
	s_or_b64 exec, exec, s[6:7]
	s_and_saveexec_b64 s[6:7], s[4:5]
	s_cbranch_execz .LBB35_280
.LBB35_279:
	v_bfe_u32 v21, v10, 16, 3
	v_ffbh_u32_e32 v24, v21
	v_min_u32_e32 v24, 32, v24
	v_lshrrev_b32_e32 v22, 19, v10
	v_subrev_u32_e32 v25, 28, v24
	v_and_b32_e32 v22, 15, v22
	v_lshlrev_b32_sdwa v25, v25, v10 dst_sel:DWORD dst_unused:UNUSED_PAD src0_sel:DWORD src1_sel:WORD_1
	v_bfe_u32 v23, v10, 19, 4
	v_sub_u32_e32 v24, 29, v24
	v_and_b32_e32 v25, 7, v25
	v_cmp_eq_u16_e32 vcc, 0, v22
	v_cndmask_b32_e32 v21, v21, v25, vcc
	v_cndmask_b32_e32 v22, v23, v24, vcc
	v_lshlrev_b32_e32 v23, 8, v10
	v_mov_b32_e32 v24, 0x3b800000
	v_lshlrev_b32_e32 v21, 20, v21
	v_and_b32_e32 v23, 0x80000000, v23
	v_lshl_add_u32 v22, v22, 23, v24
	v_or3_b32 v22, v23, v22, v21
.LBB35_280:
	s_or_b64 exec, exec, s[6:7]
	s_nop 0
	v_mfma_f32_16x16x4f32 a[0:3], v20, v22, a[0:3]
	s_movk_i32 s4, 0x7f
	v_cmp_gt_i16_sdwa s[6:7], v14, s4 src0_sel:BYTE_3 src1_sel:DWORD
	s_mov_b64 s[4:5], 0
                                        ; implicit-def: $sgpr10
	s_and_saveexec_b64 s[8:9], s[6:7]
	s_xor_b64 s[6:7], exec, s[8:9]
	s_cbranch_execnz .LBB35_2329
; %bb.281:
	s_or_saveexec_b64 s[6:7], s[6:7]
	v_mov_b32_e32 v20, s10
	s_xor_b64 exec, exec, s[6:7]
	s_cbranch_execnz .LBB35_2332
.LBB35_282:
	s_or_b64 exec, exec, s[6:7]
	s_and_saveexec_b64 s[6:7], s[4:5]
	s_cbranch_execz .LBB35_284
.LBB35_283:
	v_bfe_u32 v20, v14, 24, 3
	v_ffbh_u32_e32 v24, v20
	v_min_u32_e32 v24, 32, v24
	v_lshrrev_b32_e32 v22, 27, v14
	v_subrev_u32_e32 v25, 28, v24
	v_and_b32_e32 v21, 0x80000000, v14
	v_and_b32_e32 v22, 15, v22
	v_bfe_u32 v23, v14, 27, 4
	v_lshlrev_b32_sdwa v14, v25, v14 dst_sel:DWORD dst_unused:UNUSED_PAD src0_sel:DWORD src1_sel:BYTE_3
	v_sub_u32_e32 v24, 29, v24
	v_and_b32_e32 v14, 7, v14
	v_cmp_eq_u16_e32 vcc, 0, v22
	v_cndmask_b32_e32 v14, v20, v14, vcc
	v_cndmask_b32_e32 v20, v23, v24, vcc
	v_mov_b32_e32 v22, 0x3b800000
	v_lshlrev_b32_e32 v14, 20, v14
	v_lshl_add_u32 v20, v20, 23, v22
	v_or3_b32 v20, v21, v20, v14
.LBB35_284:
	s_or_b64 exec, exec, s[6:7]
	s_movk_i32 s4, 0x7f
	v_cmp_gt_i16_sdwa s[6:7], v10, s4 src0_sel:BYTE_3 src1_sel:DWORD
	s_mov_b64 s[4:5], 0
                                        ; implicit-def: $sgpr10
	s_and_saveexec_b64 s[8:9], s[6:7]
	s_xor_b64 s[6:7], exec, s[8:9]
	s_cbranch_execnz .LBB35_2333
; %bb.285:
	s_or_saveexec_b64 s[6:7], s[6:7]
	v_mov_b32_e32 v14, s10
	s_xor_b64 exec, exec, s[6:7]
	s_cbranch_execnz .LBB35_2336
.LBB35_286:
	s_or_b64 exec, exec, s[6:7]
	s_and_saveexec_b64 s[6:7], s[4:5]
	s_cbranch_execz .LBB35_288
.LBB35_287:
	v_bfe_u32 v14, v10, 24, 3
	v_ffbh_u32_e32 v24, v14
	v_min_u32_e32 v24, 32, v24
	v_lshrrev_b32_e32 v22, 27, v10
	v_subrev_u32_e32 v25, 28, v24
	v_and_b32_e32 v21, 0x80000000, v10
	v_and_b32_e32 v22, 15, v22
	v_bfe_u32 v23, v10, 27, 4
	v_lshlrev_b32_sdwa v10, v25, v10 dst_sel:DWORD dst_unused:UNUSED_PAD src0_sel:DWORD src1_sel:BYTE_3
	v_sub_u32_e32 v24, 29, v24
	v_and_b32_e32 v10, 7, v10
	v_cmp_eq_u16_e32 vcc, 0, v22
	v_cndmask_b32_e32 v10, v14, v10, vcc
	v_cndmask_b32_e32 v14, v23, v24, vcc
	v_mov_b32_e32 v22, 0x3b800000
	v_lshlrev_b32_e32 v10, 20, v10
	v_lshl_add_u32 v14, v14, 23, v22
	v_or3_b32 v14, v21, v14, v10
.LBB35_288:
	s_or_b64 exec, exec, s[6:7]
	s_nop 0
	v_mfma_f32_16x16x4f32 a[0:3], v20, v14, a[0:3]
	s_movk_i32 s4, 0x7f
	v_cmp_gt_i16_sdwa s[6:7], v15, s4 src0_sel:BYTE_0 src1_sel:DWORD
	s_mov_b64 s[4:5], 0
                                        ; implicit-def: $sgpr10
	s_and_saveexec_b64 s[8:9], s[6:7]
	s_xor_b64 s[6:7], exec, s[8:9]
	s_cbranch_execnz .LBB35_2337
; %bb.289:
	s_or_saveexec_b64 s[6:7], s[6:7]
	v_mov_b32_e32 v10, s10
	s_xor_b64 exec, exec, s[6:7]
	s_cbranch_execnz .LBB35_2340
.LBB35_290:
	s_or_b64 exec, exec, s[6:7]
	s_and_saveexec_b64 s[6:7], s[4:5]
	s_cbranch_execz .LBB35_292
.LBB35_291:
	v_and_b32_e32 v10, 7, v15
	v_ffbh_u32_e32 v20, v10
	v_min_u32_e32 v20, 32, v20
	v_lshrrev_b16_e32 v14, 3, v15
	v_subrev_u32_e32 v21, 28, v20
	v_and_b32_e32 v14, 15, v14
	v_lshlrev_b32_e32 v21, v21, v15
	v_sub_u32_e32 v20, 29, v20
	v_and_b32_e32 v21, 7, v21
	v_cmp_eq_u16_e32 vcc, 0, v14
	v_cndmask_b32_e32 v10, v10, v21, vcc
	v_cndmask_b32_e32 v14, v14, v20, vcc
	v_lshlrev_b32_e32 v20, 24, v15
	v_mov_b32_e32 v21, 0x3b800000
	v_lshlrev_b32_e32 v10, 20, v10
	v_and_b32_e32 v20, 0x80000000, v20
	v_lshl_add_u32 v14, v14, 23, v21
	v_or3_b32 v10, v20, v14, v10
.LBB35_292:
	s_or_b64 exec, exec, s[6:7]
	s_movk_i32 s4, 0x7f
	v_cmp_gt_i16_sdwa s[6:7], v11, s4 src0_sel:BYTE_0 src1_sel:DWORD
	s_mov_b64 s[4:5], 0
                                        ; implicit-def: $sgpr10
	s_and_saveexec_b64 s[8:9], s[6:7]
	s_xor_b64 s[6:7], exec, s[8:9]
	s_cbranch_execnz .LBB35_2341
; %bb.293:
	s_or_saveexec_b64 s[6:7], s[6:7]
	v_mov_b32_e32 v14, s10
	s_xor_b64 exec, exec, s[6:7]
	s_cbranch_execnz .LBB35_2344
.LBB35_294:
	s_or_b64 exec, exec, s[6:7]
	s_and_saveexec_b64 s[6:7], s[4:5]
	s_cbranch_execz .LBB35_296
.LBB35_295:
	v_and_b32_e32 v14, 7, v11
	v_ffbh_u32_e32 v21, v14
	v_min_u32_e32 v21, 32, v21
	v_lshrrev_b16_e32 v20, 3, v11
	v_subrev_u32_e32 v22, 28, v21
	v_and_b32_e32 v20, 15, v20
	v_lshlrev_b32_e32 v22, v22, v11
	v_sub_u32_e32 v21, 29, v21
	v_and_b32_e32 v22, 7, v22
	v_cmp_eq_u16_e32 vcc, 0, v20
	v_cndmask_b32_e32 v14, v14, v22, vcc
	v_cndmask_b32_e32 v20, v20, v21, vcc
	v_lshlrev_b32_e32 v21, 24, v11
	v_mov_b32_e32 v22, 0x3b800000
	v_lshlrev_b32_e32 v14, 20, v14
	v_and_b32_e32 v21, 0x80000000, v21
	v_lshl_add_u32 v20, v20, 23, v22
	v_or3_b32 v14, v21, v20, v14
.LBB35_296:
	s_or_b64 exec, exec, s[6:7]
	s_nop 0
	v_mfma_f32_16x16x4f32 a[0:3], v10, v14, a[0:3]
	v_lshrrev_b32_e32 v14, 8, v15
	s_movk_i32 s4, 0x7f
	v_cmp_gt_i16_sdwa s[6:7], v14, s4 src0_sel:BYTE_0 src1_sel:DWORD
	s_mov_b64 s[4:5], 0
                                        ; implicit-def: $sgpr10
	s_and_saveexec_b64 s[8:9], s[6:7]
	s_xor_b64 s[6:7], exec, s[8:9]
	s_cbranch_execnz .LBB35_2345
; %bb.297:
	s_or_saveexec_b64 s[6:7], s[6:7]
	v_mov_b32_e32 v10, s10
	s_xor_b64 exec, exec, s[6:7]
	s_cbranch_execnz .LBB35_2348
.LBB35_298:
	s_or_b64 exec, exec, s[6:7]
	s_and_saveexec_b64 s[6:7], s[4:5]
	s_cbranch_execz .LBB35_300
.LBB35_299:
	v_bfe_u32 v10, v15, 8, 3
	v_ffbh_u32_e32 v21, v10
	v_min_u32_e32 v21, 32, v21
	v_lshrrev_b16_e32 v20, 3, v14
	v_subrev_u32_e32 v22, 28, v21
	v_and_b32_e32 v20, 15, v20
	v_lshlrev_b32_e32 v14, v22, v14
	v_sub_u32_e32 v21, 29, v21
	v_and_b32_e32 v14, 7, v14
	v_cmp_eq_u16_e32 vcc, 0, v20
	v_cndmask_b32_e32 v10, v10, v14, vcc
	v_cndmask_b32_e32 v14, v20, v21, vcc
	v_lshlrev_b32_e32 v20, 16, v15
	v_mov_b32_e32 v21, 0x3b800000
	v_lshlrev_b32_e32 v10, 20, v10
	v_and_b32_e32 v20, 0x80000000, v20
	v_lshl_add_u32 v14, v14, 23, v21
	v_or3_b32 v10, v20, v14, v10
.LBB35_300:
	s_or_b64 exec, exec, s[6:7]
	v_lshrrev_b32_e32 v14, 8, v11
	s_movk_i32 s4, 0x7f
	v_cmp_gt_i16_sdwa s[6:7], v14, s4 src0_sel:BYTE_0 src1_sel:DWORD
	s_mov_b64 s[4:5], 0
                                        ; implicit-def: $sgpr10
	s_and_saveexec_b64 s[8:9], s[6:7]
	s_xor_b64 s[6:7], exec, s[8:9]
	s_cbranch_execnz .LBB35_2349
; %bb.301:
	s_or_saveexec_b64 s[6:7], s[6:7]
	v_mov_b32_e32 v20, s10
	s_xor_b64 exec, exec, s[6:7]
	s_cbranch_execnz .LBB35_2352
.LBB35_302:
	s_or_b64 exec, exec, s[6:7]
	s_and_saveexec_b64 s[6:7], s[4:5]
	s_cbranch_execz .LBB35_304
.LBB35_303:
	v_bfe_u32 v20, v11, 8, 3
	v_ffbh_u32_e32 v22, v20
	v_min_u32_e32 v22, 32, v22
	v_lshrrev_b16_e32 v21, 3, v14
	v_subrev_u32_e32 v23, 28, v22
	v_and_b32_e32 v21, 15, v21
	v_lshlrev_b32_e32 v14, v23, v14
	v_sub_u32_e32 v22, 29, v22
	v_and_b32_e32 v14, 7, v14
	v_cmp_eq_u16_e32 vcc, 0, v21
	v_cndmask_b32_e32 v14, v20, v14, vcc
	v_cndmask_b32_e32 v20, v21, v22, vcc
	v_lshlrev_b32_e32 v21, 16, v11
	v_mov_b32_e32 v22, 0x3b800000
	v_lshlrev_b32_e32 v14, 20, v14
	v_and_b32_e32 v21, 0x80000000, v21
	v_lshl_add_u32 v20, v20, 23, v22
	v_or3_b32 v20, v21, v20, v14
.LBB35_304:
	s_or_b64 exec, exec, s[6:7]
	s_nop 0
	v_mfma_f32_16x16x4f32 a[0:3], v10, v20, a[0:3]
	s_movk_i32 s4, 0xff
	v_and_b32_sdwa v14, v15, s4 dst_sel:DWORD dst_unused:UNUSED_PAD src0_sel:WORD_1 src1_sel:DWORD
	s_movk_i32 s4, 0x7f
	v_cmp_lt_i16_e32 vcc, s4, v14
	s_mov_b64 s[4:5], 0
                                        ; implicit-def: $sgpr10
	s_and_saveexec_b64 s[6:7], vcc
	s_xor_b64 s[6:7], exec, s[6:7]
	s_cbranch_execnz .LBB35_2353
; %bb.305:
	s_or_saveexec_b64 s[6:7], s[6:7]
	v_mov_b32_e32 v10, s10
	s_xor_b64 exec, exec, s[6:7]
	s_cbranch_execnz .LBB35_2356
.LBB35_306:
	s_or_b64 exec, exec, s[6:7]
	s_and_saveexec_b64 s[6:7], s[4:5]
	s_cbranch_execz .LBB35_308
.LBB35_307:
	v_bfe_u32 v10, v15, 16, 3
	v_ffbh_u32_e32 v21, v10
	v_min_u32_e32 v21, 32, v21
	v_lshrrev_b32_e32 v14, 19, v15
	v_subrev_u32_e32 v22, 28, v21
	v_and_b32_e32 v14, 15, v14
	v_lshlrev_b32_sdwa v22, v22, v15 dst_sel:DWORD dst_unused:UNUSED_PAD src0_sel:DWORD src1_sel:WORD_1
	v_bfe_u32 v20, v15, 19, 4
	v_sub_u32_e32 v21, 29, v21
	v_and_b32_e32 v22, 7, v22
	v_cmp_eq_u16_e32 vcc, 0, v14
	v_cndmask_b32_e32 v10, v10, v22, vcc
	v_cndmask_b32_e32 v14, v20, v21, vcc
	v_lshlrev_b32_e32 v20, 8, v15
	v_mov_b32_e32 v21, 0x3b800000
	v_lshlrev_b32_e32 v10, 20, v10
	v_and_b32_e32 v20, 0x80000000, v20
	v_lshl_add_u32 v14, v14, 23, v21
	v_or3_b32 v10, v20, v14, v10
.LBB35_308:
	s_or_b64 exec, exec, s[6:7]
	s_movk_i32 s4, 0xff
	v_and_b32_sdwa v14, v11, s4 dst_sel:DWORD dst_unused:UNUSED_PAD src0_sel:WORD_1 src1_sel:DWORD
	s_movk_i32 s4, 0x7f
	v_cmp_lt_i16_e32 vcc, s4, v14
	s_mov_b64 s[4:5], 0
                                        ; implicit-def: $sgpr10
	s_and_saveexec_b64 s[6:7], vcc
	s_xor_b64 s[6:7], exec, s[6:7]
	s_cbranch_execnz .LBB35_2357
; %bb.309:
	s_or_saveexec_b64 s[6:7], s[6:7]
	v_mov_b32_e32 v20, s10
	s_xor_b64 exec, exec, s[6:7]
	s_cbranch_execnz .LBB35_2360
.LBB35_310:
	s_or_b64 exec, exec, s[6:7]
	s_and_saveexec_b64 s[6:7], s[4:5]
	s_cbranch_execz .LBB35_312
.LBB35_311:
	v_bfe_u32 v14, v11, 16, 3
	v_ffbh_u32_e32 v22, v14
	v_min_u32_e32 v22, 32, v22
	v_lshrrev_b32_e32 v20, 19, v11
	v_subrev_u32_e32 v23, 28, v22
	v_and_b32_e32 v20, 15, v20
	v_lshlrev_b32_sdwa v23, v23, v11 dst_sel:DWORD dst_unused:UNUSED_PAD src0_sel:DWORD src1_sel:WORD_1
	v_bfe_u32 v21, v11, 19, 4
	v_sub_u32_e32 v22, 29, v22
	v_and_b32_e32 v23, 7, v23
	v_cmp_eq_u16_e32 vcc, 0, v20
	v_cndmask_b32_e32 v14, v14, v23, vcc
	v_cndmask_b32_e32 v20, v21, v22, vcc
	v_lshlrev_b32_e32 v21, 8, v11
	v_mov_b32_e32 v22, 0x3b800000
	v_lshlrev_b32_e32 v14, 20, v14
	v_and_b32_e32 v21, 0x80000000, v21
	v_lshl_add_u32 v20, v20, 23, v22
	v_or3_b32 v20, v21, v20, v14
.LBB35_312:
	s_or_b64 exec, exec, s[6:7]
	s_nop 0
	v_mfma_f32_16x16x4f32 a[0:3], v10, v20, a[0:3]
	s_movk_i32 s4, 0x7f
	v_cmp_gt_i16_sdwa s[6:7], v15, s4 src0_sel:BYTE_3 src1_sel:DWORD
	s_mov_b64 s[4:5], 0
                                        ; implicit-def: $sgpr10
	s_and_saveexec_b64 s[8:9], s[6:7]
	s_xor_b64 s[6:7], exec, s[8:9]
	s_cbranch_execnz .LBB35_2361
; %bb.313:
	s_or_saveexec_b64 s[6:7], s[6:7]
	v_mov_b32_e32 v10, s10
	s_xor_b64 exec, exec, s[6:7]
	s_cbranch_execnz .LBB35_2364
.LBB35_314:
	s_or_b64 exec, exec, s[6:7]
	s_and_saveexec_b64 s[6:7], s[4:5]
	s_cbranch_execz .LBB35_316
.LBB35_315:
	v_bfe_u32 v10, v15, 24, 3
	v_ffbh_u32_e32 v22, v10
	v_min_u32_e32 v22, 32, v22
	v_lshrrev_b32_e32 v20, 27, v15
	v_subrev_u32_e32 v23, 28, v22
	v_and_b32_e32 v14, 0x80000000, v15
	v_and_b32_e32 v20, 15, v20
	v_bfe_u32 v21, v15, 27, 4
	v_lshlrev_b32_sdwa v15, v23, v15 dst_sel:DWORD dst_unused:UNUSED_PAD src0_sel:DWORD src1_sel:BYTE_3
	v_sub_u32_e32 v22, 29, v22
	v_and_b32_e32 v15, 7, v15
	v_cmp_eq_u16_e32 vcc, 0, v20
	v_cndmask_b32_e32 v10, v10, v15, vcc
	v_cndmask_b32_e32 v15, v21, v22, vcc
	v_mov_b32_e32 v20, 0x3b800000
	v_lshlrev_b32_e32 v10, 20, v10
	v_lshl_add_u32 v15, v15, 23, v20
	v_or3_b32 v10, v14, v15, v10
.LBB35_316:
	s_or_b64 exec, exec, s[6:7]
	s_movk_i32 s4, 0x7f
	v_cmp_gt_i16_sdwa s[6:7], v11, s4 src0_sel:BYTE_3 src1_sel:DWORD
	s_mov_b64 s[4:5], 0
                                        ; implicit-def: $sgpr10
	s_and_saveexec_b64 s[8:9], s[6:7]
	s_xor_b64 s[6:7], exec, s[8:9]
	s_cbranch_execnz .LBB35_2365
; %bb.317:
	s_or_saveexec_b64 s[6:7], s[6:7]
	v_mov_b32_e32 v14, s10
	s_xor_b64 exec, exec, s[6:7]
	s_cbranch_execnz .LBB35_2368
.LBB35_318:
	s_or_b64 exec, exec, s[6:7]
	s_and_saveexec_b64 s[6:7], s[4:5]
	s_cbranch_execz .LBB35_320
.LBB35_319:
	v_bfe_u32 v14, v11, 24, 3
	v_ffbh_u32_e32 v22, v14
	v_min_u32_e32 v22, 32, v22
	v_lshrrev_b32_e32 v20, 27, v11
	v_subrev_u32_e32 v23, 28, v22
	v_and_b32_e32 v15, 0x80000000, v11
	v_and_b32_e32 v20, 15, v20
	v_bfe_u32 v21, v11, 27, 4
	v_lshlrev_b32_sdwa v11, v23, v11 dst_sel:DWORD dst_unused:UNUSED_PAD src0_sel:DWORD src1_sel:BYTE_3
	v_sub_u32_e32 v22, 29, v22
	v_and_b32_e32 v11, 7, v11
	v_cmp_eq_u16_e32 vcc, 0, v20
	v_cndmask_b32_e32 v11, v14, v11, vcc
	v_cndmask_b32_e32 v14, v21, v22, vcc
	v_mov_b32_e32 v20, 0x3b800000
	v_lshlrev_b32_e32 v11, 20, v11
	v_lshl_add_u32 v14, v14, 23, v20
	v_or3_b32 v14, v15, v14, v11
.LBB35_320:
	s_or_b64 exec, exec, s[6:7]
	s_nop 0
	v_mfma_f32_16x16x4f32 a[0:3], v10, v14, a[0:3]
	s_movk_i32 s4, 0x7f
	v_cmp_gt_i16_sdwa s[6:7], v16, s4 src0_sel:BYTE_0 src1_sel:DWORD
	s_mov_b64 s[4:5], 0
                                        ; implicit-def: $sgpr10
	s_and_saveexec_b64 s[8:9], s[6:7]
	s_xor_b64 s[6:7], exec, s[8:9]
	s_cbranch_execnz .LBB35_2369
; %bb.321:
	s_or_saveexec_b64 s[6:7], s[6:7]
	v_mov_b32_e32 v10, s10
	s_xor_b64 exec, exec, s[6:7]
	s_cbranch_execnz .LBB35_2372
.LBB35_322:
	s_or_b64 exec, exec, s[6:7]
	s_and_saveexec_b64 s[6:7], s[4:5]
	s_cbranch_execz .LBB35_324
.LBB35_323:
	v_and_b32_e32 v10, 7, v16
	v_ffbh_u32_e32 v14, v10
	v_min_u32_e32 v14, 32, v14
	v_lshrrev_b16_e32 v11, 3, v16
	v_subrev_u32_e32 v15, 28, v14
	v_and_b32_e32 v11, 15, v11
	v_lshlrev_b32_e32 v15, v15, v16
	v_sub_u32_e32 v14, 29, v14
	v_and_b32_e32 v15, 7, v15
	v_cmp_eq_u16_e32 vcc, 0, v11
	v_cndmask_b32_e32 v10, v10, v15, vcc
	v_cndmask_b32_e32 v11, v11, v14, vcc
	v_lshlrev_b32_e32 v14, 24, v16
	v_mov_b32_e32 v15, 0x3b800000
	v_lshlrev_b32_e32 v10, 20, v10
	v_and_b32_e32 v14, 0x80000000, v14
	v_lshl_add_u32 v11, v11, 23, v15
	v_or3_b32 v10, v14, v11, v10
.LBB35_324:
	s_or_b64 exec, exec, s[6:7]
	s_movk_i32 s4, 0x7f
	v_cmp_gt_i16_sdwa s[6:7], v12, s4 src0_sel:BYTE_0 src1_sel:DWORD
	s_mov_b64 s[4:5], 0
                                        ; implicit-def: $sgpr10
	s_and_saveexec_b64 s[8:9], s[6:7]
	s_xor_b64 s[6:7], exec, s[8:9]
	s_cbranch_execnz .LBB35_2373
; %bb.325:
	s_or_saveexec_b64 s[6:7], s[6:7]
	v_mov_b32_e32 v11, s10
	s_xor_b64 exec, exec, s[6:7]
	s_cbranch_execnz .LBB35_2376
.LBB35_326:
	s_or_b64 exec, exec, s[6:7]
	s_and_saveexec_b64 s[6:7], s[4:5]
	s_cbranch_execz .LBB35_328
.LBB35_327:
	v_and_b32_e32 v11, 7, v12
	v_ffbh_u32_e32 v15, v11
	v_min_u32_e32 v15, 32, v15
	v_lshrrev_b16_e32 v14, 3, v12
	v_subrev_u32_e32 v20, 28, v15
	v_and_b32_e32 v14, 15, v14
	v_lshlrev_b32_e32 v20, v20, v12
	v_sub_u32_e32 v15, 29, v15
	v_and_b32_e32 v20, 7, v20
	v_cmp_eq_u16_e32 vcc, 0, v14
	v_cndmask_b32_e32 v11, v11, v20, vcc
	v_cndmask_b32_e32 v14, v14, v15, vcc
	v_lshlrev_b32_e32 v15, 24, v12
	v_mov_b32_e32 v20, 0x3b800000
	v_lshlrev_b32_e32 v11, 20, v11
	v_and_b32_e32 v15, 0x80000000, v15
	v_lshl_add_u32 v14, v14, 23, v20
	v_or3_b32 v11, v15, v14, v11
.LBB35_328:
	s_or_b64 exec, exec, s[6:7]
	s_nop 0
	v_mfma_f32_16x16x4f32 a[0:3], v10, v11, a[0:3]
	v_lshrrev_b32_e32 v11, 8, v16
	s_movk_i32 s4, 0x7f
	v_cmp_gt_i16_sdwa s[6:7], v11, s4 src0_sel:BYTE_0 src1_sel:DWORD
	s_mov_b64 s[4:5], 0
                                        ; implicit-def: $sgpr10
	s_and_saveexec_b64 s[8:9], s[6:7]
	s_xor_b64 s[6:7], exec, s[8:9]
	s_cbranch_execnz .LBB35_2377
; %bb.329:
	s_or_saveexec_b64 s[6:7], s[6:7]
	v_mov_b32_e32 v10, s10
	s_xor_b64 exec, exec, s[6:7]
	s_cbranch_execnz .LBB35_2380
.LBB35_330:
	s_or_b64 exec, exec, s[6:7]
	s_and_saveexec_b64 s[6:7], s[4:5]
	s_cbranch_execz .LBB35_332
.LBB35_331:
	v_bfe_u32 v10, v16, 8, 3
	v_ffbh_u32_e32 v15, v10
	v_min_u32_e32 v15, 32, v15
	v_lshrrev_b16_e32 v14, 3, v11
	v_subrev_u32_e32 v20, 28, v15
	v_and_b32_e32 v14, 15, v14
	v_lshlrev_b32_e32 v11, v20, v11
	v_sub_u32_e32 v15, 29, v15
	v_and_b32_e32 v11, 7, v11
	v_cmp_eq_u16_e32 vcc, 0, v14
	v_cndmask_b32_e32 v10, v10, v11, vcc
	v_cndmask_b32_e32 v11, v14, v15, vcc
	v_lshlrev_b32_e32 v14, 16, v16
	v_mov_b32_e32 v15, 0x3b800000
	v_lshlrev_b32_e32 v10, 20, v10
	v_and_b32_e32 v14, 0x80000000, v14
	v_lshl_add_u32 v11, v11, 23, v15
	v_or3_b32 v10, v14, v11, v10
.LBB35_332:
	s_or_b64 exec, exec, s[6:7]
	v_lshrrev_b32_e32 v11, 8, v12
	s_movk_i32 s4, 0x7f
	v_cmp_gt_i16_sdwa s[6:7], v11, s4 src0_sel:BYTE_0 src1_sel:DWORD
	s_mov_b64 s[4:5], 0
                                        ; implicit-def: $sgpr10
	s_and_saveexec_b64 s[8:9], s[6:7]
	s_xor_b64 s[6:7], exec, s[8:9]
	s_cbranch_execnz .LBB35_2381
; %bb.333:
	s_or_saveexec_b64 s[6:7], s[6:7]
	v_mov_b32_e32 v14, s10
	s_xor_b64 exec, exec, s[6:7]
	s_cbranch_execnz .LBB35_2384
.LBB35_334:
	s_or_b64 exec, exec, s[6:7]
	s_and_saveexec_b64 s[6:7], s[4:5]
	s_cbranch_execz .LBB35_336
.LBB35_335:
	v_bfe_u32 v14, v12, 8, 3
	v_ffbh_u32_e32 v20, v14
	v_min_u32_e32 v20, 32, v20
	v_lshrrev_b16_e32 v15, 3, v11
	v_subrev_u32_e32 v21, 28, v20
	v_and_b32_e32 v15, 15, v15
	v_lshlrev_b32_e32 v11, v21, v11
	v_sub_u32_e32 v20, 29, v20
	v_and_b32_e32 v11, 7, v11
	v_cmp_eq_u16_e32 vcc, 0, v15
	v_cndmask_b32_e32 v11, v14, v11, vcc
	v_cndmask_b32_e32 v14, v15, v20, vcc
	v_lshlrev_b32_e32 v15, 16, v12
	v_mov_b32_e32 v20, 0x3b800000
	v_lshlrev_b32_e32 v11, 20, v11
	v_and_b32_e32 v15, 0x80000000, v15
	v_lshl_add_u32 v14, v14, 23, v20
	v_or3_b32 v14, v15, v14, v11
.LBB35_336:
	s_or_b64 exec, exec, s[6:7]
	s_nop 0
	v_mfma_f32_16x16x4f32 a[0:3], v10, v14, a[0:3]
	s_movk_i32 s4, 0xff
	v_and_b32_sdwa v11, v16, s4 dst_sel:DWORD dst_unused:UNUSED_PAD src0_sel:WORD_1 src1_sel:DWORD
	s_movk_i32 s4, 0x7f
	v_cmp_lt_i16_e32 vcc, s4, v11
	s_mov_b64 s[4:5], 0
                                        ; implicit-def: $sgpr10
	s_and_saveexec_b64 s[6:7], vcc
	s_xor_b64 s[6:7], exec, s[6:7]
	s_cbranch_execnz .LBB35_2385
; %bb.337:
	s_or_saveexec_b64 s[6:7], s[6:7]
	v_mov_b32_e32 v10, s10
	s_xor_b64 exec, exec, s[6:7]
	s_cbranch_execnz .LBB35_2388
.LBB35_338:
	s_or_b64 exec, exec, s[6:7]
	s_and_saveexec_b64 s[6:7], s[4:5]
	s_cbranch_execz .LBB35_340
.LBB35_339:
	v_bfe_u32 v10, v16, 16, 3
	v_ffbh_u32_e32 v15, v10
	v_min_u32_e32 v15, 32, v15
	v_lshrrev_b32_e32 v11, 19, v16
	v_subrev_u32_e32 v20, 28, v15
	v_and_b32_e32 v11, 15, v11
	v_lshlrev_b32_sdwa v20, v20, v16 dst_sel:DWORD dst_unused:UNUSED_PAD src0_sel:DWORD src1_sel:WORD_1
	v_bfe_u32 v14, v16, 19, 4
	v_sub_u32_e32 v15, 29, v15
	v_and_b32_e32 v20, 7, v20
	v_cmp_eq_u16_e32 vcc, 0, v11
	v_cndmask_b32_e32 v10, v10, v20, vcc
	v_cndmask_b32_e32 v11, v14, v15, vcc
	v_lshlrev_b32_e32 v14, 8, v16
	v_mov_b32_e32 v15, 0x3b800000
	v_lshlrev_b32_e32 v10, 20, v10
	v_and_b32_e32 v14, 0x80000000, v14
	v_lshl_add_u32 v11, v11, 23, v15
	v_or3_b32 v10, v14, v11, v10
.LBB35_340:
	s_or_b64 exec, exec, s[6:7]
	s_movk_i32 s4, 0xff
	v_and_b32_sdwa v11, v12, s4 dst_sel:DWORD dst_unused:UNUSED_PAD src0_sel:WORD_1 src1_sel:DWORD
	s_movk_i32 s4, 0x7f
	v_cmp_lt_i16_e32 vcc, s4, v11
	s_mov_b64 s[4:5], 0
                                        ; implicit-def: $sgpr10
	s_and_saveexec_b64 s[6:7], vcc
	s_xor_b64 s[6:7], exec, s[6:7]
	s_cbranch_execnz .LBB35_2389
; %bb.341:
	s_or_saveexec_b64 s[6:7], s[6:7]
	v_mov_b32_e32 v14, s10
	s_xor_b64 exec, exec, s[6:7]
	s_cbranch_execnz .LBB35_2392
.LBB35_342:
	s_or_b64 exec, exec, s[6:7]
	s_and_saveexec_b64 s[6:7], s[4:5]
	s_cbranch_execz .LBB35_344
.LBB35_343:
	v_bfe_u32 v11, v12, 16, 3
	v_ffbh_u32_e32 v20, v11
	v_min_u32_e32 v20, 32, v20
	v_lshrrev_b32_e32 v14, 19, v12
	v_subrev_u32_e32 v21, 28, v20
	v_and_b32_e32 v14, 15, v14
	v_lshlrev_b32_sdwa v21, v21, v12 dst_sel:DWORD dst_unused:UNUSED_PAD src0_sel:DWORD src1_sel:WORD_1
	v_bfe_u32 v15, v12, 19, 4
	v_sub_u32_e32 v20, 29, v20
	v_and_b32_e32 v21, 7, v21
	v_cmp_eq_u16_e32 vcc, 0, v14
	v_cndmask_b32_e32 v11, v11, v21, vcc
	v_cndmask_b32_e32 v14, v15, v20, vcc
	v_lshlrev_b32_e32 v15, 8, v12
	v_mov_b32_e32 v20, 0x3b800000
	v_lshlrev_b32_e32 v11, 20, v11
	v_and_b32_e32 v15, 0x80000000, v15
	v_lshl_add_u32 v14, v14, 23, v20
	v_or3_b32 v14, v15, v14, v11
.LBB35_344:
	s_or_b64 exec, exec, s[6:7]
	s_nop 0
	v_mfma_f32_16x16x4f32 a[0:3], v10, v14, a[0:3]
	s_movk_i32 s4, 0x7f
	v_cmp_gt_i16_sdwa s[6:7], v16, s4 src0_sel:BYTE_3 src1_sel:DWORD
	s_mov_b64 s[4:5], 0
                                        ; implicit-def: $sgpr10
	s_and_saveexec_b64 s[8:9], s[6:7]
	s_xor_b64 s[6:7], exec, s[8:9]
	s_cbranch_execnz .LBB35_2393
; %bb.345:
	s_or_saveexec_b64 s[6:7], s[6:7]
	v_mov_b32_e32 v10, s10
	s_xor_b64 exec, exec, s[6:7]
	s_cbranch_execnz .LBB35_2396
.LBB35_346:
	s_or_b64 exec, exec, s[6:7]
	s_and_saveexec_b64 s[6:7], s[4:5]
	s_cbranch_execz .LBB35_348
.LBB35_347:
	v_bfe_u32 v10, v16, 24, 3
	v_ffbh_u32_e32 v20, v10
	v_min_u32_e32 v20, 32, v20
	v_lshrrev_b32_e32 v14, 27, v16
	v_subrev_u32_e32 v21, 28, v20
	v_and_b32_e32 v11, 0x80000000, v16
	v_and_b32_e32 v14, 15, v14
	v_bfe_u32 v15, v16, 27, 4
	v_lshlrev_b32_sdwa v16, v21, v16 dst_sel:DWORD dst_unused:UNUSED_PAD src0_sel:DWORD src1_sel:BYTE_3
	v_sub_u32_e32 v20, 29, v20
	v_and_b32_e32 v16, 7, v16
	v_cmp_eq_u16_e32 vcc, 0, v14
	v_cndmask_b32_e32 v10, v10, v16, vcc
	v_cndmask_b32_e32 v14, v15, v20, vcc
	v_mov_b32_e32 v15, 0x3b800000
	v_lshlrev_b32_e32 v10, 20, v10
	v_lshl_add_u32 v14, v14, 23, v15
	v_or3_b32 v10, v11, v14, v10
.LBB35_348:
	s_or_b64 exec, exec, s[6:7]
	s_movk_i32 s4, 0x7f
	v_cmp_gt_i16_sdwa s[6:7], v12, s4 src0_sel:BYTE_3 src1_sel:DWORD
	s_mov_b64 s[4:5], 0
                                        ; implicit-def: $sgpr10
	s_and_saveexec_b64 s[8:9], s[6:7]
	s_xor_b64 s[6:7], exec, s[8:9]
	s_cbranch_execnz .LBB35_2397
; %bb.349:
	s_or_saveexec_b64 s[6:7], s[6:7]
	v_mov_b32_e32 v11, s10
	s_xor_b64 exec, exec, s[6:7]
	s_cbranch_execnz .LBB35_2400
.LBB35_350:
	s_or_b64 exec, exec, s[6:7]
	s_and_saveexec_b64 s[6:7], s[4:5]
	s_cbranch_execz .LBB35_352
.LBB35_351:
	v_bfe_u32 v11, v12, 24, 3
	v_ffbh_u32_e32 v20, v11
	v_min_u32_e32 v20, 32, v20
	v_lshrrev_b32_e32 v15, 27, v12
	v_subrev_u32_e32 v21, 28, v20
	v_and_b32_e32 v14, 0x80000000, v12
	v_and_b32_e32 v15, 15, v15
	v_bfe_u32 v16, v12, 27, 4
	v_lshlrev_b32_sdwa v12, v21, v12 dst_sel:DWORD dst_unused:UNUSED_PAD src0_sel:DWORD src1_sel:BYTE_3
	v_sub_u32_e32 v20, 29, v20
	v_and_b32_e32 v12, 7, v12
	v_cmp_eq_u16_e32 vcc, 0, v15
	v_cndmask_b32_e32 v11, v11, v12, vcc
	v_cndmask_b32_e32 v12, v16, v20, vcc
	v_mov_b32_e32 v15, 0x3b800000
	v_lshlrev_b32_e32 v11, 20, v11
	v_lshl_add_u32 v12, v12, 23, v15
	v_or3_b32 v11, v14, v12, v11
.LBB35_352:
	s_or_b64 exec, exec, s[6:7]
	s_nop 0
	v_mfma_f32_16x16x4f32 a[0:3], v10, v11, a[0:3]
	s_movk_i32 s4, 0x7f
	v_cmp_gt_i16_sdwa s[6:7], v17, s4 src0_sel:BYTE_0 src1_sel:DWORD
	s_mov_b64 s[4:5], 0
                                        ; implicit-def: $sgpr10
	s_and_saveexec_b64 s[8:9], s[6:7]
	s_xor_b64 s[6:7], exec, s[8:9]
	s_cbranch_execnz .LBB35_2401
; %bb.353:
	s_or_saveexec_b64 s[6:7], s[6:7]
	v_mov_b32_e32 v10, s10
	s_xor_b64 exec, exec, s[6:7]
	s_cbranch_execnz .LBB35_2404
.LBB35_354:
	s_or_b64 exec, exec, s[6:7]
	s_and_saveexec_b64 s[6:7], s[4:5]
	s_cbranch_execz .LBB35_356
.LBB35_355:
	v_and_b32_e32 v10, 7, v17
	v_ffbh_u32_e32 v12, v10
	v_min_u32_e32 v12, 32, v12
	v_lshrrev_b16_e32 v11, 3, v17
	v_subrev_u32_e32 v14, 28, v12
	v_and_b32_e32 v11, 15, v11
	v_lshlrev_b32_e32 v14, v14, v17
	v_sub_u32_e32 v12, 29, v12
	v_and_b32_e32 v14, 7, v14
	v_cmp_eq_u16_e32 vcc, 0, v11
	v_cndmask_b32_e32 v10, v10, v14, vcc
	v_cndmask_b32_e32 v11, v11, v12, vcc
	v_lshlrev_b32_e32 v12, 24, v17
	v_mov_b32_e32 v14, 0x3b800000
	v_lshlrev_b32_e32 v10, 20, v10
	v_and_b32_e32 v12, 0x80000000, v12
	v_lshl_add_u32 v11, v11, 23, v14
	v_or3_b32 v10, v12, v11, v10
.LBB35_356:
	s_or_b64 exec, exec, s[6:7]
	s_movk_i32 s4, 0x7f
	v_cmp_gt_i16_sdwa s[6:7], v13, s4 src0_sel:BYTE_0 src1_sel:DWORD
	s_mov_b64 s[4:5], 0
                                        ; implicit-def: $sgpr10
	s_and_saveexec_b64 s[8:9], s[6:7]
	s_xor_b64 s[6:7], exec, s[8:9]
	s_cbranch_execnz .LBB35_2405
; %bb.357:
	s_or_saveexec_b64 s[6:7], s[6:7]
	v_mov_b32_e32 v11, s10
	s_xor_b64 exec, exec, s[6:7]
	s_cbranch_execnz .LBB35_2408
.LBB35_358:
	s_or_b64 exec, exec, s[6:7]
	s_and_saveexec_b64 s[6:7], s[4:5]
	s_cbranch_execz .LBB35_360
.LBB35_359:
	v_and_b32_e32 v11, 7, v13
	v_ffbh_u32_e32 v14, v11
	v_min_u32_e32 v14, 32, v14
	v_lshrrev_b16_e32 v12, 3, v13
	v_subrev_u32_e32 v15, 28, v14
	v_and_b32_e32 v12, 15, v12
	v_lshlrev_b32_e32 v15, v15, v13
	v_sub_u32_e32 v14, 29, v14
	v_and_b32_e32 v15, 7, v15
	v_cmp_eq_u16_e32 vcc, 0, v12
	v_cndmask_b32_e32 v11, v11, v15, vcc
	v_cndmask_b32_e32 v12, v12, v14, vcc
	v_lshlrev_b32_e32 v14, 24, v13
	v_mov_b32_e32 v15, 0x3b800000
	v_lshlrev_b32_e32 v11, 20, v11
	v_and_b32_e32 v14, 0x80000000, v14
	v_lshl_add_u32 v12, v12, 23, v15
	v_or3_b32 v11, v14, v12, v11
.LBB35_360:
	s_or_b64 exec, exec, s[6:7]
	s_nop 0
	v_mfma_f32_16x16x4f32 a[0:3], v10, v11, a[0:3]
	v_lshrrev_b32_e32 v11, 8, v17
	s_movk_i32 s4, 0x7f
	v_cmp_gt_i16_sdwa s[6:7], v11, s4 src0_sel:BYTE_0 src1_sel:DWORD
	s_mov_b64 s[4:5], 0
                                        ; implicit-def: $sgpr10
	s_and_saveexec_b64 s[8:9], s[6:7]
	s_xor_b64 s[6:7], exec, s[8:9]
	s_cbranch_execnz .LBB35_2409
; %bb.361:
	s_or_saveexec_b64 s[6:7], s[6:7]
	v_mov_b32_e32 v10, s10
	s_xor_b64 exec, exec, s[6:7]
	s_cbranch_execnz .LBB35_2412
.LBB35_362:
	s_or_b64 exec, exec, s[6:7]
	s_and_saveexec_b64 s[6:7], s[4:5]
	s_cbranch_execz .LBB35_364
.LBB35_363:
	v_bfe_u32 v10, v17, 8, 3
	v_ffbh_u32_e32 v14, v10
	v_min_u32_e32 v14, 32, v14
	v_lshrrev_b16_e32 v12, 3, v11
	v_subrev_u32_e32 v15, 28, v14
	v_and_b32_e32 v12, 15, v12
	v_lshlrev_b32_e32 v11, v15, v11
	v_sub_u32_e32 v14, 29, v14
	v_and_b32_e32 v11, 7, v11
	v_cmp_eq_u16_e32 vcc, 0, v12
	v_cndmask_b32_e32 v10, v10, v11, vcc
	v_cndmask_b32_e32 v11, v12, v14, vcc
	v_lshlrev_b32_e32 v12, 16, v17
	v_mov_b32_e32 v14, 0x3b800000
	v_lshlrev_b32_e32 v10, 20, v10
	v_and_b32_e32 v12, 0x80000000, v12
	v_lshl_add_u32 v11, v11, 23, v14
	v_or3_b32 v10, v12, v11, v10
.LBB35_364:
	s_or_b64 exec, exec, s[6:7]
	v_lshrrev_b32_e32 v11, 8, v13
	s_movk_i32 s4, 0x7f
	v_cmp_gt_i16_sdwa s[6:7], v11, s4 src0_sel:BYTE_0 src1_sel:DWORD
	s_mov_b64 s[4:5], 0
                                        ; implicit-def: $sgpr10
	s_and_saveexec_b64 s[8:9], s[6:7]
	s_xor_b64 s[6:7], exec, s[8:9]
	s_cbranch_execnz .LBB35_2413
; %bb.365:
	s_or_saveexec_b64 s[6:7], s[6:7]
	v_mov_b32_e32 v12, s10
	s_xor_b64 exec, exec, s[6:7]
	s_cbranch_execnz .LBB35_2416
.LBB35_366:
	s_or_b64 exec, exec, s[6:7]
	s_and_saveexec_b64 s[6:7], s[4:5]
	s_cbranch_execz .LBB35_368
.LBB35_367:
	v_bfe_u32 v12, v13, 8, 3
	v_ffbh_u32_e32 v15, v12
	v_min_u32_e32 v15, 32, v15
	v_lshrrev_b16_e32 v14, 3, v11
	v_subrev_u32_e32 v16, 28, v15
	v_and_b32_e32 v14, 15, v14
	v_lshlrev_b32_e32 v11, v16, v11
	v_sub_u32_e32 v15, 29, v15
	v_and_b32_e32 v11, 7, v11
	v_cmp_eq_u16_e32 vcc, 0, v14
	v_cndmask_b32_e32 v11, v12, v11, vcc
	v_cndmask_b32_e32 v12, v14, v15, vcc
	v_lshlrev_b32_e32 v14, 16, v13
	v_mov_b32_e32 v15, 0x3b800000
	v_lshlrev_b32_e32 v11, 20, v11
	v_and_b32_e32 v14, 0x80000000, v14
	v_lshl_add_u32 v12, v12, 23, v15
	v_or3_b32 v12, v14, v12, v11
.LBB35_368:
	s_or_b64 exec, exec, s[6:7]
	s_nop 0
	v_mfma_f32_16x16x4f32 a[0:3], v10, v12, a[0:3]
	s_movk_i32 s4, 0xff
	v_and_b32_sdwa v11, v17, s4 dst_sel:DWORD dst_unused:UNUSED_PAD src0_sel:WORD_1 src1_sel:DWORD
	s_movk_i32 s4, 0x7f
	v_cmp_lt_i16_e32 vcc, s4, v11
	s_mov_b64 s[4:5], 0
                                        ; implicit-def: $sgpr10
	s_and_saveexec_b64 s[6:7], vcc
	s_xor_b64 s[6:7], exec, s[6:7]
	s_cbranch_execnz .LBB35_2417
; %bb.369:
	s_or_saveexec_b64 s[6:7], s[6:7]
	v_mov_b32_e32 v10, s10
	s_xor_b64 exec, exec, s[6:7]
	s_cbranch_execnz .LBB35_2420
.LBB35_370:
	s_or_b64 exec, exec, s[6:7]
	s_and_saveexec_b64 s[6:7], s[4:5]
	s_cbranch_execz .LBB35_372
.LBB35_371:
	v_bfe_u32 v10, v17, 16, 3
	v_ffbh_u32_e32 v14, v10
	v_min_u32_e32 v14, 32, v14
	v_lshrrev_b32_e32 v11, 19, v17
	v_subrev_u32_e32 v15, 28, v14
	v_and_b32_e32 v11, 15, v11
	v_lshlrev_b32_sdwa v15, v15, v17 dst_sel:DWORD dst_unused:UNUSED_PAD src0_sel:DWORD src1_sel:WORD_1
	v_bfe_u32 v12, v17, 19, 4
	v_sub_u32_e32 v14, 29, v14
	v_and_b32_e32 v15, 7, v15
	v_cmp_eq_u16_e32 vcc, 0, v11
	v_cndmask_b32_e32 v10, v10, v15, vcc
	v_cndmask_b32_e32 v11, v12, v14, vcc
	v_lshlrev_b32_e32 v12, 8, v17
	v_mov_b32_e32 v14, 0x3b800000
	v_lshlrev_b32_e32 v10, 20, v10
	v_and_b32_e32 v12, 0x80000000, v12
	v_lshl_add_u32 v11, v11, 23, v14
	v_or3_b32 v10, v12, v11, v10
.LBB35_372:
	s_or_b64 exec, exec, s[6:7]
	s_movk_i32 s4, 0xff
	v_and_b32_sdwa v11, v13, s4 dst_sel:DWORD dst_unused:UNUSED_PAD src0_sel:WORD_1 src1_sel:DWORD
	s_movk_i32 s4, 0x7f
	v_cmp_lt_i16_e32 vcc, s4, v11
	s_mov_b64 s[4:5], 0
                                        ; implicit-def: $sgpr10
	s_and_saveexec_b64 s[6:7], vcc
	s_xor_b64 s[6:7], exec, s[6:7]
	s_cbranch_execnz .LBB35_2421
; %bb.373:
	s_or_saveexec_b64 s[6:7], s[6:7]
	v_mov_b32_e32 v12, s10
	s_xor_b64 exec, exec, s[6:7]
	s_cbranch_execnz .LBB35_2424
.LBB35_374:
	s_or_b64 exec, exec, s[6:7]
	s_and_saveexec_b64 s[6:7], s[4:5]
	s_cbranch_execz .LBB35_376
.LBB35_375:
	v_bfe_u32 v11, v13, 16, 3
	v_ffbh_u32_e32 v15, v11
	v_min_u32_e32 v15, 32, v15
	v_lshrrev_b32_e32 v12, 19, v13
	v_subrev_u32_e32 v16, 28, v15
	v_and_b32_e32 v12, 15, v12
	v_lshlrev_b32_sdwa v16, v16, v13 dst_sel:DWORD dst_unused:UNUSED_PAD src0_sel:DWORD src1_sel:WORD_1
	v_bfe_u32 v14, v13, 19, 4
	v_sub_u32_e32 v15, 29, v15
	v_and_b32_e32 v16, 7, v16
	v_cmp_eq_u16_e32 vcc, 0, v12
	v_cndmask_b32_e32 v11, v11, v16, vcc
	v_cndmask_b32_e32 v12, v14, v15, vcc
	v_lshlrev_b32_e32 v14, 8, v13
	v_mov_b32_e32 v15, 0x3b800000
	v_lshlrev_b32_e32 v11, 20, v11
	v_and_b32_e32 v14, 0x80000000, v14
	v_lshl_add_u32 v12, v12, 23, v15
	v_or3_b32 v12, v14, v12, v11
.LBB35_376:
	s_or_b64 exec, exec, s[6:7]
	s_nop 0
	v_mfma_f32_16x16x4f32 a[0:3], v10, v12, a[0:3]
	s_movk_i32 s4, 0x7f
	v_cmp_gt_i16_sdwa s[6:7], v17, s4 src0_sel:BYTE_3 src1_sel:DWORD
	s_mov_b64 s[4:5], 0
                                        ; implicit-def: $sgpr10
	s_and_saveexec_b64 s[8:9], s[6:7]
	s_xor_b64 s[6:7], exec, s[8:9]
	s_cbranch_execnz .LBB35_2425
; %bb.377:
	s_or_saveexec_b64 s[6:7], s[6:7]
	v_mov_b32_e32 v10, s10
	s_xor_b64 exec, exec, s[6:7]
	s_cbranch_execnz .LBB35_2428
.LBB35_378:
	s_or_b64 exec, exec, s[6:7]
	s_and_saveexec_b64 s[6:7], s[4:5]
	s_cbranch_execz .LBB35_380
.LBB35_379:
	v_bfe_u32 v10, v17, 24, 3
	v_ffbh_u32_e32 v15, v10
	v_min_u32_e32 v15, 32, v15
	v_lshrrev_b32_e32 v12, 27, v17
	v_subrev_u32_e32 v16, 28, v15
	v_and_b32_e32 v12, 15, v12
	v_lshlrev_b32_sdwa v16, v16, v17 dst_sel:DWORD dst_unused:UNUSED_PAD src0_sel:DWORD src1_sel:BYTE_3
	v_bfe_u32 v14, v17, 27, 4
	v_sub_u32_e32 v15, 29, v15
	v_and_b32_e32 v16, 7, v16
	v_cmp_eq_u16_e32 vcc, 0, v12
	v_cndmask_b32_e32 v10, v10, v16, vcc
	v_cndmask_b32_e32 v12, v14, v15, vcc
	v_mov_b32_e32 v14, 0x3b800000
	v_and_b32_e32 v11, 0x80000000, v17
	v_lshlrev_b32_e32 v10, 20, v10
	v_lshl_add_u32 v12, v12, 23, v14
	v_or3_b32 v10, v11, v12, v10
.LBB35_380:
	s_or_b64 exec, exec, s[6:7]
	s_movk_i32 s4, 0x7f
	v_cmp_gt_i16_sdwa s[6:7], v13, s4 src0_sel:BYTE_3 src1_sel:DWORD
	s_mov_b64 s[4:5], 0
                                        ; implicit-def: $sgpr10
	s_and_saveexec_b64 s[8:9], s[6:7]
	s_xor_b64 s[6:7], exec, s[8:9]
	s_cbranch_execnz .LBB35_2429
; %bb.381:
	s_or_saveexec_b64 s[6:7], s[6:7]
	v_mov_b32_e32 v11, s10
	s_xor_b64 exec, exec, s[6:7]
	s_cbranch_execnz .LBB35_2432
.LBB35_382:
	s_or_b64 exec, exec, s[6:7]
	s_and_saveexec_b64 s[6:7], s[4:5]
	s_cbranch_execz .LBB35_384
.LBB35_383:
	v_bfe_u32 v11, v13, 24, 3
	v_ffbh_u32_e32 v16, v11
	v_min_u32_e32 v16, 32, v16
	v_lshrrev_b32_e32 v14, 27, v13
	v_subrev_u32_e32 v17, 28, v16
	v_and_b32_e32 v12, 0x80000000, v13
	v_and_b32_e32 v14, 15, v14
	v_bfe_u32 v15, v13, 27, 4
	v_lshlrev_b32_sdwa v13, v17, v13 dst_sel:DWORD dst_unused:UNUSED_PAD src0_sel:DWORD src1_sel:BYTE_3
	v_sub_u32_e32 v16, 29, v16
	v_and_b32_e32 v13, 7, v13
	v_cmp_eq_u16_e32 vcc, 0, v14
	v_cndmask_b32_e32 v11, v11, v13, vcc
	v_cndmask_b32_e32 v13, v15, v16, vcc
	v_mov_b32_e32 v14, 0x3b800000
	v_lshlrev_b32_e32 v11, 20, v11
	v_lshl_add_u32 v13, v13, 23, v14
	v_or3_b32 v11, v12, v13, v11
.LBB35_384:
	s_or_b64 exec, exec, s[6:7]
	s_nop 0
	v_mfma_f32_16x16x4f32 a[0:3], v10, v11, a[0:3]
	s_movk_i32 s4, 0x7f
	v_cmp_gt_i16_sdwa s[6:7], v6, s4 src0_sel:BYTE_0 src1_sel:DWORD
	s_mov_b64 s[4:5], 0
                                        ; implicit-def: $sgpr10
	s_and_saveexec_b64 s[8:9], s[6:7]
	s_xor_b64 s[6:7], exec, s[8:9]
	s_cbranch_execnz .LBB35_2433
; %bb.385:
	s_or_saveexec_b64 s[6:7], s[6:7]
	v_mov_b32_e32 v10, s10
	s_xor_b64 exec, exec, s[6:7]
	s_cbranch_execnz .LBB35_2436
.LBB35_386:
	s_or_b64 exec, exec, s[6:7]
	s_and_saveexec_b64 s[6:7], s[4:5]
	s_cbranch_execz .LBB35_388
.LBB35_387:
	v_and_b32_e32 v10, 7, v6
	v_ffbh_u32_e32 v12, v10
	v_min_u32_e32 v12, 32, v12
	v_lshrrev_b16_e32 v11, 3, v6
	v_subrev_u32_e32 v13, 28, v12
	v_and_b32_e32 v11, 15, v11
	v_lshlrev_b32_e32 v13, v13, v6
	v_sub_u32_e32 v12, 29, v12
	v_and_b32_e32 v13, 7, v13
	v_cmp_eq_u16_e32 vcc, 0, v11
	v_cndmask_b32_e32 v10, v10, v13, vcc
	v_cndmask_b32_e32 v11, v11, v12, vcc
	v_lshlrev_b32_e32 v12, 24, v6
	v_mov_b32_e32 v13, 0x3b800000
	v_lshlrev_b32_e32 v10, 20, v10
	v_and_b32_e32 v12, 0x80000000, v12
	v_lshl_add_u32 v11, v11, 23, v13
	v_or3_b32 v10, v12, v11, v10
.LBB35_388:
	s_or_b64 exec, exec, s[6:7]
	s_movk_i32 s4, 0x7f
	v_cmp_gt_i16_sdwa s[6:7], v2, s4 src0_sel:BYTE_0 src1_sel:DWORD
	s_mov_b64 s[4:5], 0
                                        ; implicit-def: $sgpr10
	s_and_saveexec_b64 s[8:9], s[6:7]
	s_xor_b64 s[6:7], exec, s[8:9]
	s_cbranch_execnz .LBB35_2437
; %bb.389:
	s_or_saveexec_b64 s[6:7], s[6:7]
	v_mov_b32_e32 v11, s10
	s_xor_b64 exec, exec, s[6:7]
	s_cbranch_execnz .LBB35_2440
.LBB35_390:
	s_or_b64 exec, exec, s[6:7]
	s_and_saveexec_b64 s[6:7], s[4:5]
	s_cbranch_execz .LBB35_392
.LBB35_391:
	v_and_b32_e32 v11, 7, v2
	v_ffbh_u32_e32 v13, v11
	v_min_u32_e32 v13, 32, v13
	v_lshrrev_b16_e32 v12, 3, v2
	v_subrev_u32_e32 v14, 28, v13
	v_and_b32_e32 v12, 15, v12
	v_lshlrev_b32_e32 v14, v14, v2
	v_sub_u32_e32 v13, 29, v13
	v_and_b32_e32 v14, 7, v14
	v_cmp_eq_u16_e32 vcc, 0, v12
	v_cndmask_b32_e32 v11, v11, v14, vcc
	v_cndmask_b32_e32 v12, v12, v13, vcc
	v_lshlrev_b32_e32 v13, 24, v2
	v_mov_b32_e32 v14, 0x3b800000
	v_lshlrev_b32_e32 v11, 20, v11
	v_and_b32_e32 v13, 0x80000000, v13
	v_lshl_add_u32 v12, v12, 23, v14
	v_or3_b32 v11, v13, v12, v11
.LBB35_392:
	s_or_b64 exec, exec, s[6:7]
	s_nop 0
	v_mfma_f32_16x16x4f32 a[0:3], v10, v11, a[0:3]
	v_lshrrev_b32_e32 v11, 8, v6
	s_movk_i32 s4, 0x7f
	v_cmp_gt_i16_sdwa s[6:7], v11, s4 src0_sel:BYTE_0 src1_sel:DWORD
	s_mov_b64 s[4:5], 0
                                        ; implicit-def: $sgpr10
	s_and_saveexec_b64 s[8:9], s[6:7]
	s_xor_b64 s[6:7], exec, s[8:9]
	s_cbranch_execnz .LBB35_2441
; %bb.393:
	s_or_saveexec_b64 s[6:7], s[6:7]
	v_mov_b32_e32 v10, s10
	s_xor_b64 exec, exec, s[6:7]
	s_cbranch_execnz .LBB35_2444
.LBB35_394:
	s_or_b64 exec, exec, s[6:7]
	s_and_saveexec_b64 s[6:7], s[4:5]
	s_cbranch_execz .LBB35_396
.LBB35_395:
	v_bfe_u32 v10, v6, 8, 3
	v_ffbh_u32_e32 v13, v10
	v_min_u32_e32 v13, 32, v13
	v_lshrrev_b16_e32 v12, 3, v11
	v_subrev_u32_e32 v14, 28, v13
	v_and_b32_e32 v12, 15, v12
	v_lshlrev_b32_e32 v11, v14, v11
	v_sub_u32_e32 v13, 29, v13
	v_and_b32_e32 v11, 7, v11
	v_cmp_eq_u16_e32 vcc, 0, v12
	v_cndmask_b32_e32 v10, v10, v11, vcc
	v_cndmask_b32_e32 v11, v12, v13, vcc
	v_lshlrev_b32_e32 v12, 16, v6
	v_mov_b32_e32 v13, 0x3b800000
	v_lshlrev_b32_e32 v10, 20, v10
	v_and_b32_e32 v12, 0x80000000, v12
	v_lshl_add_u32 v11, v11, 23, v13
	v_or3_b32 v10, v12, v11, v10
.LBB35_396:
	s_or_b64 exec, exec, s[6:7]
	v_lshrrev_b32_e32 v11, 8, v2
	s_movk_i32 s4, 0x7f
	v_cmp_gt_i16_sdwa s[6:7], v11, s4 src0_sel:BYTE_0 src1_sel:DWORD
	s_mov_b64 s[4:5], 0
                                        ; implicit-def: $sgpr10
	s_and_saveexec_b64 s[8:9], s[6:7]
	s_xor_b64 s[6:7], exec, s[8:9]
	s_cbranch_execnz .LBB35_2445
; %bb.397:
	s_or_saveexec_b64 s[6:7], s[6:7]
	v_mov_b32_e32 v12, s10
	s_xor_b64 exec, exec, s[6:7]
	s_cbranch_execnz .LBB35_2448
.LBB35_398:
	s_or_b64 exec, exec, s[6:7]
	s_and_saveexec_b64 s[6:7], s[4:5]
	s_cbranch_execz .LBB35_400
.LBB35_399:
	v_bfe_u32 v12, v2, 8, 3
	v_ffbh_u32_e32 v14, v12
	v_min_u32_e32 v14, 32, v14
	v_lshrrev_b16_e32 v13, 3, v11
	v_subrev_u32_e32 v15, 28, v14
	v_and_b32_e32 v13, 15, v13
	v_lshlrev_b32_e32 v11, v15, v11
	v_sub_u32_e32 v14, 29, v14
	v_and_b32_e32 v11, 7, v11
	v_cmp_eq_u16_e32 vcc, 0, v13
	v_cndmask_b32_e32 v11, v12, v11, vcc
	v_cndmask_b32_e32 v12, v13, v14, vcc
	v_lshlrev_b32_e32 v13, 16, v2
	v_mov_b32_e32 v14, 0x3b800000
	v_lshlrev_b32_e32 v11, 20, v11
	v_and_b32_e32 v13, 0x80000000, v13
	v_lshl_add_u32 v12, v12, 23, v14
	v_or3_b32 v12, v13, v12, v11
.LBB35_400:
	s_or_b64 exec, exec, s[6:7]
	s_nop 0
	v_mfma_f32_16x16x4f32 a[0:3], v10, v12, a[0:3]
	s_movk_i32 s4, 0xff
	v_and_b32_sdwa v11, v6, s4 dst_sel:DWORD dst_unused:UNUSED_PAD src0_sel:WORD_1 src1_sel:DWORD
	s_movk_i32 s4, 0x7f
	v_cmp_lt_i16_e32 vcc, s4, v11
	s_mov_b64 s[4:5], 0
                                        ; implicit-def: $sgpr10
	s_and_saveexec_b64 s[6:7], vcc
	s_xor_b64 s[6:7], exec, s[6:7]
	s_cbranch_execnz .LBB35_2449
; %bb.401:
	s_or_saveexec_b64 s[6:7], s[6:7]
	v_mov_b32_e32 v10, s10
	s_xor_b64 exec, exec, s[6:7]
	s_cbranch_execnz .LBB35_2452
.LBB35_402:
	s_or_b64 exec, exec, s[6:7]
	s_and_saveexec_b64 s[6:7], s[4:5]
	s_cbranch_execz .LBB35_404
.LBB35_403:
	v_bfe_u32 v10, v6, 16, 3
	v_ffbh_u32_e32 v13, v10
	v_min_u32_e32 v13, 32, v13
	v_lshrrev_b32_e32 v11, 19, v6
	v_subrev_u32_e32 v14, 28, v13
	v_and_b32_e32 v11, 15, v11
	v_lshlrev_b32_sdwa v14, v14, v6 dst_sel:DWORD dst_unused:UNUSED_PAD src0_sel:DWORD src1_sel:WORD_1
	v_bfe_u32 v12, v6, 19, 4
	v_sub_u32_e32 v13, 29, v13
	v_and_b32_e32 v14, 7, v14
	v_cmp_eq_u16_e32 vcc, 0, v11
	v_cndmask_b32_e32 v10, v10, v14, vcc
	v_cndmask_b32_e32 v11, v12, v13, vcc
	v_lshlrev_b32_e32 v12, 8, v6
	v_mov_b32_e32 v13, 0x3b800000
	v_lshlrev_b32_e32 v10, 20, v10
	v_and_b32_e32 v12, 0x80000000, v12
	v_lshl_add_u32 v11, v11, 23, v13
	v_or3_b32 v10, v12, v11, v10
.LBB35_404:
	s_or_b64 exec, exec, s[6:7]
	s_movk_i32 s4, 0xff
	v_and_b32_sdwa v11, v2, s4 dst_sel:DWORD dst_unused:UNUSED_PAD src0_sel:WORD_1 src1_sel:DWORD
	s_movk_i32 s4, 0x7f
	v_cmp_lt_i16_e32 vcc, s4, v11
	s_mov_b64 s[4:5], 0
                                        ; implicit-def: $sgpr10
	s_and_saveexec_b64 s[6:7], vcc
	s_xor_b64 s[6:7], exec, s[6:7]
	s_cbranch_execnz .LBB35_2453
; %bb.405:
	s_or_saveexec_b64 s[6:7], s[6:7]
	v_mov_b32_e32 v12, s10
	s_xor_b64 exec, exec, s[6:7]
	s_cbranch_execnz .LBB35_2456
.LBB35_406:
	s_or_b64 exec, exec, s[6:7]
	s_and_saveexec_b64 s[6:7], s[4:5]
	s_cbranch_execz .LBB35_408
.LBB35_407:
	v_bfe_u32 v11, v2, 16, 3
	v_ffbh_u32_e32 v14, v11
	v_min_u32_e32 v14, 32, v14
	v_lshrrev_b32_e32 v12, 19, v2
	v_subrev_u32_e32 v15, 28, v14
	v_and_b32_e32 v12, 15, v12
	v_lshlrev_b32_sdwa v15, v15, v2 dst_sel:DWORD dst_unused:UNUSED_PAD src0_sel:DWORD src1_sel:WORD_1
	v_bfe_u32 v13, v2, 19, 4
	v_sub_u32_e32 v14, 29, v14
	v_and_b32_e32 v15, 7, v15
	v_cmp_eq_u16_e32 vcc, 0, v12
	v_cndmask_b32_e32 v11, v11, v15, vcc
	v_cndmask_b32_e32 v12, v13, v14, vcc
	v_lshlrev_b32_e32 v13, 8, v2
	v_mov_b32_e32 v14, 0x3b800000
	v_lshlrev_b32_e32 v11, 20, v11
	v_and_b32_e32 v13, 0x80000000, v13
	v_lshl_add_u32 v12, v12, 23, v14
	v_or3_b32 v12, v13, v12, v11
.LBB35_408:
	s_or_b64 exec, exec, s[6:7]
	s_nop 0
	v_mfma_f32_16x16x4f32 a[0:3], v10, v12, a[0:3]
	s_movk_i32 s4, 0x7f
	v_cmp_gt_i16_sdwa s[6:7], v6, s4 src0_sel:BYTE_3 src1_sel:DWORD
	s_mov_b64 s[4:5], 0
                                        ; implicit-def: $sgpr10
	s_and_saveexec_b64 s[8:9], s[6:7]
	s_xor_b64 s[6:7], exec, s[8:9]
	s_cbranch_execnz .LBB35_2457
; %bb.409:
	s_or_saveexec_b64 s[6:7], s[6:7]
	v_mov_b32_e32 v10, s10
	s_xor_b64 exec, exec, s[6:7]
	s_cbranch_execnz .LBB35_2460
.LBB35_410:
	s_or_b64 exec, exec, s[6:7]
	s_and_saveexec_b64 s[6:7], s[4:5]
	s_cbranch_execz .LBB35_412
.LBB35_411:
	v_bfe_u32 v10, v6, 24, 3
	v_ffbh_u32_e32 v14, v10
	v_min_u32_e32 v14, 32, v14
	v_lshrrev_b32_e32 v12, 27, v6
	v_subrev_u32_e32 v15, 28, v14
	v_and_b32_e32 v11, 0x80000000, v6
	v_and_b32_e32 v12, 15, v12
	v_bfe_u32 v13, v6, 27, 4
	v_lshlrev_b32_sdwa v6, v15, v6 dst_sel:DWORD dst_unused:UNUSED_PAD src0_sel:DWORD src1_sel:BYTE_3
	v_sub_u32_e32 v14, 29, v14
	v_and_b32_e32 v6, 7, v6
	v_cmp_eq_u16_e32 vcc, 0, v12
	v_cndmask_b32_e32 v6, v10, v6, vcc
	v_cndmask_b32_e32 v10, v13, v14, vcc
	v_mov_b32_e32 v12, 0x3b800000
	v_lshlrev_b32_e32 v6, 20, v6
	v_lshl_add_u32 v10, v10, 23, v12
	v_or3_b32 v10, v11, v10, v6
.LBB35_412:
	s_or_b64 exec, exec, s[6:7]
	s_movk_i32 s4, 0x7f
	v_cmp_gt_i16_sdwa s[6:7], v2, s4 src0_sel:BYTE_3 src1_sel:DWORD
	s_mov_b64 s[4:5], 0
                                        ; implicit-def: $sgpr10
	s_and_saveexec_b64 s[8:9], s[6:7]
	s_xor_b64 s[6:7], exec, s[8:9]
	s_cbranch_execnz .LBB35_2461
; %bb.413:
	s_or_saveexec_b64 s[6:7], s[6:7]
	v_mov_b32_e32 v6, s10
	s_xor_b64 exec, exec, s[6:7]
	s_cbranch_execnz .LBB35_2464
.LBB35_414:
	s_or_b64 exec, exec, s[6:7]
	s_and_saveexec_b64 s[6:7], s[4:5]
	s_cbranch_execz .LBB35_416
.LBB35_415:
	v_bfe_u32 v6, v2, 24, 3
	v_ffbh_u32_e32 v14, v6
	v_min_u32_e32 v14, 32, v14
	v_lshrrev_b32_e32 v12, 27, v2
	v_subrev_u32_e32 v15, 28, v14
	v_and_b32_e32 v11, 0x80000000, v2
	v_and_b32_e32 v12, 15, v12
	v_bfe_u32 v13, v2, 27, 4
	v_lshlrev_b32_sdwa v2, v15, v2 dst_sel:DWORD dst_unused:UNUSED_PAD src0_sel:DWORD src1_sel:BYTE_3
	v_sub_u32_e32 v14, 29, v14
	v_and_b32_e32 v2, 7, v2
	v_cmp_eq_u16_e32 vcc, 0, v12
	v_cndmask_b32_e32 v2, v6, v2, vcc
	v_cndmask_b32_e32 v6, v13, v14, vcc
	v_mov_b32_e32 v12, 0x3b800000
	v_lshlrev_b32_e32 v2, 20, v2
	v_lshl_add_u32 v6, v6, 23, v12
	v_or3_b32 v6, v11, v6, v2
.LBB35_416:
	s_or_b64 exec, exec, s[6:7]
	s_nop 0
	v_mfma_f32_16x16x4f32 a[0:3], v10, v6, a[0:3]
	s_movk_i32 s4, 0x7f
	v_cmp_gt_i16_sdwa s[6:7], v7, s4 src0_sel:BYTE_0 src1_sel:DWORD
	s_mov_b64 s[4:5], 0
                                        ; implicit-def: $sgpr10
	s_and_saveexec_b64 s[8:9], s[6:7]
	s_xor_b64 s[6:7], exec, s[8:9]
	s_cbranch_execnz .LBB35_2465
; %bb.417:
	s_or_saveexec_b64 s[6:7], s[6:7]
	v_mov_b32_e32 v2, s10
	s_xor_b64 exec, exec, s[6:7]
	s_cbranch_execnz .LBB35_2468
.LBB35_418:
	s_or_b64 exec, exec, s[6:7]
	s_and_saveexec_b64 s[6:7], s[4:5]
	s_cbranch_execz .LBB35_420
.LBB35_419:
	v_and_b32_e32 v2, 7, v7
	v_ffbh_u32_e32 v10, v2
	v_min_u32_e32 v10, 32, v10
	v_lshrrev_b16_e32 v6, 3, v7
	v_subrev_u32_e32 v11, 28, v10
	v_and_b32_e32 v6, 15, v6
	v_lshlrev_b32_e32 v11, v11, v7
	v_sub_u32_e32 v10, 29, v10
	v_and_b32_e32 v11, 7, v11
	v_cmp_eq_u16_e32 vcc, 0, v6
	v_cndmask_b32_e32 v2, v2, v11, vcc
	v_cndmask_b32_e32 v6, v6, v10, vcc
	v_lshlrev_b32_e32 v10, 24, v7
	v_mov_b32_e32 v11, 0x3b800000
	v_lshlrev_b32_e32 v2, 20, v2
	v_and_b32_e32 v10, 0x80000000, v10
	v_lshl_add_u32 v6, v6, 23, v11
	v_or3_b32 v2, v10, v6, v2
.LBB35_420:
	s_or_b64 exec, exec, s[6:7]
	s_movk_i32 s4, 0x7f
	v_cmp_gt_i16_sdwa s[6:7], v3, s4 src0_sel:BYTE_0 src1_sel:DWORD
	s_mov_b64 s[4:5], 0
                                        ; implicit-def: $sgpr10
	s_and_saveexec_b64 s[8:9], s[6:7]
	s_xor_b64 s[6:7], exec, s[8:9]
	s_cbranch_execnz .LBB35_2469
; %bb.421:
	s_or_saveexec_b64 s[6:7], s[6:7]
	v_mov_b32_e32 v6, s10
	s_xor_b64 exec, exec, s[6:7]
	s_cbranch_execnz .LBB35_2472
.LBB35_422:
	s_or_b64 exec, exec, s[6:7]
	s_and_saveexec_b64 s[6:7], s[4:5]
	s_cbranch_execz .LBB35_424
.LBB35_423:
	v_and_b32_e32 v6, 7, v3
	v_ffbh_u32_e32 v11, v6
	v_min_u32_e32 v11, 32, v11
	v_lshrrev_b16_e32 v10, 3, v3
	v_subrev_u32_e32 v12, 28, v11
	v_and_b32_e32 v10, 15, v10
	v_lshlrev_b32_e32 v12, v12, v3
	v_sub_u32_e32 v11, 29, v11
	v_and_b32_e32 v12, 7, v12
	v_cmp_eq_u16_e32 vcc, 0, v10
	v_cndmask_b32_e32 v6, v6, v12, vcc
	v_cndmask_b32_e32 v10, v10, v11, vcc
	v_lshlrev_b32_e32 v11, 24, v3
	v_mov_b32_e32 v12, 0x3b800000
	v_lshlrev_b32_e32 v6, 20, v6
	v_and_b32_e32 v11, 0x80000000, v11
	v_lshl_add_u32 v10, v10, 23, v12
	v_or3_b32 v6, v11, v10, v6
.LBB35_424:
	s_or_b64 exec, exec, s[6:7]
	s_nop 0
	v_mfma_f32_16x16x4f32 a[0:3], v2, v6, a[0:3]
	v_lshrrev_b32_e32 v6, 8, v7
	s_movk_i32 s4, 0x7f
	v_cmp_gt_i16_sdwa s[6:7], v6, s4 src0_sel:BYTE_0 src1_sel:DWORD
	s_mov_b64 s[4:5], 0
                                        ; implicit-def: $sgpr10
	s_and_saveexec_b64 s[8:9], s[6:7]
	s_xor_b64 s[6:7], exec, s[8:9]
	s_cbranch_execnz .LBB35_2473
; %bb.425:
	s_or_saveexec_b64 s[6:7], s[6:7]
	v_mov_b32_e32 v2, s10
	s_xor_b64 exec, exec, s[6:7]
	s_cbranch_execnz .LBB35_2476
.LBB35_426:
	s_or_b64 exec, exec, s[6:7]
	s_and_saveexec_b64 s[6:7], s[4:5]
	s_cbranch_execz .LBB35_428
.LBB35_427:
	v_bfe_u32 v2, v7, 8, 3
	v_ffbh_u32_e32 v11, v2
	v_min_u32_e32 v11, 32, v11
	v_lshrrev_b16_e32 v10, 3, v6
	v_subrev_u32_e32 v12, 28, v11
	v_and_b32_e32 v10, 15, v10
	v_lshlrev_b32_e32 v6, v12, v6
	v_sub_u32_e32 v11, 29, v11
	v_and_b32_e32 v6, 7, v6
	v_cmp_eq_u16_e32 vcc, 0, v10
	v_cndmask_b32_e32 v2, v2, v6, vcc
	v_cndmask_b32_e32 v6, v10, v11, vcc
	v_lshlrev_b32_e32 v10, 16, v7
	v_mov_b32_e32 v11, 0x3b800000
	v_lshlrev_b32_e32 v2, 20, v2
	v_and_b32_e32 v10, 0x80000000, v10
	v_lshl_add_u32 v6, v6, 23, v11
	v_or3_b32 v2, v10, v6, v2
.LBB35_428:
	s_or_b64 exec, exec, s[6:7]
	v_lshrrev_b32_e32 v6, 8, v3
	s_movk_i32 s4, 0x7f
	v_cmp_gt_i16_sdwa s[6:7], v6, s4 src0_sel:BYTE_0 src1_sel:DWORD
	s_mov_b64 s[4:5], 0
                                        ; implicit-def: $sgpr10
	s_and_saveexec_b64 s[8:9], s[6:7]
	s_xor_b64 s[6:7], exec, s[8:9]
	s_cbranch_execnz .LBB35_2477
; %bb.429:
	s_or_saveexec_b64 s[6:7], s[6:7]
	v_mov_b32_e32 v10, s10
	s_xor_b64 exec, exec, s[6:7]
	s_cbranch_execnz .LBB35_2480
.LBB35_430:
	s_or_b64 exec, exec, s[6:7]
	s_and_saveexec_b64 s[6:7], s[4:5]
	s_cbranch_execz .LBB35_432
.LBB35_431:
	v_bfe_u32 v10, v3, 8, 3
	v_ffbh_u32_e32 v12, v10
	v_min_u32_e32 v12, 32, v12
	v_lshrrev_b16_e32 v11, 3, v6
	v_subrev_u32_e32 v13, 28, v12
	v_and_b32_e32 v11, 15, v11
	v_lshlrev_b32_e32 v6, v13, v6
	v_sub_u32_e32 v12, 29, v12
	v_and_b32_e32 v6, 7, v6
	v_cmp_eq_u16_e32 vcc, 0, v11
	v_cndmask_b32_e32 v6, v10, v6, vcc
	v_cndmask_b32_e32 v10, v11, v12, vcc
	v_lshlrev_b32_e32 v11, 16, v3
	v_mov_b32_e32 v12, 0x3b800000
	v_lshlrev_b32_e32 v6, 20, v6
	v_and_b32_e32 v11, 0x80000000, v11
	v_lshl_add_u32 v10, v10, 23, v12
	v_or3_b32 v10, v11, v10, v6
.LBB35_432:
	s_or_b64 exec, exec, s[6:7]
	s_nop 0
	v_mfma_f32_16x16x4f32 a[0:3], v2, v10, a[0:3]
	s_movk_i32 s4, 0xff
	v_and_b32_sdwa v6, v7, s4 dst_sel:DWORD dst_unused:UNUSED_PAD src0_sel:WORD_1 src1_sel:DWORD
	s_movk_i32 s4, 0x7f
	v_cmp_lt_i16_e32 vcc, s4, v6
	s_mov_b64 s[4:5], 0
                                        ; implicit-def: $sgpr10
	s_and_saveexec_b64 s[6:7], vcc
	s_xor_b64 s[6:7], exec, s[6:7]
	s_cbranch_execnz .LBB35_2481
; %bb.433:
	s_or_saveexec_b64 s[6:7], s[6:7]
	v_mov_b32_e32 v2, s10
	s_xor_b64 exec, exec, s[6:7]
	s_cbranch_execnz .LBB35_2484
.LBB35_434:
	s_or_b64 exec, exec, s[6:7]
	s_and_saveexec_b64 s[6:7], s[4:5]
	s_cbranch_execz .LBB35_436
.LBB35_435:
	v_bfe_u32 v2, v7, 16, 3
	v_ffbh_u32_e32 v11, v2
	v_min_u32_e32 v11, 32, v11
	v_lshrrev_b32_e32 v6, 19, v7
	v_subrev_u32_e32 v12, 28, v11
	v_and_b32_e32 v6, 15, v6
	v_lshlrev_b32_sdwa v12, v12, v7 dst_sel:DWORD dst_unused:UNUSED_PAD src0_sel:DWORD src1_sel:WORD_1
	v_bfe_u32 v10, v7, 19, 4
	v_sub_u32_e32 v11, 29, v11
	v_and_b32_e32 v12, 7, v12
	v_cmp_eq_u16_e32 vcc, 0, v6
	v_cndmask_b32_e32 v2, v2, v12, vcc
	v_cndmask_b32_e32 v6, v10, v11, vcc
	v_lshlrev_b32_e32 v10, 8, v7
	v_mov_b32_e32 v11, 0x3b800000
	v_lshlrev_b32_e32 v2, 20, v2
	v_and_b32_e32 v10, 0x80000000, v10
	v_lshl_add_u32 v6, v6, 23, v11
	v_or3_b32 v2, v10, v6, v2
.LBB35_436:
	s_or_b64 exec, exec, s[6:7]
	s_movk_i32 s4, 0xff
	v_and_b32_sdwa v6, v3, s4 dst_sel:DWORD dst_unused:UNUSED_PAD src0_sel:WORD_1 src1_sel:DWORD
	s_movk_i32 s4, 0x7f
	v_cmp_lt_i16_e32 vcc, s4, v6
	s_mov_b64 s[4:5], 0
                                        ; implicit-def: $sgpr10
	s_and_saveexec_b64 s[6:7], vcc
	s_xor_b64 s[6:7], exec, s[6:7]
	s_cbranch_execnz .LBB35_2485
; %bb.437:
	s_or_saveexec_b64 s[6:7], s[6:7]
	v_mov_b32_e32 v10, s10
	s_xor_b64 exec, exec, s[6:7]
	s_cbranch_execnz .LBB35_2488
.LBB35_438:
	s_or_b64 exec, exec, s[6:7]
	s_and_saveexec_b64 s[6:7], s[4:5]
	s_cbranch_execz .LBB35_440
.LBB35_439:
	v_bfe_u32 v6, v3, 16, 3
	v_ffbh_u32_e32 v12, v6
	v_min_u32_e32 v12, 32, v12
	v_lshrrev_b32_e32 v10, 19, v3
	v_subrev_u32_e32 v13, 28, v12
	v_and_b32_e32 v10, 15, v10
	v_lshlrev_b32_sdwa v13, v13, v3 dst_sel:DWORD dst_unused:UNUSED_PAD src0_sel:DWORD src1_sel:WORD_1
	v_bfe_u32 v11, v3, 19, 4
	v_sub_u32_e32 v12, 29, v12
	v_and_b32_e32 v13, 7, v13
	v_cmp_eq_u16_e32 vcc, 0, v10
	v_cndmask_b32_e32 v6, v6, v13, vcc
	v_cndmask_b32_e32 v10, v11, v12, vcc
	v_lshlrev_b32_e32 v11, 8, v3
	v_mov_b32_e32 v12, 0x3b800000
	v_lshlrev_b32_e32 v6, 20, v6
	v_and_b32_e32 v11, 0x80000000, v11
	v_lshl_add_u32 v10, v10, 23, v12
	v_or3_b32 v10, v11, v10, v6
.LBB35_440:
	s_or_b64 exec, exec, s[6:7]
	s_nop 0
	v_mfma_f32_16x16x4f32 a[0:3], v2, v10, a[0:3]
	s_movk_i32 s4, 0x7f
	v_cmp_gt_i16_sdwa s[6:7], v7, s4 src0_sel:BYTE_3 src1_sel:DWORD
	s_mov_b64 s[4:5], 0
                                        ; implicit-def: $sgpr10
	s_and_saveexec_b64 s[8:9], s[6:7]
	s_xor_b64 s[6:7], exec, s[8:9]
	s_cbranch_execnz .LBB35_2489
; %bb.441:
	s_or_saveexec_b64 s[6:7], s[6:7]
	v_mov_b32_e32 v2, s10
	s_xor_b64 exec, exec, s[6:7]
	s_cbranch_execnz .LBB35_2492
.LBB35_442:
	s_or_b64 exec, exec, s[6:7]
	s_and_saveexec_b64 s[6:7], s[4:5]
	s_cbranch_execz .LBB35_444
.LBB35_443:
	v_bfe_u32 v2, v7, 24, 3
	v_ffbh_u32_e32 v12, v2
	v_min_u32_e32 v12, 32, v12
	v_lshrrev_b32_e32 v10, 27, v7
	v_subrev_u32_e32 v13, 28, v12
	v_and_b32_e32 v6, 0x80000000, v7
	v_and_b32_e32 v10, 15, v10
	v_bfe_u32 v11, v7, 27, 4
	v_lshlrev_b32_sdwa v7, v13, v7 dst_sel:DWORD dst_unused:UNUSED_PAD src0_sel:DWORD src1_sel:BYTE_3
	v_sub_u32_e32 v12, 29, v12
	v_and_b32_e32 v7, 7, v7
	v_cmp_eq_u16_e32 vcc, 0, v10
	v_cndmask_b32_e32 v2, v2, v7, vcc
	v_cndmask_b32_e32 v7, v11, v12, vcc
	v_mov_b32_e32 v10, 0x3b800000
	v_lshlrev_b32_e32 v2, 20, v2
	v_lshl_add_u32 v7, v7, 23, v10
	v_or3_b32 v2, v6, v7, v2
.LBB35_444:
	s_or_b64 exec, exec, s[6:7]
	s_movk_i32 s4, 0x7f
	v_cmp_gt_i16_sdwa s[6:7], v3, s4 src0_sel:BYTE_3 src1_sel:DWORD
	s_mov_b64 s[4:5], 0
                                        ; implicit-def: $sgpr10
	s_and_saveexec_b64 s[8:9], s[6:7]
	s_xor_b64 s[6:7], exec, s[8:9]
	s_cbranch_execnz .LBB35_2493
; %bb.445:
	s_or_saveexec_b64 s[6:7], s[6:7]
	v_mov_b32_e32 v6, s10
	s_xor_b64 exec, exec, s[6:7]
	s_cbranch_execnz .LBB35_2496
.LBB35_446:
	s_or_b64 exec, exec, s[6:7]
	s_and_saveexec_b64 s[6:7], s[4:5]
	s_cbranch_execz .LBB35_448
.LBB35_447:
	v_bfe_u32 v6, v3, 24, 3
	v_ffbh_u32_e32 v12, v6
	v_min_u32_e32 v12, 32, v12
	v_lshrrev_b32_e32 v10, 27, v3
	v_subrev_u32_e32 v13, 28, v12
	v_and_b32_e32 v7, 0x80000000, v3
	v_and_b32_e32 v10, 15, v10
	v_bfe_u32 v11, v3, 27, 4
	v_lshlrev_b32_sdwa v3, v13, v3 dst_sel:DWORD dst_unused:UNUSED_PAD src0_sel:DWORD src1_sel:BYTE_3
	v_sub_u32_e32 v12, 29, v12
	v_and_b32_e32 v3, 7, v3
	v_cmp_eq_u16_e32 vcc, 0, v10
	v_cndmask_b32_e32 v3, v6, v3, vcc
	v_cndmask_b32_e32 v6, v11, v12, vcc
	v_mov_b32_e32 v10, 0x3b800000
	v_lshlrev_b32_e32 v3, 20, v3
	v_lshl_add_u32 v6, v6, 23, v10
	v_or3_b32 v6, v7, v6, v3
.LBB35_448:
	s_or_b64 exec, exec, s[6:7]
	s_nop 0
	v_mfma_f32_16x16x4f32 a[0:3], v2, v6, a[0:3]
	s_movk_i32 s4, 0x7f
	v_cmp_gt_i16_sdwa s[6:7], v8, s4 src0_sel:BYTE_0 src1_sel:DWORD
	s_mov_b64 s[4:5], 0
                                        ; implicit-def: $sgpr10
	s_and_saveexec_b64 s[8:9], s[6:7]
	s_xor_b64 s[6:7], exec, s[8:9]
	s_cbranch_execnz .LBB35_2497
; %bb.449:
	s_or_saveexec_b64 s[6:7], s[6:7]
	v_mov_b32_e32 v2, s10
	s_xor_b64 exec, exec, s[6:7]
	s_cbranch_execnz .LBB35_2500
.LBB35_450:
	s_or_b64 exec, exec, s[6:7]
	s_and_saveexec_b64 s[6:7], s[4:5]
	s_cbranch_execz .LBB35_452
.LBB35_451:
	v_and_b32_e32 v2, 7, v8
	v_ffbh_u32_e32 v6, v2
	v_min_u32_e32 v6, 32, v6
	v_lshrrev_b16_e32 v3, 3, v8
	v_subrev_u32_e32 v7, 28, v6
	v_and_b32_e32 v3, 15, v3
	v_lshlrev_b32_e32 v7, v7, v8
	v_sub_u32_e32 v6, 29, v6
	v_and_b32_e32 v7, 7, v7
	v_cmp_eq_u16_e32 vcc, 0, v3
	v_cndmask_b32_e32 v2, v2, v7, vcc
	v_cndmask_b32_e32 v3, v3, v6, vcc
	v_lshlrev_b32_e32 v6, 24, v8
	v_mov_b32_e32 v7, 0x3b800000
	v_lshlrev_b32_e32 v2, 20, v2
	v_and_b32_e32 v6, 0x80000000, v6
	v_lshl_add_u32 v3, v3, 23, v7
	v_or3_b32 v2, v6, v3, v2
.LBB35_452:
	s_or_b64 exec, exec, s[6:7]
	s_movk_i32 s4, 0x7f
	v_cmp_gt_i16_sdwa s[6:7], v4, s4 src0_sel:BYTE_0 src1_sel:DWORD
	s_mov_b64 s[4:5], 0
                                        ; implicit-def: $sgpr10
	s_and_saveexec_b64 s[8:9], s[6:7]
	s_xor_b64 s[6:7], exec, s[8:9]
	s_cbranch_execnz .LBB35_2501
; %bb.453:
	s_or_saveexec_b64 s[6:7], s[6:7]
	v_mov_b32_e32 v3, s10
	s_xor_b64 exec, exec, s[6:7]
	s_cbranch_execnz .LBB35_2504
.LBB35_454:
	s_or_b64 exec, exec, s[6:7]
	s_and_saveexec_b64 s[6:7], s[4:5]
	s_cbranch_execz .LBB35_456
.LBB35_455:
	v_and_b32_e32 v3, 7, v4
	v_ffbh_u32_e32 v7, v3
	v_min_u32_e32 v7, 32, v7
	v_lshrrev_b16_e32 v6, 3, v4
	v_subrev_u32_e32 v10, 28, v7
	v_and_b32_e32 v6, 15, v6
	v_lshlrev_b32_e32 v10, v10, v4
	v_sub_u32_e32 v7, 29, v7
	v_and_b32_e32 v10, 7, v10
	v_cmp_eq_u16_e32 vcc, 0, v6
	v_cndmask_b32_e32 v3, v3, v10, vcc
	v_cndmask_b32_e32 v6, v6, v7, vcc
	v_lshlrev_b32_e32 v7, 24, v4
	v_mov_b32_e32 v10, 0x3b800000
	v_lshlrev_b32_e32 v3, 20, v3
	v_and_b32_e32 v7, 0x80000000, v7
	v_lshl_add_u32 v6, v6, 23, v10
	v_or3_b32 v3, v7, v6, v3
.LBB35_456:
	s_or_b64 exec, exec, s[6:7]
	s_nop 0
	v_mfma_f32_16x16x4f32 a[0:3], v2, v3, a[0:3]
	v_lshrrev_b32_e32 v3, 8, v8
	s_movk_i32 s4, 0x7f
	v_cmp_gt_i16_sdwa s[6:7], v3, s4 src0_sel:BYTE_0 src1_sel:DWORD
	s_mov_b64 s[4:5], 0
                                        ; implicit-def: $sgpr10
	s_and_saveexec_b64 s[8:9], s[6:7]
	s_xor_b64 s[6:7], exec, s[8:9]
	s_cbranch_execnz .LBB35_2505
; %bb.457:
	s_or_saveexec_b64 s[6:7], s[6:7]
	v_mov_b32_e32 v2, s10
	s_xor_b64 exec, exec, s[6:7]
	s_cbranch_execnz .LBB35_2508
.LBB35_458:
	s_or_b64 exec, exec, s[6:7]
	s_and_saveexec_b64 s[6:7], s[4:5]
	s_cbranch_execz .LBB35_460
.LBB35_459:
	v_bfe_u32 v2, v8, 8, 3
	v_ffbh_u32_e32 v7, v2
	v_min_u32_e32 v7, 32, v7
	v_lshrrev_b16_e32 v6, 3, v3
	v_subrev_u32_e32 v10, 28, v7
	v_and_b32_e32 v6, 15, v6
	v_lshlrev_b32_e32 v3, v10, v3
	v_sub_u32_e32 v7, 29, v7
	v_and_b32_e32 v3, 7, v3
	v_cmp_eq_u16_e32 vcc, 0, v6
	v_cndmask_b32_e32 v2, v2, v3, vcc
	v_cndmask_b32_e32 v3, v6, v7, vcc
	v_lshlrev_b32_e32 v6, 16, v8
	v_mov_b32_e32 v7, 0x3b800000
	v_lshlrev_b32_e32 v2, 20, v2
	v_and_b32_e32 v6, 0x80000000, v6
	v_lshl_add_u32 v3, v3, 23, v7
	v_or3_b32 v2, v6, v3, v2
.LBB35_460:
	s_or_b64 exec, exec, s[6:7]
	v_lshrrev_b32_e32 v3, 8, v4
	s_movk_i32 s4, 0x7f
	v_cmp_gt_i16_sdwa s[6:7], v3, s4 src0_sel:BYTE_0 src1_sel:DWORD
	s_mov_b64 s[4:5], 0
                                        ; implicit-def: $sgpr10
	s_and_saveexec_b64 s[8:9], s[6:7]
	s_xor_b64 s[6:7], exec, s[8:9]
	s_cbranch_execnz .LBB35_2509
; %bb.461:
	s_or_saveexec_b64 s[6:7], s[6:7]
	v_mov_b32_e32 v6, s10
	s_xor_b64 exec, exec, s[6:7]
	s_cbranch_execnz .LBB35_2512
.LBB35_462:
	s_or_b64 exec, exec, s[6:7]
	s_and_saveexec_b64 s[6:7], s[4:5]
	s_cbranch_execz .LBB35_464
.LBB35_463:
	v_bfe_u32 v6, v4, 8, 3
	v_ffbh_u32_e32 v10, v6
	v_min_u32_e32 v10, 32, v10
	v_lshrrev_b16_e32 v7, 3, v3
	v_subrev_u32_e32 v11, 28, v10
	v_and_b32_e32 v7, 15, v7
	v_lshlrev_b32_e32 v3, v11, v3
	v_sub_u32_e32 v10, 29, v10
	v_and_b32_e32 v3, 7, v3
	v_cmp_eq_u16_e32 vcc, 0, v7
	v_cndmask_b32_e32 v3, v6, v3, vcc
	v_cndmask_b32_e32 v6, v7, v10, vcc
	v_lshlrev_b32_e32 v7, 16, v4
	v_mov_b32_e32 v10, 0x3b800000
	v_lshlrev_b32_e32 v3, 20, v3
	v_and_b32_e32 v7, 0x80000000, v7
	v_lshl_add_u32 v6, v6, 23, v10
	v_or3_b32 v6, v7, v6, v3
.LBB35_464:
	s_or_b64 exec, exec, s[6:7]
	s_nop 0
	v_mfma_f32_16x16x4f32 a[0:3], v2, v6, a[0:3]
	s_movk_i32 s4, 0xff
	v_and_b32_sdwa v3, v8, s4 dst_sel:DWORD dst_unused:UNUSED_PAD src0_sel:WORD_1 src1_sel:DWORD
	s_movk_i32 s4, 0x7f
	v_cmp_lt_i16_e32 vcc, s4, v3
	s_mov_b64 s[4:5], 0
                                        ; implicit-def: $sgpr10
	s_and_saveexec_b64 s[6:7], vcc
	s_xor_b64 s[6:7], exec, s[6:7]
	s_cbranch_execnz .LBB35_2513
; %bb.465:
	s_or_saveexec_b64 s[6:7], s[6:7]
	v_mov_b32_e32 v2, s10
	s_xor_b64 exec, exec, s[6:7]
	s_cbranch_execnz .LBB35_2516
.LBB35_466:
	s_or_b64 exec, exec, s[6:7]
	s_and_saveexec_b64 s[6:7], s[4:5]
	s_cbranch_execz .LBB35_468
.LBB35_467:
	v_bfe_u32 v2, v8, 16, 3
	v_ffbh_u32_e32 v7, v2
	v_min_u32_e32 v7, 32, v7
	v_lshrrev_b32_e32 v3, 19, v8
	v_subrev_u32_e32 v10, 28, v7
	v_and_b32_e32 v3, 15, v3
	v_lshlrev_b32_sdwa v10, v10, v8 dst_sel:DWORD dst_unused:UNUSED_PAD src0_sel:DWORD src1_sel:WORD_1
	v_bfe_u32 v6, v8, 19, 4
	v_sub_u32_e32 v7, 29, v7
	v_and_b32_e32 v10, 7, v10
	v_cmp_eq_u16_e32 vcc, 0, v3
	v_cndmask_b32_e32 v2, v2, v10, vcc
	v_cndmask_b32_e32 v3, v6, v7, vcc
	v_lshlrev_b32_e32 v6, 8, v8
	v_mov_b32_e32 v7, 0x3b800000
	v_lshlrev_b32_e32 v2, 20, v2
	v_and_b32_e32 v6, 0x80000000, v6
	v_lshl_add_u32 v3, v3, 23, v7
	v_or3_b32 v2, v6, v3, v2
.LBB35_468:
	s_or_b64 exec, exec, s[6:7]
	s_movk_i32 s4, 0xff
	v_and_b32_sdwa v3, v4, s4 dst_sel:DWORD dst_unused:UNUSED_PAD src0_sel:WORD_1 src1_sel:DWORD
	s_movk_i32 s4, 0x7f
	v_cmp_lt_i16_e32 vcc, s4, v3
	s_mov_b64 s[4:5], 0
                                        ; implicit-def: $sgpr10
	s_and_saveexec_b64 s[6:7], vcc
	s_xor_b64 s[6:7], exec, s[6:7]
	s_cbranch_execnz .LBB35_2517
; %bb.469:
	s_or_saveexec_b64 s[6:7], s[6:7]
	v_mov_b32_e32 v6, s10
	s_xor_b64 exec, exec, s[6:7]
	s_cbranch_execnz .LBB35_2520
.LBB35_470:
	s_or_b64 exec, exec, s[6:7]
	s_and_saveexec_b64 s[6:7], s[4:5]
	s_cbranch_execz .LBB35_472
.LBB35_471:
	v_bfe_u32 v3, v4, 16, 3
	v_ffbh_u32_e32 v10, v3
	v_min_u32_e32 v10, 32, v10
	v_lshrrev_b32_e32 v6, 19, v4
	v_subrev_u32_e32 v11, 28, v10
	v_and_b32_e32 v6, 15, v6
	v_lshlrev_b32_sdwa v11, v11, v4 dst_sel:DWORD dst_unused:UNUSED_PAD src0_sel:DWORD src1_sel:WORD_1
	v_bfe_u32 v7, v4, 19, 4
	v_sub_u32_e32 v10, 29, v10
	v_and_b32_e32 v11, 7, v11
	v_cmp_eq_u16_e32 vcc, 0, v6
	v_cndmask_b32_e32 v3, v3, v11, vcc
	v_cndmask_b32_e32 v6, v7, v10, vcc
	v_lshlrev_b32_e32 v7, 8, v4
	v_mov_b32_e32 v10, 0x3b800000
	v_lshlrev_b32_e32 v3, 20, v3
	v_and_b32_e32 v7, 0x80000000, v7
	v_lshl_add_u32 v6, v6, 23, v10
	v_or3_b32 v6, v7, v6, v3
.LBB35_472:
	s_or_b64 exec, exec, s[6:7]
	s_nop 0
	v_mfma_f32_16x16x4f32 a[0:3], v2, v6, a[0:3]
	s_movk_i32 s4, 0x7f
	v_cmp_gt_i16_sdwa s[6:7], v8, s4 src0_sel:BYTE_3 src1_sel:DWORD
	s_mov_b64 s[4:5], 0
                                        ; implicit-def: $sgpr10
	s_and_saveexec_b64 s[8:9], s[6:7]
	s_xor_b64 s[6:7], exec, s[8:9]
	s_cbranch_execnz .LBB35_2521
; %bb.473:
	s_or_saveexec_b64 s[6:7], s[6:7]
	v_mov_b32_e32 v2, s10
	s_xor_b64 exec, exec, s[6:7]
	s_cbranch_execnz .LBB35_2524
.LBB35_474:
	s_or_b64 exec, exec, s[6:7]
	s_and_saveexec_b64 s[6:7], s[4:5]
	s_cbranch_execz .LBB35_476
.LBB35_475:
	v_bfe_u32 v2, v8, 24, 3
	v_ffbh_u32_e32 v10, v2
	v_min_u32_e32 v10, 32, v10
	v_lshrrev_b32_e32 v6, 27, v8
	v_subrev_u32_e32 v11, 28, v10
	v_and_b32_e32 v3, 0x80000000, v8
	v_and_b32_e32 v6, 15, v6
	v_bfe_u32 v7, v8, 27, 4
	v_lshlrev_b32_sdwa v8, v11, v8 dst_sel:DWORD dst_unused:UNUSED_PAD src0_sel:DWORD src1_sel:BYTE_3
	v_sub_u32_e32 v10, 29, v10
	v_and_b32_e32 v8, 7, v8
	v_cmp_eq_u16_e32 vcc, 0, v6
	v_cndmask_b32_e32 v2, v2, v8, vcc
	v_cndmask_b32_e32 v6, v7, v10, vcc
	v_mov_b32_e32 v7, 0x3b800000
	v_lshlrev_b32_e32 v2, 20, v2
	v_lshl_add_u32 v6, v6, 23, v7
	v_or3_b32 v2, v3, v6, v2
.LBB35_476:
	s_or_b64 exec, exec, s[6:7]
	s_movk_i32 s4, 0x7f
	v_cmp_gt_i16_sdwa s[6:7], v4, s4 src0_sel:BYTE_3 src1_sel:DWORD
	s_mov_b64 s[4:5], 0
                                        ; implicit-def: $sgpr10
	s_and_saveexec_b64 s[8:9], s[6:7]
	s_xor_b64 s[6:7], exec, s[8:9]
	s_cbranch_execnz .LBB35_2525
; %bb.477:
	s_or_saveexec_b64 s[6:7], s[6:7]
	v_mov_b32_e32 v3, s10
	s_xor_b64 exec, exec, s[6:7]
	s_cbranch_execnz .LBB35_2528
.LBB35_478:
	s_or_b64 exec, exec, s[6:7]
	s_and_saveexec_b64 s[6:7], s[4:5]
	s_cbranch_execz .LBB35_480
.LBB35_479:
	v_bfe_u32 v3, v4, 24, 3
	v_ffbh_u32_e32 v10, v3
	v_min_u32_e32 v10, 32, v10
	v_lshrrev_b32_e32 v7, 27, v4
	v_subrev_u32_e32 v11, 28, v10
	v_and_b32_e32 v6, 0x80000000, v4
	v_and_b32_e32 v7, 15, v7
	v_bfe_u32 v8, v4, 27, 4
	v_lshlrev_b32_sdwa v4, v11, v4 dst_sel:DWORD dst_unused:UNUSED_PAD src0_sel:DWORD src1_sel:BYTE_3
	v_sub_u32_e32 v10, 29, v10
	v_and_b32_e32 v4, 7, v4
	v_cmp_eq_u16_e32 vcc, 0, v7
	v_cndmask_b32_e32 v3, v3, v4, vcc
	v_cndmask_b32_e32 v4, v8, v10, vcc
	v_mov_b32_e32 v7, 0x3b800000
	v_lshlrev_b32_e32 v3, 20, v3
	v_lshl_add_u32 v4, v4, 23, v7
	v_or3_b32 v3, v6, v4, v3
.LBB35_480:
	s_or_b64 exec, exec, s[6:7]
	s_nop 0
	v_mfma_f32_16x16x4f32 a[0:3], v2, v3, a[0:3]
	s_movk_i32 s4, 0x7f
	v_cmp_gt_i16_sdwa s[6:7], v9, s4 src0_sel:BYTE_0 src1_sel:DWORD
	s_mov_b64 s[4:5], 0
                                        ; implicit-def: $sgpr10
	s_and_saveexec_b64 s[8:9], s[6:7]
	s_xor_b64 s[6:7], exec, s[8:9]
	s_cbranch_execnz .LBB35_2529
; %bb.481:
	s_or_saveexec_b64 s[6:7], s[6:7]
	v_mov_b32_e32 v2, s10
	s_xor_b64 exec, exec, s[6:7]
	s_cbranch_execnz .LBB35_2532
.LBB35_482:
	s_or_b64 exec, exec, s[6:7]
	s_and_saveexec_b64 s[6:7], s[4:5]
	s_cbranch_execz .LBB35_484
.LBB35_483:
	v_mov_b32_e32 v2, 8
	v_and_b32_e32 v3, 7, v9
	v_lshrrev_b32_sdwa v2, v2, v9 dst_sel:BYTE_1 dst_unused:UNUSED_PAD src0_sel:DWORD src1_sel:DWORD
	v_ffbh_u32_e32 v4, v3
	v_or_b32_sdwa v2, v9, v2 dst_sel:DWORD dst_unused:UNUSED_PAD src0_sel:BYTE_0 src1_sel:DWORD
	v_min_u32_e32 v4, 32, v4
	v_lshrrev_b16_e32 v2, 3, v2
	v_subrev_u32_e32 v6, 28, v4
	v_and_b32_e32 v2, 15, v2
	v_lshlrev_b32_e32 v6, v6, v9
	v_sub_u32_e32 v4, 29, v4
	v_and_b32_e32 v6, 7, v6
	v_cmp_eq_u16_e32 vcc, 0, v2
	v_cndmask_b32_e32 v3, v3, v6, vcc
	v_cndmask_b32_e32 v2, v2, v4, vcc
	v_lshlrev_b32_e32 v4, 24, v9
	v_mov_b32_e32 v6, 0x3b800000
	v_lshlrev_b32_e32 v3, 20, v3
	v_and_b32_e32 v4, 0x80000000, v4
	v_lshl_add_u32 v2, v2, 23, v6
	v_or3_b32 v2, v4, v2, v3
.LBB35_484:
	s_or_b64 exec, exec, s[6:7]
	s_movk_i32 s4, 0x7f
	v_cmp_gt_i16_sdwa s[6:7], v5, s4 src0_sel:BYTE_0 src1_sel:DWORD
	s_mov_b64 s[4:5], 0
                                        ; implicit-def: $sgpr10
	s_and_saveexec_b64 s[8:9], s[6:7]
	s_xor_b64 s[6:7], exec, s[8:9]
	s_cbranch_execnz .LBB35_2533
; %bb.485:
	s_or_saveexec_b64 s[6:7], s[6:7]
	v_mov_b32_e32 v3, s10
	s_xor_b64 exec, exec, s[6:7]
	s_cbranch_execnz .LBB35_2536
.LBB35_486:
	s_or_b64 exec, exec, s[6:7]
	s_and_saveexec_b64 s[6:7], s[4:5]
	s_cbranch_execz .LBB35_488
.LBB35_487:
	v_mov_b32_e32 v3, 8
	v_and_b32_e32 v4, 7, v5
	v_lshrrev_b32_sdwa v3, v3, v5 dst_sel:BYTE_1 dst_unused:UNUSED_PAD src0_sel:DWORD src1_sel:DWORD
	v_ffbh_u32_e32 v6, v4
	v_or_b32_sdwa v3, v5, v3 dst_sel:DWORD dst_unused:UNUSED_PAD src0_sel:BYTE_0 src1_sel:DWORD
	v_min_u32_e32 v6, 32, v6
	v_lshrrev_b16_e32 v3, 3, v3
	v_subrev_u32_e32 v7, 28, v6
	v_and_b32_e32 v3, 15, v3
	v_lshlrev_b32_e32 v7, v7, v5
	v_sub_u32_e32 v6, 29, v6
	v_and_b32_e32 v7, 7, v7
	v_cmp_eq_u16_e32 vcc, 0, v3
	v_cndmask_b32_e32 v4, v4, v7, vcc
	v_cndmask_b32_e32 v3, v3, v6, vcc
	v_lshlrev_b32_e32 v6, 24, v5
	v_mov_b32_e32 v7, 0x3b800000
	v_lshlrev_b32_e32 v4, 20, v4
	v_and_b32_e32 v6, 0x80000000, v6
	v_lshl_add_u32 v3, v3, 23, v7
	v_or3_b32 v3, v6, v3, v4
.LBB35_488:
	s_or_b64 exec, exec, s[6:7]
	s_nop 0
	v_mfma_f32_16x16x4f32 a[0:3], v2, v3, a[0:3]
	v_lshrrev_b32_e32 v3, 8, v9
	s_movk_i32 s4, 0x7f
	v_cmp_gt_i16_sdwa s[6:7], v3, s4 src0_sel:BYTE_0 src1_sel:DWORD
	s_mov_b64 s[4:5], 0
                                        ; implicit-def: $sgpr10
	s_and_saveexec_b64 s[8:9], s[6:7]
	s_xor_b64 s[6:7], exec, s[8:9]
	s_cbranch_execnz .LBB35_2537
; %bb.489:
	s_or_saveexec_b64 s[6:7], s[6:7]
	v_mov_b32_e32 v2, s10
	s_xor_b64 exec, exec, s[6:7]
	s_cbranch_execnz .LBB35_2540
.LBB35_490:
	s_or_b64 exec, exec, s[6:7]
	s_and_saveexec_b64 s[6:7], s[4:5]
	s_cbranch_execz .LBB35_492
.LBB35_491:
	v_bfe_u32 v2, v9, 8, 3
	v_ffbh_u32_e32 v6, v2
	v_min_u32_e32 v6, 32, v6
	v_lshrrev_b16_e32 v4, 3, v3
	v_subrev_u32_e32 v7, 28, v6
	v_and_b32_e32 v4, 15, v4
	v_lshlrev_b32_e32 v3, v7, v3
	v_sub_u32_e32 v6, 29, v6
	v_and_b32_e32 v3, 7, v3
	v_cmp_eq_u16_e32 vcc, 0, v4
	v_cndmask_b32_e32 v2, v2, v3, vcc
	v_cndmask_b32_e32 v3, v4, v6, vcc
	v_lshlrev_b32_e32 v4, 16, v9
	v_mov_b32_e32 v6, 0x3b800000
	v_lshlrev_b32_e32 v2, 20, v2
	v_and_b32_e32 v4, 0x80000000, v4
	v_lshl_add_u32 v3, v3, 23, v6
	v_or3_b32 v2, v4, v3, v2
.LBB35_492:
	s_or_b64 exec, exec, s[6:7]
	v_lshrrev_b32_e32 v3, 8, v5
	s_movk_i32 s4, 0x7f
	v_cmp_gt_i16_sdwa s[6:7], v3, s4 src0_sel:BYTE_0 src1_sel:DWORD
	s_mov_b64 s[4:5], 0
                                        ; implicit-def: $sgpr10
	s_and_saveexec_b64 s[8:9], s[6:7]
	s_xor_b64 s[6:7], exec, s[8:9]
	s_cbranch_execnz .LBB35_2541
; %bb.493:
	s_or_saveexec_b64 s[6:7], s[6:7]
	v_mov_b32_e32 v4, s10
	s_xor_b64 exec, exec, s[6:7]
	s_cbranch_execnz .LBB35_2544
.LBB35_494:
	s_or_b64 exec, exec, s[6:7]
	s_and_saveexec_b64 s[6:7], s[4:5]
	s_cbranch_execz .LBB35_496
.LBB35_495:
	v_bfe_u32 v4, v5, 8, 3
	v_ffbh_u32_e32 v7, v4
	v_min_u32_e32 v7, 32, v7
	v_lshrrev_b16_e32 v6, 3, v3
	v_subrev_u32_e32 v8, 28, v7
	v_and_b32_e32 v6, 15, v6
	v_lshlrev_b32_e32 v3, v8, v3
	v_sub_u32_e32 v7, 29, v7
	v_and_b32_e32 v3, 7, v3
	v_cmp_eq_u16_e32 vcc, 0, v6
	v_cndmask_b32_e32 v3, v4, v3, vcc
	v_cndmask_b32_e32 v4, v6, v7, vcc
	v_lshlrev_b32_e32 v6, 16, v5
	v_mov_b32_e32 v7, 0x3b800000
	v_lshlrev_b32_e32 v3, 20, v3
	v_and_b32_e32 v6, 0x80000000, v6
	v_lshl_add_u32 v4, v4, 23, v7
	v_or3_b32 v4, v6, v4, v3
.LBB35_496:
	s_or_b64 exec, exec, s[6:7]
	s_nop 0
	v_mfma_f32_16x16x4f32 a[0:3], v2, v4, a[0:3]
	s_movk_i32 s4, 0xff
	v_and_b32_sdwa v3, v9, s4 dst_sel:DWORD dst_unused:UNUSED_PAD src0_sel:WORD_1 src1_sel:DWORD
	s_movk_i32 s4, 0x7f
	v_cmp_lt_i16_e32 vcc, s4, v3
	s_mov_b64 s[4:5], 0
                                        ; implicit-def: $sgpr10
	s_and_saveexec_b64 s[6:7], vcc
	s_xor_b64 s[6:7], exec, s[6:7]
	s_cbranch_execnz .LBB35_2545
; %bb.497:
	s_or_saveexec_b64 s[6:7], s[6:7]
	v_mov_b32_e32 v2, s10
	s_xor_b64 exec, exec, s[6:7]
	s_cbranch_execnz .LBB35_2548
.LBB35_498:
	s_or_b64 exec, exec, s[6:7]
	s_and_saveexec_b64 s[6:7], s[4:5]
	s_cbranch_execz .LBB35_500
.LBB35_499:
	v_bfe_u32 v2, v9, 16, 3
	v_ffbh_u32_e32 v6, v2
	v_min_u32_e32 v6, 32, v6
	v_lshrrev_b32_e32 v3, 19, v9
	v_subrev_u32_e32 v7, 28, v6
	v_and_b32_e32 v3, 15, v3
	v_lshlrev_b32_sdwa v7, v7, v9 dst_sel:DWORD dst_unused:UNUSED_PAD src0_sel:DWORD src1_sel:WORD_1
	v_bfe_u32 v4, v9, 19, 4
	v_sub_u32_e32 v6, 29, v6
	v_and_b32_e32 v7, 7, v7
	v_cmp_eq_u16_e32 vcc, 0, v3
	v_cndmask_b32_e32 v2, v2, v7, vcc
	v_cndmask_b32_e32 v3, v4, v6, vcc
	v_lshlrev_b32_e32 v4, 8, v9
	v_mov_b32_e32 v6, 0x3b800000
	v_lshlrev_b32_e32 v2, 20, v2
	v_and_b32_e32 v4, 0x80000000, v4
	v_lshl_add_u32 v3, v3, 23, v6
	v_or3_b32 v2, v4, v3, v2
.LBB35_500:
	s_or_b64 exec, exec, s[6:7]
	s_movk_i32 s4, 0xff
	v_and_b32_sdwa v3, v5, s4 dst_sel:DWORD dst_unused:UNUSED_PAD src0_sel:WORD_1 src1_sel:DWORD
	s_movk_i32 s4, 0x7f
	v_cmp_lt_i16_e32 vcc, s4, v3
	s_mov_b64 s[4:5], 0
                                        ; implicit-def: $sgpr10
	s_and_saveexec_b64 s[6:7], vcc
	s_xor_b64 s[6:7], exec, s[6:7]
	s_cbranch_execnz .LBB35_2549
; %bb.501:
	s_or_saveexec_b64 s[6:7], s[6:7]
	v_mov_b32_e32 v4, s10
	s_xor_b64 exec, exec, s[6:7]
	s_cbranch_execnz .LBB35_2552
.LBB35_502:
	s_or_b64 exec, exec, s[6:7]
	s_and_saveexec_b64 s[6:7], s[4:5]
	s_cbranch_execz .LBB35_504
.LBB35_503:
	v_bfe_u32 v3, v5, 16, 3
	v_ffbh_u32_e32 v7, v3
	v_min_u32_e32 v7, 32, v7
	v_lshrrev_b32_e32 v4, 19, v5
	v_subrev_u32_e32 v8, 28, v7
	v_and_b32_e32 v4, 15, v4
	v_lshlrev_b32_sdwa v8, v8, v5 dst_sel:DWORD dst_unused:UNUSED_PAD src0_sel:DWORD src1_sel:WORD_1
	v_bfe_u32 v6, v5, 19, 4
	v_sub_u32_e32 v7, 29, v7
	v_and_b32_e32 v8, 7, v8
	v_cmp_eq_u16_e32 vcc, 0, v4
	v_cndmask_b32_e32 v3, v3, v8, vcc
	v_cndmask_b32_e32 v4, v6, v7, vcc
	v_lshlrev_b32_e32 v6, 8, v5
	v_mov_b32_e32 v7, 0x3b800000
	v_lshlrev_b32_e32 v3, 20, v3
	v_and_b32_e32 v6, 0x80000000, v6
	v_lshl_add_u32 v4, v4, 23, v7
	v_or3_b32 v4, v6, v4, v3
.LBB35_504:
	s_or_b64 exec, exec, s[6:7]
	s_nop 0
	v_mfma_f32_16x16x4f32 a[0:3], v2, v4, a[0:3]
	s_movk_i32 s4, 0x7f
	v_cmp_gt_i16_sdwa s[6:7], v9, s4 src0_sel:BYTE_3 src1_sel:DWORD
	s_mov_b64 s[4:5], 0
                                        ; implicit-def: $sgpr10
	s_and_saveexec_b64 s[8:9], s[6:7]
	s_xor_b64 s[6:7], exec, s[8:9]
	s_cbranch_execnz .LBB35_2553
; %bb.505:
	s_or_saveexec_b64 s[6:7], s[6:7]
	v_mov_b32_e32 v2, s10
	s_xor_b64 exec, exec, s[6:7]
	s_cbranch_execnz .LBB35_2556
.LBB35_506:
	s_or_b64 exec, exec, s[6:7]
	s_and_saveexec_b64 s[6:7], s[4:5]
	s_cbranch_execz .LBB35_508
.LBB35_507:
	v_bfe_u32 v2, v9, 24, 3
	v_ffbh_u32_e32 v7, v2
	v_min_u32_e32 v7, 32, v7
	v_lshrrev_b32_e32 v4, 27, v9
	v_subrev_u32_e32 v8, 28, v7
	v_and_b32_e32 v4, 15, v4
	v_lshlrev_b32_sdwa v8, v8, v9 dst_sel:DWORD dst_unused:UNUSED_PAD src0_sel:DWORD src1_sel:BYTE_3
	v_bfe_u32 v6, v9, 27, 4
	v_sub_u32_e32 v7, 29, v7
	v_and_b32_e32 v8, 7, v8
	v_cmp_eq_u16_e32 vcc, 0, v4
	v_cndmask_b32_e32 v2, v2, v8, vcc
	v_cndmask_b32_e32 v4, v6, v7, vcc
	v_mov_b32_e32 v6, 0x3b800000
	v_and_b32_e32 v3, 0x80000000, v9
	v_lshlrev_b32_e32 v2, 20, v2
	v_lshl_add_u32 v4, v4, 23, v6
	v_or3_b32 v2, v3, v4, v2
.LBB35_508:
	s_or_b64 exec, exec, s[6:7]
	s_movk_i32 s4, 0x7f
	v_cmp_gt_i16_sdwa s[6:7], v5, s4 src0_sel:BYTE_3 src1_sel:DWORD
	s_mov_b64 s[4:5], 0
                                        ; implicit-def: $sgpr10
	s_and_saveexec_b64 s[8:9], s[6:7]
	s_xor_b64 s[6:7], exec, s[8:9]
	s_cbranch_execnz .LBB35_2557
; %bb.509:
	s_or_saveexec_b64 s[6:7], s[6:7]
	v_mov_b32_e32 v3, s10
	s_xor_b64 exec, exec, s[6:7]
	s_cbranch_execnz .LBB35_2560
.LBB35_510:
	s_or_b64 exec, exec, s[6:7]
	s_and_saveexec_b64 s[6:7], s[4:5]
	s_cbranch_execz .LBB35_512
.LBB35_511:
	v_bfe_u32 v3, v5, 24, 3
	v_ffbh_u32_e32 v8, v3
	v_min_u32_e32 v8, 32, v8
	v_lshrrev_b32_e32 v6, 27, v5
	v_subrev_u32_e32 v9, 28, v8
	v_and_b32_e32 v4, 0x80000000, v5
	v_and_b32_e32 v6, 15, v6
	v_bfe_u32 v7, v5, 27, 4
	v_lshlrev_b32_sdwa v5, v9, v5 dst_sel:DWORD dst_unused:UNUSED_PAD src0_sel:DWORD src1_sel:BYTE_3
	v_sub_u32_e32 v8, 29, v8
	v_and_b32_e32 v5, 7, v5
	v_cmp_eq_u16_e32 vcc, 0, v6
	v_cndmask_b32_e32 v3, v3, v5, vcc
	v_cndmask_b32_e32 v5, v7, v8, vcc
	v_mov_b32_e32 v6, 0x3b800000
	v_lshlrev_b32_e32 v3, 20, v3
	v_lshl_add_u32 v5, v5, 23, v6
	v_or3_b32 v3, v4, v5, v3
.LBB35_512:
	s_or_b64 exec, exec, s[6:7]
	s_nop 0
	v_mfma_f32_16x16x4f32 a[0:3], v2, v3, a[0:3]
	s_movk_i32 s4, 0x7f
                                        ; implicit-def: $sgpr10
	s_nop 7
	s_nop 1
	flat_store_dwordx4 v[18:19], a[0:3] offset:912
	flat_load_dwordx4 v[20:23], v[0:1] offset:16
	s_nop 0
	flat_load_dwordx2 v[18:19], v[0:1] offset:32
	s_waitcnt vmcnt(0) lgkmcnt(0)
	flat_load_dwordx4 v[14:17], v[20:21] offset:32
	flat_load_dwordx4 v[6:9], v[20:21] offset:48
	;; [unrolled: 1-line block ×4, first 2 shown]
	s_waitcnt vmcnt(0) lgkmcnt(0)
	v_cmp_gt_i16_sdwa s[6:7], v14, s4 src0_sel:BYTE_0 src1_sel:DWORD
	s_mov_b64 s[4:5], 0
	s_and_saveexec_b64 s[8:9], s[6:7]
	s_xor_b64 s[6:7], exec, s[8:9]
	s_cbranch_execnz .LBB35_2561
; %bb.513:
	s_or_saveexec_b64 s[6:7], s[6:7]
	v_mov_b32_e32 v20, s10
	s_xor_b64 exec, exec, s[6:7]
	s_cbranch_execnz .LBB35_2564
.LBB35_514:
	s_or_b64 exec, exec, s[6:7]
	s_and_saveexec_b64 s[6:7], s[4:5]
	s_cbranch_execz .LBB35_516
.LBB35_515:
	v_and_b32_e32 v20, 7, v14
	v_ffbh_u32_e32 v22, v20
	v_min_u32_e32 v22, 32, v22
	v_lshrrev_b16_e32 v21, 3, v14
	v_subrev_u32_e32 v23, 28, v22
	v_and_b32_e32 v21, 15, v21
	v_lshlrev_b32_e32 v23, v23, v14
	v_sub_u32_e32 v22, 29, v22
	v_and_b32_e32 v23, 7, v23
	v_cmp_eq_u16_e32 vcc, 0, v21
	v_cndmask_b32_e32 v20, v20, v23, vcc
	v_cndmask_b32_e32 v21, v21, v22, vcc
	v_lshlrev_b32_e32 v22, 24, v14
	v_mov_b32_e32 v23, 0x3b800000
	v_lshlrev_b32_e32 v20, 20, v20
	v_and_b32_e32 v22, 0x80000000, v22
	v_lshl_add_u32 v21, v21, 23, v23
	v_or3_b32 v20, v22, v21, v20
.LBB35_516:
	s_or_b64 exec, exec, s[6:7]
	s_movk_i32 s4, 0x7f
	v_cmp_gt_i16_sdwa s[6:7], v10, s4 src0_sel:BYTE_0 src1_sel:DWORD
	s_mov_b64 s[4:5], 0
                                        ; implicit-def: $sgpr10
	s_and_saveexec_b64 s[8:9], s[6:7]
	s_xor_b64 s[6:7], exec, s[8:9]
	s_cbranch_execnz .LBB35_2565
; %bb.517:
	s_or_saveexec_b64 s[6:7], s[6:7]
	v_mov_b32_e32 v21, s10
	s_xor_b64 exec, exec, s[6:7]
	s_cbranch_execnz .LBB35_2568
.LBB35_518:
	s_or_b64 exec, exec, s[6:7]
	s_and_saveexec_b64 s[6:7], s[4:5]
	s_cbranch_execz .LBB35_520
.LBB35_519:
	v_and_b32_e32 v21, 7, v10
	v_ffbh_u32_e32 v23, v21
	v_min_u32_e32 v23, 32, v23
	v_lshrrev_b16_e32 v22, 3, v10
	v_subrev_u32_e32 v24, 28, v23
	v_and_b32_e32 v22, 15, v22
	v_lshlrev_b32_e32 v24, v24, v10
	v_sub_u32_e32 v23, 29, v23
	v_and_b32_e32 v24, 7, v24
	v_cmp_eq_u16_e32 vcc, 0, v22
	v_cndmask_b32_e32 v21, v21, v24, vcc
	v_cndmask_b32_e32 v22, v22, v23, vcc
	v_lshlrev_b32_e32 v23, 24, v10
	v_mov_b32_e32 v24, 0x3b800000
	v_lshlrev_b32_e32 v21, 20, v21
	v_and_b32_e32 v23, 0x80000000, v23
	v_lshl_add_u32 v22, v22, 23, v24
	v_or3_b32 v21, v23, v22, v21
.LBB35_520:
	s_or_b64 exec, exec, s[6:7]
	flat_load_dwordx4 a[0:3], v[18:19] offset:928
	s_movk_i32 s4, 0x7f
                                        ; implicit-def: $sgpr10
	s_waitcnt vmcnt(0) lgkmcnt(0)
	v_mfma_f32_16x16x4f32 a[0:3], v20, v21, a[0:3]
	v_lshrrev_b32_e32 v21, 8, v14
	v_cmp_gt_i16_sdwa s[6:7], v21, s4 src0_sel:BYTE_0 src1_sel:DWORD
	s_mov_b64 s[4:5], 0
	s_and_saveexec_b64 s[8:9], s[6:7]
	s_xor_b64 s[6:7], exec, s[8:9]
	s_cbranch_execnz .LBB35_2569
; %bb.521:
	s_or_saveexec_b64 s[6:7], s[6:7]
	v_mov_b32_e32 v20, s10
	s_xor_b64 exec, exec, s[6:7]
	s_cbranch_execnz .LBB35_2572
.LBB35_522:
	s_or_b64 exec, exec, s[6:7]
	s_and_saveexec_b64 s[6:7], s[4:5]
	s_cbranch_execz .LBB35_524
.LBB35_523:
	v_bfe_u32 v20, v14, 8, 3
	v_ffbh_u32_e32 v23, v20
	v_min_u32_e32 v23, 32, v23
	v_lshrrev_b16_e32 v22, 3, v21
	v_subrev_u32_e32 v24, 28, v23
	v_and_b32_e32 v22, 15, v22
	v_lshlrev_b32_e32 v21, v24, v21
	v_sub_u32_e32 v23, 29, v23
	v_and_b32_e32 v21, 7, v21
	v_cmp_eq_u16_e32 vcc, 0, v22
	v_cndmask_b32_e32 v20, v20, v21, vcc
	v_cndmask_b32_e32 v21, v22, v23, vcc
	v_lshlrev_b32_e32 v22, 16, v14
	v_mov_b32_e32 v23, 0x3b800000
	v_lshlrev_b32_e32 v20, 20, v20
	v_and_b32_e32 v22, 0x80000000, v22
	v_lshl_add_u32 v21, v21, 23, v23
	v_or3_b32 v20, v22, v21, v20
.LBB35_524:
	s_or_b64 exec, exec, s[6:7]
	v_lshrrev_b32_e32 v21, 8, v10
	s_movk_i32 s4, 0x7f
	v_cmp_gt_i16_sdwa s[6:7], v21, s4 src0_sel:BYTE_0 src1_sel:DWORD
	s_mov_b64 s[4:5], 0
                                        ; implicit-def: $sgpr10
	s_and_saveexec_b64 s[8:9], s[6:7]
	s_xor_b64 s[6:7], exec, s[8:9]
	s_cbranch_execnz .LBB35_2573
; %bb.525:
	s_or_saveexec_b64 s[6:7], s[6:7]
	v_mov_b32_e32 v22, s10
	s_xor_b64 exec, exec, s[6:7]
	s_cbranch_execnz .LBB35_2576
.LBB35_526:
	s_or_b64 exec, exec, s[6:7]
	s_and_saveexec_b64 s[6:7], s[4:5]
	s_cbranch_execz .LBB35_528
.LBB35_527:
	v_bfe_u32 v22, v10, 8, 3
	v_ffbh_u32_e32 v24, v22
	v_min_u32_e32 v24, 32, v24
	v_lshrrev_b16_e32 v23, 3, v21
	v_subrev_u32_e32 v25, 28, v24
	v_and_b32_e32 v23, 15, v23
	v_lshlrev_b32_e32 v21, v25, v21
	v_sub_u32_e32 v24, 29, v24
	v_and_b32_e32 v21, 7, v21
	v_cmp_eq_u16_e32 vcc, 0, v23
	v_cndmask_b32_e32 v21, v22, v21, vcc
	v_cndmask_b32_e32 v22, v23, v24, vcc
	v_lshlrev_b32_e32 v23, 16, v10
	v_mov_b32_e32 v24, 0x3b800000
	v_lshlrev_b32_e32 v21, 20, v21
	v_and_b32_e32 v23, 0x80000000, v23
	v_lshl_add_u32 v22, v22, 23, v24
	v_or3_b32 v22, v23, v22, v21
.LBB35_528:
	s_or_b64 exec, exec, s[6:7]
	s_nop 0
	v_mfma_f32_16x16x4f32 a[0:3], v20, v22, a[0:3]
	s_movk_i32 s4, 0xff
	v_and_b32_sdwa v21, v14, s4 dst_sel:DWORD dst_unused:UNUSED_PAD src0_sel:WORD_1 src1_sel:DWORD
	s_movk_i32 s4, 0x7f
	v_cmp_lt_i16_e32 vcc, s4, v21
	s_mov_b64 s[4:5], 0
                                        ; implicit-def: $sgpr10
	s_and_saveexec_b64 s[6:7], vcc
	s_xor_b64 s[6:7], exec, s[6:7]
	s_cbranch_execnz .LBB35_2577
; %bb.529:
	s_or_saveexec_b64 s[6:7], s[6:7]
	v_mov_b32_e32 v20, s10
	s_xor_b64 exec, exec, s[6:7]
	s_cbranch_execnz .LBB35_2580
.LBB35_530:
	s_or_b64 exec, exec, s[6:7]
	s_and_saveexec_b64 s[6:7], s[4:5]
	s_cbranch_execz .LBB35_532
.LBB35_531:
	v_bfe_u32 v20, v14, 16, 3
	v_ffbh_u32_e32 v23, v20
	v_min_u32_e32 v23, 32, v23
	v_lshrrev_b32_e32 v21, 19, v14
	v_subrev_u32_e32 v24, 28, v23
	v_and_b32_e32 v21, 15, v21
	v_lshlrev_b32_sdwa v24, v24, v14 dst_sel:DWORD dst_unused:UNUSED_PAD src0_sel:DWORD src1_sel:WORD_1
	v_bfe_u32 v22, v14, 19, 4
	v_sub_u32_e32 v23, 29, v23
	v_and_b32_e32 v24, 7, v24
	v_cmp_eq_u16_e32 vcc, 0, v21
	v_cndmask_b32_e32 v20, v20, v24, vcc
	v_cndmask_b32_e32 v21, v22, v23, vcc
	v_lshlrev_b32_e32 v22, 8, v14
	v_mov_b32_e32 v23, 0x3b800000
	v_lshlrev_b32_e32 v20, 20, v20
	v_and_b32_e32 v22, 0x80000000, v22
	v_lshl_add_u32 v21, v21, 23, v23
	v_or3_b32 v20, v22, v21, v20
.LBB35_532:
	s_or_b64 exec, exec, s[6:7]
	s_movk_i32 s4, 0xff
	v_and_b32_sdwa v21, v10, s4 dst_sel:DWORD dst_unused:UNUSED_PAD src0_sel:WORD_1 src1_sel:DWORD
	s_movk_i32 s4, 0x7f
	v_cmp_lt_i16_e32 vcc, s4, v21
	s_mov_b64 s[4:5], 0
                                        ; implicit-def: $sgpr10
	s_and_saveexec_b64 s[6:7], vcc
	s_xor_b64 s[6:7], exec, s[6:7]
	s_cbranch_execnz .LBB35_2581
; %bb.533:
	s_or_saveexec_b64 s[6:7], s[6:7]
	v_mov_b32_e32 v22, s10
	s_xor_b64 exec, exec, s[6:7]
	s_cbranch_execnz .LBB35_2584
.LBB35_534:
	s_or_b64 exec, exec, s[6:7]
	s_and_saveexec_b64 s[6:7], s[4:5]
	s_cbranch_execz .LBB35_536
.LBB35_535:
	v_bfe_u32 v21, v10, 16, 3
	v_ffbh_u32_e32 v24, v21
	v_min_u32_e32 v24, 32, v24
	v_lshrrev_b32_e32 v22, 19, v10
	v_subrev_u32_e32 v25, 28, v24
	v_and_b32_e32 v22, 15, v22
	v_lshlrev_b32_sdwa v25, v25, v10 dst_sel:DWORD dst_unused:UNUSED_PAD src0_sel:DWORD src1_sel:WORD_1
	v_bfe_u32 v23, v10, 19, 4
	v_sub_u32_e32 v24, 29, v24
	v_and_b32_e32 v25, 7, v25
	v_cmp_eq_u16_e32 vcc, 0, v22
	v_cndmask_b32_e32 v21, v21, v25, vcc
	v_cndmask_b32_e32 v22, v23, v24, vcc
	v_lshlrev_b32_e32 v23, 8, v10
	v_mov_b32_e32 v24, 0x3b800000
	v_lshlrev_b32_e32 v21, 20, v21
	v_and_b32_e32 v23, 0x80000000, v23
	v_lshl_add_u32 v22, v22, 23, v24
	v_or3_b32 v22, v23, v22, v21
.LBB35_536:
	s_or_b64 exec, exec, s[6:7]
	s_nop 0
	v_mfma_f32_16x16x4f32 a[0:3], v20, v22, a[0:3]
	s_movk_i32 s4, 0x7f
	v_cmp_gt_i16_sdwa s[6:7], v14, s4 src0_sel:BYTE_3 src1_sel:DWORD
	s_mov_b64 s[4:5], 0
                                        ; implicit-def: $sgpr10
	s_and_saveexec_b64 s[8:9], s[6:7]
	s_xor_b64 s[6:7], exec, s[8:9]
	s_cbranch_execnz .LBB35_2585
; %bb.537:
	s_or_saveexec_b64 s[6:7], s[6:7]
	v_mov_b32_e32 v20, s10
	s_xor_b64 exec, exec, s[6:7]
	s_cbranch_execnz .LBB35_2588
.LBB35_538:
	s_or_b64 exec, exec, s[6:7]
	s_and_saveexec_b64 s[6:7], s[4:5]
	s_cbranch_execz .LBB35_540
.LBB35_539:
	v_bfe_u32 v20, v14, 24, 3
	v_ffbh_u32_e32 v24, v20
	v_min_u32_e32 v24, 32, v24
	v_lshrrev_b32_e32 v22, 27, v14
	v_subrev_u32_e32 v25, 28, v24
	v_and_b32_e32 v21, 0x80000000, v14
	v_and_b32_e32 v22, 15, v22
	v_bfe_u32 v23, v14, 27, 4
	v_lshlrev_b32_sdwa v14, v25, v14 dst_sel:DWORD dst_unused:UNUSED_PAD src0_sel:DWORD src1_sel:BYTE_3
	v_sub_u32_e32 v24, 29, v24
	v_and_b32_e32 v14, 7, v14
	v_cmp_eq_u16_e32 vcc, 0, v22
	v_cndmask_b32_e32 v14, v20, v14, vcc
	v_cndmask_b32_e32 v20, v23, v24, vcc
	v_mov_b32_e32 v22, 0x3b800000
	v_lshlrev_b32_e32 v14, 20, v14
	v_lshl_add_u32 v20, v20, 23, v22
	v_or3_b32 v20, v21, v20, v14
.LBB35_540:
	s_or_b64 exec, exec, s[6:7]
	s_movk_i32 s4, 0x7f
	v_cmp_gt_i16_sdwa s[6:7], v10, s4 src0_sel:BYTE_3 src1_sel:DWORD
	s_mov_b64 s[4:5], 0
                                        ; implicit-def: $sgpr10
	s_and_saveexec_b64 s[8:9], s[6:7]
	s_xor_b64 s[6:7], exec, s[8:9]
	s_cbranch_execnz .LBB35_2589
; %bb.541:
	s_or_saveexec_b64 s[6:7], s[6:7]
	v_mov_b32_e32 v14, s10
	s_xor_b64 exec, exec, s[6:7]
	s_cbranch_execnz .LBB35_2592
.LBB35_542:
	s_or_b64 exec, exec, s[6:7]
	s_and_saveexec_b64 s[6:7], s[4:5]
	s_cbranch_execz .LBB35_544
.LBB35_543:
	v_bfe_u32 v14, v10, 24, 3
	v_ffbh_u32_e32 v24, v14
	v_min_u32_e32 v24, 32, v24
	v_lshrrev_b32_e32 v22, 27, v10
	v_subrev_u32_e32 v25, 28, v24
	v_and_b32_e32 v21, 0x80000000, v10
	v_and_b32_e32 v22, 15, v22
	v_bfe_u32 v23, v10, 27, 4
	v_lshlrev_b32_sdwa v10, v25, v10 dst_sel:DWORD dst_unused:UNUSED_PAD src0_sel:DWORD src1_sel:BYTE_3
	v_sub_u32_e32 v24, 29, v24
	v_and_b32_e32 v10, 7, v10
	v_cmp_eq_u16_e32 vcc, 0, v22
	v_cndmask_b32_e32 v10, v14, v10, vcc
	v_cndmask_b32_e32 v14, v23, v24, vcc
	v_mov_b32_e32 v22, 0x3b800000
	v_lshlrev_b32_e32 v10, 20, v10
	v_lshl_add_u32 v14, v14, 23, v22
	v_or3_b32 v14, v21, v14, v10
.LBB35_544:
	s_or_b64 exec, exec, s[6:7]
	s_nop 0
	v_mfma_f32_16x16x4f32 a[0:3], v20, v14, a[0:3]
	s_movk_i32 s4, 0x7f
	v_cmp_gt_i16_sdwa s[6:7], v15, s4 src0_sel:BYTE_0 src1_sel:DWORD
	s_mov_b64 s[4:5], 0
                                        ; implicit-def: $sgpr10
	s_and_saveexec_b64 s[8:9], s[6:7]
	s_xor_b64 s[6:7], exec, s[8:9]
	s_cbranch_execnz .LBB35_2593
; %bb.545:
	s_or_saveexec_b64 s[6:7], s[6:7]
	v_mov_b32_e32 v10, s10
	s_xor_b64 exec, exec, s[6:7]
	s_cbranch_execnz .LBB35_2596
.LBB35_546:
	s_or_b64 exec, exec, s[6:7]
	s_and_saveexec_b64 s[6:7], s[4:5]
	s_cbranch_execz .LBB35_548
.LBB35_547:
	v_and_b32_e32 v10, 7, v15
	v_ffbh_u32_e32 v20, v10
	v_min_u32_e32 v20, 32, v20
	v_lshrrev_b16_e32 v14, 3, v15
	v_subrev_u32_e32 v21, 28, v20
	v_and_b32_e32 v14, 15, v14
	v_lshlrev_b32_e32 v21, v21, v15
	v_sub_u32_e32 v20, 29, v20
	v_and_b32_e32 v21, 7, v21
	v_cmp_eq_u16_e32 vcc, 0, v14
	v_cndmask_b32_e32 v10, v10, v21, vcc
	v_cndmask_b32_e32 v14, v14, v20, vcc
	v_lshlrev_b32_e32 v20, 24, v15
	v_mov_b32_e32 v21, 0x3b800000
	v_lshlrev_b32_e32 v10, 20, v10
	v_and_b32_e32 v20, 0x80000000, v20
	v_lshl_add_u32 v14, v14, 23, v21
	v_or3_b32 v10, v20, v14, v10
.LBB35_548:
	s_or_b64 exec, exec, s[6:7]
	s_movk_i32 s4, 0x7f
	v_cmp_gt_i16_sdwa s[6:7], v11, s4 src0_sel:BYTE_0 src1_sel:DWORD
	s_mov_b64 s[4:5], 0
                                        ; implicit-def: $sgpr10
	s_and_saveexec_b64 s[8:9], s[6:7]
	s_xor_b64 s[6:7], exec, s[8:9]
	s_cbranch_execnz .LBB35_2597
; %bb.549:
	s_or_saveexec_b64 s[6:7], s[6:7]
	v_mov_b32_e32 v14, s10
	s_xor_b64 exec, exec, s[6:7]
	s_cbranch_execnz .LBB35_2600
.LBB35_550:
	s_or_b64 exec, exec, s[6:7]
	s_and_saveexec_b64 s[6:7], s[4:5]
	s_cbranch_execz .LBB35_552
.LBB35_551:
	v_and_b32_e32 v14, 7, v11
	v_ffbh_u32_e32 v21, v14
	v_min_u32_e32 v21, 32, v21
	v_lshrrev_b16_e32 v20, 3, v11
	v_subrev_u32_e32 v22, 28, v21
	v_and_b32_e32 v20, 15, v20
	v_lshlrev_b32_e32 v22, v22, v11
	v_sub_u32_e32 v21, 29, v21
	v_and_b32_e32 v22, 7, v22
	v_cmp_eq_u16_e32 vcc, 0, v20
	v_cndmask_b32_e32 v14, v14, v22, vcc
	v_cndmask_b32_e32 v20, v20, v21, vcc
	v_lshlrev_b32_e32 v21, 24, v11
	v_mov_b32_e32 v22, 0x3b800000
	v_lshlrev_b32_e32 v14, 20, v14
	v_and_b32_e32 v21, 0x80000000, v21
	v_lshl_add_u32 v20, v20, 23, v22
	v_or3_b32 v14, v21, v20, v14
.LBB35_552:
	s_or_b64 exec, exec, s[6:7]
	s_nop 0
	v_mfma_f32_16x16x4f32 a[0:3], v10, v14, a[0:3]
	v_lshrrev_b32_e32 v14, 8, v15
	s_movk_i32 s4, 0x7f
	v_cmp_gt_i16_sdwa s[6:7], v14, s4 src0_sel:BYTE_0 src1_sel:DWORD
	s_mov_b64 s[4:5], 0
                                        ; implicit-def: $sgpr10
	s_and_saveexec_b64 s[8:9], s[6:7]
	s_xor_b64 s[6:7], exec, s[8:9]
	s_cbranch_execnz .LBB35_2601
; %bb.553:
	s_or_saveexec_b64 s[6:7], s[6:7]
	v_mov_b32_e32 v10, s10
	s_xor_b64 exec, exec, s[6:7]
	s_cbranch_execnz .LBB35_2604
.LBB35_554:
	s_or_b64 exec, exec, s[6:7]
	s_and_saveexec_b64 s[6:7], s[4:5]
	s_cbranch_execz .LBB35_556
.LBB35_555:
	v_bfe_u32 v10, v15, 8, 3
	v_ffbh_u32_e32 v21, v10
	v_min_u32_e32 v21, 32, v21
	v_lshrrev_b16_e32 v20, 3, v14
	v_subrev_u32_e32 v22, 28, v21
	v_and_b32_e32 v20, 15, v20
	v_lshlrev_b32_e32 v14, v22, v14
	v_sub_u32_e32 v21, 29, v21
	v_and_b32_e32 v14, 7, v14
	v_cmp_eq_u16_e32 vcc, 0, v20
	v_cndmask_b32_e32 v10, v10, v14, vcc
	v_cndmask_b32_e32 v14, v20, v21, vcc
	v_lshlrev_b32_e32 v20, 16, v15
	v_mov_b32_e32 v21, 0x3b800000
	v_lshlrev_b32_e32 v10, 20, v10
	v_and_b32_e32 v20, 0x80000000, v20
	v_lshl_add_u32 v14, v14, 23, v21
	v_or3_b32 v10, v20, v14, v10
.LBB35_556:
	s_or_b64 exec, exec, s[6:7]
	v_lshrrev_b32_e32 v14, 8, v11
	s_movk_i32 s4, 0x7f
	v_cmp_gt_i16_sdwa s[6:7], v14, s4 src0_sel:BYTE_0 src1_sel:DWORD
	s_mov_b64 s[4:5], 0
                                        ; implicit-def: $sgpr10
	s_and_saveexec_b64 s[8:9], s[6:7]
	s_xor_b64 s[6:7], exec, s[8:9]
	s_cbranch_execnz .LBB35_2605
; %bb.557:
	s_or_saveexec_b64 s[6:7], s[6:7]
	v_mov_b32_e32 v20, s10
	s_xor_b64 exec, exec, s[6:7]
	s_cbranch_execnz .LBB35_2608
.LBB35_558:
	s_or_b64 exec, exec, s[6:7]
	s_and_saveexec_b64 s[6:7], s[4:5]
	s_cbranch_execz .LBB35_560
.LBB35_559:
	v_bfe_u32 v20, v11, 8, 3
	v_ffbh_u32_e32 v22, v20
	v_min_u32_e32 v22, 32, v22
	v_lshrrev_b16_e32 v21, 3, v14
	v_subrev_u32_e32 v23, 28, v22
	v_and_b32_e32 v21, 15, v21
	v_lshlrev_b32_e32 v14, v23, v14
	v_sub_u32_e32 v22, 29, v22
	v_and_b32_e32 v14, 7, v14
	v_cmp_eq_u16_e32 vcc, 0, v21
	v_cndmask_b32_e32 v14, v20, v14, vcc
	v_cndmask_b32_e32 v20, v21, v22, vcc
	v_lshlrev_b32_e32 v21, 16, v11
	v_mov_b32_e32 v22, 0x3b800000
	v_lshlrev_b32_e32 v14, 20, v14
	v_and_b32_e32 v21, 0x80000000, v21
	v_lshl_add_u32 v20, v20, 23, v22
	v_or3_b32 v20, v21, v20, v14
.LBB35_560:
	s_or_b64 exec, exec, s[6:7]
	s_nop 0
	v_mfma_f32_16x16x4f32 a[0:3], v10, v20, a[0:3]
	s_movk_i32 s4, 0xff
	v_and_b32_sdwa v14, v15, s4 dst_sel:DWORD dst_unused:UNUSED_PAD src0_sel:WORD_1 src1_sel:DWORD
	s_movk_i32 s4, 0x7f
	v_cmp_lt_i16_e32 vcc, s4, v14
	s_mov_b64 s[4:5], 0
                                        ; implicit-def: $sgpr10
	s_and_saveexec_b64 s[6:7], vcc
	s_xor_b64 s[6:7], exec, s[6:7]
	s_cbranch_execnz .LBB35_2609
; %bb.561:
	s_or_saveexec_b64 s[6:7], s[6:7]
	v_mov_b32_e32 v10, s10
	s_xor_b64 exec, exec, s[6:7]
	s_cbranch_execnz .LBB35_2612
.LBB35_562:
	s_or_b64 exec, exec, s[6:7]
	s_and_saveexec_b64 s[6:7], s[4:5]
	s_cbranch_execz .LBB35_564
.LBB35_563:
	v_bfe_u32 v10, v15, 16, 3
	v_ffbh_u32_e32 v21, v10
	v_min_u32_e32 v21, 32, v21
	v_lshrrev_b32_e32 v14, 19, v15
	v_subrev_u32_e32 v22, 28, v21
	v_and_b32_e32 v14, 15, v14
	v_lshlrev_b32_sdwa v22, v22, v15 dst_sel:DWORD dst_unused:UNUSED_PAD src0_sel:DWORD src1_sel:WORD_1
	v_bfe_u32 v20, v15, 19, 4
	v_sub_u32_e32 v21, 29, v21
	v_and_b32_e32 v22, 7, v22
	v_cmp_eq_u16_e32 vcc, 0, v14
	v_cndmask_b32_e32 v10, v10, v22, vcc
	v_cndmask_b32_e32 v14, v20, v21, vcc
	v_lshlrev_b32_e32 v20, 8, v15
	v_mov_b32_e32 v21, 0x3b800000
	v_lshlrev_b32_e32 v10, 20, v10
	v_and_b32_e32 v20, 0x80000000, v20
	v_lshl_add_u32 v14, v14, 23, v21
	v_or3_b32 v10, v20, v14, v10
.LBB35_564:
	s_or_b64 exec, exec, s[6:7]
	s_movk_i32 s4, 0xff
	v_and_b32_sdwa v14, v11, s4 dst_sel:DWORD dst_unused:UNUSED_PAD src0_sel:WORD_1 src1_sel:DWORD
	s_movk_i32 s4, 0x7f
	v_cmp_lt_i16_e32 vcc, s4, v14
	s_mov_b64 s[4:5], 0
                                        ; implicit-def: $sgpr10
	s_and_saveexec_b64 s[6:7], vcc
	s_xor_b64 s[6:7], exec, s[6:7]
	s_cbranch_execnz .LBB35_2613
; %bb.565:
	s_or_saveexec_b64 s[6:7], s[6:7]
	v_mov_b32_e32 v20, s10
	s_xor_b64 exec, exec, s[6:7]
	s_cbranch_execnz .LBB35_2616
.LBB35_566:
	s_or_b64 exec, exec, s[6:7]
	s_and_saveexec_b64 s[6:7], s[4:5]
	s_cbranch_execz .LBB35_568
.LBB35_567:
	v_bfe_u32 v14, v11, 16, 3
	v_ffbh_u32_e32 v22, v14
	v_min_u32_e32 v22, 32, v22
	v_lshrrev_b32_e32 v20, 19, v11
	v_subrev_u32_e32 v23, 28, v22
	v_and_b32_e32 v20, 15, v20
	v_lshlrev_b32_sdwa v23, v23, v11 dst_sel:DWORD dst_unused:UNUSED_PAD src0_sel:DWORD src1_sel:WORD_1
	v_bfe_u32 v21, v11, 19, 4
	v_sub_u32_e32 v22, 29, v22
	v_and_b32_e32 v23, 7, v23
	v_cmp_eq_u16_e32 vcc, 0, v20
	v_cndmask_b32_e32 v14, v14, v23, vcc
	v_cndmask_b32_e32 v20, v21, v22, vcc
	v_lshlrev_b32_e32 v21, 8, v11
	v_mov_b32_e32 v22, 0x3b800000
	v_lshlrev_b32_e32 v14, 20, v14
	v_and_b32_e32 v21, 0x80000000, v21
	v_lshl_add_u32 v20, v20, 23, v22
	v_or3_b32 v20, v21, v20, v14
.LBB35_568:
	s_or_b64 exec, exec, s[6:7]
	s_nop 0
	v_mfma_f32_16x16x4f32 a[0:3], v10, v20, a[0:3]
	s_movk_i32 s4, 0x7f
	v_cmp_gt_i16_sdwa s[6:7], v15, s4 src0_sel:BYTE_3 src1_sel:DWORD
	s_mov_b64 s[4:5], 0
                                        ; implicit-def: $sgpr10
	s_and_saveexec_b64 s[8:9], s[6:7]
	s_xor_b64 s[6:7], exec, s[8:9]
	s_cbranch_execnz .LBB35_2617
; %bb.569:
	s_or_saveexec_b64 s[6:7], s[6:7]
	v_mov_b32_e32 v10, s10
	s_xor_b64 exec, exec, s[6:7]
	s_cbranch_execnz .LBB35_2620
.LBB35_570:
	s_or_b64 exec, exec, s[6:7]
	s_and_saveexec_b64 s[6:7], s[4:5]
	s_cbranch_execz .LBB35_572
.LBB35_571:
	v_bfe_u32 v10, v15, 24, 3
	v_ffbh_u32_e32 v22, v10
	v_min_u32_e32 v22, 32, v22
	v_lshrrev_b32_e32 v20, 27, v15
	v_subrev_u32_e32 v23, 28, v22
	v_and_b32_e32 v14, 0x80000000, v15
	v_and_b32_e32 v20, 15, v20
	v_bfe_u32 v21, v15, 27, 4
	v_lshlrev_b32_sdwa v15, v23, v15 dst_sel:DWORD dst_unused:UNUSED_PAD src0_sel:DWORD src1_sel:BYTE_3
	v_sub_u32_e32 v22, 29, v22
	v_and_b32_e32 v15, 7, v15
	v_cmp_eq_u16_e32 vcc, 0, v20
	v_cndmask_b32_e32 v10, v10, v15, vcc
	v_cndmask_b32_e32 v15, v21, v22, vcc
	v_mov_b32_e32 v20, 0x3b800000
	v_lshlrev_b32_e32 v10, 20, v10
	v_lshl_add_u32 v15, v15, 23, v20
	v_or3_b32 v10, v14, v15, v10
.LBB35_572:
	s_or_b64 exec, exec, s[6:7]
	s_movk_i32 s4, 0x7f
	v_cmp_gt_i16_sdwa s[6:7], v11, s4 src0_sel:BYTE_3 src1_sel:DWORD
	s_mov_b64 s[4:5], 0
                                        ; implicit-def: $sgpr10
	s_and_saveexec_b64 s[8:9], s[6:7]
	s_xor_b64 s[6:7], exec, s[8:9]
	s_cbranch_execnz .LBB35_2621
; %bb.573:
	s_or_saveexec_b64 s[6:7], s[6:7]
	v_mov_b32_e32 v14, s10
	s_xor_b64 exec, exec, s[6:7]
	s_cbranch_execnz .LBB35_2624
.LBB35_574:
	s_or_b64 exec, exec, s[6:7]
	s_and_saveexec_b64 s[6:7], s[4:5]
	s_cbranch_execz .LBB35_576
.LBB35_575:
	v_bfe_u32 v14, v11, 24, 3
	v_ffbh_u32_e32 v22, v14
	v_min_u32_e32 v22, 32, v22
	v_lshrrev_b32_e32 v20, 27, v11
	v_subrev_u32_e32 v23, 28, v22
	v_and_b32_e32 v15, 0x80000000, v11
	v_and_b32_e32 v20, 15, v20
	v_bfe_u32 v21, v11, 27, 4
	v_lshlrev_b32_sdwa v11, v23, v11 dst_sel:DWORD dst_unused:UNUSED_PAD src0_sel:DWORD src1_sel:BYTE_3
	v_sub_u32_e32 v22, 29, v22
	v_and_b32_e32 v11, 7, v11
	v_cmp_eq_u16_e32 vcc, 0, v20
	v_cndmask_b32_e32 v11, v14, v11, vcc
	v_cndmask_b32_e32 v14, v21, v22, vcc
	v_mov_b32_e32 v20, 0x3b800000
	v_lshlrev_b32_e32 v11, 20, v11
	v_lshl_add_u32 v14, v14, 23, v20
	v_or3_b32 v14, v15, v14, v11
.LBB35_576:
	s_or_b64 exec, exec, s[6:7]
	s_nop 0
	v_mfma_f32_16x16x4f32 a[0:3], v10, v14, a[0:3]
	s_movk_i32 s4, 0x7f
	v_cmp_gt_i16_sdwa s[6:7], v16, s4 src0_sel:BYTE_0 src1_sel:DWORD
	s_mov_b64 s[4:5], 0
                                        ; implicit-def: $sgpr10
	s_and_saveexec_b64 s[8:9], s[6:7]
	s_xor_b64 s[6:7], exec, s[8:9]
	s_cbranch_execnz .LBB35_2625
; %bb.577:
	s_or_saveexec_b64 s[6:7], s[6:7]
	v_mov_b32_e32 v10, s10
	s_xor_b64 exec, exec, s[6:7]
	s_cbranch_execnz .LBB35_2628
.LBB35_578:
	s_or_b64 exec, exec, s[6:7]
	s_and_saveexec_b64 s[6:7], s[4:5]
	s_cbranch_execz .LBB35_580
.LBB35_579:
	v_and_b32_e32 v10, 7, v16
	v_ffbh_u32_e32 v14, v10
	v_min_u32_e32 v14, 32, v14
	v_lshrrev_b16_e32 v11, 3, v16
	v_subrev_u32_e32 v15, 28, v14
	v_and_b32_e32 v11, 15, v11
	v_lshlrev_b32_e32 v15, v15, v16
	v_sub_u32_e32 v14, 29, v14
	v_and_b32_e32 v15, 7, v15
	v_cmp_eq_u16_e32 vcc, 0, v11
	v_cndmask_b32_e32 v10, v10, v15, vcc
	v_cndmask_b32_e32 v11, v11, v14, vcc
	v_lshlrev_b32_e32 v14, 24, v16
	v_mov_b32_e32 v15, 0x3b800000
	v_lshlrev_b32_e32 v10, 20, v10
	v_and_b32_e32 v14, 0x80000000, v14
	v_lshl_add_u32 v11, v11, 23, v15
	v_or3_b32 v10, v14, v11, v10
.LBB35_580:
	s_or_b64 exec, exec, s[6:7]
	s_movk_i32 s4, 0x7f
	v_cmp_gt_i16_sdwa s[6:7], v12, s4 src0_sel:BYTE_0 src1_sel:DWORD
	s_mov_b64 s[4:5], 0
                                        ; implicit-def: $sgpr10
	s_and_saveexec_b64 s[8:9], s[6:7]
	s_xor_b64 s[6:7], exec, s[8:9]
	s_cbranch_execnz .LBB35_2629
; %bb.581:
	s_or_saveexec_b64 s[6:7], s[6:7]
	v_mov_b32_e32 v11, s10
	s_xor_b64 exec, exec, s[6:7]
	s_cbranch_execnz .LBB35_2632
.LBB35_582:
	s_or_b64 exec, exec, s[6:7]
	s_and_saveexec_b64 s[6:7], s[4:5]
	s_cbranch_execz .LBB35_584
.LBB35_583:
	v_and_b32_e32 v11, 7, v12
	v_ffbh_u32_e32 v15, v11
	v_min_u32_e32 v15, 32, v15
	v_lshrrev_b16_e32 v14, 3, v12
	v_subrev_u32_e32 v20, 28, v15
	v_and_b32_e32 v14, 15, v14
	v_lshlrev_b32_e32 v20, v20, v12
	v_sub_u32_e32 v15, 29, v15
	v_and_b32_e32 v20, 7, v20
	v_cmp_eq_u16_e32 vcc, 0, v14
	v_cndmask_b32_e32 v11, v11, v20, vcc
	v_cndmask_b32_e32 v14, v14, v15, vcc
	v_lshlrev_b32_e32 v15, 24, v12
	v_mov_b32_e32 v20, 0x3b800000
	v_lshlrev_b32_e32 v11, 20, v11
	v_and_b32_e32 v15, 0x80000000, v15
	v_lshl_add_u32 v14, v14, 23, v20
	v_or3_b32 v11, v15, v14, v11
.LBB35_584:
	s_or_b64 exec, exec, s[6:7]
	s_nop 0
	v_mfma_f32_16x16x4f32 a[0:3], v10, v11, a[0:3]
	v_lshrrev_b32_e32 v11, 8, v16
	s_movk_i32 s4, 0x7f
	v_cmp_gt_i16_sdwa s[6:7], v11, s4 src0_sel:BYTE_0 src1_sel:DWORD
	s_mov_b64 s[4:5], 0
                                        ; implicit-def: $sgpr10
	s_and_saveexec_b64 s[8:9], s[6:7]
	s_xor_b64 s[6:7], exec, s[8:9]
	s_cbranch_execnz .LBB35_2633
; %bb.585:
	s_or_saveexec_b64 s[6:7], s[6:7]
	v_mov_b32_e32 v10, s10
	s_xor_b64 exec, exec, s[6:7]
	s_cbranch_execnz .LBB35_2636
.LBB35_586:
	s_or_b64 exec, exec, s[6:7]
	s_and_saveexec_b64 s[6:7], s[4:5]
	s_cbranch_execz .LBB35_588
.LBB35_587:
	v_bfe_u32 v10, v16, 8, 3
	v_ffbh_u32_e32 v15, v10
	v_min_u32_e32 v15, 32, v15
	v_lshrrev_b16_e32 v14, 3, v11
	v_subrev_u32_e32 v20, 28, v15
	v_and_b32_e32 v14, 15, v14
	v_lshlrev_b32_e32 v11, v20, v11
	v_sub_u32_e32 v15, 29, v15
	v_and_b32_e32 v11, 7, v11
	v_cmp_eq_u16_e32 vcc, 0, v14
	v_cndmask_b32_e32 v10, v10, v11, vcc
	v_cndmask_b32_e32 v11, v14, v15, vcc
	v_lshlrev_b32_e32 v14, 16, v16
	v_mov_b32_e32 v15, 0x3b800000
	v_lshlrev_b32_e32 v10, 20, v10
	v_and_b32_e32 v14, 0x80000000, v14
	v_lshl_add_u32 v11, v11, 23, v15
	v_or3_b32 v10, v14, v11, v10
.LBB35_588:
	s_or_b64 exec, exec, s[6:7]
	v_lshrrev_b32_e32 v11, 8, v12
	s_movk_i32 s4, 0x7f
	v_cmp_gt_i16_sdwa s[6:7], v11, s4 src0_sel:BYTE_0 src1_sel:DWORD
	s_mov_b64 s[4:5], 0
                                        ; implicit-def: $sgpr10
	s_and_saveexec_b64 s[8:9], s[6:7]
	s_xor_b64 s[6:7], exec, s[8:9]
	s_cbranch_execnz .LBB35_2637
; %bb.589:
	s_or_saveexec_b64 s[6:7], s[6:7]
	v_mov_b32_e32 v14, s10
	s_xor_b64 exec, exec, s[6:7]
	s_cbranch_execnz .LBB35_2640
.LBB35_590:
	s_or_b64 exec, exec, s[6:7]
	s_and_saveexec_b64 s[6:7], s[4:5]
	s_cbranch_execz .LBB35_592
.LBB35_591:
	v_bfe_u32 v14, v12, 8, 3
	v_ffbh_u32_e32 v20, v14
	v_min_u32_e32 v20, 32, v20
	v_lshrrev_b16_e32 v15, 3, v11
	v_subrev_u32_e32 v21, 28, v20
	v_and_b32_e32 v15, 15, v15
	v_lshlrev_b32_e32 v11, v21, v11
	v_sub_u32_e32 v20, 29, v20
	v_and_b32_e32 v11, 7, v11
	v_cmp_eq_u16_e32 vcc, 0, v15
	v_cndmask_b32_e32 v11, v14, v11, vcc
	v_cndmask_b32_e32 v14, v15, v20, vcc
	v_lshlrev_b32_e32 v15, 16, v12
	v_mov_b32_e32 v20, 0x3b800000
	v_lshlrev_b32_e32 v11, 20, v11
	v_and_b32_e32 v15, 0x80000000, v15
	v_lshl_add_u32 v14, v14, 23, v20
	v_or3_b32 v14, v15, v14, v11
.LBB35_592:
	s_or_b64 exec, exec, s[6:7]
	s_nop 0
	v_mfma_f32_16x16x4f32 a[0:3], v10, v14, a[0:3]
	s_movk_i32 s4, 0xff
	v_and_b32_sdwa v11, v16, s4 dst_sel:DWORD dst_unused:UNUSED_PAD src0_sel:WORD_1 src1_sel:DWORD
	s_movk_i32 s4, 0x7f
	v_cmp_lt_i16_e32 vcc, s4, v11
	s_mov_b64 s[4:5], 0
                                        ; implicit-def: $sgpr10
	s_and_saveexec_b64 s[6:7], vcc
	s_xor_b64 s[6:7], exec, s[6:7]
	s_cbranch_execnz .LBB35_2641
; %bb.593:
	s_or_saveexec_b64 s[6:7], s[6:7]
	v_mov_b32_e32 v10, s10
	s_xor_b64 exec, exec, s[6:7]
	s_cbranch_execnz .LBB35_2644
.LBB35_594:
	s_or_b64 exec, exec, s[6:7]
	s_and_saveexec_b64 s[6:7], s[4:5]
	s_cbranch_execz .LBB35_596
.LBB35_595:
	v_bfe_u32 v10, v16, 16, 3
	v_ffbh_u32_e32 v15, v10
	v_min_u32_e32 v15, 32, v15
	v_lshrrev_b32_e32 v11, 19, v16
	v_subrev_u32_e32 v20, 28, v15
	v_and_b32_e32 v11, 15, v11
	v_lshlrev_b32_sdwa v20, v20, v16 dst_sel:DWORD dst_unused:UNUSED_PAD src0_sel:DWORD src1_sel:WORD_1
	v_bfe_u32 v14, v16, 19, 4
	v_sub_u32_e32 v15, 29, v15
	v_and_b32_e32 v20, 7, v20
	v_cmp_eq_u16_e32 vcc, 0, v11
	v_cndmask_b32_e32 v10, v10, v20, vcc
	v_cndmask_b32_e32 v11, v14, v15, vcc
	v_lshlrev_b32_e32 v14, 8, v16
	v_mov_b32_e32 v15, 0x3b800000
	v_lshlrev_b32_e32 v10, 20, v10
	v_and_b32_e32 v14, 0x80000000, v14
	v_lshl_add_u32 v11, v11, 23, v15
	v_or3_b32 v10, v14, v11, v10
.LBB35_596:
	s_or_b64 exec, exec, s[6:7]
	s_movk_i32 s4, 0xff
	v_and_b32_sdwa v11, v12, s4 dst_sel:DWORD dst_unused:UNUSED_PAD src0_sel:WORD_1 src1_sel:DWORD
	s_movk_i32 s4, 0x7f
	v_cmp_lt_i16_e32 vcc, s4, v11
	s_mov_b64 s[4:5], 0
                                        ; implicit-def: $sgpr10
	s_and_saveexec_b64 s[6:7], vcc
	s_xor_b64 s[6:7], exec, s[6:7]
	s_cbranch_execnz .LBB35_2645
; %bb.597:
	s_or_saveexec_b64 s[6:7], s[6:7]
	v_mov_b32_e32 v14, s10
	s_xor_b64 exec, exec, s[6:7]
	s_cbranch_execnz .LBB35_2648
.LBB35_598:
	s_or_b64 exec, exec, s[6:7]
	s_and_saveexec_b64 s[6:7], s[4:5]
	s_cbranch_execz .LBB35_600
.LBB35_599:
	v_bfe_u32 v11, v12, 16, 3
	v_ffbh_u32_e32 v20, v11
	v_min_u32_e32 v20, 32, v20
	v_lshrrev_b32_e32 v14, 19, v12
	v_subrev_u32_e32 v21, 28, v20
	v_and_b32_e32 v14, 15, v14
	v_lshlrev_b32_sdwa v21, v21, v12 dst_sel:DWORD dst_unused:UNUSED_PAD src0_sel:DWORD src1_sel:WORD_1
	v_bfe_u32 v15, v12, 19, 4
	v_sub_u32_e32 v20, 29, v20
	v_and_b32_e32 v21, 7, v21
	v_cmp_eq_u16_e32 vcc, 0, v14
	v_cndmask_b32_e32 v11, v11, v21, vcc
	v_cndmask_b32_e32 v14, v15, v20, vcc
	v_lshlrev_b32_e32 v15, 8, v12
	v_mov_b32_e32 v20, 0x3b800000
	v_lshlrev_b32_e32 v11, 20, v11
	v_and_b32_e32 v15, 0x80000000, v15
	v_lshl_add_u32 v14, v14, 23, v20
	v_or3_b32 v14, v15, v14, v11
.LBB35_600:
	s_or_b64 exec, exec, s[6:7]
	s_nop 0
	v_mfma_f32_16x16x4f32 a[0:3], v10, v14, a[0:3]
	s_movk_i32 s4, 0x7f
	v_cmp_gt_i16_sdwa s[6:7], v16, s4 src0_sel:BYTE_3 src1_sel:DWORD
	s_mov_b64 s[4:5], 0
                                        ; implicit-def: $sgpr10
	s_and_saveexec_b64 s[8:9], s[6:7]
	s_xor_b64 s[6:7], exec, s[8:9]
	s_cbranch_execnz .LBB35_2649
; %bb.601:
	s_or_saveexec_b64 s[6:7], s[6:7]
	v_mov_b32_e32 v10, s10
	s_xor_b64 exec, exec, s[6:7]
	s_cbranch_execnz .LBB35_2652
.LBB35_602:
	s_or_b64 exec, exec, s[6:7]
	s_and_saveexec_b64 s[6:7], s[4:5]
	s_cbranch_execz .LBB35_604
.LBB35_603:
	v_bfe_u32 v10, v16, 24, 3
	v_ffbh_u32_e32 v20, v10
	v_min_u32_e32 v20, 32, v20
	v_lshrrev_b32_e32 v14, 27, v16
	v_subrev_u32_e32 v21, 28, v20
	v_and_b32_e32 v11, 0x80000000, v16
	v_and_b32_e32 v14, 15, v14
	v_bfe_u32 v15, v16, 27, 4
	v_lshlrev_b32_sdwa v16, v21, v16 dst_sel:DWORD dst_unused:UNUSED_PAD src0_sel:DWORD src1_sel:BYTE_3
	v_sub_u32_e32 v20, 29, v20
	v_and_b32_e32 v16, 7, v16
	v_cmp_eq_u16_e32 vcc, 0, v14
	v_cndmask_b32_e32 v10, v10, v16, vcc
	v_cndmask_b32_e32 v14, v15, v20, vcc
	v_mov_b32_e32 v15, 0x3b800000
	v_lshlrev_b32_e32 v10, 20, v10
	v_lshl_add_u32 v14, v14, 23, v15
	v_or3_b32 v10, v11, v14, v10
.LBB35_604:
	s_or_b64 exec, exec, s[6:7]
	s_movk_i32 s4, 0x7f
	v_cmp_gt_i16_sdwa s[6:7], v12, s4 src0_sel:BYTE_3 src1_sel:DWORD
	s_mov_b64 s[4:5], 0
                                        ; implicit-def: $sgpr10
	s_and_saveexec_b64 s[8:9], s[6:7]
	s_xor_b64 s[6:7], exec, s[8:9]
	s_cbranch_execnz .LBB35_2653
; %bb.605:
	s_or_saveexec_b64 s[6:7], s[6:7]
	v_mov_b32_e32 v11, s10
	s_xor_b64 exec, exec, s[6:7]
	s_cbranch_execnz .LBB35_2656
.LBB35_606:
	s_or_b64 exec, exec, s[6:7]
	s_and_saveexec_b64 s[6:7], s[4:5]
	s_cbranch_execz .LBB35_608
.LBB35_607:
	v_bfe_u32 v11, v12, 24, 3
	v_ffbh_u32_e32 v20, v11
	v_min_u32_e32 v20, 32, v20
	v_lshrrev_b32_e32 v15, 27, v12
	v_subrev_u32_e32 v21, 28, v20
	v_and_b32_e32 v14, 0x80000000, v12
	v_and_b32_e32 v15, 15, v15
	v_bfe_u32 v16, v12, 27, 4
	v_lshlrev_b32_sdwa v12, v21, v12 dst_sel:DWORD dst_unused:UNUSED_PAD src0_sel:DWORD src1_sel:BYTE_3
	v_sub_u32_e32 v20, 29, v20
	v_and_b32_e32 v12, 7, v12
	v_cmp_eq_u16_e32 vcc, 0, v15
	v_cndmask_b32_e32 v11, v11, v12, vcc
	v_cndmask_b32_e32 v12, v16, v20, vcc
	v_mov_b32_e32 v15, 0x3b800000
	v_lshlrev_b32_e32 v11, 20, v11
	v_lshl_add_u32 v12, v12, 23, v15
	v_or3_b32 v11, v14, v12, v11
.LBB35_608:
	s_or_b64 exec, exec, s[6:7]
	s_nop 0
	v_mfma_f32_16x16x4f32 a[0:3], v10, v11, a[0:3]
	s_movk_i32 s4, 0x7f
	v_cmp_gt_i16_sdwa s[6:7], v17, s4 src0_sel:BYTE_0 src1_sel:DWORD
	s_mov_b64 s[4:5], 0
                                        ; implicit-def: $sgpr10
	s_and_saveexec_b64 s[8:9], s[6:7]
	s_xor_b64 s[6:7], exec, s[8:9]
	s_cbranch_execnz .LBB35_2657
; %bb.609:
	s_or_saveexec_b64 s[6:7], s[6:7]
	v_mov_b32_e32 v10, s10
	s_xor_b64 exec, exec, s[6:7]
	s_cbranch_execnz .LBB35_2660
.LBB35_610:
	s_or_b64 exec, exec, s[6:7]
	s_and_saveexec_b64 s[6:7], s[4:5]
	s_cbranch_execz .LBB35_612
.LBB35_611:
	v_and_b32_e32 v10, 7, v17
	v_ffbh_u32_e32 v12, v10
	v_min_u32_e32 v12, 32, v12
	v_lshrrev_b16_e32 v11, 3, v17
	v_subrev_u32_e32 v14, 28, v12
	v_and_b32_e32 v11, 15, v11
	v_lshlrev_b32_e32 v14, v14, v17
	v_sub_u32_e32 v12, 29, v12
	v_and_b32_e32 v14, 7, v14
	v_cmp_eq_u16_e32 vcc, 0, v11
	v_cndmask_b32_e32 v10, v10, v14, vcc
	v_cndmask_b32_e32 v11, v11, v12, vcc
	v_lshlrev_b32_e32 v12, 24, v17
	v_mov_b32_e32 v14, 0x3b800000
	v_lshlrev_b32_e32 v10, 20, v10
	v_and_b32_e32 v12, 0x80000000, v12
	v_lshl_add_u32 v11, v11, 23, v14
	v_or3_b32 v10, v12, v11, v10
.LBB35_612:
	s_or_b64 exec, exec, s[6:7]
	s_movk_i32 s4, 0x7f
	v_cmp_gt_i16_sdwa s[6:7], v13, s4 src0_sel:BYTE_0 src1_sel:DWORD
	s_mov_b64 s[4:5], 0
                                        ; implicit-def: $sgpr10
	s_and_saveexec_b64 s[8:9], s[6:7]
	s_xor_b64 s[6:7], exec, s[8:9]
	s_cbranch_execnz .LBB35_2661
; %bb.613:
	s_or_saveexec_b64 s[6:7], s[6:7]
	v_mov_b32_e32 v11, s10
	s_xor_b64 exec, exec, s[6:7]
	s_cbranch_execnz .LBB35_2664
.LBB35_614:
	s_or_b64 exec, exec, s[6:7]
	s_and_saveexec_b64 s[6:7], s[4:5]
	s_cbranch_execz .LBB35_616
.LBB35_615:
	v_and_b32_e32 v11, 7, v13
	v_ffbh_u32_e32 v14, v11
	v_min_u32_e32 v14, 32, v14
	v_lshrrev_b16_e32 v12, 3, v13
	v_subrev_u32_e32 v15, 28, v14
	v_and_b32_e32 v12, 15, v12
	v_lshlrev_b32_e32 v15, v15, v13
	v_sub_u32_e32 v14, 29, v14
	v_and_b32_e32 v15, 7, v15
	v_cmp_eq_u16_e32 vcc, 0, v12
	v_cndmask_b32_e32 v11, v11, v15, vcc
	v_cndmask_b32_e32 v12, v12, v14, vcc
	v_lshlrev_b32_e32 v14, 24, v13
	v_mov_b32_e32 v15, 0x3b800000
	v_lshlrev_b32_e32 v11, 20, v11
	v_and_b32_e32 v14, 0x80000000, v14
	v_lshl_add_u32 v12, v12, 23, v15
	v_or3_b32 v11, v14, v12, v11
.LBB35_616:
	s_or_b64 exec, exec, s[6:7]
	s_nop 0
	v_mfma_f32_16x16x4f32 a[0:3], v10, v11, a[0:3]
	v_lshrrev_b32_e32 v11, 8, v17
	s_movk_i32 s4, 0x7f
	v_cmp_gt_i16_sdwa s[6:7], v11, s4 src0_sel:BYTE_0 src1_sel:DWORD
	s_mov_b64 s[4:5], 0
                                        ; implicit-def: $sgpr10
	s_and_saveexec_b64 s[8:9], s[6:7]
	s_xor_b64 s[6:7], exec, s[8:9]
	s_cbranch_execnz .LBB35_2665
; %bb.617:
	s_or_saveexec_b64 s[6:7], s[6:7]
	v_mov_b32_e32 v10, s10
	s_xor_b64 exec, exec, s[6:7]
	s_cbranch_execnz .LBB35_2668
.LBB35_618:
	s_or_b64 exec, exec, s[6:7]
	s_and_saveexec_b64 s[6:7], s[4:5]
	s_cbranch_execz .LBB35_620
.LBB35_619:
	v_bfe_u32 v10, v17, 8, 3
	v_ffbh_u32_e32 v14, v10
	v_min_u32_e32 v14, 32, v14
	v_lshrrev_b16_e32 v12, 3, v11
	v_subrev_u32_e32 v15, 28, v14
	v_and_b32_e32 v12, 15, v12
	v_lshlrev_b32_e32 v11, v15, v11
	v_sub_u32_e32 v14, 29, v14
	v_and_b32_e32 v11, 7, v11
	v_cmp_eq_u16_e32 vcc, 0, v12
	v_cndmask_b32_e32 v10, v10, v11, vcc
	v_cndmask_b32_e32 v11, v12, v14, vcc
	v_lshlrev_b32_e32 v12, 16, v17
	v_mov_b32_e32 v14, 0x3b800000
	v_lshlrev_b32_e32 v10, 20, v10
	v_and_b32_e32 v12, 0x80000000, v12
	v_lshl_add_u32 v11, v11, 23, v14
	v_or3_b32 v10, v12, v11, v10
.LBB35_620:
	s_or_b64 exec, exec, s[6:7]
	v_lshrrev_b32_e32 v11, 8, v13
	s_movk_i32 s4, 0x7f
	v_cmp_gt_i16_sdwa s[6:7], v11, s4 src0_sel:BYTE_0 src1_sel:DWORD
	s_mov_b64 s[4:5], 0
                                        ; implicit-def: $sgpr10
	s_and_saveexec_b64 s[8:9], s[6:7]
	s_xor_b64 s[6:7], exec, s[8:9]
	s_cbranch_execnz .LBB35_2669
; %bb.621:
	s_or_saveexec_b64 s[6:7], s[6:7]
	v_mov_b32_e32 v12, s10
	s_xor_b64 exec, exec, s[6:7]
	s_cbranch_execnz .LBB35_2672
.LBB35_622:
	s_or_b64 exec, exec, s[6:7]
	s_and_saveexec_b64 s[6:7], s[4:5]
	s_cbranch_execz .LBB35_624
.LBB35_623:
	v_bfe_u32 v12, v13, 8, 3
	v_ffbh_u32_e32 v15, v12
	v_min_u32_e32 v15, 32, v15
	v_lshrrev_b16_e32 v14, 3, v11
	v_subrev_u32_e32 v16, 28, v15
	v_and_b32_e32 v14, 15, v14
	v_lshlrev_b32_e32 v11, v16, v11
	v_sub_u32_e32 v15, 29, v15
	v_and_b32_e32 v11, 7, v11
	v_cmp_eq_u16_e32 vcc, 0, v14
	v_cndmask_b32_e32 v11, v12, v11, vcc
	v_cndmask_b32_e32 v12, v14, v15, vcc
	v_lshlrev_b32_e32 v14, 16, v13
	v_mov_b32_e32 v15, 0x3b800000
	v_lshlrev_b32_e32 v11, 20, v11
	v_and_b32_e32 v14, 0x80000000, v14
	v_lshl_add_u32 v12, v12, 23, v15
	v_or3_b32 v12, v14, v12, v11
.LBB35_624:
	s_or_b64 exec, exec, s[6:7]
	s_nop 0
	v_mfma_f32_16x16x4f32 a[0:3], v10, v12, a[0:3]
	s_movk_i32 s4, 0xff
	v_and_b32_sdwa v11, v17, s4 dst_sel:DWORD dst_unused:UNUSED_PAD src0_sel:WORD_1 src1_sel:DWORD
	s_movk_i32 s4, 0x7f
	v_cmp_lt_i16_e32 vcc, s4, v11
	s_mov_b64 s[4:5], 0
                                        ; implicit-def: $sgpr10
	s_and_saveexec_b64 s[6:7], vcc
	s_xor_b64 s[6:7], exec, s[6:7]
	s_cbranch_execnz .LBB35_2673
; %bb.625:
	s_or_saveexec_b64 s[6:7], s[6:7]
	v_mov_b32_e32 v10, s10
	s_xor_b64 exec, exec, s[6:7]
	s_cbranch_execnz .LBB35_2676
.LBB35_626:
	s_or_b64 exec, exec, s[6:7]
	s_and_saveexec_b64 s[6:7], s[4:5]
	s_cbranch_execz .LBB35_628
.LBB35_627:
	v_bfe_u32 v10, v17, 16, 3
	v_ffbh_u32_e32 v14, v10
	v_min_u32_e32 v14, 32, v14
	v_lshrrev_b32_e32 v11, 19, v17
	v_subrev_u32_e32 v15, 28, v14
	v_and_b32_e32 v11, 15, v11
	v_lshlrev_b32_sdwa v15, v15, v17 dst_sel:DWORD dst_unused:UNUSED_PAD src0_sel:DWORD src1_sel:WORD_1
	v_bfe_u32 v12, v17, 19, 4
	v_sub_u32_e32 v14, 29, v14
	v_and_b32_e32 v15, 7, v15
	v_cmp_eq_u16_e32 vcc, 0, v11
	v_cndmask_b32_e32 v10, v10, v15, vcc
	v_cndmask_b32_e32 v11, v12, v14, vcc
	v_lshlrev_b32_e32 v12, 8, v17
	v_mov_b32_e32 v14, 0x3b800000
	v_lshlrev_b32_e32 v10, 20, v10
	v_and_b32_e32 v12, 0x80000000, v12
	v_lshl_add_u32 v11, v11, 23, v14
	v_or3_b32 v10, v12, v11, v10
.LBB35_628:
	s_or_b64 exec, exec, s[6:7]
	s_movk_i32 s4, 0xff
	v_and_b32_sdwa v11, v13, s4 dst_sel:DWORD dst_unused:UNUSED_PAD src0_sel:WORD_1 src1_sel:DWORD
	s_movk_i32 s4, 0x7f
	v_cmp_lt_i16_e32 vcc, s4, v11
	s_mov_b64 s[4:5], 0
                                        ; implicit-def: $sgpr10
	s_and_saveexec_b64 s[6:7], vcc
	s_xor_b64 s[6:7], exec, s[6:7]
	s_cbranch_execnz .LBB35_2677
; %bb.629:
	s_or_saveexec_b64 s[6:7], s[6:7]
	v_mov_b32_e32 v12, s10
	s_xor_b64 exec, exec, s[6:7]
	s_cbranch_execnz .LBB35_2680
.LBB35_630:
	s_or_b64 exec, exec, s[6:7]
	s_and_saveexec_b64 s[6:7], s[4:5]
	s_cbranch_execz .LBB35_632
.LBB35_631:
	v_bfe_u32 v11, v13, 16, 3
	v_ffbh_u32_e32 v15, v11
	v_min_u32_e32 v15, 32, v15
	v_lshrrev_b32_e32 v12, 19, v13
	v_subrev_u32_e32 v16, 28, v15
	v_and_b32_e32 v12, 15, v12
	v_lshlrev_b32_sdwa v16, v16, v13 dst_sel:DWORD dst_unused:UNUSED_PAD src0_sel:DWORD src1_sel:WORD_1
	v_bfe_u32 v14, v13, 19, 4
	v_sub_u32_e32 v15, 29, v15
	v_and_b32_e32 v16, 7, v16
	v_cmp_eq_u16_e32 vcc, 0, v12
	v_cndmask_b32_e32 v11, v11, v16, vcc
	v_cndmask_b32_e32 v12, v14, v15, vcc
	v_lshlrev_b32_e32 v14, 8, v13
	v_mov_b32_e32 v15, 0x3b800000
	v_lshlrev_b32_e32 v11, 20, v11
	v_and_b32_e32 v14, 0x80000000, v14
	v_lshl_add_u32 v12, v12, 23, v15
	v_or3_b32 v12, v14, v12, v11
.LBB35_632:
	s_or_b64 exec, exec, s[6:7]
	s_nop 0
	v_mfma_f32_16x16x4f32 a[0:3], v10, v12, a[0:3]
	s_movk_i32 s4, 0x7f
	v_cmp_gt_i16_sdwa s[6:7], v17, s4 src0_sel:BYTE_3 src1_sel:DWORD
	s_mov_b64 s[4:5], 0
                                        ; implicit-def: $sgpr10
	s_and_saveexec_b64 s[8:9], s[6:7]
	s_xor_b64 s[6:7], exec, s[8:9]
	s_cbranch_execnz .LBB35_2681
; %bb.633:
	s_or_saveexec_b64 s[6:7], s[6:7]
	v_mov_b32_e32 v10, s10
	s_xor_b64 exec, exec, s[6:7]
	s_cbranch_execnz .LBB35_2684
.LBB35_634:
	s_or_b64 exec, exec, s[6:7]
	s_and_saveexec_b64 s[6:7], s[4:5]
	s_cbranch_execz .LBB35_636
.LBB35_635:
	v_bfe_u32 v10, v17, 24, 3
	v_ffbh_u32_e32 v15, v10
	v_min_u32_e32 v15, 32, v15
	v_lshrrev_b32_e32 v12, 27, v17
	v_subrev_u32_e32 v16, 28, v15
	v_and_b32_e32 v12, 15, v12
	v_lshlrev_b32_sdwa v16, v16, v17 dst_sel:DWORD dst_unused:UNUSED_PAD src0_sel:DWORD src1_sel:BYTE_3
	v_bfe_u32 v14, v17, 27, 4
	v_sub_u32_e32 v15, 29, v15
	v_and_b32_e32 v16, 7, v16
	v_cmp_eq_u16_e32 vcc, 0, v12
	v_cndmask_b32_e32 v10, v10, v16, vcc
	v_cndmask_b32_e32 v12, v14, v15, vcc
	v_mov_b32_e32 v14, 0x3b800000
	v_and_b32_e32 v11, 0x80000000, v17
	v_lshlrev_b32_e32 v10, 20, v10
	v_lshl_add_u32 v12, v12, 23, v14
	v_or3_b32 v10, v11, v12, v10
.LBB35_636:
	s_or_b64 exec, exec, s[6:7]
	s_movk_i32 s4, 0x7f
	v_cmp_gt_i16_sdwa s[6:7], v13, s4 src0_sel:BYTE_3 src1_sel:DWORD
	s_mov_b64 s[4:5], 0
                                        ; implicit-def: $sgpr10
	s_and_saveexec_b64 s[8:9], s[6:7]
	s_xor_b64 s[6:7], exec, s[8:9]
	s_cbranch_execnz .LBB35_2685
; %bb.637:
	s_or_saveexec_b64 s[6:7], s[6:7]
	v_mov_b32_e32 v11, s10
	s_xor_b64 exec, exec, s[6:7]
	s_cbranch_execnz .LBB35_2688
.LBB35_638:
	s_or_b64 exec, exec, s[6:7]
	s_and_saveexec_b64 s[6:7], s[4:5]
	s_cbranch_execz .LBB35_640
.LBB35_639:
	v_bfe_u32 v11, v13, 24, 3
	v_ffbh_u32_e32 v16, v11
	v_min_u32_e32 v16, 32, v16
	v_lshrrev_b32_e32 v14, 27, v13
	v_subrev_u32_e32 v17, 28, v16
	v_and_b32_e32 v12, 0x80000000, v13
	v_and_b32_e32 v14, 15, v14
	v_bfe_u32 v15, v13, 27, 4
	v_lshlrev_b32_sdwa v13, v17, v13 dst_sel:DWORD dst_unused:UNUSED_PAD src0_sel:DWORD src1_sel:BYTE_3
	v_sub_u32_e32 v16, 29, v16
	v_and_b32_e32 v13, 7, v13
	v_cmp_eq_u16_e32 vcc, 0, v14
	v_cndmask_b32_e32 v11, v11, v13, vcc
	v_cndmask_b32_e32 v13, v15, v16, vcc
	v_mov_b32_e32 v14, 0x3b800000
	v_lshlrev_b32_e32 v11, 20, v11
	v_lshl_add_u32 v13, v13, 23, v14
	v_or3_b32 v11, v12, v13, v11
.LBB35_640:
	s_or_b64 exec, exec, s[6:7]
	s_nop 0
	v_mfma_f32_16x16x4f32 a[0:3], v10, v11, a[0:3]
	s_movk_i32 s4, 0x7f
	v_cmp_gt_i16_sdwa s[6:7], v6, s4 src0_sel:BYTE_0 src1_sel:DWORD
	s_mov_b64 s[4:5], 0
                                        ; implicit-def: $sgpr10
	s_and_saveexec_b64 s[8:9], s[6:7]
	s_xor_b64 s[6:7], exec, s[8:9]
	s_cbranch_execnz .LBB35_2689
; %bb.641:
	s_or_saveexec_b64 s[6:7], s[6:7]
	v_mov_b32_e32 v10, s10
	s_xor_b64 exec, exec, s[6:7]
	s_cbranch_execnz .LBB35_2692
.LBB35_642:
	s_or_b64 exec, exec, s[6:7]
	s_and_saveexec_b64 s[6:7], s[4:5]
	s_cbranch_execz .LBB35_644
.LBB35_643:
	v_and_b32_e32 v10, 7, v6
	v_ffbh_u32_e32 v12, v10
	v_min_u32_e32 v12, 32, v12
	v_lshrrev_b16_e32 v11, 3, v6
	v_subrev_u32_e32 v13, 28, v12
	v_and_b32_e32 v11, 15, v11
	v_lshlrev_b32_e32 v13, v13, v6
	v_sub_u32_e32 v12, 29, v12
	v_and_b32_e32 v13, 7, v13
	v_cmp_eq_u16_e32 vcc, 0, v11
	v_cndmask_b32_e32 v10, v10, v13, vcc
	v_cndmask_b32_e32 v11, v11, v12, vcc
	v_lshlrev_b32_e32 v12, 24, v6
	v_mov_b32_e32 v13, 0x3b800000
	v_lshlrev_b32_e32 v10, 20, v10
	v_and_b32_e32 v12, 0x80000000, v12
	v_lshl_add_u32 v11, v11, 23, v13
	v_or3_b32 v10, v12, v11, v10
.LBB35_644:
	s_or_b64 exec, exec, s[6:7]
	s_movk_i32 s4, 0x7f
	v_cmp_gt_i16_sdwa s[6:7], v2, s4 src0_sel:BYTE_0 src1_sel:DWORD
	s_mov_b64 s[4:5], 0
                                        ; implicit-def: $sgpr10
	s_and_saveexec_b64 s[8:9], s[6:7]
	s_xor_b64 s[6:7], exec, s[8:9]
	s_cbranch_execnz .LBB35_2693
; %bb.645:
	s_or_saveexec_b64 s[6:7], s[6:7]
	v_mov_b32_e32 v11, s10
	s_xor_b64 exec, exec, s[6:7]
	s_cbranch_execnz .LBB35_2696
.LBB35_646:
	s_or_b64 exec, exec, s[6:7]
	s_and_saveexec_b64 s[6:7], s[4:5]
	s_cbranch_execz .LBB35_648
.LBB35_647:
	v_and_b32_e32 v11, 7, v2
	v_ffbh_u32_e32 v13, v11
	v_min_u32_e32 v13, 32, v13
	v_lshrrev_b16_e32 v12, 3, v2
	v_subrev_u32_e32 v14, 28, v13
	v_and_b32_e32 v12, 15, v12
	v_lshlrev_b32_e32 v14, v14, v2
	v_sub_u32_e32 v13, 29, v13
	v_and_b32_e32 v14, 7, v14
	v_cmp_eq_u16_e32 vcc, 0, v12
	v_cndmask_b32_e32 v11, v11, v14, vcc
	v_cndmask_b32_e32 v12, v12, v13, vcc
	v_lshlrev_b32_e32 v13, 24, v2
	v_mov_b32_e32 v14, 0x3b800000
	v_lshlrev_b32_e32 v11, 20, v11
	v_and_b32_e32 v13, 0x80000000, v13
	v_lshl_add_u32 v12, v12, 23, v14
	v_or3_b32 v11, v13, v12, v11
.LBB35_648:
	s_or_b64 exec, exec, s[6:7]
	s_nop 0
	v_mfma_f32_16x16x4f32 a[0:3], v10, v11, a[0:3]
	v_lshrrev_b32_e32 v11, 8, v6
	s_movk_i32 s4, 0x7f
	v_cmp_gt_i16_sdwa s[6:7], v11, s4 src0_sel:BYTE_0 src1_sel:DWORD
	s_mov_b64 s[4:5], 0
                                        ; implicit-def: $sgpr10
	s_and_saveexec_b64 s[8:9], s[6:7]
	s_xor_b64 s[6:7], exec, s[8:9]
	s_cbranch_execnz .LBB35_2697
; %bb.649:
	s_or_saveexec_b64 s[6:7], s[6:7]
	v_mov_b32_e32 v10, s10
	s_xor_b64 exec, exec, s[6:7]
	s_cbranch_execnz .LBB35_2700
.LBB35_650:
	s_or_b64 exec, exec, s[6:7]
	s_and_saveexec_b64 s[6:7], s[4:5]
	s_cbranch_execz .LBB35_652
.LBB35_651:
	v_bfe_u32 v10, v6, 8, 3
	v_ffbh_u32_e32 v13, v10
	v_min_u32_e32 v13, 32, v13
	v_lshrrev_b16_e32 v12, 3, v11
	v_subrev_u32_e32 v14, 28, v13
	v_and_b32_e32 v12, 15, v12
	v_lshlrev_b32_e32 v11, v14, v11
	v_sub_u32_e32 v13, 29, v13
	v_and_b32_e32 v11, 7, v11
	v_cmp_eq_u16_e32 vcc, 0, v12
	v_cndmask_b32_e32 v10, v10, v11, vcc
	v_cndmask_b32_e32 v11, v12, v13, vcc
	v_lshlrev_b32_e32 v12, 16, v6
	v_mov_b32_e32 v13, 0x3b800000
	v_lshlrev_b32_e32 v10, 20, v10
	v_and_b32_e32 v12, 0x80000000, v12
	v_lshl_add_u32 v11, v11, 23, v13
	v_or3_b32 v10, v12, v11, v10
.LBB35_652:
	s_or_b64 exec, exec, s[6:7]
	v_lshrrev_b32_e32 v11, 8, v2
	s_movk_i32 s4, 0x7f
	v_cmp_gt_i16_sdwa s[6:7], v11, s4 src0_sel:BYTE_0 src1_sel:DWORD
	s_mov_b64 s[4:5], 0
                                        ; implicit-def: $sgpr10
	s_and_saveexec_b64 s[8:9], s[6:7]
	s_xor_b64 s[6:7], exec, s[8:9]
	s_cbranch_execnz .LBB35_2701
; %bb.653:
	s_or_saveexec_b64 s[6:7], s[6:7]
	v_mov_b32_e32 v12, s10
	s_xor_b64 exec, exec, s[6:7]
	s_cbranch_execnz .LBB35_2704
.LBB35_654:
	s_or_b64 exec, exec, s[6:7]
	s_and_saveexec_b64 s[6:7], s[4:5]
	s_cbranch_execz .LBB35_656
.LBB35_655:
	v_bfe_u32 v12, v2, 8, 3
	v_ffbh_u32_e32 v14, v12
	v_min_u32_e32 v14, 32, v14
	v_lshrrev_b16_e32 v13, 3, v11
	v_subrev_u32_e32 v15, 28, v14
	v_and_b32_e32 v13, 15, v13
	v_lshlrev_b32_e32 v11, v15, v11
	v_sub_u32_e32 v14, 29, v14
	v_and_b32_e32 v11, 7, v11
	v_cmp_eq_u16_e32 vcc, 0, v13
	v_cndmask_b32_e32 v11, v12, v11, vcc
	v_cndmask_b32_e32 v12, v13, v14, vcc
	v_lshlrev_b32_e32 v13, 16, v2
	v_mov_b32_e32 v14, 0x3b800000
	v_lshlrev_b32_e32 v11, 20, v11
	v_and_b32_e32 v13, 0x80000000, v13
	v_lshl_add_u32 v12, v12, 23, v14
	v_or3_b32 v12, v13, v12, v11
.LBB35_656:
	s_or_b64 exec, exec, s[6:7]
	s_nop 0
	v_mfma_f32_16x16x4f32 a[0:3], v10, v12, a[0:3]
	s_movk_i32 s4, 0xff
	v_and_b32_sdwa v11, v6, s4 dst_sel:DWORD dst_unused:UNUSED_PAD src0_sel:WORD_1 src1_sel:DWORD
	s_movk_i32 s4, 0x7f
	v_cmp_lt_i16_e32 vcc, s4, v11
	s_mov_b64 s[4:5], 0
                                        ; implicit-def: $sgpr10
	s_and_saveexec_b64 s[6:7], vcc
	s_xor_b64 s[6:7], exec, s[6:7]
	s_cbranch_execnz .LBB35_2705
; %bb.657:
	s_or_saveexec_b64 s[6:7], s[6:7]
	v_mov_b32_e32 v10, s10
	s_xor_b64 exec, exec, s[6:7]
	s_cbranch_execnz .LBB35_2708
.LBB35_658:
	s_or_b64 exec, exec, s[6:7]
	s_and_saveexec_b64 s[6:7], s[4:5]
	s_cbranch_execz .LBB35_660
.LBB35_659:
	v_bfe_u32 v10, v6, 16, 3
	v_ffbh_u32_e32 v13, v10
	v_min_u32_e32 v13, 32, v13
	v_lshrrev_b32_e32 v11, 19, v6
	v_subrev_u32_e32 v14, 28, v13
	v_and_b32_e32 v11, 15, v11
	v_lshlrev_b32_sdwa v14, v14, v6 dst_sel:DWORD dst_unused:UNUSED_PAD src0_sel:DWORD src1_sel:WORD_1
	v_bfe_u32 v12, v6, 19, 4
	v_sub_u32_e32 v13, 29, v13
	v_and_b32_e32 v14, 7, v14
	v_cmp_eq_u16_e32 vcc, 0, v11
	v_cndmask_b32_e32 v10, v10, v14, vcc
	v_cndmask_b32_e32 v11, v12, v13, vcc
	v_lshlrev_b32_e32 v12, 8, v6
	v_mov_b32_e32 v13, 0x3b800000
	v_lshlrev_b32_e32 v10, 20, v10
	v_and_b32_e32 v12, 0x80000000, v12
	v_lshl_add_u32 v11, v11, 23, v13
	v_or3_b32 v10, v12, v11, v10
.LBB35_660:
	s_or_b64 exec, exec, s[6:7]
	s_movk_i32 s4, 0xff
	v_and_b32_sdwa v11, v2, s4 dst_sel:DWORD dst_unused:UNUSED_PAD src0_sel:WORD_1 src1_sel:DWORD
	s_movk_i32 s4, 0x7f
	v_cmp_lt_i16_e32 vcc, s4, v11
	s_mov_b64 s[4:5], 0
                                        ; implicit-def: $sgpr10
	s_and_saveexec_b64 s[6:7], vcc
	s_xor_b64 s[6:7], exec, s[6:7]
	s_cbranch_execnz .LBB35_2709
; %bb.661:
	s_or_saveexec_b64 s[6:7], s[6:7]
	v_mov_b32_e32 v12, s10
	s_xor_b64 exec, exec, s[6:7]
	s_cbranch_execnz .LBB35_2712
.LBB35_662:
	s_or_b64 exec, exec, s[6:7]
	s_and_saveexec_b64 s[6:7], s[4:5]
	s_cbranch_execz .LBB35_664
.LBB35_663:
	v_bfe_u32 v11, v2, 16, 3
	v_ffbh_u32_e32 v14, v11
	v_min_u32_e32 v14, 32, v14
	v_lshrrev_b32_e32 v12, 19, v2
	v_subrev_u32_e32 v15, 28, v14
	v_and_b32_e32 v12, 15, v12
	v_lshlrev_b32_sdwa v15, v15, v2 dst_sel:DWORD dst_unused:UNUSED_PAD src0_sel:DWORD src1_sel:WORD_1
	v_bfe_u32 v13, v2, 19, 4
	v_sub_u32_e32 v14, 29, v14
	v_and_b32_e32 v15, 7, v15
	v_cmp_eq_u16_e32 vcc, 0, v12
	v_cndmask_b32_e32 v11, v11, v15, vcc
	v_cndmask_b32_e32 v12, v13, v14, vcc
	v_lshlrev_b32_e32 v13, 8, v2
	v_mov_b32_e32 v14, 0x3b800000
	v_lshlrev_b32_e32 v11, 20, v11
	v_and_b32_e32 v13, 0x80000000, v13
	v_lshl_add_u32 v12, v12, 23, v14
	v_or3_b32 v12, v13, v12, v11
.LBB35_664:
	s_or_b64 exec, exec, s[6:7]
	s_nop 0
	v_mfma_f32_16x16x4f32 a[0:3], v10, v12, a[0:3]
	s_movk_i32 s4, 0x7f
	v_cmp_gt_i16_sdwa s[6:7], v6, s4 src0_sel:BYTE_3 src1_sel:DWORD
	s_mov_b64 s[4:5], 0
                                        ; implicit-def: $sgpr10
	s_and_saveexec_b64 s[8:9], s[6:7]
	s_xor_b64 s[6:7], exec, s[8:9]
	s_cbranch_execnz .LBB35_2713
; %bb.665:
	s_or_saveexec_b64 s[6:7], s[6:7]
	v_mov_b32_e32 v10, s10
	s_xor_b64 exec, exec, s[6:7]
	s_cbranch_execnz .LBB35_2716
.LBB35_666:
	s_or_b64 exec, exec, s[6:7]
	s_and_saveexec_b64 s[6:7], s[4:5]
	s_cbranch_execz .LBB35_668
.LBB35_667:
	v_bfe_u32 v10, v6, 24, 3
	v_ffbh_u32_e32 v14, v10
	v_min_u32_e32 v14, 32, v14
	v_lshrrev_b32_e32 v12, 27, v6
	v_subrev_u32_e32 v15, 28, v14
	v_and_b32_e32 v11, 0x80000000, v6
	v_and_b32_e32 v12, 15, v12
	v_bfe_u32 v13, v6, 27, 4
	v_lshlrev_b32_sdwa v6, v15, v6 dst_sel:DWORD dst_unused:UNUSED_PAD src0_sel:DWORD src1_sel:BYTE_3
	v_sub_u32_e32 v14, 29, v14
	v_and_b32_e32 v6, 7, v6
	v_cmp_eq_u16_e32 vcc, 0, v12
	v_cndmask_b32_e32 v6, v10, v6, vcc
	v_cndmask_b32_e32 v10, v13, v14, vcc
	v_mov_b32_e32 v12, 0x3b800000
	v_lshlrev_b32_e32 v6, 20, v6
	v_lshl_add_u32 v10, v10, 23, v12
	v_or3_b32 v10, v11, v10, v6
.LBB35_668:
	s_or_b64 exec, exec, s[6:7]
	s_movk_i32 s4, 0x7f
	v_cmp_gt_i16_sdwa s[6:7], v2, s4 src0_sel:BYTE_3 src1_sel:DWORD
	s_mov_b64 s[4:5], 0
                                        ; implicit-def: $sgpr10
	s_and_saveexec_b64 s[8:9], s[6:7]
	s_xor_b64 s[6:7], exec, s[8:9]
	s_cbranch_execnz .LBB35_2717
; %bb.669:
	s_or_saveexec_b64 s[6:7], s[6:7]
	v_mov_b32_e32 v6, s10
	s_xor_b64 exec, exec, s[6:7]
	s_cbranch_execnz .LBB35_2720
.LBB35_670:
	s_or_b64 exec, exec, s[6:7]
	s_and_saveexec_b64 s[6:7], s[4:5]
	s_cbranch_execz .LBB35_672
.LBB35_671:
	v_bfe_u32 v6, v2, 24, 3
	v_ffbh_u32_e32 v14, v6
	v_min_u32_e32 v14, 32, v14
	v_lshrrev_b32_e32 v12, 27, v2
	v_subrev_u32_e32 v15, 28, v14
	v_and_b32_e32 v11, 0x80000000, v2
	v_and_b32_e32 v12, 15, v12
	v_bfe_u32 v13, v2, 27, 4
	v_lshlrev_b32_sdwa v2, v15, v2 dst_sel:DWORD dst_unused:UNUSED_PAD src0_sel:DWORD src1_sel:BYTE_3
	v_sub_u32_e32 v14, 29, v14
	v_and_b32_e32 v2, 7, v2
	v_cmp_eq_u16_e32 vcc, 0, v12
	v_cndmask_b32_e32 v2, v6, v2, vcc
	v_cndmask_b32_e32 v6, v13, v14, vcc
	v_mov_b32_e32 v12, 0x3b800000
	v_lshlrev_b32_e32 v2, 20, v2
	v_lshl_add_u32 v6, v6, 23, v12
	v_or3_b32 v6, v11, v6, v2
.LBB35_672:
	s_or_b64 exec, exec, s[6:7]
	s_nop 0
	v_mfma_f32_16x16x4f32 a[0:3], v10, v6, a[0:3]
	s_movk_i32 s4, 0x7f
	v_cmp_gt_i16_sdwa s[6:7], v7, s4 src0_sel:BYTE_0 src1_sel:DWORD
	s_mov_b64 s[4:5], 0
                                        ; implicit-def: $sgpr10
	s_and_saveexec_b64 s[8:9], s[6:7]
	s_xor_b64 s[6:7], exec, s[8:9]
	s_cbranch_execnz .LBB35_2721
; %bb.673:
	s_or_saveexec_b64 s[6:7], s[6:7]
	v_mov_b32_e32 v2, s10
	s_xor_b64 exec, exec, s[6:7]
	s_cbranch_execnz .LBB35_2724
.LBB35_674:
	s_or_b64 exec, exec, s[6:7]
	s_and_saveexec_b64 s[6:7], s[4:5]
	s_cbranch_execz .LBB35_676
.LBB35_675:
	v_and_b32_e32 v2, 7, v7
	v_ffbh_u32_e32 v10, v2
	v_min_u32_e32 v10, 32, v10
	v_lshrrev_b16_e32 v6, 3, v7
	v_subrev_u32_e32 v11, 28, v10
	v_and_b32_e32 v6, 15, v6
	v_lshlrev_b32_e32 v11, v11, v7
	v_sub_u32_e32 v10, 29, v10
	v_and_b32_e32 v11, 7, v11
	v_cmp_eq_u16_e32 vcc, 0, v6
	v_cndmask_b32_e32 v2, v2, v11, vcc
	v_cndmask_b32_e32 v6, v6, v10, vcc
	v_lshlrev_b32_e32 v10, 24, v7
	v_mov_b32_e32 v11, 0x3b800000
	v_lshlrev_b32_e32 v2, 20, v2
	v_and_b32_e32 v10, 0x80000000, v10
	v_lshl_add_u32 v6, v6, 23, v11
	v_or3_b32 v2, v10, v6, v2
.LBB35_676:
	s_or_b64 exec, exec, s[6:7]
	s_movk_i32 s4, 0x7f
	v_cmp_gt_i16_sdwa s[6:7], v3, s4 src0_sel:BYTE_0 src1_sel:DWORD
	s_mov_b64 s[4:5], 0
                                        ; implicit-def: $sgpr10
	s_and_saveexec_b64 s[8:9], s[6:7]
	s_xor_b64 s[6:7], exec, s[8:9]
	s_cbranch_execnz .LBB35_2725
; %bb.677:
	s_or_saveexec_b64 s[6:7], s[6:7]
	v_mov_b32_e32 v6, s10
	s_xor_b64 exec, exec, s[6:7]
	s_cbranch_execnz .LBB35_2728
.LBB35_678:
	s_or_b64 exec, exec, s[6:7]
	s_and_saveexec_b64 s[6:7], s[4:5]
	s_cbranch_execz .LBB35_680
.LBB35_679:
	v_and_b32_e32 v6, 7, v3
	v_ffbh_u32_e32 v11, v6
	v_min_u32_e32 v11, 32, v11
	v_lshrrev_b16_e32 v10, 3, v3
	v_subrev_u32_e32 v12, 28, v11
	v_and_b32_e32 v10, 15, v10
	v_lshlrev_b32_e32 v12, v12, v3
	v_sub_u32_e32 v11, 29, v11
	v_and_b32_e32 v12, 7, v12
	v_cmp_eq_u16_e32 vcc, 0, v10
	v_cndmask_b32_e32 v6, v6, v12, vcc
	v_cndmask_b32_e32 v10, v10, v11, vcc
	v_lshlrev_b32_e32 v11, 24, v3
	v_mov_b32_e32 v12, 0x3b800000
	v_lshlrev_b32_e32 v6, 20, v6
	v_and_b32_e32 v11, 0x80000000, v11
	v_lshl_add_u32 v10, v10, 23, v12
	v_or3_b32 v6, v11, v10, v6
.LBB35_680:
	s_or_b64 exec, exec, s[6:7]
	s_nop 0
	v_mfma_f32_16x16x4f32 a[0:3], v2, v6, a[0:3]
	v_lshrrev_b32_e32 v6, 8, v7
	s_movk_i32 s4, 0x7f
	v_cmp_gt_i16_sdwa s[6:7], v6, s4 src0_sel:BYTE_0 src1_sel:DWORD
	s_mov_b64 s[4:5], 0
                                        ; implicit-def: $sgpr10
	s_and_saveexec_b64 s[8:9], s[6:7]
	s_xor_b64 s[6:7], exec, s[8:9]
	s_cbranch_execnz .LBB35_2729
; %bb.681:
	s_or_saveexec_b64 s[6:7], s[6:7]
	v_mov_b32_e32 v2, s10
	s_xor_b64 exec, exec, s[6:7]
	s_cbranch_execnz .LBB35_2732
.LBB35_682:
	s_or_b64 exec, exec, s[6:7]
	s_and_saveexec_b64 s[6:7], s[4:5]
	s_cbranch_execz .LBB35_684
.LBB35_683:
	v_bfe_u32 v2, v7, 8, 3
	v_ffbh_u32_e32 v11, v2
	v_min_u32_e32 v11, 32, v11
	v_lshrrev_b16_e32 v10, 3, v6
	v_subrev_u32_e32 v12, 28, v11
	v_and_b32_e32 v10, 15, v10
	v_lshlrev_b32_e32 v6, v12, v6
	v_sub_u32_e32 v11, 29, v11
	v_and_b32_e32 v6, 7, v6
	v_cmp_eq_u16_e32 vcc, 0, v10
	v_cndmask_b32_e32 v2, v2, v6, vcc
	v_cndmask_b32_e32 v6, v10, v11, vcc
	v_lshlrev_b32_e32 v10, 16, v7
	v_mov_b32_e32 v11, 0x3b800000
	v_lshlrev_b32_e32 v2, 20, v2
	v_and_b32_e32 v10, 0x80000000, v10
	v_lshl_add_u32 v6, v6, 23, v11
	v_or3_b32 v2, v10, v6, v2
.LBB35_684:
	s_or_b64 exec, exec, s[6:7]
	v_lshrrev_b32_e32 v6, 8, v3
	s_movk_i32 s4, 0x7f
	v_cmp_gt_i16_sdwa s[6:7], v6, s4 src0_sel:BYTE_0 src1_sel:DWORD
	s_mov_b64 s[4:5], 0
                                        ; implicit-def: $sgpr10
	s_and_saveexec_b64 s[8:9], s[6:7]
	s_xor_b64 s[6:7], exec, s[8:9]
	s_cbranch_execnz .LBB35_2733
; %bb.685:
	s_or_saveexec_b64 s[6:7], s[6:7]
	v_mov_b32_e32 v10, s10
	s_xor_b64 exec, exec, s[6:7]
	s_cbranch_execnz .LBB35_2736
.LBB35_686:
	s_or_b64 exec, exec, s[6:7]
	s_and_saveexec_b64 s[6:7], s[4:5]
	s_cbranch_execz .LBB35_688
.LBB35_687:
	v_bfe_u32 v10, v3, 8, 3
	v_ffbh_u32_e32 v12, v10
	v_min_u32_e32 v12, 32, v12
	v_lshrrev_b16_e32 v11, 3, v6
	v_subrev_u32_e32 v13, 28, v12
	v_and_b32_e32 v11, 15, v11
	v_lshlrev_b32_e32 v6, v13, v6
	v_sub_u32_e32 v12, 29, v12
	v_and_b32_e32 v6, 7, v6
	v_cmp_eq_u16_e32 vcc, 0, v11
	v_cndmask_b32_e32 v6, v10, v6, vcc
	v_cndmask_b32_e32 v10, v11, v12, vcc
	v_lshlrev_b32_e32 v11, 16, v3
	v_mov_b32_e32 v12, 0x3b800000
	v_lshlrev_b32_e32 v6, 20, v6
	v_and_b32_e32 v11, 0x80000000, v11
	v_lshl_add_u32 v10, v10, 23, v12
	v_or3_b32 v10, v11, v10, v6
.LBB35_688:
	s_or_b64 exec, exec, s[6:7]
	s_nop 0
	v_mfma_f32_16x16x4f32 a[0:3], v2, v10, a[0:3]
	s_movk_i32 s4, 0xff
	v_and_b32_sdwa v6, v7, s4 dst_sel:DWORD dst_unused:UNUSED_PAD src0_sel:WORD_1 src1_sel:DWORD
	s_movk_i32 s4, 0x7f
	v_cmp_lt_i16_e32 vcc, s4, v6
	s_mov_b64 s[4:5], 0
                                        ; implicit-def: $sgpr10
	s_and_saveexec_b64 s[6:7], vcc
	s_xor_b64 s[6:7], exec, s[6:7]
	s_cbranch_execnz .LBB35_2737
; %bb.689:
	s_or_saveexec_b64 s[6:7], s[6:7]
	v_mov_b32_e32 v2, s10
	s_xor_b64 exec, exec, s[6:7]
	s_cbranch_execnz .LBB35_2740
.LBB35_690:
	s_or_b64 exec, exec, s[6:7]
	s_and_saveexec_b64 s[6:7], s[4:5]
	s_cbranch_execz .LBB35_692
.LBB35_691:
	v_bfe_u32 v2, v7, 16, 3
	v_ffbh_u32_e32 v11, v2
	v_min_u32_e32 v11, 32, v11
	v_lshrrev_b32_e32 v6, 19, v7
	v_subrev_u32_e32 v12, 28, v11
	v_and_b32_e32 v6, 15, v6
	v_lshlrev_b32_sdwa v12, v12, v7 dst_sel:DWORD dst_unused:UNUSED_PAD src0_sel:DWORD src1_sel:WORD_1
	v_bfe_u32 v10, v7, 19, 4
	v_sub_u32_e32 v11, 29, v11
	v_and_b32_e32 v12, 7, v12
	v_cmp_eq_u16_e32 vcc, 0, v6
	v_cndmask_b32_e32 v2, v2, v12, vcc
	v_cndmask_b32_e32 v6, v10, v11, vcc
	v_lshlrev_b32_e32 v10, 8, v7
	v_mov_b32_e32 v11, 0x3b800000
	v_lshlrev_b32_e32 v2, 20, v2
	v_and_b32_e32 v10, 0x80000000, v10
	v_lshl_add_u32 v6, v6, 23, v11
	v_or3_b32 v2, v10, v6, v2
.LBB35_692:
	s_or_b64 exec, exec, s[6:7]
	s_movk_i32 s4, 0xff
	v_and_b32_sdwa v6, v3, s4 dst_sel:DWORD dst_unused:UNUSED_PAD src0_sel:WORD_1 src1_sel:DWORD
	s_movk_i32 s4, 0x7f
	v_cmp_lt_i16_e32 vcc, s4, v6
	s_mov_b64 s[4:5], 0
                                        ; implicit-def: $sgpr10
	s_and_saveexec_b64 s[6:7], vcc
	s_xor_b64 s[6:7], exec, s[6:7]
	s_cbranch_execnz .LBB35_2741
; %bb.693:
	s_or_saveexec_b64 s[6:7], s[6:7]
	v_mov_b32_e32 v10, s10
	s_xor_b64 exec, exec, s[6:7]
	s_cbranch_execnz .LBB35_2744
.LBB35_694:
	s_or_b64 exec, exec, s[6:7]
	s_and_saveexec_b64 s[6:7], s[4:5]
	s_cbranch_execz .LBB35_696
.LBB35_695:
	v_bfe_u32 v6, v3, 16, 3
	v_ffbh_u32_e32 v12, v6
	v_min_u32_e32 v12, 32, v12
	v_lshrrev_b32_e32 v10, 19, v3
	v_subrev_u32_e32 v13, 28, v12
	v_and_b32_e32 v10, 15, v10
	v_lshlrev_b32_sdwa v13, v13, v3 dst_sel:DWORD dst_unused:UNUSED_PAD src0_sel:DWORD src1_sel:WORD_1
	v_bfe_u32 v11, v3, 19, 4
	v_sub_u32_e32 v12, 29, v12
	v_and_b32_e32 v13, 7, v13
	v_cmp_eq_u16_e32 vcc, 0, v10
	v_cndmask_b32_e32 v6, v6, v13, vcc
	v_cndmask_b32_e32 v10, v11, v12, vcc
	v_lshlrev_b32_e32 v11, 8, v3
	v_mov_b32_e32 v12, 0x3b800000
	v_lshlrev_b32_e32 v6, 20, v6
	v_and_b32_e32 v11, 0x80000000, v11
	v_lshl_add_u32 v10, v10, 23, v12
	v_or3_b32 v10, v11, v10, v6
.LBB35_696:
	s_or_b64 exec, exec, s[6:7]
	s_nop 0
	v_mfma_f32_16x16x4f32 a[0:3], v2, v10, a[0:3]
	s_movk_i32 s4, 0x7f
	v_cmp_gt_i16_sdwa s[6:7], v7, s4 src0_sel:BYTE_3 src1_sel:DWORD
	s_mov_b64 s[4:5], 0
                                        ; implicit-def: $sgpr10
	s_and_saveexec_b64 s[8:9], s[6:7]
	s_xor_b64 s[6:7], exec, s[8:9]
	s_cbranch_execnz .LBB35_2745
; %bb.697:
	s_or_saveexec_b64 s[6:7], s[6:7]
	v_mov_b32_e32 v2, s10
	s_xor_b64 exec, exec, s[6:7]
	s_cbranch_execnz .LBB35_2748
.LBB35_698:
	s_or_b64 exec, exec, s[6:7]
	s_and_saveexec_b64 s[6:7], s[4:5]
	s_cbranch_execz .LBB35_700
.LBB35_699:
	v_bfe_u32 v2, v7, 24, 3
	v_ffbh_u32_e32 v12, v2
	v_min_u32_e32 v12, 32, v12
	v_lshrrev_b32_e32 v10, 27, v7
	v_subrev_u32_e32 v13, 28, v12
	v_and_b32_e32 v6, 0x80000000, v7
	v_and_b32_e32 v10, 15, v10
	v_bfe_u32 v11, v7, 27, 4
	v_lshlrev_b32_sdwa v7, v13, v7 dst_sel:DWORD dst_unused:UNUSED_PAD src0_sel:DWORD src1_sel:BYTE_3
	v_sub_u32_e32 v12, 29, v12
	v_and_b32_e32 v7, 7, v7
	v_cmp_eq_u16_e32 vcc, 0, v10
	v_cndmask_b32_e32 v2, v2, v7, vcc
	v_cndmask_b32_e32 v7, v11, v12, vcc
	v_mov_b32_e32 v10, 0x3b800000
	v_lshlrev_b32_e32 v2, 20, v2
	v_lshl_add_u32 v7, v7, 23, v10
	v_or3_b32 v2, v6, v7, v2
.LBB35_700:
	s_or_b64 exec, exec, s[6:7]
	s_movk_i32 s4, 0x7f
	v_cmp_gt_i16_sdwa s[6:7], v3, s4 src0_sel:BYTE_3 src1_sel:DWORD
	s_mov_b64 s[4:5], 0
                                        ; implicit-def: $sgpr10
	s_and_saveexec_b64 s[8:9], s[6:7]
	s_xor_b64 s[6:7], exec, s[8:9]
	s_cbranch_execnz .LBB35_2749
; %bb.701:
	s_or_saveexec_b64 s[6:7], s[6:7]
	v_mov_b32_e32 v6, s10
	s_xor_b64 exec, exec, s[6:7]
	s_cbranch_execnz .LBB35_2752
.LBB35_702:
	s_or_b64 exec, exec, s[6:7]
	s_and_saveexec_b64 s[6:7], s[4:5]
	s_cbranch_execz .LBB35_704
.LBB35_703:
	v_bfe_u32 v6, v3, 24, 3
	v_ffbh_u32_e32 v12, v6
	v_min_u32_e32 v12, 32, v12
	v_lshrrev_b32_e32 v10, 27, v3
	v_subrev_u32_e32 v13, 28, v12
	v_and_b32_e32 v7, 0x80000000, v3
	v_and_b32_e32 v10, 15, v10
	v_bfe_u32 v11, v3, 27, 4
	v_lshlrev_b32_sdwa v3, v13, v3 dst_sel:DWORD dst_unused:UNUSED_PAD src0_sel:DWORD src1_sel:BYTE_3
	v_sub_u32_e32 v12, 29, v12
	v_and_b32_e32 v3, 7, v3
	v_cmp_eq_u16_e32 vcc, 0, v10
	v_cndmask_b32_e32 v3, v6, v3, vcc
	v_cndmask_b32_e32 v6, v11, v12, vcc
	v_mov_b32_e32 v10, 0x3b800000
	v_lshlrev_b32_e32 v3, 20, v3
	v_lshl_add_u32 v6, v6, 23, v10
	v_or3_b32 v6, v7, v6, v3
.LBB35_704:
	s_or_b64 exec, exec, s[6:7]
	s_nop 0
	v_mfma_f32_16x16x4f32 a[0:3], v2, v6, a[0:3]
	s_movk_i32 s4, 0x7f
	v_cmp_gt_i16_sdwa s[6:7], v8, s4 src0_sel:BYTE_0 src1_sel:DWORD
	s_mov_b64 s[4:5], 0
                                        ; implicit-def: $sgpr10
	s_and_saveexec_b64 s[8:9], s[6:7]
	s_xor_b64 s[6:7], exec, s[8:9]
	s_cbranch_execnz .LBB35_2753
; %bb.705:
	s_or_saveexec_b64 s[6:7], s[6:7]
	v_mov_b32_e32 v2, s10
	s_xor_b64 exec, exec, s[6:7]
	s_cbranch_execnz .LBB35_2756
.LBB35_706:
	s_or_b64 exec, exec, s[6:7]
	s_and_saveexec_b64 s[6:7], s[4:5]
	s_cbranch_execz .LBB35_708
.LBB35_707:
	v_and_b32_e32 v2, 7, v8
	v_ffbh_u32_e32 v6, v2
	v_min_u32_e32 v6, 32, v6
	v_lshrrev_b16_e32 v3, 3, v8
	v_subrev_u32_e32 v7, 28, v6
	v_and_b32_e32 v3, 15, v3
	v_lshlrev_b32_e32 v7, v7, v8
	v_sub_u32_e32 v6, 29, v6
	v_and_b32_e32 v7, 7, v7
	v_cmp_eq_u16_e32 vcc, 0, v3
	v_cndmask_b32_e32 v2, v2, v7, vcc
	v_cndmask_b32_e32 v3, v3, v6, vcc
	v_lshlrev_b32_e32 v6, 24, v8
	v_mov_b32_e32 v7, 0x3b800000
	v_lshlrev_b32_e32 v2, 20, v2
	v_and_b32_e32 v6, 0x80000000, v6
	v_lshl_add_u32 v3, v3, 23, v7
	v_or3_b32 v2, v6, v3, v2
.LBB35_708:
	s_or_b64 exec, exec, s[6:7]
	s_movk_i32 s4, 0x7f
	v_cmp_gt_i16_sdwa s[6:7], v4, s4 src0_sel:BYTE_0 src1_sel:DWORD
	s_mov_b64 s[4:5], 0
                                        ; implicit-def: $sgpr10
	s_and_saveexec_b64 s[8:9], s[6:7]
	s_xor_b64 s[6:7], exec, s[8:9]
	s_cbranch_execnz .LBB35_2757
; %bb.709:
	s_or_saveexec_b64 s[6:7], s[6:7]
	v_mov_b32_e32 v3, s10
	s_xor_b64 exec, exec, s[6:7]
	s_cbranch_execnz .LBB35_2760
.LBB35_710:
	s_or_b64 exec, exec, s[6:7]
	s_and_saveexec_b64 s[6:7], s[4:5]
	s_cbranch_execz .LBB35_712
.LBB35_711:
	v_and_b32_e32 v3, 7, v4
	v_ffbh_u32_e32 v7, v3
	v_min_u32_e32 v7, 32, v7
	v_lshrrev_b16_e32 v6, 3, v4
	v_subrev_u32_e32 v10, 28, v7
	v_and_b32_e32 v6, 15, v6
	v_lshlrev_b32_e32 v10, v10, v4
	v_sub_u32_e32 v7, 29, v7
	v_and_b32_e32 v10, 7, v10
	v_cmp_eq_u16_e32 vcc, 0, v6
	v_cndmask_b32_e32 v3, v3, v10, vcc
	v_cndmask_b32_e32 v6, v6, v7, vcc
	v_lshlrev_b32_e32 v7, 24, v4
	v_mov_b32_e32 v10, 0x3b800000
	v_lshlrev_b32_e32 v3, 20, v3
	v_and_b32_e32 v7, 0x80000000, v7
	v_lshl_add_u32 v6, v6, 23, v10
	v_or3_b32 v3, v7, v6, v3
.LBB35_712:
	s_or_b64 exec, exec, s[6:7]
	s_nop 0
	v_mfma_f32_16x16x4f32 a[0:3], v2, v3, a[0:3]
	v_lshrrev_b32_e32 v3, 8, v8
	s_movk_i32 s4, 0x7f
	v_cmp_gt_i16_sdwa s[6:7], v3, s4 src0_sel:BYTE_0 src1_sel:DWORD
	s_mov_b64 s[4:5], 0
                                        ; implicit-def: $sgpr10
	s_and_saveexec_b64 s[8:9], s[6:7]
	s_xor_b64 s[6:7], exec, s[8:9]
	s_cbranch_execnz .LBB35_2761
; %bb.713:
	s_or_saveexec_b64 s[6:7], s[6:7]
	v_mov_b32_e32 v2, s10
	s_xor_b64 exec, exec, s[6:7]
	s_cbranch_execnz .LBB35_2764
.LBB35_714:
	s_or_b64 exec, exec, s[6:7]
	s_and_saveexec_b64 s[6:7], s[4:5]
	s_cbranch_execz .LBB35_716
.LBB35_715:
	v_bfe_u32 v2, v8, 8, 3
	v_ffbh_u32_e32 v7, v2
	v_min_u32_e32 v7, 32, v7
	v_lshrrev_b16_e32 v6, 3, v3
	v_subrev_u32_e32 v10, 28, v7
	v_and_b32_e32 v6, 15, v6
	v_lshlrev_b32_e32 v3, v10, v3
	v_sub_u32_e32 v7, 29, v7
	v_and_b32_e32 v3, 7, v3
	v_cmp_eq_u16_e32 vcc, 0, v6
	v_cndmask_b32_e32 v2, v2, v3, vcc
	v_cndmask_b32_e32 v3, v6, v7, vcc
	v_lshlrev_b32_e32 v6, 16, v8
	v_mov_b32_e32 v7, 0x3b800000
	v_lshlrev_b32_e32 v2, 20, v2
	v_and_b32_e32 v6, 0x80000000, v6
	v_lshl_add_u32 v3, v3, 23, v7
	v_or3_b32 v2, v6, v3, v2
.LBB35_716:
	s_or_b64 exec, exec, s[6:7]
	v_lshrrev_b32_e32 v3, 8, v4
	s_movk_i32 s4, 0x7f
	v_cmp_gt_i16_sdwa s[6:7], v3, s4 src0_sel:BYTE_0 src1_sel:DWORD
	s_mov_b64 s[4:5], 0
                                        ; implicit-def: $sgpr10
	s_and_saveexec_b64 s[8:9], s[6:7]
	s_xor_b64 s[6:7], exec, s[8:9]
	s_cbranch_execnz .LBB35_2765
; %bb.717:
	s_or_saveexec_b64 s[6:7], s[6:7]
	v_mov_b32_e32 v6, s10
	s_xor_b64 exec, exec, s[6:7]
	s_cbranch_execnz .LBB35_2768
.LBB35_718:
	s_or_b64 exec, exec, s[6:7]
	s_and_saveexec_b64 s[6:7], s[4:5]
	s_cbranch_execz .LBB35_720
.LBB35_719:
	v_bfe_u32 v6, v4, 8, 3
	v_ffbh_u32_e32 v10, v6
	v_min_u32_e32 v10, 32, v10
	v_lshrrev_b16_e32 v7, 3, v3
	v_subrev_u32_e32 v11, 28, v10
	v_and_b32_e32 v7, 15, v7
	v_lshlrev_b32_e32 v3, v11, v3
	v_sub_u32_e32 v10, 29, v10
	v_and_b32_e32 v3, 7, v3
	v_cmp_eq_u16_e32 vcc, 0, v7
	v_cndmask_b32_e32 v3, v6, v3, vcc
	v_cndmask_b32_e32 v6, v7, v10, vcc
	v_lshlrev_b32_e32 v7, 16, v4
	v_mov_b32_e32 v10, 0x3b800000
	v_lshlrev_b32_e32 v3, 20, v3
	v_and_b32_e32 v7, 0x80000000, v7
	v_lshl_add_u32 v6, v6, 23, v10
	v_or3_b32 v6, v7, v6, v3
.LBB35_720:
	s_or_b64 exec, exec, s[6:7]
	s_nop 0
	v_mfma_f32_16x16x4f32 a[0:3], v2, v6, a[0:3]
	s_movk_i32 s4, 0xff
	v_and_b32_sdwa v3, v8, s4 dst_sel:DWORD dst_unused:UNUSED_PAD src0_sel:WORD_1 src1_sel:DWORD
	s_movk_i32 s4, 0x7f
	v_cmp_lt_i16_e32 vcc, s4, v3
	s_mov_b64 s[4:5], 0
                                        ; implicit-def: $sgpr10
	s_and_saveexec_b64 s[6:7], vcc
	s_xor_b64 s[6:7], exec, s[6:7]
	s_cbranch_execnz .LBB35_2769
; %bb.721:
	s_or_saveexec_b64 s[6:7], s[6:7]
	v_mov_b32_e32 v2, s10
	s_xor_b64 exec, exec, s[6:7]
	s_cbranch_execnz .LBB35_2772
.LBB35_722:
	s_or_b64 exec, exec, s[6:7]
	s_and_saveexec_b64 s[6:7], s[4:5]
	s_cbranch_execz .LBB35_724
.LBB35_723:
	v_bfe_u32 v2, v8, 16, 3
	v_ffbh_u32_e32 v7, v2
	v_min_u32_e32 v7, 32, v7
	v_lshrrev_b32_e32 v3, 19, v8
	v_subrev_u32_e32 v10, 28, v7
	v_and_b32_e32 v3, 15, v3
	v_lshlrev_b32_sdwa v10, v10, v8 dst_sel:DWORD dst_unused:UNUSED_PAD src0_sel:DWORD src1_sel:WORD_1
	v_bfe_u32 v6, v8, 19, 4
	v_sub_u32_e32 v7, 29, v7
	v_and_b32_e32 v10, 7, v10
	v_cmp_eq_u16_e32 vcc, 0, v3
	v_cndmask_b32_e32 v2, v2, v10, vcc
	v_cndmask_b32_e32 v3, v6, v7, vcc
	v_lshlrev_b32_e32 v6, 8, v8
	v_mov_b32_e32 v7, 0x3b800000
	v_lshlrev_b32_e32 v2, 20, v2
	v_and_b32_e32 v6, 0x80000000, v6
	v_lshl_add_u32 v3, v3, 23, v7
	v_or3_b32 v2, v6, v3, v2
.LBB35_724:
	s_or_b64 exec, exec, s[6:7]
	s_movk_i32 s4, 0xff
	v_and_b32_sdwa v3, v4, s4 dst_sel:DWORD dst_unused:UNUSED_PAD src0_sel:WORD_1 src1_sel:DWORD
	s_movk_i32 s4, 0x7f
	v_cmp_lt_i16_e32 vcc, s4, v3
	s_mov_b64 s[4:5], 0
                                        ; implicit-def: $sgpr10
	s_and_saveexec_b64 s[6:7], vcc
	s_xor_b64 s[6:7], exec, s[6:7]
	s_cbranch_execnz .LBB35_2773
; %bb.725:
	s_or_saveexec_b64 s[6:7], s[6:7]
	v_mov_b32_e32 v6, s10
	s_xor_b64 exec, exec, s[6:7]
	s_cbranch_execnz .LBB35_2776
.LBB35_726:
	s_or_b64 exec, exec, s[6:7]
	s_and_saveexec_b64 s[6:7], s[4:5]
	s_cbranch_execz .LBB35_728
.LBB35_727:
	v_bfe_u32 v3, v4, 16, 3
	v_ffbh_u32_e32 v10, v3
	v_min_u32_e32 v10, 32, v10
	v_lshrrev_b32_e32 v6, 19, v4
	v_subrev_u32_e32 v11, 28, v10
	v_and_b32_e32 v6, 15, v6
	v_lshlrev_b32_sdwa v11, v11, v4 dst_sel:DWORD dst_unused:UNUSED_PAD src0_sel:DWORD src1_sel:WORD_1
	v_bfe_u32 v7, v4, 19, 4
	v_sub_u32_e32 v10, 29, v10
	v_and_b32_e32 v11, 7, v11
	v_cmp_eq_u16_e32 vcc, 0, v6
	v_cndmask_b32_e32 v3, v3, v11, vcc
	v_cndmask_b32_e32 v6, v7, v10, vcc
	v_lshlrev_b32_e32 v7, 8, v4
	v_mov_b32_e32 v10, 0x3b800000
	v_lshlrev_b32_e32 v3, 20, v3
	v_and_b32_e32 v7, 0x80000000, v7
	v_lshl_add_u32 v6, v6, 23, v10
	v_or3_b32 v6, v7, v6, v3
.LBB35_728:
	s_or_b64 exec, exec, s[6:7]
	s_nop 0
	v_mfma_f32_16x16x4f32 a[0:3], v2, v6, a[0:3]
	s_movk_i32 s4, 0x7f
	v_cmp_gt_i16_sdwa s[6:7], v8, s4 src0_sel:BYTE_3 src1_sel:DWORD
	s_mov_b64 s[4:5], 0
                                        ; implicit-def: $sgpr10
	s_and_saveexec_b64 s[8:9], s[6:7]
	s_xor_b64 s[6:7], exec, s[8:9]
	s_cbranch_execnz .LBB35_2777
; %bb.729:
	s_or_saveexec_b64 s[6:7], s[6:7]
	v_mov_b32_e32 v2, s10
	s_xor_b64 exec, exec, s[6:7]
	s_cbranch_execnz .LBB35_2780
.LBB35_730:
	s_or_b64 exec, exec, s[6:7]
	s_and_saveexec_b64 s[6:7], s[4:5]
	s_cbranch_execz .LBB35_732
.LBB35_731:
	v_bfe_u32 v2, v8, 24, 3
	v_ffbh_u32_e32 v10, v2
	v_min_u32_e32 v10, 32, v10
	v_lshrrev_b32_e32 v6, 27, v8
	v_subrev_u32_e32 v11, 28, v10
	v_and_b32_e32 v3, 0x80000000, v8
	v_and_b32_e32 v6, 15, v6
	v_bfe_u32 v7, v8, 27, 4
	v_lshlrev_b32_sdwa v8, v11, v8 dst_sel:DWORD dst_unused:UNUSED_PAD src0_sel:DWORD src1_sel:BYTE_3
	v_sub_u32_e32 v10, 29, v10
	v_and_b32_e32 v8, 7, v8
	v_cmp_eq_u16_e32 vcc, 0, v6
	v_cndmask_b32_e32 v2, v2, v8, vcc
	v_cndmask_b32_e32 v6, v7, v10, vcc
	v_mov_b32_e32 v7, 0x3b800000
	v_lshlrev_b32_e32 v2, 20, v2
	v_lshl_add_u32 v6, v6, 23, v7
	v_or3_b32 v2, v3, v6, v2
.LBB35_732:
	s_or_b64 exec, exec, s[6:7]
	s_movk_i32 s4, 0x7f
	v_cmp_gt_i16_sdwa s[6:7], v4, s4 src0_sel:BYTE_3 src1_sel:DWORD
	s_mov_b64 s[4:5], 0
                                        ; implicit-def: $sgpr10
	s_and_saveexec_b64 s[8:9], s[6:7]
	s_xor_b64 s[6:7], exec, s[8:9]
	s_cbranch_execnz .LBB35_2781
; %bb.733:
	s_or_saveexec_b64 s[6:7], s[6:7]
	v_mov_b32_e32 v3, s10
	s_xor_b64 exec, exec, s[6:7]
	s_cbranch_execnz .LBB35_2784
.LBB35_734:
	s_or_b64 exec, exec, s[6:7]
	s_and_saveexec_b64 s[6:7], s[4:5]
	s_cbranch_execz .LBB35_736
.LBB35_735:
	v_bfe_u32 v3, v4, 24, 3
	v_ffbh_u32_e32 v10, v3
	v_min_u32_e32 v10, 32, v10
	v_lshrrev_b32_e32 v7, 27, v4
	v_subrev_u32_e32 v11, 28, v10
	v_and_b32_e32 v6, 0x80000000, v4
	v_and_b32_e32 v7, 15, v7
	v_bfe_u32 v8, v4, 27, 4
	v_lshlrev_b32_sdwa v4, v11, v4 dst_sel:DWORD dst_unused:UNUSED_PAD src0_sel:DWORD src1_sel:BYTE_3
	v_sub_u32_e32 v10, 29, v10
	v_and_b32_e32 v4, 7, v4
	v_cmp_eq_u16_e32 vcc, 0, v7
	v_cndmask_b32_e32 v3, v3, v4, vcc
	v_cndmask_b32_e32 v4, v8, v10, vcc
	v_mov_b32_e32 v7, 0x3b800000
	v_lshlrev_b32_e32 v3, 20, v3
	v_lshl_add_u32 v4, v4, 23, v7
	v_or3_b32 v3, v6, v4, v3
.LBB35_736:
	s_or_b64 exec, exec, s[6:7]
	s_nop 0
	v_mfma_f32_16x16x4f32 a[0:3], v2, v3, a[0:3]
	s_movk_i32 s4, 0x7f
	v_cmp_gt_i16_sdwa s[6:7], v9, s4 src0_sel:BYTE_0 src1_sel:DWORD
	s_mov_b64 s[4:5], 0
                                        ; implicit-def: $sgpr10
	s_and_saveexec_b64 s[8:9], s[6:7]
	s_xor_b64 s[6:7], exec, s[8:9]
	s_cbranch_execnz .LBB35_2785
; %bb.737:
	s_or_saveexec_b64 s[6:7], s[6:7]
	v_mov_b32_e32 v2, s10
	s_xor_b64 exec, exec, s[6:7]
	s_cbranch_execnz .LBB35_2788
.LBB35_738:
	s_or_b64 exec, exec, s[6:7]
	s_and_saveexec_b64 s[6:7], s[4:5]
	s_cbranch_execz .LBB35_740
.LBB35_739:
	v_mov_b32_e32 v2, 8
	v_and_b32_e32 v3, 7, v9
	v_lshrrev_b32_sdwa v2, v2, v9 dst_sel:BYTE_1 dst_unused:UNUSED_PAD src0_sel:DWORD src1_sel:DWORD
	v_ffbh_u32_e32 v4, v3
	v_or_b32_sdwa v2, v9, v2 dst_sel:DWORD dst_unused:UNUSED_PAD src0_sel:BYTE_0 src1_sel:DWORD
	v_min_u32_e32 v4, 32, v4
	v_lshrrev_b16_e32 v2, 3, v2
	v_subrev_u32_e32 v6, 28, v4
	v_and_b32_e32 v2, 15, v2
	v_lshlrev_b32_e32 v6, v6, v9
	v_sub_u32_e32 v4, 29, v4
	v_and_b32_e32 v6, 7, v6
	v_cmp_eq_u16_e32 vcc, 0, v2
	v_cndmask_b32_e32 v3, v3, v6, vcc
	v_cndmask_b32_e32 v2, v2, v4, vcc
	v_lshlrev_b32_e32 v4, 24, v9
	v_mov_b32_e32 v6, 0x3b800000
	v_lshlrev_b32_e32 v3, 20, v3
	v_and_b32_e32 v4, 0x80000000, v4
	v_lshl_add_u32 v2, v2, 23, v6
	v_or3_b32 v2, v4, v2, v3
.LBB35_740:
	s_or_b64 exec, exec, s[6:7]
	s_movk_i32 s4, 0x7f
	v_cmp_gt_i16_sdwa s[6:7], v5, s4 src0_sel:BYTE_0 src1_sel:DWORD
	s_mov_b64 s[4:5], 0
                                        ; implicit-def: $sgpr10
	s_and_saveexec_b64 s[8:9], s[6:7]
	s_xor_b64 s[6:7], exec, s[8:9]
	s_cbranch_execnz .LBB35_2789
; %bb.741:
	s_or_saveexec_b64 s[6:7], s[6:7]
	v_mov_b32_e32 v3, s10
	s_xor_b64 exec, exec, s[6:7]
	s_cbranch_execnz .LBB35_2792
.LBB35_742:
	s_or_b64 exec, exec, s[6:7]
	s_and_saveexec_b64 s[6:7], s[4:5]
	s_cbranch_execz .LBB35_744
.LBB35_743:
	v_mov_b32_e32 v3, 8
	v_and_b32_e32 v4, 7, v5
	v_lshrrev_b32_sdwa v3, v3, v5 dst_sel:BYTE_1 dst_unused:UNUSED_PAD src0_sel:DWORD src1_sel:DWORD
	v_ffbh_u32_e32 v6, v4
	v_or_b32_sdwa v3, v5, v3 dst_sel:DWORD dst_unused:UNUSED_PAD src0_sel:BYTE_0 src1_sel:DWORD
	v_min_u32_e32 v6, 32, v6
	v_lshrrev_b16_e32 v3, 3, v3
	v_subrev_u32_e32 v7, 28, v6
	v_and_b32_e32 v3, 15, v3
	v_lshlrev_b32_e32 v7, v7, v5
	v_sub_u32_e32 v6, 29, v6
	v_and_b32_e32 v7, 7, v7
	v_cmp_eq_u16_e32 vcc, 0, v3
	v_cndmask_b32_e32 v4, v4, v7, vcc
	v_cndmask_b32_e32 v3, v3, v6, vcc
	v_lshlrev_b32_e32 v6, 24, v5
	v_mov_b32_e32 v7, 0x3b800000
	v_lshlrev_b32_e32 v4, 20, v4
	v_and_b32_e32 v6, 0x80000000, v6
	v_lshl_add_u32 v3, v3, 23, v7
	v_or3_b32 v3, v6, v3, v4
.LBB35_744:
	s_or_b64 exec, exec, s[6:7]
	s_nop 0
	v_mfma_f32_16x16x4f32 a[0:3], v2, v3, a[0:3]
	v_lshrrev_b32_e32 v3, 8, v9
	s_movk_i32 s4, 0x7f
	v_cmp_gt_i16_sdwa s[6:7], v3, s4 src0_sel:BYTE_0 src1_sel:DWORD
	s_mov_b64 s[4:5], 0
                                        ; implicit-def: $sgpr10
	s_and_saveexec_b64 s[8:9], s[6:7]
	s_xor_b64 s[6:7], exec, s[8:9]
	s_cbranch_execnz .LBB35_2793
; %bb.745:
	s_or_saveexec_b64 s[6:7], s[6:7]
	v_mov_b32_e32 v2, s10
	s_xor_b64 exec, exec, s[6:7]
	s_cbranch_execnz .LBB35_2796
.LBB35_746:
	s_or_b64 exec, exec, s[6:7]
	s_and_saveexec_b64 s[6:7], s[4:5]
	s_cbranch_execz .LBB35_748
.LBB35_747:
	v_bfe_u32 v2, v9, 8, 3
	v_ffbh_u32_e32 v6, v2
	v_min_u32_e32 v6, 32, v6
	v_lshrrev_b16_e32 v4, 3, v3
	v_subrev_u32_e32 v7, 28, v6
	v_and_b32_e32 v4, 15, v4
	v_lshlrev_b32_e32 v3, v7, v3
	v_sub_u32_e32 v6, 29, v6
	v_and_b32_e32 v3, 7, v3
	v_cmp_eq_u16_e32 vcc, 0, v4
	v_cndmask_b32_e32 v2, v2, v3, vcc
	v_cndmask_b32_e32 v3, v4, v6, vcc
	v_lshlrev_b32_e32 v4, 16, v9
	v_mov_b32_e32 v6, 0x3b800000
	v_lshlrev_b32_e32 v2, 20, v2
	v_and_b32_e32 v4, 0x80000000, v4
	v_lshl_add_u32 v3, v3, 23, v6
	v_or3_b32 v2, v4, v3, v2
.LBB35_748:
	s_or_b64 exec, exec, s[6:7]
	v_lshrrev_b32_e32 v3, 8, v5
	s_movk_i32 s4, 0x7f
	v_cmp_gt_i16_sdwa s[6:7], v3, s4 src0_sel:BYTE_0 src1_sel:DWORD
	s_mov_b64 s[4:5], 0
                                        ; implicit-def: $sgpr10
	s_and_saveexec_b64 s[8:9], s[6:7]
	s_xor_b64 s[6:7], exec, s[8:9]
	s_cbranch_execnz .LBB35_2797
; %bb.749:
	s_or_saveexec_b64 s[6:7], s[6:7]
	v_mov_b32_e32 v4, s10
	s_xor_b64 exec, exec, s[6:7]
	s_cbranch_execnz .LBB35_2800
.LBB35_750:
	s_or_b64 exec, exec, s[6:7]
	s_and_saveexec_b64 s[6:7], s[4:5]
	s_cbranch_execz .LBB35_752
.LBB35_751:
	v_bfe_u32 v4, v5, 8, 3
	v_ffbh_u32_e32 v7, v4
	v_min_u32_e32 v7, 32, v7
	v_lshrrev_b16_e32 v6, 3, v3
	v_subrev_u32_e32 v8, 28, v7
	v_and_b32_e32 v6, 15, v6
	v_lshlrev_b32_e32 v3, v8, v3
	v_sub_u32_e32 v7, 29, v7
	v_and_b32_e32 v3, 7, v3
	v_cmp_eq_u16_e32 vcc, 0, v6
	v_cndmask_b32_e32 v3, v4, v3, vcc
	v_cndmask_b32_e32 v4, v6, v7, vcc
	v_lshlrev_b32_e32 v6, 16, v5
	v_mov_b32_e32 v7, 0x3b800000
	v_lshlrev_b32_e32 v3, 20, v3
	v_and_b32_e32 v6, 0x80000000, v6
	v_lshl_add_u32 v4, v4, 23, v7
	v_or3_b32 v4, v6, v4, v3
.LBB35_752:
	s_or_b64 exec, exec, s[6:7]
	s_nop 0
	v_mfma_f32_16x16x4f32 a[0:3], v2, v4, a[0:3]
	s_movk_i32 s4, 0xff
	v_and_b32_sdwa v3, v9, s4 dst_sel:DWORD dst_unused:UNUSED_PAD src0_sel:WORD_1 src1_sel:DWORD
	s_movk_i32 s4, 0x7f
	v_cmp_lt_i16_e32 vcc, s4, v3
	s_mov_b64 s[4:5], 0
                                        ; implicit-def: $sgpr10
	s_and_saveexec_b64 s[6:7], vcc
	s_xor_b64 s[6:7], exec, s[6:7]
	s_cbranch_execnz .LBB35_2801
; %bb.753:
	s_or_saveexec_b64 s[6:7], s[6:7]
	v_mov_b32_e32 v2, s10
	s_xor_b64 exec, exec, s[6:7]
	s_cbranch_execnz .LBB35_2804
.LBB35_754:
	s_or_b64 exec, exec, s[6:7]
	s_and_saveexec_b64 s[6:7], s[4:5]
	s_cbranch_execz .LBB35_756
.LBB35_755:
	v_bfe_u32 v2, v9, 16, 3
	v_ffbh_u32_e32 v6, v2
	v_min_u32_e32 v6, 32, v6
	v_lshrrev_b32_e32 v3, 19, v9
	v_subrev_u32_e32 v7, 28, v6
	v_and_b32_e32 v3, 15, v3
	v_lshlrev_b32_sdwa v7, v7, v9 dst_sel:DWORD dst_unused:UNUSED_PAD src0_sel:DWORD src1_sel:WORD_1
	v_bfe_u32 v4, v9, 19, 4
	v_sub_u32_e32 v6, 29, v6
	v_and_b32_e32 v7, 7, v7
	v_cmp_eq_u16_e32 vcc, 0, v3
	v_cndmask_b32_e32 v2, v2, v7, vcc
	v_cndmask_b32_e32 v3, v4, v6, vcc
	v_lshlrev_b32_e32 v4, 8, v9
	v_mov_b32_e32 v6, 0x3b800000
	v_lshlrev_b32_e32 v2, 20, v2
	v_and_b32_e32 v4, 0x80000000, v4
	v_lshl_add_u32 v3, v3, 23, v6
	v_or3_b32 v2, v4, v3, v2
.LBB35_756:
	s_or_b64 exec, exec, s[6:7]
	s_movk_i32 s4, 0xff
	v_and_b32_sdwa v3, v5, s4 dst_sel:DWORD dst_unused:UNUSED_PAD src0_sel:WORD_1 src1_sel:DWORD
	s_movk_i32 s4, 0x7f
	v_cmp_lt_i16_e32 vcc, s4, v3
	s_mov_b64 s[4:5], 0
                                        ; implicit-def: $sgpr10
	s_and_saveexec_b64 s[6:7], vcc
	s_xor_b64 s[6:7], exec, s[6:7]
	s_cbranch_execnz .LBB35_2805
; %bb.757:
	s_or_saveexec_b64 s[6:7], s[6:7]
	v_mov_b32_e32 v4, s10
	s_xor_b64 exec, exec, s[6:7]
	s_cbranch_execnz .LBB35_2808
.LBB35_758:
	s_or_b64 exec, exec, s[6:7]
	s_and_saveexec_b64 s[6:7], s[4:5]
	s_cbranch_execz .LBB35_760
.LBB35_759:
	v_bfe_u32 v3, v5, 16, 3
	v_ffbh_u32_e32 v7, v3
	v_min_u32_e32 v7, 32, v7
	v_lshrrev_b32_e32 v4, 19, v5
	v_subrev_u32_e32 v8, 28, v7
	v_and_b32_e32 v4, 15, v4
	v_lshlrev_b32_sdwa v8, v8, v5 dst_sel:DWORD dst_unused:UNUSED_PAD src0_sel:DWORD src1_sel:WORD_1
	v_bfe_u32 v6, v5, 19, 4
	v_sub_u32_e32 v7, 29, v7
	v_and_b32_e32 v8, 7, v8
	v_cmp_eq_u16_e32 vcc, 0, v4
	v_cndmask_b32_e32 v3, v3, v8, vcc
	v_cndmask_b32_e32 v4, v6, v7, vcc
	v_lshlrev_b32_e32 v6, 8, v5
	v_mov_b32_e32 v7, 0x3b800000
	v_lshlrev_b32_e32 v3, 20, v3
	v_and_b32_e32 v6, 0x80000000, v6
	v_lshl_add_u32 v4, v4, 23, v7
	v_or3_b32 v4, v6, v4, v3
.LBB35_760:
	s_or_b64 exec, exec, s[6:7]
	s_nop 0
	v_mfma_f32_16x16x4f32 a[0:3], v2, v4, a[0:3]
	s_movk_i32 s4, 0x7f
	v_cmp_gt_i16_sdwa s[6:7], v9, s4 src0_sel:BYTE_3 src1_sel:DWORD
	s_mov_b64 s[4:5], 0
                                        ; implicit-def: $sgpr10
	s_and_saveexec_b64 s[8:9], s[6:7]
	s_xor_b64 s[6:7], exec, s[8:9]
	s_cbranch_execnz .LBB35_2809
; %bb.761:
	s_or_saveexec_b64 s[6:7], s[6:7]
	v_mov_b32_e32 v2, s10
	s_xor_b64 exec, exec, s[6:7]
	s_cbranch_execnz .LBB35_2812
.LBB35_762:
	s_or_b64 exec, exec, s[6:7]
	s_and_saveexec_b64 s[6:7], s[4:5]
	s_cbranch_execz .LBB35_764
.LBB35_763:
	v_bfe_u32 v2, v9, 24, 3
	v_ffbh_u32_e32 v7, v2
	v_min_u32_e32 v7, 32, v7
	v_lshrrev_b32_e32 v4, 27, v9
	v_subrev_u32_e32 v8, 28, v7
	v_and_b32_e32 v4, 15, v4
	v_lshlrev_b32_sdwa v8, v8, v9 dst_sel:DWORD dst_unused:UNUSED_PAD src0_sel:DWORD src1_sel:BYTE_3
	v_bfe_u32 v6, v9, 27, 4
	v_sub_u32_e32 v7, 29, v7
	v_and_b32_e32 v8, 7, v8
	v_cmp_eq_u16_e32 vcc, 0, v4
	v_cndmask_b32_e32 v2, v2, v8, vcc
	v_cndmask_b32_e32 v4, v6, v7, vcc
	v_mov_b32_e32 v6, 0x3b800000
	v_and_b32_e32 v3, 0x80000000, v9
	v_lshlrev_b32_e32 v2, 20, v2
	v_lshl_add_u32 v4, v4, 23, v6
	v_or3_b32 v2, v3, v4, v2
.LBB35_764:
	s_or_b64 exec, exec, s[6:7]
	s_movk_i32 s4, 0x7f
	v_cmp_gt_i16_sdwa s[6:7], v5, s4 src0_sel:BYTE_3 src1_sel:DWORD
	s_mov_b64 s[4:5], 0
                                        ; implicit-def: $sgpr10
	s_and_saveexec_b64 s[8:9], s[6:7]
	s_xor_b64 s[6:7], exec, s[8:9]
	s_cbranch_execnz .LBB35_2813
; %bb.765:
	s_or_saveexec_b64 s[6:7], s[6:7]
	v_mov_b32_e32 v3, s10
	s_xor_b64 exec, exec, s[6:7]
	s_cbranch_execnz .LBB35_2816
.LBB35_766:
	s_or_b64 exec, exec, s[6:7]
	s_and_saveexec_b64 s[6:7], s[4:5]
	s_cbranch_execz .LBB35_768
.LBB35_767:
	v_bfe_u32 v3, v5, 24, 3
	v_ffbh_u32_e32 v8, v3
	v_min_u32_e32 v8, 32, v8
	v_lshrrev_b32_e32 v6, 27, v5
	v_subrev_u32_e32 v9, 28, v8
	v_and_b32_e32 v4, 0x80000000, v5
	v_and_b32_e32 v6, 15, v6
	v_bfe_u32 v7, v5, 27, 4
	v_lshlrev_b32_sdwa v5, v9, v5 dst_sel:DWORD dst_unused:UNUSED_PAD src0_sel:DWORD src1_sel:BYTE_3
	v_sub_u32_e32 v8, 29, v8
	v_and_b32_e32 v5, 7, v5
	v_cmp_eq_u16_e32 vcc, 0, v6
	v_cndmask_b32_e32 v3, v3, v5, vcc
	v_cndmask_b32_e32 v5, v7, v8, vcc
	v_mov_b32_e32 v6, 0x3b800000
	v_lshlrev_b32_e32 v3, 20, v3
	v_lshl_add_u32 v5, v5, 23, v6
	v_or3_b32 v3, v4, v5, v3
.LBB35_768:
	s_or_b64 exec, exec, s[6:7]
	s_nop 0
	v_mfma_f32_16x16x4f32 a[0:3], v2, v3, a[0:3]
	s_movk_i32 s4, 0x7f
                                        ; implicit-def: $sgpr10
	s_nop 7
	s_nop 1
	flat_store_dwordx4 v[18:19], a[0:3] offset:928
	flat_load_dwordx4 v[20:23], v[0:1] offset:16
	s_nop 0
	flat_load_dwordx2 v[18:19], v[0:1] offset:32
	s_waitcnt vmcnt(0) lgkmcnt(0)
	flat_load_dwordx4 v[14:17], v[20:21] offset:32
	flat_load_dwordx4 v[6:9], v[20:21] offset:48
	;; [unrolled: 1-line block ×4, first 2 shown]
	s_waitcnt vmcnt(0) lgkmcnt(0)
	v_cmp_gt_i16_sdwa s[6:7], v14, s4 src0_sel:BYTE_0 src1_sel:DWORD
	s_mov_b64 s[4:5], 0
	s_and_saveexec_b64 s[8:9], s[6:7]
	s_xor_b64 s[6:7], exec, s[8:9]
	s_cbranch_execnz .LBB35_2817
; %bb.769:
	s_or_saveexec_b64 s[6:7], s[6:7]
	v_mov_b32_e32 v20, s10
	s_xor_b64 exec, exec, s[6:7]
	s_cbranch_execnz .LBB35_2820
.LBB35_770:
	s_or_b64 exec, exec, s[6:7]
	s_and_saveexec_b64 s[6:7], s[4:5]
	s_cbranch_execz .LBB35_772
.LBB35_771:
	v_and_b32_e32 v20, 7, v14
	v_ffbh_u32_e32 v22, v20
	v_min_u32_e32 v22, 32, v22
	v_lshrrev_b16_e32 v21, 3, v14
	v_subrev_u32_e32 v23, 28, v22
	v_and_b32_e32 v21, 15, v21
	v_lshlrev_b32_e32 v23, v23, v14
	v_sub_u32_e32 v22, 29, v22
	v_and_b32_e32 v23, 7, v23
	v_cmp_eq_u16_e32 vcc, 0, v21
	v_cndmask_b32_e32 v20, v20, v23, vcc
	v_cndmask_b32_e32 v21, v21, v22, vcc
	v_lshlrev_b32_e32 v22, 24, v14
	v_mov_b32_e32 v23, 0x3b800000
	v_lshlrev_b32_e32 v20, 20, v20
	v_and_b32_e32 v22, 0x80000000, v22
	v_lshl_add_u32 v21, v21, 23, v23
	v_or3_b32 v20, v22, v21, v20
.LBB35_772:
	s_or_b64 exec, exec, s[6:7]
	s_movk_i32 s4, 0x7f
	v_cmp_gt_i16_sdwa s[6:7], v10, s4 src0_sel:BYTE_0 src1_sel:DWORD
	s_mov_b64 s[4:5], 0
                                        ; implicit-def: $sgpr10
	s_and_saveexec_b64 s[8:9], s[6:7]
	s_xor_b64 s[6:7], exec, s[8:9]
	s_cbranch_execnz .LBB35_2821
; %bb.773:
	s_or_saveexec_b64 s[6:7], s[6:7]
	v_mov_b32_e32 v21, s10
	s_xor_b64 exec, exec, s[6:7]
	s_cbranch_execnz .LBB35_2824
.LBB35_774:
	s_or_b64 exec, exec, s[6:7]
	s_and_saveexec_b64 s[6:7], s[4:5]
	s_cbranch_execz .LBB35_776
.LBB35_775:
	v_and_b32_e32 v21, 7, v10
	v_ffbh_u32_e32 v23, v21
	v_min_u32_e32 v23, 32, v23
	v_lshrrev_b16_e32 v22, 3, v10
	v_subrev_u32_e32 v24, 28, v23
	v_and_b32_e32 v22, 15, v22
	v_lshlrev_b32_e32 v24, v24, v10
	v_sub_u32_e32 v23, 29, v23
	v_and_b32_e32 v24, 7, v24
	v_cmp_eq_u16_e32 vcc, 0, v22
	v_cndmask_b32_e32 v21, v21, v24, vcc
	v_cndmask_b32_e32 v22, v22, v23, vcc
	v_lshlrev_b32_e32 v23, 24, v10
	v_mov_b32_e32 v24, 0x3b800000
	v_lshlrev_b32_e32 v21, 20, v21
	v_and_b32_e32 v23, 0x80000000, v23
	v_lshl_add_u32 v22, v22, 23, v24
	v_or3_b32 v21, v23, v22, v21
.LBB35_776:
	s_or_b64 exec, exec, s[6:7]
	flat_load_dwordx4 a[0:3], v[18:19] offset:944
	s_movk_i32 s4, 0x7f
                                        ; implicit-def: $sgpr10
	s_waitcnt vmcnt(0) lgkmcnt(0)
	v_mfma_f32_16x16x4f32 a[0:3], v20, v21, a[0:3]
	v_lshrrev_b32_e32 v21, 8, v14
	v_cmp_gt_i16_sdwa s[6:7], v21, s4 src0_sel:BYTE_0 src1_sel:DWORD
	s_mov_b64 s[4:5], 0
	s_and_saveexec_b64 s[8:9], s[6:7]
	s_xor_b64 s[6:7], exec, s[8:9]
	s_cbranch_execnz .LBB35_2825
; %bb.777:
	s_or_saveexec_b64 s[6:7], s[6:7]
	v_mov_b32_e32 v20, s10
	s_xor_b64 exec, exec, s[6:7]
	s_cbranch_execnz .LBB35_2828
.LBB35_778:
	s_or_b64 exec, exec, s[6:7]
	s_and_saveexec_b64 s[6:7], s[4:5]
	s_cbranch_execz .LBB35_780
.LBB35_779:
	v_bfe_u32 v20, v14, 8, 3
	v_ffbh_u32_e32 v23, v20
	v_min_u32_e32 v23, 32, v23
	v_lshrrev_b16_e32 v22, 3, v21
	v_subrev_u32_e32 v24, 28, v23
	v_and_b32_e32 v22, 15, v22
	v_lshlrev_b32_e32 v21, v24, v21
	v_sub_u32_e32 v23, 29, v23
	v_and_b32_e32 v21, 7, v21
	v_cmp_eq_u16_e32 vcc, 0, v22
	v_cndmask_b32_e32 v20, v20, v21, vcc
	v_cndmask_b32_e32 v21, v22, v23, vcc
	v_lshlrev_b32_e32 v22, 16, v14
	v_mov_b32_e32 v23, 0x3b800000
	v_lshlrev_b32_e32 v20, 20, v20
	v_and_b32_e32 v22, 0x80000000, v22
	v_lshl_add_u32 v21, v21, 23, v23
	v_or3_b32 v20, v22, v21, v20
.LBB35_780:
	s_or_b64 exec, exec, s[6:7]
	v_lshrrev_b32_e32 v21, 8, v10
	s_movk_i32 s4, 0x7f
	v_cmp_gt_i16_sdwa s[6:7], v21, s4 src0_sel:BYTE_0 src1_sel:DWORD
	s_mov_b64 s[4:5], 0
                                        ; implicit-def: $sgpr10
	s_and_saveexec_b64 s[8:9], s[6:7]
	s_xor_b64 s[6:7], exec, s[8:9]
	s_cbranch_execnz .LBB35_2829
; %bb.781:
	s_or_saveexec_b64 s[6:7], s[6:7]
	v_mov_b32_e32 v22, s10
	s_xor_b64 exec, exec, s[6:7]
	s_cbranch_execnz .LBB35_2832
.LBB35_782:
	s_or_b64 exec, exec, s[6:7]
	s_and_saveexec_b64 s[6:7], s[4:5]
	s_cbranch_execz .LBB35_784
.LBB35_783:
	v_bfe_u32 v22, v10, 8, 3
	v_ffbh_u32_e32 v24, v22
	v_min_u32_e32 v24, 32, v24
	v_lshrrev_b16_e32 v23, 3, v21
	v_subrev_u32_e32 v25, 28, v24
	v_and_b32_e32 v23, 15, v23
	v_lshlrev_b32_e32 v21, v25, v21
	v_sub_u32_e32 v24, 29, v24
	v_and_b32_e32 v21, 7, v21
	v_cmp_eq_u16_e32 vcc, 0, v23
	v_cndmask_b32_e32 v21, v22, v21, vcc
	v_cndmask_b32_e32 v22, v23, v24, vcc
	v_lshlrev_b32_e32 v23, 16, v10
	v_mov_b32_e32 v24, 0x3b800000
	v_lshlrev_b32_e32 v21, 20, v21
	v_and_b32_e32 v23, 0x80000000, v23
	v_lshl_add_u32 v22, v22, 23, v24
	v_or3_b32 v22, v23, v22, v21
.LBB35_784:
	s_or_b64 exec, exec, s[6:7]
	s_nop 0
	v_mfma_f32_16x16x4f32 a[0:3], v20, v22, a[0:3]
	s_movk_i32 s4, 0xff
	v_and_b32_sdwa v21, v14, s4 dst_sel:DWORD dst_unused:UNUSED_PAD src0_sel:WORD_1 src1_sel:DWORD
	s_movk_i32 s4, 0x7f
	v_cmp_lt_i16_e32 vcc, s4, v21
	s_mov_b64 s[4:5], 0
                                        ; implicit-def: $sgpr10
	s_and_saveexec_b64 s[6:7], vcc
	s_xor_b64 s[6:7], exec, s[6:7]
	s_cbranch_execnz .LBB35_2833
; %bb.785:
	s_or_saveexec_b64 s[6:7], s[6:7]
	v_mov_b32_e32 v20, s10
	s_xor_b64 exec, exec, s[6:7]
	s_cbranch_execnz .LBB35_2836
.LBB35_786:
	s_or_b64 exec, exec, s[6:7]
	s_and_saveexec_b64 s[6:7], s[4:5]
	s_cbranch_execz .LBB35_788
.LBB35_787:
	v_bfe_u32 v20, v14, 16, 3
	v_ffbh_u32_e32 v23, v20
	v_min_u32_e32 v23, 32, v23
	v_lshrrev_b32_e32 v21, 19, v14
	v_subrev_u32_e32 v24, 28, v23
	v_and_b32_e32 v21, 15, v21
	v_lshlrev_b32_sdwa v24, v24, v14 dst_sel:DWORD dst_unused:UNUSED_PAD src0_sel:DWORD src1_sel:WORD_1
	v_bfe_u32 v22, v14, 19, 4
	v_sub_u32_e32 v23, 29, v23
	v_and_b32_e32 v24, 7, v24
	v_cmp_eq_u16_e32 vcc, 0, v21
	v_cndmask_b32_e32 v20, v20, v24, vcc
	v_cndmask_b32_e32 v21, v22, v23, vcc
	v_lshlrev_b32_e32 v22, 8, v14
	v_mov_b32_e32 v23, 0x3b800000
	v_lshlrev_b32_e32 v20, 20, v20
	v_and_b32_e32 v22, 0x80000000, v22
	v_lshl_add_u32 v21, v21, 23, v23
	v_or3_b32 v20, v22, v21, v20
.LBB35_788:
	s_or_b64 exec, exec, s[6:7]
	s_movk_i32 s4, 0xff
	v_and_b32_sdwa v21, v10, s4 dst_sel:DWORD dst_unused:UNUSED_PAD src0_sel:WORD_1 src1_sel:DWORD
	s_movk_i32 s4, 0x7f
	v_cmp_lt_i16_e32 vcc, s4, v21
	s_mov_b64 s[4:5], 0
                                        ; implicit-def: $sgpr10
	s_and_saveexec_b64 s[6:7], vcc
	s_xor_b64 s[6:7], exec, s[6:7]
	s_cbranch_execnz .LBB35_2837
; %bb.789:
	s_or_saveexec_b64 s[6:7], s[6:7]
	v_mov_b32_e32 v22, s10
	s_xor_b64 exec, exec, s[6:7]
	s_cbranch_execnz .LBB35_2840
.LBB35_790:
	s_or_b64 exec, exec, s[6:7]
	s_and_saveexec_b64 s[6:7], s[4:5]
	s_cbranch_execz .LBB35_792
.LBB35_791:
	v_bfe_u32 v21, v10, 16, 3
	v_ffbh_u32_e32 v24, v21
	v_min_u32_e32 v24, 32, v24
	v_lshrrev_b32_e32 v22, 19, v10
	v_subrev_u32_e32 v25, 28, v24
	v_and_b32_e32 v22, 15, v22
	v_lshlrev_b32_sdwa v25, v25, v10 dst_sel:DWORD dst_unused:UNUSED_PAD src0_sel:DWORD src1_sel:WORD_1
	v_bfe_u32 v23, v10, 19, 4
	v_sub_u32_e32 v24, 29, v24
	v_and_b32_e32 v25, 7, v25
	v_cmp_eq_u16_e32 vcc, 0, v22
	v_cndmask_b32_e32 v21, v21, v25, vcc
	v_cndmask_b32_e32 v22, v23, v24, vcc
	v_lshlrev_b32_e32 v23, 8, v10
	v_mov_b32_e32 v24, 0x3b800000
	v_lshlrev_b32_e32 v21, 20, v21
	v_and_b32_e32 v23, 0x80000000, v23
	v_lshl_add_u32 v22, v22, 23, v24
	v_or3_b32 v22, v23, v22, v21
.LBB35_792:
	s_or_b64 exec, exec, s[6:7]
	s_nop 0
	v_mfma_f32_16x16x4f32 a[0:3], v20, v22, a[0:3]
	s_movk_i32 s4, 0x7f
	v_cmp_gt_i16_sdwa s[6:7], v14, s4 src0_sel:BYTE_3 src1_sel:DWORD
	s_mov_b64 s[4:5], 0
                                        ; implicit-def: $sgpr10
	s_and_saveexec_b64 s[8:9], s[6:7]
	s_xor_b64 s[6:7], exec, s[8:9]
	s_cbranch_execnz .LBB35_2841
; %bb.793:
	s_or_saveexec_b64 s[6:7], s[6:7]
	v_mov_b32_e32 v20, s10
	s_xor_b64 exec, exec, s[6:7]
	s_cbranch_execnz .LBB35_2844
.LBB35_794:
	s_or_b64 exec, exec, s[6:7]
	s_and_saveexec_b64 s[6:7], s[4:5]
	s_cbranch_execz .LBB35_796
.LBB35_795:
	v_bfe_u32 v20, v14, 24, 3
	v_ffbh_u32_e32 v24, v20
	v_min_u32_e32 v24, 32, v24
	v_lshrrev_b32_e32 v22, 27, v14
	v_subrev_u32_e32 v25, 28, v24
	v_and_b32_e32 v21, 0x80000000, v14
	v_and_b32_e32 v22, 15, v22
	v_bfe_u32 v23, v14, 27, 4
	v_lshlrev_b32_sdwa v14, v25, v14 dst_sel:DWORD dst_unused:UNUSED_PAD src0_sel:DWORD src1_sel:BYTE_3
	v_sub_u32_e32 v24, 29, v24
	v_and_b32_e32 v14, 7, v14
	v_cmp_eq_u16_e32 vcc, 0, v22
	v_cndmask_b32_e32 v14, v20, v14, vcc
	v_cndmask_b32_e32 v20, v23, v24, vcc
	v_mov_b32_e32 v22, 0x3b800000
	v_lshlrev_b32_e32 v14, 20, v14
	v_lshl_add_u32 v20, v20, 23, v22
	v_or3_b32 v20, v21, v20, v14
.LBB35_796:
	s_or_b64 exec, exec, s[6:7]
	s_movk_i32 s4, 0x7f
	v_cmp_gt_i16_sdwa s[6:7], v10, s4 src0_sel:BYTE_3 src1_sel:DWORD
	s_mov_b64 s[4:5], 0
                                        ; implicit-def: $sgpr10
	s_and_saveexec_b64 s[8:9], s[6:7]
	s_xor_b64 s[6:7], exec, s[8:9]
	s_cbranch_execnz .LBB35_2845
; %bb.797:
	s_or_saveexec_b64 s[6:7], s[6:7]
	v_mov_b32_e32 v14, s10
	s_xor_b64 exec, exec, s[6:7]
	s_cbranch_execnz .LBB35_2848
.LBB35_798:
	s_or_b64 exec, exec, s[6:7]
	s_and_saveexec_b64 s[6:7], s[4:5]
	s_cbranch_execz .LBB35_800
.LBB35_799:
	v_bfe_u32 v14, v10, 24, 3
	v_ffbh_u32_e32 v24, v14
	v_min_u32_e32 v24, 32, v24
	v_lshrrev_b32_e32 v22, 27, v10
	v_subrev_u32_e32 v25, 28, v24
	v_and_b32_e32 v21, 0x80000000, v10
	v_and_b32_e32 v22, 15, v22
	v_bfe_u32 v23, v10, 27, 4
	v_lshlrev_b32_sdwa v10, v25, v10 dst_sel:DWORD dst_unused:UNUSED_PAD src0_sel:DWORD src1_sel:BYTE_3
	v_sub_u32_e32 v24, 29, v24
	v_and_b32_e32 v10, 7, v10
	v_cmp_eq_u16_e32 vcc, 0, v22
	v_cndmask_b32_e32 v10, v14, v10, vcc
	v_cndmask_b32_e32 v14, v23, v24, vcc
	v_mov_b32_e32 v22, 0x3b800000
	v_lshlrev_b32_e32 v10, 20, v10
	v_lshl_add_u32 v14, v14, 23, v22
	v_or3_b32 v14, v21, v14, v10
.LBB35_800:
	s_or_b64 exec, exec, s[6:7]
	s_nop 0
	v_mfma_f32_16x16x4f32 a[0:3], v20, v14, a[0:3]
	s_movk_i32 s4, 0x7f
	v_cmp_gt_i16_sdwa s[6:7], v15, s4 src0_sel:BYTE_0 src1_sel:DWORD
	s_mov_b64 s[4:5], 0
                                        ; implicit-def: $sgpr10
	s_and_saveexec_b64 s[8:9], s[6:7]
	s_xor_b64 s[6:7], exec, s[8:9]
	s_cbranch_execnz .LBB35_2849
; %bb.801:
	s_or_saveexec_b64 s[6:7], s[6:7]
	v_mov_b32_e32 v10, s10
	s_xor_b64 exec, exec, s[6:7]
	s_cbranch_execnz .LBB35_2852
.LBB35_802:
	s_or_b64 exec, exec, s[6:7]
	s_and_saveexec_b64 s[6:7], s[4:5]
	s_cbranch_execz .LBB35_804
.LBB35_803:
	v_and_b32_e32 v10, 7, v15
	v_ffbh_u32_e32 v20, v10
	v_min_u32_e32 v20, 32, v20
	v_lshrrev_b16_e32 v14, 3, v15
	v_subrev_u32_e32 v21, 28, v20
	v_and_b32_e32 v14, 15, v14
	v_lshlrev_b32_e32 v21, v21, v15
	v_sub_u32_e32 v20, 29, v20
	v_and_b32_e32 v21, 7, v21
	v_cmp_eq_u16_e32 vcc, 0, v14
	v_cndmask_b32_e32 v10, v10, v21, vcc
	v_cndmask_b32_e32 v14, v14, v20, vcc
	v_lshlrev_b32_e32 v20, 24, v15
	v_mov_b32_e32 v21, 0x3b800000
	v_lshlrev_b32_e32 v10, 20, v10
	v_and_b32_e32 v20, 0x80000000, v20
	v_lshl_add_u32 v14, v14, 23, v21
	v_or3_b32 v10, v20, v14, v10
.LBB35_804:
	s_or_b64 exec, exec, s[6:7]
	s_movk_i32 s4, 0x7f
	v_cmp_gt_i16_sdwa s[6:7], v11, s4 src0_sel:BYTE_0 src1_sel:DWORD
	s_mov_b64 s[4:5], 0
                                        ; implicit-def: $sgpr10
	s_and_saveexec_b64 s[8:9], s[6:7]
	s_xor_b64 s[6:7], exec, s[8:9]
	s_cbranch_execnz .LBB35_2853
; %bb.805:
	s_or_saveexec_b64 s[6:7], s[6:7]
	v_mov_b32_e32 v14, s10
	s_xor_b64 exec, exec, s[6:7]
	s_cbranch_execnz .LBB35_2856
.LBB35_806:
	s_or_b64 exec, exec, s[6:7]
	s_and_saveexec_b64 s[6:7], s[4:5]
	s_cbranch_execz .LBB35_808
.LBB35_807:
	v_and_b32_e32 v14, 7, v11
	v_ffbh_u32_e32 v21, v14
	v_min_u32_e32 v21, 32, v21
	v_lshrrev_b16_e32 v20, 3, v11
	v_subrev_u32_e32 v22, 28, v21
	v_and_b32_e32 v20, 15, v20
	v_lshlrev_b32_e32 v22, v22, v11
	v_sub_u32_e32 v21, 29, v21
	v_and_b32_e32 v22, 7, v22
	v_cmp_eq_u16_e32 vcc, 0, v20
	v_cndmask_b32_e32 v14, v14, v22, vcc
	v_cndmask_b32_e32 v20, v20, v21, vcc
	v_lshlrev_b32_e32 v21, 24, v11
	v_mov_b32_e32 v22, 0x3b800000
	v_lshlrev_b32_e32 v14, 20, v14
	v_and_b32_e32 v21, 0x80000000, v21
	v_lshl_add_u32 v20, v20, 23, v22
	v_or3_b32 v14, v21, v20, v14
.LBB35_808:
	s_or_b64 exec, exec, s[6:7]
	s_nop 0
	v_mfma_f32_16x16x4f32 a[0:3], v10, v14, a[0:3]
	v_lshrrev_b32_e32 v14, 8, v15
	s_movk_i32 s4, 0x7f
	v_cmp_gt_i16_sdwa s[6:7], v14, s4 src0_sel:BYTE_0 src1_sel:DWORD
	s_mov_b64 s[4:5], 0
                                        ; implicit-def: $sgpr10
	s_and_saveexec_b64 s[8:9], s[6:7]
	s_xor_b64 s[6:7], exec, s[8:9]
	s_cbranch_execnz .LBB35_2857
; %bb.809:
	s_or_saveexec_b64 s[6:7], s[6:7]
	v_mov_b32_e32 v10, s10
	s_xor_b64 exec, exec, s[6:7]
	s_cbranch_execnz .LBB35_2860
.LBB35_810:
	s_or_b64 exec, exec, s[6:7]
	s_and_saveexec_b64 s[6:7], s[4:5]
	s_cbranch_execz .LBB35_812
.LBB35_811:
	v_bfe_u32 v10, v15, 8, 3
	v_ffbh_u32_e32 v21, v10
	v_min_u32_e32 v21, 32, v21
	v_lshrrev_b16_e32 v20, 3, v14
	v_subrev_u32_e32 v22, 28, v21
	v_and_b32_e32 v20, 15, v20
	v_lshlrev_b32_e32 v14, v22, v14
	v_sub_u32_e32 v21, 29, v21
	v_and_b32_e32 v14, 7, v14
	v_cmp_eq_u16_e32 vcc, 0, v20
	v_cndmask_b32_e32 v10, v10, v14, vcc
	v_cndmask_b32_e32 v14, v20, v21, vcc
	v_lshlrev_b32_e32 v20, 16, v15
	v_mov_b32_e32 v21, 0x3b800000
	v_lshlrev_b32_e32 v10, 20, v10
	v_and_b32_e32 v20, 0x80000000, v20
	v_lshl_add_u32 v14, v14, 23, v21
	v_or3_b32 v10, v20, v14, v10
.LBB35_812:
	s_or_b64 exec, exec, s[6:7]
	v_lshrrev_b32_e32 v14, 8, v11
	s_movk_i32 s4, 0x7f
	v_cmp_gt_i16_sdwa s[6:7], v14, s4 src0_sel:BYTE_0 src1_sel:DWORD
	s_mov_b64 s[4:5], 0
                                        ; implicit-def: $sgpr10
	s_and_saveexec_b64 s[8:9], s[6:7]
	s_xor_b64 s[6:7], exec, s[8:9]
	s_cbranch_execnz .LBB35_2861
; %bb.813:
	s_or_saveexec_b64 s[6:7], s[6:7]
	v_mov_b32_e32 v20, s10
	s_xor_b64 exec, exec, s[6:7]
	s_cbranch_execnz .LBB35_2864
.LBB35_814:
	s_or_b64 exec, exec, s[6:7]
	s_and_saveexec_b64 s[6:7], s[4:5]
	s_cbranch_execz .LBB35_816
.LBB35_815:
	v_bfe_u32 v20, v11, 8, 3
	v_ffbh_u32_e32 v22, v20
	v_min_u32_e32 v22, 32, v22
	v_lshrrev_b16_e32 v21, 3, v14
	v_subrev_u32_e32 v23, 28, v22
	v_and_b32_e32 v21, 15, v21
	v_lshlrev_b32_e32 v14, v23, v14
	v_sub_u32_e32 v22, 29, v22
	v_and_b32_e32 v14, 7, v14
	v_cmp_eq_u16_e32 vcc, 0, v21
	v_cndmask_b32_e32 v14, v20, v14, vcc
	v_cndmask_b32_e32 v20, v21, v22, vcc
	v_lshlrev_b32_e32 v21, 16, v11
	v_mov_b32_e32 v22, 0x3b800000
	v_lshlrev_b32_e32 v14, 20, v14
	v_and_b32_e32 v21, 0x80000000, v21
	v_lshl_add_u32 v20, v20, 23, v22
	v_or3_b32 v20, v21, v20, v14
.LBB35_816:
	s_or_b64 exec, exec, s[6:7]
	s_nop 0
	v_mfma_f32_16x16x4f32 a[0:3], v10, v20, a[0:3]
	s_movk_i32 s4, 0xff
	v_and_b32_sdwa v14, v15, s4 dst_sel:DWORD dst_unused:UNUSED_PAD src0_sel:WORD_1 src1_sel:DWORD
	s_movk_i32 s4, 0x7f
	v_cmp_lt_i16_e32 vcc, s4, v14
	s_mov_b64 s[4:5], 0
                                        ; implicit-def: $sgpr10
	s_and_saveexec_b64 s[6:7], vcc
	s_xor_b64 s[6:7], exec, s[6:7]
	s_cbranch_execnz .LBB35_2865
; %bb.817:
	s_or_saveexec_b64 s[6:7], s[6:7]
	v_mov_b32_e32 v10, s10
	s_xor_b64 exec, exec, s[6:7]
	s_cbranch_execnz .LBB35_2868
.LBB35_818:
	s_or_b64 exec, exec, s[6:7]
	s_and_saveexec_b64 s[6:7], s[4:5]
	s_cbranch_execz .LBB35_820
.LBB35_819:
	v_bfe_u32 v10, v15, 16, 3
	v_ffbh_u32_e32 v21, v10
	v_min_u32_e32 v21, 32, v21
	v_lshrrev_b32_e32 v14, 19, v15
	v_subrev_u32_e32 v22, 28, v21
	v_and_b32_e32 v14, 15, v14
	v_lshlrev_b32_sdwa v22, v22, v15 dst_sel:DWORD dst_unused:UNUSED_PAD src0_sel:DWORD src1_sel:WORD_1
	v_bfe_u32 v20, v15, 19, 4
	v_sub_u32_e32 v21, 29, v21
	v_and_b32_e32 v22, 7, v22
	v_cmp_eq_u16_e32 vcc, 0, v14
	v_cndmask_b32_e32 v10, v10, v22, vcc
	v_cndmask_b32_e32 v14, v20, v21, vcc
	v_lshlrev_b32_e32 v20, 8, v15
	v_mov_b32_e32 v21, 0x3b800000
	v_lshlrev_b32_e32 v10, 20, v10
	v_and_b32_e32 v20, 0x80000000, v20
	v_lshl_add_u32 v14, v14, 23, v21
	v_or3_b32 v10, v20, v14, v10
.LBB35_820:
	s_or_b64 exec, exec, s[6:7]
	s_movk_i32 s4, 0xff
	v_and_b32_sdwa v14, v11, s4 dst_sel:DWORD dst_unused:UNUSED_PAD src0_sel:WORD_1 src1_sel:DWORD
	s_movk_i32 s4, 0x7f
	v_cmp_lt_i16_e32 vcc, s4, v14
	s_mov_b64 s[4:5], 0
                                        ; implicit-def: $sgpr10
	s_and_saveexec_b64 s[6:7], vcc
	s_xor_b64 s[6:7], exec, s[6:7]
	s_cbranch_execnz .LBB35_2869
; %bb.821:
	s_or_saveexec_b64 s[6:7], s[6:7]
	v_mov_b32_e32 v20, s10
	s_xor_b64 exec, exec, s[6:7]
	s_cbranch_execnz .LBB35_2872
.LBB35_822:
	s_or_b64 exec, exec, s[6:7]
	s_and_saveexec_b64 s[6:7], s[4:5]
	s_cbranch_execz .LBB35_824
.LBB35_823:
	v_bfe_u32 v14, v11, 16, 3
	v_ffbh_u32_e32 v22, v14
	v_min_u32_e32 v22, 32, v22
	v_lshrrev_b32_e32 v20, 19, v11
	v_subrev_u32_e32 v23, 28, v22
	v_and_b32_e32 v20, 15, v20
	v_lshlrev_b32_sdwa v23, v23, v11 dst_sel:DWORD dst_unused:UNUSED_PAD src0_sel:DWORD src1_sel:WORD_1
	v_bfe_u32 v21, v11, 19, 4
	v_sub_u32_e32 v22, 29, v22
	v_and_b32_e32 v23, 7, v23
	v_cmp_eq_u16_e32 vcc, 0, v20
	v_cndmask_b32_e32 v14, v14, v23, vcc
	v_cndmask_b32_e32 v20, v21, v22, vcc
	v_lshlrev_b32_e32 v21, 8, v11
	v_mov_b32_e32 v22, 0x3b800000
	v_lshlrev_b32_e32 v14, 20, v14
	v_and_b32_e32 v21, 0x80000000, v21
	v_lshl_add_u32 v20, v20, 23, v22
	v_or3_b32 v20, v21, v20, v14
.LBB35_824:
	s_or_b64 exec, exec, s[6:7]
	s_nop 0
	v_mfma_f32_16x16x4f32 a[0:3], v10, v20, a[0:3]
	s_movk_i32 s4, 0x7f
	v_cmp_gt_i16_sdwa s[6:7], v15, s4 src0_sel:BYTE_3 src1_sel:DWORD
	s_mov_b64 s[4:5], 0
                                        ; implicit-def: $sgpr10
	s_and_saveexec_b64 s[8:9], s[6:7]
	s_xor_b64 s[6:7], exec, s[8:9]
	s_cbranch_execnz .LBB35_2873
; %bb.825:
	s_or_saveexec_b64 s[6:7], s[6:7]
	v_mov_b32_e32 v10, s10
	s_xor_b64 exec, exec, s[6:7]
	s_cbranch_execnz .LBB35_2876
.LBB35_826:
	s_or_b64 exec, exec, s[6:7]
	s_and_saveexec_b64 s[6:7], s[4:5]
	s_cbranch_execz .LBB35_828
.LBB35_827:
	v_bfe_u32 v10, v15, 24, 3
	v_ffbh_u32_e32 v22, v10
	v_min_u32_e32 v22, 32, v22
	v_lshrrev_b32_e32 v20, 27, v15
	v_subrev_u32_e32 v23, 28, v22
	v_and_b32_e32 v14, 0x80000000, v15
	v_and_b32_e32 v20, 15, v20
	v_bfe_u32 v21, v15, 27, 4
	v_lshlrev_b32_sdwa v15, v23, v15 dst_sel:DWORD dst_unused:UNUSED_PAD src0_sel:DWORD src1_sel:BYTE_3
	v_sub_u32_e32 v22, 29, v22
	v_and_b32_e32 v15, 7, v15
	v_cmp_eq_u16_e32 vcc, 0, v20
	v_cndmask_b32_e32 v10, v10, v15, vcc
	v_cndmask_b32_e32 v15, v21, v22, vcc
	v_mov_b32_e32 v20, 0x3b800000
	v_lshlrev_b32_e32 v10, 20, v10
	v_lshl_add_u32 v15, v15, 23, v20
	v_or3_b32 v10, v14, v15, v10
.LBB35_828:
	s_or_b64 exec, exec, s[6:7]
	s_movk_i32 s4, 0x7f
	v_cmp_gt_i16_sdwa s[6:7], v11, s4 src0_sel:BYTE_3 src1_sel:DWORD
	s_mov_b64 s[4:5], 0
                                        ; implicit-def: $sgpr10
	s_and_saveexec_b64 s[8:9], s[6:7]
	s_xor_b64 s[6:7], exec, s[8:9]
	s_cbranch_execnz .LBB35_2877
; %bb.829:
	s_or_saveexec_b64 s[6:7], s[6:7]
	v_mov_b32_e32 v14, s10
	s_xor_b64 exec, exec, s[6:7]
	s_cbranch_execnz .LBB35_2880
.LBB35_830:
	s_or_b64 exec, exec, s[6:7]
	s_and_saveexec_b64 s[6:7], s[4:5]
	s_cbranch_execz .LBB35_832
.LBB35_831:
	v_bfe_u32 v14, v11, 24, 3
	v_ffbh_u32_e32 v22, v14
	v_min_u32_e32 v22, 32, v22
	v_lshrrev_b32_e32 v20, 27, v11
	v_subrev_u32_e32 v23, 28, v22
	v_and_b32_e32 v15, 0x80000000, v11
	v_and_b32_e32 v20, 15, v20
	v_bfe_u32 v21, v11, 27, 4
	v_lshlrev_b32_sdwa v11, v23, v11 dst_sel:DWORD dst_unused:UNUSED_PAD src0_sel:DWORD src1_sel:BYTE_3
	v_sub_u32_e32 v22, 29, v22
	v_and_b32_e32 v11, 7, v11
	v_cmp_eq_u16_e32 vcc, 0, v20
	v_cndmask_b32_e32 v11, v14, v11, vcc
	v_cndmask_b32_e32 v14, v21, v22, vcc
	v_mov_b32_e32 v20, 0x3b800000
	v_lshlrev_b32_e32 v11, 20, v11
	v_lshl_add_u32 v14, v14, 23, v20
	v_or3_b32 v14, v15, v14, v11
.LBB35_832:
	s_or_b64 exec, exec, s[6:7]
	s_nop 0
	v_mfma_f32_16x16x4f32 a[0:3], v10, v14, a[0:3]
	s_movk_i32 s4, 0x7f
	v_cmp_gt_i16_sdwa s[6:7], v16, s4 src0_sel:BYTE_0 src1_sel:DWORD
	s_mov_b64 s[4:5], 0
                                        ; implicit-def: $sgpr10
	s_and_saveexec_b64 s[8:9], s[6:7]
	s_xor_b64 s[6:7], exec, s[8:9]
	s_cbranch_execnz .LBB35_2881
; %bb.833:
	s_or_saveexec_b64 s[6:7], s[6:7]
	v_mov_b32_e32 v10, s10
	s_xor_b64 exec, exec, s[6:7]
	s_cbranch_execnz .LBB35_2884
.LBB35_834:
	s_or_b64 exec, exec, s[6:7]
	s_and_saveexec_b64 s[6:7], s[4:5]
	s_cbranch_execz .LBB35_836
.LBB35_835:
	v_and_b32_e32 v10, 7, v16
	v_ffbh_u32_e32 v14, v10
	v_min_u32_e32 v14, 32, v14
	v_lshrrev_b16_e32 v11, 3, v16
	v_subrev_u32_e32 v15, 28, v14
	v_and_b32_e32 v11, 15, v11
	v_lshlrev_b32_e32 v15, v15, v16
	v_sub_u32_e32 v14, 29, v14
	v_and_b32_e32 v15, 7, v15
	v_cmp_eq_u16_e32 vcc, 0, v11
	v_cndmask_b32_e32 v10, v10, v15, vcc
	v_cndmask_b32_e32 v11, v11, v14, vcc
	v_lshlrev_b32_e32 v14, 24, v16
	v_mov_b32_e32 v15, 0x3b800000
	v_lshlrev_b32_e32 v10, 20, v10
	v_and_b32_e32 v14, 0x80000000, v14
	v_lshl_add_u32 v11, v11, 23, v15
	v_or3_b32 v10, v14, v11, v10
.LBB35_836:
	s_or_b64 exec, exec, s[6:7]
	s_movk_i32 s4, 0x7f
	v_cmp_gt_i16_sdwa s[6:7], v12, s4 src0_sel:BYTE_0 src1_sel:DWORD
	s_mov_b64 s[4:5], 0
                                        ; implicit-def: $sgpr10
	s_and_saveexec_b64 s[8:9], s[6:7]
	s_xor_b64 s[6:7], exec, s[8:9]
	s_cbranch_execnz .LBB35_2885
; %bb.837:
	s_or_saveexec_b64 s[6:7], s[6:7]
	v_mov_b32_e32 v11, s10
	s_xor_b64 exec, exec, s[6:7]
	s_cbranch_execnz .LBB35_2888
.LBB35_838:
	s_or_b64 exec, exec, s[6:7]
	s_and_saveexec_b64 s[6:7], s[4:5]
	s_cbranch_execz .LBB35_840
.LBB35_839:
	v_and_b32_e32 v11, 7, v12
	v_ffbh_u32_e32 v15, v11
	v_min_u32_e32 v15, 32, v15
	v_lshrrev_b16_e32 v14, 3, v12
	v_subrev_u32_e32 v20, 28, v15
	v_and_b32_e32 v14, 15, v14
	v_lshlrev_b32_e32 v20, v20, v12
	v_sub_u32_e32 v15, 29, v15
	v_and_b32_e32 v20, 7, v20
	v_cmp_eq_u16_e32 vcc, 0, v14
	v_cndmask_b32_e32 v11, v11, v20, vcc
	v_cndmask_b32_e32 v14, v14, v15, vcc
	v_lshlrev_b32_e32 v15, 24, v12
	v_mov_b32_e32 v20, 0x3b800000
	v_lshlrev_b32_e32 v11, 20, v11
	v_and_b32_e32 v15, 0x80000000, v15
	v_lshl_add_u32 v14, v14, 23, v20
	v_or3_b32 v11, v15, v14, v11
.LBB35_840:
	s_or_b64 exec, exec, s[6:7]
	s_nop 0
	v_mfma_f32_16x16x4f32 a[0:3], v10, v11, a[0:3]
	v_lshrrev_b32_e32 v11, 8, v16
	s_movk_i32 s4, 0x7f
	v_cmp_gt_i16_sdwa s[6:7], v11, s4 src0_sel:BYTE_0 src1_sel:DWORD
	s_mov_b64 s[4:5], 0
                                        ; implicit-def: $sgpr10
	s_and_saveexec_b64 s[8:9], s[6:7]
	s_xor_b64 s[6:7], exec, s[8:9]
	s_cbranch_execnz .LBB35_2889
; %bb.841:
	s_or_saveexec_b64 s[6:7], s[6:7]
	v_mov_b32_e32 v10, s10
	s_xor_b64 exec, exec, s[6:7]
	s_cbranch_execnz .LBB35_2892
.LBB35_842:
	s_or_b64 exec, exec, s[6:7]
	s_and_saveexec_b64 s[6:7], s[4:5]
	s_cbranch_execz .LBB35_844
.LBB35_843:
	v_bfe_u32 v10, v16, 8, 3
	v_ffbh_u32_e32 v15, v10
	v_min_u32_e32 v15, 32, v15
	v_lshrrev_b16_e32 v14, 3, v11
	v_subrev_u32_e32 v20, 28, v15
	v_and_b32_e32 v14, 15, v14
	v_lshlrev_b32_e32 v11, v20, v11
	v_sub_u32_e32 v15, 29, v15
	v_and_b32_e32 v11, 7, v11
	v_cmp_eq_u16_e32 vcc, 0, v14
	v_cndmask_b32_e32 v10, v10, v11, vcc
	v_cndmask_b32_e32 v11, v14, v15, vcc
	v_lshlrev_b32_e32 v14, 16, v16
	v_mov_b32_e32 v15, 0x3b800000
	v_lshlrev_b32_e32 v10, 20, v10
	v_and_b32_e32 v14, 0x80000000, v14
	v_lshl_add_u32 v11, v11, 23, v15
	v_or3_b32 v10, v14, v11, v10
.LBB35_844:
	s_or_b64 exec, exec, s[6:7]
	v_lshrrev_b32_e32 v11, 8, v12
	s_movk_i32 s4, 0x7f
	v_cmp_gt_i16_sdwa s[6:7], v11, s4 src0_sel:BYTE_0 src1_sel:DWORD
	s_mov_b64 s[4:5], 0
                                        ; implicit-def: $sgpr10
	s_and_saveexec_b64 s[8:9], s[6:7]
	s_xor_b64 s[6:7], exec, s[8:9]
	s_cbranch_execnz .LBB35_2893
; %bb.845:
	s_or_saveexec_b64 s[6:7], s[6:7]
	v_mov_b32_e32 v14, s10
	s_xor_b64 exec, exec, s[6:7]
	s_cbranch_execnz .LBB35_2896
.LBB35_846:
	s_or_b64 exec, exec, s[6:7]
	s_and_saveexec_b64 s[6:7], s[4:5]
	s_cbranch_execz .LBB35_848
.LBB35_847:
	v_bfe_u32 v14, v12, 8, 3
	v_ffbh_u32_e32 v20, v14
	v_min_u32_e32 v20, 32, v20
	v_lshrrev_b16_e32 v15, 3, v11
	v_subrev_u32_e32 v21, 28, v20
	v_and_b32_e32 v15, 15, v15
	v_lshlrev_b32_e32 v11, v21, v11
	v_sub_u32_e32 v20, 29, v20
	v_and_b32_e32 v11, 7, v11
	v_cmp_eq_u16_e32 vcc, 0, v15
	v_cndmask_b32_e32 v11, v14, v11, vcc
	v_cndmask_b32_e32 v14, v15, v20, vcc
	v_lshlrev_b32_e32 v15, 16, v12
	v_mov_b32_e32 v20, 0x3b800000
	v_lshlrev_b32_e32 v11, 20, v11
	v_and_b32_e32 v15, 0x80000000, v15
	v_lshl_add_u32 v14, v14, 23, v20
	v_or3_b32 v14, v15, v14, v11
.LBB35_848:
	s_or_b64 exec, exec, s[6:7]
	s_nop 0
	v_mfma_f32_16x16x4f32 a[0:3], v10, v14, a[0:3]
	s_movk_i32 s4, 0xff
	v_and_b32_sdwa v11, v16, s4 dst_sel:DWORD dst_unused:UNUSED_PAD src0_sel:WORD_1 src1_sel:DWORD
	s_movk_i32 s4, 0x7f
	v_cmp_lt_i16_e32 vcc, s4, v11
	s_mov_b64 s[4:5], 0
                                        ; implicit-def: $sgpr10
	s_and_saveexec_b64 s[6:7], vcc
	s_xor_b64 s[6:7], exec, s[6:7]
	s_cbranch_execnz .LBB35_2897
; %bb.849:
	s_or_saveexec_b64 s[6:7], s[6:7]
	v_mov_b32_e32 v10, s10
	s_xor_b64 exec, exec, s[6:7]
	s_cbranch_execnz .LBB35_2900
.LBB35_850:
	s_or_b64 exec, exec, s[6:7]
	s_and_saveexec_b64 s[6:7], s[4:5]
	s_cbranch_execz .LBB35_852
.LBB35_851:
	v_bfe_u32 v10, v16, 16, 3
	v_ffbh_u32_e32 v15, v10
	v_min_u32_e32 v15, 32, v15
	v_lshrrev_b32_e32 v11, 19, v16
	v_subrev_u32_e32 v20, 28, v15
	v_and_b32_e32 v11, 15, v11
	v_lshlrev_b32_sdwa v20, v20, v16 dst_sel:DWORD dst_unused:UNUSED_PAD src0_sel:DWORD src1_sel:WORD_1
	v_bfe_u32 v14, v16, 19, 4
	v_sub_u32_e32 v15, 29, v15
	v_and_b32_e32 v20, 7, v20
	v_cmp_eq_u16_e32 vcc, 0, v11
	v_cndmask_b32_e32 v10, v10, v20, vcc
	v_cndmask_b32_e32 v11, v14, v15, vcc
	v_lshlrev_b32_e32 v14, 8, v16
	v_mov_b32_e32 v15, 0x3b800000
	v_lshlrev_b32_e32 v10, 20, v10
	v_and_b32_e32 v14, 0x80000000, v14
	v_lshl_add_u32 v11, v11, 23, v15
	v_or3_b32 v10, v14, v11, v10
.LBB35_852:
	s_or_b64 exec, exec, s[6:7]
	s_movk_i32 s4, 0xff
	v_and_b32_sdwa v11, v12, s4 dst_sel:DWORD dst_unused:UNUSED_PAD src0_sel:WORD_1 src1_sel:DWORD
	s_movk_i32 s4, 0x7f
	v_cmp_lt_i16_e32 vcc, s4, v11
	s_mov_b64 s[4:5], 0
                                        ; implicit-def: $sgpr10
	s_and_saveexec_b64 s[6:7], vcc
	s_xor_b64 s[6:7], exec, s[6:7]
	s_cbranch_execnz .LBB35_2901
; %bb.853:
	s_or_saveexec_b64 s[6:7], s[6:7]
	v_mov_b32_e32 v14, s10
	s_xor_b64 exec, exec, s[6:7]
	s_cbranch_execnz .LBB35_2904
.LBB35_854:
	s_or_b64 exec, exec, s[6:7]
	s_and_saveexec_b64 s[6:7], s[4:5]
	s_cbranch_execz .LBB35_856
.LBB35_855:
	v_bfe_u32 v11, v12, 16, 3
	v_ffbh_u32_e32 v20, v11
	v_min_u32_e32 v20, 32, v20
	v_lshrrev_b32_e32 v14, 19, v12
	v_subrev_u32_e32 v21, 28, v20
	v_and_b32_e32 v14, 15, v14
	v_lshlrev_b32_sdwa v21, v21, v12 dst_sel:DWORD dst_unused:UNUSED_PAD src0_sel:DWORD src1_sel:WORD_1
	v_bfe_u32 v15, v12, 19, 4
	v_sub_u32_e32 v20, 29, v20
	v_and_b32_e32 v21, 7, v21
	v_cmp_eq_u16_e32 vcc, 0, v14
	v_cndmask_b32_e32 v11, v11, v21, vcc
	v_cndmask_b32_e32 v14, v15, v20, vcc
	v_lshlrev_b32_e32 v15, 8, v12
	v_mov_b32_e32 v20, 0x3b800000
	v_lshlrev_b32_e32 v11, 20, v11
	v_and_b32_e32 v15, 0x80000000, v15
	v_lshl_add_u32 v14, v14, 23, v20
	v_or3_b32 v14, v15, v14, v11
.LBB35_856:
	s_or_b64 exec, exec, s[6:7]
	s_nop 0
	v_mfma_f32_16x16x4f32 a[0:3], v10, v14, a[0:3]
	s_movk_i32 s4, 0x7f
	v_cmp_gt_i16_sdwa s[6:7], v16, s4 src0_sel:BYTE_3 src1_sel:DWORD
	s_mov_b64 s[4:5], 0
                                        ; implicit-def: $sgpr10
	s_and_saveexec_b64 s[8:9], s[6:7]
	s_xor_b64 s[6:7], exec, s[8:9]
	s_cbranch_execnz .LBB35_2905
; %bb.857:
	s_or_saveexec_b64 s[6:7], s[6:7]
	v_mov_b32_e32 v10, s10
	s_xor_b64 exec, exec, s[6:7]
	s_cbranch_execnz .LBB35_2908
.LBB35_858:
	s_or_b64 exec, exec, s[6:7]
	s_and_saveexec_b64 s[6:7], s[4:5]
	s_cbranch_execz .LBB35_860
.LBB35_859:
	v_bfe_u32 v10, v16, 24, 3
	v_ffbh_u32_e32 v20, v10
	v_min_u32_e32 v20, 32, v20
	v_lshrrev_b32_e32 v14, 27, v16
	v_subrev_u32_e32 v21, 28, v20
	v_and_b32_e32 v11, 0x80000000, v16
	v_and_b32_e32 v14, 15, v14
	v_bfe_u32 v15, v16, 27, 4
	v_lshlrev_b32_sdwa v16, v21, v16 dst_sel:DWORD dst_unused:UNUSED_PAD src0_sel:DWORD src1_sel:BYTE_3
	v_sub_u32_e32 v20, 29, v20
	v_and_b32_e32 v16, 7, v16
	v_cmp_eq_u16_e32 vcc, 0, v14
	v_cndmask_b32_e32 v10, v10, v16, vcc
	v_cndmask_b32_e32 v14, v15, v20, vcc
	v_mov_b32_e32 v15, 0x3b800000
	v_lshlrev_b32_e32 v10, 20, v10
	v_lshl_add_u32 v14, v14, 23, v15
	v_or3_b32 v10, v11, v14, v10
.LBB35_860:
	s_or_b64 exec, exec, s[6:7]
	s_movk_i32 s4, 0x7f
	v_cmp_gt_i16_sdwa s[6:7], v12, s4 src0_sel:BYTE_3 src1_sel:DWORD
	s_mov_b64 s[4:5], 0
                                        ; implicit-def: $sgpr10
	s_and_saveexec_b64 s[8:9], s[6:7]
	s_xor_b64 s[6:7], exec, s[8:9]
	s_cbranch_execnz .LBB35_2909
; %bb.861:
	s_or_saveexec_b64 s[6:7], s[6:7]
	v_mov_b32_e32 v11, s10
	s_xor_b64 exec, exec, s[6:7]
	s_cbranch_execnz .LBB35_2912
.LBB35_862:
	s_or_b64 exec, exec, s[6:7]
	s_and_saveexec_b64 s[6:7], s[4:5]
	s_cbranch_execz .LBB35_864
.LBB35_863:
	v_bfe_u32 v11, v12, 24, 3
	v_ffbh_u32_e32 v20, v11
	v_min_u32_e32 v20, 32, v20
	v_lshrrev_b32_e32 v15, 27, v12
	v_subrev_u32_e32 v21, 28, v20
	v_and_b32_e32 v14, 0x80000000, v12
	v_and_b32_e32 v15, 15, v15
	v_bfe_u32 v16, v12, 27, 4
	v_lshlrev_b32_sdwa v12, v21, v12 dst_sel:DWORD dst_unused:UNUSED_PAD src0_sel:DWORD src1_sel:BYTE_3
	v_sub_u32_e32 v20, 29, v20
	v_and_b32_e32 v12, 7, v12
	v_cmp_eq_u16_e32 vcc, 0, v15
	v_cndmask_b32_e32 v11, v11, v12, vcc
	v_cndmask_b32_e32 v12, v16, v20, vcc
	v_mov_b32_e32 v15, 0x3b800000
	v_lshlrev_b32_e32 v11, 20, v11
	v_lshl_add_u32 v12, v12, 23, v15
	v_or3_b32 v11, v14, v12, v11
.LBB35_864:
	s_or_b64 exec, exec, s[6:7]
	s_nop 0
	v_mfma_f32_16x16x4f32 a[0:3], v10, v11, a[0:3]
	s_movk_i32 s4, 0x7f
	v_cmp_gt_i16_sdwa s[6:7], v17, s4 src0_sel:BYTE_0 src1_sel:DWORD
	s_mov_b64 s[4:5], 0
                                        ; implicit-def: $sgpr10
	s_and_saveexec_b64 s[8:9], s[6:7]
	s_xor_b64 s[6:7], exec, s[8:9]
	s_cbranch_execnz .LBB35_2913
; %bb.865:
	s_or_saveexec_b64 s[6:7], s[6:7]
	v_mov_b32_e32 v10, s10
	s_xor_b64 exec, exec, s[6:7]
	s_cbranch_execnz .LBB35_2916
.LBB35_866:
	s_or_b64 exec, exec, s[6:7]
	s_and_saveexec_b64 s[6:7], s[4:5]
	s_cbranch_execz .LBB35_868
.LBB35_867:
	v_and_b32_e32 v10, 7, v17
	v_ffbh_u32_e32 v12, v10
	v_min_u32_e32 v12, 32, v12
	v_lshrrev_b16_e32 v11, 3, v17
	v_subrev_u32_e32 v14, 28, v12
	v_and_b32_e32 v11, 15, v11
	v_lshlrev_b32_e32 v14, v14, v17
	v_sub_u32_e32 v12, 29, v12
	v_and_b32_e32 v14, 7, v14
	v_cmp_eq_u16_e32 vcc, 0, v11
	v_cndmask_b32_e32 v10, v10, v14, vcc
	v_cndmask_b32_e32 v11, v11, v12, vcc
	v_lshlrev_b32_e32 v12, 24, v17
	v_mov_b32_e32 v14, 0x3b800000
	v_lshlrev_b32_e32 v10, 20, v10
	v_and_b32_e32 v12, 0x80000000, v12
	v_lshl_add_u32 v11, v11, 23, v14
	v_or3_b32 v10, v12, v11, v10
.LBB35_868:
	s_or_b64 exec, exec, s[6:7]
	s_movk_i32 s4, 0x7f
	v_cmp_gt_i16_sdwa s[6:7], v13, s4 src0_sel:BYTE_0 src1_sel:DWORD
	s_mov_b64 s[4:5], 0
                                        ; implicit-def: $sgpr10
	s_and_saveexec_b64 s[8:9], s[6:7]
	s_xor_b64 s[6:7], exec, s[8:9]
	s_cbranch_execnz .LBB35_2917
; %bb.869:
	s_or_saveexec_b64 s[6:7], s[6:7]
	v_mov_b32_e32 v11, s10
	s_xor_b64 exec, exec, s[6:7]
	s_cbranch_execnz .LBB35_2920
.LBB35_870:
	s_or_b64 exec, exec, s[6:7]
	s_and_saveexec_b64 s[6:7], s[4:5]
	s_cbranch_execz .LBB35_872
.LBB35_871:
	v_and_b32_e32 v11, 7, v13
	v_ffbh_u32_e32 v14, v11
	v_min_u32_e32 v14, 32, v14
	v_lshrrev_b16_e32 v12, 3, v13
	v_subrev_u32_e32 v15, 28, v14
	v_and_b32_e32 v12, 15, v12
	v_lshlrev_b32_e32 v15, v15, v13
	v_sub_u32_e32 v14, 29, v14
	v_and_b32_e32 v15, 7, v15
	v_cmp_eq_u16_e32 vcc, 0, v12
	v_cndmask_b32_e32 v11, v11, v15, vcc
	v_cndmask_b32_e32 v12, v12, v14, vcc
	v_lshlrev_b32_e32 v14, 24, v13
	v_mov_b32_e32 v15, 0x3b800000
	v_lshlrev_b32_e32 v11, 20, v11
	v_and_b32_e32 v14, 0x80000000, v14
	v_lshl_add_u32 v12, v12, 23, v15
	v_or3_b32 v11, v14, v12, v11
.LBB35_872:
	s_or_b64 exec, exec, s[6:7]
	s_nop 0
	v_mfma_f32_16x16x4f32 a[0:3], v10, v11, a[0:3]
	v_lshrrev_b32_e32 v11, 8, v17
	s_movk_i32 s4, 0x7f
	v_cmp_gt_i16_sdwa s[6:7], v11, s4 src0_sel:BYTE_0 src1_sel:DWORD
	s_mov_b64 s[4:5], 0
                                        ; implicit-def: $sgpr10
	s_and_saveexec_b64 s[8:9], s[6:7]
	s_xor_b64 s[6:7], exec, s[8:9]
	s_cbranch_execnz .LBB35_2921
; %bb.873:
	s_or_saveexec_b64 s[6:7], s[6:7]
	v_mov_b32_e32 v10, s10
	s_xor_b64 exec, exec, s[6:7]
	s_cbranch_execnz .LBB35_2924
.LBB35_874:
	s_or_b64 exec, exec, s[6:7]
	s_and_saveexec_b64 s[6:7], s[4:5]
	s_cbranch_execz .LBB35_876
.LBB35_875:
	v_bfe_u32 v10, v17, 8, 3
	v_ffbh_u32_e32 v14, v10
	v_min_u32_e32 v14, 32, v14
	v_lshrrev_b16_e32 v12, 3, v11
	v_subrev_u32_e32 v15, 28, v14
	v_and_b32_e32 v12, 15, v12
	v_lshlrev_b32_e32 v11, v15, v11
	v_sub_u32_e32 v14, 29, v14
	v_and_b32_e32 v11, 7, v11
	v_cmp_eq_u16_e32 vcc, 0, v12
	v_cndmask_b32_e32 v10, v10, v11, vcc
	v_cndmask_b32_e32 v11, v12, v14, vcc
	v_lshlrev_b32_e32 v12, 16, v17
	v_mov_b32_e32 v14, 0x3b800000
	v_lshlrev_b32_e32 v10, 20, v10
	v_and_b32_e32 v12, 0x80000000, v12
	v_lshl_add_u32 v11, v11, 23, v14
	v_or3_b32 v10, v12, v11, v10
.LBB35_876:
	s_or_b64 exec, exec, s[6:7]
	v_lshrrev_b32_e32 v11, 8, v13
	s_movk_i32 s4, 0x7f
	v_cmp_gt_i16_sdwa s[6:7], v11, s4 src0_sel:BYTE_0 src1_sel:DWORD
	s_mov_b64 s[4:5], 0
                                        ; implicit-def: $sgpr10
	s_and_saveexec_b64 s[8:9], s[6:7]
	s_xor_b64 s[6:7], exec, s[8:9]
	s_cbranch_execnz .LBB35_2925
; %bb.877:
	s_or_saveexec_b64 s[6:7], s[6:7]
	v_mov_b32_e32 v12, s10
	s_xor_b64 exec, exec, s[6:7]
	s_cbranch_execnz .LBB35_2928
.LBB35_878:
	s_or_b64 exec, exec, s[6:7]
	s_and_saveexec_b64 s[6:7], s[4:5]
	s_cbranch_execz .LBB35_880
.LBB35_879:
	v_bfe_u32 v12, v13, 8, 3
	v_ffbh_u32_e32 v15, v12
	v_min_u32_e32 v15, 32, v15
	v_lshrrev_b16_e32 v14, 3, v11
	v_subrev_u32_e32 v16, 28, v15
	v_and_b32_e32 v14, 15, v14
	v_lshlrev_b32_e32 v11, v16, v11
	v_sub_u32_e32 v15, 29, v15
	v_and_b32_e32 v11, 7, v11
	v_cmp_eq_u16_e32 vcc, 0, v14
	v_cndmask_b32_e32 v11, v12, v11, vcc
	v_cndmask_b32_e32 v12, v14, v15, vcc
	v_lshlrev_b32_e32 v14, 16, v13
	v_mov_b32_e32 v15, 0x3b800000
	v_lshlrev_b32_e32 v11, 20, v11
	v_and_b32_e32 v14, 0x80000000, v14
	v_lshl_add_u32 v12, v12, 23, v15
	v_or3_b32 v12, v14, v12, v11
.LBB35_880:
	s_or_b64 exec, exec, s[6:7]
	s_nop 0
	v_mfma_f32_16x16x4f32 a[0:3], v10, v12, a[0:3]
	s_movk_i32 s4, 0xff
	v_and_b32_sdwa v11, v17, s4 dst_sel:DWORD dst_unused:UNUSED_PAD src0_sel:WORD_1 src1_sel:DWORD
	s_movk_i32 s4, 0x7f
	v_cmp_lt_i16_e32 vcc, s4, v11
	s_mov_b64 s[4:5], 0
                                        ; implicit-def: $sgpr10
	s_and_saveexec_b64 s[6:7], vcc
	s_xor_b64 s[6:7], exec, s[6:7]
	s_cbranch_execnz .LBB35_2929
; %bb.881:
	s_or_saveexec_b64 s[6:7], s[6:7]
	v_mov_b32_e32 v10, s10
	s_xor_b64 exec, exec, s[6:7]
	s_cbranch_execnz .LBB35_2932
.LBB35_882:
	s_or_b64 exec, exec, s[6:7]
	s_and_saveexec_b64 s[6:7], s[4:5]
	s_cbranch_execz .LBB35_884
.LBB35_883:
	v_bfe_u32 v10, v17, 16, 3
	v_ffbh_u32_e32 v14, v10
	v_min_u32_e32 v14, 32, v14
	v_lshrrev_b32_e32 v11, 19, v17
	v_subrev_u32_e32 v15, 28, v14
	v_and_b32_e32 v11, 15, v11
	v_lshlrev_b32_sdwa v15, v15, v17 dst_sel:DWORD dst_unused:UNUSED_PAD src0_sel:DWORD src1_sel:WORD_1
	v_bfe_u32 v12, v17, 19, 4
	v_sub_u32_e32 v14, 29, v14
	v_and_b32_e32 v15, 7, v15
	v_cmp_eq_u16_e32 vcc, 0, v11
	v_cndmask_b32_e32 v10, v10, v15, vcc
	v_cndmask_b32_e32 v11, v12, v14, vcc
	v_lshlrev_b32_e32 v12, 8, v17
	v_mov_b32_e32 v14, 0x3b800000
	v_lshlrev_b32_e32 v10, 20, v10
	v_and_b32_e32 v12, 0x80000000, v12
	v_lshl_add_u32 v11, v11, 23, v14
	v_or3_b32 v10, v12, v11, v10
.LBB35_884:
	s_or_b64 exec, exec, s[6:7]
	s_movk_i32 s4, 0xff
	v_and_b32_sdwa v11, v13, s4 dst_sel:DWORD dst_unused:UNUSED_PAD src0_sel:WORD_1 src1_sel:DWORD
	s_movk_i32 s4, 0x7f
	v_cmp_lt_i16_e32 vcc, s4, v11
	s_mov_b64 s[4:5], 0
                                        ; implicit-def: $sgpr10
	s_and_saveexec_b64 s[6:7], vcc
	s_xor_b64 s[6:7], exec, s[6:7]
	s_cbranch_execnz .LBB35_2933
; %bb.885:
	s_or_saveexec_b64 s[6:7], s[6:7]
	v_mov_b32_e32 v12, s10
	s_xor_b64 exec, exec, s[6:7]
	s_cbranch_execnz .LBB35_2936
.LBB35_886:
	s_or_b64 exec, exec, s[6:7]
	s_and_saveexec_b64 s[6:7], s[4:5]
	s_cbranch_execz .LBB35_888
.LBB35_887:
	v_bfe_u32 v11, v13, 16, 3
	v_ffbh_u32_e32 v15, v11
	v_min_u32_e32 v15, 32, v15
	v_lshrrev_b32_e32 v12, 19, v13
	v_subrev_u32_e32 v16, 28, v15
	v_and_b32_e32 v12, 15, v12
	v_lshlrev_b32_sdwa v16, v16, v13 dst_sel:DWORD dst_unused:UNUSED_PAD src0_sel:DWORD src1_sel:WORD_1
	v_bfe_u32 v14, v13, 19, 4
	v_sub_u32_e32 v15, 29, v15
	v_and_b32_e32 v16, 7, v16
	v_cmp_eq_u16_e32 vcc, 0, v12
	v_cndmask_b32_e32 v11, v11, v16, vcc
	v_cndmask_b32_e32 v12, v14, v15, vcc
	v_lshlrev_b32_e32 v14, 8, v13
	v_mov_b32_e32 v15, 0x3b800000
	v_lshlrev_b32_e32 v11, 20, v11
	v_and_b32_e32 v14, 0x80000000, v14
	v_lshl_add_u32 v12, v12, 23, v15
	v_or3_b32 v12, v14, v12, v11
.LBB35_888:
	s_or_b64 exec, exec, s[6:7]
	s_nop 0
	v_mfma_f32_16x16x4f32 a[0:3], v10, v12, a[0:3]
	s_movk_i32 s4, 0x7f
	v_cmp_gt_i16_sdwa s[6:7], v17, s4 src0_sel:BYTE_3 src1_sel:DWORD
	s_mov_b64 s[4:5], 0
                                        ; implicit-def: $sgpr10
	s_and_saveexec_b64 s[8:9], s[6:7]
	s_xor_b64 s[6:7], exec, s[8:9]
	s_cbranch_execnz .LBB35_2937
; %bb.889:
	s_or_saveexec_b64 s[6:7], s[6:7]
	v_mov_b32_e32 v10, s10
	s_xor_b64 exec, exec, s[6:7]
	s_cbranch_execnz .LBB35_2940
.LBB35_890:
	s_or_b64 exec, exec, s[6:7]
	s_and_saveexec_b64 s[6:7], s[4:5]
	s_cbranch_execz .LBB35_892
.LBB35_891:
	v_bfe_u32 v10, v17, 24, 3
	v_ffbh_u32_e32 v15, v10
	v_min_u32_e32 v15, 32, v15
	v_lshrrev_b32_e32 v12, 27, v17
	v_subrev_u32_e32 v16, 28, v15
	v_and_b32_e32 v12, 15, v12
	v_lshlrev_b32_sdwa v16, v16, v17 dst_sel:DWORD dst_unused:UNUSED_PAD src0_sel:DWORD src1_sel:BYTE_3
	v_bfe_u32 v14, v17, 27, 4
	v_sub_u32_e32 v15, 29, v15
	v_and_b32_e32 v16, 7, v16
	v_cmp_eq_u16_e32 vcc, 0, v12
	v_cndmask_b32_e32 v10, v10, v16, vcc
	v_cndmask_b32_e32 v12, v14, v15, vcc
	v_mov_b32_e32 v14, 0x3b800000
	v_and_b32_e32 v11, 0x80000000, v17
	v_lshlrev_b32_e32 v10, 20, v10
	v_lshl_add_u32 v12, v12, 23, v14
	v_or3_b32 v10, v11, v12, v10
.LBB35_892:
	s_or_b64 exec, exec, s[6:7]
	s_movk_i32 s4, 0x7f
	v_cmp_gt_i16_sdwa s[6:7], v13, s4 src0_sel:BYTE_3 src1_sel:DWORD
	s_mov_b64 s[4:5], 0
                                        ; implicit-def: $sgpr10
	s_and_saveexec_b64 s[8:9], s[6:7]
	s_xor_b64 s[6:7], exec, s[8:9]
	s_cbranch_execnz .LBB35_2941
; %bb.893:
	s_or_saveexec_b64 s[6:7], s[6:7]
	v_mov_b32_e32 v11, s10
	s_xor_b64 exec, exec, s[6:7]
	s_cbranch_execnz .LBB35_2944
.LBB35_894:
	s_or_b64 exec, exec, s[6:7]
	s_and_saveexec_b64 s[6:7], s[4:5]
	s_cbranch_execz .LBB35_896
.LBB35_895:
	v_bfe_u32 v11, v13, 24, 3
	v_ffbh_u32_e32 v16, v11
	v_min_u32_e32 v16, 32, v16
	v_lshrrev_b32_e32 v14, 27, v13
	v_subrev_u32_e32 v17, 28, v16
	v_and_b32_e32 v12, 0x80000000, v13
	v_and_b32_e32 v14, 15, v14
	v_bfe_u32 v15, v13, 27, 4
	v_lshlrev_b32_sdwa v13, v17, v13 dst_sel:DWORD dst_unused:UNUSED_PAD src0_sel:DWORD src1_sel:BYTE_3
	v_sub_u32_e32 v16, 29, v16
	v_and_b32_e32 v13, 7, v13
	v_cmp_eq_u16_e32 vcc, 0, v14
	v_cndmask_b32_e32 v11, v11, v13, vcc
	v_cndmask_b32_e32 v13, v15, v16, vcc
	v_mov_b32_e32 v14, 0x3b800000
	v_lshlrev_b32_e32 v11, 20, v11
	v_lshl_add_u32 v13, v13, 23, v14
	v_or3_b32 v11, v12, v13, v11
.LBB35_896:
	s_or_b64 exec, exec, s[6:7]
	s_nop 0
	v_mfma_f32_16x16x4f32 a[0:3], v10, v11, a[0:3]
	s_movk_i32 s4, 0x7f
	v_cmp_gt_i16_sdwa s[6:7], v6, s4 src0_sel:BYTE_0 src1_sel:DWORD
	s_mov_b64 s[4:5], 0
                                        ; implicit-def: $sgpr10
	s_and_saveexec_b64 s[8:9], s[6:7]
	s_xor_b64 s[6:7], exec, s[8:9]
	s_cbranch_execnz .LBB35_2945
; %bb.897:
	s_or_saveexec_b64 s[6:7], s[6:7]
	v_mov_b32_e32 v10, s10
	s_xor_b64 exec, exec, s[6:7]
	s_cbranch_execnz .LBB35_2948
.LBB35_898:
	s_or_b64 exec, exec, s[6:7]
	s_and_saveexec_b64 s[6:7], s[4:5]
	s_cbranch_execz .LBB35_900
.LBB35_899:
	v_and_b32_e32 v10, 7, v6
	v_ffbh_u32_e32 v12, v10
	v_min_u32_e32 v12, 32, v12
	v_lshrrev_b16_e32 v11, 3, v6
	v_subrev_u32_e32 v13, 28, v12
	v_and_b32_e32 v11, 15, v11
	v_lshlrev_b32_e32 v13, v13, v6
	v_sub_u32_e32 v12, 29, v12
	v_and_b32_e32 v13, 7, v13
	v_cmp_eq_u16_e32 vcc, 0, v11
	v_cndmask_b32_e32 v10, v10, v13, vcc
	v_cndmask_b32_e32 v11, v11, v12, vcc
	v_lshlrev_b32_e32 v12, 24, v6
	v_mov_b32_e32 v13, 0x3b800000
	v_lshlrev_b32_e32 v10, 20, v10
	v_and_b32_e32 v12, 0x80000000, v12
	v_lshl_add_u32 v11, v11, 23, v13
	v_or3_b32 v10, v12, v11, v10
.LBB35_900:
	s_or_b64 exec, exec, s[6:7]
	s_movk_i32 s4, 0x7f
	v_cmp_gt_i16_sdwa s[6:7], v2, s4 src0_sel:BYTE_0 src1_sel:DWORD
	s_mov_b64 s[4:5], 0
                                        ; implicit-def: $sgpr10
	s_and_saveexec_b64 s[8:9], s[6:7]
	s_xor_b64 s[6:7], exec, s[8:9]
	s_cbranch_execnz .LBB35_2949
; %bb.901:
	s_or_saveexec_b64 s[6:7], s[6:7]
	v_mov_b32_e32 v11, s10
	s_xor_b64 exec, exec, s[6:7]
	s_cbranch_execnz .LBB35_2952
.LBB35_902:
	s_or_b64 exec, exec, s[6:7]
	s_and_saveexec_b64 s[6:7], s[4:5]
	s_cbranch_execz .LBB35_904
.LBB35_903:
	v_and_b32_e32 v11, 7, v2
	v_ffbh_u32_e32 v13, v11
	v_min_u32_e32 v13, 32, v13
	v_lshrrev_b16_e32 v12, 3, v2
	v_subrev_u32_e32 v14, 28, v13
	v_and_b32_e32 v12, 15, v12
	v_lshlrev_b32_e32 v14, v14, v2
	v_sub_u32_e32 v13, 29, v13
	v_and_b32_e32 v14, 7, v14
	v_cmp_eq_u16_e32 vcc, 0, v12
	v_cndmask_b32_e32 v11, v11, v14, vcc
	v_cndmask_b32_e32 v12, v12, v13, vcc
	v_lshlrev_b32_e32 v13, 24, v2
	v_mov_b32_e32 v14, 0x3b800000
	v_lshlrev_b32_e32 v11, 20, v11
	v_and_b32_e32 v13, 0x80000000, v13
	v_lshl_add_u32 v12, v12, 23, v14
	v_or3_b32 v11, v13, v12, v11
.LBB35_904:
	s_or_b64 exec, exec, s[6:7]
	s_nop 0
	v_mfma_f32_16x16x4f32 a[0:3], v10, v11, a[0:3]
	v_lshrrev_b32_e32 v11, 8, v6
	s_movk_i32 s4, 0x7f
	v_cmp_gt_i16_sdwa s[6:7], v11, s4 src0_sel:BYTE_0 src1_sel:DWORD
	s_mov_b64 s[4:5], 0
                                        ; implicit-def: $sgpr10
	s_and_saveexec_b64 s[8:9], s[6:7]
	s_xor_b64 s[6:7], exec, s[8:9]
	s_cbranch_execnz .LBB35_2953
; %bb.905:
	s_or_saveexec_b64 s[6:7], s[6:7]
	v_mov_b32_e32 v10, s10
	s_xor_b64 exec, exec, s[6:7]
	s_cbranch_execnz .LBB35_2956
.LBB35_906:
	s_or_b64 exec, exec, s[6:7]
	s_and_saveexec_b64 s[6:7], s[4:5]
	s_cbranch_execz .LBB35_908
.LBB35_907:
	v_bfe_u32 v10, v6, 8, 3
	v_ffbh_u32_e32 v13, v10
	v_min_u32_e32 v13, 32, v13
	v_lshrrev_b16_e32 v12, 3, v11
	v_subrev_u32_e32 v14, 28, v13
	v_and_b32_e32 v12, 15, v12
	v_lshlrev_b32_e32 v11, v14, v11
	v_sub_u32_e32 v13, 29, v13
	v_and_b32_e32 v11, 7, v11
	v_cmp_eq_u16_e32 vcc, 0, v12
	v_cndmask_b32_e32 v10, v10, v11, vcc
	v_cndmask_b32_e32 v11, v12, v13, vcc
	v_lshlrev_b32_e32 v12, 16, v6
	v_mov_b32_e32 v13, 0x3b800000
	v_lshlrev_b32_e32 v10, 20, v10
	v_and_b32_e32 v12, 0x80000000, v12
	v_lshl_add_u32 v11, v11, 23, v13
	v_or3_b32 v10, v12, v11, v10
.LBB35_908:
	s_or_b64 exec, exec, s[6:7]
	v_lshrrev_b32_e32 v11, 8, v2
	s_movk_i32 s4, 0x7f
	v_cmp_gt_i16_sdwa s[6:7], v11, s4 src0_sel:BYTE_0 src1_sel:DWORD
	s_mov_b64 s[4:5], 0
                                        ; implicit-def: $sgpr10
	s_and_saveexec_b64 s[8:9], s[6:7]
	s_xor_b64 s[6:7], exec, s[8:9]
	s_cbranch_execnz .LBB35_2957
; %bb.909:
	s_or_saveexec_b64 s[6:7], s[6:7]
	v_mov_b32_e32 v12, s10
	s_xor_b64 exec, exec, s[6:7]
	s_cbranch_execnz .LBB35_2960
.LBB35_910:
	s_or_b64 exec, exec, s[6:7]
	s_and_saveexec_b64 s[6:7], s[4:5]
	s_cbranch_execz .LBB35_912
.LBB35_911:
	v_bfe_u32 v12, v2, 8, 3
	v_ffbh_u32_e32 v14, v12
	v_min_u32_e32 v14, 32, v14
	v_lshrrev_b16_e32 v13, 3, v11
	v_subrev_u32_e32 v15, 28, v14
	v_and_b32_e32 v13, 15, v13
	v_lshlrev_b32_e32 v11, v15, v11
	v_sub_u32_e32 v14, 29, v14
	v_and_b32_e32 v11, 7, v11
	v_cmp_eq_u16_e32 vcc, 0, v13
	v_cndmask_b32_e32 v11, v12, v11, vcc
	v_cndmask_b32_e32 v12, v13, v14, vcc
	v_lshlrev_b32_e32 v13, 16, v2
	v_mov_b32_e32 v14, 0x3b800000
	v_lshlrev_b32_e32 v11, 20, v11
	v_and_b32_e32 v13, 0x80000000, v13
	v_lshl_add_u32 v12, v12, 23, v14
	v_or3_b32 v12, v13, v12, v11
.LBB35_912:
	s_or_b64 exec, exec, s[6:7]
	s_nop 0
	v_mfma_f32_16x16x4f32 a[0:3], v10, v12, a[0:3]
	s_movk_i32 s4, 0xff
	v_and_b32_sdwa v11, v6, s4 dst_sel:DWORD dst_unused:UNUSED_PAD src0_sel:WORD_1 src1_sel:DWORD
	s_movk_i32 s4, 0x7f
	v_cmp_lt_i16_e32 vcc, s4, v11
	s_mov_b64 s[4:5], 0
                                        ; implicit-def: $sgpr10
	s_and_saveexec_b64 s[6:7], vcc
	s_xor_b64 s[6:7], exec, s[6:7]
	s_cbranch_execnz .LBB35_2961
; %bb.913:
	s_or_saveexec_b64 s[6:7], s[6:7]
	v_mov_b32_e32 v10, s10
	s_xor_b64 exec, exec, s[6:7]
	s_cbranch_execnz .LBB35_2964
.LBB35_914:
	s_or_b64 exec, exec, s[6:7]
	s_and_saveexec_b64 s[6:7], s[4:5]
	s_cbranch_execz .LBB35_916
.LBB35_915:
	v_bfe_u32 v10, v6, 16, 3
	v_ffbh_u32_e32 v13, v10
	v_min_u32_e32 v13, 32, v13
	v_lshrrev_b32_e32 v11, 19, v6
	v_subrev_u32_e32 v14, 28, v13
	v_and_b32_e32 v11, 15, v11
	v_lshlrev_b32_sdwa v14, v14, v6 dst_sel:DWORD dst_unused:UNUSED_PAD src0_sel:DWORD src1_sel:WORD_1
	v_bfe_u32 v12, v6, 19, 4
	v_sub_u32_e32 v13, 29, v13
	v_and_b32_e32 v14, 7, v14
	v_cmp_eq_u16_e32 vcc, 0, v11
	v_cndmask_b32_e32 v10, v10, v14, vcc
	v_cndmask_b32_e32 v11, v12, v13, vcc
	v_lshlrev_b32_e32 v12, 8, v6
	v_mov_b32_e32 v13, 0x3b800000
	v_lshlrev_b32_e32 v10, 20, v10
	v_and_b32_e32 v12, 0x80000000, v12
	v_lshl_add_u32 v11, v11, 23, v13
	v_or3_b32 v10, v12, v11, v10
.LBB35_916:
	s_or_b64 exec, exec, s[6:7]
	s_movk_i32 s4, 0xff
	v_and_b32_sdwa v11, v2, s4 dst_sel:DWORD dst_unused:UNUSED_PAD src0_sel:WORD_1 src1_sel:DWORD
	s_movk_i32 s4, 0x7f
	v_cmp_lt_i16_e32 vcc, s4, v11
	s_mov_b64 s[4:5], 0
                                        ; implicit-def: $sgpr10
	s_and_saveexec_b64 s[6:7], vcc
	s_xor_b64 s[6:7], exec, s[6:7]
	s_cbranch_execnz .LBB35_2965
; %bb.917:
	s_or_saveexec_b64 s[6:7], s[6:7]
	v_mov_b32_e32 v12, s10
	s_xor_b64 exec, exec, s[6:7]
	s_cbranch_execnz .LBB35_2968
.LBB35_918:
	s_or_b64 exec, exec, s[6:7]
	s_and_saveexec_b64 s[6:7], s[4:5]
	s_cbranch_execz .LBB35_920
.LBB35_919:
	v_bfe_u32 v11, v2, 16, 3
	v_ffbh_u32_e32 v14, v11
	v_min_u32_e32 v14, 32, v14
	v_lshrrev_b32_e32 v12, 19, v2
	v_subrev_u32_e32 v15, 28, v14
	v_and_b32_e32 v12, 15, v12
	v_lshlrev_b32_sdwa v15, v15, v2 dst_sel:DWORD dst_unused:UNUSED_PAD src0_sel:DWORD src1_sel:WORD_1
	v_bfe_u32 v13, v2, 19, 4
	v_sub_u32_e32 v14, 29, v14
	v_and_b32_e32 v15, 7, v15
	v_cmp_eq_u16_e32 vcc, 0, v12
	v_cndmask_b32_e32 v11, v11, v15, vcc
	v_cndmask_b32_e32 v12, v13, v14, vcc
	v_lshlrev_b32_e32 v13, 8, v2
	v_mov_b32_e32 v14, 0x3b800000
	v_lshlrev_b32_e32 v11, 20, v11
	v_and_b32_e32 v13, 0x80000000, v13
	v_lshl_add_u32 v12, v12, 23, v14
	v_or3_b32 v12, v13, v12, v11
.LBB35_920:
	s_or_b64 exec, exec, s[6:7]
	s_nop 0
	v_mfma_f32_16x16x4f32 a[0:3], v10, v12, a[0:3]
	s_movk_i32 s4, 0x7f
	v_cmp_gt_i16_sdwa s[6:7], v6, s4 src0_sel:BYTE_3 src1_sel:DWORD
	s_mov_b64 s[4:5], 0
                                        ; implicit-def: $sgpr10
	s_and_saveexec_b64 s[8:9], s[6:7]
	s_xor_b64 s[6:7], exec, s[8:9]
	s_cbranch_execnz .LBB35_2969
; %bb.921:
	s_or_saveexec_b64 s[6:7], s[6:7]
	v_mov_b32_e32 v10, s10
	s_xor_b64 exec, exec, s[6:7]
	s_cbranch_execnz .LBB35_2972
.LBB35_922:
	s_or_b64 exec, exec, s[6:7]
	s_and_saveexec_b64 s[6:7], s[4:5]
	s_cbranch_execz .LBB35_924
.LBB35_923:
	v_bfe_u32 v10, v6, 24, 3
	v_ffbh_u32_e32 v14, v10
	v_min_u32_e32 v14, 32, v14
	v_lshrrev_b32_e32 v12, 27, v6
	v_subrev_u32_e32 v15, 28, v14
	v_and_b32_e32 v11, 0x80000000, v6
	v_and_b32_e32 v12, 15, v12
	v_bfe_u32 v13, v6, 27, 4
	v_lshlrev_b32_sdwa v6, v15, v6 dst_sel:DWORD dst_unused:UNUSED_PAD src0_sel:DWORD src1_sel:BYTE_3
	v_sub_u32_e32 v14, 29, v14
	v_and_b32_e32 v6, 7, v6
	v_cmp_eq_u16_e32 vcc, 0, v12
	v_cndmask_b32_e32 v6, v10, v6, vcc
	v_cndmask_b32_e32 v10, v13, v14, vcc
	v_mov_b32_e32 v12, 0x3b800000
	v_lshlrev_b32_e32 v6, 20, v6
	v_lshl_add_u32 v10, v10, 23, v12
	v_or3_b32 v10, v11, v10, v6
.LBB35_924:
	s_or_b64 exec, exec, s[6:7]
	s_movk_i32 s4, 0x7f
	v_cmp_gt_i16_sdwa s[6:7], v2, s4 src0_sel:BYTE_3 src1_sel:DWORD
	s_mov_b64 s[4:5], 0
                                        ; implicit-def: $sgpr10
	s_and_saveexec_b64 s[8:9], s[6:7]
	s_xor_b64 s[6:7], exec, s[8:9]
	s_cbranch_execnz .LBB35_2973
; %bb.925:
	s_or_saveexec_b64 s[6:7], s[6:7]
	v_mov_b32_e32 v6, s10
	s_xor_b64 exec, exec, s[6:7]
	s_cbranch_execnz .LBB35_2976
.LBB35_926:
	s_or_b64 exec, exec, s[6:7]
	s_and_saveexec_b64 s[6:7], s[4:5]
	s_cbranch_execz .LBB35_928
.LBB35_927:
	v_bfe_u32 v6, v2, 24, 3
	v_ffbh_u32_e32 v14, v6
	v_min_u32_e32 v14, 32, v14
	v_lshrrev_b32_e32 v12, 27, v2
	v_subrev_u32_e32 v15, 28, v14
	v_and_b32_e32 v11, 0x80000000, v2
	v_and_b32_e32 v12, 15, v12
	v_bfe_u32 v13, v2, 27, 4
	v_lshlrev_b32_sdwa v2, v15, v2 dst_sel:DWORD dst_unused:UNUSED_PAD src0_sel:DWORD src1_sel:BYTE_3
	v_sub_u32_e32 v14, 29, v14
	v_and_b32_e32 v2, 7, v2
	v_cmp_eq_u16_e32 vcc, 0, v12
	v_cndmask_b32_e32 v2, v6, v2, vcc
	v_cndmask_b32_e32 v6, v13, v14, vcc
	v_mov_b32_e32 v12, 0x3b800000
	v_lshlrev_b32_e32 v2, 20, v2
	v_lshl_add_u32 v6, v6, 23, v12
	v_or3_b32 v6, v11, v6, v2
.LBB35_928:
	s_or_b64 exec, exec, s[6:7]
	s_nop 0
	v_mfma_f32_16x16x4f32 a[0:3], v10, v6, a[0:3]
	s_movk_i32 s4, 0x7f
	v_cmp_gt_i16_sdwa s[6:7], v7, s4 src0_sel:BYTE_0 src1_sel:DWORD
	s_mov_b64 s[4:5], 0
                                        ; implicit-def: $sgpr10
	s_and_saveexec_b64 s[8:9], s[6:7]
	s_xor_b64 s[6:7], exec, s[8:9]
	s_cbranch_execnz .LBB35_2977
; %bb.929:
	s_or_saveexec_b64 s[6:7], s[6:7]
	v_mov_b32_e32 v2, s10
	s_xor_b64 exec, exec, s[6:7]
	s_cbranch_execnz .LBB35_2980
.LBB35_930:
	s_or_b64 exec, exec, s[6:7]
	s_and_saveexec_b64 s[6:7], s[4:5]
	s_cbranch_execz .LBB35_932
.LBB35_931:
	v_and_b32_e32 v2, 7, v7
	v_ffbh_u32_e32 v10, v2
	v_min_u32_e32 v10, 32, v10
	v_lshrrev_b16_e32 v6, 3, v7
	v_subrev_u32_e32 v11, 28, v10
	v_and_b32_e32 v6, 15, v6
	v_lshlrev_b32_e32 v11, v11, v7
	v_sub_u32_e32 v10, 29, v10
	v_and_b32_e32 v11, 7, v11
	v_cmp_eq_u16_e32 vcc, 0, v6
	v_cndmask_b32_e32 v2, v2, v11, vcc
	v_cndmask_b32_e32 v6, v6, v10, vcc
	v_lshlrev_b32_e32 v10, 24, v7
	v_mov_b32_e32 v11, 0x3b800000
	v_lshlrev_b32_e32 v2, 20, v2
	v_and_b32_e32 v10, 0x80000000, v10
	v_lshl_add_u32 v6, v6, 23, v11
	v_or3_b32 v2, v10, v6, v2
.LBB35_932:
	s_or_b64 exec, exec, s[6:7]
	s_movk_i32 s4, 0x7f
	v_cmp_gt_i16_sdwa s[6:7], v3, s4 src0_sel:BYTE_0 src1_sel:DWORD
	s_mov_b64 s[4:5], 0
                                        ; implicit-def: $sgpr10
	s_and_saveexec_b64 s[8:9], s[6:7]
	s_xor_b64 s[6:7], exec, s[8:9]
	s_cbranch_execnz .LBB35_2981
; %bb.933:
	s_or_saveexec_b64 s[6:7], s[6:7]
	v_mov_b32_e32 v6, s10
	s_xor_b64 exec, exec, s[6:7]
	s_cbranch_execnz .LBB35_2984
.LBB35_934:
	s_or_b64 exec, exec, s[6:7]
	s_and_saveexec_b64 s[6:7], s[4:5]
	s_cbranch_execz .LBB35_936
.LBB35_935:
	v_and_b32_e32 v6, 7, v3
	v_ffbh_u32_e32 v11, v6
	v_min_u32_e32 v11, 32, v11
	v_lshrrev_b16_e32 v10, 3, v3
	v_subrev_u32_e32 v12, 28, v11
	v_and_b32_e32 v10, 15, v10
	v_lshlrev_b32_e32 v12, v12, v3
	v_sub_u32_e32 v11, 29, v11
	v_and_b32_e32 v12, 7, v12
	v_cmp_eq_u16_e32 vcc, 0, v10
	v_cndmask_b32_e32 v6, v6, v12, vcc
	v_cndmask_b32_e32 v10, v10, v11, vcc
	v_lshlrev_b32_e32 v11, 24, v3
	v_mov_b32_e32 v12, 0x3b800000
	v_lshlrev_b32_e32 v6, 20, v6
	v_and_b32_e32 v11, 0x80000000, v11
	v_lshl_add_u32 v10, v10, 23, v12
	v_or3_b32 v6, v11, v10, v6
.LBB35_936:
	s_or_b64 exec, exec, s[6:7]
	s_nop 0
	v_mfma_f32_16x16x4f32 a[0:3], v2, v6, a[0:3]
	v_lshrrev_b32_e32 v6, 8, v7
	s_movk_i32 s4, 0x7f
	v_cmp_gt_i16_sdwa s[6:7], v6, s4 src0_sel:BYTE_0 src1_sel:DWORD
	s_mov_b64 s[4:5], 0
                                        ; implicit-def: $sgpr10
	s_and_saveexec_b64 s[8:9], s[6:7]
	s_xor_b64 s[6:7], exec, s[8:9]
	s_cbranch_execnz .LBB35_2985
; %bb.937:
	s_or_saveexec_b64 s[6:7], s[6:7]
	v_mov_b32_e32 v2, s10
	s_xor_b64 exec, exec, s[6:7]
	s_cbranch_execnz .LBB35_2988
.LBB35_938:
	s_or_b64 exec, exec, s[6:7]
	s_and_saveexec_b64 s[6:7], s[4:5]
	s_cbranch_execz .LBB35_940
.LBB35_939:
	v_bfe_u32 v2, v7, 8, 3
	v_ffbh_u32_e32 v11, v2
	v_min_u32_e32 v11, 32, v11
	v_lshrrev_b16_e32 v10, 3, v6
	v_subrev_u32_e32 v12, 28, v11
	v_and_b32_e32 v10, 15, v10
	v_lshlrev_b32_e32 v6, v12, v6
	v_sub_u32_e32 v11, 29, v11
	v_and_b32_e32 v6, 7, v6
	v_cmp_eq_u16_e32 vcc, 0, v10
	v_cndmask_b32_e32 v2, v2, v6, vcc
	v_cndmask_b32_e32 v6, v10, v11, vcc
	v_lshlrev_b32_e32 v10, 16, v7
	v_mov_b32_e32 v11, 0x3b800000
	v_lshlrev_b32_e32 v2, 20, v2
	v_and_b32_e32 v10, 0x80000000, v10
	v_lshl_add_u32 v6, v6, 23, v11
	v_or3_b32 v2, v10, v6, v2
.LBB35_940:
	s_or_b64 exec, exec, s[6:7]
	v_lshrrev_b32_e32 v6, 8, v3
	s_movk_i32 s4, 0x7f
	v_cmp_gt_i16_sdwa s[6:7], v6, s4 src0_sel:BYTE_0 src1_sel:DWORD
	s_mov_b64 s[4:5], 0
                                        ; implicit-def: $sgpr10
	s_and_saveexec_b64 s[8:9], s[6:7]
	s_xor_b64 s[6:7], exec, s[8:9]
	s_cbranch_execnz .LBB35_2989
; %bb.941:
	s_or_saveexec_b64 s[6:7], s[6:7]
	v_mov_b32_e32 v10, s10
	s_xor_b64 exec, exec, s[6:7]
	s_cbranch_execnz .LBB35_2992
.LBB35_942:
	s_or_b64 exec, exec, s[6:7]
	s_and_saveexec_b64 s[6:7], s[4:5]
	s_cbranch_execz .LBB35_944
.LBB35_943:
	v_bfe_u32 v10, v3, 8, 3
	v_ffbh_u32_e32 v12, v10
	v_min_u32_e32 v12, 32, v12
	v_lshrrev_b16_e32 v11, 3, v6
	v_subrev_u32_e32 v13, 28, v12
	v_and_b32_e32 v11, 15, v11
	v_lshlrev_b32_e32 v6, v13, v6
	v_sub_u32_e32 v12, 29, v12
	v_and_b32_e32 v6, 7, v6
	v_cmp_eq_u16_e32 vcc, 0, v11
	v_cndmask_b32_e32 v6, v10, v6, vcc
	v_cndmask_b32_e32 v10, v11, v12, vcc
	v_lshlrev_b32_e32 v11, 16, v3
	v_mov_b32_e32 v12, 0x3b800000
	v_lshlrev_b32_e32 v6, 20, v6
	v_and_b32_e32 v11, 0x80000000, v11
	v_lshl_add_u32 v10, v10, 23, v12
	v_or3_b32 v10, v11, v10, v6
.LBB35_944:
	s_or_b64 exec, exec, s[6:7]
	s_nop 0
	v_mfma_f32_16x16x4f32 a[0:3], v2, v10, a[0:3]
	s_movk_i32 s4, 0xff
	v_and_b32_sdwa v6, v7, s4 dst_sel:DWORD dst_unused:UNUSED_PAD src0_sel:WORD_1 src1_sel:DWORD
	s_movk_i32 s4, 0x7f
	v_cmp_lt_i16_e32 vcc, s4, v6
	s_mov_b64 s[4:5], 0
                                        ; implicit-def: $sgpr10
	s_and_saveexec_b64 s[6:7], vcc
	s_xor_b64 s[6:7], exec, s[6:7]
	s_cbranch_execnz .LBB35_2993
; %bb.945:
	s_or_saveexec_b64 s[6:7], s[6:7]
	v_mov_b32_e32 v2, s10
	s_xor_b64 exec, exec, s[6:7]
	s_cbranch_execnz .LBB35_2996
.LBB35_946:
	s_or_b64 exec, exec, s[6:7]
	s_and_saveexec_b64 s[6:7], s[4:5]
	s_cbranch_execz .LBB35_948
.LBB35_947:
	v_bfe_u32 v2, v7, 16, 3
	v_ffbh_u32_e32 v11, v2
	v_min_u32_e32 v11, 32, v11
	v_lshrrev_b32_e32 v6, 19, v7
	v_subrev_u32_e32 v12, 28, v11
	v_and_b32_e32 v6, 15, v6
	v_lshlrev_b32_sdwa v12, v12, v7 dst_sel:DWORD dst_unused:UNUSED_PAD src0_sel:DWORD src1_sel:WORD_1
	v_bfe_u32 v10, v7, 19, 4
	v_sub_u32_e32 v11, 29, v11
	v_and_b32_e32 v12, 7, v12
	v_cmp_eq_u16_e32 vcc, 0, v6
	v_cndmask_b32_e32 v2, v2, v12, vcc
	v_cndmask_b32_e32 v6, v10, v11, vcc
	v_lshlrev_b32_e32 v10, 8, v7
	v_mov_b32_e32 v11, 0x3b800000
	v_lshlrev_b32_e32 v2, 20, v2
	v_and_b32_e32 v10, 0x80000000, v10
	v_lshl_add_u32 v6, v6, 23, v11
	v_or3_b32 v2, v10, v6, v2
.LBB35_948:
	s_or_b64 exec, exec, s[6:7]
	s_movk_i32 s4, 0xff
	v_and_b32_sdwa v6, v3, s4 dst_sel:DWORD dst_unused:UNUSED_PAD src0_sel:WORD_1 src1_sel:DWORD
	s_movk_i32 s4, 0x7f
	v_cmp_lt_i16_e32 vcc, s4, v6
	s_mov_b64 s[4:5], 0
                                        ; implicit-def: $sgpr10
	s_and_saveexec_b64 s[6:7], vcc
	s_xor_b64 s[6:7], exec, s[6:7]
	s_cbranch_execnz .LBB35_2997
; %bb.949:
	s_or_saveexec_b64 s[6:7], s[6:7]
	v_mov_b32_e32 v10, s10
	s_xor_b64 exec, exec, s[6:7]
	s_cbranch_execnz .LBB35_3000
.LBB35_950:
	s_or_b64 exec, exec, s[6:7]
	s_and_saveexec_b64 s[6:7], s[4:5]
	s_cbranch_execz .LBB35_952
.LBB35_951:
	v_bfe_u32 v6, v3, 16, 3
	v_ffbh_u32_e32 v12, v6
	v_min_u32_e32 v12, 32, v12
	v_lshrrev_b32_e32 v10, 19, v3
	v_subrev_u32_e32 v13, 28, v12
	v_and_b32_e32 v10, 15, v10
	v_lshlrev_b32_sdwa v13, v13, v3 dst_sel:DWORD dst_unused:UNUSED_PAD src0_sel:DWORD src1_sel:WORD_1
	v_bfe_u32 v11, v3, 19, 4
	v_sub_u32_e32 v12, 29, v12
	v_and_b32_e32 v13, 7, v13
	v_cmp_eq_u16_e32 vcc, 0, v10
	v_cndmask_b32_e32 v6, v6, v13, vcc
	v_cndmask_b32_e32 v10, v11, v12, vcc
	v_lshlrev_b32_e32 v11, 8, v3
	v_mov_b32_e32 v12, 0x3b800000
	v_lshlrev_b32_e32 v6, 20, v6
	v_and_b32_e32 v11, 0x80000000, v11
	v_lshl_add_u32 v10, v10, 23, v12
	v_or3_b32 v10, v11, v10, v6
.LBB35_952:
	s_or_b64 exec, exec, s[6:7]
	s_nop 0
	v_mfma_f32_16x16x4f32 a[0:3], v2, v10, a[0:3]
	s_movk_i32 s4, 0x7f
	v_cmp_gt_i16_sdwa s[6:7], v7, s4 src0_sel:BYTE_3 src1_sel:DWORD
	s_mov_b64 s[4:5], 0
                                        ; implicit-def: $sgpr10
	s_and_saveexec_b64 s[8:9], s[6:7]
	s_xor_b64 s[6:7], exec, s[8:9]
	s_cbranch_execnz .LBB35_3001
; %bb.953:
	s_or_saveexec_b64 s[6:7], s[6:7]
	v_mov_b32_e32 v2, s10
	s_xor_b64 exec, exec, s[6:7]
	s_cbranch_execnz .LBB35_3004
.LBB35_954:
	s_or_b64 exec, exec, s[6:7]
	s_and_saveexec_b64 s[6:7], s[4:5]
	s_cbranch_execz .LBB35_956
.LBB35_955:
	v_bfe_u32 v2, v7, 24, 3
	v_ffbh_u32_e32 v12, v2
	v_min_u32_e32 v12, 32, v12
	v_lshrrev_b32_e32 v10, 27, v7
	v_subrev_u32_e32 v13, 28, v12
	v_and_b32_e32 v6, 0x80000000, v7
	v_and_b32_e32 v10, 15, v10
	v_bfe_u32 v11, v7, 27, 4
	v_lshlrev_b32_sdwa v7, v13, v7 dst_sel:DWORD dst_unused:UNUSED_PAD src0_sel:DWORD src1_sel:BYTE_3
	v_sub_u32_e32 v12, 29, v12
	v_and_b32_e32 v7, 7, v7
	v_cmp_eq_u16_e32 vcc, 0, v10
	v_cndmask_b32_e32 v2, v2, v7, vcc
	v_cndmask_b32_e32 v7, v11, v12, vcc
	v_mov_b32_e32 v10, 0x3b800000
	v_lshlrev_b32_e32 v2, 20, v2
	v_lshl_add_u32 v7, v7, 23, v10
	v_or3_b32 v2, v6, v7, v2
.LBB35_956:
	s_or_b64 exec, exec, s[6:7]
	s_movk_i32 s4, 0x7f
	v_cmp_gt_i16_sdwa s[6:7], v3, s4 src0_sel:BYTE_3 src1_sel:DWORD
	s_mov_b64 s[4:5], 0
                                        ; implicit-def: $sgpr10
	s_and_saveexec_b64 s[8:9], s[6:7]
	s_xor_b64 s[6:7], exec, s[8:9]
	s_cbranch_execnz .LBB35_3005
; %bb.957:
	s_or_saveexec_b64 s[6:7], s[6:7]
	v_mov_b32_e32 v6, s10
	s_xor_b64 exec, exec, s[6:7]
	s_cbranch_execnz .LBB35_3008
.LBB35_958:
	s_or_b64 exec, exec, s[6:7]
	s_and_saveexec_b64 s[6:7], s[4:5]
	s_cbranch_execz .LBB35_960
.LBB35_959:
	v_bfe_u32 v6, v3, 24, 3
	v_ffbh_u32_e32 v12, v6
	v_min_u32_e32 v12, 32, v12
	v_lshrrev_b32_e32 v10, 27, v3
	v_subrev_u32_e32 v13, 28, v12
	v_and_b32_e32 v7, 0x80000000, v3
	v_and_b32_e32 v10, 15, v10
	v_bfe_u32 v11, v3, 27, 4
	v_lshlrev_b32_sdwa v3, v13, v3 dst_sel:DWORD dst_unused:UNUSED_PAD src0_sel:DWORD src1_sel:BYTE_3
	v_sub_u32_e32 v12, 29, v12
	v_and_b32_e32 v3, 7, v3
	v_cmp_eq_u16_e32 vcc, 0, v10
	v_cndmask_b32_e32 v3, v6, v3, vcc
	v_cndmask_b32_e32 v6, v11, v12, vcc
	v_mov_b32_e32 v10, 0x3b800000
	v_lshlrev_b32_e32 v3, 20, v3
	v_lshl_add_u32 v6, v6, 23, v10
	v_or3_b32 v6, v7, v6, v3
.LBB35_960:
	s_or_b64 exec, exec, s[6:7]
	s_nop 0
	v_mfma_f32_16x16x4f32 a[0:3], v2, v6, a[0:3]
	s_movk_i32 s4, 0x7f
	v_cmp_gt_i16_sdwa s[6:7], v8, s4 src0_sel:BYTE_0 src1_sel:DWORD
	s_mov_b64 s[4:5], 0
                                        ; implicit-def: $sgpr10
	s_and_saveexec_b64 s[8:9], s[6:7]
	s_xor_b64 s[6:7], exec, s[8:9]
	s_cbranch_execnz .LBB35_3009
; %bb.961:
	s_or_saveexec_b64 s[6:7], s[6:7]
	v_mov_b32_e32 v2, s10
	s_xor_b64 exec, exec, s[6:7]
	s_cbranch_execnz .LBB35_3012
.LBB35_962:
	s_or_b64 exec, exec, s[6:7]
	s_and_saveexec_b64 s[6:7], s[4:5]
	s_cbranch_execz .LBB35_964
.LBB35_963:
	v_and_b32_e32 v2, 7, v8
	v_ffbh_u32_e32 v6, v2
	v_min_u32_e32 v6, 32, v6
	v_lshrrev_b16_e32 v3, 3, v8
	v_subrev_u32_e32 v7, 28, v6
	v_and_b32_e32 v3, 15, v3
	v_lshlrev_b32_e32 v7, v7, v8
	v_sub_u32_e32 v6, 29, v6
	v_and_b32_e32 v7, 7, v7
	v_cmp_eq_u16_e32 vcc, 0, v3
	v_cndmask_b32_e32 v2, v2, v7, vcc
	v_cndmask_b32_e32 v3, v3, v6, vcc
	v_lshlrev_b32_e32 v6, 24, v8
	v_mov_b32_e32 v7, 0x3b800000
	v_lshlrev_b32_e32 v2, 20, v2
	v_and_b32_e32 v6, 0x80000000, v6
	v_lshl_add_u32 v3, v3, 23, v7
	v_or3_b32 v2, v6, v3, v2
.LBB35_964:
	s_or_b64 exec, exec, s[6:7]
	s_movk_i32 s4, 0x7f
	v_cmp_gt_i16_sdwa s[6:7], v4, s4 src0_sel:BYTE_0 src1_sel:DWORD
	s_mov_b64 s[4:5], 0
                                        ; implicit-def: $sgpr10
	s_and_saveexec_b64 s[8:9], s[6:7]
	s_xor_b64 s[6:7], exec, s[8:9]
	s_cbranch_execnz .LBB35_3013
; %bb.965:
	s_or_saveexec_b64 s[6:7], s[6:7]
	v_mov_b32_e32 v3, s10
	s_xor_b64 exec, exec, s[6:7]
	s_cbranch_execnz .LBB35_3016
.LBB35_966:
	s_or_b64 exec, exec, s[6:7]
	s_and_saveexec_b64 s[6:7], s[4:5]
	s_cbranch_execz .LBB35_968
.LBB35_967:
	v_and_b32_e32 v3, 7, v4
	v_ffbh_u32_e32 v7, v3
	v_min_u32_e32 v7, 32, v7
	v_lshrrev_b16_e32 v6, 3, v4
	v_subrev_u32_e32 v10, 28, v7
	v_and_b32_e32 v6, 15, v6
	v_lshlrev_b32_e32 v10, v10, v4
	v_sub_u32_e32 v7, 29, v7
	v_and_b32_e32 v10, 7, v10
	v_cmp_eq_u16_e32 vcc, 0, v6
	v_cndmask_b32_e32 v3, v3, v10, vcc
	v_cndmask_b32_e32 v6, v6, v7, vcc
	v_lshlrev_b32_e32 v7, 24, v4
	v_mov_b32_e32 v10, 0x3b800000
	v_lshlrev_b32_e32 v3, 20, v3
	v_and_b32_e32 v7, 0x80000000, v7
	v_lshl_add_u32 v6, v6, 23, v10
	v_or3_b32 v3, v7, v6, v3
.LBB35_968:
	s_or_b64 exec, exec, s[6:7]
	s_nop 0
	v_mfma_f32_16x16x4f32 a[0:3], v2, v3, a[0:3]
	v_lshrrev_b32_e32 v3, 8, v8
	s_movk_i32 s4, 0x7f
	v_cmp_gt_i16_sdwa s[6:7], v3, s4 src0_sel:BYTE_0 src1_sel:DWORD
	s_mov_b64 s[4:5], 0
                                        ; implicit-def: $sgpr10
	s_and_saveexec_b64 s[8:9], s[6:7]
	s_xor_b64 s[6:7], exec, s[8:9]
	s_cbranch_execnz .LBB35_3017
; %bb.969:
	s_or_saveexec_b64 s[6:7], s[6:7]
	v_mov_b32_e32 v2, s10
	s_xor_b64 exec, exec, s[6:7]
	s_cbranch_execnz .LBB35_3020
.LBB35_970:
	s_or_b64 exec, exec, s[6:7]
	s_and_saveexec_b64 s[6:7], s[4:5]
	s_cbranch_execz .LBB35_972
.LBB35_971:
	v_bfe_u32 v2, v8, 8, 3
	v_ffbh_u32_e32 v7, v2
	v_min_u32_e32 v7, 32, v7
	v_lshrrev_b16_e32 v6, 3, v3
	v_subrev_u32_e32 v10, 28, v7
	v_and_b32_e32 v6, 15, v6
	v_lshlrev_b32_e32 v3, v10, v3
	v_sub_u32_e32 v7, 29, v7
	v_and_b32_e32 v3, 7, v3
	v_cmp_eq_u16_e32 vcc, 0, v6
	v_cndmask_b32_e32 v2, v2, v3, vcc
	v_cndmask_b32_e32 v3, v6, v7, vcc
	v_lshlrev_b32_e32 v6, 16, v8
	v_mov_b32_e32 v7, 0x3b800000
	v_lshlrev_b32_e32 v2, 20, v2
	v_and_b32_e32 v6, 0x80000000, v6
	v_lshl_add_u32 v3, v3, 23, v7
	v_or3_b32 v2, v6, v3, v2
.LBB35_972:
	s_or_b64 exec, exec, s[6:7]
	v_lshrrev_b32_e32 v3, 8, v4
	s_movk_i32 s4, 0x7f
	v_cmp_gt_i16_sdwa s[6:7], v3, s4 src0_sel:BYTE_0 src1_sel:DWORD
	s_mov_b64 s[4:5], 0
                                        ; implicit-def: $sgpr10
	s_and_saveexec_b64 s[8:9], s[6:7]
	s_xor_b64 s[6:7], exec, s[8:9]
	s_cbranch_execnz .LBB35_3021
; %bb.973:
	s_or_saveexec_b64 s[6:7], s[6:7]
	v_mov_b32_e32 v6, s10
	s_xor_b64 exec, exec, s[6:7]
	s_cbranch_execnz .LBB35_3024
.LBB35_974:
	s_or_b64 exec, exec, s[6:7]
	s_and_saveexec_b64 s[6:7], s[4:5]
	s_cbranch_execz .LBB35_976
.LBB35_975:
	v_bfe_u32 v6, v4, 8, 3
	v_ffbh_u32_e32 v10, v6
	v_min_u32_e32 v10, 32, v10
	v_lshrrev_b16_e32 v7, 3, v3
	v_subrev_u32_e32 v11, 28, v10
	v_and_b32_e32 v7, 15, v7
	v_lshlrev_b32_e32 v3, v11, v3
	v_sub_u32_e32 v10, 29, v10
	v_and_b32_e32 v3, 7, v3
	v_cmp_eq_u16_e32 vcc, 0, v7
	v_cndmask_b32_e32 v3, v6, v3, vcc
	v_cndmask_b32_e32 v6, v7, v10, vcc
	v_lshlrev_b32_e32 v7, 16, v4
	v_mov_b32_e32 v10, 0x3b800000
	v_lshlrev_b32_e32 v3, 20, v3
	v_and_b32_e32 v7, 0x80000000, v7
	v_lshl_add_u32 v6, v6, 23, v10
	v_or3_b32 v6, v7, v6, v3
.LBB35_976:
	s_or_b64 exec, exec, s[6:7]
	s_nop 0
	v_mfma_f32_16x16x4f32 a[0:3], v2, v6, a[0:3]
	s_movk_i32 s4, 0xff
	v_and_b32_sdwa v3, v8, s4 dst_sel:DWORD dst_unused:UNUSED_PAD src0_sel:WORD_1 src1_sel:DWORD
	s_movk_i32 s4, 0x7f
	v_cmp_lt_i16_e32 vcc, s4, v3
	s_mov_b64 s[4:5], 0
                                        ; implicit-def: $sgpr10
	s_and_saveexec_b64 s[6:7], vcc
	s_xor_b64 s[6:7], exec, s[6:7]
	s_cbranch_execnz .LBB35_3025
; %bb.977:
	s_or_saveexec_b64 s[6:7], s[6:7]
	v_mov_b32_e32 v2, s10
	s_xor_b64 exec, exec, s[6:7]
	s_cbranch_execnz .LBB35_3028
.LBB35_978:
	s_or_b64 exec, exec, s[6:7]
	s_and_saveexec_b64 s[6:7], s[4:5]
	s_cbranch_execz .LBB35_980
.LBB35_979:
	v_bfe_u32 v2, v8, 16, 3
	v_ffbh_u32_e32 v7, v2
	v_min_u32_e32 v7, 32, v7
	v_lshrrev_b32_e32 v3, 19, v8
	v_subrev_u32_e32 v10, 28, v7
	v_and_b32_e32 v3, 15, v3
	v_lshlrev_b32_sdwa v10, v10, v8 dst_sel:DWORD dst_unused:UNUSED_PAD src0_sel:DWORD src1_sel:WORD_1
	v_bfe_u32 v6, v8, 19, 4
	v_sub_u32_e32 v7, 29, v7
	v_and_b32_e32 v10, 7, v10
	v_cmp_eq_u16_e32 vcc, 0, v3
	v_cndmask_b32_e32 v2, v2, v10, vcc
	v_cndmask_b32_e32 v3, v6, v7, vcc
	v_lshlrev_b32_e32 v6, 8, v8
	v_mov_b32_e32 v7, 0x3b800000
	v_lshlrev_b32_e32 v2, 20, v2
	v_and_b32_e32 v6, 0x80000000, v6
	v_lshl_add_u32 v3, v3, 23, v7
	v_or3_b32 v2, v6, v3, v2
.LBB35_980:
	s_or_b64 exec, exec, s[6:7]
	s_movk_i32 s4, 0xff
	v_and_b32_sdwa v3, v4, s4 dst_sel:DWORD dst_unused:UNUSED_PAD src0_sel:WORD_1 src1_sel:DWORD
	s_movk_i32 s4, 0x7f
	v_cmp_lt_i16_e32 vcc, s4, v3
	s_mov_b64 s[4:5], 0
                                        ; implicit-def: $sgpr10
	s_and_saveexec_b64 s[6:7], vcc
	s_xor_b64 s[6:7], exec, s[6:7]
	s_cbranch_execnz .LBB35_3029
; %bb.981:
	s_or_saveexec_b64 s[6:7], s[6:7]
	v_mov_b32_e32 v6, s10
	s_xor_b64 exec, exec, s[6:7]
	s_cbranch_execnz .LBB35_3032
.LBB35_982:
	s_or_b64 exec, exec, s[6:7]
	s_and_saveexec_b64 s[6:7], s[4:5]
	s_cbranch_execz .LBB35_984
.LBB35_983:
	v_bfe_u32 v3, v4, 16, 3
	v_ffbh_u32_e32 v10, v3
	v_min_u32_e32 v10, 32, v10
	v_lshrrev_b32_e32 v6, 19, v4
	v_subrev_u32_e32 v11, 28, v10
	v_and_b32_e32 v6, 15, v6
	v_lshlrev_b32_sdwa v11, v11, v4 dst_sel:DWORD dst_unused:UNUSED_PAD src0_sel:DWORD src1_sel:WORD_1
	v_bfe_u32 v7, v4, 19, 4
	v_sub_u32_e32 v10, 29, v10
	v_and_b32_e32 v11, 7, v11
	v_cmp_eq_u16_e32 vcc, 0, v6
	v_cndmask_b32_e32 v3, v3, v11, vcc
	v_cndmask_b32_e32 v6, v7, v10, vcc
	v_lshlrev_b32_e32 v7, 8, v4
	v_mov_b32_e32 v10, 0x3b800000
	v_lshlrev_b32_e32 v3, 20, v3
	v_and_b32_e32 v7, 0x80000000, v7
	v_lshl_add_u32 v6, v6, 23, v10
	v_or3_b32 v6, v7, v6, v3
.LBB35_984:
	s_or_b64 exec, exec, s[6:7]
	s_nop 0
	v_mfma_f32_16x16x4f32 a[0:3], v2, v6, a[0:3]
	s_movk_i32 s4, 0x7f
	v_cmp_gt_i16_sdwa s[6:7], v8, s4 src0_sel:BYTE_3 src1_sel:DWORD
	s_mov_b64 s[4:5], 0
                                        ; implicit-def: $sgpr10
	s_and_saveexec_b64 s[8:9], s[6:7]
	s_xor_b64 s[6:7], exec, s[8:9]
	s_cbranch_execnz .LBB35_3033
; %bb.985:
	s_or_saveexec_b64 s[6:7], s[6:7]
	v_mov_b32_e32 v2, s10
	s_xor_b64 exec, exec, s[6:7]
	s_cbranch_execnz .LBB35_3036
.LBB35_986:
	s_or_b64 exec, exec, s[6:7]
	s_and_saveexec_b64 s[6:7], s[4:5]
	s_cbranch_execz .LBB35_988
.LBB35_987:
	v_bfe_u32 v2, v8, 24, 3
	v_ffbh_u32_e32 v10, v2
	v_min_u32_e32 v10, 32, v10
	v_lshrrev_b32_e32 v6, 27, v8
	v_subrev_u32_e32 v11, 28, v10
	v_and_b32_e32 v3, 0x80000000, v8
	v_and_b32_e32 v6, 15, v6
	v_bfe_u32 v7, v8, 27, 4
	v_lshlrev_b32_sdwa v8, v11, v8 dst_sel:DWORD dst_unused:UNUSED_PAD src0_sel:DWORD src1_sel:BYTE_3
	v_sub_u32_e32 v10, 29, v10
	v_and_b32_e32 v8, 7, v8
	v_cmp_eq_u16_e32 vcc, 0, v6
	v_cndmask_b32_e32 v2, v2, v8, vcc
	v_cndmask_b32_e32 v6, v7, v10, vcc
	v_mov_b32_e32 v7, 0x3b800000
	v_lshlrev_b32_e32 v2, 20, v2
	v_lshl_add_u32 v6, v6, 23, v7
	v_or3_b32 v2, v3, v6, v2
.LBB35_988:
	s_or_b64 exec, exec, s[6:7]
	s_movk_i32 s4, 0x7f
	v_cmp_gt_i16_sdwa s[6:7], v4, s4 src0_sel:BYTE_3 src1_sel:DWORD
	s_mov_b64 s[4:5], 0
                                        ; implicit-def: $sgpr10
	s_and_saveexec_b64 s[8:9], s[6:7]
	s_xor_b64 s[6:7], exec, s[8:9]
	s_cbranch_execnz .LBB35_3037
; %bb.989:
	s_or_saveexec_b64 s[6:7], s[6:7]
	v_mov_b32_e32 v3, s10
	s_xor_b64 exec, exec, s[6:7]
	s_cbranch_execnz .LBB35_3040
.LBB35_990:
	s_or_b64 exec, exec, s[6:7]
	s_and_saveexec_b64 s[6:7], s[4:5]
	s_cbranch_execz .LBB35_992
.LBB35_991:
	v_bfe_u32 v3, v4, 24, 3
	v_ffbh_u32_e32 v10, v3
	v_min_u32_e32 v10, 32, v10
	v_lshrrev_b32_e32 v7, 27, v4
	v_subrev_u32_e32 v11, 28, v10
	v_and_b32_e32 v6, 0x80000000, v4
	v_and_b32_e32 v7, 15, v7
	v_bfe_u32 v8, v4, 27, 4
	v_lshlrev_b32_sdwa v4, v11, v4 dst_sel:DWORD dst_unused:UNUSED_PAD src0_sel:DWORD src1_sel:BYTE_3
	v_sub_u32_e32 v10, 29, v10
	v_and_b32_e32 v4, 7, v4
	v_cmp_eq_u16_e32 vcc, 0, v7
	v_cndmask_b32_e32 v3, v3, v4, vcc
	v_cndmask_b32_e32 v4, v8, v10, vcc
	v_mov_b32_e32 v7, 0x3b800000
	v_lshlrev_b32_e32 v3, 20, v3
	v_lshl_add_u32 v4, v4, 23, v7
	v_or3_b32 v3, v6, v4, v3
.LBB35_992:
	s_or_b64 exec, exec, s[6:7]
	s_nop 0
	v_mfma_f32_16x16x4f32 a[0:3], v2, v3, a[0:3]
	s_movk_i32 s4, 0x7f
	v_cmp_gt_i16_sdwa s[6:7], v9, s4 src0_sel:BYTE_0 src1_sel:DWORD
	s_mov_b64 s[4:5], 0
                                        ; implicit-def: $sgpr10
	s_and_saveexec_b64 s[8:9], s[6:7]
	s_xor_b64 s[6:7], exec, s[8:9]
	s_cbranch_execnz .LBB35_3041
; %bb.993:
	s_or_saveexec_b64 s[6:7], s[6:7]
	v_mov_b32_e32 v2, s10
	s_xor_b64 exec, exec, s[6:7]
	s_cbranch_execnz .LBB35_3044
.LBB35_994:
	s_or_b64 exec, exec, s[6:7]
	s_and_saveexec_b64 s[6:7], s[4:5]
	s_cbranch_execz .LBB35_996
.LBB35_995:
	v_mov_b32_e32 v2, 8
	v_and_b32_e32 v3, 7, v9
	v_lshrrev_b32_sdwa v2, v2, v9 dst_sel:BYTE_1 dst_unused:UNUSED_PAD src0_sel:DWORD src1_sel:DWORD
	v_ffbh_u32_e32 v4, v3
	v_or_b32_sdwa v2, v9, v2 dst_sel:DWORD dst_unused:UNUSED_PAD src0_sel:BYTE_0 src1_sel:DWORD
	v_min_u32_e32 v4, 32, v4
	v_lshrrev_b16_e32 v2, 3, v2
	v_subrev_u32_e32 v6, 28, v4
	v_and_b32_e32 v2, 15, v2
	v_lshlrev_b32_e32 v6, v6, v9
	v_sub_u32_e32 v4, 29, v4
	v_and_b32_e32 v6, 7, v6
	v_cmp_eq_u16_e32 vcc, 0, v2
	v_cndmask_b32_e32 v3, v3, v6, vcc
	v_cndmask_b32_e32 v2, v2, v4, vcc
	v_lshlrev_b32_e32 v4, 24, v9
	v_mov_b32_e32 v6, 0x3b800000
	v_lshlrev_b32_e32 v3, 20, v3
	v_and_b32_e32 v4, 0x80000000, v4
	v_lshl_add_u32 v2, v2, 23, v6
	v_or3_b32 v2, v4, v2, v3
.LBB35_996:
	s_or_b64 exec, exec, s[6:7]
	s_movk_i32 s4, 0x7f
	v_cmp_gt_i16_sdwa s[6:7], v5, s4 src0_sel:BYTE_0 src1_sel:DWORD
	s_mov_b64 s[4:5], 0
                                        ; implicit-def: $sgpr10
	s_and_saveexec_b64 s[8:9], s[6:7]
	s_xor_b64 s[6:7], exec, s[8:9]
	s_cbranch_execnz .LBB35_3045
; %bb.997:
	s_or_saveexec_b64 s[6:7], s[6:7]
	v_mov_b32_e32 v3, s10
	s_xor_b64 exec, exec, s[6:7]
	s_cbranch_execnz .LBB35_3048
.LBB35_998:
	s_or_b64 exec, exec, s[6:7]
	s_and_saveexec_b64 s[6:7], s[4:5]
	s_cbranch_execz .LBB35_1000
.LBB35_999:
	v_mov_b32_e32 v3, 8
	v_and_b32_e32 v4, 7, v5
	v_lshrrev_b32_sdwa v3, v3, v5 dst_sel:BYTE_1 dst_unused:UNUSED_PAD src0_sel:DWORD src1_sel:DWORD
	v_ffbh_u32_e32 v6, v4
	v_or_b32_sdwa v3, v5, v3 dst_sel:DWORD dst_unused:UNUSED_PAD src0_sel:BYTE_0 src1_sel:DWORD
	v_min_u32_e32 v6, 32, v6
	v_lshrrev_b16_e32 v3, 3, v3
	v_subrev_u32_e32 v7, 28, v6
	v_and_b32_e32 v3, 15, v3
	v_lshlrev_b32_e32 v7, v7, v5
	v_sub_u32_e32 v6, 29, v6
	v_and_b32_e32 v7, 7, v7
	v_cmp_eq_u16_e32 vcc, 0, v3
	v_cndmask_b32_e32 v4, v4, v7, vcc
	v_cndmask_b32_e32 v3, v3, v6, vcc
	v_lshlrev_b32_e32 v6, 24, v5
	v_mov_b32_e32 v7, 0x3b800000
	v_lshlrev_b32_e32 v4, 20, v4
	v_and_b32_e32 v6, 0x80000000, v6
	v_lshl_add_u32 v3, v3, 23, v7
	v_or3_b32 v3, v6, v3, v4
.LBB35_1000:
	s_or_b64 exec, exec, s[6:7]
	s_nop 0
	v_mfma_f32_16x16x4f32 a[0:3], v2, v3, a[0:3]
	v_lshrrev_b32_e32 v3, 8, v9
	s_movk_i32 s4, 0x7f
	v_cmp_gt_i16_sdwa s[6:7], v3, s4 src0_sel:BYTE_0 src1_sel:DWORD
	s_mov_b64 s[4:5], 0
                                        ; implicit-def: $sgpr10
	s_and_saveexec_b64 s[8:9], s[6:7]
	s_xor_b64 s[6:7], exec, s[8:9]
	s_cbranch_execnz .LBB35_3049
; %bb.1001:
	s_or_saveexec_b64 s[6:7], s[6:7]
	v_mov_b32_e32 v2, s10
	s_xor_b64 exec, exec, s[6:7]
	s_cbranch_execnz .LBB35_3052
.LBB35_1002:
	s_or_b64 exec, exec, s[6:7]
	s_and_saveexec_b64 s[6:7], s[4:5]
	s_cbranch_execz .LBB35_1004
.LBB35_1003:
	v_bfe_u32 v2, v9, 8, 3
	v_ffbh_u32_e32 v6, v2
	v_min_u32_e32 v6, 32, v6
	v_lshrrev_b16_e32 v4, 3, v3
	v_subrev_u32_e32 v7, 28, v6
	v_and_b32_e32 v4, 15, v4
	v_lshlrev_b32_e32 v3, v7, v3
	v_sub_u32_e32 v6, 29, v6
	v_and_b32_e32 v3, 7, v3
	v_cmp_eq_u16_e32 vcc, 0, v4
	v_cndmask_b32_e32 v2, v2, v3, vcc
	v_cndmask_b32_e32 v3, v4, v6, vcc
	v_lshlrev_b32_e32 v4, 16, v9
	v_mov_b32_e32 v6, 0x3b800000
	v_lshlrev_b32_e32 v2, 20, v2
	v_and_b32_e32 v4, 0x80000000, v4
	v_lshl_add_u32 v3, v3, 23, v6
	v_or3_b32 v2, v4, v3, v2
.LBB35_1004:
	s_or_b64 exec, exec, s[6:7]
	v_lshrrev_b32_e32 v3, 8, v5
	s_movk_i32 s4, 0x7f
	v_cmp_gt_i16_sdwa s[6:7], v3, s4 src0_sel:BYTE_0 src1_sel:DWORD
	s_mov_b64 s[4:5], 0
                                        ; implicit-def: $sgpr10
	s_and_saveexec_b64 s[8:9], s[6:7]
	s_xor_b64 s[6:7], exec, s[8:9]
	s_cbranch_execnz .LBB35_3053
; %bb.1005:
	s_or_saveexec_b64 s[6:7], s[6:7]
	v_mov_b32_e32 v4, s10
	s_xor_b64 exec, exec, s[6:7]
	s_cbranch_execnz .LBB35_3056
.LBB35_1006:
	s_or_b64 exec, exec, s[6:7]
	s_and_saveexec_b64 s[6:7], s[4:5]
	s_cbranch_execz .LBB35_1008
.LBB35_1007:
	v_bfe_u32 v4, v5, 8, 3
	v_ffbh_u32_e32 v7, v4
	v_min_u32_e32 v7, 32, v7
	v_lshrrev_b16_e32 v6, 3, v3
	v_subrev_u32_e32 v8, 28, v7
	v_and_b32_e32 v6, 15, v6
	v_lshlrev_b32_e32 v3, v8, v3
	v_sub_u32_e32 v7, 29, v7
	v_and_b32_e32 v3, 7, v3
	v_cmp_eq_u16_e32 vcc, 0, v6
	v_cndmask_b32_e32 v3, v4, v3, vcc
	v_cndmask_b32_e32 v4, v6, v7, vcc
	v_lshlrev_b32_e32 v6, 16, v5
	v_mov_b32_e32 v7, 0x3b800000
	v_lshlrev_b32_e32 v3, 20, v3
	v_and_b32_e32 v6, 0x80000000, v6
	v_lshl_add_u32 v4, v4, 23, v7
	v_or3_b32 v4, v6, v4, v3
.LBB35_1008:
	s_or_b64 exec, exec, s[6:7]
	s_nop 0
	v_mfma_f32_16x16x4f32 a[0:3], v2, v4, a[0:3]
	s_movk_i32 s4, 0xff
	v_and_b32_sdwa v3, v9, s4 dst_sel:DWORD dst_unused:UNUSED_PAD src0_sel:WORD_1 src1_sel:DWORD
	s_movk_i32 s4, 0x7f
	v_cmp_lt_i16_e32 vcc, s4, v3
	s_mov_b64 s[4:5], 0
                                        ; implicit-def: $sgpr10
	s_and_saveexec_b64 s[6:7], vcc
	s_xor_b64 s[6:7], exec, s[6:7]
	s_cbranch_execnz .LBB35_3057
; %bb.1009:
	s_or_saveexec_b64 s[6:7], s[6:7]
	v_mov_b32_e32 v2, s10
	s_xor_b64 exec, exec, s[6:7]
	s_cbranch_execnz .LBB35_3060
.LBB35_1010:
	s_or_b64 exec, exec, s[6:7]
	s_and_saveexec_b64 s[6:7], s[4:5]
	s_cbranch_execz .LBB35_1012
.LBB35_1011:
	v_bfe_u32 v2, v9, 16, 3
	v_ffbh_u32_e32 v6, v2
	v_min_u32_e32 v6, 32, v6
	v_lshrrev_b32_e32 v3, 19, v9
	v_subrev_u32_e32 v7, 28, v6
	v_and_b32_e32 v3, 15, v3
	v_lshlrev_b32_sdwa v7, v7, v9 dst_sel:DWORD dst_unused:UNUSED_PAD src0_sel:DWORD src1_sel:WORD_1
	v_bfe_u32 v4, v9, 19, 4
	v_sub_u32_e32 v6, 29, v6
	v_and_b32_e32 v7, 7, v7
	v_cmp_eq_u16_e32 vcc, 0, v3
	v_cndmask_b32_e32 v2, v2, v7, vcc
	v_cndmask_b32_e32 v3, v4, v6, vcc
	v_lshlrev_b32_e32 v4, 8, v9
	v_mov_b32_e32 v6, 0x3b800000
	v_lshlrev_b32_e32 v2, 20, v2
	v_and_b32_e32 v4, 0x80000000, v4
	v_lshl_add_u32 v3, v3, 23, v6
	v_or3_b32 v2, v4, v3, v2
.LBB35_1012:
	s_or_b64 exec, exec, s[6:7]
	s_movk_i32 s4, 0xff
	v_and_b32_sdwa v3, v5, s4 dst_sel:DWORD dst_unused:UNUSED_PAD src0_sel:WORD_1 src1_sel:DWORD
	s_movk_i32 s4, 0x7f
	v_cmp_lt_i16_e32 vcc, s4, v3
	s_mov_b64 s[4:5], 0
                                        ; implicit-def: $sgpr10
	s_and_saveexec_b64 s[6:7], vcc
	s_xor_b64 s[6:7], exec, s[6:7]
	s_cbranch_execnz .LBB35_3061
; %bb.1013:
	s_or_saveexec_b64 s[6:7], s[6:7]
	v_mov_b32_e32 v4, s10
	s_xor_b64 exec, exec, s[6:7]
	s_cbranch_execnz .LBB35_3064
.LBB35_1014:
	s_or_b64 exec, exec, s[6:7]
	s_and_saveexec_b64 s[6:7], s[4:5]
	s_cbranch_execz .LBB35_1016
.LBB35_1015:
	v_bfe_u32 v3, v5, 16, 3
	v_ffbh_u32_e32 v7, v3
	v_min_u32_e32 v7, 32, v7
	v_lshrrev_b32_e32 v4, 19, v5
	v_subrev_u32_e32 v8, 28, v7
	v_and_b32_e32 v4, 15, v4
	v_lshlrev_b32_sdwa v8, v8, v5 dst_sel:DWORD dst_unused:UNUSED_PAD src0_sel:DWORD src1_sel:WORD_1
	v_bfe_u32 v6, v5, 19, 4
	v_sub_u32_e32 v7, 29, v7
	v_and_b32_e32 v8, 7, v8
	v_cmp_eq_u16_e32 vcc, 0, v4
	v_cndmask_b32_e32 v3, v3, v8, vcc
	v_cndmask_b32_e32 v4, v6, v7, vcc
	v_lshlrev_b32_e32 v6, 8, v5
	v_mov_b32_e32 v7, 0x3b800000
	v_lshlrev_b32_e32 v3, 20, v3
	v_and_b32_e32 v6, 0x80000000, v6
	v_lshl_add_u32 v4, v4, 23, v7
	v_or3_b32 v4, v6, v4, v3
.LBB35_1016:
	s_or_b64 exec, exec, s[6:7]
	s_nop 0
	v_mfma_f32_16x16x4f32 a[0:3], v2, v4, a[0:3]
	s_movk_i32 s4, 0x7f
	v_cmp_gt_i16_sdwa s[6:7], v9, s4 src0_sel:BYTE_3 src1_sel:DWORD
	s_mov_b64 s[4:5], 0
                                        ; implicit-def: $sgpr10
	s_and_saveexec_b64 s[8:9], s[6:7]
	s_xor_b64 s[6:7], exec, s[8:9]
	s_cbranch_execnz .LBB35_3065
; %bb.1017:
	s_or_saveexec_b64 s[6:7], s[6:7]
	v_mov_b32_e32 v2, s10
	s_xor_b64 exec, exec, s[6:7]
	s_cbranch_execnz .LBB35_3068
.LBB35_1018:
	s_or_b64 exec, exec, s[6:7]
	s_and_saveexec_b64 s[6:7], s[4:5]
	s_cbranch_execz .LBB35_1020
.LBB35_1019:
	v_bfe_u32 v2, v9, 24, 3
	v_ffbh_u32_e32 v7, v2
	v_min_u32_e32 v7, 32, v7
	v_lshrrev_b32_e32 v4, 27, v9
	v_subrev_u32_e32 v8, 28, v7
	v_and_b32_e32 v4, 15, v4
	v_lshlrev_b32_sdwa v8, v8, v9 dst_sel:DWORD dst_unused:UNUSED_PAD src0_sel:DWORD src1_sel:BYTE_3
	v_bfe_u32 v6, v9, 27, 4
	v_sub_u32_e32 v7, 29, v7
	v_and_b32_e32 v8, 7, v8
	v_cmp_eq_u16_e32 vcc, 0, v4
	v_cndmask_b32_e32 v2, v2, v8, vcc
	v_cndmask_b32_e32 v4, v6, v7, vcc
	v_mov_b32_e32 v6, 0x3b800000
	v_and_b32_e32 v3, 0x80000000, v9
	v_lshlrev_b32_e32 v2, 20, v2
	v_lshl_add_u32 v4, v4, 23, v6
	v_or3_b32 v2, v3, v4, v2
.LBB35_1020:
	s_or_b64 exec, exec, s[6:7]
	s_movk_i32 s4, 0x7f
	v_cmp_gt_i16_sdwa s[6:7], v5, s4 src0_sel:BYTE_3 src1_sel:DWORD
	s_mov_b64 s[4:5], 0
                                        ; implicit-def: $sgpr10
	s_and_saveexec_b64 s[8:9], s[6:7]
	s_xor_b64 s[6:7], exec, s[8:9]
	s_cbranch_execnz .LBB35_3069
; %bb.1021:
	s_or_saveexec_b64 s[6:7], s[6:7]
	v_mov_b32_e32 v3, s10
	s_xor_b64 exec, exec, s[6:7]
	s_cbranch_execnz .LBB35_3072
.LBB35_1022:
	s_or_b64 exec, exec, s[6:7]
	s_and_saveexec_b64 s[6:7], s[4:5]
	s_cbranch_execz .LBB35_1024
.LBB35_1023:
	v_bfe_u32 v3, v5, 24, 3
	v_ffbh_u32_e32 v8, v3
	v_min_u32_e32 v8, 32, v8
	v_lshrrev_b32_e32 v6, 27, v5
	v_subrev_u32_e32 v9, 28, v8
	v_and_b32_e32 v4, 0x80000000, v5
	v_and_b32_e32 v6, 15, v6
	v_bfe_u32 v7, v5, 27, 4
	v_lshlrev_b32_sdwa v5, v9, v5 dst_sel:DWORD dst_unused:UNUSED_PAD src0_sel:DWORD src1_sel:BYTE_3
	v_sub_u32_e32 v8, 29, v8
	v_and_b32_e32 v5, 7, v5
	v_cmp_eq_u16_e32 vcc, 0, v6
	v_cndmask_b32_e32 v3, v3, v5, vcc
	v_cndmask_b32_e32 v5, v7, v8, vcc
	v_mov_b32_e32 v6, 0x3b800000
	v_lshlrev_b32_e32 v3, 20, v3
	v_lshl_add_u32 v5, v5, 23, v6
	v_or3_b32 v3, v4, v5, v3
.LBB35_1024:
	s_or_b64 exec, exec, s[6:7]
	s_nop 0
	v_mfma_f32_16x16x4f32 a[0:3], v2, v3, a[0:3]
	s_movk_i32 s4, 0x7f
                                        ; implicit-def: $sgpr10
	s_nop 7
	s_nop 1
	flat_store_dwordx4 v[18:19], a[0:3] offset:944
	flat_load_dwordx4 v[20:23], v[0:1] offset:16
	s_nop 0
	flat_load_dwordx2 v[18:19], v[0:1] offset:32
	s_waitcnt vmcnt(0) lgkmcnt(0)
	flat_load_dwordx4 v[14:17], v[20:21] offset:32
	flat_load_dwordx4 v[6:9], v[20:21] offset:48
	;; [unrolled: 1-line block ×4, first 2 shown]
	s_waitcnt vmcnt(0) lgkmcnt(0)
	v_cmp_gt_i16_sdwa s[6:7], v14, s4 src0_sel:BYTE_0 src1_sel:DWORD
	s_mov_b64 s[4:5], 0
	s_and_saveexec_b64 s[8:9], s[6:7]
	s_xor_b64 s[6:7], exec, s[8:9]
	s_cbranch_execnz .LBB35_3073
; %bb.1025:
	s_or_saveexec_b64 s[6:7], s[6:7]
	v_mov_b32_e32 v20, s10
	s_xor_b64 exec, exec, s[6:7]
	s_cbranch_execnz .LBB35_3076
.LBB35_1026:
	s_or_b64 exec, exec, s[6:7]
	s_and_saveexec_b64 s[6:7], s[4:5]
	s_cbranch_execz .LBB35_1028
.LBB35_1027:
	v_and_b32_e32 v20, 7, v14
	v_ffbh_u32_e32 v22, v20
	v_min_u32_e32 v22, 32, v22
	v_lshrrev_b16_e32 v21, 3, v14
	v_subrev_u32_e32 v23, 28, v22
	v_and_b32_e32 v21, 15, v21
	v_lshlrev_b32_e32 v23, v23, v14
	v_sub_u32_e32 v22, 29, v22
	v_and_b32_e32 v23, 7, v23
	v_cmp_eq_u16_e32 vcc, 0, v21
	v_cndmask_b32_e32 v20, v20, v23, vcc
	v_cndmask_b32_e32 v21, v21, v22, vcc
	v_lshlrev_b32_e32 v22, 24, v14
	v_mov_b32_e32 v23, 0x3b800000
	v_lshlrev_b32_e32 v20, 20, v20
	v_and_b32_e32 v22, 0x80000000, v22
	v_lshl_add_u32 v21, v21, 23, v23
	v_or3_b32 v20, v22, v21, v20
.LBB35_1028:
	s_or_b64 exec, exec, s[6:7]
	s_movk_i32 s4, 0x7f
	v_cmp_gt_i16_sdwa s[6:7], v10, s4 src0_sel:BYTE_0 src1_sel:DWORD
	s_mov_b64 s[4:5], 0
                                        ; implicit-def: $sgpr10
	s_and_saveexec_b64 s[8:9], s[6:7]
	s_xor_b64 s[6:7], exec, s[8:9]
	s_cbranch_execnz .LBB35_3077
; %bb.1029:
	s_or_saveexec_b64 s[6:7], s[6:7]
	v_mov_b32_e32 v21, s10
	s_xor_b64 exec, exec, s[6:7]
	s_cbranch_execnz .LBB35_3080
.LBB35_1030:
	s_or_b64 exec, exec, s[6:7]
	s_and_saveexec_b64 s[6:7], s[4:5]
	s_cbranch_execz .LBB35_1032
.LBB35_1031:
	v_and_b32_e32 v21, 7, v10
	v_ffbh_u32_e32 v23, v21
	v_min_u32_e32 v23, 32, v23
	v_lshrrev_b16_e32 v22, 3, v10
	v_subrev_u32_e32 v24, 28, v23
	v_and_b32_e32 v22, 15, v22
	v_lshlrev_b32_e32 v24, v24, v10
	v_sub_u32_e32 v23, 29, v23
	v_and_b32_e32 v24, 7, v24
	v_cmp_eq_u16_e32 vcc, 0, v22
	v_cndmask_b32_e32 v21, v21, v24, vcc
	v_cndmask_b32_e32 v22, v22, v23, vcc
	v_lshlrev_b32_e32 v23, 24, v10
	v_mov_b32_e32 v24, 0x3b800000
	v_lshlrev_b32_e32 v21, 20, v21
	v_and_b32_e32 v23, 0x80000000, v23
	v_lshl_add_u32 v22, v22, 23, v24
	v_or3_b32 v21, v23, v22, v21
.LBB35_1032:
	s_or_b64 exec, exec, s[6:7]
	flat_load_dwordx4 a[0:3], v[18:19] offset:960
	s_movk_i32 s4, 0x7f
                                        ; implicit-def: $sgpr10
	s_waitcnt vmcnt(0) lgkmcnt(0)
	v_mfma_f32_16x16x4f32 a[0:3], v20, v21, a[0:3]
	v_lshrrev_b32_e32 v21, 8, v14
	v_cmp_gt_i16_sdwa s[6:7], v21, s4 src0_sel:BYTE_0 src1_sel:DWORD
	s_mov_b64 s[4:5], 0
	s_and_saveexec_b64 s[8:9], s[6:7]
	s_xor_b64 s[6:7], exec, s[8:9]
	s_cbranch_execnz .LBB35_3081
; %bb.1033:
	s_or_saveexec_b64 s[6:7], s[6:7]
	v_mov_b32_e32 v20, s10
	s_xor_b64 exec, exec, s[6:7]
	s_cbranch_execnz .LBB35_3084
.LBB35_1034:
	s_or_b64 exec, exec, s[6:7]
	s_and_saveexec_b64 s[6:7], s[4:5]
	s_cbranch_execz .LBB35_1036
.LBB35_1035:
	v_bfe_u32 v20, v14, 8, 3
	v_ffbh_u32_e32 v23, v20
	v_min_u32_e32 v23, 32, v23
	v_lshrrev_b16_e32 v22, 3, v21
	v_subrev_u32_e32 v24, 28, v23
	v_and_b32_e32 v22, 15, v22
	v_lshlrev_b32_e32 v21, v24, v21
	v_sub_u32_e32 v23, 29, v23
	v_and_b32_e32 v21, 7, v21
	v_cmp_eq_u16_e32 vcc, 0, v22
	v_cndmask_b32_e32 v20, v20, v21, vcc
	v_cndmask_b32_e32 v21, v22, v23, vcc
	v_lshlrev_b32_e32 v22, 16, v14
	v_mov_b32_e32 v23, 0x3b800000
	v_lshlrev_b32_e32 v20, 20, v20
	v_and_b32_e32 v22, 0x80000000, v22
	v_lshl_add_u32 v21, v21, 23, v23
	v_or3_b32 v20, v22, v21, v20
.LBB35_1036:
	s_or_b64 exec, exec, s[6:7]
	v_lshrrev_b32_e32 v21, 8, v10
	s_movk_i32 s4, 0x7f
	v_cmp_gt_i16_sdwa s[6:7], v21, s4 src0_sel:BYTE_0 src1_sel:DWORD
	s_mov_b64 s[4:5], 0
                                        ; implicit-def: $sgpr10
	s_and_saveexec_b64 s[8:9], s[6:7]
	s_xor_b64 s[6:7], exec, s[8:9]
	s_cbranch_execnz .LBB35_3085
; %bb.1037:
	s_or_saveexec_b64 s[6:7], s[6:7]
	v_mov_b32_e32 v22, s10
	s_xor_b64 exec, exec, s[6:7]
	s_cbranch_execnz .LBB35_3088
.LBB35_1038:
	s_or_b64 exec, exec, s[6:7]
	s_and_saveexec_b64 s[6:7], s[4:5]
	s_cbranch_execz .LBB35_1040
.LBB35_1039:
	v_bfe_u32 v22, v10, 8, 3
	v_ffbh_u32_e32 v24, v22
	v_min_u32_e32 v24, 32, v24
	v_lshrrev_b16_e32 v23, 3, v21
	v_subrev_u32_e32 v25, 28, v24
	v_and_b32_e32 v23, 15, v23
	v_lshlrev_b32_e32 v21, v25, v21
	v_sub_u32_e32 v24, 29, v24
	v_and_b32_e32 v21, 7, v21
	v_cmp_eq_u16_e32 vcc, 0, v23
	v_cndmask_b32_e32 v21, v22, v21, vcc
	v_cndmask_b32_e32 v22, v23, v24, vcc
	v_lshlrev_b32_e32 v23, 16, v10
	v_mov_b32_e32 v24, 0x3b800000
	v_lshlrev_b32_e32 v21, 20, v21
	v_and_b32_e32 v23, 0x80000000, v23
	v_lshl_add_u32 v22, v22, 23, v24
	v_or3_b32 v22, v23, v22, v21
.LBB35_1040:
	s_or_b64 exec, exec, s[6:7]
	s_nop 0
	v_mfma_f32_16x16x4f32 a[0:3], v20, v22, a[0:3]
	s_movk_i32 s4, 0xff
	v_and_b32_sdwa v21, v14, s4 dst_sel:DWORD dst_unused:UNUSED_PAD src0_sel:WORD_1 src1_sel:DWORD
	s_movk_i32 s4, 0x7f
	v_cmp_lt_i16_e32 vcc, s4, v21
	s_mov_b64 s[4:5], 0
                                        ; implicit-def: $sgpr10
	s_and_saveexec_b64 s[6:7], vcc
	s_xor_b64 s[6:7], exec, s[6:7]
	s_cbranch_execnz .LBB35_3089
; %bb.1041:
	s_or_saveexec_b64 s[6:7], s[6:7]
	v_mov_b32_e32 v20, s10
	s_xor_b64 exec, exec, s[6:7]
	s_cbranch_execnz .LBB35_3092
.LBB35_1042:
	s_or_b64 exec, exec, s[6:7]
	s_and_saveexec_b64 s[6:7], s[4:5]
	s_cbranch_execz .LBB35_1044
.LBB35_1043:
	v_bfe_u32 v20, v14, 16, 3
	v_ffbh_u32_e32 v23, v20
	v_min_u32_e32 v23, 32, v23
	v_lshrrev_b32_e32 v21, 19, v14
	v_subrev_u32_e32 v24, 28, v23
	v_and_b32_e32 v21, 15, v21
	v_lshlrev_b32_sdwa v24, v24, v14 dst_sel:DWORD dst_unused:UNUSED_PAD src0_sel:DWORD src1_sel:WORD_1
	v_bfe_u32 v22, v14, 19, 4
	v_sub_u32_e32 v23, 29, v23
	v_and_b32_e32 v24, 7, v24
	v_cmp_eq_u16_e32 vcc, 0, v21
	v_cndmask_b32_e32 v20, v20, v24, vcc
	v_cndmask_b32_e32 v21, v22, v23, vcc
	v_lshlrev_b32_e32 v22, 8, v14
	v_mov_b32_e32 v23, 0x3b800000
	v_lshlrev_b32_e32 v20, 20, v20
	v_and_b32_e32 v22, 0x80000000, v22
	v_lshl_add_u32 v21, v21, 23, v23
	v_or3_b32 v20, v22, v21, v20
.LBB35_1044:
	s_or_b64 exec, exec, s[6:7]
	s_movk_i32 s4, 0xff
	v_and_b32_sdwa v21, v10, s4 dst_sel:DWORD dst_unused:UNUSED_PAD src0_sel:WORD_1 src1_sel:DWORD
	s_movk_i32 s4, 0x7f
	v_cmp_lt_i16_e32 vcc, s4, v21
	s_mov_b64 s[4:5], 0
                                        ; implicit-def: $sgpr10
	s_and_saveexec_b64 s[6:7], vcc
	s_xor_b64 s[6:7], exec, s[6:7]
	s_cbranch_execnz .LBB35_3093
; %bb.1045:
	s_or_saveexec_b64 s[6:7], s[6:7]
	v_mov_b32_e32 v22, s10
	s_xor_b64 exec, exec, s[6:7]
	s_cbranch_execnz .LBB35_3096
.LBB35_1046:
	s_or_b64 exec, exec, s[6:7]
	s_and_saveexec_b64 s[6:7], s[4:5]
	s_cbranch_execz .LBB35_1048
.LBB35_1047:
	v_bfe_u32 v21, v10, 16, 3
	v_ffbh_u32_e32 v24, v21
	v_min_u32_e32 v24, 32, v24
	v_lshrrev_b32_e32 v22, 19, v10
	v_subrev_u32_e32 v25, 28, v24
	v_and_b32_e32 v22, 15, v22
	v_lshlrev_b32_sdwa v25, v25, v10 dst_sel:DWORD dst_unused:UNUSED_PAD src0_sel:DWORD src1_sel:WORD_1
	v_bfe_u32 v23, v10, 19, 4
	v_sub_u32_e32 v24, 29, v24
	v_and_b32_e32 v25, 7, v25
	v_cmp_eq_u16_e32 vcc, 0, v22
	v_cndmask_b32_e32 v21, v21, v25, vcc
	v_cndmask_b32_e32 v22, v23, v24, vcc
	v_lshlrev_b32_e32 v23, 8, v10
	v_mov_b32_e32 v24, 0x3b800000
	v_lshlrev_b32_e32 v21, 20, v21
	v_and_b32_e32 v23, 0x80000000, v23
	v_lshl_add_u32 v22, v22, 23, v24
	v_or3_b32 v22, v23, v22, v21
.LBB35_1048:
	s_or_b64 exec, exec, s[6:7]
	s_nop 0
	v_mfma_f32_16x16x4f32 a[0:3], v20, v22, a[0:3]
	s_movk_i32 s4, 0x7f
	v_cmp_gt_i16_sdwa s[6:7], v14, s4 src0_sel:BYTE_3 src1_sel:DWORD
	s_mov_b64 s[4:5], 0
                                        ; implicit-def: $sgpr10
	s_and_saveexec_b64 s[8:9], s[6:7]
	s_xor_b64 s[6:7], exec, s[8:9]
	s_cbranch_execnz .LBB35_3097
; %bb.1049:
	s_or_saveexec_b64 s[6:7], s[6:7]
	v_mov_b32_e32 v20, s10
	s_xor_b64 exec, exec, s[6:7]
	s_cbranch_execnz .LBB35_3100
.LBB35_1050:
	s_or_b64 exec, exec, s[6:7]
	s_and_saveexec_b64 s[6:7], s[4:5]
	s_cbranch_execz .LBB35_1052
.LBB35_1051:
	v_bfe_u32 v20, v14, 24, 3
	v_ffbh_u32_e32 v24, v20
	v_min_u32_e32 v24, 32, v24
	v_lshrrev_b32_e32 v22, 27, v14
	v_subrev_u32_e32 v25, 28, v24
	v_and_b32_e32 v21, 0x80000000, v14
	v_and_b32_e32 v22, 15, v22
	v_bfe_u32 v23, v14, 27, 4
	v_lshlrev_b32_sdwa v14, v25, v14 dst_sel:DWORD dst_unused:UNUSED_PAD src0_sel:DWORD src1_sel:BYTE_3
	v_sub_u32_e32 v24, 29, v24
	v_and_b32_e32 v14, 7, v14
	v_cmp_eq_u16_e32 vcc, 0, v22
	v_cndmask_b32_e32 v14, v20, v14, vcc
	v_cndmask_b32_e32 v20, v23, v24, vcc
	v_mov_b32_e32 v22, 0x3b800000
	v_lshlrev_b32_e32 v14, 20, v14
	v_lshl_add_u32 v20, v20, 23, v22
	v_or3_b32 v20, v21, v20, v14
.LBB35_1052:
	s_or_b64 exec, exec, s[6:7]
	s_movk_i32 s4, 0x7f
	v_cmp_gt_i16_sdwa s[6:7], v10, s4 src0_sel:BYTE_3 src1_sel:DWORD
	s_mov_b64 s[4:5], 0
                                        ; implicit-def: $sgpr10
	s_and_saveexec_b64 s[8:9], s[6:7]
	s_xor_b64 s[6:7], exec, s[8:9]
	s_cbranch_execnz .LBB35_3101
; %bb.1053:
	s_or_saveexec_b64 s[6:7], s[6:7]
	v_mov_b32_e32 v14, s10
	s_xor_b64 exec, exec, s[6:7]
	s_cbranch_execnz .LBB35_3104
.LBB35_1054:
	s_or_b64 exec, exec, s[6:7]
	s_and_saveexec_b64 s[6:7], s[4:5]
	s_cbranch_execz .LBB35_1056
.LBB35_1055:
	v_bfe_u32 v14, v10, 24, 3
	v_ffbh_u32_e32 v24, v14
	v_min_u32_e32 v24, 32, v24
	v_lshrrev_b32_e32 v22, 27, v10
	v_subrev_u32_e32 v25, 28, v24
	v_and_b32_e32 v21, 0x80000000, v10
	v_and_b32_e32 v22, 15, v22
	v_bfe_u32 v23, v10, 27, 4
	v_lshlrev_b32_sdwa v10, v25, v10 dst_sel:DWORD dst_unused:UNUSED_PAD src0_sel:DWORD src1_sel:BYTE_3
	v_sub_u32_e32 v24, 29, v24
	v_and_b32_e32 v10, 7, v10
	v_cmp_eq_u16_e32 vcc, 0, v22
	v_cndmask_b32_e32 v10, v14, v10, vcc
	v_cndmask_b32_e32 v14, v23, v24, vcc
	v_mov_b32_e32 v22, 0x3b800000
	v_lshlrev_b32_e32 v10, 20, v10
	v_lshl_add_u32 v14, v14, 23, v22
	v_or3_b32 v14, v21, v14, v10
.LBB35_1056:
	s_or_b64 exec, exec, s[6:7]
	s_nop 0
	v_mfma_f32_16x16x4f32 a[0:3], v20, v14, a[0:3]
	s_movk_i32 s4, 0x7f
	v_cmp_gt_i16_sdwa s[6:7], v15, s4 src0_sel:BYTE_0 src1_sel:DWORD
	s_mov_b64 s[4:5], 0
                                        ; implicit-def: $sgpr10
	s_and_saveexec_b64 s[8:9], s[6:7]
	s_xor_b64 s[6:7], exec, s[8:9]
	s_cbranch_execnz .LBB35_3105
; %bb.1057:
	s_or_saveexec_b64 s[6:7], s[6:7]
	v_mov_b32_e32 v10, s10
	s_xor_b64 exec, exec, s[6:7]
	s_cbranch_execnz .LBB35_3108
.LBB35_1058:
	s_or_b64 exec, exec, s[6:7]
	s_and_saveexec_b64 s[6:7], s[4:5]
	s_cbranch_execz .LBB35_1060
.LBB35_1059:
	v_and_b32_e32 v10, 7, v15
	v_ffbh_u32_e32 v20, v10
	v_min_u32_e32 v20, 32, v20
	v_lshrrev_b16_e32 v14, 3, v15
	v_subrev_u32_e32 v21, 28, v20
	v_and_b32_e32 v14, 15, v14
	v_lshlrev_b32_e32 v21, v21, v15
	v_sub_u32_e32 v20, 29, v20
	v_and_b32_e32 v21, 7, v21
	v_cmp_eq_u16_e32 vcc, 0, v14
	v_cndmask_b32_e32 v10, v10, v21, vcc
	v_cndmask_b32_e32 v14, v14, v20, vcc
	v_lshlrev_b32_e32 v20, 24, v15
	v_mov_b32_e32 v21, 0x3b800000
	v_lshlrev_b32_e32 v10, 20, v10
	v_and_b32_e32 v20, 0x80000000, v20
	v_lshl_add_u32 v14, v14, 23, v21
	v_or3_b32 v10, v20, v14, v10
.LBB35_1060:
	s_or_b64 exec, exec, s[6:7]
	s_movk_i32 s4, 0x7f
	v_cmp_gt_i16_sdwa s[6:7], v11, s4 src0_sel:BYTE_0 src1_sel:DWORD
	s_mov_b64 s[4:5], 0
                                        ; implicit-def: $sgpr10
	s_and_saveexec_b64 s[8:9], s[6:7]
	s_xor_b64 s[6:7], exec, s[8:9]
	s_cbranch_execnz .LBB35_3109
; %bb.1061:
	s_or_saveexec_b64 s[6:7], s[6:7]
	v_mov_b32_e32 v14, s10
	s_xor_b64 exec, exec, s[6:7]
	s_cbranch_execnz .LBB35_3112
.LBB35_1062:
	s_or_b64 exec, exec, s[6:7]
	s_and_saveexec_b64 s[6:7], s[4:5]
	s_cbranch_execz .LBB35_1064
.LBB35_1063:
	v_and_b32_e32 v14, 7, v11
	v_ffbh_u32_e32 v21, v14
	v_min_u32_e32 v21, 32, v21
	v_lshrrev_b16_e32 v20, 3, v11
	v_subrev_u32_e32 v22, 28, v21
	v_and_b32_e32 v20, 15, v20
	v_lshlrev_b32_e32 v22, v22, v11
	v_sub_u32_e32 v21, 29, v21
	v_and_b32_e32 v22, 7, v22
	v_cmp_eq_u16_e32 vcc, 0, v20
	v_cndmask_b32_e32 v14, v14, v22, vcc
	v_cndmask_b32_e32 v20, v20, v21, vcc
	v_lshlrev_b32_e32 v21, 24, v11
	v_mov_b32_e32 v22, 0x3b800000
	v_lshlrev_b32_e32 v14, 20, v14
	v_and_b32_e32 v21, 0x80000000, v21
	v_lshl_add_u32 v20, v20, 23, v22
	v_or3_b32 v14, v21, v20, v14
.LBB35_1064:
	s_or_b64 exec, exec, s[6:7]
	s_nop 0
	v_mfma_f32_16x16x4f32 a[0:3], v10, v14, a[0:3]
	v_lshrrev_b32_e32 v14, 8, v15
	s_movk_i32 s4, 0x7f
	v_cmp_gt_i16_sdwa s[6:7], v14, s4 src0_sel:BYTE_0 src1_sel:DWORD
	s_mov_b64 s[4:5], 0
                                        ; implicit-def: $sgpr10
	s_and_saveexec_b64 s[8:9], s[6:7]
	s_xor_b64 s[6:7], exec, s[8:9]
	s_cbranch_execnz .LBB35_3113
; %bb.1065:
	s_or_saveexec_b64 s[6:7], s[6:7]
	v_mov_b32_e32 v10, s10
	s_xor_b64 exec, exec, s[6:7]
	s_cbranch_execnz .LBB35_3116
.LBB35_1066:
	s_or_b64 exec, exec, s[6:7]
	s_and_saveexec_b64 s[6:7], s[4:5]
	s_cbranch_execz .LBB35_1068
.LBB35_1067:
	v_bfe_u32 v10, v15, 8, 3
	v_ffbh_u32_e32 v21, v10
	v_min_u32_e32 v21, 32, v21
	v_lshrrev_b16_e32 v20, 3, v14
	v_subrev_u32_e32 v22, 28, v21
	v_and_b32_e32 v20, 15, v20
	v_lshlrev_b32_e32 v14, v22, v14
	v_sub_u32_e32 v21, 29, v21
	v_and_b32_e32 v14, 7, v14
	v_cmp_eq_u16_e32 vcc, 0, v20
	v_cndmask_b32_e32 v10, v10, v14, vcc
	v_cndmask_b32_e32 v14, v20, v21, vcc
	v_lshlrev_b32_e32 v20, 16, v15
	v_mov_b32_e32 v21, 0x3b800000
	v_lshlrev_b32_e32 v10, 20, v10
	v_and_b32_e32 v20, 0x80000000, v20
	v_lshl_add_u32 v14, v14, 23, v21
	v_or3_b32 v10, v20, v14, v10
.LBB35_1068:
	s_or_b64 exec, exec, s[6:7]
	v_lshrrev_b32_e32 v14, 8, v11
	s_movk_i32 s4, 0x7f
	v_cmp_gt_i16_sdwa s[6:7], v14, s4 src0_sel:BYTE_0 src1_sel:DWORD
	s_mov_b64 s[4:5], 0
                                        ; implicit-def: $sgpr10
	s_and_saveexec_b64 s[8:9], s[6:7]
	s_xor_b64 s[6:7], exec, s[8:9]
	s_cbranch_execnz .LBB35_3117
; %bb.1069:
	s_or_saveexec_b64 s[6:7], s[6:7]
	v_mov_b32_e32 v20, s10
	s_xor_b64 exec, exec, s[6:7]
	s_cbranch_execnz .LBB35_3120
.LBB35_1070:
	s_or_b64 exec, exec, s[6:7]
	s_and_saveexec_b64 s[6:7], s[4:5]
	s_cbranch_execz .LBB35_1072
.LBB35_1071:
	v_bfe_u32 v20, v11, 8, 3
	v_ffbh_u32_e32 v22, v20
	v_min_u32_e32 v22, 32, v22
	v_lshrrev_b16_e32 v21, 3, v14
	v_subrev_u32_e32 v23, 28, v22
	v_and_b32_e32 v21, 15, v21
	v_lshlrev_b32_e32 v14, v23, v14
	v_sub_u32_e32 v22, 29, v22
	v_and_b32_e32 v14, 7, v14
	v_cmp_eq_u16_e32 vcc, 0, v21
	v_cndmask_b32_e32 v14, v20, v14, vcc
	v_cndmask_b32_e32 v20, v21, v22, vcc
	v_lshlrev_b32_e32 v21, 16, v11
	v_mov_b32_e32 v22, 0x3b800000
	v_lshlrev_b32_e32 v14, 20, v14
	v_and_b32_e32 v21, 0x80000000, v21
	v_lshl_add_u32 v20, v20, 23, v22
	v_or3_b32 v20, v21, v20, v14
.LBB35_1072:
	s_or_b64 exec, exec, s[6:7]
	s_nop 0
	v_mfma_f32_16x16x4f32 a[0:3], v10, v20, a[0:3]
	s_movk_i32 s4, 0xff
	v_and_b32_sdwa v14, v15, s4 dst_sel:DWORD dst_unused:UNUSED_PAD src0_sel:WORD_1 src1_sel:DWORD
	s_movk_i32 s4, 0x7f
	v_cmp_lt_i16_e32 vcc, s4, v14
	s_mov_b64 s[4:5], 0
                                        ; implicit-def: $sgpr10
	s_and_saveexec_b64 s[6:7], vcc
	s_xor_b64 s[6:7], exec, s[6:7]
	s_cbranch_execnz .LBB35_3121
; %bb.1073:
	s_or_saveexec_b64 s[6:7], s[6:7]
	v_mov_b32_e32 v10, s10
	s_xor_b64 exec, exec, s[6:7]
	s_cbranch_execnz .LBB35_3124
.LBB35_1074:
	s_or_b64 exec, exec, s[6:7]
	s_and_saveexec_b64 s[6:7], s[4:5]
	s_cbranch_execz .LBB35_1076
.LBB35_1075:
	v_bfe_u32 v10, v15, 16, 3
	v_ffbh_u32_e32 v21, v10
	v_min_u32_e32 v21, 32, v21
	v_lshrrev_b32_e32 v14, 19, v15
	v_subrev_u32_e32 v22, 28, v21
	v_and_b32_e32 v14, 15, v14
	v_lshlrev_b32_sdwa v22, v22, v15 dst_sel:DWORD dst_unused:UNUSED_PAD src0_sel:DWORD src1_sel:WORD_1
	v_bfe_u32 v20, v15, 19, 4
	v_sub_u32_e32 v21, 29, v21
	v_and_b32_e32 v22, 7, v22
	v_cmp_eq_u16_e32 vcc, 0, v14
	v_cndmask_b32_e32 v10, v10, v22, vcc
	v_cndmask_b32_e32 v14, v20, v21, vcc
	v_lshlrev_b32_e32 v20, 8, v15
	v_mov_b32_e32 v21, 0x3b800000
	v_lshlrev_b32_e32 v10, 20, v10
	v_and_b32_e32 v20, 0x80000000, v20
	v_lshl_add_u32 v14, v14, 23, v21
	v_or3_b32 v10, v20, v14, v10
.LBB35_1076:
	s_or_b64 exec, exec, s[6:7]
	s_movk_i32 s4, 0xff
	v_and_b32_sdwa v14, v11, s4 dst_sel:DWORD dst_unused:UNUSED_PAD src0_sel:WORD_1 src1_sel:DWORD
	s_movk_i32 s4, 0x7f
	v_cmp_lt_i16_e32 vcc, s4, v14
	s_mov_b64 s[4:5], 0
                                        ; implicit-def: $sgpr10
	s_and_saveexec_b64 s[6:7], vcc
	s_xor_b64 s[6:7], exec, s[6:7]
	s_cbranch_execnz .LBB35_3125
; %bb.1077:
	s_or_saveexec_b64 s[6:7], s[6:7]
	v_mov_b32_e32 v20, s10
	s_xor_b64 exec, exec, s[6:7]
	s_cbranch_execnz .LBB35_3128
.LBB35_1078:
	s_or_b64 exec, exec, s[6:7]
	s_and_saveexec_b64 s[6:7], s[4:5]
	s_cbranch_execz .LBB35_1080
.LBB35_1079:
	v_bfe_u32 v14, v11, 16, 3
	v_ffbh_u32_e32 v22, v14
	v_min_u32_e32 v22, 32, v22
	v_lshrrev_b32_e32 v20, 19, v11
	v_subrev_u32_e32 v23, 28, v22
	v_and_b32_e32 v20, 15, v20
	v_lshlrev_b32_sdwa v23, v23, v11 dst_sel:DWORD dst_unused:UNUSED_PAD src0_sel:DWORD src1_sel:WORD_1
	v_bfe_u32 v21, v11, 19, 4
	v_sub_u32_e32 v22, 29, v22
	v_and_b32_e32 v23, 7, v23
	v_cmp_eq_u16_e32 vcc, 0, v20
	v_cndmask_b32_e32 v14, v14, v23, vcc
	v_cndmask_b32_e32 v20, v21, v22, vcc
	v_lshlrev_b32_e32 v21, 8, v11
	v_mov_b32_e32 v22, 0x3b800000
	v_lshlrev_b32_e32 v14, 20, v14
	v_and_b32_e32 v21, 0x80000000, v21
	v_lshl_add_u32 v20, v20, 23, v22
	v_or3_b32 v20, v21, v20, v14
.LBB35_1080:
	s_or_b64 exec, exec, s[6:7]
	s_nop 0
	v_mfma_f32_16x16x4f32 a[0:3], v10, v20, a[0:3]
	s_movk_i32 s4, 0x7f
	v_cmp_gt_i16_sdwa s[6:7], v15, s4 src0_sel:BYTE_3 src1_sel:DWORD
	s_mov_b64 s[4:5], 0
                                        ; implicit-def: $sgpr10
	s_and_saveexec_b64 s[8:9], s[6:7]
	s_xor_b64 s[6:7], exec, s[8:9]
	s_cbranch_execnz .LBB35_3129
; %bb.1081:
	s_or_saveexec_b64 s[6:7], s[6:7]
	v_mov_b32_e32 v10, s10
	s_xor_b64 exec, exec, s[6:7]
	s_cbranch_execnz .LBB35_3132
.LBB35_1082:
	s_or_b64 exec, exec, s[6:7]
	s_and_saveexec_b64 s[6:7], s[4:5]
	s_cbranch_execz .LBB35_1084
.LBB35_1083:
	v_bfe_u32 v10, v15, 24, 3
	v_ffbh_u32_e32 v22, v10
	v_min_u32_e32 v22, 32, v22
	v_lshrrev_b32_e32 v20, 27, v15
	v_subrev_u32_e32 v23, 28, v22
	v_and_b32_e32 v14, 0x80000000, v15
	v_and_b32_e32 v20, 15, v20
	v_bfe_u32 v21, v15, 27, 4
	v_lshlrev_b32_sdwa v15, v23, v15 dst_sel:DWORD dst_unused:UNUSED_PAD src0_sel:DWORD src1_sel:BYTE_3
	v_sub_u32_e32 v22, 29, v22
	v_and_b32_e32 v15, 7, v15
	v_cmp_eq_u16_e32 vcc, 0, v20
	v_cndmask_b32_e32 v10, v10, v15, vcc
	v_cndmask_b32_e32 v15, v21, v22, vcc
	v_mov_b32_e32 v20, 0x3b800000
	v_lshlrev_b32_e32 v10, 20, v10
	v_lshl_add_u32 v15, v15, 23, v20
	v_or3_b32 v10, v14, v15, v10
.LBB35_1084:
	s_or_b64 exec, exec, s[6:7]
	s_movk_i32 s4, 0x7f
	v_cmp_gt_i16_sdwa s[6:7], v11, s4 src0_sel:BYTE_3 src1_sel:DWORD
	s_mov_b64 s[4:5], 0
                                        ; implicit-def: $sgpr10
	s_and_saveexec_b64 s[8:9], s[6:7]
	s_xor_b64 s[6:7], exec, s[8:9]
	s_cbranch_execnz .LBB35_3133
; %bb.1085:
	s_or_saveexec_b64 s[6:7], s[6:7]
	v_mov_b32_e32 v14, s10
	s_xor_b64 exec, exec, s[6:7]
	s_cbranch_execnz .LBB35_3136
.LBB35_1086:
	s_or_b64 exec, exec, s[6:7]
	s_and_saveexec_b64 s[6:7], s[4:5]
	s_cbranch_execz .LBB35_1088
.LBB35_1087:
	v_bfe_u32 v14, v11, 24, 3
	v_ffbh_u32_e32 v22, v14
	v_min_u32_e32 v22, 32, v22
	v_lshrrev_b32_e32 v20, 27, v11
	v_subrev_u32_e32 v23, 28, v22
	v_and_b32_e32 v15, 0x80000000, v11
	v_and_b32_e32 v20, 15, v20
	v_bfe_u32 v21, v11, 27, 4
	v_lshlrev_b32_sdwa v11, v23, v11 dst_sel:DWORD dst_unused:UNUSED_PAD src0_sel:DWORD src1_sel:BYTE_3
	v_sub_u32_e32 v22, 29, v22
	v_and_b32_e32 v11, 7, v11
	v_cmp_eq_u16_e32 vcc, 0, v20
	v_cndmask_b32_e32 v11, v14, v11, vcc
	v_cndmask_b32_e32 v14, v21, v22, vcc
	v_mov_b32_e32 v20, 0x3b800000
	v_lshlrev_b32_e32 v11, 20, v11
	v_lshl_add_u32 v14, v14, 23, v20
	v_or3_b32 v14, v15, v14, v11
.LBB35_1088:
	s_or_b64 exec, exec, s[6:7]
	s_nop 0
	v_mfma_f32_16x16x4f32 a[0:3], v10, v14, a[0:3]
	s_movk_i32 s4, 0x7f
	v_cmp_gt_i16_sdwa s[6:7], v16, s4 src0_sel:BYTE_0 src1_sel:DWORD
	s_mov_b64 s[4:5], 0
                                        ; implicit-def: $sgpr10
	s_and_saveexec_b64 s[8:9], s[6:7]
	s_xor_b64 s[6:7], exec, s[8:9]
	s_cbranch_execnz .LBB35_3137
; %bb.1089:
	s_or_saveexec_b64 s[6:7], s[6:7]
	v_mov_b32_e32 v10, s10
	s_xor_b64 exec, exec, s[6:7]
	s_cbranch_execnz .LBB35_3140
.LBB35_1090:
	s_or_b64 exec, exec, s[6:7]
	s_and_saveexec_b64 s[6:7], s[4:5]
	s_cbranch_execz .LBB35_1092
.LBB35_1091:
	v_and_b32_e32 v10, 7, v16
	v_ffbh_u32_e32 v14, v10
	v_min_u32_e32 v14, 32, v14
	v_lshrrev_b16_e32 v11, 3, v16
	v_subrev_u32_e32 v15, 28, v14
	v_and_b32_e32 v11, 15, v11
	v_lshlrev_b32_e32 v15, v15, v16
	v_sub_u32_e32 v14, 29, v14
	v_and_b32_e32 v15, 7, v15
	v_cmp_eq_u16_e32 vcc, 0, v11
	v_cndmask_b32_e32 v10, v10, v15, vcc
	v_cndmask_b32_e32 v11, v11, v14, vcc
	v_lshlrev_b32_e32 v14, 24, v16
	v_mov_b32_e32 v15, 0x3b800000
	v_lshlrev_b32_e32 v10, 20, v10
	v_and_b32_e32 v14, 0x80000000, v14
	v_lshl_add_u32 v11, v11, 23, v15
	v_or3_b32 v10, v14, v11, v10
.LBB35_1092:
	s_or_b64 exec, exec, s[6:7]
	s_movk_i32 s4, 0x7f
	v_cmp_gt_i16_sdwa s[6:7], v12, s4 src0_sel:BYTE_0 src1_sel:DWORD
	s_mov_b64 s[4:5], 0
                                        ; implicit-def: $sgpr10
	s_and_saveexec_b64 s[8:9], s[6:7]
	s_xor_b64 s[6:7], exec, s[8:9]
	s_cbranch_execnz .LBB35_3141
; %bb.1093:
	s_or_saveexec_b64 s[6:7], s[6:7]
	v_mov_b32_e32 v11, s10
	s_xor_b64 exec, exec, s[6:7]
	s_cbranch_execnz .LBB35_3144
.LBB35_1094:
	s_or_b64 exec, exec, s[6:7]
	s_and_saveexec_b64 s[6:7], s[4:5]
	s_cbranch_execz .LBB35_1096
.LBB35_1095:
	v_and_b32_e32 v11, 7, v12
	v_ffbh_u32_e32 v15, v11
	v_min_u32_e32 v15, 32, v15
	v_lshrrev_b16_e32 v14, 3, v12
	v_subrev_u32_e32 v20, 28, v15
	v_and_b32_e32 v14, 15, v14
	v_lshlrev_b32_e32 v20, v20, v12
	v_sub_u32_e32 v15, 29, v15
	v_and_b32_e32 v20, 7, v20
	v_cmp_eq_u16_e32 vcc, 0, v14
	v_cndmask_b32_e32 v11, v11, v20, vcc
	v_cndmask_b32_e32 v14, v14, v15, vcc
	v_lshlrev_b32_e32 v15, 24, v12
	v_mov_b32_e32 v20, 0x3b800000
	v_lshlrev_b32_e32 v11, 20, v11
	v_and_b32_e32 v15, 0x80000000, v15
	v_lshl_add_u32 v14, v14, 23, v20
	v_or3_b32 v11, v15, v14, v11
.LBB35_1096:
	s_or_b64 exec, exec, s[6:7]
	s_nop 0
	v_mfma_f32_16x16x4f32 a[0:3], v10, v11, a[0:3]
	v_lshrrev_b32_e32 v11, 8, v16
	s_movk_i32 s4, 0x7f
	v_cmp_gt_i16_sdwa s[6:7], v11, s4 src0_sel:BYTE_0 src1_sel:DWORD
	s_mov_b64 s[4:5], 0
                                        ; implicit-def: $sgpr10
	s_and_saveexec_b64 s[8:9], s[6:7]
	s_xor_b64 s[6:7], exec, s[8:9]
	s_cbranch_execnz .LBB35_3145
; %bb.1097:
	s_or_saveexec_b64 s[6:7], s[6:7]
	v_mov_b32_e32 v10, s10
	s_xor_b64 exec, exec, s[6:7]
	s_cbranch_execnz .LBB35_3148
.LBB35_1098:
	s_or_b64 exec, exec, s[6:7]
	s_and_saveexec_b64 s[6:7], s[4:5]
	s_cbranch_execz .LBB35_1100
.LBB35_1099:
	v_bfe_u32 v10, v16, 8, 3
	v_ffbh_u32_e32 v15, v10
	v_min_u32_e32 v15, 32, v15
	v_lshrrev_b16_e32 v14, 3, v11
	v_subrev_u32_e32 v20, 28, v15
	v_and_b32_e32 v14, 15, v14
	v_lshlrev_b32_e32 v11, v20, v11
	v_sub_u32_e32 v15, 29, v15
	v_and_b32_e32 v11, 7, v11
	v_cmp_eq_u16_e32 vcc, 0, v14
	v_cndmask_b32_e32 v10, v10, v11, vcc
	v_cndmask_b32_e32 v11, v14, v15, vcc
	v_lshlrev_b32_e32 v14, 16, v16
	v_mov_b32_e32 v15, 0x3b800000
	v_lshlrev_b32_e32 v10, 20, v10
	v_and_b32_e32 v14, 0x80000000, v14
	v_lshl_add_u32 v11, v11, 23, v15
	v_or3_b32 v10, v14, v11, v10
.LBB35_1100:
	s_or_b64 exec, exec, s[6:7]
	v_lshrrev_b32_e32 v11, 8, v12
	s_movk_i32 s4, 0x7f
	v_cmp_gt_i16_sdwa s[6:7], v11, s4 src0_sel:BYTE_0 src1_sel:DWORD
	s_mov_b64 s[4:5], 0
                                        ; implicit-def: $sgpr10
	s_and_saveexec_b64 s[8:9], s[6:7]
	s_xor_b64 s[6:7], exec, s[8:9]
	s_cbranch_execnz .LBB35_3149
; %bb.1101:
	s_or_saveexec_b64 s[6:7], s[6:7]
	v_mov_b32_e32 v14, s10
	s_xor_b64 exec, exec, s[6:7]
	s_cbranch_execnz .LBB35_3152
.LBB35_1102:
	s_or_b64 exec, exec, s[6:7]
	s_and_saveexec_b64 s[6:7], s[4:5]
	s_cbranch_execz .LBB35_1104
.LBB35_1103:
	v_bfe_u32 v14, v12, 8, 3
	v_ffbh_u32_e32 v20, v14
	v_min_u32_e32 v20, 32, v20
	v_lshrrev_b16_e32 v15, 3, v11
	v_subrev_u32_e32 v21, 28, v20
	v_and_b32_e32 v15, 15, v15
	v_lshlrev_b32_e32 v11, v21, v11
	v_sub_u32_e32 v20, 29, v20
	v_and_b32_e32 v11, 7, v11
	v_cmp_eq_u16_e32 vcc, 0, v15
	v_cndmask_b32_e32 v11, v14, v11, vcc
	v_cndmask_b32_e32 v14, v15, v20, vcc
	v_lshlrev_b32_e32 v15, 16, v12
	v_mov_b32_e32 v20, 0x3b800000
	v_lshlrev_b32_e32 v11, 20, v11
	v_and_b32_e32 v15, 0x80000000, v15
	v_lshl_add_u32 v14, v14, 23, v20
	v_or3_b32 v14, v15, v14, v11
.LBB35_1104:
	s_or_b64 exec, exec, s[6:7]
	s_nop 0
	v_mfma_f32_16x16x4f32 a[0:3], v10, v14, a[0:3]
	s_movk_i32 s4, 0xff
	v_and_b32_sdwa v11, v16, s4 dst_sel:DWORD dst_unused:UNUSED_PAD src0_sel:WORD_1 src1_sel:DWORD
	s_movk_i32 s4, 0x7f
	v_cmp_lt_i16_e32 vcc, s4, v11
	s_mov_b64 s[4:5], 0
                                        ; implicit-def: $sgpr10
	s_and_saveexec_b64 s[6:7], vcc
	s_xor_b64 s[6:7], exec, s[6:7]
	s_cbranch_execnz .LBB35_3153
; %bb.1105:
	s_or_saveexec_b64 s[6:7], s[6:7]
	v_mov_b32_e32 v10, s10
	s_xor_b64 exec, exec, s[6:7]
	s_cbranch_execnz .LBB35_3156
.LBB35_1106:
	s_or_b64 exec, exec, s[6:7]
	s_and_saveexec_b64 s[6:7], s[4:5]
	s_cbranch_execz .LBB35_1108
.LBB35_1107:
	v_bfe_u32 v10, v16, 16, 3
	v_ffbh_u32_e32 v15, v10
	v_min_u32_e32 v15, 32, v15
	v_lshrrev_b32_e32 v11, 19, v16
	v_subrev_u32_e32 v20, 28, v15
	v_and_b32_e32 v11, 15, v11
	v_lshlrev_b32_sdwa v20, v20, v16 dst_sel:DWORD dst_unused:UNUSED_PAD src0_sel:DWORD src1_sel:WORD_1
	v_bfe_u32 v14, v16, 19, 4
	v_sub_u32_e32 v15, 29, v15
	v_and_b32_e32 v20, 7, v20
	v_cmp_eq_u16_e32 vcc, 0, v11
	v_cndmask_b32_e32 v10, v10, v20, vcc
	v_cndmask_b32_e32 v11, v14, v15, vcc
	v_lshlrev_b32_e32 v14, 8, v16
	v_mov_b32_e32 v15, 0x3b800000
	v_lshlrev_b32_e32 v10, 20, v10
	v_and_b32_e32 v14, 0x80000000, v14
	v_lshl_add_u32 v11, v11, 23, v15
	v_or3_b32 v10, v14, v11, v10
.LBB35_1108:
	s_or_b64 exec, exec, s[6:7]
	s_movk_i32 s4, 0xff
	v_and_b32_sdwa v11, v12, s4 dst_sel:DWORD dst_unused:UNUSED_PAD src0_sel:WORD_1 src1_sel:DWORD
	s_movk_i32 s4, 0x7f
	v_cmp_lt_i16_e32 vcc, s4, v11
	s_mov_b64 s[4:5], 0
                                        ; implicit-def: $sgpr10
	s_and_saveexec_b64 s[6:7], vcc
	s_xor_b64 s[6:7], exec, s[6:7]
	s_cbranch_execnz .LBB35_3157
; %bb.1109:
	s_or_saveexec_b64 s[6:7], s[6:7]
	v_mov_b32_e32 v14, s10
	s_xor_b64 exec, exec, s[6:7]
	s_cbranch_execnz .LBB35_3160
.LBB35_1110:
	s_or_b64 exec, exec, s[6:7]
	s_and_saveexec_b64 s[6:7], s[4:5]
	s_cbranch_execz .LBB35_1112
.LBB35_1111:
	v_bfe_u32 v11, v12, 16, 3
	v_ffbh_u32_e32 v20, v11
	v_min_u32_e32 v20, 32, v20
	v_lshrrev_b32_e32 v14, 19, v12
	v_subrev_u32_e32 v21, 28, v20
	v_and_b32_e32 v14, 15, v14
	v_lshlrev_b32_sdwa v21, v21, v12 dst_sel:DWORD dst_unused:UNUSED_PAD src0_sel:DWORD src1_sel:WORD_1
	v_bfe_u32 v15, v12, 19, 4
	v_sub_u32_e32 v20, 29, v20
	v_and_b32_e32 v21, 7, v21
	v_cmp_eq_u16_e32 vcc, 0, v14
	v_cndmask_b32_e32 v11, v11, v21, vcc
	v_cndmask_b32_e32 v14, v15, v20, vcc
	v_lshlrev_b32_e32 v15, 8, v12
	v_mov_b32_e32 v20, 0x3b800000
	v_lshlrev_b32_e32 v11, 20, v11
	v_and_b32_e32 v15, 0x80000000, v15
	v_lshl_add_u32 v14, v14, 23, v20
	v_or3_b32 v14, v15, v14, v11
.LBB35_1112:
	s_or_b64 exec, exec, s[6:7]
	s_nop 0
	v_mfma_f32_16x16x4f32 a[0:3], v10, v14, a[0:3]
	s_movk_i32 s4, 0x7f
	v_cmp_gt_i16_sdwa s[6:7], v16, s4 src0_sel:BYTE_3 src1_sel:DWORD
	s_mov_b64 s[4:5], 0
                                        ; implicit-def: $sgpr10
	s_and_saveexec_b64 s[8:9], s[6:7]
	s_xor_b64 s[6:7], exec, s[8:9]
	s_cbranch_execnz .LBB35_3161
; %bb.1113:
	s_or_saveexec_b64 s[6:7], s[6:7]
	v_mov_b32_e32 v10, s10
	s_xor_b64 exec, exec, s[6:7]
	s_cbranch_execnz .LBB35_3164
.LBB35_1114:
	s_or_b64 exec, exec, s[6:7]
	s_and_saveexec_b64 s[6:7], s[4:5]
	s_cbranch_execz .LBB35_1116
.LBB35_1115:
	v_bfe_u32 v10, v16, 24, 3
	v_ffbh_u32_e32 v20, v10
	v_min_u32_e32 v20, 32, v20
	v_lshrrev_b32_e32 v14, 27, v16
	v_subrev_u32_e32 v21, 28, v20
	v_and_b32_e32 v11, 0x80000000, v16
	v_and_b32_e32 v14, 15, v14
	v_bfe_u32 v15, v16, 27, 4
	v_lshlrev_b32_sdwa v16, v21, v16 dst_sel:DWORD dst_unused:UNUSED_PAD src0_sel:DWORD src1_sel:BYTE_3
	v_sub_u32_e32 v20, 29, v20
	v_and_b32_e32 v16, 7, v16
	v_cmp_eq_u16_e32 vcc, 0, v14
	v_cndmask_b32_e32 v10, v10, v16, vcc
	v_cndmask_b32_e32 v14, v15, v20, vcc
	v_mov_b32_e32 v15, 0x3b800000
	v_lshlrev_b32_e32 v10, 20, v10
	v_lshl_add_u32 v14, v14, 23, v15
	v_or3_b32 v10, v11, v14, v10
.LBB35_1116:
	s_or_b64 exec, exec, s[6:7]
	s_movk_i32 s4, 0x7f
	v_cmp_gt_i16_sdwa s[6:7], v12, s4 src0_sel:BYTE_3 src1_sel:DWORD
	s_mov_b64 s[4:5], 0
                                        ; implicit-def: $sgpr10
	s_and_saveexec_b64 s[8:9], s[6:7]
	s_xor_b64 s[6:7], exec, s[8:9]
	s_cbranch_execnz .LBB35_3165
; %bb.1117:
	s_or_saveexec_b64 s[6:7], s[6:7]
	v_mov_b32_e32 v11, s10
	s_xor_b64 exec, exec, s[6:7]
	s_cbranch_execnz .LBB35_3168
.LBB35_1118:
	s_or_b64 exec, exec, s[6:7]
	s_and_saveexec_b64 s[6:7], s[4:5]
	s_cbranch_execz .LBB35_1120
.LBB35_1119:
	v_bfe_u32 v11, v12, 24, 3
	v_ffbh_u32_e32 v20, v11
	v_min_u32_e32 v20, 32, v20
	v_lshrrev_b32_e32 v15, 27, v12
	v_subrev_u32_e32 v21, 28, v20
	v_and_b32_e32 v14, 0x80000000, v12
	v_and_b32_e32 v15, 15, v15
	v_bfe_u32 v16, v12, 27, 4
	v_lshlrev_b32_sdwa v12, v21, v12 dst_sel:DWORD dst_unused:UNUSED_PAD src0_sel:DWORD src1_sel:BYTE_3
	v_sub_u32_e32 v20, 29, v20
	v_and_b32_e32 v12, 7, v12
	v_cmp_eq_u16_e32 vcc, 0, v15
	v_cndmask_b32_e32 v11, v11, v12, vcc
	v_cndmask_b32_e32 v12, v16, v20, vcc
	v_mov_b32_e32 v15, 0x3b800000
	v_lshlrev_b32_e32 v11, 20, v11
	v_lshl_add_u32 v12, v12, 23, v15
	v_or3_b32 v11, v14, v12, v11
.LBB35_1120:
	s_or_b64 exec, exec, s[6:7]
	s_nop 0
	v_mfma_f32_16x16x4f32 a[0:3], v10, v11, a[0:3]
	s_movk_i32 s4, 0x7f
	v_cmp_gt_i16_sdwa s[6:7], v17, s4 src0_sel:BYTE_0 src1_sel:DWORD
	s_mov_b64 s[4:5], 0
                                        ; implicit-def: $sgpr10
	s_and_saveexec_b64 s[8:9], s[6:7]
	s_xor_b64 s[6:7], exec, s[8:9]
	s_cbranch_execnz .LBB35_3169
; %bb.1121:
	s_or_saveexec_b64 s[6:7], s[6:7]
	v_mov_b32_e32 v10, s10
	s_xor_b64 exec, exec, s[6:7]
	s_cbranch_execnz .LBB35_3172
.LBB35_1122:
	s_or_b64 exec, exec, s[6:7]
	s_and_saveexec_b64 s[6:7], s[4:5]
	s_cbranch_execz .LBB35_1124
.LBB35_1123:
	v_and_b32_e32 v10, 7, v17
	v_ffbh_u32_e32 v12, v10
	v_min_u32_e32 v12, 32, v12
	v_lshrrev_b16_e32 v11, 3, v17
	v_subrev_u32_e32 v14, 28, v12
	v_and_b32_e32 v11, 15, v11
	v_lshlrev_b32_e32 v14, v14, v17
	v_sub_u32_e32 v12, 29, v12
	v_and_b32_e32 v14, 7, v14
	v_cmp_eq_u16_e32 vcc, 0, v11
	v_cndmask_b32_e32 v10, v10, v14, vcc
	v_cndmask_b32_e32 v11, v11, v12, vcc
	v_lshlrev_b32_e32 v12, 24, v17
	v_mov_b32_e32 v14, 0x3b800000
	v_lshlrev_b32_e32 v10, 20, v10
	v_and_b32_e32 v12, 0x80000000, v12
	v_lshl_add_u32 v11, v11, 23, v14
	v_or3_b32 v10, v12, v11, v10
.LBB35_1124:
	s_or_b64 exec, exec, s[6:7]
	s_movk_i32 s4, 0x7f
	v_cmp_gt_i16_sdwa s[6:7], v13, s4 src0_sel:BYTE_0 src1_sel:DWORD
	s_mov_b64 s[4:5], 0
                                        ; implicit-def: $sgpr10
	s_and_saveexec_b64 s[8:9], s[6:7]
	s_xor_b64 s[6:7], exec, s[8:9]
	s_cbranch_execnz .LBB35_3173
; %bb.1125:
	s_or_saveexec_b64 s[6:7], s[6:7]
	v_mov_b32_e32 v11, s10
	s_xor_b64 exec, exec, s[6:7]
	s_cbranch_execnz .LBB35_3176
.LBB35_1126:
	s_or_b64 exec, exec, s[6:7]
	s_and_saveexec_b64 s[6:7], s[4:5]
	s_cbranch_execz .LBB35_1128
.LBB35_1127:
	v_and_b32_e32 v11, 7, v13
	v_ffbh_u32_e32 v14, v11
	v_min_u32_e32 v14, 32, v14
	v_lshrrev_b16_e32 v12, 3, v13
	v_subrev_u32_e32 v15, 28, v14
	v_and_b32_e32 v12, 15, v12
	v_lshlrev_b32_e32 v15, v15, v13
	v_sub_u32_e32 v14, 29, v14
	v_and_b32_e32 v15, 7, v15
	v_cmp_eq_u16_e32 vcc, 0, v12
	v_cndmask_b32_e32 v11, v11, v15, vcc
	v_cndmask_b32_e32 v12, v12, v14, vcc
	v_lshlrev_b32_e32 v14, 24, v13
	v_mov_b32_e32 v15, 0x3b800000
	v_lshlrev_b32_e32 v11, 20, v11
	v_and_b32_e32 v14, 0x80000000, v14
	v_lshl_add_u32 v12, v12, 23, v15
	v_or3_b32 v11, v14, v12, v11
.LBB35_1128:
	s_or_b64 exec, exec, s[6:7]
	s_nop 0
	v_mfma_f32_16x16x4f32 a[0:3], v10, v11, a[0:3]
	v_lshrrev_b32_e32 v11, 8, v17
	s_movk_i32 s4, 0x7f
	v_cmp_gt_i16_sdwa s[6:7], v11, s4 src0_sel:BYTE_0 src1_sel:DWORD
	s_mov_b64 s[4:5], 0
                                        ; implicit-def: $sgpr10
	s_and_saveexec_b64 s[8:9], s[6:7]
	s_xor_b64 s[6:7], exec, s[8:9]
	s_cbranch_execnz .LBB35_3177
; %bb.1129:
	s_or_saveexec_b64 s[6:7], s[6:7]
	v_mov_b32_e32 v10, s10
	s_xor_b64 exec, exec, s[6:7]
	s_cbranch_execnz .LBB35_3180
.LBB35_1130:
	s_or_b64 exec, exec, s[6:7]
	s_and_saveexec_b64 s[6:7], s[4:5]
	s_cbranch_execz .LBB35_1132
.LBB35_1131:
	v_bfe_u32 v10, v17, 8, 3
	v_ffbh_u32_e32 v14, v10
	v_min_u32_e32 v14, 32, v14
	v_lshrrev_b16_e32 v12, 3, v11
	v_subrev_u32_e32 v15, 28, v14
	v_and_b32_e32 v12, 15, v12
	v_lshlrev_b32_e32 v11, v15, v11
	v_sub_u32_e32 v14, 29, v14
	v_and_b32_e32 v11, 7, v11
	v_cmp_eq_u16_e32 vcc, 0, v12
	v_cndmask_b32_e32 v10, v10, v11, vcc
	v_cndmask_b32_e32 v11, v12, v14, vcc
	v_lshlrev_b32_e32 v12, 16, v17
	v_mov_b32_e32 v14, 0x3b800000
	v_lshlrev_b32_e32 v10, 20, v10
	v_and_b32_e32 v12, 0x80000000, v12
	v_lshl_add_u32 v11, v11, 23, v14
	v_or3_b32 v10, v12, v11, v10
.LBB35_1132:
	s_or_b64 exec, exec, s[6:7]
	v_lshrrev_b32_e32 v11, 8, v13
	s_movk_i32 s4, 0x7f
	v_cmp_gt_i16_sdwa s[6:7], v11, s4 src0_sel:BYTE_0 src1_sel:DWORD
	s_mov_b64 s[4:5], 0
                                        ; implicit-def: $sgpr10
	s_and_saveexec_b64 s[8:9], s[6:7]
	s_xor_b64 s[6:7], exec, s[8:9]
	s_cbranch_execnz .LBB35_3181
; %bb.1133:
	s_or_saveexec_b64 s[6:7], s[6:7]
	v_mov_b32_e32 v12, s10
	s_xor_b64 exec, exec, s[6:7]
	s_cbranch_execnz .LBB35_3184
.LBB35_1134:
	s_or_b64 exec, exec, s[6:7]
	s_and_saveexec_b64 s[6:7], s[4:5]
	s_cbranch_execz .LBB35_1136
.LBB35_1135:
	v_bfe_u32 v12, v13, 8, 3
	v_ffbh_u32_e32 v15, v12
	v_min_u32_e32 v15, 32, v15
	v_lshrrev_b16_e32 v14, 3, v11
	v_subrev_u32_e32 v16, 28, v15
	v_and_b32_e32 v14, 15, v14
	v_lshlrev_b32_e32 v11, v16, v11
	v_sub_u32_e32 v15, 29, v15
	v_and_b32_e32 v11, 7, v11
	v_cmp_eq_u16_e32 vcc, 0, v14
	v_cndmask_b32_e32 v11, v12, v11, vcc
	v_cndmask_b32_e32 v12, v14, v15, vcc
	v_lshlrev_b32_e32 v14, 16, v13
	v_mov_b32_e32 v15, 0x3b800000
	v_lshlrev_b32_e32 v11, 20, v11
	v_and_b32_e32 v14, 0x80000000, v14
	v_lshl_add_u32 v12, v12, 23, v15
	v_or3_b32 v12, v14, v12, v11
.LBB35_1136:
	s_or_b64 exec, exec, s[6:7]
	s_nop 0
	v_mfma_f32_16x16x4f32 a[0:3], v10, v12, a[0:3]
	s_movk_i32 s4, 0xff
	v_and_b32_sdwa v11, v17, s4 dst_sel:DWORD dst_unused:UNUSED_PAD src0_sel:WORD_1 src1_sel:DWORD
	s_movk_i32 s4, 0x7f
	v_cmp_lt_i16_e32 vcc, s4, v11
	s_mov_b64 s[4:5], 0
                                        ; implicit-def: $sgpr10
	s_and_saveexec_b64 s[6:7], vcc
	s_xor_b64 s[6:7], exec, s[6:7]
	s_cbranch_execnz .LBB35_3185
; %bb.1137:
	s_or_saveexec_b64 s[6:7], s[6:7]
	v_mov_b32_e32 v10, s10
	s_xor_b64 exec, exec, s[6:7]
	s_cbranch_execnz .LBB35_3188
.LBB35_1138:
	s_or_b64 exec, exec, s[6:7]
	s_and_saveexec_b64 s[6:7], s[4:5]
	s_cbranch_execz .LBB35_1140
.LBB35_1139:
	v_bfe_u32 v10, v17, 16, 3
	v_ffbh_u32_e32 v14, v10
	v_min_u32_e32 v14, 32, v14
	v_lshrrev_b32_e32 v11, 19, v17
	v_subrev_u32_e32 v15, 28, v14
	v_and_b32_e32 v11, 15, v11
	v_lshlrev_b32_sdwa v15, v15, v17 dst_sel:DWORD dst_unused:UNUSED_PAD src0_sel:DWORD src1_sel:WORD_1
	v_bfe_u32 v12, v17, 19, 4
	v_sub_u32_e32 v14, 29, v14
	v_and_b32_e32 v15, 7, v15
	v_cmp_eq_u16_e32 vcc, 0, v11
	v_cndmask_b32_e32 v10, v10, v15, vcc
	v_cndmask_b32_e32 v11, v12, v14, vcc
	v_lshlrev_b32_e32 v12, 8, v17
	v_mov_b32_e32 v14, 0x3b800000
	v_lshlrev_b32_e32 v10, 20, v10
	v_and_b32_e32 v12, 0x80000000, v12
	v_lshl_add_u32 v11, v11, 23, v14
	v_or3_b32 v10, v12, v11, v10
.LBB35_1140:
	s_or_b64 exec, exec, s[6:7]
	s_movk_i32 s4, 0xff
	v_and_b32_sdwa v11, v13, s4 dst_sel:DWORD dst_unused:UNUSED_PAD src0_sel:WORD_1 src1_sel:DWORD
	s_movk_i32 s4, 0x7f
	v_cmp_lt_i16_e32 vcc, s4, v11
	s_mov_b64 s[4:5], 0
                                        ; implicit-def: $sgpr10
	s_and_saveexec_b64 s[6:7], vcc
	s_xor_b64 s[6:7], exec, s[6:7]
	s_cbranch_execnz .LBB35_3189
; %bb.1141:
	s_or_saveexec_b64 s[6:7], s[6:7]
	v_mov_b32_e32 v12, s10
	s_xor_b64 exec, exec, s[6:7]
	s_cbranch_execnz .LBB35_3192
.LBB35_1142:
	s_or_b64 exec, exec, s[6:7]
	s_and_saveexec_b64 s[6:7], s[4:5]
	s_cbranch_execz .LBB35_1144
.LBB35_1143:
	v_bfe_u32 v11, v13, 16, 3
	v_ffbh_u32_e32 v15, v11
	v_min_u32_e32 v15, 32, v15
	v_lshrrev_b32_e32 v12, 19, v13
	v_subrev_u32_e32 v16, 28, v15
	v_and_b32_e32 v12, 15, v12
	v_lshlrev_b32_sdwa v16, v16, v13 dst_sel:DWORD dst_unused:UNUSED_PAD src0_sel:DWORD src1_sel:WORD_1
	v_bfe_u32 v14, v13, 19, 4
	v_sub_u32_e32 v15, 29, v15
	v_and_b32_e32 v16, 7, v16
	v_cmp_eq_u16_e32 vcc, 0, v12
	v_cndmask_b32_e32 v11, v11, v16, vcc
	v_cndmask_b32_e32 v12, v14, v15, vcc
	v_lshlrev_b32_e32 v14, 8, v13
	v_mov_b32_e32 v15, 0x3b800000
	v_lshlrev_b32_e32 v11, 20, v11
	v_and_b32_e32 v14, 0x80000000, v14
	v_lshl_add_u32 v12, v12, 23, v15
	v_or3_b32 v12, v14, v12, v11
.LBB35_1144:
	s_or_b64 exec, exec, s[6:7]
	s_nop 0
	v_mfma_f32_16x16x4f32 a[0:3], v10, v12, a[0:3]
	s_movk_i32 s4, 0x7f
	v_cmp_gt_i16_sdwa s[6:7], v17, s4 src0_sel:BYTE_3 src1_sel:DWORD
	s_mov_b64 s[4:5], 0
                                        ; implicit-def: $sgpr10
	s_and_saveexec_b64 s[8:9], s[6:7]
	s_xor_b64 s[6:7], exec, s[8:9]
	s_cbranch_execnz .LBB35_3193
; %bb.1145:
	s_or_saveexec_b64 s[6:7], s[6:7]
	v_mov_b32_e32 v10, s10
	s_xor_b64 exec, exec, s[6:7]
	s_cbranch_execnz .LBB35_3196
.LBB35_1146:
	s_or_b64 exec, exec, s[6:7]
	s_and_saveexec_b64 s[6:7], s[4:5]
	s_cbranch_execz .LBB35_1148
.LBB35_1147:
	v_bfe_u32 v10, v17, 24, 3
	v_ffbh_u32_e32 v15, v10
	v_min_u32_e32 v15, 32, v15
	v_lshrrev_b32_e32 v12, 27, v17
	v_subrev_u32_e32 v16, 28, v15
	v_and_b32_e32 v12, 15, v12
	v_lshlrev_b32_sdwa v16, v16, v17 dst_sel:DWORD dst_unused:UNUSED_PAD src0_sel:DWORD src1_sel:BYTE_3
	v_bfe_u32 v14, v17, 27, 4
	v_sub_u32_e32 v15, 29, v15
	v_and_b32_e32 v16, 7, v16
	v_cmp_eq_u16_e32 vcc, 0, v12
	v_cndmask_b32_e32 v10, v10, v16, vcc
	v_cndmask_b32_e32 v12, v14, v15, vcc
	v_mov_b32_e32 v14, 0x3b800000
	v_and_b32_e32 v11, 0x80000000, v17
	v_lshlrev_b32_e32 v10, 20, v10
	v_lshl_add_u32 v12, v12, 23, v14
	v_or3_b32 v10, v11, v12, v10
.LBB35_1148:
	s_or_b64 exec, exec, s[6:7]
	s_movk_i32 s4, 0x7f
	v_cmp_gt_i16_sdwa s[6:7], v13, s4 src0_sel:BYTE_3 src1_sel:DWORD
	s_mov_b64 s[4:5], 0
                                        ; implicit-def: $sgpr10
	s_and_saveexec_b64 s[8:9], s[6:7]
	s_xor_b64 s[6:7], exec, s[8:9]
	s_cbranch_execnz .LBB35_3197
; %bb.1149:
	s_or_saveexec_b64 s[6:7], s[6:7]
	v_mov_b32_e32 v11, s10
	s_xor_b64 exec, exec, s[6:7]
	s_cbranch_execnz .LBB35_3200
.LBB35_1150:
	s_or_b64 exec, exec, s[6:7]
	s_and_saveexec_b64 s[6:7], s[4:5]
	s_cbranch_execz .LBB35_1152
.LBB35_1151:
	v_bfe_u32 v11, v13, 24, 3
	v_ffbh_u32_e32 v16, v11
	v_min_u32_e32 v16, 32, v16
	v_lshrrev_b32_e32 v14, 27, v13
	v_subrev_u32_e32 v17, 28, v16
	v_and_b32_e32 v12, 0x80000000, v13
	v_and_b32_e32 v14, 15, v14
	v_bfe_u32 v15, v13, 27, 4
	v_lshlrev_b32_sdwa v13, v17, v13 dst_sel:DWORD dst_unused:UNUSED_PAD src0_sel:DWORD src1_sel:BYTE_3
	v_sub_u32_e32 v16, 29, v16
	v_and_b32_e32 v13, 7, v13
	v_cmp_eq_u16_e32 vcc, 0, v14
	v_cndmask_b32_e32 v11, v11, v13, vcc
	v_cndmask_b32_e32 v13, v15, v16, vcc
	v_mov_b32_e32 v14, 0x3b800000
	v_lshlrev_b32_e32 v11, 20, v11
	v_lshl_add_u32 v13, v13, 23, v14
	v_or3_b32 v11, v12, v13, v11
.LBB35_1152:
	s_or_b64 exec, exec, s[6:7]
	s_nop 0
	v_mfma_f32_16x16x4f32 a[0:3], v10, v11, a[0:3]
	s_movk_i32 s4, 0x7f
	v_cmp_gt_i16_sdwa s[6:7], v6, s4 src0_sel:BYTE_0 src1_sel:DWORD
	s_mov_b64 s[4:5], 0
                                        ; implicit-def: $sgpr10
	s_and_saveexec_b64 s[8:9], s[6:7]
	s_xor_b64 s[6:7], exec, s[8:9]
	s_cbranch_execnz .LBB35_3201
; %bb.1153:
	s_or_saveexec_b64 s[6:7], s[6:7]
	v_mov_b32_e32 v10, s10
	s_xor_b64 exec, exec, s[6:7]
	s_cbranch_execnz .LBB35_3204
.LBB35_1154:
	s_or_b64 exec, exec, s[6:7]
	s_and_saveexec_b64 s[6:7], s[4:5]
	s_cbranch_execz .LBB35_1156
.LBB35_1155:
	v_and_b32_e32 v10, 7, v6
	v_ffbh_u32_e32 v12, v10
	v_min_u32_e32 v12, 32, v12
	v_lshrrev_b16_e32 v11, 3, v6
	v_subrev_u32_e32 v13, 28, v12
	v_and_b32_e32 v11, 15, v11
	v_lshlrev_b32_e32 v13, v13, v6
	v_sub_u32_e32 v12, 29, v12
	v_and_b32_e32 v13, 7, v13
	v_cmp_eq_u16_e32 vcc, 0, v11
	v_cndmask_b32_e32 v10, v10, v13, vcc
	v_cndmask_b32_e32 v11, v11, v12, vcc
	v_lshlrev_b32_e32 v12, 24, v6
	v_mov_b32_e32 v13, 0x3b800000
	v_lshlrev_b32_e32 v10, 20, v10
	v_and_b32_e32 v12, 0x80000000, v12
	v_lshl_add_u32 v11, v11, 23, v13
	v_or3_b32 v10, v12, v11, v10
.LBB35_1156:
	s_or_b64 exec, exec, s[6:7]
	s_movk_i32 s4, 0x7f
	v_cmp_gt_i16_sdwa s[6:7], v2, s4 src0_sel:BYTE_0 src1_sel:DWORD
	s_mov_b64 s[4:5], 0
                                        ; implicit-def: $sgpr10
	s_and_saveexec_b64 s[8:9], s[6:7]
	s_xor_b64 s[6:7], exec, s[8:9]
	s_cbranch_execnz .LBB35_3205
; %bb.1157:
	s_or_saveexec_b64 s[6:7], s[6:7]
	v_mov_b32_e32 v11, s10
	s_xor_b64 exec, exec, s[6:7]
	s_cbranch_execnz .LBB35_3208
.LBB35_1158:
	s_or_b64 exec, exec, s[6:7]
	s_and_saveexec_b64 s[6:7], s[4:5]
	s_cbranch_execz .LBB35_1160
.LBB35_1159:
	v_and_b32_e32 v11, 7, v2
	v_ffbh_u32_e32 v13, v11
	v_min_u32_e32 v13, 32, v13
	v_lshrrev_b16_e32 v12, 3, v2
	v_subrev_u32_e32 v14, 28, v13
	v_and_b32_e32 v12, 15, v12
	v_lshlrev_b32_e32 v14, v14, v2
	v_sub_u32_e32 v13, 29, v13
	v_and_b32_e32 v14, 7, v14
	v_cmp_eq_u16_e32 vcc, 0, v12
	v_cndmask_b32_e32 v11, v11, v14, vcc
	v_cndmask_b32_e32 v12, v12, v13, vcc
	v_lshlrev_b32_e32 v13, 24, v2
	v_mov_b32_e32 v14, 0x3b800000
	v_lshlrev_b32_e32 v11, 20, v11
	v_and_b32_e32 v13, 0x80000000, v13
	v_lshl_add_u32 v12, v12, 23, v14
	v_or3_b32 v11, v13, v12, v11
.LBB35_1160:
	s_or_b64 exec, exec, s[6:7]
	s_nop 0
	v_mfma_f32_16x16x4f32 a[0:3], v10, v11, a[0:3]
	v_lshrrev_b32_e32 v11, 8, v6
	s_movk_i32 s4, 0x7f
	v_cmp_gt_i16_sdwa s[6:7], v11, s4 src0_sel:BYTE_0 src1_sel:DWORD
	s_mov_b64 s[4:5], 0
                                        ; implicit-def: $sgpr10
	s_and_saveexec_b64 s[8:9], s[6:7]
	s_xor_b64 s[6:7], exec, s[8:9]
	s_cbranch_execnz .LBB35_3209
; %bb.1161:
	s_or_saveexec_b64 s[6:7], s[6:7]
	v_mov_b32_e32 v10, s10
	s_xor_b64 exec, exec, s[6:7]
	s_cbranch_execnz .LBB35_3212
.LBB35_1162:
	s_or_b64 exec, exec, s[6:7]
	s_and_saveexec_b64 s[6:7], s[4:5]
	s_cbranch_execz .LBB35_1164
.LBB35_1163:
	v_bfe_u32 v10, v6, 8, 3
	v_ffbh_u32_e32 v13, v10
	v_min_u32_e32 v13, 32, v13
	v_lshrrev_b16_e32 v12, 3, v11
	v_subrev_u32_e32 v14, 28, v13
	v_and_b32_e32 v12, 15, v12
	v_lshlrev_b32_e32 v11, v14, v11
	v_sub_u32_e32 v13, 29, v13
	v_and_b32_e32 v11, 7, v11
	v_cmp_eq_u16_e32 vcc, 0, v12
	v_cndmask_b32_e32 v10, v10, v11, vcc
	v_cndmask_b32_e32 v11, v12, v13, vcc
	v_lshlrev_b32_e32 v12, 16, v6
	v_mov_b32_e32 v13, 0x3b800000
	v_lshlrev_b32_e32 v10, 20, v10
	v_and_b32_e32 v12, 0x80000000, v12
	v_lshl_add_u32 v11, v11, 23, v13
	v_or3_b32 v10, v12, v11, v10
.LBB35_1164:
	s_or_b64 exec, exec, s[6:7]
	v_lshrrev_b32_e32 v11, 8, v2
	s_movk_i32 s4, 0x7f
	v_cmp_gt_i16_sdwa s[6:7], v11, s4 src0_sel:BYTE_0 src1_sel:DWORD
	s_mov_b64 s[4:5], 0
                                        ; implicit-def: $sgpr10
	s_and_saveexec_b64 s[8:9], s[6:7]
	s_xor_b64 s[6:7], exec, s[8:9]
	s_cbranch_execnz .LBB35_3213
; %bb.1165:
	s_or_saveexec_b64 s[6:7], s[6:7]
	v_mov_b32_e32 v12, s10
	s_xor_b64 exec, exec, s[6:7]
	s_cbranch_execnz .LBB35_3216
.LBB35_1166:
	s_or_b64 exec, exec, s[6:7]
	s_and_saveexec_b64 s[6:7], s[4:5]
	s_cbranch_execz .LBB35_1168
.LBB35_1167:
	v_bfe_u32 v12, v2, 8, 3
	v_ffbh_u32_e32 v14, v12
	v_min_u32_e32 v14, 32, v14
	v_lshrrev_b16_e32 v13, 3, v11
	v_subrev_u32_e32 v15, 28, v14
	v_and_b32_e32 v13, 15, v13
	v_lshlrev_b32_e32 v11, v15, v11
	v_sub_u32_e32 v14, 29, v14
	v_and_b32_e32 v11, 7, v11
	v_cmp_eq_u16_e32 vcc, 0, v13
	v_cndmask_b32_e32 v11, v12, v11, vcc
	v_cndmask_b32_e32 v12, v13, v14, vcc
	v_lshlrev_b32_e32 v13, 16, v2
	v_mov_b32_e32 v14, 0x3b800000
	v_lshlrev_b32_e32 v11, 20, v11
	v_and_b32_e32 v13, 0x80000000, v13
	v_lshl_add_u32 v12, v12, 23, v14
	v_or3_b32 v12, v13, v12, v11
.LBB35_1168:
	s_or_b64 exec, exec, s[6:7]
	s_nop 0
	v_mfma_f32_16x16x4f32 a[0:3], v10, v12, a[0:3]
	s_movk_i32 s4, 0xff
	v_and_b32_sdwa v11, v6, s4 dst_sel:DWORD dst_unused:UNUSED_PAD src0_sel:WORD_1 src1_sel:DWORD
	s_movk_i32 s4, 0x7f
	v_cmp_lt_i16_e32 vcc, s4, v11
	s_mov_b64 s[4:5], 0
                                        ; implicit-def: $sgpr10
	s_and_saveexec_b64 s[6:7], vcc
	s_xor_b64 s[6:7], exec, s[6:7]
	s_cbranch_execnz .LBB35_3217
; %bb.1169:
	s_or_saveexec_b64 s[6:7], s[6:7]
	v_mov_b32_e32 v10, s10
	s_xor_b64 exec, exec, s[6:7]
	s_cbranch_execnz .LBB35_3220
.LBB35_1170:
	s_or_b64 exec, exec, s[6:7]
	s_and_saveexec_b64 s[6:7], s[4:5]
	s_cbranch_execz .LBB35_1172
.LBB35_1171:
	v_bfe_u32 v10, v6, 16, 3
	v_ffbh_u32_e32 v13, v10
	v_min_u32_e32 v13, 32, v13
	v_lshrrev_b32_e32 v11, 19, v6
	v_subrev_u32_e32 v14, 28, v13
	v_and_b32_e32 v11, 15, v11
	v_lshlrev_b32_sdwa v14, v14, v6 dst_sel:DWORD dst_unused:UNUSED_PAD src0_sel:DWORD src1_sel:WORD_1
	v_bfe_u32 v12, v6, 19, 4
	v_sub_u32_e32 v13, 29, v13
	v_and_b32_e32 v14, 7, v14
	v_cmp_eq_u16_e32 vcc, 0, v11
	v_cndmask_b32_e32 v10, v10, v14, vcc
	v_cndmask_b32_e32 v11, v12, v13, vcc
	v_lshlrev_b32_e32 v12, 8, v6
	v_mov_b32_e32 v13, 0x3b800000
	v_lshlrev_b32_e32 v10, 20, v10
	v_and_b32_e32 v12, 0x80000000, v12
	v_lshl_add_u32 v11, v11, 23, v13
	v_or3_b32 v10, v12, v11, v10
.LBB35_1172:
	s_or_b64 exec, exec, s[6:7]
	s_movk_i32 s4, 0xff
	v_and_b32_sdwa v11, v2, s4 dst_sel:DWORD dst_unused:UNUSED_PAD src0_sel:WORD_1 src1_sel:DWORD
	s_movk_i32 s4, 0x7f
	v_cmp_lt_i16_e32 vcc, s4, v11
	s_mov_b64 s[4:5], 0
                                        ; implicit-def: $sgpr10
	s_and_saveexec_b64 s[6:7], vcc
	s_xor_b64 s[6:7], exec, s[6:7]
	s_cbranch_execnz .LBB35_3221
; %bb.1173:
	s_or_saveexec_b64 s[6:7], s[6:7]
	v_mov_b32_e32 v12, s10
	s_xor_b64 exec, exec, s[6:7]
	s_cbranch_execnz .LBB35_3224
.LBB35_1174:
	s_or_b64 exec, exec, s[6:7]
	s_and_saveexec_b64 s[6:7], s[4:5]
	s_cbranch_execz .LBB35_1176
.LBB35_1175:
	v_bfe_u32 v11, v2, 16, 3
	v_ffbh_u32_e32 v14, v11
	v_min_u32_e32 v14, 32, v14
	v_lshrrev_b32_e32 v12, 19, v2
	v_subrev_u32_e32 v15, 28, v14
	v_and_b32_e32 v12, 15, v12
	v_lshlrev_b32_sdwa v15, v15, v2 dst_sel:DWORD dst_unused:UNUSED_PAD src0_sel:DWORD src1_sel:WORD_1
	v_bfe_u32 v13, v2, 19, 4
	v_sub_u32_e32 v14, 29, v14
	v_and_b32_e32 v15, 7, v15
	v_cmp_eq_u16_e32 vcc, 0, v12
	v_cndmask_b32_e32 v11, v11, v15, vcc
	v_cndmask_b32_e32 v12, v13, v14, vcc
	v_lshlrev_b32_e32 v13, 8, v2
	v_mov_b32_e32 v14, 0x3b800000
	v_lshlrev_b32_e32 v11, 20, v11
	v_and_b32_e32 v13, 0x80000000, v13
	v_lshl_add_u32 v12, v12, 23, v14
	v_or3_b32 v12, v13, v12, v11
.LBB35_1176:
	s_or_b64 exec, exec, s[6:7]
	s_nop 0
	v_mfma_f32_16x16x4f32 a[0:3], v10, v12, a[0:3]
	s_movk_i32 s4, 0x7f
	v_cmp_gt_i16_sdwa s[6:7], v6, s4 src0_sel:BYTE_3 src1_sel:DWORD
	s_mov_b64 s[4:5], 0
                                        ; implicit-def: $sgpr10
	s_and_saveexec_b64 s[8:9], s[6:7]
	s_xor_b64 s[6:7], exec, s[8:9]
	s_cbranch_execnz .LBB35_3225
; %bb.1177:
	s_or_saveexec_b64 s[6:7], s[6:7]
	v_mov_b32_e32 v10, s10
	s_xor_b64 exec, exec, s[6:7]
	s_cbranch_execnz .LBB35_3228
.LBB35_1178:
	s_or_b64 exec, exec, s[6:7]
	s_and_saveexec_b64 s[6:7], s[4:5]
	s_cbranch_execz .LBB35_1180
.LBB35_1179:
	v_bfe_u32 v10, v6, 24, 3
	v_ffbh_u32_e32 v14, v10
	v_min_u32_e32 v14, 32, v14
	v_lshrrev_b32_e32 v12, 27, v6
	v_subrev_u32_e32 v15, 28, v14
	v_and_b32_e32 v11, 0x80000000, v6
	v_and_b32_e32 v12, 15, v12
	v_bfe_u32 v13, v6, 27, 4
	v_lshlrev_b32_sdwa v6, v15, v6 dst_sel:DWORD dst_unused:UNUSED_PAD src0_sel:DWORD src1_sel:BYTE_3
	v_sub_u32_e32 v14, 29, v14
	v_and_b32_e32 v6, 7, v6
	v_cmp_eq_u16_e32 vcc, 0, v12
	v_cndmask_b32_e32 v6, v10, v6, vcc
	v_cndmask_b32_e32 v10, v13, v14, vcc
	v_mov_b32_e32 v12, 0x3b800000
	v_lshlrev_b32_e32 v6, 20, v6
	v_lshl_add_u32 v10, v10, 23, v12
	v_or3_b32 v10, v11, v10, v6
.LBB35_1180:
	s_or_b64 exec, exec, s[6:7]
	s_movk_i32 s4, 0x7f
	v_cmp_gt_i16_sdwa s[6:7], v2, s4 src0_sel:BYTE_3 src1_sel:DWORD
	s_mov_b64 s[4:5], 0
                                        ; implicit-def: $sgpr10
	s_and_saveexec_b64 s[8:9], s[6:7]
	s_xor_b64 s[6:7], exec, s[8:9]
	s_cbranch_execnz .LBB35_3229
; %bb.1181:
	s_or_saveexec_b64 s[6:7], s[6:7]
	v_mov_b32_e32 v6, s10
	s_xor_b64 exec, exec, s[6:7]
	s_cbranch_execnz .LBB35_3232
.LBB35_1182:
	s_or_b64 exec, exec, s[6:7]
	s_and_saveexec_b64 s[6:7], s[4:5]
	s_cbranch_execz .LBB35_1184
.LBB35_1183:
	v_bfe_u32 v6, v2, 24, 3
	v_ffbh_u32_e32 v14, v6
	v_min_u32_e32 v14, 32, v14
	v_lshrrev_b32_e32 v12, 27, v2
	v_subrev_u32_e32 v15, 28, v14
	v_and_b32_e32 v11, 0x80000000, v2
	v_and_b32_e32 v12, 15, v12
	v_bfe_u32 v13, v2, 27, 4
	v_lshlrev_b32_sdwa v2, v15, v2 dst_sel:DWORD dst_unused:UNUSED_PAD src0_sel:DWORD src1_sel:BYTE_3
	v_sub_u32_e32 v14, 29, v14
	v_and_b32_e32 v2, 7, v2
	v_cmp_eq_u16_e32 vcc, 0, v12
	v_cndmask_b32_e32 v2, v6, v2, vcc
	v_cndmask_b32_e32 v6, v13, v14, vcc
	v_mov_b32_e32 v12, 0x3b800000
	v_lshlrev_b32_e32 v2, 20, v2
	v_lshl_add_u32 v6, v6, 23, v12
	v_or3_b32 v6, v11, v6, v2
.LBB35_1184:
	s_or_b64 exec, exec, s[6:7]
	s_nop 0
	v_mfma_f32_16x16x4f32 a[0:3], v10, v6, a[0:3]
	s_movk_i32 s4, 0x7f
	v_cmp_gt_i16_sdwa s[6:7], v7, s4 src0_sel:BYTE_0 src1_sel:DWORD
	s_mov_b64 s[4:5], 0
                                        ; implicit-def: $sgpr10
	s_and_saveexec_b64 s[8:9], s[6:7]
	s_xor_b64 s[6:7], exec, s[8:9]
	s_cbranch_execnz .LBB35_3233
; %bb.1185:
	s_or_saveexec_b64 s[6:7], s[6:7]
	v_mov_b32_e32 v2, s10
	s_xor_b64 exec, exec, s[6:7]
	s_cbranch_execnz .LBB35_3236
.LBB35_1186:
	s_or_b64 exec, exec, s[6:7]
	s_and_saveexec_b64 s[6:7], s[4:5]
	s_cbranch_execz .LBB35_1188
.LBB35_1187:
	v_and_b32_e32 v2, 7, v7
	v_ffbh_u32_e32 v10, v2
	v_min_u32_e32 v10, 32, v10
	v_lshrrev_b16_e32 v6, 3, v7
	v_subrev_u32_e32 v11, 28, v10
	v_and_b32_e32 v6, 15, v6
	v_lshlrev_b32_e32 v11, v11, v7
	v_sub_u32_e32 v10, 29, v10
	v_and_b32_e32 v11, 7, v11
	v_cmp_eq_u16_e32 vcc, 0, v6
	v_cndmask_b32_e32 v2, v2, v11, vcc
	v_cndmask_b32_e32 v6, v6, v10, vcc
	v_lshlrev_b32_e32 v10, 24, v7
	v_mov_b32_e32 v11, 0x3b800000
	v_lshlrev_b32_e32 v2, 20, v2
	v_and_b32_e32 v10, 0x80000000, v10
	v_lshl_add_u32 v6, v6, 23, v11
	v_or3_b32 v2, v10, v6, v2
.LBB35_1188:
	s_or_b64 exec, exec, s[6:7]
	s_movk_i32 s4, 0x7f
	v_cmp_gt_i16_sdwa s[6:7], v3, s4 src0_sel:BYTE_0 src1_sel:DWORD
	s_mov_b64 s[4:5], 0
                                        ; implicit-def: $sgpr10
	s_and_saveexec_b64 s[8:9], s[6:7]
	s_xor_b64 s[6:7], exec, s[8:9]
	s_cbranch_execnz .LBB35_3237
; %bb.1189:
	s_or_saveexec_b64 s[6:7], s[6:7]
	v_mov_b32_e32 v6, s10
	s_xor_b64 exec, exec, s[6:7]
	s_cbranch_execnz .LBB35_3240
.LBB35_1190:
	s_or_b64 exec, exec, s[6:7]
	s_and_saveexec_b64 s[6:7], s[4:5]
	s_cbranch_execz .LBB35_1192
.LBB35_1191:
	v_and_b32_e32 v6, 7, v3
	v_ffbh_u32_e32 v11, v6
	v_min_u32_e32 v11, 32, v11
	v_lshrrev_b16_e32 v10, 3, v3
	v_subrev_u32_e32 v12, 28, v11
	v_and_b32_e32 v10, 15, v10
	v_lshlrev_b32_e32 v12, v12, v3
	v_sub_u32_e32 v11, 29, v11
	v_and_b32_e32 v12, 7, v12
	v_cmp_eq_u16_e32 vcc, 0, v10
	v_cndmask_b32_e32 v6, v6, v12, vcc
	v_cndmask_b32_e32 v10, v10, v11, vcc
	v_lshlrev_b32_e32 v11, 24, v3
	v_mov_b32_e32 v12, 0x3b800000
	v_lshlrev_b32_e32 v6, 20, v6
	v_and_b32_e32 v11, 0x80000000, v11
	v_lshl_add_u32 v10, v10, 23, v12
	v_or3_b32 v6, v11, v10, v6
.LBB35_1192:
	s_or_b64 exec, exec, s[6:7]
	s_nop 0
	v_mfma_f32_16x16x4f32 a[0:3], v2, v6, a[0:3]
	v_lshrrev_b32_e32 v6, 8, v7
	s_movk_i32 s4, 0x7f
	v_cmp_gt_i16_sdwa s[6:7], v6, s4 src0_sel:BYTE_0 src1_sel:DWORD
	s_mov_b64 s[4:5], 0
                                        ; implicit-def: $sgpr10
	s_and_saveexec_b64 s[8:9], s[6:7]
	s_xor_b64 s[6:7], exec, s[8:9]
	s_cbranch_execnz .LBB35_3241
; %bb.1193:
	s_or_saveexec_b64 s[6:7], s[6:7]
	v_mov_b32_e32 v2, s10
	s_xor_b64 exec, exec, s[6:7]
	s_cbranch_execnz .LBB35_3244
.LBB35_1194:
	s_or_b64 exec, exec, s[6:7]
	s_and_saveexec_b64 s[6:7], s[4:5]
	s_cbranch_execz .LBB35_1196
.LBB35_1195:
	v_bfe_u32 v2, v7, 8, 3
	v_ffbh_u32_e32 v11, v2
	v_min_u32_e32 v11, 32, v11
	v_lshrrev_b16_e32 v10, 3, v6
	v_subrev_u32_e32 v12, 28, v11
	v_and_b32_e32 v10, 15, v10
	v_lshlrev_b32_e32 v6, v12, v6
	v_sub_u32_e32 v11, 29, v11
	v_and_b32_e32 v6, 7, v6
	v_cmp_eq_u16_e32 vcc, 0, v10
	v_cndmask_b32_e32 v2, v2, v6, vcc
	v_cndmask_b32_e32 v6, v10, v11, vcc
	v_lshlrev_b32_e32 v10, 16, v7
	v_mov_b32_e32 v11, 0x3b800000
	v_lshlrev_b32_e32 v2, 20, v2
	v_and_b32_e32 v10, 0x80000000, v10
	v_lshl_add_u32 v6, v6, 23, v11
	v_or3_b32 v2, v10, v6, v2
.LBB35_1196:
	s_or_b64 exec, exec, s[6:7]
	v_lshrrev_b32_e32 v6, 8, v3
	s_movk_i32 s4, 0x7f
	v_cmp_gt_i16_sdwa s[6:7], v6, s4 src0_sel:BYTE_0 src1_sel:DWORD
	s_mov_b64 s[4:5], 0
                                        ; implicit-def: $sgpr10
	s_and_saveexec_b64 s[8:9], s[6:7]
	s_xor_b64 s[6:7], exec, s[8:9]
	s_cbranch_execnz .LBB35_3245
; %bb.1197:
	s_or_saveexec_b64 s[6:7], s[6:7]
	v_mov_b32_e32 v10, s10
	s_xor_b64 exec, exec, s[6:7]
	s_cbranch_execnz .LBB35_3248
.LBB35_1198:
	s_or_b64 exec, exec, s[6:7]
	s_and_saveexec_b64 s[6:7], s[4:5]
	s_cbranch_execz .LBB35_1200
.LBB35_1199:
	v_bfe_u32 v10, v3, 8, 3
	v_ffbh_u32_e32 v12, v10
	v_min_u32_e32 v12, 32, v12
	v_lshrrev_b16_e32 v11, 3, v6
	v_subrev_u32_e32 v13, 28, v12
	v_and_b32_e32 v11, 15, v11
	v_lshlrev_b32_e32 v6, v13, v6
	v_sub_u32_e32 v12, 29, v12
	v_and_b32_e32 v6, 7, v6
	v_cmp_eq_u16_e32 vcc, 0, v11
	v_cndmask_b32_e32 v6, v10, v6, vcc
	v_cndmask_b32_e32 v10, v11, v12, vcc
	v_lshlrev_b32_e32 v11, 16, v3
	v_mov_b32_e32 v12, 0x3b800000
	v_lshlrev_b32_e32 v6, 20, v6
	v_and_b32_e32 v11, 0x80000000, v11
	v_lshl_add_u32 v10, v10, 23, v12
	v_or3_b32 v10, v11, v10, v6
.LBB35_1200:
	s_or_b64 exec, exec, s[6:7]
	s_nop 0
	v_mfma_f32_16x16x4f32 a[0:3], v2, v10, a[0:3]
	s_movk_i32 s4, 0xff
	v_and_b32_sdwa v6, v7, s4 dst_sel:DWORD dst_unused:UNUSED_PAD src0_sel:WORD_1 src1_sel:DWORD
	s_movk_i32 s4, 0x7f
	v_cmp_lt_i16_e32 vcc, s4, v6
	s_mov_b64 s[4:5], 0
                                        ; implicit-def: $sgpr10
	s_and_saveexec_b64 s[6:7], vcc
	s_xor_b64 s[6:7], exec, s[6:7]
	s_cbranch_execnz .LBB35_3249
; %bb.1201:
	s_or_saveexec_b64 s[6:7], s[6:7]
	v_mov_b32_e32 v2, s10
	s_xor_b64 exec, exec, s[6:7]
	s_cbranch_execnz .LBB35_3252
.LBB35_1202:
	s_or_b64 exec, exec, s[6:7]
	s_and_saveexec_b64 s[6:7], s[4:5]
	s_cbranch_execz .LBB35_1204
.LBB35_1203:
	v_bfe_u32 v2, v7, 16, 3
	v_ffbh_u32_e32 v11, v2
	v_min_u32_e32 v11, 32, v11
	v_lshrrev_b32_e32 v6, 19, v7
	v_subrev_u32_e32 v12, 28, v11
	v_and_b32_e32 v6, 15, v6
	v_lshlrev_b32_sdwa v12, v12, v7 dst_sel:DWORD dst_unused:UNUSED_PAD src0_sel:DWORD src1_sel:WORD_1
	v_bfe_u32 v10, v7, 19, 4
	v_sub_u32_e32 v11, 29, v11
	v_and_b32_e32 v12, 7, v12
	v_cmp_eq_u16_e32 vcc, 0, v6
	v_cndmask_b32_e32 v2, v2, v12, vcc
	v_cndmask_b32_e32 v6, v10, v11, vcc
	v_lshlrev_b32_e32 v10, 8, v7
	v_mov_b32_e32 v11, 0x3b800000
	v_lshlrev_b32_e32 v2, 20, v2
	v_and_b32_e32 v10, 0x80000000, v10
	v_lshl_add_u32 v6, v6, 23, v11
	v_or3_b32 v2, v10, v6, v2
.LBB35_1204:
	s_or_b64 exec, exec, s[6:7]
	s_movk_i32 s4, 0xff
	v_and_b32_sdwa v6, v3, s4 dst_sel:DWORD dst_unused:UNUSED_PAD src0_sel:WORD_1 src1_sel:DWORD
	s_movk_i32 s4, 0x7f
	v_cmp_lt_i16_e32 vcc, s4, v6
	s_mov_b64 s[4:5], 0
                                        ; implicit-def: $sgpr10
	s_and_saveexec_b64 s[6:7], vcc
	s_xor_b64 s[6:7], exec, s[6:7]
	s_cbranch_execnz .LBB35_3253
; %bb.1205:
	s_or_saveexec_b64 s[6:7], s[6:7]
	v_mov_b32_e32 v10, s10
	s_xor_b64 exec, exec, s[6:7]
	s_cbranch_execnz .LBB35_3256
.LBB35_1206:
	s_or_b64 exec, exec, s[6:7]
	s_and_saveexec_b64 s[6:7], s[4:5]
	s_cbranch_execz .LBB35_1208
.LBB35_1207:
	v_bfe_u32 v6, v3, 16, 3
	v_ffbh_u32_e32 v12, v6
	v_min_u32_e32 v12, 32, v12
	v_lshrrev_b32_e32 v10, 19, v3
	v_subrev_u32_e32 v13, 28, v12
	v_and_b32_e32 v10, 15, v10
	v_lshlrev_b32_sdwa v13, v13, v3 dst_sel:DWORD dst_unused:UNUSED_PAD src0_sel:DWORD src1_sel:WORD_1
	v_bfe_u32 v11, v3, 19, 4
	v_sub_u32_e32 v12, 29, v12
	v_and_b32_e32 v13, 7, v13
	v_cmp_eq_u16_e32 vcc, 0, v10
	v_cndmask_b32_e32 v6, v6, v13, vcc
	v_cndmask_b32_e32 v10, v11, v12, vcc
	v_lshlrev_b32_e32 v11, 8, v3
	v_mov_b32_e32 v12, 0x3b800000
	v_lshlrev_b32_e32 v6, 20, v6
	v_and_b32_e32 v11, 0x80000000, v11
	v_lshl_add_u32 v10, v10, 23, v12
	v_or3_b32 v10, v11, v10, v6
.LBB35_1208:
	s_or_b64 exec, exec, s[6:7]
	s_nop 0
	v_mfma_f32_16x16x4f32 a[0:3], v2, v10, a[0:3]
	s_movk_i32 s4, 0x7f
	v_cmp_gt_i16_sdwa s[6:7], v7, s4 src0_sel:BYTE_3 src1_sel:DWORD
	s_mov_b64 s[4:5], 0
                                        ; implicit-def: $sgpr10
	s_and_saveexec_b64 s[8:9], s[6:7]
	s_xor_b64 s[6:7], exec, s[8:9]
	s_cbranch_execnz .LBB35_3257
; %bb.1209:
	s_or_saveexec_b64 s[6:7], s[6:7]
	v_mov_b32_e32 v2, s10
	s_xor_b64 exec, exec, s[6:7]
	s_cbranch_execnz .LBB35_3260
.LBB35_1210:
	s_or_b64 exec, exec, s[6:7]
	s_and_saveexec_b64 s[6:7], s[4:5]
	s_cbranch_execz .LBB35_1212
.LBB35_1211:
	v_bfe_u32 v2, v7, 24, 3
	v_ffbh_u32_e32 v12, v2
	v_min_u32_e32 v12, 32, v12
	v_lshrrev_b32_e32 v10, 27, v7
	v_subrev_u32_e32 v13, 28, v12
	v_and_b32_e32 v6, 0x80000000, v7
	v_and_b32_e32 v10, 15, v10
	v_bfe_u32 v11, v7, 27, 4
	v_lshlrev_b32_sdwa v7, v13, v7 dst_sel:DWORD dst_unused:UNUSED_PAD src0_sel:DWORD src1_sel:BYTE_3
	v_sub_u32_e32 v12, 29, v12
	v_and_b32_e32 v7, 7, v7
	v_cmp_eq_u16_e32 vcc, 0, v10
	v_cndmask_b32_e32 v2, v2, v7, vcc
	v_cndmask_b32_e32 v7, v11, v12, vcc
	v_mov_b32_e32 v10, 0x3b800000
	v_lshlrev_b32_e32 v2, 20, v2
	v_lshl_add_u32 v7, v7, 23, v10
	v_or3_b32 v2, v6, v7, v2
.LBB35_1212:
	s_or_b64 exec, exec, s[6:7]
	s_movk_i32 s4, 0x7f
	v_cmp_gt_i16_sdwa s[6:7], v3, s4 src0_sel:BYTE_3 src1_sel:DWORD
	s_mov_b64 s[4:5], 0
                                        ; implicit-def: $sgpr10
	s_and_saveexec_b64 s[8:9], s[6:7]
	s_xor_b64 s[6:7], exec, s[8:9]
	s_cbranch_execnz .LBB35_3261
; %bb.1213:
	s_or_saveexec_b64 s[6:7], s[6:7]
	v_mov_b32_e32 v6, s10
	s_xor_b64 exec, exec, s[6:7]
	s_cbranch_execnz .LBB35_3264
.LBB35_1214:
	s_or_b64 exec, exec, s[6:7]
	s_and_saveexec_b64 s[6:7], s[4:5]
	s_cbranch_execz .LBB35_1216
.LBB35_1215:
	v_bfe_u32 v6, v3, 24, 3
	v_ffbh_u32_e32 v12, v6
	v_min_u32_e32 v12, 32, v12
	v_lshrrev_b32_e32 v10, 27, v3
	v_subrev_u32_e32 v13, 28, v12
	v_and_b32_e32 v7, 0x80000000, v3
	v_and_b32_e32 v10, 15, v10
	v_bfe_u32 v11, v3, 27, 4
	v_lshlrev_b32_sdwa v3, v13, v3 dst_sel:DWORD dst_unused:UNUSED_PAD src0_sel:DWORD src1_sel:BYTE_3
	v_sub_u32_e32 v12, 29, v12
	v_and_b32_e32 v3, 7, v3
	v_cmp_eq_u16_e32 vcc, 0, v10
	v_cndmask_b32_e32 v3, v6, v3, vcc
	v_cndmask_b32_e32 v6, v11, v12, vcc
	v_mov_b32_e32 v10, 0x3b800000
	v_lshlrev_b32_e32 v3, 20, v3
	v_lshl_add_u32 v6, v6, 23, v10
	v_or3_b32 v6, v7, v6, v3
.LBB35_1216:
	s_or_b64 exec, exec, s[6:7]
	s_nop 0
	v_mfma_f32_16x16x4f32 a[0:3], v2, v6, a[0:3]
	s_movk_i32 s4, 0x7f
	v_cmp_gt_i16_sdwa s[6:7], v8, s4 src0_sel:BYTE_0 src1_sel:DWORD
	s_mov_b64 s[4:5], 0
                                        ; implicit-def: $sgpr10
	s_and_saveexec_b64 s[8:9], s[6:7]
	s_xor_b64 s[6:7], exec, s[8:9]
	s_cbranch_execnz .LBB35_3265
; %bb.1217:
	s_or_saveexec_b64 s[6:7], s[6:7]
	v_mov_b32_e32 v2, s10
	s_xor_b64 exec, exec, s[6:7]
	s_cbranch_execnz .LBB35_3268
.LBB35_1218:
	s_or_b64 exec, exec, s[6:7]
	s_and_saveexec_b64 s[6:7], s[4:5]
	s_cbranch_execz .LBB35_1220
.LBB35_1219:
	v_and_b32_e32 v2, 7, v8
	v_ffbh_u32_e32 v6, v2
	v_min_u32_e32 v6, 32, v6
	v_lshrrev_b16_e32 v3, 3, v8
	v_subrev_u32_e32 v7, 28, v6
	v_and_b32_e32 v3, 15, v3
	v_lshlrev_b32_e32 v7, v7, v8
	v_sub_u32_e32 v6, 29, v6
	v_and_b32_e32 v7, 7, v7
	v_cmp_eq_u16_e32 vcc, 0, v3
	v_cndmask_b32_e32 v2, v2, v7, vcc
	v_cndmask_b32_e32 v3, v3, v6, vcc
	v_lshlrev_b32_e32 v6, 24, v8
	v_mov_b32_e32 v7, 0x3b800000
	v_lshlrev_b32_e32 v2, 20, v2
	v_and_b32_e32 v6, 0x80000000, v6
	v_lshl_add_u32 v3, v3, 23, v7
	v_or3_b32 v2, v6, v3, v2
.LBB35_1220:
	s_or_b64 exec, exec, s[6:7]
	s_movk_i32 s4, 0x7f
	v_cmp_gt_i16_sdwa s[6:7], v4, s4 src0_sel:BYTE_0 src1_sel:DWORD
	s_mov_b64 s[4:5], 0
                                        ; implicit-def: $sgpr10
	s_and_saveexec_b64 s[8:9], s[6:7]
	s_xor_b64 s[6:7], exec, s[8:9]
	s_cbranch_execnz .LBB35_3269
; %bb.1221:
	s_or_saveexec_b64 s[6:7], s[6:7]
	v_mov_b32_e32 v3, s10
	s_xor_b64 exec, exec, s[6:7]
	s_cbranch_execnz .LBB35_3272
.LBB35_1222:
	s_or_b64 exec, exec, s[6:7]
	s_and_saveexec_b64 s[6:7], s[4:5]
	s_cbranch_execz .LBB35_1224
.LBB35_1223:
	v_and_b32_e32 v3, 7, v4
	v_ffbh_u32_e32 v7, v3
	v_min_u32_e32 v7, 32, v7
	v_lshrrev_b16_e32 v6, 3, v4
	v_subrev_u32_e32 v10, 28, v7
	v_and_b32_e32 v6, 15, v6
	v_lshlrev_b32_e32 v10, v10, v4
	v_sub_u32_e32 v7, 29, v7
	v_and_b32_e32 v10, 7, v10
	v_cmp_eq_u16_e32 vcc, 0, v6
	v_cndmask_b32_e32 v3, v3, v10, vcc
	v_cndmask_b32_e32 v6, v6, v7, vcc
	v_lshlrev_b32_e32 v7, 24, v4
	v_mov_b32_e32 v10, 0x3b800000
	v_lshlrev_b32_e32 v3, 20, v3
	v_and_b32_e32 v7, 0x80000000, v7
	v_lshl_add_u32 v6, v6, 23, v10
	v_or3_b32 v3, v7, v6, v3
.LBB35_1224:
	s_or_b64 exec, exec, s[6:7]
	s_nop 0
	v_mfma_f32_16x16x4f32 a[0:3], v2, v3, a[0:3]
	v_lshrrev_b32_e32 v3, 8, v8
	s_movk_i32 s4, 0x7f
	v_cmp_gt_i16_sdwa s[6:7], v3, s4 src0_sel:BYTE_0 src1_sel:DWORD
	s_mov_b64 s[4:5], 0
                                        ; implicit-def: $sgpr10
	s_and_saveexec_b64 s[8:9], s[6:7]
	s_xor_b64 s[6:7], exec, s[8:9]
	s_cbranch_execnz .LBB35_3273
; %bb.1225:
	s_or_saveexec_b64 s[6:7], s[6:7]
	v_mov_b32_e32 v2, s10
	s_xor_b64 exec, exec, s[6:7]
	s_cbranch_execnz .LBB35_3276
.LBB35_1226:
	s_or_b64 exec, exec, s[6:7]
	s_and_saveexec_b64 s[6:7], s[4:5]
	s_cbranch_execz .LBB35_1228
.LBB35_1227:
	v_bfe_u32 v2, v8, 8, 3
	v_ffbh_u32_e32 v7, v2
	v_min_u32_e32 v7, 32, v7
	v_lshrrev_b16_e32 v6, 3, v3
	v_subrev_u32_e32 v10, 28, v7
	v_and_b32_e32 v6, 15, v6
	v_lshlrev_b32_e32 v3, v10, v3
	v_sub_u32_e32 v7, 29, v7
	v_and_b32_e32 v3, 7, v3
	v_cmp_eq_u16_e32 vcc, 0, v6
	v_cndmask_b32_e32 v2, v2, v3, vcc
	v_cndmask_b32_e32 v3, v6, v7, vcc
	v_lshlrev_b32_e32 v6, 16, v8
	v_mov_b32_e32 v7, 0x3b800000
	v_lshlrev_b32_e32 v2, 20, v2
	v_and_b32_e32 v6, 0x80000000, v6
	v_lshl_add_u32 v3, v3, 23, v7
	v_or3_b32 v2, v6, v3, v2
.LBB35_1228:
	s_or_b64 exec, exec, s[6:7]
	v_lshrrev_b32_e32 v3, 8, v4
	s_movk_i32 s4, 0x7f
	v_cmp_gt_i16_sdwa s[6:7], v3, s4 src0_sel:BYTE_0 src1_sel:DWORD
	s_mov_b64 s[4:5], 0
                                        ; implicit-def: $sgpr10
	s_and_saveexec_b64 s[8:9], s[6:7]
	s_xor_b64 s[6:7], exec, s[8:9]
	s_cbranch_execnz .LBB35_3277
; %bb.1229:
	s_or_saveexec_b64 s[6:7], s[6:7]
	v_mov_b32_e32 v6, s10
	s_xor_b64 exec, exec, s[6:7]
	s_cbranch_execnz .LBB35_3280
.LBB35_1230:
	s_or_b64 exec, exec, s[6:7]
	s_and_saveexec_b64 s[6:7], s[4:5]
	s_cbranch_execz .LBB35_1232
.LBB35_1231:
	v_bfe_u32 v6, v4, 8, 3
	v_ffbh_u32_e32 v10, v6
	v_min_u32_e32 v10, 32, v10
	v_lshrrev_b16_e32 v7, 3, v3
	v_subrev_u32_e32 v11, 28, v10
	v_and_b32_e32 v7, 15, v7
	v_lshlrev_b32_e32 v3, v11, v3
	v_sub_u32_e32 v10, 29, v10
	v_and_b32_e32 v3, 7, v3
	v_cmp_eq_u16_e32 vcc, 0, v7
	v_cndmask_b32_e32 v3, v6, v3, vcc
	v_cndmask_b32_e32 v6, v7, v10, vcc
	v_lshlrev_b32_e32 v7, 16, v4
	v_mov_b32_e32 v10, 0x3b800000
	v_lshlrev_b32_e32 v3, 20, v3
	v_and_b32_e32 v7, 0x80000000, v7
	v_lshl_add_u32 v6, v6, 23, v10
	v_or3_b32 v6, v7, v6, v3
.LBB35_1232:
	s_or_b64 exec, exec, s[6:7]
	s_nop 0
	v_mfma_f32_16x16x4f32 a[0:3], v2, v6, a[0:3]
	s_movk_i32 s4, 0xff
	v_and_b32_sdwa v3, v8, s4 dst_sel:DWORD dst_unused:UNUSED_PAD src0_sel:WORD_1 src1_sel:DWORD
	s_movk_i32 s4, 0x7f
	v_cmp_lt_i16_e32 vcc, s4, v3
	s_mov_b64 s[4:5], 0
                                        ; implicit-def: $sgpr10
	s_and_saveexec_b64 s[6:7], vcc
	s_xor_b64 s[6:7], exec, s[6:7]
	s_cbranch_execnz .LBB35_3281
; %bb.1233:
	s_or_saveexec_b64 s[6:7], s[6:7]
	v_mov_b32_e32 v2, s10
	s_xor_b64 exec, exec, s[6:7]
	s_cbranch_execnz .LBB35_3284
.LBB35_1234:
	s_or_b64 exec, exec, s[6:7]
	s_and_saveexec_b64 s[6:7], s[4:5]
	s_cbranch_execz .LBB35_1236
.LBB35_1235:
	v_bfe_u32 v2, v8, 16, 3
	v_ffbh_u32_e32 v7, v2
	v_min_u32_e32 v7, 32, v7
	v_lshrrev_b32_e32 v3, 19, v8
	v_subrev_u32_e32 v10, 28, v7
	v_and_b32_e32 v3, 15, v3
	v_lshlrev_b32_sdwa v10, v10, v8 dst_sel:DWORD dst_unused:UNUSED_PAD src0_sel:DWORD src1_sel:WORD_1
	v_bfe_u32 v6, v8, 19, 4
	v_sub_u32_e32 v7, 29, v7
	v_and_b32_e32 v10, 7, v10
	v_cmp_eq_u16_e32 vcc, 0, v3
	v_cndmask_b32_e32 v2, v2, v10, vcc
	v_cndmask_b32_e32 v3, v6, v7, vcc
	v_lshlrev_b32_e32 v6, 8, v8
	v_mov_b32_e32 v7, 0x3b800000
	v_lshlrev_b32_e32 v2, 20, v2
	v_and_b32_e32 v6, 0x80000000, v6
	v_lshl_add_u32 v3, v3, 23, v7
	v_or3_b32 v2, v6, v3, v2
.LBB35_1236:
	s_or_b64 exec, exec, s[6:7]
	s_movk_i32 s4, 0xff
	v_and_b32_sdwa v3, v4, s4 dst_sel:DWORD dst_unused:UNUSED_PAD src0_sel:WORD_1 src1_sel:DWORD
	s_movk_i32 s4, 0x7f
	v_cmp_lt_i16_e32 vcc, s4, v3
	s_mov_b64 s[4:5], 0
                                        ; implicit-def: $sgpr10
	s_and_saveexec_b64 s[6:7], vcc
	s_xor_b64 s[6:7], exec, s[6:7]
	s_cbranch_execnz .LBB35_3285
; %bb.1237:
	s_or_saveexec_b64 s[6:7], s[6:7]
	v_mov_b32_e32 v6, s10
	s_xor_b64 exec, exec, s[6:7]
	s_cbranch_execnz .LBB35_3288
.LBB35_1238:
	s_or_b64 exec, exec, s[6:7]
	s_and_saveexec_b64 s[6:7], s[4:5]
	s_cbranch_execz .LBB35_1240
.LBB35_1239:
	v_bfe_u32 v3, v4, 16, 3
	v_ffbh_u32_e32 v10, v3
	v_min_u32_e32 v10, 32, v10
	v_lshrrev_b32_e32 v6, 19, v4
	v_subrev_u32_e32 v11, 28, v10
	v_and_b32_e32 v6, 15, v6
	v_lshlrev_b32_sdwa v11, v11, v4 dst_sel:DWORD dst_unused:UNUSED_PAD src0_sel:DWORD src1_sel:WORD_1
	v_bfe_u32 v7, v4, 19, 4
	v_sub_u32_e32 v10, 29, v10
	v_and_b32_e32 v11, 7, v11
	v_cmp_eq_u16_e32 vcc, 0, v6
	v_cndmask_b32_e32 v3, v3, v11, vcc
	v_cndmask_b32_e32 v6, v7, v10, vcc
	v_lshlrev_b32_e32 v7, 8, v4
	v_mov_b32_e32 v10, 0x3b800000
	v_lshlrev_b32_e32 v3, 20, v3
	v_and_b32_e32 v7, 0x80000000, v7
	v_lshl_add_u32 v6, v6, 23, v10
	v_or3_b32 v6, v7, v6, v3
.LBB35_1240:
	s_or_b64 exec, exec, s[6:7]
	s_nop 0
	v_mfma_f32_16x16x4f32 a[0:3], v2, v6, a[0:3]
	s_movk_i32 s4, 0x7f
	v_cmp_gt_i16_sdwa s[6:7], v8, s4 src0_sel:BYTE_3 src1_sel:DWORD
	s_mov_b64 s[4:5], 0
                                        ; implicit-def: $sgpr10
	s_and_saveexec_b64 s[8:9], s[6:7]
	s_xor_b64 s[6:7], exec, s[8:9]
	s_cbranch_execnz .LBB35_3289
; %bb.1241:
	s_or_saveexec_b64 s[6:7], s[6:7]
	v_mov_b32_e32 v2, s10
	s_xor_b64 exec, exec, s[6:7]
	s_cbranch_execnz .LBB35_3292
.LBB35_1242:
	s_or_b64 exec, exec, s[6:7]
	s_and_saveexec_b64 s[6:7], s[4:5]
	s_cbranch_execz .LBB35_1244
.LBB35_1243:
	v_bfe_u32 v2, v8, 24, 3
	v_ffbh_u32_e32 v10, v2
	v_min_u32_e32 v10, 32, v10
	v_lshrrev_b32_e32 v6, 27, v8
	v_subrev_u32_e32 v11, 28, v10
	v_and_b32_e32 v3, 0x80000000, v8
	v_and_b32_e32 v6, 15, v6
	v_bfe_u32 v7, v8, 27, 4
	v_lshlrev_b32_sdwa v8, v11, v8 dst_sel:DWORD dst_unused:UNUSED_PAD src0_sel:DWORD src1_sel:BYTE_3
	v_sub_u32_e32 v10, 29, v10
	v_and_b32_e32 v8, 7, v8
	v_cmp_eq_u16_e32 vcc, 0, v6
	v_cndmask_b32_e32 v2, v2, v8, vcc
	v_cndmask_b32_e32 v6, v7, v10, vcc
	v_mov_b32_e32 v7, 0x3b800000
	v_lshlrev_b32_e32 v2, 20, v2
	v_lshl_add_u32 v6, v6, 23, v7
	v_or3_b32 v2, v3, v6, v2
.LBB35_1244:
	s_or_b64 exec, exec, s[6:7]
	s_movk_i32 s4, 0x7f
	v_cmp_gt_i16_sdwa s[6:7], v4, s4 src0_sel:BYTE_3 src1_sel:DWORD
	s_mov_b64 s[4:5], 0
                                        ; implicit-def: $sgpr10
	s_and_saveexec_b64 s[8:9], s[6:7]
	s_xor_b64 s[6:7], exec, s[8:9]
	s_cbranch_execnz .LBB35_3293
; %bb.1245:
	s_or_saveexec_b64 s[6:7], s[6:7]
	v_mov_b32_e32 v3, s10
	s_xor_b64 exec, exec, s[6:7]
	s_cbranch_execnz .LBB35_3296
.LBB35_1246:
	s_or_b64 exec, exec, s[6:7]
	s_and_saveexec_b64 s[6:7], s[4:5]
	s_cbranch_execz .LBB35_1248
.LBB35_1247:
	v_bfe_u32 v3, v4, 24, 3
	v_ffbh_u32_e32 v10, v3
	v_min_u32_e32 v10, 32, v10
	v_lshrrev_b32_e32 v7, 27, v4
	v_subrev_u32_e32 v11, 28, v10
	v_and_b32_e32 v6, 0x80000000, v4
	v_and_b32_e32 v7, 15, v7
	v_bfe_u32 v8, v4, 27, 4
	v_lshlrev_b32_sdwa v4, v11, v4 dst_sel:DWORD dst_unused:UNUSED_PAD src0_sel:DWORD src1_sel:BYTE_3
	v_sub_u32_e32 v10, 29, v10
	v_and_b32_e32 v4, 7, v4
	v_cmp_eq_u16_e32 vcc, 0, v7
	v_cndmask_b32_e32 v3, v3, v4, vcc
	v_cndmask_b32_e32 v4, v8, v10, vcc
	v_mov_b32_e32 v7, 0x3b800000
	v_lshlrev_b32_e32 v3, 20, v3
	v_lshl_add_u32 v4, v4, 23, v7
	v_or3_b32 v3, v6, v4, v3
.LBB35_1248:
	s_or_b64 exec, exec, s[6:7]
	s_nop 0
	v_mfma_f32_16x16x4f32 a[0:3], v2, v3, a[0:3]
	s_movk_i32 s4, 0x7f
	v_cmp_gt_i16_sdwa s[6:7], v9, s4 src0_sel:BYTE_0 src1_sel:DWORD
	s_mov_b64 s[4:5], 0
                                        ; implicit-def: $sgpr10
	s_and_saveexec_b64 s[8:9], s[6:7]
	s_xor_b64 s[6:7], exec, s[8:9]
	s_cbranch_execnz .LBB35_3297
; %bb.1249:
	s_or_saveexec_b64 s[6:7], s[6:7]
	v_mov_b32_e32 v2, s10
	s_xor_b64 exec, exec, s[6:7]
	s_cbranch_execnz .LBB35_3300
.LBB35_1250:
	s_or_b64 exec, exec, s[6:7]
	s_and_saveexec_b64 s[6:7], s[4:5]
	s_cbranch_execz .LBB35_1252
.LBB35_1251:
	v_mov_b32_e32 v2, 8
	v_and_b32_e32 v3, 7, v9
	v_lshrrev_b32_sdwa v2, v2, v9 dst_sel:BYTE_1 dst_unused:UNUSED_PAD src0_sel:DWORD src1_sel:DWORD
	v_ffbh_u32_e32 v4, v3
	v_or_b32_sdwa v2, v9, v2 dst_sel:DWORD dst_unused:UNUSED_PAD src0_sel:BYTE_0 src1_sel:DWORD
	v_min_u32_e32 v4, 32, v4
	v_lshrrev_b16_e32 v2, 3, v2
	v_subrev_u32_e32 v6, 28, v4
	v_and_b32_e32 v2, 15, v2
	v_lshlrev_b32_e32 v6, v6, v9
	v_sub_u32_e32 v4, 29, v4
	v_and_b32_e32 v6, 7, v6
	v_cmp_eq_u16_e32 vcc, 0, v2
	v_cndmask_b32_e32 v3, v3, v6, vcc
	v_cndmask_b32_e32 v2, v2, v4, vcc
	v_lshlrev_b32_e32 v4, 24, v9
	v_mov_b32_e32 v6, 0x3b800000
	v_lshlrev_b32_e32 v3, 20, v3
	v_and_b32_e32 v4, 0x80000000, v4
	v_lshl_add_u32 v2, v2, 23, v6
	v_or3_b32 v2, v4, v2, v3
.LBB35_1252:
	s_or_b64 exec, exec, s[6:7]
	s_movk_i32 s4, 0x7f
	v_cmp_gt_i16_sdwa s[6:7], v5, s4 src0_sel:BYTE_0 src1_sel:DWORD
	s_mov_b64 s[4:5], 0
                                        ; implicit-def: $sgpr10
	s_and_saveexec_b64 s[8:9], s[6:7]
	s_xor_b64 s[6:7], exec, s[8:9]
	s_cbranch_execnz .LBB35_3301
; %bb.1253:
	s_or_saveexec_b64 s[6:7], s[6:7]
	v_mov_b32_e32 v3, s10
	s_xor_b64 exec, exec, s[6:7]
	s_cbranch_execnz .LBB35_3304
.LBB35_1254:
	s_or_b64 exec, exec, s[6:7]
	s_and_saveexec_b64 s[6:7], s[4:5]
	s_cbranch_execz .LBB35_1256
.LBB35_1255:
	v_mov_b32_e32 v3, 8
	v_and_b32_e32 v4, 7, v5
	v_lshrrev_b32_sdwa v3, v3, v5 dst_sel:BYTE_1 dst_unused:UNUSED_PAD src0_sel:DWORD src1_sel:DWORD
	v_ffbh_u32_e32 v6, v4
	v_or_b32_sdwa v3, v5, v3 dst_sel:DWORD dst_unused:UNUSED_PAD src0_sel:BYTE_0 src1_sel:DWORD
	v_min_u32_e32 v6, 32, v6
	v_lshrrev_b16_e32 v3, 3, v3
	v_subrev_u32_e32 v7, 28, v6
	v_and_b32_e32 v3, 15, v3
	v_lshlrev_b32_e32 v7, v7, v5
	v_sub_u32_e32 v6, 29, v6
	v_and_b32_e32 v7, 7, v7
	v_cmp_eq_u16_e32 vcc, 0, v3
	v_cndmask_b32_e32 v4, v4, v7, vcc
	v_cndmask_b32_e32 v3, v3, v6, vcc
	v_lshlrev_b32_e32 v6, 24, v5
	v_mov_b32_e32 v7, 0x3b800000
	v_lshlrev_b32_e32 v4, 20, v4
	v_and_b32_e32 v6, 0x80000000, v6
	v_lshl_add_u32 v3, v3, 23, v7
	v_or3_b32 v3, v6, v3, v4
.LBB35_1256:
	s_or_b64 exec, exec, s[6:7]
	s_nop 0
	v_mfma_f32_16x16x4f32 a[0:3], v2, v3, a[0:3]
	v_lshrrev_b32_e32 v3, 8, v9
	s_movk_i32 s4, 0x7f
	v_cmp_gt_i16_sdwa s[6:7], v3, s4 src0_sel:BYTE_0 src1_sel:DWORD
	s_mov_b64 s[4:5], 0
                                        ; implicit-def: $sgpr10
	s_and_saveexec_b64 s[8:9], s[6:7]
	s_xor_b64 s[6:7], exec, s[8:9]
	s_cbranch_execnz .LBB35_3305
; %bb.1257:
	s_or_saveexec_b64 s[6:7], s[6:7]
	v_mov_b32_e32 v2, s10
	s_xor_b64 exec, exec, s[6:7]
	s_cbranch_execnz .LBB35_3308
.LBB35_1258:
	s_or_b64 exec, exec, s[6:7]
	s_and_saveexec_b64 s[6:7], s[4:5]
	s_cbranch_execz .LBB35_1260
.LBB35_1259:
	v_bfe_u32 v2, v9, 8, 3
	v_ffbh_u32_e32 v6, v2
	v_min_u32_e32 v6, 32, v6
	v_lshrrev_b16_e32 v4, 3, v3
	v_subrev_u32_e32 v7, 28, v6
	v_and_b32_e32 v4, 15, v4
	v_lshlrev_b32_e32 v3, v7, v3
	v_sub_u32_e32 v6, 29, v6
	v_and_b32_e32 v3, 7, v3
	v_cmp_eq_u16_e32 vcc, 0, v4
	v_cndmask_b32_e32 v2, v2, v3, vcc
	v_cndmask_b32_e32 v3, v4, v6, vcc
	v_lshlrev_b32_e32 v4, 16, v9
	v_mov_b32_e32 v6, 0x3b800000
	v_lshlrev_b32_e32 v2, 20, v2
	v_and_b32_e32 v4, 0x80000000, v4
	v_lshl_add_u32 v3, v3, 23, v6
	v_or3_b32 v2, v4, v3, v2
.LBB35_1260:
	s_or_b64 exec, exec, s[6:7]
	v_lshrrev_b32_e32 v3, 8, v5
	s_movk_i32 s4, 0x7f
	v_cmp_gt_i16_sdwa s[6:7], v3, s4 src0_sel:BYTE_0 src1_sel:DWORD
	s_mov_b64 s[4:5], 0
                                        ; implicit-def: $sgpr10
	s_and_saveexec_b64 s[8:9], s[6:7]
	s_xor_b64 s[6:7], exec, s[8:9]
	s_cbranch_execnz .LBB35_3309
; %bb.1261:
	s_or_saveexec_b64 s[6:7], s[6:7]
	v_mov_b32_e32 v4, s10
	s_xor_b64 exec, exec, s[6:7]
	s_cbranch_execnz .LBB35_3312
.LBB35_1262:
	s_or_b64 exec, exec, s[6:7]
	s_and_saveexec_b64 s[6:7], s[4:5]
	s_cbranch_execz .LBB35_1264
.LBB35_1263:
	v_bfe_u32 v4, v5, 8, 3
	v_ffbh_u32_e32 v7, v4
	v_min_u32_e32 v7, 32, v7
	v_lshrrev_b16_e32 v6, 3, v3
	v_subrev_u32_e32 v8, 28, v7
	v_and_b32_e32 v6, 15, v6
	v_lshlrev_b32_e32 v3, v8, v3
	v_sub_u32_e32 v7, 29, v7
	v_and_b32_e32 v3, 7, v3
	v_cmp_eq_u16_e32 vcc, 0, v6
	v_cndmask_b32_e32 v3, v4, v3, vcc
	v_cndmask_b32_e32 v4, v6, v7, vcc
	v_lshlrev_b32_e32 v6, 16, v5
	v_mov_b32_e32 v7, 0x3b800000
	v_lshlrev_b32_e32 v3, 20, v3
	v_and_b32_e32 v6, 0x80000000, v6
	v_lshl_add_u32 v4, v4, 23, v7
	v_or3_b32 v4, v6, v4, v3
.LBB35_1264:
	s_or_b64 exec, exec, s[6:7]
	s_nop 0
	v_mfma_f32_16x16x4f32 a[0:3], v2, v4, a[0:3]
	s_movk_i32 s4, 0xff
	v_and_b32_sdwa v3, v9, s4 dst_sel:DWORD dst_unused:UNUSED_PAD src0_sel:WORD_1 src1_sel:DWORD
	s_movk_i32 s4, 0x7f
	v_cmp_lt_i16_e32 vcc, s4, v3
	s_mov_b64 s[4:5], 0
                                        ; implicit-def: $sgpr10
	s_and_saveexec_b64 s[6:7], vcc
	s_xor_b64 s[6:7], exec, s[6:7]
	s_cbranch_execnz .LBB35_3313
; %bb.1265:
	s_or_saveexec_b64 s[6:7], s[6:7]
	v_mov_b32_e32 v2, s10
	s_xor_b64 exec, exec, s[6:7]
	s_cbranch_execnz .LBB35_3316
.LBB35_1266:
	s_or_b64 exec, exec, s[6:7]
	s_and_saveexec_b64 s[6:7], s[4:5]
	s_cbranch_execz .LBB35_1268
.LBB35_1267:
	v_bfe_u32 v2, v9, 16, 3
	v_ffbh_u32_e32 v6, v2
	v_min_u32_e32 v6, 32, v6
	v_lshrrev_b32_e32 v3, 19, v9
	v_subrev_u32_e32 v7, 28, v6
	v_and_b32_e32 v3, 15, v3
	v_lshlrev_b32_sdwa v7, v7, v9 dst_sel:DWORD dst_unused:UNUSED_PAD src0_sel:DWORD src1_sel:WORD_1
	v_bfe_u32 v4, v9, 19, 4
	v_sub_u32_e32 v6, 29, v6
	v_and_b32_e32 v7, 7, v7
	v_cmp_eq_u16_e32 vcc, 0, v3
	v_cndmask_b32_e32 v2, v2, v7, vcc
	v_cndmask_b32_e32 v3, v4, v6, vcc
	v_lshlrev_b32_e32 v4, 8, v9
	v_mov_b32_e32 v6, 0x3b800000
	v_lshlrev_b32_e32 v2, 20, v2
	v_and_b32_e32 v4, 0x80000000, v4
	v_lshl_add_u32 v3, v3, 23, v6
	v_or3_b32 v2, v4, v3, v2
.LBB35_1268:
	s_or_b64 exec, exec, s[6:7]
	s_movk_i32 s4, 0xff
	v_and_b32_sdwa v3, v5, s4 dst_sel:DWORD dst_unused:UNUSED_PAD src0_sel:WORD_1 src1_sel:DWORD
	s_movk_i32 s4, 0x7f
	v_cmp_lt_i16_e32 vcc, s4, v3
	s_mov_b64 s[4:5], 0
                                        ; implicit-def: $sgpr10
	s_and_saveexec_b64 s[6:7], vcc
	s_xor_b64 s[6:7], exec, s[6:7]
	s_cbranch_execnz .LBB35_3317
; %bb.1269:
	s_or_saveexec_b64 s[6:7], s[6:7]
	v_mov_b32_e32 v4, s10
	s_xor_b64 exec, exec, s[6:7]
	s_cbranch_execnz .LBB35_3320
.LBB35_1270:
	s_or_b64 exec, exec, s[6:7]
	s_and_saveexec_b64 s[6:7], s[4:5]
	s_cbranch_execz .LBB35_1272
.LBB35_1271:
	v_bfe_u32 v3, v5, 16, 3
	v_ffbh_u32_e32 v7, v3
	v_min_u32_e32 v7, 32, v7
	v_lshrrev_b32_e32 v4, 19, v5
	v_subrev_u32_e32 v8, 28, v7
	v_and_b32_e32 v4, 15, v4
	v_lshlrev_b32_sdwa v8, v8, v5 dst_sel:DWORD dst_unused:UNUSED_PAD src0_sel:DWORD src1_sel:WORD_1
	v_bfe_u32 v6, v5, 19, 4
	v_sub_u32_e32 v7, 29, v7
	v_and_b32_e32 v8, 7, v8
	v_cmp_eq_u16_e32 vcc, 0, v4
	v_cndmask_b32_e32 v3, v3, v8, vcc
	v_cndmask_b32_e32 v4, v6, v7, vcc
	v_lshlrev_b32_e32 v6, 8, v5
	v_mov_b32_e32 v7, 0x3b800000
	v_lshlrev_b32_e32 v3, 20, v3
	v_and_b32_e32 v6, 0x80000000, v6
	v_lshl_add_u32 v4, v4, 23, v7
	v_or3_b32 v4, v6, v4, v3
.LBB35_1272:
	s_or_b64 exec, exec, s[6:7]
	s_nop 0
	v_mfma_f32_16x16x4f32 a[0:3], v2, v4, a[0:3]
	s_movk_i32 s4, 0x7f
	v_cmp_gt_i16_sdwa s[6:7], v9, s4 src0_sel:BYTE_3 src1_sel:DWORD
	s_mov_b64 s[4:5], 0
                                        ; implicit-def: $sgpr10
	s_and_saveexec_b64 s[8:9], s[6:7]
	s_xor_b64 s[6:7], exec, s[8:9]
	s_cbranch_execnz .LBB35_3321
; %bb.1273:
	s_or_saveexec_b64 s[6:7], s[6:7]
	v_mov_b32_e32 v2, s10
	s_xor_b64 exec, exec, s[6:7]
	s_cbranch_execnz .LBB35_3324
.LBB35_1274:
	s_or_b64 exec, exec, s[6:7]
	s_and_saveexec_b64 s[6:7], s[4:5]
	s_cbranch_execz .LBB35_1276
.LBB35_1275:
	v_bfe_u32 v2, v9, 24, 3
	v_ffbh_u32_e32 v7, v2
	v_min_u32_e32 v7, 32, v7
	v_lshrrev_b32_e32 v4, 27, v9
	v_subrev_u32_e32 v8, 28, v7
	v_and_b32_e32 v4, 15, v4
	v_lshlrev_b32_sdwa v8, v8, v9 dst_sel:DWORD dst_unused:UNUSED_PAD src0_sel:DWORD src1_sel:BYTE_3
	v_bfe_u32 v6, v9, 27, 4
	v_sub_u32_e32 v7, 29, v7
	v_and_b32_e32 v8, 7, v8
	v_cmp_eq_u16_e32 vcc, 0, v4
	v_cndmask_b32_e32 v2, v2, v8, vcc
	v_cndmask_b32_e32 v4, v6, v7, vcc
	v_mov_b32_e32 v6, 0x3b800000
	v_and_b32_e32 v3, 0x80000000, v9
	v_lshlrev_b32_e32 v2, 20, v2
	v_lshl_add_u32 v4, v4, 23, v6
	v_or3_b32 v2, v3, v4, v2
.LBB35_1276:
	s_or_b64 exec, exec, s[6:7]
	s_movk_i32 s4, 0x7f
	v_cmp_gt_i16_sdwa s[6:7], v5, s4 src0_sel:BYTE_3 src1_sel:DWORD
	s_mov_b64 s[4:5], 0
                                        ; implicit-def: $sgpr10
	s_and_saveexec_b64 s[8:9], s[6:7]
	s_xor_b64 s[6:7], exec, s[8:9]
	s_cbranch_execnz .LBB35_3325
; %bb.1277:
	s_or_saveexec_b64 s[6:7], s[6:7]
	v_mov_b32_e32 v3, s10
	s_xor_b64 exec, exec, s[6:7]
	s_cbranch_execnz .LBB35_3328
.LBB35_1278:
	s_or_b64 exec, exec, s[6:7]
	s_and_saveexec_b64 s[6:7], s[4:5]
	s_cbranch_execz .LBB35_1280
.LBB35_1279:
	v_bfe_u32 v3, v5, 24, 3
	v_ffbh_u32_e32 v8, v3
	v_min_u32_e32 v8, 32, v8
	v_lshrrev_b32_e32 v6, 27, v5
	v_subrev_u32_e32 v9, 28, v8
	v_and_b32_e32 v4, 0x80000000, v5
	v_and_b32_e32 v6, 15, v6
	v_bfe_u32 v7, v5, 27, 4
	v_lshlrev_b32_sdwa v5, v9, v5 dst_sel:DWORD dst_unused:UNUSED_PAD src0_sel:DWORD src1_sel:BYTE_3
	v_sub_u32_e32 v8, 29, v8
	v_and_b32_e32 v5, 7, v5
	v_cmp_eq_u16_e32 vcc, 0, v6
	v_cndmask_b32_e32 v3, v3, v5, vcc
	v_cndmask_b32_e32 v5, v7, v8, vcc
	v_mov_b32_e32 v6, 0x3b800000
	v_lshlrev_b32_e32 v3, 20, v3
	v_lshl_add_u32 v5, v5, 23, v6
	v_or3_b32 v3, v4, v5, v3
.LBB35_1280:
	s_or_b64 exec, exec, s[6:7]
	s_nop 0
	v_mfma_f32_16x16x4f32 a[0:3], v2, v3, a[0:3]
	s_movk_i32 s4, 0x7f
                                        ; implicit-def: $sgpr10
	s_nop 7
	s_nop 1
	flat_store_dwordx4 v[18:19], a[0:3] offset:960
	flat_load_dwordx4 v[20:23], v[0:1] offset:16
	s_nop 0
	flat_load_dwordx2 v[18:19], v[0:1] offset:32
	s_waitcnt vmcnt(0) lgkmcnt(0)
	flat_load_dwordx4 v[14:17], v[20:21] offset:32
	flat_load_dwordx4 v[6:9], v[20:21] offset:48
	flat_load_dwordx4 v[10:13], v[22:23] offset:160
	flat_load_dwordx4 v[2:5], v[22:23] offset:176
	s_waitcnt vmcnt(0) lgkmcnt(0)
	v_cmp_gt_i16_sdwa s[6:7], v14, s4 src0_sel:BYTE_0 src1_sel:DWORD
	s_mov_b64 s[4:5], 0
	s_and_saveexec_b64 s[8:9], s[6:7]
	s_xor_b64 s[6:7], exec, s[8:9]
	s_cbranch_execnz .LBB35_3329
; %bb.1281:
	s_or_saveexec_b64 s[6:7], s[6:7]
	v_mov_b32_e32 v20, s10
	s_xor_b64 exec, exec, s[6:7]
	s_cbranch_execnz .LBB35_3332
.LBB35_1282:
	s_or_b64 exec, exec, s[6:7]
	s_and_saveexec_b64 s[6:7], s[4:5]
	s_cbranch_execz .LBB35_1284
.LBB35_1283:
	v_and_b32_e32 v20, 7, v14
	v_ffbh_u32_e32 v22, v20
	v_min_u32_e32 v22, 32, v22
	v_lshrrev_b16_e32 v21, 3, v14
	v_subrev_u32_e32 v23, 28, v22
	v_and_b32_e32 v21, 15, v21
	v_lshlrev_b32_e32 v23, v23, v14
	v_sub_u32_e32 v22, 29, v22
	v_and_b32_e32 v23, 7, v23
	v_cmp_eq_u16_e32 vcc, 0, v21
	v_cndmask_b32_e32 v20, v20, v23, vcc
	v_cndmask_b32_e32 v21, v21, v22, vcc
	v_lshlrev_b32_e32 v22, 24, v14
	v_mov_b32_e32 v23, 0x3b800000
	v_lshlrev_b32_e32 v20, 20, v20
	v_and_b32_e32 v22, 0x80000000, v22
	v_lshl_add_u32 v21, v21, 23, v23
	v_or3_b32 v20, v22, v21, v20
.LBB35_1284:
	s_or_b64 exec, exec, s[6:7]
	s_movk_i32 s4, 0x7f
	v_cmp_gt_i16_sdwa s[6:7], v10, s4 src0_sel:BYTE_0 src1_sel:DWORD
	s_mov_b64 s[4:5], 0
                                        ; implicit-def: $sgpr10
	s_and_saveexec_b64 s[8:9], s[6:7]
	s_xor_b64 s[6:7], exec, s[8:9]
	s_cbranch_execnz .LBB35_3333
; %bb.1285:
	s_or_saveexec_b64 s[6:7], s[6:7]
	v_mov_b32_e32 v21, s10
	s_xor_b64 exec, exec, s[6:7]
	s_cbranch_execnz .LBB35_3336
.LBB35_1286:
	s_or_b64 exec, exec, s[6:7]
	s_and_saveexec_b64 s[6:7], s[4:5]
	s_cbranch_execz .LBB35_1288
.LBB35_1287:
	v_and_b32_e32 v21, 7, v10
	v_ffbh_u32_e32 v23, v21
	v_min_u32_e32 v23, 32, v23
	v_lshrrev_b16_e32 v22, 3, v10
	v_subrev_u32_e32 v24, 28, v23
	v_and_b32_e32 v22, 15, v22
	v_lshlrev_b32_e32 v24, v24, v10
	v_sub_u32_e32 v23, 29, v23
	v_and_b32_e32 v24, 7, v24
	v_cmp_eq_u16_e32 vcc, 0, v22
	v_cndmask_b32_e32 v21, v21, v24, vcc
	v_cndmask_b32_e32 v22, v22, v23, vcc
	v_lshlrev_b32_e32 v23, 24, v10
	v_mov_b32_e32 v24, 0x3b800000
	v_lshlrev_b32_e32 v21, 20, v21
	v_and_b32_e32 v23, 0x80000000, v23
	v_lshl_add_u32 v22, v22, 23, v24
	v_or3_b32 v21, v23, v22, v21
.LBB35_1288:
	s_or_b64 exec, exec, s[6:7]
	flat_load_dwordx4 a[0:3], v[18:19] offset:976
	s_movk_i32 s4, 0x7f
                                        ; implicit-def: $sgpr10
	s_waitcnt vmcnt(0) lgkmcnt(0)
	v_mfma_f32_16x16x4f32 a[0:3], v20, v21, a[0:3]
	v_lshrrev_b32_e32 v21, 8, v14
	v_cmp_gt_i16_sdwa s[6:7], v21, s4 src0_sel:BYTE_0 src1_sel:DWORD
	s_mov_b64 s[4:5], 0
	s_and_saveexec_b64 s[8:9], s[6:7]
	s_xor_b64 s[6:7], exec, s[8:9]
	s_cbranch_execnz .LBB35_3337
; %bb.1289:
	s_or_saveexec_b64 s[6:7], s[6:7]
	v_mov_b32_e32 v20, s10
	s_xor_b64 exec, exec, s[6:7]
	s_cbranch_execnz .LBB35_3340
.LBB35_1290:
	s_or_b64 exec, exec, s[6:7]
	s_and_saveexec_b64 s[6:7], s[4:5]
	s_cbranch_execz .LBB35_1292
.LBB35_1291:
	v_bfe_u32 v20, v14, 8, 3
	v_ffbh_u32_e32 v23, v20
	v_min_u32_e32 v23, 32, v23
	v_lshrrev_b16_e32 v22, 3, v21
	v_subrev_u32_e32 v24, 28, v23
	v_and_b32_e32 v22, 15, v22
	v_lshlrev_b32_e32 v21, v24, v21
	v_sub_u32_e32 v23, 29, v23
	v_and_b32_e32 v21, 7, v21
	v_cmp_eq_u16_e32 vcc, 0, v22
	v_cndmask_b32_e32 v20, v20, v21, vcc
	v_cndmask_b32_e32 v21, v22, v23, vcc
	v_lshlrev_b32_e32 v22, 16, v14
	v_mov_b32_e32 v23, 0x3b800000
	v_lshlrev_b32_e32 v20, 20, v20
	v_and_b32_e32 v22, 0x80000000, v22
	v_lshl_add_u32 v21, v21, 23, v23
	v_or3_b32 v20, v22, v21, v20
.LBB35_1292:
	s_or_b64 exec, exec, s[6:7]
	v_lshrrev_b32_e32 v21, 8, v10
	s_movk_i32 s4, 0x7f
	v_cmp_gt_i16_sdwa s[6:7], v21, s4 src0_sel:BYTE_0 src1_sel:DWORD
	s_mov_b64 s[4:5], 0
                                        ; implicit-def: $sgpr10
	s_and_saveexec_b64 s[8:9], s[6:7]
	s_xor_b64 s[6:7], exec, s[8:9]
	s_cbranch_execnz .LBB35_3341
; %bb.1293:
	s_or_saveexec_b64 s[6:7], s[6:7]
	v_mov_b32_e32 v22, s10
	s_xor_b64 exec, exec, s[6:7]
	s_cbranch_execnz .LBB35_3344
.LBB35_1294:
	s_or_b64 exec, exec, s[6:7]
	s_and_saveexec_b64 s[6:7], s[4:5]
	s_cbranch_execz .LBB35_1296
.LBB35_1295:
	v_bfe_u32 v22, v10, 8, 3
	v_ffbh_u32_e32 v24, v22
	v_min_u32_e32 v24, 32, v24
	v_lshrrev_b16_e32 v23, 3, v21
	v_subrev_u32_e32 v25, 28, v24
	v_and_b32_e32 v23, 15, v23
	v_lshlrev_b32_e32 v21, v25, v21
	v_sub_u32_e32 v24, 29, v24
	v_and_b32_e32 v21, 7, v21
	v_cmp_eq_u16_e32 vcc, 0, v23
	v_cndmask_b32_e32 v21, v22, v21, vcc
	v_cndmask_b32_e32 v22, v23, v24, vcc
	v_lshlrev_b32_e32 v23, 16, v10
	v_mov_b32_e32 v24, 0x3b800000
	v_lshlrev_b32_e32 v21, 20, v21
	v_and_b32_e32 v23, 0x80000000, v23
	v_lshl_add_u32 v22, v22, 23, v24
	v_or3_b32 v22, v23, v22, v21
.LBB35_1296:
	s_or_b64 exec, exec, s[6:7]
	s_nop 0
	v_mfma_f32_16x16x4f32 a[0:3], v20, v22, a[0:3]
	s_movk_i32 s4, 0xff
	v_and_b32_sdwa v21, v14, s4 dst_sel:DWORD dst_unused:UNUSED_PAD src0_sel:WORD_1 src1_sel:DWORD
	s_movk_i32 s4, 0x7f
	v_cmp_lt_i16_e32 vcc, s4, v21
	s_mov_b64 s[4:5], 0
                                        ; implicit-def: $sgpr10
	s_and_saveexec_b64 s[6:7], vcc
	s_xor_b64 s[6:7], exec, s[6:7]
	s_cbranch_execnz .LBB35_3345
; %bb.1297:
	s_or_saveexec_b64 s[6:7], s[6:7]
	v_mov_b32_e32 v20, s10
	s_xor_b64 exec, exec, s[6:7]
	s_cbranch_execnz .LBB35_3348
.LBB35_1298:
	s_or_b64 exec, exec, s[6:7]
	s_and_saveexec_b64 s[6:7], s[4:5]
	s_cbranch_execz .LBB35_1300
.LBB35_1299:
	v_bfe_u32 v20, v14, 16, 3
	v_ffbh_u32_e32 v23, v20
	v_min_u32_e32 v23, 32, v23
	v_lshrrev_b32_e32 v21, 19, v14
	v_subrev_u32_e32 v24, 28, v23
	v_and_b32_e32 v21, 15, v21
	v_lshlrev_b32_sdwa v24, v24, v14 dst_sel:DWORD dst_unused:UNUSED_PAD src0_sel:DWORD src1_sel:WORD_1
	v_bfe_u32 v22, v14, 19, 4
	v_sub_u32_e32 v23, 29, v23
	v_and_b32_e32 v24, 7, v24
	v_cmp_eq_u16_e32 vcc, 0, v21
	v_cndmask_b32_e32 v20, v20, v24, vcc
	v_cndmask_b32_e32 v21, v22, v23, vcc
	v_lshlrev_b32_e32 v22, 8, v14
	v_mov_b32_e32 v23, 0x3b800000
	v_lshlrev_b32_e32 v20, 20, v20
	v_and_b32_e32 v22, 0x80000000, v22
	v_lshl_add_u32 v21, v21, 23, v23
	v_or3_b32 v20, v22, v21, v20
.LBB35_1300:
	s_or_b64 exec, exec, s[6:7]
	s_movk_i32 s4, 0xff
	v_and_b32_sdwa v21, v10, s4 dst_sel:DWORD dst_unused:UNUSED_PAD src0_sel:WORD_1 src1_sel:DWORD
	s_movk_i32 s4, 0x7f
	v_cmp_lt_i16_e32 vcc, s4, v21
	s_mov_b64 s[4:5], 0
                                        ; implicit-def: $sgpr10
	s_and_saveexec_b64 s[6:7], vcc
	s_xor_b64 s[6:7], exec, s[6:7]
	s_cbranch_execnz .LBB35_3349
; %bb.1301:
	s_or_saveexec_b64 s[6:7], s[6:7]
	v_mov_b32_e32 v22, s10
	s_xor_b64 exec, exec, s[6:7]
	s_cbranch_execnz .LBB35_3352
.LBB35_1302:
	s_or_b64 exec, exec, s[6:7]
	s_and_saveexec_b64 s[6:7], s[4:5]
	s_cbranch_execz .LBB35_1304
.LBB35_1303:
	v_bfe_u32 v21, v10, 16, 3
	v_ffbh_u32_e32 v24, v21
	v_min_u32_e32 v24, 32, v24
	v_lshrrev_b32_e32 v22, 19, v10
	v_subrev_u32_e32 v25, 28, v24
	v_and_b32_e32 v22, 15, v22
	v_lshlrev_b32_sdwa v25, v25, v10 dst_sel:DWORD dst_unused:UNUSED_PAD src0_sel:DWORD src1_sel:WORD_1
	v_bfe_u32 v23, v10, 19, 4
	v_sub_u32_e32 v24, 29, v24
	v_and_b32_e32 v25, 7, v25
	v_cmp_eq_u16_e32 vcc, 0, v22
	v_cndmask_b32_e32 v21, v21, v25, vcc
	v_cndmask_b32_e32 v22, v23, v24, vcc
	v_lshlrev_b32_e32 v23, 8, v10
	v_mov_b32_e32 v24, 0x3b800000
	v_lshlrev_b32_e32 v21, 20, v21
	v_and_b32_e32 v23, 0x80000000, v23
	v_lshl_add_u32 v22, v22, 23, v24
	v_or3_b32 v22, v23, v22, v21
.LBB35_1304:
	s_or_b64 exec, exec, s[6:7]
	s_nop 0
	v_mfma_f32_16x16x4f32 a[0:3], v20, v22, a[0:3]
	s_movk_i32 s4, 0x7f
	v_cmp_gt_i16_sdwa s[6:7], v14, s4 src0_sel:BYTE_3 src1_sel:DWORD
	s_mov_b64 s[4:5], 0
                                        ; implicit-def: $sgpr10
	s_and_saveexec_b64 s[8:9], s[6:7]
	s_xor_b64 s[6:7], exec, s[8:9]
	s_cbranch_execnz .LBB35_3353
; %bb.1305:
	s_or_saveexec_b64 s[6:7], s[6:7]
	v_mov_b32_e32 v20, s10
	s_xor_b64 exec, exec, s[6:7]
	s_cbranch_execnz .LBB35_3356
.LBB35_1306:
	s_or_b64 exec, exec, s[6:7]
	s_and_saveexec_b64 s[6:7], s[4:5]
	s_cbranch_execz .LBB35_1308
.LBB35_1307:
	v_bfe_u32 v20, v14, 24, 3
	v_ffbh_u32_e32 v24, v20
	v_min_u32_e32 v24, 32, v24
	v_lshrrev_b32_e32 v22, 27, v14
	v_subrev_u32_e32 v25, 28, v24
	v_and_b32_e32 v21, 0x80000000, v14
	v_and_b32_e32 v22, 15, v22
	v_bfe_u32 v23, v14, 27, 4
	v_lshlrev_b32_sdwa v14, v25, v14 dst_sel:DWORD dst_unused:UNUSED_PAD src0_sel:DWORD src1_sel:BYTE_3
	v_sub_u32_e32 v24, 29, v24
	v_and_b32_e32 v14, 7, v14
	v_cmp_eq_u16_e32 vcc, 0, v22
	v_cndmask_b32_e32 v14, v20, v14, vcc
	v_cndmask_b32_e32 v20, v23, v24, vcc
	v_mov_b32_e32 v22, 0x3b800000
	v_lshlrev_b32_e32 v14, 20, v14
	v_lshl_add_u32 v20, v20, 23, v22
	v_or3_b32 v20, v21, v20, v14
.LBB35_1308:
	s_or_b64 exec, exec, s[6:7]
	s_movk_i32 s4, 0x7f
	v_cmp_gt_i16_sdwa s[6:7], v10, s4 src0_sel:BYTE_3 src1_sel:DWORD
	s_mov_b64 s[4:5], 0
                                        ; implicit-def: $sgpr10
	s_and_saveexec_b64 s[8:9], s[6:7]
	s_xor_b64 s[6:7], exec, s[8:9]
	s_cbranch_execnz .LBB35_3357
; %bb.1309:
	s_or_saveexec_b64 s[6:7], s[6:7]
	v_mov_b32_e32 v14, s10
	s_xor_b64 exec, exec, s[6:7]
	s_cbranch_execnz .LBB35_3360
.LBB35_1310:
	s_or_b64 exec, exec, s[6:7]
	s_and_saveexec_b64 s[6:7], s[4:5]
	s_cbranch_execz .LBB35_1312
.LBB35_1311:
	v_bfe_u32 v14, v10, 24, 3
	v_ffbh_u32_e32 v24, v14
	v_min_u32_e32 v24, 32, v24
	v_lshrrev_b32_e32 v22, 27, v10
	v_subrev_u32_e32 v25, 28, v24
	v_and_b32_e32 v21, 0x80000000, v10
	v_and_b32_e32 v22, 15, v22
	v_bfe_u32 v23, v10, 27, 4
	v_lshlrev_b32_sdwa v10, v25, v10 dst_sel:DWORD dst_unused:UNUSED_PAD src0_sel:DWORD src1_sel:BYTE_3
	v_sub_u32_e32 v24, 29, v24
	v_and_b32_e32 v10, 7, v10
	v_cmp_eq_u16_e32 vcc, 0, v22
	v_cndmask_b32_e32 v10, v14, v10, vcc
	v_cndmask_b32_e32 v14, v23, v24, vcc
	v_mov_b32_e32 v22, 0x3b800000
	v_lshlrev_b32_e32 v10, 20, v10
	v_lshl_add_u32 v14, v14, 23, v22
	v_or3_b32 v14, v21, v14, v10
.LBB35_1312:
	s_or_b64 exec, exec, s[6:7]
	s_nop 0
	v_mfma_f32_16x16x4f32 a[0:3], v20, v14, a[0:3]
	s_movk_i32 s4, 0x7f
	v_cmp_gt_i16_sdwa s[6:7], v15, s4 src0_sel:BYTE_0 src1_sel:DWORD
	s_mov_b64 s[4:5], 0
                                        ; implicit-def: $sgpr10
	s_and_saveexec_b64 s[8:9], s[6:7]
	s_xor_b64 s[6:7], exec, s[8:9]
	s_cbranch_execnz .LBB35_3361
; %bb.1313:
	s_or_saveexec_b64 s[6:7], s[6:7]
	v_mov_b32_e32 v10, s10
	s_xor_b64 exec, exec, s[6:7]
	s_cbranch_execnz .LBB35_3364
.LBB35_1314:
	s_or_b64 exec, exec, s[6:7]
	s_and_saveexec_b64 s[6:7], s[4:5]
	s_cbranch_execz .LBB35_1316
.LBB35_1315:
	v_and_b32_e32 v10, 7, v15
	v_ffbh_u32_e32 v20, v10
	v_min_u32_e32 v20, 32, v20
	v_lshrrev_b16_e32 v14, 3, v15
	v_subrev_u32_e32 v21, 28, v20
	v_and_b32_e32 v14, 15, v14
	v_lshlrev_b32_e32 v21, v21, v15
	v_sub_u32_e32 v20, 29, v20
	v_and_b32_e32 v21, 7, v21
	v_cmp_eq_u16_e32 vcc, 0, v14
	v_cndmask_b32_e32 v10, v10, v21, vcc
	v_cndmask_b32_e32 v14, v14, v20, vcc
	v_lshlrev_b32_e32 v20, 24, v15
	v_mov_b32_e32 v21, 0x3b800000
	v_lshlrev_b32_e32 v10, 20, v10
	v_and_b32_e32 v20, 0x80000000, v20
	v_lshl_add_u32 v14, v14, 23, v21
	v_or3_b32 v10, v20, v14, v10
.LBB35_1316:
	s_or_b64 exec, exec, s[6:7]
	s_movk_i32 s4, 0x7f
	v_cmp_gt_i16_sdwa s[6:7], v11, s4 src0_sel:BYTE_0 src1_sel:DWORD
	s_mov_b64 s[4:5], 0
                                        ; implicit-def: $sgpr10
	s_and_saveexec_b64 s[8:9], s[6:7]
	s_xor_b64 s[6:7], exec, s[8:9]
	s_cbranch_execnz .LBB35_3365
; %bb.1317:
	s_or_saveexec_b64 s[6:7], s[6:7]
	v_mov_b32_e32 v14, s10
	s_xor_b64 exec, exec, s[6:7]
	s_cbranch_execnz .LBB35_3368
.LBB35_1318:
	s_or_b64 exec, exec, s[6:7]
	s_and_saveexec_b64 s[6:7], s[4:5]
	s_cbranch_execz .LBB35_1320
.LBB35_1319:
	v_and_b32_e32 v14, 7, v11
	v_ffbh_u32_e32 v21, v14
	v_min_u32_e32 v21, 32, v21
	v_lshrrev_b16_e32 v20, 3, v11
	v_subrev_u32_e32 v22, 28, v21
	v_and_b32_e32 v20, 15, v20
	v_lshlrev_b32_e32 v22, v22, v11
	v_sub_u32_e32 v21, 29, v21
	v_and_b32_e32 v22, 7, v22
	v_cmp_eq_u16_e32 vcc, 0, v20
	v_cndmask_b32_e32 v14, v14, v22, vcc
	v_cndmask_b32_e32 v20, v20, v21, vcc
	v_lshlrev_b32_e32 v21, 24, v11
	v_mov_b32_e32 v22, 0x3b800000
	v_lshlrev_b32_e32 v14, 20, v14
	v_and_b32_e32 v21, 0x80000000, v21
	v_lshl_add_u32 v20, v20, 23, v22
	v_or3_b32 v14, v21, v20, v14
.LBB35_1320:
	s_or_b64 exec, exec, s[6:7]
	s_nop 0
	v_mfma_f32_16x16x4f32 a[0:3], v10, v14, a[0:3]
	v_lshrrev_b32_e32 v14, 8, v15
	s_movk_i32 s4, 0x7f
	v_cmp_gt_i16_sdwa s[6:7], v14, s4 src0_sel:BYTE_0 src1_sel:DWORD
	s_mov_b64 s[4:5], 0
                                        ; implicit-def: $sgpr10
	s_and_saveexec_b64 s[8:9], s[6:7]
	s_xor_b64 s[6:7], exec, s[8:9]
	s_cbranch_execnz .LBB35_3369
; %bb.1321:
	s_or_saveexec_b64 s[6:7], s[6:7]
	v_mov_b32_e32 v10, s10
	s_xor_b64 exec, exec, s[6:7]
	s_cbranch_execnz .LBB35_3372
.LBB35_1322:
	s_or_b64 exec, exec, s[6:7]
	s_and_saveexec_b64 s[6:7], s[4:5]
	s_cbranch_execz .LBB35_1324
.LBB35_1323:
	v_bfe_u32 v10, v15, 8, 3
	v_ffbh_u32_e32 v21, v10
	v_min_u32_e32 v21, 32, v21
	v_lshrrev_b16_e32 v20, 3, v14
	v_subrev_u32_e32 v22, 28, v21
	v_and_b32_e32 v20, 15, v20
	v_lshlrev_b32_e32 v14, v22, v14
	v_sub_u32_e32 v21, 29, v21
	v_and_b32_e32 v14, 7, v14
	v_cmp_eq_u16_e32 vcc, 0, v20
	v_cndmask_b32_e32 v10, v10, v14, vcc
	v_cndmask_b32_e32 v14, v20, v21, vcc
	v_lshlrev_b32_e32 v20, 16, v15
	v_mov_b32_e32 v21, 0x3b800000
	v_lshlrev_b32_e32 v10, 20, v10
	v_and_b32_e32 v20, 0x80000000, v20
	v_lshl_add_u32 v14, v14, 23, v21
	v_or3_b32 v10, v20, v14, v10
.LBB35_1324:
	s_or_b64 exec, exec, s[6:7]
	v_lshrrev_b32_e32 v14, 8, v11
	s_movk_i32 s4, 0x7f
	v_cmp_gt_i16_sdwa s[6:7], v14, s4 src0_sel:BYTE_0 src1_sel:DWORD
	s_mov_b64 s[4:5], 0
                                        ; implicit-def: $sgpr10
	s_and_saveexec_b64 s[8:9], s[6:7]
	s_xor_b64 s[6:7], exec, s[8:9]
	s_cbranch_execnz .LBB35_3373
; %bb.1325:
	s_or_saveexec_b64 s[6:7], s[6:7]
	v_mov_b32_e32 v20, s10
	s_xor_b64 exec, exec, s[6:7]
	s_cbranch_execnz .LBB35_3376
.LBB35_1326:
	s_or_b64 exec, exec, s[6:7]
	s_and_saveexec_b64 s[6:7], s[4:5]
	s_cbranch_execz .LBB35_1328
.LBB35_1327:
	v_bfe_u32 v20, v11, 8, 3
	v_ffbh_u32_e32 v22, v20
	v_min_u32_e32 v22, 32, v22
	v_lshrrev_b16_e32 v21, 3, v14
	v_subrev_u32_e32 v23, 28, v22
	v_and_b32_e32 v21, 15, v21
	v_lshlrev_b32_e32 v14, v23, v14
	v_sub_u32_e32 v22, 29, v22
	v_and_b32_e32 v14, 7, v14
	v_cmp_eq_u16_e32 vcc, 0, v21
	v_cndmask_b32_e32 v14, v20, v14, vcc
	v_cndmask_b32_e32 v20, v21, v22, vcc
	v_lshlrev_b32_e32 v21, 16, v11
	v_mov_b32_e32 v22, 0x3b800000
	v_lshlrev_b32_e32 v14, 20, v14
	v_and_b32_e32 v21, 0x80000000, v21
	v_lshl_add_u32 v20, v20, 23, v22
	v_or3_b32 v20, v21, v20, v14
.LBB35_1328:
	s_or_b64 exec, exec, s[6:7]
	s_nop 0
	v_mfma_f32_16x16x4f32 a[0:3], v10, v20, a[0:3]
	s_movk_i32 s4, 0xff
	v_and_b32_sdwa v14, v15, s4 dst_sel:DWORD dst_unused:UNUSED_PAD src0_sel:WORD_1 src1_sel:DWORD
	s_movk_i32 s4, 0x7f
	v_cmp_lt_i16_e32 vcc, s4, v14
	s_mov_b64 s[4:5], 0
                                        ; implicit-def: $sgpr10
	s_and_saveexec_b64 s[6:7], vcc
	s_xor_b64 s[6:7], exec, s[6:7]
	s_cbranch_execnz .LBB35_3377
; %bb.1329:
	s_or_saveexec_b64 s[6:7], s[6:7]
	v_mov_b32_e32 v10, s10
	s_xor_b64 exec, exec, s[6:7]
	s_cbranch_execnz .LBB35_3380
.LBB35_1330:
	s_or_b64 exec, exec, s[6:7]
	s_and_saveexec_b64 s[6:7], s[4:5]
	s_cbranch_execz .LBB35_1332
.LBB35_1331:
	v_bfe_u32 v10, v15, 16, 3
	v_ffbh_u32_e32 v21, v10
	v_min_u32_e32 v21, 32, v21
	v_lshrrev_b32_e32 v14, 19, v15
	v_subrev_u32_e32 v22, 28, v21
	v_and_b32_e32 v14, 15, v14
	v_lshlrev_b32_sdwa v22, v22, v15 dst_sel:DWORD dst_unused:UNUSED_PAD src0_sel:DWORD src1_sel:WORD_1
	v_bfe_u32 v20, v15, 19, 4
	v_sub_u32_e32 v21, 29, v21
	v_and_b32_e32 v22, 7, v22
	v_cmp_eq_u16_e32 vcc, 0, v14
	v_cndmask_b32_e32 v10, v10, v22, vcc
	v_cndmask_b32_e32 v14, v20, v21, vcc
	v_lshlrev_b32_e32 v20, 8, v15
	v_mov_b32_e32 v21, 0x3b800000
	v_lshlrev_b32_e32 v10, 20, v10
	v_and_b32_e32 v20, 0x80000000, v20
	v_lshl_add_u32 v14, v14, 23, v21
	v_or3_b32 v10, v20, v14, v10
.LBB35_1332:
	s_or_b64 exec, exec, s[6:7]
	s_movk_i32 s4, 0xff
	v_and_b32_sdwa v14, v11, s4 dst_sel:DWORD dst_unused:UNUSED_PAD src0_sel:WORD_1 src1_sel:DWORD
	s_movk_i32 s4, 0x7f
	v_cmp_lt_i16_e32 vcc, s4, v14
	s_mov_b64 s[4:5], 0
                                        ; implicit-def: $sgpr10
	s_and_saveexec_b64 s[6:7], vcc
	s_xor_b64 s[6:7], exec, s[6:7]
	s_cbranch_execnz .LBB35_3381
; %bb.1333:
	s_or_saveexec_b64 s[6:7], s[6:7]
	v_mov_b32_e32 v20, s10
	s_xor_b64 exec, exec, s[6:7]
	s_cbranch_execnz .LBB35_3384
.LBB35_1334:
	s_or_b64 exec, exec, s[6:7]
	s_and_saveexec_b64 s[6:7], s[4:5]
	s_cbranch_execz .LBB35_1336
.LBB35_1335:
	v_bfe_u32 v14, v11, 16, 3
	v_ffbh_u32_e32 v22, v14
	v_min_u32_e32 v22, 32, v22
	v_lshrrev_b32_e32 v20, 19, v11
	v_subrev_u32_e32 v23, 28, v22
	v_and_b32_e32 v20, 15, v20
	v_lshlrev_b32_sdwa v23, v23, v11 dst_sel:DWORD dst_unused:UNUSED_PAD src0_sel:DWORD src1_sel:WORD_1
	v_bfe_u32 v21, v11, 19, 4
	v_sub_u32_e32 v22, 29, v22
	v_and_b32_e32 v23, 7, v23
	v_cmp_eq_u16_e32 vcc, 0, v20
	v_cndmask_b32_e32 v14, v14, v23, vcc
	v_cndmask_b32_e32 v20, v21, v22, vcc
	v_lshlrev_b32_e32 v21, 8, v11
	v_mov_b32_e32 v22, 0x3b800000
	v_lshlrev_b32_e32 v14, 20, v14
	v_and_b32_e32 v21, 0x80000000, v21
	v_lshl_add_u32 v20, v20, 23, v22
	v_or3_b32 v20, v21, v20, v14
.LBB35_1336:
	s_or_b64 exec, exec, s[6:7]
	s_nop 0
	v_mfma_f32_16x16x4f32 a[0:3], v10, v20, a[0:3]
	s_movk_i32 s4, 0x7f
	v_cmp_gt_i16_sdwa s[6:7], v15, s4 src0_sel:BYTE_3 src1_sel:DWORD
	s_mov_b64 s[4:5], 0
                                        ; implicit-def: $sgpr10
	s_and_saveexec_b64 s[8:9], s[6:7]
	s_xor_b64 s[6:7], exec, s[8:9]
	s_cbranch_execnz .LBB35_3385
; %bb.1337:
	s_or_saveexec_b64 s[6:7], s[6:7]
	v_mov_b32_e32 v10, s10
	s_xor_b64 exec, exec, s[6:7]
	s_cbranch_execnz .LBB35_3388
.LBB35_1338:
	s_or_b64 exec, exec, s[6:7]
	s_and_saveexec_b64 s[6:7], s[4:5]
	s_cbranch_execz .LBB35_1340
.LBB35_1339:
	v_bfe_u32 v10, v15, 24, 3
	v_ffbh_u32_e32 v22, v10
	v_min_u32_e32 v22, 32, v22
	v_lshrrev_b32_e32 v20, 27, v15
	v_subrev_u32_e32 v23, 28, v22
	v_and_b32_e32 v14, 0x80000000, v15
	v_and_b32_e32 v20, 15, v20
	v_bfe_u32 v21, v15, 27, 4
	v_lshlrev_b32_sdwa v15, v23, v15 dst_sel:DWORD dst_unused:UNUSED_PAD src0_sel:DWORD src1_sel:BYTE_3
	v_sub_u32_e32 v22, 29, v22
	v_and_b32_e32 v15, 7, v15
	v_cmp_eq_u16_e32 vcc, 0, v20
	v_cndmask_b32_e32 v10, v10, v15, vcc
	v_cndmask_b32_e32 v15, v21, v22, vcc
	v_mov_b32_e32 v20, 0x3b800000
	v_lshlrev_b32_e32 v10, 20, v10
	v_lshl_add_u32 v15, v15, 23, v20
	v_or3_b32 v10, v14, v15, v10
.LBB35_1340:
	s_or_b64 exec, exec, s[6:7]
	s_movk_i32 s4, 0x7f
	v_cmp_gt_i16_sdwa s[6:7], v11, s4 src0_sel:BYTE_3 src1_sel:DWORD
	s_mov_b64 s[4:5], 0
                                        ; implicit-def: $sgpr10
	s_and_saveexec_b64 s[8:9], s[6:7]
	s_xor_b64 s[6:7], exec, s[8:9]
	s_cbranch_execnz .LBB35_3389
; %bb.1341:
	s_or_saveexec_b64 s[6:7], s[6:7]
	v_mov_b32_e32 v14, s10
	s_xor_b64 exec, exec, s[6:7]
	s_cbranch_execnz .LBB35_3392
.LBB35_1342:
	s_or_b64 exec, exec, s[6:7]
	s_and_saveexec_b64 s[6:7], s[4:5]
	s_cbranch_execz .LBB35_1344
.LBB35_1343:
	v_bfe_u32 v14, v11, 24, 3
	v_ffbh_u32_e32 v22, v14
	v_min_u32_e32 v22, 32, v22
	v_lshrrev_b32_e32 v20, 27, v11
	v_subrev_u32_e32 v23, 28, v22
	v_and_b32_e32 v15, 0x80000000, v11
	v_and_b32_e32 v20, 15, v20
	v_bfe_u32 v21, v11, 27, 4
	v_lshlrev_b32_sdwa v11, v23, v11 dst_sel:DWORD dst_unused:UNUSED_PAD src0_sel:DWORD src1_sel:BYTE_3
	v_sub_u32_e32 v22, 29, v22
	v_and_b32_e32 v11, 7, v11
	v_cmp_eq_u16_e32 vcc, 0, v20
	v_cndmask_b32_e32 v11, v14, v11, vcc
	v_cndmask_b32_e32 v14, v21, v22, vcc
	v_mov_b32_e32 v20, 0x3b800000
	v_lshlrev_b32_e32 v11, 20, v11
	v_lshl_add_u32 v14, v14, 23, v20
	v_or3_b32 v14, v15, v14, v11
.LBB35_1344:
	s_or_b64 exec, exec, s[6:7]
	s_nop 0
	v_mfma_f32_16x16x4f32 a[0:3], v10, v14, a[0:3]
	s_movk_i32 s4, 0x7f
	v_cmp_gt_i16_sdwa s[6:7], v16, s4 src0_sel:BYTE_0 src1_sel:DWORD
	s_mov_b64 s[4:5], 0
                                        ; implicit-def: $sgpr10
	s_and_saveexec_b64 s[8:9], s[6:7]
	s_xor_b64 s[6:7], exec, s[8:9]
	s_cbranch_execnz .LBB35_3393
; %bb.1345:
	s_or_saveexec_b64 s[6:7], s[6:7]
	v_mov_b32_e32 v10, s10
	s_xor_b64 exec, exec, s[6:7]
	s_cbranch_execnz .LBB35_3396
.LBB35_1346:
	s_or_b64 exec, exec, s[6:7]
	s_and_saveexec_b64 s[6:7], s[4:5]
	s_cbranch_execz .LBB35_1348
.LBB35_1347:
	v_and_b32_e32 v10, 7, v16
	v_ffbh_u32_e32 v14, v10
	v_min_u32_e32 v14, 32, v14
	v_lshrrev_b16_e32 v11, 3, v16
	v_subrev_u32_e32 v15, 28, v14
	v_and_b32_e32 v11, 15, v11
	v_lshlrev_b32_e32 v15, v15, v16
	v_sub_u32_e32 v14, 29, v14
	v_and_b32_e32 v15, 7, v15
	v_cmp_eq_u16_e32 vcc, 0, v11
	v_cndmask_b32_e32 v10, v10, v15, vcc
	v_cndmask_b32_e32 v11, v11, v14, vcc
	v_lshlrev_b32_e32 v14, 24, v16
	v_mov_b32_e32 v15, 0x3b800000
	v_lshlrev_b32_e32 v10, 20, v10
	v_and_b32_e32 v14, 0x80000000, v14
	v_lshl_add_u32 v11, v11, 23, v15
	v_or3_b32 v10, v14, v11, v10
.LBB35_1348:
	s_or_b64 exec, exec, s[6:7]
	s_movk_i32 s4, 0x7f
	v_cmp_gt_i16_sdwa s[6:7], v12, s4 src0_sel:BYTE_0 src1_sel:DWORD
	s_mov_b64 s[4:5], 0
                                        ; implicit-def: $sgpr10
	s_and_saveexec_b64 s[8:9], s[6:7]
	s_xor_b64 s[6:7], exec, s[8:9]
	s_cbranch_execnz .LBB35_3397
; %bb.1349:
	s_or_saveexec_b64 s[6:7], s[6:7]
	v_mov_b32_e32 v11, s10
	s_xor_b64 exec, exec, s[6:7]
	s_cbranch_execnz .LBB35_3400
.LBB35_1350:
	s_or_b64 exec, exec, s[6:7]
	s_and_saveexec_b64 s[6:7], s[4:5]
	s_cbranch_execz .LBB35_1352
.LBB35_1351:
	v_and_b32_e32 v11, 7, v12
	v_ffbh_u32_e32 v15, v11
	v_min_u32_e32 v15, 32, v15
	v_lshrrev_b16_e32 v14, 3, v12
	v_subrev_u32_e32 v20, 28, v15
	v_and_b32_e32 v14, 15, v14
	v_lshlrev_b32_e32 v20, v20, v12
	v_sub_u32_e32 v15, 29, v15
	v_and_b32_e32 v20, 7, v20
	v_cmp_eq_u16_e32 vcc, 0, v14
	v_cndmask_b32_e32 v11, v11, v20, vcc
	v_cndmask_b32_e32 v14, v14, v15, vcc
	v_lshlrev_b32_e32 v15, 24, v12
	v_mov_b32_e32 v20, 0x3b800000
	v_lshlrev_b32_e32 v11, 20, v11
	v_and_b32_e32 v15, 0x80000000, v15
	v_lshl_add_u32 v14, v14, 23, v20
	v_or3_b32 v11, v15, v14, v11
.LBB35_1352:
	s_or_b64 exec, exec, s[6:7]
	s_nop 0
	v_mfma_f32_16x16x4f32 a[0:3], v10, v11, a[0:3]
	v_lshrrev_b32_e32 v11, 8, v16
	s_movk_i32 s4, 0x7f
	v_cmp_gt_i16_sdwa s[6:7], v11, s4 src0_sel:BYTE_0 src1_sel:DWORD
	s_mov_b64 s[4:5], 0
                                        ; implicit-def: $sgpr10
	s_and_saveexec_b64 s[8:9], s[6:7]
	s_xor_b64 s[6:7], exec, s[8:9]
	s_cbranch_execnz .LBB35_3401
; %bb.1353:
	s_or_saveexec_b64 s[6:7], s[6:7]
	v_mov_b32_e32 v10, s10
	s_xor_b64 exec, exec, s[6:7]
	s_cbranch_execnz .LBB35_3404
.LBB35_1354:
	s_or_b64 exec, exec, s[6:7]
	s_and_saveexec_b64 s[6:7], s[4:5]
	s_cbranch_execz .LBB35_1356
.LBB35_1355:
	v_bfe_u32 v10, v16, 8, 3
	v_ffbh_u32_e32 v15, v10
	v_min_u32_e32 v15, 32, v15
	v_lshrrev_b16_e32 v14, 3, v11
	v_subrev_u32_e32 v20, 28, v15
	v_and_b32_e32 v14, 15, v14
	v_lshlrev_b32_e32 v11, v20, v11
	v_sub_u32_e32 v15, 29, v15
	v_and_b32_e32 v11, 7, v11
	v_cmp_eq_u16_e32 vcc, 0, v14
	v_cndmask_b32_e32 v10, v10, v11, vcc
	v_cndmask_b32_e32 v11, v14, v15, vcc
	v_lshlrev_b32_e32 v14, 16, v16
	v_mov_b32_e32 v15, 0x3b800000
	v_lshlrev_b32_e32 v10, 20, v10
	v_and_b32_e32 v14, 0x80000000, v14
	v_lshl_add_u32 v11, v11, 23, v15
	v_or3_b32 v10, v14, v11, v10
.LBB35_1356:
	s_or_b64 exec, exec, s[6:7]
	v_lshrrev_b32_e32 v11, 8, v12
	s_movk_i32 s4, 0x7f
	v_cmp_gt_i16_sdwa s[6:7], v11, s4 src0_sel:BYTE_0 src1_sel:DWORD
	s_mov_b64 s[4:5], 0
                                        ; implicit-def: $sgpr10
	s_and_saveexec_b64 s[8:9], s[6:7]
	s_xor_b64 s[6:7], exec, s[8:9]
	s_cbranch_execnz .LBB35_3405
; %bb.1357:
	s_or_saveexec_b64 s[6:7], s[6:7]
	v_mov_b32_e32 v14, s10
	s_xor_b64 exec, exec, s[6:7]
	s_cbranch_execnz .LBB35_3408
.LBB35_1358:
	s_or_b64 exec, exec, s[6:7]
	s_and_saveexec_b64 s[6:7], s[4:5]
	s_cbranch_execz .LBB35_1360
.LBB35_1359:
	v_bfe_u32 v14, v12, 8, 3
	v_ffbh_u32_e32 v20, v14
	v_min_u32_e32 v20, 32, v20
	v_lshrrev_b16_e32 v15, 3, v11
	v_subrev_u32_e32 v21, 28, v20
	v_and_b32_e32 v15, 15, v15
	v_lshlrev_b32_e32 v11, v21, v11
	v_sub_u32_e32 v20, 29, v20
	v_and_b32_e32 v11, 7, v11
	v_cmp_eq_u16_e32 vcc, 0, v15
	v_cndmask_b32_e32 v11, v14, v11, vcc
	v_cndmask_b32_e32 v14, v15, v20, vcc
	v_lshlrev_b32_e32 v15, 16, v12
	v_mov_b32_e32 v20, 0x3b800000
	v_lshlrev_b32_e32 v11, 20, v11
	v_and_b32_e32 v15, 0x80000000, v15
	v_lshl_add_u32 v14, v14, 23, v20
	v_or3_b32 v14, v15, v14, v11
.LBB35_1360:
	s_or_b64 exec, exec, s[6:7]
	s_nop 0
	v_mfma_f32_16x16x4f32 a[0:3], v10, v14, a[0:3]
	s_movk_i32 s4, 0xff
	v_and_b32_sdwa v11, v16, s4 dst_sel:DWORD dst_unused:UNUSED_PAD src0_sel:WORD_1 src1_sel:DWORD
	s_movk_i32 s4, 0x7f
	v_cmp_lt_i16_e32 vcc, s4, v11
	s_mov_b64 s[4:5], 0
                                        ; implicit-def: $sgpr10
	s_and_saveexec_b64 s[6:7], vcc
	s_xor_b64 s[6:7], exec, s[6:7]
	s_cbranch_execnz .LBB35_3409
; %bb.1361:
	s_or_saveexec_b64 s[6:7], s[6:7]
	v_mov_b32_e32 v10, s10
	s_xor_b64 exec, exec, s[6:7]
	s_cbranch_execnz .LBB35_3412
.LBB35_1362:
	s_or_b64 exec, exec, s[6:7]
	s_and_saveexec_b64 s[6:7], s[4:5]
	s_cbranch_execz .LBB35_1364
.LBB35_1363:
	v_bfe_u32 v10, v16, 16, 3
	v_ffbh_u32_e32 v15, v10
	v_min_u32_e32 v15, 32, v15
	v_lshrrev_b32_e32 v11, 19, v16
	v_subrev_u32_e32 v20, 28, v15
	v_and_b32_e32 v11, 15, v11
	v_lshlrev_b32_sdwa v20, v20, v16 dst_sel:DWORD dst_unused:UNUSED_PAD src0_sel:DWORD src1_sel:WORD_1
	v_bfe_u32 v14, v16, 19, 4
	v_sub_u32_e32 v15, 29, v15
	v_and_b32_e32 v20, 7, v20
	v_cmp_eq_u16_e32 vcc, 0, v11
	v_cndmask_b32_e32 v10, v10, v20, vcc
	v_cndmask_b32_e32 v11, v14, v15, vcc
	v_lshlrev_b32_e32 v14, 8, v16
	v_mov_b32_e32 v15, 0x3b800000
	v_lshlrev_b32_e32 v10, 20, v10
	v_and_b32_e32 v14, 0x80000000, v14
	v_lshl_add_u32 v11, v11, 23, v15
	v_or3_b32 v10, v14, v11, v10
.LBB35_1364:
	s_or_b64 exec, exec, s[6:7]
	s_movk_i32 s4, 0xff
	v_and_b32_sdwa v11, v12, s4 dst_sel:DWORD dst_unused:UNUSED_PAD src0_sel:WORD_1 src1_sel:DWORD
	s_movk_i32 s4, 0x7f
	v_cmp_lt_i16_e32 vcc, s4, v11
	s_mov_b64 s[4:5], 0
                                        ; implicit-def: $sgpr10
	s_and_saveexec_b64 s[6:7], vcc
	s_xor_b64 s[6:7], exec, s[6:7]
	s_cbranch_execnz .LBB35_3413
; %bb.1365:
	s_or_saveexec_b64 s[6:7], s[6:7]
	v_mov_b32_e32 v14, s10
	s_xor_b64 exec, exec, s[6:7]
	s_cbranch_execnz .LBB35_3416
.LBB35_1366:
	s_or_b64 exec, exec, s[6:7]
	s_and_saveexec_b64 s[6:7], s[4:5]
	s_cbranch_execz .LBB35_1368
.LBB35_1367:
	v_bfe_u32 v11, v12, 16, 3
	v_ffbh_u32_e32 v20, v11
	v_min_u32_e32 v20, 32, v20
	v_lshrrev_b32_e32 v14, 19, v12
	v_subrev_u32_e32 v21, 28, v20
	v_and_b32_e32 v14, 15, v14
	v_lshlrev_b32_sdwa v21, v21, v12 dst_sel:DWORD dst_unused:UNUSED_PAD src0_sel:DWORD src1_sel:WORD_1
	v_bfe_u32 v15, v12, 19, 4
	v_sub_u32_e32 v20, 29, v20
	v_and_b32_e32 v21, 7, v21
	v_cmp_eq_u16_e32 vcc, 0, v14
	v_cndmask_b32_e32 v11, v11, v21, vcc
	v_cndmask_b32_e32 v14, v15, v20, vcc
	v_lshlrev_b32_e32 v15, 8, v12
	v_mov_b32_e32 v20, 0x3b800000
	v_lshlrev_b32_e32 v11, 20, v11
	v_and_b32_e32 v15, 0x80000000, v15
	v_lshl_add_u32 v14, v14, 23, v20
	v_or3_b32 v14, v15, v14, v11
.LBB35_1368:
	s_or_b64 exec, exec, s[6:7]
	s_nop 0
	v_mfma_f32_16x16x4f32 a[0:3], v10, v14, a[0:3]
	s_movk_i32 s4, 0x7f
	v_cmp_gt_i16_sdwa s[6:7], v16, s4 src0_sel:BYTE_3 src1_sel:DWORD
	s_mov_b64 s[4:5], 0
                                        ; implicit-def: $sgpr10
	s_and_saveexec_b64 s[8:9], s[6:7]
	s_xor_b64 s[6:7], exec, s[8:9]
	s_cbranch_execnz .LBB35_3417
; %bb.1369:
	s_or_saveexec_b64 s[6:7], s[6:7]
	v_mov_b32_e32 v10, s10
	s_xor_b64 exec, exec, s[6:7]
	s_cbranch_execnz .LBB35_3420
.LBB35_1370:
	s_or_b64 exec, exec, s[6:7]
	s_and_saveexec_b64 s[6:7], s[4:5]
	s_cbranch_execz .LBB35_1372
.LBB35_1371:
	v_bfe_u32 v10, v16, 24, 3
	v_ffbh_u32_e32 v20, v10
	v_min_u32_e32 v20, 32, v20
	v_lshrrev_b32_e32 v14, 27, v16
	v_subrev_u32_e32 v21, 28, v20
	v_and_b32_e32 v11, 0x80000000, v16
	v_and_b32_e32 v14, 15, v14
	v_bfe_u32 v15, v16, 27, 4
	v_lshlrev_b32_sdwa v16, v21, v16 dst_sel:DWORD dst_unused:UNUSED_PAD src0_sel:DWORD src1_sel:BYTE_3
	v_sub_u32_e32 v20, 29, v20
	v_and_b32_e32 v16, 7, v16
	v_cmp_eq_u16_e32 vcc, 0, v14
	v_cndmask_b32_e32 v10, v10, v16, vcc
	v_cndmask_b32_e32 v14, v15, v20, vcc
	v_mov_b32_e32 v15, 0x3b800000
	v_lshlrev_b32_e32 v10, 20, v10
	v_lshl_add_u32 v14, v14, 23, v15
	v_or3_b32 v10, v11, v14, v10
.LBB35_1372:
	s_or_b64 exec, exec, s[6:7]
	s_movk_i32 s4, 0x7f
	v_cmp_gt_i16_sdwa s[6:7], v12, s4 src0_sel:BYTE_3 src1_sel:DWORD
	s_mov_b64 s[4:5], 0
                                        ; implicit-def: $sgpr10
	s_and_saveexec_b64 s[8:9], s[6:7]
	s_xor_b64 s[6:7], exec, s[8:9]
	s_cbranch_execnz .LBB35_3421
; %bb.1373:
	s_or_saveexec_b64 s[6:7], s[6:7]
	v_mov_b32_e32 v11, s10
	s_xor_b64 exec, exec, s[6:7]
	s_cbranch_execnz .LBB35_3424
.LBB35_1374:
	s_or_b64 exec, exec, s[6:7]
	s_and_saveexec_b64 s[6:7], s[4:5]
	s_cbranch_execz .LBB35_1376
.LBB35_1375:
	v_bfe_u32 v11, v12, 24, 3
	v_ffbh_u32_e32 v20, v11
	v_min_u32_e32 v20, 32, v20
	v_lshrrev_b32_e32 v15, 27, v12
	v_subrev_u32_e32 v21, 28, v20
	v_and_b32_e32 v14, 0x80000000, v12
	v_and_b32_e32 v15, 15, v15
	v_bfe_u32 v16, v12, 27, 4
	v_lshlrev_b32_sdwa v12, v21, v12 dst_sel:DWORD dst_unused:UNUSED_PAD src0_sel:DWORD src1_sel:BYTE_3
	v_sub_u32_e32 v20, 29, v20
	v_and_b32_e32 v12, 7, v12
	v_cmp_eq_u16_e32 vcc, 0, v15
	v_cndmask_b32_e32 v11, v11, v12, vcc
	v_cndmask_b32_e32 v12, v16, v20, vcc
	v_mov_b32_e32 v15, 0x3b800000
	v_lshlrev_b32_e32 v11, 20, v11
	v_lshl_add_u32 v12, v12, 23, v15
	v_or3_b32 v11, v14, v12, v11
.LBB35_1376:
	s_or_b64 exec, exec, s[6:7]
	s_nop 0
	v_mfma_f32_16x16x4f32 a[0:3], v10, v11, a[0:3]
	s_movk_i32 s4, 0x7f
	v_cmp_gt_i16_sdwa s[6:7], v17, s4 src0_sel:BYTE_0 src1_sel:DWORD
	s_mov_b64 s[4:5], 0
                                        ; implicit-def: $sgpr10
	s_and_saveexec_b64 s[8:9], s[6:7]
	s_xor_b64 s[6:7], exec, s[8:9]
	s_cbranch_execnz .LBB35_3425
; %bb.1377:
	s_or_saveexec_b64 s[6:7], s[6:7]
	v_mov_b32_e32 v10, s10
	s_xor_b64 exec, exec, s[6:7]
	s_cbranch_execnz .LBB35_3428
.LBB35_1378:
	s_or_b64 exec, exec, s[6:7]
	s_and_saveexec_b64 s[6:7], s[4:5]
	s_cbranch_execz .LBB35_1380
.LBB35_1379:
	v_and_b32_e32 v10, 7, v17
	v_ffbh_u32_e32 v12, v10
	v_min_u32_e32 v12, 32, v12
	v_lshrrev_b16_e32 v11, 3, v17
	v_subrev_u32_e32 v14, 28, v12
	v_and_b32_e32 v11, 15, v11
	v_lshlrev_b32_e32 v14, v14, v17
	v_sub_u32_e32 v12, 29, v12
	v_and_b32_e32 v14, 7, v14
	v_cmp_eq_u16_e32 vcc, 0, v11
	v_cndmask_b32_e32 v10, v10, v14, vcc
	v_cndmask_b32_e32 v11, v11, v12, vcc
	v_lshlrev_b32_e32 v12, 24, v17
	v_mov_b32_e32 v14, 0x3b800000
	v_lshlrev_b32_e32 v10, 20, v10
	v_and_b32_e32 v12, 0x80000000, v12
	v_lshl_add_u32 v11, v11, 23, v14
	v_or3_b32 v10, v12, v11, v10
.LBB35_1380:
	s_or_b64 exec, exec, s[6:7]
	s_movk_i32 s4, 0x7f
	v_cmp_gt_i16_sdwa s[6:7], v13, s4 src0_sel:BYTE_0 src1_sel:DWORD
	s_mov_b64 s[4:5], 0
                                        ; implicit-def: $sgpr10
	s_and_saveexec_b64 s[8:9], s[6:7]
	s_xor_b64 s[6:7], exec, s[8:9]
	s_cbranch_execnz .LBB35_3429
; %bb.1381:
	s_or_saveexec_b64 s[6:7], s[6:7]
	v_mov_b32_e32 v11, s10
	s_xor_b64 exec, exec, s[6:7]
	s_cbranch_execnz .LBB35_3432
.LBB35_1382:
	s_or_b64 exec, exec, s[6:7]
	s_and_saveexec_b64 s[6:7], s[4:5]
	s_cbranch_execz .LBB35_1384
.LBB35_1383:
	v_and_b32_e32 v11, 7, v13
	v_ffbh_u32_e32 v14, v11
	v_min_u32_e32 v14, 32, v14
	v_lshrrev_b16_e32 v12, 3, v13
	v_subrev_u32_e32 v15, 28, v14
	v_and_b32_e32 v12, 15, v12
	v_lshlrev_b32_e32 v15, v15, v13
	v_sub_u32_e32 v14, 29, v14
	v_and_b32_e32 v15, 7, v15
	v_cmp_eq_u16_e32 vcc, 0, v12
	v_cndmask_b32_e32 v11, v11, v15, vcc
	v_cndmask_b32_e32 v12, v12, v14, vcc
	v_lshlrev_b32_e32 v14, 24, v13
	v_mov_b32_e32 v15, 0x3b800000
	v_lshlrev_b32_e32 v11, 20, v11
	v_and_b32_e32 v14, 0x80000000, v14
	v_lshl_add_u32 v12, v12, 23, v15
	v_or3_b32 v11, v14, v12, v11
.LBB35_1384:
	s_or_b64 exec, exec, s[6:7]
	s_nop 0
	v_mfma_f32_16x16x4f32 a[0:3], v10, v11, a[0:3]
	v_lshrrev_b32_e32 v11, 8, v17
	s_movk_i32 s4, 0x7f
	v_cmp_gt_i16_sdwa s[6:7], v11, s4 src0_sel:BYTE_0 src1_sel:DWORD
	s_mov_b64 s[4:5], 0
                                        ; implicit-def: $sgpr10
	s_and_saveexec_b64 s[8:9], s[6:7]
	s_xor_b64 s[6:7], exec, s[8:9]
	s_cbranch_execnz .LBB35_3433
; %bb.1385:
	s_or_saveexec_b64 s[6:7], s[6:7]
	v_mov_b32_e32 v10, s10
	s_xor_b64 exec, exec, s[6:7]
	s_cbranch_execnz .LBB35_3436
.LBB35_1386:
	s_or_b64 exec, exec, s[6:7]
	s_and_saveexec_b64 s[6:7], s[4:5]
	s_cbranch_execz .LBB35_1388
.LBB35_1387:
	v_bfe_u32 v10, v17, 8, 3
	v_ffbh_u32_e32 v14, v10
	v_min_u32_e32 v14, 32, v14
	v_lshrrev_b16_e32 v12, 3, v11
	v_subrev_u32_e32 v15, 28, v14
	v_and_b32_e32 v12, 15, v12
	v_lshlrev_b32_e32 v11, v15, v11
	v_sub_u32_e32 v14, 29, v14
	v_and_b32_e32 v11, 7, v11
	v_cmp_eq_u16_e32 vcc, 0, v12
	v_cndmask_b32_e32 v10, v10, v11, vcc
	v_cndmask_b32_e32 v11, v12, v14, vcc
	v_lshlrev_b32_e32 v12, 16, v17
	v_mov_b32_e32 v14, 0x3b800000
	v_lshlrev_b32_e32 v10, 20, v10
	v_and_b32_e32 v12, 0x80000000, v12
	v_lshl_add_u32 v11, v11, 23, v14
	v_or3_b32 v10, v12, v11, v10
.LBB35_1388:
	s_or_b64 exec, exec, s[6:7]
	v_lshrrev_b32_e32 v11, 8, v13
	s_movk_i32 s4, 0x7f
	v_cmp_gt_i16_sdwa s[6:7], v11, s4 src0_sel:BYTE_0 src1_sel:DWORD
	s_mov_b64 s[4:5], 0
                                        ; implicit-def: $sgpr10
	s_and_saveexec_b64 s[8:9], s[6:7]
	s_xor_b64 s[6:7], exec, s[8:9]
	s_cbranch_execnz .LBB35_3437
; %bb.1389:
	s_or_saveexec_b64 s[6:7], s[6:7]
	v_mov_b32_e32 v12, s10
	s_xor_b64 exec, exec, s[6:7]
	s_cbranch_execnz .LBB35_3440
.LBB35_1390:
	s_or_b64 exec, exec, s[6:7]
	s_and_saveexec_b64 s[6:7], s[4:5]
	s_cbranch_execz .LBB35_1392
.LBB35_1391:
	v_bfe_u32 v12, v13, 8, 3
	v_ffbh_u32_e32 v15, v12
	v_min_u32_e32 v15, 32, v15
	v_lshrrev_b16_e32 v14, 3, v11
	v_subrev_u32_e32 v16, 28, v15
	v_and_b32_e32 v14, 15, v14
	v_lshlrev_b32_e32 v11, v16, v11
	v_sub_u32_e32 v15, 29, v15
	v_and_b32_e32 v11, 7, v11
	v_cmp_eq_u16_e32 vcc, 0, v14
	v_cndmask_b32_e32 v11, v12, v11, vcc
	v_cndmask_b32_e32 v12, v14, v15, vcc
	v_lshlrev_b32_e32 v14, 16, v13
	v_mov_b32_e32 v15, 0x3b800000
	v_lshlrev_b32_e32 v11, 20, v11
	v_and_b32_e32 v14, 0x80000000, v14
	v_lshl_add_u32 v12, v12, 23, v15
	v_or3_b32 v12, v14, v12, v11
.LBB35_1392:
	s_or_b64 exec, exec, s[6:7]
	s_nop 0
	v_mfma_f32_16x16x4f32 a[0:3], v10, v12, a[0:3]
	s_movk_i32 s4, 0xff
	v_and_b32_sdwa v11, v17, s4 dst_sel:DWORD dst_unused:UNUSED_PAD src0_sel:WORD_1 src1_sel:DWORD
	s_movk_i32 s4, 0x7f
	v_cmp_lt_i16_e32 vcc, s4, v11
	s_mov_b64 s[4:5], 0
                                        ; implicit-def: $sgpr10
	s_and_saveexec_b64 s[6:7], vcc
	s_xor_b64 s[6:7], exec, s[6:7]
	s_cbranch_execnz .LBB35_3441
; %bb.1393:
	s_or_saveexec_b64 s[6:7], s[6:7]
	v_mov_b32_e32 v10, s10
	s_xor_b64 exec, exec, s[6:7]
	s_cbranch_execnz .LBB35_3444
.LBB35_1394:
	s_or_b64 exec, exec, s[6:7]
	s_and_saveexec_b64 s[6:7], s[4:5]
	s_cbranch_execz .LBB35_1396
.LBB35_1395:
	v_bfe_u32 v10, v17, 16, 3
	v_ffbh_u32_e32 v14, v10
	v_min_u32_e32 v14, 32, v14
	v_lshrrev_b32_e32 v11, 19, v17
	v_subrev_u32_e32 v15, 28, v14
	v_and_b32_e32 v11, 15, v11
	v_lshlrev_b32_sdwa v15, v15, v17 dst_sel:DWORD dst_unused:UNUSED_PAD src0_sel:DWORD src1_sel:WORD_1
	v_bfe_u32 v12, v17, 19, 4
	v_sub_u32_e32 v14, 29, v14
	v_and_b32_e32 v15, 7, v15
	v_cmp_eq_u16_e32 vcc, 0, v11
	v_cndmask_b32_e32 v10, v10, v15, vcc
	v_cndmask_b32_e32 v11, v12, v14, vcc
	v_lshlrev_b32_e32 v12, 8, v17
	v_mov_b32_e32 v14, 0x3b800000
	v_lshlrev_b32_e32 v10, 20, v10
	v_and_b32_e32 v12, 0x80000000, v12
	v_lshl_add_u32 v11, v11, 23, v14
	v_or3_b32 v10, v12, v11, v10
.LBB35_1396:
	s_or_b64 exec, exec, s[6:7]
	s_movk_i32 s4, 0xff
	v_and_b32_sdwa v11, v13, s4 dst_sel:DWORD dst_unused:UNUSED_PAD src0_sel:WORD_1 src1_sel:DWORD
	s_movk_i32 s4, 0x7f
	v_cmp_lt_i16_e32 vcc, s4, v11
	s_mov_b64 s[4:5], 0
                                        ; implicit-def: $sgpr10
	s_and_saveexec_b64 s[6:7], vcc
	s_xor_b64 s[6:7], exec, s[6:7]
	s_cbranch_execnz .LBB35_3445
; %bb.1397:
	s_or_saveexec_b64 s[6:7], s[6:7]
	v_mov_b32_e32 v12, s10
	s_xor_b64 exec, exec, s[6:7]
	s_cbranch_execnz .LBB35_3448
.LBB35_1398:
	s_or_b64 exec, exec, s[6:7]
	s_and_saveexec_b64 s[6:7], s[4:5]
	s_cbranch_execz .LBB35_1400
.LBB35_1399:
	v_bfe_u32 v11, v13, 16, 3
	v_ffbh_u32_e32 v15, v11
	v_min_u32_e32 v15, 32, v15
	v_lshrrev_b32_e32 v12, 19, v13
	v_subrev_u32_e32 v16, 28, v15
	v_and_b32_e32 v12, 15, v12
	v_lshlrev_b32_sdwa v16, v16, v13 dst_sel:DWORD dst_unused:UNUSED_PAD src0_sel:DWORD src1_sel:WORD_1
	v_bfe_u32 v14, v13, 19, 4
	v_sub_u32_e32 v15, 29, v15
	v_and_b32_e32 v16, 7, v16
	v_cmp_eq_u16_e32 vcc, 0, v12
	v_cndmask_b32_e32 v11, v11, v16, vcc
	v_cndmask_b32_e32 v12, v14, v15, vcc
	v_lshlrev_b32_e32 v14, 8, v13
	v_mov_b32_e32 v15, 0x3b800000
	v_lshlrev_b32_e32 v11, 20, v11
	v_and_b32_e32 v14, 0x80000000, v14
	v_lshl_add_u32 v12, v12, 23, v15
	v_or3_b32 v12, v14, v12, v11
.LBB35_1400:
	s_or_b64 exec, exec, s[6:7]
	s_nop 0
	v_mfma_f32_16x16x4f32 a[0:3], v10, v12, a[0:3]
	s_movk_i32 s4, 0x7f
	v_cmp_gt_i16_sdwa s[6:7], v17, s4 src0_sel:BYTE_3 src1_sel:DWORD
	s_mov_b64 s[4:5], 0
                                        ; implicit-def: $sgpr10
	s_and_saveexec_b64 s[8:9], s[6:7]
	s_xor_b64 s[6:7], exec, s[8:9]
	s_cbranch_execnz .LBB35_3449
; %bb.1401:
	s_or_saveexec_b64 s[6:7], s[6:7]
	v_mov_b32_e32 v10, s10
	s_xor_b64 exec, exec, s[6:7]
	s_cbranch_execnz .LBB35_3452
.LBB35_1402:
	s_or_b64 exec, exec, s[6:7]
	s_and_saveexec_b64 s[6:7], s[4:5]
	s_cbranch_execz .LBB35_1404
.LBB35_1403:
	v_bfe_u32 v10, v17, 24, 3
	v_ffbh_u32_e32 v15, v10
	v_min_u32_e32 v15, 32, v15
	v_lshrrev_b32_e32 v12, 27, v17
	v_subrev_u32_e32 v16, 28, v15
	v_and_b32_e32 v12, 15, v12
	v_lshlrev_b32_sdwa v16, v16, v17 dst_sel:DWORD dst_unused:UNUSED_PAD src0_sel:DWORD src1_sel:BYTE_3
	v_bfe_u32 v14, v17, 27, 4
	v_sub_u32_e32 v15, 29, v15
	v_and_b32_e32 v16, 7, v16
	v_cmp_eq_u16_e32 vcc, 0, v12
	v_cndmask_b32_e32 v10, v10, v16, vcc
	v_cndmask_b32_e32 v12, v14, v15, vcc
	v_mov_b32_e32 v14, 0x3b800000
	v_and_b32_e32 v11, 0x80000000, v17
	v_lshlrev_b32_e32 v10, 20, v10
	v_lshl_add_u32 v12, v12, 23, v14
	v_or3_b32 v10, v11, v12, v10
.LBB35_1404:
	s_or_b64 exec, exec, s[6:7]
	s_movk_i32 s4, 0x7f
	v_cmp_gt_i16_sdwa s[6:7], v13, s4 src0_sel:BYTE_3 src1_sel:DWORD
	s_mov_b64 s[4:5], 0
                                        ; implicit-def: $sgpr10
	s_and_saveexec_b64 s[8:9], s[6:7]
	s_xor_b64 s[6:7], exec, s[8:9]
	s_cbranch_execnz .LBB35_3453
; %bb.1405:
	s_or_saveexec_b64 s[6:7], s[6:7]
	v_mov_b32_e32 v11, s10
	s_xor_b64 exec, exec, s[6:7]
	s_cbranch_execnz .LBB35_3456
.LBB35_1406:
	s_or_b64 exec, exec, s[6:7]
	s_and_saveexec_b64 s[6:7], s[4:5]
	s_cbranch_execz .LBB35_1408
.LBB35_1407:
	v_bfe_u32 v11, v13, 24, 3
	v_ffbh_u32_e32 v16, v11
	v_min_u32_e32 v16, 32, v16
	v_lshrrev_b32_e32 v14, 27, v13
	v_subrev_u32_e32 v17, 28, v16
	v_and_b32_e32 v12, 0x80000000, v13
	v_and_b32_e32 v14, 15, v14
	v_bfe_u32 v15, v13, 27, 4
	v_lshlrev_b32_sdwa v13, v17, v13 dst_sel:DWORD dst_unused:UNUSED_PAD src0_sel:DWORD src1_sel:BYTE_3
	v_sub_u32_e32 v16, 29, v16
	v_and_b32_e32 v13, 7, v13
	v_cmp_eq_u16_e32 vcc, 0, v14
	v_cndmask_b32_e32 v11, v11, v13, vcc
	v_cndmask_b32_e32 v13, v15, v16, vcc
	v_mov_b32_e32 v14, 0x3b800000
	v_lshlrev_b32_e32 v11, 20, v11
	v_lshl_add_u32 v13, v13, 23, v14
	v_or3_b32 v11, v12, v13, v11
.LBB35_1408:
	s_or_b64 exec, exec, s[6:7]
	s_nop 0
	v_mfma_f32_16x16x4f32 a[0:3], v10, v11, a[0:3]
	s_movk_i32 s4, 0x7f
	v_cmp_gt_i16_sdwa s[6:7], v6, s4 src0_sel:BYTE_0 src1_sel:DWORD
	s_mov_b64 s[4:5], 0
                                        ; implicit-def: $sgpr10
	s_and_saveexec_b64 s[8:9], s[6:7]
	s_xor_b64 s[6:7], exec, s[8:9]
	s_cbranch_execnz .LBB35_3457
; %bb.1409:
	s_or_saveexec_b64 s[6:7], s[6:7]
	v_mov_b32_e32 v10, s10
	s_xor_b64 exec, exec, s[6:7]
	s_cbranch_execnz .LBB35_3460
.LBB35_1410:
	s_or_b64 exec, exec, s[6:7]
	s_and_saveexec_b64 s[6:7], s[4:5]
	s_cbranch_execz .LBB35_1412
.LBB35_1411:
	v_and_b32_e32 v10, 7, v6
	v_ffbh_u32_e32 v12, v10
	v_min_u32_e32 v12, 32, v12
	v_lshrrev_b16_e32 v11, 3, v6
	v_subrev_u32_e32 v13, 28, v12
	v_and_b32_e32 v11, 15, v11
	v_lshlrev_b32_e32 v13, v13, v6
	v_sub_u32_e32 v12, 29, v12
	v_and_b32_e32 v13, 7, v13
	v_cmp_eq_u16_e32 vcc, 0, v11
	v_cndmask_b32_e32 v10, v10, v13, vcc
	v_cndmask_b32_e32 v11, v11, v12, vcc
	v_lshlrev_b32_e32 v12, 24, v6
	v_mov_b32_e32 v13, 0x3b800000
	v_lshlrev_b32_e32 v10, 20, v10
	v_and_b32_e32 v12, 0x80000000, v12
	v_lshl_add_u32 v11, v11, 23, v13
	v_or3_b32 v10, v12, v11, v10
.LBB35_1412:
	s_or_b64 exec, exec, s[6:7]
	s_movk_i32 s4, 0x7f
	v_cmp_gt_i16_sdwa s[6:7], v2, s4 src0_sel:BYTE_0 src1_sel:DWORD
	s_mov_b64 s[4:5], 0
                                        ; implicit-def: $sgpr10
	s_and_saveexec_b64 s[8:9], s[6:7]
	s_xor_b64 s[6:7], exec, s[8:9]
	s_cbranch_execnz .LBB35_3461
; %bb.1413:
	s_or_saveexec_b64 s[6:7], s[6:7]
	v_mov_b32_e32 v11, s10
	s_xor_b64 exec, exec, s[6:7]
	s_cbranch_execnz .LBB35_3464
.LBB35_1414:
	s_or_b64 exec, exec, s[6:7]
	s_and_saveexec_b64 s[6:7], s[4:5]
	s_cbranch_execz .LBB35_1416
.LBB35_1415:
	v_and_b32_e32 v11, 7, v2
	v_ffbh_u32_e32 v13, v11
	v_min_u32_e32 v13, 32, v13
	v_lshrrev_b16_e32 v12, 3, v2
	v_subrev_u32_e32 v14, 28, v13
	v_and_b32_e32 v12, 15, v12
	v_lshlrev_b32_e32 v14, v14, v2
	v_sub_u32_e32 v13, 29, v13
	v_and_b32_e32 v14, 7, v14
	v_cmp_eq_u16_e32 vcc, 0, v12
	v_cndmask_b32_e32 v11, v11, v14, vcc
	v_cndmask_b32_e32 v12, v12, v13, vcc
	v_lshlrev_b32_e32 v13, 24, v2
	v_mov_b32_e32 v14, 0x3b800000
	v_lshlrev_b32_e32 v11, 20, v11
	v_and_b32_e32 v13, 0x80000000, v13
	v_lshl_add_u32 v12, v12, 23, v14
	v_or3_b32 v11, v13, v12, v11
.LBB35_1416:
	s_or_b64 exec, exec, s[6:7]
	s_nop 0
	v_mfma_f32_16x16x4f32 a[0:3], v10, v11, a[0:3]
	v_lshrrev_b32_e32 v11, 8, v6
	s_movk_i32 s4, 0x7f
	v_cmp_gt_i16_sdwa s[6:7], v11, s4 src0_sel:BYTE_0 src1_sel:DWORD
	s_mov_b64 s[4:5], 0
                                        ; implicit-def: $sgpr10
	s_and_saveexec_b64 s[8:9], s[6:7]
	s_xor_b64 s[6:7], exec, s[8:9]
	s_cbranch_execnz .LBB35_3465
; %bb.1417:
	s_or_saveexec_b64 s[6:7], s[6:7]
	v_mov_b32_e32 v10, s10
	s_xor_b64 exec, exec, s[6:7]
	s_cbranch_execnz .LBB35_3468
.LBB35_1418:
	s_or_b64 exec, exec, s[6:7]
	s_and_saveexec_b64 s[6:7], s[4:5]
	s_cbranch_execz .LBB35_1420
.LBB35_1419:
	v_bfe_u32 v10, v6, 8, 3
	v_ffbh_u32_e32 v13, v10
	v_min_u32_e32 v13, 32, v13
	v_lshrrev_b16_e32 v12, 3, v11
	v_subrev_u32_e32 v14, 28, v13
	v_and_b32_e32 v12, 15, v12
	v_lshlrev_b32_e32 v11, v14, v11
	v_sub_u32_e32 v13, 29, v13
	v_and_b32_e32 v11, 7, v11
	v_cmp_eq_u16_e32 vcc, 0, v12
	v_cndmask_b32_e32 v10, v10, v11, vcc
	v_cndmask_b32_e32 v11, v12, v13, vcc
	v_lshlrev_b32_e32 v12, 16, v6
	v_mov_b32_e32 v13, 0x3b800000
	v_lshlrev_b32_e32 v10, 20, v10
	v_and_b32_e32 v12, 0x80000000, v12
	v_lshl_add_u32 v11, v11, 23, v13
	v_or3_b32 v10, v12, v11, v10
.LBB35_1420:
	s_or_b64 exec, exec, s[6:7]
	v_lshrrev_b32_e32 v11, 8, v2
	s_movk_i32 s4, 0x7f
	v_cmp_gt_i16_sdwa s[6:7], v11, s4 src0_sel:BYTE_0 src1_sel:DWORD
	s_mov_b64 s[4:5], 0
                                        ; implicit-def: $sgpr10
	s_and_saveexec_b64 s[8:9], s[6:7]
	s_xor_b64 s[6:7], exec, s[8:9]
	s_cbranch_execnz .LBB35_3469
; %bb.1421:
	s_or_saveexec_b64 s[6:7], s[6:7]
	v_mov_b32_e32 v12, s10
	s_xor_b64 exec, exec, s[6:7]
	s_cbranch_execnz .LBB35_3472
.LBB35_1422:
	s_or_b64 exec, exec, s[6:7]
	s_and_saveexec_b64 s[6:7], s[4:5]
	s_cbranch_execz .LBB35_1424
.LBB35_1423:
	v_bfe_u32 v12, v2, 8, 3
	v_ffbh_u32_e32 v14, v12
	v_min_u32_e32 v14, 32, v14
	v_lshrrev_b16_e32 v13, 3, v11
	v_subrev_u32_e32 v15, 28, v14
	v_and_b32_e32 v13, 15, v13
	v_lshlrev_b32_e32 v11, v15, v11
	v_sub_u32_e32 v14, 29, v14
	v_and_b32_e32 v11, 7, v11
	v_cmp_eq_u16_e32 vcc, 0, v13
	v_cndmask_b32_e32 v11, v12, v11, vcc
	v_cndmask_b32_e32 v12, v13, v14, vcc
	v_lshlrev_b32_e32 v13, 16, v2
	v_mov_b32_e32 v14, 0x3b800000
	v_lshlrev_b32_e32 v11, 20, v11
	v_and_b32_e32 v13, 0x80000000, v13
	v_lshl_add_u32 v12, v12, 23, v14
	v_or3_b32 v12, v13, v12, v11
.LBB35_1424:
	s_or_b64 exec, exec, s[6:7]
	s_nop 0
	v_mfma_f32_16x16x4f32 a[0:3], v10, v12, a[0:3]
	s_movk_i32 s4, 0xff
	v_and_b32_sdwa v11, v6, s4 dst_sel:DWORD dst_unused:UNUSED_PAD src0_sel:WORD_1 src1_sel:DWORD
	s_movk_i32 s4, 0x7f
	v_cmp_lt_i16_e32 vcc, s4, v11
	s_mov_b64 s[4:5], 0
                                        ; implicit-def: $sgpr10
	s_and_saveexec_b64 s[6:7], vcc
	s_xor_b64 s[6:7], exec, s[6:7]
	s_cbranch_execnz .LBB35_3473
; %bb.1425:
	s_or_saveexec_b64 s[6:7], s[6:7]
	v_mov_b32_e32 v10, s10
	s_xor_b64 exec, exec, s[6:7]
	s_cbranch_execnz .LBB35_3476
.LBB35_1426:
	s_or_b64 exec, exec, s[6:7]
	s_and_saveexec_b64 s[6:7], s[4:5]
	s_cbranch_execz .LBB35_1428
.LBB35_1427:
	v_bfe_u32 v10, v6, 16, 3
	v_ffbh_u32_e32 v13, v10
	v_min_u32_e32 v13, 32, v13
	v_lshrrev_b32_e32 v11, 19, v6
	v_subrev_u32_e32 v14, 28, v13
	v_and_b32_e32 v11, 15, v11
	v_lshlrev_b32_sdwa v14, v14, v6 dst_sel:DWORD dst_unused:UNUSED_PAD src0_sel:DWORD src1_sel:WORD_1
	v_bfe_u32 v12, v6, 19, 4
	v_sub_u32_e32 v13, 29, v13
	v_and_b32_e32 v14, 7, v14
	v_cmp_eq_u16_e32 vcc, 0, v11
	v_cndmask_b32_e32 v10, v10, v14, vcc
	v_cndmask_b32_e32 v11, v12, v13, vcc
	v_lshlrev_b32_e32 v12, 8, v6
	v_mov_b32_e32 v13, 0x3b800000
	v_lshlrev_b32_e32 v10, 20, v10
	v_and_b32_e32 v12, 0x80000000, v12
	v_lshl_add_u32 v11, v11, 23, v13
	v_or3_b32 v10, v12, v11, v10
.LBB35_1428:
	s_or_b64 exec, exec, s[6:7]
	s_movk_i32 s4, 0xff
	v_and_b32_sdwa v11, v2, s4 dst_sel:DWORD dst_unused:UNUSED_PAD src0_sel:WORD_1 src1_sel:DWORD
	s_movk_i32 s4, 0x7f
	v_cmp_lt_i16_e32 vcc, s4, v11
	s_mov_b64 s[4:5], 0
                                        ; implicit-def: $sgpr10
	s_and_saveexec_b64 s[6:7], vcc
	s_xor_b64 s[6:7], exec, s[6:7]
	s_cbranch_execnz .LBB35_3477
; %bb.1429:
	s_or_saveexec_b64 s[6:7], s[6:7]
	v_mov_b32_e32 v12, s10
	s_xor_b64 exec, exec, s[6:7]
	s_cbranch_execnz .LBB35_3480
.LBB35_1430:
	s_or_b64 exec, exec, s[6:7]
	s_and_saveexec_b64 s[6:7], s[4:5]
	s_cbranch_execz .LBB35_1432
.LBB35_1431:
	v_bfe_u32 v11, v2, 16, 3
	v_ffbh_u32_e32 v14, v11
	v_min_u32_e32 v14, 32, v14
	v_lshrrev_b32_e32 v12, 19, v2
	v_subrev_u32_e32 v15, 28, v14
	v_and_b32_e32 v12, 15, v12
	v_lshlrev_b32_sdwa v15, v15, v2 dst_sel:DWORD dst_unused:UNUSED_PAD src0_sel:DWORD src1_sel:WORD_1
	v_bfe_u32 v13, v2, 19, 4
	v_sub_u32_e32 v14, 29, v14
	v_and_b32_e32 v15, 7, v15
	v_cmp_eq_u16_e32 vcc, 0, v12
	v_cndmask_b32_e32 v11, v11, v15, vcc
	v_cndmask_b32_e32 v12, v13, v14, vcc
	v_lshlrev_b32_e32 v13, 8, v2
	v_mov_b32_e32 v14, 0x3b800000
	v_lshlrev_b32_e32 v11, 20, v11
	v_and_b32_e32 v13, 0x80000000, v13
	v_lshl_add_u32 v12, v12, 23, v14
	v_or3_b32 v12, v13, v12, v11
.LBB35_1432:
	s_or_b64 exec, exec, s[6:7]
	s_nop 0
	v_mfma_f32_16x16x4f32 a[0:3], v10, v12, a[0:3]
	s_movk_i32 s4, 0x7f
	v_cmp_gt_i16_sdwa s[6:7], v6, s4 src0_sel:BYTE_3 src1_sel:DWORD
	s_mov_b64 s[4:5], 0
                                        ; implicit-def: $sgpr10
	s_and_saveexec_b64 s[8:9], s[6:7]
	s_xor_b64 s[6:7], exec, s[8:9]
	s_cbranch_execnz .LBB35_3481
; %bb.1433:
	s_or_saveexec_b64 s[6:7], s[6:7]
	v_mov_b32_e32 v10, s10
	s_xor_b64 exec, exec, s[6:7]
	s_cbranch_execnz .LBB35_3484
.LBB35_1434:
	s_or_b64 exec, exec, s[6:7]
	s_and_saveexec_b64 s[6:7], s[4:5]
	s_cbranch_execz .LBB35_1436
.LBB35_1435:
	v_bfe_u32 v10, v6, 24, 3
	v_ffbh_u32_e32 v14, v10
	v_min_u32_e32 v14, 32, v14
	v_lshrrev_b32_e32 v12, 27, v6
	v_subrev_u32_e32 v15, 28, v14
	v_and_b32_e32 v11, 0x80000000, v6
	v_and_b32_e32 v12, 15, v12
	v_bfe_u32 v13, v6, 27, 4
	v_lshlrev_b32_sdwa v6, v15, v6 dst_sel:DWORD dst_unused:UNUSED_PAD src0_sel:DWORD src1_sel:BYTE_3
	v_sub_u32_e32 v14, 29, v14
	v_and_b32_e32 v6, 7, v6
	v_cmp_eq_u16_e32 vcc, 0, v12
	v_cndmask_b32_e32 v6, v10, v6, vcc
	v_cndmask_b32_e32 v10, v13, v14, vcc
	v_mov_b32_e32 v12, 0x3b800000
	v_lshlrev_b32_e32 v6, 20, v6
	v_lshl_add_u32 v10, v10, 23, v12
	v_or3_b32 v10, v11, v10, v6
.LBB35_1436:
	s_or_b64 exec, exec, s[6:7]
	s_movk_i32 s4, 0x7f
	v_cmp_gt_i16_sdwa s[6:7], v2, s4 src0_sel:BYTE_3 src1_sel:DWORD
	s_mov_b64 s[4:5], 0
                                        ; implicit-def: $sgpr10
	s_and_saveexec_b64 s[8:9], s[6:7]
	s_xor_b64 s[6:7], exec, s[8:9]
	s_cbranch_execnz .LBB35_3485
; %bb.1437:
	s_or_saveexec_b64 s[6:7], s[6:7]
	v_mov_b32_e32 v6, s10
	s_xor_b64 exec, exec, s[6:7]
	s_cbranch_execnz .LBB35_3488
.LBB35_1438:
	s_or_b64 exec, exec, s[6:7]
	s_and_saveexec_b64 s[6:7], s[4:5]
	s_cbranch_execz .LBB35_1440
.LBB35_1439:
	v_bfe_u32 v6, v2, 24, 3
	v_ffbh_u32_e32 v14, v6
	v_min_u32_e32 v14, 32, v14
	v_lshrrev_b32_e32 v12, 27, v2
	v_subrev_u32_e32 v15, 28, v14
	v_and_b32_e32 v11, 0x80000000, v2
	v_and_b32_e32 v12, 15, v12
	v_bfe_u32 v13, v2, 27, 4
	v_lshlrev_b32_sdwa v2, v15, v2 dst_sel:DWORD dst_unused:UNUSED_PAD src0_sel:DWORD src1_sel:BYTE_3
	v_sub_u32_e32 v14, 29, v14
	v_and_b32_e32 v2, 7, v2
	v_cmp_eq_u16_e32 vcc, 0, v12
	v_cndmask_b32_e32 v2, v6, v2, vcc
	v_cndmask_b32_e32 v6, v13, v14, vcc
	v_mov_b32_e32 v12, 0x3b800000
	v_lshlrev_b32_e32 v2, 20, v2
	v_lshl_add_u32 v6, v6, 23, v12
	v_or3_b32 v6, v11, v6, v2
.LBB35_1440:
	s_or_b64 exec, exec, s[6:7]
	s_nop 0
	v_mfma_f32_16x16x4f32 a[0:3], v10, v6, a[0:3]
	s_movk_i32 s4, 0x7f
	v_cmp_gt_i16_sdwa s[6:7], v7, s4 src0_sel:BYTE_0 src1_sel:DWORD
	s_mov_b64 s[4:5], 0
                                        ; implicit-def: $sgpr10
	s_and_saveexec_b64 s[8:9], s[6:7]
	s_xor_b64 s[6:7], exec, s[8:9]
	s_cbranch_execnz .LBB35_3489
; %bb.1441:
	s_or_saveexec_b64 s[6:7], s[6:7]
	v_mov_b32_e32 v2, s10
	s_xor_b64 exec, exec, s[6:7]
	s_cbranch_execnz .LBB35_3492
.LBB35_1442:
	s_or_b64 exec, exec, s[6:7]
	s_and_saveexec_b64 s[6:7], s[4:5]
	s_cbranch_execz .LBB35_1444
.LBB35_1443:
	v_and_b32_e32 v2, 7, v7
	v_ffbh_u32_e32 v10, v2
	v_min_u32_e32 v10, 32, v10
	v_lshrrev_b16_e32 v6, 3, v7
	v_subrev_u32_e32 v11, 28, v10
	v_and_b32_e32 v6, 15, v6
	v_lshlrev_b32_e32 v11, v11, v7
	v_sub_u32_e32 v10, 29, v10
	v_and_b32_e32 v11, 7, v11
	v_cmp_eq_u16_e32 vcc, 0, v6
	v_cndmask_b32_e32 v2, v2, v11, vcc
	v_cndmask_b32_e32 v6, v6, v10, vcc
	v_lshlrev_b32_e32 v10, 24, v7
	v_mov_b32_e32 v11, 0x3b800000
	v_lshlrev_b32_e32 v2, 20, v2
	v_and_b32_e32 v10, 0x80000000, v10
	v_lshl_add_u32 v6, v6, 23, v11
	v_or3_b32 v2, v10, v6, v2
.LBB35_1444:
	s_or_b64 exec, exec, s[6:7]
	s_movk_i32 s4, 0x7f
	v_cmp_gt_i16_sdwa s[6:7], v3, s4 src0_sel:BYTE_0 src1_sel:DWORD
	s_mov_b64 s[4:5], 0
                                        ; implicit-def: $sgpr10
	s_and_saveexec_b64 s[8:9], s[6:7]
	s_xor_b64 s[6:7], exec, s[8:9]
	s_cbranch_execnz .LBB35_3493
; %bb.1445:
	s_or_saveexec_b64 s[6:7], s[6:7]
	v_mov_b32_e32 v6, s10
	s_xor_b64 exec, exec, s[6:7]
	s_cbranch_execnz .LBB35_3496
.LBB35_1446:
	s_or_b64 exec, exec, s[6:7]
	s_and_saveexec_b64 s[6:7], s[4:5]
	s_cbranch_execz .LBB35_1448
.LBB35_1447:
	v_and_b32_e32 v6, 7, v3
	v_ffbh_u32_e32 v11, v6
	v_min_u32_e32 v11, 32, v11
	v_lshrrev_b16_e32 v10, 3, v3
	v_subrev_u32_e32 v12, 28, v11
	v_and_b32_e32 v10, 15, v10
	v_lshlrev_b32_e32 v12, v12, v3
	v_sub_u32_e32 v11, 29, v11
	v_and_b32_e32 v12, 7, v12
	v_cmp_eq_u16_e32 vcc, 0, v10
	v_cndmask_b32_e32 v6, v6, v12, vcc
	v_cndmask_b32_e32 v10, v10, v11, vcc
	v_lshlrev_b32_e32 v11, 24, v3
	v_mov_b32_e32 v12, 0x3b800000
	v_lshlrev_b32_e32 v6, 20, v6
	v_and_b32_e32 v11, 0x80000000, v11
	v_lshl_add_u32 v10, v10, 23, v12
	v_or3_b32 v6, v11, v10, v6
.LBB35_1448:
	s_or_b64 exec, exec, s[6:7]
	s_nop 0
	v_mfma_f32_16x16x4f32 a[0:3], v2, v6, a[0:3]
	v_lshrrev_b32_e32 v6, 8, v7
	s_movk_i32 s4, 0x7f
	v_cmp_gt_i16_sdwa s[6:7], v6, s4 src0_sel:BYTE_0 src1_sel:DWORD
	s_mov_b64 s[4:5], 0
                                        ; implicit-def: $sgpr10
	s_and_saveexec_b64 s[8:9], s[6:7]
	s_xor_b64 s[6:7], exec, s[8:9]
	s_cbranch_execnz .LBB35_3497
; %bb.1449:
	s_or_saveexec_b64 s[6:7], s[6:7]
	v_mov_b32_e32 v2, s10
	s_xor_b64 exec, exec, s[6:7]
	s_cbranch_execnz .LBB35_3500
.LBB35_1450:
	s_or_b64 exec, exec, s[6:7]
	s_and_saveexec_b64 s[6:7], s[4:5]
	s_cbranch_execz .LBB35_1452
.LBB35_1451:
	v_bfe_u32 v2, v7, 8, 3
	v_ffbh_u32_e32 v11, v2
	v_min_u32_e32 v11, 32, v11
	v_lshrrev_b16_e32 v10, 3, v6
	v_subrev_u32_e32 v12, 28, v11
	v_and_b32_e32 v10, 15, v10
	v_lshlrev_b32_e32 v6, v12, v6
	v_sub_u32_e32 v11, 29, v11
	v_and_b32_e32 v6, 7, v6
	v_cmp_eq_u16_e32 vcc, 0, v10
	v_cndmask_b32_e32 v2, v2, v6, vcc
	v_cndmask_b32_e32 v6, v10, v11, vcc
	v_lshlrev_b32_e32 v10, 16, v7
	v_mov_b32_e32 v11, 0x3b800000
	v_lshlrev_b32_e32 v2, 20, v2
	v_and_b32_e32 v10, 0x80000000, v10
	v_lshl_add_u32 v6, v6, 23, v11
	v_or3_b32 v2, v10, v6, v2
.LBB35_1452:
	s_or_b64 exec, exec, s[6:7]
	v_lshrrev_b32_e32 v6, 8, v3
	s_movk_i32 s4, 0x7f
	v_cmp_gt_i16_sdwa s[6:7], v6, s4 src0_sel:BYTE_0 src1_sel:DWORD
	s_mov_b64 s[4:5], 0
                                        ; implicit-def: $sgpr10
	s_and_saveexec_b64 s[8:9], s[6:7]
	s_xor_b64 s[6:7], exec, s[8:9]
	s_cbranch_execnz .LBB35_3501
; %bb.1453:
	s_or_saveexec_b64 s[6:7], s[6:7]
	v_mov_b32_e32 v10, s10
	s_xor_b64 exec, exec, s[6:7]
	s_cbranch_execnz .LBB35_3504
.LBB35_1454:
	s_or_b64 exec, exec, s[6:7]
	s_and_saveexec_b64 s[6:7], s[4:5]
	s_cbranch_execz .LBB35_1456
.LBB35_1455:
	v_bfe_u32 v10, v3, 8, 3
	v_ffbh_u32_e32 v12, v10
	v_min_u32_e32 v12, 32, v12
	v_lshrrev_b16_e32 v11, 3, v6
	v_subrev_u32_e32 v13, 28, v12
	v_and_b32_e32 v11, 15, v11
	v_lshlrev_b32_e32 v6, v13, v6
	v_sub_u32_e32 v12, 29, v12
	v_and_b32_e32 v6, 7, v6
	v_cmp_eq_u16_e32 vcc, 0, v11
	v_cndmask_b32_e32 v6, v10, v6, vcc
	v_cndmask_b32_e32 v10, v11, v12, vcc
	v_lshlrev_b32_e32 v11, 16, v3
	v_mov_b32_e32 v12, 0x3b800000
	v_lshlrev_b32_e32 v6, 20, v6
	v_and_b32_e32 v11, 0x80000000, v11
	v_lshl_add_u32 v10, v10, 23, v12
	v_or3_b32 v10, v11, v10, v6
.LBB35_1456:
	s_or_b64 exec, exec, s[6:7]
	s_nop 0
	v_mfma_f32_16x16x4f32 a[0:3], v2, v10, a[0:3]
	s_movk_i32 s4, 0xff
	v_and_b32_sdwa v6, v7, s4 dst_sel:DWORD dst_unused:UNUSED_PAD src0_sel:WORD_1 src1_sel:DWORD
	s_movk_i32 s4, 0x7f
	v_cmp_lt_i16_e32 vcc, s4, v6
	s_mov_b64 s[4:5], 0
                                        ; implicit-def: $sgpr10
	s_and_saveexec_b64 s[6:7], vcc
	s_xor_b64 s[6:7], exec, s[6:7]
	s_cbranch_execnz .LBB35_3505
; %bb.1457:
	s_or_saveexec_b64 s[6:7], s[6:7]
	v_mov_b32_e32 v2, s10
	s_xor_b64 exec, exec, s[6:7]
	s_cbranch_execnz .LBB35_3508
.LBB35_1458:
	s_or_b64 exec, exec, s[6:7]
	s_and_saveexec_b64 s[6:7], s[4:5]
	s_cbranch_execz .LBB35_1460
.LBB35_1459:
	v_bfe_u32 v2, v7, 16, 3
	v_ffbh_u32_e32 v11, v2
	v_min_u32_e32 v11, 32, v11
	v_lshrrev_b32_e32 v6, 19, v7
	v_subrev_u32_e32 v12, 28, v11
	v_and_b32_e32 v6, 15, v6
	v_lshlrev_b32_sdwa v12, v12, v7 dst_sel:DWORD dst_unused:UNUSED_PAD src0_sel:DWORD src1_sel:WORD_1
	v_bfe_u32 v10, v7, 19, 4
	v_sub_u32_e32 v11, 29, v11
	v_and_b32_e32 v12, 7, v12
	v_cmp_eq_u16_e32 vcc, 0, v6
	v_cndmask_b32_e32 v2, v2, v12, vcc
	v_cndmask_b32_e32 v6, v10, v11, vcc
	v_lshlrev_b32_e32 v10, 8, v7
	v_mov_b32_e32 v11, 0x3b800000
	v_lshlrev_b32_e32 v2, 20, v2
	v_and_b32_e32 v10, 0x80000000, v10
	v_lshl_add_u32 v6, v6, 23, v11
	v_or3_b32 v2, v10, v6, v2
.LBB35_1460:
	s_or_b64 exec, exec, s[6:7]
	s_movk_i32 s4, 0xff
	v_and_b32_sdwa v6, v3, s4 dst_sel:DWORD dst_unused:UNUSED_PAD src0_sel:WORD_1 src1_sel:DWORD
	s_movk_i32 s4, 0x7f
	v_cmp_lt_i16_e32 vcc, s4, v6
	s_mov_b64 s[4:5], 0
                                        ; implicit-def: $sgpr10
	s_and_saveexec_b64 s[6:7], vcc
	s_xor_b64 s[6:7], exec, s[6:7]
	s_cbranch_execnz .LBB35_3509
; %bb.1461:
	s_or_saveexec_b64 s[6:7], s[6:7]
	v_mov_b32_e32 v10, s10
	s_xor_b64 exec, exec, s[6:7]
	s_cbranch_execnz .LBB35_3512
.LBB35_1462:
	s_or_b64 exec, exec, s[6:7]
	s_and_saveexec_b64 s[6:7], s[4:5]
	s_cbranch_execz .LBB35_1464
.LBB35_1463:
	v_bfe_u32 v6, v3, 16, 3
	v_ffbh_u32_e32 v12, v6
	v_min_u32_e32 v12, 32, v12
	v_lshrrev_b32_e32 v10, 19, v3
	v_subrev_u32_e32 v13, 28, v12
	v_and_b32_e32 v10, 15, v10
	v_lshlrev_b32_sdwa v13, v13, v3 dst_sel:DWORD dst_unused:UNUSED_PAD src0_sel:DWORD src1_sel:WORD_1
	v_bfe_u32 v11, v3, 19, 4
	v_sub_u32_e32 v12, 29, v12
	v_and_b32_e32 v13, 7, v13
	v_cmp_eq_u16_e32 vcc, 0, v10
	v_cndmask_b32_e32 v6, v6, v13, vcc
	v_cndmask_b32_e32 v10, v11, v12, vcc
	v_lshlrev_b32_e32 v11, 8, v3
	v_mov_b32_e32 v12, 0x3b800000
	v_lshlrev_b32_e32 v6, 20, v6
	v_and_b32_e32 v11, 0x80000000, v11
	v_lshl_add_u32 v10, v10, 23, v12
	v_or3_b32 v10, v11, v10, v6
.LBB35_1464:
	s_or_b64 exec, exec, s[6:7]
	s_nop 0
	v_mfma_f32_16x16x4f32 a[0:3], v2, v10, a[0:3]
	s_movk_i32 s4, 0x7f
	v_cmp_gt_i16_sdwa s[6:7], v7, s4 src0_sel:BYTE_3 src1_sel:DWORD
	s_mov_b64 s[4:5], 0
                                        ; implicit-def: $sgpr10
	s_and_saveexec_b64 s[8:9], s[6:7]
	s_xor_b64 s[6:7], exec, s[8:9]
	s_cbranch_execnz .LBB35_3513
; %bb.1465:
	s_or_saveexec_b64 s[6:7], s[6:7]
	v_mov_b32_e32 v2, s10
	s_xor_b64 exec, exec, s[6:7]
	s_cbranch_execnz .LBB35_3516
.LBB35_1466:
	s_or_b64 exec, exec, s[6:7]
	s_and_saveexec_b64 s[6:7], s[4:5]
	s_cbranch_execz .LBB35_1468
.LBB35_1467:
	v_bfe_u32 v2, v7, 24, 3
	v_ffbh_u32_e32 v12, v2
	v_min_u32_e32 v12, 32, v12
	v_lshrrev_b32_e32 v10, 27, v7
	v_subrev_u32_e32 v13, 28, v12
	v_and_b32_e32 v6, 0x80000000, v7
	v_and_b32_e32 v10, 15, v10
	v_bfe_u32 v11, v7, 27, 4
	v_lshlrev_b32_sdwa v7, v13, v7 dst_sel:DWORD dst_unused:UNUSED_PAD src0_sel:DWORD src1_sel:BYTE_3
	v_sub_u32_e32 v12, 29, v12
	v_and_b32_e32 v7, 7, v7
	v_cmp_eq_u16_e32 vcc, 0, v10
	v_cndmask_b32_e32 v2, v2, v7, vcc
	v_cndmask_b32_e32 v7, v11, v12, vcc
	v_mov_b32_e32 v10, 0x3b800000
	v_lshlrev_b32_e32 v2, 20, v2
	v_lshl_add_u32 v7, v7, 23, v10
	v_or3_b32 v2, v6, v7, v2
.LBB35_1468:
	s_or_b64 exec, exec, s[6:7]
	s_movk_i32 s4, 0x7f
	v_cmp_gt_i16_sdwa s[6:7], v3, s4 src0_sel:BYTE_3 src1_sel:DWORD
	s_mov_b64 s[4:5], 0
                                        ; implicit-def: $sgpr10
	s_and_saveexec_b64 s[8:9], s[6:7]
	s_xor_b64 s[6:7], exec, s[8:9]
	s_cbranch_execnz .LBB35_3517
; %bb.1469:
	s_or_saveexec_b64 s[6:7], s[6:7]
	v_mov_b32_e32 v6, s10
	s_xor_b64 exec, exec, s[6:7]
	s_cbranch_execnz .LBB35_3520
.LBB35_1470:
	s_or_b64 exec, exec, s[6:7]
	s_and_saveexec_b64 s[6:7], s[4:5]
	s_cbranch_execz .LBB35_1472
.LBB35_1471:
	v_bfe_u32 v6, v3, 24, 3
	v_ffbh_u32_e32 v12, v6
	v_min_u32_e32 v12, 32, v12
	v_lshrrev_b32_e32 v10, 27, v3
	v_subrev_u32_e32 v13, 28, v12
	v_and_b32_e32 v7, 0x80000000, v3
	v_and_b32_e32 v10, 15, v10
	v_bfe_u32 v11, v3, 27, 4
	v_lshlrev_b32_sdwa v3, v13, v3 dst_sel:DWORD dst_unused:UNUSED_PAD src0_sel:DWORD src1_sel:BYTE_3
	v_sub_u32_e32 v12, 29, v12
	v_and_b32_e32 v3, 7, v3
	v_cmp_eq_u16_e32 vcc, 0, v10
	v_cndmask_b32_e32 v3, v6, v3, vcc
	v_cndmask_b32_e32 v6, v11, v12, vcc
	v_mov_b32_e32 v10, 0x3b800000
	v_lshlrev_b32_e32 v3, 20, v3
	v_lshl_add_u32 v6, v6, 23, v10
	v_or3_b32 v6, v7, v6, v3
.LBB35_1472:
	s_or_b64 exec, exec, s[6:7]
	s_nop 0
	v_mfma_f32_16x16x4f32 a[0:3], v2, v6, a[0:3]
	s_movk_i32 s4, 0x7f
	v_cmp_gt_i16_sdwa s[6:7], v8, s4 src0_sel:BYTE_0 src1_sel:DWORD
	s_mov_b64 s[4:5], 0
                                        ; implicit-def: $sgpr10
	s_and_saveexec_b64 s[8:9], s[6:7]
	s_xor_b64 s[6:7], exec, s[8:9]
	s_cbranch_execnz .LBB35_3521
; %bb.1473:
	s_or_saveexec_b64 s[6:7], s[6:7]
	v_mov_b32_e32 v2, s10
	s_xor_b64 exec, exec, s[6:7]
	s_cbranch_execnz .LBB35_3524
.LBB35_1474:
	s_or_b64 exec, exec, s[6:7]
	s_and_saveexec_b64 s[6:7], s[4:5]
	s_cbranch_execz .LBB35_1476
.LBB35_1475:
	v_and_b32_e32 v2, 7, v8
	v_ffbh_u32_e32 v6, v2
	v_min_u32_e32 v6, 32, v6
	v_lshrrev_b16_e32 v3, 3, v8
	v_subrev_u32_e32 v7, 28, v6
	v_and_b32_e32 v3, 15, v3
	v_lshlrev_b32_e32 v7, v7, v8
	v_sub_u32_e32 v6, 29, v6
	v_and_b32_e32 v7, 7, v7
	v_cmp_eq_u16_e32 vcc, 0, v3
	v_cndmask_b32_e32 v2, v2, v7, vcc
	v_cndmask_b32_e32 v3, v3, v6, vcc
	v_lshlrev_b32_e32 v6, 24, v8
	v_mov_b32_e32 v7, 0x3b800000
	v_lshlrev_b32_e32 v2, 20, v2
	v_and_b32_e32 v6, 0x80000000, v6
	v_lshl_add_u32 v3, v3, 23, v7
	v_or3_b32 v2, v6, v3, v2
.LBB35_1476:
	s_or_b64 exec, exec, s[6:7]
	s_movk_i32 s4, 0x7f
	v_cmp_gt_i16_sdwa s[6:7], v4, s4 src0_sel:BYTE_0 src1_sel:DWORD
	s_mov_b64 s[4:5], 0
                                        ; implicit-def: $sgpr10
	s_and_saveexec_b64 s[8:9], s[6:7]
	s_xor_b64 s[6:7], exec, s[8:9]
	s_cbranch_execnz .LBB35_3525
; %bb.1477:
	s_or_saveexec_b64 s[6:7], s[6:7]
	v_mov_b32_e32 v3, s10
	s_xor_b64 exec, exec, s[6:7]
	s_cbranch_execnz .LBB35_3528
.LBB35_1478:
	s_or_b64 exec, exec, s[6:7]
	s_and_saveexec_b64 s[6:7], s[4:5]
	s_cbranch_execz .LBB35_1480
.LBB35_1479:
	v_and_b32_e32 v3, 7, v4
	v_ffbh_u32_e32 v7, v3
	v_min_u32_e32 v7, 32, v7
	v_lshrrev_b16_e32 v6, 3, v4
	v_subrev_u32_e32 v10, 28, v7
	v_and_b32_e32 v6, 15, v6
	v_lshlrev_b32_e32 v10, v10, v4
	v_sub_u32_e32 v7, 29, v7
	v_and_b32_e32 v10, 7, v10
	v_cmp_eq_u16_e32 vcc, 0, v6
	v_cndmask_b32_e32 v3, v3, v10, vcc
	v_cndmask_b32_e32 v6, v6, v7, vcc
	v_lshlrev_b32_e32 v7, 24, v4
	v_mov_b32_e32 v10, 0x3b800000
	v_lshlrev_b32_e32 v3, 20, v3
	v_and_b32_e32 v7, 0x80000000, v7
	v_lshl_add_u32 v6, v6, 23, v10
	v_or3_b32 v3, v7, v6, v3
.LBB35_1480:
	s_or_b64 exec, exec, s[6:7]
	s_nop 0
	v_mfma_f32_16x16x4f32 a[0:3], v2, v3, a[0:3]
	v_lshrrev_b32_e32 v3, 8, v8
	s_movk_i32 s4, 0x7f
	v_cmp_gt_i16_sdwa s[6:7], v3, s4 src0_sel:BYTE_0 src1_sel:DWORD
	s_mov_b64 s[4:5], 0
                                        ; implicit-def: $sgpr10
	s_and_saveexec_b64 s[8:9], s[6:7]
	s_xor_b64 s[6:7], exec, s[8:9]
	s_cbranch_execnz .LBB35_3529
; %bb.1481:
	s_or_saveexec_b64 s[6:7], s[6:7]
	v_mov_b32_e32 v2, s10
	s_xor_b64 exec, exec, s[6:7]
	s_cbranch_execnz .LBB35_3532
.LBB35_1482:
	s_or_b64 exec, exec, s[6:7]
	s_and_saveexec_b64 s[6:7], s[4:5]
	s_cbranch_execz .LBB35_1484
.LBB35_1483:
	v_bfe_u32 v2, v8, 8, 3
	v_ffbh_u32_e32 v7, v2
	v_min_u32_e32 v7, 32, v7
	v_lshrrev_b16_e32 v6, 3, v3
	v_subrev_u32_e32 v10, 28, v7
	v_and_b32_e32 v6, 15, v6
	v_lshlrev_b32_e32 v3, v10, v3
	v_sub_u32_e32 v7, 29, v7
	v_and_b32_e32 v3, 7, v3
	v_cmp_eq_u16_e32 vcc, 0, v6
	v_cndmask_b32_e32 v2, v2, v3, vcc
	v_cndmask_b32_e32 v3, v6, v7, vcc
	v_lshlrev_b32_e32 v6, 16, v8
	v_mov_b32_e32 v7, 0x3b800000
	v_lshlrev_b32_e32 v2, 20, v2
	v_and_b32_e32 v6, 0x80000000, v6
	v_lshl_add_u32 v3, v3, 23, v7
	v_or3_b32 v2, v6, v3, v2
.LBB35_1484:
	s_or_b64 exec, exec, s[6:7]
	v_lshrrev_b32_e32 v3, 8, v4
	s_movk_i32 s4, 0x7f
	v_cmp_gt_i16_sdwa s[6:7], v3, s4 src0_sel:BYTE_0 src1_sel:DWORD
	s_mov_b64 s[4:5], 0
                                        ; implicit-def: $sgpr10
	s_and_saveexec_b64 s[8:9], s[6:7]
	s_xor_b64 s[6:7], exec, s[8:9]
	s_cbranch_execnz .LBB35_3533
; %bb.1485:
	s_or_saveexec_b64 s[6:7], s[6:7]
	v_mov_b32_e32 v6, s10
	s_xor_b64 exec, exec, s[6:7]
	s_cbranch_execnz .LBB35_3536
.LBB35_1486:
	s_or_b64 exec, exec, s[6:7]
	s_and_saveexec_b64 s[6:7], s[4:5]
	s_cbranch_execz .LBB35_1488
.LBB35_1487:
	v_bfe_u32 v6, v4, 8, 3
	v_ffbh_u32_e32 v10, v6
	v_min_u32_e32 v10, 32, v10
	v_lshrrev_b16_e32 v7, 3, v3
	v_subrev_u32_e32 v11, 28, v10
	v_and_b32_e32 v7, 15, v7
	v_lshlrev_b32_e32 v3, v11, v3
	v_sub_u32_e32 v10, 29, v10
	v_and_b32_e32 v3, 7, v3
	v_cmp_eq_u16_e32 vcc, 0, v7
	v_cndmask_b32_e32 v3, v6, v3, vcc
	v_cndmask_b32_e32 v6, v7, v10, vcc
	v_lshlrev_b32_e32 v7, 16, v4
	v_mov_b32_e32 v10, 0x3b800000
	v_lshlrev_b32_e32 v3, 20, v3
	v_and_b32_e32 v7, 0x80000000, v7
	v_lshl_add_u32 v6, v6, 23, v10
	v_or3_b32 v6, v7, v6, v3
.LBB35_1488:
	s_or_b64 exec, exec, s[6:7]
	s_nop 0
	v_mfma_f32_16x16x4f32 a[0:3], v2, v6, a[0:3]
	s_movk_i32 s4, 0xff
	v_and_b32_sdwa v3, v8, s4 dst_sel:DWORD dst_unused:UNUSED_PAD src0_sel:WORD_1 src1_sel:DWORD
	s_movk_i32 s4, 0x7f
	v_cmp_lt_i16_e32 vcc, s4, v3
	s_mov_b64 s[4:5], 0
                                        ; implicit-def: $sgpr10
	s_and_saveexec_b64 s[6:7], vcc
	s_xor_b64 s[6:7], exec, s[6:7]
	s_cbranch_execnz .LBB35_3537
; %bb.1489:
	s_or_saveexec_b64 s[6:7], s[6:7]
	v_mov_b32_e32 v2, s10
	s_xor_b64 exec, exec, s[6:7]
	s_cbranch_execnz .LBB35_3540
.LBB35_1490:
	s_or_b64 exec, exec, s[6:7]
	s_and_saveexec_b64 s[6:7], s[4:5]
	s_cbranch_execz .LBB35_1492
.LBB35_1491:
	v_bfe_u32 v2, v8, 16, 3
	v_ffbh_u32_e32 v7, v2
	v_min_u32_e32 v7, 32, v7
	v_lshrrev_b32_e32 v3, 19, v8
	v_subrev_u32_e32 v10, 28, v7
	v_and_b32_e32 v3, 15, v3
	v_lshlrev_b32_sdwa v10, v10, v8 dst_sel:DWORD dst_unused:UNUSED_PAD src0_sel:DWORD src1_sel:WORD_1
	v_bfe_u32 v6, v8, 19, 4
	v_sub_u32_e32 v7, 29, v7
	v_and_b32_e32 v10, 7, v10
	v_cmp_eq_u16_e32 vcc, 0, v3
	v_cndmask_b32_e32 v2, v2, v10, vcc
	v_cndmask_b32_e32 v3, v6, v7, vcc
	v_lshlrev_b32_e32 v6, 8, v8
	v_mov_b32_e32 v7, 0x3b800000
	v_lshlrev_b32_e32 v2, 20, v2
	v_and_b32_e32 v6, 0x80000000, v6
	v_lshl_add_u32 v3, v3, 23, v7
	v_or3_b32 v2, v6, v3, v2
.LBB35_1492:
	s_or_b64 exec, exec, s[6:7]
	s_movk_i32 s4, 0xff
	v_and_b32_sdwa v3, v4, s4 dst_sel:DWORD dst_unused:UNUSED_PAD src0_sel:WORD_1 src1_sel:DWORD
	s_movk_i32 s4, 0x7f
	v_cmp_lt_i16_e32 vcc, s4, v3
	s_mov_b64 s[4:5], 0
                                        ; implicit-def: $sgpr10
	s_and_saveexec_b64 s[6:7], vcc
	s_xor_b64 s[6:7], exec, s[6:7]
	s_cbranch_execnz .LBB35_3541
; %bb.1493:
	s_or_saveexec_b64 s[6:7], s[6:7]
	v_mov_b32_e32 v6, s10
	s_xor_b64 exec, exec, s[6:7]
	s_cbranch_execnz .LBB35_3544
.LBB35_1494:
	s_or_b64 exec, exec, s[6:7]
	s_and_saveexec_b64 s[6:7], s[4:5]
	s_cbranch_execz .LBB35_1496
.LBB35_1495:
	v_bfe_u32 v3, v4, 16, 3
	v_ffbh_u32_e32 v10, v3
	v_min_u32_e32 v10, 32, v10
	v_lshrrev_b32_e32 v6, 19, v4
	v_subrev_u32_e32 v11, 28, v10
	v_and_b32_e32 v6, 15, v6
	v_lshlrev_b32_sdwa v11, v11, v4 dst_sel:DWORD dst_unused:UNUSED_PAD src0_sel:DWORD src1_sel:WORD_1
	v_bfe_u32 v7, v4, 19, 4
	v_sub_u32_e32 v10, 29, v10
	v_and_b32_e32 v11, 7, v11
	v_cmp_eq_u16_e32 vcc, 0, v6
	v_cndmask_b32_e32 v3, v3, v11, vcc
	v_cndmask_b32_e32 v6, v7, v10, vcc
	v_lshlrev_b32_e32 v7, 8, v4
	v_mov_b32_e32 v10, 0x3b800000
	v_lshlrev_b32_e32 v3, 20, v3
	v_and_b32_e32 v7, 0x80000000, v7
	v_lshl_add_u32 v6, v6, 23, v10
	v_or3_b32 v6, v7, v6, v3
.LBB35_1496:
	s_or_b64 exec, exec, s[6:7]
	s_nop 0
	v_mfma_f32_16x16x4f32 a[0:3], v2, v6, a[0:3]
	s_movk_i32 s4, 0x7f
	v_cmp_gt_i16_sdwa s[6:7], v8, s4 src0_sel:BYTE_3 src1_sel:DWORD
	s_mov_b64 s[4:5], 0
                                        ; implicit-def: $sgpr10
	s_and_saveexec_b64 s[8:9], s[6:7]
	s_xor_b64 s[6:7], exec, s[8:9]
	s_cbranch_execnz .LBB35_3545
; %bb.1497:
	s_or_saveexec_b64 s[6:7], s[6:7]
	v_mov_b32_e32 v2, s10
	s_xor_b64 exec, exec, s[6:7]
	s_cbranch_execnz .LBB35_3548
.LBB35_1498:
	s_or_b64 exec, exec, s[6:7]
	s_and_saveexec_b64 s[6:7], s[4:5]
	s_cbranch_execz .LBB35_1500
.LBB35_1499:
	v_bfe_u32 v2, v8, 24, 3
	v_ffbh_u32_e32 v10, v2
	v_min_u32_e32 v10, 32, v10
	v_lshrrev_b32_e32 v6, 27, v8
	v_subrev_u32_e32 v11, 28, v10
	v_and_b32_e32 v3, 0x80000000, v8
	v_and_b32_e32 v6, 15, v6
	v_bfe_u32 v7, v8, 27, 4
	v_lshlrev_b32_sdwa v8, v11, v8 dst_sel:DWORD dst_unused:UNUSED_PAD src0_sel:DWORD src1_sel:BYTE_3
	v_sub_u32_e32 v10, 29, v10
	v_and_b32_e32 v8, 7, v8
	v_cmp_eq_u16_e32 vcc, 0, v6
	v_cndmask_b32_e32 v2, v2, v8, vcc
	v_cndmask_b32_e32 v6, v7, v10, vcc
	v_mov_b32_e32 v7, 0x3b800000
	v_lshlrev_b32_e32 v2, 20, v2
	v_lshl_add_u32 v6, v6, 23, v7
	v_or3_b32 v2, v3, v6, v2
.LBB35_1500:
	s_or_b64 exec, exec, s[6:7]
	s_movk_i32 s4, 0x7f
	v_cmp_gt_i16_sdwa s[6:7], v4, s4 src0_sel:BYTE_3 src1_sel:DWORD
	s_mov_b64 s[4:5], 0
                                        ; implicit-def: $sgpr10
	s_and_saveexec_b64 s[8:9], s[6:7]
	s_xor_b64 s[6:7], exec, s[8:9]
	s_cbranch_execnz .LBB35_3549
; %bb.1501:
	s_or_saveexec_b64 s[6:7], s[6:7]
	v_mov_b32_e32 v3, s10
	s_xor_b64 exec, exec, s[6:7]
	s_cbranch_execnz .LBB35_3552
.LBB35_1502:
	s_or_b64 exec, exec, s[6:7]
	s_and_saveexec_b64 s[6:7], s[4:5]
	s_cbranch_execz .LBB35_1504
.LBB35_1503:
	v_bfe_u32 v3, v4, 24, 3
	v_ffbh_u32_e32 v10, v3
	v_min_u32_e32 v10, 32, v10
	v_lshrrev_b32_e32 v7, 27, v4
	v_subrev_u32_e32 v11, 28, v10
	v_and_b32_e32 v6, 0x80000000, v4
	v_and_b32_e32 v7, 15, v7
	v_bfe_u32 v8, v4, 27, 4
	v_lshlrev_b32_sdwa v4, v11, v4 dst_sel:DWORD dst_unused:UNUSED_PAD src0_sel:DWORD src1_sel:BYTE_3
	v_sub_u32_e32 v10, 29, v10
	v_and_b32_e32 v4, 7, v4
	v_cmp_eq_u16_e32 vcc, 0, v7
	v_cndmask_b32_e32 v3, v3, v4, vcc
	v_cndmask_b32_e32 v4, v8, v10, vcc
	v_mov_b32_e32 v7, 0x3b800000
	v_lshlrev_b32_e32 v3, 20, v3
	v_lshl_add_u32 v4, v4, 23, v7
	v_or3_b32 v3, v6, v4, v3
.LBB35_1504:
	s_or_b64 exec, exec, s[6:7]
	s_nop 0
	v_mfma_f32_16x16x4f32 a[0:3], v2, v3, a[0:3]
	s_movk_i32 s4, 0x7f
	v_cmp_gt_i16_sdwa s[6:7], v9, s4 src0_sel:BYTE_0 src1_sel:DWORD
	s_mov_b64 s[4:5], 0
                                        ; implicit-def: $sgpr10
	s_and_saveexec_b64 s[8:9], s[6:7]
	s_xor_b64 s[6:7], exec, s[8:9]
	s_cbranch_execnz .LBB35_3553
; %bb.1505:
	s_or_saveexec_b64 s[6:7], s[6:7]
	v_mov_b32_e32 v2, s10
	s_xor_b64 exec, exec, s[6:7]
	s_cbranch_execnz .LBB35_3556
.LBB35_1506:
	s_or_b64 exec, exec, s[6:7]
	s_and_saveexec_b64 s[6:7], s[4:5]
	s_cbranch_execz .LBB35_1508
.LBB35_1507:
	v_mov_b32_e32 v2, 8
	v_and_b32_e32 v3, 7, v9
	v_lshrrev_b32_sdwa v2, v2, v9 dst_sel:BYTE_1 dst_unused:UNUSED_PAD src0_sel:DWORD src1_sel:DWORD
	v_ffbh_u32_e32 v4, v3
	v_or_b32_sdwa v2, v9, v2 dst_sel:DWORD dst_unused:UNUSED_PAD src0_sel:BYTE_0 src1_sel:DWORD
	v_min_u32_e32 v4, 32, v4
	v_lshrrev_b16_e32 v2, 3, v2
	v_subrev_u32_e32 v6, 28, v4
	v_and_b32_e32 v2, 15, v2
	v_lshlrev_b32_e32 v6, v6, v9
	v_sub_u32_e32 v4, 29, v4
	v_and_b32_e32 v6, 7, v6
	v_cmp_eq_u16_e32 vcc, 0, v2
	v_cndmask_b32_e32 v3, v3, v6, vcc
	v_cndmask_b32_e32 v2, v2, v4, vcc
	v_lshlrev_b32_e32 v4, 24, v9
	v_mov_b32_e32 v6, 0x3b800000
	v_lshlrev_b32_e32 v3, 20, v3
	v_and_b32_e32 v4, 0x80000000, v4
	v_lshl_add_u32 v2, v2, 23, v6
	v_or3_b32 v2, v4, v2, v3
.LBB35_1508:
	s_or_b64 exec, exec, s[6:7]
	s_movk_i32 s4, 0x7f
	v_cmp_gt_i16_sdwa s[6:7], v5, s4 src0_sel:BYTE_0 src1_sel:DWORD
	s_mov_b64 s[4:5], 0
                                        ; implicit-def: $sgpr10
	s_and_saveexec_b64 s[8:9], s[6:7]
	s_xor_b64 s[6:7], exec, s[8:9]
	s_cbranch_execnz .LBB35_3557
; %bb.1509:
	s_or_saveexec_b64 s[6:7], s[6:7]
	v_mov_b32_e32 v3, s10
	s_xor_b64 exec, exec, s[6:7]
	s_cbranch_execnz .LBB35_3560
.LBB35_1510:
	s_or_b64 exec, exec, s[6:7]
	s_and_saveexec_b64 s[6:7], s[4:5]
	s_cbranch_execz .LBB35_1512
.LBB35_1511:
	v_mov_b32_e32 v3, 8
	v_and_b32_e32 v4, 7, v5
	v_lshrrev_b32_sdwa v3, v3, v5 dst_sel:BYTE_1 dst_unused:UNUSED_PAD src0_sel:DWORD src1_sel:DWORD
	v_ffbh_u32_e32 v6, v4
	v_or_b32_sdwa v3, v5, v3 dst_sel:DWORD dst_unused:UNUSED_PAD src0_sel:BYTE_0 src1_sel:DWORD
	v_min_u32_e32 v6, 32, v6
	v_lshrrev_b16_e32 v3, 3, v3
	v_subrev_u32_e32 v7, 28, v6
	v_and_b32_e32 v3, 15, v3
	v_lshlrev_b32_e32 v7, v7, v5
	v_sub_u32_e32 v6, 29, v6
	v_and_b32_e32 v7, 7, v7
	v_cmp_eq_u16_e32 vcc, 0, v3
	v_cndmask_b32_e32 v4, v4, v7, vcc
	v_cndmask_b32_e32 v3, v3, v6, vcc
	v_lshlrev_b32_e32 v6, 24, v5
	v_mov_b32_e32 v7, 0x3b800000
	v_lshlrev_b32_e32 v4, 20, v4
	v_and_b32_e32 v6, 0x80000000, v6
	v_lshl_add_u32 v3, v3, 23, v7
	v_or3_b32 v3, v6, v3, v4
.LBB35_1512:
	s_or_b64 exec, exec, s[6:7]
	s_nop 0
	v_mfma_f32_16x16x4f32 a[0:3], v2, v3, a[0:3]
	v_lshrrev_b32_e32 v3, 8, v9
	s_movk_i32 s4, 0x7f
	v_cmp_gt_i16_sdwa s[6:7], v3, s4 src0_sel:BYTE_0 src1_sel:DWORD
	s_mov_b64 s[4:5], 0
                                        ; implicit-def: $sgpr10
	s_and_saveexec_b64 s[8:9], s[6:7]
	s_xor_b64 s[6:7], exec, s[8:9]
	s_cbranch_execnz .LBB35_3561
; %bb.1513:
	s_or_saveexec_b64 s[6:7], s[6:7]
	v_mov_b32_e32 v2, s10
	s_xor_b64 exec, exec, s[6:7]
	s_cbranch_execnz .LBB35_3564
.LBB35_1514:
	s_or_b64 exec, exec, s[6:7]
	s_and_saveexec_b64 s[6:7], s[4:5]
	s_cbranch_execz .LBB35_1516
.LBB35_1515:
	v_bfe_u32 v2, v9, 8, 3
	v_ffbh_u32_e32 v6, v2
	v_min_u32_e32 v6, 32, v6
	v_lshrrev_b16_e32 v4, 3, v3
	v_subrev_u32_e32 v7, 28, v6
	v_and_b32_e32 v4, 15, v4
	v_lshlrev_b32_e32 v3, v7, v3
	v_sub_u32_e32 v6, 29, v6
	v_and_b32_e32 v3, 7, v3
	v_cmp_eq_u16_e32 vcc, 0, v4
	v_cndmask_b32_e32 v2, v2, v3, vcc
	v_cndmask_b32_e32 v3, v4, v6, vcc
	v_lshlrev_b32_e32 v4, 16, v9
	v_mov_b32_e32 v6, 0x3b800000
	v_lshlrev_b32_e32 v2, 20, v2
	v_and_b32_e32 v4, 0x80000000, v4
	v_lshl_add_u32 v3, v3, 23, v6
	v_or3_b32 v2, v4, v3, v2
.LBB35_1516:
	s_or_b64 exec, exec, s[6:7]
	v_lshrrev_b32_e32 v3, 8, v5
	s_movk_i32 s4, 0x7f
	v_cmp_gt_i16_sdwa s[6:7], v3, s4 src0_sel:BYTE_0 src1_sel:DWORD
	s_mov_b64 s[4:5], 0
                                        ; implicit-def: $sgpr10
	s_and_saveexec_b64 s[8:9], s[6:7]
	s_xor_b64 s[6:7], exec, s[8:9]
	s_cbranch_execnz .LBB35_3565
; %bb.1517:
	s_or_saveexec_b64 s[6:7], s[6:7]
	v_mov_b32_e32 v4, s10
	s_xor_b64 exec, exec, s[6:7]
	s_cbranch_execnz .LBB35_3568
.LBB35_1518:
	s_or_b64 exec, exec, s[6:7]
	s_and_saveexec_b64 s[6:7], s[4:5]
	s_cbranch_execz .LBB35_1520
.LBB35_1519:
	v_bfe_u32 v4, v5, 8, 3
	v_ffbh_u32_e32 v7, v4
	v_min_u32_e32 v7, 32, v7
	v_lshrrev_b16_e32 v6, 3, v3
	v_subrev_u32_e32 v8, 28, v7
	v_and_b32_e32 v6, 15, v6
	v_lshlrev_b32_e32 v3, v8, v3
	v_sub_u32_e32 v7, 29, v7
	v_and_b32_e32 v3, 7, v3
	v_cmp_eq_u16_e32 vcc, 0, v6
	v_cndmask_b32_e32 v3, v4, v3, vcc
	v_cndmask_b32_e32 v4, v6, v7, vcc
	v_lshlrev_b32_e32 v6, 16, v5
	v_mov_b32_e32 v7, 0x3b800000
	v_lshlrev_b32_e32 v3, 20, v3
	v_and_b32_e32 v6, 0x80000000, v6
	v_lshl_add_u32 v4, v4, 23, v7
	v_or3_b32 v4, v6, v4, v3
.LBB35_1520:
	s_or_b64 exec, exec, s[6:7]
	s_nop 0
	v_mfma_f32_16x16x4f32 a[0:3], v2, v4, a[0:3]
	s_movk_i32 s4, 0xff
	v_and_b32_sdwa v3, v9, s4 dst_sel:DWORD dst_unused:UNUSED_PAD src0_sel:WORD_1 src1_sel:DWORD
	s_movk_i32 s4, 0x7f
	v_cmp_lt_i16_e32 vcc, s4, v3
	s_mov_b64 s[4:5], 0
                                        ; implicit-def: $sgpr10
	s_and_saveexec_b64 s[6:7], vcc
	s_xor_b64 s[6:7], exec, s[6:7]
	s_cbranch_execnz .LBB35_3569
; %bb.1521:
	s_or_saveexec_b64 s[6:7], s[6:7]
	v_mov_b32_e32 v2, s10
	s_xor_b64 exec, exec, s[6:7]
	s_cbranch_execnz .LBB35_3572
.LBB35_1522:
	s_or_b64 exec, exec, s[6:7]
	s_and_saveexec_b64 s[6:7], s[4:5]
	s_cbranch_execz .LBB35_1524
.LBB35_1523:
	v_bfe_u32 v2, v9, 16, 3
	v_ffbh_u32_e32 v6, v2
	v_min_u32_e32 v6, 32, v6
	v_lshrrev_b32_e32 v3, 19, v9
	v_subrev_u32_e32 v7, 28, v6
	v_and_b32_e32 v3, 15, v3
	v_lshlrev_b32_sdwa v7, v7, v9 dst_sel:DWORD dst_unused:UNUSED_PAD src0_sel:DWORD src1_sel:WORD_1
	v_bfe_u32 v4, v9, 19, 4
	v_sub_u32_e32 v6, 29, v6
	v_and_b32_e32 v7, 7, v7
	v_cmp_eq_u16_e32 vcc, 0, v3
	v_cndmask_b32_e32 v2, v2, v7, vcc
	v_cndmask_b32_e32 v3, v4, v6, vcc
	v_lshlrev_b32_e32 v4, 8, v9
	v_mov_b32_e32 v6, 0x3b800000
	v_lshlrev_b32_e32 v2, 20, v2
	v_and_b32_e32 v4, 0x80000000, v4
	v_lshl_add_u32 v3, v3, 23, v6
	v_or3_b32 v2, v4, v3, v2
.LBB35_1524:
	s_or_b64 exec, exec, s[6:7]
	s_movk_i32 s4, 0xff
	v_and_b32_sdwa v3, v5, s4 dst_sel:DWORD dst_unused:UNUSED_PAD src0_sel:WORD_1 src1_sel:DWORD
	s_movk_i32 s4, 0x7f
	v_cmp_lt_i16_e32 vcc, s4, v3
	s_mov_b64 s[4:5], 0
                                        ; implicit-def: $sgpr10
	s_and_saveexec_b64 s[6:7], vcc
	s_xor_b64 s[6:7], exec, s[6:7]
	s_cbranch_execnz .LBB35_3573
; %bb.1525:
	s_or_saveexec_b64 s[6:7], s[6:7]
	v_mov_b32_e32 v4, s10
	s_xor_b64 exec, exec, s[6:7]
	s_cbranch_execnz .LBB35_3576
.LBB35_1526:
	s_or_b64 exec, exec, s[6:7]
	s_and_saveexec_b64 s[6:7], s[4:5]
	s_cbranch_execz .LBB35_1528
.LBB35_1527:
	v_bfe_u32 v3, v5, 16, 3
	v_ffbh_u32_e32 v7, v3
	v_min_u32_e32 v7, 32, v7
	v_lshrrev_b32_e32 v4, 19, v5
	v_subrev_u32_e32 v8, 28, v7
	v_and_b32_e32 v4, 15, v4
	v_lshlrev_b32_sdwa v8, v8, v5 dst_sel:DWORD dst_unused:UNUSED_PAD src0_sel:DWORD src1_sel:WORD_1
	v_bfe_u32 v6, v5, 19, 4
	v_sub_u32_e32 v7, 29, v7
	v_and_b32_e32 v8, 7, v8
	v_cmp_eq_u16_e32 vcc, 0, v4
	v_cndmask_b32_e32 v3, v3, v8, vcc
	v_cndmask_b32_e32 v4, v6, v7, vcc
	v_lshlrev_b32_e32 v6, 8, v5
	v_mov_b32_e32 v7, 0x3b800000
	v_lshlrev_b32_e32 v3, 20, v3
	v_and_b32_e32 v6, 0x80000000, v6
	v_lshl_add_u32 v4, v4, 23, v7
	v_or3_b32 v4, v6, v4, v3
.LBB35_1528:
	s_or_b64 exec, exec, s[6:7]
	s_nop 0
	v_mfma_f32_16x16x4f32 a[0:3], v2, v4, a[0:3]
	s_movk_i32 s4, 0x7f
	v_cmp_gt_i16_sdwa s[6:7], v9, s4 src0_sel:BYTE_3 src1_sel:DWORD
	s_mov_b64 s[4:5], 0
                                        ; implicit-def: $sgpr10
	s_and_saveexec_b64 s[8:9], s[6:7]
	s_xor_b64 s[6:7], exec, s[8:9]
	s_cbranch_execnz .LBB35_3577
; %bb.1529:
	s_or_saveexec_b64 s[6:7], s[6:7]
	v_mov_b32_e32 v2, s10
	s_xor_b64 exec, exec, s[6:7]
	s_cbranch_execnz .LBB35_3580
.LBB35_1530:
	s_or_b64 exec, exec, s[6:7]
	s_and_saveexec_b64 s[6:7], s[4:5]
	s_cbranch_execz .LBB35_1532
.LBB35_1531:
	v_bfe_u32 v2, v9, 24, 3
	v_ffbh_u32_e32 v7, v2
	v_min_u32_e32 v7, 32, v7
	v_lshrrev_b32_e32 v4, 27, v9
	v_subrev_u32_e32 v8, 28, v7
	v_and_b32_e32 v4, 15, v4
	v_lshlrev_b32_sdwa v8, v8, v9 dst_sel:DWORD dst_unused:UNUSED_PAD src0_sel:DWORD src1_sel:BYTE_3
	v_bfe_u32 v6, v9, 27, 4
	v_sub_u32_e32 v7, 29, v7
	v_and_b32_e32 v8, 7, v8
	v_cmp_eq_u16_e32 vcc, 0, v4
	v_cndmask_b32_e32 v2, v2, v8, vcc
	v_cndmask_b32_e32 v4, v6, v7, vcc
	v_mov_b32_e32 v6, 0x3b800000
	v_and_b32_e32 v3, 0x80000000, v9
	v_lshlrev_b32_e32 v2, 20, v2
	v_lshl_add_u32 v4, v4, 23, v6
	v_or3_b32 v2, v3, v4, v2
.LBB35_1532:
	s_or_b64 exec, exec, s[6:7]
	s_movk_i32 s4, 0x7f
	v_cmp_gt_i16_sdwa s[6:7], v5, s4 src0_sel:BYTE_3 src1_sel:DWORD
	s_mov_b64 s[4:5], 0
                                        ; implicit-def: $sgpr10
	s_and_saveexec_b64 s[8:9], s[6:7]
	s_xor_b64 s[6:7], exec, s[8:9]
	s_cbranch_execnz .LBB35_3581
; %bb.1533:
	s_or_saveexec_b64 s[6:7], s[6:7]
	v_mov_b32_e32 v3, s10
	s_xor_b64 exec, exec, s[6:7]
	s_cbranch_execnz .LBB35_3584
.LBB35_1534:
	s_or_b64 exec, exec, s[6:7]
	s_and_saveexec_b64 s[6:7], s[4:5]
	s_cbranch_execz .LBB35_1536
.LBB35_1535:
	v_bfe_u32 v3, v5, 24, 3
	v_ffbh_u32_e32 v8, v3
	v_min_u32_e32 v8, 32, v8
	v_lshrrev_b32_e32 v6, 27, v5
	v_subrev_u32_e32 v9, 28, v8
	v_and_b32_e32 v4, 0x80000000, v5
	v_and_b32_e32 v6, 15, v6
	v_bfe_u32 v7, v5, 27, 4
	v_lshlrev_b32_sdwa v5, v9, v5 dst_sel:DWORD dst_unused:UNUSED_PAD src0_sel:DWORD src1_sel:BYTE_3
	v_sub_u32_e32 v8, 29, v8
	v_and_b32_e32 v5, 7, v5
	v_cmp_eq_u16_e32 vcc, 0, v6
	v_cndmask_b32_e32 v3, v3, v5, vcc
	v_cndmask_b32_e32 v5, v7, v8, vcc
	v_mov_b32_e32 v6, 0x3b800000
	v_lshlrev_b32_e32 v3, 20, v3
	v_lshl_add_u32 v5, v5, 23, v6
	v_or3_b32 v3, v4, v5, v3
.LBB35_1536:
	s_or_b64 exec, exec, s[6:7]
	s_nop 0
	v_mfma_f32_16x16x4f32 a[0:3], v2, v3, a[0:3]
	s_movk_i32 s4, 0x7f
                                        ; implicit-def: $sgpr10
	s_nop 7
	s_nop 1
	flat_store_dwordx4 v[18:19], a[0:3] offset:976
	flat_load_dwordx4 v[20:23], v[0:1] offset:16
	s_nop 0
	flat_load_dwordx2 v[18:19], v[0:1] offset:32
	s_waitcnt vmcnt(0) lgkmcnt(0)
	flat_load_dwordx4 v[14:17], v[20:21] offset:32
	flat_load_dwordx4 v[6:9], v[20:21] offset:48
	;; [unrolled: 1-line block ×4, first 2 shown]
	s_waitcnt vmcnt(0) lgkmcnt(0)
	v_cmp_gt_i16_sdwa s[6:7], v14, s4 src0_sel:BYTE_0 src1_sel:DWORD
	s_mov_b64 s[4:5], 0
	s_and_saveexec_b64 s[8:9], s[6:7]
	s_xor_b64 s[6:7], exec, s[8:9]
	s_cbranch_execnz .LBB35_3585
; %bb.1537:
	s_or_saveexec_b64 s[6:7], s[6:7]
	v_mov_b32_e32 v20, s10
	s_xor_b64 exec, exec, s[6:7]
	s_cbranch_execnz .LBB35_3588
.LBB35_1538:
	s_or_b64 exec, exec, s[6:7]
	s_and_saveexec_b64 s[6:7], s[4:5]
	s_cbranch_execz .LBB35_1540
.LBB35_1539:
	v_and_b32_e32 v20, 7, v14
	v_ffbh_u32_e32 v22, v20
	v_min_u32_e32 v22, 32, v22
	v_lshrrev_b16_e32 v21, 3, v14
	v_subrev_u32_e32 v23, 28, v22
	v_and_b32_e32 v21, 15, v21
	v_lshlrev_b32_e32 v23, v23, v14
	v_sub_u32_e32 v22, 29, v22
	v_and_b32_e32 v23, 7, v23
	v_cmp_eq_u16_e32 vcc, 0, v21
	v_cndmask_b32_e32 v20, v20, v23, vcc
	v_cndmask_b32_e32 v21, v21, v22, vcc
	v_lshlrev_b32_e32 v22, 24, v14
	v_mov_b32_e32 v23, 0x3b800000
	v_lshlrev_b32_e32 v20, 20, v20
	v_and_b32_e32 v22, 0x80000000, v22
	v_lshl_add_u32 v21, v21, 23, v23
	v_or3_b32 v20, v22, v21, v20
.LBB35_1540:
	s_or_b64 exec, exec, s[6:7]
	s_movk_i32 s4, 0x7f
	v_cmp_gt_i16_sdwa s[6:7], v10, s4 src0_sel:BYTE_0 src1_sel:DWORD
	s_mov_b64 s[4:5], 0
                                        ; implicit-def: $sgpr10
	s_and_saveexec_b64 s[8:9], s[6:7]
	s_xor_b64 s[6:7], exec, s[8:9]
	s_cbranch_execnz .LBB35_3589
; %bb.1541:
	s_or_saveexec_b64 s[6:7], s[6:7]
	v_mov_b32_e32 v21, s10
	s_xor_b64 exec, exec, s[6:7]
	s_cbranch_execnz .LBB35_3592
.LBB35_1542:
	s_or_b64 exec, exec, s[6:7]
	s_and_saveexec_b64 s[6:7], s[4:5]
	s_cbranch_execz .LBB35_1544
.LBB35_1543:
	v_and_b32_e32 v21, 7, v10
	v_ffbh_u32_e32 v23, v21
	v_min_u32_e32 v23, 32, v23
	v_lshrrev_b16_e32 v22, 3, v10
	v_subrev_u32_e32 v24, 28, v23
	v_and_b32_e32 v22, 15, v22
	v_lshlrev_b32_e32 v24, v24, v10
	v_sub_u32_e32 v23, 29, v23
	v_and_b32_e32 v24, 7, v24
	v_cmp_eq_u16_e32 vcc, 0, v22
	v_cndmask_b32_e32 v21, v21, v24, vcc
	v_cndmask_b32_e32 v22, v22, v23, vcc
	v_lshlrev_b32_e32 v23, 24, v10
	v_mov_b32_e32 v24, 0x3b800000
	v_lshlrev_b32_e32 v21, 20, v21
	v_and_b32_e32 v23, 0x80000000, v23
	v_lshl_add_u32 v22, v22, 23, v24
	v_or3_b32 v21, v23, v22, v21
.LBB35_1544:
	s_or_b64 exec, exec, s[6:7]
	flat_load_dwordx4 a[0:3], v[18:19] offset:992
	s_movk_i32 s4, 0x7f
                                        ; implicit-def: $sgpr10
	s_waitcnt vmcnt(0) lgkmcnt(0)
	v_mfma_f32_16x16x4f32 a[0:3], v20, v21, a[0:3]
	v_lshrrev_b32_e32 v21, 8, v14
	v_cmp_gt_i16_sdwa s[6:7], v21, s4 src0_sel:BYTE_0 src1_sel:DWORD
	s_mov_b64 s[4:5], 0
	s_and_saveexec_b64 s[8:9], s[6:7]
	s_xor_b64 s[6:7], exec, s[8:9]
	s_cbranch_execnz .LBB35_3593
; %bb.1545:
	s_or_saveexec_b64 s[6:7], s[6:7]
	v_mov_b32_e32 v20, s10
	s_xor_b64 exec, exec, s[6:7]
	s_cbranch_execnz .LBB35_3596
.LBB35_1546:
	s_or_b64 exec, exec, s[6:7]
	s_and_saveexec_b64 s[6:7], s[4:5]
	s_cbranch_execz .LBB35_1548
.LBB35_1547:
	v_bfe_u32 v20, v14, 8, 3
	v_ffbh_u32_e32 v23, v20
	v_min_u32_e32 v23, 32, v23
	v_lshrrev_b16_e32 v22, 3, v21
	v_subrev_u32_e32 v24, 28, v23
	v_and_b32_e32 v22, 15, v22
	v_lshlrev_b32_e32 v21, v24, v21
	v_sub_u32_e32 v23, 29, v23
	v_and_b32_e32 v21, 7, v21
	v_cmp_eq_u16_e32 vcc, 0, v22
	v_cndmask_b32_e32 v20, v20, v21, vcc
	v_cndmask_b32_e32 v21, v22, v23, vcc
	v_lshlrev_b32_e32 v22, 16, v14
	v_mov_b32_e32 v23, 0x3b800000
	v_lshlrev_b32_e32 v20, 20, v20
	v_and_b32_e32 v22, 0x80000000, v22
	v_lshl_add_u32 v21, v21, 23, v23
	v_or3_b32 v20, v22, v21, v20
.LBB35_1548:
	s_or_b64 exec, exec, s[6:7]
	v_lshrrev_b32_e32 v21, 8, v10
	s_movk_i32 s4, 0x7f
	v_cmp_gt_i16_sdwa s[6:7], v21, s4 src0_sel:BYTE_0 src1_sel:DWORD
	s_mov_b64 s[4:5], 0
                                        ; implicit-def: $sgpr10
	s_and_saveexec_b64 s[8:9], s[6:7]
	s_xor_b64 s[6:7], exec, s[8:9]
	s_cbranch_execnz .LBB35_3597
; %bb.1549:
	s_or_saveexec_b64 s[6:7], s[6:7]
	v_mov_b32_e32 v22, s10
	s_xor_b64 exec, exec, s[6:7]
	s_cbranch_execnz .LBB35_3600
.LBB35_1550:
	s_or_b64 exec, exec, s[6:7]
	s_and_saveexec_b64 s[6:7], s[4:5]
	s_cbranch_execz .LBB35_1552
.LBB35_1551:
	v_bfe_u32 v22, v10, 8, 3
	v_ffbh_u32_e32 v24, v22
	v_min_u32_e32 v24, 32, v24
	v_lshrrev_b16_e32 v23, 3, v21
	v_subrev_u32_e32 v25, 28, v24
	v_and_b32_e32 v23, 15, v23
	v_lshlrev_b32_e32 v21, v25, v21
	v_sub_u32_e32 v24, 29, v24
	v_and_b32_e32 v21, 7, v21
	v_cmp_eq_u16_e32 vcc, 0, v23
	v_cndmask_b32_e32 v21, v22, v21, vcc
	v_cndmask_b32_e32 v22, v23, v24, vcc
	v_lshlrev_b32_e32 v23, 16, v10
	v_mov_b32_e32 v24, 0x3b800000
	v_lshlrev_b32_e32 v21, 20, v21
	v_and_b32_e32 v23, 0x80000000, v23
	v_lshl_add_u32 v22, v22, 23, v24
	v_or3_b32 v22, v23, v22, v21
.LBB35_1552:
	s_or_b64 exec, exec, s[6:7]
	s_nop 0
	v_mfma_f32_16x16x4f32 a[0:3], v20, v22, a[0:3]
	s_movk_i32 s4, 0xff
	v_and_b32_sdwa v21, v14, s4 dst_sel:DWORD dst_unused:UNUSED_PAD src0_sel:WORD_1 src1_sel:DWORD
	s_movk_i32 s4, 0x7f
	v_cmp_lt_i16_e32 vcc, s4, v21
	s_mov_b64 s[4:5], 0
                                        ; implicit-def: $sgpr10
	s_and_saveexec_b64 s[6:7], vcc
	s_xor_b64 s[6:7], exec, s[6:7]
	s_cbranch_execnz .LBB35_3601
; %bb.1553:
	s_or_saveexec_b64 s[6:7], s[6:7]
	v_mov_b32_e32 v20, s10
	s_xor_b64 exec, exec, s[6:7]
	s_cbranch_execnz .LBB35_3604
.LBB35_1554:
	s_or_b64 exec, exec, s[6:7]
	s_and_saveexec_b64 s[6:7], s[4:5]
	s_cbranch_execz .LBB35_1556
.LBB35_1555:
	v_bfe_u32 v20, v14, 16, 3
	v_ffbh_u32_e32 v23, v20
	v_min_u32_e32 v23, 32, v23
	v_lshrrev_b32_e32 v21, 19, v14
	v_subrev_u32_e32 v24, 28, v23
	v_and_b32_e32 v21, 15, v21
	v_lshlrev_b32_sdwa v24, v24, v14 dst_sel:DWORD dst_unused:UNUSED_PAD src0_sel:DWORD src1_sel:WORD_1
	v_bfe_u32 v22, v14, 19, 4
	v_sub_u32_e32 v23, 29, v23
	v_and_b32_e32 v24, 7, v24
	v_cmp_eq_u16_e32 vcc, 0, v21
	v_cndmask_b32_e32 v20, v20, v24, vcc
	v_cndmask_b32_e32 v21, v22, v23, vcc
	v_lshlrev_b32_e32 v22, 8, v14
	v_mov_b32_e32 v23, 0x3b800000
	v_lshlrev_b32_e32 v20, 20, v20
	v_and_b32_e32 v22, 0x80000000, v22
	v_lshl_add_u32 v21, v21, 23, v23
	v_or3_b32 v20, v22, v21, v20
.LBB35_1556:
	s_or_b64 exec, exec, s[6:7]
	s_movk_i32 s4, 0xff
	v_and_b32_sdwa v21, v10, s4 dst_sel:DWORD dst_unused:UNUSED_PAD src0_sel:WORD_1 src1_sel:DWORD
	s_movk_i32 s4, 0x7f
	v_cmp_lt_i16_e32 vcc, s4, v21
	s_mov_b64 s[4:5], 0
                                        ; implicit-def: $sgpr10
	s_and_saveexec_b64 s[6:7], vcc
	s_xor_b64 s[6:7], exec, s[6:7]
	s_cbranch_execnz .LBB35_3605
; %bb.1557:
	s_or_saveexec_b64 s[6:7], s[6:7]
	v_mov_b32_e32 v22, s10
	s_xor_b64 exec, exec, s[6:7]
	s_cbranch_execnz .LBB35_3608
.LBB35_1558:
	s_or_b64 exec, exec, s[6:7]
	s_and_saveexec_b64 s[6:7], s[4:5]
	s_cbranch_execz .LBB35_1560
.LBB35_1559:
	v_bfe_u32 v21, v10, 16, 3
	v_ffbh_u32_e32 v24, v21
	v_min_u32_e32 v24, 32, v24
	v_lshrrev_b32_e32 v22, 19, v10
	v_subrev_u32_e32 v25, 28, v24
	v_and_b32_e32 v22, 15, v22
	v_lshlrev_b32_sdwa v25, v25, v10 dst_sel:DWORD dst_unused:UNUSED_PAD src0_sel:DWORD src1_sel:WORD_1
	v_bfe_u32 v23, v10, 19, 4
	v_sub_u32_e32 v24, 29, v24
	v_and_b32_e32 v25, 7, v25
	v_cmp_eq_u16_e32 vcc, 0, v22
	v_cndmask_b32_e32 v21, v21, v25, vcc
	v_cndmask_b32_e32 v22, v23, v24, vcc
	v_lshlrev_b32_e32 v23, 8, v10
	v_mov_b32_e32 v24, 0x3b800000
	v_lshlrev_b32_e32 v21, 20, v21
	v_and_b32_e32 v23, 0x80000000, v23
	v_lshl_add_u32 v22, v22, 23, v24
	v_or3_b32 v22, v23, v22, v21
.LBB35_1560:
	s_or_b64 exec, exec, s[6:7]
	s_nop 0
	v_mfma_f32_16x16x4f32 a[0:3], v20, v22, a[0:3]
	s_movk_i32 s4, 0x7f
	v_cmp_gt_i16_sdwa s[6:7], v14, s4 src0_sel:BYTE_3 src1_sel:DWORD
	s_mov_b64 s[4:5], 0
                                        ; implicit-def: $sgpr10
	s_and_saveexec_b64 s[8:9], s[6:7]
	s_xor_b64 s[6:7], exec, s[8:9]
	s_cbranch_execnz .LBB35_3609
; %bb.1561:
	s_or_saveexec_b64 s[6:7], s[6:7]
	v_mov_b32_e32 v20, s10
	s_xor_b64 exec, exec, s[6:7]
	s_cbranch_execnz .LBB35_3612
.LBB35_1562:
	s_or_b64 exec, exec, s[6:7]
	s_and_saveexec_b64 s[6:7], s[4:5]
	s_cbranch_execz .LBB35_1564
.LBB35_1563:
	v_bfe_u32 v20, v14, 24, 3
	v_ffbh_u32_e32 v24, v20
	v_min_u32_e32 v24, 32, v24
	v_lshrrev_b32_e32 v22, 27, v14
	v_subrev_u32_e32 v25, 28, v24
	v_and_b32_e32 v21, 0x80000000, v14
	v_and_b32_e32 v22, 15, v22
	v_bfe_u32 v23, v14, 27, 4
	v_lshlrev_b32_sdwa v14, v25, v14 dst_sel:DWORD dst_unused:UNUSED_PAD src0_sel:DWORD src1_sel:BYTE_3
	v_sub_u32_e32 v24, 29, v24
	v_and_b32_e32 v14, 7, v14
	v_cmp_eq_u16_e32 vcc, 0, v22
	v_cndmask_b32_e32 v14, v20, v14, vcc
	v_cndmask_b32_e32 v20, v23, v24, vcc
	v_mov_b32_e32 v22, 0x3b800000
	v_lshlrev_b32_e32 v14, 20, v14
	v_lshl_add_u32 v20, v20, 23, v22
	v_or3_b32 v20, v21, v20, v14
.LBB35_1564:
	s_or_b64 exec, exec, s[6:7]
	s_movk_i32 s4, 0x7f
	v_cmp_gt_i16_sdwa s[6:7], v10, s4 src0_sel:BYTE_3 src1_sel:DWORD
	s_mov_b64 s[4:5], 0
                                        ; implicit-def: $sgpr10
	s_and_saveexec_b64 s[8:9], s[6:7]
	s_xor_b64 s[6:7], exec, s[8:9]
	s_cbranch_execnz .LBB35_3613
; %bb.1565:
	s_or_saveexec_b64 s[6:7], s[6:7]
	v_mov_b32_e32 v14, s10
	s_xor_b64 exec, exec, s[6:7]
	s_cbranch_execnz .LBB35_3616
.LBB35_1566:
	s_or_b64 exec, exec, s[6:7]
	s_and_saveexec_b64 s[6:7], s[4:5]
	s_cbranch_execz .LBB35_1568
.LBB35_1567:
	v_bfe_u32 v14, v10, 24, 3
	v_ffbh_u32_e32 v24, v14
	v_min_u32_e32 v24, 32, v24
	v_lshrrev_b32_e32 v22, 27, v10
	v_subrev_u32_e32 v25, 28, v24
	v_and_b32_e32 v21, 0x80000000, v10
	v_and_b32_e32 v22, 15, v22
	v_bfe_u32 v23, v10, 27, 4
	v_lshlrev_b32_sdwa v10, v25, v10 dst_sel:DWORD dst_unused:UNUSED_PAD src0_sel:DWORD src1_sel:BYTE_3
	v_sub_u32_e32 v24, 29, v24
	v_and_b32_e32 v10, 7, v10
	v_cmp_eq_u16_e32 vcc, 0, v22
	v_cndmask_b32_e32 v10, v14, v10, vcc
	v_cndmask_b32_e32 v14, v23, v24, vcc
	v_mov_b32_e32 v22, 0x3b800000
	v_lshlrev_b32_e32 v10, 20, v10
	v_lshl_add_u32 v14, v14, 23, v22
	v_or3_b32 v14, v21, v14, v10
.LBB35_1568:
	s_or_b64 exec, exec, s[6:7]
	s_nop 0
	v_mfma_f32_16x16x4f32 a[0:3], v20, v14, a[0:3]
	s_movk_i32 s4, 0x7f
	v_cmp_gt_i16_sdwa s[6:7], v15, s4 src0_sel:BYTE_0 src1_sel:DWORD
	s_mov_b64 s[4:5], 0
                                        ; implicit-def: $sgpr10
	s_and_saveexec_b64 s[8:9], s[6:7]
	s_xor_b64 s[6:7], exec, s[8:9]
	s_cbranch_execnz .LBB35_3617
; %bb.1569:
	s_or_saveexec_b64 s[6:7], s[6:7]
	v_mov_b32_e32 v10, s10
	s_xor_b64 exec, exec, s[6:7]
	s_cbranch_execnz .LBB35_3620
.LBB35_1570:
	s_or_b64 exec, exec, s[6:7]
	s_and_saveexec_b64 s[6:7], s[4:5]
	s_cbranch_execz .LBB35_1572
.LBB35_1571:
	v_and_b32_e32 v10, 7, v15
	v_ffbh_u32_e32 v20, v10
	v_min_u32_e32 v20, 32, v20
	v_lshrrev_b16_e32 v14, 3, v15
	v_subrev_u32_e32 v21, 28, v20
	v_and_b32_e32 v14, 15, v14
	v_lshlrev_b32_e32 v21, v21, v15
	v_sub_u32_e32 v20, 29, v20
	v_and_b32_e32 v21, 7, v21
	v_cmp_eq_u16_e32 vcc, 0, v14
	v_cndmask_b32_e32 v10, v10, v21, vcc
	v_cndmask_b32_e32 v14, v14, v20, vcc
	v_lshlrev_b32_e32 v20, 24, v15
	v_mov_b32_e32 v21, 0x3b800000
	v_lshlrev_b32_e32 v10, 20, v10
	v_and_b32_e32 v20, 0x80000000, v20
	v_lshl_add_u32 v14, v14, 23, v21
	v_or3_b32 v10, v20, v14, v10
.LBB35_1572:
	s_or_b64 exec, exec, s[6:7]
	s_movk_i32 s4, 0x7f
	v_cmp_gt_i16_sdwa s[6:7], v11, s4 src0_sel:BYTE_0 src1_sel:DWORD
	s_mov_b64 s[4:5], 0
                                        ; implicit-def: $sgpr10
	s_and_saveexec_b64 s[8:9], s[6:7]
	s_xor_b64 s[6:7], exec, s[8:9]
	s_cbranch_execnz .LBB35_3621
; %bb.1573:
	s_or_saveexec_b64 s[6:7], s[6:7]
	v_mov_b32_e32 v14, s10
	s_xor_b64 exec, exec, s[6:7]
	s_cbranch_execnz .LBB35_3624
.LBB35_1574:
	s_or_b64 exec, exec, s[6:7]
	s_and_saveexec_b64 s[6:7], s[4:5]
	s_cbranch_execz .LBB35_1576
.LBB35_1575:
	v_and_b32_e32 v14, 7, v11
	v_ffbh_u32_e32 v21, v14
	v_min_u32_e32 v21, 32, v21
	v_lshrrev_b16_e32 v20, 3, v11
	v_subrev_u32_e32 v22, 28, v21
	v_and_b32_e32 v20, 15, v20
	v_lshlrev_b32_e32 v22, v22, v11
	v_sub_u32_e32 v21, 29, v21
	v_and_b32_e32 v22, 7, v22
	v_cmp_eq_u16_e32 vcc, 0, v20
	v_cndmask_b32_e32 v14, v14, v22, vcc
	v_cndmask_b32_e32 v20, v20, v21, vcc
	v_lshlrev_b32_e32 v21, 24, v11
	v_mov_b32_e32 v22, 0x3b800000
	v_lshlrev_b32_e32 v14, 20, v14
	v_and_b32_e32 v21, 0x80000000, v21
	v_lshl_add_u32 v20, v20, 23, v22
	v_or3_b32 v14, v21, v20, v14
.LBB35_1576:
	s_or_b64 exec, exec, s[6:7]
	s_nop 0
	v_mfma_f32_16x16x4f32 a[0:3], v10, v14, a[0:3]
	v_lshrrev_b32_e32 v14, 8, v15
	s_movk_i32 s4, 0x7f
	v_cmp_gt_i16_sdwa s[6:7], v14, s4 src0_sel:BYTE_0 src1_sel:DWORD
	s_mov_b64 s[4:5], 0
                                        ; implicit-def: $sgpr10
	s_and_saveexec_b64 s[8:9], s[6:7]
	s_xor_b64 s[6:7], exec, s[8:9]
	s_cbranch_execnz .LBB35_3625
; %bb.1577:
	s_or_saveexec_b64 s[6:7], s[6:7]
	v_mov_b32_e32 v10, s10
	s_xor_b64 exec, exec, s[6:7]
	s_cbranch_execnz .LBB35_3628
.LBB35_1578:
	s_or_b64 exec, exec, s[6:7]
	s_and_saveexec_b64 s[6:7], s[4:5]
	s_cbranch_execz .LBB35_1580
.LBB35_1579:
	v_bfe_u32 v10, v15, 8, 3
	v_ffbh_u32_e32 v21, v10
	v_min_u32_e32 v21, 32, v21
	v_lshrrev_b16_e32 v20, 3, v14
	v_subrev_u32_e32 v22, 28, v21
	v_and_b32_e32 v20, 15, v20
	v_lshlrev_b32_e32 v14, v22, v14
	v_sub_u32_e32 v21, 29, v21
	v_and_b32_e32 v14, 7, v14
	v_cmp_eq_u16_e32 vcc, 0, v20
	v_cndmask_b32_e32 v10, v10, v14, vcc
	v_cndmask_b32_e32 v14, v20, v21, vcc
	v_lshlrev_b32_e32 v20, 16, v15
	v_mov_b32_e32 v21, 0x3b800000
	v_lshlrev_b32_e32 v10, 20, v10
	v_and_b32_e32 v20, 0x80000000, v20
	v_lshl_add_u32 v14, v14, 23, v21
	v_or3_b32 v10, v20, v14, v10
.LBB35_1580:
	s_or_b64 exec, exec, s[6:7]
	v_lshrrev_b32_e32 v14, 8, v11
	s_movk_i32 s4, 0x7f
	v_cmp_gt_i16_sdwa s[6:7], v14, s4 src0_sel:BYTE_0 src1_sel:DWORD
	s_mov_b64 s[4:5], 0
                                        ; implicit-def: $sgpr10
	s_and_saveexec_b64 s[8:9], s[6:7]
	s_xor_b64 s[6:7], exec, s[8:9]
	s_cbranch_execnz .LBB35_3629
; %bb.1581:
	s_or_saveexec_b64 s[6:7], s[6:7]
	v_mov_b32_e32 v20, s10
	s_xor_b64 exec, exec, s[6:7]
	s_cbranch_execnz .LBB35_3632
.LBB35_1582:
	s_or_b64 exec, exec, s[6:7]
	s_and_saveexec_b64 s[6:7], s[4:5]
	s_cbranch_execz .LBB35_1584
.LBB35_1583:
	v_bfe_u32 v20, v11, 8, 3
	v_ffbh_u32_e32 v22, v20
	v_min_u32_e32 v22, 32, v22
	v_lshrrev_b16_e32 v21, 3, v14
	v_subrev_u32_e32 v23, 28, v22
	v_and_b32_e32 v21, 15, v21
	v_lshlrev_b32_e32 v14, v23, v14
	v_sub_u32_e32 v22, 29, v22
	v_and_b32_e32 v14, 7, v14
	v_cmp_eq_u16_e32 vcc, 0, v21
	v_cndmask_b32_e32 v14, v20, v14, vcc
	v_cndmask_b32_e32 v20, v21, v22, vcc
	v_lshlrev_b32_e32 v21, 16, v11
	v_mov_b32_e32 v22, 0x3b800000
	v_lshlrev_b32_e32 v14, 20, v14
	v_and_b32_e32 v21, 0x80000000, v21
	v_lshl_add_u32 v20, v20, 23, v22
	v_or3_b32 v20, v21, v20, v14
.LBB35_1584:
	s_or_b64 exec, exec, s[6:7]
	s_nop 0
	v_mfma_f32_16x16x4f32 a[0:3], v10, v20, a[0:3]
	s_movk_i32 s4, 0xff
	v_and_b32_sdwa v14, v15, s4 dst_sel:DWORD dst_unused:UNUSED_PAD src0_sel:WORD_1 src1_sel:DWORD
	s_movk_i32 s4, 0x7f
	v_cmp_lt_i16_e32 vcc, s4, v14
	s_mov_b64 s[4:5], 0
                                        ; implicit-def: $sgpr10
	s_and_saveexec_b64 s[6:7], vcc
	s_xor_b64 s[6:7], exec, s[6:7]
	s_cbranch_execnz .LBB35_3633
; %bb.1585:
	s_or_saveexec_b64 s[6:7], s[6:7]
	v_mov_b32_e32 v10, s10
	s_xor_b64 exec, exec, s[6:7]
	s_cbranch_execnz .LBB35_3636
.LBB35_1586:
	s_or_b64 exec, exec, s[6:7]
	s_and_saveexec_b64 s[6:7], s[4:5]
	s_cbranch_execz .LBB35_1588
.LBB35_1587:
	v_bfe_u32 v10, v15, 16, 3
	v_ffbh_u32_e32 v21, v10
	v_min_u32_e32 v21, 32, v21
	v_lshrrev_b32_e32 v14, 19, v15
	v_subrev_u32_e32 v22, 28, v21
	v_and_b32_e32 v14, 15, v14
	v_lshlrev_b32_sdwa v22, v22, v15 dst_sel:DWORD dst_unused:UNUSED_PAD src0_sel:DWORD src1_sel:WORD_1
	v_bfe_u32 v20, v15, 19, 4
	v_sub_u32_e32 v21, 29, v21
	v_and_b32_e32 v22, 7, v22
	v_cmp_eq_u16_e32 vcc, 0, v14
	v_cndmask_b32_e32 v10, v10, v22, vcc
	v_cndmask_b32_e32 v14, v20, v21, vcc
	v_lshlrev_b32_e32 v20, 8, v15
	v_mov_b32_e32 v21, 0x3b800000
	v_lshlrev_b32_e32 v10, 20, v10
	v_and_b32_e32 v20, 0x80000000, v20
	v_lshl_add_u32 v14, v14, 23, v21
	v_or3_b32 v10, v20, v14, v10
.LBB35_1588:
	s_or_b64 exec, exec, s[6:7]
	s_movk_i32 s4, 0xff
	v_and_b32_sdwa v14, v11, s4 dst_sel:DWORD dst_unused:UNUSED_PAD src0_sel:WORD_1 src1_sel:DWORD
	s_movk_i32 s4, 0x7f
	v_cmp_lt_i16_e32 vcc, s4, v14
	s_mov_b64 s[4:5], 0
                                        ; implicit-def: $sgpr10
	s_and_saveexec_b64 s[6:7], vcc
	s_xor_b64 s[6:7], exec, s[6:7]
	s_cbranch_execnz .LBB35_3637
; %bb.1589:
	s_or_saveexec_b64 s[6:7], s[6:7]
	v_mov_b32_e32 v20, s10
	s_xor_b64 exec, exec, s[6:7]
	s_cbranch_execnz .LBB35_3640
.LBB35_1590:
	s_or_b64 exec, exec, s[6:7]
	s_and_saveexec_b64 s[6:7], s[4:5]
	s_cbranch_execz .LBB35_1592
.LBB35_1591:
	v_bfe_u32 v14, v11, 16, 3
	v_ffbh_u32_e32 v22, v14
	v_min_u32_e32 v22, 32, v22
	v_lshrrev_b32_e32 v20, 19, v11
	v_subrev_u32_e32 v23, 28, v22
	v_and_b32_e32 v20, 15, v20
	v_lshlrev_b32_sdwa v23, v23, v11 dst_sel:DWORD dst_unused:UNUSED_PAD src0_sel:DWORD src1_sel:WORD_1
	v_bfe_u32 v21, v11, 19, 4
	v_sub_u32_e32 v22, 29, v22
	v_and_b32_e32 v23, 7, v23
	v_cmp_eq_u16_e32 vcc, 0, v20
	v_cndmask_b32_e32 v14, v14, v23, vcc
	v_cndmask_b32_e32 v20, v21, v22, vcc
	v_lshlrev_b32_e32 v21, 8, v11
	v_mov_b32_e32 v22, 0x3b800000
	v_lshlrev_b32_e32 v14, 20, v14
	v_and_b32_e32 v21, 0x80000000, v21
	v_lshl_add_u32 v20, v20, 23, v22
	v_or3_b32 v20, v21, v20, v14
.LBB35_1592:
	s_or_b64 exec, exec, s[6:7]
	s_nop 0
	v_mfma_f32_16x16x4f32 a[0:3], v10, v20, a[0:3]
	s_movk_i32 s4, 0x7f
	v_cmp_gt_i16_sdwa s[6:7], v15, s4 src0_sel:BYTE_3 src1_sel:DWORD
	s_mov_b64 s[4:5], 0
                                        ; implicit-def: $sgpr10
	s_and_saveexec_b64 s[8:9], s[6:7]
	s_xor_b64 s[6:7], exec, s[8:9]
	s_cbranch_execnz .LBB35_3641
; %bb.1593:
	s_or_saveexec_b64 s[6:7], s[6:7]
	v_mov_b32_e32 v10, s10
	s_xor_b64 exec, exec, s[6:7]
	s_cbranch_execnz .LBB35_3644
.LBB35_1594:
	s_or_b64 exec, exec, s[6:7]
	s_and_saveexec_b64 s[6:7], s[4:5]
	s_cbranch_execz .LBB35_1596
.LBB35_1595:
	v_bfe_u32 v10, v15, 24, 3
	v_ffbh_u32_e32 v22, v10
	v_min_u32_e32 v22, 32, v22
	v_lshrrev_b32_e32 v20, 27, v15
	v_subrev_u32_e32 v23, 28, v22
	v_and_b32_e32 v14, 0x80000000, v15
	v_and_b32_e32 v20, 15, v20
	v_bfe_u32 v21, v15, 27, 4
	v_lshlrev_b32_sdwa v15, v23, v15 dst_sel:DWORD dst_unused:UNUSED_PAD src0_sel:DWORD src1_sel:BYTE_3
	v_sub_u32_e32 v22, 29, v22
	v_and_b32_e32 v15, 7, v15
	v_cmp_eq_u16_e32 vcc, 0, v20
	v_cndmask_b32_e32 v10, v10, v15, vcc
	v_cndmask_b32_e32 v15, v21, v22, vcc
	v_mov_b32_e32 v20, 0x3b800000
	v_lshlrev_b32_e32 v10, 20, v10
	v_lshl_add_u32 v15, v15, 23, v20
	v_or3_b32 v10, v14, v15, v10
.LBB35_1596:
	s_or_b64 exec, exec, s[6:7]
	s_movk_i32 s4, 0x7f
	v_cmp_gt_i16_sdwa s[6:7], v11, s4 src0_sel:BYTE_3 src1_sel:DWORD
	s_mov_b64 s[4:5], 0
                                        ; implicit-def: $sgpr10
	s_and_saveexec_b64 s[8:9], s[6:7]
	s_xor_b64 s[6:7], exec, s[8:9]
	s_cbranch_execnz .LBB35_3645
; %bb.1597:
	s_or_saveexec_b64 s[6:7], s[6:7]
	v_mov_b32_e32 v14, s10
	s_xor_b64 exec, exec, s[6:7]
	s_cbranch_execnz .LBB35_3648
.LBB35_1598:
	s_or_b64 exec, exec, s[6:7]
	s_and_saveexec_b64 s[6:7], s[4:5]
	s_cbranch_execz .LBB35_1600
.LBB35_1599:
	v_bfe_u32 v14, v11, 24, 3
	v_ffbh_u32_e32 v22, v14
	v_min_u32_e32 v22, 32, v22
	v_lshrrev_b32_e32 v20, 27, v11
	v_subrev_u32_e32 v23, 28, v22
	v_and_b32_e32 v15, 0x80000000, v11
	v_and_b32_e32 v20, 15, v20
	v_bfe_u32 v21, v11, 27, 4
	v_lshlrev_b32_sdwa v11, v23, v11 dst_sel:DWORD dst_unused:UNUSED_PAD src0_sel:DWORD src1_sel:BYTE_3
	v_sub_u32_e32 v22, 29, v22
	v_and_b32_e32 v11, 7, v11
	v_cmp_eq_u16_e32 vcc, 0, v20
	v_cndmask_b32_e32 v11, v14, v11, vcc
	v_cndmask_b32_e32 v14, v21, v22, vcc
	v_mov_b32_e32 v20, 0x3b800000
	v_lshlrev_b32_e32 v11, 20, v11
	v_lshl_add_u32 v14, v14, 23, v20
	v_or3_b32 v14, v15, v14, v11
.LBB35_1600:
	s_or_b64 exec, exec, s[6:7]
	s_nop 0
	v_mfma_f32_16x16x4f32 a[0:3], v10, v14, a[0:3]
	s_movk_i32 s4, 0x7f
	v_cmp_gt_i16_sdwa s[6:7], v16, s4 src0_sel:BYTE_0 src1_sel:DWORD
	s_mov_b64 s[4:5], 0
                                        ; implicit-def: $sgpr10
	s_and_saveexec_b64 s[8:9], s[6:7]
	s_xor_b64 s[6:7], exec, s[8:9]
	s_cbranch_execnz .LBB35_3649
; %bb.1601:
	s_or_saveexec_b64 s[6:7], s[6:7]
	v_mov_b32_e32 v10, s10
	s_xor_b64 exec, exec, s[6:7]
	s_cbranch_execnz .LBB35_3652
.LBB35_1602:
	s_or_b64 exec, exec, s[6:7]
	s_and_saveexec_b64 s[6:7], s[4:5]
	s_cbranch_execz .LBB35_1604
.LBB35_1603:
	v_and_b32_e32 v10, 7, v16
	v_ffbh_u32_e32 v14, v10
	v_min_u32_e32 v14, 32, v14
	v_lshrrev_b16_e32 v11, 3, v16
	v_subrev_u32_e32 v15, 28, v14
	v_and_b32_e32 v11, 15, v11
	v_lshlrev_b32_e32 v15, v15, v16
	v_sub_u32_e32 v14, 29, v14
	v_and_b32_e32 v15, 7, v15
	v_cmp_eq_u16_e32 vcc, 0, v11
	v_cndmask_b32_e32 v10, v10, v15, vcc
	v_cndmask_b32_e32 v11, v11, v14, vcc
	v_lshlrev_b32_e32 v14, 24, v16
	v_mov_b32_e32 v15, 0x3b800000
	v_lshlrev_b32_e32 v10, 20, v10
	v_and_b32_e32 v14, 0x80000000, v14
	v_lshl_add_u32 v11, v11, 23, v15
	v_or3_b32 v10, v14, v11, v10
.LBB35_1604:
	s_or_b64 exec, exec, s[6:7]
	s_movk_i32 s4, 0x7f
	v_cmp_gt_i16_sdwa s[6:7], v12, s4 src0_sel:BYTE_0 src1_sel:DWORD
	s_mov_b64 s[4:5], 0
                                        ; implicit-def: $sgpr10
	s_and_saveexec_b64 s[8:9], s[6:7]
	s_xor_b64 s[6:7], exec, s[8:9]
	s_cbranch_execnz .LBB35_3653
; %bb.1605:
	s_or_saveexec_b64 s[6:7], s[6:7]
	v_mov_b32_e32 v11, s10
	s_xor_b64 exec, exec, s[6:7]
	s_cbranch_execnz .LBB35_3656
.LBB35_1606:
	s_or_b64 exec, exec, s[6:7]
	s_and_saveexec_b64 s[6:7], s[4:5]
	s_cbranch_execz .LBB35_1608
.LBB35_1607:
	v_and_b32_e32 v11, 7, v12
	v_ffbh_u32_e32 v15, v11
	v_min_u32_e32 v15, 32, v15
	v_lshrrev_b16_e32 v14, 3, v12
	v_subrev_u32_e32 v20, 28, v15
	v_and_b32_e32 v14, 15, v14
	v_lshlrev_b32_e32 v20, v20, v12
	v_sub_u32_e32 v15, 29, v15
	v_and_b32_e32 v20, 7, v20
	v_cmp_eq_u16_e32 vcc, 0, v14
	v_cndmask_b32_e32 v11, v11, v20, vcc
	v_cndmask_b32_e32 v14, v14, v15, vcc
	v_lshlrev_b32_e32 v15, 24, v12
	v_mov_b32_e32 v20, 0x3b800000
	v_lshlrev_b32_e32 v11, 20, v11
	v_and_b32_e32 v15, 0x80000000, v15
	v_lshl_add_u32 v14, v14, 23, v20
	v_or3_b32 v11, v15, v14, v11
.LBB35_1608:
	s_or_b64 exec, exec, s[6:7]
	s_nop 0
	v_mfma_f32_16x16x4f32 a[0:3], v10, v11, a[0:3]
	v_lshrrev_b32_e32 v11, 8, v16
	s_movk_i32 s4, 0x7f
	v_cmp_gt_i16_sdwa s[6:7], v11, s4 src0_sel:BYTE_0 src1_sel:DWORD
	s_mov_b64 s[4:5], 0
                                        ; implicit-def: $sgpr10
	s_and_saveexec_b64 s[8:9], s[6:7]
	s_xor_b64 s[6:7], exec, s[8:9]
	s_cbranch_execnz .LBB35_3657
; %bb.1609:
	s_or_saveexec_b64 s[6:7], s[6:7]
	v_mov_b32_e32 v10, s10
	s_xor_b64 exec, exec, s[6:7]
	s_cbranch_execnz .LBB35_3660
.LBB35_1610:
	s_or_b64 exec, exec, s[6:7]
	s_and_saveexec_b64 s[6:7], s[4:5]
	s_cbranch_execz .LBB35_1612
.LBB35_1611:
	v_bfe_u32 v10, v16, 8, 3
	v_ffbh_u32_e32 v15, v10
	v_min_u32_e32 v15, 32, v15
	v_lshrrev_b16_e32 v14, 3, v11
	v_subrev_u32_e32 v20, 28, v15
	v_and_b32_e32 v14, 15, v14
	v_lshlrev_b32_e32 v11, v20, v11
	v_sub_u32_e32 v15, 29, v15
	v_and_b32_e32 v11, 7, v11
	v_cmp_eq_u16_e32 vcc, 0, v14
	v_cndmask_b32_e32 v10, v10, v11, vcc
	v_cndmask_b32_e32 v11, v14, v15, vcc
	v_lshlrev_b32_e32 v14, 16, v16
	v_mov_b32_e32 v15, 0x3b800000
	v_lshlrev_b32_e32 v10, 20, v10
	v_and_b32_e32 v14, 0x80000000, v14
	v_lshl_add_u32 v11, v11, 23, v15
	v_or3_b32 v10, v14, v11, v10
.LBB35_1612:
	s_or_b64 exec, exec, s[6:7]
	v_lshrrev_b32_e32 v11, 8, v12
	s_movk_i32 s4, 0x7f
	v_cmp_gt_i16_sdwa s[6:7], v11, s4 src0_sel:BYTE_0 src1_sel:DWORD
	s_mov_b64 s[4:5], 0
                                        ; implicit-def: $sgpr10
	s_and_saveexec_b64 s[8:9], s[6:7]
	s_xor_b64 s[6:7], exec, s[8:9]
	s_cbranch_execnz .LBB35_3661
; %bb.1613:
	s_or_saveexec_b64 s[6:7], s[6:7]
	v_mov_b32_e32 v14, s10
	s_xor_b64 exec, exec, s[6:7]
	s_cbranch_execnz .LBB35_3664
.LBB35_1614:
	s_or_b64 exec, exec, s[6:7]
	s_and_saveexec_b64 s[6:7], s[4:5]
	s_cbranch_execz .LBB35_1616
.LBB35_1615:
	v_bfe_u32 v14, v12, 8, 3
	v_ffbh_u32_e32 v20, v14
	v_min_u32_e32 v20, 32, v20
	v_lshrrev_b16_e32 v15, 3, v11
	v_subrev_u32_e32 v21, 28, v20
	v_and_b32_e32 v15, 15, v15
	v_lshlrev_b32_e32 v11, v21, v11
	v_sub_u32_e32 v20, 29, v20
	v_and_b32_e32 v11, 7, v11
	v_cmp_eq_u16_e32 vcc, 0, v15
	v_cndmask_b32_e32 v11, v14, v11, vcc
	v_cndmask_b32_e32 v14, v15, v20, vcc
	v_lshlrev_b32_e32 v15, 16, v12
	v_mov_b32_e32 v20, 0x3b800000
	v_lshlrev_b32_e32 v11, 20, v11
	v_and_b32_e32 v15, 0x80000000, v15
	v_lshl_add_u32 v14, v14, 23, v20
	v_or3_b32 v14, v15, v14, v11
.LBB35_1616:
	s_or_b64 exec, exec, s[6:7]
	s_nop 0
	v_mfma_f32_16x16x4f32 a[0:3], v10, v14, a[0:3]
	s_movk_i32 s4, 0xff
	v_and_b32_sdwa v11, v16, s4 dst_sel:DWORD dst_unused:UNUSED_PAD src0_sel:WORD_1 src1_sel:DWORD
	s_movk_i32 s4, 0x7f
	v_cmp_lt_i16_e32 vcc, s4, v11
	s_mov_b64 s[4:5], 0
                                        ; implicit-def: $sgpr10
	s_and_saveexec_b64 s[6:7], vcc
	s_xor_b64 s[6:7], exec, s[6:7]
	s_cbranch_execnz .LBB35_3665
; %bb.1617:
	s_or_saveexec_b64 s[6:7], s[6:7]
	v_mov_b32_e32 v10, s10
	s_xor_b64 exec, exec, s[6:7]
	s_cbranch_execnz .LBB35_3668
.LBB35_1618:
	s_or_b64 exec, exec, s[6:7]
	s_and_saveexec_b64 s[6:7], s[4:5]
	s_cbranch_execz .LBB35_1620
.LBB35_1619:
	v_bfe_u32 v10, v16, 16, 3
	v_ffbh_u32_e32 v15, v10
	v_min_u32_e32 v15, 32, v15
	v_lshrrev_b32_e32 v11, 19, v16
	v_subrev_u32_e32 v20, 28, v15
	v_and_b32_e32 v11, 15, v11
	v_lshlrev_b32_sdwa v20, v20, v16 dst_sel:DWORD dst_unused:UNUSED_PAD src0_sel:DWORD src1_sel:WORD_1
	v_bfe_u32 v14, v16, 19, 4
	v_sub_u32_e32 v15, 29, v15
	v_and_b32_e32 v20, 7, v20
	v_cmp_eq_u16_e32 vcc, 0, v11
	v_cndmask_b32_e32 v10, v10, v20, vcc
	v_cndmask_b32_e32 v11, v14, v15, vcc
	v_lshlrev_b32_e32 v14, 8, v16
	v_mov_b32_e32 v15, 0x3b800000
	v_lshlrev_b32_e32 v10, 20, v10
	v_and_b32_e32 v14, 0x80000000, v14
	v_lshl_add_u32 v11, v11, 23, v15
	v_or3_b32 v10, v14, v11, v10
.LBB35_1620:
	s_or_b64 exec, exec, s[6:7]
	s_movk_i32 s4, 0xff
	v_and_b32_sdwa v11, v12, s4 dst_sel:DWORD dst_unused:UNUSED_PAD src0_sel:WORD_1 src1_sel:DWORD
	s_movk_i32 s4, 0x7f
	v_cmp_lt_i16_e32 vcc, s4, v11
	s_mov_b64 s[4:5], 0
                                        ; implicit-def: $sgpr10
	s_and_saveexec_b64 s[6:7], vcc
	s_xor_b64 s[6:7], exec, s[6:7]
	s_cbranch_execnz .LBB35_3669
; %bb.1621:
	s_or_saveexec_b64 s[6:7], s[6:7]
	v_mov_b32_e32 v14, s10
	s_xor_b64 exec, exec, s[6:7]
	s_cbranch_execnz .LBB35_3672
.LBB35_1622:
	s_or_b64 exec, exec, s[6:7]
	s_and_saveexec_b64 s[6:7], s[4:5]
	s_cbranch_execz .LBB35_1624
.LBB35_1623:
	v_bfe_u32 v11, v12, 16, 3
	v_ffbh_u32_e32 v20, v11
	v_min_u32_e32 v20, 32, v20
	v_lshrrev_b32_e32 v14, 19, v12
	v_subrev_u32_e32 v21, 28, v20
	v_and_b32_e32 v14, 15, v14
	v_lshlrev_b32_sdwa v21, v21, v12 dst_sel:DWORD dst_unused:UNUSED_PAD src0_sel:DWORD src1_sel:WORD_1
	v_bfe_u32 v15, v12, 19, 4
	v_sub_u32_e32 v20, 29, v20
	v_and_b32_e32 v21, 7, v21
	v_cmp_eq_u16_e32 vcc, 0, v14
	v_cndmask_b32_e32 v11, v11, v21, vcc
	v_cndmask_b32_e32 v14, v15, v20, vcc
	v_lshlrev_b32_e32 v15, 8, v12
	v_mov_b32_e32 v20, 0x3b800000
	v_lshlrev_b32_e32 v11, 20, v11
	v_and_b32_e32 v15, 0x80000000, v15
	v_lshl_add_u32 v14, v14, 23, v20
	v_or3_b32 v14, v15, v14, v11
.LBB35_1624:
	s_or_b64 exec, exec, s[6:7]
	s_nop 0
	v_mfma_f32_16x16x4f32 a[0:3], v10, v14, a[0:3]
	s_movk_i32 s4, 0x7f
	v_cmp_gt_i16_sdwa s[6:7], v16, s4 src0_sel:BYTE_3 src1_sel:DWORD
	s_mov_b64 s[4:5], 0
                                        ; implicit-def: $sgpr10
	s_and_saveexec_b64 s[8:9], s[6:7]
	s_xor_b64 s[6:7], exec, s[8:9]
	s_cbranch_execnz .LBB35_3673
; %bb.1625:
	s_or_saveexec_b64 s[6:7], s[6:7]
	v_mov_b32_e32 v10, s10
	s_xor_b64 exec, exec, s[6:7]
	s_cbranch_execnz .LBB35_3676
.LBB35_1626:
	s_or_b64 exec, exec, s[6:7]
	s_and_saveexec_b64 s[6:7], s[4:5]
	s_cbranch_execz .LBB35_1628
.LBB35_1627:
	v_bfe_u32 v10, v16, 24, 3
	v_ffbh_u32_e32 v20, v10
	v_min_u32_e32 v20, 32, v20
	v_lshrrev_b32_e32 v14, 27, v16
	v_subrev_u32_e32 v21, 28, v20
	v_and_b32_e32 v11, 0x80000000, v16
	v_and_b32_e32 v14, 15, v14
	v_bfe_u32 v15, v16, 27, 4
	v_lshlrev_b32_sdwa v16, v21, v16 dst_sel:DWORD dst_unused:UNUSED_PAD src0_sel:DWORD src1_sel:BYTE_3
	v_sub_u32_e32 v20, 29, v20
	v_and_b32_e32 v16, 7, v16
	v_cmp_eq_u16_e32 vcc, 0, v14
	v_cndmask_b32_e32 v10, v10, v16, vcc
	v_cndmask_b32_e32 v14, v15, v20, vcc
	v_mov_b32_e32 v15, 0x3b800000
	v_lshlrev_b32_e32 v10, 20, v10
	v_lshl_add_u32 v14, v14, 23, v15
	v_or3_b32 v10, v11, v14, v10
.LBB35_1628:
	s_or_b64 exec, exec, s[6:7]
	s_movk_i32 s4, 0x7f
	v_cmp_gt_i16_sdwa s[6:7], v12, s4 src0_sel:BYTE_3 src1_sel:DWORD
	s_mov_b64 s[4:5], 0
                                        ; implicit-def: $sgpr10
	s_and_saveexec_b64 s[8:9], s[6:7]
	s_xor_b64 s[6:7], exec, s[8:9]
	s_cbranch_execnz .LBB35_3677
; %bb.1629:
	s_or_saveexec_b64 s[6:7], s[6:7]
	v_mov_b32_e32 v11, s10
	s_xor_b64 exec, exec, s[6:7]
	s_cbranch_execnz .LBB35_3680
.LBB35_1630:
	s_or_b64 exec, exec, s[6:7]
	s_and_saveexec_b64 s[6:7], s[4:5]
	s_cbranch_execz .LBB35_1632
.LBB35_1631:
	v_bfe_u32 v11, v12, 24, 3
	v_ffbh_u32_e32 v20, v11
	v_min_u32_e32 v20, 32, v20
	v_lshrrev_b32_e32 v15, 27, v12
	v_subrev_u32_e32 v21, 28, v20
	v_and_b32_e32 v14, 0x80000000, v12
	v_and_b32_e32 v15, 15, v15
	v_bfe_u32 v16, v12, 27, 4
	v_lshlrev_b32_sdwa v12, v21, v12 dst_sel:DWORD dst_unused:UNUSED_PAD src0_sel:DWORD src1_sel:BYTE_3
	v_sub_u32_e32 v20, 29, v20
	v_and_b32_e32 v12, 7, v12
	v_cmp_eq_u16_e32 vcc, 0, v15
	v_cndmask_b32_e32 v11, v11, v12, vcc
	v_cndmask_b32_e32 v12, v16, v20, vcc
	v_mov_b32_e32 v15, 0x3b800000
	v_lshlrev_b32_e32 v11, 20, v11
	v_lshl_add_u32 v12, v12, 23, v15
	v_or3_b32 v11, v14, v12, v11
.LBB35_1632:
	s_or_b64 exec, exec, s[6:7]
	s_nop 0
	v_mfma_f32_16x16x4f32 a[0:3], v10, v11, a[0:3]
	s_movk_i32 s4, 0x7f
	v_cmp_gt_i16_sdwa s[6:7], v17, s4 src0_sel:BYTE_0 src1_sel:DWORD
	s_mov_b64 s[4:5], 0
                                        ; implicit-def: $sgpr10
	s_and_saveexec_b64 s[8:9], s[6:7]
	s_xor_b64 s[6:7], exec, s[8:9]
	s_cbranch_execnz .LBB35_3681
; %bb.1633:
	s_or_saveexec_b64 s[6:7], s[6:7]
	v_mov_b32_e32 v10, s10
	s_xor_b64 exec, exec, s[6:7]
	s_cbranch_execnz .LBB35_3684
.LBB35_1634:
	s_or_b64 exec, exec, s[6:7]
	s_and_saveexec_b64 s[6:7], s[4:5]
	s_cbranch_execz .LBB35_1636
.LBB35_1635:
	v_and_b32_e32 v10, 7, v17
	v_ffbh_u32_e32 v12, v10
	v_min_u32_e32 v12, 32, v12
	v_lshrrev_b16_e32 v11, 3, v17
	v_subrev_u32_e32 v14, 28, v12
	v_and_b32_e32 v11, 15, v11
	v_lshlrev_b32_e32 v14, v14, v17
	v_sub_u32_e32 v12, 29, v12
	v_and_b32_e32 v14, 7, v14
	v_cmp_eq_u16_e32 vcc, 0, v11
	v_cndmask_b32_e32 v10, v10, v14, vcc
	v_cndmask_b32_e32 v11, v11, v12, vcc
	v_lshlrev_b32_e32 v12, 24, v17
	v_mov_b32_e32 v14, 0x3b800000
	v_lshlrev_b32_e32 v10, 20, v10
	v_and_b32_e32 v12, 0x80000000, v12
	v_lshl_add_u32 v11, v11, 23, v14
	v_or3_b32 v10, v12, v11, v10
.LBB35_1636:
	s_or_b64 exec, exec, s[6:7]
	s_movk_i32 s4, 0x7f
	v_cmp_gt_i16_sdwa s[6:7], v13, s4 src0_sel:BYTE_0 src1_sel:DWORD
	s_mov_b64 s[4:5], 0
                                        ; implicit-def: $sgpr10
	s_and_saveexec_b64 s[8:9], s[6:7]
	s_xor_b64 s[6:7], exec, s[8:9]
	s_cbranch_execnz .LBB35_3685
; %bb.1637:
	s_or_saveexec_b64 s[6:7], s[6:7]
	v_mov_b32_e32 v11, s10
	s_xor_b64 exec, exec, s[6:7]
	s_cbranch_execnz .LBB35_3688
.LBB35_1638:
	s_or_b64 exec, exec, s[6:7]
	s_and_saveexec_b64 s[6:7], s[4:5]
	s_cbranch_execz .LBB35_1640
.LBB35_1639:
	v_and_b32_e32 v11, 7, v13
	v_ffbh_u32_e32 v14, v11
	v_min_u32_e32 v14, 32, v14
	v_lshrrev_b16_e32 v12, 3, v13
	v_subrev_u32_e32 v15, 28, v14
	v_and_b32_e32 v12, 15, v12
	v_lshlrev_b32_e32 v15, v15, v13
	v_sub_u32_e32 v14, 29, v14
	v_and_b32_e32 v15, 7, v15
	v_cmp_eq_u16_e32 vcc, 0, v12
	v_cndmask_b32_e32 v11, v11, v15, vcc
	v_cndmask_b32_e32 v12, v12, v14, vcc
	v_lshlrev_b32_e32 v14, 24, v13
	v_mov_b32_e32 v15, 0x3b800000
	v_lshlrev_b32_e32 v11, 20, v11
	v_and_b32_e32 v14, 0x80000000, v14
	v_lshl_add_u32 v12, v12, 23, v15
	v_or3_b32 v11, v14, v12, v11
.LBB35_1640:
	s_or_b64 exec, exec, s[6:7]
	s_nop 0
	v_mfma_f32_16x16x4f32 a[0:3], v10, v11, a[0:3]
	v_lshrrev_b32_e32 v11, 8, v17
	s_movk_i32 s4, 0x7f
	v_cmp_gt_i16_sdwa s[6:7], v11, s4 src0_sel:BYTE_0 src1_sel:DWORD
	s_mov_b64 s[4:5], 0
                                        ; implicit-def: $sgpr10
	s_and_saveexec_b64 s[8:9], s[6:7]
	s_xor_b64 s[6:7], exec, s[8:9]
	s_cbranch_execnz .LBB35_3689
; %bb.1641:
	s_or_saveexec_b64 s[6:7], s[6:7]
	v_mov_b32_e32 v10, s10
	s_xor_b64 exec, exec, s[6:7]
	s_cbranch_execnz .LBB35_3692
.LBB35_1642:
	s_or_b64 exec, exec, s[6:7]
	s_and_saveexec_b64 s[6:7], s[4:5]
	s_cbranch_execz .LBB35_1644
.LBB35_1643:
	v_bfe_u32 v10, v17, 8, 3
	v_ffbh_u32_e32 v14, v10
	v_min_u32_e32 v14, 32, v14
	v_lshrrev_b16_e32 v12, 3, v11
	v_subrev_u32_e32 v15, 28, v14
	v_and_b32_e32 v12, 15, v12
	v_lshlrev_b32_e32 v11, v15, v11
	v_sub_u32_e32 v14, 29, v14
	v_and_b32_e32 v11, 7, v11
	v_cmp_eq_u16_e32 vcc, 0, v12
	v_cndmask_b32_e32 v10, v10, v11, vcc
	v_cndmask_b32_e32 v11, v12, v14, vcc
	v_lshlrev_b32_e32 v12, 16, v17
	v_mov_b32_e32 v14, 0x3b800000
	v_lshlrev_b32_e32 v10, 20, v10
	v_and_b32_e32 v12, 0x80000000, v12
	v_lshl_add_u32 v11, v11, 23, v14
	v_or3_b32 v10, v12, v11, v10
.LBB35_1644:
	s_or_b64 exec, exec, s[6:7]
	v_lshrrev_b32_e32 v11, 8, v13
	s_movk_i32 s4, 0x7f
	v_cmp_gt_i16_sdwa s[6:7], v11, s4 src0_sel:BYTE_0 src1_sel:DWORD
	s_mov_b64 s[4:5], 0
                                        ; implicit-def: $sgpr10
	s_and_saveexec_b64 s[8:9], s[6:7]
	s_xor_b64 s[6:7], exec, s[8:9]
	s_cbranch_execnz .LBB35_3693
; %bb.1645:
	s_or_saveexec_b64 s[6:7], s[6:7]
	v_mov_b32_e32 v12, s10
	s_xor_b64 exec, exec, s[6:7]
	s_cbranch_execnz .LBB35_3696
.LBB35_1646:
	s_or_b64 exec, exec, s[6:7]
	s_and_saveexec_b64 s[6:7], s[4:5]
	s_cbranch_execz .LBB35_1648
.LBB35_1647:
	v_bfe_u32 v12, v13, 8, 3
	v_ffbh_u32_e32 v15, v12
	v_min_u32_e32 v15, 32, v15
	v_lshrrev_b16_e32 v14, 3, v11
	v_subrev_u32_e32 v16, 28, v15
	v_and_b32_e32 v14, 15, v14
	v_lshlrev_b32_e32 v11, v16, v11
	v_sub_u32_e32 v15, 29, v15
	v_and_b32_e32 v11, 7, v11
	v_cmp_eq_u16_e32 vcc, 0, v14
	v_cndmask_b32_e32 v11, v12, v11, vcc
	v_cndmask_b32_e32 v12, v14, v15, vcc
	v_lshlrev_b32_e32 v14, 16, v13
	v_mov_b32_e32 v15, 0x3b800000
	v_lshlrev_b32_e32 v11, 20, v11
	v_and_b32_e32 v14, 0x80000000, v14
	v_lshl_add_u32 v12, v12, 23, v15
	v_or3_b32 v12, v14, v12, v11
.LBB35_1648:
	s_or_b64 exec, exec, s[6:7]
	s_nop 0
	v_mfma_f32_16x16x4f32 a[0:3], v10, v12, a[0:3]
	s_movk_i32 s4, 0xff
	v_and_b32_sdwa v11, v17, s4 dst_sel:DWORD dst_unused:UNUSED_PAD src0_sel:WORD_1 src1_sel:DWORD
	s_movk_i32 s4, 0x7f
	v_cmp_lt_i16_e32 vcc, s4, v11
	s_mov_b64 s[4:5], 0
                                        ; implicit-def: $sgpr10
	s_and_saveexec_b64 s[6:7], vcc
	s_xor_b64 s[6:7], exec, s[6:7]
	s_cbranch_execnz .LBB35_3697
; %bb.1649:
	s_or_saveexec_b64 s[6:7], s[6:7]
	v_mov_b32_e32 v10, s10
	s_xor_b64 exec, exec, s[6:7]
	s_cbranch_execnz .LBB35_3700
.LBB35_1650:
	s_or_b64 exec, exec, s[6:7]
	s_and_saveexec_b64 s[6:7], s[4:5]
	s_cbranch_execz .LBB35_1652
.LBB35_1651:
	v_bfe_u32 v10, v17, 16, 3
	v_ffbh_u32_e32 v14, v10
	v_min_u32_e32 v14, 32, v14
	v_lshrrev_b32_e32 v11, 19, v17
	v_subrev_u32_e32 v15, 28, v14
	v_and_b32_e32 v11, 15, v11
	v_lshlrev_b32_sdwa v15, v15, v17 dst_sel:DWORD dst_unused:UNUSED_PAD src0_sel:DWORD src1_sel:WORD_1
	v_bfe_u32 v12, v17, 19, 4
	v_sub_u32_e32 v14, 29, v14
	v_and_b32_e32 v15, 7, v15
	v_cmp_eq_u16_e32 vcc, 0, v11
	v_cndmask_b32_e32 v10, v10, v15, vcc
	v_cndmask_b32_e32 v11, v12, v14, vcc
	v_lshlrev_b32_e32 v12, 8, v17
	v_mov_b32_e32 v14, 0x3b800000
	v_lshlrev_b32_e32 v10, 20, v10
	v_and_b32_e32 v12, 0x80000000, v12
	v_lshl_add_u32 v11, v11, 23, v14
	v_or3_b32 v10, v12, v11, v10
.LBB35_1652:
	s_or_b64 exec, exec, s[6:7]
	s_movk_i32 s4, 0xff
	v_and_b32_sdwa v11, v13, s4 dst_sel:DWORD dst_unused:UNUSED_PAD src0_sel:WORD_1 src1_sel:DWORD
	s_movk_i32 s4, 0x7f
	v_cmp_lt_i16_e32 vcc, s4, v11
	s_mov_b64 s[4:5], 0
                                        ; implicit-def: $sgpr10
	s_and_saveexec_b64 s[6:7], vcc
	s_xor_b64 s[6:7], exec, s[6:7]
	s_cbranch_execnz .LBB35_3701
; %bb.1653:
	s_or_saveexec_b64 s[6:7], s[6:7]
	v_mov_b32_e32 v12, s10
	s_xor_b64 exec, exec, s[6:7]
	s_cbranch_execnz .LBB35_3704
.LBB35_1654:
	s_or_b64 exec, exec, s[6:7]
	s_and_saveexec_b64 s[6:7], s[4:5]
	s_cbranch_execz .LBB35_1656
.LBB35_1655:
	v_bfe_u32 v11, v13, 16, 3
	v_ffbh_u32_e32 v15, v11
	v_min_u32_e32 v15, 32, v15
	v_lshrrev_b32_e32 v12, 19, v13
	v_subrev_u32_e32 v16, 28, v15
	v_and_b32_e32 v12, 15, v12
	v_lshlrev_b32_sdwa v16, v16, v13 dst_sel:DWORD dst_unused:UNUSED_PAD src0_sel:DWORD src1_sel:WORD_1
	v_bfe_u32 v14, v13, 19, 4
	v_sub_u32_e32 v15, 29, v15
	v_and_b32_e32 v16, 7, v16
	v_cmp_eq_u16_e32 vcc, 0, v12
	v_cndmask_b32_e32 v11, v11, v16, vcc
	v_cndmask_b32_e32 v12, v14, v15, vcc
	v_lshlrev_b32_e32 v14, 8, v13
	v_mov_b32_e32 v15, 0x3b800000
	v_lshlrev_b32_e32 v11, 20, v11
	v_and_b32_e32 v14, 0x80000000, v14
	v_lshl_add_u32 v12, v12, 23, v15
	v_or3_b32 v12, v14, v12, v11
.LBB35_1656:
	s_or_b64 exec, exec, s[6:7]
	s_nop 0
	v_mfma_f32_16x16x4f32 a[0:3], v10, v12, a[0:3]
	s_movk_i32 s4, 0x7f
	v_cmp_gt_i16_sdwa s[6:7], v17, s4 src0_sel:BYTE_3 src1_sel:DWORD
	s_mov_b64 s[4:5], 0
                                        ; implicit-def: $sgpr10
	s_and_saveexec_b64 s[8:9], s[6:7]
	s_xor_b64 s[6:7], exec, s[8:9]
	s_cbranch_execnz .LBB35_3705
; %bb.1657:
	s_or_saveexec_b64 s[6:7], s[6:7]
	v_mov_b32_e32 v10, s10
	s_xor_b64 exec, exec, s[6:7]
	s_cbranch_execnz .LBB35_3708
.LBB35_1658:
	s_or_b64 exec, exec, s[6:7]
	s_and_saveexec_b64 s[6:7], s[4:5]
	s_cbranch_execz .LBB35_1660
.LBB35_1659:
	v_bfe_u32 v10, v17, 24, 3
	v_ffbh_u32_e32 v15, v10
	v_min_u32_e32 v15, 32, v15
	v_lshrrev_b32_e32 v12, 27, v17
	v_subrev_u32_e32 v16, 28, v15
	v_and_b32_e32 v12, 15, v12
	v_lshlrev_b32_sdwa v16, v16, v17 dst_sel:DWORD dst_unused:UNUSED_PAD src0_sel:DWORD src1_sel:BYTE_3
	v_bfe_u32 v14, v17, 27, 4
	v_sub_u32_e32 v15, 29, v15
	v_and_b32_e32 v16, 7, v16
	v_cmp_eq_u16_e32 vcc, 0, v12
	v_cndmask_b32_e32 v10, v10, v16, vcc
	v_cndmask_b32_e32 v12, v14, v15, vcc
	v_mov_b32_e32 v14, 0x3b800000
	v_and_b32_e32 v11, 0x80000000, v17
	v_lshlrev_b32_e32 v10, 20, v10
	v_lshl_add_u32 v12, v12, 23, v14
	v_or3_b32 v10, v11, v12, v10
.LBB35_1660:
	s_or_b64 exec, exec, s[6:7]
	s_movk_i32 s4, 0x7f
	v_cmp_gt_i16_sdwa s[6:7], v13, s4 src0_sel:BYTE_3 src1_sel:DWORD
	s_mov_b64 s[4:5], 0
                                        ; implicit-def: $sgpr10
	s_and_saveexec_b64 s[8:9], s[6:7]
	s_xor_b64 s[6:7], exec, s[8:9]
	s_cbranch_execnz .LBB35_3709
; %bb.1661:
	s_or_saveexec_b64 s[6:7], s[6:7]
	v_mov_b32_e32 v11, s10
	s_xor_b64 exec, exec, s[6:7]
	s_cbranch_execnz .LBB35_3712
.LBB35_1662:
	s_or_b64 exec, exec, s[6:7]
	s_and_saveexec_b64 s[6:7], s[4:5]
	s_cbranch_execz .LBB35_1664
.LBB35_1663:
	v_bfe_u32 v11, v13, 24, 3
	v_ffbh_u32_e32 v16, v11
	v_min_u32_e32 v16, 32, v16
	v_lshrrev_b32_e32 v14, 27, v13
	v_subrev_u32_e32 v17, 28, v16
	v_and_b32_e32 v12, 0x80000000, v13
	v_and_b32_e32 v14, 15, v14
	v_bfe_u32 v15, v13, 27, 4
	v_lshlrev_b32_sdwa v13, v17, v13 dst_sel:DWORD dst_unused:UNUSED_PAD src0_sel:DWORD src1_sel:BYTE_3
	v_sub_u32_e32 v16, 29, v16
	v_and_b32_e32 v13, 7, v13
	v_cmp_eq_u16_e32 vcc, 0, v14
	v_cndmask_b32_e32 v11, v11, v13, vcc
	v_cndmask_b32_e32 v13, v15, v16, vcc
	v_mov_b32_e32 v14, 0x3b800000
	v_lshlrev_b32_e32 v11, 20, v11
	v_lshl_add_u32 v13, v13, 23, v14
	v_or3_b32 v11, v12, v13, v11
.LBB35_1664:
	s_or_b64 exec, exec, s[6:7]
	s_nop 0
	v_mfma_f32_16x16x4f32 a[0:3], v10, v11, a[0:3]
	s_movk_i32 s4, 0x7f
	v_cmp_gt_i16_sdwa s[6:7], v6, s4 src0_sel:BYTE_0 src1_sel:DWORD
	s_mov_b64 s[4:5], 0
                                        ; implicit-def: $sgpr10
	s_and_saveexec_b64 s[8:9], s[6:7]
	s_xor_b64 s[6:7], exec, s[8:9]
	s_cbranch_execnz .LBB35_3713
; %bb.1665:
	s_or_saveexec_b64 s[6:7], s[6:7]
	v_mov_b32_e32 v10, s10
	s_xor_b64 exec, exec, s[6:7]
	s_cbranch_execnz .LBB35_3716
.LBB35_1666:
	s_or_b64 exec, exec, s[6:7]
	s_and_saveexec_b64 s[6:7], s[4:5]
	s_cbranch_execz .LBB35_1668
.LBB35_1667:
	v_and_b32_e32 v10, 7, v6
	v_ffbh_u32_e32 v12, v10
	v_min_u32_e32 v12, 32, v12
	v_lshrrev_b16_e32 v11, 3, v6
	v_subrev_u32_e32 v13, 28, v12
	v_and_b32_e32 v11, 15, v11
	v_lshlrev_b32_e32 v13, v13, v6
	v_sub_u32_e32 v12, 29, v12
	v_and_b32_e32 v13, 7, v13
	v_cmp_eq_u16_e32 vcc, 0, v11
	v_cndmask_b32_e32 v10, v10, v13, vcc
	v_cndmask_b32_e32 v11, v11, v12, vcc
	v_lshlrev_b32_e32 v12, 24, v6
	v_mov_b32_e32 v13, 0x3b800000
	v_lshlrev_b32_e32 v10, 20, v10
	v_and_b32_e32 v12, 0x80000000, v12
	v_lshl_add_u32 v11, v11, 23, v13
	v_or3_b32 v10, v12, v11, v10
.LBB35_1668:
	s_or_b64 exec, exec, s[6:7]
	s_movk_i32 s4, 0x7f
	v_cmp_gt_i16_sdwa s[6:7], v2, s4 src0_sel:BYTE_0 src1_sel:DWORD
	s_mov_b64 s[4:5], 0
                                        ; implicit-def: $sgpr10
	s_and_saveexec_b64 s[8:9], s[6:7]
	s_xor_b64 s[6:7], exec, s[8:9]
	s_cbranch_execnz .LBB35_3717
; %bb.1669:
	s_or_saveexec_b64 s[6:7], s[6:7]
	v_mov_b32_e32 v11, s10
	s_xor_b64 exec, exec, s[6:7]
	s_cbranch_execnz .LBB35_3720
.LBB35_1670:
	s_or_b64 exec, exec, s[6:7]
	s_and_saveexec_b64 s[6:7], s[4:5]
	s_cbranch_execz .LBB35_1672
.LBB35_1671:
	v_and_b32_e32 v11, 7, v2
	v_ffbh_u32_e32 v13, v11
	v_min_u32_e32 v13, 32, v13
	v_lshrrev_b16_e32 v12, 3, v2
	v_subrev_u32_e32 v14, 28, v13
	v_and_b32_e32 v12, 15, v12
	v_lshlrev_b32_e32 v14, v14, v2
	v_sub_u32_e32 v13, 29, v13
	v_and_b32_e32 v14, 7, v14
	v_cmp_eq_u16_e32 vcc, 0, v12
	v_cndmask_b32_e32 v11, v11, v14, vcc
	v_cndmask_b32_e32 v12, v12, v13, vcc
	v_lshlrev_b32_e32 v13, 24, v2
	v_mov_b32_e32 v14, 0x3b800000
	v_lshlrev_b32_e32 v11, 20, v11
	v_and_b32_e32 v13, 0x80000000, v13
	v_lshl_add_u32 v12, v12, 23, v14
	v_or3_b32 v11, v13, v12, v11
.LBB35_1672:
	s_or_b64 exec, exec, s[6:7]
	s_nop 0
	v_mfma_f32_16x16x4f32 a[0:3], v10, v11, a[0:3]
	v_lshrrev_b32_e32 v11, 8, v6
	s_movk_i32 s4, 0x7f
	v_cmp_gt_i16_sdwa s[6:7], v11, s4 src0_sel:BYTE_0 src1_sel:DWORD
	s_mov_b64 s[4:5], 0
                                        ; implicit-def: $sgpr10
	s_and_saveexec_b64 s[8:9], s[6:7]
	s_xor_b64 s[6:7], exec, s[8:9]
	s_cbranch_execnz .LBB35_3721
; %bb.1673:
	s_or_saveexec_b64 s[6:7], s[6:7]
	v_mov_b32_e32 v10, s10
	s_xor_b64 exec, exec, s[6:7]
	s_cbranch_execnz .LBB35_3724
.LBB35_1674:
	s_or_b64 exec, exec, s[6:7]
	s_and_saveexec_b64 s[6:7], s[4:5]
	s_cbranch_execz .LBB35_1676
.LBB35_1675:
	v_bfe_u32 v10, v6, 8, 3
	v_ffbh_u32_e32 v13, v10
	v_min_u32_e32 v13, 32, v13
	v_lshrrev_b16_e32 v12, 3, v11
	v_subrev_u32_e32 v14, 28, v13
	v_and_b32_e32 v12, 15, v12
	v_lshlrev_b32_e32 v11, v14, v11
	v_sub_u32_e32 v13, 29, v13
	v_and_b32_e32 v11, 7, v11
	v_cmp_eq_u16_e32 vcc, 0, v12
	v_cndmask_b32_e32 v10, v10, v11, vcc
	v_cndmask_b32_e32 v11, v12, v13, vcc
	v_lshlrev_b32_e32 v12, 16, v6
	v_mov_b32_e32 v13, 0x3b800000
	v_lshlrev_b32_e32 v10, 20, v10
	v_and_b32_e32 v12, 0x80000000, v12
	v_lshl_add_u32 v11, v11, 23, v13
	v_or3_b32 v10, v12, v11, v10
.LBB35_1676:
	s_or_b64 exec, exec, s[6:7]
	v_lshrrev_b32_e32 v11, 8, v2
	s_movk_i32 s4, 0x7f
	v_cmp_gt_i16_sdwa s[6:7], v11, s4 src0_sel:BYTE_0 src1_sel:DWORD
	s_mov_b64 s[4:5], 0
                                        ; implicit-def: $sgpr10
	s_and_saveexec_b64 s[8:9], s[6:7]
	s_xor_b64 s[6:7], exec, s[8:9]
	s_cbranch_execnz .LBB35_3725
; %bb.1677:
	s_or_saveexec_b64 s[6:7], s[6:7]
	v_mov_b32_e32 v12, s10
	s_xor_b64 exec, exec, s[6:7]
	s_cbranch_execnz .LBB35_3728
.LBB35_1678:
	s_or_b64 exec, exec, s[6:7]
	s_and_saveexec_b64 s[6:7], s[4:5]
	s_cbranch_execz .LBB35_1680
.LBB35_1679:
	v_bfe_u32 v12, v2, 8, 3
	v_ffbh_u32_e32 v14, v12
	v_min_u32_e32 v14, 32, v14
	v_lshrrev_b16_e32 v13, 3, v11
	v_subrev_u32_e32 v15, 28, v14
	v_and_b32_e32 v13, 15, v13
	v_lshlrev_b32_e32 v11, v15, v11
	v_sub_u32_e32 v14, 29, v14
	v_and_b32_e32 v11, 7, v11
	v_cmp_eq_u16_e32 vcc, 0, v13
	v_cndmask_b32_e32 v11, v12, v11, vcc
	v_cndmask_b32_e32 v12, v13, v14, vcc
	v_lshlrev_b32_e32 v13, 16, v2
	v_mov_b32_e32 v14, 0x3b800000
	v_lshlrev_b32_e32 v11, 20, v11
	v_and_b32_e32 v13, 0x80000000, v13
	v_lshl_add_u32 v12, v12, 23, v14
	v_or3_b32 v12, v13, v12, v11
.LBB35_1680:
	s_or_b64 exec, exec, s[6:7]
	s_nop 0
	v_mfma_f32_16x16x4f32 a[0:3], v10, v12, a[0:3]
	s_movk_i32 s4, 0xff
	v_and_b32_sdwa v11, v6, s4 dst_sel:DWORD dst_unused:UNUSED_PAD src0_sel:WORD_1 src1_sel:DWORD
	s_movk_i32 s4, 0x7f
	v_cmp_lt_i16_e32 vcc, s4, v11
	s_mov_b64 s[4:5], 0
                                        ; implicit-def: $sgpr10
	s_and_saveexec_b64 s[6:7], vcc
	s_xor_b64 s[6:7], exec, s[6:7]
	s_cbranch_execnz .LBB35_3729
; %bb.1681:
	s_or_saveexec_b64 s[6:7], s[6:7]
	v_mov_b32_e32 v10, s10
	s_xor_b64 exec, exec, s[6:7]
	s_cbranch_execnz .LBB35_3732
.LBB35_1682:
	s_or_b64 exec, exec, s[6:7]
	s_and_saveexec_b64 s[6:7], s[4:5]
	s_cbranch_execz .LBB35_1684
.LBB35_1683:
	v_bfe_u32 v10, v6, 16, 3
	v_ffbh_u32_e32 v13, v10
	v_min_u32_e32 v13, 32, v13
	v_lshrrev_b32_e32 v11, 19, v6
	v_subrev_u32_e32 v14, 28, v13
	v_and_b32_e32 v11, 15, v11
	v_lshlrev_b32_sdwa v14, v14, v6 dst_sel:DWORD dst_unused:UNUSED_PAD src0_sel:DWORD src1_sel:WORD_1
	v_bfe_u32 v12, v6, 19, 4
	v_sub_u32_e32 v13, 29, v13
	v_and_b32_e32 v14, 7, v14
	v_cmp_eq_u16_e32 vcc, 0, v11
	v_cndmask_b32_e32 v10, v10, v14, vcc
	v_cndmask_b32_e32 v11, v12, v13, vcc
	v_lshlrev_b32_e32 v12, 8, v6
	v_mov_b32_e32 v13, 0x3b800000
	v_lshlrev_b32_e32 v10, 20, v10
	v_and_b32_e32 v12, 0x80000000, v12
	v_lshl_add_u32 v11, v11, 23, v13
	v_or3_b32 v10, v12, v11, v10
.LBB35_1684:
	s_or_b64 exec, exec, s[6:7]
	s_movk_i32 s4, 0xff
	v_and_b32_sdwa v11, v2, s4 dst_sel:DWORD dst_unused:UNUSED_PAD src0_sel:WORD_1 src1_sel:DWORD
	s_movk_i32 s4, 0x7f
	v_cmp_lt_i16_e32 vcc, s4, v11
	s_mov_b64 s[4:5], 0
                                        ; implicit-def: $sgpr10
	s_and_saveexec_b64 s[6:7], vcc
	s_xor_b64 s[6:7], exec, s[6:7]
	s_cbranch_execnz .LBB35_3733
; %bb.1685:
	s_or_saveexec_b64 s[6:7], s[6:7]
	v_mov_b32_e32 v12, s10
	s_xor_b64 exec, exec, s[6:7]
	s_cbranch_execnz .LBB35_3736
.LBB35_1686:
	s_or_b64 exec, exec, s[6:7]
	s_and_saveexec_b64 s[6:7], s[4:5]
	s_cbranch_execz .LBB35_1688
.LBB35_1687:
	v_bfe_u32 v11, v2, 16, 3
	v_ffbh_u32_e32 v14, v11
	v_min_u32_e32 v14, 32, v14
	v_lshrrev_b32_e32 v12, 19, v2
	v_subrev_u32_e32 v15, 28, v14
	v_and_b32_e32 v12, 15, v12
	v_lshlrev_b32_sdwa v15, v15, v2 dst_sel:DWORD dst_unused:UNUSED_PAD src0_sel:DWORD src1_sel:WORD_1
	v_bfe_u32 v13, v2, 19, 4
	v_sub_u32_e32 v14, 29, v14
	v_and_b32_e32 v15, 7, v15
	v_cmp_eq_u16_e32 vcc, 0, v12
	v_cndmask_b32_e32 v11, v11, v15, vcc
	v_cndmask_b32_e32 v12, v13, v14, vcc
	v_lshlrev_b32_e32 v13, 8, v2
	v_mov_b32_e32 v14, 0x3b800000
	v_lshlrev_b32_e32 v11, 20, v11
	v_and_b32_e32 v13, 0x80000000, v13
	v_lshl_add_u32 v12, v12, 23, v14
	v_or3_b32 v12, v13, v12, v11
.LBB35_1688:
	s_or_b64 exec, exec, s[6:7]
	s_nop 0
	v_mfma_f32_16x16x4f32 a[0:3], v10, v12, a[0:3]
	s_movk_i32 s4, 0x7f
	v_cmp_gt_i16_sdwa s[6:7], v6, s4 src0_sel:BYTE_3 src1_sel:DWORD
	s_mov_b64 s[4:5], 0
                                        ; implicit-def: $sgpr10
	s_and_saveexec_b64 s[8:9], s[6:7]
	s_xor_b64 s[6:7], exec, s[8:9]
	s_cbranch_execnz .LBB35_3737
; %bb.1689:
	s_or_saveexec_b64 s[6:7], s[6:7]
	v_mov_b32_e32 v10, s10
	s_xor_b64 exec, exec, s[6:7]
	s_cbranch_execnz .LBB35_3740
.LBB35_1690:
	s_or_b64 exec, exec, s[6:7]
	s_and_saveexec_b64 s[6:7], s[4:5]
	s_cbranch_execz .LBB35_1692
.LBB35_1691:
	v_bfe_u32 v10, v6, 24, 3
	v_ffbh_u32_e32 v14, v10
	v_min_u32_e32 v14, 32, v14
	v_lshrrev_b32_e32 v12, 27, v6
	v_subrev_u32_e32 v15, 28, v14
	v_and_b32_e32 v11, 0x80000000, v6
	v_and_b32_e32 v12, 15, v12
	v_bfe_u32 v13, v6, 27, 4
	v_lshlrev_b32_sdwa v6, v15, v6 dst_sel:DWORD dst_unused:UNUSED_PAD src0_sel:DWORD src1_sel:BYTE_3
	v_sub_u32_e32 v14, 29, v14
	v_and_b32_e32 v6, 7, v6
	v_cmp_eq_u16_e32 vcc, 0, v12
	v_cndmask_b32_e32 v6, v10, v6, vcc
	v_cndmask_b32_e32 v10, v13, v14, vcc
	v_mov_b32_e32 v12, 0x3b800000
	v_lshlrev_b32_e32 v6, 20, v6
	v_lshl_add_u32 v10, v10, 23, v12
	v_or3_b32 v10, v11, v10, v6
.LBB35_1692:
	s_or_b64 exec, exec, s[6:7]
	s_movk_i32 s4, 0x7f
	v_cmp_gt_i16_sdwa s[6:7], v2, s4 src0_sel:BYTE_3 src1_sel:DWORD
	s_mov_b64 s[4:5], 0
                                        ; implicit-def: $sgpr10
	s_and_saveexec_b64 s[8:9], s[6:7]
	s_xor_b64 s[6:7], exec, s[8:9]
	s_cbranch_execnz .LBB35_3741
; %bb.1693:
	s_or_saveexec_b64 s[6:7], s[6:7]
	v_mov_b32_e32 v6, s10
	s_xor_b64 exec, exec, s[6:7]
	s_cbranch_execnz .LBB35_3744
.LBB35_1694:
	s_or_b64 exec, exec, s[6:7]
	s_and_saveexec_b64 s[6:7], s[4:5]
	s_cbranch_execz .LBB35_1696
.LBB35_1695:
	v_bfe_u32 v6, v2, 24, 3
	v_ffbh_u32_e32 v14, v6
	v_min_u32_e32 v14, 32, v14
	v_lshrrev_b32_e32 v12, 27, v2
	v_subrev_u32_e32 v15, 28, v14
	v_and_b32_e32 v11, 0x80000000, v2
	v_and_b32_e32 v12, 15, v12
	v_bfe_u32 v13, v2, 27, 4
	v_lshlrev_b32_sdwa v2, v15, v2 dst_sel:DWORD dst_unused:UNUSED_PAD src0_sel:DWORD src1_sel:BYTE_3
	v_sub_u32_e32 v14, 29, v14
	v_and_b32_e32 v2, 7, v2
	v_cmp_eq_u16_e32 vcc, 0, v12
	v_cndmask_b32_e32 v2, v6, v2, vcc
	v_cndmask_b32_e32 v6, v13, v14, vcc
	v_mov_b32_e32 v12, 0x3b800000
	v_lshlrev_b32_e32 v2, 20, v2
	v_lshl_add_u32 v6, v6, 23, v12
	v_or3_b32 v6, v11, v6, v2
.LBB35_1696:
	s_or_b64 exec, exec, s[6:7]
	s_nop 0
	v_mfma_f32_16x16x4f32 a[0:3], v10, v6, a[0:3]
	s_movk_i32 s4, 0x7f
	v_cmp_gt_i16_sdwa s[6:7], v7, s4 src0_sel:BYTE_0 src1_sel:DWORD
	s_mov_b64 s[4:5], 0
                                        ; implicit-def: $sgpr10
	s_and_saveexec_b64 s[8:9], s[6:7]
	s_xor_b64 s[6:7], exec, s[8:9]
	s_cbranch_execnz .LBB35_3745
; %bb.1697:
	s_or_saveexec_b64 s[6:7], s[6:7]
	v_mov_b32_e32 v2, s10
	s_xor_b64 exec, exec, s[6:7]
	s_cbranch_execnz .LBB35_3748
.LBB35_1698:
	s_or_b64 exec, exec, s[6:7]
	s_and_saveexec_b64 s[6:7], s[4:5]
	s_cbranch_execz .LBB35_1700
.LBB35_1699:
	v_and_b32_e32 v2, 7, v7
	v_ffbh_u32_e32 v10, v2
	v_min_u32_e32 v10, 32, v10
	v_lshrrev_b16_e32 v6, 3, v7
	v_subrev_u32_e32 v11, 28, v10
	v_and_b32_e32 v6, 15, v6
	v_lshlrev_b32_e32 v11, v11, v7
	v_sub_u32_e32 v10, 29, v10
	v_and_b32_e32 v11, 7, v11
	v_cmp_eq_u16_e32 vcc, 0, v6
	v_cndmask_b32_e32 v2, v2, v11, vcc
	v_cndmask_b32_e32 v6, v6, v10, vcc
	v_lshlrev_b32_e32 v10, 24, v7
	v_mov_b32_e32 v11, 0x3b800000
	v_lshlrev_b32_e32 v2, 20, v2
	v_and_b32_e32 v10, 0x80000000, v10
	v_lshl_add_u32 v6, v6, 23, v11
	v_or3_b32 v2, v10, v6, v2
.LBB35_1700:
	s_or_b64 exec, exec, s[6:7]
	s_movk_i32 s4, 0x7f
	v_cmp_gt_i16_sdwa s[6:7], v3, s4 src0_sel:BYTE_0 src1_sel:DWORD
	s_mov_b64 s[4:5], 0
                                        ; implicit-def: $sgpr10
	s_and_saveexec_b64 s[8:9], s[6:7]
	s_xor_b64 s[6:7], exec, s[8:9]
	s_cbranch_execnz .LBB35_3749
; %bb.1701:
	s_or_saveexec_b64 s[6:7], s[6:7]
	v_mov_b32_e32 v6, s10
	s_xor_b64 exec, exec, s[6:7]
	s_cbranch_execnz .LBB35_3752
.LBB35_1702:
	s_or_b64 exec, exec, s[6:7]
	s_and_saveexec_b64 s[6:7], s[4:5]
	s_cbranch_execz .LBB35_1704
.LBB35_1703:
	v_and_b32_e32 v6, 7, v3
	v_ffbh_u32_e32 v11, v6
	v_min_u32_e32 v11, 32, v11
	v_lshrrev_b16_e32 v10, 3, v3
	v_subrev_u32_e32 v12, 28, v11
	v_and_b32_e32 v10, 15, v10
	v_lshlrev_b32_e32 v12, v12, v3
	v_sub_u32_e32 v11, 29, v11
	v_and_b32_e32 v12, 7, v12
	v_cmp_eq_u16_e32 vcc, 0, v10
	v_cndmask_b32_e32 v6, v6, v12, vcc
	v_cndmask_b32_e32 v10, v10, v11, vcc
	v_lshlrev_b32_e32 v11, 24, v3
	v_mov_b32_e32 v12, 0x3b800000
	v_lshlrev_b32_e32 v6, 20, v6
	v_and_b32_e32 v11, 0x80000000, v11
	v_lshl_add_u32 v10, v10, 23, v12
	v_or3_b32 v6, v11, v10, v6
.LBB35_1704:
	s_or_b64 exec, exec, s[6:7]
	s_nop 0
	v_mfma_f32_16x16x4f32 a[0:3], v2, v6, a[0:3]
	v_lshrrev_b32_e32 v6, 8, v7
	s_movk_i32 s4, 0x7f
	v_cmp_gt_i16_sdwa s[6:7], v6, s4 src0_sel:BYTE_0 src1_sel:DWORD
	s_mov_b64 s[4:5], 0
                                        ; implicit-def: $sgpr10
	s_and_saveexec_b64 s[8:9], s[6:7]
	s_xor_b64 s[6:7], exec, s[8:9]
	s_cbranch_execnz .LBB35_3753
; %bb.1705:
	s_or_saveexec_b64 s[6:7], s[6:7]
	v_mov_b32_e32 v2, s10
	s_xor_b64 exec, exec, s[6:7]
	s_cbranch_execnz .LBB35_3756
.LBB35_1706:
	s_or_b64 exec, exec, s[6:7]
	s_and_saveexec_b64 s[6:7], s[4:5]
	s_cbranch_execz .LBB35_1708
.LBB35_1707:
	v_bfe_u32 v2, v7, 8, 3
	v_ffbh_u32_e32 v11, v2
	v_min_u32_e32 v11, 32, v11
	v_lshrrev_b16_e32 v10, 3, v6
	v_subrev_u32_e32 v12, 28, v11
	v_and_b32_e32 v10, 15, v10
	v_lshlrev_b32_e32 v6, v12, v6
	v_sub_u32_e32 v11, 29, v11
	v_and_b32_e32 v6, 7, v6
	v_cmp_eq_u16_e32 vcc, 0, v10
	v_cndmask_b32_e32 v2, v2, v6, vcc
	v_cndmask_b32_e32 v6, v10, v11, vcc
	v_lshlrev_b32_e32 v10, 16, v7
	v_mov_b32_e32 v11, 0x3b800000
	v_lshlrev_b32_e32 v2, 20, v2
	v_and_b32_e32 v10, 0x80000000, v10
	v_lshl_add_u32 v6, v6, 23, v11
	v_or3_b32 v2, v10, v6, v2
.LBB35_1708:
	s_or_b64 exec, exec, s[6:7]
	v_lshrrev_b32_e32 v6, 8, v3
	s_movk_i32 s4, 0x7f
	v_cmp_gt_i16_sdwa s[6:7], v6, s4 src0_sel:BYTE_0 src1_sel:DWORD
	s_mov_b64 s[4:5], 0
                                        ; implicit-def: $sgpr10
	s_and_saveexec_b64 s[8:9], s[6:7]
	s_xor_b64 s[6:7], exec, s[8:9]
	s_cbranch_execnz .LBB35_3757
; %bb.1709:
	s_or_saveexec_b64 s[6:7], s[6:7]
	v_mov_b32_e32 v10, s10
	s_xor_b64 exec, exec, s[6:7]
	s_cbranch_execnz .LBB35_3760
.LBB35_1710:
	s_or_b64 exec, exec, s[6:7]
	s_and_saveexec_b64 s[6:7], s[4:5]
	s_cbranch_execz .LBB35_1712
.LBB35_1711:
	v_bfe_u32 v10, v3, 8, 3
	v_ffbh_u32_e32 v12, v10
	v_min_u32_e32 v12, 32, v12
	v_lshrrev_b16_e32 v11, 3, v6
	v_subrev_u32_e32 v13, 28, v12
	v_and_b32_e32 v11, 15, v11
	v_lshlrev_b32_e32 v6, v13, v6
	v_sub_u32_e32 v12, 29, v12
	v_and_b32_e32 v6, 7, v6
	v_cmp_eq_u16_e32 vcc, 0, v11
	v_cndmask_b32_e32 v6, v10, v6, vcc
	v_cndmask_b32_e32 v10, v11, v12, vcc
	v_lshlrev_b32_e32 v11, 16, v3
	v_mov_b32_e32 v12, 0x3b800000
	v_lshlrev_b32_e32 v6, 20, v6
	v_and_b32_e32 v11, 0x80000000, v11
	v_lshl_add_u32 v10, v10, 23, v12
	v_or3_b32 v10, v11, v10, v6
.LBB35_1712:
	s_or_b64 exec, exec, s[6:7]
	s_nop 0
	v_mfma_f32_16x16x4f32 a[0:3], v2, v10, a[0:3]
	s_movk_i32 s4, 0xff
	v_and_b32_sdwa v6, v7, s4 dst_sel:DWORD dst_unused:UNUSED_PAD src0_sel:WORD_1 src1_sel:DWORD
	s_movk_i32 s4, 0x7f
	v_cmp_lt_i16_e32 vcc, s4, v6
	s_mov_b64 s[4:5], 0
                                        ; implicit-def: $sgpr10
	s_and_saveexec_b64 s[6:7], vcc
	s_xor_b64 s[6:7], exec, s[6:7]
	s_cbranch_execnz .LBB35_3761
; %bb.1713:
	s_or_saveexec_b64 s[6:7], s[6:7]
	v_mov_b32_e32 v2, s10
	s_xor_b64 exec, exec, s[6:7]
	s_cbranch_execnz .LBB35_3764
.LBB35_1714:
	s_or_b64 exec, exec, s[6:7]
	s_and_saveexec_b64 s[6:7], s[4:5]
	s_cbranch_execz .LBB35_1716
.LBB35_1715:
	v_bfe_u32 v2, v7, 16, 3
	v_ffbh_u32_e32 v11, v2
	v_min_u32_e32 v11, 32, v11
	v_lshrrev_b32_e32 v6, 19, v7
	v_subrev_u32_e32 v12, 28, v11
	v_and_b32_e32 v6, 15, v6
	v_lshlrev_b32_sdwa v12, v12, v7 dst_sel:DWORD dst_unused:UNUSED_PAD src0_sel:DWORD src1_sel:WORD_1
	v_bfe_u32 v10, v7, 19, 4
	v_sub_u32_e32 v11, 29, v11
	v_and_b32_e32 v12, 7, v12
	v_cmp_eq_u16_e32 vcc, 0, v6
	v_cndmask_b32_e32 v2, v2, v12, vcc
	v_cndmask_b32_e32 v6, v10, v11, vcc
	v_lshlrev_b32_e32 v10, 8, v7
	v_mov_b32_e32 v11, 0x3b800000
	v_lshlrev_b32_e32 v2, 20, v2
	v_and_b32_e32 v10, 0x80000000, v10
	v_lshl_add_u32 v6, v6, 23, v11
	v_or3_b32 v2, v10, v6, v2
.LBB35_1716:
	s_or_b64 exec, exec, s[6:7]
	s_movk_i32 s4, 0xff
	v_and_b32_sdwa v6, v3, s4 dst_sel:DWORD dst_unused:UNUSED_PAD src0_sel:WORD_1 src1_sel:DWORD
	s_movk_i32 s4, 0x7f
	v_cmp_lt_i16_e32 vcc, s4, v6
	s_mov_b64 s[4:5], 0
                                        ; implicit-def: $sgpr10
	s_and_saveexec_b64 s[6:7], vcc
	s_xor_b64 s[6:7], exec, s[6:7]
	s_cbranch_execnz .LBB35_3765
; %bb.1717:
	s_or_saveexec_b64 s[6:7], s[6:7]
	v_mov_b32_e32 v10, s10
	s_xor_b64 exec, exec, s[6:7]
	s_cbranch_execnz .LBB35_3768
.LBB35_1718:
	s_or_b64 exec, exec, s[6:7]
	s_and_saveexec_b64 s[6:7], s[4:5]
	s_cbranch_execz .LBB35_1720
.LBB35_1719:
	v_bfe_u32 v6, v3, 16, 3
	v_ffbh_u32_e32 v12, v6
	v_min_u32_e32 v12, 32, v12
	v_lshrrev_b32_e32 v10, 19, v3
	v_subrev_u32_e32 v13, 28, v12
	v_and_b32_e32 v10, 15, v10
	v_lshlrev_b32_sdwa v13, v13, v3 dst_sel:DWORD dst_unused:UNUSED_PAD src0_sel:DWORD src1_sel:WORD_1
	v_bfe_u32 v11, v3, 19, 4
	v_sub_u32_e32 v12, 29, v12
	v_and_b32_e32 v13, 7, v13
	v_cmp_eq_u16_e32 vcc, 0, v10
	v_cndmask_b32_e32 v6, v6, v13, vcc
	v_cndmask_b32_e32 v10, v11, v12, vcc
	v_lshlrev_b32_e32 v11, 8, v3
	v_mov_b32_e32 v12, 0x3b800000
	v_lshlrev_b32_e32 v6, 20, v6
	v_and_b32_e32 v11, 0x80000000, v11
	v_lshl_add_u32 v10, v10, 23, v12
	v_or3_b32 v10, v11, v10, v6
.LBB35_1720:
	s_or_b64 exec, exec, s[6:7]
	s_nop 0
	v_mfma_f32_16x16x4f32 a[0:3], v2, v10, a[0:3]
	s_movk_i32 s4, 0x7f
	v_cmp_gt_i16_sdwa s[6:7], v7, s4 src0_sel:BYTE_3 src1_sel:DWORD
	s_mov_b64 s[4:5], 0
                                        ; implicit-def: $sgpr10
	s_and_saveexec_b64 s[8:9], s[6:7]
	s_xor_b64 s[6:7], exec, s[8:9]
	s_cbranch_execnz .LBB35_3769
; %bb.1721:
	s_or_saveexec_b64 s[6:7], s[6:7]
	v_mov_b32_e32 v2, s10
	s_xor_b64 exec, exec, s[6:7]
	s_cbranch_execnz .LBB35_3772
.LBB35_1722:
	s_or_b64 exec, exec, s[6:7]
	s_and_saveexec_b64 s[6:7], s[4:5]
	s_cbranch_execz .LBB35_1724
.LBB35_1723:
	v_bfe_u32 v2, v7, 24, 3
	v_ffbh_u32_e32 v12, v2
	v_min_u32_e32 v12, 32, v12
	v_lshrrev_b32_e32 v10, 27, v7
	v_subrev_u32_e32 v13, 28, v12
	v_and_b32_e32 v6, 0x80000000, v7
	v_and_b32_e32 v10, 15, v10
	v_bfe_u32 v11, v7, 27, 4
	v_lshlrev_b32_sdwa v7, v13, v7 dst_sel:DWORD dst_unused:UNUSED_PAD src0_sel:DWORD src1_sel:BYTE_3
	v_sub_u32_e32 v12, 29, v12
	v_and_b32_e32 v7, 7, v7
	v_cmp_eq_u16_e32 vcc, 0, v10
	v_cndmask_b32_e32 v2, v2, v7, vcc
	v_cndmask_b32_e32 v7, v11, v12, vcc
	v_mov_b32_e32 v10, 0x3b800000
	v_lshlrev_b32_e32 v2, 20, v2
	v_lshl_add_u32 v7, v7, 23, v10
	v_or3_b32 v2, v6, v7, v2
.LBB35_1724:
	s_or_b64 exec, exec, s[6:7]
	s_movk_i32 s4, 0x7f
	v_cmp_gt_i16_sdwa s[6:7], v3, s4 src0_sel:BYTE_3 src1_sel:DWORD
	s_mov_b64 s[4:5], 0
                                        ; implicit-def: $sgpr10
	s_and_saveexec_b64 s[8:9], s[6:7]
	s_xor_b64 s[6:7], exec, s[8:9]
	s_cbranch_execnz .LBB35_3773
; %bb.1725:
	s_or_saveexec_b64 s[6:7], s[6:7]
	v_mov_b32_e32 v6, s10
	s_xor_b64 exec, exec, s[6:7]
	s_cbranch_execnz .LBB35_3776
.LBB35_1726:
	s_or_b64 exec, exec, s[6:7]
	s_and_saveexec_b64 s[6:7], s[4:5]
	s_cbranch_execz .LBB35_1728
.LBB35_1727:
	v_bfe_u32 v6, v3, 24, 3
	v_ffbh_u32_e32 v12, v6
	v_min_u32_e32 v12, 32, v12
	v_lshrrev_b32_e32 v10, 27, v3
	v_subrev_u32_e32 v13, 28, v12
	v_and_b32_e32 v7, 0x80000000, v3
	v_and_b32_e32 v10, 15, v10
	v_bfe_u32 v11, v3, 27, 4
	v_lshlrev_b32_sdwa v3, v13, v3 dst_sel:DWORD dst_unused:UNUSED_PAD src0_sel:DWORD src1_sel:BYTE_3
	v_sub_u32_e32 v12, 29, v12
	v_and_b32_e32 v3, 7, v3
	v_cmp_eq_u16_e32 vcc, 0, v10
	v_cndmask_b32_e32 v3, v6, v3, vcc
	v_cndmask_b32_e32 v6, v11, v12, vcc
	v_mov_b32_e32 v10, 0x3b800000
	v_lshlrev_b32_e32 v3, 20, v3
	v_lshl_add_u32 v6, v6, 23, v10
	v_or3_b32 v6, v7, v6, v3
.LBB35_1728:
	s_or_b64 exec, exec, s[6:7]
	s_nop 0
	v_mfma_f32_16x16x4f32 a[0:3], v2, v6, a[0:3]
	s_movk_i32 s4, 0x7f
	v_cmp_gt_i16_sdwa s[6:7], v8, s4 src0_sel:BYTE_0 src1_sel:DWORD
	s_mov_b64 s[4:5], 0
                                        ; implicit-def: $sgpr10
	s_and_saveexec_b64 s[8:9], s[6:7]
	s_xor_b64 s[6:7], exec, s[8:9]
	s_cbranch_execnz .LBB35_3777
; %bb.1729:
	s_or_saveexec_b64 s[6:7], s[6:7]
	v_mov_b32_e32 v2, s10
	s_xor_b64 exec, exec, s[6:7]
	s_cbranch_execnz .LBB35_3780
.LBB35_1730:
	s_or_b64 exec, exec, s[6:7]
	s_and_saveexec_b64 s[6:7], s[4:5]
	s_cbranch_execz .LBB35_1732
.LBB35_1731:
	v_and_b32_e32 v2, 7, v8
	v_ffbh_u32_e32 v6, v2
	v_min_u32_e32 v6, 32, v6
	v_lshrrev_b16_e32 v3, 3, v8
	v_subrev_u32_e32 v7, 28, v6
	v_and_b32_e32 v3, 15, v3
	v_lshlrev_b32_e32 v7, v7, v8
	v_sub_u32_e32 v6, 29, v6
	v_and_b32_e32 v7, 7, v7
	v_cmp_eq_u16_e32 vcc, 0, v3
	v_cndmask_b32_e32 v2, v2, v7, vcc
	v_cndmask_b32_e32 v3, v3, v6, vcc
	v_lshlrev_b32_e32 v6, 24, v8
	v_mov_b32_e32 v7, 0x3b800000
	v_lshlrev_b32_e32 v2, 20, v2
	v_and_b32_e32 v6, 0x80000000, v6
	v_lshl_add_u32 v3, v3, 23, v7
	v_or3_b32 v2, v6, v3, v2
.LBB35_1732:
	s_or_b64 exec, exec, s[6:7]
	s_movk_i32 s4, 0x7f
	v_cmp_gt_i16_sdwa s[6:7], v4, s4 src0_sel:BYTE_0 src1_sel:DWORD
	s_mov_b64 s[4:5], 0
                                        ; implicit-def: $sgpr10
	s_and_saveexec_b64 s[8:9], s[6:7]
	s_xor_b64 s[6:7], exec, s[8:9]
	s_cbranch_execnz .LBB35_3781
; %bb.1733:
	s_or_saveexec_b64 s[6:7], s[6:7]
	v_mov_b32_e32 v3, s10
	s_xor_b64 exec, exec, s[6:7]
	s_cbranch_execnz .LBB35_3784
.LBB35_1734:
	s_or_b64 exec, exec, s[6:7]
	s_and_saveexec_b64 s[6:7], s[4:5]
	s_cbranch_execz .LBB35_1736
.LBB35_1735:
	v_and_b32_e32 v3, 7, v4
	v_ffbh_u32_e32 v7, v3
	v_min_u32_e32 v7, 32, v7
	v_lshrrev_b16_e32 v6, 3, v4
	v_subrev_u32_e32 v10, 28, v7
	v_and_b32_e32 v6, 15, v6
	v_lshlrev_b32_e32 v10, v10, v4
	v_sub_u32_e32 v7, 29, v7
	v_and_b32_e32 v10, 7, v10
	v_cmp_eq_u16_e32 vcc, 0, v6
	v_cndmask_b32_e32 v3, v3, v10, vcc
	v_cndmask_b32_e32 v6, v6, v7, vcc
	v_lshlrev_b32_e32 v7, 24, v4
	v_mov_b32_e32 v10, 0x3b800000
	v_lshlrev_b32_e32 v3, 20, v3
	v_and_b32_e32 v7, 0x80000000, v7
	v_lshl_add_u32 v6, v6, 23, v10
	v_or3_b32 v3, v7, v6, v3
.LBB35_1736:
	s_or_b64 exec, exec, s[6:7]
	s_nop 0
	v_mfma_f32_16x16x4f32 a[0:3], v2, v3, a[0:3]
	v_lshrrev_b32_e32 v3, 8, v8
	s_movk_i32 s4, 0x7f
	v_cmp_gt_i16_sdwa s[6:7], v3, s4 src0_sel:BYTE_0 src1_sel:DWORD
	s_mov_b64 s[4:5], 0
                                        ; implicit-def: $sgpr10
	s_and_saveexec_b64 s[8:9], s[6:7]
	s_xor_b64 s[6:7], exec, s[8:9]
	s_cbranch_execnz .LBB35_3785
; %bb.1737:
	s_or_saveexec_b64 s[6:7], s[6:7]
	v_mov_b32_e32 v2, s10
	s_xor_b64 exec, exec, s[6:7]
	s_cbranch_execnz .LBB35_3788
.LBB35_1738:
	s_or_b64 exec, exec, s[6:7]
	s_and_saveexec_b64 s[6:7], s[4:5]
	s_cbranch_execz .LBB35_1740
.LBB35_1739:
	v_bfe_u32 v2, v8, 8, 3
	v_ffbh_u32_e32 v7, v2
	v_min_u32_e32 v7, 32, v7
	v_lshrrev_b16_e32 v6, 3, v3
	v_subrev_u32_e32 v10, 28, v7
	v_and_b32_e32 v6, 15, v6
	v_lshlrev_b32_e32 v3, v10, v3
	v_sub_u32_e32 v7, 29, v7
	v_and_b32_e32 v3, 7, v3
	v_cmp_eq_u16_e32 vcc, 0, v6
	v_cndmask_b32_e32 v2, v2, v3, vcc
	v_cndmask_b32_e32 v3, v6, v7, vcc
	v_lshlrev_b32_e32 v6, 16, v8
	v_mov_b32_e32 v7, 0x3b800000
	v_lshlrev_b32_e32 v2, 20, v2
	v_and_b32_e32 v6, 0x80000000, v6
	v_lshl_add_u32 v3, v3, 23, v7
	v_or3_b32 v2, v6, v3, v2
.LBB35_1740:
	s_or_b64 exec, exec, s[6:7]
	v_lshrrev_b32_e32 v3, 8, v4
	s_movk_i32 s4, 0x7f
	v_cmp_gt_i16_sdwa s[6:7], v3, s4 src0_sel:BYTE_0 src1_sel:DWORD
	s_mov_b64 s[4:5], 0
                                        ; implicit-def: $sgpr10
	s_and_saveexec_b64 s[8:9], s[6:7]
	s_xor_b64 s[6:7], exec, s[8:9]
	s_cbranch_execnz .LBB35_3789
; %bb.1741:
	s_or_saveexec_b64 s[6:7], s[6:7]
	v_mov_b32_e32 v6, s10
	s_xor_b64 exec, exec, s[6:7]
	s_cbranch_execnz .LBB35_3792
.LBB35_1742:
	s_or_b64 exec, exec, s[6:7]
	s_and_saveexec_b64 s[6:7], s[4:5]
	s_cbranch_execz .LBB35_1744
.LBB35_1743:
	v_bfe_u32 v6, v4, 8, 3
	v_ffbh_u32_e32 v10, v6
	v_min_u32_e32 v10, 32, v10
	v_lshrrev_b16_e32 v7, 3, v3
	v_subrev_u32_e32 v11, 28, v10
	v_and_b32_e32 v7, 15, v7
	v_lshlrev_b32_e32 v3, v11, v3
	v_sub_u32_e32 v10, 29, v10
	v_and_b32_e32 v3, 7, v3
	v_cmp_eq_u16_e32 vcc, 0, v7
	v_cndmask_b32_e32 v3, v6, v3, vcc
	v_cndmask_b32_e32 v6, v7, v10, vcc
	v_lshlrev_b32_e32 v7, 16, v4
	v_mov_b32_e32 v10, 0x3b800000
	v_lshlrev_b32_e32 v3, 20, v3
	v_and_b32_e32 v7, 0x80000000, v7
	v_lshl_add_u32 v6, v6, 23, v10
	v_or3_b32 v6, v7, v6, v3
.LBB35_1744:
	s_or_b64 exec, exec, s[6:7]
	s_nop 0
	v_mfma_f32_16x16x4f32 a[0:3], v2, v6, a[0:3]
	s_movk_i32 s4, 0xff
	v_and_b32_sdwa v3, v8, s4 dst_sel:DWORD dst_unused:UNUSED_PAD src0_sel:WORD_1 src1_sel:DWORD
	s_movk_i32 s4, 0x7f
	v_cmp_lt_i16_e32 vcc, s4, v3
	s_mov_b64 s[4:5], 0
                                        ; implicit-def: $sgpr10
	s_and_saveexec_b64 s[6:7], vcc
	s_xor_b64 s[6:7], exec, s[6:7]
	s_cbranch_execnz .LBB35_3793
; %bb.1745:
	s_or_saveexec_b64 s[6:7], s[6:7]
	v_mov_b32_e32 v2, s10
	s_xor_b64 exec, exec, s[6:7]
	s_cbranch_execnz .LBB35_3796
.LBB35_1746:
	s_or_b64 exec, exec, s[6:7]
	s_and_saveexec_b64 s[6:7], s[4:5]
	s_cbranch_execz .LBB35_1748
.LBB35_1747:
	v_bfe_u32 v2, v8, 16, 3
	v_ffbh_u32_e32 v7, v2
	v_min_u32_e32 v7, 32, v7
	v_lshrrev_b32_e32 v3, 19, v8
	v_subrev_u32_e32 v10, 28, v7
	v_and_b32_e32 v3, 15, v3
	v_lshlrev_b32_sdwa v10, v10, v8 dst_sel:DWORD dst_unused:UNUSED_PAD src0_sel:DWORD src1_sel:WORD_1
	v_bfe_u32 v6, v8, 19, 4
	v_sub_u32_e32 v7, 29, v7
	v_and_b32_e32 v10, 7, v10
	v_cmp_eq_u16_e32 vcc, 0, v3
	v_cndmask_b32_e32 v2, v2, v10, vcc
	v_cndmask_b32_e32 v3, v6, v7, vcc
	v_lshlrev_b32_e32 v6, 8, v8
	v_mov_b32_e32 v7, 0x3b800000
	v_lshlrev_b32_e32 v2, 20, v2
	v_and_b32_e32 v6, 0x80000000, v6
	v_lshl_add_u32 v3, v3, 23, v7
	v_or3_b32 v2, v6, v3, v2
.LBB35_1748:
	s_or_b64 exec, exec, s[6:7]
	s_movk_i32 s4, 0xff
	v_and_b32_sdwa v3, v4, s4 dst_sel:DWORD dst_unused:UNUSED_PAD src0_sel:WORD_1 src1_sel:DWORD
	s_movk_i32 s4, 0x7f
	v_cmp_lt_i16_e32 vcc, s4, v3
	s_mov_b64 s[4:5], 0
                                        ; implicit-def: $sgpr10
	s_and_saveexec_b64 s[6:7], vcc
	s_xor_b64 s[6:7], exec, s[6:7]
	s_cbranch_execnz .LBB35_3797
; %bb.1749:
	s_or_saveexec_b64 s[6:7], s[6:7]
	v_mov_b32_e32 v6, s10
	s_xor_b64 exec, exec, s[6:7]
	s_cbranch_execnz .LBB35_3800
.LBB35_1750:
	s_or_b64 exec, exec, s[6:7]
	s_and_saveexec_b64 s[6:7], s[4:5]
	s_cbranch_execz .LBB35_1752
.LBB35_1751:
	v_bfe_u32 v3, v4, 16, 3
	v_ffbh_u32_e32 v10, v3
	v_min_u32_e32 v10, 32, v10
	v_lshrrev_b32_e32 v6, 19, v4
	v_subrev_u32_e32 v11, 28, v10
	v_and_b32_e32 v6, 15, v6
	v_lshlrev_b32_sdwa v11, v11, v4 dst_sel:DWORD dst_unused:UNUSED_PAD src0_sel:DWORD src1_sel:WORD_1
	v_bfe_u32 v7, v4, 19, 4
	v_sub_u32_e32 v10, 29, v10
	v_and_b32_e32 v11, 7, v11
	v_cmp_eq_u16_e32 vcc, 0, v6
	v_cndmask_b32_e32 v3, v3, v11, vcc
	v_cndmask_b32_e32 v6, v7, v10, vcc
	v_lshlrev_b32_e32 v7, 8, v4
	v_mov_b32_e32 v10, 0x3b800000
	v_lshlrev_b32_e32 v3, 20, v3
	v_and_b32_e32 v7, 0x80000000, v7
	v_lshl_add_u32 v6, v6, 23, v10
	v_or3_b32 v6, v7, v6, v3
.LBB35_1752:
	s_or_b64 exec, exec, s[6:7]
	s_nop 0
	v_mfma_f32_16x16x4f32 a[0:3], v2, v6, a[0:3]
	s_movk_i32 s4, 0x7f
	v_cmp_gt_i16_sdwa s[6:7], v8, s4 src0_sel:BYTE_3 src1_sel:DWORD
	s_mov_b64 s[4:5], 0
                                        ; implicit-def: $sgpr10
	s_and_saveexec_b64 s[8:9], s[6:7]
	s_xor_b64 s[6:7], exec, s[8:9]
	s_cbranch_execnz .LBB35_3801
; %bb.1753:
	s_or_saveexec_b64 s[6:7], s[6:7]
	v_mov_b32_e32 v2, s10
	s_xor_b64 exec, exec, s[6:7]
	s_cbranch_execnz .LBB35_3804
.LBB35_1754:
	s_or_b64 exec, exec, s[6:7]
	s_and_saveexec_b64 s[6:7], s[4:5]
	s_cbranch_execz .LBB35_1756
.LBB35_1755:
	v_bfe_u32 v2, v8, 24, 3
	v_ffbh_u32_e32 v10, v2
	v_min_u32_e32 v10, 32, v10
	v_lshrrev_b32_e32 v6, 27, v8
	v_subrev_u32_e32 v11, 28, v10
	v_and_b32_e32 v3, 0x80000000, v8
	v_and_b32_e32 v6, 15, v6
	v_bfe_u32 v7, v8, 27, 4
	v_lshlrev_b32_sdwa v8, v11, v8 dst_sel:DWORD dst_unused:UNUSED_PAD src0_sel:DWORD src1_sel:BYTE_3
	v_sub_u32_e32 v10, 29, v10
	v_and_b32_e32 v8, 7, v8
	v_cmp_eq_u16_e32 vcc, 0, v6
	v_cndmask_b32_e32 v2, v2, v8, vcc
	v_cndmask_b32_e32 v6, v7, v10, vcc
	v_mov_b32_e32 v7, 0x3b800000
	v_lshlrev_b32_e32 v2, 20, v2
	v_lshl_add_u32 v6, v6, 23, v7
	v_or3_b32 v2, v3, v6, v2
.LBB35_1756:
	s_or_b64 exec, exec, s[6:7]
	s_movk_i32 s4, 0x7f
	v_cmp_gt_i16_sdwa s[6:7], v4, s4 src0_sel:BYTE_3 src1_sel:DWORD
	s_mov_b64 s[4:5], 0
                                        ; implicit-def: $sgpr10
	s_and_saveexec_b64 s[8:9], s[6:7]
	s_xor_b64 s[6:7], exec, s[8:9]
	s_cbranch_execnz .LBB35_3805
; %bb.1757:
	s_or_saveexec_b64 s[6:7], s[6:7]
	v_mov_b32_e32 v3, s10
	s_xor_b64 exec, exec, s[6:7]
	s_cbranch_execnz .LBB35_3808
.LBB35_1758:
	s_or_b64 exec, exec, s[6:7]
	s_and_saveexec_b64 s[6:7], s[4:5]
	s_cbranch_execz .LBB35_1760
.LBB35_1759:
	v_bfe_u32 v3, v4, 24, 3
	v_ffbh_u32_e32 v10, v3
	v_min_u32_e32 v10, 32, v10
	v_lshrrev_b32_e32 v7, 27, v4
	v_subrev_u32_e32 v11, 28, v10
	v_and_b32_e32 v6, 0x80000000, v4
	v_and_b32_e32 v7, 15, v7
	v_bfe_u32 v8, v4, 27, 4
	v_lshlrev_b32_sdwa v4, v11, v4 dst_sel:DWORD dst_unused:UNUSED_PAD src0_sel:DWORD src1_sel:BYTE_3
	v_sub_u32_e32 v10, 29, v10
	v_and_b32_e32 v4, 7, v4
	v_cmp_eq_u16_e32 vcc, 0, v7
	v_cndmask_b32_e32 v3, v3, v4, vcc
	v_cndmask_b32_e32 v4, v8, v10, vcc
	v_mov_b32_e32 v7, 0x3b800000
	v_lshlrev_b32_e32 v3, 20, v3
	v_lshl_add_u32 v4, v4, 23, v7
	v_or3_b32 v3, v6, v4, v3
.LBB35_1760:
	s_or_b64 exec, exec, s[6:7]
	s_nop 0
	v_mfma_f32_16x16x4f32 a[0:3], v2, v3, a[0:3]
	s_movk_i32 s4, 0x7f
	v_cmp_gt_i16_sdwa s[6:7], v9, s4 src0_sel:BYTE_0 src1_sel:DWORD
	s_mov_b64 s[4:5], 0
                                        ; implicit-def: $sgpr10
	s_and_saveexec_b64 s[8:9], s[6:7]
	s_xor_b64 s[6:7], exec, s[8:9]
	s_cbranch_execnz .LBB35_3809
; %bb.1761:
	s_or_saveexec_b64 s[6:7], s[6:7]
	v_mov_b32_e32 v2, s10
	s_xor_b64 exec, exec, s[6:7]
	s_cbranch_execnz .LBB35_3812
.LBB35_1762:
	s_or_b64 exec, exec, s[6:7]
	s_and_saveexec_b64 s[6:7], s[4:5]
	s_cbranch_execz .LBB35_1764
.LBB35_1763:
	v_mov_b32_e32 v2, 8
	v_and_b32_e32 v3, 7, v9
	v_lshrrev_b32_sdwa v2, v2, v9 dst_sel:BYTE_1 dst_unused:UNUSED_PAD src0_sel:DWORD src1_sel:DWORD
	v_ffbh_u32_e32 v4, v3
	v_or_b32_sdwa v2, v9, v2 dst_sel:DWORD dst_unused:UNUSED_PAD src0_sel:BYTE_0 src1_sel:DWORD
	v_min_u32_e32 v4, 32, v4
	v_lshrrev_b16_e32 v2, 3, v2
	v_subrev_u32_e32 v6, 28, v4
	v_and_b32_e32 v2, 15, v2
	v_lshlrev_b32_e32 v6, v6, v9
	v_sub_u32_e32 v4, 29, v4
	v_and_b32_e32 v6, 7, v6
	v_cmp_eq_u16_e32 vcc, 0, v2
	v_cndmask_b32_e32 v3, v3, v6, vcc
	v_cndmask_b32_e32 v2, v2, v4, vcc
	v_lshlrev_b32_e32 v4, 24, v9
	v_mov_b32_e32 v6, 0x3b800000
	v_lshlrev_b32_e32 v3, 20, v3
	v_and_b32_e32 v4, 0x80000000, v4
	v_lshl_add_u32 v2, v2, 23, v6
	v_or3_b32 v2, v4, v2, v3
.LBB35_1764:
	s_or_b64 exec, exec, s[6:7]
	s_movk_i32 s4, 0x7f
	v_cmp_gt_i16_sdwa s[6:7], v5, s4 src0_sel:BYTE_0 src1_sel:DWORD
	s_mov_b64 s[4:5], 0
                                        ; implicit-def: $sgpr10
	s_and_saveexec_b64 s[8:9], s[6:7]
	s_xor_b64 s[6:7], exec, s[8:9]
	s_cbranch_execnz .LBB35_3813
; %bb.1765:
	s_or_saveexec_b64 s[6:7], s[6:7]
	v_mov_b32_e32 v3, s10
	s_xor_b64 exec, exec, s[6:7]
	s_cbranch_execnz .LBB35_3816
.LBB35_1766:
	s_or_b64 exec, exec, s[6:7]
	s_and_saveexec_b64 s[6:7], s[4:5]
	s_cbranch_execz .LBB35_1768
.LBB35_1767:
	v_mov_b32_e32 v3, 8
	v_and_b32_e32 v4, 7, v5
	v_lshrrev_b32_sdwa v3, v3, v5 dst_sel:BYTE_1 dst_unused:UNUSED_PAD src0_sel:DWORD src1_sel:DWORD
	v_ffbh_u32_e32 v6, v4
	v_or_b32_sdwa v3, v5, v3 dst_sel:DWORD dst_unused:UNUSED_PAD src0_sel:BYTE_0 src1_sel:DWORD
	v_min_u32_e32 v6, 32, v6
	v_lshrrev_b16_e32 v3, 3, v3
	v_subrev_u32_e32 v7, 28, v6
	v_and_b32_e32 v3, 15, v3
	v_lshlrev_b32_e32 v7, v7, v5
	v_sub_u32_e32 v6, 29, v6
	v_and_b32_e32 v7, 7, v7
	v_cmp_eq_u16_e32 vcc, 0, v3
	v_cndmask_b32_e32 v4, v4, v7, vcc
	v_cndmask_b32_e32 v3, v3, v6, vcc
	v_lshlrev_b32_e32 v6, 24, v5
	v_mov_b32_e32 v7, 0x3b800000
	v_lshlrev_b32_e32 v4, 20, v4
	v_and_b32_e32 v6, 0x80000000, v6
	v_lshl_add_u32 v3, v3, 23, v7
	v_or3_b32 v3, v6, v3, v4
.LBB35_1768:
	s_or_b64 exec, exec, s[6:7]
	s_nop 0
	v_mfma_f32_16x16x4f32 a[0:3], v2, v3, a[0:3]
	v_lshrrev_b32_e32 v3, 8, v9
	s_movk_i32 s4, 0x7f
	v_cmp_gt_i16_sdwa s[6:7], v3, s4 src0_sel:BYTE_0 src1_sel:DWORD
	s_mov_b64 s[4:5], 0
                                        ; implicit-def: $sgpr10
	s_and_saveexec_b64 s[8:9], s[6:7]
	s_xor_b64 s[6:7], exec, s[8:9]
	s_cbranch_execnz .LBB35_3817
; %bb.1769:
	s_or_saveexec_b64 s[6:7], s[6:7]
	v_mov_b32_e32 v2, s10
	s_xor_b64 exec, exec, s[6:7]
	s_cbranch_execnz .LBB35_3820
.LBB35_1770:
	s_or_b64 exec, exec, s[6:7]
	s_and_saveexec_b64 s[6:7], s[4:5]
	s_cbranch_execz .LBB35_1772
.LBB35_1771:
	v_bfe_u32 v2, v9, 8, 3
	v_ffbh_u32_e32 v6, v2
	v_min_u32_e32 v6, 32, v6
	v_lshrrev_b16_e32 v4, 3, v3
	v_subrev_u32_e32 v7, 28, v6
	v_and_b32_e32 v4, 15, v4
	v_lshlrev_b32_e32 v3, v7, v3
	v_sub_u32_e32 v6, 29, v6
	v_and_b32_e32 v3, 7, v3
	v_cmp_eq_u16_e32 vcc, 0, v4
	v_cndmask_b32_e32 v2, v2, v3, vcc
	v_cndmask_b32_e32 v3, v4, v6, vcc
	v_lshlrev_b32_e32 v4, 16, v9
	v_mov_b32_e32 v6, 0x3b800000
	v_lshlrev_b32_e32 v2, 20, v2
	v_and_b32_e32 v4, 0x80000000, v4
	v_lshl_add_u32 v3, v3, 23, v6
	v_or3_b32 v2, v4, v3, v2
.LBB35_1772:
	s_or_b64 exec, exec, s[6:7]
	v_lshrrev_b32_e32 v3, 8, v5
	s_movk_i32 s4, 0x7f
	v_cmp_gt_i16_sdwa s[6:7], v3, s4 src0_sel:BYTE_0 src1_sel:DWORD
	s_mov_b64 s[4:5], 0
                                        ; implicit-def: $sgpr10
	s_and_saveexec_b64 s[8:9], s[6:7]
	s_xor_b64 s[6:7], exec, s[8:9]
	s_cbranch_execnz .LBB35_3821
; %bb.1773:
	s_or_saveexec_b64 s[6:7], s[6:7]
	v_mov_b32_e32 v4, s10
	s_xor_b64 exec, exec, s[6:7]
	s_cbranch_execnz .LBB35_3824
.LBB35_1774:
	s_or_b64 exec, exec, s[6:7]
	s_and_saveexec_b64 s[6:7], s[4:5]
	s_cbranch_execz .LBB35_1776
.LBB35_1775:
	v_bfe_u32 v4, v5, 8, 3
	v_ffbh_u32_e32 v7, v4
	v_min_u32_e32 v7, 32, v7
	v_lshrrev_b16_e32 v6, 3, v3
	v_subrev_u32_e32 v8, 28, v7
	v_and_b32_e32 v6, 15, v6
	v_lshlrev_b32_e32 v3, v8, v3
	v_sub_u32_e32 v7, 29, v7
	v_and_b32_e32 v3, 7, v3
	v_cmp_eq_u16_e32 vcc, 0, v6
	v_cndmask_b32_e32 v3, v4, v3, vcc
	v_cndmask_b32_e32 v4, v6, v7, vcc
	v_lshlrev_b32_e32 v6, 16, v5
	v_mov_b32_e32 v7, 0x3b800000
	v_lshlrev_b32_e32 v3, 20, v3
	v_and_b32_e32 v6, 0x80000000, v6
	v_lshl_add_u32 v4, v4, 23, v7
	v_or3_b32 v4, v6, v4, v3
.LBB35_1776:
	s_or_b64 exec, exec, s[6:7]
	s_nop 0
	v_mfma_f32_16x16x4f32 a[0:3], v2, v4, a[0:3]
	s_movk_i32 s4, 0xff
	v_and_b32_sdwa v3, v9, s4 dst_sel:DWORD dst_unused:UNUSED_PAD src0_sel:WORD_1 src1_sel:DWORD
	s_movk_i32 s4, 0x7f
	v_cmp_lt_i16_e32 vcc, s4, v3
	s_mov_b64 s[4:5], 0
                                        ; implicit-def: $sgpr10
	s_and_saveexec_b64 s[6:7], vcc
	s_xor_b64 s[6:7], exec, s[6:7]
	s_cbranch_execnz .LBB35_3825
; %bb.1777:
	s_or_saveexec_b64 s[6:7], s[6:7]
	v_mov_b32_e32 v2, s10
	s_xor_b64 exec, exec, s[6:7]
	s_cbranch_execnz .LBB35_3828
.LBB35_1778:
	s_or_b64 exec, exec, s[6:7]
	s_and_saveexec_b64 s[6:7], s[4:5]
	s_cbranch_execz .LBB35_1780
.LBB35_1779:
	v_bfe_u32 v2, v9, 16, 3
	v_ffbh_u32_e32 v6, v2
	v_min_u32_e32 v6, 32, v6
	v_lshrrev_b32_e32 v3, 19, v9
	v_subrev_u32_e32 v7, 28, v6
	v_and_b32_e32 v3, 15, v3
	v_lshlrev_b32_sdwa v7, v7, v9 dst_sel:DWORD dst_unused:UNUSED_PAD src0_sel:DWORD src1_sel:WORD_1
	v_bfe_u32 v4, v9, 19, 4
	v_sub_u32_e32 v6, 29, v6
	v_and_b32_e32 v7, 7, v7
	v_cmp_eq_u16_e32 vcc, 0, v3
	v_cndmask_b32_e32 v2, v2, v7, vcc
	v_cndmask_b32_e32 v3, v4, v6, vcc
	v_lshlrev_b32_e32 v4, 8, v9
	v_mov_b32_e32 v6, 0x3b800000
	v_lshlrev_b32_e32 v2, 20, v2
	v_and_b32_e32 v4, 0x80000000, v4
	v_lshl_add_u32 v3, v3, 23, v6
	v_or3_b32 v2, v4, v3, v2
.LBB35_1780:
	s_or_b64 exec, exec, s[6:7]
	s_movk_i32 s4, 0xff
	v_and_b32_sdwa v3, v5, s4 dst_sel:DWORD dst_unused:UNUSED_PAD src0_sel:WORD_1 src1_sel:DWORD
	s_movk_i32 s4, 0x7f
	v_cmp_lt_i16_e32 vcc, s4, v3
	s_mov_b64 s[4:5], 0
                                        ; implicit-def: $sgpr10
	s_and_saveexec_b64 s[6:7], vcc
	s_xor_b64 s[6:7], exec, s[6:7]
	s_cbranch_execnz .LBB35_3829
; %bb.1781:
	s_or_saveexec_b64 s[6:7], s[6:7]
	v_mov_b32_e32 v4, s10
	s_xor_b64 exec, exec, s[6:7]
	s_cbranch_execnz .LBB35_3832
.LBB35_1782:
	s_or_b64 exec, exec, s[6:7]
	s_and_saveexec_b64 s[6:7], s[4:5]
	s_cbranch_execz .LBB35_1784
.LBB35_1783:
	v_bfe_u32 v3, v5, 16, 3
	v_ffbh_u32_e32 v7, v3
	v_min_u32_e32 v7, 32, v7
	v_lshrrev_b32_e32 v4, 19, v5
	v_subrev_u32_e32 v8, 28, v7
	v_and_b32_e32 v4, 15, v4
	v_lshlrev_b32_sdwa v8, v8, v5 dst_sel:DWORD dst_unused:UNUSED_PAD src0_sel:DWORD src1_sel:WORD_1
	v_bfe_u32 v6, v5, 19, 4
	v_sub_u32_e32 v7, 29, v7
	v_and_b32_e32 v8, 7, v8
	v_cmp_eq_u16_e32 vcc, 0, v4
	v_cndmask_b32_e32 v3, v3, v8, vcc
	v_cndmask_b32_e32 v4, v6, v7, vcc
	v_lshlrev_b32_e32 v6, 8, v5
	v_mov_b32_e32 v7, 0x3b800000
	v_lshlrev_b32_e32 v3, 20, v3
	v_and_b32_e32 v6, 0x80000000, v6
	v_lshl_add_u32 v4, v4, 23, v7
	v_or3_b32 v4, v6, v4, v3
.LBB35_1784:
	s_or_b64 exec, exec, s[6:7]
	s_nop 0
	v_mfma_f32_16x16x4f32 a[0:3], v2, v4, a[0:3]
	s_movk_i32 s4, 0x7f
	v_cmp_gt_i16_sdwa s[6:7], v9, s4 src0_sel:BYTE_3 src1_sel:DWORD
	s_mov_b64 s[4:5], 0
                                        ; implicit-def: $sgpr10
	s_and_saveexec_b64 s[8:9], s[6:7]
	s_xor_b64 s[6:7], exec, s[8:9]
	s_cbranch_execnz .LBB35_3833
; %bb.1785:
	s_or_saveexec_b64 s[6:7], s[6:7]
	v_mov_b32_e32 v2, s10
	s_xor_b64 exec, exec, s[6:7]
	s_cbranch_execnz .LBB35_3836
.LBB35_1786:
	s_or_b64 exec, exec, s[6:7]
	s_and_saveexec_b64 s[6:7], s[4:5]
	s_cbranch_execz .LBB35_1788
.LBB35_1787:
	v_bfe_u32 v2, v9, 24, 3
	v_ffbh_u32_e32 v7, v2
	v_min_u32_e32 v7, 32, v7
	v_lshrrev_b32_e32 v4, 27, v9
	v_subrev_u32_e32 v8, 28, v7
	v_and_b32_e32 v4, 15, v4
	v_lshlrev_b32_sdwa v8, v8, v9 dst_sel:DWORD dst_unused:UNUSED_PAD src0_sel:DWORD src1_sel:BYTE_3
	v_bfe_u32 v6, v9, 27, 4
	v_sub_u32_e32 v7, 29, v7
	v_and_b32_e32 v8, 7, v8
	v_cmp_eq_u16_e32 vcc, 0, v4
	v_cndmask_b32_e32 v2, v2, v8, vcc
	v_cndmask_b32_e32 v4, v6, v7, vcc
	v_mov_b32_e32 v6, 0x3b800000
	v_and_b32_e32 v3, 0x80000000, v9
	v_lshlrev_b32_e32 v2, 20, v2
	v_lshl_add_u32 v4, v4, 23, v6
	v_or3_b32 v2, v3, v4, v2
.LBB35_1788:
	s_or_b64 exec, exec, s[6:7]
	s_movk_i32 s4, 0x7f
	v_cmp_gt_i16_sdwa s[6:7], v5, s4 src0_sel:BYTE_3 src1_sel:DWORD
	s_mov_b64 s[4:5], 0
                                        ; implicit-def: $sgpr10
	s_and_saveexec_b64 s[8:9], s[6:7]
	s_xor_b64 s[6:7], exec, s[8:9]
	s_cbranch_execnz .LBB35_3837
; %bb.1789:
	s_or_saveexec_b64 s[6:7], s[6:7]
	v_mov_b32_e32 v3, s10
	s_xor_b64 exec, exec, s[6:7]
	s_cbranch_execnz .LBB35_3840
.LBB35_1790:
	s_or_b64 exec, exec, s[6:7]
	s_and_saveexec_b64 s[6:7], s[4:5]
	s_cbranch_execz .LBB35_1792
.LBB35_1791:
	v_bfe_u32 v3, v5, 24, 3
	v_ffbh_u32_e32 v8, v3
	v_min_u32_e32 v8, 32, v8
	v_lshrrev_b32_e32 v6, 27, v5
	v_subrev_u32_e32 v9, 28, v8
	v_and_b32_e32 v4, 0x80000000, v5
	v_and_b32_e32 v6, 15, v6
	v_bfe_u32 v7, v5, 27, 4
	v_lshlrev_b32_sdwa v5, v9, v5 dst_sel:DWORD dst_unused:UNUSED_PAD src0_sel:DWORD src1_sel:BYTE_3
	v_sub_u32_e32 v8, 29, v8
	v_and_b32_e32 v5, 7, v5
	v_cmp_eq_u16_e32 vcc, 0, v6
	v_cndmask_b32_e32 v3, v3, v5, vcc
	v_cndmask_b32_e32 v5, v7, v8, vcc
	v_mov_b32_e32 v6, 0x3b800000
	v_lshlrev_b32_e32 v3, 20, v3
	v_lshl_add_u32 v5, v5, 23, v6
	v_or3_b32 v3, v4, v5, v3
.LBB35_1792:
	s_or_b64 exec, exec, s[6:7]
	s_nop 0
	v_mfma_f32_16x16x4f32 a[0:3], v2, v3, a[0:3]
	s_movk_i32 s4, 0x7f
                                        ; implicit-def: $sgpr10
	s_nop 7
	s_nop 1
	flat_store_dwordx4 v[18:19], a[0:3] offset:992
	flat_load_dwordx4 v[18:21], v[0:1] offset:16
	s_nop 0
	flat_load_dwordx2 v[16:17], v[0:1] offset:32
	s_waitcnt vmcnt(0) lgkmcnt(0)
	flat_load_dwordx4 v[12:15], v[18:19] offset:32
	flat_load_dwordx4 v[4:7], v[18:19] offset:48
	;; [unrolled: 1-line block ×4, first 2 shown]
	s_waitcnt vmcnt(0) lgkmcnt(0)
	v_cmp_gt_i16_sdwa s[6:7], v12, s4 src0_sel:BYTE_0 src1_sel:DWORD
	s_mov_b64 s[4:5], 0
	s_and_saveexec_b64 s[8:9], s[6:7]
	s_xor_b64 s[6:7], exec, s[8:9]
	s_cbranch_execnz .LBB35_3841
; %bb.1793:
	s_or_saveexec_b64 s[6:7], s[6:7]
	v_mov_b32_e32 v18, s10
	s_xor_b64 exec, exec, s[6:7]
	s_cbranch_execnz .LBB35_3844
.LBB35_1794:
	s_or_b64 exec, exec, s[6:7]
	s_and_saveexec_b64 s[6:7], s[4:5]
	s_cbranch_execz .LBB35_1796
.LBB35_1795:
	v_and_b32_e32 v18, 7, v12
	v_ffbh_u32_e32 v20, v18
	v_min_u32_e32 v20, 32, v20
	v_lshrrev_b16_e32 v19, 3, v12
	v_subrev_u32_e32 v21, 28, v20
	v_and_b32_e32 v19, 15, v19
	v_lshlrev_b32_e32 v21, v21, v12
	v_sub_u32_e32 v20, 29, v20
	v_and_b32_e32 v21, 7, v21
	v_cmp_eq_u16_e32 vcc, 0, v19
	v_cndmask_b32_e32 v18, v18, v21, vcc
	v_cndmask_b32_e32 v19, v19, v20, vcc
	v_lshlrev_b32_e32 v20, 24, v12
	v_mov_b32_e32 v21, 0x3b800000
	v_lshlrev_b32_e32 v18, 20, v18
	v_and_b32_e32 v20, 0x80000000, v20
	v_lshl_add_u32 v19, v19, 23, v21
	v_or3_b32 v18, v20, v19, v18
.LBB35_1796:
	s_or_b64 exec, exec, s[6:7]
	s_movk_i32 s4, 0x7f
	v_cmp_gt_i16_sdwa s[6:7], v8, s4 src0_sel:BYTE_0 src1_sel:DWORD
	s_mov_b64 s[4:5], 0
                                        ; implicit-def: $sgpr10
	s_and_saveexec_b64 s[8:9], s[6:7]
	s_xor_b64 s[6:7], exec, s[8:9]
	s_cbranch_execnz .LBB35_3845
; %bb.1797:
	s_or_saveexec_b64 s[6:7], s[6:7]
	v_mov_b32_e32 v19, s10
	s_xor_b64 exec, exec, s[6:7]
	s_cbranch_execnz .LBB35_3848
.LBB35_1798:
	s_or_b64 exec, exec, s[6:7]
	s_and_saveexec_b64 s[6:7], s[4:5]
	s_cbranch_execz .LBB35_1800
.LBB35_1799:
	v_and_b32_e32 v19, 7, v8
	v_ffbh_u32_e32 v21, v19
	v_min_u32_e32 v21, 32, v21
	v_lshrrev_b16_e32 v20, 3, v8
	v_subrev_u32_e32 v22, 28, v21
	v_and_b32_e32 v20, 15, v20
	v_lshlrev_b32_e32 v22, v22, v8
	v_sub_u32_e32 v21, 29, v21
	v_and_b32_e32 v22, 7, v22
	v_cmp_eq_u16_e32 vcc, 0, v20
	v_cndmask_b32_e32 v19, v19, v22, vcc
	v_cndmask_b32_e32 v20, v20, v21, vcc
	v_lshlrev_b32_e32 v21, 24, v8
	v_mov_b32_e32 v22, 0x3b800000
	v_lshlrev_b32_e32 v19, 20, v19
	v_and_b32_e32 v21, 0x80000000, v21
	v_lshl_add_u32 v20, v20, 23, v22
	v_or3_b32 v19, v21, v20, v19
.LBB35_1800:
	s_or_b64 exec, exec, s[6:7]
	flat_load_dwordx4 a[0:3], v[16:17] offset:1008
	s_movk_i32 s4, 0x7f
                                        ; implicit-def: $sgpr10
	s_waitcnt vmcnt(0) lgkmcnt(0)
	v_mfma_f32_16x16x4f32 a[0:3], v18, v19, a[0:3]
	v_lshrrev_b32_e32 v19, 8, v12
	v_cmp_gt_i16_sdwa s[6:7], v19, s4 src0_sel:BYTE_0 src1_sel:DWORD
	s_mov_b64 s[4:5], 0
	s_and_saveexec_b64 s[8:9], s[6:7]
	s_xor_b64 s[6:7], exec, s[8:9]
	s_cbranch_execnz .LBB35_3849
; %bb.1801:
	s_or_saveexec_b64 s[6:7], s[6:7]
	v_mov_b32_e32 v18, s10
	s_xor_b64 exec, exec, s[6:7]
	s_cbranch_execnz .LBB35_3852
.LBB35_1802:
	s_or_b64 exec, exec, s[6:7]
	s_and_saveexec_b64 s[6:7], s[4:5]
	s_cbranch_execz .LBB35_1804
.LBB35_1803:
	v_bfe_u32 v18, v12, 8, 3
	v_ffbh_u32_e32 v21, v18
	v_min_u32_e32 v21, 32, v21
	v_lshrrev_b16_e32 v20, 3, v19
	v_subrev_u32_e32 v22, 28, v21
	v_and_b32_e32 v20, 15, v20
	v_lshlrev_b32_e32 v19, v22, v19
	v_sub_u32_e32 v21, 29, v21
	v_and_b32_e32 v19, 7, v19
	v_cmp_eq_u16_e32 vcc, 0, v20
	v_cndmask_b32_e32 v18, v18, v19, vcc
	v_cndmask_b32_e32 v19, v20, v21, vcc
	v_lshlrev_b32_e32 v20, 16, v12
	v_mov_b32_e32 v21, 0x3b800000
	v_lshlrev_b32_e32 v18, 20, v18
	v_and_b32_e32 v20, 0x80000000, v20
	v_lshl_add_u32 v19, v19, 23, v21
	v_or3_b32 v18, v20, v19, v18
.LBB35_1804:
	s_or_b64 exec, exec, s[6:7]
	v_lshrrev_b32_e32 v19, 8, v8
	s_movk_i32 s4, 0x7f
	v_cmp_gt_i16_sdwa s[6:7], v19, s4 src0_sel:BYTE_0 src1_sel:DWORD
	s_mov_b64 s[4:5], 0
                                        ; implicit-def: $sgpr10
	s_and_saveexec_b64 s[8:9], s[6:7]
	s_xor_b64 s[6:7], exec, s[8:9]
	s_cbranch_execnz .LBB35_3853
; %bb.1805:
	s_or_saveexec_b64 s[6:7], s[6:7]
	v_mov_b32_e32 v20, s10
	s_xor_b64 exec, exec, s[6:7]
	s_cbranch_execnz .LBB35_3856
.LBB35_1806:
	s_or_b64 exec, exec, s[6:7]
	s_and_saveexec_b64 s[6:7], s[4:5]
	s_cbranch_execz .LBB35_1808
.LBB35_1807:
	v_bfe_u32 v20, v8, 8, 3
	v_ffbh_u32_e32 v22, v20
	v_min_u32_e32 v22, 32, v22
	v_lshrrev_b16_e32 v21, 3, v19
	v_subrev_u32_e32 v23, 28, v22
	v_and_b32_e32 v21, 15, v21
	v_lshlrev_b32_e32 v19, v23, v19
	v_sub_u32_e32 v22, 29, v22
	v_and_b32_e32 v19, 7, v19
	v_cmp_eq_u16_e32 vcc, 0, v21
	v_cndmask_b32_e32 v19, v20, v19, vcc
	v_cndmask_b32_e32 v20, v21, v22, vcc
	v_lshlrev_b32_e32 v21, 16, v8
	v_mov_b32_e32 v22, 0x3b800000
	v_lshlrev_b32_e32 v19, 20, v19
	v_and_b32_e32 v21, 0x80000000, v21
	v_lshl_add_u32 v20, v20, 23, v22
	v_or3_b32 v20, v21, v20, v19
.LBB35_1808:
	s_or_b64 exec, exec, s[6:7]
	s_nop 0
	v_mfma_f32_16x16x4f32 a[0:3], v18, v20, a[0:3]
	s_movk_i32 s4, 0xff
	v_and_b32_sdwa v19, v12, s4 dst_sel:DWORD dst_unused:UNUSED_PAD src0_sel:WORD_1 src1_sel:DWORD
	s_movk_i32 s4, 0x7f
	v_cmp_lt_i16_e32 vcc, s4, v19
	s_mov_b64 s[4:5], 0
                                        ; implicit-def: $sgpr10
	s_and_saveexec_b64 s[6:7], vcc
	s_xor_b64 s[6:7], exec, s[6:7]
	s_cbranch_execnz .LBB35_3857
; %bb.1809:
	s_or_saveexec_b64 s[6:7], s[6:7]
	v_mov_b32_e32 v18, s10
	s_xor_b64 exec, exec, s[6:7]
	s_cbranch_execnz .LBB35_3860
.LBB35_1810:
	s_or_b64 exec, exec, s[6:7]
	s_and_saveexec_b64 s[6:7], s[4:5]
	s_cbranch_execz .LBB35_1812
.LBB35_1811:
	v_bfe_u32 v18, v12, 16, 3
	v_ffbh_u32_e32 v21, v18
	v_min_u32_e32 v21, 32, v21
	v_lshrrev_b32_e32 v19, 19, v12
	v_subrev_u32_e32 v22, 28, v21
	v_and_b32_e32 v19, 15, v19
	v_lshlrev_b32_sdwa v22, v22, v12 dst_sel:DWORD dst_unused:UNUSED_PAD src0_sel:DWORD src1_sel:WORD_1
	v_bfe_u32 v20, v12, 19, 4
	v_sub_u32_e32 v21, 29, v21
	v_and_b32_e32 v22, 7, v22
	v_cmp_eq_u16_e32 vcc, 0, v19
	v_cndmask_b32_e32 v18, v18, v22, vcc
	v_cndmask_b32_e32 v19, v20, v21, vcc
	v_lshlrev_b32_e32 v20, 8, v12
	v_mov_b32_e32 v21, 0x3b800000
	v_lshlrev_b32_e32 v18, 20, v18
	v_and_b32_e32 v20, 0x80000000, v20
	v_lshl_add_u32 v19, v19, 23, v21
	v_or3_b32 v18, v20, v19, v18
.LBB35_1812:
	s_or_b64 exec, exec, s[6:7]
	s_movk_i32 s4, 0xff
	v_and_b32_sdwa v19, v8, s4 dst_sel:DWORD dst_unused:UNUSED_PAD src0_sel:WORD_1 src1_sel:DWORD
	s_movk_i32 s4, 0x7f
	v_cmp_lt_i16_e32 vcc, s4, v19
	s_mov_b64 s[4:5], 0
                                        ; implicit-def: $sgpr10
	s_and_saveexec_b64 s[6:7], vcc
	s_xor_b64 s[6:7], exec, s[6:7]
	s_cbranch_execnz .LBB35_3861
; %bb.1813:
	s_or_saveexec_b64 s[6:7], s[6:7]
	v_mov_b32_e32 v20, s10
	s_xor_b64 exec, exec, s[6:7]
	s_cbranch_execnz .LBB35_3864
.LBB35_1814:
	s_or_b64 exec, exec, s[6:7]
	s_and_saveexec_b64 s[6:7], s[4:5]
	s_cbranch_execz .LBB35_1816
.LBB35_1815:
	v_bfe_u32 v19, v8, 16, 3
	v_ffbh_u32_e32 v22, v19
	v_min_u32_e32 v22, 32, v22
	v_lshrrev_b32_e32 v20, 19, v8
	v_subrev_u32_e32 v23, 28, v22
	v_and_b32_e32 v20, 15, v20
	v_lshlrev_b32_sdwa v23, v23, v8 dst_sel:DWORD dst_unused:UNUSED_PAD src0_sel:DWORD src1_sel:WORD_1
	v_bfe_u32 v21, v8, 19, 4
	v_sub_u32_e32 v22, 29, v22
	v_and_b32_e32 v23, 7, v23
	v_cmp_eq_u16_e32 vcc, 0, v20
	v_cndmask_b32_e32 v19, v19, v23, vcc
	v_cndmask_b32_e32 v20, v21, v22, vcc
	v_lshlrev_b32_e32 v21, 8, v8
	v_mov_b32_e32 v22, 0x3b800000
	v_lshlrev_b32_e32 v19, 20, v19
	v_and_b32_e32 v21, 0x80000000, v21
	v_lshl_add_u32 v20, v20, 23, v22
	v_or3_b32 v20, v21, v20, v19
.LBB35_1816:
	s_or_b64 exec, exec, s[6:7]
	s_nop 0
	v_mfma_f32_16x16x4f32 a[0:3], v18, v20, a[0:3]
	s_movk_i32 s4, 0x7f
	v_cmp_gt_i16_sdwa s[6:7], v12, s4 src0_sel:BYTE_3 src1_sel:DWORD
	s_mov_b64 s[4:5], 0
                                        ; implicit-def: $sgpr10
	s_and_saveexec_b64 s[8:9], s[6:7]
	s_xor_b64 s[6:7], exec, s[8:9]
	s_cbranch_execnz .LBB35_3865
; %bb.1817:
	s_or_saveexec_b64 s[6:7], s[6:7]
	v_mov_b32_e32 v18, s10
	s_xor_b64 exec, exec, s[6:7]
	s_cbranch_execnz .LBB35_3868
.LBB35_1818:
	s_or_b64 exec, exec, s[6:7]
	s_and_saveexec_b64 s[6:7], s[4:5]
	s_cbranch_execz .LBB35_1820
.LBB35_1819:
	v_bfe_u32 v18, v12, 24, 3
	v_ffbh_u32_e32 v22, v18
	v_min_u32_e32 v22, 32, v22
	v_lshrrev_b32_e32 v20, 27, v12
	v_subrev_u32_e32 v23, 28, v22
	v_and_b32_e32 v19, 0x80000000, v12
	v_and_b32_e32 v20, 15, v20
	v_bfe_u32 v21, v12, 27, 4
	v_lshlrev_b32_sdwa v12, v23, v12 dst_sel:DWORD dst_unused:UNUSED_PAD src0_sel:DWORD src1_sel:BYTE_3
	v_sub_u32_e32 v22, 29, v22
	v_and_b32_e32 v12, 7, v12
	v_cmp_eq_u16_e32 vcc, 0, v20
	v_cndmask_b32_e32 v12, v18, v12, vcc
	v_cndmask_b32_e32 v18, v21, v22, vcc
	v_mov_b32_e32 v20, 0x3b800000
	v_lshlrev_b32_e32 v12, 20, v12
	v_lshl_add_u32 v18, v18, 23, v20
	v_or3_b32 v18, v19, v18, v12
.LBB35_1820:
	s_or_b64 exec, exec, s[6:7]
	s_movk_i32 s4, 0x7f
	v_cmp_gt_i16_sdwa s[6:7], v8, s4 src0_sel:BYTE_3 src1_sel:DWORD
	s_mov_b64 s[4:5], 0
                                        ; implicit-def: $sgpr10
	s_and_saveexec_b64 s[8:9], s[6:7]
	s_xor_b64 s[6:7], exec, s[8:9]
	s_cbranch_execnz .LBB35_3869
; %bb.1821:
	s_or_saveexec_b64 s[6:7], s[6:7]
	v_mov_b32_e32 v12, s10
	s_xor_b64 exec, exec, s[6:7]
	s_cbranch_execnz .LBB35_3872
.LBB35_1822:
	s_or_b64 exec, exec, s[6:7]
	s_and_saveexec_b64 s[6:7], s[4:5]
	s_cbranch_execz .LBB35_1824
.LBB35_1823:
	v_bfe_u32 v12, v8, 24, 3
	v_ffbh_u32_e32 v22, v12
	v_min_u32_e32 v22, 32, v22
	v_lshrrev_b32_e32 v20, 27, v8
	v_subrev_u32_e32 v23, 28, v22
	v_and_b32_e32 v19, 0x80000000, v8
	v_and_b32_e32 v20, 15, v20
	v_bfe_u32 v21, v8, 27, 4
	v_lshlrev_b32_sdwa v8, v23, v8 dst_sel:DWORD dst_unused:UNUSED_PAD src0_sel:DWORD src1_sel:BYTE_3
	v_sub_u32_e32 v22, 29, v22
	v_and_b32_e32 v8, 7, v8
	v_cmp_eq_u16_e32 vcc, 0, v20
	v_cndmask_b32_e32 v8, v12, v8, vcc
	v_cndmask_b32_e32 v12, v21, v22, vcc
	v_mov_b32_e32 v20, 0x3b800000
	v_lshlrev_b32_e32 v8, 20, v8
	v_lshl_add_u32 v12, v12, 23, v20
	v_or3_b32 v12, v19, v12, v8
.LBB35_1824:
	s_or_b64 exec, exec, s[6:7]
	s_nop 0
	v_mfma_f32_16x16x4f32 a[0:3], v18, v12, a[0:3]
	s_movk_i32 s4, 0x7f
	v_cmp_gt_i16_sdwa s[6:7], v13, s4 src0_sel:BYTE_0 src1_sel:DWORD
	s_mov_b64 s[4:5], 0
                                        ; implicit-def: $sgpr10
	s_and_saveexec_b64 s[8:9], s[6:7]
	s_xor_b64 s[6:7], exec, s[8:9]
	s_cbranch_execnz .LBB35_3873
; %bb.1825:
	s_or_saveexec_b64 s[6:7], s[6:7]
	v_mov_b32_e32 v8, s10
	s_xor_b64 exec, exec, s[6:7]
	s_cbranch_execnz .LBB35_3876
.LBB35_1826:
	s_or_b64 exec, exec, s[6:7]
	s_and_saveexec_b64 s[6:7], s[4:5]
	s_cbranch_execz .LBB35_1828
.LBB35_1827:
	v_and_b32_e32 v8, 7, v13
	v_ffbh_u32_e32 v18, v8
	v_min_u32_e32 v18, 32, v18
	v_lshrrev_b16_e32 v12, 3, v13
	v_subrev_u32_e32 v19, 28, v18
	v_and_b32_e32 v12, 15, v12
	v_lshlrev_b32_e32 v19, v19, v13
	v_sub_u32_e32 v18, 29, v18
	v_and_b32_e32 v19, 7, v19
	v_cmp_eq_u16_e32 vcc, 0, v12
	v_cndmask_b32_e32 v8, v8, v19, vcc
	v_cndmask_b32_e32 v12, v12, v18, vcc
	v_lshlrev_b32_e32 v18, 24, v13
	v_mov_b32_e32 v19, 0x3b800000
	v_lshlrev_b32_e32 v8, 20, v8
	v_and_b32_e32 v18, 0x80000000, v18
	v_lshl_add_u32 v12, v12, 23, v19
	v_or3_b32 v8, v18, v12, v8
.LBB35_1828:
	s_or_b64 exec, exec, s[6:7]
	s_movk_i32 s4, 0x7f
	v_cmp_gt_i16_sdwa s[6:7], v9, s4 src0_sel:BYTE_0 src1_sel:DWORD
	s_mov_b64 s[4:5], 0
                                        ; implicit-def: $sgpr10
	s_and_saveexec_b64 s[8:9], s[6:7]
	s_xor_b64 s[6:7], exec, s[8:9]
	s_cbranch_execnz .LBB35_3877
; %bb.1829:
	s_or_saveexec_b64 s[6:7], s[6:7]
	v_mov_b32_e32 v12, s10
	s_xor_b64 exec, exec, s[6:7]
	s_cbranch_execnz .LBB35_3880
.LBB35_1830:
	s_or_b64 exec, exec, s[6:7]
	s_and_saveexec_b64 s[6:7], s[4:5]
	s_cbranch_execz .LBB35_1832
.LBB35_1831:
	v_and_b32_e32 v12, 7, v9
	v_ffbh_u32_e32 v19, v12
	v_min_u32_e32 v19, 32, v19
	v_lshrrev_b16_e32 v18, 3, v9
	v_subrev_u32_e32 v20, 28, v19
	v_and_b32_e32 v18, 15, v18
	v_lshlrev_b32_e32 v20, v20, v9
	v_sub_u32_e32 v19, 29, v19
	v_and_b32_e32 v20, 7, v20
	v_cmp_eq_u16_e32 vcc, 0, v18
	v_cndmask_b32_e32 v12, v12, v20, vcc
	v_cndmask_b32_e32 v18, v18, v19, vcc
	v_lshlrev_b32_e32 v19, 24, v9
	v_mov_b32_e32 v20, 0x3b800000
	v_lshlrev_b32_e32 v12, 20, v12
	v_and_b32_e32 v19, 0x80000000, v19
	v_lshl_add_u32 v18, v18, 23, v20
	v_or3_b32 v12, v19, v18, v12
.LBB35_1832:
	s_or_b64 exec, exec, s[6:7]
	s_nop 0
	v_mfma_f32_16x16x4f32 a[0:3], v8, v12, a[0:3]
	v_lshrrev_b32_e32 v12, 8, v13
	s_movk_i32 s4, 0x7f
	v_cmp_gt_i16_sdwa s[6:7], v12, s4 src0_sel:BYTE_0 src1_sel:DWORD
	s_mov_b64 s[4:5], 0
                                        ; implicit-def: $sgpr10
	s_and_saveexec_b64 s[8:9], s[6:7]
	s_xor_b64 s[6:7], exec, s[8:9]
	s_cbranch_execnz .LBB35_3881
; %bb.1833:
	s_or_saveexec_b64 s[6:7], s[6:7]
	v_mov_b32_e32 v8, s10
	s_xor_b64 exec, exec, s[6:7]
	s_cbranch_execnz .LBB35_3884
.LBB35_1834:
	s_or_b64 exec, exec, s[6:7]
	s_and_saveexec_b64 s[6:7], s[4:5]
	s_cbranch_execz .LBB35_1836
.LBB35_1835:
	v_bfe_u32 v8, v13, 8, 3
	v_ffbh_u32_e32 v19, v8
	v_min_u32_e32 v19, 32, v19
	v_lshrrev_b16_e32 v18, 3, v12
	v_subrev_u32_e32 v20, 28, v19
	v_and_b32_e32 v18, 15, v18
	v_lshlrev_b32_e32 v12, v20, v12
	v_sub_u32_e32 v19, 29, v19
	v_and_b32_e32 v12, 7, v12
	v_cmp_eq_u16_e32 vcc, 0, v18
	v_cndmask_b32_e32 v8, v8, v12, vcc
	v_cndmask_b32_e32 v12, v18, v19, vcc
	v_lshlrev_b32_e32 v18, 16, v13
	v_mov_b32_e32 v19, 0x3b800000
	v_lshlrev_b32_e32 v8, 20, v8
	v_and_b32_e32 v18, 0x80000000, v18
	v_lshl_add_u32 v12, v12, 23, v19
	v_or3_b32 v8, v18, v12, v8
.LBB35_1836:
	s_or_b64 exec, exec, s[6:7]
	v_lshrrev_b32_e32 v12, 8, v9
	s_movk_i32 s4, 0x7f
	v_cmp_gt_i16_sdwa s[6:7], v12, s4 src0_sel:BYTE_0 src1_sel:DWORD
	s_mov_b64 s[4:5], 0
                                        ; implicit-def: $sgpr10
	s_and_saveexec_b64 s[8:9], s[6:7]
	s_xor_b64 s[6:7], exec, s[8:9]
	s_cbranch_execnz .LBB35_3885
; %bb.1837:
	s_or_saveexec_b64 s[6:7], s[6:7]
	v_mov_b32_e32 v18, s10
	s_xor_b64 exec, exec, s[6:7]
	s_cbranch_execnz .LBB35_3888
.LBB35_1838:
	s_or_b64 exec, exec, s[6:7]
	s_and_saveexec_b64 s[6:7], s[4:5]
	s_cbranch_execz .LBB35_1840
.LBB35_1839:
	v_bfe_u32 v18, v9, 8, 3
	v_ffbh_u32_e32 v20, v18
	v_min_u32_e32 v20, 32, v20
	v_lshrrev_b16_e32 v19, 3, v12
	v_subrev_u32_e32 v21, 28, v20
	v_and_b32_e32 v19, 15, v19
	v_lshlrev_b32_e32 v12, v21, v12
	v_sub_u32_e32 v20, 29, v20
	v_and_b32_e32 v12, 7, v12
	v_cmp_eq_u16_e32 vcc, 0, v19
	v_cndmask_b32_e32 v12, v18, v12, vcc
	v_cndmask_b32_e32 v18, v19, v20, vcc
	v_lshlrev_b32_e32 v19, 16, v9
	v_mov_b32_e32 v20, 0x3b800000
	v_lshlrev_b32_e32 v12, 20, v12
	v_and_b32_e32 v19, 0x80000000, v19
	v_lshl_add_u32 v18, v18, 23, v20
	v_or3_b32 v18, v19, v18, v12
.LBB35_1840:
	s_or_b64 exec, exec, s[6:7]
	s_nop 0
	v_mfma_f32_16x16x4f32 a[0:3], v8, v18, a[0:3]
	s_movk_i32 s4, 0xff
	v_and_b32_sdwa v12, v13, s4 dst_sel:DWORD dst_unused:UNUSED_PAD src0_sel:WORD_1 src1_sel:DWORD
	s_movk_i32 s4, 0x7f
	v_cmp_lt_i16_e32 vcc, s4, v12
	s_mov_b64 s[4:5], 0
                                        ; implicit-def: $sgpr10
	s_and_saveexec_b64 s[6:7], vcc
	s_xor_b64 s[6:7], exec, s[6:7]
	s_cbranch_execnz .LBB35_3889
; %bb.1841:
	s_or_saveexec_b64 s[6:7], s[6:7]
	v_mov_b32_e32 v8, s10
	s_xor_b64 exec, exec, s[6:7]
	s_cbranch_execnz .LBB35_3892
.LBB35_1842:
	s_or_b64 exec, exec, s[6:7]
	s_and_saveexec_b64 s[6:7], s[4:5]
	s_cbranch_execz .LBB35_1844
.LBB35_1843:
	v_bfe_u32 v8, v13, 16, 3
	v_ffbh_u32_e32 v19, v8
	v_min_u32_e32 v19, 32, v19
	v_lshrrev_b32_e32 v12, 19, v13
	v_subrev_u32_e32 v20, 28, v19
	v_and_b32_e32 v12, 15, v12
	v_lshlrev_b32_sdwa v20, v20, v13 dst_sel:DWORD dst_unused:UNUSED_PAD src0_sel:DWORD src1_sel:WORD_1
	v_bfe_u32 v18, v13, 19, 4
	v_sub_u32_e32 v19, 29, v19
	v_and_b32_e32 v20, 7, v20
	v_cmp_eq_u16_e32 vcc, 0, v12
	v_cndmask_b32_e32 v8, v8, v20, vcc
	v_cndmask_b32_e32 v12, v18, v19, vcc
	v_lshlrev_b32_e32 v18, 8, v13
	v_mov_b32_e32 v19, 0x3b800000
	v_lshlrev_b32_e32 v8, 20, v8
	v_and_b32_e32 v18, 0x80000000, v18
	v_lshl_add_u32 v12, v12, 23, v19
	v_or3_b32 v8, v18, v12, v8
.LBB35_1844:
	s_or_b64 exec, exec, s[6:7]
	s_movk_i32 s4, 0xff
	v_and_b32_sdwa v12, v9, s4 dst_sel:DWORD dst_unused:UNUSED_PAD src0_sel:WORD_1 src1_sel:DWORD
	s_movk_i32 s4, 0x7f
	v_cmp_lt_i16_e32 vcc, s4, v12
	s_mov_b64 s[4:5], 0
                                        ; implicit-def: $sgpr10
	s_and_saveexec_b64 s[6:7], vcc
	s_xor_b64 s[6:7], exec, s[6:7]
	s_cbranch_execnz .LBB35_3893
; %bb.1845:
	s_or_saveexec_b64 s[6:7], s[6:7]
	v_mov_b32_e32 v18, s10
	s_xor_b64 exec, exec, s[6:7]
	s_cbranch_execnz .LBB35_3896
.LBB35_1846:
	s_or_b64 exec, exec, s[6:7]
	s_and_saveexec_b64 s[6:7], s[4:5]
	s_cbranch_execz .LBB35_1848
.LBB35_1847:
	v_bfe_u32 v12, v9, 16, 3
	v_ffbh_u32_e32 v20, v12
	v_min_u32_e32 v20, 32, v20
	v_lshrrev_b32_e32 v18, 19, v9
	v_subrev_u32_e32 v21, 28, v20
	v_and_b32_e32 v18, 15, v18
	v_lshlrev_b32_sdwa v21, v21, v9 dst_sel:DWORD dst_unused:UNUSED_PAD src0_sel:DWORD src1_sel:WORD_1
	v_bfe_u32 v19, v9, 19, 4
	v_sub_u32_e32 v20, 29, v20
	v_and_b32_e32 v21, 7, v21
	v_cmp_eq_u16_e32 vcc, 0, v18
	v_cndmask_b32_e32 v12, v12, v21, vcc
	v_cndmask_b32_e32 v18, v19, v20, vcc
	v_lshlrev_b32_e32 v19, 8, v9
	v_mov_b32_e32 v20, 0x3b800000
	v_lshlrev_b32_e32 v12, 20, v12
	v_and_b32_e32 v19, 0x80000000, v19
	v_lshl_add_u32 v18, v18, 23, v20
	v_or3_b32 v18, v19, v18, v12
.LBB35_1848:
	s_or_b64 exec, exec, s[6:7]
	s_nop 0
	v_mfma_f32_16x16x4f32 a[0:3], v8, v18, a[0:3]
	s_movk_i32 s4, 0x7f
	v_cmp_gt_i16_sdwa s[6:7], v13, s4 src0_sel:BYTE_3 src1_sel:DWORD
	s_mov_b64 s[4:5], 0
                                        ; implicit-def: $sgpr10
	s_and_saveexec_b64 s[8:9], s[6:7]
	s_xor_b64 s[6:7], exec, s[8:9]
	s_cbranch_execnz .LBB35_3897
; %bb.1849:
	s_or_saveexec_b64 s[6:7], s[6:7]
	v_mov_b32_e32 v8, s10
	s_xor_b64 exec, exec, s[6:7]
	s_cbranch_execnz .LBB35_3900
.LBB35_1850:
	s_or_b64 exec, exec, s[6:7]
	s_and_saveexec_b64 s[6:7], s[4:5]
	s_cbranch_execz .LBB35_1852
.LBB35_1851:
	v_bfe_u32 v8, v13, 24, 3
	v_ffbh_u32_e32 v20, v8
	v_min_u32_e32 v20, 32, v20
	v_lshrrev_b32_e32 v18, 27, v13
	v_subrev_u32_e32 v21, 28, v20
	v_and_b32_e32 v12, 0x80000000, v13
	v_and_b32_e32 v18, 15, v18
	v_bfe_u32 v19, v13, 27, 4
	v_lshlrev_b32_sdwa v13, v21, v13 dst_sel:DWORD dst_unused:UNUSED_PAD src0_sel:DWORD src1_sel:BYTE_3
	v_sub_u32_e32 v20, 29, v20
	v_and_b32_e32 v13, 7, v13
	v_cmp_eq_u16_e32 vcc, 0, v18
	v_cndmask_b32_e32 v8, v8, v13, vcc
	v_cndmask_b32_e32 v13, v19, v20, vcc
	v_mov_b32_e32 v18, 0x3b800000
	v_lshlrev_b32_e32 v8, 20, v8
	v_lshl_add_u32 v13, v13, 23, v18
	v_or3_b32 v8, v12, v13, v8
.LBB35_1852:
	s_or_b64 exec, exec, s[6:7]
	s_movk_i32 s4, 0x7f
	v_cmp_gt_i16_sdwa s[6:7], v9, s4 src0_sel:BYTE_3 src1_sel:DWORD
	s_mov_b64 s[4:5], 0
                                        ; implicit-def: $sgpr10
	s_and_saveexec_b64 s[8:9], s[6:7]
	s_xor_b64 s[6:7], exec, s[8:9]
	s_cbranch_execnz .LBB35_3901
; %bb.1853:
	s_or_saveexec_b64 s[6:7], s[6:7]
	v_mov_b32_e32 v12, s10
	s_xor_b64 exec, exec, s[6:7]
	s_cbranch_execnz .LBB35_3904
.LBB35_1854:
	s_or_b64 exec, exec, s[6:7]
	s_and_saveexec_b64 s[6:7], s[4:5]
	s_cbranch_execz .LBB35_1856
.LBB35_1855:
	v_bfe_u32 v12, v9, 24, 3
	v_ffbh_u32_e32 v20, v12
	v_min_u32_e32 v20, 32, v20
	v_lshrrev_b32_e32 v18, 27, v9
	v_subrev_u32_e32 v21, 28, v20
	v_and_b32_e32 v13, 0x80000000, v9
	v_and_b32_e32 v18, 15, v18
	v_bfe_u32 v19, v9, 27, 4
	v_lshlrev_b32_sdwa v9, v21, v9 dst_sel:DWORD dst_unused:UNUSED_PAD src0_sel:DWORD src1_sel:BYTE_3
	v_sub_u32_e32 v20, 29, v20
	v_and_b32_e32 v9, 7, v9
	v_cmp_eq_u16_e32 vcc, 0, v18
	v_cndmask_b32_e32 v9, v12, v9, vcc
	v_cndmask_b32_e32 v12, v19, v20, vcc
	v_mov_b32_e32 v18, 0x3b800000
	v_lshlrev_b32_e32 v9, 20, v9
	v_lshl_add_u32 v12, v12, 23, v18
	v_or3_b32 v12, v13, v12, v9
.LBB35_1856:
	s_or_b64 exec, exec, s[6:7]
	s_nop 0
	v_mfma_f32_16x16x4f32 a[0:3], v8, v12, a[0:3]
	s_movk_i32 s4, 0x7f
	v_cmp_gt_i16_sdwa s[6:7], v14, s4 src0_sel:BYTE_0 src1_sel:DWORD
	s_mov_b64 s[4:5], 0
                                        ; implicit-def: $sgpr10
	s_and_saveexec_b64 s[8:9], s[6:7]
	s_xor_b64 s[6:7], exec, s[8:9]
	s_cbranch_execnz .LBB35_3905
; %bb.1857:
	s_or_saveexec_b64 s[6:7], s[6:7]
	v_mov_b32_e32 v8, s10
	s_xor_b64 exec, exec, s[6:7]
	s_cbranch_execnz .LBB35_3908
.LBB35_1858:
	s_or_b64 exec, exec, s[6:7]
	s_and_saveexec_b64 s[6:7], s[4:5]
	s_cbranch_execz .LBB35_1860
.LBB35_1859:
	v_and_b32_e32 v8, 7, v14
	v_ffbh_u32_e32 v12, v8
	v_min_u32_e32 v12, 32, v12
	v_lshrrev_b16_e32 v9, 3, v14
	v_subrev_u32_e32 v13, 28, v12
	v_and_b32_e32 v9, 15, v9
	v_lshlrev_b32_e32 v13, v13, v14
	v_sub_u32_e32 v12, 29, v12
	v_and_b32_e32 v13, 7, v13
	v_cmp_eq_u16_e32 vcc, 0, v9
	v_cndmask_b32_e32 v8, v8, v13, vcc
	v_cndmask_b32_e32 v9, v9, v12, vcc
	v_lshlrev_b32_e32 v12, 24, v14
	v_mov_b32_e32 v13, 0x3b800000
	v_lshlrev_b32_e32 v8, 20, v8
	v_and_b32_e32 v12, 0x80000000, v12
	v_lshl_add_u32 v9, v9, 23, v13
	v_or3_b32 v8, v12, v9, v8
.LBB35_1860:
	s_or_b64 exec, exec, s[6:7]
	s_movk_i32 s4, 0x7f
	v_cmp_gt_i16_sdwa s[6:7], v10, s4 src0_sel:BYTE_0 src1_sel:DWORD
	s_mov_b64 s[4:5], 0
                                        ; implicit-def: $sgpr10
	s_and_saveexec_b64 s[8:9], s[6:7]
	s_xor_b64 s[6:7], exec, s[8:9]
	s_cbranch_execnz .LBB35_3909
; %bb.1861:
	s_or_saveexec_b64 s[6:7], s[6:7]
	v_mov_b32_e32 v9, s10
	s_xor_b64 exec, exec, s[6:7]
	s_cbranch_execnz .LBB35_3912
.LBB35_1862:
	s_or_b64 exec, exec, s[6:7]
	s_and_saveexec_b64 s[6:7], s[4:5]
	s_cbranch_execz .LBB35_1864
.LBB35_1863:
	v_and_b32_e32 v9, 7, v10
	v_ffbh_u32_e32 v13, v9
	v_min_u32_e32 v13, 32, v13
	v_lshrrev_b16_e32 v12, 3, v10
	v_subrev_u32_e32 v18, 28, v13
	v_and_b32_e32 v12, 15, v12
	v_lshlrev_b32_e32 v18, v18, v10
	v_sub_u32_e32 v13, 29, v13
	v_and_b32_e32 v18, 7, v18
	v_cmp_eq_u16_e32 vcc, 0, v12
	v_cndmask_b32_e32 v9, v9, v18, vcc
	v_cndmask_b32_e32 v12, v12, v13, vcc
	v_lshlrev_b32_e32 v13, 24, v10
	v_mov_b32_e32 v18, 0x3b800000
	v_lshlrev_b32_e32 v9, 20, v9
	v_and_b32_e32 v13, 0x80000000, v13
	v_lshl_add_u32 v12, v12, 23, v18
	v_or3_b32 v9, v13, v12, v9
.LBB35_1864:
	s_or_b64 exec, exec, s[6:7]
	s_nop 0
	v_mfma_f32_16x16x4f32 a[0:3], v8, v9, a[0:3]
	v_lshrrev_b32_e32 v9, 8, v14
	s_movk_i32 s4, 0x7f
	v_cmp_gt_i16_sdwa s[6:7], v9, s4 src0_sel:BYTE_0 src1_sel:DWORD
	s_mov_b64 s[4:5], 0
                                        ; implicit-def: $sgpr10
	s_and_saveexec_b64 s[8:9], s[6:7]
	s_xor_b64 s[6:7], exec, s[8:9]
	s_cbranch_execnz .LBB35_3913
; %bb.1865:
	s_or_saveexec_b64 s[6:7], s[6:7]
	v_mov_b32_e32 v8, s10
	s_xor_b64 exec, exec, s[6:7]
	s_cbranch_execnz .LBB35_3916
.LBB35_1866:
	s_or_b64 exec, exec, s[6:7]
	s_and_saveexec_b64 s[6:7], s[4:5]
	s_cbranch_execz .LBB35_1868
.LBB35_1867:
	v_bfe_u32 v8, v14, 8, 3
	v_ffbh_u32_e32 v13, v8
	v_min_u32_e32 v13, 32, v13
	v_lshrrev_b16_e32 v12, 3, v9
	v_subrev_u32_e32 v18, 28, v13
	v_and_b32_e32 v12, 15, v12
	v_lshlrev_b32_e32 v9, v18, v9
	v_sub_u32_e32 v13, 29, v13
	v_and_b32_e32 v9, 7, v9
	v_cmp_eq_u16_e32 vcc, 0, v12
	v_cndmask_b32_e32 v8, v8, v9, vcc
	v_cndmask_b32_e32 v9, v12, v13, vcc
	v_lshlrev_b32_e32 v12, 16, v14
	v_mov_b32_e32 v13, 0x3b800000
	v_lshlrev_b32_e32 v8, 20, v8
	v_and_b32_e32 v12, 0x80000000, v12
	v_lshl_add_u32 v9, v9, 23, v13
	v_or3_b32 v8, v12, v9, v8
.LBB35_1868:
	s_or_b64 exec, exec, s[6:7]
	v_lshrrev_b32_e32 v9, 8, v10
	s_movk_i32 s4, 0x7f
	v_cmp_gt_i16_sdwa s[6:7], v9, s4 src0_sel:BYTE_0 src1_sel:DWORD
	s_mov_b64 s[4:5], 0
                                        ; implicit-def: $sgpr10
	s_and_saveexec_b64 s[8:9], s[6:7]
	s_xor_b64 s[6:7], exec, s[8:9]
	s_cbranch_execnz .LBB35_3917
; %bb.1869:
	s_or_saveexec_b64 s[6:7], s[6:7]
	v_mov_b32_e32 v12, s10
	s_xor_b64 exec, exec, s[6:7]
	s_cbranch_execnz .LBB35_3920
.LBB35_1870:
	s_or_b64 exec, exec, s[6:7]
	s_and_saveexec_b64 s[6:7], s[4:5]
	s_cbranch_execz .LBB35_1872
.LBB35_1871:
	v_bfe_u32 v12, v10, 8, 3
	v_ffbh_u32_e32 v18, v12
	v_min_u32_e32 v18, 32, v18
	v_lshrrev_b16_e32 v13, 3, v9
	v_subrev_u32_e32 v19, 28, v18
	v_and_b32_e32 v13, 15, v13
	v_lshlrev_b32_e32 v9, v19, v9
	v_sub_u32_e32 v18, 29, v18
	v_and_b32_e32 v9, 7, v9
	v_cmp_eq_u16_e32 vcc, 0, v13
	v_cndmask_b32_e32 v9, v12, v9, vcc
	v_cndmask_b32_e32 v12, v13, v18, vcc
	v_lshlrev_b32_e32 v13, 16, v10
	v_mov_b32_e32 v18, 0x3b800000
	v_lshlrev_b32_e32 v9, 20, v9
	v_and_b32_e32 v13, 0x80000000, v13
	v_lshl_add_u32 v12, v12, 23, v18
	v_or3_b32 v12, v13, v12, v9
.LBB35_1872:
	s_or_b64 exec, exec, s[6:7]
	s_nop 0
	v_mfma_f32_16x16x4f32 a[0:3], v8, v12, a[0:3]
	s_movk_i32 s4, 0xff
	v_and_b32_sdwa v9, v14, s4 dst_sel:DWORD dst_unused:UNUSED_PAD src0_sel:WORD_1 src1_sel:DWORD
	s_movk_i32 s4, 0x7f
	v_cmp_lt_i16_e32 vcc, s4, v9
	s_mov_b64 s[4:5], 0
                                        ; implicit-def: $sgpr10
	s_and_saveexec_b64 s[6:7], vcc
	s_xor_b64 s[6:7], exec, s[6:7]
	s_cbranch_execnz .LBB35_3921
; %bb.1873:
	s_or_saveexec_b64 s[6:7], s[6:7]
	v_mov_b32_e32 v8, s10
	s_xor_b64 exec, exec, s[6:7]
	s_cbranch_execnz .LBB35_3924
.LBB35_1874:
	s_or_b64 exec, exec, s[6:7]
	s_and_saveexec_b64 s[6:7], s[4:5]
	s_cbranch_execz .LBB35_1876
.LBB35_1875:
	v_bfe_u32 v8, v14, 16, 3
	v_ffbh_u32_e32 v13, v8
	v_min_u32_e32 v13, 32, v13
	v_lshrrev_b32_e32 v9, 19, v14
	v_subrev_u32_e32 v18, 28, v13
	v_and_b32_e32 v9, 15, v9
	v_lshlrev_b32_sdwa v18, v18, v14 dst_sel:DWORD dst_unused:UNUSED_PAD src0_sel:DWORD src1_sel:WORD_1
	v_bfe_u32 v12, v14, 19, 4
	v_sub_u32_e32 v13, 29, v13
	v_and_b32_e32 v18, 7, v18
	v_cmp_eq_u16_e32 vcc, 0, v9
	v_cndmask_b32_e32 v8, v8, v18, vcc
	v_cndmask_b32_e32 v9, v12, v13, vcc
	v_lshlrev_b32_e32 v12, 8, v14
	v_mov_b32_e32 v13, 0x3b800000
	v_lshlrev_b32_e32 v8, 20, v8
	v_and_b32_e32 v12, 0x80000000, v12
	v_lshl_add_u32 v9, v9, 23, v13
	v_or3_b32 v8, v12, v9, v8
.LBB35_1876:
	s_or_b64 exec, exec, s[6:7]
	s_movk_i32 s4, 0xff
	v_and_b32_sdwa v9, v10, s4 dst_sel:DWORD dst_unused:UNUSED_PAD src0_sel:WORD_1 src1_sel:DWORD
	s_movk_i32 s4, 0x7f
	v_cmp_lt_i16_e32 vcc, s4, v9
	s_mov_b64 s[4:5], 0
                                        ; implicit-def: $sgpr10
	s_and_saveexec_b64 s[6:7], vcc
	s_xor_b64 s[6:7], exec, s[6:7]
	s_cbranch_execnz .LBB35_3925
; %bb.1877:
	s_or_saveexec_b64 s[6:7], s[6:7]
	v_mov_b32_e32 v12, s10
	s_xor_b64 exec, exec, s[6:7]
	s_cbranch_execnz .LBB35_3928
.LBB35_1878:
	s_or_b64 exec, exec, s[6:7]
	s_and_saveexec_b64 s[6:7], s[4:5]
	s_cbranch_execz .LBB35_1880
.LBB35_1879:
	v_bfe_u32 v9, v10, 16, 3
	v_ffbh_u32_e32 v18, v9
	v_min_u32_e32 v18, 32, v18
	v_lshrrev_b32_e32 v12, 19, v10
	v_subrev_u32_e32 v19, 28, v18
	v_and_b32_e32 v12, 15, v12
	v_lshlrev_b32_sdwa v19, v19, v10 dst_sel:DWORD dst_unused:UNUSED_PAD src0_sel:DWORD src1_sel:WORD_1
	v_bfe_u32 v13, v10, 19, 4
	v_sub_u32_e32 v18, 29, v18
	v_and_b32_e32 v19, 7, v19
	v_cmp_eq_u16_e32 vcc, 0, v12
	v_cndmask_b32_e32 v9, v9, v19, vcc
	v_cndmask_b32_e32 v12, v13, v18, vcc
	v_lshlrev_b32_e32 v13, 8, v10
	v_mov_b32_e32 v18, 0x3b800000
	v_lshlrev_b32_e32 v9, 20, v9
	v_and_b32_e32 v13, 0x80000000, v13
	v_lshl_add_u32 v12, v12, 23, v18
	v_or3_b32 v12, v13, v12, v9
.LBB35_1880:
	s_or_b64 exec, exec, s[6:7]
	s_nop 0
	v_mfma_f32_16x16x4f32 a[0:3], v8, v12, a[0:3]
	s_movk_i32 s4, 0x7f
	v_cmp_gt_i16_sdwa s[6:7], v14, s4 src0_sel:BYTE_3 src1_sel:DWORD
	s_mov_b64 s[4:5], 0
                                        ; implicit-def: $sgpr10
	s_and_saveexec_b64 s[8:9], s[6:7]
	s_xor_b64 s[6:7], exec, s[8:9]
	s_cbranch_execnz .LBB35_3929
; %bb.1881:
	s_or_saveexec_b64 s[6:7], s[6:7]
	v_mov_b32_e32 v8, s10
	s_xor_b64 exec, exec, s[6:7]
	s_cbranch_execnz .LBB35_3932
.LBB35_1882:
	s_or_b64 exec, exec, s[6:7]
	s_and_saveexec_b64 s[6:7], s[4:5]
	s_cbranch_execz .LBB35_1884
.LBB35_1883:
	v_bfe_u32 v8, v14, 24, 3
	v_ffbh_u32_e32 v18, v8
	v_min_u32_e32 v18, 32, v18
	v_lshrrev_b32_e32 v12, 27, v14
	v_subrev_u32_e32 v19, 28, v18
	v_and_b32_e32 v9, 0x80000000, v14
	v_and_b32_e32 v12, 15, v12
	v_bfe_u32 v13, v14, 27, 4
	v_lshlrev_b32_sdwa v14, v19, v14 dst_sel:DWORD dst_unused:UNUSED_PAD src0_sel:DWORD src1_sel:BYTE_3
	v_sub_u32_e32 v18, 29, v18
	v_and_b32_e32 v14, 7, v14
	v_cmp_eq_u16_e32 vcc, 0, v12
	v_cndmask_b32_e32 v8, v8, v14, vcc
	v_cndmask_b32_e32 v12, v13, v18, vcc
	v_mov_b32_e32 v13, 0x3b800000
	v_lshlrev_b32_e32 v8, 20, v8
	v_lshl_add_u32 v12, v12, 23, v13
	v_or3_b32 v8, v9, v12, v8
.LBB35_1884:
	s_or_b64 exec, exec, s[6:7]
	s_movk_i32 s4, 0x7f
	v_cmp_gt_i16_sdwa s[6:7], v10, s4 src0_sel:BYTE_3 src1_sel:DWORD
	s_mov_b64 s[4:5], 0
                                        ; implicit-def: $sgpr10
	s_and_saveexec_b64 s[8:9], s[6:7]
	s_xor_b64 s[6:7], exec, s[8:9]
	s_cbranch_execnz .LBB35_3933
; %bb.1885:
	s_or_saveexec_b64 s[6:7], s[6:7]
	v_mov_b32_e32 v9, s10
	s_xor_b64 exec, exec, s[6:7]
	s_cbranch_execnz .LBB35_3936
.LBB35_1886:
	s_or_b64 exec, exec, s[6:7]
	s_and_saveexec_b64 s[6:7], s[4:5]
	s_cbranch_execz .LBB35_1888
.LBB35_1887:
	v_bfe_u32 v9, v10, 24, 3
	v_ffbh_u32_e32 v18, v9
	v_min_u32_e32 v18, 32, v18
	v_lshrrev_b32_e32 v13, 27, v10
	v_subrev_u32_e32 v19, 28, v18
	v_and_b32_e32 v12, 0x80000000, v10
	v_and_b32_e32 v13, 15, v13
	v_bfe_u32 v14, v10, 27, 4
	v_lshlrev_b32_sdwa v10, v19, v10 dst_sel:DWORD dst_unused:UNUSED_PAD src0_sel:DWORD src1_sel:BYTE_3
	v_sub_u32_e32 v18, 29, v18
	v_and_b32_e32 v10, 7, v10
	v_cmp_eq_u16_e32 vcc, 0, v13
	v_cndmask_b32_e32 v9, v9, v10, vcc
	v_cndmask_b32_e32 v10, v14, v18, vcc
	v_mov_b32_e32 v13, 0x3b800000
	v_lshlrev_b32_e32 v9, 20, v9
	v_lshl_add_u32 v10, v10, 23, v13
	v_or3_b32 v9, v12, v10, v9
.LBB35_1888:
	s_or_b64 exec, exec, s[6:7]
	s_nop 0
	v_mfma_f32_16x16x4f32 a[0:3], v8, v9, a[0:3]
	s_movk_i32 s4, 0x7f
	v_cmp_gt_i16_sdwa s[6:7], v15, s4 src0_sel:BYTE_0 src1_sel:DWORD
	s_mov_b64 s[4:5], 0
                                        ; implicit-def: $sgpr10
	s_and_saveexec_b64 s[8:9], s[6:7]
	s_xor_b64 s[6:7], exec, s[8:9]
	s_cbranch_execnz .LBB35_3937
; %bb.1889:
	s_or_saveexec_b64 s[6:7], s[6:7]
	v_mov_b32_e32 v8, s10
	s_xor_b64 exec, exec, s[6:7]
	s_cbranch_execnz .LBB35_3940
.LBB35_1890:
	s_or_b64 exec, exec, s[6:7]
	s_and_saveexec_b64 s[6:7], s[4:5]
	s_cbranch_execz .LBB35_1892
.LBB35_1891:
	v_and_b32_e32 v8, 7, v15
	v_ffbh_u32_e32 v10, v8
	v_min_u32_e32 v10, 32, v10
	v_lshrrev_b16_e32 v9, 3, v15
	v_subrev_u32_e32 v12, 28, v10
	v_and_b32_e32 v9, 15, v9
	v_lshlrev_b32_e32 v12, v12, v15
	v_sub_u32_e32 v10, 29, v10
	v_and_b32_e32 v12, 7, v12
	v_cmp_eq_u16_e32 vcc, 0, v9
	v_cndmask_b32_e32 v8, v8, v12, vcc
	v_cndmask_b32_e32 v9, v9, v10, vcc
	v_lshlrev_b32_e32 v10, 24, v15
	v_mov_b32_e32 v12, 0x3b800000
	v_lshlrev_b32_e32 v8, 20, v8
	v_and_b32_e32 v10, 0x80000000, v10
	v_lshl_add_u32 v9, v9, 23, v12
	v_or3_b32 v8, v10, v9, v8
.LBB35_1892:
	s_or_b64 exec, exec, s[6:7]
	s_movk_i32 s4, 0x7f
	v_cmp_gt_i16_sdwa s[6:7], v11, s4 src0_sel:BYTE_0 src1_sel:DWORD
	s_mov_b64 s[4:5], 0
                                        ; implicit-def: $sgpr10
	s_and_saveexec_b64 s[8:9], s[6:7]
	s_xor_b64 s[6:7], exec, s[8:9]
	s_cbranch_execnz .LBB35_3941
; %bb.1893:
	s_or_saveexec_b64 s[6:7], s[6:7]
	v_mov_b32_e32 v9, s10
	s_xor_b64 exec, exec, s[6:7]
	s_cbranch_execnz .LBB35_3944
.LBB35_1894:
	s_or_b64 exec, exec, s[6:7]
	s_and_saveexec_b64 s[6:7], s[4:5]
	s_cbranch_execz .LBB35_1896
.LBB35_1895:
	v_and_b32_e32 v9, 7, v11
	v_ffbh_u32_e32 v12, v9
	v_min_u32_e32 v12, 32, v12
	v_lshrrev_b16_e32 v10, 3, v11
	v_subrev_u32_e32 v13, 28, v12
	v_and_b32_e32 v10, 15, v10
	v_lshlrev_b32_e32 v13, v13, v11
	v_sub_u32_e32 v12, 29, v12
	v_and_b32_e32 v13, 7, v13
	v_cmp_eq_u16_e32 vcc, 0, v10
	v_cndmask_b32_e32 v9, v9, v13, vcc
	v_cndmask_b32_e32 v10, v10, v12, vcc
	v_lshlrev_b32_e32 v12, 24, v11
	v_mov_b32_e32 v13, 0x3b800000
	v_lshlrev_b32_e32 v9, 20, v9
	v_and_b32_e32 v12, 0x80000000, v12
	v_lshl_add_u32 v10, v10, 23, v13
	v_or3_b32 v9, v12, v10, v9
.LBB35_1896:
	s_or_b64 exec, exec, s[6:7]
	s_nop 0
	v_mfma_f32_16x16x4f32 a[0:3], v8, v9, a[0:3]
	v_lshrrev_b32_e32 v9, 8, v15
	s_movk_i32 s4, 0x7f
	v_cmp_gt_i16_sdwa s[6:7], v9, s4 src0_sel:BYTE_0 src1_sel:DWORD
	s_mov_b64 s[4:5], 0
                                        ; implicit-def: $sgpr10
	s_and_saveexec_b64 s[8:9], s[6:7]
	s_xor_b64 s[6:7], exec, s[8:9]
	s_cbranch_execnz .LBB35_3945
; %bb.1897:
	s_or_saveexec_b64 s[6:7], s[6:7]
	v_mov_b32_e32 v8, s10
	s_xor_b64 exec, exec, s[6:7]
	s_cbranch_execnz .LBB35_3948
.LBB35_1898:
	s_or_b64 exec, exec, s[6:7]
	s_and_saveexec_b64 s[6:7], s[4:5]
	s_cbranch_execz .LBB35_1900
.LBB35_1899:
	v_bfe_u32 v8, v15, 8, 3
	v_ffbh_u32_e32 v12, v8
	v_min_u32_e32 v12, 32, v12
	v_lshrrev_b16_e32 v10, 3, v9
	v_subrev_u32_e32 v13, 28, v12
	v_and_b32_e32 v10, 15, v10
	v_lshlrev_b32_e32 v9, v13, v9
	v_sub_u32_e32 v12, 29, v12
	v_and_b32_e32 v9, 7, v9
	v_cmp_eq_u16_e32 vcc, 0, v10
	v_cndmask_b32_e32 v8, v8, v9, vcc
	v_cndmask_b32_e32 v9, v10, v12, vcc
	v_lshlrev_b32_e32 v10, 16, v15
	v_mov_b32_e32 v12, 0x3b800000
	v_lshlrev_b32_e32 v8, 20, v8
	v_and_b32_e32 v10, 0x80000000, v10
	v_lshl_add_u32 v9, v9, 23, v12
	v_or3_b32 v8, v10, v9, v8
.LBB35_1900:
	s_or_b64 exec, exec, s[6:7]
	v_lshrrev_b32_e32 v9, 8, v11
	s_movk_i32 s4, 0x7f
	v_cmp_gt_i16_sdwa s[6:7], v9, s4 src0_sel:BYTE_0 src1_sel:DWORD
	s_mov_b64 s[4:5], 0
                                        ; implicit-def: $sgpr10
	s_and_saveexec_b64 s[8:9], s[6:7]
	s_xor_b64 s[6:7], exec, s[8:9]
	s_cbranch_execnz .LBB35_3949
; %bb.1901:
	s_or_saveexec_b64 s[6:7], s[6:7]
	v_mov_b32_e32 v10, s10
	s_xor_b64 exec, exec, s[6:7]
	s_cbranch_execnz .LBB35_3952
.LBB35_1902:
	s_or_b64 exec, exec, s[6:7]
	s_and_saveexec_b64 s[6:7], s[4:5]
	s_cbranch_execz .LBB35_1904
.LBB35_1903:
	v_bfe_u32 v10, v11, 8, 3
	v_ffbh_u32_e32 v13, v10
	v_min_u32_e32 v13, 32, v13
	v_lshrrev_b16_e32 v12, 3, v9
	v_subrev_u32_e32 v14, 28, v13
	v_and_b32_e32 v12, 15, v12
	v_lshlrev_b32_e32 v9, v14, v9
	v_sub_u32_e32 v13, 29, v13
	v_and_b32_e32 v9, 7, v9
	v_cmp_eq_u16_e32 vcc, 0, v12
	v_cndmask_b32_e32 v9, v10, v9, vcc
	v_cndmask_b32_e32 v10, v12, v13, vcc
	v_lshlrev_b32_e32 v12, 16, v11
	v_mov_b32_e32 v13, 0x3b800000
	v_lshlrev_b32_e32 v9, 20, v9
	v_and_b32_e32 v12, 0x80000000, v12
	v_lshl_add_u32 v10, v10, 23, v13
	v_or3_b32 v10, v12, v10, v9
.LBB35_1904:
	s_or_b64 exec, exec, s[6:7]
	s_nop 0
	v_mfma_f32_16x16x4f32 a[0:3], v8, v10, a[0:3]
	s_movk_i32 s4, 0xff
	v_and_b32_sdwa v9, v15, s4 dst_sel:DWORD dst_unused:UNUSED_PAD src0_sel:WORD_1 src1_sel:DWORD
	s_movk_i32 s4, 0x7f
	v_cmp_lt_i16_e32 vcc, s4, v9
	s_mov_b64 s[4:5], 0
                                        ; implicit-def: $sgpr10
	s_and_saveexec_b64 s[6:7], vcc
	s_xor_b64 s[6:7], exec, s[6:7]
	s_cbranch_execnz .LBB35_3953
; %bb.1905:
	s_or_saveexec_b64 s[6:7], s[6:7]
	v_mov_b32_e32 v8, s10
	s_xor_b64 exec, exec, s[6:7]
	s_cbranch_execnz .LBB35_3956
.LBB35_1906:
	s_or_b64 exec, exec, s[6:7]
	s_and_saveexec_b64 s[6:7], s[4:5]
	s_cbranch_execz .LBB35_1908
.LBB35_1907:
	v_bfe_u32 v8, v15, 16, 3
	v_ffbh_u32_e32 v12, v8
	v_min_u32_e32 v12, 32, v12
	v_lshrrev_b32_e32 v9, 19, v15
	v_subrev_u32_e32 v13, 28, v12
	v_and_b32_e32 v9, 15, v9
	v_lshlrev_b32_sdwa v13, v13, v15 dst_sel:DWORD dst_unused:UNUSED_PAD src0_sel:DWORD src1_sel:WORD_1
	v_bfe_u32 v10, v15, 19, 4
	v_sub_u32_e32 v12, 29, v12
	v_and_b32_e32 v13, 7, v13
	v_cmp_eq_u16_e32 vcc, 0, v9
	v_cndmask_b32_e32 v8, v8, v13, vcc
	v_cndmask_b32_e32 v9, v10, v12, vcc
	v_lshlrev_b32_e32 v10, 8, v15
	v_mov_b32_e32 v12, 0x3b800000
	v_lshlrev_b32_e32 v8, 20, v8
	v_and_b32_e32 v10, 0x80000000, v10
	v_lshl_add_u32 v9, v9, 23, v12
	v_or3_b32 v8, v10, v9, v8
.LBB35_1908:
	s_or_b64 exec, exec, s[6:7]
	s_movk_i32 s4, 0xff
	v_and_b32_sdwa v9, v11, s4 dst_sel:DWORD dst_unused:UNUSED_PAD src0_sel:WORD_1 src1_sel:DWORD
	s_movk_i32 s4, 0x7f
	v_cmp_lt_i16_e32 vcc, s4, v9
	s_mov_b64 s[4:5], 0
                                        ; implicit-def: $sgpr10
	s_and_saveexec_b64 s[6:7], vcc
	s_xor_b64 s[6:7], exec, s[6:7]
	s_cbranch_execnz .LBB35_3957
; %bb.1909:
	s_or_saveexec_b64 s[6:7], s[6:7]
	v_mov_b32_e32 v10, s10
	s_xor_b64 exec, exec, s[6:7]
	s_cbranch_execnz .LBB35_3960
.LBB35_1910:
	s_or_b64 exec, exec, s[6:7]
	s_and_saveexec_b64 s[6:7], s[4:5]
	s_cbranch_execz .LBB35_1912
.LBB35_1911:
	v_bfe_u32 v9, v11, 16, 3
	v_ffbh_u32_e32 v13, v9
	v_min_u32_e32 v13, 32, v13
	v_lshrrev_b32_e32 v10, 19, v11
	v_subrev_u32_e32 v14, 28, v13
	v_and_b32_e32 v10, 15, v10
	v_lshlrev_b32_sdwa v14, v14, v11 dst_sel:DWORD dst_unused:UNUSED_PAD src0_sel:DWORD src1_sel:WORD_1
	v_bfe_u32 v12, v11, 19, 4
	v_sub_u32_e32 v13, 29, v13
	v_and_b32_e32 v14, 7, v14
	v_cmp_eq_u16_e32 vcc, 0, v10
	v_cndmask_b32_e32 v9, v9, v14, vcc
	v_cndmask_b32_e32 v10, v12, v13, vcc
	v_lshlrev_b32_e32 v12, 8, v11
	v_mov_b32_e32 v13, 0x3b800000
	v_lshlrev_b32_e32 v9, 20, v9
	v_and_b32_e32 v12, 0x80000000, v12
	v_lshl_add_u32 v10, v10, 23, v13
	v_or3_b32 v10, v12, v10, v9
.LBB35_1912:
	s_or_b64 exec, exec, s[6:7]
	s_nop 0
	v_mfma_f32_16x16x4f32 a[0:3], v8, v10, a[0:3]
	s_movk_i32 s4, 0x7f
	v_cmp_gt_i16_sdwa s[6:7], v15, s4 src0_sel:BYTE_3 src1_sel:DWORD
	s_mov_b64 s[4:5], 0
                                        ; implicit-def: $sgpr10
	s_and_saveexec_b64 s[8:9], s[6:7]
	s_xor_b64 s[6:7], exec, s[8:9]
	s_cbranch_execnz .LBB35_3961
; %bb.1913:
	s_or_saveexec_b64 s[6:7], s[6:7]
	v_mov_b32_e32 v8, s10
	s_xor_b64 exec, exec, s[6:7]
	s_cbranch_execnz .LBB35_3964
.LBB35_1914:
	s_or_b64 exec, exec, s[6:7]
	s_and_saveexec_b64 s[6:7], s[4:5]
	s_cbranch_execz .LBB35_1916
.LBB35_1915:
	v_bfe_u32 v8, v15, 24, 3
	v_ffbh_u32_e32 v13, v8
	v_min_u32_e32 v13, 32, v13
	v_lshrrev_b32_e32 v10, 27, v15
	v_subrev_u32_e32 v14, 28, v13
	v_and_b32_e32 v10, 15, v10
	v_lshlrev_b32_sdwa v14, v14, v15 dst_sel:DWORD dst_unused:UNUSED_PAD src0_sel:DWORD src1_sel:BYTE_3
	v_bfe_u32 v12, v15, 27, 4
	v_sub_u32_e32 v13, 29, v13
	v_and_b32_e32 v14, 7, v14
	v_cmp_eq_u16_e32 vcc, 0, v10
	v_cndmask_b32_e32 v8, v8, v14, vcc
	v_cndmask_b32_e32 v10, v12, v13, vcc
	v_mov_b32_e32 v12, 0x3b800000
	v_and_b32_e32 v9, 0x80000000, v15
	v_lshlrev_b32_e32 v8, 20, v8
	v_lshl_add_u32 v10, v10, 23, v12
	v_or3_b32 v8, v9, v10, v8
.LBB35_1916:
	s_or_b64 exec, exec, s[6:7]
	s_movk_i32 s4, 0x7f
	v_cmp_gt_i16_sdwa s[6:7], v11, s4 src0_sel:BYTE_3 src1_sel:DWORD
	s_mov_b64 s[4:5], 0
                                        ; implicit-def: $sgpr10
	s_and_saveexec_b64 s[8:9], s[6:7]
	s_xor_b64 s[6:7], exec, s[8:9]
	s_cbranch_execnz .LBB35_3965
; %bb.1917:
	s_or_saveexec_b64 s[6:7], s[6:7]
	v_mov_b32_e32 v9, s10
	s_xor_b64 exec, exec, s[6:7]
	s_cbranch_execnz .LBB35_3968
.LBB35_1918:
	s_or_b64 exec, exec, s[6:7]
	s_and_saveexec_b64 s[6:7], s[4:5]
	s_cbranch_execz .LBB35_1920
.LBB35_1919:
	v_bfe_u32 v9, v11, 24, 3
	v_ffbh_u32_e32 v14, v9
	v_min_u32_e32 v14, 32, v14
	v_lshrrev_b32_e32 v12, 27, v11
	v_subrev_u32_e32 v15, 28, v14
	v_and_b32_e32 v10, 0x80000000, v11
	v_and_b32_e32 v12, 15, v12
	v_bfe_u32 v13, v11, 27, 4
	v_lshlrev_b32_sdwa v11, v15, v11 dst_sel:DWORD dst_unused:UNUSED_PAD src0_sel:DWORD src1_sel:BYTE_3
	v_sub_u32_e32 v14, 29, v14
	v_and_b32_e32 v11, 7, v11
	v_cmp_eq_u16_e32 vcc, 0, v12
	v_cndmask_b32_e32 v9, v9, v11, vcc
	v_cndmask_b32_e32 v11, v13, v14, vcc
	v_mov_b32_e32 v12, 0x3b800000
	v_lshlrev_b32_e32 v9, 20, v9
	v_lshl_add_u32 v11, v11, 23, v12
	v_or3_b32 v9, v10, v11, v9
.LBB35_1920:
	s_or_b64 exec, exec, s[6:7]
	s_nop 0
	v_mfma_f32_16x16x4f32 a[0:3], v8, v9, a[0:3]
	s_movk_i32 s4, 0x7f
	v_cmp_gt_i16_sdwa s[6:7], v4, s4 src0_sel:BYTE_0 src1_sel:DWORD
	s_mov_b64 s[4:5], 0
                                        ; implicit-def: $sgpr10
	s_and_saveexec_b64 s[8:9], s[6:7]
	s_xor_b64 s[6:7], exec, s[8:9]
	s_cbranch_execnz .LBB35_3969
; %bb.1921:
	s_or_saveexec_b64 s[6:7], s[6:7]
	v_mov_b32_e32 v8, s10
	s_xor_b64 exec, exec, s[6:7]
	s_cbranch_execnz .LBB35_3972
.LBB35_1922:
	s_or_b64 exec, exec, s[6:7]
	s_and_saveexec_b64 s[6:7], s[4:5]
	s_cbranch_execz .LBB35_1924
.LBB35_1923:
	v_and_b32_e32 v8, 7, v4
	v_ffbh_u32_e32 v10, v8
	v_min_u32_e32 v10, 32, v10
	v_lshrrev_b16_e32 v9, 3, v4
	v_subrev_u32_e32 v11, 28, v10
	v_and_b32_e32 v9, 15, v9
	v_lshlrev_b32_e32 v11, v11, v4
	v_sub_u32_e32 v10, 29, v10
	v_and_b32_e32 v11, 7, v11
	v_cmp_eq_u16_e32 vcc, 0, v9
	v_cndmask_b32_e32 v8, v8, v11, vcc
	v_cndmask_b32_e32 v9, v9, v10, vcc
	v_lshlrev_b32_e32 v10, 24, v4
	v_mov_b32_e32 v11, 0x3b800000
	v_lshlrev_b32_e32 v8, 20, v8
	v_and_b32_e32 v10, 0x80000000, v10
	v_lshl_add_u32 v9, v9, 23, v11
	v_or3_b32 v8, v10, v9, v8
.LBB35_1924:
	s_or_b64 exec, exec, s[6:7]
	s_movk_i32 s4, 0x7f
	v_cmp_gt_i16_sdwa s[6:7], v0, s4 src0_sel:BYTE_0 src1_sel:DWORD
	s_mov_b64 s[4:5], 0
                                        ; implicit-def: $sgpr10
	s_and_saveexec_b64 s[8:9], s[6:7]
	s_xor_b64 s[6:7], exec, s[8:9]
	s_cbranch_execnz .LBB35_3973
; %bb.1925:
	s_or_saveexec_b64 s[6:7], s[6:7]
	v_mov_b32_e32 v9, s10
	s_xor_b64 exec, exec, s[6:7]
	s_cbranch_execnz .LBB35_3976
.LBB35_1926:
	s_or_b64 exec, exec, s[6:7]
	s_and_saveexec_b64 s[6:7], s[4:5]
	s_cbranch_execz .LBB35_1928
.LBB35_1927:
	v_and_b32_e32 v9, 7, v0
	v_ffbh_u32_e32 v11, v9
	v_min_u32_e32 v11, 32, v11
	v_lshrrev_b16_e32 v10, 3, v0
	v_subrev_u32_e32 v12, 28, v11
	v_and_b32_e32 v10, 15, v10
	v_lshlrev_b32_e32 v12, v12, v0
	v_sub_u32_e32 v11, 29, v11
	v_and_b32_e32 v12, 7, v12
	v_cmp_eq_u16_e32 vcc, 0, v10
	v_cndmask_b32_e32 v9, v9, v12, vcc
	v_cndmask_b32_e32 v10, v10, v11, vcc
	v_lshlrev_b32_e32 v11, 24, v0
	v_mov_b32_e32 v12, 0x3b800000
	v_lshlrev_b32_e32 v9, 20, v9
	v_and_b32_e32 v11, 0x80000000, v11
	v_lshl_add_u32 v10, v10, 23, v12
	v_or3_b32 v9, v11, v10, v9
.LBB35_1928:
	s_or_b64 exec, exec, s[6:7]
	s_nop 0
	v_mfma_f32_16x16x4f32 a[0:3], v8, v9, a[0:3]
	v_lshrrev_b32_e32 v9, 8, v4
	s_movk_i32 s4, 0x7f
	v_cmp_gt_i16_sdwa s[6:7], v9, s4 src0_sel:BYTE_0 src1_sel:DWORD
	s_mov_b64 s[4:5], 0
                                        ; implicit-def: $sgpr10
	s_and_saveexec_b64 s[8:9], s[6:7]
	s_xor_b64 s[6:7], exec, s[8:9]
	s_cbranch_execnz .LBB35_3977
; %bb.1929:
	s_or_saveexec_b64 s[6:7], s[6:7]
	v_mov_b32_e32 v8, s10
	s_xor_b64 exec, exec, s[6:7]
	s_cbranch_execnz .LBB35_3980
.LBB35_1930:
	s_or_b64 exec, exec, s[6:7]
	s_and_saveexec_b64 s[6:7], s[4:5]
	s_cbranch_execz .LBB35_1932
.LBB35_1931:
	v_bfe_u32 v8, v4, 8, 3
	v_ffbh_u32_e32 v11, v8
	v_min_u32_e32 v11, 32, v11
	v_lshrrev_b16_e32 v10, 3, v9
	v_subrev_u32_e32 v12, 28, v11
	v_and_b32_e32 v10, 15, v10
	v_lshlrev_b32_e32 v9, v12, v9
	v_sub_u32_e32 v11, 29, v11
	v_and_b32_e32 v9, 7, v9
	v_cmp_eq_u16_e32 vcc, 0, v10
	v_cndmask_b32_e32 v8, v8, v9, vcc
	v_cndmask_b32_e32 v9, v10, v11, vcc
	v_lshlrev_b32_e32 v10, 16, v4
	v_mov_b32_e32 v11, 0x3b800000
	v_lshlrev_b32_e32 v8, 20, v8
	v_and_b32_e32 v10, 0x80000000, v10
	v_lshl_add_u32 v9, v9, 23, v11
	v_or3_b32 v8, v10, v9, v8
.LBB35_1932:
	s_or_b64 exec, exec, s[6:7]
	v_lshrrev_b32_e32 v9, 8, v0
	s_movk_i32 s4, 0x7f
	v_cmp_gt_i16_sdwa s[6:7], v9, s4 src0_sel:BYTE_0 src1_sel:DWORD
	s_mov_b64 s[4:5], 0
                                        ; implicit-def: $sgpr10
	s_and_saveexec_b64 s[8:9], s[6:7]
	s_xor_b64 s[6:7], exec, s[8:9]
	s_cbranch_execnz .LBB35_3981
; %bb.1933:
	s_or_saveexec_b64 s[6:7], s[6:7]
	v_mov_b32_e32 v10, s10
	s_xor_b64 exec, exec, s[6:7]
	s_cbranch_execnz .LBB35_3984
.LBB35_1934:
	s_or_b64 exec, exec, s[6:7]
	s_and_saveexec_b64 s[6:7], s[4:5]
	s_cbranch_execz .LBB35_1936
.LBB35_1935:
	v_bfe_u32 v10, v0, 8, 3
	v_ffbh_u32_e32 v12, v10
	v_min_u32_e32 v12, 32, v12
	v_lshrrev_b16_e32 v11, 3, v9
	v_subrev_u32_e32 v13, 28, v12
	v_and_b32_e32 v11, 15, v11
	v_lshlrev_b32_e32 v9, v13, v9
	v_sub_u32_e32 v12, 29, v12
	v_and_b32_e32 v9, 7, v9
	v_cmp_eq_u16_e32 vcc, 0, v11
	v_cndmask_b32_e32 v9, v10, v9, vcc
	v_cndmask_b32_e32 v10, v11, v12, vcc
	v_lshlrev_b32_e32 v11, 16, v0
	v_mov_b32_e32 v12, 0x3b800000
	v_lshlrev_b32_e32 v9, 20, v9
	v_and_b32_e32 v11, 0x80000000, v11
	v_lshl_add_u32 v10, v10, 23, v12
	v_or3_b32 v10, v11, v10, v9
.LBB35_1936:
	s_or_b64 exec, exec, s[6:7]
	s_nop 0
	v_mfma_f32_16x16x4f32 a[0:3], v8, v10, a[0:3]
	s_movk_i32 s4, 0xff
	v_and_b32_sdwa v9, v4, s4 dst_sel:DWORD dst_unused:UNUSED_PAD src0_sel:WORD_1 src1_sel:DWORD
	s_movk_i32 s4, 0x7f
	v_cmp_lt_i16_e32 vcc, s4, v9
	s_mov_b64 s[4:5], 0
                                        ; implicit-def: $sgpr10
	s_and_saveexec_b64 s[6:7], vcc
	s_xor_b64 s[6:7], exec, s[6:7]
	s_cbranch_execnz .LBB35_3985
; %bb.1937:
	s_or_saveexec_b64 s[6:7], s[6:7]
	v_mov_b32_e32 v8, s10
	s_xor_b64 exec, exec, s[6:7]
	s_cbranch_execnz .LBB35_3988
.LBB35_1938:
	s_or_b64 exec, exec, s[6:7]
	s_and_saveexec_b64 s[6:7], s[4:5]
	s_cbranch_execz .LBB35_1940
.LBB35_1939:
	v_bfe_u32 v8, v4, 16, 3
	v_ffbh_u32_e32 v11, v8
	v_min_u32_e32 v11, 32, v11
	v_lshrrev_b32_e32 v9, 19, v4
	v_subrev_u32_e32 v12, 28, v11
	v_and_b32_e32 v9, 15, v9
	v_lshlrev_b32_sdwa v12, v12, v4 dst_sel:DWORD dst_unused:UNUSED_PAD src0_sel:DWORD src1_sel:WORD_1
	v_bfe_u32 v10, v4, 19, 4
	v_sub_u32_e32 v11, 29, v11
	v_and_b32_e32 v12, 7, v12
	v_cmp_eq_u16_e32 vcc, 0, v9
	v_cndmask_b32_e32 v8, v8, v12, vcc
	v_cndmask_b32_e32 v9, v10, v11, vcc
	v_lshlrev_b32_e32 v10, 8, v4
	v_mov_b32_e32 v11, 0x3b800000
	v_lshlrev_b32_e32 v8, 20, v8
	v_and_b32_e32 v10, 0x80000000, v10
	v_lshl_add_u32 v9, v9, 23, v11
	v_or3_b32 v8, v10, v9, v8
.LBB35_1940:
	s_or_b64 exec, exec, s[6:7]
	s_movk_i32 s4, 0xff
	v_and_b32_sdwa v9, v0, s4 dst_sel:DWORD dst_unused:UNUSED_PAD src0_sel:WORD_1 src1_sel:DWORD
	s_movk_i32 s4, 0x7f
	v_cmp_lt_i16_e32 vcc, s4, v9
	s_mov_b64 s[4:5], 0
                                        ; implicit-def: $sgpr10
	s_and_saveexec_b64 s[6:7], vcc
	s_xor_b64 s[6:7], exec, s[6:7]
	s_cbranch_execnz .LBB35_3989
; %bb.1941:
	s_or_saveexec_b64 s[6:7], s[6:7]
	v_mov_b32_e32 v10, s10
	s_xor_b64 exec, exec, s[6:7]
	s_cbranch_execnz .LBB35_3992
.LBB35_1942:
	s_or_b64 exec, exec, s[6:7]
	s_and_saveexec_b64 s[6:7], s[4:5]
	s_cbranch_execz .LBB35_1944
.LBB35_1943:
	v_bfe_u32 v9, v0, 16, 3
	v_ffbh_u32_e32 v12, v9
	v_min_u32_e32 v12, 32, v12
	v_lshrrev_b32_e32 v10, 19, v0
	v_subrev_u32_e32 v13, 28, v12
	v_and_b32_e32 v10, 15, v10
	v_lshlrev_b32_sdwa v13, v13, v0 dst_sel:DWORD dst_unused:UNUSED_PAD src0_sel:DWORD src1_sel:WORD_1
	v_bfe_u32 v11, v0, 19, 4
	v_sub_u32_e32 v12, 29, v12
	v_and_b32_e32 v13, 7, v13
	v_cmp_eq_u16_e32 vcc, 0, v10
	v_cndmask_b32_e32 v9, v9, v13, vcc
	v_cndmask_b32_e32 v10, v11, v12, vcc
	v_lshlrev_b32_e32 v11, 8, v0
	v_mov_b32_e32 v12, 0x3b800000
	v_lshlrev_b32_e32 v9, 20, v9
	v_and_b32_e32 v11, 0x80000000, v11
	v_lshl_add_u32 v10, v10, 23, v12
	v_or3_b32 v10, v11, v10, v9
.LBB35_1944:
	s_or_b64 exec, exec, s[6:7]
	s_nop 0
	v_mfma_f32_16x16x4f32 a[0:3], v8, v10, a[0:3]
	s_movk_i32 s4, 0x7f
	v_cmp_gt_i16_sdwa s[6:7], v4, s4 src0_sel:BYTE_3 src1_sel:DWORD
	s_mov_b64 s[4:5], 0
                                        ; implicit-def: $sgpr10
	s_and_saveexec_b64 s[8:9], s[6:7]
	s_xor_b64 s[6:7], exec, s[8:9]
	s_cbranch_execnz .LBB35_3993
; %bb.1945:
	s_or_saveexec_b64 s[6:7], s[6:7]
	v_mov_b32_e32 v8, s10
	s_xor_b64 exec, exec, s[6:7]
	s_cbranch_execnz .LBB35_3996
.LBB35_1946:
	s_or_b64 exec, exec, s[6:7]
	s_and_saveexec_b64 s[6:7], s[4:5]
	s_cbranch_execz .LBB35_1948
.LBB35_1947:
	v_bfe_u32 v8, v4, 24, 3
	v_ffbh_u32_e32 v12, v8
	v_min_u32_e32 v12, 32, v12
	v_lshrrev_b32_e32 v10, 27, v4
	v_subrev_u32_e32 v13, 28, v12
	v_and_b32_e32 v9, 0x80000000, v4
	v_and_b32_e32 v10, 15, v10
	v_bfe_u32 v11, v4, 27, 4
	v_lshlrev_b32_sdwa v4, v13, v4 dst_sel:DWORD dst_unused:UNUSED_PAD src0_sel:DWORD src1_sel:BYTE_3
	v_sub_u32_e32 v12, 29, v12
	v_and_b32_e32 v4, 7, v4
	v_cmp_eq_u16_e32 vcc, 0, v10
	v_cndmask_b32_e32 v4, v8, v4, vcc
	v_cndmask_b32_e32 v8, v11, v12, vcc
	v_mov_b32_e32 v10, 0x3b800000
	v_lshlrev_b32_e32 v4, 20, v4
	v_lshl_add_u32 v8, v8, 23, v10
	v_or3_b32 v8, v9, v8, v4
.LBB35_1948:
	s_or_b64 exec, exec, s[6:7]
	s_movk_i32 s4, 0x7f
	v_cmp_gt_i16_sdwa s[6:7], v0, s4 src0_sel:BYTE_3 src1_sel:DWORD
	s_mov_b64 s[4:5], 0
                                        ; implicit-def: $sgpr10
	s_and_saveexec_b64 s[8:9], s[6:7]
	s_xor_b64 s[6:7], exec, s[8:9]
	s_cbranch_execnz .LBB35_3997
; %bb.1949:
	s_or_saveexec_b64 s[6:7], s[6:7]
	v_mov_b32_e32 v4, s10
	s_xor_b64 exec, exec, s[6:7]
	s_cbranch_execnz .LBB35_4000
.LBB35_1950:
	s_or_b64 exec, exec, s[6:7]
	s_and_saveexec_b64 s[6:7], s[4:5]
	s_cbranch_execz .LBB35_1952
.LBB35_1951:
	v_bfe_u32 v4, v0, 24, 3
	v_ffbh_u32_e32 v12, v4
	v_min_u32_e32 v12, 32, v12
	v_lshrrev_b32_e32 v10, 27, v0
	v_subrev_u32_e32 v13, 28, v12
	v_and_b32_e32 v9, 0x80000000, v0
	v_and_b32_e32 v10, 15, v10
	v_bfe_u32 v11, v0, 27, 4
	v_lshlrev_b32_sdwa v0, v13, v0 dst_sel:DWORD dst_unused:UNUSED_PAD src0_sel:DWORD src1_sel:BYTE_3
	v_sub_u32_e32 v12, 29, v12
	v_and_b32_e32 v0, 7, v0
	v_cmp_eq_u16_e32 vcc, 0, v10
	v_cndmask_b32_e32 v0, v4, v0, vcc
	v_cndmask_b32_e32 v4, v11, v12, vcc
	v_mov_b32_e32 v10, 0x3b800000
	v_lshlrev_b32_e32 v0, 20, v0
	v_lshl_add_u32 v4, v4, 23, v10
	v_or3_b32 v4, v9, v4, v0
.LBB35_1952:
	s_or_b64 exec, exec, s[6:7]
	s_nop 0
	v_mfma_f32_16x16x4f32 a[0:3], v8, v4, a[0:3]
	s_movk_i32 s4, 0x7f
	v_cmp_gt_i16_sdwa s[6:7], v5, s4 src0_sel:BYTE_0 src1_sel:DWORD
	s_mov_b64 s[4:5], 0
                                        ; implicit-def: $sgpr10
	s_and_saveexec_b64 s[8:9], s[6:7]
	s_xor_b64 s[6:7], exec, s[8:9]
	s_cbranch_execnz .LBB35_4001
; %bb.1953:
	s_or_saveexec_b64 s[6:7], s[6:7]
	v_mov_b32_e32 v0, s10
	s_xor_b64 exec, exec, s[6:7]
	s_cbranch_execnz .LBB35_4004
.LBB35_1954:
	s_or_b64 exec, exec, s[6:7]
	s_and_saveexec_b64 s[6:7], s[4:5]
	s_cbranch_execz .LBB35_1956
.LBB35_1955:
	v_and_b32_e32 v0, 7, v5
	v_ffbh_u32_e32 v8, v0
	v_min_u32_e32 v8, 32, v8
	v_lshrrev_b16_e32 v4, 3, v5
	v_subrev_u32_e32 v9, 28, v8
	v_and_b32_e32 v4, 15, v4
	v_lshlrev_b32_e32 v9, v9, v5
	v_sub_u32_e32 v8, 29, v8
	v_and_b32_e32 v9, 7, v9
	v_cmp_eq_u16_e32 vcc, 0, v4
	v_cndmask_b32_e32 v0, v0, v9, vcc
	v_cndmask_b32_e32 v4, v4, v8, vcc
	v_lshlrev_b32_e32 v8, 24, v5
	v_mov_b32_e32 v9, 0x3b800000
	v_lshlrev_b32_e32 v0, 20, v0
	v_and_b32_e32 v8, 0x80000000, v8
	v_lshl_add_u32 v4, v4, 23, v9
	v_or3_b32 v0, v8, v4, v0
.LBB35_1956:
	s_or_b64 exec, exec, s[6:7]
	s_movk_i32 s4, 0x7f
	v_cmp_gt_i16_sdwa s[6:7], v1, s4 src0_sel:BYTE_0 src1_sel:DWORD
	s_mov_b64 s[4:5], 0
                                        ; implicit-def: $sgpr10
	s_and_saveexec_b64 s[8:9], s[6:7]
	s_xor_b64 s[6:7], exec, s[8:9]
	s_cbranch_execnz .LBB35_4005
; %bb.1957:
	s_or_saveexec_b64 s[6:7], s[6:7]
	v_mov_b32_e32 v4, s10
	s_xor_b64 exec, exec, s[6:7]
	s_cbranch_execnz .LBB35_4008
.LBB35_1958:
	s_or_b64 exec, exec, s[6:7]
	s_and_saveexec_b64 s[6:7], s[4:5]
	s_cbranch_execz .LBB35_1960
.LBB35_1959:
	v_and_b32_e32 v4, 7, v1
	v_ffbh_u32_e32 v9, v4
	v_min_u32_e32 v9, 32, v9
	v_lshrrev_b16_e32 v8, 3, v1
	v_subrev_u32_e32 v10, 28, v9
	v_and_b32_e32 v8, 15, v8
	v_lshlrev_b32_e32 v10, v10, v1
	v_sub_u32_e32 v9, 29, v9
	v_and_b32_e32 v10, 7, v10
	v_cmp_eq_u16_e32 vcc, 0, v8
	v_cndmask_b32_e32 v4, v4, v10, vcc
	v_cndmask_b32_e32 v8, v8, v9, vcc
	v_lshlrev_b32_e32 v9, 24, v1
	v_mov_b32_e32 v10, 0x3b800000
	v_lshlrev_b32_e32 v4, 20, v4
	v_and_b32_e32 v9, 0x80000000, v9
	v_lshl_add_u32 v8, v8, 23, v10
	v_or3_b32 v4, v9, v8, v4
.LBB35_1960:
	s_or_b64 exec, exec, s[6:7]
	s_nop 0
	v_mfma_f32_16x16x4f32 a[0:3], v0, v4, a[0:3]
	v_lshrrev_b32_e32 v4, 8, v5
	s_movk_i32 s4, 0x7f
	v_cmp_gt_i16_sdwa s[6:7], v4, s4 src0_sel:BYTE_0 src1_sel:DWORD
	s_mov_b64 s[4:5], 0
                                        ; implicit-def: $sgpr10
	s_and_saveexec_b64 s[8:9], s[6:7]
	s_xor_b64 s[6:7], exec, s[8:9]
	s_cbranch_execnz .LBB35_4009
; %bb.1961:
	s_or_saveexec_b64 s[6:7], s[6:7]
	v_mov_b32_e32 v0, s10
	s_xor_b64 exec, exec, s[6:7]
	s_cbranch_execnz .LBB35_4012
.LBB35_1962:
	s_or_b64 exec, exec, s[6:7]
	s_and_saveexec_b64 s[6:7], s[4:5]
	s_cbranch_execz .LBB35_1964
.LBB35_1963:
	v_bfe_u32 v0, v5, 8, 3
	v_ffbh_u32_e32 v9, v0
	v_min_u32_e32 v9, 32, v9
	v_lshrrev_b16_e32 v8, 3, v4
	v_subrev_u32_e32 v10, 28, v9
	v_and_b32_e32 v8, 15, v8
	v_lshlrev_b32_e32 v4, v10, v4
	v_sub_u32_e32 v9, 29, v9
	v_and_b32_e32 v4, 7, v4
	v_cmp_eq_u16_e32 vcc, 0, v8
	v_cndmask_b32_e32 v0, v0, v4, vcc
	v_cndmask_b32_e32 v4, v8, v9, vcc
	v_lshlrev_b32_e32 v8, 16, v5
	v_mov_b32_e32 v9, 0x3b800000
	v_lshlrev_b32_e32 v0, 20, v0
	v_and_b32_e32 v8, 0x80000000, v8
	v_lshl_add_u32 v4, v4, 23, v9
	v_or3_b32 v0, v8, v4, v0
.LBB35_1964:
	s_or_b64 exec, exec, s[6:7]
	v_lshrrev_b32_e32 v4, 8, v1
	s_movk_i32 s4, 0x7f
	v_cmp_gt_i16_sdwa s[6:7], v4, s4 src0_sel:BYTE_0 src1_sel:DWORD
	s_mov_b64 s[4:5], 0
                                        ; implicit-def: $sgpr10
	s_and_saveexec_b64 s[8:9], s[6:7]
	s_xor_b64 s[6:7], exec, s[8:9]
	s_cbranch_execnz .LBB35_4013
; %bb.1965:
	s_or_saveexec_b64 s[6:7], s[6:7]
	v_mov_b32_e32 v8, s10
	s_xor_b64 exec, exec, s[6:7]
	s_cbranch_execnz .LBB35_4016
.LBB35_1966:
	s_or_b64 exec, exec, s[6:7]
	s_and_saveexec_b64 s[6:7], s[4:5]
	s_cbranch_execz .LBB35_1968
.LBB35_1967:
	v_bfe_u32 v8, v1, 8, 3
	v_ffbh_u32_e32 v10, v8
	v_min_u32_e32 v10, 32, v10
	v_lshrrev_b16_e32 v9, 3, v4
	v_subrev_u32_e32 v11, 28, v10
	v_and_b32_e32 v9, 15, v9
	v_lshlrev_b32_e32 v4, v11, v4
	v_sub_u32_e32 v10, 29, v10
	v_and_b32_e32 v4, 7, v4
	v_cmp_eq_u16_e32 vcc, 0, v9
	v_cndmask_b32_e32 v4, v8, v4, vcc
	v_cndmask_b32_e32 v8, v9, v10, vcc
	v_lshlrev_b32_e32 v9, 16, v1
	v_mov_b32_e32 v10, 0x3b800000
	v_lshlrev_b32_e32 v4, 20, v4
	v_and_b32_e32 v9, 0x80000000, v9
	v_lshl_add_u32 v8, v8, 23, v10
	v_or3_b32 v8, v9, v8, v4
.LBB35_1968:
	s_or_b64 exec, exec, s[6:7]
	s_nop 0
	v_mfma_f32_16x16x4f32 a[0:3], v0, v8, a[0:3]
	s_movk_i32 s4, 0xff
	v_and_b32_sdwa v4, v5, s4 dst_sel:DWORD dst_unused:UNUSED_PAD src0_sel:WORD_1 src1_sel:DWORD
	s_movk_i32 s4, 0x7f
	v_cmp_lt_i16_e32 vcc, s4, v4
	s_mov_b64 s[4:5], 0
                                        ; implicit-def: $sgpr10
	s_and_saveexec_b64 s[6:7], vcc
	s_xor_b64 s[6:7], exec, s[6:7]
	s_cbranch_execnz .LBB35_4017
; %bb.1969:
	s_or_saveexec_b64 s[6:7], s[6:7]
	v_mov_b32_e32 v0, s10
	s_xor_b64 exec, exec, s[6:7]
	s_cbranch_execnz .LBB35_4020
.LBB35_1970:
	s_or_b64 exec, exec, s[6:7]
	s_and_saveexec_b64 s[6:7], s[4:5]
	s_cbranch_execz .LBB35_1972
.LBB35_1971:
	v_bfe_u32 v0, v5, 16, 3
	v_ffbh_u32_e32 v9, v0
	v_min_u32_e32 v9, 32, v9
	v_lshrrev_b32_e32 v4, 19, v5
	v_subrev_u32_e32 v10, 28, v9
	v_and_b32_e32 v4, 15, v4
	v_lshlrev_b32_sdwa v10, v10, v5 dst_sel:DWORD dst_unused:UNUSED_PAD src0_sel:DWORD src1_sel:WORD_1
	v_bfe_u32 v8, v5, 19, 4
	v_sub_u32_e32 v9, 29, v9
	v_and_b32_e32 v10, 7, v10
	v_cmp_eq_u16_e32 vcc, 0, v4
	v_cndmask_b32_e32 v0, v0, v10, vcc
	v_cndmask_b32_e32 v4, v8, v9, vcc
	v_lshlrev_b32_e32 v8, 8, v5
	v_mov_b32_e32 v9, 0x3b800000
	v_lshlrev_b32_e32 v0, 20, v0
	v_and_b32_e32 v8, 0x80000000, v8
	v_lshl_add_u32 v4, v4, 23, v9
	v_or3_b32 v0, v8, v4, v0
.LBB35_1972:
	s_or_b64 exec, exec, s[6:7]
	s_movk_i32 s4, 0xff
	v_and_b32_sdwa v4, v1, s4 dst_sel:DWORD dst_unused:UNUSED_PAD src0_sel:WORD_1 src1_sel:DWORD
	s_movk_i32 s4, 0x7f
	v_cmp_lt_i16_e32 vcc, s4, v4
	s_mov_b64 s[4:5], 0
                                        ; implicit-def: $sgpr10
	s_and_saveexec_b64 s[6:7], vcc
	s_xor_b64 s[6:7], exec, s[6:7]
	s_cbranch_execnz .LBB35_4021
; %bb.1973:
	s_or_saveexec_b64 s[6:7], s[6:7]
	v_mov_b32_e32 v8, s10
	s_xor_b64 exec, exec, s[6:7]
	s_cbranch_execnz .LBB35_4024
.LBB35_1974:
	s_or_b64 exec, exec, s[6:7]
	s_and_saveexec_b64 s[6:7], s[4:5]
	s_cbranch_execz .LBB35_1976
.LBB35_1975:
	v_bfe_u32 v4, v1, 16, 3
	v_ffbh_u32_e32 v10, v4
	v_min_u32_e32 v10, 32, v10
	v_lshrrev_b32_e32 v8, 19, v1
	v_subrev_u32_e32 v11, 28, v10
	v_and_b32_e32 v8, 15, v8
	v_lshlrev_b32_sdwa v11, v11, v1 dst_sel:DWORD dst_unused:UNUSED_PAD src0_sel:DWORD src1_sel:WORD_1
	v_bfe_u32 v9, v1, 19, 4
	v_sub_u32_e32 v10, 29, v10
	v_and_b32_e32 v11, 7, v11
	v_cmp_eq_u16_e32 vcc, 0, v8
	v_cndmask_b32_e32 v4, v4, v11, vcc
	v_cndmask_b32_e32 v8, v9, v10, vcc
	v_lshlrev_b32_e32 v9, 8, v1
	v_mov_b32_e32 v10, 0x3b800000
	v_lshlrev_b32_e32 v4, 20, v4
	v_and_b32_e32 v9, 0x80000000, v9
	v_lshl_add_u32 v8, v8, 23, v10
	v_or3_b32 v8, v9, v8, v4
.LBB35_1976:
	s_or_b64 exec, exec, s[6:7]
	s_nop 0
	v_mfma_f32_16x16x4f32 a[0:3], v0, v8, a[0:3]
	s_movk_i32 s4, 0x7f
	v_cmp_gt_i16_sdwa s[6:7], v5, s4 src0_sel:BYTE_3 src1_sel:DWORD
	s_mov_b64 s[4:5], 0
                                        ; implicit-def: $sgpr10
	s_and_saveexec_b64 s[8:9], s[6:7]
	s_xor_b64 s[6:7], exec, s[8:9]
	s_cbranch_execnz .LBB35_4025
; %bb.1977:
	s_or_saveexec_b64 s[6:7], s[6:7]
	v_mov_b32_e32 v0, s10
	s_xor_b64 exec, exec, s[6:7]
	s_cbranch_execnz .LBB35_4028
.LBB35_1978:
	s_or_b64 exec, exec, s[6:7]
	s_and_saveexec_b64 s[6:7], s[4:5]
	s_cbranch_execz .LBB35_1980
.LBB35_1979:
	v_bfe_u32 v0, v5, 24, 3
	v_ffbh_u32_e32 v10, v0
	v_min_u32_e32 v10, 32, v10
	v_lshrrev_b32_e32 v8, 27, v5
	v_subrev_u32_e32 v11, 28, v10
	v_and_b32_e32 v4, 0x80000000, v5
	v_and_b32_e32 v8, 15, v8
	v_bfe_u32 v9, v5, 27, 4
	v_lshlrev_b32_sdwa v5, v11, v5 dst_sel:DWORD dst_unused:UNUSED_PAD src0_sel:DWORD src1_sel:BYTE_3
	v_sub_u32_e32 v10, 29, v10
	v_and_b32_e32 v5, 7, v5
	v_cmp_eq_u16_e32 vcc, 0, v8
	v_cndmask_b32_e32 v0, v0, v5, vcc
	v_cndmask_b32_e32 v5, v9, v10, vcc
	v_mov_b32_e32 v8, 0x3b800000
	v_lshlrev_b32_e32 v0, 20, v0
	v_lshl_add_u32 v5, v5, 23, v8
	v_or3_b32 v0, v4, v5, v0
.LBB35_1980:
	s_or_b64 exec, exec, s[6:7]
	s_movk_i32 s4, 0x7f
	v_cmp_gt_i16_sdwa s[6:7], v1, s4 src0_sel:BYTE_3 src1_sel:DWORD
	s_mov_b64 s[4:5], 0
                                        ; implicit-def: $sgpr10
	s_and_saveexec_b64 s[8:9], s[6:7]
	s_xor_b64 s[6:7], exec, s[8:9]
	s_cbranch_execnz .LBB35_4029
; %bb.1981:
	s_or_saveexec_b64 s[6:7], s[6:7]
	v_mov_b32_e32 v4, s10
	s_xor_b64 exec, exec, s[6:7]
	s_cbranch_execnz .LBB35_4032
.LBB35_1982:
	s_or_b64 exec, exec, s[6:7]
	s_and_saveexec_b64 s[6:7], s[4:5]
	s_cbranch_execz .LBB35_1984
.LBB35_1983:
	v_bfe_u32 v4, v1, 24, 3
	v_ffbh_u32_e32 v10, v4
	v_min_u32_e32 v10, 32, v10
	v_lshrrev_b32_e32 v8, 27, v1
	v_subrev_u32_e32 v11, 28, v10
	v_and_b32_e32 v5, 0x80000000, v1
	v_and_b32_e32 v8, 15, v8
	v_bfe_u32 v9, v1, 27, 4
	v_lshlrev_b32_sdwa v1, v11, v1 dst_sel:DWORD dst_unused:UNUSED_PAD src0_sel:DWORD src1_sel:BYTE_3
	v_sub_u32_e32 v10, 29, v10
	v_and_b32_e32 v1, 7, v1
	v_cmp_eq_u16_e32 vcc, 0, v8
	v_cndmask_b32_e32 v1, v4, v1, vcc
	v_cndmask_b32_e32 v4, v9, v10, vcc
	v_mov_b32_e32 v8, 0x3b800000
	v_lshlrev_b32_e32 v1, 20, v1
	v_lshl_add_u32 v4, v4, 23, v8
	v_or3_b32 v4, v5, v4, v1
.LBB35_1984:
	s_or_b64 exec, exec, s[6:7]
	s_nop 0
	v_mfma_f32_16x16x4f32 a[0:3], v0, v4, a[0:3]
	s_movk_i32 s4, 0x7f
	v_cmp_gt_i16_sdwa s[6:7], v6, s4 src0_sel:BYTE_0 src1_sel:DWORD
	s_mov_b64 s[4:5], 0
                                        ; implicit-def: $sgpr10
	s_and_saveexec_b64 s[8:9], s[6:7]
	s_xor_b64 s[6:7], exec, s[8:9]
	s_cbranch_execnz .LBB35_4033
; %bb.1985:
	s_or_saveexec_b64 s[6:7], s[6:7]
	v_mov_b32_e32 v0, s10
	s_xor_b64 exec, exec, s[6:7]
	s_cbranch_execnz .LBB35_4036
.LBB35_1986:
	s_or_b64 exec, exec, s[6:7]
	s_and_saveexec_b64 s[6:7], s[4:5]
	s_cbranch_execz .LBB35_1988
.LBB35_1987:
	v_and_b32_e32 v0, 7, v6
	v_ffbh_u32_e32 v4, v0
	v_min_u32_e32 v4, 32, v4
	v_lshrrev_b16_e32 v1, 3, v6
	v_subrev_u32_e32 v5, 28, v4
	v_and_b32_e32 v1, 15, v1
	v_lshlrev_b32_e32 v5, v5, v6
	v_sub_u32_e32 v4, 29, v4
	v_and_b32_e32 v5, 7, v5
	v_cmp_eq_u16_e32 vcc, 0, v1
	v_cndmask_b32_e32 v0, v0, v5, vcc
	v_cndmask_b32_e32 v1, v1, v4, vcc
	v_lshlrev_b32_e32 v4, 24, v6
	v_mov_b32_e32 v5, 0x3b800000
	v_lshlrev_b32_e32 v0, 20, v0
	v_and_b32_e32 v4, 0x80000000, v4
	v_lshl_add_u32 v1, v1, 23, v5
	v_or3_b32 v0, v4, v1, v0
.LBB35_1988:
	s_or_b64 exec, exec, s[6:7]
	s_movk_i32 s4, 0x7f
	v_cmp_gt_i16_sdwa s[6:7], v2, s4 src0_sel:BYTE_0 src1_sel:DWORD
	s_mov_b64 s[4:5], 0
                                        ; implicit-def: $sgpr10
	s_and_saveexec_b64 s[8:9], s[6:7]
	s_xor_b64 s[6:7], exec, s[8:9]
	s_cbranch_execnz .LBB35_4037
; %bb.1989:
	s_or_saveexec_b64 s[6:7], s[6:7]
	v_mov_b32_e32 v1, s10
	s_xor_b64 exec, exec, s[6:7]
	s_cbranch_execnz .LBB35_4040
.LBB35_1990:
	s_or_b64 exec, exec, s[6:7]
	s_and_saveexec_b64 s[6:7], s[4:5]
	s_cbranch_execz .LBB35_1992
.LBB35_1991:
	v_and_b32_e32 v1, 7, v2
	v_ffbh_u32_e32 v5, v1
	v_min_u32_e32 v5, 32, v5
	v_lshrrev_b16_e32 v4, 3, v2
	v_subrev_u32_e32 v8, 28, v5
	v_and_b32_e32 v4, 15, v4
	v_lshlrev_b32_e32 v8, v8, v2
	v_sub_u32_e32 v5, 29, v5
	v_and_b32_e32 v8, 7, v8
	v_cmp_eq_u16_e32 vcc, 0, v4
	v_cndmask_b32_e32 v1, v1, v8, vcc
	v_cndmask_b32_e32 v4, v4, v5, vcc
	v_lshlrev_b32_e32 v5, 24, v2
	v_mov_b32_e32 v8, 0x3b800000
	v_lshlrev_b32_e32 v1, 20, v1
	v_and_b32_e32 v5, 0x80000000, v5
	v_lshl_add_u32 v4, v4, 23, v8
	v_or3_b32 v1, v5, v4, v1
.LBB35_1992:
	s_or_b64 exec, exec, s[6:7]
	s_nop 0
	v_mfma_f32_16x16x4f32 a[0:3], v0, v1, a[0:3]
	v_lshrrev_b32_e32 v1, 8, v6
	s_movk_i32 s4, 0x7f
	v_cmp_gt_i16_sdwa s[6:7], v1, s4 src0_sel:BYTE_0 src1_sel:DWORD
	s_mov_b64 s[4:5], 0
                                        ; implicit-def: $sgpr10
	s_and_saveexec_b64 s[8:9], s[6:7]
	s_xor_b64 s[6:7], exec, s[8:9]
	s_cbranch_execnz .LBB35_4041
; %bb.1993:
	s_or_saveexec_b64 s[6:7], s[6:7]
	v_mov_b32_e32 v0, s10
	s_xor_b64 exec, exec, s[6:7]
	s_cbranch_execnz .LBB35_4044
.LBB35_1994:
	s_or_b64 exec, exec, s[6:7]
	s_and_saveexec_b64 s[6:7], s[4:5]
	s_cbranch_execz .LBB35_1996
.LBB35_1995:
	v_bfe_u32 v0, v6, 8, 3
	v_ffbh_u32_e32 v5, v0
	v_min_u32_e32 v5, 32, v5
	v_lshrrev_b16_e32 v4, 3, v1
	v_subrev_u32_e32 v8, 28, v5
	v_and_b32_e32 v4, 15, v4
	v_lshlrev_b32_e32 v1, v8, v1
	v_sub_u32_e32 v5, 29, v5
	v_and_b32_e32 v1, 7, v1
	v_cmp_eq_u16_e32 vcc, 0, v4
	v_cndmask_b32_e32 v0, v0, v1, vcc
	v_cndmask_b32_e32 v1, v4, v5, vcc
	v_lshlrev_b32_e32 v4, 16, v6
	v_mov_b32_e32 v5, 0x3b800000
	v_lshlrev_b32_e32 v0, 20, v0
	v_and_b32_e32 v4, 0x80000000, v4
	v_lshl_add_u32 v1, v1, 23, v5
	v_or3_b32 v0, v4, v1, v0
.LBB35_1996:
	s_or_b64 exec, exec, s[6:7]
	v_lshrrev_b32_e32 v1, 8, v2
	s_movk_i32 s4, 0x7f
	v_cmp_gt_i16_sdwa s[6:7], v1, s4 src0_sel:BYTE_0 src1_sel:DWORD
	s_mov_b64 s[4:5], 0
                                        ; implicit-def: $sgpr10
	s_and_saveexec_b64 s[8:9], s[6:7]
	s_xor_b64 s[6:7], exec, s[8:9]
	s_cbranch_execnz .LBB35_4045
; %bb.1997:
	s_or_saveexec_b64 s[6:7], s[6:7]
	v_mov_b32_e32 v4, s10
	s_xor_b64 exec, exec, s[6:7]
	s_cbranch_execnz .LBB35_4048
.LBB35_1998:
	s_or_b64 exec, exec, s[6:7]
	s_and_saveexec_b64 s[6:7], s[4:5]
	s_cbranch_execz .LBB35_2000
.LBB35_1999:
	v_bfe_u32 v4, v2, 8, 3
	v_ffbh_u32_e32 v8, v4
	v_min_u32_e32 v8, 32, v8
	v_lshrrev_b16_e32 v5, 3, v1
	v_subrev_u32_e32 v9, 28, v8
	v_and_b32_e32 v5, 15, v5
	v_lshlrev_b32_e32 v1, v9, v1
	v_sub_u32_e32 v8, 29, v8
	v_and_b32_e32 v1, 7, v1
	v_cmp_eq_u16_e32 vcc, 0, v5
	v_cndmask_b32_e32 v1, v4, v1, vcc
	v_cndmask_b32_e32 v4, v5, v8, vcc
	v_lshlrev_b32_e32 v5, 16, v2
	v_mov_b32_e32 v8, 0x3b800000
	v_lshlrev_b32_e32 v1, 20, v1
	v_and_b32_e32 v5, 0x80000000, v5
	v_lshl_add_u32 v4, v4, 23, v8
	v_or3_b32 v4, v5, v4, v1
.LBB35_2000:
	s_or_b64 exec, exec, s[6:7]
	s_nop 0
	v_mfma_f32_16x16x4f32 a[0:3], v0, v4, a[0:3]
	s_movk_i32 s4, 0xff
	v_and_b32_sdwa v1, v6, s4 dst_sel:DWORD dst_unused:UNUSED_PAD src0_sel:WORD_1 src1_sel:DWORD
	s_movk_i32 s4, 0x7f
	v_cmp_lt_i16_e32 vcc, s4, v1
	s_mov_b64 s[4:5], 0
                                        ; implicit-def: $sgpr10
	s_and_saveexec_b64 s[6:7], vcc
	s_xor_b64 s[6:7], exec, s[6:7]
	s_cbranch_execnz .LBB35_4049
; %bb.2001:
	s_or_saveexec_b64 s[6:7], s[6:7]
	v_mov_b32_e32 v0, s10
	s_xor_b64 exec, exec, s[6:7]
	s_cbranch_execnz .LBB35_4052
.LBB35_2002:
	s_or_b64 exec, exec, s[6:7]
	s_and_saveexec_b64 s[6:7], s[4:5]
	s_cbranch_execz .LBB35_2004
.LBB35_2003:
	v_bfe_u32 v0, v6, 16, 3
	v_ffbh_u32_e32 v5, v0
	v_min_u32_e32 v5, 32, v5
	v_lshrrev_b32_e32 v1, 19, v6
	v_subrev_u32_e32 v8, 28, v5
	v_and_b32_e32 v1, 15, v1
	v_lshlrev_b32_sdwa v8, v8, v6 dst_sel:DWORD dst_unused:UNUSED_PAD src0_sel:DWORD src1_sel:WORD_1
	v_bfe_u32 v4, v6, 19, 4
	v_sub_u32_e32 v5, 29, v5
	v_and_b32_e32 v8, 7, v8
	v_cmp_eq_u16_e32 vcc, 0, v1
	v_cndmask_b32_e32 v0, v0, v8, vcc
	v_cndmask_b32_e32 v1, v4, v5, vcc
	v_lshlrev_b32_e32 v4, 8, v6
	v_mov_b32_e32 v5, 0x3b800000
	v_lshlrev_b32_e32 v0, 20, v0
	v_and_b32_e32 v4, 0x80000000, v4
	v_lshl_add_u32 v1, v1, 23, v5
	v_or3_b32 v0, v4, v1, v0
.LBB35_2004:
	s_or_b64 exec, exec, s[6:7]
	s_movk_i32 s4, 0xff
	v_and_b32_sdwa v1, v2, s4 dst_sel:DWORD dst_unused:UNUSED_PAD src0_sel:WORD_1 src1_sel:DWORD
	s_movk_i32 s4, 0x7f
	v_cmp_lt_i16_e32 vcc, s4, v1
	s_mov_b64 s[4:5], 0
                                        ; implicit-def: $sgpr10
	s_and_saveexec_b64 s[6:7], vcc
	s_xor_b64 s[6:7], exec, s[6:7]
	s_cbranch_execnz .LBB35_4053
; %bb.2005:
	s_or_saveexec_b64 s[6:7], s[6:7]
	v_mov_b32_e32 v4, s10
	s_xor_b64 exec, exec, s[6:7]
	s_cbranch_execnz .LBB35_4056
.LBB35_2006:
	s_or_b64 exec, exec, s[6:7]
	s_and_saveexec_b64 s[6:7], s[4:5]
	s_cbranch_execz .LBB35_2008
.LBB35_2007:
	v_bfe_u32 v1, v2, 16, 3
	v_ffbh_u32_e32 v8, v1
	v_min_u32_e32 v8, 32, v8
	v_lshrrev_b32_e32 v4, 19, v2
	v_subrev_u32_e32 v9, 28, v8
	v_and_b32_e32 v4, 15, v4
	v_lshlrev_b32_sdwa v9, v9, v2 dst_sel:DWORD dst_unused:UNUSED_PAD src0_sel:DWORD src1_sel:WORD_1
	v_bfe_u32 v5, v2, 19, 4
	v_sub_u32_e32 v8, 29, v8
	v_and_b32_e32 v9, 7, v9
	v_cmp_eq_u16_e32 vcc, 0, v4
	v_cndmask_b32_e32 v1, v1, v9, vcc
	v_cndmask_b32_e32 v4, v5, v8, vcc
	v_lshlrev_b32_e32 v5, 8, v2
	v_mov_b32_e32 v8, 0x3b800000
	v_lshlrev_b32_e32 v1, 20, v1
	v_and_b32_e32 v5, 0x80000000, v5
	v_lshl_add_u32 v4, v4, 23, v8
	v_or3_b32 v4, v5, v4, v1
.LBB35_2008:
	s_or_b64 exec, exec, s[6:7]
	s_nop 0
	v_mfma_f32_16x16x4f32 a[0:3], v0, v4, a[0:3]
	s_movk_i32 s4, 0x7f
	v_cmp_gt_i16_sdwa s[6:7], v6, s4 src0_sel:BYTE_3 src1_sel:DWORD
	s_mov_b64 s[4:5], 0
                                        ; implicit-def: $sgpr10
	s_and_saveexec_b64 s[8:9], s[6:7]
	s_xor_b64 s[6:7], exec, s[8:9]
	s_cbranch_execnz .LBB35_4057
; %bb.2009:
	s_or_saveexec_b64 s[6:7], s[6:7]
	v_mov_b32_e32 v0, s10
	s_xor_b64 exec, exec, s[6:7]
	s_cbranch_execnz .LBB35_4060
.LBB35_2010:
	s_or_b64 exec, exec, s[6:7]
	s_and_saveexec_b64 s[6:7], s[4:5]
	s_cbranch_execz .LBB35_2012
.LBB35_2011:
	v_bfe_u32 v0, v6, 24, 3
	v_ffbh_u32_e32 v8, v0
	v_min_u32_e32 v8, 32, v8
	v_lshrrev_b32_e32 v4, 27, v6
	v_subrev_u32_e32 v9, 28, v8
	v_and_b32_e32 v1, 0x80000000, v6
	v_and_b32_e32 v4, 15, v4
	v_bfe_u32 v5, v6, 27, 4
	v_lshlrev_b32_sdwa v6, v9, v6 dst_sel:DWORD dst_unused:UNUSED_PAD src0_sel:DWORD src1_sel:BYTE_3
	v_sub_u32_e32 v8, 29, v8
	v_and_b32_e32 v6, 7, v6
	v_cmp_eq_u16_e32 vcc, 0, v4
	v_cndmask_b32_e32 v0, v0, v6, vcc
	v_cndmask_b32_e32 v4, v5, v8, vcc
	v_mov_b32_e32 v5, 0x3b800000
	v_lshlrev_b32_e32 v0, 20, v0
	v_lshl_add_u32 v4, v4, 23, v5
	v_or3_b32 v0, v1, v4, v0
.LBB35_2012:
	s_or_b64 exec, exec, s[6:7]
	s_movk_i32 s4, 0x7f
	v_cmp_gt_i16_sdwa s[6:7], v2, s4 src0_sel:BYTE_3 src1_sel:DWORD
	s_mov_b64 s[4:5], 0
                                        ; implicit-def: $sgpr10
	s_and_saveexec_b64 s[8:9], s[6:7]
	s_xor_b64 s[6:7], exec, s[8:9]
	s_cbranch_execnz .LBB35_4061
; %bb.2013:
	s_or_saveexec_b64 s[6:7], s[6:7]
	v_mov_b32_e32 v1, s10
	s_xor_b64 exec, exec, s[6:7]
	s_cbranch_execnz .LBB35_4064
.LBB35_2014:
	s_or_b64 exec, exec, s[6:7]
	s_and_saveexec_b64 s[6:7], s[4:5]
	s_cbranch_execz .LBB35_2016
.LBB35_2015:
	v_bfe_u32 v1, v2, 24, 3
	v_ffbh_u32_e32 v8, v1
	v_min_u32_e32 v8, 32, v8
	v_lshrrev_b32_e32 v5, 27, v2
	v_subrev_u32_e32 v9, 28, v8
	v_and_b32_e32 v4, 0x80000000, v2
	v_and_b32_e32 v5, 15, v5
	v_bfe_u32 v6, v2, 27, 4
	v_lshlrev_b32_sdwa v2, v9, v2 dst_sel:DWORD dst_unused:UNUSED_PAD src0_sel:DWORD src1_sel:BYTE_3
	v_sub_u32_e32 v8, 29, v8
	v_and_b32_e32 v2, 7, v2
	v_cmp_eq_u16_e32 vcc, 0, v5
	v_cndmask_b32_e32 v1, v1, v2, vcc
	v_cndmask_b32_e32 v2, v6, v8, vcc
	v_mov_b32_e32 v5, 0x3b800000
	v_lshlrev_b32_e32 v1, 20, v1
	v_lshl_add_u32 v2, v2, 23, v5
	v_or3_b32 v1, v4, v2, v1
.LBB35_2016:
	s_or_b64 exec, exec, s[6:7]
	s_nop 0
	v_mfma_f32_16x16x4f32 a[0:3], v0, v1, a[0:3]
	s_movk_i32 s4, 0x7f
	v_cmp_gt_i16_sdwa s[6:7], v7, s4 src0_sel:BYTE_0 src1_sel:DWORD
	s_mov_b64 s[4:5], 0
                                        ; implicit-def: $sgpr10
	s_and_saveexec_b64 s[8:9], s[6:7]
	s_xor_b64 s[6:7], exec, s[8:9]
	s_cbranch_execnz .LBB35_4065
; %bb.2017:
	s_or_saveexec_b64 s[6:7], s[6:7]
	v_mov_b32_e32 v0, s10
	s_xor_b64 exec, exec, s[6:7]
	s_cbranch_execnz .LBB35_4068
.LBB35_2018:
	s_or_b64 exec, exec, s[6:7]
	s_and_saveexec_b64 s[6:7], s[4:5]
	s_cbranch_execz .LBB35_2020
.LBB35_2019:
	v_mov_b32_e32 v0, 8
	v_and_b32_e32 v1, 7, v7
	v_lshrrev_b32_sdwa v0, v0, v7 dst_sel:BYTE_1 dst_unused:UNUSED_PAD src0_sel:DWORD src1_sel:DWORD
	v_ffbh_u32_e32 v2, v1
	v_or_b32_sdwa v0, v7, v0 dst_sel:DWORD dst_unused:UNUSED_PAD src0_sel:BYTE_0 src1_sel:DWORD
	v_min_u32_e32 v2, 32, v2
	v_lshrrev_b16_e32 v0, 3, v0
	v_subrev_u32_e32 v4, 28, v2
	v_and_b32_e32 v0, 15, v0
	v_lshlrev_b32_e32 v4, v4, v7
	v_sub_u32_e32 v2, 29, v2
	v_and_b32_e32 v4, 7, v4
	v_cmp_eq_u16_e32 vcc, 0, v0
	v_cndmask_b32_e32 v1, v1, v4, vcc
	v_cndmask_b32_e32 v0, v0, v2, vcc
	v_lshlrev_b32_e32 v2, 24, v7
	v_mov_b32_e32 v4, 0x3b800000
	v_lshlrev_b32_e32 v1, 20, v1
	v_and_b32_e32 v2, 0x80000000, v2
	v_lshl_add_u32 v0, v0, 23, v4
	v_or3_b32 v0, v2, v0, v1
.LBB35_2020:
	s_or_b64 exec, exec, s[6:7]
	s_movk_i32 s4, 0x7f
	v_cmp_gt_i16_sdwa s[6:7], v3, s4 src0_sel:BYTE_0 src1_sel:DWORD
	s_mov_b64 s[4:5], 0
                                        ; implicit-def: $sgpr10
	s_and_saveexec_b64 s[8:9], s[6:7]
	s_xor_b64 s[6:7], exec, s[8:9]
	s_cbranch_execnz .LBB35_4069
; %bb.2021:
	s_or_saveexec_b64 s[6:7], s[6:7]
	v_mov_b32_e32 v1, s10
	s_xor_b64 exec, exec, s[6:7]
	s_cbranch_execnz .LBB35_4072
.LBB35_2022:
	s_or_b64 exec, exec, s[6:7]
	s_and_saveexec_b64 s[6:7], s[4:5]
	s_cbranch_execz .LBB35_2024
.LBB35_2023:
	v_mov_b32_e32 v1, 8
	v_and_b32_e32 v2, 7, v3
	v_lshrrev_b32_sdwa v1, v1, v3 dst_sel:BYTE_1 dst_unused:UNUSED_PAD src0_sel:DWORD src1_sel:DWORD
	v_ffbh_u32_e32 v4, v2
	v_or_b32_sdwa v1, v3, v1 dst_sel:DWORD dst_unused:UNUSED_PAD src0_sel:BYTE_0 src1_sel:DWORD
	v_min_u32_e32 v4, 32, v4
	v_lshrrev_b16_e32 v1, 3, v1
	v_subrev_u32_e32 v5, 28, v4
	v_and_b32_e32 v1, 15, v1
	v_lshlrev_b32_e32 v5, v5, v3
	v_sub_u32_e32 v4, 29, v4
	v_and_b32_e32 v5, 7, v5
	v_cmp_eq_u16_e32 vcc, 0, v1
	v_cndmask_b32_e32 v2, v2, v5, vcc
	v_cndmask_b32_e32 v1, v1, v4, vcc
	v_lshlrev_b32_e32 v4, 24, v3
	v_mov_b32_e32 v5, 0x3b800000
	v_lshlrev_b32_e32 v2, 20, v2
	v_and_b32_e32 v4, 0x80000000, v4
	v_lshl_add_u32 v1, v1, 23, v5
	v_or3_b32 v1, v4, v1, v2
.LBB35_2024:
	s_or_b64 exec, exec, s[6:7]
	s_nop 0
	v_mfma_f32_16x16x4f32 a[0:3], v0, v1, a[0:3]
	v_lshrrev_b32_e32 v1, 8, v7
	s_movk_i32 s4, 0x7f
	v_cmp_gt_i16_sdwa s[6:7], v1, s4 src0_sel:BYTE_0 src1_sel:DWORD
	s_mov_b64 s[4:5], 0
                                        ; implicit-def: $sgpr10
	s_and_saveexec_b64 s[8:9], s[6:7]
	s_xor_b64 s[6:7], exec, s[8:9]
	s_cbranch_execnz .LBB35_4073
; %bb.2025:
	s_or_saveexec_b64 s[6:7], s[6:7]
	v_mov_b32_e32 v0, s10
	s_xor_b64 exec, exec, s[6:7]
	s_cbranch_execnz .LBB35_4076
.LBB35_2026:
	s_or_b64 exec, exec, s[6:7]
	s_and_saveexec_b64 s[6:7], s[4:5]
	s_cbranch_execz .LBB35_2028
.LBB35_2027:
	v_bfe_u32 v0, v7, 8, 3
	v_ffbh_u32_e32 v4, v0
	v_min_u32_e32 v4, 32, v4
	v_lshrrev_b16_e32 v2, 3, v1
	v_subrev_u32_e32 v5, 28, v4
	v_and_b32_e32 v2, 15, v2
	v_lshlrev_b32_e32 v1, v5, v1
	v_sub_u32_e32 v4, 29, v4
	v_and_b32_e32 v1, 7, v1
	v_cmp_eq_u16_e32 vcc, 0, v2
	v_cndmask_b32_e32 v0, v0, v1, vcc
	v_cndmask_b32_e32 v1, v2, v4, vcc
	v_lshlrev_b32_e32 v2, 16, v7
	v_mov_b32_e32 v4, 0x3b800000
	v_lshlrev_b32_e32 v0, 20, v0
	v_and_b32_e32 v2, 0x80000000, v2
	v_lshl_add_u32 v1, v1, 23, v4
	v_or3_b32 v0, v2, v1, v0
.LBB35_2028:
	s_or_b64 exec, exec, s[6:7]
	v_lshrrev_b32_e32 v1, 8, v3
	s_movk_i32 s4, 0x7f
	v_cmp_gt_i16_sdwa s[6:7], v1, s4 src0_sel:BYTE_0 src1_sel:DWORD
	s_mov_b64 s[4:5], 0
                                        ; implicit-def: $sgpr10
	s_and_saveexec_b64 s[8:9], s[6:7]
	s_xor_b64 s[6:7], exec, s[8:9]
	s_cbranch_execnz .LBB35_4077
; %bb.2029:
	s_or_saveexec_b64 s[6:7], s[6:7]
	v_mov_b32_e32 v2, s10
	s_xor_b64 exec, exec, s[6:7]
	s_cbranch_execnz .LBB35_4080
.LBB35_2030:
	s_or_b64 exec, exec, s[6:7]
	s_and_saveexec_b64 s[6:7], s[4:5]
	s_cbranch_execz .LBB35_2032
.LBB35_2031:
	v_bfe_u32 v2, v3, 8, 3
	v_ffbh_u32_e32 v5, v2
	v_min_u32_e32 v5, 32, v5
	v_lshrrev_b16_e32 v4, 3, v1
	v_subrev_u32_e32 v6, 28, v5
	v_and_b32_e32 v4, 15, v4
	v_lshlrev_b32_e32 v1, v6, v1
	v_sub_u32_e32 v5, 29, v5
	v_and_b32_e32 v1, 7, v1
	v_cmp_eq_u16_e32 vcc, 0, v4
	v_cndmask_b32_e32 v1, v2, v1, vcc
	v_cndmask_b32_e32 v2, v4, v5, vcc
	v_lshlrev_b32_e32 v4, 16, v3
	v_mov_b32_e32 v5, 0x3b800000
	v_lshlrev_b32_e32 v1, 20, v1
	v_and_b32_e32 v4, 0x80000000, v4
	v_lshl_add_u32 v2, v2, 23, v5
	v_or3_b32 v2, v4, v2, v1
.LBB35_2032:
	s_or_b64 exec, exec, s[6:7]
	s_nop 0
	v_mfma_f32_16x16x4f32 a[0:3], v0, v2, a[0:3]
	s_movk_i32 s4, 0xff
	v_and_b32_sdwa v1, v7, s4 dst_sel:DWORD dst_unused:UNUSED_PAD src0_sel:WORD_1 src1_sel:DWORD
	s_movk_i32 s4, 0x7f
	v_cmp_lt_i16_e32 vcc, s4, v1
	s_mov_b64 s[4:5], 0
                                        ; implicit-def: $sgpr10
	s_and_saveexec_b64 s[6:7], vcc
	s_xor_b64 s[6:7], exec, s[6:7]
	s_cbranch_execnz .LBB35_4081
; %bb.2033:
	s_or_saveexec_b64 s[6:7], s[6:7]
	v_mov_b32_e32 v0, s10
	s_xor_b64 exec, exec, s[6:7]
	s_cbranch_execnz .LBB35_4084
.LBB35_2034:
	s_or_b64 exec, exec, s[6:7]
	s_and_saveexec_b64 s[6:7], s[4:5]
	s_cbranch_execz .LBB35_2036
.LBB35_2035:
	v_bfe_u32 v0, v7, 16, 3
	v_ffbh_u32_e32 v4, v0
	v_min_u32_e32 v4, 32, v4
	v_lshrrev_b32_e32 v1, 19, v7
	v_subrev_u32_e32 v5, 28, v4
	v_and_b32_e32 v1, 15, v1
	v_lshlrev_b32_sdwa v5, v5, v7 dst_sel:DWORD dst_unused:UNUSED_PAD src0_sel:DWORD src1_sel:WORD_1
	v_bfe_u32 v2, v7, 19, 4
	v_sub_u32_e32 v4, 29, v4
	v_and_b32_e32 v5, 7, v5
	v_cmp_eq_u16_e32 vcc, 0, v1
	v_cndmask_b32_e32 v0, v0, v5, vcc
	v_cndmask_b32_e32 v1, v2, v4, vcc
	v_lshlrev_b32_e32 v2, 8, v7
	v_mov_b32_e32 v4, 0x3b800000
	v_lshlrev_b32_e32 v0, 20, v0
	v_and_b32_e32 v2, 0x80000000, v2
	v_lshl_add_u32 v1, v1, 23, v4
	v_or3_b32 v0, v2, v1, v0
.LBB35_2036:
	s_or_b64 exec, exec, s[6:7]
	s_movk_i32 s4, 0xff
	v_and_b32_sdwa v1, v3, s4 dst_sel:DWORD dst_unused:UNUSED_PAD src0_sel:WORD_1 src1_sel:DWORD
	s_movk_i32 s4, 0x7f
	v_cmp_lt_i16_e32 vcc, s4, v1
	s_mov_b64 s[4:5], 0
                                        ; implicit-def: $sgpr10
	s_and_saveexec_b64 s[6:7], vcc
	s_xor_b64 s[6:7], exec, s[6:7]
	s_cbranch_execnz .LBB35_4085
; %bb.2037:
	s_or_saveexec_b64 s[6:7], s[6:7]
	v_mov_b32_e32 v2, s10
	s_xor_b64 exec, exec, s[6:7]
	s_cbranch_execnz .LBB35_4088
.LBB35_2038:
	s_or_b64 exec, exec, s[6:7]
	s_and_saveexec_b64 s[6:7], s[4:5]
	s_cbranch_execz .LBB35_2040
.LBB35_2039:
	v_bfe_u32 v1, v3, 16, 3
	v_ffbh_u32_e32 v5, v1
	v_min_u32_e32 v5, 32, v5
	v_lshrrev_b32_e32 v2, 19, v3
	v_subrev_u32_e32 v6, 28, v5
	v_and_b32_e32 v2, 15, v2
	v_lshlrev_b32_sdwa v6, v6, v3 dst_sel:DWORD dst_unused:UNUSED_PAD src0_sel:DWORD src1_sel:WORD_1
	v_bfe_u32 v4, v3, 19, 4
	v_sub_u32_e32 v5, 29, v5
	v_and_b32_e32 v6, 7, v6
	v_cmp_eq_u16_e32 vcc, 0, v2
	v_cndmask_b32_e32 v1, v1, v6, vcc
	v_cndmask_b32_e32 v2, v4, v5, vcc
	v_lshlrev_b32_e32 v4, 8, v3
	v_mov_b32_e32 v5, 0x3b800000
	v_lshlrev_b32_e32 v1, 20, v1
	v_and_b32_e32 v4, 0x80000000, v4
	v_lshl_add_u32 v2, v2, 23, v5
	v_or3_b32 v2, v4, v2, v1
.LBB35_2040:
	s_or_b64 exec, exec, s[6:7]
	s_nop 0
	v_mfma_f32_16x16x4f32 a[0:3], v0, v2, a[0:3]
	s_movk_i32 s4, 0x7f
	v_cmp_gt_i16_sdwa s[6:7], v7, s4 src0_sel:BYTE_3 src1_sel:DWORD
	s_mov_b64 s[4:5], 0
                                        ; implicit-def: $sgpr10
	s_and_saveexec_b64 s[8:9], s[6:7]
	s_xor_b64 s[6:7], exec, s[8:9]
	s_cbranch_execnz .LBB35_4089
; %bb.2041:
	s_or_saveexec_b64 s[6:7], s[6:7]
	v_mov_b32_e32 v0, s10
	s_xor_b64 exec, exec, s[6:7]
	s_cbranch_execnz .LBB35_4092
.LBB35_2042:
	s_or_b64 exec, exec, s[6:7]
	s_and_saveexec_b64 s[6:7], s[4:5]
	s_cbranch_execz .LBB35_2044
.LBB35_2043:
	v_bfe_u32 v0, v7, 24, 3
	v_ffbh_u32_e32 v5, v0
	v_min_u32_e32 v5, 32, v5
	v_lshrrev_b32_e32 v2, 27, v7
	v_subrev_u32_e32 v6, 28, v5
	v_and_b32_e32 v2, 15, v2
	v_lshlrev_b32_sdwa v6, v6, v7 dst_sel:DWORD dst_unused:UNUSED_PAD src0_sel:DWORD src1_sel:BYTE_3
	v_bfe_u32 v4, v7, 27, 4
	v_sub_u32_e32 v5, 29, v5
	v_and_b32_e32 v6, 7, v6
	v_cmp_eq_u16_e32 vcc, 0, v2
	v_cndmask_b32_e32 v0, v0, v6, vcc
	v_cndmask_b32_e32 v2, v4, v5, vcc
	v_mov_b32_e32 v4, 0x3b800000
	v_and_b32_e32 v1, 0x80000000, v7
	v_lshlrev_b32_e32 v0, 20, v0
	v_lshl_add_u32 v2, v2, 23, v4
	v_or3_b32 v0, v1, v2, v0
.LBB35_2044:
	s_or_b64 exec, exec, s[6:7]
	s_movk_i32 s4, 0x7f
	v_cmp_gt_i16_sdwa s[6:7], v3, s4 src0_sel:BYTE_3 src1_sel:DWORD
	s_mov_b64 s[4:5], 0
                                        ; implicit-def: $sgpr10
	s_and_saveexec_b64 s[8:9], s[6:7]
	s_xor_b64 s[6:7], exec, s[8:9]
	s_cbranch_execnz .LBB35_4093
; %bb.2045:
	s_or_saveexec_b64 s[6:7], s[6:7]
	v_mov_b32_e32 v1, s10
	s_xor_b64 exec, exec, s[6:7]
	s_cbranch_execnz .LBB35_4096
.LBB35_2046:
	s_or_b64 exec, exec, s[6:7]
	s_and_saveexec_b64 s[6:7], s[4:5]
	s_cbranch_execz .LBB35_2048
.LBB35_2047:
	v_bfe_u32 v1, v3, 24, 3
	v_ffbh_u32_e32 v6, v1
	v_min_u32_e32 v6, 32, v6
	v_lshrrev_b32_e32 v4, 27, v3
	v_subrev_u32_e32 v7, 28, v6
	v_and_b32_e32 v2, 0x80000000, v3
	v_and_b32_e32 v4, 15, v4
	v_bfe_u32 v5, v3, 27, 4
	v_lshlrev_b32_sdwa v3, v7, v3 dst_sel:DWORD dst_unused:UNUSED_PAD src0_sel:DWORD src1_sel:BYTE_3
	v_sub_u32_e32 v6, 29, v6
	v_and_b32_e32 v3, 7, v3
	v_cmp_eq_u16_e32 vcc, 0, v4
	v_cndmask_b32_e32 v1, v1, v3, vcc
	v_cndmask_b32_e32 v3, v5, v6, vcc
	v_mov_b32_e32 v4, 0x3b800000
	v_lshlrev_b32_e32 v1, 20, v1
	v_lshl_add_u32 v3, v3, 23, v4
	v_or3_b32 v1, v2, v3, v1
.LBB35_2048:
	s_or_b64 exec, exec, s[6:7]
	s_nop 0
	v_mfma_f32_16x16x4f32 a[0:3], v0, v1, a[0:3]
	s_nop 7
	s_nop 2
	flat_store_dwordx4 v[16:17], a[0:3] offset:1008
	s_waitcnt vmcnt(0) lgkmcnt(0)
	s_setpc_b64 s[30:31]
.LBB35_2049:
	s_movk_i32 s4, 0x80
	v_cmp_eq_u16_sdwa s[12:13], v14, s4 src0_sel:BYTE_0 src1_sel:DWORD
	s_mov_b64 s[4:5], -1
                                        ; implicit-def: $sgpr10
	s_and_saveexec_b64 s[8:9], s[12:13]
; %bb.2050:
	s_mov_b32 s10, 0x7f800001
	s_xor_b64 s[4:5], exec, -1
; %bb.2051:
	s_or_b64 exec, exec, s[8:9]
	s_and_b64 s[4:5], s[4:5], exec
	s_or_saveexec_b64 s[6:7], s[6:7]
	v_mov_b32_e32 v20, s10
	s_xor_b64 exec, exec, s[6:7]
	s_cbranch_execz .LBB35_2
.LBB35_2052:
	v_mov_b32_e32 v20, 0
	v_cmp_ne_u16_sdwa s[8:9], v14, v20 src0_sel:BYTE_0 src1_sel:DWORD
	s_andn2_b64 s[4:5], s[4:5], exec
	s_and_b64 s[8:9], s[8:9], exec
	s_or_b64 s[4:5], s[4:5], s[8:9]
	s_or_b64 exec, exec, s[6:7]
	s_and_saveexec_b64 s[6:7], s[4:5]
	s_cbranch_execnz .LBB35_3
	s_branch .LBB35_4
.LBB35_2053:
	s_movk_i32 s4, 0x80
	v_cmp_eq_u16_sdwa s[12:13], v10, s4 src0_sel:BYTE_0 src1_sel:DWORD
	s_mov_b64 s[4:5], -1
                                        ; implicit-def: $sgpr10
	s_and_saveexec_b64 s[8:9], s[12:13]
; %bb.2054:
	s_mov_b32 s10, 0x7f800001
	s_xor_b64 s[4:5], exec, -1
; %bb.2055:
	s_or_b64 exec, exec, s[8:9]
	s_and_b64 s[4:5], s[4:5], exec
	s_or_saveexec_b64 s[6:7], s[6:7]
	v_mov_b32_e32 v21, s10
	s_xor_b64 exec, exec, s[6:7]
	s_cbranch_execz .LBB35_6
.LBB35_2056:
	v_mov_b32_e32 v21, 0
	v_cmp_ne_u16_sdwa s[8:9], v10, v21 src0_sel:BYTE_0 src1_sel:DWORD
	s_andn2_b64 s[4:5], s[4:5], exec
	s_and_b64 s[8:9], s[8:9], exec
	s_or_b64 s[4:5], s[4:5], s[8:9]
	s_or_b64 exec, exec, s[6:7]
	s_and_saveexec_b64 s[6:7], s[4:5]
	s_cbranch_execnz .LBB35_7
	s_branch .LBB35_8
.LBB35_2057:
	s_movk_i32 s4, 0x80
	v_cmp_eq_u16_sdwa s[12:13], v21, s4 src0_sel:BYTE_0 src1_sel:DWORD
	s_mov_b64 s[4:5], -1
                                        ; implicit-def: $sgpr10
	s_and_saveexec_b64 s[8:9], s[12:13]
; %bb.2058:
	s_mov_b32 s10, 0x7f800001
	s_xor_b64 s[4:5], exec, -1
; %bb.2059:
	s_or_b64 exec, exec, s[8:9]
	s_and_b64 s[4:5], s[4:5], exec
	s_or_saveexec_b64 s[6:7], s[6:7]
	v_mov_b32_e32 v20, s10
	s_xor_b64 exec, exec, s[6:7]
	s_cbranch_execz .LBB35_10
.LBB35_2060:
	v_mov_b32_e32 v20, 0
	v_cmp_ne_u16_sdwa s[8:9], v21, v20 src0_sel:BYTE_0 src1_sel:DWORD
	s_andn2_b64 s[4:5], s[4:5], exec
	s_and_b64 s[8:9], s[8:9], exec
	s_or_b64 s[4:5], s[4:5], s[8:9]
	s_or_b64 exec, exec, s[6:7]
	s_and_saveexec_b64 s[6:7], s[4:5]
	s_cbranch_execnz .LBB35_11
	s_branch .LBB35_12
.LBB35_2061:
	s_movk_i32 s4, 0x80
	v_cmp_eq_u16_sdwa s[12:13], v21, s4 src0_sel:BYTE_0 src1_sel:DWORD
	s_mov_b64 s[4:5], -1
                                        ; implicit-def: $sgpr10
	s_and_saveexec_b64 s[8:9], s[12:13]
; %bb.2062:
	s_mov_b32 s10, 0x7f800001
	s_xor_b64 s[4:5], exec, -1
; %bb.2063:
	s_or_b64 exec, exec, s[8:9]
	s_and_b64 s[4:5], s[4:5], exec
	s_or_saveexec_b64 s[6:7], s[6:7]
	v_mov_b32_e32 v22, s10
	s_xor_b64 exec, exec, s[6:7]
	s_cbranch_execz .LBB35_14
.LBB35_2064:
	v_mov_b32_e32 v22, 0
	v_cmp_ne_u16_sdwa s[8:9], v21, v22 src0_sel:BYTE_0 src1_sel:DWORD
	s_andn2_b64 s[4:5], s[4:5], exec
	s_and_b64 s[8:9], s[8:9], exec
	s_or_b64 s[4:5], s[4:5], s[8:9]
	s_or_b64 exec, exec, s[6:7]
	s_and_saveexec_b64 s[6:7], s[4:5]
	s_cbranch_execnz .LBB35_15
	s_branch .LBB35_16
.LBB35_2065:
	s_movk_i32 s4, 0x80
	v_cmp_eq_u16_e32 vcc, s4, v21
	s_mov_b64 s[4:5], -1
                                        ; implicit-def: $sgpr10
	s_and_saveexec_b64 s[8:9], vcc
; %bb.2066:
	s_mov_b32 s10, 0x7f800001
	s_xor_b64 s[4:5], exec, -1
; %bb.2067:
	s_or_b64 exec, exec, s[8:9]
	s_and_b64 s[4:5], s[4:5], exec
                                        ; implicit-def: $vgpr21
	s_or_saveexec_b64 s[6:7], s[6:7]
	v_mov_b32_e32 v20, s10
	s_xor_b64 exec, exec, s[6:7]
	s_cbranch_execz .LBB35_18
.LBB35_2068:
	v_cmp_ne_u16_e32 vcc, 0, v21
	s_andn2_b64 s[4:5], s[4:5], exec
	s_and_b64 s[8:9], vcc, exec
	v_mov_b32_e32 v20, 0
	s_or_b64 s[4:5], s[4:5], s[8:9]
	s_or_b64 exec, exec, s[6:7]
	s_and_saveexec_b64 s[6:7], s[4:5]
	s_cbranch_execnz .LBB35_19
	s_branch .LBB35_20
.LBB35_2069:
	s_movk_i32 s4, 0x80
	v_cmp_eq_u16_e32 vcc, s4, v21
	s_mov_b64 s[4:5], -1
                                        ; implicit-def: $sgpr10
	s_and_saveexec_b64 s[8:9], vcc
; %bb.2070:
	s_mov_b32 s10, 0x7f800001
	s_xor_b64 s[4:5], exec, -1
; %bb.2071:
	s_or_b64 exec, exec, s[8:9]
	s_and_b64 s[4:5], s[4:5], exec
                                        ; implicit-def: $vgpr21
	s_or_saveexec_b64 s[6:7], s[6:7]
	v_mov_b32_e32 v22, s10
	s_xor_b64 exec, exec, s[6:7]
	s_cbranch_execz .LBB35_22
.LBB35_2072:
	v_cmp_ne_u16_e32 vcc, 0, v21
	s_andn2_b64 s[4:5], s[4:5], exec
	s_and_b64 s[8:9], vcc, exec
	v_mov_b32_e32 v22, 0
	s_or_b64 s[4:5], s[4:5], s[8:9]
	s_or_b64 exec, exec, s[6:7]
	s_and_saveexec_b64 s[6:7], s[4:5]
	s_cbranch_execnz .LBB35_23
	s_branch .LBB35_24
.LBB35_2073:
	s_movk_i32 s4, 0x80
	v_cmp_eq_u16_sdwa s[12:13], v14, s4 src0_sel:BYTE_3 src1_sel:DWORD
	s_mov_b64 s[4:5], -1
                                        ; implicit-def: $sgpr10
	s_and_saveexec_b64 s[8:9], s[12:13]
; %bb.2074:
	s_mov_b32 s10, 0x7f800001
	s_xor_b64 s[4:5], exec, -1
; %bb.2075:
	s_or_b64 exec, exec, s[8:9]
	s_and_b64 s[4:5], s[4:5], exec
	s_or_saveexec_b64 s[6:7], s[6:7]
	v_mov_b32_e32 v20, s10
	s_xor_b64 exec, exec, s[6:7]
	s_cbranch_execz .LBB35_26
.LBB35_2076:
	v_mov_b32_e32 v20, 0
	v_cmp_ne_u16_sdwa s[8:9], v14, v20 src0_sel:BYTE_3 src1_sel:DWORD
	s_andn2_b64 s[4:5], s[4:5], exec
	s_and_b64 s[8:9], s[8:9], exec
	s_or_b64 s[4:5], s[4:5], s[8:9]
	s_or_b64 exec, exec, s[6:7]
	s_and_saveexec_b64 s[6:7], s[4:5]
	s_cbranch_execnz .LBB35_27
	s_branch .LBB35_28
.LBB35_2077:
	s_movk_i32 s4, 0x80
	v_cmp_eq_u16_sdwa s[12:13], v10, s4 src0_sel:BYTE_3 src1_sel:DWORD
	s_mov_b64 s[4:5], -1
                                        ; implicit-def: $sgpr10
	s_and_saveexec_b64 s[8:9], s[12:13]
; %bb.2078:
	s_mov_b32 s10, 0x7f800001
	s_xor_b64 s[4:5], exec, -1
; %bb.2079:
	s_or_b64 exec, exec, s[8:9]
	s_and_b64 s[4:5], s[4:5], exec
	s_or_saveexec_b64 s[6:7], s[6:7]
	v_mov_b32_e32 v14, s10
	s_xor_b64 exec, exec, s[6:7]
	s_cbranch_execz .LBB35_30
.LBB35_2080:
	v_mov_b32_e32 v14, 0
	v_cmp_ne_u16_sdwa s[8:9], v10, v14 src0_sel:BYTE_3 src1_sel:DWORD
	s_andn2_b64 s[4:5], s[4:5], exec
	s_and_b64 s[8:9], s[8:9], exec
	s_or_b64 s[4:5], s[4:5], s[8:9]
	s_or_b64 exec, exec, s[6:7]
	s_and_saveexec_b64 s[6:7], s[4:5]
	s_cbranch_execnz .LBB35_31
	s_branch .LBB35_32
.LBB35_2081:
	s_movk_i32 s4, 0x80
	v_cmp_eq_u16_sdwa s[12:13], v15, s4 src0_sel:BYTE_0 src1_sel:DWORD
	s_mov_b64 s[4:5], -1
                                        ; implicit-def: $sgpr10
	s_and_saveexec_b64 s[8:9], s[12:13]
; %bb.2082:
	s_mov_b32 s10, 0x7f800001
	s_xor_b64 s[4:5], exec, -1
; %bb.2083:
	s_or_b64 exec, exec, s[8:9]
	s_and_b64 s[4:5], s[4:5], exec
	s_or_saveexec_b64 s[6:7], s[6:7]
	v_mov_b32_e32 v10, s10
	s_xor_b64 exec, exec, s[6:7]
	s_cbranch_execz .LBB35_34
.LBB35_2084:
	v_mov_b32_e32 v10, 0
	v_cmp_ne_u16_sdwa s[8:9], v15, v10 src0_sel:BYTE_0 src1_sel:DWORD
	s_andn2_b64 s[4:5], s[4:5], exec
	s_and_b64 s[8:9], s[8:9], exec
	s_or_b64 s[4:5], s[4:5], s[8:9]
	s_or_b64 exec, exec, s[6:7]
	s_and_saveexec_b64 s[6:7], s[4:5]
	s_cbranch_execnz .LBB35_35
	s_branch .LBB35_36
.LBB35_2085:
	s_movk_i32 s4, 0x80
	v_cmp_eq_u16_sdwa s[12:13], v11, s4 src0_sel:BYTE_0 src1_sel:DWORD
	s_mov_b64 s[4:5], -1
                                        ; implicit-def: $sgpr10
	s_and_saveexec_b64 s[8:9], s[12:13]
; %bb.2086:
	s_mov_b32 s10, 0x7f800001
	s_xor_b64 s[4:5], exec, -1
; %bb.2087:
	s_or_b64 exec, exec, s[8:9]
	s_and_b64 s[4:5], s[4:5], exec
	s_or_saveexec_b64 s[6:7], s[6:7]
	v_mov_b32_e32 v14, s10
	s_xor_b64 exec, exec, s[6:7]
	s_cbranch_execz .LBB35_38
.LBB35_2088:
	v_mov_b32_e32 v14, 0
	v_cmp_ne_u16_sdwa s[8:9], v11, v14 src0_sel:BYTE_0 src1_sel:DWORD
	s_andn2_b64 s[4:5], s[4:5], exec
	s_and_b64 s[8:9], s[8:9], exec
	s_or_b64 s[4:5], s[4:5], s[8:9]
	s_or_b64 exec, exec, s[6:7]
	s_and_saveexec_b64 s[6:7], s[4:5]
	s_cbranch_execnz .LBB35_39
	s_branch .LBB35_40
.LBB35_2089:
	s_movk_i32 s4, 0x80
	v_cmp_eq_u16_sdwa s[12:13], v14, s4 src0_sel:BYTE_0 src1_sel:DWORD
	s_mov_b64 s[4:5], -1
                                        ; implicit-def: $sgpr10
	s_and_saveexec_b64 s[8:9], s[12:13]
; %bb.2090:
	s_mov_b32 s10, 0x7f800001
	s_xor_b64 s[4:5], exec, -1
; %bb.2091:
	s_or_b64 exec, exec, s[8:9]
	s_and_b64 s[4:5], s[4:5], exec
	s_or_saveexec_b64 s[6:7], s[6:7]
	v_mov_b32_e32 v10, s10
	s_xor_b64 exec, exec, s[6:7]
	s_cbranch_execz .LBB35_42
.LBB35_2092:
	v_mov_b32_e32 v10, 0
	v_cmp_ne_u16_sdwa s[8:9], v14, v10 src0_sel:BYTE_0 src1_sel:DWORD
	s_andn2_b64 s[4:5], s[4:5], exec
	s_and_b64 s[8:9], s[8:9], exec
	s_or_b64 s[4:5], s[4:5], s[8:9]
	s_or_b64 exec, exec, s[6:7]
	s_and_saveexec_b64 s[6:7], s[4:5]
	s_cbranch_execnz .LBB35_43
	s_branch .LBB35_44
.LBB35_2093:
	s_movk_i32 s4, 0x80
	v_cmp_eq_u16_sdwa s[12:13], v14, s4 src0_sel:BYTE_0 src1_sel:DWORD
	s_mov_b64 s[4:5], -1
                                        ; implicit-def: $sgpr10
	s_and_saveexec_b64 s[8:9], s[12:13]
; %bb.2094:
	s_mov_b32 s10, 0x7f800001
	s_xor_b64 s[4:5], exec, -1
; %bb.2095:
	s_or_b64 exec, exec, s[8:9]
	s_and_b64 s[4:5], s[4:5], exec
	s_or_saveexec_b64 s[6:7], s[6:7]
	v_mov_b32_e32 v20, s10
	s_xor_b64 exec, exec, s[6:7]
	s_cbranch_execz .LBB35_46
.LBB35_2096:
	v_mov_b32_e32 v20, 0
	v_cmp_ne_u16_sdwa s[8:9], v14, v20 src0_sel:BYTE_0 src1_sel:DWORD
	s_andn2_b64 s[4:5], s[4:5], exec
	s_and_b64 s[8:9], s[8:9], exec
	s_or_b64 s[4:5], s[4:5], s[8:9]
	s_or_b64 exec, exec, s[6:7]
	s_and_saveexec_b64 s[6:7], s[4:5]
	s_cbranch_execnz .LBB35_47
	s_branch .LBB35_48
.LBB35_2097:
	s_movk_i32 s4, 0x80
	v_cmp_eq_u16_e32 vcc, s4, v14
	s_mov_b64 s[4:5], -1
                                        ; implicit-def: $sgpr10
	s_and_saveexec_b64 s[8:9], vcc
; %bb.2098:
	s_mov_b32 s10, 0x7f800001
	s_xor_b64 s[4:5], exec, -1
; %bb.2099:
	s_or_b64 exec, exec, s[8:9]
	s_and_b64 s[4:5], s[4:5], exec
                                        ; implicit-def: $vgpr14
	s_or_saveexec_b64 s[6:7], s[6:7]
	v_mov_b32_e32 v10, s10
	s_xor_b64 exec, exec, s[6:7]
	s_cbranch_execz .LBB35_50
.LBB35_2100:
	v_cmp_ne_u16_e32 vcc, 0, v14
	s_andn2_b64 s[4:5], s[4:5], exec
	s_and_b64 s[8:9], vcc, exec
	v_mov_b32_e32 v10, 0
	s_or_b64 s[4:5], s[4:5], s[8:9]
	s_or_b64 exec, exec, s[6:7]
	s_and_saveexec_b64 s[6:7], s[4:5]
	s_cbranch_execnz .LBB35_51
	s_branch .LBB35_52
.LBB35_2101:
	s_movk_i32 s4, 0x80
	v_cmp_eq_u16_e32 vcc, s4, v14
	s_mov_b64 s[4:5], -1
                                        ; implicit-def: $sgpr10
	s_and_saveexec_b64 s[8:9], vcc
; %bb.2102:
	s_mov_b32 s10, 0x7f800001
	s_xor_b64 s[4:5], exec, -1
; %bb.2103:
	s_or_b64 exec, exec, s[8:9]
	s_and_b64 s[4:5], s[4:5], exec
                                        ; implicit-def: $vgpr14
	s_or_saveexec_b64 s[6:7], s[6:7]
	v_mov_b32_e32 v20, s10
	s_xor_b64 exec, exec, s[6:7]
	s_cbranch_execz .LBB35_54
.LBB35_2104:
	v_cmp_ne_u16_e32 vcc, 0, v14
	s_andn2_b64 s[4:5], s[4:5], exec
	s_and_b64 s[8:9], vcc, exec
	v_mov_b32_e32 v20, 0
	s_or_b64 s[4:5], s[4:5], s[8:9]
	s_or_b64 exec, exec, s[6:7]
	s_and_saveexec_b64 s[6:7], s[4:5]
	s_cbranch_execnz .LBB35_55
	s_branch .LBB35_56
.LBB35_2105:
	s_movk_i32 s4, 0x80
	v_cmp_eq_u16_sdwa s[12:13], v15, s4 src0_sel:BYTE_3 src1_sel:DWORD
	s_mov_b64 s[4:5], -1
                                        ; implicit-def: $sgpr10
	s_and_saveexec_b64 s[8:9], s[12:13]
; %bb.2106:
	s_mov_b32 s10, 0x7f800001
	s_xor_b64 s[4:5], exec, -1
; %bb.2107:
	s_or_b64 exec, exec, s[8:9]
	s_and_b64 s[4:5], s[4:5], exec
	s_or_saveexec_b64 s[6:7], s[6:7]
	v_mov_b32_e32 v10, s10
	s_xor_b64 exec, exec, s[6:7]
	s_cbranch_execz .LBB35_58
.LBB35_2108:
	v_mov_b32_e32 v10, 0
	v_cmp_ne_u16_sdwa s[8:9], v15, v10 src0_sel:BYTE_3 src1_sel:DWORD
	s_andn2_b64 s[4:5], s[4:5], exec
	s_and_b64 s[8:9], s[8:9], exec
	s_or_b64 s[4:5], s[4:5], s[8:9]
	s_or_b64 exec, exec, s[6:7]
	s_and_saveexec_b64 s[6:7], s[4:5]
	s_cbranch_execnz .LBB35_59
	s_branch .LBB35_60
.LBB35_2109:
	s_movk_i32 s4, 0x80
	v_cmp_eq_u16_sdwa s[12:13], v11, s4 src0_sel:BYTE_3 src1_sel:DWORD
	s_mov_b64 s[4:5], -1
                                        ; implicit-def: $sgpr10
	s_and_saveexec_b64 s[8:9], s[12:13]
; %bb.2110:
	s_mov_b32 s10, 0x7f800001
	s_xor_b64 s[4:5], exec, -1
; %bb.2111:
	s_or_b64 exec, exec, s[8:9]
	s_and_b64 s[4:5], s[4:5], exec
	s_or_saveexec_b64 s[6:7], s[6:7]
	v_mov_b32_e32 v14, s10
	s_xor_b64 exec, exec, s[6:7]
	s_cbranch_execz .LBB35_62
.LBB35_2112:
	v_mov_b32_e32 v14, 0
	v_cmp_ne_u16_sdwa s[8:9], v11, v14 src0_sel:BYTE_3 src1_sel:DWORD
	s_andn2_b64 s[4:5], s[4:5], exec
	s_and_b64 s[8:9], s[8:9], exec
	s_or_b64 s[4:5], s[4:5], s[8:9]
	s_or_b64 exec, exec, s[6:7]
	s_and_saveexec_b64 s[6:7], s[4:5]
	s_cbranch_execnz .LBB35_63
	s_branch .LBB35_64
.LBB35_2113:
	s_movk_i32 s4, 0x80
	v_cmp_eq_u16_sdwa s[12:13], v16, s4 src0_sel:BYTE_0 src1_sel:DWORD
	s_mov_b64 s[4:5], -1
                                        ; implicit-def: $sgpr10
	s_and_saveexec_b64 s[8:9], s[12:13]
; %bb.2114:
	s_mov_b32 s10, 0x7f800001
	s_xor_b64 s[4:5], exec, -1
; %bb.2115:
	s_or_b64 exec, exec, s[8:9]
	s_and_b64 s[4:5], s[4:5], exec
	s_or_saveexec_b64 s[6:7], s[6:7]
	v_mov_b32_e32 v10, s10
	s_xor_b64 exec, exec, s[6:7]
	s_cbranch_execz .LBB35_66
.LBB35_2116:
	v_mov_b32_e32 v10, 0
	v_cmp_ne_u16_sdwa s[8:9], v16, v10 src0_sel:BYTE_0 src1_sel:DWORD
	s_andn2_b64 s[4:5], s[4:5], exec
	s_and_b64 s[8:9], s[8:9], exec
	s_or_b64 s[4:5], s[4:5], s[8:9]
	s_or_b64 exec, exec, s[6:7]
	s_and_saveexec_b64 s[6:7], s[4:5]
	s_cbranch_execnz .LBB35_67
	s_branch .LBB35_68
.LBB35_2117:
	s_movk_i32 s4, 0x80
	v_cmp_eq_u16_sdwa s[12:13], v12, s4 src0_sel:BYTE_0 src1_sel:DWORD
	s_mov_b64 s[4:5], -1
                                        ; implicit-def: $sgpr10
	s_and_saveexec_b64 s[8:9], s[12:13]
; %bb.2118:
	s_mov_b32 s10, 0x7f800001
	s_xor_b64 s[4:5], exec, -1
; %bb.2119:
	s_or_b64 exec, exec, s[8:9]
	s_and_b64 s[4:5], s[4:5], exec
	s_or_saveexec_b64 s[6:7], s[6:7]
	v_mov_b32_e32 v11, s10
	s_xor_b64 exec, exec, s[6:7]
	s_cbranch_execz .LBB35_70
.LBB35_2120:
	v_mov_b32_e32 v11, 0
	v_cmp_ne_u16_sdwa s[8:9], v12, v11 src0_sel:BYTE_0 src1_sel:DWORD
	s_andn2_b64 s[4:5], s[4:5], exec
	s_and_b64 s[8:9], s[8:9], exec
	s_or_b64 s[4:5], s[4:5], s[8:9]
	s_or_b64 exec, exec, s[6:7]
	s_and_saveexec_b64 s[6:7], s[4:5]
	s_cbranch_execnz .LBB35_71
	s_branch .LBB35_72
.LBB35_2121:
	s_movk_i32 s4, 0x80
	v_cmp_eq_u16_sdwa s[12:13], v11, s4 src0_sel:BYTE_0 src1_sel:DWORD
	s_mov_b64 s[4:5], -1
                                        ; implicit-def: $sgpr10
	s_and_saveexec_b64 s[8:9], s[12:13]
; %bb.2122:
	s_mov_b32 s10, 0x7f800001
	s_xor_b64 s[4:5], exec, -1
; %bb.2123:
	s_or_b64 exec, exec, s[8:9]
	s_and_b64 s[4:5], s[4:5], exec
	s_or_saveexec_b64 s[6:7], s[6:7]
	v_mov_b32_e32 v10, s10
	s_xor_b64 exec, exec, s[6:7]
	s_cbranch_execz .LBB35_74
.LBB35_2124:
	v_mov_b32_e32 v10, 0
	v_cmp_ne_u16_sdwa s[8:9], v11, v10 src0_sel:BYTE_0 src1_sel:DWORD
	s_andn2_b64 s[4:5], s[4:5], exec
	s_and_b64 s[8:9], s[8:9], exec
	s_or_b64 s[4:5], s[4:5], s[8:9]
	s_or_b64 exec, exec, s[6:7]
	s_and_saveexec_b64 s[6:7], s[4:5]
	s_cbranch_execnz .LBB35_75
	s_branch .LBB35_76
.LBB35_2125:
	s_movk_i32 s4, 0x80
	v_cmp_eq_u16_sdwa s[12:13], v11, s4 src0_sel:BYTE_0 src1_sel:DWORD
	s_mov_b64 s[4:5], -1
                                        ; implicit-def: $sgpr10
	s_and_saveexec_b64 s[8:9], s[12:13]
; %bb.2126:
	s_mov_b32 s10, 0x7f800001
	s_xor_b64 s[4:5], exec, -1
; %bb.2127:
	s_or_b64 exec, exec, s[8:9]
	s_and_b64 s[4:5], s[4:5], exec
	s_or_saveexec_b64 s[6:7], s[6:7]
	v_mov_b32_e32 v14, s10
	s_xor_b64 exec, exec, s[6:7]
	s_cbranch_execz .LBB35_78
.LBB35_2128:
	v_mov_b32_e32 v14, 0
	v_cmp_ne_u16_sdwa s[8:9], v11, v14 src0_sel:BYTE_0 src1_sel:DWORD
	s_andn2_b64 s[4:5], s[4:5], exec
	s_and_b64 s[8:9], s[8:9], exec
	s_or_b64 s[4:5], s[4:5], s[8:9]
	s_or_b64 exec, exec, s[6:7]
	s_and_saveexec_b64 s[6:7], s[4:5]
	s_cbranch_execnz .LBB35_79
	s_branch .LBB35_80
.LBB35_2129:
	s_movk_i32 s4, 0x80
	v_cmp_eq_u16_e32 vcc, s4, v11
	s_mov_b64 s[4:5], -1
                                        ; implicit-def: $sgpr10
	s_and_saveexec_b64 s[8:9], vcc
; %bb.2130:
	s_mov_b32 s10, 0x7f800001
	s_xor_b64 s[4:5], exec, -1
; %bb.2131:
	s_or_b64 exec, exec, s[8:9]
	s_and_b64 s[4:5], s[4:5], exec
                                        ; implicit-def: $vgpr11
	s_or_saveexec_b64 s[6:7], s[6:7]
	v_mov_b32_e32 v10, s10
	s_xor_b64 exec, exec, s[6:7]
	s_cbranch_execz .LBB35_82
.LBB35_2132:
	v_cmp_ne_u16_e32 vcc, 0, v11
	s_andn2_b64 s[4:5], s[4:5], exec
	s_and_b64 s[8:9], vcc, exec
	v_mov_b32_e32 v10, 0
	s_or_b64 s[4:5], s[4:5], s[8:9]
	s_or_b64 exec, exec, s[6:7]
	s_and_saveexec_b64 s[6:7], s[4:5]
	s_cbranch_execnz .LBB35_83
	s_branch .LBB35_84
.LBB35_2133:
	s_movk_i32 s4, 0x80
	v_cmp_eq_u16_e32 vcc, s4, v11
	s_mov_b64 s[4:5], -1
                                        ; implicit-def: $sgpr10
	s_and_saveexec_b64 s[8:9], vcc
; %bb.2134:
	s_mov_b32 s10, 0x7f800001
	s_xor_b64 s[4:5], exec, -1
; %bb.2135:
	s_or_b64 exec, exec, s[8:9]
	s_and_b64 s[4:5], s[4:5], exec
                                        ; implicit-def: $vgpr11
	s_or_saveexec_b64 s[6:7], s[6:7]
	v_mov_b32_e32 v14, s10
	s_xor_b64 exec, exec, s[6:7]
	s_cbranch_execz .LBB35_86
.LBB35_2136:
	v_cmp_ne_u16_e32 vcc, 0, v11
	s_andn2_b64 s[4:5], s[4:5], exec
	s_and_b64 s[8:9], vcc, exec
	v_mov_b32_e32 v14, 0
	s_or_b64 s[4:5], s[4:5], s[8:9]
	s_or_b64 exec, exec, s[6:7]
	s_and_saveexec_b64 s[6:7], s[4:5]
	s_cbranch_execnz .LBB35_87
	s_branch .LBB35_88
.LBB35_2137:
	s_movk_i32 s4, 0x80
	v_cmp_eq_u16_sdwa s[12:13], v16, s4 src0_sel:BYTE_3 src1_sel:DWORD
	s_mov_b64 s[4:5], -1
                                        ; implicit-def: $sgpr10
	s_and_saveexec_b64 s[8:9], s[12:13]
; %bb.2138:
	s_mov_b32 s10, 0x7f800001
	s_xor_b64 s[4:5], exec, -1
; %bb.2139:
	s_or_b64 exec, exec, s[8:9]
	s_and_b64 s[4:5], s[4:5], exec
	s_or_saveexec_b64 s[6:7], s[6:7]
	v_mov_b32_e32 v10, s10
	s_xor_b64 exec, exec, s[6:7]
	s_cbranch_execz .LBB35_90
.LBB35_2140:
	v_mov_b32_e32 v10, 0
	v_cmp_ne_u16_sdwa s[8:9], v16, v10 src0_sel:BYTE_3 src1_sel:DWORD
	s_andn2_b64 s[4:5], s[4:5], exec
	s_and_b64 s[8:9], s[8:9], exec
	s_or_b64 s[4:5], s[4:5], s[8:9]
	s_or_b64 exec, exec, s[6:7]
	s_and_saveexec_b64 s[6:7], s[4:5]
	s_cbranch_execnz .LBB35_91
	s_branch .LBB35_92
.LBB35_2141:
	s_movk_i32 s4, 0x80
	v_cmp_eq_u16_sdwa s[12:13], v12, s4 src0_sel:BYTE_3 src1_sel:DWORD
	s_mov_b64 s[4:5], -1
                                        ; implicit-def: $sgpr10
	s_and_saveexec_b64 s[8:9], s[12:13]
; %bb.2142:
	s_mov_b32 s10, 0x7f800001
	s_xor_b64 s[4:5], exec, -1
; %bb.2143:
	s_or_b64 exec, exec, s[8:9]
	s_and_b64 s[4:5], s[4:5], exec
	s_or_saveexec_b64 s[6:7], s[6:7]
	v_mov_b32_e32 v11, s10
	s_xor_b64 exec, exec, s[6:7]
	s_cbranch_execz .LBB35_94
.LBB35_2144:
	v_mov_b32_e32 v11, 0
	v_cmp_ne_u16_sdwa s[8:9], v12, v11 src0_sel:BYTE_3 src1_sel:DWORD
	s_andn2_b64 s[4:5], s[4:5], exec
	s_and_b64 s[8:9], s[8:9], exec
	s_or_b64 s[4:5], s[4:5], s[8:9]
	s_or_b64 exec, exec, s[6:7]
	s_and_saveexec_b64 s[6:7], s[4:5]
	s_cbranch_execnz .LBB35_95
	s_branch .LBB35_96
.LBB35_2145:
	s_movk_i32 s4, 0x80
	v_cmp_eq_u16_sdwa s[12:13], v17, s4 src0_sel:BYTE_0 src1_sel:DWORD
	s_mov_b64 s[4:5], -1
                                        ; implicit-def: $sgpr10
	s_and_saveexec_b64 s[8:9], s[12:13]
; %bb.2146:
	s_mov_b32 s10, 0x7f800001
	s_xor_b64 s[4:5], exec, -1
; %bb.2147:
	s_or_b64 exec, exec, s[8:9]
	s_and_b64 s[4:5], s[4:5], exec
	s_or_saveexec_b64 s[6:7], s[6:7]
	v_mov_b32_e32 v10, s10
	s_xor_b64 exec, exec, s[6:7]
	s_cbranch_execz .LBB35_98
.LBB35_2148:
	v_mov_b32_e32 v10, 0
	v_cmp_ne_u16_sdwa s[8:9], v17, v10 src0_sel:BYTE_0 src1_sel:DWORD
	s_andn2_b64 s[4:5], s[4:5], exec
	s_and_b64 s[8:9], s[8:9], exec
	s_or_b64 s[4:5], s[4:5], s[8:9]
	s_or_b64 exec, exec, s[6:7]
	s_and_saveexec_b64 s[6:7], s[4:5]
	s_cbranch_execnz .LBB35_99
	s_branch .LBB35_100
.LBB35_2149:
	s_movk_i32 s4, 0x80
	v_cmp_eq_u16_sdwa s[12:13], v13, s4 src0_sel:BYTE_0 src1_sel:DWORD
	s_mov_b64 s[4:5], -1
                                        ; implicit-def: $sgpr10
	s_and_saveexec_b64 s[8:9], s[12:13]
; %bb.2150:
	s_mov_b32 s10, 0x7f800001
	s_xor_b64 s[4:5], exec, -1
; %bb.2151:
	s_or_b64 exec, exec, s[8:9]
	s_and_b64 s[4:5], s[4:5], exec
	s_or_saveexec_b64 s[6:7], s[6:7]
	v_mov_b32_e32 v11, s10
	s_xor_b64 exec, exec, s[6:7]
	s_cbranch_execz .LBB35_102
.LBB35_2152:
	v_mov_b32_e32 v11, 0
	v_cmp_ne_u16_sdwa s[8:9], v13, v11 src0_sel:BYTE_0 src1_sel:DWORD
	s_andn2_b64 s[4:5], s[4:5], exec
	s_and_b64 s[8:9], s[8:9], exec
	s_or_b64 s[4:5], s[4:5], s[8:9]
	s_or_b64 exec, exec, s[6:7]
	s_and_saveexec_b64 s[6:7], s[4:5]
	s_cbranch_execnz .LBB35_103
	s_branch .LBB35_104
.LBB35_2153:
	s_movk_i32 s4, 0x80
	v_cmp_eq_u16_sdwa s[12:13], v11, s4 src0_sel:BYTE_0 src1_sel:DWORD
	s_mov_b64 s[4:5], -1
                                        ; implicit-def: $sgpr10
	s_and_saveexec_b64 s[8:9], s[12:13]
; %bb.2154:
	s_mov_b32 s10, 0x7f800001
	s_xor_b64 s[4:5], exec, -1
; %bb.2155:
	s_or_b64 exec, exec, s[8:9]
	s_and_b64 s[4:5], s[4:5], exec
	s_or_saveexec_b64 s[6:7], s[6:7]
	v_mov_b32_e32 v10, s10
	s_xor_b64 exec, exec, s[6:7]
	s_cbranch_execz .LBB35_106
.LBB35_2156:
	v_mov_b32_e32 v10, 0
	v_cmp_ne_u16_sdwa s[8:9], v11, v10 src0_sel:BYTE_0 src1_sel:DWORD
	s_andn2_b64 s[4:5], s[4:5], exec
	s_and_b64 s[8:9], s[8:9], exec
	s_or_b64 s[4:5], s[4:5], s[8:9]
	s_or_b64 exec, exec, s[6:7]
	s_and_saveexec_b64 s[6:7], s[4:5]
	s_cbranch_execnz .LBB35_107
	s_branch .LBB35_108
.LBB35_2157:
	s_movk_i32 s4, 0x80
	v_cmp_eq_u16_sdwa s[12:13], v11, s4 src0_sel:BYTE_0 src1_sel:DWORD
	s_mov_b64 s[4:5], -1
                                        ; implicit-def: $sgpr10
	s_and_saveexec_b64 s[8:9], s[12:13]
; %bb.2158:
	s_mov_b32 s10, 0x7f800001
	s_xor_b64 s[4:5], exec, -1
; %bb.2159:
	s_or_b64 exec, exec, s[8:9]
	s_and_b64 s[4:5], s[4:5], exec
	s_or_saveexec_b64 s[6:7], s[6:7]
	v_mov_b32_e32 v12, s10
	s_xor_b64 exec, exec, s[6:7]
	s_cbranch_execz .LBB35_110
.LBB35_2160:
	v_mov_b32_e32 v12, 0
	v_cmp_ne_u16_sdwa s[8:9], v11, v12 src0_sel:BYTE_0 src1_sel:DWORD
	s_andn2_b64 s[4:5], s[4:5], exec
	s_and_b64 s[8:9], s[8:9], exec
	s_or_b64 s[4:5], s[4:5], s[8:9]
	s_or_b64 exec, exec, s[6:7]
	s_and_saveexec_b64 s[6:7], s[4:5]
	s_cbranch_execnz .LBB35_111
	s_branch .LBB35_112
.LBB35_2161:
	s_movk_i32 s4, 0x80
	v_cmp_eq_u16_e32 vcc, s4, v11
	s_mov_b64 s[4:5], -1
                                        ; implicit-def: $sgpr10
	s_and_saveexec_b64 s[8:9], vcc
; %bb.2162:
	s_mov_b32 s10, 0x7f800001
	s_xor_b64 s[4:5], exec, -1
; %bb.2163:
	s_or_b64 exec, exec, s[8:9]
	s_and_b64 s[4:5], s[4:5], exec
                                        ; implicit-def: $vgpr11
	s_or_saveexec_b64 s[6:7], s[6:7]
	v_mov_b32_e32 v10, s10
	s_xor_b64 exec, exec, s[6:7]
	s_cbranch_execz .LBB35_114
.LBB35_2164:
	v_cmp_ne_u16_e32 vcc, 0, v11
	s_andn2_b64 s[4:5], s[4:5], exec
	s_and_b64 s[8:9], vcc, exec
	v_mov_b32_e32 v10, 0
	s_or_b64 s[4:5], s[4:5], s[8:9]
	s_or_b64 exec, exec, s[6:7]
	s_and_saveexec_b64 s[6:7], s[4:5]
	s_cbranch_execnz .LBB35_115
	s_branch .LBB35_116
.LBB35_2165:
	s_movk_i32 s4, 0x80
	v_cmp_eq_u16_e32 vcc, s4, v11
	s_mov_b64 s[4:5], -1
                                        ; implicit-def: $sgpr10
	s_and_saveexec_b64 s[8:9], vcc
; %bb.2166:
	s_mov_b32 s10, 0x7f800001
	s_xor_b64 s[4:5], exec, -1
; %bb.2167:
	s_or_b64 exec, exec, s[8:9]
	s_and_b64 s[4:5], s[4:5], exec
                                        ; implicit-def: $vgpr11
	s_or_saveexec_b64 s[6:7], s[6:7]
	v_mov_b32_e32 v12, s10
	s_xor_b64 exec, exec, s[6:7]
	s_cbranch_execz .LBB35_118
.LBB35_2168:
	v_cmp_ne_u16_e32 vcc, 0, v11
	s_andn2_b64 s[4:5], s[4:5], exec
	s_and_b64 s[8:9], vcc, exec
	v_mov_b32_e32 v12, 0
	s_or_b64 s[4:5], s[4:5], s[8:9]
	s_or_b64 exec, exec, s[6:7]
	s_and_saveexec_b64 s[6:7], s[4:5]
	s_cbranch_execnz .LBB35_119
	s_branch .LBB35_120
.LBB35_2169:
	s_movk_i32 s4, 0x80
	v_cmp_eq_u16_sdwa s[12:13], v17, s4 src0_sel:BYTE_3 src1_sel:DWORD
	s_mov_b64 s[4:5], -1
                                        ; implicit-def: $sgpr10
	s_and_saveexec_b64 s[8:9], s[12:13]
; %bb.2170:
	s_mov_b32 s10, 0x7f800001
	s_xor_b64 s[4:5], exec, -1
; %bb.2171:
	s_or_b64 exec, exec, s[8:9]
	s_and_b64 s[4:5], s[4:5], exec
	s_or_saveexec_b64 s[6:7], s[6:7]
	v_mov_b32_e32 v10, s10
	s_xor_b64 exec, exec, s[6:7]
	s_cbranch_execz .LBB35_122
.LBB35_2172:
	v_mov_b32_e32 v10, 0
	v_cmp_ne_u16_sdwa s[8:9], v17, v10 src0_sel:BYTE_3 src1_sel:DWORD
	s_andn2_b64 s[4:5], s[4:5], exec
	s_and_b64 s[8:9], s[8:9], exec
	s_or_b64 s[4:5], s[4:5], s[8:9]
	s_or_b64 exec, exec, s[6:7]
	s_and_saveexec_b64 s[6:7], s[4:5]
	s_cbranch_execnz .LBB35_123
	s_branch .LBB35_124
.LBB35_2173:
	s_movk_i32 s4, 0x80
	v_cmp_eq_u16_sdwa s[12:13], v13, s4 src0_sel:BYTE_3 src1_sel:DWORD
	s_mov_b64 s[4:5], -1
                                        ; implicit-def: $sgpr10
	s_and_saveexec_b64 s[8:9], s[12:13]
; %bb.2174:
	s_mov_b32 s10, 0x7f800001
	s_xor_b64 s[4:5], exec, -1
; %bb.2175:
	s_or_b64 exec, exec, s[8:9]
	s_and_b64 s[4:5], s[4:5], exec
	s_or_saveexec_b64 s[6:7], s[6:7]
	v_mov_b32_e32 v11, s10
	s_xor_b64 exec, exec, s[6:7]
	s_cbranch_execz .LBB35_126
.LBB35_2176:
	v_mov_b32_e32 v11, 0
	v_cmp_ne_u16_sdwa s[8:9], v13, v11 src0_sel:BYTE_3 src1_sel:DWORD
	s_andn2_b64 s[4:5], s[4:5], exec
	s_and_b64 s[8:9], s[8:9], exec
	s_or_b64 s[4:5], s[4:5], s[8:9]
	s_or_b64 exec, exec, s[6:7]
	s_and_saveexec_b64 s[6:7], s[4:5]
	s_cbranch_execnz .LBB35_127
	s_branch .LBB35_128
.LBB35_2177:
	s_movk_i32 s4, 0x80
	v_cmp_eq_u16_sdwa s[12:13], v6, s4 src0_sel:BYTE_0 src1_sel:DWORD
	s_mov_b64 s[4:5], -1
                                        ; implicit-def: $sgpr10
	s_and_saveexec_b64 s[8:9], s[12:13]
; %bb.2178:
	s_mov_b32 s10, 0x7f800001
	s_xor_b64 s[4:5], exec, -1
; %bb.2179:
	s_or_b64 exec, exec, s[8:9]
	s_and_b64 s[4:5], s[4:5], exec
	s_or_saveexec_b64 s[6:7], s[6:7]
	v_mov_b32_e32 v10, s10
	s_xor_b64 exec, exec, s[6:7]
	s_cbranch_execz .LBB35_130
.LBB35_2180:
	v_mov_b32_e32 v10, 0
	v_cmp_ne_u16_sdwa s[8:9], v6, v10 src0_sel:BYTE_0 src1_sel:DWORD
	s_andn2_b64 s[4:5], s[4:5], exec
	s_and_b64 s[8:9], s[8:9], exec
	s_or_b64 s[4:5], s[4:5], s[8:9]
	s_or_b64 exec, exec, s[6:7]
	s_and_saveexec_b64 s[6:7], s[4:5]
	s_cbranch_execnz .LBB35_131
	s_branch .LBB35_132
.LBB35_2181:
	s_movk_i32 s4, 0x80
	v_cmp_eq_u16_sdwa s[12:13], v2, s4 src0_sel:BYTE_0 src1_sel:DWORD
	s_mov_b64 s[4:5], -1
                                        ; implicit-def: $sgpr10
	s_and_saveexec_b64 s[8:9], s[12:13]
; %bb.2182:
	s_mov_b32 s10, 0x7f800001
	s_xor_b64 s[4:5], exec, -1
; %bb.2183:
	s_or_b64 exec, exec, s[8:9]
	s_and_b64 s[4:5], s[4:5], exec
	s_or_saveexec_b64 s[6:7], s[6:7]
	v_mov_b32_e32 v11, s10
	s_xor_b64 exec, exec, s[6:7]
	s_cbranch_execz .LBB35_134
.LBB35_2184:
	v_mov_b32_e32 v11, 0
	v_cmp_ne_u16_sdwa s[8:9], v2, v11 src0_sel:BYTE_0 src1_sel:DWORD
	s_andn2_b64 s[4:5], s[4:5], exec
	s_and_b64 s[8:9], s[8:9], exec
	s_or_b64 s[4:5], s[4:5], s[8:9]
	s_or_b64 exec, exec, s[6:7]
	s_and_saveexec_b64 s[6:7], s[4:5]
	s_cbranch_execnz .LBB35_135
	s_branch .LBB35_136
.LBB35_2185:
	s_movk_i32 s4, 0x80
	v_cmp_eq_u16_sdwa s[12:13], v11, s4 src0_sel:BYTE_0 src1_sel:DWORD
	s_mov_b64 s[4:5], -1
                                        ; implicit-def: $sgpr10
	s_and_saveexec_b64 s[8:9], s[12:13]
; %bb.2186:
	s_mov_b32 s10, 0x7f800001
	s_xor_b64 s[4:5], exec, -1
; %bb.2187:
	s_or_b64 exec, exec, s[8:9]
	s_and_b64 s[4:5], s[4:5], exec
	s_or_saveexec_b64 s[6:7], s[6:7]
	v_mov_b32_e32 v10, s10
	s_xor_b64 exec, exec, s[6:7]
	s_cbranch_execz .LBB35_138
.LBB35_2188:
	v_mov_b32_e32 v10, 0
	v_cmp_ne_u16_sdwa s[8:9], v11, v10 src0_sel:BYTE_0 src1_sel:DWORD
	s_andn2_b64 s[4:5], s[4:5], exec
	s_and_b64 s[8:9], s[8:9], exec
	s_or_b64 s[4:5], s[4:5], s[8:9]
	s_or_b64 exec, exec, s[6:7]
	s_and_saveexec_b64 s[6:7], s[4:5]
	s_cbranch_execnz .LBB35_139
	s_branch .LBB35_140
.LBB35_2189:
	s_movk_i32 s4, 0x80
	v_cmp_eq_u16_sdwa s[12:13], v11, s4 src0_sel:BYTE_0 src1_sel:DWORD
	s_mov_b64 s[4:5], -1
                                        ; implicit-def: $sgpr10
	s_and_saveexec_b64 s[8:9], s[12:13]
; %bb.2190:
	s_mov_b32 s10, 0x7f800001
	s_xor_b64 s[4:5], exec, -1
; %bb.2191:
	s_or_b64 exec, exec, s[8:9]
	s_and_b64 s[4:5], s[4:5], exec
	s_or_saveexec_b64 s[6:7], s[6:7]
	v_mov_b32_e32 v12, s10
	s_xor_b64 exec, exec, s[6:7]
	s_cbranch_execz .LBB35_142
.LBB35_2192:
	v_mov_b32_e32 v12, 0
	v_cmp_ne_u16_sdwa s[8:9], v11, v12 src0_sel:BYTE_0 src1_sel:DWORD
	s_andn2_b64 s[4:5], s[4:5], exec
	s_and_b64 s[8:9], s[8:9], exec
	s_or_b64 s[4:5], s[4:5], s[8:9]
	s_or_b64 exec, exec, s[6:7]
	s_and_saveexec_b64 s[6:7], s[4:5]
	s_cbranch_execnz .LBB35_143
	s_branch .LBB35_144
.LBB35_2193:
	s_movk_i32 s4, 0x80
	v_cmp_eq_u16_e32 vcc, s4, v11
	s_mov_b64 s[4:5], -1
                                        ; implicit-def: $sgpr10
	s_and_saveexec_b64 s[8:9], vcc
; %bb.2194:
	s_mov_b32 s10, 0x7f800001
	s_xor_b64 s[4:5], exec, -1
; %bb.2195:
	s_or_b64 exec, exec, s[8:9]
	s_and_b64 s[4:5], s[4:5], exec
                                        ; implicit-def: $vgpr11
	s_or_saveexec_b64 s[6:7], s[6:7]
	v_mov_b32_e32 v10, s10
	s_xor_b64 exec, exec, s[6:7]
	s_cbranch_execz .LBB35_146
.LBB35_2196:
	v_cmp_ne_u16_e32 vcc, 0, v11
	s_andn2_b64 s[4:5], s[4:5], exec
	s_and_b64 s[8:9], vcc, exec
	v_mov_b32_e32 v10, 0
	s_or_b64 s[4:5], s[4:5], s[8:9]
	s_or_b64 exec, exec, s[6:7]
	s_and_saveexec_b64 s[6:7], s[4:5]
	s_cbranch_execnz .LBB35_147
	s_branch .LBB35_148
.LBB35_2197:
	s_movk_i32 s4, 0x80
	v_cmp_eq_u16_e32 vcc, s4, v11
	s_mov_b64 s[4:5], -1
                                        ; implicit-def: $sgpr10
	s_and_saveexec_b64 s[8:9], vcc
; %bb.2198:
	s_mov_b32 s10, 0x7f800001
	s_xor_b64 s[4:5], exec, -1
; %bb.2199:
	s_or_b64 exec, exec, s[8:9]
	s_and_b64 s[4:5], s[4:5], exec
                                        ; implicit-def: $vgpr11
	s_or_saveexec_b64 s[6:7], s[6:7]
	v_mov_b32_e32 v12, s10
	s_xor_b64 exec, exec, s[6:7]
	s_cbranch_execz .LBB35_150
.LBB35_2200:
	v_cmp_ne_u16_e32 vcc, 0, v11
	s_andn2_b64 s[4:5], s[4:5], exec
	s_and_b64 s[8:9], vcc, exec
	v_mov_b32_e32 v12, 0
	s_or_b64 s[4:5], s[4:5], s[8:9]
	s_or_b64 exec, exec, s[6:7]
	s_and_saveexec_b64 s[6:7], s[4:5]
	s_cbranch_execnz .LBB35_151
	s_branch .LBB35_152
.LBB35_2201:
	s_movk_i32 s4, 0x80
	v_cmp_eq_u16_sdwa s[12:13], v6, s4 src0_sel:BYTE_3 src1_sel:DWORD
	s_mov_b64 s[4:5], -1
                                        ; implicit-def: $sgpr10
	s_and_saveexec_b64 s[8:9], s[12:13]
; %bb.2202:
	s_mov_b32 s10, 0x7f800001
	s_xor_b64 s[4:5], exec, -1
; %bb.2203:
	s_or_b64 exec, exec, s[8:9]
	s_and_b64 s[4:5], s[4:5], exec
	s_or_saveexec_b64 s[6:7], s[6:7]
	v_mov_b32_e32 v10, s10
	s_xor_b64 exec, exec, s[6:7]
	s_cbranch_execz .LBB35_154
.LBB35_2204:
	v_mov_b32_e32 v10, 0
	v_cmp_ne_u16_sdwa s[8:9], v6, v10 src0_sel:BYTE_3 src1_sel:DWORD
	s_andn2_b64 s[4:5], s[4:5], exec
	s_and_b64 s[8:9], s[8:9], exec
	s_or_b64 s[4:5], s[4:5], s[8:9]
	s_or_b64 exec, exec, s[6:7]
	s_and_saveexec_b64 s[6:7], s[4:5]
	s_cbranch_execnz .LBB35_155
	s_branch .LBB35_156
.LBB35_2205:
	s_movk_i32 s4, 0x80
	v_cmp_eq_u16_sdwa s[12:13], v2, s4 src0_sel:BYTE_3 src1_sel:DWORD
	s_mov_b64 s[4:5], -1
                                        ; implicit-def: $sgpr10
	s_and_saveexec_b64 s[8:9], s[12:13]
; %bb.2206:
	s_mov_b32 s10, 0x7f800001
	s_xor_b64 s[4:5], exec, -1
; %bb.2207:
	s_or_b64 exec, exec, s[8:9]
	s_and_b64 s[4:5], s[4:5], exec
	s_or_saveexec_b64 s[6:7], s[6:7]
	v_mov_b32_e32 v6, s10
	s_xor_b64 exec, exec, s[6:7]
	s_cbranch_execz .LBB35_158
.LBB35_2208:
	v_mov_b32_e32 v6, 0
	v_cmp_ne_u16_sdwa s[8:9], v2, v6 src0_sel:BYTE_3 src1_sel:DWORD
	s_andn2_b64 s[4:5], s[4:5], exec
	s_and_b64 s[8:9], s[8:9], exec
	s_or_b64 s[4:5], s[4:5], s[8:9]
	s_or_b64 exec, exec, s[6:7]
	s_and_saveexec_b64 s[6:7], s[4:5]
	s_cbranch_execnz .LBB35_159
	s_branch .LBB35_160
.LBB35_2209:
	s_movk_i32 s4, 0x80
	v_cmp_eq_u16_sdwa s[12:13], v7, s4 src0_sel:BYTE_0 src1_sel:DWORD
	s_mov_b64 s[4:5], -1
                                        ; implicit-def: $sgpr10
	s_and_saveexec_b64 s[8:9], s[12:13]
; %bb.2210:
	s_mov_b32 s10, 0x7f800001
	s_xor_b64 s[4:5], exec, -1
; %bb.2211:
	s_or_b64 exec, exec, s[8:9]
	s_and_b64 s[4:5], s[4:5], exec
	s_or_saveexec_b64 s[6:7], s[6:7]
	v_mov_b32_e32 v2, s10
	s_xor_b64 exec, exec, s[6:7]
	s_cbranch_execz .LBB35_162
.LBB35_2212:
	v_mov_b32_e32 v2, 0
	v_cmp_ne_u16_sdwa s[8:9], v7, v2 src0_sel:BYTE_0 src1_sel:DWORD
	s_andn2_b64 s[4:5], s[4:5], exec
	s_and_b64 s[8:9], s[8:9], exec
	s_or_b64 s[4:5], s[4:5], s[8:9]
	s_or_b64 exec, exec, s[6:7]
	s_and_saveexec_b64 s[6:7], s[4:5]
	s_cbranch_execnz .LBB35_163
	s_branch .LBB35_164
.LBB35_2213:
	s_movk_i32 s4, 0x80
	v_cmp_eq_u16_sdwa s[12:13], v3, s4 src0_sel:BYTE_0 src1_sel:DWORD
	s_mov_b64 s[4:5], -1
                                        ; implicit-def: $sgpr10
	s_and_saveexec_b64 s[8:9], s[12:13]
; %bb.2214:
	s_mov_b32 s10, 0x7f800001
	s_xor_b64 s[4:5], exec, -1
; %bb.2215:
	s_or_b64 exec, exec, s[8:9]
	s_and_b64 s[4:5], s[4:5], exec
	s_or_saveexec_b64 s[6:7], s[6:7]
	v_mov_b32_e32 v6, s10
	s_xor_b64 exec, exec, s[6:7]
	s_cbranch_execz .LBB35_166
.LBB35_2216:
	v_mov_b32_e32 v6, 0
	v_cmp_ne_u16_sdwa s[8:9], v3, v6 src0_sel:BYTE_0 src1_sel:DWORD
	s_andn2_b64 s[4:5], s[4:5], exec
	s_and_b64 s[8:9], s[8:9], exec
	s_or_b64 s[4:5], s[4:5], s[8:9]
	s_or_b64 exec, exec, s[6:7]
	s_and_saveexec_b64 s[6:7], s[4:5]
	s_cbranch_execnz .LBB35_167
	s_branch .LBB35_168
.LBB35_2217:
	s_movk_i32 s4, 0x80
	v_cmp_eq_u16_sdwa s[12:13], v6, s4 src0_sel:BYTE_0 src1_sel:DWORD
	s_mov_b64 s[4:5], -1
                                        ; implicit-def: $sgpr10
	s_and_saveexec_b64 s[8:9], s[12:13]
; %bb.2218:
	s_mov_b32 s10, 0x7f800001
	s_xor_b64 s[4:5], exec, -1
; %bb.2219:
	s_or_b64 exec, exec, s[8:9]
	s_and_b64 s[4:5], s[4:5], exec
	s_or_saveexec_b64 s[6:7], s[6:7]
	v_mov_b32_e32 v2, s10
	s_xor_b64 exec, exec, s[6:7]
	s_cbranch_execz .LBB35_170
.LBB35_2220:
	v_mov_b32_e32 v2, 0
	v_cmp_ne_u16_sdwa s[8:9], v6, v2 src0_sel:BYTE_0 src1_sel:DWORD
	s_andn2_b64 s[4:5], s[4:5], exec
	s_and_b64 s[8:9], s[8:9], exec
	s_or_b64 s[4:5], s[4:5], s[8:9]
	s_or_b64 exec, exec, s[6:7]
	s_and_saveexec_b64 s[6:7], s[4:5]
	s_cbranch_execnz .LBB35_171
	s_branch .LBB35_172
.LBB35_2221:
	s_movk_i32 s4, 0x80
	v_cmp_eq_u16_sdwa s[12:13], v6, s4 src0_sel:BYTE_0 src1_sel:DWORD
	s_mov_b64 s[4:5], -1
                                        ; implicit-def: $sgpr10
	s_and_saveexec_b64 s[8:9], s[12:13]
; %bb.2222:
	s_mov_b32 s10, 0x7f800001
	s_xor_b64 s[4:5], exec, -1
; %bb.2223:
	s_or_b64 exec, exec, s[8:9]
	s_and_b64 s[4:5], s[4:5], exec
	s_or_saveexec_b64 s[6:7], s[6:7]
	v_mov_b32_e32 v10, s10
	s_xor_b64 exec, exec, s[6:7]
	s_cbranch_execz .LBB35_174
.LBB35_2224:
	v_mov_b32_e32 v10, 0
	v_cmp_ne_u16_sdwa s[8:9], v6, v10 src0_sel:BYTE_0 src1_sel:DWORD
	s_andn2_b64 s[4:5], s[4:5], exec
	s_and_b64 s[8:9], s[8:9], exec
	s_or_b64 s[4:5], s[4:5], s[8:9]
	s_or_b64 exec, exec, s[6:7]
	s_and_saveexec_b64 s[6:7], s[4:5]
	s_cbranch_execnz .LBB35_175
	s_branch .LBB35_176
.LBB35_2225:
	s_movk_i32 s4, 0x80
	v_cmp_eq_u16_e32 vcc, s4, v6
	s_mov_b64 s[4:5], -1
                                        ; implicit-def: $sgpr10
	s_and_saveexec_b64 s[8:9], vcc
; %bb.2226:
	s_mov_b32 s10, 0x7f800001
	s_xor_b64 s[4:5], exec, -1
; %bb.2227:
	s_or_b64 exec, exec, s[8:9]
	s_and_b64 s[4:5], s[4:5], exec
                                        ; implicit-def: $vgpr6
	s_or_saveexec_b64 s[6:7], s[6:7]
	v_mov_b32_e32 v2, s10
	s_xor_b64 exec, exec, s[6:7]
	s_cbranch_execz .LBB35_178
.LBB35_2228:
	v_cmp_ne_u16_e32 vcc, 0, v6
	s_andn2_b64 s[4:5], s[4:5], exec
	s_and_b64 s[8:9], vcc, exec
	v_mov_b32_e32 v2, 0
	s_or_b64 s[4:5], s[4:5], s[8:9]
	s_or_b64 exec, exec, s[6:7]
	s_and_saveexec_b64 s[6:7], s[4:5]
	s_cbranch_execnz .LBB35_179
	s_branch .LBB35_180
.LBB35_2229:
	s_movk_i32 s4, 0x80
	v_cmp_eq_u16_e32 vcc, s4, v6
	s_mov_b64 s[4:5], -1
                                        ; implicit-def: $sgpr10
	s_and_saveexec_b64 s[8:9], vcc
; %bb.2230:
	s_mov_b32 s10, 0x7f800001
	s_xor_b64 s[4:5], exec, -1
; %bb.2231:
	s_or_b64 exec, exec, s[8:9]
	s_and_b64 s[4:5], s[4:5], exec
                                        ; implicit-def: $vgpr6
	s_or_saveexec_b64 s[6:7], s[6:7]
	v_mov_b32_e32 v10, s10
	s_xor_b64 exec, exec, s[6:7]
	s_cbranch_execz .LBB35_182
.LBB35_2232:
	v_cmp_ne_u16_e32 vcc, 0, v6
	s_andn2_b64 s[4:5], s[4:5], exec
	s_and_b64 s[8:9], vcc, exec
	v_mov_b32_e32 v10, 0
	s_or_b64 s[4:5], s[4:5], s[8:9]
	s_or_b64 exec, exec, s[6:7]
	s_and_saveexec_b64 s[6:7], s[4:5]
	s_cbranch_execnz .LBB35_183
	s_branch .LBB35_184
.LBB35_2233:
	s_movk_i32 s4, 0x80
	v_cmp_eq_u16_sdwa s[12:13], v7, s4 src0_sel:BYTE_3 src1_sel:DWORD
	s_mov_b64 s[4:5], -1
                                        ; implicit-def: $sgpr10
	s_and_saveexec_b64 s[8:9], s[12:13]
; %bb.2234:
	s_mov_b32 s10, 0x7f800001
	s_xor_b64 s[4:5], exec, -1
; %bb.2235:
	s_or_b64 exec, exec, s[8:9]
	s_and_b64 s[4:5], s[4:5], exec
	s_or_saveexec_b64 s[6:7], s[6:7]
	v_mov_b32_e32 v2, s10
	s_xor_b64 exec, exec, s[6:7]
	s_cbranch_execz .LBB35_186
.LBB35_2236:
	v_mov_b32_e32 v2, 0
	v_cmp_ne_u16_sdwa s[8:9], v7, v2 src0_sel:BYTE_3 src1_sel:DWORD
	s_andn2_b64 s[4:5], s[4:5], exec
	s_and_b64 s[8:9], s[8:9], exec
	s_or_b64 s[4:5], s[4:5], s[8:9]
	s_or_b64 exec, exec, s[6:7]
	s_and_saveexec_b64 s[6:7], s[4:5]
	s_cbranch_execnz .LBB35_187
	s_branch .LBB35_188
.LBB35_2237:
	s_movk_i32 s4, 0x80
	v_cmp_eq_u16_sdwa s[12:13], v3, s4 src0_sel:BYTE_3 src1_sel:DWORD
	s_mov_b64 s[4:5], -1
                                        ; implicit-def: $sgpr10
	s_and_saveexec_b64 s[8:9], s[12:13]
; %bb.2238:
	s_mov_b32 s10, 0x7f800001
	s_xor_b64 s[4:5], exec, -1
; %bb.2239:
	s_or_b64 exec, exec, s[8:9]
	s_and_b64 s[4:5], s[4:5], exec
	s_or_saveexec_b64 s[6:7], s[6:7]
	v_mov_b32_e32 v6, s10
	s_xor_b64 exec, exec, s[6:7]
	s_cbranch_execz .LBB35_190
.LBB35_2240:
	v_mov_b32_e32 v6, 0
	v_cmp_ne_u16_sdwa s[8:9], v3, v6 src0_sel:BYTE_3 src1_sel:DWORD
	s_andn2_b64 s[4:5], s[4:5], exec
	s_and_b64 s[8:9], s[8:9], exec
	s_or_b64 s[4:5], s[4:5], s[8:9]
	s_or_b64 exec, exec, s[6:7]
	s_and_saveexec_b64 s[6:7], s[4:5]
	s_cbranch_execnz .LBB35_191
	s_branch .LBB35_192
.LBB35_2241:
	s_movk_i32 s4, 0x80
	v_cmp_eq_u16_sdwa s[12:13], v8, s4 src0_sel:BYTE_0 src1_sel:DWORD
	s_mov_b64 s[4:5], -1
                                        ; implicit-def: $sgpr10
	s_and_saveexec_b64 s[8:9], s[12:13]
; %bb.2242:
	s_mov_b32 s10, 0x7f800001
	s_xor_b64 s[4:5], exec, -1
; %bb.2243:
	s_or_b64 exec, exec, s[8:9]
	s_and_b64 s[4:5], s[4:5], exec
	s_or_saveexec_b64 s[6:7], s[6:7]
	v_mov_b32_e32 v2, s10
	s_xor_b64 exec, exec, s[6:7]
	s_cbranch_execz .LBB35_194
.LBB35_2244:
	v_mov_b32_e32 v2, 0
	v_cmp_ne_u16_sdwa s[8:9], v8, v2 src0_sel:BYTE_0 src1_sel:DWORD
	s_andn2_b64 s[4:5], s[4:5], exec
	s_and_b64 s[8:9], s[8:9], exec
	s_or_b64 s[4:5], s[4:5], s[8:9]
	s_or_b64 exec, exec, s[6:7]
	s_and_saveexec_b64 s[6:7], s[4:5]
	s_cbranch_execnz .LBB35_195
	s_branch .LBB35_196
.LBB35_2245:
	s_movk_i32 s4, 0x80
	v_cmp_eq_u16_sdwa s[12:13], v4, s4 src0_sel:BYTE_0 src1_sel:DWORD
	s_mov_b64 s[4:5], -1
                                        ; implicit-def: $sgpr10
	s_and_saveexec_b64 s[8:9], s[12:13]
; %bb.2246:
	s_mov_b32 s10, 0x7f800001
	s_xor_b64 s[4:5], exec, -1
; %bb.2247:
	s_or_b64 exec, exec, s[8:9]
	s_and_b64 s[4:5], s[4:5], exec
	s_or_saveexec_b64 s[6:7], s[6:7]
	v_mov_b32_e32 v3, s10
	s_xor_b64 exec, exec, s[6:7]
	s_cbranch_execz .LBB35_198
.LBB35_2248:
	v_mov_b32_e32 v3, 0
	v_cmp_ne_u16_sdwa s[8:9], v4, v3 src0_sel:BYTE_0 src1_sel:DWORD
	s_andn2_b64 s[4:5], s[4:5], exec
	s_and_b64 s[8:9], s[8:9], exec
	s_or_b64 s[4:5], s[4:5], s[8:9]
	s_or_b64 exec, exec, s[6:7]
	s_and_saveexec_b64 s[6:7], s[4:5]
	s_cbranch_execnz .LBB35_199
	s_branch .LBB35_200
.LBB35_2249:
	s_movk_i32 s4, 0x80
	v_cmp_eq_u16_sdwa s[12:13], v3, s4 src0_sel:BYTE_0 src1_sel:DWORD
	s_mov_b64 s[4:5], -1
                                        ; implicit-def: $sgpr10
	s_and_saveexec_b64 s[8:9], s[12:13]
; %bb.2250:
	s_mov_b32 s10, 0x7f800001
	s_xor_b64 s[4:5], exec, -1
; %bb.2251:
	s_or_b64 exec, exec, s[8:9]
	s_and_b64 s[4:5], s[4:5], exec
	s_or_saveexec_b64 s[6:7], s[6:7]
	v_mov_b32_e32 v2, s10
	s_xor_b64 exec, exec, s[6:7]
	s_cbranch_execz .LBB35_202
.LBB35_2252:
	v_mov_b32_e32 v2, 0
	v_cmp_ne_u16_sdwa s[8:9], v3, v2 src0_sel:BYTE_0 src1_sel:DWORD
	s_andn2_b64 s[4:5], s[4:5], exec
	s_and_b64 s[8:9], s[8:9], exec
	s_or_b64 s[4:5], s[4:5], s[8:9]
	s_or_b64 exec, exec, s[6:7]
	s_and_saveexec_b64 s[6:7], s[4:5]
	s_cbranch_execnz .LBB35_203
	s_branch .LBB35_204
.LBB35_2253:
	s_movk_i32 s4, 0x80
	v_cmp_eq_u16_sdwa s[12:13], v3, s4 src0_sel:BYTE_0 src1_sel:DWORD
	s_mov_b64 s[4:5], -1
                                        ; implicit-def: $sgpr10
	s_and_saveexec_b64 s[8:9], s[12:13]
; %bb.2254:
	s_mov_b32 s10, 0x7f800001
	s_xor_b64 s[4:5], exec, -1
; %bb.2255:
	s_or_b64 exec, exec, s[8:9]
	s_and_b64 s[4:5], s[4:5], exec
	s_or_saveexec_b64 s[6:7], s[6:7]
	v_mov_b32_e32 v6, s10
	s_xor_b64 exec, exec, s[6:7]
	s_cbranch_execz .LBB35_206
.LBB35_2256:
	v_mov_b32_e32 v6, 0
	v_cmp_ne_u16_sdwa s[8:9], v3, v6 src0_sel:BYTE_0 src1_sel:DWORD
	s_andn2_b64 s[4:5], s[4:5], exec
	s_and_b64 s[8:9], s[8:9], exec
	s_or_b64 s[4:5], s[4:5], s[8:9]
	s_or_b64 exec, exec, s[6:7]
	s_and_saveexec_b64 s[6:7], s[4:5]
	s_cbranch_execnz .LBB35_207
	s_branch .LBB35_208
.LBB35_2257:
	s_movk_i32 s4, 0x80
	v_cmp_eq_u16_e32 vcc, s4, v3
	s_mov_b64 s[4:5], -1
                                        ; implicit-def: $sgpr10
	s_and_saveexec_b64 s[8:9], vcc
; %bb.2258:
	s_mov_b32 s10, 0x7f800001
	s_xor_b64 s[4:5], exec, -1
; %bb.2259:
	s_or_b64 exec, exec, s[8:9]
	s_and_b64 s[4:5], s[4:5], exec
                                        ; implicit-def: $vgpr3
	s_or_saveexec_b64 s[6:7], s[6:7]
	v_mov_b32_e32 v2, s10
	s_xor_b64 exec, exec, s[6:7]
	s_cbranch_execz .LBB35_210
.LBB35_2260:
	v_cmp_ne_u16_e32 vcc, 0, v3
	s_andn2_b64 s[4:5], s[4:5], exec
	s_and_b64 s[8:9], vcc, exec
	v_mov_b32_e32 v2, 0
	s_or_b64 s[4:5], s[4:5], s[8:9]
	s_or_b64 exec, exec, s[6:7]
	s_and_saveexec_b64 s[6:7], s[4:5]
	s_cbranch_execnz .LBB35_211
	s_branch .LBB35_212
.LBB35_2261:
	s_movk_i32 s4, 0x80
	v_cmp_eq_u16_e32 vcc, s4, v3
	s_mov_b64 s[4:5], -1
                                        ; implicit-def: $sgpr10
	s_and_saveexec_b64 s[8:9], vcc
; %bb.2262:
	s_mov_b32 s10, 0x7f800001
	s_xor_b64 s[4:5], exec, -1
; %bb.2263:
	s_or_b64 exec, exec, s[8:9]
	s_and_b64 s[4:5], s[4:5], exec
                                        ; implicit-def: $vgpr3
	s_or_saveexec_b64 s[6:7], s[6:7]
	v_mov_b32_e32 v6, s10
	s_xor_b64 exec, exec, s[6:7]
	s_cbranch_execz .LBB35_214
.LBB35_2264:
	v_cmp_ne_u16_e32 vcc, 0, v3
	s_andn2_b64 s[4:5], s[4:5], exec
	s_and_b64 s[8:9], vcc, exec
	v_mov_b32_e32 v6, 0
	s_or_b64 s[4:5], s[4:5], s[8:9]
	s_or_b64 exec, exec, s[6:7]
	s_and_saveexec_b64 s[6:7], s[4:5]
	s_cbranch_execnz .LBB35_215
	s_branch .LBB35_216
.LBB35_2265:
	s_movk_i32 s4, 0x80
	v_cmp_eq_u16_sdwa s[12:13], v8, s4 src0_sel:BYTE_3 src1_sel:DWORD
	s_mov_b64 s[4:5], -1
                                        ; implicit-def: $sgpr10
	s_and_saveexec_b64 s[8:9], s[12:13]
; %bb.2266:
	s_mov_b32 s10, 0x7f800001
	s_xor_b64 s[4:5], exec, -1
; %bb.2267:
	s_or_b64 exec, exec, s[8:9]
	s_and_b64 s[4:5], s[4:5], exec
	s_or_saveexec_b64 s[6:7], s[6:7]
	v_mov_b32_e32 v2, s10
	s_xor_b64 exec, exec, s[6:7]
	s_cbranch_execz .LBB35_218
.LBB35_2268:
	v_mov_b32_e32 v2, 0
	v_cmp_ne_u16_sdwa s[8:9], v8, v2 src0_sel:BYTE_3 src1_sel:DWORD
	s_andn2_b64 s[4:5], s[4:5], exec
	s_and_b64 s[8:9], s[8:9], exec
	s_or_b64 s[4:5], s[4:5], s[8:9]
	s_or_b64 exec, exec, s[6:7]
	s_and_saveexec_b64 s[6:7], s[4:5]
	s_cbranch_execnz .LBB35_219
	s_branch .LBB35_220
.LBB35_2269:
	s_movk_i32 s4, 0x80
	v_cmp_eq_u16_sdwa s[12:13], v4, s4 src0_sel:BYTE_3 src1_sel:DWORD
	s_mov_b64 s[4:5], -1
                                        ; implicit-def: $sgpr10
	s_and_saveexec_b64 s[8:9], s[12:13]
; %bb.2270:
	s_mov_b32 s10, 0x7f800001
	s_xor_b64 s[4:5], exec, -1
; %bb.2271:
	s_or_b64 exec, exec, s[8:9]
	s_and_b64 s[4:5], s[4:5], exec
	s_or_saveexec_b64 s[6:7], s[6:7]
	v_mov_b32_e32 v3, s10
	s_xor_b64 exec, exec, s[6:7]
	s_cbranch_execz .LBB35_222
.LBB35_2272:
	v_mov_b32_e32 v3, 0
	v_cmp_ne_u16_sdwa s[8:9], v4, v3 src0_sel:BYTE_3 src1_sel:DWORD
	s_andn2_b64 s[4:5], s[4:5], exec
	s_and_b64 s[8:9], s[8:9], exec
	s_or_b64 s[4:5], s[4:5], s[8:9]
	s_or_b64 exec, exec, s[6:7]
	s_and_saveexec_b64 s[6:7], s[4:5]
	s_cbranch_execnz .LBB35_223
	s_branch .LBB35_224
.LBB35_2273:
	s_movk_i32 s4, 0x80
	v_cmp_eq_u16_sdwa s[12:13], v9, s4 src0_sel:BYTE_0 src1_sel:DWORD
	s_mov_b64 s[4:5], -1
                                        ; implicit-def: $sgpr10
	s_and_saveexec_b64 s[8:9], s[12:13]
; %bb.2274:
	s_mov_b32 s10, 0x7f800001
	s_xor_b64 s[4:5], exec, -1
; %bb.2275:
	s_or_b64 exec, exec, s[8:9]
	s_and_b64 s[4:5], s[4:5], exec
	s_or_saveexec_b64 s[6:7], s[6:7]
	v_mov_b32_e32 v2, s10
	s_xor_b64 exec, exec, s[6:7]
	s_cbranch_execz .LBB35_226
.LBB35_2276:
	v_mov_b32_e32 v2, 0
	v_cmp_ne_u16_sdwa s[8:9], v9, v2 src0_sel:BYTE_0 src1_sel:DWORD
	s_andn2_b64 s[4:5], s[4:5], exec
	s_and_b64 s[8:9], s[8:9], exec
	s_or_b64 s[4:5], s[4:5], s[8:9]
	s_or_b64 exec, exec, s[6:7]
	s_and_saveexec_b64 s[6:7], s[4:5]
	s_cbranch_execnz .LBB35_227
	s_branch .LBB35_228
.LBB35_2277:
	s_movk_i32 s4, 0x80
	v_cmp_eq_u16_sdwa s[12:13], v5, s4 src0_sel:BYTE_0 src1_sel:DWORD
	s_mov_b64 s[4:5], -1
                                        ; implicit-def: $sgpr10
	s_and_saveexec_b64 s[8:9], s[12:13]
; %bb.2278:
	s_mov_b32 s10, 0x7f800001
	s_xor_b64 s[4:5], exec, -1
; %bb.2279:
	s_or_b64 exec, exec, s[8:9]
	s_and_b64 s[4:5], s[4:5], exec
	s_or_saveexec_b64 s[6:7], s[6:7]
	v_mov_b32_e32 v3, s10
	s_xor_b64 exec, exec, s[6:7]
	s_cbranch_execz .LBB35_230
.LBB35_2280:
	v_mov_b32_e32 v3, 0
	v_cmp_ne_u16_sdwa s[8:9], v5, v3 src0_sel:BYTE_0 src1_sel:DWORD
	s_andn2_b64 s[4:5], s[4:5], exec
	s_and_b64 s[8:9], s[8:9], exec
	s_or_b64 s[4:5], s[4:5], s[8:9]
	s_or_b64 exec, exec, s[6:7]
	s_and_saveexec_b64 s[6:7], s[4:5]
	s_cbranch_execnz .LBB35_231
	s_branch .LBB35_232
.LBB35_2281:
	s_movk_i32 s4, 0x80
	v_cmp_eq_u16_sdwa s[12:13], v3, s4 src0_sel:BYTE_0 src1_sel:DWORD
	s_mov_b64 s[4:5], -1
                                        ; implicit-def: $sgpr10
	s_and_saveexec_b64 s[8:9], s[12:13]
; %bb.2282:
	s_mov_b32 s10, 0x7f800001
	s_xor_b64 s[4:5], exec, -1
; %bb.2283:
	s_or_b64 exec, exec, s[8:9]
	s_and_b64 s[4:5], s[4:5], exec
	s_or_saveexec_b64 s[6:7], s[6:7]
	v_mov_b32_e32 v2, s10
	s_xor_b64 exec, exec, s[6:7]
	s_cbranch_execz .LBB35_234
.LBB35_2284:
	v_mov_b32_e32 v2, 0
	v_cmp_ne_u16_sdwa s[8:9], v3, v2 src0_sel:BYTE_0 src1_sel:DWORD
	s_andn2_b64 s[4:5], s[4:5], exec
	s_and_b64 s[8:9], s[8:9], exec
	s_or_b64 s[4:5], s[4:5], s[8:9]
	s_or_b64 exec, exec, s[6:7]
	s_and_saveexec_b64 s[6:7], s[4:5]
	s_cbranch_execnz .LBB35_235
	s_branch .LBB35_236
.LBB35_2285:
	s_movk_i32 s4, 0x80
	v_cmp_eq_u16_sdwa s[12:13], v3, s4 src0_sel:BYTE_0 src1_sel:DWORD
	s_mov_b64 s[4:5], -1
                                        ; implicit-def: $sgpr10
	s_and_saveexec_b64 s[8:9], s[12:13]
; %bb.2286:
	s_mov_b32 s10, 0x7f800001
	s_xor_b64 s[4:5], exec, -1
; %bb.2287:
	s_or_b64 exec, exec, s[8:9]
	s_and_b64 s[4:5], s[4:5], exec
	s_or_saveexec_b64 s[6:7], s[6:7]
	v_mov_b32_e32 v4, s10
	s_xor_b64 exec, exec, s[6:7]
	s_cbranch_execz .LBB35_238
.LBB35_2288:
	v_mov_b32_e32 v4, 0
	v_cmp_ne_u16_sdwa s[8:9], v3, v4 src0_sel:BYTE_0 src1_sel:DWORD
	s_andn2_b64 s[4:5], s[4:5], exec
	s_and_b64 s[8:9], s[8:9], exec
	s_or_b64 s[4:5], s[4:5], s[8:9]
	s_or_b64 exec, exec, s[6:7]
	s_and_saveexec_b64 s[6:7], s[4:5]
	s_cbranch_execnz .LBB35_239
	s_branch .LBB35_240
.LBB35_2289:
	s_movk_i32 s4, 0x80
	v_cmp_eq_u16_e32 vcc, s4, v3
	s_mov_b64 s[4:5], -1
                                        ; implicit-def: $sgpr10
	s_and_saveexec_b64 s[8:9], vcc
; %bb.2290:
	s_mov_b32 s10, 0x7f800001
	s_xor_b64 s[4:5], exec, -1
; %bb.2291:
	s_or_b64 exec, exec, s[8:9]
	s_and_b64 s[4:5], s[4:5], exec
                                        ; implicit-def: $vgpr3
	s_or_saveexec_b64 s[6:7], s[6:7]
	v_mov_b32_e32 v2, s10
	s_xor_b64 exec, exec, s[6:7]
	s_cbranch_execz .LBB35_242
.LBB35_2292:
	v_cmp_ne_u16_e32 vcc, 0, v3
	s_andn2_b64 s[4:5], s[4:5], exec
	s_and_b64 s[8:9], vcc, exec
	v_mov_b32_e32 v2, 0
	s_or_b64 s[4:5], s[4:5], s[8:9]
	s_or_b64 exec, exec, s[6:7]
	s_and_saveexec_b64 s[6:7], s[4:5]
	s_cbranch_execnz .LBB35_243
	s_branch .LBB35_244
.LBB35_2293:
	s_movk_i32 s4, 0x80
	v_cmp_eq_u16_e32 vcc, s4, v3
	s_mov_b64 s[4:5], -1
                                        ; implicit-def: $sgpr10
	s_and_saveexec_b64 s[8:9], vcc
; %bb.2294:
	s_mov_b32 s10, 0x7f800001
	s_xor_b64 s[4:5], exec, -1
; %bb.2295:
	s_or_b64 exec, exec, s[8:9]
	s_and_b64 s[4:5], s[4:5], exec
                                        ; implicit-def: $vgpr3
	s_or_saveexec_b64 s[6:7], s[6:7]
	v_mov_b32_e32 v4, s10
	s_xor_b64 exec, exec, s[6:7]
	s_cbranch_execz .LBB35_246
.LBB35_2296:
	v_cmp_ne_u16_e32 vcc, 0, v3
	s_andn2_b64 s[4:5], s[4:5], exec
	s_and_b64 s[8:9], vcc, exec
	v_mov_b32_e32 v4, 0
	s_or_b64 s[4:5], s[4:5], s[8:9]
	s_or_b64 exec, exec, s[6:7]
	s_and_saveexec_b64 s[6:7], s[4:5]
	s_cbranch_execnz .LBB35_247
	s_branch .LBB35_248
.LBB35_2297:
	s_movk_i32 s4, 0x80
	v_cmp_eq_u16_sdwa s[12:13], v9, s4 src0_sel:BYTE_3 src1_sel:DWORD
	s_mov_b64 s[4:5], -1
                                        ; implicit-def: $sgpr10
	s_and_saveexec_b64 s[8:9], s[12:13]
; %bb.2298:
	s_mov_b32 s10, 0x7f800001
	s_xor_b64 s[4:5], exec, -1
; %bb.2299:
	s_or_b64 exec, exec, s[8:9]
	s_and_b64 s[4:5], s[4:5], exec
	s_or_saveexec_b64 s[6:7], s[6:7]
	v_mov_b32_e32 v2, s10
	s_xor_b64 exec, exec, s[6:7]
	s_cbranch_execz .LBB35_250
.LBB35_2300:
	v_mov_b32_e32 v2, 0
	v_cmp_ne_u16_sdwa s[8:9], v9, v2 src0_sel:BYTE_3 src1_sel:DWORD
	s_andn2_b64 s[4:5], s[4:5], exec
	s_and_b64 s[8:9], s[8:9], exec
	s_or_b64 s[4:5], s[4:5], s[8:9]
	s_or_b64 exec, exec, s[6:7]
	s_and_saveexec_b64 s[6:7], s[4:5]
	s_cbranch_execnz .LBB35_251
	s_branch .LBB35_252
.LBB35_2301:
	s_movk_i32 s4, 0x80
	v_cmp_eq_u16_sdwa s[12:13], v5, s4 src0_sel:BYTE_3 src1_sel:DWORD
	s_mov_b64 s[4:5], -1
                                        ; implicit-def: $sgpr10
	s_and_saveexec_b64 s[8:9], s[12:13]
; %bb.2302:
	s_mov_b32 s10, 0x7f800001
	s_xor_b64 s[4:5], exec, -1
; %bb.2303:
	s_or_b64 exec, exec, s[8:9]
	s_and_b64 s[4:5], s[4:5], exec
	s_or_saveexec_b64 s[6:7], s[6:7]
	v_mov_b32_e32 v3, s10
	s_xor_b64 exec, exec, s[6:7]
	s_cbranch_execz .LBB35_254
.LBB35_2304:
	v_mov_b32_e32 v3, 0
	v_cmp_ne_u16_sdwa s[8:9], v5, v3 src0_sel:BYTE_3 src1_sel:DWORD
	s_andn2_b64 s[4:5], s[4:5], exec
	s_and_b64 s[8:9], s[8:9], exec
	s_or_b64 s[4:5], s[4:5], s[8:9]
	s_or_b64 exec, exec, s[6:7]
	s_and_saveexec_b64 s[6:7], s[4:5]
	s_cbranch_execnz .LBB35_255
	s_branch .LBB35_256
.LBB35_2305:
	s_movk_i32 s4, 0x80
	v_cmp_eq_u16_sdwa s[12:13], v14, s4 src0_sel:BYTE_0 src1_sel:DWORD
	s_mov_b64 s[4:5], -1
                                        ; implicit-def: $sgpr10
	s_and_saveexec_b64 s[8:9], s[12:13]
; %bb.2306:
	s_mov_b32 s10, 0x7f800001
	s_xor_b64 s[4:5], exec, -1
; %bb.2307:
	s_or_b64 exec, exec, s[8:9]
	s_and_b64 s[4:5], s[4:5], exec
	s_or_saveexec_b64 s[6:7], s[6:7]
	v_mov_b32_e32 v20, s10
	s_xor_b64 exec, exec, s[6:7]
	s_cbranch_execz .LBB35_258
.LBB35_2308:
	v_mov_b32_e32 v20, 0
	v_cmp_ne_u16_sdwa s[8:9], v14, v20 src0_sel:BYTE_0 src1_sel:DWORD
	s_andn2_b64 s[4:5], s[4:5], exec
	s_and_b64 s[8:9], s[8:9], exec
	s_or_b64 s[4:5], s[4:5], s[8:9]
	s_or_b64 exec, exec, s[6:7]
	s_and_saveexec_b64 s[6:7], s[4:5]
	s_cbranch_execnz .LBB35_259
	s_branch .LBB35_260
.LBB35_2309:
	s_movk_i32 s4, 0x80
	v_cmp_eq_u16_sdwa s[12:13], v10, s4 src0_sel:BYTE_0 src1_sel:DWORD
	s_mov_b64 s[4:5], -1
                                        ; implicit-def: $sgpr10
	s_and_saveexec_b64 s[8:9], s[12:13]
; %bb.2310:
	s_mov_b32 s10, 0x7f800001
	s_xor_b64 s[4:5], exec, -1
; %bb.2311:
	s_or_b64 exec, exec, s[8:9]
	s_and_b64 s[4:5], s[4:5], exec
	s_or_saveexec_b64 s[6:7], s[6:7]
	v_mov_b32_e32 v21, s10
	s_xor_b64 exec, exec, s[6:7]
	s_cbranch_execz .LBB35_262
.LBB35_2312:
	v_mov_b32_e32 v21, 0
	v_cmp_ne_u16_sdwa s[8:9], v10, v21 src0_sel:BYTE_0 src1_sel:DWORD
	s_andn2_b64 s[4:5], s[4:5], exec
	s_and_b64 s[8:9], s[8:9], exec
	s_or_b64 s[4:5], s[4:5], s[8:9]
	s_or_b64 exec, exec, s[6:7]
	s_and_saveexec_b64 s[6:7], s[4:5]
	s_cbranch_execnz .LBB35_263
	s_branch .LBB35_264
.LBB35_2313:
	s_movk_i32 s4, 0x80
	v_cmp_eq_u16_sdwa s[12:13], v21, s4 src0_sel:BYTE_0 src1_sel:DWORD
	s_mov_b64 s[4:5], -1
                                        ; implicit-def: $sgpr10
	s_and_saveexec_b64 s[8:9], s[12:13]
; %bb.2314:
	s_mov_b32 s10, 0x7f800001
	s_xor_b64 s[4:5], exec, -1
; %bb.2315:
	s_or_b64 exec, exec, s[8:9]
	s_and_b64 s[4:5], s[4:5], exec
	s_or_saveexec_b64 s[6:7], s[6:7]
	v_mov_b32_e32 v20, s10
	s_xor_b64 exec, exec, s[6:7]
	s_cbranch_execz .LBB35_266
.LBB35_2316:
	v_mov_b32_e32 v20, 0
	v_cmp_ne_u16_sdwa s[8:9], v21, v20 src0_sel:BYTE_0 src1_sel:DWORD
	s_andn2_b64 s[4:5], s[4:5], exec
	s_and_b64 s[8:9], s[8:9], exec
	s_or_b64 s[4:5], s[4:5], s[8:9]
	s_or_b64 exec, exec, s[6:7]
	s_and_saveexec_b64 s[6:7], s[4:5]
	s_cbranch_execnz .LBB35_267
	s_branch .LBB35_268
.LBB35_2317:
	s_movk_i32 s4, 0x80
	v_cmp_eq_u16_sdwa s[12:13], v21, s4 src0_sel:BYTE_0 src1_sel:DWORD
	s_mov_b64 s[4:5], -1
                                        ; implicit-def: $sgpr10
	s_and_saveexec_b64 s[8:9], s[12:13]
; %bb.2318:
	s_mov_b32 s10, 0x7f800001
	s_xor_b64 s[4:5], exec, -1
; %bb.2319:
	s_or_b64 exec, exec, s[8:9]
	s_and_b64 s[4:5], s[4:5], exec
	s_or_saveexec_b64 s[6:7], s[6:7]
	v_mov_b32_e32 v22, s10
	s_xor_b64 exec, exec, s[6:7]
	s_cbranch_execz .LBB35_270
.LBB35_2320:
	v_mov_b32_e32 v22, 0
	v_cmp_ne_u16_sdwa s[8:9], v21, v22 src0_sel:BYTE_0 src1_sel:DWORD
	s_andn2_b64 s[4:5], s[4:5], exec
	s_and_b64 s[8:9], s[8:9], exec
	s_or_b64 s[4:5], s[4:5], s[8:9]
	s_or_b64 exec, exec, s[6:7]
	s_and_saveexec_b64 s[6:7], s[4:5]
	s_cbranch_execnz .LBB35_271
	s_branch .LBB35_272
.LBB35_2321:
	s_movk_i32 s4, 0x80
	v_cmp_eq_u16_e32 vcc, s4, v21
	s_mov_b64 s[4:5], -1
                                        ; implicit-def: $sgpr10
	s_and_saveexec_b64 s[8:9], vcc
; %bb.2322:
	s_mov_b32 s10, 0x7f800001
	s_xor_b64 s[4:5], exec, -1
; %bb.2323:
	s_or_b64 exec, exec, s[8:9]
	s_and_b64 s[4:5], s[4:5], exec
                                        ; implicit-def: $vgpr21
	s_or_saveexec_b64 s[6:7], s[6:7]
	v_mov_b32_e32 v20, s10
	s_xor_b64 exec, exec, s[6:7]
	s_cbranch_execz .LBB35_274
.LBB35_2324:
	v_cmp_ne_u16_e32 vcc, 0, v21
	s_andn2_b64 s[4:5], s[4:5], exec
	s_and_b64 s[8:9], vcc, exec
	v_mov_b32_e32 v20, 0
	s_or_b64 s[4:5], s[4:5], s[8:9]
	s_or_b64 exec, exec, s[6:7]
	s_and_saveexec_b64 s[6:7], s[4:5]
	s_cbranch_execnz .LBB35_275
	s_branch .LBB35_276
.LBB35_2325:
	s_movk_i32 s4, 0x80
	v_cmp_eq_u16_e32 vcc, s4, v21
	s_mov_b64 s[4:5], -1
                                        ; implicit-def: $sgpr10
	s_and_saveexec_b64 s[8:9], vcc
; %bb.2326:
	s_mov_b32 s10, 0x7f800001
	s_xor_b64 s[4:5], exec, -1
; %bb.2327:
	s_or_b64 exec, exec, s[8:9]
	s_and_b64 s[4:5], s[4:5], exec
                                        ; implicit-def: $vgpr21
	s_or_saveexec_b64 s[6:7], s[6:7]
	v_mov_b32_e32 v22, s10
	s_xor_b64 exec, exec, s[6:7]
	s_cbranch_execz .LBB35_278
.LBB35_2328:
	v_cmp_ne_u16_e32 vcc, 0, v21
	s_andn2_b64 s[4:5], s[4:5], exec
	s_and_b64 s[8:9], vcc, exec
	v_mov_b32_e32 v22, 0
	s_or_b64 s[4:5], s[4:5], s[8:9]
	s_or_b64 exec, exec, s[6:7]
	s_and_saveexec_b64 s[6:7], s[4:5]
	s_cbranch_execnz .LBB35_279
	s_branch .LBB35_280
.LBB35_2329:
	s_movk_i32 s4, 0x80
	v_cmp_eq_u16_sdwa s[12:13], v14, s4 src0_sel:BYTE_3 src1_sel:DWORD
	s_mov_b64 s[4:5], -1
                                        ; implicit-def: $sgpr10
	s_and_saveexec_b64 s[8:9], s[12:13]
; %bb.2330:
	s_mov_b32 s10, 0x7f800001
	s_xor_b64 s[4:5], exec, -1
; %bb.2331:
	s_or_b64 exec, exec, s[8:9]
	s_and_b64 s[4:5], s[4:5], exec
	s_or_saveexec_b64 s[6:7], s[6:7]
	v_mov_b32_e32 v20, s10
	s_xor_b64 exec, exec, s[6:7]
	s_cbranch_execz .LBB35_282
.LBB35_2332:
	v_mov_b32_e32 v20, 0
	v_cmp_ne_u16_sdwa s[8:9], v14, v20 src0_sel:BYTE_3 src1_sel:DWORD
	s_andn2_b64 s[4:5], s[4:5], exec
	s_and_b64 s[8:9], s[8:9], exec
	s_or_b64 s[4:5], s[4:5], s[8:9]
	s_or_b64 exec, exec, s[6:7]
	s_and_saveexec_b64 s[6:7], s[4:5]
	s_cbranch_execnz .LBB35_283
	s_branch .LBB35_284
.LBB35_2333:
	s_movk_i32 s4, 0x80
	v_cmp_eq_u16_sdwa s[12:13], v10, s4 src0_sel:BYTE_3 src1_sel:DWORD
	s_mov_b64 s[4:5], -1
                                        ; implicit-def: $sgpr10
	s_and_saveexec_b64 s[8:9], s[12:13]
; %bb.2334:
	s_mov_b32 s10, 0x7f800001
	s_xor_b64 s[4:5], exec, -1
; %bb.2335:
	s_or_b64 exec, exec, s[8:9]
	s_and_b64 s[4:5], s[4:5], exec
	s_or_saveexec_b64 s[6:7], s[6:7]
	v_mov_b32_e32 v14, s10
	s_xor_b64 exec, exec, s[6:7]
	s_cbranch_execz .LBB35_286
.LBB35_2336:
	v_mov_b32_e32 v14, 0
	v_cmp_ne_u16_sdwa s[8:9], v10, v14 src0_sel:BYTE_3 src1_sel:DWORD
	s_andn2_b64 s[4:5], s[4:5], exec
	s_and_b64 s[8:9], s[8:9], exec
	s_or_b64 s[4:5], s[4:5], s[8:9]
	s_or_b64 exec, exec, s[6:7]
	s_and_saveexec_b64 s[6:7], s[4:5]
	s_cbranch_execnz .LBB35_287
	s_branch .LBB35_288
.LBB35_2337:
	s_movk_i32 s4, 0x80
	v_cmp_eq_u16_sdwa s[12:13], v15, s4 src0_sel:BYTE_0 src1_sel:DWORD
	s_mov_b64 s[4:5], -1
                                        ; implicit-def: $sgpr10
	s_and_saveexec_b64 s[8:9], s[12:13]
; %bb.2338:
	s_mov_b32 s10, 0x7f800001
	s_xor_b64 s[4:5], exec, -1
; %bb.2339:
	s_or_b64 exec, exec, s[8:9]
	s_and_b64 s[4:5], s[4:5], exec
	s_or_saveexec_b64 s[6:7], s[6:7]
	v_mov_b32_e32 v10, s10
	s_xor_b64 exec, exec, s[6:7]
	s_cbranch_execz .LBB35_290
.LBB35_2340:
	v_mov_b32_e32 v10, 0
	v_cmp_ne_u16_sdwa s[8:9], v15, v10 src0_sel:BYTE_0 src1_sel:DWORD
	s_andn2_b64 s[4:5], s[4:5], exec
	s_and_b64 s[8:9], s[8:9], exec
	s_or_b64 s[4:5], s[4:5], s[8:9]
	s_or_b64 exec, exec, s[6:7]
	s_and_saveexec_b64 s[6:7], s[4:5]
	s_cbranch_execnz .LBB35_291
	s_branch .LBB35_292
.LBB35_2341:
	s_movk_i32 s4, 0x80
	v_cmp_eq_u16_sdwa s[12:13], v11, s4 src0_sel:BYTE_0 src1_sel:DWORD
	s_mov_b64 s[4:5], -1
                                        ; implicit-def: $sgpr10
	s_and_saveexec_b64 s[8:9], s[12:13]
; %bb.2342:
	s_mov_b32 s10, 0x7f800001
	s_xor_b64 s[4:5], exec, -1
; %bb.2343:
	s_or_b64 exec, exec, s[8:9]
	s_and_b64 s[4:5], s[4:5], exec
	s_or_saveexec_b64 s[6:7], s[6:7]
	v_mov_b32_e32 v14, s10
	s_xor_b64 exec, exec, s[6:7]
	s_cbranch_execz .LBB35_294
.LBB35_2344:
	v_mov_b32_e32 v14, 0
	v_cmp_ne_u16_sdwa s[8:9], v11, v14 src0_sel:BYTE_0 src1_sel:DWORD
	s_andn2_b64 s[4:5], s[4:5], exec
	s_and_b64 s[8:9], s[8:9], exec
	s_or_b64 s[4:5], s[4:5], s[8:9]
	s_or_b64 exec, exec, s[6:7]
	s_and_saveexec_b64 s[6:7], s[4:5]
	s_cbranch_execnz .LBB35_295
	s_branch .LBB35_296
.LBB35_2345:
	s_movk_i32 s4, 0x80
	v_cmp_eq_u16_sdwa s[12:13], v14, s4 src0_sel:BYTE_0 src1_sel:DWORD
	s_mov_b64 s[4:5], -1
                                        ; implicit-def: $sgpr10
	s_and_saveexec_b64 s[8:9], s[12:13]
; %bb.2346:
	s_mov_b32 s10, 0x7f800001
	s_xor_b64 s[4:5], exec, -1
; %bb.2347:
	s_or_b64 exec, exec, s[8:9]
	s_and_b64 s[4:5], s[4:5], exec
	s_or_saveexec_b64 s[6:7], s[6:7]
	v_mov_b32_e32 v10, s10
	s_xor_b64 exec, exec, s[6:7]
	s_cbranch_execz .LBB35_298
.LBB35_2348:
	v_mov_b32_e32 v10, 0
	v_cmp_ne_u16_sdwa s[8:9], v14, v10 src0_sel:BYTE_0 src1_sel:DWORD
	s_andn2_b64 s[4:5], s[4:5], exec
	s_and_b64 s[8:9], s[8:9], exec
	s_or_b64 s[4:5], s[4:5], s[8:9]
	s_or_b64 exec, exec, s[6:7]
	s_and_saveexec_b64 s[6:7], s[4:5]
	s_cbranch_execnz .LBB35_299
	s_branch .LBB35_300
.LBB35_2349:
	s_movk_i32 s4, 0x80
	v_cmp_eq_u16_sdwa s[12:13], v14, s4 src0_sel:BYTE_0 src1_sel:DWORD
	s_mov_b64 s[4:5], -1
                                        ; implicit-def: $sgpr10
	s_and_saveexec_b64 s[8:9], s[12:13]
; %bb.2350:
	s_mov_b32 s10, 0x7f800001
	s_xor_b64 s[4:5], exec, -1
; %bb.2351:
	s_or_b64 exec, exec, s[8:9]
	s_and_b64 s[4:5], s[4:5], exec
	s_or_saveexec_b64 s[6:7], s[6:7]
	v_mov_b32_e32 v20, s10
	s_xor_b64 exec, exec, s[6:7]
	s_cbranch_execz .LBB35_302
.LBB35_2352:
	v_mov_b32_e32 v20, 0
	v_cmp_ne_u16_sdwa s[8:9], v14, v20 src0_sel:BYTE_0 src1_sel:DWORD
	s_andn2_b64 s[4:5], s[4:5], exec
	s_and_b64 s[8:9], s[8:9], exec
	s_or_b64 s[4:5], s[4:5], s[8:9]
	s_or_b64 exec, exec, s[6:7]
	s_and_saveexec_b64 s[6:7], s[4:5]
	s_cbranch_execnz .LBB35_303
	s_branch .LBB35_304
.LBB35_2353:
	s_movk_i32 s4, 0x80
	v_cmp_eq_u16_e32 vcc, s4, v14
	s_mov_b64 s[4:5], -1
                                        ; implicit-def: $sgpr10
	s_and_saveexec_b64 s[8:9], vcc
; %bb.2354:
	s_mov_b32 s10, 0x7f800001
	s_xor_b64 s[4:5], exec, -1
; %bb.2355:
	s_or_b64 exec, exec, s[8:9]
	s_and_b64 s[4:5], s[4:5], exec
                                        ; implicit-def: $vgpr14
	s_or_saveexec_b64 s[6:7], s[6:7]
	v_mov_b32_e32 v10, s10
	s_xor_b64 exec, exec, s[6:7]
	s_cbranch_execz .LBB35_306
.LBB35_2356:
	v_cmp_ne_u16_e32 vcc, 0, v14
	s_andn2_b64 s[4:5], s[4:5], exec
	s_and_b64 s[8:9], vcc, exec
	v_mov_b32_e32 v10, 0
	s_or_b64 s[4:5], s[4:5], s[8:9]
	s_or_b64 exec, exec, s[6:7]
	s_and_saveexec_b64 s[6:7], s[4:5]
	s_cbranch_execnz .LBB35_307
	s_branch .LBB35_308
.LBB35_2357:
	s_movk_i32 s4, 0x80
	v_cmp_eq_u16_e32 vcc, s4, v14
	s_mov_b64 s[4:5], -1
                                        ; implicit-def: $sgpr10
	s_and_saveexec_b64 s[8:9], vcc
; %bb.2358:
	s_mov_b32 s10, 0x7f800001
	s_xor_b64 s[4:5], exec, -1
; %bb.2359:
	s_or_b64 exec, exec, s[8:9]
	s_and_b64 s[4:5], s[4:5], exec
                                        ; implicit-def: $vgpr14
	s_or_saveexec_b64 s[6:7], s[6:7]
	v_mov_b32_e32 v20, s10
	s_xor_b64 exec, exec, s[6:7]
	s_cbranch_execz .LBB35_310
.LBB35_2360:
	v_cmp_ne_u16_e32 vcc, 0, v14
	s_andn2_b64 s[4:5], s[4:5], exec
	s_and_b64 s[8:9], vcc, exec
	v_mov_b32_e32 v20, 0
	s_or_b64 s[4:5], s[4:5], s[8:9]
	s_or_b64 exec, exec, s[6:7]
	s_and_saveexec_b64 s[6:7], s[4:5]
	s_cbranch_execnz .LBB35_311
	s_branch .LBB35_312
.LBB35_2361:
	s_movk_i32 s4, 0x80
	v_cmp_eq_u16_sdwa s[12:13], v15, s4 src0_sel:BYTE_3 src1_sel:DWORD
	s_mov_b64 s[4:5], -1
                                        ; implicit-def: $sgpr10
	s_and_saveexec_b64 s[8:9], s[12:13]
; %bb.2362:
	s_mov_b32 s10, 0x7f800001
	s_xor_b64 s[4:5], exec, -1
; %bb.2363:
	s_or_b64 exec, exec, s[8:9]
	s_and_b64 s[4:5], s[4:5], exec
	s_or_saveexec_b64 s[6:7], s[6:7]
	v_mov_b32_e32 v10, s10
	s_xor_b64 exec, exec, s[6:7]
	s_cbranch_execz .LBB35_314
.LBB35_2364:
	v_mov_b32_e32 v10, 0
	v_cmp_ne_u16_sdwa s[8:9], v15, v10 src0_sel:BYTE_3 src1_sel:DWORD
	s_andn2_b64 s[4:5], s[4:5], exec
	s_and_b64 s[8:9], s[8:9], exec
	s_or_b64 s[4:5], s[4:5], s[8:9]
	s_or_b64 exec, exec, s[6:7]
	s_and_saveexec_b64 s[6:7], s[4:5]
	s_cbranch_execnz .LBB35_315
	s_branch .LBB35_316
.LBB35_2365:
	s_movk_i32 s4, 0x80
	v_cmp_eq_u16_sdwa s[12:13], v11, s4 src0_sel:BYTE_3 src1_sel:DWORD
	s_mov_b64 s[4:5], -1
                                        ; implicit-def: $sgpr10
	s_and_saveexec_b64 s[8:9], s[12:13]
; %bb.2366:
	s_mov_b32 s10, 0x7f800001
	s_xor_b64 s[4:5], exec, -1
; %bb.2367:
	s_or_b64 exec, exec, s[8:9]
	s_and_b64 s[4:5], s[4:5], exec
	s_or_saveexec_b64 s[6:7], s[6:7]
	v_mov_b32_e32 v14, s10
	s_xor_b64 exec, exec, s[6:7]
	s_cbranch_execz .LBB35_318
.LBB35_2368:
	v_mov_b32_e32 v14, 0
	v_cmp_ne_u16_sdwa s[8:9], v11, v14 src0_sel:BYTE_3 src1_sel:DWORD
	s_andn2_b64 s[4:5], s[4:5], exec
	s_and_b64 s[8:9], s[8:9], exec
	s_or_b64 s[4:5], s[4:5], s[8:9]
	s_or_b64 exec, exec, s[6:7]
	s_and_saveexec_b64 s[6:7], s[4:5]
	s_cbranch_execnz .LBB35_319
	s_branch .LBB35_320
.LBB35_2369:
	s_movk_i32 s4, 0x80
	v_cmp_eq_u16_sdwa s[12:13], v16, s4 src0_sel:BYTE_0 src1_sel:DWORD
	s_mov_b64 s[4:5], -1
                                        ; implicit-def: $sgpr10
	s_and_saveexec_b64 s[8:9], s[12:13]
; %bb.2370:
	s_mov_b32 s10, 0x7f800001
	s_xor_b64 s[4:5], exec, -1
; %bb.2371:
	s_or_b64 exec, exec, s[8:9]
	s_and_b64 s[4:5], s[4:5], exec
	s_or_saveexec_b64 s[6:7], s[6:7]
	v_mov_b32_e32 v10, s10
	s_xor_b64 exec, exec, s[6:7]
	s_cbranch_execz .LBB35_322
.LBB35_2372:
	v_mov_b32_e32 v10, 0
	v_cmp_ne_u16_sdwa s[8:9], v16, v10 src0_sel:BYTE_0 src1_sel:DWORD
	s_andn2_b64 s[4:5], s[4:5], exec
	s_and_b64 s[8:9], s[8:9], exec
	s_or_b64 s[4:5], s[4:5], s[8:9]
	s_or_b64 exec, exec, s[6:7]
	s_and_saveexec_b64 s[6:7], s[4:5]
	s_cbranch_execnz .LBB35_323
	s_branch .LBB35_324
.LBB35_2373:
	s_movk_i32 s4, 0x80
	v_cmp_eq_u16_sdwa s[12:13], v12, s4 src0_sel:BYTE_0 src1_sel:DWORD
	s_mov_b64 s[4:5], -1
                                        ; implicit-def: $sgpr10
	s_and_saveexec_b64 s[8:9], s[12:13]
; %bb.2374:
	s_mov_b32 s10, 0x7f800001
	s_xor_b64 s[4:5], exec, -1
; %bb.2375:
	s_or_b64 exec, exec, s[8:9]
	s_and_b64 s[4:5], s[4:5], exec
	s_or_saveexec_b64 s[6:7], s[6:7]
	v_mov_b32_e32 v11, s10
	s_xor_b64 exec, exec, s[6:7]
	s_cbranch_execz .LBB35_326
.LBB35_2376:
	v_mov_b32_e32 v11, 0
	v_cmp_ne_u16_sdwa s[8:9], v12, v11 src0_sel:BYTE_0 src1_sel:DWORD
	s_andn2_b64 s[4:5], s[4:5], exec
	s_and_b64 s[8:9], s[8:9], exec
	s_or_b64 s[4:5], s[4:5], s[8:9]
	s_or_b64 exec, exec, s[6:7]
	s_and_saveexec_b64 s[6:7], s[4:5]
	s_cbranch_execnz .LBB35_327
	s_branch .LBB35_328
.LBB35_2377:
	s_movk_i32 s4, 0x80
	v_cmp_eq_u16_sdwa s[12:13], v11, s4 src0_sel:BYTE_0 src1_sel:DWORD
	s_mov_b64 s[4:5], -1
                                        ; implicit-def: $sgpr10
	s_and_saveexec_b64 s[8:9], s[12:13]
; %bb.2378:
	s_mov_b32 s10, 0x7f800001
	s_xor_b64 s[4:5], exec, -1
; %bb.2379:
	s_or_b64 exec, exec, s[8:9]
	s_and_b64 s[4:5], s[4:5], exec
	s_or_saveexec_b64 s[6:7], s[6:7]
	v_mov_b32_e32 v10, s10
	s_xor_b64 exec, exec, s[6:7]
	s_cbranch_execz .LBB35_330
.LBB35_2380:
	v_mov_b32_e32 v10, 0
	v_cmp_ne_u16_sdwa s[8:9], v11, v10 src0_sel:BYTE_0 src1_sel:DWORD
	s_andn2_b64 s[4:5], s[4:5], exec
	s_and_b64 s[8:9], s[8:9], exec
	s_or_b64 s[4:5], s[4:5], s[8:9]
	s_or_b64 exec, exec, s[6:7]
	s_and_saveexec_b64 s[6:7], s[4:5]
	s_cbranch_execnz .LBB35_331
	s_branch .LBB35_332
.LBB35_2381:
	s_movk_i32 s4, 0x80
	v_cmp_eq_u16_sdwa s[12:13], v11, s4 src0_sel:BYTE_0 src1_sel:DWORD
	s_mov_b64 s[4:5], -1
                                        ; implicit-def: $sgpr10
	s_and_saveexec_b64 s[8:9], s[12:13]
; %bb.2382:
	s_mov_b32 s10, 0x7f800001
	s_xor_b64 s[4:5], exec, -1
; %bb.2383:
	s_or_b64 exec, exec, s[8:9]
	s_and_b64 s[4:5], s[4:5], exec
	s_or_saveexec_b64 s[6:7], s[6:7]
	v_mov_b32_e32 v14, s10
	s_xor_b64 exec, exec, s[6:7]
	s_cbranch_execz .LBB35_334
.LBB35_2384:
	v_mov_b32_e32 v14, 0
	v_cmp_ne_u16_sdwa s[8:9], v11, v14 src0_sel:BYTE_0 src1_sel:DWORD
	s_andn2_b64 s[4:5], s[4:5], exec
	s_and_b64 s[8:9], s[8:9], exec
	s_or_b64 s[4:5], s[4:5], s[8:9]
	s_or_b64 exec, exec, s[6:7]
	s_and_saveexec_b64 s[6:7], s[4:5]
	s_cbranch_execnz .LBB35_335
	s_branch .LBB35_336
.LBB35_2385:
	s_movk_i32 s4, 0x80
	v_cmp_eq_u16_e32 vcc, s4, v11
	s_mov_b64 s[4:5], -1
                                        ; implicit-def: $sgpr10
	s_and_saveexec_b64 s[8:9], vcc
; %bb.2386:
	s_mov_b32 s10, 0x7f800001
	s_xor_b64 s[4:5], exec, -1
; %bb.2387:
	s_or_b64 exec, exec, s[8:9]
	s_and_b64 s[4:5], s[4:5], exec
                                        ; implicit-def: $vgpr11
	s_or_saveexec_b64 s[6:7], s[6:7]
	v_mov_b32_e32 v10, s10
	s_xor_b64 exec, exec, s[6:7]
	s_cbranch_execz .LBB35_338
.LBB35_2388:
	v_cmp_ne_u16_e32 vcc, 0, v11
	s_andn2_b64 s[4:5], s[4:5], exec
	s_and_b64 s[8:9], vcc, exec
	v_mov_b32_e32 v10, 0
	s_or_b64 s[4:5], s[4:5], s[8:9]
	s_or_b64 exec, exec, s[6:7]
	s_and_saveexec_b64 s[6:7], s[4:5]
	s_cbranch_execnz .LBB35_339
	s_branch .LBB35_340
.LBB35_2389:
	s_movk_i32 s4, 0x80
	v_cmp_eq_u16_e32 vcc, s4, v11
	s_mov_b64 s[4:5], -1
                                        ; implicit-def: $sgpr10
	s_and_saveexec_b64 s[8:9], vcc
; %bb.2390:
	s_mov_b32 s10, 0x7f800001
	s_xor_b64 s[4:5], exec, -1
; %bb.2391:
	s_or_b64 exec, exec, s[8:9]
	s_and_b64 s[4:5], s[4:5], exec
                                        ; implicit-def: $vgpr11
	s_or_saveexec_b64 s[6:7], s[6:7]
	v_mov_b32_e32 v14, s10
	s_xor_b64 exec, exec, s[6:7]
	s_cbranch_execz .LBB35_342
.LBB35_2392:
	v_cmp_ne_u16_e32 vcc, 0, v11
	s_andn2_b64 s[4:5], s[4:5], exec
	s_and_b64 s[8:9], vcc, exec
	v_mov_b32_e32 v14, 0
	s_or_b64 s[4:5], s[4:5], s[8:9]
	s_or_b64 exec, exec, s[6:7]
	s_and_saveexec_b64 s[6:7], s[4:5]
	s_cbranch_execnz .LBB35_343
	s_branch .LBB35_344
.LBB35_2393:
	s_movk_i32 s4, 0x80
	v_cmp_eq_u16_sdwa s[12:13], v16, s4 src0_sel:BYTE_3 src1_sel:DWORD
	s_mov_b64 s[4:5], -1
                                        ; implicit-def: $sgpr10
	s_and_saveexec_b64 s[8:9], s[12:13]
; %bb.2394:
	s_mov_b32 s10, 0x7f800001
	s_xor_b64 s[4:5], exec, -1
; %bb.2395:
	s_or_b64 exec, exec, s[8:9]
	s_and_b64 s[4:5], s[4:5], exec
	s_or_saveexec_b64 s[6:7], s[6:7]
	v_mov_b32_e32 v10, s10
	s_xor_b64 exec, exec, s[6:7]
	s_cbranch_execz .LBB35_346
.LBB35_2396:
	v_mov_b32_e32 v10, 0
	v_cmp_ne_u16_sdwa s[8:9], v16, v10 src0_sel:BYTE_3 src1_sel:DWORD
	s_andn2_b64 s[4:5], s[4:5], exec
	s_and_b64 s[8:9], s[8:9], exec
	s_or_b64 s[4:5], s[4:5], s[8:9]
	s_or_b64 exec, exec, s[6:7]
	s_and_saveexec_b64 s[6:7], s[4:5]
	s_cbranch_execnz .LBB35_347
	s_branch .LBB35_348
.LBB35_2397:
	s_movk_i32 s4, 0x80
	v_cmp_eq_u16_sdwa s[12:13], v12, s4 src0_sel:BYTE_3 src1_sel:DWORD
	s_mov_b64 s[4:5], -1
                                        ; implicit-def: $sgpr10
	s_and_saveexec_b64 s[8:9], s[12:13]
; %bb.2398:
	s_mov_b32 s10, 0x7f800001
	s_xor_b64 s[4:5], exec, -1
; %bb.2399:
	s_or_b64 exec, exec, s[8:9]
	s_and_b64 s[4:5], s[4:5], exec
	s_or_saveexec_b64 s[6:7], s[6:7]
	v_mov_b32_e32 v11, s10
	s_xor_b64 exec, exec, s[6:7]
	s_cbranch_execz .LBB35_350
.LBB35_2400:
	v_mov_b32_e32 v11, 0
	v_cmp_ne_u16_sdwa s[8:9], v12, v11 src0_sel:BYTE_3 src1_sel:DWORD
	s_andn2_b64 s[4:5], s[4:5], exec
	s_and_b64 s[8:9], s[8:9], exec
	s_or_b64 s[4:5], s[4:5], s[8:9]
	s_or_b64 exec, exec, s[6:7]
	s_and_saveexec_b64 s[6:7], s[4:5]
	s_cbranch_execnz .LBB35_351
	s_branch .LBB35_352
.LBB35_2401:
	s_movk_i32 s4, 0x80
	v_cmp_eq_u16_sdwa s[12:13], v17, s4 src0_sel:BYTE_0 src1_sel:DWORD
	s_mov_b64 s[4:5], -1
                                        ; implicit-def: $sgpr10
	s_and_saveexec_b64 s[8:9], s[12:13]
; %bb.2402:
	s_mov_b32 s10, 0x7f800001
	s_xor_b64 s[4:5], exec, -1
; %bb.2403:
	s_or_b64 exec, exec, s[8:9]
	s_and_b64 s[4:5], s[4:5], exec
	s_or_saveexec_b64 s[6:7], s[6:7]
	v_mov_b32_e32 v10, s10
	s_xor_b64 exec, exec, s[6:7]
	s_cbranch_execz .LBB35_354
.LBB35_2404:
	v_mov_b32_e32 v10, 0
	v_cmp_ne_u16_sdwa s[8:9], v17, v10 src0_sel:BYTE_0 src1_sel:DWORD
	s_andn2_b64 s[4:5], s[4:5], exec
	s_and_b64 s[8:9], s[8:9], exec
	s_or_b64 s[4:5], s[4:5], s[8:9]
	s_or_b64 exec, exec, s[6:7]
	s_and_saveexec_b64 s[6:7], s[4:5]
	s_cbranch_execnz .LBB35_355
	s_branch .LBB35_356
.LBB35_2405:
	s_movk_i32 s4, 0x80
	v_cmp_eq_u16_sdwa s[12:13], v13, s4 src0_sel:BYTE_0 src1_sel:DWORD
	s_mov_b64 s[4:5], -1
                                        ; implicit-def: $sgpr10
	s_and_saveexec_b64 s[8:9], s[12:13]
; %bb.2406:
	s_mov_b32 s10, 0x7f800001
	s_xor_b64 s[4:5], exec, -1
; %bb.2407:
	s_or_b64 exec, exec, s[8:9]
	s_and_b64 s[4:5], s[4:5], exec
	s_or_saveexec_b64 s[6:7], s[6:7]
	v_mov_b32_e32 v11, s10
	s_xor_b64 exec, exec, s[6:7]
	s_cbranch_execz .LBB35_358
.LBB35_2408:
	v_mov_b32_e32 v11, 0
	v_cmp_ne_u16_sdwa s[8:9], v13, v11 src0_sel:BYTE_0 src1_sel:DWORD
	s_andn2_b64 s[4:5], s[4:5], exec
	s_and_b64 s[8:9], s[8:9], exec
	s_or_b64 s[4:5], s[4:5], s[8:9]
	s_or_b64 exec, exec, s[6:7]
	s_and_saveexec_b64 s[6:7], s[4:5]
	s_cbranch_execnz .LBB35_359
	s_branch .LBB35_360
.LBB35_2409:
	s_movk_i32 s4, 0x80
	v_cmp_eq_u16_sdwa s[12:13], v11, s4 src0_sel:BYTE_0 src1_sel:DWORD
	s_mov_b64 s[4:5], -1
                                        ; implicit-def: $sgpr10
	s_and_saveexec_b64 s[8:9], s[12:13]
; %bb.2410:
	s_mov_b32 s10, 0x7f800001
	s_xor_b64 s[4:5], exec, -1
; %bb.2411:
	s_or_b64 exec, exec, s[8:9]
	s_and_b64 s[4:5], s[4:5], exec
	s_or_saveexec_b64 s[6:7], s[6:7]
	v_mov_b32_e32 v10, s10
	s_xor_b64 exec, exec, s[6:7]
	s_cbranch_execz .LBB35_362
.LBB35_2412:
	v_mov_b32_e32 v10, 0
	v_cmp_ne_u16_sdwa s[8:9], v11, v10 src0_sel:BYTE_0 src1_sel:DWORD
	s_andn2_b64 s[4:5], s[4:5], exec
	s_and_b64 s[8:9], s[8:9], exec
	s_or_b64 s[4:5], s[4:5], s[8:9]
	s_or_b64 exec, exec, s[6:7]
	s_and_saveexec_b64 s[6:7], s[4:5]
	s_cbranch_execnz .LBB35_363
	s_branch .LBB35_364
.LBB35_2413:
	s_movk_i32 s4, 0x80
	v_cmp_eq_u16_sdwa s[12:13], v11, s4 src0_sel:BYTE_0 src1_sel:DWORD
	s_mov_b64 s[4:5], -1
                                        ; implicit-def: $sgpr10
	s_and_saveexec_b64 s[8:9], s[12:13]
; %bb.2414:
	s_mov_b32 s10, 0x7f800001
	s_xor_b64 s[4:5], exec, -1
; %bb.2415:
	s_or_b64 exec, exec, s[8:9]
	s_and_b64 s[4:5], s[4:5], exec
	s_or_saveexec_b64 s[6:7], s[6:7]
	v_mov_b32_e32 v12, s10
	s_xor_b64 exec, exec, s[6:7]
	s_cbranch_execz .LBB35_366
.LBB35_2416:
	v_mov_b32_e32 v12, 0
	v_cmp_ne_u16_sdwa s[8:9], v11, v12 src0_sel:BYTE_0 src1_sel:DWORD
	s_andn2_b64 s[4:5], s[4:5], exec
	s_and_b64 s[8:9], s[8:9], exec
	s_or_b64 s[4:5], s[4:5], s[8:9]
	s_or_b64 exec, exec, s[6:7]
	s_and_saveexec_b64 s[6:7], s[4:5]
	s_cbranch_execnz .LBB35_367
	s_branch .LBB35_368
.LBB35_2417:
	s_movk_i32 s4, 0x80
	v_cmp_eq_u16_e32 vcc, s4, v11
	s_mov_b64 s[4:5], -1
                                        ; implicit-def: $sgpr10
	s_and_saveexec_b64 s[8:9], vcc
; %bb.2418:
	s_mov_b32 s10, 0x7f800001
	s_xor_b64 s[4:5], exec, -1
; %bb.2419:
	s_or_b64 exec, exec, s[8:9]
	s_and_b64 s[4:5], s[4:5], exec
                                        ; implicit-def: $vgpr11
	s_or_saveexec_b64 s[6:7], s[6:7]
	v_mov_b32_e32 v10, s10
	s_xor_b64 exec, exec, s[6:7]
	s_cbranch_execz .LBB35_370
.LBB35_2420:
	v_cmp_ne_u16_e32 vcc, 0, v11
	s_andn2_b64 s[4:5], s[4:5], exec
	s_and_b64 s[8:9], vcc, exec
	v_mov_b32_e32 v10, 0
	s_or_b64 s[4:5], s[4:5], s[8:9]
	s_or_b64 exec, exec, s[6:7]
	s_and_saveexec_b64 s[6:7], s[4:5]
	s_cbranch_execnz .LBB35_371
	s_branch .LBB35_372
.LBB35_2421:
	s_movk_i32 s4, 0x80
	v_cmp_eq_u16_e32 vcc, s4, v11
	s_mov_b64 s[4:5], -1
                                        ; implicit-def: $sgpr10
	s_and_saveexec_b64 s[8:9], vcc
; %bb.2422:
	s_mov_b32 s10, 0x7f800001
	s_xor_b64 s[4:5], exec, -1
; %bb.2423:
	s_or_b64 exec, exec, s[8:9]
	s_and_b64 s[4:5], s[4:5], exec
                                        ; implicit-def: $vgpr11
	s_or_saveexec_b64 s[6:7], s[6:7]
	v_mov_b32_e32 v12, s10
	s_xor_b64 exec, exec, s[6:7]
	s_cbranch_execz .LBB35_374
.LBB35_2424:
	v_cmp_ne_u16_e32 vcc, 0, v11
	s_andn2_b64 s[4:5], s[4:5], exec
	s_and_b64 s[8:9], vcc, exec
	v_mov_b32_e32 v12, 0
	s_or_b64 s[4:5], s[4:5], s[8:9]
	s_or_b64 exec, exec, s[6:7]
	s_and_saveexec_b64 s[6:7], s[4:5]
	s_cbranch_execnz .LBB35_375
	s_branch .LBB35_376
.LBB35_2425:
	s_movk_i32 s4, 0x80
	v_cmp_eq_u16_sdwa s[12:13], v17, s4 src0_sel:BYTE_3 src1_sel:DWORD
	s_mov_b64 s[4:5], -1
                                        ; implicit-def: $sgpr10
	s_and_saveexec_b64 s[8:9], s[12:13]
; %bb.2426:
	s_mov_b32 s10, 0x7f800001
	s_xor_b64 s[4:5], exec, -1
; %bb.2427:
	s_or_b64 exec, exec, s[8:9]
	s_and_b64 s[4:5], s[4:5], exec
	s_or_saveexec_b64 s[6:7], s[6:7]
	v_mov_b32_e32 v10, s10
	s_xor_b64 exec, exec, s[6:7]
	s_cbranch_execz .LBB35_378
.LBB35_2428:
	v_mov_b32_e32 v10, 0
	v_cmp_ne_u16_sdwa s[8:9], v17, v10 src0_sel:BYTE_3 src1_sel:DWORD
	s_andn2_b64 s[4:5], s[4:5], exec
	s_and_b64 s[8:9], s[8:9], exec
	s_or_b64 s[4:5], s[4:5], s[8:9]
	s_or_b64 exec, exec, s[6:7]
	s_and_saveexec_b64 s[6:7], s[4:5]
	s_cbranch_execnz .LBB35_379
	s_branch .LBB35_380
.LBB35_2429:
	s_movk_i32 s4, 0x80
	v_cmp_eq_u16_sdwa s[12:13], v13, s4 src0_sel:BYTE_3 src1_sel:DWORD
	s_mov_b64 s[4:5], -1
                                        ; implicit-def: $sgpr10
	s_and_saveexec_b64 s[8:9], s[12:13]
; %bb.2430:
	s_mov_b32 s10, 0x7f800001
	s_xor_b64 s[4:5], exec, -1
; %bb.2431:
	s_or_b64 exec, exec, s[8:9]
	s_and_b64 s[4:5], s[4:5], exec
	s_or_saveexec_b64 s[6:7], s[6:7]
	v_mov_b32_e32 v11, s10
	s_xor_b64 exec, exec, s[6:7]
	s_cbranch_execz .LBB35_382
.LBB35_2432:
	v_mov_b32_e32 v11, 0
	v_cmp_ne_u16_sdwa s[8:9], v13, v11 src0_sel:BYTE_3 src1_sel:DWORD
	s_andn2_b64 s[4:5], s[4:5], exec
	s_and_b64 s[8:9], s[8:9], exec
	s_or_b64 s[4:5], s[4:5], s[8:9]
	s_or_b64 exec, exec, s[6:7]
	s_and_saveexec_b64 s[6:7], s[4:5]
	s_cbranch_execnz .LBB35_383
	s_branch .LBB35_384
.LBB35_2433:
	s_movk_i32 s4, 0x80
	v_cmp_eq_u16_sdwa s[12:13], v6, s4 src0_sel:BYTE_0 src1_sel:DWORD
	s_mov_b64 s[4:5], -1
                                        ; implicit-def: $sgpr10
	s_and_saveexec_b64 s[8:9], s[12:13]
; %bb.2434:
	s_mov_b32 s10, 0x7f800001
	s_xor_b64 s[4:5], exec, -1
; %bb.2435:
	s_or_b64 exec, exec, s[8:9]
	s_and_b64 s[4:5], s[4:5], exec
	s_or_saveexec_b64 s[6:7], s[6:7]
	v_mov_b32_e32 v10, s10
	s_xor_b64 exec, exec, s[6:7]
	s_cbranch_execz .LBB35_386
.LBB35_2436:
	v_mov_b32_e32 v10, 0
	v_cmp_ne_u16_sdwa s[8:9], v6, v10 src0_sel:BYTE_0 src1_sel:DWORD
	s_andn2_b64 s[4:5], s[4:5], exec
	s_and_b64 s[8:9], s[8:9], exec
	s_or_b64 s[4:5], s[4:5], s[8:9]
	s_or_b64 exec, exec, s[6:7]
	s_and_saveexec_b64 s[6:7], s[4:5]
	s_cbranch_execnz .LBB35_387
	s_branch .LBB35_388
.LBB35_2437:
	s_movk_i32 s4, 0x80
	v_cmp_eq_u16_sdwa s[12:13], v2, s4 src0_sel:BYTE_0 src1_sel:DWORD
	s_mov_b64 s[4:5], -1
                                        ; implicit-def: $sgpr10
	s_and_saveexec_b64 s[8:9], s[12:13]
; %bb.2438:
	s_mov_b32 s10, 0x7f800001
	s_xor_b64 s[4:5], exec, -1
; %bb.2439:
	s_or_b64 exec, exec, s[8:9]
	s_and_b64 s[4:5], s[4:5], exec
	s_or_saveexec_b64 s[6:7], s[6:7]
	v_mov_b32_e32 v11, s10
	s_xor_b64 exec, exec, s[6:7]
	s_cbranch_execz .LBB35_390
.LBB35_2440:
	v_mov_b32_e32 v11, 0
	v_cmp_ne_u16_sdwa s[8:9], v2, v11 src0_sel:BYTE_0 src1_sel:DWORD
	s_andn2_b64 s[4:5], s[4:5], exec
	s_and_b64 s[8:9], s[8:9], exec
	s_or_b64 s[4:5], s[4:5], s[8:9]
	s_or_b64 exec, exec, s[6:7]
	s_and_saveexec_b64 s[6:7], s[4:5]
	s_cbranch_execnz .LBB35_391
	s_branch .LBB35_392
.LBB35_2441:
	s_movk_i32 s4, 0x80
	v_cmp_eq_u16_sdwa s[12:13], v11, s4 src0_sel:BYTE_0 src1_sel:DWORD
	s_mov_b64 s[4:5], -1
                                        ; implicit-def: $sgpr10
	s_and_saveexec_b64 s[8:9], s[12:13]
; %bb.2442:
	s_mov_b32 s10, 0x7f800001
	s_xor_b64 s[4:5], exec, -1
; %bb.2443:
	s_or_b64 exec, exec, s[8:9]
	s_and_b64 s[4:5], s[4:5], exec
	s_or_saveexec_b64 s[6:7], s[6:7]
	v_mov_b32_e32 v10, s10
	s_xor_b64 exec, exec, s[6:7]
	s_cbranch_execz .LBB35_394
.LBB35_2444:
	v_mov_b32_e32 v10, 0
	v_cmp_ne_u16_sdwa s[8:9], v11, v10 src0_sel:BYTE_0 src1_sel:DWORD
	s_andn2_b64 s[4:5], s[4:5], exec
	s_and_b64 s[8:9], s[8:9], exec
	s_or_b64 s[4:5], s[4:5], s[8:9]
	s_or_b64 exec, exec, s[6:7]
	s_and_saveexec_b64 s[6:7], s[4:5]
	s_cbranch_execnz .LBB35_395
	s_branch .LBB35_396
.LBB35_2445:
	s_movk_i32 s4, 0x80
	v_cmp_eq_u16_sdwa s[12:13], v11, s4 src0_sel:BYTE_0 src1_sel:DWORD
	s_mov_b64 s[4:5], -1
                                        ; implicit-def: $sgpr10
	s_and_saveexec_b64 s[8:9], s[12:13]
; %bb.2446:
	s_mov_b32 s10, 0x7f800001
	s_xor_b64 s[4:5], exec, -1
; %bb.2447:
	s_or_b64 exec, exec, s[8:9]
	s_and_b64 s[4:5], s[4:5], exec
	s_or_saveexec_b64 s[6:7], s[6:7]
	v_mov_b32_e32 v12, s10
	s_xor_b64 exec, exec, s[6:7]
	s_cbranch_execz .LBB35_398
.LBB35_2448:
	v_mov_b32_e32 v12, 0
	v_cmp_ne_u16_sdwa s[8:9], v11, v12 src0_sel:BYTE_0 src1_sel:DWORD
	s_andn2_b64 s[4:5], s[4:5], exec
	s_and_b64 s[8:9], s[8:9], exec
	s_or_b64 s[4:5], s[4:5], s[8:9]
	s_or_b64 exec, exec, s[6:7]
	s_and_saveexec_b64 s[6:7], s[4:5]
	s_cbranch_execnz .LBB35_399
	s_branch .LBB35_400
.LBB35_2449:
	s_movk_i32 s4, 0x80
	v_cmp_eq_u16_e32 vcc, s4, v11
	s_mov_b64 s[4:5], -1
                                        ; implicit-def: $sgpr10
	s_and_saveexec_b64 s[8:9], vcc
; %bb.2450:
	s_mov_b32 s10, 0x7f800001
	s_xor_b64 s[4:5], exec, -1
; %bb.2451:
	s_or_b64 exec, exec, s[8:9]
	s_and_b64 s[4:5], s[4:5], exec
                                        ; implicit-def: $vgpr11
	s_or_saveexec_b64 s[6:7], s[6:7]
	v_mov_b32_e32 v10, s10
	s_xor_b64 exec, exec, s[6:7]
	s_cbranch_execz .LBB35_402
.LBB35_2452:
	v_cmp_ne_u16_e32 vcc, 0, v11
	s_andn2_b64 s[4:5], s[4:5], exec
	s_and_b64 s[8:9], vcc, exec
	v_mov_b32_e32 v10, 0
	s_or_b64 s[4:5], s[4:5], s[8:9]
	s_or_b64 exec, exec, s[6:7]
	s_and_saveexec_b64 s[6:7], s[4:5]
	s_cbranch_execnz .LBB35_403
	s_branch .LBB35_404
.LBB35_2453:
	s_movk_i32 s4, 0x80
	v_cmp_eq_u16_e32 vcc, s4, v11
	s_mov_b64 s[4:5], -1
                                        ; implicit-def: $sgpr10
	s_and_saveexec_b64 s[8:9], vcc
; %bb.2454:
	s_mov_b32 s10, 0x7f800001
	s_xor_b64 s[4:5], exec, -1
; %bb.2455:
	s_or_b64 exec, exec, s[8:9]
	s_and_b64 s[4:5], s[4:5], exec
                                        ; implicit-def: $vgpr11
	s_or_saveexec_b64 s[6:7], s[6:7]
	v_mov_b32_e32 v12, s10
	s_xor_b64 exec, exec, s[6:7]
	s_cbranch_execz .LBB35_406
.LBB35_2456:
	v_cmp_ne_u16_e32 vcc, 0, v11
	s_andn2_b64 s[4:5], s[4:5], exec
	s_and_b64 s[8:9], vcc, exec
	v_mov_b32_e32 v12, 0
	s_or_b64 s[4:5], s[4:5], s[8:9]
	s_or_b64 exec, exec, s[6:7]
	s_and_saveexec_b64 s[6:7], s[4:5]
	s_cbranch_execnz .LBB35_407
	s_branch .LBB35_408
.LBB35_2457:
	s_movk_i32 s4, 0x80
	v_cmp_eq_u16_sdwa s[12:13], v6, s4 src0_sel:BYTE_3 src1_sel:DWORD
	s_mov_b64 s[4:5], -1
                                        ; implicit-def: $sgpr10
	s_and_saveexec_b64 s[8:9], s[12:13]
; %bb.2458:
	s_mov_b32 s10, 0x7f800001
	s_xor_b64 s[4:5], exec, -1
; %bb.2459:
	s_or_b64 exec, exec, s[8:9]
	s_and_b64 s[4:5], s[4:5], exec
	s_or_saveexec_b64 s[6:7], s[6:7]
	v_mov_b32_e32 v10, s10
	s_xor_b64 exec, exec, s[6:7]
	s_cbranch_execz .LBB35_410
.LBB35_2460:
	v_mov_b32_e32 v10, 0
	v_cmp_ne_u16_sdwa s[8:9], v6, v10 src0_sel:BYTE_3 src1_sel:DWORD
	s_andn2_b64 s[4:5], s[4:5], exec
	s_and_b64 s[8:9], s[8:9], exec
	s_or_b64 s[4:5], s[4:5], s[8:9]
	s_or_b64 exec, exec, s[6:7]
	s_and_saveexec_b64 s[6:7], s[4:5]
	s_cbranch_execnz .LBB35_411
	s_branch .LBB35_412
.LBB35_2461:
	s_movk_i32 s4, 0x80
	v_cmp_eq_u16_sdwa s[12:13], v2, s4 src0_sel:BYTE_3 src1_sel:DWORD
	s_mov_b64 s[4:5], -1
                                        ; implicit-def: $sgpr10
	s_and_saveexec_b64 s[8:9], s[12:13]
; %bb.2462:
	s_mov_b32 s10, 0x7f800001
	s_xor_b64 s[4:5], exec, -1
; %bb.2463:
	s_or_b64 exec, exec, s[8:9]
	s_and_b64 s[4:5], s[4:5], exec
	s_or_saveexec_b64 s[6:7], s[6:7]
	v_mov_b32_e32 v6, s10
	s_xor_b64 exec, exec, s[6:7]
	s_cbranch_execz .LBB35_414
.LBB35_2464:
	v_mov_b32_e32 v6, 0
	v_cmp_ne_u16_sdwa s[8:9], v2, v6 src0_sel:BYTE_3 src1_sel:DWORD
	s_andn2_b64 s[4:5], s[4:5], exec
	s_and_b64 s[8:9], s[8:9], exec
	s_or_b64 s[4:5], s[4:5], s[8:9]
	s_or_b64 exec, exec, s[6:7]
	s_and_saveexec_b64 s[6:7], s[4:5]
	s_cbranch_execnz .LBB35_415
	s_branch .LBB35_416
.LBB35_2465:
	s_movk_i32 s4, 0x80
	v_cmp_eq_u16_sdwa s[12:13], v7, s4 src0_sel:BYTE_0 src1_sel:DWORD
	s_mov_b64 s[4:5], -1
                                        ; implicit-def: $sgpr10
	s_and_saveexec_b64 s[8:9], s[12:13]
; %bb.2466:
	s_mov_b32 s10, 0x7f800001
	s_xor_b64 s[4:5], exec, -1
; %bb.2467:
	s_or_b64 exec, exec, s[8:9]
	s_and_b64 s[4:5], s[4:5], exec
	s_or_saveexec_b64 s[6:7], s[6:7]
	v_mov_b32_e32 v2, s10
	s_xor_b64 exec, exec, s[6:7]
	s_cbranch_execz .LBB35_418
.LBB35_2468:
	v_mov_b32_e32 v2, 0
	v_cmp_ne_u16_sdwa s[8:9], v7, v2 src0_sel:BYTE_0 src1_sel:DWORD
	s_andn2_b64 s[4:5], s[4:5], exec
	s_and_b64 s[8:9], s[8:9], exec
	s_or_b64 s[4:5], s[4:5], s[8:9]
	s_or_b64 exec, exec, s[6:7]
	s_and_saveexec_b64 s[6:7], s[4:5]
	s_cbranch_execnz .LBB35_419
	s_branch .LBB35_420
.LBB35_2469:
	s_movk_i32 s4, 0x80
	v_cmp_eq_u16_sdwa s[12:13], v3, s4 src0_sel:BYTE_0 src1_sel:DWORD
	s_mov_b64 s[4:5], -1
                                        ; implicit-def: $sgpr10
	s_and_saveexec_b64 s[8:9], s[12:13]
; %bb.2470:
	s_mov_b32 s10, 0x7f800001
	s_xor_b64 s[4:5], exec, -1
; %bb.2471:
	s_or_b64 exec, exec, s[8:9]
	s_and_b64 s[4:5], s[4:5], exec
	s_or_saveexec_b64 s[6:7], s[6:7]
	v_mov_b32_e32 v6, s10
	s_xor_b64 exec, exec, s[6:7]
	s_cbranch_execz .LBB35_422
.LBB35_2472:
	v_mov_b32_e32 v6, 0
	v_cmp_ne_u16_sdwa s[8:9], v3, v6 src0_sel:BYTE_0 src1_sel:DWORD
	s_andn2_b64 s[4:5], s[4:5], exec
	s_and_b64 s[8:9], s[8:9], exec
	s_or_b64 s[4:5], s[4:5], s[8:9]
	s_or_b64 exec, exec, s[6:7]
	s_and_saveexec_b64 s[6:7], s[4:5]
	s_cbranch_execnz .LBB35_423
	s_branch .LBB35_424
.LBB35_2473:
	s_movk_i32 s4, 0x80
	v_cmp_eq_u16_sdwa s[12:13], v6, s4 src0_sel:BYTE_0 src1_sel:DWORD
	s_mov_b64 s[4:5], -1
                                        ; implicit-def: $sgpr10
	s_and_saveexec_b64 s[8:9], s[12:13]
; %bb.2474:
	s_mov_b32 s10, 0x7f800001
	s_xor_b64 s[4:5], exec, -1
; %bb.2475:
	s_or_b64 exec, exec, s[8:9]
	s_and_b64 s[4:5], s[4:5], exec
	s_or_saveexec_b64 s[6:7], s[6:7]
	v_mov_b32_e32 v2, s10
	s_xor_b64 exec, exec, s[6:7]
	s_cbranch_execz .LBB35_426
.LBB35_2476:
	v_mov_b32_e32 v2, 0
	v_cmp_ne_u16_sdwa s[8:9], v6, v2 src0_sel:BYTE_0 src1_sel:DWORD
	s_andn2_b64 s[4:5], s[4:5], exec
	s_and_b64 s[8:9], s[8:9], exec
	s_or_b64 s[4:5], s[4:5], s[8:9]
	s_or_b64 exec, exec, s[6:7]
	s_and_saveexec_b64 s[6:7], s[4:5]
	s_cbranch_execnz .LBB35_427
	s_branch .LBB35_428
.LBB35_2477:
	s_movk_i32 s4, 0x80
	v_cmp_eq_u16_sdwa s[12:13], v6, s4 src0_sel:BYTE_0 src1_sel:DWORD
	s_mov_b64 s[4:5], -1
                                        ; implicit-def: $sgpr10
	s_and_saveexec_b64 s[8:9], s[12:13]
; %bb.2478:
	s_mov_b32 s10, 0x7f800001
	s_xor_b64 s[4:5], exec, -1
; %bb.2479:
	s_or_b64 exec, exec, s[8:9]
	s_and_b64 s[4:5], s[4:5], exec
	s_or_saveexec_b64 s[6:7], s[6:7]
	v_mov_b32_e32 v10, s10
	s_xor_b64 exec, exec, s[6:7]
	s_cbranch_execz .LBB35_430
.LBB35_2480:
	v_mov_b32_e32 v10, 0
	v_cmp_ne_u16_sdwa s[8:9], v6, v10 src0_sel:BYTE_0 src1_sel:DWORD
	s_andn2_b64 s[4:5], s[4:5], exec
	s_and_b64 s[8:9], s[8:9], exec
	s_or_b64 s[4:5], s[4:5], s[8:9]
	s_or_b64 exec, exec, s[6:7]
	s_and_saveexec_b64 s[6:7], s[4:5]
	s_cbranch_execnz .LBB35_431
	s_branch .LBB35_432
.LBB35_2481:
	s_movk_i32 s4, 0x80
	v_cmp_eq_u16_e32 vcc, s4, v6
	s_mov_b64 s[4:5], -1
                                        ; implicit-def: $sgpr10
	s_and_saveexec_b64 s[8:9], vcc
; %bb.2482:
	s_mov_b32 s10, 0x7f800001
	s_xor_b64 s[4:5], exec, -1
; %bb.2483:
	s_or_b64 exec, exec, s[8:9]
	s_and_b64 s[4:5], s[4:5], exec
                                        ; implicit-def: $vgpr6
	s_or_saveexec_b64 s[6:7], s[6:7]
	v_mov_b32_e32 v2, s10
	s_xor_b64 exec, exec, s[6:7]
	s_cbranch_execz .LBB35_434
.LBB35_2484:
	v_cmp_ne_u16_e32 vcc, 0, v6
	s_andn2_b64 s[4:5], s[4:5], exec
	s_and_b64 s[8:9], vcc, exec
	v_mov_b32_e32 v2, 0
	s_or_b64 s[4:5], s[4:5], s[8:9]
	s_or_b64 exec, exec, s[6:7]
	s_and_saveexec_b64 s[6:7], s[4:5]
	s_cbranch_execnz .LBB35_435
	s_branch .LBB35_436
.LBB35_2485:
	s_movk_i32 s4, 0x80
	v_cmp_eq_u16_e32 vcc, s4, v6
	s_mov_b64 s[4:5], -1
                                        ; implicit-def: $sgpr10
	s_and_saveexec_b64 s[8:9], vcc
; %bb.2486:
	s_mov_b32 s10, 0x7f800001
	s_xor_b64 s[4:5], exec, -1
; %bb.2487:
	s_or_b64 exec, exec, s[8:9]
	s_and_b64 s[4:5], s[4:5], exec
                                        ; implicit-def: $vgpr6
	s_or_saveexec_b64 s[6:7], s[6:7]
	v_mov_b32_e32 v10, s10
	s_xor_b64 exec, exec, s[6:7]
	s_cbranch_execz .LBB35_438
.LBB35_2488:
	v_cmp_ne_u16_e32 vcc, 0, v6
	s_andn2_b64 s[4:5], s[4:5], exec
	s_and_b64 s[8:9], vcc, exec
	v_mov_b32_e32 v10, 0
	s_or_b64 s[4:5], s[4:5], s[8:9]
	s_or_b64 exec, exec, s[6:7]
	s_and_saveexec_b64 s[6:7], s[4:5]
	s_cbranch_execnz .LBB35_439
	s_branch .LBB35_440
.LBB35_2489:
	s_movk_i32 s4, 0x80
	v_cmp_eq_u16_sdwa s[12:13], v7, s4 src0_sel:BYTE_3 src1_sel:DWORD
	s_mov_b64 s[4:5], -1
                                        ; implicit-def: $sgpr10
	s_and_saveexec_b64 s[8:9], s[12:13]
; %bb.2490:
	s_mov_b32 s10, 0x7f800001
	s_xor_b64 s[4:5], exec, -1
; %bb.2491:
	s_or_b64 exec, exec, s[8:9]
	s_and_b64 s[4:5], s[4:5], exec
	s_or_saveexec_b64 s[6:7], s[6:7]
	v_mov_b32_e32 v2, s10
	s_xor_b64 exec, exec, s[6:7]
	s_cbranch_execz .LBB35_442
.LBB35_2492:
	v_mov_b32_e32 v2, 0
	v_cmp_ne_u16_sdwa s[8:9], v7, v2 src0_sel:BYTE_3 src1_sel:DWORD
	s_andn2_b64 s[4:5], s[4:5], exec
	s_and_b64 s[8:9], s[8:9], exec
	s_or_b64 s[4:5], s[4:5], s[8:9]
	s_or_b64 exec, exec, s[6:7]
	s_and_saveexec_b64 s[6:7], s[4:5]
	s_cbranch_execnz .LBB35_443
	s_branch .LBB35_444
.LBB35_2493:
	s_movk_i32 s4, 0x80
	v_cmp_eq_u16_sdwa s[12:13], v3, s4 src0_sel:BYTE_3 src1_sel:DWORD
	s_mov_b64 s[4:5], -1
                                        ; implicit-def: $sgpr10
	s_and_saveexec_b64 s[8:9], s[12:13]
; %bb.2494:
	s_mov_b32 s10, 0x7f800001
	s_xor_b64 s[4:5], exec, -1
; %bb.2495:
	s_or_b64 exec, exec, s[8:9]
	s_and_b64 s[4:5], s[4:5], exec
	s_or_saveexec_b64 s[6:7], s[6:7]
	v_mov_b32_e32 v6, s10
	s_xor_b64 exec, exec, s[6:7]
	s_cbranch_execz .LBB35_446
.LBB35_2496:
	v_mov_b32_e32 v6, 0
	v_cmp_ne_u16_sdwa s[8:9], v3, v6 src0_sel:BYTE_3 src1_sel:DWORD
	s_andn2_b64 s[4:5], s[4:5], exec
	s_and_b64 s[8:9], s[8:9], exec
	s_or_b64 s[4:5], s[4:5], s[8:9]
	s_or_b64 exec, exec, s[6:7]
	s_and_saveexec_b64 s[6:7], s[4:5]
	s_cbranch_execnz .LBB35_447
	s_branch .LBB35_448
.LBB35_2497:
	s_movk_i32 s4, 0x80
	v_cmp_eq_u16_sdwa s[12:13], v8, s4 src0_sel:BYTE_0 src1_sel:DWORD
	s_mov_b64 s[4:5], -1
                                        ; implicit-def: $sgpr10
	s_and_saveexec_b64 s[8:9], s[12:13]
; %bb.2498:
	s_mov_b32 s10, 0x7f800001
	s_xor_b64 s[4:5], exec, -1
; %bb.2499:
	s_or_b64 exec, exec, s[8:9]
	s_and_b64 s[4:5], s[4:5], exec
	s_or_saveexec_b64 s[6:7], s[6:7]
	v_mov_b32_e32 v2, s10
	s_xor_b64 exec, exec, s[6:7]
	s_cbranch_execz .LBB35_450
.LBB35_2500:
	v_mov_b32_e32 v2, 0
	v_cmp_ne_u16_sdwa s[8:9], v8, v2 src0_sel:BYTE_0 src1_sel:DWORD
	s_andn2_b64 s[4:5], s[4:5], exec
	s_and_b64 s[8:9], s[8:9], exec
	s_or_b64 s[4:5], s[4:5], s[8:9]
	s_or_b64 exec, exec, s[6:7]
	s_and_saveexec_b64 s[6:7], s[4:5]
	s_cbranch_execnz .LBB35_451
	s_branch .LBB35_452
.LBB35_2501:
	s_movk_i32 s4, 0x80
	v_cmp_eq_u16_sdwa s[12:13], v4, s4 src0_sel:BYTE_0 src1_sel:DWORD
	s_mov_b64 s[4:5], -1
                                        ; implicit-def: $sgpr10
	s_and_saveexec_b64 s[8:9], s[12:13]
; %bb.2502:
	s_mov_b32 s10, 0x7f800001
	s_xor_b64 s[4:5], exec, -1
; %bb.2503:
	s_or_b64 exec, exec, s[8:9]
	s_and_b64 s[4:5], s[4:5], exec
	s_or_saveexec_b64 s[6:7], s[6:7]
	v_mov_b32_e32 v3, s10
	s_xor_b64 exec, exec, s[6:7]
	s_cbranch_execz .LBB35_454
.LBB35_2504:
	v_mov_b32_e32 v3, 0
	v_cmp_ne_u16_sdwa s[8:9], v4, v3 src0_sel:BYTE_0 src1_sel:DWORD
	s_andn2_b64 s[4:5], s[4:5], exec
	s_and_b64 s[8:9], s[8:9], exec
	s_or_b64 s[4:5], s[4:5], s[8:9]
	s_or_b64 exec, exec, s[6:7]
	s_and_saveexec_b64 s[6:7], s[4:5]
	s_cbranch_execnz .LBB35_455
	s_branch .LBB35_456
.LBB35_2505:
	s_movk_i32 s4, 0x80
	v_cmp_eq_u16_sdwa s[12:13], v3, s4 src0_sel:BYTE_0 src1_sel:DWORD
	s_mov_b64 s[4:5], -1
                                        ; implicit-def: $sgpr10
	s_and_saveexec_b64 s[8:9], s[12:13]
; %bb.2506:
	s_mov_b32 s10, 0x7f800001
	s_xor_b64 s[4:5], exec, -1
; %bb.2507:
	s_or_b64 exec, exec, s[8:9]
	s_and_b64 s[4:5], s[4:5], exec
	s_or_saveexec_b64 s[6:7], s[6:7]
	v_mov_b32_e32 v2, s10
	s_xor_b64 exec, exec, s[6:7]
	s_cbranch_execz .LBB35_458
.LBB35_2508:
	v_mov_b32_e32 v2, 0
	v_cmp_ne_u16_sdwa s[8:9], v3, v2 src0_sel:BYTE_0 src1_sel:DWORD
	s_andn2_b64 s[4:5], s[4:5], exec
	s_and_b64 s[8:9], s[8:9], exec
	s_or_b64 s[4:5], s[4:5], s[8:9]
	s_or_b64 exec, exec, s[6:7]
	s_and_saveexec_b64 s[6:7], s[4:5]
	s_cbranch_execnz .LBB35_459
	s_branch .LBB35_460
.LBB35_2509:
	s_movk_i32 s4, 0x80
	v_cmp_eq_u16_sdwa s[12:13], v3, s4 src0_sel:BYTE_0 src1_sel:DWORD
	s_mov_b64 s[4:5], -1
                                        ; implicit-def: $sgpr10
	s_and_saveexec_b64 s[8:9], s[12:13]
; %bb.2510:
	s_mov_b32 s10, 0x7f800001
	s_xor_b64 s[4:5], exec, -1
; %bb.2511:
	s_or_b64 exec, exec, s[8:9]
	s_and_b64 s[4:5], s[4:5], exec
	s_or_saveexec_b64 s[6:7], s[6:7]
	v_mov_b32_e32 v6, s10
	s_xor_b64 exec, exec, s[6:7]
	s_cbranch_execz .LBB35_462
.LBB35_2512:
	v_mov_b32_e32 v6, 0
	v_cmp_ne_u16_sdwa s[8:9], v3, v6 src0_sel:BYTE_0 src1_sel:DWORD
	s_andn2_b64 s[4:5], s[4:5], exec
	s_and_b64 s[8:9], s[8:9], exec
	s_or_b64 s[4:5], s[4:5], s[8:9]
	s_or_b64 exec, exec, s[6:7]
	s_and_saveexec_b64 s[6:7], s[4:5]
	s_cbranch_execnz .LBB35_463
	s_branch .LBB35_464
.LBB35_2513:
	s_movk_i32 s4, 0x80
	v_cmp_eq_u16_e32 vcc, s4, v3
	s_mov_b64 s[4:5], -1
                                        ; implicit-def: $sgpr10
	s_and_saveexec_b64 s[8:9], vcc
; %bb.2514:
	s_mov_b32 s10, 0x7f800001
	s_xor_b64 s[4:5], exec, -1
; %bb.2515:
	s_or_b64 exec, exec, s[8:9]
	s_and_b64 s[4:5], s[4:5], exec
                                        ; implicit-def: $vgpr3
	s_or_saveexec_b64 s[6:7], s[6:7]
	v_mov_b32_e32 v2, s10
	s_xor_b64 exec, exec, s[6:7]
	s_cbranch_execz .LBB35_466
.LBB35_2516:
	v_cmp_ne_u16_e32 vcc, 0, v3
	s_andn2_b64 s[4:5], s[4:5], exec
	s_and_b64 s[8:9], vcc, exec
	v_mov_b32_e32 v2, 0
	s_or_b64 s[4:5], s[4:5], s[8:9]
	s_or_b64 exec, exec, s[6:7]
	s_and_saveexec_b64 s[6:7], s[4:5]
	s_cbranch_execnz .LBB35_467
	s_branch .LBB35_468
.LBB35_2517:
	s_movk_i32 s4, 0x80
	v_cmp_eq_u16_e32 vcc, s4, v3
	s_mov_b64 s[4:5], -1
                                        ; implicit-def: $sgpr10
	s_and_saveexec_b64 s[8:9], vcc
; %bb.2518:
	s_mov_b32 s10, 0x7f800001
	s_xor_b64 s[4:5], exec, -1
; %bb.2519:
	s_or_b64 exec, exec, s[8:9]
	s_and_b64 s[4:5], s[4:5], exec
                                        ; implicit-def: $vgpr3
	s_or_saveexec_b64 s[6:7], s[6:7]
	v_mov_b32_e32 v6, s10
	s_xor_b64 exec, exec, s[6:7]
	s_cbranch_execz .LBB35_470
.LBB35_2520:
	v_cmp_ne_u16_e32 vcc, 0, v3
	s_andn2_b64 s[4:5], s[4:5], exec
	s_and_b64 s[8:9], vcc, exec
	v_mov_b32_e32 v6, 0
	s_or_b64 s[4:5], s[4:5], s[8:9]
	s_or_b64 exec, exec, s[6:7]
	s_and_saveexec_b64 s[6:7], s[4:5]
	s_cbranch_execnz .LBB35_471
	s_branch .LBB35_472
.LBB35_2521:
	s_movk_i32 s4, 0x80
	v_cmp_eq_u16_sdwa s[12:13], v8, s4 src0_sel:BYTE_3 src1_sel:DWORD
	s_mov_b64 s[4:5], -1
                                        ; implicit-def: $sgpr10
	s_and_saveexec_b64 s[8:9], s[12:13]
; %bb.2522:
	s_mov_b32 s10, 0x7f800001
	s_xor_b64 s[4:5], exec, -1
; %bb.2523:
	s_or_b64 exec, exec, s[8:9]
	s_and_b64 s[4:5], s[4:5], exec
	s_or_saveexec_b64 s[6:7], s[6:7]
	v_mov_b32_e32 v2, s10
	s_xor_b64 exec, exec, s[6:7]
	s_cbranch_execz .LBB35_474
.LBB35_2524:
	v_mov_b32_e32 v2, 0
	v_cmp_ne_u16_sdwa s[8:9], v8, v2 src0_sel:BYTE_3 src1_sel:DWORD
	s_andn2_b64 s[4:5], s[4:5], exec
	s_and_b64 s[8:9], s[8:9], exec
	s_or_b64 s[4:5], s[4:5], s[8:9]
	s_or_b64 exec, exec, s[6:7]
	s_and_saveexec_b64 s[6:7], s[4:5]
	s_cbranch_execnz .LBB35_475
	s_branch .LBB35_476
.LBB35_2525:
	s_movk_i32 s4, 0x80
	v_cmp_eq_u16_sdwa s[12:13], v4, s4 src0_sel:BYTE_3 src1_sel:DWORD
	s_mov_b64 s[4:5], -1
                                        ; implicit-def: $sgpr10
	s_and_saveexec_b64 s[8:9], s[12:13]
; %bb.2526:
	s_mov_b32 s10, 0x7f800001
	s_xor_b64 s[4:5], exec, -1
; %bb.2527:
	s_or_b64 exec, exec, s[8:9]
	s_and_b64 s[4:5], s[4:5], exec
	s_or_saveexec_b64 s[6:7], s[6:7]
	v_mov_b32_e32 v3, s10
	s_xor_b64 exec, exec, s[6:7]
	s_cbranch_execz .LBB35_478
.LBB35_2528:
	v_mov_b32_e32 v3, 0
	v_cmp_ne_u16_sdwa s[8:9], v4, v3 src0_sel:BYTE_3 src1_sel:DWORD
	s_andn2_b64 s[4:5], s[4:5], exec
	s_and_b64 s[8:9], s[8:9], exec
	s_or_b64 s[4:5], s[4:5], s[8:9]
	s_or_b64 exec, exec, s[6:7]
	s_and_saveexec_b64 s[6:7], s[4:5]
	s_cbranch_execnz .LBB35_479
	s_branch .LBB35_480
.LBB35_2529:
	s_movk_i32 s4, 0x80
	v_cmp_eq_u16_sdwa s[12:13], v9, s4 src0_sel:BYTE_0 src1_sel:DWORD
	s_mov_b64 s[4:5], -1
                                        ; implicit-def: $sgpr10
	s_and_saveexec_b64 s[8:9], s[12:13]
; %bb.2530:
	s_mov_b32 s10, 0x7f800001
	s_xor_b64 s[4:5], exec, -1
; %bb.2531:
	s_or_b64 exec, exec, s[8:9]
	s_and_b64 s[4:5], s[4:5], exec
	s_or_saveexec_b64 s[6:7], s[6:7]
	v_mov_b32_e32 v2, s10
	s_xor_b64 exec, exec, s[6:7]
	s_cbranch_execz .LBB35_482
.LBB35_2532:
	v_mov_b32_e32 v2, 0
	v_cmp_ne_u16_sdwa s[8:9], v9, v2 src0_sel:BYTE_0 src1_sel:DWORD
	s_andn2_b64 s[4:5], s[4:5], exec
	s_and_b64 s[8:9], s[8:9], exec
	s_or_b64 s[4:5], s[4:5], s[8:9]
	s_or_b64 exec, exec, s[6:7]
	s_and_saveexec_b64 s[6:7], s[4:5]
	s_cbranch_execnz .LBB35_483
	s_branch .LBB35_484
.LBB35_2533:
	s_movk_i32 s4, 0x80
	v_cmp_eq_u16_sdwa s[12:13], v5, s4 src0_sel:BYTE_0 src1_sel:DWORD
	s_mov_b64 s[4:5], -1
                                        ; implicit-def: $sgpr10
	s_and_saveexec_b64 s[8:9], s[12:13]
; %bb.2534:
	s_mov_b32 s10, 0x7f800001
	s_xor_b64 s[4:5], exec, -1
; %bb.2535:
	s_or_b64 exec, exec, s[8:9]
	s_and_b64 s[4:5], s[4:5], exec
	s_or_saveexec_b64 s[6:7], s[6:7]
	v_mov_b32_e32 v3, s10
	s_xor_b64 exec, exec, s[6:7]
	s_cbranch_execz .LBB35_486
.LBB35_2536:
	v_mov_b32_e32 v3, 0
	v_cmp_ne_u16_sdwa s[8:9], v5, v3 src0_sel:BYTE_0 src1_sel:DWORD
	s_andn2_b64 s[4:5], s[4:5], exec
	s_and_b64 s[8:9], s[8:9], exec
	s_or_b64 s[4:5], s[4:5], s[8:9]
	s_or_b64 exec, exec, s[6:7]
	s_and_saveexec_b64 s[6:7], s[4:5]
	s_cbranch_execnz .LBB35_487
	s_branch .LBB35_488
.LBB35_2537:
	s_movk_i32 s4, 0x80
	v_cmp_eq_u16_sdwa s[12:13], v3, s4 src0_sel:BYTE_0 src1_sel:DWORD
	s_mov_b64 s[4:5], -1
                                        ; implicit-def: $sgpr10
	s_and_saveexec_b64 s[8:9], s[12:13]
; %bb.2538:
	s_mov_b32 s10, 0x7f800001
	s_xor_b64 s[4:5], exec, -1
; %bb.2539:
	s_or_b64 exec, exec, s[8:9]
	s_and_b64 s[4:5], s[4:5], exec
	s_or_saveexec_b64 s[6:7], s[6:7]
	v_mov_b32_e32 v2, s10
	s_xor_b64 exec, exec, s[6:7]
	s_cbranch_execz .LBB35_490
.LBB35_2540:
	v_mov_b32_e32 v2, 0
	v_cmp_ne_u16_sdwa s[8:9], v3, v2 src0_sel:BYTE_0 src1_sel:DWORD
	s_andn2_b64 s[4:5], s[4:5], exec
	s_and_b64 s[8:9], s[8:9], exec
	s_or_b64 s[4:5], s[4:5], s[8:9]
	s_or_b64 exec, exec, s[6:7]
	s_and_saveexec_b64 s[6:7], s[4:5]
	s_cbranch_execnz .LBB35_491
	s_branch .LBB35_492
.LBB35_2541:
	s_movk_i32 s4, 0x80
	v_cmp_eq_u16_sdwa s[12:13], v3, s4 src0_sel:BYTE_0 src1_sel:DWORD
	s_mov_b64 s[4:5], -1
                                        ; implicit-def: $sgpr10
	s_and_saveexec_b64 s[8:9], s[12:13]
; %bb.2542:
	s_mov_b32 s10, 0x7f800001
	s_xor_b64 s[4:5], exec, -1
; %bb.2543:
	s_or_b64 exec, exec, s[8:9]
	s_and_b64 s[4:5], s[4:5], exec
	s_or_saveexec_b64 s[6:7], s[6:7]
	v_mov_b32_e32 v4, s10
	s_xor_b64 exec, exec, s[6:7]
	s_cbranch_execz .LBB35_494
.LBB35_2544:
	v_mov_b32_e32 v4, 0
	v_cmp_ne_u16_sdwa s[8:9], v3, v4 src0_sel:BYTE_0 src1_sel:DWORD
	s_andn2_b64 s[4:5], s[4:5], exec
	s_and_b64 s[8:9], s[8:9], exec
	s_or_b64 s[4:5], s[4:5], s[8:9]
	s_or_b64 exec, exec, s[6:7]
	s_and_saveexec_b64 s[6:7], s[4:5]
	s_cbranch_execnz .LBB35_495
	s_branch .LBB35_496
.LBB35_2545:
	s_movk_i32 s4, 0x80
	v_cmp_eq_u16_e32 vcc, s4, v3
	s_mov_b64 s[4:5], -1
                                        ; implicit-def: $sgpr10
	s_and_saveexec_b64 s[8:9], vcc
; %bb.2546:
	s_mov_b32 s10, 0x7f800001
	s_xor_b64 s[4:5], exec, -1
; %bb.2547:
	s_or_b64 exec, exec, s[8:9]
	s_and_b64 s[4:5], s[4:5], exec
                                        ; implicit-def: $vgpr3
	s_or_saveexec_b64 s[6:7], s[6:7]
	v_mov_b32_e32 v2, s10
	s_xor_b64 exec, exec, s[6:7]
	s_cbranch_execz .LBB35_498
.LBB35_2548:
	v_cmp_ne_u16_e32 vcc, 0, v3
	s_andn2_b64 s[4:5], s[4:5], exec
	s_and_b64 s[8:9], vcc, exec
	v_mov_b32_e32 v2, 0
	s_or_b64 s[4:5], s[4:5], s[8:9]
	s_or_b64 exec, exec, s[6:7]
	s_and_saveexec_b64 s[6:7], s[4:5]
	s_cbranch_execnz .LBB35_499
	s_branch .LBB35_500
.LBB35_2549:
	s_movk_i32 s4, 0x80
	v_cmp_eq_u16_e32 vcc, s4, v3
	s_mov_b64 s[4:5], -1
                                        ; implicit-def: $sgpr10
	s_and_saveexec_b64 s[8:9], vcc
; %bb.2550:
	s_mov_b32 s10, 0x7f800001
	s_xor_b64 s[4:5], exec, -1
; %bb.2551:
	s_or_b64 exec, exec, s[8:9]
	s_and_b64 s[4:5], s[4:5], exec
                                        ; implicit-def: $vgpr3
	s_or_saveexec_b64 s[6:7], s[6:7]
	v_mov_b32_e32 v4, s10
	s_xor_b64 exec, exec, s[6:7]
	s_cbranch_execz .LBB35_502
.LBB35_2552:
	v_cmp_ne_u16_e32 vcc, 0, v3
	s_andn2_b64 s[4:5], s[4:5], exec
	s_and_b64 s[8:9], vcc, exec
	v_mov_b32_e32 v4, 0
	s_or_b64 s[4:5], s[4:5], s[8:9]
	s_or_b64 exec, exec, s[6:7]
	s_and_saveexec_b64 s[6:7], s[4:5]
	s_cbranch_execnz .LBB35_503
	s_branch .LBB35_504
.LBB35_2553:
	s_movk_i32 s4, 0x80
	v_cmp_eq_u16_sdwa s[12:13], v9, s4 src0_sel:BYTE_3 src1_sel:DWORD
	s_mov_b64 s[4:5], -1
                                        ; implicit-def: $sgpr10
	s_and_saveexec_b64 s[8:9], s[12:13]
; %bb.2554:
	s_mov_b32 s10, 0x7f800001
	s_xor_b64 s[4:5], exec, -1
; %bb.2555:
	s_or_b64 exec, exec, s[8:9]
	s_and_b64 s[4:5], s[4:5], exec
	s_or_saveexec_b64 s[6:7], s[6:7]
	v_mov_b32_e32 v2, s10
	s_xor_b64 exec, exec, s[6:7]
	s_cbranch_execz .LBB35_506
.LBB35_2556:
	v_mov_b32_e32 v2, 0
	v_cmp_ne_u16_sdwa s[8:9], v9, v2 src0_sel:BYTE_3 src1_sel:DWORD
	s_andn2_b64 s[4:5], s[4:5], exec
	s_and_b64 s[8:9], s[8:9], exec
	s_or_b64 s[4:5], s[4:5], s[8:9]
	s_or_b64 exec, exec, s[6:7]
	s_and_saveexec_b64 s[6:7], s[4:5]
	s_cbranch_execnz .LBB35_507
	s_branch .LBB35_508
.LBB35_2557:
	s_movk_i32 s4, 0x80
	v_cmp_eq_u16_sdwa s[12:13], v5, s4 src0_sel:BYTE_3 src1_sel:DWORD
	s_mov_b64 s[4:5], -1
                                        ; implicit-def: $sgpr10
	s_and_saveexec_b64 s[8:9], s[12:13]
; %bb.2558:
	s_mov_b32 s10, 0x7f800001
	s_xor_b64 s[4:5], exec, -1
; %bb.2559:
	s_or_b64 exec, exec, s[8:9]
	s_and_b64 s[4:5], s[4:5], exec
	s_or_saveexec_b64 s[6:7], s[6:7]
	v_mov_b32_e32 v3, s10
	s_xor_b64 exec, exec, s[6:7]
	s_cbranch_execz .LBB35_510
.LBB35_2560:
	v_mov_b32_e32 v3, 0
	v_cmp_ne_u16_sdwa s[8:9], v5, v3 src0_sel:BYTE_3 src1_sel:DWORD
	s_andn2_b64 s[4:5], s[4:5], exec
	s_and_b64 s[8:9], s[8:9], exec
	s_or_b64 s[4:5], s[4:5], s[8:9]
	s_or_b64 exec, exec, s[6:7]
	s_and_saveexec_b64 s[6:7], s[4:5]
	s_cbranch_execnz .LBB35_511
	s_branch .LBB35_512
.LBB35_2561:
	s_movk_i32 s4, 0x80
	v_cmp_eq_u16_sdwa s[12:13], v14, s4 src0_sel:BYTE_0 src1_sel:DWORD
	s_mov_b64 s[4:5], -1
                                        ; implicit-def: $sgpr10
	s_and_saveexec_b64 s[8:9], s[12:13]
; %bb.2562:
	s_mov_b32 s10, 0x7f800001
	s_xor_b64 s[4:5], exec, -1
; %bb.2563:
	s_or_b64 exec, exec, s[8:9]
	s_and_b64 s[4:5], s[4:5], exec
	s_or_saveexec_b64 s[6:7], s[6:7]
	v_mov_b32_e32 v20, s10
	s_xor_b64 exec, exec, s[6:7]
	s_cbranch_execz .LBB35_514
.LBB35_2564:
	v_mov_b32_e32 v20, 0
	v_cmp_ne_u16_sdwa s[8:9], v14, v20 src0_sel:BYTE_0 src1_sel:DWORD
	s_andn2_b64 s[4:5], s[4:5], exec
	s_and_b64 s[8:9], s[8:9], exec
	s_or_b64 s[4:5], s[4:5], s[8:9]
	s_or_b64 exec, exec, s[6:7]
	s_and_saveexec_b64 s[6:7], s[4:5]
	s_cbranch_execnz .LBB35_515
	s_branch .LBB35_516
.LBB35_2565:
	s_movk_i32 s4, 0x80
	v_cmp_eq_u16_sdwa s[12:13], v10, s4 src0_sel:BYTE_0 src1_sel:DWORD
	s_mov_b64 s[4:5], -1
                                        ; implicit-def: $sgpr10
	s_and_saveexec_b64 s[8:9], s[12:13]
; %bb.2566:
	s_mov_b32 s10, 0x7f800001
	s_xor_b64 s[4:5], exec, -1
; %bb.2567:
	s_or_b64 exec, exec, s[8:9]
	s_and_b64 s[4:5], s[4:5], exec
	s_or_saveexec_b64 s[6:7], s[6:7]
	v_mov_b32_e32 v21, s10
	s_xor_b64 exec, exec, s[6:7]
	s_cbranch_execz .LBB35_518
.LBB35_2568:
	v_mov_b32_e32 v21, 0
	v_cmp_ne_u16_sdwa s[8:9], v10, v21 src0_sel:BYTE_0 src1_sel:DWORD
	s_andn2_b64 s[4:5], s[4:5], exec
	s_and_b64 s[8:9], s[8:9], exec
	s_or_b64 s[4:5], s[4:5], s[8:9]
	s_or_b64 exec, exec, s[6:7]
	s_and_saveexec_b64 s[6:7], s[4:5]
	s_cbranch_execnz .LBB35_519
	s_branch .LBB35_520
.LBB35_2569:
	s_movk_i32 s4, 0x80
	v_cmp_eq_u16_sdwa s[12:13], v21, s4 src0_sel:BYTE_0 src1_sel:DWORD
	s_mov_b64 s[4:5], -1
                                        ; implicit-def: $sgpr10
	s_and_saveexec_b64 s[8:9], s[12:13]
; %bb.2570:
	s_mov_b32 s10, 0x7f800001
	s_xor_b64 s[4:5], exec, -1
; %bb.2571:
	s_or_b64 exec, exec, s[8:9]
	s_and_b64 s[4:5], s[4:5], exec
	s_or_saveexec_b64 s[6:7], s[6:7]
	v_mov_b32_e32 v20, s10
	s_xor_b64 exec, exec, s[6:7]
	s_cbranch_execz .LBB35_522
.LBB35_2572:
	v_mov_b32_e32 v20, 0
	v_cmp_ne_u16_sdwa s[8:9], v21, v20 src0_sel:BYTE_0 src1_sel:DWORD
	s_andn2_b64 s[4:5], s[4:5], exec
	s_and_b64 s[8:9], s[8:9], exec
	s_or_b64 s[4:5], s[4:5], s[8:9]
	s_or_b64 exec, exec, s[6:7]
	s_and_saveexec_b64 s[6:7], s[4:5]
	s_cbranch_execnz .LBB35_523
	s_branch .LBB35_524
.LBB35_2573:
	s_movk_i32 s4, 0x80
	v_cmp_eq_u16_sdwa s[12:13], v21, s4 src0_sel:BYTE_0 src1_sel:DWORD
	s_mov_b64 s[4:5], -1
                                        ; implicit-def: $sgpr10
	s_and_saveexec_b64 s[8:9], s[12:13]
; %bb.2574:
	s_mov_b32 s10, 0x7f800001
	s_xor_b64 s[4:5], exec, -1
; %bb.2575:
	s_or_b64 exec, exec, s[8:9]
	s_and_b64 s[4:5], s[4:5], exec
	s_or_saveexec_b64 s[6:7], s[6:7]
	v_mov_b32_e32 v22, s10
	s_xor_b64 exec, exec, s[6:7]
	s_cbranch_execz .LBB35_526
.LBB35_2576:
	v_mov_b32_e32 v22, 0
	v_cmp_ne_u16_sdwa s[8:9], v21, v22 src0_sel:BYTE_0 src1_sel:DWORD
	s_andn2_b64 s[4:5], s[4:5], exec
	s_and_b64 s[8:9], s[8:9], exec
	s_or_b64 s[4:5], s[4:5], s[8:9]
	s_or_b64 exec, exec, s[6:7]
	s_and_saveexec_b64 s[6:7], s[4:5]
	s_cbranch_execnz .LBB35_527
	s_branch .LBB35_528
.LBB35_2577:
	s_movk_i32 s4, 0x80
	v_cmp_eq_u16_e32 vcc, s4, v21
	s_mov_b64 s[4:5], -1
                                        ; implicit-def: $sgpr10
	s_and_saveexec_b64 s[8:9], vcc
; %bb.2578:
	s_mov_b32 s10, 0x7f800001
	s_xor_b64 s[4:5], exec, -1
; %bb.2579:
	s_or_b64 exec, exec, s[8:9]
	s_and_b64 s[4:5], s[4:5], exec
                                        ; implicit-def: $vgpr21
	s_or_saveexec_b64 s[6:7], s[6:7]
	v_mov_b32_e32 v20, s10
	s_xor_b64 exec, exec, s[6:7]
	s_cbranch_execz .LBB35_530
.LBB35_2580:
	v_cmp_ne_u16_e32 vcc, 0, v21
	s_andn2_b64 s[4:5], s[4:5], exec
	s_and_b64 s[8:9], vcc, exec
	v_mov_b32_e32 v20, 0
	s_or_b64 s[4:5], s[4:5], s[8:9]
	s_or_b64 exec, exec, s[6:7]
	s_and_saveexec_b64 s[6:7], s[4:5]
	s_cbranch_execnz .LBB35_531
	s_branch .LBB35_532
.LBB35_2581:
	s_movk_i32 s4, 0x80
	v_cmp_eq_u16_e32 vcc, s4, v21
	s_mov_b64 s[4:5], -1
                                        ; implicit-def: $sgpr10
	s_and_saveexec_b64 s[8:9], vcc
; %bb.2582:
	s_mov_b32 s10, 0x7f800001
	s_xor_b64 s[4:5], exec, -1
; %bb.2583:
	s_or_b64 exec, exec, s[8:9]
	s_and_b64 s[4:5], s[4:5], exec
                                        ; implicit-def: $vgpr21
	s_or_saveexec_b64 s[6:7], s[6:7]
	v_mov_b32_e32 v22, s10
	s_xor_b64 exec, exec, s[6:7]
	s_cbranch_execz .LBB35_534
.LBB35_2584:
	v_cmp_ne_u16_e32 vcc, 0, v21
	s_andn2_b64 s[4:5], s[4:5], exec
	s_and_b64 s[8:9], vcc, exec
	v_mov_b32_e32 v22, 0
	s_or_b64 s[4:5], s[4:5], s[8:9]
	s_or_b64 exec, exec, s[6:7]
	s_and_saveexec_b64 s[6:7], s[4:5]
	s_cbranch_execnz .LBB35_535
	s_branch .LBB35_536
.LBB35_2585:
	s_movk_i32 s4, 0x80
	v_cmp_eq_u16_sdwa s[12:13], v14, s4 src0_sel:BYTE_3 src1_sel:DWORD
	s_mov_b64 s[4:5], -1
                                        ; implicit-def: $sgpr10
	s_and_saveexec_b64 s[8:9], s[12:13]
; %bb.2586:
	s_mov_b32 s10, 0x7f800001
	s_xor_b64 s[4:5], exec, -1
; %bb.2587:
	s_or_b64 exec, exec, s[8:9]
	s_and_b64 s[4:5], s[4:5], exec
	s_or_saveexec_b64 s[6:7], s[6:7]
	v_mov_b32_e32 v20, s10
	s_xor_b64 exec, exec, s[6:7]
	s_cbranch_execz .LBB35_538
.LBB35_2588:
	v_mov_b32_e32 v20, 0
	v_cmp_ne_u16_sdwa s[8:9], v14, v20 src0_sel:BYTE_3 src1_sel:DWORD
	s_andn2_b64 s[4:5], s[4:5], exec
	s_and_b64 s[8:9], s[8:9], exec
	s_or_b64 s[4:5], s[4:5], s[8:9]
	s_or_b64 exec, exec, s[6:7]
	s_and_saveexec_b64 s[6:7], s[4:5]
	s_cbranch_execnz .LBB35_539
	s_branch .LBB35_540
.LBB35_2589:
	s_movk_i32 s4, 0x80
	v_cmp_eq_u16_sdwa s[12:13], v10, s4 src0_sel:BYTE_3 src1_sel:DWORD
	s_mov_b64 s[4:5], -1
                                        ; implicit-def: $sgpr10
	s_and_saveexec_b64 s[8:9], s[12:13]
; %bb.2590:
	s_mov_b32 s10, 0x7f800001
	s_xor_b64 s[4:5], exec, -1
; %bb.2591:
	s_or_b64 exec, exec, s[8:9]
	s_and_b64 s[4:5], s[4:5], exec
	s_or_saveexec_b64 s[6:7], s[6:7]
	v_mov_b32_e32 v14, s10
	s_xor_b64 exec, exec, s[6:7]
	s_cbranch_execz .LBB35_542
.LBB35_2592:
	v_mov_b32_e32 v14, 0
	v_cmp_ne_u16_sdwa s[8:9], v10, v14 src0_sel:BYTE_3 src1_sel:DWORD
	s_andn2_b64 s[4:5], s[4:5], exec
	s_and_b64 s[8:9], s[8:9], exec
	s_or_b64 s[4:5], s[4:5], s[8:9]
	s_or_b64 exec, exec, s[6:7]
	s_and_saveexec_b64 s[6:7], s[4:5]
	s_cbranch_execnz .LBB35_543
	s_branch .LBB35_544
.LBB35_2593:
	s_movk_i32 s4, 0x80
	v_cmp_eq_u16_sdwa s[12:13], v15, s4 src0_sel:BYTE_0 src1_sel:DWORD
	s_mov_b64 s[4:5], -1
                                        ; implicit-def: $sgpr10
	s_and_saveexec_b64 s[8:9], s[12:13]
; %bb.2594:
	s_mov_b32 s10, 0x7f800001
	s_xor_b64 s[4:5], exec, -1
; %bb.2595:
	s_or_b64 exec, exec, s[8:9]
	s_and_b64 s[4:5], s[4:5], exec
	s_or_saveexec_b64 s[6:7], s[6:7]
	v_mov_b32_e32 v10, s10
	s_xor_b64 exec, exec, s[6:7]
	s_cbranch_execz .LBB35_546
.LBB35_2596:
	v_mov_b32_e32 v10, 0
	v_cmp_ne_u16_sdwa s[8:9], v15, v10 src0_sel:BYTE_0 src1_sel:DWORD
	s_andn2_b64 s[4:5], s[4:5], exec
	s_and_b64 s[8:9], s[8:9], exec
	s_or_b64 s[4:5], s[4:5], s[8:9]
	s_or_b64 exec, exec, s[6:7]
	s_and_saveexec_b64 s[6:7], s[4:5]
	s_cbranch_execnz .LBB35_547
	s_branch .LBB35_548
.LBB35_2597:
	s_movk_i32 s4, 0x80
	v_cmp_eq_u16_sdwa s[12:13], v11, s4 src0_sel:BYTE_0 src1_sel:DWORD
	s_mov_b64 s[4:5], -1
                                        ; implicit-def: $sgpr10
	s_and_saveexec_b64 s[8:9], s[12:13]
; %bb.2598:
	s_mov_b32 s10, 0x7f800001
	s_xor_b64 s[4:5], exec, -1
; %bb.2599:
	s_or_b64 exec, exec, s[8:9]
	s_and_b64 s[4:5], s[4:5], exec
	s_or_saveexec_b64 s[6:7], s[6:7]
	v_mov_b32_e32 v14, s10
	s_xor_b64 exec, exec, s[6:7]
	s_cbranch_execz .LBB35_550
.LBB35_2600:
	v_mov_b32_e32 v14, 0
	v_cmp_ne_u16_sdwa s[8:9], v11, v14 src0_sel:BYTE_0 src1_sel:DWORD
	s_andn2_b64 s[4:5], s[4:5], exec
	s_and_b64 s[8:9], s[8:9], exec
	s_or_b64 s[4:5], s[4:5], s[8:9]
	s_or_b64 exec, exec, s[6:7]
	s_and_saveexec_b64 s[6:7], s[4:5]
	s_cbranch_execnz .LBB35_551
	s_branch .LBB35_552
.LBB35_2601:
	s_movk_i32 s4, 0x80
	v_cmp_eq_u16_sdwa s[12:13], v14, s4 src0_sel:BYTE_0 src1_sel:DWORD
	s_mov_b64 s[4:5], -1
                                        ; implicit-def: $sgpr10
	s_and_saveexec_b64 s[8:9], s[12:13]
; %bb.2602:
	s_mov_b32 s10, 0x7f800001
	s_xor_b64 s[4:5], exec, -1
; %bb.2603:
	s_or_b64 exec, exec, s[8:9]
	s_and_b64 s[4:5], s[4:5], exec
	s_or_saveexec_b64 s[6:7], s[6:7]
	v_mov_b32_e32 v10, s10
	s_xor_b64 exec, exec, s[6:7]
	s_cbranch_execz .LBB35_554
.LBB35_2604:
	v_mov_b32_e32 v10, 0
	v_cmp_ne_u16_sdwa s[8:9], v14, v10 src0_sel:BYTE_0 src1_sel:DWORD
	s_andn2_b64 s[4:5], s[4:5], exec
	s_and_b64 s[8:9], s[8:9], exec
	s_or_b64 s[4:5], s[4:5], s[8:9]
	s_or_b64 exec, exec, s[6:7]
	s_and_saveexec_b64 s[6:7], s[4:5]
	s_cbranch_execnz .LBB35_555
	s_branch .LBB35_556
.LBB35_2605:
	s_movk_i32 s4, 0x80
	v_cmp_eq_u16_sdwa s[12:13], v14, s4 src0_sel:BYTE_0 src1_sel:DWORD
	s_mov_b64 s[4:5], -1
                                        ; implicit-def: $sgpr10
	s_and_saveexec_b64 s[8:9], s[12:13]
; %bb.2606:
	s_mov_b32 s10, 0x7f800001
	s_xor_b64 s[4:5], exec, -1
; %bb.2607:
	s_or_b64 exec, exec, s[8:9]
	s_and_b64 s[4:5], s[4:5], exec
	s_or_saveexec_b64 s[6:7], s[6:7]
	v_mov_b32_e32 v20, s10
	s_xor_b64 exec, exec, s[6:7]
	s_cbranch_execz .LBB35_558
.LBB35_2608:
	v_mov_b32_e32 v20, 0
	v_cmp_ne_u16_sdwa s[8:9], v14, v20 src0_sel:BYTE_0 src1_sel:DWORD
	s_andn2_b64 s[4:5], s[4:5], exec
	s_and_b64 s[8:9], s[8:9], exec
	s_or_b64 s[4:5], s[4:5], s[8:9]
	s_or_b64 exec, exec, s[6:7]
	s_and_saveexec_b64 s[6:7], s[4:5]
	s_cbranch_execnz .LBB35_559
	s_branch .LBB35_560
.LBB35_2609:
	s_movk_i32 s4, 0x80
	v_cmp_eq_u16_e32 vcc, s4, v14
	s_mov_b64 s[4:5], -1
                                        ; implicit-def: $sgpr10
	s_and_saveexec_b64 s[8:9], vcc
; %bb.2610:
	s_mov_b32 s10, 0x7f800001
	s_xor_b64 s[4:5], exec, -1
; %bb.2611:
	s_or_b64 exec, exec, s[8:9]
	s_and_b64 s[4:5], s[4:5], exec
                                        ; implicit-def: $vgpr14
	s_or_saveexec_b64 s[6:7], s[6:7]
	v_mov_b32_e32 v10, s10
	s_xor_b64 exec, exec, s[6:7]
	s_cbranch_execz .LBB35_562
.LBB35_2612:
	v_cmp_ne_u16_e32 vcc, 0, v14
	s_andn2_b64 s[4:5], s[4:5], exec
	s_and_b64 s[8:9], vcc, exec
	v_mov_b32_e32 v10, 0
	s_or_b64 s[4:5], s[4:5], s[8:9]
	s_or_b64 exec, exec, s[6:7]
	s_and_saveexec_b64 s[6:7], s[4:5]
	s_cbranch_execnz .LBB35_563
	s_branch .LBB35_564
.LBB35_2613:
	s_movk_i32 s4, 0x80
	v_cmp_eq_u16_e32 vcc, s4, v14
	s_mov_b64 s[4:5], -1
                                        ; implicit-def: $sgpr10
	s_and_saveexec_b64 s[8:9], vcc
; %bb.2614:
	s_mov_b32 s10, 0x7f800001
	s_xor_b64 s[4:5], exec, -1
; %bb.2615:
	s_or_b64 exec, exec, s[8:9]
	s_and_b64 s[4:5], s[4:5], exec
                                        ; implicit-def: $vgpr14
	s_or_saveexec_b64 s[6:7], s[6:7]
	v_mov_b32_e32 v20, s10
	s_xor_b64 exec, exec, s[6:7]
	s_cbranch_execz .LBB35_566
.LBB35_2616:
	v_cmp_ne_u16_e32 vcc, 0, v14
	s_andn2_b64 s[4:5], s[4:5], exec
	s_and_b64 s[8:9], vcc, exec
	v_mov_b32_e32 v20, 0
	s_or_b64 s[4:5], s[4:5], s[8:9]
	s_or_b64 exec, exec, s[6:7]
	s_and_saveexec_b64 s[6:7], s[4:5]
	s_cbranch_execnz .LBB35_567
	s_branch .LBB35_568
.LBB35_2617:
	s_movk_i32 s4, 0x80
	v_cmp_eq_u16_sdwa s[12:13], v15, s4 src0_sel:BYTE_3 src1_sel:DWORD
	s_mov_b64 s[4:5], -1
                                        ; implicit-def: $sgpr10
	s_and_saveexec_b64 s[8:9], s[12:13]
; %bb.2618:
	s_mov_b32 s10, 0x7f800001
	s_xor_b64 s[4:5], exec, -1
; %bb.2619:
	s_or_b64 exec, exec, s[8:9]
	s_and_b64 s[4:5], s[4:5], exec
	s_or_saveexec_b64 s[6:7], s[6:7]
	v_mov_b32_e32 v10, s10
	s_xor_b64 exec, exec, s[6:7]
	s_cbranch_execz .LBB35_570
.LBB35_2620:
	v_mov_b32_e32 v10, 0
	v_cmp_ne_u16_sdwa s[8:9], v15, v10 src0_sel:BYTE_3 src1_sel:DWORD
	s_andn2_b64 s[4:5], s[4:5], exec
	s_and_b64 s[8:9], s[8:9], exec
	s_or_b64 s[4:5], s[4:5], s[8:9]
	s_or_b64 exec, exec, s[6:7]
	s_and_saveexec_b64 s[6:7], s[4:5]
	s_cbranch_execnz .LBB35_571
	s_branch .LBB35_572
.LBB35_2621:
	s_movk_i32 s4, 0x80
	v_cmp_eq_u16_sdwa s[12:13], v11, s4 src0_sel:BYTE_3 src1_sel:DWORD
	s_mov_b64 s[4:5], -1
                                        ; implicit-def: $sgpr10
	s_and_saveexec_b64 s[8:9], s[12:13]
; %bb.2622:
	s_mov_b32 s10, 0x7f800001
	s_xor_b64 s[4:5], exec, -1
; %bb.2623:
	s_or_b64 exec, exec, s[8:9]
	s_and_b64 s[4:5], s[4:5], exec
	s_or_saveexec_b64 s[6:7], s[6:7]
	v_mov_b32_e32 v14, s10
	s_xor_b64 exec, exec, s[6:7]
	s_cbranch_execz .LBB35_574
.LBB35_2624:
	v_mov_b32_e32 v14, 0
	v_cmp_ne_u16_sdwa s[8:9], v11, v14 src0_sel:BYTE_3 src1_sel:DWORD
	s_andn2_b64 s[4:5], s[4:5], exec
	s_and_b64 s[8:9], s[8:9], exec
	s_or_b64 s[4:5], s[4:5], s[8:9]
	s_or_b64 exec, exec, s[6:7]
	s_and_saveexec_b64 s[6:7], s[4:5]
	s_cbranch_execnz .LBB35_575
	s_branch .LBB35_576
.LBB35_2625:
	s_movk_i32 s4, 0x80
	v_cmp_eq_u16_sdwa s[12:13], v16, s4 src0_sel:BYTE_0 src1_sel:DWORD
	s_mov_b64 s[4:5], -1
                                        ; implicit-def: $sgpr10
	s_and_saveexec_b64 s[8:9], s[12:13]
; %bb.2626:
	s_mov_b32 s10, 0x7f800001
	s_xor_b64 s[4:5], exec, -1
; %bb.2627:
	s_or_b64 exec, exec, s[8:9]
	s_and_b64 s[4:5], s[4:5], exec
	s_or_saveexec_b64 s[6:7], s[6:7]
	v_mov_b32_e32 v10, s10
	s_xor_b64 exec, exec, s[6:7]
	s_cbranch_execz .LBB35_578
.LBB35_2628:
	v_mov_b32_e32 v10, 0
	v_cmp_ne_u16_sdwa s[8:9], v16, v10 src0_sel:BYTE_0 src1_sel:DWORD
	s_andn2_b64 s[4:5], s[4:5], exec
	s_and_b64 s[8:9], s[8:9], exec
	s_or_b64 s[4:5], s[4:5], s[8:9]
	s_or_b64 exec, exec, s[6:7]
	s_and_saveexec_b64 s[6:7], s[4:5]
	s_cbranch_execnz .LBB35_579
	s_branch .LBB35_580
.LBB35_2629:
	s_movk_i32 s4, 0x80
	v_cmp_eq_u16_sdwa s[12:13], v12, s4 src0_sel:BYTE_0 src1_sel:DWORD
	s_mov_b64 s[4:5], -1
                                        ; implicit-def: $sgpr10
	s_and_saveexec_b64 s[8:9], s[12:13]
; %bb.2630:
	s_mov_b32 s10, 0x7f800001
	s_xor_b64 s[4:5], exec, -1
; %bb.2631:
	s_or_b64 exec, exec, s[8:9]
	s_and_b64 s[4:5], s[4:5], exec
	s_or_saveexec_b64 s[6:7], s[6:7]
	v_mov_b32_e32 v11, s10
	s_xor_b64 exec, exec, s[6:7]
	s_cbranch_execz .LBB35_582
.LBB35_2632:
	v_mov_b32_e32 v11, 0
	v_cmp_ne_u16_sdwa s[8:9], v12, v11 src0_sel:BYTE_0 src1_sel:DWORD
	s_andn2_b64 s[4:5], s[4:5], exec
	s_and_b64 s[8:9], s[8:9], exec
	s_or_b64 s[4:5], s[4:5], s[8:9]
	s_or_b64 exec, exec, s[6:7]
	s_and_saveexec_b64 s[6:7], s[4:5]
	s_cbranch_execnz .LBB35_583
	s_branch .LBB35_584
.LBB35_2633:
	s_movk_i32 s4, 0x80
	v_cmp_eq_u16_sdwa s[12:13], v11, s4 src0_sel:BYTE_0 src1_sel:DWORD
	s_mov_b64 s[4:5], -1
                                        ; implicit-def: $sgpr10
	s_and_saveexec_b64 s[8:9], s[12:13]
; %bb.2634:
	s_mov_b32 s10, 0x7f800001
	s_xor_b64 s[4:5], exec, -1
; %bb.2635:
	s_or_b64 exec, exec, s[8:9]
	s_and_b64 s[4:5], s[4:5], exec
	s_or_saveexec_b64 s[6:7], s[6:7]
	v_mov_b32_e32 v10, s10
	s_xor_b64 exec, exec, s[6:7]
	s_cbranch_execz .LBB35_586
.LBB35_2636:
	v_mov_b32_e32 v10, 0
	v_cmp_ne_u16_sdwa s[8:9], v11, v10 src0_sel:BYTE_0 src1_sel:DWORD
	s_andn2_b64 s[4:5], s[4:5], exec
	s_and_b64 s[8:9], s[8:9], exec
	s_or_b64 s[4:5], s[4:5], s[8:9]
	s_or_b64 exec, exec, s[6:7]
	s_and_saveexec_b64 s[6:7], s[4:5]
	s_cbranch_execnz .LBB35_587
	s_branch .LBB35_588
.LBB35_2637:
	s_movk_i32 s4, 0x80
	v_cmp_eq_u16_sdwa s[12:13], v11, s4 src0_sel:BYTE_0 src1_sel:DWORD
	s_mov_b64 s[4:5], -1
                                        ; implicit-def: $sgpr10
	s_and_saveexec_b64 s[8:9], s[12:13]
; %bb.2638:
	s_mov_b32 s10, 0x7f800001
	s_xor_b64 s[4:5], exec, -1
; %bb.2639:
	s_or_b64 exec, exec, s[8:9]
	s_and_b64 s[4:5], s[4:5], exec
	s_or_saveexec_b64 s[6:7], s[6:7]
	v_mov_b32_e32 v14, s10
	s_xor_b64 exec, exec, s[6:7]
	s_cbranch_execz .LBB35_590
.LBB35_2640:
	v_mov_b32_e32 v14, 0
	v_cmp_ne_u16_sdwa s[8:9], v11, v14 src0_sel:BYTE_0 src1_sel:DWORD
	s_andn2_b64 s[4:5], s[4:5], exec
	s_and_b64 s[8:9], s[8:9], exec
	s_or_b64 s[4:5], s[4:5], s[8:9]
	s_or_b64 exec, exec, s[6:7]
	s_and_saveexec_b64 s[6:7], s[4:5]
	s_cbranch_execnz .LBB35_591
	s_branch .LBB35_592
.LBB35_2641:
	s_movk_i32 s4, 0x80
	v_cmp_eq_u16_e32 vcc, s4, v11
	s_mov_b64 s[4:5], -1
                                        ; implicit-def: $sgpr10
	s_and_saveexec_b64 s[8:9], vcc
; %bb.2642:
	s_mov_b32 s10, 0x7f800001
	s_xor_b64 s[4:5], exec, -1
; %bb.2643:
	s_or_b64 exec, exec, s[8:9]
	s_and_b64 s[4:5], s[4:5], exec
                                        ; implicit-def: $vgpr11
	s_or_saveexec_b64 s[6:7], s[6:7]
	v_mov_b32_e32 v10, s10
	s_xor_b64 exec, exec, s[6:7]
	s_cbranch_execz .LBB35_594
.LBB35_2644:
	v_cmp_ne_u16_e32 vcc, 0, v11
	s_andn2_b64 s[4:5], s[4:5], exec
	s_and_b64 s[8:9], vcc, exec
	v_mov_b32_e32 v10, 0
	s_or_b64 s[4:5], s[4:5], s[8:9]
	s_or_b64 exec, exec, s[6:7]
	s_and_saveexec_b64 s[6:7], s[4:5]
	s_cbranch_execnz .LBB35_595
	s_branch .LBB35_596
.LBB35_2645:
	s_movk_i32 s4, 0x80
	v_cmp_eq_u16_e32 vcc, s4, v11
	s_mov_b64 s[4:5], -1
                                        ; implicit-def: $sgpr10
	s_and_saveexec_b64 s[8:9], vcc
; %bb.2646:
	s_mov_b32 s10, 0x7f800001
	s_xor_b64 s[4:5], exec, -1
; %bb.2647:
	s_or_b64 exec, exec, s[8:9]
	s_and_b64 s[4:5], s[4:5], exec
                                        ; implicit-def: $vgpr11
	s_or_saveexec_b64 s[6:7], s[6:7]
	v_mov_b32_e32 v14, s10
	s_xor_b64 exec, exec, s[6:7]
	s_cbranch_execz .LBB35_598
.LBB35_2648:
	v_cmp_ne_u16_e32 vcc, 0, v11
	s_andn2_b64 s[4:5], s[4:5], exec
	s_and_b64 s[8:9], vcc, exec
	v_mov_b32_e32 v14, 0
	s_or_b64 s[4:5], s[4:5], s[8:9]
	s_or_b64 exec, exec, s[6:7]
	s_and_saveexec_b64 s[6:7], s[4:5]
	s_cbranch_execnz .LBB35_599
	s_branch .LBB35_600
.LBB35_2649:
	s_movk_i32 s4, 0x80
	v_cmp_eq_u16_sdwa s[12:13], v16, s4 src0_sel:BYTE_3 src1_sel:DWORD
	s_mov_b64 s[4:5], -1
                                        ; implicit-def: $sgpr10
	s_and_saveexec_b64 s[8:9], s[12:13]
; %bb.2650:
	s_mov_b32 s10, 0x7f800001
	s_xor_b64 s[4:5], exec, -1
; %bb.2651:
	s_or_b64 exec, exec, s[8:9]
	s_and_b64 s[4:5], s[4:5], exec
	s_or_saveexec_b64 s[6:7], s[6:7]
	v_mov_b32_e32 v10, s10
	s_xor_b64 exec, exec, s[6:7]
	s_cbranch_execz .LBB35_602
.LBB35_2652:
	v_mov_b32_e32 v10, 0
	v_cmp_ne_u16_sdwa s[8:9], v16, v10 src0_sel:BYTE_3 src1_sel:DWORD
	s_andn2_b64 s[4:5], s[4:5], exec
	s_and_b64 s[8:9], s[8:9], exec
	s_or_b64 s[4:5], s[4:5], s[8:9]
	s_or_b64 exec, exec, s[6:7]
	s_and_saveexec_b64 s[6:7], s[4:5]
	s_cbranch_execnz .LBB35_603
	s_branch .LBB35_604
.LBB35_2653:
	s_movk_i32 s4, 0x80
	v_cmp_eq_u16_sdwa s[12:13], v12, s4 src0_sel:BYTE_3 src1_sel:DWORD
	s_mov_b64 s[4:5], -1
                                        ; implicit-def: $sgpr10
	s_and_saveexec_b64 s[8:9], s[12:13]
; %bb.2654:
	s_mov_b32 s10, 0x7f800001
	s_xor_b64 s[4:5], exec, -1
; %bb.2655:
	s_or_b64 exec, exec, s[8:9]
	s_and_b64 s[4:5], s[4:5], exec
	s_or_saveexec_b64 s[6:7], s[6:7]
	v_mov_b32_e32 v11, s10
	s_xor_b64 exec, exec, s[6:7]
	s_cbranch_execz .LBB35_606
.LBB35_2656:
	v_mov_b32_e32 v11, 0
	v_cmp_ne_u16_sdwa s[8:9], v12, v11 src0_sel:BYTE_3 src1_sel:DWORD
	s_andn2_b64 s[4:5], s[4:5], exec
	s_and_b64 s[8:9], s[8:9], exec
	s_or_b64 s[4:5], s[4:5], s[8:9]
	s_or_b64 exec, exec, s[6:7]
	s_and_saveexec_b64 s[6:7], s[4:5]
	s_cbranch_execnz .LBB35_607
	s_branch .LBB35_608
.LBB35_2657:
	s_movk_i32 s4, 0x80
	v_cmp_eq_u16_sdwa s[12:13], v17, s4 src0_sel:BYTE_0 src1_sel:DWORD
	s_mov_b64 s[4:5], -1
                                        ; implicit-def: $sgpr10
	s_and_saveexec_b64 s[8:9], s[12:13]
; %bb.2658:
	s_mov_b32 s10, 0x7f800001
	s_xor_b64 s[4:5], exec, -1
; %bb.2659:
	s_or_b64 exec, exec, s[8:9]
	s_and_b64 s[4:5], s[4:5], exec
	s_or_saveexec_b64 s[6:7], s[6:7]
	v_mov_b32_e32 v10, s10
	s_xor_b64 exec, exec, s[6:7]
	s_cbranch_execz .LBB35_610
.LBB35_2660:
	v_mov_b32_e32 v10, 0
	v_cmp_ne_u16_sdwa s[8:9], v17, v10 src0_sel:BYTE_0 src1_sel:DWORD
	s_andn2_b64 s[4:5], s[4:5], exec
	s_and_b64 s[8:9], s[8:9], exec
	s_or_b64 s[4:5], s[4:5], s[8:9]
	s_or_b64 exec, exec, s[6:7]
	s_and_saveexec_b64 s[6:7], s[4:5]
	s_cbranch_execnz .LBB35_611
	s_branch .LBB35_612
.LBB35_2661:
	s_movk_i32 s4, 0x80
	v_cmp_eq_u16_sdwa s[12:13], v13, s4 src0_sel:BYTE_0 src1_sel:DWORD
	s_mov_b64 s[4:5], -1
                                        ; implicit-def: $sgpr10
	s_and_saveexec_b64 s[8:9], s[12:13]
; %bb.2662:
	s_mov_b32 s10, 0x7f800001
	s_xor_b64 s[4:5], exec, -1
; %bb.2663:
	s_or_b64 exec, exec, s[8:9]
	s_and_b64 s[4:5], s[4:5], exec
	s_or_saveexec_b64 s[6:7], s[6:7]
	v_mov_b32_e32 v11, s10
	s_xor_b64 exec, exec, s[6:7]
	s_cbranch_execz .LBB35_614
.LBB35_2664:
	v_mov_b32_e32 v11, 0
	v_cmp_ne_u16_sdwa s[8:9], v13, v11 src0_sel:BYTE_0 src1_sel:DWORD
	s_andn2_b64 s[4:5], s[4:5], exec
	s_and_b64 s[8:9], s[8:9], exec
	s_or_b64 s[4:5], s[4:5], s[8:9]
	s_or_b64 exec, exec, s[6:7]
	s_and_saveexec_b64 s[6:7], s[4:5]
	s_cbranch_execnz .LBB35_615
	s_branch .LBB35_616
.LBB35_2665:
	s_movk_i32 s4, 0x80
	v_cmp_eq_u16_sdwa s[12:13], v11, s4 src0_sel:BYTE_0 src1_sel:DWORD
	s_mov_b64 s[4:5], -1
                                        ; implicit-def: $sgpr10
	s_and_saveexec_b64 s[8:9], s[12:13]
; %bb.2666:
	s_mov_b32 s10, 0x7f800001
	s_xor_b64 s[4:5], exec, -1
; %bb.2667:
	s_or_b64 exec, exec, s[8:9]
	s_and_b64 s[4:5], s[4:5], exec
	s_or_saveexec_b64 s[6:7], s[6:7]
	v_mov_b32_e32 v10, s10
	s_xor_b64 exec, exec, s[6:7]
	s_cbranch_execz .LBB35_618
.LBB35_2668:
	v_mov_b32_e32 v10, 0
	v_cmp_ne_u16_sdwa s[8:9], v11, v10 src0_sel:BYTE_0 src1_sel:DWORD
	s_andn2_b64 s[4:5], s[4:5], exec
	s_and_b64 s[8:9], s[8:9], exec
	s_or_b64 s[4:5], s[4:5], s[8:9]
	s_or_b64 exec, exec, s[6:7]
	s_and_saveexec_b64 s[6:7], s[4:5]
	s_cbranch_execnz .LBB35_619
	s_branch .LBB35_620
.LBB35_2669:
	s_movk_i32 s4, 0x80
	v_cmp_eq_u16_sdwa s[12:13], v11, s4 src0_sel:BYTE_0 src1_sel:DWORD
	s_mov_b64 s[4:5], -1
                                        ; implicit-def: $sgpr10
	s_and_saveexec_b64 s[8:9], s[12:13]
; %bb.2670:
	s_mov_b32 s10, 0x7f800001
	s_xor_b64 s[4:5], exec, -1
; %bb.2671:
	s_or_b64 exec, exec, s[8:9]
	s_and_b64 s[4:5], s[4:5], exec
	s_or_saveexec_b64 s[6:7], s[6:7]
	v_mov_b32_e32 v12, s10
	s_xor_b64 exec, exec, s[6:7]
	s_cbranch_execz .LBB35_622
.LBB35_2672:
	v_mov_b32_e32 v12, 0
	v_cmp_ne_u16_sdwa s[8:9], v11, v12 src0_sel:BYTE_0 src1_sel:DWORD
	s_andn2_b64 s[4:5], s[4:5], exec
	s_and_b64 s[8:9], s[8:9], exec
	s_or_b64 s[4:5], s[4:5], s[8:9]
	s_or_b64 exec, exec, s[6:7]
	s_and_saveexec_b64 s[6:7], s[4:5]
	s_cbranch_execnz .LBB35_623
	s_branch .LBB35_624
.LBB35_2673:
	s_movk_i32 s4, 0x80
	v_cmp_eq_u16_e32 vcc, s4, v11
	s_mov_b64 s[4:5], -1
                                        ; implicit-def: $sgpr10
	s_and_saveexec_b64 s[8:9], vcc
; %bb.2674:
	s_mov_b32 s10, 0x7f800001
	s_xor_b64 s[4:5], exec, -1
; %bb.2675:
	s_or_b64 exec, exec, s[8:9]
	s_and_b64 s[4:5], s[4:5], exec
                                        ; implicit-def: $vgpr11
	s_or_saveexec_b64 s[6:7], s[6:7]
	v_mov_b32_e32 v10, s10
	s_xor_b64 exec, exec, s[6:7]
	s_cbranch_execz .LBB35_626
.LBB35_2676:
	v_cmp_ne_u16_e32 vcc, 0, v11
	s_andn2_b64 s[4:5], s[4:5], exec
	s_and_b64 s[8:9], vcc, exec
	v_mov_b32_e32 v10, 0
	s_or_b64 s[4:5], s[4:5], s[8:9]
	s_or_b64 exec, exec, s[6:7]
	s_and_saveexec_b64 s[6:7], s[4:5]
	s_cbranch_execnz .LBB35_627
	s_branch .LBB35_628
.LBB35_2677:
	s_movk_i32 s4, 0x80
	v_cmp_eq_u16_e32 vcc, s4, v11
	s_mov_b64 s[4:5], -1
                                        ; implicit-def: $sgpr10
	s_and_saveexec_b64 s[8:9], vcc
; %bb.2678:
	s_mov_b32 s10, 0x7f800001
	s_xor_b64 s[4:5], exec, -1
; %bb.2679:
	s_or_b64 exec, exec, s[8:9]
	s_and_b64 s[4:5], s[4:5], exec
                                        ; implicit-def: $vgpr11
	s_or_saveexec_b64 s[6:7], s[6:7]
	v_mov_b32_e32 v12, s10
	s_xor_b64 exec, exec, s[6:7]
	s_cbranch_execz .LBB35_630
.LBB35_2680:
	v_cmp_ne_u16_e32 vcc, 0, v11
	s_andn2_b64 s[4:5], s[4:5], exec
	s_and_b64 s[8:9], vcc, exec
	v_mov_b32_e32 v12, 0
	s_or_b64 s[4:5], s[4:5], s[8:9]
	s_or_b64 exec, exec, s[6:7]
	s_and_saveexec_b64 s[6:7], s[4:5]
	s_cbranch_execnz .LBB35_631
	s_branch .LBB35_632
.LBB35_2681:
	s_movk_i32 s4, 0x80
	v_cmp_eq_u16_sdwa s[12:13], v17, s4 src0_sel:BYTE_3 src1_sel:DWORD
	s_mov_b64 s[4:5], -1
                                        ; implicit-def: $sgpr10
	s_and_saveexec_b64 s[8:9], s[12:13]
; %bb.2682:
	s_mov_b32 s10, 0x7f800001
	s_xor_b64 s[4:5], exec, -1
; %bb.2683:
	s_or_b64 exec, exec, s[8:9]
	s_and_b64 s[4:5], s[4:5], exec
	s_or_saveexec_b64 s[6:7], s[6:7]
	v_mov_b32_e32 v10, s10
	s_xor_b64 exec, exec, s[6:7]
	s_cbranch_execz .LBB35_634
.LBB35_2684:
	v_mov_b32_e32 v10, 0
	v_cmp_ne_u16_sdwa s[8:9], v17, v10 src0_sel:BYTE_3 src1_sel:DWORD
	s_andn2_b64 s[4:5], s[4:5], exec
	s_and_b64 s[8:9], s[8:9], exec
	s_or_b64 s[4:5], s[4:5], s[8:9]
	s_or_b64 exec, exec, s[6:7]
	s_and_saveexec_b64 s[6:7], s[4:5]
	s_cbranch_execnz .LBB35_635
	s_branch .LBB35_636
.LBB35_2685:
	s_movk_i32 s4, 0x80
	v_cmp_eq_u16_sdwa s[12:13], v13, s4 src0_sel:BYTE_3 src1_sel:DWORD
	s_mov_b64 s[4:5], -1
                                        ; implicit-def: $sgpr10
	s_and_saveexec_b64 s[8:9], s[12:13]
; %bb.2686:
	s_mov_b32 s10, 0x7f800001
	s_xor_b64 s[4:5], exec, -1
; %bb.2687:
	s_or_b64 exec, exec, s[8:9]
	s_and_b64 s[4:5], s[4:5], exec
	s_or_saveexec_b64 s[6:7], s[6:7]
	v_mov_b32_e32 v11, s10
	s_xor_b64 exec, exec, s[6:7]
	s_cbranch_execz .LBB35_638
.LBB35_2688:
	v_mov_b32_e32 v11, 0
	v_cmp_ne_u16_sdwa s[8:9], v13, v11 src0_sel:BYTE_3 src1_sel:DWORD
	s_andn2_b64 s[4:5], s[4:5], exec
	s_and_b64 s[8:9], s[8:9], exec
	s_or_b64 s[4:5], s[4:5], s[8:9]
	s_or_b64 exec, exec, s[6:7]
	s_and_saveexec_b64 s[6:7], s[4:5]
	s_cbranch_execnz .LBB35_639
	s_branch .LBB35_640
.LBB35_2689:
	s_movk_i32 s4, 0x80
	v_cmp_eq_u16_sdwa s[12:13], v6, s4 src0_sel:BYTE_0 src1_sel:DWORD
	s_mov_b64 s[4:5], -1
                                        ; implicit-def: $sgpr10
	s_and_saveexec_b64 s[8:9], s[12:13]
; %bb.2690:
	s_mov_b32 s10, 0x7f800001
	s_xor_b64 s[4:5], exec, -1
; %bb.2691:
	s_or_b64 exec, exec, s[8:9]
	s_and_b64 s[4:5], s[4:5], exec
	s_or_saveexec_b64 s[6:7], s[6:7]
	v_mov_b32_e32 v10, s10
	s_xor_b64 exec, exec, s[6:7]
	s_cbranch_execz .LBB35_642
.LBB35_2692:
	v_mov_b32_e32 v10, 0
	v_cmp_ne_u16_sdwa s[8:9], v6, v10 src0_sel:BYTE_0 src1_sel:DWORD
	s_andn2_b64 s[4:5], s[4:5], exec
	s_and_b64 s[8:9], s[8:9], exec
	s_or_b64 s[4:5], s[4:5], s[8:9]
	s_or_b64 exec, exec, s[6:7]
	s_and_saveexec_b64 s[6:7], s[4:5]
	s_cbranch_execnz .LBB35_643
	s_branch .LBB35_644
.LBB35_2693:
	s_movk_i32 s4, 0x80
	v_cmp_eq_u16_sdwa s[12:13], v2, s4 src0_sel:BYTE_0 src1_sel:DWORD
	s_mov_b64 s[4:5], -1
                                        ; implicit-def: $sgpr10
	s_and_saveexec_b64 s[8:9], s[12:13]
; %bb.2694:
	s_mov_b32 s10, 0x7f800001
	s_xor_b64 s[4:5], exec, -1
; %bb.2695:
	s_or_b64 exec, exec, s[8:9]
	s_and_b64 s[4:5], s[4:5], exec
	s_or_saveexec_b64 s[6:7], s[6:7]
	v_mov_b32_e32 v11, s10
	s_xor_b64 exec, exec, s[6:7]
	s_cbranch_execz .LBB35_646
.LBB35_2696:
	v_mov_b32_e32 v11, 0
	v_cmp_ne_u16_sdwa s[8:9], v2, v11 src0_sel:BYTE_0 src1_sel:DWORD
	s_andn2_b64 s[4:5], s[4:5], exec
	s_and_b64 s[8:9], s[8:9], exec
	s_or_b64 s[4:5], s[4:5], s[8:9]
	s_or_b64 exec, exec, s[6:7]
	s_and_saveexec_b64 s[6:7], s[4:5]
	s_cbranch_execnz .LBB35_647
	s_branch .LBB35_648
.LBB35_2697:
	s_movk_i32 s4, 0x80
	v_cmp_eq_u16_sdwa s[12:13], v11, s4 src0_sel:BYTE_0 src1_sel:DWORD
	s_mov_b64 s[4:5], -1
                                        ; implicit-def: $sgpr10
	s_and_saveexec_b64 s[8:9], s[12:13]
; %bb.2698:
	s_mov_b32 s10, 0x7f800001
	s_xor_b64 s[4:5], exec, -1
; %bb.2699:
	s_or_b64 exec, exec, s[8:9]
	s_and_b64 s[4:5], s[4:5], exec
	s_or_saveexec_b64 s[6:7], s[6:7]
	v_mov_b32_e32 v10, s10
	s_xor_b64 exec, exec, s[6:7]
	s_cbranch_execz .LBB35_650
.LBB35_2700:
	v_mov_b32_e32 v10, 0
	v_cmp_ne_u16_sdwa s[8:9], v11, v10 src0_sel:BYTE_0 src1_sel:DWORD
	s_andn2_b64 s[4:5], s[4:5], exec
	s_and_b64 s[8:9], s[8:9], exec
	s_or_b64 s[4:5], s[4:5], s[8:9]
	s_or_b64 exec, exec, s[6:7]
	s_and_saveexec_b64 s[6:7], s[4:5]
	s_cbranch_execnz .LBB35_651
	s_branch .LBB35_652
.LBB35_2701:
	s_movk_i32 s4, 0x80
	v_cmp_eq_u16_sdwa s[12:13], v11, s4 src0_sel:BYTE_0 src1_sel:DWORD
	s_mov_b64 s[4:5], -1
                                        ; implicit-def: $sgpr10
	s_and_saveexec_b64 s[8:9], s[12:13]
; %bb.2702:
	s_mov_b32 s10, 0x7f800001
	s_xor_b64 s[4:5], exec, -1
; %bb.2703:
	s_or_b64 exec, exec, s[8:9]
	s_and_b64 s[4:5], s[4:5], exec
	s_or_saveexec_b64 s[6:7], s[6:7]
	v_mov_b32_e32 v12, s10
	s_xor_b64 exec, exec, s[6:7]
	s_cbranch_execz .LBB35_654
.LBB35_2704:
	v_mov_b32_e32 v12, 0
	v_cmp_ne_u16_sdwa s[8:9], v11, v12 src0_sel:BYTE_0 src1_sel:DWORD
	s_andn2_b64 s[4:5], s[4:5], exec
	s_and_b64 s[8:9], s[8:9], exec
	s_or_b64 s[4:5], s[4:5], s[8:9]
	s_or_b64 exec, exec, s[6:7]
	s_and_saveexec_b64 s[6:7], s[4:5]
	s_cbranch_execnz .LBB35_655
	s_branch .LBB35_656
.LBB35_2705:
	s_movk_i32 s4, 0x80
	v_cmp_eq_u16_e32 vcc, s4, v11
	s_mov_b64 s[4:5], -1
                                        ; implicit-def: $sgpr10
	s_and_saveexec_b64 s[8:9], vcc
; %bb.2706:
	s_mov_b32 s10, 0x7f800001
	s_xor_b64 s[4:5], exec, -1
; %bb.2707:
	s_or_b64 exec, exec, s[8:9]
	s_and_b64 s[4:5], s[4:5], exec
                                        ; implicit-def: $vgpr11
	s_or_saveexec_b64 s[6:7], s[6:7]
	v_mov_b32_e32 v10, s10
	s_xor_b64 exec, exec, s[6:7]
	s_cbranch_execz .LBB35_658
.LBB35_2708:
	v_cmp_ne_u16_e32 vcc, 0, v11
	s_andn2_b64 s[4:5], s[4:5], exec
	s_and_b64 s[8:9], vcc, exec
	v_mov_b32_e32 v10, 0
	s_or_b64 s[4:5], s[4:5], s[8:9]
	s_or_b64 exec, exec, s[6:7]
	s_and_saveexec_b64 s[6:7], s[4:5]
	s_cbranch_execnz .LBB35_659
	s_branch .LBB35_660
.LBB35_2709:
	s_movk_i32 s4, 0x80
	v_cmp_eq_u16_e32 vcc, s4, v11
	s_mov_b64 s[4:5], -1
                                        ; implicit-def: $sgpr10
	s_and_saveexec_b64 s[8:9], vcc
; %bb.2710:
	s_mov_b32 s10, 0x7f800001
	s_xor_b64 s[4:5], exec, -1
; %bb.2711:
	s_or_b64 exec, exec, s[8:9]
	s_and_b64 s[4:5], s[4:5], exec
                                        ; implicit-def: $vgpr11
	s_or_saveexec_b64 s[6:7], s[6:7]
	v_mov_b32_e32 v12, s10
	s_xor_b64 exec, exec, s[6:7]
	s_cbranch_execz .LBB35_662
.LBB35_2712:
	v_cmp_ne_u16_e32 vcc, 0, v11
	s_andn2_b64 s[4:5], s[4:5], exec
	s_and_b64 s[8:9], vcc, exec
	v_mov_b32_e32 v12, 0
	s_or_b64 s[4:5], s[4:5], s[8:9]
	s_or_b64 exec, exec, s[6:7]
	s_and_saveexec_b64 s[6:7], s[4:5]
	s_cbranch_execnz .LBB35_663
	s_branch .LBB35_664
.LBB35_2713:
	s_movk_i32 s4, 0x80
	v_cmp_eq_u16_sdwa s[12:13], v6, s4 src0_sel:BYTE_3 src1_sel:DWORD
	s_mov_b64 s[4:5], -1
                                        ; implicit-def: $sgpr10
	s_and_saveexec_b64 s[8:9], s[12:13]
; %bb.2714:
	s_mov_b32 s10, 0x7f800001
	s_xor_b64 s[4:5], exec, -1
; %bb.2715:
	s_or_b64 exec, exec, s[8:9]
	s_and_b64 s[4:5], s[4:5], exec
	s_or_saveexec_b64 s[6:7], s[6:7]
	v_mov_b32_e32 v10, s10
	s_xor_b64 exec, exec, s[6:7]
	s_cbranch_execz .LBB35_666
.LBB35_2716:
	v_mov_b32_e32 v10, 0
	v_cmp_ne_u16_sdwa s[8:9], v6, v10 src0_sel:BYTE_3 src1_sel:DWORD
	s_andn2_b64 s[4:5], s[4:5], exec
	s_and_b64 s[8:9], s[8:9], exec
	s_or_b64 s[4:5], s[4:5], s[8:9]
	s_or_b64 exec, exec, s[6:7]
	s_and_saveexec_b64 s[6:7], s[4:5]
	s_cbranch_execnz .LBB35_667
	s_branch .LBB35_668
.LBB35_2717:
	s_movk_i32 s4, 0x80
	v_cmp_eq_u16_sdwa s[12:13], v2, s4 src0_sel:BYTE_3 src1_sel:DWORD
	s_mov_b64 s[4:5], -1
                                        ; implicit-def: $sgpr10
	s_and_saveexec_b64 s[8:9], s[12:13]
; %bb.2718:
	s_mov_b32 s10, 0x7f800001
	s_xor_b64 s[4:5], exec, -1
; %bb.2719:
	s_or_b64 exec, exec, s[8:9]
	s_and_b64 s[4:5], s[4:5], exec
	s_or_saveexec_b64 s[6:7], s[6:7]
	v_mov_b32_e32 v6, s10
	s_xor_b64 exec, exec, s[6:7]
	s_cbranch_execz .LBB35_670
.LBB35_2720:
	v_mov_b32_e32 v6, 0
	v_cmp_ne_u16_sdwa s[8:9], v2, v6 src0_sel:BYTE_3 src1_sel:DWORD
	s_andn2_b64 s[4:5], s[4:5], exec
	s_and_b64 s[8:9], s[8:9], exec
	s_or_b64 s[4:5], s[4:5], s[8:9]
	s_or_b64 exec, exec, s[6:7]
	s_and_saveexec_b64 s[6:7], s[4:5]
	s_cbranch_execnz .LBB35_671
	s_branch .LBB35_672
.LBB35_2721:
	s_movk_i32 s4, 0x80
	v_cmp_eq_u16_sdwa s[12:13], v7, s4 src0_sel:BYTE_0 src1_sel:DWORD
	s_mov_b64 s[4:5], -1
                                        ; implicit-def: $sgpr10
	s_and_saveexec_b64 s[8:9], s[12:13]
; %bb.2722:
	s_mov_b32 s10, 0x7f800001
	s_xor_b64 s[4:5], exec, -1
; %bb.2723:
	s_or_b64 exec, exec, s[8:9]
	s_and_b64 s[4:5], s[4:5], exec
	s_or_saveexec_b64 s[6:7], s[6:7]
	v_mov_b32_e32 v2, s10
	s_xor_b64 exec, exec, s[6:7]
	s_cbranch_execz .LBB35_674
.LBB35_2724:
	v_mov_b32_e32 v2, 0
	v_cmp_ne_u16_sdwa s[8:9], v7, v2 src0_sel:BYTE_0 src1_sel:DWORD
	s_andn2_b64 s[4:5], s[4:5], exec
	s_and_b64 s[8:9], s[8:9], exec
	s_or_b64 s[4:5], s[4:5], s[8:9]
	s_or_b64 exec, exec, s[6:7]
	s_and_saveexec_b64 s[6:7], s[4:5]
	s_cbranch_execnz .LBB35_675
	s_branch .LBB35_676
.LBB35_2725:
	s_movk_i32 s4, 0x80
	v_cmp_eq_u16_sdwa s[12:13], v3, s4 src0_sel:BYTE_0 src1_sel:DWORD
	s_mov_b64 s[4:5], -1
                                        ; implicit-def: $sgpr10
	s_and_saveexec_b64 s[8:9], s[12:13]
; %bb.2726:
	s_mov_b32 s10, 0x7f800001
	s_xor_b64 s[4:5], exec, -1
; %bb.2727:
	s_or_b64 exec, exec, s[8:9]
	s_and_b64 s[4:5], s[4:5], exec
	s_or_saveexec_b64 s[6:7], s[6:7]
	v_mov_b32_e32 v6, s10
	s_xor_b64 exec, exec, s[6:7]
	s_cbranch_execz .LBB35_678
.LBB35_2728:
	v_mov_b32_e32 v6, 0
	v_cmp_ne_u16_sdwa s[8:9], v3, v6 src0_sel:BYTE_0 src1_sel:DWORD
	s_andn2_b64 s[4:5], s[4:5], exec
	s_and_b64 s[8:9], s[8:9], exec
	s_or_b64 s[4:5], s[4:5], s[8:9]
	s_or_b64 exec, exec, s[6:7]
	s_and_saveexec_b64 s[6:7], s[4:5]
	s_cbranch_execnz .LBB35_679
	s_branch .LBB35_680
.LBB35_2729:
	s_movk_i32 s4, 0x80
	v_cmp_eq_u16_sdwa s[12:13], v6, s4 src0_sel:BYTE_0 src1_sel:DWORD
	s_mov_b64 s[4:5], -1
                                        ; implicit-def: $sgpr10
	s_and_saveexec_b64 s[8:9], s[12:13]
; %bb.2730:
	s_mov_b32 s10, 0x7f800001
	s_xor_b64 s[4:5], exec, -1
; %bb.2731:
	s_or_b64 exec, exec, s[8:9]
	s_and_b64 s[4:5], s[4:5], exec
	s_or_saveexec_b64 s[6:7], s[6:7]
	v_mov_b32_e32 v2, s10
	s_xor_b64 exec, exec, s[6:7]
	s_cbranch_execz .LBB35_682
.LBB35_2732:
	v_mov_b32_e32 v2, 0
	v_cmp_ne_u16_sdwa s[8:9], v6, v2 src0_sel:BYTE_0 src1_sel:DWORD
	s_andn2_b64 s[4:5], s[4:5], exec
	s_and_b64 s[8:9], s[8:9], exec
	s_or_b64 s[4:5], s[4:5], s[8:9]
	s_or_b64 exec, exec, s[6:7]
	s_and_saveexec_b64 s[6:7], s[4:5]
	s_cbranch_execnz .LBB35_683
	s_branch .LBB35_684
.LBB35_2733:
	s_movk_i32 s4, 0x80
	v_cmp_eq_u16_sdwa s[12:13], v6, s4 src0_sel:BYTE_0 src1_sel:DWORD
	s_mov_b64 s[4:5], -1
                                        ; implicit-def: $sgpr10
	s_and_saveexec_b64 s[8:9], s[12:13]
; %bb.2734:
	s_mov_b32 s10, 0x7f800001
	s_xor_b64 s[4:5], exec, -1
; %bb.2735:
	s_or_b64 exec, exec, s[8:9]
	s_and_b64 s[4:5], s[4:5], exec
	s_or_saveexec_b64 s[6:7], s[6:7]
	v_mov_b32_e32 v10, s10
	s_xor_b64 exec, exec, s[6:7]
	s_cbranch_execz .LBB35_686
.LBB35_2736:
	v_mov_b32_e32 v10, 0
	v_cmp_ne_u16_sdwa s[8:9], v6, v10 src0_sel:BYTE_0 src1_sel:DWORD
	s_andn2_b64 s[4:5], s[4:5], exec
	s_and_b64 s[8:9], s[8:9], exec
	s_or_b64 s[4:5], s[4:5], s[8:9]
	s_or_b64 exec, exec, s[6:7]
	s_and_saveexec_b64 s[6:7], s[4:5]
	s_cbranch_execnz .LBB35_687
	s_branch .LBB35_688
.LBB35_2737:
	s_movk_i32 s4, 0x80
	v_cmp_eq_u16_e32 vcc, s4, v6
	s_mov_b64 s[4:5], -1
                                        ; implicit-def: $sgpr10
	s_and_saveexec_b64 s[8:9], vcc
; %bb.2738:
	s_mov_b32 s10, 0x7f800001
	s_xor_b64 s[4:5], exec, -1
; %bb.2739:
	s_or_b64 exec, exec, s[8:9]
	s_and_b64 s[4:5], s[4:5], exec
                                        ; implicit-def: $vgpr6
	s_or_saveexec_b64 s[6:7], s[6:7]
	v_mov_b32_e32 v2, s10
	s_xor_b64 exec, exec, s[6:7]
	s_cbranch_execz .LBB35_690
.LBB35_2740:
	v_cmp_ne_u16_e32 vcc, 0, v6
	s_andn2_b64 s[4:5], s[4:5], exec
	s_and_b64 s[8:9], vcc, exec
	v_mov_b32_e32 v2, 0
	s_or_b64 s[4:5], s[4:5], s[8:9]
	s_or_b64 exec, exec, s[6:7]
	s_and_saveexec_b64 s[6:7], s[4:5]
	s_cbranch_execnz .LBB35_691
	s_branch .LBB35_692
.LBB35_2741:
	s_movk_i32 s4, 0x80
	v_cmp_eq_u16_e32 vcc, s4, v6
	s_mov_b64 s[4:5], -1
                                        ; implicit-def: $sgpr10
	s_and_saveexec_b64 s[8:9], vcc
; %bb.2742:
	s_mov_b32 s10, 0x7f800001
	s_xor_b64 s[4:5], exec, -1
; %bb.2743:
	s_or_b64 exec, exec, s[8:9]
	s_and_b64 s[4:5], s[4:5], exec
                                        ; implicit-def: $vgpr6
	s_or_saveexec_b64 s[6:7], s[6:7]
	v_mov_b32_e32 v10, s10
	s_xor_b64 exec, exec, s[6:7]
	s_cbranch_execz .LBB35_694
.LBB35_2744:
	v_cmp_ne_u16_e32 vcc, 0, v6
	s_andn2_b64 s[4:5], s[4:5], exec
	s_and_b64 s[8:9], vcc, exec
	v_mov_b32_e32 v10, 0
	s_or_b64 s[4:5], s[4:5], s[8:9]
	s_or_b64 exec, exec, s[6:7]
	s_and_saveexec_b64 s[6:7], s[4:5]
	s_cbranch_execnz .LBB35_695
	s_branch .LBB35_696
.LBB35_2745:
	s_movk_i32 s4, 0x80
	v_cmp_eq_u16_sdwa s[12:13], v7, s4 src0_sel:BYTE_3 src1_sel:DWORD
	s_mov_b64 s[4:5], -1
                                        ; implicit-def: $sgpr10
	s_and_saveexec_b64 s[8:9], s[12:13]
; %bb.2746:
	s_mov_b32 s10, 0x7f800001
	s_xor_b64 s[4:5], exec, -1
; %bb.2747:
	s_or_b64 exec, exec, s[8:9]
	s_and_b64 s[4:5], s[4:5], exec
	s_or_saveexec_b64 s[6:7], s[6:7]
	v_mov_b32_e32 v2, s10
	s_xor_b64 exec, exec, s[6:7]
	s_cbranch_execz .LBB35_698
.LBB35_2748:
	v_mov_b32_e32 v2, 0
	v_cmp_ne_u16_sdwa s[8:9], v7, v2 src0_sel:BYTE_3 src1_sel:DWORD
	s_andn2_b64 s[4:5], s[4:5], exec
	s_and_b64 s[8:9], s[8:9], exec
	s_or_b64 s[4:5], s[4:5], s[8:9]
	s_or_b64 exec, exec, s[6:7]
	s_and_saveexec_b64 s[6:7], s[4:5]
	s_cbranch_execnz .LBB35_699
	s_branch .LBB35_700
.LBB35_2749:
	s_movk_i32 s4, 0x80
	v_cmp_eq_u16_sdwa s[12:13], v3, s4 src0_sel:BYTE_3 src1_sel:DWORD
	s_mov_b64 s[4:5], -1
                                        ; implicit-def: $sgpr10
	s_and_saveexec_b64 s[8:9], s[12:13]
; %bb.2750:
	s_mov_b32 s10, 0x7f800001
	s_xor_b64 s[4:5], exec, -1
; %bb.2751:
	s_or_b64 exec, exec, s[8:9]
	s_and_b64 s[4:5], s[4:5], exec
	s_or_saveexec_b64 s[6:7], s[6:7]
	v_mov_b32_e32 v6, s10
	s_xor_b64 exec, exec, s[6:7]
	s_cbranch_execz .LBB35_702
.LBB35_2752:
	v_mov_b32_e32 v6, 0
	v_cmp_ne_u16_sdwa s[8:9], v3, v6 src0_sel:BYTE_3 src1_sel:DWORD
	s_andn2_b64 s[4:5], s[4:5], exec
	s_and_b64 s[8:9], s[8:9], exec
	s_or_b64 s[4:5], s[4:5], s[8:9]
	s_or_b64 exec, exec, s[6:7]
	s_and_saveexec_b64 s[6:7], s[4:5]
	s_cbranch_execnz .LBB35_703
	s_branch .LBB35_704
.LBB35_2753:
	s_movk_i32 s4, 0x80
	v_cmp_eq_u16_sdwa s[12:13], v8, s4 src0_sel:BYTE_0 src1_sel:DWORD
	s_mov_b64 s[4:5], -1
                                        ; implicit-def: $sgpr10
	s_and_saveexec_b64 s[8:9], s[12:13]
; %bb.2754:
	s_mov_b32 s10, 0x7f800001
	s_xor_b64 s[4:5], exec, -1
; %bb.2755:
	s_or_b64 exec, exec, s[8:9]
	s_and_b64 s[4:5], s[4:5], exec
	s_or_saveexec_b64 s[6:7], s[6:7]
	v_mov_b32_e32 v2, s10
	s_xor_b64 exec, exec, s[6:7]
	s_cbranch_execz .LBB35_706
.LBB35_2756:
	v_mov_b32_e32 v2, 0
	v_cmp_ne_u16_sdwa s[8:9], v8, v2 src0_sel:BYTE_0 src1_sel:DWORD
	s_andn2_b64 s[4:5], s[4:5], exec
	s_and_b64 s[8:9], s[8:9], exec
	s_or_b64 s[4:5], s[4:5], s[8:9]
	s_or_b64 exec, exec, s[6:7]
	s_and_saveexec_b64 s[6:7], s[4:5]
	s_cbranch_execnz .LBB35_707
	s_branch .LBB35_708
.LBB35_2757:
	s_movk_i32 s4, 0x80
	v_cmp_eq_u16_sdwa s[12:13], v4, s4 src0_sel:BYTE_0 src1_sel:DWORD
	s_mov_b64 s[4:5], -1
                                        ; implicit-def: $sgpr10
	s_and_saveexec_b64 s[8:9], s[12:13]
; %bb.2758:
	s_mov_b32 s10, 0x7f800001
	s_xor_b64 s[4:5], exec, -1
; %bb.2759:
	s_or_b64 exec, exec, s[8:9]
	s_and_b64 s[4:5], s[4:5], exec
	s_or_saveexec_b64 s[6:7], s[6:7]
	v_mov_b32_e32 v3, s10
	s_xor_b64 exec, exec, s[6:7]
	s_cbranch_execz .LBB35_710
.LBB35_2760:
	v_mov_b32_e32 v3, 0
	v_cmp_ne_u16_sdwa s[8:9], v4, v3 src0_sel:BYTE_0 src1_sel:DWORD
	s_andn2_b64 s[4:5], s[4:5], exec
	s_and_b64 s[8:9], s[8:9], exec
	s_or_b64 s[4:5], s[4:5], s[8:9]
	s_or_b64 exec, exec, s[6:7]
	s_and_saveexec_b64 s[6:7], s[4:5]
	s_cbranch_execnz .LBB35_711
	s_branch .LBB35_712
.LBB35_2761:
	s_movk_i32 s4, 0x80
	v_cmp_eq_u16_sdwa s[12:13], v3, s4 src0_sel:BYTE_0 src1_sel:DWORD
	s_mov_b64 s[4:5], -1
                                        ; implicit-def: $sgpr10
	s_and_saveexec_b64 s[8:9], s[12:13]
; %bb.2762:
	s_mov_b32 s10, 0x7f800001
	s_xor_b64 s[4:5], exec, -1
; %bb.2763:
	s_or_b64 exec, exec, s[8:9]
	s_and_b64 s[4:5], s[4:5], exec
	s_or_saveexec_b64 s[6:7], s[6:7]
	v_mov_b32_e32 v2, s10
	s_xor_b64 exec, exec, s[6:7]
	s_cbranch_execz .LBB35_714
.LBB35_2764:
	v_mov_b32_e32 v2, 0
	v_cmp_ne_u16_sdwa s[8:9], v3, v2 src0_sel:BYTE_0 src1_sel:DWORD
	s_andn2_b64 s[4:5], s[4:5], exec
	s_and_b64 s[8:9], s[8:9], exec
	s_or_b64 s[4:5], s[4:5], s[8:9]
	s_or_b64 exec, exec, s[6:7]
	s_and_saveexec_b64 s[6:7], s[4:5]
	s_cbranch_execnz .LBB35_715
	s_branch .LBB35_716
.LBB35_2765:
	s_movk_i32 s4, 0x80
	v_cmp_eq_u16_sdwa s[12:13], v3, s4 src0_sel:BYTE_0 src1_sel:DWORD
	s_mov_b64 s[4:5], -1
                                        ; implicit-def: $sgpr10
	s_and_saveexec_b64 s[8:9], s[12:13]
; %bb.2766:
	s_mov_b32 s10, 0x7f800001
	s_xor_b64 s[4:5], exec, -1
; %bb.2767:
	s_or_b64 exec, exec, s[8:9]
	s_and_b64 s[4:5], s[4:5], exec
	s_or_saveexec_b64 s[6:7], s[6:7]
	v_mov_b32_e32 v6, s10
	s_xor_b64 exec, exec, s[6:7]
	s_cbranch_execz .LBB35_718
.LBB35_2768:
	v_mov_b32_e32 v6, 0
	v_cmp_ne_u16_sdwa s[8:9], v3, v6 src0_sel:BYTE_0 src1_sel:DWORD
	s_andn2_b64 s[4:5], s[4:5], exec
	s_and_b64 s[8:9], s[8:9], exec
	s_or_b64 s[4:5], s[4:5], s[8:9]
	s_or_b64 exec, exec, s[6:7]
	s_and_saveexec_b64 s[6:7], s[4:5]
	s_cbranch_execnz .LBB35_719
	s_branch .LBB35_720
.LBB35_2769:
	s_movk_i32 s4, 0x80
	v_cmp_eq_u16_e32 vcc, s4, v3
	s_mov_b64 s[4:5], -1
                                        ; implicit-def: $sgpr10
	s_and_saveexec_b64 s[8:9], vcc
; %bb.2770:
	s_mov_b32 s10, 0x7f800001
	s_xor_b64 s[4:5], exec, -1
; %bb.2771:
	s_or_b64 exec, exec, s[8:9]
	s_and_b64 s[4:5], s[4:5], exec
                                        ; implicit-def: $vgpr3
	s_or_saveexec_b64 s[6:7], s[6:7]
	v_mov_b32_e32 v2, s10
	s_xor_b64 exec, exec, s[6:7]
	s_cbranch_execz .LBB35_722
.LBB35_2772:
	v_cmp_ne_u16_e32 vcc, 0, v3
	s_andn2_b64 s[4:5], s[4:5], exec
	s_and_b64 s[8:9], vcc, exec
	v_mov_b32_e32 v2, 0
	s_or_b64 s[4:5], s[4:5], s[8:9]
	s_or_b64 exec, exec, s[6:7]
	s_and_saveexec_b64 s[6:7], s[4:5]
	s_cbranch_execnz .LBB35_723
	s_branch .LBB35_724
.LBB35_2773:
	s_movk_i32 s4, 0x80
	v_cmp_eq_u16_e32 vcc, s4, v3
	s_mov_b64 s[4:5], -1
                                        ; implicit-def: $sgpr10
	s_and_saveexec_b64 s[8:9], vcc
; %bb.2774:
	s_mov_b32 s10, 0x7f800001
	s_xor_b64 s[4:5], exec, -1
; %bb.2775:
	s_or_b64 exec, exec, s[8:9]
	s_and_b64 s[4:5], s[4:5], exec
                                        ; implicit-def: $vgpr3
	s_or_saveexec_b64 s[6:7], s[6:7]
	v_mov_b32_e32 v6, s10
	s_xor_b64 exec, exec, s[6:7]
	s_cbranch_execz .LBB35_726
.LBB35_2776:
	v_cmp_ne_u16_e32 vcc, 0, v3
	s_andn2_b64 s[4:5], s[4:5], exec
	s_and_b64 s[8:9], vcc, exec
	v_mov_b32_e32 v6, 0
	s_or_b64 s[4:5], s[4:5], s[8:9]
	s_or_b64 exec, exec, s[6:7]
	s_and_saveexec_b64 s[6:7], s[4:5]
	s_cbranch_execnz .LBB35_727
	s_branch .LBB35_728
.LBB35_2777:
	s_movk_i32 s4, 0x80
	v_cmp_eq_u16_sdwa s[12:13], v8, s4 src0_sel:BYTE_3 src1_sel:DWORD
	s_mov_b64 s[4:5], -1
                                        ; implicit-def: $sgpr10
	s_and_saveexec_b64 s[8:9], s[12:13]
; %bb.2778:
	s_mov_b32 s10, 0x7f800001
	s_xor_b64 s[4:5], exec, -1
; %bb.2779:
	s_or_b64 exec, exec, s[8:9]
	s_and_b64 s[4:5], s[4:5], exec
	s_or_saveexec_b64 s[6:7], s[6:7]
	v_mov_b32_e32 v2, s10
	s_xor_b64 exec, exec, s[6:7]
	s_cbranch_execz .LBB35_730
.LBB35_2780:
	v_mov_b32_e32 v2, 0
	v_cmp_ne_u16_sdwa s[8:9], v8, v2 src0_sel:BYTE_3 src1_sel:DWORD
	s_andn2_b64 s[4:5], s[4:5], exec
	s_and_b64 s[8:9], s[8:9], exec
	s_or_b64 s[4:5], s[4:5], s[8:9]
	s_or_b64 exec, exec, s[6:7]
	s_and_saveexec_b64 s[6:7], s[4:5]
	s_cbranch_execnz .LBB35_731
	s_branch .LBB35_732
.LBB35_2781:
	s_movk_i32 s4, 0x80
	v_cmp_eq_u16_sdwa s[12:13], v4, s4 src0_sel:BYTE_3 src1_sel:DWORD
	s_mov_b64 s[4:5], -1
                                        ; implicit-def: $sgpr10
	s_and_saveexec_b64 s[8:9], s[12:13]
; %bb.2782:
	s_mov_b32 s10, 0x7f800001
	s_xor_b64 s[4:5], exec, -1
; %bb.2783:
	s_or_b64 exec, exec, s[8:9]
	s_and_b64 s[4:5], s[4:5], exec
	s_or_saveexec_b64 s[6:7], s[6:7]
	v_mov_b32_e32 v3, s10
	s_xor_b64 exec, exec, s[6:7]
	s_cbranch_execz .LBB35_734
.LBB35_2784:
	v_mov_b32_e32 v3, 0
	v_cmp_ne_u16_sdwa s[8:9], v4, v3 src0_sel:BYTE_3 src1_sel:DWORD
	s_andn2_b64 s[4:5], s[4:5], exec
	s_and_b64 s[8:9], s[8:9], exec
	s_or_b64 s[4:5], s[4:5], s[8:9]
	s_or_b64 exec, exec, s[6:7]
	s_and_saveexec_b64 s[6:7], s[4:5]
	s_cbranch_execnz .LBB35_735
	s_branch .LBB35_736
.LBB35_2785:
	s_movk_i32 s4, 0x80
	v_cmp_eq_u16_sdwa s[12:13], v9, s4 src0_sel:BYTE_0 src1_sel:DWORD
	s_mov_b64 s[4:5], -1
                                        ; implicit-def: $sgpr10
	s_and_saveexec_b64 s[8:9], s[12:13]
; %bb.2786:
	s_mov_b32 s10, 0x7f800001
	s_xor_b64 s[4:5], exec, -1
; %bb.2787:
	s_or_b64 exec, exec, s[8:9]
	s_and_b64 s[4:5], s[4:5], exec
	s_or_saveexec_b64 s[6:7], s[6:7]
	v_mov_b32_e32 v2, s10
	s_xor_b64 exec, exec, s[6:7]
	s_cbranch_execz .LBB35_738
.LBB35_2788:
	v_mov_b32_e32 v2, 0
	v_cmp_ne_u16_sdwa s[8:9], v9, v2 src0_sel:BYTE_0 src1_sel:DWORD
	s_andn2_b64 s[4:5], s[4:5], exec
	s_and_b64 s[8:9], s[8:9], exec
	s_or_b64 s[4:5], s[4:5], s[8:9]
	s_or_b64 exec, exec, s[6:7]
	s_and_saveexec_b64 s[6:7], s[4:5]
	s_cbranch_execnz .LBB35_739
	s_branch .LBB35_740
.LBB35_2789:
	s_movk_i32 s4, 0x80
	v_cmp_eq_u16_sdwa s[12:13], v5, s4 src0_sel:BYTE_0 src1_sel:DWORD
	s_mov_b64 s[4:5], -1
                                        ; implicit-def: $sgpr10
	s_and_saveexec_b64 s[8:9], s[12:13]
; %bb.2790:
	s_mov_b32 s10, 0x7f800001
	s_xor_b64 s[4:5], exec, -1
; %bb.2791:
	s_or_b64 exec, exec, s[8:9]
	s_and_b64 s[4:5], s[4:5], exec
	s_or_saveexec_b64 s[6:7], s[6:7]
	v_mov_b32_e32 v3, s10
	s_xor_b64 exec, exec, s[6:7]
	s_cbranch_execz .LBB35_742
.LBB35_2792:
	v_mov_b32_e32 v3, 0
	v_cmp_ne_u16_sdwa s[8:9], v5, v3 src0_sel:BYTE_0 src1_sel:DWORD
	s_andn2_b64 s[4:5], s[4:5], exec
	s_and_b64 s[8:9], s[8:9], exec
	s_or_b64 s[4:5], s[4:5], s[8:9]
	s_or_b64 exec, exec, s[6:7]
	s_and_saveexec_b64 s[6:7], s[4:5]
	s_cbranch_execnz .LBB35_743
	s_branch .LBB35_744
.LBB35_2793:
	s_movk_i32 s4, 0x80
	v_cmp_eq_u16_sdwa s[12:13], v3, s4 src0_sel:BYTE_0 src1_sel:DWORD
	s_mov_b64 s[4:5], -1
                                        ; implicit-def: $sgpr10
	s_and_saveexec_b64 s[8:9], s[12:13]
; %bb.2794:
	s_mov_b32 s10, 0x7f800001
	s_xor_b64 s[4:5], exec, -1
; %bb.2795:
	s_or_b64 exec, exec, s[8:9]
	s_and_b64 s[4:5], s[4:5], exec
	s_or_saveexec_b64 s[6:7], s[6:7]
	v_mov_b32_e32 v2, s10
	s_xor_b64 exec, exec, s[6:7]
	s_cbranch_execz .LBB35_746
.LBB35_2796:
	v_mov_b32_e32 v2, 0
	v_cmp_ne_u16_sdwa s[8:9], v3, v2 src0_sel:BYTE_0 src1_sel:DWORD
	s_andn2_b64 s[4:5], s[4:5], exec
	s_and_b64 s[8:9], s[8:9], exec
	s_or_b64 s[4:5], s[4:5], s[8:9]
	s_or_b64 exec, exec, s[6:7]
	s_and_saveexec_b64 s[6:7], s[4:5]
	s_cbranch_execnz .LBB35_747
	s_branch .LBB35_748
.LBB35_2797:
	s_movk_i32 s4, 0x80
	v_cmp_eq_u16_sdwa s[12:13], v3, s4 src0_sel:BYTE_0 src1_sel:DWORD
	s_mov_b64 s[4:5], -1
                                        ; implicit-def: $sgpr10
	s_and_saveexec_b64 s[8:9], s[12:13]
; %bb.2798:
	s_mov_b32 s10, 0x7f800001
	s_xor_b64 s[4:5], exec, -1
; %bb.2799:
	s_or_b64 exec, exec, s[8:9]
	s_and_b64 s[4:5], s[4:5], exec
	s_or_saveexec_b64 s[6:7], s[6:7]
	v_mov_b32_e32 v4, s10
	s_xor_b64 exec, exec, s[6:7]
	s_cbranch_execz .LBB35_750
.LBB35_2800:
	v_mov_b32_e32 v4, 0
	v_cmp_ne_u16_sdwa s[8:9], v3, v4 src0_sel:BYTE_0 src1_sel:DWORD
	s_andn2_b64 s[4:5], s[4:5], exec
	s_and_b64 s[8:9], s[8:9], exec
	s_or_b64 s[4:5], s[4:5], s[8:9]
	s_or_b64 exec, exec, s[6:7]
	s_and_saveexec_b64 s[6:7], s[4:5]
	s_cbranch_execnz .LBB35_751
	s_branch .LBB35_752
.LBB35_2801:
	s_movk_i32 s4, 0x80
	v_cmp_eq_u16_e32 vcc, s4, v3
	s_mov_b64 s[4:5], -1
                                        ; implicit-def: $sgpr10
	s_and_saveexec_b64 s[8:9], vcc
; %bb.2802:
	s_mov_b32 s10, 0x7f800001
	s_xor_b64 s[4:5], exec, -1
; %bb.2803:
	s_or_b64 exec, exec, s[8:9]
	s_and_b64 s[4:5], s[4:5], exec
                                        ; implicit-def: $vgpr3
	s_or_saveexec_b64 s[6:7], s[6:7]
	v_mov_b32_e32 v2, s10
	s_xor_b64 exec, exec, s[6:7]
	s_cbranch_execz .LBB35_754
.LBB35_2804:
	v_cmp_ne_u16_e32 vcc, 0, v3
	s_andn2_b64 s[4:5], s[4:5], exec
	s_and_b64 s[8:9], vcc, exec
	v_mov_b32_e32 v2, 0
	s_or_b64 s[4:5], s[4:5], s[8:9]
	s_or_b64 exec, exec, s[6:7]
	s_and_saveexec_b64 s[6:7], s[4:5]
	s_cbranch_execnz .LBB35_755
	s_branch .LBB35_756
.LBB35_2805:
	s_movk_i32 s4, 0x80
	v_cmp_eq_u16_e32 vcc, s4, v3
	s_mov_b64 s[4:5], -1
                                        ; implicit-def: $sgpr10
	s_and_saveexec_b64 s[8:9], vcc
; %bb.2806:
	s_mov_b32 s10, 0x7f800001
	s_xor_b64 s[4:5], exec, -1
; %bb.2807:
	s_or_b64 exec, exec, s[8:9]
	s_and_b64 s[4:5], s[4:5], exec
                                        ; implicit-def: $vgpr3
	s_or_saveexec_b64 s[6:7], s[6:7]
	v_mov_b32_e32 v4, s10
	s_xor_b64 exec, exec, s[6:7]
	s_cbranch_execz .LBB35_758
.LBB35_2808:
	v_cmp_ne_u16_e32 vcc, 0, v3
	s_andn2_b64 s[4:5], s[4:5], exec
	s_and_b64 s[8:9], vcc, exec
	v_mov_b32_e32 v4, 0
	s_or_b64 s[4:5], s[4:5], s[8:9]
	s_or_b64 exec, exec, s[6:7]
	s_and_saveexec_b64 s[6:7], s[4:5]
	s_cbranch_execnz .LBB35_759
	s_branch .LBB35_760
.LBB35_2809:
	s_movk_i32 s4, 0x80
	v_cmp_eq_u16_sdwa s[12:13], v9, s4 src0_sel:BYTE_3 src1_sel:DWORD
	s_mov_b64 s[4:5], -1
                                        ; implicit-def: $sgpr10
	s_and_saveexec_b64 s[8:9], s[12:13]
; %bb.2810:
	s_mov_b32 s10, 0x7f800001
	s_xor_b64 s[4:5], exec, -1
; %bb.2811:
	s_or_b64 exec, exec, s[8:9]
	s_and_b64 s[4:5], s[4:5], exec
	s_or_saveexec_b64 s[6:7], s[6:7]
	v_mov_b32_e32 v2, s10
	s_xor_b64 exec, exec, s[6:7]
	s_cbranch_execz .LBB35_762
.LBB35_2812:
	v_mov_b32_e32 v2, 0
	v_cmp_ne_u16_sdwa s[8:9], v9, v2 src0_sel:BYTE_3 src1_sel:DWORD
	s_andn2_b64 s[4:5], s[4:5], exec
	s_and_b64 s[8:9], s[8:9], exec
	s_or_b64 s[4:5], s[4:5], s[8:9]
	s_or_b64 exec, exec, s[6:7]
	s_and_saveexec_b64 s[6:7], s[4:5]
	s_cbranch_execnz .LBB35_763
	s_branch .LBB35_764
.LBB35_2813:
	s_movk_i32 s4, 0x80
	v_cmp_eq_u16_sdwa s[12:13], v5, s4 src0_sel:BYTE_3 src1_sel:DWORD
	s_mov_b64 s[4:5], -1
                                        ; implicit-def: $sgpr10
	s_and_saveexec_b64 s[8:9], s[12:13]
; %bb.2814:
	s_mov_b32 s10, 0x7f800001
	s_xor_b64 s[4:5], exec, -1
; %bb.2815:
	s_or_b64 exec, exec, s[8:9]
	s_and_b64 s[4:5], s[4:5], exec
	s_or_saveexec_b64 s[6:7], s[6:7]
	v_mov_b32_e32 v3, s10
	s_xor_b64 exec, exec, s[6:7]
	s_cbranch_execz .LBB35_766
.LBB35_2816:
	v_mov_b32_e32 v3, 0
	v_cmp_ne_u16_sdwa s[8:9], v5, v3 src0_sel:BYTE_3 src1_sel:DWORD
	s_andn2_b64 s[4:5], s[4:5], exec
	s_and_b64 s[8:9], s[8:9], exec
	s_or_b64 s[4:5], s[4:5], s[8:9]
	s_or_b64 exec, exec, s[6:7]
	s_and_saveexec_b64 s[6:7], s[4:5]
	s_cbranch_execnz .LBB35_767
	s_branch .LBB35_768
.LBB35_2817:
	s_movk_i32 s4, 0x80
	v_cmp_eq_u16_sdwa s[12:13], v14, s4 src0_sel:BYTE_0 src1_sel:DWORD
	s_mov_b64 s[4:5], -1
                                        ; implicit-def: $sgpr10
	s_and_saveexec_b64 s[8:9], s[12:13]
; %bb.2818:
	s_mov_b32 s10, 0x7f800001
	s_xor_b64 s[4:5], exec, -1
; %bb.2819:
	s_or_b64 exec, exec, s[8:9]
	s_and_b64 s[4:5], s[4:5], exec
	s_or_saveexec_b64 s[6:7], s[6:7]
	v_mov_b32_e32 v20, s10
	s_xor_b64 exec, exec, s[6:7]
	s_cbranch_execz .LBB35_770
.LBB35_2820:
	v_mov_b32_e32 v20, 0
	v_cmp_ne_u16_sdwa s[8:9], v14, v20 src0_sel:BYTE_0 src1_sel:DWORD
	s_andn2_b64 s[4:5], s[4:5], exec
	s_and_b64 s[8:9], s[8:9], exec
	s_or_b64 s[4:5], s[4:5], s[8:9]
	s_or_b64 exec, exec, s[6:7]
	s_and_saveexec_b64 s[6:7], s[4:5]
	s_cbranch_execnz .LBB35_771
	s_branch .LBB35_772
.LBB35_2821:
	s_movk_i32 s4, 0x80
	v_cmp_eq_u16_sdwa s[12:13], v10, s4 src0_sel:BYTE_0 src1_sel:DWORD
	s_mov_b64 s[4:5], -1
                                        ; implicit-def: $sgpr10
	s_and_saveexec_b64 s[8:9], s[12:13]
; %bb.2822:
	s_mov_b32 s10, 0x7f800001
	s_xor_b64 s[4:5], exec, -1
; %bb.2823:
	s_or_b64 exec, exec, s[8:9]
	s_and_b64 s[4:5], s[4:5], exec
	s_or_saveexec_b64 s[6:7], s[6:7]
	v_mov_b32_e32 v21, s10
	s_xor_b64 exec, exec, s[6:7]
	s_cbranch_execz .LBB35_774
.LBB35_2824:
	v_mov_b32_e32 v21, 0
	v_cmp_ne_u16_sdwa s[8:9], v10, v21 src0_sel:BYTE_0 src1_sel:DWORD
	s_andn2_b64 s[4:5], s[4:5], exec
	s_and_b64 s[8:9], s[8:9], exec
	s_or_b64 s[4:5], s[4:5], s[8:9]
	s_or_b64 exec, exec, s[6:7]
	s_and_saveexec_b64 s[6:7], s[4:5]
	s_cbranch_execnz .LBB35_775
	s_branch .LBB35_776
.LBB35_2825:
	s_movk_i32 s4, 0x80
	v_cmp_eq_u16_sdwa s[12:13], v21, s4 src0_sel:BYTE_0 src1_sel:DWORD
	s_mov_b64 s[4:5], -1
                                        ; implicit-def: $sgpr10
	s_and_saveexec_b64 s[8:9], s[12:13]
; %bb.2826:
	s_mov_b32 s10, 0x7f800001
	s_xor_b64 s[4:5], exec, -1
; %bb.2827:
	s_or_b64 exec, exec, s[8:9]
	s_and_b64 s[4:5], s[4:5], exec
	s_or_saveexec_b64 s[6:7], s[6:7]
	v_mov_b32_e32 v20, s10
	s_xor_b64 exec, exec, s[6:7]
	s_cbranch_execz .LBB35_778
.LBB35_2828:
	v_mov_b32_e32 v20, 0
	v_cmp_ne_u16_sdwa s[8:9], v21, v20 src0_sel:BYTE_0 src1_sel:DWORD
	s_andn2_b64 s[4:5], s[4:5], exec
	s_and_b64 s[8:9], s[8:9], exec
	s_or_b64 s[4:5], s[4:5], s[8:9]
	s_or_b64 exec, exec, s[6:7]
	s_and_saveexec_b64 s[6:7], s[4:5]
	s_cbranch_execnz .LBB35_779
	s_branch .LBB35_780
.LBB35_2829:
	s_movk_i32 s4, 0x80
	v_cmp_eq_u16_sdwa s[12:13], v21, s4 src0_sel:BYTE_0 src1_sel:DWORD
	s_mov_b64 s[4:5], -1
                                        ; implicit-def: $sgpr10
	s_and_saveexec_b64 s[8:9], s[12:13]
; %bb.2830:
	s_mov_b32 s10, 0x7f800001
	s_xor_b64 s[4:5], exec, -1
; %bb.2831:
	s_or_b64 exec, exec, s[8:9]
	s_and_b64 s[4:5], s[4:5], exec
	s_or_saveexec_b64 s[6:7], s[6:7]
	v_mov_b32_e32 v22, s10
	s_xor_b64 exec, exec, s[6:7]
	s_cbranch_execz .LBB35_782
.LBB35_2832:
	v_mov_b32_e32 v22, 0
	v_cmp_ne_u16_sdwa s[8:9], v21, v22 src0_sel:BYTE_0 src1_sel:DWORD
	s_andn2_b64 s[4:5], s[4:5], exec
	s_and_b64 s[8:9], s[8:9], exec
	s_or_b64 s[4:5], s[4:5], s[8:9]
	s_or_b64 exec, exec, s[6:7]
	s_and_saveexec_b64 s[6:7], s[4:5]
	s_cbranch_execnz .LBB35_783
	s_branch .LBB35_784
.LBB35_2833:
	s_movk_i32 s4, 0x80
	v_cmp_eq_u16_e32 vcc, s4, v21
	s_mov_b64 s[4:5], -1
                                        ; implicit-def: $sgpr10
	s_and_saveexec_b64 s[8:9], vcc
; %bb.2834:
	s_mov_b32 s10, 0x7f800001
	s_xor_b64 s[4:5], exec, -1
; %bb.2835:
	s_or_b64 exec, exec, s[8:9]
	s_and_b64 s[4:5], s[4:5], exec
                                        ; implicit-def: $vgpr21
	s_or_saveexec_b64 s[6:7], s[6:7]
	v_mov_b32_e32 v20, s10
	s_xor_b64 exec, exec, s[6:7]
	s_cbranch_execz .LBB35_786
.LBB35_2836:
	v_cmp_ne_u16_e32 vcc, 0, v21
	s_andn2_b64 s[4:5], s[4:5], exec
	s_and_b64 s[8:9], vcc, exec
	v_mov_b32_e32 v20, 0
	s_or_b64 s[4:5], s[4:5], s[8:9]
	s_or_b64 exec, exec, s[6:7]
	s_and_saveexec_b64 s[6:7], s[4:5]
	s_cbranch_execnz .LBB35_787
	s_branch .LBB35_788
.LBB35_2837:
	s_movk_i32 s4, 0x80
	v_cmp_eq_u16_e32 vcc, s4, v21
	s_mov_b64 s[4:5], -1
                                        ; implicit-def: $sgpr10
	s_and_saveexec_b64 s[8:9], vcc
; %bb.2838:
	s_mov_b32 s10, 0x7f800001
	s_xor_b64 s[4:5], exec, -1
; %bb.2839:
	s_or_b64 exec, exec, s[8:9]
	s_and_b64 s[4:5], s[4:5], exec
                                        ; implicit-def: $vgpr21
	s_or_saveexec_b64 s[6:7], s[6:7]
	v_mov_b32_e32 v22, s10
	s_xor_b64 exec, exec, s[6:7]
	s_cbranch_execz .LBB35_790
.LBB35_2840:
	v_cmp_ne_u16_e32 vcc, 0, v21
	s_andn2_b64 s[4:5], s[4:5], exec
	s_and_b64 s[8:9], vcc, exec
	v_mov_b32_e32 v22, 0
	s_or_b64 s[4:5], s[4:5], s[8:9]
	s_or_b64 exec, exec, s[6:7]
	s_and_saveexec_b64 s[6:7], s[4:5]
	s_cbranch_execnz .LBB35_791
	s_branch .LBB35_792
.LBB35_2841:
	s_movk_i32 s4, 0x80
	v_cmp_eq_u16_sdwa s[12:13], v14, s4 src0_sel:BYTE_3 src1_sel:DWORD
	s_mov_b64 s[4:5], -1
                                        ; implicit-def: $sgpr10
	s_and_saveexec_b64 s[8:9], s[12:13]
; %bb.2842:
	s_mov_b32 s10, 0x7f800001
	s_xor_b64 s[4:5], exec, -1
; %bb.2843:
	s_or_b64 exec, exec, s[8:9]
	s_and_b64 s[4:5], s[4:5], exec
	s_or_saveexec_b64 s[6:7], s[6:7]
	v_mov_b32_e32 v20, s10
	s_xor_b64 exec, exec, s[6:7]
	s_cbranch_execz .LBB35_794
.LBB35_2844:
	v_mov_b32_e32 v20, 0
	v_cmp_ne_u16_sdwa s[8:9], v14, v20 src0_sel:BYTE_3 src1_sel:DWORD
	s_andn2_b64 s[4:5], s[4:5], exec
	s_and_b64 s[8:9], s[8:9], exec
	s_or_b64 s[4:5], s[4:5], s[8:9]
	s_or_b64 exec, exec, s[6:7]
	s_and_saveexec_b64 s[6:7], s[4:5]
	s_cbranch_execnz .LBB35_795
	s_branch .LBB35_796
.LBB35_2845:
	s_movk_i32 s4, 0x80
	v_cmp_eq_u16_sdwa s[12:13], v10, s4 src0_sel:BYTE_3 src1_sel:DWORD
	s_mov_b64 s[4:5], -1
                                        ; implicit-def: $sgpr10
	s_and_saveexec_b64 s[8:9], s[12:13]
; %bb.2846:
	s_mov_b32 s10, 0x7f800001
	s_xor_b64 s[4:5], exec, -1
; %bb.2847:
	s_or_b64 exec, exec, s[8:9]
	s_and_b64 s[4:5], s[4:5], exec
	s_or_saveexec_b64 s[6:7], s[6:7]
	v_mov_b32_e32 v14, s10
	s_xor_b64 exec, exec, s[6:7]
	s_cbranch_execz .LBB35_798
.LBB35_2848:
	v_mov_b32_e32 v14, 0
	v_cmp_ne_u16_sdwa s[8:9], v10, v14 src0_sel:BYTE_3 src1_sel:DWORD
	s_andn2_b64 s[4:5], s[4:5], exec
	s_and_b64 s[8:9], s[8:9], exec
	s_or_b64 s[4:5], s[4:5], s[8:9]
	s_or_b64 exec, exec, s[6:7]
	s_and_saveexec_b64 s[6:7], s[4:5]
	s_cbranch_execnz .LBB35_799
	s_branch .LBB35_800
.LBB35_2849:
	s_movk_i32 s4, 0x80
	v_cmp_eq_u16_sdwa s[12:13], v15, s4 src0_sel:BYTE_0 src1_sel:DWORD
	s_mov_b64 s[4:5], -1
                                        ; implicit-def: $sgpr10
	s_and_saveexec_b64 s[8:9], s[12:13]
; %bb.2850:
	s_mov_b32 s10, 0x7f800001
	s_xor_b64 s[4:5], exec, -1
; %bb.2851:
	s_or_b64 exec, exec, s[8:9]
	s_and_b64 s[4:5], s[4:5], exec
	s_or_saveexec_b64 s[6:7], s[6:7]
	v_mov_b32_e32 v10, s10
	s_xor_b64 exec, exec, s[6:7]
	s_cbranch_execz .LBB35_802
.LBB35_2852:
	v_mov_b32_e32 v10, 0
	v_cmp_ne_u16_sdwa s[8:9], v15, v10 src0_sel:BYTE_0 src1_sel:DWORD
	s_andn2_b64 s[4:5], s[4:5], exec
	s_and_b64 s[8:9], s[8:9], exec
	s_or_b64 s[4:5], s[4:5], s[8:9]
	s_or_b64 exec, exec, s[6:7]
	s_and_saveexec_b64 s[6:7], s[4:5]
	s_cbranch_execnz .LBB35_803
	s_branch .LBB35_804
.LBB35_2853:
	s_movk_i32 s4, 0x80
	v_cmp_eq_u16_sdwa s[12:13], v11, s4 src0_sel:BYTE_0 src1_sel:DWORD
	s_mov_b64 s[4:5], -1
                                        ; implicit-def: $sgpr10
	s_and_saveexec_b64 s[8:9], s[12:13]
; %bb.2854:
	s_mov_b32 s10, 0x7f800001
	s_xor_b64 s[4:5], exec, -1
; %bb.2855:
	s_or_b64 exec, exec, s[8:9]
	s_and_b64 s[4:5], s[4:5], exec
	s_or_saveexec_b64 s[6:7], s[6:7]
	v_mov_b32_e32 v14, s10
	s_xor_b64 exec, exec, s[6:7]
	s_cbranch_execz .LBB35_806
.LBB35_2856:
	v_mov_b32_e32 v14, 0
	v_cmp_ne_u16_sdwa s[8:9], v11, v14 src0_sel:BYTE_0 src1_sel:DWORD
	s_andn2_b64 s[4:5], s[4:5], exec
	s_and_b64 s[8:9], s[8:9], exec
	s_or_b64 s[4:5], s[4:5], s[8:9]
	s_or_b64 exec, exec, s[6:7]
	s_and_saveexec_b64 s[6:7], s[4:5]
	s_cbranch_execnz .LBB35_807
	s_branch .LBB35_808
.LBB35_2857:
	s_movk_i32 s4, 0x80
	v_cmp_eq_u16_sdwa s[12:13], v14, s4 src0_sel:BYTE_0 src1_sel:DWORD
	s_mov_b64 s[4:5], -1
                                        ; implicit-def: $sgpr10
	s_and_saveexec_b64 s[8:9], s[12:13]
; %bb.2858:
	s_mov_b32 s10, 0x7f800001
	s_xor_b64 s[4:5], exec, -1
; %bb.2859:
	s_or_b64 exec, exec, s[8:9]
	s_and_b64 s[4:5], s[4:5], exec
	s_or_saveexec_b64 s[6:7], s[6:7]
	v_mov_b32_e32 v10, s10
	s_xor_b64 exec, exec, s[6:7]
	s_cbranch_execz .LBB35_810
.LBB35_2860:
	v_mov_b32_e32 v10, 0
	v_cmp_ne_u16_sdwa s[8:9], v14, v10 src0_sel:BYTE_0 src1_sel:DWORD
	s_andn2_b64 s[4:5], s[4:5], exec
	s_and_b64 s[8:9], s[8:9], exec
	s_or_b64 s[4:5], s[4:5], s[8:9]
	s_or_b64 exec, exec, s[6:7]
	s_and_saveexec_b64 s[6:7], s[4:5]
	s_cbranch_execnz .LBB35_811
	s_branch .LBB35_812
.LBB35_2861:
	s_movk_i32 s4, 0x80
	v_cmp_eq_u16_sdwa s[12:13], v14, s4 src0_sel:BYTE_0 src1_sel:DWORD
	s_mov_b64 s[4:5], -1
                                        ; implicit-def: $sgpr10
	s_and_saveexec_b64 s[8:9], s[12:13]
; %bb.2862:
	s_mov_b32 s10, 0x7f800001
	s_xor_b64 s[4:5], exec, -1
; %bb.2863:
	s_or_b64 exec, exec, s[8:9]
	s_and_b64 s[4:5], s[4:5], exec
	s_or_saveexec_b64 s[6:7], s[6:7]
	v_mov_b32_e32 v20, s10
	s_xor_b64 exec, exec, s[6:7]
	s_cbranch_execz .LBB35_814
.LBB35_2864:
	v_mov_b32_e32 v20, 0
	v_cmp_ne_u16_sdwa s[8:9], v14, v20 src0_sel:BYTE_0 src1_sel:DWORD
	s_andn2_b64 s[4:5], s[4:5], exec
	s_and_b64 s[8:9], s[8:9], exec
	s_or_b64 s[4:5], s[4:5], s[8:9]
	s_or_b64 exec, exec, s[6:7]
	s_and_saveexec_b64 s[6:7], s[4:5]
	s_cbranch_execnz .LBB35_815
	s_branch .LBB35_816
.LBB35_2865:
	s_movk_i32 s4, 0x80
	v_cmp_eq_u16_e32 vcc, s4, v14
	s_mov_b64 s[4:5], -1
                                        ; implicit-def: $sgpr10
	s_and_saveexec_b64 s[8:9], vcc
; %bb.2866:
	s_mov_b32 s10, 0x7f800001
	s_xor_b64 s[4:5], exec, -1
; %bb.2867:
	s_or_b64 exec, exec, s[8:9]
	s_and_b64 s[4:5], s[4:5], exec
                                        ; implicit-def: $vgpr14
	s_or_saveexec_b64 s[6:7], s[6:7]
	v_mov_b32_e32 v10, s10
	s_xor_b64 exec, exec, s[6:7]
	s_cbranch_execz .LBB35_818
.LBB35_2868:
	v_cmp_ne_u16_e32 vcc, 0, v14
	s_andn2_b64 s[4:5], s[4:5], exec
	s_and_b64 s[8:9], vcc, exec
	v_mov_b32_e32 v10, 0
	s_or_b64 s[4:5], s[4:5], s[8:9]
	s_or_b64 exec, exec, s[6:7]
	s_and_saveexec_b64 s[6:7], s[4:5]
	s_cbranch_execnz .LBB35_819
	s_branch .LBB35_820
.LBB35_2869:
	s_movk_i32 s4, 0x80
	v_cmp_eq_u16_e32 vcc, s4, v14
	s_mov_b64 s[4:5], -1
                                        ; implicit-def: $sgpr10
	s_and_saveexec_b64 s[8:9], vcc
; %bb.2870:
	s_mov_b32 s10, 0x7f800001
	s_xor_b64 s[4:5], exec, -1
; %bb.2871:
	s_or_b64 exec, exec, s[8:9]
	s_and_b64 s[4:5], s[4:5], exec
                                        ; implicit-def: $vgpr14
	s_or_saveexec_b64 s[6:7], s[6:7]
	v_mov_b32_e32 v20, s10
	s_xor_b64 exec, exec, s[6:7]
	s_cbranch_execz .LBB35_822
.LBB35_2872:
	v_cmp_ne_u16_e32 vcc, 0, v14
	s_andn2_b64 s[4:5], s[4:5], exec
	s_and_b64 s[8:9], vcc, exec
	v_mov_b32_e32 v20, 0
	s_or_b64 s[4:5], s[4:5], s[8:9]
	s_or_b64 exec, exec, s[6:7]
	s_and_saveexec_b64 s[6:7], s[4:5]
	s_cbranch_execnz .LBB35_823
	s_branch .LBB35_824
.LBB35_2873:
	s_movk_i32 s4, 0x80
	v_cmp_eq_u16_sdwa s[12:13], v15, s4 src0_sel:BYTE_3 src1_sel:DWORD
	s_mov_b64 s[4:5], -1
                                        ; implicit-def: $sgpr10
	s_and_saveexec_b64 s[8:9], s[12:13]
; %bb.2874:
	s_mov_b32 s10, 0x7f800001
	s_xor_b64 s[4:5], exec, -1
; %bb.2875:
	s_or_b64 exec, exec, s[8:9]
	s_and_b64 s[4:5], s[4:5], exec
	s_or_saveexec_b64 s[6:7], s[6:7]
	v_mov_b32_e32 v10, s10
	s_xor_b64 exec, exec, s[6:7]
	s_cbranch_execz .LBB35_826
.LBB35_2876:
	v_mov_b32_e32 v10, 0
	v_cmp_ne_u16_sdwa s[8:9], v15, v10 src0_sel:BYTE_3 src1_sel:DWORD
	s_andn2_b64 s[4:5], s[4:5], exec
	s_and_b64 s[8:9], s[8:9], exec
	s_or_b64 s[4:5], s[4:5], s[8:9]
	s_or_b64 exec, exec, s[6:7]
	s_and_saveexec_b64 s[6:7], s[4:5]
	s_cbranch_execnz .LBB35_827
	s_branch .LBB35_828
.LBB35_2877:
	s_movk_i32 s4, 0x80
	v_cmp_eq_u16_sdwa s[12:13], v11, s4 src0_sel:BYTE_3 src1_sel:DWORD
	s_mov_b64 s[4:5], -1
                                        ; implicit-def: $sgpr10
	s_and_saveexec_b64 s[8:9], s[12:13]
; %bb.2878:
	s_mov_b32 s10, 0x7f800001
	s_xor_b64 s[4:5], exec, -1
; %bb.2879:
	s_or_b64 exec, exec, s[8:9]
	s_and_b64 s[4:5], s[4:5], exec
	s_or_saveexec_b64 s[6:7], s[6:7]
	v_mov_b32_e32 v14, s10
	s_xor_b64 exec, exec, s[6:7]
	s_cbranch_execz .LBB35_830
.LBB35_2880:
	v_mov_b32_e32 v14, 0
	v_cmp_ne_u16_sdwa s[8:9], v11, v14 src0_sel:BYTE_3 src1_sel:DWORD
	s_andn2_b64 s[4:5], s[4:5], exec
	s_and_b64 s[8:9], s[8:9], exec
	s_or_b64 s[4:5], s[4:5], s[8:9]
	s_or_b64 exec, exec, s[6:7]
	s_and_saveexec_b64 s[6:7], s[4:5]
	s_cbranch_execnz .LBB35_831
	s_branch .LBB35_832
.LBB35_2881:
	s_movk_i32 s4, 0x80
	v_cmp_eq_u16_sdwa s[12:13], v16, s4 src0_sel:BYTE_0 src1_sel:DWORD
	s_mov_b64 s[4:5], -1
                                        ; implicit-def: $sgpr10
	s_and_saveexec_b64 s[8:9], s[12:13]
; %bb.2882:
	s_mov_b32 s10, 0x7f800001
	s_xor_b64 s[4:5], exec, -1
; %bb.2883:
	s_or_b64 exec, exec, s[8:9]
	s_and_b64 s[4:5], s[4:5], exec
	s_or_saveexec_b64 s[6:7], s[6:7]
	v_mov_b32_e32 v10, s10
	s_xor_b64 exec, exec, s[6:7]
	s_cbranch_execz .LBB35_834
.LBB35_2884:
	v_mov_b32_e32 v10, 0
	v_cmp_ne_u16_sdwa s[8:9], v16, v10 src0_sel:BYTE_0 src1_sel:DWORD
	s_andn2_b64 s[4:5], s[4:5], exec
	s_and_b64 s[8:9], s[8:9], exec
	s_or_b64 s[4:5], s[4:5], s[8:9]
	s_or_b64 exec, exec, s[6:7]
	s_and_saveexec_b64 s[6:7], s[4:5]
	s_cbranch_execnz .LBB35_835
	s_branch .LBB35_836
.LBB35_2885:
	s_movk_i32 s4, 0x80
	v_cmp_eq_u16_sdwa s[12:13], v12, s4 src0_sel:BYTE_0 src1_sel:DWORD
	s_mov_b64 s[4:5], -1
                                        ; implicit-def: $sgpr10
	s_and_saveexec_b64 s[8:9], s[12:13]
; %bb.2886:
	s_mov_b32 s10, 0x7f800001
	s_xor_b64 s[4:5], exec, -1
; %bb.2887:
	s_or_b64 exec, exec, s[8:9]
	s_and_b64 s[4:5], s[4:5], exec
	s_or_saveexec_b64 s[6:7], s[6:7]
	v_mov_b32_e32 v11, s10
	s_xor_b64 exec, exec, s[6:7]
	s_cbranch_execz .LBB35_838
.LBB35_2888:
	v_mov_b32_e32 v11, 0
	v_cmp_ne_u16_sdwa s[8:9], v12, v11 src0_sel:BYTE_0 src1_sel:DWORD
	s_andn2_b64 s[4:5], s[4:5], exec
	s_and_b64 s[8:9], s[8:9], exec
	s_or_b64 s[4:5], s[4:5], s[8:9]
	s_or_b64 exec, exec, s[6:7]
	s_and_saveexec_b64 s[6:7], s[4:5]
	s_cbranch_execnz .LBB35_839
	s_branch .LBB35_840
.LBB35_2889:
	s_movk_i32 s4, 0x80
	v_cmp_eq_u16_sdwa s[12:13], v11, s4 src0_sel:BYTE_0 src1_sel:DWORD
	s_mov_b64 s[4:5], -1
                                        ; implicit-def: $sgpr10
	s_and_saveexec_b64 s[8:9], s[12:13]
; %bb.2890:
	s_mov_b32 s10, 0x7f800001
	s_xor_b64 s[4:5], exec, -1
; %bb.2891:
	s_or_b64 exec, exec, s[8:9]
	s_and_b64 s[4:5], s[4:5], exec
	s_or_saveexec_b64 s[6:7], s[6:7]
	v_mov_b32_e32 v10, s10
	s_xor_b64 exec, exec, s[6:7]
	s_cbranch_execz .LBB35_842
.LBB35_2892:
	v_mov_b32_e32 v10, 0
	v_cmp_ne_u16_sdwa s[8:9], v11, v10 src0_sel:BYTE_0 src1_sel:DWORD
	s_andn2_b64 s[4:5], s[4:5], exec
	s_and_b64 s[8:9], s[8:9], exec
	s_or_b64 s[4:5], s[4:5], s[8:9]
	s_or_b64 exec, exec, s[6:7]
	s_and_saveexec_b64 s[6:7], s[4:5]
	s_cbranch_execnz .LBB35_843
	s_branch .LBB35_844
.LBB35_2893:
	s_movk_i32 s4, 0x80
	v_cmp_eq_u16_sdwa s[12:13], v11, s4 src0_sel:BYTE_0 src1_sel:DWORD
	s_mov_b64 s[4:5], -1
                                        ; implicit-def: $sgpr10
	s_and_saveexec_b64 s[8:9], s[12:13]
; %bb.2894:
	s_mov_b32 s10, 0x7f800001
	s_xor_b64 s[4:5], exec, -1
; %bb.2895:
	s_or_b64 exec, exec, s[8:9]
	s_and_b64 s[4:5], s[4:5], exec
	s_or_saveexec_b64 s[6:7], s[6:7]
	v_mov_b32_e32 v14, s10
	s_xor_b64 exec, exec, s[6:7]
	s_cbranch_execz .LBB35_846
.LBB35_2896:
	v_mov_b32_e32 v14, 0
	v_cmp_ne_u16_sdwa s[8:9], v11, v14 src0_sel:BYTE_0 src1_sel:DWORD
	s_andn2_b64 s[4:5], s[4:5], exec
	s_and_b64 s[8:9], s[8:9], exec
	s_or_b64 s[4:5], s[4:5], s[8:9]
	s_or_b64 exec, exec, s[6:7]
	s_and_saveexec_b64 s[6:7], s[4:5]
	s_cbranch_execnz .LBB35_847
	s_branch .LBB35_848
.LBB35_2897:
	s_movk_i32 s4, 0x80
	v_cmp_eq_u16_e32 vcc, s4, v11
	s_mov_b64 s[4:5], -1
                                        ; implicit-def: $sgpr10
	s_and_saveexec_b64 s[8:9], vcc
; %bb.2898:
	s_mov_b32 s10, 0x7f800001
	s_xor_b64 s[4:5], exec, -1
; %bb.2899:
	s_or_b64 exec, exec, s[8:9]
	s_and_b64 s[4:5], s[4:5], exec
                                        ; implicit-def: $vgpr11
	s_or_saveexec_b64 s[6:7], s[6:7]
	v_mov_b32_e32 v10, s10
	s_xor_b64 exec, exec, s[6:7]
	s_cbranch_execz .LBB35_850
.LBB35_2900:
	v_cmp_ne_u16_e32 vcc, 0, v11
	s_andn2_b64 s[4:5], s[4:5], exec
	s_and_b64 s[8:9], vcc, exec
	v_mov_b32_e32 v10, 0
	s_or_b64 s[4:5], s[4:5], s[8:9]
	s_or_b64 exec, exec, s[6:7]
	s_and_saveexec_b64 s[6:7], s[4:5]
	s_cbranch_execnz .LBB35_851
	s_branch .LBB35_852
.LBB35_2901:
	s_movk_i32 s4, 0x80
	v_cmp_eq_u16_e32 vcc, s4, v11
	s_mov_b64 s[4:5], -1
                                        ; implicit-def: $sgpr10
	s_and_saveexec_b64 s[8:9], vcc
; %bb.2902:
	s_mov_b32 s10, 0x7f800001
	s_xor_b64 s[4:5], exec, -1
; %bb.2903:
	s_or_b64 exec, exec, s[8:9]
	s_and_b64 s[4:5], s[4:5], exec
                                        ; implicit-def: $vgpr11
	s_or_saveexec_b64 s[6:7], s[6:7]
	v_mov_b32_e32 v14, s10
	s_xor_b64 exec, exec, s[6:7]
	s_cbranch_execz .LBB35_854
.LBB35_2904:
	v_cmp_ne_u16_e32 vcc, 0, v11
	s_andn2_b64 s[4:5], s[4:5], exec
	s_and_b64 s[8:9], vcc, exec
	v_mov_b32_e32 v14, 0
	s_or_b64 s[4:5], s[4:5], s[8:9]
	s_or_b64 exec, exec, s[6:7]
	s_and_saveexec_b64 s[6:7], s[4:5]
	s_cbranch_execnz .LBB35_855
	s_branch .LBB35_856
.LBB35_2905:
	s_movk_i32 s4, 0x80
	v_cmp_eq_u16_sdwa s[12:13], v16, s4 src0_sel:BYTE_3 src1_sel:DWORD
	s_mov_b64 s[4:5], -1
                                        ; implicit-def: $sgpr10
	s_and_saveexec_b64 s[8:9], s[12:13]
; %bb.2906:
	s_mov_b32 s10, 0x7f800001
	s_xor_b64 s[4:5], exec, -1
; %bb.2907:
	s_or_b64 exec, exec, s[8:9]
	s_and_b64 s[4:5], s[4:5], exec
	s_or_saveexec_b64 s[6:7], s[6:7]
	v_mov_b32_e32 v10, s10
	s_xor_b64 exec, exec, s[6:7]
	s_cbranch_execz .LBB35_858
.LBB35_2908:
	v_mov_b32_e32 v10, 0
	v_cmp_ne_u16_sdwa s[8:9], v16, v10 src0_sel:BYTE_3 src1_sel:DWORD
	s_andn2_b64 s[4:5], s[4:5], exec
	s_and_b64 s[8:9], s[8:9], exec
	s_or_b64 s[4:5], s[4:5], s[8:9]
	s_or_b64 exec, exec, s[6:7]
	s_and_saveexec_b64 s[6:7], s[4:5]
	s_cbranch_execnz .LBB35_859
	s_branch .LBB35_860
.LBB35_2909:
	s_movk_i32 s4, 0x80
	v_cmp_eq_u16_sdwa s[12:13], v12, s4 src0_sel:BYTE_3 src1_sel:DWORD
	s_mov_b64 s[4:5], -1
                                        ; implicit-def: $sgpr10
	s_and_saveexec_b64 s[8:9], s[12:13]
; %bb.2910:
	s_mov_b32 s10, 0x7f800001
	s_xor_b64 s[4:5], exec, -1
; %bb.2911:
	s_or_b64 exec, exec, s[8:9]
	s_and_b64 s[4:5], s[4:5], exec
	s_or_saveexec_b64 s[6:7], s[6:7]
	v_mov_b32_e32 v11, s10
	s_xor_b64 exec, exec, s[6:7]
	s_cbranch_execz .LBB35_862
.LBB35_2912:
	v_mov_b32_e32 v11, 0
	v_cmp_ne_u16_sdwa s[8:9], v12, v11 src0_sel:BYTE_3 src1_sel:DWORD
	s_andn2_b64 s[4:5], s[4:5], exec
	s_and_b64 s[8:9], s[8:9], exec
	s_or_b64 s[4:5], s[4:5], s[8:9]
	s_or_b64 exec, exec, s[6:7]
	s_and_saveexec_b64 s[6:7], s[4:5]
	s_cbranch_execnz .LBB35_863
	s_branch .LBB35_864
.LBB35_2913:
	s_movk_i32 s4, 0x80
	v_cmp_eq_u16_sdwa s[12:13], v17, s4 src0_sel:BYTE_0 src1_sel:DWORD
	s_mov_b64 s[4:5], -1
                                        ; implicit-def: $sgpr10
	s_and_saveexec_b64 s[8:9], s[12:13]
; %bb.2914:
	s_mov_b32 s10, 0x7f800001
	s_xor_b64 s[4:5], exec, -1
; %bb.2915:
	s_or_b64 exec, exec, s[8:9]
	s_and_b64 s[4:5], s[4:5], exec
	s_or_saveexec_b64 s[6:7], s[6:7]
	v_mov_b32_e32 v10, s10
	s_xor_b64 exec, exec, s[6:7]
	s_cbranch_execz .LBB35_866
.LBB35_2916:
	v_mov_b32_e32 v10, 0
	v_cmp_ne_u16_sdwa s[8:9], v17, v10 src0_sel:BYTE_0 src1_sel:DWORD
	s_andn2_b64 s[4:5], s[4:5], exec
	s_and_b64 s[8:9], s[8:9], exec
	s_or_b64 s[4:5], s[4:5], s[8:9]
	s_or_b64 exec, exec, s[6:7]
	s_and_saveexec_b64 s[6:7], s[4:5]
	s_cbranch_execnz .LBB35_867
	s_branch .LBB35_868
.LBB35_2917:
	s_movk_i32 s4, 0x80
	v_cmp_eq_u16_sdwa s[12:13], v13, s4 src0_sel:BYTE_0 src1_sel:DWORD
	s_mov_b64 s[4:5], -1
                                        ; implicit-def: $sgpr10
	s_and_saveexec_b64 s[8:9], s[12:13]
; %bb.2918:
	s_mov_b32 s10, 0x7f800001
	s_xor_b64 s[4:5], exec, -1
; %bb.2919:
	s_or_b64 exec, exec, s[8:9]
	s_and_b64 s[4:5], s[4:5], exec
	s_or_saveexec_b64 s[6:7], s[6:7]
	v_mov_b32_e32 v11, s10
	s_xor_b64 exec, exec, s[6:7]
	s_cbranch_execz .LBB35_870
.LBB35_2920:
	v_mov_b32_e32 v11, 0
	v_cmp_ne_u16_sdwa s[8:9], v13, v11 src0_sel:BYTE_0 src1_sel:DWORD
	s_andn2_b64 s[4:5], s[4:5], exec
	s_and_b64 s[8:9], s[8:9], exec
	s_or_b64 s[4:5], s[4:5], s[8:9]
	s_or_b64 exec, exec, s[6:7]
	s_and_saveexec_b64 s[6:7], s[4:5]
	s_cbranch_execnz .LBB35_871
	s_branch .LBB35_872
.LBB35_2921:
	s_movk_i32 s4, 0x80
	v_cmp_eq_u16_sdwa s[12:13], v11, s4 src0_sel:BYTE_0 src1_sel:DWORD
	s_mov_b64 s[4:5], -1
                                        ; implicit-def: $sgpr10
	s_and_saveexec_b64 s[8:9], s[12:13]
; %bb.2922:
	s_mov_b32 s10, 0x7f800001
	s_xor_b64 s[4:5], exec, -1
; %bb.2923:
	s_or_b64 exec, exec, s[8:9]
	s_and_b64 s[4:5], s[4:5], exec
	s_or_saveexec_b64 s[6:7], s[6:7]
	v_mov_b32_e32 v10, s10
	s_xor_b64 exec, exec, s[6:7]
	s_cbranch_execz .LBB35_874
.LBB35_2924:
	v_mov_b32_e32 v10, 0
	v_cmp_ne_u16_sdwa s[8:9], v11, v10 src0_sel:BYTE_0 src1_sel:DWORD
	s_andn2_b64 s[4:5], s[4:5], exec
	s_and_b64 s[8:9], s[8:9], exec
	s_or_b64 s[4:5], s[4:5], s[8:9]
	s_or_b64 exec, exec, s[6:7]
	s_and_saveexec_b64 s[6:7], s[4:5]
	s_cbranch_execnz .LBB35_875
	s_branch .LBB35_876
.LBB35_2925:
	s_movk_i32 s4, 0x80
	v_cmp_eq_u16_sdwa s[12:13], v11, s4 src0_sel:BYTE_0 src1_sel:DWORD
	s_mov_b64 s[4:5], -1
                                        ; implicit-def: $sgpr10
	s_and_saveexec_b64 s[8:9], s[12:13]
; %bb.2926:
	s_mov_b32 s10, 0x7f800001
	s_xor_b64 s[4:5], exec, -1
; %bb.2927:
	s_or_b64 exec, exec, s[8:9]
	s_and_b64 s[4:5], s[4:5], exec
	s_or_saveexec_b64 s[6:7], s[6:7]
	v_mov_b32_e32 v12, s10
	s_xor_b64 exec, exec, s[6:7]
	s_cbranch_execz .LBB35_878
.LBB35_2928:
	v_mov_b32_e32 v12, 0
	v_cmp_ne_u16_sdwa s[8:9], v11, v12 src0_sel:BYTE_0 src1_sel:DWORD
	s_andn2_b64 s[4:5], s[4:5], exec
	s_and_b64 s[8:9], s[8:9], exec
	s_or_b64 s[4:5], s[4:5], s[8:9]
	s_or_b64 exec, exec, s[6:7]
	s_and_saveexec_b64 s[6:7], s[4:5]
	s_cbranch_execnz .LBB35_879
	s_branch .LBB35_880
.LBB35_2929:
	s_movk_i32 s4, 0x80
	v_cmp_eq_u16_e32 vcc, s4, v11
	s_mov_b64 s[4:5], -1
                                        ; implicit-def: $sgpr10
	s_and_saveexec_b64 s[8:9], vcc
; %bb.2930:
	s_mov_b32 s10, 0x7f800001
	s_xor_b64 s[4:5], exec, -1
; %bb.2931:
	s_or_b64 exec, exec, s[8:9]
	s_and_b64 s[4:5], s[4:5], exec
                                        ; implicit-def: $vgpr11
	s_or_saveexec_b64 s[6:7], s[6:7]
	v_mov_b32_e32 v10, s10
	s_xor_b64 exec, exec, s[6:7]
	s_cbranch_execz .LBB35_882
.LBB35_2932:
	v_cmp_ne_u16_e32 vcc, 0, v11
	s_andn2_b64 s[4:5], s[4:5], exec
	s_and_b64 s[8:9], vcc, exec
	v_mov_b32_e32 v10, 0
	s_or_b64 s[4:5], s[4:5], s[8:9]
	s_or_b64 exec, exec, s[6:7]
	s_and_saveexec_b64 s[6:7], s[4:5]
	s_cbranch_execnz .LBB35_883
	s_branch .LBB35_884
.LBB35_2933:
	s_movk_i32 s4, 0x80
	v_cmp_eq_u16_e32 vcc, s4, v11
	s_mov_b64 s[4:5], -1
                                        ; implicit-def: $sgpr10
	s_and_saveexec_b64 s[8:9], vcc
; %bb.2934:
	s_mov_b32 s10, 0x7f800001
	s_xor_b64 s[4:5], exec, -1
; %bb.2935:
	s_or_b64 exec, exec, s[8:9]
	s_and_b64 s[4:5], s[4:5], exec
                                        ; implicit-def: $vgpr11
	s_or_saveexec_b64 s[6:7], s[6:7]
	v_mov_b32_e32 v12, s10
	s_xor_b64 exec, exec, s[6:7]
	s_cbranch_execz .LBB35_886
.LBB35_2936:
	v_cmp_ne_u16_e32 vcc, 0, v11
	s_andn2_b64 s[4:5], s[4:5], exec
	s_and_b64 s[8:9], vcc, exec
	v_mov_b32_e32 v12, 0
	s_or_b64 s[4:5], s[4:5], s[8:9]
	s_or_b64 exec, exec, s[6:7]
	s_and_saveexec_b64 s[6:7], s[4:5]
	s_cbranch_execnz .LBB35_887
	s_branch .LBB35_888
.LBB35_2937:
	s_movk_i32 s4, 0x80
	v_cmp_eq_u16_sdwa s[12:13], v17, s4 src0_sel:BYTE_3 src1_sel:DWORD
	s_mov_b64 s[4:5], -1
                                        ; implicit-def: $sgpr10
	s_and_saveexec_b64 s[8:9], s[12:13]
; %bb.2938:
	s_mov_b32 s10, 0x7f800001
	s_xor_b64 s[4:5], exec, -1
; %bb.2939:
	s_or_b64 exec, exec, s[8:9]
	s_and_b64 s[4:5], s[4:5], exec
	s_or_saveexec_b64 s[6:7], s[6:7]
	v_mov_b32_e32 v10, s10
	s_xor_b64 exec, exec, s[6:7]
	s_cbranch_execz .LBB35_890
.LBB35_2940:
	v_mov_b32_e32 v10, 0
	v_cmp_ne_u16_sdwa s[8:9], v17, v10 src0_sel:BYTE_3 src1_sel:DWORD
	s_andn2_b64 s[4:5], s[4:5], exec
	s_and_b64 s[8:9], s[8:9], exec
	s_or_b64 s[4:5], s[4:5], s[8:9]
	s_or_b64 exec, exec, s[6:7]
	s_and_saveexec_b64 s[6:7], s[4:5]
	s_cbranch_execnz .LBB35_891
	s_branch .LBB35_892
.LBB35_2941:
	s_movk_i32 s4, 0x80
	v_cmp_eq_u16_sdwa s[12:13], v13, s4 src0_sel:BYTE_3 src1_sel:DWORD
	s_mov_b64 s[4:5], -1
                                        ; implicit-def: $sgpr10
	s_and_saveexec_b64 s[8:9], s[12:13]
; %bb.2942:
	s_mov_b32 s10, 0x7f800001
	s_xor_b64 s[4:5], exec, -1
; %bb.2943:
	s_or_b64 exec, exec, s[8:9]
	s_and_b64 s[4:5], s[4:5], exec
	s_or_saveexec_b64 s[6:7], s[6:7]
	v_mov_b32_e32 v11, s10
	s_xor_b64 exec, exec, s[6:7]
	s_cbranch_execz .LBB35_894
.LBB35_2944:
	v_mov_b32_e32 v11, 0
	v_cmp_ne_u16_sdwa s[8:9], v13, v11 src0_sel:BYTE_3 src1_sel:DWORD
	s_andn2_b64 s[4:5], s[4:5], exec
	s_and_b64 s[8:9], s[8:9], exec
	s_or_b64 s[4:5], s[4:5], s[8:9]
	s_or_b64 exec, exec, s[6:7]
	s_and_saveexec_b64 s[6:7], s[4:5]
	s_cbranch_execnz .LBB35_895
	s_branch .LBB35_896
.LBB35_2945:
	s_movk_i32 s4, 0x80
	v_cmp_eq_u16_sdwa s[12:13], v6, s4 src0_sel:BYTE_0 src1_sel:DWORD
	s_mov_b64 s[4:5], -1
                                        ; implicit-def: $sgpr10
	s_and_saveexec_b64 s[8:9], s[12:13]
; %bb.2946:
	s_mov_b32 s10, 0x7f800001
	s_xor_b64 s[4:5], exec, -1
; %bb.2947:
	s_or_b64 exec, exec, s[8:9]
	s_and_b64 s[4:5], s[4:5], exec
	s_or_saveexec_b64 s[6:7], s[6:7]
	v_mov_b32_e32 v10, s10
	s_xor_b64 exec, exec, s[6:7]
	s_cbranch_execz .LBB35_898
.LBB35_2948:
	v_mov_b32_e32 v10, 0
	v_cmp_ne_u16_sdwa s[8:9], v6, v10 src0_sel:BYTE_0 src1_sel:DWORD
	s_andn2_b64 s[4:5], s[4:5], exec
	s_and_b64 s[8:9], s[8:9], exec
	s_or_b64 s[4:5], s[4:5], s[8:9]
	s_or_b64 exec, exec, s[6:7]
	s_and_saveexec_b64 s[6:7], s[4:5]
	s_cbranch_execnz .LBB35_899
	s_branch .LBB35_900
.LBB35_2949:
	s_movk_i32 s4, 0x80
	v_cmp_eq_u16_sdwa s[12:13], v2, s4 src0_sel:BYTE_0 src1_sel:DWORD
	s_mov_b64 s[4:5], -1
                                        ; implicit-def: $sgpr10
	s_and_saveexec_b64 s[8:9], s[12:13]
; %bb.2950:
	s_mov_b32 s10, 0x7f800001
	s_xor_b64 s[4:5], exec, -1
; %bb.2951:
	s_or_b64 exec, exec, s[8:9]
	s_and_b64 s[4:5], s[4:5], exec
	s_or_saveexec_b64 s[6:7], s[6:7]
	v_mov_b32_e32 v11, s10
	s_xor_b64 exec, exec, s[6:7]
	s_cbranch_execz .LBB35_902
.LBB35_2952:
	v_mov_b32_e32 v11, 0
	v_cmp_ne_u16_sdwa s[8:9], v2, v11 src0_sel:BYTE_0 src1_sel:DWORD
	s_andn2_b64 s[4:5], s[4:5], exec
	s_and_b64 s[8:9], s[8:9], exec
	s_or_b64 s[4:5], s[4:5], s[8:9]
	s_or_b64 exec, exec, s[6:7]
	s_and_saveexec_b64 s[6:7], s[4:5]
	s_cbranch_execnz .LBB35_903
	s_branch .LBB35_904
.LBB35_2953:
	s_movk_i32 s4, 0x80
	v_cmp_eq_u16_sdwa s[12:13], v11, s4 src0_sel:BYTE_0 src1_sel:DWORD
	s_mov_b64 s[4:5], -1
                                        ; implicit-def: $sgpr10
	s_and_saveexec_b64 s[8:9], s[12:13]
; %bb.2954:
	s_mov_b32 s10, 0x7f800001
	s_xor_b64 s[4:5], exec, -1
; %bb.2955:
	s_or_b64 exec, exec, s[8:9]
	s_and_b64 s[4:5], s[4:5], exec
	s_or_saveexec_b64 s[6:7], s[6:7]
	v_mov_b32_e32 v10, s10
	s_xor_b64 exec, exec, s[6:7]
	s_cbranch_execz .LBB35_906
.LBB35_2956:
	v_mov_b32_e32 v10, 0
	v_cmp_ne_u16_sdwa s[8:9], v11, v10 src0_sel:BYTE_0 src1_sel:DWORD
	s_andn2_b64 s[4:5], s[4:5], exec
	s_and_b64 s[8:9], s[8:9], exec
	s_or_b64 s[4:5], s[4:5], s[8:9]
	s_or_b64 exec, exec, s[6:7]
	s_and_saveexec_b64 s[6:7], s[4:5]
	s_cbranch_execnz .LBB35_907
	s_branch .LBB35_908
.LBB35_2957:
	s_movk_i32 s4, 0x80
	v_cmp_eq_u16_sdwa s[12:13], v11, s4 src0_sel:BYTE_0 src1_sel:DWORD
	s_mov_b64 s[4:5], -1
                                        ; implicit-def: $sgpr10
	s_and_saveexec_b64 s[8:9], s[12:13]
; %bb.2958:
	s_mov_b32 s10, 0x7f800001
	s_xor_b64 s[4:5], exec, -1
; %bb.2959:
	s_or_b64 exec, exec, s[8:9]
	s_and_b64 s[4:5], s[4:5], exec
	s_or_saveexec_b64 s[6:7], s[6:7]
	v_mov_b32_e32 v12, s10
	s_xor_b64 exec, exec, s[6:7]
	s_cbranch_execz .LBB35_910
.LBB35_2960:
	v_mov_b32_e32 v12, 0
	v_cmp_ne_u16_sdwa s[8:9], v11, v12 src0_sel:BYTE_0 src1_sel:DWORD
	s_andn2_b64 s[4:5], s[4:5], exec
	s_and_b64 s[8:9], s[8:9], exec
	s_or_b64 s[4:5], s[4:5], s[8:9]
	s_or_b64 exec, exec, s[6:7]
	s_and_saveexec_b64 s[6:7], s[4:5]
	s_cbranch_execnz .LBB35_911
	s_branch .LBB35_912
.LBB35_2961:
	s_movk_i32 s4, 0x80
	v_cmp_eq_u16_e32 vcc, s4, v11
	s_mov_b64 s[4:5], -1
                                        ; implicit-def: $sgpr10
	s_and_saveexec_b64 s[8:9], vcc
; %bb.2962:
	s_mov_b32 s10, 0x7f800001
	s_xor_b64 s[4:5], exec, -1
; %bb.2963:
	s_or_b64 exec, exec, s[8:9]
	s_and_b64 s[4:5], s[4:5], exec
                                        ; implicit-def: $vgpr11
	s_or_saveexec_b64 s[6:7], s[6:7]
	v_mov_b32_e32 v10, s10
	s_xor_b64 exec, exec, s[6:7]
	s_cbranch_execz .LBB35_914
.LBB35_2964:
	v_cmp_ne_u16_e32 vcc, 0, v11
	s_andn2_b64 s[4:5], s[4:5], exec
	s_and_b64 s[8:9], vcc, exec
	v_mov_b32_e32 v10, 0
	s_or_b64 s[4:5], s[4:5], s[8:9]
	s_or_b64 exec, exec, s[6:7]
	s_and_saveexec_b64 s[6:7], s[4:5]
	s_cbranch_execnz .LBB35_915
	s_branch .LBB35_916
.LBB35_2965:
	s_movk_i32 s4, 0x80
	v_cmp_eq_u16_e32 vcc, s4, v11
	s_mov_b64 s[4:5], -1
                                        ; implicit-def: $sgpr10
	s_and_saveexec_b64 s[8:9], vcc
; %bb.2966:
	s_mov_b32 s10, 0x7f800001
	s_xor_b64 s[4:5], exec, -1
; %bb.2967:
	s_or_b64 exec, exec, s[8:9]
	s_and_b64 s[4:5], s[4:5], exec
                                        ; implicit-def: $vgpr11
	s_or_saveexec_b64 s[6:7], s[6:7]
	v_mov_b32_e32 v12, s10
	s_xor_b64 exec, exec, s[6:7]
	s_cbranch_execz .LBB35_918
.LBB35_2968:
	v_cmp_ne_u16_e32 vcc, 0, v11
	s_andn2_b64 s[4:5], s[4:5], exec
	s_and_b64 s[8:9], vcc, exec
	v_mov_b32_e32 v12, 0
	s_or_b64 s[4:5], s[4:5], s[8:9]
	s_or_b64 exec, exec, s[6:7]
	s_and_saveexec_b64 s[6:7], s[4:5]
	s_cbranch_execnz .LBB35_919
	s_branch .LBB35_920
.LBB35_2969:
	s_movk_i32 s4, 0x80
	v_cmp_eq_u16_sdwa s[12:13], v6, s4 src0_sel:BYTE_3 src1_sel:DWORD
	s_mov_b64 s[4:5], -1
                                        ; implicit-def: $sgpr10
	s_and_saveexec_b64 s[8:9], s[12:13]
; %bb.2970:
	s_mov_b32 s10, 0x7f800001
	s_xor_b64 s[4:5], exec, -1
; %bb.2971:
	s_or_b64 exec, exec, s[8:9]
	s_and_b64 s[4:5], s[4:5], exec
	s_or_saveexec_b64 s[6:7], s[6:7]
	v_mov_b32_e32 v10, s10
	s_xor_b64 exec, exec, s[6:7]
	s_cbranch_execz .LBB35_922
.LBB35_2972:
	v_mov_b32_e32 v10, 0
	v_cmp_ne_u16_sdwa s[8:9], v6, v10 src0_sel:BYTE_3 src1_sel:DWORD
	s_andn2_b64 s[4:5], s[4:5], exec
	s_and_b64 s[8:9], s[8:9], exec
	s_or_b64 s[4:5], s[4:5], s[8:9]
	s_or_b64 exec, exec, s[6:7]
	s_and_saveexec_b64 s[6:7], s[4:5]
	s_cbranch_execnz .LBB35_923
	s_branch .LBB35_924
.LBB35_2973:
	s_movk_i32 s4, 0x80
	v_cmp_eq_u16_sdwa s[12:13], v2, s4 src0_sel:BYTE_3 src1_sel:DWORD
	s_mov_b64 s[4:5], -1
                                        ; implicit-def: $sgpr10
	s_and_saveexec_b64 s[8:9], s[12:13]
; %bb.2974:
	s_mov_b32 s10, 0x7f800001
	s_xor_b64 s[4:5], exec, -1
; %bb.2975:
	s_or_b64 exec, exec, s[8:9]
	s_and_b64 s[4:5], s[4:5], exec
	s_or_saveexec_b64 s[6:7], s[6:7]
	v_mov_b32_e32 v6, s10
	s_xor_b64 exec, exec, s[6:7]
	s_cbranch_execz .LBB35_926
.LBB35_2976:
	v_mov_b32_e32 v6, 0
	v_cmp_ne_u16_sdwa s[8:9], v2, v6 src0_sel:BYTE_3 src1_sel:DWORD
	s_andn2_b64 s[4:5], s[4:5], exec
	s_and_b64 s[8:9], s[8:9], exec
	s_or_b64 s[4:5], s[4:5], s[8:9]
	s_or_b64 exec, exec, s[6:7]
	s_and_saveexec_b64 s[6:7], s[4:5]
	s_cbranch_execnz .LBB35_927
	s_branch .LBB35_928
.LBB35_2977:
	s_movk_i32 s4, 0x80
	v_cmp_eq_u16_sdwa s[12:13], v7, s4 src0_sel:BYTE_0 src1_sel:DWORD
	s_mov_b64 s[4:5], -1
                                        ; implicit-def: $sgpr10
	s_and_saveexec_b64 s[8:9], s[12:13]
; %bb.2978:
	s_mov_b32 s10, 0x7f800001
	s_xor_b64 s[4:5], exec, -1
; %bb.2979:
	s_or_b64 exec, exec, s[8:9]
	s_and_b64 s[4:5], s[4:5], exec
	s_or_saveexec_b64 s[6:7], s[6:7]
	v_mov_b32_e32 v2, s10
	s_xor_b64 exec, exec, s[6:7]
	s_cbranch_execz .LBB35_930
.LBB35_2980:
	v_mov_b32_e32 v2, 0
	v_cmp_ne_u16_sdwa s[8:9], v7, v2 src0_sel:BYTE_0 src1_sel:DWORD
	s_andn2_b64 s[4:5], s[4:5], exec
	s_and_b64 s[8:9], s[8:9], exec
	s_or_b64 s[4:5], s[4:5], s[8:9]
	s_or_b64 exec, exec, s[6:7]
	s_and_saveexec_b64 s[6:7], s[4:5]
	s_cbranch_execnz .LBB35_931
	s_branch .LBB35_932
.LBB35_2981:
	s_movk_i32 s4, 0x80
	v_cmp_eq_u16_sdwa s[12:13], v3, s4 src0_sel:BYTE_0 src1_sel:DWORD
	s_mov_b64 s[4:5], -1
                                        ; implicit-def: $sgpr10
	s_and_saveexec_b64 s[8:9], s[12:13]
; %bb.2982:
	s_mov_b32 s10, 0x7f800001
	s_xor_b64 s[4:5], exec, -1
; %bb.2983:
	s_or_b64 exec, exec, s[8:9]
	s_and_b64 s[4:5], s[4:5], exec
	s_or_saveexec_b64 s[6:7], s[6:7]
	v_mov_b32_e32 v6, s10
	s_xor_b64 exec, exec, s[6:7]
	s_cbranch_execz .LBB35_934
.LBB35_2984:
	v_mov_b32_e32 v6, 0
	v_cmp_ne_u16_sdwa s[8:9], v3, v6 src0_sel:BYTE_0 src1_sel:DWORD
	s_andn2_b64 s[4:5], s[4:5], exec
	s_and_b64 s[8:9], s[8:9], exec
	s_or_b64 s[4:5], s[4:5], s[8:9]
	s_or_b64 exec, exec, s[6:7]
	s_and_saveexec_b64 s[6:7], s[4:5]
	s_cbranch_execnz .LBB35_935
	s_branch .LBB35_936
.LBB35_2985:
	s_movk_i32 s4, 0x80
	v_cmp_eq_u16_sdwa s[12:13], v6, s4 src0_sel:BYTE_0 src1_sel:DWORD
	s_mov_b64 s[4:5], -1
                                        ; implicit-def: $sgpr10
	s_and_saveexec_b64 s[8:9], s[12:13]
; %bb.2986:
	s_mov_b32 s10, 0x7f800001
	s_xor_b64 s[4:5], exec, -1
; %bb.2987:
	s_or_b64 exec, exec, s[8:9]
	s_and_b64 s[4:5], s[4:5], exec
	s_or_saveexec_b64 s[6:7], s[6:7]
	v_mov_b32_e32 v2, s10
	s_xor_b64 exec, exec, s[6:7]
	s_cbranch_execz .LBB35_938
.LBB35_2988:
	v_mov_b32_e32 v2, 0
	v_cmp_ne_u16_sdwa s[8:9], v6, v2 src0_sel:BYTE_0 src1_sel:DWORD
	s_andn2_b64 s[4:5], s[4:5], exec
	s_and_b64 s[8:9], s[8:9], exec
	s_or_b64 s[4:5], s[4:5], s[8:9]
	s_or_b64 exec, exec, s[6:7]
	s_and_saveexec_b64 s[6:7], s[4:5]
	s_cbranch_execnz .LBB35_939
	s_branch .LBB35_940
.LBB35_2989:
	s_movk_i32 s4, 0x80
	v_cmp_eq_u16_sdwa s[12:13], v6, s4 src0_sel:BYTE_0 src1_sel:DWORD
	s_mov_b64 s[4:5], -1
                                        ; implicit-def: $sgpr10
	s_and_saveexec_b64 s[8:9], s[12:13]
; %bb.2990:
	s_mov_b32 s10, 0x7f800001
	s_xor_b64 s[4:5], exec, -1
; %bb.2991:
	s_or_b64 exec, exec, s[8:9]
	s_and_b64 s[4:5], s[4:5], exec
	s_or_saveexec_b64 s[6:7], s[6:7]
	v_mov_b32_e32 v10, s10
	s_xor_b64 exec, exec, s[6:7]
	s_cbranch_execz .LBB35_942
.LBB35_2992:
	v_mov_b32_e32 v10, 0
	v_cmp_ne_u16_sdwa s[8:9], v6, v10 src0_sel:BYTE_0 src1_sel:DWORD
	s_andn2_b64 s[4:5], s[4:5], exec
	s_and_b64 s[8:9], s[8:9], exec
	s_or_b64 s[4:5], s[4:5], s[8:9]
	s_or_b64 exec, exec, s[6:7]
	s_and_saveexec_b64 s[6:7], s[4:5]
	s_cbranch_execnz .LBB35_943
	s_branch .LBB35_944
.LBB35_2993:
	s_movk_i32 s4, 0x80
	v_cmp_eq_u16_e32 vcc, s4, v6
	s_mov_b64 s[4:5], -1
                                        ; implicit-def: $sgpr10
	s_and_saveexec_b64 s[8:9], vcc
; %bb.2994:
	s_mov_b32 s10, 0x7f800001
	s_xor_b64 s[4:5], exec, -1
; %bb.2995:
	s_or_b64 exec, exec, s[8:9]
	s_and_b64 s[4:5], s[4:5], exec
                                        ; implicit-def: $vgpr6
	s_or_saveexec_b64 s[6:7], s[6:7]
	v_mov_b32_e32 v2, s10
	s_xor_b64 exec, exec, s[6:7]
	s_cbranch_execz .LBB35_946
.LBB35_2996:
	v_cmp_ne_u16_e32 vcc, 0, v6
	s_andn2_b64 s[4:5], s[4:5], exec
	s_and_b64 s[8:9], vcc, exec
	v_mov_b32_e32 v2, 0
	s_or_b64 s[4:5], s[4:5], s[8:9]
	s_or_b64 exec, exec, s[6:7]
	s_and_saveexec_b64 s[6:7], s[4:5]
	s_cbranch_execnz .LBB35_947
	s_branch .LBB35_948
.LBB35_2997:
	s_movk_i32 s4, 0x80
	v_cmp_eq_u16_e32 vcc, s4, v6
	s_mov_b64 s[4:5], -1
                                        ; implicit-def: $sgpr10
	s_and_saveexec_b64 s[8:9], vcc
; %bb.2998:
	s_mov_b32 s10, 0x7f800001
	s_xor_b64 s[4:5], exec, -1
; %bb.2999:
	s_or_b64 exec, exec, s[8:9]
	s_and_b64 s[4:5], s[4:5], exec
                                        ; implicit-def: $vgpr6
	s_or_saveexec_b64 s[6:7], s[6:7]
	v_mov_b32_e32 v10, s10
	s_xor_b64 exec, exec, s[6:7]
	s_cbranch_execz .LBB35_950
.LBB35_3000:
	v_cmp_ne_u16_e32 vcc, 0, v6
	s_andn2_b64 s[4:5], s[4:5], exec
	s_and_b64 s[8:9], vcc, exec
	v_mov_b32_e32 v10, 0
	s_or_b64 s[4:5], s[4:5], s[8:9]
	s_or_b64 exec, exec, s[6:7]
	s_and_saveexec_b64 s[6:7], s[4:5]
	s_cbranch_execnz .LBB35_951
	s_branch .LBB35_952
.LBB35_3001:
	s_movk_i32 s4, 0x80
	v_cmp_eq_u16_sdwa s[12:13], v7, s4 src0_sel:BYTE_3 src1_sel:DWORD
	s_mov_b64 s[4:5], -1
                                        ; implicit-def: $sgpr10
	s_and_saveexec_b64 s[8:9], s[12:13]
; %bb.3002:
	s_mov_b32 s10, 0x7f800001
	s_xor_b64 s[4:5], exec, -1
; %bb.3003:
	s_or_b64 exec, exec, s[8:9]
	s_and_b64 s[4:5], s[4:5], exec
	s_or_saveexec_b64 s[6:7], s[6:7]
	v_mov_b32_e32 v2, s10
	s_xor_b64 exec, exec, s[6:7]
	s_cbranch_execz .LBB35_954
.LBB35_3004:
	v_mov_b32_e32 v2, 0
	v_cmp_ne_u16_sdwa s[8:9], v7, v2 src0_sel:BYTE_3 src1_sel:DWORD
	s_andn2_b64 s[4:5], s[4:5], exec
	s_and_b64 s[8:9], s[8:9], exec
	s_or_b64 s[4:5], s[4:5], s[8:9]
	s_or_b64 exec, exec, s[6:7]
	s_and_saveexec_b64 s[6:7], s[4:5]
	s_cbranch_execnz .LBB35_955
	s_branch .LBB35_956
.LBB35_3005:
	s_movk_i32 s4, 0x80
	v_cmp_eq_u16_sdwa s[12:13], v3, s4 src0_sel:BYTE_3 src1_sel:DWORD
	s_mov_b64 s[4:5], -1
                                        ; implicit-def: $sgpr10
	s_and_saveexec_b64 s[8:9], s[12:13]
; %bb.3006:
	s_mov_b32 s10, 0x7f800001
	s_xor_b64 s[4:5], exec, -1
; %bb.3007:
	s_or_b64 exec, exec, s[8:9]
	s_and_b64 s[4:5], s[4:5], exec
	s_or_saveexec_b64 s[6:7], s[6:7]
	v_mov_b32_e32 v6, s10
	s_xor_b64 exec, exec, s[6:7]
	s_cbranch_execz .LBB35_958
.LBB35_3008:
	v_mov_b32_e32 v6, 0
	v_cmp_ne_u16_sdwa s[8:9], v3, v6 src0_sel:BYTE_3 src1_sel:DWORD
	s_andn2_b64 s[4:5], s[4:5], exec
	s_and_b64 s[8:9], s[8:9], exec
	s_or_b64 s[4:5], s[4:5], s[8:9]
	s_or_b64 exec, exec, s[6:7]
	s_and_saveexec_b64 s[6:7], s[4:5]
	s_cbranch_execnz .LBB35_959
	s_branch .LBB35_960
.LBB35_3009:
	s_movk_i32 s4, 0x80
	v_cmp_eq_u16_sdwa s[12:13], v8, s4 src0_sel:BYTE_0 src1_sel:DWORD
	s_mov_b64 s[4:5], -1
                                        ; implicit-def: $sgpr10
	s_and_saveexec_b64 s[8:9], s[12:13]
; %bb.3010:
	s_mov_b32 s10, 0x7f800001
	s_xor_b64 s[4:5], exec, -1
; %bb.3011:
	s_or_b64 exec, exec, s[8:9]
	s_and_b64 s[4:5], s[4:5], exec
	s_or_saveexec_b64 s[6:7], s[6:7]
	v_mov_b32_e32 v2, s10
	s_xor_b64 exec, exec, s[6:7]
	s_cbranch_execz .LBB35_962
.LBB35_3012:
	v_mov_b32_e32 v2, 0
	v_cmp_ne_u16_sdwa s[8:9], v8, v2 src0_sel:BYTE_0 src1_sel:DWORD
	s_andn2_b64 s[4:5], s[4:5], exec
	s_and_b64 s[8:9], s[8:9], exec
	s_or_b64 s[4:5], s[4:5], s[8:9]
	s_or_b64 exec, exec, s[6:7]
	s_and_saveexec_b64 s[6:7], s[4:5]
	s_cbranch_execnz .LBB35_963
	s_branch .LBB35_964
.LBB35_3013:
	s_movk_i32 s4, 0x80
	v_cmp_eq_u16_sdwa s[12:13], v4, s4 src0_sel:BYTE_0 src1_sel:DWORD
	s_mov_b64 s[4:5], -1
                                        ; implicit-def: $sgpr10
	s_and_saveexec_b64 s[8:9], s[12:13]
; %bb.3014:
	s_mov_b32 s10, 0x7f800001
	s_xor_b64 s[4:5], exec, -1
; %bb.3015:
	s_or_b64 exec, exec, s[8:9]
	s_and_b64 s[4:5], s[4:5], exec
	s_or_saveexec_b64 s[6:7], s[6:7]
	v_mov_b32_e32 v3, s10
	s_xor_b64 exec, exec, s[6:7]
	s_cbranch_execz .LBB35_966
.LBB35_3016:
	v_mov_b32_e32 v3, 0
	v_cmp_ne_u16_sdwa s[8:9], v4, v3 src0_sel:BYTE_0 src1_sel:DWORD
	s_andn2_b64 s[4:5], s[4:5], exec
	s_and_b64 s[8:9], s[8:9], exec
	s_or_b64 s[4:5], s[4:5], s[8:9]
	s_or_b64 exec, exec, s[6:7]
	s_and_saveexec_b64 s[6:7], s[4:5]
	s_cbranch_execnz .LBB35_967
	s_branch .LBB35_968
.LBB35_3017:
	s_movk_i32 s4, 0x80
	v_cmp_eq_u16_sdwa s[12:13], v3, s4 src0_sel:BYTE_0 src1_sel:DWORD
	s_mov_b64 s[4:5], -1
                                        ; implicit-def: $sgpr10
	s_and_saveexec_b64 s[8:9], s[12:13]
; %bb.3018:
	s_mov_b32 s10, 0x7f800001
	s_xor_b64 s[4:5], exec, -1
; %bb.3019:
	s_or_b64 exec, exec, s[8:9]
	s_and_b64 s[4:5], s[4:5], exec
	s_or_saveexec_b64 s[6:7], s[6:7]
	v_mov_b32_e32 v2, s10
	s_xor_b64 exec, exec, s[6:7]
	s_cbranch_execz .LBB35_970
.LBB35_3020:
	v_mov_b32_e32 v2, 0
	v_cmp_ne_u16_sdwa s[8:9], v3, v2 src0_sel:BYTE_0 src1_sel:DWORD
	s_andn2_b64 s[4:5], s[4:5], exec
	s_and_b64 s[8:9], s[8:9], exec
	s_or_b64 s[4:5], s[4:5], s[8:9]
	s_or_b64 exec, exec, s[6:7]
	s_and_saveexec_b64 s[6:7], s[4:5]
	s_cbranch_execnz .LBB35_971
	s_branch .LBB35_972
.LBB35_3021:
	s_movk_i32 s4, 0x80
	v_cmp_eq_u16_sdwa s[12:13], v3, s4 src0_sel:BYTE_0 src1_sel:DWORD
	s_mov_b64 s[4:5], -1
                                        ; implicit-def: $sgpr10
	s_and_saveexec_b64 s[8:9], s[12:13]
; %bb.3022:
	s_mov_b32 s10, 0x7f800001
	s_xor_b64 s[4:5], exec, -1
; %bb.3023:
	s_or_b64 exec, exec, s[8:9]
	s_and_b64 s[4:5], s[4:5], exec
	s_or_saveexec_b64 s[6:7], s[6:7]
	v_mov_b32_e32 v6, s10
	s_xor_b64 exec, exec, s[6:7]
	s_cbranch_execz .LBB35_974
.LBB35_3024:
	v_mov_b32_e32 v6, 0
	v_cmp_ne_u16_sdwa s[8:9], v3, v6 src0_sel:BYTE_0 src1_sel:DWORD
	s_andn2_b64 s[4:5], s[4:5], exec
	s_and_b64 s[8:9], s[8:9], exec
	s_or_b64 s[4:5], s[4:5], s[8:9]
	s_or_b64 exec, exec, s[6:7]
	s_and_saveexec_b64 s[6:7], s[4:5]
	s_cbranch_execnz .LBB35_975
	s_branch .LBB35_976
.LBB35_3025:
	s_movk_i32 s4, 0x80
	v_cmp_eq_u16_e32 vcc, s4, v3
	s_mov_b64 s[4:5], -1
                                        ; implicit-def: $sgpr10
	s_and_saveexec_b64 s[8:9], vcc
; %bb.3026:
	s_mov_b32 s10, 0x7f800001
	s_xor_b64 s[4:5], exec, -1
; %bb.3027:
	s_or_b64 exec, exec, s[8:9]
	s_and_b64 s[4:5], s[4:5], exec
                                        ; implicit-def: $vgpr3
	s_or_saveexec_b64 s[6:7], s[6:7]
	v_mov_b32_e32 v2, s10
	s_xor_b64 exec, exec, s[6:7]
	s_cbranch_execz .LBB35_978
.LBB35_3028:
	v_cmp_ne_u16_e32 vcc, 0, v3
	s_andn2_b64 s[4:5], s[4:5], exec
	s_and_b64 s[8:9], vcc, exec
	v_mov_b32_e32 v2, 0
	s_or_b64 s[4:5], s[4:5], s[8:9]
	s_or_b64 exec, exec, s[6:7]
	s_and_saveexec_b64 s[6:7], s[4:5]
	s_cbranch_execnz .LBB35_979
	s_branch .LBB35_980
.LBB35_3029:
	s_movk_i32 s4, 0x80
	v_cmp_eq_u16_e32 vcc, s4, v3
	s_mov_b64 s[4:5], -1
                                        ; implicit-def: $sgpr10
	s_and_saveexec_b64 s[8:9], vcc
; %bb.3030:
	s_mov_b32 s10, 0x7f800001
	s_xor_b64 s[4:5], exec, -1
; %bb.3031:
	s_or_b64 exec, exec, s[8:9]
	s_and_b64 s[4:5], s[4:5], exec
                                        ; implicit-def: $vgpr3
	s_or_saveexec_b64 s[6:7], s[6:7]
	v_mov_b32_e32 v6, s10
	s_xor_b64 exec, exec, s[6:7]
	s_cbranch_execz .LBB35_982
.LBB35_3032:
	v_cmp_ne_u16_e32 vcc, 0, v3
	s_andn2_b64 s[4:5], s[4:5], exec
	s_and_b64 s[8:9], vcc, exec
	v_mov_b32_e32 v6, 0
	s_or_b64 s[4:5], s[4:5], s[8:9]
	s_or_b64 exec, exec, s[6:7]
	s_and_saveexec_b64 s[6:7], s[4:5]
	s_cbranch_execnz .LBB35_983
	s_branch .LBB35_984
.LBB35_3033:
	s_movk_i32 s4, 0x80
	v_cmp_eq_u16_sdwa s[12:13], v8, s4 src0_sel:BYTE_3 src1_sel:DWORD
	s_mov_b64 s[4:5], -1
                                        ; implicit-def: $sgpr10
	s_and_saveexec_b64 s[8:9], s[12:13]
; %bb.3034:
	s_mov_b32 s10, 0x7f800001
	s_xor_b64 s[4:5], exec, -1
; %bb.3035:
	s_or_b64 exec, exec, s[8:9]
	s_and_b64 s[4:5], s[4:5], exec
	s_or_saveexec_b64 s[6:7], s[6:7]
	v_mov_b32_e32 v2, s10
	s_xor_b64 exec, exec, s[6:7]
	s_cbranch_execz .LBB35_986
.LBB35_3036:
	v_mov_b32_e32 v2, 0
	v_cmp_ne_u16_sdwa s[8:9], v8, v2 src0_sel:BYTE_3 src1_sel:DWORD
	s_andn2_b64 s[4:5], s[4:5], exec
	s_and_b64 s[8:9], s[8:9], exec
	s_or_b64 s[4:5], s[4:5], s[8:9]
	s_or_b64 exec, exec, s[6:7]
	s_and_saveexec_b64 s[6:7], s[4:5]
	s_cbranch_execnz .LBB35_987
	s_branch .LBB35_988
.LBB35_3037:
	s_movk_i32 s4, 0x80
	v_cmp_eq_u16_sdwa s[12:13], v4, s4 src0_sel:BYTE_3 src1_sel:DWORD
	s_mov_b64 s[4:5], -1
                                        ; implicit-def: $sgpr10
	s_and_saveexec_b64 s[8:9], s[12:13]
; %bb.3038:
	s_mov_b32 s10, 0x7f800001
	s_xor_b64 s[4:5], exec, -1
; %bb.3039:
	s_or_b64 exec, exec, s[8:9]
	s_and_b64 s[4:5], s[4:5], exec
	s_or_saveexec_b64 s[6:7], s[6:7]
	v_mov_b32_e32 v3, s10
	s_xor_b64 exec, exec, s[6:7]
	s_cbranch_execz .LBB35_990
.LBB35_3040:
	v_mov_b32_e32 v3, 0
	v_cmp_ne_u16_sdwa s[8:9], v4, v3 src0_sel:BYTE_3 src1_sel:DWORD
	s_andn2_b64 s[4:5], s[4:5], exec
	s_and_b64 s[8:9], s[8:9], exec
	s_or_b64 s[4:5], s[4:5], s[8:9]
	s_or_b64 exec, exec, s[6:7]
	s_and_saveexec_b64 s[6:7], s[4:5]
	s_cbranch_execnz .LBB35_991
	s_branch .LBB35_992
.LBB35_3041:
	s_movk_i32 s4, 0x80
	v_cmp_eq_u16_sdwa s[12:13], v9, s4 src0_sel:BYTE_0 src1_sel:DWORD
	s_mov_b64 s[4:5], -1
                                        ; implicit-def: $sgpr10
	s_and_saveexec_b64 s[8:9], s[12:13]
; %bb.3042:
	s_mov_b32 s10, 0x7f800001
	s_xor_b64 s[4:5], exec, -1
; %bb.3043:
	s_or_b64 exec, exec, s[8:9]
	s_and_b64 s[4:5], s[4:5], exec
	s_or_saveexec_b64 s[6:7], s[6:7]
	v_mov_b32_e32 v2, s10
	s_xor_b64 exec, exec, s[6:7]
	s_cbranch_execz .LBB35_994
.LBB35_3044:
	v_mov_b32_e32 v2, 0
	v_cmp_ne_u16_sdwa s[8:9], v9, v2 src0_sel:BYTE_0 src1_sel:DWORD
	s_andn2_b64 s[4:5], s[4:5], exec
	s_and_b64 s[8:9], s[8:9], exec
	s_or_b64 s[4:5], s[4:5], s[8:9]
	s_or_b64 exec, exec, s[6:7]
	s_and_saveexec_b64 s[6:7], s[4:5]
	s_cbranch_execnz .LBB35_995
	s_branch .LBB35_996
.LBB35_3045:
	s_movk_i32 s4, 0x80
	v_cmp_eq_u16_sdwa s[12:13], v5, s4 src0_sel:BYTE_0 src1_sel:DWORD
	s_mov_b64 s[4:5], -1
                                        ; implicit-def: $sgpr10
	s_and_saveexec_b64 s[8:9], s[12:13]
; %bb.3046:
	s_mov_b32 s10, 0x7f800001
	s_xor_b64 s[4:5], exec, -1
; %bb.3047:
	s_or_b64 exec, exec, s[8:9]
	s_and_b64 s[4:5], s[4:5], exec
	s_or_saveexec_b64 s[6:7], s[6:7]
	v_mov_b32_e32 v3, s10
	s_xor_b64 exec, exec, s[6:7]
	s_cbranch_execz .LBB35_998
.LBB35_3048:
	v_mov_b32_e32 v3, 0
	v_cmp_ne_u16_sdwa s[8:9], v5, v3 src0_sel:BYTE_0 src1_sel:DWORD
	s_andn2_b64 s[4:5], s[4:5], exec
	s_and_b64 s[8:9], s[8:9], exec
	s_or_b64 s[4:5], s[4:5], s[8:9]
	s_or_b64 exec, exec, s[6:7]
	s_and_saveexec_b64 s[6:7], s[4:5]
	s_cbranch_execnz .LBB35_999
	s_branch .LBB35_1000
.LBB35_3049:
	s_movk_i32 s4, 0x80
	v_cmp_eq_u16_sdwa s[12:13], v3, s4 src0_sel:BYTE_0 src1_sel:DWORD
	s_mov_b64 s[4:5], -1
                                        ; implicit-def: $sgpr10
	s_and_saveexec_b64 s[8:9], s[12:13]
; %bb.3050:
	s_mov_b32 s10, 0x7f800001
	s_xor_b64 s[4:5], exec, -1
; %bb.3051:
	s_or_b64 exec, exec, s[8:9]
	s_and_b64 s[4:5], s[4:5], exec
	s_or_saveexec_b64 s[6:7], s[6:7]
	v_mov_b32_e32 v2, s10
	s_xor_b64 exec, exec, s[6:7]
	s_cbranch_execz .LBB35_1002
.LBB35_3052:
	v_mov_b32_e32 v2, 0
	v_cmp_ne_u16_sdwa s[8:9], v3, v2 src0_sel:BYTE_0 src1_sel:DWORD
	s_andn2_b64 s[4:5], s[4:5], exec
	s_and_b64 s[8:9], s[8:9], exec
	s_or_b64 s[4:5], s[4:5], s[8:9]
	s_or_b64 exec, exec, s[6:7]
	s_and_saveexec_b64 s[6:7], s[4:5]
	s_cbranch_execnz .LBB35_1003
	s_branch .LBB35_1004
.LBB35_3053:
	s_movk_i32 s4, 0x80
	v_cmp_eq_u16_sdwa s[12:13], v3, s4 src0_sel:BYTE_0 src1_sel:DWORD
	s_mov_b64 s[4:5], -1
                                        ; implicit-def: $sgpr10
	s_and_saveexec_b64 s[8:9], s[12:13]
; %bb.3054:
	s_mov_b32 s10, 0x7f800001
	s_xor_b64 s[4:5], exec, -1
; %bb.3055:
	s_or_b64 exec, exec, s[8:9]
	s_and_b64 s[4:5], s[4:5], exec
	s_or_saveexec_b64 s[6:7], s[6:7]
	v_mov_b32_e32 v4, s10
	s_xor_b64 exec, exec, s[6:7]
	s_cbranch_execz .LBB35_1006
.LBB35_3056:
	v_mov_b32_e32 v4, 0
	v_cmp_ne_u16_sdwa s[8:9], v3, v4 src0_sel:BYTE_0 src1_sel:DWORD
	s_andn2_b64 s[4:5], s[4:5], exec
	s_and_b64 s[8:9], s[8:9], exec
	s_or_b64 s[4:5], s[4:5], s[8:9]
	s_or_b64 exec, exec, s[6:7]
	s_and_saveexec_b64 s[6:7], s[4:5]
	s_cbranch_execnz .LBB35_1007
	s_branch .LBB35_1008
.LBB35_3057:
	s_movk_i32 s4, 0x80
	v_cmp_eq_u16_e32 vcc, s4, v3
	s_mov_b64 s[4:5], -1
                                        ; implicit-def: $sgpr10
	s_and_saveexec_b64 s[8:9], vcc
; %bb.3058:
	s_mov_b32 s10, 0x7f800001
	s_xor_b64 s[4:5], exec, -1
; %bb.3059:
	s_or_b64 exec, exec, s[8:9]
	s_and_b64 s[4:5], s[4:5], exec
                                        ; implicit-def: $vgpr3
	s_or_saveexec_b64 s[6:7], s[6:7]
	v_mov_b32_e32 v2, s10
	s_xor_b64 exec, exec, s[6:7]
	s_cbranch_execz .LBB35_1010
.LBB35_3060:
	v_cmp_ne_u16_e32 vcc, 0, v3
	s_andn2_b64 s[4:5], s[4:5], exec
	s_and_b64 s[8:9], vcc, exec
	v_mov_b32_e32 v2, 0
	s_or_b64 s[4:5], s[4:5], s[8:9]
	s_or_b64 exec, exec, s[6:7]
	s_and_saveexec_b64 s[6:7], s[4:5]
	s_cbranch_execnz .LBB35_1011
	s_branch .LBB35_1012
.LBB35_3061:
	s_movk_i32 s4, 0x80
	v_cmp_eq_u16_e32 vcc, s4, v3
	s_mov_b64 s[4:5], -1
                                        ; implicit-def: $sgpr10
	s_and_saveexec_b64 s[8:9], vcc
; %bb.3062:
	s_mov_b32 s10, 0x7f800001
	s_xor_b64 s[4:5], exec, -1
; %bb.3063:
	s_or_b64 exec, exec, s[8:9]
	s_and_b64 s[4:5], s[4:5], exec
                                        ; implicit-def: $vgpr3
	s_or_saveexec_b64 s[6:7], s[6:7]
	v_mov_b32_e32 v4, s10
	s_xor_b64 exec, exec, s[6:7]
	s_cbranch_execz .LBB35_1014
.LBB35_3064:
	v_cmp_ne_u16_e32 vcc, 0, v3
	s_andn2_b64 s[4:5], s[4:5], exec
	s_and_b64 s[8:9], vcc, exec
	v_mov_b32_e32 v4, 0
	s_or_b64 s[4:5], s[4:5], s[8:9]
	s_or_b64 exec, exec, s[6:7]
	s_and_saveexec_b64 s[6:7], s[4:5]
	s_cbranch_execnz .LBB35_1015
	s_branch .LBB35_1016
.LBB35_3065:
	s_movk_i32 s4, 0x80
	v_cmp_eq_u16_sdwa s[12:13], v9, s4 src0_sel:BYTE_3 src1_sel:DWORD
	s_mov_b64 s[4:5], -1
                                        ; implicit-def: $sgpr10
	s_and_saveexec_b64 s[8:9], s[12:13]
; %bb.3066:
	s_mov_b32 s10, 0x7f800001
	s_xor_b64 s[4:5], exec, -1
; %bb.3067:
	s_or_b64 exec, exec, s[8:9]
	s_and_b64 s[4:5], s[4:5], exec
	s_or_saveexec_b64 s[6:7], s[6:7]
	v_mov_b32_e32 v2, s10
	s_xor_b64 exec, exec, s[6:7]
	s_cbranch_execz .LBB35_1018
.LBB35_3068:
	v_mov_b32_e32 v2, 0
	v_cmp_ne_u16_sdwa s[8:9], v9, v2 src0_sel:BYTE_3 src1_sel:DWORD
	s_andn2_b64 s[4:5], s[4:5], exec
	s_and_b64 s[8:9], s[8:9], exec
	s_or_b64 s[4:5], s[4:5], s[8:9]
	s_or_b64 exec, exec, s[6:7]
	s_and_saveexec_b64 s[6:7], s[4:5]
	s_cbranch_execnz .LBB35_1019
	s_branch .LBB35_1020
.LBB35_3069:
	s_movk_i32 s4, 0x80
	v_cmp_eq_u16_sdwa s[12:13], v5, s4 src0_sel:BYTE_3 src1_sel:DWORD
	s_mov_b64 s[4:5], -1
                                        ; implicit-def: $sgpr10
	s_and_saveexec_b64 s[8:9], s[12:13]
; %bb.3070:
	s_mov_b32 s10, 0x7f800001
	s_xor_b64 s[4:5], exec, -1
; %bb.3071:
	s_or_b64 exec, exec, s[8:9]
	s_and_b64 s[4:5], s[4:5], exec
	s_or_saveexec_b64 s[6:7], s[6:7]
	v_mov_b32_e32 v3, s10
	s_xor_b64 exec, exec, s[6:7]
	s_cbranch_execz .LBB35_1022
.LBB35_3072:
	v_mov_b32_e32 v3, 0
	v_cmp_ne_u16_sdwa s[8:9], v5, v3 src0_sel:BYTE_3 src1_sel:DWORD
	s_andn2_b64 s[4:5], s[4:5], exec
	s_and_b64 s[8:9], s[8:9], exec
	s_or_b64 s[4:5], s[4:5], s[8:9]
	s_or_b64 exec, exec, s[6:7]
	s_and_saveexec_b64 s[6:7], s[4:5]
	s_cbranch_execnz .LBB35_1023
	s_branch .LBB35_1024
.LBB35_3073:
	s_movk_i32 s4, 0x80
	v_cmp_eq_u16_sdwa s[12:13], v14, s4 src0_sel:BYTE_0 src1_sel:DWORD
	s_mov_b64 s[4:5], -1
                                        ; implicit-def: $sgpr10
	s_and_saveexec_b64 s[8:9], s[12:13]
; %bb.3074:
	s_mov_b32 s10, 0x7f800001
	s_xor_b64 s[4:5], exec, -1
; %bb.3075:
	s_or_b64 exec, exec, s[8:9]
	s_and_b64 s[4:5], s[4:5], exec
	s_or_saveexec_b64 s[6:7], s[6:7]
	v_mov_b32_e32 v20, s10
	s_xor_b64 exec, exec, s[6:7]
	s_cbranch_execz .LBB35_1026
.LBB35_3076:
	v_mov_b32_e32 v20, 0
	v_cmp_ne_u16_sdwa s[8:9], v14, v20 src0_sel:BYTE_0 src1_sel:DWORD
	s_andn2_b64 s[4:5], s[4:5], exec
	s_and_b64 s[8:9], s[8:9], exec
	s_or_b64 s[4:5], s[4:5], s[8:9]
	s_or_b64 exec, exec, s[6:7]
	s_and_saveexec_b64 s[6:7], s[4:5]
	s_cbranch_execnz .LBB35_1027
	s_branch .LBB35_1028
.LBB35_3077:
	s_movk_i32 s4, 0x80
	v_cmp_eq_u16_sdwa s[12:13], v10, s4 src0_sel:BYTE_0 src1_sel:DWORD
	s_mov_b64 s[4:5], -1
                                        ; implicit-def: $sgpr10
	s_and_saveexec_b64 s[8:9], s[12:13]
; %bb.3078:
	s_mov_b32 s10, 0x7f800001
	s_xor_b64 s[4:5], exec, -1
; %bb.3079:
	s_or_b64 exec, exec, s[8:9]
	s_and_b64 s[4:5], s[4:5], exec
	s_or_saveexec_b64 s[6:7], s[6:7]
	v_mov_b32_e32 v21, s10
	s_xor_b64 exec, exec, s[6:7]
	s_cbranch_execz .LBB35_1030
.LBB35_3080:
	v_mov_b32_e32 v21, 0
	v_cmp_ne_u16_sdwa s[8:9], v10, v21 src0_sel:BYTE_0 src1_sel:DWORD
	s_andn2_b64 s[4:5], s[4:5], exec
	s_and_b64 s[8:9], s[8:9], exec
	s_or_b64 s[4:5], s[4:5], s[8:9]
	s_or_b64 exec, exec, s[6:7]
	s_and_saveexec_b64 s[6:7], s[4:5]
	s_cbranch_execnz .LBB35_1031
	s_branch .LBB35_1032
.LBB35_3081:
	s_movk_i32 s4, 0x80
	v_cmp_eq_u16_sdwa s[12:13], v21, s4 src0_sel:BYTE_0 src1_sel:DWORD
	s_mov_b64 s[4:5], -1
                                        ; implicit-def: $sgpr10
	s_and_saveexec_b64 s[8:9], s[12:13]
; %bb.3082:
	s_mov_b32 s10, 0x7f800001
	s_xor_b64 s[4:5], exec, -1
; %bb.3083:
	s_or_b64 exec, exec, s[8:9]
	s_and_b64 s[4:5], s[4:5], exec
	s_or_saveexec_b64 s[6:7], s[6:7]
	v_mov_b32_e32 v20, s10
	s_xor_b64 exec, exec, s[6:7]
	s_cbranch_execz .LBB35_1034
.LBB35_3084:
	v_mov_b32_e32 v20, 0
	v_cmp_ne_u16_sdwa s[8:9], v21, v20 src0_sel:BYTE_0 src1_sel:DWORD
	s_andn2_b64 s[4:5], s[4:5], exec
	s_and_b64 s[8:9], s[8:9], exec
	s_or_b64 s[4:5], s[4:5], s[8:9]
	s_or_b64 exec, exec, s[6:7]
	s_and_saveexec_b64 s[6:7], s[4:5]
	s_cbranch_execnz .LBB35_1035
	s_branch .LBB35_1036
.LBB35_3085:
	s_movk_i32 s4, 0x80
	v_cmp_eq_u16_sdwa s[12:13], v21, s4 src0_sel:BYTE_0 src1_sel:DWORD
	s_mov_b64 s[4:5], -1
                                        ; implicit-def: $sgpr10
	s_and_saveexec_b64 s[8:9], s[12:13]
; %bb.3086:
	s_mov_b32 s10, 0x7f800001
	s_xor_b64 s[4:5], exec, -1
; %bb.3087:
	s_or_b64 exec, exec, s[8:9]
	s_and_b64 s[4:5], s[4:5], exec
	s_or_saveexec_b64 s[6:7], s[6:7]
	v_mov_b32_e32 v22, s10
	s_xor_b64 exec, exec, s[6:7]
	s_cbranch_execz .LBB35_1038
.LBB35_3088:
	v_mov_b32_e32 v22, 0
	v_cmp_ne_u16_sdwa s[8:9], v21, v22 src0_sel:BYTE_0 src1_sel:DWORD
	s_andn2_b64 s[4:5], s[4:5], exec
	s_and_b64 s[8:9], s[8:9], exec
	s_or_b64 s[4:5], s[4:5], s[8:9]
	s_or_b64 exec, exec, s[6:7]
	s_and_saveexec_b64 s[6:7], s[4:5]
	s_cbranch_execnz .LBB35_1039
	s_branch .LBB35_1040
.LBB35_3089:
	s_movk_i32 s4, 0x80
	v_cmp_eq_u16_e32 vcc, s4, v21
	s_mov_b64 s[4:5], -1
                                        ; implicit-def: $sgpr10
	s_and_saveexec_b64 s[8:9], vcc
; %bb.3090:
	s_mov_b32 s10, 0x7f800001
	s_xor_b64 s[4:5], exec, -1
; %bb.3091:
	s_or_b64 exec, exec, s[8:9]
	s_and_b64 s[4:5], s[4:5], exec
                                        ; implicit-def: $vgpr21
	s_or_saveexec_b64 s[6:7], s[6:7]
	v_mov_b32_e32 v20, s10
	s_xor_b64 exec, exec, s[6:7]
	s_cbranch_execz .LBB35_1042
.LBB35_3092:
	v_cmp_ne_u16_e32 vcc, 0, v21
	s_andn2_b64 s[4:5], s[4:5], exec
	s_and_b64 s[8:9], vcc, exec
	v_mov_b32_e32 v20, 0
	s_or_b64 s[4:5], s[4:5], s[8:9]
	s_or_b64 exec, exec, s[6:7]
	s_and_saveexec_b64 s[6:7], s[4:5]
	s_cbranch_execnz .LBB35_1043
	s_branch .LBB35_1044
.LBB35_3093:
	s_movk_i32 s4, 0x80
	v_cmp_eq_u16_e32 vcc, s4, v21
	s_mov_b64 s[4:5], -1
                                        ; implicit-def: $sgpr10
	s_and_saveexec_b64 s[8:9], vcc
; %bb.3094:
	s_mov_b32 s10, 0x7f800001
	s_xor_b64 s[4:5], exec, -1
; %bb.3095:
	s_or_b64 exec, exec, s[8:9]
	s_and_b64 s[4:5], s[4:5], exec
                                        ; implicit-def: $vgpr21
	s_or_saveexec_b64 s[6:7], s[6:7]
	v_mov_b32_e32 v22, s10
	s_xor_b64 exec, exec, s[6:7]
	s_cbranch_execz .LBB35_1046
.LBB35_3096:
	v_cmp_ne_u16_e32 vcc, 0, v21
	s_andn2_b64 s[4:5], s[4:5], exec
	s_and_b64 s[8:9], vcc, exec
	v_mov_b32_e32 v22, 0
	s_or_b64 s[4:5], s[4:5], s[8:9]
	s_or_b64 exec, exec, s[6:7]
	s_and_saveexec_b64 s[6:7], s[4:5]
	s_cbranch_execnz .LBB35_1047
	s_branch .LBB35_1048
.LBB35_3097:
	s_movk_i32 s4, 0x80
	v_cmp_eq_u16_sdwa s[12:13], v14, s4 src0_sel:BYTE_3 src1_sel:DWORD
	s_mov_b64 s[4:5], -1
                                        ; implicit-def: $sgpr10
	s_and_saveexec_b64 s[8:9], s[12:13]
; %bb.3098:
	s_mov_b32 s10, 0x7f800001
	s_xor_b64 s[4:5], exec, -1
; %bb.3099:
	s_or_b64 exec, exec, s[8:9]
	s_and_b64 s[4:5], s[4:5], exec
	s_or_saveexec_b64 s[6:7], s[6:7]
	v_mov_b32_e32 v20, s10
	s_xor_b64 exec, exec, s[6:7]
	s_cbranch_execz .LBB35_1050
.LBB35_3100:
	v_mov_b32_e32 v20, 0
	v_cmp_ne_u16_sdwa s[8:9], v14, v20 src0_sel:BYTE_3 src1_sel:DWORD
	s_andn2_b64 s[4:5], s[4:5], exec
	s_and_b64 s[8:9], s[8:9], exec
	s_or_b64 s[4:5], s[4:5], s[8:9]
	s_or_b64 exec, exec, s[6:7]
	s_and_saveexec_b64 s[6:7], s[4:5]
	s_cbranch_execnz .LBB35_1051
	s_branch .LBB35_1052
.LBB35_3101:
	s_movk_i32 s4, 0x80
	v_cmp_eq_u16_sdwa s[12:13], v10, s4 src0_sel:BYTE_3 src1_sel:DWORD
	s_mov_b64 s[4:5], -1
                                        ; implicit-def: $sgpr10
	s_and_saveexec_b64 s[8:9], s[12:13]
; %bb.3102:
	s_mov_b32 s10, 0x7f800001
	s_xor_b64 s[4:5], exec, -1
; %bb.3103:
	s_or_b64 exec, exec, s[8:9]
	s_and_b64 s[4:5], s[4:5], exec
	s_or_saveexec_b64 s[6:7], s[6:7]
	v_mov_b32_e32 v14, s10
	s_xor_b64 exec, exec, s[6:7]
	s_cbranch_execz .LBB35_1054
.LBB35_3104:
	v_mov_b32_e32 v14, 0
	v_cmp_ne_u16_sdwa s[8:9], v10, v14 src0_sel:BYTE_3 src1_sel:DWORD
	s_andn2_b64 s[4:5], s[4:5], exec
	s_and_b64 s[8:9], s[8:9], exec
	s_or_b64 s[4:5], s[4:5], s[8:9]
	s_or_b64 exec, exec, s[6:7]
	s_and_saveexec_b64 s[6:7], s[4:5]
	s_cbranch_execnz .LBB35_1055
	s_branch .LBB35_1056
.LBB35_3105:
	s_movk_i32 s4, 0x80
	v_cmp_eq_u16_sdwa s[12:13], v15, s4 src0_sel:BYTE_0 src1_sel:DWORD
	s_mov_b64 s[4:5], -1
                                        ; implicit-def: $sgpr10
	s_and_saveexec_b64 s[8:9], s[12:13]
; %bb.3106:
	s_mov_b32 s10, 0x7f800001
	s_xor_b64 s[4:5], exec, -1
; %bb.3107:
	s_or_b64 exec, exec, s[8:9]
	s_and_b64 s[4:5], s[4:5], exec
	s_or_saveexec_b64 s[6:7], s[6:7]
	v_mov_b32_e32 v10, s10
	s_xor_b64 exec, exec, s[6:7]
	s_cbranch_execz .LBB35_1058
.LBB35_3108:
	v_mov_b32_e32 v10, 0
	v_cmp_ne_u16_sdwa s[8:9], v15, v10 src0_sel:BYTE_0 src1_sel:DWORD
	s_andn2_b64 s[4:5], s[4:5], exec
	s_and_b64 s[8:9], s[8:9], exec
	s_or_b64 s[4:5], s[4:5], s[8:9]
	s_or_b64 exec, exec, s[6:7]
	s_and_saveexec_b64 s[6:7], s[4:5]
	s_cbranch_execnz .LBB35_1059
	s_branch .LBB35_1060
.LBB35_3109:
	s_movk_i32 s4, 0x80
	v_cmp_eq_u16_sdwa s[12:13], v11, s4 src0_sel:BYTE_0 src1_sel:DWORD
	s_mov_b64 s[4:5], -1
                                        ; implicit-def: $sgpr10
	s_and_saveexec_b64 s[8:9], s[12:13]
; %bb.3110:
	s_mov_b32 s10, 0x7f800001
	s_xor_b64 s[4:5], exec, -1
; %bb.3111:
	s_or_b64 exec, exec, s[8:9]
	s_and_b64 s[4:5], s[4:5], exec
	s_or_saveexec_b64 s[6:7], s[6:7]
	v_mov_b32_e32 v14, s10
	s_xor_b64 exec, exec, s[6:7]
	s_cbranch_execz .LBB35_1062
.LBB35_3112:
	v_mov_b32_e32 v14, 0
	v_cmp_ne_u16_sdwa s[8:9], v11, v14 src0_sel:BYTE_0 src1_sel:DWORD
	s_andn2_b64 s[4:5], s[4:5], exec
	s_and_b64 s[8:9], s[8:9], exec
	s_or_b64 s[4:5], s[4:5], s[8:9]
	s_or_b64 exec, exec, s[6:7]
	s_and_saveexec_b64 s[6:7], s[4:5]
	s_cbranch_execnz .LBB35_1063
	s_branch .LBB35_1064
.LBB35_3113:
	s_movk_i32 s4, 0x80
	v_cmp_eq_u16_sdwa s[12:13], v14, s4 src0_sel:BYTE_0 src1_sel:DWORD
	s_mov_b64 s[4:5], -1
                                        ; implicit-def: $sgpr10
	s_and_saveexec_b64 s[8:9], s[12:13]
; %bb.3114:
	s_mov_b32 s10, 0x7f800001
	s_xor_b64 s[4:5], exec, -1
; %bb.3115:
	s_or_b64 exec, exec, s[8:9]
	s_and_b64 s[4:5], s[4:5], exec
	s_or_saveexec_b64 s[6:7], s[6:7]
	v_mov_b32_e32 v10, s10
	s_xor_b64 exec, exec, s[6:7]
	s_cbranch_execz .LBB35_1066
.LBB35_3116:
	v_mov_b32_e32 v10, 0
	v_cmp_ne_u16_sdwa s[8:9], v14, v10 src0_sel:BYTE_0 src1_sel:DWORD
	s_andn2_b64 s[4:5], s[4:5], exec
	s_and_b64 s[8:9], s[8:9], exec
	s_or_b64 s[4:5], s[4:5], s[8:9]
	s_or_b64 exec, exec, s[6:7]
	s_and_saveexec_b64 s[6:7], s[4:5]
	s_cbranch_execnz .LBB35_1067
	s_branch .LBB35_1068
.LBB35_3117:
	s_movk_i32 s4, 0x80
	v_cmp_eq_u16_sdwa s[12:13], v14, s4 src0_sel:BYTE_0 src1_sel:DWORD
	s_mov_b64 s[4:5], -1
                                        ; implicit-def: $sgpr10
	s_and_saveexec_b64 s[8:9], s[12:13]
; %bb.3118:
	s_mov_b32 s10, 0x7f800001
	s_xor_b64 s[4:5], exec, -1
; %bb.3119:
	s_or_b64 exec, exec, s[8:9]
	s_and_b64 s[4:5], s[4:5], exec
	s_or_saveexec_b64 s[6:7], s[6:7]
	v_mov_b32_e32 v20, s10
	s_xor_b64 exec, exec, s[6:7]
	s_cbranch_execz .LBB35_1070
.LBB35_3120:
	v_mov_b32_e32 v20, 0
	v_cmp_ne_u16_sdwa s[8:9], v14, v20 src0_sel:BYTE_0 src1_sel:DWORD
	s_andn2_b64 s[4:5], s[4:5], exec
	s_and_b64 s[8:9], s[8:9], exec
	s_or_b64 s[4:5], s[4:5], s[8:9]
	s_or_b64 exec, exec, s[6:7]
	s_and_saveexec_b64 s[6:7], s[4:5]
	s_cbranch_execnz .LBB35_1071
	s_branch .LBB35_1072
.LBB35_3121:
	s_movk_i32 s4, 0x80
	v_cmp_eq_u16_e32 vcc, s4, v14
	s_mov_b64 s[4:5], -1
                                        ; implicit-def: $sgpr10
	s_and_saveexec_b64 s[8:9], vcc
; %bb.3122:
	s_mov_b32 s10, 0x7f800001
	s_xor_b64 s[4:5], exec, -1
; %bb.3123:
	s_or_b64 exec, exec, s[8:9]
	s_and_b64 s[4:5], s[4:5], exec
                                        ; implicit-def: $vgpr14
	s_or_saveexec_b64 s[6:7], s[6:7]
	v_mov_b32_e32 v10, s10
	s_xor_b64 exec, exec, s[6:7]
	s_cbranch_execz .LBB35_1074
.LBB35_3124:
	v_cmp_ne_u16_e32 vcc, 0, v14
	s_andn2_b64 s[4:5], s[4:5], exec
	s_and_b64 s[8:9], vcc, exec
	v_mov_b32_e32 v10, 0
	s_or_b64 s[4:5], s[4:5], s[8:9]
	s_or_b64 exec, exec, s[6:7]
	s_and_saveexec_b64 s[6:7], s[4:5]
	s_cbranch_execnz .LBB35_1075
	s_branch .LBB35_1076
.LBB35_3125:
	s_movk_i32 s4, 0x80
	v_cmp_eq_u16_e32 vcc, s4, v14
	s_mov_b64 s[4:5], -1
                                        ; implicit-def: $sgpr10
	s_and_saveexec_b64 s[8:9], vcc
; %bb.3126:
	s_mov_b32 s10, 0x7f800001
	s_xor_b64 s[4:5], exec, -1
; %bb.3127:
	s_or_b64 exec, exec, s[8:9]
	s_and_b64 s[4:5], s[4:5], exec
                                        ; implicit-def: $vgpr14
	s_or_saveexec_b64 s[6:7], s[6:7]
	v_mov_b32_e32 v20, s10
	s_xor_b64 exec, exec, s[6:7]
	s_cbranch_execz .LBB35_1078
.LBB35_3128:
	v_cmp_ne_u16_e32 vcc, 0, v14
	s_andn2_b64 s[4:5], s[4:5], exec
	s_and_b64 s[8:9], vcc, exec
	v_mov_b32_e32 v20, 0
	s_or_b64 s[4:5], s[4:5], s[8:9]
	s_or_b64 exec, exec, s[6:7]
	s_and_saveexec_b64 s[6:7], s[4:5]
	s_cbranch_execnz .LBB35_1079
	s_branch .LBB35_1080
.LBB35_3129:
	s_movk_i32 s4, 0x80
	v_cmp_eq_u16_sdwa s[12:13], v15, s4 src0_sel:BYTE_3 src1_sel:DWORD
	s_mov_b64 s[4:5], -1
                                        ; implicit-def: $sgpr10
	s_and_saveexec_b64 s[8:9], s[12:13]
; %bb.3130:
	s_mov_b32 s10, 0x7f800001
	s_xor_b64 s[4:5], exec, -1
; %bb.3131:
	s_or_b64 exec, exec, s[8:9]
	s_and_b64 s[4:5], s[4:5], exec
	s_or_saveexec_b64 s[6:7], s[6:7]
	v_mov_b32_e32 v10, s10
	s_xor_b64 exec, exec, s[6:7]
	s_cbranch_execz .LBB35_1082
.LBB35_3132:
	v_mov_b32_e32 v10, 0
	v_cmp_ne_u16_sdwa s[8:9], v15, v10 src0_sel:BYTE_3 src1_sel:DWORD
	s_andn2_b64 s[4:5], s[4:5], exec
	s_and_b64 s[8:9], s[8:9], exec
	s_or_b64 s[4:5], s[4:5], s[8:9]
	s_or_b64 exec, exec, s[6:7]
	s_and_saveexec_b64 s[6:7], s[4:5]
	s_cbranch_execnz .LBB35_1083
	s_branch .LBB35_1084
.LBB35_3133:
	s_movk_i32 s4, 0x80
	v_cmp_eq_u16_sdwa s[12:13], v11, s4 src0_sel:BYTE_3 src1_sel:DWORD
	s_mov_b64 s[4:5], -1
                                        ; implicit-def: $sgpr10
	s_and_saveexec_b64 s[8:9], s[12:13]
; %bb.3134:
	s_mov_b32 s10, 0x7f800001
	s_xor_b64 s[4:5], exec, -1
; %bb.3135:
	s_or_b64 exec, exec, s[8:9]
	s_and_b64 s[4:5], s[4:5], exec
	s_or_saveexec_b64 s[6:7], s[6:7]
	v_mov_b32_e32 v14, s10
	s_xor_b64 exec, exec, s[6:7]
	s_cbranch_execz .LBB35_1086
.LBB35_3136:
	v_mov_b32_e32 v14, 0
	v_cmp_ne_u16_sdwa s[8:9], v11, v14 src0_sel:BYTE_3 src1_sel:DWORD
	s_andn2_b64 s[4:5], s[4:5], exec
	s_and_b64 s[8:9], s[8:9], exec
	s_or_b64 s[4:5], s[4:5], s[8:9]
	s_or_b64 exec, exec, s[6:7]
	s_and_saveexec_b64 s[6:7], s[4:5]
	s_cbranch_execnz .LBB35_1087
	s_branch .LBB35_1088
.LBB35_3137:
	s_movk_i32 s4, 0x80
	v_cmp_eq_u16_sdwa s[12:13], v16, s4 src0_sel:BYTE_0 src1_sel:DWORD
	s_mov_b64 s[4:5], -1
                                        ; implicit-def: $sgpr10
	s_and_saveexec_b64 s[8:9], s[12:13]
; %bb.3138:
	s_mov_b32 s10, 0x7f800001
	s_xor_b64 s[4:5], exec, -1
; %bb.3139:
	s_or_b64 exec, exec, s[8:9]
	s_and_b64 s[4:5], s[4:5], exec
	s_or_saveexec_b64 s[6:7], s[6:7]
	v_mov_b32_e32 v10, s10
	s_xor_b64 exec, exec, s[6:7]
	s_cbranch_execz .LBB35_1090
.LBB35_3140:
	v_mov_b32_e32 v10, 0
	v_cmp_ne_u16_sdwa s[8:9], v16, v10 src0_sel:BYTE_0 src1_sel:DWORD
	s_andn2_b64 s[4:5], s[4:5], exec
	s_and_b64 s[8:9], s[8:9], exec
	s_or_b64 s[4:5], s[4:5], s[8:9]
	s_or_b64 exec, exec, s[6:7]
	s_and_saveexec_b64 s[6:7], s[4:5]
	s_cbranch_execnz .LBB35_1091
	s_branch .LBB35_1092
.LBB35_3141:
	s_movk_i32 s4, 0x80
	v_cmp_eq_u16_sdwa s[12:13], v12, s4 src0_sel:BYTE_0 src1_sel:DWORD
	s_mov_b64 s[4:5], -1
                                        ; implicit-def: $sgpr10
	s_and_saveexec_b64 s[8:9], s[12:13]
; %bb.3142:
	s_mov_b32 s10, 0x7f800001
	s_xor_b64 s[4:5], exec, -1
; %bb.3143:
	s_or_b64 exec, exec, s[8:9]
	s_and_b64 s[4:5], s[4:5], exec
	s_or_saveexec_b64 s[6:7], s[6:7]
	v_mov_b32_e32 v11, s10
	s_xor_b64 exec, exec, s[6:7]
	s_cbranch_execz .LBB35_1094
.LBB35_3144:
	v_mov_b32_e32 v11, 0
	v_cmp_ne_u16_sdwa s[8:9], v12, v11 src0_sel:BYTE_0 src1_sel:DWORD
	s_andn2_b64 s[4:5], s[4:5], exec
	s_and_b64 s[8:9], s[8:9], exec
	s_or_b64 s[4:5], s[4:5], s[8:9]
	s_or_b64 exec, exec, s[6:7]
	s_and_saveexec_b64 s[6:7], s[4:5]
	s_cbranch_execnz .LBB35_1095
	s_branch .LBB35_1096
.LBB35_3145:
	s_movk_i32 s4, 0x80
	v_cmp_eq_u16_sdwa s[12:13], v11, s4 src0_sel:BYTE_0 src1_sel:DWORD
	s_mov_b64 s[4:5], -1
                                        ; implicit-def: $sgpr10
	s_and_saveexec_b64 s[8:9], s[12:13]
; %bb.3146:
	s_mov_b32 s10, 0x7f800001
	s_xor_b64 s[4:5], exec, -1
; %bb.3147:
	s_or_b64 exec, exec, s[8:9]
	s_and_b64 s[4:5], s[4:5], exec
	s_or_saveexec_b64 s[6:7], s[6:7]
	v_mov_b32_e32 v10, s10
	s_xor_b64 exec, exec, s[6:7]
	s_cbranch_execz .LBB35_1098
.LBB35_3148:
	v_mov_b32_e32 v10, 0
	v_cmp_ne_u16_sdwa s[8:9], v11, v10 src0_sel:BYTE_0 src1_sel:DWORD
	s_andn2_b64 s[4:5], s[4:5], exec
	s_and_b64 s[8:9], s[8:9], exec
	s_or_b64 s[4:5], s[4:5], s[8:9]
	s_or_b64 exec, exec, s[6:7]
	s_and_saveexec_b64 s[6:7], s[4:5]
	s_cbranch_execnz .LBB35_1099
	s_branch .LBB35_1100
.LBB35_3149:
	s_movk_i32 s4, 0x80
	v_cmp_eq_u16_sdwa s[12:13], v11, s4 src0_sel:BYTE_0 src1_sel:DWORD
	s_mov_b64 s[4:5], -1
                                        ; implicit-def: $sgpr10
	s_and_saveexec_b64 s[8:9], s[12:13]
; %bb.3150:
	s_mov_b32 s10, 0x7f800001
	s_xor_b64 s[4:5], exec, -1
; %bb.3151:
	s_or_b64 exec, exec, s[8:9]
	s_and_b64 s[4:5], s[4:5], exec
	s_or_saveexec_b64 s[6:7], s[6:7]
	v_mov_b32_e32 v14, s10
	s_xor_b64 exec, exec, s[6:7]
	s_cbranch_execz .LBB35_1102
.LBB35_3152:
	v_mov_b32_e32 v14, 0
	v_cmp_ne_u16_sdwa s[8:9], v11, v14 src0_sel:BYTE_0 src1_sel:DWORD
	s_andn2_b64 s[4:5], s[4:5], exec
	s_and_b64 s[8:9], s[8:9], exec
	s_or_b64 s[4:5], s[4:5], s[8:9]
	s_or_b64 exec, exec, s[6:7]
	s_and_saveexec_b64 s[6:7], s[4:5]
	s_cbranch_execnz .LBB35_1103
	s_branch .LBB35_1104
.LBB35_3153:
	s_movk_i32 s4, 0x80
	v_cmp_eq_u16_e32 vcc, s4, v11
	s_mov_b64 s[4:5], -1
                                        ; implicit-def: $sgpr10
	s_and_saveexec_b64 s[8:9], vcc
; %bb.3154:
	s_mov_b32 s10, 0x7f800001
	s_xor_b64 s[4:5], exec, -1
; %bb.3155:
	s_or_b64 exec, exec, s[8:9]
	s_and_b64 s[4:5], s[4:5], exec
                                        ; implicit-def: $vgpr11
	s_or_saveexec_b64 s[6:7], s[6:7]
	v_mov_b32_e32 v10, s10
	s_xor_b64 exec, exec, s[6:7]
	s_cbranch_execz .LBB35_1106
.LBB35_3156:
	v_cmp_ne_u16_e32 vcc, 0, v11
	s_andn2_b64 s[4:5], s[4:5], exec
	s_and_b64 s[8:9], vcc, exec
	v_mov_b32_e32 v10, 0
	s_or_b64 s[4:5], s[4:5], s[8:9]
	s_or_b64 exec, exec, s[6:7]
	s_and_saveexec_b64 s[6:7], s[4:5]
	s_cbranch_execnz .LBB35_1107
	s_branch .LBB35_1108
.LBB35_3157:
	s_movk_i32 s4, 0x80
	v_cmp_eq_u16_e32 vcc, s4, v11
	s_mov_b64 s[4:5], -1
                                        ; implicit-def: $sgpr10
	s_and_saveexec_b64 s[8:9], vcc
; %bb.3158:
	s_mov_b32 s10, 0x7f800001
	s_xor_b64 s[4:5], exec, -1
; %bb.3159:
	s_or_b64 exec, exec, s[8:9]
	s_and_b64 s[4:5], s[4:5], exec
                                        ; implicit-def: $vgpr11
	s_or_saveexec_b64 s[6:7], s[6:7]
	v_mov_b32_e32 v14, s10
	s_xor_b64 exec, exec, s[6:7]
	s_cbranch_execz .LBB35_1110
.LBB35_3160:
	v_cmp_ne_u16_e32 vcc, 0, v11
	s_andn2_b64 s[4:5], s[4:5], exec
	s_and_b64 s[8:9], vcc, exec
	v_mov_b32_e32 v14, 0
	s_or_b64 s[4:5], s[4:5], s[8:9]
	s_or_b64 exec, exec, s[6:7]
	s_and_saveexec_b64 s[6:7], s[4:5]
	s_cbranch_execnz .LBB35_1111
	s_branch .LBB35_1112
.LBB35_3161:
	s_movk_i32 s4, 0x80
	v_cmp_eq_u16_sdwa s[12:13], v16, s4 src0_sel:BYTE_3 src1_sel:DWORD
	s_mov_b64 s[4:5], -1
                                        ; implicit-def: $sgpr10
	s_and_saveexec_b64 s[8:9], s[12:13]
; %bb.3162:
	s_mov_b32 s10, 0x7f800001
	s_xor_b64 s[4:5], exec, -1
; %bb.3163:
	s_or_b64 exec, exec, s[8:9]
	s_and_b64 s[4:5], s[4:5], exec
	s_or_saveexec_b64 s[6:7], s[6:7]
	v_mov_b32_e32 v10, s10
	s_xor_b64 exec, exec, s[6:7]
	s_cbranch_execz .LBB35_1114
.LBB35_3164:
	v_mov_b32_e32 v10, 0
	v_cmp_ne_u16_sdwa s[8:9], v16, v10 src0_sel:BYTE_3 src1_sel:DWORD
	s_andn2_b64 s[4:5], s[4:5], exec
	s_and_b64 s[8:9], s[8:9], exec
	s_or_b64 s[4:5], s[4:5], s[8:9]
	s_or_b64 exec, exec, s[6:7]
	s_and_saveexec_b64 s[6:7], s[4:5]
	s_cbranch_execnz .LBB35_1115
	s_branch .LBB35_1116
.LBB35_3165:
	s_movk_i32 s4, 0x80
	v_cmp_eq_u16_sdwa s[12:13], v12, s4 src0_sel:BYTE_3 src1_sel:DWORD
	s_mov_b64 s[4:5], -1
                                        ; implicit-def: $sgpr10
	s_and_saveexec_b64 s[8:9], s[12:13]
; %bb.3166:
	s_mov_b32 s10, 0x7f800001
	s_xor_b64 s[4:5], exec, -1
; %bb.3167:
	s_or_b64 exec, exec, s[8:9]
	s_and_b64 s[4:5], s[4:5], exec
	s_or_saveexec_b64 s[6:7], s[6:7]
	v_mov_b32_e32 v11, s10
	s_xor_b64 exec, exec, s[6:7]
	s_cbranch_execz .LBB35_1118
.LBB35_3168:
	v_mov_b32_e32 v11, 0
	v_cmp_ne_u16_sdwa s[8:9], v12, v11 src0_sel:BYTE_3 src1_sel:DWORD
	s_andn2_b64 s[4:5], s[4:5], exec
	s_and_b64 s[8:9], s[8:9], exec
	s_or_b64 s[4:5], s[4:5], s[8:9]
	s_or_b64 exec, exec, s[6:7]
	s_and_saveexec_b64 s[6:7], s[4:5]
	s_cbranch_execnz .LBB35_1119
	s_branch .LBB35_1120
.LBB35_3169:
	s_movk_i32 s4, 0x80
	v_cmp_eq_u16_sdwa s[12:13], v17, s4 src0_sel:BYTE_0 src1_sel:DWORD
	s_mov_b64 s[4:5], -1
                                        ; implicit-def: $sgpr10
	s_and_saveexec_b64 s[8:9], s[12:13]
; %bb.3170:
	s_mov_b32 s10, 0x7f800001
	s_xor_b64 s[4:5], exec, -1
; %bb.3171:
	s_or_b64 exec, exec, s[8:9]
	s_and_b64 s[4:5], s[4:5], exec
	s_or_saveexec_b64 s[6:7], s[6:7]
	v_mov_b32_e32 v10, s10
	s_xor_b64 exec, exec, s[6:7]
	s_cbranch_execz .LBB35_1122
.LBB35_3172:
	v_mov_b32_e32 v10, 0
	v_cmp_ne_u16_sdwa s[8:9], v17, v10 src0_sel:BYTE_0 src1_sel:DWORD
	s_andn2_b64 s[4:5], s[4:5], exec
	s_and_b64 s[8:9], s[8:9], exec
	s_or_b64 s[4:5], s[4:5], s[8:9]
	s_or_b64 exec, exec, s[6:7]
	s_and_saveexec_b64 s[6:7], s[4:5]
	s_cbranch_execnz .LBB35_1123
	s_branch .LBB35_1124
.LBB35_3173:
	s_movk_i32 s4, 0x80
	v_cmp_eq_u16_sdwa s[12:13], v13, s4 src0_sel:BYTE_0 src1_sel:DWORD
	s_mov_b64 s[4:5], -1
                                        ; implicit-def: $sgpr10
	s_and_saveexec_b64 s[8:9], s[12:13]
; %bb.3174:
	s_mov_b32 s10, 0x7f800001
	s_xor_b64 s[4:5], exec, -1
; %bb.3175:
	s_or_b64 exec, exec, s[8:9]
	s_and_b64 s[4:5], s[4:5], exec
	s_or_saveexec_b64 s[6:7], s[6:7]
	v_mov_b32_e32 v11, s10
	s_xor_b64 exec, exec, s[6:7]
	s_cbranch_execz .LBB35_1126
.LBB35_3176:
	v_mov_b32_e32 v11, 0
	v_cmp_ne_u16_sdwa s[8:9], v13, v11 src0_sel:BYTE_0 src1_sel:DWORD
	s_andn2_b64 s[4:5], s[4:5], exec
	s_and_b64 s[8:9], s[8:9], exec
	s_or_b64 s[4:5], s[4:5], s[8:9]
	s_or_b64 exec, exec, s[6:7]
	s_and_saveexec_b64 s[6:7], s[4:5]
	s_cbranch_execnz .LBB35_1127
	s_branch .LBB35_1128
.LBB35_3177:
	s_movk_i32 s4, 0x80
	v_cmp_eq_u16_sdwa s[12:13], v11, s4 src0_sel:BYTE_0 src1_sel:DWORD
	s_mov_b64 s[4:5], -1
                                        ; implicit-def: $sgpr10
	s_and_saveexec_b64 s[8:9], s[12:13]
; %bb.3178:
	s_mov_b32 s10, 0x7f800001
	s_xor_b64 s[4:5], exec, -1
; %bb.3179:
	s_or_b64 exec, exec, s[8:9]
	s_and_b64 s[4:5], s[4:5], exec
	s_or_saveexec_b64 s[6:7], s[6:7]
	v_mov_b32_e32 v10, s10
	s_xor_b64 exec, exec, s[6:7]
	s_cbranch_execz .LBB35_1130
.LBB35_3180:
	v_mov_b32_e32 v10, 0
	v_cmp_ne_u16_sdwa s[8:9], v11, v10 src0_sel:BYTE_0 src1_sel:DWORD
	s_andn2_b64 s[4:5], s[4:5], exec
	s_and_b64 s[8:9], s[8:9], exec
	s_or_b64 s[4:5], s[4:5], s[8:9]
	s_or_b64 exec, exec, s[6:7]
	s_and_saveexec_b64 s[6:7], s[4:5]
	s_cbranch_execnz .LBB35_1131
	s_branch .LBB35_1132
.LBB35_3181:
	s_movk_i32 s4, 0x80
	v_cmp_eq_u16_sdwa s[12:13], v11, s4 src0_sel:BYTE_0 src1_sel:DWORD
	s_mov_b64 s[4:5], -1
                                        ; implicit-def: $sgpr10
	s_and_saveexec_b64 s[8:9], s[12:13]
; %bb.3182:
	s_mov_b32 s10, 0x7f800001
	s_xor_b64 s[4:5], exec, -1
; %bb.3183:
	s_or_b64 exec, exec, s[8:9]
	s_and_b64 s[4:5], s[4:5], exec
	s_or_saveexec_b64 s[6:7], s[6:7]
	v_mov_b32_e32 v12, s10
	s_xor_b64 exec, exec, s[6:7]
	s_cbranch_execz .LBB35_1134
.LBB35_3184:
	v_mov_b32_e32 v12, 0
	v_cmp_ne_u16_sdwa s[8:9], v11, v12 src0_sel:BYTE_0 src1_sel:DWORD
	s_andn2_b64 s[4:5], s[4:5], exec
	s_and_b64 s[8:9], s[8:9], exec
	s_or_b64 s[4:5], s[4:5], s[8:9]
	s_or_b64 exec, exec, s[6:7]
	s_and_saveexec_b64 s[6:7], s[4:5]
	s_cbranch_execnz .LBB35_1135
	s_branch .LBB35_1136
.LBB35_3185:
	s_movk_i32 s4, 0x80
	v_cmp_eq_u16_e32 vcc, s4, v11
	s_mov_b64 s[4:5], -1
                                        ; implicit-def: $sgpr10
	s_and_saveexec_b64 s[8:9], vcc
; %bb.3186:
	s_mov_b32 s10, 0x7f800001
	s_xor_b64 s[4:5], exec, -1
; %bb.3187:
	s_or_b64 exec, exec, s[8:9]
	s_and_b64 s[4:5], s[4:5], exec
                                        ; implicit-def: $vgpr11
	s_or_saveexec_b64 s[6:7], s[6:7]
	v_mov_b32_e32 v10, s10
	s_xor_b64 exec, exec, s[6:7]
	s_cbranch_execz .LBB35_1138
.LBB35_3188:
	v_cmp_ne_u16_e32 vcc, 0, v11
	s_andn2_b64 s[4:5], s[4:5], exec
	s_and_b64 s[8:9], vcc, exec
	v_mov_b32_e32 v10, 0
	s_or_b64 s[4:5], s[4:5], s[8:9]
	s_or_b64 exec, exec, s[6:7]
	s_and_saveexec_b64 s[6:7], s[4:5]
	s_cbranch_execnz .LBB35_1139
	s_branch .LBB35_1140
.LBB35_3189:
	s_movk_i32 s4, 0x80
	v_cmp_eq_u16_e32 vcc, s4, v11
	s_mov_b64 s[4:5], -1
                                        ; implicit-def: $sgpr10
	s_and_saveexec_b64 s[8:9], vcc
; %bb.3190:
	s_mov_b32 s10, 0x7f800001
	s_xor_b64 s[4:5], exec, -1
; %bb.3191:
	s_or_b64 exec, exec, s[8:9]
	s_and_b64 s[4:5], s[4:5], exec
                                        ; implicit-def: $vgpr11
	s_or_saveexec_b64 s[6:7], s[6:7]
	v_mov_b32_e32 v12, s10
	s_xor_b64 exec, exec, s[6:7]
	s_cbranch_execz .LBB35_1142
.LBB35_3192:
	v_cmp_ne_u16_e32 vcc, 0, v11
	s_andn2_b64 s[4:5], s[4:5], exec
	s_and_b64 s[8:9], vcc, exec
	v_mov_b32_e32 v12, 0
	s_or_b64 s[4:5], s[4:5], s[8:9]
	s_or_b64 exec, exec, s[6:7]
	s_and_saveexec_b64 s[6:7], s[4:5]
	s_cbranch_execnz .LBB35_1143
	s_branch .LBB35_1144
.LBB35_3193:
	s_movk_i32 s4, 0x80
	v_cmp_eq_u16_sdwa s[12:13], v17, s4 src0_sel:BYTE_3 src1_sel:DWORD
	s_mov_b64 s[4:5], -1
                                        ; implicit-def: $sgpr10
	s_and_saveexec_b64 s[8:9], s[12:13]
; %bb.3194:
	s_mov_b32 s10, 0x7f800001
	s_xor_b64 s[4:5], exec, -1
; %bb.3195:
	s_or_b64 exec, exec, s[8:9]
	s_and_b64 s[4:5], s[4:5], exec
	s_or_saveexec_b64 s[6:7], s[6:7]
	v_mov_b32_e32 v10, s10
	s_xor_b64 exec, exec, s[6:7]
	s_cbranch_execz .LBB35_1146
.LBB35_3196:
	v_mov_b32_e32 v10, 0
	v_cmp_ne_u16_sdwa s[8:9], v17, v10 src0_sel:BYTE_3 src1_sel:DWORD
	s_andn2_b64 s[4:5], s[4:5], exec
	s_and_b64 s[8:9], s[8:9], exec
	s_or_b64 s[4:5], s[4:5], s[8:9]
	s_or_b64 exec, exec, s[6:7]
	s_and_saveexec_b64 s[6:7], s[4:5]
	s_cbranch_execnz .LBB35_1147
	s_branch .LBB35_1148
.LBB35_3197:
	s_movk_i32 s4, 0x80
	v_cmp_eq_u16_sdwa s[12:13], v13, s4 src0_sel:BYTE_3 src1_sel:DWORD
	s_mov_b64 s[4:5], -1
                                        ; implicit-def: $sgpr10
	s_and_saveexec_b64 s[8:9], s[12:13]
; %bb.3198:
	s_mov_b32 s10, 0x7f800001
	s_xor_b64 s[4:5], exec, -1
; %bb.3199:
	s_or_b64 exec, exec, s[8:9]
	s_and_b64 s[4:5], s[4:5], exec
	s_or_saveexec_b64 s[6:7], s[6:7]
	v_mov_b32_e32 v11, s10
	s_xor_b64 exec, exec, s[6:7]
	s_cbranch_execz .LBB35_1150
.LBB35_3200:
	v_mov_b32_e32 v11, 0
	v_cmp_ne_u16_sdwa s[8:9], v13, v11 src0_sel:BYTE_3 src1_sel:DWORD
	s_andn2_b64 s[4:5], s[4:5], exec
	s_and_b64 s[8:9], s[8:9], exec
	s_or_b64 s[4:5], s[4:5], s[8:9]
	s_or_b64 exec, exec, s[6:7]
	s_and_saveexec_b64 s[6:7], s[4:5]
	s_cbranch_execnz .LBB35_1151
	s_branch .LBB35_1152
.LBB35_3201:
	s_movk_i32 s4, 0x80
	v_cmp_eq_u16_sdwa s[12:13], v6, s4 src0_sel:BYTE_0 src1_sel:DWORD
	s_mov_b64 s[4:5], -1
                                        ; implicit-def: $sgpr10
	s_and_saveexec_b64 s[8:9], s[12:13]
; %bb.3202:
	s_mov_b32 s10, 0x7f800001
	s_xor_b64 s[4:5], exec, -1
; %bb.3203:
	s_or_b64 exec, exec, s[8:9]
	s_and_b64 s[4:5], s[4:5], exec
	s_or_saveexec_b64 s[6:7], s[6:7]
	v_mov_b32_e32 v10, s10
	s_xor_b64 exec, exec, s[6:7]
	s_cbranch_execz .LBB35_1154
.LBB35_3204:
	v_mov_b32_e32 v10, 0
	v_cmp_ne_u16_sdwa s[8:9], v6, v10 src0_sel:BYTE_0 src1_sel:DWORD
	s_andn2_b64 s[4:5], s[4:5], exec
	s_and_b64 s[8:9], s[8:9], exec
	s_or_b64 s[4:5], s[4:5], s[8:9]
	s_or_b64 exec, exec, s[6:7]
	s_and_saveexec_b64 s[6:7], s[4:5]
	s_cbranch_execnz .LBB35_1155
	s_branch .LBB35_1156
.LBB35_3205:
	s_movk_i32 s4, 0x80
	v_cmp_eq_u16_sdwa s[12:13], v2, s4 src0_sel:BYTE_0 src1_sel:DWORD
	s_mov_b64 s[4:5], -1
                                        ; implicit-def: $sgpr10
	s_and_saveexec_b64 s[8:9], s[12:13]
; %bb.3206:
	s_mov_b32 s10, 0x7f800001
	s_xor_b64 s[4:5], exec, -1
; %bb.3207:
	s_or_b64 exec, exec, s[8:9]
	s_and_b64 s[4:5], s[4:5], exec
	s_or_saveexec_b64 s[6:7], s[6:7]
	v_mov_b32_e32 v11, s10
	s_xor_b64 exec, exec, s[6:7]
	s_cbranch_execz .LBB35_1158
.LBB35_3208:
	v_mov_b32_e32 v11, 0
	v_cmp_ne_u16_sdwa s[8:9], v2, v11 src0_sel:BYTE_0 src1_sel:DWORD
	s_andn2_b64 s[4:5], s[4:5], exec
	s_and_b64 s[8:9], s[8:9], exec
	s_or_b64 s[4:5], s[4:5], s[8:9]
	s_or_b64 exec, exec, s[6:7]
	s_and_saveexec_b64 s[6:7], s[4:5]
	s_cbranch_execnz .LBB35_1159
	s_branch .LBB35_1160
.LBB35_3209:
	s_movk_i32 s4, 0x80
	v_cmp_eq_u16_sdwa s[12:13], v11, s4 src0_sel:BYTE_0 src1_sel:DWORD
	s_mov_b64 s[4:5], -1
                                        ; implicit-def: $sgpr10
	s_and_saveexec_b64 s[8:9], s[12:13]
; %bb.3210:
	s_mov_b32 s10, 0x7f800001
	s_xor_b64 s[4:5], exec, -1
; %bb.3211:
	s_or_b64 exec, exec, s[8:9]
	s_and_b64 s[4:5], s[4:5], exec
	s_or_saveexec_b64 s[6:7], s[6:7]
	v_mov_b32_e32 v10, s10
	s_xor_b64 exec, exec, s[6:7]
	s_cbranch_execz .LBB35_1162
.LBB35_3212:
	v_mov_b32_e32 v10, 0
	v_cmp_ne_u16_sdwa s[8:9], v11, v10 src0_sel:BYTE_0 src1_sel:DWORD
	s_andn2_b64 s[4:5], s[4:5], exec
	s_and_b64 s[8:9], s[8:9], exec
	s_or_b64 s[4:5], s[4:5], s[8:9]
	s_or_b64 exec, exec, s[6:7]
	s_and_saveexec_b64 s[6:7], s[4:5]
	s_cbranch_execnz .LBB35_1163
	s_branch .LBB35_1164
.LBB35_3213:
	s_movk_i32 s4, 0x80
	v_cmp_eq_u16_sdwa s[12:13], v11, s4 src0_sel:BYTE_0 src1_sel:DWORD
	s_mov_b64 s[4:5], -1
                                        ; implicit-def: $sgpr10
	s_and_saveexec_b64 s[8:9], s[12:13]
; %bb.3214:
	s_mov_b32 s10, 0x7f800001
	s_xor_b64 s[4:5], exec, -1
; %bb.3215:
	s_or_b64 exec, exec, s[8:9]
	s_and_b64 s[4:5], s[4:5], exec
	s_or_saveexec_b64 s[6:7], s[6:7]
	v_mov_b32_e32 v12, s10
	s_xor_b64 exec, exec, s[6:7]
	s_cbranch_execz .LBB35_1166
.LBB35_3216:
	v_mov_b32_e32 v12, 0
	v_cmp_ne_u16_sdwa s[8:9], v11, v12 src0_sel:BYTE_0 src1_sel:DWORD
	s_andn2_b64 s[4:5], s[4:5], exec
	s_and_b64 s[8:9], s[8:9], exec
	s_or_b64 s[4:5], s[4:5], s[8:9]
	s_or_b64 exec, exec, s[6:7]
	s_and_saveexec_b64 s[6:7], s[4:5]
	s_cbranch_execnz .LBB35_1167
	s_branch .LBB35_1168
.LBB35_3217:
	s_movk_i32 s4, 0x80
	v_cmp_eq_u16_e32 vcc, s4, v11
	s_mov_b64 s[4:5], -1
                                        ; implicit-def: $sgpr10
	s_and_saveexec_b64 s[8:9], vcc
; %bb.3218:
	s_mov_b32 s10, 0x7f800001
	s_xor_b64 s[4:5], exec, -1
; %bb.3219:
	s_or_b64 exec, exec, s[8:9]
	s_and_b64 s[4:5], s[4:5], exec
                                        ; implicit-def: $vgpr11
	s_or_saveexec_b64 s[6:7], s[6:7]
	v_mov_b32_e32 v10, s10
	s_xor_b64 exec, exec, s[6:7]
	s_cbranch_execz .LBB35_1170
.LBB35_3220:
	v_cmp_ne_u16_e32 vcc, 0, v11
	s_andn2_b64 s[4:5], s[4:5], exec
	s_and_b64 s[8:9], vcc, exec
	v_mov_b32_e32 v10, 0
	s_or_b64 s[4:5], s[4:5], s[8:9]
	s_or_b64 exec, exec, s[6:7]
	s_and_saveexec_b64 s[6:7], s[4:5]
	s_cbranch_execnz .LBB35_1171
	s_branch .LBB35_1172
.LBB35_3221:
	s_movk_i32 s4, 0x80
	v_cmp_eq_u16_e32 vcc, s4, v11
	s_mov_b64 s[4:5], -1
                                        ; implicit-def: $sgpr10
	s_and_saveexec_b64 s[8:9], vcc
; %bb.3222:
	s_mov_b32 s10, 0x7f800001
	s_xor_b64 s[4:5], exec, -1
; %bb.3223:
	s_or_b64 exec, exec, s[8:9]
	s_and_b64 s[4:5], s[4:5], exec
                                        ; implicit-def: $vgpr11
	s_or_saveexec_b64 s[6:7], s[6:7]
	v_mov_b32_e32 v12, s10
	s_xor_b64 exec, exec, s[6:7]
	s_cbranch_execz .LBB35_1174
.LBB35_3224:
	v_cmp_ne_u16_e32 vcc, 0, v11
	s_andn2_b64 s[4:5], s[4:5], exec
	s_and_b64 s[8:9], vcc, exec
	v_mov_b32_e32 v12, 0
	s_or_b64 s[4:5], s[4:5], s[8:9]
	s_or_b64 exec, exec, s[6:7]
	s_and_saveexec_b64 s[6:7], s[4:5]
	s_cbranch_execnz .LBB35_1175
	s_branch .LBB35_1176
.LBB35_3225:
	s_movk_i32 s4, 0x80
	v_cmp_eq_u16_sdwa s[12:13], v6, s4 src0_sel:BYTE_3 src1_sel:DWORD
	s_mov_b64 s[4:5], -1
                                        ; implicit-def: $sgpr10
	s_and_saveexec_b64 s[8:9], s[12:13]
; %bb.3226:
	s_mov_b32 s10, 0x7f800001
	s_xor_b64 s[4:5], exec, -1
; %bb.3227:
	s_or_b64 exec, exec, s[8:9]
	s_and_b64 s[4:5], s[4:5], exec
	s_or_saveexec_b64 s[6:7], s[6:7]
	v_mov_b32_e32 v10, s10
	s_xor_b64 exec, exec, s[6:7]
	s_cbranch_execz .LBB35_1178
.LBB35_3228:
	v_mov_b32_e32 v10, 0
	v_cmp_ne_u16_sdwa s[8:9], v6, v10 src0_sel:BYTE_3 src1_sel:DWORD
	s_andn2_b64 s[4:5], s[4:5], exec
	s_and_b64 s[8:9], s[8:9], exec
	s_or_b64 s[4:5], s[4:5], s[8:9]
	s_or_b64 exec, exec, s[6:7]
	s_and_saveexec_b64 s[6:7], s[4:5]
	s_cbranch_execnz .LBB35_1179
	s_branch .LBB35_1180
.LBB35_3229:
	s_movk_i32 s4, 0x80
	v_cmp_eq_u16_sdwa s[12:13], v2, s4 src0_sel:BYTE_3 src1_sel:DWORD
	s_mov_b64 s[4:5], -1
                                        ; implicit-def: $sgpr10
	s_and_saveexec_b64 s[8:9], s[12:13]
; %bb.3230:
	s_mov_b32 s10, 0x7f800001
	s_xor_b64 s[4:5], exec, -1
; %bb.3231:
	s_or_b64 exec, exec, s[8:9]
	s_and_b64 s[4:5], s[4:5], exec
	s_or_saveexec_b64 s[6:7], s[6:7]
	v_mov_b32_e32 v6, s10
	s_xor_b64 exec, exec, s[6:7]
	s_cbranch_execz .LBB35_1182
.LBB35_3232:
	v_mov_b32_e32 v6, 0
	v_cmp_ne_u16_sdwa s[8:9], v2, v6 src0_sel:BYTE_3 src1_sel:DWORD
	s_andn2_b64 s[4:5], s[4:5], exec
	s_and_b64 s[8:9], s[8:9], exec
	s_or_b64 s[4:5], s[4:5], s[8:9]
	s_or_b64 exec, exec, s[6:7]
	s_and_saveexec_b64 s[6:7], s[4:5]
	s_cbranch_execnz .LBB35_1183
	s_branch .LBB35_1184
.LBB35_3233:
	s_movk_i32 s4, 0x80
	v_cmp_eq_u16_sdwa s[12:13], v7, s4 src0_sel:BYTE_0 src1_sel:DWORD
	s_mov_b64 s[4:5], -1
                                        ; implicit-def: $sgpr10
	s_and_saveexec_b64 s[8:9], s[12:13]
; %bb.3234:
	s_mov_b32 s10, 0x7f800001
	s_xor_b64 s[4:5], exec, -1
; %bb.3235:
	s_or_b64 exec, exec, s[8:9]
	s_and_b64 s[4:5], s[4:5], exec
	s_or_saveexec_b64 s[6:7], s[6:7]
	v_mov_b32_e32 v2, s10
	s_xor_b64 exec, exec, s[6:7]
	s_cbranch_execz .LBB35_1186
.LBB35_3236:
	v_mov_b32_e32 v2, 0
	v_cmp_ne_u16_sdwa s[8:9], v7, v2 src0_sel:BYTE_0 src1_sel:DWORD
	s_andn2_b64 s[4:5], s[4:5], exec
	s_and_b64 s[8:9], s[8:9], exec
	s_or_b64 s[4:5], s[4:5], s[8:9]
	s_or_b64 exec, exec, s[6:7]
	s_and_saveexec_b64 s[6:7], s[4:5]
	s_cbranch_execnz .LBB35_1187
	s_branch .LBB35_1188
.LBB35_3237:
	s_movk_i32 s4, 0x80
	v_cmp_eq_u16_sdwa s[12:13], v3, s4 src0_sel:BYTE_0 src1_sel:DWORD
	s_mov_b64 s[4:5], -1
                                        ; implicit-def: $sgpr10
	s_and_saveexec_b64 s[8:9], s[12:13]
; %bb.3238:
	s_mov_b32 s10, 0x7f800001
	s_xor_b64 s[4:5], exec, -1
; %bb.3239:
	s_or_b64 exec, exec, s[8:9]
	s_and_b64 s[4:5], s[4:5], exec
	s_or_saveexec_b64 s[6:7], s[6:7]
	v_mov_b32_e32 v6, s10
	s_xor_b64 exec, exec, s[6:7]
	s_cbranch_execz .LBB35_1190
.LBB35_3240:
	v_mov_b32_e32 v6, 0
	v_cmp_ne_u16_sdwa s[8:9], v3, v6 src0_sel:BYTE_0 src1_sel:DWORD
	s_andn2_b64 s[4:5], s[4:5], exec
	s_and_b64 s[8:9], s[8:9], exec
	s_or_b64 s[4:5], s[4:5], s[8:9]
	s_or_b64 exec, exec, s[6:7]
	s_and_saveexec_b64 s[6:7], s[4:5]
	s_cbranch_execnz .LBB35_1191
	s_branch .LBB35_1192
.LBB35_3241:
	s_movk_i32 s4, 0x80
	v_cmp_eq_u16_sdwa s[12:13], v6, s4 src0_sel:BYTE_0 src1_sel:DWORD
	s_mov_b64 s[4:5], -1
                                        ; implicit-def: $sgpr10
	s_and_saveexec_b64 s[8:9], s[12:13]
; %bb.3242:
	s_mov_b32 s10, 0x7f800001
	s_xor_b64 s[4:5], exec, -1
; %bb.3243:
	s_or_b64 exec, exec, s[8:9]
	s_and_b64 s[4:5], s[4:5], exec
	s_or_saveexec_b64 s[6:7], s[6:7]
	v_mov_b32_e32 v2, s10
	s_xor_b64 exec, exec, s[6:7]
	s_cbranch_execz .LBB35_1194
.LBB35_3244:
	v_mov_b32_e32 v2, 0
	v_cmp_ne_u16_sdwa s[8:9], v6, v2 src0_sel:BYTE_0 src1_sel:DWORD
	s_andn2_b64 s[4:5], s[4:5], exec
	s_and_b64 s[8:9], s[8:9], exec
	s_or_b64 s[4:5], s[4:5], s[8:9]
	s_or_b64 exec, exec, s[6:7]
	s_and_saveexec_b64 s[6:7], s[4:5]
	s_cbranch_execnz .LBB35_1195
	s_branch .LBB35_1196
.LBB35_3245:
	s_movk_i32 s4, 0x80
	v_cmp_eq_u16_sdwa s[12:13], v6, s4 src0_sel:BYTE_0 src1_sel:DWORD
	s_mov_b64 s[4:5], -1
                                        ; implicit-def: $sgpr10
	s_and_saveexec_b64 s[8:9], s[12:13]
; %bb.3246:
	s_mov_b32 s10, 0x7f800001
	s_xor_b64 s[4:5], exec, -1
; %bb.3247:
	s_or_b64 exec, exec, s[8:9]
	s_and_b64 s[4:5], s[4:5], exec
	s_or_saveexec_b64 s[6:7], s[6:7]
	v_mov_b32_e32 v10, s10
	s_xor_b64 exec, exec, s[6:7]
	s_cbranch_execz .LBB35_1198
.LBB35_3248:
	v_mov_b32_e32 v10, 0
	v_cmp_ne_u16_sdwa s[8:9], v6, v10 src0_sel:BYTE_0 src1_sel:DWORD
	s_andn2_b64 s[4:5], s[4:5], exec
	s_and_b64 s[8:9], s[8:9], exec
	s_or_b64 s[4:5], s[4:5], s[8:9]
	s_or_b64 exec, exec, s[6:7]
	s_and_saveexec_b64 s[6:7], s[4:5]
	s_cbranch_execnz .LBB35_1199
	s_branch .LBB35_1200
.LBB35_3249:
	s_movk_i32 s4, 0x80
	v_cmp_eq_u16_e32 vcc, s4, v6
	s_mov_b64 s[4:5], -1
                                        ; implicit-def: $sgpr10
	s_and_saveexec_b64 s[8:9], vcc
; %bb.3250:
	s_mov_b32 s10, 0x7f800001
	s_xor_b64 s[4:5], exec, -1
; %bb.3251:
	s_or_b64 exec, exec, s[8:9]
	s_and_b64 s[4:5], s[4:5], exec
                                        ; implicit-def: $vgpr6
	s_or_saveexec_b64 s[6:7], s[6:7]
	v_mov_b32_e32 v2, s10
	s_xor_b64 exec, exec, s[6:7]
	s_cbranch_execz .LBB35_1202
.LBB35_3252:
	v_cmp_ne_u16_e32 vcc, 0, v6
	s_andn2_b64 s[4:5], s[4:5], exec
	s_and_b64 s[8:9], vcc, exec
	v_mov_b32_e32 v2, 0
	s_or_b64 s[4:5], s[4:5], s[8:9]
	s_or_b64 exec, exec, s[6:7]
	s_and_saveexec_b64 s[6:7], s[4:5]
	s_cbranch_execnz .LBB35_1203
	s_branch .LBB35_1204
.LBB35_3253:
	s_movk_i32 s4, 0x80
	v_cmp_eq_u16_e32 vcc, s4, v6
	s_mov_b64 s[4:5], -1
                                        ; implicit-def: $sgpr10
	s_and_saveexec_b64 s[8:9], vcc
; %bb.3254:
	s_mov_b32 s10, 0x7f800001
	s_xor_b64 s[4:5], exec, -1
; %bb.3255:
	s_or_b64 exec, exec, s[8:9]
	s_and_b64 s[4:5], s[4:5], exec
                                        ; implicit-def: $vgpr6
	s_or_saveexec_b64 s[6:7], s[6:7]
	v_mov_b32_e32 v10, s10
	s_xor_b64 exec, exec, s[6:7]
	s_cbranch_execz .LBB35_1206
.LBB35_3256:
	v_cmp_ne_u16_e32 vcc, 0, v6
	s_andn2_b64 s[4:5], s[4:5], exec
	s_and_b64 s[8:9], vcc, exec
	v_mov_b32_e32 v10, 0
	s_or_b64 s[4:5], s[4:5], s[8:9]
	s_or_b64 exec, exec, s[6:7]
	s_and_saveexec_b64 s[6:7], s[4:5]
	s_cbranch_execnz .LBB35_1207
	s_branch .LBB35_1208
.LBB35_3257:
	s_movk_i32 s4, 0x80
	v_cmp_eq_u16_sdwa s[12:13], v7, s4 src0_sel:BYTE_3 src1_sel:DWORD
	s_mov_b64 s[4:5], -1
                                        ; implicit-def: $sgpr10
	s_and_saveexec_b64 s[8:9], s[12:13]
; %bb.3258:
	s_mov_b32 s10, 0x7f800001
	s_xor_b64 s[4:5], exec, -1
; %bb.3259:
	s_or_b64 exec, exec, s[8:9]
	s_and_b64 s[4:5], s[4:5], exec
	s_or_saveexec_b64 s[6:7], s[6:7]
	v_mov_b32_e32 v2, s10
	s_xor_b64 exec, exec, s[6:7]
	s_cbranch_execz .LBB35_1210
.LBB35_3260:
	v_mov_b32_e32 v2, 0
	v_cmp_ne_u16_sdwa s[8:9], v7, v2 src0_sel:BYTE_3 src1_sel:DWORD
	s_andn2_b64 s[4:5], s[4:5], exec
	s_and_b64 s[8:9], s[8:9], exec
	s_or_b64 s[4:5], s[4:5], s[8:9]
	s_or_b64 exec, exec, s[6:7]
	s_and_saveexec_b64 s[6:7], s[4:5]
	s_cbranch_execnz .LBB35_1211
	s_branch .LBB35_1212
.LBB35_3261:
	s_movk_i32 s4, 0x80
	v_cmp_eq_u16_sdwa s[12:13], v3, s4 src0_sel:BYTE_3 src1_sel:DWORD
	s_mov_b64 s[4:5], -1
                                        ; implicit-def: $sgpr10
	s_and_saveexec_b64 s[8:9], s[12:13]
; %bb.3262:
	s_mov_b32 s10, 0x7f800001
	s_xor_b64 s[4:5], exec, -1
; %bb.3263:
	s_or_b64 exec, exec, s[8:9]
	s_and_b64 s[4:5], s[4:5], exec
	s_or_saveexec_b64 s[6:7], s[6:7]
	v_mov_b32_e32 v6, s10
	s_xor_b64 exec, exec, s[6:7]
	s_cbranch_execz .LBB35_1214
.LBB35_3264:
	v_mov_b32_e32 v6, 0
	v_cmp_ne_u16_sdwa s[8:9], v3, v6 src0_sel:BYTE_3 src1_sel:DWORD
	s_andn2_b64 s[4:5], s[4:5], exec
	s_and_b64 s[8:9], s[8:9], exec
	s_or_b64 s[4:5], s[4:5], s[8:9]
	s_or_b64 exec, exec, s[6:7]
	s_and_saveexec_b64 s[6:7], s[4:5]
	s_cbranch_execnz .LBB35_1215
	s_branch .LBB35_1216
.LBB35_3265:
	s_movk_i32 s4, 0x80
	v_cmp_eq_u16_sdwa s[12:13], v8, s4 src0_sel:BYTE_0 src1_sel:DWORD
	s_mov_b64 s[4:5], -1
                                        ; implicit-def: $sgpr10
	s_and_saveexec_b64 s[8:9], s[12:13]
; %bb.3266:
	s_mov_b32 s10, 0x7f800001
	s_xor_b64 s[4:5], exec, -1
; %bb.3267:
	s_or_b64 exec, exec, s[8:9]
	s_and_b64 s[4:5], s[4:5], exec
	s_or_saveexec_b64 s[6:7], s[6:7]
	v_mov_b32_e32 v2, s10
	s_xor_b64 exec, exec, s[6:7]
	s_cbranch_execz .LBB35_1218
.LBB35_3268:
	v_mov_b32_e32 v2, 0
	v_cmp_ne_u16_sdwa s[8:9], v8, v2 src0_sel:BYTE_0 src1_sel:DWORD
	s_andn2_b64 s[4:5], s[4:5], exec
	s_and_b64 s[8:9], s[8:9], exec
	s_or_b64 s[4:5], s[4:5], s[8:9]
	s_or_b64 exec, exec, s[6:7]
	s_and_saveexec_b64 s[6:7], s[4:5]
	s_cbranch_execnz .LBB35_1219
	s_branch .LBB35_1220
.LBB35_3269:
	s_movk_i32 s4, 0x80
	v_cmp_eq_u16_sdwa s[12:13], v4, s4 src0_sel:BYTE_0 src1_sel:DWORD
	s_mov_b64 s[4:5], -1
                                        ; implicit-def: $sgpr10
	s_and_saveexec_b64 s[8:9], s[12:13]
; %bb.3270:
	s_mov_b32 s10, 0x7f800001
	s_xor_b64 s[4:5], exec, -1
; %bb.3271:
	s_or_b64 exec, exec, s[8:9]
	s_and_b64 s[4:5], s[4:5], exec
	s_or_saveexec_b64 s[6:7], s[6:7]
	v_mov_b32_e32 v3, s10
	s_xor_b64 exec, exec, s[6:7]
	s_cbranch_execz .LBB35_1222
.LBB35_3272:
	v_mov_b32_e32 v3, 0
	v_cmp_ne_u16_sdwa s[8:9], v4, v3 src0_sel:BYTE_0 src1_sel:DWORD
	s_andn2_b64 s[4:5], s[4:5], exec
	s_and_b64 s[8:9], s[8:9], exec
	s_or_b64 s[4:5], s[4:5], s[8:9]
	s_or_b64 exec, exec, s[6:7]
	s_and_saveexec_b64 s[6:7], s[4:5]
	s_cbranch_execnz .LBB35_1223
	s_branch .LBB35_1224
.LBB35_3273:
	s_movk_i32 s4, 0x80
	v_cmp_eq_u16_sdwa s[12:13], v3, s4 src0_sel:BYTE_0 src1_sel:DWORD
	s_mov_b64 s[4:5], -1
                                        ; implicit-def: $sgpr10
	s_and_saveexec_b64 s[8:9], s[12:13]
; %bb.3274:
	s_mov_b32 s10, 0x7f800001
	s_xor_b64 s[4:5], exec, -1
; %bb.3275:
	s_or_b64 exec, exec, s[8:9]
	s_and_b64 s[4:5], s[4:5], exec
	s_or_saveexec_b64 s[6:7], s[6:7]
	v_mov_b32_e32 v2, s10
	s_xor_b64 exec, exec, s[6:7]
	s_cbranch_execz .LBB35_1226
.LBB35_3276:
	v_mov_b32_e32 v2, 0
	v_cmp_ne_u16_sdwa s[8:9], v3, v2 src0_sel:BYTE_0 src1_sel:DWORD
	s_andn2_b64 s[4:5], s[4:5], exec
	s_and_b64 s[8:9], s[8:9], exec
	s_or_b64 s[4:5], s[4:5], s[8:9]
	s_or_b64 exec, exec, s[6:7]
	s_and_saveexec_b64 s[6:7], s[4:5]
	s_cbranch_execnz .LBB35_1227
	s_branch .LBB35_1228
.LBB35_3277:
	s_movk_i32 s4, 0x80
	v_cmp_eq_u16_sdwa s[12:13], v3, s4 src0_sel:BYTE_0 src1_sel:DWORD
	s_mov_b64 s[4:5], -1
                                        ; implicit-def: $sgpr10
	s_and_saveexec_b64 s[8:9], s[12:13]
; %bb.3278:
	s_mov_b32 s10, 0x7f800001
	s_xor_b64 s[4:5], exec, -1
; %bb.3279:
	s_or_b64 exec, exec, s[8:9]
	s_and_b64 s[4:5], s[4:5], exec
	s_or_saveexec_b64 s[6:7], s[6:7]
	v_mov_b32_e32 v6, s10
	s_xor_b64 exec, exec, s[6:7]
	s_cbranch_execz .LBB35_1230
.LBB35_3280:
	v_mov_b32_e32 v6, 0
	v_cmp_ne_u16_sdwa s[8:9], v3, v6 src0_sel:BYTE_0 src1_sel:DWORD
	s_andn2_b64 s[4:5], s[4:5], exec
	s_and_b64 s[8:9], s[8:9], exec
	s_or_b64 s[4:5], s[4:5], s[8:9]
	s_or_b64 exec, exec, s[6:7]
	s_and_saveexec_b64 s[6:7], s[4:5]
	s_cbranch_execnz .LBB35_1231
	s_branch .LBB35_1232
.LBB35_3281:
	s_movk_i32 s4, 0x80
	v_cmp_eq_u16_e32 vcc, s4, v3
	s_mov_b64 s[4:5], -1
                                        ; implicit-def: $sgpr10
	s_and_saveexec_b64 s[8:9], vcc
; %bb.3282:
	s_mov_b32 s10, 0x7f800001
	s_xor_b64 s[4:5], exec, -1
; %bb.3283:
	s_or_b64 exec, exec, s[8:9]
	s_and_b64 s[4:5], s[4:5], exec
                                        ; implicit-def: $vgpr3
	s_or_saveexec_b64 s[6:7], s[6:7]
	v_mov_b32_e32 v2, s10
	s_xor_b64 exec, exec, s[6:7]
	s_cbranch_execz .LBB35_1234
.LBB35_3284:
	v_cmp_ne_u16_e32 vcc, 0, v3
	s_andn2_b64 s[4:5], s[4:5], exec
	s_and_b64 s[8:9], vcc, exec
	v_mov_b32_e32 v2, 0
	s_or_b64 s[4:5], s[4:5], s[8:9]
	s_or_b64 exec, exec, s[6:7]
	s_and_saveexec_b64 s[6:7], s[4:5]
	s_cbranch_execnz .LBB35_1235
	s_branch .LBB35_1236
.LBB35_3285:
	s_movk_i32 s4, 0x80
	v_cmp_eq_u16_e32 vcc, s4, v3
	s_mov_b64 s[4:5], -1
                                        ; implicit-def: $sgpr10
	s_and_saveexec_b64 s[8:9], vcc
; %bb.3286:
	s_mov_b32 s10, 0x7f800001
	s_xor_b64 s[4:5], exec, -1
; %bb.3287:
	s_or_b64 exec, exec, s[8:9]
	s_and_b64 s[4:5], s[4:5], exec
                                        ; implicit-def: $vgpr3
	s_or_saveexec_b64 s[6:7], s[6:7]
	v_mov_b32_e32 v6, s10
	s_xor_b64 exec, exec, s[6:7]
	s_cbranch_execz .LBB35_1238
.LBB35_3288:
	v_cmp_ne_u16_e32 vcc, 0, v3
	s_andn2_b64 s[4:5], s[4:5], exec
	s_and_b64 s[8:9], vcc, exec
	v_mov_b32_e32 v6, 0
	s_or_b64 s[4:5], s[4:5], s[8:9]
	s_or_b64 exec, exec, s[6:7]
	s_and_saveexec_b64 s[6:7], s[4:5]
	s_cbranch_execnz .LBB35_1239
	s_branch .LBB35_1240
.LBB35_3289:
	s_movk_i32 s4, 0x80
	v_cmp_eq_u16_sdwa s[12:13], v8, s4 src0_sel:BYTE_3 src1_sel:DWORD
	s_mov_b64 s[4:5], -1
                                        ; implicit-def: $sgpr10
	s_and_saveexec_b64 s[8:9], s[12:13]
; %bb.3290:
	s_mov_b32 s10, 0x7f800001
	s_xor_b64 s[4:5], exec, -1
; %bb.3291:
	s_or_b64 exec, exec, s[8:9]
	s_and_b64 s[4:5], s[4:5], exec
	s_or_saveexec_b64 s[6:7], s[6:7]
	v_mov_b32_e32 v2, s10
	s_xor_b64 exec, exec, s[6:7]
	s_cbranch_execz .LBB35_1242
.LBB35_3292:
	v_mov_b32_e32 v2, 0
	v_cmp_ne_u16_sdwa s[8:9], v8, v2 src0_sel:BYTE_3 src1_sel:DWORD
	s_andn2_b64 s[4:5], s[4:5], exec
	s_and_b64 s[8:9], s[8:9], exec
	s_or_b64 s[4:5], s[4:5], s[8:9]
	s_or_b64 exec, exec, s[6:7]
	s_and_saveexec_b64 s[6:7], s[4:5]
	s_cbranch_execnz .LBB35_1243
	s_branch .LBB35_1244
.LBB35_3293:
	s_movk_i32 s4, 0x80
	v_cmp_eq_u16_sdwa s[12:13], v4, s4 src0_sel:BYTE_3 src1_sel:DWORD
	s_mov_b64 s[4:5], -1
                                        ; implicit-def: $sgpr10
	s_and_saveexec_b64 s[8:9], s[12:13]
; %bb.3294:
	s_mov_b32 s10, 0x7f800001
	s_xor_b64 s[4:5], exec, -1
; %bb.3295:
	s_or_b64 exec, exec, s[8:9]
	s_and_b64 s[4:5], s[4:5], exec
	s_or_saveexec_b64 s[6:7], s[6:7]
	v_mov_b32_e32 v3, s10
	s_xor_b64 exec, exec, s[6:7]
	s_cbranch_execz .LBB35_1246
.LBB35_3296:
	v_mov_b32_e32 v3, 0
	v_cmp_ne_u16_sdwa s[8:9], v4, v3 src0_sel:BYTE_3 src1_sel:DWORD
	s_andn2_b64 s[4:5], s[4:5], exec
	s_and_b64 s[8:9], s[8:9], exec
	s_or_b64 s[4:5], s[4:5], s[8:9]
	s_or_b64 exec, exec, s[6:7]
	s_and_saveexec_b64 s[6:7], s[4:5]
	s_cbranch_execnz .LBB35_1247
	s_branch .LBB35_1248
.LBB35_3297:
	s_movk_i32 s4, 0x80
	v_cmp_eq_u16_sdwa s[12:13], v9, s4 src0_sel:BYTE_0 src1_sel:DWORD
	s_mov_b64 s[4:5], -1
                                        ; implicit-def: $sgpr10
	s_and_saveexec_b64 s[8:9], s[12:13]
; %bb.3298:
	s_mov_b32 s10, 0x7f800001
	s_xor_b64 s[4:5], exec, -1
; %bb.3299:
	s_or_b64 exec, exec, s[8:9]
	s_and_b64 s[4:5], s[4:5], exec
	s_or_saveexec_b64 s[6:7], s[6:7]
	v_mov_b32_e32 v2, s10
	s_xor_b64 exec, exec, s[6:7]
	s_cbranch_execz .LBB35_1250
.LBB35_3300:
	v_mov_b32_e32 v2, 0
	v_cmp_ne_u16_sdwa s[8:9], v9, v2 src0_sel:BYTE_0 src1_sel:DWORD
	s_andn2_b64 s[4:5], s[4:5], exec
	s_and_b64 s[8:9], s[8:9], exec
	s_or_b64 s[4:5], s[4:5], s[8:9]
	s_or_b64 exec, exec, s[6:7]
	s_and_saveexec_b64 s[6:7], s[4:5]
	s_cbranch_execnz .LBB35_1251
	s_branch .LBB35_1252
.LBB35_3301:
	s_movk_i32 s4, 0x80
	v_cmp_eq_u16_sdwa s[12:13], v5, s4 src0_sel:BYTE_0 src1_sel:DWORD
	s_mov_b64 s[4:5], -1
                                        ; implicit-def: $sgpr10
	s_and_saveexec_b64 s[8:9], s[12:13]
; %bb.3302:
	s_mov_b32 s10, 0x7f800001
	s_xor_b64 s[4:5], exec, -1
; %bb.3303:
	s_or_b64 exec, exec, s[8:9]
	s_and_b64 s[4:5], s[4:5], exec
	s_or_saveexec_b64 s[6:7], s[6:7]
	v_mov_b32_e32 v3, s10
	s_xor_b64 exec, exec, s[6:7]
	s_cbranch_execz .LBB35_1254
.LBB35_3304:
	v_mov_b32_e32 v3, 0
	v_cmp_ne_u16_sdwa s[8:9], v5, v3 src0_sel:BYTE_0 src1_sel:DWORD
	s_andn2_b64 s[4:5], s[4:5], exec
	s_and_b64 s[8:9], s[8:9], exec
	s_or_b64 s[4:5], s[4:5], s[8:9]
	s_or_b64 exec, exec, s[6:7]
	s_and_saveexec_b64 s[6:7], s[4:5]
	s_cbranch_execnz .LBB35_1255
	s_branch .LBB35_1256
.LBB35_3305:
	s_movk_i32 s4, 0x80
	v_cmp_eq_u16_sdwa s[12:13], v3, s4 src0_sel:BYTE_0 src1_sel:DWORD
	s_mov_b64 s[4:5], -1
                                        ; implicit-def: $sgpr10
	s_and_saveexec_b64 s[8:9], s[12:13]
; %bb.3306:
	s_mov_b32 s10, 0x7f800001
	s_xor_b64 s[4:5], exec, -1
; %bb.3307:
	s_or_b64 exec, exec, s[8:9]
	s_and_b64 s[4:5], s[4:5], exec
	s_or_saveexec_b64 s[6:7], s[6:7]
	v_mov_b32_e32 v2, s10
	s_xor_b64 exec, exec, s[6:7]
	s_cbranch_execz .LBB35_1258
.LBB35_3308:
	v_mov_b32_e32 v2, 0
	v_cmp_ne_u16_sdwa s[8:9], v3, v2 src0_sel:BYTE_0 src1_sel:DWORD
	s_andn2_b64 s[4:5], s[4:5], exec
	s_and_b64 s[8:9], s[8:9], exec
	s_or_b64 s[4:5], s[4:5], s[8:9]
	s_or_b64 exec, exec, s[6:7]
	s_and_saveexec_b64 s[6:7], s[4:5]
	s_cbranch_execnz .LBB35_1259
	s_branch .LBB35_1260
.LBB35_3309:
	s_movk_i32 s4, 0x80
	v_cmp_eq_u16_sdwa s[12:13], v3, s4 src0_sel:BYTE_0 src1_sel:DWORD
	s_mov_b64 s[4:5], -1
                                        ; implicit-def: $sgpr10
	s_and_saveexec_b64 s[8:9], s[12:13]
; %bb.3310:
	s_mov_b32 s10, 0x7f800001
	s_xor_b64 s[4:5], exec, -1
; %bb.3311:
	s_or_b64 exec, exec, s[8:9]
	s_and_b64 s[4:5], s[4:5], exec
	s_or_saveexec_b64 s[6:7], s[6:7]
	v_mov_b32_e32 v4, s10
	s_xor_b64 exec, exec, s[6:7]
	s_cbranch_execz .LBB35_1262
.LBB35_3312:
	v_mov_b32_e32 v4, 0
	v_cmp_ne_u16_sdwa s[8:9], v3, v4 src0_sel:BYTE_0 src1_sel:DWORD
	s_andn2_b64 s[4:5], s[4:5], exec
	s_and_b64 s[8:9], s[8:9], exec
	s_or_b64 s[4:5], s[4:5], s[8:9]
	s_or_b64 exec, exec, s[6:7]
	s_and_saveexec_b64 s[6:7], s[4:5]
	s_cbranch_execnz .LBB35_1263
	s_branch .LBB35_1264
.LBB35_3313:
	s_movk_i32 s4, 0x80
	v_cmp_eq_u16_e32 vcc, s4, v3
	s_mov_b64 s[4:5], -1
                                        ; implicit-def: $sgpr10
	s_and_saveexec_b64 s[8:9], vcc
; %bb.3314:
	s_mov_b32 s10, 0x7f800001
	s_xor_b64 s[4:5], exec, -1
; %bb.3315:
	s_or_b64 exec, exec, s[8:9]
	s_and_b64 s[4:5], s[4:5], exec
                                        ; implicit-def: $vgpr3
	s_or_saveexec_b64 s[6:7], s[6:7]
	v_mov_b32_e32 v2, s10
	s_xor_b64 exec, exec, s[6:7]
	s_cbranch_execz .LBB35_1266
.LBB35_3316:
	v_cmp_ne_u16_e32 vcc, 0, v3
	s_andn2_b64 s[4:5], s[4:5], exec
	s_and_b64 s[8:9], vcc, exec
	v_mov_b32_e32 v2, 0
	s_or_b64 s[4:5], s[4:5], s[8:9]
	s_or_b64 exec, exec, s[6:7]
	s_and_saveexec_b64 s[6:7], s[4:5]
	s_cbranch_execnz .LBB35_1267
	s_branch .LBB35_1268
.LBB35_3317:
	s_movk_i32 s4, 0x80
	v_cmp_eq_u16_e32 vcc, s4, v3
	s_mov_b64 s[4:5], -1
                                        ; implicit-def: $sgpr10
	s_and_saveexec_b64 s[8:9], vcc
; %bb.3318:
	s_mov_b32 s10, 0x7f800001
	s_xor_b64 s[4:5], exec, -1
; %bb.3319:
	s_or_b64 exec, exec, s[8:9]
	s_and_b64 s[4:5], s[4:5], exec
                                        ; implicit-def: $vgpr3
	s_or_saveexec_b64 s[6:7], s[6:7]
	v_mov_b32_e32 v4, s10
	s_xor_b64 exec, exec, s[6:7]
	s_cbranch_execz .LBB35_1270
.LBB35_3320:
	v_cmp_ne_u16_e32 vcc, 0, v3
	s_andn2_b64 s[4:5], s[4:5], exec
	s_and_b64 s[8:9], vcc, exec
	v_mov_b32_e32 v4, 0
	s_or_b64 s[4:5], s[4:5], s[8:9]
	s_or_b64 exec, exec, s[6:7]
	s_and_saveexec_b64 s[6:7], s[4:5]
	s_cbranch_execnz .LBB35_1271
	s_branch .LBB35_1272
.LBB35_3321:
	s_movk_i32 s4, 0x80
	v_cmp_eq_u16_sdwa s[12:13], v9, s4 src0_sel:BYTE_3 src1_sel:DWORD
	s_mov_b64 s[4:5], -1
                                        ; implicit-def: $sgpr10
	s_and_saveexec_b64 s[8:9], s[12:13]
; %bb.3322:
	s_mov_b32 s10, 0x7f800001
	s_xor_b64 s[4:5], exec, -1
; %bb.3323:
	s_or_b64 exec, exec, s[8:9]
	s_and_b64 s[4:5], s[4:5], exec
	s_or_saveexec_b64 s[6:7], s[6:7]
	v_mov_b32_e32 v2, s10
	s_xor_b64 exec, exec, s[6:7]
	s_cbranch_execz .LBB35_1274
.LBB35_3324:
	v_mov_b32_e32 v2, 0
	v_cmp_ne_u16_sdwa s[8:9], v9, v2 src0_sel:BYTE_3 src1_sel:DWORD
	s_andn2_b64 s[4:5], s[4:5], exec
	s_and_b64 s[8:9], s[8:9], exec
	s_or_b64 s[4:5], s[4:5], s[8:9]
	s_or_b64 exec, exec, s[6:7]
	s_and_saveexec_b64 s[6:7], s[4:5]
	s_cbranch_execnz .LBB35_1275
	s_branch .LBB35_1276
.LBB35_3325:
	s_movk_i32 s4, 0x80
	v_cmp_eq_u16_sdwa s[12:13], v5, s4 src0_sel:BYTE_3 src1_sel:DWORD
	s_mov_b64 s[4:5], -1
                                        ; implicit-def: $sgpr10
	s_and_saveexec_b64 s[8:9], s[12:13]
; %bb.3326:
	s_mov_b32 s10, 0x7f800001
	s_xor_b64 s[4:5], exec, -1
; %bb.3327:
	s_or_b64 exec, exec, s[8:9]
	s_and_b64 s[4:5], s[4:5], exec
	s_or_saveexec_b64 s[6:7], s[6:7]
	v_mov_b32_e32 v3, s10
	s_xor_b64 exec, exec, s[6:7]
	s_cbranch_execz .LBB35_1278
.LBB35_3328:
	v_mov_b32_e32 v3, 0
	v_cmp_ne_u16_sdwa s[8:9], v5, v3 src0_sel:BYTE_3 src1_sel:DWORD
	s_andn2_b64 s[4:5], s[4:5], exec
	s_and_b64 s[8:9], s[8:9], exec
	s_or_b64 s[4:5], s[4:5], s[8:9]
	s_or_b64 exec, exec, s[6:7]
	s_and_saveexec_b64 s[6:7], s[4:5]
	s_cbranch_execnz .LBB35_1279
	s_branch .LBB35_1280
.LBB35_3329:
	s_movk_i32 s4, 0x80
	v_cmp_eq_u16_sdwa s[12:13], v14, s4 src0_sel:BYTE_0 src1_sel:DWORD
	s_mov_b64 s[4:5], -1
                                        ; implicit-def: $sgpr10
	s_and_saveexec_b64 s[8:9], s[12:13]
; %bb.3330:
	s_mov_b32 s10, 0x7f800001
	s_xor_b64 s[4:5], exec, -1
; %bb.3331:
	s_or_b64 exec, exec, s[8:9]
	s_and_b64 s[4:5], s[4:5], exec
	s_or_saveexec_b64 s[6:7], s[6:7]
	v_mov_b32_e32 v20, s10
	s_xor_b64 exec, exec, s[6:7]
	s_cbranch_execz .LBB35_1282
.LBB35_3332:
	v_mov_b32_e32 v20, 0
	v_cmp_ne_u16_sdwa s[8:9], v14, v20 src0_sel:BYTE_0 src1_sel:DWORD
	s_andn2_b64 s[4:5], s[4:5], exec
	s_and_b64 s[8:9], s[8:9], exec
	s_or_b64 s[4:5], s[4:5], s[8:9]
	s_or_b64 exec, exec, s[6:7]
	s_and_saveexec_b64 s[6:7], s[4:5]
	s_cbranch_execnz .LBB35_1283
	s_branch .LBB35_1284
.LBB35_3333:
	s_movk_i32 s4, 0x80
	v_cmp_eq_u16_sdwa s[12:13], v10, s4 src0_sel:BYTE_0 src1_sel:DWORD
	s_mov_b64 s[4:5], -1
                                        ; implicit-def: $sgpr10
	s_and_saveexec_b64 s[8:9], s[12:13]
; %bb.3334:
	s_mov_b32 s10, 0x7f800001
	s_xor_b64 s[4:5], exec, -1
; %bb.3335:
	s_or_b64 exec, exec, s[8:9]
	s_and_b64 s[4:5], s[4:5], exec
	s_or_saveexec_b64 s[6:7], s[6:7]
	v_mov_b32_e32 v21, s10
	s_xor_b64 exec, exec, s[6:7]
	s_cbranch_execz .LBB35_1286
.LBB35_3336:
	v_mov_b32_e32 v21, 0
	v_cmp_ne_u16_sdwa s[8:9], v10, v21 src0_sel:BYTE_0 src1_sel:DWORD
	s_andn2_b64 s[4:5], s[4:5], exec
	s_and_b64 s[8:9], s[8:9], exec
	s_or_b64 s[4:5], s[4:5], s[8:9]
	s_or_b64 exec, exec, s[6:7]
	s_and_saveexec_b64 s[6:7], s[4:5]
	s_cbranch_execnz .LBB35_1287
	s_branch .LBB35_1288
.LBB35_3337:
	s_movk_i32 s4, 0x80
	v_cmp_eq_u16_sdwa s[12:13], v21, s4 src0_sel:BYTE_0 src1_sel:DWORD
	s_mov_b64 s[4:5], -1
                                        ; implicit-def: $sgpr10
	s_and_saveexec_b64 s[8:9], s[12:13]
; %bb.3338:
	s_mov_b32 s10, 0x7f800001
	s_xor_b64 s[4:5], exec, -1
; %bb.3339:
	s_or_b64 exec, exec, s[8:9]
	s_and_b64 s[4:5], s[4:5], exec
	s_or_saveexec_b64 s[6:7], s[6:7]
	v_mov_b32_e32 v20, s10
	s_xor_b64 exec, exec, s[6:7]
	s_cbranch_execz .LBB35_1290
.LBB35_3340:
	v_mov_b32_e32 v20, 0
	v_cmp_ne_u16_sdwa s[8:9], v21, v20 src0_sel:BYTE_0 src1_sel:DWORD
	s_andn2_b64 s[4:5], s[4:5], exec
	s_and_b64 s[8:9], s[8:9], exec
	s_or_b64 s[4:5], s[4:5], s[8:9]
	s_or_b64 exec, exec, s[6:7]
	s_and_saveexec_b64 s[6:7], s[4:5]
	s_cbranch_execnz .LBB35_1291
	s_branch .LBB35_1292
.LBB35_3341:
	s_movk_i32 s4, 0x80
	v_cmp_eq_u16_sdwa s[12:13], v21, s4 src0_sel:BYTE_0 src1_sel:DWORD
	s_mov_b64 s[4:5], -1
                                        ; implicit-def: $sgpr10
	s_and_saveexec_b64 s[8:9], s[12:13]
; %bb.3342:
	s_mov_b32 s10, 0x7f800001
	s_xor_b64 s[4:5], exec, -1
; %bb.3343:
	s_or_b64 exec, exec, s[8:9]
	s_and_b64 s[4:5], s[4:5], exec
	s_or_saveexec_b64 s[6:7], s[6:7]
	v_mov_b32_e32 v22, s10
	s_xor_b64 exec, exec, s[6:7]
	s_cbranch_execz .LBB35_1294
.LBB35_3344:
	v_mov_b32_e32 v22, 0
	v_cmp_ne_u16_sdwa s[8:9], v21, v22 src0_sel:BYTE_0 src1_sel:DWORD
	s_andn2_b64 s[4:5], s[4:5], exec
	s_and_b64 s[8:9], s[8:9], exec
	s_or_b64 s[4:5], s[4:5], s[8:9]
	s_or_b64 exec, exec, s[6:7]
	s_and_saveexec_b64 s[6:7], s[4:5]
	s_cbranch_execnz .LBB35_1295
	s_branch .LBB35_1296
.LBB35_3345:
	s_movk_i32 s4, 0x80
	v_cmp_eq_u16_e32 vcc, s4, v21
	s_mov_b64 s[4:5], -1
                                        ; implicit-def: $sgpr10
	s_and_saveexec_b64 s[8:9], vcc
; %bb.3346:
	s_mov_b32 s10, 0x7f800001
	s_xor_b64 s[4:5], exec, -1
; %bb.3347:
	s_or_b64 exec, exec, s[8:9]
	s_and_b64 s[4:5], s[4:5], exec
                                        ; implicit-def: $vgpr21
	s_or_saveexec_b64 s[6:7], s[6:7]
	v_mov_b32_e32 v20, s10
	s_xor_b64 exec, exec, s[6:7]
	s_cbranch_execz .LBB35_1298
.LBB35_3348:
	v_cmp_ne_u16_e32 vcc, 0, v21
	s_andn2_b64 s[4:5], s[4:5], exec
	s_and_b64 s[8:9], vcc, exec
	v_mov_b32_e32 v20, 0
	s_or_b64 s[4:5], s[4:5], s[8:9]
	s_or_b64 exec, exec, s[6:7]
	s_and_saveexec_b64 s[6:7], s[4:5]
	s_cbranch_execnz .LBB35_1299
	s_branch .LBB35_1300
.LBB35_3349:
	s_movk_i32 s4, 0x80
	v_cmp_eq_u16_e32 vcc, s4, v21
	s_mov_b64 s[4:5], -1
                                        ; implicit-def: $sgpr10
	s_and_saveexec_b64 s[8:9], vcc
; %bb.3350:
	s_mov_b32 s10, 0x7f800001
	s_xor_b64 s[4:5], exec, -1
; %bb.3351:
	s_or_b64 exec, exec, s[8:9]
	s_and_b64 s[4:5], s[4:5], exec
                                        ; implicit-def: $vgpr21
	s_or_saveexec_b64 s[6:7], s[6:7]
	v_mov_b32_e32 v22, s10
	s_xor_b64 exec, exec, s[6:7]
	s_cbranch_execz .LBB35_1302
.LBB35_3352:
	v_cmp_ne_u16_e32 vcc, 0, v21
	s_andn2_b64 s[4:5], s[4:5], exec
	s_and_b64 s[8:9], vcc, exec
	v_mov_b32_e32 v22, 0
	s_or_b64 s[4:5], s[4:5], s[8:9]
	s_or_b64 exec, exec, s[6:7]
	s_and_saveexec_b64 s[6:7], s[4:5]
	s_cbranch_execnz .LBB35_1303
	s_branch .LBB35_1304
.LBB35_3353:
	s_movk_i32 s4, 0x80
	v_cmp_eq_u16_sdwa s[12:13], v14, s4 src0_sel:BYTE_3 src1_sel:DWORD
	s_mov_b64 s[4:5], -1
                                        ; implicit-def: $sgpr10
	s_and_saveexec_b64 s[8:9], s[12:13]
; %bb.3354:
	s_mov_b32 s10, 0x7f800001
	s_xor_b64 s[4:5], exec, -1
; %bb.3355:
	s_or_b64 exec, exec, s[8:9]
	s_and_b64 s[4:5], s[4:5], exec
	s_or_saveexec_b64 s[6:7], s[6:7]
	v_mov_b32_e32 v20, s10
	s_xor_b64 exec, exec, s[6:7]
	s_cbranch_execz .LBB35_1306
.LBB35_3356:
	v_mov_b32_e32 v20, 0
	v_cmp_ne_u16_sdwa s[8:9], v14, v20 src0_sel:BYTE_3 src1_sel:DWORD
	s_andn2_b64 s[4:5], s[4:5], exec
	s_and_b64 s[8:9], s[8:9], exec
	s_or_b64 s[4:5], s[4:5], s[8:9]
	s_or_b64 exec, exec, s[6:7]
	s_and_saveexec_b64 s[6:7], s[4:5]
	s_cbranch_execnz .LBB35_1307
	s_branch .LBB35_1308
.LBB35_3357:
	s_movk_i32 s4, 0x80
	v_cmp_eq_u16_sdwa s[12:13], v10, s4 src0_sel:BYTE_3 src1_sel:DWORD
	s_mov_b64 s[4:5], -1
                                        ; implicit-def: $sgpr10
	s_and_saveexec_b64 s[8:9], s[12:13]
; %bb.3358:
	s_mov_b32 s10, 0x7f800001
	s_xor_b64 s[4:5], exec, -1
; %bb.3359:
	s_or_b64 exec, exec, s[8:9]
	s_and_b64 s[4:5], s[4:5], exec
	s_or_saveexec_b64 s[6:7], s[6:7]
	v_mov_b32_e32 v14, s10
	s_xor_b64 exec, exec, s[6:7]
	s_cbranch_execz .LBB35_1310
.LBB35_3360:
	v_mov_b32_e32 v14, 0
	v_cmp_ne_u16_sdwa s[8:9], v10, v14 src0_sel:BYTE_3 src1_sel:DWORD
	s_andn2_b64 s[4:5], s[4:5], exec
	s_and_b64 s[8:9], s[8:9], exec
	s_or_b64 s[4:5], s[4:5], s[8:9]
	s_or_b64 exec, exec, s[6:7]
	s_and_saveexec_b64 s[6:7], s[4:5]
	s_cbranch_execnz .LBB35_1311
	s_branch .LBB35_1312
.LBB35_3361:
	s_movk_i32 s4, 0x80
	v_cmp_eq_u16_sdwa s[12:13], v15, s4 src0_sel:BYTE_0 src1_sel:DWORD
	s_mov_b64 s[4:5], -1
                                        ; implicit-def: $sgpr10
	s_and_saveexec_b64 s[8:9], s[12:13]
; %bb.3362:
	s_mov_b32 s10, 0x7f800001
	s_xor_b64 s[4:5], exec, -1
; %bb.3363:
	s_or_b64 exec, exec, s[8:9]
	s_and_b64 s[4:5], s[4:5], exec
	s_or_saveexec_b64 s[6:7], s[6:7]
	v_mov_b32_e32 v10, s10
	s_xor_b64 exec, exec, s[6:7]
	s_cbranch_execz .LBB35_1314
.LBB35_3364:
	v_mov_b32_e32 v10, 0
	v_cmp_ne_u16_sdwa s[8:9], v15, v10 src0_sel:BYTE_0 src1_sel:DWORD
	s_andn2_b64 s[4:5], s[4:5], exec
	s_and_b64 s[8:9], s[8:9], exec
	s_or_b64 s[4:5], s[4:5], s[8:9]
	s_or_b64 exec, exec, s[6:7]
	s_and_saveexec_b64 s[6:7], s[4:5]
	s_cbranch_execnz .LBB35_1315
	s_branch .LBB35_1316
.LBB35_3365:
	s_movk_i32 s4, 0x80
	v_cmp_eq_u16_sdwa s[12:13], v11, s4 src0_sel:BYTE_0 src1_sel:DWORD
	s_mov_b64 s[4:5], -1
                                        ; implicit-def: $sgpr10
	s_and_saveexec_b64 s[8:9], s[12:13]
; %bb.3366:
	s_mov_b32 s10, 0x7f800001
	s_xor_b64 s[4:5], exec, -1
; %bb.3367:
	s_or_b64 exec, exec, s[8:9]
	s_and_b64 s[4:5], s[4:5], exec
	s_or_saveexec_b64 s[6:7], s[6:7]
	v_mov_b32_e32 v14, s10
	s_xor_b64 exec, exec, s[6:7]
	s_cbranch_execz .LBB35_1318
.LBB35_3368:
	v_mov_b32_e32 v14, 0
	v_cmp_ne_u16_sdwa s[8:9], v11, v14 src0_sel:BYTE_0 src1_sel:DWORD
	s_andn2_b64 s[4:5], s[4:5], exec
	s_and_b64 s[8:9], s[8:9], exec
	s_or_b64 s[4:5], s[4:5], s[8:9]
	s_or_b64 exec, exec, s[6:7]
	s_and_saveexec_b64 s[6:7], s[4:5]
	s_cbranch_execnz .LBB35_1319
	s_branch .LBB35_1320
.LBB35_3369:
	s_movk_i32 s4, 0x80
	v_cmp_eq_u16_sdwa s[12:13], v14, s4 src0_sel:BYTE_0 src1_sel:DWORD
	s_mov_b64 s[4:5], -1
                                        ; implicit-def: $sgpr10
	s_and_saveexec_b64 s[8:9], s[12:13]
; %bb.3370:
	s_mov_b32 s10, 0x7f800001
	s_xor_b64 s[4:5], exec, -1
; %bb.3371:
	s_or_b64 exec, exec, s[8:9]
	s_and_b64 s[4:5], s[4:5], exec
	s_or_saveexec_b64 s[6:7], s[6:7]
	v_mov_b32_e32 v10, s10
	s_xor_b64 exec, exec, s[6:7]
	s_cbranch_execz .LBB35_1322
.LBB35_3372:
	v_mov_b32_e32 v10, 0
	v_cmp_ne_u16_sdwa s[8:9], v14, v10 src0_sel:BYTE_0 src1_sel:DWORD
	s_andn2_b64 s[4:5], s[4:5], exec
	s_and_b64 s[8:9], s[8:9], exec
	s_or_b64 s[4:5], s[4:5], s[8:9]
	s_or_b64 exec, exec, s[6:7]
	s_and_saveexec_b64 s[6:7], s[4:5]
	s_cbranch_execnz .LBB35_1323
	s_branch .LBB35_1324
.LBB35_3373:
	s_movk_i32 s4, 0x80
	v_cmp_eq_u16_sdwa s[12:13], v14, s4 src0_sel:BYTE_0 src1_sel:DWORD
	s_mov_b64 s[4:5], -1
                                        ; implicit-def: $sgpr10
	s_and_saveexec_b64 s[8:9], s[12:13]
; %bb.3374:
	s_mov_b32 s10, 0x7f800001
	s_xor_b64 s[4:5], exec, -1
; %bb.3375:
	s_or_b64 exec, exec, s[8:9]
	s_and_b64 s[4:5], s[4:5], exec
	s_or_saveexec_b64 s[6:7], s[6:7]
	v_mov_b32_e32 v20, s10
	s_xor_b64 exec, exec, s[6:7]
	s_cbranch_execz .LBB35_1326
.LBB35_3376:
	v_mov_b32_e32 v20, 0
	v_cmp_ne_u16_sdwa s[8:9], v14, v20 src0_sel:BYTE_0 src1_sel:DWORD
	s_andn2_b64 s[4:5], s[4:5], exec
	s_and_b64 s[8:9], s[8:9], exec
	s_or_b64 s[4:5], s[4:5], s[8:9]
	s_or_b64 exec, exec, s[6:7]
	s_and_saveexec_b64 s[6:7], s[4:5]
	s_cbranch_execnz .LBB35_1327
	s_branch .LBB35_1328
.LBB35_3377:
	s_movk_i32 s4, 0x80
	v_cmp_eq_u16_e32 vcc, s4, v14
	s_mov_b64 s[4:5], -1
                                        ; implicit-def: $sgpr10
	s_and_saveexec_b64 s[8:9], vcc
; %bb.3378:
	s_mov_b32 s10, 0x7f800001
	s_xor_b64 s[4:5], exec, -1
; %bb.3379:
	s_or_b64 exec, exec, s[8:9]
	s_and_b64 s[4:5], s[4:5], exec
                                        ; implicit-def: $vgpr14
	s_or_saveexec_b64 s[6:7], s[6:7]
	v_mov_b32_e32 v10, s10
	s_xor_b64 exec, exec, s[6:7]
	s_cbranch_execz .LBB35_1330
.LBB35_3380:
	v_cmp_ne_u16_e32 vcc, 0, v14
	s_andn2_b64 s[4:5], s[4:5], exec
	s_and_b64 s[8:9], vcc, exec
	v_mov_b32_e32 v10, 0
	s_or_b64 s[4:5], s[4:5], s[8:9]
	s_or_b64 exec, exec, s[6:7]
	s_and_saveexec_b64 s[6:7], s[4:5]
	s_cbranch_execnz .LBB35_1331
	s_branch .LBB35_1332
.LBB35_3381:
	s_movk_i32 s4, 0x80
	v_cmp_eq_u16_e32 vcc, s4, v14
	s_mov_b64 s[4:5], -1
                                        ; implicit-def: $sgpr10
	s_and_saveexec_b64 s[8:9], vcc
; %bb.3382:
	s_mov_b32 s10, 0x7f800001
	s_xor_b64 s[4:5], exec, -1
; %bb.3383:
	s_or_b64 exec, exec, s[8:9]
	s_and_b64 s[4:5], s[4:5], exec
                                        ; implicit-def: $vgpr14
	s_or_saveexec_b64 s[6:7], s[6:7]
	v_mov_b32_e32 v20, s10
	s_xor_b64 exec, exec, s[6:7]
	s_cbranch_execz .LBB35_1334
.LBB35_3384:
	v_cmp_ne_u16_e32 vcc, 0, v14
	s_andn2_b64 s[4:5], s[4:5], exec
	s_and_b64 s[8:9], vcc, exec
	v_mov_b32_e32 v20, 0
	s_or_b64 s[4:5], s[4:5], s[8:9]
	s_or_b64 exec, exec, s[6:7]
	s_and_saveexec_b64 s[6:7], s[4:5]
	s_cbranch_execnz .LBB35_1335
	s_branch .LBB35_1336
.LBB35_3385:
	s_movk_i32 s4, 0x80
	v_cmp_eq_u16_sdwa s[12:13], v15, s4 src0_sel:BYTE_3 src1_sel:DWORD
	s_mov_b64 s[4:5], -1
                                        ; implicit-def: $sgpr10
	s_and_saveexec_b64 s[8:9], s[12:13]
; %bb.3386:
	s_mov_b32 s10, 0x7f800001
	s_xor_b64 s[4:5], exec, -1
; %bb.3387:
	s_or_b64 exec, exec, s[8:9]
	s_and_b64 s[4:5], s[4:5], exec
	s_or_saveexec_b64 s[6:7], s[6:7]
	v_mov_b32_e32 v10, s10
	s_xor_b64 exec, exec, s[6:7]
	s_cbranch_execz .LBB35_1338
.LBB35_3388:
	v_mov_b32_e32 v10, 0
	v_cmp_ne_u16_sdwa s[8:9], v15, v10 src0_sel:BYTE_3 src1_sel:DWORD
	s_andn2_b64 s[4:5], s[4:5], exec
	s_and_b64 s[8:9], s[8:9], exec
	s_or_b64 s[4:5], s[4:5], s[8:9]
	s_or_b64 exec, exec, s[6:7]
	s_and_saveexec_b64 s[6:7], s[4:5]
	s_cbranch_execnz .LBB35_1339
	s_branch .LBB35_1340
.LBB35_3389:
	s_movk_i32 s4, 0x80
	v_cmp_eq_u16_sdwa s[12:13], v11, s4 src0_sel:BYTE_3 src1_sel:DWORD
	s_mov_b64 s[4:5], -1
                                        ; implicit-def: $sgpr10
	s_and_saveexec_b64 s[8:9], s[12:13]
; %bb.3390:
	s_mov_b32 s10, 0x7f800001
	s_xor_b64 s[4:5], exec, -1
; %bb.3391:
	s_or_b64 exec, exec, s[8:9]
	s_and_b64 s[4:5], s[4:5], exec
	s_or_saveexec_b64 s[6:7], s[6:7]
	v_mov_b32_e32 v14, s10
	s_xor_b64 exec, exec, s[6:7]
	s_cbranch_execz .LBB35_1342
.LBB35_3392:
	v_mov_b32_e32 v14, 0
	v_cmp_ne_u16_sdwa s[8:9], v11, v14 src0_sel:BYTE_3 src1_sel:DWORD
	s_andn2_b64 s[4:5], s[4:5], exec
	s_and_b64 s[8:9], s[8:9], exec
	s_or_b64 s[4:5], s[4:5], s[8:9]
	s_or_b64 exec, exec, s[6:7]
	s_and_saveexec_b64 s[6:7], s[4:5]
	s_cbranch_execnz .LBB35_1343
	s_branch .LBB35_1344
.LBB35_3393:
	s_movk_i32 s4, 0x80
	v_cmp_eq_u16_sdwa s[12:13], v16, s4 src0_sel:BYTE_0 src1_sel:DWORD
	s_mov_b64 s[4:5], -1
                                        ; implicit-def: $sgpr10
	s_and_saveexec_b64 s[8:9], s[12:13]
; %bb.3394:
	s_mov_b32 s10, 0x7f800001
	s_xor_b64 s[4:5], exec, -1
; %bb.3395:
	s_or_b64 exec, exec, s[8:9]
	s_and_b64 s[4:5], s[4:5], exec
	s_or_saveexec_b64 s[6:7], s[6:7]
	v_mov_b32_e32 v10, s10
	s_xor_b64 exec, exec, s[6:7]
	s_cbranch_execz .LBB35_1346
.LBB35_3396:
	v_mov_b32_e32 v10, 0
	v_cmp_ne_u16_sdwa s[8:9], v16, v10 src0_sel:BYTE_0 src1_sel:DWORD
	s_andn2_b64 s[4:5], s[4:5], exec
	s_and_b64 s[8:9], s[8:9], exec
	s_or_b64 s[4:5], s[4:5], s[8:9]
	s_or_b64 exec, exec, s[6:7]
	s_and_saveexec_b64 s[6:7], s[4:5]
	s_cbranch_execnz .LBB35_1347
	s_branch .LBB35_1348
.LBB35_3397:
	s_movk_i32 s4, 0x80
	v_cmp_eq_u16_sdwa s[12:13], v12, s4 src0_sel:BYTE_0 src1_sel:DWORD
	s_mov_b64 s[4:5], -1
                                        ; implicit-def: $sgpr10
	s_and_saveexec_b64 s[8:9], s[12:13]
; %bb.3398:
	s_mov_b32 s10, 0x7f800001
	s_xor_b64 s[4:5], exec, -1
; %bb.3399:
	s_or_b64 exec, exec, s[8:9]
	s_and_b64 s[4:5], s[4:5], exec
	s_or_saveexec_b64 s[6:7], s[6:7]
	v_mov_b32_e32 v11, s10
	s_xor_b64 exec, exec, s[6:7]
	s_cbranch_execz .LBB35_1350
.LBB35_3400:
	v_mov_b32_e32 v11, 0
	v_cmp_ne_u16_sdwa s[8:9], v12, v11 src0_sel:BYTE_0 src1_sel:DWORD
	s_andn2_b64 s[4:5], s[4:5], exec
	s_and_b64 s[8:9], s[8:9], exec
	s_or_b64 s[4:5], s[4:5], s[8:9]
	s_or_b64 exec, exec, s[6:7]
	s_and_saveexec_b64 s[6:7], s[4:5]
	s_cbranch_execnz .LBB35_1351
	s_branch .LBB35_1352
.LBB35_3401:
	s_movk_i32 s4, 0x80
	v_cmp_eq_u16_sdwa s[12:13], v11, s4 src0_sel:BYTE_0 src1_sel:DWORD
	s_mov_b64 s[4:5], -1
                                        ; implicit-def: $sgpr10
	s_and_saveexec_b64 s[8:9], s[12:13]
; %bb.3402:
	s_mov_b32 s10, 0x7f800001
	s_xor_b64 s[4:5], exec, -1
; %bb.3403:
	s_or_b64 exec, exec, s[8:9]
	s_and_b64 s[4:5], s[4:5], exec
	s_or_saveexec_b64 s[6:7], s[6:7]
	v_mov_b32_e32 v10, s10
	s_xor_b64 exec, exec, s[6:7]
	s_cbranch_execz .LBB35_1354
.LBB35_3404:
	v_mov_b32_e32 v10, 0
	v_cmp_ne_u16_sdwa s[8:9], v11, v10 src0_sel:BYTE_0 src1_sel:DWORD
	s_andn2_b64 s[4:5], s[4:5], exec
	s_and_b64 s[8:9], s[8:9], exec
	s_or_b64 s[4:5], s[4:5], s[8:9]
	s_or_b64 exec, exec, s[6:7]
	s_and_saveexec_b64 s[6:7], s[4:5]
	s_cbranch_execnz .LBB35_1355
	s_branch .LBB35_1356
.LBB35_3405:
	s_movk_i32 s4, 0x80
	v_cmp_eq_u16_sdwa s[12:13], v11, s4 src0_sel:BYTE_0 src1_sel:DWORD
	s_mov_b64 s[4:5], -1
                                        ; implicit-def: $sgpr10
	s_and_saveexec_b64 s[8:9], s[12:13]
; %bb.3406:
	s_mov_b32 s10, 0x7f800001
	s_xor_b64 s[4:5], exec, -1
; %bb.3407:
	s_or_b64 exec, exec, s[8:9]
	s_and_b64 s[4:5], s[4:5], exec
	s_or_saveexec_b64 s[6:7], s[6:7]
	v_mov_b32_e32 v14, s10
	s_xor_b64 exec, exec, s[6:7]
	s_cbranch_execz .LBB35_1358
.LBB35_3408:
	v_mov_b32_e32 v14, 0
	v_cmp_ne_u16_sdwa s[8:9], v11, v14 src0_sel:BYTE_0 src1_sel:DWORD
	s_andn2_b64 s[4:5], s[4:5], exec
	s_and_b64 s[8:9], s[8:9], exec
	s_or_b64 s[4:5], s[4:5], s[8:9]
	s_or_b64 exec, exec, s[6:7]
	s_and_saveexec_b64 s[6:7], s[4:5]
	s_cbranch_execnz .LBB35_1359
	s_branch .LBB35_1360
.LBB35_3409:
	s_movk_i32 s4, 0x80
	v_cmp_eq_u16_e32 vcc, s4, v11
	s_mov_b64 s[4:5], -1
                                        ; implicit-def: $sgpr10
	s_and_saveexec_b64 s[8:9], vcc
; %bb.3410:
	s_mov_b32 s10, 0x7f800001
	s_xor_b64 s[4:5], exec, -1
; %bb.3411:
	s_or_b64 exec, exec, s[8:9]
	s_and_b64 s[4:5], s[4:5], exec
                                        ; implicit-def: $vgpr11
	s_or_saveexec_b64 s[6:7], s[6:7]
	v_mov_b32_e32 v10, s10
	s_xor_b64 exec, exec, s[6:7]
	s_cbranch_execz .LBB35_1362
.LBB35_3412:
	v_cmp_ne_u16_e32 vcc, 0, v11
	s_andn2_b64 s[4:5], s[4:5], exec
	s_and_b64 s[8:9], vcc, exec
	v_mov_b32_e32 v10, 0
	s_or_b64 s[4:5], s[4:5], s[8:9]
	s_or_b64 exec, exec, s[6:7]
	s_and_saveexec_b64 s[6:7], s[4:5]
	s_cbranch_execnz .LBB35_1363
	s_branch .LBB35_1364
.LBB35_3413:
	s_movk_i32 s4, 0x80
	v_cmp_eq_u16_e32 vcc, s4, v11
	s_mov_b64 s[4:5], -1
                                        ; implicit-def: $sgpr10
	s_and_saveexec_b64 s[8:9], vcc
; %bb.3414:
	s_mov_b32 s10, 0x7f800001
	s_xor_b64 s[4:5], exec, -1
; %bb.3415:
	s_or_b64 exec, exec, s[8:9]
	s_and_b64 s[4:5], s[4:5], exec
                                        ; implicit-def: $vgpr11
	s_or_saveexec_b64 s[6:7], s[6:7]
	v_mov_b32_e32 v14, s10
	s_xor_b64 exec, exec, s[6:7]
	s_cbranch_execz .LBB35_1366
.LBB35_3416:
	v_cmp_ne_u16_e32 vcc, 0, v11
	s_andn2_b64 s[4:5], s[4:5], exec
	s_and_b64 s[8:9], vcc, exec
	v_mov_b32_e32 v14, 0
	s_or_b64 s[4:5], s[4:5], s[8:9]
	s_or_b64 exec, exec, s[6:7]
	s_and_saveexec_b64 s[6:7], s[4:5]
	s_cbranch_execnz .LBB35_1367
	s_branch .LBB35_1368
.LBB35_3417:
	s_movk_i32 s4, 0x80
	v_cmp_eq_u16_sdwa s[12:13], v16, s4 src0_sel:BYTE_3 src1_sel:DWORD
	s_mov_b64 s[4:5], -1
                                        ; implicit-def: $sgpr10
	s_and_saveexec_b64 s[8:9], s[12:13]
; %bb.3418:
	s_mov_b32 s10, 0x7f800001
	s_xor_b64 s[4:5], exec, -1
; %bb.3419:
	s_or_b64 exec, exec, s[8:9]
	s_and_b64 s[4:5], s[4:5], exec
	s_or_saveexec_b64 s[6:7], s[6:7]
	v_mov_b32_e32 v10, s10
	s_xor_b64 exec, exec, s[6:7]
	s_cbranch_execz .LBB35_1370
.LBB35_3420:
	v_mov_b32_e32 v10, 0
	v_cmp_ne_u16_sdwa s[8:9], v16, v10 src0_sel:BYTE_3 src1_sel:DWORD
	s_andn2_b64 s[4:5], s[4:5], exec
	s_and_b64 s[8:9], s[8:9], exec
	s_or_b64 s[4:5], s[4:5], s[8:9]
	s_or_b64 exec, exec, s[6:7]
	s_and_saveexec_b64 s[6:7], s[4:5]
	s_cbranch_execnz .LBB35_1371
	s_branch .LBB35_1372
.LBB35_3421:
	s_movk_i32 s4, 0x80
	v_cmp_eq_u16_sdwa s[12:13], v12, s4 src0_sel:BYTE_3 src1_sel:DWORD
	s_mov_b64 s[4:5], -1
                                        ; implicit-def: $sgpr10
	s_and_saveexec_b64 s[8:9], s[12:13]
; %bb.3422:
	s_mov_b32 s10, 0x7f800001
	s_xor_b64 s[4:5], exec, -1
; %bb.3423:
	s_or_b64 exec, exec, s[8:9]
	s_and_b64 s[4:5], s[4:5], exec
	s_or_saveexec_b64 s[6:7], s[6:7]
	v_mov_b32_e32 v11, s10
	s_xor_b64 exec, exec, s[6:7]
	s_cbranch_execz .LBB35_1374
.LBB35_3424:
	v_mov_b32_e32 v11, 0
	v_cmp_ne_u16_sdwa s[8:9], v12, v11 src0_sel:BYTE_3 src1_sel:DWORD
	s_andn2_b64 s[4:5], s[4:5], exec
	s_and_b64 s[8:9], s[8:9], exec
	s_or_b64 s[4:5], s[4:5], s[8:9]
	s_or_b64 exec, exec, s[6:7]
	s_and_saveexec_b64 s[6:7], s[4:5]
	s_cbranch_execnz .LBB35_1375
	s_branch .LBB35_1376
.LBB35_3425:
	s_movk_i32 s4, 0x80
	v_cmp_eq_u16_sdwa s[12:13], v17, s4 src0_sel:BYTE_0 src1_sel:DWORD
	s_mov_b64 s[4:5], -1
                                        ; implicit-def: $sgpr10
	s_and_saveexec_b64 s[8:9], s[12:13]
; %bb.3426:
	s_mov_b32 s10, 0x7f800001
	s_xor_b64 s[4:5], exec, -1
; %bb.3427:
	s_or_b64 exec, exec, s[8:9]
	s_and_b64 s[4:5], s[4:5], exec
	s_or_saveexec_b64 s[6:7], s[6:7]
	v_mov_b32_e32 v10, s10
	s_xor_b64 exec, exec, s[6:7]
	s_cbranch_execz .LBB35_1378
.LBB35_3428:
	v_mov_b32_e32 v10, 0
	v_cmp_ne_u16_sdwa s[8:9], v17, v10 src0_sel:BYTE_0 src1_sel:DWORD
	s_andn2_b64 s[4:5], s[4:5], exec
	s_and_b64 s[8:9], s[8:9], exec
	s_or_b64 s[4:5], s[4:5], s[8:9]
	s_or_b64 exec, exec, s[6:7]
	s_and_saveexec_b64 s[6:7], s[4:5]
	s_cbranch_execnz .LBB35_1379
	s_branch .LBB35_1380
.LBB35_3429:
	s_movk_i32 s4, 0x80
	v_cmp_eq_u16_sdwa s[12:13], v13, s4 src0_sel:BYTE_0 src1_sel:DWORD
	s_mov_b64 s[4:5], -1
                                        ; implicit-def: $sgpr10
	s_and_saveexec_b64 s[8:9], s[12:13]
; %bb.3430:
	s_mov_b32 s10, 0x7f800001
	s_xor_b64 s[4:5], exec, -1
; %bb.3431:
	s_or_b64 exec, exec, s[8:9]
	s_and_b64 s[4:5], s[4:5], exec
	s_or_saveexec_b64 s[6:7], s[6:7]
	v_mov_b32_e32 v11, s10
	s_xor_b64 exec, exec, s[6:7]
	s_cbranch_execz .LBB35_1382
.LBB35_3432:
	v_mov_b32_e32 v11, 0
	v_cmp_ne_u16_sdwa s[8:9], v13, v11 src0_sel:BYTE_0 src1_sel:DWORD
	s_andn2_b64 s[4:5], s[4:5], exec
	s_and_b64 s[8:9], s[8:9], exec
	s_or_b64 s[4:5], s[4:5], s[8:9]
	s_or_b64 exec, exec, s[6:7]
	s_and_saveexec_b64 s[6:7], s[4:5]
	s_cbranch_execnz .LBB35_1383
	s_branch .LBB35_1384
.LBB35_3433:
	s_movk_i32 s4, 0x80
	v_cmp_eq_u16_sdwa s[12:13], v11, s4 src0_sel:BYTE_0 src1_sel:DWORD
	s_mov_b64 s[4:5], -1
                                        ; implicit-def: $sgpr10
	s_and_saveexec_b64 s[8:9], s[12:13]
; %bb.3434:
	s_mov_b32 s10, 0x7f800001
	s_xor_b64 s[4:5], exec, -1
; %bb.3435:
	s_or_b64 exec, exec, s[8:9]
	s_and_b64 s[4:5], s[4:5], exec
	s_or_saveexec_b64 s[6:7], s[6:7]
	v_mov_b32_e32 v10, s10
	s_xor_b64 exec, exec, s[6:7]
	s_cbranch_execz .LBB35_1386
.LBB35_3436:
	v_mov_b32_e32 v10, 0
	v_cmp_ne_u16_sdwa s[8:9], v11, v10 src0_sel:BYTE_0 src1_sel:DWORD
	s_andn2_b64 s[4:5], s[4:5], exec
	s_and_b64 s[8:9], s[8:9], exec
	s_or_b64 s[4:5], s[4:5], s[8:9]
	s_or_b64 exec, exec, s[6:7]
	s_and_saveexec_b64 s[6:7], s[4:5]
	s_cbranch_execnz .LBB35_1387
	s_branch .LBB35_1388
.LBB35_3437:
	s_movk_i32 s4, 0x80
	v_cmp_eq_u16_sdwa s[12:13], v11, s4 src0_sel:BYTE_0 src1_sel:DWORD
	s_mov_b64 s[4:5], -1
                                        ; implicit-def: $sgpr10
	s_and_saveexec_b64 s[8:9], s[12:13]
; %bb.3438:
	s_mov_b32 s10, 0x7f800001
	s_xor_b64 s[4:5], exec, -1
; %bb.3439:
	s_or_b64 exec, exec, s[8:9]
	s_and_b64 s[4:5], s[4:5], exec
	s_or_saveexec_b64 s[6:7], s[6:7]
	v_mov_b32_e32 v12, s10
	s_xor_b64 exec, exec, s[6:7]
	s_cbranch_execz .LBB35_1390
.LBB35_3440:
	v_mov_b32_e32 v12, 0
	v_cmp_ne_u16_sdwa s[8:9], v11, v12 src0_sel:BYTE_0 src1_sel:DWORD
	s_andn2_b64 s[4:5], s[4:5], exec
	s_and_b64 s[8:9], s[8:9], exec
	s_or_b64 s[4:5], s[4:5], s[8:9]
	s_or_b64 exec, exec, s[6:7]
	s_and_saveexec_b64 s[6:7], s[4:5]
	s_cbranch_execnz .LBB35_1391
	s_branch .LBB35_1392
.LBB35_3441:
	s_movk_i32 s4, 0x80
	v_cmp_eq_u16_e32 vcc, s4, v11
	s_mov_b64 s[4:5], -1
                                        ; implicit-def: $sgpr10
	s_and_saveexec_b64 s[8:9], vcc
; %bb.3442:
	s_mov_b32 s10, 0x7f800001
	s_xor_b64 s[4:5], exec, -1
; %bb.3443:
	s_or_b64 exec, exec, s[8:9]
	s_and_b64 s[4:5], s[4:5], exec
                                        ; implicit-def: $vgpr11
	s_or_saveexec_b64 s[6:7], s[6:7]
	v_mov_b32_e32 v10, s10
	s_xor_b64 exec, exec, s[6:7]
	s_cbranch_execz .LBB35_1394
.LBB35_3444:
	v_cmp_ne_u16_e32 vcc, 0, v11
	s_andn2_b64 s[4:5], s[4:5], exec
	s_and_b64 s[8:9], vcc, exec
	v_mov_b32_e32 v10, 0
	s_or_b64 s[4:5], s[4:5], s[8:9]
	s_or_b64 exec, exec, s[6:7]
	s_and_saveexec_b64 s[6:7], s[4:5]
	s_cbranch_execnz .LBB35_1395
	s_branch .LBB35_1396
.LBB35_3445:
	s_movk_i32 s4, 0x80
	v_cmp_eq_u16_e32 vcc, s4, v11
	s_mov_b64 s[4:5], -1
                                        ; implicit-def: $sgpr10
	s_and_saveexec_b64 s[8:9], vcc
; %bb.3446:
	s_mov_b32 s10, 0x7f800001
	s_xor_b64 s[4:5], exec, -1
; %bb.3447:
	s_or_b64 exec, exec, s[8:9]
	s_and_b64 s[4:5], s[4:5], exec
                                        ; implicit-def: $vgpr11
	s_or_saveexec_b64 s[6:7], s[6:7]
	v_mov_b32_e32 v12, s10
	s_xor_b64 exec, exec, s[6:7]
	s_cbranch_execz .LBB35_1398
.LBB35_3448:
	v_cmp_ne_u16_e32 vcc, 0, v11
	s_andn2_b64 s[4:5], s[4:5], exec
	s_and_b64 s[8:9], vcc, exec
	v_mov_b32_e32 v12, 0
	s_or_b64 s[4:5], s[4:5], s[8:9]
	s_or_b64 exec, exec, s[6:7]
	s_and_saveexec_b64 s[6:7], s[4:5]
	s_cbranch_execnz .LBB35_1399
	s_branch .LBB35_1400
.LBB35_3449:
	s_movk_i32 s4, 0x80
	v_cmp_eq_u16_sdwa s[12:13], v17, s4 src0_sel:BYTE_3 src1_sel:DWORD
	s_mov_b64 s[4:5], -1
                                        ; implicit-def: $sgpr10
	s_and_saveexec_b64 s[8:9], s[12:13]
; %bb.3450:
	s_mov_b32 s10, 0x7f800001
	s_xor_b64 s[4:5], exec, -1
; %bb.3451:
	s_or_b64 exec, exec, s[8:9]
	s_and_b64 s[4:5], s[4:5], exec
	s_or_saveexec_b64 s[6:7], s[6:7]
	v_mov_b32_e32 v10, s10
	s_xor_b64 exec, exec, s[6:7]
	s_cbranch_execz .LBB35_1402
.LBB35_3452:
	v_mov_b32_e32 v10, 0
	v_cmp_ne_u16_sdwa s[8:9], v17, v10 src0_sel:BYTE_3 src1_sel:DWORD
	s_andn2_b64 s[4:5], s[4:5], exec
	s_and_b64 s[8:9], s[8:9], exec
	s_or_b64 s[4:5], s[4:5], s[8:9]
	s_or_b64 exec, exec, s[6:7]
	s_and_saveexec_b64 s[6:7], s[4:5]
	s_cbranch_execnz .LBB35_1403
	s_branch .LBB35_1404
.LBB35_3453:
	s_movk_i32 s4, 0x80
	v_cmp_eq_u16_sdwa s[12:13], v13, s4 src0_sel:BYTE_3 src1_sel:DWORD
	s_mov_b64 s[4:5], -1
                                        ; implicit-def: $sgpr10
	s_and_saveexec_b64 s[8:9], s[12:13]
; %bb.3454:
	s_mov_b32 s10, 0x7f800001
	s_xor_b64 s[4:5], exec, -1
; %bb.3455:
	s_or_b64 exec, exec, s[8:9]
	s_and_b64 s[4:5], s[4:5], exec
	s_or_saveexec_b64 s[6:7], s[6:7]
	v_mov_b32_e32 v11, s10
	s_xor_b64 exec, exec, s[6:7]
	s_cbranch_execz .LBB35_1406
.LBB35_3456:
	v_mov_b32_e32 v11, 0
	v_cmp_ne_u16_sdwa s[8:9], v13, v11 src0_sel:BYTE_3 src1_sel:DWORD
	s_andn2_b64 s[4:5], s[4:5], exec
	s_and_b64 s[8:9], s[8:9], exec
	s_or_b64 s[4:5], s[4:5], s[8:9]
	s_or_b64 exec, exec, s[6:7]
	s_and_saveexec_b64 s[6:7], s[4:5]
	s_cbranch_execnz .LBB35_1407
	s_branch .LBB35_1408
.LBB35_3457:
	s_movk_i32 s4, 0x80
	v_cmp_eq_u16_sdwa s[12:13], v6, s4 src0_sel:BYTE_0 src1_sel:DWORD
	s_mov_b64 s[4:5], -1
                                        ; implicit-def: $sgpr10
	s_and_saveexec_b64 s[8:9], s[12:13]
; %bb.3458:
	s_mov_b32 s10, 0x7f800001
	s_xor_b64 s[4:5], exec, -1
; %bb.3459:
	s_or_b64 exec, exec, s[8:9]
	s_and_b64 s[4:5], s[4:5], exec
	s_or_saveexec_b64 s[6:7], s[6:7]
	v_mov_b32_e32 v10, s10
	s_xor_b64 exec, exec, s[6:7]
	s_cbranch_execz .LBB35_1410
.LBB35_3460:
	v_mov_b32_e32 v10, 0
	v_cmp_ne_u16_sdwa s[8:9], v6, v10 src0_sel:BYTE_0 src1_sel:DWORD
	s_andn2_b64 s[4:5], s[4:5], exec
	s_and_b64 s[8:9], s[8:9], exec
	s_or_b64 s[4:5], s[4:5], s[8:9]
	s_or_b64 exec, exec, s[6:7]
	s_and_saveexec_b64 s[6:7], s[4:5]
	s_cbranch_execnz .LBB35_1411
	s_branch .LBB35_1412
.LBB35_3461:
	s_movk_i32 s4, 0x80
	v_cmp_eq_u16_sdwa s[12:13], v2, s4 src0_sel:BYTE_0 src1_sel:DWORD
	s_mov_b64 s[4:5], -1
                                        ; implicit-def: $sgpr10
	s_and_saveexec_b64 s[8:9], s[12:13]
; %bb.3462:
	s_mov_b32 s10, 0x7f800001
	s_xor_b64 s[4:5], exec, -1
; %bb.3463:
	s_or_b64 exec, exec, s[8:9]
	s_and_b64 s[4:5], s[4:5], exec
	s_or_saveexec_b64 s[6:7], s[6:7]
	v_mov_b32_e32 v11, s10
	s_xor_b64 exec, exec, s[6:7]
	s_cbranch_execz .LBB35_1414
.LBB35_3464:
	v_mov_b32_e32 v11, 0
	v_cmp_ne_u16_sdwa s[8:9], v2, v11 src0_sel:BYTE_0 src1_sel:DWORD
	s_andn2_b64 s[4:5], s[4:5], exec
	s_and_b64 s[8:9], s[8:9], exec
	s_or_b64 s[4:5], s[4:5], s[8:9]
	s_or_b64 exec, exec, s[6:7]
	s_and_saveexec_b64 s[6:7], s[4:5]
	s_cbranch_execnz .LBB35_1415
	s_branch .LBB35_1416
.LBB35_3465:
	s_movk_i32 s4, 0x80
	v_cmp_eq_u16_sdwa s[12:13], v11, s4 src0_sel:BYTE_0 src1_sel:DWORD
	s_mov_b64 s[4:5], -1
                                        ; implicit-def: $sgpr10
	s_and_saveexec_b64 s[8:9], s[12:13]
; %bb.3466:
	s_mov_b32 s10, 0x7f800001
	s_xor_b64 s[4:5], exec, -1
; %bb.3467:
	s_or_b64 exec, exec, s[8:9]
	s_and_b64 s[4:5], s[4:5], exec
	s_or_saveexec_b64 s[6:7], s[6:7]
	v_mov_b32_e32 v10, s10
	s_xor_b64 exec, exec, s[6:7]
	s_cbranch_execz .LBB35_1418
.LBB35_3468:
	v_mov_b32_e32 v10, 0
	v_cmp_ne_u16_sdwa s[8:9], v11, v10 src0_sel:BYTE_0 src1_sel:DWORD
	s_andn2_b64 s[4:5], s[4:5], exec
	s_and_b64 s[8:9], s[8:9], exec
	s_or_b64 s[4:5], s[4:5], s[8:9]
	s_or_b64 exec, exec, s[6:7]
	s_and_saveexec_b64 s[6:7], s[4:5]
	s_cbranch_execnz .LBB35_1419
	s_branch .LBB35_1420
.LBB35_3469:
	s_movk_i32 s4, 0x80
	v_cmp_eq_u16_sdwa s[12:13], v11, s4 src0_sel:BYTE_0 src1_sel:DWORD
	s_mov_b64 s[4:5], -1
                                        ; implicit-def: $sgpr10
	s_and_saveexec_b64 s[8:9], s[12:13]
; %bb.3470:
	s_mov_b32 s10, 0x7f800001
	s_xor_b64 s[4:5], exec, -1
; %bb.3471:
	s_or_b64 exec, exec, s[8:9]
	s_and_b64 s[4:5], s[4:5], exec
	s_or_saveexec_b64 s[6:7], s[6:7]
	v_mov_b32_e32 v12, s10
	s_xor_b64 exec, exec, s[6:7]
	s_cbranch_execz .LBB35_1422
.LBB35_3472:
	v_mov_b32_e32 v12, 0
	v_cmp_ne_u16_sdwa s[8:9], v11, v12 src0_sel:BYTE_0 src1_sel:DWORD
	s_andn2_b64 s[4:5], s[4:5], exec
	s_and_b64 s[8:9], s[8:9], exec
	s_or_b64 s[4:5], s[4:5], s[8:9]
	s_or_b64 exec, exec, s[6:7]
	s_and_saveexec_b64 s[6:7], s[4:5]
	s_cbranch_execnz .LBB35_1423
	s_branch .LBB35_1424
.LBB35_3473:
	s_movk_i32 s4, 0x80
	v_cmp_eq_u16_e32 vcc, s4, v11
	s_mov_b64 s[4:5], -1
                                        ; implicit-def: $sgpr10
	s_and_saveexec_b64 s[8:9], vcc
; %bb.3474:
	s_mov_b32 s10, 0x7f800001
	s_xor_b64 s[4:5], exec, -1
; %bb.3475:
	s_or_b64 exec, exec, s[8:9]
	s_and_b64 s[4:5], s[4:5], exec
                                        ; implicit-def: $vgpr11
	s_or_saveexec_b64 s[6:7], s[6:7]
	v_mov_b32_e32 v10, s10
	s_xor_b64 exec, exec, s[6:7]
	s_cbranch_execz .LBB35_1426
.LBB35_3476:
	v_cmp_ne_u16_e32 vcc, 0, v11
	s_andn2_b64 s[4:5], s[4:5], exec
	s_and_b64 s[8:9], vcc, exec
	v_mov_b32_e32 v10, 0
	s_or_b64 s[4:5], s[4:5], s[8:9]
	s_or_b64 exec, exec, s[6:7]
	s_and_saveexec_b64 s[6:7], s[4:5]
	s_cbranch_execnz .LBB35_1427
	s_branch .LBB35_1428
.LBB35_3477:
	s_movk_i32 s4, 0x80
	v_cmp_eq_u16_e32 vcc, s4, v11
	s_mov_b64 s[4:5], -1
                                        ; implicit-def: $sgpr10
	s_and_saveexec_b64 s[8:9], vcc
; %bb.3478:
	s_mov_b32 s10, 0x7f800001
	s_xor_b64 s[4:5], exec, -1
; %bb.3479:
	s_or_b64 exec, exec, s[8:9]
	s_and_b64 s[4:5], s[4:5], exec
                                        ; implicit-def: $vgpr11
	s_or_saveexec_b64 s[6:7], s[6:7]
	v_mov_b32_e32 v12, s10
	s_xor_b64 exec, exec, s[6:7]
	s_cbranch_execz .LBB35_1430
.LBB35_3480:
	v_cmp_ne_u16_e32 vcc, 0, v11
	s_andn2_b64 s[4:5], s[4:5], exec
	s_and_b64 s[8:9], vcc, exec
	v_mov_b32_e32 v12, 0
	s_or_b64 s[4:5], s[4:5], s[8:9]
	s_or_b64 exec, exec, s[6:7]
	s_and_saveexec_b64 s[6:7], s[4:5]
	s_cbranch_execnz .LBB35_1431
	s_branch .LBB35_1432
.LBB35_3481:
	s_movk_i32 s4, 0x80
	v_cmp_eq_u16_sdwa s[12:13], v6, s4 src0_sel:BYTE_3 src1_sel:DWORD
	s_mov_b64 s[4:5], -1
                                        ; implicit-def: $sgpr10
	s_and_saveexec_b64 s[8:9], s[12:13]
; %bb.3482:
	s_mov_b32 s10, 0x7f800001
	s_xor_b64 s[4:5], exec, -1
; %bb.3483:
	s_or_b64 exec, exec, s[8:9]
	s_and_b64 s[4:5], s[4:5], exec
	s_or_saveexec_b64 s[6:7], s[6:7]
	v_mov_b32_e32 v10, s10
	s_xor_b64 exec, exec, s[6:7]
	s_cbranch_execz .LBB35_1434
.LBB35_3484:
	v_mov_b32_e32 v10, 0
	v_cmp_ne_u16_sdwa s[8:9], v6, v10 src0_sel:BYTE_3 src1_sel:DWORD
	s_andn2_b64 s[4:5], s[4:5], exec
	s_and_b64 s[8:9], s[8:9], exec
	s_or_b64 s[4:5], s[4:5], s[8:9]
	s_or_b64 exec, exec, s[6:7]
	s_and_saveexec_b64 s[6:7], s[4:5]
	s_cbranch_execnz .LBB35_1435
	s_branch .LBB35_1436
.LBB35_3485:
	s_movk_i32 s4, 0x80
	v_cmp_eq_u16_sdwa s[12:13], v2, s4 src0_sel:BYTE_3 src1_sel:DWORD
	s_mov_b64 s[4:5], -1
                                        ; implicit-def: $sgpr10
	s_and_saveexec_b64 s[8:9], s[12:13]
; %bb.3486:
	s_mov_b32 s10, 0x7f800001
	s_xor_b64 s[4:5], exec, -1
; %bb.3487:
	s_or_b64 exec, exec, s[8:9]
	s_and_b64 s[4:5], s[4:5], exec
	s_or_saveexec_b64 s[6:7], s[6:7]
	v_mov_b32_e32 v6, s10
	s_xor_b64 exec, exec, s[6:7]
	s_cbranch_execz .LBB35_1438
.LBB35_3488:
	v_mov_b32_e32 v6, 0
	v_cmp_ne_u16_sdwa s[8:9], v2, v6 src0_sel:BYTE_3 src1_sel:DWORD
	s_andn2_b64 s[4:5], s[4:5], exec
	s_and_b64 s[8:9], s[8:9], exec
	s_or_b64 s[4:5], s[4:5], s[8:9]
	s_or_b64 exec, exec, s[6:7]
	s_and_saveexec_b64 s[6:7], s[4:5]
	s_cbranch_execnz .LBB35_1439
	s_branch .LBB35_1440
.LBB35_3489:
	s_movk_i32 s4, 0x80
	v_cmp_eq_u16_sdwa s[12:13], v7, s4 src0_sel:BYTE_0 src1_sel:DWORD
	s_mov_b64 s[4:5], -1
                                        ; implicit-def: $sgpr10
	s_and_saveexec_b64 s[8:9], s[12:13]
; %bb.3490:
	s_mov_b32 s10, 0x7f800001
	s_xor_b64 s[4:5], exec, -1
; %bb.3491:
	s_or_b64 exec, exec, s[8:9]
	s_and_b64 s[4:5], s[4:5], exec
	s_or_saveexec_b64 s[6:7], s[6:7]
	v_mov_b32_e32 v2, s10
	s_xor_b64 exec, exec, s[6:7]
	s_cbranch_execz .LBB35_1442
.LBB35_3492:
	v_mov_b32_e32 v2, 0
	v_cmp_ne_u16_sdwa s[8:9], v7, v2 src0_sel:BYTE_0 src1_sel:DWORD
	s_andn2_b64 s[4:5], s[4:5], exec
	s_and_b64 s[8:9], s[8:9], exec
	s_or_b64 s[4:5], s[4:5], s[8:9]
	s_or_b64 exec, exec, s[6:7]
	s_and_saveexec_b64 s[6:7], s[4:5]
	s_cbranch_execnz .LBB35_1443
	s_branch .LBB35_1444
.LBB35_3493:
	s_movk_i32 s4, 0x80
	v_cmp_eq_u16_sdwa s[12:13], v3, s4 src0_sel:BYTE_0 src1_sel:DWORD
	s_mov_b64 s[4:5], -1
                                        ; implicit-def: $sgpr10
	s_and_saveexec_b64 s[8:9], s[12:13]
; %bb.3494:
	s_mov_b32 s10, 0x7f800001
	s_xor_b64 s[4:5], exec, -1
; %bb.3495:
	s_or_b64 exec, exec, s[8:9]
	s_and_b64 s[4:5], s[4:5], exec
	s_or_saveexec_b64 s[6:7], s[6:7]
	v_mov_b32_e32 v6, s10
	s_xor_b64 exec, exec, s[6:7]
	s_cbranch_execz .LBB35_1446
.LBB35_3496:
	v_mov_b32_e32 v6, 0
	v_cmp_ne_u16_sdwa s[8:9], v3, v6 src0_sel:BYTE_0 src1_sel:DWORD
	s_andn2_b64 s[4:5], s[4:5], exec
	s_and_b64 s[8:9], s[8:9], exec
	s_or_b64 s[4:5], s[4:5], s[8:9]
	s_or_b64 exec, exec, s[6:7]
	s_and_saveexec_b64 s[6:7], s[4:5]
	s_cbranch_execnz .LBB35_1447
	s_branch .LBB35_1448
.LBB35_3497:
	s_movk_i32 s4, 0x80
	v_cmp_eq_u16_sdwa s[12:13], v6, s4 src0_sel:BYTE_0 src1_sel:DWORD
	s_mov_b64 s[4:5], -1
                                        ; implicit-def: $sgpr10
	s_and_saveexec_b64 s[8:9], s[12:13]
; %bb.3498:
	s_mov_b32 s10, 0x7f800001
	s_xor_b64 s[4:5], exec, -1
; %bb.3499:
	s_or_b64 exec, exec, s[8:9]
	s_and_b64 s[4:5], s[4:5], exec
	s_or_saveexec_b64 s[6:7], s[6:7]
	v_mov_b32_e32 v2, s10
	s_xor_b64 exec, exec, s[6:7]
	s_cbranch_execz .LBB35_1450
.LBB35_3500:
	v_mov_b32_e32 v2, 0
	v_cmp_ne_u16_sdwa s[8:9], v6, v2 src0_sel:BYTE_0 src1_sel:DWORD
	s_andn2_b64 s[4:5], s[4:5], exec
	s_and_b64 s[8:9], s[8:9], exec
	s_or_b64 s[4:5], s[4:5], s[8:9]
	s_or_b64 exec, exec, s[6:7]
	s_and_saveexec_b64 s[6:7], s[4:5]
	s_cbranch_execnz .LBB35_1451
	s_branch .LBB35_1452
.LBB35_3501:
	s_movk_i32 s4, 0x80
	v_cmp_eq_u16_sdwa s[12:13], v6, s4 src0_sel:BYTE_0 src1_sel:DWORD
	s_mov_b64 s[4:5], -1
                                        ; implicit-def: $sgpr10
	s_and_saveexec_b64 s[8:9], s[12:13]
; %bb.3502:
	s_mov_b32 s10, 0x7f800001
	s_xor_b64 s[4:5], exec, -1
; %bb.3503:
	s_or_b64 exec, exec, s[8:9]
	s_and_b64 s[4:5], s[4:5], exec
	s_or_saveexec_b64 s[6:7], s[6:7]
	v_mov_b32_e32 v10, s10
	s_xor_b64 exec, exec, s[6:7]
	s_cbranch_execz .LBB35_1454
.LBB35_3504:
	v_mov_b32_e32 v10, 0
	v_cmp_ne_u16_sdwa s[8:9], v6, v10 src0_sel:BYTE_0 src1_sel:DWORD
	s_andn2_b64 s[4:5], s[4:5], exec
	s_and_b64 s[8:9], s[8:9], exec
	s_or_b64 s[4:5], s[4:5], s[8:9]
	s_or_b64 exec, exec, s[6:7]
	s_and_saveexec_b64 s[6:7], s[4:5]
	s_cbranch_execnz .LBB35_1455
	s_branch .LBB35_1456
.LBB35_3505:
	s_movk_i32 s4, 0x80
	v_cmp_eq_u16_e32 vcc, s4, v6
	s_mov_b64 s[4:5], -1
                                        ; implicit-def: $sgpr10
	s_and_saveexec_b64 s[8:9], vcc
; %bb.3506:
	s_mov_b32 s10, 0x7f800001
	s_xor_b64 s[4:5], exec, -1
; %bb.3507:
	s_or_b64 exec, exec, s[8:9]
	s_and_b64 s[4:5], s[4:5], exec
                                        ; implicit-def: $vgpr6
	s_or_saveexec_b64 s[6:7], s[6:7]
	v_mov_b32_e32 v2, s10
	s_xor_b64 exec, exec, s[6:7]
	s_cbranch_execz .LBB35_1458
.LBB35_3508:
	v_cmp_ne_u16_e32 vcc, 0, v6
	s_andn2_b64 s[4:5], s[4:5], exec
	s_and_b64 s[8:9], vcc, exec
	v_mov_b32_e32 v2, 0
	s_or_b64 s[4:5], s[4:5], s[8:9]
	s_or_b64 exec, exec, s[6:7]
	s_and_saveexec_b64 s[6:7], s[4:5]
	s_cbranch_execnz .LBB35_1459
	s_branch .LBB35_1460
.LBB35_3509:
	s_movk_i32 s4, 0x80
	v_cmp_eq_u16_e32 vcc, s4, v6
	s_mov_b64 s[4:5], -1
                                        ; implicit-def: $sgpr10
	s_and_saveexec_b64 s[8:9], vcc
; %bb.3510:
	s_mov_b32 s10, 0x7f800001
	s_xor_b64 s[4:5], exec, -1
; %bb.3511:
	s_or_b64 exec, exec, s[8:9]
	s_and_b64 s[4:5], s[4:5], exec
                                        ; implicit-def: $vgpr6
	s_or_saveexec_b64 s[6:7], s[6:7]
	v_mov_b32_e32 v10, s10
	s_xor_b64 exec, exec, s[6:7]
	s_cbranch_execz .LBB35_1462
.LBB35_3512:
	v_cmp_ne_u16_e32 vcc, 0, v6
	s_andn2_b64 s[4:5], s[4:5], exec
	s_and_b64 s[8:9], vcc, exec
	v_mov_b32_e32 v10, 0
	s_or_b64 s[4:5], s[4:5], s[8:9]
	s_or_b64 exec, exec, s[6:7]
	s_and_saveexec_b64 s[6:7], s[4:5]
	s_cbranch_execnz .LBB35_1463
	s_branch .LBB35_1464
.LBB35_3513:
	s_movk_i32 s4, 0x80
	v_cmp_eq_u16_sdwa s[12:13], v7, s4 src0_sel:BYTE_3 src1_sel:DWORD
	s_mov_b64 s[4:5], -1
                                        ; implicit-def: $sgpr10
	s_and_saveexec_b64 s[8:9], s[12:13]
; %bb.3514:
	s_mov_b32 s10, 0x7f800001
	s_xor_b64 s[4:5], exec, -1
; %bb.3515:
	s_or_b64 exec, exec, s[8:9]
	s_and_b64 s[4:5], s[4:5], exec
	s_or_saveexec_b64 s[6:7], s[6:7]
	v_mov_b32_e32 v2, s10
	s_xor_b64 exec, exec, s[6:7]
	s_cbranch_execz .LBB35_1466
.LBB35_3516:
	v_mov_b32_e32 v2, 0
	v_cmp_ne_u16_sdwa s[8:9], v7, v2 src0_sel:BYTE_3 src1_sel:DWORD
	s_andn2_b64 s[4:5], s[4:5], exec
	s_and_b64 s[8:9], s[8:9], exec
	s_or_b64 s[4:5], s[4:5], s[8:9]
	s_or_b64 exec, exec, s[6:7]
	s_and_saveexec_b64 s[6:7], s[4:5]
	s_cbranch_execnz .LBB35_1467
	s_branch .LBB35_1468
.LBB35_3517:
	s_movk_i32 s4, 0x80
	v_cmp_eq_u16_sdwa s[12:13], v3, s4 src0_sel:BYTE_3 src1_sel:DWORD
	s_mov_b64 s[4:5], -1
                                        ; implicit-def: $sgpr10
	s_and_saveexec_b64 s[8:9], s[12:13]
; %bb.3518:
	s_mov_b32 s10, 0x7f800001
	s_xor_b64 s[4:5], exec, -1
; %bb.3519:
	s_or_b64 exec, exec, s[8:9]
	s_and_b64 s[4:5], s[4:5], exec
	s_or_saveexec_b64 s[6:7], s[6:7]
	v_mov_b32_e32 v6, s10
	s_xor_b64 exec, exec, s[6:7]
	s_cbranch_execz .LBB35_1470
.LBB35_3520:
	v_mov_b32_e32 v6, 0
	v_cmp_ne_u16_sdwa s[8:9], v3, v6 src0_sel:BYTE_3 src1_sel:DWORD
	s_andn2_b64 s[4:5], s[4:5], exec
	s_and_b64 s[8:9], s[8:9], exec
	s_or_b64 s[4:5], s[4:5], s[8:9]
	s_or_b64 exec, exec, s[6:7]
	s_and_saveexec_b64 s[6:7], s[4:5]
	s_cbranch_execnz .LBB35_1471
	s_branch .LBB35_1472
.LBB35_3521:
	s_movk_i32 s4, 0x80
	v_cmp_eq_u16_sdwa s[12:13], v8, s4 src0_sel:BYTE_0 src1_sel:DWORD
	s_mov_b64 s[4:5], -1
                                        ; implicit-def: $sgpr10
	s_and_saveexec_b64 s[8:9], s[12:13]
; %bb.3522:
	s_mov_b32 s10, 0x7f800001
	s_xor_b64 s[4:5], exec, -1
; %bb.3523:
	s_or_b64 exec, exec, s[8:9]
	s_and_b64 s[4:5], s[4:5], exec
	s_or_saveexec_b64 s[6:7], s[6:7]
	v_mov_b32_e32 v2, s10
	s_xor_b64 exec, exec, s[6:7]
	s_cbranch_execz .LBB35_1474
.LBB35_3524:
	v_mov_b32_e32 v2, 0
	v_cmp_ne_u16_sdwa s[8:9], v8, v2 src0_sel:BYTE_0 src1_sel:DWORD
	s_andn2_b64 s[4:5], s[4:5], exec
	s_and_b64 s[8:9], s[8:9], exec
	s_or_b64 s[4:5], s[4:5], s[8:9]
	s_or_b64 exec, exec, s[6:7]
	s_and_saveexec_b64 s[6:7], s[4:5]
	s_cbranch_execnz .LBB35_1475
	s_branch .LBB35_1476
.LBB35_3525:
	s_movk_i32 s4, 0x80
	v_cmp_eq_u16_sdwa s[12:13], v4, s4 src0_sel:BYTE_0 src1_sel:DWORD
	s_mov_b64 s[4:5], -1
                                        ; implicit-def: $sgpr10
	s_and_saveexec_b64 s[8:9], s[12:13]
; %bb.3526:
	s_mov_b32 s10, 0x7f800001
	s_xor_b64 s[4:5], exec, -1
; %bb.3527:
	s_or_b64 exec, exec, s[8:9]
	s_and_b64 s[4:5], s[4:5], exec
	s_or_saveexec_b64 s[6:7], s[6:7]
	v_mov_b32_e32 v3, s10
	s_xor_b64 exec, exec, s[6:7]
	s_cbranch_execz .LBB35_1478
.LBB35_3528:
	v_mov_b32_e32 v3, 0
	v_cmp_ne_u16_sdwa s[8:9], v4, v3 src0_sel:BYTE_0 src1_sel:DWORD
	s_andn2_b64 s[4:5], s[4:5], exec
	s_and_b64 s[8:9], s[8:9], exec
	s_or_b64 s[4:5], s[4:5], s[8:9]
	s_or_b64 exec, exec, s[6:7]
	s_and_saveexec_b64 s[6:7], s[4:5]
	s_cbranch_execnz .LBB35_1479
	s_branch .LBB35_1480
.LBB35_3529:
	s_movk_i32 s4, 0x80
	v_cmp_eq_u16_sdwa s[12:13], v3, s4 src0_sel:BYTE_0 src1_sel:DWORD
	s_mov_b64 s[4:5], -1
                                        ; implicit-def: $sgpr10
	s_and_saveexec_b64 s[8:9], s[12:13]
; %bb.3530:
	s_mov_b32 s10, 0x7f800001
	s_xor_b64 s[4:5], exec, -1
; %bb.3531:
	s_or_b64 exec, exec, s[8:9]
	s_and_b64 s[4:5], s[4:5], exec
	s_or_saveexec_b64 s[6:7], s[6:7]
	v_mov_b32_e32 v2, s10
	s_xor_b64 exec, exec, s[6:7]
	s_cbranch_execz .LBB35_1482
.LBB35_3532:
	v_mov_b32_e32 v2, 0
	v_cmp_ne_u16_sdwa s[8:9], v3, v2 src0_sel:BYTE_0 src1_sel:DWORD
	s_andn2_b64 s[4:5], s[4:5], exec
	s_and_b64 s[8:9], s[8:9], exec
	s_or_b64 s[4:5], s[4:5], s[8:9]
	s_or_b64 exec, exec, s[6:7]
	s_and_saveexec_b64 s[6:7], s[4:5]
	s_cbranch_execnz .LBB35_1483
	s_branch .LBB35_1484
.LBB35_3533:
	s_movk_i32 s4, 0x80
	v_cmp_eq_u16_sdwa s[12:13], v3, s4 src0_sel:BYTE_0 src1_sel:DWORD
	s_mov_b64 s[4:5], -1
                                        ; implicit-def: $sgpr10
	s_and_saveexec_b64 s[8:9], s[12:13]
; %bb.3534:
	s_mov_b32 s10, 0x7f800001
	s_xor_b64 s[4:5], exec, -1
; %bb.3535:
	s_or_b64 exec, exec, s[8:9]
	s_and_b64 s[4:5], s[4:5], exec
	s_or_saveexec_b64 s[6:7], s[6:7]
	v_mov_b32_e32 v6, s10
	s_xor_b64 exec, exec, s[6:7]
	s_cbranch_execz .LBB35_1486
.LBB35_3536:
	v_mov_b32_e32 v6, 0
	v_cmp_ne_u16_sdwa s[8:9], v3, v6 src0_sel:BYTE_0 src1_sel:DWORD
	s_andn2_b64 s[4:5], s[4:5], exec
	s_and_b64 s[8:9], s[8:9], exec
	s_or_b64 s[4:5], s[4:5], s[8:9]
	s_or_b64 exec, exec, s[6:7]
	s_and_saveexec_b64 s[6:7], s[4:5]
	s_cbranch_execnz .LBB35_1487
	s_branch .LBB35_1488
.LBB35_3537:
	s_movk_i32 s4, 0x80
	v_cmp_eq_u16_e32 vcc, s4, v3
	s_mov_b64 s[4:5], -1
                                        ; implicit-def: $sgpr10
	s_and_saveexec_b64 s[8:9], vcc
; %bb.3538:
	s_mov_b32 s10, 0x7f800001
	s_xor_b64 s[4:5], exec, -1
; %bb.3539:
	s_or_b64 exec, exec, s[8:9]
	s_and_b64 s[4:5], s[4:5], exec
                                        ; implicit-def: $vgpr3
	s_or_saveexec_b64 s[6:7], s[6:7]
	v_mov_b32_e32 v2, s10
	s_xor_b64 exec, exec, s[6:7]
	s_cbranch_execz .LBB35_1490
.LBB35_3540:
	v_cmp_ne_u16_e32 vcc, 0, v3
	s_andn2_b64 s[4:5], s[4:5], exec
	s_and_b64 s[8:9], vcc, exec
	v_mov_b32_e32 v2, 0
	s_or_b64 s[4:5], s[4:5], s[8:9]
	s_or_b64 exec, exec, s[6:7]
	s_and_saveexec_b64 s[6:7], s[4:5]
	s_cbranch_execnz .LBB35_1491
	s_branch .LBB35_1492
.LBB35_3541:
	s_movk_i32 s4, 0x80
	v_cmp_eq_u16_e32 vcc, s4, v3
	s_mov_b64 s[4:5], -1
                                        ; implicit-def: $sgpr10
	s_and_saveexec_b64 s[8:9], vcc
; %bb.3542:
	s_mov_b32 s10, 0x7f800001
	s_xor_b64 s[4:5], exec, -1
; %bb.3543:
	s_or_b64 exec, exec, s[8:9]
	s_and_b64 s[4:5], s[4:5], exec
                                        ; implicit-def: $vgpr3
	s_or_saveexec_b64 s[6:7], s[6:7]
	v_mov_b32_e32 v6, s10
	s_xor_b64 exec, exec, s[6:7]
	s_cbranch_execz .LBB35_1494
.LBB35_3544:
	v_cmp_ne_u16_e32 vcc, 0, v3
	s_andn2_b64 s[4:5], s[4:5], exec
	s_and_b64 s[8:9], vcc, exec
	v_mov_b32_e32 v6, 0
	s_or_b64 s[4:5], s[4:5], s[8:9]
	s_or_b64 exec, exec, s[6:7]
	s_and_saveexec_b64 s[6:7], s[4:5]
	s_cbranch_execnz .LBB35_1495
	s_branch .LBB35_1496
.LBB35_3545:
	s_movk_i32 s4, 0x80
	v_cmp_eq_u16_sdwa s[12:13], v8, s4 src0_sel:BYTE_3 src1_sel:DWORD
	s_mov_b64 s[4:5], -1
                                        ; implicit-def: $sgpr10
	s_and_saveexec_b64 s[8:9], s[12:13]
; %bb.3546:
	s_mov_b32 s10, 0x7f800001
	s_xor_b64 s[4:5], exec, -1
; %bb.3547:
	s_or_b64 exec, exec, s[8:9]
	s_and_b64 s[4:5], s[4:5], exec
	s_or_saveexec_b64 s[6:7], s[6:7]
	v_mov_b32_e32 v2, s10
	s_xor_b64 exec, exec, s[6:7]
	s_cbranch_execz .LBB35_1498
.LBB35_3548:
	v_mov_b32_e32 v2, 0
	v_cmp_ne_u16_sdwa s[8:9], v8, v2 src0_sel:BYTE_3 src1_sel:DWORD
	s_andn2_b64 s[4:5], s[4:5], exec
	s_and_b64 s[8:9], s[8:9], exec
	s_or_b64 s[4:5], s[4:5], s[8:9]
	s_or_b64 exec, exec, s[6:7]
	s_and_saveexec_b64 s[6:7], s[4:5]
	s_cbranch_execnz .LBB35_1499
	s_branch .LBB35_1500
.LBB35_3549:
	s_movk_i32 s4, 0x80
	v_cmp_eq_u16_sdwa s[12:13], v4, s4 src0_sel:BYTE_3 src1_sel:DWORD
	s_mov_b64 s[4:5], -1
                                        ; implicit-def: $sgpr10
	s_and_saveexec_b64 s[8:9], s[12:13]
; %bb.3550:
	s_mov_b32 s10, 0x7f800001
	s_xor_b64 s[4:5], exec, -1
; %bb.3551:
	s_or_b64 exec, exec, s[8:9]
	s_and_b64 s[4:5], s[4:5], exec
	s_or_saveexec_b64 s[6:7], s[6:7]
	v_mov_b32_e32 v3, s10
	s_xor_b64 exec, exec, s[6:7]
	s_cbranch_execz .LBB35_1502
.LBB35_3552:
	v_mov_b32_e32 v3, 0
	v_cmp_ne_u16_sdwa s[8:9], v4, v3 src0_sel:BYTE_3 src1_sel:DWORD
	s_andn2_b64 s[4:5], s[4:5], exec
	s_and_b64 s[8:9], s[8:9], exec
	s_or_b64 s[4:5], s[4:5], s[8:9]
	s_or_b64 exec, exec, s[6:7]
	s_and_saveexec_b64 s[6:7], s[4:5]
	s_cbranch_execnz .LBB35_1503
	s_branch .LBB35_1504
.LBB35_3553:
	s_movk_i32 s4, 0x80
	v_cmp_eq_u16_sdwa s[12:13], v9, s4 src0_sel:BYTE_0 src1_sel:DWORD
	s_mov_b64 s[4:5], -1
                                        ; implicit-def: $sgpr10
	s_and_saveexec_b64 s[8:9], s[12:13]
; %bb.3554:
	s_mov_b32 s10, 0x7f800001
	s_xor_b64 s[4:5], exec, -1
; %bb.3555:
	s_or_b64 exec, exec, s[8:9]
	s_and_b64 s[4:5], s[4:5], exec
	s_or_saveexec_b64 s[6:7], s[6:7]
	v_mov_b32_e32 v2, s10
	s_xor_b64 exec, exec, s[6:7]
	s_cbranch_execz .LBB35_1506
.LBB35_3556:
	v_mov_b32_e32 v2, 0
	v_cmp_ne_u16_sdwa s[8:9], v9, v2 src0_sel:BYTE_0 src1_sel:DWORD
	s_andn2_b64 s[4:5], s[4:5], exec
	s_and_b64 s[8:9], s[8:9], exec
	s_or_b64 s[4:5], s[4:5], s[8:9]
	s_or_b64 exec, exec, s[6:7]
	s_and_saveexec_b64 s[6:7], s[4:5]
	s_cbranch_execnz .LBB35_1507
	s_branch .LBB35_1508
.LBB35_3557:
	s_movk_i32 s4, 0x80
	v_cmp_eq_u16_sdwa s[12:13], v5, s4 src0_sel:BYTE_0 src1_sel:DWORD
	s_mov_b64 s[4:5], -1
                                        ; implicit-def: $sgpr10
	s_and_saveexec_b64 s[8:9], s[12:13]
; %bb.3558:
	s_mov_b32 s10, 0x7f800001
	s_xor_b64 s[4:5], exec, -1
; %bb.3559:
	s_or_b64 exec, exec, s[8:9]
	s_and_b64 s[4:5], s[4:5], exec
	s_or_saveexec_b64 s[6:7], s[6:7]
	v_mov_b32_e32 v3, s10
	s_xor_b64 exec, exec, s[6:7]
	s_cbranch_execz .LBB35_1510
.LBB35_3560:
	v_mov_b32_e32 v3, 0
	v_cmp_ne_u16_sdwa s[8:9], v5, v3 src0_sel:BYTE_0 src1_sel:DWORD
	s_andn2_b64 s[4:5], s[4:5], exec
	s_and_b64 s[8:9], s[8:9], exec
	s_or_b64 s[4:5], s[4:5], s[8:9]
	s_or_b64 exec, exec, s[6:7]
	s_and_saveexec_b64 s[6:7], s[4:5]
	s_cbranch_execnz .LBB35_1511
	s_branch .LBB35_1512
.LBB35_3561:
	s_movk_i32 s4, 0x80
	v_cmp_eq_u16_sdwa s[12:13], v3, s4 src0_sel:BYTE_0 src1_sel:DWORD
	s_mov_b64 s[4:5], -1
                                        ; implicit-def: $sgpr10
	s_and_saveexec_b64 s[8:9], s[12:13]
; %bb.3562:
	s_mov_b32 s10, 0x7f800001
	s_xor_b64 s[4:5], exec, -1
; %bb.3563:
	s_or_b64 exec, exec, s[8:9]
	s_and_b64 s[4:5], s[4:5], exec
	s_or_saveexec_b64 s[6:7], s[6:7]
	v_mov_b32_e32 v2, s10
	s_xor_b64 exec, exec, s[6:7]
	s_cbranch_execz .LBB35_1514
.LBB35_3564:
	v_mov_b32_e32 v2, 0
	v_cmp_ne_u16_sdwa s[8:9], v3, v2 src0_sel:BYTE_0 src1_sel:DWORD
	s_andn2_b64 s[4:5], s[4:5], exec
	s_and_b64 s[8:9], s[8:9], exec
	s_or_b64 s[4:5], s[4:5], s[8:9]
	s_or_b64 exec, exec, s[6:7]
	s_and_saveexec_b64 s[6:7], s[4:5]
	s_cbranch_execnz .LBB35_1515
	s_branch .LBB35_1516
.LBB35_3565:
	s_movk_i32 s4, 0x80
	v_cmp_eq_u16_sdwa s[12:13], v3, s4 src0_sel:BYTE_0 src1_sel:DWORD
	s_mov_b64 s[4:5], -1
                                        ; implicit-def: $sgpr10
	s_and_saveexec_b64 s[8:9], s[12:13]
; %bb.3566:
	s_mov_b32 s10, 0x7f800001
	s_xor_b64 s[4:5], exec, -1
; %bb.3567:
	s_or_b64 exec, exec, s[8:9]
	s_and_b64 s[4:5], s[4:5], exec
	s_or_saveexec_b64 s[6:7], s[6:7]
	v_mov_b32_e32 v4, s10
	s_xor_b64 exec, exec, s[6:7]
	s_cbranch_execz .LBB35_1518
.LBB35_3568:
	v_mov_b32_e32 v4, 0
	v_cmp_ne_u16_sdwa s[8:9], v3, v4 src0_sel:BYTE_0 src1_sel:DWORD
	s_andn2_b64 s[4:5], s[4:5], exec
	s_and_b64 s[8:9], s[8:9], exec
	s_or_b64 s[4:5], s[4:5], s[8:9]
	s_or_b64 exec, exec, s[6:7]
	s_and_saveexec_b64 s[6:7], s[4:5]
	s_cbranch_execnz .LBB35_1519
	s_branch .LBB35_1520
.LBB35_3569:
	s_movk_i32 s4, 0x80
	v_cmp_eq_u16_e32 vcc, s4, v3
	s_mov_b64 s[4:5], -1
                                        ; implicit-def: $sgpr10
	s_and_saveexec_b64 s[8:9], vcc
; %bb.3570:
	s_mov_b32 s10, 0x7f800001
	s_xor_b64 s[4:5], exec, -1
; %bb.3571:
	s_or_b64 exec, exec, s[8:9]
	s_and_b64 s[4:5], s[4:5], exec
                                        ; implicit-def: $vgpr3
	s_or_saveexec_b64 s[6:7], s[6:7]
	v_mov_b32_e32 v2, s10
	s_xor_b64 exec, exec, s[6:7]
	s_cbranch_execz .LBB35_1522
.LBB35_3572:
	v_cmp_ne_u16_e32 vcc, 0, v3
	s_andn2_b64 s[4:5], s[4:5], exec
	s_and_b64 s[8:9], vcc, exec
	v_mov_b32_e32 v2, 0
	s_or_b64 s[4:5], s[4:5], s[8:9]
	s_or_b64 exec, exec, s[6:7]
	s_and_saveexec_b64 s[6:7], s[4:5]
	s_cbranch_execnz .LBB35_1523
	s_branch .LBB35_1524
.LBB35_3573:
	s_movk_i32 s4, 0x80
	v_cmp_eq_u16_e32 vcc, s4, v3
	s_mov_b64 s[4:5], -1
                                        ; implicit-def: $sgpr10
	s_and_saveexec_b64 s[8:9], vcc
; %bb.3574:
	s_mov_b32 s10, 0x7f800001
	s_xor_b64 s[4:5], exec, -1
; %bb.3575:
	s_or_b64 exec, exec, s[8:9]
	s_and_b64 s[4:5], s[4:5], exec
                                        ; implicit-def: $vgpr3
	s_or_saveexec_b64 s[6:7], s[6:7]
	v_mov_b32_e32 v4, s10
	s_xor_b64 exec, exec, s[6:7]
	s_cbranch_execz .LBB35_1526
.LBB35_3576:
	v_cmp_ne_u16_e32 vcc, 0, v3
	s_andn2_b64 s[4:5], s[4:5], exec
	s_and_b64 s[8:9], vcc, exec
	v_mov_b32_e32 v4, 0
	s_or_b64 s[4:5], s[4:5], s[8:9]
	s_or_b64 exec, exec, s[6:7]
	s_and_saveexec_b64 s[6:7], s[4:5]
	s_cbranch_execnz .LBB35_1527
	s_branch .LBB35_1528
.LBB35_3577:
	s_movk_i32 s4, 0x80
	v_cmp_eq_u16_sdwa s[12:13], v9, s4 src0_sel:BYTE_3 src1_sel:DWORD
	s_mov_b64 s[4:5], -1
                                        ; implicit-def: $sgpr10
	s_and_saveexec_b64 s[8:9], s[12:13]
; %bb.3578:
	s_mov_b32 s10, 0x7f800001
	s_xor_b64 s[4:5], exec, -1
; %bb.3579:
	s_or_b64 exec, exec, s[8:9]
	s_and_b64 s[4:5], s[4:5], exec
	s_or_saveexec_b64 s[6:7], s[6:7]
	v_mov_b32_e32 v2, s10
	s_xor_b64 exec, exec, s[6:7]
	s_cbranch_execz .LBB35_1530
.LBB35_3580:
	v_mov_b32_e32 v2, 0
	v_cmp_ne_u16_sdwa s[8:9], v9, v2 src0_sel:BYTE_3 src1_sel:DWORD
	s_andn2_b64 s[4:5], s[4:5], exec
	s_and_b64 s[8:9], s[8:9], exec
	s_or_b64 s[4:5], s[4:5], s[8:9]
	s_or_b64 exec, exec, s[6:7]
	s_and_saveexec_b64 s[6:7], s[4:5]
	s_cbranch_execnz .LBB35_1531
	s_branch .LBB35_1532
.LBB35_3581:
	s_movk_i32 s4, 0x80
	v_cmp_eq_u16_sdwa s[12:13], v5, s4 src0_sel:BYTE_3 src1_sel:DWORD
	s_mov_b64 s[4:5], -1
                                        ; implicit-def: $sgpr10
	s_and_saveexec_b64 s[8:9], s[12:13]
; %bb.3582:
	s_mov_b32 s10, 0x7f800001
	s_xor_b64 s[4:5], exec, -1
; %bb.3583:
	s_or_b64 exec, exec, s[8:9]
	s_and_b64 s[4:5], s[4:5], exec
	s_or_saveexec_b64 s[6:7], s[6:7]
	v_mov_b32_e32 v3, s10
	s_xor_b64 exec, exec, s[6:7]
	s_cbranch_execz .LBB35_1534
.LBB35_3584:
	v_mov_b32_e32 v3, 0
	v_cmp_ne_u16_sdwa s[8:9], v5, v3 src0_sel:BYTE_3 src1_sel:DWORD
	s_andn2_b64 s[4:5], s[4:5], exec
	s_and_b64 s[8:9], s[8:9], exec
	s_or_b64 s[4:5], s[4:5], s[8:9]
	s_or_b64 exec, exec, s[6:7]
	s_and_saveexec_b64 s[6:7], s[4:5]
	s_cbranch_execnz .LBB35_1535
	s_branch .LBB35_1536
.LBB35_3585:
	s_movk_i32 s4, 0x80
	v_cmp_eq_u16_sdwa s[12:13], v14, s4 src0_sel:BYTE_0 src1_sel:DWORD
	s_mov_b64 s[4:5], -1
                                        ; implicit-def: $sgpr10
	s_and_saveexec_b64 s[8:9], s[12:13]
; %bb.3586:
	s_mov_b32 s10, 0x7f800001
	s_xor_b64 s[4:5], exec, -1
; %bb.3587:
	s_or_b64 exec, exec, s[8:9]
	s_and_b64 s[4:5], s[4:5], exec
	s_or_saveexec_b64 s[6:7], s[6:7]
	v_mov_b32_e32 v20, s10
	s_xor_b64 exec, exec, s[6:7]
	s_cbranch_execz .LBB35_1538
.LBB35_3588:
	v_mov_b32_e32 v20, 0
	v_cmp_ne_u16_sdwa s[8:9], v14, v20 src0_sel:BYTE_0 src1_sel:DWORD
	s_andn2_b64 s[4:5], s[4:5], exec
	s_and_b64 s[8:9], s[8:9], exec
	s_or_b64 s[4:5], s[4:5], s[8:9]
	s_or_b64 exec, exec, s[6:7]
	s_and_saveexec_b64 s[6:7], s[4:5]
	s_cbranch_execnz .LBB35_1539
	s_branch .LBB35_1540
.LBB35_3589:
	s_movk_i32 s4, 0x80
	v_cmp_eq_u16_sdwa s[12:13], v10, s4 src0_sel:BYTE_0 src1_sel:DWORD
	s_mov_b64 s[4:5], -1
                                        ; implicit-def: $sgpr10
	s_and_saveexec_b64 s[8:9], s[12:13]
; %bb.3590:
	s_mov_b32 s10, 0x7f800001
	s_xor_b64 s[4:5], exec, -1
; %bb.3591:
	s_or_b64 exec, exec, s[8:9]
	s_and_b64 s[4:5], s[4:5], exec
	s_or_saveexec_b64 s[6:7], s[6:7]
	v_mov_b32_e32 v21, s10
	s_xor_b64 exec, exec, s[6:7]
	s_cbranch_execz .LBB35_1542
.LBB35_3592:
	v_mov_b32_e32 v21, 0
	v_cmp_ne_u16_sdwa s[8:9], v10, v21 src0_sel:BYTE_0 src1_sel:DWORD
	s_andn2_b64 s[4:5], s[4:5], exec
	s_and_b64 s[8:9], s[8:9], exec
	s_or_b64 s[4:5], s[4:5], s[8:9]
	s_or_b64 exec, exec, s[6:7]
	s_and_saveexec_b64 s[6:7], s[4:5]
	s_cbranch_execnz .LBB35_1543
	s_branch .LBB35_1544
.LBB35_3593:
	s_movk_i32 s4, 0x80
	v_cmp_eq_u16_sdwa s[12:13], v21, s4 src0_sel:BYTE_0 src1_sel:DWORD
	s_mov_b64 s[4:5], -1
                                        ; implicit-def: $sgpr10
	s_and_saveexec_b64 s[8:9], s[12:13]
; %bb.3594:
	s_mov_b32 s10, 0x7f800001
	s_xor_b64 s[4:5], exec, -1
; %bb.3595:
	s_or_b64 exec, exec, s[8:9]
	s_and_b64 s[4:5], s[4:5], exec
	s_or_saveexec_b64 s[6:7], s[6:7]
	v_mov_b32_e32 v20, s10
	s_xor_b64 exec, exec, s[6:7]
	s_cbranch_execz .LBB35_1546
.LBB35_3596:
	v_mov_b32_e32 v20, 0
	v_cmp_ne_u16_sdwa s[8:9], v21, v20 src0_sel:BYTE_0 src1_sel:DWORD
	s_andn2_b64 s[4:5], s[4:5], exec
	s_and_b64 s[8:9], s[8:9], exec
	s_or_b64 s[4:5], s[4:5], s[8:9]
	s_or_b64 exec, exec, s[6:7]
	s_and_saveexec_b64 s[6:7], s[4:5]
	s_cbranch_execnz .LBB35_1547
	s_branch .LBB35_1548
.LBB35_3597:
	s_movk_i32 s4, 0x80
	v_cmp_eq_u16_sdwa s[12:13], v21, s4 src0_sel:BYTE_0 src1_sel:DWORD
	s_mov_b64 s[4:5], -1
                                        ; implicit-def: $sgpr10
	s_and_saveexec_b64 s[8:9], s[12:13]
; %bb.3598:
	s_mov_b32 s10, 0x7f800001
	s_xor_b64 s[4:5], exec, -1
; %bb.3599:
	s_or_b64 exec, exec, s[8:9]
	s_and_b64 s[4:5], s[4:5], exec
	s_or_saveexec_b64 s[6:7], s[6:7]
	v_mov_b32_e32 v22, s10
	s_xor_b64 exec, exec, s[6:7]
	s_cbranch_execz .LBB35_1550
.LBB35_3600:
	v_mov_b32_e32 v22, 0
	v_cmp_ne_u16_sdwa s[8:9], v21, v22 src0_sel:BYTE_0 src1_sel:DWORD
	s_andn2_b64 s[4:5], s[4:5], exec
	s_and_b64 s[8:9], s[8:9], exec
	s_or_b64 s[4:5], s[4:5], s[8:9]
	s_or_b64 exec, exec, s[6:7]
	s_and_saveexec_b64 s[6:7], s[4:5]
	s_cbranch_execnz .LBB35_1551
	s_branch .LBB35_1552
.LBB35_3601:
	s_movk_i32 s4, 0x80
	v_cmp_eq_u16_e32 vcc, s4, v21
	s_mov_b64 s[4:5], -1
                                        ; implicit-def: $sgpr10
	s_and_saveexec_b64 s[8:9], vcc
; %bb.3602:
	s_mov_b32 s10, 0x7f800001
	s_xor_b64 s[4:5], exec, -1
; %bb.3603:
	s_or_b64 exec, exec, s[8:9]
	s_and_b64 s[4:5], s[4:5], exec
                                        ; implicit-def: $vgpr21
	s_or_saveexec_b64 s[6:7], s[6:7]
	v_mov_b32_e32 v20, s10
	s_xor_b64 exec, exec, s[6:7]
	s_cbranch_execz .LBB35_1554
.LBB35_3604:
	v_cmp_ne_u16_e32 vcc, 0, v21
	s_andn2_b64 s[4:5], s[4:5], exec
	s_and_b64 s[8:9], vcc, exec
	v_mov_b32_e32 v20, 0
	s_or_b64 s[4:5], s[4:5], s[8:9]
	s_or_b64 exec, exec, s[6:7]
	s_and_saveexec_b64 s[6:7], s[4:5]
	s_cbranch_execnz .LBB35_1555
	s_branch .LBB35_1556
.LBB35_3605:
	s_movk_i32 s4, 0x80
	v_cmp_eq_u16_e32 vcc, s4, v21
	s_mov_b64 s[4:5], -1
                                        ; implicit-def: $sgpr10
	s_and_saveexec_b64 s[8:9], vcc
; %bb.3606:
	s_mov_b32 s10, 0x7f800001
	s_xor_b64 s[4:5], exec, -1
; %bb.3607:
	s_or_b64 exec, exec, s[8:9]
	s_and_b64 s[4:5], s[4:5], exec
                                        ; implicit-def: $vgpr21
	s_or_saveexec_b64 s[6:7], s[6:7]
	v_mov_b32_e32 v22, s10
	s_xor_b64 exec, exec, s[6:7]
	s_cbranch_execz .LBB35_1558
.LBB35_3608:
	v_cmp_ne_u16_e32 vcc, 0, v21
	s_andn2_b64 s[4:5], s[4:5], exec
	s_and_b64 s[8:9], vcc, exec
	v_mov_b32_e32 v22, 0
	s_or_b64 s[4:5], s[4:5], s[8:9]
	s_or_b64 exec, exec, s[6:7]
	s_and_saveexec_b64 s[6:7], s[4:5]
	s_cbranch_execnz .LBB35_1559
	s_branch .LBB35_1560
.LBB35_3609:
	s_movk_i32 s4, 0x80
	v_cmp_eq_u16_sdwa s[12:13], v14, s4 src0_sel:BYTE_3 src1_sel:DWORD
	s_mov_b64 s[4:5], -1
                                        ; implicit-def: $sgpr10
	s_and_saveexec_b64 s[8:9], s[12:13]
; %bb.3610:
	s_mov_b32 s10, 0x7f800001
	s_xor_b64 s[4:5], exec, -1
; %bb.3611:
	s_or_b64 exec, exec, s[8:9]
	s_and_b64 s[4:5], s[4:5], exec
	s_or_saveexec_b64 s[6:7], s[6:7]
	v_mov_b32_e32 v20, s10
	s_xor_b64 exec, exec, s[6:7]
	s_cbranch_execz .LBB35_1562
.LBB35_3612:
	v_mov_b32_e32 v20, 0
	v_cmp_ne_u16_sdwa s[8:9], v14, v20 src0_sel:BYTE_3 src1_sel:DWORD
	s_andn2_b64 s[4:5], s[4:5], exec
	s_and_b64 s[8:9], s[8:9], exec
	s_or_b64 s[4:5], s[4:5], s[8:9]
	s_or_b64 exec, exec, s[6:7]
	s_and_saveexec_b64 s[6:7], s[4:5]
	s_cbranch_execnz .LBB35_1563
	s_branch .LBB35_1564
.LBB35_3613:
	s_movk_i32 s4, 0x80
	v_cmp_eq_u16_sdwa s[12:13], v10, s4 src0_sel:BYTE_3 src1_sel:DWORD
	s_mov_b64 s[4:5], -1
                                        ; implicit-def: $sgpr10
	s_and_saveexec_b64 s[8:9], s[12:13]
; %bb.3614:
	s_mov_b32 s10, 0x7f800001
	s_xor_b64 s[4:5], exec, -1
; %bb.3615:
	s_or_b64 exec, exec, s[8:9]
	s_and_b64 s[4:5], s[4:5], exec
	s_or_saveexec_b64 s[6:7], s[6:7]
	v_mov_b32_e32 v14, s10
	s_xor_b64 exec, exec, s[6:7]
	s_cbranch_execz .LBB35_1566
.LBB35_3616:
	v_mov_b32_e32 v14, 0
	v_cmp_ne_u16_sdwa s[8:9], v10, v14 src0_sel:BYTE_3 src1_sel:DWORD
	s_andn2_b64 s[4:5], s[4:5], exec
	s_and_b64 s[8:9], s[8:9], exec
	s_or_b64 s[4:5], s[4:5], s[8:9]
	s_or_b64 exec, exec, s[6:7]
	s_and_saveexec_b64 s[6:7], s[4:5]
	s_cbranch_execnz .LBB35_1567
	s_branch .LBB35_1568
.LBB35_3617:
	s_movk_i32 s4, 0x80
	v_cmp_eq_u16_sdwa s[12:13], v15, s4 src0_sel:BYTE_0 src1_sel:DWORD
	s_mov_b64 s[4:5], -1
                                        ; implicit-def: $sgpr10
	s_and_saveexec_b64 s[8:9], s[12:13]
; %bb.3618:
	s_mov_b32 s10, 0x7f800001
	s_xor_b64 s[4:5], exec, -1
; %bb.3619:
	s_or_b64 exec, exec, s[8:9]
	s_and_b64 s[4:5], s[4:5], exec
	s_or_saveexec_b64 s[6:7], s[6:7]
	v_mov_b32_e32 v10, s10
	s_xor_b64 exec, exec, s[6:7]
	s_cbranch_execz .LBB35_1570
.LBB35_3620:
	v_mov_b32_e32 v10, 0
	v_cmp_ne_u16_sdwa s[8:9], v15, v10 src0_sel:BYTE_0 src1_sel:DWORD
	s_andn2_b64 s[4:5], s[4:5], exec
	s_and_b64 s[8:9], s[8:9], exec
	s_or_b64 s[4:5], s[4:5], s[8:9]
	s_or_b64 exec, exec, s[6:7]
	s_and_saveexec_b64 s[6:7], s[4:5]
	s_cbranch_execnz .LBB35_1571
	s_branch .LBB35_1572
.LBB35_3621:
	s_movk_i32 s4, 0x80
	v_cmp_eq_u16_sdwa s[12:13], v11, s4 src0_sel:BYTE_0 src1_sel:DWORD
	s_mov_b64 s[4:5], -1
                                        ; implicit-def: $sgpr10
	s_and_saveexec_b64 s[8:9], s[12:13]
; %bb.3622:
	s_mov_b32 s10, 0x7f800001
	s_xor_b64 s[4:5], exec, -1
; %bb.3623:
	s_or_b64 exec, exec, s[8:9]
	s_and_b64 s[4:5], s[4:5], exec
	s_or_saveexec_b64 s[6:7], s[6:7]
	v_mov_b32_e32 v14, s10
	s_xor_b64 exec, exec, s[6:7]
	s_cbranch_execz .LBB35_1574
.LBB35_3624:
	v_mov_b32_e32 v14, 0
	v_cmp_ne_u16_sdwa s[8:9], v11, v14 src0_sel:BYTE_0 src1_sel:DWORD
	s_andn2_b64 s[4:5], s[4:5], exec
	s_and_b64 s[8:9], s[8:9], exec
	s_or_b64 s[4:5], s[4:5], s[8:9]
	s_or_b64 exec, exec, s[6:7]
	s_and_saveexec_b64 s[6:7], s[4:5]
	s_cbranch_execnz .LBB35_1575
	s_branch .LBB35_1576
.LBB35_3625:
	s_movk_i32 s4, 0x80
	v_cmp_eq_u16_sdwa s[12:13], v14, s4 src0_sel:BYTE_0 src1_sel:DWORD
	s_mov_b64 s[4:5], -1
                                        ; implicit-def: $sgpr10
	s_and_saveexec_b64 s[8:9], s[12:13]
; %bb.3626:
	s_mov_b32 s10, 0x7f800001
	s_xor_b64 s[4:5], exec, -1
; %bb.3627:
	s_or_b64 exec, exec, s[8:9]
	s_and_b64 s[4:5], s[4:5], exec
	s_or_saveexec_b64 s[6:7], s[6:7]
	v_mov_b32_e32 v10, s10
	s_xor_b64 exec, exec, s[6:7]
	s_cbranch_execz .LBB35_1578
.LBB35_3628:
	v_mov_b32_e32 v10, 0
	v_cmp_ne_u16_sdwa s[8:9], v14, v10 src0_sel:BYTE_0 src1_sel:DWORD
	s_andn2_b64 s[4:5], s[4:5], exec
	s_and_b64 s[8:9], s[8:9], exec
	s_or_b64 s[4:5], s[4:5], s[8:9]
	s_or_b64 exec, exec, s[6:7]
	s_and_saveexec_b64 s[6:7], s[4:5]
	s_cbranch_execnz .LBB35_1579
	s_branch .LBB35_1580
.LBB35_3629:
	s_movk_i32 s4, 0x80
	v_cmp_eq_u16_sdwa s[12:13], v14, s4 src0_sel:BYTE_0 src1_sel:DWORD
	s_mov_b64 s[4:5], -1
                                        ; implicit-def: $sgpr10
	s_and_saveexec_b64 s[8:9], s[12:13]
; %bb.3630:
	s_mov_b32 s10, 0x7f800001
	s_xor_b64 s[4:5], exec, -1
; %bb.3631:
	s_or_b64 exec, exec, s[8:9]
	s_and_b64 s[4:5], s[4:5], exec
	s_or_saveexec_b64 s[6:7], s[6:7]
	v_mov_b32_e32 v20, s10
	s_xor_b64 exec, exec, s[6:7]
	s_cbranch_execz .LBB35_1582
.LBB35_3632:
	v_mov_b32_e32 v20, 0
	v_cmp_ne_u16_sdwa s[8:9], v14, v20 src0_sel:BYTE_0 src1_sel:DWORD
	s_andn2_b64 s[4:5], s[4:5], exec
	s_and_b64 s[8:9], s[8:9], exec
	s_or_b64 s[4:5], s[4:5], s[8:9]
	s_or_b64 exec, exec, s[6:7]
	s_and_saveexec_b64 s[6:7], s[4:5]
	s_cbranch_execnz .LBB35_1583
	s_branch .LBB35_1584
.LBB35_3633:
	s_movk_i32 s4, 0x80
	v_cmp_eq_u16_e32 vcc, s4, v14
	s_mov_b64 s[4:5], -1
                                        ; implicit-def: $sgpr10
	s_and_saveexec_b64 s[8:9], vcc
; %bb.3634:
	s_mov_b32 s10, 0x7f800001
	s_xor_b64 s[4:5], exec, -1
; %bb.3635:
	s_or_b64 exec, exec, s[8:9]
	s_and_b64 s[4:5], s[4:5], exec
                                        ; implicit-def: $vgpr14
	s_or_saveexec_b64 s[6:7], s[6:7]
	v_mov_b32_e32 v10, s10
	s_xor_b64 exec, exec, s[6:7]
	s_cbranch_execz .LBB35_1586
.LBB35_3636:
	v_cmp_ne_u16_e32 vcc, 0, v14
	s_andn2_b64 s[4:5], s[4:5], exec
	s_and_b64 s[8:9], vcc, exec
	v_mov_b32_e32 v10, 0
	s_or_b64 s[4:5], s[4:5], s[8:9]
	s_or_b64 exec, exec, s[6:7]
	s_and_saveexec_b64 s[6:7], s[4:5]
	s_cbranch_execnz .LBB35_1587
	s_branch .LBB35_1588
.LBB35_3637:
	s_movk_i32 s4, 0x80
	v_cmp_eq_u16_e32 vcc, s4, v14
	s_mov_b64 s[4:5], -1
                                        ; implicit-def: $sgpr10
	s_and_saveexec_b64 s[8:9], vcc
; %bb.3638:
	s_mov_b32 s10, 0x7f800001
	s_xor_b64 s[4:5], exec, -1
; %bb.3639:
	s_or_b64 exec, exec, s[8:9]
	s_and_b64 s[4:5], s[4:5], exec
                                        ; implicit-def: $vgpr14
	s_or_saveexec_b64 s[6:7], s[6:7]
	v_mov_b32_e32 v20, s10
	s_xor_b64 exec, exec, s[6:7]
	s_cbranch_execz .LBB35_1590
.LBB35_3640:
	v_cmp_ne_u16_e32 vcc, 0, v14
	s_andn2_b64 s[4:5], s[4:5], exec
	s_and_b64 s[8:9], vcc, exec
	v_mov_b32_e32 v20, 0
	s_or_b64 s[4:5], s[4:5], s[8:9]
	s_or_b64 exec, exec, s[6:7]
	s_and_saveexec_b64 s[6:7], s[4:5]
	s_cbranch_execnz .LBB35_1591
	s_branch .LBB35_1592
.LBB35_3641:
	s_movk_i32 s4, 0x80
	v_cmp_eq_u16_sdwa s[12:13], v15, s4 src0_sel:BYTE_3 src1_sel:DWORD
	s_mov_b64 s[4:5], -1
                                        ; implicit-def: $sgpr10
	s_and_saveexec_b64 s[8:9], s[12:13]
; %bb.3642:
	s_mov_b32 s10, 0x7f800001
	s_xor_b64 s[4:5], exec, -1
; %bb.3643:
	s_or_b64 exec, exec, s[8:9]
	s_and_b64 s[4:5], s[4:5], exec
	s_or_saveexec_b64 s[6:7], s[6:7]
	v_mov_b32_e32 v10, s10
	s_xor_b64 exec, exec, s[6:7]
	s_cbranch_execz .LBB35_1594
.LBB35_3644:
	v_mov_b32_e32 v10, 0
	v_cmp_ne_u16_sdwa s[8:9], v15, v10 src0_sel:BYTE_3 src1_sel:DWORD
	s_andn2_b64 s[4:5], s[4:5], exec
	s_and_b64 s[8:9], s[8:9], exec
	s_or_b64 s[4:5], s[4:5], s[8:9]
	s_or_b64 exec, exec, s[6:7]
	s_and_saveexec_b64 s[6:7], s[4:5]
	s_cbranch_execnz .LBB35_1595
	s_branch .LBB35_1596
.LBB35_3645:
	s_movk_i32 s4, 0x80
	v_cmp_eq_u16_sdwa s[12:13], v11, s4 src0_sel:BYTE_3 src1_sel:DWORD
	s_mov_b64 s[4:5], -1
                                        ; implicit-def: $sgpr10
	s_and_saveexec_b64 s[8:9], s[12:13]
; %bb.3646:
	s_mov_b32 s10, 0x7f800001
	s_xor_b64 s[4:5], exec, -1
; %bb.3647:
	s_or_b64 exec, exec, s[8:9]
	s_and_b64 s[4:5], s[4:5], exec
	s_or_saveexec_b64 s[6:7], s[6:7]
	v_mov_b32_e32 v14, s10
	s_xor_b64 exec, exec, s[6:7]
	s_cbranch_execz .LBB35_1598
.LBB35_3648:
	v_mov_b32_e32 v14, 0
	v_cmp_ne_u16_sdwa s[8:9], v11, v14 src0_sel:BYTE_3 src1_sel:DWORD
	s_andn2_b64 s[4:5], s[4:5], exec
	s_and_b64 s[8:9], s[8:9], exec
	s_or_b64 s[4:5], s[4:5], s[8:9]
	s_or_b64 exec, exec, s[6:7]
	s_and_saveexec_b64 s[6:7], s[4:5]
	s_cbranch_execnz .LBB35_1599
	s_branch .LBB35_1600
.LBB35_3649:
	s_movk_i32 s4, 0x80
	v_cmp_eq_u16_sdwa s[12:13], v16, s4 src0_sel:BYTE_0 src1_sel:DWORD
	s_mov_b64 s[4:5], -1
                                        ; implicit-def: $sgpr10
	s_and_saveexec_b64 s[8:9], s[12:13]
; %bb.3650:
	s_mov_b32 s10, 0x7f800001
	s_xor_b64 s[4:5], exec, -1
; %bb.3651:
	s_or_b64 exec, exec, s[8:9]
	s_and_b64 s[4:5], s[4:5], exec
	s_or_saveexec_b64 s[6:7], s[6:7]
	v_mov_b32_e32 v10, s10
	s_xor_b64 exec, exec, s[6:7]
	s_cbranch_execz .LBB35_1602
.LBB35_3652:
	v_mov_b32_e32 v10, 0
	v_cmp_ne_u16_sdwa s[8:9], v16, v10 src0_sel:BYTE_0 src1_sel:DWORD
	s_andn2_b64 s[4:5], s[4:5], exec
	s_and_b64 s[8:9], s[8:9], exec
	s_or_b64 s[4:5], s[4:5], s[8:9]
	s_or_b64 exec, exec, s[6:7]
	s_and_saveexec_b64 s[6:7], s[4:5]
	s_cbranch_execnz .LBB35_1603
	s_branch .LBB35_1604
.LBB35_3653:
	s_movk_i32 s4, 0x80
	v_cmp_eq_u16_sdwa s[12:13], v12, s4 src0_sel:BYTE_0 src1_sel:DWORD
	s_mov_b64 s[4:5], -1
                                        ; implicit-def: $sgpr10
	s_and_saveexec_b64 s[8:9], s[12:13]
; %bb.3654:
	s_mov_b32 s10, 0x7f800001
	s_xor_b64 s[4:5], exec, -1
; %bb.3655:
	s_or_b64 exec, exec, s[8:9]
	s_and_b64 s[4:5], s[4:5], exec
	s_or_saveexec_b64 s[6:7], s[6:7]
	v_mov_b32_e32 v11, s10
	s_xor_b64 exec, exec, s[6:7]
	s_cbranch_execz .LBB35_1606
.LBB35_3656:
	v_mov_b32_e32 v11, 0
	v_cmp_ne_u16_sdwa s[8:9], v12, v11 src0_sel:BYTE_0 src1_sel:DWORD
	s_andn2_b64 s[4:5], s[4:5], exec
	s_and_b64 s[8:9], s[8:9], exec
	s_or_b64 s[4:5], s[4:5], s[8:9]
	s_or_b64 exec, exec, s[6:7]
	s_and_saveexec_b64 s[6:7], s[4:5]
	s_cbranch_execnz .LBB35_1607
	s_branch .LBB35_1608
.LBB35_3657:
	s_movk_i32 s4, 0x80
	v_cmp_eq_u16_sdwa s[12:13], v11, s4 src0_sel:BYTE_0 src1_sel:DWORD
	s_mov_b64 s[4:5], -1
                                        ; implicit-def: $sgpr10
	s_and_saveexec_b64 s[8:9], s[12:13]
; %bb.3658:
	s_mov_b32 s10, 0x7f800001
	s_xor_b64 s[4:5], exec, -1
; %bb.3659:
	s_or_b64 exec, exec, s[8:9]
	s_and_b64 s[4:5], s[4:5], exec
	s_or_saveexec_b64 s[6:7], s[6:7]
	v_mov_b32_e32 v10, s10
	s_xor_b64 exec, exec, s[6:7]
	s_cbranch_execz .LBB35_1610
.LBB35_3660:
	v_mov_b32_e32 v10, 0
	v_cmp_ne_u16_sdwa s[8:9], v11, v10 src0_sel:BYTE_0 src1_sel:DWORD
	s_andn2_b64 s[4:5], s[4:5], exec
	s_and_b64 s[8:9], s[8:9], exec
	s_or_b64 s[4:5], s[4:5], s[8:9]
	s_or_b64 exec, exec, s[6:7]
	s_and_saveexec_b64 s[6:7], s[4:5]
	s_cbranch_execnz .LBB35_1611
	s_branch .LBB35_1612
.LBB35_3661:
	s_movk_i32 s4, 0x80
	v_cmp_eq_u16_sdwa s[12:13], v11, s4 src0_sel:BYTE_0 src1_sel:DWORD
	s_mov_b64 s[4:5], -1
                                        ; implicit-def: $sgpr10
	s_and_saveexec_b64 s[8:9], s[12:13]
; %bb.3662:
	s_mov_b32 s10, 0x7f800001
	s_xor_b64 s[4:5], exec, -1
; %bb.3663:
	s_or_b64 exec, exec, s[8:9]
	s_and_b64 s[4:5], s[4:5], exec
	s_or_saveexec_b64 s[6:7], s[6:7]
	v_mov_b32_e32 v14, s10
	s_xor_b64 exec, exec, s[6:7]
	s_cbranch_execz .LBB35_1614
.LBB35_3664:
	v_mov_b32_e32 v14, 0
	v_cmp_ne_u16_sdwa s[8:9], v11, v14 src0_sel:BYTE_0 src1_sel:DWORD
	s_andn2_b64 s[4:5], s[4:5], exec
	s_and_b64 s[8:9], s[8:9], exec
	s_or_b64 s[4:5], s[4:5], s[8:9]
	s_or_b64 exec, exec, s[6:7]
	s_and_saveexec_b64 s[6:7], s[4:5]
	s_cbranch_execnz .LBB35_1615
	s_branch .LBB35_1616
.LBB35_3665:
	s_movk_i32 s4, 0x80
	v_cmp_eq_u16_e32 vcc, s4, v11
	s_mov_b64 s[4:5], -1
                                        ; implicit-def: $sgpr10
	s_and_saveexec_b64 s[8:9], vcc
; %bb.3666:
	s_mov_b32 s10, 0x7f800001
	s_xor_b64 s[4:5], exec, -1
; %bb.3667:
	s_or_b64 exec, exec, s[8:9]
	s_and_b64 s[4:5], s[4:5], exec
                                        ; implicit-def: $vgpr11
	s_or_saveexec_b64 s[6:7], s[6:7]
	v_mov_b32_e32 v10, s10
	s_xor_b64 exec, exec, s[6:7]
	s_cbranch_execz .LBB35_1618
.LBB35_3668:
	v_cmp_ne_u16_e32 vcc, 0, v11
	s_andn2_b64 s[4:5], s[4:5], exec
	s_and_b64 s[8:9], vcc, exec
	v_mov_b32_e32 v10, 0
	s_or_b64 s[4:5], s[4:5], s[8:9]
	s_or_b64 exec, exec, s[6:7]
	s_and_saveexec_b64 s[6:7], s[4:5]
	s_cbranch_execnz .LBB35_1619
	s_branch .LBB35_1620
.LBB35_3669:
	s_movk_i32 s4, 0x80
	v_cmp_eq_u16_e32 vcc, s4, v11
	s_mov_b64 s[4:5], -1
                                        ; implicit-def: $sgpr10
	s_and_saveexec_b64 s[8:9], vcc
; %bb.3670:
	s_mov_b32 s10, 0x7f800001
	s_xor_b64 s[4:5], exec, -1
; %bb.3671:
	s_or_b64 exec, exec, s[8:9]
	s_and_b64 s[4:5], s[4:5], exec
                                        ; implicit-def: $vgpr11
	s_or_saveexec_b64 s[6:7], s[6:7]
	v_mov_b32_e32 v14, s10
	s_xor_b64 exec, exec, s[6:7]
	s_cbranch_execz .LBB35_1622
.LBB35_3672:
	v_cmp_ne_u16_e32 vcc, 0, v11
	s_andn2_b64 s[4:5], s[4:5], exec
	s_and_b64 s[8:9], vcc, exec
	v_mov_b32_e32 v14, 0
	s_or_b64 s[4:5], s[4:5], s[8:9]
	s_or_b64 exec, exec, s[6:7]
	s_and_saveexec_b64 s[6:7], s[4:5]
	s_cbranch_execnz .LBB35_1623
	s_branch .LBB35_1624
.LBB35_3673:
	s_movk_i32 s4, 0x80
	v_cmp_eq_u16_sdwa s[12:13], v16, s4 src0_sel:BYTE_3 src1_sel:DWORD
	s_mov_b64 s[4:5], -1
                                        ; implicit-def: $sgpr10
	s_and_saveexec_b64 s[8:9], s[12:13]
; %bb.3674:
	s_mov_b32 s10, 0x7f800001
	s_xor_b64 s[4:5], exec, -1
; %bb.3675:
	s_or_b64 exec, exec, s[8:9]
	s_and_b64 s[4:5], s[4:5], exec
	s_or_saveexec_b64 s[6:7], s[6:7]
	v_mov_b32_e32 v10, s10
	s_xor_b64 exec, exec, s[6:7]
	s_cbranch_execz .LBB35_1626
.LBB35_3676:
	v_mov_b32_e32 v10, 0
	v_cmp_ne_u16_sdwa s[8:9], v16, v10 src0_sel:BYTE_3 src1_sel:DWORD
	s_andn2_b64 s[4:5], s[4:5], exec
	s_and_b64 s[8:9], s[8:9], exec
	s_or_b64 s[4:5], s[4:5], s[8:9]
	s_or_b64 exec, exec, s[6:7]
	s_and_saveexec_b64 s[6:7], s[4:5]
	s_cbranch_execnz .LBB35_1627
	s_branch .LBB35_1628
.LBB35_3677:
	s_movk_i32 s4, 0x80
	v_cmp_eq_u16_sdwa s[12:13], v12, s4 src0_sel:BYTE_3 src1_sel:DWORD
	s_mov_b64 s[4:5], -1
                                        ; implicit-def: $sgpr10
	s_and_saveexec_b64 s[8:9], s[12:13]
; %bb.3678:
	s_mov_b32 s10, 0x7f800001
	s_xor_b64 s[4:5], exec, -1
; %bb.3679:
	s_or_b64 exec, exec, s[8:9]
	s_and_b64 s[4:5], s[4:5], exec
	s_or_saveexec_b64 s[6:7], s[6:7]
	v_mov_b32_e32 v11, s10
	s_xor_b64 exec, exec, s[6:7]
	s_cbranch_execz .LBB35_1630
.LBB35_3680:
	v_mov_b32_e32 v11, 0
	v_cmp_ne_u16_sdwa s[8:9], v12, v11 src0_sel:BYTE_3 src1_sel:DWORD
	s_andn2_b64 s[4:5], s[4:5], exec
	s_and_b64 s[8:9], s[8:9], exec
	s_or_b64 s[4:5], s[4:5], s[8:9]
	s_or_b64 exec, exec, s[6:7]
	s_and_saveexec_b64 s[6:7], s[4:5]
	s_cbranch_execnz .LBB35_1631
	s_branch .LBB35_1632
.LBB35_3681:
	s_movk_i32 s4, 0x80
	v_cmp_eq_u16_sdwa s[12:13], v17, s4 src0_sel:BYTE_0 src1_sel:DWORD
	s_mov_b64 s[4:5], -1
                                        ; implicit-def: $sgpr10
	s_and_saveexec_b64 s[8:9], s[12:13]
; %bb.3682:
	s_mov_b32 s10, 0x7f800001
	s_xor_b64 s[4:5], exec, -1
; %bb.3683:
	s_or_b64 exec, exec, s[8:9]
	s_and_b64 s[4:5], s[4:5], exec
	s_or_saveexec_b64 s[6:7], s[6:7]
	v_mov_b32_e32 v10, s10
	s_xor_b64 exec, exec, s[6:7]
	s_cbranch_execz .LBB35_1634
.LBB35_3684:
	v_mov_b32_e32 v10, 0
	v_cmp_ne_u16_sdwa s[8:9], v17, v10 src0_sel:BYTE_0 src1_sel:DWORD
	s_andn2_b64 s[4:5], s[4:5], exec
	s_and_b64 s[8:9], s[8:9], exec
	s_or_b64 s[4:5], s[4:5], s[8:9]
	s_or_b64 exec, exec, s[6:7]
	s_and_saveexec_b64 s[6:7], s[4:5]
	s_cbranch_execnz .LBB35_1635
	s_branch .LBB35_1636
.LBB35_3685:
	s_movk_i32 s4, 0x80
	v_cmp_eq_u16_sdwa s[12:13], v13, s4 src0_sel:BYTE_0 src1_sel:DWORD
	s_mov_b64 s[4:5], -1
                                        ; implicit-def: $sgpr10
	s_and_saveexec_b64 s[8:9], s[12:13]
; %bb.3686:
	s_mov_b32 s10, 0x7f800001
	s_xor_b64 s[4:5], exec, -1
; %bb.3687:
	s_or_b64 exec, exec, s[8:9]
	s_and_b64 s[4:5], s[4:5], exec
	s_or_saveexec_b64 s[6:7], s[6:7]
	v_mov_b32_e32 v11, s10
	s_xor_b64 exec, exec, s[6:7]
	s_cbranch_execz .LBB35_1638
.LBB35_3688:
	v_mov_b32_e32 v11, 0
	v_cmp_ne_u16_sdwa s[8:9], v13, v11 src0_sel:BYTE_0 src1_sel:DWORD
	s_andn2_b64 s[4:5], s[4:5], exec
	s_and_b64 s[8:9], s[8:9], exec
	s_or_b64 s[4:5], s[4:5], s[8:9]
	s_or_b64 exec, exec, s[6:7]
	s_and_saveexec_b64 s[6:7], s[4:5]
	s_cbranch_execnz .LBB35_1639
	s_branch .LBB35_1640
.LBB35_3689:
	s_movk_i32 s4, 0x80
	v_cmp_eq_u16_sdwa s[12:13], v11, s4 src0_sel:BYTE_0 src1_sel:DWORD
	s_mov_b64 s[4:5], -1
                                        ; implicit-def: $sgpr10
	s_and_saveexec_b64 s[8:9], s[12:13]
; %bb.3690:
	s_mov_b32 s10, 0x7f800001
	s_xor_b64 s[4:5], exec, -1
; %bb.3691:
	s_or_b64 exec, exec, s[8:9]
	s_and_b64 s[4:5], s[4:5], exec
	s_or_saveexec_b64 s[6:7], s[6:7]
	v_mov_b32_e32 v10, s10
	s_xor_b64 exec, exec, s[6:7]
	s_cbranch_execz .LBB35_1642
.LBB35_3692:
	v_mov_b32_e32 v10, 0
	v_cmp_ne_u16_sdwa s[8:9], v11, v10 src0_sel:BYTE_0 src1_sel:DWORD
	s_andn2_b64 s[4:5], s[4:5], exec
	s_and_b64 s[8:9], s[8:9], exec
	s_or_b64 s[4:5], s[4:5], s[8:9]
	s_or_b64 exec, exec, s[6:7]
	s_and_saveexec_b64 s[6:7], s[4:5]
	s_cbranch_execnz .LBB35_1643
	s_branch .LBB35_1644
.LBB35_3693:
	s_movk_i32 s4, 0x80
	v_cmp_eq_u16_sdwa s[12:13], v11, s4 src0_sel:BYTE_0 src1_sel:DWORD
	s_mov_b64 s[4:5], -1
                                        ; implicit-def: $sgpr10
	s_and_saveexec_b64 s[8:9], s[12:13]
; %bb.3694:
	s_mov_b32 s10, 0x7f800001
	s_xor_b64 s[4:5], exec, -1
; %bb.3695:
	s_or_b64 exec, exec, s[8:9]
	s_and_b64 s[4:5], s[4:5], exec
	s_or_saveexec_b64 s[6:7], s[6:7]
	v_mov_b32_e32 v12, s10
	s_xor_b64 exec, exec, s[6:7]
	s_cbranch_execz .LBB35_1646
.LBB35_3696:
	v_mov_b32_e32 v12, 0
	v_cmp_ne_u16_sdwa s[8:9], v11, v12 src0_sel:BYTE_0 src1_sel:DWORD
	s_andn2_b64 s[4:5], s[4:5], exec
	s_and_b64 s[8:9], s[8:9], exec
	s_or_b64 s[4:5], s[4:5], s[8:9]
	s_or_b64 exec, exec, s[6:7]
	s_and_saveexec_b64 s[6:7], s[4:5]
	s_cbranch_execnz .LBB35_1647
	s_branch .LBB35_1648
.LBB35_3697:
	s_movk_i32 s4, 0x80
	v_cmp_eq_u16_e32 vcc, s4, v11
	s_mov_b64 s[4:5], -1
                                        ; implicit-def: $sgpr10
	s_and_saveexec_b64 s[8:9], vcc
; %bb.3698:
	s_mov_b32 s10, 0x7f800001
	s_xor_b64 s[4:5], exec, -1
; %bb.3699:
	s_or_b64 exec, exec, s[8:9]
	s_and_b64 s[4:5], s[4:5], exec
                                        ; implicit-def: $vgpr11
	s_or_saveexec_b64 s[6:7], s[6:7]
	v_mov_b32_e32 v10, s10
	s_xor_b64 exec, exec, s[6:7]
	s_cbranch_execz .LBB35_1650
.LBB35_3700:
	v_cmp_ne_u16_e32 vcc, 0, v11
	s_andn2_b64 s[4:5], s[4:5], exec
	s_and_b64 s[8:9], vcc, exec
	v_mov_b32_e32 v10, 0
	s_or_b64 s[4:5], s[4:5], s[8:9]
	s_or_b64 exec, exec, s[6:7]
	s_and_saveexec_b64 s[6:7], s[4:5]
	s_cbranch_execnz .LBB35_1651
	s_branch .LBB35_1652
.LBB35_3701:
	s_movk_i32 s4, 0x80
	v_cmp_eq_u16_e32 vcc, s4, v11
	s_mov_b64 s[4:5], -1
                                        ; implicit-def: $sgpr10
	s_and_saveexec_b64 s[8:9], vcc
; %bb.3702:
	s_mov_b32 s10, 0x7f800001
	s_xor_b64 s[4:5], exec, -1
; %bb.3703:
	s_or_b64 exec, exec, s[8:9]
	s_and_b64 s[4:5], s[4:5], exec
                                        ; implicit-def: $vgpr11
	s_or_saveexec_b64 s[6:7], s[6:7]
	v_mov_b32_e32 v12, s10
	s_xor_b64 exec, exec, s[6:7]
	s_cbranch_execz .LBB35_1654
.LBB35_3704:
	v_cmp_ne_u16_e32 vcc, 0, v11
	s_andn2_b64 s[4:5], s[4:5], exec
	s_and_b64 s[8:9], vcc, exec
	v_mov_b32_e32 v12, 0
	s_or_b64 s[4:5], s[4:5], s[8:9]
	s_or_b64 exec, exec, s[6:7]
	s_and_saveexec_b64 s[6:7], s[4:5]
	s_cbranch_execnz .LBB35_1655
	s_branch .LBB35_1656
.LBB35_3705:
	s_movk_i32 s4, 0x80
	v_cmp_eq_u16_sdwa s[12:13], v17, s4 src0_sel:BYTE_3 src1_sel:DWORD
	s_mov_b64 s[4:5], -1
                                        ; implicit-def: $sgpr10
	s_and_saveexec_b64 s[8:9], s[12:13]
; %bb.3706:
	s_mov_b32 s10, 0x7f800001
	s_xor_b64 s[4:5], exec, -1
; %bb.3707:
	s_or_b64 exec, exec, s[8:9]
	s_and_b64 s[4:5], s[4:5], exec
	s_or_saveexec_b64 s[6:7], s[6:7]
	v_mov_b32_e32 v10, s10
	s_xor_b64 exec, exec, s[6:7]
	s_cbranch_execz .LBB35_1658
.LBB35_3708:
	v_mov_b32_e32 v10, 0
	v_cmp_ne_u16_sdwa s[8:9], v17, v10 src0_sel:BYTE_3 src1_sel:DWORD
	s_andn2_b64 s[4:5], s[4:5], exec
	s_and_b64 s[8:9], s[8:9], exec
	s_or_b64 s[4:5], s[4:5], s[8:9]
	s_or_b64 exec, exec, s[6:7]
	s_and_saveexec_b64 s[6:7], s[4:5]
	s_cbranch_execnz .LBB35_1659
	s_branch .LBB35_1660
.LBB35_3709:
	s_movk_i32 s4, 0x80
	v_cmp_eq_u16_sdwa s[12:13], v13, s4 src0_sel:BYTE_3 src1_sel:DWORD
	s_mov_b64 s[4:5], -1
                                        ; implicit-def: $sgpr10
	s_and_saveexec_b64 s[8:9], s[12:13]
; %bb.3710:
	s_mov_b32 s10, 0x7f800001
	s_xor_b64 s[4:5], exec, -1
; %bb.3711:
	s_or_b64 exec, exec, s[8:9]
	s_and_b64 s[4:5], s[4:5], exec
	s_or_saveexec_b64 s[6:7], s[6:7]
	v_mov_b32_e32 v11, s10
	s_xor_b64 exec, exec, s[6:7]
	s_cbranch_execz .LBB35_1662
.LBB35_3712:
	v_mov_b32_e32 v11, 0
	v_cmp_ne_u16_sdwa s[8:9], v13, v11 src0_sel:BYTE_3 src1_sel:DWORD
	s_andn2_b64 s[4:5], s[4:5], exec
	s_and_b64 s[8:9], s[8:9], exec
	s_or_b64 s[4:5], s[4:5], s[8:9]
	s_or_b64 exec, exec, s[6:7]
	s_and_saveexec_b64 s[6:7], s[4:5]
	s_cbranch_execnz .LBB35_1663
	s_branch .LBB35_1664
.LBB35_3713:
	s_movk_i32 s4, 0x80
	v_cmp_eq_u16_sdwa s[12:13], v6, s4 src0_sel:BYTE_0 src1_sel:DWORD
	s_mov_b64 s[4:5], -1
                                        ; implicit-def: $sgpr10
	s_and_saveexec_b64 s[8:9], s[12:13]
; %bb.3714:
	s_mov_b32 s10, 0x7f800001
	s_xor_b64 s[4:5], exec, -1
; %bb.3715:
	s_or_b64 exec, exec, s[8:9]
	s_and_b64 s[4:5], s[4:5], exec
	s_or_saveexec_b64 s[6:7], s[6:7]
	v_mov_b32_e32 v10, s10
	s_xor_b64 exec, exec, s[6:7]
	s_cbranch_execz .LBB35_1666
.LBB35_3716:
	v_mov_b32_e32 v10, 0
	v_cmp_ne_u16_sdwa s[8:9], v6, v10 src0_sel:BYTE_0 src1_sel:DWORD
	s_andn2_b64 s[4:5], s[4:5], exec
	s_and_b64 s[8:9], s[8:9], exec
	s_or_b64 s[4:5], s[4:5], s[8:9]
	s_or_b64 exec, exec, s[6:7]
	s_and_saveexec_b64 s[6:7], s[4:5]
	s_cbranch_execnz .LBB35_1667
	s_branch .LBB35_1668
.LBB35_3717:
	s_movk_i32 s4, 0x80
	v_cmp_eq_u16_sdwa s[12:13], v2, s4 src0_sel:BYTE_0 src1_sel:DWORD
	s_mov_b64 s[4:5], -1
                                        ; implicit-def: $sgpr10
	s_and_saveexec_b64 s[8:9], s[12:13]
; %bb.3718:
	s_mov_b32 s10, 0x7f800001
	s_xor_b64 s[4:5], exec, -1
; %bb.3719:
	s_or_b64 exec, exec, s[8:9]
	s_and_b64 s[4:5], s[4:5], exec
	s_or_saveexec_b64 s[6:7], s[6:7]
	v_mov_b32_e32 v11, s10
	s_xor_b64 exec, exec, s[6:7]
	s_cbranch_execz .LBB35_1670
.LBB35_3720:
	v_mov_b32_e32 v11, 0
	v_cmp_ne_u16_sdwa s[8:9], v2, v11 src0_sel:BYTE_0 src1_sel:DWORD
	s_andn2_b64 s[4:5], s[4:5], exec
	s_and_b64 s[8:9], s[8:9], exec
	s_or_b64 s[4:5], s[4:5], s[8:9]
	s_or_b64 exec, exec, s[6:7]
	s_and_saveexec_b64 s[6:7], s[4:5]
	s_cbranch_execnz .LBB35_1671
	s_branch .LBB35_1672
.LBB35_3721:
	s_movk_i32 s4, 0x80
	v_cmp_eq_u16_sdwa s[12:13], v11, s4 src0_sel:BYTE_0 src1_sel:DWORD
	s_mov_b64 s[4:5], -1
                                        ; implicit-def: $sgpr10
	s_and_saveexec_b64 s[8:9], s[12:13]
; %bb.3722:
	s_mov_b32 s10, 0x7f800001
	s_xor_b64 s[4:5], exec, -1
; %bb.3723:
	s_or_b64 exec, exec, s[8:9]
	s_and_b64 s[4:5], s[4:5], exec
	s_or_saveexec_b64 s[6:7], s[6:7]
	v_mov_b32_e32 v10, s10
	s_xor_b64 exec, exec, s[6:7]
	s_cbranch_execz .LBB35_1674
.LBB35_3724:
	v_mov_b32_e32 v10, 0
	v_cmp_ne_u16_sdwa s[8:9], v11, v10 src0_sel:BYTE_0 src1_sel:DWORD
	s_andn2_b64 s[4:5], s[4:5], exec
	s_and_b64 s[8:9], s[8:9], exec
	s_or_b64 s[4:5], s[4:5], s[8:9]
	s_or_b64 exec, exec, s[6:7]
	s_and_saveexec_b64 s[6:7], s[4:5]
	s_cbranch_execnz .LBB35_1675
	s_branch .LBB35_1676
.LBB35_3725:
	s_movk_i32 s4, 0x80
	v_cmp_eq_u16_sdwa s[12:13], v11, s4 src0_sel:BYTE_0 src1_sel:DWORD
	s_mov_b64 s[4:5], -1
                                        ; implicit-def: $sgpr10
	s_and_saveexec_b64 s[8:9], s[12:13]
; %bb.3726:
	s_mov_b32 s10, 0x7f800001
	s_xor_b64 s[4:5], exec, -1
; %bb.3727:
	s_or_b64 exec, exec, s[8:9]
	s_and_b64 s[4:5], s[4:5], exec
	s_or_saveexec_b64 s[6:7], s[6:7]
	v_mov_b32_e32 v12, s10
	s_xor_b64 exec, exec, s[6:7]
	s_cbranch_execz .LBB35_1678
.LBB35_3728:
	v_mov_b32_e32 v12, 0
	v_cmp_ne_u16_sdwa s[8:9], v11, v12 src0_sel:BYTE_0 src1_sel:DWORD
	s_andn2_b64 s[4:5], s[4:5], exec
	s_and_b64 s[8:9], s[8:9], exec
	s_or_b64 s[4:5], s[4:5], s[8:9]
	s_or_b64 exec, exec, s[6:7]
	s_and_saveexec_b64 s[6:7], s[4:5]
	s_cbranch_execnz .LBB35_1679
	s_branch .LBB35_1680
.LBB35_3729:
	s_movk_i32 s4, 0x80
	v_cmp_eq_u16_e32 vcc, s4, v11
	s_mov_b64 s[4:5], -1
                                        ; implicit-def: $sgpr10
	s_and_saveexec_b64 s[8:9], vcc
; %bb.3730:
	s_mov_b32 s10, 0x7f800001
	s_xor_b64 s[4:5], exec, -1
; %bb.3731:
	s_or_b64 exec, exec, s[8:9]
	s_and_b64 s[4:5], s[4:5], exec
                                        ; implicit-def: $vgpr11
	s_or_saveexec_b64 s[6:7], s[6:7]
	v_mov_b32_e32 v10, s10
	s_xor_b64 exec, exec, s[6:7]
	s_cbranch_execz .LBB35_1682
.LBB35_3732:
	v_cmp_ne_u16_e32 vcc, 0, v11
	s_andn2_b64 s[4:5], s[4:5], exec
	s_and_b64 s[8:9], vcc, exec
	v_mov_b32_e32 v10, 0
	s_or_b64 s[4:5], s[4:5], s[8:9]
	s_or_b64 exec, exec, s[6:7]
	s_and_saveexec_b64 s[6:7], s[4:5]
	s_cbranch_execnz .LBB35_1683
	s_branch .LBB35_1684
.LBB35_3733:
	s_movk_i32 s4, 0x80
	v_cmp_eq_u16_e32 vcc, s4, v11
	s_mov_b64 s[4:5], -1
                                        ; implicit-def: $sgpr10
	s_and_saveexec_b64 s[8:9], vcc
; %bb.3734:
	s_mov_b32 s10, 0x7f800001
	s_xor_b64 s[4:5], exec, -1
; %bb.3735:
	s_or_b64 exec, exec, s[8:9]
	s_and_b64 s[4:5], s[4:5], exec
                                        ; implicit-def: $vgpr11
	s_or_saveexec_b64 s[6:7], s[6:7]
	v_mov_b32_e32 v12, s10
	s_xor_b64 exec, exec, s[6:7]
	s_cbranch_execz .LBB35_1686
.LBB35_3736:
	v_cmp_ne_u16_e32 vcc, 0, v11
	s_andn2_b64 s[4:5], s[4:5], exec
	s_and_b64 s[8:9], vcc, exec
	v_mov_b32_e32 v12, 0
	s_or_b64 s[4:5], s[4:5], s[8:9]
	s_or_b64 exec, exec, s[6:7]
	s_and_saveexec_b64 s[6:7], s[4:5]
	s_cbranch_execnz .LBB35_1687
	s_branch .LBB35_1688
.LBB35_3737:
	s_movk_i32 s4, 0x80
	v_cmp_eq_u16_sdwa s[12:13], v6, s4 src0_sel:BYTE_3 src1_sel:DWORD
	s_mov_b64 s[4:5], -1
                                        ; implicit-def: $sgpr10
	s_and_saveexec_b64 s[8:9], s[12:13]
; %bb.3738:
	s_mov_b32 s10, 0x7f800001
	s_xor_b64 s[4:5], exec, -1
; %bb.3739:
	s_or_b64 exec, exec, s[8:9]
	s_and_b64 s[4:5], s[4:5], exec
	s_or_saveexec_b64 s[6:7], s[6:7]
	v_mov_b32_e32 v10, s10
	s_xor_b64 exec, exec, s[6:7]
	s_cbranch_execz .LBB35_1690
.LBB35_3740:
	v_mov_b32_e32 v10, 0
	v_cmp_ne_u16_sdwa s[8:9], v6, v10 src0_sel:BYTE_3 src1_sel:DWORD
	s_andn2_b64 s[4:5], s[4:5], exec
	s_and_b64 s[8:9], s[8:9], exec
	s_or_b64 s[4:5], s[4:5], s[8:9]
	s_or_b64 exec, exec, s[6:7]
	s_and_saveexec_b64 s[6:7], s[4:5]
	s_cbranch_execnz .LBB35_1691
	s_branch .LBB35_1692
.LBB35_3741:
	s_movk_i32 s4, 0x80
	v_cmp_eq_u16_sdwa s[12:13], v2, s4 src0_sel:BYTE_3 src1_sel:DWORD
	s_mov_b64 s[4:5], -1
                                        ; implicit-def: $sgpr10
	s_and_saveexec_b64 s[8:9], s[12:13]
; %bb.3742:
	s_mov_b32 s10, 0x7f800001
	s_xor_b64 s[4:5], exec, -1
; %bb.3743:
	s_or_b64 exec, exec, s[8:9]
	s_and_b64 s[4:5], s[4:5], exec
	s_or_saveexec_b64 s[6:7], s[6:7]
	v_mov_b32_e32 v6, s10
	s_xor_b64 exec, exec, s[6:7]
	s_cbranch_execz .LBB35_1694
.LBB35_3744:
	v_mov_b32_e32 v6, 0
	v_cmp_ne_u16_sdwa s[8:9], v2, v6 src0_sel:BYTE_3 src1_sel:DWORD
	s_andn2_b64 s[4:5], s[4:5], exec
	s_and_b64 s[8:9], s[8:9], exec
	s_or_b64 s[4:5], s[4:5], s[8:9]
	s_or_b64 exec, exec, s[6:7]
	s_and_saveexec_b64 s[6:7], s[4:5]
	s_cbranch_execnz .LBB35_1695
	s_branch .LBB35_1696
.LBB35_3745:
	s_movk_i32 s4, 0x80
	v_cmp_eq_u16_sdwa s[12:13], v7, s4 src0_sel:BYTE_0 src1_sel:DWORD
	s_mov_b64 s[4:5], -1
                                        ; implicit-def: $sgpr10
	s_and_saveexec_b64 s[8:9], s[12:13]
; %bb.3746:
	s_mov_b32 s10, 0x7f800001
	s_xor_b64 s[4:5], exec, -1
; %bb.3747:
	s_or_b64 exec, exec, s[8:9]
	s_and_b64 s[4:5], s[4:5], exec
	s_or_saveexec_b64 s[6:7], s[6:7]
	v_mov_b32_e32 v2, s10
	s_xor_b64 exec, exec, s[6:7]
	s_cbranch_execz .LBB35_1698
.LBB35_3748:
	v_mov_b32_e32 v2, 0
	v_cmp_ne_u16_sdwa s[8:9], v7, v2 src0_sel:BYTE_0 src1_sel:DWORD
	s_andn2_b64 s[4:5], s[4:5], exec
	s_and_b64 s[8:9], s[8:9], exec
	s_or_b64 s[4:5], s[4:5], s[8:9]
	s_or_b64 exec, exec, s[6:7]
	s_and_saveexec_b64 s[6:7], s[4:5]
	s_cbranch_execnz .LBB35_1699
	s_branch .LBB35_1700
.LBB35_3749:
	s_movk_i32 s4, 0x80
	v_cmp_eq_u16_sdwa s[12:13], v3, s4 src0_sel:BYTE_0 src1_sel:DWORD
	s_mov_b64 s[4:5], -1
                                        ; implicit-def: $sgpr10
	s_and_saveexec_b64 s[8:9], s[12:13]
; %bb.3750:
	s_mov_b32 s10, 0x7f800001
	s_xor_b64 s[4:5], exec, -1
; %bb.3751:
	s_or_b64 exec, exec, s[8:9]
	s_and_b64 s[4:5], s[4:5], exec
	s_or_saveexec_b64 s[6:7], s[6:7]
	v_mov_b32_e32 v6, s10
	s_xor_b64 exec, exec, s[6:7]
	s_cbranch_execz .LBB35_1702
.LBB35_3752:
	v_mov_b32_e32 v6, 0
	v_cmp_ne_u16_sdwa s[8:9], v3, v6 src0_sel:BYTE_0 src1_sel:DWORD
	s_andn2_b64 s[4:5], s[4:5], exec
	s_and_b64 s[8:9], s[8:9], exec
	s_or_b64 s[4:5], s[4:5], s[8:9]
	s_or_b64 exec, exec, s[6:7]
	s_and_saveexec_b64 s[6:7], s[4:5]
	s_cbranch_execnz .LBB35_1703
	s_branch .LBB35_1704
.LBB35_3753:
	s_movk_i32 s4, 0x80
	v_cmp_eq_u16_sdwa s[12:13], v6, s4 src0_sel:BYTE_0 src1_sel:DWORD
	s_mov_b64 s[4:5], -1
                                        ; implicit-def: $sgpr10
	s_and_saveexec_b64 s[8:9], s[12:13]
; %bb.3754:
	s_mov_b32 s10, 0x7f800001
	s_xor_b64 s[4:5], exec, -1
; %bb.3755:
	s_or_b64 exec, exec, s[8:9]
	s_and_b64 s[4:5], s[4:5], exec
	s_or_saveexec_b64 s[6:7], s[6:7]
	v_mov_b32_e32 v2, s10
	s_xor_b64 exec, exec, s[6:7]
	s_cbranch_execz .LBB35_1706
.LBB35_3756:
	v_mov_b32_e32 v2, 0
	v_cmp_ne_u16_sdwa s[8:9], v6, v2 src0_sel:BYTE_0 src1_sel:DWORD
	s_andn2_b64 s[4:5], s[4:5], exec
	s_and_b64 s[8:9], s[8:9], exec
	s_or_b64 s[4:5], s[4:5], s[8:9]
	s_or_b64 exec, exec, s[6:7]
	s_and_saveexec_b64 s[6:7], s[4:5]
	s_cbranch_execnz .LBB35_1707
	s_branch .LBB35_1708
.LBB35_3757:
	s_movk_i32 s4, 0x80
	v_cmp_eq_u16_sdwa s[12:13], v6, s4 src0_sel:BYTE_0 src1_sel:DWORD
	s_mov_b64 s[4:5], -1
                                        ; implicit-def: $sgpr10
	s_and_saveexec_b64 s[8:9], s[12:13]
; %bb.3758:
	s_mov_b32 s10, 0x7f800001
	s_xor_b64 s[4:5], exec, -1
; %bb.3759:
	s_or_b64 exec, exec, s[8:9]
	s_and_b64 s[4:5], s[4:5], exec
	s_or_saveexec_b64 s[6:7], s[6:7]
	v_mov_b32_e32 v10, s10
	s_xor_b64 exec, exec, s[6:7]
	s_cbranch_execz .LBB35_1710
.LBB35_3760:
	v_mov_b32_e32 v10, 0
	v_cmp_ne_u16_sdwa s[8:9], v6, v10 src0_sel:BYTE_0 src1_sel:DWORD
	s_andn2_b64 s[4:5], s[4:5], exec
	s_and_b64 s[8:9], s[8:9], exec
	s_or_b64 s[4:5], s[4:5], s[8:9]
	s_or_b64 exec, exec, s[6:7]
	s_and_saveexec_b64 s[6:7], s[4:5]
	s_cbranch_execnz .LBB35_1711
	s_branch .LBB35_1712
.LBB35_3761:
	s_movk_i32 s4, 0x80
	v_cmp_eq_u16_e32 vcc, s4, v6
	s_mov_b64 s[4:5], -1
                                        ; implicit-def: $sgpr10
	s_and_saveexec_b64 s[8:9], vcc
; %bb.3762:
	s_mov_b32 s10, 0x7f800001
	s_xor_b64 s[4:5], exec, -1
; %bb.3763:
	s_or_b64 exec, exec, s[8:9]
	s_and_b64 s[4:5], s[4:5], exec
                                        ; implicit-def: $vgpr6
	s_or_saveexec_b64 s[6:7], s[6:7]
	v_mov_b32_e32 v2, s10
	s_xor_b64 exec, exec, s[6:7]
	s_cbranch_execz .LBB35_1714
.LBB35_3764:
	v_cmp_ne_u16_e32 vcc, 0, v6
	s_andn2_b64 s[4:5], s[4:5], exec
	s_and_b64 s[8:9], vcc, exec
	v_mov_b32_e32 v2, 0
	s_or_b64 s[4:5], s[4:5], s[8:9]
	s_or_b64 exec, exec, s[6:7]
	s_and_saveexec_b64 s[6:7], s[4:5]
	s_cbranch_execnz .LBB35_1715
	s_branch .LBB35_1716
.LBB35_3765:
	s_movk_i32 s4, 0x80
	v_cmp_eq_u16_e32 vcc, s4, v6
	s_mov_b64 s[4:5], -1
                                        ; implicit-def: $sgpr10
	s_and_saveexec_b64 s[8:9], vcc
; %bb.3766:
	s_mov_b32 s10, 0x7f800001
	s_xor_b64 s[4:5], exec, -1
; %bb.3767:
	s_or_b64 exec, exec, s[8:9]
	s_and_b64 s[4:5], s[4:5], exec
                                        ; implicit-def: $vgpr6
	s_or_saveexec_b64 s[6:7], s[6:7]
	v_mov_b32_e32 v10, s10
	s_xor_b64 exec, exec, s[6:7]
	s_cbranch_execz .LBB35_1718
.LBB35_3768:
	v_cmp_ne_u16_e32 vcc, 0, v6
	s_andn2_b64 s[4:5], s[4:5], exec
	s_and_b64 s[8:9], vcc, exec
	v_mov_b32_e32 v10, 0
	s_or_b64 s[4:5], s[4:5], s[8:9]
	s_or_b64 exec, exec, s[6:7]
	s_and_saveexec_b64 s[6:7], s[4:5]
	s_cbranch_execnz .LBB35_1719
	s_branch .LBB35_1720
.LBB35_3769:
	s_movk_i32 s4, 0x80
	v_cmp_eq_u16_sdwa s[12:13], v7, s4 src0_sel:BYTE_3 src1_sel:DWORD
	s_mov_b64 s[4:5], -1
                                        ; implicit-def: $sgpr10
	s_and_saveexec_b64 s[8:9], s[12:13]
; %bb.3770:
	s_mov_b32 s10, 0x7f800001
	s_xor_b64 s[4:5], exec, -1
; %bb.3771:
	s_or_b64 exec, exec, s[8:9]
	s_and_b64 s[4:5], s[4:5], exec
	s_or_saveexec_b64 s[6:7], s[6:7]
	v_mov_b32_e32 v2, s10
	s_xor_b64 exec, exec, s[6:7]
	s_cbranch_execz .LBB35_1722
.LBB35_3772:
	v_mov_b32_e32 v2, 0
	v_cmp_ne_u16_sdwa s[8:9], v7, v2 src0_sel:BYTE_3 src1_sel:DWORD
	s_andn2_b64 s[4:5], s[4:5], exec
	s_and_b64 s[8:9], s[8:9], exec
	s_or_b64 s[4:5], s[4:5], s[8:9]
	s_or_b64 exec, exec, s[6:7]
	s_and_saveexec_b64 s[6:7], s[4:5]
	s_cbranch_execnz .LBB35_1723
	s_branch .LBB35_1724
.LBB35_3773:
	s_movk_i32 s4, 0x80
	v_cmp_eq_u16_sdwa s[12:13], v3, s4 src0_sel:BYTE_3 src1_sel:DWORD
	s_mov_b64 s[4:5], -1
                                        ; implicit-def: $sgpr10
	s_and_saveexec_b64 s[8:9], s[12:13]
; %bb.3774:
	s_mov_b32 s10, 0x7f800001
	s_xor_b64 s[4:5], exec, -1
; %bb.3775:
	s_or_b64 exec, exec, s[8:9]
	s_and_b64 s[4:5], s[4:5], exec
	s_or_saveexec_b64 s[6:7], s[6:7]
	v_mov_b32_e32 v6, s10
	s_xor_b64 exec, exec, s[6:7]
	s_cbranch_execz .LBB35_1726
.LBB35_3776:
	v_mov_b32_e32 v6, 0
	v_cmp_ne_u16_sdwa s[8:9], v3, v6 src0_sel:BYTE_3 src1_sel:DWORD
	s_andn2_b64 s[4:5], s[4:5], exec
	s_and_b64 s[8:9], s[8:9], exec
	s_or_b64 s[4:5], s[4:5], s[8:9]
	s_or_b64 exec, exec, s[6:7]
	s_and_saveexec_b64 s[6:7], s[4:5]
	s_cbranch_execnz .LBB35_1727
	s_branch .LBB35_1728
.LBB35_3777:
	s_movk_i32 s4, 0x80
	v_cmp_eq_u16_sdwa s[12:13], v8, s4 src0_sel:BYTE_0 src1_sel:DWORD
	s_mov_b64 s[4:5], -1
                                        ; implicit-def: $sgpr10
	s_and_saveexec_b64 s[8:9], s[12:13]
; %bb.3778:
	s_mov_b32 s10, 0x7f800001
	s_xor_b64 s[4:5], exec, -1
; %bb.3779:
	s_or_b64 exec, exec, s[8:9]
	s_and_b64 s[4:5], s[4:5], exec
	s_or_saveexec_b64 s[6:7], s[6:7]
	v_mov_b32_e32 v2, s10
	s_xor_b64 exec, exec, s[6:7]
	s_cbranch_execz .LBB35_1730
.LBB35_3780:
	v_mov_b32_e32 v2, 0
	v_cmp_ne_u16_sdwa s[8:9], v8, v2 src0_sel:BYTE_0 src1_sel:DWORD
	s_andn2_b64 s[4:5], s[4:5], exec
	s_and_b64 s[8:9], s[8:9], exec
	s_or_b64 s[4:5], s[4:5], s[8:9]
	s_or_b64 exec, exec, s[6:7]
	s_and_saveexec_b64 s[6:7], s[4:5]
	s_cbranch_execnz .LBB35_1731
	s_branch .LBB35_1732
.LBB35_3781:
	s_movk_i32 s4, 0x80
	v_cmp_eq_u16_sdwa s[12:13], v4, s4 src0_sel:BYTE_0 src1_sel:DWORD
	s_mov_b64 s[4:5], -1
                                        ; implicit-def: $sgpr10
	s_and_saveexec_b64 s[8:9], s[12:13]
; %bb.3782:
	s_mov_b32 s10, 0x7f800001
	s_xor_b64 s[4:5], exec, -1
; %bb.3783:
	s_or_b64 exec, exec, s[8:9]
	s_and_b64 s[4:5], s[4:5], exec
	s_or_saveexec_b64 s[6:7], s[6:7]
	v_mov_b32_e32 v3, s10
	s_xor_b64 exec, exec, s[6:7]
	s_cbranch_execz .LBB35_1734
.LBB35_3784:
	v_mov_b32_e32 v3, 0
	v_cmp_ne_u16_sdwa s[8:9], v4, v3 src0_sel:BYTE_0 src1_sel:DWORD
	s_andn2_b64 s[4:5], s[4:5], exec
	s_and_b64 s[8:9], s[8:9], exec
	s_or_b64 s[4:5], s[4:5], s[8:9]
	s_or_b64 exec, exec, s[6:7]
	s_and_saveexec_b64 s[6:7], s[4:5]
	s_cbranch_execnz .LBB35_1735
	s_branch .LBB35_1736
.LBB35_3785:
	s_movk_i32 s4, 0x80
	v_cmp_eq_u16_sdwa s[12:13], v3, s4 src0_sel:BYTE_0 src1_sel:DWORD
	s_mov_b64 s[4:5], -1
                                        ; implicit-def: $sgpr10
	s_and_saveexec_b64 s[8:9], s[12:13]
; %bb.3786:
	s_mov_b32 s10, 0x7f800001
	s_xor_b64 s[4:5], exec, -1
; %bb.3787:
	s_or_b64 exec, exec, s[8:9]
	s_and_b64 s[4:5], s[4:5], exec
	s_or_saveexec_b64 s[6:7], s[6:7]
	v_mov_b32_e32 v2, s10
	s_xor_b64 exec, exec, s[6:7]
	s_cbranch_execz .LBB35_1738
.LBB35_3788:
	v_mov_b32_e32 v2, 0
	v_cmp_ne_u16_sdwa s[8:9], v3, v2 src0_sel:BYTE_0 src1_sel:DWORD
	s_andn2_b64 s[4:5], s[4:5], exec
	s_and_b64 s[8:9], s[8:9], exec
	s_or_b64 s[4:5], s[4:5], s[8:9]
	s_or_b64 exec, exec, s[6:7]
	s_and_saveexec_b64 s[6:7], s[4:5]
	s_cbranch_execnz .LBB35_1739
	s_branch .LBB35_1740
.LBB35_3789:
	s_movk_i32 s4, 0x80
	v_cmp_eq_u16_sdwa s[12:13], v3, s4 src0_sel:BYTE_0 src1_sel:DWORD
	s_mov_b64 s[4:5], -1
                                        ; implicit-def: $sgpr10
	s_and_saveexec_b64 s[8:9], s[12:13]
; %bb.3790:
	s_mov_b32 s10, 0x7f800001
	s_xor_b64 s[4:5], exec, -1
; %bb.3791:
	s_or_b64 exec, exec, s[8:9]
	s_and_b64 s[4:5], s[4:5], exec
	s_or_saveexec_b64 s[6:7], s[6:7]
	v_mov_b32_e32 v6, s10
	s_xor_b64 exec, exec, s[6:7]
	s_cbranch_execz .LBB35_1742
.LBB35_3792:
	v_mov_b32_e32 v6, 0
	v_cmp_ne_u16_sdwa s[8:9], v3, v6 src0_sel:BYTE_0 src1_sel:DWORD
	s_andn2_b64 s[4:5], s[4:5], exec
	s_and_b64 s[8:9], s[8:9], exec
	s_or_b64 s[4:5], s[4:5], s[8:9]
	s_or_b64 exec, exec, s[6:7]
	s_and_saveexec_b64 s[6:7], s[4:5]
	s_cbranch_execnz .LBB35_1743
	s_branch .LBB35_1744
.LBB35_3793:
	s_movk_i32 s4, 0x80
	v_cmp_eq_u16_e32 vcc, s4, v3
	s_mov_b64 s[4:5], -1
                                        ; implicit-def: $sgpr10
	s_and_saveexec_b64 s[8:9], vcc
; %bb.3794:
	s_mov_b32 s10, 0x7f800001
	s_xor_b64 s[4:5], exec, -1
; %bb.3795:
	s_or_b64 exec, exec, s[8:9]
	s_and_b64 s[4:5], s[4:5], exec
                                        ; implicit-def: $vgpr3
	s_or_saveexec_b64 s[6:7], s[6:7]
	v_mov_b32_e32 v2, s10
	s_xor_b64 exec, exec, s[6:7]
	s_cbranch_execz .LBB35_1746
.LBB35_3796:
	v_cmp_ne_u16_e32 vcc, 0, v3
	s_andn2_b64 s[4:5], s[4:5], exec
	s_and_b64 s[8:9], vcc, exec
	v_mov_b32_e32 v2, 0
	s_or_b64 s[4:5], s[4:5], s[8:9]
	s_or_b64 exec, exec, s[6:7]
	s_and_saveexec_b64 s[6:7], s[4:5]
	s_cbranch_execnz .LBB35_1747
	s_branch .LBB35_1748
.LBB35_3797:
	s_movk_i32 s4, 0x80
	v_cmp_eq_u16_e32 vcc, s4, v3
	s_mov_b64 s[4:5], -1
                                        ; implicit-def: $sgpr10
	s_and_saveexec_b64 s[8:9], vcc
; %bb.3798:
	s_mov_b32 s10, 0x7f800001
	s_xor_b64 s[4:5], exec, -1
; %bb.3799:
	s_or_b64 exec, exec, s[8:9]
	s_and_b64 s[4:5], s[4:5], exec
                                        ; implicit-def: $vgpr3
	s_or_saveexec_b64 s[6:7], s[6:7]
	v_mov_b32_e32 v6, s10
	s_xor_b64 exec, exec, s[6:7]
	s_cbranch_execz .LBB35_1750
.LBB35_3800:
	v_cmp_ne_u16_e32 vcc, 0, v3
	s_andn2_b64 s[4:5], s[4:5], exec
	s_and_b64 s[8:9], vcc, exec
	v_mov_b32_e32 v6, 0
	s_or_b64 s[4:5], s[4:5], s[8:9]
	s_or_b64 exec, exec, s[6:7]
	s_and_saveexec_b64 s[6:7], s[4:5]
	s_cbranch_execnz .LBB35_1751
	s_branch .LBB35_1752
.LBB35_3801:
	s_movk_i32 s4, 0x80
	v_cmp_eq_u16_sdwa s[12:13], v8, s4 src0_sel:BYTE_3 src1_sel:DWORD
	s_mov_b64 s[4:5], -1
                                        ; implicit-def: $sgpr10
	s_and_saveexec_b64 s[8:9], s[12:13]
; %bb.3802:
	s_mov_b32 s10, 0x7f800001
	s_xor_b64 s[4:5], exec, -1
; %bb.3803:
	s_or_b64 exec, exec, s[8:9]
	s_and_b64 s[4:5], s[4:5], exec
	s_or_saveexec_b64 s[6:7], s[6:7]
	v_mov_b32_e32 v2, s10
	s_xor_b64 exec, exec, s[6:7]
	s_cbranch_execz .LBB35_1754
.LBB35_3804:
	v_mov_b32_e32 v2, 0
	v_cmp_ne_u16_sdwa s[8:9], v8, v2 src0_sel:BYTE_3 src1_sel:DWORD
	s_andn2_b64 s[4:5], s[4:5], exec
	s_and_b64 s[8:9], s[8:9], exec
	s_or_b64 s[4:5], s[4:5], s[8:9]
	s_or_b64 exec, exec, s[6:7]
	s_and_saveexec_b64 s[6:7], s[4:5]
	s_cbranch_execnz .LBB35_1755
	s_branch .LBB35_1756
.LBB35_3805:
	s_movk_i32 s4, 0x80
	v_cmp_eq_u16_sdwa s[12:13], v4, s4 src0_sel:BYTE_3 src1_sel:DWORD
	s_mov_b64 s[4:5], -1
                                        ; implicit-def: $sgpr10
	s_and_saveexec_b64 s[8:9], s[12:13]
; %bb.3806:
	s_mov_b32 s10, 0x7f800001
	s_xor_b64 s[4:5], exec, -1
; %bb.3807:
	s_or_b64 exec, exec, s[8:9]
	s_and_b64 s[4:5], s[4:5], exec
	s_or_saveexec_b64 s[6:7], s[6:7]
	v_mov_b32_e32 v3, s10
	s_xor_b64 exec, exec, s[6:7]
	s_cbranch_execz .LBB35_1758
.LBB35_3808:
	v_mov_b32_e32 v3, 0
	v_cmp_ne_u16_sdwa s[8:9], v4, v3 src0_sel:BYTE_3 src1_sel:DWORD
	s_andn2_b64 s[4:5], s[4:5], exec
	s_and_b64 s[8:9], s[8:9], exec
	s_or_b64 s[4:5], s[4:5], s[8:9]
	s_or_b64 exec, exec, s[6:7]
	s_and_saveexec_b64 s[6:7], s[4:5]
	s_cbranch_execnz .LBB35_1759
	s_branch .LBB35_1760
.LBB35_3809:
	s_movk_i32 s4, 0x80
	v_cmp_eq_u16_sdwa s[12:13], v9, s4 src0_sel:BYTE_0 src1_sel:DWORD
	s_mov_b64 s[4:5], -1
                                        ; implicit-def: $sgpr10
	s_and_saveexec_b64 s[8:9], s[12:13]
; %bb.3810:
	s_mov_b32 s10, 0x7f800001
	s_xor_b64 s[4:5], exec, -1
; %bb.3811:
	s_or_b64 exec, exec, s[8:9]
	s_and_b64 s[4:5], s[4:5], exec
	s_or_saveexec_b64 s[6:7], s[6:7]
	v_mov_b32_e32 v2, s10
	s_xor_b64 exec, exec, s[6:7]
	s_cbranch_execz .LBB35_1762
.LBB35_3812:
	v_mov_b32_e32 v2, 0
	v_cmp_ne_u16_sdwa s[8:9], v9, v2 src0_sel:BYTE_0 src1_sel:DWORD
	s_andn2_b64 s[4:5], s[4:5], exec
	s_and_b64 s[8:9], s[8:9], exec
	s_or_b64 s[4:5], s[4:5], s[8:9]
	s_or_b64 exec, exec, s[6:7]
	s_and_saveexec_b64 s[6:7], s[4:5]
	s_cbranch_execnz .LBB35_1763
	s_branch .LBB35_1764
.LBB35_3813:
	s_movk_i32 s4, 0x80
	v_cmp_eq_u16_sdwa s[12:13], v5, s4 src0_sel:BYTE_0 src1_sel:DWORD
	s_mov_b64 s[4:5], -1
                                        ; implicit-def: $sgpr10
	s_and_saveexec_b64 s[8:9], s[12:13]
; %bb.3814:
	s_mov_b32 s10, 0x7f800001
	s_xor_b64 s[4:5], exec, -1
; %bb.3815:
	s_or_b64 exec, exec, s[8:9]
	s_and_b64 s[4:5], s[4:5], exec
	s_or_saveexec_b64 s[6:7], s[6:7]
	v_mov_b32_e32 v3, s10
	s_xor_b64 exec, exec, s[6:7]
	s_cbranch_execz .LBB35_1766
.LBB35_3816:
	v_mov_b32_e32 v3, 0
	v_cmp_ne_u16_sdwa s[8:9], v5, v3 src0_sel:BYTE_0 src1_sel:DWORD
	s_andn2_b64 s[4:5], s[4:5], exec
	s_and_b64 s[8:9], s[8:9], exec
	s_or_b64 s[4:5], s[4:5], s[8:9]
	s_or_b64 exec, exec, s[6:7]
	s_and_saveexec_b64 s[6:7], s[4:5]
	s_cbranch_execnz .LBB35_1767
	s_branch .LBB35_1768
.LBB35_3817:
	s_movk_i32 s4, 0x80
	v_cmp_eq_u16_sdwa s[12:13], v3, s4 src0_sel:BYTE_0 src1_sel:DWORD
	s_mov_b64 s[4:5], -1
                                        ; implicit-def: $sgpr10
	s_and_saveexec_b64 s[8:9], s[12:13]
; %bb.3818:
	s_mov_b32 s10, 0x7f800001
	s_xor_b64 s[4:5], exec, -1
; %bb.3819:
	s_or_b64 exec, exec, s[8:9]
	s_and_b64 s[4:5], s[4:5], exec
	s_or_saveexec_b64 s[6:7], s[6:7]
	v_mov_b32_e32 v2, s10
	s_xor_b64 exec, exec, s[6:7]
	s_cbranch_execz .LBB35_1770
.LBB35_3820:
	v_mov_b32_e32 v2, 0
	v_cmp_ne_u16_sdwa s[8:9], v3, v2 src0_sel:BYTE_0 src1_sel:DWORD
	s_andn2_b64 s[4:5], s[4:5], exec
	s_and_b64 s[8:9], s[8:9], exec
	s_or_b64 s[4:5], s[4:5], s[8:9]
	s_or_b64 exec, exec, s[6:7]
	s_and_saveexec_b64 s[6:7], s[4:5]
	s_cbranch_execnz .LBB35_1771
	s_branch .LBB35_1772
.LBB35_3821:
	s_movk_i32 s4, 0x80
	v_cmp_eq_u16_sdwa s[12:13], v3, s4 src0_sel:BYTE_0 src1_sel:DWORD
	s_mov_b64 s[4:5], -1
                                        ; implicit-def: $sgpr10
	s_and_saveexec_b64 s[8:9], s[12:13]
; %bb.3822:
	s_mov_b32 s10, 0x7f800001
	s_xor_b64 s[4:5], exec, -1
; %bb.3823:
	s_or_b64 exec, exec, s[8:9]
	s_and_b64 s[4:5], s[4:5], exec
	s_or_saveexec_b64 s[6:7], s[6:7]
	v_mov_b32_e32 v4, s10
	s_xor_b64 exec, exec, s[6:7]
	s_cbranch_execz .LBB35_1774
.LBB35_3824:
	v_mov_b32_e32 v4, 0
	v_cmp_ne_u16_sdwa s[8:9], v3, v4 src0_sel:BYTE_0 src1_sel:DWORD
	s_andn2_b64 s[4:5], s[4:5], exec
	s_and_b64 s[8:9], s[8:9], exec
	s_or_b64 s[4:5], s[4:5], s[8:9]
	s_or_b64 exec, exec, s[6:7]
	s_and_saveexec_b64 s[6:7], s[4:5]
	s_cbranch_execnz .LBB35_1775
	s_branch .LBB35_1776
.LBB35_3825:
	s_movk_i32 s4, 0x80
	v_cmp_eq_u16_e32 vcc, s4, v3
	s_mov_b64 s[4:5], -1
                                        ; implicit-def: $sgpr10
	s_and_saveexec_b64 s[8:9], vcc
; %bb.3826:
	s_mov_b32 s10, 0x7f800001
	s_xor_b64 s[4:5], exec, -1
; %bb.3827:
	s_or_b64 exec, exec, s[8:9]
	s_and_b64 s[4:5], s[4:5], exec
                                        ; implicit-def: $vgpr3
	s_or_saveexec_b64 s[6:7], s[6:7]
	v_mov_b32_e32 v2, s10
	s_xor_b64 exec, exec, s[6:7]
	s_cbranch_execz .LBB35_1778
.LBB35_3828:
	v_cmp_ne_u16_e32 vcc, 0, v3
	s_andn2_b64 s[4:5], s[4:5], exec
	s_and_b64 s[8:9], vcc, exec
	v_mov_b32_e32 v2, 0
	s_or_b64 s[4:5], s[4:5], s[8:9]
	s_or_b64 exec, exec, s[6:7]
	s_and_saveexec_b64 s[6:7], s[4:5]
	s_cbranch_execnz .LBB35_1779
	s_branch .LBB35_1780
.LBB35_3829:
	s_movk_i32 s4, 0x80
	v_cmp_eq_u16_e32 vcc, s4, v3
	s_mov_b64 s[4:5], -1
                                        ; implicit-def: $sgpr10
	s_and_saveexec_b64 s[8:9], vcc
; %bb.3830:
	s_mov_b32 s10, 0x7f800001
	s_xor_b64 s[4:5], exec, -1
; %bb.3831:
	s_or_b64 exec, exec, s[8:9]
	s_and_b64 s[4:5], s[4:5], exec
                                        ; implicit-def: $vgpr3
	s_or_saveexec_b64 s[6:7], s[6:7]
	v_mov_b32_e32 v4, s10
	s_xor_b64 exec, exec, s[6:7]
	s_cbranch_execz .LBB35_1782
.LBB35_3832:
	v_cmp_ne_u16_e32 vcc, 0, v3
	s_andn2_b64 s[4:5], s[4:5], exec
	s_and_b64 s[8:9], vcc, exec
	v_mov_b32_e32 v4, 0
	s_or_b64 s[4:5], s[4:5], s[8:9]
	s_or_b64 exec, exec, s[6:7]
	s_and_saveexec_b64 s[6:7], s[4:5]
	s_cbranch_execnz .LBB35_1783
	s_branch .LBB35_1784
.LBB35_3833:
	s_movk_i32 s4, 0x80
	v_cmp_eq_u16_sdwa s[12:13], v9, s4 src0_sel:BYTE_3 src1_sel:DWORD
	s_mov_b64 s[4:5], -1
                                        ; implicit-def: $sgpr10
	s_and_saveexec_b64 s[8:9], s[12:13]
; %bb.3834:
	s_mov_b32 s10, 0x7f800001
	s_xor_b64 s[4:5], exec, -1
; %bb.3835:
	s_or_b64 exec, exec, s[8:9]
	s_and_b64 s[4:5], s[4:5], exec
	s_or_saveexec_b64 s[6:7], s[6:7]
	v_mov_b32_e32 v2, s10
	s_xor_b64 exec, exec, s[6:7]
	s_cbranch_execz .LBB35_1786
.LBB35_3836:
	v_mov_b32_e32 v2, 0
	v_cmp_ne_u16_sdwa s[8:9], v9, v2 src0_sel:BYTE_3 src1_sel:DWORD
	s_andn2_b64 s[4:5], s[4:5], exec
	s_and_b64 s[8:9], s[8:9], exec
	s_or_b64 s[4:5], s[4:5], s[8:9]
	s_or_b64 exec, exec, s[6:7]
	s_and_saveexec_b64 s[6:7], s[4:5]
	s_cbranch_execnz .LBB35_1787
	s_branch .LBB35_1788
.LBB35_3837:
	s_movk_i32 s4, 0x80
	v_cmp_eq_u16_sdwa s[12:13], v5, s4 src0_sel:BYTE_3 src1_sel:DWORD
	s_mov_b64 s[4:5], -1
                                        ; implicit-def: $sgpr10
	s_and_saveexec_b64 s[8:9], s[12:13]
; %bb.3838:
	s_mov_b32 s10, 0x7f800001
	s_xor_b64 s[4:5], exec, -1
; %bb.3839:
	s_or_b64 exec, exec, s[8:9]
	s_and_b64 s[4:5], s[4:5], exec
	s_or_saveexec_b64 s[6:7], s[6:7]
	v_mov_b32_e32 v3, s10
	s_xor_b64 exec, exec, s[6:7]
	s_cbranch_execz .LBB35_1790
.LBB35_3840:
	v_mov_b32_e32 v3, 0
	v_cmp_ne_u16_sdwa s[8:9], v5, v3 src0_sel:BYTE_3 src1_sel:DWORD
	s_andn2_b64 s[4:5], s[4:5], exec
	s_and_b64 s[8:9], s[8:9], exec
	s_or_b64 s[4:5], s[4:5], s[8:9]
	s_or_b64 exec, exec, s[6:7]
	s_and_saveexec_b64 s[6:7], s[4:5]
	s_cbranch_execnz .LBB35_1791
	s_branch .LBB35_1792
.LBB35_3841:
	s_movk_i32 s4, 0x80
	v_cmp_eq_u16_sdwa s[12:13], v12, s4 src0_sel:BYTE_0 src1_sel:DWORD
	s_mov_b64 s[4:5], -1
                                        ; implicit-def: $sgpr10
	s_and_saveexec_b64 s[8:9], s[12:13]
; %bb.3842:
	s_mov_b32 s10, 0x7f800001
	s_xor_b64 s[4:5], exec, -1
; %bb.3843:
	s_or_b64 exec, exec, s[8:9]
	s_and_b64 s[4:5], s[4:5], exec
	s_or_saveexec_b64 s[6:7], s[6:7]
	v_mov_b32_e32 v18, s10
	s_xor_b64 exec, exec, s[6:7]
	s_cbranch_execz .LBB35_1794
.LBB35_3844:
	v_mov_b32_e32 v18, 0
	v_cmp_ne_u16_sdwa s[8:9], v12, v18 src0_sel:BYTE_0 src1_sel:DWORD
	s_andn2_b64 s[4:5], s[4:5], exec
	s_and_b64 s[8:9], s[8:9], exec
	s_or_b64 s[4:5], s[4:5], s[8:9]
	s_or_b64 exec, exec, s[6:7]
	s_and_saveexec_b64 s[6:7], s[4:5]
	s_cbranch_execnz .LBB35_1795
	s_branch .LBB35_1796
.LBB35_3845:
	s_movk_i32 s4, 0x80
	v_cmp_eq_u16_sdwa s[12:13], v8, s4 src0_sel:BYTE_0 src1_sel:DWORD
	s_mov_b64 s[4:5], -1
                                        ; implicit-def: $sgpr10
	s_and_saveexec_b64 s[8:9], s[12:13]
; %bb.3846:
	s_mov_b32 s10, 0x7f800001
	s_xor_b64 s[4:5], exec, -1
; %bb.3847:
	s_or_b64 exec, exec, s[8:9]
	s_and_b64 s[4:5], s[4:5], exec
	s_or_saveexec_b64 s[6:7], s[6:7]
	v_mov_b32_e32 v19, s10
	s_xor_b64 exec, exec, s[6:7]
	s_cbranch_execz .LBB35_1798
.LBB35_3848:
	v_mov_b32_e32 v19, 0
	v_cmp_ne_u16_sdwa s[8:9], v8, v19 src0_sel:BYTE_0 src1_sel:DWORD
	s_andn2_b64 s[4:5], s[4:5], exec
	s_and_b64 s[8:9], s[8:9], exec
	s_or_b64 s[4:5], s[4:5], s[8:9]
	s_or_b64 exec, exec, s[6:7]
	s_and_saveexec_b64 s[6:7], s[4:5]
	s_cbranch_execnz .LBB35_1799
	s_branch .LBB35_1800
.LBB35_3849:
	s_movk_i32 s4, 0x80
	v_cmp_eq_u16_sdwa s[12:13], v19, s4 src0_sel:BYTE_0 src1_sel:DWORD
	s_mov_b64 s[4:5], -1
                                        ; implicit-def: $sgpr10
	s_and_saveexec_b64 s[8:9], s[12:13]
; %bb.3850:
	s_mov_b32 s10, 0x7f800001
	s_xor_b64 s[4:5], exec, -1
; %bb.3851:
	s_or_b64 exec, exec, s[8:9]
	s_and_b64 s[4:5], s[4:5], exec
	s_or_saveexec_b64 s[6:7], s[6:7]
	v_mov_b32_e32 v18, s10
	s_xor_b64 exec, exec, s[6:7]
	s_cbranch_execz .LBB35_1802
.LBB35_3852:
	v_mov_b32_e32 v18, 0
	v_cmp_ne_u16_sdwa s[8:9], v19, v18 src0_sel:BYTE_0 src1_sel:DWORD
	s_andn2_b64 s[4:5], s[4:5], exec
	s_and_b64 s[8:9], s[8:9], exec
	s_or_b64 s[4:5], s[4:5], s[8:9]
	s_or_b64 exec, exec, s[6:7]
	s_and_saveexec_b64 s[6:7], s[4:5]
	s_cbranch_execnz .LBB35_1803
	s_branch .LBB35_1804
.LBB35_3853:
	s_movk_i32 s4, 0x80
	v_cmp_eq_u16_sdwa s[12:13], v19, s4 src0_sel:BYTE_0 src1_sel:DWORD
	s_mov_b64 s[4:5], -1
                                        ; implicit-def: $sgpr10
	s_and_saveexec_b64 s[8:9], s[12:13]
; %bb.3854:
	s_mov_b32 s10, 0x7f800001
	s_xor_b64 s[4:5], exec, -1
; %bb.3855:
	s_or_b64 exec, exec, s[8:9]
	s_and_b64 s[4:5], s[4:5], exec
	s_or_saveexec_b64 s[6:7], s[6:7]
	v_mov_b32_e32 v20, s10
	s_xor_b64 exec, exec, s[6:7]
	s_cbranch_execz .LBB35_1806
.LBB35_3856:
	v_mov_b32_e32 v20, 0
	v_cmp_ne_u16_sdwa s[8:9], v19, v20 src0_sel:BYTE_0 src1_sel:DWORD
	s_andn2_b64 s[4:5], s[4:5], exec
	s_and_b64 s[8:9], s[8:9], exec
	s_or_b64 s[4:5], s[4:5], s[8:9]
	s_or_b64 exec, exec, s[6:7]
	s_and_saveexec_b64 s[6:7], s[4:5]
	s_cbranch_execnz .LBB35_1807
	s_branch .LBB35_1808
.LBB35_3857:
	s_movk_i32 s4, 0x80
	v_cmp_eq_u16_e32 vcc, s4, v19
	s_mov_b64 s[4:5], -1
                                        ; implicit-def: $sgpr10
	s_and_saveexec_b64 s[8:9], vcc
; %bb.3858:
	s_mov_b32 s10, 0x7f800001
	s_xor_b64 s[4:5], exec, -1
; %bb.3859:
	s_or_b64 exec, exec, s[8:9]
	s_and_b64 s[4:5], s[4:5], exec
                                        ; implicit-def: $vgpr19
	s_or_saveexec_b64 s[6:7], s[6:7]
	v_mov_b32_e32 v18, s10
	s_xor_b64 exec, exec, s[6:7]
	s_cbranch_execz .LBB35_1810
.LBB35_3860:
	v_cmp_ne_u16_e32 vcc, 0, v19
	s_andn2_b64 s[4:5], s[4:5], exec
	s_and_b64 s[8:9], vcc, exec
	v_mov_b32_e32 v18, 0
	s_or_b64 s[4:5], s[4:5], s[8:9]
	s_or_b64 exec, exec, s[6:7]
	s_and_saveexec_b64 s[6:7], s[4:5]
	s_cbranch_execnz .LBB35_1811
	s_branch .LBB35_1812
.LBB35_3861:
	s_movk_i32 s4, 0x80
	v_cmp_eq_u16_e32 vcc, s4, v19
	s_mov_b64 s[4:5], -1
                                        ; implicit-def: $sgpr10
	s_and_saveexec_b64 s[8:9], vcc
; %bb.3862:
	s_mov_b32 s10, 0x7f800001
	s_xor_b64 s[4:5], exec, -1
; %bb.3863:
	s_or_b64 exec, exec, s[8:9]
	s_and_b64 s[4:5], s[4:5], exec
                                        ; implicit-def: $vgpr19
	s_or_saveexec_b64 s[6:7], s[6:7]
	v_mov_b32_e32 v20, s10
	s_xor_b64 exec, exec, s[6:7]
	s_cbranch_execz .LBB35_1814
.LBB35_3864:
	v_cmp_ne_u16_e32 vcc, 0, v19
	s_andn2_b64 s[4:5], s[4:5], exec
	s_and_b64 s[8:9], vcc, exec
	v_mov_b32_e32 v20, 0
	s_or_b64 s[4:5], s[4:5], s[8:9]
	s_or_b64 exec, exec, s[6:7]
	s_and_saveexec_b64 s[6:7], s[4:5]
	s_cbranch_execnz .LBB35_1815
	s_branch .LBB35_1816
.LBB35_3865:
	s_movk_i32 s4, 0x80
	v_cmp_eq_u16_sdwa s[12:13], v12, s4 src0_sel:BYTE_3 src1_sel:DWORD
	s_mov_b64 s[4:5], -1
                                        ; implicit-def: $sgpr10
	s_and_saveexec_b64 s[8:9], s[12:13]
; %bb.3866:
	s_mov_b32 s10, 0x7f800001
	s_xor_b64 s[4:5], exec, -1
; %bb.3867:
	s_or_b64 exec, exec, s[8:9]
	s_and_b64 s[4:5], s[4:5], exec
	s_or_saveexec_b64 s[6:7], s[6:7]
	v_mov_b32_e32 v18, s10
	s_xor_b64 exec, exec, s[6:7]
	s_cbranch_execz .LBB35_1818
.LBB35_3868:
	v_mov_b32_e32 v18, 0
	v_cmp_ne_u16_sdwa s[8:9], v12, v18 src0_sel:BYTE_3 src1_sel:DWORD
	s_andn2_b64 s[4:5], s[4:5], exec
	s_and_b64 s[8:9], s[8:9], exec
	s_or_b64 s[4:5], s[4:5], s[8:9]
	s_or_b64 exec, exec, s[6:7]
	s_and_saveexec_b64 s[6:7], s[4:5]
	s_cbranch_execnz .LBB35_1819
	s_branch .LBB35_1820
.LBB35_3869:
	s_movk_i32 s4, 0x80
	v_cmp_eq_u16_sdwa s[12:13], v8, s4 src0_sel:BYTE_3 src1_sel:DWORD
	s_mov_b64 s[4:5], -1
                                        ; implicit-def: $sgpr10
	s_and_saveexec_b64 s[8:9], s[12:13]
; %bb.3870:
	s_mov_b32 s10, 0x7f800001
	s_xor_b64 s[4:5], exec, -1
; %bb.3871:
	s_or_b64 exec, exec, s[8:9]
	s_and_b64 s[4:5], s[4:5], exec
	s_or_saveexec_b64 s[6:7], s[6:7]
	v_mov_b32_e32 v12, s10
	s_xor_b64 exec, exec, s[6:7]
	s_cbranch_execz .LBB35_1822
.LBB35_3872:
	v_mov_b32_e32 v12, 0
	v_cmp_ne_u16_sdwa s[8:9], v8, v12 src0_sel:BYTE_3 src1_sel:DWORD
	s_andn2_b64 s[4:5], s[4:5], exec
	s_and_b64 s[8:9], s[8:9], exec
	s_or_b64 s[4:5], s[4:5], s[8:9]
	s_or_b64 exec, exec, s[6:7]
	s_and_saveexec_b64 s[6:7], s[4:5]
	s_cbranch_execnz .LBB35_1823
	s_branch .LBB35_1824
.LBB35_3873:
	s_movk_i32 s4, 0x80
	v_cmp_eq_u16_sdwa s[12:13], v13, s4 src0_sel:BYTE_0 src1_sel:DWORD
	s_mov_b64 s[4:5], -1
                                        ; implicit-def: $sgpr10
	s_and_saveexec_b64 s[8:9], s[12:13]
; %bb.3874:
	s_mov_b32 s10, 0x7f800001
	s_xor_b64 s[4:5], exec, -1
; %bb.3875:
	s_or_b64 exec, exec, s[8:9]
	s_and_b64 s[4:5], s[4:5], exec
	s_or_saveexec_b64 s[6:7], s[6:7]
	v_mov_b32_e32 v8, s10
	s_xor_b64 exec, exec, s[6:7]
	s_cbranch_execz .LBB35_1826
.LBB35_3876:
	v_mov_b32_e32 v8, 0
	v_cmp_ne_u16_sdwa s[8:9], v13, v8 src0_sel:BYTE_0 src1_sel:DWORD
	s_andn2_b64 s[4:5], s[4:5], exec
	s_and_b64 s[8:9], s[8:9], exec
	s_or_b64 s[4:5], s[4:5], s[8:9]
	s_or_b64 exec, exec, s[6:7]
	s_and_saveexec_b64 s[6:7], s[4:5]
	s_cbranch_execnz .LBB35_1827
	s_branch .LBB35_1828
.LBB35_3877:
	s_movk_i32 s4, 0x80
	v_cmp_eq_u16_sdwa s[12:13], v9, s4 src0_sel:BYTE_0 src1_sel:DWORD
	s_mov_b64 s[4:5], -1
                                        ; implicit-def: $sgpr10
	s_and_saveexec_b64 s[8:9], s[12:13]
; %bb.3878:
	s_mov_b32 s10, 0x7f800001
	s_xor_b64 s[4:5], exec, -1
; %bb.3879:
	s_or_b64 exec, exec, s[8:9]
	s_and_b64 s[4:5], s[4:5], exec
	s_or_saveexec_b64 s[6:7], s[6:7]
	v_mov_b32_e32 v12, s10
	s_xor_b64 exec, exec, s[6:7]
	s_cbranch_execz .LBB35_1830
.LBB35_3880:
	v_mov_b32_e32 v12, 0
	v_cmp_ne_u16_sdwa s[8:9], v9, v12 src0_sel:BYTE_0 src1_sel:DWORD
	s_andn2_b64 s[4:5], s[4:5], exec
	s_and_b64 s[8:9], s[8:9], exec
	s_or_b64 s[4:5], s[4:5], s[8:9]
	s_or_b64 exec, exec, s[6:7]
	s_and_saveexec_b64 s[6:7], s[4:5]
	s_cbranch_execnz .LBB35_1831
	s_branch .LBB35_1832
.LBB35_3881:
	s_movk_i32 s4, 0x80
	v_cmp_eq_u16_sdwa s[12:13], v12, s4 src0_sel:BYTE_0 src1_sel:DWORD
	s_mov_b64 s[4:5], -1
                                        ; implicit-def: $sgpr10
	s_and_saveexec_b64 s[8:9], s[12:13]
; %bb.3882:
	s_mov_b32 s10, 0x7f800001
	s_xor_b64 s[4:5], exec, -1
; %bb.3883:
	s_or_b64 exec, exec, s[8:9]
	s_and_b64 s[4:5], s[4:5], exec
	s_or_saveexec_b64 s[6:7], s[6:7]
	v_mov_b32_e32 v8, s10
	s_xor_b64 exec, exec, s[6:7]
	s_cbranch_execz .LBB35_1834
.LBB35_3884:
	v_mov_b32_e32 v8, 0
	v_cmp_ne_u16_sdwa s[8:9], v12, v8 src0_sel:BYTE_0 src1_sel:DWORD
	s_andn2_b64 s[4:5], s[4:5], exec
	s_and_b64 s[8:9], s[8:9], exec
	s_or_b64 s[4:5], s[4:5], s[8:9]
	s_or_b64 exec, exec, s[6:7]
	s_and_saveexec_b64 s[6:7], s[4:5]
	s_cbranch_execnz .LBB35_1835
	s_branch .LBB35_1836
.LBB35_3885:
	s_movk_i32 s4, 0x80
	v_cmp_eq_u16_sdwa s[12:13], v12, s4 src0_sel:BYTE_0 src1_sel:DWORD
	s_mov_b64 s[4:5], -1
                                        ; implicit-def: $sgpr10
	s_and_saveexec_b64 s[8:9], s[12:13]
; %bb.3886:
	s_mov_b32 s10, 0x7f800001
	s_xor_b64 s[4:5], exec, -1
; %bb.3887:
	s_or_b64 exec, exec, s[8:9]
	s_and_b64 s[4:5], s[4:5], exec
	s_or_saveexec_b64 s[6:7], s[6:7]
	v_mov_b32_e32 v18, s10
	s_xor_b64 exec, exec, s[6:7]
	s_cbranch_execz .LBB35_1838
.LBB35_3888:
	v_mov_b32_e32 v18, 0
	v_cmp_ne_u16_sdwa s[8:9], v12, v18 src0_sel:BYTE_0 src1_sel:DWORD
	s_andn2_b64 s[4:5], s[4:5], exec
	s_and_b64 s[8:9], s[8:9], exec
	s_or_b64 s[4:5], s[4:5], s[8:9]
	s_or_b64 exec, exec, s[6:7]
	s_and_saveexec_b64 s[6:7], s[4:5]
	s_cbranch_execnz .LBB35_1839
	s_branch .LBB35_1840
.LBB35_3889:
	s_movk_i32 s4, 0x80
	v_cmp_eq_u16_e32 vcc, s4, v12
	s_mov_b64 s[4:5], -1
                                        ; implicit-def: $sgpr10
	s_and_saveexec_b64 s[8:9], vcc
; %bb.3890:
	s_mov_b32 s10, 0x7f800001
	s_xor_b64 s[4:5], exec, -1
; %bb.3891:
	s_or_b64 exec, exec, s[8:9]
	s_and_b64 s[4:5], s[4:5], exec
                                        ; implicit-def: $vgpr12
	s_or_saveexec_b64 s[6:7], s[6:7]
	v_mov_b32_e32 v8, s10
	s_xor_b64 exec, exec, s[6:7]
	s_cbranch_execz .LBB35_1842
.LBB35_3892:
	v_cmp_ne_u16_e32 vcc, 0, v12
	s_andn2_b64 s[4:5], s[4:5], exec
	s_and_b64 s[8:9], vcc, exec
	v_mov_b32_e32 v8, 0
	s_or_b64 s[4:5], s[4:5], s[8:9]
	s_or_b64 exec, exec, s[6:7]
	s_and_saveexec_b64 s[6:7], s[4:5]
	s_cbranch_execnz .LBB35_1843
	s_branch .LBB35_1844
.LBB35_3893:
	s_movk_i32 s4, 0x80
	v_cmp_eq_u16_e32 vcc, s4, v12
	s_mov_b64 s[4:5], -1
                                        ; implicit-def: $sgpr10
	s_and_saveexec_b64 s[8:9], vcc
; %bb.3894:
	s_mov_b32 s10, 0x7f800001
	s_xor_b64 s[4:5], exec, -1
; %bb.3895:
	s_or_b64 exec, exec, s[8:9]
	s_and_b64 s[4:5], s[4:5], exec
                                        ; implicit-def: $vgpr12
	s_or_saveexec_b64 s[6:7], s[6:7]
	v_mov_b32_e32 v18, s10
	s_xor_b64 exec, exec, s[6:7]
	s_cbranch_execz .LBB35_1846
.LBB35_3896:
	v_cmp_ne_u16_e32 vcc, 0, v12
	s_andn2_b64 s[4:5], s[4:5], exec
	s_and_b64 s[8:9], vcc, exec
	v_mov_b32_e32 v18, 0
	s_or_b64 s[4:5], s[4:5], s[8:9]
	s_or_b64 exec, exec, s[6:7]
	s_and_saveexec_b64 s[6:7], s[4:5]
	s_cbranch_execnz .LBB35_1847
	s_branch .LBB35_1848
.LBB35_3897:
	s_movk_i32 s4, 0x80
	v_cmp_eq_u16_sdwa s[12:13], v13, s4 src0_sel:BYTE_3 src1_sel:DWORD
	s_mov_b64 s[4:5], -1
                                        ; implicit-def: $sgpr10
	s_and_saveexec_b64 s[8:9], s[12:13]
; %bb.3898:
	s_mov_b32 s10, 0x7f800001
	s_xor_b64 s[4:5], exec, -1
; %bb.3899:
	s_or_b64 exec, exec, s[8:9]
	s_and_b64 s[4:5], s[4:5], exec
	s_or_saveexec_b64 s[6:7], s[6:7]
	v_mov_b32_e32 v8, s10
	s_xor_b64 exec, exec, s[6:7]
	s_cbranch_execz .LBB35_1850
.LBB35_3900:
	v_mov_b32_e32 v8, 0
	v_cmp_ne_u16_sdwa s[8:9], v13, v8 src0_sel:BYTE_3 src1_sel:DWORD
	s_andn2_b64 s[4:5], s[4:5], exec
	s_and_b64 s[8:9], s[8:9], exec
	s_or_b64 s[4:5], s[4:5], s[8:9]
	s_or_b64 exec, exec, s[6:7]
	s_and_saveexec_b64 s[6:7], s[4:5]
	s_cbranch_execnz .LBB35_1851
	s_branch .LBB35_1852
.LBB35_3901:
	s_movk_i32 s4, 0x80
	v_cmp_eq_u16_sdwa s[12:13], v9, s4 src0_sel:BYTE_3 src1_sel:DWORD
	s_mov_b64 s[4:5], -1
                                        ; implicit-def: $sgpr10
	s_and_saveexec_b64 s[8:9], s[12:13]
; %bb.3902:
	s_mov_b32 s10, 0x7f800001
	s_xor_b64 s[4:5], exec, -1
; %bb.3903:
	s_or_b64 exec, exec, s[8:9]
	s_and_b64 s[4:5], s[4:5], exec
	s_or_saveexec_b64 s[6:7], s[6:7]
	v_mov_b32_e32 v12, s10
	s_xor_b64 exec, exec, s[6:7]
	s_cbranch_execz .LBB35_1854
.LBB35_3904:
	v_mov_b32_e32 v12, 0
	v_cmp_ne_u16_sdwa s[8:9], v9, v12 src0_sel:BYTE_3 src1_sel:DWORD
	s_andn2_b64 s[4:5], s[4:5], exec
	s_and_b64 s[8:9], s[8:9], exec
	s_or_b64 s[4:5], s[4:5], s[8:9]
	s_or_b64 exec, exec, s[6:7]
	s_and_saveexec_b64 s[6:7], s[4:5]
	s_cbranch_execnz .LBB35_1855
	s_branch .LBB35_1856
.LBB35_3905:
	s_movk_i32 s4, 0x80
	v_cmp_eq_u16_sdwa s[12:13], v14, s4 src0_sel:BYTE_0 src1_sel:DWORD
	s_mov_b64 s[4:5], -1
                                        ; implicit-def: $sgpr10
	s_and_saveexec_b64 s[8:9], s[12:13]
; %bb.3906:
	s_mov_b32 s10, 0x7f800001
	s_xor_b64 s[4:5], exec, -1
; %bb.3907:
	s_or_b64 exec, exec, s[8:9]
	s_and_b64 s[4:5], s[4:5], exec
	s_or_saveexec_b64 s[6:7], s[6:7]
	v_mov_b32_e32 v8, s10
	s_xor_b64 exec, exec, s[6:7]
	s_cbranch_execz .LBB35_1858
.LBB35_3908:
	v_mov_b32_e32 v8, 0
	v_cmp_ne_u16_sdwa s[8:9], v14, v8 src0_sel:BYTE_0 src1_sel:DWORD
	s_andn2_b64 s[4:5], s[4:5], exec
	s_and_b64 s[8:9], s[8:9], exec
	s_or_b64 s[4:5], s[4:5], s[8:9]
	s_or_b64 exec, exec, s[6:7]
	s_and_saveexec_b64 s[6:7], s[4:5]
	s_cbranch_execnz .LBB35_1859
	s_branch .LBB35_1860
.LBB35_3909:
	s_movk_i32 s4, 0x80
	v_cmp_eq_u16_sdwa s[12:13], v10, s4 src0_sel:BYTE_0 src1_sel:DWORD
	s_mov_b64 s[4:5], -1
                                        ; implicit-def: $sgpr10
	s_and_saveexec_b64 s[8:9], s[12:13]
; %bb.3910:
	s_mov_b32 s10, 0x7f800001
	s_xor_b64 s[4:5], exec, -1
; %bb.3911:
	s_or_b64 exec, exec, s[8:9]
	s_and_b64 s[4:5], s[4:5], exec
	s_or_saveexec_b64 s[6:7], s[6:7]
	v_mov_b32_e32 v9, s10
	s_xor_b64 exec, exec, s[6:7]
	s_cbranch_execz .LBB35_1862
.LBB35_3912:
	v_mov_b32_e32 v9, 0
	v_cmp_ne_u16_sdwa s[8:9], v10, v9 src0_sel:BYTE_0 src1_sel:DWORD
	s_andn2_b64 s[4:5], s[4:5], exec
	s_and_b64 s[8:9], s[8:9], exec
	s_or_b64 s[4:5], s[4:5], s[8:9]
	s_or_b64 exec, exec, s[6:7]
	s_and_saveexec_b64 s[6:7], s[4:5]
	s_cbranch_execnz .LBB35_1863
	s_branch .LBB35_1864
.LBB35_3913:
	s_movk_i32 s4, 0x80
	v_cmp_eq_u16_sdwa s[12:13], v9, s4 src0_sel:BYTE_0 src1_sel:DWORD
	s_mov_b64 s[4:5], -1
                                        ; implicit-def: $sgpr10
	s_and_saveexec_b64 s[8:9], s[12:13]
; %bb.3914:
	s_mov_b32 s10, 0x7f800001
	s_xor_b64 s[4:5], exec, -1
; %bb.3915:
	s_or_b64 exec, exec, s[8:9]
	s_and_b64 s[4:5], s[4:5], exec
	s_or_saveexec_b64 s[6:7], s[6:7]
	v_mov_b32_e32 v8, s10
	s_xor_b64 exec, exec, s[6:7]
	s_cbranch_execz .LBB35_1866
.LBB35_3916:
	v_mov_b32_e32 v8, 0
	v_cmp_ne_u16_sdwa s[8:9], v9, v8 src0_sel:BYTE_0 src1_sel:DWORD
	s_andn2_b64 s[4:5], s[4:5], exec
	s_and_b64 s[8:9], s[8:9], exec
	s_or_b64 s[4:5], s[4:5], s[8:9]
	s_or_b64 exec, exec, s[6:7]
	s_and_saveexec_b64 s[6:7], s[4:5]
	s_cbranch_execnz .LBB35_1867
	s_branch .LBB35_1868
.LBB35_3917:
	s_movk_i32 s4, 0x80
	v_cmp_eq_u16_sdwa s[12:13], v9, s4 src0_sel:BYTE_0 src1_sel:DWORD
	s_mov_b64 s[4:5], -1
                                        ; implicit-def: $sgpr10
	s_and_saveexec_b64 s[8:9], s[12:13]
; %bb.3918:
	s_mov_b32 s10, 0x7f800001
	s_xor_b64 s[4:5], exec, -1
; %bb.3919:
	s_or_b64 exec, exec, s[8:9]
	s_and_b64 s[4:5], s[4:5], exec
	s_or_saveexec_b64 s[6:7], s[6:7]
	v_mov_b32_e32 v12, s10
	s_xor_b64 exec, exec, s[6:7]
	s_cbranch_execz .LBB35_1870
.LBB35_3920:
	v_mov_b32_e32 v12, 0
	v_cmp_ne_u16_sdwa s[8:9], v9, v12 src0_sel:BYTE_0 src1_sel:DWORD
	s_andn2_b64 s[4:5], s[4:5], exec
	s_and_b64 s[8:9], s[8:9], exec
	s_or_b64 s[4:5], s[4:5], s[8:9]
	s_or_b64 exec, exec, s[6:7]
	s_and_saveexec_b64 s[6:7], s[4:5]
	s_cbranch_execnz .LBB35_1871
	s_branch .LBB35_1872
.LBB35_3921:
	s_movk_i32 s4, 0x80
	v_cmp_eq_u16_e32 vcc, s4, v9
	s_mov_b64 s[4:5], -1
                                        ; implicit-def: $sgpr10
	s_and_saveexec_b64 s[8:9], vcc
; %bb.3922:
	s_mov_b32 s10, 0x7f800001
	s_xor_b64 s[4:5], exec, -1
; %bb.3923:
	s_or_b64 exec, exec, s[8:9]
	s_and_b64 s[4:5], s[4:5], exec
                                        ; implicit-def: $vgpr9
	s_or_saveexec_b64 s[6:7], s[6:7]
	v_mov_b32_e32 v8, s10
	s_xor_b64 exec, exec, s[6:7]
	s_cbranch_execz .LBB35_1874
.LBB35_3924:
	v_cmp_ne_u16_e32 vcc, 0, v9
	s_andn2_b64 s[4:5], s[4:5], exec
	s_and_b64 s[8:9], vcc, exec
	v_mov_b32_e32 v8, 0
	s_or_b64 s[4:5], s[4:5], s[8:9]
	s_or_b64 exec, exec, s[6:7]
	s_and_saveexec_b64 s[6:7], s[4:5]
	s_cbranch_execnz .LBB35_1875
	s_branch .LBB35_1876
.LBB35_3925:
	s_movk_i32 s4, 0x80
	v_cmp_eq_u16_e32 vcc, s4, v9
	s_mov_b64 s[4:5], -1
                                        ; implicit-def: $sgpr10
	s_and_saveexec_b64 s[8:9], vcc
; %bb.3926:
	s_mov_b32 s10, 0x7f800001
	s_xor_b64 s[4:5], exec, -1
; %bb.3927:
	s_or_b64 exec, exec, s[8:9]
	s_and_b64 s[4:5], s[4:5], exec
                                        ; implicit-def: $vgpr9
	s_or_saveexec_b64 s[6:7], s[6:7]
	v_mov_b32_e32 v12, s10
	s_xor_b64 exec, exec, s[6:7]
	s_cbranch_execz .LBB35_1878
.LBB35_3928:
	v_cmp_ne_u16_e32 vcc, 0, v9
	s_andn2_b64 s[4:5], s[4:5], exec
	s_and_b64 s[8:9], vcc, exec
	v_mov_b32_e32 v12, 0
	s_or_b64 s[4:5], s[4:5], s[8:9]
	s_or_b64 exec, exec, s[6:7]
	s_and_saveexec_b64 s[6:7], s[4:5]
	s_cbranch_execnz .LBB35_1879
	s_branch .LBB35_1880
.LBB35_3929:
	s_movk_i32 s4, 0x80
	v_cmp_eq_u16_sdwa s[12:13], v14, s4 src0_sel:BYTE_3 src1_sel:DWORD
	s_mov_b64 s[4:5], -1
                                        ; implicit-def: $sgpr10
	s_and_saveexec_b64 s[8:9], s[12:13]
; %bb.3930:
	s_mov_b32 s10, 0x7f800001
	s_xor_b64 s[4:5], exec, -1
; %bb.3931:
	s_or_b64 exec, exec, s[8:9]
	s_and_b64 s[4:5], s[4:5], exec
	s_or_saveexec_b64 s[6:7], s[6:7]
	v_mov_b32_e32 v8, s10
	s_xor_b64 exec, exec, s[6:7]
	s_cbranch_execz .LBB35_1882
.LBB35_3932:
	v_mov_b32_e32 v8, 0
	v_cmp_ne_u16_sdwa s[8:9], v14, v8 src0_sel:BYTE_3 src1_sel:DWORD
	s_andn2_b64 s[4:5], s[4:5], exec
	s_and_b64 s[8:9], s[8:9], exec
	s_or_b64 s[4:5], s[4:5], s[8:9]
	s_or_b64 exec, exec, s[6:7]
	s_and_saveexec_b64 s[6:7], s[4:5]
	s_cbranch_execnz .LBB35_1883
	s_branch .LBB35_1884
.LBB35_3933:
	s_movk_i32 s4, 0x80
	v_cmp_eq_u16_sdwa s[12:13], v10, s4 src0_sel:BYTE_3 src1_sel:DWORD
	s_mov_b64 s[4:5], -1
                                        ; implicit-def: $sgpr10
	s_and_saveexec_b64 s[8:9], s[12:13]
; %bb.3934:
	s_mov_b32 s10, 0x7f800001
	s_xor_b64 s[4:5], exec, -1
; %bb.3935:
	s_or_b64 exec, exec, s[8:9]
	s_and_b64 s[4:5], s[4:5], exec
	s_or_saveexec_b64 s[6:7], s[6:7]
	v_mov_b32_e32 v9, s10
	s_xor_b64 exec, exec, s[6:7]
	s_cbranch_execz .LBB35_1886
.LBB35_3936:
	v_mov_b32_e32 v9, 0
	v_cmp_ne_u16_sdwa s[8:9], v10, v9 src0_sel:BYTE_3 src1_sel:DWORD
	s_andn2_b64 s[4:5], s[4:5], exec
	s_and_b64 s[8:9], s[8:9], exec
	s_or_b64 s[4:5], s[4:5], s[8:9]
	s_or_b64 exec, exec, s[6:7]
	s_and_saveexec_b64 s[6:7], s[4:5]
	s_cbranch_execnz .LBB35_1887
	s_branch .LBB35_1888
.LBB35_3937:
	s_movk_i32 s4, 0x80
	v_cmp_eq_u16_sdwa s[12:13], v15, s4 src0_sel:BYTE_0 src1_sel:DWORD
	s_mov_b64 s[4:5], -1
                                        ; implicit-def: $sgpr10
	s_and_saveexec_b64 s[8:9], s[12:13]
; %bb.3938:
	s_mov_b32 s10, 0x7f800001
	s_xor_b64 s[4:5], exec, -1
; %bb.3939:
	s_or_b64 exec, exec, s[8:9]
	s_and_b64 s[4:5], s[4:5], exec
	s_or_saveexec_b64 s[6:7], s[6:7]
	v_mov_b32_e32 v8, s10
	s_xor_b64 exec, exec, s[6:7]
	s_cbranch_execz .LBB35_1890
.LBB35_3940:
	v_mov_b32_e32 v8, 0
	v_cmp_ne_u16_sdwa s[8:9], v15, v8 src0_sel:BYTE_0 src1_sel:DWORD
	s_andn2_b64 s[4:5], s[4:5], exec
	s_and_b64 s[8:9], s[8:9], exec
	s_or_b64 s[4:5], s[4:5], s[8:9]
	s_or_b64 exec, exec, s[6:7]
	s_and_saveexec_b64 s[6:7], s[4:5]
	s_cbranch_execnz .LBB35_1891
	s_branch .LBB35_1892
.LBB35_3941:
	s_movk_i32 s4, 0x80
	v_cmp_eq_u16_sdwa s[12:13], v11, s4 src0_sel:BYTE_0 src1_sel:DWORD
	s_mov_b64 s[4:5], -1
                                        ; implicit-def: $sgpr10
	s_and_saveexec_b64 s[8:9], s[12:13]
; %bb.3942:
	s_mov_b32 s10, 0x7f800001
	s_xor_b64 s[4:5], exec, -1
; %bb.3943:
	s_or_b64 exec, exec, s[8:9]
	s_and_b64 s[4:5], s[4:5], exec
	s_or_saveexec_b64 s[6:7], s[6:7]
	v_mov_b32_e32 v9, s10
	s_xor_b64 exec, exec, s[6:7]
	s_cbranch_execz .LBB35_1894
.LBB35_3944:
	v_mov_b32_e32 v9, 0
	v_cmp_ne_u16_sdwa s[8:9], v11, v9 src0_sel:BYTE_0 src1_sel:DWORD
	s_andn2_b64 s[4:5], s[4:5], exec
	s_and_b64 s[8:9], s[8:9], exec
	s_or_b64 s[4:5], s[4:5], s[8:9]
	s_or_b64 exec, exec, s[6:7]
	s_and_saveexec_b64 s[6:7], s[4:5]
	s_cbranch_execnz .LBB35_1895
	s_branch .LBB35_1896
.LBB35_3945:
	s_movk_i32 s4, 0x80
	v_cmp_eq_u16_sdwa s[12:13], v9, s4 src0_sel:BYTE_0 src1_sel:DWORD
	s_mov_b64 s[4:5], -1
                                        ; implicit-def: $sgpr10
	s_and_saveexec_b64 s[8:9], s[12:13]
; %bb.3946:
	s_mov_b32 s10, 0x7f800001
	s_xor_b64 s[4:5], exec, -1
; %bb.3947:
	s_or_b64 exec, exec, s[8:9]
	s_and_b64 s[4:5], s[4:5], exec
	s_or_saveexec_b64 s[6:7], s[6:7]
	v_mov_b32_e32 v8, s10
	s_xor_b64 exec, exec, s[6:7]
	s_cbranch_execz .LBB35_1898
.LBB35_3948:
	v_mov_b32_e32 v8, 0
	v_cmp_ne_u16_sdwa s[8:9], v9, v8 src0_sel:BYTE_0 src1_sel:DWORD
	s_andn2_b64 s[4:5], s[4:5], exec
	s_and_b64 s[8:9], s[8:9], exec
	s_or_b64 s[4:5], s[4:5], s[8:9]
	s_or_b64 exec, exec, s[6:7]
	s_and_saveexec_b64 s[6:7], s[4:5]
	s_cbranch_execnz .LBB35_1899
	s_branch .LBB35_1900
.LBB35_3949:
	s_movk_i32 s4, 0x80
	v_cmp_eq_u16_sdwa s[12:13], v9, s4 src0_sel:BYTE_0 src1_sel:DWORD
	s_mov_b64 s[4:5], -1
                                        ; implicit-def: $sgpr10
	s_and_saveexec_b64 s[8:9], s[12:13]
; %bb.3950:
	s_mov_b32 s10, 0x7f800001
	s_xor_b64 s[4:5], exec, -1
; %bb.3951:
	s_or_b64 exec, exec, s[8:9]
	s_and_b64 s[4:5], s[4:5], exec
	s_or_saveexec_b64 s[6:7], s[6:7]
	v_mov_b32_e32 v10, s10
	s_xor_b64 exec, exec, s[6:7]
	s_cbranch_execz .LBB35_1902
.LBB35_3952:
	v_mov_b32_e32 v10, 0
	v_cmp_ne_u16_sdwa s[8:9], v9, v10 src0_sel:BYTE_0 src1_sel:DWORD
	s_andn2_b64 s[4:5], s[4:5], exec
	s_and_b64 s[8:9], s[8:9], exec
	s_or_b64 s[4:5], s[4:5], s[8:9]
	s_or_b64 exec, exec, s[6:7]
	s_and_saveexec_b64 s[6:7], s[4:5]
	s_cbranch_execnz .LBB35_1903
	s_branch .LBB35_1904
.LBB35_3953:
	s_movk_i32 s4, 0x80
	v_cmp_eq_u16_e32 vcc, s4, v9
	s_mov_b64 s[4:5], -1
                                        ; implicit-def: $sgpr10
	s_and_saveexec_b64 s[8:9], vcc
; %bb.3954:
	s_mov_b32 s10, 0x7f800001
	s_xor_b64 s[4:5], exec, -1
; %bb.3955:
	s_or_b64 exec, exec, s[8:9]
	s_and_b64 s[4:5], s[4:5], exec
                                        ; implicit-def: $vgpr9
	s_or_saveexec_b64 s[6:7], s[6:7]
	v_mov_b32_e32 v8, s10
	s_xor_b64 exec, exec, s[6:7]
	s_cbranch_execz .LBB35_1906
.LBB35_3956:
	v_cmp_ne_u16_e32 vcc, 0, v9
	s_andn2_b64 s[4:5], s[4:5], exec
	s_and_b64 s[8:9], vcc, exec
	v_mov_b32_e32 v8, 0
	s_or_b64 s[4:5], s[4:5], s[8:9]
	s_or_b64 exec, exec, s[6:7]
	s_and_saveexec_b64 s[6:7], s[4:5]
	s_cbranch_execnz .LBB35_1907
	s_branch .LBB35_1908
.LBB35_3957:
	s_movk_i32 s4, 0x80
	v_cmp_eq_u16_e32 vcc, s4, v9
	s_mov_b64 s[4:5], -1
                                        ; implicit-def: $sgpr10
	s_and_saveexec_b64 s[8:9], vcc
; %bb.3958:
	s_mov_b32 s10, 0x7f800001
	s_xor_b64 s[4:5], exec, -1
; %bb.3959:
	s_or_b64 exec, exec, s[8:9]
	s_and_b64 s[4:5], s[4:5], exec
                                        ; implicit-def: $vgpr9
	s_or_saveexec_b64 s[6:7], s[6:7]
	v_mov_b32_e32 v10, s10
	s_xor_b64 exec, exec, s[6:7]
	s_cbranch_execz .LBB35_1910
.LBB35_3960:
	v_cmp_ne_u16_e32 vcc, 0, v9
	s_andn2_b64 s[4:5], s[4:5], exec
	s_and_b64 s[8:9], vcc, exec
	v_mov_b32_e32 v10, 0
	s_or_b64 s[4:5], s[4:5], s[8:9]
	s_or_b64 exec, exec, s[6:7]
	s_and_saveexec_b64 s[6:7], s[4:5]
	s_cbranch_execnz .LBB35_1911
	s_branch .LBB35_1912
.LBB35_3961:
	s_movk_i32 s4, 0x80
	v_cmp_eq_u16_sdwa s[12:13], v15, s4 src0_sel:BYTE_3 src1_sel:DWORD
	s_mov_b64 s[4:5], -1
                                        ; implicit-def: $sgpr10
	s_and_saveexec_b64 s[8:9], s[12:13]
; %bb.3962:
	s_mov_b32 s10, 0x7f800001
	s_xor_b64 s[4:5], exec, -1
; %bb.3963:
	s_or_b64 exec, exec, s[8:9]
	s_and_b64 s[4:5], s[4:5], exec
	s_or_saveexec_b64 s[6:7], s[6:7]
	v_mov_b32_e32 v8, s10
	s_xor_b64 exec, exec, s[6:7]
	s_cbranch_execz .LBB35_1914
.LBB35_3964:
	v_mov_b32_e32 v8, 0
	v_cmp_ne_u16_sdwa s[8:9], v15, v8 src0_sel:BYTE_3 src1_sel:DWORD
	s_andn2_b64 s[4:5], s[4:5], exec
	s_and_b64 s[8:9], s[8:9], exec
	s_or_b64 s[4:5], s[4:5], s[8:9]
	s_or_b64 exec, exec, s[6:7]
	s_and_saveexec_b64 s[6:7], s[4:5]
	s_cbranch_execnz .LBB35_1915
	s_branch .LBB35_1916
.LBB35_3965:
	s_movk_i32 s4, 0x80
	v_cmp_eq_u16_sdwa s[12:13], v11, s4 src0_sel:BYTE_3 src1_sel:DWORD
	s_mov_b64 s[4:5], -1
                                        ; implicit-def: $sgpr10
	s_and_saveexec_b64 s[8:9], s[12:13]
; %bb.3966:
	s_mov_b32 s10, 0x7f800001
	s_xor_b64 s[4:5], exec, -1
; %bb.3967:
	s_or_b64 exec, exec, s[8:9]
	s_and_b64 s[4:5], s[4:5], exec
	s_or_saveexec_b64 s[6:7], s[6:7]
	v_mov_b32_e32 v9, s10
	s_xor_b64 exec, exec, s[6:7]
	s_cbranch_execz .LBB35_1918
.LBB35_3968:
	v_mov_b32_e32 v9, 0
	v_cmp_ne_u16_sdwa s[8:9], v11, v9 src0_sel:BYTE_3 src1_sel:DWORD
	s_andn2_b64 s[4:5], s[4:5], exec
	s_and_b64 s[8:9], s[8:9], exec
	s_or_b64 s[4:5], s[4:5], s[8:9]
	s_or_b64 exec, exec, s[6:7]
	s_and_saveexec_b64 s[6:7], s[4:5]
	s_cbranch_execnz .LBB35_1919
	s_branch .LBB35_1920
.LBB35_3969:
	s_movk_i32 s4, 0x80
	v_cmp_eq_u16_sdwa s[12:13], v4, s4 src0_sel:BYTE_0 src1_sel:DWORD
	s_mov_b64 s[4:5], -1
                                        ; implicit-def: $sgpr10
	s_and_saveexec_b64 s[8:9], s[12:13]
; %bb.3970:
	s_mov_b32 s10, 0x7f800001
	s_xor_b64 s[4:5], exec, -1
; %bb.3971:
	s_or_b64 exec, exec, s[8:9]
	s_and_b64 s[4:5], s[4:5], exec
	s_or_saveexec_b64 s[6:7], s[6:7]
	v_mov_b32_e32 v8, s10
	s_xor_b64 exec, exec, s[6:7]
	s_cbranch_execz .LBB35_1922
.LBB35_3972:
	v_mov_b32_e32 v8, 0
	v_cmp_ne_u16_sdwa s[8:9], v4, v8 src0_sel:BYTE_0 src1_sel:DWORD
	s_andn2_b64 s[4:5], s[4:5], exec
	s_and_b64 s[8:9], s[8:9], exec
	s_or_b64 s[4:5], s[4:5], s[8:9]
	s_or_b64 exec, exec, s[6:7]
	s_and_saveexec_b64 s[6:7], s[4:5]
	s_cbranch_execnz .LBB35_1923
	s_branch .LBB35_1924
.LBB35_3973:
	s_movk_i32 s4, 0x80
	v_cmp_eq_u16_sdwa s[12:13], v0, s4 src0_sel:BYTE_0 src1_sel:DWORD
	s_mov_b64 s[4:5], -1
                                        ; implicit-def: $sgpr10
	s_and_saveexec_b64 s[8:9], s[12:13]
; %bb.3974:
	s_mov_b32 s10, 0x7f800001
	s_xor_b64 s[4:5], exec, -1
; %bb.3975:
	s_or_b64 exec, exec, s[8:9]
	s_and_b64 s[4:5], s[4:5], exec
	s_or_saveexec_b64 s[6:7], s[6:7]
	v_mov_b32_e32 v9, s10
	s_xor_b64 exec, exec, s[6:7]
	s_cbranch_execz .LBB35_1926
.LBB35_3976:
	v_mov_b32_e32 v9, 0
	v_cmp_ne_u16_sdwa s[8:9], v0, v9 src0_sel:BYTE_0 src1_sel:DWORD
	s_andn2_b64 s[4:5], s[4:5], exec
	s_and_b64 s[8:9], s[8:9], exec
	s_or_b64 s[4:5], s[4:5], s[8:9]
	s_or_b64 exec, exec, s[6:7]
	s_and_saveexec_b64 s[6:7], s[4:5]
	s_cbranch_execnz .LBB35_1927
	s_branch .LBB35_1928
.LBB35_3977:
	s_movk_i32 s4, 0x80
	v_cmp_eq_u16_sdwa s[12:13], v9, s4 src0_sel:BYTE_0 src1_sel:DWORD
	s_mov_b64 s[4:5], -1
                                        ; implicit-def: $sgpr10
	s_and_saveexec_b64 s[8:9], s[12:13]
; %bb.3978:
	s_mov_b32 s10, 0x7f800001
	s_xor_b64 s[4:5], exec, -1
; %bb.3979:
	s_or_b64 exec, exec, s[8:9]
	s_and_b64 s[4:5], s[4:5], exec
	s_or_saveexec_b64 s[6:7], s[6:7]
	v_mov_b32_e32 v8, s10
	s_xor_b64 exec, exec, s[6:7]
	s_cbranch_execz .LBB35_1930
.LBB35_3980:
	v_mov_b32_e32 v8, 0
	v_cmp_ne_u16_sdwa s[8:9], v9, v8 src0_sel:BYTE_0 src1_sel:DWORD
	s_andn2_b64 s[4:5], s[4:5], exec
	s_and_b64 s[8:9], s[8:9], exec
	s_or_b64 s[4:5], s[4:5], s[8:9]
	s_or_b64 exec, exec, s[6:7]
	s_and_saveexec_b64 s[6:7], s[4:5]
	s_cbranch_execnz .LBB35_1931
	s_branch .LBB35_1932
.LBB35_3981:
	s_movk_i32 s4, 0x80
	v_cmp_eq_u16_sdwa s[12:13], v9, s4 src0_sel:BYTE_0 src1_sel:DWORD
	s_mov_b64 s[4:5], -1
                                        ; implicit-def: $sgpr10
	s_and_saveexec_b64 s[8:9], s[12:13]
; %bb.3982:
	s_mov_b32 s10, 0x7f800001
	s_xor_b64 s[4:5], exec, -1
; %bb.3983:
	s_or_b64 exec, exec, s[8:9]
	s_and_b64 s[4:5], s[4:5], exec
	s_or_saveexec_b64 s[6:7], s[6:7]
	v_mov_b32_e32 v10, s10
	s_xor_b64 exec, exec, s[6:7]
	s_cbranch_execz .LBB35_1934
.LBB35_3984:
	v_mov_b32_e32 v10, 0
	v_cmp_ne_u16_sdwa s[8:9], v9, v10 src0_sel:BYTE_0 src1_sel:DWORD
	s_andn2_b64 s[4:5], s[4:5], exec
	s_and_b64 s[8:9], s[8:9], exec
	s_or_b64 s[4:5], s[4:5], s[8:9]
	s_or_b64 exec, exec, s[6:7]
	s_and_saveexec_b64 s[6:7], s[4:5]
	s_cbranch_execnz .LBB35_1935
	s_branch .LBB35_1936
.LBB35_3985:
	s_movk_i32 s4, 0x80
	v_cmp_eq_u16_e32 vcc, s4, v9
	s_mov_b64 s[4:5], -1
                                        ; implicit-def: $sgpr10
	s_and_saveexec_b64 s[8:9], vcc
; %bb.3986:
	s_mov_b32 s10, 0x7f800001
	s_xor_b64 s[4:5], exec, -1
; %bb.3987:
	s_or_b64 exec, exec, s[8:9]
	s_and_b64 s[4:5], s[4:5], exec
                                        ; implicit-def: $vgpr9
	s_or_saveexec_b64 s[6:7], s[6:7]
	v_mov_b32_e32 v8, s10
	s_xor_b64 exec, exec, s[6:7]
	s_cbranch_execz .LBB35_1938
.LBB35_3988:
	v_cmp_ne_u16_e32 vcc, 0, v9
	s_andn2_b64 s[4:5], s[4:5], exec
	s_and_b64 s[8:9], vcc, exec
	v_mov_b32_e32 v8, 0
	s_or_b64 s[4:5], s[4:5], s[8:9]
	s_or_b64 exec, exec, s[6:7]
	s_and_saveexec_b64 s[6:7], s[4:5]
	s_cbranch_execnz .LBB35_1939
	s_branch .LBB35_1940
.LBB35_3989:
	s_movk_i32 s4, 0x80
	v_cmp_eq_u16_e32 vcc, s4, v9
	s_mov_b64 s[4:5], -1
                                        ; implicit-def: $sgpr10
	s_and_saveexec_b64 s[8:9], vcc
; %bb.3990:
	s_mov_b32 s10, 0x7f800001
	s_xor_b64 s[4:5], exec, -1
; %bb.3991:
	s_or_b64 exec, exec, s[8:9]
	s_and_b64 s[4:5], s[4:5], exec
                                        ; implicit-def: $vgpr9
	s_or_saveexec_b64 s[6:7], s[6:7]
	v_mov_b32_e32 v10, s10
	s_xor_b64 exec, exec, s[6:7]
	s_cbranch_execz .LBB35_1942
.LBB35_3992:
	v_cmp_ne_u16_e32 vcc, 0, v9
	s_andn2_b64 s[4:5], s[4:5], exec
	s_and_b64 s[8:9], vcc, exec
	v_mov_b32_e32 v10, 0
	s_or_b64 s[4:5], s[4:5], s[8:9]
	s_or_b64 exec, exec, s[6:7]
	s_and_saveexec_b64 s[6:7], s[4:5]
	s_cbranch_execnz .LBB35_1943
	s_branch .LBB35_1944
.LBB35_3993:
	s_movk_i32 s4, 0x80
	v_cmp_eq_u16_sdwa s[12:13], v4, s4 src0_sel:BYTE_3 src1_sel:DWORD
	s_mov_b64 s[4:5], -1
                                        ; implicit-def: $sgpr10
	s_and_saveexec_b64 s[8:9], s[12:13]
; %bb.3994:
	s_mov_b32 s10, 0x7f800001
	s_xor_b64 s[4:5], exec, -1
; %bb.3995:
	s_or_b64 exec, exec, s[8:9]
	s_and_b64 s[4:5], s[4:5], exec
	s_or_saveexec_b64 s[6:7], s[6:7]
	v_mov_b32_e32 v8, s10
	s_xor_b64 exec, exec, s[6:7]
	s_cbranch_execz .LBB35_1946
.LBB35_3996:
	v_mov_b32_e32 v8, 0
	v_cmp_ne_u16_sdwa s[8:9], v4, v8 src0_sel:BYTE_3 src1_sel:DWORD
	s_andn2_b64 s[4:5], s[4:5], exec
	s_and_b64 s[8:9], s[8:9], exec
	s_or_b64 s[4:5], s[4:5], s[8:9]
	s_or_b64 exec, exec, s[6:7]
	s_and_saveexec_b64 s[6:7], s[4:5]
	s_cbranch_execnz .LBB35_1947
	s_branch .LBB35_1948
.LBB35_3997:
	s_movk_i32 s4, 0x80
	v_cmp_eq_u16_sdwa s[12:13], v0, s4 src0_sel:BYTE_3 src1_sel:DWORD
	s_mov_b64 s[4:5], -1
                                        ; implicit-def: $sgpr10
	s_and_saveexec_b64 s[8:9], s[12:13]
; %bb.3998:
	s_mov_b32 s10, 0x7f800001
	s_xor_b64 s[4:5], exec, -1
; %bb.3999:
	s_or_b64 exec, exec, s[8:9]
	s_and_b64 s[4:5], s[4:5], exec
	s_or_saveexec_b64 s[6:7], s[6:7]
	v_mov_b32_e32 v4, s10
	s_xor_b64 exec, exec, s[6:7]
	s_cbranch_execz .LBB35_1950
.LBB35_4000:
	v_mov_b32_e32 v4, 0
	v_cmp_ne_u16_sdwa s[8:9], v0, v4 src0_sel:BYTE_3 src1_sel:DWORD
	s_andn2_b64 s[4:5], s[4:5], exec
	s_and_b64 s[8:9], s[8:9], exec
	s_or_b64 s[4:5], s[4:5], s[8:9]
	s_or_b64 exec, exec, s[6:7]
	s_and_saveexec_b64 s[6:7], s[4:5]
	s_cbranch_execnz .LBB35_1951
	s_branch .LBB35_1952
.LBB35_4001:
	s_movk_i32 s4, 0x80
	v_cmp_eq_u16_sdwa s[12:13], v5, s4 src0_sel:BYTE_0 src1_sel:DWORD
	s_mov_b64 s[4:5], -1
                                        ; implicit-def: $sgpr10
	s_and_saveexec_b64 s[8:9], s[12:13]
; %bb.4002:
	s_mov_b32 s10, 0x7f800001
	s_xor_b64 s[4:5], exec, -1
; %bb.4003:
	s_or_b64 exec, exec, s[8:9]
	s_and_b64 s[4:5], s[4:5], exec
	s_or_saveexec_b64 s[6:7], s[6:7]
	v_mov_b32_e32 v0, s10
	s_xor_b64 exec, exec, s[6:7]
	s_cbranch_execz .LBB35_1954
.LBB35_4004:
	v_mov_b32_e32 v0, 0
	v_cmp_ne_u16_sdwa s[8:9], v5, v0 src0_sel:BYTE_0 src1_sel:DWORD
	s_andn2_b64 s[4:5], s[4:5], exec
	s_and_b64 s[8:9], s[8:9], exec
	s_or_b64 s[4:5], s[4:5], s[8:9]
	s_or_b64 exec, exec, s[6:7]
	s_and_saveexec_b64 s[6:7], s[4:5]
	s_cbranch_execnz .LBB35_1955
	s_branch .LBB35_1956
.LBB35_4005:
	s_movk_i32 s4, 0x80
	v_cmp_eq_u16_sdwa s[12:13], v1, s4 src0_sel:BYTE_0 src1_sel:DWORD
	s_mov_b64 s[4:5], -1
                                        ; implicit-def: $sgpr10
	s_and_saveexec_b64 s[8:9], s[12:13]
; %bb.4006:
	s_mov_b32 s10, 0x7f800001
	s_xor_b64 s[4:5], exec, -1
; %bb.4007:
	s_or_b64 exec, exec, s[8:9]
	s_and_b64 s[4:5], s[4:5], exec
	s_or_saveexec_b64 s[6:7], s[6:7]
	v_mov_b32_e32 v4, s10
	s_xor_b64 exec, exec, s[6:7]
	s_cbranch_execz .LBB35_1958
.LBB35_4008:
	v_mov_b32_e32 v4, 0
	v_cmp_ne_u16_sdwa s[8:9], v1, v4 src0_sel:BYTE_0 src1_sel:DWORD
	s_andn2_b64 s[4:5], s[4:5], exec
	s_and_b64 s[8:9], s[8:9], exec
	s_or_b64 s[4:5], s[4:5], s[8:9]
	s_or_b64 exec, exec, s[6:7]
	s_and_saveexec_b64 s[6:7], s[4:5]
	s_cbranch_execnz .LBB35_1959
	s_branch .LBB35_1960
.LBB35_4009:
	s_movk_i32 s4, 0x80
	v_cmp_eq_u16_sdwa s[12:13], v4, s4 src0_sel:BYTE_0 src1_sel:DWORD
	s_mov_b64 s[4:5], -1
                                        ; implicit-def: $sgpr10
	s_and_saveexec_b64 s[8:9], s[12:13]
; %bb.4010:
	s_mov_b32 s10, 0x7f800001
	s_xor_b64 s[4:5], exec, -1
; %bb.4011:
	s_or_b64 exec, exec, s[8:9]
	s_and_b64 s[4:5], s[4:5], exec
	s_or_saveexec_b64 s[6:7], s[6:7]
	v_mov_b32_e32 v0, s10
	s_xor_b64 exec, exec, s[6:7]
	s_cbranch_execz .LBB35_1962
.LBB35_4012:
	v_mov_b32_e32 v0, 0
	v_cmp_ne_u16_sdwa s[8:9], v4, v0 src0_sel:BYTE_0 src1_sel:DWORD
	s_andn2_b64 s[4:5], s[4:5], exec
	s_and_b64 s[8:9], s[8:9], exec
	s_or_b64 s[4:5], s[4:5], s[8:9]
	s_or_b64 exec, exec, s[6:7]
	s_and_saveexec_b64 s[6:7], s[4:5]
	s_cbranch_execnz .LBB35_1963
	s_branch .LBB35_1964
.LBB35_4013:
	s_movk_i32 s4, 0x80
	v_cmp_eq_u16_sdwa s[12:13], v4, s4 src0_sel:BYTE_0 src1_sel:DWORD
	s_mov_b64 s[4:5], -1
                                        ; implicit-def: $sgpr10
	s_and_saveexec_b64 s[8:9], s[12:13]
; %bb.4014:
	s_mov_b32 s10, 0x7f800001
	s_xor_b64 s[4:5], exec, -1
; %bb.4015:
	s_or_b64 exec, exec, s[8:9]
	s_and_b64 s[4:5], s[4:5], exec
	s_or_saveexec_b64 s[6:7], s[6:7]
	v_mov_b32_e32 v8, s10
	s_xor_b64 exec, exec, s[6:7]
	s_cbranch_execz .LBB35_1966
.LBB35_4016:
	v_mov_b32_e32 v8, 0
	v_cmp_ne_u16_sdwa s[8:9], v4, v8 src0_sel:BYTE_0 src1_sel:DWORD
	s_andn2_b64 s[4:5], s[4:5], exec
	s_and_b64 s[8:9], s[8:9], exec
	s_or_b64 s[4:5], s[4:5], s[8:9]
	s_or_b64 exec, exec, s[6:7]
	s_and_saveexec_b64 s[6:7], s[4:5]
	s_cbranch_execnz .LBB35_1967
	s_branch .LBB35_1968
.LBB35_4017:
	s_movk_i32 s4, 0x80
	v_cmp_eq_u16_e32 vcc, s4, v4
	s_mov_b64 s[4:5], -1
                                        ; implicit-def: $sgpr10
	s_and_saveexec_b64 s[8:9], vcc
; %bb.4018:
	s_mov_b32 s10, 0x7f800001
	s_xor_b64 s[4:5], exec, -1
; %bb.4019:
	s_or_b64 exec, exec, s[8:9]
	s_and_b64 s[4:5], s[4:5], exec
                                        ; implicit-def: $vgpr4
	s_or_saveexec_b64 s[6:7], s[6:7]
	v_mov_b32_e32 v0, s10
	s_xor_b64 exec, exec, s[6:7]
	s_cbranch_execz .LBB35_1970
.LBB35_4020:
	v_cmp_ne_u16_e32 vcc, 0, v4
	s_andn2_b64 s[4:5], s[4:5], exec
	s_and_b64 s[8:9], vcc, exec
	v_mov_b32_e32 v0, 0
	s_or_b64 s[4:5], s[4:5], s[8:9]
	s_or_b64 exec, exec, s[6:7]
	s_and_saveexec_b64 s[6:7], s[4:5]
	s_cbranch_execnz .LBB35_1971
	s_branch .LBB35_1972
.LBB35_4021:
	s_movk_i32 s4, 0x80
	v_cmp_eq_u16_e32 vcc, s4, v4
	s_mov_b64 s[4:5], -1
                                        ; implicit-def: $sgpr10
	s_and_saveexec_b64 s[8:9], vcc
; %bb.4022:
	s_mov_b32 s10, 0x7f800001
	s_xor_b64 s[4:5], exec, -1
; %bb.4023:
	s_or_b64 exec, exec, s[8:9]
	s_and_b64 s[4:5], s[4:5], exec
                                        ; implicit-def: $vgpr4
	s_or_saveexec_b64 s[6:7], s[6:7]
	v_mov_b32_e32 v8, s10
	s_xor_b64 exec, exec, s[6:7]
	s_cbranch_execz .LBB35_1974
.LBB35_4024:
	v_cmp_ne_u16_e32 vcc, 0, v4
	s_andn2_b64 s[4:5], s[4:5], exec
	s_and_b64 s[8:9], vcc, exec
	v_mov_b32_e32 v8, 0
	s_or_b64 s[4:5], s[4:5], s[8:9]
	s_or_b64 exec, exec, s[6:7]
	s_and_saveexec_b64 s[6:7], s[4:5]
	s_cbranch_execnz .LBB35_1975
	s_branch .LBB35_1976
.LBB35_4025:
	s_movk_i32 s4, 0x80
	v_cmp_eq_u16_sdwa s[12:13], v5, s4 src0_sel:BYTE_3 src1_sel:DWORD
	s_mov_b64 s[4:5], -1
                                        ; implicit-def: $sgpr10
	s_and_saveexec_b64 s[8:9], s[12:13]
; %bb.4026:
	s_mov_b32 s10, 0x7f800001
	s_xor_b64 s[4:5], exec, -1
; %bb.4027:
	s_or_b64 exec, exec, s[8:9]
	s_and_b64 s[4:5], s[4:5], exec
	s_or_saveexec_b64 s[6:7], s[6:7]
	v_mov_b32_e32 v0, s10
	s_xor_b64 exec, exec, s[6:7]
	s_cbranch_execz .LBB35_1978
.LBB35_4028:
	v_mov_b32_e32 v0, 0
	v_cmp_ne_u16_sdwa s[8:9], v5, v0 src0_sel:BYTE_3 src1_sel:DWORD
	s_andn2_b64 s[4:5], s[4:5], exec
	s_and_b64 s[8:9], s[8:9], exec
	s_or_b64 s[4:5], s[4:5], s[8:9]
	s_or_b64 exec, exec, s[6:7]
	s_and_saveexec_b64 s[6:7], s[4:5]
	s_cbranch_execnz .LBB35_1979
	s_branch .LBB35_1980
.LBB35_4029:
	s_movk_i32 s4, 0x80
	v_cmp_eq_u16_sdwa s[12:13], v1, s4 src0_sel:BYTE_3 src1_sel:DWORD
	s_mov_b64 s[4:5], -1
                                        ; implicit-def: $sgpr10
	s_and_saveexec_b64 s[8:9], s[12:13]
; %bb.4030:
	s_mov_b32 s10, 0x7f800001
	s_xor_b64 s[4:5], exec, -1
; %bb.4031:
	s_or_b64 exec, exec, s[8:9]
	s_and_b64 s[4:5], s[4:5], exec
	s_or_saveexec_b64 s[6:7], s[6:7]
	v_mov_b32_e32 v4, s10
	s_xor_b64 exec, exec, s[6:7]
	s_cbranch_execz .LBB35_1982
.LBB35_4032:
	v_mov_b32_e32 v4, 0
	v_cmp_ne_u16_sdwa s[8:9], v1, v4 src0_sel:BYTE_3 src1_sel:DWORD
	s_andn2_b64 s[4:5], s[4:5], exec
	s_and_b64 s[8:9], s[8:9], exec
	s_or_b64 s[4:5], s[4:5], s[8:9]
	s_or_b64 exec, exec, s[6:7]
	s_and_saveexec_b64 s[6:7], s[4:5]
	s_cbranch_execnz .LBB35_1983
	s_branch .LBB35_1984
.LBB35_4033:
	s_movk_i32 s4, 0x80
	v_cmp_eq_u16_sdwa s[12:13], v6, s4 src0_sel:BYTE_0 src1_sel:DWORD
	s_mov_b64 s[4:5], -1
                                        ; implicit-def: $sgpr10
	s_and_saveexec_b64 s[8:9], s[12:13]
; %bb.4034:
	s_mov_b32 s10, 0x7f800001
	s_xor_b64 s[4:5], exec, -1
; %bb.4035:
	s_or_b64 exec, exec, s[8:9]
	s_and_b64 s[4:5], s[4:5], exec
	s_or_saveexec_b64 s[6:7], s[6:7]
	v_mov_b32_e32 v0, s10
	s_xor_b64 exec, exec, s[6:7]
	s_cbranch_execz .LBB35_1986
.LBB35_4036:
	v_mov_b32_e32 v0, 0
	v_cmp_ne_u16_sdwa s[8:9], v6, v0 src0_sel:BYTE_0 src1_sel:DWORD
	s_andn2_b64 s[4:5], s[4:5], exec
	s_and_b64 s[8:9], s[8:9], exec
	s_or_b64 s[4:5], s[4:5], s[8:9]
	s_or_b64 exec, exec, s[6:7]
	s_and_saveexec_b64 s[6:7], s[4:5]
	s_cbranch_execnz .LBB35_1987
	s_branch .LBB35_1988
.LBB35_4037:
	s_movk_i32 s4, 0x80
	v_cmp_eq_u16_sdwa s[12:13], v2, s4 src0_sel:BYTE_0 src1_sel:DWORD
	s_mov_b64 s[4:5], -1
                                        ; implicit-def: $sgpr10
	s_and_saveexec_b64 s[8:9], s[12:13]
; %bb.4038:
	s_mov_b32 s10, 0x7f800001
	s_xor_b64 s[4:5], exec, -1
; %bb.4039:
	s_or_b64 exec, exec, s[8:9]
	s_and_b64 s[4:5], s[4:5], exec
	s_or_saveexec_b64 s[6:7], s[6:7]
	v_mov_b32_e32 v1, s10
	s_xor_b64 exec, exec, s[6:7]
	s_cbranch_execz .LBB35_1990
.LBB35_4040:
	v_mov_b32_e32 v1, 0
	v_cmp_ne_u16_sdwa s[8:9], v2, v1 src0_sel:BYTE_0 src1_sel:DWORD
	s_andn2_b64 s[4:5], s[4:5], exec
	s_and_b64 s[8:9], s[8:9], exec
	s_or_b64 s[4:5], s[4:5], s[8:9]
	s_or_b64 exec, exec, s[6:7]
	s_and_saveexec_b64 s[6:7], s[4:5]
	s_cbranch_execnz .LBB35_1991
	s_branch .LBB35_1992
.LBB35_4041:
	s_movk_i32 s4, 0x80
	v_cmp_eq_u16_sdwa s[12:13], v1, s4 src0_sel:BYTE_0 src1_sel:DWORD
	s_mov_b64 s[4:5], -1
                                        ; implicit-def: $sgpr10
	s_and_saveexec_b64 s[8:9], s[12:13]
; %bb.4042:
	s_mov_b32 s10, 0x7f800001
	s_xor_b64 s[4:5], exec, -1
; %bb.4043:
	s_or_b64 exec, exec, s[8:9]
	s_and_b64 s[4:5], s[4:5], exec
	s_or_saveexec_b64 s[6:7], s[6:7]
	v_mov_b32_e32 v0, s10
	s_xor_b64 exec, exec, s[6:7]
	s_cbranch_execz .LBB35_1994
.LBB35_4044:
	v_mov_b32_e32 v0, 0
	v_cmp_ne_u16_sdwa s[8:9], v1, v0 src0_sel:BYTE_0 src1_sel:DWORD
	s_andn2_b64 s[4:5], s[4:5], exec
	s_and_b64 s[8:9], s[8:9], exec
	s_or_b64 s[4:5], s[4:5], s[8:9]
	s_or_b64 exec, exec, s[6:7]
	s_and_saveexec_b64 s[6:7], s[4:5]
	s_cbranch_execnz .LBB35_1995
	s_branch .LBB35_1996
.LBB35_4045:
	s_movk_i32 s4, 0x80
	v_cmp_eq_u16_sdwa s[12:13], v1, s4 src0_sel:BYTE_0 src1_sel:DWORD
	s_mov_b64 s[4:5], -1
                                        ; implicit-def: $sgpr10
	s_and_saveexec_b64 s[8:9], s[12:13]
; %bb.4046:
	s_mov_b32 s10, 0x7f800001
	s_xor_b64 s[4:5], exec, -1
; %bb.4047:
	s_or_b64 exec, exec, s[8:9]
	s_and_b64 s[4:5], s[4:5], exec
	s_or_saveexec_b64 s[6:7], s[6:7]
	v_mov_b32_e32 v4, s10
	s_xor_b64 exec, exec, s[6:7]
	s_cbranch_execz .LBB35_1998
.LBB35_4048:
	v_mov_b32_e32 v4, 0
	v_cmp_ne_u16_sdwa s[8:9], v1, v4 src0_sel:BYTE_0 src1_sel:DWORD
	s_andn2_b64 s[4:5], s[4:5], exec
	s_and_b64 s[8:9], s[8:9], exec
	s_or_b64 s[4:5], s[4:5], s[8:9]
	s_or_b64 exec, exec, s[6:7]
	s_and_saveexec_b64 s[6:7], s[4:5]
	s_cbranch_execnz .LBB35_1999
	s_branch .LBB35_2000
.LBB35_4049:
	s_movk_i32 s4, 0x80
	v_cmp_eq_u16_e32 vcc, s4, v1
	s_mov_b64 s[4:5], -1
                                        ; implicit-def: $sgpr10
	s_and_saveexec_b64 s[8:9], vcc
; %bb.4050:
	s_mov_b32 s10, 0x7f800001
	s_xor_b64 s[4:5], exec, -1
; %bb.4051:
	s_or_b64 exec, exec, s[8:9]
	s_and_b64 s[4:5], s[4:5], exec
                                        ; implicit-def: $vgpr1
	s_or_saveexec_b64 s[6:7], s[6:7]
	v_mov_b32_e32 v0, s10
	s_xor_b64 exec, exec, s[6:7]
	s_cbranch_execz .LBB35_2002
.LBB35_4052:
	v_cmp_ne_u16_e32 vcc, 0, v1
	s_andn2_b64 s[4:5], s[4:5], exec
	s_and_b64 s[8:9], vcc, exec
	v_mov_b32_e32 v0, 0
	s_or_b64 s[4:5], s[4:5], s[8:9]
	s_or_b64 exec, exec, s[6:7]
	s_and_saveexec_b64 s[6:7], s[4:5]
	s_cbranch_execnz .LBB35_2003
	s_branch .LBB35_2004
.LBB35_4053:
	s_movk_i32 s4, 0x80
	v_cmp_eq_u16_e32 vcc, s4, v1
	s_mov_b64 s[4:5], -1
                                        ; implicit-def: $sgpr10
	s_and_saveexec_b64 s[8:9], vcc
; %bb.4054:
	s_mov_b32 s10, 0x7f800001
	s_xor_b64 s[4:5], exec, -1
; %bb.4055:
	s_or_b64 exec, exec, s[8:9]
	s_and_b64 s[4:5], s[4:5], exec
                                        ; implicit-def: $vgpr1
	s_or_saveexec_b64 s[6:7], s[6:7]
	v_mov_b32_e32 v4, s10
	s_xor_b64 exec, exec, s[6:7]
	s_cbranch_execz .LBB35_2006
.LBB35_4056:
	v_cmp_ne_u16_e32 vcc, 0, v1
	s_andn2_b64 s[4:5], s[4:5], exec
	s_and_b64 s[8:9], vcc, exec
	v_mov_b32_e32 v4, 0
	s_or_b64 s[4:5], s[4:5], s[8:9]
	s_or_b64 exec, exec, s[6:7]
	s_and_saveexec_b64 s[6:7], s[4:5]
	s_cbranch_execnz .LBB35_2007
	s_branch .LBB35_2008
.LBB35_4057:
	s_movk_i32 s4, 0x80
	v_cmp_eq_u16_sdwa s[12:13], v6, s4 src0_sel:BYTE_3 src1_sel:DWORD
	s_mov_b64 s[4:5], -1
                                        ; implicit-def: $sgpr10
	s_and_saveexec_b64 s[8:9], s[12:13]
; %bb.4058:
	s_mov_b32 s10, 0x7f800001
	s_xor_b64 s[4:5], exec, -1
; %bb.4059:
	s_or_b64 exec, exec, s[8:9]
	s_and_b64 s[4:5], s[4:5], exec
	s_or_saveexec_b64 s[6:7], s[6:7]
	v_mov_b32_e32 v0, s10
	s_xor_b64 exec, exec, s[6:7]
	s_cbranch_execz .LBB35_2010
.LBB35_4060:
	v_mov_b32_e32 v0, 0
	v_cmp_ne_u16_sdwa s[8:9], v6, v0 src0_sel:BYTE_3 src1_sel:DWORD
	s_andn2_b64 s[4:5], s[4:5], exec
	s_and_b64 s[8:9], s[8:9], exec
	s_or_b64 s[4:5], s[4:5], s[8:9]
	s_or_b64 exec, exec, s[6:7]
	s_and_saveexec_b64 s[6:7], s[4:5]
	s_cbranch_execnz .LBB35_2011
	s_branch .LBB35_2012
.LBB35_4061:
	s_movk_i32 s4, 0x80
	v_cmp_eq_u16_sdwa s[12:13], v2, s4 src0_sel:BYTE_3 src1_sel:DWORD
	s_mov_b64 s[4:5], -1
                                        ; implicit-def: $sgpr10
	s_and_saveexec_b64 s[8:9], s[12:13]
; %bb.4062:
	s_mov_b32 s10, 0x7f800001
	s_xor_b64 s[4:5], exec, -1
; %bb.4063:
	s_or_b64 exec, exec, s[8:9]
	s_and_b64 s[4:5], s[4:5], exec
	s_or_saveexec_b64 s[6:7], s[6:7]
	v_mov_b32_e32 v1, s10
	s_xor_b64 exec, exec, s[6:7]
	s_cbranch_execz .LBB35_2014
.LBB35_4064:
	v_mov_b32_e32 v1, 0
	v_cmp_ne_u16_sdwa s[8:9], v2, v1 src0_sel:BYTE_3 src1_sel:DWORD
	s_andn2_b64 s[4:5], s[4:5], exec
	s_and_b64 s[8:9], s[8:9], exec
	s_or_b64 s[4:5], s[4:5], s[8:9]
	s_or_b64 exec, exec, s[6:7]
	s_and_saveexec_b64 s[6:7], s[4:5]
	s_cbranch_execnz .LBB35_2015
	s_branch .LBB35_2016
.LBB35_4065:
	s_movk_i32 s4, 0x80
	v_cmp_eq_u16_sdwa s[12:13], v7, s4 src0_sel:BYTE_0 src1_sel:DWORD
	s_mov_b64 s[4:5], -1
                                        ; implicit-def: $sgpr10
	s_and_saveexec_b64 s[8:9], s[12:13]
; %bb.4066:
	s_mov_b32 s10, 0x7f800001
	s_xor_b64 s[4:5], exec, -1
; %bb.4067:
	s_or_b64 exec, exec, s[8:9]
	s_and_b64 s[4:5], s[4:5], exec
	s_or_saveexec_b64 s[6:7], s[6:7]
	v_mov_b32_e32 v0, s10
	s_xor_b64 exec, exec, s[6:7]
	s_cbranch_execz .LBB35_2018
.LBB35_4068:
	v_mov_b32_e32 v0, 0
	v_cmp_ne_u16_sdwa s[8:9], v7, v0 src0_sel:BYTE_0 src1_sel:DWORD
	s_andn2_b64 s[4:5], s[4:5], exec
	s_and_b64 s[8:9], s[8:9], exec
	s_or_b64 s[4:5], s[4:5], s[8:9]
	s_or_b64 exec, exec, s[6:7]
	s_and_saveexec_b64 s[6:7], s[4:5]
	s_cbranch_execnz .LBB35_2019
	s_branch .LBB35_2020
.LBB35_4069:
	s_movk_i32 s4, 0x80
	v_cmp_eq_u16_sdwa s[12:13], v3, s4 src0_sel:BYTE_0 src1_sel:DWORD
	s_mov_b64 s[4:5], -1
                                        ; implicit-def: $sgpr10
	s_and_saveexec_b64 s[8:9], s[12:13]
; %bb.4070:
	s_mov_b32 s10, 0x7f800001
	s_xor_b64 s[4:5], exec, -1
; %bb.4071:
	s_or_b64 exec, exec, s[8:9]
	s_and_b64 s[4:5], s[4:5], exec
	s_or_saveexec_b64 s[6:7], s[6:7]
	v_mov_b32_e32 v1, s10
	s_xor_b64 exec, exec, s[6:7]
	s_cbranch_execz .LBB35_2022
.LBB35_4072:
	v_mov_b32_e32 v1, 0
	v_cmp_ne_u16_sdwa s[8:9], v3, v1 src0_sel:BYTE_0 src1_sel:DWORD
	s_andn2_b64 s[4:5], s[4:5], exec
	s_and_b64 s[8:9], s[8:9], exec
	s_or_b64 s[4:5], s[4:5], s[8:9]
	s_or_b64 exec, exec, s[6:7]
	s_and_saveexec_b64 s[6:7], s[4:5]
	s_cbranch_execnz .LBB35_2023
	s_branch .LBB35_2024
.LBB35_4073:
	s_movk_i32 s4, 0x80
	v_cmp_eq_u16_sdwa s[12:13], v1, s4 src0_sel:BYTE_0 src1_sel:DWORD
	s_mov_b64 s[4:5], -1
                                        ; implicit-def: $sgpr10
	s_and_saveexec_b64 s[8:9], s[12:13]
; %bb.4074:
	s_mov_b32 s10, 0x7f800001
	s_xor_b64 s[4:5], exec, -1
; %bb.4075:
	s_or_b64 exec, exec, s[8:9]
	s_and_b64 s[4:5], s[4:5], exec
	s_or_saveexec_b64 s[6:7], s[6:7]
	v_mov_b32_e32 v0, s10
	s_xor_b64 exec, exec, s[6:7]
	s_cbranch_execz .LBB35_2026
.LBB35_4076:
	v_mov_b32_e32 v0, 0
	v_cmp_ne_u16_sdwa s[8:9], v1, v0 src0_sel:BYTE_0 src1_sel:DWORD
	s_andn2_b64 s[4:5], s[4:5], exec
	s_and_b64 s[8:9], s[8:9], exec
	s_or_b64 s[4:5], s[4:5], s[8:9]
	s_or_b64 exec, exec, s[6:7]
	s_and_saveexec_b64 s[6:7], s[4:5]
	s_cbranch_execnz .LBB35_2027
	s_branch .LBB35_2028
.LBB35_4077:
	s_movk_i32 s4, 0x80
	v_cmp_eq_u16_sdwa s[12:13], v1, s4 src0_sel:BYTE_0 src1_sel:DWORD
	s_mov_b64 s[4:5], -1
                                        ; implicit-def: $sgpr10
	s_and_saveexec_b64 s[8:9], s[12:13]
; %bb.4078:
	s_mov_b32 s10, 0x7f800001
	s_xor_b64 s[4:5], exec, -1
; %bb.4079:
	s_or_b64 exec, exec, s[8:9]
	s_and_b64 s[4:5], s[4:5], exec
	s_or_saveexec_b64 s[6:7], s[6:7]
	v_mov_b32_e32 v2, s10
	s_xor_b64 exec, exec, s[6:7]
	s_cbranch_execz .LBB35_2030
.LBB35_4080:
	v_mov_b32_e32 v2, 0
	v_cmp_ne_u16_sdwa s[8:9], v1, v2 src0_sel:BYTE_0 src1_sel:DWORD
	s_andn2_b64 s[4:5], s[4:5], exec
	s_and_b64 s[8:9], s[8:9], exec
	s_or_b64 s[4:5], s[4:5], s[8:9]
	s_or_b64 exec, exec, s[6:7]
	s_and_saveexec_b64 s[6:7], s[4:5]
	s_cbranch_execnz .LBB35_2031
	s_branch .LBB35_2032
.LBB35_4081:
	s_movk_i32 s4, 0x80
	v_cmp_eq_u16_e32 vcc, s4, v1
	s_mov_b64 s[4:5], -1
                                        ; implicit-def: $sgpr10
	s_and_saveexec_b64 s[8:9], vcc
; %bb.4082:
	s_mov_b32 s10, 0x7f800001
	s_xor_b64 s[4:5], exec, -1
; %bb.4083:
	s_or_b64 exec, exec, s[8:9]
	s_and_b64 s[4:5], s[4:5], exec
                                        ; implicit-def: $vgpr1
	s_or_saveexec_b64 s[6:7], s[6:7]
	v_mov_b32_e32 v0, s10
	s_xor_b64 exec, exec, s[6:7]
	s_cbranch_execz .LBB35_2034
.LBB35_4084:
	v_cmp_ne_u16_e32 vcc, 0, v1
	s_andn2_b64 s[4:5], s[4:5], exec
	s_and_b64 s[8:9], vcc, exec
	v_mov_b32_e32 v0, 0
	s_or_b64 s[4:5], s[4:5], s[8:9]
	s_or_b64 exec, exec, s[6:7]
	s_and_saveexec_b64 s[6:7], s[4:5]
	s_cbranch_execnz .LBB35_2035
	s_branch .LBB35_2036
.LBB35_4085:
	s_movk_i32 s4, 0x80
	v_cmp_eq_u16_e32 vcc, s4, v1
	s_mov_b64 s[4:5], -1
                                        ; implicit-def: $sgpr10
	s_and_saveexec_b64 s[8:9], vcc
; %bb.4086:
	s_mov_b32 s10, 0x7f800001
	s_xor_b64 s[4:5], exec, -1
; %bb.4087:
	s_or_b64 exec, exec, s[8:9]
	s_and_b64 s[4:5], s[4:5], exec
                                        ; implicit-def: $vgpr1
	s_or_saveexec_b64 s[6:7], s[6:7]
	v_mov_b32_e32 v2, s10
	s_xor_b64 exec, exec, s[6:7]
	s_cbranch_execz .LBB35_2038
.LBB35_4088:
	v_cmp_ne_u16_e32 vcc, 0, v1
	s_andn2_b64 s[4:5], s[4:5], exec
	s_and_b64 s[8:9], vcc, exec
	v_mov_b32_e32 v2, 0
	s_or_b64 s[4:5], s[4:5], s[8:9]
	s_or_b64 exec, exec, s[6:7]
	s_and_saveexec_b64 s[6:7], s[4:5]
	s_cbranch_execnz .LBB35_2039
	s_branch .LBB35_2040
.LBB35_4089:
	s_movk_i32 s4, 0x80
	v_cmp_eq_u16_sdwa s[12:13], v7, s4 src0_sel:BYTE_3 src1_sel:DWORD
	s_mov_b64 s[4:5], -1
                                        ; implicit-def: $sgpr10
	s_and_saveexec_b64 s[8:9], s[12:13]
; %bb.4090:
	s_mov_b32 s10, 0x7f800001
	s_xor_b64 s[4:5], exec, -1
; %bb.4091:
	s_or_b64 exec, exec, s[8:9]
	s_and_b64 s[4:5], s[4:5], exec
	s_or_saveexec_b64 s[6:7], s[6:7]
	v_mov_b32_e32 v0, s10
	s_xor_b64 exec, exec, s[6:7]
	s_cbranch_execz .LBB35_2042
.LBB35_4092:
	v_mov_b32_e32 v0, 0
	v_cmp_ne_u16_sdwa s[8:9], v7, v0 src0_sel:BYTE_3 src1_sel:DWORD
	s_andn2_b64 s[4:5], s[4:5], exec
	s_and_b64 s[8:9], s[8:9], exec
	s_or_b64 s[4:5], s[4:5], s[8:9]
	s_or_b64 exec, exec, s[6:7]
	s_and_saveexec_b64 s[6:7], s[4:5]
	s_cbranch_execnz .LBB35_2043
	s_branch .LBB35_2044
.LBB35_4093:
	s_movk_i32 s4, 0x80
	v_cmp_eq_u16_sdwa s[12:13], v3, s4 src0_sel:BYTE_3 src1_sel:DWORD
	s_mov_b64 s[4:5], -1
                                        ; implicit-def: $sgpr10
	s_and_saveexec_b64 s[8:9], s[12:13]
; %bb.4094:
	s_mov_b32 s10, 0x7f800001
	s_xor_b64 s[4:5], exec, -1
; %bb.4095:
	s_or_b64 exec, exec, s[8:9]
	s_and_b64 s[4:5], s[4:5], exec
	s_or_saveexec_b64 s[6:7], s[6:7]
	v_mov_b32_e32 v1, s10
	s_xor_b64 exec, exec, s[6:7]
	s_cbranch_execz .LBB35_2046
.LBB35_4096:
	v_mov_b32_e32 v1, 0
	v_cmp_ne_u16_sdwa s[8:9], v3, v1 src0_sel:BYTE_3 src1_sel:DWORD
	s_andn2_b64 s[4:5], s[4:5], exec
	s_and_b64 s[8:9], s[8:9], exec
	s_or_b64 s[4:5], s[4:5], s[8:9]
	s_or_b64 exec, exec, s[6:7]
	s_and_saveexec_b64 s[6:7], s[4:5]
	s_cbranch_execnz .LBB35_2047
	s_branch .LBB35_2048
.Lfunc_end35:
	.size	_ZNK2ck6detail7applierIiJLi0ELi1ELi2ELi3ELi4ELi5ELi6ELi7EEEclIZNKS_11static_fordINS_8SequenceIJLi1ELi8EEEENS5_IJLi0ELi1EEEEEclIZZZNKS_52BlockwiseGemmXdlops_pipeline_bpreshuffle_bdequant_v3ILNS_26BlockGemmPipelineSchedulerE0ELi256ENS_9f8_fnuz_tENS_7pk_i4_tESC_fNS_16TensorDescriptorINS_5TupleIJNS_5EmbedINSF_IJNS_17integral_constantIiLi8EEENSH_IiLi256EEENSH_IiLi16EEEEEENSF_IJSK_NSH_IiLi128EEENSH_IiLi1EEEEEELb0EEENS_3XorINSF_IJSJ_SI_EEELb1EEENS_11PassThroughISK_EENS_7UnMergeINSF_IJSI_SN_EEELb0EEENST_ISJ_EESU_NST_ISI_EENS_21Merge_v3_division_modINSF_IJSJ_SN_EEEEESU_EEENSF_IJNS5_IJLi0EEEENS5_IJLi2ELi1EEEENS5_IJLi3EEEENS5_IJLi5EEEENS5_IJLi4EEEENS5_IJLi6EEEENS5_IJLi7EEEENS5_IJLi9ELi8EEEENS5_IJLi10EEEEEEENSF_IJNS5_IJLi1ELi2ELi3EEEENS5_IJLi4ELi5EEEES19_NS5_IJLi7ELi8EEEENS5_IJLi9EEEES1C_NS5_IJLi11EEEENS5_IJLi12EEEENS5_IJLi13EEEEEEENS5_IJLi11ELi12ELi13EEEENSH_IlLl32768EEEEENSE_INSF_IJNSV_INSF_IJSI_SN_SN_NSH_IiLi32EEEEEELb0EEEEEENSF_IJS14_EEENSF_IJNS5_IJLi1ELi2ELi3ELi4EEEEEEES1U_NSH_IlLl256EEEEENSE_INSF_IJSP_SS_SU_SX_SY_SU_SZ_S12_SU_NS10_INSF_IJSI_SK_EEEEENSV_INSF_IJSI_NSH_IiLi2EEESK_EEELb0EEEEEENSF_IJS14_S15_S16_S17_S18_S19_S1A_S1B_S1C_NS5_IJLi11ELi13EEEES1J_EEENSF_IJS1E_S1F_S19_S1G_S1H_S1C_S1I_S1J_S1K_NS5_IJLi14EEEENS5_IJLi15ELi16ELi17EEEEEEENS5_IJLi15ELi16ELi17ELi14EEEES1N_EENSE_INSF_IJS1R_NS10_ISW_EES22_EEENSF_IJS14_NS5_IJLi1ELi3EEEENS5_IJLi2EEEEEEENSF_IJS1U_S17_NS5_IJLi6ELi7ELi8EEEEEEENS5_IJLi6ELi7ELi8ELi5EEEES1W_EELi16ELi32ELi256ELi256ELi128ELi16ELi16ELi8ELi8ELi32ELb0EE3RunILb1ELNS_10TailNumberE1ENSE_INSF_IJNSG_INSF_IJiiEEENSF_IJiSN_EEELb0EEENSV_IS2N_Lb0EEENST_IiEEEEENSF_IJS14_S2E_NS5_IJLi1EEEEEEENSF_IJNS5_IJLi1ELi2EEEENS5_IJLi3ELi4EEEES17_EEENS5_IJLi3ELi5ELi4EEEElEES1O_NS_35ThreadGroupTensorSliceTransfer_v4r1INS_15ThisThreadBlockILi256EEENS_16tensor_operation12element_wise11PassThroughES35_LNS_25InMemoryDataOperationEnumE0ENS5_IJLi8ELi256ELi16EEEENS5_IJLi8ELi32ELi1EEEENS5_IJLi1ELi0ELi2EEEESC_SC_RKS2Z_KS1O_S39_NS5_IJLi0ELi1ELi2EEEELi2ELi2ELi16ELi16ELi1ELi1ELb0ELb1ELi2EiEENS_13DynamicBufferILNS_16AddressSpaceEnumE1EKSC_lLb1ELNS_22AmdBufferCoherenceEnumE0EiEENSF_IJNS3F_ILS3G_2ESC_S1N_Lb1ELS3I_0EiEES3K_EEENSF_IJiiiEEENSE_INSF_IJNSG_INSF_IJiiiiEEENSF_IJiiiSN_EEELb0EEEEEES1T_S1V_S1U_lEENS_32ThreadwiseTensorSliceTransfer_v2ISD_SD_RKS3R_KS1X_NS5_IJLi8ELi1ELi1ELi32EEEENS5_IJLi1ELi2ELi0ELi3EEEELi3ELi32ELi0ELb1ELb0ELb0EEENS3F_ILS3G_1EKSD_lLb1ELS3I_0EiEENSF_IJNS_12StaticBufferILS3G_4ESD_Li256ELb1EEES42_EEES3N_NS_25StaticBufferTupleOfVectorILS3G_4EfLi64ELi4ELb1ELb0EEEEEvRKT1_RKT2_RT3_RKT4_RT5_RKT6_RKT7_RT8_RKT9_RT10_RKT11_RT12_iENKUlT_T0_E_clINSH_IiLi0EEESN_EEDaS51_S52_ENKUlS51_E_clINSH_IiLi7EEEEEDaS51_EUlS51_E_EEvS51_EUlS51_E_EEvS51_, .Lfunc_end35-_ZNK2ck6detail7applierIiJLi0ELi1ELi2ELi3ELi4ELi5ELi6ELi7EEEclIZNKS_11static_fordINS_8SequenceIJLi1ELi8EEEENS5_IJLi0ELi1EEEEEclIZZZNKS_52BlockwiseGemmXdlops_pipeline_bpreshuffle_bdequant_v3ILNS_26BlockGemmPipelineSchedulerE0ELi256ENS_9f8_fnuz_tENS_7pk_i4_tESC_fNS_16TensorDescriptorINS_5TupleIJNS_5EmbedINSF_IJNS_17integral_constantIiLi8EEENSH_IiLi256EEENSH_IiLi16EEEEEENSF_IJSK_NSH_IiLi128EEENSH_IiLi1EEEEEELb0EEENS_3XorINSF_IJSJ_SI_EEELb1EEENS_11PassThroughISK_EENS_7UnMergeINSF_IJSI_SN_EEELb0EEENST_ISJ_EESU_NST_ISI_EENS_21Merge_v3_division_modINSF_IJSJ_SN_EEEEESU_EEENSF_IJNS5_IJLi0EEEENS5_IJLi2ELi1EEEENS5_IJLi3EEEENS5_IJLi5EEEENS5_IJLi4EEEENS5_IJLi6EEEENS5_IJLi7EEEENS5_IJLi9ELi8EEEENS5_IJLi10EEEEEEENSF_IJNS5_IJLi1ELi2ELi3EEEENS5_IJLi4ELi5EEEES19_NS5_IJLi7ELi8EEEENS5_IJLi9EEEES1C_NS5_IJLi11EEEENS5_IJLi12EEEENS5_IJLi13EEEEEEENS5_IJLi11ELi12ELi13EEEENSH_IlLl32768EEEEENSE_INSF_IJNSV_INSF_IJSI_SN_SN_NSH_IiLi32EEEEEELb0EEEEEENSF_IJS14_EEENSF_IJNS5_IJLi1ELi2ELi3ELi4EEEEEEES1U_NSH_IlLl256EEEEENSE_INSF_IJSP_SS_SU_SX_SY_SU_SZ_S12_SU_NS10_INSF_IJSI_SK_EEEEENSV_INSF_IJSI_NSH_IiLi2EEESK_EEELb0EEEEEENSF_IJS14_S15_S16_S17_S18_S19_S1A_S1B_S1C_NS5_IJLi11ELi13EEEES1J_EEENSF_IJS1E_S1F_S19_S1G_S1H_S1C_S1I_S1J_S1K_NS5_IJLi14EEEENS5_IJLi15ELi16ELi17EEEEEEENS5_IJLi15ELi16ELi17ELi14EEEES1N_EENSE_INSF_IJS1R_NS10_ISW_EES22_EEENSF_IJS14_NS5_IJLi1ELi3EEEENS5_IJLi2EEEEEEENSF_IJS1U_S17_NS5_IJLi6ELi7ELi8EEEEEEENS5_IJLi6ELi7ELi8ELi5EEEES1W_EELi16ELi32ELi256ELi256ELi128ELi16ELi16ELi8ELi8ELi32ELb0EE3RunILb1ELNS_10TailNumberE1ENSE_INSF_IJNSG_INSF_IJiiEEENSF_IJiSN_EEELb0EEENSV_IS2N_Lb0EEENST_IiEEEEENSF_IJS14_S2E_NS5_IJLi1EEEEEEENSF_IJNS5_IJLi1ELi2EEEENS5_IJLi3ELi4EEEES17_EEENS5_IJLi3ELi5ELi4EEEElEES1O_NS_35ThreadGroupTensorSliceTransfer_v4r1INS_15ThisThreadBlockILi256EEENS_16tensor_operation12element_wise11PassThroughES35_LNS_25InMemoryDataOperationEnumE0ENS5_IJLi8ELi256ELi16EEEENS5_IJLi8ELi32ELi1EEEENS5_IJLi1ELi0ELi2EEEESC_SC_RKS2Z_KS1O_S39_NS5_IJLi0ELi1ELi2EEEELi2ELi2ELi16ELi16ELi1ELi1ELb0ELb1ELi2EiEENS_13DynamicBufferILNS_16AddressSpaceEnumE1EKSC_lLb1ELNS_22AmdBufferCoherenceEnumE0EiEENSF_IJNS3F_ILS3G_2ESC_S1N_Lb1ELS3I_0EiEES3K_EEENSF_IJiiiEEENSE_INSF_IJNSG_INSF_IJiiiiEEENSF_IJiiiSN_EEELb0EEEEEES1T_S1V_S1U_lEENS_32ThreadwiseTensorSliceTransfer_v2ISD_SD_RKS3R_KS1X_NS5_IJLi8ELi1ELi1ELi32EEEENS5_IJLi1ELi2ELi0ELi3EEEELi3ELi32ELi0ELb1ELb0ELb0EEENS3F_ILS3G_1EKSD_lLb1ELS3I_0EiEENSF_IJNS_12StaticBufferILS3G_4ESD_Li256ELb1EEES42_EEES3N_NS_25StaticBufferTupleOfVectorILS3G_4EfLi64ELi4ELb1ELb0EEEEEvRKT1_RKT2_RT3_RKT4_RT5_RKT6_RKT7_RT8_RKT9_RT10_RKT11_RT12_iENKUlT_T0_E_clINSH_IiLi0EEESN_EEDaS51_S52_ENKUlS51_E_clINSH_IiLi7EEEEEDaS51_EUlS51_E_EEvS51_EUlS51_E_EEvS51_
                                        ; -- End function
	.section	.AMDGPU.csdata,"",@progbits
; Function info:
; codeLenInByte = 133608
; NumSgprs: 36
; NumVgprs: 26
; NumAgprs: 4
; TotalNumVgprs: 32
; ScratchSize: 0
; MemoryBound: 1
	.text
	.p2align	2                               ; -- Begin function _ZNK2ck6detail7applierIiJLi0ELi1ELi2ELi3ELi4ELi5ELi6ELi7EEEclIZNKS_11static_fordINS_8SequenceIJLi1ELi8EEEENS5_IJLi0ELi1EEEEEclIZZZNKS_52BlockwiseGemmXdlops_pipeline_bpreshuffle_bdequant_v3ILNS_26BlockGemmPipelineSchedulerE0ELi256ENS_9f8_fnuz_tENS_7pk_i4_tESC_fNS_16TensorDescriptorINS_5TupleIJNS_5EmbedINSF_IJNS_17integral_constantIiLi8EEENSH_IiLi256EEENSH_IiLi16EEEEEENSF_IJSK_NSH_IiLi128EEENSH_IiLi1EEEEEELb0EEENS_3XorINSF_IJSJ_SI_EEELb1EEENS_11PassThroughISK_EENS_7UnMergeINSF_IJSI_SN_EEELb0EEENST_ISJ_EESU_NST_ISI_EENS_21Merge_v3_division_modINSF_IJSJ_SN_EEEEESU_EEENSF_IJNS5_IJLi0EEEENS5_IJLi2ELi1EEEENS5_IJLi3EEEENS5_IJLi5EEEENS5_IJLi4EEEENS5_IJLi6EEEENS5_IJLi7EEEENS5_IJLi9ELi8EEEENS5_IJLi10EEEEEEENSF_IJNS5_IJLi1ELi2ELi3EEEENS5_IJLi4ELi5EEEES19_NS5_IJLi7ELi8EEEENS5_IJLi9EEEES1C_NS5_IJLi11EEEENS5_IJLi12EEEENS5_IJLi13EEEEEEENS5_IJLi11ELi12ELi13EEEENSH_IlLl32768EEEEENSE_INSF_IJNSV_INSF_IJSI_SN_SN_NSH_IiLi32EEEEEELb0EEEEEENSF_IJS14_EEENSF_IJNS5_IJLi1ELi2ELi3ELi4EEEEEEES1U_NSH_IlLl256EEEEENSE_INSF_IJSP_SS_SU_SX_SY_SU_SZ_S12_SU_NS10_INSF_IJSI_SK_EEEEENSV_INSF_IJSI_NSH_IiLi2EEESK_EEELb0EEEEEENSF_IJS14_S15_S16_S17_S18_S19_S1A_S1B_S1C_NS5_IJLi11ELi13EEEES1J_EEENSF_IJS1E_S1F_S19_S1G_S1H_S1C_S1I_S1J_S1K_NS5_IJLi14EEEENS5_IJLi15ELi16ELi17EEEEEEENS5_IJLi15ELi16ELi17ELi14EEEES1N_EENSE_INSF_IJS1R_NS10_ISW_EES22_EEENSF_IJS14_NS5_IJLi1ELi3EEEENS5_IJLi2EEEEEEENSF_IJS1U_S17_NS5_IJLi6ELi7ELi8EEEEEEENS5_IJLi6ELi7ELi8ELi5EEEES1W_EELi16ELi32ELi256ELi256ELi128ELi16ELi16ELi8ELi8ELi32ELb0EE3RunILb1ELNS_10TailNumberE1ENSE_INSF_IJNSG_INSF_IJiiEEENSF_IJiSN_EEELb0EEENSV_IS2N_Lb0EEENST_IiEEEEENSF_IJS14_S2E_NS5_IJLi1EEEEEEENSF_IJNS5_IJLi1ELi2EEEENS5_IJLi3ELi4EEEES17_EEENS5_IJLi3ELi5ELi4EEEElEES1O_NS_35ThreadGroupTensorSliceTransfer_v4r1INS_15ThisThreadBlockILi256EEENS_16tensor_operation12element_wise11PassThroughES35_LNS_25InMemoryDataOperationEnumE0ENS5_IJLi8ELi256ELi16EEEENS5_IJLi8ELi32ELi1EEEENS5_IJLi1ELi0ELi2EEEESC_SC_RKS2Z_KS1O_S39_NS5_IJLi0ELi1ELi2EEEELi2ELi2ELi16ELi16ELi1ELi1ELb0ELb1ELi2EiEENS_13DynamicBufferILNS_16AddressSpaceEnumE1EKSC_lLb1ELNS_22AmdBufferCoherenceEnumE0EiEENSF_IJNS3F_ILS3G_2ESC_S1N_Lb1ELS3I_0EiEES3K_EEENSF_IJiiiEEENSE_INSF_IJNSG_INSF_IJiiiiEEENSF_IJiiiSN_EEELb0EEEEEES1T_S1V_S1U_lEENS_32ThreadwiseTensorSliceTransfer_v2ISD_SD_RKS3R_KS1X_NS5_IJLi8ELi1ELi1ELi32EEEENS5_IJLi1ELi2ELi0ELi3EEEELi3ELi32ELi0ELb1ELb0ELb0EEENS3F_ILS3G_1EKSD_lLb1ELS3I_0EiEENSF_IJNS_12StaticBufferILS3G_4ESD_Li256ELb1EEES42_EEES3N_NS_25StaticBufferTupleOfVectorILS3G_4EfLi64ELi4ELb1ELb0EEEEEvRKT1_RKT2_RT3_RKT4_RT5_RKT6_RKT7_RT8_RKT9_RT10_RKT11_RT12_iENKUlT_T0_E_clISN_NSH_IiLi0EEEEEDaS51_S52_ENKUlS51_E_clIS55_EEDaS51_EUlS51_E_EEvS51_EUlS51_E_EEvS51_
	.type	_ZNK2ck6detail7applierIiJLi0ELi1ELi2ELi3ELi4ELi5ELi6ELi7EEEclIZNKS_11static_fordINS_8SequenceIJLi1ELi8EEEENS5_IJLi0ELi1EEEEEclIZZZNKS_52BlockwiseGemmXdlops_pipeline_bpreshuffle_bdequant_v3ILNS_26BlockGemmPipelineSchedulerE0ELi256ENS_9f8_fnuz_tENS_7pk_i4_tESC_fNS_16TensorDescriptorINS_5TupleIJNS_5EmbedINSF_IJNS_17integral_constantIiLi8EEENSH_IiLi256EEENSH_IiLi16EEEEEENSF_IJSK_NSH_IiLi128EEENSH_IiLi1EEEEEELb0EEENS_3XorINSF_IJSJ_SI_EEELb1EEENS_11PassThroughISK_EENS_7UnMergeINSF_IJSI_SN_EEELb0EEENST_ISJ_EESU_NST_ISI_EENS_21Merge_v3_division_modINSF_IJSJ_SN_EEEEESU_EEENSF_IJNS5_IJLi0EEEENS5_IJLi2ELi1EEEENS5_IJLi3EEEENS5_IJLi5EEEENS5_IJLi4EEEENS5_IJLi6EEEENS5_IJLi7EEEENS5_IJLi9ELi8EEEENS5_IJLi10EEEEEEENSF_IJNS5_IJLi1ELi2ELi3EEEENS5_IJLi4ELi5EEEES19_NS5_IJLi7ELi8EEEENS5_IJLi9EEEES1C_NS5_IJLi11EEEENS5_IJLi12EEEENS5_IJLi13EEEEEEENS5_IJLi11ELi12ELi13EEEENSH_IlLl32768EEEEENSE_INSF_IJNSV_INSF_IJSI_SN_SN_NSH_IiLi32EEEEEELb0EEEEEENSF_IJS14_EEENSF_IJNS5_IJLi1ELi2ELi3ELi4EEEEEEES1U_NSH_IlLl256EEEEENSE_INSF_IJSP_SS_SU_SX_SY_SU_SZ_S12_SU_NS10_INSF_IJSI_SK_EEEEENSV_INSF_IJSI_NSH_IiLi2EEESK_EEELb0EEEEEENSF_IJS14_S15_S16_S17_S18_S19_S1A_S1B_S1C_NS5_IJLi11ELi13EEEES1J_EEENSF_IJS1E_S1F_S19_S1G_S1H_S1C_S1I_S1J_S1K_NS5_IJLi14EEEENS5_IJLi15ELi16ELi17EEEEEEENS5_IJLi15ELi16ELi17ELi14EEEES1N_EENSE_INSF_IJS1R_NS10_ISW_EES22_EEENSF_IJS14_NS5_IJLi1ELi3EEEENS5_IJLi2EEEEEEENSF_IJS1U_S17_NS5_IJLi6ELi7ELi8EEEEEEENS5_IJLi6ELi7ELi8ELi5EEEES1W_EELi16ELi32ELi256ELi256ELi128ELi16ELi16ELi8ELi8ELi32ELb0EE3RunILb1ELNS_10TailNumberE1ENSE_INSF_IJNSG_INSF_IJiiEEENSF_IJiSN_EEELb0EEENSV_IS2N_Lb0EEENST_IiEEEEENSF_IJS14_S2E_NS5_IJLi1EEEEEEENSF_IJNS5_IJLi1ELi2EEEENS5_IJLi3ELi4EEEES17_EEENS5_IJLi3ELi5ELi4EEEElEES1O_NS_35ThreadGroupTensorSliceTransfer_v4r1INS_15ThisThreadBlockILi256EEENS_16tensor_operation12element_wise11PassThroughES35_LNS_25InMemoryDataOperationEnumE0ENS5_IJLi8ELi256ELi16EEEENS5_IJLi8ELi32ELi1EEEENS5_IJLi1ELi0ELi2EEEESC_SC_RKS2Z_KS1O_S39_NS5_IJLi0ELi1ELi2EEEELi2ELi2ELi16ELi16ELi1ELi1ELb0ELb1ELi2EiEENS_13DynamicBufferILNS_16AddressSpaceEnumE1EKSC_lLb1ELNS_22AmdBufferCoherenceEnumE0EiEENSF_IJNS3F_ILS3G_2ESC_S1N_Lb1ELS3I_0EiEES3K_EEENSF_IJiiiEEENSE_INSF_IJNSG_INSF_IJiiiiEEENSF_IJiiiSN_EEELb0EEEEEES1T_S1V_S1U_lEENS_32ThreadwiseTensorSliceTransfer_v2ISD_SD_RKS3R_KS1X_NS5_IJLi8ELi1ELi1ELi32EEEENS5_IJLi1ELi2ELi0ELi3EEEELi3ELi32ELi0ELb1ELb0ELb0EEENS3F_ILS3G_1EKSD_lLb1ELS3I_0EiEENSF_IJNS_12StaticBufferILS3G_4ESD_Li256ELb1EEES42_EEES3N_NS_25StaticBufferTupleOfVectorILS3G_4EfLi64ELi4ELb1ELb0EEEEEvRKT1_RKT2_RT3_RKT4_RT5_RKT6_RKT7_RT8_RKT9_RT10_RKT11_RT12_iENKUlT_T0_E_clISN_NSH_IiLi0EEEEEDaS51_S52_ENKUlS51_E_clIS55_EEDaS51_EUlS51_E_EEvS51_EUlS51_E_EEvS51_,@function
_ZNK2ck6detail7applierIiJLi0ELi1ELi2ELi3ELi4ELi5ELi6ELi7EEEclIZNKS_11static_fordINS_8SequenceIJLi1ELi8EEEENS5_IJLi0ELi1EEEEEclIZZZNKS_52BlockwiseGemmXdlops_pipeline_bpreshuffle_bdequant_v3ILNS_26BlockGemmPipelineSchedulerE0ELi256ENS_9f8_fnuz_tENS_7pk_i4_tESC_fNS_16TensorDescriptorINS_5TupleIJNS_5EmbedINSF_IJNS_17integral_constantIiLi8EEENSH_IiLi256EEENSH_IiLi16EEEEEENSF_IJSK_NSH_IiLi128EEENSH_IiLi1EEEEEELb0EEENS_3XorINSF_IJSJ_SI_EEELb1EEENS_11PassThroughISK_EENS_7UnMergeINSF_IJSI_SN_EEELb0EEENST_ISJ_EESU_NST_ISI_EENS_21Merge_v3_division_modINSF_IJSJ_SN_EEEEESU_EEENSF_IJNS5_IJLi0EEEENS5_IJLi2ELi1EEEENS5_IJLi3EEEENS5_IJLi5EEEENS5_IJLi4EEEENS5_IJLi6EEEENS5_IJLi7EEEENS5_IJLi9ELi8EEEENS5_IJLi10EEEEEEENSF_IJNS5_IJLi1ELi2ELi3EEEENS5_IJLi4ELi5EEEES19_NS5_IJLi7ELi8EEEENS5_IJLi9EEEES1C_NS5_IJLi11EEEENS5_IJLi12EEEENS5_IJLi13EEEEEEENS5_IJLi11ELi12ELi13EEEENSH_IlLl32768EEEEENSE_INSF_IJNSV_INSF_IJSI_SN_SN_NSH_IiLi32EEEEEELb0EEEEEENSF_IJS14_EEENSF_IJNS5_IJLi1ELi2ELi3ELi4EEEEEEES1U_NSH_IlLl256EEEEENSE_INSF_IJSP_SS_SU_SX_SY_SU_SZ_S12_SU_NS10_INSF_IJSI_SK_EEEEENSV_INSF_IJSI_NSH_IiLi2EEESK_EEELb0EEEEEENSF_IJS14_S15_S16_S17_S18_S19_S1A_S1B_S1C_NS5_IJLi11ELi13EEEES1J_EEENSF_IJS1E_S1F_S19_S1G_S1H_S1C_S1I_S1J_S1K_NS5_IJLi14EEEENS5_IJLi15ELi16ELi17EEEEEEENS5_IJLi15ELi16ELi17ELi14EEEES1N_EENSE_INSF_IJS1R_NS10_ISW_EES22_EEENSF_IJS14_NS5_IJLi1ELi3EEEENS5_IJLi2EEEEEEENSF_IJS1U_S17_NS5_IJLi6ELi7ELi8EEEEEEENS5_IJLi6ELi7ELi8ELi5EEEES1W_EELi16ELi32ELi256ELi256ELi128ELi16ELi16ELi8ELi8ELi32ELb0EE3RunILb1ELNS_10TailNumberE1ENSE_INSF_IJNSG_INSF_IJiiEEENSF_IJiSN_EEELb0EEENSV_IS2N_Lb0EEENST_IiEEEEENSF_IJS14_S2E_NS5_IJLi1EEEEEEENSF_IJNS5_IJLi1ELi2EEEENS5_IJLi3ELi4EEEES17_EEENS5_IJLi3ELi5ELi4EEEElEES1O_NS_35ThreadGroupTensorSliceTransfer_v4r1INS_15ThisThreadBlockILi256EEENS_16tensor_operation12element_wise11PassThroughES35_LNS_25InMemoryDataOperationEnumE0ENS5_IJLi8ELi256ELi16EEEENS5_IJLi8ELi32ELi1EEEENS5_IJLi1ELi0ELi2EEEESC_SC_RKS2Z_KS1O_S39_NS5_IJLi0ELi1ELi2EEEELi2ELi2ELi16ELi16ELi1ELi1ELb0ELb1ELi2EiEENS_13DynamicBufferILNS_16AddressSpaceEnumE1EKSC_lLb1ELNS_22AmdBufferCoherenceEnumE0EiEENSF_IJNS3F_ILS3G_2ESC_S1N_Lb1ELS3I_0EiEES3K_EEENSF_IJiiiEEENSE_INSF_IJNSG_INSF_IJiiiiEEENSF_IJiiiSN_EEELb0EEEEEES1T_S1V_S1U_lEENS_32ThreadwiseTensorSliceTransfer_v2ISD_SD_RKS3R_KS1X_NS5_IJLi8ELi1ELi1ELi32EEEENS5_IJLi1ELi2ELi0ELi3EEEELi3ELi32ELi0ELb1ELb0ELb0EEENS3F_ILS3G_1EKSD_lLb1ELS3I_0EiEENSF_IJNS_12StaticBufferILS3G_4ESD_Li256ELb1EEES42_EEES3N_NS_25StaticBufferTupleOfVectorILS3G_4EfLi64ELi4ELb1ELb0EEEEEvRKT1_RKT2_RT3_RKT4_RT5_RKT6_RKT7_RT8_RKT9_RT10_RKT11_RT12_iENKUlT_T0_E_clISN_NSH_IiLi0EEEEEDaS51_S52_ENKUlS51_E_clIS55_EEDaS51_EUlS51_E_EEvS51_EUlS51_E_EEvS51_: ; @_ZNK2ck6detail7applierIiJLi0ELi1ELi2ELi3ELi4ELi5ELi6ELi7EEEclIZNKS_11static_fordINS_8SequenceIJLi1ELi8EEEENS5_IJLi0ELi1EEEEEclIZZZNKS_52BlockwiseGemmXdlops_pipeline_bpreshuffle_bdequant_v3ILNS_26BlockGemmPipelineSchedulerE0ELi256ENS_9f8_fnuz_tENS_7pk_i4_tESC_fNS_16TensorDescriptorINS_5TupleIJNS_5EmbedINSF_IJNS_17integral_constantIiLi8EEENSH_IiLi256EEENSH_IiLi16EEEEEENSF_IJSK_NSH_IiLi128EEENSH_IiLi1EEEEEELb0EEENS_3XorINSF_IJSJ_SI_EEELb1EEENS_11PassThroughISK_EENS_7UnMergeINSF_IJSI_SN_EEELb0EEENST_ISJ_EESU_NST_ISI_EENS_21Merge_v3_division_modINSF_IJSJ_SN_EEEEESU_EEENSF_IJNS5_IJLi0EEEENS5_IJLi2ELi1EEEENS5_IJLi3EEEENS5_IJLi5EEEENS5_IJLi4EEEENS5_IJLi6EEEENS5_IJLi7EEEENS5_IJLi9ELi8EEEENS5_IJLi10EEEEEEENSF_IJNS5_IJLi1ELi2ELi3EEEENS5_IJLi4ELi5EEEES19_NS5_IJLi7ELi8EEEENS5_IJLi9EEEES1C_NS5_IJLi11EEEENS5_IJLi12EEEENS5_IJLi13EEEEEEENS5_IJLi11ELi12ELi13EEEENSH_IlLl32768EEEEENSE_INSF_IJNSV_INSF_IJSI_SN_SN_NSH_IiLi32EEEEEELb0EEEEEENSF_IJS14_EEENSF_IJNS5_IJLi1ELi2ELi3ELi4EEEEEEES1U_NSH_IlLl256EEEEENSE_INSF_IJSP_SS_SU_SX_SY_SU_SZ_S12_SU_NS10_INSF_IJSI_SK_EEEEENSV_INSF_IJSI_NSH_IiLi2EEESK_EEELb0EEEEEENSF_IJS14_S15_S16_S17_S18_S19_S1A_S1B_S1C_NS5_IJLi11ELi13EEEES1J_EEENSF_IJS1E_S1F_S19_S1G_S1H_S1C_S1I_S1J_S1K_NS5_IJLi14EEEENS5_IJLi15ELi16ELi17EEEEEEENS5_IJLi15ELi16ELi17ELi14EEEES1N_EENSE_INSF_IJS1R_NS10_ISW_EES22_EEENSF_IJS14_NS5_IJLi1ELi3EEEENS5_IJLi2EEEEEEENSF_IJS1U_S17_NS5_IJLi6ELi7ELi8EEEEEEENS5_IJLi6ELi7ELi8ELi5EEEES1W_EELi16ELi32ELi256ELi256ELi128ELi16ELi16ELi8ELi8ELi32ELb0EE3RunILb1ELNS_10TailNumberE1ENSE_INSF_IJNSG_INSF_IJiiEEENSF_IJiSN_EEELb0EEENSV_IS2N_Lb0EEENST_IiEEEEENSF_IJS14_S2E_NS5_IJLi1EEEEEEENSF_IJNS5_IJLi1ELi2EEEENS5_IJLi3ELi4EEEES17_EEENS5_IJLi3ELi5ELi4EEEElEES1O_NS_35ThreadGroupTensorSliceTransfer_v4r1INS_15ThisThreadBlockILi256EEENS_16tensor_operation12element_wise11PassThroughES35_LNS_25InMemoryDataOperationEnumE0ENS5_IJLi8ELi256ELi16EEEENS5_IJLi8ELi32ELi1EEEENS5_IJLi1ELi0ELi2EEEESC_SC_RKS2Z_KS1O_S39_NS5_IJLi0ELi1ELi2EEEELi2ELi2ELi16ELi16ELi1ELi1ELb0ELb1ELi2EiEENS_13DynamicBufferILNS_16AddressSpaceEnumE1EKSC_lLb1ELNS_22AmdBufferCoherenceEnumE0EiEENSF_IJNS3F_ILS3G_2ESC_S1N_Lb1ELS3I_0EiEES3K_EEENSF_IJiiiEEENSE_INSF_IJNSG_INSF_IJiiiiEEENSF_IJiiiSN_EEELb0EEEEEES1T_S1V_S1U_lEENS_32ThreadwiseTensorSliceTransfer_v2ISD_SD_RKS3R_KS1X_NS5_IJLi8ELi1ELi1ELi32EEEENS5_IJLi1ELi2ELi0ELi3EEEELi3ELi32ELi0ELb1ELb0ELb0EEENS3F_ILS3G_1EKSD_lLb1ELS3I_0EiEENSF_IJNS_12StaticBufferILS3G_4ESD_Li256ELb1EEES42_EEES3N_NS_25StaticBufferTupleOfVectorILS3G_4EfLi64ELi4ELb1ELb0EEEEEvRKT1_RKT2_RT3_RKT4_RT5_RKT6_RKT7_RT8_RKT9_RT10_RKT11_RT12_iENKUlT_T0_E_clISN_NSH_IiLi0EEEEEDaS51_S52_ENKUlS51_E_clIS55_EEDaS51_EUlS51_E_EEvS51_EUlS51_E_EEvS51_
; %bb.0:
	s_waitcnt vmcnt(0) expcnt(0) lgkmcnt(0)
	flat_load_dwordx4 v[20:23], v[0:1] offset:16
	flat_load_dwordx2 v[18:19], v[0:1] offset:32
	s_movk_i32 s4, 0x7f
                                        ; implicit-def: $sgpr10
	s_waitcnt vmcnt(0) lgkmcnt(0)
	flat_load_dwordx4 v[14:17], v[20:21]
	flat_load_dwordx4 v[6:9], v[20:21] offset:16
	flat_load_dwordx4 v[10:13], v[22:23] offset:256
	;; [unrolled: 1-line block ×3, first 2 shown]
	s_waitcnt vmcnt(0) lgkmcnt(0)
	v_cmp_gt_i16_sdwa s[6:7], v14, s4 src0_sel:BYTE_0 src1_sel:DWORD
	s_mov_b64 s[4:5], 0
	s_and_saveexec_b64 s[8:9], s[6:7]
	s_xor_b64 s[6:7], exec, s[8:9]
	s_cbranch_execnz .LBB36_2049
; %bb.1:
	s_or_saveexec_b64 s[6:7], s[6:7]
	v_mov_b32_e32 v20, s10
	s_xor_b64 exec, exec, s[6:7]
	s_cbranch_execnz .LBB36_2052
.LBB36_2:
	s_or_b64 exec, exec, s[6:7]
	s_and_saveexec_b64 s[6:7], s[4:5]
	s_cbranch_execz .LBB36_4
.LBB36_3:
	v_and_b32_e32 v20, 7, v14
	v_ffbh_u32_e32 v22, v20
	v_min_u32_e32 v22, 32, v22
	v_lshrrev_b16_e32 v21, 3, v14
	v_subrev_u32_e32 v23, 28, v22
	v_and_b32_e32 v21, 15, v21
	v_lshlrev_b32_e32 v23, v23, v14
	v_sub_u32_e32 v22, 29, v22
	v_and_b32_e32 v23, 7, v23
	v_cmp_eq_u16_e32 vcc, 0, v21
	v_cndmask_b32_e32 v20, v20, v23, vcc
	v_cndmask_b32_e32 v21, v21, v22, vcc
	v_lshlrev_b32_e32 v22, 24, v14
	v_mov_b32_e32 v23, 0x3b800000
	v_lshlrev_b32_e32 v20, 20, v20
	v_and_b32_e32 v22, 0x80000000, v22
	v_lshl_add_u32 v21, v21, 23, v23
	v_or3_b32 v20, v22, v21, v20
.LBB36_4:
	s_or_b64 exec, exec, s[6:7]
	s_movk_i32 s4, 0x7f
	v_cmp_gt_i16_sdwa s[6:7], v10, s4 src0_sel:BYTE_0 src1_sel:DWORD
	s_mov_b64 s[4:5], 0
                                        ; implicit-def: $sgpr10
	s_and_saveexec_b64 s[8:9], s[6:7]
	s_xor_b64 s[6:7], exec, s[8:9]
	s_cbranch_execnz .LBB36_2053
; %bb.5:
	s_or_saveexec_b64 s[6:7], s[6:7]
	v_mov_b32_e32 v21, s10
	s_xor_b64 exec, exec, s[6:7]
	s_cbranch_execnz .LBB36_2056
.LBB36_6:
	s_or_b64 exec, exec, s[6:7]
	s_and_saveexec_b64 s[6:7], s[4:5]
	s_cbranch_execz .LBB36_8
.LBB36_7:
	v_and_b32_e32 v21, 7, v10
	v_ffbh_u32_e32 v23, v21
	v_min_u32_e32 v23, 32, v23
	v_lshrrev_b16_e32 v22, 3, v10
	v_subrev_u32_e32 v24, 28, v23
	v_and_b32_e32 v22, 15, v22
	v_lshlrev_b32_e32 v24, v24, v10
	v_sub_u32_e32 v23, 29, v23
	v_and_b32_e32 v24, 7, v24
	v_cmp_eq_u16_e32 vcc, 0, v22
	v_cndmask_b32_e32 v21, v21, v24, vcc
	v_cndmask_b32_e32 v22, v22, v23, vcc
	v_lshlrev_b32_e32 v23, 24, v10
	v_mov_b32_e32 v24, 0x3b800000
	v_lshlrev_b32_e32 v21, 20, v21
	v_and_b32_e32 v23, 0x80000000, v23
	v_lshl_add_u32 v22, v22, 23, v24
	v_or3_b32 v21, v23, v22, v21
.LBB36_8:
	s_or_b64 exec, exec, s[6:7]
	flat_load_dwordx4 a[0:3], v[18:19]
	s_movk_i32 s4, 0x7f
                                        ; implicit-def: $sgpr10
	s_waitcnt vmcnt(0) lgkmcnt(0)
	v_mfma_f32_16x16x4f32 a[0:3], v20, v21, a[0:3]
	v_lshrrev_b32_e32 v21, 8, v14
	v_cmp_gt_i16_sdwa s[6:7], v21, s4 src0_sel:BYTE_0 src1_sel:DWORD
	s_mov_b64 s[4:5], 0
	s_and_saveexec_b64 s[8:9], s[6:7]
	s_xor_b64 s[6:7], exec, s[8:9]
	s_cbranch_execnz .LBB36_2057
; %bb.9:
	s_or_saveexec_b64 s[6:7], s[6:7]
	v_mov_b32_e32 v20, s10
	s_xor_b64 exec, exec, s[6:7]
	s_cbranch_execnz .LBB36_2060
.LBB36_10:
	s_or_b64 exec, exec, s[6:7]
	s_and_saveexec_b64 s[6:7], s[4:5]
	s_cbranch_execz .LBB36_12
.LBB36_11:
	v_bfe_u32 v20, v14, 8, 3
	v_ffbh_u32_e32 v23, v20
	v_min_u32_e32 v23, 32, v23
	v_lshrrev_b16_e32 v22, 3, v21
	v_subrev_u32_e32 v24, 28, v23
	v_and_b32_e32 v22, 15, v22
	v_lshlrev_b32_e32 v21, v24, v21
	v_sub_u32_e32 v23, 29, v23
	v_and_b32_e32 v21, 7, v21
	v_cmp_eq_u16_e32 vcc, 0, v22
	v_cndmask_b32_e32 v20, v20, v21, vcc
	v_cndmask_b32_e32 v21, v22, v23, vcc
	v_lshlrev_b32_e32 v22, 16, v14
	v_mov_b32_e32 v23, 0x3b800000
	v_lshlrev_b32_e32 v20, 20, v20
	v_and_b32_e32 v22, 0x80000000, v22
	v_lshl_add_u32 v21, v21, 23, v23
	v_or3_b32 v20, v22, v21, v20
.LBB36_12:
	s_or_b64 exec, exec, s[6:7]
	v_lshrrev_b32_e32 v21, 8, v10
	s_movk_i32 s4, 0x7f
	v_cmp_gt_i16_sdwa s[6:7], v21, s4 src0_sel:BYTE_0 src1_sel:DWORD
	s_mov_b64 s[4:5], 0
                                        ; implicit-def: $sgpr10
	s_and_saveexec_b64 s[8:9], s[6:7]
	s_xor_b64 s[6:7], exec, s[8:9]
	s_cbranch_execnz .LBB36_2061
; %bb.13:
	s_or_saveexec_b64 s[6:7], s[6:7]
	v_mov_b32_e32 v22, s10
	s_xor_b64 exec, exec, s[6:7]
	s_cbranch_execnz .LBB36_2064
.LBB36_14:
	s_or_b64 exec, exec, s[6:7]
	s_and_saveexec_b64 s[6:7], s[4:5]
	s_cbranch_execz .LBB36_16
.LBB36_15:
	v_bfe_u32 v22, v10, 8, 3
	v_ffbh_u32_e32 v24, v22
	v_min_u32_e32 v24, 32, v24
	v_lshrrev_b16_e32 v23, 3, v21
	v_subrev_u32_e32 v25, 28, v24
	v_and_b32_e32 v23, 15, v23
	v_lshlrev_b32_e32 v21, v25, v21
	v_sub_u32_e32 v24, 29, v24
	v_and_b32_e32 v21, 7, v21
	v_cmp_eq_u16_e32 vcc, 0, v23
	v_cndmask_b32_e32 v21, v22, v21, vcc
	v_cndmask_b32_e32 v22, v23, v24, vcc
	v_lshlrev_b32_e32 v23, 16, v10
	v_mov_b32_e32 v24, 0x3b800000
	v_lshlrev_b32_e32 v21, 20, v21
	v_and_b32_e32 v23, 0x80000000, v23
	v_lshl_add_u32 v22, v22, 23, v24
	v_or3_b32 v22, v23, v22, v21
.LBB36_16:
	s_or_b64 exec, exec, s[6:7]
	s_nop 0
	v_mfma_f32_16x16x4f32 a[0:3], v20, v22, a[0:3]
	s_movk_i32 s4, 0xff
	v_and_b32_sdwa v21, v14, s4 dst_sel:DWORD dst_unused:UNUSED_PAD src0_sel:WORD_1 src1_sel:DWORD
	s_movk_i32 s4, 0x7f
	v_cmp_lt_i16_e32 vcc, s4, v21
	s_mov_b64 s[4:5], 0
                                        ; implicit-def: $sgpr10
	s_and_saveexec_b64 s[6:7], vcc
	s_xor_b64 s[6:7], exec, s[6:7]
	s_cbranch_execnz .LBB36_2065
; %bb.17:
	s_or_saveexec_b64 s[6:7], s[6:7]
	v_mov_b32_e32 v20, s10
	s_xor_b64 exec, exec, s[6:7]
	s_cbranch_execnz .LBB36_2068
.LBB36_18:
	s_or_b64 exec, exec, s[6:7]
	s_and_saveexec_b64 s[6:7], s[4:5]
	s_cbranch_execz .LBB36_20
.LBB36_19:
	v_bfe_u32 v20, v14, 16, 3
	v_ffbh_u32_e32 v23, v20
	v_min_u32_e32 v23, 32, v23
	v_lshrrev_b32_e32 v21, 19, v14
	v_subrev_u32_e32 v24, 28, v23
	v_and_b32_e32 v21, 15, v21
	v_lshlrev_b32_sdwa v24, v24, v14 dst_sel:DWORD dst_unused:UNUSED_PAD src0_sel:DWORD src1_sel:WORD_1
	v_bfe_u32 v22, v14, 19, 4
	v_sub_u32_e32 v23, 29, v23
	v_and_b32_e32 v24, 7, v24
	v_cmp_eq_u16_e32 vcc, 0, v21
	v_cndmask_b32_e32 v20, v20, v24, vcc
	v_cndmask_b32_e32 v21, v22, v23, vcc
	v_lshlrev_b32_e32 v22, 8, v14
	v_mov_b32_e32 v23, 0x3b800000
	v_lshlrev_b32_e32 v20, 20, v20
	v_and_b32_e32 v22, 0x80000000, v22
	v_lshl_add_u32 v21, v21, 23, v23
	v_or3_b32 v20, v22, v21, v20
.LBB36_20:
	s_or_b64 exec, exec, s[6:7]
	s_movk_i32 s4, 0xff
	v_and_b32_sdwa v21, v10, s4 dst_sel:DWORD dst_unused:UNUSED_PAD src0_sel:WORD_1 src1_sel:DWORD
	s_movk_i32 s4, 0x7f
	v_cmp_lt_i16_e32 vcc, s4, v21
	s_mov_b64 s[4:5], 0
                                        ; implicit-def: $sgpr10
	s_and_saveexec_b64 s[6:7], vcc
	s_xor_b64 s[6:7], exec, s[6:7]
	s_cbranch_execnz .LBB36_2069
; %bb.21:
	s_or_saveexec_b64 s[6:7], s[6:7]
	v_mov_b32_e32 v22, s10
	s_xor_b64 exec, exec, s[6:7]
	s_cbranch_execnz .LBB36_2072
.LBB36_22:
	s_or_b64 exec, exec, s[6:7]
	s_and_saveexec_b64 s[6:7], s[4:5]
	s_cbranch_execz .LBB36_24
.LBB36_23:
	v_bfe_u32 v21, v10, 16, 3
	v_ffbh_u32_e32 v24, v21
	v_min_u32_e32 v24, 32, v24
	v_lshrrev_b32_e32 v22, 19, v10
	v_subrev_u32_e32 v25, 28, v24
	v_and_b32_e32 v22, 15, v22
	v_lshlrev_b32_sdwa v25, v25, v10 dst_sel:DWORD dst_unused:UNUSED_PAD src0_sel:DWORD src1_sel:WORD_1
	v_bfe_u32 v23, v10, 19, 4
	v_sub_u32_e32 v24, 29, v24
	v_and_b32_e32 v25, 7, v25
	v_cmp_eq_u16_e32 vcc, 0, v22
	v_cndmask_b32_e32 v21, v21, v25, vcc
	v_cndmask_b32_e32 v22, v23, v24, vcc
	v_lshlrev_b32_e32 v23, 8, v10
	v_mov_b32_e32 v24, 0x3b800000
	v_lshlrev_b32_e32 v21, 20, v21
	v_and_b32_e32 v23, 0x80000000, v23
	v_lshl_add_u32 v22, v22, 23, v24
	v_or3_b32 v22, v23, v22, v21
.LBB36_24:
	s_or_b64 exec, exec, s[6:7]
	s_nop 0
	v_mfma_f32_16x16x4f32 a[0:3], v20, v22, a[0:3]
	s_movk_i32 s4, 0x7f
	v_cmp_gt_i16_sdwa s[6:7], v14, s4 src0_sel:BYTE_3 src1_sel:DWORD
	s_mov_b64 s[4:5], 0
                                        ; implicit-def: $sgpr10
	s_and_saveexec_b64 s[8:9], s[6:7]
	s_xor_b64 s[6:7], exec, s[8:9]
	s_cbranch_execnz .LBB36_2073
; %bb.25:
	s_or_saveexec_b64 s[6:7], s[6:7]
	v_mov_b32_e32 v20, s10
	s_xor_b64 exec, exec, s[6:7]
	s_cbranch_execnz .LBB36_2076
.LBB36_26:
	s_or_b64 exec, exec, s[6:7]
	s_and_saveexec_b64 s[6:7], s[4:5]
	s_cbranch_execz .LBB36_28
.LBB36_27:
	v_bfe_u32 v20, v14, 24, 3
	v_ffbh_u32_e32 v24, v20
	v_min_u32_e32 v24, 32, v24
	v_lshrrev_b32_e32 v22, 27, v14
	v_subrev_u32_e32 v25, 28, v24
	v_and_b32_e32 v21, 0x80000000, v14
	v_and_b32_e32 v22, 15, v22
	v_bfe_u32 v23, v14, 27, 4
	v_lshlrev_b32_sdwa v14, v25, v14 dst_sel:DWORD dst_unused:UNUSED_PAD src0_sel:DWORD src1_sel:BYTE_3
	v_sub_u32_e32 v24, 29, v24
	v_and_b32_e32 v14, 7, v14
	v_cmp_eq_u16_e32 vcc, 0, v22
	v_cndmask_b32_e32 v14, v20, v14, vcc
	v_cndmask_b32_e32 v20, v23, v24, vcc
	v_mov_b32_e32 v22, 0x3b800000
	v_lshlrev_b32_e32 v14, 20, v14
	v_lshl_add_u32 v20, v20, 23, v22
	v_or3_b32 v20, v21, v20, v14
.LBB36_28:
	s_or_b64 exec, exec, s[6:7]
	s_movk_i32 s4, 0x7f
	v_cmp_gt_i16_sdwa s[6:7], v10, s4 src0_sel:BYTE_3 src1_sel:DWORD
	s_mov_b64 s[4:5], 0
                                        ; implicit-def: $sgpr10
	s_and_saveexec_b64 s[8:9], s[6:7]
	s_xor_b64 s[6:7], exec, s[8:9]
	s_cbranch_execnz .LBB36_2077
; %bb.29:
	s_or_saveexec_b64 s[6:7], s[6:7]
	v_mov_b32_e32 v14, s10
	s_xor_b64 exec, exec, s[6:7]
	s_cbranch_execnz .LBB36_2080
.LBB36_30:
	s_or_b64 exec, exec, s[6:7]
	s_and_saveexec_b64 s[6:7], s[4:5]
	s_cbranch_execz .LBB36_32
.LBB36_31:
	v_bfe_u32 v14, v10, 24, 3
	v_ffbh_u32_e32 v24, v14
	v_min_u32_e32 v24, 32, v24
	v_lshrrev_b32_e32 v22, 27, v10
	v_subrev_u32_e32 v25, 28, v24
	v_and_b32_e32 v21, 0x80000000, v10
	v_and_b32_e32 v22, 15, v22
	v_bfe_u32 v23, v10, 27, 4
	v_lshlrev_b32_sdwa v10, v25, v10 dst_sel:DWORD dst_unused:UNUSED_PAD src0_sel:DWORD src1_sel:BYTE_3
	v_sub_u32_e32 v24, 29, v24
	v_and_b32_e32 v10, 7, v10
	v_cmp_eq_u16_e32 vcc, 0, v22
	v_cndmask_b32_e32 v10, v14, v10, vcc
	v_cndmask_b32_e32 v14, v23, v24, vcc
	v_mov_b32_e32 v22, 0x3b800000
	v_lshlrev_b32_e32 v10, 20, v10
	v_lshl_add_u32 v14, v14, 23, v22
	v_or3_b32 v14, v21, v14, v10
.LBB36_32:
	s_or_b64 exec, exec, s[6:7]
	s_nop 0
	v_mfma_f32_16x16x4f32 a[0:3], v20, v14, a[0:3]
	s_movk_i32 s4, 0x7f
	v_cmp_gt_i16_sdwa s[6:7], v15, s4 src0_sel:BYTE_0 src1_sel:DWORD
	s_mov_b64 s[4:5], 0
                                        ; implicit-def: $sgpr10
	s_and_saveexec_b64 s[8:9], s[6:7]
	s_xor_b64 s[6:7], exec, s[8:9]
	s_cbranch_execnz .LBB36_2081
; %bb.33:
	s_or_saveexec_b64 s[6:7], s[6:7]
	v_mov_b32_e32 v10, s10
	s_xor_b64 exec, exec, s[6:7]
	s_cbranch_execnz .LBB36_2084
.LBB36_34:
	s_or_b64 exec, exec, s[6:7]
	s_and_saveexec_b64 s[6:7], s[4:5]
	s_cbranch_execz .LBB36_36
.LBB36_35:
	v_and_b32_e32 v10, 7, v15
	v_ffbh_u32_e32 v20, v10
	v_min_u32_e32 v20, 32, v20
	v_lshrrev_b16_e32 v14, 3, v15
	v_subrev_u32_e32 v21, 28, v20
	v_and_b32_e32 v14, 15, v14
	v_lshlrev_b32_e32 v21, v21, v15
	v_sub_u32_e32 v20, 29, v20
	v_and_b32_e32 v21, 7, v21
	v_cmp_eq_u16_e32 vcc, 0, v14
	v_cndmask_b32_e32 v10, v10, v21, vcc
	v_cndmask_b32_e32 v14, v14, v20, vcc
	v_lshlrev_b32_e32 v20, 24, v15
	v_mov_b32_e32 v21, 0x3b800000
	v_lshlrev_b32_e32 v10, 20, v10
	v_and_b32_e32 v20, 0x80000000, v20
	v_lshl_add_u32 v14, v14, 23, v21
	v_or3_b32 v10, v20, v14, v10
.LBB36_36:
	s_or_b64 exec, exec, s[6:7]
	s_movk_i32 s4, 0x7f
	v_cmp_gt_i16_sdwa s[6:7], v11, s4 src0_sel:BYTE_0 src1_sel:DWORD
	s_mov_b64 s[4:5], 0
                                        ; implicit-def: $sgpr10
	s_and_saveexec_b64 s[8:9], s[6:7]
	s_xor_b64 s[6:7], exec, s[8:9]
	s_cbranch_execnz .LBB36_2085
; %bb.37:
	s_or_saveexec_b64 s[6:7], s[6:7]
	v_mov_b32_e32 v14, s10
	s_xor_b64 exec, exec, s[6:7]
	s_cbranch_execnz .LBB36_2088
.LBB36_38:
	s_or_b64 exec, exec, s[6:7]
	s_and_saveexec_b64 s[6:7], s[4:5]
	s_cbranch_execz .LBB36_40
.LBB36_39:
	v_and_b32_e32 v14, 7, v11
	v_ffbh_u32_e32 v21, v14
	v_min_u32_e32 v21, 32, v21
	v_lshrrev_b16_e32 v20, 3, v11
	v_subrev_u32_e32 v22, 28, v21
	v_and_b32_e32 v20, 15, v20
	v_lshlrev_b32_e32 v22, v22, v11
	v_sub_u32_e32 v21, 29, v21
	v_and_b32_e32 v22, 7, v22
	v_cmp_eq_u16_e32 vcc, 0, v20
	v_cndmask_b32_e32 v14, v14, v22, vcc
	v_cndmask_b32_e32 v20, v20, v21, vcc
	v_lshlrev_b32_e32 v21, 24, v11
	v_mov_b32_e32 v22, 0x3b800000
	v_lshlrev_b32_e32 v14, 20, v14
	v_and_b32_e32 v21, 0x80000000, v21
	v_lshl_add_u32 v20, v20, 23, v22
	v_or3_b32 v14, v21, v20, v14
.LBB36_40:
	s_or_b64 exec, exec, s[6:7]
	s_nop 0
	v_mfma_f32_16x16x4f32 a[0:3], v10, v14, a[0:3]
	v_lshrrev_b32_e32 v14, 8, v15
	s_movk_i32 s4, 0x7f
	v_cmp_gt_i16_sdwa s[6:7], v14, s4 src0_sel:BYTE_0 src1_sel:DWORD
	s_mov_b64 s[4:5], 0
                                        ; implicit-def: $sgpr10
	s_and_saveexec_b64 s[8:9], s[6:7]
	s_xor_b64 s[6:7], exec, s[8:9]
	s_cbranch_execnz .LBB36_2089
; %bb.41:
	s_or_saveexec_b64 s[6:7], s[6:7]
	v_mov_b32_e32 v10, s10
	s_xor_b64 exec, exec, s[6:7]
	s_cbranch_execnz .LBB36_2092
.LBB36_42:
	s_or_b64 exec, exec, s[6:7]
	s_and_saveexec_b64 s[6:7], s[4:5]
	s_cbranch_execz .LBB36_44
.LBB36_43:
	v_bfe_u32 v10, v15, 8, 3
	v_ffbh_u32_e32 v21, v10
	v_min_u32_e32 v21, 32, v21
	v_lshrrev_b16_e32 v20, 3, v14
	v_subrev_u32_e32 v22, 28, v21
	v_and_b32_e32 v20, 15, v20
	v_lshlrev_b32_e32 v14, v22, v14
	v_sub_u32_e32 v21, 29, v21
	v_and_b32_e32 v14, 7, v14
	v_cmp_eq_u16_e32 vcc, 0, v20
	v_cndmask_b32_e32 v10, v10, v14, vcc
	v_cndmask_b32_e32 v14, v20, v21, vcc
	v_lshlrev_b32_e32 v20, 16, v15
	v_mov_b32_e32 v21, 0x3b800000
	v_lshlrev_b32_e32 v10, 20, v10
	v_and_b32_e32 v20, 0x80000000, v20
	v_lshl_add_u32 v14, v14, 23, v21
	v_or3_b32 v10, v20, v14, v10
.LBB36_44:
	s_or_b64 exec, exec, s[6:7]
	v_lshrrev_b32_e32 v14, 8, v11
	s_movk_i32 s4, 0x7f
	v_cmp_gt_i16_sdwa s[6:7], v14, s4 src0_sel:BYTE_0 src1_sel:DWORD
	s_mov_b64 s[4:5], 0
                                        ; implicit-def: $sgpr10
	s_and_saveexec_b64 s[8:9], s[6:7]
	s_xor_b64 s[6:7], exec, s[8:9]
	s_cbranch_execnz .LBB36_2093
; %bb.45:
	s_or_saveexec_b64 s[6:7], s[6:7]
	v_mov_b32_e32 v20, s10
	s_xor_b64 exec, exec, s[6:7]
	s_cbranch_execnz .LBB36_2096
.LBB36_46:
	s_or_b64 exec, exec, s[6:7]
	s_and_saveexec_b64 s[6:7], s[4:5]
	s_cbranch_execz .LBB36_48
.LBB36_47:
	v_bfe_u32 v20, v11, 8, 3
	v_ffbh_u32_e32 v22, v20
	v_min_u32_e32 v22, 32, v22
	v_lshrrev_b16_e32 v21, 3, v14
	v_subrev_u32_e32 v23, 28, v22
	v_and_b32_e32 v21, 15, v21
	v_lshlrev_b32_e32 v14, v23, v14
	v_sub_u32_e32 v22, 29, v22
	v_and_b32_e32 v14, 7, v14
	v_cmp_eq_u16_e32 vcc, 0, v21
	v_cndmask_b32_e32 v14, v20, v14, vcc
	v_cndmask_b32_e32 v20, v21, v22, vcc
	v_lshlrev_b32_e32 v21, 16, v11
	v_mov_b32_e32 v22, 0x3b800000
	v_lshlrev_b32_e32 v14, 20, v14
	v_and_b32_e32 v21, 0x80000000, v21
	v_lshl_add_u32 v20, v20, 23, v22
	v_or3_b32 v20, v21, v20, v14
.LBB36_48:
	s_or_b64 exec, exec, s[6:7]
	s_nop 0
	v_mfma_f32_16x16x4f32 a[0:3], v10, v20, a[0:3]
	s_movk_i32 s4, 0xff
	v_and_b32_sdwa v14, v15, s4 dst_sel:DWORD dst_unused:UNUSED_PAD src0_sel:WORD_1 src1_sel:DWORD
	s_movk_i32 s4, 0x7f
	v_cmp_lt_i16_e32 vcc, s4, v14
	s_mov_b64 s[4:5], 0
                                        ; implicit-def: $sgpr10
	s_and_saveexec_b64 s[6:7], vcc
	s_xor_b64 s[6:7], exec, s[6:7]
	s_cbranch_execnz .LBB36_2097
; %bb.49:
	s_or_saveexec_b64 s[6:7], s[6:7]
	v_mov_b32_e32 v10, s10
	s_xor_b64 exec, exec, s[6:7]
	s_cbranch_execnz .LBB36_2100
.LBB36_50:
	s_or_b64 exec, exec, s[6:7]
	s_and_saveexec_b64 s[6:7], s[4:5]
	s_cbranch_execz .LBB36_52
.LBB36_51:
	v_bfe_u32 v10, v15, 16, 3
	v_ffbh_u32_e32 v21, v10
	v_min_u32_e32 v21, 32, v21
	v_lshrrev_b32_e32 v14, 19, v15
	v_subrev_u32_e32 v22, 28, v21
	v_and_b32_e32 v14, 15, v14
	v_lshlrev_b32_sdwa v22, v22, v15 dst_sel:DWORD dst_unused:UNUSED_PAD src0_sel:DWORD src1_sel:WORD_1
	v_bfe_u32 v20, v15, 19, 4
	v_sub_u32_e32 v21, 29, v21
	v_and_b32_e32 v22, 7, v22
	v_cmp_eq_u16_e32 vcc, 0, v14
	v_cndmask_b32_e32 v10, v10, v22, vcc
	v_cndmask_b32_e32 v14, v20, v21, vcc
	v_lshlrev_b32_e32 v20, 8, v15
	v_mov_b32_e32 v21, 0x3b800000
	v_lshlrev_b32_e32 v10, 20, v10
	v_and_b32_e32 v20, 0x80000000, v20
	v_lshl_add_u32 v14, v14, 23, v21
	v_or3_b32 v10, v20, v14, v10
.LBB36_52:
	s_or_b64 exec, exec, s[6:7]
	s_movk_i32 s4, 0xff
	v_and_b32_sdwa v14, v11, s4 dst_sel:DWORD dst_unused:UNUSED_PAD src0_sel:WORD_1 src1_sel:DWORD
	s_movk_i32 s4, 0x7f
	v_cmp_lt_i16_e32 vcc, s4, v14
	s_mov_b64 s[4:5], 0
                                        ; implicit-def: $sgpr10
	s_and_saveexec_b64 s[6:7], vcc
	s_xor_b64 s[6:7], exec, s[6:7]
	s_cbranch_execnz .LBB36_2101
; %bb.53:
	s_or_saveexec_b64 s[6:7], s[6:7]
	v_mov_b32_e32 v20, s10
	s_xor_b64 exec, exec, s[6:7]
	s_cbranch_execnz .LBB36_2104
.LBB36_54:
	s_or_b64 exec, exec, s[6:7]
	s_and_saveexec_b64 s[6:7], s[4:5]
	s_cbranch_execz .LBB36_56
.LBB36_55:
	v_bfe_u32 v14, v11, 16, 3
	v_ffbh_u32_e32 v22, v14
	v_min_u32_e32 v22, 32, v22
	v_lshrrev_b32_e32 v20, 19, v11
	v_subrev_u32_e32 v23, 28, v22
	v_and_b32_e32 v20, 15, v20
	v_lshlrev_b32_sdwa v23, v23, v11 dst_sel:DWORD dst_unused:UNUSED_PAD src0_sel:DWORD src1_sel:WORD_1
	v_bfe_u32 v21, v11, 19, 4
	v_sub_u32_e32 v22, 29, v22
	v_and_b32_e32 v23, 7, v23
	v_cmp_eq_u16_e32 vcc, 0, v20
	v_cndmask_b32_e32 v14, v14, v23, vcc
	v_cndmask_b32_e32 v20, v21, v22, vcc
	v_lshlrev_b32_e32 v21, 8, v11
	v_mov_b32_e32 v22, 0x3b800000
	v_lshlrev_b32_e32 v14, 20, v14
	v_and_b32_e32 v21, 0x80000000, v21
	v_lshl_add_u32 v20, v20, 23, v22
	v_or3_b32 v20, v21, v20, v14
.LBB36_56:
	s_or_b64 exec, exec, s[6:7]
	s_nop 0
	v_mfma_f32_16x16x4f32 a[0:3], v10, v20, a[0:3]
	s_movk_i32 s4, 0x7f
	v_cmp_gt_i16_sdwa s[6:7], v15, s4 src0_sel:BYTE_3 src1_sel:DWORD
	s_mov_b64 s[4:5], 0
                                        ; implicit-def: $sgpr10
	s_and_saveexec_b64 s[8:9], s[6:7]
	s_xor_b64 s[6:7], exec, s[8:9]
	s_cbranch_execnz .LBB36_2105
; %bb.57:
	s_or_saveexec_b64 s[6:7], s[6:7]
	v_mov_b32_e32 v10, s10
	s_xor_b64 exec, exec, s[6:7]
	s_cbranch_execnz .LBB36_2108
.LBB36_58:
	s_or_b64 exec, exec, s[6:7]
	s_and_saveexec_b64 s[6:7], s[4:5]
	s_cbranch_execz .LBB36_60
.LBB36_59:
	v_bfe_u32 v10, v15, 24, 3
	v_ffbh_u32_e32 v22, v10
	v_min_u32_e32 v22, 32, v22
	v_lshrrev_b32_e32 v20, 27, v15
	v_subrev_u32_e32 v23, 28, v22
	v_and_b32_e32 v14, 0x80000000, v15
	v_and_b32_e32 v20, 15, v20
	v_bfe_u32 v21, v15, 27, 4
	v_lshlrev_b32_sdwa v15, v23, v15 dst_sel:DWORD dst_unused:UNUSED_PAD src0_sel:DWORD src1_sel:BYTE_3
	v_sub_u32_e32 v22, 29, v22
	v_and_b32_e32 v15, 7, v15
	v_cmp_eq_u16_e32 vcc, 0, v20
	v_cndmask_b32_e32 v10, v10, v15, vcc
	v_cndmask_b32_e32 v15, v21, v22, vcc
	v_mov_b32_e32 v20, 0x3b800000
	v_lshlrev_b32_e32 v10, 20, v10
	v_lshl_add_u32 v15, v15, 23, v20
	v_or3_b32 v10, v14, v15, v10
.LBB36_60:
	s_or_b64 exec, exec, s[6:7]
	s_movk_i32 s4, 0x7f
	v_cmp_gt_i16_sdwa s[6:7], v11, s4 src0_sel:BYTE_3 src1_sel:DWORD
	s_mov_b64 s[4:5], 0
                                        ; implicit-def: $sgpr10
	s_and_saveexec_b64 s[8:9], s[6:7]
	s_xor_b64 s[6:7], exec, s[8:9]
	s_cbranch_execnz .LBB36_2109
; %bb.61:
	s_or_saveexec_b64 s[6:7], s[6:7]
	v_mov_b32_e32 v14, s10
	s_xor_b64 exec, exec, s[6:7]
	s_cbranch_execnz .LBB36_2112
.LBB36_62:
	s_or_b64 exec, exec, s[6:7]
	s_and_saveexec_b64 s[6:7], s[4:5]
	s_cbranch_execz .LBB36_64
.LBB36_63:
	v_bfe_u32 v14, v11, 24, 3
	v_ffbh_u32_e32 v22, v14
	v_min_u32_e32 v22, 32, v22
	v_lshrrev_b32_e32 v20, 27, v11
	v_subrev_u32_e32 v23, 28, v22
	v_and_b32_e32 v15, 0x80000000, v11
	v_and_b32_e32 v20, 15, v20
	v_bfe_u32 v21, v11, 27, 4
	v_lshlrev_b32_sdwa v11, v23, v11 dst_sel:DWORD dst_unused:UNUSED_PAD src0_sel:DWORD src1_sel:BYTE_3
	v_sub_u32_e32 v22, 29, v22
	v_and_b32_e32 v11, 7, v11
	v_cmp_eq_u16_e32 vcc, 0, v20
	v_cndmask_b32_e32 v11, v14, v11, vcc
	v_cndmask_b32_e32 v14, v21, v22, vcc
	v_mov_b32_e32 v20, 0x3b800000
	v_lshlrev_b32_e32 v11, 20, v11
	v_lshl_add_u32 v14, v14, 23, v20
	v_or3_b32 v14, v15, v14, v11
.LBB36_64:
	s_or_b64 exec, exec, s[6:7]
	s_nop 0
	v_mfma_f32_16x16x4f32 a[0:3], v10, v14, a[0:3]
	s_movk_i32 s4, 0x7f
	v_cmp_gt_i16_sdwa s[6:7], v16, s4 src0_sel:BYTE_0 src1_sel:DWORD
	s_mov_b64 s[4:5], 0
                                        ; implicit-def: $sgpr10
	s_and_saveexec_b64 s[8:9], s[6:7]
	s_xor_b64 s[6:7], exec, s[8:9]
	s_cbranch_execnz .LBB36_2113
; %bb.65:
	s_or_saveexec_b64 s[6:7], s[6:7]
	v_mov_b32_e32 v10, s10
	s_xor_b64 exec, exec, s[6:7]
	s_cbranch_execnz .LBB36_2116
.LBB36_66:
	s_or_b64 exec, exec, s[6:7]
	s_and_saveexec_b64 s[6:7], s[4:5]
	s_cbranch_execz .LBB36_68
.LBB36_67:
	v_and_b32_e32 v10, 7, v16
	v_ffbh_u32_e32 v14, v10
	v_min_u32_e32 v14, 32, v14
	v_lshrrev_b16_e32 v11, 3, v16
	v_subrev_u32_e32 v15, 28, v14
	v_and_b32_e32 v11, 15, v11
	v_lshlrev_b32_e32 v15, v15, v16
	v_sub_u32_e32 v14, 29, v14
	v_and_b32_e32 v15, 7, v15
	v_cmp_eq_u16_e32 vcc, 0, v11
	v_cndmask_b32_e32 v10, v10, v15, vcc
	v_cndmask_b32_e32 v11, v11, v14, vcc
	v_lshlrev_b32_e32 v14, 24, v16
	v_mov_b32_e32 v15, 0x3b800000
	v_lshlrev_b32_e32 v10, 20, v10
	v_and_b32_e32 v14, 0x80000000, v14
	v_lshl_add_u32 v11, v11, 23, v15
	v_or3_b32 v10, v14, v11, v10
.LBB36_68:
	s_or_b64 exec, exec, s[6:7]
	s_movk_i32 s4, 0x7f
	v_cmp_gt_i16_sdwa s[6:7], v12, s4 src0_sel:BYTE_0 src1_sel:DWORD
	s_mov_b64 s[4:5], 0
                                        ; implicit-def: $sgpr10
	s_and_saveexec_b64 s[8:9], s[6:7]
	s_xor_b64 s[6:7], exec, s[8:9]
	s_cbranch_execnz .LBB36_2117
; %bb.69:
	s_or_saveexec_b64 s[6:7], s[6:7]
	v_mov_b32_e32 v11, s10
	s_xor_b64 exec, exec, s[6:7]
	s_cbranch_execnz .LBB36_2120
.LBB36_70:
	s_or_b64 exec, exec, s[6:7]
	s_and_saveexec_b64 s[6:7], s[4:5]
	s_cbranch_execz .LBB36_72
.LBB36_71:
	v_and_b32_e32 v11, 7, v12
	v_ffbh_u32_e32 v15, v11
	v_min_u32_e32 v15, 32, v15
	v_lshrrev_b16_e32 v14, 3, v12
	v_subrev_u32_e32 v20, 28, v15
	v_and_b32_e32 v14, 15, v14
	v_lshlrev_b32_e32 v20, v20, v12
	v_sub_u32_e32 v15, 29, v15
	v_and_b32_e32 v20, 7, v20
	v_cmp_eq_u16_e32 vcc, 0, v14
	v_cndmask_b32_e32 v11, v11, v20, vcc
	v_cndmask_b32_e32 v14, v14, v15, vcc
	v_lshlrev_b32_e32 v15, 24, v12
	v_mov_b32_e32 v20, 0x3b800000
	v_lshlrev_b32_e32 v11, 20, v11
	v_and_b32_e32 v15, 0x80000000, v15
	v_lshl_add_u32 v14, v14, 23, v20
	v_or3_b32 v11, v15, v14, v11
.LBB36_72:
	s_or_b64 exec, exec, s[6:7]
	s_nop 0
	v_mfma_f32_16x16x4f32 a[0:3], v10, v11, a[0:3]
	v_lshrrev_b32_e32 v11, 8, v16
	s_movk_i32 s4, 0x7f
	v_cmp_gt_i16_sdwa s[6:7], v11, s4 src0_sel:BYTE_0 src1_sel:DWORD
	s_mov_b64 s[4:5], 0
                                        ; implicit-def: $sgpr10
	s_and_saveexec_b64 s[8:9], s[6:7]
	s_xor_b64 s[6:7], exec, s[8:9]
	s_cbranch_execnz .LBB36_2121
; %bb.73:
	s_or_saveexec_b64 s[6:7], s[6:7]
	v_mov_b32_e32 v10, s10
	s_xor_b64 exec, exec, s[6:7]
	s_cbranch_execnz .LBB36_2124
.LBB36_74:
	s_or_b64 exec, exec, s[6:7]
	s_and_saveexec_b64 s[6:7], s[4:5]
	s_cbranch_execz .LBB36_76
.LBB36_75:
	v_bfe_u32 v10, v16, 8, 3
	v_ffbh_u32_e32 v15, v10
	v_min_u32_e32 v15, 32, v15
	v_lshrrev_b16_e32 v14, 3, v11
	v_subrev_u32_e32 v20, 28, v15
	v_and_b32_e32 v14, 15, v14
	v_lshlrev_b32_e32 v11, v20, v11
	v_sub_u32_e32 v15, 29, v15
	v_and_b32_e32 v11, 7, v11
	v_cmp_eq_u16_e32 vcc, 0, v14
	v_cndmask_b32_e32 v10, v10, v11, vcc
	v_cndmask_b32_e32 v11, v14, v15, vcc
	v_lshlrev_b32_e32 v14, 16, v16
	v_mov_b32_e32 v15, 0x3b800000
	v_lshlrev_b32_e32 v10, 20, v10
	v_and_b32_e32 v14, 0x80000000, v14
	v_lshl_add_u32 v11, v11, 23, v15
	v_or3_b32 v10, v14, v11, v10
.LBB36_76:
	s_or_b64 exec, exec, s[6:7]
	v_lshrrev_b32_e32 v11, 8, v12
	s_movk_i32 s4, 0x7f
	v_cmp_gt_i16_sdwa s[6:7], v11, s4 src0_sel:BYTE_0 src1_sel:DWORD
	s_mov_b64 s[4:5], 0
                                        ; implicit-def: $sgpr10
	s_and_saveexec_b64 s[8:9], s[6:7]
	s_xor_b64 s[6:7], exec, s[8:9]
	s_cbranch_execnz .LBB36_2125
; %bb.77:
	s_or_saveexec_b64 s[6:7], s[6:7]
	v_mov_b32_e32 v14, s10
	s_xor_b64 exec, exec, s[6:7]
	s_cbranch_execnz .LBB36_2128
.LBB36_78:
	s_or_b64 exec, exec, s[6:7]
	s_and_saveexec_b64 s[6:7], s[4:5]
	s_cbranch_execz .LBB36_80
.LBB36_79:
	v_bfe_u32 v14, v12, 8, 3
	v_ffbh_u32_e32 v20, v14
	v_min_u32_e32 v20, 32, v20
	v_lshrrev_b16_e32 v15, 3, v11
	v_subrev_u32_e32 v21, 28, v20
	v_and_b32_e32 v15, 15, v15
	v_lshlrev_b32_e32 v11, v21, v11
	v_sub_u32_e32 v20, 29, v20
	v_and_b32_e32 v11, 7, v11
	v_cmp_eq_u16_e32 vcc, 0, v15
	v_cndmask_b32_e32 v11, v14, v11, vcc
	v_cndmask_b32_e32 v14, v15, v20, vcc
	v_lshlrev_b32_e32 v15, 16, v12
	v_mov_b32_e32 v20, 0x3b800000
	v_lshlrev_b32_e32 v11, 20, v11
	v_and_b32_e32 v15, 0x80000000, v15
	v_lshl_add_u32 v14, v14, 23, v20
	v_or3_b32 v14, v15, v14, v11
.LBB36_80:
	s_or_b64 exec, exec, s[6:7]
	s_nop 0
	v_mfma_f32_16x16x4f32 a[0:3], v10, v14, a[0:3]
	s_movk_i32 s4, 0xff
	v_and_b32_sdwa v11, v16, s4 dst_sel:DWORD dst_unused:UNUSED_PAD src0_sel:WORD_1 src1_sel:DWORD
	s_movk_i32 s4, 0x7f
	v_cmp_lt_i16_e32 vcc, s4, v11
	s_mov_b64 s[4:5], 0
                                        ; implicit-def: $sgpr10
	s_and_saveexec_b64 s[6:7], vcc
	s_xor_b64 s[6:7], exec, s[6:7]
	s_cbranch_execnz .LBB36_2129
; %bb.81:
	s_or_saveexec_b64 s[6:7], s[6:7]
	v_mov_b32_e32 v10, s10
	s_xor_b64 exec, exec, s[6:7]
	s_cbranch_execnz .LBB36_2132
.LBB36_82:
	s_or_b64 exec, exec, s[6:7]
	s_and_saveexec_b64 s[6:7], s[4:5]
	s_cbranch_execz .LBB36_84
.LBB36_83:
	v_bfe_u32 v10, v16, 16, 3
	v_ffbh_u32_e32 v15, v10
	v_min_u32_e32 v15, 32, v15
	v_lshrrev_b32_e32 v11, 19, v16
	v_subrev_u32_e32 v20, 28, v15
	v_and_b32_e32 v11, 15, v11
	v_lshlrev_b32_sdwa v20, v20, v16 dst_sel:DWORD dst_unused:UNUSED_PAD src0_sel:DWORD src1_sel:WORD_1
	v_bfe_u32 v14, v16, 19, 4
	v_sub_u32_e32 v15, 29, v15
	v_and_b32_e32 v20, 7, v20
	v_cmp_eq_u16_e32 vcc, 0, v11
	v_cndmask_b32_e32 v10, v10, v20, vcc
	v_cndmask_b32_e32 v11, v14, v15, vcc
	v_lshlrev_b32_e32 v14, 8, v16
	v_mov_b32_e32 v15, 0x3b800000
	v_lshlrev_b32_e32 v10, 20, v10
	v_and_b32_e32 v14, 0x80000000, v14
	v_lshl_add_u32 v11, v11, 23, v15
	v_or3_b32 v10, v14, v11, v10
.LBB36_84:
	s_or_b64 exec, exec, s[6:7]
	s_movk_i32 s4, 0xff
	v_and_b32_sdwa v11, v12, s4 dst_sel:DWORD dst_unused:UNUSED_PAD src0_sel:WORD_1 src1_sel:DWORD
	s_movk_i32 s4, 0x7f
	v_cmp_lt_i16_e32 vcc, s4, v11
	s_mov_b64 s[4:5], 0
                                        ; implicit-def: $sgpr10
	s_and_saveexec_b64 s[6:7], vcc
	s_xor_b64 s[6:7], exec, s[6:7]
	s_cbranch_execnz .LBB36_2133
; %bb.85:
	s_or_saveexec_b64 s[6:7], s[6:7]
	v_mov_b32_e32 v14, s10
	s_xor_b64 exec, exec, s[6:7]
	s_cbranch_execnz .LBB36_2136
.LBB36_86:
	s_or_b64 exec, exec, s[6:7]
	s_and_saveexec_b64 s[6:7], s[4:5]
	s_cbranch_execz .LBB36_88
.LBB36_87:
	v_bfe_u32 v11, v12, 16, 3
	v_ffbh_u32_e32 v20, v11
	v_min_u32_e32 v20, 32, v20
	v_lshrrev_b32_e32 v14, 19, v12
	v_subrev_u32_e32 v21, 28, v20
	v_and_b32_e32 v14, 15, v14
	v_lshlrev_b32_sdwa v21, v21, v12 dst_sel:DWORD dst_unused:UNUSED_PAD src0_sel:DWORD src1_sel:WORD_1
	v_bfe_u32 v15, v12, 19, 4
	v_sub_u32_e32 v20, 29, v20
	v_and_b32_e32 v21, 7, v21
	v_cmp_eq_u16_e32 vcc, 0, v14
	v_cndmask_b32_e32 v11, v11, v21, vcc
	v_cndmask_b32_e32 v14, v15, v20, vcc
	v_lshlrev_b32_e32 v15, 8, v12
	v_mov_b32_e32 v20, 0x3b800000
	v_lshlrev_b32_e32 v11, 20, v11
	v_and_b32_e32 v15, 0x80000000, v15
	v_lshl_add_u32 v14, v14, 23, v20
	v_or3_b32 v14, v15, v14, v11
.LBB36_88:
	s_or_b64 exec, exec, s[6:7]
	s_nop 0
	v_mfma_f32_16x16x4f32 a[0:3], v10, v14, a[0:3]
	s_movk_i32 s4, 0x7f
	v_cmp_gt_i16_sdwa s[6:7], v16, s4 src0_sel:BYTE_3 src1_sel:DWORD
	s_mov_b64 s[4:5], 0
                                        ; implicit-def: $sgpr10
	s_and_saveexec_b64 s[8:9], s[6:7]
	s_xor_b64 s[6:7], exec, s[8:9]
	s_cbranch_execnz .LBB36_2137
; %bb.89:
	s_or_saveexec_b64 s[6:7], s[6:7]
	v_mov_b32_e32 v10, s10
	s_xor_b64 exec, exec, s[6:7]
	s_cbranch_execnz .LBB36_2140
.LBB36_90:
	s_or_b64 exec, exec, s[6:7]
	s_and_saveexec_b64 s[6:7], s[4:5]
	s_cbranch_execz .LBB36_92
.LBB36_91:
	v_bfe_u32 v10, v16, 24, 3
	v_ffbh_u32_e32 v20, v10
	v_min_u32_e32 v20, 32, v20
	v_lshrrev_b32_e32 v14, 27, v16
	v_subrev_u32_e32 v21, 28, v20
	v_and_b32_e32 v11, 0x80000000, v16
	v_and_b32_e32 v14, 15, v14
	v_bfe_u32 v15, v16, 27, 4
	v_lshlrev_b32_sdwa v16, v21, v16 dst_sel:DWORD dst_unused:UNUSED_PAD src0_sel:DWORD src1_sel:BYTE_3
	v_sub_u32_e32 v20, 29, v20
	v_and_b32_e32 v16, 7, v16
	v_cmp_eq_u16_e32 vcc, 0, v14
	v_cndmask_b32_e32 v10, v10, v16, vcc
	v_cndmask_b32_e32 v14, v15, v20, vcc
	v_mov_b32_e32 v15, 0x3b800000
	v_lshlrev_b32_e32 v10, 20, v10
	v_lshl_add_u32 v14, v14, 23, v15
	v_or3_b32 v10, v11, v14, v10
.LBB36_92:
	s_or_b64 exec, exec, s[6:7]
	s_movk_i32 s4, 0x7f
	v_cmp_gt_i16_sdwa s[6:7], v12, s4 src0_sel:BYTE_3 src1_sel:DWORD
	s_mov_b64 s[4:5], 0
                                        ; implicit-def: $sgpr10
	s_and_saveexec_b64 s[8:9], s[6:7]
	s_xor_b64 s[6:7], exec, s[8:9]
	s_cbranch_execnz .LBB36_2141
; %bb.93:
	s_or_saveexec_b64 s[6:7], s[6:7]
	v_mov_b32_e32 v11, s10
	s_xor_b64 exec, exec, s[6:7]
	s_cbranch_execnz .LBB36_2144
.LBB36_94:
	s_or_b64 exec, exec, s[6:7]
	s_and_saveexec_b64 s[6:7], s[4:5]
	s_cbranch_execz .LBB36_96
.LBB36_95:
	v_bfe_u32 v11, v12, 24, 3
	v_ffbh_u32_e32 v20, v11
	v_min_u32_e32 v20, 32, v20
	v_lshrrev_b32_e32 v15, 27, v12
	v_subrev_u32_e32 v21, 28, v20
	v_and_b32_e32 v14, 0x80000000, v12
	v_and_b32_e32 v15, 15, v15
	v_bfe_u32 v16, v12, 27, 4
	v_lshlrev_b32_sdwa v12, v21, v12 dst_sel:DWORD dst_unused:UNUSED_PAD src0_sel:DWORD src1_sel:BYTE_3
	v_sub_u32_e32 v20, 29, v20
	v_and_b32_e32 v12, 7, v12
	v_cmp_eq_u16_e32 vcc, 0, v15
	v_cndmask_b32_e32 v11, v11, v12, vcc
	v_cndmask_b32_e32 v12, v16, v20, vcc
	v_mov_b32_e32 v15, 0x3b800000
	v_lshlrev_b32_e32 v11, 20, v11
	v_lshl_add_u32 v12, v12, 23, v15
	v_or3_b32 v11, v14, v12, v11
.LBB36_96:
	s_or_b64 exec, exec, s[6:7]
	s_nop 0
	v_mfma_f32_16x16x4f32 a[0:3], v10, v11, a[0:3]
	s_movk_i32 s4, 0x7f
	v_cmp_gt_i16_sdwa s[6:7], v17, s4 src0_sel:BYTE_0 src1_sel:DWORD
	s_mov_b64 s[4:5], 0
                                        ; implicit-def: $sgpr10
	s_and_saveexec_b64 s[8:9], s[6:7]
	s_xor_b64 s[6:7], exec, s[8:9]
	s_cbranch_execnz .LBB36_2145
; %bb.97:
	s_or_saveexec_b64 s[6:7], s[6:7]
	v_mov_b32_e32 v10, s10
	s_xor_b64 exec, exec, s[6:7]
	s_cbranch_execnz .LBB36_2148
.LBB36_98:
	s_or_b64 exec, exec, s[6:7]
	s_and_saveexec_b64 s[6:7], s[4:5]
	s_cbranch_execz .LBB36_100
.LBB36_99:
	v_and_b32_e32 v10, 7, v17
	v_ffbh_u32_e32 v12, v10
	v_min_u32_e32 v12, 32, v12
	v_lshrrev_b16_e32 v11, 3, v17
	v_subrev_u32_e32 v14, 28, v12
	v_and_b32_e32 v11, 15, v11
	v_lshlrev_b32_e32 v14, v14, v17
	v_sub_u32_e32 v12, 29, v12
	v_and_b32_e32 v14, 7, v14
	v_cmp_eq_u16_e32 vcc, 0, v11
	v_cndmask_b32_e32 v10, v10, v14, vcc
	v_cndmask_b32_e32 v11, v11, v12, vcc
	v_lshlrev_b32_e32 v12, 24, v17
	v_mov_b32_e32 v14, 0x3b800000
	v_lshlrev_b32_e32 v10, 20, v10
	v_and_b32_e32 v12, 0x80000000, v12
	v_lshl_add_u32 v11, v11, 23, v14
	v_or3_b32 v10, v12, v11, v10
.LBB36_100:
	s_or_b64 exec, exec, s[6:7]
	s_movk_i32 s4, 0x7f
	v_cmp_gt_i16_sdwa s[6:7], v13, s4 src0_sel:BYTE_0 src1_sel:DWORD
	s_mov_b64 s[4:5], 0
                                        ; implicit-def: $sgpr10
	s_and_saveexec_b64 s[8:9], s[6:7]
	s_xor_b64 s[6:7], exec, s[8:9]
	s_cbranch_execnz .LBB36_2149
; %bb.101:
	s_or_saveexec_b64 s[6:7], s[6:7]
	v_mov_b32_e32 v11, s10
	s_xor_b64 exec, exec, s[6:7]
	s_cbranch_execnz .LBB36_2152
.LBB36_102:
	s_or_b64 exec, exec, s[6:7]
	s_and_saveexec_b64 s[6:7], s[4:5]
	s_cbranch_execz .LBB36_104
.LBB36_103:
	v_and_b32_e32 v11, 7, v13
	v_ffbh_u32_e32 v14, v11
	v_min_u32_e32 v14, 32, v14
	v_lshrrev_b16_e32 v12, 3, v13
	v_subrev_u32_e32 v15, 28, v14
	v_and_b32_e32 v12, 15, v12
	v_lshlrev_b32_e32 v15, v15, v13
	v_sub_u32_e32 v14, 29, v14
	v_and_b32_e32 v15, 7, v15
	v_cmp_eq_u16_e32 vcc, 0, v12
	v_cndmask_b32_e32 v11, v11, v15, vcc
	v_cndmask_b32_e32 v12, v12, v14, vcc
	v_lshlrev_b32_e32 v14, 24, v13
	v_mov_b32_e32 v15, 0x3b800000
	v_lshlrev_b32_e32 v11, 20, v11
	v_and_b32_e32 v14, 0x80000000, v14
	v_lshl_add_u32 v12, v12, 23, v15
	v_or3_b32 v11, v14, v12, v11
.LBB36_104:
	s_or_b64 exec, exec, s[6:7]
	s_nop 0
	v_mfma_f32_16x16x4f32 a[0:3], v10, v11, a[0:3]
	v_lshrrev_b32_e32 v11, 8, v17
	s_movk_i32 s4, 0x7f
	v_cmp_gt_i16_sdwa s[6:7], v11, s4 src0_sel:BYTE_0 src1_sel:DWORD
	s_mov_b64 s[4:5], 0
                                        ; implicit-def: $sgpr10
	s_and_saveexec_b64 s[8:9], s[6:7]
	s_xor_b64 s[6:7], exec, s[8:9]
	s_cbranch_execnz .LBB36_2153
; %bb.105:
	s_or_saveexec_b64 s[6:7], s[6:7]
	v_mov_b32_e32 v10, s10
	s_xor_b64 exec, exec, s[6:7]
	s_cbranch_execnz .LBB36_2156
.LBB36_106:
	s_or_b64 exec, exec, s[6:7]
	s_and_saveexec_b64 s[6:7], s[4:5]
	s_cbranch_execz .LBB36_108
.LBB36_107:
	v_bfe_u32 v10, v17, 8, 3
	v_ffbh_u32_e32 v14, v10
	v_min_u32_e32 v14, 32, v14
	v_lshrrev_b16_e32 v12, 3, v11
	v_subrev_u32_e32 v15, 28, v14
	v_and_b32_e32 v12, 15, v12
	v_lshlrev_b32_e32 v11, v15, v11
	v_sub_u32_e32 v14, 29, v14
	v_and_b32_e32 v11, 7, v11
	v_cmp_eq_u16_e32 vcc, 0, v12
	v_cndmask_b32_e32 v10, v10, v11, vcc
	v_cndmask_b32_e32 v11, v12, v14, vcc
	v_lshlrev_b32_e32 v12, 16, v17
	v_mov_b32_e32 v14, 0x3b800000
	v_lshlrev_b32_e32 v10, 20, v10
	v_and_b32_e32 v12, 0x80000000, v12
	v_lshl_add_u32 v11, v11, 23, v14
	v_or3_b32 v10, v12, v11, v10
.LBB36_108:
	s_or_b64 exec, exec, s[6:7]
	v_lshrrev_b32_e32 v11, 8, v13
	s_movk_i32 s4, 0x7f
	v_cmp_gt_i16_sdwa s[6:7], v11, s4 src0_sel:BYTE_0 src1_sel:DWORD
	s_mov_b64 s[4:5], 0
                                        ; implicit-def: $sgpr10
	s_and_saveexec_b64 s[8:9], s[6:7]
	s_xor_b64 s[6:7], exec, s[8:9]
	s_cbranch_execnz .LBB36_2157
; %bb.109:
	s_or_saveexec_b64 s[6:7], s[6:7]
	v_mov_b32_e32 v12, s10
	s_xor_b64 exec, exec, s[6:7]
	s_cbranch_execnz .LBB36_2160
.LBB36_110:
	s_or_b64 exec, exec, s[6:7]
	s_and_saveexec_b64 s[6:7], s[4:5]
	s_cbranch_execz .LBB36_112
.LBB36_111:
	v_bfe_u32 v12, v13, 8, 3
	v_ffbh_u32_e32 v15, v12
	v_min_u32_e32 v15, 32, v15
	v_lshrrev_b16_e32 v14, 3, v11
	v_subrev_u32_e32 v16, 28, v15
	v_and_b32_e32 v14, 15, v14
	v_lshlrev_b32_e32 v11, v16, v11
	v_sub_u32_e32 v15, 29, v15
	v_and_b32_e32 v11, 7, v11
	v_cmp_eq_u16_e32 vcc, 0, v14
	v_cndmask_b32_e32 v11, v12, v11, vcc
	v_cndmask_b32_e32 v12, v14, v15, vcc
	v_lshlrev_b32_e32 v14, 16, v13
	v_mov_b32_e32 v15, 0x3b800000
	v_lshlrev_b32_e32 v11, 20, v11
	v_and_b32_e32 v14, 0x80000000, v14
	v_lshl_add_u32 v12, v12, 23, v15
	v_or3_b32 v12, v14, v12, v11
.LBB36_112:
	s_or_b64 exec, exec, s[6:7]
	s_nop 0
	v_mfma_f32_16x16x4f32 a[0:3], v10, v12, a[0:3]
	s_movk_i32 s4, 0xff
	v_and_b32_sdwa v11, v17, s4 dst_sel:DWORD dst_unused:UNUSED_PAD src0_sel:WORD_1 src1_sel:DWORD
	s_movk_i32 s4, 0x7f
	v_cmp_lt_i16_e32 vcc, s4, v11
	s_mov_b64 s[4:5], 0
                                        ; implicit-def: $sgpr10
	s_and_saveexec_b64 s[6:7], vcc
	s_xor_b64 s[6:7], exec, s[6:7]
	s_cbranch_execnz .LBB36_2161
; %bb.113:
	s_or_saveexec_b64 s[6:7], s[6:7]
	v_mov_b32_e32 v10, s10
	s_xor_b64 exec, exec, s[6:7]
	s_cbranch_execnz .LBB36_2164
.LBB36_114:
	s_or_b64 exec, exec, s[6:7]
	s_and_saveexec_b64 s[6:7], s[4:5]
	s_cbranch_execz .LBB36_116
.LBB36_115:
	v_bfe_u32 v10, v17, 16, 3
	v_ffbh_u32_e32 v14, v10
	v_min_u32_e32 v14, 32, v14
	v_lshrrev_b32_e32 v11, 19, v17
	v_subrev_u32_e32 v15, 28, v14
	v_and_b32_e32 v11, 15, v11
	v_lshlrev_b32_sdwa v15, v15, v17 dst_sel:DWORD dst_unused:UNUSED_PAD src0_sel:DWORD src1_sel:WORD_1
	v_bfe_u32 v12, v17, 19, 4
	v_sub_u32_e32 v14, 29, v14
	v_and_b32_e32 v15, 7, v15
	v_cmp_eq_u16_e32 vcc, 0, v11
	v_cndmask_b32_e32 v10, v10, v15, vcc
	v_cndmask_b32_e32 v11, v12, v14, vcc
	v_lshlrev_b32_e32 v12, 8, v17
	v_mov_b32_e32 v14, 0x3b800000
	v_lshlrev_b32_e32 v10, 20, v10
	v_and_b32_e32 v12, 0x80000000, v12
	v_lshl_add_u32 v11, v11, 23, v14
	v_or3_b32 v10, v12, v11, v10
.LBB36_116:
	s_or_b64 exec, exec, s[6:7]
	s_movk_i32 s4, 0xff
	v_and_b32_sdwa v11, v13, s4 dst_sel:DWORD dst_unused:UNUSED_PAD src0_sel:WORD_1 src1_sel:DWORD
	s_movk_i32 s4, 0x7f
	v_cmp_lt_i16_e32 vcc, s4, v11
	s_mov_b64 s[4:5], 0
                                        ; implicit-def: $sgpr10
	s_and_saveexec_b64 s[6:7], vcc
	s_xor_b64 s[6:7], exec, s[6:7]
	s_cbranch_execnz .LBB36_2165
; %bb.117:
	s_or_saveexec_b64 s[6:7], s[6:7]
	v_mov_b32_e32 v12, s10
	s_xor_b64 exec, exec, s[6:7]
	s_cbranch_execnz .LBB36_2168
.LBB36_118:
	s_or_b64 exec, exec, s[6:7]
	s_and_saveexec_b64 s[6:7], s[4:5]
	s_cbranch_execz .LBB36_120
.LBB36_119:
	v_bfe_u32 v11, v13, 16, 3
	v_ffbh_u32_e32 v15, v11
	v_min_u32_e32 v15, 32, v15
	v_lshrrev_b32_e32 v12, 19, v13
	v_subrev_u32_e32 v16, 28, v15
	v_and_b32_e32 v12, 15, v12
	v_lshlrev_b32_sdwa v16, v16, v13 dst_sel:DWORD dst_unused:UNUSED_PAD src0_sel:DWORD src1_sel:WORD_1
	v_bfe_u32 v14, v13, 19, 4
	v_sub_u32_e32 v15, 29, v15
	v_and_b32_e32 v16, 7, v16
	v_cmp_eq_u16_e32 vcc, 0, v12
	v_cndmask_b32_e32 v11, v11, v16, vcc
	v_cndmask_b32_e32 v12, v14, v15, vcc
	v_lshlrev_b32_e32 v14, 8, v13
	v_mov_b32_e32 v15, 0x3b800000
	v_lshlrev_b32_e32 v11, 20, v11
	v_and_b32_e32 v14, 0x80000000, v14
	v_lshl_add_u32 v12, v12, 23, v15
	v_or3_b32 v12, v14, v12, v11
.LBB36_120:
	s_or_b64 exec, exec, s[6:7]
	s_nop 0
	v_mfma_f32_16x16x4f32 a[0:3], v10, v12, a[0:3]
	s_movk_i32 s4, 0x7f
	v_cmp_gt_i16_sdwa s[6:7], v17, s4 src0_sel:BYTE_3 src1_sel:DWORD
	s_mov_b64 s[4:5], 0
                                        ; implicit-def: $sgpr10
	s_and_saveexec_b64 s[8:9], s[6:7]
	s_xor_b64 s[6:7], exec, s[8:9]
	s_cbranch_execnz .LBB36_2169
; %bb.121:
	s_or_saveexec_b64 s[6:7], s[6:7]
	v_mov_b32_e32 v10, s10
	s_xor_b64 exec, exec, s[6:7]
	s_cbranch_execnz .LBB36_2172
.LBB36_122:
	s_or_b64 exec, exec, s[6:7]
	s_and_saveexec_b64 s[6:7], s[4:5]
	s_cbranch_execz .LBB36_124
.LBB36_123:
	v_bfe_u32 v10, v17, 24, 3
	v_ffbh_u32_e32 v15, v10
	v_min_u32_e32 v15, 32, v15
	v_lshrrev_b32_e32 v12, 27, v17
	v_subrev_u32_e32 v16, 28, v15
	v_and_b32_e32 v12, 15, v12
	v_lshlrev_b32_sdwa v16, v16, v17 dst_sel:DWORD dst_unused:UNUSED_PAD src0_sel:DWORD src1_sel:BYTE_3
	v_bfe_u32 v14, v17, 27, 4
	v_sub_u32_e32 v15, 29, v15
	v_and_b32_e32 v16, 7, v16
	v_cmp_eq_u16_e32 vcc, 0, v12
	v_cndmask_b32_e32 v10, v10, v16, vcc
	v_cndmask_b32_e32 v12, v14, v15, vcc
	v_mov_b32_e32 v14, 0x3b800000
	v_and_b32_e32 v11, 0x80000000, v17
	v_lshlrev_b32_e32 v10, 20, v10
	v_lshl_add_u32 v12, v12, 23, v14
	v_or3_b32 v10, v11, v12, v10
.LBB36_124:
	s_or_b64 exec, exec, s[6:7]
	s_movk_i32 s4, 0x7f
	v_cmp_gt_i16_sdwa s[6:7], v13, s4 src0_sel:BYTE_3 src1_sel:DWORD
	s_mov_b64 s[4:5], 0
                                        ; implicit-def: $sgpr10
	s_and_saveexec_b64 s[8:9], s[6:7]
	s_xor_b64 s[6:7], exec, s[8:9]
	s_cbranch_execnz .LBB36_2173
; %bb.125:
	s_or_saveexec_b64 s[6:7], s[6:7]
	v_mov_b32_e32 v11, s10
	s_xor_b64 exec, exec, s[6:7]
	s_cbranch_execnz .LBB36_2176
.LBB36_126:
	s_or_b64 exec, exec, s[6:7]
	s_and_saveexec_b64 s[6:7], s[4:5]
	s_cbranch_execz .LBB36_128
.LBB36_127:
	v_bfe_u32 v11, v13, 24, 3
	v_ffbh_u32_e32 v16, v11
	v_min_u32_e32 v16, 32, v16
	v_lshrrev_b32_e32 v14, 27, v13
	v_subrev_u32_e32 v17, 28, v16
	v_and_b32_e32 v12, 0x80000000, v13
	v_and_b32_e32 v14, 15, v14
	v_bfe_u32 v15, v13, 27, 4
	v_lshlrev_b32_sdwa v13, v17, v13 dst_sel:DWORD dst_unused:UNUSED_PAD src0_sel:DWORD src1_sel:BYTE_3
	v_sub_u32_e32 v16, 29, v16
	v_and_b32_e32 v13, 7, v13
	v_cmp_eq_u16_e32 vcc, 0, v14
	v_cndmask_b32_e32 v11, v11, v13, vcc
	v_cndmask_b32_e32 v13, v15, v16, vcc
	v_mov_b32_e32 v14, 0x3b800000
	v_lshlrev_b32_e32 v11, 20, v11
	v_lshl_add_u32 v13, v13, 23, v14
	v_or3_b32 v11, v12, v13, v11
.LBB36_128:
	s_or_b64 exec, exec, s[6:7]
	s_nop 0
	v_mfma_f32_16x16x4f32 a[0:3], v10, v11, a[0:3]
	s_movk_i32 s4, 0x7f
	v_cmp_gt_i16_sdwa s[6:7], v6, s4 src0_sel:BYTE_0 src1_sel:DWORD
	s_mov_b64 s[4:5], 0
                                        ; implicit-def: $sgpr10
	s_and_saveexec_b64 s[8:9], s[6:7]
	s_xor_b64 s[6:7], exec, s[8:9]
	s_cbranch_execnz .LBB36_2177
; %bb.129:
	s_or_saveexec_b64 s[6:7], s[6:7]
	v_mov_b32_e32 v10, s10
	s_xor_b64 exec, exec, s[6:7]
	s_cbranch_execnz .LBB36_2180
.LBB36_130:
	s_or_b64 exec, exec, s[6:7]
	s_and_saveexec_b64 s[6:7], s[4:5]
	s_cbranch_execz .LBB36_132
.LBB36_131:
	v_and_b32_e32 v10, 7, v6
	v_ffbh_u32_e32 v12, v10
	v_min_u32_e32 v12, 32, v12
	v_lshrrev_b16_e32 v11, 3, v6
	v_subrev_u32_e32 v13, 28, v12
	v_and_b32_e32 v11, 15, v11
	v_lshlrev_b32_e32 v13, v13, v6
	v_sub_u32_e32 v12, 29, v12
	v_and_b32_e32 v13, 7, v13
	v_cmp_eq_u16_e32 vcc, 0, v11
	v_cndmask_b32_e32 v10, v10, v13, vcc
	v_cndmask_b32_e32 v11, v11, v12, vcc
	v_lshlrev_b32_e32 v12, 24, v6
	v_mov_b32_e32 v13, 0x3b800000
	v_lshlrev_b32_e32 v10, 20, v10
	v_and_b32_e32 v12, 0x80000000, v12
	v_lshl_add_u32 v11, v11, 23, v13
	v_or3_b32 v10, v12, v11, v10
.LBB36_132:
	s_or_b64 exec, exec, s[6:7]
	s_movk_i32 s4, 0x7f
	v_cmp_gt_i16_sdwa s[6:7], v2, s4 src0_sel:BYTE_0 src1_sel:DWORD
	s_mov_b64 s[4:5], 0
                                        ; implicit-def: $sgpr10
	s_and_saveexec_b64 s[8:9], s[6:7]
	s_xor_b64 s[6:7], exec, s[8:9]
	s_cbranch_execnz .LBB36_2181
; %bb.133:
	s_or_saveexec_b64 s[6:7], s[6:7]
	v_mov_b32_e32 v11, s10
	s_xor_b64 exec, exec, s[6:7]
	s_cbranch_execnz .LBB36_2184
.LBB36_134:
	s_or_b64 exec, exec, s[6:7]
	s_and_saveexec_b64 s[6:7], s[4:5]
	s_cbranch_execz .LBB36_136
.LBB36_135:
	v_and_b32_e32 v11, 7, v2
	v_ffbh_u32_e32 v13, v11
	v_min_u32_e32 v13, 32, v13
	v_lshrrev_b16_e32 v12, 3, v2
	v_subrev_u32_e32 v14, 28, v13
	v_and_b32_e32 v12, 15, v12
	v_lshlrev_b32_e32 v14, v14, v2
	v_sub_u32_e32 v13, 29, v13
	v_and_b32_e32 v14, 7, v14
	v_cmp_eq_u16_e32 vcc, 0, v12
	v_cndmask_b32_e32 v11, v11, v14, vcc
	v_cndmask_b32_e32 v12, v12, v13, vcc
	v_lshlrev_b32_e32 v13, 24, v2
	v_mov_b32_e32 v14, 0x3b800000
	v_lshlrev_b32_e32 v11, 20, v11
	v_and_b32_e32 v13, 0x80000000, v13
	v_lshl_add_u32 v12, v12, 23, v14
	v_or3_b32 v11, v13, v12, v11
.LBB36_136:
	s_or_b64 exec, exec, s[6:7]
	s_nop 0
	v_mfma_f32_16x16x4f32 a[0:3], v10, v11, a[0:3]
	v_lshrrev_b32_e32 v11, 8, v6
	s_movk_i32 s4, 0x7f
	v_cmp_gt_i16_sdwa s[6:7], v11, s4 src0_sel:BYTE_0 src1_sel:DWORD
	s_mov_b64 s[4:5], 0
                                        ; implicit-def: $sgpr10
	s_and_saveexec_b64 s[8:9], s[6:7]
	s_xor_b64 s[6:7], exec, s[8:9]
	s_cbranch_execnz .LBB36_2185
; %bb.137:
	s_or_saveexec_b64 s[6:7], s[6:7]
	v_mov_b32_e32 v10, s10
	s_xor_b64 exec, exec, s[6:7]
	s_cbranch_execnz .LBB36_2188
.LBB36_138:
	s_or_b64 exec, exec, s[6:7]
	s_and_saveexec_b64 s[6:7], s[4:5]
	s_cbranch_execz .LBB36_140
.LBB36_139:
	v_bfe_u32 v10, v6, 8, 3
	v_ffbh_u32_e32 v13, v10
	v_min_u32_e32 v13, 32, v13
	v_lshrrev_b16_e32 v12, 3, v11
	v_subrev_u32_e32 v14, 28, v13
	v_and_b32_e32 v12, 15, v12
	v_lshlrev_b32_e32 v11, v14, v11
	v_sub_u32_e32 v13, 29, v13
	v_and_b32_e32 v11, 7, v11
	v_cmp_eq_u16_e32 vcc, 0, v12
	v_cndmask_b32_e32 v10, v10, v11, vcc
	v_cndmask_b32_e32 v11, v12, v13, vcc
	v_lshlrev_b32_e32 v12, 16, v6
	v_mov_b32_e32 v13, 0x3b800000
	v_lshlrev_b32_e32 v10, 20, v10
	v_and_b32_e32 v12, 0x80000000, v12
	v_lshl_add_u32 v11, v11, 23, v13
	v_or3_b32 v10, v12, v11, v10
.LBB36_140:
	s_or_b64 exec, exec, s[6:7]
	v_lshrrev_b32_e32 v11, 8, v2
	s_movk_i32 s4, 0x7f
	v_cmp_gt_i16_sdwa s[6:7], v11, s4 src0_sel:BYTE_0 src1_sel:DWORD
	s_mov_b64 s[4:5], 0
                                        ; implicit-def: $sgpr10
	s_and_saveexec_b64 s[8:9], s[6:7]
	s_xor_b64 s[6:7], exec, s[8:9]
	s_cbranch_execnz .LBB36_2189
; %bb.141:
	s_or_saveexec_b64 s[6:7], s[6:7]
	v_mov_b32_e32 v12, s10
	s_xor_b64 exec, exec, s[6:7]
	s_cbranch_execnz .LBB36_2192
.LBB36_142:
	s_or_b64 exec, exec, s[6:7]
	s_and_saveexec_b64 s[6:7], s[4:5]
	s_cbranch_execz .LBB36_144
.LBB36_143:
	v_bfe_u32 v12, v2, 8, 3
	v_ffbh_u32_e32 v14, v12
	v_min_u32_e32 v14, 32, v14
	v_lshrrev_b16_e32 v13, 3, v11
	v_subrev_u32_e32 v15, 28, v14
	v_and_b32_e32 v13, 15, v13
	v_lshlrev_b32_e32 v11, v15, v11
	v_sub_u32_e32 v14, 29, v14
	v_and_b32_e32 v11, 7, v11
	v_cmp_eq_u16_e32 vcc, 0, v13
	v_cndmask_b32_e32 v11, v12, v11, vcc
	v_cndmask_b32_e32 v12, v13, v14, vcc
	v_lshlrev_b32_e32 v13, 16, v2
	v_mov_b32_e32 v14, 0x3b800000
	v_lshlrev_b32_e32 v11, 20, v11
	v_and_b32_e32 v13, 0x80000000, v13
	v_lshl_add_u32 v12, v12, 23, v14
	v_or3_b32 v12, v13, v12, v11
.LBB36_144:
	s_or_b64 exec, exec, s[6:7]
	s_nop 0
	v_mfma_f32_16x16x4f32 a[0:3], v10, v12, a[0:3]
	s_movk_i32 s4, 0xff
	v_and_b32_sdwa v11, v6, s4 dst_sel:DWORD dst_unused:UNUSED_PAD src0_sel:WORD_1 src1_sel:DWORD
	s_movk_i32 s4, 0x7f
	v_cmp_lt_i16_e32 vcc, s4, v11
	s_mov_b64 s[4:5], 0
                                        ; implicit-def: $sgpr10
	s_and_saveexec_b64 s[6:7], vcc
	s_xor_b64 s[6:7], exec, s[6:7]
	s_cbranch_execnz .LBB36_2193
; %bb.145:
	s_or_saveexec_b64 s[6:7], s[6:7]
	v_mov_b32_e32 v10, s10
	s_xor_b64 exec, exec, s[6:7]
	s_cbranch_execnz .LBB36_2196
.LBB36_146:
	s_or_b64 exec, exec, s[6:7]
	s_and_saveexec_b64 s[6:7], s[4:5]
	s_cbranch_execz .LBB36_148
.LBB36_147:
	v_bfe_u32 v10, v6, 16, 3
	v_ffbh_u32_e32 v13, v10
	v_min_u32_e32 v13, 32, v13
	v_lshrrev_b32_e32 v11, 19, v6
	v_subrev_u32_e32 v14, 28, v13
	v_and_b32_e32 v11, 15, v11
	v_lshlrev_b32_sdwa v14, v14, v6 dst_sel:DWORD dst_unused:UNUSED_PAD src0_sel:DWORD src1_sel:WORD_1
	v_bfe_u32 v12, v6, 19, 4
	v_sub_u32_e32 v13, 29, v13
	v_and_b32_e32 v14, 7, v14
	v_cmp_eq_u16_e32 vcc, 0, v11
	v_cndmask_b32_e32 v10, v10, v14, vcc
	v_cndmask_b32_e32 v11, v12, v13, vcc
	v_lshlrev_b32_e32 v12, 8, v6
	v_mov_b32_e32 v13, 0x3b800000
	v_lshlrev_b32_e32 v10, 20, v10
	v_and_b32_e32 v12, 0x80000000, v12
	v_lshl_add_u32 v11, v11, 23, v13
	v_or3_b32 v10, v12, v11, v10
.LBB36_148:
	s_or_b64 exec, exec, s[6:7]
	s_movk_i32 s4, 0xff
	v_and_b32_sdwa v11, v2, s4 dst_sel:DWORD dst_unused:UNUSED_PAD src0_sel:WORD_1 src1_sel:DWORD
	s_movk_i32 s4, 0x7f
	v_cmp_lt_i16_e32 vcc, s4, v11
	s_mov_b64 s[4:5], 0
                                        ; implicit-def: $sgpr10
	s_and_saveexec_b64 s[6:7], vcc
	s_xor_b64 s[6:7], exec, s[6:7]
	s_cbranch_execnz .LBB36_2197
; %bb.149:
	s_or_saveexec_b64 s[6:7], s[6:7]
	v_mov_b32_e32 v12, s10
	s_xor_b64 exec, exec, s[6:7]
	s_cbranch_execnz .LBB36_2200
.LBB36_150:
	s_or_b64 exec, exec, s[6:7]
	s_and_saveexec_b64 s[6:7], s[4:5]
	s_cbranch_execz .LBB36_152
.LBB36_151:
	v_bfe_u32 v11, v2, 16, 3
	v_ffbh_u32_e32 v14, v11
	v_min_u32_e32 v14, 32, v14
	v_lshrrev_b32_e32 v12, 19, v2
	v_subrev_u32_e32 v15, 28, v14
	v_and_b32_e32 v12, 15, v12
	v_lshlrev_b32_sdwa v15, v15, v2 dst_sel:DWORD dst_unused:UNUSED_PAD src0_sel:DWORD src1_sel:WORD_1
	v_bfe_u32 v13, v2, 19, 4
	v_sub_u32_e32 v14, 29, v14
	v_and_b32_e32 v15, 7, v15
	v_cmp_eq_u16_e32 vcc, 0, v12
	v_cndmask_b32_e32 v11, v11, v15, vcc
	v_cndmask_b32_e32 v12, v13, v14, vcc
	v_lshlrev_b32_e32 v13, 8, v2
	v_mov_b32_e32 v14, 0x3b800000
	v_lshlrev_b32_e32 v11, 20, v11
	v_and_b32_e32 v13, 0x80000000, v13
	v_lshl_add_u32 v12, v12, 23, v14
	v_or3_b32 v12, v13, v12, v11
.LBB36_152:
	s_or_b64 exec, exec, s[6:7]
	s_nop 0
	v_mfma_f32_16x16x4f32 a[0:3], v10, v12, a[0:3]
	s_movk_i32 s4, 0x7f
	v_cmp_gt_i16_sdwa s[6:7], v6, s4 src0_sel:BYTE_3 src1_sel:DWORD
	s_mov_b64 s[4:5], 0
                                        ; implicit-def: $sgpr10
	s_and_saveexec_b64 s[8:9], s[6:7]
	s_xor_b64 s[6:7], exec, s[8:9]
	s_cbranch_execnz .LBB36_2201
; %bb.153:
	s_or_saveexec_b64 s[6:7], s[6:7]
	v_mov_b32_e32 v10, s10
	s_xor_b64 exec, exec, s[6:7]
	s_cbranch_execnz .LBB36_2204
.LBB36_154:
	s_or_b64 exec, exec, s[6:7]
	s_and_saveexec_b64 s[6:7], s[4:5]
	s_cbranch_execz .LBB36_156
.LBB36_155:
	v_bfe_u32 v10, v6, 24, 3
	v_ffbh_u32_e32 v14, v10
	v_min_u32_e32 v14, 32, v14
	v_lshrrev_b32_e32 v12, 27, v6
	v_subrev_u32_e32 v15, 28, v14
	v_and_b32_e32 v11, 0x80000000, v6
	v_and_b32_e32 v12, 15, v12
	v_bfe_u32 v13, v6, 27, 4
	v_lshlrev_b32_sdwa v6, v15, v6 dst_sel:DWORD dst_unused:UNUSED_PAD src0_sel:DWORD src1_sel:BYTE_3
	v_sub_u32_e32 v14, 29, v14
	v_and_b32_e32 v6, 7, v6
	v_cmp_eq_u16_e32 vcc, 0, v12
	v_cndmask_b32_e32 v6, v10, v6, vcc
	v_cndmask_b32_e32 v10, v13, v14, vcc
	v_mov_b32_e32 v12, 0x3b800000
	v_lshlrev_b32_e32 v6, 20, v6
	v_lshl_add_u32 v10, v10, 23, v12
	v_or3_b32 v10, v11, v10, v6
.LBB36_156:
	s_or_b64 exec, exec, s[6:7]
	s_movk_i32 s4, 0x7f
	v_cmp_gt_i16_sdwa s[6:7], v2, s4 src0_sel:BYTE_3 src1_sel:DWORD
	s_mov_b64 s[4:5], 0
                                        ; implicit-def: $sgpr10
	s_and_saveexec_b64 s[8:9], s[6:7]
	s_xor_b64 s[6:7], exec, s[8:9]
	s_cbranch_execnz .LBB36_2205
; %bb.157:
	s_or_saveexec_b64 s[6:7], s[6:7]
	v_mov_b32_e32 v6, s10
	s_xor_b64 exec, exec, s[6:7]
	s_cbranch_execnz .LBB36_2208
.LBB36_158:
	s_or_b64 exec, exec, s[6:7]
	s_and_saveexec_b64 s[6:7], s[4:5]
	s_cbranch_execz .LBB36_160
.LBB36_159:
	v_bfe_u32 v6, v2, 24, 3
	v_ffbh_u32_e32 v14, v6
	v_min_u32_e32 v14, 32, v14
	v_lshrrev_b32_e32 v12, 27, v2
	v_subrev_u32_e32 v15, 28, v14
	v_and_b32_e32 v11, 0x80000000, v2
	v_and_b32_e32 v12, 15, v12
	v_bfe_u32 v13, v2, 27, 4
	v_lshlrev_b32_sdwa v2, v15, v2 dst_sel:DWORD dst_unused:UNUSED_PAD src0_sel:DWORD src1_sel:BYTE_3
	v_sub_u32_e32 v14, 29, v14
	v_and_b32_e32 v2, 7, v2
	v_cmp_eq_u16_e32 vcc, 0, v12
	v_cndmask_b32_e32 v2, v6, v2, vcc
	v_cndmask_b32_e32 v6, v13, v14, vcc
	v_mov_b32_e32 v12, 0x3b800000
	v_lshlrev_b32_e32 v2, 20, v2
	v_lshl_add_u32 v6, v6, 23, v12
	v_or3_b32 v6, v11, v6, v2
.LBB36_160:
	s_or_b64 exec, exec, s[6:7]
	s_nop 0
	v_mfma_f32_16x16x4f32 a[0:3], v10, v6, a[0:3]
	s_movk_i32 s4, 0x7f
	v_cmp_gt_i16_sdwa s[6:7], v7, s4 src0_sel:BYTE_0 src1_sel:DWORD
	s_mov_b64 s[4:5], 0
                                        ; implicit-def: $sgpr10
	s_and_saveexec_b64 s[8:9], s[6:7]
	s_xor_b64 s[6:7], exec, s[8:9]
	s_cbranch_execnz .LBB36_2209
; %bb.161:
	s_or_saveexec_b64 s[6:7], s[6:7]
	v_mov_b32_e32 v2, s10
	s_xor_b64 exec, exec, s[6:7]
	s_cbranch_execnz .LBB36_2212
.LBB36_162:
	s_or_b64 exec, exec, s[6:7]
	s_and_saveexec_b64 s[6:7], s[4:5]
	s_cbranch_execz .LBB36_164
.LBB36_163:
	v_and_b32_e32 v2, 7, v7
	v_ffbh_u32_e32 v10, v2
	v_min_u32_e32 v10, 32, v10
	v_lshrrev_b16_e32 v6, 3, v7
	v_subrev_u32_e32 v11, 28, v10
	v_and_b32_e32 v6, 15, v6
	v_lshlrev_b32_e32 v11, v11, v7
	v_sub_u32_e32 v10, 29, v10
	v_and_b32_e32 v11, 7, v11
	v_cmp_eq_u16_e32 vcc, 0, v6
	v_cndmask_b32_e32 v2, v2, v11, vcc
	v_cndmask_b32_e32 v6, v6, v10, vcc
	v_lshlrev_b32_e32 v10, 24, v7
	v_mov_b32_e32 v11, 0x3b800000
	v_lshlrev_b32_e32 v2, 20, v2
	v_and_b32_e32 v10, 0x80000000, v10
	v_lshl_add_u32 v6, v6, 23, v11
	v_or3_b32 v2, v10, v6, v2
.LBB36_164:
	s_or_b64 exec, exec, s[6:7]
	s_movk_i32 s4, 0x7f
	v_cmp_gt_i16_sdwa s[6:7], v3, s4 src0_sel:BYTE_0 src1_sel:DWORD
	s_mov_b64 s[4:5], 0
                                        ; implicit-def: $sgpr10
	s_and_saveexec_b64 s[8:9], s[6:7]
	s_xor_b64 s[6:7], exec, s[8:9]
	s_cbranch_execnz .LBB36_2213
; %bb.165:
	s_or_saveexec_b64 s[6:7], s[6:7]
	v_mov_b32_e32 v6, s10
	s_xor_b64 exec, exec, s[6:7]
	s_cbranch_execnz .LBB36_2216
.LBB36_166:
	s_or_b64 exec, exec, s[6:7]
	s_and_saveexec_b64 s[6:7], s[4:5]
	s_cbranch_execz .LBB36_168
.LBB36_167:
	v_and_b32_e32 v6, 7, v3
	v_ffbh_u32_e32 v11, v6
	v_min_u32_e32 v11, 32, v11
	v_lshrrev_b16_e32 v10, 3, v3
	v_subrev_u32_e32 v12, 28, v11
	v_and_b32_e32 v10, 15, v10
	v_lshlrev_b32_e32 v12, v12, v3
	v_sub_u32_e32 v11, 29, v11
	v_and_b32_e32 v12, 7, v12
	v_cmp_eq_u16_e32 vcc, 0, v10
	v_cndmask_b32_e32 v6, v6, v12, vcc
	v_cndmask_b32_e32 v10, v10, v11, vcc
	v_lshlrev_b32_e32 v11, 24, v3
	v_mov_b32_e32 v12, 0x3b800000
	v_lshlrev_b32_e32 v6, 20, v6
	v_and_b32_e32 v11, 0x80000000, v11
	v_lshl_add_u32 v10, v10, 23, v12
	v_or3_b32 v6, v11, v10, v6
.LBB36_168:
	s_or_b64 exec, exec, s[6:7]
	s_nop 0
	v_mfma_f32_16x16x4f32 a[0:3], v2, v6, a[0:3]
	v_lshrrev_b32_e32 v6, 8, v7
	s_movk_i32 s4, 0x7f
	v_cmp_gt_i16_sdwa s[6:7], v6, s4 src0_sel:BYTE_0 src1_sel:DWORD
	s_mov_b64 s[4:5], 0
                                        ; implicit-def: $sgpr10
	s_and_saveexec_b64 s[8:9], s[6:7]
	s_xor_b64 s[6:7], exec, s[8:9]
	s_cbranch_execnz .LBB36_2217
; %bb.169:
	s_or_saveexec_b64 s[6:7], s[6:7]
	v_mov_b32_e32 v2, s10
	s_xor_b64 exec, exec, s[6:7]
	s_cbranch_execnz .LBB36_2220
.LBB36_170:
	s_or_b64 exec, exec, s[6:7]
	s_and_saveexec_b64 s[6:7], s[4:5]
	s_cbranch_execz .LBB36_172
.LBB36_171:
	v_bfe_u32 v2, v7, 8, 3
	v_ffbh_u32_e32 v11, v2
	v_min_u32_e32 v11, 32, v11
	v_lshrrev_b16_e32 v10, 3, v6
	v_subrev_u32_e32 v12, 28, v11
	v_and_b32_e32 v10, 15, v10
	v_lshlrev_b32_e32 v6, v12, v6
	v_sub_u32_e32 v11, 29, v11
	v_and_b32_e32 v6, 7, v6
	v_cmp_eq_u16_e32 vcc, 0, v10
	v_cndmask_b32_e32 v2, v2, v6, vcc
	v_cndmask_b32_e32 v6, v10, v11, vcc
	v_lshlrev_b32_e32 v10, 16, v7
	v_mov_b32_e32 v11, 0x3b800000
	v_lshlrev_b32_e32 v2, 20, v2
	v_and_b32_e32 v10, 0x80000000, v10
	v_lshl_add_u32 v6, v6, 23, v11
	v_or3_b32 v2, v10, v6, v2
.LBB36_172:
	s_or_b64 exec, exec, s[6:7]
	v_lshrrev_b32_e32 v6, 8, v3
	s_movk_i32 s4, 0x7f
	v_cmp_gt_i16_sdwa s[6:7], v6, s4 src0_sel:BYTE_0 src1_sel:DWORD
	s_mov_b64 s[4:5], 0
                                        ; implicit-def: $sgpr10
	s_and_saveexec_b64 s[8:9], s[6:7]
	s_xor_b64 s[6:7], exec, s[8:9]
	s_cbranch_execnz .LBB36_2221
; %bb.173:
	s_or_saveexec_b64 s[6:7], s[6:7]
	v_mov_b32_e32 v10, s10
	s_xor_b64 exec, exec, s[6:7]
	s_cbranch_execnz .LBB36_2224
.LBB36_174:
	s_or_b64 exec, exec, s[6:7]
	s_and_saveexec_b64 s[6:7], s[4:5]
	s_cbranch_execz .LBB36_176
.LBB36_175:
	v_bfe_u32 v10, v3, 8, 3
	v_ffbh_u32_e32 v12, v10
	v_min_u32_e32 v12, 32, v12
	v_lshrrev_b16_e32 v11, 3, v6
	v_subrev_u32_e32 v13, 28, v12
	v_and_b32_e32 v11, 15, v11
	v_lshlrev_b32_e32 v6, v13, v6
	v_sub_u32_e32 v12, 29, v12
	v_and_b32_e32 v6, 7, v6
	v_cmp_eq_u16_e32 vcc, 0, v11
	v_cndmask_b32_e32 v6, v10, v6, vcc
	v_cndmask_b32_e32 v10, v11, v12, vcc
	v_lshlrev_b32_e32 v11, 16, v3
	v_mov_b32_e32 v12, 0x3b800000
	v_lshlrev_b32_e32 v6, 20, v6
	v_and_b32_e32 v11, 0x80000000, v11
	v_lshl_add_u32 v10, v10, 23, v12
	v_or3_b32 v10, v11, v10, v6
.LBB36_176:
	s_or_b64 exec, exec, s[6:7]
	s_nop 0
	v_mfma_f32_16x16x4f32 a[0:3], v2, v10, a[0:3]
	s_movk_i32 s4, 0xff
	v_and_b32_sdwa v6, v7, s4 dst_sel:DWORD dst_unused:UNUSED_PAD src0_sel:WORD_1 src1_sel:DWORD
	s_movk_i32 s4, 0x7f
	v_cmp_lt_i16_e32 vcc, s4, v6
	s_mov_b64 s[4:5], 0
                                        ; implicit-def: $sgpr10
	s_and_saveexec_b64 s[6:7], vcc
	s_xor_b64 s[6:7], exec, s[6:7]
	s_cbranch_execnz .LBB36_2225
; %bb.177:
	s_or_saveexec_b64 s[6:7], s[6:7]
	v_mov_b32_e32 v2, s10
	s_xor_b64 exec, exec, s[6:7]
	s_cbranch_execnz .LBB36_2228
.LBB36_178:
	s_or_b64 exec, exec, s[6:7]
	s_and_saveexec_b64 s[6:7], s[4:5]
	s_cbranch_execz .LBB36_180
.LBB36_179:
	v_bfe_u32 v2, v7, 16, 3
	v_ffbh_u32_e32 v11, v2
	v_min_u32_e32 v11, 32, v11
	v_lshrrev_b32_e32 v6, 19, v7
	v_subrev_u32_e32 v12, 28, v11
	v_and_b32_e32 v6, 15, v6
	v_lshlrev_b32_sdwa v12, v12, v7 dst_sel:DWORD dst_unused:UNUSED_PAD src0_sel:DWORD src1_sel:WORD_1
	v_bfe_u32 v10, v7, 19, 4
	v_sub_u32_e32 v11, 29, v11
	v_and_b32_e32 v12, 7, v12
	v_cmp_eq_u16_e32 vcc, 0, v6
	v_cndmask_b32_e32 v2, v2, v12, vcc
	v_cndmask_b32_e32 v6, v10, v11, vcc
	v_lshlrev_b32_e32 v10, 8, v7
	v_mov_b32_e32 v11, 0x3b800000
	v_lshlrev_b32_e32 v2, 20, v2
	v_and_b32_e32 v10, 0x80000000, v10
	v_lshl_add_u32 v6, v6, 23, v11
	v_or3_b32 v2, v10, v6, v2
.LBB36_180:
	s_or_b64 exec, exec, s[6:7]
	s_movk_i32 s4, 0xff
	v_and_b32_sdwa v6, v3, s4 dst_sel:DWORD dst_unused:UNUSED_PAD src0_sel:WORD_1 src1_sel:DWORD
	s_movk_i32 s4, 0x7f
	v_cmp_lt_i16_e32 vcc, s4, v6
	s_mov_b64 s[4:5], 0
                                        ; implicit-def: $sgpr10
	s_and_saveexec_b64 s[6:7], vcc
	s_xor_b64 s[6:7], exec, s[6:7]
	s_cbranch_execnz .LBB36_2229
; %bb.181:
	s_or_saveexec_b64 s[6:7], s[6:7]
	v_mov_b32_e32 v10, s10
	s_xor_b64 exec, exec, s[6:7]
	s_cbranch_execnz .LBB36_2232
.LBB36_182:
	s_or_b64 exec, exec, s[6:7]
	s_and_saveexec_b64 s[6:7], s[4:5]
	s_cbranch_execz .LBB36_184
.LBB36_183:
	v_bfe_u32 v6, v3, 16, 3
	v_ffbh_u32_e32 v12, v6
	v_min_u32_e32 v12, 32, v12
	v_lshrrev_b32_e32 v10, 19, v3
	v_subrev_u32_e32 v13, 28, v12
	v_and_b32_e32 v10, 15, v10
	v_lshlrev_b32_sdwa v13, v13, v3 dst_sel:DWORD dst_unused:UNUSED_PAD src0_sel:DWORD src1_sel:WORD_1
	v_bfe_u32 v11, v3, 19, 4
	v_sub_u32_e32 v12, 29, v12
	v_and_b32_e32 v13, 7, v13
	v_cmp_eq_u16_e32 vcc, 0, v10
	v_cndmask_b32_e32 v6, v6, v13, vcc
	v_cndmask_b32_e32 v10, v11, v12, vcc
	v_lshlrev_b32_e32 v11, 8, v3
	v_mov_b32_e32 v12, 0x3b800000
	v_lshlrev_b32_e32 v6, 20, v6
	v_and_b32_e32 v11, 0x80000000, v11
	v_lshl_add_u32 v10, v10, 23, v12
	v_or3_b32 v10, v11, v10, v6
.LBB36_184:
	s_or_b64 exec, exec, s[6:7]
	s_nop 0
	v_mfma_f32_16x16x4f32 a[0:3], v2, v10, a[0:3]
	s_movk_i32 s4, 0x7f
	v_cmp_gt_i16_sdwa s[6:7], v7, s4 src0_sel:BYTE_3 src1_sel:DWORD
	s_mov_b64 s[4:5], 0
                                        ; implicit-def: $sgpr10
	s_and_saveexec_b64 s[8:9], s[6:7]
	s_xor_b64 s[6:7], exec, s[8:9]
	s_cbranch_execnz .LBB36_2233
; %bb.185:
	s_or_saveexec_b64 s[6:7], s[6:7]
	v_mov_b32_e32 v2, s10
	s_xor_b64 exec, exec, s[6:7]
	s_cbranch_execnz .LBB36_2236
.LBB36_186:
	s_or_b64 exec, exec, s[6:7]
	s_and_saveexec_b64 s[6:7], s[4:5]
	s_cbranch_execz .LBB36_188
.LBB36_187:
	v_bfe_u32 v2, v7, 24, 3
	v_ffbh_u32_e32 v12, v2
	v_min_u32_e32 v12, 32, v12
	v_lshrrev_b32_e32 v10, 27, v7
	v_subrev_u32_e32 v13, 28, v12
	v_and_b32_e32 v6, 0x80000000, v7
	v_and_b32_e32 v10, 15, v10
	v_bfe_u32 v11, v7, 27, 4
	v_lshlrev_b32_sdwa v7, v13, v7 dst_sel:DWORD dst_unused:UNUSED_PAD src0_sel:DWORD src1_sel:BYTE_3
	v_sub_u32_e32 v12, 29, v12
	v_and_b32_e32 v7, 7, v7
	v_cmp_eq_u16_e32 vcc, 0, v10
	v_cndmask_b32_e32 v2, v2, v7, vcc
	v_cndmask_b32_e32 v7, v11, v12, vcc
	v_mov_b32_e32 v10, 0x3b800000
	v_lshlrev_b32_e32 v2, 20, v2
	v_lshl_add_u32 v7, v7, 23, v10
	v_or3_b32 v2, v6, v7, v2
.LBB36_188:
	s_or_b64 exec, exec, s[6:7]
	s_movk_i32 s4, 0x7f
	v_cmp_gt_i16_sdwa s[6:7], v3, s4 src0_sel:BYTE_3 src1_sel:DWORD
	s_mov_b64 s[4:5], 0
                                        ; implicit-def: $sgpr10
	s_and_saveexec_b64 s[8:9], s[6:7]
	s_xor_b64 s[6:7], exec, s[8:9]
	s_cbranch_execnz .LBB36_2237
; %bb.189:
	s_or_saveexec_b64 s[6:7], s[6:7]
	v_mov_b32_e32 v6, s10
	s_xor_b64 exec, exec, s[6:7]
	s_cbranch_execnz .LBB36_2240
.LBB36_190:
	s_or_b64 exec, exec, s[6:7]
	s_and_saveexec_b64 s[6:7], s[4:5]
	s_cbranch_execz .LBB36_192
.LBB36_191:
	v_bfe_u32 v6, v3, 24, 3
	v_ffbh_u32_e32 v12, v6
	v_min_u32_e32 v12, 32, v12
	v_lshrrev_b32_e32 v10, 27, v3
	v_subrev_u32_e32 v13, 28, v12
	v_and_b32_e32 v7, 0x80000000, v3
	v_and_b32_e32 v10, 15, v10
	v_bfe_u32 v11, v3, 27, 4
	v_lshlrev_b32_sdwa v3, v13, v3 dst_sel:DWORD dst_unused:UNUSED_PAD src0_sel:DWORD src1_sel:BYTE_3
	v_sub_u32_e32 v12, 29, v12
	v_and_b32_e32 v3, 7, v3
	v_cmp_eq_u16_e32 vcc, 0, v10
	v_cndmask_b32_e32 v3, v6, v3, vcc
	v_cndmask_b32_e32 v6, v11, v12, vcc
	v_mov_b32_e32 v10, 0x3b800000
	v_lshlrev_b32_e32 v3, 20, v3
	v_lshl_add_u32 v6, v6, 23, v10
	v_or3_b32 v6, v7, v6, v3
.LBB36_192:
	s_or_b64 exec, exec, s[6:7]
	s_nop 0
	v_mfma_f32_16x16x4f32 a[0:3], v2, v6, a[0:3]
	s_movk_i32 s4, 0x7f
	v_cmp_gt_i16_sdwa s[6:7], v8, s4 src0_sel:BYTE_0 src1_sel:DWORD
	s_mov_b64 s[4:5], 0
                                        ; implicit-def: $sgpr10
	s_and_saveexec_b64 s[8:9], s[6:7]
	s_xor_b64 s[6:7], exec, s[8:9]
	s_cbranch_execnz .LBB36_2241
; %bb.193:
	s_or_saveexec_b64 s[6:7], s[6:7]
	v_mov_b32_e32 v2, s10
	s_xor_b64 exec, exec, s[6:7]
	s_cbranch_execnz .LBB36_2244
.LBB36_194:
	s_or_b64 exec, exec, s[6:7]
	s_and_saveexec_b64 s[6:7], s[4:5]
	s_cbranch_execz .LBB36_196
.LBB36_195:
	v_and_b32_e32 v2, 7, v8
	v_ffbh_u32_e32 v6, v2
	v_min_u32_e32 v6, 32, v6
	v_lshrrev_b16_e32 v3, 3, v8
	v_subrev_u32_e32 v7, 28, v6
	v_and_b32_e32 v3, 15, v3
	v_lshlrev_b32_e32 v7, v7, v8
	v_sub_u32_e32 v6, 29, v6
	v_and_b32_e32 v7, 7, v7
	v_cmp_eq_u16_e32 vcc, 0, v3
	v_cndmask_b32_e32 v2, v2, v7, vcc
	v_cndmask_b32_e32 v3, v3, v6, vcc
	v_lshlrev_b32_e32 v6, 24, v8
	v_mov_b32_e32 v7, 0x3b800000
	v_lshlrev_b32_e32 v2, 20, v2
	v_and_b32_e32 v6, 0x80000000, v6
	v_lshl_add_u32 v3, v3, 23, v7
	v_or3_b32 v2, v6, v3, v2
.LBB36_196:
	s_or_b64 exec, exec, s[6:7]
	s_movk_i32 s4, 0x7f
	v_cmp_gt_i16_sdwa s[6:7], v4, s4 src0_sel:BYTE_0 src1_sel:DWORD
	s_mov_b64 s[4:5], 0
                                        ; implicit-def: $sgpr10
	s_and_saveexec_b64 s[8:9], s[6:7]
	s_xor_b64 s[6:7], exec, s[8:9]
	s_cbranch_execnz .LBB36_2245
; %bb.197:
	s_or_saveexec_b64 s[6:7], s[6:7]
	v_mov_b32_e32 v3, s10
	s_xor_b64 exec, exec, s[6:7]
	s_cbranch_execnz .LBB36_2248
.LBB36_198:
	s_or_b64 exec, exec, s[6:7]
	s_and_saveexec_b64 s[6:7], s[4:5]
	s_cbranch_execz .LBB36_200
.LBB36_199:
	v_and_b32_e32 v3, 7, v4
	v_ffbh_u32_e32 v7, v3
	v_min_u32_e32 v7, 32, v7
	v_lshrrev_b16_e32 v6, 3, v4
	v_subrev_u32_e32 v10, 28, v7
	v_and_b32_e32 v6, 15, v6
	v_lshlrev_b32_e32 v10, v10, v4
	v_sub_u32_e32 v7, 29, v7
	v_and_b32_e32 v10, 7, v10
	v_cmp_eq_u16_e32 vcc, 0, v6
	v_cndmask_b32_e32 v3, v3, v10, vcc
	v_cndmask_b32_e32 v6, v6, v7, vcc
	v_lshlrev_b32_e32 v7, 24, v4
	v_mov_b32_e32 v10, 0x3b800000
	v_lshlrev_b32_e32 v3, 20, v3
	v_and_b32_e32 v7, 0x80000000, v7
	v_lshl_add_u32 v6, v6, 23, v10
	v_or3_b32 v3, v7, v6, v3
.LBB36_200:
	s_or_b64 exec, exec, s[6:7]
	s_nop 0
	v_mfma_f32_16x16x4f32 a[0:3], v2, v3, a[0:3]
	v_lshrrev_b32_e32 v3, 8, v8
	s_movk_i32 s4, 0x7f
	v_cmp_gt_i16_sdwa s[6:7], v3, s4 src0_sel:BYTE_0 src1_sel:DWORD
	s_mov_b64 s[4:5], 0
                                        ; implicit-def: $sgpr10
	s_and_saveexec_b64 s[8:9], s[6:7]
	s_xor_b64 s[6:7], exec, s[8:9]
	s_cbranch_execnz .LBB36_2249
; %bb.201:
	s_or_saveexec_b64 s[6:7], s[6:7]
	v_mov_b32_e32 v2, s10
	s_xor_b64 exec, exec, s[6:7]
	s_cbranch_execnz .LBB36_2252
.LBB36_202:
	s_or_b64 exec, exec, s[6:7]
	s_and_saveexec_b64 s[6:7], s[4:5]
	s_cbranch_execz .LBB36_204
.LBB36_203:
	v_bfe_u32 v2, v8, 8, 3
	v_ffbh_u32_e32 v7, v2
	v_min_u32_e32 v7, 32, v7
	v_lshrrev_b16_e32 v6, 3, v3
	v_subrev_u32_e32 v10, 28, v7
	v_and_b32_e32 v6, 15, v6
	v_lshlrev_b32_e32 v3, v10, v3
	v_sub_u32_e32 v7, 29, v7
	v_and_b32_e32 v3, 7, v3
	v_cmp_eq_u16_e32 vcc, 0, v6
	v_cndmask_b32_e32 v2, v2, v3, vcc
	v_cndmask_b32_e32 v3, v6, v7, vcc
	v_lshlrev_b32_e32 v6, 16, v8
	v_mov_b32_e32 v7, 0x3b800000
	v_lshlrev_b32_e32 v2, 20, v2
	v_and_b32_e32 v6, 0x80000000, v6
	v_lshl_add_u32 v3, v3, 23, v7
	v_or3_b32 v2, v6, v3, v2
.LBB36_204:
	s_or_b64 exec, exec, s[6:7]
	v_lshrrev_b32_e32 v3, 8, v4
	s_movk_i32 s4, 0x7f
	v_cmp_gt_i16_sdwa s[6:7], v3, s4 src0_sel:BYTE_0 src1_sel:DWORD
	s_mov_b64 s[4:5], 0
                                        ; implicit-def: $sgpr10
	s_and_saveexec_b64 s[8:9], s[6:7]
	s_xor_b64 s[6:7], exec, s[8:9]
	s_cbranch_execnz .LBB36_2253
; %bb.205:
	s_or_saveexec_b64 s[6:7], s[6:7]
	v_mov_b32_e32 v6, s10
	s_xor_b64 exec, exec, s[6:7]
	s_cbranch_execnz .LBB36_2256
.LBB36_206:
	s_or_b64 exec, exec, s[6:7]
	s_and_saveexec_b64 s[6:7], s[4:5]
	s_cbranch_execz .LBB36_208
.LBB36_207:
	v_bfe_u32 v6, v4, 8, 3
	v_ffbh_u32_e32 v10, v6
	v_min_u32_e32 v10, 32, v10
	v_lshrrev_b16_e32 v7, 3, v3
	v_subrev_u32_e32 v11, 28, v10
	v_and_b32_e32 v7, 15, v7
	v_lshlrev_b32_e32 v3, v11, v3
	v_sub_u32_e32 v10, 29, v10
	v_and_b32_e32 v3, 7, v3
	v_cmp_eq_u16_e32 vcc, 0, v7
	v_cndmask_b32_e32 v3, v6, v3, vcc
	v_cndmask_b32_e32 v6, v7, v10, vcc
	v_lshlrev_b32_e32 v7, 16, v4
	v_mov_b32_e32 v10, 0x3b800000
	v_lshlrev_b32_e32 v3, 20, v3
	v_and_b32_e32 v7, 0x80000000, v7
	v_lshl_add_u32 v6, v6, 23, v10
	v_or3_b32 v6, v7, v6, v3
.LBB36_208:
	s_or_b64 exec, exec, s[6:7]
	s_nop 0
	v_mfma_f32_16x16x4f32 a[0:3], v2, v6, a[0:3]
	s_movk_i32 s4, 0xff
	v_and_b32_sdwa v3, v8, s4 dst_sel:DWORD dst_unused:UNUSED_PAD src0_sel:WORD_1 src1_sel:DWORD
	s_movk_i32 s4, 0x7f
	v_cmp_lt_i16_e32 vcc, s4, v3
	s_mov_b64 s[4:5], 0
                                        ; implicit-def: $sgpr10
	s_and_saveexec_b64 s[6:7], vcc
	s_xor_b64 s[6:7], exec, s[6:7]
	s_cbranch_execnz .LBB36_2257
; %bb.209:
	s_or_saveexec_b64 s[6:7], s[6:7]
	v_mov_b32_e32 v2, s10
	s_xor_b64 exec, exec, s[6:7]
	s_cbranch_execnz .LBB36_2260
.LBB36_210:
	s_or_b64 exec, exec, s[6:7]
	s_and_saveexec_b64 s[6:7], s[4:5]
	s_cbranch_execz .LBB36_212
.LBB36_211:
	v_bfe_u32 v2, v8, 16, 3
	v_ffbh_u32_e32 v7, v2
	v_min_u32_e32 v7, 32, v7
	v_lshrrev_b32_e32 v3, 19, v8
	v_subrev_u32_e32 v10, 28, v7
	v_and_b32_e32 v3, 15, v3
	v_lshlrev_b32_sdwa v10, v10, v8 dst_sel:DWORD dst_unused:UNUSED_PAD src0_sel:DWORD src1_sel:WORD_1
	v_bfe_u32 v6, v8, 19, 4
	v_sub_u32_e32 v7, 29, v7
	v_and_b32_e32 v10, 7, v10
	v_cmp_eq_u16_e32 vcc, 0, v3
	v_cndmask_b32_e32 v2, v2, v10, vcc
	v_cndmask_b32_e32 v3, v6, v7, vcc
	v_lshlrev_b32_e32 v6, 8, v8
	v_mov_b32_e32 v7, 0x3b800000
	v_lshlrev_b32_e32 v2, 20, v2
	v_and_b32_e32 v6, 0x80000000, v6
	v_lshl_add_u32 v3, v3, 23, v7
	v_or3_b32 v2, v6, v3, v2
.LBB36_212:
	s_or_b64 exec, exec, s[6:7]
	s_movk_i32 s4, 0xff
	v_and_b32_sdwa v3, v4, s4 dst_sel:DWORD dst_unused:UNUSED_PAD src0_sel:WORD_1 src1_sel:DWORD
	s_movk_i32 s4, 0x7f
	v_cmp_lt_i16_e32 vcc, s4, v3
	s_mov_b64 s[4:5], 0
                                        ; implicit-def: $sgpr10
	s_and_saveexec_b64 s[6:7], vcc
	s_xor_b64 s[6:7], exec, s[6:7]
	s_cbranch_execnz .LBB36_2261
; %bb.213:
	s_or_saveexec_b64 s[6:7], s[6:7]
	v_mov_b32_e32 v6, s10
	s_xor_b64 exec, exec, s[6:7]
	s_cbranch_execnz .LBB36_2264
.LBB36_214:
	s_or_b64 exec, exec, s[6:7]
	s_and_saveexec_b64 s[6:7], s[4:5]
	s_cbranch_execz .LBB36_216
.LBB36_215:
	v_bfe_u32 v3, v4, 16, 3
	v_ffbh_u32_e32 v10, v3
	v_min_u32_e32 v10, 32, v10
	v_lshrrev_b32_e32 v6, 19, v4
	v_subrev_u32_e32 v11, 28, v10
	v_and_b32_e32 v6, 15, v6
	v_lshlrev_b32_sdwa v11, v11, v4 dst_sel:DWORD dst_unused:UNUSED_PAD src0_sel:DWORD src1_sel:WORD_1
	v_bfe_u32 v7, v4, 19, 4
	v_sub_u32_e32 v10, 29, v10
	v_and_b32_e32 v11, 7, v11
	v_cmp_eq_u16_e32 vcc, 0, v6
	v_cndmask_b32_e32 v3, v3, v11, vcc
	v_cndmask_b32_e32 v6, v7, v10, vcc
	v_lshlrev_b32_e32 v7, 8, v4
	v_mov_b32_e32 v10, 0x3b800000
	v_lshlrev_b32_e32 v3, 20, v3
	v_and_b32_e32 v7, 0x80000000, v7
	v_lshl_add_u32 v6, v6, 23, v10
	v_or3_b32 v6, v7, v6, v3
.LBB36_216:
	s_or_b64 exec, exec, s[6:7]
	s_nop 0
	v_mfma_f32_16x16x4f32 a[0:3], v2, v6, a[0:3]
	s_movk_i32 s4, 0x7f
	v_cmp_gt_i16_sdwa s[6:7], v8, s4 src0_sel:BYTE_3 src1_sel:DWORD
	s_mov_b64 s[4:5], 0
                                        ; implicit-def: $sgpr10
	s_and_saveexec_b64 s[8:9], s[6:7]
	s_xor_b64 s[6:7], exec, s[8:9]
	s_cbranch_execnz .LBB36_2265
; %bb.217:
	s_or_saveexec_b64 s[6:7], s[6:7]
	v_mov_b32_e32 v2, s10
	s_xor_b64 exec, exec, s[6:7]
	s_cbranch_execnz .LBB36_2268
.LBB36_218:
	s_or_b64 exec, exec, s[6:7]
	s_and_saveexec_b64 s[6:7], s[4:5]
	s_cbranch_execz .LBB36_220
.LBB36_219:
	v_bfe_u32 v2, v8, 24, 3
	v_ffbh_u32_e32 v10, v2
	v_min_u32_e32 v10, 32, v10
	v_lshrrev_b32_e32 v6, 27, v8
	v_subrev_u32_e32 v11, 28, v10
	v_and_b32_e32 v3, 0x80000000, v8
	v_and_b32_e32 v6, 15, v6
	v_bfe_u32 v7, v8, 27, 4
	v_lshlrev_b32_sdwa v8, v11, v8 dst_sel:DWORD dst_unused:UNUSED_PAD src0_sel:DWORD src1_sel:BYTE_3
	v_sub_u32_e32 v10, 29, v10
	v_and_b32_e32 v8, 7, v8
	v_cmp_eq_u16_e32 vcc, 0, v6
	v_cndmask_b32_e32 v2, v2, v8, vcc
	v_cndmask_b32_e32 v6, v7, v10, vcc
	v_mov_b32_e32 v7, 0x3b800000
	v_lshlrev_b32_e32 v2, 20, v2
	v_lshl_add_u32 v6, v6, 23, v7
	v_or3_b32 v2, v3, v6, v2
.LBB36_220:
	s_or_b64 exec, exec, s[6:7]
	s_movk_i32 s4, 0x7f
	v_cmp_gt_i16_sdwa s[6:7], v4, s4 src0_sel:BYTE_3 src1_sel:DWORD
	s_mov_b64 s[4:5], 0
                                        ; implicit-def: $sgpr10
	s_and_saveexec_b64 s[8:9], s[6:7]
	s_xor_b64 s[6:7], exec, s[8:9]
	s_cbranch_execnz .LBB36_2269
; %bb.221:
	s_or_saveexec_b64 s[6:7], s[6:7]
	v_mov_b32_e32 v3, s10
	s_xor_b64 exec, exec, s[6:7]
	s_cbranch_execnz .LBB36_2272
.LBB36_222:
	s_or_b64 exec, exec, s[6:7]
	s_and_saveexec_b64 s[6:7], s[4:5]
	s_cbranch_execz .LBB36_224
.LBB36_223:
	v_bfe_u32 v3, v4, 24, 3
	v_ffbh_u32_e32 v10, v3
	v_min_u32_e32 v10, 32, v10
	v_lshrrev_b32_e32 v7, 27, v4
	v_subrev_u32_e32 v11, 28, v10
	v_and_b32_e32 v6, 0x80000000, v4
	v_and_b32_e32 v7, 15, v7
	v_bfe_u32 v8, v4, 27, 4
	v_lshlrev_b32_sdwa v4, v11, v4 dst_sel:DWORD dst_unused:UNUSED_PAD src0_sel:DWORD src1_sel:BYTE_3
	v_sub_u32_e32 v10, 29, v10
	v_and_b32_e32 v4, 7, v4
	v_cmp_eq_u16_e32 vcc, 0, v7
	v_cndmask_b32_e32 v3, v3, v4, vcc
	v_cndmask_b32_e32 v4, v8, v10, vcc
	v_mov_b32_e32 v7, 0x3b800000
	v_lshlrev_b32_e32 v3, 20, v3
	v_lshl_add_u32 v4, v4, 23, v7
	v_or3_b32 v3, v6, v4, v3
.LBB36_224:
	s_or_b64 exec, exec, s[6:7]
	s_nop 0
	v_mfma_f32_16x16x4f32 a[0:3], v2, v3, a[0:3]
	s_movk_i32 s4, 0x7f
	v_cmp_gt_i16_sdwa s[6:7], v9, s4 src0_sel:BYTE_0 src1_sel:DWORD
	s_mov_b64 s[4:5], 0
                                        ; implicit-def: $sgpr10
	s_and_saveexec_b64 s[8:9], s[6:7]
	s_xor_b64 s[6:7], exec, s[8:9]
	s_cbranch_execnz .LBB36_2273
; %bb.225:
	s_or_saveexec_b64 s[6:7], s[6:7]
	v_mov_b32_e32 v2, s10
	s_xor_b64 exec, exec, s[6:7]
	s_cbranch_execnz .LBB36_2276
.LBB36_226:
	s_or_b64 exec, exec, s[6:7]
	s_and_saveexec_b64 s[6:7], s[4:5]
	s_cbranch_execz .LBB36_228
.LBB36_227:
	v_mov_b32_e32 v2, 8
	v_and_b32_e32 v3, 7, v9
	v_lshrrev_b32_sdwa v2, v2, v9 dst_sel:BYTE_1 dst_unused:UNUSED_PAD src0_sel:DWORD src1_sel:DWORD
	v_ffbh_u32_e32 v4, v3
	v_or_b32_sdwa v2, v9, v2 dst_sel:DWORD dst_unused:UNUSED_PAD src0_sel:BYTE_0 src1_sel:DWORD
	v_min_u32_e32 v4, 32, v4
	v_lshrrev_b16_e32 v2, 3, v2
	v_subrev_u32_e32 v6, 28, v4
	v_and_b32_e32 v2, 15, v2
	v_lshlrev_b32_e32 v6, v6, v9
	v_sub_u32_e32 v4, 29, v4
	v_and_b32_e32 v6, 7, v6
	v_cmp_eq_u16_e32 vcc, 0, v2
	v_cndmask_b32_e32 v3, v3, v6, vcc
	v_cndmask_b32_e32 v2, v2, v4, vcc
	v_lshlrev_b32_e32 v4, 24, v9
	v_mov_b32_e32 v6, 0x3b800000
	v_lshlrev_b32_e32 v3, 20, v3
	v_and_b32_e32 v4, 0x80000000, v4
	v_lshl_add_u32 v2, v2, 23, v6
	v_or3_b32 v2, v4, v2, v3
.LBB36_228:
	s_or_b64 exec, exec, s[6:7]
	s_movk_i32 s4, 0x7f
	v_cmp_gt_i16_sdwa s[6:7], v5, s4 src0_sel:BYTE_0 src1_sel:DWORD
	s_mov_b64 s[4:5], 0
                                        ; implicit-def: $sgpr10
	s_and_saveexec_b64 s[8:9], s[6:7]
	s_xor_b64 s[6:7], exec, s[8:9]
	s_cbranch_execnz .LBB36_2277
; %bb.229:
	s_or_saveexec_b64 s[6:7], s[6:7]
	v_mov_b32_e32 v3, s10
	s_xor_b64 exec, exec, s[6:7]
	s_cbranch_execnz .LBB36_2280
.LBB36_230:
	s_or_b64 exec, exec, s[6:7]
	s_and_saveexec_b64 s[6:7], s[4:5]
	s_cbranch_execz .LBB36_232
.LBB36_231:
	v_mov_b32_e32 v3, 8
	v_and_b32_e32 v4, 7, v5
	v_lshrrev_b32_sdwa v3, v3, v5 dst_sel:BYTE_1 dst_unused:UNUSED_PAD src0_sel:DWORD src1_sel:DWORD
	v_ffbh_u32_e32 v6, v4
	v_or_b32_sdwa v3, v5, v3 dst_sel:DWORD dst_unused:UNUSED_PAD src0_sel:BYTE_0 src1_sel:DWORD
	v_min_u32_e32 v6, 32, v6
	v_lshrrev_b16_e32 v3, 3, v3
	v_subrev_u32_e32 v7, 28, v6
	v_and_b32_e32 v3, 15, v3
	v_lshlrev_b32_e32 v7, v7, v5
	v_sub_u32_e32 v6, 29, v6
	v_and_b32_e32 v7, 7, v7
	v_cmp_eq_u16_e32 vcc, 0, v3
	v_cndmask_b32_e32 v4, v4, v7, vcc
	v_cndmask_b32_e32 v3, v3, v6, vcc
	v_lshlrev_b32_e32 v6, 24, v5
	v_mov_b32_e32 v7, 0x3b800000
	v_lshlrev_b32_e32 v4, 20, v4
	v_and_b32_e32 v6, 0x80000000, v6
	v_lshl_add_u32 v3, v3, 23, v7
	v_or3_b32 v3, v6, v3, v4
.LBB36_232:
	s_or_b64 exec, exec, s[6:7]
	s_nop 0
	v_mfma_f32_16x16x4f32 a[0:3], v2, v3, a[0:3]
	v_lshrrev_b32_e32 v3, 8, v9
	s_movk_i32 s4, 0x7f
	v_cmp_gt_i16_sdwa s[6:7], v3, s4 src0_sel:BYTE_0 src1_sel:DWORD
	s_mov_b64 s[4:5], 0
                                        ; implicit-def: $sgpr10
	s_and_saveexec_b64 s[8:9], s[6:7]
	s_xor_b64 s[6:7], exec, s[8:9]
	s_cbranch_execnz .LBB36_2281
; %bb.233:
	s_or_saveexec_b64 s[6:7], s[6:7]
	v_mov_b32_e32 v2, s10
	s_xor_b64 exec, exec, s[6:7]
	s_cbranch_execnz .LBB36_2284
.LBB36_234:
	s_or_b64 exec, exec, s[6:7]
	s_and_saveexec_b64 s[6:7], s[4:5]
	s_cbranch_execz .LBB36_236
.LBB36_235:
	v_bfe_u32 v2, v9, 8, 3
	v_ffbh_u32_e32 v6, v2
	v_min_u32_e32 v6, 32, v6
	v_lshrrev_b16_e32 v4, 3, v3
	v_subrev_u32_e32 v7, 28, v6
	v_and_b32_e32 v4, 15, v4
	v_lshlrev_b32_e32 v3, v7, v3
	v_sub_u32_e32 v6, 29, v6
	v_and_b32_e32 v3, 7, v3
	v_cmp_eq_u16_e32 vcc, 0, v4
	v_cndmask_b32_e32 v2, v2, v3, vcc
	v_cndmask_b32_e32 v3, v4, v6, vcc
	v_lshlrev_b32_e32 v4, 16, v9
	v_mov_b32_e32 v6, 0x3b800000
	v_lshlrev_b32_e32 v2, 20, v2
	v_and_b32_e32 v4, 0x80000000, v4
	v_lshl_add_u32 v3, v3, 23, v6
	v_or3_b32 v2, v4, v3, v2
.LBB36_236:
	s_or_b64 exec, exec, s[6:7]
	v_lshrrev_b32_e32 v3, 8, v5
	s_movk_i32 s4, 0x7f
	v_cmp_gt_i16_sdwa s[6:7], v3, s4 src0_sel:BYTE_0 src1_sel:DWORD
	s_mov_b64 s[4:5], 0
                                        ; implicit-def: $sgpr10
	s_and_saveexec_b64 s[8:9], s[6:7]
	s_xor_b64 s[6:7], exec, s[8:9]
	s_cbranch_execnz .LBB36_2285
; %bb.237:
	s_or_saveexec_b64 s[6:7], s[6:7]
	v_mov_b32_e32 v4, s10
	s_xor_b64 exec, exec, s[6:7]
	s_cbranch_execnz .LBB36_2288
.LBB36_238:
	s_or_b64 exec, exec, s[6:7]
	s_and_saveexec_b64 s[6:7], s[4:5]
	s_cbranch_execz .LBB36_240
.LBB36_239:
	v_bfe_u32 v4, v5, 8, 3
	v_ffbh_u32_e32 v7, v4
	v_min_u32_e32 v7, 32, v7
	v_lshrrev_b16_e32 v6, 3, v3
	v_subrev_u32_e32 v8, 28, v7
	v_and_b32_e32 v6, 15, v6
	v_lshlrev_b32_e32 v3, v8, v3
	v_sub_u32_e32 v7, 29, v7
	v_and_b32_e32 v3, 7, v3
	v_cmp_eq_u16_e32 vcc, 0, v6
	v_cndmask_b32_e32 v3, v4, v3, vcc
	v_cndmask_b32_e32 v4, v6, v7, vcc
	v_lshlrev_b32_e32 v6, 16, v5
	v_mov_b32_e32 v7, 0x3b800000
	v_lshlrev_b32_e32 v3, 20, v3
	v_and_b32_e32 v6, 0x80000000, v6
	v_lshl_add_u32 v4, v4, 23, v7
	v_or3_b32 v4, v6, v4, v3
.LBB36_240:
	s_or_b64 exec, exec, s[6:7]
	s_nop 0
	v_mfma_f32_16x16x4f32 a[0:3], v2, v4, a[0:3]
	s_movk_i32 s4, 0xff
	v_and_b32_sdwa v3, v9, s4 dst_sel:DWORD dst_unused:UNUSED_PAD src0_sel:WORD_1 src1_sel:DWORD
	s_movk_i32 s4, 0x7f
	v_cmp_lt_i16_e32 vcc, s4, v3
	s_mov_b64 s[4:5], 0
                                        ; implicit-def: $sgpr10
	s_and_saveexec_b64 s[6:7], vcc
	s_xor_b64 s[6:7], exec, s[6:7]
	s_cbranch_execnz .LBB36_2289
; %bb.241:
	s_or_saveexec_b64 s[6:7], s[6:7]
	v_mov_b32_e32 v2, s10
	s_xor_b64 exec, exec, s[6:7]
	s_cbranch_execnz .LBB36_2292
.LBB36_242:
	s_or_b64 exec, exec, s[6:7]
	s_and_saveexec_b64 s[6:7], s[4:5]
	s_cbranch_execz .LBB36_244
.LBB36_243:
	v_bfe_u32 v2, v9, 16, 3
	v_ffbh_u32_e32 v6, v2
	v_min_u32_e32 v6, 32, v6
	v_lshrrev_b32_e32 v3, 19, v9
	v_subrev_u32_e32 v7, 28, v6
	v_and_b32_e32 v3, 15, v3
	v_lshlrev_b32_sdwa v7, v7, v9 dst_sel:DWORD dst_unused:UNUSED_PAD src0_sel:DWORD src1_sel:WORD_1
	v_bfe_u32 v4, v9, 19, 4
	v_sub_u32_e32 v6, 29, v6
	v_and_b32_e32 v7, 7, v7
	v_cmp_eq_u16_e32 vcc, 0, v3
	v_cndmask_b32_e32 v2, v2, v7, vcc
	v_cndmask_b32_e32 v3, v4, v6, vcc
	v_lshlrev_b32_e32 v4, 8, v9
	v_mov_b32_e32 v6, 0x3b800000
	v_lshlrev_b32_e32 v2, 20, v2
	v_and_b32_e32 v4, 0x80000000, v4
	v_lshl_add_u32 v3, v3, 23, v6
	v_or3_b32 v2, v4, v3, v2
.LBB36_244:
	s_or_b64 exec, exec, s[6:7]
	s_movk_i32 s4, 0xff
	v_and_b32_sdwa v3, v5, s4 dst_sel:DWORD dst_unused:UNUSED_PAD src0_sel:WORD_1 src1_sel:DWORD
	s_movk_i32 s4, 0x7f
	v_cmp_lt_i16_e32 vcc, s4, v3
	s_mov_b64 s[4:5], 0
                                        ; implicit-def: $sgpr10
	s_and_saveexec_b64 s[6:7], vcc
	s_xor_b64 s[6:7], exec, s[6:7]
	s_cbranch_execnz .LBB36_2293
; %bb.245:
	s_or_saveexec_b64 s[6:7], s[6:7]
	v_mov_b32_e32 v4, s10
	s_xor_b64 exec, exec, s[6:7]
	s_cbranch_execnz .LBB36_2296
.LBB36_246:
	s_or_b64 exec, exec, s[6:7]
	s_and_saveexec_b64 s[6:7], s[4:5]
	s_cbranch_execz .LBB36_248
.LBB36_247:
	v_bfe_u32 v3, v5, 16, 3
	v_ffbh_u32_e32 v7, v3
	v_min_u32_e32 v7, 32, v7
	v_lshrrev_b32_e32 v4, 19, v5
	v_subrev_u32_e32 v8, 28, v7
	v_and_b32_e32 v4, 15, v4
	v_lshlrev_b32_sdwa v8, v8, v5 dst_sel:DWORD dst_unused:UNUSED_PAD src0_sel:DWORD src1_sel:WORD_1
	v_bfe_u32 v6, v5, 19, 4
	v_sub_u32_e32 v7, 29, v7
	v_and_b32_e32 v8, 7, v8
	v_cmp_eq_u16_e32 vcc, 0, v4
	v_cndmask_b32_e32 v3, v3, v8, vcc
	v_cndmask_b32_e32 v4, v6, v7, vcc
	v_lshlrev_b32_e32 v6, 8, v5
	v_mov_b32_e32 v7, 0x3b800000
	v_lshlrev_b32_e32 v3, 20, v3
	v_and_b32_e32 v6, 0x80000000, v6
	v_lshl_add_u32 v4, v4, 23, v7
	v_or3_b32 v4, v6, v4, v3
.LBB36_248:
	s_or_b64 exec, exec, s[6:7]
	s_nop 0
	v_mfma_f32_16x16x4f32 a[0:3], v2, v4, a[0:3]
	s_movk_i32 s4, 0x7f
	v_cmp_gt_i16_sdwa s[6:7], v9, s4 src0_sel:BYTE_3 src1_sel:DWORD
	s_mov_b64 s[4:5], 0
                                        ; implicit-def: $sgpr10
	s_and_saveexec_b64 s[8:9], s[6:7]
	s_xor_b64 s[6:7], exec, s[8:9]
	s_cbranch_execnz .LBB36_2297
; %bb.249:
	s_or_saveexec_b64 s[6:7], s[6:7]
	v_mov_b32_e32 v2, s10
	s_xor_b64 exec, exec, s[6:7]
	s_cbranch_execnz .LBB36_2300
.LBB36_250:
	s_or_b64 exec, exec, s[6:7]
	s_and_saveexec_b64 s[6:7], s[4:5]
	s_cbranch_execz .LBB36_252
.LBB36_251:
	v_bfe_u32 v2, v9, 24, 3
	v_ffbh_u32_e32 v7, v2
	v_min_u32_e32 v7, 32, v7
	v_lshrrev_b32_e32 v4, 27, v9
	v_subrev_u32_e32 v8, 28, v7
	v_and_b32_e32 v4, 15, v4
	v_lshlrev_b32_sdwa v8, v8, v9 dst_sel:DWORD dst_unused:UNUSED_PAD src0_sel:DWORD src1_sel:BYTE_3
	v_bfe_u32 v6, v9, 27, 4
	v_sub_u32_e32 v7, 29, v7
	v_and_b32_e32 v8, 7, v8
	v_cmp_eq_u16_e32 vcc, 0, v4
	v_cndmask_b32_e32 v2, v2, v8, vcc
	v_cndmask_b32_e32 v4, v6, v7, vcc
	v_mov_b32_e32 v6, 0x3b800000
	v_and_b32_e32 v3, 0x80000000, v9
	v_lshlrev_b32_e32 v2, 20, v2
	v_lshl_add_u32 v4, v4, 23, v6
	v_or3_b32 v2, v3, v4, v2
.LBB36_252:
	s_or_b64 exec, exec, s[6:7]
	s_movk_i32 s4, 0x7f
	v_cmp_gt_i16_sdwa s[6:7], v5, s4 src0_sel:BYTE_3 src1_sel:DWORD
	s_mov_b64 s[4:5], 0
                                        ; implicit-def: $sgpr10
	s_and_saveexec_b64 s[8:9], s[6:7]
	s_xor_b64 s[6:7], exec, s[8:9]
	s_cbranch_execnz .LBB36_2301
; %bb.253:
	s_or_saveexec_b64 s[6:7], s[6:7]
	v_mov_b32_e32 v3, s10
	s_xor_b64 exec, exec, s[6:7]
	s_cbranch_execnz .LBB36_2304
.LBB36_254:
	s_or_b64 exec, exec, s[6:7]
	s_and_saveexec_b64 s[6:7], s[4:5]
	s_cbranch_execz .LBB36_256
.LBB36_255:
	v_bfe_u32 v3, v5, 24, 3
	v_ffbh_u32_e32 v8, v3
	v_min_u32_e32 v8, 32, v8
	v_lshrrev_b32_e32 v6, 27, v5
	v_subrev_u32_e32 v9, 28, v8
	v_and_b32_e32 v4, 0x80000000, v5
	v_and_b32_e32 v6, 15, v6
	v_bfe_u32 v7, v5, 27, 4
	v_lshlrev_b32_sdwa v5, v9, v5 dst_sel:DWORD dst_unused:UNUSED_PAD src0_sel:DWORD src1_sel:BYTE_3
	v_sub_u32_e32 v8, 29, v8
	v_and_b32_e32 v5, 7, v5
	v_cmp_eq_u16_e32 vcc, 0, v6
	v_cndmask_b32_e32 v3, v3, v5, vcc
	v_cndmask_b32_e32 v5, v7, v8, vcc
	v_mov_b32_e32 v6, 0x3b800000
	v_lshlrev_b32_e32 v3, 20, v3
	v_lshl_add_u32 v5, v5, 23, v6
	v_or3_b32 v3, v4, v5, v3
.LBB36_256:
	s_or_b64 exec, exec, s[6:7]
	s_nop 0
	v_mfma_f32_16x16x4f32 a[0:3], v2, v3, a[0:3]
	s_movk_i32 s4, 0x7f
                                        ; implicit-def: $sgpr10
	s_nop 7
	s_nop 1
	flat_store_dwordx4 v[18:19], a[0:3]
	flat_load_dwordx4 v[20:23], v[0:1] offset:16
	s_nop 0
	flat_load_dwordx2 v[18:19], v[0:1] offset:32
	s_waitcnt vmcnt(0) lgkmcnt(0)
	flat_load_dwordx4 v[14:17], v[20:21]
	flat_load_dwordx4 v[6:9], v[20:21] offset:16
	flat_load_dwordx4 v[10:13], v[22:23] offset:288
	;; [unrolled: 1-line block ×3, first 2 shown]
	s_waitcnt vmcnt(0) lgkmcnt(0)
	v_cmp_gt_i16_sdwa s[6:7], v14, s4 src0_sel:BYTE_0 src1_sel:DWORD
	s_mov_b64 s[4:5], 0
	s_and_saveexec_b64 s[8:9], s[6:7]
	s_xor_b64 s[6:7], exec, s[8:9]
	s_cbranch_execnz .LBB36_2305
; %bb.257:
	s_or_saveexec_b64 s[6:7], s[6:7]
	v_mov_b32_e32 v20, s10
	s_xor_b64 exec, exec, s[6:7]
	s_cbranch_execnz .LBB36_2308
.LBB36_258:
	s_or_b64 exec, exec, s[6:7]
	s_and_saveexec_b64 s[6:7], s[4:5]
	s_cbranch_execz .LBB36_260
.LBB36_259:
	v_and_b32_e32 v20, 7, v14
	v_ffbh_u32_e32 v22, v20
	v_min_u32_e32 v22, 32, v22
	v_lshrrev_b16_e32 v21, 3, v14
	v_subrev_u32_e32 v23, 28, v22
	v_and_b32_e32 v21, 15, v21
	v_lshlrev_b32_e32 v23, v23, v14
	v_sub_u32_e32 v22, 29, v22
	v_and_b32_e32 v23, 7, v23
	v_cmp_eq_u16_e32 vcc, 0, v21
	v_cndmask_b32_e32 v20, v20, v23, vcc
	v_cndmask_b32_e32 v21, v21, v22, vcc
	v_lshlrev_b32_e32 v22, 24, v14
	v_mov_b32_e32 v23, 0x3b800000
	v_lshlrev_b32_e32 v20, 20, v20
	v_and_b32_e32 v22, 0x80000000, v22
	v_lshl_add_u32 v21, v21, 23, v23
	v_or3_b32 v20, v22, v21, v20
.LBB36_260:
	s_or_b64 exec, exec, s[6:7]
	s_movk_i32 s4, 0x7f
	v_cmp_gt_i16_sdwa s[6:7], v10, s4 src0_sel:BYTE_0 src1_sel:DWORD
	s_mov_b64 s[4:5], 0
                                        ; implicit-def: $sgpr10
	s_and_saveexec_b64 s[8:9], s[6:7]
	s_xor_b64 s[6:7], exec, s[8:9]
	s_cbranch_execnz .LBB36_2309
; %bb.261:
	s_or_saveexec_b64 s[6:7], s[6:7]
	v_mov_b32_e32 v21, s10
	s_xor_b64 exec, exec, s[6:7]
	s_cbranch_execnz .LBB36_2312
.LBB36_262:
	s_or_b64 exec, exec, s[6:7]
	s_and_saveexec_b64 s[6:7], s[4:5]
	s_cbranch_execz .LBB36_264
.LBB36_263:
	v_and_b32_e32 v21, 7, v10
	v_ffbh_u32_e32 v23, v21
	v_min_u32_e32 v23, 32, v23
	v_lshrrev_b16_e32 v22, 3, v10
	v_subrev_u32_e32 v24, 28, v23
	v_and_b32_e32 v22, 15, v22
	v_lshlrev_b32_e32 v24, v24, v10
	v_sub_u32_e32 v23, 29, v23
	v_and_b32_e32 v24, 7, v24
	v_cmp_eq_u16_e32 vcc, 0, v22
	v_cndmask_b32_e32 v21, v21, v24, vcc
	v_cndmask_b32_e32 v22, v22, v23, vcc
	v_lshlrev_b32_e32 v23, 24, v10
	v_mov_b32_e32 v24, 0x3b800000
	v_lshlrev_b32_e32 v21, 20, v21
	v_and_b32_e32 v23, 0x80000000, v23
	v_lshl_add_u32 v22, v22, 23, v24
	v_or3_b32 v21, v23, v22, v21
.LBB36_264:
	s_or_b64 exec, exec, s[6:7]
	flat_load_dwordx4 a[0:3], v[18:19] offset:16
	s_movk_i32 s4, 0x7f
                                        ; implicit-def: $sgpr10
	s_waitcnt vmcnt(0) lgkmcnt(0)
	v_mfma_f32_16x16x4f32 a[0:3], v20, v21, a[0:3]
	v_lshrrev_b32_e32 v21, 8, v14
	v_cmp_gt_i16_sdwa s[6:7], v21, s4 src0_sel:BYTE_0 src1_sel:DWORD
	s_mov_b64 s[4:5], 0
	s_and_saveexec_b64 s[8:9], s[6:7]
	s_xor_b64 s[6:7], exec, s[8:9]
	s_cbranch_execnz .LBB36_2313
; %bb.265:
	s_or_saveexec_b64 s[6:7], s[6:7]
	v_mov_b32_e32 v20, s10
	s_xor_b64 exec, exec, s[6:7]
	s_cbranch_execnz .LBB36_2316
.LBB36_266:
	s_or_b64 exec, exec, s[6:7]
	s_and_saveexec_b64 s[6:7], s[4:5]
	s_cbranch_execz .LBB36_268
.LBB36_267:
	v_bfe_u32 v20, v14, 8, 3
	v_ffbh_u32_e32 v23, v20
	v_min_u32_e32 v23, 32, v23
	v_lshrrev_b16_e32 v22, 3, v21
	v_subrev_u32_e32 v24, 28, v23
	v_and_b32_e32 v22, 15, v22
	v_lshlrev_b32_e32 v21, v24, v21
	v_sub_u32_e32 v23, 29, v23
	v_and_b32_e32 v21, 7, v21
	v_cmp_eq_u16_e32 vcc, 0, v22
	v_cndmask_b32_e32 v20, v20, v21, vcc
	v_cndmask_b32_e32 v21, v22, v23, vcc
	v_lshlrev_b32_e32 v22, 16, v14
	v_mov_b32_e32 v23, 0x3b800000
	v_lshlrev_b32_e32 v20, 20, v20
	v_and_b32_e32 v22, 0x80000000, v22
	v_lshl_add_u32 v21, v21, 23, v23
	v_or3_b32 v20, v22, v21, v20
.LBB36_268:
	s_or_b64 exec, exec, s[6:7]
	v_lshrrev_b32_e32 v21, 8, v10
	s_movk_i32 s4, 0x7f
	v_cmp_gt_i16_sdwa s[6:7], v21, s4 src0_sel:BYTE_0 src1_sel:DWORD
	s_mov_b64 s[4:5], 0
                                        ; implicit-def: $sgpr10
	s_and_saveexec_b64 s[8:9], s[6:7]
	s_xor_b64 s[6:7], exec, s[8:9]
	s_cbranch_execnz .LBB36_2317
; %bb.269:
	s_or_saveexec_b64 s[6:7], s[6:7]
	v_mov_b32_e32 v22, s10
	s_xor_b64 exec, exec, s[6:7]
	s_cbranch_execnz .LBB36_2320
.LBB36_270:
	s_or_b64 exec, exec, s[6:7]
	s_and_saveexec_b64 s[6:7], s[4:5]
	s_cbranch_execz .LBB36_272
.LBB36_271:
	v_bfe_u32 v22, v10, 8, 3
	v_ffbh_u32_e32 v24, v22
	v_min_u32_e32 v24, 32, v24
	v_lshrrev_b16_e32 v23, 3, v21
	v_subrev_u32_e32 v25, 28, v24
	v_and_b32_e32 v23, 15, v23
	v_lshlrev_b32_e32 v21, v25, v21
	v_sub_u32_e32 v24, 29, v24
	v_and_b32_e32 v21, 7, v21
	v_cmp_eq_u16_e32 vcc, 0, v23
	v_cndmask_b32_e32 v21, v22, v21, vcc
	v_cndmask_b32_e32 v22, v23, v24, vcc
	v_lshlrev_b32_e32 v23, 16, v10
	v_mov_b32_e32 v24, 0x3b800000
	v_lshlrev_b32_e32 v21, 20, v21
	v_and_b32_e32 v23, 0x80000000, v23
	v_lshl_add_u32 v22, v22, 23, v24
	v_or3_b32 v22, v23, v22, v21
.LBB36_272:
	s_or_b64 exec, exec, s[6:7]
	s_nop 0
	v_mfma_f32_16x16x4f32 a[0:3], v20, v22, a[0:3]
	s_movk_i32 s4, 0xff
	v_and_b32_sdwa v21, v14, s4 dst_sel:DWORD dst_unused:UNUSED_PAD src0_sel:WORD_1 src1_sel:DWORD
	s_movk_i32 s4, 0x7f
	v_cmp_lt_i16_e32 vcc, s4, v21
	s_mov_b64 s[4:5], 0
                                        ; implicit-def: $sgpr10
	s_and_saveexec_b64 s[6:7], vcc
	s_xor_b64 s[6:7], exec, s[6:7]
	s_cbranch_execnz .LBB36_2321
; %bb.273:
	s_or_saveexec_b64 s[6:7], s[6:7]
	v_mov_b32_e32 v20, s10
	s_xor_b64 exec, exec, s[6:7]
	s_cbranch_execnz .LBB36_2324
.LBB36_274:
	s_or_b64 exec, exec, s[6:7]
	s_and_saveexec_b64 s[6:7], s[4:5]
	s_cbranch_execz .LBB36_276
.LBB36_275:
	v_bfe_u32 v20, v14, 16, 3
	v_ffbh_u32_e32 v23, v20
	v_min_u32_e32 v23, 32, v23
	v_lshrrev_b32_e32 v21, 19, v14
	v_subrev_u32_e32 v24, 28, v23
	v_and_b32_e32 v21, 15, v21
	v_lshlrev_b32_sdwa v24, v24, v14 dst_sel:DWORD dst_unused:UNUSED_PAD src0_sel:DWORD src1_sel:WORD_1
	v_bfe_u32 v22, v14, 19, 4
	v_sub_u32_e32 v23, 29, v23
	v_and_b32_e32 v24, 7, v24
	v_cmp_eq_u16_e32 vcc, 0, v21
	v_cndmask_b32_e32 v20, v20, v24, vcc
	v_cndmask_b32_e32 v21, v22, v23, vcc
	v_lshlrev_b32_e32 v22, 8, v14
	v_mov_b32_e32 v23, 0x3b800000
	v_lshlrev_b32_e32 v20, 20, v20
	v_and_b32_e32 v22, 0x80000000, v22
	v_lshl_add_u32 v21, v21, 23, v23
	v_or3_b32 v20, v22, v21, v20
.LBB36_276:
	s_or_b64 exec, exec, s[6:7]
	s_movk_i32 s4, 0xff
	v_and_b32_sdwa v21, v10, s4 dst_sel:DWORD dst_unused:UNUSED_PAD src0_sel:WORD_1 src1_sel:DWORD
	s_movk_i32 s4, 0x7f
	v_cmp_lt_i16_e32 vcc, s4, v21
	s_mov_b64 s[4:5], 0
                                        ; implicit-def: $sgpr10
	s_and_saveexec_b64 s[6:7], vcc
	s_xor_b64 s[6:7], exec, s[6:7]
	s_cbranch_execnz .LBB36_2325
; %bb.277:
	s_or_saveexec_b64 s[6:7], s[6:7]
	v_mov_b32_e32 v22, s10
	s_xor_b64 exec, exec, s[6:7]
	s_cbranch_execnz .LBB36_2328
.LBB36_278:
	s_or_b64 exec, exec, s[6:7]
	s_and_saveexec_b64 s[6:7], s[4:5]
	s_cbranch_execz .LBB36_280
.LBB36_279:
	v_bfe_u32 v21, v10, 16, 3
	v_ffbh_u32_e32 v24, v21
	v_min_u32_e32 v24, 32, v24
	v_lshrrev_b32_e32 v22, 19, v10
	v_subrev_u32_e32 v25, 28, v24
	v_and_b32_e32 v22, 15, v22
	v_lshlrev_b32_sdwa v25, v25, v10 dst_sel:DWORD dst_unused:UNUSED_PAD src0_sel:DWORD src1_sel:WORD_1
	v_bfe_u32 v23, v10, 19, 4
	v_sub_u32_e32 v24, 29, v24
	v_and_b32_e32 v25, 7, v25
	v_cmp_eq_u16_e32 vcc, 0, v22
	v_cndmask_b32_e32 v21, v21, v25, vcc
	v_cndmask_b32_e32 v22, v23, v24, vcc
	v_lshlrev_b32_e32 v23, 8, v10
	v_mov_b32_e32 v24, 0x3b800000
	v_lshlrev_b32_e32 v21, 20, v21
	v_and_b32_e32 v23, 0x80000000, v23
	v_lshl_add_u32 v22, v22, 23, v24
	v_or3_b32 v22, v23, v22, v21
.LBB36_280:
	s_or_b64 exec, exec, s[6:7]
	s_nop 0
	v_mfma_f32_16x16x4f32 a[0:3], v20, v22, a[0:3]
	s_movk_i32 s4, 0x7f
	v_cmp_gt_i16_sdwa s[6:7], v14, s4 src0_sel:BYTE_3 src1_sel:DWORD
	s_mov_b64 s[4:5], 0
                                        ; implicit-def: $sgpr10
	s_and_saveexec_b64 s[8:9], s[6:7]
	s_xor_b64 s[6:7], exec, s[8:9]
	s_cbranch_execnz .LBB36_2329
; %bb.281:
	s_or_saveexec_b64 s[6:7], s[6:7]
	v_mov_b32_e32 v20, s10
	s_xor_b64 exec, exec, s[6:7]
	s_cbranch_execnz .LBB36_2332
.LBB36_282:
	s_or_b64 exec, exec, s[6:7]
	s_and_saveexec_b64 s[6:7], s[4:5]
	s_cbranch_execz .LBB36_284
.LBB36_283:
	v_bfe_u32 v20, v14, 24, 3
	v_ffbh_u32_e32 v24, v20
	v_min_u32_e32 v24, 32, v24
	v_lshrrev_b32_e32 v22, 27, v14
	v_subrev_u32_e32 v25, 28, v24
	v_and_b32_e32 v21, 0x80000000, v14
	v_and_b32_e32 v22, 15, v22
	v_bfe_u32 v23, v14, 27, 4
	v_lshlrev_b32_sdwa v14, v25, v14 dst_sel:DWORD dst_unused:UNUSED_PAD src0_sel:DWORD src1_sel:BYTE_3
	v_sub_u32_e32 v24, 29, v24
	v_and_b32_e32 v14, 7, v14
	v_cmp_eq_u16_e32 vcc, 0, v22
	v_cndmask_b32_e32 v14, v20, v14, vcc
	v_cndmask_b32_e32 v20, v23, v24, vcc
	v_mov_b32_e32 v22, 0x3b800000
	v_lshlrev_b32_e32 v14, 20, v14
	v_lshl_add_u32 v20, v20, 23, v22
	v_or3_b32 v20, v21, v20, v14
.LBB36_284:
	s_or_b64 exec, exec, s[6:7]
	s_movk_i32 s4, 0x7f
	v_cmp_gt_i16_sdwa s[6:7], v10, s4 src0_sel:BYTE_3 src1_sel:DWORD
	s_mov_b64 s[4:5], 0
                                        ; implicit-def: $sgpr10
	s_and_saveexec_b64 s[8:9], s[6:7]
	s_xor_b64 s[6:7], exec, s[8:9]
	s_cbranch_execnz .LBB36_2333
; %bb.285:
	s_or_saveexec_b64 s[6:7], s[6:7]
	v_mov_b32_e32 v14, s10
	s_xor_b64 exec, exec, s[6:7]
	s_cbranch_execnz .LBB36_2336
.LBB36_286:
	s_or_b64 exec, exec, s[6:7]
	s_and_saveexec_b64 s[6:7], s[4:5]
	s_cbranch_execz .LBB36_288
.LBB36_287:
	v_bfe_u32 v14, v10, 24, 3
	v_ffbh_u32_e32 v24, v14
	v_min_u32_e32 v24, 32, v24
	v_lshrrev_b32_e32 v22, 27, v10
	v_subrev_u32_e32 v25, 28, v24
	v_and_b32_e32 v21, 0x80000000, v10
	v_and_b32_e32 v22, 15, v22
	v_bfe_u32 v23, v10, 27, 4
	v_lshlrev_b32_sdwa v10, v25, v10 dst_sel:DWORD dst_unused:UNUSED_PAD src0_sel:DWORD src1_sel:BYTE_3
	v_sub_u32_e32 v24, 29, v24
	v_and_b32_e32 v10, 7, v10
	v_cmp_eq_u16_e32 vcc, 0, v22
	v_cndmask_b32_e32 v10, v14, v10, vcc
	v_cndmask_b32_e32 v14, v23, v24, vcc
	v_mov_b32_e32 v22, 0x3b800000
	v_lshlrev_b32_e32 v10, 20, v10
	v_lshl_add_u32 v14, v14, 23, v22
	v_or3_b32 v14, v21, v14, v10
.LBB36_288:
	s_or_b64 exec, exec, s[6:7]
	s_nop 0
	v_mfma_f32_16x16x4f32 a[0:3], v20, v14, a[0:3]
	s_movk_i32 s4, 0x7f
	v_cmp_gt_i16_sdwa s[6:7], v15, s4 src0_sel:BYTE_0 src1_sel:DWORD
	s_mov_b64 s[4:5], 0
                                        ; implicit-def: $sgpr10
	s_and_saveexec_b64 s[8:9], s[6:7]
	s_xor_b64 s[6:7], exec, s[8:9]
	s_cbranch_execnz .LBB36_2337
; %bb.289:
	s_or_saveexec_b64 s[6:7], s[6:7]
	v_mov_b32_e32 v10, s10
	s_xor_b64 exec, exec, s[6:7]
	s_cbranch_execnz .LBB36_2340
.LBB36_290:
	s_or_b64 exec, exec, s[6:7]
	s_and_saveexec_b64 s[6:7], s[4:5]
	s_cbranch_execz .LBB36_292
.LBB36_291:
	v_and_b32_e32 v10, 7, v15
	v_ffbh_u32_e32 v20, v10
	v_min_u32_e32 v20, 32, v20
	v_lshrrev_b16_e32 v14, 3, v15
	v_subrev_u32_e32 v21, 28, v20
	v_and_b32_e32 v14, 15, v14
	v_lshlrev_b32_e32 v21, v21, v15
	v_sub_u32_e32 v20, 29, v20
	v_and_b32_e32 v21, 7, v21
	v_cmp_eq_u16_e32 vcc, 0, v14
	v_cndmask_b32_e32 v10, v10, v21, vcc
	v_cndmask_b32_e32 v14, v14, v20, vcc
	v_lshlrev_b32_e32 v20, 24, v15
	v_mov_b32_e32 v21, 0x3b800000
	v_lshlrev_b32_e32 v10, 20, v10
	v_and_b32_e32 v20, 0x80000000, v20
	v_lshl_add_u32 v14, v14, 23, v21
	v_or3_b32 v10, v20, v14, v10
.LBB36_292:
	s_or_b64 exec, exec, s[6:7]
	s_movk_i32 s4, 0x7f
	v_cmp_gt_i16_sdwa s[6:7], v11, s4 src0_sel:BYTE_0 src1_sel:DWORD
	s_mov_b64 s[4:5], 0
                                        ; implicit-def: $sgpr10
	s_and_saveexec_b64 s[8:9], s[6:7]
	s_xor_b64 s[6:7], exec, s[8:9]
	s_cbranch_execnz .LBB36_2341
; %bb.293:
	s_or_saveexec_b64 s[6:7], s[6:7]
	v_mov_b32_e32 v14, s10
	s_xor_b64 exec, exec, s[6:7]
	s_cbranch_execnz .LBB36_2344
.LBB36_294:
	s_or_b64 exec, exec, s[6:7]
	s_and_saveexec_b64 s[6:7], s[4:5]
	s_cbranch_execz .LBB36_296
.LBB36_295:
	v_and_b32_e32 v14, 7, v11
	v_ffbh_u32_e32 v21, v14
	v_min_u32_e32 v21, 32, v21
	v_lshrrev_b16_e32 v20, 3, v11
	v_subrev_u32_e32 v22, 28, v21
	v_and_b32_e32 v20, 15, v20
	v_lshlrev_b32_e32 v22, v22, v11
	v_sub_u32_e32 v21, 29, v21
	v_and_b32_e32 v22, 7, v22
	v_cmp_eq_u16_e32 vcc, 0, v20
	v_cndmask_b32_e32 v14, v14, v22, vcc
	v_cndmask_b32_e32 v20, v20, v21, vcc
	v_lshlrev_b32_e32 v21, 24, v11
	v_mov_b32_e32 v22, 0x3b800000
	v_lshlrev_b32_e32 v14, 20, v14
	v_and_b32_e32 v21, 0x80000000, v21
	v_lshl_add_u32 v20, v20, 23, v22
	v_or3_b32 v14, v21, v20, v14
.LBB36_296:
	s_or_b64 exec, exec, s[6:7]
	s_nop 0
	v_mfma_f32_16x16x4f32 a[0:3], v10, v14, a[0:3]
	v_lshrrev_b32_e32 v14, 8, v15
	s_movk_i32 s4, 0x7f
	v_cmp_gt_i16_sdwa s[6:7], v14, s4 src0_sel:BYTE_0 src1_sel:DWORD
	s_mov_b64 s[4:5], 0
                                        ; implicit-def: $sgpr10
	s_and_saveexec_b64 s[8:9], s[6:7]
	s_xor_b64 s[6:7], exec, s[8:9]
	s_cbranch_execnz .LBB36_2345
; %bb.297:
	s_or_saveexec_b64 s[6:7], s[6:7]
	v_mov_b32_e32 v10, s10
	s_xor_b64 exec, exec, s[6:7]
	s_cbranch_execnz .LBB36_2348
.LBB36_298:
	s_or_b64 exec, exec, s[6:7]
	s_and_saveexec_b64 s[6:7], s[4:5]
	s_cbranch_execz .LBB36_300
.LBB36_299:
	v_bfe_u32 v10, v15, 8, 3
	v_ffbh_u32_e32 v21, v10
	v_min_u32_e32 v21, 32, v21
	v_lshrrev_b16_e32 v20, 3, v14
	v_subrev_u32_e32 v22, 28, v21
	v_and_b32_e32 v20, 15, v20
	v_lshlrev_b32_e32 v14, v22, v14
	v_sub_u32_e32 v21, 29, v21
	v_and_b32_e32 v14, 7, v14
	v_cmp_eq_u16_e32 vcc, 0, v20
	v_cndmask_b32_e32 v10, v10, v14, vcc
	v_cndmask_b32_e32 v14, v20, v21, vcc
	v_lshlrev_b32_e32 v20, 16, v15
	v_mov_b32_e32 v21, 0x3b800000
	v_lshlrev_b32_e32 v10, 20, v10
	v_and_b32_e32 v20, 0x80000000, v20
	v_lshl_add_u32 v14, v14, 23, v21
	v_or3_b32 v10, v20, v14, v10
.LBB36_300:
	s_or_b64 exec, exec, s[6:7]
	v_lshrrev_b32_e32 v14, 8, v11
	s_movk_i32 s4, 0x7f
	v_cmp_gt_i16_sdwa s[6:7], v14, s4 src0_sel:BYTE_0 src1_sel:DWORD
	s_mov_b64 s[4:5], 0
                                        ; implicit-def: $sgpr10
	s_and_saveexec_b64 s[8:9], s[6:7]
	s_xor_b64 s[6:7], exec, s[8:9]
	s_cbranch_execnz .LBB36_2349
; %bb.301:
	s_or_saveexec_b64 s[6:7], s[6:7]
	v_mov_b32_e32 v20, s10
	s_xor_b64 exec, exec, s[6:7]
	s_cbranch_execnz .LBB36_2352
.LBB36_302:
	s_or_b64 exec, exec, s[6:7]
	s_and_saveexec_b64 s[6:7], s[4:5]
	s_cbranch_execz .LBB36_304
.LBB36_303:
	v_bfe_u32 v20, v11, 8, 3
	v_ffbh_u32_e32 v22, v20
	v_min_u32_e32 v22, 32, v22
	v_lshrrev_b16_e32 v21, 3, v14
	v_subrev_u32_e32 v23, 28, v22
	v_and_b32_e32 v21, 15, v21
	v_lshlrev_b32_e32 v14, v23, v14
	v_sub_u32_e32 v22, 29, v22
	v_and_b32_e32 v14, 7, v14
	v_cmp_eq_u16_e32 vcc, 0, v21
	v_cndmask_b32_e32 v14, v20, v14, vcc
	v_cndmask_b32_e32 v20, v21, v22, vcc
	v_lshlrev_b32_e32 v21, 16, v11
	v_mov_b32_e32 v22, 0x3b800000
	v_lshlrev_b32_e32 v14, 20, v14
	v_and_b32_e32 v21, 0x80000000, v21
	v_lshl_add_u32 v20, v20, 23, v22
	v_or3_b32 v20, v21, v20, v14
.LBB36_304:
	s_or_b64 exec, exec, s[6:7]
	s_nop 0
	v_mfma_f32_16x16x4f32 a[0:3], v10, v20, a[0:3]
	s_movk_i32 s4, 0xff
	v_and_b32_sdwa v14, v15, s4 dst_sel:DWORD dst_unused:UNUSED_PAD src0_sel:WORD_1 src1_sel:DWORD
	s_movk_i32 s4, 0x7f
	v_cmp_lt_i16_e32 vcc, s4, v14
	s_mov_b64 s[4:5], 0
                                        ; implicit-def: $sgpr10
	s_and_saveexec_b64 s[6:7], vcc
	s_xor_b64 s[6:7], exec, s[6:7]
	s_cbranch_execnz .LBB36_2353
; %bb.305:
	s_or_saveexec_b64 s[6:7], s[6:7]
	v_mov_b32_e32 v10, s10
	s_xor_b64 exec, exec, s[6:7]
	s_cbranch_execnz .LBB36_2356
.LBB36_306:
	s_or_b64 exec, exec, s[6:7]
	s_and_saveexec_b64 s[6:7], s[4:5]
	s_cbranch_execz .LBB36_308
.LBB36_307:
	v_bfe_u32 v10, v15, 16, 3
	v_ffbh_u32_e32 v21, v10
	v_min_u32_e32 v21, 32, v21
	v_lshrrev_b32_e32 v14, 19, v15
	v_subrev_u32_e32 v22, 28, v21
	v_and_b32_e32 v14, 15, v14
	v_lshlrev_b32_sdwa v22, v22, v15 dst_sel:DWORD dst_unused:UNUSED_PAD src0_sel:DWORD src1_sel:WORD_1
	v_bfe_u32 v20, v15, 19, 4
	v_sub_u32_e32 v21, 29, v21
	v_and_b32_e32 v22, 7, v22
	v_cmp_eq_u16_e32 vcc, 0, v14
	v_cndmask_b32_e32 v10, v10, v22, vcc
	v_cndmask_b32_e32 v14, v20, v21, vcc
	v_lshlrev_b32_e32 v20, 8, v15
	v_mov_b32_e32 v21, 0x3b800000
	v_lshlrev_b32_e32 v10, 20, v10
	v_and_b32_e32 v20, 0x80000000, v20
	v_lshl_add_u32 v14, v14, 23, v21
	v_or3_b32 v10, v20, v14, v10
.LBB36_308:
	s_or_b64 exec, exec, s[6:7]
	s_movk_i32 s4, 0xff
	v_and_b32_sdwa v14, v11, s4 dst_sel:DWORD dst_unused:UNUSED_PAD src0_sel:WORD_1 src1_sel:DWORD
	s_movk_i32 s4, 0x7f
	v_cmp_lt_i16_e32 vcc, s4, v14
	s_mov_b64 s[4:5], 0
                                        ; implicit-def: $sgpr10
	s_and_saveexec_b64 s[6:7], vcc
	s_xor_b64 s[6:7], exec, s[6:7]
	s_cbranch_execnz .LBB36_2357
; %bb.309:
	s_or_saveexec_b64 s[6:7], s[6:7]
	v_mov_b32_e32 v20, s10
	s_xor_b64 exec, exec, s[6:7]
	s_cbranch_execnz .LBB36_2360
.LBB36_310:
	s_or_b64 exec, exec, s[6:7]
	s_and_saveexec_b64 s[6:7], s[4:5]
	s_cbranch_execz .LBB36_312
.LBB36_311:
	v_bfe_u32 v14, v11, 16, 3
	v_ffbh_u32_e32 v22, v14
	v_min_u32_e32 v22, 32, v22
	v_lshrrev_b32_e32 v20, 19, v11
	v_subrev_u32_e32 v23, 28, v22
	v_and_b32_e32 v20, 15, v20
	v_lshlrev_b32_sdwa v23, v23, v11 dst_sel:DWORD dst_unused:UNUSED_PAD src0_sel:DWORD src1_sel:WORD_1
	v_bfe_u32 v21, v11, 19, 4
	v_sub_u32_e32 v22, 29, v22
	v_and_b32_e32 v23, 7, v23
	v_cmp_eq_u16_e32 vcc, 0, v20
	v_cndmask_b32_e32 v14, v14, v23, vcc
	v_cndmask_b32_e32 v20, v21, v22, vcc
	v_lshlrev_b32_e32 v21, 8, v11
	v_mov_b32_e32 v22, 0x3b800000
	v_lshlrev_b32_e32 v14, 20, v14
	v_and_b32_e32 v21, 0x80000000, v21
	v_lshl_add_u32 v20, v20, 23, v22
	v_or3_b32 v20, v21, v20, v14
.LBB36_312:
	s_or_b64 exec, exec, s[6:7]
	s_nop 0
	v_mfma_f32_16x16x4f32 a[0:3], v10, v20, a[0:3]
	s_movk_i32 s4, 0x7f
	v_cmp_gt_i16_sdwa s[6:7], v15, s4 src0_sel:BYTE_3 src1_sel:DWORD
	s_mov_b64 s[4:5], 0
                                        ; implicit-def: $sgpr10
	s_and_saveexec_b64 s[8:9], s[6:7]
	s_xor_b64 s[6:7], exec, s[8:9]
	s_cbranch_execnz .LBB36_2361
; %bb.313:
	s_or_saveexec_b64 s[6:7], s[6:7]
	v_mov_b32_e32 v10, s10
	s_xor_b64 exec, exec, s[6:7]
	s_cbranch_execnz .LBB36_2364
.LBB36_314:
	s_or_b64 exec, exec, s[6:7]
	s_and_saveexec_b64 s[6:7], s[4:5]
	s_cbranch_execz .LBB36_316
.LBB36_315:
	v_bfe_u32 v10, v15, 24, 3
	v_ffbh_u32_e32 v22, v10
	v_min_u32_e32 v22, 32, v22
	v_lshrrev_b32_e32 v20, 27, v15
	v_subrev_u32_e32 v23, 28, v22
	v_and_b32_e32 v14, 0x80000000, v15
	v_and_b32_e32 v20, 15, v20
	v_bfe_u32 v21, v15, 27, 4
	v_lshlrev_b32_sdwa v15, v23, v15 dst_sel:DWORD dst_unused:UNUSED_PAD src0_sel:DWORD src1_sel:BYTE_3
	v_sub_u32_e32 v22, 29, v22
	v_and_b32_e32 v15, 7, v15
	v_cmp_eq_u16_e32 vcc, 0, v20
	v_cndmask_b32_e32 v10, v10, v15, vcc
	v_cndmask_b32_e32 v15, v21, v22, vcc
	v_mov_b32_e32 v20, 0x3b800000
	v_lshlrev_b32_e32 v10, 20, v10
	v_lshl_add_u32 v15, v15, 23, v20
	v_or3_b32 v10, v14, v15, v10
.LBB36_316:
	s_or_b64 exec, exec, s[6:7]
	s_movk_i32 s4, 0x7f
	v_cmp_gt_i16_sdwa s[6:7], v11, s4 src0_sel:BYTE_3 src1_sel:DWORD
	s_mov_b64 s[4:5], 0
                                        ; implicit-def: $sgpr10
	s_and_saveexec_b64 s[8:9], s[6:7]
	s_xor_b64 s[6:7], exec, s[8:9]
	s_cbranch_execnz .LBB36_2365
; %bb.317:
	s_or_saveexec_b64 s[6:7], s[6:7]
	v_mov_b32_e32 v14, s10
	s_xor_b64 exec, exec, s[6:7]
	s_cbranch_execnz .LBB36_2368
.LBB36_318:
	s_or_b64 exec, exec, s[6:7]
	s_and_saveexec_b64 s[6:7], s[4:5]
	s_cbranch_execz .LBB36_320
.LBB36_319:
	v_bfe_u32 v14, v11, 24, 3
	v_ffbh_u32_e32 v22, v14
	v_min_u32_e32 v22, 32, v22
	v_lshrrev_b32_e32 v20, 27, v11
	v_subrev_u32_e32 v23, 28, v22
	v_and_b32_e32 v15, 0x80000000, v11
	v_and_b32_e32 v20, 15, v20
	v_bfe_u32 v21, v11, 27, 4
	v_lshlrev_b32_sdwa v11, v23, v11 dst_sel:DWORD dst_unused:UNUSED_PAD src0_sel:DWORD src1_sel:BYTE_3
	v_sub_u32_e32 v22, 29, v22
	v_and_b32_e32 v11, 7, v11
	v_cmp_eq_u16_e32 vcc, 0, v20
	v_cndmask_b32_e32 v11, v14, v11, vcc
	v_cndmask_b32_e32 v14, v21, v22, vcc
	v_mov_b32_e32 v20, 0x3b800000
	v_lshlrev_b32_e32 v11, 20, v11
	v_lshl_add_u32 v14, v14, 23, v20
	v_or3_b32 v14, v15, v14, v11
.LBB36_320:
	s_or_b64 exec, exec, s[6:7]
	s_nop 0
	v_mfma_f32_16x16x4f32 a[0:3], v10, v14, a[0:3]
	s_movk_i32 s4, 0x7f
	v_cmp_gt_i16_sdwa s[6:7], v16, s4 src0_sel:BYTE_0 src1_sel:DWORD
	s_mov_b64 s[4:5], 0
                                        ; implicit-def: $sgpr10
	s_and_saveexec_b64 s[8:9], s[6:7]
	s_xor_b64 s[6:7], exec, s[8:9]
	s_cbranch_execnz .LBB36_2369
; %bb.321:
	s_or_saveexec_b64 s[6:7], s[6:7]
	v_mov_b32_e32 v10, s10
	s_xor_b64 exec, exec, s[6:7]
	s_cbranch_execnz .LBB36_2372
.LBB36_322:
	s_or_b64 exec, exec, s[6:7]
	s_and_saveexec_b64 s[6:7], s[4:5]
	s_cbranch_execz .LBB36_324
.LBB36_323:
	v_and_b32_e32 v10, 7, v16
	v_ffbh_u32_e32 v14, v10
	v_min_u32_e32 v14, 32, v14
	v_lshrrev_b16_e32 v11, 3, v16
	v_subrev_u32_e32 v15, 28, v14
	v_and_b32_e32 v11, 15, v11
	v_lshlrev_b32_e32 v15, v15, v16
	v_sub_u32_e32 v14, 29, v14
	v_and_b32_e32 v15, 7, v15
	v_cmp_eq_u16_e32 vcc, 0, v11
	v_cndmask_b32_e32 v10, v10, v15, vcc
	v_cndmask_b32_e32 v11, v11, v14, vcc
	v_lshlrev_b32_e32 v14, 24, v16
	v_mov_b32_e32 v15, 0x3b800000
	v_lshlrev_b32_e32 v10, 20, v10
	v_and_b32_e32 v14, 0x80000000, v14
	v_lshl_add_u32 v11, v11, 23, v15
	v_or3_b32 v10, v14, v11, v10
.LBB36_324:
	s_or_b64 exec, exec, s[6:7]
	s_movk_i32 s4, 0x7f
	v_cmp_gt_i16_sdwa s[6:7], v12, s4 src0_sel:BYTE_0 src1_sel:DWORD
	s_mov_b64 s[4:5], 0
                                        ; implicit-def: $sgpr10
	s_and_saveexec_b64 s[8:9], s[6:7]
	s_xor_b64 s[6:7], exec, s[8:9]
	s_cbranch_execnz .LBB36_2373
; %bb.325:
	s_or_saveexec_b64 s[6:7], s[6:7]
	v_mov_b32_e32 v11, s10
	s_xor_b64 exec, exec, s[6:7]
	s_cbranch_execnz .LBB36_2376
.LBB36_326:
	s_or_b64 exec, exec, s[6:7]
	s_and_saveexec_b64 s[6:7], s[4:5]
	s_cbranch_execz .LBB36_328
.LBB36_327:
	v_and_b32_e32 v11, 7, v12
	v_ffbh_u32_e32 v15, v11
	v_min_u32_e32 v15, 32, v15
	v_lshrrev_b16_e32 v14, 3, v12
	v_subrev_u32_e32 v20, 28, v15
	v_and_b32_e32 v14, 15, v14
	v_lshlrev_b32_e32 v20, v20, v12
	v_sub_u32_e32 v15, 29, v15
	v_and_b32_e32 v20, 7, v20
	v_cmp_eq_u16_e32 vcc, 0, v14
	v_cndmask_b32_e32 v11, v11, v20, vcc
	v_cndmask_b32_e32 v14, v14, v15, vcc
	v_lshlrev_b32_e32 v15, 24, v12
	v_mov_b32_e32 v20, 0x3b800000
	v_lshlrev_b32_e32 v11, 20, v11
	v_and_b32_e32 v15, 0x80000000, v15
	v_lshl_add_u32 v14, v14, 23, v20
	v_or3_b32 v11, v15, v14, v11
.LBB36_328:
	s_or_b64 exec, exec, s[6:7]
	s_nop 0
	v_mfma_f32_16x16x4f32 a[0:3], v10, v11, a[0:3]
	v_lshrrev_b32_e32 v11, 8, v16
	s_movk_i32 s4, 0x7f
	v_cmp_gt_i16_sdwa s[6:7], v11, s4 src0_sel:BYTE_0 src1_sel:DWORD
	s_mov_b64 s[4:5], 0
                                        ; implicit-def: $sgpr10
	s_and_saveexec_b64 s[8:9], s[6:7]
	s_xor_b64 s[6:7], exec, s[8:9]
	s_cbranch_execnz .LBB36_2377
; %bb.329:
	s_or_saveexec_b64 s[6:7], s[6:7]
	v_mov_b32_e32 v10, s10
	s_xor_b64 exec, exec, s[6:7]
	s_cbranch_execnz .LBB36_2380
.LBB36_330:
	s_or_b64 exec, exec, s[6:7]
	s_and_saveexec_b64 s[6:7], s[4:5]
	s_cbranch_execz .LBB36_332
.LBB36_331:
	v_bfe_u32 v10, v16, 8, 3
	v_ffbh_u32_e32 v15, v10
	v_min_u32_e32 v15, 32, v15
	v_lshrrev_b16_e32 v14, 3, v11
	v_subrev_u32_e32 v20, 28, v15
	v_and_b32_e32 v14, 15, v14
	v_lshlrev_b32_e32 v11, v20, v11
	v_sub_u32_e32 v15, 29, v15
	v_and_b32_e32 v11, 7, v11
	v_cmp_eq_u16_e32 vcc, 0, v14
	v_cndmask_b32_e32 v10, v10, v11, vcc
	v_cndmask_b32_e32 v11, v14, v15, vcc
	v_lshlrev_b32_e32 v14, 16, v16
	v_mov_b32_e32 v15, 0x3b800000
	v_lshlrev_b32_e32 v10, 20, v10
	v_and_b32_e32 v14, 0x80000000, v14
	v_lshl_add_u32 v11, v11, 23, v15
	v_or3_b32 v10, v14, v11, v10
.LBB36_332:
	s_or_b64 exec, exec, s[6:7]
	v_lshrrev_b32_e32 v11, 8, v12
	s_movk_i32 s4, 0x7f
	v_cmp_gt_i16_sdwa s[6:7], v11, s4 src0_sel:BYTE_0 src1_sel:DWORD
	s_mov_b64 s[4:5], 0
                                        ; implicit-def: $sgpr10
	s_and_saveexec_b64 s[8:9], s[6:7]
	s_xor_b64 s[6:7], exec, s[8:9]
	s_cbranch_execnz .LBB36_2381
; %bb.333:
	s_or_saveexec_b64 s[6:7], s[6:7]
	v_mov_b32_e32 v14, s10
	s_xor_b64 exec, exec, s[6:7]
	s_cbranch_execnz .LBB36_2384
.LBB36_334:
	s_or_b64 exec, exec, s[6:7]
	s_and_saveexec_b64 s[6:7], s[4:5]
	s_cbranch_execz .LBB36_336
.LBB36_335:
	v_bfe_u32 v14, v12, 8, 3
	v_ffbh_u32_e32 v20, v14
	v_min_u32_e32 v20, 32, v20
	v_lshrrev_b16_e32 v15, 3, v11
	v_subrev_u32_e32 v21, 28, v20
	v_and_b32_e32 v15, 15, v15
	v_lshlrev_b32_e32 v11, v21, v11
	v_sub_u32_e32 v20, 29, v20
	v_and_b32_e32 v11, 7, v11
	v_cmp_eq_u16_e32 vcc, 0, v15
	v_cndmask_b32_e32 v11, v14, v11, vcc
	v_cndmask_b32_e32 v14, v15, v20, vcc
	v_lshlrev_b32_e32 v15, 16, v12
	v_mov_b32_e32 v20, 0x3b800000
	v_lshlrev_b32_e32 v11, 20, v11
	v_and_b32_e32 v15, 0x80000000, v15
	v_lshl_add_u32 v14, v14, 23, v20
	v_or3_b32 v14, v15, v14, v11
.LBB36_336:
	s_or_b64 exec, exec, s[6:7]
	s_nop 0
	v_mfma_f32_16x16x4f32 a[0:3], v10, v14, a[0:3]
	s_movk_i32 s4, 0xff
	v_and_b32_sdwa v11, v16, s4 dst_sel:DWORD dst_unused:UNUSED_PAD src0_sel:WORD_1 src1_sel:DWORD
	s_movk_i32 s4, 0x7f
	v_cmp_lt_i16_e32 vcc, s4, v11
	s_mov_b64 s[4:5], 0
                                        ; implicit-def: $sgpr10
	s_and_saveexec_b64 s[6:7], vcc
	s_xor_b64 s[6:7], exec, s[6:7]
	s_cbranch_execnz .LBB36_2385
; %bb.337:
	s_or_saveexec_b64 s[6:7], s[6:7]
	v_mov_b32_e32 v10, s10
	s_xor_b64 exec, exec, s[6:7]
	s_cbranch_execnz .LBB36_2388
.LBB36_338:
	s_or_b64 exec, exec, s[6:7]
	s_and_saveexec_b64 s[6:7], s[4:5]
	s_cbranch_execz .LBB36_340
.LBB36_339:
	v_bfe_u32 v10, v16, 16, 3
	v_ffbh_u32_e32 v15, v10
	v_min_u32_e32 v15, 32, v15
	v_lshrrev_b32_e32 v11, 19, v16
	v_subrev_u32_e32 v20, 28, v15
	v_and_b32_e32 v11, 15, v11
	v_lshlrev_b32_sdwa v20, v20, v16 dst_sel:DWORD dst_unused:UNUSED_PAD src0_sel:DWORD src1_sel:WORD_1
	v_bfe_u32 v14, v16, 19, 4
	v_sub_u32_e32 v15, 29, v15
	v_and_b32_e32 v20, 7, v20
	v_cmp_eq_u16_e32 vcc, 0, v11
	v_cndmask_b32_e32 v10, v10, v20, vcc
	v_cndmask_b32_e32 v11, v14, v15, vcc
	v_lshlrev_b32_e32 v14, 8, v16
	v_mov_b32_e32 v15, 0x3b800000
	v_lshlrev_b32_e32 v10, 20, v10
	v_and_b32_e32 v14, 0x80000000, v14
	v_lshl_add_u32 v11, v11, 23, v15
	v_or3_b32 v10, v14, v11, v10
.LBB36_340:
	s_or_b64 exec, exec, s[6:7]
	s_movk_i32 s4, 0xff
	v_and_b32_sdwa v11, v12, s4 dst_sel:DWORD dst_unused:UNUSED_PAD src0_sel:WORD_1 src1_sel:DWORD
	s_movk_i32 s4, 0x7f
	v_cmp_lt_i16_e32 vcc, s4, v11
	s_mov_b64 s[4:5], 0
                                        ; implicit-def: $sgpr10
	s_and_saveexec_b64 s[6:7], vcc
	s_xor_b64 s[6:7], exec, s[6:7]
	s_cbranch_execnz .LBB36_2389
; %bb.341:
	s_or_saveexec_b64 s[6:7], s[6:7]
	v_mov_b32_e32 v14, s10
	s_xor_b64 exec, exec, s[6:7]
	s_cbranch_execnz .LBB36_2392
.LBB36_342:
	s_or_b64 exec, exec, s[6:7]
	s_and_saveexec_b64 s[6:7], s[4:5]
	s_cbranch_execz .LBB36_344
.LBB36_343:
	v_bfe_u32 v11, v12, 16, 3
	v_ffbh_u32_e32 v20, v11
	v_min_u32_e32 v20, 32, v20
	v_lshrrev_b32_e32 v14, 19, v12
	v_subrev_u32_e32 v21, 28, v20
	v_and_b32_e32 v14, 15, v14
	v_lshlrev_b32_sdwa v21, v21, v12 dst_sel:DWORD dst_unused:UNUSED_PAD src0_sel:DWORD src1_sel:WORD_1
	v_bfe_u32 v15, v12, 19, 4
	v_sub_u32_e32 v20, 29, v20
	v_and_b32_e32 v21, 7, v21
	v_cmp_eq_u16_e32 vcc, 0, v14
	v_cndmask_b32_e32 v11, v11, v21, vcc
	v_cndmask_b32_e32 v14, v15, v20, vcc
	v_lshlrev_b32_e32 v15, 8, v12
	v_mov_b32_e32 v20, 0x3b800000
	v_lshlrev_b32_e32 v11, 20, v11
	v_and_b32_e32 v15, 0x80000000, v15
	v_lshl_add_u32 v14, v14, 23, v20
	v_or3_b32 v14, v15, v14, v11
.LBB36_344:
	s_or_b64 exec, exec, s[6:7]
	s_nop 0
	v_mfma_f32_16x16x4f32 a[0:3], v10, v14, a[0:3]
	s_movk_i32 s4, 0x7f
	v_cmp_gt_i16_sdwa s[6:7], v16, s4 src0_sel:BYTE_3 src1_sel:DWORD
	s_mov_b64 s[4:5], 0
                                        ; implicit-def: $sgpr10
	s_and_saveexec_b64 s[8:9], s[6:7]
	s_xor_b64 s[6:7], exec, s[8:9]
	s_cbranch_execnz .LBB36_2393
; %bb.345:
	s_or_saveexec_b64 s[6:7], s[6:7]
	v_mov_b32_e32 v10, s10
	s_xor_b64 exec, exec, s[6:7]
	s_cbranch_execnz .LBB36_2396
.LBB36_346:
	s_or_b64 exec, exec, s[6:7]
	s_and_saveexec_b64 s[6:7], s[4:5]
	s_cbranch_execz .LBB36_348
.LBB36_347:
	v_bfe_u32 v10, v16, 24, 3
	v_ffbh_u32_e32 v20, v10
	v_min_u32_e32 v20, 32, v20
	v_lshrrev_b32_e32 v14, 27, v16
	v_subrev_u32_e32 v21, 28, v20
	v_and_b32_e32 v11, 0x80000000, v16
	v_and_b32_e32 v14, 15, v14
	v_bfe_u32 v15, v16, 27, 4
	v_lshlrev_b32_sdwa v16, v21, v16 dst_sel:DWORD dst_unused:UNUSED_PAD src0_sel:DWORD src1_sel:BYTE_3
	v_sub_u32_e32 v20, 29, v20
	v_and_b32_e32 v16, 7, v16
	v_cmp_eq_u16_e32 vcc, 0, v14
	v_cndmask_b32_e32 v10, v10, v16, vcc
	v_cndmask_b32_e32 v14, v15, v20, vcc
	v_mov_b32_e32 v15, 0x3b800000
	v_lshlrev_b32_e32 v10, 20, v10
	v_lshl_add_u32 v14, v14, 23, v15
	v_or3_b32 v10, v11, v14, v10
.LBB36_348:
	s_or_b64 exec, exec, s[6:7]
	s_movk_i32 s4, 0x7f
	v_cmp_gt_i16_sdwa s[6:7], v12, s4 src0_sel:BYTE_3 src1_sel:DWORD
	s_mov_b64 s[4:5], 0
                                        ; implicit-def: $sgpr10
	s_and_saveexec_b64 s[8:9], s[6:7]
	s_xor_b64 s[6:7], exec, s[8:9]
	s_cbranch_execnz .LBB36_2397
; %bb.349:
	s_or_saveexec_b64 s[6:7], s[6:7]
	v_mov_b32_e32 v11, s10
	s_xor_b64 exec, exec, s[6:7]
	s_cbranch_execnz .LBB36_2400
.LBB36_350:
	s_or_b64 exec, exec, s[6:7]
	s_and_saveexec_b64 s[6:7], s[4:5]
	s_cbranch_execz .LBB36_352
.LBB36_351:
	v_bfe_u32 v11, v12, 24, 3
	v_ffbh_u32_e32 v20, v11
	v_min_u32_e32 v20, 32, v20
	v_lshrrev_b32_e32 v15, 27, v12
	v_subrev_u32_e32 v21, 28, v20
	v_and_b32_e32 v14, 0x80000000, v12
	v_and_b32_e32 v15, 15, v15
	v_bfe_u32 v16, v12, 27, 4
	v_lshlrev_b32_sdwa v12, v21, v12 dst_sel:DWORD dst_unused:UNUSED_PAD src0_sel:DWORD src1_sel:BYTE_3
	v_sub_u32_e32 v20, 29, v20
	v_and_b32_e32 v12, 7, v12
	v_cmp_eq_u16_e32 vcc, 0, v15
	v_cndmask_b32_e32 v11, v11, v12, vcc
	v_cndmask_b32_e32 v12, v16, v20, vcc
	v_mov_b32_e32 v15, 0x3b800000
	v_lshlrev_b32_e32 v11, 20, v11
	v_lshl_add_u32 v12, v12, 23, v15
	v_or3_b32 v11, v14, v12, v11
.LBB36_352:
	s_or_b64 exec, exec, s[6:7]
	s_nop 0
	v_mfma_f32_16x16x4f32 a[0:3], v10, v11, a[0:3]
	s_movk_i32 s4, 0x7f
	v_cmp_gt_i16_sdwa s[6:7], v17, s4 src0_sel:BYTE_0 src1_sel:DWORD
	s_mov_b64 s[4:5], 0
                                        ; implicit-def: $sgpr10
	s_and_saveexec_b64 s[8:9], s[6:7]
	s_xor_b64 s[6:7], exec, s[8:9]
	s_cbranch_execnz .LBB36_2401
; %bb.353:
	s_or_saveexec_b64 s[6:7], s[6:7]
	v_mov_b32_e32 v10, s10
	s_xor_b64 exec, exec, s[6:7]
	s_cbranch_execnz .LBB36_2404
.LBB36_354:
	s_or_b64 exec, exec, s[6:7]
	s_and_saveexec_b64 s[6:7], s[4:5]
	s_cbranch_execz .LBB36_356
.LBB36_355:
	v_and_b32_e32 v10, 7, v17
	v_ffbh_u32_e32 v12, v10
	v_min_u32_e32 v12, 32, v12
	v_lshrrev_b16_e32 v11, 3, v17
	v_subrev_u32_e32 v14, 28, v12
	v_and_b32_e32 v11, 15, v11
	v_lshlrev_b32_e32 v14, v14, v17
	v_sub_u32_e32 v12, 29, v12
	v_and_b32_e32 v14, 7, v14
	v_cmp_eq_u16_e32 vcc, 0, v11
	v_cndmask_b32_e32 v10, v10, v14, vcc
	v_cndmask_b32_e32 v11, v11, v12, vcc
	v_lshlrev_b32_e32 v12, 24, v17
	v_mov_b32_e32 v14, 0x3b800000
	v_lshlrev_b32_e32 v10, 20, v10
	v_and_b32_e32 v12, 0x80000000, v12
	v_lshl_add_u32 v11, v11, 23, v14
	v_or3_b32 v10, v12, v11, v10
.LBB36_356:
	s_or_b64 exec, exec, s[6:7]
	s_movk_i32 s4, 0x7f
	v_cmp_gt_i16_sdwa s[6:7], v13, s4 src0_sel:BYTE_0 src1_sel:DWORD
	s_mov_b64 s[4:5], 0
                                        ; implicit-def: $sgpr10
	s_and_saveexec_b64 s[8:9], s[6:7]
	s_xor_b64 s[6:7], exec, s[8:9]
	s_cbranch_execnz .LBB36_2405
; %bb.357:
	s_or_saveexec_b64 s[6:7], s[6:7]
	v_mov_b32_e32 v11, s10
	s_xor_b64 exec, exec, s[6:7]
	s_cbranch_execnz .LBB36_2408
.LBB36_358:
	s_or_b64 exec, exec, s[6:7]
	s_and_saveexec_b64 s[6:7], s[4:5]
	s_cbranch_execz .LBB36_360
.LBB36_359:
	v_and_b32_e32 v11, 7, v13
	v_ffbh_u32_e32 v14, v11
	v_min_u32_e32 v14, 32, v14
	v_lshrrev_b16_e32 v12, 3, v13
	v_subrev_u32_e32 v15, 28, v14
	v_and_b32_e32 v12, 15, v12
	v_lshlrev_b32_e32 v15, v15, v13
	v_sub_u32_e32 v14, 29, v14
	v_and_b32_e32 v15, 7, v15
	v_cmp_eq_u16_e32 vcc, 0, v12
	v_cndmask_b32_e32 v11, v11, v15, vcc
	v_cndmask_b32_e32 v12, v12, v14, vcc
	v_lshlrev_b32_e32 v14, 24, v13
	v_mov_b32_e32 v15, 0x3b800000
	v_lshlrev_b32_e32 v11, 20, v11
	v_and_b32_e32 v14, 0x80000000, v14
	v_lshl_add_u32 v12, v12, 23, v15
	v_or3_b32 v11, v14, v12, v11
.LBB36_360:
	s_or_b64 exec, exec, s[6:7]
	s_nop 0
	v_mfma_f32_16x16x4f32 a[0:3], v10, v11, a[0:3]
	v_lshrrev_b32_e32 v11, 8, v17
	s_movk_i32 s4, 0x7f
	v_cmp_gt_i16_sdwa s[6:7], v11, s4 src0_sel:BYTE_0 src1_sel:DWORD
	s_mov_b64 s[4:5], 0
                                        ; implicit-def: $sgpr10
	s_and_saveexec_b64 s[8:9], s[6:7]
	s_xor_b64 s[6:7], exec, s[8:9]
	s_cbranch_execnz .LBB36_2409
; %bb.361:
	s_or_saveexec_b64 s[6:7], s[6:7]
	v_mov_b32_e32 v10, s10
	s_xor_b64 exec, exec, s[6:7]
	s_cbranch_execnz .LBB36_2412
.LBB36_362:
	s_or_b64 exec, exec, s[6:7]
	s_and_saveexec_b64 s[6:7], s[4:5]
	s_cbranch_execz .LBB36_364
.LBB36_363:
	v_bfe_u32 v10, v17, 8, 3
	v_ffbh_u32_e32 v14, v10
	v_min_u32_e32 v14, 32, v14
	v_lshrrev_b16_e32 v12, 3, v11
	v_subrev_u32_e32 v15, 28, v14
	v_and_b32_e32 v12, 15, v12
	v_lshlrev_b32_e32 v11, v15, v11
	v_sub_u32_e32 v14, 29, v14
	v_and_b32_e32 v11, 7, v11
	v_cmp_eq_u16_e32 vcc, 0, v12
	v_cndmask_b32_e32 v10, v10, v11, vcc
	v_cndmask_b32_e32 v11, v12, v14, vcc
	v_lshlrev_b32_e32 v12, 16, v17
	v_mov_b32_e32 v14, 0x3b800000
	v_lshlrev_b32_e32 v10, 20, v10
	v_and_b32_e32 v12, 0x80000000, v12
	v_lshl_add_u32 v11, v11, 23, v14
	v_or3_b32 v10, v12, v11, v10
.LBB36_364:
	s_or_b64 exec, exec, s[6:7]
	v_lshrrev_b32_e32 v11, 8, v13
	s_movk_i32 s4, 0x7f
	v_cmp_gt_i16_sdwa s[6:7], v11, s4 src0_sel:BYTE_0 src1_sel:DWORD
	s_mov_b64 s[4:5], 0
                                        ; implicit-def: $sgpr10
	s_and_saveexec_b64 s[8:9], s[6:7]
	s_xor_b64 s[6:7], exec, s[8:9]
	s_cbranch_execnz .LBB36_2413
; %bb.365:
	s_or_saveexec_b64 s[6:7], s[6:7]
	v_mov_b32_e32 v12, s10
	s_xor_b64 exec, exec, s[6:7]
	s_cbranch_execnz .LBB36_2416
.LBB36_366:
	s_or_b64 exec, exec, s[6:7]
	s_and_saveexec_b64 s[6:7], s[4:5]
	s_cbranch_execz .LBB36_368
.LBB36_367:
	v_bfe_u32 v12, v13, 8, 3
	v_ffbh_u32_e32 v15, v12
	v_min_u32_e32 v15, 32, v15
	v_lshrrev_b16_e32 v14, 3, v11
	v_subrev_u32_e32 v16, 28, v15
	v_and_b32_e32 v14, 15, v14
	v_lshlrev_b32_e32 v11, v16, v11
	v_sub_u32_e32 v15, 29, v15
	v_and_b32_e32 v11, 7, v11
	v_cmp_eq_u16_e32 vcc, 0, v14
	v_cndmask_b32_e32 v11, v12, v11, vcc
	v_cndmask_b32_e32 v12, v14, v15, vcc
	v_lshlrev_b32_e32 v14, 16, v13
	v_mov_b32_e32 v15, 0x3b800000
	v_lshlrev_b32_e32 v11, 20, v11
	v_and_b32_e32 v14, 0x80000000, v14
	v_lshl_add_u32 v12, v12, 23, v15
	v_or3_b32 v12, v14, v12, v11
.LBB36_368:
	s_or_b64 exec, exec, s[6:7]
	s_nop 0
	v_mfma_f32_16x16x4f32 a[0:3], v10, v12, a[0:3]
	s_movk_i32 s4, 0xff
	v_and_b32_sdwa v11, v17, s4 dst_sel:DWORD dst_unused:UNUSED_PAD src0_sel:WORD_1 src1_sel:DWORD
	s_movk_i32 s4, 0x7f
	v_cmp_lt_i16_e32 vcc, s4, v11
	s_mov_b64 s[4:5], 0
                                        ; implicit-def: $sgpr10
	s_and_saveexec_b64 s[6:7], vcc
	s_xor_b64 s[6:7], exec, s[6:7]
	s_cbranch_execnz .LBB36_2417
; %bb.369:
	s_or_saveexec_b64 s[6:7], s[6:7]
	v_mov_b32_e32 v10, s10
	s_xor_b64 exec, exec, s[6:7]
	s_cbranch_execnz .LBB36_2420
.LBB36_370:
	s_or_b64 exec, exec, s[6:7]
	s_and_saveexec_b64 s[6:7], s[4:5]
	s_cbranch_execz .LBB36_372
.LBB36_371:
	v_bfe_u32 v10, v17, 16, 3
	v_ffbh_u32_e32 v14, v10
	v_min_u32_e32 v14, 32, v14
	v_lshrrev_b32_e32 v11, 19, v17
	v_subrev_u32_e32 v15, 28, v14
	v_and_b32_e32 v11, 15, v11
	v_lshlrev_b32_sdwa v15, v15, v17 dst_sel:DWORD dst_unused:UNUSED_PAD src0_sel:DWORD src1_sel:WORD_1
	v_bfe_u32 v12, v17, 19, 4
	v_sub_u32_e32 v14, 29, v14
	v_and_b32_e32 v15, 7, v15
	v_cmp_eq_u16_e32 vcc, 0, v11
	v_cndmask_b32_e32 v10, v10, v15, vcc
	v_cndmask_b32_e32 v11, v12, v14, vcc
	v_lshlrev_b32_e32 v12, 8, v17
	v_mov_b32_e32 v14, 0x3b800000
	v_lshlrev_b32_e32 v10, 20, v10
	v_and_b32_e32 v12, 0x80000000, v12
	v_lshl_add_u32 v11, v11, 23, v14
	v_or3_b32 v10, v12, v11, v10
.LBB36_372:
	s_or_b64 exec, exec, s[6:7]
	s_movk_i32 s4, 0xff
	v_and_b32_sdwa v11, v13, s4 dst_sel:DWORD dst_unused:UNUSED_PAD src0_sel:WORD_1 src1_sel:DWORD
	s_movk_i32 s4, 0x7f
	v_cmp_lt_i16_e32 vcc, s4, v11
	s_mov_b64 s[4:5], 0
                                        ; implicit-def: $sgpr10
	s_and_saveexec_b64 s[6:7], vcc
	s_xor_b64 s[6:7], exec, s[6:7]
	s_cbranch_execnz .LBB36_2421
; %bb.373:
	s_or_saveexec_b64 s[6:7], s[6:7]
	v_mov_b32_e32 v12, s10
	s_xor_b64 exec, exec, s[6:7]
	s_cbranch_execnz .LBB36_2424
.LBB36_374:
	s_or_b64 exec, exec, s[6:7]
	s_and_saveexec_b64 s[6:7], s[4:5]
	s_cbranch_execz .LBB36_376
.LBB36_375:
	v_bfe_u32 v11, v13, 16, 3
	v_ffbh_u32_e32 v15, v11
	v_min_u32_e32 v15, 32, v15
	v_lshrrev_b32_e32 v12, 19, v13
	v_subrev_u32_e32 v16, 28, v15
	v_and_b32_e32 v12, 15, v12
	v_lshlrev_b32_sdwa v16, v16, v13 dst_sel:DWORD dst_unused:UNUSED_PAD src0_sel:DWORD src1_sel:WORD_1
	v_bfe_u32 v14, v13, 19, 4
	v_sub_u32_e32 v15, 29, v15
	v_and_b32_e32 v16, 7, v16
	v_cmp_eq_u16_e32 vcc, 0, v12
	v_cndmask_b32_e32 v11, v11, v16, vcc
	v_cndmask_b32_e32 v12, v14, v15, vcc
	v_lshlrev_b32_e32 v14, 8, v13
	v_mov_b32_e32 v15, 0x3b800000
	v_lshlrev_b32_e32 v11, 20, v11
	v_and_b32_e32 v14, 0x80000000, v14
	v_lshl_add_u32 v12, v12, 23, v15
	v_or3_b32 v12, v14, v12, v11
.LBB36_376:
	s_or_b64 exec, exec, s[6:7]
	s_nop 0
	v_mfma_f32_16x16x4f32 a[0:3], v10, v12, a[0:3]
	s_movk_i32 s4, 0x7f
	v_cmp_gt_i16_sdwa s[6:7], v17, s4 src0_sel:BYTE_3 src1_sel:DWORD
	s_mov_b64 s[4:5], 0
                                        ; implicit-def: $sgpr10
	s_and_saveexec_b64 s[8:9], s[6:7]
	s_xor_b64 s[6:7], exec, s[8:9]
	s_cbranch_execnz .LBB36_2425
; %bb.377:
	s_or_saveexec_b64 s[6:7], s[6:7]
	v_mov_b32_e32 v10, s10
	s_xor_b64 exec, exec, s[6:7]
	s_cbranch_execnz .LBB36_2428
.LBB36_378:
	s_or_b64 exec, exec, s[6:7]
	s_and_saveexec_b64 s[6:7], s[4:5]
	s_cbranch_execz .LBB36_380
.LBB36_379:
	v_bfe_u32 v10, v17, 24, 3
	v_ffbh_u32_e32 v15, v10
	v_min_u32_e32 v15, 32, v15
	v_lshrrev_b32_e32 v12, 27, v17
	v_subrev_u32_e32 v16, 28, v15
	v_and_b32_e32 v12, 15, v12
	v_lshlrev_b32_sdwa v16, v16, v17 dst_sel:DWORD dst_unused:UNUSED_PAD src0_sel:DWORD src1_sel:BYTE_3
	v_bfe_u32 v14, v17, 27, 4
	v_sub_u32_e32 v15, 29, v15
	v_and_b32_e32 v16, 7, v16
	v_cmp_eq_u16_e32 vcc, 0, v12
	v_cndmask_b32_e32 v10, v10, v16, vcc
	v_cndmask_b32_e32 v12, v14, v15, vcc
	v_mov_b32_e32 v14, 0x3b800000
	v_and_b32_e32 v11, 0x80000000, v17
	v_lshlrev_b32_e32 v10, 20, v10
	v_lshl_add_u32 v12, v12, 23, v14
	v_or3_b32 v10, v11, v12, v10
.LBB36_380:
	s_or_b64 exec, exec, s[6:7]
	s_movk_i32 s4, 0x7f
	v_cmp_gt_i16_sdwa s[6:7], v13, s4 src0_sel:BYTE_3 src1_sel:DWORD
	s_mov_b64 s[4:5], 0
                                        ; implicit-def: $sgpr10
	s_and_saveexec_b64 s[8:9], s[6:7]
	s_xor_b64 s[6:7], exec, s[8:9]
	s_cbranch_execnz .LBB36_2429
; %bb.381:
	s_or_saveexec_b64 s[6:7], s[6:7]
	v_mov_b32_e32 v11, s10
	s_xor_b64 exec, exec, s[6:7]
	s_cbranch_execnz .LBB36_2432
.LBB36_382:
	s_or_b64 exec, exec, s[6:7]
	s_and_saveexec_b64 s[6:7], s[4:5]
	s_cbranch_execz .LBB36_384
.LBB36_383:
	v_bfe_u32 v11, v13, 24, 3
	v_ffbh_u32_e32 v16, v11
	v_min_u32_e32 v16, 32, v16
	v_lshrrev_b32_e32 v14, 27, v13
	v_subrev_u32_e32 v17, 28, v16
	v_and_b32_e32 v12, 0x80000000, v13
	v_and_b32_e32 v14, 15, v14
	v_bfe_u32 v15, v13, 27, 4
	v_lshlrev_b32_sdwa v13, v17, v13 dst_sel:DWORD dst_unused:UNUSED_PAD src0_sel:DWORD src1_sel:BYTE_3
	v_sub_u32_e32 v16, 29, v16
	v_and_b32_e32 v13, 7, v13
	v_cmp_eq_u16_e32 vcc, 0, v14
	v_cndmask_b32_e32 v11, v11, v13, vcc
	v_cndmask_b32_e32 v13, v15, v16, vcc
	v_mov_b32_e32 v14, 0x3b800000
	v_lshlrev_b32_e32 v11, 20, v11
	v_lshl_add_u32 v13, v13, 23, v14
	v_or3_b32 v11, v12, v13, v11
.LBB36_384:
	s_or_b64 exec, exec, s[6:7]
	s_nop 0
	v_mfma_f32_16x16x4f32 a[0:3], v10, v11, a[0:3]
	s_movk_i32 s4, 0x7f
	v_cmp_gt_i16_sdwa s[6:7], v6, s4 src0_sel:BYTE_0 src1_sel:DWORD
	s_mov_b64 s[4:5], 0
                                        ; implicit-def: $sgpr10
	s_and_saveexec_b64 s[8:9], s[6:7]
	s_xor_b64 s[6:7], exec, s[8:9]
	s_cbranch_execnz .LBB36_2433
; %bb.385:
	s_or_saveexec_b64 s[6:7], s[6:7]
	v_mov_b32_e32 v10, s10
	s_xor_b64 exec, exec, s[6:7]
	s_cbranch_execnz .LBB36_2436
.LBB36_386:
	s_or_b64 exec, exec, s[6:7]
	s_and_saveexec_b64 s[6:7], s[4:5]
	s_cbranch_execz .LBB36_388
.LBB36_387:
	v_and_b32_e32 v10, 7, v6
	v_ffbh_u32_e32 v12, v10
	v_min_u32_e32 v12, 32, v12
	v_lshrrev_b16_e32 v11, 3, v6
	v_subrev_u32_e32 v13, 28, v12
	v_and_b32_e32 v11, 15, v11
	v_lshlrev_b32_e32 v13, v13, v6
	v_sub_u32_e32 v12, 29, v12
	v_and_b32_e32 v13, 7, v13
	v_cmp_eq_u16_e32 vcc, 0, v11
	v_cndmask_b32_e32 v10, v10, v13, vcc
	v_cndmask_b32_e32 v11, v11, v12, vcc
	v_lshlrev_b32_e32 v12, 24, v6
	v_mov_b32_e32 v13, 0x3b800000
	v_lshlrev_b32_e32 v10, 20, v10
	v_and_b32_e32 v12, 0x80000000, v12
	v_lshl_add_u32 v11, v11, 23, v13
	v_or3_b32 v10, v12, v11, v10
.LBB36_388:
	s_or_b64 exec, exec, s[6:7]
	s_movk_i32 s4, 0x7f
	v_cmp_gt_i16_sdwa s[6:7], v2, s4 src0_sel:BYTE_0 src1_sel:DWORD
	s_mov_b64 s[4:5], 0
                                        ; implicit-def: $sgpr10
	s_and_saveexec_b64 s[8:9], s[6:7]
	s_xor_b64 s[6:7], exec, s[8:9]
	s_cbranch_execnz .LBB36_2437
; %bb.389:
	s_or_saveexec_b64 s[6:7], s[6:7]
	v_mov_b32_e32 v11, s10
	s_xor_b64 exec, exec, s[6:7]
	s_cbranch_execnz .LBB36_2440
.LBB36_390:
	s_or_b64 exec, exec, s[6:7]
	s_and_saveexec_b64 s[6:7], s[4:5]
	s_cbranch_execz .LBB36_392
.LBB36_391:
	v_and_b32_e32 v11, 7, v2
	v_ffbh_u32_e32 v13, v11
	v_min_u32_e32 v13, 32, v13
	v_lshrrev_b16_e32 v12, 3, v2
	v_subrev_u32_e32 v14, 28, v13
	v_and_b32_e32 v12, 15, v12
	v_lshlrev_b32_e32 v14, v14, v2
	v_sub_u32_e32 v13, 29, v13
	v_and_b32_e32 v14, 7, v14
	v_cmp_eq_u16_e32 vcc, 0, v12
	v_cndmask_b32_e32 v11, v11, v14, vcc
	v_cndmask_b32_e32 v12, v12, v13, vcc
	v_lshlrev_b32_e32 v13, 24, v2
	v_mov_b32_e32 v14, 0x3b800000
	v_lshlrev_b32_e32 v11, 20, v11
	v_and_b32_e32 v13, 0x80000000, v13
	v_lshl_add_u32 v12, v12, 23, v14
	v_or3_b32 v11, v13, v12, v11
.LBB36_392:
	s_or_b64 exec, exec, s[6:7]
	s_nop 0
	v_mfma_f32_16x16x4f32 a[0:3], v10, v11, a[0:3]
	v_lshrrev_b32_e32 v11, 8, v6
	s_movk_i32 s4, 0x7f
	v_cmp_gt_i16_sdwa s[6:7], v11, s4 src0_sel:BYTE_0 src1_sel:DWORD
	s_mov_b64 s[4:5], 0
                                        ; implicit-def: $sgpr10
	s_and_saveexec_b64 s[8:9], s[6:7]
	s_xor_b64 s[6:7], exec, s[8:9]
	s_cbranch_execnz .LBB36_2441
; %bb.393:
	s_or_saveexec_b64 s[6:7], s[6:7]
	v_mov_b32_e32 v10, s10
	s_xor_b64 exec, exec, s[6:7]
	s_cbranch_execnz .LBB36_2444
.LBB36_394:
	s_or_b64 exec, exec, s[6:7]
	s_and_saveexec_b64 s[6:7], s[4:5]
	s_cbranch_execz .LBB36_396
.LBB36_395:
	v_bfe_u32 v10, v6, 8, 3
	v_ffbh_u32_e32 v13, v10
	v_min_u32_e32 v13, 32, v13
	v_lshrrev_b16_e32 v12, 3, v11
	v_subrev_u32_e32 v14, 28, v13
	v_and_b32_e32 v12, 15, v12
	v_lshlrev_b32_e32 v11, v14, v11
	v_sub_u32_e32 v13, 29, v13
	v_and_b32_e32 v11, 7, v11
	v_cmp_eq_u16_e32 vcc, 0, v12
	v_cndmask_b32_e32 v10, v10, v11, vcc
	v_cndmask_b32_e32 v11, v12, v13, vcc
	v_lshlrev_b32_e32 v12, 16, v6
	v_mov_b32_e32 v13, 0x3b800000
	v_lshlrev_b32_e32 v10, 20, v10
	v_and_b32_e32 v12, 0x80000000, v12
	v_lshl_add_u32 v11, v11, 23, v13
	v_or3_b32 v10, v12, v11, v10
.LBB36_396:
	s_or_b64 exec, exec, s[6:7]
	v_lshrrev_b32_e32 v11, 8, v2
	s_movk_i32 s4, 0x7f
	v_cmp_gt_i16_sdwa s[6:7], v11, s4 src0_sel:BYTE_0 src1_sel:DWORD
	s_mov_b64 s[4:5], 0
                                        ; implicit-def: $sgpr10
	s_and_saveexec_b64 s[8:9], s[6:7]
	s_xor_b64 s[6:7], exec, s[8:9]
	s_cbranch_execnz .LBB36_2445
; %bb.397:
	s_or_saveexec_b64 s[6:7], s[6:7]
	v_mov_b32_e32 v12, s10
	s_xor_b64 exec, exec, s[6:7]
	s_cbranch_execnz .LBB36_2448
.LBB36_398:
	s_or_b64 exec, exec, s[6:7]
	s_and_saveexec_b64 s[6:7], s[4:5]
	s_cbranch_execz .LBB36_400
.LBB36_399:
	v_bfe_u32 v12, v2, 8, 3
	v_ffbh_u32_e32 v14, v12
	v_min_u32_e32 v14, 32, v14
	v_lshrrev_b16_e32 v13, 3, v11
	v_subrev_u32_e32 v15, 28, v14
	v_and_b32_e32 v13, 15, v13
	v_lshlrev_b32_e32 v11, v15, v11
	v_sub_u32_e32 v14, 29, v14
	v_and_b32_e32 v11, 7, v11
	v_cmp_eq_u16_e32 vcc, 0, v13
	v_cndmask_b32_e32 v11, v12, v11, vcc
	v_cndmask_b32_e32 v12, v13, v14, vcc
	v_lshlrev_b32_e32 v13, 16, v2
	v_mov_b32_e32 v14, 0x3b800000
	v_lshlrev_b32_e32 v11, 20, v11
	v_and_b32_e32 v13, 0x80000000, v13
	v_lshl_add_u32 v12, v12, 23, v14
	v_or3_b32 v12, v13, v12, v11
.LBB36_400:
	s_or_b64 exec, exec, s[6:7]
	s_nop 0
	v_mfma_f32_16x16x4f32 a[0:3], v10, v12, a[0:3]
	s_movk_i32 s4, 0xff
	v_and_b32_sdwa v11, v6, s4 dst_sel:DWORD dst_unused:UNUSED_PAD src0_sel:WORD_1 src1_sel:DWORD
	s_movk_i32 s4, 0x7f
	v_cmp_lt_i16_e32 vcc, s4, v11
	s_mov_b64 s[4:5], 0
                                        ; implicit-def: $sgpr10
	s_and_saveexec_b64 s[6:7], vcc
	s_xor_b64 s[6:7], exec, s[6:7]
	s_cbranch_execnz .LBB36_2449
; %bb.401:
	s_or_saveexec_b64 s[6:7], s[6:7]
	v_mov_b32_e32 v10, s10
	s_xor_b64 exec, exec, s[6:7]
	s_cbranch_execnz .LBB36_2452
.LBB36_402:
	s_or_b64 exec, exec, s[6:7]
	s_and_saveexec_b64 s[6:7], s[4:5]
	s_cbranch_execz .LBB36_404
.LBB36_403:
	v_bfe_u32 v10, v6, 16, 3
	v_ffbh_u32_e32 v13, v10
	v_min_u32_e32 v13, 32, v13
	v_lshrrev_b32_e32 v11, 19, v6
	v_subrev_u32_e32 v14, 28, v13
	v_and_b32_e32 v11, 15, v11
	v_lshlrev_b32_sdwa v14, v14, v6 dst_sel:DWORD dst_unused:UNUSED_PAD src0_sel:DWORD src1_sel:WORD_1
	v_bfe_u32 v12, v6, 19, 4
	v_sub_u32_e32 v13, 29, v13
	v_and_b32_e32 v14, 7, v14
	v_cmp_eq_u16_e32 vcc, 0, v11
	v_cndmask_b32_e32 v10, v10, v14, vcc
	v_cndmask_b32_e32 v11, v12, v13, vcc
	v_lshlrev_b32_e32 v12, 8, v6
	v_mov_b32_e32 v13, 0x3b800000
	v_lshlrev_b32_e32 v10, 20, v10
	v_and_b32_e32 v12, 0x80000000, v12
	v_lshl_add_u32 v11, v11, 23, v13
	v_or3_b32 v10, v12, v11, v10
.LBB36_404:
	s_or_b64 exec, exec, s[6:7]
	s_movk_i32 s4, 0xff
	v_and_b32_sdwa v11, v2, s4 dst_sel:DWORD dst_unused:UNUSED_PAD src0_sel:WORD_1 src1_sel:DWORD
	s_movk_i32 s4, 0x7f
	v_cmp_lt_i16_e32 vcc, s4, v11
	s_mov_b64 s[4:5], 0
                                        ; implicit-def: $sgpr10
	s_and_saveexec_b64 s[6:7], vcc
	s_xor_b64 s[6:7], exec, s[6:7]
	s_cbranch_execnz .LBB36_2453
; %bb.405:
	s_or_saveexec_b64 s[6:7], s[6:7]
	v_mov_b32_e32 v12, s10
	s_xor_b64 exec, exec, s[6:7]
	s_cbranch_execnz .LBB36_2456
.LBB36_406:
	s_or_b64 exec, exec, s[6:7]
	s_and_saveexec_b64 s[6:7], s[4:5]
	s_cbranch_execz .LBB36_408
.LBB36_407:
	v_bfe_u32 v11, v2, 16, 3
	v_ffbh_u32_e32 v14, v11
	v_min_u32_e32 v14, 32, v14
	v_lshrrev_b32_e32 v12, 19, v2
	v_subrev_u32_e32 v15, 28, v14
	v_and_b32_e32 v12, 15, v12
	v_lshlrev_b32_sdwa v15, v15, v2 dst_sel:DWORD dst_unused:UNUSED_PAD src0_sel:DWORD src1_sel:WORD_1
	v_bfe_u32 v13, v2, 19, 4
	v_sub_u32_e32 v14, 29, v14
	v_and_b32_e32 v15, 7, v15
	v_cmp_eq_u16_e32 vcc, 0, v12
	v_cndmask_b32_e32 v11, v11, v15, vcc
	v_cndmask_b32_e32 v12, v13, v14, vcc
	v_lshlrev_b32_e32 v13, 8, v2
	v_mov_b32_e32 v14, 0x3b800000
	v_lshlrev_b32_e32 v11, 20, v11
	v_and_b32_e32 v13, 0x80000000, v13
	v_lshl_add_u32 v12, v12, 23, v14
	v_or3_b32 v12, v13, v12, v11
.LBB36_408:
	s_or_b64 exec, exec, s[6:7]
	s_nop 0
	v_mfma_f32_16x16x4f32 a[0:3], v10, v12, a[0:3]
	s_movk_i32 s4, 0x7f
	v_cmp_gt_i16_sdwa s[6:7], v6, s4 src0_sel:BYTE_3 src1_sel:DWORD
	s_mov_b64 s[4:5], 0
                                        ; implicit-def: $sgpr10
	s_and_saveexec_b64 s[8:9], s[6:7]
	s_xor_b64 s[6:7], exec, s[8:9]
	s_cbranch_execnz .LBB36_2457
; %bb.409:
	s_or_saveexec_b64 s[6:7], s[6:7]
	v_mov_b32_e32 v10, s10
	s_xor_b64 exec, exec, s[6:7]
	s_cbranch_execnz .LBB36_2460
.LBB36_410:
	s_or_b64 exec, exec, s[6:7]
	s_and_saveexec_b64 s[6:7], s[4:5]
	s_cbranch_execz .LBB36_412
.LBB36_411:
	v_bfe_u32 v10, v6, 24, 3
	v_ffbh_u32_e32 v14, v10
	v_min_u32_e32 v14, 32, v14
	v_lshrrev_b32_e32 v12, 27, v6
	v_subrev_u32_e32 v15, 28, v14
	v_and_b32_e32 v11, 0x80000000, v6
	v_and_b32_e32 v12, 15, v12
	v_bfe_u32 v13, v6, 27, 4
	v_lshlrev_b32_sdwa v6, v15, v6 dst_sel:DWORD dst_unused:UNUSED_PAD src0_sel:DWORD src1_sel:BYTE_3
	v_sub_u32_e32 v14, 29, v14
	v_and_b32_e32 v6, 7, v6
	v_cmp_eq_u16_e32 vcc, 0, v12
	v_cndmask_b32_e32 v6, v10, v6, vcc
	v_cndmask_b32_e32 v10, v13, v14, vcc
	v_mov_b32_e32 v12, 0x3b800000
	v_lshlrev_b32_e32 v6, 20, v6
	v_lshl_add_u32 v10, v10, 23, v12
	v_or3_b32 v10, v11, v10, v6
.LBB36_412:
	s_or_b64 exec, exec, s[6:7]
	s_movk_i32 s4, 0x7f
	v_cmp_gt_i16_sdwa s[6:7], v2, s4 src0_sel:BYTE_3 src1_sel:DWORD
	s_mov_b64 s[4:5], 0
                                        ; implicit-def: $sgpr10
	s_and_saveexec_b64 s[8:9], s[6:7]
	s_xor_b64 s[6:7], exec, s[8:9]
	s_cbranch_execnz .LBB36_2461
; %bb.413:
	s_or_saveexec_b64 s[6:7], s[6:7]
	v_mov_b32_e32 v6, s10
	s_xor_b64 exec, exec, s[6:7]
	s_cbranch_execnz .LBB36_2464
.LBB36_414:
	s_or_b64 exec, exec, s[6:7]
	s_and_saveexec_b64 s[6:7], s[4:5]
	s_cbranch_execz .LBB36_416
.LBB36_415:
	v_bfe_u32 v6, v2, 24, 3
	v_ffbh_u32_e32 v14, v6
	v_min_u32_e32 v14, 32, v14
	v_lshrrev_b32_e32 v12, 27, v2
	v_subrev_u32_e32 v15, 28, v14
	v_and_b32_e32 v11, 0x80000000, v2
	v_and_b32_e32 v12, 15, v12
	v_bfe_u32 v13, v2, 27, 4
	v_lshlrev_b32_sdwa v2, v15, v2 dst_sel:DWORD dst_unused:UNUSED_PAD src0_sel:DWORD src1_sel:BYTE_3
	v_sub_u32_e32 v14, 29, v14
	v_and_b32_e32 v2, 7, v2
	v_cmp_eq_u16_e32 vcc, 0, v12
	v_cndmask_b32_e32 v2, v6, v2, vcc
	v_cndmask_b32_e32 v6, v13, v14, vcc
	v_mov_b32_e32 v12, 0x3b800000
	v_lshlrev_b32_e32 v2, 20, v2
	v_lshl_add_u32 v6, v6, 23, v12
	v_or3_b32 v6, v11, v6, v2
.LBB36_416:
	s_or_b64 exec, exec, s[6:7]
	s_nop 0
	v_mfma_f32_16x16x4f32 a[0:3], v10, v6, a[0:3]
	s_movk_i32 s4, 0x7f
	v_cmp_gt_i16_sdwa s[6:7], v7, s4 src0_sel:BYTE_0 src1_sel:DWORD
	s_mov_b64 s[4:5], 0
                                        ; implicit-def: $sgpr10
	s_and_saveexec_b64 s[8:9], s[6:7]
	s_xor_b64 s[6:7], exec, s[8:9]
	s_cbranch_execnz .LBB36_2465
; %bb.417:
	s_or_saveexec_b64 s[6:7], s[6:7]
	v_mov_b32_e32 v2, s10
	s_xor_b64 exec, exec, s[6:7]
	s_cbranch_execnz .LBB36_2468
.LBB36_418:
	s_or_b64 exec, exec, s[6:7]
	s_and_saveexec_b64 s[6:7], s[4:5]
	s_cbranch_execz .LBB36_420
.LBB36_419:
	v_and_b32_e32 v2, 7, v7
	v_ffbh_u32_e32 v10, v2
	v_min_u32_e32 v10, 32, v10
	v_lshrrev_b16_e32 v6, 3, v7
	v_subrev_u32_e32 v11, 28, v10
	v_and_b32_e32 v6, 15, v6
	v_lshlrev_b32_e32 v11, v11, v7
	v_sub_u32_e32 v10, 29, v10
	v_and_b32_e32 v11, 7, v11
	v_cmp_eq_u16_e32 vcc, 0, v6
	v_cndmask_b32_e32 v2, v2, v11, vcc
	v_cndmask_b32_e32 v6, v6, v10, vcc
	v_lshlrev_b32_e32 v10, 24, v7
	v_mov_b32_e32 v11, 0x3b800000
	v_lshlrev_b32_e32 v2, 20, v2
	v_and_b32_e32 v10, 0x80000000, v10
	v_lshl_add_u32 v6, v6, 23, v11
	v_or3_b32 v2, v10, v6, v2
.LBB36_420:
	s_or_b64 exec, exec, s[6:7]
	s_movk_i32 s4, 0x7f
	v_cmp_gt_i16_sdwa s[6:7], v3, s4 src0_sel:BYTE_0 src1_sel:DWORD
	s_mov_b64 s[4:5], 0
                                        ; implicit-def: $sgpr10
	s_and_saveexec_b64 s[8:9], s[6:7]
	s_xor_b64 s[6:7], exec, s[8:9]
	s_cbranch_execnz .LBB36_2469
; %bb.421:
	s_or_saveexec_b64 s[6:7], s[6:7]
	v_mov_b32_e32 v6, s10
	s_xor_b64 exec, exec, s[6:7]
	s_cbranch_execnz .LBB36_2472
.LBB36_422:
	s_or_b64 exec, exec, s[6:7]
	s_and_saveexec_b64 s[6:7], s[4:5]
	s_cbranch_execz .LBB36_424
.LBB36_423:
	v_and_b32_e32 v6, 7, v3
	v_ffbh_u32_e32 v11, v6
	v_min_u32_e32 v11, 32, v11
	v_lshrrev_b16_e32 v10, 3, v3
	v_subrev_u32_e32 v12, 28, v11
	v_and_b32_e32 v10, 15, v10
	v_lshlrev_b32_e32 v12, v12, v3
	v_sub_u32_e32 v11, 29, v11
	v_and_b32_e32 v12, 7, v12
	v_cmp_eq_u16_e32 vcc, 0, v10
	v_cndmask_b32_e32 v6, v6, v12, vcc
	v_cndmask_b32_e32 v10, v10, v11, vcc
	v_lshlrev_b32_e32 v11, 24, v3
	v_mov_b32_e32 v12, 0x3b800000
	v_lshlrev_b32_e32 v6, 20, v6
	v_and_b32_e32 v11, 0x80000000, v11
	v_lshl_add_u32 v10, v10, 23, v12
	v_or3_b32 v6, v11, v10, v6
.LBB36_424:
	s_or_b64 exec, exec, s[6:7]
	s_nop 0
	v_mfma_f32_16x16x4f32 a[0:3], v2, v6, a[0:3]
	v_lshrrev_b32_e32 v6, 8, v7
	s_movk_i32 s4, 0x7f
	v_cmp_gt_i16_sdwa s[6:7], v6, s4 src0_sel:BYTE_0 src1_sel:DWORD
	s_mov_b64 s[4:5], 0
                                        ; implicit-def: $sgpr10
	s_and_saveexec_b64 s[8:9], s[6:7]
	s_xor_b64 s[6:7], exec, s[8:9]
	s_cbranch_execnz .LBB36_2473
; %bb.425:
	s_or_saveexec_b64 s[6:7], s[6:7]
	v_mov_b32_e32 v2, s10
	s_xor_b64 exec, exec, s[6:7]
	s_cbranch_execnz .LBB36_2476
.LBB36_426:
	s_or_b64 exec, exec, s[6:7]
	s_and_saveexec_b64 s[6:7], s[4:5]
	s_cbranch_execz .LBB36_428
.LBB36_427:
	v_bfe_u32 v2, v7, 8, 3
	v_ffbh_u32_e32 v11, v2
	v_min_u32_e32 v11, 32, v11
	v_lshrrev_b16_e32 v10, 3, v6
	v_subrev_u32_e32 v12, 28, v11
	v_and_b32_e32 v10, 15, v10
	v_lshlrev_b32_e32 v6, v12, v6
	v_sub_u32_e32 v11, 29, v11
	v_and_b32_e32 v6, 7, v6
	v_cmp_eq_u16_e32 vcc, 0, v10
	v_cndmask_b32_e32 v2, v2, v6, vcc
	v_cndmask_b32_e32 v6, v10, v11, vcc
	v_lshlrev_b32_e32 v10, 16, v7
	v_mov_b32_e32 v11, 0x3b800000
	v_lshlrev_b32_e32 v2, 20, v2
	v_and_b32_e32 v10, 0x80000000, v10
	v_lshl_add_u32 v6, v6, 23, v11
	v_or3_b32 v2, v10, v6, v2
.LBB36_428:
	s_or_b64 exec, exec, s[6:7]
	v_lshrrev_b32_e32 v6, 8, v3
	s_movk_i32 s4, 0x7f
	v_cmp_gt_i16_sdwa s[6:7], v6, s4 src0_sel:BYTE_0 src1_sel:DWORD
	s_mov_b64 s[4:5], 0
                                        ; implicit-def: $sgpr10
	s_and_saveexec_b64 s[8:9], s[6:7]
	s_xor_b64 s[6:7], exec, s[8:9]
	s_cbranch_execnz .LBB36_2477
; %bb.429:
	s_or_saveexec_b64 s[6:7], s[6:7]
	v_mov_b32_e32 v10, s10
	s_xor_b64 exec, exec, s[6:7]
	s_cbranch_execnz .LBB36_2480
.LBB36_430:
	s_or_b64 exec, exec, s[6:7]
	s_and_saveexec_b64 s[6:7], s[4:5]
	s_cbranch_execz .LBB36_432
.LBB36_431:
	v_bfe_u32 v10, v3, 8, 3
	v_ffbh_u32_e32 v12, v10
	v_min_u32_e32 v12, 32, v12
	v_lshrrev_b16_e32 v11, 3, v6
	v_subrev_u32_e32 v13, 28, v12
	v_and_b32_e32 v11, 15, v11
	v_lshlrev_b32_e32 v6, v13, v6
	v_sub_u32_e32 v12, 29, v12
	v_and_b32_e32 v6, 7, v6
	v_cmp_eq_u16_e32 vcc, 0, v11
	v_cndmask_b32_e32 v6, v10, v6, vcc
	v_cndmask_b32_e32 v10, v11, v12, vcc
	v_lshlrev_b32_e32 v11, 16, v3
	v_mov_b32_e32 v12, 0x3b800000
	v_lshlrev_b32_e32 v6, 20, v6
	v_and_b32_e32 v11, 0x80000000, v11
	v_lshl_add_u32 v10, v10, 23, v12
	v_or3_b32 v10, v11, v10, v6
.LBB36_432:
	s_or_b64 exec, exec, s[6:7]
	s_nop 0
	v_mfma_f32_16x16x4f32 a[0:3], v2, v10, a[0:3]
	s_movk_i32 s4, 0xff
	v_and_b32_sdwa v6, v7, s4 dst_sel:DWORD dst_unused:UNUSED_PAD src0_sel:WORD_1 src1_sel:DWORD
	s_movk_i32 s4, 0x7f
	v_cmp_lt_i16_e32 vcc, s4, v6
	s_mov_b64 s[4:5], 0
                                        ; implicit-def: $sgpr10
	s_and_saveexec_b64 s[6:7], vcc
	s_xor_b64 s[6:7], exec, s[6:7]
	s_cbranch_execnz .LBB36_2481
; %bb.433:
	s_or_saveexec_b64 s[6:7], s[6:7]
	v_mov_b32_e32 v2, s10
	s_xor_b64 exec, exec, s[6:7]
	s_cbranch_execnz .LBB36_2484
.LBB36_434:
	s_or_b64 exec, exec, s[6:7]
	s_and_saveexec_b64 s[6:7], s[4:5]
	s_cbranch_execz .LBB36_436
.LBB36_435:
	v_bfe_u32 v2, v7, 16, 3
	v_ffbh_u32_e32 v11, v2
	v_min_u32_e32 v11, 32, v11
	v_lshrrev_b32_e32 v6, 19, v7
	v_subrev_u32_e32 v12, 28, v11
	v_and_b32_e32 v6, 15, v6
	v_lshlrev_b32_sdwa v12, v12, v7 dst_sel:DWORD dst_unused:UNUSED_PAD src0_sel:DWORD src1_sel:WORD_1
	v_bfe_u32 v10, v7, 19, 4
	v_sub_u32_e32 v11, 29, v11
	v_and_b32_e32 v12, 7, v12
	v_cmp_eq_u16_e32 vcc, 0, v6
	v_cndmask_b32_e32 v2, v2, v12, vcc
	v_cndmask_b32_e32 v6, v10, v11, vcc
	v_lshlrev_b32_e32 v10, 8, v7
	v_mov_b32_e32 v11, 0x3b800000
	v_lshlrev_b32_e32 v2, 20, v2
	v_and_b32_e32 v10, 0x80000000, v10
	v_lshl_add_u32 v6, v6, 23, v11
	v_or3_b32 v2, v10, v6, v2
.LBB36_436:
	s_or_b64 exec, exec, s[6:7]
	s_movk_i32 s4, 0xff
	v_and_b32_sdwa v6, v3, s4 dst_sel:DWORD dst_unused:UNUSED_PAD src0_sel:WORD_1 src1_sel:DWORD
	s_movk_i32 s4, 0x7f
	v_cmp_lt_i16_e32 vcc, s4, v6
	s_mov_b64 s[4:5], 0
                                        ; implicit-def: $sgpr10
	s_and_saveexec_b64 s[6:7], vcc
	s_xor_b64 s[6:7], exec, s[6:7]
	s_cbranch_execnz .LBB36_2485
; %bb.437:
	s_or_saveexec_b64 s[6:7], s[6:7]
	v_mov_b32_e32 v10, s10
	s_xor_b64 exec, exec, s[6:7]
	s_cbranch_execnz .LBB36_2488
.LBB36_438:
	s_or_b64 exec, exec, s[6:7]
	s_and_saveexec_b64 s[6:7], s[4:5]
	s_cbranch_execz .LBB36_440
.LBB36_439:
	v_bfe_u32 v6, v3, 16, 3
	v_ffbh_u32_e32 v12, v6
	v_min_u32_e32 v12, 32, v12
	v_lshrrev_b32_e32 v10, 19, v3
	v_subrev_u32_e32 v13, 28, v12
	v_and_b32_e32 v10, 15, v10
	v_lshlrev_b32_sdwa v13, v13, v3 dst_sel:DWORD dst_unused:UNUSED_PAD src0_sel:DWORD src1_sel:WORD_1
	v_bfe_u32 v11, v3, 19, 4
	v_sub_u32_e32 v12, 29, v12
	v_and_b32_e32 v13, 7, v13
	v_cmp_eq_u16_e32 vcc, 0, v10
	v_cndmask_b32_e32 v6, v6, v13, vcc
	v_cndmask_b32_e32 v10, v11, v12, vcc
	v_lshlrev_b32_e32 v11, 8, v3
	v_mov_b32_e32 v12, 0x3b800000
	v_lshlrev_b32_e32 v6, 20, v6
	v_and_b32_e32 v11, 0x80000000, v11
	v_lshl_add_u32 v10, v10, 23, v12
	v_or3_b32 v10, v11, v10, v6
.LBB36_440:
	s_or_b64 exec, exec, s[6:7]
	s_nop 0
	v_mfma_f32_16x16x4f32 a[0:3], v2, v10, a[0:3]
	s_movk_i32 s4, 0x7f
	v_cmp_gt_i16_sdwa s[6:7], v7, s4 src0_sel:BYTE_3 src1_sel:DWORD
	s_mov_b64 s[4:5], 0
                                        ; implicit-def: $sgpr10
	s_and_saveexec_b64 s[8:9], s[6:7]
	s_xor_b64 s[6:7], exec, s[8:9]
	s_cbranch_execnz .LBB36_2489
; %bb.441:
	s_or_saveexec_b64 s[6:7], s[6:7]
	v_mov_b32_e32 v2, s10
	s_xor_b64 exec, exec, s[6:7]
	s_cbranch_execnz .LBB36_2492
.LBB36_442:
	s_or_b64 exec, exec, s[6:7]
	s_and_saveexec_b64 s[6:7], s[4:5]
	s_cbranch_execz .LBB36_444
.LBB36_443:
	v_bfe_u32 v2, v7, 24, 3
	v_ffbh_u32_e32 v12, v2
	v_min_u32_e32 v12, 32, v12
	v_lshrrev_b32_e32 v10, 27, v7
	v_subrev_u32_e32 v13, 28, v12
	v_and_b32_e32 v6, 0x80000000, v7
	v_and_b32_e32 v10, 15, v10
	v_bfe_u32 v11, v7, 27, 4
	v_lshlrev_b32_sdwa v7, v13, v7 dst_sel:DWORD dst_unused:UNUSED_PAD src0_sel:DWORD src1_sel:BYTE_3
	v_sub_u32_e32 v12, 29, v12
	v_and_b32_e32 v7, 7, v7
	v_cmp_eq_u16_e32 vcc, 0, v10
	v_cndmask_b32_e32 v2, v2, v7, vcc
	v_cndmask_b32_e32 v7, v11, v12, vcc
	v_mov_b32_e32 v10, 0x3b800000
	v_lshlrev_b32_e32 v2, 20, v2
	v_lshl_add_u32 v7, v7, 23, v10
	v_or3_b32 v2, v6, v7, v2
.LBB36_444:
	s_or_b64 exec, exec, s[6:7]
	s_movk_i32 s4, 0x7f
	v_cmp_gt_i16_sdwa s[6:7], v3, s4 src0_sel:BYTE_3 src1_sel:DWORD
	s_mov_b64 s[4:5], 0
                                        ; implicit-def: $sgpr10
	s_and_saveexec_b64 s[8:9], s[6:7]
	s_xor_b64 s[6:7], exec, s[8:9]
	s_cbranch_execnz .LBB36_2493
; %bb.445:
	s_or_saveexec_b64 s[6:7], s[6:7]
	v_mov_b32_e32 v6, s10
	s_xor_b64 exec, exec, s[6:7]
	s_cbranch_execnz .LBB36_2496
.LBB36_446:
	s_or_b64 exec, exec, s[6:7]
	s_and_saveexec_b64 s[6:7], s[4:5]
	s_cbranch_execz .LBB36_448
.LBB36_447:
	v_bfe_u32 v6, v3, 24, 3
	v_ffbh_u32_e32 v12, v6
	v_min_u32_e32 v12, 32, v12
	v_lshrrev_b32_e32 v10, 27, v3
	v_subrev_u32_e32 v13, 28, v12
	v_and_b32_e32 v7, 0x80000000, v3
	v_and_b32_e32 v10, 15, v10
	v_bfe_u32 v11, v3, 27, 4
	v_lshlrev_b32_sdwa v3, v13, v3 dst_sel:DWORD dst_unused:UNUSED_PAD src0_sel:DWORD src1_sel:BYTE_3
	v_sub_u32_e32 v12, 29, v12
	v_and_b32_e32 v3, 7, v3
	v_cmp_eq_u16_e32 vcc, 0, v10
	v_cndmask_b32_e32 v3, v6, v3, vcc
	v_cndmask_b32_e32 v6, v11, v12, vcc
	v_mov_b32_e32 v10, 0x3b800000
	v_lshlrev_b32_e32 v3, 20, v3
	v_lshl_add_u32 v6, v6, 23, v10
	v_or3_b32 v6, v7, v6, v3
.LBB36_448:
	s_or_b64 exec, exec, s[6:7]
	s_nop 0
	v_mfma_f32_16x16x4f32 a[0:3], v2, v6, a[0:3]
	s_movk_i32 s4, 0x7f
	v_cmp_gt_i16_sdwa s[6:7], v8, s4 src0_sel:BYTE_0 src1_sel:DWORD
	s_mov_b64 s[4:5], 0
                                        ; implicit-def: $sgpr10
	s_and_saveexec_b64 s[8:9], s[6:7]
	s_xor_b64 s[6:7], exec, s[8:9]
	s_cbranch_execnz .LBB36_2497
; %bb.449:
	s_or_saveexec_b64 s[6:7], s[6:7]
	v_mov_b32_e32 v2, s10
	s_xor_b64 exec, exec, s[6:7]
	s_cbranch_execnz .LBB36_2500
.LBB36_450:
	s_or_b64 exec, exec, s[6:7]
	s_and_saveexec_b64 s[6:7], s[4:5]
	s_cbranch_execz .LBB36_452
.LBB36_451:
	v_and_b32_e32 v2, 7, v8
	v_ffbh_u32_e32 v6, v2
	v_min_u32_e32 v6, 32, v6
	v_lshrrev_b16_e32 v3, 3, v8
	v_subrev_u32_e32 v7, 28, v6
	v_and_b32_e32 v3, 15, v3
	v_lshlrev_b32_e32 v7, v7, v8
	v_sub_u32_e32 v6, 29, v6
	v_and_b32_e32 v7, 7, v7
	v_cmp_eq_u16_e32 vcc, 0, v3
	v_cndmask_b32_e32 v2, v2, v7, vcc
	v_cndmask_b32_e32 v3, v3, v6, vcc
	v_lshlrev_b32_e32 v6, 24, v8
	v_mov_b32_e32 v7, 0x3b800000
	v_lshlrev_b32_e32 v2, 20, v2
	v_and_b32_e32 v6, 0x80000000, v6
	v_lshl_add_u32 v3, v3, 23, v7
	v_or3_b32 v2, v6, v3, v2
.LBB36_452:
	s_or_b64 exec, exec, s[6:7]
	s_movk_i32 s4, 0x7f
	v_cmp_gt_i16_sdwa s[6:7], v4, s4 src0_sel:BYTE_0 src1_sel:DWORD
	s_mov_b64 s[4:5], 0
                                        ; implicit-def: $sgpr10
	s_and_saveexec_b64 s[8:9], s[6:7]
	s_xor_b64 s[6:7], exec, s[8:9]
	s_cbranch_execnz .LBB36_2501
; %bb.453:
	s_or_saveexec_b64 s[6:7], s[6:7]
	v_mov_b32_e32 v3, s10
	s_xor_b64 exec, exec, s[6:7]
	s_cbranch_execnz .LBB36_2504
.LBB36_454:
	s_or_b64 exec, exec, s[6:7]
	s_and_saveexec_b64 s[6:7], s[4:5]
	s_cbranch_execz .LBB36_456
.LBB36_455:
	v_and_b32_e32 v3, 7, v4
	v_ffbh_u32_e32 v7, v3
	v_min_u32_e32 v7, 32, v7
	v_lshrrev_b16_e32 v6, 3, v4
	v_subrev_u32_e32 v10, 28, v7
	v_and_b32_e32 v6, 15, v6
	v_lshlrev_b32_e32 v10, v10, v4
	v_sub_u32_e32 v7, 29, v7
	v_and_b32_e32 v10, 7, v10
	v_cmp_eq_u16_e32 vcc, 0, v6
	v_cndmask_b32_e32 v3, v3, v10, vcc
	v_cndmask_b32_e32 v6, v6, v7, vcc
	v_lshlrev_b32_e32 v7, 24, v4
	v_mov_b32_e32 v10, 0x3b800000
	v_lshlrev_b32_e32 v3, 20, v3
	v_and_b32_e32 v7, 0x80000000, v7
	v_lshl_add_u32 v6, v6, 23, v10
	v_or3_b32 v3, v7, v6, v3
.LBB36_456:
	s_or_b64 exec, exec, s[6:7]
	s_nop 0
	v_mfma_f32_16x16x4f32 a[0:3], v2, v3, a[0:3]
	v_lshrrev_b32_e32 v3, 8, v8
	s_movk_i32 s4, 0x7f
	v_cmp_gt_i16_sdwa s[6:7], v3, s4 src0_sel:BYTE_0 src1_sel:DWORD
	s_mov_b64 s[4:5], 0
                                        ; implicit-def: $sgpr10
	s_and_saveexec_b64 s[8:9], s[6:7]
	s_xor_b64 s[6:7], exec, s[8:9]
	s_cbranch_execnz .LBB36_2505
; %bb.457:
	s_or_saveexec_b64 s[6:7], s[6:7]
	v_mov_b32_e32 v2, s10
	s_xor_b64 exec, exec, s[6:7]
	s_cbranch_execnz .LBB36_2508
.LBB36_458:
	s_or_b64 exec, exec, s[6:7]
	s_and_saveexec_b64 s[6:7], s[4:5]
	s_cbranch_execz .LBB36_460
.LBB36_459:
	v_bfe_u32 v2, v8, 8, 3
	v_ffbh_u32_e32 v7, v2
	v_min_u32_e32 v7, 32, v7
	v_lshrrev_b16_e32 v6, 3, v3
	v_subrev_u32_e32 v10, 28, v7
	v_and_b32_e32 v6, 15, v6
	v_lshlrev_b32_e32 v3, v10, v3
	v_sub_u32_e32 v7, 29, v7
	v_and_b32_e32 v3, 7, v3
	v_cmp_eq_u16_e32 vcc, 0, v6
	v_cndmask_b32_e32 v2, v2, v3, vcc
	v_cndmask_b32_e32 v3, v6, v7, vcc
	v_lshlrev_b32_e32 v6, 16, v8
	v_mov_b32_e32 v7, 0x3b800000
	v_lshlrev_b32_e32 v2, 20, v2
	v_and_b32_e32 v6, 0x80000000, v6
	v_lshl_add_u32 v3, v3, 23, v7
	v_or3_b32 v2, v6, v3, v2
.LBB36_460:
	s_or_b64 exec, exec, s[6:7]
	v_lshrrev_b32_e32 v3, 8, v4
	s_movk_i32 s4, 0x7f
	v_cmp_gt_i16_sdwa s[6:7], v3, s4 src0_sel:BYTE_0 src1_sel:DWORD
	s_mov_b64 s[4:5], 0
                                        ; implicit-def: $sgpr10
	s_and_saveexec_b64 s[8:9], s[6:7]
	s_xor_b64 s[6:7], exec, s[8:9]
	s_cbranch_execnz .LBB36_2509
; %bb.461:
	s_or_saveexec_b64 s[6:7], s[6:7]
	v_mov_b32_e32 v6, s10
	s_xor_b64 exec, exec, s[6:7]
	s_cbranch_execnz .LBB36_2512
.LBB36_462:
	s_or_b64 exec, exec, s[6:7]
	s_and_saveexec_b64 s[6:7], s[4:5]
	s_cbranch_execz .LBB36_464
.LBB36_463:
	v_bfe_u32 v6, v4, 8, 3
	v_ffbh_u32_e32 v10, v6
	v_min_u32_e32 v10, 32, v10
	v_lshrrev_b16_e32 v7, 3, v3
	v_subrev_u32_e32 v11, 28, v10
	v_and_b32_e32 v7, 15, v7
	v_lshlrev_b32_e32 v3, v11, v3
	v_sub_u32_e32 v10, 29, v10
	v_and_b32_e32 v3, 7, v3
	v_cmp_eq_u16_e32 vcc, 0, v7
	v_cndmask_b32_e32 v3, v6, v3, vcc
	v_cndmask_b32_e32 v6, v7, v10, vcc
	v_lshlrev_b32_e32 v7, 16, v4
	v_mov_b32_e32 v10, 0x3b800000
	v_lshlrev_b32_e32 v3, 20, v3
	v_and_b32_e32 v7, 0x80000000, v7
	v_lshl_add_u32 v6, v6, 23, v10
	v_or3_b32 v6, v7, v6, v3
.LBB36_464:
	s_or_b64 exec, exec, s[6:7]
	s_nop 0
	v_mfma_f32_16x16x4f32 a[0:3], v2, v6, a[0:3]
	s_movk_i32 s4, 0xff
	v_and_b32_sdwa v3, v8, s4 dst_sel:DWORD dst_unused:UNUSED_PAD src0_sel:WORD_1 src1_sel:DWORD
	s_movk_i32 s4, 0x7f
	v_cmp_lt_i16_e32 vcc, s4, v3
	s_mov_b64 s[4:5], 0
                                        ; implicit-def: $sgpr10
	s_and_saveexec_b64 s[6:7], vcc
	s_xor_b64 s[6:7], exec, s[6:7]
	s_cbranch_execnz .LBB36_2513
; %bb.465:
	s_or_saveexec_b64 s[6:7], s[6:7]
	v_mov_b32_e32 v2, s10
	s_xor_b64 exec, exec, s[6:7]
	s_cbranch_execnz .LBB36_2516
.LBB36_466:
	s_or_b64 exec, exec, s[6:7]
	s_and_saveexec_b64 s[6:7], s[4:5]
	s_cbranch_execz .LBB36_468
.LBB36_467:
	v_bfe_u32 v2, v8, 16, 3
	v_ffbh_u32_e32 v7, v2
	v_min_u32_e32 v7, 32, v7
	v_lshrrev_b32_e32 v3, 19, v8
	v_subrev_u32_e32 v10, 28, v7
	v_and_b32_e32 v3, 15, v3
	v_lshlrev_b32_sdwa v10, v10, v8 dst_sel:DWORD dst_unused:UNUSED_PAD src0_sel:DWORD src1_sel:WORD_1
	v_bfe_u32 v6, v8, 19, 4
	v_sub_u32_e32 v7, 29, v7
	v_and_b32_e32 v10, 7, v10
	v_cmp_eq_u16_e32 vcc, 0, v3
	v_cndmask_b32_e32 v2, v2, v10, vcc
	v_cndmask_b32_e32 v3, v6, v7, vcc
	v_lshlrev_b32_e32 v6, 8, v8
	v_mov_b32_e32 v7, 0x3b800000
	v_lshlrev_b32_e32 v2, 20, v2
	v_and_b32_e32 v6, 0x80000000, v6
	v_lshl_add_u32 v3, v3, 23, v7
	v_or3_b32 v2, v6, v3, v2
.LBB36_468:
	s_or_b64 exec, exec, s[6:7]
	s_movk_i32 s4, 0xff
	v_and_b32_sdwa v3, v4, s4 dst_sel:DWORD dst_unused:UNUSED_PAD src0_sel:WORD_1 src1_sel:DWORD
	s_movk_i32 s4, 0x7f
	v_cmp_lt_i16_e32 vcc, s4, v3
	s_mov_b64 s[4:5], 0
                                        ; implicit-def: $sgpr10
	s_and_saveexec_b64 s[6:7], vcc
	s_xor_b64 s[6:7], exec, s[6:7]
	s_cbranch_execnz .LBB36_2517
; %bb.469:
	s_or_saveexec_b64 s[6:7], s[6:7]
	v_mov_b32_e32 v6, s10
	s_xor_b64 exec, exec, s[6:7]
	s_cbranch_execnz .LBB36_2520
.LBB36_470:
	s_or_b64 exec, exec, s[6:7]
	s_and_saveexec_b64 s[6:7], s[4:5]
	s_cbranch_execz .LBB36_472
.LBB36_471:
	v_bfe_u32 v3, v4, 16, 3
	v_ffbh_u32_e32 v10, v3
	v_min_u32_e32 v10, 32, v10
	v_lshrrev_b32_e32 v6, 19, v4
	v_subrev_u32_e32 v11, 28, v10
	v_and_b32_e32 v6, 15, v6
	v_lshlrev_b32_sdwa v11, v11, v4 dst_sel:DWORD dst_unused:UNUSED_PAD src0_sel:DWORD src1_sel:WORD_1
	v_bfe_u32 v7, v4, 19, 4
	v_sub_u32_e32 v10, 29, v10
	v_and_b32_e32 v11, 7, v11
	v_cmp_eq_u16_e32 vcc, 0, v6
	v_cndmask_b32_e32 v3, v3, v11, vcc
	v_cndmask_b32_e32 v6, v7, v10, vcc
	v_lshlrev_b32_e32 v7, 8, v4
	v_mov_b32_e32 v10, 0x3b800000
	v_lshlrev_b32_e32 v3, 20, v3
	v_and_b32_e32 v7, 0x80000000, v7
	v_lshl_add_u32 v6, v6, 23, v10
	v_or3_b32 v6, v7, v6, v3
.LBB36_472:
	s_or_b64 exec, exec, s[6:7]
	s_nop 0
	v_mfma_f32_16x16x4f32 a[0:3], v2, v6, a[0:3]
	s_movk_i32 s4, 0x7f
	v_cmp_gt_i16_sdwa s[6:7], v8, s4 src0_sel:BYTE_3 src1_sel:DWORD
	s_mov_b64 s[4:5], 0
                                        ; implicit-def: $sgpr10
	s_and_saveexec_b64 s[8:9], s[6:7]
	s_xor_b64 s[6:7], exec, s[8:9]
	s_cbranch_execnz .LBB36_2521
; %bb.473:
	s_or_saveexec_b64 s[6:7], s[6:7]
	v_mov_b32_e32 v2, s10
	s_xor_b64 exec, exec, s[6:7]
	s_cbranch_execnz .LBB36_2524
.LBB36_474:
	s_or_b64 exec, exec, s[6:7]
	s_and_saveexec_b64 s[6:7], s[4:5]
	s_cbranch_execz .LBB36_476
.LBB36_475:
	v_bfe_u32 v2, v8, 24, 3
	v_ffbh_u32_e32 v10, v2
	v_min_u32_e32 v10, 32, v10
	v_lshrrev_b32_e32 v6, 27, v8
	v_subrev_u32_e32 v11, 28, v10
	v_and_b32_e32 v3, 0x80000000, v8
	v_and_b32_e32 v6, 15, v6
	v_bfe_u32 v7, v8, 27, 4
	v_lshlrev_b32_sdwa v8, v11, v8 dst_sel:DWORD dst_unused:UNUSED_PAD src0_sel:DWORD src1_sel:BYTE_3
	v_sub_u32_e32 v10, 29, v10
	v_and_b32_e32 v8, 7, v8
	v_cmp_eq_u16_e32 vcc, 0, v6
	v_cndmask_b32_e32 v2, v2, v8, vcc
	v_cndmask_b32_e32 v6, v7, v10, vcc
	v_mov_b32_e32 v7, 0x3b800000
	v_lshlrev_b32_e32 v2, 20, v2
	v_lshl_add_u32 v6, v6, 23, v7
	v_or3_b32 v2, v3, v6, v2
.LBB36_476:
	s_or_b64 exec, exec, s[6:7]
	s_movk_i32 s4, 0x7f
	v_cmp_gt_i16_sdwa s[6:7], v4, s4 src0_sel:BYTE_3 src1_sel:DWORD
	s_mov_b64 s[4:5], 0
                                        ; implicit-def: $sgpr10
	s_and_saveexec_b64 s[8:9], s[6:7]
	s_xor_b64 s[6:7], exec, s[8:9]
	s_cbranch_execnz .LBB36_2525
; %bb.477:
	s_or_saveexec_b64 s[6:7], s[6:7]
	v_mov_b32_e32 v3, s10
	s_xor_b64 exec, exec, s[6:7]
	s_cbranch_execnz .LBB36_2528
.LBB36_478:
	s_or_b64 exec, exec, s[6:7]
	s_and_saveexec_b64 s[6:7], s[4:5]
	s_cbranch_execz .LBB36_480
.LBB36_479:
	v_bfe_u32 v3, v4, 24, 3
	v_ffbh_u32_e32 v10, v3
	v_min_u32_e32 v10, 32, v10
	v_lshrrev_b32_e32 v7, 27, v4
	v_subrev_u32_e32 v11, 28, v10
	v_and_b32_e32 v6, 0x80000000, v4
	v_and_b32_e32 v7, 15, v7
	v_bfe_u32 v8, v4, 27, 4
	v_lshlrev_b32_sdwa v4, v11, v4 dst_sel:DWORD dst_unused:UNUSED_PAD src0_sel:DWORD src1_sel:BYTE_3
	v_sub_u32_e32 v10, 29, v10
	v_and_b32_e32 v4, 7, v4
	v_cmp_eq_u16_e32 vcc, 0, v7
	v_cndmask_b32_e32 v3, v3, v4, vcc
	v_cndmask_b32_e32 v4, v8, v10, vcc
	v_mov_b32_e32 v7, 0x3b800000
	v_lshlrev_b32_e32 v3, 20, v3
	v_lshl_add_u32 v4, v4, 23, v7
	v_or3_b32 v3, v6, v4, v3
.LBB36_480:
	s_or_b64 exec, exec, s[6:7]
	s_nop 0
	v_mfma_f32_16x16x4f32 a[0:3], v2, v3, a[0:3]
	s_movk_i32 s4, 0x7f
	v_cmp_gt_i16_sdwa s[6:7], v9, s4 src0_sel:BYTE_0 src1_sel:DWORD
	s_mov_b64 s[4:5], 0
                                        ; implicit-def: $sgpr10
	s_and_saveexec_b64 s[8:9], s[6:7]
	s_xor_b64 s[6:7], exec, s[8:9]
	s_cbranch_execnz .LBB36_2529
; %bb.481:
	s_or_saveexec_b64 s[6:7], s[6:7]
	v_mov_b32_e32 v2, s10
	s_xor_b64 exec, exec, s[6:7]
	s_cbranch_execnz .LBB36_2532
.LBB36_482:
	s_or_b64 exec, exec, s[6:7]
	s_and_saveexec_b64 s[6:7], s[4:5]
	s_cbranch_execz .LBB36_484
.LBB36_483:
	v_mov_b32_e32 v2, 8
	v_and_b32_e32 v3, 7, v9
	v_lshrrev_b32_sdwa v2, v2, v9 dst_sel:BYTE_1 dst_unused:UNUSED_PAD src0_sel:DWORD src1_sel:DWORD
	v_ffbh_u32_e32 v4, v3
	v_or_b32_sdwa v2, v9, v2 dst_sel:DWORD dst_unused:UNUSED_PAD src0_sel:BYTE_0 src1_sel:DWORD
	v_min_u32_e32 v4, 32, v4
	v_lshrrev_b16_e32 v2, 3, v2
	v_subrev_u32_e32 v6, 28, v4
	v_and_b32_e32 v2, 15, v2
	v_lshlrev_b32_e32 v6, v6, v9
	v_sub_u32_e32 v4, 29, v4
	v_and_b32_e32 v6, 7, v6
	v_cmp_eq_u16_e32 vcc, 0, v2
	v_cndmask_b32_e32 v3, v3, v6, vcc
	v_cndmask_b32_e32 v2, v2, v4, vcc
	v_lshlrev_b32_e32 v4, 24, v9
	v_mov_b32_e32 v6, 0x3b800000
	v_lshlrev_b32_e32 v3, 20, v3
	v_and_b32_e32 v4, 0x80000000, v4
	v_lshl_add_u32 v2, v2, 23, v6
	v_or3_b32 v2, v4, v2, v3
.LBB36_484:
	s_or_b64 exec, exec, s[6:7]
	s_movk_i32 s4, 0x7f
	v_cmp_gt_i16_sdwa s[6:7], v5, s4 src0_sel:BYTE_0 src1_sel:DWORD
	s_mov_b64 s[4:5], 0
                                        ; implicit-def: $sgpr10
	s_and_saveexec_b64 s[8:9], s[6:7]
	s_xor_b64 s[6:7], exec, s[8:9]
	s_cbranch_execnz .LBB36_2533
; %bb.485:
	s_or_saveexec_b64 s[6:7], s[6:7]
	v_mov_b32_e32 v3, s10
	s_xor_b64 exec, exec, s[6:7]
	s_cbranch_execnz .LBB36_2536
.LBB36_486:
	s_or_b64 exec, exec, s[6:7]
	s_and_saveexec_b64 s[6:7], s[4:5]
	s_cbranch_execz .LBB36_488
.LBB36_487:
	v_mov_b32_e32 v3, 8
	v_and_b32_e32 v4, 7, v5
	v_lshrrev_b32_sdwa v3, v3, v5 dst_sel:BYTE_1 dst_unused:UNUSED_PAD src0_sel:DWORD src1_sel:DWORD
	v_ffbh_u32_e32 v6, v4
	v_or_b32_sdwa v3, v5, v3 dst_sel:DWORD dst_unused:UNUSED_PAD src0_sel:BYTE_0 src1_sel:DWORD
	v_min_u32_e32 v6, 32, v6
	v_lshrrev_b16_e32 v3, 3, v3
	v_subrev_u32_e32 v7, 28, v6
	v_and_b32_e32 v3, 15, v3
	v_lshlrev_b32_e32 v7, v7, v5
	v_sub_u32_e32 v6, 29, v6
	v_and_b32_e32 v7, 7, v7
	v_cmp_eq_u16_e32 vcc, 0, v3
	v_cndmask_b32_e32 v4, v4, v7, vcc
	v_cndmask_b32_e32 v3, v3, v6, vcc
	v_lshlrev_b32_e32 v6, 24, v5
	v_mov_b32_e32 v7, 0x3b800000
	v_lshlrev_b32_e32 v4, 20, v4
	v_and_b32_e32 v6, 0x80000000, v6
	v_lshl_add_u32 v3, v3, 23, v7
	v_or3_b32 v3, v6, v3, v4
.LBB36_488:
	s_or_b64 exec, exec, s[6:7]
	s_nop 0
	v_mfma_f32_16x16x4f32 a[0:3], v2, v3, a[0:3]
	v_lshrrev_b32_e32 v3, 8, v9
	s_movk_i32 s4, 0x7f
	v_cmp_gt_i16_sdwa s[6:7], v3, s4 src0_sel:BYTE_0 src1_sel:DWORD
	s_mov_b64 s[4:5], 0
                                        ; implicit-def: $sgpr10
	s_and_saveexec_b64 s[8:9], s[6:7]
	s_xor_b64 s[6:7], exec, s[8:9]
	s_cbranch_execnz .LBB36_2537
; %bb.489:
	s_or_saveexec_b64 s[6:7], s[6:7]
	v_mov_b32_e32 v2, s10
	s_xor_b64 exec, exec, s[6:7]
	s_cbranch_execnz .LBB36_2540
.LBB36_490:
	s_or_b64 exec, exec, s[6:7]
	s_and_saveexec_b64 s[6:7], s[4:5]
	s_cbranch_execz .LBB36_492
.LBB36_491:
	v_bfe_u32 v2, v9, 8, 3
	v_ffbh_u32_e32 v6, v2
	v_min_u32_e32 v6, 32, v6
	v_lshrrev_b16_e32 v4, 3, v3
	v_subrev_u32_e32 v7, 28, v6
	v_and_b32_e32 v4, 15, v4
	v_lshlrev_b32_e32 v3, v7, v3
	v_sub_u32_e32 v6, 29, v6
	v_and_b32_e32 v3, 7, v3
	v_cmp_eq_u16_e32 vcc, 0, v4
	v_cndmask_b32_e32 v2, v2, v3, vcc
	v_cndmask_b32_e32 v3, v4, v6, vcc
	v_lshlrev_b32_e32 v4, 16, v9
	v_mov_b32_e32 v6, 0x3b800000
	v_lshlrev_b32_e32 v2, 20, v2
	v_and_b32_e32 v4, 0x80000000, v4
	v_lshl_add_u32 v3, v3, 23, v6
	v_or3_b32 v2, v4, v3, v2
.LBB36_492:
	s_or_b64 exec, exec, s[6:7]
	v_lshrrev_b32_e32 v3, 8, v5
	s_movk_i32 s4, 0x7f
	v_cmp_gt_i16_sdwa s[6:7], v3, s4 src0_sel:BYTE_0 src1_sel:DWORD
	s_mov_b64 s[4:5], 0
                                        ; implicit-def: $sgpr10
	s_and_saveexec_b64 s[8:9], s[6:7]
	s_xor_b64 s[6:7], exec, s[8:9]
	s_cbranch_execnz .LBB36_2541
; %bb.493:
	s_or_saveexec_b64 s[6:7], s[6:7]
	v_mov_b32_e32 v4, s10
	s_xor_b64 exec, exec, s[6:7]
	s_cbranch_execnz .LBB36_2544
.LBB36_494:
	s_or_b64 exec, exec, s[6:7]
	s_and_saveexec_b64 s[6:7], s[4:5]
	s_cbranch_execz .LBB36_496
.LBB36_495:
	v_bfe_u32 v4, v5, 8, 3
	v_ffbh_u32_e32 v7, v4
	v_min_u32_e32 v7, 32, v7
	v_lshrrev_b16_e32 v6, 3, v3
	v_subrev_u32_e32 v8, 28, v7
	v_and_b32_e32 v6, 15, v6
	v_lshlrev_b32_e32 v3, v8, v3
	v_sub_u32_e32 v7, 29, v7
	v_and_b32_e32 v3, 7, v3
	v_cmp_eq_u16_e32 vcc, 0, v6
	v_cndmask_b32_e32 v3, v4, v3, vcc
	v_cndmask_b32_e32 v4, v6, v7, vcc
	v_lshlrev_b32_e32 v6, 16, v5
	v_mov_b32_e32 v7, 0x3b800000
	v_lshlrev_b32_e32 v3, 20, v3
	v_and_b32_e32 v6, 0x80000000, v6
	v_lshl_add_u32 v4, v4, 23, v7
	v_or3_b32 v4, v6, v4, v3
.LBB36_496:
	s_or_b64 exec, exec, s[6:7]
	s_nop 0
	v_mfma_f32_16x16x4f32 a[0:3], v2, v4, a[0:3]
	s_movk_i32 s4, 0xff
	v_and_b32_sdwa v3, v9, s4 dst_sel:DWORD dst_unused:UNUSED_PAD src0_sel:WORD_1 src1_sel:DWORD
	s_movk_i32 s4, 0x7f
	v_cmp_lt_i16_e32 vcc, s4, v3
	s_mov_b64 s[4:5], 0
                                        ; implicit-def: $sgpr10
	s_and_saveexec_b64 s[6:7], vcc
	s_xor_b64 s[6:7], exec, s[6:7]
	s_cbranch_execnz .LBB36_2545
; %bb.497:
	s_or_saveexec_b64 s[6:7], s[6:7]
	v_mov_b32_e32 v2, s10
	s_xor_b64 exec, exec, s[6:7]
	s_cbranch_execnz .LBB36_2548
.LBB36_498:
	s_or_b64 exec, exec, s[6:7]
	s_and_saveexec_b64 s[6:7], s[4:5]
	s_cbranch_execz .LBB36_500
.LBB36_499:
	v_bfe_u32 v2, v9, 16, 3
	v_ffbh_u32_e32 v6, v2
	v_min_u32_e32 v6, 32, v6
	v_lshrrev_b32_e32 v3, 19, v9
	v_subrev_u32_e32 v7, 28, v6
	v_and_b32_e32 v3, 15, v3
	v_lshlrev_b32_sdwa v7, v7, v9 dst_sel:DWORD dst_unused:UNUSED_PAD src0_sel:DWORD src1_sel:WORD_1
	v_bfe_u32 v4, v9, 19, 4
	v_sub_u32_e32 v6, 29, v6
	v_and_b32_e32 v7, 7, v7
	v_cmp_eq_u16_e32 vcc, 0, v3
	v_cndmask_b32_e32 v2, v2, v7, vcc
	v_cndmask_b32_e32 v3, v4, v6, vcc
	v_lshlrev_b32_e32 v4, 8, v9
	v_mov_b32_e32 v6, 0x3b800000
	v_lshlrev_b32_e32 v2, 20, v2
	v_and_b32_e32 v4, 0x80000000, v4
	v_lshl_add_u32 v3, v3, 23, v6
	v_or3_b32 v2, v4, v3, v2
.LBB36_500:
	s_or_b64 exec, exec, s[6:7]
	s_movk_i32 s4, 0xff
	v_and_b32_sdwa v3, v5, s4 dst_sel:DWORD dst_unused:UNUSED_PAD src0_sel:WORD_1 src1_sel:DWORD
	s_movk_i32 s4, 0x7f
	v_cmp_lt_i16_e32 vcc, s4, v3
	s_mov_b64 s[4:5], 0
                                        ; implicit-def: $sgpr10
	s_and_saveexec_b64 s[6:7], vcc
	s_xor_b64 s[6:7], exec, s[6:7]
	s_cbranch_execnz .LBB36_2549
; %bb.501:
	s_or_saveexec_b64 s[6:7], s[6:7]
	v_mov_b32_e32 v4, s10
	s_xor_b64 exec, exec, s[6:7]
	s_cbranch_execnz .LBB36_2552
.LBB36_502:
	s_or_b64 exec, exec, s[6:7]
	s_and_saveexec_b64 s[6:7], s[4:5]
	s_cbranch_execz .LBB36_504
.LBB36_503:
	v_bfe_u32 v3, v5, 16, 3
	v_ffbh_u32_e32 v7, v3
	v_min_u32_e32 v7, 32, v7
	v_lshrrev_b32_e32 v4, 19, v5
	v_subrev_u32_e32 v8, 28, v7
	v_and_b32_e32 v4, 15, v4
	v_lshlrev_b32_sdwa v8, v8, v5 dst_sel:DWORD dst_unused:UNUSED_PAD src0_sel:DWORD src1_sel:WORD_1
	v_bfe_u32 v6, v5, 19, 4
	v_sub_u32_e32 v7, 29, v7
	v_and_b32_e32 v8, 7, v8
	v_cmp_eq_u16_e32 vcc, 0, v4
	v_cndmask_b32_e32 v3, v3, v8, vcc
	v_cndmask_b32_e32 v4, v6, v7, vcc
	v_lshlrev_b32_e32 v6, 8, v5
	v_mov_b32_e32 v7, 0x3b800000
	v_lshlrev_b32_e32 v3, 20, v3
	v_and_b32_e32 v6, 0x80000000, v6
	v_lshl_add_u32 v4, v4, 23, v7
	v_or3_b32 v4, v6, v4, v3
.LBB36_504:
	s_or_b64 exec, exec, s[6:7]
	s_nop 0
	v_mfma_f32_16x16x4f32 a[0:3], v2, v4, a[0:3]
	s_movk_i32 s4, 0x7f
	v_cmp_gt_i16_sdwa s[6:7], v9, s4 src0_sel:BYTE_3 src1_sel:DWORD
	s_mov_b64 s[4:5], 0
                                        ; implicit-def: $sgpr10
	s_and_saveexec_b64 s[8:9], s[6:7]
	s_xor_b64 s[6:7], exec, s[8:9]
	s_cbranch_execnz .LBB36_2553
; %bb.505:
	s_or_saveexec_b64 s[6:7], s[6:7]
	v_mov_b32_e32 v2, s10
	s_xor_b64 exec, exec, s[6:7]
	s_cbranch_execnz .LBB36_2556
.LBB36_506:
	s_or_b64 exec, exec, s[6:7]
	s_and_saveexec_b64 s[6:7], s[4:5]
	s_cbranch_execz .LBB36_508
.LBB36_507:
	v_bfe_u32 v2, v9, 24, 3
	v_ffbh_u32_e32 v7, v2
	v_min_u32_e32 v7, 32, v7
	v_lshrrev_b32_e32 v4, 27, v9
	v_subrev_u32_e32 v8, 28, v7
	v_and_b32_e32 v4, 15, v4
	v_lshlrev_b32_sdwa v8, v8, v9 dst_sel:DWORD dst_unused:UNUSED_PAD src0_sel:DWORD src1_sel:BYTE_3
	v_bfe_u32 v6, v9, 27, 4
	v_sub_u32_e32 v7, 29, v7
	v_and_b32_e32 v8, 7, v8
	v_cmp_eq_u16_e32 vcc, 0, v4
	v_cndmask_b32_e32 v2, v2, v8, vcc
	v_cndmask_b32_e32 v4, v6, v7, vcc
	v_mov_b32_e32 v6, 0x3b800000
	v_and_b32_e32 v3, 0x80000000, v9
	v_lshlrev_b32_e32 v2, 20, v2
	v_lshl_add_u32 v4, v4, 23, v6
	v_or3_b32 v2, v3, v4, v2
.LBB36_508:
	s_or_b64 exec, exec, s[6:7]
	s_movk_i32 s4, 0x7f
	v_cmp_gt_i16_sdwa s[6:7], v5, s4 src0_sel:BYTE_3 src1_sel:DWORD
	s_mov_b64 s[4:5], 0
                                        ; implicit-def: $sgpr10
	s_and_saveexec_b64 s[8:9], s[6:7]
	s_xor_b64 s[6:7], exec, s[8:9]
	s_cbranch_execnz .LBB36_2557
; %bb.509:
	s_or_saveexec_b64 s[6:7], s[6:7]
	v_mov_b32_e32 v3, s10
	s_xor_b64 exec, exec, s[6:7]
	s_cbranch_execnz .LBB36_2560
.LBB36_510:
	s_or_b64 exec, exec, s[6:7]
	s_and_saveexec_b64 s[6:7], s[4:5]
	s_cbranch_execz .LBB36_512
.LBB36_511:
	v_bfe_u32 v3, v5, 24, 3
	v_ffbh_u32_e32 v8, v3
	v_min_u32_e32 v8, 32, v8
	v_lshrrev_b32_e32 v6, 27, v5
	v_subrev_u32_e32 v9, 28, v8
	v_and_b32_e32 v4, 0x80000000, v5
	v_and_b32_e32 v6, 15, v6
	v_bfe_u32 v7, v5, 27, 4
	v_lshlrev_b32_sdwa v5, v9, v5 dst_sel:DWORD dst_unused:UNUSED_PAD src0_sel:DWORD src1_sel:BYTE_3
	v_sub_u32_e32 v8, 29, v8
	v_and_b32_e32 v5, 7, v5
	v_cmp_eq_u16_e32 vcc, 0, v6
	v_cndmask_b32_e32 v3, v3, v5, vcc
	v_cndmask_b32_e32 v5, v7, v8, vcc
	v_mov_b32_e32 v6, 0x3b800000
	v_lshlrev_b32_e32 v3, 20, v3
	v_lshl_add_u32 v5, v5, 23, v6
	v_or3_b32 v3, v4, v5, v3
.LBB36_512:
	s_or_b64 exec, exec, s[6:7]
	s_nop 0
	v_mfma_f32_16x16x4f32 a[0:3], v2, v3, a[0:3]
	s_movk_i32 s4, 0x7f
                                        ; implicit-def: $sgpr10
	s_nop 7
	s_nop 1
	flat_store_dwordx4 v[18:19], a[0:3] offset:16
	flat_load_dwordx4 v[20:23], v[0:1] offset:16
	s_nop 0
	flat_load_dwordx2 v[18:19], v[0:1] offset:32
	s_waitcnt vmcnt(0) lgkmcnt(0)
	flat_load_dwordx4 v[14:17], v[20:21]
	flat_load_dwordx4 v[6:9], v[20:21] offset:16
	flat_load_dwordx4 v[10:13], v[22:23] offset:320
	;; [unrolled: 1-line block ×3, first 2 shown]
	s_waitcnt vmcnt(0) lgkmcnt(0)
	v_cmp_gt_i16_sdwa s[6:7], v14, s4 src0_sel:BYTE_0 src1_sel:DWORD
	s_mov_b64 s[4:5], 0
	s_and_saveexec_b64 s[8:9], s[6:7]
	s_xor_b64 s[6:7], exec, s[8:9]
	s_cbranch_execnz .LBB36_2561
; %bb.513:
	s_or_saveexec_b64 s[6:7], s[6:7]
	v_mov_b32_e32 v20, s10
	s_xor_b64 exec, exec, s[6:7]
	s_cbranch_execnz .LBB36_2564
.LBB36_514:
	s_or_b64 exec, exec, s[6:7]
	s_and_saveexec_b64 s[6:7], s[4:5]
	s_cbranch_execz .LBB36_516
.LBB36_515:
	v_and_b32_e32 v20, 7, v14
	v_ffbh_u32_e32 v22, v20
	v_min_u32_e32 v22, 32, v22
	v_lshrrev_b16_e32 v21, 3, v14
	v_subrev_u32_e32 v23, 28, v22
	v_and_b32_e32 v21, 15, v21
	v_lshlrev_b32_e32 v23, v23, v14
	v_sub_u32_e32 v22, 29, v22
	v_and_b32_e32 v23, 7, v23
	v_cmp_eq_u16_e32 vcc, 0, v21
	v_cndmask_b32_e32 v20, v20, v23, vcc
	v_cndmask_b32_e32 v21, v21, v22, vcc
	v_lshlrev_b32_e32 v22, 24, v14
	v_mov_b32_e32 v23, 0x3b800000
	v_lshlrev_b32_e32 v20, 20, v20
	v_and_b32_e32 v22, 0x80000000, v22
	v_lshl_add_u32 v21, v21, 23, v23
	v_or3_b32 v20, v22, v21, v20
.LBB36_516:
	s_or_b64 exec, exec, s[6:7]
	s_movk_i32 s4, 0x7f
	v_cmp_gt_i16_sdwa s[6:7], v10, s4 src0_sel:BYTE_0 src1_sel:DWORD
	s_mov_b64 s[4:5], 0
                                        ; implicit-def: $sgpr10
	s_and_saveexec_b64 s[8:9], s[6:7]
	s_xor_b64 s[6:7], exec, s[8:9]
	s_cbranch_execnz .LBB36_2565
; %bb.517:
	s_or_saveexec_b64 s[6:7], s[6:7]
	v_mov_b32_e32 v21, s10
	s_xor_b64 exec, exec, s[6:7]
	s_cbranch_execnz .LBB36_2568
.LBB36_518:
	s_or_b64 exec, exec, s[6:7]
	s_and_saveexec_b64 s[6:7], s[4:5]
	s_cbranch_execz .LBB36_520
.LBB36_519:
	v_and_b32_e32 v21, 7, v10
	v_ffbh_u32_e32 v23, v21
	v_min_u32_e32 v23, 32, v23
	v_lshrrev_b16_e32 v22, 3, v10
	v_subrev_u32_e32 v24, 28, v23
	v_and_b32_e32 v22, 15, v22
	v_lshlrev_b32_e32 v24, v24, v10
	v_sub_u32_e32 v23, 29, v23
	v_and_b32_e32 v24, 7, v24
	v_cmp_eq_u16_e32 vcc, 0, v22
	v_cndmask_b32_e32 v21, v21, v24, vcc
	v_cndmask_b32_e32 v22, v22, v23, vcc
	v_lshlrev_b32_e32 v23, 24, v10
	v_mov_b32_e32 v24, 0x3b800000
	v_lshlrev_b32_e32 v21, 20, v21
	v_and_b32_e32 v23, 0x80000000, v23
	v_lshl_add_u32 v22, v22, 23, v24
	v_or3_b32 v21, v23, v22, v21
.LBB36_520:
	s_or_b64 exec, exec, s[6:7]
	flat_load_dwordx4 a[0:3], v[18:19] offset:32
	s_movk_i32 s4, 0x7f
                                        ; implicit-def: $sgpr10
	s_waitcnt vmcnt(0) lgkmcnt(0)
	v_mfma_f32_16x16x4f32 a[0:3], v20, v21, a[0:3]
	v_lshrrev_b32_e32 v21, 8, v14
	v_cmp_gt_i16_sdwa s[6:7], v21, s4 src0_sel:BYTE_0 src1_sel:DWORD
	s_mov_b64 s[4:5], 0
	s_and_saveexec_b64 s[8:9], s[6:7]
	s_xor_b64 s[6:7], exec, s[8:9]
	s_cbranch_execnz .LBB36_2569
; %bb.521:
	s_or_saveexec_b64 s[6:7], s[6:7]
	v_mov_b32_e32 v20, s10
	s_xor_b64 exec, exec, s[6:7]
	s_cbranch_execnz .LBB36_2572
.LBB36_522:
	s_or_b64 exec, exec, s[6:7]
	s_and_saveexec_b64 s[6:7], s[4:5]
	s_cbranch_execz .LBB36_524
.LBB36_523:
	v_bfe_u32 v20, v14, 8, 3
	v_ffbh_u32_e32 v23, v20
	v_min_u32_e32 v23, 32, v23
	v_lshrrev_b16_e32 v22, 3, v21
	v_subrev_u32_e32 v24, 28, v23
	v_and_b32_e32 v22, 15, v22
	v_lshlrev_b32_e32 v21, v24, v21
	v_sub_u32_e32 v23, 29, v23
	v_and_b32_e32 v21, 7, v21
	v_cmp_eq_u16_e32 vcc, 0, v22
	v_cndmask_b32_e32 v20, v20, v21, vcc
	v_cndmask_b32_e32 v21, v22, v23, vcc
	v_lshlrev_b32_e32 v22, 16, v14
	v_mov_b32_e32 v23, 0x3b800000
	v_lshlrev_b32_e32 v20, 20, v20
	v_and_b32_e32 v22, 0x80000000, v22
	v_lshl_add_u32 v21, v21, 23, v23
	v_or3_b32 v20, v22, v21, v20
.LBB36_524:
	s_or_b64 exec, exec, s[6:7]
	v_lshrrev_b32_e32 v21, 8, v10
	s_movk_i32 s4, 0x7f
	v_cmp_gt_i16_sdwa s[6:7], v21, s4 src0_sel:BYTE_0 src1_sel:DWORD
	s_mov_b64 s[4:5], 0
                                        ; implicit-def: $sgpr10
	s_and_saveexec_b64 s[8:9], s[6:7]
	s_xor_b64 s[6:7], exec, s[8:9]
	s_cbranch_execnz .LBB36_2573
; %bb.525:
	s_or_saveexec_b64 s[6:7], s[6:7]
	v_mov_b32_e32 v22, s10
	s_xor_b64 exec, exec, s[6:7]
	s_cbranch_execnz .LBB36_2576
.LBB36_526:
	s_or_b64 exec, exec, s[6:7]
	s_and_saveexec_b64 s[6:7], s[4:5]
	s_cbranch_execz .LBB36_528
.LBB36_527:
	v_bfe_u32 v22, v10, 8, 3
	v_ffbh_u32_e32 v24, v22
	v_min_u32_e32 v24, 32, v24
	v_lshrrev_b16_e32 v23, 3, v21
	v_subrev_u32_e32 v25, 28, v24
	v_and_b32_e32 v23, 15, v23
	v_lshlrev_b32_e32 v21, v25, v21
	v_sub_u32_e32 v24, 29, v24
	v_and_b32_e32 v21, 7, v21
	v_cmp_eq_u16_e32 vcc, 0, v23
	v_cndmask_b32_e32 v21, v22, v21, vcc
	v_cndmask_b32_e32 v22, v23, v24, vcc
	v_lshlrev_b32_e32 v23, 16, v10
	v_mov_b32_e32 v24, 0x3b800000
	v_lshlrev_b32_e32 v21, 20, v21
	v_and_b32_e32 v23, 0x80000000, v23
	v_lshl_add_u32 v22, v22, 23, v24
	v_or3_b32 v22, v23, v22, v21
.LBB36_528:
	s_or_b64 exec, exec, s[6:7]
	s_nop 0
	v_mfma_f32_16x16x4f32 a[0:3], v20, v22, a[0:3]
	s_movk_i32 s4, 0xff
	v_and_b32_sdwa v21, v14, s4 dst_sel:DWORD dst_unused:UNUSED_PAD src0_sel:WORD_1 src1_sel:DWORD
	s_movk_i32 s4, 0x7f
	v_cmp_lt_i16_e32 vcc, s4, v21
	s_mov_b64 s[4:5], 0
                                        ; implicit-def: $sgpr10
	s_and_saveexec_b64 s[6:7], vcc
	s_xor_b64 s[6:7], exec, s[6:7]
	s_cbranch_execnz .LBB36_2577
; %bb.529:
	s_or_saveexec_b64 s[6:7], s[6:7]
	v_mov_b32_e32 v20, s10
	s_xor_b64 exec, exec, s[6:7]
	s_cbranch_execnz .LBB36_2580
.LBB36_530:
	s_or_b64 exec, exec, s[6:7]
	s_and_saveexec_b64 s[6:7], s[4:5]
	s_cbranch_execz .LBB36_532
.LBB36_531:
	v_bfe_u32 v20, v14, 16, 3
	v_ffbh_u32_e32 v23, v20
	v_min_u32_e32 v23, 32, v23
	v_lshrrev_b32_e32 v21, 19, v14
	v_subrev_u32_e32 v24, 28, v23
	v_and_b32_e32 v21, 15, v21
	v_lshlrev_b32_sdwa v24, v24, v14 dst_sel:DWORD dst_unused:UNUSED_PAD src0_sel:DWORD src1_sel:WORD_1
	v_bfe_u32 v22, v14, 19, 4
	v_sub_u32_e32 v23, 29, v23
	v_and_b32_e32 v24, 7, v24
	v_cmp_eq_u16_e32 vcc, 0, v21
	v_cndmask_b32_e32 v20, v20, v24, vcc
	v_cndmask_b32_e32 v21, v22, v23, vcc
	v_lshlrev_b32_e32 v22, 8, v14
	v_mov_b32_e32 v23, 0x3b800000
	v_lshlrev_b32_e32 v20, 20, v20
	v_and_b32_e32 v22, 0x80000000, v22
	v_lshl_add_u32 v21, v21, 23, v23
	v_or3_b32 v20, v22, v21, v20
.LBB36_532:
	s_or_b64 exec, exec, s[6:7]
	s_movk_i32 s4, 0xff
	v_and_b32_sdwa v21, v10, s4 dst_sel:DWORD dst_unused:UNUSED_PAD src0_sel:WORD_1 src1_sel:DWORD
	s_movk_i32 s4, 0x7f
	v_cmp_lt_i16_e32 vcc, s4, v21
	s_mov_b64 s[4:5], 0
                                        ; implicit-def: $sgpr10
	s_and_saveexec_b64 s[6:7], vcc
	s_xor_b64 s[6:7], exec, s[6:7]
	s_cbranch_execnz .LBB36_2581
; %bb.533:
	s_or_saveexec_b64 s[6:7], s[6:7]
	v_mov_b32_e32 v22, s10
	s_xor_b64 exec, exec, s[6:7]
	s_cbranch_execnz .LBB36_2584
.LBB36_534:
	s_or_b64 exec, exec, s[6:7]
	s_and_saveexec_b64 s[6:7], s[4:5]
	s_cbranch_execz .LBB36_536
.LBB36_535:
	v_bfe_u32 v21, v10, 16, 3
	v_ffbh_u32_e32 v24, v21
	v_min_u32_e32 v24, 32, v24
	v_lshrrev_b32_e32 v22, 19, v10
	v_subrev_u32_e32 v25, 28, v24
	v_and_b32_e32 v22, 15, v22
	v_lshlrev_b32_sdwa v25, v25, v10 dst_sel:DWORD dst_unused:UNUSED_PAD src0_sel:DWORD src1_sel:WORD_1
	v_bfe_u32 v23, v10, 19, 4
	v_sub_u32_e32 v24, 29, v24
	v_and_b32_e32 v25, 7, v25
	v_cmp_eq_u16_e32 vcc, 0, v22
	v_cndmask_b32_e32 v21, v21, v25, vcc
	v_cndmask_b32_e32 v22, v23, v24, vcc
	v_lshlrev_b32_e32 v23, 8, v10
	v_mov_b32_e32 v24, 0x3b800000
	v_lshlrev_b32_e32 v21, 20, v21
	v_and_b32_e32 v23, 0x80000000, v23
	v_lshl_add_u32 v22, v22, 23, v24
	v_or3_b32 v22, v23, v22, v21
.LBB36_536:
	s_or_b64 exec, exec, s[6:7]
	s_nop 0
	v_mfma_f32_16x16x4f32 a[0:3], v20, v22, a[0:3]
	s_movk_i32 s4, 0x7f
	v_cmp_gt_i16_sdwa s[6:7], v14, s4 src0_sel:BYTE_3 src1_sel:DWORD
	s_mov_b64 s[4:5], 0
                                        ; implicit-def: $sgpr10
	s_and_saveexec_b64 s[8:9], s[6:7]
	s_xor_b64 s[6:7], exec, s[8:9]
	s_cbranch_execnz .LBB36_2585
; %bb.537:
	s_or_saveexec_b64 s[6:7], s[6:7]
	v_mov_b32_e32 v20, s10
	s_xor_b64 exec, exec, s[6:7]
	s_cbranch_execnz .LBB36_2588
.LBB36_538:
	s_or_b64 exec, exec, s[6:7]
	s_and_saveexec_b64 s[6:7], s[4:5]
	s_cbranch_execz .LBB36_540
.LBB36_539:
	v_bfe_u32 v20, v14, 24, 3
	v_ffbh_u32_e32 v24, v20
	v_min_u32_e32 v24, 32, v24
	v_lshrrev_b32_e32 v22, 27, v14
	v_subrev_u32_e32 v25, 28, v24
	v_and_b32_e32 v21, 0x80000000, v14
	v_and_b32_e32 v22, 15, v22
	v_bfe_u32 v23, v14, 27, 4
	v_lshlrev_b32_sdwa v14, v25, v14 dst_sel:DWORD dst_unused:UNUSED_PAD src0_sel:DWORD src1_sel:BYTE_3
	v_sub_u32_e32 v24, 29, v24
	v_and_b32_e32 v14, 7, v14
	v_cmp_eq_u16_e32 vcc, 0, v22
	v_cndmask_b32_e32 v14, v20, v14, vcc
	v_cndmask_b32_e32 v20, v23, v24, vcc
	v_mov_b32_e32 v22, 0x3b800000
	v_lshlrev_b32_e32 v14, 20, v14
	v_lshl_add_u32 v20, v20, 23, v22
	v_or3_b32 v20, v21, v20, v14
.LBB36_540:
	s_or_b64 exec, exec, s[6:7]
	s_movk_i32 s4, 0x7f
	v_cmp_gt_i16_sdwa s[6:7], v10, s4 src0_sel:BYTE_3 src1_sel:DWORD
	s_mov_b64 s[4:5], 0
                                        ; implicit-def: $sgpr10
	s_and_saveexec_b64 s[8:9], s[6:7]
	s_xor_b64 s[6:7], exec, s[8:9]
	s_cbranch_execnz .LBB36_2589
; %bb.541:
	s_or_saveexec_b64 s[6:7], s[6:7]
	v_mov_b32_e32 v14, s10
	s_xor_b64 exec, exec, s[6:7]
	s_cbranch_execnz .LBB36_2592
.LBB36_542:
	s_or_b64 exec, exec, s[6:7]
	s_and_saveexec_b64 s[6:7], s[4:5]
	s_cbranch_execz .LBB36_544
.LBB36_543:
	v_bfe_u32 v14, v10, 24, 3
	v_ffbh_u32_e32 v24, v14
	v_min_u32_e32 v24, 32, v24
	v_lshrrev_b32_e32 v22, 27, v10
	v_subrev_u32_e32 v25, 28, v24
	v_and_b32_e32 v21, 0x80000000, v10
	v_and_b32_e32 v22, 15, v22
	v_bfe_u32 v23, v10, 27, 4
	v_lshlrev_b32_sdwa v10, v25, v10 dst_sel:DWORD dst_unused:UNUSED_PAD src0_sel:DWORD src1_sel:BYTE_3
	v_sub_u32_e32 v24, 29, v24
	v_and_b32_e32 v10, 7, v10
	v_cmp_eq_u16_e32 vcc, 0, v22
	v_cndmask_b32_e32 v10, v14, v10, vcc
	v_cndmask_b32_e32 v14, v23, v24, vcc
	v_mov_b32_e32 v22, 0x3b800000
	v_lshlrev_b32_e32 v10, 20, v10
	v_lshl_add_u32 v14, v14, 23, v22
	v_or3_b32 v14, v21, v14, v10
.LBB36_544:
	s_or_b64 exec, exec, s[6:7]
	s_nop 0
	v_mfma_f32_16x16x4f32 a[0:3], v20, v14, a[0:3]
	s_movk_i32 s4, 0x7f
	v_cmp_gt_i16_sdwa s[6:7], v15, s4 src0_sel:BYTE_0 src1_sel:DWORD
	s_mov_b64 s[4:5], 0
                                        ; implicit-def: $sgpr10
	s_and_saveexec_b64 s[8:9], s[6:7]
	s_xor_b64 s[6:7], exec, s[8:9]
	s_cbranch_execnz .LBB36_2593
; %bb.545:
	s_or_saveexec_b64 s[6:7], s[6:7]
	v_mov_b32_e32 v10, s10
	s_xor_b64 exec, exec, s[6:7]
	s_cbranch_execnz .LBB36_2596
.LBB36_546:
	s_or_b64 exec, exec, s[6:7]
	s_and_saveexec_b64 s[6:7], s[4:5]
	s_cbranch_execz .LBB36_548
.LBB36_547:
	v_and_b32_e32 v10, 7, v15
	v_ffbh_u32_e32 v20, v10
	v_min_u32_e32 v20, 32, v20
	v_lshrrev_b16_e32 v14, 3, v15
	v_subrev_u32_e32 v21, 28, v20
	v_and_b32_e32 v14, 15, v14
	v_lshlrev_b32_e32 v21, v21, v15
	v_sub_u32_e32 v20, 29, v20
	v_and_b32_e32 v21, 7, v21
	v_cmp_eq_u16_e32 vcc, 0, v14
	v_cndmask_b32_e32 v10, v10, v21, vcc
	v_cndmask_b32_e32 v14, v14, v20, vcc
	v_lshlrev_b32_e32 v20, 24, v15
	v_mov_b32_e32 v21, 0x3b800000
	v_lshlrev_b32_e32 v10, 20, v10
	v_and_b32_e32 v20, 0x80000000, v20
	v_lshl_add_u32 v14, v14, 23, v21
	v_or3_b32 v10, v20, v14, v10
.LBB36_548:
	s_or_b64 exec, exec, s[6:7]
	s_movk_i32 s4, 0x7f
	v_cmp_gt_i16_sdwa s[6:7], v11, s4 src0_sel:BYTE_0 src1_sel:DWORD
	s_mov_b64 s[4:5], 0
                                        ; implicit-def: $sgpr10
	s_and_saveexec_b64 s[8:9], s[6:7]
	s_xor_b64 s[6:7], exec, s[8:9]
	s_cbranch_execnz .LBB36_2597
; %bb.549:
	s_or_saveexec_b64 s[6:7], s[6:7]
	v_mov_b32_e32 v14, s10
	s_xor_b64 exec, exec, s[6:7]
	s_cbranch_execnz .LBB36_2600
.LBB36_550:
	s_or_b64 exec, exec, s[6:7]
	s_and_saveexec_b64 s[6:7], s[4:5]
	s_cbranch_execz .LBB36_552
.LBB36_551:
	v_and_b32_e32 v14, 7, v11
	v_ffbh_u32_e32 v21, v14
	v_min_u32_e32 v21, 32, v21
	v_lshrrev_b16_e32 v20, 3, v11
	v_subrev_u32_e32 v22, 28, v21
	v_and_b32_e32 v20, 15, v20
	v_lshlrev_b32_e32 v22, v22, v11
	v_sub_u32_e32 v21, 29, v21
	v_and_b32_e32 v22, 7, v22
	v_cmp_eq_u16_e32 vcc, 0, v20
	v_cndmask_b32_e32 v14, v14, v22, vcc
	v_cndmask_b32_e32 v20, v20, v21, vcc
	v_lshlrev_b32_e32 v21, 24, v11
	v_mov_b32_e32 v22, 0x3b800000
	v_lshlrev_b32_e32 v14, 20, v14
	v_and_b32_e32 v21, 0x80000000, v21
	v_lshl_add_u32 v20, v20, 23, v22
	v_or3_b32 v14, v21, v20, v14
.LBB36_552:
	s_or_b64 exec, exec, s[6:7]
	s_nop 0
	v_mfma_f32_16x16x4f32 a[0:3], v10, v14, a[0:3]
	v_lshrrev_b32_e32 v14, 8, v15
	s_movk_i32 s4, 0x7f
	v_cmp_gt_i16_sdwa s[6:7], v14, s4 src0_sel:BYTE_0 src1_sel:DWORD
	s_mov_b64 s[4:5], 0
                                        ; implicit-def: $sgpr10
	s_and_saveexec_b64 s[8:9], s[6:7]
	s_xor_b64 s[6:7], exec, s[8:9]
	s_cbranch_execnz .LBB36_2601
; %bb.553:
	s_or_saveexec_b64 s[6:7], s[6:7]
	v_mov_b32_e32 v10, s10
	s_xor_b64 exec, exec, s[6:7]
	s_cbranch_execnz .LBB36_2604
.LBB36_554:
	s_or_b64 exec, exec, s[6:7]
	s_and_saveexec_b64 s[6:7], s[4:5]
	s_cbranch_execz .LBB36_556
.LBB36_555:
	v_bfe_u32 v10, v15, 8, 3
	v_ffbh_u32_e32 v21, v10
	v_min_u32_e32 v21, 32, v21
	v_lshrrev_b16_e32 v20, 3, v14
	v_subrev_u32_e32 v22, 28, v21
	v_and_b32_e32 v20, 15, v20
	v_lshlrev_b32_e32 v14, v22, v14
	v_sub_u32_e32 v21, 29, v21
	v_and_b32_e32 v14, 7, v14
	v_cmp_eq_u16_e32 vcc, 0, v20
	v_cndmask_b32_e32 v10, v10, v14, vcc
	v_cndmask_b32_e32 v14, v20, v21, vcc
	v_lshlrev_b32_e32 v20, 16, v15
	v_mov_b32_e32 v21, 0x3b800000
	v_lshlrev_b32_e32 v10, 20, v10
	v_and_b32_e32 v20, 0x80000000, v20
	v_lshl_add_u32 v14, v14, 23, v21
	v_or3_b32 v10, v20, v14, v10
.LBB36_556:
	s_or_b64 exec, exec, s[6:7]
	v_lshrrev_b32_e32 v14, 8, v11
	s_movk_i32 s4, 0x7f
	v_cmp_gt_i16_sdwa s[6:7], v14, s4 src0_sel:BYTE_0 src1_sel:DWORD
	s_mov_b64 s[4:5], 0
                                        ; implicit-def: $sgpr10
	s_and_saveexec_b64 s[8:9], s[6:7]
	s_xor_b64 s[6:7], exec, s[8:9]
	s_cbranch_execnz .LBB36_2605
; %bb.557:
	s_or_saveexec_b64 s[6:7], s[6:7]
	v_mov_b32_e32 v20, s10
	s_xor_b64 exec, exec, s[6:7]
	s_cbranch_execnz .LBB36_2608
.LBB36_558:
	s_or_b64 exec, exec, s[6:7]
	s_and_saveexec_b64 s[6:7], s[4:5]
	s_cbranch_execz .LBB36_560
.LBB36_559:
	v_bfe_u32 v20, v11, 8, 3
	v_ffbh_u32_e32 v22, v20
	v_min_u32_e32 v22, 32, v22
	v_lshrrev_b16_e32 v21, 3, v14
	v_subrev_u32_e32 v23, 28, v22
	v_and_b32_e32 v21, 15, v21
	v_lshlrev_b32_e32 v14, v23, v14
	v_sub_u32_e32 v22, 29, v22
	v_and_b32_e32 v14, 7, v14
	v_cmp_eq_u16_e32 vcc, 0, v21
	v_cndmask_b32_e32 v14, v20, v14, vcc
	v_cndmask_b32_e32 v20, v21, v22, vcc
	v_lshlrev_b32_e32 v21, 16, v11
	v_mov_b32_e32 v22, 0x3b800000
	v_lshlrev_b32_e32 v14, 20, v14
	v_and_b32_e32 v21, 0x80000000, v21
	v_lshl_add_u32 v20, v20, 23, v22
	v_or3_b32 v20, v21, v20, v14
.LBB36_560:
	s_or_b64 exec, exec, s[6:7]
	s_nop 0
	v_mfma_f32_16x16x4f32 a[0:3], v10, v20, a[0:3]
	s_movk_i32 s4, 0xff
	v_and_b32_sdwa v14, v15, s4 dst_sel:DWORD dst_unused:UNUSED_PAD src0_sel:WORD_1 src1_sel:DWORD
	s_movk_i32 s4, 0x7f
	v_cmp_lt_i16_e32 vcc, s4, v14
	s_mov_b64 s[4:5], 0
                                        ; implicit-def: $sgpr10
	s_and_saveexec_b64 s[6:7], vcc
	s_xor_b64 s[6:7], exec, s[6:7]
	s_cbranch_execnz .LBB36_2609
; %bb.561:
	s_or_saveexec_b64 s[6:7], s[6:7]
	v_mov_b32_e32 v10, s10
	s_xor_b64 exec, exec, s[6:7]
	s_cbranch_execnz .LBB36_2612
.LBB36_562:
	s_or_b64 exec, exec, s[6:7]
	s_and_saveexec_b64 s[6:7], s[4:5]
	s_cbranch_execz .LBB36_564
.LBB36_563:
	v_bfe_u32 v10, v15, 16, 3
	v_ffbh_u32_e32 v21, v10
	v_min_u32_e32 v21, 32, v21
	v_lshrrev_b32_e32 v14, 19, v15
	v_subrev_u32_e32 v22, 28, v21
	v_and_b32_e32 v14, 15, v14
	v_lshlrev_b32_sdwa v22, v22, v15 dst_sel:DWORD dst_unused:UNUSED_PAD src0_sel:DWORD src1_sel:WORD_1
	v_bfe_u32 v20, v15, 19, 4
	v_sub_u32_e32 v21, 29, v21
	v_and_b32_e32 v22, 7, v22
	v_cmp_eq_u16_e32 vcc, 0, v14
	v_cndmask_b32_e32 v10, v10, v22, vcc
	v_cndmask_b32_e32 v14, v20, v21, vcc
	v_lshlrev_b32_e32 v20, 8, v15
	v_mov_b32_e32 v21, 0x3b800000
	v_lshlrev_b32_e32 v10, 20, v10
	v_and_b32_e32 v20, 0x80000000, v20
	v_lshl_add_u32 v14, v14, 23, v21
	v_or3_b32 v10, v20, v14, v10
.LBB36_564:
	s_or_b64 exec, exec, s[6:7]
	s_movk_i32 s4, 0xff
	v_and_b32_sdwa v14, v11, s4 dst_sel:DWORD dst_unused:UNUSED_PAD src0_sel:WORD_1 src1_sel:DWORD
	s_movk_i32 s4, 0x7f
	v_cmp_lt_i16_e32 vcc, s4, v14
	s_mov_b64 s[4:5], 0
                                        ; implicit-def: $sgpr10
	s_and_saveexec_b64 s[6:7], vcc
	s_xor_b64 s[6:7], exec, s[6:7]
	s_cbranch_execnz .LBB36_2613
; %bb.565:
	s_or_saveexec_b64 s[6:7], s[6:7]
	v_mov_b32_e32 v20, s10
	s_xor_b64 exec, exec, s[6:7]
	s_cbranch_execnz .LBB36_2616
.LBB36_566:
	s_or_b64 exec, exec, s[6:7]
	s_and_saveexec_b64 s[6:7], s[4:5]
	s_cbranch_execz .LBB36_568
.LBB36_567:
	v_bfe_u32 v14, v11, 16, 3
	v_ffbh_u32_e32 v22, v14
	v_min_u32_e32 v22, 32, v22
	v_lshrrev_b32_e32 v20, 19, v11
	v_subrev_u32_e32 v23, 28, v22
	v_and_b32_e32 v20, 15, v20
	v_lshlrev_b32_sdwa v23, v23, v11 dst_sel:DWORD dst_unused:UNUSED_PAD src0_sel:DWORD src1_sel:WORD_1
	v_bfe_u32 v21, v11, 19, 4
	v_sub_u32_e32 v22, 29, v22
	v_and_b32_e32 v23, 7, v23
	v_cmp_eq_u16_e32 vcc, 0, v20
	v_cndmask_b32_e32 v14, v14, v23, vcc
	v_cndmask_b32_e32 v20, v21, v22, vcc
	v_lshlrev_b32_e32 v21, 8, v11
	v_mov_b32_e32 v22, 0x3b800000
	v_lshlrev_b32_e32 v14, 20, v14
	v_and_b32_e32 v21, 0x80000000, v21
	v_lshl_add_u32 v20, v20, 23, v22
	v_or3_b32 v20, v21, v20, v14
.LBB36_568:
	s_or_b64 exec, exec, s[6:7]
	s_nop 0
	v_mfma_f32_16x16x4f32 a[0:3], v10, v20, a[0:3]
	s_movk_i32 s4, 0x7f
	v_cmp_gt_i16_sdwa s[6:7], v15, s4 src0_sel:BYTE_3 src1_sel:DWORD
	s_mov_b64 s[4:5], 0
                                        ; implicit-def: $sgpr10
	s_and_saveexec_b64 s[8:9], s[6:7]
	s_xor_b64 s[6:7], exec, s[8:9]
	s_cbranch_execnz .LBB36_2617
; %bb.569:
	s_or_saveexec_b64 s[6:7], s[6:7]
	v_mov_b32_e32 v10, s10
	s_xor_b64 exec, exec, s[6:7]
	s_cbranch_execnz .LBB36_2620
.LBB36_570:
	s_or_b64 exec, exec, s[6:7]
	s_and_saveexec_b64 s[6:7], s[4:5]
	s_cbranch_execz .LBB36_572
.LBB36_571:
	v_bfe_u32 v10, v15, 24, 3
	v_ffbh_u32_e32 v22, v10
	v_min_u32_e32 v22, 32, v22
	v_lshrrev_b32_e32 v20, 27, v15
	v_subrev_u32_e32 v23, 28, v22
	v_and_b32_e32 v14, 0x80000000, v15
	v_and_b32_e32 v20, 15, v20
	v_bfe_u32 v21, v15, 27, 4
	v_lshlrev_b32_sdwa v15, v23, v15 dst_sel:DWORD dst_unused:UNUSED_PAD src0_sel:DWORD src1_sel:BYTE_3
	v_sub_u32_e32 v22, 29, v22
	v_and_b32_e32 v15, 7, v15
	v_cmp_eq_u16_e32 vcc, 0, v20
	v_cndmask_b32_e32 v10, v10, v15, vcc
	v_cndmask_b32_e32 v15, v21, v22, vcc
	v_mov_b32_e32 v20, 0x3b800000
	v_lshlrev_b32_e32 v10, 20, v10
	v_lshl_add_u32 v15, v15, 23, v20
	v_or3_b32 v10, v14, v15, v10
.LBB36_572:
	s_or_b64 exec, exec, s[6:7]
	s_movk_i32 s4, 0x7f
	v_cmp_gt_i16_sdwa s[6:7], v11, s4 src0_sel:BYTE_3 src1_sel:DWORD
	s_mov_b64 s[4:5], 0
                                        ; implicit-def: $sgpr10
	s_and_saveexec_b64 s[8:9], s[6:7]
	s_xor_b64 s[6:7], exec, s[8:9]
	s_cbranch_execnz .LBB36_2621
; %bb.573:
	s_or_saveexec_b64 s[6:7], s[6:7]
	v_mov_b32_e32 v14, s10
	s_xor_b64 exec, exec, s[6:7]
	s_cbranch_execnz .LBB36_2624
.LBB36_574:
	s_or_b64 exec, exec, s[6:7]
	s_and_saveexec_b64 s[6:7], s[4:5]
	s_cbranch_execz .LBB36_576
.LBB36_575:
	v_bfe_u32 v14, v11, 24, 3
	v_ffbh_u32_e32 v22, v14
	v_min_u32_e32 v22, 32, v22
	v_lshrrev_b32_e32 v20, 27, v11
	v_subrev_u32_e32 v23, 28, v22
	v_and_b32_e32 v15, 0x80000000, v11
	v_and_b32_e32 v20, 15, v20
	v_bfe_u32 v21, v11, 27, 4
	v_lshlrev_b32_sdwa v11, v23, v11 dst_sel:DWORD dst_unused:UNUSED_PAD src0_sel:DWORD src1_sel:BYTE_3
	v_sub_u32_e32 v22, 29, v22
	v_and_b32_e32 v11, 7, v11
	v_cmp_eq_u16_e32 vcc, 0, v20
	v_cndmask_b32_e32 v11, v14, v11, vcc
	v_cndmask_b32_e32 v14, v21, v22, vcc
	v_mov_b32_e32 v20, 0x3b800000
	v_lshlrev_b32_e32 v11, 20, v11
	v_lshl_add_u32 v14, v14, 23, v20
	v_or3_b32 v14, v15, v14, v11
.LBB36_576:
	s_or_b64 exec, exec, s[6:7]
	s_nop 0
	v_mfma_f32_16x16x4f32 a[0:3], v10, v14, a[0:3]
	s_movk_i32 s4, 0x7f
	v_cmp_gt_i16_sdwa s[6:7], v16, s4 src0_sel:BYTE_0 src1_sel:DWORD
	s_mov_b64 s[4:5], 0
                                        ; implicit-def: $sgpr10
	s_and_saveexec_b64 s[8:9], s[6:7]
	s_xor_b64 s[6:7], exec, s[8:9]
	s_cbranch_execnz .LBB36_2625
; %bb.577:
	s_or_saveexec_b64 s[6:7], s[6:7]
	v_mov_b32_e32 v10, s10
	s_xor_b64 exec, exec, s[6:7]
	s_cbranch_execnz .LBB36_2628
.LBB36_578:
	s_or_b64 exec, exec, s[6:7]
	s_and_saveexec_b64 s[6:7], s[4:5]
	s_cbranch_execz .LBB36_580
.LBB36_579:
	v_and_b32_e32 v10, 7, v16
	v_ffbh_u32_e32 v14, v10
	v_min_u32_e32 v14, 32, v14
	v_lshrrev_b16_e32 v11, 3, v16
	v_subrev_u32_e32 v15, 28, v14
	v_and_b32_e32 v11, 15, v11
	v_lshlrev_b32_e32 v15, v15, v16
	v_sub_u32_e32 v14, 29, v14
	v_and_b32_e32 v15, 7, v15
	v_cmp_eq_u16_e32 vcc, 0, v11
	v_cndmask_b32_e32 v10, v10, v15, vcc
	v_cndmask_b32_e32 v11, v11, v14, vcc
	v_lshlrev_b32_e32 v14, 24, v16
	v_mov_b32_e32 v15, 0x3b800000
	v_lshlrev_b32_e32 v10, 20, v10
	v_and_b32_e32 v14, 0x80000000, v14
	v_lshl_add_u32 v11, v11, 23, v15
	v_or3_b32 v10, v14, v11, v10
.LBB36_580:
	s_or_b64 exec, exec, s[6:7]
	s_movk_i32 s4, 0x7f
	v_cmp_gt_i16_sdwa s[6:7], v12, s4 src0_sel:BYTE_0 src1_sel:DWORD
	s_mov_b64 s[4:5], 0
                                        ; implicit-def: $sgpr10
	s_and_saveexec_b64 s[8:9], s[6:7]
	s_xor_b64 s[6:7], exec, s[8:9]
	s_cbranch_execnz .LBB36_2629
; %bb.581:
	s_or_saveexec_b64 s[6:7], s[6:7]
	v_mov_b32_e32 v11, s10
	s_xor_b64 exec, exec, s[6:7]
	s_cbranch_execnz .LBB36_2632
.LBB36_582:
	s_or_b64 exec, exec, s[6:7]
	s_and_saveexec_b64 s[6:7], s[4:5]
	s_cbranch_execz .LBB36_584
.LBB36_583:
	v_and_b32_e32 v11, 7, v12
	v_ffbh_u32_e32 v15, v11
	v_min_u32_e32 v15, 32, v15
	v_lshrrev_b16_e32 v14, 3, v12
	v_subrev_u32_e32 v20, 28, v15
	v_and_b32_e32 v14, 15, v14
	v_lshlrev_b32_e32 v20, v20, v12
	v_sub_u32_e32 v15, 29, v15
	v_and_b32_e32 v20, 7, v20
	v_cmp_eq_u16_e32 vcc, 0, v14
	v_cndmask_b32_e32 v11, v11, v20, vcc
	v_cndmask_b32_e32 v14, v14, v15, vcc
	v_lshlrev_b32_e32 v15, 24, v12
	v_mov_b32_e32 v20, 0x3b800000
	v_lshlrev_b32_e32 v11, 20, v11
	v_and_b32_e32 v15, 0x80000000, v15
	v_lshl_add_u32 v14, v14, 23, v20
	v_or3_b32 v11, v15, v14, v11
.LBB36_584:
	s_or_b64 exec, exec, s[6:7]
	s_nop 0
	v_mfma_f32_16x16x4f32 a[0:3], v10, v11, a[0:3]
	v_lshrrev_b32_e32 v11, 8, v16
	s_movk_i32 s4, 0x7f
	v_cmp_gt_i16_sdwa s[6:7], v11, s4 src0_sel:BYTE_0 src1_sel:DWORD
	s_mov_b64 s[4:5], 0
                                        ; implicit-def: $sgpr10
	s_and_saveexec_b64 s[8:9], s[6:7]
	s_xor_b64 s[6:7], exec, s[8:9]
	s_cbranch_execnz .LBB36_2633
; %bb.585:
	s_or_saveexec_b64 s[6:7], s[6:7]
	v_mov_b32_e32 v10, s10
	s_xor_b64 exec, exec, s[6:7]
	s_cbranch_execnz .LBB36_2636
.LBB36_586:
	s_or_b64 exec, exec, s[6:7]
	s_and_saveexec_b64 s[6:7], s[4:5]
	s_cbranch_execz .LBB36_588
.LBB36_587:
	v_bfe_u32 v10, v16, 8, 3
	v_ffbh_u32_e32 v15, v10
	v_min_u32_e32 v15, 32, v15
	v_lshrrev_b16_e32 v14, 3, v11
	v_subrev_u32_e32 v20, 28, v15
	v_and_b32_e32 v14, 15, v14
	v_lshlrev_b32_e32 v11, v20, v11
	v_sub_u32_e32 v15, 29, v15
	v_and_b32_e32 v11, 7, v11
	v_cmp_eq_u16_e32 vcc, 0, v14
	v_cndmask_b32_e32 v10, v10, v11, vcc
	v_cndmask_b32_e32 v11, v14, v15, vcc
	v_lshlrev_b32_e32 v14, 16, v16
	v_mov_b32_e32 v15, 0x3b800000
	v_lshlrev_b32_e32 v10, 20, v10
	v_and_b32_e32 v14, 0x80000000, v14
	v_lshl_add_u32 v11, v11, 23, v15
	v_or3_b32 v10, v14, v11, v10
.LBB36_588:
	s_or_b64 exec, exec, s[6:7]
	v_lshrrev_b32_e32 v11, 8, v12
	s_movk_i32 s4, 0x7f
	v_cmp_gt_i16_sdwa s[6:7], v11, s4 src0_sel:BYTE_0 src1_sel:DWORD
	s_mov_b64 s[4:5], 0
                                        ; implicit-def: $sgpr10
	s_and_saveexec_b64 s[8:9], s[6:7]
	s_xor_b64 s[6:7], exec, s[8:9]
	s_cbranch_execnz .LBB36_2637
; %bb.589:
	s_or_saveexec_b64 s[6:7], s[6:7]
	v_mov_b32_e32 v14, s10
	s_xor_b64 exec, exec, s[6:7]
	s_cbranch_execnz .LBB36_2640
.LBB36_590:
	s_or_b64 exec, exec, s[6:7]
	s_and_saveexec_b64 s[6:7], s[4:5]
	s_cbranch_execz .LBB36_592
.LBB36_591:
	v_bfe_u32 v14, v12, 8, 3
	v_ffbh_u32_e32 v20, v14
	v_min_u32_e32 v20, 32, v20
	v_lshrrev_b16_e32 v15, 3, v11
	v_subrev_u32_e32 v21, 28, v20
	v_and_b32_e32 v15, 15, v15
	v_lshlrev_b32_e32 v11, v21, v11
	v_sub_u32_e32 v20, 29, v20
	v_and_b32_e32 v11, 7, v11
	v_cmp_eq_u16_e32 vcc, 0, v15
	v_cndmask_b32_e32 v11, v14, v11, vcc
	v_cndmask_b32_e32 v14, v15, v20, vcc
	v_lshlrev_b32_e32 v15, 16, v12
	v_mov_b32_e32 v20, 0x3b800000
	v_lshlrev_b32_e32 v11, 20, v11
	v_and_b32_e32 v15, 0x80000000, v15
	v_lshl_add_u32 v14, v14, 23, v20
	v_or3_b32 v14, v15, v14, v11
.LBB36_592:
	s_or_b64 exec, exec, s[6:7]
	s_nop 0
	v_mfma_f32_16x16x4f32 a[0:3], v10, v14, a[0:3]
	s_movk_i32 s4, 0xff
	v_and_b32_sdwa v11, v16, s4 dst_sel:DWORD dst_unused:UNUSED_PAD src0_sel:WORD_1 src1_sel:DWORD
	s_movk_i32 s4, 0x7f
	v_cmp_lt_i16_e32 vcc, s4, v11
	s_mov_b64 s[4:5], 0
                                        ; implicit-def: $sgpr10
	s_and_saveexec_b64 s[6:7], vcc
	s_xor_b64 s[6:7], exec, s[6:7]
	s_cbranch_execnz .LBB36_2641
; %bb.593:
	s_or_saveexec_b64 s[6:7], s[6:7]
	v_mov_b32_e32 v10, s10
	s_xor_b64 exec, exec, s[6:7]
	s_cbranch_execnz .LBB36_2644
.LBB36_594:
	s_or_b64 exec, exec, s[6:7]
	s_and_saveexec_b64 s[6:7], s[4:5]
	s_cbranch_execz .LBB36_596
.LBB36_595:
	v_bfe_u32 v10, v16, 16, 3
	v_ffbh_u32_e32 v15, v10
	v_min_u32_e32 v15, 32, v15
	v_lshrrev_b32_e32 v11, 19, v16
	v_subrev_u32_e32 v20, 28, v15
	v_and_b32_e32 v11, 15, v11
	v_lshlrev_b32_sdwa v20, v20, v16 dst_sel:DWORD dst_unused:UNUSED_PAD src0_sel:DWORD src1_sel:WORD_1
	v_bfe_u32 v14, v16, 19, 4
	v_sub_u32_e32 v15, 29, v15
	v_and_b32_e32 v20, 7, v20
	v_cmp_eq_u16_e32 vcc, 0, v11
	v_cndmask_b32_e32 v10, v10, v20, vcc
	v_cndmask_b32_e32 v11, v14, v15, vcc
	v_lshlrev_b32_e32 v14, 8, v16
	v_mov_b32_e32 v15, 0x3b800000
	v_lshlrev_b32_e32 v10, 20, v10
	v_and_b32_e32 v14, 0x80000000, v14
	v_lshl_add_u32 v11, v11, 23, v15
	v_or3_b32 v10, v14, v11, v10
.LBB36_596:
	s_or_b64 exec, exec, s[6:7]
	s_movk_i32 s4, 0xff
	v_and_b32_sdwa v11, v12, s4 dst_sel:DWORD dst_unused:UNUSED_PAD src0_sel:WORD_1 src1_sel:DWORD
	s_movk_i32 s4, 0x7f
	v_cmp_lt_i16_e32 vcc, s4, v11
	s_mov_b64 s[4:5], 0
                                        ; implicit-def: $sgpr10
	s_and_saveexec_b64 s[6:7], vcc
	s_xor_b64 s[6:7], exec, s[6:7]
	s_cbranch_execnz .LBB36_2645
; %bb.597:
	s_or_saveexec_b64 s[6:7], s[6:7]
	v_mov_b32_e32 v14, s10
	s_xor_b64 exec, exec, s[6:7]
	s_cbranch_execnz .LBB36_2648
.LBB36_598:
	s_or_b64 exec, exec, s[6:7]
	s_and_saveexec_b64 s[6:7], s[4:5]
	s_cbranch_execz .LBB36_600
.LBB36_599:
	v_bfe_u32 v11, v12, 16, 3
	v_ffbh_u32_e32 v20, v11
	v_min_u32_e32 v20, 32, v20
	v_lshrrev_b32_e32 v14, 19, v12
	v_subrev_u32_e32 v21, 28, v20
	v_and_b32_e32 v14, 15, v14
	v_lshlrev_b32_sdwa v21, v21, v12 dst_sel:DWORD dst_unused:UNUSED_PAD src0_sel:DWORD src1_sel:WORD_1
	v_bfe_u32 v15, v12, 19, 4
	v_sub_u32_e32 v20, 29, v20
	v_and_b32_e32 v21, 7, v21
	v_cmp_eq_u16_e32 vcc, 0, v14
	v_cndmask_b32_e32 v11, v11, v21, vcc
	v_cndmask_b32_e32 v14, v15, v20, vcc
	v_lshlrev_b32_e32 v15, 8, v12
	v_mov_b32_e32 v20, 0x3b800000
	v_lshlrev_b32_e32 v11, 20, v11
	v_and_b32_e32 v15, 0x80000000, v15
	v_lshl_add_u32 v14, v14, 23, v20
	v_or3_b32 v14, v15, v14, v11
.LBB36_600:
	s_or_b64 exec, exec, s[6:7]
	s_nop 0
	v_mfma_f32_16x16x4f32 a[0:3], v10, v14, a[0:3]
	s_movk_i32 s4, 0x7f
	v_cmp_gt_i16_sdwa s[6:7], v16, s4 src0_sel:BYTE_3 src1_sel:DWORD
	s_mov_b64 s[4:5], 0
                                        ; implicit-def: $sgpr10
	s_and_saveexec_b64 s[8:9], s[6:7]
	s_xor_b64 s[6:7], exec, s[8:9]
	s_cbranch_execnz .LBB36_2649
; %bb.601:
	s_or_saveexec_b64 s[6:7], s[6:7]
	v_mov_b32_e32 v10, s10
	s_xor_b64 exec, exec, s[6:7]
	s_cbranch_execnz .LBB36_2652
.LBB36_602:
	s_or_b64 exec, exec, s[6:7]
	s_and_saveexec_b64 s[6:7], s[4:5]
	s_cbranch_execz .LBB36_604
.LBB36_603:
	v_bfe_u32 v10, v16, 24, 3
	v_ffbh_u32_e32 v20, v10
	v_min_u32_e32 v20, 32, v20
	v_lshrrev_b32_e32 v14, 27, v16
	v_subrev_u32_e32 v21, 28, v20
	v_and_b32_e32 v11, 0x80000000, v16
	v_and_b32_e32 v14, 15, v14
	v_bfe_u32 v15, v16, 27, 4
	v_lshlrev_b32_sdwa v16, v21, v16 dst_sel:DWORD dst_unused:UNUSED_PAD src0_sel:DWORD src1_sel:BYTE_3
	v_sub_u32_e32 v20, 29, v20
	v_and_b32_e32 v16, 7, v16
	v_cmp_eq_u16_e32 vcc, 0, v14
	v_cndmask_b32_e32 v10, v10, v16, vcc
	v_cndmask_b32_e32 v14, v15, v20, vcc
	v_mov_b32_e32 v15, 0x3b800000
	v_lshlrev_b32_e32 v10, 20, v10
	v_lshl_add_u32 v14, v14, 23, v15
	v_or3_b32 v10, v11, v14, v10
.LBB36_604:
	s_or_b64 exec, exec, s[6:7]
	s_movk_i32 s4, 0x7f
	v_cmp_gt_i16_sdwa s[6:7], v12, s4 src0_sel:BYTE_3 src1_sel:DWORD
	s_mov_b64 s[4:5], 0
                                        ; implicit-def: $sgpr10
	s_and_saveexec_b64 s[8:9], s[6:7]
	s_xor_b64 s[6:7], exec, s[8:9]
	s_cbranch_execnz .LBB36_2653
; %bb.605:
	s_or_saveexec_b64 s[6:7], s[6:7]
	v_mov_b32_e32 v11, s10
	s_xor_b64 exec, exec, s[6:7]
	s_cbranch_execnz .LBB36_2656
.LBB36_606:
	s_or_b64 exec, exec, s[6:7]
	s_and_saveexec_b64 s[6:7], s[4:5]
	s_cbranch_execz .LBB36_608
.LBB36_607:
	v_bfe_u32 v11, v12, 24, 3
	v_ffbh_u32_e32 v20, v11
	v_min_u32_e32 v20, 32, v20
	v_lshrrev_b32_e32 v15, 27, v12
	v_subrev_u32_e32 v21, 28, v20
	v_and_b32_e32 v14, 0x80000000, v12
	v_and_b32_e32 v15, 15, v15
	v_bfe_u32 v16, v12, 27, 4
	v_lshlrev_b32_sdwa v12, v21, v12 dst_sel:DWORD dst_unused:UNUSED_PAD src0_sel:DWORD src1_sel:BYTE_3
	v_sub_u32_e32 v20, 29, v20
	v_and_b32_e32 v12, 7, v12
	v_cmp_eq_u16_e32 vcc, 0, v15
	v_cndmask_b32_e32 v11, v11, v12, vcc
	v_cndmask_b32_e32 v12, v16, v20, vcc
	v_mov_b32_e32 v15, 0x3b800000
	v_lshlrev_b32_e32 v11, 20, v11
	v_lshl_add_u32 v12, v12, 23, v15
	v_or3_b32 v11, v14, v12, v11
.LBB36_608:
	s_or_b64 exec, exec, s[6:7]
	s_nop 0
	v_mfma_f32_16x16x4f32 a[0:3], v10, v11, a[0:3]
	s_movk_i32 s4, 0x7f
	v_cmp_gt_i16_sdwa s[6:7], v17, s4 src0_sel:BYTE_0 src1_sel:DWORD
	s_mov_b64 s[4:5], 0
                                        ; implicit-def: $sgpr10
	s_and_saveexec_b64 s[8:9], s[6:7]
	s_xor_b64 s[6:7], exec, s[8:9]
	s_cbranch_execnz .LBB36_2657
; %bb.609:
	s_or_saveexec_b64 s[6:7], s[6:7]
	v_mov_b32_e32 v10, s10
	s_xor_b64 exec, exec, s[6:7]
	s_cbranch_execnz .LBB36_2660
.LBB36_610:
	s_or_b64 exec, exec, s[6:7]
	s_and_saveexec_b64 s[6:7], s[4:5]
	s_cbranch_execz .LBB36_612
.LBB36_611:
	v_and_b32_e32 v10, 7, v17
	v_ffbh_u32_e32 v12, v10
	v_min_u32_e32 v12, 32, v12
	v_lshrrev_b16_e32 v11, 3, v17
	v_subrev_u32_e32 v14, 28, v12
	v_and_b32_e32 v11, 15, v11
	v_lshlrev_b32_e32 v14, v14, v17
	v_sub_u32_e32 v12, 29, v12
	v_and_b32_e32 v14, 7, v14
	v_cmp_eq_u16_e32 vcc, 0, v11
	v_cndmask_b32_e32 v10, v10, v14, vcc
	v_cndmask_b32_e32 v11, v11, v12, vcc
	v_lshlrev_b32_e32 v12, 24, v17
	v_mov_b32_e32 v14, 0x3b800000
	v_lshlrev_b32_e32 v10, 20, v10
	v_and_b32_e32 v12, 0x80000000, v12
	v_lshl_add_u32 v11, v11, 23, v14
	v_or3_b32 v10, v12, v11, v10
.LBB36_612:
	s_or_b64 exec, exec, s[6:7]
	s_movk_i32 s4, 0x7f
	v_cmp_gt_i16_sdwa s[6:7], v13, s4 src0_sel:BYTE_0 src1_sel:DWORD
	s_mov_b64 s[4:5], 0
                                        ; implicit-def: $sgpr10
	s_and_saveexec_b64 s[8:9], s[6:7]
	s_xor_b64 s[6:7], exec, s[8:9]
	s_cbranch_execnz .LBB36_2661
; %bb.613:
	s_or_saveexec_b64 s[6:7], s[6:7]
	v_mov_b32_e32 v11, s10
	s_xor_b64 exec, exec, s[6:7]
	s_cbranch_execnz .LBB36_2664
.LBB36_614:
	s_or_b64 exec, exec, s[6:7]
	s_and_saveexec_b64 s[6:7], s[4:5]
	s_cbranch_execz .LBB36_616
.LBB36_615:
	v_and_b32_e32 v11, 7, v13
	v_ffbh_u32_e32 v14, v11
	v_min_u32_e32 v14, 32, v14
	v_lshrrev_b16_e32 v12, 3, v13
	v_subrev_u32_e32 v15, 28, v14
	v_and_b32_e32 v12, 15, v12
	v_lshlrev_b32_e32 v15, v15, v13
	v_sub_u32_e32 v14, 29, v14
	v_and_b32_e32 v15, 7, v15
	v_cmp_eq_u16_e32 vcc, 0, v12
	v_cndmask_b32_e32 v11, v11, v15, vcc
	v_cndmask_b32_e32 v12, v12, v14, vcc
	v_lshlrev_b32_e32 v14, 24, v13
	v_mov_b32_e32 v15, 0x3b800000
	v_lshlrev_b32_e32 v11, 20, v11
	v_and_b32_e32 v14, 0x80000000, v14
	v_lshl_add_u32 v12, v12, 23, v15
	v_or3_b32 v11, v14, v12, v11
.LBB36_616:
	s_or_b64 exec, exec, s[6:7]
	s_nop 0
	v_mfma_f32_16x16x4f32 a[0:3], v10, v11, a[0:3]
	v_lshrrev_b32_e32 v11, 8, v17
	s_movk_i32 s4, 0x7f
	v_cmp_gt_i16_sdwa s[6:7], v11, s4 src0_sel:BYTE_0 src1_sel:DWORD
	s_mov_b64 s[4:5], 0
                                        ; implicit-def: $sgpr10
	s_and_saveexec_b64 s[8:9], s[6:7]
	s_xor_b64 s[6:7], exec, s[8:9]
	s_cbranch_execnz .LBB36_2665
; %bb.617:
	s_or_saveexec_b64 s[6:7], s[6:7]
	v_mov_b32_e32 v10, s10
	s_xor_b64 exec, exec, s[6:7]
	s_cbranch_execnz .LBB36_2668
.LBB36_618:
	s_or_b64 exec, exec, s[6:7]
	s_and_saveexec_b64 s[6:7], s[4:5]
	s_cbranch_execz .LBB36_620
.LBB36_619:
	v_bfe_u32 v10, v17, 8, 3
	v_ffbh_u32_e32 v14, v10
	v_min_u32_e32 v14, 32, v14
	v_lshrrev_b16_e32 v12, 3, v11
	v_subrev_u32_e32 v15, 28, v14
	v_and_b32_e32 v12, 15, v12
	v_lshlrev_b32_e32 v11, v15, v11
	v_sub_u32_e32 v14, 29, v14
	v_and_b32_e32 v11, 7, v11
	v_cmp_eq_u16_e32 vcc, 0, v12
	v_cndmask_b32_e32 v10, v10, v11, vcc
	v_cndmask_b32_e32 v11, v12, v14, vcc
	v_lshlrev_b32_e32 v12, 16, v17
	v_mov_b32_e32 v14, 0x3b800000
	v_lshlrev_b32_e32 v10, 20, v10
	v_and_b32_e32 v12, 0x80000000, v12
	v_lshl_add_u32 v11, v11, 23, v14
	v_or3_b32 v10, v12, v11, v10
.LBB36_620:
	s_or_b64 exec, exec, s[6:7]
	v_lshrrev_b32_e32 v11, 8, v13
	s_movk_i32 s4, 0x7f
	v_cmp_gt_i16_sdwa s[6:7], v11, s4 src0_sel:BYTE_0 src1_sel:DWORD
	s_mov_b64 s[4:5], 0
                                        ; implicit-def: $sgpr10
	s_and_saveexec_b64 s[8:9], s[6:7]
	s_xor_b64 s[6:7], exec, s[8:9]
	s_cbranch_execnz .LBB36_2669
; %bb.621:
	s_or_saveexec_b64 s[6:7], s[6:7]
	v_mov_b32_e32 v12, s10
	s_xor_b64 exec, exec, s[6:7]
	s_cbranch_execnz .LBB36_2672
.LBB36_622:
	s_or_b64 exec, exec, s[6:7]
	s_and_saveexec_b64 s[6:7], s[4:5]
	s_cbranch_execz .LBB36_624
.LBB36_623:
	v_bfe_u32 v12, v13, 8, 3
	v_ffbh_u32_e32 v15, v12
	v_min_u32_e32 v15, 32, v15
	v_lshrrev_b16_e32 v14, 3, v11
	v_subrev_u32_e32 v16, 28, v15
	v_and_b32_e32 v14, 15, v14
	v_lshlrev_b32_e32 v11, v16, v11
	v_sub_u32_e32 v15, 29, v15
	v_and_b32_e32 v11, 7, v11
	v_cmp_eq_u16_e32 vcc, 0, v14
	v_cndmask_b32_e32 v11, v12, v11, vcc
	v_cndmask_b32_e32 v12, v14, v15, vcc
	v_lshlrev_b32_e32 v14, 16, v13
	v_mov_b32_e32 v15, 0x3b800000
	v_lshlrev_b32_e32 v11, 20, v11
	v_and_b32_e32 v14, 0x80000000, v14
	v_lshl_add_u32 v12, v12, 23, v15
	v_or3_b32 v12, v14, v12, v11
.LBB36_624:
	s_or_b64 exec, exec, s[6:7]
	s_nop 0
	v_mfma_f32_16x16x4f32 a[0:3], v10, v12, a[0:3]
	s_movk_i32 s4, 0xff
	v_and_b32_sdwa v11, v17, s4 dst_sel:DWORD dst_unused:UNUSED_PAD src0_sel:WORD_1 src1_sel:DWORD
	s_movk_i32 s4, 0x7f
	v_cmp_lt_i16_e32 vcc, s4, v11
	s_mov_b64 s[4:5], 0
                                        ; implicit-def: $sgpr10
	s_and_saveexec_b64 s[6:7], vcc
	s_xor_b64 s[6:7], exec, s[6:7]
	s_cbranch_execnz .LBB36_2673
; %bb.625:
	s_or_saveexec_b64 s[6:7], s[6:7]
	v_mov_b32_e32 v10, s10
	s_xor_b64 exec, exec, s[6:7]
	s_cbranch_execnz .LBB36_2676
.LBB36_626:
	s_or_b64 exec, exec, s[6:7]
	s_and_saveexec_b64 s[6:7], s[4:5]
	s_cbranch_execz .LBB36_628
.LBB36_627:
	v_bfe_u32 v10, v17, 16, 3
	v_ffbh_u32_e32 v14, v10
	v_min_u32_e32 v14, 32, v14
	v_lshrrev_b32_e32 v11, 19, v17
	v_subrev_u32_e32 v15, 28, v14
	v_and_b32_e32 v11, 15, v11
	v_lshlrev_b32_sdwa v15, v15, v17 dst_sel:DWORD dst_unused:UNUSED_PAD src0_sel:DWORD src1_sel:WORD_1
	v_bfe_u32 v12, v17, 19, 4
	v_sub_u32_e32 v14, 29, v14
	v_and_b32_e32 v15, 7, v15
	v_cmp_eq_u16_e32 vcc, 0, v11
	v_cndmask_b32_e32 v10, v10, v15, vcc
	v_cndmask_b32_e32 v11, v12, v14, vcc
	v_lshlrev_b32_e32 v12, 8, v17
	v_mov_b32_e32 v14, 0x3b800000
	v_lshlrev_b32_e32 v10, 20, v10
	v_and_b32_e32 v12, 0x80000000, v12
	v_lshl_add_u32 v11, v11, 23, v14
	v_or3_b32 v10, v12, v11, v10
.LBB36_628:
	s_or_b64 exec, exec, s[6:7]
	s_movk_i32 s4, 0xff
	v_and_b32_sdwa v11, v13, s4 dst_sel:DWORD dst_unused:UNUSED_PAD src0_sel:WORD_1 src1_sel:DWORD
	s_movk_i32 s4, 0x7f
	v_cmp_lt_i16_e32 vcc, s4, v11
	s_mov_b64 s[4:5], 0
                                        ; implicit-def: $sgpr10
	s_and_saveexec_b64 s[6:7], vcc
	s_xor_b64 s[6:7], exec, s[6:7]
	s_cbranch_execnz .LBB36_2677
; %bb.629:
	s_or_saveexec_b64 s[6:7], s[6:7]
	v_mov_b32_e32 v12, s10
	s_xor_b64 exec, exec, s[6:7]
	s_cbranch_execnz .LBB36_2680
.LBB36_630:
	s_or_b64 exec, exec, s[6:7]
	s_and_saveexec_b64 s[6:7], s[4:5]
	s_cbranch_execz .LBB36_632
.LBB36_631:
	v_bfe_u32 v11, v13, 16, 3
	v_ffbh_u32_e32 v15, v11
	v_min_u32_e32 v15, 32, v15
	v_lshrrev_b32_e32 v12, 19, v13
	v_subrev_u32_e32 v16, 28, v15
	v_and_b32_e32 v12, 15, v12
	v_lshlrev_b32_sdwa v16, v16, v13 dst_sel:DWORD dst_unused:UNUSED_PAD src0_sel:DWORD src1_sel:WORD_1
	v_bfe_u32 v14, v13, 19, 4
	v_sub_u32_e32 v15, 29, v15
	v_and_b32_e32 v16, 7, v16
	v_cmp_eq_u16_e32 vcc, 0, v12
	v_cndmask_b32_e32 v11, v11, v16, vcc
	v_cndmask_b32_e32 v12, v14, v15, vcc
	v_lshlrev_b32_e32 v14, 8, v13
	v_mov_b32_e32 v15, 0x3b800000
	v_lshlrev_b32_e32 v11, 20, v11
	v_and_b32_e32 v14, 0x80000000, v14
	v_lshl_add_u32 v12, v12, 23, v15
	v_or3_b32 v12, v14, v12, v11
.LBB36_632:
	s_or_b64 exec, exec, s[6:7]
	s_nop 0
	v_mfma_f32_16x16x4f32 a[0:3], v10, v12, a[0:3]
	s_movk_i32 s4, 0x7f
	v_cmp_gt_i16_sdwa s[6:7], v17, s4 src0_sel:BYTE_3 src1_sel:DWORD
	s_mov_b64 s[4:5], 0
                                        ; implicit-def: $sgpr10
	s_and_saveexec_b64 s[8:9], s[6:7]
	s_xor_b64 s[6:7], exec, s[8:9]
	s_cbranch_execnz .LBB36_2681
; %bb.633:
	s_or_saveexec_b64 s[6:7], s[6:7]
	v_mov_b32_e32 v10, s10
	s_xor_b64 exec, exec, s[6:7]
	s_cbranch_execnz .LBB36_2684
.LBB36_634:
	s_or_b64 exec, exec, s[6:7]
	s_and_saveexec_b64 s[6:7], s[4:5]
	s_cbranch_execz .LBB36_636
.LBB36_635:
	v_bfe_u32 v10, v17, 24, 3
	v_ffbh_u32_e32 v15, v10
	v_min_u32_e32 v15, 32, v15
	v_lshrrev_b32_e32 v12, 27, v17
	v_subrev_u32_e32 v16, 28, v15
	v_and_b32_e32 v12, 15, v12
	v_lshlrev_b32_sdwa v16, v16, v17 dst_sel:DWORD dst_unused:UNUSED_PAD src0_sel:DWORD src1_sel:BYTE_3
	v_bfe_u32 v14, v17, 27, 4
	v_sub_u32_e32 v15, 29, v15
	v_and_b32_e32 v16, 7, v16
	v_cmp_eq_u16_e32 vcc, 0, v12
	v_cndmask_b32_e32 v10, v10, v16, vcc
	v_cndmask_b32_e32 v12, v14, v15, vcc
	v_mov_b32_e32 v14, 0x3b800000
	v_and_b32_e32 v11, 0x80000000, v17
	v_lshlrev_b32_e32 v10, 20, v10
	v_lshl_add_u32 v12, v12, 23, v14
	v_or3_b32 v10, v11, v12, v10
.LBB36_636:
	s_or_b64 exec, exec, s[6:7]
	s_movk_i32 s4, 0x7f
	v_cmp_gt_i16_sdwa s[6:7], v13, s4 src0_sel:BYTE_3 src1_sel:DWORD
	s_mov_b64 s[4:5], 0
                                        ; implicit-def: $sgpr10
	s_and_saveexec_b64 s[8:9], s[6:7]
	s_xor_b64 s[6:7], exec, s[8:9]
	s_cbranch_execnz .LBB36_2685
; %bb.637:
	s_or_saveexec_b64 s[6:7], s[6:7]
	v_mov_b32_e32 v11, s10
	s_xor_b64 exec, exec, s[6:7]
	s_cbranch_execnz .LBB36_2688
.LBB36_638:
	s_or_b64 exec, exec, s[6:7]
	s_and_saveexec_b64 s[6:7], s[4:5]
	s_cbranch_execz .LBB36_640
.LBB36_639:
	v_bfe_u32 v11, v13, 24, 3
	v_ffbh_u32_e32 v16, v11
	v_min_u32_e32 v16, 32, v16
	v_lshrrev_b32_e32 v14, 27, v13
	v_subrev_u32_e32 v17, 28, v16
	v_and_b32_e32 v12, 0x80000000, v13
	v_and_b32_e32 v14, 15, v14
	v_bfe_u32 v15, v13, 27, 4
	v_lshlrev_b32_sdwa v13, v17, v13 dst_sel:DWORD dst_unused:UNUSED_PAD src0_sel:DWORD src1_sel:BYTE_3
	v_sub_u32_e32 v16, 29, v16
	v_and_b32_e32 v13, 7, v13
	v_cmp_eq_u16_e32 vcc, 0, v14
	v_cndmask_b32_e32 v11, v11, v13, vcc
	v_cndmask_b32_e32 v13, v15, v16, vcc
	v_mov_b32_e32 v14, 0x3b800000
	v_lshlrev_b32_e32 v11, 20, v11
	v_lshl_add_u32 v13, v13, 23, v14
	v_or3_b32 v11, v12, v13, v11
.LBB36_640:
	s_or_b64 exec, exec, s[6:7]
	s_nop 0
	v_mfma_f32_16x16x4f32 a[0:3], v10, v11, a[0:3]
	s_movk_i32 s4, 0x7f
	v_cmp_gt_i16_sdwa s[6:7], v6, s4 src0_sel:BYTE_0 src1_sel:DWORD
	s_mov_b64 s[4:5], 0
                                        ; implicit-def: $sgpr10
	s_and_saveexec_b64 s[8:9], s[6:7]
	s_xor_b64 s[6:7], exec, s[8:9]
	s_cbranch_execnz .LBB36_2689
; %bb.641:
	s_or_saveexec_b64 s[6:7], s[6:7]
	v_mov_b32_e32 v10, s10
	s_xor_b64 exec, exec, s[6:7]
	s_cbranch_execnz .LBB36_2692
.LBB36_642:
	s_or_b64 exec, exec, s[6:7]
	s_and_saveexec_b64 s[6:7], s[4:5]
	s_cbranch_execz .LBB36_644
.LBB36_643:
	v_and_b32_e32 v10, 7, v6
	v_ffbh_u32_e32 v12, v10
	v_min_u32_e32 v12, 32, v12
	v_lshrrev_b16_e32 v11, 3, v6
	v_subrev_u32_e32 v13, 28, v12
	v_and_b32_e32 v11, 15, v11
	v_lshlrev_b32_e32 v13, v13, v6
	v_sub_u32_e32 v12, 29, v12
	v_and_b32_e32 v13, 7, v13
	v_cmp_eq_u16_e32 vcc, 0, v11
	v_cndmask_b32_e32 v10, v10, v13, vcc
	v_cndmask_b32_e32 v11, v11, v12, vcc
	v_lshlrev_b32_e32 v12, 24, v6
	v_mov_b32_e32 v13, 0x3b800000
	v_lshlrev_b32_e32 v10, 20, v10
	v_and_b32_e32 v12, 0x80000000, v12
	v_lshl_add_u32 v11, v11, 23, v13
	v_or3_b32 v10, v12, v11, v10
.LBB36_644:
	s_or_b64 exec, exec, s[6:7]
	s_movk_i32 s4, 0x7f
	v_cmp_gt_i16_sdwa s[6:7], v2, s4 src0_sel:BYTE_0 src1_sel:DWORD
	s_mov_b64 s[4:5], 0
                                        ; implicit-def: $sgpr10
	s_and_saveexec_b64 s[8:9], s[6:7]
	s_xor_b64 s[6:7], exec, s[8:9]
	s_cbranch_execnz .LBB36_2693
; %bb.645:
	s_or_saveexec_b64 s[6:7], s[6:7]
	v_mov_b32_e32 v11, s10
	s_xor_b64 exec, exec, s[6:7]
	s_cbranch_execnz .LBB36_2696
.LBB36_646:
	s_or_b64 exec, exec, s[6:7]
	s_and_saveexec_b64 s[6:7], s[4:5]
	s_cbranch_execz .LBB36_648
.LBB36_647:
	v_and_b32_e32 v11, 7, v2
	v_ffbh_u32_e32 v13, v11
	v_min_u32_e32 v13, 32, v13
	v_lshrrev_b16_e32 v12, 3, v2
	v_subrev_u32_e32 v14, 28, v13
	v_and_b32_e32 v12, 15, v12
	v_lshlrev_b32_e32 v14, v14, v2
	v_sub_u32_e32 v13, 29, v13
	v_and_b32_e32 v14, 7, v14
	v_cmp_eq_u16_e32 vcc, 0, v12
	v_cndmask_b32_e32 v11, v11, v14, vcc
	v_cndmask_b32_e32 v12, v12, v13, vcc
	v_lshlrev_b32_e32 v13, 24, v2
	v_mov_b32_e32 v14, 0x3b800000
	v_lshlrev_b32_e32 v11, 20, v11
	v_and_b32_e32 v13, 0x80000000, v13
	v_lshl_add_u32 v12, v12, 23, v14
	v_or3_b32 v11, v13, v12, v11
.LBB36_648:
	s_or_b64 exec, exec, s[6:7]
	s_nop 0
	v_mfma_f32_16x16x4f32 a[0:3], v10, v11, a[0:3]
	v_lshrrev_b32_e32 v11, 8, v6
	s_movk_i32 s4, 0x7f
	v_cmp_gt_i16_sdwa s[6:7], v11, s4 src0_sel:BYTE_0 src1_sel:DWORD
	s_mov_b64 s[4:5], 0
                                        ; implicit-def: $sgpr10
	s_and_saveexec_b64 s[8:9], s[6:7]
	s_xor_b64 s[6:7], exec, s[8:9]
	s_cbranch_execnz .LBB36_2697
; %bb.649:
	s_or_saveexec_b64 s[6:7], s[6:7]
	v_mov_b32_e32 v10, s10
	s_xor_b64 exec, exec, s[6:7]
	s_cbranch_execnz .LBB36_2700
.LBB36_650:
	s_or_b64 exec, exec, s[6:7]
	s_and_saveexec_b64 s[6:7], s[4:5]
	s_cbranch_execz .LBB36_652
.LBB36_651:
	v_bfe_u32 v10, v6, 8, 3
	v_ffbh_u32_e32 v13, v10
	v_min_u32_e32 v13, 32, v13
	v_lshrrev_b16_e32 v12, 3, v11
	v_subrev_u32_e32 v14, 28, v13
	v_and_b32_e32 v12, 15, v12
	v_lshlrev_b32_e32 v11, v14, v11
	v_sub_u32_e32 v13, 29, v13
	v_and_b32_e32 v11, 7, v11
	v_cmp_eq_u16_e32 vcc, 0, v12
	v_cndmask_b32_e32 v10, v10, v11, vcc
	v_cndmask_b32_e32 v11, v12, v13, vcc
	v_lshlrev_b32_e32 v12, 16, v6
	v_mov_b32_e32 v13, 0x3b800000
	v_lshlrev_b32_e32 v10, 20, v10
	v_and_b32_e32 v12, 0x80000000, v12
	v_lshl_add_u32 v11, v11, 23, v13
	v_or3_b32 v10, v12, v11, v10
.LBB36_652:
	s_or_b64 exec, exec, s[6:7]
	v_lshrrev_b32_e32 v11, 8, v2
	s_movk_i32 s4, 0x7f
	v_cmp_gt_i16_sdwa s[6:7], v11, s4 src0_sel:BYTE_0 src1_sel:DWORD
	s_mov_b64 s[4:5], 0
                                        ; implicit-def: $sgpr10
	s_and_saveexec_b64 s[8:9], s[6:7]
	s_xor_b64 s[6:7], exec, s[8:9]
	s_cbranch_execnz .LBB36_2701
; %bb.653:
	s_or_saveexec_b64 s[6:7], s[6:7]
	v_mov_b32_e32 v12, s10
	s_xor_b64 exec, exec, s[6:7]
	s_cbranch_execnz .LBB36_2704
.LBB36_654:
	s_or_b64 exec, exec, s[6:7]
	s_and_saveexec_b64 s[6:7], s[4:5]
	s_cbranch_execz .LBB36_656
.LBB36_655:
	v_bfe_u32 v12, v2, 8, 3
	v_ffbh_u32_e32 v14, v12
	v_min_u32_e32 v14, 32, v14
	v_lshrrev_b16_e32 v13, 3, v11
	v_subrev_u32_e32 v15, 28, v14
	v_and_b32_e32 v13, 15, v13
	v_lshlrev_b32_e32 v11, v15, v11
	v_sub_u32_e32 v14, 29, v14
	v_and_b32_e32 v11, 7, v11
	v_cmp_eq_u16_e32 vcc, 0, v13
	v_cndmask_b32_e32 v11, v12, v11, vcc
	v_cndmask_b32_e32 v12, v13, v14, vcc
	v_lshlrev_b32_e32 v13, 16, v2
	v_mov_b32_e32 v14, 0x3b800000
	v_lshlrev_b32_e32 v11, 20, v11
	v_and_b32_e32 v13, 0x80000000, v13
	v_lshl_add_u32 v12, v12, 23, v14
	v_or3_b32 v12, v13, v12, v11
.LBB36_656:
	s_or_b64 exec, exec, s[6:7]
	s_nop 0
	v_mfma_f32_16x16x4f32 a[0:3], v10, v12, a[0:3]
	s_movk_i32 s4, 0xff
	v_and_b32_sdwa v11, v6, s4 dst_sel:DWORD dst_unused:UNUSED_PAD src0_sel:WORD_1 src1_sel:DWORD
	s_movk_i32 s4, 0x7f
	v_cmp_lt_i16_e32 vcc, s4, v11
	s_mov_b64 s[4:5], 0
                                        ; implicit-def: $sgpr10
	s_and_saveexec_b64 s[6:7], vcc
	s_xor_b64 s[6:7], exec, s[6:7]
	s_cbranch_execnz .LBB36_2705
; %bb.657:
	s_or_saveexec_b64 s[6:7], s[6:7]
	v_mov_b32_e32 v10, s10
	s_xor_b64 exec, exec, s[6:7]
	s_cbranch_execnz .LBB36_2708
.LBB36_658:
	s_or_b64 exec, exec, s[6:7]
	s_and_saveexec_b64 s[6:7], s[4:5]
	s_cbranch_execz .LBB36_660
.LBB36_659:
	v_bfe_u32 v10, v6, 16, 3
	v_ffbh_u32_e32 v13, v10
	v_min_u32_e32 v13, 32, v13
	v_lshrrev_b32_e32 v11, 19, v6
	v_subrev_u32_e32 v14, 28, v13
	v_and_b32_e32 v11, 15, v11
	v_lshlrev_b32_sdwa v14, v14, v6 dst_sel:DWORD dst_unused:UNUSED_PAD src0_sel:DWORD src1_sel:WORD_1
	v_bfe_u32 v12, v6, 19, 4
	v_sub_u32_e32 v13, 29, v13
	v_and_b32_e32 v14, 7, v14
	v_cmp_eq_u16_e32 vcc, 0, v11
	v_cndmask_b32_e32 v10, v10, v14, vcc
	v_cndmask_b32_e32 v11, v12, v13, vcc
	v_lshlrev_b32_e32 v12, 8, v6
	v_mov_b32_e32 v13, 0x3b800000
	v_lshlrev_b32_e32 v10, 20, v10
	v_and_b32_e32 v12, 0x80000000, v12
	v_lshl_add_u32 v11, v11, 23, v13
	v_or3_b32 v10, v12, v11, v10
.LBB36_660:
	s_or_b64 exec, exec, s[6:7]
	s_movk_i32 s4, 0xff
	v_and_b32_sdwa v11, v2, s4 dst_sel:DWORD dst_unused:UNUSED_PAD src0_sel:WORD_1 src1_sel:DWORD
	s_movk_i32 s4, 0x7f
	v_cmp_lt_i16_e32 vcc, s4, v11
	s_mov_b64 s[4:5], 0
                                        ; implicit-def: $sgpr10
	s_and_saveexec_b64 s[6:7], vcc
	s_xor_b64 s[6:7], exec, s[6:7]
	s_cbranch_execnz .LBB36_2709
; %bb.661:
	s_or_saveexec_b64 s[6:7], s[6:7]
	v_mov_b32_e32 v12, s10
	s_xor_b64 exec, exec, s[6:7]
	s_cbranch_execnz .LBB36_2712
.LBB36_662:
	s_or_b64 exec, exec, s[6:7]
	s_and_saveexec_b64 s[6:7], s[4:5]
	s_cbranch_execz .LBB36_664
.LBB36_663:
	v_bfe_u32 v11, v2, 16, 3
	v_ffbh_u32_e32 v14, v11
	v_min_u32_e32 v14, 32, v14
	v_lshrrev_b32_e32 v12, 19, v2
	v_subrev_u32_e32 v15, 28, v14
	v_and_b32_e32 v12, 15, v12
	v_lshlrev_b32_sdwa v15, v15, v2 dst_sel:DWORD dst_unused:UNUSED_PAD src0_sel:DWORD src1_sel:WORD_1
	v_bfe_u32 v13, v2, 19, 4
	v_sub_u32_e32 v14, 29, v14
	v_and_b32_e32 v15, 7, v15
	v_cmp_eq_u16_e32 vcc, 0, v12
	v_cndmask_b32_e32 v11, v11, v15, vcc
	v_cndmask_b32_e32 v12, v13, v14, vcc
	v_lshlrev_b32_e32 v13, 8, v2
	v_mov_b32_e32 v14, 0x3b800000
	v_lshlrev_b32_e32 v11, 20, v11
	v_and_b32_e32 v13, 0x80000000, v13
	v_lshl_add_u32 v12, v12, 23, v14
	v_or3_b32 v12, v13, v12, v11
.LBB36_664:
	s_or_b64 exec, exec, s[6:7]
	s_nop 0
	v_mfma_f32_16x16x4f32 a[0:3], v10, v12, a[0:3]
	s_movk_i32 s4, 0x7f
	v_cmp_gt_i16_sdwa s[6:7], v6, s4 src0_sel:BYTE_3 src1_sel:DWORD
	s_mov_b64 s[4:5], 0
                                        ; implicit-def: $sgpr10
	s_and_saveexec_b64 s[8:9], s[6:7]
	s_xor_b64 s[6:7], exec, s[8:9]
	s_cbranch_execnz .LBB36_2713
; %bb.665:
	s_or_saveexec_b64 s[6:7], s[6:7]
	v_mov_b32_e32 v10, s10
	s_xor_b64 exec, exec, s[6:7]
	s_cbranch_execnz .LBB36_2716
.LBB36_666:
	s_or_b64 exec, exec, s[6:7]
	s_and_saveexec_b64 s[6:7], s[4:5]
	s_cbranch_execz .LBB36_668
.LBB36_667:
	v_bfe_u32 v10, v6, 24, 3
	v_ffbh_u32_e32 v14, v10
	v_min_u32_e32 v14, 32, v14
	v_lshrrev_b32_e32 v12, 27, v6
	v_subrev_u32_e32 v15, 28, v14
	v_and_b32_e32 v11, 0x80000000, v6
	v_and_b32_e32 v12, 15, v12
	v_bfe_u32 v13, v6, 27, 4
	v_lshlrev_b32_sdwa v6, v15, v6 dst_sel:DWORD dst_unused:UNUSED_PAD src0_sel:DWORD src1_sel:BYTE_3
	v_sub_u32_e32 v14, 29, v14
	v_and_b32_e32 v6, 7, v6
	v_cmp_eq_u16_e32 vcc, 0, v12
	v_cndmask_b32_e32 v6, v10, v6, vcc
	v_cndmask_b32_e32 v10, v13, v14, vcc
	v_mov_b32_e32 v12, 0x3b800000
	v_lshlrev_b32_e32 v6, 20, v6
	v_lshl_add_u32 v10, v10, 23, v12
	v_or3_b32 v10, v11, v10, v6
.LBB36_668:
	s_or_b64 exec, exec, s[6:7]
	s_movk_i32 s4, 0x7f
	v_cmp_gt_i16_sdwa s[6:7], v2, s4 src0_sel:BYTE_3 src1_sel:DWORD
	s_mov_b64 s[4:5], 0
                                        ; implicit-def: $sgpr10
	s_and_saveexec_b64 s[8:9], s[6:7]
	s_xor_b64 s[6:7], exec, s[8:9]
	s_cbranch_execnz .LBB36_2717
; %bb.669:
	s_or_saveexec_b64 s[6:7], s[6:7]
	v_mov_b32_e32 v6, s10
	s_xor_b64 exec, exec, s[6:7]
	s_cbranch_execnz .LBB36_2720
.LBB36_670:
	s_or_b64 exec, exec, s[6:7]
	s_and_saveexec_b64 s[6:7], s[4:5]
	s_cbranch_execz .LBB36_672
.LBB36_671:
	v_bfe_u32 v6, v2, 24, 3
	v_ffbh_u32_e32 v14, v6
	v_min_u32_e32 v14, 32, v14
	v_lshrrev_b32_e32 v12, 27, v2
	v_subrev_u32_e32 v15, 28, v14
	v_and_b32_e32 v11, 0x80000000, v2
	v_and_b32_e32 v12, 15, v12
	v_bfe_u32 v13, v2, 27, 4
	v_lshlrev_b32_sdwa v2, v15, v2 dst_sel:DWORD dst_unused:UNUSED_PAD src0_sel:DWORD src1_sel:BYTE_3
	v_sub_u32_e32 v14, 29, v14
	v_and_b32_e32 v2, 7, v2
	v_cmp_eq_u16_e32 vcc, 0, v12
	v_cndmask_b32_e32 v2, v6, v2, vcc
	v_cndmask_b32_e32 v6, v13, v14, vcc
	v_mov_b32_e32 v12, 0x3b800000
	v_lshlrev_b32_e32 v2, 20, v2
	v_lshl_add_u32 v6, v6, 23, v12
	v_or3_b32 v6, v11, v6, v2
.LBB36_672:
	s_or_b64 exec, exec, s[6:7]
	s_nop 0
	v_mfma_f32_16x16x4f32 a[0:3], v10, v6, a[0:3]
	s_movk_i32 s4, 0x7f
	v_cmp_gt_i16_sdwa s[6:7], v7, s4 src0_sel:BYTE_0 src1_sel:DWORD
	s_mov_b64 s[4:5], 0
                                        ; implicit-def: $sgpr10
	s_and_saveexec_b64 s[8:9], s[6:7]
	s_xor_b64 s[6:7], exec, s[8:9]
	s_cbranch_execnz .LBB36_2721
; %bb.673:
	s_or_saveexec_b64 s[6:7], s[6:7]
	v_mov_b32_e32 v2, s10
	s_xor_b64 exec, exec, s[6:7]
	s_cbranch_execnz .LBB36_2724
.LBB36_674:
	s_or_b64 exec, exec, s[6:7]
	s_and_saveexec_b64 s[6:7], s[4:5]
	s_cbranch_execz .LBB36_676
.LBB36_675:
	v_and_b32_e32 v2, 7, v7
	v_ffbh_u32_e32 v10, v2
	v_min_u32_e32 v10, 32, v10
	v_lshrrev_b16_e32 v6, 3, v7
	v_subrev_u32_e32 v11, 28, v10
	v_and_b32_e32 v6, 15, v6
	v_lshlrev_b32_e32 v11, v11, v7
	v_sub_u32_e32 v10, 29, v10
	v_and_b32_e32 v11, 7, v11
	v_cmp_eq_u16_e32 vcc, 0, v6
	v_cndmask_b32_e32 v2, v2, v11, vcc
	v_cndmask_b32_e32 v6, v6, v10, vcc
	v_lshlrev_b32_e32 v10, 24, v7
	v_mov_b32_e32 v11, 0x3b800000
	v_lshlrev_b32_e32 v2, 20, v2
	v_and_b32_e32 v10, 0x80000000, v10
	v_lshl_add_u32 v6, v6, 23, v11
	v_or3_b32 v2, v10, v6, v2
.LBB36_676:
	s_or_b64 exec, exec, s[6:7]
	s_movk_i32 s4, 0x7f
	v_cmp_gt_i16_sdwa s[6:7], v3, s4 src0_sel:BYTE_0 src1_sel:DWORD
	s_mov_b64 s[4:5], 0
                                        ; implicit-def: $sgpr10
	s_and_saveexec_b64 s[8:9], s[6:7]
	s_xor_b64 s[6:7], exec, s[8:9]
	s_cbranch_execnz .LBB36_2725
; %bb.677:
	s_or_saveexec_b64 s[6:7], s[6:7]
	v_mov_b32_e32 v6, s10
	s_xor_b64 exec, exec, s[6:7]
	s_cbranch_execnz .LBB36_2728
.LBB36_678:
	s_or_b64 exec, exec, s[6:7]
	s_and_saveexec_b64 s[6:7], s[4:5]
	s_cbranch_execz .LBB36_680
.LBB36_679:
	v_and_b32_e32 v6, 7, v3
	v_ffbh_u32_e32 v11, v6
	v_min_u32_e32 v11, 32, v11
	v_lshrrev_b16_e32 v10, 3, v3
	v_subrev_u32_e32 v12, 28, v11
	v_and_b32_e32 v10, 15, v10
	v_lshlrev_b32_e32 v12, v12, v3
	v_sub_u32_e32 v11, 29, v11
	v_and_b32_e32 v12, 7, v12
	v_cmp_eq_u16_e32 vcc, 0, v10
	v_cndmask_b32_e32 v6, v6, v12, vcc
	v_cndmask_b32_e32 v10, v10, v11, vcc
	v_lshlrev_b32_e32 v11, 24, v3
	v_mov_b32_e32 v12, 0x3b800000
	v_lshlrev_b32_e32 v6, 20, v6
	v_and_b32_e32 v11, 0x80000000, v11
	v_lshl_add_u32 v10, v10, 23, v12
	v_or3_b32 v6, v11, v10, v6
.LBB36_680:
	s_or_b64 exec, exec, s[6:7]
	s_nop 0
	v_mfma_f32_16x16x4f32 a[0:3], v2, v6, a[0:3]
	v_lshrrev_b32_e32 v6, 8, v7
	s_movk_i32 s4, 0x7f
	v_cmp_gt_i16_sdwa s[6:7], v6, s4 src0_sel:BYTE_0 src1_sel:DWORD
	s_mov_b64 s[4:5], 0
                                        ; implicit-def: $sgpr10
	s_and_saveexec_b64 s[8:9], s[6:7]
	s_xor_b64 s[6:7], exec, s[8:9]
	s_cbranch_execnz .LBB36_2729
; %bb.681:
	s_or_saveexec_b64 s[6:7], s[6:7]
	v_mov_b32_e32 v2, s10
	s_xor_b64 exec, exec, s[6:7]
	s_cbranch_execnz .LBB36_2732
.LBB36_682:
	s_or_b64 exec, exec, s[6:7]
	s_and_saveexec_b64 s[6:7], s[4:5]
	s_cbranch_execz .LBB36_684
.LBB36_683:
	v_bfe_u32 v2, v7, 8, 3
	v_ffbh_u32_e32 v11, v2
	v_min_u32_e32 v11, 32, v11
	v_lshrrev_b16_e32 v10, 3, v6
	v_subrev_u32_e32 v12, 28, v11
	v_and_b32_e32 v10, 15, v10
	v_lshlrev_b32_e32 v6, v12, v6
	v_sub_u32_e32 v11, 29, v11
	v_and_b32_e32 v6, 7, v6
	v_cmp_eq_u16_e32 vcc, 0, v10
	v_cndmask_b32_e32 v2, v2, v6, vcc
	v_cndmask_b32_e32 v6, v10, v11, vcc
	v_lshlrev_b32_e32 v10, 16, v7
	v_mov_b32_e32 v11, 0x3b800000
	v_lshlrev_b32_e32 v2, 20, v2
	v_and_b32_e32 v10, 0x80000000, v10
	v_lshl_add_u32 v6, v6, 23, v11
	v_or3_b32 v2, v10, v6, v2
.LBB36_684:
	s_or_b64 exec, exec, s[6:7]
	v_lshrrev_b32_e32 v6, 8, v3
	s_movk_i32 s4, 0x7f
	v_cmp_gt_i16_sdwa s[6:7], v6, s4 src0_sel:BYTE_0 src1_sel:DWORD
	s_mov_b64 s[4:5], 0
                                        ; implicit-def: $sgpr10
	s_and_saveexec_b64 s[8:9], s[6:7]
	s_xor_b64 s[6:7], exec, s[8:9]
	s_cbranch_execnz .LBB36_2733
; %bb.685:
	s_or_saveexec_b64 s[6:7], s[6:7]
	v_mov_b32_e32 v10, s10
	s_xor_b64 exec, exec, s[6:7]
	s_cbranch_execnz .LBB36_2736
.LBB36_686:
	s_or_b64 exec, exec, s[6:7]
	s_and_saveexec_b64 s[6:7], s[4:5]
	s_cbranch_execz .LBB36_688
.LBB36_687:
	v_bfe_u32 v10, v3, 8, 3
	v_ffbh_u32_e32 v12, v10
	v_min_u32_e32 v12, 32, v12
	v_lshrrev_b16_e32 v11, 3, v6
	v_subrev_u32_e32 v13, 28, v12
	v_and_b32_e32 v11, 15, v11
	v_lshlrev_b32_e32 v6, v13, v6
	v_sub_u32_e32 v12, 29, v12
	v_and_b32_e32 v6, 7, v6
	v_cmp_eq_u16_e32 vcc, 0, v11
	v_cndmask_b32_e32 v6, v10, v6, vcc
	v_cndmask_b32_e32 v10, v11, v12, vcc
	v_lshlrev_b32_e32 v11, 16, v3
	v_mov_b32_e32 v12, 0x3b800000
	v_lshlrev_b32_e32 v6, 20, v6
	v_and_b32_e32 v11, 0x80000000, v11
	v_lshl_add_u32 v10, v10, 23, v12
	v_or3_b32 v10, v11, v10, v6
.LBB36_688:
	s_or_b64 exec, exec, s[6:7]
	s_nop 0
	v_mfma_f32_16x16x4f32 a[0:3], v2, v10, a[0:3]
	s_movk_i32 s4, 0xff
	v_and_b32_sdwa v6, v7, s4 dst_sel:DWORD dst_unused:UNUSED_PAD src0_sel:WORD_1 src1_sel:DWORD
	s_movk_i32 s4, 0x7f
	v_cmp_lt_i16_e32 vcc, s4, v6
	s_mov_b64 s[4:5], 0
                                        ; implicit-def: $sgpr10
	s_and_saveexec_b64 s[6:7], vcc
	s_xor_b64 s[6:7], exec, s[6:7]
	s_cbranch_execnz .LBB36_2737
; %bb.689:
	s_or_saveexec_b64 s[6:7], s[6:7]
	v_mov_b32_e32 v2, s10
	s_xor_b64 exec, exec, s[6:7]
	s_cbranch_execnz .LBB36_2740
.LBB36_690:
	s_or_b64 exec, exec, s[6:7]
	s_and_saveexec_b64 s[6:7], s[4:5]
	s_cbranch_execz .LBB36_692
.LBB36_691:
	v_bfe_u32 v2, v7, 16, 3
	v_ffbh_u32_e32 v11, v2
	v_min_u32_e32 v11, 32, v11
	v_lshrrev_b32_e32 v6, 19, v7
	v_subrev_u32_e32 v12, 28, v11
	v_and_b32_e32 v6, 15, v6
	v_lshlrev_b32_sdwa v12, v12, v7 dst_sel:DWORD dst_unused:UNUSED_PAD src0_sel:DWORD src1_sel:WORD_1
	v_bfe_u32 v10, v7, 19, 4
	v_sub_u32_e32 v11, 29, v11
	v_and_b32_e32 v12, 7, v12
	v_cmp_eq_u16_e32 vcc, 0, v6
	v_cndmask_b32_e32 v2, v2, v12, vcc
	v_cndmask_b32_e32 v6, v10, v11, vcc
	v_lshlrev_b32_e32 v10, 8, v7
	v_mov_b32_e32 v11, 0x3b800000
	v_lshlrev_b32_e32 v2, 20, v2
	v_and_b32_e32 v10, 0x80000000, v10
	v_lshl_add_u32 v6, v6, 23, v11
	v_or3_b32 v2, v10, v6, v2
.LBB36_692:
	s_or_b64 exec, exec, s[6:7]
	s_movk_i32 s4, 0xff
	v_and_b32_sdwa v6, v3, s4 dst_sel:DWORD dst_unused:UNUSED_PAD src0_sel:WORD_1 src1_sel:DWORD
	s_movk_i32 s4, 0x7f
	v_cmp_lt_i16_e32 vcc, s4, v6
	s_mov_b64 s[4:5], 0
                                        ; implicit-def: $sgpr10
	s_and_saveexec_b64 s[6:7], vcc
	s_xor_b64 s[6:7], exec, s[6:7]
	s_cbranch_execnz .LBB36_2741
; %bb.693:
	s_or_saveexec_b64 s[6:7], s[6:7]
	v_mov_b32_e32 v10, s10
	s_xor_b64 exec, exec, s[6:7]
	s_cbranch_execnz .LBB36_2744
.LBB36_694:
	s_or_b64 exec, exec, s[6:7]
	s_and_saveexec_b64 s[6:7], s[4:5]
	s_cbranch_execz .LBB36_696
.LBB36_695:
	v_bfe_u32 v6, v3, 16, 3
	v_ffbh_u32_e32 v12, v6
	v_min_u32_e32 v12, 32, v12
	v_lshrrev_b32_e32 v10, 19, v3
	v_subrev_u32_e32 v13, 28, v12
	v_and_b32_e32 v10, 15, v10
	v_lshlrev_b32_sdwa v13, v13, v3 dst_sel:DWORD dst_unused:UNUSED_PAD src0_sel:DWORD src1_sel:WORD_1
	v_bfe_u32 v11, v3, 19, 4
	v_sub_u32_e32 v12, 29, v12
	v_and_b32_e32 v13, 7, v13
	v_cmp_eq_u16_e32 vcc, 0, v10
	v_cndmask_b32_e32 v6, v6, v13, vcc
	v_cndmask_b32_e32 v10, v11, v12, vcc
	v_lshlrev_b32_e32 v11, 8, v3
	v_mov_b32_e32 v12, 0x3b800000
	v_lshlrev_b32_e32 v6, 20, v6
	v_and_b32_e32 v11, 0x80000000, v11
	v_lshl_add_u32 v10, v10, 23, v12
	v_or3_b32 v10, v11, v10, v6
.LBB36_696:
	s_or_b64 exec, exec, s[6:7]
	s_nop 0
	v_mfma_f32_16x16x4f32 a[0:3], v2, v10, a[0:3]
	s_movk_i32 s4, 0x7f
	v_cmp_gt_i16_sdwa s[6:7], v7, s4 src0_sel:BYTE_3 src1_sel:DWORD
	s_mov_b64 s[4:5], 0
                                        ; implicit-def: $sgpr10
	s_and_saveexec_b64 s[8:9], s[6:7]
	s_xor_b64 s[6:7], exec, s[8:9]
	s_cbranch_execnz .LBB36_2745
; %bb.697:
	s_or_saveexec_b64 s[6:7], s[6:7]
	v_mov_b32_e32 v2, s10
	s_xor_b64 exec, exec, s[6:7]
	s_cbranch_execnz .LBB36_2748
.LBB36_698:
	s_or_b64 exec, exec, s[6:7]
	s_and_saveexec_b64 s[6:7], s[4:5]
	s_cbranch_execz .LBB36_700
.LBB36_699:
	v_bfe_u32 v2, v7, 24, 3
	v_ffbh_u32_e32 v12, v2
	v_min_u32_e32 v12, 32, v12
	v_lshrrev_b32_e32 v10, 27, v7
	v_subrev_u32_e32 v13, 28, v12
	v_and_b32_e32 v6, 0x80000000, v7
	v_and_b32_e32 v10, 15, v10
	v_bfe_u32 v11, v7, 27, 4
	v_lshlrev_b32_sdwa v7, v13, v7 dst_sel:DWORD dst_unused:UNUSED_PAD src0_sel:DWORD src1_sel:BYTE_3
	v_sub_u32_e32 v12, 29, v12
	v_and_b32_e32 v7, 7, v7
	v_cmp_eq_u16_e32 vcc, 0, v10
	v_cndmask_b32_e32 v2, v2, v7, vcc
	v_cndmask_b32_e32 v7, v11, v12, vcc
	v_mov_b32_e32 v10, 0x3b800000
	v_lshlrev_b32_e32 v2, 20, v2
	v_lshl_add_u32 v7, v7, 23, v10
	v_or3_b32 v2, v6, v7, v2
.LBB36_700:
	s_or_b64 exec, exec, s[6:7]
	s_movk_i32 s4, 0x7f
	v_cmp_gt_i16_sdwa s[6:7], v3, s4 src0_sel:BYTE_3 src1_sel:DWORD
	s_mov_b64 s[4:5], 0
                                        ; implicit-def: $sgpr10
	s_and_saveexec_b64 s[8:9], s[6:7]
	s_xor_b64 s[6:7], exec, s[8:9]
	s_cbranch_execnz .LBB36_2749
; %bb.701:
	s_or_saveexec_b64 s[6:7], s[6:7]
	v_mov_b32_e32 v6, s10
	s_xor_b64 exec, exec, s[6:7]
	s_cbranch_execnz .LBB36_2752
.LBB36_702:
	s_or_b64 exec, exec, s[6:7]
	s_and_saveexec_b64 s[6:7], s[4:5]
	s_cbranch_execz .LBB36_704
.LBB36_703:
	v_bfe_u32 v6, v3, 24, 3
	v_ffbh_u32_e32 v12, v6
	v_min_u32_e32 v12, 32, v12
	v_lshrrev_b32_e32 v10, 27, v3
	v_subrev_u32_e32 v13, 28, v12
	v_and_b32_e32 v7, 0x80000000, v3
	v_and_b32_e32 v10, 15, v10
	v_bfe_u32 v11, v3, 27, 4
	v_lshlrev_b32_sdwa v3, v13, v3 dst_sel:DWORD dst_unused:UNUSED_PAD src0_sel:DWORD src1_sel:BYTE_3
	v_sub_u32_e32 v12, 29, v12
	v_and_b32_e32 v3, 7, v3
	v_cmp_eq_u16_e32 vcc, 0, v10
	v_cndmask_b32_e32 v3, v6, v3, vcc
	v_cndmask_b32_e32 v6, v11, v12, vcc
	v_mov_b32_e32 v10, 0x3b800000
	v_lshlrev_b32_e32 v3, 20, v3
	v_lshl_add_u32 v6, v6, 23, v10
	v_or3_b32 v6, v7, v6, v3
.LBB36_704:
	s_or_b64 exec, exec, s[6:7]
	s_nop 0
	v_mfma_f32_16x16x4f32 a[0:3], v2, v6, a[0:3]
	s_movk_i32 s4, 0x7f
	v_cmp_gt_i16_sdwa s[6:7], v8, s4 src0_sel:BYTE_0 src1_sel:DWORD
	s_mov_b64 s[4:5], 0
                                        ; implicit-def: $sgpr10
	s_and_saveexec_b64 s[8:9], s[6:7]
	s_xor_b64 s[6:7], exec, s[8:9]
	s_cbranch_execnz .LBB36_2753
; %bb.705:
	s_or_saveexec_b64 s[6:7], s[6:7]
	v_mov_b32_e32 v2, s10
	s_xor_b64 exec, exec, s[6:7]
	s_cbranch_execnz .LBB36_2756
.LBB36_706:
	s_or_b64 exec, exec, s[6:7]
	s_and_saveexec_b64 s[6:7], s[4:5]
	s_cbranch_execz .LBB36_708
.LBB36_707:
	v_and_b32_e32 v2, 7, v8
	v_ffbh_u32_e32 v6, v2
	v_min_u32_e32 v6, 32, v6
	v_lshrrev_b16_e32 v3, 3, v8
	v_subrev_u32_e32 v7, 28, v6
	v_and_b32_e32 v3, 15, v3
	v_lshlrev_b32_e32 v7, v7, v8
	v_sub_u32_e32 v6, 29, v6
	v_and_b32_e32 v7, 7, v7
	v_cmp_eq_u16_e32 vcc, 0, v3
	v_cndmask_b32_e32 v2, v2, v7, vcc
	v_cndmask_b32_e32 v3, v3, v6, vcc
	v_lshlrev_b32_e32 v6, 24, v8
	v_mov_b32_e32 v7, 0x3b800000
	v_lshlrev_b32_e32 v2, 20, v2
	v_and_b32_e32 v6, 0x80000000, v6
	v_lshl_add_u32 v3, v3, 23, v7
	v_or3_b32 v2, v6, v3, v2
.LBB36_708:
	s_or_b64 exec, exec, s[6:7]
	s_movk_i32 s4, 0x7f
	v_cmp_gt_i16_sdwa s[6:7], v4, s4 src0_sel:BYTE_0 src1_sel:DWORD
	s_mov_b64 s[4:5], 0
                                        ; implicit-def: $sgpr10
	s_and_saveexec_b64 s[8:9], s[6:7]
	s_xor_b64 s[6:7], exec, s[8:9]
	s_cbranch_execnz .LBB36_2757
; %bb.709:
	s_or_saveexec_b64 s[6:7], s[6:7]
	v_mov_b32_e32 v3, s10
	s_xor_b64 exec, exec, s[6:7]
	s_cbranch_execnz .LBB36_2760
.LBB36_710:
	s_or_b64 exec, exec, s[6:7]
	s_and_saveexec_b64 s[6:7], s[4:5]
	s_cbranch_execz .LBB36_712
.LBB36_711:
	v_and_b32_e32 v3, 7, v4
	v_ffbh_u32_e32 v7, v3
	v_min_u32_e32 v7, 32, v7
	v_lshrrev_b16_e32 v6, 3, v4
	v_subrev_u32_e32 v10, 28, v7
	v_and_b32_e32 v6, 15, v6
	v_lshlrev_b32_e32 v10, v10, v4
	v_sub_u32_e32 v7, 29, v7
	v_and_b32_e32 v10, 7, v10
	v_cmp_eq_u16_e32 vcc, 0, v6
	v_cndmask_b32_e32 v3, v3, v10, vcc
	v_cndmask_b32_e32 v6, v6, v7, vcc
	v_lshlrev_b32_e32 v7, 24, v4
	v_mov_b32_e32 v10, 0x3b800000
	v_lshlrev_b32_e32 v3, 20, v3
	v_and_b32_e32 v7, 0x80000000, v7
	v_lshl_add_u32 v6, v6, 23, v10
	v_or3_b32 v3, v7, v6, v3
.LBB36_712:
	s_or_b64 exec, exec, s[6:7]
	s_nop 0
	v_mfma_f32_16x16x4f32 a[0:3], v2, v3, a[0:3]
	v_lshrrev_b32_e32 v3, 8, v8
	s_movk_i32 s4, 0x7f
	v_cmp_gt_i16_sdwa s[6:7], v3, s4 src0_sel:BYTE_0 src1_sel:DWORD
	s_mov_b64 s[4:5], 0
                                        ; implicit-def: $sgpr10
	s_and_saveexec_b64 s[8:9], s[6:7]
	s_xor_b64 s[6:7], exec, s[8:9]
	s_cbranch_execnz .LBB36_2761
; %bb.713:
	s_or_saveexec_b64 s[6:7], s[6:7]
	v_mov_b32_e32 v2, s10
	s_xor_b64 exec, exec, s[6:7]
	s_cbranch_execnz .LBB36_2764
.LBB36_714:
	s_or_b64 exec, exec, s[6:7]
	s_and_saveexec_b64 s[6:7], s[4:5]
	s_cbranch_execz .LBB36_716
.LBB36_715:
	v_bfe_u32 v2, v8, 8, 3
	v_ffbh_u32_e32 v7, v2
	v_min_u32_e32 v7, 32, v7
	v_lshrrev_b16_e32 v6, 3, v3
	v_subrev_u32_e32 v10, 28, v7
	v_and_b32_e32 v6, 15, v6
	v_lshlrev_b32_e32 v3, v10, v3
	v_sub_u32_e32 v7, 29, v7
	v_and_b32_e32 v3, 7, v3
	v_cmp_eq_u16_e32 vcc, 0, v6
	v_cndmask_b32_e32 v2, v2, v3, vcc
	v_cndmask_b32_e32 v3, v6, v7, vcc
	v_lshlrev_b32_e32 v6, 16, v8
	v_mov_b32_e32 v7, 0x3b800000
	v_lshlrev_b32_e32 v2, 20, v2
	v_and_b32_e32 v6, 0x80000000, v6
	v_lshl_add_u32 v3, v3, 23, v7
	v_or3_b32 v2, v6, v3, v2
.LBB36_716:
	s_or_b64 exec, exec, s[6:7]
	v_lshrrev_b32_e32 v3, 8, v4
	s_movk_i32 s4, 0x7f
	v_cmp_gt_i16_sdwa s[6:7], v3, s4 src0_sel:BYTE_0 src1_sel:DWORD
	s_mov_b64 s[4:5], 0
                                        ; implicit-def: $sgpr10
	s_and_saveexec_b64 s[8:9], s[6:7]
	s_xor_b64 s[6:7], exec, s[8:9]
	s_cbranch_execnz .LBB36_2765
; %bb.717:
	s_or_saveexec_b64 s[6:7], s[6:7]
	v_mov_b32_e32 v6, s10
	s_xor_b64 exec, exec, s[6:7]
	s_cbranch_execnz .LBB36_2768
.LBB36_718:
	s_or_b64 exec, exec, s[6:7]
	s_and_saveexec_b64 s[6:7], s[4:5]
	s_cbranch_execz .LBB36_720
.LBB36_719:
	v_bfe_u32 v6, v4, 8, 3
	v_ffbh_u32_e32 v10, v6
	v_min_u32_e32 v10, 32, v10
	v_lshrrev_b16_e32 v7, 3, v3
	v_subrev_u32_e32 v11, 28, v10
	v_and_b32_e32 v7, 15, v7
	v_lshlrev_b32_e32 v3, v11, v3
	v_sub_u32_e32 v10, 29, v10
	v_and_b32_e32 v3, 7, v3
	v_cmp_eq_u16_e32 vcc, 0, v7
	v_cndmask_b32_e32 v3, v6, v3, vcc
	v_cndmask_b32_e32 v6, v7, v10, vcc
	v_lshlrev_b32_e32 v7, 16, v4
	v_mov_b32_e32 v10, 0x3b800000
	v_lshlrev_b32_e32 v3, 20, v3
	v_and_b32_e32 v7, 0x80000000, v7
	v_lshl_add_u32 v6, v6, 23, v10
	v_or3_b32 v6, v7, v6, v3
.LBB36_720:
	s_or_b64 exec, exec, s[6:7]
	s_nop 0
	v_mfma_f32_16x16x4f32 a[0:3], v2, v6, a[0:3]
	s_movk_i32 s4, 0xff
	v_and_b32_sdwa v3, v8, s4 dst_sel:DWORD dst_unused:UNUSED_PAD src0_sel:WORD_1 src1_sel:DWORD
	s_movk_i32 s4, 0x7f
	v_cmp_lt_i16_e32 vcc, s4, v3
	s_mov_b64 s[4:5], 0
                                        ; implicit-def: $sgpr10
	s_and_saveexec_b64 s[6:7], vcc
	s_xor_b64 s[6:7], exec, s[6:7]
	s_cbranch_execnz .LBB36_2769
; %bb.721:
	s_or_saveexec_b64 s[6:7], s[6:7]
	v_mov_b32_e32 v2, s10
	s_xor_b64 exec, exec, s[6:7]
	s_cbranch_execnz .LBB36_2772
.LBB36_722:
	s_or_b64 exec, exec, s[6:7]
	s_and_saveexec_b64 s[6:7], s[4:5]
	s_cbranch_execz .LBB36_724
.LBB36_723:
	v_bfe_u32 v2, v8, 16, 3
	v_ffbh_u32_e32 v7, v2
	v_min_u32_e32 v7, 32, v7
	v_lshrrev_b32_e32 v3, 19, v8
	v_subrev_u32_e32 v10, 28, v7
	v_and_b32_e32 v3, 15, v3
	v_lshlrev_b32_sdwa v10, v10, v8 dst_sel:DWORD dst_unused:UNUSED_PAD src0_sel:DWORD src1_sel:WORD_1
	v_bfe_u32 v6, v8, 19, 4
	v_sub_u32_e32 v7, 29, v7
	v_and_b32_e32 v10, 7, v10
	v_cmp_eq_u16_e32 vcc, 0, v3
	v_cndmask_b32_e32 v2, v2, v10, vcc
	v_cndmask_b32_e32 v3, v6, v7, vcc
	v_lshlrev_b32_e32 v6, 8, v8
	v_mov_b32_e32 v7, 0x3b800000
	v_lshlrev_b32_e32 v2, 20, v2
	v_and_b32_e32 v6, 0x80000000, v6
	v_lshl_add_u32 v3, v3, 23, v7
	v_or3_b32 v2, v6, v3, v2
.LBB36_724:
	s_or_b64 exec, exec, s[6:7]
	s_movk_i32 s4, 0xff
	v_and_b32_sdwa v3, v4, s4 dst_sel:DWORD dst_unused:UNUSED_PAD src0_sel:WORD_1 src1_sel:DWORD
	s_movk_i32 s4, 0x7f
	v_cmp_lt_i16_e32 vcc, s4, v3
	s_mov_b64 s[4:5], 0
                                        ; implicit-def: $sgpr10
	s_and_saveexec_b64 s[6:7], vcc
	s_xor_b64 s[6:7], exec, s[6:7]
	s_cbranch_execnz .LBB36_2773
; %bb.725:
	s_or_saveexec_b64 s[6:7], s[6:7]
	v_mov_b32_e32 v6, s10
	s_xor_b64 exec, exec, s[6:7]
	s_cbranch_execnz .LBB36_2776
.LBB36_726:
	s_or_b64 exec, exec, s[6:7]
	s_and_saveexec_b64 s[6:7], s[4:5]
	s_cbranch_execz .LBB36_728
.LBB36_727:
	v_bfe_u32 v3, v4, 16, 3
	v_ffbh_u32_e32 v10, v3
	v_min_u32_e32 v10, 32, v10
	v_lshrrev_b32_e32 v6, 19, v4
	v_subrev_u32_e32 v11, 28, v10
	v_and_b32_e32 v6, 15, v6
	v_lshlrev_b32_sdwa v11, v11, v4 dst_sel:DWORD dst_unused:UNUSED_PAD src0_sel:DWORD src1_sel:WORD_1
	v_bfe_u32 v7, v4, 19, 4
	v_sub_u32_e32 v10, 29, v10
	v_and_b32_e32 v11, 7, v11
	v_cmp_eq_u16_e32 vcc, 0, v6
	v_cndmask_b32_e32 v3, v3, v11, vcc
	v_cndmask_b32_e32 v6, v7, v10, vcc
	v_lshlrev_b32_e32 v7, 8, v4
	v_mov_b32_e32 v10, 0x3b800000
	v_lshlrev_b32_e32 v3, 20, v3
	v_and_b32_e32 v7, 0x80000000, v7
	v_lshl_add_u32 v6, v6, 23, v10
	v_or3_b32 v6, v7, v6, v3
.LBB36_728:
	s_or_b64 exec, exec, s[6:7]
	s_nop 0
	v_mfma_f32_16x16x4f32 a[0:3], v2, v6, a[0:3]
	s_movk_i32 s4, 0x7f
	v_cmp_gt_i16_sdwa s[6:7], v8, s4 src0_sel:BYTE_3 src1_sel:DWORD
	s_mov_b64 s[4:5], 0
                                        ; implicit-def: $sgpr10
	s_and_saveexec_b64 s[8:9], s[6:7]
	s_xor_b64 s[6:7], exec, s[8:9]
	s_cbranch_execnz .LBB36_2777
; %bb.729:
	s_or_saveexec_b64 s[6:7], s[6:7]
	v_mov_b32_e32 v2, s10
	s_xor_b64 exec, exec, s[6:7]
	s_cbranch_execnz .LBB36_2780
.LBB36_730:
	s_or_b64 exec, exec, s[6:7]
	s_and_saveexec_b64 s[6:7], s[4:5]
	s_cbranch_execz .LBB36_732
.LBB36_731:
	v_bfe_u32 v2, v8, 24, 3
	v_ffbh_u32_e32 v10, v2
	v_min_u32_e32 v10, 32, v10
	v_lshrrev_b32_e32 v6, 27, v8
	v_subrev_u32_e32 v11, 28, v10
	v_and_b32_e32 v3, 0x80000000, v8
	v_and_b32_e32 v6, 15, v6
	v_bfe_u32 v7, v8, 27, 4
	v_lshlrev_b32_sdwa v8, v11, v8 dst_sel:DWORD dst_unused:UNUSED_PAD src0_sel:DWORD src1_sel:BYTE_3
	v_sub_u32_e32 v10, 29, v10
	v_and_b32_e32 v8, 7, v8
	v_cmp_eq_u16_e32 vcc, 0, v6
	v_cndmask_b32_e32 v2, v2, v8, vcc
	v_cndmask_b32_e32 v6, v7, v10, vcc
	v_mov_b32_e32 v7, 0x3b800000
	v_lshlrev_b32_e32 v2, 20, v2
	v_lshl_add_u32 v6, v6, 23, v7
	v_or3_b32 v2, v3, v6, v2
.LBB36_732:
	s_or_b64 exec, exec, s[6:7]
	s_movk_i32 s4, 0x7f
	v_cmp_gt_i16_sdwa s[6:7], v4, s4 src0_sel:BYTE_3 src1_sel:DWORD
	s_mov_b64 s[4:5], 0
                                        ; implicit-def: $sgpr10
	s_and_saveexec_b64 s[8:9], s[6:7]
	s_xor_b64 s[6:7], exec, s[8:9]
	s_cbranch_execnz .LBB36_2781
; %bb.733:
	s_or_saveexec_b64 s[6:7], s[6:7]
	v_mov_b32_e32 v3, s10
	s_xor_b64 exec, exec, s[6:7]
	s_cbranch_execnz .LBB36_2784
.LBB36_734:
	s_or_b64 exec, exec, s[6:7]
	s_and_saveexec_b64 s[6:7], s[4:5]
	s_cbranch_execz .LBB36_736
.LBB36_735:
	v_bfe_u32 v3, v4, 24, 3
	v_ffbh_u32_e32 v10, v3
	v_min_u32_e32 v10, 32, v10
	v_lshrrev_b32_e32 v7, 27, v4
	v_subrev_u32_e32 v11, 28, v10
	v_and_b32_e32 v6, 0x80000000, v4
	v_and_b32_e32 v7, 15, v7
	v_bfe_u32 v8, v4, 27, 4
	v_lshlrev_b32_sdwa v4, v11, v4 dst_sel:DWORD dst_unused:UNUSED_PAD src0_sel:DWORD src1_sel:BYTE_3
	v_sub_u32_e32 v10, 29, v10
	v_and_b32_e32 v4, 7, v4
	v_cmp_eq_u16_e32 vcc, 0, v7
	v_cndmask_b32_e32 v3, v3, v4, vcc
	v_cndmask_b32_e32 v4, v8, v10, vcc
	v_mov_b32_e32 v7, 0x3b800000
	v_lshlrev_b32_e32 v3, 20, v3
	v_lshl_add_u32 v4, v4, 23, v7
	v_or3_b32 v3, v6, v4, v3
.LBB36_736:
	s_or_b64 exec, exec, s[6:7]
	s_nop 0
	v_mfma_f32_16x16x4f32 a[0:3], v2, v3, a[0:3]
	s_movk_i32 s4, 0x7f
	v_cmp_gt_i16_sdwa s[6:7], v9, s4 src0_sel:BYTE_0 src1_sel:DWORD
	s_mov_b64 s[4:5], 0
                                        ; implicit-def: $sgpr10
	s_and_saveexec_b64 s[8:9], s[6:7]
	s_xor_b64 s[6:7], exec, s[8:9]
	s_cbranch_execnz .LBB36_2785
; %bb.737:
	s_or_saveexec_b64 s[6:7], s[6:7]
	v_mov_b32_e32 v2, s10
	s_xor_b64 exec, exec, s[6:7]
	s_cbranch_execnz .LBB36_2788
.LBB36_738:
	s_or_b64 exec, exec, s[6:7]
	s_and_saveexec_b64 s[6:7], s[4:5]
	s_cbranch_execz .LBB36_740
.LBB36_739:
	v_mov_b32_e32 v2, 8
	v_and_b32_e32 v3, 7, v9
	v_lshrrev_b32_sdwa v2, v2, v9 dst_sel:BYTE_1 dst_unused:UNUSED_PAD src0_sel:DWORD src1_sel:DWORD
	v_ffbh_u32_e32 v4, v3
	v_or_b32_sdwa v2, v9, v2 dst_sel:DWORD dst_unused:UNUSED_PAD src0_sel:BYTE_0 src1_sel:DWORD
	v_min_u32_e32 v4, 32, v4
	v_lshrrev_b16_e32 v2, 3, v2
	v_subrev_u32_e32 v6, 28, v4
	v_and_b32_e32 v2, 15, v2
	v_lshlrev_b32_e32 v6, v6, v9
	v_sub_u32_e32 v4, 29, v4
	v_and_b32_e32 v6, 7, v6
	v_cmp_eq_u16_e32 vcc, 0, v2
	v_cndmask_b32_e32 v3, v3, v6, vcc
	v_cndmask_b32_e32 v2, v2, v4, vcc
	v_lshlrev_b32_e32 v4, 24, v9
	v_mov_b32_e32 v6, 0x3b800000
	v_lshlrev_b32_e32 v3, 20, v3
	v_and_b32_e32 v4, 0x80000000, v4
	v_lshl_add_u32 v2, v2, 23, v6
	v_or3_b32 v2, v4, v2, v3
.LBB36_740:
	s_or_b64 exec, exec, s[6:7]
	s_movk_i32 s4, 0x7f
	v_cmp_gt_i16_sdwa s[6:7], v5, s4 src0_sel:BYTE_0 src1_sel:DWORD
	s_mov_b64 s[4:5], 0
                                        ; implicit-def: $sgpr10
	s_and_saveexec_b64 s[8:9], s[6:7]
	s_xor_b64 s[6:7], exec, s[8:9]
	s_cbranch_execnz .LBB36_2789
; %bb.741:
	s_or_saveexec_b64 s[6:7], s[6:7]
	v_mov_b32_e32 v3, s10
	s_xor_b64 exec, exec, s[6:7]
	s_cbranch_execnz .LBB36_2792
.LBB36_742:
	s_or_b64 exec, exec, s[6:7]
	s_and_saveexec_b64 s[6:7], s[4:5]
	s_cbranch_execz .LBB36_744
.LBB36_743:
	v_mov_b32_e32 v3, 8
	v_and_b32_e32 v4, 7, v5
	v_lshrrev_b32_sdwa v3, v3, v5 dst_sel:BYTE_1 dst_unused:UNUSED_PAD src0_sel:DWORD src1_sel:DWORD
	v_ffbh_u32_e32 v6, v4
	v_or_b32_sdwa v3, v5, v3 dst_sel:DWORD dst_unused:UNUSED_PAD src0_sel:BYTE_0 src1_sel:DWORD
	v_min_u32_e32 v6, 32, v6
	v_lshrrev_b16_e32 v3, 3, v3
	v_subrev_u32_e32 v7, 28, v6
	v_and_b32_e32 v3, 15, v3
	v_lshlrev_b32_e32 v7, v7, v5
	v_sub_u32_e32 v6, 29, v6
	v_and_b32_e32 v7, 7, v7
	v_cmp_eq_u16_e32 vcc, 0, v3
	v_cndmask_b32_e32 v4, v4, v7, vcc
	v_cndmask_b32_e32 v3, v3, v6, vcc
	v_lshlrev_b32_e32 v6, 24, v5
	v_mov_b32_e32 v7, 0x3b800000
	v_lshlrev_b32_e32 v4, 20, v4
	v_and_b32_e32 v6, 0x80000000, v6
	v_lshl_add_u32 v3, v3, 23, v7
	v_or3_b32 v3, v6, v3, v4
.LBB36_744:
	s_or_b64 exec, exec, s[6:7]
	s_nop 0
	v_mfma_f32_16x16x4f32 a[0:3], v2, v3, a[0:3]
	v_lshrrev_b32_e32 v3, 8, v9
	s_movk_i32 s4, 0x7f
	v_cmp_gt_i16_sdwa s[6:7], v3, s4 src0_sel:BYTE_0 src1_sel:DWORD
	s_mov_b64 s[4:5], 0
                                        ; implicit-def: $sgpr10
	s_and_saveexec_b64 s[8:9], s[6:7]
	s_xor_b64 s[6:7], exec, s[8:9]
	s_cbranch_execnz .LBB36_2793
; %bb.745:
	s_or_saveexec_b64 s[6:7], s[6:7]
	v_mov_b32_e32 v2, s10
	s_xor_b64 exec, exec, s[6:7]
	s_cbranch_execnz .LBB36_2796
.LBB36_746:
	s_or_b64 exec, exec, s[6:7]
	s_and_saveexec_b64 s[6:7], s[4:5]
	s_cbranch_execz .LBB36_748
.LBB36_747:
	v_bfe_u32 v2, v9, 8, 3
	v_ffbh_u32_e32 v6, v2
	v_min_u32_e32 v6, 32, v6
	v_lshrrev_b16_e32 v4, 3, v3
	v_subrev_u32_e32 v7, 28, v6
	v_and_b32_e32 v4, 15, v4
	v_lshlrev_b32_e32 v3, v7, v3
	v_sub_u32_e32 v6, 29, v6
	v_and_b32_e32 v3, 7, v3
	v_cmp_eq_u16_e32 vcc, 0, v4
	v_cndmask_b32_e32 v2, v2, v3, vcc
	v_cndmask_b32_e32 v3, v4, v6, vcc
	v_lshlrev_b32_e32 v4, 16, v9
	v_mov_b32_e32 v6, 0x3b800000
	v_lshlrev_b32_e32 v2, 20, v2
	v_and_b32_e32 v4, 0x80000000, v4
	v_lshl_add_u32 v3, v3, 23, v6
	v_or3_b32 v2, v4, v3, v2
.LBB36_748:
	s_or_b64 exec, exec, s[6:7]
	v_lshrrev_b32_e32 v3, 8, v5
	s_movk_i32 s4, 0x7f
	v_cmp_gt_i16_sdwa s[6:7], v3, s4 src0_sel:BYTE_0 src1_sel:DWORD
	s_mov_b64 s[4:5], 0
                                        ; implicit-def: $sgpr10
	s_and_saveexec_b64 s[8:9], s[6:7]
	s_xor_b64 s[6:7], exec, s[8:9]
	s_cbranch_execnz .LBB36_2797
; %bb.749:
	s_or_saveexec_b64 s[6:7], s[6:7]
	v_mov_b32_e32 v4, s10
	s_xor_b64 exec, exec, s[6:7]
	s_cbranch_execnz .LBB36_2800
.LBB36_750:
	s_or_b64 exec, exec, s[6:7]
	s_and_saveexec_b64 s[6:7], s[4:5]
	s_cbranch_execz .LBB36_752
.LBB36_751:
	v_bfe_u32 v4, v5, 8, 3
	v_ffbh_u32_e32 v7, v4
	v_min_u32_e32 v7, 32, v7
	v_lshrrev_b16_e32 v6, 3, v3
	v_subrev_u32_e32 v8, 28, v7
	v_and_b32_e32 v6, 15, v6
	v_lshlrev_b32_e32 v3, v8, v3
	v_sub_u32_e32 v7, 29, v7
	v_and_b32_e32 v3, 7, v3
	v_cmp_eq_u16_e32 vcc, 0, v6
	v_cndmask_b32_e32 v3, v4, v3, vcc
	v_cndmask_b32_e32 v4, v6, v7, vcc
	v_lshlrev_b32_e32 v6, 16, v5
	v_mov_b32_e32 v7, 0x3b800000
	v_lshlrev_b32_e32 v3, 20, v3
	v_and_b32_e32 v6, 0x80000000, v6
	v_lshl_add_u32 v4, v4, 23, v7
	v_or3_b32 v4, v6, v4, v3
.LBB36_752:
	s_or_b64 exec, exec, s[6:7]
	s_nop 0
	v_mfma_f32_16x16x4f32 a[0:3], v2, v4, a[0:3]
	s_movk_i32 s4, 0xff
	v_and_b32_sdwa v3, v9, s4 dst_sel:DWORD dst_unused:UNUSED_PAD src0_sel:WORD_1 src1_sel:DWORD
	s_movk_i32 s4, 0x7f
	v_cmp_lt_i16_e32 vcc, s4, v3
	s_mov_b64 s[4:5], 0
                                        ; implicit-def: $sgpr10
	s_and_saveexec_b64 s[6:7], vcc
	s_xor_b64 s[6:7], exec, s[6:7]
	s_cbranch_execnz .LBB36_2801
; %bb.753:
	s_or_saveexec_b64 s[6:7], s[6:7]
	v_mov_b32_e32 v2, s10
	s_xor_b64 exec, exec, s[6:7]
	s_cbranch_execnz .LBB36_2804
.LBB36_754:
	s_or_b64 exec, exec, s[6:7]
	s_and_saveexec_b64 s[6:7], s[4:5]
	s_cbranch_execz .LBB36_756
.LBB36_755:
	v_bfe_u32 v2, v9, 16, 3
	v_ffbh_u32_e32 v6, v2
	v_min_u32_e32 v6, 32, v6
	v_lshrrev_b32_e32 v3, 19, v9
	v_subrev_u32_e32 v7, 28, v6
	v_and_b32_e32 v3, 15, v3
	v_lshlrev_b32_sdwa v7, v7, v9 dst_sel:DWORD dst_unused:UNUSED_PAD src0_sel:DWORD src1_sel:WORD_1
	v_bfe_u32 v4, v9, 19, 4
	v_sub_u32_e32 v6, 29, v6
	v_and_b32_e32 v7, 7, v7
	v_cmp_eq_u16_e32 vcc, 0, v3
	v_cndmask_b32_e32 v2, v2, v7, vcc
	v_cndmask_b32_e32 v3, v4, v6, vcc
	v_lshlrev_b32_e32 v4, 8, v9
	v_mov_b32_e32 v6, 0x3b800000
	v_lshlrev_b32_e32 v2, 20, v2
	v_and_b32_e32 v4, 0x80000000, v4
	v_lshl_add_u32 v3, v3, 23, v6
	v_or3_b32 v2, v4, v3, v2
.LBB36_756:
	s_or_b64 exec, exec, s[6:7]
	s_movk_i32 s4, 0xff
	v_and_b32_sdwa v3, v5, s4 dst_sel:DWORD dst_unused:UNUSED_PAD src0_sel:WORD_1 src1_sel:DWORD
	s_movk_i32 s4, 0x7f
	v_cmp_lt_i16_e32 vcc, s4, v3
	s_mov_b64 s[4:5], 0
                                        ; implicit-def: $sgpr10
	s_and_saveexec_b64 s[6:7], vcc
	s_xor_b64 s[6:7], exec, s[6:7]
	s_cbranch_execnz .LBB36_2805
; %bb.757:
	s_or_saveexec_b64 s[6:7], s[6:7]
	v_mov_b32_e32 v4, s10
	s_xor_b64 exec, exec, s[6:7]
	s_cbranch_execnz .LBB36_2808
.LBB36_758:
	s_or_b64 exec, exec, s[6:7]
	s_and_saveexec_b64 s[6:7], s[4:5]
	s_cbranch_execz .LBB36_760
.LBB36_759:
	v_bfe_u32 v3, v5, 16, 3
	v_ffbh_u32_e32 v7, v3
	v_min_u32_e32 v7, 32, v7
	v_lshrrev_b32_e32 v4, 19, v5
	v_subrev_u32_e32 v8, 28, v7
	v_and_b32_e32 v4, 15, v4
	v_lshlrev_b32_sdwa v8, v8, v5 dst_sel:DWORD dst_unused:UNUSED_PAD src0_sel:DWORD src1_sel:WORD_1
	v_bfe_u32 v6, v5, 19, 4
	v_sub_u32_e32 v7, 29, v7
	v_and_b32_e32 v8, 7, v8
	v_cmp_eq_u16_e32 vcc, 0, v4
	v_cndmask_b32_e32 v3, v3, v8, vcc
	v_cndmask_b32_e32 v4, v6, v7, vcc
	v_lshlrev_b32_e32 v6, 8, v5
	v_mov_b32_e32 v7, 0x3b800000
	v_lshlrev_b32_e32 v3, 20, v3
	v_and_b32_e32 v6, 0x80000000, v6
	v_lshl_add_u32 v4, v4, 23, v7
	v_or3_b32 v4, v6, v4, v3
.LBB36_760:
	s_or_b64 exec, exec, s[6:7]
	s_nop 0
	v_mfma_f32_16x16x4f32 a[0:3], v2, v4, a[0:3]
	s_movk_i32 s4, 0x7f
	v_cmp_gt_i16_sdwa s[6:7], v9, s4 src0_sel:BYTE_3 src1_sel:DWORD
	s_mov_b64 s[4:5], 0
                                        ; implicit-def: $sgpr10
	s_and_saveexec_b64 s[8:9], s[6:7]
	s_xor_b64 s[6:7], exec, s[8:9]
	s_cbranch_execnz .LBB36_2809
; %bb.761:
	s_or_saveexec_b64 s[6:7], s[6:7]
	v_mov_b32_e32 v2, s10
	s_xor_b64 exec, exec, s[6:7]
	s_cbranch_execnz .LBB36_2812
.LBB36_762:
	s_or_b64 exec, exec, s[6:7]
	s_and_saveexec_b64 s[6:7], s[4:5]
	s_cbranch_execz .LBB36_764
.LBB36_763:
	v_bfe_u32 v2, v9, 24, 3
	v_ffbh_u32_e32 v7, v2
	v_min_u32_e32 v7, 32, v7
	v_lshrrev_b32_e32 v4, 27, v9
	v_subrev_u32_e32 v8, 28, v7
	v_and_b32_e32 v4, 15, v4
	v_lshlrev_b32_sdwa v8, v8, v9 dst_sel:DWORD dst_unused:UNUSED_PAD src0_sel:DWORD src1_sel:BYTE_3
	v_bfe_u32 v6, v9, 27, 4
	v_sub_u32_e32 v7, 29, v7
	v_and_b32_e32 v8, 7, v8
	v_cmp_eq_u16_e32 vcc, 0, v4
	v_cndmask_b32_e32 v2, v2, v8, vcc
	v_cndmask_b32_e32 v4, v6, v7, vcc
	v_mov_b32_e32 v6, 0x3b800000
	v_and_b32_e32 v3, 0x80000000, v9
	v_lshlrev_b32_e32 v2, 20, v2
	v_lshl_add_u32 v4, v4, 23, v6
	v_or3_b32 v2, v3, v4, v2
.LBB36_764:
	s_or_b64 exec, exec, s[6:7]
	s_movk_i32 s4, 0x7f
	v_cmp_gt_i16_sdwa s[6:7], v5, s4 src0_sel:BYTE_3 src1_sel:DWORD
	s_mov_b64 s[4:5], 0
                                        ; implicit-def: $sgpr10
	s_and_saveexec_b64 s[8:9], s[6:7]
	s_xor_b64 s[6:7], exec, s[8:9]
	s_cbranch_execnz .LBB36_2813
; %bb.765:
	s_or_saveexec_b64 s[6:7], s[6:7]
	v_mov_b32_e32 v3, s10
	s_xor_b64 exec, exec, s[6:7]
	s_cbranch_execnz .LBB36_2816
.LBB36_766:
	s_or_b64 exec, exec, s[6:7]
	s_and_saveexec_b64 s[6:7], s[4:5]
	s_cbranch_execz .LBB36_768
.LBB36_767:
	v_bfe_u32 v3, v5, 24, 3
	v_ffbh_u32_e32 v8, v3
	v_min_u32_e32 v8, 32, v8
	v_lshrrev_b32_e32 v6, 27, v5
	v_subrev_u32_e32 v9, 28, v8
	v_and_b32_e32 v4, 0x80000000, v5
	v_and_b32_e32 v6, 15, v6
	v_bfe_u32 v7, v5, 27, 4
	v_lshlrev_b32_sdwa v5, v9, v5 dst_sel:DWORD dst_unused:UNUSED_PAD src0_sel:DWORD src1_sel:BYTE_3
	v_sub_u32_e32 v8, 29, v8
	v_and_b32_e32 v5, 7, v5
	v_cmp_eq_u16_e32 vcc, 0, v6
	v_cndmask_b32_e32 v3, v3, v5, vcc
	v_cndmask_b32_e32 v5, v7, v8, vcc
	v_mov_b32_e32 v6, 0x3b800000
	v_lshlrev_b32_e32 v3, 20, v3
	v_lshl_add_u32 v5, v5, 23, v6
	v_or3_b32 v3, v4, v5, v3
.LBB36_768:
	s_or_b64 exec, exec, s[6:7]
	s_nop 0
	v_mfma_f32_16x16x4f32 a[0:3], v2, v3, a[0:3]
	s_movk_i32 s4, 0x7f
                                        ; implicit-def: $sgpr10
	s_nop 7
	s_nop 1
	flat_store_dwordx4 v[18:19], a[0:3] offset:32
	flat_load_dwordx4 v[20:23], v[0:1] offset:16
	s_nop 0
	flat_load_dwordx2 v[18:19], v[0:1] offset:32
	s_waitcnt vmcnt(0) lgkmcnt(0)
	flat_load_dwordx4 v[14:17], v[20:21]
	flat_load_dwordx4 v[6:9], v[20:21] offset:16
	flat_load_dwordx4 v[10:13], v[22:23] offset:352
	flat_load_dwordx4 v[2:5], v[22:23] offset:368
	s_waitcnt vmcnt(0) lgkmcnt(0)
	v_cmp_gt_i16_sdwa s[6:7], v14, s4 src0_sel:BYTE_0 src1_sel:DWORD
	s_mov_b64 s[4:5], 0
	s_and_saveexec_b64 s[8:9], s[6:7]
	s_xor_b64 s[6:7], exec, s[8:9]
	s_cbranch_execnz .LBB36_2817
; %bb.769:
	s_or_saveexec_b64 s[6:7], s[6:7]
	v_mov_b32_e32 v20, s10
	s_xor_b64 exec, exec, s[6:7]
	s_cbranch_execnz .LBB36_2820
.LBB36_770:
	s_or_b64 exec, exec, s[6:7]
	s_and_saveexec_b64 s[6:7], s[4:5]
	s_cbranch_execz .LBB36_772
.LBB36_771:
	v_and_b32_e32 v20, 7, v14
	v_ffbh_u32_e32 v22, v20
	v_min_u32_e32 v22, 32, v22
	v_lshrrev_b16_e32 v21, 3, v14
	v_subrev_u32_e32 v23, 28, v22
	v_and_b32_e32 v21, 15, v21
	v_lshlrev_b32_e32 v23, v23, v14
	v_sub_u32_e32 v22, 29, v22
	v_and_b32_e32 v23, 7, v23
	v_cmp_eq_u16_e32 vcc, 0, v21
	v_cndmask_b32_e32 v20, v20, v23, vcc
	v_cndmask_b32_e32 v21, v21, v22, vcc
	v_lshlrev_b32_e32 v22, 24, v14
	v_mov_b32_e32 v23, 0x3b800000
	v_lshlrev_b32_e32 v20, 20, v20
	v_and_b32_e32 v22, 0x80000000, v22
	v_lshl_add_u32 v21, v21, 23, v23
	v_or3_b32 v20, v22, v21, v20
.LBB36_772:
	s_or_b64 exec, exec, s[6:7]
	s_movk_i32 s4, 0x7f
	v_cmp_gt_i16_sdwa s[6:7], v10, s4 src0_sel:BYTE_0 src1_sel:DWORD
	s_mov_b64 s[4:5], 0
                                        ; implicit-def: $sgpr10
	s_and_saveexec_b64 s[8:9], s[6:7]
	s_xor_b64 s[6:7], exec, s[8:9]
	s_cbranch_execnz .LBB36_2821
; %bb.773:
	s_or_saveexec_b64 s[6:7], s[6:7]
	v_mov_b32_e32 v21, s10
	s_xor_b64 exec, exec, s[6:7]
	s_cbranch_execnz .LBB36_2824
.LBB36_774:
	s_or_b64 exec, exec, s[6:7]
	s_and_saveexec_b64 s[6:7], s[4:5]
	s_cbranch_execz .LBB36_776
.LBB36_775:
	v_and_b32_e32 v21, 7, v10
	v_ffbh_u32_e32 v23, v21
	v_min_u32_e32 v23, 32, v23
	v_lshrrev_b16_e32 v22, 3, v10
	v_subrev_u32_e32 v24, 28, v23
	v_and_b32_e32 v22, 15, v22
	v_lshlrev_b32_e32 v24, v24, v10
	v_sub_u32_e32 v23, 29, v23
	v_and_b32_e32 v24, 7, v24
	v_cmp_eq_u16_e32 vcc, 0, v22
	v_cndmask_b32_e32 v21, v21, v24, vcc
	v_cndmask_b32_e32 v22, v22, v23, vcc
	v_lshlrev_b32_e32 v23, 24, v10
	v_mov_b32_e32 v24, 0x3b800000
	v_lshlrev_b32_e32 v21, 20, v21
	v_and_b32_e32 v23, 0x80000000, v23
	v_lshl_add_u32 v22, v22, 23, v24
	v_or3_b32 v21, v23, v22, v21
.LBB36_776:
	s_or_b64 exec, exec, s[6:7]
	flat_load_dwordx4 a[0:3], v[18:19] offset:48
	s_movk_i32 s4, 0x7f
                                        ; implicit-def: $sgpr10
	s_waitcnt vmcnt(0) lgkmcnt(0)
	v_mfma_f32_16x16x4f32 a[0:3], v20, v21, a[0:3]
	v_lshrrev_b32_e32 v21, 8, v14
	v_cmp_gt_i16_sdwa s[6:7], v21, s4 src0_sel:BYTE_0 src1_sel:DWORD
	s_mov_b64 s[4:5], 0
	s_and_saveexec_b64 s[8:9], s[6:7]
	s_xor_b64 s[6:7], exec, s[8:9]
	s_cbranch_execnz .LBB36_2825
; %bb.777:
	s_or_saveexec_b64 s[6:7], s[6:7]
	v_mov_b32_e32 v20, s10
	s_xor_b64 exec, exec, s[6:7]
	s_cbranch_execnz .LBB36_2828
.LBB36_778:
	s_or_b64 exec, exec, s[6:7]
	s_and_saveexec_b64 s[6:7], s[4:5]
	s_cbranch_execz .LBB36_780
.LBB36_779:
	v_bfe_u32 v20, v14, 8, 3
	v_ffbh_u32_e32 v23, v20
	v_min_u32_e32 v23, 32, v23
	v_lshrrev_b16_e32 v22, 3, v21
	v_subrev_u32_e32 v24, 28, v23
	v_and_b32_e32 v22, 15, v22
	v_lshlrev_b32_e32 v21, v24, v21
	v_sub_u32_e32 v23, 29, v23
	v_and_b32_e32 v21, 7, v21
	v_cmp_eq_u16_e32 vcc, 0, v22
	v_cndmask_b32_e32 v20, v20, v21, vcc
	v_cndmask_b32_e32 v21, v22, v23, vcc
	v_lshlrev_b32_e32 v22, 16, v14
	v_mov_b32_e32 v23, 0x3b800000
	v_lshlrev_b32_e32 v20, 20, v20
	v_and_b32_e32 v22, 0x80000000, v22
	v_lshl_add_u32 v21, v21, 23, v23
	v_or3_b32 v20, v22, v21, v20
.LBB36_780:
	s_or_b64 exec, exec, s[6:7]
	v_lshrrev_b32_e32 v21, 8, v10
	s_movk_i32 s4, 0x7f
	v_cmp_gt_i16_sdwa s[6:7], v21, s4 src0_sel:BYTE_0 src1_sel:DWORD
	s_mov_b64 s[4:5], 0
                                        ; implicit-def: $sgpr10
	s_and_saveexec_b64 s[8:9], s[6:7]
	s_xor_b64 s[6:7], exec, s[8:9]
	s_cbranch_execnz .LBB36_2829
; %bb.781:
	s_or_saveexec_b64 s[6:7], s[6:7]
	v_mov_b32_e32 v22, s10
	s_xor_b64 exec, exec, s[6:7]
	s_cbranch_execnz .LBB36_2832
.LBB36_782:
	s_or_b64 exec, exec, s[6:7]
	s_and_saveexec_b64 s[6:7], s[4:5]
	s_cbranch_execz .LBB36_784
.LBB36_783:
	v_bfe_u32 v22, v10, 8, 3
	v_ffbh_u32_e32 v24, v22
	v_min_u32_e32 v24, 32, v24
	v_lshrrev_b16_e32 v23, 3, v21
	v_subrev_u32_e32 v25, 28, v24
	v_and_b32_e32 v23, 15, v23
	v_lshlrev_b32_e32 v21, v25, v21
	v_sub_u32_e32 v24, 29, v24
	v_and_b32_e32 v21, 7, v21
	v_cmp_eq_u16_e32 vcc, 0, v23
	v_cndmask_b32_e32 v21, v22, v21, vcc
	v_cndmask_b32_e32 v22, v23, v24, vcc
	v_lshlrev_b32_e32 v23, 16, v10
	v_mov_b32_e32 v24, 0x3b800000
	v_lshlrev_b32_e32 v21, 20, v21
	v_and_b32_e32 v23, 0x80000000, v23
	v_lshl_add_u32 v22, v22, 23, v24
	v_or3_b32 v22, v23, v22, v21
.LBB36_784:
	s_or_b64 exec, exec, s[6:7]
	s_nop 0
	v_mfma_f32_16x16x4f32 a[0:3], v20, v22, a[0:3]
	s_movk_i32 s4, 0xff
	v_and_b32_sdwa v21, v14, s4 dst_sel:DWORD dst_unused:UNUSED_PAD src0_sel:WORD_1 src1_sel:DWORD
	s_movk_i32 s4, 0x7f
	v_cmp_lt_i16_e32 vcc, s4, v21
	s_mov_b64 s[4:5], 0
                                        ; implicit-def: $sgpr10
	s_and_saveexec_b64 s[6:7], vcc
	s_xor_b64 s[6:7], exec, s[6:7]
	s_cbranch_execnz .LBB36_2833
; %bb.785:
	s_or_saveexec_b64 s[6:7], s[6:7]
	v_mov_b32_e32 v20, s10
	s_xor_b64 exec, exec, s[6:7]
	s_cbranch_execnz .LBB36_2836
.LBB36_786:
	s_or_b64 exec, exec, s[6:7]
	s_and_saveexec_b64 s[6:7], s[4:5]
	s_cbranch_execz .LBB36_788
.LBB36_787:
	v_bfe_u32 v20, v14, 16, 3
	v_ffbh_u32_e32 v23, v20
	v_min_u32_e32 v23, 32, v23
	v_lshrrev_b32_e32 v21, 19, v14
	v_subrev_u32_e32 v24, 28, v23
	v_and_b32_e32 v21, 15, v21
	v_lshlrev_b32_sdwa v24, v24, v14 dst_sel:DWORD dst_unused:UNUSED_PAD src0_sel:DWORD src1_sel:WORD_1
	v_bfe_u32 v22, v14, 19, 4
	v_sub_u32_e32 v23, 29, v23
	v_and_b32_e32 v24, 7, v24
	v_cmp_eq_u16_e32 vcc, 0, v21
	v_cndmask_b32_e32 v20, v20, v24, vcc
	v_cndmask_b32_e32 v21, v22, v23, vcc
	v_lshlrev_b32_e32 v22, 8, v14
	v_mov_b32_e32 v23, 0x3b800000
	v_lshlrev_b32_e32 v20, 20, v20
	v_and_b32_e32 v22, 0x80000000, v22
	v_lshl_add_u32 v21, v21, 23, v23
	v_or3_b32 v20, v22, v21, v20
.LBB36_788:
	s_or_b64 exec, exec, s[6:7]
	s_movk_i32 s4, 0xff
	v_and_b32_sdwa v21, v10, s4 dst_sel:DWORD dst_unused:UNUSED_PAD src0_sel:WORD_1 src1_sel:DWORD
	s_movk_i32 s4, 0x7f
	v_cmp_lt_i16_e32 vcc, s4, v21
	s_mov_b64 s[4:5], 0
                                        ; implicit-def: $sgpr10
	s_and_saveexec_b64 s[6:7], vcc
	s_xor_b64 s[6:7], exec, s[6:7]
	s_cbranch_execnz .LBB36_2837
; %bb.789:
	s_or_saveexec_b64 s[6:7], s[6:7]
	v_mov_b32_e32 v22, s10
	s_xor_b64 exec, exec, s[6:7]
	s_cbranch_execnz .LBB36_2840
.LBB36_790:
	s_or_b64 exec, exec, s[6:7]
	s_and_saveexec_b64 s[6:7], s[4:5]
	s_cbranch_execz .LBB36_792
.LBB36_791:
	v_bfe_u32 v21, v10, 16, 3
	v_ffbh_u32_e32 v24, v21
	v_min_u32_e32 v24, 32, v24
	v_lshrrev_b32_e32 v22, 19, v10
	v_subrev_u32_e32 v25, 28, v24
	v_and_b32_e32 v22, 15, v22
	v_lshlrev_b32_sdwa v25, v25, v10 dst_sel:DWORD dst_unused:UNUSED_PAD src0_sel:DWORD src1_sel:WORD_1
	v_bfe_u32 v23, v10, 19, 4
	v_sub_u32_e32 v24, 29, v24
	v_and_b32_e32 v25, 7, v25
	v_cmp_eq_u16_e32 vcc, 0, v22
	v_cndmask_b32_e32 v21, v21, v25, vcc
	v_cndmask_b32_e32 v22, v23, v24, vcc
	v_lshlrev_b32_e32 v23, 8, v10
	v_mov_b32_e32 v24, 0x3b800000
	v_lshlrev_b32_e32 v21, 20, v21
	v_and_b32_e32 v23, 0x80000000, v23
	v_lshl_add_u32 v22, v22, 23, v24
	v_or3_b32 v22, v23, v22, v21
.LBB36_792:
	s_or_b64 exec, exec, s[6:7]
	s_nop 0
	v_mfma_f32_16x16x4f32 a[0:3], v20, v22, a[0:3]
	s_movk_i32 s4, 0x7f
	v_cmp_gt_i16_sdwa s[6:7], v14, s4 src0_sel:BYTE_3 src1_sel:DWORD
	s_mov_b64 s[4:5], 0
                                        ; implicit-def: $sgpr10
	s_and_saveexec_b64 s[8:9], s[6:7]
	s_xor_b64 s[6:7], exec, s[8:9]
	s_cbranch_execnz .LBB36_2841
; %bb.793:
	s_or_saveexec_b64 s[6:7], s[6:7]
	v_mov_b32_e32 v20, s10
	s_xor_b64 exec, exec, s[6:7]
	s_cbranch_execnz .LBB36_2844
.LBB36_794:
	s_or_b64 exec, exec, s[6:7]
	s_and_saveexec_b64 s[6:7], s[4:5]
	s_cbranch_execz .LBB36_796
.LBB36_795:
	v_bfe_u32 v20, v14, 24, 3
	v_ffbh_u32_e32 v24, v20
	v_min_u32_e32 v24, 32, v24
	v_lshrrev_b32_e32 v22, 27, v14
	v_subrev_u32_e32 v25, 28, v24
	v_and_b32_e32 v21, 0x80000000, v14
	v_and_b32_e32 v22, 15, v22
	v_bfe_u32 v23, v14, 27, 4
	v_lshlrev_b32_sdwa v14, v25, v14 dst_sel:DWORD dst_unused:UNUSED_PAD src0_sel:DWORD src1_sel:BYTE_3
	v_sub_u32_e32 v24, 29, v24
	v_and_b32_e32 v14, 7, v14
	v_cmp_eq_u16_e32 vcc, 0, v22
	v_cndmask_b32_e32 v14, v20, v14, vcc
	v_cndmask_b32_e32 v20, v23, v24, vcc
	v_mov_b32_e32 v22, 0x3b800000
	v_lshlrev_b32_e32 v14, 20, v14
	v_lshl_add_u32 v20, v20, 23, v22
	v_or3_b32 v20, v21, v20, v14
.LBB36_796:
	s_or_b64 exec, exec, s[6:7]
	s_movk_i32 s4, 0x7f
	v_cmp_gt_i16_sdwa s[6:7], v10, s4 src0_sel:BYTE_3 src1_sel:DWORD
	s_mov_b64 s[4:5], 0
                                        ; implicit-def: $sgpr10
	s_and_saveexec_b64 s[8:9], s[6:7]
	s_xor_b64 s[6:7], exec, s[8:9]
	s_cbranch_execnz .LBB36_2845
; %bb.797:
	s_or_saveexec_b64 s[6:7], s[6:7]
	v_mov_b32_e32 v14, s10
	s_xor_b64 exec, exec, s[6:7]
	s_cbranch_execnz .LBB36_2848
.LBB36_798:
	s_or_b64 exec, exec, s[6:7]
	s_and_saveexec_b64 s[6:7], s[4:5]
	s_cbranch_execz .LBB36_800
.LBB36_799:
	v_bfe_u32 v14, v10, 24, 3
	v_ffbh_u32_e32 v24, v14
	v_min_u32_e32 v24, 32, v24
	v_lshrrev_b32_e32 v22, 27, v10
	v_subrev_u32_e32 v25, 28, v24
	v_and_b32_e32 v21, 0x80000000, v10
	v_and_b32_e32 v22, 15, v22
	v_bfe_u32 v23, v10, 27, 4
	v_lshlrev_b32_sdwa v10, v25, v10 dst_sel:DWORD dst_unused:UNUSED_PAD src0_sel:DWORD src1_sel:BYTE_3
	v_sub_u32_e32 v24, 29, v24
	v_and_b32_e32 v10, 7, v10
	v_cmp_eq_u16_e32 vcc, 0, v22
	v_cndmask_b32_e32 v10, v14, v10, vcc
	v_cndmask_b32_e32 v14, v23, v24, vcc
	v_mov_b32_e32 v22, 0x3b800000
	v_lshlrev_b32_e32 v10, 20, v10
	v_lshl_add_u32 v14, v14, 23, v22
	v_or3_b32 v14, v21, v14, v10
.LBB36_800:
	s_or_b64 exec, exec, s[6:7]
	s_nop 0
	v_mfma_f32_16x16x4f32 a[0:3], v20, v14, a[0:3]
	s_movk_i32 s4, 0x7f
	v_cmp_gt_i16_sdwa s[6:7], v15, s4 src0_sel:BYTE_0 src1_sel:DWORD
	s_mov_b64 s[4:5], 0
                                        ; implicit-def: $sgpr10
	s_and_saveexec_b64 s[8:9], s[6:7]
	s_xor_b64 s[6:7], exec, s[8:9]
	s_cbranch_execnz .LBB36_2849
; %bb.801:
	s_or_saveexec_b64 s[6:7], s[6:7]
	v_mov_b32_e32 v10, s10
	s_xor_b64 exec, exec, s[6:7]
	s_cbranch_execnz .LBB36_2852
.LBB36_802:
	s_or_b64 exec, exec, s[6:7]
	s_and_saveexec_b64 s[6:7], s[4:5]
	s_cbranch_execz .LBB36_804
.LBB36_803:
	v_and_b32_e32 v10, 7, v15
	v_ffbh_u32_e32 v20, v10
	v_min_u32_e32 v20, 32, v20
	v_lshrrev_b16_e32 v14, 3, v15
	v_subrev_u32_e32 v21, 28, v20
	v_and_b32_e32 v14, 15, v14
	v_lshlrev_b32_e32 v21, v21, v15
	v_sub_u32_e32 v20, 29, v20
	v_and_b32_e32 v21, 7, v21
	v_cmp_eq_u16_e32 vcc, 0, v14
	v_cndmask_b32_e32 v10, v10, v21, vcc
	v_cndmask_b32_e32 v14, v14, v20, vcc
	v_lshlrev_b32_e32 v20, 24, v15
	v_mov_b32_e32 v21, 0x3b800000
	v_lshlrev_b32_e32 v10, 20, v10
	v_and_b32_e32 v20, 0x80000000, v20
	v_lshl_add_u32 v14, v14, 23, v21
	v_or3_b32 v10, v20, v14, v10
.LBB36_804:
	s_or_b64 exec, exec, s[6:7]
	s_movk_i32 s4, 0x7f
	v_cmp_gt_i16_sdwa s[6:7], v11, s4 src0_sel:BYTE_0 src1_sel:DWORD
	s_mov_b64 s[4:5], 0
                                        ; implicit-def: $sgpr10
	s_and_saveexec_b64 s[8:9], s[6:7]
	s_xor_b64 s[6:7], exec, s[8:9]
	s_cbranch_execnz .LBB36_2853
; %bb.805:
	s_or_saveexec_b64 s[6:7], s[6:7]
	v_mov_b32_e32 v14, s10
	s_xor_b64 exec, exec, s[6:7]
	s_cbranch_execnz .LBB36_2856
.LBB36_806:
	s_or_b64 exec, exec, s[6:7]
	s_and_saveexec_b64 s[6:7], s[4:5]
	s_cbranch_execz .LBB36_808
.LBB36_807:
	v_and_b32_e32 v14, 7, v11
	v_ffbh_u32_e32 v21, v14
	v_min_u32_e32 v21, 32, v21
	v_lshrrev_b16_e32 v20, 3, v11
	v_subrev_u32_e32 v22, 28, v21
	v_and_b32_e32 v20, 15, v20
	v_lshlrev_b32_e32 v22, v22, v11
	v_sub_u32_e32 v21, 29, v21
	v_and_b32_e32 v22, 7, v22
	v_cmp_eq_u16_e32 vcc, 0, v20
	v_cndmask_b32_e32 v14, v14, v22, vcc
	v_cndmask_b32_e32 v20, v20, v21, vcc
	v_lshlrev_b32_e32 v21, 24, v11
	v_mov_b32_e32 v22, 0x3b800000
	v_lshlrev_b32_e32 v14, 20, v14
	v_and_b32_e32 v21, 0x80000000, v21
	v_lshl_add_u32 v20, v20, 23, v22
	v_or3_b32 v14, v21, v20, v14
.LBB36_808:
	s_or_b64 exec, exec, s[6:7]
	s_nop 0
	v_mfma_f32_16x16x4f32 a[0:3], v10, v14, a[0:3]
	v_lshrrev_b32_e32 v14, 8, v15
	s_movk_i32 s4, 0x7f
	v_cmp_gt_i16_sdwa s[6:7], v14, s4 src0_sel:BYTE_0 src1_sel:DWORD
	s_mov_b64 s[4:5], 0
                                        ; implicit-def: $sgpr10
	s_and_saveexec_b64 s[8:9], s[6:7]
	s_xor_b64 s[6:7], exec, s[8:9]
	s_cbranch_execnz .LBB36_2857
; %bb.809:
	s_or_saveexec_b64 s[6:7], s[6:7]
	v_mov_b32_e32 v10, s10
	s_xor_b64 exec, exec, s[6:7]
	s_cbranch_execnz .LBB36_2860
.LBB36_810:
	s_or_b64 exec, exec, s[6:7]
	s_and_saveexec_b64 s[6:7], s[4:5]
	s_cbranch_execz .LBB36_812
.LBB36_811:
	v_bfe_u32 v10, v15, 8, 3
	v_ffbh_u32_e32 v21, v10
	v_min_u32_e32 v21, 32, v21
	v_lshrrev_b16_e32 v20, 3, v14
	v_subrev_u32_e32 v22, 28, v21
	v_and_b32_e32 v20, 15, v20
	v_lshlrev_b32_e32 v14, v22, v14
	v_sub_u32_e32 v21, 29, v21
	v_and_b32_e32 v14, 7, v14
	v_cmp_eq_u16_e32 vcc, 0, v20
	v_cndmask_b32_e32 v10, v10, v14, vcc
	v_cndmask_b32_e32 v14, v20, v21, vcc
	v_lshlrev_b32_e32 v20, 16, v15
	v_mov_b32_e32 v21, 0x3b800000
	v_lshlrev_b32_e32 v10, 20, v10
	v_and_b32_e32 v20, 0x80000000, v20
	v_lshl_add_u32 v14, v14, 23, v21
	v_or3_b32 v10, v20, v14, v10
.LBB36_812:
	s_or_b64 exec, exec, s[6:7]
	v_lshrrev_b32_e32 v14, 8, v11
	s_movk_i32 s4, 0x7f
	v_cmp_gt_i16_sdwa s[6:7], v14, s4 src0_sel:BYTE_0 src1_sel:DWORD
	s_mov_b64 s[4:5], 0
                                        ; implicit-def: $sgpr10
	s_and_saveexec_b64 s[8:9], s[6:7]
	s_xor_b64 s[6:7], exec, s[8:9]
	s_cbranch_execnz .LBB36_2861
; %bb.813:
	s_or_saveexec_b64 s[6:7], s[6:7]
	v_mov_b32_e32 v20, s10
	s_xor_b64 exec, exec, s[6:7]
	s_cbranch_execnz .LBB36_2864
.LBB36_814:
	s_or_b64 exec, exec, s[6:7]
	s_and_saveexec_b64 s[6:7], s[4:5]
	s_cbranch_execz .LBB36_816
.LBB36_815:
	v_bfe_u32 v20, v11, 8, 3
	v_ffbh_u32_e32 v22, v20
	v_min_u32_e32 v22, 32, v22
	v_lshrrev_b16_e32 v21, 3, v14
	v_subrev_u32_e32 v23, 28, v22
	v_and_b32_e32 v21, 15, v21
	v_lshlrev_b32_e32 v14, v23, v14
	v_sub_u32_e32 v22, 29, v22
	v_and_b32_e32 v14, 7, v14
	v_cmp_eq_u16_e32 vcc, 0, v21
	v_cndmask_b32_e32 v14, v20, v14, vcc
	v_cndmask_b32_e32 v20, v21, v22, vcc
	v_lshlrev_b32_e32 v21, 16, v11
	v_mov_b32_e32 v22, 0x3b800000
	v_lshlrev_b32_e32 v14, 20, v14
	v_and_b32_e32 v21, 0x80000000, v21
	v_lshl_add_u32 v20, v20, 23, v22
	v_or3_b32 v20, v21, v20, v14
.LBB36_816:
	s_or_b64 exec, exec, s[6:7]
	s_nop 0
	v_mfma_f32_16x16x4f32 a[0:3], v10, v20, a[0:3]
	s_movk_i32 s4, 0xff
	v_and_b32_sdwa v14, v15, s4 dst_sel:DWORD dst_unused:UNUSED_PAD src0_sel:WORD_1 src1_sel:DWORD
	s_movk_i32 s4, 0x7f
	v_cmp_lt_i16_e32 vcc, s4, v14
	s_mov_b64 s[4:5], 0
                                        ; implicit-def: $sgpr10
	s_and_saveexec_b64 s[6:7], vcc
	s_xor_b64 s[6:7], exec, s[6:7]
	s_cbranch_execnz .LBB36_2865
; %bb.817:
	s_or_saveexec_b64 s[6:7], s[6:7]
	v_mov_b32_e32 v10, s10
	s_xor_b64 exec, exec, s[6:7]
	s_cbranch_execnz .LBB36_2868
.LBB36_818:
	s_or_b64 exec, exec, s[6:7]
	s_and_saveexec_b64 s[6:7], s[4:5]
	s_cbranch_execz .LBB36_820
.LBB36_819:
	v_bfe_u32 v10, v15, 16, 3
	v_ffbh_u32_e32 v21, v10
	v_min_u32_e32 v21, 32, v21
	v_lshrrev_b32_e32 v14, 19, v15
	v_subrev_u32_e32 v22, 28, v21
	v_and_b32_e32 v14, 15, v14
	v_lshlrev_b32_sdwa v22, v22, v15 dst_sel:DWORD dst_unused:UNUSED_PAD src0_sel:DWORD src1_sel:WORD_1
	v_bfe_u32 v20, v15, 19, 4
	v_sub_u32_e32 v21, 29, v21
	v_and_b32_e32 v22, 7, v22
	v_cmp_eq_u16_e32 vcc, 0, v14
	v_cndmask_b32_e32 v10, v10, v22, vcc
	v_cndmask_b32_e32 v14, v20, v21, vcc
	v_lshlrev_b32_e32 v20, 8, v15
	v_mov_b32_e32 v21, 0x3b800000
	v_lshlrev_b32_e32 v10, 20, v10
	v_and_b32_e32 v20, 0x80000000, v20
	v_lshl_add_u32 v14, v14, 23, v21
	v_or3_b32 v10, v20, v14, v10
.LBB36_820:
	s_or_b64 exec, exec, s[6:7]
	s_movk_i32 s4, 0xff
	v_and_b32_sdwa v14, v11, s4 dst_sel:DWORD dst_unused:UNUSED_PAD src0_sel:WORD_1 src1_sel:DWORD
	s_movk_i32 s4, 0x7f
	v_cmp_lt_i16_e32 vcc, s4, v14
	s_mov_b64 s[4:5], 0
                                        ; implicit-def: $sgpr10
	s_and_saveexec_b64 s[6:7], vcc
	s_xor_b64 s[6:7], exec, s[6:7]
	s_cbranch_execnz .LBB36_2869
; %bb.821:
	s_or_saveexec_b64 s[6:7], s[6:7]
	v_mov_b32_e32 v20, s10
	s_xor_b64 exec, exec, s[6:7]
	s_cbranch_execnz .LBB36_2872
.LBB36_822:
	s_or_b64 exec, exec, s[6:7]
	s_and_saveexec_b64 s[6:7], s[4:5]
	s_cbranch_execz .LBB36_824
.LBB36_823:
	v_bfe_u32 v14, v11, 16, 3
	v_ffbh_u32_e32 v22, v14
	v_min_u32_e32 v22, 32, v22
	v_lshrrev_b32_e32 v20, 19, v11
	v_subrev_u32_e32 v23, 28, v22
	v_and_b32_e32 v20, 15, v20
	v_lshlrev_b32_sdwa v23, v23, v11 dst_sel:DWORD dst_unused:UNUSED_PAD src0_sel:DWORD src1_sel:WORD_1
	v_bfe_u32 v21, v11, 19, 4
	v_sub_u32_e32 v22, 29, v22
	v_and_b32_e32 v23, 7, v23
	v_cmp_eq_u16_e32 vcc, 0, v20
	v_cndmask_b32_e32 v14, v14, v23, vcc
	v_cndmask_b32_e32 v20, v21, v22, vcc
	v_lshlrev_b32_e32 v21, 8, v11
	v_mov_b32_e32 v22, 0x3b800000
	v_lshlrev_b32_e32 v14, 20, v14
	v_and_b32_e32 v21, 0x80000000, v21
	v_lshl_add_u32 v20, v20, 23, v22
	v_or3_b32 v20, v21, v20, v14
.LBB36_824:
	s_or_b64 exec, exec, s[6:7]
	s_nop 0
	v_mfma_f32_16x16x4f32 a[0:3], v10, v20, a[0:3]
	s_movk_i32 s4, 0x7f
	v_cmp_gt_i16_sdwa s[6:7], v15, s4 src0_sel:BYTE_3 src1_sel:DWORD
	s_mov_b64 s[4:5], 0
                                        ; implicit-def: $sgpr10
	s_and_saveexec_b64 s[8:9], s[6:7]
	s_xor_b64 s[6:7], exec, s[8:9]
	s_cbranch_execnz .LBB36_2873
; %bb.825:
	s_or_saveexec_b64 s[6:7], s[6:7]
	v_mov_b32_e32 v10, s10
	s_xor_b64 exec, exec, s[6:7]
	s_cbranch_execnz .LBB36_2876
.LBB36_826:
	s_or_b64 exec, exec, s[6:7]
	s_and_saveexec_b64 s[6:7], s[4:5]
	s_cbranch_execz .LBB36_828
.LBB36_827:
	v_bfe_u32 v10, v15, 24, 3
	v_ffbh_u32_e32 v22, v10
	v_min_u32_e32 v22, 32, v22
	v_lshrrev_b32_e32 v20, 27, v15
	v_subrev_u32_e32 v23, 28, v22
	v_and_b32_e32 v14, 0x80000000, v15
	v_and_b32_e32 v20, 15, v20
	v_bfe_u32 v21, v15, 27, 4
	v_lshlrev_b32_sdwa v15, v23, v15 dst_sel:DWORD dst_unused:UNUSED_PAD src0_sel:DWORD src1_sel:BYTE_3
	v_sub_u32_e32 v22, 29, v22
	v_and_b32_e32 v15, 7, v15
	v_cmp_eq_u16_e32 vcc, 0, v20
	v_cndmask_b32_e32 v10, v10, v15, vcc
	v_cndmask_b32_e32 v15, v21, v22, vcc
	v_mov_b32_e32 v20, 0x3b800000
	v_lshlrev_b32_e32 v10, 20, v10
	v_lshl_add_u32 v15, v15, 23, v20
	v_or3_b32 v10, v14, v15, v10
.LBB36_828:
	s_or_b64 exec, exec, s[6:7]
	s_movk_i32 s4, 0x7f
	v_cmp_gt_i16_sdwa s[6:7], v11, s4 src0_sel:BYTE_3 src1_sel:DWORD
	s_mov_b64 s[4:5], 0
                                        ; implicit-def: $sgpr10
	s_and_saveexec_b64 s[8:9], s[6:7]
	s_xor_b64 s[6:7], exec, s[8:9]
	s_cbranch_execnz .LBB36_2877
; %bb.829:
	s_or_saveexec_b64 s[6:7], s[6:7]
	v_mov_b32_e32 v14, s10
	s_xor_b64 exec, exec, s[6:7]
	s_cbranch_execnz .LBB36_2880
.LBB36_830:
	s_or_b64 exec, exec, s[6:7]
	s_and_saveexec_b64 s[6:7], s[4:5]
	s_cbranch_execz .LBB36_832
.LBB36_831:
	v_bfe_u32 v14, v11, 24, 3
	v_ffbh_u32_e32 v22, v14
	v_min_u32_e32 v22, 32, v22
	v_lshrrev_b32_e32 v20, 27, v11
	v_subrev_u32_e32 v23, 28, v22
	v_and_b32_e32 v15, 0x80000000, v11
	v_and_b32_e32 v20, 15, v20
	v_bfe_u32 v21, v11, 27, 4
	v_lshlrev_b32_sdwa v11, v23, v11 dst_sel:DWORD dst_unused:UNUSED_PAD src0_sel:DWORD src1_sel:BYTE_3
	v_sub_u32_e32 v22, 29, v22
	v_and_b32_e32 v11, 7, v11
	v_cmp_eq_u16_e32 vcc, 0, v20
	v_cndmask_b32_e32 v11, v14, v11, vcc
	v_cndmask_b32_e32 v14, v21, v22, vcc
	v_mov_b32_e32 v20, 0x3b800000
	v_lshlrev_b32_e32 v11, 20, v11
	v_lshl_add_u32 v14, v14, 23, v20
	v_or3_b32 v14, v15, v14, v11
.LBB36_832:
	s_or_b64 exec, exec, s[6:7]
	s_nop 0
	v_mfma_f32_16x16x4f32 a[0:3], v10, v14, a[0:3]
	s_movk_i32 s4, 0x7f
	v_cmp_gt_i16_sdwa s[6:7], v16, s4 src0_sel:BYTE_0 src1_sel:DWORD
	s_mov_b64 s[4:5], 0
                                        ; implicit-def: $sgpr10
	s_and_saveexec_b64 s[8:9], s[6:7]
	s_xor_b64 s[6:7], exec, s[8:9]
	s_cbranch_execnz .LBB36_2881
; %bb.833:
	s_or_saveexec_b64 s[6:7], s[6:7]
	v_mov_b32_e32 v10, s10
	s_xor_b64 exec, exec, s[6:7]
	s_cbranch_execnz .LBB36_2884
.LBB36_834:
	s_or_b64 exec, exec, s[6:7]
	s_and_saveexec_b64 s[6:7], s[4:5]
	s_cbranch_execz .LBB36_836
.LBB36_835:
	v_and_b32_e32 v10, 7, v16
	v_ffbh_u32_e32 v14, v10
	v_min_u32_e32 v14, 32, v14
	v_lshrrev_b16_e32 v11, 3, v16
	v_subrev_u32_e32 v15, 28, v14
	v_and_b32_e32 v11, 15, v11
	v_lshlrev_b32_e32 v15, v15, v16
	v_sub_u32_e32 v14, 29, v14
	v_and_b32_e32 v15, 7, v15
	v_cmp_eq_u16_e32 vcc, 0, v11
	v_cndmask_b32_e32 v10, v10, v15, vcc
	v_cndmask_b32_e32 v11, v11, v14, vcc
	v_lshlrev_b32_e32 v14, 24, v16
	v_mov_b32_e32 v15, 0x3b800000
	v_lshlrev_b32_e32 v10, 20, v10
	v_and_b32_e32 v14, 0x80000000, v14
	v_lshl_add_u32 v11, v11, 23, v15
	v_or3_b32 v10, v14, v11, v10
.LBB36_836:
	s_or_b64 exec, exec, s[6:7]
	s_movk_i32 s4, 0x7f
	v_cmp_gt_i16_sdwa s[6:7], v12, s4 src0_sel:BYTE_0 src1_sel:DWORD
	s_mov_b64 s[4:5], 0
                                        ; implicit-def: $sgpr10
	s_and_saveexec_b64 s[8:9], s[6:7]
	s_xor_b64 s[6:7], exec, s[8:9]
	s_cbranch_execnz .LBB36_2885
; %bb.837:
	s_or_saveexec_b64 s[6:7], s[6:7]
	v_mov_b32_e32 v11, s10
	s_xor_b64 exec, exec, s[6:7]
	s_cbranch_execnz .LBB36_2888
.LBB36_838:
	s_or_b64 exec, exec, s[6:7]
	s_and_saveexec_b64 s[6:7], s[4:5]
	s_cbranch_execz .LBB36_840
.LBB36_839:
	v_and_b32_e32 v11, 7, v12
	v_ffbh_u32_e32 v15, v11
	v_min_u32_e32 v15, 32, v15
	v_lshrrev_b16_e32 v14, 3, v12
	v_subrev_u32_e32 v20, 28, v15
	v_and_b32_e32 v14, 15, v14
	v_lshlrev_b32_e32 v20, v20, v12
	v_sub_u32_e32 v15, 29, v15
	v_and_b32_e32 v20, 7, v20
	v_cmp_eq_u16_e32 vcc, 0, v14
	v_cndmask_b32_e32 v11, v11, v20, vcc
	v_cndmask_b32_e32 v14, v14, v15, vcc
	v_lshlrev_b32_e32 v15, 24, v12
	v_mov_b32_e32 v20, 0x3b800000
	v_lshlrev_b32_e32 v11, 20, v11
	v_and_b32_e32 v15, 0x80000000, v15
	v_lshl_add_u32 v14, v14, 23, v20
	v_or3_b32 v11, v15, v14, v11
.LBB36_840:
	s_or_b64 exec, exec, s[6:7]
	s_nop 0
	v_mfma_f32_16x16x4f32 a[0:3], v10, v11, a[0:3]
	v_lshrrev_b32_e32 v11, 8, v16
	s_movk_i32 s4, 0x7f
	v_cmp_gt_i16_sdwa s[6:7], v11, s4 src0_sel:BYTE_0 src1_sel:DWORD
	s_mov_b64 s[4:5], 0
                                        ; implicit-def: $sgpr10
	s_and_saveexec_b64 s[8:9], s[6:7]
	s_xor_b64 s[6:7], exec, s[8:9]
	s_cbranch_execnz .LBB36_2889
; %bb.841:
	s_or_saveexec_b64 s[6:7], s[6:7]
	v_mov_b32_e32 v10, s10
	s_xor_b64 exec, exec, s[6:7]
	s_cbranch_execnz .LBB36_2892
.LBB36_842:
	s_or_b64 exec, exec, s[6:7]
	s_and_saveexec_b64 s[6:7], s[4:5]
	s_cbranch_execz .LBB36_844
.LBB36_843:
	v_bfe_u32 v10, v16, 8, 3
	v_ffbh_u32_e32 v15, v10
	v_min_u32_e32 v15, 32, v15
	v_lshrrev_b16_e32 v14, 3, v11
	v_subrev_u32_e32 v20, 28, v15
	v_and_b32_e32 v14, 15, v14
	v_lshlrev_b32_e32 v11, v20, v11
	v_sub_u32_e32 v15, 29, v15
	v_and_b32_e32 v11, 7, v11
	v_cmp_eq_u16_e32 vcc, 0, v14
	v_cndmask_b32_e32 v10, v10, v11, vcc
	v_cndmask_b32_e32 v11, v14, v15, vcc
	v_lshlrev_b32_e32 v14, 16, v16
	v_mov_b32_e32 v15, 0x3b800000
	v_lshlrev_b32_e32 v10, 20, v10
	v_and_b32_e32 v14, 0x80000000, v14
	v_lshl_add_u32 v11, v11, 23, v15
	v_or3_b32 v10, v14, v11, v10
.LBB36_844:
	s_or_b64 exec, exec, s[6:7]
	v_lshrrev_b32_e32 v11, 8, v12
	s_movk_i32 s4, 0x7f
	v_cmp_gt_i16_sdwa s[6:7], v11, s4 src0_sel:BYTE_0 src1_sel:DWORD
	s_mov_b64 s[4:5], 0
                                        ; implicit-def: $sgpr10
	s_and_saveexec_b64 s[8:9], s[6:7]
	s_xor_b64 s[6:7], exec, s[8:9]
	s_cbranch_execnz .LBB36_2893
; %bb.845:
	s_or_saveexec_b64 s[6:7], s[6:7]
	v_mov_b32_e32 v14, s10
	s_xor_b64 exec, exec, s[6:7]
	s_cbranch_execnz .LBB36_2896
.LBB36_846:
	s_or_b64 exec, exec, s[6:7]
	s_and_saveexec_b64 s[6:7], s[4:5]
	s_cbranch_execz .LBB36_848
.LBB36_847:
	v_bfe_u32 v14, v12, 8, 3
	v_ffbh_u32_e32 v20, v14
	v_min_u32_e32 v20, 32, v20
	v_lshrrev_b16_e32 v15, 3, v11
	v_subrev_u32_e32 v21, 28, v20
	v_and_b32_e32 v15, 15, v15
	v_lshlrev_b32_e32 v11, v21, v11
	v_sub_u32_e32 v20, 29, v20
	v_and_b32_e32 v11, 7, v11
	v_cmp_eq_u16_e32 vcc, 0, v15
	v_cndmask_b32_e32 v11, v14, v11, vcc
	v_cndmask_b32_e32 v14, v15, v20, vcc
	v_lshlrev_b32_e32 v15, 16, v12
	v_mov_b32_e32 v20, 0x3b800000
	v_lshlrev_b32_e32 v11, 20, v11
	v_and_b32_e32 v15, 0x80000000, v15
	v_lshl_add_u32 v14, v14, 23, v20
	v_or3_b32 v14, v15, v14, v11
.LBB36_848:
	s_or_b64 exec, exec, s[6:7]
	s_nop 0
	v_mfma_f32_16x16x4f32 a[0:3], v10, v14, a[0:3]
	s_movk_i32 s4, 0xff
	v_and_b32_sdwa v11, v16, s4 dst_sel:DWORD dst_unused:UNUSED_PAD src0_sel:WORD_1 src1_sel:DWORD
	s_movk_i32 s4, 0x7f
	v_cmp_lt_i16_e32 vcc, s4, v11
	s_mov_b64 s[4:5], 0
                                        ; implicit-def: $sgpr10
	s_and_saveexec_b64 s[6:7], vcc
	s_xor_b64 s[6:7], exec, s[6:7]
	s_cbranch_execnz .LBB36_2897
; %bb.849:
	s_or_saveexec_b64 s[6:7], s[6:7]
	v_mov_b32_e32 v10, s10
	s_xor_b64 exec, exec, s[6:7]
	s_cbranch_execnz .LBB36_2900
.LBB36_850:
	s_or_b64 exec, exec, s[6:7]
	s_and_saveexec_b64 s[6:7], s[4:5]
	s_cbranch_execz .LBB36_852
.LBB36_851:
	v_bfe_u32 v10, v16, 16, 3
	v_ffbh_u32_e32 v15, v10
	v_min_u32_e32 v15, 32, v15
	v_lshrrev_b32_e32 v11, 19, v16
	v_subrev_u32_e32 v20, 28, v15
	v_and_b32_e32 v11, 15, v11
	v_lshlrev_b32_sdwa v20, v20, v16 dst_sel:DWORD dst_unused:UNUSED_PAD src0_sel:DWORD src1_sel:WORD_1
	v_bfe_u32 v14, v16, 19, 4
	v_sub_u32_e32 v15, 29, v15
	v_and_b32_e32 v20, 7, v20
	v_cmp_eq_u16_e32 vcc, 0, v11
	v_cndmask_b32_e32 v10, v10, v20, vcc
	v_cndmask_b32_e32 v11, v14, v15, vcc
	v_lshlrev_b32_e32 v14, 8, v16
	v_mov_b32_e32 v15, 0x3b800000
	v_lshlrev_b32_e32 v10, 20, v10
	v_and_b32_e32 v14, 0x80000000, v14
	v_lshl_add_u32 v11, v11, 23, v15
	v_or3_b32 v10, v14, v11, v10
.LBB36_852:
	s_or_b64 exec, exec, s[6:7]
	s_movk_i32 s4, 0xff
	v_and_b32_sdwa v11, v12, s4 dst_sel:DWORD dst_unused:UNUSED_PAD src0_sel:WORD_1 src1_sel:DWORD
	s_movk_i32 s4, 0x7f
	v_cmp_lt_i16_e32 vcc, s4, v11
	s_mov_b64 s[4:5], 0
                                        ; implicit-def: $sgpr10
	s_and_saveexec_b64 s[6:7], vcc
	s_xor_b64 s[6:7], exec, s[6:7]
	s_cbranch_execnz .LBB36_2901
; %bb.853:
	s_or_saveexec_b64 s[6:7], s[6:7]
	v_mov_b32_e32 v14, s10
	s_xor_b64 exec, exec, s[6:7]
	s_cbranch_execnz .LBB36_2904
.LBB36_854:
	s_or_b64 exec, exec, s[6:7]
	s_and_saveexec_b64 s[6:7], s[4:5]
	s_cbranch_execz .LBB36_856
.LBB36_855:
	v_bfe_u32 v11, v12, 16, 3
	v_ffbh_u32_e32 v20, v11
	v_min_u32_e32 v20, 32, v20
	v_lshrrev_b32_e32 v14, 19, v12
	v_subrev_u32_e32 v21, 28, v20
	v_and_b32_e32 v14, 15, v14
	v_lshlrev_b32_sdwa v21, v21, v12 dst_sel:DWORD dst_unused:UNUSED_PAD src0_sel:DWORD src1_sel:WORD_1
	v_bfe_u32 v15, v12, 19, 4
	v_sub_u32_e32 v20, 29, v20
	v_and_b32_e32 v21, 7, v21
	v_cmp_eq_u16_e32 vcc, 0, v14
	v_cndmask_b32_e32 v11, v11, v21, vcc
	v_cndmask_b32_e32 v14, v15, v20, vcc
	v_lshlrev_b32_e32 v15, 8, v12
	v_mov_b32_e32 v20, 0x3b800000
	v_lshlrev_b32_e32 v11, 20, v11
	v_and_b32_e32 v15, 0x80000000, v15
	v_lshl_add_u32 v14, v14, 23, v20
	v_or3_b32 v14, v15, v14, v11
.LBB36_856:
	s_or_b64 exec, exec, s[6:7]
	s_nop 0
	v_mfma_f32_16x16x4f32 a[0:3], v10, v14, a[0:3]
	s_movk_i32 s4, 0x7f
	v_cmp_gt_i16_sdwa s[6:7], v16, s4 src0_sel:BYTE_3 src1_sel:DWORD
	s_mov_b64 s[4:5], 0
                                        ; implicit-def: $sgpr10
	s_and_saveexec_b64 s[8:9], s[6:7]
	s_xor_b64 s[6:7], exec, s[8:9]
	s_cbranch_execnz .LBB36_2905
; %bb.857:
	s_or_saveexec_b64 s[6:7], s[6:7]
	v_mov_b32_e32 v10, s10
	s_xor_b64 exec, exec, s[6:7]
	s_cbranch_execnz .LBB36_2908
.LBB36_858:
	s_or_b64 exec, exec, s[6:7]
	s_and_saveexec_b64 s[6:7], s[4:5]
	s_cbranch_execz .LBB36_860
.LBB36_859:
	v_bfe_u32 v10, v16, 24, 3
	v_ffbh_u32_e32 v20, v10
	v_min_u32_e32 v20, 32, v20
	v_lshrrev_b32_e32 v14, 27, v16
	v_subrev_u32_e32 v21, 28, v20
	v_and_b32_e32 v11, 0x80000000, v16
	v_and_b32_e32 v14, 15, v14
	v_bfe_u32 v15, v16, 27, 4
	v_lshlrev_b32_sdwa v16, v21, v16 dst_sel:DWORD dst_unused:UNUSED_PAD src0_sel:DWORD src1_sel:BYTE_3
	v_sub_u32_e32 v20, 29, v20
	v_and_b32_e32 v16, 7, v16
	v_cmp_eq_u16_e32 vcc, 0, v14
	v_cndmask_b32_e32 v10, v10, v16, vcc
	v_cndmask_b32_e32 v14, v15, v20, vcc
	v_mov_b32_e32 v15, 0x3b800000
	v_lshlrev_b32_e32 v10, 20, v10
	v_lshl_add_u32 v14, v14, 23, v15
	v_or3_b32 v10, v11, v14, v10
.LBB36_860:
	s_or_b64 exec, exec, s[6:7]
	s_movk_i32 s4, 0x7f
	v_cmp_gt_i16_sdwa s[6:7], v12, s4 src0_sel:BYTE_3 src1_sel:DWORD
	s_mov_b64 s[4:5], 0
                                        ; implicit-def: $sgpr10
	s_and_saveexec_b64 s[8:9], s[6:7]
	s_xor_b64 s[6:7], exec, s[8:9]
	s_cbranch_execnz .LBB36_2909
; %bb.861:
	s_or_saveexec_b64 s[6:7], s[6:7]
	v_mov_b32_e32 v11, s10
	s_xor_b64 exec, exec, s[6:7]
	s_cbranch_execnz .LBB36_2912
.LBB36_862:
	s_or_b64 exec, exec, s[6:7]
	s_and_saveexec_b64 s[6:7], s[4:5]
	s_cbranch_execz .LBB36_864
.LBB36_863:
	v_bfe_u32 v11, v12, 24, 3
	v_ffbh_u32_e32 v20, v11
	v_min_u32_e32 v20, 32, v20
	v_lshrrev_b32_e32 v15, 27, v12
	v_subrev_u32_e32 v21, 28, v20
	v_and_b32_e32 v14, 0x80000000, v12
	v_and_b32_e32 v15, 15, v15
	v_bfe_u32 v16, v12, 27, 4
	v_lshlrev_b32_sdwa v12, v21, v12 dst_sel:DWORD dst_unused:UNUSED_PAD src0_sel:DWORD src1_sel:BYTE_3
	v_sub_u32_e32 v20, 29, v20
	v_and_b32_e32 v12, 7, v12
	v_cmp_eq_u16_e32 vcc, 0, v15
	v_cndmask_b32_e32 v11, v11, v12, vcc
	v_cndmask_b32_e32 v12, v16, v20, vcc
	v_mov_b32_e32 v15, 0x3b800000
	v_lshlrev_b32_e32 v11, 20, v11
	v_lshl_add_u32 v12, v12, 23, v15
	v_or3_b32 v11, v14, v12, v11
.LBB36_864:
	s_or_b64 exec, exec, s[6:7]
	s_nop 0
	v_mfma_f32_16x16x4f32 a[0:3], v10, v11, a[0:3]
	s_movk_i32 s4, 0x7f
	v_cmp_gt_i16_sdwa s[6:7], v17, s4 src0_sel:BYTE_0 src1_sel:DWORD
	s_mov_b64 s[4:5], 0
                                        ; implicit-def: $sgpr10
	s_and_saveexec_b64 s[8:9], s[6:7]
	s_xor_b64 s[6:7], exec, s[8:9]
	s_cbranch_execnz .LBB36_2913
; %bb.865:
	s_or_saveexec_b64 s[6:7], s[6:7]
	v_mov_b32_e32 v10, s10
	s_xor_b64 exec, exec, s[6:7]
	s_cbranch_execnz .LBB36_2916
.LBB36_866:
	s_or_b64 exec, exec, s[6:7]
	s_and_saveexec_b64 s[6:7], s[4:5]
	s_cbranch_execz .LBB36_868
.LBB36_867:
	v_and_b32_e32 v10, 7, v17
	v_ffbh_u32_e32 v12, v10
	v_min_u32_e32 v12, 32, v12
	v_lshrrev_b16_e32 v11, 3, v17
	v_subrev_u32_e32 v14, 28, v12
	v_and_b32_e32 v11, 15, v11
	v_lshlrev_b32_e32 v14, v14, v17
	v_sub_u32_e32 v12, 29, v12
	v_and_b32_e32 v14, 7, v14
	v_cmp_eq_u16_e32 vcc, 0, v11
	v_cndmask_b32_e32 v10, v10, v14, vcc
	v_cndmask_b32_e32 v11, v11, v12, vcc
	v_lshlrev_b32_e32 v12, 24, v17
	v_mov_b32_e32 v14, 0x3b800000
	v_lshlrev_b32_e32 v10, 20, v10
	v_and_b32_e32 v12, 0x80000000, v12
	v_lshl_add_u32 v11, v11, 23, v14
	v_or3_b32 v10, v12, v11, v10
.LBB36_868:
	s_or_b64 exec, exec, s[6:7]
	s_movk_i32 s4, 0x7f
	v_cmp_gt_i16_sdwa s[6:7], v13, s4 src0_sel:BYTE_0 src1_sel:DWORD
	s_mov_b64 s[4:5], 0
                                        ; implicit-def: $sgpr10
	s_and_saveexec_b64 s[8:9], s[6:7]
	s_xor_b64 s[6:7], exec, s[8:9]
	s_cbranch_execnz .LBB36_2917
; %bb.869:
	s_or_saveexec_b64 s[6:7], s[6:7]
	v_mov_b32_e32 v11, s10
	s_xor_b64 exec, exec, s[6:7]
	s_cbranch_execnz .LBB36_2920
.LBB36_870:
	s_or_b64 exec, exec, s[6:7]
	s_and_saveexec_b64 s[6:7], s[4:5]
	s_cbranch_execz .LBB36_872
.LBB36_871:
	v_and_b32_e32 v11, 7, v13
	v_ffbh_u32_e32 v14, v11
	v_min_u32_e32 v14, 32, v14
	v_lshrrev_b16_e32 v12, 3, v13
	v_subrev_u32_e32 v15, 28, v14
	v_and_b32_e32 v12, 15, v12
	v_lshlrev_b32_e32 v15, v15, v13
	v_sub_u32_e32 v14, 29, v14
	v_and_b32_e32 v15, 7, v15
	v_cmp_eq_u16_e32 vcc, 0, v12
	v_cndmask_b32_e32 v11, v11, v15, vcc
	v_cndmask_b32_e32 v12, v12, v14, vcc
	v_lshlrev_b32_e32 v14, 24, v13
	v_mov_b32_e32 v15, 0x3b800000
	v_lshlrev_b32_e32 v11, 20, v11
	v_and_b32_e32 v14, 0x80000000, v14
	v_lshl_add_u32 v12, v12, 23, v15
	v_or3_b32 v11, v14, v12, v11
.LBB36_872:
	s_or_b64 exec, exec, s[6:7]
	s_nop 0
	v_mfma_f32_16x16x4f32 a[0:3], v10, v11, a[0:3]
	v_lshrrev_b32_e32 v11, 8, v17
	s_movk_i32 s4, 0x7f
	v_cmp_gt_i16_sdwa s[6:7], v11, s4 src0_sel:BYTE_0 src1_sel:DWORD
	s_mov_b64 s[4:5], 0
                                        ; implicit-def: $sgpr10
	s_and_saveexec_b64 s[8:9], s[6:7]
	s_xor_b64 s[6:7], exec, s[8:9]
	s_cbranch_execnz .LBB36_2921
; %bb.873:
	s_or_saveexec_b64 s[6:7], s[6:7]
	v_mov_b32_e32 v10, s10
	s_xor_b64 exec, exec, s[6:7]
	s_cbranch_execnz .LBB36_2924
.LBB36_874:
	s_or_b64 exec, exec, s[6:7]
	s_and_saveexec_b64 s[6:7], s[4:5]
	s_cbranch_execz .LBB36_876
.LBB36_875:
	v_bfe_u32 v10, v17, 8, 3
	v_ffbh_u32_e32 v14, v10
	v_min_u32_e32 v14, 32, v14
	v_lshrrev_b16_e32 v12, 3, v11
	v_subrev_u32_e32 v15, 28, v14
	v_and_b32_e32 v12, 15, v12
	v_lshlrev_b32_e32 v11, v15, v11
	v_sub_u32_e32 v14, 29, v14
	v_and_b32_e32 v11, 7, v11
	v_cmp_eq_u16_e32 vcc, 0, v12
	v_cndmask_b32_e32 v10, v10, v11, vcc
	v_cndmask_b32_e32 v11, v12, v14, vcc
	v_lshlrev_b32_e32 v12, 16, v17
	v_mov_b32_e32 v14, 0x3b800000
	v_lshlrev_b32_e32 v10, 20, v10
	v_and_b32_e32 v12, 0x80000000, v12
	v_lshl_add_u32 v11, v11, 23, v14
	v_or3_b32 v10, v12, v11, v10
.LBB36_876:
	s_or_b64 exec, exec, s[6:7]
	v_lshrrev_b32_e32 v11, 8, v13
	s_movk_i32 s4, 0x7f
	v_cmp_gt_i16_sdwa s[6:7], v11, s4 src0_sel:BYTE_0 src1_sel:DWORD
	s_mov_b64 s[4:5], 0
                                        ; implicit-def: $sgpr10
	s_and_saveexec_b64 s[8:9], s[6:7]
	s_xor_b64 s[6:7], exec, s[8:9]
	s_cbranch_execnz .LBB36_2925
; %bb.877:
	s_or_saveexec_b64 s[6:7], s[6:7]
	v_mov_b32_e32 v12, s10
	s_xor_b64 exec, exec, s[6:7]
	s_cbranch_execnz .LBB36_2928
.LBB36_878:
	s_or_b64 exec, exec, s[6:7]
	s_and_saveexec_b64 s[6:7], s[4:5]
	s_cbranch_execz .LBB36_880
.LBB36_879:
	v_bfe_u32 v12, v13, 8, 3
	v_ffbh_u32_e32 v15, v12
	v_min_u32_e32 v15, 32, v15
	v_lshrrev_b16_e32 v14, 3, v11
	v_subrev_u32_e32 v16, 28, v15
	v_and_b32_e32 v14, 15, v14
	v_lshlrev_b32_e32 v11, v16, v11
	v_sub_u32_e32 v15, 29, v15
	v_and_b32_e32 v11, 7, v11
	v_cmp_eq_u16_e32 vcc, 0, v14
	v_cndmask_b32_e32 v11, v12, v11, vcc
	v_cndmask_b32_e32 v12, v14, v15, vcc
	v_lshlrev_b32_e32 v14, 16, v13
	v_mov_b32_e32 v15, 0x3b800000
	v_lshlrev_b32_e32 v11, 20, v11
	v_and_b32_e32 v14, 0x80000000, v14
	v_lshl_add_u32 v12, v12, 23, v15
	v_or3_b32 v12, v14, v12, v11
.LBB36_880:
	s_or_b64 exec, exec, s[6:7]
	s_nop 0
	v_mfma_f32_16x16x4f32 a[0:3], v10, v12, a[0:3]
	s_movk_i32 s4, 0xff
	v_and_b32_sdwa v11, v17, s4 dst_sel:DWORD dst_unused:UNUSED_PAD src0_sel:WORD_1 src1_sel:DWORD
	s_movk_i32 s4, 0x7f
	v_cmp_lt_i16_e32 vcc, s4, v11
	s_mov_b64 s[4:5], 0
                                        ; implicit-def: $sgpr10
	s_and_saveexec_b64 s[6:7], vcc
	s_xor_b64 s[6:7], exec, s[6:7]
	s_cbranch_execnz .LBB36_2929
; %bb.881:
	s_or_saveexec_b64 s[6:7], s[6:7]
	v_mov_b32_e32 v10, s10
	s_xor_b64 exec, exec, s[6:7]
	s_cbranch_execnz .LBB36_2932
.LBB36_882:
	s_or_b64 exec, exec, s[6:7]
	s_and_saveexec_b64 s[6:7], s[4:5]
	s_cbranch_execz .LBB36_884
.LBB36_883:
	v_bfe_u32 v10, v17, 16, 3
	v_ffbh_u32_e32 v14, v10
	v_min_u32_e32 v14, 32, v14
	v_lshrrev_b32_e32 v11, 19, v17
	v_subrev_u32_e32 v15, 28, v14
	v_and_b32_e32 v11, 15, v11
	v_lshlrev_b32_sdwa v15, v15, v17 dst_sel:DWORD dst_unused:UNUSED_PAD src0_sel:DWORD src1_sel:WORD_1
	v_bfe_u32 v12, v17, 19, 4
	v_sub_u32_e32 v14, 29, v14
	v_and_b32_e32 v15, 7, v15
	v_cmp_eq_u16_e32 vcc, 0, v11
	v_cndmask_b32_e32 v10, v10, v15, vcc
	v_cndmask_b32_e32 v11, v12, v14, vcc
	v_lshlrev_b32_e32 v12, 8, v17
	v_mov_b32_e32 v14, 0x3b800000
	v_lshlrev_b32_e32 v10, 20, v10
	v_and_b32_e32 v12, 0x80000000, v12
	v_lshl_add_u32 v11, v11, 23, v14
	v_or3_b32 v10, v12, v11, v10
.LBB36_884:
	s_or_b64 exec, exec, s[6:7]
	s_movk_i32 s4, 0xff
	v_and_b32_sdwa v11, v13, s4 dst_sel:DWORD dst_unused:UNUSED_PAD src0_sel:WORD_1 src1_sel:DWORD
	s_movk_i32 s4, 0x7f
	v_cmp_lt_i16_e32 vcc, s4, v11
	s_mov_b64 s[4:5], 0
                                        ; implicit-def: $sgpr10
	s_and_saveexec_b64 s[6:7], vcc
	s_xor_b64 s[6:7], exec, s[6:7]
	s_cbranch_execnz .LBB36_2933
; %bb.885:
	s_or_saveexec_b64 s[6:7], s[6:7]
	v_mov_b32_e32 v12, s10
	s_xor_b64 exec, exec, s[6:7]
	s_cbranch_execnz .LBB36_2936
.LBB36_886:
	s_or_b64 exec, exec, s[6:7]
	s_and_saveexec_b64 s[6:7], s[4:5]
	s_cbranch_execz .LBB36_888
.LBB36_887:
	v_bfe_u32 v11, v13, 16, 3
	v_ffbh_u32_e32 v15, v11
	v_min_u32_e32 v15, 32, v15
	v_lshrrev_b32_e32 v12, 19, v13
	v_subrev_u32_e32 v16, 28, v15
	v_and_b32_e32 v12, 15, v12
	v_lshlrev_b32_sdwa v16, v16, v13 dst_sel:DWORD dst_unused:UNUSED_PAD src0_sel:DWORD src1_sel:WORD_1
	v_bfe_u32 v14, v13, 19, 4
	v_sub_u32_e32 v15, 29, v15
	v_and_b32_e32 v16, 7, v16
	v_cmp_eq_u16_e32 vcc, 0, v12
	v_cndmask_b32_e32 v11, v11, v16, vcc
	v_cndmask_b32_e32 v12, v14, v15, vcc
	v_lshlrev_b32_e32 v14, 8, v13
	v_mov_b32_e32 v15, 0x3b800000
	v_lshlrev_b32_e32 v11, 20, v11
	v_and_b32_e32 v14, 0x80000000, v14
	v_lshl_add_u32 v12, v12, 23, v15
	v_or3_b32 v12, v14, v12, v11
.LBB36_888:
	s_or_b64 exec, exec, s[6:7]
	s_nop 0
	v_mfma_f32_16x16x4f32 a[0:3], v10, v12, a[0:3]
	s_movk_i32 s4, 0x7f
	v_cmp_gt_i16_sdwa s[6:7], v17, s4 src0_sel:BYTE_3 src1_sel:DWORD
	s_mov_b64 s[4:5], 0
                                        ; implicit-def: $sgpr10
	s_and_saveexec_b64 s[8:9], s[6:7]
	s_xor_b64 s[6:7], exec, s[8:9]
	s_cbranch_execnz .LBB36_2937
; %bb.889:
	s_or_saveexec_b64 s[6:7], s[6:7]
	v_mov_b32_e32 v10, s10
	s_xor_b64 exec, exec, s[6:7]
	s_cbranch_execnz .LBB36_2940
.LBB36_890:
	s_or_b64 exec, exec, s[6:7]
	s_and_saveexec_b64 s[6:7], s[4:5]
	s_cbranch_execz .LBB36_892
.LBB36_891:
	v_bfe_u32 v10, v17, 24, 3
	v_ffbh_u32_e32 v15, v10
	v_min_u32_e32 v15, 32, v15
	v_lshrrev_b32_e32 v12, 27, v17
	v_subrev_u32_e32 v16, 28, v15
	v_and_b32_e32 v12, 15, v12
	v_lshlrev_b32_sdwa v16, v16, v17 dst_sel:DWORD dst_unused:UNUSED_PAD src0_sel:DWORD src1_sel:BYTE_3
	v_bfe_u32 v14, v17, 27, 4
	v_sub_u32_e32 v15, 29, v15
	v_and_b32_e32 v16, 7, v16
	v_cmp_eq_u16_e32 vcc, 0, v12
	v_cndmask_b32_e32 v10, v10, v16, vcc
	v_cndmask_b32_e32 v12, v14, v15, vcc
	v_mov_b32_e32 v14, 0x3b800000
	v_and_b32_e32 v11, 0x80000000, v17
	v_lshlrev_b32_e32 v10, 20, v10
	v_lshl_add_u32 v12, v12, 23, v14
	v_or3_b32 v10, v11, v12, v10
.LBB36_892:
	s_or_b64 exec, exec, s[6:7]
	s_movk_i32 s4, 0x7f
	v_cmp_gt_i16_sdwa s[6:7], v13, s4 src0_sel:BYTE_3 src1_sel:DWORD
	s_mov_b64 s[4:5], 0
                                        ; implicit-def: $sgpr10
	s_and_saveexec_b64 s[8:9], s[6:7]
	s_xor_b64 s[6:7], exec, s[8:9]
	s_cbranch_execnz .LBB36_2941
; %bb.893:
	s_or_saveexec_b64 s[6:7], s[6:7]
	v_mov_b32_e32 v11, s10
	s_xor_b64 exec, exec, s[6:7]
	s_cbranch_execnz .LBB36_2944
.LBB36_894:
	s_or_b64 exec, exec, s[6:7]
	s_and_saveexec_b64 s[6:7], s[4:5]
	s_cbranch_execz .LBB36_896
.LBB36_895:
	v_bfe_u32 v11, v13, 24, 3
	v_ffbh_u32_e32 v16, v11
	v_min_u32_e32 v16, 32, v16
	v_lshrrev_b32_e32 v14, 27, v13
	v_subrev_u32_e32 v17, 28, v16
	v_and_b32_e32 v12, 0x80000000, v13
	v_and_b32_e32 v14, 15, v14
	v_bfe_u32 v15, v13, 27, 4
	v_lshlrev_b32_sdwa v13, v17, v13 dst_sel:DWORD dst_unused:UNUSED_PAD src0_sel:DWORD src1_sel:BYTE_3
	v_sub_u32_e32 v16, 29, v16
	v_and_b32_e32 v13, 7, v13
	v_cmp_eq_u16_e32 vcc, 0, v14
	v_cndmask_b32_e32 v11, v11, v13, vcc
	v_cndmask_b32_e32 v13, v15, v16, vcc
	v_mov_b32_e32 v14, 0x3b800000
	v_lshlrev_b32_e32 v11, 20, v11
	v_lshl_add_u32 v13, v13, 23, v14
	v_or3_b32 v11, v12, v13, v11
.LBB36_896:
	s_or_b64 exec, exec, s[6:7]
	s_nop 0
	v_mfma_f32_16x16x4f32 a[0:3], v10, v11, a[0:3]
	s_movk_i32 s4, 0x7f
	v_cmp_gt_i16_sdwa s[6:7], v6, s4 src0_sel:BYTE_0 src1_sel:DWORD
	s_mov_b64 s[4:5], 0
                                        ; implicit-def: $sgpr10
	s_and_saveexec_b64 s[8:9], s[6:7]
	s_xor_b64 s[6:7], exec, s[8:9]
	s_cbranch_execnz .LBB36_2945
; %bb.897:
	s_or_saveexec_b64 s[6:7], s[6:7]
	v_mov_b32_e32 v10, s10
	s_xor_b64 exec, exec, s[6:7]
	s_cbranch_execnz .LBB36_2948
.LBB36_898:
	s_or_b64 exec, exec, s[6:7]
	s_and_saveexec_b64 s[6:7], s[4:5]
	s_cbranch_execz .LBB36_900
.LBB36_899:
	v_and_b32_e32 v10, 7, v6
	v_ffbh_u32_e32 v12, v10
	v_min_u32_e32 v12, 32, v12
	v_lshrrev_b16_e32 v11, 3, v6
	v_subrev_u32_e32 v13, 28, v12
	v_and_b32_e32 v11, 15, v11
	v_lshlrev_b32_e32 v13, v13, v6
	v_sub_u32_e32 v12, 29, v12
	v_and_b32_e32 v13, 7, v13
	v_cmp_eq_u16_e32 vcc, 0, v11
	v_cndmask_b32_e32 v10, v10, v13, vcc
	v_cndmask_b32_e32 v11, v11, v12, vcc
	v_lshlrev_b32_e32 v12, 24, v6
	v_mov_b32_e32 v13, 0x3b800000
	v_lshlrev_b32_e32 v10, 20, v10
	v_and_b32_e32 v12, 0x80000000, v12
	v_lshl_add_u32 v11, v11, 23, v13
	v_or3_b32 v10, v12, v11, v10
.LBB36_900:
	s_or_b64 exec, exec, s[6:7]
	s_movk_i32 s4, 0x7f
	v_cmp_gt_i16_sdwa s[6:7], v2, s4 src0_sel:BYTE_0 src1_sel:DWORD
	s_mov_b64 s[4:5], 0
                                        ; implicit-def: $sgpr10
	s_and_saveexec_b64 s[8:9], s[6:7]
	s_xor_b64 s[6:7], exec, s[8:9]
	s_cbranch_execnz .LBB36_2949
; %bb.901:
	s_or_saveexec_b64 s[6:7], s[6:7]
	v_mov_b32_e32 v11, s10
	s_xor_b64 exec, exec, s[6:7]
	s_cbranch_execnz .LBB36_2952
.LBB36_902:
	s_or_b64 exec, exec, s[6:7]
	s_and_saveexec_b64 s[6:7], s[4:5]
	s_cbranch_execz .LBB36_904
.LBB36_903:
	v_and_b32_e32 v11, 7, v2
	v_ffbh_u32_e32 v13, v11
	v_min_u32_e32 v13, 32, v13
	v_lshrrev_b16_e32 v12, 3, v2
	v_subrev_u32_e32 v14, 28, v13
	v_and_b32_e32 v12, 15, v12
	v_lshlrev_b32_e32 v14, v14, v2
	v_sub_u32_e32 v13, 29, v13
	v_and_b32_e32 v14, 7, v14
	v_cmp_eq_u16_e32 vcc, 0, v12
	v_cndmask_b32_e32 v11, v11, v14, vcc
	v_cndmask_b32_e32 v12, v12, v13, vcc
	v_lshlrev_b32_e32 v13, 24, v2
	v_mov_b32_e32 v14, 0x3b800000
	v_lshlrev_b32_e32 v11, 20, v11
	v_and_b32_e32 v13, 0x80000000, v13
	v_lshl_add_u32 v12, v12, 23, v14
	v_or3_b32 v11, v13, v12, v11
.LBB36_904:
	s_or_b64 exec, exec, s[6:7]
	s_nop 0
	v_mfma_f32_16x16x4f32 a[0:3], v10, v11, a[0:3]
	v_lshrrev_b32_e32 v11, 8, v6
	s_movk_i32 s4, 0x7f
	v_cmp_gt_i16_sdwa s[6:7], v11, s4 src0_sel:BYTE_0 src1_sel:DWORD
	s_mov_b64 s[4:5], 0
                                        ; implicit-def: $sgpr10
	s_and_saveexec_b64 s[8:9], s[6:7]
	s_xor_b64 s[6:7], exec, s[8:9]
	s_cbranch_execnz .LBB36_2953
; %bb.905:
	s_or_saveexec_b64 s[6:7], s[6:7]
	v_mov_b32_e32 v10, s10
	s_xor_b64 exec, exec, s[6:7]
	s_cbranch_execnz .LBB36_2956
.LBB36_906:
	s_or_b64 exec, exec, s[6:7]
	s_and_saveexec_b64 s[6:7], s[4:5]
	s_cbranch_execz .LBB36_908
.LBB36_907:
	v_bfe_u32 v10, v6, 8, 3
	v_ffbh_u32_e32 v13, v10
	v_min_u32_e32 v13, 32, v13
	v_lshrrev_b16_e32 v12, 3, v11
	v_subrev_u32_e32 v14, 28, v13
	v_and_b32_e32 v12, 15, v12
	v_lshlrev_b32_e32 v11, v14, v11
	v_sub_u32_e32 v13, 29, v13
	v_and_b32_e32 v11, 7, v11
	v_cmp_eq_u16_e32 vcc, 0, v12
	v_cndmask_b32_e32 v10, v10, v11, vcc
	v_cndmask_b32_e32 v11, v12, v13, vcc
	v_lshlrev_b32_e32 v12, 16, v6
	v_mov_b32_e32 v13, 0x3b800000
	v_lshlrev_b32_e32 v10, 20, v10
	v_and_b32_e32 v12, 0x80000000, v12
	v_lshl_add_u32 v11, v11, 23, v13
	v_or3_b32 v10, v12, v11, v10
.LBB36_908:
	s_or_b64 exec, exec, s[6:7]
	v_lshrrev_b32_e32 v11, 8, v2
	s_movk_i32 s4, 0x7f
	v_cmp_gt_i16_sdwa s[6:7], v11, s4 src0_sel:BYTE_0 src1_sel:DWORD
	s_mov_b64 s[4:5], 0
                                        ; implicit-def: $sgpr10
	s_and_saveexec_b64 s[8:9], s[6:7]
	s_xor_b64 s[6:7], exec, s[8:9]
	s_cbranch_execnz .LBB36_2957
; %bb.909:
	s_or_saveexec_b64 s[6:7], s[6:7]
	v_mov_b32_e32 v12, s10
	s_xor_b64 exec, exec, s[6:7]
	s_cbranch_execnz .LBB36_2960
.LBB36_910:
	s_or_b64 exec, exec, s[6:7]
	s_and_saveexec_b64 s[6:7], s[4:5]
	s_cbranch_execz .LBB36_912
.LBB36_911:
	v_bfe_u32 v12, v2, 8, 3
	v_ffbh_u32_e32 v14, v12
	v_min_u32_e32 v14, 32, v14
	v_lshrrev_b16_e32 v13, 3, v11
	v_subrev_u32_e32 v15, 28, v14
	v_and_b32_e32 v13, 15, v13
	v_lshlrev_b32_e32 v11, v15, v11
	v_sub_u32_e32 v14, 29, v14
	v_and_b32_e32 v11, 7, v11
	v_cmp_eq_u16_e32 vcc, 0, v13
	v_cndmask_b32_e32 v11, v12, v11, vcc
	v_cndmask_b32_e32 v12, v13, v14, vcc
	v_lshlrev_b32_e32 v13, 16, v2
	v_mov_b32_e32 v14, 0x3b800000
	v_lshlrev_b32_e32 v11, 20, v11
	v_and_b32_e32 v13, 0x80000000, v13
	v_lshl_add_u32 v12, v12, 23, v14
	v_or3_b32 v12, v13, v12, v11
.LBB36_912:
	s_or_b64 exec, exec, s[6:7]
	s_nop 0
	v_mfma_f32_16x16x4f32 a[0:3], v10, v12, a[0:3]
	s_movk_i32 s4, 0xff
	v_and_b32_sdwa v11, v6, s4 dst_sel:DWORD dst_unused:UNUSED_PAD src0_sel:WORD_1 src1_sel:DWORD
	s_movk_i32 s4, 0x7f
	v_cmp_lt_i16_e32 vcc, s4, v11
	s_mov_b64 s[4:5], 0
                                        ; implicit-def: $sgpr10
	s_and_saveexec_b64 s[6:7], vcc
	s_xor_b64 s[6:7], exec, s[6:7]
	s_cbranch_execnz .LBB36_2961
; %bb.913:
	s_or_saveexec_b64 s[6:7], s[6:7]
	v_mov_b32_e32 v10, s10
	s_xor_b64 exec, exec, s[6:7]
	s_cbranch_execnz .LBB36_2964
.LBB36_914:
	s_or_b64 exec, exec, s[6:7]
	s_and_saveexec_b64 s[6:7], s[4:5]
	s_cbranch_execz .LBB36_916
.LBB36_915:
	v_bfe_u32 v10, v6, 16, 3
	v_ffbh_u32_e32 v13, v10
	v_min_u32_e32 v13, 32, v13
	v_lshrrev_b32_e32 v11, 19, v6
	v_subrev_u32_e32 v14, 28, v13
	v_and_b32_e32 v11, 15, v11
	v_lshlrev_b32_sdwa v14, v14, v6 dst_sel:DWORD dst_unused:UNUSED_PAD src0_sel:DWORD src1_sel:WORD_1
	v_bfe_u32 v12, v6, 19, 4
	v_sub_u32_e32 v13, 29, v13
	v_and_b32_e32 v14, 7, v14
	v_cmp_eq_u16_e32 vcc, 0, v11
	v_cndmask_b32_e32 v10, v10, v14, vcc
	v_cndmask_b32_e32 v11, v12, v13, vcc
	v_lshlrev_b32_e32 v12, 8, v6
	v_mov_b32_e32 v13, 0x3b800000
	v_lshlrev_b32_e32 v10, 20, v10
	v_and_b32_e32 v12, 0x80000000, v12
	v_lshl_add_u32 v11, v11, 23, v13
	v_or3_b32 v10, v12, v11, v10
.LBB36_916:
	s_or_b64 exec, exec, s[6:7]
	s_movk_i32 s4, 0xff
	v_and_b32_sdwa v11, v2, s4 dst_sel:DWORD dst_unused:UNUSED_PAD src0_sel:WORD_1 src1_sel:DWORD
	s_movk_i32 s4, 0x7f
	v_cmp_lt_i16_e32 vcc, s4, v11
	s_mov_b64 s[4:5], 0
                                        ; implicit-def: $sgpr10
	s_and_saveexec_b64 s[6:7], vcc
	s_xor_b64 s[6:7], exec, s[6:7]
	s_cbranch_execnz .LBB36_2965
; %bb.917:
	s_or_saveexec_b64 s[6:7], s[6:7]
	v_mov_b32_e32 v12, s10
	s_xor_b64 exec, exec, s[6:7]
	s_cbranch_execnz .LBB36_2968
.LBB36_918:
	s_or_b64 exec, exec, s[6:7]
	s_and_saveexec_b64 s[6:7], s[4:5]
	s_cbranch_execz .LBB36_920
.LBB36_919:
	v_bfe_u32 v11, v2, 16, 3
	v_ffbh_u32_e32 v14, v11
	v_min_u32_e32 v14, 32, v14
	v_lshrrev_b32_e32 v12, 19, v2
	v_subrev_u32_e32 v15, 28, v14
	v_and_b32_e32 v12, 15, v12
	v_lshlrev_b32_sdwa v15, v15, v2 dst_sel:DWORD dst_unused:UNUSED_PAD src0_sel:DWORD src1_sel:WORD_1
	v_bfe_u32 v13, v2, 19, 4
	v_sub_u32_e32 v14, 29, v14
	v_and_b32_e32 v15, 7, v15
	v_cmp_eq_u16_e32 vcc, 0, v12
	v_cndmask_b32_e32 v11, v11, v15, vcc
	v_cndmask_b32_e32 v12, v13, v14, vcc
	v_lshlrev_b32_e32 v13, 8, v2
	v_mov_b32_e32 v14, 0x3b800000
	v_lshlrev_b32_e32 v11, 20, v11
	v_and_b32_e32 v13, 0x80000000, v13
	v_lshl_add_u32 v12, v12, 23, v14
	v_or3_b32 v12, v13, v12, v11
.LBB36_920:
	s_or_b64 exec, exec, s[6:7]
	s_nop 0
	v_mfma_f32_16x16x4f32 a[0:3], v10, v12, a[0:3]
	s_movk_i32 s4, 0x7f
	v_cmp_gt_i16_sdwa s[6:7], v6, s4 src0_sel:BYTE_3 src1_sel:DWORD
	s_mov_b64 s[4:5], 0
                                        ; implicit-def: $sgpr10
	s_and_saveexec_b64 s[8:9], s[6:7]
	s_xor_b64 s[6:7], exec, s[8:9]
	s_cbranch_execnz .LBB36_2969
; %bb.921:
	s_or_saveexec_b64 s[6:7], s[6:7]
	v_mov_b32_e32 v10, s10
	s_xor_b64 exec, exec, s[6:7]
	s_cbranch_execnz .LBB36_2972
.LBB36_922:
	s_or_b64 exec, exec, s[6:7]
	s_and_saveexec_b64 s[6:7], s[4:5]
	s_cbranch_execz .LBB36_924
.LBB36_923:
	v_bfe_u32 v10, v6, 24, 3
	v_ffbh_u32_e32 v14, v10
	v_min_u32_e32 v14, 32, v14
	v_lshrrev_b32_e32 v12, 27, v6
	v_subrev_u32_e32 v15, 28, v14
	v_and_b32_e32 v11, 0x80000000, v6
	v_and_b32_e32 v12, 15, v12
	v_bfe_u32 v13, v6, 27, 4
	v_lshlrev_b32_sdwa v6, v15, v6 dst_sel:DWORD dst_unused:UNUSED_PAD src0_sel:DWORD src1_sel:BYTE_3
	v_sub_u32_e32 v14, 29, v14
	v_and_b32_e32 v6, 7, v6
	v_cmp_eq_u16_e32 vcc, 0, v12
	v_cndmask_b32_e32 v6, v10, v6, vcc
	v_cndmask_b32_e32 v10, v13, v14, vcc
	v_mov_b32_e32 v12, 0x3b800000
	v_lshlrev_b32_e32 v6, 20, v6
	v_lshl_add_u32 v10, v10, 23, v12
	v_or3_b32 v10, v11, v10, v6
.LBB36_924:
	s_or_b64 exec, exec, s[6:7]
	s_movk_i32 s4, 0x7f
	v_cmp_gt_i16_sdwa s[6:7], v2, s4 src0_sel:BYTE_3 src1_sel:DWORD
	s_mov_b64 s[4:5], 0
                                        ; implicit-def: $sgpr10
	s_and_saveexec_b64 s[8:9], s[6:7]
	s_xor_b64 s[6:7], exec, s[8:9]
	s_cbranch_execnz .LBB36_2973
; %bb.925:
	s_or_saveexec_b64 s[6:7], s[6:7]
	v_mov_b32_e32 v6, s10
	s_xor_b64 exec, exec, s[6:7]
	s_cbranch_execnz .LBB36_2976
.LBB36_926:
	s_or_b64 exec, exec, s[6:7]
	s_and_saveexec_b64 s[6:7], s[4:5]
	s_cbranch_execz .LBB36_928
.LBB36_927:
	v_bfe_u32 v6, v2, 24, 3
	v_ffbh_u32_e32 v14, v6
	v_min_u32_e32 v14, 32, v14
	v_lshrrev_b32_e32 v12, 27, v2
	v_subrev_u32_e32 v15, 28, v14
	v_and_b32_e32 v11, 0x80000000, v2
	v_and_b32_e32 v12, 15, v12
	v_bfe_u32 v13, v2, 27, 4
	v_lshlrev_b32_sdwa v2, v15, v2 dst_sel:DWORD dst_unused:UNUSED_PAD src0_sel:DWORD src1_sel:BYTE_3
	v_sub_u32_e32 v14, 29, v14
	v_and_b32_e32 v2, 7, v2
	v_cmp_eq_u16_e32 vcc, 0, v12
	v_cndmask_b32_e32 v2, v6, v2, vcc
	v_cndmask_b32_e32 v6, v13, v14, vcc
	v_mov_b32_e32 v12, 0x3b800000
	v_lshlrev_b32_e32 v2, 20, v2
	v_lshl_add_u32 v6, v6, 23, v12
	v_or3_b32 v6, v11, v6, v2
.LBB36_928:
	s_or_b64 exec, exec, s[6:7]
	s_nop 0
	v_mfma_f32_16x16x4f32 a[0:3], v10, v6, a[0:3]
	s_movk_i32 s4, 0x7f
	v_cmp_gt_i16_sdwa s[6:7], v7, s4 src0_sel:BYTE_0 src1_sel:DWORD
	s_mov_b64 s[4:5], 0
                                        ; implicit-def: $sgpr10
	s_and_saveexec_b64 s[8:9], s[6:7]
	s_xor_b64 s[6:7], exec, s[8:9]
	s_cbranch_execnz .LBB36_2977
; %bb.929:
	s_or_saveexec_b64 s[6:7], s[6:7]
	v_mov_b32_e32 v2, s10
	s_xor_b64 exec, exec, s[6:7]
	s_cbranch_execnz .LBB36_2980
.LBB36_930:
	s_or_b64 exec, exec, s[6:7]
	s_and_saveexec_b64 s[6:7], s[4:5]
	s_cbranch_execz .LBB36_932
.LBB36_931:
	v_and_b32_e32 v2, 7, v7
	v_ffbh_u32_e32 v10, v2
	v_min_u32_e32 v10, 32, v10
	v_lshrrev_b16_e32 v6, 3, v7
	v_subrev_u32_e32 v11, 28, v10
	v_and_b32_e32 v6, 15, v6
	v_lshlrev_b32_e32 v11, v11, v7
	v_sub_u32_e32 v10, 29, v10
	v_and_b32_e32 v11, 7, v11
	v_cmp_eq_u16_e32 vcc, 0, v6
	v_cndmask_b32_e32 v2, v2, v11, vcc
	v_cndmask_b32_e32 v6, v6, v10, vcc
	v_lshlrev_b32_e32 v10, 24, v7
	v_mov_b32_e32 v11, 0x3b800000
	v_lshlrev_b32_e32 v2, 20, v2
	v_and_b32_e32 v10, 0x80000000, v10
	v_lshl_add_u32 v6, v6, 23, v11
	v_or3_b32 v2, v10, v6, v2
.LBB36_932:
	s_or_b64 exec, exec, s[6:7]
	s_movk_i32 s4, 0x7f
	v_cmp_gt_i16_sdwa s[6:7], v3, s4 src0_sel:BYTE_0 src1_sel:DWORD
	s_mov_b64 s[4:5], 0
                                        ; implicit-def: $sgpr10
	s_and_saveexec_b64 s[8:9], s[6:7]
	s_xor_b64 s[6:7], exec, s[8:9]
	s_cbranch_execnz .LBB36_2981
; %bb.933:
	s_or_saveexec_b64 s[6:7], s[6:7]
	v_mov_b32_e32 v6, s10
	s_xor_b64 exec, exec, s[6:7]
	s_cbranch_execnz .LBB36_2984
.LBB36_934:
	s_or_b64 exec, exec, s[6:7]
	s_and_saveexec_b64 s[6:7], s[4:5]
	s_cbranch_execz .LBB36_936
.LBB36_935:
	v_and_b32_e32 v6, 7, v3
	v_ffbh_u32_e32 v11, v6
	v_min_u32_e32 v11, 32, v11
	v_lshrrev_b16_e32 v10, 3, v3
	v_subrev_u32_e32 v12, 28, v11
	v_and_b32_e32 v10, 15, v10
	v_lshlrev_b32_e32 v12, v12, v3
	v_sub_u32_e32 v11, 29, v11
	v_and_b32_e32 v12, 7, v12
	v_cmp_eq_u16_e32 vcc, 0, v10
	v_cndmask_b32_e32 v6, v6, v12, vcc
	v_cndmask_b32_e32 v10, v10, v11, vcc
	v_lshlrev_b32_e32 v11, 24, v3
	v_mov_b32_e32 v12, 0x3b800000
	v_lshlrev_b32_e32 v6, 20, v6
	v_and_b32_e32 v11, 0x80000000, v11
	v_lshl_add_u32 v10, v10, 23, v12
	v_or3_b32 v6, v11, v10, v6
.LBB36_936:
	s_or_b64 exec, exec, s[6:7]
	s_nop 0
	v_mfma_f32_16x16x4f32 a[0:3], v2, v6, a[0:3]
	v_lshrrev_b32_e32 v6, 8, v7
	s_movk_i32 s4, 0x7f
	v_cmp_gt_i16_sdwa s[6:7], v6, s4 src0_sel:BYTE_0 src1_sel:DWORD
	s_mov_b64 s[4:5], 0
                                        ; implicit-def: $sgpr10
	s_and_saveexec_b64 s[8:9], s[6:7]
	s_xor_b64 s[6:7], exec, s[8:9]
	s_cbranch_execnz .LBB36_2985
; %bb.937:
	s_or_saveexec_b64 s[6:7], s[6:7]
	v_mov_b32_e32 v2, s10
	s_xor_b64 exec, exec, s[6:7]
	s_cbranch_execnz .LBB36_2988
.LBB36_938:
	s_or_b64 exec, exec, s[6:7]
	s_and_saveexec_b64 s[6:7], s[4:5]
	s_cbranch_execz .LBB36_940
.LBB36_939:
	v_bfe_u32 v2, v7, 8, 3
	v_ffbh_u32_e32 v11, v2
	v_min_u32_e32 v11, 32, v11
	v_lshrrev_b16_e32 v10, 3, v6
	v_subrev_u32_e32 v12, 28, v11
	v_and_b32_e32 v10, 15, v10
	v_lshlrev_b32_e32 v6, v12, v6
	v_sub_u32_e32 v11, 29, v11
	v_and_b32_e32 v6, 7, v6
	v_cmp_eq_u16_e32 vcc, 0, v10
	v_cndmask_b32_e32 v2, v2, v6, vcc
	v_cndmask_b32_e32 v6, v10, v11, vcc
	v_lshlrev_b32_e32 v10, 16, v7
	v_mov_b32_e32 v11, 0x3b800000
	v_lshlrev_b32_e32 v2, 20, v2
	v_and_b32_e32 v10, 0x80000000, v10
	v_lshl_add_u32 v6, v6, 23, v11
	v_or3_b32 v2, v10, v6, v2
.LBB36_940:
	s_or_b64 exec, exec, s[6:7]
	v_lshrrev_b32_e32 v6, 8, v3
	s_movk_i32 s4, 0x7f
	v_cmp_gt_i16_sdwa s[6:7], v6, s4 src0_sel:BYTE_0 src1_sel:DWORD
	s_mov_b64 s[4:5], 0
                                        ; implicit-def: $sgpr10
	s_and_saveexec_b64 s[8:9], s[6:7]
	s_xor_b64 s[6:7], exec, s[8:9]
	s_cbranch_execnz .LBB36_2989
; %bb.941:
	s_or_saveexec_b64 s[6:7], s[6:7]
	v_mov_b32_e32 v10, s10
	s_xor_b64 exec, exec, s[6:7]
	s_cbranch_execnz .LBB36_2992
.LBB36_942:
	s_or_b64 exec, exec, s[6:7]
	s_and_saveexec_b64 s[6:7], s[4:5]
	s_cbranch_execz .LBB36_944
.LBB36_943:
	v_bfe_u32 v10, v3, 8, 3
	v_ffbh_u32_e32 v12, v10
	v_min_u32_e32 v12, 32, v12
	v_lshrrev_b16_e32 v11, 3, v6
	v_subrev_u32_e32 v13, 28, v12
	v_and_b32_e32 v11, 15, v11
	v_lshlrev_b32_e32 v6, v13, v6
	v_sub_u32_e32 v12, 29, v12
	v_and_b32_e32 v6, 7, v6
	v_cmp_eq_u16_e32 vcc, 0, v11
	v_cndmask_b32_e32 v6, v10, v6, vcc
	v_cndmask_b32_e32 v10, v11, v12, vcc
	v_lshlrev_b32_e32 v11, 16, v3
	v_mov_b32_e32 v12, 0x3b800000
	v_lshlrev_b32_e32 v6, 20, v6
	v_and_b32_e32 v11, 0x80000000, v11
	v_lshl_add_u32 v10, v10, 23, v12
	v_or3_b32 v10, v11, v10, v6
.LBB36_944:
	s_or_b64 exec, exec, s[6:7]
	s_nop 0
	v_mfma_f32_16x16x4f32 a[0:3], v2, v10, a[0:3]
	s_movk_i32 s4, 0xff
	v_and_b32_sdwa v6, v7, s4 dst_sel:DWORD dst_unused:UNUSED_PAD src0_sel:WORD_1 src1_sel:DWORD
	s_movk_i32 s4, 0x7f
	v_cmp_lt_i16_e32 vcc, s4, v6
	s_mov_b64 s[4:5], 0
                                        ; implicit-def: $sgpr10
	s_and_saveexec_b64 s[6:7], vcc
	s_xor_b64 s[6:7], exec, s[6:7]
	s_cbranch_execnz .LBB36_2993
; %bb.945:
	s_or_saveexec_b64 s[6:7], s[6:7]
	v_mov_b32_e32 v2, s10
	s_xor_b64 exec, exec, s[6:7]
	s_cbranch_execnz .LBB36_2996
.LBB36_946:
	s_or_b64 exec, exec, s[6:7]
	s_and_saveexec_b64 s[6:7], s[4:5]
	s_cbranch_execz .LBB36_948
.LBB36_947:
	v_bfe_u32 v2, v7, 16, 3
	v_ffbh_u32_e32 v11, v2
	v_min_u32_e32 v11, 32, v11
	v_lshrrev_b32_e32 v6, 19, v7
	v_subrev_u32_e32 v12, 28, v11
	v_and_b32_e32 v6, 15, v6
	v_lshlrev_b32_sdwa v12, v12, v7 dst_sel:DWORD dst_unused:UNUSED_PAD src0_sel:DWORD src1_sel:WORD_1
	v_bfe_u32 v10, v7, 19, 4
	v_sub_u32_e32 v11, 29, v11
	v_and_b32_e32 v12, 7, v12
	v_cmp_eq_u16_e32 vcc, 0, v6
	v_cndmask_b32_e32 v2, v2, v12, vcc
	v_cndmask_b32_e32 v6, v10, v11, vcc
	v_lshlrev_b32_e32 v10, 8, v7
	v_mov_b32_e32 v11, 0x3b800000
	v_lshlrev_b32_e32 v2, 20, v2
	v_and_b32_e32 v10, 0x80000000, v10
	v_lshl_add_u32 v6, v6, 23, v11
	v_or3_b32 v2, v10, v6, v2
.LBB36_948:
	s_or_b64 exec, exec, s[6:7]
	s_movk_i32 s4, 0xff
	v_and_b32_sdwa v6, v3, s4 dst_sel:DWORD dst_unused:UNUSED_PAD src0_sel:WORD_1 src1_sel:DWORD
	s_movk_i32 s4, 0x7f
	v_cmp_lt_i16_e32 vcc, s4, v6
	s_mov_b64 s[4:5], 0
                                        ; implicit-def: $sgpr10
	s_and_saveexec_b64 s[6:7], vcc
	s_xor_b64 s[6:7], exec, s[6:7]
	s_cbranch_execnz .LBB36_2997
; %bb.949:
	s_or_saveexec_b64 s[6:7], s[6:7]
	v_mov_b32_e32 v10, s10
	s_xor_b64 exec, exec, s[6:7]
	s_cbranch_execnz .LBB36_3000
.LBB36_950:
	s_or_b64 exec, exec, s[6:7]
	s_and_saveexec_b64 s[6:7], s[4:5]
	s_cbranch_execz .LBB36_952
.LBB36_951:
	v_bfe_u32 v6, v3, 16, 3
	v_ffbh_u32_e32 v12, v6
	v_min_u32_e32 v12, 32, v12
	v_lshrrev_b32_e32 v10, 19, v3
	v_subrev_u32_e32 v13, 28, v12
	v_and_b32_e32 v10, 15, v10
	v_lshlrev_b32_sdwa v13, v13, v3 dst_sel:DWORD dst_unused:UNUSED_PAD src0_sel:DWORD src1_sel:WORD_1
	v_bfe_u32 v11, v3, 19, 4
	v_sub_u32_e32 v12, 29, v12
	v_and_b32_e32 v13, 7, v13
	v_cmp_eq_u16_e32 vcc, 0, v10
	v_cndmask_b32_e32 v6, v6, v13, vcc
	v_cndmask_b32_e32 v10, v11, v12, vcc
	v_lshlrev_b32_e32 v11, 8, v3
	v_mov_b32_e32 v12, 0x3b800000
	v_lshlrev_b32_e32 v6, 20, v6
	v_and_b32_e32 v11, 0x80000000, v11
	v_lshl_add_u32 v10, v10, 23, v12
	v_or3_b32 v10, v11, v10, v6
.LBB36_952:
	s_or_b64 exec, exec, s[6:7]
	s_nop 0
	v_mfma_f32_16x16x4f32 a[0:3], v2, v10, a[0:3]
	s_movk_i32 s4, 0x7f
	v_cmp_gt_i16_sdwa s[6:7], v7, s4 src0_sel:BYTE_3 src1_sel:DWORD
	s_mov_b64 s[4:5], 0
                                        ; implicit-def: $sgpr10
	s_and_saveexec_b64 s[8:9], s[6:7]
	s_xor_b64 s[6:7], exec, s[8:9]
	s_cbranch_execnz .LBB36_3001
; %bb.953:
	s_or_saveexec_b64 s[6:7], s[6:7]
	v_mov_b32_e32 v2, s10
	s_xor_b64 exec, exec, s[6:7]
	s_cbranch_execnz .LBB36_3004
.LBB36_954:
	s_or_b64 exec, exec, s[6:7]
	s_and_saveexec_b64 s[6:7], s[4:5]
	s_cbranch_execz .LBB36_956
.LBB36_955:
	v_bfe_u32 v2, v7, 24, 3
	v_ffbh_u32_e32 v12, v2
	v_min_u32_e32 v12, 32, v12
	v_lshrrev_b32_e32 v10, 27, v7
	v_subrev_u32_e32 v13, 28, v12
	v_and_b32_e32 v6, 0x80000000, v7
	v_and_b32_e32 v10, 15, v10
	v_bfe_u32 v11, v7, 27, 4
	v_lshlrev_b32_sdwa v7, v13, v7 dst_sel:DWORD dst_unused:UNUSED_PAD src0_sel:DWORD src1_sel:BYTE_3
	v_sub_u32_e32 v12, 29, v12
	v_and_b32_e32 v7, 7, v7
	v_cmp_eq_u16_e32 vcc, 0, v10
	v_cndmask_b32_e32 v2, v2, v7, vcc
	v_cndmask_b32_e32 v7, v11, v12, vcc
	v_mov_b32_e32 v10, 0x3b800000
	v_lshlrev_b32_e32 v2, 20, v2
	v_lshl_add_u32 v7, v7, 23, v10
	v_or3_b32 v2, v6, v7, v2
.LBB36_956:
	s_or_b64 exec, exec, s[6:7]
	s_movk_i32 s4, 0x7f
	v_cmp_gt_i16_sdwa s[6:7], v3, s4 src0_sel:BYTE_3 src1_sel:DWORD
	s_mov_b64 s[4:5], 0
                                        ; implicit-def: $sgpr10
	s_and_saveexec_b64 s[8:9], s[6:7]
	s_xor_b64 s[6:7], exec, s[8:9]
	s_cbranch_execnz .LBB36_3005
; %bb.957:
	s_or_saveexec_b64 s[6:7], s[6:7]
	v_mov_b32_e32 v6, s10
	s_xor_b64 exec, exec, s[6:7]
	s_cbranch_execnz .LBB36_3008
.LBB36_958:
	s_or_b64 exec, exec, s[6:7]
	s_and_saveexec_b64 s[6:7], s[4:5]
	s_cbranch_execz .LBB36_960
.LBB36_959:
	v_bfe_u32 v6, v3, 24, 3
	v_ffbh_u32_e32 v12, v6
	v_min_u32_e32 v12, 32, v12
	v_lshrrev_b32_e32 v10, 27, v3
	v_subrev_u32_e32 v13, 28, v12
	v_and_b32_e32 v7, 0x80000000, v3
	v_and_b32_e32 v10, 15, v10
	v_bfe_u32 v11, v3, 27, 4
	v_lshlrev_b32_sdwa v3, v13, v3 dst_sel:DWORD dst_unused:UNUSED_PAD src0_sel:DWORD src1_sel:BYTE_3
	v_sub_u32_e32 v12, 29, v12
	v_and_b32_e32 v3, 7, v3
	v_cmp_eq_u16_e32 vcc, 0, v10
	v_cndmask_b32_e32 v3, v6, v3, vcc
	v_cndmask_b32_e32 v6, v11, v12, vcc
	v_mov_b32_e32 v10, 0x3b800000
	v_lshlrev_b32_e32 v3, 20, v3
	v_lshl_add_u32 v6, v6, 23, v10
	v_or3_b32 v6, v7, v6, v3
.LBB36_960:
	s_or_b64 exec, exec, s[6:7]
	s_nop 0
	v_mfma_f32_16x16x4f32 a[0:3], v2, v6, a[0:3]
	s_movk_i32 s4, 0x7f
	v_cmp_gt_i16_sdwa s[6:7], v8, s4 src0_sel:BYTE_0 src1_sel:DWORD
	s_mov_b64 s[4:5], 0
                                        ; implicit-def: $sgpr10
	s_and_saveexec_b64 s[8:9], s[6:7]
	s_xor_b64 s[6:7], exec, s[8:9]
	s_cbranch_execnz .LBB36_3009
; %bb.961:
	s_or_saveexec_b64 s[6:7], s[6:7]
	v_mov_b32_e32 v2, s10
	s_xor_b64 exec, exec, s[6:7]
	s_cbranch_execnz .LBB36_3012
.LBB36_962:
	s_or_b64 exec, exec, s[6:7]
	s_and_saveexec_b64 s[6:7], s[4:5]
	s_cbranch_execz .LBB36_964
.LBB36_963:
	v_and_b32_e32 v2, 7, v8
	v_ffbh_u32_e32 v6, v2
	v_min_u32_e32 v6, 32, v6
	v_lshrrev_b16_e32 v3, 3, v8
	v_subrev_u32_e32 v7, 28, v6
	v_and_b32_e32 v3, 15, v3
	v_lshlrev_b32_e32 v7, v7, v8
	v_sub_u32_e32 v6, 29, v6
	v_and_b32_e32 v7, 7, v7
	v_cmp_eq_u16_e32 vcc, 0, v3
	v_cndmask_b32_e32 v2, v2, v7, vcc
	v_cndmask_b32_e32 v3, v3, v6, vcc
	v_lshlrev_b32_e32 v6, 24, v8
	v_mov_b32_e32 v7, 0x3b800000
	v_lshlrev_b32_e32 v2, 20, v2
	v_and_b32_e32 v6, 0x80000000, v6
	v_lshl_add_u32 v3, v3, 23, v7
	v_or3_b32 v2, v6, v3, v2
.LBB36_964:
	s_or_b64 exec, exec, s[6:7]
	s_movk_i32 s4, 0x7f
	v_cmp_gt_i16_sdwa s[6:7], v4, s4 src0_sel:BYTE_0 src1_sel:DWORD
	s_mov_b64 s[4:5], 0
                                        ; implicit-def: $sgpr10
	s_and_saveexec_b64 s[8:9], s[6:7]
	s_xor_b64 s[6:7], exec, s[8:9]
	s_cbranch_execnz .LBB36_3013
; %bb.965:
	s_or_saveexec_b64 s[6:7], s[6:7]
	v_mov_b32_e32 v3, s10
	s_xor_b64 exec, exec, s[6:7]
	s_cbranch_execnz .LBB36_3016
.LBB36_966:
	s_or_b64 exec, exec, s[6:7]
	s_and_saveexec_b64 s[6:7], s[4:5]
	s_cbranch_execz .LBB36_968
.LBB36_967:
	v_and_b32_e32 v3, 7, v4
	v_ffbh_u32_e32 v7, v3
	v_min_u32_e32 v7, 32, v7
	v_lshrrev_b16_e32 v6, 3, v4
	v_subrev_u32_e32 v10, 28, v7
	v_and_b32_e32 v6, 15, v6
	v_lshlrev_b32_e32 v10, v10, v4
	v_sub_u32_e32 v7, 29, v7
	v_and_b32_e32 v10, 7, v10
	v_cmp_eq_u16_e32 vcc, 0, v6
	v_cndmask_b32_e32 v3, v3, v10, vcc
	v_cndmask_b32_e32 v6, v6, v7, vcc
	v_lshlrev_b32_e32 v7, 24, v4
	v_mov_b32_e32 v10, 0x3b800000
	v_lshlrev_b32_e32 v3, 20, v3
	v_and_b32_e32 v7, 0x80000000, v7
	v_lshl_add_u32 v6, v6, 23, v10
	v_or3_b32 v3, v7, v6, v3
.LBB36_968:
	s_or_b64 exec, exec, s[6:7]
	s_nop 0
	v_mfma_f32_16x16x4f32 a[0:3], v2, v3, a[0:3]
	v_lshrrev_b32_e32 v3, 8, v8
	s_movk_i32 s4, 0x7f
	v_cmp_gt_i16_sdwa s[6:7], v3, s4 src0_sel:BYTE_0 src1_sel:DWORD
	s_mov_b64 s[4:5], 0
                                        ; implicit-def: $sgpr10
	s_and_saveexec_b64 s[8:9], s[6:7]
	s_xor_b64 s[6:7], exec, s[8:9]
	s_cbranch_execnz .LBB36_3017
; %bb.969:
	s_or_saveexec_b64 s[6:7], s[6:7]
	v_mov_b32_e32 v2, s10
	s_xor_b64 exec, exec, s[6:7]
	s_cbranch_execnz .LBB36_3020
.LBB36_970:
	s_or_b64 exec, exec, s[6:7]
	s_and_saveexec_b64 s[6:7], s[4:5]
	s_cbranch_execz .LBB36_972
.LBB36_971:
	v_bfe_u32 v2, v8, 8, 3
	v_ffbh_u32_e32 v7, v2
	v_min_u32_e32 v7, 32, v7
	v_lshrrev_b16_e32 v6, 3, v3
	v_subrev_u32_e32 v10, 28, v7
	v_and_b32_e32 v6, 15, v6
	v_lshlrev_b32_e32 v3, v10, v3
	v_sub_u32_e32 v7, 29, v7
	v_and_b32_e32 v3, 7, v3
	v_cmp_eq_u16_e32 vcc, 0, v6
	v_cndmask_b32_e32 v2, v2, v3, vcc
	v_cndmask_b32_e32 v3, v6, v7, vcc
	v_lshlrev_b32_e32 v6, 16, v8
	v_mov_b32_e32 v7, 0x3b800000
	v_lshlrev_b32_e32 v2, 20, v2
	v_and_b32_e32 v6, 0x80000000, v6
	v_lshl_add_u32 v3, v3, 23, v7
	v_or3_b32 v2, v6, v3, v2
.LBB36_972:
	s_or_b64 exec, exec, s[6:7]
	v_lshrrev_b32_e32 v3, 8, v4
	s_movk_i32 s4, 0x7f
	v_cmp_gt_i16_sdwa s[6:7], v3, s4 src0_sel:BYTE_0 src1_sel:DWORD
	s_mov_b64 s[4:5], 0
                                        ; implicit-def: $sgpr10
	s_and_saveexec_b64 s[8:9], s[6:7]
	s_xor_b64 s[6:7], exec, s[8:9]
	s_cbranch_execnz .LBB36_3021
; %bb.973:
	s_or_saveexec_b64 s[6:7], s[6:7]
	v_mov_b32_e32 v6, s10
	s_xor_b64 exec, exec, s[6:7]
	s_cbranch_execnz .LBB36_3024
.LBB36_974:
	s_or_b64 exec, exec, s[6:7]
	s_and_saveexec_b64 s[6:7], s[4:5]
	s_cbranch_execz .LBB36_976
.LBB36_975:
	v_bfe_u32 v6, v4, 8, 3
	v_ffbh_u32_e32 v10, v6
	v_min_u32_e32 v10, 32, v10
	v_lshrrev_b16_e32 v7, 3, v3
	v_subrev_u32_e32 v11, 28, v10
	v_and_b32_e32 v7, 15, v7
	v_lshlrev_b32_e32 v3, v11, v3
	v_sub_u32_e32 v10, 29, v10
	v_and_b32_e32 v3, 7, v3
	v_cmp_eq_u16_e32 vcc, 0, v7
	v_cndmask_b32_e32 v3, v6, v3, vcc
	v_cndmask_b32_e32 v6, v7, v10, vcc
	v_lshlrev_b32_e32 v7, 16, v4
	v_mov_b32_e32 v10, 0x3b800000
	v_lshlrev_b32_e32 v3, 20, v3
	v_and_b32_e32 v7, 0x80000000, v7
	v_lshl_add_u32 v6, v6, 23, v10
	v_or3_b32 v6, v7, v6, v3
.LBB36_976:
	s_or_b64 exec, exec, s[6:7]
	s_nop 0
	v_mfma_f32_16x16x4f32 a[0:3], v2, v6, a[0:3]
	s_movk_i32 s4, 0xff
	v_and_b32_sdwa v3, v8, s4 dst_sel:DWORD dst_unused:UNUSED_PAD src0_sel:WORD_1 src1_sel:DWORD
	s_movk_i32 s4, 0x7f
	v_cmp_lt_i16_e32 vcc, s4, v3
	s_mov_b64 s[4:5], 0
                                        ; implicit-def: $sgpr10
	s_and_saveexec_b64 s[6:7], vcc
	s_xor_b64 s[6:7], exec, s[6:7]
	s_cbranch_execnz .LBB36_3025
; %bb.977:
	s_or_saveexec_b64 s[6:7], s[6:7]
	v_mov_b32_e32 v2, s10
	s_xor_b64 exec, exec, s[6:7]
	s_cbranch_execnz .LBB36_3028
.LBB36_978:
	s_or_b64 exec, exec, s[6:7]
	s_and_saveexec_b64 s[6:7], s[4:5]
	s_cbranch_execz .LBB36_980
.LBB36_979:
	v_bfe_u32 v2, v8, 16, 3
	v_ffbh_u32_e32 v7, v2
	v_min_u32_e32 v7, 32, v7
	v_lshrrev_b32_e32 v3, 19, v8
	v_subrev_u32_e32 v10, 28, v7
	v_and_b32_e32 v3, 15, v3
	v_lshlrev_b32_sdwa v10, v10, v8 dst_sel:DWORD dst_unused:UNUSED_PAD src0_sel:DWORD src1_sel:WORD_1
	v_bfe_u32 v6, v8, 19, 4
	v_sub_u32_e32 v7, 29, v7
	v_and_b32_e32 v10, 7, v10
	v_cmp_eq_u16_e32 vcc, 0, v3
	v_cndmask_b32_e32 v2, v2, v10, vcc
	v_cndmask_b32_e32 v3, v6, v7, vcc
	v_lshlrev_b32_e32 v6, 8, v8
	v_mov_b32_e32 v7, 0x3b800000
	v_lshlrev_b32_e32 v2, 20, v2
	v_and_b32_e32 v6, 0x80000000, v6
	v_lshl_add_u32 v3, v3, 23, v7
	v_or3_b32 v2, v6, v3, v2
.LBB36_980:
	s_or_b64 exec, exec, s[6:7]
	s_movk_i32 s4, 0xff
	v_and_b32_sdwa v3, v4, s4 dst_sel:DWORD dst_unused:UNUSED_PAD src0_sel:WORD_1 src1_sel:DWORD
	s_movk_i32 s4, 0x7f
	v_cmp_lt_i16_e32 vcc, s4, v3
	s_mov_b64 s[4:5], 0
                                        ; implicit-def: $sgpr10
	s_and_saveexec_b64 s[6:7], vcc
	s_xor_b64 s[6:7], exec, s[6:7]
	s_cbranch_execnz .LBB36_3029
; %bb.981:
	s_or_saveexec_b64 s[6:7], s[6:7]
	v_mov_b32_e32 v6, s10
	s_xor_b64 exec, exec, s[6:7]
	s_cbranch_execnz .LBB36_3032
.LBB36_982:
	s_or_b64 exec, exec, s[6:7]
	s_and_saveexec_b64 s[6:7], s[4:5]
	s_cbranch_execz .LBB36_984
.LBB36_983:
	v_bfe_u32 v3, v4, 16, 3
	v_ffbh_u32_e32 v10, v3
	v_min_u32_e32 v10, 32, v10
	v_lshrrev_b32_e32 v6, 19, v4
	v_subrev_u32_e32 v11, 28, v10
	v_and_b32_e32 v6, 15, v6
	v_lshlrev_b32_sdwa v11, v11, v4 dst_sel:DWORD dst_unused:UNUSED_PAD src0_sel:DWORD src1_sel:WORD_1
	v_bfe_u32 v7, v4, 19, 4
	v_sub_u32_e32 v10, 29, v10
	v_and_b32_e32 v11, 7, v11
	v_cmp_eq_u16_e32 vcc, 0, v6
	v_cndmask_b32_e32 v3, v3, v11, vcc
	v_cndmask_b32_e32 v6, v7, v10, vcc
	v_lshlrev_b32_e32 v7, 8, v4
	v_mov_b32_e32 v10, 0x3b800000
	v_lshlrev_b32_e32 v3, 20, v3
	v_and_b32_e32 v7, 0x80000000, v7
	v_lshl_add_u32 v6, v6, 23, v10
	v_or3_b32 v6, v7, v6, v3
.LBB36_984:
	s_or_b64 exec, exec, s[6:7]
	s_nop 0
	v_mfma_f32_16x16x4f32 a[0:3], v2, v6, a[0:3]
	s_movk_i32 s4, 0x7f
	v_cmp_gt_i16_sdwa s[6:7], v8, s4 src0_sel:BYTE_3 src1_sel:DWORD
	s_mov_b64 s[4:5], 0
                                        ; implicit-def: $sgpr10
	s_and_saveexec_b64 s[8:9], s[6:7]
	s_xor_b64 s[6:7], exec, s[8:9]
	s_cbranch_execnz .LBB36_3033
; %bb.985:
	s_or_saveexec_b64 s[6:7], s[6:7]
	v_mov_b32_e32 v2, s10
	s_xor_b64 exec, exec, s[6:7]
	s_cbranch_execnz .LBB36_3036
.LBB36_986:
	s_or_b64 exec, exec, s[6:7]
	s_and_saveexec_b64 s[6:7], s[4:5]
	s_cbranch_execz .LBB36_988
.LBB36_987:
	v_bfe_u32 v2, v8, 24, 3
	v_ffbh_u32_e32 v10, v2
	v_min_u32_e32 v10, 32, v10
	v_lshrrev_b32_e32 v6, 27, v8
	v_subrev_u32_e32 v11, 28, v10
	v_and_b32_e32 v3, 0x80000000, v8
	v_and_b32_e32 v6, 15, v6
	v_bfe_u32 v7, v8, 27, 4
	v_lshlrev_b32_sdwa v8, v11, v8 dst_sel:DWORD dst_unused:UNUSED_PAD src0_sel:DWORD src1_sel:BYTE_3
	v_sub_u32_e32 v10, 29, v10
	v_and_b32_e32 v8, 7, v8
	v_cmp_eq_u16_e32 vcc, 0, v6
	v_cndmask_b32_e32 v2, v2, v8, vcc
	v_cndmask_b32_e32 v6, v7, v10, vcc
	v_mov_b32_e32 v7, 0x3b800000
	v_lshlrev_b32_e32 v2, 20, v2
	v_lshl_add_u32 v6, v6, 23, v7
	v_or3_b32 v2, v3, v6, v2
.LBB36_988:
	s_or_b64 exec, exec, s[6:7]
	s_movk_i32 s4, 0x7f
	v_cmp_gt_i16_sdwa s[6:7], v4, s4 src0_sel:BYTE_3 src1_sel:DWORD
	s_mov_b64 s[4:5], 0
                                        ; implicit-def: $sgpr10
	s_and_saveexec_b64 s[8:9], s[6:7]
	s_xor_b64 s[6:7], exec, s[8:9]
	s_cbranch_execnz .LBB36_3037
; %bb.989:
	s_or_saveexec_b64 s[6:7], s[6:7]
	v_mov_b32_e32 v3, s10
	s_xor_b64 exec, exec, s[6:7]
	s_cbranch_execnz .LBB36_3040
.LBB36_990:
	s_or_b64 exec, exec, s[6:7]
	s_and_saveexec_b64 s[6:7], s[4:5]
	s_cbranch_execz .LBB36_992
.LBB36_991:
	v_bfe_u32 v3, v4, 24, 3
	v_ffbh_u32_e32 v10, v3
	v_min_u32_e32 v10, 32, v10
	v_lshrrev_b32_e32 v7, 27, v4
	v_subrev_u32_e32 v11, 28, v10
	v_and_b32_e32 v6, 0x80000000, v4
	v_and_b32_e32 v7, 15, v7
	v_bfe_u32 v8, v4, 27, 4
	v_lshlrev_b32_sdwa v4, v11, v4 dst_sel:DWORD dst_unused:UNUSED_PAD src0_sel:DWORD src1_sel:BYTE_3
	v_sub_u32_e32 v10, 29, v10
	v_and_b32_e32 v4, 7, v4
	v_cmp_eq_u16_e32 vcc, 0, v7
	v_cndmask_b32_e32 v3, v3, v4, vcc
	v_cndmask_b32_e32 v4, v8, v10, vcc
	v_mov_b32_e32 v7, 0x3b800000
	v_lshlrev_b32_e32 v3, 20, v3
	v_lshl_add_u32 v4, v4, 23, v7
	v_or3_b32 v3, v6, v4, v3
.LBB36_992:
	s_or_b64 exec, exec, s[6:7]
	s_nop 0
	v_mfma_f32_16x16x4f32 a[0:3], v2, v3, a[0:3]
	s_movk_i32 s4, 0x7f
	v_cmp_gt_i16_sdwa s[6:7], v9, s4 src0_sel:BYTE_0 src1_sel:DWORD
	s_mov_b64 s[4:5], 0
                                        ; implicit-def: $sgpr10
	s_and_saveexec_b64 s[8:9], s[6:7]
	s_xor_b64 s[6:7], exec, s[8:9]
	s_cbranch_execnz .LBB36_3041
; %bb.993:
	s_or_saveexec_b64 s[6:7], s[6:7]
	v_mov_b32_e32 v2, s10
	s_xor_b64 exec, exec, s[6:7]
	s_cbranch_execnz .LBB36_3044
.LBB36_994:
	s_or_b64 exec, exec, s[6:7]
	s_and_saveexec_b64 s[6:7], s[4:5]
	s_cbranch_execz .LBB36_996
.LBB36_995:
	v_mov_b32_e32 v2, 8
	v_and_b32_e32 v3, 7, v9
	v_lshrrev_b32_sdwa v2, v2, v9 dst_sel:BYTE_1 dst_unused:UNUSED_PAD src0_sel:DWORD src1_sel:DWORD
	v_ffbh_u32_e32 v4, v3
	v_or_b32_sdwa v2, v9, v2 dst_sel:DWORD dst_unused:UNUSED_PAD src0_sel:BYTE_0 src1_sel:DWORD
	v_min_u32_e32 v4, 32, v4
	v_lshrrev_b16_e32 v2, 3, v2
	v_subrev_u32_e32 v6, 28, v4
	v_and_b32_e32 v2, 15, v2
	v_lshlrev_b32_e32 v6, v6, v9
	v_sub_u32_e32 v4, 29, v4
	v_and_b32_e32 v6, 7, v6
	v_cmp_eq_u16_e32 vcc, 0, v2
	v_cndmask_b32_e32 v3, v3, v6, vcc
	v_cndmask_b32_e32 v2, v2, v4, vcc
	v_lshlrev_b32_e32 v4, 24, v9
	v_mov_b32_e32 v6, 0x3b800000
	v_lshlrev_b32_e32 v3, 20, v3
	v_and_b32_e32 v4, 0x80000000, v4
	v_lshl_add_u32 v2, v2, 23, v6
	v_or3_b32 v2, v4, v2, v3
.LBB36_996:
	s_or_b64 exec, exec, s[6:7]
	s_movk_i32 s4, 0x7f
	v_cmp_gt_i16_sdwa s[6:7], v5, s4 src0_sel:BYTE_0 src1_sel:DWORD
	s_mov_b64 s[4:5], 0
                                        ; implicit-def: $sgpr10
	s_and_saveexec_b64 s[8:9], s[6:7]
	s_xor_b64 s[6:7], exec, s[8:9]
	s_cbranch_execnz .LBB36_3045
; %bb.997:
	s_or_saveexec_b64 s[6:7], s[6:7]
	v_mov_b32_e32 v3, s10
	s_xor_b64 exec, exec, s[6:7]
	s_cbranch_execnz .LBB36_3048
.LBB36_998:
	s_or_b64 exec, exec, s[6:7]
	s_and_saveexec_b64 s[6:7], s[4:5]
	s_cbranch_execz .LBB36_1000
.LBB36_999:
	v_mov_b32_e32 v3, 8
	v_and_b32_e32 v4, 7, v5
	v_lshrrev_b32_sdwa v3, v3, v5 dst_sel:BYTE_1 dst_unused:UNUSED_PAD src0_sel:DWORD src1_sel:DWORD
	v_ffbh_u32_e32 v6, v4
	v_or_b32_sdwa v3, v5, v3 dst_sel:DWORD dst_unused:UNUSED_PAD src0_sel:BYTE_0 src1_sel:DWORD
	v_min_u32_e32 v6, 32, v6
	v_lshrrev_b16_e32 v3, 3, v3
	v_subrev_u32_e32 v7, 28, v6
	v_and_b32_e32 v3, 15, v3
	v_lshlrev_b32_e32 v7, v7, v5
	v_sub_u32_e32 v6, 29, v6
	v_and_b32_e32 v7, 7, v7
	v_cmp_eq_u16_e32 vcc, 0, v3
	v_cndmask_b32_e32 v4, v4, v7, vcc
	v_cndmask_b32_e32 v3, v3, v6, vcc
	v_lshlrev_b32_e32 v6, 24, v5
	v_mov_b32_e32 v7, 0x3b800000
	v_lshlrev_b32_e32 v4, 20, v4
	v_and_b32_e32 v6, 0x80000000, v6
	v_lshl_add_u32 v3, v3, 23, v7
	v_or3_b32 v3, v6, v3, v4
.LBB36_1000:
	s_or_b64 exec, exec, s[6:7]
	s_nop 0
	v_mfma_f32_16x16x4f32 a[0:3], v2, v3, a[0:3]
	v_lshrrev_b32_e32 v3, 8, v9
	s_movk_i32 s4, 0x7f
	v_cmp_gt_i16_sdwa s[6:7], v3, s4 src0_sel:BYTE_0 src1_sel:DWORD
	s_mov_b64 s[4:5], 0
                                        ; implicit-def: $sgpr10
	s_and_saveexec_b64 s[8:9], s[6:7]
	s_xor_b64 s[6:7], exec, s[8:9]
	s_cbranch_execnz .LBB36_3049
; %bb.1001:
	s_or_saveexec_b64 s[6:7], s[6:7]
	v_mov_b32_e32 v2, s10
	s_xor_b64 exec, exec, s[6:7]
	s_cbranch_execnz .LBB36_3052
.LBB36_1002:
	s_or_b64 exec, exec, s[6:7]
	s_and_saveexec_b64 s[6:7], s[4:5]
	s_cbranch_execz .LBB36_1004
.LBB36_1003:
	v_bfe_u32 v2, v9, 8, 3
	v_ffbh_u32_e32 v6, v2
	v_min_u32_e32 v6, 32, v6
	v_lshrrev_b16_e32 v4, 3, v3
	v_subrev_u32_e32 v7, 28, v6
	v_and_b32_e32 v4, 15, v4
	v_lshlrev_b32_e32 v3, v7, v3
	v_sub_u32_e32 v6, 29, v6
	v_and_b32_e32 v3, 7, v3
	v_cmp_eq_u16_e32 vcc, 0, v4
	v_cndmask_b32_e32 v2, v2, v3, vcc
	v_cndmask_b32_e32 v3, v4, v6, vcc
	v_lshlrev_b32_e32 v4, 16, v9
	v_mov_b32_e32 v6, 0x3b800000
	v_lshlrev_b32_e32 v2, 20, v2
	v_and_b32_e32 v4, 0x80000000, v4
	v_lshl_add_u32 v3, v3, 23, v6
	v_or3_b32 v2, v4, v3, v2
.LBB36_1004:
	s_or_b64 exec, exec, s[6:7]
	v_lshrrev_b32_e32 v3, 8, v5
	s_movk_i32 s4, 0x7f
	v_cmp_gt_i16_sdwa s[6:7], v3, s4 src0_sel:BYTE_0 src1_sel:DWORD
	s_mov_b64 s[4:5], 0
                                        ; implicit-def: $sgpr10
	s_and_saveexec_b64 s[8:9], s[6:7]
	s_xor_b64 s[6:7], exec, s[8:9]
	s_cbranch_execnz .LBB36_3053
; %bb.1005:
	s_or_saveexec_b64 s[6:7], s[6:7]
	v_mov_b32_e32 v4, s10
	s_xor_b64 exec, exec, s[6:7]
	s_cbranch_execnz .LBB36_3056
.LBB36_1006:
	s_or_b64 exec, exec, s[6:7]
	s_and_saveexec_b64 s[6:7], s[4:5]
	s_cbranch_execz .LBB36_1008
.LBB36_1007:
	v_bfe_u32 v4, v5, 8, 3
	v_ffbh_u32_e32 v7, v4
	v_min_u32_e32 v7, 32, v7
	v_lshrrev_b16_e32 v6, 3, v3
	v_subrev_u32_e32 v8, 28, v7
	v_and_b32_e32 v6, 15, v6
	v_lshlrev_b32_e32 v3, v8, v3
	v_sub_u32_e32 v7, 29, v7
	v_and_b32_e32 v3, 7, v3
	v_cmp_eq_u16_e32 vcc, 0, v6
	v_cndmask_b32_e32 v3, v4, v3, vcc
	v_cndmask_b32_e32 v4, v6, v7, vcc
	v_lshlrev_b32_e32 v6, 16, v5
	v_mov_b32_e32 v7, 0x3b800000
	v_lshlrev_b32_e32 v3, 20, v3
	v_and_b32_e32 v6, 0x80000000, v6
	v_lshl_add_u32 v4, v4, 23, v7
	v_or3_b32 v4, v6, v4, v3
.LBB36_1008:
	s_or_b64 exec, exec, s[6:7]
	s_nop 0
	v_mfma_f32_16x16x4f32 a[0:3], v2, v4, a[0:3]
	s_movk_i32 s4, 0xff
	v_and_b32_sdwa v3, v9, s4 dst_sel:DWORD dst_unused:UNUSED_PAD src0_sel:WORD_1 src1_sel:DWORD
	s_movk_i32 s4, 0x7f
	v_cmp_lt_i16_e32 vcc, s4, v3
	s_mov_b64 s[4:5], 0
                                        ; implicit-def: $sgpr10
	s_and_saveexec_b64 s[6:7], vcc
	s_xor_b64 s[6:7], exec, s[6:7]
	s_cbranch_execnz .LBB36_3057
; %bb.1009:
	s_or_saveexec_b64 s[6:7], s[6:7]
	v_mov_b32_e32 v2, s10
	s_xor_b64 exec, exec, s[6:7]
	s_cbranch_execnz .LBB36_3060
.LBB36_1010:
	s_or_b64 exec, exec, s[6:7]
	s_and_saveexec_b64 s[6:7], s[4:5]
	s_cbranch_execz .LBB36_1012
.LBB36_1011:
	v_bfe_u32 v2, v9, 16, 3
	v_ffbh_u32_e32 v6, v2
	v_min_u32_e32 v6, 32, v6
	v_lshrrev_b32_e32 v3, 19, v9
	v_subrev_u32_e32 v7, 28, v6
	v_and_b32_e32 v3, 15, v3
	v_lshlrev_b32_sdwa v7, v7, v9 dst_sel:DWORD dst_unused:UNUSED_PAD src0_sel:DWORD src1_sel:WORD_1
	v_bfe_u32 v4, v9, 19, 4
	v_sub_u32_e32 v6, 29, v6
	v_and_b32_e32 v7, 7, v7
	v_cmp_eq_u16_e32 vcc, 0, v3
	v_cndmask_b32_e32 v2, v2, v7, vcc
	v_cndmask_b32_e32 v3, v4, v6, vcc
	v_lshlrev_b32_e32 v4, 8, v9
	v_mov_b32_e32 v6, 0x3b800000
	v_lshlrev_b32_e32 v2, 20, v2
	v_and_b32_e32 v4, 0x80000000, v4
	v_lshl_add_u32 v3, v3, 23, v6
	v_or3_b32 v2, v4, v3, v2
.LBB36_1012:
	s_or_b64 exec, exec, s[6:7]
	s_movk_i32 s4, 0xff
	v_and_b32_sdwa v3, v5, s4 dst_sel:DWORD dst_unused:UNUSED_PAD src0_sel:WORD_1 src1_sel:DWORD
	s_movk_i32 s4, 0x7f
	v_cmp_lt_i16_e32 vcc, s4, v3
	s_mov_b64 s[4:5], 0
                                        ; implicit-def: $sgpr10
	s_and_saveexec_b64 s[6:7], vcc
	s_xor_b64 s[6:7], exec, s[6:7]
	s_cbranch_execnz .LBB36_3061
; %bb.1013:
	s_or_saveexec_b64 s[6:7], s[6:7]
	v_mov_b32_e32 v4, s10
	s_xor_b64 exec, exec, s[6:7]
	s_cbranch_execnz .LBB36_3064
.LBB36_1014:
	s_or_b64 exec, exec, s[6:7]
	s_and_saveexec_b64 s[6:7], s[4:5]
	s_cbranch_execz .LBB36_1016
.LBB36_1015:
	v_bfe_u32 v3, v5, 16, 3
	v_ffbh_u32_e32 v7, v3
	v_min_u32_e32 v7, 32, v7
	v_lshrrev_b32_e32 v4, 19, v5
	v_subrev_u32_e32 v8, 28, v7
	v_and_b32_e32 v4, 15, v4
	v_lshlrev_b32_sdwa v8, v8, v5 dst_sel:DWORD dst_unused:UNUSED_PAD src0_sel:DWORD src1_sel:WORD_1
	v_bfe_u32 v6, v5, 19, 4
	v_sub_u32_e32 v7, 29, v7
	v_and_b32_e32 v8, 7, v8
	v_cmp_eq_u16_e32 vcc, 0, v4
	v_cndmask_b32_e32 v3, v3, v8, vcc
	v_cndmask_b32_e32 v4, v6, v7, vcc
	v_lshlrev_b32_e32 v6, 8, v5
	v_mov_b32_e32 v7, 0x3b800000
	v_lshlrev_b32_e32 v3, 20, v3
	v_and_b32_e32 v6, 0x80000000, v6
	v_lshl_add_u32 v4, v4, 23, v7
	v_or3_b32 v4, v6, v4, v3
.LBB36_1016:
	s_or_b64 exec, exec, s[6:7]
	s_nop 0
	v_mfma_f32_16x16x4f32 a[0:3], v2, v4, a[0:3]
	s_movk_i32 s4, 0x7f
	v_cmp_gt_i16_sdwa s[6:7], v9, s4 src0_sel:BYTE_3 src1_sel:DWORD
	s_mov_b64 s[4:5], 0
                                        ; implicit-def: $sgpr10
	s_and_saveexec_b64 s[8:9], s[6:7]
	s_xor_b64 s[6:7], exec, s[8:9]
	s_cbranch_execnz .LBB36_3065
; %bb.1017:
	s_or_saveexec_b64 s[6:7], s[6:7]
	v_mov_b32_e32 v2, s10
	s_xor_b64 exec, exec, s[6:7]
	s_cbranch_execnz .LBB36_3068
.LBB36_1018:
	s_or_b64 exec, exec, s[6:7]
	s_and_saveexec_b64 s[6:7], s[4:5]
	s_cbranch_execz .LBB36_1020
.LBB36_1019:
	v_bfe_u32 v2, v9, 24, 3
	v_ffbh_u32_e32 v7, v2
	v_min_u32_e32 v7, 32, v7
	v_lshrrev_b32_e32 v4, 27, v9
	v_subrev_u32_e32 v8, 28, v7
	v_and_b32_e32 v4, 15, v4
	v_lshlrev_b32_sdwa v8, v8, v9 dst_sel:DWORD dst_unused:UNUSED_PAD src0_sel:DWORD src1_sel:BYTE_3
	v_bfe_u32 v6, v9, 27, 4
	v_sub_u32_e32 v7, 29, v7
	v_and_b32_e32 v8, 7, v8
	v_cmp_eq_u16_e32 vcc, 0, v4
	v_cndmask_b32_e32 v2, v2, v8, vcc
	v_cndmask_b32_e32 v4, v6, v7, vcc
	v_mov_b32_e32 v6, 0x3b800000
	v_and_b32_e32 v3, 0x80000000, v9
	v_lshlrev_b32_e32 v2, 20, v2
	v_lshl_add_u32 v4, v4, 23, v6
	v_or3_b32 v2, v3, v4, v2
.LBB36_1020:
	s_or_b64 exec, exec, s[6:7]
	s_movk_i32 s4, 0x7f
	v_cmp_gt_i16_sdwa s[6:7], v5, s4 src0_sel:BYTE_3 src1_sel:DWORD
	s_mov_b64 s[4:5], 0
                                        ; implicit-def: $sgpr10
	s_and_saveexec_b64 s[8:9], s[6:7]
	s_xor_b64 s[6:7], exec, s[8:9]
	s_cbranch_execnz .LBB36_3069
; %bb.1021:
	s_or_saveexec_b64 s[6:7], s[6:7]
	v_mov_b32_e32 v3, s10
	s_xor_b64 exec, exec, s[6:7]
	s_cbranch_execnz .LBB36_3072
.LBB36_1022:
	s_or_b64 exec, exec, s[6:7]
	s_and_saveexec_b64 s[6:7], s[4:5]
	s_cbranch_execz .LBB36_1024
.LBB36_1023:
	v_bfe_u32 v3, v5, 24, 3
	v_ffbh_u32_e32 v8, v3
	v_min_u32_e32 v8, 32, v8
	v_lshrrev_b32_e32 v6, 27, v5
	v_subrev_u32_e32 v9, 28, v8
	v_and_b32_e32 v4, 0x80000000, v5
	v_and_b32_e32 v6, 15, v6
	v_bfe_u32 v7, v5, 27, 4
	v_lshlrev_b32_sdwa v5, v9, v5 dst_sel:DWORD dst_unused:UNUSED_PAD src0_sel:DWORD src1_sel:BYTE_3
	v_sub_u32_e32 v8, 29, v8
	v_and_b32_e32 v5, 7, v5
	v_cmp_eq_u16_e32 vcc, 0, v6
	v_cndmask_b32_e32 v3, v3, v5, vcc
	v_cndmask_b32_e32 v5, v7, v8, vcc
	v_mov_b32_e32 v6, 0x3b800000
	v_lshlrev_b32_e32 v3, 20, v3
	v_lshl_add_u32 v5, v5, 23, v6
	v_or3_b32 v3, v4, v5, v3
.LBB36_1024:
	s_or_b64 exec, exec, s[6:7]
	s_nop 0
	v_mfma_f32_16x16x4f32 a[0:3], v2, v3, a[0:3]
	s_movk_i32 s4, 0x7f
                                        ; implicit-def: $sgpr10
	s_nop 7
	s_nop 1
	flat_store_dwordx4 v[18:19], a[0:3] offset:48
	flat_load_dwordx4 v[20:23], v[0:1] offset:16
	s_nop 0
	flat_load_dwordx2 v[18:19], v[0:1] offset:32
	s_waitcnt vmcnt(0) lgkmcnt(0)
	flat_load_dwordx4 v[14:17], v[20:21]
	flat_load_dwordx4 v[6:9], v[20:21] offset:16
	flat_load_dwordx4 v[10:13], v[22:23] offset:384
	;; [unrolled: 1-line block ×3, first 2 shown]
	s_waitcnt vmcnt(0) lgkmcnt(0)
	v_cmp_gt_i16_sdwa s[6:7], v14, s4 src0_sel:BYTE_0 src1_sel:DWORD
	s_mov_b64 s[4:5], 0
	s_and_saveexec_b64 s[8:9], s[6:7]
	s_xor_b64 s[6:7], exec, s[8:9]
	s_cbranch_execnz .LBB36_3073
; %bb.1025:
	s_or_saveexec_b64 s[6:7], s[6:7]
	v_mov_b32_e32 v20, s10
	s_xor_b64 exec, exec, s[6:7]
	s_cbranch_execnz .LBB36_3076
.LBB36_1026:
	s_or_b64 exec, exec, s[6:7]
	s_and_saveexec_b64 s[6:7], s[4:5]
	s_cbranch_execz .LBB36_1028
.LBB36_1027:
	v_and_b32_e32 v20, 7, v14
	v_ffbh_u32_e32 v22, v20
	v_min_u32_e32 v22, 32, v22
	v_lshrrev_b16_e32 v21, 3, v14
	v_subrev_u32_e32 v23, 28, v22
	v_and_b32_e32 v21, 15, v21
	v_lshlrev_b32_e32 v23, v23, v14
	v_sub_u32_e32 v22, 29, v22
	v_and_b32_e32 v23, 7, v23
	v_cmp_eq_u16_e32 vcc, 0, v21
	v_cndmask_b32_e32 v20, v20, v23, vcc
	v_cndmask_b32_e32 v21, v21, v22, vcc
	v_lshlrev_b32_e32 v22, 24, v14
	v_mov_b32_e32 v23, 0x3b800000
	v_lshlrev_b32_e32 v20, 20, v20
	v_and_b32_e32 v22, 0x80000000, v22
	v_lshl_add_u32 v21, v21, 23, v23
	v_or3_b32 v20, v22, v21, v20
.LBB36_1028:
	s_or_b64 exec, exec, s[6:7]
	s_movk_i32 s4, 0x7f
	v_cmp_gt_i16_sdwa s[6:7], v10, s4 src0_sel:BYTE_0 src1_sel:DWORD
	s_mov_b64 s[4:5], 0
                                        ; implicit-def: $sgpr10
	s_and_saveexec_b64 s[8:9], s[6:7]
	s_xor_b64 s[6:7], exec, s[8:9]
	s_cbranch_execnz .LBB36_3077
; %bb.1029:
	s_or_saveexec_b64 s[6:7], s[6:7]
	v_mov_b32_e32 v21, s10
	s_xor_b64 exec, exec, s[6:7]
	s_cbranch_execnz .LBB36_3080
.LBB36_1030:
	s_or_b64 exec, exec, s[6:7]
	s_and_saveexec_b64 s[6:7], s[4:5]
	s_cbranch_execz .LBB36_1032
.LBB36_1031:
	v_and_b32_e32 v21, 7, v10
	v_ffbh_u32_e32 v23, v21
	v_min_u32_e32 v23, 32, v23
	v_lshrrev_b16_e32 v22, 3, v10
	v_subrev_u32_e32 v24, 28, v23
	v_and_b32_e32 v22, 15, v22
	v_lshlrev_b32_e32 v24, v24, v10
	v_sub_u32_e32 v23, 29, v23
	v_and_b32_e32 v24, 7, v24
	v_cmp_eq_u16_e32 vcc, 0, v22
	v_cndmask_b32_e32 v21, v21, v24, vcc
	v_cndmask_b32_e32 v22, v22, v23, vcc
	v_lshlrev_b32_e32 v23, 24, v10
	v_mov_b32_e32 v24, 0x3b800000
	v_lshlrev_b32_e32 v21, 20, v21
	v_and_b32_e32 v23, 0x80000000, v23
	v_lshl_add_u32 v22, v22, 23, v24
	v_or3_b32 v21, v23, v22, v21
.LBB36_1032:
	s_or_b64 exec, exec, s[6:7]
	flat_load_dwordx4 a[0:3], v[18:19] offset:64
	s_movk_i32 s4, 0x7f
                                        ; implicit-def: $sgpr10
	s_waitcnt vmcnt(0) lgkmcnt(0)
	v_mfma_f32_16x16x4f32 a[0:3], v20, v21, a[0:3]
	v_lshrrev_b32_e32 v21, 8, v14
	v_cmp_gt_i16_sdwa s[6:7], v21, s4 src0_sel:BYTE_0 src1_sel:DWORD
	s_mov_b64 s[4:5], 0
	s_and_saveexec_b64 s[8:9], s[6:7]
	s_xor_b64 s[6:7], exec, s[8:9]
	s_cbranch_execnz .LBB36_3081
; %bb.1033:
	s_or_saveexec_b64 s[6:7], s[6:7]
	v_mov_b32_e32 v20, s10
	s_xor_b64 exec, exec, s[6:7]
	s_cbranch_execnz .LBB36_3084
.LBB36_1034:
	s_or_b64 exec, exec, s[6:7]
	s_and_saveexec_b64 s[6:7], s[4:5]
	s_cbranch_execz .LBB36_1036
.LBB36_1035:
	v_bfe_u32 v20, v14, 8, 3
	v_ffbh_u32_e32 v23, v20
	v_min_u32_e32 v23, 32, v23
	v_lshrrev_b16_e32 v22, 3, v21
	v_subrev_u32_e32 v24, 28, v23
	v_and_b32_e32 v22, 15, v22
	v_lshlrev_b32_e32 v21, v24, v21
	v_sub_u32_e32 v23, 29, v23
	v_and_b32_e32 v21, 7, v21
	v_cmp_eq_u16_e32 vcc, 0, v22
	v_cndmask_b32_e32 v20, v20, v21, vcc
	v_cndmask_b32_e32 v21, v22, v23, vcc
	v_lshlrev_b32_e32 v22, 16, v14
	v_mov_b32_e32 v23, 0x3b800000
	v_lshlrev_b32_e32 v20, 20, v20
	v_and_b32_e32 v22, 0x80000000, v22
	v_lshl_add_u32 v21, v21, 23, v23
	v_or3_b32 v20, v22, v21, v20
.LBB36_1036:
	s_or_b64 exec, exec, s[6:7]
	v_lshrrev_b32_e32 v21, 8, v10
	s_movk_i32 s4, 0x7f
	v_cmp_gt_i16_sdwa s[6:7], v21, s4 src0_sel:BYTE_0 src1_sel:DWORD
	s_mov_b64 s[4:5], 0
                                        ; implicit-def: $sgpr10
	s_and_saveexec_b64 s[8:9], s[6:7]
	s_xor_b64 s[6:7], exec, s[8:9]
	s_cbranch_execnz .LBB36_3085
; %bb.1037:
	s_or_saveexec_b64 s[6:7], s[6:7]
	v_mov_b32_e32 v22, s10
	s_xor_b64 exec, exec, s[6:7]
	s_cbranch_execnz .LBB36_3088
.LBB36_1038:
	s_or_b64 exec, exec, s[6:7]
	s_and_saveexec_b64 s[6:7], s[4:5]
	s_cbranch_execz .LBB36_1040
.LBB36_1039:
	v_bfe_u32 v22, v10, 8, 3
	v_ffbh_u32_e32 v24, v22
	v_min_u32_e32 v24, 32, v24
	v_lshrrev_b16_e32 v23, 3, v21
	v_subrev_u32_e32 v25, 28, v24
	v_and_b32_e32 v23, 15, v23
	v_lshlrev_b32_e32 v21, v25, v21
	v_sub_u32_e32 v24, 29, v24
	v_and_b32_e32 v21, 7, v21
	v_cmp_eq_u16_e32 vcc, 0, v23
	v_cndmask_b32_e32 v21, v22, v21, vcc
	v_cndmask_b32_e32 v22, v23, v24, vcc
	v_lshlrev_b32_e32 v23, 16, v10
	v_mov_b32_e32 v24, 0x3b800000
	v_lshlrev_b32_e32 v21, 20, v21
	v_and_b32_e32 v23, 0x80000000, v23
	v_lshl_add_u32 v22, v22, 23, v24
	v_or3_b32 v22, v23, v22, v21
.LBB36_1040:
	s_or_b64 exec, exec, s[6:7]
	s_nop 0
	v_mfma_f32_16x16x4f32 a[0:3], v20, v22, a[0:3]
	s_movk_i32 s4, 0xff
	v_and_b32_sdwa v21, v14, s4 dst_sel:DWORD dst_unused:UNUSED_PAD src0_sel:WORD_1 src1_sel:DWORD
	s_movk_i32 s4, 0x7f
	v_cmp_lt_i16_e32 vcc, s4, v21
	s_mov_b64 s[4:5], 0
                                        ; implicit-def: $sgpr10
	s_and_saveexec_b64 s[6:7], vcc
	s_xor_b64 s[6:7], exec, s[6:7]
	s_cbranch_execnz .LBB36_3089
; %bb.1041:
	s_or_saveexec_b64 s[6:7], s[6:7]
	v_mov_b32_e32 v20, s10
	s_xor_b64 exec, exec, s[6:7]
	s_cbranch_execnz .LBB36_3092
.LBB36_1042:
	s_or_b64 exec, exec, s[6:7]
	s_and_saveexec_b64 s[6:7], s[4:5]
	s_cbranch_execz .LBB36_1044
.LBB36_1043:
	v_bfe_u32 v20, v14, 16, 3
	v_ffbh_u32_e32 v23, v20
	v_min_u32_e32 v23, 32, v23
	v_lshrrev_b32_e32 v21, 19, v14
	v_subrev_u32_e32 v24, 28, v23
	v_and_b32_e32 v21, 15, v21
	v_lshlrev_b32_sdwa v24, v24, v14 dst_sel:DWORD dst_unused:UNUSED_PAD src0_sel:DWORD src1_sel:WORD_1
	v_bfe_u32 v22, v14, 19, 4
	v_sub_u32_e32 v23, 29, v23
	v_and_b32_e32 v24, 7, v24
	v_cmp_eq_u16_e32 vcc, 0, v21
	v_cndmask_b32_e32 v20, v20, v24, vcc
	v_cndmask_b32_e32 v21, v22, v23, vcc
	v_lshlrev_b32_e32 v22, 8, v14
	v_mov_b32_e32 v23, 0x3b800000
	v_lshlrev_b32_e32 v20, 20, v20
	v_and_b32_e32 v22, 0x80000000, v22
	v_lshl_add_u32 v21, v21, 23, v23
	v_or3_b32 v20, v22, v21, v20
.LBB36_1044:
	s_or_b64 exec, exec, s[6:7]
	s_movk_i32 s4, 0xff
	v_and_b32_sdwa v21, v10, s4 dst_sel:DWORD dst_unused:UNUSED_PAD src0_sel:WORD_1 src1_sel:DWORD
	s_movk_i32 s4, 0x7f
	v_cmp_lt_i16_e32 vcc, s4, v21
	s_mov_b64 s[4:5], 0
                                        ; implicit-def: $sgpr10
	s_and_saveexec_b64 s[6:7], vcc
	s_xor_b64 s[6:7], exec, s[6:7]
	s_cbranch_execnz .LBB36_3093
; %bb.1045:
	s_or_saveexec_b64 s[6:7], s[6:7]
	v_mov_b32_e32 v22, s10
	s_xor_b64 exec, exec, s[6:7]
	s_cbranch_execnz .LBB36_3096
.LBB36_1046:
	s_or_b64 exec, exec, s[6:7]
	s_and_saveexec_b64 s[6:7], s[4:5]
	s_cbranch_execz .LBB36_1048
.LBB36_1047:
	v_bfe_u32 v21, v10, 16, 3
	v_ffbh_u32_e32 v24, v21
	v_min_u32_e32 v24, 32, v24
	v_lshrrev_b32_e32 v22, 19, v10
	v_subrev_u32_e32 v25, 28, v24
	v_and_b32_e32 v22, 15, v22
	v_lshlrev_b32_sdwa v25, v25, v10 dst_sel:DWORD dst_unused:UNUSED_PAD src0_sel:DWORD src1_sel:WORD_1
	v_bfe_u32 v23, v10, 19, 4
	v_sub_u32_e32 v24, 29, v24
	v_and_b32_e32 v25, 7, v25
	v_cmp_eq_u16_e32 vcc, 0, v22
	v_cndmask_b32_e32 v21, v21, v25, vcc
	v_cndmask_b32_e32 v22, v23, v24, vcc
	v_lshlrev_b32_e32 v23, 8, v10
	v_mov_b32_e32 v24, 0x3b800000
	v_lshlrev_b32_e32 v21, 20, v21
	v_and_b32_e32 v23, 0x80000000, v23
	v_lshl_add_u32 v22, v22, 23, v24
	v_or3_b32 v22, v23, v22, v21
.LBB36_1048:
	s_or_b64 exec, exec, s[6:7]
	s_nop 0
	v_mfma_f32_16x16x4f32 a[0:3], v20, v22, a[0:3]
	s_movk_i32 s4, 0x7f
	v_cmp_gt_i16_sdwa s[6:7], v14, s4 src0_sel:BYTE_3 src1_sel:DWORD
	s_mov_b64 s[4:5], 0
                                        ; implicit-def: $sgpr10
	s_and_saveexec_b64 s[8:9], s[6:7]
	s_xor_b64 s[6:7], exec, s[8:9]
	s_cbranch_execnz .LBB36_3097
; %bb.1049:
	s_or_saveexec_b64 s[6:7], s[6:7]
	v_mov_b32_e32 v20, s10
	s_xor_b64 exec, exec, s[6:7]
	s_cbranch_execnz .LBB36_3100
.LBB36_1050:
	s_or_b64 exec, exec, s[6:7]
	s_and_saveexec_b64 s[6:7], s[4:5]
	s_cbranch_execz .LBB36_1052
.LBB36_1051:
	v_bfe_u32 v20, v14, 24, 3
	v_ffbh_u32_e32 v24, v20
	v_min_u32_e32 v24, 32, v24
	v_lshrrev_b32_e32 v22, 27, v14
	v_subrev_u32_e32 v25, 28, v24
	v_and_b32_e32 v21, 0x80000000, v14
	v_and_b32_e32 v22, 15, v22
	v_bfe_u32 v23, v14, 27, 4
	v_lshlrev_b32_sdwa v14, v25, v14 dst_sel:DWORD dst_unused:UNUSED_PAD src0_sel:DWORD src1_sel:BYTE_3
	v_sub_u32_e32 v24, 29, v24
	v_and_b32_e32 v14, 7, v14
	v_cmp_eq_u16_e32 vcc, 0, v22
	v_cndmask_b32_e32 v14, v20, v14, vcc
	v_cndmask_b32_e32 v20, v23, v24, vcc
	v_mov_b32_e32 v22, 0x3b800000
	v_lshlrev_b32_e32 v14, 20, v14
	v_lshl_add_u32 v20, v20, 23, v22
	v_or3_b32 v20, v21, v20, v14
.LBB36_1052:
	s_or_b64 exec, exec, s[6:7]
	s_movk_i32 s4, 0x7f
	v_cmp_gt_i16_sdwa s[6:7], v10, s4 src0_sel:BYTE_3 src1_sel:DWORD
	s_mov_b64 s[4:5], 0
                                        ; implicit-def: $sgpr10
	s_and_saveexec_b64 s[8:9], s[6:7]
	s_xor_b64 s[6:7], exec, s[8:9]
	s_cbranch_execnz .LBB36_3101
; %bb.1053:
	s_or_saveexec_b64 s[6:7], s[6:7]
	v_mov_b32_e32 v14, s10
	s_xor_b64 exec, exec, s[6:7]
	s_cbranch_execnz .LBB36_3104
.LBB36_1054:
	s_or_b64 exec, exec, s[6:7]
	s_and_saveexec_b64 s[6:7], s[4:5]
	s_cbranch_execz .LBB36_1056
.LBB36_1055:
	v_bfe_u32 v14, v10, 24, 3
	v_ffbh_u32_e32 v24, v14
	v_min_u32_e32 v24, 32, v24
	v_lshrrev_b32_e32 v22, 27, v10
	v_subrev_u32_e32 v25, 28, v24
	v_and_b32_e32 v21, 0x80000000, v10
	v_and_b32_e32 v22, 15, v22
	v_bfe_u32 v23, v10, 27, 4
	v_lshlrev_b32_sdwa v10, v25, v10 dst_sel:DWORD dst_unused:UNUSED_PAD src0_sel:DWORD src1_sel:BYTE_3
	v_sub_u32_e32 v24, 29, v24
	v_and_b32_e32 v10, 7, v10
	v_cmp_eq_u16_e32 vcc, 0, v22
	v_cndmask_b32_e32 v10, v14, v10, vcc
	v_cndmask_b32_e32 v14, v23, v24, vcc
	v_mov_b32_e32 v22, 0x3b800000
	v_lshlrev_b32_e32 v10, 20, v10
	v_lshl_add_u32 v14, v14, 23, v22
	v_or3_b32 v14, v21, v14, v10
.LBB36_1056:
	s_or_b64 exec, exec, s[6:7]
	s_nop 0
	v_mfma_f32_16x16x4f32 a[0:3], v20, v14, a[0:3]
	s_movk_i32 s4, 0x7f
	v_cmp_gt_i16_sdwa s[6:7], v15, s4 src0_sel:BYTE_0 src1_sel:DWORD
	s_mov_b64 s[4:5], 0
                                        ; implicit-def: $sgpr10
	s_and_saveexec_b64 s[8:9], s[6:7]
	s_xor_b64 s[6:7], exec, s[8:9]
	s_cbranch_execnz .LBB36_3105
; %bb.1057:
	s_or_saveexec_b64 s[6:7], s[6:7]
	v_mov_b32_e32 v10, s10
	s_xor_b64 exec, exec, s[6:7]
	s_cbranch_execnz .LBB36_3108
.LBB36_1058:
	s_or_b64 exec, exec, s[6:7]
	s_and_saveexec_b64 s[6:7], s[4:5]
	s_cbranch_execz .LBB36_1060
.LBB36_1059:
	v_and_b32_e32 v10, 7, v15
	v_ffbh_u32_e32 v20, v10
	v_min_u32_e32 v20, 32, v20
	v_lshrrev_b16_e32 v14, 3, v15
	v_subrev_u32_e32 v21, 28, v20
	v_and_b32_e32 v14, 15, v14
	v_lshlrev_b32_e32 v21, v21, v15
	v_sub_u32_e32 v20, 29, v20
	v_and_b32_e32 v21, 7, v21
	v_cmp_eq_u16_e32 vcc, 0, v14
	v_cndmask_b32_e32 v10, v10, v21, vcc
	v_cndmask_b32_e32 v14, v14, v20, vcc
	v_lshlrev_b32_e32 v20, 24, v15
	v_mov_b32_e32 v21, 0x3b800000
	v_lshlrev_b32_e32 v10, 20, v10
	v_and_b32_e32 v20, 0x80000000, v20
	v_lshl_add_u32 v14, v14, 23, v21
	v_or3_b32 v10, v20, v14, v10
.LBB36_1060:
	s_or_b64 exec, exec, s[6:7]
	s_movk_i32 s4, 0x7f
	v_cmp_gt_i16_sdwa s[6:7], v11, s4 src0_sel:BYTE_0 src1_sel:DWORD
	s_mov_b64 s[4:5], 0
                                        ; implicit-def: $sgpr10
	s_and_saveexec_b64 s[8:9], s[6:7]
	s_xor_b64 s[6:7], exec, s[8:9]
	s_cbranch_execnz .LBB36_3109
; %bb.1061:
	s_or_saveexec_b64 s[6:7], s[6:7]
	v_mov_b32_e32 v14, s10
	s_xor_b64 exec, exec, s[6:7]
	s_cbranch_execnz .LBB36_3112
.LBB36_1062:
	s_or_b64 exec, exec, s[6:7]
	s_and_saveexec_b64 s[6:7], s[4:5]
	s_cbranch_execz .LBB36_1064
.LBB36_1063:
	v_and_b32_e32 v14, 7, v11
	v_ffbh_u32_e32 v21, v14
	v_min_u32_e32 v21, 32, v21
	v_lshrrev_b16_e32 v20, 3, v11
	v_subrev_u32_e32 v22, 28, v21
	v_and_b32_e32 v20, 15, v20
	v_lshlrev_b32_e32 v22, v22, v11
	v_sub_u32_e32 v21, 29, v21
	v_and_b32_e32 v22, 7, v22
	v_cmp_eq_u16_e32 vcc, 0, v20
	v_cndmask_b32_e32 v14, v14, v22, vcc
	v_cndmask_b32_e32 v20, v20, v21, vcc
	v_lshlrev_b32_e32 v21, 24, v11
	v_mov_b32_e32 v22, 0x3b800000
	v_lshlrev_b32_e32 v14, 20, v14
	v_and_b32_e32 v21, 0x80000000, v21
	v_lshl_add_u32 v20, v20, 23, v22
	v_or3_b32 v14, v21, v20, v14
.LBB36_1064:
	s_or_b64 exec, exec, s[6:7]
	s_nop 0
	v_mfma_f32_16x16x4f32 a[0:3], v10, v14, a[0:3]
	v_lshrrev_b32_e32 v14, 8, v15
	s_movk_i32 s4, 0x7f
	v_cmp_gt_i16_sdwa s[6:7], v14, s4 src0_sel:BYTE_0 src1_sel:DWORD
	s_mov_b64 s[4:5], 0
                                        ; implicit-def: $sgpr10
	s_and_saveexec_b64 s[8:9], s[6:7]
	s_xor_b64 s[6:7], exec, s[8:9]
	s_cbranch_execnz .LBB36_3113
; %bb.1065:
	s_or_saveexec_b64 s[6:7], s[6:7]
	v_mov_b32_e32 v10, s10
	s_xor_b64 exec, exec, s[6:7]
	s_cbranch_execnz .LBB36_3116
.LBB36_1066:
	s_or_b64 exec, exec, s[6:7]
	s_and_saveexec_b64 s[6:7], s[4:5]
	s_cbranch_execz .LBB36_1068
.LBB36_1067:
	v_bfe_u32 v10, v15, 8, 3
	v_ffbh_u32_e32 v21, v10
	v_min_u32_e32 v21, 32, v21
	v_lshrrev_b16_e32 v20, 3, v14
	v_subrev_u32_e32 v22, 28, v21
	v_and_b32_e32 v20, 15, v20
	v_lshlrev_b32_e32 v14, v22, v14
	v_sub_u32_e32 v21, 29, v21
	v_and_b32_e32 v14, 7, v14
	v_cmp_eq_u16_e32 vcc, 0, v20
	v_cndmask_b32_e32 v10, v10, v14, vcc
	v_cndmask_b32_e32 v14, v20, v21, vcc
	v_lshlrev_b32_e32 v20, 16, v15
	v_mov_b32_e32 v21, 0x3b800000
	v_lshlrev_b32_e32 v10, 20, v10
	v_and_b32_e32 v20, 0x80000000, v20
	v_lshl_add_u32 v14, v14, 23, v21
	v_or3_b32 v10, v20, v14, v10
.LBB36_1068:
	s_or_b64 exec, exec, s[6:7]
	v_lshrrev_b32_e32 v14, 8, v11
	s_movk_i32 s4, 0x7f
	v_cmp_gt_i16_sdwa s[6:7], v14, s4 src0_sel:BYTE_0 src1_sel:DWORD
	s_mov_b64 s[4:5], 0
                                        ; implicit-def: $sgpr10
	s_and_saveexec_b64 s[8:9], s[6:7]
	s_xor_b64 s[6:7], exec, s[8:9]
	s_cbranch_execnz .LBB36_3117
; %bb.1069:
	s_or_saveexec_b64 s[6:7], s[6:7]
	v_mov_b32_e32 v20, s10
	s_xor_b64 exec, exec, s[6:7]
	s_cbranch_execnz .LBB36_3120
.LBB36_1070:
	s_or_b64 exec, exec, s[6:7]
	s_and_saveexec_b64 s[6:7], s[4:5]
	s_cbranch_execz .LBB36_1072
.LBB36_1071:
	v_bfe_u32 v20, v11, 8, 3
	v_ffbh_u32_e32 v22, v20
	v_min_u32_e32 v22, 32, v22
	v_lshrrev_b16_e32 v21, 3, v14
	v_subrev_u32_e32 v23, 28, v22
	v_and_b32_e32 v21, 15, v21
	v_lshlrev_b32_e32 v14, v23, v14
	v_sub_u32_e32 v22, 29, v22
	v_and_b32_e32 v14, 7, v14
	v_cmp_eq_u16_e32 vcc, 0, v21
	v_cndmask_b32_e32 v14, v20, v14, vcc
	v_cndmask_b32_e32 v20, v21, v22, vcc
	v_lshlrev_b32_e32 v21, 16, v11
	v_mov_b32_e32 v22, 0x3b800000
	v_lshlrev_b32_e32 v14, 20, v14
	v_and_b32_e32 v21, 0x80000000, v21
	v_lshl_add_u32 v20, v20, 23, v22
	v_or3_b32 v20, v21, v20, v14
.LBB36_1072:
	s_or_b64 exec, exec, s[6:7]
	s_nop 0
	v_mfma_f32_16x16x4f32 a[0:3], v10, v20, a[0:3]
	s_movk_i32 s4, 0xff
	v_and_b32_sdwa v14, v15, s4 dst_sel:DWORD dst_unused:UNUSED_PAD src0_sel:WORD_1 src1_sel:DWORD
	s_movk_i32 s4, 0x7f
	v_cmp_lt_i16_e32 vcc, s4, v14
	s_mov_b64 s[4:5], 0
                                        ; implicit-def: $sgpr10
	s_and_saveexec_b64 s[6:7], vcc
	s_xor_b64 s[6:7], exec, s[6:7]
	s_cbranch_execnz .LBB36_3121
; %bb.1073:
	s_or_saveexec_b64 s[6:7], s[6:7]
	v_mov_b32_e32 v10, s10
	s_xor_b64 exec, exec, s[6:7]
	s_cbranch_execnz .LBB36_3124
.LBB36_1074:
	s_or_b64 exec, exec, s[6:7]
	s_and_saveexec_b64 s[6:7], s[4:5]
	s_cbranch_execz .LBB36_1076
.LBB36_1075:
	v_bfe_u32 v10, v15, 16, 3
	v_ffbh_u32_e32 v21, v10
	v_min_u32_e32 v21, 32, v21
	v_lshrrev_b32_e32 v14, 19, v15
	v_subrev_u32_e32 v22, 28, v21
	v_and_b32_e32 v14, 15, v14
	v_lshlrev_b32_sdwa v22, v22, v15 dst_sel:DWORD dst_unused:UNUSED_PAD src0_sel:DWORD src1_sel:WORD_1
	v_bfe_u32 v20, v15, 19, 4
	v_sub_u32_e32 v21, 29, v21
	v_and_b32_e32 v22, 7, v22
	v_cmp_eq_u16_e32 vcc, 0, v14
	v_cndmask_b32_e32 v10, v10, v22, vcc
	v_cndmask_b32_e32 v14, v20, v21, vcc
	v_lshlrev_b32_e32 v20, 8, v15
	v_mov_b32_e32 v21, 0x3b800000
	v_lshlrev_b32_e32 v10, 20, v10
	v_and_b32_e32 v20, 0x80000000, v20
	v_lshl_add_u32 v14, v14, 23, v21
	v_or3_b32 v10, v20, v14, v10
.LBB36_1076:
	s_or_b64 exec, exec, s[6:7]
	s_movk_i32 s4, 0xff
	v_and_b32_sdwa v14, v11, s4 dst_sel:DWORD dst_unused:UNUSED_PAD src0_sel:WORD_1 src1_sel:DWORD
	s_movk_i32 s4, 0x7f
	v_cmp_lt_i16_e32 vcc, s4, v14
	s_mov_b64 s[4:5], 0
                                        ; implicit-def: $sgpr10
	s_and_saveexec_b64 s[6:7], vcc
	s_xor_b64 s[6:7], exec, s[6:7]
	s_cbranch_execnz .LBB36_3125
; %bb.1077:
	s_or_saveexec_b64 s[6:7], s[6:7]
	v_mov_b32_e32 v20, s10
	s_xor_b64 exec, exec, s[6:7]
	s_cbranch_execnz .LBB36_3128
.LBB36_1078:
	s_or_b64 exec, exec, s[6:7]
	s_and_saveexec_b64 s[6:7], s[4:5]
	s_cbranch_execz .LBB36_1080
.LBB36_1079:
	v_bfe_u32 v14, v11, 16, 3
	v_ffbh_u32_e32 v22, v14
	v_min_u32_e32 v22, 32, v22
	v_lshrrev_b32_e32 v20, 19, v11
	v_subrev_u32_e32 v23, 28, v22
	v_and_b32_e32 v20, 15, v20
	v_lshlrev_b32_sdwa v23, v23, v11 dst_sel:DWORD dst_unused:UNUSED_PAD src0_sel:DWORD src1_sel:WORD_1
	v_bfe_u32 v21, v11, 19, 4
	v_sub_u32_e32 v22, 29, v22
	v_and_b32_e32 v23, 7, v23
	v_cmp_eq_u16_e32 vcc, 0, v20
	v_cndmask_b32_e32 v14, v14, v23, vcc
	v_cndmask_b32_e32 v20, v21, v22, vcc
	v_lshlrev_b32_e32 v21, 8, v11
	v_mov_b32_e32 v22, 0x3b800000
	v_lshlrev_b32_e32 v14, 20, v14
	v_and_b32_e32 v21, 0x80000000, v21
	v_lshl_add_u32 v20, v20, 23, v22
	v_or3_b32 v20, v21, v20, v14
.LBB36_1080:
	s_or_b64 exec, exec, s[6:7]
	s_nop 0
	v_mfma_f32_16x16x4f32 a[0:3], v10, v20, a[0:3]
	s_movk_i32 s4, 0x7f
	v_cmp_gt_i16_sdwa s[6:7], v15, s4 src0_sel:BYTE_3 src1_sel:DWORD
	s_mov_b64 s[4:5], 0
                                        ; implicit-def: $sgpr10
	s_and_saveexec_b64 s[8:9], s[6:7]
	s_xor_b64 s[6:7], exec, s[8:9]
	s_cbranch_execnz .LBB36_3129
; %bb.1081:
	s_or_saveexec_b64 s[6:7], s[6:7]
	v_mov_b32_e32 v10, s10
	s_xor_b64 exec, exec, s[6:7]
	s_cbranch_execnz .LBB36_3132
.LBB36_1082:
	s_or_b64 exec, exec, s[6:7]
	s_and_saveexec_b64 s[6:7], s[4:5]
	s_cbranch_execz .LBB36_1084
.LBB36_1083:
	v_bfe_u32 v10, v15, 24, 3
	v_ffbh_u32_e32 v22, v10
	v_min_u32_e32 v22, 32, v22
	v_lshrrev_b32_e32 v20, 27, v15
	v_subrev_u32_e32 v23, 28, v22
	v_and_b32_e32 v14, 0x80000000, v15
	v_and_b32_e32 v20, 15, v20
	v_bfe_u32 v21, v15, 27, 4
	v_lshlrev_b32_sdwa v15, v23, v15 dst_sel:DWORD dst_unused:UNUSED_PAD src0_sel:DWORD src1_sel:BYTE_3
	v_sub_u32_e32 v22, 29, v22
	v_and_b32_e32 v15, 7, v15
	v_cmp_eq_u16_e32 vcc, 0, v20
	v_cndmask_b32_e32 v10, v10, v15, vcc
	v_cndmask_b32_e32 v15, v21, v22, vcc
	v_mov_b32_e32 v20, 0x3b800000
	v_lshlrev_b32_e32 v10, 20, v10
	v_lshl_add_u32 v15, v15, 23, v20
	v_or3_b32 v10, v14, v15, v10
.LBB36_1084:
	s_or_b64 exec, exec, s[6:7]
	s_movk_i32 s4, 0x7f
	v_cmp_gt_i16_sdwa s[6:7], v11, s4 src0_sel:BYTE_3 src1_sel:DWORD
	s_mov_b64 s[4:5], 0
                                        ; implicit-def: $sgpr10
	s_and_saveexec_b64 s[8:9], s[6:7]
	s_xor_b64 s[6:7], exec, s[8:9]
	s_cbranch_execnz .LBB36_3133
; %bb.1085:
	s_or_saveexec_b64 s[6:7], s[6:7]
	v_mov_b32_e32 v14, s10
	s_xor_b64 exec, exec, s[6:7]
	s_cbranch_execnz .LBB36_3136
.LBB36_1086:
	s_or_b64 exec, exec, s[6:7]
	s_and_saveexec_b64 s[6:7], s[4:5]
	s_cbranch_execz .LBB36_1088
.LBB36_1087:
	v_bfe_u32 v14, v11, 24, 3
	v_ffbh_u32_e32 v22, v14
	v_min_u32_e32 v22, 32, v22
	v_lshrrev_b32_e32 v20, 27, v11
	v_subrev_u32_e32 v23, 28, v22
	v_and_b32_e32 v15, 0x80000000, v11
	v_and_b32_e32 v20, 15, v20
	v_bfe_u32 v21, v11, 27, 4
	v_lshlrev_b32_sdwa v11, v23, v11 dst_sel:DWORD dst_unused:UNUSED_PAD src0_sel:DWORD src1_sel:BYTE_3
	v_sub_u32_e32 v22, 29, v22
	v_and_b32_e32 v11, 7, v11
	v_cmp_eq_u16_e32 vcc, 0, v20
	v_cndmask_b32_e32 v11, v14, v11, vcc
	v_cndmask_b32_e32 v14, v21, v22, vcc
	v_mov_b32_e32 v20, 0x3b800000
	v_lshlrev_b32_e32 v11, 20, v11
	v_lshl_add_u32 v14, v14, 23, v20
	v_or3_b32 v14, v15, v14, v11
.LBB36_1088:
	s_or_b64 exec, exec, s[6:7]
	s_nop 0
	v_mfma_f32_16x16x4f32 a[0:3], v10, v14, a[0:3]
	s_movk_i32 s4, 0x7f
	v_cmp_gt_i16_sdwa s[6:7], v16, s4 src0_sel:BYTE_0 src1_sel:DWORD
	s_mov_b64 s[4:5], 0
                                        ; implicit-def: $sgpr10
	s_and_saveexec_b64 s[8:9], s[6:7]
	s_xor_b64 s[6:7], exec, s[8:9]
	s_cbranch_execnz .LBB36_3137
; %bb.1089:
	s_or_saveexec_b64 s[6:7], s[6:7]
	v_mov_b32_e32 v10, s10
	s_xor_b64 exec, exec, s[6:7]
	s_cbranch_execnz .LBB36_3140
.LBB36_1090:
	s_or_b64 exec, exec, s[6:7]
	s_and_saveexec_b64 s[6:7], s[4:5]
	s_cbranch_execz .LBB36_1092
.LBB36_1091:
	v_and_b32_e32 v10, 7, v16
	v_ffbh_u32_e32 v14, v10
	v_min_u32_e32 v14, 32, v14
	v_lshrrev_b16_e32 v11, 3, v16
	v_subrev_u32_e32 v15, 28, v14
	v_and_b32_e32 v11, 15, v11
	v_lshlrev_b32_e32 v15, v15, v16
	v_sub_u32_e32 v14, 29, v14
	v_and_b32_e32 v15, 7, v15
	v_cmp_eq_u16_e32 vcc, 0, v11
	v_cndmask_b32_e32 v10, v10, v15, vcc
	v_cndmask_b32_e32 v11, v11, v14, vcc
	v_lshlrev_b32_e32 v14, 24, v16
	v_mov_b32_e32 v15, 0x3b800000
	v_lshlrev_b32_e32 v10, 20, v10
	v_and_b32_e32 v14, 0x80000000, v14
	v_lshl_add_u32 v11, v11, 23, v15
	v_or3_b32 v10, v14, v11, v10
.LBB36_1092:
	s_or_b64 exec, exec, s[6:7]
	s_movk_i32 s4, 0x7f
	v_cmp_gt_i16_sdwa s[6:7], v12, s4 src0_sel:BYTE_0 src1_sel:DWORD
	s_mov_b64 s[4:5], 0
                                        ; implicit-def: $sgpr10
	s_and_saveexec_b64 s[8:9], s[6:7]
	s_xor_b64 s[6:7], exec, s[8:9]
	s_cbranch_execnz .LBB36_3141
; %bb.1093:
	s_or_saveexec_b64 s[6:7], s[6:7]
	v_mov_b32_e32 v11, s10
	s_xor_b64 exec, exec, s[6:7]
	s_cbranch_execnz .LBB36_3144
.LBB36_1094:
	s_or_b64 exec, exec, s[6:7]
	s_and_saveexec_b64 s[6:7], s[4:5]
	s_cbranch_execz .LBB36_1096
.LBB36_1095:
	v_and_b32_e32 v11, 7, v12
	v_ffbh_u32_e32 v15, v11
	v_min_u32_e32 v15, 32, v15
	v_lshrrev_b16_e32 v14, 3, v12
	v_subrev_u32_e32 v20, 28, v15
	v_and_b32_e32 v14, 15, v14
	v_lshlrev_b32_e32 v20, v20, v12
	v_sub_u32_e32 v15, 29, v15
	v_and_b32_e32 v20, 7, v20
	v_cmp_eq_u16_e32 vcc, 0, v14
	v_cndmask_b32_e32 v11, v11, v20, vcc
	v_cndmask_b32_e32 v14, v14, v15, vcc
	v_lshlrev_b32_e32 v15, 24, v12
	v_mov_b32_e32 v20, 0x3b800000
	v_lshlrev_b32_e32 v11, 20, v11
	v_and_b32_e32 v15, 0x80000000, v15
	v_lshl_add_u32 v14, v14, 23, v20
	v_or3_b32 v11, v15, v14, v11
.LBB36_1096:
	s_or_b64 exec, exec, s[6:7]
	s_nop 0
	v_mfma_f32_16x16x4f32 a[0:3], v10, v11, a[0:3]
	v_lshrrev_b32_e32 v11, 8, v16
	s_movk_i32 s4, 0x7f
	v_cmp_gt_i16_sdwa s[6:7], v11, s4 src0_sel:BYTE_0 src1_sel:DWORD
	s_mov_b64 s[4:5], 0
                                        ; implicit-def: $sgpr10
	s_and_saveexec_b64 s[8:9], s[6:7]
	s_xor_b64 s[6:7], exec, s[8:9]
	s_cbranch_execnz .LBB36_3145
; %bb.1097:
	s_or_saveexec_b64 s[6:7], s[6:7]
	v_mov_b32_e32 v10, s10
	s_xor_b64 exec, exec, s[6:7]
	s_cbranch_execnz .LBB36_3148
.LBB36_1098:
	s_or_b64 exec, exec, s[6:7]
	s_and_saveexec_b64 s[6:7], s[4:5]
	s_cbranch_execz .LBB36_1100
.LBB36_1099:
	v_bfe_u32 v10, v16, 8, 3
	v_ffbh_u32_e32 v15, v10
	v_min_u32_e32 v15, 32, v15
	v_lshrrev_b16_e32 v14, 3, v11
	v_subrev_u32_e32 v20, 28, v15
	v_and_b32_e32 v14, 15, v14
	v_lshlrev_b32_e32 v11, v20, v11
	v_sub_u32_e32 v15, 29, v15
	v_and_b32_e32 v11, 7, v11
	v_cmp_eq_u16_e32 vcc, 0, v14
	v_cndmask_b32_e32 v10, v10, v11, vcc
	v_cndmask_b32_e32 v11, v14, v15, vcc
	v_lshlrev_b32_e32 v14, 16, v16
	v_mov_b32_e32 v15, 0x3b800000
	v_lshlrev_b32_e32 v10, 20, v10
	v_and_b32_e32 v14, 0x80000000, v14
	v_lshl_add_u32 v11, v11, 23, v15
	v_or3_b32 v10, v14, v11, v10
.LBB36_1100:
	s_or_b64 exec, exec, s[6:7]
	v_lshrrev_b32_e32 v11, 8, v12
	s_movk_i32 s4, 0x7f
	v_cmp_gt_i16_sdwa s[6:7], v11, s4 src0_sel:BYTE_0 src1_sel:DWORD
	s_mov_b64 s[4:5], 0
                                        ; implicit-def: $sgpr10
	s_and_saveexec_b64 s[8:9], s[6:7]
	s_xor_b64 s[6:7], exec, s[8:9]
	s_cbranch_execnz .LBB36_3149
; %bb.1101:
	s_or_saveexec_b64 s[6:7], s[6:7]
	v_mov_b32_e32 v14, s10
	s_xor_b64 exec, exec, s[6:7]
	s_cbranch_execnz .LBB36_3152
.LBB36_1102:
	s_or_b64 exec, exec, s[6:7]
	s_and_saveexec_b64 s[6:7], s[4:5]
	s_cbranch_execz .LBB36_1104
.LBB36_1103:
	v_bfe_u32 v14, v12, 8, 3
	v_ffbh_u32_e32 v20, v14
	v_min_u32_e32 v20, 32, v20
	v_lshrrev_b16_e32 v15, 3, v11
	v_subrev_u32_e32 v21, 28, v20
	v_and_b32_e32 v15, 15, v15
	v_lshlrev_b32_e32 v11, v21, v11
	v_sub_u32_e32 v20, 29, v20
	v_and_b32_e32 v11, 7, v11
	v_cmp_eq_u16_e32 vcc, 0, v15
	v_cndmask_b32_e32 v11, v14, v11, vcc
	v_cndmask_b32_e32 v14, v15, v20, vcc
	v_lshlrev_b32_e32 v15, 16, v12
	v_mov_b32_e32 v20, 0x3b800000
	v_lshlrev_b32_e32 v11, 20, v11
	v_and_b32_e32 v15, 0x80000000, v15
	v_lshl_add_u32 v14, v14, 23, v20
	v_or3_b32 v14, v15, v14, v11
.LBB36_1104:
	s_or_b64 exec, exec, s[6:7]
	s_nop 0
	v_mfma_f32_16x16x4f32 a[0:3], v10, v14, a[0:3]
	s_movk_i32 s4, 0xff
	v_and_b32_sdwa v11, v16, s4 dst_sel:DWORD dst_unused:UNUSED_PAD src0_sel:WORD_1 src1_sel:DWORD
	s_movk_i32 s4, 0x7f
	v_cmp_lt_i16_e32 vcc, s4, v11
	s_mov_b64 s[4:5], 0
                                        ; implicit-def: $sgpr10
	s_and_saveexec_b64 s[6:7], vcc
	s_xor_b64 s[6:7], exec, s[6:7]
	s_cbranch_execnz .LBB36_3153
; %bb.1105:
	s_or_saveexec_b64 s[6:7], s[6:7]
	v_mov_b32_e32 v10, s10
	s_xor_b64 exec, exec, s[6:7]
	s_cbranch_execnz .LBB36_3156
.LBB36_1106:
	s_or_b64 exec, exec, s[6:7]
	s_and_saveexec_b64 s[6:7], s[4:5]
	s_cbranch_execz .LBB36_1108
.LBB36_1107:
	v_bfe_u32 v10, v16, 16, 3
	v_ffbh_u32_e32 v15, v10
	v_min_u32_e32 v15, 32, v15
	v_lshrrev_b32_e32 v11, 19, v16
	v_subrev_u32_e32 v20, 28, v15
	v_and_b32_e32 v11, 15, v11
	v_lshlrev_b32_sdwa v20, v20, v16 dst_sel:DWORD dst_unused:UNUSED_PAD src0_sel:DWORD src1_sel:WORD_1
	v_bfe_u32 v14, v16, 19, 4
	v_sub_u32_e32 v15, 29, v15
	v_and_b32_e32 v20, 7, v20
	v_cmp_eq_u16_e32 vcc, 0, v11
	v_cndmask_b32_e32 v10, v10, v20, vcc
	v_cndmask_b32_e32 v11, v14, v15, vcc
	v_lshlrev_b32_e32 v14, 8, v16
	v_mov_b32_e32 v15, 0x3b800000
	v_lshlrev_b32_e32 v10, 20, v10
	v_and_b32_e32 v14, 0x80000000, v14
	v_lshl_add_u32 v11, v11, 23, v15
	v_or3_b32 v10, v14, v11, v10
.LBB36_1108:
	s_or_b64 exec, exec, s[6:7]
	s_movk_i32 s4, 0xff
	v_and_b32_sdwa v11, v12, s4 dst_sel:DWORD dst_unused:UNUSED_PAD src0_sel:WORD_1 src1_sel:DWORD
	s_movk_i32 s4, 0x7f
	v_cmp_lt_i16_e32 vcc, s4, v11
	s_mov_b64 s[4:5], 0
                                        ; implicit-def: $sgpr10
	s_and_saveexec_b64 s[6:7], vcc
	s_xor_b64 s[6:7], exec, s[6:7]
	s_cbranch_execnz .LBB36_3157
; %bb.1109:
	s_or_saveexec_b64 s[6:7], s[6:7]
	v_mov_b32_e32 v14, s10
	s_xor_b64 exec, exec, s[6:7]
	s_cbranch_execnz .LBB36_3160
.LBB36_1110:
	s_or_b64 exec, exec, s[6:7]
	s_and_saveexec_b64 s[6:7], s[4:5]
	s_cbranch_execz .LBB36_1112
.LBB36_1111:
	v_bfe_u32 v11, v12, 16, 3
	v_ffbh_u32_e32 v20, v11
	v_min_u32_e32 v20, 32, v20
	v_lshrrev_b32_e32 v14, 19, v12
	v_subrev_u32_e32 v21, 28, v20
	v_and_b32_e32 v14, 15, v14
	v_lshlrev_b32_sdwa v21, v21, v12 dst_sel:DWORD dst_unused:UNUSED_PAD src0_sel:DWORD src1_sel:WORD_1
	v_bfe_u32 v15, v12, 19, 4
	v_sub_u32_e32 v20, 29, v20
	v_and_b32_e32 v21, 7, v21
	v_cmp_eq_u16_e32 vcc, 0, v14
	v_cndmask_b32_e32 v11, v11, v21, vcc
	v_cndmask_b32_e32 v14, v15, v20, vcc
	v_lshlrev_b32_e32 v15, 8, v12
	v_mov_b32_e32 v20, 0x3b800000
	v_lshlrev_b32_e32 v11, 20, v11
	v_and_b32_e32 v15, 0x80000000, v15
	v_lshl_add_u32 v14, v14, 23, v20
	v_or3_b32 v14, v15, v14, v11
.LBB36_1112:
	s_or_b64 exec, exec, s[6:7]
	s_nop 0
	v_mfma_f32_16x16x4f32 a[0:3], v10, v14, a[0:3]
	s_movk_i32 s4, 0x7f
	v_cmp_gt_i16_sdwa s[6:7], v16, s4 src0_sel:BYTE_3 src1_sel:DWORD
	s_mov_b64 s[4:5], 0
                                        ; implicit-def: $sgpr10
	s_and_saveexec_b64 s[8:9], s[6:7]
	s_xor_b64 s[6:7], exec, s[8:9]
	s_cbranch_execnz .LBB36_3161
; %bb.1113:
	s_or_saveexec_b64 s[6:7], s[6:7]
	v_mov_b32_e32 v10, s10
	s_xor_b64 exec, exec, s[6:7]
	s_cbranch_execnz .LBB36_3164
.LBB36_1114:
	s_or_b64 exec, exec, s[6:7]
	s_and_saveexec_b64 s[6:7], s[4:5]
	s_cbranch_execz .LBB36_1116
.LBB36_1115:
	v_bfe_u32 v10, v16, 24, 3
	v_ffbh_u32_e32 v20, v10
	v_min_u32_e32 v20, 32, v20
	v_lshrrev_b32_e32 v14, 27, v16
	v_subrev_u32_e32 v21, 28, v20
	v_and_b32_e32 v11, 0x80000000, v16
	v_and_b32_e32 v14, 15, v14
	v_bfe_u32 v15, v16, 27, 4
	v_lshlrev_b32_sdwa v16, v21, v16 dst_sel:DWORD dst_unused:UNUSED_PAD src0_sel:DWORD src1_sel:BYTE_3
	v_sub_u32_e32 v20, 29, v20
	v_and_b32_e32 v16, 7, v16
	v_cmp_eq_u16_e32 vcc, 0, v14
	v_cndmask_b32_e32 v10, v10, v16, vcc
	v_cndmask_b32_e32 v14, v15, v20, vcc
	v_mov_b32_e32 v15, 0x3b800000
	v_lshlrev_b32_e32 v10, 20, v10
	v_lshl_add_u32 v14, v14, 23, v15
	v_or3_b32 v10, v11, v14, v10
.LBB36_1116:
	s_or_b64 exec, exec, s[6:7]
	s_movk_i32 s4, 0x7f
	v_cmp_gt_i16_sdwa s[6:7], v12, s4 src0_sel:BYTE_3 src1_sel:DWORD
	s_mov_b64 s[4:5], 0
                                        ; implicit-def: $sgpr10
	s_and_saveexec_b64 s[8:9], s[6:7]
	s_xor_b64 s[6:7], exec, s[8:9]
	s_cbranch_execnz .LBB36_3165
; %bb.1117:
	s_or_saveexec_b64 s[6:7], s[6:7]
	v_mov_b32_e32 v11, s10
	s_xor_b64 exec, exec, s[6:7]
	s_cbranch_execnz .LBB36_3168
.LBB36_1118:
	s_or_b64 exec, exec, s[6:7]
	s_and_saveexec_b64 s[6:7], s[4:5]
	s_cbranch_execz .LBB36_1120
.LBB36_1119:
	v_bfe_u32 v11, v12, 24, 3
	v_ffbh_u32_e32 v20, v11
	v_min_u32_e32 v20, 32, v20
	v_lshrrev_b32_e32 v15, 27, v12
	v_subrev_u32_e32 v21, 28, v20
	v_and_b32_e32 v14, 0x80000000, v12
	v_and_b32_e32 v15, 15, v15
	v_bfe_u32 v16, v12, 27, 4
	v_lshlrev_b32_sdwa v12, v21, v12 dst_sel:DWORD dst_unused:UNUSED_PAD src0_sel:DWORD src1_sel:BYTE_3
	v_sub_u32_e32 v20, 29, v20
	v_and_b32_e32 v12, 7, v12
	v_cmp_eq_u16_e32 vcc, 0, v15
	v_cndmask_b32_e32 v11, v11, v12, vcc
	v_cndmask_b32_e32 v12, v16, v20, vcc
	v_mov_b32_e32 v15, 0x3b800000
	v_lshlrev_b32_e32 v11, 20, v11
	v_lshl_add_u32 v12, v12, 23, v15
	v_or3_b32 v11, v14, v12, v11
.LBB36_1120:
	s_or_b64 exec, exec, s[6:7]
	s_nop 0
	v_mfma_f32_16x16x4f32 a[0:3], v10, v11, a[0:3]
	s_movk_i32 s4, 0x7f
	v_cmp_gt_i16_sdwa s[6:7], v17, s4 src0_sel:BYTE_0 src1_sel:DWORD
	s_mov_b64 s[4:5], 0
                                        ; implicit-def: $sgpr10
	s_and_saveexec_b64 s[8:9], s[6:7]
	s_xor_b64 s[6:7], exec, s[8:9]
	s_cbranch_execnz .LBB36_3169
; %bb.1121:
	s_or_saveexec_b64 s[6:7], s[6:7]
	v_mov_b32_e32 v10, s10
	s_xor_b64 exec, exec, s[6:7]
	s_cbranch_execnz .LBB36_3172
.LBB36_1122:
	s_or_b64 exec, exec, s[6:7]
	s_and_saveexec_b64 s[6:7], s[4:5]
	s_cbranch_execz .LBB36_1124
.LBB36_1123:
	v_and_b32_e32 v10, 7, v17
	v_ffbh_u32_e32 v12, v10
	v_min_u32_e32 v12, 32, v12
	v_lshrrev_b16_e32 v11, 3, v17
	v_subrev_u32_e32 v14, 28, v12
	v_and_b32_e32 v11, 15, v11
	v_lshlrev_b32_e32 v14, v14, v17
	v_sub_u32_e32 v12, 29, v12
	v_and_b32_e32 v14, 7, v14
	v_cmp_eq_u16_e32 vcc, 0, v11
	v_cndmask_b32_e32 v10, v10, v14, vcc
	v_cndmask_b32_e32 v11, v11, v12, vcc
	v_lshlrev_b32_e32 v12, 24, v17
	v_mov_b32_e32 v14, 0x3b800000
	v_lshlrev_b32_e32 v10, 20, v10
	v_and_b32_e32 v12, 0x80000000, v12
	v_lshl_add_u32 v11, v11, 23, v14
	v_or3_b32 v10, v12, v11, v10
.LBB36_1124:
	s_or_b64 exec, exec, s[6:7]
	s_movk_i32 s4, 0x7f
	v_cmp_gt_i16_sdwa s[6:7], v13, s4 src0_sel:BYTE_0 src1_sel:DWORD
	s_mov_b64 s[4:5], 0
                                        ; implicit-def: $sgpr10
	s_and_saveexec_b64 s[8:9], s[6:7]
	s_xor_b64 s[6:7], exec, s[8:9]
	s_cbranch_execnz .LBB36_3173
; %bb.1125:
	s_or_saveexec_b64 s[6:7], s[6:7]
	v_mov_b32_e32 v11, s10
	s_xor_b64 exec, exec, s[6:7]
	s_cbranch_execnz .LBB36_3176
.LBB36_1126:
	s_or_b64 exec, exec, s[6:7]
	s_and_saveexec_b64 s[6:7], s[4:5]
	s_cbranch_execz .LBB36_1128
.LBB36_1127:
	v_and_b32_e32 v11, 7, v13
	v_ffbh_u32_e32 v14, v11
	v_min_u32_e32 v14, 32, v14
	v_lshrrev_b16_e32 v12, 3, v13
	v_subrev_u32_e32 v15, 28, v14
	v_and_b32_e32 v12, 15, v12
	v_lshlrev_b32_e32 v15, v15, v13
	v_sub_u32_e32 v14, 29, v14
	v_and_b32_e32 v15, 7, v15
	v_cmp_eq_u16_e32 vcc, 0, v12
	v_cndmask_b32_e32 v11, v11, v15, vcc
	v_cndmask_b32_e32 v12, v12, v14, vcc
	v_lshlrev_b32_e32 v14, 24, v13
	v_mov_b32_e32 v15, 0x3b800000
	v_lshlrev_b32_e32 v11, 20, v11
	v_and_b32_e32 v14, 0x80000000, v14
	v_lshl_add_u32 v12, v12, 23, v15
	v_or3_b32 v11, v14, v12, v11
.LBB36_1128:
	s_or_b64 exec, exec, s[6:7]
	s_nop 0
	v_mfma_f32_16x16x4f32 a[0:3], v10, v11, a[0:3]
	v_lshrrev_b32_e32 v11, 8, v17
	s_movk_i32 s4, 0x7f
	v_cmp_gt_i16_sdwa s[6:7], v11, s4 src0_sel:BYTE_0 src1_sel:DWORD
	s_mov_b64 s[4:5], 0
                                        ; implicit-def: $sgpr10
	s_and_saveexec_b64 s[8:9], s[6:7]
	s_xor_b64 s[6:7], exec, s[8:9]
	s_cbranch_execnz .LBB36_3177
; %bb.1129:
	s_or_saveexec_b64 s[6:7], s[6:7]
	v_mov_b32_e32 v10, s10
	s_xor_b64 exec, exec, s[6:7]
	s_cbranch_execnz .LBB36_3180
.LBB36_1130:
	s_or_b64 exec, exec, s[6:7]
	s_and_saveexec_b64 s[6:7], s[4:5]
	s_cbranch_execz .LBB36_1132
.LBB36_1131:
	v_bfe_u32 v10, v17, 8, 3
	v_ffbh_u32_e32 v14, v10
	v_min_u32_e32 v14, 32, v14
	v_lshrrev_b16_e32 v12, 3, v11
	v_subrev_u32_e32 v15, 28, v14
	v_and_b32_e32 v12, 15, v12
	v_lshlrev_b32_e32 v11, v15, v11
	v_sub_u32_e32 v14, 29, v14
	v_and_b32_e32 v11, 7, v11
	v_cmp_eq_u16_e32 vcc, 0, v12
	v_cndmask_b32_e32 v10, v10, v11, vcc
	v_cndmask_b32_e32 v11, v12, v14, vcc
	v_lshlrev_b32_e32 v12, 16, v17
	v_mov_b32_e32 v14, 0x3b800000
	v_lshlrev_b32_e32 v10, 20, v10
	v_and_b32_e32 v12, 0x80000000, v12
	v_lshl_add_u32 v11, v11, 23, v14
	v_or3_b32 v10, v12, v11, v10
.LBB36_1132:
	s_or_b64 exec, exec, s[6:7]
	v_lshrrev_b32_e32 v11, 8, v13
	s_movk_i32 s4, 0x7f
	v_cmp_gt_i16_sdwa s[6:7], v11, s4 src0_sel:BYTE_0 src1_sel:DWORD
	s_mov_b64 s[4:5], 0
                                        ; implicit-def: $sgpr10
	s_and_saveexec_b64 s[8:9], s[6:7]
	s_xor_b64 s[6:7], exec, s[8:9]
	s_cbranch_execnz .LBB36_3181
; %bb.1133:
	s_or_saveexec_b64 s[6:7], s[6:7]
	v_mov_b32_e32 v12, s10
	s_xor_b64 exec, exec, s[6:7]
	s_cbranch_execnz .LBB36_3184
.LBB36_1134:
	s_or_b64 exec, exec, s[6:7]
	s_and_saveexec_b64 s[6:7], s[4:5]
	s_cbranch_execz .LBB36_1136
.LBB36_1135:
	v_bfe_u32 v12, v13, 8, 3
	v_ffbh_u32_e32 v15, v12
	v_min_u32_e32 v15, 32, v15
	v_lshrrev_b16_e32 v14, 3, v11
	v_subrev_u32_e32 v16, 28, v15
	v_and_b32_e32 v14, 15, v14
	v_lshlrev_b32_e32 v11, v16, v11
	v_sub_u32_e32 v15, 29, v15
	v_and_b32_e32 v11, 7, v11
	v_cmp_eq_u16_e32 vcc, 0, v14
	v_cndmask_b32_e32 v11, v12, v11, vcc
	v_cndmask_b32_e32 v12, v14, v15, vcc
	v_lshlrev_b32_e32 v14, 16, v13
	v_mov_b32_e32 v15, 0x3b800000
	v_lshlrev_b32_e32 v11, 20, v11
	v_and_b32_e32 v14, 0x80000000, v14
	v_lshl_add_u32 v12, v12, 23, v15
	v_or3_b32 v12, v14, v12, v11
.LBB36_1136:
	s_or_b64 exec, exec, s[6:7]
	s_nop 0
	v_mfma_f32_16x16x4f32 a[0:3], v10, v12, a[0:3]
	s_movk_i32 s4, 0xff
	v_and_b32_sdwa v11, v17, s4 dst_sel:DWORD dst_unused:UNUSED_PAD src0_sel:WORD_1 src1_sel:DWORD
	s_movk_i32 s4, 0x7f
	v_cmp_lt_i16_e32 vcc, s4, v11
	s_mov_b64 s[4:5], 0
                                        ; implicit-def: $sgpr10
	s_and_saveexec_b64 s[6:7], vcc
	s_xor_b64 s[6:7], exec, s[6:7]
	s_cbranch_execnz .LBB36_3185
; %bb.1137:
	s_or_saveexec_b64 s[6:7], s[6:7]
	v_mov_b32_e32 v10, s10
	s_xor_b64 exec, exec, s[6:7]
	s_cbranch_execnz .LBB36_3188
.LBB36_1138:
	s_or_b64 exec, exec, s[6:7]
	s_and_saveexec_b64 s[6:7], s[4:5]
	s_cbranch_execz .LBB36_1140
.LBB36_1139:
	v_bfe_u32 v10, v17, 16, 3
	v_ffbh_u32_e32 v14, v10
	v_min_u32_e32 v14, 32, v14
	v_lshrrev_b32_e32 v11, 19, v17
	v_subrev_u32_e32 v15, 28, v14
	v_and_b32_e32 v11, 15, v11
	v_lshlrev_b32_sdwa v15, v15, v17 dst_sel:DWORD dst_unused:UNUSED_PAD src0_sel:DWORD src1_sel:WORD_1
	v_bfe_u32 v12, v17, 19, 4
	v_sub_u32_e32 v14, 29, v14
	v_and_b32_e32 v15, 7, v15
	v_cmp_eq_u16_e32 vcc, 0, v11
	v_cndmask_b32_e32 v10, v10, v15, vcc
	v_cndmask_b32_e32 v11, v12, v14, vcc
	v_lshlrev_b32_e32 v12, 8, v17
	v_mov_b32_e32 v14, 0x3b800000
	v_lshlrev_b32_e32 v10, 20, v10
	v_and_b32_e32 v12, 0x80000000, v12
	v_lshl_add_u32 v11, v11, 23, v14
	v_or3_b32 v10, v12, v11, v10
.LBB36_1140:
	s_or_b64 exec, exec, s[6:7]
	s_movk_i32 s4, 0xff
	v_and_b32_sdwa v11, v13, s4 dst_sel:DWORD dst_unused:UNUSED_PAD src0_sel:WORD_1 src1_sel:DWORD
	s_movk_i32 s4, 0x7f
	v_cmp_lt_i16_e32 vcc, s4, v11
	s_mov_b64 s[4:5], 0
                                        ; implicit-def: $sgpr10
	s_and_saveexec_b64 s[6:7], vcc
	s_xor_b64 s[6:7], exec, s[6:7]
	s_cbranch_execnz .LBB36_3189
; %bb.1141:
	s_or_saveexec_b64 s[6:7], s[6:7]
	v_mov_b32_e32 v12, s10
	s_xor_b64 exec, exec, s[6:7]
	s_cbranch_execnz .LBB36_3192
.LBB36_1142:
	s_or_b64 exec, exec, s[6:7]
	s_and_saveexec_b64 s[6:7], s[4:5]
	s_cbranch_execz .LBB36_1144
.LBB36_1143:
	v_bfe_u32 v11, v13, 16, 3
	v_ffbh_u32_e32 v15, v11
	v_min_u32_e32 v15, 32, v15
	v_lshrrev_b32_e32 v12, 19, v13
	v_subrev_u32_e32 v16, 28, v15
	v_and_b32_e32 v12, 15, v12
	v_lshlrev_b32_sdwa v16, v16, v13 dst_sel:DWORD dst_unused:UNUSED_PAD src0_sel:DWORD src1_sel:WORD_1
	v_bfe_u32 v14, v13, 19, 4
	v_sub_u32_e32 v15, 29, v15
	v_and_b32_e32 v16, 7, v16
	v_cmp_eq_u16_e32 vcc, 0, v12
	v_cndmask_b32_e32 v11, v11, v16, vcc
	v_cndmask_b32_e32 v12, v14, v15, vcc
	v_lshlrev_b32_e32 v14, 8, v13
	v_mov_b32_e32 v15, 0x3b800000
	v_lshlrev_b32_e32 v11, 20, v11
	v_and_b32_e32 v14, 0x80000000, v14
	v_lshl_add_u32 v12, v12, 23, v15
	v_or3_b32 v12, v14, v12, v11
.LBB36_1144:
	s_or_b64 exec, exec, s[6:7]
	s_nop 0
	v_mfma_f32_16x16x4f32 a[0:3], v10, v12, a[0:3]
	s_movk_i32 s4, 0x7f
	v_cmp_gt_i16_sdwa s[6:7], v17, s4 src0_sel:BYTE_3 src1_sel:DWORD
	s_mov_b64 s[4:5], 0
                                        ; implicit-def: $sgpr10
	s_and_saveexec_b64 s[8:9], s[6:7]
	s_xor_b64 s[6:7], exec, s[8:9]
	s_cbranch_execnz .LBB36_3193
; %bb.1145:
	s_or_saveexec_b64 s[6:7], s[6:7]
	v_mov_b32_e32 v10, s10
	s_xor_b64 exec, exec, s[6:7]
	s_cbranch_execnz .LBB36_3196
.LBB36_1146:
	s_or_b64 exec, exec, s[6:7]
	s_and_saveexec_b64 s[6:7], s[4:5]
	s_cbranch_execz .LBB36_1148
.LBB36_1147:
	v_bfe_u32 v10, v17, 24, 3
	v_ffbh_u32_e32 v15, v10
	v_min_u32_e32 v15, 32, v15
	v_lshrrev_b32_e32 v12, 27, v17
	v_subrev_u32_e32 v16, 28, v15
	v_and_b32_e32 v12, 15, v12
	v_lshlrev_b32_sdwa v16, v16, v17 dst_sel:DWORD dst_unused:UNUSED_PAD src0_sel:DWORD src1_sel:BYTE_3
	v_bfe_u32 v14, v17, 27, 4
	v_sub_u32_e32 v15, 29, v15
	v_and_b32_e32 v16, 7, v16
	v_cmp_eq_u16_e32 vcc, 0, v12
	v_cndmask_b32_e32 v10, v10, v16, vcc
	v_cndmask_b32_e32 v12, v14, v15, vcc
	v_mov_b32_e32 v14, 0x3b800000
	v_and_b32_e32 v11, 0x80000000, v17
	v_lshlrev_b32_e32 v10, 20, v10
	v_lshl_add_u32 v12, v12, 23, v14
	v_or3_b32 v10, v11, v12, v10
.LBB36_1148:
	s_or_b64 exec, exec, s[6:7]
	s_movk_i32 s4, 0x7f
	v_cmp_gt_i16_sdwa s[6:7], v13, s4 src0_sel:BYTE_3 src1_sel:DWORD
	s_mov_b64 s[4:5], 0
                                        ; implicit-def: $sgpr10
	s_and_saveexec_b64 s[8:9], s[6:7]
	s_xor_b64 s[6:7], exec, s[8:9]
	s_cbranch_execnz .LBB36_3197
; %bb.1149:
	s_or_saveexec_b64 s[6:7], s[6:7]
	v_mov_b32_e32 v11, s10
	s_xor_b64 exec, exec, s[6:7]
	s_cbranch_execnz .LBB36_3200
.LBB36_1150:
	s_or_b64 exec, exec, s[6:7]
	s_and_saveexec_b64 s[6:7], s[4:5]
	s_cbranch_execz .LBB36_1152
.LBB36_1151:
	v_bfe_u32 v11, v13, 24, 3
	v_ffbh_u32_e32 v16, v11
	v_min_u32_e32 v16, 32, v16
	v_lshrrev_b32_e32 v14, 27, v13
	v_subrev_u32_e32 v17, 28, v16
	v_and_b32_e32 v12, 0x80000000, v13
	v_and_b32_e32 v14, 15, v14
	v_bfe_u32 v15, v13, 27, 4
	v_lshlrev_b32_sdwa v13, v17, v13 dst_sel:DWORD dst_unused:UNUSED_PAD src0_sel:DWORD src1_sel:BYTE_3
	v_sub_u32_e32 v16, 29, v16
	v_and_b32_e32 v13, 7, v13
	v_cmp_eq_u16_e32 vcc, 0, v14
	v_cndmask_b32_e32 v11, v11, v13, vcc
	v_cndmask_b32_e32 v13, v15, v16, vcc
	v_mov_b32_e32 v14, 0x3b800000
	v_lshlrev_b32_e32 v11, 20, v11
	v_lshl_add_u32 v13, v13, 23, v14
	v_or3_b32 v11, v12, v13, v11
.LBB36_1152:
	s_or_b64 exec, exec, s[6:7]
	s_nop 0
	v_mfma_f32_16x16x4f32 a[0:3], v10, v11, a[0:3]
	s_movk_i32 s4, 0x7f
	v_cmp_gt_i16_sdwa s[6:7], v6, s4 src0_sel:BYTE_0 src1_sel:DWORD
	s_mov_b64 s[4:5], 0
                                        ; implicit-def: $sgpr10
	s_and_saveexec_b64 s[8:9], s[6:7]
	s_xor_b64 s[6:7], exec, s[8:9]
	s_cbranch_execnz .LBB36_3201
; %bb.1153:
	s_or_saveexec_b64 s[6:7], s[6:7]
	v_mov_b32_e32 v10, s10
	s_xor_b64 exec, exec, s[6:7]
	s_cbranch_execnz .LBB36_3204
.LBB36_1154:
	s_or_b64 exec, exec, s[6:7]
	s_and_saveexec_b64 s[6:7], s[4:5]
	s_cbranch_execz .LBB36_1156
.LBB36_1155:
	v_and_b32_e32 v10, 7, v6
	v_ffbh_u32_e32 v12, v10
	v_min_u32_e32 v12, 32, v12
	v_lshrrev_b16_e32 v11, 3, v6
	v_subrev_u32_e32 v13, 28, v12
	v_and_b32_e32 v11, 15, v11
	v_lshlrev_b32_e32 v13, v13, v6
	v_sub_u32_e32 v12, 29, v12
	v_and_b32_e32 v13, 7, v13
	v_cmp_eq_u16_e32 vcc, 0, v11
	v_cndmask_b32_e32 v10, v10, v13, vcc
	v_cndmask_b32_e32 v11, v11, v12, vcc
	v_lshlrev_b32_e32 v12, 24, v6
	v_mov_b32_e32 v13, 0x3b800000
	v_lshlrev_b32_e32 v10, 20, v10
	v_and_b32_e32 v12, 0x80000000, v12
	v_lshl_add_u32 v11, v11, 23, v13
	v_or3_b32 v10, v12, v11, v10
.LBB36_1156:
	s_or_b64 exec, exec, s[6:7]
	s_movk_i32 s4, 0x7f
	v_cmp_gt_i16_sdwa s[6:7], v2, s4 src0_sel:BYTE_0 src1_sel:DWORD
	s_mov_b64 s[4:5], 0
                                        ; implicit-def: $sgpr10
	s_and_saveexec_b64 s[8:9], s[6:7]
	s_xor_b64 s[6:7], exec, s[8:9]
	s_cbranch_execnz .LBB36_3205
; %bb.1157:
	s_or_saveexec_b64 s[6:7], s[6:7]
	v_mov_b32_e32 v11, s10
	s_xor_b64 exec, exec, s[6:7]
	s_cbranch_execnz .LBB36_3208
.LBB36_1158:
	s_or_b64 exec, exec, s[6:7]
	s_and_saveexec_b64 s[6:7], s[4:5]
	s_cbranch_execz .LBB36_1160
.LBB36_1159:
	v_and_b32_e32 v11, 7, v2
	v_ffbh_u32_e32 v13, v11
	v_min_u32_e32 v13, 32, v13
	v_lshrrev_b16_e32 v12, 3, v2
	v_subrev_u32_e32 v14, 28, v13
	v_and_b32_e32 v12, 15, v12
	v_lshlrev_b32_e32 v14, v14, v2
	v_sub_u32_e32 v13, 29, v13
	v_and_b32_e32 v14, 7, v14
	v_cmp_eq_u16_e32 vcc, 0, v12
	v_cndmask_b32_e32 v11, v11, v14, vcc
	v_cndmask_b32_e32 v12, v12, v13, vcc
	v_lshlrev_b32_e32 v13, 24, v2
	v_mov_b32_e32 v14, 0x3b800000
	v_lshlrev_b32_e32 v11, 20, v11
	v_and_b32_e32 v13, 0x80000000, v13
	v_lshl_add_u32 v12, v12, 23, v14
	v_or3_b32 v11, v13, v12, v11
.LBB36_1160:
	s_or_b64 exec, exec, s[6:7]
	s_nop 0
	v_mfma_f32_16x16x4f32 a[0:3], v10, v11, a[0:3]
	v_lshrrev_b32_e32 v11, 8, v6
	s_movk_i32 s4, 0x7f
	v_cmp_gt_i16_sdwa s[6:7], v11, s4 src0_sel:BYTE_0 src1_sel:DWORD
	s_mov_b64 s[4:5], 0
                                        ; implicit-def: $sgpr10
	s_and_saveexec_b64 s[8:9], s[6:7]
	s_xor_b64 s[6:7], exec, s[8:9]
	s_cbranch_execnz .LBB36_3209
; %bb.1161:
	s_or_saveexec_b64 s[6:7], s[6:7]
	v_mov_b32_e32 v10, s10
	s_xor_b64 exec, exec, s[6:7]
	s_cbranch_execnz .LBB36_3212
.LBB36_1162:
	s_or_b64 exec, exec, s[6:7]
	s_and_saveexec_b64 s[6:7], s[4:5]
	s_cbranch_execz .LBB36_1164
.LBB36_1163:
	v_bfe_u32 v10, v6, 8, 3
	v_ffbh_u32_e32 v13, v10
	v_min_u32_e32 v13, 32, v13
	v_lshrrev_b16_e32 v12, 3, v11
	v_subrev_u32_e32 v14, 28, v13
	v_and_b32_e32 v12, 15, v12
	v_lshlrev_b32_e32 v11, v14, v11
	v_sub_u32_e32 v13, 29, v13
	v_and_b32_e32 v11, 7, v11
	v_cmp_eq_u16_e32 vcc, 0, v12
	v_cndmask_b32_e32 v10, v10, v11, vcc
	v_cndmask_b32_e32 v11, v12, v13, vcc
	v_lshlrev_b32_e32 v12, 16, v6
	v_mov_b32_e32 v13, 0x3b800000
	v_lshlrev_b32_e32 v10, 20, v10
	v_and_b32_e32 v12, 0x80000000, v12
	v_lshl_add_u32 v11, v11, 23, v13
	v_or3_b32 v10, v12, v11, v10
.LBB36_1164:
	s_or_b64 exec, exec, s[6:7]
	v_lshrrev_b32_e32 v11, 8, v2
	s_movk_i32 s4, 0x7f
	v_cmp_gt_i16_sdwa s[6:7], v11, s4 src0_sel:BYTE_0 src1_sel:DWORD
	s_mov_b64 s[4:5], 0
                                        ; implicit-def: $sgpr10
	s_and_saveexec_b64 s[8:9], s[6:7]
	s_xor_b64 s[6:7], exec, s[8:9]
	s_cbranch_execnz .LBB36_3213
; %bb.1165:
	s_or_saveexec_b64 s[6:7], s[6:7]
	v_mov_b32_e32 v12, s10
	s_xor_b64 exec, exec, s[6:7]
	s_cbranch_execnz .LBB36_3216
.LBB36_1166:
	s_or_b64 exec, exec, s[6:7]
	s_and_saveexec_b64 s[6:7], s[4:5]
	s_cbranch_execz .LBB36_1168
.LBB36_1167:
	v_bfe_u32 v12, v2, 8, 3
	v_ffbh_u32_e32 v14, v12
	v_min_u32_e32 v14, 32, v14
	v_lshrrev_b16_e32 v13, 3, v11
	v_subrev_u32_e32 v15, 28, v14
	v_and_b32_e32 v13, 15, v13
	v_lshlrev_b32_e32 v11, v15, v11
	v_sub_u32_e32 v14, 29, v14
	v_and_b32_e32 v11, 7, v11
	v_cmp_eq_u16_e32 vcc, 0, v13
	v_cndmask_b32_e32 v11, v12, v11, vcc
	v_cndmask_b32_e32 v12, v13, v14, vcc
	v_lshlrev_b32_e32 v13, 16, v2
	v_mov_b32_e32 v14, 0x3b800000
	v_lshlrev_b32_e32 v11, 20, v11
	v_and_b32_e32 v13, 0x80000000, v13
	v_lshl_add_u32 v12, v12, 23, v14
	v_or3_b32 v12, v13, v12, v11
.LBB36_1168:
	s_or_b64 exec, exec, s[6:7]
	s_nop 0
	v_mfma_f32_16x16x4f32 a[0:3], v10, v12, a[0:3]
	s_movk_i32 s4, 0xff
	v_and_b32_sdwa v11, v6, s4 dst_sel:DWORD dst_unused:UNUSED_PAD src0_sel:WORD_1 src1_sel:DWORD
	s_movk_i32 s4, 0x7f
	v_cmp_lt_i16_e32 vcc, s4, v11
	s_mov_b64 s[4:5], 0
                                        ; implicit-def: $sgpr10
	s_and_saveexec_b64 s[6:7], vcc
	s_xor_b64 s[6:7], exec, s[6:7]
	s_cbranch_execnz .LBB36_3217
; %bb.1169:
	s_or_saveexec_b64 s[6:7], s[6:7]
	v_mov_b32_e32 v10, s10
	s_xor_b64 exec, exec, s[6:7]
	s_cbranch_execnz .LBB36_3220
.LBB36_1170:
	s_or_b64 exec, exec, s[6:7]
	s_and_saveexec_b64 s[6:7], s[4:5]
	s_cbranch_execz .LBB36_1172
.LBB36_1171:
	v_bfe_u32 v10, v6, 16, 3
	v_ffbh_u32_e32 v13, v10
	v_min_u32_e32 v13, 32, v13
	v_lshrrev_b32_e32 v11, 19, v6
	v_subrev_u32_e32 v14, 28, v13
	v_and_b32_e32 v11, 15, v11
	v_lshlrev_b32_sdwa v14, v14, v6 dst_sel:DWORD dst_unused:UNUSED_PAD src0_sel:DWORD src1_sel:WORD_1
	v_bfe_u32 v12, v6, 19, 4
	v_sub_u32_e32 v13, 29, v13
	v_and_b32_e32 v14, 7, v14
	v_cmp_eq_u16_e32 vcc, 0, v11
	v_cndmask_b32_e32 v10, v10, v14, vcc
	v_cndmask_b32_e32 v11, v12, v13, vcc
	v_lshlrev_b32_e32 v12, 8, v6
	v_mov_b32_e32 v13, 0x3b800000
	v_lshlrev_b32_e32 v10, 20, v10
	v_and_b32_e32 v12, 0x80000000, v12
	v_lshl_add_u32 v11, v11, 23, v13
	v_or3_b32 v10, v12, v11, v10
.LBB36_1172:
	s_or_b64 exec, exec, s[6:7]
	s_movk_i32 s4, 0xff
	v_and_b32_sdwa v11, v2, s4 dst_sel:DWORD dst_unused:UNUSED_PAD src0_sel:WORD_1 src1_sel:DWORD
	s_movk_i32 s4, 0x7f
	v_cmp_lt_i16_e32 vcc, s4, v11
	s_mov_b64 s[4:5], 0
                                        ; implicit-def: $sgpr10
	s_and_saveexec_b64 s[6:7], vcc
	s_xor_b64 s[6:7], exec, s[6:7]
	s_cbranch_execnz .LBB36_3221
; %bb.1173:
	s_or_saveexec_b64 s[6:7], s[6:7]
	v_mov_b32_e32 v12, s10
	s_xor_b64 exec, exec, s[6:7]
	s_cbranch_execnz .LBB36_3224
.LBB36_1174:
	s_or_b64 exec, exec, s[6:7]
	s_and_saveexec_b64 s[6:7], s[4:5]
	s_cbranch_execz .LBB36_1176
.LBB36_1175:
	v_bfe_u32 v11, v2, 16, 3
	v_ffbh_u32_e32 v14, v11
	v_min_u32_e32 v14, 32, v14
	v_lshrrev_b32_e32 v12, 19, v2
	v_subrev_u32_e32 v15, 28, v14
	v_and_b32_e32 v12, 15, v12
	v_lshlrev_b32_sdwa v15, v15, v2 dst_sel:DWORD dst_unused:UNUSED_PAD src0_sel:DWORD src1_sel:WORD_1
	v_bfe_u32 v13, v2, 19, 4
	v_sub_u32_e32 v14, 29, v14
	v_and_b32_e32 v15, 7, v15
	v_cmp_eq_u16_e32 vcc, 0, v12
	v_cndmask_b32_e32 v11, v11, v15, vcc
	v_cndmask_b32_e32 v12, v13, v14, vcc
	v_lshlrev_b32_e32 v13, 8, v2
	v_mov_b32_e32 v14, 0x3b800000
	v_lshlrev_b32_e32 v11, 20, v11
	v_and_b32_e32 v13, 0x80000000, v13
	v_lshl_add_u32 v12, v12, 23, v14
	v_or3_b32 v12, v13, v12, v11
.LBB36_1176:
	s_or_b64 exec, exec, s[6:7]
	s_nop 0
	v_mfma_f32_16x16x4f32 a[0:3], v10, v12, a[0:3]
	s_movk_i32 s4, 0x7f
	v_cmp_gt_i16_sdwa s[6:7], v6, s4 src0_sel:BYTE_3 src1_sel:DWORD
	s_mov_b64 s[4:5], 0
                                        ; implicit-def: $sgpr10
	s_and_saveexec_b64 s[8:9], s[6:7]
	s_xor_b64 s[6:7], exec, s[8:9]
	s_cbranch_execnz .LBB36_3225
; %bb.1177:
	s_or_saveexec_b64 s[6:7], s[6:7]
	v_mov_b32_e32 v10, s10
	s_xor_b64 exec, exec, s[6:7]
	s_cbranch_execnz .LBB36_3228
.LBB36_1178:
	s_or_b64 exec, exec, s[6:7]
	s_and_saveexec_b64 s[6:7], s[4:5]
	s_cbranch_execz .LBB36_1180
.LBB36_1179:
	v_bfe_u32 v10, v6, 24, 3
	v_ffbh_u32_e32 v14, v10
	v_min_u32_e32 v14, 32, v14
	v_lshrrev_b32_e32 v12, 27, v6
	v_subrev_u32_e32 v15, 28, v14
	v_and_b32_e32 v11, 0x80000000, v6
	v_and_b32_e32 v12, 15, v12
	v_bfe_u32 v13, v6, 27, 4
	v_lshlrev_b32_sdwa v6, v15, v6 dst_sel:DWORD dst_unused:UNUSED_PAD src0_sel:DWORD src1_sel:BYTE_3
	v_sub_u32_e32 v14, 29, v14
	v_and_b32_e32 v6, 7, v6
	v_cmp_eq_u16_e32 vcc, 0, v12
	v_cndmask_b32_e32 v6, v10, v6, vcc
	v_cndmask_b32_e32 v10, v13, v14, vcc
	v_mov_b32_e32 v12, 0x3b800000
	v_lshlrev_b32_e32 v6, 20, v6
	v_lshl_add_u32 v10, v10, 23, v12
	v_or3_b32 v10, v11, v10, v6
.LBB36_1180:
	s_or_b64 exec, exec, s[6:7]
	s_movk_i32 s4, 0x7f
	v_cmp_gt_i16_sdwa s[6:7], v2, s4 src0_sel:BYTE_3 src1_sel:DWORD
	s_mov_b64 s[4:5], 0
                                        ; implicit-def: $sgpr10
	s_and_saveexec_b64 s[8:9], s[6:7]
	s_xor_b64 s[6:7], exec, s[8:9]
	s_cbranch_execnz .LBB36_3229
; %bb.1181:
	s_or_saveexec_b64 s[6:7], s[6:7]
	v_mov_b32_e32 v6, s10
	s_xor_b64 exec, exec, s[6:7]
	s_cbranch_execnz .LBB36_3232
.LBB36_1182:
	s_or_b64 exec, exec, s[6:7]
	s_and_saveexec_b64 s[6:7], s[4:5]
	s_cbranch_execz .LBB36_1184
.LBB36_1183:
	v_bfe_u32 v6, v2, 24, 3
	v_ffbh_u32_e32 v14, v6
	v_min_u32_e32 v14, 32, v14
	v_lshrrev_b32_e32 v12, 27, v2
	v_subrev_u32_e32 v15, 28, v14
	v_and_b32_e32 v11, 0x80000000, v2
	v_and_b32_e32 v12, 15, v12
	v_bfe_u32 v13, v2, 27, 4
	v_lshlrev_b32_sdwa v2, v15, v2 dst_sel:DWORD dst_unused:UNUSED_PAD src0_sel:DWORD src1_sel:BYTE_3
	v_sub_u32_e32 v14, 29, v14
	v_and_b32_e32 v2, 7, v2
	v_cmp_eq_u16_e32 vcc, 0, v12
	v_cndmask_b32_e32 v2, v6, v2, vcc
	v_cndmask_b32_e32 v6, v13, v14, vcc
	v_mov_b32_e32 v12, 0x3b800000
	v_lshlrev_b32_e32 v2, 20, v2
	v_lshl_add_u32 v6, v6, 23, v12
	v_or3_b32 v6, v11, v6, v2
.LBB36_1184:
	s_or_b64 exec, exec, s[6:7]
	s_nop 0
	v_mfma_f32_16x16x4f32 a[0:3], v10, v6, a[0:3]
	s_movk_i32 s4, 0x7f
	v_cmp_gt_i16_sdwa s[6:7], v7, s4 src0_sel:BYTE_0 src1_sel:DWORD
	s_mov_b64 s[4:5], 0
                                        ; implicit-def: $sgpr10
	s_and_saveexec_b64 s[8:9], s[6:7]
	s_xor_b64 s[6:7], exec, s[8:9]
	s_cbranch_execnz .LBB36_3233
; %bb.1185:
	s_or_saveexec_b64 s[6:7], s[6:7]
	v_mov_b32_e32 v2, s10
	s_xor_b64 exec, exec, s[6:7]
	s_cbranch_execnz .LBB36_3236
.LBB36_1186:
	s_or_b64 exec, exec, s[6:7]
	s_and_saveexec_b64 s[6:7], s[4:5]
	s_cbranch_execz .LBB36_1188
.LBB36_1187:
	v_and_b32_e32 v2, 7, v7
	v_ffbh_u32_e32 v10, v2
	v_min_u32_e32 v10, 32, v10
	v_lshrrev_b16_e32 v6, 3, v7
	v_subrev_u32_e32 v11, 28, v10
	v_and_b32_e32 v6, 15, v6
	v_lshlrev_b32_e32 v11, v11, v7
	v_sub_u32_e32 v10, 29, v10
	v_and_b32_e32 v11, 7, v11
	v_cmp_eq_u16_e32 vcc, 0, v6
	v_cndmask_b32_e32 v2, v2, v11, vcc
	v_cndmask_b32_e32 v6, v6, v10, vcc
	v_lshlrev_b32_e32 v10, 24, v7
	v_mov_b32_e32 v11, 0x3b800000
	v_lshlrev_b32_e32 v2, 20, v2
	v_and_b32_e32 v10, 0x80000000, v10
	v_lshl_add_u32 v6, v6, 23, v11
	v_or3_b32 v2, v10, v6, v2
.LBB36_1188:
	s_or_b64 exec, exec, s[6:7]
	s_movk_i32 s4, 0x7f
	v_cmp_gt_i16_sdwa s[6:7], v3, s4 src0_sel:BYTE_0 src1_sel:DWORD
	s_mov_b64 s[4:5], 0
                                        ; implicit-def: $sgpr10
	s_and_saveexec_b64 s[8:9], s[6:7]
	s_xor_b64 s[6:7], exec, s[8:9]
	s_cbranch_execnz .LBB36_3237
; %bb.1189:
	s_or_saveexec_b64 s[6:7], s[6:7]
	v_mov_b32_e32 v6, s10
	s_xor_b64 exec, exec, s[6:7]
	s_cbranch_execnz .LBB36_3240
.LBB36_1190:
	s_or_b64 exec, exec, s[6:7]
	s_and_saveexec_b64 s[6:7], s[4:5]
	s_cbranch_execz .LBB36_1192
.LBB36_1191:
	v_and_b32_e32 v6, 7, v3
	v_ffbh_u32_e32 v11, v6
	v_min_u32_e32 v11, 32, v11
	v_lshrrev_b16_e32 v10, 3, v3
	v_subrev_u32_e32 v12, 28, v11
	v_and_b32_e32 v10, 15, v10
	v_lshlrev_b32_e32 v12, v12, v3
	v_sub_u32_e32 v11, 29, v11
	v_and_b32_e32 v12, 7, v12
	v_cmp_eq_u16_e32 vcc, 0, v10
	v_cndmask_b32_e32 v6, v6, v12, vcc
	v_cndmask_b32_e32 v10, v10, v11, vcc
	v_lshlrev_b32_e32 v11, 24, v3
	v_mov_b32_e32 v12, 0x3b800000
	v_lshlrev_b32_e32 v6, 20, v6
	v_and_b32_e32 v11, 0x80000000, v11
	v_lshl_add_u32 v10, v10, 23, v12
	v_or3_b32 v6, v11, v10, v6
.LBB36_1192:
	s_or_b64 exec, exec, s[6:7]
	s_nop 0
	v_mfma_f32_16x16x4f32 a[0:3], v2, v6, a[0:3]
	v_lshrrev_b32_e32 v6, 8, v7
	s_movk_i32 s4, 0x7f
	v_cmp_gt_i16_sdwa s[6:7], v6, s4 src0_sel:BYTE_0 src1_sel:DWORD
	s_mov_b64 s[4:5], 0
                                        ; implicit-def: $sgpr10
	s_and_saveexec_b64 s[8:9], s[6:7]
	s_xor_b64 s[6:7], exec, s[8:9]
	s_cbranch_execnz .LBB36_3241
; %bb.1193:
	s_or_saveexec_b64 s[6:7], s[6:7]
	v_mov_b32_e32 v2, s10
	s_xor_b64 exec, exec, s[6:7]
	s_cbranch_execnz .LBB36_3244
.LBB36_1194:
	s_or_b64 exec, exec, s[6:7]
	s_and_saveexec_b64 s[6:7], s[4:5]
	s_cbranch_execz .LBB36_1196
.LBB36_1195:
	v_bfe_u32 v2, v7, 8, 3
	v_ffbh_u32_e32 v11, v2
	v_min_u32_e32 v11, 32, v11
	v_lshrrev_b16_e32 v10, 3, v6
	v_subrev_u32_e32 v12, 28, v11
	v_and_b32_e32 v10, 15, v10
	v_lshlrev_b32_e32 v6, v12, v6
	v_sub_u32_e32 v11, 29, v11
	v_and_b32_e32 v6, 7, v6
	v_cmp_eq_u16_e32 vcc, 0, v10
	v_cndmask_b32_e32 v2, v2, v6, vcc
	v_cndmask_b32_e32 v6, v10, v11, vcc
	v_lshlrev_b32_e32 v10, 16, v7
	v_mov_b32_e32 v11, 0x3b800000
	v_lshlrev_b32_e32 v2, 20, v2
	v_and_b32_e32 v10, 0x80000000, v10
	v_lshl_add_u32 v6, v6, 23, v11
	v_or3_b32 v2, v10, v6, v2
.LBB36_1196:
	s_or_b64 exec, exec, s[6:7]
	v_lshrrev_b32_e32 v6, 8, v3
	s_movk_i32 s4, 0x7f
	v_cmp_gt_i16_sdwa s[6:7], v6, s4 src0_sel:BYTE_0 src1_sel:DWORD
	s_mov_b64 s[4:5], 0
                                        ; implicit-def: $sgpr10
	s_and_saveexec_b64 s[8:9], s[6:7]
	s_xor_b64 s[6:7], exec, s[8:9]
	s_cbranch_execnz .LBB36_3245
; %bb.1197:
	s_or_saveexec_b64 s[6:7], s[6:7]
	v_mov_b32_e32 v10, s10
	s_xor_b64 exec, exec, s[6:7]
	s_cbranch_execnz .LBB36_3248
.LBB36_1198:
	s_or_b64 exec, exec, s[6:7]
	s_and_saveexec_b64 s[6:7], s[4:5]
	s_cbranch_execz .LBB36_1200
.LBB36_1199:
	v_bfe_u32 v10, v3, 8, 3
	v_ffbh_u32_e32 v12, v10
	v_min_u32_e32 v12, 32, v12
	v_lshrrev_b16_e32 v11, 3, v6
	v_subrev_u32_e32 v13, 28, v12
	v_and_b32_e32 v11, 15, v11
	v_lshlrev_b32_e32 v6, v13, v6
	v_sub_u32_e32 v12, 29, v12
	v_and_b32_e32 v6, 7, v6
	v_cmp_eq_u16_e32 vcc, 0, v11
	v_cndmask_b32_e32 v6, v10, v6, vcc
	v_cndmask_b32_e32 v10, v11, v12, vcc
	v_lshlrev_b32_e32 v11, 16, v3
	v_mov_b32_e32 v12, 0x3b800000
	v_lshlrev_b32_e32 v6, 20, v6
	v_and_b32_e32 v11, 0x80000000, v11
	v_lshl_add_u32 v10, v10, 23, v12
	v_or3_b32 v10, v11, v10, v6
.LBB36_1200:
	s_or_b64 exec, exec, s[6:7]
	s_nop 0
	v_mfma_f32_16x16x4f32 a[0:3], v2, v10, a[0:3]
	s_movk_i32 s4, 0xff
	v_and_b32_sdwa v6, v7, s4 dst_sel:DWORD dst_unused:UNUSED_PAD src0_sel:WORD_1 src1_sel:DWORD
	s_movk_i32 s4, 0x7f
	v_cmp_lt_i16_e32 vcc, s4, v6
	s_mov_b64 s[4:5], 0
                                        ; implicit-def: $sgpr10
	s_and_saveexec_b64 s[6:7], vcc
	s_xor_b64 s[6:7], exec, s[6:7]
	s_cbranch_execnz .LBB36_3249
; %bb.1201:
	s_or_saveexec_b64 s[6:7], s[6:7]
	v_mov_b32_e32 v2, s10
	s_xor_b64 exec, exec, s[6:7]
	s_cbranch_execnz .LBB36_3252
.LBB36_1202:
	s_or_b64 exec, exec, s[6:7]
	s_and_saveexec_b64 s[6:7], s[4:5]
	s_cbranch_execz .LBB36_1204
.LBB36_1203:
	v_bfe_u32 v2, v7, 16, 3
	v_ffbh_u32_e32 v11, v2
	v_min_u32_e32 v11, 32, v11
	v_lshrrev_b32_e32 v6, 19, v7
	v_subrev_u32_e32 v12, 28, v11
	v_and_b32_e32 v6, 15, v6
	v_lshlrev_b32_sdwa v12, v12, v7 dst_sel:DWORD dst_unused:UNUSED_PAD src0_sel:DWORD src1_sel:WORD_1
	v_bfe_u32 v10, v7, 19, 4
	v_sub_u32_e32 v11, 29, v11
	v_and_b32_e32 v12, 7, v12
	v_cmp_eq_u16_e32 vcc, 0, v6
	v_cndmask_b32_e32 v2, v2, v12, vcc
	v_cndmask_b32_e32 v6, v10, v11, vcc
	v_lshlrev_b32_e32 v10, 8, v7
	v_mov_b32_e32 v11, 0x3b800000
	v_lshlrev_b32_e32 v2, 20, v2
	v_and_b32_e32 v10, 0x80000000, v10
	v_lshl_add_u32 v6, v6, 23, v11
	v_or3_b32 v2, v10, v6, v2
.LBB36_1204:
	s_or_b64 exec, exec, s[6:7]
	s_movk_i32 s4, 0xff
	v_and_b32_sdwa v6, v3, s4 dst_sel:DWORD dst_unused:UNUSED_PAD src0_sel:WORD_1 src1_sel:DWORD
	s_movk_i32 s4, 0x7f
	v_cmp_lt_i16_e32 vcc, s4, v6
	s_mov_b64 s[4:5], 0
                                        ; implicit-def: $sgpr10
	s_and_saveexec_b64 s[6:7], vcc
	s_xor_b64 s[6:7], exec, s[6:7]
	s_cbranch_execnz .LBB36_3253
; %bb.1205:
	s_or_saveexec_b64 s[6:7], s[6:7]
	v_mov_b32_e32 v10, s10
	s_xor_b64 exec, exec, s[6:7]
	s_cbranch_execnz .LBB36_3256
.LBB36_1206:
	s_or_b64 exec, exec, s[6:7]
	s_and_saveexec_b64 s[6:7], s[4:5]
	s_cbranch_execz .LBB36_1208
.LBB36_1207:
	v_bfe_u32 v6, v3, 16, 3
	v_ffbh_u32_e32 v12, v6
	v_min_u32_e32 v12, 32, v12
	v_lshrrev_b32_e32 v10, 19, v3
	v_subrev_u32_e32 v13, 28, v12
	v_and_b32_e32 v10, 15, v10
	v_lshlrev_b32_sdwa v13, v13, v3 dst_sel:DWORD dst_unused:UNUSED_PAD src0_sel:DWORD src1_sel:WORD_1
	v_bfe_u32 v11, v3, 19, 4
	v_sub_u32_e32 v12, 29, v12
	v_and_b32_e32 v13, 7, v13
	v_cmp_eq_u16_e32 vcc, 0, v10
	v_cndmask_b32_e32 v6, v6, v13, vcc
	v_cndmask_b32_e32 v10, v11, v12, vcc
	v_lshlrev_b32_e32 v11, 8, v3
	v_mov_b32_e32 v12, 0x3b800000
	v_lshlrev_b32_e32 v6, 20, v6
	v_and_b32_e32 v11, 0x80000000, v11
	v_lshl_add_u32 v10, v10, 23, v12
	v_or3_b32 v10, v11, v10, v6
.LBB36_1208:
	s_or_b64 exec, exec, s[6:7]
	s_nop 0
	v_mfma_f32_16x16x4f32 a[0:3], v2, v10, a[0:3]
	s_movk_i32 s4, 0x7f
	v_cmp_gt_i16_sdwa s[6:7], v7, s4 src0_sel:BYTE_3 src1_sel:DWORD
	s_mov_b64 s[4:5], 0
                                        ; implicit-def: $sgpr10
	s_and_saveexec_b64 s[8:9], s[6:7]
	s_xor_b64 s[6:7], exec, s[8:9]
	s_cbranch_execnz .LBB36_3257
; %bb.1209:
	s_or_saveexec_b64 s[6:7], s[6:7]
	v_mov_b32_e32 v2, s10
	s_xor_b64 exec, exec, s[6:7]
	s_cbranch_execnz .LBB36_3260
.LBB36_1210:
	s_or_b64 exec, exec, s[6:7]
	s_and_saveexec_b64 s[6:7], s[4:5]
	s_cbranch_execz .LBB36_1212
.LBB36_1211:
	v_bfe_u32 v2, v7, 24, 3
	v_ffbh_u32_e32 v12, v2
	v_min_u32_e32 v12, 32, v12
	v_lshrrev_b32_e32 v10, 27, v7
	v_subrev_u32_e32 v13, 28, v12
	v_and_b32_e32 v6, 0x80000000, v7
	v_and_b32_e32 v10, 15, v10
	v_bfe_u32 v11, v7, 27, 4
	v_lshlrev_b32_sdwa v7, v13, v7 dst_sel:DWORD dst_unused:UNUSED_PAD src0_sel:DWORD src1_sel:BYTE_3
	v_sub_u32_e32 v12, 29, v12
	v_and_b32_e32 v7, 7, v7
	v_cmp_eq_u16_e32 vcc, 0, v10
	v_cndmask_b32_e32 v2, v2, v7, vcc
	v_cndmask_b32_e32 v7, v11, v12, vcc
	v_mov_b32_e32 v10, 0x3b800000
	v_lshlrev_b32_e32 v2, 20, v2
	v_lshl_add_u32 v7, v7, 23, v10
	v_or3_b32 v2, v6, v7, v2
.LBB36_1212:
	s_or_b64 exec, exec, s[6:7]
	s_movk_i32 s4, 0x7f
	v_cmp_gt_i16_sdwa s[6:7], v3, s4 src0_sel:BYTE_3 src1_sel:DWORD
	s_mov_b64 s[4:5], 0
                                        ; implicit-def: $sgpr10
	s_and_saveexec_b64 s[8:9], s[6:7]
	s_xor_b64 s[6:7], exec, s[8:9]
	s_cbranch_execnz .LBB36_3261
; %bb.1213:
	s_or_saveexec_b64 s[6:7], s[6:7]
	v_mov_b32_e32 v6, s10
	s_xor_b64 exec, exec, s[6:7]
	s_cbranch_execnz .LBB36_3264
.LBB36_1214:
	s_or_b64 exec, exec, s[6:7]
	s_and_saveexec_b64 s[6:7], s[4:5]
	s_cbranch_execz .LBB36_1216
.LBB36_1215:
	v_bfe_u32 v6, v3, 24, 3
	v_ffbh_u32_e32 v12, v6
	v_min_u32_e32 v12, 32, v12
	v_lshrrev_b32_e32 v10, 27, v3
	v_subrev_u32_e32 v13, 28, v12
	v_and_b32_e32 v7, 0x80000000, v3
	v_and_b32_e32 v10, 15, v10
	v_bfe_u32 v11, v3, 27, 4
	v_lshlrev_b32_sdwa v3, v13, v3 dst_sel:DWORD dst_unused:UNUSED_PAD src0_sel:DWORD src1_sel:BYTE_3
	v_sub_u32_e32 v12, 29, v12
	v_and_b32_e32 v3, 7, v3
	v_cmp_eq_u16_e32 vcc, 0, v10
	v_cndmask_b32_e32 v3, v6, v3, vcc
	v_cndmask_b32_e32 v6, v11, v12, vcc
	v_mov_b32_e32 v10, 0x3b800000
	v_lshlrev_b32_e32 v3, 20, v3
	v_lshl_add_u32 v6, v6, 23, v10
	v_or3_b32 v6, v7, v6, v3
.LBB36_1216:
	s_or_b64 exec, exec, s[6:7]
	s_nop 0
	v_mfma_f32_16x16x4f32 a[0:3], v2, v6, a[0:3]
	s_movk_i32 s4, 0x7f
	v_cmp_gt_i16_sdwa s[6:7], v8, s4 src0_sel:BYTE_0 src1_sel:DWORD
	s_mov_b64 s[4:5], 0
                                        ; implicit-def: $sgpr10
	s_and_saveexec_b64 s[8:9], s[6:7]
	s_xor_b64 s[6:7], exec, s[8:9]
	s_cbranch_execnz .LBB36_3265
; %bb.1217:
	s_or_saveexec_b64 s[6:7], s[6:7]
	v_mov_b32_e32 v2, s10
	s_xor_b64 exec, exec, s[6:7]
	s_cbranch_execnz .LBB36_3268
.LBB36_1218:
	s_or_b64 exec, exec, s[6:7]
	s_and_saveexec_b64 s[6:7], s[4:5]
	s_cbranch_execz .LBB36_1220
.LBB36_1219:
	v_and_b32_e32 v2, 7, v8
	v_ffbh_u32_e32 v6, v2
	v_min_u32_e32 v6, 32, v6
	v_lshrrev_b16_e32 v3, 3, v8
	v_subrev_u32_e32 v7, 28, v6
	v_and_b32_e32 v3, 15, v3
	v_lshlrev_b32_e32 v7, v7, v8
	v_sub_u32_e32 v6, 29, v6
	v_and_b32_e32 v7, 7, v7
	v_cmp_eq_u16_e32 vcc, 0, v3
	v_cndmask_b32_e32 v2, v2, v7, vcc
	v_cndmask_b32_e32 v3, v3, v6, vcc
	v_lshlrev_b32_e32 v6, 24, v8
	v_mov_b32_e32 v7, 0x3b800000
	v_lshlrev_b32_e32 v2, 20, v2
	v_and_b32_e32 v6, 0x80000000, v6
	v_lshl_add_u32 v3, v3, 23, v7
	v_or3_b32 v2, v6, v3, v2
.LBB36_1220:
	s_or_b64 exec, exec, s[6:7]
	s_movk_i32 s4, 0x7f
	v_cmp_gt_i16_sdwa s[6:7], v4, s4 src0_sel:BYTE_0 src1_sel:DWORD
	s_mov_b64 s[4:5], 0
                                        ; implicit-def: $sgpr10
	s_and_saveexec_b64 s[8:9], s[6:7]
	s_xor_b64 s[6:7], exec, s[8:9]
	s_cbranch_execnz .LBB36_3269
; %bb.1221:
	s_or_saveexec_b64 s[6:7], s[6:7]
	v_mov_b32_e32 v3, s10
	s_xor_b64 exec, exec, s[6:7]
	s_cbranch_execnz .LBB36_3272
.LBB36_1222:
	s_or_b64 exec, exec, s[6:7]
	s_and_saveexec_b64 s[6:7], s[4:5]
	s_cbranch_execz .LBB36_1224
.LBB36_1223:
	v_and_b32_e32 v3, 7, v4
	v_ffbh_u32_e32 v7, v3
	v_min_u32_e32 v7, 32, v7
	v_lshrrev_b16_e32 v6, 3, v4
	v_subrev_u32_e32 v10, 28, v7
	v_and_b32_e32 v6, 15, v6
	v_lshlrev_b32_e32 v10, v10, v4
	v_sub_u32_e32 v7, 29, v7
	v_and_b32_e32 v10, 7, v10
	v_cmp_eq_u16_e32 vcc, 0, v6
	v_cndmask_b32_e32 v3, v3, v10, vcc
	v_cndmask_b32_e32 v6, v6, v7, vcc
	v_lshlrev_b32_e32 v7, 24, v4
	v_mov_b32_e32 v10, 0x3b800000
	v_lshlrev_b32_e32 v3, 20, v3
	v_and_b32_e32 v7, 0x80000000, v7
	v_lshl_add_u32 v6, v6, 23, v10
	v_or3_b32 v3, v7, v6, v3
.LBB36_1224:
	s_or_b64 exec, exec, s[6:7]
	s_nop 0
	v_mfma_f32_16x16x4f32 a[0:3], v2, v3, a[0:3]
	v_lshrrev_b32_e32 v3, 8, v8
	s_movk_i32 s4, 0x7f
	v_cmp_gt_i16_sdwa s[6:7], v3, s4 src0_sel:BYTE_0 src1_sel:DWORD
	s_mov_b64 s[4:5], 0
                                        ; implicit-def: $sgpr10
	s_and_saveexec_b64 s[8:9], s[6:7]
	s_xor_b64 s[6:7], exec, s[8:9]
	s_cbranch_execnz .LBB36_3273
; %bb.1225:
	s_or_saveexec_b64 s[6:7], s[6:7]
	v_mov_b32_e32 v2, s10
	s_xor_b64 exec, exec, s[6:7]
	s_cbranch_execnz .LBB36_3276
.LBB36_1226:
	s_or_b64 exec, exec, s[6:7]
	s_and_saveexec_b64 s[6:7], s[4:5]
	s_cbranch_execz .LBB36_1228
.LBB36_1227:
	v_bfe_u32 v2, v8, 8, 3
	v_ffbh_u32_e32 v7, v2
	v_min_u32_e32 v7, 32, v7
	v_lshrrev_b16_e32 v6, 3, v3
	v_subrev_u32_e32 v10, 28, v7
	v_and_b32_e32 v6, 15, v6
	v_lshlrev_b32_e32 v3, v10, v3
	v_sub_u32_e32 v7, 29, v7
	v_and_b32_e32 v3, 7, v3
	v_cmp_eq_u16_e32 vcc, 0, v6
	v_cndmask_b32_e32 v2, v2, v3, vcc
	v_cndmask_b32_e32 v3, v6, v7, vcc
	v_lshlrev_b32_e32 v6, 16, v8
	v_mov_b32_e32 v7, 0x3b800000
	v_lshlrev_b32_e32 v2, 20, v2
	v_and_b32_e32 v6, 0x80000000, v6
	v_lshl_add_u32 v3, v3, 23, v7
	v_or3_b32 v2, v6, v3, v2
.LBB36_1228:
	s_or_b64 exec, exec, s[6:7]
	v_lshrrev_b32_e32 v3, 8, v4
	s_movk_i32 s4, 0x7f
	v_cmp_gt_i16_sdwa s[6:7], v3, s4 src0_sel:BYTE_0 src1_sel:DWORD
	s_mov_b64 s[4:5], 0
                                        ; implicit-def: $sgpr10
	s_and_saveexec_b64 s[8:9], s[6:7]
	s_xor_b64 s[6:7], exec, s[8:9]
	s_cbranch_execnz .LBB36_3277
; %bb.1229:
	s_or_saveexec_b64 s[6:7], s[6:7]
	v_mov_b32_e32 v6, s10
	s_xor_b64 exec, exec, s[6:7]
	s_cbranch_execnz .LBB36_3280
.LBB36_1230:
	s_or_b64 exec, exec, s[6:7]
	s_and_saveexec_b64 s[6:7], s[4:5]
	s_cbranch_execz .LBB36_1232
.LBB36_1231:
	v_bfe_u32 v6, v4, 8, 3
	v_ffbh_u32_e32 v10, v6
	v_min_u32_e32 v10, 32, v10
	v_lshrrev_b16_e32 v7, 3, v3
	v_subrev_u32_e32 v11, 28, v10
	v_and_b32_e32 v7, 15, v7
	v_lshlrev_b32_e32 v3, v11, v3
	v_sub_u32_e32 v10, 29, v10
	v_and_b32_e32 v3, 7, v3
	v_cmp_eq_u16_e32 vcc, 0, v7
	v_cndmask_b32_e32 v3, v6, v3, vcc
	v_cndmask_b32_e32 v6, v7, v10, vcc
	v_lshlrev_b32_e32 v7, 16, v4
	v_mov_b32_e32 v10, 0x3b800000
	v_lshlrev_b32_e32 v3, 20, v3
	v_and_b32_e32 v7, 0x80000000, v7
	v_lshl_add_u32 v6, v6, 23, v10
	v_or3_b32 v6, v7, v6, v3
.LBB36_1232:
	s_or_b64 exec, exec, s[6:7]
	s_nop 0
	v_mfma_f32_16x16x4f32 a[0:3], v2, v6, a[0:3]
	s_movk_i32 s4, 0xff
	v_and_b32_sdwa v3, v8, s4 dst_sel:DWORD dst_unused:UNUSED_PAD src0_sel:WORD_1 src1_sel:DWORD
	s_movk_i32 s4, 0x7f
	v_cmp_lt_i16_e32 vcc, s4, v3
	s_mov_b64 s[4:5], 0
                                        ; implicit-def: $sgpr10
	s_and_saveexec_b64 s[6:7], vcc
	s_xor_b64 s[6:7], exec, s[6:7]
	s_cbranch_execnz .LBB36_3281
; %bb.1233:
	s_or_saveexec_b64 s[6:7], s[6:7]
	v_mov_b32_e32 v2, s10
	s_xor_b64 exec, exec, s[6:7]
	s_cbranch_execnz .LBB36_3284
.LBB36_1234:
	s_or_b64 exec, exec, s[6:7]
	s_and_saveexec_b64 s[6:7], s[4:5]
	s_cbranch_execz .LBB36_1236
.LBB36_1235:
	v_bfe_u32 v2, v8, 16, 3
	v_ffbh_u32_e32 v7, v2
	v_min_u32_e32 v7, 32, v7
	v_lshrrev_b32_e32 v3, 19, v8
	v_subrev_u32_e32 v10, 28, v7
	v_and_b32_e32 v3, 15, v3
	v_lshlrev_b32_sdwa v10, v10, v8 dst_sel:DWORD dst_unused:UNUSED_PAD src0_sel:DWORD src1_sel:WORD_1
	v_bfe_u32 v6, v8, 19, 4
	v_sub_u32_e32 v7, 29, v7
	v_and_b32_e32 v10, 7, v10
	v_cmp_eq_u16_e32 vcc, 0, v3
	v_cndmask_b32_e32 v2, v2, v10, vcc
	v_cndmask_b32_e32 v3, v6, v7, vcc
	v_lshlrev_b32_e32 v6, 8, v8
	v_mov_b32_e32 v7, 0x3b800000
	v_lshlrev_b32_e32 v2, 20, v2
	v_and_b32_e32 v6, 0x80000000, v6
	v_lshl_add_u32 v3, v3, 23, v7
	v_or3_b32 v2, v6, v3, v2
.LBB36_1236:
	s_or_b64 exec, exec, s[6:7]
	s_movk_i32 s4, 0xff
	v_and_b32_sdwa v3, v4, s4 dst_sel:DWORD dst_unused:UNUSED_PAD src0_sel:WORD_1 src1_sel:DWORD
	s_movk_i32 s4, 0x7f
	v_cmp_lt_i16_e32 vcc, s4, v3
	s_mov_b64 s[4:5], 0
                                        ; implicit-def: $sgpr10
	s_and_saveexec_b64 s[6:7], vcc
	s_xor_b64 s[6:7], exec, s[6:7]
	s_cbranch_execnz .LBB36_3285
; %bb.1237:
	s_or_saveexec_b64 s[6:7], s[6:7]
	v_mov_b32_e32 v6, s10
	s_xor_b64 exec, exec, s[6:7]
	s_cbranch_execnz .LBB36_3288
.LBB36_1238:
	s_or_b64 exec, exec, s[6:7]
	s_and_saveexec_b64 s[6:7], s[4:5]
	s_cbranch_execz .LBB36_1240
.LBB36_1239:
	v_bfe_u32 v3, v4, 16, 3
	v_ffbh_u32_e32 v10, v3
	v_min_u32_e32 v10, 32, v10
	v_lshrrev_b32_e32 v6, 19, v4
	v_subrev_u32_e32 v11, 28, v10
	v_and_b32_e32 v6, 15, v6
	v_lshlrev_b32_sdwa v11, v11, v4 dst_sel:DWORD dst_unused:UNUSED_PAD src0_sel:DWORD src1_sel:WORD_1
	v_bfe_u32 v7, v4, 19, 4
	v_sub_u32_e32 v10, 29, v10
	v_and_b32_e32 v11, 7, v11
	v_cmp_eq_u16_e32 vcc, 0, v6
	v_cndmask_b32_e32 v3, v3, v11, vcc
	v_cndmask_b32_e32 v6, v7, v10, vcc
	v_lshlrev_b32_e32 v7, 8, v4
	v_mov_b32_e32 v10, 0x3b800000
	v_lshlrev_b32_e32 v3, 20, v3
	v_and_b32_e32 v7, 0x80000000, v7
	v_lshl_add_u32 v6, v6, 23, v10
	v_or3_b32 v6, v7, v6, v3
.LBB36_1240:
	s_or_b64 exec, exec, s[6:7]
	s_nop 0
	v_mfma_f32_16x16x4f32 a[0:3], v2, v6, a[0:3]
	s_movk_i32 s4, 0x7f
	v_cmp_gt_i16_sdwa s[6:7], v8, s4 src0_sel:BYTE_3 src1_sel:DWORD
	s_mov_b64 s[4:5], 0
                                        ; implicit-def: $sgpr10
	s_and_saveexec_b64 s[8:9], s[6:7]
	s_xor_b64 s[6:7], exec, s[8:9]
	s_cbranch_execnz .LBB36_3289
; %bb.1241:
	s_or_saveexec_b64 s[6:7], s[6:7]
	v_mov_b32_e32 v2, s10
	s_xor_b64 exec, exec, s[6:7]
	s_cbranch_execnz .LBB36_3292
.LBB36_1242:
	s_or_b64 exec, exec, s[6:7]
	s_and_saveexec_b64 s[6:7], s[4:5]
	s_cbranch_execz .LBB36_1244
.LBB36_1243:
	v_bfe_u32 v2, v8, 24, 3
	v_ffbh_u32_e32 v10, v2
	v_min_u32_e32 v10, 32, v10
	v_lshrrev_b32_e32 v6, 27, v8
	v_subrev_u32_e32 v11, 28, v10
	v_and_b32_e32 v3, 0x80000000, v8
	v_and_b32_e32 v6, 15, v6
	v_bfe_u32 v7, v8, 27, 4
	v_lshlrev_b32_sdwa v8, v11, v8 dst_sel:DWORD dst_unused:UNUSED_PAD src0_sel:DWORD src1_sel:BYTE_3
	v_sub_u32_e32 v10, 29, v10
	v_and_b32_e32 v8, 7, v8
	v_cmp_eq_u16_e32 vcc, 0, v6
	v_cndmask_b32_e32 v2, v2, v8, vcc
	v_cndmask_b32_e32 v6, v7, v10, vcc
	v_mov_b32_e32 v7, 0x3b800000
	v_lshlrev_b32_e32 v2, 20, v2
	v_lshl_add_u32 v6, v6, 23, v7
	v_or3_b32 v2, v3, v6, v2
.LBB36_1244:
	s_or_b64 exec, exec, s[6:7]
	s_movk_i32 s4, 0x7f
	v_cmp_gt_i16_sdwa s[6:7], v4, s4 src0_sel:BYTE_3 src1_sel:DWORD
	s_mov_b64 s[4:5], 0
                                        ; implicit-def: $sgpr10
	s_and_saveexec_b64 s[8:9], s[6:7]
	s_xor_b64 s[6:7], exec, s[8:9]
	s_cbranch_execnz .LBB36_3293
; %bb.1245:
	s_or_saveexec_b64 s[6:7], s[6:7]
	v_mov_b32_e32 v3, s10
	s_xor_b64 exec, exec, s[6:7]
	s_cbranch_execnz .LBB36_3296
.LBB36_1246:
	s_or_b64 exec, exec, s[6:7]
	s_and_saveexec_b64 s[6:7], s[4:5]
	s_cbranch_execz .LBB36_1248
.LBB36_1247:
	v_bfe_u32 v3, v4, 24, 3
	v_ffbh_u32_e32 v10, v3
	v_min_u32_e32 v10, 32, v10
	v_lshrrev_b32_e32 v7, 27, v4
	v_subrev_u32_e32 v11, 28, v10
	v_and_b32_e32 v6, 0x80000000, v4
	v_and_b32_e32 v7, 15, v7
	v_bfe_u32 v8, v4, 27, 4
	v_lshlrev_b32_sdwa v4, v11, v4 dst_sel:DWORD dst_unused:UNUSED_PAD src0_sel:DWORD src1_sel:BYTE_3
	v_sub_u32_e32 v10, 29, v10
	v_and_b32_e32 v4, 7, v4
	v_cmp_eq_u16_e32 vcc, 0, v7
	v_cndmask_b32_e32 v3, v3, v4, vcc
	v_cndmask_b32_e32 v4, v8, v10, vcc
	v_mov_b32_e32 v7, 0x3b800000
	v_lshlrev_b32_e32 v3, 20, v3
	v_lshl_add_u32 v4, v4, 23, v7
	v_or3_b32 v3, v6, v4, v3
.LBB36_1248:
	s_or_b64 exec, exec, s[6:7]
	s_nop 0
	v_mfma_f32_16x16x4f32 a[0:3], v2, v3, a[0:3]
	s_movk_i32 s4, 0x7f
	v_cmp_gt_i16_sdwa s[6:7], v9, s4 src0_sel:BYTE_0 src1_sel:DWORD
	s_mov_b64 s[4:5], 0
                                        ; implicit-def: $sgpr10
	s_and_saveexec_b64 s[8:9], s[6:7]
	s_xor_b64 s[6:7], exec, s[8:9]
	s_cbranch_execnz .LBB36_3297
; %bb.1249:
	s_or_saveexec_b64 s[6:7], s[6:7]
	v_mov_b32_e32 v2, s10
	s_xor_b64 exec, exec, s[6:7]
	s_cbranch_execnz .LBB36_3300
.LBB36_1250:
	s_or_b64 exec, exec, s[6:7]
	s_and_saveexec_b64 s[6:7], s[4:5]
	s_cbranch_execz .LBB36_1252
.LBB36_1251:
	v_mov_b32_e32 v2, 8
	v_and_b32_e32 v3, 7, v9
	v_lshrrev_b32_sdwa v2, v2, v9 dst_sel:BYTE_1 dst_unused:UNUSED_PAD src0_sel:DWORD src1_sel:DWORD
	v_ffbh_u32_e32 v4, v3
	v_or_b32_sdwa v2, v9, v2 dst_sel:DWORD dst_unused:UNUSED_PAD src0_sel:BYTE_0 src1_sel:DWORD
	v_min_u32_e32 v4, 32, v4
	v_lshrrev_b16_e32 v2, 3, v2
	v_subrev_u32_e32 v6, 28, v4
	v_and_b32_e32 v2, 15, v2
	v_lshlrev_b32_e32 v6, v6, v9
	v_sub_u32_e32 v4, 29, v4
	v_and_b32_e32 v6, 7, v6
	v_cmp_eq_u16_e32 vcc, 0, v2
	v_cndmask_b32_e32 v3, v3, v6, vcc
	v_cndmask_b32_e32 v2, v2, v4, vcc
	v_lshlrev_b32_e32 v4, 24, v9
	v_mov_b32_e32 v6, 0x3b800000
	v_lshlrev_b32_e32 v3, 20, v3
	v_and_b32_e32 v4, 0x80000000, v4
	v_lshl_add_u32 v2, v2, 23, v6
	v_or3_b32 v2, v4, v2, v3
.LBB36_1252:
	s_or_b64 exec, exec, s[6:7]
	s_movk_i32 s4, 0x7f
	v_cmp_gt_i16_sdwa s[6:7], v5, s4 src0_sel:BYTE_0 src1_sel:DWORD
	s_mov_b64 s[4:5], 0
                                        ; implicit-def: $sgpr10
	s_and_saveexec_b64 s[8:9], s[6:7]
	s_xor_b64 s[6:7], exec, s[8:9]
	s_cbranch_execnz .LBB36_3301
; %bb.1253:
	s_or_saveexec_b64 s[6:7], s[6:7]
	v_mov_b32_e32 v3, s10
	s_xor_b64 exec, exec, s[6:7]
	s_cbranch_execnz .LBB36_3304
.LBB36_1254:
	s_or_b64 exec, exec, s[6:7]
	s_and_saveexec_b64 s[6:7], s[4:5]
	s_cbranch_execz .LBB36_1256
.LBB36_1255:
	v_mov_b32_e32 v3, 8
	v_and_b32_e32 v4, 7, v5
	v_lshrrev_b32_sdwa v3, v3, v5 dst_sel:BYTE_1 dst_unused:UNUSED_PAD src0_sel:DWORD src1_sel:DWORD
	v_ffbh_u32_e32 v6, v4
	v_or_b32_sdwa v3, v5, v3 dst_sel:DWORD dst_unused:UNUSED_PAD src0_sel:BYTE_0 src1_sel:DWORD
	v_min_u32_e32 v6, 32, v6
	v_lshrrev_b16_e32 v3, 3, v3
	v_subrev_u32_e32 v7, 28, v6
	v_and_b32_e32 v3, 15, v3
	v_lshlrev_b32_e32 v7, v7, v5
	v_sub_u32_e32 v6, 29, v6
	v_and_b32_e32 v7, 7, v7
	v_cmp_eq_u16_e32 vcc, 0, v3
	v_cndmask_b32_e32 v4, v4, v7, vcc
	v_cndmask_b32_e32 v3, v3, v6, vcc
	v_lshlrev_b32_e32 v6, 24, v5
	v_mov_b32_e32 v7, 0x3b800000
	v_lshlrev_b32_e32 v4, 20, v4
	v_and_b32_e32 v6, 0x80000000, v6
	v_lshl_add_u32 v3, v3, 23, v7
	v_or3_b32 v3, v6, v3, v4
.LBB36_1256:
	s_or_b64 exec, exec, s[6:7]
	s_nop 0
	v_mfma_f32_16x16x4f32 a[0:3], v2, v3, a[0:3]
	v_lshrrev_b32_e32 v3, 8, v9
	s_movk_i32 s4, 0x7f
	v_cmp_gt_i16_sdwa s[6:7], v3, s4 src0_sel:BYTE_0 src1_sel:DWORD
	s_mov_b64 s[4:5], 0
                                        ; implicit-def: $sgpr10
	s_and_saveexec_b64 s[8:9], s[6:7]
	s_xor_b64 s[6:7], exec, s[8:9]
	s_cbranch_execnz .LBB36_3305
; %bb.1257:
	s_or_saveexec_b64 s[6:7], s[6:7]
	v_mov_b32_e32 v2, s10
	s_xor_b64 exec, exec, s[6:7]
	s_cbranch_execnz .LBB36_3308
.LBB36_1258:
	s_or_b64 exec, exec, s[6:7]
	s_and_saveexec_b64 s[6:7], s[4:5]
	s_cbranch_execz .LBB36_1260
.LBB36_1259:
	v_bfe_u32 v2, v9, 8, 3
	v_ffbh_u32_e32 v6, v2
	v_min_u32_e32 v6, 32, v6
	v_lshrrev_b16_e32 v4, 3, v3
	v_subrev_u32_e32 v7, 28, v6
	v_and_b32_e32 v4, 15, v4
	v_lshlrev_b32_e32 v3, v7, v3
	v_sub_u32_e32 v6, 29, v6
	v_and_b32_e32 v3, 7, v3
	v_cmp_eq_u16_e32 vcc, 0, v4
	v_cndmask_b32_e32 v2, v2, v3, vcc
	v_cndmask_b32_e32 v3, v4, v6, vcc
	v_lshlrev_b32_e32 v4, 16, v9
	v_mov_b32_e32 v6, 0x3b800000
	v_lshlrev_b32_e32 v2, 20, v2
	v_and_b32_e32 v4, 0x80000000, v4
	v_lshl_add_u32 v3, v3, 23, v6
	v_or3_b32 v2, v4, v3, v2
.LBB36_1260:
	s_or_b64 exec, exec, s[6:7]
	v_lshrrev_b32_e32 v3, 8, v5
	s_movk_i32 s4, 0x7f
	v_cmp_gt_i16_sdwa s[6:7], v3, s4 src0_sel:BYTE_0 src1_sel:DWORD
	s_mov_b64 s[4:5], 0
                                        ; implicit-def: $sgpr10
	s_and_saveexec_b64 s[8:9], s[6:7]
	s_xor_b64 s[6:7], exec, s[8:9]
	s_cbranch_execnz .LBB36_3309
; %bb.1261:
	s_or_saveexec_b64 s[6:7], s[6:7]
	v_mov_b32_e32 v4, s10
	s_xor_b64 exec, exec, s[6:7]
	s_cbranch_execnz .LBB36_3312
.LBB36_1262:
	s_or_b64 exec, exec, s[6:7]
	s_and_saveexec_b64 s[6:7], s[4:5]
	s_cbranch_execz .LBB36_1264
.LBB36_1263:
	v_bfe_u32 v4, v5, 8, 3
	v_ffbh_u32_e32 v7, v4
	v_min_u32_e32 v7, 32, v7
	v_lshrrev_b16_e32 v6, 3, v3
	v_subrev_u32_e32 v8, 28, v7
	v_and_b32_e32 v6, 15, v6
	v_lshlrev_b32_e32 v3, v8, v3
	v_sub_u32_e32 v7, 29, v7
	v_and_b32_e32 v3, 7, v3
	v_cmp_eq_u16_e32 vcc, 0, v6
	v_cndmask_b32_e32 v3, v4, v3, vcc
	v_cndmask_b32_e32 v4, v6, v7, vcc
	v_lshlrev_b32_e32 v6, 16, v5
	v_mov_b32_e32 v7, 0x3b800000
	v_lshlrev_b32_e32 v3, 20, v3
	v_and_b32_e32 v6, 0x80000000, v6
	v_lshl_add_u32 v4, v4, 23, v7
	v_or3_b32 v4, v6, v4, v3
.LBB36_1264:
	s_or_b64 exec, exec, s[6:7]
	s_nop 0
	v_mfma_f32_16x16x4f32 a[0:3], v2, v4, a[0:3]
	s_movk_i32 s4, 0xff
	v_and_b32_sdwa v3, v9, s4 dst_sel:DWORD dst_unused:UNUSED_PAD src0_sel:WORD_1 src1_sel:DWORD
	s_movk_i32 s4, 0x7f
	v_cmp_lt_i16_e32 vcc, s4, v3
	s_mov_b64 s[4:5], 0
                                        ; implicit-def: $sgpr10
	s_and_saveexec_b64 s[6:7], vcc
	s_xor_b64 s[6:7], exec, s[6:7]
	s_cbranch_execnz .LBB36_3313
; %bb.1265:
	s_or_saveexec_b64 s[6:7], s[6:7]
	v_mov_b32_e32 v2, s10
	s_xor_b64 exec, exec, s[6:7]
	s_cbranch_execnz .LBB36_3316
.LBB36_1266:
	s_or_b64 exec, exec, s[6:7]
	s_and_saveexec_b64 s[6:7], s[4:5]
	s_cbranch_execz .LBB36_1268
.LBB36_1267:
	v_bfe_u32 v2, v9, 16, 3
	v_ffbh_u32_e32 v6, v2
	v_min_u32_e32 v6, 32, v6
	v_lshrrev_b32_e32 v3, 19, v9
	v_subrev_u32_e32 v7, 28, v6
	v_and_b32_e32 v3, 15, v3
	v_lshlrev_b32_sdwa v7, v7, v9 dst_sel:DWORD dst_unused:UNUSED_PAD src0_sel:DWORD src1_sel:WORD_1
	v_bfe_u32 v4, v9, 19, 4
	v_sub_u32_e32 v6, 29, v6
	v_and_b32_e32 v7, 7, v7
	v_cmp_eq_u16_e32 vcc, 0, v3
	v_cndmask_b32_e32 v2, v2, v7, vcc
	v_cndmask_b32_e32 v3, v4, v6, vcc
	v_lshlrev_b32_e32 v4, 8, v9
	v_mov_b32_e32 v6, 0x3b800000
	v_lshlrev_b32_e32 v2, 20, v2
	v_and_b32_e32 v4, 0x80000000, v4
	v_lshl_add_u32 v3, v3, 23, v6
	v_or3_b32 v2, v4, v3, v2
.LBB36_1268:
	s_or_b64 exec, exec, s[6:7]
	s_movk_i32 s4, 0xff
	v_and_b32_sdwa v3, v5, s4 dst_sel:DWORD dst_unused:UNUSED_PAD src0_sel:WORD_1 src1_sel:DWORD
	s_movk_i32 s4, 0x7f
	v_cmp_lt_i16_e32 vcc, s4, v3
	s_mov_b64 s[4:5], 0
                                        ; implicit-def: $sgpr10
	s_and_saveexec_b64 s[6:7], vcc
	s_xor_b64 s[6:7], exec, s[6:7]
	s_cbranch_execnz .LBB36_3317
; %bb.1269:
	s_or_saveexec_b64 s[6:7], s[6:7]
	v_mov_b32_e32 v4, s10
	s_xor_b64 exec, exec, s[6:7]
	s_cbranch_execnz .LBB36_3320
.LBB36_1270:
	s_or_b64 exec, exec, s[6:7]
	s_and_saveexec_b64 s[6:7], s[4:5]
	s_cbranch_execz .LBB36_1272
.LBB36_1271:
	v_bfe_u32 v3, v5, 16, 3
	v_ffbh_u32_e32 v7, v3
	v_min_u32_e32 v7, 32, v7
	v_lshrrev_b32_e32 v4, 19, v5
	v_subrev_u32_e32 v8, 28, v7
	v_and_b32_e32 v4, 15, v4
	v_lshlrev_b32_sdwa v8, v8, v5 dst_sel:DWORD dst_unused:UNUSED_PAD src0_sel:DWORD src1_sel:WORD_1
	v_bfe_u32 v6, v5, 19, 4
	v_sub_u32_e32 v7, 29, v7
	v_and_b32_e32 v8, 7, v8
	v_cmp_eq_u16_e32 vcc, 0, v4
	v_cndmask_b32_e32 v3, v3, v8, vcc
	v_cndmask_b32_e32 v4, v6, v7, vcc
	v_lshlrev_b32_e32 v6, 8, v5
	v_mov_b32_e32 v7, 0x3b800000
	v_lshlrev_b32_e32 v3, 20, v3
	v_and_b32_e32 v6, 0x80000000, v6
	v_lshl_add_u32 v4, v4, 23, v7
	v_or3_b32 v4, v6, v4, v3
.LBB36_1272:
	s_or_b64 exec, exec, s[6:7]
	s_nop 0
	v_mfma_f32_16x16x4f32 a[0:3], v2, v4, a[0:3]
	s_movk_i32 s4, 0x7f
	v_cmp_gt_i16_sdwa s[6:7], v9, s4 src0_sel:BYTE_3 src1_sel:DWORD
	s_mov_b64 s[4:5], 0
                                        ; implicit-def: $sgpr10
	s_and_saveexec_b64 s[8:9], s[6:7]
	s_xor_b64 s[6:7], exec, s[8:9]
	s_cbranch_execnz .LBB36_3321
; %bb.1273:
	s_or_saveexec_b64 s[6:7], s[6:7]
	v_mov_b32_e32 v2, s10
	s_xor_b64 exec, exec, s[6:7]
	s_cbranch_execnz .LBB36_3324
.LBB36_1274:
	s_or_b64 exec, exec, s[6:7]
	s_and_saveexec_b64 s[6:7], s[4:5]
	s_cbranch_execz .LBB36_1276
.LBB36_1275:
	v_bfe_u32 v2, v9, 24, 3
	v_ffbh_u32_e32 v7, v2
	v_min_u32_e32 v7, 32, v7
	v_lshrrev_b32_e32 v4, 27, v9
	v_subrev_u32_e32 v8, 28, v7
	v_and_b32_e32 v4, 15, v4
	v_lshlrev_b32_sdwa v8, v8, v9 dst_sel:DWORD dst_unused:UNUSED_PAD src0_sel:DWORD src1_sel:BYTE_3
	v_bfe_u32 v6, v9, 27, 4
	v_sub_u32_e32 v7, 29, v7
	v_and_b32_e32 v8, 7, v8
	v_cmp_eq_u16_e32 vcc, 0, v4
	v_cndmask_b32_e32 v2, v2, v8, vcc
	v_cndmask_b32_e32 v4, v6, v7, vcc
	v_mov_b32_e32 v6, 0x3b800000
	v_and_b32_e32 v3, 0x80000000, v9
	v_lshlrev_b32_e32 v2, 20, v2
	v_lshl_add_u32 v4, v4, 23, v6
	v_or3_b32 v2, v3, v4, v2
.LBB36_1276:
	s_or_b64 exec, exec, s[6:7]
	s_movk_i32 s4, 0x7f
	v_cmp_gt_i16_sdwa s[6:7], v5, s4 src0_sel:BYTE_3 src1_sel:DWORD
	s_mov_b64 s[4:5], 0
                                        ; implicit-def: $sgpr10
	s_and_saveexec_b64 s[8:9], s[6:7]
	s_xor_b64 s[6:7], exec, s[8:9]
	s_cbranch_execnz .LBB36_3325
; %bb.1277:
	s_or_saveexec_b64 s[6:7], s[6:7]
	v_mov_b32_e32 v3, s10
	s_xor_b64 exec, exec, s[6:7]
	s_cbranch_execnz .LBB36_3328
.LBB36_1278:
	s_or_b64 exec, exec, s[6:7]
	s_and_saveexec_b64 s[6:7], s[4:5]
	s_cbranch_execz .LBB36_1280
.LBB36_1279:
	v_bfe_u32 v3, v5, 24, 3
	v_ffbh_u32_e32 v8, v3
	v_min_u32_e32 v8, 32, v8
	v_lshrrev_b32_e32 v6, 27, v5
	v_subrev_u32_e32 v9, 28, v8
	v_and_b32_e32 v4, 0x80000000, v5
	v_and_b32_e32 v6, 15, v6
	v_bfe_u32 v7, v5, 27, 4
	v_lshlrev_b32_sdwa v5, v9, v5 dst_sel:DWORD dst_unused:UNUSED_PAD src0_sel:DWORD src1_sel:BYTE_3
	v_sub_u32_e32 v8, 29, v8
	v_and_b32_e32 v5, 7, v5
	v_cmp_eq_u16_e32 vcc, 0, v6
	v_cndmask_b32_e32 v3, v3, v5, vcc
	v_cndmask_b32_e32 v5, v7, v8, vcc
	v_mov_b32_e32 v6, 0x3b800000
	v_lshlrev_b32_e32 v3, 20, v3
	v_lshl_add_u32 v5, v5, 23, v6
	v_or3_b32 v3, v4, v5, v3
.LBB36_1280:
	s_or_b64 exec, exec, s[6:7]
	s_nop 0
	v_mfma_f32_16x16x4f32 a[0:3], v2, v3, a[0:3]
	s_movk_i32 s4, 0x7f
                                        ; implicit-def: $sgpr10
	s_nop 7
	s_nop 1
	flat_store_dwordx4 v[18:19], a[0:3] offset:64
	flat_load_dwordx4 v[20:23], v[0:1] offset:16
	s_nop 0
	flat_load_dwordx2 v[18:19], v[0:1] offset:32
	s_waitcnt vmcnt(0) lgkmcnt(0)
	flat_load_dwordx4 v[14:17], v[20:21]
	flat_load_dwordx4 v[6:9], v[20:21] offset:16
	flat_load_dwordx4 v[10:13], v[22:23] offset:416
	;; [unrolled: 1-line block ×3, first 2 shown]
	s_waitcnt vmcnt(0) lgkmcnt(0)
	v_cmp_gt_i16_sdwa s[6:7], v14, s4 src0_sel:BYTE_0 src1_sel:DWORD
	s_mov_b64 s[4:5], 0
	s_and_saveexec_b64 s[8:9], s[6:7]
	s_xor_b64 s[6:7], exec, s[8:9]
	s_cbranch_execnz .LBB36_3329
; %bb.1281:
	s_or_saveexec_b64 s[6:7], s[6:7]
	v_mov_b32_e32 v20, s10
	s_xor_b64 exec, exec, s[6:7]
	s_cbranch_execnz .LBB36_3332
.LBB36_1282:
	s_or_b64 exec, exec, s[6:7]
	s_and_saveexec_b64 s[6:7], s[4:5]
	s_cbranch_execz .LBB36_1284
.LBB36_1283:
	v_and_b32_e32 v20, 7, v14
	v_ffbh_u32_e32 v22, v20
	v_min_u32_e32 v22, 32, v22
	v_lshrrev_b16_e32 v21, 3, v14
	v_subrev_u32_e32 v23, 28, v22
	v_and_b32_e32 v21, 15, v21
	v_lshlrev_b32_e32 v23, v23, v14
	v_sub_u32_e32 v22, 29, v22
	v_and_b32_e32 v23, 7, v23
	v_cmp_eq_u16_e32 vcc, 0, v21
	v_cndmask_b32_e32 v20, v20, v23, vcc
	v_cndmask_b32_e32 v21, v21, v22, vcc
	v_lshlrev_b32_e32 v22, 24, v14
	v_mov_b32_e32 v23, 0x3b800000
	v_lshlrev_b32_e32 v20, 20, v20
	v_and_b32_e32 v22, 0x80000000, v22
	v_lshl_add_u32 v21, v21, 23, v23
	v_or3_b32 v20, v22, v21, v20
.LBB36_1284:
	s_or_b64 exec, exec, s[6:7]
	s_movk_i32 s4, 0x7f
	v_cmp_gt_i16_sdwa s[6:7], v10, s4 src0_sel:BYTE_0 src1_sel:DWORD
	s_mov_b64 s[4:5], 0
                                        ; implicit-def: $sgpr10
	s_and_saveexec_b64 s[8:9], s[6:7]
	s_xor_b64 s[6:7], exec, s[8:9]
	s_cbranch_execnz .LBB36_3333
; %bb.1285:
	s_or_saveexec_b64 s[6:7], s[6:7]
	v_mov_b32_e32 v21, s10
	s_xor_b64 exec, exec, s[6:7]
	s_cbranch_execnz .LBB36_3336
.LBB36_1286:
	s_or_b64 exec, exec, s[6:7]
	s_and_saveexec_b64 s[6:7], s[4:5]
	s_cbranch_execz .LBB36_1288
.LBB36_1287:
	v_and_b32_e32 v21, 7, v10
	v_ffbh_u32_e32 v23, v21
	v_min_u32_e32 v23, 32, v23
	v_lshrrev_b16_e32 v22, 3, v10
	v_subrev_u32_e32 v24, 28, v23
	v_and_b32_e32 v22, 15, v22
	v_lshlrev_b32_e32 v24, v24, v10
	v_sub_u32_e32 v23, 29, v23
	v_and_b32_e32 v24, 7, v24
	v_cmp_eq_u16_e32 vcc, 0, v22
	v_cndmask_b32_e32 v21, v21, v24, vcc
	v_cndmask_b32_e32 v22, v22, v23, vcc
	v_lshlrev_b32_e32 v23, 24, v10
	v_mov_b32_e32 v24, 0x3b800000
	v_lshlrev_b32_e32 v21, 20, v21
	v_and_b32_e32 v23, 0x80000000, v23
	v_lshl_add_u32 v22, v22, 23, v24
	v_or3_b32 v21, v23, v22, v21
.LBB36_1288:
	s_or_b64 exec, exec, s[6:7]
	flat_load_dwordx4 a[0:3], v[18:19] offset:80
	s_movk_i32 s4, 0x7f
                                        ; implicit-def: $sgpr10
	s_waitcnt vmcnt(0) lgkmcnt(0)
	v_mfma_f32_16x16x4f32 a[0:3], v20, v21, a[0:3]
	v_lshrrev_b32_e32 v21, 8, v14
	v_cmp_gt_i16_sdwa s[6:7], v21, s4 src0_sel:BYTE_0 src1_sel:DWORD
	s_mov_b64 s[4:5], 0
	s_and_saveexec_b64 s[8:9], s[6:7]
	s_xor_b64 s[6:7], exec, s[8:9]
	s_cbranch_execnz .LBB36_3337
; %bb.1289:
	s_or_saveexec_b64 s[6:7], s[6:7]
	v_mov_b32_e32 v20, s10
	s_xor_b64 exec, exec, s[6:7]
	s_cbranch_execnz .LBB36_3340
.LBB36_1290:
	s_or_b64 exec, exec, s[6:7]
	s_and_saveexec_b64 s[6:7], s[4:5]
	s_cbranch_execz .LBB36_1292
.LBB36_1291:
	v_bfe_u32 v20, v14, 8, 3
	v_ffbh_u32_e32 v23, v20
	v_min_u32_e32 v23, 32, v23
	v_lshrrev_b16_e32 v22, 3, v21
	v_subrev_u32_e32 v24, 28, v23
	v_and_b32_e32 v22, 15, v22
	v_lshlrev_b32_e32 v21, v24, v21
	v_sub_u32_e32 v23, 29, v23
	v_and_b32_e32 v21, 7, v21
	v_cmp_eq_u16_e32 vcc, 0, v22
	v_cndmask_b32_e32 v20, v20, v21, vcc
	v_cndmask_b32_e32 v21, v22, v23, vcc
	v_lshlrev_b32_e32 v22, 16, v14
	v_mov_b32_e32 v23, 0x3b800000
	v_lshlrev_b32_e32 v20, 20, v20
	v_and_b32_e32 v22, 0x80000000, v22
	v_lshl_add_u32 v21, v21, 23, v23
	v_or3_b32 v20, v22, v21, v20
.LBB36_1292:
	s_or_b64 exec, exec, s[6:7]
	v_lshrrev_b32_e32 v21, 8, v10
	s_movk_i32 s4, 0x7f
	v_cmp_gt_i16_sdwa s[6:7], v21, s4 src0_sel:BYTE_0 src1_sel:DWORD
	s_mov_b64 s[4:5], 0
                                        ; implicit-def: $sgpr10
	s_and_saveexec_b64 s[8:9], s[6:7]
	s_xor_b64 s[6:7], exec, s[8:9]
	s_cbranch_execnz .LBB36_3341
; %bb.1293:
	s_or_saveexec_b64 s[6:7], s[6:7]
	v_mov_b32_e32 v22, s10
	s_xor_b64 exec, exec, s[6:7]
	s_cbranch_execnz .LBB36_3344
.LBB36_1294:
	s_or_b64 exec, exec, s[6:7]
	s_and_saveexec_b64 s[6:7], s[4:5]
	s_cbranch_execz .LBB36_1296
.LBB36_1295:
	v_bfe_u32 v22, v10, 8, 3
	v_ffbh_u32_e32 v24, v22
	v_min_u32_e32 v24, 32, v24
	v_lshrrev_b16_e32 v23, 3, v21
	v_subrev_u32_e32 v25, 28, v24
	v_and_b32_e32 v23, 15, v23
	v_lshlrev_b32_e32 v21, v25, v21
	v_sub_u32_e32 v24, 29, v24
	v_and_b32_e32 v21, 7, v21
	v_cmp_eq_u16_e32 vcc, 0, v23
	v_cndmask_b32_e32 v21, v22, v21, vcc
	v_cndmask_b32_e32 v22, v23, v24, vcc
	v_lshlrev_b32_e32 v23, 16, v10
	v_mov_b32_e32 v24, 0x3b800000
	v_lshlrev_b32_e32 v21, 20, v21
	v_and_b32_e32 v23, 0x80000000, v23
	v_lshl_add_u32 v22, v22, 23, v24
	v_or3_b32 v22, v23, v22, v21
.LBB36_1296:
	s_or_b64 exec, exec, s[6:7]
	s_nop 0
	v_mfma_f32_16x16x4f32 a[0:3], v20, v22, a[0:3]
	s_movk_i32 s4, 0xff
	v_and_b32_sdwa v21, v14, s4 dst_sel:DWORD dst_unused:UNUSED_PAD src0_sel:WORD_1 src1_sel:DWORD
	s_movk_i32 s4, 0x7f
	v_cmp_lt_i16_e32 vcc, s4, v21
	s_mov_b64 s[4:5], 0
                                        ; implicit-def: $sgpr10
	s_and_saveexec_b64 s[6:7], vcc
	s_xor_b64 s[6:7], exec, s[6:7]
	s_cbranch_execnz .LBB36_3345
; %bb.1297:
	s_or_saveexec_b64 s[6:7], s[6:7]
	v_mov_b32_e32 v20, s10
	s_xor_b64 exec, exec, s[6:7]
	s_cbranch_execnz .LBB36_3348
.LBB36_1298:
	s_or_b64 exec, exec, s[6:7]
	s_and_saveexec_b64 s[6:7], s[4:5]
	s_cbranch_execz .LBB36_1300
.LBB36_1299:
	v_bfe_u32 v20, v14, 16, 3
	v_ffbh_u32_e32 v23, v20
	v_min_u32_e32 v23, 32, v23
	v_lshrrev_b32_e32 v21, 19, v14
	v_subrev_u32_e32 v24, 28, v23
	v_and_b32_e32 v21, 15, v21
	v_lshlrev_b32_sdwa v24, v24, v14 dst_sel:DWORD dst_unused:UNUSED_PAD src0_sel:DWORD src1_sel:WORD_1
	v_bfe_u32 v22, v14, 19, 4
	v_sub_u32_e32 v23, 29, v23
	v_and_b32_e32 v24, 7, v24
	v_cmp_eq_u16_e32 vcc, 0, v21
	v_cndmask_b32_e32 v20, v20, v24, vcc
	v_cndmask_b32_e32 v21, v22, v23, vcc
	v_lshlrev_b32_e32 v22, 8, v14
	v_mov_b32_e32 v23, 0x3b800000
	v_lshlrev_b32_e32 v20, 20, v20
	v_and_b32_e32 v22, 0x80000000, v22
	v_lshl_add_u32 v21, v21, 23, v23
	v_or3_b32 v20, v22, v21, v20
.LBB36_1300:
	s_or_b64 exec, exec, s[6:7]
	s_movk_i32 s4, 0xff
	v_and_b32_sdwa v21, v10, s4 dst_sel:DWORD dst_unused:UNUSED_PAD src0_sel:WORD_1 src1_sel:DWORD
	s_movk_i32 s4, 0x7f
	v_cmp_lt_i16_e32 vcc, s4, v21
	s_mov_b64 s[4:5], 0
                                        ; implicit-def: $sgpr10
	s_and_saveexec_b64 s[6:7], vcc
	s_xor_b64 s[6:7], exec, s[6:7]
	s_cbranch_execnz .LBB36_3349
; %bb.1301:
	s_or_saveexec_b64 s[6:7], s[6:7]
	v_mov_b32_e32 v22, s10
	s_xor_b64 exec, exec, s[6:7]
	s_cbranch_execnz .LBB36_3352
.LBB36_1302:
	s_or_b64 exec, exec, s[6:7]
	s_and_saveexec_b64 s[6:7], s[4:5]
	s_cbranch_execz .LBB36_1304
.LBB36_1303:
	v_bfe_u32 v21, v10, 16, 3
	v_ffbh_u32_e32 v24, v21
	v_min_u32_e32 v24, 32, v24
	v_lshrrev_b32_e32 v22, 19, v10
	v_subrev_u32_e32 v25, 28, v24
	v_and_b32_e32 v22, 15, v22
	v_lshlrev_b32_sdwa v25, v25, v10 dst_sel:DWORD dst_unused:UNUSED_PAD src0_sel:DWORD src1_sel:WORD_1
	v_bfe_u32 v23, v10, 19, 4
	v_sub_u32_e32 v24, 29, v24
	v_and_b32_e32 v25, 7, v25
	v_cmp_eq_u16_e32 vcc, 0, v22
	v_cndmask_b32_e32 v21, v21, v25, vcc
	v_cndmask_b32_e32 v22, v23, v24, vcc
	v_lshlrev_b32_e32 v23, 8, v10
	v_mov_b32_e32 v24, 0x3b800000
	v_lshlrev_b32_e32 v21, 20, v21
	v_and_b32_e32 v23, 0x80000000, v23
	v_lshl_add_u32 v22, v22, 23, v24
	v_or3_b32 v22, v23, v22, v21
.LBB36_1304:
	s_or_b64 exec, exec, s[6:7]
	s_nop 0
	v_mfma_f32_16x16x4f32 a[0:3], v20, v22, a[0:3]
	s_movk_i32 s4, 0x7f
	v_cmp_gt_i16_sdwa s[6:7], v14, s4 src0_sel:BYTE_3 src1_sel:DWORD
	s_mov_b64 s[4:5], 0
                                        ; implicit-def: $sgpr10
	s_and_saveexec_b64 s[8:9], s[6:7]
	s_xor_b64 s[6:7], exec, s[8:9]
	s_cbranch_execnz .LBB36_3353
; %bb.1305:
	s_or_saveexec_b64 s[6:7], s[6:7]
	v_mov_b32_e32 v20, s10
	s_xor_b64 exec, exec, s[6:7]
	s_cbranch_execnz .LBB36_3356
.LBB36_1306:
	s_or_b64 exec, exec, s[6:7]
	s_and_saveexec_b64 s[6:7], s[4:5]
	s_cbranch_execz .LBB36_1308
.LBB36_1307:
	v_bfe_u32 v20, v14, 24, 3
	v_ffbh_u32_e32 v24, v20
	v_min_u32_e32 v24, 32, v24
	v_lshrrev_b32_e32 v22, 27, v14
	v_subrev_u32_e32 v25, 28, v24
	v_and_b32_e32 v21, 0x80000000, v14
	v_and_b32_e32 v22, 15, v22
	v_bfe_u32 v23, v14, 27, 4
	v_lshlrev_b32_sdwa v14, v25, v14 dst_sel:DWORD dst_unused:UNUSED_PAD src0_sel:DWORD src1_sel:BYTE_3
	v_sub_u32_e32 v24, 29, v24
	v_and_b32_e32 v14, 7, v14
	v_cmp_eq_u16_e32 vcc, 0, v22
	v_cndmask_b32_e32 v14, v20, v14, vcc
	v_cndmask_b32_e32 v20, v23, v24, vcc
	v_mov_b32_e32 v22, 0x3b800000
	v_lshlrev_b32_e32 v14, 20, v14
	v_lshl_add_u32 v20, v20, 23, v22
	v_or3_b32 v20, v21, v20, v14
.LBB36_1308:
	s_or_b64 exec, exec, s[6:7]
	s_movk_i32 s4, 0x7f
	v_cmp_gt_i16_sdwa s[6:7], v10, s4 src0_sel:BYTE_3 src1_sel:DWORD
	s_mov_b64 s[4:5], 0
                                        ; implicit-def: $sgpr10
	s_and_saveexec_b64 s[8:9], s[6:7]
	s_xor_b64 s[6:7], exec, s[8:9]
	s_cbranch_execnz .LBB36_3357
; %bb.1309:
	s_or_saveexec_b64 s[6:7], s[6:7]
	v_mov_b32_e32 v14, s10
	s_xor_b64 exec, exec, s[6:7]
	s_cbranch_execnz .LBB36_3360
.LBB36_1310:
	s_or_b64 exec, exec, s[6:7]
	s_and_saveexec_b64 s[6:7], s[4:5]
	s_cbranch_execz .LBB36_1312
.LBB36_1311:
	v_bfe_u32 v14, v10, 24, 3
	v_ffbh_u32_e32 v24, v14
	v_min_u32_e32 v24, 32, v24
	v_lshrrev_b32_e32 v22, 27, v10
	v_subrev_u32_e32 v25, 28, v24
	v_and_b32_e32 v21, 0x80000000, v10
	v_and_b32_e32 v22, 15, v22
	v_bfe_u32 v23, v10, 27, 4
	v_lshlrev_b32_sdwa v10, v25, v10 dst_sel:DWORD dst_unused:UNUSED_PAD src0_sel:DWORD src1_sel:BYTE_3
	v_sub_u32_e32 v24, 29, v24
	v_and_b32_e32 v10, 7, v10
	v_cmp_eq_u16_e32 vcc, 0, v22
	v_cndmask_b32_e32 v10, v14, v10, vcc
	v_cndmask_b32_e32 v14, v23, v24, vcc
	v_mov_b32_e32 v22, 0x3b800000
	v_lshlrev_b32_e32 v10, 20, v10
	v_lshl_add_u32 v14, v14, 23, v22
	v_or3_b32 v14, v21, v14, v10
.LBB36_1312:
	s_or_b64 exec, exec, s[6:7]
	s_nop 0
	v_mfma_f32_16x16x4f32 a[0:3], v20, v14, a[0:3]
	s_movk_i32 s4, 0x7f
	v_cmp_gt_i16_sdwa s[6:7], v15, s4 src0_sel:BYTE_0 src1_sel:DWORD
	s_mov_b64 s[4:5], 0
                                        ; implicit-def: $sgpr10
	s_and_saveexec_b64 s[8:9], s[6:7]
	s_xor_b64 s[6:7], exec, s[8:9]
	s_cbranch_execnz .LBB36_3361
; %bb.1313:
	s_or_saveexec_b64 s[6:7], s[6:7]
	v_mov_b32_e32 v10, s10
	s_xor_b64 exec, exec, s[6:7]
	s_cbranch_execnz .LBB36_3364
.LBB36_1314:
	s_or_b64 exec, exec, s[6:7]
	s_and_saveexec_b64 s[6:7], s[4:5]
	s_cbranch_execz .LBB36_1316
.LBB36_1315:
	v_and_b32_e32 v10, 7, v15
	v_ffbh_u32_e32 v20, v10
	v_min_u32_e32 v20, 32, v20
	v_lshrrev_b16_e32 v14, 3, v15
	v_subrev_u32_e32 v21, 28, v20
	v_and_b32_e32 v14, 15, v14
	v_lshlrev_b32_e32 v21, v21, v15
	v_sub_u32_e32 v20, 29, v20
	v_and_b32_e32 v21, 7, v21
	v_cmp_eq_u16_e32 vcc, 0, v14
	v_cndmask_b32_e32 v10, v10, v21, vcc
	v_cndmask_b32_e32 v14, v14, v20, vcc
	v_lshlrev_b32_e32 v20, 24, v15
	v_mov_b32_e32 v21, 0x3b800000
	v_lshlrev_b32_e32 v10, 20, v10
	v_and_b32_e32 v20, 0x80000000, v20
	v_lshl_add_u32 v14, v14, 23, v21
	v_or3_b32 v10, v20, v14, v10
.LBB36_1316:
	s_or_b64 exec, exec, s[6:7]
	s_movk_i32 s4, 0x7f
	v_cmp_gt_i16_sdwa s[6:7], v11, s4 src0_sel:BYTE_0 src1_sel:DWORD
	s_mov_b64 s[4:5], 0
                                        ; implicit-def: $sgpr10
	s_and_saveexec_b64 s[8:9], s[6:7]
	s_xor_b64 s[6:7], exec, s[8:9]
	s_cbranch_execnz .LBB36_3365
; %bb.1317:
	s_or_saveexec_b64 s[6:7], s[6:7]
	v_mov_b32_e32 v14, s10
	s_xor_b64 exec, exec, s[6:7]
	s_cbranch_execnz .LBB36_3368
.LBB36_1318:
	s_or_b64 exec, exec, s[6:7]
	s_and_saveexec_b64 s[6:7], s[4:5]
	s_cbranch_execz .LBB36_1320
.LBB36_1319:
	v_and_b32_e32 v14, 7, v11
	v_ffbh_u32_e32 v21, v14
	v_min_u32_e32 v21, 32, v21
	v_lshrrev_b16_e32 v20, 3, v11
	v_subrev_u32_e32 v22, 28, v21
	v_and_b32_e32 v20, 15, v20
	v_lshlrev_b32_e32 v22, v22, v11
	v_sub_u32_e32 v21, 29, v21
	v_and_b32_e32 v22, 7, v22
	v_cmp_eq_u16_e32 vcc, 0, v20
	v_cndmask_b32_e32 v14, v14, v22, vcc
	v_cndmask_b32_e32 v20, v20, v21, vcc
	v_lshlrev_b32_e32 v21, 24, v11
	v_mov_b32_e32 v22, 0x3b800000
	v_lshlrev_b32_e32 v14, 20, v14
	v_and_b32_e32 v21, 0x80000000, v21
	v_lshl_add_u32 v20, v20, 23, v22
	v_or3_b32 v14, v21, v20, v14
.LBB36_1320:
	s_or_b64 exec, exec, s[6:7]
	s_nop 0
	v_mfma_f32_16x16x4f32 a[0:3], v10, v14, a[0:3]
	v_lshrrev_b32_e32 v14, 8, v15
	s_movk_i32 s4, 0x7f
	v_cmp_gt_i16_sdwa s[6:7], v14, s4 src0_sel:BYTE_0 src1_sel:DWORD
	s_mov_b64 s[4:5], 0
                                        ; implicit-def: $sgpr10
	s_and_saveexec_b64 s[8:9], s[6:7]
	s_xor_b64 s[6:7], exec, s[8:9]
	s_cbranch_execnz .LBB36_3369
; %bb.1321:
	s_or_saveexec_b64 s[6:7], s[6:7]
	v_mov_b32_e32 v10, s10
	s_xor_b64 exec, exec, s[6:7]
	s_cbranch_execnz .LBB36_3372
.LBB36_1322:
	s_or_b64 exec, exec, s[6:7]
	s_and_saveexec_b64 s[6:7], s[4:5]
	s_cbranch_execz .LBB36_1324
.LBB36_1323:
	v_bfe_u32 v10, v15, 8, 3
	v_ffbh_u32_e32 v21, v10
	v_min_u32_e32 v21, 32, v21
	v_lshrrev_b16_e32 v20, 3, v14
	v_subrev_u32_e32 v22, 28, v21
	v_and_b32_e32 v20, 15, v20
	v_lshlrev_b32_e32 v14, v22, v14
	v_sub_u32_e32 v21, 29, v21
	v_and_b32_e32 v14, 7, v14
	v_cmp_eq_u16_e32 vcc, 0, v20
	v_cndmask_b32_e32 v10, v10, v14, vcc
	v_cndmask_b32_e32 v14, v20, v21, vcc
	v_lshlrev_b32_e32 v20, 16, v15
	v_mov_b32_e32 v21, 0x3b800000
	v_lshlrev_b32_e32 v10, 20, v10
	v_and_b32_e32 v20, 0x80000000, v20
	v_lshl_add_u32 v14, v14, 23, v21
	v_or3_b32 v10, v20, v14, v10
.LBB36_1324:
	s_or_b64 exec, exec, s[6:7]
	v_lshrrev_b32_e32 v14, 8, v11
	s_movk_i32 s4, 0x7f
	v_cmp_gt_i16_sdwa s[6:7], v14, s4 src0_sel:BYTE_0 src1_sel:DWORD
	s_mov_b64 s[4:5], 0
                                        ; implicit-def: $sgpr10
	s_and_saveexec_b64 s[8:9], s[6:7]
	s_xor_b64 s[6:7], exec, s[8:9]
	s_cbranch_execnz .LBB36_3373
; %bb.1325:
	s_or_saveexec_b64 s[6:7], s[6:7]
	v_mov_b32_e32 v20, s10
	s_xor_b64 exec, exec, s[6:7]
	s_cbranch_execnz .LBB36_3376
.LBB36_1326:
	s_or_b64 exec, exec, s[6:7]
	s_and_saveexec_b64 s[6:7], s[4:5]
	s_cbranch_execz .LBB36_1328
.LBB36_1327:
	v_bfe_u32 v20, v11, 8, 3
	v_ffbh_u32_e32 v22, v20
	v_min_u32_e32 v22, 32, v22
	v_lshrrev_b16_e32 v21, 3, v14
	v_subrev_u32_e32 v23, 28, v22
	v_and_b32_e32 v21, 15, v21
	v_lshlrev_b32_e32 v14, v23, v14
	v_sub_u32_e32 v22, 29, v22
	v_and_b32_e32 v14, 7, v14
	v_cmp_eq_u16_e32 vcc, 0, v21
	v_cndmask_b32_e32 v14, v20, v14, vcc
	v_cndmask_b32_e32 v20, v21, v22, vcc
	v_lshlrev_b32_e32 v21, 16, v11
	v_mov_b32_e32 v22, 0x3b800000
	v_lshlrev_b32_e32 v14, 20, v14
	v_and_b32_e32 v21, 0x80000000, v21
	v_lshl_add_u32 v20, v20, 23, v22
	v_or3_b32 v20, v21, v20, v14
.LBB36_1328:
	s_or_b64 exec, exec, s[6:7]
	s_nop 0
	v_mfma_f32_16x16x4f32 a[0:3], v10, v20, a[0:3]
	s_movk_i32 s4, 0xff
	v_and_b32_sdwa v14, v15, s4 dst_sel:DWORD dst_unused:UNUSED_PAD src0_sel:WORD_1 src1_sel:DWORD
	s_movk_i32 s4, 0x7f
	v_cmp_lt_i16_e32 vcc, s4, v14
	s_mov_b64 s[4:5], 0
                                        ; implicit-def: $sgpr10
	s_and_saveexec_b64 s[6:7], vcc
	s_xor_b64 s[6:7], exec, s[6:7]
	s_cbranch_execnz .LBB36_3377
; %bb.1329:
	s_or_saveexec_b64 s[6:7], s[6:7]
	v_mov_b32_e32 v10, s10
	s_xor_b64 exec, exec, s[6:7]
	s_cbranch_execnz .LBB36_3380
.LBB36_1330:
	s_or_b64 exec, exec, s[6:7]
	s_and_saveexec_b64 s[6:7], s[4:5]
	s_cbranch_execz .LBB36_1332
.LBB36_1331:
	v_bfe_u32 v10, v15, 16, 3
	v_ffbh_u32_e32 v21, v10
	v_min_u32_e32 v21, 32, v21
	v_lshrrev_b32_e32 v14, 19, v15
	v_subrev_u32_e32 v22, 28, v21
	v_and_b32_e32 v14, 15, v14
	v_lshlrev_b32_sdwa v22, v22, v15 dst_sel:DWORD dst_unused:UNUSED_PAD src0_sel:DWORD src1_sel:WORD_1
	v_bfe_u32 v20, v15, 19, 4
	v_sub_u32_e32 v21, 29, v21
	v_and_b32_e32 v22, 7, v22
	v_cmp_eq_u16_e32 vcc, 0, v14
	v_cndmask_b32_e32 v10, v10, v22, vcc
	v_cndmask_b32_e32 v14, v20, v21, vcc
	v_lshlrev_b32_e32 v20, 8, v15
	v_mov_b32_e32 v21, 0x3b800000
	v_lshlrev_b32_e32 v10, 20, v10
	v_and_b32_e32 v20, 0x80000000, v20
	v_lshl_add_u32 v14, v14, 23, v21
	v_or3_b32 v10, v20, v14, v10
.LBB36_1332:
	s_or_b64 exec, exec, s[6:7]
	s_movk_i32 s4, 0xff
	v_and_b32_sdwa v14, v11, s4 dst_sel:DWORD dst_unused:UNUSED_PAD src0_sel:WORD_1 src1_sel:DWORD
	s_movk_i32 s4, 0x7f
	v_cmp_lt_i16_e32 vcc, s4, v14
	s_mov_b64 s[4:5], 0
                                        ; implicit-def: $sgpr10
	s_and_saveexec_b64 s[6:7], vcc
	s_xor_b64 s[6:7], exec, s[6:7]
	s_cbranch_execnz .LBB36_3381
; %bb.1333:
	s_or_saveexec_b64 s[6:7], s[6:7]
	v_mov_b32_e32 v20, s10
	s_xor_b64 exec, exec, s[6:7]
	s_cbranch_execnz .LBB36_3384
.LBB36_1334:
	s_or_b64 exec, exec, s[6:7]
	s_and_saveexec_b64 s[6:7], s[4:5]
	s_cbranch_execz .LBB36_1336
.LBB36_1335:
	v_bfe_u32 v14, v11, 16, 3
	v_ffbh_u32_e32 v22, v14
	v_min_u32_e32 v22, 32, v22
	v_lshrrev_b32_e32 v20, 19, v11
	v_subrev_u32_e32 v23, 28, v22
	v_and_b32_e32 v20, 15, v20
	v_lshlrev_b32_sdwa v23, v23, v11 dst_sel:DWORD dst_unused:UNUSED_PAD src0_sel:DWORD src1_sel:WORD_1
	v_bfe_u32 v21, v11, 19, 4
	v_sub_u32_e32 v22, 29, v22
	v_and_b32_e32 v23, 7, v23
	v_cmp_eq_u16_e32 vcc, 0, v20
	v_cndmask_b32_e32 v14, v14, v23, vcc
	v_cndmask_b32_e32 v20, v21, v22, vcc
	v_lshlrev_b32_e32 v21, 8, v11
	v_mov_b32_e32 v22, 0x3b800000
	v_lshlrev_b32_e32 v14, 20, v14
	v_and_b32_e32 v21, 0x80000000, v21
	v_lshl_add_u32 v20, v20, 23, v22
	v_or3_b32 v20, v21, v20, v14
.LBB36_1336:
	s_or_b64 exec, exec, s[6:7]
	s_nop 0
	v_mfma_f32_16x16x4f32 a[0:3], v10, v20, a[0:3]
	s_movk_i32 s4, 0x7f
	v_cmp_gt_i16_sdwa s[6:7], v15, s4 src0_sel:BYTE_3 src1_sel:DWORD
	s_mov_b64 s[4:5], 0
                                        ; implicit-def: $sgpr10
	s_and_saveexec_b64 s[8:9], s[6:7]
	s_xor_b64 s[6:7], exec, s[8:9]
	s_cbranch_execnz .LBB36_3385
; %bb.1337:
	s_or_saveexec_b64 s[6:7], s[6:7]
	v_mov_b32_e32 v10, s10
	s_xor_b64 exec, exec, s[6:7]
	s_cbranch_execnz .LBB36_3388
.LBB36_1338:
	s_or_b64 exec, exec, s[6:7]
	s_and_saveexec_b64 s[6:7], s[4:5]
	s_cbranch_execz .LBB36_1340
.LBB36_1339:
	v_bfe_u32 v10, v15, 24, 3
	v_ffbh_u32_e32 v22, v10
	v_min_u32_e32 v22, 32, v22
	v_lshrrev_b32_e32 v20, 27, v15
	v_subrev_u32_e32 v23, 28, v22
	v_and_b32_e32 v14, 0x80000000, v15
	v_and_b32_e32 v20, 15, v20
	v_bfe_u32 v21, v15, 27, 4
	v_lshlrev_b32_sdwa v15, v23, v15 dst_sel:DWORD dst_unused:UNUSED_PAD src0_sel:DWORD src1_sel:BYTE_3
	v_sub_u32_e32 v22, 29, v22
	v_and_b32_e32 v15, 7, v15
	v_cmp_eq_u16_e32 vcc, 0, v20
	v_cndmask_b32_e32 v10, v10, v15, vcc
	v_cndmask_b32_e32 v15, v21, v22, vcc
	v_mov_b32_e32 v20, 0x3b800000
	v_lshlrev_b32_e32 v10, 20, v10
	v_lshl_add_u32 v15, v15, 23, v20
	v_or3_b32 v10, v14, v15, v10
.LBB36_1340:
	s_or_b64 exec, exec, s[6:7]
	s_movk_i32 s4, 0x7f
	v_cmp_gt_i16_sdwa s[6:7], v11, s4 src0_sel:BYTE_3 src1_sel:DWORD
	s_mov_b64 s[4:5], 0
                                        ; implicit-def: $sgpr10
	s_and_saveexec_b64 s[8:9], s[6:7]
	s_xor_b64 s[6:7], exec, s[8:9]
	s_cbranch_execnz .LBB36_3389
; %bb.1341:
	s_or_saveexec_b64 s[6:7], s[6:7]
	v_mov_b32_e32 v14, s10
	s_xor_b64 exec, exec, s[6:7]
	s_cbranch_execnz .LBB36_3392
.LBB36_1342:
	s_or_b64 exec, exec, s[6:7]
	s_and_saveexec_b64 s[6:7], s[4:5]
	s_cbranch_execz .LBB36_1344
.LBB36_1343:
	v_bfe_u32 v14, v11, 24, 3
	v_ffbh_u32_e32 v22, v14
	v_min_u32_e32 v22, 32, v22
	v_lshrrev_b32_e32 v20, 27, v11
	v_subrev_u32_e32 v23, 28, v22
	v_and_b32_e32 v15, 0x80000000, v11
	v_and_b32_e32 v20, 15, v20
	v_bfe_u32 v21, v11, 27, 4
	v_lshlrev_b32_sdwa v11, v23, v11 dst_sel:DWORD dst_unused:UNUSED_PAD src0_sel:DWORD src1_sel:BYTE_3
	v_sub_u32_e32 v22, 29, v22
	v_and_b32_e32 v11, 7, v11
	v_cmp_eq_u16_e32 vcc, 0, v20
	v_cndmask_b32_e32 v11, v14, v11, vcc
	v_cndmask_b32_e32 v14, v21, v22, vcc
	v_mov_b32_e32 v20, 0x3b800000
	v_lshlrev_b32_e32 v11, 20, v11
	v_lshl_add_u32 v14, v14, 23, v20
	v_or3_b32 v14, v15, v14, v11
.LBB36_1344:
	s_or_b64 exec, exec, s[6:7]
	s_nop 0
	v_mfma_f32_16x16x4f32 a[0:3], v10, v14, a[0:3]
	s_movk_i32 s4, 0x7f
	v_cmp_gt_i16_sdwa s[6:7], v16, s4 src0_sel:BYTE_0 src1_sel:DWORD
	s_mov_b64 s[4:5], 0
                                        ; implicit-def: $sgpr10
	s_and_saveexec_b64 s[8:9], s[6:7]
	s_xor_b64 s[6:7], exec, s[8:9]
	s_cbranch_execnz .LBB36_3393
; %bb.1345:
	s_or_saveexec_b64 s[6:7], s[6:7]
	v_mov_b32_e32 v10, s10
	s_xor_b64 exec, exec, s[6:7]
	s_cbranch_execnz .LBB36_3396
.LBB36_1346:
	s_or_b64 exec, exec, s[6:7]
	s_and_saveexec_b64 s[6:7], s[4:5]
	s_cbranch_execz .LBB36_1348
.LBB36_1347:
	v_and_b32_e32 v10, 7, v16
	v_ffbh_u32_e32 v14, v10
	v_min_u32_e32 v14, 32, v14
	v_lshrrev_b16_e32 v11, 3, v16
	v_subrev_u32_e32 v15, 28, v14
	v_and_b32_e32 v11, 15, v11
	v_lshlrev_b32_e32 v15, v15, v16
	v_sub_u32_e32 v14, 29, v14
	v_and_b32_e32 v15, 7, v15
	v_cmp_eq_u16_e32 vcc, 0, v11
	v_cndmask_b32_e32 v10, v10, v15, vcc
	v_cndmask_b32_e32 v11, v11, v14, vcc
	v_lshlrev_b32_e32 v14, 24, v16
	v_mov_b32_e32 v15, 0x3b800000
	v_lshlrev_b32_e32 v10, 20, v10
	v_and_b32_e32 v14, 0x80000000, v14
	v_lshl_add_u32 v11, v11, 23, v15
	v_or3_b32 v10, v14, v11, v10
.LBB36_1348:
	s_or_b64 exec, exec, s[6:7]
	s_movk_i32 s4, 0x7f
	v_cmp_gt_i16_sdwa s[6:7], v12, s4 src0_sel:BYTE_0 src1_sel:DWORD
	s_mov_b64 s[4:5], 0
                                        ; implicit-def: $sgpr10
	s_and_saveexec_b64 s[8:9], s[6:7]
	s_xor_b64 s[6:7], exec, s[8:9]
	s_cbranch_execnz .LBB36_3397
; %bb.1349:
	s_or_saveexec_b64 s[6:7], s[6:7]
	v_mov_b32_e32 v11, s10
	s_xor_b64 exec, exec, s[6:7]
	s_cbranch_execnz .LBB36_3400
.LBB36_1350:
	s_or_b64 exec, exec, s[6:7]
	s_and_saveexec_b64 s[6:7], s[4:5]
	s_cbranch_execz .LBB36_1352
.LBB36_1351:
	v_and_b32_e32 v11, 7, v12
	v_ffbh_u32_e32 v15, v11
	v_min_u32_e32 v15, 32, v15
	v_lshrrev_b16_e32 v14, 3, v12
	v_subrev_u32_e32 v20, 28, v15
	v_and_b32_e32 v14, 15, v14
	v_lshlrev_b32_e32 v20, v20, v12
	v_sub_u32_e32 v15, 29, v15
	v_and_b32_e32 v20, 7, v20
	v_cmp_eq_u16_e32 vcc, 0, v14
	v_cndmask_b32_e32 v11, v11, v20, vcc
	v_cndmask_b32_e32 v14, v14, v15, vcc
	v_lshlrev_b32_e32 v15, 24, v12
	v_mov_b32_e32 v20, 0x3b800000
	v_lshlrev_b32_e32 v11, 20, v11
	v_and_b32_e32 v15, 0x80000000, v15
	v_lshl_add_u32 v14, v14, 23, v20
	v_or3_b32 v11, v15, v14, v11
.LBB36_1352:
	s_or_b64 exec, exec, s[6:7]
	s_nop 0
	v_mfma_f32_16x16x4f32 a[0:3], v10, v11, a[0:3]
	v_lshrrev_b32_e32 v11, 8, v16
	s_movk_i32 s4, 0x7f
	v_cmp_gt_i16_sdwa s[6:7], v11, s4 src0_sel:BYTE_0 src1_sel:DWORD
	s_mov_b64 s[4:5], 0
                                        ; implicit-def: $sgpr10
	s_and_saveexec_b64 s[8:9], s[6:7]
	s_xor_b64 s[6:7], exec, s[8:9]
	s_cbranch_execnz .LBB36_3401
; %bb.1353:
	s_or_saveexec_b64 s[6:7], s[6:7]
	v_mov_b32_e32 v10, s10
	s_xor_b64 exec, exec, s[6:7]
	s_cbranch_execnz .LBB36_3404
.LBB36_1354:
	s_or_b64 exec, exec, s[6:7]
	s_and_saveexec_b64 s[6:7], s[4:5]
	s_cbranch_execz .LBB36_1356
.LBB36_1355:
	v_bfe_u32 v10, v16, 8, 3
	v_ffbh_u32_e32 v15, v10
	v_min_u32_e32 v15, 32, v15
	v_lshrrev_b16_e32 v14, 3, v11
	v_subrev_u32_e32 v20, 28, v15
	v_and_b32_e32 v14, 15, v14
	v_lshlrev_b32_e32 v11, v20, v11
	v_sub_u32_e32 v15, 29, v15
	v_and_b32_e32 v11, 7, v11
	v_cmp_eq_u16_e32 vcc, 0, v14
	v_cndmask_b32_e32 v10, v10, v11, vcc
	v_cndmask_b32_e32 v11, v14, v15, vcc
	v_lshlrev_b32_e32 v14, 16, v16
	v_mov_b32_e32 v15, 0x3b800000
	v_lshlrev_b32_e32 v10, 20, v10
	v_and_b32_e32 v14, 0x80000000, v14
	v_lshl_add_u32 v11, v11, 23, v15
	v_or3_b32 v10, v14, v11, v10
.LBB36_1356:
	s_or_b64 exec, exec, s[6:7]
	v_lshrrev_b32_e32 v11, 8, v12
	s_movk_i32 s4, 0x7f
	v_cmp_gt_i16_sdwa s[6:7], v11, s4 src0_sel:BYTE_0 src1_sel:DWORD
	s_mov_b64 s[4:5], 0
                                        ; implicit-def: $sgpr10
	s_and_saveexec_b64 s[8:9], s[6:7]
	s_xor_b64 s[6:7], exec, s[8:9]
	s_cbranch_execnz .LBB36_3405
; %bb.1357:
	s_or_saveexec_b64 s[6:7], s[6:7]
	v_mov_b32_e32 v14, s10
	s_xor_b64 exec, exec, s[6:7]
	s_cbranch_execnz .LBB36_3408
.LBB36_1358:
	s_or_b64 exec, exec, s[6:7]
	s_and_saveexec_b64 s[6:7], s[4:5]
	s_cbranch_execz .LBB36_1360
.LBB36_1359:
	v_bfe_u32 v14, v12, 8, 3
	v_ffbh_u32_e32 v20, v14
	v_min_u32_e32 v20, 32, v20
	v_lshrrev_b16_e32 v15, 3, v11
	v_subrev_u32_e32 v21, 28, v20
	v_and_b32_e32 v15, 15, v15
	v_lshlrev_b32_e32 v11, v21, v11
	v_sub_u32_e32 v20, 29, v20
	v_and_b32_e32 v11, 7, v11
	v_cmp_eq_u16_e32 vcc, 0, v15
	v_cndmask_b32_e32 v11, v14, v11, vcc
	v_cndmask_b32_e32 v14, v15, v20, vcc
	v_lshlrev_b32_e32 v15, 16, v12
	v_mov_b32_e32 v20, 0x3b800000
	v_lshlrev_b32_e32 v11, 20, v11
	v_and_b32_e32 v15, 0x80000000, v15
	v_lshl_add_u32 v14, v14, 23, v20
	v_or3_b32 v14, v15, v14, v11
.LBB36_1360:
	s_or_b64 exec, exec, s[6:7]
	s_nop 0
	v_mfma_f32_16x16x4f32 a[0:3], v10, v14, a[0:3]
	s_movk_i32 s4, 0xff
	v_and_b32_sdwa v11, v16, s4 dst_sel:DWORD dst_unused:UNUSED_PAD src0_sel:WORD_1 src1_sel:DWORD
	s_movk_i32 s4, 0x7f
	v_cmp_lt_i16_e32 vcc, s4, v11
	s_mov_b64 s[4:5], 0
                                        ; implicit-def: $sgpr10
	s_and_saveexec_b64 s[6:7], vcc
	s_xor_b64 s[6:7], exec, s[6:7]
	s_cbranch_execnz .LBB36_3409
; %bb.1361:
	s_or_saveexec_b64 s[6:7], s[6:7]
	v_mov_b32_e32 v10, s10
	s_xor_b64 exec, exec, s[6:7]
	s_cbranch_execnz .LBB36_3412
.LBB36_1362:
	s_or_b64 exec, exec, s[6:7]
	s_and_saveexec_b64 s[6:7], s[4:5]
	s_cbranch_execz .LBB36_1364
.LBB36_1363:
	v_bfe_u32 v10, v16, 16, 3
	v_ffbh_u32_e32 v15, v10
	v_min_u32_e32 v15, 32, v15
	v_lshrrev_b32_e32 v11, 19, v16
	v_subrev_u32_e32 v20, 28, v15
	v_and_b32_e32 v11, 15, v11
	v_lshlrev_b32_sdwa v20, v20, v16 dst_sel:DWORD dst_unused:UNUSED_PAD src0_sel:DWORD src1_sel:WORD_1
	v_bfe_u32 v14, v16, 19, 4
	v_sub_u32_e32 v15, 29, v15
	v_and_b32_e32 v20, 7, v20
	v_cmp_eq_u16_e32 vcc, 0, v11
	v_cndmask_b32_e32 v10, v10, v20, vcc
	v_cndmask_b32_e32 v11, v14, v15, vcc
	v_lshlrev_b32_e32 v14, 8, v16
	v_mov_b32_e32 v15, 0x3b800000
	v_lshlrev_b32_e32 v10, 20, v10
	v_and_b32_e32 v14, 0x80000000, v14
	v_lshl_add_u32 v11, v11, 23, v15
	v_or3_b32 v10, v14, v11, v10
.LBB36_1364:
	s_or_b64 exec, exec, s[6:7]
	s_movk_i32 s4, 0xff
	v_and_b32_sdwa v11, v12, s4 dst_sel:DWORD dst_unused:UNUSED_PAD src0_sel:WORD_1 src1_sel:DWORD
	s_movk_i32 s4, 0x7f
	v_cmp_lt_i16_e32 vcc, s4, v11
	s_mov_b64 s[4:5], 0
                                        ; implicit-def: $sgpr10
	s_and_saveexec_b64 s[6:7], vcc
	s_xor_b64 s[6:7], exec, s[6:7]
	s_cbranch_execnz .LBB36_3413
; %bb.1365:
	s_or_saveexec_b64 s[6:7], s[6:7]
	v_mov_b32_e32 v14, s10
	s_xor_b64 exec, exec, s[6:7]
	s_cbranch_execnz .LBB36_3416
.LBB36_1366:
	s_or_b64 exec, exec, s[6:7]
	s_and_saveexec_b64 s[6:7], s[4:5]
	s_cbranch_execz .LBB36_1368
.LBB36_1367:
	v_bfe_u32 v11, v12, 16, 3
	v_ffbh_u32_e32 v20, v11
	v_min_u32_e32 v20, 32, v20
	v_lshrrev_b32_e32 v14, 19, v12
	v_subrev_u32_e32 v21, 28, v20
	v_and_b32_e32 v14, 15, v14
	v_lshlrev_b32_sdwa v21, v21, v12 dst_sel:DWORD dst_unused:UNUSED_PAD src0_sel:DWORD src1_sel:WORD_1
	v_bfe_u32 v15, v12, 19, 4
	v_sub_u32_e32 v20, 29, v20
	v_and_b32_e32 v21, 7, v21
	v_cmp_eq_u16_e32 vcc, 0, v14
	v_cndmask_b32_e32 v11, v11, v21, vcc
	v_cndmask_b32_e32 v14, v15, v20, vcc
	v_lshlrev_b32_e32 v15, 8, v12
	v_mov_b32_e32 v20, 0x3b800000
	v_lshlrev_b32_e32 v11, 20, v11
	v_and_b32_e32 v15, 0x80000000, v15
	v_lshl_add_u32 v14, v14, 23, v20
	v_or3_b32 v14, v15, v14, v11
.LBB36_1368:
	s_or_b64 exec, exec, s[6:7]
	s_nop 0
	v_mfma_f32_16x16x4f32 a[0:3], v10, v14, a[0:3]
	s_movk_i32 s4, 0x7f
	v_cmp_gt_i16_sdwa s[6:7], v16, s4 src0_sel:BYTE_3 src1_sel:DWORD
	s_mov_b64 s[4:5], 0
                                        ; implicit-def: $sgpr10
	s_and_saveexec_b64 s[8:9], s[6:7]
	s_xor_b64 s[6:7], exec, s[8:9]
	s_cbranch_execnz .LBB36_3417
; %bb.1369:
	s_or_saveexec_b64 s[6:7], s[6:7]
	v_mov_b32_e32 v10, s10
	s_xor_b64 exec, exec, s[6:7]
	s_cbranch_execnz .LBB36_3420
.LBB36_1370:
	s_or_b64 exec, exec, s[6:7]
	s_and_saveexec_b64 s[6:7], s[4:5]
	s_cbranch_execz .LBB36_1372
.LBB36_1371:
	v_bfe_u32 v10, v16, 24, 3
	v_ffbh_u32_e32 v20, v10
	v_min_u32_e32 v20, 32, v20
	v_lshrrev_b32_e32 v14, 27, v16
	v_subrev_u32_e32 v21, 28, v20
	v_and_b32_e32 v11, 0x80000000, v16
	v_and_b32_e32 v14, 15, v14
	v_bfe_u32 v15, v16, 27, 4
	v_lshlrev_b32_sdwa v16, v21, v16 dst_sel:DWORD dst_unused:UNUSED_PAD src0_sel:DWORD src1_sel:BYTE_3
	v_sub_u32_e32 v20, 29, v20
	v_and_b32_e32 v16, 7, v16
	v_cmp_eq_u16_e32 vcc, 0, v14
	v_cndmask_b32_e32 v10, v10, v16, vcc
	v_cndmask_b32_e32 v14, v15, v20, vcc
	v_mov_b32_e32 v15, 0x3b800000
	v_lshlrev_b32_e32 v10, 20, v10
	v_lshl_add_u32 v14, v14, 23, v15
	v_or3_b32 v10, v11, v14, v10
.LBB36_1372:
	s_or_b64 exec, exec, s[6:7]
	s_movk_i32 s4, 0x7f
	v_cmp_gt_i16_sdwa s[6:7], v12, s4 src0_sel:BYTE_3 src1_sel:DWORD
	s_mov_b64 s[4:5], 0
                                        ; implicit-def: $sgpr10
	s_and_saveexec_b64 s[8:9], s[6:7]
	s_xor_b64 s[6:7], exec, s[8:9]
	s_cbranch_execnz .LBB36_3421
; %bb.1373:
	s_or_saveexec_b64 s[6:7], s[6:7]
	v_mov_b32_e32 v11, s10
	s_xor_b64 exec, exec, s[6:7]
	s_cbranch_execnz .LBB36_3424
.LBB36_1374:
	s_or_b64 exec, exec, s[6:7]
	s_and_saveexec_b64 s[6:7], s[4:5]
	s_cbranch_execz .LBB36_1376
.LBB36_1375:
	v_bfe_u32 v11, v12, 24, 3
	v_ffbh_u32_e32 v20, v11
	v_min_u32_e32 v20, 32, v20
	v_lshrrev_b32_e32 v15, 27, v12
	v_subrev_u32_e32 v21, 28, v20
	v_and_b32_e32 v14, 0x80000000, v12
	v_and_b32_e32 v15, 15, v15
	v_bfe_u32 v16, v12, 27, 4
	v_lshlrev_b32_sdwa v12, v21, v12 dst_sel:DWORD dst_unused:UNUSED_PAD src0_sel:DWORD src1_sel:BYTE_3
	v_sub_u32_e32 v20, 29, v20
	v_and_b32_e32 v12, 7, v12
	v_cmp_eq_u16_e32 vcc, 0, v15
	v_cndmask_b32_e32 v11, v11, v12, vcc
	v_cndmask_b32_e32 v12, v16, v20, vcc
	v_mov_b32_e32 v15, 0x3b800000
	v_lshlrev_b32_e32 v11, 20, v11
	v_lshl_add_u32 v12, v12, 23, v15
	v_or3_b32 v11, v14, v12, v11
.LBB36_1376:
	s_or_b64 exec, exec, s[6:7]
	s_nop 0
	v_mfma_f32_16x16x4f32 a[0:3], v10, v11, a[0:3]
	s_movk_i32 s4, 0x7f
	v_cmp_gt_i16_sdwa s[6:7], v17, s4 src0_sel:BYTE_0 src1_sel:DWORD
	s_mov_b64 s[4:5], 0
                                        ; implicit-def: $sgpr10
	s_and_saveexec_b64 s[8:9], s[6:7]
	s_xor_b64 s[6:7], exec, s[8:9]
	s_cbranch_execnz .LBB36_3425
; %bb.1377:
	s_or_saveexec_b64 s[6:7], s[6:7]
	v_mov_b32_e32 v10, s10
	s_xor_b64 exec, exec, s[6:7]
	s_cbranch_execnz .LBB36_3428
.LBB36_1378:
	s_or_b64 exec, exec, s[6:7]
	s_and_saveexec_b64 s[6:7], s[4:5]
	s_cbranch_execz .LBB36_1380
.LBB36_1379:
	v_and_b32_e32 v10, 7, v17
	v_ffbh_u32_e32 v12, v10
	v_min_u32_e32 v12, 32, v12
	v_lshrrev_b16_e32 v11, 3, v17
	v_subrev_u32_e32 v14, 28, v12
	v_and_b32_e32 v11, 15, v11
	v_lshlrev_b32_e32 v14, v14, v17
	v_sub_u32_e32 v12, 29, v12
	v_and_b32_e32 v14, 7, v14
	v_cmp_eq_u16_e32 vcc, 0, v11
	v_cndmask_b32_e32 v10, v10, v14, vcc
	v_cndmask_b32_e32 v11, v11, v12, vcc
	v_lshlrev_b32_e32 v12, 24, v17
	v_mov_b32_e32 v14, 0x3b800000
	v_lshlrev_b32_e32 v10, 20, v10
	v_and_b32_e32 v12, 0x80000000, v12
	v_lshl_add_u32 v11, v11, 23, v14
	v_or3_b32 v10, v12, v11, v10
.LBB36_1380:
	s_or_b64 exec, exec, s[6:7]
	s_movk_i32 s4, 0x7f
	v_cmp_gt_i16_sdwa s[6:7], v13, s4 src0_sel:BYTE_0 src1_sel:DWORD
	s_mov_b64 s[4:5], 0
                                        ; implicit-def: $sgpr10
	s_and_saveexec_b64 s[8:9], s[6:7]
	s_xor_b64 s[6:7], exec, s[8:9]
	s_cbranch_execnz .LBB36_3429
; %bb.1381:
	s_or_saveexec_b64 s[6:7], s[6:7]
	v_mov_b32_e32 v11, s10
	s_xor_b64 exec, exec, s[6:7]
	s_cbranch_execnz .LBB36_3432
.LBB36_1382:
	s_or_b64 exec, exec, s[6:7]
	s_and_saveexec_b64 s[6:7], s[4:5]
	s_cbranch_execz .LBB36_1384
.LBB36_1383:
	v_and_b32_e32 v11, 7, v13
	v_ffbh_u32_e32 v14, v11
	v_min_u32_e32 v14, 32, v14
	v_lshrrev_b16_e32 v12, 3, v13
	v_subrev_u32_e32 v15, 28, v14
	v_and_b32_e32 v12, 15, v12
	v_lshlrev_b32_e32 v15, v15, v13
	v_sub_u32_e32 v14, 29, v14
	v_and_b32_e32 v15, 7, v15
	v_cmp_eq_u16_e32 vcc, 0, v12
	v_cndmask_b32_e32 v11, v11, v15, vcc
	v_cndmask_b32_e32 v12, v12, v14, vcc
	v_lshlrev_b32_e32 v14, 24, v13
	v_mov_b32_e32 v15, 0x3b800000
	v_lshlrev_b32_e32 v11, 20, v11
	v_and_b32_e32 v14, 0x80000000, v14
	v_lshl_add_u32 v12, v12, 23, v15
	v_or3_b32 v11, v14, v12, v11
.LBB36_1384:
	s_or_b64 exec, exec, s[6:7]
	s_nop 0
	v_mfma_f32_16x16x4f32 a[0:3], v10, v11, a[0:3]
	v_lshrrev_b32_e32 v11, 8, v17
	s_movk_i32 s4, 0x7f
	v_cmp_gt_i16_sdwa s[6:7], v11, s4 src0_sel:BYTE_0 src1_sel:DWORD
	s_mov_b64 s[4:5], 0
                                        ; implicit-def: $sgpr10
	s_and_saveexec_b64 s[8:9], s[6:7]
	s_xor_b64 s[6:7], exec, s[8:9]
	s_cbranch_execnz .LBB36_3433
; %bb.1385:
	s_or_saveexec_b64 s[6:7], s[6:7]
	v_mov_b32_e32 v10, s10
	s_xor_b64 exec, exec, s[6:7]
	s_cbranch_execnz .LBB36_3436
.LBB36_1386:
	s_or_b64 exec, exec, s[6:7]
	s_and_saveexec_b64 s[6:7], s[4:5]
	s_cbranch_execz .LBB36_1388
.LBB36_1387:
	v_bfe_u32 v10, v17, 8, 3
	v_ffbh_u32_e32 v14, v10
	v_min_u32_e32 v14, 32, v14
	v_lshrrev_b16_e32 v12, 3, v11
	v_subrev_u32_e32 v15, 28, v14
	v_and_b32_e32 v12, 15, v12
	v_lshlrev_b32_e32 v11, v15, v11
	v_sub_u32_e32 v14, 29, v14
	v_and_b32_e32 v11, 7, v11
	v_cmp_eq_u16_e32 vcc, 0, v12
	v_cndmask_b32_e32 v10, v10, v11, vcc
	v_cndmask_b32_e32 v11, v12, v14, vcc
	v_lshlrev_b32_e32 v12, 16, v17
	v_mov_b32_e32 v14, 0x3b800000
	v_lshlrev_b32_e32 v10, 20, v10
	v_and_b32_e32 v12, 0x80000000, v12
	v_lshl_add_u32 v11, v11, 23, v14
	v_or3_b32 v10, v12, v11, v10
.LBB36_1388:
	s_or_b64 exec, exec, s[6:7]
	v_lshrrev_b32_e32 v11, 8, v13
	s_movk_i32 s4, 0x7f
	v_cmp_gt_i16_sdwa s[6:7], v11, s4 src0_sel:BYTE_0 src1_sel:DWORD
	s_mov_b64 s[4:5], 0
                                        ; implicit-def: $sgpr10
	s_and_saveexec_b64 s[8:9], s[6:7]
	s_xor_b64 s[6:7], exec, s[8:9]
	s_cbranch_execnz .LBB36_3437
; %bb.1389:
	s_or_saveexec_b64 s[6:7], s[6:7]
	v_mov_b32_e32 v12, s10
	s_xor_b64 exec, exec, s[6:7]
	s_cbranch_execnz .LBB36_3440
.LBB36_1390:
	s_or_b64 exec, exec, s[6:7]
	s_and_saveexec_b64 s[6:7], s[4:5]
	s_cbranch_execz .LBB36_1392
.LBB36_1391:
	v_bfe_u32 v12, v13, 8, 3
	v_ffbh_u32_e32 v15, v12
	v_min_u32_e32 v15, 32, v15
	v_lshrrev_b16_e32 v14, 3, v11
	v_subrev_u32_e32 v16, 28, v15
	v_and_b32_e32 v14, 15, v14
	v_lshlrev_b32_e32 v11, v16, v11
	v_sub_u32_e32 v15, 29, v15
	v_and_b32_e32 v11, 7, v11
	v_cmp_eq_u16_e32 vcc, 0, v14
	v_cndmask_b32_e32 v11, v12, v11, vcc
	v_cndmask_b32_e32 v12, v14, v15, vcc
	v_lshlrev_b32_e32 v14, 16, v13
	v_mov_b32_e32 v15, 0x3b800000
	v_lshlrev_b32_e32 v11, 20, v11
	v_and_b32_e32 v14, 0x80000000, v14
	v_lshl_add_u32 v12, v12, 23, v15
	v_or3_b32 v12, v14, v12, v11
.LBB36_1392:
	s_or_b64 exec, exec, s[6:7]
	s_nop 0
	v_mfma_f32_16x16x4f32 a[0:3], v10, v12, a[0:3]
	s_movk_i32 s4, 0xff
	v_and_b32_sdwa v11, v17, s4 dst_sel:DWORD dst_unused:UNUSED_PAD src0_sel:WORD_1 src1_sel:DWORD
	s_movk_i32 s4, 0x7f
	v_cmp_lt_i16_e32 vcc, s4, v11
	s_mov_b64 s[4:5], 0
                                        ; implicit-def: $sgpr10
	s_and_saveexec_b64 s[6:7], vcc
	s_xor_b64 s[6:7], exec, s[6:7]
	s_cbranch_execnz .LBB36_3441
; %bb.1393:
	s_or_saveexec_b64 s[6:7], s[6:7]
	v_mov_b32_e32 v10, s10
	s_xor_b64 exec, exec, s[6:7]
	s_cbranch_execnz .LBB36_3444
.LBB36_1394:
	s_or_b64 exec, exec, s[6:7]
	s_and_saveexec_b64 s[6:7], s[4:5]
	s_cbranch_execz .LBB36_1396
.LBB36_1395:
	v_bfe_u32 v10, v17, 16, 3
	v_ffbh_u32_e32 v14, v10
	v_min_u32_e32 v14, 32, v14
	v_lshrrev_b32_e32 v11, 19, v17
	v_subrev_u32_e32 v15, 28, v14
	v_and_b32_e32 v11, 15, v11
	v_lshlrev_b32_sdwa v15, v15, v17 dst_sel:DWORD dst_unused:UNUSED_PAD src0_sel:DWORD src1_sel:WORD_1
	v_bfe_u32 v12, v17, 19, 4
	v_sub_u32_e32 v14, 29, v14
	v_and_b32_e32 v15, 7, v15
	v_cmp_eq_u16_e32 vcc, 0, v11
	v_cndmask_b32_e32 v10, v10, v15, vcc
	v_cndmask_b32_e32 v11, v12, v14, vcc
	v_lshlrev_b32_e32 v12, 8, v17
	v_mov_b32_e32 v14, 0x3b800000
	v_lshlrev_b32_e32 v10, 20, v10
	v_and_b32_e32 v12, 0x80000000, v12
	v_lshl_add_u32 v11, v11, 23, v14
	v_or3_b32 v10, v12, v11, v10
.LBB36_1396:
	s_or_b64 exec, exec, s[6:7]
	s_movk_i32 s4, 0xff
	v_and_b32_sdwa v11, v13, s4 dst_sel:DWORD dst_unused:UNUSED_PAD src0_sel:WORD_1 src1_sel:DWORD
	s_movk_i32 s4, 0x7f
	v_cmp_lt_i16_e32 vcc, s4, v11
	s_mov_b64 s[4:5], 0
                                        ; implicit-def: $sgpr10
	s_and_saveexec_b64 s[6:7], vcc
	s_xor_b64 s[6:7], exec, s[6:7]
	s_cbranch_execnz .LBB36_3445
; %bb.1397:
	s_or_saveexec_b64 s[6:7], s[6:7]
	v_mov_b32_e32 v12, s10
	s_xor_b64 exec, exec, s[6:7]
	s_cbranch_execnz .LBB36_3448
.LBB36_1398:
	s_or_b64 exec, exec, s[6:7]
	s_and_saveexec_b64 s[6:7], s[4:5]
	s_cbranch_execz .LBB36_1400
.LBB36_1399:
	v_bfe_u32 v11, v13, 16, 3
	v_ffbh_u32_e32 v15, v11
	v_min_u32_e32 v15, 32, v15
	v_lshrrev_b32_e32 v12, 19, v13
	v_subrev_u32_e32 v16, 28, v15
	v_and_b32_e32 v12, 15, v12
	v_lshlrev_b32_sdwa v16, v16, v13 dst_sel:DWORD dst_unused:UNUSED_PAD src0_sel:DWORD src1_sel:WORD_1
	v_bfe_u32 v14, v13, 19, 4
	v_sub_u32_e32 v15, 29, v15
	v_and_b32_e32 v16, 7, v16
	v_cmp_eq_u16_e32 vcc, 0, v12
	v_cndmask_b32_e32 v11, v11, v16, vcc
	v_cndmask_b32_e32 v12, v14, v15, vcc
	v_lshlrev_b32_e32 v14, 8, v13
	v_mov_b32_e32 v15, 0x3b800000
	v_lshlrev_b32_e32 v11, 20, v11
	v_and_b32_e32 v14, 0x80000000, v14
	v_lshl_add_u32 v12, v12, 23, v15
	v_or3_b32 v12, v14, v12, v11
.LBB36_1400:
	s_or_b64 exec, exec, s[6:7]
	s_nop 0
	v_mfma_f32_16x16x4f32 a[0:3], v10, v12, a[0:3]
	s_movk_i32 s4, 0x7f
	v_cmp_gt_i16_sdwa s[6:7], v17, s4 src0_sel:BYTE_3 src1_sel:DWORD
	s_mov_b64 s[4:5], 0
                                        ; implicit-def: $sgpr10
	s_and_saveexec_b64 s[8:9], s[6:7]
	s_xor_b64 s[6:7], exec, s[8:9]
	s_cbranch_execnz .LBB36_3449
; %bb.1401:
	s_or_saveexec_b64 s[6:7], s[6:7]
	v_mov_b32_e32 v10, s10
	s_xor_b64 exec, exec, s[6:7]
	s_cbranch_execnz .LBB36_3452
.LBB36_1402:
	s_or_b64 exec, exec, s[6:7]
	s_and_saveexec_b64 s[6:7], s[4:5]
	s_cbranch_execz .LBB36_1404
.LBB36_1403:
	v_bfe_u32 v10, v17, 24, 3
	v_ffbh_u32_e32 v15, v10
	v_min_u32_e32 v15, 32, v15
	v_lshrrev_b32_e32 v12, 27, v17
	v_subrev_u32_e32 v16, 28, v15
	v_and_b32_e32 v12, 15, v12
	v_lshlrev_b32_sdwa v16, v16, v17 dst_sel:DWORD dst_unused:UNUSED_PAD src0_sel:DWORD src1_sel:BYTE_3
	v_bfe_u32 v14, v17, 27, 4
	v_sub_u32_e32 v15, 29, v15
	v_and_b32_e32 v16, 7, v16
	v_cmp_eq_u16_e32 vcc, 0, v12
	v_cndmask_b32_e32 v10, v10, v16, vcc
	v_cndmask_b32_e32 v12, v14, v15, vcc
	v_mov_b32_e32 v14, 0x3b800000
	v_and_b32_e32 v11, 0x80000000, v17
	v_lshlrev_b32_e32 v10, 20, v10
	v_lshl_add_u32 v12, v12, 23, v14
	v_or3_b32 v10, v11, v12, v10
.LBB36_1404:
	s_or_b64 exec, exec, s[6:7]
	s_movk_i32 s4, 0x7f
	v_cmp_gt_i16_sdwa s[6:7], v13, s4 src0_sel:BYTE_3 src1_sel:DWORD
	s_mov_b64 s[4:5], 0
                                        ; implicit-def: $sgpr10
	s_and_saveexec_b64 s[8:9], s[6:7]
	s_xor_b64 s[6:7], exec, s[8:9]
	s_cbranch_execnz .LBB36_3453
; %bb.1405:
	s_or_saveexec_b64 s[6:7], s[6:7]
	v_mov_b32_e32 v11, s10
	s_xor_b64 exec, exec, s[6:7]
	s_cbranch_execnz .LBB36_3456
.LBB36_1406:
	s_or_b64 exec, exec, s[6:7]
	s_and_saveexec_b64 s[6:7], s[4:5]
	s_cbranch_execz .LBB36_1408
.LBB36_1407:
	v_bfe_u32 v11, v13, 24, 3
	v_ffbh_u32_e32 v16, v11
	v_min_u32_e32 v16, 32, v16
	v_lshrrev_b32_e32 v14, 27, v13
	v_subrev_u32_e32 v17, 28, v16
	v_and_b32_e32 v12, 0x80000000, v13
	v_and_b32_e32 v14, 15, v14
	v_bfe_u32 v15, v13, 27, 4
	v_lshlrev_b32_sdwa v13, v17, v13 dst_sel:DWORD dst_unused:UNUSED_PAD src0_sel:DWORD src1_sel:BYTE_3
	v_sub_u32_e32 v16, 29, v16
	v_and_b32_e32 v13, 7, v13
	v_cmp_eq_u16_e32 vcc, 0, v14
	v_cndmask_b32_e32 v11, v11, v13, vcc
	v_cndmask_b32_e32 v13, v15, v16, vcc
	v_mov_b32_e32 v14, 0x3b800000
	v_lshlrev_b32_e32 v11, 20, v11
	v_lshl_add_u32 v13, v13, 23, v14
	v_or3_b32 v11, v12, v13, v11
.LBB36_1408:
	s_or_b64 exec, exec, s[6:7]
	s_nop 0
	v_mfma_f32_16x16x4f32 a[0:3], v10, v11, a[0:3]
	s_movk_i32 s4, 0x7f
	v_cmp_gt_i16_sdwa s[6:7], v6, s4 src0_sel:BYTE_0 src1_sel:DWORD
	s_mov_b64 s[4:5], 0
                                        ; implicit-def: $sgpr10
	s_and_saveexec_b64 s[8:9], s[6:7]
	s_xor_b64 s[6:7], exec, s[8:9]
	s_cbranch_execnz .LBB36_3457
; %bb.1409:
	s_or_saveexec_b64 s[6:7], s[6:7]
	v_mov_b32_e32 v10, s10
	s_xor_b64 exec, exec, s[6:7]
	s_cbranch_execnz .LBB36_3460
.LBB36_1410:
	s_or_b64 exec, exec, s[6:7]
	s_and_saveexec_b64 s[6:7], s[4:5]
	s_cbranch_execz .LBB36_1412
.LBB36_1411:
	v_and_b32_e32 v10, 7, v6
	v_ffbh_u32_e32 v12, v10
	v_min_u32_e32 v12, 32, v12
	v_lshrrev_b16_e32 v11, 3, v6
	v_subrev_u32_e32 v13, 28, v12
	v_and_b32_e32 v11, 15, v11
	v_lshlrev_b32_e32 v13, v13, v6
	v_sub_u32_e32 v12, 29, v12
	v_and_b32_e32 v13, 7, v13
	v_cmp_eq_u16_e32 vcc, 0, v11
	v_cndmask_b32_e32 v10, v10, v13, vcc
	v_cndmask_b32_e32 v11, v11, v12, vcc
	v_lshlrev_b32_e32 v12, 24, v6
	v_mov_b32_e32 v13, 0x3b800000
	v_lshlrev_b32_e32 v10, 20, v10
	v_and_b32_e32 v12, 0x80000000, v12
	v_lshl_add_u32 v11, v11, 23, v13
	v_or3_b32 v10, v12, v11, v10
.LBB36_1412:
	s_or_b64 exec, exec, s[6:7]
	s_movk_i32 s4, 0x7f
	v_cmp_gt_i16_sdwa s[6:7], v2, s4 src0_sel:BYTE_0 src1_sel:DWORD
	s_mov_b64 s[4:5], 0
                                        ; implicit-def: $sgpr10
	s_and_saveexec_b64 s[8:9], s[6:7]
	s_xor_b64 s[6:7], exec, s[8:9]
	s_cbranch_execnz .LBB36_3461
; %bb.1413:
	s_or_saveexec_b64 s[6:7], s[6:7]
	v_mov_b32_e32 v11, s10
	s_xor_b64 exec, exec, s[6:7]
	s_cbranch_execnz .LBB36_3464
.LBB36_1414:
	s_or_b64 exec, exec, s[6:7]
	s_and_saveexec_b64 s[6:7], s[4:5]
	s_cbranch_execz .LBB36_1416
.LBB36_1415:
	v_and_b32_e32 v11, 7, v2
	v_ffbh_u32_e32 v13, v11
	v_min_u32_e32 v13, 32, v13
	v_lshrrev_b16_e32 v12, 3, v2
	v_subrev_u32_e32 v14, 28, v13
	v_and_b32_e32 v12, 15, v12
	v_lshlrev_b32_e32 v14, v14, v2
	v_sub_u32_e32 v13, 29, v13
	v_and_b32_e32 v14, 7, v14
	v_cmp_eq_u16_e32 vcc, 0, v12
	v_cndmask_b32_e32 v11, v11, v14, vcc
	v_cndmask_b32_e32 v12, v12, v13, vcc
	v_lshlrev_b32_e32 v13, 24, v2
	v_mov_b32_e32 v14, 0x3b800000
	v_lshlrev_b32_e32 v11, 20, v11
	v_and_b32_e32 v13, 0x80000000, v13
	v_lshl_add_u32 v12, v12, 23, v14
	v_or3_b32 v11, v13, v12, v11
.LBB36_1416:
	s_or_b64 exec, exec, s[6:7]
	s_nop 0
	v_mfma_f32_16x16x4f32 a[0:3], v10, v11, a[0:3]
	v_lshrrev_b32_e32 v11, 8, v6
	s_movk_i32 s4, 0x7f
	v_cmp_gt_i16_sdwa s[6:7], v11, s4 src0_sel:BYTE_0 src1_sel:DWORD
	s_mov_b64 s[4:5], 0
                                        ; implicit-def: $sgpr10
	s_and_saveexec_b64 s[8:9], s[6:7]
	s_xor_b64 s[6:7], exec, s[8:9]
	s_cbranch_execnz .LBB36_3465
; %bb.1417:
	s_or_saveexec_b64 s[6:7], s[6:7]
	v_mov_b32_e32 v10, s10
	s_xor_b64 exec, exec, s[6:7]
	s_cbranch_execnz .LBB36_3468
.LBB36_1418:
	s_or_b64 exec, exec, s[6:7]
	s_and_saveexec_b64 s[6:7], s[4:5]
	s_cbranch_execz .LBB36_1420
.LBB36_1419:
	v_bfe_u32 v10, v6, 8, 3
	v_ffbh_u32_e32 v13, v10
	v_min_u32_e32 v13, 32, v13
	v_lshrrev_b16_e32 v12, 3, v11
	v_subrev_u32_e32 v14, 28, v13
	v_and_b32_e32 v12, 15, v12
	v_lshlrev_b32_e32 v11, v14, v11
	v_sub_u32_e32 v13, 29, v13
	v_and_b32_e32 v11, 7, v11
	v_cmp_eq_u16_e32 vcc, 0, v12
	v_cndmask_b32_e32 v10, v10, v11, vcc
	v_cndmask_b32_e32 v11, v12, v13, vcc
	v_lshlrev_b32_e32 v12, 16, v6
	v_mov_b32_e32 v13, 0x3b800000
	v_lshlrev_b32_e32 v10, 20, v10
	v_and_b32_e32 v12, 0x80000000, v12
	v_lshl_add_u32 v11, v11, 23, v13
	v_or3_b32 v10, v12, v11, v10
.LBB36_1420:
	s_or_b64 exec, exec, s[6:7]
	v_lshrrev_b32_e32 v11, 8, v2
	s_movk_i32 s4, 0x7f
	v_cmp_gt_i16_sdwa s[6:7], v11, s4 src0_sel:BYTE_0 src1_sel:DWORD
	s_mov_b64 s[4:5], 0
                                        ; implicit-def: $sgpr10
	s_and_saveexec_b64 s[8:9], s[6:7]
	s_xor_b64 s[6:7], exec, s[8:9]
	s_cbranch_execnz .LBB36_3469
; %bb.1421:
	s_or_saveexec_b64 s[6:7], s[6:7]
	v_mov_b32_e32 v12, s10
	s_xor_b64 exec, exec, s[6:7]
	s_cbranch_execnz .LBB36_3472
.LBB36_1422:
	s_or_b64 exec, exec, s[6:7]
	s_and_saveexec_b64 s[6:7], s[4:5]
	s_cbranch_execz .LBB36_1424
.LBB36_1423:
	v_bfe_u32 v12, v2, 8, 3
	v_ffbh_u32_e32 v14, v12
	v_min_u32_e32 v14, 32, v14
	v_lshrrev_b16_e32 v13, 3, v11
	v_subrev_u32_e32 v15, 28, v14
	v_and_b32_e32 v13, 15, v13
	v_lshlrev_b32_e32 v11, v15, v11
	v_sub_u32_e32 v14, 29, v14
	v_and_b32_e32 v11, 7, v11
	v_cmp_eq_u16_e32 vcc, 0, v13
	v_cndmask_b32_e32 v11, v12, v11, vcc
	v_cndmask_b32_e32 v12, v13, v14, vcc
	v_lshlrev_b32_e32 v13, 16, v2
	v_mov_b32_e32 v14, 0x3b800000
	v_lshlrev_b32_e32 v11, 20, v11
	v_and_b32_e32 v13, 0x80000000, v13
	v_lshl_add_u32 v12, v12, 23, v14
	v_or3_b32 v12, v13, v12, v11
.LBB36_1424:
	s_or_b64 exec, exec, s[6:7]
	s_nop 0
	v_mfma_f32_16x16x4f32 a[0:3], v10, v12, a[0:3]
	s_movk_i32 s4, 0xff
	v_and_b32_sdwa v11, v6, s4 dst_sel:DWORD dst_unused:UNUSED_PAD src0_sel:WORD_1 src1_sel:DWORD
	s_movk_i32 s4, 0x7f
	v_cmp_lt_i16_e32 vcc, s4, v11
	s_mov_b64 s[4:5], 0
                                        ; implicit-def: $sgpr10
	s_and_saveexec_b64 s[6:7], vcc
	s_xor_b64 s[6:7], exec, s[6:7]
	s_cbranch_execnz .LBB36_3473
; %bb.1425:
	s_or_saveexec_b64 s[6:7], s[6:7]
	v_mov_b32_e32 v10, s10
	s_xor_b64 exec, exec, s[6:7]
	s_cbranch_execnz .LBB36_3476
.LBB36_1426:
	s_or_b64 exec, exec, s[6:7]
	s_and_saveexec_b64 s[6:7], s[4:5]
	s_cbranch_execz .LBB36_1428
.LBB36_1427:
	v_bfe_u32 v10, v6, 16, 3
	v_ffbh_u32_e32 v13, v10
	v_min_u32_e32 v13, 32, v13
	v_lshrrev_b32_e32 v11, 19, v6
	v_subrev_u32_e32 v14, 28, v13
	v_and_b32_e32 v11, 15, v11
	v_lshlrev_b32_sdwa v14, v14, v6 dst_sel:DWORD dst_unused:UNUSED_PAD src0_sel:DWORD src1_sel:WORD_1
	v_bfe_u32 v12, v6, 19, 4
	v_sub_u32_e32 v13, 29, v13
	v_and_b32_e32 v14, 7, v14
	v_cmp_eq_u16_e32 vcc, 0, v11
	v_cndmask_b32_e32 v10, v10, v14, vcc
	v_cndmask_b32_e32 v11, v12, v13, vcc
	v_lshlrev_b32_e32 v12, 8, v6
	v_mov_b32_e32 v13, 0x3b800000
	v_lshlrev_b32_e32 v10, 20, v10
	v_and_b32_e32 v12, 0x80000000, v12
	v_lshl_add_u32 v11, v11, 23, v13
	v_or3_b32 v10, v12, v11, v10
.LBB36_1428:
	s_or_b64 exec, exec, s[6:7]
	s_movk_i32 s4, 0xff
	v_and_b32_sdwa v11, v2, s4 dst_sel:DWORD dst_unused:UNUSED_PAD src0_sel:WORD_1 src1_sel:DWORD
	s_movk_i32 s4, 0x7f
	v_cmp_lt_i16_e32 vcc, s4, v11
	s_mov_b64 s[4:5], 0
                                        ; implicit-def: $sgpr10
	s_and_saveexec_b64 s[6:7], vcc
	s_xor_b64 s[6:7], exec, s[6:7]
	s_cbranch_execnz .LBB36_3477
; %bb.1429:
	s_or_saveexec_b64 s[6:7], s[6:7]
	v_mov_b32_e32 v12, s10
	s_xor_b64 exec, exec, s[6:7]
	s_cbranch_execnz .LBB36_3480
.LBB36_1430:
	s_or_b64 exec, exec, s[6:7]
	s_and_saveexec_b64 s[6:7], s[4:5]
	s_cbranch_execz .LBB36_1432
.LBB36_1431:
	v_bfe_u32 v11, v2, 16, 3
	v_ffbh_u32_e32 v14, v11
	v_min_u32_e32 v14, 32, v14
	v_lshrrev_b32_e32 v12, 19, v2
	v_subrev_u32_e32 v15, 28, v14
	v_and_b32_e32 v12, 15, v12
	v_lshlrev_b32_sdwa v15, v15, v2 dst_sel:DWORD dst_unused:UNUSED_PAD src0_sel:DWORD src1_sel:WORD_1
	v_bfe_u32 v13, v2, 19, 4
	v_sub_u32_e32 v14, 29, v14
	v_and_b32_e32 v15, 7, v15
	v_cmp_eq_u16_e32 vcc, 0, v12
	v_cndmask_b32_e32 v11, v11, v15, vcc
	v_cndmask_b32_e32 v12, v13, v14, vcc
	v_lshlrev_b32_e32 v13, 8, v2
	v_mov_b32_e32 v14, 0x3b800000
	v_lshlrev_b32_e32 v11, 20, v11
	v_and_b32_e32 v13, 0x80000000, v13
	v_lshl_add_u32 v12, v12, 23, v14
	v_or3_b32 v12, v13, v12, v11
.LBB36_1432:
	s_or_b64 exec, exec, s[6:7]
	s_nop 0
	v_mfma_f32_16x16x4f32 a[0:3], v10, v12, a[0:3]
	s_movk_i32 s4, 0x7f
	v_cmp_gt_i16_sdwa s[6:7], v6, s4 src0_sel:BYTE_3 src1_sel:DWORD
	s_mov_b64 s[4:5], 0
                                        ; implicit-def: $sgpr10
	s_and_saveexec_b64 s[8:9], s[6:7]
	s_xor_b64 s[6:7], exec, s[8:9]
	s_cbranch_execnz .LBB36_3481
; %bb.1433:
	s_or_saveexec_b64 s[6:7], s[6:7]
	v_mov_b32_e32 v10, s10
	s_xor_b64 exec, exec, s[6:7]
	s_cbranch_execnz .LBB36_3484
.LBB36_1434:
	s_or_b64 exec, exec, s[6:7]
	s_and_saveexec_b64 s[6:7], s[4:5]
	s_cbranch_execz .LBB36_1436
.LBB36_1435:
	v_bfe_u32 v10, v6, 24, 3
	v_ffbh_u32_e32 v14, v10
	v_min_u32_e32 v14, 32, v14
	v_lshrrev_b32_e32 v12, 27, v6
	v_subrev_u32_e32 v15, 28, v14
	v_and_b32_e32 v11, 0x80000000, v6
	v_and_b32_e32 v12, 15, v12
	v_bfe_u32 v13, v6, 27, 4
	v_lshlrev_b32_sdwa v6, v15, v6 dst_sel:DWORD dst_unused:UNUSED_PAD src0_sel:DWORD src1_sel:BYTE_3
	v_sub_u32_e32 v14, 29, v14
	v_and_b32_e32 v6, 7, v6
	v_cmp_eq_u16_e32 vcc, 0, v12
	v_cndmask_b32_e32 v6, v10, v6, vcc
	v_cndmask_b32_e32 v10, v13, v14, vcc
	v_mov_b32_e32 v12, 0x3b800000
	v_lshlrev_b32_e32 v6, 20, v6
	v_lshl_add_u32 v10, v10, 23, v12
	v_or3_b32 v10, v11, v10, v6
.LBB36_1436:
	s_or_b64 exec, exec, s[6:7]
	s_movk_i32 s4, 0x7f
	v_cmp_gt_i16_sdwa s[6:7], v2, s4 src0_sel:BYTE_3 src1_sel:DWORD
	s_mov_b64 s[4:5], 0
                                        ; implicit-def: $sgpr10
	s_and_saveexec_b64 s[8:9], s[6:7]
	s_xor_b64 s[6:7], exec, s[8:9]
	s_cbranch_execnz .LBB36_3485
; %bb.1437:
	s_or_saveexec_b64 s[6:7], s[6:7]
	v_mov_b32_e32 v6, s10
	s_xor_b64 exec, exec, s[6:7]
	s_cbranch_execnz .LBB36_3488
.LBB36_1438:
	s_or_b64 exec, exec, s[6:7]
	s_and_saveexec_b64 s[6:7], s[4:5]
	s_cbranch_execz .LBB36_1440
.LBB36_1439:
	v_bfe_u32 v6, v2, 24, 3
	v_ffbh_u32_e32 v14, v6
	v_min_u32_e32 v14, 32, v14
	v_lshrrev_b32_e32 v12, 27, v2
	v_subrev_u32_e32 v15, 28, v14
	v_and_b32_e32 v11, 0x80000000, v2
	v_and_b32_e32 v12, 15, v12
	v_bfe_u32 v13, v2, 27, 4
	v_lshlrev_b32_sdwa v2, v15, v2 dst_sel:DWORD dst_unused:UNUSED_PAD src0_sel:DWORD src1_sel:BYTE_3
	v_sub_u32_e32 v14, 29, v14
	v_and_b32_e32 v2, 7, v2
	v_cmp_eq_u16_e32 vcc, 0, v12
	v_cndmask_b32_e32 v2, v6, v2, vcc
	v_cndmask_b32_e32 v6, v13, v14, vcc
	v_mov_b32_e32 v12, 0x3b800000
	v_lshlrev_b32_e32 v2, 20, v2
	v_lshl_add_u32 v6, v6, 23, v12
	v_or3_b32 v6, v11, v6, v2
.LBB36_1440:
	s_or_b64 exec, exec, s[6:7]
	s_nop 0
	v_mfma_f32_16x16x4f32 a[0:3], v10, v6, a[0:3]
	s_movk_i32 s4, 0x7f
	v_cmp_gt_i16_sdwa s[6:7], v7, s4 src0_sel:BYTE_0 src1_sel:DWORD
	s_mov_b64 s[4:5], 0
                                        ; implicit-def: $sgpr10
	s_and_saveexec_b64 s[8:9], s[6:7]
	s_xor_b64 s[6:7], exec, s[8:9]
	s_cbranch_execnz .LBB36_3489
; %bb.1441:
	s_or_saveexec_b64 s[6:7], s[6:7]
	v_mov_b32_e32 v2, s10
	s_xor_b64 exec, exec, s[6:7]
	s_cbranch_execnz .LBB36_3492
.LBB36_1442:
	s_or_b64 exec, exec, s[6:7]
	s_and_saveexec_b64 s[6:7], s[4:5]
	s_cbranch_execz .LBB36_1444
.LBB36_1443:
	v_and_b32_e32 v2, 7, v7
	v_ffbh_u32_e32 v10, v2
	v_min_u32_e32 v10, 32, v10
	v_lshrrev_b16_e32 v6, 3, v7
	v_subrev_u32_e32 v11, 28, v10
	v_and_b32_e32 v6, 15, v6
	v_lshlrev_b32_e32 v11, v11, v7
	v_sub_u32_e32 v10, 29, v10
	v_and_b32_e32 v11, 7, v11
	v_cmp_eq_u16_e32 vcc, 0, v6
	v_cndmask_b32_e32 v2, v2, v11, vcc
	v_cndmask_b32_e32 v6, v6, v10, vcc
	v_lshlrev_b32_e32 v10, 24, v7
	v_mov_b32_e32 v11, 0x3b800000
	v_lshlrev_b32_e32 v2, 20, v2
	v_and_b32_e32 v10, 0x80000000, v10
	v_lshl_add_u32 v6, v6, 23, v11
	v_or3_b32 v2, v10, v6, v2
.LBB36_1444:
	s_or_b64 exec, exec, s[6:7]
	s_movk_i32 s4, 0x7f
	v_cmp_gt_i16_sdwa s[6:7], v3, s4 src0_sel:BYTE_0 src1_sel:DWORD
	s_mov_b64 s[4:5], 0
                                        ; implicit-def: $sgpr10
	s_and_saveexec_b64 s[8:9], s[6:7]
	s_xor_b64 s[6:7], exec, s[8:9]
	s_cbranch_execnz .LBB36_3493
; %bb.1445:
	s_or_saveexec_b64 s[6:7], s[6:7]
	v_mov_b32_e32 v6, s10
	s_xor_b64 exec, exec, s[6:7]
	s_cbranch_execnz .LBB36_3496
.LBB36_1446:
	s_or_b64 exec, exec, s[6:7]
	s_and_saveexec_b64 s[6:7], s[4:5]
	s_cbranch_execz .LBB36_1448
.LBB36_1447:
	v_and_b32_e32 v6, 7, v3
	v_ffbh_u32_e32 v11, v6
	v_min_u32_e32 v11, 32, v11
	v_lshrrev_b16_e32 v10, 3, v3
	v_subrev_u32_e32 v12, 28, v11
	v_and_b32_e32 v10, 15, v10
	v_lshlrev_b32_e32 v12, v12, v3
	v_sub_u32_e32 v11, 29, v11
	v_and_b32_e32 v12, 7, v12
	v_cmp_eq_u16_e32 vcc, 0, v10
	v_cndmask_b32_e32 v6, v6, v12, vcc
	v_cndmask_b32_e32 v10, v10, v11, vcc
	v_lshlrev_b32_e32 v11, 24, v3
	v_mov_b32_e32 v12, 0x3b800000
	v_lshlrev_b32_e32 v6, 20, v6
	v_and_b32_e32 v11, 0x80000000, v11
	v_lshl_add_u32 v10, v10, 23, v12
	v_or3_b32 v6, v11, v10, v6
.LBB36_1448:
	s_or_b64 exec, exec, s[6:7]
	s_nop 0
	v_mfma_f32_16x16x4f32 a[0:3], v2, v6, a[0:3]
	v_lshrrev_b32_e32 v6, 8, v7
	s_movk_i32 s4, 0x7f
	v_cmp_gt_i16_sdwa s[6:7], v6, s4 src0_sel:BYTE_0 src1_sel:DWORD
	s_mov_b64 s[4:5], 0
                                        ; implicit-def: $sgpr10
	s_and_saveexec_b64 s[8:9], s[6:7]
	s_xor_b64 s[6:7], exec, s[8:9]
	s_cbranch_execnz .LBB36_3497
; %bb.1449:
	s_or_saveexec_b64 s[6:7], s[6:7]
	v_mov_b32_e32 v2, s10
	s_xor_b64 exec, exec, s[6:7]
	s_cbranch_execnz .LBB36_3500
.LBB36_1450:
	s_or_b64 exec, exec, s[6:7]
	s_and_saveexec_b64 s[6:7], s[4:5]
	s_cbranch_execz .LBB36_1452
.LBB36_1451:
	v_bfe_u32 v2, v7, 8, 3
	v_ffbh_u32_e32 v11, v2
	v_min_u32_e32 v11, 32, v11
	v_lshrrev_b16_e32 v10, 3, v6
	v_subrev_u32_e32 v12, 28, v11
	v_and_b32_e32 v10, 15, v10
	v_lshlrev_b32_e32 v6, v12, v6
	v_sub_u32_e32 v11, 29, v11
	v_and_b32_e32 v6, 7, v6
	v_cmp_eq_u16_e32 vcc, 0, v10
	v_cndmask_b32_e32 v2, v2, v6, vcc
	v_cndmask_b32_e32 v6, v10, v11, vcc
	v_lshlrev_b32_e32 v10, 16, v7
	v_mov_b32_e32 v11, 0x3b800000
	v_lshlrev_b32_e32 v2, 20, v2
	v_and_b32_e32 v10, 0x80000000, v10
	v_lshl_add_u32 v6, v6, 23, v11
	v_or3_b32 v2, v10, v6, v2
.LBB36_1452:
	s_or_b64 exec, exec, s[6:7]
	v_lshrrev_b32_e32 v6, 8, v3
	s_movk_i32 s4, 0x7f
	v_cmp_gt_i16_sdwa s[6:7], v6, s4 src0_sel:BYTE_0 src1_sel:DWORD
	s_mov_b64 s[4:5], 0
                                        ; implicit-def: $sgpr10
	s_and_saveexec_b64 s[8:9], s[6:7]
	s_xor_b64 s[6:7], exec, s[8:9]
	s_cbranch_execnz .LBB36_3501
; %bb.1453:
	s_or_saveexec_b64 s[6:7], s[6:7]
	v_mov_b32_e32 v10, s10
	s_xor_b64 exec, exec, s[6:7]
	s_cbranch_execnz .LBB36_3504
.LBB36_1454:
	s_or_b64 exec, exec, s[6:7]
	s_and_saveexec_b64 s[6:7], s[4:5]
	s_cbranch_execz .LBB36_1456
.LBB36_1455:
	v_bfe_u32 v10, v3, 8, 3
	v_ffbh_u32_e32 v12, v10
	v_min_u32_e32 v12, 32, v12
	v_lshrrev_b16_e32 v11, 3, v6
	v_subrev_u32_e32 v13, 28, v12
	v_and_b32_e32 v11, 15, v11
	v_lshlrev_b32_e32 v6, v13, v6
	v_sub_u32_e32 v12, 29, v12
	v_and_b32_e32 v6, 7, v6
	v_cmp_eq_u16_e32 vcc, 0, v11
	v_cndmask_b32_e32 v6, v10, v6, vcc
	v_cndmask_b32_e32 v10, v11, v12, vcc
	v_lshlrev_b32_e32 v11, 16, v3
	v_mov_b32_e32 v12, 0x3b800000
	v_lshlrev_b32_e32 v6, 20, v6
	v_and_b32_e32 v11, 0x80000000, v11
	v_lshl_add_u32 v10, v10, 23, v12
	v_or3_b32 v10, v11, v10, v6
.LBB36_1456:
	s_or_b64 exec, exec, s[6:7]
	s_nop 0
	v_mfma_f32_16x16x4f32 a[0:3], v2, v10, a[0:3]
	s_movk_i32 s4, 0xff
	v_and_b32_sdwa v6, v7, s4 dst_sel:DWORD dst_unused:UNUSED_PAD src0_sel:WORD_1 src1_sel:DWORD
	s_movk_i32 s4, 0x7f
	v_cmp_lt_i16_e32 vcc, s4, v6
	s_mov_b64 s[4:5], 0
                                        ; implicit-def: $sgpr10
	s_and_saveexec_b64 s[6:7], vcc
	s_xor_b64 s[6:7], exec, s[6:7]
	s_cbranch_execnz .LBB36_3505
; %bb.1457:
	s_or_saveexec_b64 s[6:7], s[6:7]
	v_mov_b32_e32 v2, s10
	s_xor_b64 exec, exec, s[6:7]
	s_cbranch_execnz .LBB36_3508
.LBB36_1458:
	s_or_b64 exec, exec, s[6:7]
	s_and_saveexec_b64 s[6:7], s[4:5]
	s_cbranch_execz .LBB36_1460
.LBB36_1459:
	v_bfe_u32 v2, v7, 16, 3
	v_ffbh_u32_e32 v11, v2
	v_min_u32_e32 v11, 32, v11
	v_lshrrev_b32_e32 v6, 19, v7
	v_subrev_u32_e32 v12, 28, v11
	v_and_b32_e32 v6, 15, v6
	v_lshlrev_b32_sdwa v12, v12, v7 dst_sel:DWORD dst_unused:UNUSED_PAD src0_sel:DWORD src1_sel:WORD_1
	v_bfe_u32 v10, v7, 19, 4
	v_sub_u32_e32 v11, 29, v11
	v_and_b32_e32 v12, 7, v12
	v_cmp_eq_u16_e32 vcc, 0, v6
	v_cndmask_b32_e32 v2, v2, v12, vcc
	v_cndmask_b32_e32 v6, v10, v11, vcc
	v_lshlrev_b32_e32 v10, 8, v7
	v_mov_b32_e32 v11, 0x3b800000
	v_lshlrev_b32_e32 v2, 20, v2
	v_and_b32_e32 v10, 0x80000000, v10
	v_lshl_add_u32 v6, v6, 23, v11
	v_or3_b32 v2, v10, v6, v2
.LBB36_1460:
	s_or_b64 exec, exec, s[6:7]
	s_movk_i32 s4, 0xff
	v_and_b32_sdwa v6, v3, s4 dst_sel:DWORD dst_unused:UNUSED_PAD src0_sel:WORD_1 src1_sel:DWORD
	s_movk_i32 s4, 0x7f
	v_cmp_lt_i16_e32 vcc, s4, v6
	s_mov_b64 s[4:5], 0
                                        ; implicit-def: $sgpr10
	s_and_saveexec_b64 s[6:7], vcc
	s_xor_b64 s[6:7], exec, s[6:7]
	s_cbranch_execnz .LBB36_3509
; %bb.1461:
	s_or_saveexec_b64 s[6:7], s[6:7]
	v_mov_b32_e32 v10, s10
	s_xor_b64 exec, exec, s[6:7]
	s_cbranch_execnz .LBB36_3512
.LBB36_1462:
	s_or_b64 exec, exec, s[6:7]
	s_and_saveexec_b64 s[6:7], s[4:5]
	s_cbranch_execz .LBB36_1464
.LBB36_1463:
	v_bfe_u32 v6, v3, 16, 3
	v_ffbh_u32_e32 v12, v6
	v_min_u32_e32 v12, 32, v12
	v_lshrrev_b32_e32 v10, 19, v3
	v_subrev_u32_e32 v13, 28, v12
	v_and_b32_e32 v10, 15, v10
	v_lshlrev_b32_sdwa v13, v13, v3 dst_sel:DWORD dst_unused:UNUSED_PAD src0_sel:DWORD src1_sel:WORD_1
	v_bfe_u32 v11, v3, 19, 4
	v_sub_u32_e32 v12, 29, v12
	v_and_b32_e32 v13, 7, v13
	v_cmp_eq_u16_e32 vcc, 0, v10
	v_cndmask_b32_e32 v6, v6, v13, vcc
	v_cndmask_b32_e32 v10, v11, v12, vcc
	v_lshlrev_b32_e32 v11, 8, v3
	v_mov_b32_e32 v12, 0x3b800000
	v_lshlrev_b32_e32 v6, 20, v6
	v_and_b32_e32 v11, 0x80000000, v11
	v_lshl_add_u32 v10, v10, 23, v12
	v_or3_b32 v10, v11, v10, v6
.LBB36_1464:
	s_or_b64 exec, exec, s[6:7]
	s_nop 0
	v_mfma_f32_16x16x4f32 a[0:3], v2, v10, a[0:3]
	s_movk_i32 s4, 0x7f
	v_cmp_gt_i16_sdwa s[6:7], v7, s4 src0_sel:BYTE_3 src1_sel:DWORD
	s_mov_b64 s[4:5], 0
                                        ; implicit-def: $sgpr10
	s_and_saveexec_b64 s[8:9], s[6:7]
	s_xor_b64 s[6:7], exec, s[8:9]
	s_cbranch_execnz .LBB36_3513
; %bb.1465:
	s_or_saveexec_b64 s[6:7], s[6:7]
	v_mov_b32_e32 v2, s10
	s_xor_b64 exec, exec, s[6:7]
	s_cbranch_execnz .LBB36_3516
.LBB36_1466:
	s_or_b64 exec, exec, s[6:7]
	s_and_saveexec_b64 s[6:7], s[4:5]
	s_cbranch_execz .LBB36_1468
.LBB36_1467:
	v_bfe_u32 v2, v7, 24, 3
	v_ffbh_u32_e32 v12, v2
	v_min_u32_e32 v12, 32, v12
	v_lshrrev_b32_e32 v10, 27, v7
	v_subrev_u32_e32 v13, 28, v12
	v_and_b32_e32 v6, 0x80000000, v7
	v_and_b32_e32 v10, 15, v10
	v_bfe_u32 v11, v7, 27, 4
	v_lshlrev_b32_sdwa v7, v13, v7 dst_sel:DWORD dst_unused:UNUSED_PAD src0_sel:DWORD src1_sel:BYTE_3
	v_sub_u32_e32 v12, 29, v12
	v_and_b32_e32 v7, 7, v7
	v_cmp_eq_u16_e32 vcc, 0, v10
	v_cndmask_b32_e32 v2, v2, v7, vcc
	v_cndmask_b32_e32 v7, v11, v12, vcc
	v_mov_b32_e32 v10, 0x3b800000
	v_lshlrev_b32_e32 v2, 20, v2
	v_lshl_add_u32 v7, v7, 23, v10
	v_or3_b32 v2, v6, v7, v2
.LBB36_1468:
	s_or_b64 exec, exec, s[6:7]
	s_movk_i32 s4, 0x7f
	v_cmp_gt_i16_sdwa s[6:7], v3, s4 src0_sel:BYTE_3 src1_sel:DWORD
	s_mov_b64 s[4:5], 0
                                        ; implicit-def: $sgpr10
	s_and_saveexec_b64 s[8:9], s[6:7]
	s_xor_b64 s[6:7], exec, s[8:9]
	s_cbranch_execnz .LBB36_3517
; %bb.1469:
	s_or_saveexec_b64 s[6:7], s[6:7]
	v_mov_b32_e32 v6, s10
	s_xor_b64 exec, exec, s[6:7]
	s_cbranch_execnz .LBB36_3520
.LBB36_1470:
	s_or_b64 exec, exec, s[6:7]
	s_and_saveexec_b64 s[6:7], s[4:5]
	s_cbranch_execz .LBB36_1472
.LBB36_1471:
	v_bfe_u32 v6, v3, 24, 3
	v_ffbh_u32_e32 v12, v6
	v_min_u32_e32 v12, 32, v12
	v_lshrrev_b32_e32 v10, 27, v3
	v_subrev_u32_e32 v13, 28, v12
	v_and_b32_e32 v7, 0x80000000, v3
	v_and_b32_e32 v10, 15, v10
	v_bfe_u32 v11, v3, 27, 4
	v_lshlrev_b32_sdwa v3, v13, v3 dst_sel:DWORD dst_unused:UNUSED_PAD src0_sel:DWORD src1_sel:BYTE_3
	v_sub_u32_e32 v12, 29, v12
	v_and_b32_e32 v3, 7, v3
	v_cmp_eq_u16_e32 vcc, 0, v10
	v_cndmask_b32_e32 v3, v6, v3, vcc
	v_cndmask_b32_e32 v6, v11, v12, vcc
	v_mov_b32_e32 v10, 0x3b800000
	v_lshlrev_b32_e32 v3, 20, v3
	v_lshl_add_u32 v6, v6, 23, v10
	v_or3_b32 v6, v7, v6, v3
.LBB36_1472:
	s_or_b64 exec, exec, s[6:7]
	s_nop 0
	v_mfma_f32_16x16x4f32 a[0:3], v2, v6, a[0:3]
	s_movk_i32 s4, 0x7f
	v_cmp_gt_i16_sdwa s[6:7], v8, s4 src0_sel:BYTE_0 src1_sel:DWORD
	s_mov_b64 s[4:5], 0
                                        ; implicit-def: $sgpr10
	s_and_saveexec_b64 s[8:9], s[6:7]
	s_xor_b64 s[6:7], exec, s[8:9]
	s_cbranch_execnz .LBB36_3521
; %bb.1473:
	s_or_saveexec_b64 s[6:7], s[6:7]
	v_mov_b32_e32 v2, s10
	s_xor_b64 exec, exec, s[6:7]
	s_cbranch_execnz .LBB36_3524
.LBB36_1474:
	s_or_b64 exec, exec, s[6:7]
	s_and_saveexec_b64 s[6:7], s[4:5]
	s_cbranch_execz .LBB36_1476
.LBB36_1475:
	v_and_b32_e32 v2, 7, v8
	v_ffbh_u32_e32 v6, v2
	v_min_u32_e32 v6, 32, v6
	v_lshrrev_b16_e32 v3, 3, v8
	v_subrev_u32_e32 v7, 28, v6
	v_and_b32_e32 v3, 15, v3
	v_lshlrev_b32_e32 v7, v7, v8
	v_sub_u32_e32 v6, 29, v6
	v_and_b32_e32 v7, 7, v7
	v_cmp_eq_u16_e32 vcc, 0, v3
	v_cndmask_b32_e32 v2, v2, v7, vcc
	v_cndmask_b32_e32 v3, v3, v6, vcc
	v_lshlrev_b32_e32 v6, 24, v8
	v_mov_b32_e32 v7, 0x3b800000
	v_lshlrev_b32_e32 v2, 20, v2
	v_and_b32_e32 v6, 0x80000000, v6
	v_lshl_add_u32 v3, v3, 23, v7
	v_or3_b32 v2, v6, v3, v2
.LBB36_1476:
	s_or_b64 exec, exec, s[6:7]
	s_movk_i32 s4, 0x7f
	v_cmp_gt_i16_sdwa s[6:7], v4, s4 src0_sel:BYTE_0 src1_sel:DWORD
	s_mov_b64 s[4:5], 0
                                        ; implicit-def: $sgpr10
	s_and_saveexec_b64 s[8:9], s[6:7]
	s_xor_b64 s[6:7], exec, s[8:9]
	s_cbranch_execnz .LBB36_3525
; %bb.1477:
	s_or_saveexec_b64 s[6:7], s[6:7]
	v_mov_b32_e32 v3, s10
	s_xor_b64 exec, exec, s[6:7]
	s_cbranch_execnz .LBB36_3528
.LBB36_1478:
	s_or_b64 exec, exec, s[6:7]
	s_and_saveexec_b64 s[6:7], s[4:5]
	s_cbranch_execz .LBB36_1480
.LBB36_1479:
	v_and_b32_e32 v3, 7, v4
	v_ffbh_u32_e32 v7, v3
	v_min_u32_e32 v7, 32, v7
	v_lshrrev_b16_e32 v6, 3, v4
	v_subrev_u32_e32 v10, 28, v7
	v_and_b32_e32 v6, 15, v6
	v_lshlrev_b32_e32 v10, v10, v4
	v_sub_u32_e32 v7, 29, v7
	v_and_b32_e32 v10, 7, v10
	v_cmp_eq_u16_e32 vcc, 0, v6
	v_cndmask_b32_e32 v3, v3, v10, vcc
	v_cndmask_b32_e32 v6, v6, v7, vcc
	v_lshlrev_b32_e32 v7, 24, v4
	v_mov_b32_e32 v10, 0x3b800000
	v_lshlrev_b32_e32 v3, 20, v3
	v_and_b32_e32 v7, 0x80000000, v7
	v_lshl_add_u32 v6, v6, 23, v10
	v_or3_b32 v3, v7, v6, v3
.LBB36_1480:
	s_or_b64 exec, exec, s[6:7]
	s_nop 0
	v_mfma_f32_16x16x4f32 a[0:3], v2, v3, a[0:3]
	v_lshrrev_b32_e32 v3, 8, v8
	s_movk_i32 s4, 0x7f
	v_cmp_gt_i16_sdwa s[6:7], v3, s4 src0_sel:BYTE_0 src1_sel:DWORD
	s_mov_b64 s[4:5], 0
                                        ; implicit-def: $sgpr10
	s_and_saveexec_b64 s[8:9], s[6:7]
	s_xor_b64 s[6:7], exec, s[8:9]
	s_cbranch_execnz .LBB36_3529
; %bb.1481:
	s_or_saveexec_b64 s[6:7], s[6:7]
	v_mov_b32_e32 v2, s10
	s_xor_b64 exec, exec, s[6:7]
	s_cbranch_execnz .LBB36_3532
.LBB36_1482:
	s_or_b64 exec, exec, s[6:7]
	s_and_saveexec_b64 s[6:7], s[4:5]
	s_cbranch_execz .LBB36_1484
.LBB36_1483:
	v_bfe_u32 v2, v8, 8, 3
	v_ffbh_u32_e32 v7, v2
	v_min_u32_e32 v7, 32, v7
	v_lshrrev_b16_e32 v6, 3, v3
	v_subrev_u32_e32 v10, 28, v7
	v_and_b32_e32 v6, 15, v6
	v_lshlrev_b32_e32 v3, v10, v3
	v_sub_u32_e32 v7, 29, v7
	v_and_b32_e32 v3, 7, v3
	v_cmp_eq_u16_e32 vcc, 0, v6
	v_cndmask_b32_e32 v2, v2, v3, vcc
	v_cndmask_b32_e32 v3, v6, v7, vcc
	v_lshlrev_b32_e32 v6, 16, v8
	v_mov_b32_e32 v7, 0x3b800000
	v_lshlrev_b32_e32 v2, 20, v2
	v_and_b32_e32 v6, 0x80000000, v6
	v_lshl_add_u32 v3, v3, 23, v7
	v_or3_b32 v2, v6, v3, v2
.LBB36_1484:
	s_or_b64 exec, exec, s[6:7]
	v_lshrrev_b32_e32 v3, 8, v4
	s_movk_i32 s4, 0x7f
	v_cmp_gt_i16_sdwa s[6:7], v3, s4 src0_sel:BYTE_0 src1_sel:DWORD
	s_mov_b64 s[4:5], 0
                                        ; implicit-def: $sgpr10
	s_and_saveexec_b64 s[8:9], s[6:7]
	s_xor_b64 s[6:7], exec, s[8:9]
	s_cbranch_execnz .LBB36_3533
; %bb.1485:
	s_or_saveexec_b64 s[6:7], s[6:7]
	v_mov_b32_e32 v6, s10
	s_xor_b64 exec, exec, s[6:7]
	s_cbranch_execnz .LBB36_3536
.LBB36_1486:
	s_or_b64 exec, exec, s[6:7]
	s_and_saveexec_b64 s[6:7], s[4:5]
	s_cbranch_execz .LBB36_1488
.LBB36_1487:
	v_bfe_u32 v6, v4, 8, 3
	v_ffbh_u32_e32 v10, v6
	v_min_u32_e32 v10, 32, v10
	v_lshrrev_b16_e32 v7, 3, v3
	v_subrev_u32_e32 v11, 28, v10
	v_and_b32_e32 v7, 15, v7
	v_lshlrev_b32_e32 v3, v11, v3
	v_sub_u32_e32 v10, 29, v10
	v_and_b32_e32 v3, 7, v3
	v_cmp_eq_u16_e32 vcc, 0, v7
	v_cndmask_b32_e32 v3, v6, v3, vcc
	v_cndmask_b32_e32 v6, v7, v10, vcc
	v_lshlrev_b32_e32 v7, 16, v4
	v_mov_b32_e32 v10, 0x3b800000
	v_lshlrev_b32_e32 v3, 20, v3
	v_and_b32_e32 v7, 0x80000000, v7
	v_lshl_add_u32 v6, v6, 23, v10
	v_or3_b32 v6, v7, v6, v3
.LBB36_1488:
	s_or_b64 exec, exec, s[6:7]
	s_nop 0
	v_mfma_f32_16x16x4f32 a[0:3], v2, v6, a[0:3]
	s_movk_i32 s4, 0xff
	v_and_b32_sdwa v3, v8, s4 dst_sel:DWORD dst_unused:UNUSED_PAD src0_sel:WORD_1 src1_sel:DWORD
	s_movk_i32 s4, 0x7f
	v_cmp_lt_i16_e32 vcc, s4, v3
	s_mov_b64 s[4:5], 0
                                        ; implicit-def: $sgpr10
	s_and_saveexec_b64 s[6:7], vcc
	s_xor_b64 s[6:7], exec, s[6:7]
	s_cbranch_execnz .LBB36_3537
; %bb.1489:
	s_or_saveexec_b64 s[6:7], s[6:7]
	v_mov_b32_e32 v2, s10
	s_xor_b64 exec, exec, s[6:7]
	s_cbranch_execnz .LBB36_3540
.LBB36_1490:
	s_or_b64 exec, exec, s[6:7]
	s_and_saveexec_b64 s[6:7], s[4:5]
	s_cbranch_execz .LBB36_1492
.LBB36_1491:
	v_bfe_u32 v2, v8, 16, 3
	v_ffbh_u32_e32 v7, v2
	v_min_u32_e32 v7, 32, v7
	v_lshrrev_b32_e32 v3, 19, v8
	v_subrev_u32_e32 v10, 28, v7
	v_and_b32_e32 v3, 15, v3
	v_lshlrev_b32_sdwa v10, v10, v8 dst_sel:DWORD dst_unused:UNUSED_PAD src0_sel:DWORD src1_sel:WORD_1
	v_bfe_u32 v6, v8, 19, 4
	v_sub_u32_e32 v7, 29, v7
	v_and_b32_e32 v10, 7, v10
	v_cmp_eq_u16_e32 vcc, 0, v3
	v_cndmask_b32_e32 v2, v2, v10, vcc
	v_cndmask_b32_e32 v3, v6, v7, vcc
	v_lshlrev_b32_e32 v6, 8, v8
	v_mov_b32_e32 v7, 0x3b800000
	v_lshlrev_b32_e32 v2, 20, v2
	v_and_b32_e32 v6, 0x80000000, v6
	v_lshl_add_u32 v3, v3, 23, v7
	v_or3_b32 v2, v6, v3, v2
.LBB36_1492:
	s_or_b64 exec, exec, s[6:7]
	s_movk_i32 s4, 0xff
	v_and_b32_sdwa v3, v4, s4 dst_sel:DWORD dst_unused:UNUSED_PAD src0_sel:WORD_1 src1_sel:DWORD
	s_movk_i32 s4, 0x7f
	v_cmp_lt_i16_e32 vcc, s4, v3
	s_mov_b64 s[4:5], 0
                                        ; implicit-def: $sgpr10
	s_and_saveexec_b64 s[6:7], vcc
	s_xor_b64 s[6:7], exec, s[6:7]
	s_cbranch_execnz .LBB36_3541
; %bb.1493:
	s_or_saveexec_b64 s[6:7], s[6:7]
	v_mov_b32_e32 v6, s10
	s_xor_b64 exec, exec, s[6:7]
	s_cbranch_execnz .LBB36_3544
.LBB36_1494:
	s_or_b64 exec, exec, s[6:7]
	s_and_saveexec_b64 s[6:7], s[4:5]
	s_cbranch_execz .LBB36_1496
.LBB36_1495:
	v_bfe_u32 v3, v4, 16, 3
	v_ffbh_u32_e32 v10, v3
	v_min_u32_e32 v10, 32, v10
	v_lshrrev_b32_e32 v6, 19, v4
	v_subrev_u32_e32 v11, 28, v10
	v_and_b32_e32 v6, 15, v6
	v_lshlrev_b32_sdwa v11, v11, v4 dst_sel:DWORD dst_unused:UNUSED_PAD src0_sel:DWORD src1_sel:WORD_1
	v_bfe_u32 v7, v4, 19, 4
	v_sub_u32_e32 v10, 29, v10
	v_and_b32_e32 v11, 7, v11
	v_cmp_eq_u16_e32 vcc, 0, v6
	v_cndmask_b32_e32 v3, v3, v11, vcc
	v_cndmask_b32_e32 v6, v7, v10, vcc
	v_lshlrev_b32_e32 v7, 8, v4
	v_mov_b32_e32 v10, 0x3b800000
	v_lshlrev_b32_e32 v3, 20, v3
	v_and_b32_e32 v7, 0x80000000, v7
	v_lshl_add_u32 v6, v6, 23, v10
	v_or3_b32 v6, v7, v6, v3
.LBB36_1496:
	s_or_b64 exec, exec, s[6:7]
	s_nop 0
	v_mfma_f32_16x16x4f32 a[0:3], v2, v6, a[0:3]
	s_movk_i32 s4, 0x7f
	v_cmp_gt_i16_sdwa s[6:7], v8, s4 src0_sel:BYTE_3 src1_sel:DWORD
	s_mov_b64 s[4:5], 0
                                        ; implicit-def: $sgpr10
	s_and_saveexec_b64 s[8:9], s[6:7]
	s_xor_b64 s[6:7], exec, s[8:9]
	s_cbranch_execnz .LBB36_3545
; %bb.1497:
	s_or_saveexec_b64 s[6:7], s[6:7]
	v_mov_b32_e32 v2, s10
	s_xor_b64 exec, exec, s[6:7]
	s_cbranch_execnz .LBB36_3548
.LBB36_1498:
	s_or_b64 exec, exec, s[6:7]
	s_and_saveexec_b64 s[6:7], s[4:5]
	s_cbranch_execz .LBB36_1500
.LBB36_1499:
	v_bfe_u32 v2, v8, 24, 3
	v_ffbh_u32_e32 v10, v2
	v_min_u32_e32 v10, 32, v10
	v_lshrrev_b32_e32 v6, 27, v8
	v_subrev_u32_e32 v11, 28, v10
	v_and_b32_e32 v3, 0x80000000, v8
	v_and_b32_e32 v6, 15, v6
	v_bfe_u32 v7, v8, 27, 4
	v_lshlrev_b32_sdwa v8, v11, v8 dst_sel:DWORD dst_unused:UNUSED_PAD src0_sel:DWORD src1_sel:BYTE_3
	v_sub_u32_e32 v10, 29, v10
	v_and_b32_e32 v8, 7, v8
	v_cmp_eq_u16_e32 vcc, 0, v6
	v_cndmask_b32_e32 v2, v2, v8, vcc
	v_cndmask_b32_e32 v6, v7, v10, vcc
	v_mov_b32_e32 v7, 0x3b800000
	v_lshlrev_b32_e32 v2, 20, v2
	v_lshl_add_u32 v6, v6, 23, v7
	v_or3_b32 v2, v3, v6, v2
.LBB36_1500:
	s_or_b64 exec, exec, s[6:7]
	s_movk_i32 s4, 0x7f
	v_cmp_gt_i16_sdwa s[6:7], v4, s4 src0_sel:BYTE_3 src1_sel:DWORD
	s_mov_b64 s[4:5], 0
                                        ; implicit-def: $sgpr10
	s_and_saveexec_b64 s[8:9], s[6:7]
	s_xor_b64 s[6:7], exec, s[8:9]
	s_cbranch_execnz .LBB36_3549
; %bb.1501:
	s_or_saveexec_b64 s[6:7], s[6:7]
	v_mov_b32_e32 v3, s10
	s_xor_b64 exec, exec, s[6:7]
	s_cbranch_execnz .LBB36_3552
.LBB36_1502:
	s_or_b64 exec, exec, s[6:7]
	s_and_saveexec_b64 s[6:7], s[4:5]
	s_cbranch_execz .LBB36_1504
.LBB36_1503:
	v_bfe_u32 v3, v4, 24, 3
	v_ffbh_u32_e32 v10, v3
	v_min_u32_e32 v10, 32, v10
	v_lshrrev_b32_e32 v7, 27, v4
	v_subrev_u32_e32 v11, 28, v10
	v_and_b32_e32 v6, 0x80000000, v4
	v_and_b32_e32 v7, 15, v7
	v_bfe_u32 v8, v4, 27, 4
	v_lshlrev_b32_sdwa v4, v11, v4 dst_sel:DWORD dst_unused:UNUSED_PAD src0_sel:DWORD src1_sel:BYTE_3
	v_sub_u32_e32 v10, 29, v10
	v_and_b32_e32 v4, 7, v4
	v_cmp_eq_u16_e32 vcc, 0, v7
	v_cndmask_b32_e32 v3, v3, v4, vcc
	v_cndmask_b32_e32 v4, v8, v10, vcc
	v_mov_b32_e32 v7, 0x3b800000
	v_lshlrev_b32_e32 v3, 20, v3
	v_lshl_add_u32 v4, v4, 23, v7
	v_or3_b32 v3, v6, v4, v3
.LBB36_1504:
	s_or_b64 exec, exec, s[6:7]
	s_nop 0
	v_mfma_f32_16x16x4f32 a[0:3], v2, v3, a[0:3]
	s_movk_i32 s4, 0x7f
	v_cmp_gt_i16_sdwa s[6:7], v9, s4 src0_sel:BYTE_0 src1_sel:DWORD
	s_mov_b64 s[4:5], 0
                                        ; implicit-def: $sgpr10
	s_and_saveexec_b64 s[8:9], s[6:7]
	s_xor_b64 s[6:7], exec, s[8:9]
	s_cbranch_execnz .LBB36_3553
; %bb.1505:
	s_or_saveexec_b64 s[6:7], s[6:7]
	v_mov_b32_e32 v2, s10
	s_xor_b64 exec, exec, s[6:7]
	s_cbranch_execnz .LBB36_3556
.LBB36_1506:
	s_or_b64 exec, exec, s[6:7]
	s_and_saveexec_b64 s[6:7], s[4:5]
	s_cbranch_execz .LBB36_1508
.LBB36_1507:
	v_mov_b32_e32 v2, 8
	v_and_b32_e32 v3, 7, v9
	v_lshrrev_b32_sdwa v2, v2, v9 dst_sel:BYTE_1 dst_unused:UNUSED_PAD src0_sel:DWORD src1_sel:DWORD
	v_ffbh_u32_e32 v4, v3
	v_or_b32_sdwa v2, v9, v2 dst_sel:DWORD dst_unused:UNUSED_PAD src0_sel:BYTE_0 src1_sel:DWORD
	v_min_u32_e32 v4, 32, v4
	v_lshrrev_b16_e32 v2, 3, v2
	v_subrev_u32_e32 v6, 28, v4
	v_and_b32_e32 v2, 15, v2
	v_lshlrev_b32_e32 v6, v6, v9
	v_sub_u32_e32 v4, 29, v4
	v_and_b32_e32 v6, 7, v6
	v_cmp_eq_u16_e32 vcc, 0, v2
	v_cndmask_b32_e32 v3, v3, v6, vcc
	v_cndmask_b32_e32 v2, v2, v4, vcc
	v_lshlrev_b32_e32 v4, 24, v9
	v_mov_b32_e32 v6, 0x3b800000
	v_lshlrev_b32_e32 v3, 20, v3
	v_and_b32_e32 v4, 0x80000000, v4
	v_lshl_add_u32 v2, v2, 23, v6
	v_or3_b32 v2, v4, v2, v3
.LBB36_1508:
	s_or_b64 exec, exec, s[6:7]
	s_movk_i32 s4, 0x7f
	v_cmp_gt_i16_sdwa s[6:7], v5, s4 src0_sel:BYTE_0 src1_sel:DWORD
	s_mov_b64 s[4:5], 0
                                        ; implicit-def: $sgpr10
	s_and_saveexec_b64 s[8:9], s[6:7]
	s_xor_b64 s[6:7], exec, s[8:9]
	s_cbranch_execnz .LBB36_3557
; %bb.1509:
	s_or_saveexec_b64 s[6:7], s[6:7]
	v_mov_b32_e32 v3, s10
	s_xor_b64 exec, exec, s[6:7]
	s_cbranch_execnz .LBB36_3560
.LBB36_1510:
	s_or_b64 exec, exec, s[6:7]
	s_and_saveexec_b64 s[6:7], s[4:5]
	s_cbranch_execz .LBB36_1512
.LBB36_1511:
	v_mov_b32_e32 v3, 8
	v_and_b32_e32 v4, 7, v5
	v_lshrrev_b32_sdwa v3, v3, v5 dst_sel:BYTE_1 dst_unused:UNUSED_PAD src0_sel:DWORD src1_sel:DWORD
	v_ffbh_u32_e32 v6, v4
	v_or_b32_sdwa v3, v5, v3 dst_sel:DWORD dst_unused:UNUSED_PAD src0_sel:BYTE_0 src1_sel:DWORD
	v_min_u32_e32 v6, 32, v6
	v_lshrrev_b16_e32 v3, 3, v3
	v_subrev_u32_e32 v7, 28, v6
	v_and_b32_e32 v3, 15, v3
	v_lshlrev_b32_e32 v7, v7, v5
	v_sub_u32_e32 v6, 29, v6
	v_and_b32_e32 v7, 7, v7
	v_cmp_eq_u16_e32 vcc, 0, v3
	v_cndmask_b32_e32 v4, v4, v7, vcc
	v_cndmask_b32_e32 v3, v3, v6, vcc
	v_lshlrev_b32_e32 v6, 24, v5
	v_mov_b32_e32 v7, 0x3b800000
	v_lshlrev_b32_e32 v4, 20, v4
	v_and_b32_e32 v6, 0x80000000, v6
	v_lshl_add_u32 v3, v3, 23, v7
	v_or3_b32 v3, v6, v3, v4
.LBB36_1512:
	s_or_b64 exec, exec, s[6:7]
	s_nop 0
	v_mfma_f32_16x16x4f32 a[0:3], v2, v3, a[0:3]
	v_lshrrev_b32_e32 v3, 8, v9
	s_movk_i32 s4, 0x7f
	v_cmp_gt_i16_sdwa s[6:7], v3, s4 src0_sel:BYTE_0 src1_sel:DWORD
	s_mov_b64 s[4:5], 0
                                        ; implicit-def: $sgpr10
	s_and_saveexec_b64 s[8:9], s[6:7]
	s_xor_b64 s[6:7], exec, s[8:9]
	s_cbranch_execnz .LBB36_3561
; %bb.1513:
	s_or_saveexec_b64 s[6:7], s[6:7]
	v_mov_b32_e32 v2, s10
	s_xor_b64 exec, exec, s[6:7]
	s_cbranch_execnz .LBB36_3564
.LBB36_1514:
	s_or_b64 exec, exec, s[6:7]
	s_and_saveexec_b64 s[6:7], s[4:5]
	s_cbranch_execz .LBB36_1516
.LBB36_1515:
	v_bfe_u32 v2, v9, 8, 3
	v_ffbh_u32_e32 v6, v2
	v_min_u32_e32 v6, 32, v6
	v_lshrrev_b16_e32 v4, 3, v3
	v_subrev_u32_e32 v7, 28, v6
	v_and_b32_e32 v4, 15, v4
	v_lshlrev_b32_e32 v3, v7, v3
	v_sub_u32_e32 v6, 29, v6
	v_and_b32_e32 v3, 7, v3
	v_cmp_eq_u16_e32 vcc, 0, v4
	v_cndmask_b32_e32 v2, v2, v3, vcc
	v_cndmask_b32_e32 v3, v4, v6, vcc
	v_lshlrev_b32_e32 v4, 16, v9
	v_mov_b32_e32 v6, 0x3b800000
	v_lshlrev_b32_e32 v2, 20, v2
	v_and_b32_e32 v4, 0x80000000, v4
	v_lshl_add_u32 v3, v3, 23, v6
	v_or3_b32 v2, v4, v3, v2
.LBB36_1516:
	s_or_b64 exec, exec, s[6:7]
	v_lshrrev_b32_e32 v3, 8, v5
	s_movk_i32 s4, 0x7f
	v_cmp_gt_i16_sdwa s[6:7], v3, s4 src0_sel:BYTE_0 src1_sel:DWORD
	s_mov_b64 s[4:5], 0
                                        ; implicit-def: $sgpr10
	s_and_saveexec_b64 s[8:9], s[6:7]
	s_xor_b64 s[6:7], exec, s[8:9]
	s_cbranch_execnz .LBB36_3565
; %bb.1517:
	s_or_saveexec_b64 s[6:7], s[6:7]
	v_mov_b32_e32 v4, s10
	s_xor_b64 exec, exec, s[6:7]
	s_cbranch_execnz .LBB36_3568
.LBB36_1518:
	s_or_b64 exec, exec, s[6:7]
	s_and_saveexec_b64 s[6:7], s[4:5]
	s_cbranch_execz .LBB36_1520
.LBB36_1519:
	v_bfe_u32 v4, v5, 8, 3
	v_ffbh_u32_e32 v7, v4
	v_min_u32_e32 v7, 32, v7
	v_lshrrev_b16_e32 v6, 3, v3
	v_subrev_u32_e32 v8, 28, v7
	v_and_b32_e32 v6, 15, v6
	v_lshlrev_b32_e32 v3, v8, v3
	v_sub_u32_e32 v7, 29, v7
	v_and_b32_e32 v3, 7, v3
	v_cmp_eq_u16_e32 vcc, 0, v6
	v_cndmask_b32_e32 v3, v4, v3, vcc
	v_cndmask_b32_e32 v4, v6, v7, vcc
	v_lshlrev_b32_e32 v6, 16, v5
	v_mov_b32_e32 v7, 0x3b800000
	v_lshlrev_b32_e32 v3, 20, v3
	v_and_b32_e32 v6, 0x80000000, v6
	v_lshl_add_u32 v4, v4, 23, v7
	v_or3_b32 v4, v6, v4, v3
.LBB36_1520:
	s_or_b64 exec, exec, s[6:7]
	s_nop 0
	v_mfma_f32_16x16x4f32 a[0:3], v2, v4, a[0:3]
	s_movk_i32 s4, 0xff
	v_and_b32_sdwa v3, v9, s4 dst_sel:DWORD dst_unused:UNUSED_PAD src0_sel:WORD_1 src1_sel:DWORD
	s_movk_i32 s4, 0x7f
	v_cmp_lt_i16_e32 vcc, s4, v3
	s_mov_b64 s[4:5], 0
                                        ; implicit-def: $sgpr10
	s_and_saveexec_b64 s[6:7], vcc
	s_xor_b64 s[6:7], exec, s[6:7]
	s_cbranch_execnz .LBB36_3569
; %bb.1521:
	s_or_saveexec_b64 s[6:7], s[6:7]
	v_mov_b32_e32 v2, s10
	s_xor_b64 exec, exec, s[6:7]
	s_cbranch_execnz .LBB36_3572
.LBB36_1522:
	s_or_b64 exec, exec, s[6:7]
	s_and_saveexec_b64 s[6:7], s[4:5]
	s_cbranch_execz .LBB36_1524
.LBB36_1523:
	v_bfe_u32 v2, v9, 16, 3
	v_ffbh_u32_e32 v6, v2
	v_min_u32_e32 v6, 32, v6
	v_lshrrev_b32_e32 v3, 19, v9
	v_subrev_u32_e32 v7, 28, v6
	v_and_b32_e32 v3, 15, v3
	v_lshlrev_b32_sdwa v7, v7, v9 dst_sel:DWORD dst_unused:UNUSED_PAD src0_sel:DWORD src1_sel:WORD_1
	v_bfe_u32 v4, v9, 19, 4
	v_sub_u32_e32 v6, 29, v6
	v_and_b32_e32 v7, 7, v7
	v_cmp_eq_u16_e32 vcc, 0, v3
	v_cndmask_b32_e32 v2, v2, v7, vcc
	v_cndmask_b32_e32 v3, v4, v6, vcc
	v_lshlrev_b32_e32 v4, 8, v9
	v_mov_b32_e32 v6, 0x3b800000
	v_lshlrev_b32_e32 v2, 20, v2
	v_and_b32_e32 v4, 0x80000000, v4
	v_lshl_add_u32 v3, v3, 23, v6
	v_or3_b32 v2, v4, v3, v2
.LBB36_1524:
	s_or_b64 exec, exec, s[6:7]
	s_movk_i32 s4, 0xff
	v_and_b32_sdwa v3, v5, s4 dst_sel:DWORD dst_unused:UNUSED_PAD src0_sel:WORD_1 src1_sel:DWORD
	s_movk_i32 s4, 0x7f
	v_cmp_lt_i16_e32 vcc, s4, v3
	s_mov_b64 s[4:5], 0
                                        ; implicit-def: $sgpr10
	s_and_saveexec_b64 s[6:7], vcc
	s_xor_b64 s[6:7], exec, s[6:7]
	s_cbranch_execnz .LBB36_3573
; %bb.1525:
	s_or_saveexec_b64 s[6:7], s[6:7]
	v_mov_b32_e32 v4, s10
	s_xor_b64 exec, exec, s[6:7]
	s_cbranch_execnz .LBB36_3576
.LBB36_1526:
	s_or_b64 exec, exec, s[6:7]
	s_and_saveexec_b64 s[6:7], s[4:5]
	s_cbranch_execz .LBB36_1528
.LBB36_1527:
	v_bfe_u32 v3, v5, 16, 3
	v_ffbh_u32_e32 v7, v3
	v_min_u32_e32 v7, 32, v7
	v_lshrrev_b32_e32 v4, 19, v5
	v_subrev_u32_e32 v8, 28, v7
	v_and_b32_e32 v4, 15, v4
	v_lshlrev_b32_sdwa v8, v8, v5 dst_sel:DWORD dst_unused:UNUSED_PAD src0_sel:DWORD src1_sel:WORD_1
	v_bfe_u32 v6, v5, 19, 4
	v_sub_u32_e32 v7, 29, v7
	v_and_b32_e32 v8, 7, v8
	v_cmp_eq_u16_e32 vcc, 0, v4
	v_cndmask_b32_e32 v3, v3, v8, vcc
	v_cndmask_b32_e32 v4, v6, v7, vcc
	v_lshlrev_b32_e32 v6, 8, v5
	v_mov_b32_e32 v7, 0x3b800000
	v_lshlrev_b32_e32 v3, 20, v3
	v_and_b32_e32 v6, 0x80000000, v6
	v_lshl_add_u32 v4, v4, 23, v7
	v_or3_b32 v4, v6, v4, v3
.LBB36_1528:
	s_or_b64 exec, exec, s[6:7]
	s_nop 0
	v_mfma_f32_16x16x4f32 a[0:3], v2, v4, a[0:3]
	s_movk_i32 s4, 0x7f
	v_cmp_gt_i16_sdwa s[6:7], v9, s4 src0_sel:BYTE_3 src1_sel:DWORD
	s_mov_b64 s[4:5], 0
                                        ; implicit-def: $sgpr10
	s_and_saveexec_b64 s[8:9], s[6:7]
	s_xor_b64 s[6:7], exec, s[8:9]
	s_cbranch_execnz .LBB36_3577
; %bb.1529:
	s_or_saveexec_b64 s[6:7], s[6:7]
	v_mov_b32_e32 v2, s10
	s_xor_b64 exec, exec, s[6:7]
	s_cbranch_execnz .LBB36_3580
.LBB36_1530:
	s_or_b64 exec, exec, s[6:7]
	s_and_saveexec_b64 s[6:7], s[4:5]
	s_cbranch_execz .LBB36_1532
.LBB36_1531:
	v_bfe_u32 v2, v9, 24, 3
	v_ffbh_u32_e32 v7, v2
	v_min_u32_e32 v7, 32, v7
	v_lshrrev_b32_e32 v4, 27, v9
	v_subrev_u32_e32 v8, 28, v7
	v_and_b32_e32 v4, 15, v4
	v_lshlrev_b32_sdwa v8, v8, v9 dst_sel:DWORD dst_unused:UNUSED_PAD src0_sel:DWORD src1_sel:BYTE_3
	v_bfe_u32 v6, v9, 27, 4
	v_sub_u32_e32 v7, 29, v7
	v_and_b32_e32 v8, 7, v8
	v_cmp_eq_u16_e32 vcc, 0, v4
	v_cndmask_b32_e32 v2, v2, v8, vcc
	v_cndmask_b32_e32 v4, v6, v7, vcc
	v_mov_b32_e32 v6, 0x3b800000
	v_and_b32_e32 v3, 0x80000000, v9
	v_lshlrev_b32_e32 v2, 20, v2
	v_lshl_add_u32 v4, v4, 23, v6
	v_or3_b32 v2, v3, v4, v2
.LBB36_1532:
	s_or_b64 exec, exec, s[6:7]
	s_movk_i32 s4, 0x7f
	v_cmp_gt_i16_sdwa s[6:7], v5, s4 src0_sel:BYTE_3 src1_sel:DWORD
	s_mov_b64 s[4:5], 0
                                        ; implicit-def: $sgpr10
	s_and_saveexec_b64 s[8:9], s[6:7]
	s_xor_b64 s[6:7], exec, s[8:9]
	s_cbranch_execnz .LBB36_3581
; %bb.1533:
	s_or_saveexec_b64 s[6:7], s[6:7]
	v_mov_b32_e32 v3, s10
	s_xor_b64 exec, exec, s[6:7]
	s_cbranch_execnz .LBB36_3584
.LBB36_1534:
	s_or_b64 exec, exec, s[6:7]
	s_and_saveexec_b64 s[6:7], s[4:5]
	s_cbranch_execz .LBB36_1536
.LBB36_1535:
	v_bfe_u32 v3, v5, 24, 3
	v_ffbh_u32_e32 v8, v3
	v_min_u32_e32 v8, 32, v8
	v_lshrrev_b32_e32 v6, 27, v5
	v_subrev_u32_e32 v9, 28, v8
	v_and_b32_e32 v4, 0x80000000, v5
	v_and_b32_e32 v6, 15, v6
	v_bfe_u32 v7, v5, 27, 4
	v_lshlrev_b32_sdwa v5, v9, v5 dst_sel:DWORD dst_unused:UNUSED_PAD src0_sel:DWORD src1_sel:BYTE_3
	v_sub_u32_e32 v8, 29, v8
	v_and_b32_e32 v5, 7, v5
	v_cmp_eq_u16_e32 vcc, 0, v6
	v_cndmask_b32_e32 v3, v3, v5, vcc
	v_cndmask_b32_e32 v5, v7, v8, vcc
	v_mov_b32_e32 v6, 0x3b800000
	v_lshlrev_b32_e32 v3, 20, v3
	v_lshl_add_u32 v5, v5, 23, v6
	v_or3_b32 v3, v4, v5, v3
.LBB36_1536:
	s_or_b64 exec, exec, s[6:7]
	s_nop 0
	v_mfma_f32_16x16x4f32 a[0:3], v2, v3, a[0:3]
	s_movk_i32 s4, 0x7f
                                        ; implicit-def: $sgpr10
	s_nop 7
	s_nop 1
	flat_store_dwordx4 v[18:19], a[0:3] offset:80
	flat_load_dwordx4 v[20:23], v[0:1] offset:16
	s_nop 0
	flat_load_dwordx2 v[18:19], v[0:1] offset:32
	s_waitcnt vmcnt(0) lgkmcnt(0)
	flat_load_dwordx4 v[14:17], v[20:21]
	flat_load_dwordx4 v[6:9], v[20:21] offset:16
	flat_load_dwordx4 v[10:13], v[22:23] offset:448
	;; [unrolled: 1-line block ×3, first 2 shown]
	s_waitcnt vmcnt(0) lgkmcnt(0)
	v_cmp_gt_i16_sdwa s[6:7], v14, s4 src0_sel:BYTE_0 src1_sel:DWORD
	s_mov_b64 s[4:5], 0
	s_and_saveexec_b64 s[8:9], s[6:7]
	s_xor_b64 s[6:7], exec, s[8:9]
	s_cbranch_execnz .LBB36_3585
; %bb.1537:
	s_or_saveexec_b64 s[6:7], s[6:7]
	v_mov_b32_e32 v20, s10
	s_xor_b64 exec, exec, s[6:7]
	s_cbranch_execnz .LBB36_3588
.LBB36_1538:
	s_or_b64 exec, exec, s[6:7]
	s_and_saveexec_b64 s[6:7], s[4:5]
	s_cbranch_execz .LBB36_1540
.LBB36_1539:
	v_and_b32_e32 v20, 7, v14
	v_ffbh_u32_e32 v22, v20
	v_min_u32_e32 v22, 32, v22
	v_lshrrev_b16_e32 v21, 3, v14
	v_subrev_u32_e32 v23, 28, v22
	v_and_b32_e32 v21, 15, v21
	v_lshlrev_b32_e32 v23, v23, v14
	v_sub_u32_e32 v22, 29, v22
	v_and_b32_e32 v23, 7, v23
	v_cmp_eq_u16_e32 vcc, 0, v21
	v_cndmask_b32_e32 v20, v20, v23, vcc
	v_cndmask_b32_e32 v21, v21, v22, vcc
	v_lshlrev_b32_e32 v22, 24, v14
	v_mov_b32_e32 v23, 0x3b800000
	v_lshlrev_b32_e32 v20, 20, v20
	v_and_b32_e32 v22, 0x80000000, v22
	v_lshl_add_u32 v21, v21, 23, v23
	v_or3_b32 v20, v22, v21, v20
.LBB36_1540:
	s_or_b64 exec, exec, s[6:7]
	s_movk_i32 s4, 0x7f
	v_cmp_gt_i16_sdwa s[6:7], v10, s4 src0_sel:BYTE_0 src1_sel:DWORD
	s_mov_b64 s[4:5], 0
                                        ; implicit-def: $sgpr10
	s_and_saveexec_b64 s[8:9], s[6:7]
	s_xor_b64 s[6:7], exec, s[8:9]
	s_cbranch_execnz .LBB36_3589
; %bb.1541:
	s_or_saveexec_b64 s[6:7], s[6:7]
	v_mov_b32_e32 v21, s10
	s_xor_b64 exec, exec, s[6:7]
	s_cbranch_execnz .LBB36_3592
.LBB36_1542:
	s_or_b64 exec, exec, s[6:7]
	s_and_saveexec_b64 s[6:7], s[4:5]
	s_cbranch_execz .LBB36_1544
.LBB36_1543:
	v_and_b32_e32 v21, 7, v10
	v_ffbh_u32_e32 v23, v21
	v_min_u32_e32 v23, 32, v23
	v_lshrrev_b16_e32 v22, 3, v10
	v_subrev_u32_e32 v24, 28, v23
	v_and_b32_e32 v22, 15, v22
	v_lshlrev_b32_e32 v24, v24, v10
	v_sub_u32_e32 v23, 29, v23
	v_and_b32_e32 v24, 7, v24
	v_cmp_eq_u16_e32 vcc, 0, v22
	v_cndmask_b32_e32 v21, v21, v24, vcc
	v_cndmask_b32_e32 v22, v22, v23, vcc
	v_lshlrev_b32_e32 v23, 24, v10
	v_mov_b32_e32 v24, 0x3b800000
	v_lshlrev_b32_e32 v21, 20, v21
	v_and_b32_e32 v23, 0x80000000, v23
	v_lshl_add_u32 v22, v22, 23, v24
	v_or3_b32 v21, v23, v22, v21
.LBB36_1544:
	s_or_b64 exec, exec, s[6:7]
	flat_load_dwordx4 a[0:3], v[18:19] offset:96
	s_movk_i32 s4, 0x7f
                                        ; implicit-def: $sgpr10
	s_waitcnt vmcnt(0) lgkmcnt(0)
	v_mfma_f32_16x16x4f32 a[0:3], v20, v21, a[0:3]
	v_lshrrev_b32_e32 v21, 8, v14
	v_cmp_gt_i16_sdwa s[6:7], v21, s4 src0_sel:BYTE_0 src1_sel:DWORD
	s_mov_b64 s[4:5], 0
	s_and_saveexec_b64 s[8:9], s[6:7]
	s_xor_b64 s[6:7], exec, s[8:9]
	s_cbranch_execnz .LBB36_3593
; %bb.1545:
	s_or_saveexec_b64 s[6:7], s[6:7]
	v_mov_b32_e32 v20, s10
	s_xor_b64 exec, exec, s[6:7]
	s_cbranch_execnz .LBB36_3596
.LBB36_1546:
	s_or_b64 exec, exec, s[6:7]
	s_and_saveexec_b64 s[6:7], s[4:5]
	s_cbranch_execz .LBB36_1548
.LBB36_1547:
	v_bfe_u32 v20, v14, 8, 3
	v_ffbh_u32_e32 v23, v20
	v_min_u32_e32 v23, 32, v23
	v_lshrrev_b16_e32 v22, 3, v21
	v_subrev_u32_e32 v24, 28, v23
	v_and_b32_e32 v22, 15, v22
	v_lshlrev_b32_e32 v21, v24, v21
	v_sub_u32_e32 v23, 29, v23
	v_and_b32_e32 v21, 7, v21
	v_cmp_eq_u16_e32 vcc, 0, v22
	v_cndmask_b32_e32 v20, v20, v21, vcc
	v_cndmask_b32_e32 v21, v22, v23, vcc
	v_lshlrev_b32_e32 v22, 16, v14
	v_mov_b32_e32 v23, 0x3b800000
	v_lshlrev_b32_e32 v20, 20, v20
	v_and_b32_e32 v22, 0x80000000, v22
	v_lshl_add_u32 v21, v21, 23, v23
	v_or3_b32 v20, v22, v21, v20
.LBB36_1548:
	s_or_b64 exec, exec, s[6:7]
	v_lshrrev_b32_e32 v21, 8, v10
	s_movk_i32 s4, 0x7f
	v_cmp_gt_i16_sdwa s[6:7], v21, s4 src0_sel:BYTE_0 src1_sel:DWORD
	s_mov_b64 s[4:5], 0
                                        ; implicit-def: $sgpr10
	s_and_saveexec_b64 s[8:9], s[6:7]
	s_xor_b64 s[6:7], exec, s[8:9]
	s_cbranch_execnz .LBB36_3597
; %bb.1549:
	s_or_saveexec_b64 s[6:7], s[6:7]
	v_mov_b32_e32 v22, s10
	s_xor_b64 exec, exec, s[6:7]
	s_cbranch_execnz .LBB36_3600
.LBB36_1550:
	s_or_b64 exec, exec, s[6:7]
	s_and_saveexec_b64 s[6:7], s[4:5]
	s_cbranch_execz .LBB36_1552
.LBB36_1551:
	v_bfe_u32 v22, v10, 8, 3
	v_ffbh_u32_e32 v24, v22
	v_min_u32_e32 v24, 32, v24
	v_lshrrev_b16_e32 v23, 3, v21
	v_subrev_u32_e32 v25, 28, v24
	v_and_b32_e32 v23, 15, v23
	v_lshlrev_b32_e32 v21, v25, v21
	v_sub_u32_e32 v24, 29, v24
	v_and_b32_e32 v21, 7, v21
	v_cmp_eq_u16_e32 vcc, 0, v23
	v_cndmask_b32_e32 v21, v22, v21, vcc
	v_cndmask_b32_e32 v22, v23, v24, vcc
	v_lshlrev_b32_e32 v23, 16, v10
	v_mov_b32_e32 v24, 0x3b800000
	v_lshlrev_b32_e32 v21, 20, v21
	v_and_b32_e32 v23, 0x80000000, v23
	v_lshl_add_u32 v22, v22, 23, v24
	v_or3_b32 v22, v23, v22, v21
.LBB36_1552:
	s_or_b64 exec, exec, s[6:7]
	s_nop 0
	v_mfma_f32_16x16x4f32 a[0:3], v20, v22, a[0:3]
	s_movk_i32 s4, 0xff
	v_and_b32_sdwa v21, v14, s4 dst_sel:DWORD dst_unused:UNUSED_PAD src0_sel:WORD_1 src1_sel:DWORD
	s_movk_i32 s4, 0x7f
	v_cmp_lt_i16_e32 vcc, s4, v21
	s_mov_b64 s[4:5], 0
                                        ; implicit-def: $sgpr10
	s_and_saveexec_b64 s[6:7], vcc
	s_xor_b64 s[6:7], exec, s[6:7]
	s_cbranch_execnz .LBB36_3601
; %bb.1553:
	s_or_saveexec_b64 s[6:7], s[6:7]
	v_mov_b32_e32 v20, s10
	s_xor_b64 exec, exec, s[6:7]
	s_cbranch_execnz .LBB36_3604
.LBB36_1554:
	s_or_b64 exec, exec, s[6:7]
	s_and_saveexec_b64 s[6:7], s[4:5]
	s_cbranch_execz .LBB36_1556
.LBB36_1555:
	v_bfe_u32 v20, v14, 16, 3
	v_ffbh_u32_e32 v23, v20
	v_min_u32_e32 v23, 32, v23
	v_lshrrev_b32_e32 v21, 19, v14
	v_subrev_u32_e32 v24, 28, v23
	v_and_b32_e32 v21, 15, v21
	v_lshlrev_b32_sdwa v24, v24, v14 dst_sel:DWORD dst_unused:UNUSED_PAD src0_sel:DWORD src1_sel:WORD_1
	v_bfe_u32 v22, v14, 19, 4
	v_sub_u32_e32 v23, 29, v23
	v_and_b32_e32 v24, 7, v24
	v_cmp_eq_u16_e32 vcc, 0, v21
	v_cndmask_b32_e32 v20, v20, v24, vcc
	v_cndmask_b32_e32 v21, v22, v23, vcc
	v_lshlrev_b32_e32 v22, 8, v14
	v_mov_b32_e32 v23, 0x3b800000
	v_lshlrev_b32_e32 v20, 20, v20
	v_and_b32_e32 v22, 0x80000000, v22
	v_lshl_add_u32 v21, v21, 23, v23
	v_or3_b32 v20, v22, v21, v20
.LBB36_1556:
	s_or_b64 exec, exec, s[6:7]
	s_movk_i32 s4, 0xff
	v_and_b32_sdwa v21, v10, s4 dst_sel:DWORD dst_unused:UNUSED_PAD src0_sel:WORD_1 src1_sel:DWORD
	s_movk_i32 s4, 0x7f
	v_cmp_lt_i16_e32 vcc, s4, v21
	s_mov_b64 s[4:5], 0
                                        ; implicit-def: $sgpr10
	s_and_saveexec_b64 s[6:7], vcc
	s_xor_b64 s[6:7], exec, s[6:7]
	s_cbranch_execnz .LBB36_3605
; %bb.1557:
	s_or_saveexec_b64 s[6:7], s[6:7]
	v_mov_b32_e32 v22, s10
	s_xor_b64 exec, exec, s[6:7]
	s_cbranch_execnz .LBB36_3608
.LBB36_1558:
	s_or_b64 exec, exec, s[6:7]
	s_and_saveexec_b64 s[6:7], s[4:5]
	s_cbranch_execz .LBB36_1560
.LBB36_1559:
	v_bfe_u32 v21, v10, 16, 3
	v_ffbh_u32_e32 v24, v21
	v_min_u32_e32 v24, 32, v24
	v_lshrrev_b32_e32 v22, 19, v10
	v_subrev_u32_e32 v25, 28, v24
	v_and_b32_e32 v22, 15, v22
	v_lshlrev_b32_sdwa v25, v25, v10 dst_sel:DWORD dst_unused:UNUSED_PAD src0_sel:DWORD src1_sel:WORD_1
	v_bfe_u32 v23, v10, 19, 4
	v_sub_u32_e32 v24, 29, v24
	v_and_b32_e32 v25, 7, v25
	v_cmp_eq_u16_e32 vcc, 0, v22
	v_cndmask_b32_e32 v21, v21, v25, vcc
	v_cndmask_b32_e32 v22, v23, v24, vcc
	v_lshlrev_b32_e32 v23, 8, v10
	v_mov_b32_e32 v24, 0x3b800000
	v_lshlrev_b32_e32 v21, 20, v21
	v_and_b32_e32 v23, 0x80000000, v23
	v_lshl_add_u32 v22, v22, 23, v24
	v_or3_b32 v22, v23, v22, v21
.LBB36_1560:
	s_or_b64 exec, exec, s[6:7]
	s_nop 0
	v_mfma_f32_16x16x4f32 a[0:3], v20, v22, a[0:3]
	s_movk_i32 s4, 0x7f
	v_cmp_gt_i16_sdwa s[6:7], v14, s4 src0_sel:BYTE_3 src1_sel:DWORD
	s_mov_b64 s[4:5], 0
                                        ; implicit-def: $sgpr10
	s_and_saveexec_b64 s[8:9], s[6:7]
	s_xor_b64 s[6:7], exec, s[8:9]
	s_cbranch_execnz .LBB36_3609
; %bb.1561:
	s_or_saveexec_b64 s[6:7], s[6:7]
	v_mov_b32_e32 v20, s10
	s_xor_b64 exec, exec, s[6:7]
	s_cbranch_execnz .LBB36_3612
.LBB36_1562:
	s_or_b64 exec, exec, s[6:7]
	s_and_saveexec_b64 s[6:7], s[4:5]
	s_cbranch_execz .LBB36_1564
.LBB36_1563:
	v_bfe_u32 v20, v14, 24, 3
	v_ffbh_u32_e32 v24, v20
	v_min_u32_e32 v24, 32, v24
	v_lshrrev_b32_e32 v22, 27, v14
	v_subrev_u32_e32 v25, 28, v24
	v_and_b32_e32 v21, 0x80000000, v14
	v_and_b32_e32 v22, 15, v22
	v_bfe_u32 v23, v14, 27, 4
	v_lshlrev_b32_sdwa v14, v25, v14 dst_sel:DWORD dst_unused:UNUSED_PAD src0_sel:DWORD src1_sel:BYTE_3
	v_sub_u32_e32 v24, 29, v24
	v_and_b32_e32 v14, 7, v14
	v_cmp_eq_u16_e32 vcc, 0, v22
	v_cndmask_b32_e32 v14, v20, v14, vcc
	v_cndmask_b32_e32 v20, v23, v24, vcc
	v_mov_b32_e32 v22, 0x3b800000
	v_lshlrev_b32_e32 v14, 20, v14
	v_lshl_add_u32 v20, v20, 23, v22
	v_or3_b32 v20, v21, v20, v14
.LBB36_1564:
	s_or_b64 exec, exec, s[6:7]
	s_movk_i32 s4, 0x7f
	v_cmp_gt_i16_sdwa s[6:7], v10, s4 src0_sel:BYTE_3 src1_sel:DWORD
	s_mov_b64 s[4:5], 0
                                        ; implicit-def: $sgpr10
	s_and_saveexec_b64 s[8:9], s[6:7]
	s_xor_b64 s[6:7], exec, s[8:9]
	s_cbranch_execnz .LBB36_3613
; %bb.1565:
	s_or_saveexec_b64 s[6:7], s[6:7]
	v_mov_b32_e32 v14, s10
	s_xor_b64 exec, exec, s[6:7]
	s_cbranch_execnz .LBB36_3616
.LBB36_1566:
	s_or_b64 exec, exec, s[6:7]
	s_and_saveexec_b64 s[6:7], s[4:5]
	s_cbranch_execz .LBB36_1568
.LBB36_1567:
	v_bfe_u32 v14, v10, 24, 3
	v_ffbh_u32_e32 v24, v14
	v_min_u32_e32 v24, 32, v24
	v_lshrrev_b32_e32 v22, 27, v10
	v_subrev_u32_e32 v25, 28, v24
	v_and_b32_e32 v21, 0x80000000, v10
	v_and_b32_e32 v22, 15, v22
	v_bfe_u32 v23, v10, 27, 4
	v_lshlrev_b32_sdwa v10, v25, v10 dst_sel:DWORD dst_unused:UNUSED_PAD src0_sel:DWORD src1_sel:BYTE_3
	v_sub_u32_e32 v24, 29, v24
	v_and_b32_e32 v10, 7, v10
	v_cmp_eq_u16_e32 vcc, 0, v22
	v_cndmask_b32_e32 v10, v14, v10, vcc
	v_cndmask_b32_e32 v14, v23, v24, vcc
	v_mov_b32_e32 v22, 0x3b800000
	v_lshlrev_b32_e32 v10, 20, v10
	v_lshl_add_u32 v14, v14, 23, v22
	v_or3_b32 v14, v21, v14, v10
.LBB36_1568:
	s_or_b64 exec, exec, s[6:7]
	s_nop 0
	v_mfma_f32_16x16x4f32 a[0:3], v20, v14, a[0:3]
	s_movk_i32 s4, 0x7f
	v_cmp_gt_i16_sdwa s[6:7], v15, s4 src0_sel:BYTE_0 src1_sel:DWORD
	s_mov_b64 s[4:5], 0
                                        ; implicit-def: $sgpr10
	s_and_saveexec_b64 s[8:9], s[6:7]
	s_xor_b64 s[6:7], exec, s[8:9]
	s_cbranch_execnz .LBB36_3617
; %bb.1569:
	s_or_saveexec_b64 s[6:7], s[6:7]
	v_mov_b32_e32 v10, s10
	s_xor_b64 exec, exec, s[6:7]
	s_cbranch_execnz .LBB36_3620
.LBB36_1570:
	s_or_b64 exec, exec, s[6:7]
	s_and_saveexec_b64 s[6:7], s[4:5]
	s_cbranch_execz .LBB36_1572
.LBB36_1571:
	v_and_b32_e32 v10, 7, v15
	v_ffbh_u32_e32 v20, v10
	v_min_u32_e32 v20, 32, v20
	v_lshrrev_b16_e32 v14, 3, v15
	v_subrev_u32_e32 v21, 28, v20
	v_and_b32_e32 v14, 15, v14
	v_lshlrev_b32_e32 v21, v21, v15
	v_sub_u32_e32 v20, 29, v20
	v_and_b32_e32 v21, 7, v21
	v_cmp_eq_u16_e32 vcc, 0, v14
	v_cndmask_b32_e32 v10, v10, v21, vcc
	v_cndmask_b32_e32 v14, v14, v20, vcc
	v_lshlrev_b32_e32 v20, 24, v15
	v_mov_b32_e32 v21, 0x3b800000
	v_lshlrev_b32_e32 v10, 20, v10
	v_and_b32_e32 v20, 0x80000000, v20
	v_lshl_add_u32 v14, v14, 23, v21
	v_or3_b32 v10, v20, v14, v10
.LBB36_1572:
	s_or_b64 exec, exec, s[6:7]
	s_movk_i32 s4, 0x7f
	v_cmp_gt_i16_sdwa s[6:7], v11, s4 src0_sel:BYTE_0 src1_sel:DWORD
	s_mov_b64 s[4:5], 0
                                        ; implicit-def: $sgpr10
	s_and_saveexec_b64 s[8:9], s[6:7]
	s_xor_b64 s[6:7], exec, s[8:9]
	s_cbranch_execnz .LBB36_3621
; %bb.1573:
	s_or_saveexec_b64 s[6:7], s[6:7]
	v_mov_b32_e32 v14, s10
	s_xor_b64 exec, exec, s[6:7]
	s_cbranch_execnz .LBB36_3624
.LBB36_1574:
	s_or_b64 exec, exec, s[6:7]
	s_and_saveexec_b64 s[6:7], s[4:5]
	s_cbranch_execz .LBB36_1576
.LBB36_1575:
	v_and_b32_e32 v14, 7, v11
	v_ffbh_u32_e32 v21, v14
	v_min_u32_e32 v21, 32, v21
	v_lshrrev_b16_e32 v20, 3, v11
	v_subrev_u32_e32 v22, 28, v21
	v_and_b32_e32 v20, 15, v20
	v_lshlrev_b32_e32 v22, v22, v11
	v_sub_u32_e32 v21, 29, v21
	v_and_b32_e32 v22, 7, v22
	v_cmp_eq_u16_e32 vcc, 0, v20
	v_cndmask_b32_e32 v14, v14, v22, vcc
	v_cndmask_b32_e32 v20, v20, v21, vcc
	v_lshlrev_b32_e32 v21, 24, v11
	v_mov_b32_e32 v22, 0x3b800000
	v_lshlrev_b32_e32 v14, 20, v14
	v_and_b32_e32 v21, 0x80000000, v21
	v_lshl_add_u32 v20, v20, 23, v22
	v_or3_b32 v14, v21, v20, v14
.LBB36_1576:
	s_or_b64 exec, exec, s[6:7]
	s_nop 0
	v_mfma_f32_16x16x4f32 a[0:3], v10, v14, a[0:3]
	v_lshrrev_b32_e32 v14, 8, v15
	s_movk_i32 s4, 0x7f
	v_cmp_gt_i16_sdwa s[6:7], v14, s4 src0_sel:BYTE_0 src1_sel:DWORD
	s_mov_b64 s[4:5], 0
                                        ; implicit-def: $sgpr10
	s_and_saveexec_b64 s[8:9], s[6:7]
	s_xor_b64 s[6:7], exec, s[8:9]
	s_cbranch_execnz .LBB36_3625
; %bb.1577:
	s_or_saveexec_b64 s[6:7], s[6:7]
	v_mov_b32_e32 v10, s10
	s_xor_b64 exec, exec, s[6:7]
	s_cbranch_execnz .LBB36_3628
.LBB36_1578:
	s_or_b64 exec, exec, s[6:7]
	s_and_saveexec_b64 s[6:7], s[4:5]
	s_cbranch_execz .LBB36_1580
.LBB36_1579:
	v_bfe_u32 v10, v15, 8, 3
	v_ffbh_u32_e32 v21, v10
	v_min_u32_e32 v21, 32, v21
	v_lshrrev_b16_e32 v20, 3, v14
	v_subrev_u32_e32 v22, 28, v21
	v_and_b32_e32 v20, 15, v20
	v_lshlrev_b32_e32 v14, v22, v14
	v_sub_u32_e32 v21, 29, v21
	v_and_b32_e32 v14, 7, v14
	v_cmp_eq_u16_e32 vcc, 0, v20
	v_cndmask_b32_e32 v10, v10, v14, vcc
	v_cndmask_b32_e32 v14, v20, v21, vcc
	v_lshlrev_b32_e32 v20, 16, v15
	v_mov_b32_e32 v21, 0x3b800000
	v_lshlrev_b32_e32 v10, 20, v10
	v_and_b32_e32 v20, 0x80000000, v20
	v_lshl_add_u32 v14, v14, 23, v21
	v_or3_b32 v10, v20, v14, v10
.LBB36_1580:
	s_or_b64 exec, exec, s[6:7]
	v_lshrrev_b32_e32 v14, 8, v11
	s_movk_i32 s4, 0x7f
	v_cmp_gt_i16_sdwa s[6:7], v14, s4 src0_sel:BYTE_0 src1_sel:DWORD
	s_mov_b64 s[4:5], 0
                                        ; implicit-def: $sgpr10
	s_and_saveexec_b64 s[8:9], s[6:7]
	s_xor_b64 s[6:7], exec, s[8:9]
	s_cbranch_execnz .LBB36_3629
; %bb.1581:
	s_or_saveexec_b64 s[6:7], s[6:7]
	v_mov_b32_e32 v20, s10
	s_xor_b64 exec, exec, s[6:7]
	s_cbranch_execnz .LBB36_3632
.LBB36_1582:
	s_or_b64 exec, exec, s[6:7]
	s_and_saveexec_b64 s[6:7], s[4:5]
	s_cbranch_execz .LBB36_1584
.LBB36_1583:
	v_bfe_u32 v20, v11, 8, 3
	v_ffbh_u32_e32 v22, v20
	v_min_u32_e32 v22, 32, v22
	v_lshrrev_b16_e32 v21, 3, v14
	v_subrev_u32_e32 v23, 28, v22
	v_and_b32_e32 v21, 15, v21
	v_lshlrev_b32_e32 v14, v23, v14
	v_sub_u32_e32 v22, 29, v22
	v_and_b32_e32 v14, 7, v14
	v_cmp_eq_u16_e32 vcc, 0, v21
	v_cndmask_b32_e32 v14, v20, v14, vcc
	v_cndmask_b32_e32 v20, v21, v22, vcc
	v_lshlrev_b32_e32 v21, 16, v11
	v_mov_b32_e32 v22, 0x3b800000
	v_lshlrev_b32_e32 v14, 20, v14
	v_and_b32_e32 v21, 0x80000000, v21
	v_lshl_add_u32 v20, v20, 23, v22
	v_or3_b32 v20, v21, v20, v14
.LBB36_1584:
	s_or_b64 exec, exec, s[6:7]
	s_nop 0
	v_mfma_f32_16x16x4f32 a[0:3], v10, v20, a[0:3]
	s_movk_i32 s4, 0xff
	v_and_b32_sdwa v14, v15, s4 dst_sel:DWORD dst_unused:UNUSED_PAD src0_sel:WORD_1 src1_sel:DWORD
	s_movk_i32 s4, 0x7f
	v_cmp_lt_i16_e32 vcc, s4, v14
	s_mov_b64 s[4:5], 0
                                        ; implicit-def: $sgpr10
	s_and_saveexec_b64 s[6:7], vcc
	s_xor_b64 s[6:7], exec, s[6:7]
	s_cbranch_execnz .LBB36_3633
; %bb.1585:
	s_or_saveexec_b64 s[6:7], s[6:7]
	v_mov_b32_e32 v10, s10
	s_xor_b64 exec, exec, s[6:7]
	s_cbranch_execnz .LBB36_3636
.LBB36_1586:
	s_or_b64 exec, exec, s[6:7]
	s_and_saveexec_b64 s[6:7], s[4:5]
	s_cbranch_execz .LBB36_1588
.LBB36_1587:
	v_bfe_u32 v10, v15, 16, 3
	v_ffbh_u32_e32 v21, v10
	v_min_u32_e32 v21, 32, v21
	v_lshrrev_b32_e32 v14, 19, v15
	v_subrev_u32_e32 v22, 28, v21
	v_and_b32_e32 v14, 15, v14
	v_lshlrev_b32_sdwa v22, v22, v15 dst_sel:DWORD dst_unused:UNUSED_PAD src0_sel:DWORD src1_sel:WORD_1
	v_bfe_u32 v20, v15, 19, 4
	v_sub_u32_e32 v21, 29, v21
	v_and_b32_e32 v22, 7, v22
	v_cmp_eq_u16_e32 vcc, 0, v14
	v_cndmask_b32_e32 v10, v10, v22, vcc
	v_cndmask_b32_e32 v14, v20, v21, vcc
	v_lshlrev_b32_e32 v20, 8, v15
	v_mov_b32_e32 v21, 0x3b800000
	v_lshlrev_b32_e32 v10, 20, v10
	v_and_b32_e32 v20, 0x80000000, v20
	v_lshl_add_u32 v14, v14, 23, v21
	v_or3_b32 v10, v20, v14, v10
.LBB36_1588:
	s_or_b64 exec, exec, s[6:7]
	s_movk_i32 s4, 0xff
	v_and_b32_sdwa v14, v11, s4 dst_sel:DWORD dst_unused:UNUSED_PAD src0_sel:WORD_1 src1_sel:DWORD
	s_movk_i32 s4, 0x7f
	v_cmp_lt_i16_e32 vcc, s4, v14
	s_mov_b64 s[4:5], 0
                                        ; implicit-def: $sgpr10
	s_and_saveexec_b64 s[6:7], vcc
	s_xor_b64 s[6:7], exec, s[6:7]
	s_cbranch_execnz .LBB36_3637
; %bb.1589:
	s_or_saveexec_b64 s[6:7], s[6:7]
	v_mov_b32_e32 v20, s10
	s_xor_b64 exec, exec, s[6:7]
	s_cbranch_execnz .LBB36_3640
.LBB36_1590:
	s_or_b64 exec, exec, s[6:7]
	s_and_saveexec_b64 s[6:7], s[4:5]
	s_cbranch_execz .LBB36_1592
.LBB36_1591:
	v_bfe_u32 v14, v11, 16, 3
	v_ffbh_u32_e32 v22, v14
	v_min_u32_e32 v22, 32, v22
	v_lshrrev_b32_e32 v20, 19, v11
	v_subrev_u32_e32 v23, 28, v22
	v_and_b32_e32 v20, 15, v20
	v_lshlrev_b32_sdwa v23, v23, v11 dst_sel:DWORD dst_unused:UNUSED_PAD src0_sel:DWORD src1_sel:WORD_1
	v_bfe_u32 v21, v11, 19, 4
	v_sub_u32_e32 v22, 29, v22
	v_and_b32_e32 v23, 7, v23
	v_cmp_eq_u16_e32 vcc, 0, v20
	v_cndmask_b32_e32 v14, v14, v23, vcc
	v_cndmask_b32_e32 v20, v21, v22, vcc
	v_lshlrev_b32_e32 v21, 8, v11
	v_mov_b32_e32 v22, 0x3b800000
	v_lshlrev_b32_e32 v14, 20, v14
	v_and_b32_e32 v21, 0x80000000, v21
	v_lshl_add_u32 v20, v20, 23, v22
	v_or3_b32 v20, v21, v20, v14
.LBB36_1592:
	s_or_b64 exec, exec, s[6:7]
	s_nop 0
	v_mfma_f32_16x16x4f32 a[0:3], v10, v20, a[0:3]
	s_movk_i32 s4, 0x7f
	v_cmp_gt_i16_sdwa s[6:7], v15, s4 src0_sel:BYTE_3 src1_sel:DWORD
	s_mov_b64 s[4:5], 0
                                        ; implicit-def: $sgpr10
	s_and_saveexec_b64 s[8:9], s[6:7]
	s_xor_b64 s[6:7], exec, s[8:9]
	s_cbranch_execnz .LBB36_3641
; %bb.1593:
	s_or_saveexec_b64 s[6:7], s[6:7]
	v_mov_b32_e32 v10, s10
	s_xor_b64 exec, exec, s[6:7]
	s_cbranch_execnz .LBB36_3644
.LBB36_1594:
	s_or_b64 exec, exec, s[6:7]
	s_and_saveexec_b64 s[6:7], s[4:5]
	s_cbranch_execz .LBB36_1596
.LBB36_1595:
	v_bfe_u32 v10, v15, 24, 3
	v_ffbh_u32_e32 v22, v10
	v_min_u32_e32 v22, 32, v22
	v_lshrrev_b32_e32 v20, 27, v15
	v_subrev_u32_e32 v23, 28, v22
	v_and_b32_e32 v14, 0x80000000, v15
	v_and_b32_e32 v20, 15, v20
	v_bfe_u32 v21, v15, 27, 4
	v_lshlrev_b32_sdwa v15, v23, v15 dst_sel:DWORD dst_unused:UNUSED_PAD src0_sel:DWORD src1_sel:BYTE_3
	v_sub_u32_e32 v22, 29, v22
	v_and_b32_e32 v15, 7, v15
	v_cmp_eq_u16_e32 vcc, 0, v20
	v_cndmask_b32_e32 v10, v10, v15, vcc
	v_cndmask_b32_e32 v15, v21, v22, vcc
	v_mov_b32_e32 v20, 0x3b800000
	v_lshlrev_b32_e32 v10, 20, v10
	v_lshl_add_u32 v15, v15, 23, v20
	v_or3_b32 v10, v14, v15, v10
.LBB36_1596:
	s_or_b64 exec, exec, s[6:7]
	s_movk_i32 s4, 0x7f
	v_cmp_gt_i16_sdwa s[6:7], v11, s4 src0_sel:BYTE_3 src1_sel:DWORD
	s_mov_b64 s[4:5], 0
                                        ; implicit-def: $sgpr10
	s_and_saveexec_b64 s[8:9], s[6:7]
	s_xor_b64 s[6:7], exec, s[8:9]
	s_cbranch_execnz .LBB36_3645
; %bb.1597:
	s_or_saveexec_b64 s[6:7], s[6:7]
	v_mov_b32_e32 v14, s10
	s_xor_b64 exec, exec, s[6:7]
	s_cbranch_execnz .LBB36_3648
.LBB36_1598:
	s_or_b64 exec, exec, s[6:7]
	s_and_saveexec_b64 s[6:7], s[4:5]
	s_cbranch_execz .LBB36_1600
.LBB36_1599:
	v_bfe_u32 v14, v11, 24, 3
	v_ffbh_u32_e32 v22, v14
	v_min_u32_e32 v22, 32, v22
	v_lshrrev_b32_e32 v20, 27, v11
	v_subrev_u32_e32 v23, 28, v22
	v_and_b32_e32 v15, 0x80000000, v11
	v_and_b32_e32 v20, 15, v20
	v_bfe_u32 v21, v11, 27, 4
	v_lshlrev_b32_sdwa v11, v23, v11 dst_sel:DWORD dst_unused:UNUSED_PAD src0_sel:DWORD src1_sel:BYTE_3
	v_sub_u32_e32 v22, 29, v22
	v_and_b32_e32 v11, 7, v11
	v_cmp_eq_u16_e32 vcc, 0, v20
	v_cndmask_b32_e32 v11, v14, v11, vcc
	v_cndmask_b32_e32 v14, v21, v22, vcc
	v_mov_b32_e32 v20, 0x3b800000
	v_lshlrev_b32_e32 v11, 20, v11
	v_lshl_add_u32 v14, v14, 23, v20
	v_or3_b32 v14, v15, v14, v11
.LBB36_1600:
	s_or_b64 exec, exec, s[6:7]
	s_nop 0
	v_mfma_f32_16x16x4f32 a[0:3], v10, v14, a[0:3]
	s_movk_i32 s4, 0x7f
	v_cmp_gt_i16_sdwa s[6:7], v16, s4 src0_sel:BYTE_0 src1_sel:DWORD
	s_mov_b64 s[4:5], 0
                                        ; implicit-def: $sgpr10
	s_and_saveexec_b64 s[8:9], s[6:7]
	s_xor_b64 s[6:7], exec, s[8:9]
	s_cbranch_execnz .LBB36_3649
; %bb.1601:
	s_or_saveexec_b64 s[6:7], s[6:7]
	v_mov_b32_e32 v10, s10
	s_xor_b64 exec, exec, s[6:7]
	s_cbranch_execnz .LBB36_3652
.LBB36_1602:
	s_or_b64 exec, exec, s[6:7]
	s_and_saveexec_b64 s[6:7], s[4:5]
	s_cbranch_execz .LBB36_1604
.LBB36_1603:
	v_and_b32_e32 v10, 7, v16
	v_ffbh_u32_e32 v14, v10
	v_min_u32_e32 v14, 32, v14
	v_lshrrev_b16_e32 v11, 3, v16
	v_subrev_u32_e32 v15, 28, v14
	v_and_b32_e32 v11, 15, v11
	v_lshlrev_b32_e32 v15, v15, v16
	v_sub_u32_e32 v14, 29, v14
	v_and_b32_e32 v15, 7, v15
	v_cmp_eq_u16_e32 vcc, 0, v11
	v_cndmask_b32_e32 v10, v10, v15, vcc
	v_cndmask_b32_e32 v11, v11, v14, vcc
	v_lshlrev_b32_e32 v14, 24, v16
	v_mov_b32_e32 v15, 0x3b800000
	v_lshlrev_b32_e32 v10, 20, v10
	v_and_b32_e32 v14, 0x80000000, v14
	v_lshl_add_u32 v11, v11, 23, v15
	v_or3_b32 v10, v14, v11, v10
.LBB36_1604:
	s_or_b64 exec, exec, s[6:7]
	s_movk_i32 s4, 0x7f
	v_cmp_gt_i16_sdwa s[6:7], v12, s4 src0_sel:BYTE_0 src1_sel:DWORD
	s_mov_b64 s[4:5], 0
                                        ; implicit-def: $sgpr10
	s_and_saveexec_b64 s[8:9], s[6:7]
	s_xor_b64 s[6:7], exec, s[8:9]
	s_cbranch_execnz .LBB36_3653
; %bb.1605:
	s_or_saveexec_b64 s[6:7], s[6:7]
	v_mov_b32_e32 v11, s10
	s_xor_b64 exec, exec, s[6:7]
	s_cbranch_execnz .LBB36_3656
.LBB36_1606:
	s_or_b64 exec, exec, s[6:7]
	s_and_saveexec_b64 s[6:7], s[4:5]
	s_cbranch_execz .LBB36_1608
.LBB36_1607:
	v_and_b32_e32 v11, 7, v12
	v_ffbh_u32_e32 v15, v11
	v_min_u32_e32 v15, 32, v15
	v_lshrrev_b16_e32 v14, 3, v12
	v_subrev_u32_e32 v20, 28, v15
	v_and_b32_e32 v14, 15, v14
	v_lshlrev_b32_e32 v20, v20, v12
	v_sub_u32_e32 v15, 29, v15
	v_and_b32_e32 v20, 7, v20
	v_cmp_eq_u16_e32 vcc, 0, v14
	v_cndmask_b32_e32 v11, v11, v20, vcc
	v_cndmask_b32_e32 v14, v14, v15, vcc
	v_lshlrev_b32_e32 v15, 24, v12
	v_mov_b32_e32 v20, 0x3b800000
	v_lshlrev_b32_e32 v11, 20, v11
	v_and_b32_e32 v15, 0x80000000, v15
	v_lshl_add_u32 v14, v14, 23, v20
	v_or3_b32 v11, v15, v14, v11
.LBB36_1608:
	s_or_b64 exec, exec, s[6:7]
	s_nop 0
	v_mfma_f32_16x16x4f32 a[0:3], v10, v11, a[0:3]
	v_lshrrev_b32_e32 v11, 8, v16
	s_movk_i32 s4, 0x7f
	v_cmp_gt_i16_sdwa s[6:7], v11, s4 src0_sel:BYTE_0 src1_sel:DWORD
	s_mov_b64 s[4:5], 0
                                        ; implicit-def: $sgpr10
	s_and_saveexec_b64 s[8:9], s[6:7]
	s_xor_b64 s[6:7], exec, s[8:9]
	s_cbranch_execnz .LBB36_3657
; %bb.1609:
	s_or_saveexec_b64 s[6:7], s[6:7]
	v_mov_b32_e32 v10, s10
	s_xor_b64 exec, exec, s[6:7]
	s_cbranch_execnz .LBB36_3660
.LBB36_1610:
	s_or_b64 exec, exec, s[6:7]
	s_and_saveexec_b64 s[6:7], s[4:5]
	s_cbranch_execz .LBB36_1612
.LBB36_1611:
	v_bfe_u32 v10, v16, 8, 3
	v_ffbh_u32_e32 v15, v10
	v_min_u32_e32 v15, 32, v15
	v_lshrrev_b16_e32 v14, 3, v11
	v_subrev_u32_e32 v20, 28, v15
	v_and_b32_e32 v14, 15, v14
	v_lshlrev_b32_e32 v11, v20, v11
	v_sub_u32_e32 v15, 29, v15
	v_and_b32_e32 v11, 7, v11
	v_cmp_eq_u16_e32 vcc, 0, v14
	v_cndmask_b32_e32 v10, v10, v11, vcc
	v_cndmask_b32_e32 v11, v14, v15, vcc
	v_lshlrev_b32_e32 v14, 16, v16
	v_mov_b32_e32 v15, 0x3b800000
	v_lshlrev_b32_e32 v10, 20, v10
	v_and_b32_e32 v14, 0x80000000, v14
	v_lshl_add_u32 v11, v11, 23, v15
	v_or3_b32 v10, v14, v11, v10
.LBB36_1612:
	s_or_b64 exec, exec, s[6:7]
	v_lshrrev_b32_e32 v11, 8, v12
	s_movk_i32 s4, 0x7f
	v_cmp_gt_i16_sdwa s[6:7], v11, s4 src0_sel:BYTE_0 src1_sel:DWORD
	s_mov_b64 s[4:5], 0
                                        ; implicit-def: $sgpr10
	s_and_saveexec_b64 s[8:9], s[6:7]
	s_xor_b64 s[6:7], exec, s[8:9]
	s_cbranch_execnz .LBB36_3661
; %bb.1613:
	s_or_saveexec_b64 s[6:7], s[6:7]
	v_mov_b32_e32 v14, s10
	s_xor_b64 exec, exec, s[6:7]
	s_cbranch_execnz .LBB36_3664
.LBB36_1614:
	s_or_b64 exec, exec, s[6:7]
	s_and_saveexec_b64 s[6:7], s[4:5]
	s_cbranch_execz .LBB36_1616
.LBB36_1615:
	v_bfe_u32 v14, v12, 8, 3
	v_ffbh_u32_e32 v20, v14
	v_min_u32_e32 v20, 32, v20
	v_lshrrev_b16_e32 v15, 3, v11
	v_subrev_u32_e32 v21, 28, v20
	v_and_b32_e32 v15, 15, v15
	v_lshlrev_b32_e32 v11, v21, v11
	v_sub_u32_e32 v20, 29, v20
	v_and_b32_e32 v11, 7, v11
	v_cmp_eq_u16_e32 vcc, 0, v15
	v_cndmask_b32_e32 v11, v14, v11, vcc
	v_cndmask_b32_e32 v14, v15, v20, vcc
	v_lshlrev_b32_e32 v15, 16, v12
	v_mov_b32_e32 v20, 0x3b800000
	v_lshlrev_b32_e32 v11, 20, v11
	v_and_b32_e32 v15, 0x80000000, v15
	v_lshl_add_u32 v14, v14, 23, v20
	v_or3_b32 v14, v15, v14, v11
.LBB36_1616:
	s_or_b64 exec, exec, s[6:7]
	s_nop 0
	v_mfma_f32_16x16x4f32 a[0:3], v10, v14, a[0:3]
	s_movk_i32 s4, 0xff
	v_and_b32_sdwa v11, v16, s4 dst_sel:DWORD dst_unused:UNUSED_PAD src0_sel:WORD_1 src1_sel:DWORD
	s_movk_i32 s4, 0x7f
	v_cmp_lt_i16_e32 vcc, s4, v11
	s_mov_b64 s[4:5], 0
                                        ; implicit-def: $sgpr10
	s_and_saveexec_b64 s[6:7], vcc
	s_xor_b64 s[6:7], exec, s[6:7]
	s_cbranch_execnz .LBB36_3665
; %bb.1617:
	s_or_saveexec_b64 s[6:7], s[6:7]
	v_mov_b32_e32 v10, s10
	s_xor_b64 exec, exec, s[6:7]
	s_cbranch_execnz .LBB36_3668
.LBB36_1618:
	s_or_b64 exec, exec, s[6:7]
	s_and_saveexec_b64 s[6:7], s[4:5]
	s_cbranch_execz .LBB36_1620
.LBB36_1619:
	v_bfe_u32 v10, v16, 16, 3
	v_ffbh_u32_e32 v15, v10
	v_min_u32_e32 v15, 32, v15
	v_lshrrev_b32_e32 v11, 19, v16
	v_subrev_u32_e32 v20, 28, v15
	v_and_b32_e32 v11, 15, v11
	v_lshlrev_b32_sdwa v20, v20, v16 dst_sel:DWORD dst_unused:UNUSED_PAD src0_sel:DWORD src1_sel:WORD_1
	v_bfe_u32 v14, v16, 19, 4
	v_sub_u32_e32 v15, 29, v15
	v_and_b32_e32 v20, 7, v20
	v_cmp_eq_u16_e32 vcc, 0, v11
	v_cndmask_b32_e32 v10, v10, v20, vcc
	v_cndmask_b32_e32 v11, v14, v15, vcc
	v_lshlrev_b32_e32 v14, 8, v16
	v_mov_b32_e32 v15, 0x3b800000
	v_lshlrev_b32_e32 v10, 20, v10
	v_and_b32_e32 v14, 0x80000000, v14
	v_lshl_add_u32 v11, v11, 23, v15
	v_or3_b32 v10, v14, v11, v10
.LBB36_1620:
	s_or_b64 exec, exec, s[6:7]
	s_movk_i32 s4, 0xff
	v_and_b32_sdwa v11, v12, s4 dst_sel:DWORD dst_unused:UNUSED_PAD src0_sel:WORD_1 src1_sel:DWORD
	s_movk_i32 s4, 0x7f
	v_cmp_lt_i16_e32 vcc, s4, v11
	s_mov_b64 s[4:5], 0
                                        ; implicit-def: $sgpr10
	s_and_saveexec_b64 s[6:7], vcc
	s_xor_b64 s[6:7], exec, s[6:7]
	s_cbranch_execnz .LBB36_3669
; %bb.1621:
	s_or_saveexec_b64 s[6:7], s[6:7]
	v_mov_b32_e32 v14, s10
	s_xor_b64 exec, exec, s[6:7]
	s_cbranch_execnz .LBB36_3672
.LBB36_1622:
	s_or_b64 exec, exec, s[6:7]
	s_and_saveexec_b64 s[6:7], s[4:5]
	s_cbranch_execz .LBB36_1624
.LBB36_1623:
	v_bfe_u32 v11, v12, 16, 3
	v_ffbh_u32_e32 v20, v11
	v_min_u32_e32 v20, 32, v20
	v_lshrrev_b32_e32 v14, 19, v12
	v_subrev_u32_e32 v21, 28, v20
	v_and_b32_e32 v14, 15, v14
	v_lshlrev_b32_sdwa v21, v21, v12 dst_sel:DWORD dst_unused:UNUSED_PAD src0_sel:DWORD src1_sel:WORD_1
	v_bfe_u32 v15, v12, 19, 4
	v_sub_u32_e32 v20, 29, v20
	v_and_b32_e32 v21, 7, v21
	v_cmp_eq_u16_e32 vcc, 0, v14
	v_cndmask_b32_e32 v11, v11, v21, vcc
	v_cndmask_b32_e32 v14, v15, v20, vcc
	v_lshlrev_b32_e32 v15, 8, v12
	v_mov_b32_e32 v20, 0x3b800000
	v_lshlrev_b32_e32 v11, 20, v11
	v_and_b32_e32 v15, 0x80000000, v15
	v_lshl_add_u32 v14, v14, 23, v20
	v_or3_b32 v14, v15, v14, v11
.LBB36_1624:
	s_or_b64 exec, exec, s[6:7]
	s_nop 0
	v_mfma_f32_16x16x4f32 a[0:3], v10, v14, a[0:3]
	s_movk_i32 s4, 0x7f
	v_cmp_gt_i16_sdwa s[6:7], v16, s4 src0_sel:BYTE_3 src1_sel:DWORD
	s_mov_b64 s[4:5], 0
                                        ; implicit-def: $sgpr10
	s_and_saveexec_b64 s[8:9], s[6:7]
	s_xor_b64 s[6:7], exec, s[8:9]
	s_cbranch_execnz .LBB36_3673
; %bb.1625:
	s_or_saveexec_b64 s[6:7], s[6:7]
	v_mov_b32_e32 v10, s10
	s_xor_b64 exec, exec, s[6:7]
	s_cbranch_execnz .LBB36_3676
.LBB36_1626:
	s_or_b64 exec, exec, s[6:7]
	s_and_saveexec_b64 s[6:7], s[4:5]
	s_cbranch_execz .LBB36_1628
.LBB36_1627:
	v_bfe_u32 v10, v16, 24, 3
	v_ffbh_u32_e32 v20, v10
	v_min_u32_e32 v20, 32, v20
	v_lshrrev_b32_e32 v14, 27, v16
	v_subrev_u32_e32 v21, 28, v20
	v_and_b32_e32 v11, 0x80000000, v16
	v_and_b32_e32 v14, 15, v14
	v_bfe_u32 v15, v16, 27, 4
	v_lshlrev_b32_sdwa v16, v21, v16 dst_sel:DWORD dst_unused:UNUSED_PAD src0_sel:DWORD src1_sel:BYTE_3
	v_sub_u32_e32 v20, 29, v20
	v_and_b32_e32 v16, 7, v16
	v_cmp_eq_u16_e32 vcc, 0, v14
	v_cndmask_b32_e32 v10, v10, v16, vcc
	v_cndmask_b32_e32 v14, v15, v20, vcc
	v_mov_b32_e32 v15, 0x3b800000
	v_lshlrev_b32_e32 v10, 20, v10
	v_lshl_add_u32 v14, v14, 23, v15
	v_or3_b32 v10, v11, v14, v10
.LBB36_1628:
	s_or_b64 exec, exec, s[6:7]
	s_movk_i32 s4, 0x7f
	v_cmp_gt_i16_sdwa s[6:7], v12, s4 src0_sel:BYTE_3 src1_sel:DWORD
	s_mov_b64 s[4:5], 0
                                        ; implicit-def: $sgpr10
	s_and_saveexec_b64 s[8:9], s[6:7]
	s_xor_b64 s[6:7], exec, s[8:9]
	s_cbranch_execnz .LBB36_3677
; %bb.1629:
	s_or_saveexec_b64 s[6:7], s[6:7]
	v_mov_b32_e32 v11, s10
	s_xor_b64 exec, exec, s[6:7]
	s_cbranch_execnz .LBB36_3680
.LBB36_1630:
	s_or_b64 exec, exec, s[6:7]
	s_and_saveexec_b64 s[6:7], s[4:5]
	s_cbranch_execz .LBB36_1632
.LBB36_1631:
	v_bfe_u32 v11, v12, 24, 3
	v_ffbh_u32_e32 v20, v11
	v_min_u32_e32 v20, 32, v20
	v_lshrrev_b32_e32 v15, 27, v12
	v_subrev_u32_e32 v21, 28, v20
	v_and_b32_e32 v14, 0x80000000, v12
	v_and_b32_e32 v15, 15, v15
	v_bfe_u32 v16, v12, 27, 4
	v_lshlrev_b32_sdwa v12, v21, v12 dst_sel:DWORD dst_unused:UNUSED_PAD src0_sel:DWORD src1_sel:BYTE_3
	v_sub_u32_e32 v20, 29, v20
	v_and_b32_e32 v12, 7, v12
	v_cmp_eq_u16_e32 vcc, 0, v15
	v_cndmask_b32_e32 v11, v11, v12, vcc
	v_cndmask_b32_e32 v12, v16, v20, vcc
	v_mov_b32_e32 v15, 0x3b800000
	v_lshlrev_b32_e32 v11, 20, v11
	v_lshl_add_u32 v12, v12, 23, v15
	v_or3_b32 v11, v14, v12, v11
.LBB36_1632:
	s_or_b64 exec, exec, s[6:7]
	s_nop 0
	v_mfma_f32_16x16x4f32 a[0:3], v10, v11, a[0:3]
	s_movk_i32 s4, 0x7f
	v_cmp_gt_i16_sdwa s[6:7], v17, s4 src0_sel:BYTE_0 src1_sel:DWORD
	s_mov_b64 s[4:5], 0
                                        ; implicit-def: $sgpr10
	s_and_saveexec_b64 s[8:9], s[6:7]
	s_xor_b64 s[6:7], exec, s[8:9]
	s_cbranch_execnz .LBB36_3681
; %bb.1633:
	s_or_saveexec_b64 s[6:7], s[6:7]
	v_mov_b32_e32 v10, s10
	s_xor_b64 exec, exec, s[6:7]
	s_cbranch_execnz .LBB36_3684
.LBB36_1634:
	s_or_b64 exec, exec, s[6:7]
	s_and_saveexec_b64 s[6:7], s[4:5]
	s_cbranch_execz .LBB36_1636
.LBB36_1635:
	v_and_b32_e32 v10, 7, v17
	v_ffbh_u32_e32 v12, v10
	v_min_u32_e32 v12, 32, v12
	v_lshrrev_b16_e32 v11, 3, v17
	v_subrev_u32_e32 v14, 28, v12
	v_and_b32_e32 v11, 15, v11
	v_lshlrev_b32_e32 v14, v14, v17
	v_sub_u32_e32 v12, 29, v12
	v_and_b32_e32 v14, 7, v14
	v_cmp_eq_u16_e32 vcc, 0, v11
	v_cndmask_b32_e32 v10, v10, v14, vcc
	v_cndmask_b32_e32 v11, v11, v12, vcc
	v_lshlrev_b32_e32 v12, 24, v17
	v_mov_b32_e32 v14, 0x3b800000
	v_lshlrev_b32_e32 v10, 20, v10
	v_and_b32_e32 v12, 0x80000000, v12
	v_lshl_add_u32 v11, v11, 23, v14
	v_or3_b32 v10, v12, v11, v10
.LBB36_1636:
	s_or_b64 exec, exec, s[6:7]
	s_movk_i32 s4, 0x7f
	v_cmp_gt_i16_sdwa s[6:7], v13, s4 src0_sel:BYTE_0 src1_sel:DWORD
	s_mov_b64 s[4:5], 0
                                        ; implicit-def: $sgpr10
	s_and_saveexec_b64 s[8:9], s[6:7]
	s_xor_b64 s[6:7], exec, s[8:9]
	s_cbranch_execnz .LBB36_3685
; %bb.1637:
	s_or_saveexec_b64 s[6:7], s[6:7]
	v_mov_b32_e32 v11, s10
	s_xor_b64 exec, exec, s[6:7]
	s_cbranch_execnz .LBB36_3688
.LBB36_1638:
	s_or_b64 exec, exec, s[6:7]
	s_and_saveexec_b64 s[6:7], s[4:5]
	s_cbranch_execz .LBB36_1640
.LBB36_1639:
	v_and_b32_e32 v11, 7, v13
	v_ffbh_u32_e32 v14, v11
	v_min_u32_e32 v14, 32, v14
	v_lshrrev_b16_e32 v12, 3, v13
	v_subrev_u32_e32 v15, 28, v14
	v_and_b32_e32 v12, 15, v12
	v_lshlrev_b32_e32 v15, v15, v13
	v_sub_u32_e32 v14, 29, v14
	v_and_b32_e32 v15, 7, v15
	v_cmp_eq_u16_e32 vcc, 0, v12
	v_cndmask_b32_e32 v11, v11, v15, vcc
	v_cndmask_b32_e32 v12, v12, v14, vcc
	v_lshlrev_b32_e32 v14, 24, v13
	v_mov_b32_e32 v15, 0x3b800000
	v_lshlrev_b32_e32 v11, 20, v11
	v_and_b32_e32 v14, 0x80000000, v14
	v_lshl_add_u32 v12, v12, 23, v15
	v_or3_b32 v11, v14, v12, v11
.LBB36_1640:
	s_or_b64 exec, exec, s[6:7]
	s_nop 0
	v_mfma_f32_16x16x4f32 a[0:3], v10, v11, a[0:3]
	v_lshrrev_b32_e32 v11, 8, v17
	s_movk_i32 s4, 0x7f
	v_cmp_gt_i16_sdwa s[6:7], v11, s4 src0_sel:BYTE_0 src1_sel:DWORD
	s_mov_b64 s[4:5], 0
                                        ; implicit-def: $sgpr10
	s_and_saveexec_b64 s[8:9], s[6:7]
	s_xor_b64 s[6:7], exec, s[8:9]
	s_cbranch_execnz .LBB36_3689
; %bb.1641:
	s_or_saveexec_b64 s[6:7], s[6:7]
	v_mov_b32_e32 v10, s10
	s_xor_b64 exec, exec, s[6:7]
	s_cbranch_execnz .LBB36_3692
.LBB36_1642:
	s_or_b64 exec, exec, s[6:7]
	s_and_saveexec_b64 s[6:7], s[4:5]
	s_cbranch_execz .LBB36_1644
.LBB36_1643:
	v_bfe_u32 v10, v17, 8, 3
	v_ffbh_u32_e32 v14, v10
	v_min_u32_e32 v14, 32, v14
	v_lshrrev_b16_e32 v12, 3, v11
	v_subrev_u32_e32 v15, 28, v14
	v_and_b32_e32 v12, 15, v12
	v_lshlrev_b32_e32 v11, v15, v11
	v_sub_u32_e32 v14, 29, v14
	v_and_b32_e32 v11, 7, v11
	v_cmp_eq_u16_e32 vcc, 0, v12
	v_cndmask_b32_e32 v10, v10, v11, vcc
	v_cndmask_b32_e32 v11, v12, v14, vcc
	v_lshlrev_b32_e32 v12, 16, v17
	v_mov_b32_e32 v14, 0x3b800000
	v_lshlrev_b32_e32 v10, 20, v10
	v_and_b32_e32 v12, 0x80000000, v12
	v_lshl_add_u32 v11, v11, 23, v14
	v_or3_b32 v10, v12, v11, v10
.LBB36_1644:
	s_or_b64 exec, exec, s[6:7]
	v_lshrrev_b32_e32 v11, 8, v13
	s_movk_i32 s4, 0x7f
	v_cmp_gt_i16_sdwa s[6:7], v11, s4 src0_sel:BYTE_0 src1_sel:DWORD
	s_mov_b64 s[4:5], 0
                                        ; implicit-def: $sgpr10
	s_and_saveexec_b64 s[8:9], s[6:7]
	s_xor_b64 s[6:7], exec, s[8:9]
	s_cbranch_execnz .LBB36_3693
; %bb.1645:
	s_or_saveexec_b64 s[6:7], s[6:7]
	v_mov_b32_e32 v12, s10
	s_xor_b64 exec, exec, s[6:7]
	s_cbranch_execnz .LBB36_3696
.LBB36_1646:
	s_or_b64 exec, exec, s[6:7]
	s_and_saveexec_b64 s[6:7], s[4:5]
	s_cbranch_execz .LBB36_1648
.LBB36_1647:
	v_bfe_u32 v12, v13, 8, 3
	v_ffbh_u32_e32 v15, v12
	v_min_u32_e32 v15, 32, v15
	v_lshrrev_b16_e32 v14, 3, v11
	v_subrev_u32_e32 v16, 28, v15
	v_and_b32_e32 v14, 15, v14
	v_lshlrev_b32_e32 v11, v16, v11
	v_sub_u32_e32 v15, 29, v15
	v_and_b32_e32 v11, 7, v11
	v_cmp_eq_u16_e32 vcc, 0, v14
	v_cndmask_b32_e32 v11, v12, v11, vcc
	v_cndmask_b32_e32 v12, v14, v15, vcc
	v_lshlrev_b32_e32 v14, 16, v13
	v_mov_b32_e32 v15, 0x3b800000
	v_lshlrev_b32_e32 v11, 20, v11
	v_and_b32_e32 v14, 0x80000000, v14
	v_lshl_add_u32 v12, v12, 23, v15
	v_or3_b32 v12, v14, v12, v11
.LBB36_1648:
	s_or_b64 exec, exec, s[6:7]
	s_nop 0
	v_mfma_f32_16x16x4f32 a[0:3], v10, v12, a[0:3]
	s_movk_i32 s4, 0xff
	v_and_b32_sdwa v11, v17, s4 dst_sel:DWORD dst_unused:UNUSED_PAD src0_sel:WORD_1 src1_sel:DWORD
	s_movk_i32 s4, 0x7f
	v_cmp_lt_i16_e32 vcc, s4, v11
	s_mov_b64 s[4:5], 0
                                        ; implicit-def: $sgpr10
	s_and_saveexec_b64 s[6:7], vcc
	s_xor_b64 s[6:7], exec, s[6:7]
	s_cbranch_execnz .LBB36_3697
; %bb.1649:
	s_or_saveexec_b64 s[6:7], s[6:7]
	v_mov_b32_e32 v10, s10
	s_xor_b64 exec, exec, s[6:7]
	s_cbranch_execnz .LBB36_3700
.LBB36_1650:
	s_or_b64 exec, exec, s[6:7]
	s_and_saveexec_b64 s[6:7], s[4:5]
	s_cbranch_execz .LBB36_1652
.LBB36_1651:
	v_bfe_u32 v10, v17, 16, 3
	v_ffbh_u32_e32 v14, v10
	v_min_u32_e32 v14, 32, v14
	v_lshrrev_b32_e32 v11, 19, v17
	v_subrev_u32_e32 v15, 28, v14
	v_and_b32_e32 v11, 15, v11
	v_lshlrev_b32_sdwa v15, v15, v17 dst_sel:DWORD dst_unused:UNUSED_PAD src0_sel:DWORD src1_sel:WORD_1
	v_bfe_u32 v12, v17, 19, 4
	v_sub_u32_e32 v14, 29, v14
	v_and_b32_e32 v15, 7, v15
	v_cmp_eq_u16_e32 vcc, 0, v11
	v_cndmask_b32_e32 v10, v10, v15, vcc
	v_cndmask_b32_e32 v11, v12, v14, vcc
	v_lshlrev_b32_e32 v12, 8, v17
	v_mov_b32_e32 v14, 0x3b800000
	v_lshlrev_b32_e32 v10, 20, v10
	v_and_b32_e32 v12, 0x80000000, v12
	v_lshl_add_u32 v11, v11, 23, v14
	v_or3_b32 v10, v12, v11, v10
.LBB36_1652:
	s_or_b64 exec, exec, s[6:7]
	s_movk_i32 s4, 0xff
	v_and_b32_sdwa v11, v13, s4 dst_sel:DWORD dst_unused:UNUSED_PAD src0_sel:WORD_1 src1_sel:DWORD
	s_movk_i32 s4, 0x7f
	v_cmp_lt_i16_e32 vcc, s4, v11
	s_mov_b64 s[4:5], 0
                                        ; implicit-def: $sgpr10
	s_and_saveexec_b64 s[6:7], vcc
	s_xor_b64 s[6:7], exec, s[6:7]
	s_cbranch_execnz .LBB36_3701
; %bb.1653:
	s_or_saveexec_b64 s[6:7], s[6:7]
	v_mov_b32_e32 v12, s10
	s_xor_b64 exec, exec, s[6:7]
	s_cbranch_execnz .LBB36_3704
.LBB36_1654:
	s_or_b64 exec, exec, s[6:7]
	s_and_saveexec_b64 s[6:7], s[4:5]
	s_cbranch_execz .LBB36_1656
.LBB36_1655:
	v_bfe_u32 v11, v13, 16, 3
	v_ffbh_u32_e32 v15, v11
	v_min_u32_e32 v15, 32, v15
	v_lshrrev_b32_e32 v12, 19, v13
	v_subrev_u32_e32 v16, 28, v15
	v_and_b32_e32 v12, 15, v12
	v_lshlrev_b32_sdwa v16, v16, v13 dst_sel:DWORD dst_unused:UNUSED_PAD src0_sel:DWORD src1_sel:WORD_1
	v_bfe_u32 v14, v13, 19, 4
	v_sub_u32_e32 v15, 29, v15
	v_and_b32_e32 v16, 7, v16
	v_cmp_eq_u16_e32 vcc, 0, v12
	v_cndmask_b32_e32 v11, v11, v16, vcc
	v_cndmask_b32_e32 v12, v14, v15, vcc
	v_lshlrev_b32_e32 v14, 8, v13
	v_mov_b32_e32 v15, 0x3b800000
	v_lshlrev_b32_e32 v11, 20, v11
	v_and_b32_e32 v14, 0x80000000, v14
	v_lshl_add_u32 v12, v12, 23, v15
	v_or3_b32 v12, v14, v12, v11
.LBB36_1656:
	s_or_b64 exec, exec, s[6:7]
	s_nop 0
	v_mfma_f32_16x16x4f32 a[0:3], v10, v12, a[0:3]
	s_movk_i32 s4, 0x7f
	v_cmp_gt_i16_sdwa s[6:7], v17, s4 src0_sel:BYTE_3 src1_sel:DWORD
	s_mov_b64 s[4:5], 0
                                        ; implicit-def: $sgpr10
	s_and_saveexec_b64 s[8:9], s[6:7]
	s_xor_b64 s[6:7], exec, s[8:9]
	s_cbranch_execnz .LBB36_3705
; %bb.1657:
	s_or_saveexec_b64 s[6:7], s[6:7]
	v_mov_b32_e32 v10, s10
	s_xor_b64 exec, exec, s[6:7]
	s_cbranch_execnz .LBB36_3708
.LBB36_1658:
	s_or_b64 exec, exec, s[6:7]
	s_and_saveexec_b64 s[6:7], s[4:5]
	s_cbranch_execz .LBB36_1660
.LBB36_1659:
	v_bfe_u32 v10, v17, 24, 3
	v_ffbh_u32_e32 v15, v10
	v_min_u32_e32 v15, 32, v15
	v_lshrrev_b32_e32 v12, 27, v17
	v_subrev_u32_e32 v16, 28, v15
	v_and_b32_e32 v12, 15, v12
	v_lshlrev_b32_sdwa v16, v16, v17 dst_sel:DWORD dst_unused:UNUSED_PAD src0_sel:DWORD src1_sel:BYTE_3
	v_bfe_u32 v14, v17, 27, 4
	v_sub_u32_e32 v15, 29, v15
	v_and_b32_e32 v16, 7, v16
	v_cmp_eq_u16_e32 vcc, 0, v12
	v_cndmask_b32_e32 v10, v10, v16, vcc
	v_cndmask_b32_e32 v12, v14, v15, vcc
	v_mov_b32_e32 v14, 0x3b800000
	v_and_b32_e32 v11, 0x80000000, v17
	v_lshlrev_b32_e32 v10, 20, v10
	v_lshl_add_u32 v12, v12, 23, v14
	v_or3_b32 v10, v11, v12, v10
.LBB36_1660:
	s_or_b64 exec, exec, s[6:7]
	s_movk_i32 s4, 0x7f
	v_cmp_gt_i16_sdwa s[6:7], v13, s4 src0_sel:BYTE_3 src1_sel:DWORD
	s_mov_b64 s[4:5], 0
                                        ; implicit-def: $sgpr10
	s_and_saveexec_b64 s[8:9], s[6:7]
	s_xor_b64 s[6:7], exec, s[8:9]
	s_cbranch_execnz .LBB36_3709
; %bb.1661:
	s_or_saveexec_b64 s[6:7], s[6:7]
	v_mov_b32_e32 v11, s10
	s_xor_b64 exec, exec, s[6:7]
	s_cbranch_execnz .LBB36_3712
.LBB36_1662:
	s_or_b64 exec, exec, s[6:7]
	s_and_saveexec_b64 s[6:7], s[4:5]
	s_cbranch_execz .LBB36_1664
.LBB36_1663:
	v_bfe_u32 v11, v13, 24, 3
	v_ffbh_u32_e32 v16, v11
	v_min_u32_e32 v16, 32, v16
	v_lshrrev_b32_e32 v14, 27, v13
	v_subrev_u32_e32 v17, 28, v16
	v_and_b32_e32 v12, 0x80000000, v13
	v_and_b32_e32 v14, 15, v14
	v_bfe_u32 v15, v13, 27, 4
	v_lshlrev_b32_sdwa v13, v17, v13 dst_sel:DWORD dst_unused:UNUSED_PAD src0_sel:DWORD src1_sel:BYTE_3
	v_sub_u32_e32 v16, 29, v16
	v_and_b32_e32 v13, 7, v13
	v_cmp_eq_u16_e32 vcc, 0, v14
	v_cndmask_b32_e32 v11, v11, v13, vcc
	v_cndmask_b32_e32 v13, v15, v16, vcc
	v_mov_b32_e32 v14, 0x3b800000
	v_lshlrev_b32_e32 v11, 20, v11
	v_lshl_add_u32 v13, v13, 23, v14
	v_or3_b32 v11, v12, v13, v11
.LBB36_1664:
	s_or_b64 exec, exec, s[6:7]
	s_nop 0
	v_mfma_f32_16x16x4f32 a[0:3], v10, v11, a[0:3]
	s_movk_i32 s4, 0x7f
	v_cmp_gt_i16_sdwa s[6:7], v6, s4 src0_sel:BYTE_0 src1_sel:DWORD
	s_mov_b64 s[4:5], 0
                                        ; implicit-def: $sgpr10
	s_and_saveexec_b64 s[8:9], s[6:7]
	s_xor_b64 s[6:7], exec, s[8:9]
	s_cbranch_execnz .LBB36_3713
; %bb.1665:
	s_or_saveexec_b64 s[6:7], s[6:7]
	v_mov_b32_e32 v10, s10
	s_xor_b64 exec, exec, s[6:7]
	s_cbranch_execnz .LBB36_3716
.LBB36_1666:
	s_or_b64 exec, exec, s[6:7]
	s_and_saveexec_b64 s[6:7], s[4:5]
	s_cbranch_execz .LBB36_1668
.LBB36_1667:
	v_and_b32_e32 v10, 7, v6
	v_ffbh_u32_e32 v12, v10
	v_min_u32_e32 v12, 32, v12
	v_lshrrev_b16_e32 v11, 3, v6
	v_subrev_u32_e32 v13, 28, v12
	v_and_b32_e32 v11, 15, v11
	v_lshlrev_b32_e32 v13, v13, v6
	v_sub_u32_e32 v12, 29, v12
	v_and_b32_e32 v13, 7, v13
	v_cmp_eq_u16_e32 vcc, 0, v11
	v_cndmask_b32_e32 v10, v10, v13, vcc
	v_cndmask_b32_e32 v11, v11, v12, vcc
	v_lshlrev_b32_e32 v12, 24, v6
	v_mov_b32_e32 v13, 0x3b800000
	v_lshlrev_b32_e32 v10, 20, v10
	v_and_b32_e32 v12, 0x80000000, v12
	v_lshl_add_u32 v11, v11, 23, v13
	v_or3_b32 v10, v12, v11, v10
.LBB36_1668:
	s_or_b64 exec, exec, s[6:7]
	s_movk_i32 s4, 0x7f
	v_cmp_gt_i16_sdwa s[6:7], v2, s4 src0_sel:BYTE_0 src1_sel:DWORD
	s_mov_b64 s[4:5], 0
                                        ; implicit-def: $sgpr10
	s_and_saveexec_b64 s[8:9], s[6:7]
	s_xor_b64 s[6:7], exec, s[8:9]
	s_cbranch_execnz .LBB36_3717
; %bb.1669:
	s_or_saveexec_b64 s[6:7], s[6:7]
	v_mov_b32_e32 v11, s10
	s_xor_b64 exec, exec, s[6:7]
	s_cbranch_execnz .LBB36_3720
.LBB36_1670:
	s_or_b64 exec, exec, s[6:7]
	s_and_saveexec_b64 s[6:7], s[4:5]
	s_cbranch_execz .LBB36_1672
.LBB36_1671:
	v_and_b32_e32 v11, 7, v2
	v_ffbh_u32_e32 v13, v11
	v_min_u32_e32 v13, 32, v13
	v_lshrrev_b16_e32 v12, 3, v2
	v_subrev_u32_e32 v14, 28, v13
	v_and_b32_e32 v12, 15, v12
	v_lshlrev_b32_e32 v14, v14, v2
	v_sub_u32_e32 v13, 29, v13
	v_and_b32_e32 v14, 7, v14
	v_cmp_eq_u16_e32 vcc, 0, v12
	v_cndmask_b32_e32 v11, v11, v14, vcc
	v_cndmask_b32_e32 v12, v12, v13, vcc
	v_lshlrev_b32_e32 v13, 24, v2
	v_mov_b32_e32 v14, 0x3b800000
	v_lshlrev_b32_e32 v11, 20, v11
	v_and_b32_e32 v13, 0x80000000, v13
	v_lshl_add_u32 v12, v12, 23, v14
	v_or3_b32 v11, v13, v12, v11
.LBB36_1672:
	s_or_b64 exec, exec, s[6:7]
	s_nop 0
	v_mfma_f32_16x16x4f32 a[0:3], v10, v11, a[0:3]
	v_lshrrev_b32_e32 v11, 8, v6
	s_movk_i32 s4, 0x7f
	v_cmp_gt_i16_sdwa s[6:7], v11, s4 src0_sel:BYTE_0 src1_sel:DWORD
	s_mov_b64 s[4:5], 0
                                        ; implicit-def: $sgpr10
	s_and_saveexec_b64 s[8:9], s[6:7]
	s_xor_b64 s[6:7], exec, s[8:9]
	s_cbranch_execnz .LBB36_3721
; %bb.1673:
	s_or_saveexec_b64 s[6:7], s[6:7]
	v_mov_b32_e32 v10, s10
	s_xor_b64 exec, exec, s[6:7]
	s_cbranch_execnz .LBB36_3724
.LBB36_1674:
	s_or_b64 exec, exec, s[6:7]
	s_and_saveexec_b64 s[6:7], s[4:5]
	s_cbranch_execz .LBB36_1676
.LBB36_1675:
	v_bfe_u32 v10, v6, 8, 3
	v_ffbh_u32_e32 v13, v10
	v_min_u32_e32 v13, 32, v13
	v_lshrrev_b16_e32 v12, 3, v11
	v_subrev_u32_e32 v14, 28, v13
	v_and_b32_e32 v12, 15, v12
	v_lshlrev_b32_e32 v11, v14, v11
	v_sub_u32_e32 v13, 29, v13
	v_and_b32_e32 v11, 7, v11
	v_cmp_eq_u16_e32 vcc, 0, v12
	v_cndmask_b32_e32 v10, v10, v11, vcc
	v_cndmask_b32_e32 v11, v12, v13, vcc
	v_lshlrev_b32_e32 v12, 16, v6
	v_mov_b32_e32 v13, 0x3b800000
	v_lshlrev_b32_e32 v10, 20, v10
	v_and_b32_e32 v12, 0x80000000, v12
	v_lshl_add_u32 v11, v11, 23, v13
	v_or3_b32 v10, v12, v11, v10
.LBB36_1676:
	s_or_b64 exec, exec, s[6:7]
	v_lshrrev_b32_e32 v11, 8, v2
	s_movk_i32 s4, 0x7f
	v_cmp_gt_i16_sdwa s[6:7], v11, s4 src0_sel:BYTE_0 src1_sel:DWORD
	s_mov_b64 s[4:5], 0
                                        ; implicit-def: $sgpr10
	s_and_saveexec_b64 s[8:9], s[6:7]
	s_xor_b64 s[6:7], exec, s[8:9]
	s_cbranch_execnz .LBB36_3725
; %bb.1677:
	s_or_saveexec_b64 s[6:7], s[6:7]
	v_mov_b32_e32 v12, s10
	s_xor_b64 exec, exec, s[6:7]
	s_cbranch_execnz .LBB36_3728
.LBB36_1678:
	s_or_b64 exec, exec, s[6:7]
	s_and_saveexec_b64 s[6:7], s[4:5]
	s_cbranch_execz .LBB36_1680
.LBB36_1679:
	v_bfe_u32 v12, v2, 8, 3
	v_ffbh_u32_e32 v14, v12
	v_min_u32_e32 v14, 32, v14
	v_lshrrev_b16_e32 v13, 3, v11
	v_subrev_u32_e32 v15, 28, v14
	v_and_b32_e32 v13, 15, v13
	v_lshlrev_b32_e32 v11, v15, v11
	v_sub_u32_e32 v14, 29, v14
	v_and_b32_e32 v11, 7, v11
	v_cmp_eq_u16_e32 vcc, 0, v13
	v_cndmask_b32_e32 v11, v12, v11, vcc
	v_cndmask_b32_e32 v12, v13, v14, vcc
	v_lshlrev_b32_e32 v13, 16, v2
	v_mov_b32_e32 v14, 0x3b800000
	v_lshlrev_b32_e32 v11, 20, v11
	v_and_b32_e32 v13, 0x80000000, v13
	v_lshl_add_u32 v12, v12, 23, v14
	v_or3_b32 v12, v13, v12, v11
.LBB36_1680:
	s_or_b64 exec, exec, s[6:7]
	s_nop 0
	v_mfma_f32_16x16x4f32 a[0:3], v10, v12, a[0:3]
	s_movk_i32 s4, 0xff
	v_and_b32_sdwa v11, v6, s4 dst_sel:DWORD dst_unused:UNUSED_PAD src0_sel:WORD_1 src1_sel:DWORD
	s_movk_i32 s4, 0x7f
	v_cmp_lt_i16_e32 vcc, s4, v11
	s_mov_b64 s[4:5], 0
                                        ; implicit-def: $sgpr10
	s_and_saveexec_b64 s[6:7], vcc
	s_xor_b64 s[6:7], exec, s[6:7]
	s_cbranch_execnz .LBB36_3729
; %bb.1681:
	s_or_saveexec_b64 s[6:7], s[6:7]
	v_mov_b32_e32 v10, s10
	s_xor_b64 exec, exec, s[6:7]
	s_cbranch_execnz .LBB36_3732
.LBB36_1682:
	s_or_b64 exec, exec, s[6:7]
	s_and_saveexec_b64 s[6:7], s[4:5]
	s_cbranch_execz .LBB36_1684
.LBB36_1683:
	v_bfe_u32 v10, v6, 16, 3
	v_ffbh_u32_e32 v13, v10
	v_min_u32_e32 v13, 32, v13
	v_lshrrev_b32_e32 v11, 19, v6
	v_subrev_u32_e32 v14, 28, v13
	v_and_b32_e32 v11, 15, v11
	v_lshlrev_b32_sdwa v14, v14, v6 dst_sel:DWORD dst_unused:UNUSED_PAD src0_sel:DWORD src1_sel:WORD_1
	v_bfe_u32 v12, v6, 19, 4
	v_sub_u32_e32 v13, 29, v13
	v_and_b32_e32 v14, 7, v14
	v_cmp_eq_u16_e32 vcc, 0, v11
	v_cndmask_b32_e32 v10, v10, v14, vcc
	v_cndmask_b32_e32 v11, v12, v13, vcc
	v_lshlrev_b32_e32 v12, 8, v6
	v_mov_b32_e32 v13, 0x3b800000
	v_lshlrev_b32_e32 v10, 20, v10
	v_and_b32_e32 v12, 0x80000000, v12
	v_lshl_add_u32 v11, v11, 23, v13
	v_or3_b32 v10, v12, v11, v10
.LBB36_1684:
	s_or_b64 exec, exec, s[6:7]
	s_movk_i32 s4, 0xff
	v_and_b32_sdwa v11, v2, s4 dst_sel:DWORD dst_unused:UNUSED_PAD src0_sel:WORD_1 src1_sel:DWORD
	s_movk_i32 s4, 0x7f
	v_cmp_lt_i16_e32 vcc, s4, v11
	s_mov_b64 s[4:5], 0
                                        ; implicit-def: $sgpr10
	s_and_saveexec_b64 s[6:7], vcc
	s_xor_b64 s[6:7], exec, s[6:7]
	s_cbranch_execnz .LBB36_3733
; %bb.1685:
	s_or_saveexec_b64 s[6:7], s[6:7]
	v_mov_b32_e32 v12, s10
	s_xor_b64 exec, exec, s[6:7]
	s_cbranch_execnz .LBB36_3736
.LBB36_1686:
	s_or_b64 exec, exec, s[6:7]
	s_and_saveexec_b64 s[6:7], s[4:5]
	s_cbranch_execz .LBB36_1688
.LBB36_1687:
	v_bfe_u32 v11, v2, 16, 3
	v_ffbh_u32_e32 v14, v11
	v_min_u32_e32 v14, 32, v14
	v_lshrrev_b32_e32 v12, 19, v2
	v_subrev_u32_e32 v15, 28, v14
	v_and_b32_e32 v12, 15, v12
	v_lshlrev_b32_sdwa v15, v15, v2 dst_sel:DWORD dst_unused:UNUSED_PAD src0_sel:DWORD src1_sel:WORD_1
	v_bfe_u32 v13, v2, 19, 4
	v_sub_u32_e32 v14, 29, v14
	v_and_b32_e32 v15, 7, v15
	v_cmp_eq_u16_e32 vcc, 0, v12
	v_cndmask_b32_e32 v11, v11, v15, vcc
	v_cndmask_b32_e32 v12, v13, v14, vcc
	v_lshlrev_b32_e32 v13, 8, v2
	v_mov_b32_e32 v14, 0x3b800000
	v_lshlrev_b32_e32 v11, 20, v11
	v_and_b32_e32 v13, 0x80000000, v13
	v_lshl_add_u32 v12, v12, 23, v14
	v_or3_b32 v12, v13, v12, v11
.LBB36_1688:
	s_or_b64 exec, exec, s[6:7]
	s_nop 0
	v_mfma_f32_16x16x4f32 a[0:3], v10, v12, a[0:3]
	s_movk_i32 s4, 0x7f
	v_cmp_gt_i16_sdwa s[6:7], v6, s4 src0_sel:BYTE_3 src1_sel:DWORD
	s_mov_b64 s[4:5], 0
                                        ; implicit-def: $sgpr10
	s_and_saveexec_b64 s[8:9], s[6:7]
	s_xor_b64 s[6:7], exec, s[8:9]
	s_cbranch_execnz .LBB36_3737
; %bb.1689:
	s_or_saveexec_b64 s[6:7], s[6:7]
	v_mov_b32_e32 v10, s10
	s_xor_b64 exec, exec, s[6:7]
	s_cbranch_execnz .LBB36_3740
.LBB36_1690:
	s_or_b64 exec, exec, s[6:7]
	s_and_saveexec_b64 s[6:7], s[4:5]
	s_cbranch_execz .LBB36_1692
.LBB36_1691:
	v_bfe_u32 v10, v6, 24, 3
	v_ffbh_u32_e32 v14, v10
	v_min_u32_e32 v14, 32, v14
	v_lshrrev_b32_e32 v12, 27, v6
	v_subrev_u32_e32 v15, 28, v14
	v_and_b32_e32 v11, 0x80000000, v6
	v_and_b32_e32 v12, 15, v12
	v_bfe_u32 v13, v6, 27, 4
	v_lshlrev_b32_sdwa v6, v15, v6 dst_sel:DWORD dst_unused:UNUSED_PAD src0_sel:DWORD src1_sel:BYTE_3
	v_sub_u32_e32 v14, 29, v14
	v_and_b32_e32 v6, 7, v6
	v_cmp_eq_u16_e32 vcc, 0, v12
	v_cndmask_b32_e32 v6, v10, v6, vcc
	v_cndmask_b32_e32 v10, v13, v14, vcc
	v_mov_b32_e32 v12, 0x3b800000
	v_lshlrev_b32_e32 v6, 20, v6
	v_lshl_add_u32 v10, v10, 23, v12
	v_or3_b32 v10, v11, v10, v6
.LBB36_1692:
	s_or_b64 exec, exec, s[6:7]
	s_movk_i32 s4, 0x7f
	v_cmp_gt_i16_sdwa s[6:7], v2, s4 src0_sel:BYTE_3 src1_sel:DWORD
	s_mov_b64 s[4:5], 0
                                        ; implicit-def: $sgpr10
	s_and_saveexec_b64 s[8:9], s[6:7]
	s_xor_b64 s[6:7], exec, s[8:9]
	s_cbranch_execnz .LBB36_3741
; %bb.1693:
	s_or_saveexec_b64 s[6:7], s[6:7]
	v_mov_b32_e32 v6, s10
	s_xor_b64 exec, exec, s[6:7]
	s_cbranch_execnz .LBB36_3744
.LBB36_1694:
	s_or_b64 exec, exec, s[6:7]
	s_and_saveexec_b64 s[6:7], s[4:5]
	s_cbranch_execz .LBB36_1696
.LBB36_1695:
	v_bfe_u32 v6, v2, 24, 3
	v_ffbh_u32_e32 v14, v6
	v_min_u32_e32 v14, 32, v14
	v_lshrrev_b32_e32 v12, 27, v2
	v_subrev_u32_e32 v15, 28, v14
	v_and_b32_e32 v11, 0x80000000, v2
	v_and_b32_e32 v12, 15, v12
	v_bfe_u32 v13, v2, 27, 4
	v_lshlrev_b32_sdwa v2, v15, v2 dst_sel:DWORD dst_unused:UNUSED_PAD src0_sel:DWORD src1_sel:BYTE_3
	v_sub_u32_e32 v14, 29, v14
	v_and_b32_e32 v2, 7, v2
	v_cmp_eq_u16_e32 vcc, 0, v12
	v_cndmask_b32_e32 v2, v6, v2, vcc
	v_cndmask_b32_e32 v6, v13, v14, vcc
	v_mov_b32_e32 v12, 0x3b800000
	v_lshlrev_b32_e32 v2, 20, v2
	v_lshl_add_u32 v6, v6, 23, v12
	v_or3_b32 v6, v11, v6, v2
.LBB36_1696:
	s_or_b64 exec, exec, s[6:7]
	s_nop 0
	v_mfma_f32_16x16x4f32 a[0:3], v10, v6, a[0:3]
	s_movk_i32 s4, 0x7f
	v_cmp_gt_i16_sdwa s[6:7], v7, s4 src0_sel:BYTE_0 src1_sel:DWORD
	s_mov_b64 s[4:5], 0
                                        ; implicit-def: $sgpr10
	s_and_saveexec_b64 s[8:9], s[6:7]
	s_xor_b64 s[6:7], exec, s[8:9]
	s_cbranch_execnz .LBB36_3745
; %bb.1697:
	s_or_saveexec_b64 s[6:7], s[6:7]
	v_mov_b32_e32 v2, s10
	s_xor_b64 exec, exec, s[6:7]
	s_cbranch_execnz .LBB36_3748
.LBB36_1698:
	s_or_b64 exec, exec, s[6:7]
	s_and_saveexec_b64 s[6:7], s[4:5]
	s_cbranch_execz .LBB36_1700
.LBB36_1699:
	v_and_b32_e32 v2, 7, v7
	v_ffbh_u32_e32 v10, v2
	v_min_u32_e32 v10, 32, v10
	v_lshrrev_b16_e32 v6, 3, v7
	v_subrev_u32_e32 v11, 28, v10
	v_and_b32_e32 v6, 15, v6
	v_lshlrev_b32_e32 v11, v11, v7
	v_sub_u32_e32 v10, 29, v10
	v_and_b32_e32 v11, 7, v11
	v_cmp_eq_u16_e32 vcc, 0, v6
	v_cndmask_b32_e32 v2, v2, v11, vcc
	v_cndmask_b32_e32 v6, v6, v10, vcc
	v_lshlrev_b32_e32 v10, 24, v7
	v_mov_b32_e32 v11, 0x3b800000
	v_lshlrev_b32_e32 v2, 20, v2
	v_and_b32_e32 v10, 0x80000000, v10
	v_lshl_add_u32 v6, v6, 23, v11
	v_or3_b32 v2, v10, v6, v2
.LBB36_1700:
	s_or_b64 exec, exec, s[6:7]
	s_movk_i32 s4, 0x7f
	v_cmp_gt_i16_sdwa s[6:7], v3, s4 src0_sel:BYTE_0 src1_sel:DWORD
	s_mov_b64 s[4:5], 0
                                        ; implicit-def: $sgpr10
	s_and_saveexec_b64 s[8:9], s[6:7]
	s_xor_b64 s[6:7], exec, s[8:9]
	s_cbranch_execnz .LBB36_3749
; %bb.1701:
	s_or_saveexec_b64 s[6:7], s[6:7]
	v_mov_b32_e32 v6, s10
	s_xor_b64 exec, exec, s[6:7]
	s_cbranch_execnz .LBB36_3752
.LBB36_1702:
	s_or_b64 exec, exec, s[6:7]
	s_and_saveexec_b64 s[6:7], s[4:5]
	s_cbranch_execz .LBB36_1704
.LBB36_1703:
	v_and_b32_e32 v6, 7, v3
	v_ffbh_u32_e32 v11, v6
	v_min_u32_e32 v11, 32, v11
	v_lshrrev_b16_e32 v10, 3, v3
	v_subrev_u32_e32 v12, 28, v11
	v_and_b32_e32 v10, 15, v10
	v_lshlrev_b32_e32 v12, v12, v3
	v_sub_u32_e32 v11, 29, v11
	v_and_b32_e32 v12, 7, v12
	v_cmp_eq_u16_e32 vcc, 0, v10
	v_cndmask_b32_e32 v6, v6, v12, vcc
	v_cndmask_b32_e32 v10, v10, v11, vcc
	v_lshlrev_b32_e32 v11, 24, v3
	v_mov_b32_e32 v12, 0x3b800000
	v_lshlrev_b32_e32 v6, 20, v6
	v_and_b32_e32 v11, 0x80000000, v11
	v_lshl_add_u32 v10, v10, 23, v12
	v_or3_b32 v6, v11, v10, v6
.LBB36_1704:
	s_or_b64 exec, exec, s[6:7]
	s_nop 0
	v_mfma_f32_16x16x4f32 a[0:3], v2, v6, a[0:3]
	v_lshrrev_b32_e32 v6, 8, v7
	s_movk_i32 s4, 0x7f
	v_cmp_gt_i16_sdwa s[6:7], v6, s4 src0_sel:BYTE_0 src1_sel:DWORD
	s_mov_b64 s[4:5], 0
                                        ; implicit-def: $sgpr10
	s_and_saveexec_b64 s[8:9], s[6:7]
	s_xor_b64 s[6:7], exec, s[8:9]
	s_cbranch_execnz .LBB36_3753
; %bb.1705:
	s_or_saveexec_b64 s[6:7], s[6:7]
	v_mov_b32_e32 v2, s10
	s_xor_b64 exec, exec, s[6:7]
	s_cbranch_execnz .LBB36_3756
.LBB36_1706:
	s_or_b64 exec, exec, s[6:7]
	s_and_saveexec_b64 s[6:7], s[4:5]
	s_cbranch_execz .LBB36_1708
.LBB36_1707:
	v_bfe_u32 v2, v7, 8, 3
	v_ffbh_u32_e32 v11, v2
	v_min_u32_e32 v11, 32, v11
	v_lshrrev_b16_e32 v10, 3, v6
	v_subrev_u32_e32 v12, 28, v11
	v_and_b32_e32 v10, 15, v10
	v_lshlrev_b32_e32 v6, v12, v6
	v_sub_u32_e32 v11, 29, v11
	v_and_b32_e32 v6, 7, v6
	v_cmp_eq_u16_e32 vcc, 0, v10
	v_cndmask_b32_e32 v2, v2, v6, vcc
	v_cndmask_b32_e32 v6, v10, v11, vcc
	v_lshlrev_b32_e32 v10, 16, v7
	v_mov_b32_e32 v11, 0x3b800000
	v_lshlrev_b32_e32 v2, 20, v2
	v_and_b32_e32 v10, 0x80000000, v10
	v_lshl_add_u32 v6, v6, 23, v11
	v_or3_b32 v2, v10, v6, v2
.LBB36_1708:
	s_or_b64 exec, exec, s[6:7]
	v_lshrrev_b32_e32 v6, 8, v3
	s_movk_i32 s4, 0x7f
	v_cmp_gt_i16_sdwa s[6:7], v6, s4 src0_sel:BYTE_0 src1_sel:DWORD
	s_mov_b64 s[4:5], 0
                                        ; implicit-def: $sgpr10
	s_and_saveexec_b64 s[8:9], s[6:7]
	s_xor_b64 s[6:7], exec, s[8:9]
	s_cbranch_execnz .LBB36_3757
; %bb.1709:
	s_or_saveexec_b64 s[6:7], s[6:7]
	v_mov_b32_e32 v10, s10
	s_xor_b64 exec, exec, s[6:7]
	s_cbranch_execnz .LBB36_3760
.LBB36_1710:
	s_or_b64 exec, exec, s[6:7]
	s_and_saveexec_b64 s[6:7], s[4:5]
	s_cbranch_execz .LBB36_1712
.LBB36_1711:
	v_bfe_u32 v10, v3, 8, 3
	v_ffbh_u32_e32 v12, v10
	v_min_u32_e32 v12, 32, v12
	v_lshrrev_b16_e32 v11, 3, v6
	v_subrev_u32_e32 v13, 28, v12
	v_and_b32_e32 v11, 15, v11
	v_lshlrev_b32_e32 v6, v13, v6
	v_sub_u32_e32 v12, 29, v12
	v_and_b32_e32 v6, 7, v6
	v_cmp_eq_u16_e32 vcc, 0, v11
	v_cndmask_b32_e32 v6, v10, v6, vcc
	v_cndmask_b32_e32 v10, v11, v12, vcc
	v_lshlrev_b32_e32 v11, 16, v3
	v_mov_b32_e32 v12, 0x3b800000
	v_lshlrev_b32_e32 v6, 20, v6
	v_and_b32_e32 v11, 0x80000000, v11
	v_lshl_add_u32 v10, v10, 23, v12
	v_or3_b32 v10, v11, v10, v6
.LBB36_1712:
	s_or_b64 exec, exec, s[6:7]
	s_nop 0
	v_mfma_f32_16x16x4f32 a[0:3], v2, v10, a[0:3]
	s_movk_i32 s4, 0xff
	v_and_b32_sdwa v6, v7, s4 dst_sel:DWORD dst_unused:UNUSED_PAD src0_sel:WORD_1 src1_sel:DWORD
	s_movk_i32 s4, 0x7f
	v_cmp_lt_i16_e32 vcc, s4, v6
	s_mov_b64 s[4:5], 0
                                        ; implicit-def: $sgpr10
	s_and_saveexec_b64 s[6:7], vcc
	s_xor_b64 s[6:7], exec, s[6:7]
	s_cbranch_execnz .LBB36_3761
; %bb.1713:
	s_or_saveexec_b64 s[6:7], s[6:7]
	v_mov_b32_e32 v2, s10
	s_xor_b64 exec, exec, s[6:7]
	s_cbranch_execnz .LBB36_3764
.LBB36_1714:
	s_or_b64 exec, exec, s[6:7]
	s_and_saveexec_b64 s[6:7], s[4:5]
	s_cbranch_execz .LBB36_1716
.LBB36_1715:
	v_bfe_u32 v2, v7, 16, 3
	v_ffbh_u32_e32 v11, v2
	v_min_u32_e32 v11, 32, v11
	v_lshrrev_b32_e32 v6, 19, v7
	v_subrev_u32_e32 v12, 28, v11
	v_and_b32_e32 v6, 15, v6
	v_lshlrev_b32_sdwa v12, v12, v7 dst_sel:DWORD dst_unused:UNUSED_PAD src0_sel:DWORD src1_sel:WORD_1
	v_bfe_u32 v10, v7, 19, 4
	v_sub_u32_e32 v11, 29, v11
	v_and_b32_e32 v12, 7, v12
	v_cmp_eq_u16_e32 vcc, 0, v6
	v_cndmask_b32_e32 v2, v2, v12, vcc
	v_cndmask_b32_e32 v6, v10, v11, vcc
	v_lshlrev_b32_e32 v10, 8, v7
	v_mov_b32_e32 v11, 0x3b800000
	v_lshlrev_b32_e32 v2, 20, v2
	v_and_b32_e32 v10, 0x80000000, v10
	v_lshl_add_u32 v6, v6, 23, v11
	v_or3_b32 v2, v10, v6, v2
.LBB36_1716:
	s_or_b64 exec, exec, s[6:7]
	s_movk_i32 s4, 0xff
	v_and_b32_sdwa v6, v3, s4 dst_sel:DWORD dst_unused:UNUSED_PAD src0_sel:WORD_1 src1_sel:DWORD
	s_movk_i32 s4, 0x7f
	v_cmp_lt_i16_e32 vcc, s4, v6
	s_mov_b64 s[4:5], 0
                                        ; implicit-def: $sgpr10
	s_and_saveexec_b64 s[6:7], vcc
	s_xor_b64 s[6:7], exec, s[6:7]
	s_cbranch_execnz .LBB36_3765
; %bb.1717:
	s_or_saveexec_b64 s[6:7], s[6:7]
	v_mov_b32_e32 v10, s10
	s_xor_b64 exec, exec, s[6:7]
	s_cbranch_execnz .LBB36_3768
.LBB36_1718:
	s_or_b64 exec, exec, s[6:7]
	s_and_saveexec_b64 s[6:7], s[4:5]
	s_cbranch_execz .LBB36_1720
.LBB36_1719:
	v_bfe_u32 v6, v3, 16, 3
	v_ffbh_u32_e32 v12, v6
	v_min_u32_e32 v12, 32, v12
	v_lshrrev_b32_e32 v10, 19, v3
	v_subrev_u32_e32 v13, 28, v12
	v_and_b32_e32 v10, 15, v10
	v_lshlrev_b32_sdwa v13, v13, v3 dst_sel:DWORD dst_unused:UNUSED_PAD src0_sel:DWORD src1_sel:WORD_1
	v_bfe_u32 v11, v3, 19, 4
	v_sub_u32_e32 v12, 29, v12
	v_and_b32_e32 v13, 7, v13
	v_cmp_eq_u16_e32 vcc, 0, v10
	v_cndmask_b32_e32 v6, v6, v13, vcc
	v_cndmask_b32_e32 v10, v11, v12, vcc
	v_lshlrev_b32_e32 v11, 8, v3
	v_mov_b32_e32 v12, 0x3b800000
	v_lshlrev_b32_e32 v6, 20, v6
	v_and_b32_e32 v11, 0x80000000, v11
	v_lshl_add_u32 v10, v10, 23, v12
	v_or3_b32 v10, v11, v10, v6
.LBB36_1720:
	s_or_b64 exec, exec, s[6:7]
	s_nop 0
	v_mfma_f32_16x16x4f32 a[0:3], v2, v10, a[0:3]
	s_movk_i32 s4, 0x7f
	v_cmp_gt_i16_sdwa s[6:7], v7, s4 src0_sel:BYTE_3 src1_sel:DWORD
	s_mov_b64 s[4:5], 0
                                        ; implicit-def: $sgpr10
	s_and_saveexec_b64 s[8:9], s[6:7]
	s_xor_b64 s[6:7], exec, s[8:9]
	s_cbranch_execnz .LBB36_3769
; %bb.1721:
	s_or_saveexec_b64 s[6:7], s[6:7]
	v_mov_b32_e32 v2, s10
	s_xor_b64 exec, exec, s[6:7]
	s_cbranch_execnz .LBB36_3772
.LBB36_1722:
	s_or_b64 exec, exec, s[6:7]
	s_and_saveexec_b64 s[6:7], s[4:5]
	s_cbranch_execz .LBB36_1724
.LBB36_1723:
	v_bfe_u32 v2, v7, 24, 3
	v_ffbh_u32_e32 v12, v2
	v_min_u32_e32 v12, 32, v12
	v_lshrrev_b32_e32 v10, 27, v7
	v_subrev_u32_e32 v13, 28, v12
	v_and_b32_e32 v6, 0x80000000, v7
	v_and_b32_e32 v10, 15, v10
	v_bfe_u32 v11, v7, 27, 4
	v_lshlrev_b32_sdwa v7, v13, v7 dst_sel:DWORD dst_unused:UNUSED_PAD src0_sel:DWORD src1_sel:BYTE_3
	v_sub_u32_e32 v12, 29, v12
	v_and_b32_e32 v7, 7, v7
	v_cmp_eq_u16_e32 vcc, 0, v10
	v_cndmask_b32_e32 v2, v2, v7, vcc
	v_cndmask_b32_e32 v7, v11, v12, vcc
	v_mov_b32_e32 v10, 0x3b800000
	v_lshlrev_b32_e32 v2, 20, v2
	v_lshl_add_u32 v7, v7, 23, v10
	v_or3_b32 v2, v6, v7, v2
.LBB36_1724:
	s_or_b64 exec, exec, s[6:7]
	s_movk_i32 s4, 0x7f
	v_cmp_gt_i16_sdwa s[6:7], v3, s4 src0_sel:BYTE_3 src1_sel:DWORD
	s_mov_b64 s[4:5], 0
                                        ; implicit-def: $sgpr10
	s_and_saveexec_b64 s[8:9], s[6:7]
	s_xor_b64 s[6:7], exec, s[8:9]
	s_cbranch_execnz .LBB36_3773
; %bb.1725:
	s_or_saveexec_b64 s[6:7], s[6:7]
	v_mov_b32_e32 v6, s10
	s_xor_b64 exec, exec, s[6:7]
	s_cbranch_execnz .LBB36_3776
.LBB36_1726:
	s_or_b64 exec, exec, s[6:7]
	s_and_saveexec_b64 s[6:7], s[4:5]
	s_cbranch_execz .LBB36_1728
.LBB36_1727:
	v_bfe_u32 v6, v3, 24, 3
	v_ffbh_u32_e32 v12, v6
	v_min_u32_e32 v12, 32, v12
	v_lshrrev_b32_e32 v10, 27, v3
	v_subrev_u32_e32 v13, 28, v12
	v_and_b32_e32 v7, 0x80000000, v3
	v_and_b32_e32 v10, 15, v10
	v_bfe_u32 v11, v3, 27, 4
	v_lshlrev_b32_sdwa v3, v13, v3 dst_sel:DWORD dst_unused:UNUSED_PAD src0_sel:DWORD src1_sel:BYTE_3
	v_sub_u32_e32 v12, 29, v12
	v_and_b32_e32 v3, 7, v3
	v_cmp_eq_u16_e32 vcc, 0, v10
	v_cndmask_b32_e32 v3, v6, v3, vcc
	v_cndmask_b32_e32 v6, v11, v12, vcc
	v_mov_b32_e32 v10, 0x3b800000
	v_lshlrev_b32_e32 v3, 20, v3
	v_lshl_add_u32 v6, v6, 23, v10
	v_or3_b32 v6, v7, v6, v3
.LBB36_1728:
	s_or_b64 exec, exec, s[6:7]
	s_nop 0
	v_mfma_f32_16x16x4f32 a[0:3], v2, v6, a[0:3]
	s_movk_i32 s4, 0x7f
	v_cmp_gt_i16_sdwa s[6:7], v8, s4 src0_sel:BYTE_0 src1_sel:DWORD
	s_mov_b64 s[4:5], 0
                                        ; implicit-def: $sgpr10
	s_and_saveexec_b64 s[8:9], s[6:7]
	s_xor_b64 s[6:7], exec, s[8:9]
	s_cbranch_execnz .LBB36_3777
; %bb.1729:
	s_or_saveexec_b64 s[6:7], s[6:7]
	v_mov_b32_e32 v2, s10
	s_xor_b64 exec, exec, s[6:7]
	s_cbranch_execnz .LBB36_3780
.LBB36_1730:
	s_or_b64 exec, exec, s[6:7]
	s_and_saveexec_b64 s[6:7], s[4:5]
	s_cbranch_execz .LBB36_1732
.LBB36_1731:
	v_and_b32_e32 v2, 7, v8
	v_ffbh_u32_e32 v6, v2
	v_min_u32_e32 v6, 32, v6
	v_lshrrev_b16_e32 v3, 3, v8
	v_subrev_u32_e32 v7, 28, v6
	v_and_b32_e32 v3, 15, v3
	v_lshlrev_b32_e32 v7, v7, v8
	v_sub_u32_e32 v6, 29, v6
	v_and_b32_e32 v7, 7, v7
	v_cmp_eq_u16_e32 vcc, 0, v3
	v_cndmask_b32_e32 v2, v2, v7, vcc
	v_cndmask_b32_e32 v3, v3, v6, vcc
	v_lshlrev_b32_e32 v6, 24, v8
	v_mov_b32_e32 v7, 0x3b800000
	v_lshlrev_b32_e32 v2, 20, v2
	v_and_b32_e32 v6, 0x80000000, v6
	v_lshl_add_u32 v3, v3, 23, v7
	v_or3_b32 v2, v6, v3, v2
.LBB36_1732:
	s_or_b64 exec, exec, s[6:7]
	s_movk_i32 s4, 0x7f
	v_cmp_gt_i16_sdwa s[6:7], v4, s4 src0_sel:BYTE_0 src1_sel:DWORD
	s_mov_b64 s[4:5], 0
                                        ; implicit-def: $sgpr10
	s_and_saveexec_b64 s[8:9], s[6:7]
	s_xor_b64 s[6:7], exec, s[8:9]
	s_cbranch_execnz .LBB36_3781
; %bb.1733:
	s_or_saveexec_b64 s[6:7], s[6:7]
	v_mov_b32_e32 v3, s10
	s_xor_b64 exec, exec, s[6:7]
	s_cbranch_execnz .LBB36_3784
.LBB36_1734:
	s_or_b64 exec, exec, s[6:7]
	s_and_saveexec_b64 s[6:7], s[4:5]
	s_cbranch_execz .LBB36_1736
.LBB36_1735:
	v_and_b32_e32 v3, 7, v4
	v_ffbh_u32_e32 v7, v3
	v_min_u32_e32 v7, 32, v7
	v_lshrrev_b16_e32 v6, 3, v4
	v_subrev_u32_e32 v10, 28, v7
	v_and_b32_e32 v6, 15, v6
	v_lshlrev_b32_e32 v10, v10, v4
	v_sub_u32_e32 v7, 29, v7
	v_and_b32_e32 v10, 7, v10
	v_cmp_eq_u16_e32 vcc, 0, v6
	v_cndmask_b32_e32 v3, v3, v10, vcc
	v_cndmask_b32_e32 v6, v6, v7, vcc
	v_lshlrev_b32_e32 v7, 24, v4
	v_mov_b32_e32 v10, 0x3b800000
	v_lshlrev_b32_e32 v3, 20, v3
	v_and_b32_e32 v7, 0x80000000, v7
	v_lshl_add_u32 v6, v6, 23, v10
	v_or3_b32 v3, v7, v6, v3
.LBB36_1736:
	s_or_b64 exec, exec, s[6:7]
	s_nop 0
	v_mfma_f32_16x16x4f32 a[0:3], v2, v3, a[0:3]
	v_lshrrev_b32_e32 v3, 8, v8
	s_movk_i32 s4, 0x7f
	v_cmp_gt_i16_sdwa s[6:7], v3, s4 src0_sel:BYTE_0 src1_sel:DWORD
	s_mov_b64 s[4:5], 0
                                        ; implicit-def: $sgpr10
	s_and_saveexec_b64 s[8:9], s[6:7]
	s_xor_b64 s[6:7], exec, s[8:9]
	s_cbranch_execnz .LBB36_3785
; %bb.1737:
	s_or_saveexec_b64 s[6:7], s[6:7]
	v_mov_b32_e32 v2, s10
	s_xor_b64 exec, exec, s[6:7]
	s_cbranch_execnz .LBB36_3788
.LBB36_1738:
	s_or_b64 exec, exec, s[6:7]
	s_and_saveexec_b64 s[6:7], s[4:5]
	s_cbranch_execz .LBB36_1740
.LBB36_1739:
	v_bfe_u32 v2, v8, 8, 3
	v_ffbh_u32_e32 v7, v2
	v_min_u32_e32 v7, 32, v7
	v_lshrrev_b16_e32 v6, 3, v3
	v_subrev_u32_e32 v10, 28, v7
	v_and_b32_e32 v6, 15, v6
	v_lshlrev_b32_e32 v3, v10, v3
	v_sub_u32_e32 v7, 29, v7
	v_and_b32_e32 v3, 7, v3
	v_cmp_eq_u16_e32 vcc, 0, v6
	v_cndmask_b32_e32 v2, v2, v3, vcc
	v_cndmask_b32_e32 v3, v6, v7, vcc
	v_lshlrev_b32_e32 v6, 16, v8
	v_mov_b32_e32 v7, 0x3b800000
	v_lshlrev_b32_e32 v2, 20, v2
	v_and_b32_e32 v6, 0x80000000, v6
	v_lshl_add_u32 v3, v3, 23, v7
	v_or3_b32 v2, v6, v3, v2
.LBB36_1740:
	s_or_b64 exec, exec, s[6:7]
	v_lshrrev_b32_e32 v3, 8, v4
	s_movk_i32 s4, 0x7f
	v_cmp_gt_i16_sdwa s[6:7], v3, s4 src0_sel:BYTE_0 src1_sel:DWORD
	s_mov_b64 s[4:5], 0
                                        ; implicit-def: $sgpr10
	s_and_saveexec_b64 s[8:9], s[6:7]
	s_xor_b64 s[6:7], exec, s[8:9]
	s_cbranch_execnz .LBB36_3789
; %bb.1741:
	s_or_saveexec_b64 s[6:7], s[6:7]
	v_mov_b32_e32 v6, s10
	s_xor_b64 exec, exec, s[6:7]
	s_cbranch_execnz .LBB36_3792
.LBB36_1742:
	s_or_b64 exec, exec, s[6:7]
	s_and_saveexec_b64 s[6:7], s[4:5]
	s_cbranch_execz .LBB36_1744
.LBB36_1743:
	v_bfe_u32 v6, v4, 8, 3
	v_ffbh_u32_e32 v10, v6
	v_min_u32_e32 v10, 32, v10
	v_lshrrev_b16_e32 v7, 3, v3
	v_subrev_u32_e32 v11, 28, v10
	v_and_b32_e32 v7, 15, v7
	v_lshlrev_b32_e32 v3, v11, v3
	v_sub_u32_e32 v10, 29, v10
	v_and_b32_e32 v3, 7, v3
	v_cmp_eq_u16_e32 vcc, 0, v7
	v_cndmask_b32_e32 v3, v6, v3, vcc
	v_cndmask_b32_e32 v6, v7, v10, vcc
	v_lshlrev_b32_e32 v7, 16, v4
	v_mov_b32_e32 v10, 0x3b800000
	v_lshlrev_b32_e32 v3, 20, v3
	v_and_b32_e32 v7, 0x80000000, v7
	v_lshl_add_u32 v6, v6, 23, v10
	v_or3_b32 v6, v7, v6, v3
.LBB36_1744:
	s_or_b64 exec, exec, s[6:7]
	s_nop 0
	v_mfma_f32_16x16x4f32 a[0:3], v2, v6, a[0:3]
	s_movk_i32 s4, 0xff
	v_and_b32_sdwa v3, v8, s4 dst_sel:DWORD dst_unused:UNUSED_PAD src0_sel:WORD_1 src1_sel:DWORD
	s_movk_i32 s4, 0x7f
	v_cmp_lt_i16_e32 vcc, s4, v3
	s_mov_b64 s[4:5], 0
                                        ; implicit-def: $sgpr10
	s_and_saveexec_b64 s[6:7], vcc
	s_xor_b64 s[6:7], exec, s[6:7]
	s_cbranch_execnz .LBB36_3793
; %bb.1745:
	s_or_saveexec_b64 s[6:7], s[6:7]
	v_mov_b32_e32 v2, s10
	s_xor_b64 exec, exec, s[6:7]
	s_cbranch_execnz .LBB36_3796
.LBB36_1746:
	s_or_b64 exec, exec, s[6:7]
	s_and_saveexec_b64 s[6:7], s[4:5]
	s_cbranch_execz .LBB36_1748
.LBB36_1747:
	v_bfe_u32 v2, v8, 16, 3
	v_ffbh_u32_e32 v7, v2
	v_min_u32_e32 v7, 32, v7
	v_lshrrev_b32_e32 v3, 19, v8
	v_subrev_u32_e32 v10, 28, v7
	v_and_b32_e32 v3, 15, v3
	v_lshlrev_b32_sdwa v10, v10, v8 dst_sel:DWORD dst_unused:UNUSED_PAD src0_sel:DWORD src1_sel:WORD_1
	v_bfe_u32 v6, v8, 19, 4
	v_sub_u32_e32 v7, 29, v7
	v_and_b32_e32 v10, 7, v10
	v_cmp_eq_u16_e32 vcc, 0, v3
	v_cndmask_b32_e32 v2, v2, v10, vcc
	v_cndmask_b32_e32 v3, v6, v7, vcc
	v_lshlrev_b32_e32 v6, 8, v8
	v_mov_b32_e32 v7, 0x3b800000
	v_lshlrev_b32_e32 v2, 20, v2
	v_and_b32_e32 v6, 0x80000000, v6
	v_lshl_add_u32 v3, v3, 23, v7
	v_or3_b32 v2, v6, v3, v2
.LBB36_1748:
	s_or_b64 exec, exec, s[6:7]
	s_movk_i32 s4, 0xff
	v_and_b32_sdwa v3, v4, s4 dst_sel:DWORD dst_unused:UNUSED_PAD src0_sel:WORD_1 src1_sel:DWORD
	s_movk_i32 s4, 0x7f
	v_cmp_lt_i16_e32 vcc, s4, v3
	s_mov_b64 s[4:5], 0
                                        ; implicit-def: $sgpr10
	s_and_saveexec_b64 s[6:7], vcc
	s_xor_b64 s[6:7], exec, s[6:7]
	s_cbranch_execnz .LBB36_3797
; %bb.1749:
	s_or_saveexec_b64 s[6:7], s[6:7]
	v_mov_b32_e32 v6, s10
	s_xor_b64 exec, exec, s[6:7]
	s_cbranch_execnz .LBB36_3800
.LBB36_1750:
	s_or_b64 exec, exec, s[6:7]
	s_and_saveexec_b64 s[6:7], s[4:5]
	s_cbranch_execz .LBB36_1752
.LBB36_1751:
	v_bfe_u32 v3, v4, 16, 3
	v_ffbh_u32_e32 v10, v3
	v_min_u32_e32 v10, 32, v10
	v_lshrrev_b32_e32 v6, 19, v4
	v_subrev_u32_e32 v11, 28, v10
	v_and_b32_e32 v6, 15, v6
	v_lshlrev_b32_sdwa v11, v11, v4 dst_sel:DWORD dst_unused:UNUSED_PAD src0_sel:DWORD src1_sel:WORD_1
	v_bfe_u32 v7, v4, 19, 4
	v_sub_u32_e32 v10, 29, v10
	v_and_b32_e32 v11, 7, v11
	v_cmp_eq_u16_e32 vcc, 0, v6
	v_cndmask_b32_e32 v3, v3, v11, vcc
	v_cndmask_b32_e32 v6, v7, v10, vcc
	v_lshlrev_b32_e32 v7, 8, v4
	v_mov_b32_e32 v10, 0x3b800000
	v_lshlrev_b32_e32 v3, 20, v3
	v_and_b32_e32 v7, 0x80000000, v7
	v_lshl_add_u32 v6, v6, 23, v10
	v_or3_b32 v6, v7, v6, v3
.LBB36_1752:
	s_or_b64 exec, exec, s[6:7]
	s_nop 0
	v_mfma_f32_16x16x4f32 a[0:3], v2, v6, a[0:3]
	s_movk_i32 s4, 0x7f
	v_cmp_gt_i16_sdwa s[6:7], v8, s4 src0_sel:BYTE_3 src1_sel:DWORD
	s_mov_b64 s[4:5], 0
                                        ; implicit-def: $sgpr10
	s_and_saveexec_b64 s[8:9], s[6:7]
	s_xor_b64 s[6:7], exec, s[8:9]
	s_cbranch_execnz .LBB36_3801
; %bb.1753:
	s_or_saveexec_b64 s[6:7], s[6:7]
	v_mov_b32_e32 v2, s10
	s_xor_b64 exec, exec, s[6:7]
	s_cbranch_execnz .LBB36_3804
.LBB36_1754:
	s_or_b64 exec, exec, s[6:7]
	s_and_saveexec_b64 s[6:7], s[4:5]
	s_cbranch_execz .LBB36_1756
.LBB36_1755:
	v_bfe_u32 v2, v8, 24, 3
	v_ffbh_u32_e32 v10, v2
	v_min_u32_e32 v10, 32, v10
	v_lshrrev_b32_e32 v6, 27, v8
	v_subrev_u32_e32 v11, 28, v10
	v_and_b32_e32 v3, 0x80000000, v8
	v_and_b32_e32 v6, 15, v6
	v_bfe_u32 v7, v8, 27, 4
	v_lshlrev_b32_sdwa v8, v11, v8 dst_sel:DWORD dst_unused:UNUSED_PAD src0_sel:DWORD src1_sel:BYTE_3
	v_sub_u32_e32 v10, 29, v10
	v_and_b32_e32 v8, 7, v8
	v_cmp_eq_u16_e32 vcc, 0, v6
	v_cndmask_b32_e32 v2, v2, v8, vcc
	v_cndmask_b32_e32 v6, v7, v10, vcc
	v_mov_b32_e32 v7, 0x3b800000
	v_lshlrev_b32_e32 v2, 20, v2
	v_lshl_add_u32 v6, v6, 23, v7
	v_or3_b32 v2, v3, v6, v2
.LBB36_1756:
	s_or_b64 exec, exec, s[6:7]
	s_movk_i32 s4, 0x7f
	v_cmp_gt_i16_sdwa s[6:7], v4, s4 src0_sel:BYTE_3 src1_sel:DWORD
	s_mov_b64 s[4:5], 0
                                        ; implicit-def: $sgpr10
	s_and_saveexec_b64 s[8:9], s[6:7]
	s_xor_b64 s[6:7], exec, s[8:9]
	s_cbranch_execnz .LBB36_3805
; %bb.1757:
	s_or_saveexec_b64 s[6:7], s[6:7]
	v_mov_b32_e32 v3, s10
	s_xor_b64 exec, exec, s[6:7]
	s_cbranch_execnz .LBB36_3808
.LBB36_1758:
	s_or_b64 exec, exec, s[6:7]
	s_and_saveexec_b64 s[6:7], s[4:5]
	s_cbranch_execz .LBB36_1760
.LBB36_1759:
	v_bfe_u32 v3, v4, 24, 3
	v_ffbh_u32_e32 v10, v3
	v_min_u32_e32 v10, 32, v10
	v_lshrrev_b32_e32 v7, 27, v4
	v_subrev_u32_e32 v11, 28, v10
	v_and_b32_e32 v6, 0x80000000, v4
	v_and_b32_e32 v7, 15, v7
	v_bfe_u32 v8, v4, 27, 4
	v_lshlrev_b32_sdwa v4, v11, v4 dst_sel:DWORD dst_unused:UNUSED_PAD src0_sel:DWORD src1_sel:BYTE_3
	v_sub_u32_e32 v10, 29, v10
	v_and_b32_e32 v4, 7, v4
	v_cmp_eq_u16_e32 vcc, 0, v7
	v_cndmask_b32_e32 v3, v3, v4, vcc
	v_cndmask_b32_e32 v4, v8, v10, vcc
	v_mov_b32_e32 v7, 0x3b800000
	v_lshlrev_b32_e32 v3, 20, v3
	v_lshl_add_u32 v4, v4, 23, v7
	v_or3_b32 v3, v6, v4, v3
.LBB36_1760:
	s_or_b64 exec, exec, s[6:7]
	s_nop 0
	v_mfma_f32_16x16x4f32 a[0:3], v2, v3, a[0:3]
	s_movk_i32 s4, 0x7f
	v_cmp_gt_i16_sdwa s[6:7], v9, s4 src0_sel:BYTE_0 src1_sel:DWORD
	s_mov_b64 s[4:5], 0
                                        ; implicit-def: $sgpr10
	s_and_saveexec_b64 s[8:9], s[6:7]
	s_xor_b64 s[6:7], exec, s[8:9]
	s_cbranch_execnz .LBB36_3809
; %bb.1761:
	s_or_saveexec_b64 s[6:7], s[6:7]
	v_mov_b32_e32 v2, s10
	s_xor_b64 exec, exec, s[6:7]
	s_cbranch_execnz .LBB36_3812
.LBB36_1762:
	s_or_b64 exec, exec, s[6:7]
	s_and_saveexec_b64 s[6:7], s[4:5]
	s_cbranch_execz .LBB36_1764
.LBB36_1763:
	v_mov_b32_e32 v2, 8
	v_and_b32_e32 v3, 7, v9
	v_lshrrev_b32_sdwa v2, v2, v9 dst_sel:BYTE_1 dst_unused:UNUSED_PAD src0_sel:DWORD src1_sel:DWORD
	v_ffbh_u32_e32 v4, v3
	v_or_b32_sdwa v2, v9, v2 dst_sel:DWORD dst_unused:UNUSED_PAD src0_sel:BYTE_0 src1_sel:DWORD
	v_min_u32_e32 v4, 32, v4
	v_lshrrev_b16_e32 v2, 3, v2
	v_subrev_u32_e32 v6, 28, v4
	v_and_b32_e32 v2, 15, v2
	v_lshlrev_b32_e32 v6, v6, v9
	v_sub_u32_e32 v4, 29, v4
	v_and_b32_e32 v6, 7, v6
	v_cmp_eq_u16_e32 vcc, 0, v2
	v_cndmask_b32_e32 v3, v3, v6, vcc
	v_cndmask_b32_e32 v2, v2, v4, vcc
	v_lshlrev_b32_e32 v4, 24, v9
	v_mov_b32_e32 v6, 0x3b800000
	v_lshlrev_b32_e32 v3, 20, v3
	v_and_b32_e32 v4, 0x80000000, v4
	v_lshl_add_u32 v2, v2, 23, v6
	v_or3_b32 v2, v4, v2, v3
.LBB36_1764:
	s_or_b64 exec, exec, s[6:7]
	s_movk_i32 s4, 0x7f
	v_cmp_gt_i16_sdwa s[6:7], v5, s4 src0_sel:BYTE_0 src1_sel:DWORD
	s_mov_b64 s[4:5], 0
                                        ; implicit-def: $sgpr10
	s_and_saveexec_b64 s[8:9], s[6:7]
	s_xor_b64 s[6:7], exec, s[8:9]
	s_cbranch_execnz .LBB36_3813
; %bb.1765:
	s_or_saveexec_b64 s[6:7], s[6:7]
	v_mov_b32_e32 v3, s10
	s_xor_b64 exec, exec, s[6:7]
	s_cbranch_execnz .LBB36_3816
.LBB36_1766:
	s_or_b64 exec, exec, s[6:7]
	s_and_saveexec_b64 s[6:7], s[4:5]
	s_cbranch_execz .LBB36_1768
.LBB36_1767:
	v_mov_b32_e32 v3, 8
	v_and_b32_e32 v4, 7, v5
	v_lshrrev_b32_sdwa v3, v3, v5 dst_sel:BYTE_1 dst_unused:UNUSED_PAD src0_sel:DWORD src1_sel:DWORD
	v_ffbh_u32_e32 v6, v4
	v_or_b32_sdwa v3, v5, v3 dst_sel:DWORD dst_unused:UNUSED_PAD src0_sel:BYTE_0 src1_sel:DWORD
	v_min_u32_e32 v6, 32, v6
	v_lshrrev_b16_e32 v3, 3, v3
	v_subrev_u32_e32 v7, 28, v6
	v_and_b32_e32 v3, 15, v3
	v_lshlrev_b32_e32 v7, v7, v5
	v_sub_u32_e32 v6, 29, v6
	v_and_b32_e32 v7, 7, v7
	v_cmp_eq_u16_e32 vcc, 0, v3
	v_cndmask_b32_e32 v4, v4, v7, vcc
	v_cndmask_b32_e32 v3, v3, v6, vcc
	v_lshlrev_b32_e32 v6, 24, v5
	v_mov_b32_e32 v7, 0x3b800000
	v_lshlrev_b32_e32 v4, 20, v4
	v_and_b32_e32 v6, 0x80000000, v6
	v_lshl_add_u32 v3, v3, 23, v7
	v_or3_b32 v3, v6, v3, v4
.LBB36_1768:
	s_or_b64 exec, exec, s[6:7]
	s_nop 0
	v_mfma_f32_16x16x4f32 a[0:3], v2, v3, a[0:3]
	v_lshrrev_b32_e32 v3, 8, v9
	s_movk_i32 s4, 0x7f
	v_cmp_gt_i16_sdwa s[6:7], v3, s4 src0_sel:BYTE_0 src1_sel:DWORD
	s_mov_b64 s[4:5], 0
                                        ; implicit-def: $sgpr10
	s_and_saveexec_b64 s[8:9], s[6:7]
	s_xor_b64 s[6:7], exec, s[8:9]
	s_cbranch_execnz .LBB36_3817
; %bb.1769:
	s_or_saveexec_b64 s[6:7], s[6:7]
	v_mov_b32_e32 v2, s10
	s_xor_b64 exec, exec, s[6:7]
	s_cbranch_execnz .LBB36_3820
.LBB36_1770:
	s_or_b64 exec, exec, s[6:7]
	s_and_saveexec_b64 s[6:7], s[4:5]
	s_cbranch_execz .LBB36_1772
.LBB36_1771:
	v_bfe_u32 v2, v9, 8, 3
	v_ffbh_u32_e32 v6, v2
	v_min_u32_e32 v6, 32, v6
	v_lshrrev_b16_e32 v4, 3, v3
	v_subrev_u32_e32 v7, 28, v6
	v_and_b32_e32 v4, 15, v4
	v_lshlrev_b32_e32 v3, v7, v3
	v_sub_u32_e32 v6, 29, v6
	v_and_b32_e32 v3, 7, v3
	v_cmp_eq_u16_e32 vcc, 0, v4
	v_cndmask_b32_e32 v2, v2, v3, vcc
	v_cndmask_b32_e32 v3, v4, v6, vcc
	v_lshlrev_b32_e32 v4, 16, v9
	v_mov_b32_e32 v6, 0x3b800000
	v_lshlrev_b32_e32 v2, 20, v2
	v_and_b32_e32 v4, 0x80000000, v4
	v_lshl_add_u32 v3, v3, 23, v6
	v_or3_b32 v2, v4, v3, v2
.LBB36_1772:
	s_or_b64 exec, exec, s[6:7]
	v_lshrrev_b32_e32 v3, 8, v5
	s_movk_i32 s4, 0x7f
	v_cmp_gt_i16_sdwa s[6:7], v3, s4 src0_sel:BYTE_0 src1_sel:DWORD
	s_mov_b64 s[4:5], 0
                                        ; implicit-def: $sgpr10
	s_and_saveexec_b64 s[8:9], s[6:7]
	s_xor_b64 s[6:7], exec, s[8:9]
	s_cbranch_execnz .LBB36_3821
; %bb.1773:
	s_or_saveexec_b64 s[6:7], s[6:7]
	v_mov_b32_e32 v4, s10
	s_xor_b64 exec, exec, s[6:7]
	s_cbranch_execnz .LBB36_3824
.LBB36_1774:
	s_or_b64 exec, exec, s[6:7]
	s_and_saveexec_b64 s[6:7], s[4:5]
	s_cbranch_execz .LBB36_1776
.LBB36_1775:
	v_bfe_u32 v4, v5, 8, 3
	v_ffbh_u32_e32 v7, v4
	v_min_u32_e32 v7, 32, v7
	v_lshrrev_b16_e32 v6, 3, v3
	v_subrev_u32_e32 v8, 28, v7
	v_and_b32_e32 v6, 15, v6
	v_lshlrev_b32_e32 v3, v8, v3
	v_sub_u32_e32 v7, 29, v7
	v_and_b32_e32 v3, 7, v3
	v_cmp_eq_u16_e32 vcc, 0, v6
	v_cndmask_b32_e32 v3, v4, v3, vcc
	v_cndmask_b32_e32 v4, v6, v7, vcc
	v_lshlrev_b32_e32 v6, 16, v5
	v_mov_b32_e32 v7, 0x3b800000
	v_lshlrev_b32_e32 v3, 20, v3
	v_and_b32_e32 v6, 0x80000000, v6
	v_lshl_add_u32 v4, v4, 23, v7
	v_or3_b32 v4, v6, v4, v3
.LBB36_1776:
	s_or_b64 exec, exec, s[6:7]
	s_nop 0
	v_mfma_f32_16x16x4f32 a[0:3], v2, v4, a[0:3]
	s_movk_i32 s4, 0xff
	v_and_b32_sdwa v3, v9, s4 dst_sel:DWORD dst_unused:UNUSED_PAD src0_sel:WORD_1 src1_sel:DWORD
	s_movk_i32 s4, 0x7f
	v_cmp_lt_i16_e32 vcc, s4, v3
	s_mov_b64 s[4:5], 0
                                        ; implicit-def: $sgpr10
	s_and_saveexec_b64 s[6:7], vcc
	s_xor_b64 s[6:7], exec, s[6:7]
	s_cbranch_execnz .LBB36_3825
; %bb.1777:
	s_or_saveexec_b64 s[6:7], s[6:7]
	v_mov_b32_e32 v2, s10
	s_xor_b64 exec, exec, s[6:7]
	s_cbranch_execnz .LBB36_3828
.LBB36_1778:
	s_or_b64 exec, exec, s[6:7]
	s_and_saveexec_b64 s[6:7], s[4:5]
	s_cbranch_execz .LBB36_1780
.LBB36_1779:
	v_bfe_u32 v2, v9, 16, 3
	v_ffbh_u32_e32 v6, v2
	v_min_u32_e32 v6, 32, v6
	v_lshrrev_b32_e32 v3, 19, v9
	v_subrev_u32_e32 v7, 28, v6
	v_and_b32_e32 v3, 15, v3
	v_lshlrev_b32_sdwa v7, v7, v9 dst_sel:DWORD dst_unused:UNUSED_PAD src0_sel:DWORD src1_sel:WORD_1
	v_bfe_u32 v4, v9, 19, 4
	v_sub_u32_e32 v6, 29, v6
	v_and_b32_e32 v7, 7, v7
	v_cmp_eq_u16_e32 vcc, 0, v3
	v_cndmask_b32_e32 v2, v2, v7, vcc
	v_cndmask_b32_e32 v3, v4, v6, vcc
	v_lshlrev_b32_e32 v4, 8, v9
	v_mov_b32_e32 v6, 0x3b800000
	v_lshlrev_b32_e32 v2, 20, v2
	v_and_b32_e32 v4, 0x80000000, v4
	v_lshl_add_u32 v3, v3, 23, v6
	v_or3_b32 v2, v4, v3, v2
.LBB36_1780:
	s_or_b64 exec, exec, s[6:7]
	s_movk_i32 s4, 0xff
	v_and_b32_sdwa v3, v5, s4 dst_sel:DWORD dst_unused:UNUSED_PAD src0_sel:WORD_1 src1_sel:DWORD
	s_movk_i32 s4, 0x7f
	v_cmp_lt_i16_e32 vcc, s4, v3
	s_mov_b64 s[4:5], 0
                                        ; implicit-def: $sgpr10
	s_and_saveexec_b64 s[6:7], vcc
	s_xor_b64 s[6:7], exec, s[6:7]
	s_cbranch_execnz .LBB36_3829
; %bb.1781:
	s_or_saveexec_b64 s[6:7], s[6:7]
	v_mov_b32_e32 v4, s10
	s_xor_b64 exec, exec, s[6:7]
	s_cbranch_execnz .LBB36_3832
.LBB36_1782:
	s_or_b64 exec, exec, s[6:7]
	s_and_saveexec_b64 s[6:7], s[4:5]
	s_cbranch_execz .LBB36_1784
.LBB36_1783:
	v_bfe_u32 v3, v5, 16, 3
	v_ffbh_u32_e32 v7, v3
	v_min_u32_e32 v7, 32, v7
	v_lshrrev_b32_e32 v4, 19, v5
	v_subrev_u32_e32 v8, 28, v7
	v_and_b32_e32 v4, 15, v4
	v_lshlrev_b32_sdwa v8, v8, v5 dst_sel:DWORD dst_unused:UNUSED_PAD src0_sel:DWORD src1_sel:WORD_1
	v_bfe_u32 v6, v5, 19, 4
	v_sub_u32_e32 v7, 29, v7
	v_and_b32_e32 v8, 7, v8
	v_cmp_eq_u16_e32 vcc, 0, v4
	v_cndmask_b32_e32 v3, v3, v8, vcc
	v_cndmask_b32_e32 v4, v6, v7, vcc
	v_lshlrev_b32_e32 v6, 8, v5
	v_mov_b32_e32 v7, 0x3b800000
	v_lshlrev_b32_e32 v3, 20, v3
	v_and_b32_e32 v6, 0x80000000, v6
	v_lshl_add_u32 v4, v4, 23, v7
	v_or3_b32 v4, v6, v4, v3
.LBB36_1784:
	s_or_b64 exec, exec, s[6:7]
	s_nop 0
	v_mfma_f32_16x16x4f32 a[0:3], v2, v4, a[0:3]
	s_movk_i32 s4, 0x7f
	v_cmp_gt_i16_sdwa s[6:7], v9, s4 src0_sel:BYTE_3 src1_sel:DWORD
	s_mov_b64 s[4:5], 0
                                        ; implicit-def: $sgpr10
	s_and_saveexec_b64 s[8:9], s[6:7]
	s_xor_b64 s[6:7], exec, s[8:9]
	s_cbranch_execnz .LBB36_3833
; %bb.1785:
	s_or_saveexec_b64 s[6:7], s[6:7]
	v_mov_b32_e32 v2, s10
	s_xor_b64 exec, exec, s[6:7]
	s_cbranch_execnz .LBB36_3836
.LBB36_1786:
	s_or_b64 exec, exec, s[6:7]
	s_and_saveexec_b64 s[6:7], s[4:5]
	s_cbranch_execz .LBB36_1788
.LBB36_1787:
	v_bfe_u32 v2, v9, 24, 3
	v_ffbh_u32_e32 v7, v2
	v_min_u32_e32 v7, 32, v7
	v_lshrrev_b32_e32 v4, 27, v9
	v_subrev_u32_e32 v8, 28, v7
	v_and_b32_e32 v4, 15, v4
	v_lshlrev_b32_sdwa v8, v8, v9 dst_sel:DWORD dst_unused:UNUSED_PAD src0_sel:DWORD src1_sel:BYTE_3
	v_bfe_u32 v6, v9, 27, 4
	v_sub_u32_e32 v7, 29, v7
	v_and_b32_e32 v8, 7, v8
	v_cmp_eq_u16_e32 vcc, 0, v4
	v_cndmask_b32_e32 v2, v2, v8, vcc
	v_cndmask_b32_e32 v4, v6, v7, vcc
	v_mov_b32_e32 v6, 0x3b800000
	v_and_b32_e32 v3, 0x80000000, v9
	v_lshlrev_b32_e32 v2, 20, v2
	v_lshl_add_u32 v4, v4, 23, v6
	v_or3_b32 v2, v3, v4, v2
.LBB36_1788:
	s_or_b64 exec, exec, s[6:7]
	s_movk_i32 s4, 0x7f
	v_cmp_gt_i16_sdwa s[6:7], v5, s4 src0_sel:BYTE_3 src1_sel:DWORD
	s_mov_b64 s[4:5], 0
                                        ; implicit-def: $sgpr10
	s_and_saveexec_b64 s[8:9], s[6:7]
	s_xor_b64 s[6:7], exec, s[8:9]
	s_cbranch_execnz .LBB36_3837
; %bb.1789:
	s_or_saveexec_b64 s[6:7], s[6:7]
	v_mov_b32_e32 v3, s10
	s_xor_b64 exec, exec, s[6:7]
	s_cbranch_execnz .LBB36_3840
.LBB36_1790:
	s_or_b64 exec, exec, s[6:7]
	s_and_saveexec_b64 s[6:7], s[4:5]
	s_cbranch_execz .LBB36_1792
.LBB36_1791:
	v_bfe_u32 v3, v5, 24, 3
	v_ffbh_u32_e32 v8, v3
	v_min_u32_e32 v8, 32, v8
	v_lshrrev_b32_e32 v6, 27, v5
	v_subrev_u32_e32 v9, 28, v8
	v_and_b32_e32 v4, 0x80000000, v5
	v_and_b32_e32 v6, 15, v6
	v_bfe_u32 v7, v5, 27, 4
	v_lshlrev_b32_sdwa v5, v9, v5 dst_sel:DWORD dst_unused:UNUSED_PAD src0_sel:DWORD src1_sel:BYTE_3
	v_sub_u32_e32 v8, 29, v8
	v_and_b32_e32 v5, 7, v5
	v_cmp_eq_u16_e32 vcc, 0, v6
	v_cndmask_b32_e32 v3, v3, v5, vcc
	v_cndmask_b32_e32 v5, v7, v8, vcc
	v_mov_b32_e32 v6, 0x3b800000
	v_lshlrev_b32_e32 v3, 20, v3
	v_lshl_add_u32 v5, v5, 23, v6
	v_or3_b32 v3, v4, v5, v3
.LBB36_1792:
	s_or_b64 exec, exec, s[6:7]
	s_nop 0
	v_mfma_f32_16x16x4f32 a[0:3], v2, v3, a[0:3]
	s_movk_i32 s4, 0x7f
                                        ; implicit-def: $sgpr10
	s_nop 7
	s_nop 1
	flat_store_dwordx4 v[18:19], a[0:3] offset:96
	flat_load_dwordx4 v[18:21], v[0:1] offset:16
	s_nop 0
	flat_load_dwordx2 v[16:17], v[0:1] offset:32
	s_waitcnt vmcnt(0) lgkmcnt(0)
	flat_load_dwordx4 v[12:15], v[18:19]
	flat_load_dwordx4 v[4:7], v[18:19] offset:16
	flat_load_dwordx4 v[8:11], v[20:21] offset:480
	;; [unrolled: 1-line block ×3, first 2 shown]
	s_waitcnt vmcnt(0) lgkmcnt(0)
	v_cmp_gt_i16_sdwa s[6:7], v12, s4 src0_sel:BYTE_0 src1_sel:DWORD
	s_mov_b64 s[4:5], 0
	s_and_saveexec_b64 s[8:9], s[6:7]
	s_xor_b64 s[6:7], exec, s[8:9]
	s_cbranch_execnz .LBB36_3841
; %bb.1793:
	s_or_saveexec_b64 s[6:7], s[6:7]
	v_mov_b32_e32 v18, s10
	s_xor_b64 exec, exec, s[6:7]
	s_cbranch_execnz .LBB36_3844
.LBB36_1794:
	s_or_b64 exec, exec, s[6:7]
	s_and_saveexec_b64 s[6:7], s[4:5]
	s_cbranch_execz .LBB36_1796
.LBB36_1795:
	v_and_b32_e32 v18, 7, v12
	v_ffbh_u32_e32 v20, v18
	v_min_u32_e32 v20, 32, v20
	v_lshrrev_b16_e32 v19, 3, v12
	v_subrev_u32_e32 v21, 28, v20
	v_and_b32_e32 v19, 15, v19
	v_lshlrev_b32_e32 v21, v21, v12
	v_sub_u32_e32 v20, 29, v20
	v_and_b32_e32 v21, 7, v21
	v_cmp_eq_u16_e32 vcc, 0, v19
	v_cndmask_b32_e32 v18, v18, v21, vcc
	v_cndmask_b32_e32 v19, v19, v20, vcc
	v_lshlrev_b32_e32 v20, 24, v12
	v_mov_b32_e32 v21, 0x3b800000
	v_lshlrev_b32_e32 v18, 20, v18
	v_and_b32_e32 v20, 0x80000000, v20
	v_lshl_add_u32 v19, v19, 23, v21
	v_or3_b32 v18, v20, v19, v18
.LBB36_1796:
	s_or_b64 exec, exec, s[6:7]
	s_movk_i32 s4, 0x7f
	v_cmp_gt_i16_sdwa s[6:7], v8, s4 src0_sel:BYTE_0 src1_sel:DWORD
	s_mov_b64 s[4:5], 0
                                        ; implicit-def: $sgpr10
	s_and_saveexec_b64 s[8:9], s[6:7]
	s_xor_b64 s[6:7], exec, s[8:9]
	s_cbranch_execnz .LBB36_3845
; %bb.1797:
	s_or_saveexec_b64 s[6:7], s[6:7]
	v_mov_b32_e32 v19, s10
	s_xor_b64 exec, exec, s[6:7]
	s_cbranch_execnz .LBB36_3848
.LBB36_1798:
	s_or_b64 exec, exec, s[6:7]
	s_and_saveexec_b64 s[6:7], s[4:5]
	s_cbranch_execz .LBB36_1800
.LBB36_1799:
	v_and_b32_e32 v19, 7, v8
	v_ffbh_u32_e32 v21, v19
	v_min_u32_e32 v21, 32, v21
	v_lshrrev_b16_e32 v20, 3, v8
	v_subrev_u32_e32 v22, 28, v21
	v_and_b32_e32 v20, 15, v20
	v_lshlrev_b32_e32 v22, v22, v8
	v_sub_u32_e32 v21, 29, v21
	v_and_b32_e32 v22, 7, v22
	v_cmp_eq_u16_e32 vcc, 0, v20
	v_cndmask_b32_e32 v19, v19, v22, vcc
	v_cndmask_b32_e32 v20, v20, v21, vcc
	v_lshlrev_b32_e32 v21, 24, v8
	v_mov_b32_e32 v22, 0x3b800000
	v_lshlrev_b32_e32 v19, 20, v19
	v_and_b32_e32 v21, 0x80000000, v21
	v_lshl_add_u32 v20, v20, 23, v22
	v_or3_b32 v19, v21, v20, v19
.LBB36_1800:
	s_or_b64 exec, exec, s[6:7]
	flat_load_dwordx4 a[0:3], v[16:17] offset:112
	s_movk_i32 s4, 0x7f
                                        ; implicit-def: $sgpr10
	s_waitcnt vmcnt(0) lgkmcnt(0)
	v_mfma_f32_16x16x4f32 a[0:3], v18, v19, a[0:3]
	v_lshrrev_b32_e32 v19, 8, v12
	v_cmp_gt_i16_sdwa s[6:7], v19, s4 src0_sel:BYTE_0 src1_sel:DWORD
	s_mov_b64 s[4:5], 0
	s_and_saveexec_b64 s[8:9], s[6:7]
	s_xor_b64 s[6:7], exec, s[8:9]
	s_cbranch_execnz .LBB36_3849
; %bb.1801:
	s_or_saveexec_b64 s[6:7], s[6:7]
	v_mov_b32_e32 v18, s10
	s_xor_b64 exec, exec, s[6:7]
	s_cbranch_execnz .LBB36_3852
.LBB36_1802:
	s_or_b64 exec, exec, s[6:7]
	s_and_saveexec_b64 s[6:7], s[4:5]
	s_cbranch_execz .LBB36_1804
.LBB36_1803:
	v_bfe_u32 v18, v12, 8, 3
	v_ffbh_u32_e32 v21, v18
	v_min_u32_e32 v21, 32, v21
	v_lshrrev_b16_e32 v20, 3, v19
	v_subrev_u32_e32 v22, 28, v21
	v_and_b32_e32 v20, 15, v20
	v_lshlrev_b32_e32 v19, v22, v19
	v_sub_u32_e32 v21, 29, v21
	v_and_b32_e32 v19, 7, v19
	v_cmp_eq_u16_e32 vcc, 0, v20
	v_cndmask_b32_e32 v18, v18, v19, vcc
	v_cndmask_b32_e32 v19, v20, v21, vcc
	v_lshlrev_b32_e32 v20, 16, v12
	v_mov_b32_e32 v21, 0x3b800000
	v_lshlrev_b32_e32 v18, 20, v18
	v_and_b32_e32 v20, 0x80000000, v20
	v_lshl_add_u32 v19, v19, 23, v21
	v_or3_b32 v18, v20, v19, v18
.LBB36_1804:
	s_or_b64 exec, exec, s[6:7]
	v_lshrrev_b32_e32 v19, 8, v8
	s_movk_i32 s4, 0x7f
	v_cmp_gt_i16_sdwa s[6:7], v19, s4 src0_sel:BYTE_0 src1_sel:DWORD
	s_mov_b64 s[4:5], 0
                                        ; implicit-def: $sgpr10
	s_and_saveexec_b64 s[8:9], s[6:7]
	s_xor_b64 s[6:7], exec, s[8:9]
	s_cbranch_execnz .LBB36_3853
; %bb.1805:
	s_or_saveexec_b64 s[6:7], s[6:7]
	v_mov_b32_e32 v20, s10
	s_xor_b64 exec, exec, s[6:7]
	s_cbranch_execnz .LBB36_3856
.LBB36_1806:
	s_or_b64 exec, exec, s[6:7]
	s_and_saveexec_b64 s[6:7], s[4:5]
	s_cbranch_execz .LBB36_1808
.LBB36_1807:
	v_bfe_u32 v20, v8, 8, 3
	v_ffbh_u32_e32 v22, v20
	v_min_u32_e32 v22, 32, v22
	v_lshrrev_b16_e32 v21, 3, v19
	v_subrev_u32_e32 v23, 28, v22
	v_and_b32_e32 v21, 15, v21
	v_lshlrev_b32_e32 v19, v23, v19
	v_sub_u32_e32 v22, 29, v22
	v_and_b32_e32 v19, 7, v19
	v_cmp_eq_u16_e32 vcc, 0, v21
	v_cndmask_b32_e32 v19, v20, v19, vcc
	v_cndmask_b32_e32 v20, v21, v22, vcc
	v_lshlrev_b32_e32 v21, 16, v8
	v_mov_b32_e32 v22, 0x3b800000
	v_lshlrev_b32_e32 v19, 20, v19
	v_and_b32_e32 v21, 0x80000000, v21
	v_lshl_add_u32 v20, v20, 23, v22
	v_or3_b32 v20, v21, v20, v19
.LBB36_1808:
	s_or_b64 exec, exec, s[6:7]
	s_nop 0
	v_mfma_f32_16x16x4f32 a[0:3], v18, v20, a[0:3]
	s_movk_i32 s4, 0xff
	v_and_b32_sdwa v19, v12, s4 dst_sel:DWORD dst_unused:UNUSED_PAD src0_sel:WORD_1 src1_sel:DWORD
	s_movk_i32 s4, 0x7f
	v_cmp_lt_i16_e32 vcc, s4, v19
	s_mov_b64 s[4:5], 0
                                        ; implicit-def: $sgpr10
	s_and_saveexec_b64 s[6:7], vcc
	s_xor_b64 s[6:7], exec, s[6:7]
	s_cbranch_execnz .LBB36_3857
; %bb.1809:
	s_or_saveexec_b64 s[6:7], s[6:7]
	v_mov_b32_e32 v18, s10
	s_xor_b64 exec, exec, s[6:7]
	s_cbranch_execnz .LBB36_3860
.LBB36_1810:
	s_or_b64 exec, exec, s[6:7]
	s_and_saveexec_b64 s[6:7], s[4:5]
	s_cbranch_execz .LBB36_1812
.LBB36_1811:
	v_bfe_u32 v18, v12, 16, 3
	v_ffbh_u32_e32 v21, v18
	v_min_u32_e32 v21, 32, v21
	v_lshrrev_b32_e32 v19, 19, v12
	v_subrev_u32_e32 v22, 28, v21
	v_and_b32_e32 v19, 15, v19
	v_lshlrev_b32_sdwa v22, v22, v12 dst_sel:DWORD dst_unused:UNUSED_PAD src0_sel:DWORD src1_sel:WORD_1
	v_bfe_u32 v20, v12, 19, 4
	v_sub_u32_e32 v21, 29, v21
	v_and_b32_e32 v22, 7, v22
	v_cmp_eq_u16_e32 vcc, 0, v19
	v_cndmask_b32_e32 v18, v18, v22, vcc
	v_cndmask_b32_e32 v19, v20, v21, vcc
	v_lshlrev_b32_e32 v20, 8, v12
	v_mov_b32_e32 v21, 0x3b800000
	v_lshlrev_b32_e32 v18, 20, v18
	v_and_b32_e32 v20, 0x80000000, v20
	v_lshl_add_u32 v19, v19, 23, v21
	v_or3_b32 v18, v20, v19, v18
.LBB36_1812:
	s_or_b64 exec, exec, s[6:7]
	s_movk_i32 s4, 0xff
	v_and_b32_sdwa v19, v8, s4 dst_sel:DWORD dst_unused:UNUSED_PAD src0_sel:WORD_1 src1_sel:DWORD
	s_movk_i32 s4, 0x7f
	v_cmp_lt_i16_e32 vcc, s4, v19
	s_mov_b64 s[4:5], 0
                                        ; implicit-def: $sgpr10
	s_and_saveexec_b64 s[6:7], vcc
	s_xor_b64 s[6:7], exec, s[6:7]
	s_cbranch_execnz .LBB36_3861
; %bb.1813:
	s_or_saveexec_b64 s[6:7], s[6:7]
	v_mov_b32_e32 v20, s10
	s_xor_b64 exec, exec, s[6:7]
	s_cbranch_execnz .LBB36_3864
.LBB36_1814:
	s_or_b64 exec, exec, s[6:7]
	s_and_saveexec_b64 s[6:7], s[4:5]
	s_cbranch_execz .LBB36_1816
.LBB36_1815:
	v_bfe_u32 v19, v8, 16, 3
	v_ffbh_u32_e32 v22, v19
	v_min_u32_e32 v22, 32, v22
	v_lshrrev_b32_e32 v20, 19, v8
	v_subrev_u32_e32 v23, 28, v22
	v_and_b32_e32 v20, 15, v20
	v_lshlrev_b32_sdwa v23, v23, v8 dst_sel:DWORD dst_unused:UNUSED_PAD src0_sel:DWORD src1_sel:WORD_1
	v_bfe_u32 v21, v8, 19, 4
	v_sub_u32_e32 v22, 29, v22
	v_and_b32_e32 v23, 7, v23
	v_cmp_eq_u16_e32 vcc, 0, v20
	v_cndmask_b32_e32 v19, v19, v23, vcc
	v_cndmask_b32_e32 v20, v21, v22, vcc
	v_lshlrev_b32_e32 v21, 8, v8
	v_mov_b32_e32 v22, 0x3b800000
	v_lshlrev_b32_e32 v19, 20, v19
	v_and_b32_e32 v21, 0x80000000, v21
	v_lshl_add_u32 v20, v20, 23, v22
	v_or3_b32 v20, v21, v20, v19
.LBB36_1816:
	s_or_b64 exec, exec, s[6:7]
	s_nop 0
	v_mfma_f32_16x16x4f32 a[0:3], v18, v20, a[0:3]
	s_movk_i32 s4, 0x7f
	v_cmp_gt_i16_sdwa s[6:7], v12, s4 src0_sel:BYTE_3 src1_sel:DWORD
	s_mov_b64 s[4:5], 0
                                        ; implicit-def: $sgpr10
	s_and_saveexec_b64 s[8:9], s[6:7]
	s_xor_b64 s[6:7], exec, s[8:9]
	s_cbranch_execnz .LBB36_3865
; %bb.1817:
	s_or_saveexec_b64 s[6:7], s[6:7]
	v_mov_b32_e32 v18, s10
	s_xor_b64 exec, exec, s[6:7]
	s_cbranch_execnz .LBB36_3868
.LBB36_1818:
	s_or_b64 exec, exec, s[6:7]
	s_and_saveexec_b64 s[6:7], s[4:5]
	s_cbranch_execz .LBB36_1820
.LBB36_1819:
	v_bfe_u32 v18, v12, 24, 3
	v_ffbh_u32_e32 v22, v18
	v_min_u32_e32 v22, 32, v22
	v_lshrrev_b32_e32 v20, 27, v12
	v_subrev_u32_e32 v23, 28, v22
	v_and_b32_e32 v19, 0x80000000, v12
	v_and_b32_e32 v20, 15, v20
	v_bfe_u32 v21, v12, 27, 4
	v_lshlrev_b32_sdwa v12, v23, v12 dst_sel:DWORD dst_unused:UNUSED_PAD src0_sel:DWORD src1_sel:BYTE_3
	v_sub_u32_e32 v22, 29, v22
	v_and_b32_e32 v12, 7, v12
	v_cmp_eq_u16_e32 vcc, 0, v20
	v_cndmask_b32_e32 v12, v18, v12, vcc
	v_cndmask_b32_e32 v18, v21, v22, vcc
	v_mov_b32_e32 v20, 0x3b800000
	v_lshlrev_b32_e32 v12, 20, v12
	v_lshl_add_u32 v18, v18, 23, v20
	v_or3_b32 v18, v19, v18, v12
.LBB36_1820:
	s_or_b64 exec, exec, s[6:7]
	s_movk_i32 s4, 0x7f
	v_cmp_gt_i16_sdwa s[6:7], v8, s4 src0_sel:BYTE_3 src1_sel:DWORD
	s_mov_b64 s[4:5], 0
                                        ; implicit-def: $sgpr10
	s_and_saveexec_b64 s[8:9], s[6:7]
	s_xor_b64 s[6:7], exec, s[8:9]
	s_cbranch_execnz .LBB36_3869
; %bb.1821:
	s_or_saveexec_b64 s[6:7], s[6:7]
	v_mov_b32_e32 v12, s10
	s_xor_b64 exec, exec, s[6:7]
	s_cbranch_execnz .LBB36_3872
.LBB36_1822:
	s_or_b64 exec, exec, s[6:7]
	s_and_saveexec_b64 s[6:7], s[4:5]
	s_cbranch_execz .LBB36_1824
.LBB36_1823:
	v_bfe_u32 v12, v8, 24, 3
	v_ffbh_u32_e32 v22, v12
	v_min_u32_e32 v22, 32, v22
	v_lshrrev_b32_e32 v20, 27, v8
	v_subrev_u32_e32 v23, 28, v22
	v_and_b32_e32 v19, 0x80000000, v8
	v_and_b32_e32 v20, 15, v20
	v_bfe_u32 v21, v8, 27, 4
	v_lshlrev_b32_sdwa v8, v23, v8 dst_sel:DWORD dst_unused:UNUSED_PAD src0_sel:DWORD src1_sel:BYTE_3
	v_sub_u32_e32 v22, 29, v22
	v_and_b32_e32 v8, 7, v8
	v_cmp_eq_u16_e32 vcc, 0, v20
	v_cndmask_b32_e32 v8, v12, v8, vcc
	v_cndmask_b32_e32 v12, v21, v22, vcc
	v_mov_b32_e32 v20, 0x3b800000
	v_lshlrev_b32_e32 v8, 20, v8
	v_lshl_add_u32 v12, v12, 23, v20
	v_or3_b32 v12, v19, v12, v8
.LBB36_1824:
	s_or_b64 exec, exec, s[6:7]
	s_nop 0
	v_mfma_f32_16x16x4f32 a[0:3], v18, v12, a[0:3]
	s_movk_i32 s4, 0x7f
	v_cmp_gt_i16_sdwa s[6:7], v13, s4 src0_sel:BYTE_0 src1_sel:DWORD
	s_mov_b64 s[4:5], 0
                                        ; implicit-def: $sgpr10
	s_and_saveexec_b64 s[8:9], s[6:7]
	s_xor_b64 s[6:7], exec, s[8:9]
	s_cbranch_execnz .LBB36_3873
; %bb.1825:
	s_or_saveexec_b64 s[6:7], s[6:7]
	v_mov_b32_e32 v8, s10
	s_xor_b64 exec, exec, s[6:7]
	s_cbranch_execnz .LBB36_3876
.LBB36_1826:
	s_or_b64 exec, exec, s[6:7]
	s_and_saveexec_b64 s[6:7], s[4:5]
	s_cbranch_execz .LBB36_1828
.LBB36_1827:
	v_and_b32_e32 v8, 7, v13
	v_ffbh_u32_e32 v18, v8
	v_min_u32_e32 v18, 32, v18
	v_lshrrev_b16_e32 v12, 3, v13
	v_subrev_u32_e32 v19, 28, v18
	v_and_b32_e32 v12, 15, v12
	v_lshlrev_b32_e32 v19, v19, v13
	v_sub_u32_e32 v18, 29, v18
	v_and_b32_e32 v19, 7, v19
	v_cmp_eq_u16_e32 vcc, 0, v12
	v_cndmask_b32_e32 v8, v8, v19, vcc
	v_cndmask_b32_e32 v12, v12, v18, vcc
	v_lshlrev_b32_e32 v18, 24, v13
	v_mov_b32_e32 v19, 0x3b800000
	v_lshlrev_b32_e32 v8, 20, v8
	v_and_b32_e32 v18, 0x80000000, v18
	v_lshl_add_u32 v12, v12, 23, v19
	v_or3_b32 v8, v18, v12, v8
.LBB36_1828:
	s_or_b64 exec, exec, s[6:7]
	s_movk_i32 s4, 0x7f
	v_cmp_gt_i16_sdwa s[6:7], v9, s4 src0_sel:BYTE_0 src1_sel:DWORD
	s_mov_b64 s[4:5], 0
                                        ; implicit-def: $sgpr10
	s_and_saveexec_b64 s[8:9], s[6:7]
	s_xor_b64 s[6:7], exec, s[8:9]
	s_cbranch_execnz .LBB36_3877
; %bb.1829:
	s_or_saveexec_b64 s[6:7], s[6:7]
	v_mov_b32_e32 v12, s10
	s_xor_b64 exec, exec, s[6:7]
	s_cbranch_execnz .LBB36_3880
.LBB36_1830:
	s_or_b64 exec, exec, s[6:7]
	s_and_saveexec_b64 s[6:7], s[4:5]
	s_cbranch_execz .LBB36_1832
.LBB36_1831:
	v_and_b32_e32 v12, 7, v9
	v_ffbh_u32_e32 v19, v12
	v_min_u32_e32 v19, 32, v19
	v_lshrrev_b16_e32 v18, 3, v9
	v_subrev_u32_e32 v20, 28, v19
	v_and_b32_e32 v18, 15, v18
	v_lshlrev_b32_e32 v20, v20, v9
	v_sub_u32_e32 v19, 29, v19
	v_and_b32_e32 v20, 7, v20
	v_cmp_eq_u16_e32 vcc, 0, v18
	v_cndmask_b32_e32 v12, v12, v20, vcc
	v_cndmask_b32_e32 v18, v18, v19, vcc
	v_lshlrev_b32_e32 v19, 24, v9
	v_mov_b32_e32 v20, 0x3b800000
	v_lshlrev_b32_e32 v12, 20, v12
	v_and_b32_e32 v19, 0x80000000, v19
	v_lshl_add_u32 v18, v18, 23, v20
	v_or3_b32 v12, v19, v18, v12
.LBB36_1832:
	s_or_b64 exec, exec, s[6:7]
	s_nop 0
	v_mfma_f32_16x16x4f32 a[0:3], v8, v12, a[0:3]
	v_lshrrev_b32_e32 v12, 8, v13
	s_movk_i32 s4, 0x7f
	v_cmp_gt_i16_sdwa s[6:7], v12, s4 src0_sel:BYTE_0 src1_sel:DWORD
	s_mov_b64 s[4:5], 0
                                        ; implicit-def: $sgpr10
	s_and_saveexec_b64 s[8:9], s[6:7]
	s_xor_b64 s[6:7], exec, s[8:9]
	s_cbranch_execnz .LBB36_3881
; %bb.1833:
	s_or_saveexec_b64 s[6:7], s[6:7]
	v_mov_b32_e32 v8, s10
	s_xor_b64 exec, exec, s[6:7]
	s_cbranch_execnz .LBB36_3884
.LBB36_1834:
	s_or_b64 exec, exec, s[6:7]
	s_and_saveexec_b64 s[6:7], s[4:5]
	s_cbranch_execz .LBB36_1836
.LBB36_1835:
	v_bfe_u32 v8, v13, 8, 3
	v_ffbh_u32_e32 v19, v8
	v_min_u32_e32 v19, 32, v19
	v_lshrrev_b16_e32 v18, 3, v12
	v_subrev_u32_e32 v20, 28, v19
	v_and_b32_e32 v18, 15, v18
	v_lshlrev_b32_e32 v12, v20, v12
	v_sub_u32_e32 v19, 29, v19
	v_and_b32_e32 v12, 7, v12
	v_cmp_eq_u16_e32 vcc, 0, v18
	v_cndmask_b32_e32 v8, v8, v12, vcc
	v_cndmask_b32_e32 v12, v18, v19, vcc
	v_lshlrev_b32_e32 v18, 16, v13
	v_mov_b32_e32 v19, 0x3b800000
	v_lshlrev_b32_e32 v8, 20, v8
	v_and_b32_e32 v18, 0x80000000, v18
	v_lshl_add_u32 v12, v12, 23, v19
	v_or3_b32 v8, v18, v12, v8
.LBB36_1836:
	s_or_b64 exec, exec, s[6:7]
	v_lshrrev_b32_e32 v12, 8, v9
	s_movk_i32 s4, 0x7f
	v_cmp_gt_i16_sdwa s[6:7], v12, s4 src0_sel:BYTE_0 src1_sel:DWORD
	s_mov_b64 s[4:5], 0
                                        ; implicit-def: $sgpr10
	s_and_saveexec_b64 s[8:9], s[6:7]
	s_xor_b64 s[6:7], exec, s[8:9]
	s_cbranch_execnz .LBB36_3885
; %bb.1837:
	s_or_saveexec_b64 s[6:7], s[6:7]
	v_mov_b32_e32 v18, s10
	s_xor_b64 exec, exec, s[6:7]
	s_cbranch_execnz .LBB36_3888
.LBB36_1838:
	s_or_b64 exec, exec, s[6:7]
	s_and_saveexec_b64 s[6:7], s[4:5]
	s_cbranch_execz .LBB36_1840
.LBB36_1839:
	v_bfe_u32 v18, v9, 8, 3
	v_ffbh_u32_e32 v20, v18
	v_min_u32_e32 v20, 32, v20
	v_lshrrev_b16_e32 v19, 3, v12
	v_subrev_u32_e32 v21, 28, v20
	v_and_b32_e32 v19, 15, v19
	v_lshlrev_b32_e32 v12, v21, v12
	v_sub_u32_e32 v20, 29, v20
	v_and_b32_e32 v12, 7, v12
	v_cmp_eq_u16_e32 vcc, 0, v19
	v_cndmask_b32_e32 v12, v18, v12, vcc
	v_cndmask_b32_e32 v18, v19, v20, vcc
	v_lshlrev_b32_e32 v19, 16, v9
	v_mov_b32_e32 v20, 0x3b800000
	v_lshlrev_b32_e32 v12, 20, v12
	v_and_b32_e32 v19, 0x80000000, v19
	v_lshl_add_u32 v18, v18, 23, v20
	v_or3_b32 v18, v19, v18, v12
.LBB36_1840:
	s_or_b64 exec, exec, s[6:7]
	s_nop 0
	v_mfma_f32_16x16x4f32 a[0:3], v8, v18, a[0:3]
	s_movk_i32 s4, 0xff
	v_and_b32_sdwa v12, v13, s4 dst_sel:DWORD dst_unused:UNUSED_PAD src0_sel:WORD_1 src1_sel:DWORD
	s_movk_i32 s4, 0x7f
	v_cmp_lt_i16_e32 vcc, s4, v12
	s_mov_b64 s[4:5], 0
                                        ; implicit-def: $sgpr10
	s_and_saveexec_b64 s[6:7], vcc
	s_xor_b64 s[6:7], exec, s[6:7]
	s_cbranch_execnz .LBB36_3889
; %bb.1841:
	s_or_saveexec_b64 s[6:7], s[6:7]
	v_mov_b32_e32 v8, s10
	s_xor_b64 exec, exec, s[6:7]
	s_cbranch_execnz .LBB36_3892
.LBB36_1842:
	s_or_b64 exec, exec, s[6:7]
	s_and_saveexec_b64 s[6:7], s[4:5]
	s_cbranch_execz .LBB36_1844
.LBB36_1843:
	v_bfe_u32 v8, v13, 16, 3
	v_ffbh_u32_e32 v19, v8
	v_min_u32_e32 v19, 32, v19
	v_lshrrev_b32_e32 v12, 19, v13
	v_subrev_u32_e32 v20, 28, v19
	v_and_b32_e32 v12, 15, v12
	v_lshlrev_b32_sdwa v20, v20, v13 dst_sel:DWORD dst_unused:UNUSED_PAD src0_sel:DWORD src1_sel:WORD_1
	v_bfe_u32 v18, v13, 19, 4
	v_sub_u32_e32 v19, 29, v19
	v_and_b32_e32 v20, 7, v20
	v_cmp_eq_u16_e32 vcc, 0, v12
	v_cndmask_b32_e32 v8, v8, v20, vcc
	v_cndmask_b32_e32 v12, v18, v19, vcc
	v_lshlrev_b32_e32 v18, 8, v13
	v_mov_b32_e32 v19, 0x3b800000
	v_lshlrev_b32_e32 v8, 20, v8
	v_and_b32_e32 v18, 0x80000000, v18
	v_lshl_add_u32 v12, v12, 23, v19
	v_or3_b32 v8, v18, v12, v8
.LBB36_1844:
	s_or_b64 exec, exec, s[6:7]
	s_movk_i32 s4, 0xff
	v_and_b32_sdwa v12, v9, s4 dst_sel:DWORD dst_unused:UNUSED_PAD src0_sel:WORD_1 src1_sel:DWORD
	s_movk_i32 s4, 0x7f
	v_cmp_lt_i16_e32 vcc, s4, v12
	s_mov_b64 s[4:5], 0
                                        ; implicit-def: $sgpr10
	s_and_saveexec_b64 s[6:7], vcc
	s_xor_b64 s[6:7], exec, s[6:7]
	s_cbranch_execnz .LBB36_3893
; %bb.1845:
	s_or_saveexec_b64 s[6:7], s[6:7]
	v_mov_b32_e32 v18, s10
	s_xor_b64 exec, exec, s[6:7]
	s_cbranch_execnz .LBB36_3896
.LBB36_1846:
	s_or_b64 exec, exec, s[6:7]
	s_and_saveexec_b64 s[6:7], s[4:5]
	s_cbranch_execz .LBB36_1848
.LBB36_1847:
	v_bfe_u32 v12, v9, 16, 3
	v_ffbh_u32_e32 v20, v12
	v_min_u32_e32 v20, 32, v20
	v_lshrrev_b32_e32 v18, 19, v9
	v_subrev_u32_e32 v21, 28, v20
	v_and_b32_e32 v18, 15, v18
	v_lshlrev_b32_sdwa v21, v21, v9 dst_sel:DWORD dst_unused:UNUSED_PAD src0_sel:DWORD src1_sel:WORD_1
	v_bfe_u32 v19, v9, 19, 4
	v_sub_u32_e32 v20, 29, v20
	v_and_b32_e32 v21, 7, v21
	v_cmp_eq_u16_e32 vcc, 0, v18
	v_cndmask_b32_e32 v12, v12, v21, vcc
	v_cndmask_b32_e32 v18, v19, v20, vcc
	v_lshlrev_b32_e32 v19, 8, v9
	v_mov_b32_e32 v20, 0x3b800000
	v_lshlrev_b32_e32 v12, 20, v12
	v_and_b32_e32 v19, 0x80000000, v19
	v_lshl_add_u32 v18, v18, 23, v20
	v_or3_b32 v18, v19, v18, v12
.LBB36_1848:
	s_or_b64 exec, exec, s[6:7]
	s_nop 0
	v_mfma_f32_16x16x4f32 a[0:3], v8, v18, a[0:3]
	s_movk_i32 s4, 0x7f
	v_cmp_gt_i16_sdwa s[6:7], v13, s4 src0_sel:BYTE_3 src1_sel:DWORD
	s_mov_b64 s[4:5], 0
                                        ; implicit-def: $sgpr10
	s_and_saveexec_b64 s[8:9], s[6:7]
	s_xor_b64 s[6:7], exec, s[8:9]
	s_cbranch_execnz .LBB36_3897
; %bb.1849:
	s_or_saveexec_b64 s[6:7], s[6:7]
	v_mov_b32_e32 v8, s10
	s_xor_b64 exec, exec, s[6:7]
	s_cbranch_execnz .LBB36_3900
.LBB36_1850:
	s_or_b64 exec, exec, s[6:7]
	s_and_saveexec_b64 s[6:7], s[4:5]
	s_cbranch_execz .LBB36_1852
.LBB36_1851:
	v_bfe_u32 v8, v13, 24, 3
	v_ffbh_u32_e32 v20, v8
	v_min_u32_e32 v20, 32, v20
	v_lshrrev_b32_e32 v18, 27, v13
	v_subrev_u32_e32 v21, 28, v20
	v_and_b32_e32 v12, 0x80000000, v13
	v_and_b32_e32 v18, 15, v18
	v_bfe_u32 v19, v13, 27, 4
	v_lshlrev_b32_sdwa v13, v21, v13 dst_sel:DWORD dst_unused:UNUSED_PAD src0_sel:DWORD src1_sel:BYTE_3
	v_sub_u32_e32 v20, 29, v20
	v_and_b32_e32 v13, 7, v13
	v_cmp_eq_u16_e32 vcc, 0, v18
	v_cndmask_b32_e32 v8, v8, v13, vcc
	v_cndmask_b32_e32 v13, v19, v20, vcc
	v_mov_b32_e32 v18, 0x3b800000
	v_lshlrev_b32_e32 v8, 20, v8
	v_lshl_add_u32 v13, v13, 23, v18
	v_or3_b32 v8, v12, v13, v8
.LBB36_1852:
	s_or_b64 exec, exec, s[6:7]
	s_movk_i32 s4, 0x7f
	v_cmp_gt_i16_sdwa s[6:7], v9, s4 src0_sel:BYTE_3 src1_sel:DWORD
	s_mov_b64 s[4:5], 0
                                        ; implicit-def: $sgpr10
	s_and_saveexec_b64 s[8:9], s[6:7]
	s_xor_b64 s[6:7], exec, s[8:9]
	s_cbranch_execnz .LBB36_3901
; %bb.1853:
	s_or_saveexec_b64 s[6:7], s[6:7]
	v_mov_b32_e32 v12, s10
	s_xor_b64 exec, exec, s[6:7]
	s_cbranch_execnz .LBB36_3904
.LBB36_1854:
	s_or_b64 exec, exec, s[6:7]
	s_and_saveexec_b64 s[6:7], s[4:5]
	s_cbranch_execz .LBB36_1856
.LBB36_1855:
	v_bfe_u32 v12, v9, 24, 3
	v_ffbh_u32_e32 v20, v12
	v_min_u32_e32 v20, 32, v20
	v_lshrrev_b32_e32 v18, 27, v9
	v_subrev_u32_e32 v21, 28, v20
	v_and_b32_e32 v13, 0x80000000, v9
	v_and_b32_e32 v18, 15, v18
	v_bfe_u32 v19, v9, 27, 4
	v_lshlrev_b32_sdwa v9, v21, v9 dst_sel:DWORD dst_unused:UNUSED_PAD src0_sel:DWORD src1_sel:BYTE_3
	v_sub_u32_e32 v20, 29, v20
	v_and_b32_e32 v9, 7, v9
	v_cmp_eq_u16_e32 vcc, 0, v18
	v_cndmask_b32_e32 v9, v12, v9, vcc
	v_cndmask_b32_e32 v12, v19, v20, vcc
	v_mov_b32_e32 v18, 0x3b800000
	v_lshlrev_b32_e32 v9, 20, v9
	v_lshl_add_u32 v12, v12, 23, v18
	v_or3_b32 v12, v13, v12, v9
.LBB36_1856:
	s_or_b64 exec, exec, s[6:7]
	s_nop 0
	v_mfma_f32_16x16x4f32 a[0:3], v8, v12, a[0:3]
	s_movk_i32 s4, 0x7f
	v_cmp_gt_i16_sdwa s[6:7], v14, s4 src0_sel:BYTE_0 src1_sel:DWORD
	s_mov_b64 s[4:5], 0
                                        ; implicit-def: $sgpr10
	s_and_saveexec_b64 s[8:9], s[6:7]
	s_xor_b64 s[6:7], exec, s[8:9]
	s_cbranch_execnz .LBB36_3905
; %bb.1857:
	s_or_saveexec_b64 s[6:7], s[6:7]
	v_mov_b32_e32 v8, s10
	s_xor_b64 exec, exec, s[6:7]
	s_cbranch_execnz .LBB36_3908
.LBB36_1858:
	s_or_b64 exec, exec, s[6:7]
	s_and_saveexec_b64 s[6:7], s[4:5]
	s_cbranch_execz .LBB36_1860
.LBB36_1859:
	v_and_b32_e32 v8, 7, v14
	v_ffbh_u32_e32 v12, v8
	v_min_u32_e32 v12, 32, v12
	v_lshrrev_b16_e32 v9, 3, v14
	v_subrev_u32_e32 v13, 28, v12
	v_and_b32_e32 v9, 15, v9
	v_lshlrev_b32_e32 v13, v13, v14
	v_sub_u32_e32 v12, 29, v12
	v_and_b32_e32 v13, 7, v13
	v_cmp_eq_u16_e32 vcc, 0, v9
	v_cndmask_b32_e32 v8, v8, v13, vcc
	v_cndmask_b32_e32 v9, v9, v12, vcc
	v_lshlrev_b32_e32 v12, 24, v14
	v_mov_b32_e32 v13, 0x3b800000
	v_lshlrev_b32_e32 v8, 20, v8
	v_and_b32_e32 v12, 0x80000000, v12
	v_lshl_add_u32 v9, v9, 23, v13
	v_or3_b32 v8, v12, v9, v8
.LBB36_1860:
	s_or_b64 exec, exec, s[6:7]
	s_movk_i32 s4, 0x7f
	v_cmp_gt_i16_sdwa s[6:7], v10, s4 src0_sel:BYTE_0 src1_sel:DWORD
	s_mov_b64 s[4:5], 0
                                        ; implicit-def: $sgpr10
	s_and_saveexec_b64 s[8:9], s[6:7]
	s_xor_b64 s[6:7], exec, s[8:9]
	s_cbranch_execnz .LBB36_3909
; %bb.1861:
	s_or_saveexec_b64 s[6:7], s[6:7]
	v_mov_b32_e32 v9, s10
	s_xor_b64 exec, exec, s[6:7]
	s_cbranch_execnz .LBB36_3912
.LBB36_1862:
	s_or_b64 exec, exec, s[6:7]
	s_and_saveexec_b64 s[6:7], s[4:5]
	s_cbranch_execz .LBB36_1864
.LBB36_1863:
	v_and_b32_e32 v9, 7, v10
	v_ffbh_u32_e32 v13, v9
	v_min_u32_e32 v13, 32, v13
	v_lshrrev_b16_e32 v12, 3, v10
	v_subrev_u32_e32 v18, 28, v13
	v_and_b32_e32 v12, 15, v12
	v_lshlrev_b32_e32 v18, v18, v10
	v_sub_u32_e32 v13, 29, v13
	v_and_b32_e32 v18, 7, v18
	v_cmp_eq_u16_e32 vcc, 0, v12
	v_cndmask_b32_e32 v9, v9, v18, vcc
	v_cndmask_b32_e32 v12, v12, v13, vcc
	v_lshlrev_b32_e32 v13, 24, v10
	v_mov_b32_e32 v18, 0x3b800000
	v_lshlrev_b32_e32 v9, 20, v9
	v_and_b32_e32 v13, 0x80000000, v13
	v_lshl_add_u32 v12, v12, 23, v18
	v_or3_b32 v9, v13, v12, v9
.LBB36_1864:
	s_or_b64 exec, exec, s[6:7]
	s_nop 0
	v_mfma_f32_16x16x4f32 a[0:3], v8, v9, a[0:3]
	v_lshrrev_b32_e32 v9, 8, v14
	s_movk_i32 s4, 0x7f
	v_cmp_gt_i16_sdwa s[6:7], v9, s4 src0_sel:BYTE_0 src1_sel:DWORD
	s_mov_b64 s[4:5], 0
                                        ; implicit-def: $sgpr10
	s_and_saveexec_b64 s[8:9], s[6:7]
	s_xor_b64 s[6:7], exec, s[8:9]
	s_cbranch_execnz .LBB36_3913
; %bb.1865:
	s_or_saveexec_b64 s[6:7], s[6:7]
	v_mov_b32_e32 v8, s10
	s_xor_b64 exec, exec, s[6:7]
	s_cbranch_execnz .LBB36_3916
.LBB36_1866:
	s_or_b64 exec, exec, s[6:7]
	s_and_saveexec_b64 s[6:7], s[4:5]
	s_cbranch_execz .LBB36_1868
.LBB36_1867:
	v_bfe_u32 v8, v14, 8, 3
	v_ffbh_u32_e32 v13, v8
	v_min_u32_e32 v13, 32, v13
	v_lshrrev_b16_e32 v12, 3, v9
	v_subrev_u32_e32 v18, 28, v13
	v_and_b32_e32 v12, 15, v12
	v_lshlrev_b32_e32 v9, v18, v9
	v_sub_u32_e32 v13, 29, v13
	v_and_b32_e32 v9, 7, v9
	v_cmp_eq_u16_e32 vcc, 0, v12
	v_cndmask_b32_e32 v8, v8, v9, vcc
	v_cndmask_b32_e32 v9, v12, v13, vcc
	v_lshlrev_b32_e32 v12, 16, v14
	v_mov_b32_e32 v13, 0x3b800000
	v_lshlrev_b32_e32 v8, 20, v8
	v_and_b32_e32 v12, 0x80000000, v12
	v_lshl_add_u32 v9, v9, 23, v13
	v_or3_b32 v8, v12, v9, v8
.LBB36_1868:
	s_or_b64 exec, exec, s[6:7]
	v_lshrrev_b32_e32 v9, 8, v10
	s_movk_i32 s4, 0x7f
	v_cmp_gt_i16_sdwa s[6:7], v9, s4 src0_sel:BYTE_0 src1_sel:DWORD
	s_mov_b64 s[4:5], 0
                                        ; implicit-def: $sgpr10
	s_and_saveexec_b64 s[8:9], s[6:7]
	s_xor_b64 s[6:7], exec, s[8:9]
	s_cbranch_execnz .LBB36_3917
; %bb.1869:
	s_or_saveexec_b64 s[6:7], s[6:7]
	v_mov_b32_e32 v12, s10
	s_xor_b64 exec, exec, s[6:7]
	s_cbranch_execnz .LBB36_3920
.LBB36_1870:
	s_or_b64 exec, exec, s[6:7]
	s_and_saveexec_b64 s[6:7], s[4:5]
	s_cbranch_execz .LBB36_1872
.LBB36_1871:
	v_bfe_u32 v12, v10, 8, 3
	v_ffbh_u32_e32 v18, v12
	v_min_u32_e32 v18, 32, v18
	v_lshrrev_b16_e32 v13, 3, v9
	v_subrev_u32_e32 v19, 28, v18
	v_and_b32_e32 v13, 15, v13
	v_lshlrev_b32_e32 v9, v19, v9
	v_sub_u32_e32 v18, 29, v18
	v_and_b32_e32 v9, 7, v9
	v_cmp_eq_u16_e32 vcc, 0, v13
	v_cndmask_b32_e32 v9, v12, v9, vcc
	v_cndmask_b32_e32 v12, v13, v18, vcc
	v_lshlrev_b32_e32 v13, 16, v10
	v_mov_b32_e32 v18, 0x3b800000
	v_lshlrev_b32_e32 v9, 20, v9
	v_and_b32_e32 v13, 0x80000000, v13
	v_lshl_add_u32 v12, v12, 23, v18
	v_or3_b32 v12, v13, v12, v9
.LBB36_1872:
	s_or_b64 exec, exec, s[6:7]
	s_nop 0
	v_mfma_f32_16x16x4f32 a[0:3], v8, v12, a[0:3]
	s_movk_i32 s4, 0xff
	v_and_b32_sdwa v9, v14, s4 dst_sel:DWORD dst_unused:UNUSED_PAD src0_sel:WORD_1 src1_sel:DWORD
	s_movk_i32 s4, 0x7f
	v_cmp_lt_i16_e32 vcc, s4, v9
	s_mov_b64 s[4:5], 0
                                        ; implicit-def: $sgpr10
	s_and_saveexec_b64 s[6:7], vcc
	s_xor_b64 s[6:7], exec, s[6:7]
	s_cbranch_execnz .LBB36_3921
; %bb.1873:
	s_or_saveexec_b64 s[6:7], s[6:7]
	v_mov_b32_e32 v8, s10
	s_xor_b64 exec, exec, s[6:7]
	s_cbranch_execnz .LBB36_3924
.LBB36_1874:
	s_or_b64 exec, exec, s[6:7]
	s_and_saveexec_b64 s[6:7], s[4:5]
	s_cbranch_execz .LBB36_1876
.LBB36_1875:
	v_bfe_u32 v8, v14, 16, 3
	v_ffbh_u32_e32 v13, v8
	v_min_u32_e32 v13, 32, v13
	v_lshrrev_b32_e32 v9, 19, v14
	v_subrev_u32_e32 v18, 28, v13
	v_and_b32_e32 v9, 15, v9
	v_lshlrev_b32_sdwa v18, v18, v14 dst_sel:DWORD dst_unused:UNUSED_PAD src0_sel:DWORD src1_sel:WORD_1
	v_bfe_u32 v12, v14, 19, 4
	v_sub_u32_e32 v13, 29, v13
	v_and_b32_e32 v18, 7, v18
	v_cmp_eq_u16_e32 vcc, 0, v9
	v_cndmask_b32_e32 v8, v8, v18, vcc
	v_cndmask_b32_e32 v9, v12, v13, vcc
	v_lshlrev_b32_e32 v12, 8, v14
	v_mov_b32_e32 v13, 0x3b800000
	v_lshlrev_b32_e32 v8, 20, v8
	v_and_b32_e32 v12, 0x80000000, v12
	v_lshl_add_u32 v9, v9, 23, v13
	v_or3_b32 v8, v12, v9, v8
.LBB36_1876:
	s_or_b64 exec, exec, s[6:7]
	s_movk_i32 s4, 0xff
	v_and_b32_sdwa v9, v10, s4 dst_sel:DWORD dst_unused:UNUSED_PAD src0_sel:WORD_1 src1_sel:DWORD
	s_movk_i32 s4, 0x7f
	v_cmp_lt_i16_e32 vcc, s4, v9
	s_mov_b64 s[4:5], 0
                                        ; implicit-def: $sgpr10
	s_and_saveexec_b64 s[6:7], vcc
	s_xor_b64 s[6:7], exec, s[6:7]
	s_cbranch_execnz .LBB36_3925
; %bb.1877:
	s_or_saveexec_b64 s[6:7], s[6:7]
	v_mov_b32_e32 v12, s10
	s_xor_b64 exec, exec, s[6:7]
	s_cbranch_execnz .LBB36_3928
.LBB36_1878:
	s_or_b64 exec, exec, s[6:7]
	s_and_saveexec_b64 s[6:7], s[4:5]
	s_cbranch_execz .LBB36_1880
.LBB36_1879:
	v_bfe_u32 v9, v10, 16, 3
	v_ffbh_u32_e32 v18, v9
	v_min_u32_e32 v18, 32, v18
	v_lshrrev_b32_e32 v12, 19, v10
	v_subrev_u32_e32 v19, 28, v18
	v_and_b32_e32 v12, 15, v12
	v_lshlrev_b32_sdwa v19, v19, v10 dst_sel:DWORD dst_unused:UNUSED_PAD src0_sel:DWORD src1_sel:WORD_1
	v_bfe_u32 v13, v10, 19, 4
	v_sub_u32_e32 v18, 29, v18
	v_and_b32_e32 v19, 7, v19
	v_cmp_eq_u16_e32 vcc, 0, v12
	v_cndmask_b32_e32 v9, v9, v19, vcc
	v_cndmask_b32_e32 v12, v13, v18, vcc
	v_lshlrev_b32_e32 v13, 8, v10
	v_mov_b32_e32 v18, 0x3b800000
	v_lshlrev_b32_e32 v9, 20, v9
	v_and_b32_e32 v13, 0x80000000, v13
	v_lshl_add_u32 v12, v12, 23, v18
	v_or3_b32 v12, v13, v12, v9
.LBB36_1880:
	s_or_b64 exec, exec, s[6:7]
	s_nop 0
	v_mfma_f32_16x16x4f32 a[0:3], v8, v12, a[0:3]
	s_movk_i32 s4, 0x7f
	v_cmp_gt_i16_sdwa s[6:7], v14, s4 src0_sel:BYTE_3 src1_sel:DWORD
	s_mov_b64 s[4:5], 0
                                        ; implicit-def: $sgpr10
	s_and_saveexec_b64 s[8:9], s[6:7]
	s_xor_b64 s[6:7], exec, s[8:9]
	s_cbranch_execnz .LBB36_3929
; %bb.1881:
	s_or_saveexec_b64 s[6:7], s[6:7]
	v_mov_b32_e32 v8, s10
	s_xor_b64 exec, exec, s[6:7]
	s_cbranch_execnz .LBB36_3932
.LBB36_1882:
	s_or_b64 exec, exec, s[6:7]
	s_and_saveexec_b64 s[6:7], s[4:5]
	s_cbranch_execz .LBB36_1884
.LBB36_1883:
	v_bfe_u32 v8, v14, 24, 3
	v_ffbh_u32_e32 v18, v8
	v_min_u32_e32 v18, 32, v18
	v_lshrrev_b32_e32 v12, 27, v14
	v_subrev_u32_e32 v19, 28, v18
	v_and_b32_e32 v9, 0x80000000, v14
	v_and_b32_e32 v12, 15, v12
	v_bfe_u32 v13, v14, 27, 4
	v_lshlrev_b32_sdwa v14, v19, v14 dst_sel:DWORD dst_unused:UNUSED_PAD src0_sel:DWORD src1_sel:BYTE_3
	v_sub_u32_e32 v18, 29, v18
	v_and_b32_e32 v14, 7, v14
	v_cmp_eq_u16_e32 vcc, 0, v12
	v_cndmask_b32_e32 v8, v8, v14, vcc
	v_cndmask_b32_e32 v12, v13, v18, vcc
	v_mov_b32_e32 v13, 0x3b800000
	v_lshlrev_b32_e32 v8, 20, v8
	v_lshl_add_u32 v12, v12, 23, v13
	v_or3_b32 v8, v9, v12, v8
.LBB36_1884:
	s_or_b64 exec, exec, s[6:7]
	s_movk_i32 s4, 0x7f
	v_cmp_gt_i16_sdwa s[6:7], v10, s4 src0_sel:BYTE_3 src1_sel:DWORD
	s_mov_b64 s[4:5], 0
                                        ; implicit-def: $sgpr10
	s_and_saveexec_b64 s[8:9], s[6:7]
	s_xor_b64 s[6:7], exec, s[8:9]
	s_cbranch_execnz .LBB36_3933
; %bb.1885:
	s_or_saveexec_b64 s[6:7], s[6:7]
	v_mov_b32_e32 v9, s10
	s_xor_b64 exec, exec, s[6:7]
	s_cbranch_execnz .LBB36_3936
.LBB36_1886:
	s_or_b64 exec, exec, s[6:7]
	s_and_saveexec_b64 s[6:7], s[4:5]
	s_cbranch_execz .LBB36_1888
.LBB36_1887:
	v_bfe_u32 v9, v10, 24, 3
	v_ffbh_u32_e32 v18, v9
	v_min_u32_e32 v18, 32, v18
	v_lshrrev_b32_e32 v13, 27, v10
	v_subrev_u32_e32 v19, 28, v18
	v_and_b32_e32 v12, 0x80000000, v10
	v_and_b32_e32 v13, 15, v13
	v_bfe_u32 v14, v10, 27, 4
	v_lshlrev_b32_sdwa v10, v19, v10 dst_sel:DWORD dst_unused:UNUSED_PAD src0_sel:DWORD src1_sel:BYTE_3
	v_sub_u32_e32 v18, 29, v18
	v_and_b32_e32 v10, 7, v10
	v_cmp_eq_u16_e32 vcc, 0, v13
	v_cndmask_b32_e32 v9, v9, v10, vcc
	v_cndmask_b32_e32 v10, v14, v18, vcc
	v_mov_b32_e32 v13, 0x3b800000
	v_lshlrev_b32_e32 v9, 20, v9
	v_lshl_add_u32 v10, v10, 23, v13
	v_or3_b32 v9, v12, v10, v9
.LBB36_1888:
	s_or_b64 exec, exec, s[6:7]
	s_nop 0
	v_mfma_f32_16x16x4f32 a[0:3], v8, v9, a[0:3]
	s_movk_i32 s4, 0x7f
	v_cmp_gt_i16_sdwa s[6:7], v15, s4 src0_sel:BYTE_0 src1_sel:DWORD
	s_mov_b64 s[4:5], 0
                                        ; implicit-def: $sgpr10
	s_and_saveexec_b64 s[8:9], s[6:7]
	s_xor_b64 s[6:7], exec, s[8:9]
	s_cbranch_execnz .LBB36_3937
; %bb.1889:
	s_or_saveexec_b64 s[6:7], s[6:7]
	v_mov_b32_e32 v8, s10
	s_xor_b64 exec, exec, s[6:7]
	s_cbranch_execnz .LBB36_3940
.LBB36_1890:
	s_or_b64 exec, exec, s[6:7]
	s_and_saveexec_b64 s[6:7], s[4:5]
	s_cbranch_execz .LBB36_1892
.LBB36_1891:
	v_and_b32_e32 v8, 7, v15
	v_ffbh_u32_e32 v10, v8
	v_min_u32_e32 v10, 32, v10
	v_lshrrev_b16_e32 v9, 3, v15
	v_subrev_u32_e32 v12, 28, v10
	v_and_b32_e32 v9, 15, v9
	v_lshlrev_b32_e32 v12, v12, v15
	v_sub_u32_e32 v10, 29, v10
	v_and_b32_e32 v12, 7, v12
	v_cmp_eq_u16_e32 vcc, 0, v9
	v_cndmask_b32_e32 v8, v8, v12, vcc
	v_cndmask_b32_e32 v9, v9, v10, vcc
	v_lshlrev_b32_e32 v10, 24, v15
	v_mov_b32_e32 v12, 0x3b800000
	v_lshlrev_b32_e32 v8, 20, v8
	v_and_b32_e32 v10, 0x80000000, v10
	v_lshl_add_u32 v9, v9, 23, v12
	v_or3_b32 v8, v10, v9, v8
.LBB36_1892:
	s_or_b64 exec, exec, s[6:7]
	s_movk_i32 s4, 0x7f
	v_cmp_gt_i16_sdwa s[6:7], v11, s4 src0_sel:BYTE_0 src1_sel:DWORD
	s_mov_b64 s[4:5], 0
                                        ; implicit-def: $sgpr10
	s_and_saveexec_b64 s[8:9], s[6:7]
	s_xor_b64 s[6:7], exec, s[8:9]
	s_cbranch_execnz .LBB36_3941
; %bb.1893:
	s_or_saveexec_b64 s[6:7], s[6:7]
	v_mov_b32_e32 v9, s10
	s_xor_b64 exec, exec, s[6:7]
	s_cbranch_execnz .LBB36_3944
.LBB36_1894:
	s_or_b64 exec, exec, s[6:7]
	s_and_saveexec_b64 s[6:7], s[4:5]
	s_cbranch_execz .LBB36_1896
.LBB36_1895:
	v_and_b32_e32 v9, 7, v11
	v_ffbh_u32_e32 v12, v9
	v_min_u32_e32 v12, 32, v12
	v_lshrrev_b16_e32 v10, 3, v11
	v_subrev_u32_e32 v13, 28, v12
	v_and_b32_e32 v10, 15, v10
	v_lshlrev_b32_e32 v13, v13, v11
	v_sub_u32_e32 v12, 29, v12
	v_and_b32_e32 v13, 7, v13
	v_cmp_eq_u16_e32 vcc, 0, v10
	v_cndmask_b32_e32 v9, v9, v13, vcc
	v_cndmask_b32_e32 v10, v10, v12, vcc
	v_lshlrev_b32_e32 v12, 24, v11
	v_mov_b32_e32 v13, 0x3b800000
	v_lshlrev_b32_e32 v9, 20, v9
	v_and_b32_e32 v12, 0x80000000, v12
	v_lshl_add_u32 v10, v10, 23, v13
	v_or3_b32 v9, v12, v10, v9
.LBB36_1896:
	s_or_b64 exec, exec, s[6:7]
	s_nop 0
	v_mfma_f32_16x16x4f32 a[0:3], v8, v9, a[0:3]
	v_lshrrev_b32_e32 v9, 8, v15
	s_movk_i32 s4, 0x7f
	v_cmp_gt_i16_sdwa s[6:7], v9, s4 src0_sel:BYTE_0 src1_sel:DWORD
	s_mov_b64 s[4:5], 0
                                        ; implicit-def: $sgpr10
	s_and_saveexec_b64 s[8:9], s[6:7]
	s_xor_b64 s[6:7], exec, s[8:9]
	s_cbranch_execnz .LBB36_3945
; %bb.1897:
	s_or_saveexec_b64 s[6:7], s[6:7]
	v_mov_b32_e32 v8, s10
	s_xor_b64 exec, exec, s[6:7]
	s_cbranch_execnz .LBB36_3948
.LBB36_1898:
	s_or_b64 exec, exec, s[6:7]
	s_and_saveexec_b64 s[6:7], s[4:5]
	s_cbranch_execz .LBB36_1900
.LBB36_1899:
	v_bfe_u32 v8, v15, 8, 3
	v_ffbh_u32_e32 v12, v8
	v_min_u32_e32 v12, 32, v12
	v_lshrrev_b16_e32 v10, 3, v9
	v_subrev_u32_e32 v13, 28, v12
	v_and_b32_e32 v10, 15, v10
	v_lshlrev_b32_e32 v9, v13, v9
	v_sub_u32_e32 v12, 29, v12
	v_and_b32_e32 v9, 7, v9
	v_cmp_eq_u16_e32 vcc, 0, v10
	v_cndmask_b32_e32 v8, v8, v9, vcc
	v_cndmask_b32_e32 v9, v10, v12, vcc
	v_lshlrev_b32_e32 v10, 16, v15
	v_mov_b32_e32 v12, 0x3b800000
	v_lshlrev_b32_e32 v8, 20, v8
	v_and_b32_e32 v10, 0x80000000, v10
	v_lshl_add_u32 v9, v9, 23, v12
	v_or3_b32 v8, v10, v9, v8
.LBB36_1900:
	s_or_b64 exec, exec, s[6:7]
	v_lshrrev_b32_e32 v9, 8, v11
	s_movk_i32 s4, 0x7f
	v_cmp_gt_i16_sdwa s[6:7], v9, s4 src0_sel:BYTE_0 src1_sel:DWORD
	s_mov_b64 s[4:5], 0
                                        ; implicit-def: $sgpr10
	s_and_saveexec_b64 s[8:9], s[6:7]
	s_xor_b64 s[6:7], exec, s[8:9]
	s_cbranch_execnz .LBB36_3949
; %bb.1901:
	s_or_saveexec_b64 s[6:7], s[6:7]
	v_mov_b32_e32 v10, s10
	s_xor_b64 exec, exec, s[6:7]
	s_cbranch_execnz .LBB36_3952
.LBB36_1902:
	s_or_b64 exec, exec, s[6:7]
	s_and_saveexec_b64 s[6:7], s[4:5]
	s_cbranch_execz .LBB36_1904
.LBB36_1903:
	v_bfe_u32 v10, v11, 8, 3
	v_ffbh_u32_e32 v13, v10
	v_min_u32_e32 v13, 32, v13
	v_lshrrev_b16_e32 v12, 3, v9
	v_subrev_u32_e32 v14, 28, v13
	v_and_b32_e32 v12, 15, v12
	v_lshlrev_b32_e32 v9, v14, v9
	v_sub_u32_e32 v13, 29, v13
	v_and_b32_e32 v9, 7, v9
	v_cmp_eq_u16_e32 vcc, 0, v12
	v_cndmask_b32_e32 v9, v10, v9, vcc
	v_cndmask_b32_e32 v10, v12, v13, vcc
	v_lshlrev_b32_e32 v12, 16, v11
	v_mov_b32_e32 v13, 0x3b800000
	v_lshlrev_b32_e32 v9, 20, v9
	v_and_b32_e32 v12, 0x80000000, v12
	v_lshl_add_u32 v10, v10, 23, v13
	v_or3_b32 v10, v12, v10, v9
.LBB36_1904:
	s_or_b64 exec, exec, s[6:7]
	s_nop 0
	v_mfma_f32_16x16x4f32 a[0:3], v8, v10, a[0:3]
	s_movk_i32 s4, 0xff
	v_and_b32_sdwa v9, v15, s4 dst_sel:DWORD dst_unused:UNUSED_PAD src0_sel:WORD_1 src1_sel:DWORD
	s_movk_i32 s4, 0x7f
	v_cmp_lt_i16_e32 vcc, s4, v9
	s_mov_b64 s[4:5], 0
                                        ; implicit-def: $sgpr10
	s_and_saveexec_b64 s[6:7], vcc
	s_xor_b64 s[6:7], exec, s[6:7]
	s_cbranch_execnz .LBB36_3953
; %bb.1905:
	s_or_saveexec_b64 s[6:7], s[6:7]
	v_mov_b32_e32 v8, s10
	s_xor_b64 exec, exec, s[6:7]
	s_cbranch_execnz .LBB36_3956
.LBB36_1906:
	s_or_b64 exec, exec, s[6:7]
	s_and_saveexec_b64 s[6:7], s[4:5]
	s_cbranch_execz .LBB36_1908
.LBB36_1907:
	v_bfe_u32 v8, v15, 16, 3
	v_ffbh_u32_e32 v12, v8
	v_min_u32_e32 v12, 32, v12
	v_lshrrev_b32_e32 v9, 19, v15
	v_subrev_u32_e32 v13, 28, v12
	v_and_b32_e32 v9, 15, v9
	v_lshlrev_b32_sdwa v13, v13, v15 dst_sel:DWORD dst_unused:UNUSED_PAD src0_sel:DWORD src1_sel:WORD_1
	v_bfe_u32 v10, v15, 19, 4
	v_sub_u32_e32 v12, 29, v12
	v_and_b32_e32 v13, 7, v13
	v_cmp_eq_u16_e32 vcc, 0, v9
	v_cndmask_b32_e32 v8, v8, v13, vcc
	v_cndmask_b32_e32 v9, v10, v12, vcc
	v_lshlrev_b32_e32 v10, 8, v15
	v_mov_b32_e32 v12, 0x3b800000
	v_lshlrev_b32_e32 v8, 20, v8
	v_and_b32_e32 v10, 0x80000000, v10
	v_lshl_add_u32 v9, v9, 23, v12
	v_or3_b32 v8, v10, v9, v8
.LBB36_1908:
	s_or_b64 exec, exec, s[6:7]
	s_movk_i32 s4, 0xff
	v_and_b32_sdwa v9, v11, s4 dst_sel:DWORD dst_unused:UNUSED_PAD src0_sel:WORD_1 src1_sel:DWORD
	s_movk_i32 s4, 0x7f
	v_cmp_lt_i16_e32 vcc, s4, v9
	s_mov_b64 s[4:5], 0
                                        ; implicit-def: $sgpr10
	s_and_saveexec_b64 s[6:7], vcc
	s_xor_b64 s[6:7], exec, s[6:7]
	s_cbranch_execnz .LBB36_3957
; %bb.1909:
	s_or_saveexec_b64 s[6:7], s[6:7]
	v_mov_b32_e32 v10, s10
	s_xor_b64 exec, exec, s[6:7]
	s_cbranch_execnz .LBB36_3960
.LBB36_1910:
	s_or_b64 exec, exec, s[6:7]
	s_and_saveexec_b64 s[6:7], s[4:5]
	s_cbranch_execz .LBB36_1912
.LBB36_1911:
	v_bfe_u32 v9, v11, 16, 3
	v_ffbh_u32_e32 v13, v9
	v_min_u32_e32 v13, 32, v13
	v_lshrrev_b32_e32 v10, 19, v11
	v_subrev_u32_e32 v14, 28, v13
	v_and_b32_e32 v10, 15, v10
	v_lshlrev_b32_sdwa v14, v14, v11 dst_sel:DWORD dst_unused:UNUSED_PAD src0_sel:DWORD src1_sel:WORD_1
	v_bfe_u32 v12, v11, 19, 4
	v_sub_u32_e32 v13, 29, v13
	v_and_b32_e32 v14, 7, v14
	v_cmp_eq_u16_e32 vcc, 0, v10
	v_cndmask_b32_e32 v9, v9, v14, vcc
	v_cndmask_b32_e32 v10, v12, v13, vcc
	v_lshlrev_b32_e32 v12, 8, v11
	v_mov_b32_e32 v13, 0x3b800000
	v_lshlrev_b32_e32 v9, 20, v9
	v_and_b32_e32 v12, 0x80000000, v12
	v_lshl_add_u32 v10, v10, 23, v13
	v_or3_b32 v10, v12, v10, v9
.LBB36_1912:
	s_or_b64 exec, exec, s[6:7]
	s_nop 0
	v_mfma_f32_16x16x4f32 a[0:3], v8, v10, a[0:3]
	s_movk_i32 s4, 0x7f
	v_cmp_gt_i16_sdwa s[6:7], v15, s4 src0_sel:BYTE_3 src1_sel:DWORD
	s_mov_b64 s[4:5], 0
                                        ; implicit-def: $sgpr10
	s_and_saveexec_b64 s[8:9], s[6:7]
	s_xor_b64 s[6:7], exec, s[8:9]
	s_cbranch_execnz .LBB36_3961
; %bb.1913:
	s_or_saveexec_b64 s[6:7], s[6:7]
	v_mov_b32_e32 v8, s10
	s_xor_b64 exec, exec, s[6:7]
	s_cbranch_execnz .LBB36_3964
.LBB36_1914:
	s_or_b64 exec, exec, s[6:7]
	s_and_saveexec_b64 s[6:7], s[4:5]
	s_cbranch_execz .LBB36_1916
.LBB36_1915:
	v_bfe_u32 v8, v15, 24, 3
	v_ffbh_u32_e32 v13, v8
	v_min_u32_e32 v13, 32, v13
	v_lshrrev_b32_e32 v10, 27, v15
	v_subrev_u32_e32 v14, 28, v13
	v_and_b32_e32 v10, 15, v10
	v_lshlrev_b32_sdwa v14, v14, v15 dst_sel:DWORD dst_unused:UNUSED_PAD src0_sel:DWORD src1_sel:BYTE_3
	v_bfe_u32 v12, v15, 27, 4
	v_sub_u32_e32 v13, 29, v13
	v_and_b32_e32 v14, 7, v14
	v_cmp_eq_u16_e32 vcc, 0, v10
	v_cndmask_b32_e32 v8, v8, v14, vcc
	v_cndmask_b32_e32 v10, v12, v13, vcc
	v_mov_b32_e32 v12, 0x3b800000
	v_and_b32_e32 v9, 0x80000000, v15
	v_lshlrev_b32_e32 v8, 20, v8
	v_lshl_add_u32 v10, v10, 23, v12
	v_or3_b32 v8, v9, v10, v8
.LBB36_1916:
	s_or_b64 exec, exec, s[6:7]
	s_movk_i32 s4, 0x7f
	v_cmp_gt_i16_sdwa s[6:7], v11, s4 src0_sel:BYTE_3 src1_sel:DWORD
	s_mov_b64 s[4:5], 0
                                        ; implicit-def: $sgpr10
	s_and_saveexec_b64 s[8:9], s[6:7]
	s_xor_b64 s[6:7], exec, s[8:9]
	s_cbranch_execnz .LBB36_3965
; %bb.1917:
	s_or_saveexec_b64 s[6:7], s[6:7]
	v_mov_b32_e32 v9, s10
	s_xor_b64 exec, exec, s[6:7]
	s_cbranch_execnz .LBB36_3968
.LBB36_1918:
	s_or_b64 exec, exec, s[6:7]
	s_and_saveexec_b64 s[6:7], s[4:5]
	s_cbranch_execz .LBB36_1920
.LBB36_1919:
	v_bfe_u32 v9, v11, 24, 3
	v_ffbh_u32_e32 v14, v9
	v_min_u32_e32 v14, 32, v14
	v_lshrrev_b32_e32 v12, 27, v11
	v_subrev_u32_e32 v15, 28, v14
	v_and_b32_e32 v10, 0x80000000, v11
	v_and_b32_e32 v12, 15, v12
	v_bfe_u32 v13, v11, 27, 4
	v_lshlrev_b32_sdwa v11, v15, v11 dst_sel:DWORD dst_unused:UNUSED_PAD src0_sel:DWORD src1_sel:BYTE_3
	v_sub_u32_e32 v14, 29, v14
	v_and_b32_e32 v11, 7, v11
	v_cmp_eq_u16_e32 vcc, 0, v12
	v_cndmask_b32_e32 v9, v9, v11, vcc
	v_cndmask_b32_e32 v11, v13, v14, vcc
	v_mov_b32_e32 v12, 0x3b800000
	v_lshlrev_b32_e32 v9, 20, v9
	v_lshl_add_u32 v11, v11, 23, v12
	v_or3_b32 v9, v10, v11, v9
.LBB36_1920:
	s_or_b64 exec, exec, s[6:7]
	s_nop 0
	v_mfma_f32_16x16x4f32 a[0:3], v8, v9, a[0:3]
	s_movk_i32 s4, 0x7f
	v_cmp_gt_i16_sdwa s[6:7], v4, s4 src0_sel:BYTE_0 src1_sel:DWORD
	s_mov_b64 s[4:5], 0
                                        ; implicit-def: $sgpr10
	s_and_saveexec_b64 s[8:9], s[6:7]
	s_xor_b64 s[6:7], exec, s[8:9]
	s_cbranch_execnz .LBB36_3969
; %bb.1921:
	s_or_saveexec_b64 s[6:7], s[6:7]
	v_mov_b32_e32 v8, s10
	s_xor_b64 exec, exec, s[6:7]
	s_cbranch_execnz .LBB36_3972
.LBB36_1922:
	s_or_b64 exec, exec, s[6:7]
	s_and_saveexec_b64 s[6:7], s[4:5]
	s_cbranch_execz .LBB36_1924
.LBB36_1923:
	v_and_b32_e32 v8, 7, v4
	v_ffbh_u32_e32 v10, v8
	v_min_u32_e32 v10, 32, v10
	v_lshrrev_b16_e32 v9, 3, v4
	v_subrev_u32_e32 v11, 28, v10
	v_and_b32_e32 v9, 15, v9
	v_lshlrev_b32_e32 v11, v11, v4
	v_sub_u32_e32 v10, 29, v10
	v_and_b32_e32 v11, 7, v11
	v_cmp_eq_u16_e32 vcc, 0, v9
	v_cndmask_b32_e32 v8, v8, v11, vcc
	v_cndmask_b32_e32 v9, v9, v10, vcc
	v_lshlrev_b32_e32 v10, 24, v4
	v_mov_b32_e32 v11, 0x3b800000
	v_lshlrev_b32_e32 v8, 20, v8
	v_and_b32_e32 v10, 0x80000000, v10
	v_lshl_add_u32 v9, v9, 23, v11
	v_or3_b32 v8, v10, v9, v8
.LBB36_1924:
	s_or_b64 exec, exec, s[6:7]
	s_movk_i32 s4, 0x7f
	v_cmp_gt_i16_sdwa s[6:7], v0, s4 src0_sel:BYTE_0 src1_sel:DWORD
	s_mov_b64 s[4:5], 0
                                        ; implicit-def: $sgpr10
	s_and_saveexec_b64 s[8:9], s[6:7]
	s_xor_b64 s[6:7], exec, s[8:9]
	s_cbranch_execnz .LBB36_3973
; %bb.1925:
	s_or_saveexec_b64 s[6:7], s[6:7]
	v_mov_b32_e32 v9, s10
	s_xor_b64 exec, exec, s[6:7]
	s_cbranch_execnz .LBB36_3976
.LBB36_1926:
	s_or_b64 exec, exec, s[6:7]
	s_and_saveexec_b64 s[6:7], s[4:5]
	s_cbranch_execz .LBB36_1928
.LBB36_1927:
	v_and_b32_e32 v9, 7, v0
	v_ffbh_u32_e32 v11, v9
	v_min_u32_e32 v11, 32, v11
	v_lshrrev_b16_e32 v10, 3, v0
	v_subrev_u32_e32 v12, 28, v11
	v_and_b32_e32 v10, 15, v10
	v_lshlrev_b32_e32 v12, v12, v0
	v_sub_u32_e32 v11, 29, v11
	v_and_b32_e32 v12, 7, v12
	v_cmp_eq_u16_e32 vcc, 0, v10
	v_cndmask_b32_e32 v9, v9, v12, vcc
	v_cndmask_b32_e32 v10, v10, v11, vcc
	v_lshlrev_b32_e32 v11, 24, v0
	v_mov_b32_e32 v12, 0x3b800000
	v_lshlrev_b32_e32 v9, 20, v9
	v_and_b32_e32 v11, 0x80000000, v11
	v_lshl_add_u32 v10, v10, 23, v12
	v_or3_b32 v9, v11, v10, v9
.LBB36_1928:
	s_or_b64 exec, exec, s[6:7]
	s_nop 0
	v_mfma_f32_16x16x4f32 a[0:3], v8, v9, a[0:3]
	v_lshrrev_b32_e32 v9, 8, v4
	s_movk_i32 s4, 0x7f
	v_cmp_gt_i16_sdwa s[6:7], v9, s4 src0_sel:BYTE_0 src1_sel:DWORD
	s_mov_b64 s[4:5], 0
                                        ; implicit-def: $sgpr10
	s_and_saveexec_b64 s[8:9], s[6:7]
	s_xor_b64 s[6:7], exec, s[8:9]
	s_cbranch_execnz .LBB36_3977
; %bb.1929:
	s_or_saveexec_b64 s[6:7], s[6:7]
	v_mov_b32_e32 v8, s10
	s_xor_b64 exec, exec, s[6:7]
	s_cbranch_execnz .LBB36_3980
.LBB36_1930:
	s_or_b64 exec, exec, s[6:7]
	s_and_saveexec_b64 s[6:7], s[4:5]
	s_cbranch_execz .LBB36_1932
.LBB36_1931:
	v_bfe_u32 v8, v4, 8, 3
	v_ffbh_u32_e32 v11, v8
	v_min_u32_e32 v11, 32, v11
	v_lshrrev_b16_e32 v10, 3, v9
	v_subrev_u32_e32 v12, 28, v11
	v_and_b32_e32 v10, 15, v10
	v_lshlrev_b32_e32 v9, v12, v9
	v_sub_u32_e32 v11, 29, v11
	v_and_b32_e32 v9, 7, v9
	v_cmp_eq_u16_e32 vcc, 0, v10
	v_cndmask_b32_e32 v8, v8, v9, vcc
	v_cndmask_b32_e32 v9, v10, v11, vcc
	v_lshlrev_b32_e32 v10, 16, v4
	v_mov_b32_e32 v11, 0x3b800000
	v_lshlrev_b32_e32 v8, 20, v8
	v_and_b32_e32 v10, 0x80000000, v10
	v_lshl_add_u32 v9, v9, 23, v11
	v_or3_b32 v8, v10, v9, v8
.LBB36_1932:
	s_or_b64 exec, exec, s[6:7]
	v_lshrrev_b32_e32 v9, 8, v0
	s_movk_i32 s4, 0x7f
	v_cmp_gt_i16_sdwa s[6:7], v9, s4 src0_sel:BYTE_0 src1_sel:DWORD
	s_mov_b64 s[4:5], 0
                                        ; implicit-def: $sgpr10
	s_and_saveexec_b64 s[8:9], s[6:7]
	s_xor_b64 s[6:7], exec, s[8:9]
	s_cbranch_execnz .LBB36_3981
; %bb.1933:
	s_or_saveexec_b64 s[6:7], s[6:7]
	v_mov_b32_e32 v10, s10
	s_xor_b64 exec, exec, s[6:7]
	s_cbranch_execnz .LBB36_3984
.LBB36_1934:
	s_or_b64 exec, exec, s[6:7]
	s_and_saveexec_b64 s[6:7], s[4:5]
	s_cbranch_execz .LBB36_1936
.LBB36_1935:
	v_bfe_u32 v10, v0, 8, 3
	v_ffbh_u32_e32 v12, v10
	v_min_u32_e32 v12, 32, v12
	v_lshrrev_b16_e32 v11, 3, v9
	v_subrev_u32_e32 v13, 28, v12
	v_and_b32_e32 v11, 15, v11
	v_lshlrev_b32_e32 v9, v13, v9
	v_sub_u32_e32 v12, 29, v12
	v_and_b32_e32 v9, 7, v9
	v_cmp_eq_u16_e32 vcc, 0, v11
	v_cndmask_b32_e32 v9, v10, v9, vcc
	v_cndmask_b32_e32 v10, v11, v12, vcc
	v_lshlrev_b32_e32 v11, 16, v0
	v_mov_b32_e32 v12, 0x3b800000
	v_lshlrev_b32_e32 v9, 20, v9
	v_and_b32_e32 v11, 0x80000000, v11
	v_lshl_add_u32 v10, v10, 23, v12
	v_or3_b32 v10, v11, v10, v9
.LBB36_1936:
	s_or_b64 exec, exec, s[6:7]
	s_nop 0
	v_mfma_f32_16x16x4f32 a[0:3], v8, v10, a[0:3]
	s_movk_i32 s4, 0xff
	v_and_b32_sdwa v9, v4, s4 dst_sel:DWORD dst_unused:UNUSED_PAD src0_sel:WORD_1 src1_sel:DWORD
	s_movk_i32 s4, 0x7f
	v_cmp_lt_i16_e32 vcc, s4, v9
	s_mov_b64 s[4:5], 0
                                        ; implicit-def: $sgpr10
	s_and_saveexec_b64 s[6:7], vcc
	s_xor_b64 s[6:7], exec, s[6:7]
	s_cbranch_execnz .LBB36_3985
; %bb.1937:
	s_or_saveexec_b64 s[6:7], s[6:7]
	v_mov_b32_e32 v8, s10
	s_xor_b64 exec, exec, s[6:7]
	s_cbranch_execnz .LBB36_3988
.LBB36_1938:
	s_or_b64 exec, exec, s[6:7]
	s_and_saveexec_b64 s[6:7], s[4:5]
	s_cbranch_execz .LBB36_1940
.LBB36_1939:
	v_bfe_u32 v8, v4, 16, 3
	v_ffbh_u32_e32 v11, v8
	v_min_u32_e32 v11, 32, v11
	v_lshrrev_b32_e32 v9, 19, v4
	v_subrev_u32_e32 v12, 28, v11
	v_and_b32_e32 v9, 15, v9
	v_lshlrev_b32_sdwa v12, v12, v4 dst_sel:DWORD dst_unused:UNUSED_PAD src0_sel:DWORD src1_sel:WORD_1
	v_bfe_u32 v10, v4, 19, 4
	v_sub_u32_e32 v11, 29, v11
	v_and_b32_e32 v12, 7, v12
	v_cmp_eq_u16_e32 vcc, 0, v9
	v_cndmask_b32_e32 v8, v8, v12, vcc
	v_cndmask_b32_e32 v9, v10, v11, vcc
	v_lshlrev_b32_e32 v10, 8, v4
	v_mov_b32_e32 v11, 0x3b800000
	v_lshlrev_b32_e32 v8, 20, v8
	v_and_b32_e32 v10, 0x80000000, v10
	v_lshl_add_u32 v9, v9, 23, v11
	v_or3_b32 v8, v10, v9, v8
.LBB36_1940:
	s_or_b64 exec, exec, s[6:7]
	s_movk_i32 s4, 0xff
	v_and_b32_sdwa v9, v0, s4 dst_sel:DWORD dst_unused:UNUSED_PAD src0_sel:WORD_1 src1_sel:DWORD
	s_movk_i32 s4, 0x7f
	v_cmp_lt_i16_e32 vcc, s4, v9
	s_mov_b64 s[4:5], 0
                                        ; implicit-def: $sgpr10
	s_and_saveexec_b64 s[6:7], vcc
	s_xor_b64 s[6:7], exec, s[6:7]
	s_cbranch_execnz .LBB36_3989
; %bb.1941:
	s_or_saveexec_b64 s[6:7], s[6:7]
	v_mov_b32_e32 v10, s10
	s_xor_b64 exec, exec, s[6:7]
	s_cbranch_execnz .LBB36_3992
.LBB36_1942:
	s_or_b64 exec, exec, s[6:7]
	s_and_saveexec_b64 s[6:7], s[4:5]
	s_cbranch_execz .LBB36_1944
.LBB36_1943:
	v_bfe_u32 v9, v0, 16, 3
	v_ffbh_u32_e32 v12, v9
	v_min_u32_e32 v12, 32, v12
	v_lshrrev_b32_e32 v10, 19, v0
	v_subrev_u32_e32 v13, 28, v12
	v_and_b32_e32 v10, 15, v10
	v_lshlrev_b32_sdwa v13, v13, v0 dst_sel:DWORD dst_unused:UNUSED_PAD src0_sel:DWORD src1_sel:WORD_1
	v_bfe_u32 v11, v0, 19, 4
	v_sub_u32_e32 v12, 29, v12
	v_and_b32_e32 v13, 7, v13
	v_cmp_eq_u16_e32 vcc, 0, v10
	v_cndmask_b32_e32 v9, v9, v13, vcc
	v_cndmask_b32_e32 v10, v11, v12, vcc
	v_lshlrev_b32_e32 v11, 8, v0
	v_mov_b32_e32 v12, 0x3b800000
	v_lshlrev_b32_e32 v9, 20, v9
	v_and_b32_e32 v11, 0x80000000, v11
	v_lshl_add_u32 v10, v10, 23, v12
	v_or3_b32 v10, v11, v10, v9
.LBB36_1944:
	s_or_b64 exec, exec, s[6:7]
	s_nop 0
	v_mfma_f32_16x16x4f32 a[0:3], v8, v10, a[0:3]
	s_movk_i32 s4, 0x7f
	v_cmp_gt_i16_sdwa s[6:7], v4, s4 src0_sel:BYTE_3 src1_sel:DWORD
	s_mov_b64 s[4:5], 0
                                        ; implicit-def: $sgpr10
	s_and_saveexec_b64 s[8:9], s[6:7]
	s_xor_b64 s[6:7], exec, s[8:9]
	s_cbranch_execnz .LBB36_3993
; %bb.1945:
	s_or_saveexec_b64 s[6:7], s[6:7]
	v_mov_b32_e32 v8, s10
	s_xor_b64 exec, exec, s[6:7]
	s_cbranch_execnz .LBB36_3996
.LBB36_1946:
	s_or_b64 exec, exec, s[6:7]
	s_and_saveexec_b64 s[6:7], s[4:5]
	s_cbranch_execz .LBB36_1948
.LBB36_1947:
	v_bfe_u32 v8, v4, 24, 3
	v_ffbh_u32_e32 v12, v8
	v_min_u32_e32 v12, 32, v12
	v_lshrrev_b32_e32 v10, 27, v4
	v_subrev_u32_e32 v13, 28, v12
	v_and_b32_e32 v9, 0x80000000, v4
	v_and_b32_e32 v10, 15, v10
	v_bfe_u32 v11, v4, 27, 4
	v_lshlrev_b32_sdwa v4, v13, v4 dst_sel:DWORD dst_unused:UNUSED_PAD src0_sel:DWORD src1_sel:BYTE_3
	v_sub_u32_e32 v12, 29, v12
	v_and_b32_e32 v4, 7, v4
	v_cmp_eq_u16_e32 vcc, 0, v10
	v_cndmask_b32_e32 v4, v8, v4, vcc
	v_cndmask_b32_e32 v8, v11, v12, vcc
	v_mov_b32_e32 v10, 0x3b800000
	v_lshlrev_b32_e32 v4, 20, v4
	v_lshl_add_u32 v8, v8, 23, v10
	v_or3_b32 v8, v9, v8, v4
.LBB36_1948:
	s_or_b64 exec, exec, s[6:7]
	s_movk_i32 s4, 0x7f
	v_cmp_gt_i16_sdwa s[6:7], v0, s4 src0_sel:BYTE_3 src1_sel:DWORD
	s_mov_b64 s[4:5], 0
                                        ; implicit-def: $sgpr10
	s_and_saveexec_b64 s[8:9], s[6:7]
	s_xor_b64 s[6:7], exec, s[8:9]
	s_cbranch_execnz .LBB36_3997
; %bb.1949:
	s_or_saveexec_b64 s[6:7], s[6:7]
	v_mov_b32_e32 v4, s10
	s_xor_b64 exec, exec, s[6:7]
	s_cbranch_execnz .LBB36_4000
.LBB36_1950:
	s_or_b64 exec, exec, s[6:7]
	s_and_saveexec_b64 s[6:7], s[4:5]
	s_cbranch_execz .LBB36_1952
.LBB36_1951:
	v_bfe_u32 v4, v0, 24, 3
	v_ffbh_u32_e32 v12, v4
	v_min_u32_e32 v12, 32, v12
	v_lshrrev_b32_e32 v10, 27, v0
	v_subrev_u32_e32 v13, 28, v12
	v_and_b32_e32 v9, 0x80000000, v0
	v_and_b32_e32 v10, 15, v10
	v_bfe_u32 v11, v0, 27, 4
	v_lshlrev_b32_sdwa v0, v13, v0 dst_sel:DWORD dst_unused:UNUSED_PAD src0_sel:DWORD src1_sel:BYTE_3
	v_sub_u32_e32 v12, 29, v12
	v_and_b32_e32 v0, 7, v0
	v_cmp_eq_u16_e32 vcc, 0, v10
	v_cndmask_b32_e32 v0, v4, v0, vcc
	v_cndmask_b32_e32 v4, v11, v12, vcc
	v_mov_b32_e32 v10, 0x3b800000
	v_lshlrev_b32_e32 v0, 20, v0
	v_lshl_add_u32 v4, v4, 23, v10
	v_or3_b32 v4, v9, v4, v0
.LBB36_1952:
	s_or_b64 exec, exec, s[6:7]
	s_nop 0
	v_mfma_f32_16x16x4f32 a[0:3], v8, v4, a[0:3]
	s_movk_i32 s4, 0x7f
	v_cmp_gt_i16_sdwa s[6:7], v5, s4 src0_sel:BYTE_0 src1_sel:DWORD
	s_mov_b64 s[4:5], 0
                                        ; implicit-def: $sgpr10
	s_and_saveexec_b64 s[8:9], s[6:7]
	s_xor_b64 s[6:7], exec, s[8:9]
	s_cbranch_execnz .LBB36_4001
; %bb.1953:
	s_or_saveexec_b64 s[6:7], s[6:7]
	v_mov_b32_e32 v0, s10
	s_xor_b64 exec, exec, s[6:7]
	s_cbranch_execnz .LBB36_4004
.LBB36_1954:
	s_or_b64 exec, exec, s[6:7]
	s_and_saveexec_b64 s[6:7], s[4:5]
	s_cbranch_execz .LBB36_1956
.LBB36_1955:
	v_and_b32_e32 v0, 7, v5
	v_ffbh_u32_e32 v8, v0
	v_min_u32_e32 v8, 32, v8
	v_lshrrev_b16_e32 v4, 3, v5
	v_subrev_u32_e32 v9, 28, v8
	v_and_b32_e32 v4, 15, v4
	v_lshlrev_b32_e32 v9, v9, v5
	v_sub_u32_e32 v8, 29, v8
	v_and_b32_e32 v9, 7, v9
	v_cmp_eq_u16_e32 vcc, 0, v4
	v_cndmask_b32_e32 v0, v0, v9, vcc
	v_cndmask_b32_e32 v4, v4, v8, vcc
	v_lshlrev_b32_e32 v8, 24, v5
	v_mov_b32_e32 v9, 0x3b800000
	v_lshlrev_b32_e32 v0, 20, v0
	v_and_b32_e32 v8, 0x80000000, v8
	v_lshl_add_u32 v4, v4, 23, v9
	v_or3_b32 v0, v8, v4, v0
.LBB36_1956:
	s_or_b64 exec, exec, s[6:7]
	s_movk_i32 s4, 0x7f
	v_cmp_gt_i16_sdwa s[6:7], v1, s4 src0_sel:BYTE_0 src1_sel:DWORD
	s_mov_b64 s[4:5], 0
                                        ; implicit-def: $sgpr10
	s_and_saveexec_b64 s[8:9], s[6:7]
	s_xor_b64 s[6:7], exec, s[8:9]
	s_cbranch_execnz .LBB36_4005
; %bb.1957:
	s_or_saveexec_b64 s[6:7], s[6:7]
	v_mov_b32_e32 v4, s10
	s_xor_b64 exec, exec, s[6:7]
	s_cbranch_execnz .LBB36_4008
.LBB36_1958:
	s_or_b64 exec, exec, s[6:7]
	s_and_saveexec_b64 s[6:7], s[4:5]
	s_cbranch_execz .LBB36_1960
.LBB36_1959:
	v_and_b32_e32 v4, 7, v1
	v_ffbh_u32_e32 v9, v4
	v_min_u32_e32 v9, 32, v9
	v_lshrrev_b16_e32 v8, 3, v1
	v_subrev_u32_e32 v10, 28, v9
	v_and_b32_e32 v8, 15, v8
	v_lshlrev_b32_e32 v10, v10, v1
	v_sub_u32_e32 v9, 29, v9
	v_and_b32_e32 v10, 7, v10
	v_cmp_eq_u16_e32 vcc, 0, v8
	v_cndmask_b32_e32 v4, v4, v10, vcc
	v_cndmask_b32_e32 v8, v8, v9, vcc
	v_lshlrev_b32_e32 v9, 24, v1
	v_mov_b32_e32 v10, 0x3b800000
	v_lshlrev_b32_e32 v4, 20, v4
	v_and_b32_e32 v9, 0x80000000, v9
	v_lshl_add_u32 v8, v8, 23, v10
	v_or3_b32 v4, v9, v8, v4
.LBB36_1960:
	s_or_b64 exec, exec, s[6:7]
	s_nop 0
	v_mfma_f32_16x16x4f32 a[0:3], v0, v4, a[0:3]
	v_lshrrev_b32_e32 v4, 8, v5
	s_movk_i32 s4, 0x7f
	v_cmp_gt_i16_sdwa s[6:7], v4, s4 src0_sel:BYTE_0 src1_sel:DWORD
	s_mov_b64 s[4:5], 0
                                        ; implicit-def: $sgpr10
	s_and_saveexec_b64 s[8:9], s[6:7]
	s_xor_b64 s[6:7], exec, s[8:9]
	s_cbranch_execnz .LBB36_4009
; %bb.1961:
	s_or_saveexec_b64 s[6:7], s[6:7]
	v_mov_b32_e32 v0, s10
	s_xor_b64 exec, exec, s[6:7]
	s_cbranch_execnz .LBB36_4012
.LBB36_1962:
	s_or_b64 exec, exec, s[6:7]
	s_and_saveexec_b64 s[6:7], s[4:5]
	s_cbranch_execz .LBB36_1964
.LBB36_1963:
	v_bfe_u32 v0, v5, 8, 3
	v_ffbh_u32_e32 v9, v0
	v_min_u32_e32 v9, 32, v9
	v_lshrrev_b16_e32 v8, 3, v4
	v_subrev_u32_e32 v10, 28, v9
	v_and_b32_e32 v8, 15, v8
	v_lshlrev_b32_e32 v4, v10, v4
	v_sub_u32_e32 v9, 29, v9
	v_and_b32_e32 v4, 7, v4
	v_cmp_eq_u16_e32 vcc, 0, v8
	v_cndmask_b32_e32 v0, v0, v4, vcc
	v_cndmask_b32_e32 v4, v8, v9, vcc
	v_lshlrev_b32_e32 v8, 16, v5
	v_mov_b32_e32 v9, 0x3b800000
	v_lshlrev_b32_e32 v0, 20, v0
	v_and_b32_e32 v8, 0x80000000, v8
	v_lshl_add_u32 v4, v4, 23, v9
	v_or3_b32 v0, v8, v4, v0
.LBB36_1964:
	s_or_b64 exec, exec, s[6:7]
	v_lshrrev_b32_e32 v4, 8, v1
	s_movk_i32 s4, 0x7f
	v_cmp_gt_i16_sdwa s[6:7], v4, s4 src0_sel:BYTE_0 src1_sel:DWORD
	s_mov_b64 s[4:5], 0
                                        ; implicit-def: $sgpr10
	s_and_saveexec_b64 s[8:9], s[6:7]
	s_xor_b64 s[6:7], exec, s[8:9]
	s_cbranch_execnz .LBB36_4013
; %bb.1965:
	s_or_saveexec_b64 s[6:7], s[6:7]
	v_mov_b32_e32 v8, s10
	s_xor_b64 exec, exec, s[6:7]
	s_cbranch_execnz .LBB36_4016
.LBB36_1966:
	s_or_b64 exec, exec, s[6:7]
	s_and_saveexec_b64 s[6:7], s[4:5]
	s_cbranch_execz .LBB36_1968
.LBB36_1967:
	v_bfe_u32 v8, v1, 8, 3
	v_ffbh_u32_e32 v10, v8
	v_min_u32_e32 v10, 32, v10
	v_lshrrev_b16_e32 v9, 3, v4
	v_subrev_u32_e32 v11, 28, v10
	v_and_b32_e32 v9, 15, v9
	v_lshlrev_b32_e32 v4, v11, v4
	v_sub_u32_e32 v10, 29, v10
	v_and_b32_e32 v4, 7, v4
	v_cmp_eq_u16_e32 vcc, 0, v9
	v_cndmask_b32_e32 v4, v8, v4, vcc
	v_cndmask_b32_e32 v8, v9, v10, vcc
	v_lshlrev_b32_e32 v9, 16, v1
	v_mov_b32_e32 v10, 0x3b800000
	v_lshlrev_b32_e32 v4, 20, v4
	v_and_b32_e32 v9, 0x80000000, v9
	v_lshl_add_u32 v8, v8, 23, v10
	v_or3_b32 v8, v9, v8, v4
.LBB36_1968:
	s_or_b64 exec, exec, s[6:7]
	s_nop 0
	v_mfma_f32_16x16x4f32 a[0:3], v0, v8, a[0:3]
	s_movk_i32 s4, 0xff
	v_and_b32_sdwa v4, v5, s4 dst_sel:DWORD dst_unused:UNUSED_PAD src0_sel:WORD_1 src1_sel:DWORD
	s_movk_i32 s4, 0x7f
	v_cmp_lt_i16_e32 vcc, s4, v4
	s_mov_b64 s[4:5], 0
                                        ; implicit-def: $sgpr10
	s_and_saveexec_b64 s[6:7], vcc
	s_xor_b64 s[6:7], exec, s[6:7]
	s_cbranch_execnz .LBB36_4017
; %bb.1969:
	s_or_saveexec_b64 s[6:7], s[6:7]
	v_mov_b32_e32 v0, s10
	s_xor_b64 exec, exec, s[6:7]
	s_cbranch_execnz .LBB36_4020
.LBB36_1970:
	s_or_b64 exec, exec, s[6:7]
	s_and_saveexec_b64 s[6:7], s[4:5]
	s_cbranch_execz .LBB36_1972
.LBB36_1971:
	v_bfe_u32 v0, v5, 16, 3
	v_ffbh_u32_e32 v9, v0
	v_min_u32_e32 v9, 32, v9
	v_lshrrev_b32_e32 v4, 19, v5
	v_subrev_u32_e32 v10, 28, v9
	v_and_b32_e32 v4, 15, v4
	v_lshlrev_b32_sdwa v10, v10, v5 dst_sel:DWORD dst_unused:UNUSED_PAD src0_sel:DWORD src1_sel:WORD_1
	v_bfe_u32 v8, v5, 19, 4
	v_sub_u32_e32 v9, 29, v9
	v_and_b32_e32 v10, 7, v10
	v_cmp_eq_u16_e32 vcc, 0, v4
	v_cndmask_b32_e32 v0, v0, v10, vcc
	v_cndmask_b32_e32 v4, v8, v9, vcc
	v_lshlrev_b32_e32 v8, 8, v5
	v_mov_b32_e32 v9, 0x3b800000
	v_lshlrev_b32_e32 v0, 20, v0
	v_and_b32_e32 v8, 0x80000000, v8
	v_lshl_add_u32 v4, v4, 23, v9
	v_or3_b32 v0, v8, v4, v0
.LBB36_1972:
	s_or_b64 exec, exec, s[6:7]
	s_movk_i32 s4, 0xff
	v_and_b32_sdwa v4, v1, s4 dst_sel:DWORD dst_unused:UNUSED_PAD src0_sel:WORD_1 src1_sel:DWORD
	s_movk_i32 s4, 0x7f
	v_cmp_lt_i16_e32 vcc, s4, v4
	s_mov_b64 s[4:5], 0
                                        ; implicit-def: $sgpr10
	s_and_saveexec_b64 s[6:7], vcc
	s_xor_b64 s[6:7], exec, s[6:7]
	s_cbranch_execnz .LBB36_4021
; %bb.1973:
	s_or_saveexec_b64 s[6:7], s[6:7]
	v_mov_b32_e32 v8, s10
	s_xor_b64 exec, exec, s[6:7]
	s_cbranch_execnz .LBB36_4024
.LBB36_1974:
	s_or_b64 exec, exec, s[6:7]
	s_and_saveexec_b64 s[6:7], s[4:5]
	s_cbranch_execz .LBB36_1976
.LBB36_1975:
	v_bfe_u32 v4, v1, 16, 3
	v_ffbh_u32_e32 v10, v4
	v_min_u32_e32 v10, 32, v10
	v_lshrrev_b32_e32 v8, 19, v1
	v_subrev_u32_e32 v11, 28, v10
	v_and_b32_e32 v8, 15, v8
	v_lshlrev_b32_sdwa v11, v11, v1 dst_sel:DWORD dst_unused:UNUSED_PAD src0_sel:DWORD src1_sel:WORD_1
	v_bfe_u32 v9, v1, 19, 4
	v_sub_u32_e32 v10, 29, v10
	v_and_b32_e32 v11, 7, v11
	v_cmp_eq_u16_e32 vcc, 0, v8
	v_cndmask_b32_e32 v4, v4, v11, vcc
	v_cndmask_b32_e32 v8, v9, v10, vcc
	v_lshlrev_b32_e32 v9, 8, v1
	v_mov_b32_e32 v10, 0x3b800000
	v_lshlrev_b32_e32 v4, 20, v4
	v_and_b32_e32 v9, 0x80000000, v9
	v_lshl_add_u32 v8, v8, 23, v10
	v_or3_b32 v8, v9, v8, v4
.LBB36_1976:
	s_or_b64 exec, exec, s[6:7]
	s_nop 0
	v_mfma_f32_16x16x4f32 a[0:3], v0, v8, a[0:3]
	s_movk_i32 s4, 0x7f
	v_cmp_gt_i16_sdwa s[6:7], v5, s4 src0_sel:BYTE_3 src1_sel:DWORD
	s_mov_b64 s[4:5], 0
                                        ; implicit-def: $sgpr10
	s_and_saveexec_b64 s[8:9], s[6:7]
	s_xor_b64 s[6:7], exec, s[8:9]
	s_cbranch_execnz .LBB36_4025
; %bb.1977:
	s_or_saveexec_b64 s[6:7], s[6:7]
	v_mov_b32_e32 v0, s10
	s_xor_b64 exec, exec, s[6:7]
	s_cbranch_execnz .LBB36_4028
.LBB36_1978:
	s_or_b64 exec, exec, s[6:7]
	s_and_saveexec_b64 s[6:7], s[4:5]
	s_cbranch_execz .LBB36_1980
.LBB36_1979:
	v_bfe_u32 v0, v5, 24, 3
	v_ffbh_u32_e32 v10, v0
	v_min_u32_e32 v10, 32, v10
	v_lshrrev_b32_e32 v8, 27, v5
	v_subrev_u32_e32 v11, 28, v10
	v_and_b32_e32 v4, 0x80000000, v5
	v_and_b32_e32 v8, 15, v8
	v_bfe_u32 v9, v5, 27, 4
	v_lshlrev_b32_sdwa v5, v11, v5 dst_sel:DWORD dst_unused:UNUSED_PAD src0_sel:DWORD src1_sel:BYTE_3
	v_sub_u32_e32 v10, 29, v10
	v_and_b32_e32 v5, 7, v5
	v_cmp_eq_u16_e32 vcc, 0, v8
	v_cndmask_b32_e32 v0, v0, v5, vcc
	v_cndmask_b32_e32 v5, v9, v10, vcc
	v_mov_b32_e32 v8, 0x3b800000
	v_lshlrev_b32_e32 v0, 20, v0
	v_lshl_add_u32 v5, v5, 23, v8
	v_or3_b32 v0, v4, v5, v0
.LBB36_1980:
	s_or_b64 exec, exec, s[6:7]
	s_movk_i32 s4, 0x7f
	v_cmp_gt_i16_sdwa s[6:7], v1, s4 src0_sel:BYTE_3 src1_sel:DWORD
	s_mov_b64 s[4:5], 0
                                        ; implicit-def: $sgpr10
	s_and_saveexec_b64 s[8:9], s[6:7]
	s_xor_b64 s[6:7], exec, s[8:9]
	s_cbranch_execnz .LBB36_4029
; %bb.1981:
	s_or_saveexec_b64 s[6:7], s[6:7]
	v_mov_b32_e32 v4, s10
	s_xor_b64 exec, exec, s[6:7]
	s_cbranch_execnz .LBB36_4032
.LBB36_1982:
	s_or_b64 exec, exec, s[6:7]
	s_and_saveexec_b64 s[6:7], s[4:5]
	s_cbranch_execz .LBB36_1984
.LBB36_1983:
	v_bfe_u32 v4, v1, 24, 3
	v_ffbh_u32_e32 v10, v4
	v_min_u32_e32 v10, 32, v10
	v_lshrrev_b32_e32 v8, 27, v1
	v_subrev_u32_e32 v11, 28, v10
	v_and_b32_e32 v5, 0x80000000, v1
	v_and_b32_e32 v8, 15, v8
	v_bfe_u32 v9, v1, 27, 4
	v_lshlrev_b32_sdwa v1, v11, v1 dst_sel:DWORD dst_unused:UNUSED_PAD src0_sel:DWORD src1_sel:BYTE_3
	v_sub_u32_e32 v10, 29, v10
	v_and_b32_e32 v1, 7, v1
	v_cmp_eq_u16_e32 vcc, 0, v8
	v_cndmask_b32_e32 v1, v4, v1, vcc
	v_cndmask_b32_e32 v4, v9, v10, vcc
	v_mov_b32_e32 v8, 0x3b800000
	v_lshlrev_b32_e32 v1, 20, v1
	v_lshl_add_u32 v4, v4, 23, v8
	v_or3_b32 v4, v5, v4, v1
.LBB36_1984:
	s_or_b64 exec, exec, s[6:7]
	s_nop 0
	v_mfma_f32_16x16x4f32 a[0:3], v0, v4, a[0:3]
	s_movk_i32 s4, 0x7f
	v_cmp_gt_i16_sdwa s[6:7], v6, s4 src0_sel:BYTE_0 src1_sel:DWORD
	s_mov_b64 s[4:5], 0
                                        ; implicit-def: $sgpr10
	s_and_saveexec_b64 s[8:9], s[6:7]
	s_xor_b64 s[6:7], exec, s[8:9]
	s_cbranch_execnz .LBB36_4033
; %bb.1985:
	s_or_saveexec_b64 s[6:7], s[6:7]
	v_mov_b32_e32 v0, s10
	s_xor_b64 exec, exec, s[6:7]
	s_cbranch_execnz .LBB36_4036
.LBB36_1986:
	s_or_b64 exec, exec, s[6:7]
	s_and_saveexec_b64 s[6:7], s[4:5]
	s_cbranch_execz .LBB36_1988
.LBB36_1987:
	v_and_b32_e32 v0, 7, v6
	v_ffbh_u32_e32 v4, v0
	v_min_u32_e32 v4, 32, v4
	v_lshrrev_b16_e32 v1, 3, v6
	v_subrev_u32_e32 v5, 28, v4
	v_and_b32_e32 v1, 15, v1
	v_lshlrev_b32_e32 v5, v5, v6
	v_sub_u32_e32 v4, 29, v4
	v_and_b32_e32 v5, 7, v5
	v_cmp_eq_u16_e32 vcc, 0, v1
	v_cndmask_b32_e32 v0, v0, v5, vcc
	v_cndmask_b32_e32 v1, v1, v4, vcc
	v_lshlrev_b32_e32 v4, 24, v6
	v_mov_b32_e32 v5, 0x3b800000
	v_lshlrev_b32_e32 v0, 20, v0
	v_and_b32_e32 v4, 0x80000000, v4
	v_lshl_add_u32 v1, v1, 23, v5
	v_or3_b32 v0, v4, v1, v0
.LBB36_1988:
	s_or_b64 exec, exec, s[6:7]
	s_movk_i32 s4, 0x7f
	v_cmp_gt_i16_sdwa s[6:7], v2, s4 src0_sel:BYTE_0 src1_sel:DWORD
	s_mov_b64 s[4:5], 0
                                        ; implicit-def: $sgpr10
	s_and_saveexec_b64 s[8:9], s[6:7]
	s_xor_b64 s[6:7], exec, s[8:9]
	s_cbranch_execnz .LBB36_4037
; %bb.1989:
	s_or_saveexec_b64 s[6:7], s[6:7]
	v_mov_b32_e32 v1, s10
	s_xor_b64 exec, exec, s[6:7]
	s_cbranch_execnz .LBB36_4040
.LBB36_1990:
	s_or_b64 exec, exec, s[6:7]
	s_and_saveexec_b64 s[6:7], s[4:5]
	s_cbranch_execz .LBB36_1992
.LBB36_1991:
	v_and_b32_e32 v1, 7, v2
	v_ffbh_u32_e32 v5, v1
	v_min_u32_e32 v5, 32, v5
	v_lshrrev_b16_e32 v4, 3, v2
	v_subrev_u32_e32 v8, 28, v5
	v_and_b32_e32 v4, 15, v4
	v_lshlrev_b32_e32 v8, v8, v2
	v_sub_u32_e32 v5, 29, v5
	v_and_b32_e32 v8, 7, v8
	v_cmp_eq_u16_e32 vcc, 0, v4
	v_cndmask_b32_e32 v1, v1, v8, vcc
	v_cndmask_b32_e32 v4, v4, v5, vcc
	v_lshlrev_b32_e32 v5, 24, v2
	v_mov_b32_e32 v8, 0x3b800000
	v_lshlrev_b32_e32 v1, 20, v1
	v_and_b32_e32 v5, 0x80000000, v5
	v_lshl_add_u32 v4, v4, 23, v8
	v_or3_b32 v1, v5, v4, v1
.LBB36_1992:
	s_or_b64 exec, exec, s[6:7]
	s_nop 0
	v_mfma_f32_16x16x4f32 a[0:3], v0, v1, a[0:3]
	v_lshrrev_b32_e32 v1, 8, v6
	s_movk_i32 s4, 0x7f
	v_cmp_gt_i16_sdwa s[6:7], v1, s4 src0_sel:BYTE_0 src1_sel:DWORD
	s_mov_b64 s[4:5], 0
                                        ; implicit-def: $sgpr10
	s_and_saveexec_b64 s[8:9], s[6:7]
	s_xor_b64 s[6:7], exec, s[8:9]
	s_cbranch_execnz .LBB36_4041
; %bb.1993:
	s_or_saveexec_b64 s[6:7], s[6:7]
	v_mov_b32_e32 v0, s10
	s_xor_b64 exec, exec, s[6:7]
	s_cbranch_execnz .LBB36_4044
.LBB36_1994:
	s_or_b64 exec, exec, s[6:7]
	s_and_saveexec_b64 s[6:7], s[4:5]
	s_cbranch_execz .LBB36_1996
.LBB36_1995:
	v_bfe_u32 v0, v6, 8, 3
	v_ffbh_u32_e32 v5, v0
	v_min_u32_e32 v5, 32, v5
	v_lshrrev_b16_e32 v4, 3, v1
	v_subrev_u32_e32 v8, 28, v5
	v_and_b32_e32 v4, 15, v4
	v_lshlrev_b32_e32 v1, v8, v1
	v_sub_u32_e32 v5, 29, v5
	v_and_b32_e32 v1, 7, v1
	v_cmp_eq_u16_e32 vcc, 0, v4
	v_cndmask_b32_e32 v0, v0, v1, vcc
	v_cndmask_b32_e32 v1, v4, v5, vcc
	v_lshlrev_b32_e32 v4, 16, v6
	v_mov_b32_e32 v5, 0x3b800000
	v_lshlrev_b32_e32 v0, 20, v0
	v_and_b32_e32 v4, 0x80000000, v4
	v_lshl_add_u32 v1, v1, 23, v5
	v_or3_b32 v0, v4, v1, v0
.LBB36_1996:
	s_or_b64 exec, exec, s[6:7]
	v_lshrrev_b32_e32 v1, 8, v2
	s_movk_i32 s4, 0x7f
	v_cmp_gt_i16_sdwa s[6:7], v1, s4 src0_sel:BYTE_0 src1_sel:DWORD
	s_mov_b64 s[4:5], 0
                                        ; implicit-def: $sgpr10
	s_and_saveexec_b64 s[8:9], s[6:7]
	s_xor_b64 s[6:7], exec, s[8:9]
	s_cbranch_execnz .LBB36_4045
; %bb.1997:
	s_or_saveexec_b64 s[6:7], s[6:7]
	v_mov_b32_e32 v4, s10
	s_xor_b64 exec, exec, s[6:7]
	s_cbranch_execnz .LBB36_4048
.LBB36_1998:
	s_or_b64 exec, exec, s[6:7]
	s_and_saveexec_b64 s[6:7], s[4:5]
	s_cbranch_execz .LBB36_2000
.LBB36_1999:
	v_bfe_u32 v4, v2, 8, 3
	v_ffbh_u32_e32 v8, v4
	v_min_u32_e32 v8, 32, v8
	v_lshrrev_b16_e32 v5, 3, v1
	v_subrev_u32_e32 v9, 28, v8
	v_and_b32_e32 v5, 15, v5
	v_lshlrev_b32_e32 v1, v9, v1
	v_sub_u32_e32 v8, 29, v8
	v_and_b32_e32 v1, 7, v1
	v_cmp_eq_u16_e32 vcc, 0, v5
	v_cndmask_b32_e32 v1, v4, v1, vcc
	v_cndmask_b32_e32 v4, v5, v8, vcc
	v_lshlrev_b32_e32 v5, 16, v2
	v_mov_b32_e32 v8, 0x3b800000
	v_lshlrev_b32_e32 v1, 20, v1
	v_and_b32_e32 v5, 0x80000000, v5
	v_lshl_add_u32 v4, v4, 23, v8
	v_or3_b32 v4, v5, v4, v1
.LBB36_2000:
	s_or_b64 exec, exec, s[6:7]
	s_nop 0
	v_mfma_f32_16x16x4f32 a[0:3], v0, v4, a[0:3]
	s_movk_i32 s4, 0xff
	v_and_b32_sdwa v1, v6, s4 dst_sel:DWORD dst_unused:UNUSED_PAD src0_sel:WORD_1 src1_sel:DWORD
	s_movk_i32 s4, 0x7f
	v_cmp_lt_i16_e32 vcc, s4, v1
	s_mov_b64 s[4:5], 0
                                        ; implicit-def: $sgpr10
	s_and_saveexec_b64 s[6:7], vcc
	s_xor_b64 s[6:7], exec, s[6:7]
	s_cbranch_execnz .LBB36_4049
; %bb.2001:
	s_or_saveexec_b64 s[6:7], s[6:7]
	v_mov_b32_e32 v0, s10
	s_xor_b64 exec, exec, s[6:7]
	s_cbranch_execnz .LBB36_4052
.LBB36_2002:
	s_or_b64 exec, exec, s[6:7]
	s_and_saveexec_b64 s[6:7], s[4:5]
	s_cbranch_execz .LBB36_2004
.LBB36_2003:
	v_bfe_u32 v0, v6, 16, 3
	v_ffbh_u32_e32 v5, v0
	v_min_u32_e32 v5, 32, v5
	v_lshrrev_b32_e32 v1, 19, v6
	v_subrev_u32_e32 v8, 28, v5
	v_and_b32_e32 v1, 15, v1
	v_lshlrev_b32_sdwa v8, v8, v6 dst_sel:DWORD dst_unused:UNUSED_PAD src0_sel:DWORD src1_sel:WORD_1
	v_bfe_u32 v4, v6, 19, 4
	v_sub_u32_e32 v5, 29, v5
	v_and_b32_e32 v8, 7, v8
	v_cmp_eq_u16_e32 vcc, 0, v1
	v_cndmask_b32_e32 v0, v0, v8, vcc
	v_cndmask_b32_e32 v1, v4, v5, vcc
	v_lshlrev_b32_e32 v4, 8, v6
	v_mov_b32_e32 v5, 0x3b800000
	v_lshlrev_b32_e32 v0, 20, v0
	v_and_b32_e32 v4, 0x80000000, v4
	v_lshl_add_u32 v1, v1, 23, v5
	v_or3_b32 v0, v4, v1, v0
.LBB36_2004:
	s_or_b64 exec, exec, s[6:7]
	s_movk_i32 s4, 0xff
	v_and_b32_sdwa v1, v2, s4 dst_sel:DWORD dst_unused:UNUSED_PAD src0_sel:WORD_1 src1_sel:DWORD
	s_movk_i32 s4, 0x7f
	v_cmp_lt_i16_e32 vcc, s4, v1
	s_mov_b64 s[4:5], 0
                                        ; implicit-def: $sgpr10
	s_and_saveexec_b64 s[6:7], vcc
	s_xor_b64 s[6:7], exec, s[6:7]
	s_cbranch_execnz .LBB36_4053
; %bb.2005:
	s_or_saveexec_b64 s[6:7], s[6:7]
	v_mov_b32_e32 v4, s10
	s_xor_b64 exec, exec, s[6:7]
	s_cbranch_execnz .LBB36_4056
.LBB36_2006:
	s_or_b64 exec, exec, s[6:7]
	s_and_saveexec_b64 s[6:7], s[4:5]
	s_cbranch_execz .LBB36_2008
.LBB36_2007:
	v_bfe_u32 v1, v2, 16, 3
	v_ffbh_u32_e32 v8, v1
	v_min_u32_e32 v8, 32, v8
	v_lshrrev_b32_e32 v4, 19, v2
	v_subrev_u32_e32 v9, 28, v8
	v_and_b32_e32 v4, 15, v4
	v_lshlrev_b32_sdwa v9, v9, v2 dst_sel:DWORD dst_unused:UNUSED_PAD src0_sel:DWORD src1_sel:WORD_1
	v_bfe_u32 v5, v2, 19, 4
	v_sub_u32_e32 v8, 29, v8
	v_and_b32_e32 v9, 7, v9
	v_cmp_eq_u16_e32 vcc, 0, v4
	v_cndmask_b32_e32 v1, v1, v9, vcc
	v_cndmask_b32_e32 v4, v5, v8, vcc
	v_lshlrev_b32_e32 v5, 8, v2
	v_mov_b32_e32 v8, 0x3b800000
	v_lshlrev_b32_e32 v1, 20, v1
	v_and_b32_e32 v5, 0x80000000, v5
	v_lshl_add_u32 v4, v4, 23, v8
	v_or3_b32 v4, v5, v4, v1
.LBB36_2008:
	s_or_b64 exec, exec, s[6:7]
	s_nop 0
	v_mfma_f32_16x16x4f32 a[0:3], v0, v4, a[0:3]
	s_movk_i32 s4, 0x7f
	v_cmp_gt_i16_sdwa s[6:7], v6, s4 src0_sel:BYTE_3 src1_sel:DWORD
	s_mov_b64 s[4:5], 0
                                        ; implicit-def: $sgpr10
	s_and_saveexec_b64 s[8:9], s[6:7]
	s_xor_b64 s[6:7], exec, s[8:9]
	s_cbranch_execnz .LBB36_4057
; %bb.2009:
	s_or_saveexec_b64 s[6:7], s[6:7]
	v_mov_b32_e32 v0, s10
	s_xor_b64 exec, exec, s[6:7]
	s_cbranch_execnz .LBB36_4060
.LBB36_2010:
	s_or_b64 exec, exec, s[6:7]
	s_and_saveexec_b64 s[6:7], s[4:5]
	s_cbranch_execz .LBB36_2012
.LBB36_2011:
	v_bfe_u32 v0, v6, 24, 3
	v_ffbh_u32_e32 v8, v0
	v_min_u32_e32 v8, 32, v8
	v_lshrrev_b32_e32 v4, 27, v6
	v_subrev_u32_e32 v9, 28, v8
	v_and_b32_e32 v1, 0x80000000, v6
	v_and_b32_e32 v4, 15, v4
	v_bfe_u32 v5, v6, 27, 4
	v_lshlrev_b32_sdwa v6, v9, v6 dst_sel:DWORD dst_unused:UNUSED_PAD src0_sel:DWORD src1_sel:BYTE_3
	v_sub_u32_e32 v8, 29, v8
	v_and_b32_e32 v6, 7, v6
	v_cmp_eq_u16_e32 vcc, 0, v4
	v_cndmask_b32_e32 v0, v0, v6, vcc
	v_cndmask_b32_e32 v4, v5, v8, vcc
	v_mov_b32_e32 v5, 0x3b800000
	v_lshlrev_b32_e32 v0, 20, v0
	v_lshl_add_u32 v4, v4, 23, v5
	v_or3_b32 v0, v1, v4, v0
.LBB36_2012:
	s_or_b64 exec, exec, s[6:7]
	s_movk_i32 s4, 0x7f
	v_cmp_gt_i16_sdwa s[6:7], v2, s4 src0_sel:BYTE_3 src1_sel:DWORD
	s_mov_b64 s[4:5], 0
                                        ; implicit-def: $sgpr10
	s_and_saveexec_b64 s[8:9], s[6:7]
	s_xor_b64 s[6:7], exec, s[8:9]
	s_cbranch_execnz .LBB36_4061
; %bb.2013:
	s_or_saveexec_b64 s[6:7], s[6:7]
	v_mov_b32_e32 v1, s10
	s_xor_b64 exec, exec, s[6:7]
	s_cbranch_execnz .LBB36_4064
.LBB36_2014:
	s_or_b64 exec, exec, s[6:7]
	s_and_saveexec_b64 s[6:7], s[4:5]
	s_cbranch_execz .LBB36_2016
.LBB36_2015:
	v_bfe_u32 v1, v2, 24, 3
	v_ffbh_u32_e32 v8, v1
	v_min_u32_e32 v8, 32, v8
	v_lshrrev_b32_e32 v5, 27, v2
	v_subrev_u32_e32 v9, 28, v8
	v_and_b32_e32 v4, 0x80000000, v2
	v_and_b32_e32 v5, 15, v5
	v_bfe_u32 v6, v2, 27, 4
	v_lshlrev_b32_sdwa v2, v9, v2 dst_sel:DWORD dst_unused:UNUSED_PAD src0_sel:DWORD src1_sel:BYTE_3
	v_sub_u32_e32 v8, 29, v8
	v_and_b32_e32 v2, 7, v2
	v_cmp_eq_u16_e32 vcc, 0, v5
	v_cndmask_b32_e32 v1, v1, v2, vcc
	v_cndmask_b32_e32 v2, v6, v8, vcc
	v_mov_b32_e32 v5, 0x3b800000
	v_lshlrev_b32_e32 v1, 20, v1
	v_lshl_add_u32 v2, v2, 23, v5
	v_or3_b32 v1, v4, v2, v1
.LBB36_2016:
	s_or_b64 exec, exec, s[6:7]
	s_nop 0
	v_mfma_f32_16x16x4f32 a[0:3], v0, v1, a[0:3]
	s_movk_i32 s4, 0x7f
	v_cmp_gt_i16_sdwa s[6:7], v7, s4 src0_sel:BYTE_0 src1_sel:DWORD
	s_mov_b64 s[4:5], 0
                                        ; implicit-def: $sgpr10
	s_and_saveexec_b64 s[8:9], s[6:7]
	s_xor_b64 s[6:7], exec, s[8:9]
	s_cbranch_execnz .LBB36_4065
; %bb.2017:
	s_or_saveexec_b64 s[6:7], s[6:7]
	v_mov_b32_e32 v0, s10
	s_xor_b64 exec, exec, s[6:7]
	s_cbranch_execnz .LBB36_4068
.LBB36_2018:
	s_or_b64 exec, exec, s[6:7]
	s_and_saveexec_b64 s[6:7], s[4:5]
	s_cbranch_execz .LBB36_2020
.LBB36_2019:
	v_mov_b32_e32 v0, 8
	v_and_b32_e32 v1, 7, v7
	v_lshrrev_b32_sdwa v0, v0, v7 dst_sel:BYTE_1 dst_unused:UNUSED_PAD src0_sel:DWORD src1_sel:DWORD
	v_ffbh_u32_e32 v2, v1
	v_or_b32_sdwa v0, v7, v0 dst_sel:DWORD dst_unused:UNUSED_PAD src0_sel:BYTE_0 src1_sel:DWORD
	v_min_u32_e32 v2, 32, v2
	v_lshrrev_b16_e32 v0, 3, v0
	v_subrev_u32_e32 v4, 28, v2
	v_and_b32_e32 v0, 15, v0
	v_lshlrev_b32_e32 v4, v4, v7
	v_sub_u32_e32 v2, 29, v2
	v_and_b32_e32 v4, 7, v4
	v_cmp_eq_u16_e32 vcc, 0, v0
	v_cndmask_b32_e32 v1, v1, v4, vcc
	v_cndmask_b32_e32 v0, v0, v2, vcc
	v_lshlrev_b32_e32 v2, 24, v7
	v_mov_b32_e32 v4, 0x3b800000
	v_lshlrev_b32_e32 v1, 20, v1
	v_and_b32_e32 v2, 0x80000000, v2
	v_lshl_add_u32 v0, v0, 23, v4
	v_or3_b32 v0, v2, v0, v1
.LBB36_2020:
	s_or_b64 exec, exec, s[6:7]
	s_movk_i32 s4, 0x7f
	v_cmp_gt_i16_sdwa s[6:7], v3, s4 src0_sel:BYTE_0 src1_sel:DWORD
	s_mov_b64 s[4:5], 0
                                        ; implicit-def: $sgpr10
	s_and_saveexec_b64 s[8:9], s[6:7]
	s_xor_b64 s[6:7], exec, s[8:9]
	s_cbranch_execnz .LBB36_4069
; %bb.2021:
	s_or_saveexec_b64 s[6:7], s[6:7]
	v_mov_b32_e32 v1, s10
	s_xor_b64 exec, exec, s[6:7]
	s_cbranch_execnz .LBB36_4072
.LBB36_2022:
	s_or_b64 exec, exec, s[6:7]
	s_and_saveexec_b64 s[6:7], s[4:5]
	s_cbranch_execz .LBB36_2024
.LBB36_2023:
	v_mov_b32_e32 v1, 8
	v_and_b32_e32 v2, 7, v3
	v_lshrrev_b32_sdwa v1, v1, v3 dst_sel:BYTE_1 dst_unused:UNUSED_PAD src0_sel:DWORD src1_sel:DWORD
	v_ffbh_u32_e32 v4, v2
	v_or_b32_sdwa v1, v3, v1 dst_sel:DWORD dst_unused:UNUSED_PAD src0_sel:BYTE_0 src1_sel:DWORD
	v_min_u32_e32 v4, 32, v4
	v_lshrrev_b16_e32 v1, 3, v1
	v_subrev_u32_e32 v5, 28, v4
	v_and_b32_e32 v1, 15, v1
	v_lshlrev_b32_e32 v5, v5, v3
	v_sub_u32_e32 v4, 29, v4
	v_and_b32_e32 v5, 7, v5
	v_cmp_eq_u16_e32 vcc, 0, v1
	v_cndmask_b32_e32 v2, v2, v5, vcc
	v_cndmask_b32_e32 v1, v1, v4, vcc
	v_lshlrev_b32_e32 v4, 24, v3
	v_mov_b32_e32 v5, 0x3b800000
	v_lshlrev_b32_e32 v2, 20, v2
	v_and_b32_e32 v4, 0x80000000, v4
	v_lshl_add_u32 v1, v1, 23, v5
	v_or3_b32 v1, v4, v1, v2
.LBB36_2024:
	s_or_b64 exec, exec, s[6:7]
	s_nop 0
	v_mfma_f32_16x16x4f32 a[0:3], v0, v1, a[0:3]
	v_lshrrev_b32_e32 v1, 8, v7
	s_movk_i32 s4, 0x7f
	v_cmp_gt_i16_sdwa s[6:7], v1, s4 src0_sel:BYTE_0 src1_sel:DWORD
	s_mov_b64 s[4:5], 0
                                        ; implicit-def: $sgpr10
	s_and_saveexec_b64 s[8:9], s[6:7]
	s_xor_b64 s[6:7], exec, s[8:9]
	s_cbranch_execnz .LBB36_4073
; %bb.2025:
	s_or_saveexec_b64 s[6:7], s[6:7]
	v_mov_b32_e32 v0, s10
	s_xor_b64 exec, exec, s[6:7]
	s_cbranch_execnz .LBB36_4076
.LBB36_2026:
	s_or_b64 exec, exec, s[6:7]
	s_and_saveexec_b64 s[6:7], s[4:5]
	s_cbranch_execz .LBB36_2028
.LBB36_2027:
	v_bfe_u32 v0, v7, 8, 3
	v_ffbh_u32_e32 v4, v0
	v_min_u32_e32 v4, 32, v4
	v_lshrrev_b16_e32 v2, 3, v1
	v_subrev_u32_e32 v5, 28, v4
	v_and_b32_e32 v2, 15, v2
	v_lshlrev_b32_e32 v1, v5, v1
	v_sub_u32_e32 v4, 29, v4
	v_and_b32_e32 v1, 7, v1
	v_cmp_eq_u16_e32 vcc, 0, v2
	v_cndmask_b32_e32 v0, v0, v1, vcc
	v_cndmask_b32_e32 v1, v2, v4, vcc
	v_lshlrev_b32_e32 v2, 16, v7
	v_mov_b32_e32 v4, 0x3b800000
	v_lshlrev_b32_e32 v0, 20, v0
	v_and_b32_e32 v2, 0x80000000, v2
	v_lshl_add_u32 v1, v1, 23, v4
	v_or3_b32 v0, v2, v1, v0
.LBB36_2028:
	s_or_b64 exec, exec, s[6:7]
	v_lshrrev_b32_e32 v1, 8, v3
	s_movk_i32 s4, 0x7f
	v_cmp_gt_i16_sdwa s[6:7], v1, s4 src0_sel:BYTE_0 src1_sel:DWORD
	s_mov_b64 s[4:5], 0
                                        ; implicit-def: $sgpr10
	s_and_saveexec_b64 s[8:9], s[6:7]
	s_xor_b64 s[6:7], exec, s[8:9]
	s_cbranch_execnz .LBB36_4077
; %bb.2029:
	s_or_saveexec_b64 s[6:7], s[6:7]
	v_mov_b32_e32 v2, s10
	s_xor_b64 exec, exec, s[6:7]
	s_cbranch_execnz .LBB36_4080
.LBB36_2030:
	s_or_b64 exec, exec, s[6:7]
	s_and_saveexec_b64 s[6:7], s[4:5]
	s_cbranch_execz .LBB36_2032
.LBB36_2031:
	v_bfe_u32 v2, v3, 8, 3
	v_ffbh_u32_e32 v5, v2
	v_min_u32_e32 v5, 32, v5
	v_lshrrev_b16_e32 v4, 3, v1
	v_subrev_u32_e32 v6, 28, v5
	v_and_b32_e32 v4, 15, v4
	v_lshlrev_b32_e32 v1, v6, v1
	v_sub_u32_e32 v5, 29, v5
	v_and_b32_e32 v1, 7, v1
	v_cmp_eq_u16_e32 vcc, 0, v4
	v_cndmask_b32_e32 v1, v2, v1, vcc
	v_cndmask_b32_e32 v2, v4, v5, vcc
	v_lshlrev_b32_e32 v4, 16, v3
	v_mov_b32_e32 v5, 0x3b800000
	v_lshlrev_b32_e32 v1, 20, v1
	v_and_b32_e32 v4, 0x80000000, v4
	v_lshl_add_u32 v2, v2, 23, v5
	v_or3_b32 v2, v4, v2, v1
.LBB36_2032:
	s_or_b64 exec, exec, s[6:7]
	s_nop 0
	v_mfma_f32_16x16x4f32 a[0:3], v0, v2, a[0:3]
	s_movk_i32 s4, 0xff
	v_and_b32_sdwa v1, v7, s4 dst_sel:DWORD dst_unused:UNUSED_PAD src0_sel:WORD_1 src1_sel:DWORD
	s_movk_i32 s4, 0x7f
	v_cmp_lt_i16_e32 vcc, s4, v1
	s_mov_b64 s[4:5], 0
                                        ; implicit-def: $sgpr10
	s_and_saveexec_b64 s[6:7], vcc
	s_xor_b64 s[6:7], exec, s[6:7]
	s_cbranch_execnz .LBB36_4081
; %bb.2033:
	s_or_saveexec_b64 s[6:7], s[6:7]
	v_mov_b32_e32 v0, s10
	s_xor_b64 exec, exec, s[6:7]
	s_cbranch_execnz .LBB36_4084
.LBB36_2034:
	s_or_b64 exec, exec, s[6:7]
	s_and_saveexec_b64 s[6:7], s[4:5]
	s_cbranch_execz .LBB36_2036
.LBB36_2035:
	v_bfe_u32 v0, v7, 16, 3
	v_ffbh_u32_e32 v4, v0
	v_min_u32_e32 v4, 32, v4
	v_lshrrev_b32_e32 v1, 19, v7
	v_subrev_u32_e32 v5, 28, v4
	v_and_b32_e32 v1, 15, v1
	v_lshlrev_b32_sdwa v5, v5, v7 dst_sel:DWORD dst_unused:UNUSED_PAD src0_sel:DWORD src1_sel:WORD_1
	v_bfe_u32 v2, v7, 19, 4
	v_sub_u32_e32 v4, 29, v4
	v_and_b32_e32 v5, 7, v5
	v_cmp_eq_u16_e32 vcc, 0, v1
	v_cndmask_b32_e32 v0, v0, v5, vcc
	v_cndmask_b32_e32 v1, v2, v4, vcc
	v_lshlrev_b32_e32 v2, 8, v7
	v_mov_b32_e32 v4, 0x3b800000
	v_lshlrev_b32_e32 v0, 20, v0
	v_and_b32_e32 v2, 0x80000000, v2
	v_lshl_add_u32 v1, v1, 23, v4
	v_or3_b32 v0, v2, v1, v0
.LBB36_2036:
	s_or_b64 exec, exec, s[6:7]
	s_movk_i32 s4, 0xff
	v_and_b32_sdwa v1, v3, s4 dst_sel:DWORD dst_unused:UNUSED_PAD src0_sel:WORD_1 src1_sel:DWORD
	s_movk_i32 s4, 0x7f
	v_cmp_lt_i16_e32 vcc, s4, v1
	s_mov_b64 s[4:5], 0
                                        ; implicit-def: $sgpr10
	s_and_saveexec_b64 s[6:7], vcc
	s_xor_b64 s[6:7], exec, s[6:7]
	s_cbranch_execnz .LBB36_4085
; %bb.2037:
	s_or_saveexec_b64 s[6:7], s[6:7]
	v_mov_b32_e32 v2, s10
	s_xor_b64 exec, exec, s[6:7]
	s_cbranch_execnz .LBB36_4088
.LBB36_2038:
	s_or_b64 exec, exec, s[6:7]
	s_and_saveexec_b64 s[6:7], s[4:5]
	s_cbranch_execz .LBB36_2040
.LBB36_2039:
	v_bfe_u32 v1, v3, 16, 3
	v_ffbh_u32_e32 v5, v1
	v_min_u32_e32 v5, 32, v5
	v_lshrrev_b32_e32 v2, 19, v3
	v_subrev_u32_e32 v6, 28, v5
	v_and_b32_e32 v2, 15, v2
	v_lshlrev_b32_sdwa v6, v6, v3 dst_sel:DWORD dst_unused:UNUSED_PAD src0_sel:DWORD src1_sel:WORD_1
	v_bfe_u32 v4, v3, 19, 4
	v_sub_u32_e32 v5, 29, v5
	v_and_b32_e32 v6, 7, v6
	v_cmp_eq_u16_e32 vcc, 0, v2
	v_cndmask_b32_e32 v1, v1, v6, vcc
	v_cndmask_b32_e32 v2, v4, v5, vcc
	v_lshlrev_b32_e32 v4, 8, v3
	v_mov_b32_e32 v5, 0x3b800000
	v_lshlrev_b32_e32 v1, 20, v1
	v_and_b32_e32 v4, 0x80000000, v4
	v_lshl_add_u32 v2, v2, 23, v5
	v_or3_b32 v2, v4, v2, v1
.LBB36_2040:
	s_or_b64 exec, exec, s[6:7]
	s_nop 0
	v_mfma_f32_16x16x4f32 a[0:3], v0, v2, a[0:3]
	s_movk_i32 s4, 0x7f
	v_cmp_gt_i16_sdwa s[6:7], v7, s4 src0_sel:BYTE_3 src1_sel:DWORD
	s_mov_b64 s[4:5], 0
                                        ; implicit-def: $sgpr10
	s_and_saveexec_b64 s[8:9], s[6:7]
	s_xor_b64 s[6:7], exec, s[8:9]
	s_cbranch_execnz .LBB36_4089
; %bb.2041:
	s_or_saveexec_b64 s[6:7], s[6:7]
	v_mov_b32_e32 v0, s10
	s_xor_b64 exec, exec, s[6:7]
	s_cbranch_execnz .LBB36_4092
.LBB36_2042:
	s_or_b64 exec, exec, s[6:7]
	s_and_saveexec_b64 s[6:7], s[4:5]
	s_cbranch_execz .LBB36_2044
.LBB36_2043:
	v_bfe_u32 v0, v7, 24, 3
	v_ffbh_u32_e32 v5, v0
	v_min_u32_e32 v5, 32, v5
	v_lshrrev_b32_e32 v2, 27, v7
	v_subrev_u32_e32 v6, 28, v5
	v_and_b32_e32 v2, 15, v2
	v_lshlrev_b32_sdwa v6, v6, v7 dst_sel:DWORD dst_unused:UNUSED_PAD src0_sel:DWORD src1_sel:BYTE_3
	v_bfe_u32 v4, v7, 27, 4
	v_sub_u32_e32 v5, 29, v5
	v_and_b32_e32 v6, 7, v6
	v_cmp_eq_u16_e32 vcc, 0, v2
	v_cndmask_b32_e32 v0, v0, v6, vcc
	v_cndmask_b32_e32 v2, v4, v5, vcc
	v_mov_b32_e32 v4, 0x3b800000
	v_and_b32_e32 v1, 0x80000000, v7
	v_lshlrev_b32_e32 v0, 20, v0
	v_lshl_add_u32 v2, v2, 23, v4
	v_or3_b32 v0, v1, v2, v0
.LBB36_2044:
	s_or_b64 exec, exec, s[6:7]
	s_movk_i32 s4, 0x7f
	v_cmp_gt_i16_sdwa s[6:7], v3, s4 src0_sel:BYTE_3 src1_sel:DWORD
	s_mov_b64 s[4:5], 0
                                        ; implicit-def: $sgpr10
	s_and_saveexec_b64 s[8:9], s[6:7]
	s_xor_b64 s[6:7], exec, s[8:9]
	s_cbranch_execnz .LBB36_4093
; %bb.2045:
	s_or_saveexec_b64 s[6:7], s[6:7]
	v_mov_b32_e32 v1, s10
	s_xor_b64 exec, exec, s[6:7]
	s_cbranch_execnz .LBB36_4096
.LBB36_2046:
	s_or_b64 exec, exec, s[6:7]
	s_and_saveexec_b64 s[6:7], s[4:5]
	s_cbranch_execz .LBB36_2048
.LBB36_2047:
	v_bfe_u32 v1, v3, 24, 3
	v_ffbh_u32_e32 v6, v1
	v_min_u32_e32 v6, 32, v6
	v_lshrrev_b32_e32 v4, 27, v3
	v_subrev_u32_e32 v7, 28, v6
	v_and_b32_e32 v2, 0x80000000, v3
	v_and_b32_e32 v4, 15, v4
	v_bfe_u32 v5, v3, 27, 4
	v_lshlrev_b32_sdwa v3, v7, v3 dst_sel:DWORD dst_unused:UNUSED_PAD src0_sel:DWORD src1_sel:BYTE_3
	v_sub_u32_e32 v6, 29, v6
	v_and_b32_e32 v3, 7, v3
	v_cmp_eq_u16_e32 vcc, 0, v4
	v_cndmask_b32_e32 v1, v1, v3, vcc
	v_cndmask_b32_e32 v3, v5, v6, vcc
	v_mov_b32_e32 v4, 0x3b800000
	v_lshlrev_b32_e32 v1, 20, v1
	v_lshl_add_u32 v3, v3, 23, v4
	v_or3_b32 v1, v2, v3, v1
.LBB36_2048:
	s_or_b64 exec, exec, s[6:7]
	s_nop 0
	v_mfma_f32_16x16x4f32 a[0:3], v0, v1, a[0:3]
	s_nop 7
	s_nop 2
	flat_store_dwordx4 v[16:17], a[0:3] offset:112
	s_waitcnt vmcnt(0) lgkmcnt(0)
	s_setpc_b64 s[30:31]
.LBB36_2049:
	s_movk_i32 s4, 0x80
	v_cmp_eq_u16_sdwa s[12:13], v14, s4 src0_sel:BYTE_0 src1_sel:DWORD
	s_mov_b64 s[4:5], -1
                                        ; implicit-def: $sgpr10
	s_and_saveexec_b64 s[8:9], s[12:13]
; %bb.2050:
	s_mov_b32 s10, 0x7f800001
	s_xor_b64 s[4:5], exec, -1
; %bb.2051:
	s_or_b64 exec, exec, s[8:9]
	s_and_b64 s[4:5], s[4:5], exec
	s_or_saveexec_b64 s[6:7], s[6:7]
	v_mov_b32_e32 v20, s10
	s_xor_b64 exec, exec, s[6:7]
	s_cbranch_execz .LBB36_2
.LBB36_2052:
	v_mov_b32_e32 v20, 0
	v_cmp_ne_u16_sdwa s[8:9], v14, v20 src0_sel:BYTE_0 src1_sel:DWORD
	s_andn2_b64 s[4:5], s[4:5], exec
	s_and_b64 s[8:9], s[8:9], exec
	s_or_b64 s[4:5], s[4:5], s[8:9]
	s_or_b64 exec, exec, s[6:7]
	s_and_saveexec_b64 s[6:7], s[4:5]
	s_cbranch_execnz .LBB36_3
	s_branch .LBB36_4
.LBB36_2053:
	s_movk_i32 s4, 0x80
	v_cmp_eq_u16_sdwa s[12:13], v10, s4 src0_sel:BYTE_0 src1_sel:DWORD
	s_mov_b64 s[4:5], -1
                                        ; implicit-def: $sgpr10
	s_and_saveexec_b64 s[8:9], s[12:13]
; %bb.2054:
	s_mov_b32 s10, 0x7f800001
	s_xor_b64 s[4:5], exec, -1
; %bb.2055:
	s_or_b64 exec, exec, s[8:9]
	s_and_b64 s[4:5], s[4:5], exec
	s_or_saveexec_b64 s[6:7], s[6:7]
	v_mov_b32_e32 v21, s10
	s_xor_b64 exec, exec, s[6:7]
	s_cbranch_execz .LBB36_6
.LBB36_2056:
	v_mov_b32_e32 v21, 0
	v_cmp_ne_u16_sdwa s[8:9], v10, v21 src0_sel:BYTE_0 src1_sel:DWORD
	s_andn2_b64 s[4:5], s[4:5], exec
	s_and_b64 s[8:9], s[8:9], exec
	s_or_b64 s[4:5], s[4:5], s[8:9]
	s_or_b64 exec, exec, s[6:7]
	s_and_saveexec_b64 s[6:7], s[4:5]
	s_cbranch_execnz .LBB36_7
	s_branch .LBB36_8
.LBB36_2057:
	s_movk_i32 s4, 0x80
	v_cmp_eq_u16_sdwa s[12:13], v21, s4 src0_sel:BYTE_0 src1_sel:DWORD
	s_mov_b64 s[4:5], -1
                                        ; implicit-def: $sgpr10
	s_and_saveexec_b64 s[8:9], s[12:13]
; %bb.2058:
	s_mov_b32 s10, 0x7f800001
	s_xor_b64 s[4:5], exec, -1
; %bb.2059:
	s_or_b64 exec, exec, s[8:9]
	s_and_b64 s[4:5], s[4:5], exec
	s_or_saveexec_b64 s[6:7], s[6:7]
	v_mov_b32_e32 v20, s10
	s_xor_b64 exec, exec, s[6:7]
	s_cbranch_execz .LBB36_10
.LBB36_2060:
	v_mov_b32_e32 v20, 0
	v_cmp_ne_u16_sdwa s[8:9], v21, v20 src0_sel:BYTE_0 src1_sel:DWORD
	s_andn2_b64 s[4:5], s[4:5], exec
	s_and_b64 s[8:9], s[8:9], exec
	s_or_b64 s[4:5], s[4:5], s[8:9]
	s_or_b64 exec, exec, s[6:7]
	s_and_saveexec_b64 s[6:7], s[4:5]
	s_cbranch_execnz .LBB36_11
	s_branch .LBB36_12
.LBB36_2061:
	s_movk_i32 s4, 0x80
	v_cmp_eq_u16_sdwa s[12:13], v21, s4 src0_sel:BYTE_0 src1_sel:DWORD
	s_mov_b64 s[4:5], -1
                                        ; implicit-def: $sgpr10
	s_and_saveexec_b64 s[8:9], s[12:13]
; %bb.2062:
	s_mov_b32 s10, 0x7f800001
	s_xor_b64 s[4:5], exec, -1
; %bb.2063:
	s_or_b64 exec, exec, s[8:9]
	s_and_b64 s[4:5], s[4:5], exec
	s_or_saveexec_b64 s[6:7], s[6:7]
	v_mov_b32_e32 v22, s10
	s_xor_b64 exec, exec, s[6:7]
	s_cbranch_execz .LBB36_14
.LBB36_2064:
	v_mov_b32_e32 v22, 0
	v_cmp_ne_u16_sdwa s[8:9], v21, v22 src0_sel:BYTE_0 src1_sel:DWORD
	s_andn2_b64 s[4:5], s[4:5], exec
	s_and_b64 s[8:9], s[8:9], exec
	s_or_b64 s[4:5], s[4:5], s[8:9]
	s_or_b64 exec, exec, s[6:7]
	s_and_saveexec_b64 s[6:7], s[4:5]
	s_cbranch_execnz .LBB36_15
	s_branch .LBB36_16
.LBB36_2065:
	s_movk_i32 s4, 0x80
	v_cmp_eq_u16_e32 vcc, s4, v21
	s_mov_b64 s[4:5], -1
                                        ; implicit-def: $sgpr10
	s_and_saveexec_b64 s[8:9], vcc
; %bb.2066:
	s_mov_b32 s10, 0x7f800001
	s_xor_b64 s[4:5], exec, -1
; %bb.2067:
	s_or_b64 exec, exec, s[8:9]
	s_and_b64 s[4:5], s[4:5], exec
                                        ; implicit-def: $vgpr21
	s_or_saveexec_b64 s[6:7], s[6:7]
	v_mov_b32_e32 v20, s10
	s_xor_b64 exec, exec, s[6:7]
	s_cbranch_execz .LBB36_18
.LBB36_2068:
	v_cmp_ne_u16_e32 vcc, 0, v21
	s_andn2_b64 s[4:5], s[4:5], exec
	s_and_b64 s[8:9], vcc, exec
	v_mov_b32_e32 v20, 0
	s_or_b64 s[4:5], s[4:5], s[8:9]
	s_or_b64 exec, exec, s[6:7]
	s_and_saveexec_b64 s[6:7], s[4:5]
	s_cbranch_execnz .LBB36_19
	s_branch .LBB36_20
.LBB36_2069:
	s_movk_i32 s4, 0x80
	v_cmp_eq_u16_e32 vcc, s4, v21
	s_mov_b64 s[4:5], -1
                                        ; implicit-def: $sgpr10
	s_and_saveexec_b64 s[8:9], vcc
; %bb.2070:
	s_mov_b32 s10, 0x7f800001
	s_xor_b64 s[4:5], exec, -1
; %bb.2071:
	s_or_b64 exec, exec, s[8:9]
	s_and_b64 s[4:5], s[4:5], exec
                                        ; implicit-def: $vgpr21
	s_or_saveexec_b64 s[6:7], s[6:7]
	v_mov_b32_e32 v22, s10
	s_xor_b64 exec, exec, s[6:7]
	s_cbranch_execz .LBB36_22
.LBB36_2072:
	v_cmp_ne_u16_e32 vcc, 0, v21
	s_andn2_b64 s[4:5], s[4:5], exec
	s_and_b64 s[8:9], vcc, exec
	v_mov_b32_e32 v22, 0
	s_or_b64 s[4:5], s[4:5], s[8:9]
	s_or_b64 exec, exec, s[6:7]
	s_and_saveexec_b64 s[6:7], s[4:5]
	s_cbranch_execnz .LBB36_23
	s_branch .LBB36_24
.LBB36_2073:
	s_movk_i32 s4, 0x80
	v_cmp_eq_u16_sdwa s[12:13], v14, s4 src0_sel:BYTE_3 src1_sel:DWORD
	s_mov_b64 s[4:5], -1
                                        ; implicit-def: $sgpr10
	s_and_saveexec_b64 s[8:9], s[12:13]
; %bb.2074:
	s_mov_b32 s10, 0x7f800001
	s_xor_b64 s[4:5], exec, -1
; %bb.2075:
	s_or_b64 exec, exec, s[8:9]
	s_and_b64 s[4:5], s[4:5], exec
	s_or_saveexec_b64 s[6:7], s[6:7]
	v_mov_b32_e32 v20, s10
	s_xor_b64 exec, exec, s[6:7]
	s_cbranch_execz .LBB36_26
.LBB36_2076:
	v_mov_b32_e32 v20, 0
	v_cmp_ne_u16_sdwa s[8:9], v14, v20 src0_sel:BYTE_3 src1_sel:DWORD
	s_andn2_b64 s[4:5], s[4:5], exec
	s_and_b64 s[8:9], s[8:9], exec
	s_or_b64 s[4:5], s[4:5], s[8:9]
	s_or_b64 exec, exec, s[6:7]
	s_and_saveexec_b64 s[6:7], s[4:5]
	s_cbranch_execnz .LBB36_27
	s_branch .LBB36_28
.LBB36_2077:
	s_movk_i32 s4, 0x80
	v_cmp_eq_u16_sdwa s[12:13], v10, s4 src0_sel:BYTE_3 src1_sel:DWORD
	s_mov_b64 s[4:5], -1
                                        ; implicit-def: $sgpr10
	s_and_saveexec_b64 s[8:9], s[12:13]
; %bb.2078:
	s_mov_b32 s10, 0x7f800001
	s_xor_b64 s[4:5], exec, -1
; %bb.2079:
	s_or_b64 exec, exec, s[8:9]
	s_and_b64 s[4:5], s[4:5], exec
	s_or_saveexec_b64 s[6:7], s[6:7]
	v_mov_b32_e32 v14, s10
	s_xor_b64 exec, exec, s[6:7]
	s_cbranch_execz .LBB36_30
.LBB36_2080:
	v_mov_b32_e32 v14, 0
	v_cmp_ne_u16_sdwa s[8:9], v10, v14 src0_sel:BYTE_3 src1_sel:DWORD
	s_andn2_b64 s[4:5], s[4:5], exec
	s_and_b64 s[8:9], s[8:9], exec
	s_or_b64 s[4:5], s[4:5], s[8:9]
	s_or_b64 exec, exec, s[6:7]
	s_and_saveexec_b64 s[6:7], s[4:5]
	s_cbranch_execnz .LBB36_31
	s_branch .LBB36_32
.LBB36_2081:
	s_movk_i32 s4, 0x80
	v_cmp_eq_u16_sdwa s[12:13], v15, s4 src0_sel:BYTE_0 src1_sel:DWORD
	s_mov_b64 s[4:5], -1
                                        ; implicit-def: $sgpr10
	s_and_saveexec_b64 s[8:9], s[12:13]
; %bb.2082:
	s_mov_b32 s10, 0x7f800001
	s_xor_b64 s[4:5], exec, -1
; %bb.2083:
	s_or_b64 exec, exec, s[8:9]
	s_and_b64 s[4:5], s[4:5], exec
	s_or_saveexec_b64 s[6:7], s[6:7]
	v_mov_b32_e32 v10, s10
	s_xor_b64 exec, exec, s[6:7]
	s_cbranch_execz .LBB36_34
.LBB36_2084:
	v_mov_b32_e32 v10, 0
	v_cmp_ne_u16_sdwa s[8:9], v15, v10 src0_sel:BYTE_0 src1_sel:DWORD
	s_andn2_b64 s[4:5], s[4:5], exec
	s_and_b64 s[8:9], s[8:9], exec
	s_or_b64 s[4:5], s[4:5], s[8:9]
	s_or_b64 exec, exec, s[6:7]
	s_and_saveexec_b64 s[6:7], s[4:5]
	s_cbranch_execnz .LBB36_35
	s_branch .LBB36_36
.LBB36_2085:
	s_movk_i32 s4, 0x80
	v_cmp_eq_u16_sdwa s[12:13], v11, s4 src0_sel:BYTE_0 src1_sel:DWORD
	s_mov_b64 s[4:5], -1
                                        ; implicit-def: $sgpr10
	s_and_saveexec_b64 s[8:9], s[12:13]
; %bb.2086:
	s_mov_b32 s10, 0x7f800001
	s_xor_b64 s[4:5], exec, -1
; %bb.2087:
	s_or_b64 exec, exec, s[8:9]
	s_and_b64 s[4:5], s[4:5], exec
	s_or_saveexec_b64 s[6:7], s[6:7]
	v_mov_b32_e32 v14, s10
	s_xor_b64 exec, exec, s[6:7]
	s_cbranch_execz .LBB36_38
.LBB36_2088:
	v_mov_b32_e32 v14, 0
	v_cmp_ne_u16_sdwa s[8:9], v11, v14 src0_sel:BYTE_0 src1_sel:DWORD
	s_andn2_b64 s[4:5], s[4:5], exec
	s_and_b64 s[8:9], s[8:9], exec
	s_or_b64 s[4:5], s[4:5], s[8:9]
	s_or_b64 exec, exec, s[6:7]
	s_and_saveexec_b64 s[6:7], s[4:5]
	s_cbranch_execnz .LBB36_39
	s_branch .LBB36_40
.LBB36_2089:
	s_movk_i32 s4, 0x80
	v_cmp_eq_u16_sdwa s[12:13], v14, s4 src0_sel:BYTE_0 src1_sel:DWORD
	s_mov_b64 s[4:5], -1
                                        ; implicit-def: $sgpr10
	s_and_saveexec_b64 s[8:9], s[12:13]
; %bb.2090:
	s_mov_b32 s10, 0x7f800001
	s_xor_b64 s[4:5], exec, -1
; %bb.2091:
	s_or_b64 exec, exec, s[8:9]
	s_and_b64 s[4:5], s[4:5], exec
	s_or_saveexec_b64 s[6:7], s[6:7]
	v_mov_b32_e32 v10, s10
	s_xor_b64 exec, exec, s[6:7]
	s_cbranch_execz .LBB36_42
.LBB36_2092:
	v_mov_b32_e32 v10, 0
	v_cmp_ne_u16_sdwa s[8:9], v14, v10 src0_sel:BYTE_0 src1_sel:DWORD
	s_andn2_b64 s[4:5], s[4:5], exec
	s_and_b64 s[8:9], s[8:9], exec
	s_or_b64 s[4:5], s[4:5], s[8:9]
	s_or_b64 exec, exec, s[6:7]
	s_and_saveexec_b64 s[6:7], s[4:5]
	s_cbranch_execnz .LBB36_43
	s_branch .LBB36_44
.LBB36_2093:
	s_movk_i32 s4, 0x80
	v_cmp_eq_u16_sdwa s[12:13], v14, s4 src0_sel:BYTE_0 src1_sel:DWORD
	s_mov_b64 s[4:5], -1
                                        ; implicit-def: $sgpr10
	s_and_saveexec_b64 s[8:9], s[12:13]
; %bb.2094:
	s_mov_b32 s10, 0x7f800001
	s_xor_b64 s[4:5], exec, -1
; %bb.2095:
	s_or_b64 exec, exec, s[8:9]
	s_and_b64 s[4:5], s[4:5], exec
	s_or_saveexec_b64 s[6:7], s[6:7]
	v_mov_b32_e32 v20, s10
	s_xor_b64 exec, exec, s[6:7]
	s_cbranch_execz .LBB36_46
.LBB36_2096:
	v_mov_b32_e32 v20, 0
	v_cmp_ne_u16_sdwa s[8:9], v14, v20 src0_sel:BYTE_0 src1_sel:DWORD
	s_andn2_b64 s[4:5], s[4:5], exec
	s_and_b64 s[8:9], s[8:9], exec
	s_or_b64 s[4:5], s[4:5], s[8:9]
	s_or_b64 exec, exec, s[6:7]
	s_and_saveexec_b64 s[6:7], s[4:5]
	s_cbranch_execnz .LBB36_47
	s_branch .LBB36_48
.LBB36_2097:
	s_movk_i32 s4, 0x80
	v_cmp_eq_u16_e32 vcc, s4, v14
	s_mov_b64 s[4:5], -1
                                        ; implicit-def: $sgpr10
	s_and_saveexec_b64 s[8:9], vcc
; %bb.2098:
	s_mov_b32 s10, 0x7f800001
	s_xor_b64 s[4:5], exec, -1
; %bb.2099:
	s_or_b64 exec, exec, s[8:9]
	s_and_b64 s[4:5], s[4:5], exec
                                        ; implicit-def: $vgpr14
	s_or_saveexec_b64 s[6:7], s[6:7]
	v_mov_b32_e32 v10, s10
	s_xor_b64 exec, exec, s[6:7]
	s_cbranch_execz .LBB36_50
.LBB36_2100:
	v_cmp_ne_u16_e32 vcc, 0, v14
	s_andn2_b64 s[4:5], s[4:5], exec
	s_and_b64 s[8:9], vcc, exec
	v_mov_b32_e32 v10, 0
	s_or_b64 s[4:5], s[4:5], s[8:9]
	s_or_b64 exec, exec, s[6:7]
	s_and_saveexec_b64 s[6:7], s[4:5]
	s_cbranch_execnz .LBB36_51
	s_branch .LBB36_52
.LBB36_2101:
	s_movk_i32 s4, 0x80
	v_cmp_eq_u16_e32 vcc, s4, v14
	s_mov_b64 s[4:5], -1
                                        ; implicit-def: $sgpr10
	s_and_saveexec_b64 s[8:9], vcc
; %bb.2102:
	s_mov_b32 s10, 0x7f800001
	s_xor_b64 s[4:5], exec, -1
; %bb.2103:
	s_or_b64 exec, exec, s[8:9]
	s_and_b64 s[4:5], s[4:5], exec
                                        ; implicit-def: $vgpr14
	s_or_saveexec_b64 s[6:7], s[6:7]
	v_mov_b32_e32 v20, s10
	s_xor_b64 exec, exec, s[6:7]
	s_cbranch_execz .LBB36_54
.LBB36_2104:
	v_cmp_ne_u16_e32 vcc, 0, v14
	s_andn2_b64 s[4:5], s[4:5], exec
	s_and_b64 s[8:9], vcc, exec
	v_mov_b32_e32 v20, 0
	s_or_b64 s[4:5], s[4:5], s[8:9]
	s_or_b64 exec, exec, s[6:7]
	s_and_saveexec_b64 s[6:7], s[4:5]
	s_cbranch_execnz .LBB36_55
	s_branch .LBB36_56
.LBB36_2105:
	s_movk_i32 s4, 0x80
	v_cmp_eq_u16_sdwa s[12:13], v15, s4 src0_sel:BYTE_3 src1_sel:DWORD
	s_mov_b64 s[4:5], -1
                                        ; implicit-def: $sgpr10
	s_and_saveexec_b64 s[8:9], s[12:13]
; %bb.2106:
	s_mov_b32 s10, 0x7f800001
	s_xor_b64 s[4:5], exec, -1
; %bb.2107:
	s_or_b64 exec, exec, s[8:9]
	s_and_b64 s[4:5], s[4:5], exec
	s_or_saveexec_b64 s[6:7], s[6:7]
	v_mov_b32_e32 v10, s10
	s_xor_b64 exec, exec, s[6:7]
	s_cbranch_execz .LBB36_58
.LBB36_2108:
	v_mov_b32_e32 v10, 0
	v_cmp_ne_u16_sdwa s[8:9], v15, v10 src0_sel:BYTE_3 src1_sel:DWORD
	s_andn2_b64 s[4:5], s[4:5], exec
	s_and_b64 s[8:9], s[8:9], exec
	s_or_b64 s[4:5], s[4:5], s[8:9]
	s_or_b64 exec, exec, s[6:7]
	s_and_saveexec_b64 s[6:7], s[4:5]
	s_cbranch_execnz .LBB36_59
	s_branch .LBB36_60
.LBB36_2109:
	s_movk_i32 s4, 0x80
	v_cmp_eq_u16_sdwa s[12:13], v11, s4 src0_sel:BYTE_3 src1_sel:DWORD
	s_mov_b64 s[4:5], -1
                                        ; implicit-def: $sgpr10
	s_and_saveexec_b64 s[8:9], s[12:13]
; %bb.2110:
	s_mov_b32 s10, 0x7f800001
	s_xor_b64 s[4:5], exec, -1
; %bb.2111:
	s_or_b64 exec, exec, s[8:9]
	s_and_b64 s[4:5], s[4:5], exec
	s_or_saveexec_b64 s[6:7], s[6:7]
	v_mov_b32_e32 v14, s10
	s_xor_b64 exec, exec, s[6:7]
	s_cbranch_execz .LBB36_62
.LBB36_2112:
	v_mov_b32_e32 v14, 0
	v_cmp_ne_u16_sdwa s[8:9], v11, v14 src0_sel:BYTE_3 src1_sel:DWORD
	s_andn2_b64 s[4:5], s[4:5], exec
	s_and_b64 s[8:9], s[8:9], exec
	s_or_b64 s[4:5], s[4:5], s[8:9]
	s_or_b64 exec, exec, s[6:7]
	s_and_saveexec_b64 s[6:7], s[4:5]
	s_cbranch_execnz .LBB36_63
	s_branch .LBB36_64
.LBB36_2113:
	s_movk_i32 s4, 0x80
	v_cmp_eq_u16_sdwa s[12:13], v16, s4 src0_sel:BYTE_0 src1_sel:DWORD
	s_mov_b64 s[4:5], -1
                                        ; implicit-def: $sgpr10
	s_and_saveexec_b64 s[8:9], s[12:13]
; %bb.2114:
	s_mov_b32 s10, 0x7f800001
	s_xor_b64 s[4:5], exec, -1
; %bb.2115:
	s_or_b64 exec, exec, s[8:9]
	s_and_b64 s[4:5], s[4:5], exec
	s_or_saveexec_b64 s[6:7], s[6:7]
	v_mov_b32_e32 v10, s10
	s_xor_b64 exec, exec, s[6:7]
	s_cbranch_execz .LBB36_66
.LBB36_2116:
	v_mov_b32_e32 v10, 0
	v_cmp_ne_u16_sdwa s[8:9], v16, v10 src0_sel:BYTE_0 src1_sel:DWORD
	s_andn2_b64 s[4:5], s[4:5], exec
	s_and_b64 s[8:9], s[8:9], exec
	s_or_b64 s[4:5], s[4:5], s[8:9]
	s_or_b64 exec, exec, s[6:7]
	s_and_saveexec_b64 s[6:7], s[4:5]
	s_cbranch_execnz .LBB36_67
	s_branch .LBB36_68
.LBB36_2117:
	s_movk_i32 s4, 0x80
	v_cmp_eq_u16_sdwa s[12:13], v12, s4 src0_sel:BYTE_0 src1_sel:DWORD
	s_mov_b64 s[4:5], -1
                                        ; implicit-def: $sgpr10
	s_and_saveexec_b64 s[8:9], s[12:13]
; %bb.2118:
	s_mov_b32 s10, 0x7f800001
	s_xor_b64 s[4:5], exec, -1
; %bb.2119:
	s_or_b64 exec, exec, s[8:9]
	s_and_b64 s[4:5], s[4:5], exec
	s_or_saveexec_b64 s[6:7], s[6:7]
	v_mov_b32_e32 v11, s10
	s_xor_b64 exec, exec, s[6:7]
	s_cbranch_execz .LBB36_70
.LBB36_2120:
	v_mov_b32_e32 v11, 0
	v_cmp_ne_u16_sdwa s[8:9], v12, v11 src0_sel:BYTE_0 src1_sel:DWORD
	s_andn2_b64 s[4:5], s[4:5], exec
	s_and_b64 s[8:9], s[8:9], exec
	s_or_b64 s[4:5], s[4:5], s[8:9]
	s_or_b64 exec, exec, s[6:7]
	s_and_saveexec_b64 s[6:7], s[4:5]
	s_cbranch_execnz .LBB36_71
	s_branch .LBB36_72
.LBB36_2121:
	s_movk_i32 s4, 0x80
	v_cmp_eq_u16_sdwa s[12:13], v11, s4 src0_sel:BYTE_0 src1_sel:DWORD
	s_mov_b64 s[4:5], -1
                                        ; implicit-def: $sgpr10
	s_and_saveexec_b64 s[8:9], s[12:13]
; %bb.2122:
	s_mov_b32 s10, 0x7f800001
	s_xor_b64 s[4:5], exec, -1
; %bb.2123:
	s_or_b64 exec, exec, s[8:9]
	s_and_b64 s[4:5], s[4:5], exec
	s_or_saveexec_b64 s[6:7], s[6:7]
	v_mov_b32_e32 v10, s10
	s_xor_b64 exec, exec, s[6:7]
	s_cbranch_execz .LBB36_74
.LBB36_2124:
	v_mov_b32_e32 v10, 0
	v_cmp_ne_u16_sdwa s[8:9], v11, v10 src0_sel:BYTE_0 src1_sel:DWORD
	s_andn2_b64 s[4:5], s[4:5], exec
	s_and_b64 s[8:9], s[8:9], exec
	s_or_b64 s[4:5], s[4:5], s[8:9]
	s_or_b64 exec, exec, s[6:7]
	s_and_saveexec_b64 s[6:7], s[4:5]
	s_cbranch_execnz .LBB36_75
	s_branch .LBB36_76
.LBB36_2125:
	s_movk_i32 s4, 0x80
	v_cmp_eq_u16_sdwa s[12:13], v11, s4 src0_sel:BYTE_0 src1_sel:DWORD
	s_mov_b64 s[4:5], -1
                                        ; implicit-def: $sgpr10
	s_and_saveexec_b64 s[8:9], s[12:13]
; %bb.2126:
	s_mov_b32 s10, 0x7f800001
	s_xor_b64 s[4:5], exec, -1
; %bb.2127:
	s_or_b64 exec, exec, s[8:9]
	s_and_b64 s[4:5], s[4:5], exec
	s_or_saveexec_b64 s[6:7], s[6:7]
	v_mov_b32_e32 v14, s10
	s_xor_b64 exec, exec, s[6:7]
	s_cbranch_execz .LBB36_78
.LBB36_2128:
	v_mov_b32_e32 v14, 0
	v_cmp_ne_u16_sdwa s[8:9], v11, v14 src0_sel:BYTE_0 src1_sel:DWORD
	s_andn2_b64 s[4:5], s[4:5], exec
	s_and_b64 s[8:9], s[8:9], exec
	s_or_b64 s[4:5], s[4:5], s[8:9]
	s_or_b64 exec, exec, s[6:7]
	s_and_saveexec_b64 s[6:7], s[4:5]
	s_cbranch_execnz .LBB36_79
	s_branch .LBB36_80
.LBB36_2129:
	s_movk_i32 s4, 0x80
	v_cmp_eq_u16_e32 vcc, s4, v11
	s_mov_b64 s[4:5], -1
                                        ; implicit-def: $sgpr10
	s_and_saveexec_b64 s[8:9], vcc
; %bb.2130:
	s_mov_b32 s10, 0x7f800001
	s_xor_b64 s[4:5], exec, -1
; %bb.2131:
	s_or_b64 exec, exec, s[8:9]
	s_and_b64 s[4:5], s[4:5], exec
                                        ; implicit-def: $vgpr11
	s_or_saveexec_b64 s[6:7], s[6:7]
	v_mov_b32_e32 v10, s10
	s_xor_b64 exec, exec, s[6:7]
	s_cbranch_execz .LBB36_82
.LBB36_2132:
	v_cmp_ne_u16_e32 vcc, 0, v11
	s_andn2_b64 s[4:5], s[4:5], exec
	s_and_b64 s[8:9], vcc, exec
	v_mov_b32_e32 v10, 0
	s_or_b64 s[4:5], s[4:5], s[8:9]
	s_or_b64 exec, exec, s[6:7]
	s_and_saveexec_b64 s[6:7], s[4:5]
	s_cbranch_execnz .LBB36_83
	s_branch .LBB36_84
.LBB36_2133:
	s_movk_i32 s4, 0x80
	v_cmp_eq_u16_e32 vcc, s4, v11
	s_mov_b64 s[4:5], -1
                                        ; implicit-def: $sgpr10
	s_and_saveexec_b64 s[8:9], vcc
; %bb.2134:
	s_mov_b32 s10, 0x7f800001
	s_xor_b64 s[4:5], exec, -1
; %bb.2135:
	s_or_b64 exec, exec, s[8:9]
	s_and_b64 s[4:5], s[4:5], exec
                                        ; implicit-def: $vgpr11
	s_or_saveexec_b64 s[6:7], s[6:7]
	v_mov_b32_e32 v14, s10
	s_xor_b64 exec, exec, s[6:7]
	s_cbranch_execz .LBB36_86
.LBB36_2136:
	v_cmp_ne_u16_e32 vcc, 0, v11
	s_andn2_b64 s[4:5], s[4:5], exec
	s_and_b64 s[8:9], vcc, exec
	v_mov_b32_e32 v14, 0
	s_or_b64 s[4:5], s[4:5], s[8:9]
	s_or_b64 exec, exec, s[6:7]
	s_and_saveexec_b64 s[6:7], s[4:5]
	s_cbranch_execnz .LBB36_87
	s_branch .LBB36_88
.LBB36_2137:
	s_movk_i32 s4, 0x80
	v_cmp_eq_u16_sdwa s[12:13], v16, s4 src0_sel:BYTE_3 src1_sel:DWORD
	s_mov_b64 s[4:5], -1
                                        ; implicit-def: $sgpr10
	s_and_saveexec_b64 s[8:9], s[12:13]
; %bb.2138:
	s_mov_b32 s10, 0x7f800001
	s_xor_b64 s[4:5], exec, -1
; %bb.2139:
	s_or_b64 exec, exec, s[8:9]
	s_and_b64 s[4:5], s[4:5], exec
	s_or_saveexec_b64 s[6:7], s[6:7]
	v_mov_b32_e32 v10, s10
	s_xor_b64 exec, exec, s[6:7]
	s_cbranch_execz .LBB36_90
.LBB36_2140:
	v_mov_b32_e32 v10, 0
	v_cmp_ne_u16_sdwa s[8:9], v16, v10 src0_sel:BYTE_3 src1_sel:DWORD
	s_andn2_b64 s[4:5], s[4:5], exec
	s_and_b64 s[8:9], s[8:9], exec
	s_or_b64 s[4:5], s[4:5], s[8:9]
	s_or_b64 exec, exec, s[6:7]
	s_and_saveexec_b64 s[6:7], s[4:5]
	s_cbranch_execnz .LBB36_91
	s_branch .LBB36_92
.LBB36_2141:
	s_movk_i32 s4, 0x80
	v_cmp_eq_u16_sdwa s[12:13], v12, s4 src0_sel:BYTE_3 src1_sel:DWORD
	s_mov_b64 s[4:5], -1
                                        ; implicit-def: $sgpr10
	s_and_saveexec_b64 s[8:9], s[12:13]
; %bb.2142:
	s_mov_b32 s10, 0x7f800001
	s_xor_b64 s[4:5], exec, -1
; %bb.2143:
	s_or_b64 exec, exec, s[8:9]
	s_and_b64 s[4:5], s[4:5], exec
	s_or_saveexec_b64 s[6:7], s[6:7]
	v_mov_b32_e32 v11, s10
	s_xor_b64 exec, exec, s[6:7]
	s_cbranch_execz .LBB36_94
.LBB36_2144:
	v_mov_b32_e32 v11, 0
	v_cmp_ne_u16_sdwa s[8:9], v12, v11 src0_sel:BYTE_3 src1_sel:DWORD
	s_andn2_b64 s[4:5], s[4:5], exec
	s_and_b64 s[8:9], s[8:9], exec
	s_or_b64 s[4:5], s[4:5], s[8:9]
	s_or_b64 exec, exec, s[6:7]
	s_and_saveexec_b64 s[6:7], s[4:5]
	s_cbranch_execnz .LBB36_95
	s_branch .LBB36_96
.LBB36_2145:
	s_movk_i32 s4, 0x80
	v_cmp_eq_u16_sdwa s[12:13], v17, s4 src0_sel:BYTE_0 src1_sel:DWORD
	s_mov_b64 s[4:5], -1
                                        ; implicit-def: $sgpr10
	s_and_saveexec_b64 s[8:9], s[12:13]
; %bb.2146:
	s_mov_b32 s10, 0x7f800001
	s_xor_b64 s[4:5], exec, -1
; %bb.2147:
	s_or_b64 exec, exec, s[8:9]
	s_and_b64 s[4:5], s[4:5], exec
	s_or_saveexec_b64 s[6:7], s[6:7]
	v_mov_b32_e32 v10, s10
	s_xor_b64 exec, exec, s[6:7]
	s_cbranch_execz .LBB36_98
.LBB36_2148:
	v_mov_b32_e32 v10, 0
	v_cmp_ne_u16_sdwa s[8:9], v17, v10 src0_sel:BYTE_0 src1_sel:DWORD
	s_andn2_b64 s[4:5], s[4:5], exec
	s_and_b64 s[8:9], s[8:9], exec
	s_or_b64 s[4:5], s[4:5], s[8:9]
	s_or_b64 exec, exec, s[6:7]
	s_and_saveexec_b64 s[6:7], s[4:5]
	s_cbranch_execnz .LBB36_99
	s_branch .LBB36_100
.LBB36_2149:
	s_movk_i32 s4, 0x80
	v_cmp_eq_u16_sdwa s[12:13], v13, s4 src0_sel:BYTE_0 src1_sel:DWORD
	s_mov_b64 s[4:5], -1
                                        ; implicit-def: $sgpr10
	s_and_saveexec_b64 s[8:9], s[12:13]
; %bb.2150:
	s_mov_b32 s10, 0x7f800001
	s_xor_b64 s[4:5], exec, -1
; %bb.2151:
	s_or_b64 exec, exec, s[8:9]
	s_and_b64 s[4:5], s[4:5], exec
	s_or_saveexec_b64 s[6:7], s[6:7]
	v_mov_b32_e32 v11, s10
	s_xor_b64 exec, exec, s[6:7]
	s_cbranch_execz .LBB36_102
.LBB36_2152:
	v_mov_b32_e32 v11, 0
	v_cmp_ne_u16_sdwa s[8:9], v13, v11 src0_sel:BYTE_0 src1_sel:DWORD
	s_andn2_b64 s[4:5], s[4:5], exec
	s_and_b64 s[8:9], s[8:9], exec
	s_or_b64 s[4:5], s[4:5], s[8:9]
	s_or_b64 exec, exec, s[6:7]
	s_and_saveexec_b64 s[6:7], s[4:5]
	s_cbranch_execnz .LBB36_103
	s_branch .LBB36_104
.LBB36_2153:
	s_movk_i32 s4, 0x80
	v_cmp_eq_u16_sdwa s[12:13], v11, s4 src0_sel:BYTE_0 src1_sel:DWORD
	s_mov_b64 s[4:5], -1
                                        ; implicit-def: $sgpr10
	s_and_saveexec_b64 s[8:9], s[12:13]
; %bb.2154:
	s_mov_b32 s10, 0x7f800001
	s_xor_b64 s[4:5], exec, -1
; %bb.2155:
	s_or_b64 exec, exec, s[8:9]
	s_and_b64 s[4:5], s[4:5], exec
	s_or_saveexec_b64 s[6:7], s[6:7]
	v_mov_b32_e32 v10, s10
	s_xor_b64 exec, exec, s[6:7]
	s_cbranch_execz .LBB36_106
.LBB36_2156:
	v_mov_b32_e32 v10, 0
	v_cmp_ne_u16_sdwa s[8:9], v11, v10 src0_sel:BYTE_0 src1_sel:DWORD
	s_andn2_b64 s[4:5], s[4:5], exec
	s_and_b64 s[8:9], s[8:9], exec
	s_or_b64 s[4:5], s[4:5], s[8:9]
	s_or_b64 exec, exec, s[6:7]
	s_and_saveexec_b64 s[6:7], s[4:5]
	s_cbranch_execnz .LBB36_107
	s_branch .LBB36_108
.LBB36_2157:
	s_movk_i32 s4, 0x80
	v_cmp_eq_u16_sdwa s[12:13], v11, s4 src0_sel:BYTE_0 src1_sel:DWORD
	s_mov_b64 s[4:5], -1
                                        ; implicit-def: $sgpr10
	s_and_saveexec_b64 s[8:9], s[12:13]
; %bb.2158:
	s_mov_b32 s10, 0x7f800001
	s_xor_b64 s[4:5], exec, -1
; %bb.2159:
	s_or_b64 exec, exec, s[8:9]
	s_and_b64 s[4:5], s[4:5], exec
	s_or_saveexec_b64 s[6:7], s[6:7]
	v_mov_b32_e32 v12, s10
	s_xor_b64 exec, exec, s[6:7]
	s_cbranch_execz .LBB36_110
.LBB36_2160:
	v_mov_b32_e32 v12, 0
	v_cmp_ne_u16_sdwa s[8:9], v11, v12 src0_sel:BYTE_0 src1_sel:DWORD
	s_andn2_b64 s[4:5], s[4:5], exec
	s_and_b64 s[8:9], s[8:9], exec
	s_or_b64 s[4:5], s[4:5], s[8:9]
	s_or_b64 exec, exec, s[6:7]
	s_and_saveexec_b64 s[6:7], s[4:5]
	s_cbranch_execnz .LBB36_111
	s_branch .LBB36_112
.LBB36_2161:
	s_movk_i32 s4, 0x80
	v_cmp_eq_u16_e32 vcc, s4, v11
	s_mov_b64 s[4:5], -1
                                        ; implicit-def: $sgpr10
	s_and_saveexec_b64 s[8:9], vcc
; %bb.2162:
	s_mov_b32 s10, 0x7f800001
	s_xor_b64 s[4:5], exec, -1
; %bb.2163:
	s_or_b64 exec, exec, s[8:9]
	s_and_b64 s[4:5], s[4:5], exec
                                        ; implicit-def: $vgpr11
	s_or_saveexec_b64 s[6:7], s[6:7]
	v_mov_b32_e32 v10, s10
	s_xor_b64 exec, exec, s[6:7]
	s_cbranch_execz .LBB36_114
.LBB36_2164:
	v_cmp_ne_u16_e32 vcc, 0, v11
	s_andn2_b64 s[4:5], s[4:5], exec
	s_and_b64 s[8:9], vcc, exec
	v_mov_b32_e32 v10, 0
	s_or_b64 s[4:5], s[4:5], s[8:9]
	s_or_b64 exec, exec, s[6:7]
	s_and_saveexec_b64 s[6:7], s[4:5]
	s_cbranch_execnz .LBB36_115
	s_branch .LBB36_116
.LBB36_2165:
	s_movk_i32 s4, 0x80
	v_cmp_eq_u16_e32 vcc, s4, v11
	s_mov_b64 s[4:5], -1
                                        ; implicit-def: $sgpr10
	s_and_saveexec_b64 s[8:9], vcc
; %bb.2166:
	s_mov_b32 s10, 0x7f800001
	s_xor_b64 s[4:5], exec, -1
; %bb.2167:
	s_or_b64 exec, exec, s[8:9]
	s_and_b64 s[4:5], s[4:5], exec
                                        ; implicit-def: $vgpr11
	s_or_saveexec_b64 s[6:7], s[6:7]
	v_mov_b32_e32 v12, s10
	s_xor_b64 exec, exec, s[6:7]
	s_cbranch_execz .LBB36_118
.LBB36_2168:
	v_cmp_ne_u16_e32 vcc, 0, v11
	s_andn2_b64 s[4:5], s[4:5], exec
	s_and_b64 s[8:9], vcc, exec
	v_mov_b32_e32 v12, 0
	s_or_b64 s[4:5], s[4:5], s[8:9]
	s_or_b64 exec, exec, s[6:7]
	s_and_saveexec_b64 s[6:7], s[4:5]
	s_cbranch_execnz .LBB36_119
	s_branch .LBB36_120
.LBB36_2169:
	s_movk_i32 s4, 0x80
	v_cmp_eq_u16_sdwa s[12:13], v17, s4 src0_sel:BYTE_3 src1_sel:DWORD
	s_mov_b64 s[4:5], -1
                                        ; implicit-def: $sgpr10
	s_and_saveexec_b64 s[8:9], s[12:13]
; %bb.2170:
	s_mov_b32 s10, 0x7f800001
	s_xor_b64 s[4:5], exec, -1
; %bb.2171:
	s_or_b64 exec, exec, s[8:9]
	s_and_b64 s[4:5], s[4:5], exec
	s_or_saveexec_b64 s[6:7], s[6:7]
	v_mov_b32_e32 v10, s10
	s_xor_b64 exec, exec, s[6:7]
	s_cbranch_execz .LBB36_122
.LBB36_2172:
	v_mov_b32_e32 v10, 0
	v_cmp_ne_u16_sdwa s[8:9], v17, v10 src0_sel:BYTE_3 src1_sel:DWORD
	s_andn2_b64 s[4:5], s[4:5], exec
	s_and_b64 s[8:9], s[8:9], exec
	s_or_b64 s[4:5], s[4:5], s[8:9]
	s_or_b64 exec, exec, s[6:7]
	s_and_saveexec_b64 s[6:7], s[4:5]
	s_cbranch_execnz .LBB36_123
	s_branch .LBB36_124
.LBB36_2173:
	s_movk_i32 s4, 0x80
	v_cmp_eq_u16_sdwa s[12:13], v13, s4 src0_sel:BYTE_3 src1_sel:DWORD
	s_mov_b64 s[4:5], -1
                                        ; implicit-def: $sgpr10
	s_and_saveexec_b64 s[8:9], s[12:13]
; %bb.2174:
	s_mov_b32 s10, 0x7f800001
	s_xor_b64 s[4:5], exec, -1
; %bb.2175:
	s_or_b64 exec, exec, s[8:9]
	s_and_b64 s[4:5], s[4:5], exec
	s_or_saveexec_b64 s[6:7], s[6:7]
	v_mov_b32_e32 v11, s10
	s_xor_b64 exec, exec, s[6:7]
	s_cbranch_execz .LBB36_126
.LBB36_2176:
	v_mov_b32_e32 v11, 0
	v_cmp_ne_u16_sdwa s[8:9], v13, v11 src0_sel:BYTE_3 src1_sel:DWORD
	s_andn2_b64 s[4:5], s[4:5], exec
	s_and_b64 s[8:9], s[8:9], exec
	s_or_b64 s[4:5], s[4:5], s[8:9]
	s_or_b64 exec, exec, s[6:7]
	s_and_saveexec_b64 s[6:7], s[4:5]
	s_cbranch_execnz .LBB36_127
	s_branch .LBB36_128
.LBB36_2177:
	s_movk_i32 s4, 0x80
	v_cmp_eq_u16_sdwa s[12:13], v6, s4 src0_sel:BYTE_0 src1_sel:DWORD
	s_mov_b64 s[4:5], -1
                                        ; implicit-def: $sgpr10
	s_and_saveexec_b64 s[8:9], s[12:13]
; %bb.2178:
	s_mov_b32 s10, 0x7f800001
	s_xor_b64 s[4:5], exec, -1
; %bb.2179:
	s_or_b64 exec, exec, s[8:9]
	s_and_b64 s[4:5], s[4:5], exec
	s_or_saveexec_b64 s[6:7], s[6:7]
	v_mov_b32_e32 v10, s10
	s_xor_b64 exec, exec, s[6:7]
	s_cbranch_execz .LBB36_130
.LBB36_2180:
	v_mov_b32_e32 v10, 0
	v_cmp_ne_u16_sdwa s[8:9], v6, v10 src0_sel:BYTE_0 src1_sel:DWORD
	s_andn2_b64 s[4:5], s[4:5], exec
	s_and_b64 s[8:9], s[8:9], exec
	s_or_b64 s[4:5], s[4:5], s[8:9]
	s_or_b64 exec, exec, s[6:7]
	s_and_saveexec_b64 s[6:7], s[4:5]
	s_cbranch_execnz .LBB36_131
	s_branch .LBB36_132
.LBB36_2181:
	s_movk_i32 s4, 0x80
	v_cmp_eq_u16_sdwa s[12:13], v2, s4 src0_sel:BYTE_0 src1_sel:DWORD
	s_mov_b64 s[4:5], -1
                                        ; implicit-def: $sgpr10
	s_and_saveexec_b64 s[8:9], s[12:13]
; %bb.2182:
	s_mov_b32 s10, 0x7f800001
	s_xor_b64 s[4:5], exec, -1
; %bb.2183:
	s_or_b64 exec, exec, s[8:9]
	s_and_b64 s[4:5], s[4:5], exec
	s_or_saveexec_b64 s[6:7], s[6:7]
	v_mov_b32_e32 v11, s10
	s_xor_b64 exec, exec, s[6:7]
	s_cbranch_execz .LBB36_134
.LBB36_2184:
	v_mov_b32_e32 v11, 0
	v_cmp_ne_u16_sdwa s[8:9], v2, v11 src0_sel:BYTE_0 src1_sel:DWORD
	s_andn2_b64 s[4:5], s[4:5], exec
	s_and_b64 s[8:9], s[8:9], exec
	s_or_b64 s[4:5], s[4:5], s[8:9]
	s_or_b64 exec, exec, s[6:7]
	s_and_saveexec_b64 s[6:7], s[4:5]
	s_cbranch_execnz .LBB36_135
	s_branch .LBB36_136
.LBB36_2185:
	s_movk_i32 s4, 0x80
	v_cmp_eq_u16_sdwa s[12:13], v11, s4 src0_sel:BYTE_0 src1_sel:DWORD
	s_mov_b64 s[4:5], -1
                                        ; implicit-def: $sgpr10
	s_and_saveexec_b64 s[8:9], s[12:13]
; %bb.2186:
	s_mov_b32 s10, 0x7f800001
	s_xor_b64 s[4:5], exec, -1
; %bb.2187:
	s_or_b64 exec, exec, s[8:9]
	s_and_b64 s[4:5], s[4:5], exec
	s_or_saveexec_b64 s[6:7], s[6:7]
	v_mov_b32_e32 v10, s10
	s_xor_b64 exec, exec, s[6:7]
	s_cbranch_execz .LBB36_138
.LBB36_2188:
	v_mov_b32_e32 v10, 0
	v_cmp_ne_u16_sdwa s[8:9], v11, v10 src0_sel:BYTE_0 src1_sel:DWORD
	s_andn2_b64 s[4:5], s[4:5], exec
	s_and_b64 s[8:9], s[8:9], exec
	s_or_b64 s[4:5], s[4:5], s[8:9]
	s_or_b64 exec, exec, s[6:7]
	s_and_saveexec_b64 s[6:7], s[4:5]
	s_cbranch_execnz .LBB36_139
	s_branch .LBB36_140
.LBB36_2189:
	s_movk_i32 s4, 0x80
	v_cmp_eq_u16_sdwa s[12:13], v11, s4 src0_sel:BYTE_0 src1_sel:DWORD
	s_mov_b64 s[4:5], -1
                                        ; implicit-def: $sgpr10
	s_and_saveexec_b64 s[8:9], s[12:13]
; %bb.2190:
	s_mov_b32 s10, 0x7f800001
	s_xor_b64 s[4:5], exec, -1
; %bb.2191:
	s_or_b64 exec, exec, s[8:9]
	s_and_b64 s[4:5], s[4:5], exec
	s_or_saveexec_b64 s[6:7], s[6:7]
	v_mov_b32_e32 v12, s10
	s_xor_b64 exec, exec, s[6:7]
	s_cbranch_execz .LBB36_142
.LBB36_2192:
	v_mov_b32_e32 v12, 0
	v_cmp_ne_u16_sdwa s[8:9], v11, v12 src0_sel:BYTE_0 src1_sel:DWORD
	s_andn2_b64 s[4:5], s[4:5], exec
	s_and_b64 s[8:9], s[8:9], exec
	s_or_b64 s[4:5], s[4:5], s[8:9]
	s_or_b64 exec, exec, s[6:7]
	s_and_saveexec_b64 s[6:7], s[4:5]
	s_cbranch_execnz .LBB36_143
	s_branch .LBB36_144
.LBB36_2193:
	s_movk_i32 s4, 0x80
	v_cmp_eq_u16_e32 vcc, s4, v11
	s_mov_b64 s[4:5], -1
                                        ; implicit-def: $sgpr10
	s_and_saveexec_b64 s[8:9], vcc
; %bb.2194:
	s_mov_b32 s10, 0x7f800001
	s_xor_b64 s[4:5], exec, -1
; %bb.2195:
	s_or_b64 exec, exec, s[8:9]
	s_and_b64 s[4:5], s[4:5], exec
                                        ; implicit-def: $vgpr11
	s_or_saveexec_b64 s[6:7], s[6:7]
	v_mov_b32_e32 v10, s10
	s_xor_b64 exec, exec, s[6:7]
	s_cbranch_execz .LBB36_146
.LBB36_2196:
	v_cmp_ne_u16_e32 vcc, 0, v11
	s_andn2_b64 s[4:5], s[4:5], exec
	s_and_b64 s[8:9], vcc, exec
	v_mov_b32_e32 v10, 0
	s_or_b64 s[4:5], s[4:5], s[8:9]
	s_or_b64 exec, exec, s[6:7]
	s_and_saveexec_b64 s[6:7], s[4:5]
	s_cbranch_execnz .LBB36_147
	s_branch .LBB36_148
.LBB36_2197:
	s_movk_i32 s4, 0x80
	v_cmp_eq_u16_e32 vcc, s4, v11
	s_mov_b64 s[4:5], -1
                                        ; implicit-def: $sgpr10
	s_and_saveexec_b64 s[8:9], vcc
; %bb.2198:
	s_mov_b32 s10, 0x7f800001
	s_xor_b64 s[4:5], exec, -1
; %bb.2199:
	s_or_b64 exec, exec, s[8:9]
	s_and_b64 s[4:5], s[4:5], exec
                                        ; implicit-def: $vgpr11
	s_or_saveexec_b64 s[6:7], s[6:7]
	v_mov_b32_e32 v12, s10
	s_xor_b64 exec, exec, s[6:7]
	s_cbranch_execz .LBB36_150
.LBB36_2200:
	v_cmp_ne_u16_e32 vcc, 0, v11
	s_andn2_b64 s[4:5], s[4:5], exec
	s_and_b64 s[8:9], vcc, exec
	v_mov_b32_e32 v12, 0
	s_or_b64 s[4:5], s[4:5], s[8:9]
	s_or_b64 exec, exec, s[6:7]
	s_and_saveexec_b64 s[6:7], s[4:5]
	s_cbranch_execnz .LBB36_151
	s_branch .LBB36_152
.LBB36_2201:
	s_movk_i32 s4, 0x80
	v_cmp_eq_u16_sdwa s[12:13], v6, s4 src0_sel:BYTE_3 src1_sel:DWORD
	s_mov_b64 s[4:5], -1
                                        ; implicit-def: $sgpr10
	s_and_saveexec_b64 s[8:9], s[12:13]
; %bb.2202:
	s_mov_b32 s10, 0x7f800001
	s_xor_b64 s[4:5], exec, -1
; %bb.2203:
	s_or_b64 exec, exec, s[8:9]
	s_and_b64 s[4:5], s[4:5], exec
	s_or_saveexec_b64 s[6:7], s[6:7]
	v_mov_b32_e32 v10, s10
	s_xor_b64 exec, exec, s[6:7]
	s_cbranch_execz .LBB36_154
.LBB36_2204:
	v_mov_b32_e32 v10, 0
	v_cmp_ne_u16_sdwa s[8:9], v6, v10 src0_sel:BYTE_3 src1_sel:DWORD
	s_andn2_b64 s[4:5], s[4:5], exec
	s_and_b64 s[8:9], s[8:9], exec
	s_or_b64 s[4:5], s[4:5], s[8:9]
	s_or_b64 exec, exec, s[6:7]
	s_and_saveexec_b64 s[6:7], s[4:5]
	s_cbranch_execnz .LBB36_155
	s_branch .LBB36_156
.LBB36_2205:
	s_movk_i32 s4, 0x80
	v_cmp_eq_u16_sdwa s[12:13], v2, s4 src0_sel:BYTE_3 src1_sel:DWORD
	s_mov_b64 s[4:5], -1
                                        ; implicit-def: $sgpr10
	s_and_saveexec_b64 s[8:9], s[12:13]
; %bb.2206:
	s_mov_b32 s10, 0x7f800001
	s_xor_b64 s[4:5], exec, -1
; %bb.2207:
	s_or_b64 exec, exec, s[8:9]
	s_and_b64 s[4:5], s[4:5], exec
	s_or_saveexec_b64 s[6:7], s[6:7]
	v_mov_b32_e32 v6, s10
	s_xor_b64 exec, exec, s[6:7]
	s_cbranch_execz .LBB36_158
.LBB36_2208:
	v_mov_b32_e32 v6, 0
	v_cmp_ne_u16_sdwa s[8:9], v2, v6 src0_sel:BYTE_3 src1_sel:DWORD
	s_andn2_b64 s[4:5], s[4:5], exec
	s_and_b64 s[8:9], s[8:9], exec
	s_or_b64 s[4:5], s[4:5], s[8:9]
	s_or_b64 exec, exec, s[6:7]
	s_and_saveexec_b64 s[6:7], s[4:5]
	s_cbranch_execnz .LBB36_159
	s_branch .LBB36_160
.LBB36_2209:
	s_movk_i32 s4, 0x80
	v_cmp_eq_u16_sdwa s[12:13], v7, s4 src0_sel:BYTE_0 src1_sel:DWORD
	s_mov_b64 s[4:5], -1
                                        ; implicit-def: $sgpr10
	s_and_saveexec_b64 s[8:9], s[12:13]
; %bb.2210:
	s_mov_b32 s10, 0x7f800001
	s_xor_b64 s[4:5], exec, -1
; %bb.2211:
	s_or_b64 exec, exec, s[8:9]
	s_and_b64 s[4:5], s[4:5], exec
	s_or_saveexec_b64 s[6:7], s[6:7]
	v_mov_b32_e32 v2, s10
	s_xor_b64 exec, exec, s[6:7]
	s_cbranch_execz .LBB36_162
.LBB36_2212:
	v_mov_b32_e32 v2, 0
	v_cmp_ne_u16_sdwa s[8:9], v7, v2 src0_sel:BYTE_0 src1_sel:DWORD
	s_andn2_b64 s[4:5], s[4:5], exec
	s_and_b64 s[8:9], s[8:9], exec
	s_or_b64 s[4:5], s[4:5], s[8:9]
	s_or_b64 exec, exec, s[6:7]
	s_and_saveexec_b64 s[6:7], s[4:5]
	s_cbranch_execnz .LBB36_163
	s_branch .LBB36_164
.LBB36_2213:
	s_movk_i32 s4, 0x80
	v_cmp_eq_u16_sdwa s[12:13], v3, s4 src0_sel:BYTE_0 src1_sel:DWORD
	s_mov_b64 s[4:5], -1
                                        ; implicit-def: $sgpr10
	s_and_saveexec_b64 s[8:9], s[12:13]
; %bb.2214:
	s_mov_b32 s10, 0x7f800001
	s_xor_b64 s[4:5], exec, -1
; %bb.2215:
	s_or_b64 exec, exec, s[8:9]
	s_and_b64 s[4:5], s[4:5], exec
	s_or_saveexec_b64 s[6:7], s[6:7]
	v_mov_b32_e32 v6, s10
	s_xor_b64 exec, exec, s[6:7]
	s_cbranch_execz .LBB36_166
.LBB36_2216:
	v_mov_b32_e32 v6, 0
	v_cmp_ne_u16_sdwa s[8:9], v3, v6 src0_sel:BYTE_0 src1_sel:DWORD
	s_andn2_b64 s[4:5], s[4:5], exec
	s_and_b64 s[8:9], s[8:9], exec
	s_or_b64 s[4:5], s[4:5], s[8:9]
	s_or_b64 exec, exec, s[6:7]
	s_and_saveexec_b64 s[6:7], s[4:5]
	s_cbranch_execnz .LBB36_167
	s_branch .LBB36_168
.LBB36_2217:
	s_movk_i32 s4, 0x80
	v_cmp_eq_u16_sdwa s[12:13], v6, s4 src0_sel:BYTE_0 src1_sel:DWORD
	s_mov_b64 s[4:5], -1
                                        ; implicit-def: $sgpr10
	s_and_saveexec_b64 s[8:9], s[12:13]
; %bb.2218:
	s_mov_b32 s10, 0x7f800001
	s_xor_b64 s[4:5], exec, -1
; %bb.2219:
	s_or_b64 exec, exec, s[8:9]
	s_and_b64 s[4:5], s[4:5], exec
	s_or_saveexec_b64 s[6:7], s[6:7]
	v_mov_b32_e32 v2, s10
	s_xor_b64 exec, exec, s[6:7]
	s_cbranch_execz .LBB36_170
.LBB36_2220:
	v_mov_b32_e32 v2, 0
	v_cmp_ne_u16_sdwa s[8:9], v6, v2 src0_sel:BYTE_0 src1_sel:DWORD
	s_andn2_b64 s[4:5], s[4:5], exec
	s_and_b64 s[8:9], s[8:9], exec
	s_or_b64 s[4:5], s[4:5], s[8:9]
	s_or_b64 exec, exec, s[6:7]
	s_and_saveexec_b64 s[6:7], s[4:5]
	s_cbranch_execnz .LBB36_171
	s_branch .LBB36_172
.LBB36_2221:
	s_movk_i32 s4, 0x80
	v_cmp_eq_u16_sdwa s[12:13], v6, s4 src0_sel:BYTE_0 src1_sel:DWORD
	s_mov_b64 s[4:5], -1
                                        ; implicit-def: $sgpr10
	s_and_saveexec_b64 s[8:9], s[12:13]
; %bb.2222:
	s_mov_b32 s10, 0x7f800001
	s_xor_b64 s[4:5], exec, -1
; %bb.2223:
	s_or_b64 exec, exec, s[8:9]
	s_and_b64 s[4:5], s[4:5], exec
	s_or_saveexec_b64 s[6:7], s[6:7]
	v_mov_b32_e32 v10, s10
	s_xor_b64 exec, exec, s[6:7]
	s_cbranch_execz .LBB36_174
.LBB36_2224:
	v_mov_b32_e32 v10, 0
	v_cmp_ne_u16_sdwa s[8:9], v6, v10 src0_sel:BYTE_0 src1_sel:DWORD
	s_andn2_b64 s[4:5], s[4:5], exec
	s_and_b64 s[8:9], s[8:9], exec
	s_or_b64 s[4:5], s[4:5], s[8:9]
	s_or_b64 exec, exec, s[6:7]
	s_and_saveexec_b64 s[6:7], s[4:5]
	s_cbranch_execnz .LBB36_175
	s_branch .LBB36_176
.LBB36_2225:
	s_movk_i32 s4, 0x80
	v_cmp_eq_u16_e32 vcc, s4, v6
	s_mov_b64 s[4:5], -1
                                        ; implicit-def: $sgpr10
	s_and_saveexec_b64 s[8:9], vcc
; %bb.2226:
	s_mov_b32 s10, 0x7f800001
	s_xor_b64 s[4:5], exec, -1
; %bb.2227:
	s_or_b64 exec, exec, s[8:9]
	s_and_b64 s[4:5], s[4:5], exec
                                        ; implicit-def: $vgpr6
	s_or_saveexec_b64 s[6:7], s[6:7]
	v_mov_b32_e32 v2, s10
	s_xor_b64 exec, exec, s[6:7]
	s_cbranch_execz .LBB36_178
.LBB36_2228:
	v_cmp_ne_u16_e32 vcc, 0, v6
	s_andn2_b64 s[4:5], s[4:5], exec
	s_and_b64 s[8:9], vcc, exec
	v_mov_b32_e32 v2, 0
	s_or_b64 s[4:5], s[4:5], s[8:9]
	s_or_b64 exec, exec, s[6:7]
	s_and_saveexec_b64 s[6:7], s[4:5]
	s_cbranch_execnz .LBB36_179
	s_branch .LBB36_180
.LBB36_2229:
	s_movk_i32 s4, 0x80
	v_cmp_eq_u16_e32 vcc, s4, v6
	s_mov_b64 s[4:5], -1
                                        ; implicit-def: $sgpr10
	s_and_saveexec_b64 s[8:9], vcc
; %bb.2230:
	s_mov_b32 s10, 0x7f800001
	s_xor_b64 s[4:5], exec, -1
; %bb.2231:
	s_or_b64 exec, exec, s[8:9]
	s_and_b64 s[4:5], s[4:5], exec
                                        ; implicit-def: $vgpr6
	s_or_saveexec_b64 s[6:7], s[6:7]
	v_mov_b32_e32 v10, s10
	s_xor_b64 exec, exec, s[6:7]
	s_cbranch_execz .LBB36_182
.LBB36_2232:
	v_cmp_ne_u16_e32 vcc, 0, v6
	s_andn2_b64 s[4:5], s[4:5], exec
	s_and_b64 s[8:9], vcc, exec
	v_mov_b32_e32 v10, 0
	s_or_b64 s[4:5], s[4:5], s[8:9]
	s_or_b64 exec, exec, s[6:7]
	s_and_saveexec_b64 s[6:7], s[4:5]
	s_cbranch_execnz .LBB36_183
	s_branch .LBB36_184
.LBB36_2233:
	s_movk_i32 s4, 0x80
	v_cmp_eq_u16_sdwa s[12:13], v7, s4 src0_sel:BYTE_3 src1_sel:DWORD
	s_mov_b64 s[4:5], -1
                                        ; implicit-def: $sgpr10
	s_and_saveexec_b64 s[8:9], s[12:13]
; %bb.2234:
	s_mov_b32 s10, 0x7f800001
	s_xor_b64 s[4:5], exec, -1
; %bb.2235:
	s_or_b64 exec, exec, s[8:9]
	s_and_b64 s[4:5], s[4:5], exec
	s_or_saveexec_b64 s[6:7], s[6:7]
	v_mov_b32_e32 v2, s10
	s_xor_b64 exec, exec, s[6:7]
	s_cbranch_execz .LBB36_186
.LBB36_2236:
	v_mov_b32_e32 v2, 0
	v_cmp_ne_u16_sdwa s[8:9], v7, v2 src0_sel:BYTE_3 src1_sel:DWORD
	s_andn2_b64 s[4:5], s[4:5], exec
	s_and_b64 s[8:9], s[8:9], exec
	s_or_b64 s[4:5], s[4:5], s[8:9]
	s_or_b64 exec, exec, s[6:7]
	s_and_saveexec_b64 s[6:7], s[4:5]
	s_cbranch_execnz .LBB36_187
	s_branch .LBB36_188
.LBB36_2237:
	s_movk_i32 s4, 0x80
	v_cmp_eq_u16_sdwa s[12:13], v3, s4 src0_sel:BYTE_3 src1_sel:DWORD
	s_mov_b64 s[4:5], -1
                                        ; implicit-def: $sgpr10
	s_and_saveexec_b64 s[8:9], s[12:13]
; %bb.2238:
	s_mov_b32 s10, 0x7f800001
	s_xor_b64 s[4:5], exec, -1
; %bb.2239:
	s_or_b64 exec, exec, s[8:9]
	s_and_b64 s[4:5], s[4:5], exec
	s_or_saveexec_b64 s[6:7], s[6:7]
	v_mov_b32_e32 v6, s10
	s_xor_b64 exec, exec, s[6:7]
	s_cbranch_execz .LBB36_190
.LBB36_2240:
	v_mov_b32_e32 v6, 0
	v_cmp_ne_u16_sdwa s[8:9], v3, v6 src0_sel:BYTE_3 src1_sel:DWORD
	s_andn2_b64 s[4:5], s[4:5], exec
	s_and_b64 s[8:9], s[8:9], exec
	s_or_b64 s[4:5], s[4:5], s[8:9]
	s_or_b64 exec, exec, s[6:7]
	s_and_saveexec_b64 s[6:7], s[4:5]
	s_cbranch_execnz .LBB36_191
	s_branch .LBB36_192
.LBB36_2241:
	s_movk_i32 s4, 0x80
	v_cmp_eq_u16_sdwa s[12:13], v8, s4 src0_sel:BYTE_0 src1_sel:DWORD
	s_mov_b64 s[4:5], -1
                                        ; implicit-def: $sgpr10
	s_and_saveexec_b64 s[8:9], s[12:13]
; %bb.2242:
	s_mov_b32 s10, 0x7f800001
	s_xor_b64 s[4:5], exec, -1
; %bb.2243:
	s_or_b64 exec, exec, s[8:9]
	s_and_b64 s[4:5], s[4:5], exec
	s_or_saveexec_b64 s[6:7], s[6:7]
	v_mov_b32_e32 v2, s10
	s_xor_b64 exec, exec, s[6:7]
	s_cbranch_execz .LBB36_194
.LBB36_2244:
	v_mov_b32_e32 v2, 0
	v_cmp_ne_u16_sdwa s[8:9], v8, v2 src0_sel:BYTE_0 src1_sel:DWORD
	s_andn2_b64 s[4:5], s[4:5], exec
	s_and_b64 s[8:9], s[8:9], exec
	s_or_b64 s[4:5], s[4:5], s[8:9]
	s_or_b64 exec, exec, s[6:7]
	s_and_saveexec_b64 s[6:7], s[4:5]
	s_cbranch_execnz .LBB36_195
	s_branch .LBB36_196
.LBB36_2245:
	s_movk_i32 s4, 0x80
	v_cmp_eq_u16_sdwa s[12:13], v4, s4 src0_sel:BYTE_0 src1_sel:DWORD
	s_mov_b64 s[4:5], -1
                                        ; implicit-def: $sgpr10
	s_and_saveexec_b64 s[8:9], s[12:13]
; %bb.2246:
	s_mov_b32 s10, 0x7f800001
	s_xor_b64 s[4:5], exec, -1
; %bb.2247:
	s_or_b64 exec, exec, s[8:9]
	s_and_b64 s[4:5], s[4:5], exec
	s_or_saveexec_b64 s[6:7], s[6:7]
	v_mov_b32_e32 v3, s10
	s_xor_b64 exec, exec, s[6:7]
	s_cbranch_execz .LBB36_198
.LBB36_2248:
	v_mov_b32_e32 v3, 0
	v_cmp_ne_u16_sdwa s[8:9], v4, v3 src0_sel:BYTE_0 src1_sel:DWORD
	s_andn2_b64 s[4:5], s[4:5], exec
	s_and_b64 s[8:9], s[8:9], exec
	s_or_b64 s[4:5], s[4:5], s[8:9]
	s_or_b64 exec, exec, s[6:7]
	s_and_saveexec_b64 s[6:7], s[4:5]
	s_cbranch_execnz .LBB36_199
	s_branch .LBB36_200
.LBB36_2249:
	s_movk_i32 s4, 0x80
	v_cmp_eq_u16_sdwa s[12:13], v3, s4 src0_sel:BYTE_0 src1_sel:DWORD
	s_mov_b64 s[4:5], -1
                                        ; implicit-def: $sgpr10
	s_and_saveexec_b64 s[8:9], s[12:13]
; %bb.2250:
	s_mov_b32 s10, 0x7f800001
	s_xor_b64 s[4:5], exec, -1
; %bb.2251:
	s_or_b64 exec, exec, s[8:9]
	s_and_b64 s[4:5], s[4:5], exec
	s_or_saveexec_b64 s[6:7], s[6:7]
	v_mov_b32_e32 v2, s10
	s_xor_b64 exec, exec, s[6:7]
	s_cbranch_execz .LBB36_202
.LBB36_2252:
	v_mov_b32_e32 v2, 0
	v_cmp_ne_u16_sdwa s[8:9], v3, v2 src0_sel:BYTE_0 src1_sel:DWORD
	s_andn2_b64 s[4:5], s[4:5], exec
	s_and_b64 s[8:9], s[8:9], exec
	s_or_b64 s[4:5], s[4:5], s[8:9]
	s_or_b64 exec, exec, s[6:7]
	s_and_saveexec_b64 s[6:7], s[4:5]
	s_cbranch_execnz .LBB36_203
	s_branch .LBB36_204
.LBB36_2253:
	s_movk_i32 s4, 0x80
	v_cmp_eq_u16_sdwa s[12:13], v3, s4 src0_sel:BYTE_0 src1_sel:DWORD
	s_mov_b64 s[4:5], -1
                                        ; implicit-def: $sgpr10
	s_and_saveexec_b64 s[8:9], s[12:13]
; %bb.2254:
	s_mov_b32 s10, 0x7f800001
	s_xor_b64 s[4:5], exec, -1
; %bb.2255:
	s_or_b64 exec, exec, s[8:9]
	s_and_b64 s[4:5], s[4:5], exec
	s_or_saveexec_b64 s[6:7], s[6:7]
	v_mov_b32_e32 v6, s10
	s_xor_b64 exec, exec, s[6:7]
	s_cbranch_execz .LBB36_206
.LBB36_2256:
	v_mov_b32_e32 v6, 0
	v_cmp_ne_u16_sdwa s[8:9], v3, v6 src0_sel:BYTE_0 src1_sel:DWORD
	s_andn2_b64 s[4:5], s[4:5], exec
	s_and_b64 s[8:9], s[8:9], exec
	s_or_b64 s[4:5], s[4:5], s[8:9]
	s_or_b64 exec, exec, s[6:7]
	s_and_saveexec_b64 s[6:7], s[4:5]
	s_cbranch_execnz .LBB36_207
	s_branch .LBB36_208
.LBB36_2257:
	s_movk_i32 s4, 0x80
	v_cmp_eq_u16_e32 vcc, s4, v3
	s_mov_b64 s[4:5], -1
                                        ; implicit-def: $sgpr10
	s_and_saveexec_b64 s[8:9], vcc
; %bb.2258:
	s_mov_b32 s10, 0x7f800001
	s_xor_b64 s[4:5], exec, -1
; %bb.2259:
	s_or_b64 exec, exec, s[8:9]
	s_and_b64 s[4:5], s[4:5], exec
                                        ; implicit-def: $vgpr3
	s_or_saveexec_b64 s[6:7], s[6:7]
	v_mov_b32_e32 v2, s10
	s_xor_b64 exec, exec, s[6:7]
	s_cbranch_execz .LBB36_210
.LBB36_2260:
	v_cmp_ne_u16_e32 vcc, 0, v3
	s_andn2_b64 s[4:5], s[4:5], exec
	s_and_b64 s[8:9], vcc, exec
	v_mov_b32_e32 v2, 0
	s_or_b64 s[4:5], s[4:5], s[8:9]
	s_or_b64 exec, exec, s[6:7]
	s_and_saveexec_b64 s[6:7], s[4:5]
	s_cbranch_execnz .LBB36_211
	s_branch .LBB36_212
.LBB36_2261:
	s_movk_i32 s4, 0x80
	v_cmp_eq_u16_e32 vcc, s4, v3
	s_mov_b64 s[4:5], -1
                                        ; implicit-def: $sgpr10
	s_and_saveexec_b64 s[8:9], vcc
; %bb.2262:
	s_mov_b32 s10, 0x7f800001
	s_xor_b64 s[4:5], exec, -1
; %bb.2263:
	s_or_b64 exec, exec, s[8:9]
	s_and_b64 s[4:5], s[4:5], exec
                                        ; implicit-def: $vgpr3
	s_or_saveexec_b64 s[6:7], s[6:7]
	v_mov_b32_e32 v6, s10
	s_xor_b64 exec, exec, s[6:7]
	s_cbranch_execz .LBB36_214
.LBB36_2264:
	v_cmp_ne_u16_e32 vcc, 0, v3
	s_andn2_b64 s[4:5], s[4:5], exec
	s_and_b64 s[8:9], vcc, exec
	v_mov_b32_e32 v6, 0
	s_or_b64 s[4:5], s[4:5], s[8:9]
	s_or_b64 exec, exec, s[6:7]
	s_and_saveexec_b64 s[6:7], s[4:5]
	s_cbranch_execnz .LBB36_215
	s_branch .LBB36_216
.LBB36_2265:
	s_movk_i32 s4, 0x80
	v_cmp_eq_u16_sdwa s[12:13], v8, s4 src0_sel:BYTE_3 src1_sel:DWORD
	s_mov_b64 s[4:5], -1
                                        ; implicit-def: $sgpr10
	s_and_saveexec_b64 s[8:9], s[12:13]
; %bb.2266:
	s_mov_b32 s10, 0x7f800001
	s_xor_b64 s[4:5], exec, -1
; %bb.2267:
	s_or_b64 exec, exec, s[8:9]
	s_and_b64 s[4:5], s[4:5], exec
	s_or_saveexec_b64 s[6:7], s[6:7]
	v_mov_b32_e32 v2, s10
	s_xor_b64 exec, exec, s[6:7]
	s_cbranch_execz .LBB36_218
.LBB36_2268:
	v_mov_b32_e32 v2, 0
	v_cmp_ne_u16_sdwa s[8:9], v8, v2 src0_sel:BYTE_3 src1_sel:DWORD
	s_andn2_b64 s[4:5], s[4:5], exec
	s_and_b64 s[8:9], s[8:9], exec
	s_or_b64 s[4:5], s[4:5], s[8:9]
	s_or_b64 exec, exec, s[6:7]
	s_and_saveexec_b64 s[6:7], s[4:5]
	s_cbranch_execnz .LBB36_219
	s_branch .LBB36_220
.LBB36_2269:
	s_movk_i32 s4, 0x80
	v_cmp_eq_u16_sdwa s[12:13], v4, s4 src0_sel:BYTE_3 src1_sel:DWORD
	s_mov_b64 s[4:5], -1
                                        ; implicit-def: $sgpr10
	s_and_saveexec_b64 s[8:9], s[12:13]
; %bb.2270:
	s_mov_b32 s10, 0x7f800001
	s_xor_b64 s[4:5], exec, -1
; %bb.2271:
	s_or_b64 exec, exec, s[8:9]
	s_and_b64 s[4:5], s[4:5], exec
	s_or_saveexec_b64 s[6:7], s[6:7]
	v_mov_b32_e32 v3, s10
	s_xor_b64 exec, exec, s[6:7]
	s_cbranch_execz .LBB36_222
.LBB36_2272:
	v_mov_b32_e32 v3, 0
	v_cmp_ne_u16_sdwa s[8:9], v4, v3 src0_sel:BYTE_3 src1_sel:DWORD
	s_andn2_b64 s[4:5], s[4:5], exec
	s_and_b64 s[8:9], s[8:9], exec
	s_or_b64 s[4:5], s[4:5], s[8:9]
	s_or_b64 exec, exec, s[6:7]
	s_and_saveexec_b64 s[6:7], s[4:5]
	s_cbranch_execnz .LBB36_223
	s_branch .LBB36_224
.LBB36_2273:
	s_movk_i32 s4, 0x80
	v_cmp_eq_u16_sdwa s[12:13], v9, s4 src0_sel:BYTE_0 src1_sel:DWORD
	s_mov_b64 s[4:5], -1
                                        ; implicit-def: $sgpr10
	s_and_saveexec_b64 s[8:9], s[12:13]
; %bb.2274:
	s_mov_b32 s10, 0x7f800001
	s_xor_b64 s[4:5], exec, -1
; %bb.2275:
	s_or_b64 exec, exec, s[8:9]
	s_and_b64 s[4:5], s[4:5], exec
	s_or_saveexec_b64 s[6:7], s[6:7]
	v_mov_b32_e32 v2, s10
	s_xor_b64 exec, exec, s[6:7]
	s_cbranch_execz .LBB36_226
.LBB36_2276:
	v_mov_b32_e32 v2, 0
	v_cmp_ne_u16_sdwa s[8:9], v9, v2 src0_sel:BYTE_0 src1_sel:DWORD
	s_andn2_b64 s[4:5], s[4:5], exec
	s_and_b64 s[8:9], s[8:9], exec
	s_or_b64 s[4:5], s[4:5], s[8:9]
	s_or_b64 exec, exec, s[6:7]
	s_and_saveexec_b64 s[6:7], s[4:5]
	s_cbranch_execnz .LBB36_227
	s_branch .LBB36_228
.LBB36_2277:
	s_movk_i32 s4, 0x80
	v_cmp_eq_u16_sdwa s[12:13], v5, s4 src0_sel:BYTE_0 src1_sel:DWORD
	s_mov_b64 s[4:5], -1
                                        ; implicit-def: $sgpr10
	s_and_saveexec_b64 s[8:9], s[12:13]
; %bb.2278:
	s_mov_b32 s10, 0x7f800001
	s_xor_b64 s[4:5], exec, -1
; %bb.2279:
	s_or_b64 exec, exec, s[8:9]
	s_and_b64 s[4:5], s[4:5], exec
	s_or_saveexec_b64 s[6:7], s[6:7]
	v_mov_b32_e32 v3, s10
	s_xor_b64 exec, exec, s[6:7]
	s_cbranch_execz .LBB36_230
.LBB36_2280:
	v_mov_b32_e32 v3, 0
	v_cmp_ne_u16_sdwa s[8:9], v5, v3 src0_sel:BYTE_0 src1_sel:DWORD
	s_andn2_b64 s[4:5], s[4:5], exec
	s_and_b64 s[8:9], s[8:9], exec
	s_or_b64 s[4:5], s[4:5], s[8:9]
	s_or_b64 exec, exec, s[6:7]
	s_and_saveexec_b64 s[6:7], s[4:5]
	s_cbranch_execnz .LBB36_231
	s_branch .LBB36_232
.LBB36_2281:
	s_movk_i32 s4, 0x80
	v_cmp_eq_u16_sdwa s[12:13], v3, s4 src0_sel:BYTE_0 src1_sel:DWORD
	s_mov_b64 s[4:5], -1
                                        ; implicit-def: $sgpr10
	s_and_saveexec_b64 s[8:9], s[12:13]
; %bb.2282:
	s_mov_b32 s10, 0x7f800001
	s_xor_b64 s[4:5], exec, -1
; %bb.2283:
	s_or_b64 exec, exec, s[8:9]
	s_and_b64 s[4:5], s[4:5], exec
	s_or_saveexec_b64 s[6:7], s[6:7]
	v_mov_b32_e32 v2, s10
	s_xor_b64 exec, exec, s[6:7]
	s_cbranch_execz .LBB36_234
.LBB36_2284:
	v_mov_b32_e32 v2, 0
	v_cmp_ne_u16_sdwa s[8:9], v3, v2 src0_sel:BYTE_0 src1_sel:DWORD
	s_andn2_b64 s[4:5], s[4:5], exec
	s_and_b64 s[8:9], s[8:9], exec
	s_or_b64 s[4:5], s[4:5], s[8:9]
	s_or_b64 exec, exec, s[6:7]
	s_and_saveexec_b64 s[6:7], s[4:5]
	s_cbranch_execnz .LBB36_235
	s_branch .LBB36_236
.LBB36_2285:
	s_movk_i32 s4, 0x80
	v_cmp_eq_u16_sdwa s[12:13], v3, s4 src0_sel:BYTE_0 src1_sel:DWORD
	s_mov_b64 s[4:5], -1
                                        ; implicit-def: $sgpr10
	s_and_saveexec_b64 s[8:9], s[12:13]
; %bb.2286:
	s_mov_b32 s10, 0x7f800001
	s_xor_b64 s[4:5], exec, -1
; %bb.2287:
	s_or_b64 exec, exec, s[8:9]
	s_and_b64 s[4:5], s[4:5], exec
	s_or_saveexec_b64 s[6:7], s[6:7]
	v_mov_b32_e32 v4, s10
	s_xor_b64 exec, exec, s[6:7]
	s_cbranch_execz .LBB36_238
.LBB36_2288:
	v_mov_b32_e32 v4, 0
	v_cmp_ne_u16_sdwa s[8:9], v3, v4 src0_sel:BYTE_0 src1_sel:DWORD
	s_andn2_b64 s[4:5], s[4:5], exec
	s_and_b64 s[8:9], s[8:9], exec
	s_or_b64 s[4:5], s[4:5], s[8:9]
	s_or_b64 exec, exec, s[6:7]
	s_and_saveexec_b64 s[6:7], s[4:5]
	s_cbranch_execnz .LBB36_239
	s_branch .LBB36_240
.LBB36_2289:
	s_movk_i32 s4, 0x80
	v_cmp_eq_u16_e32 vcc, s4, v3
	s_mov_b64 s[4:5], -1
                                        ; implicit-def: $sgpr10
	s_and_saveexec_b64 s[8:9], vcc
; %bb.2290:
	s_mov_b32 s10, 0x7f800001
	s_xor_b64 s[4:5], exec, -1
; %bb.2291:
	s_or_b64 exec, exec, s[8:9]
	s_and_b64 s[4:5], s[4:5], exec
                                        ; implicit-def: $vgpr3
	s_or_saveexec_b64 s[6:7], s[6:7]
	v_mov_b32_e32 v2, s10
	s_xor_b64 exec, exec, s[6:7]
	s_cbranch_execz .LBB36_242
.LBB36_2292:
	v_cmp_ne_u16_e32 vcc, 0, v3
	s_andn2_b64 s[4:5], s[4:5], exec
	s_and_b64 s[8:9], vcc, exec
	v_mov_b32_e32 v2, 0
	s_or_b64 s[4:5], s[4:5], s[8:9]
	s_or_b64 exec, exec, s[6:7]
	s_and_saveexec_b64 s[6:7], s[4:5]
	s_cbranch_execnz .LBB36_243
	s_branch .LBB36_244
.LBB36_2293:
	s_movk_i32 s4, 0x80
	v_cmp_eq_u16_e32 vcc, s4, v3
	s_mov_b64 s[4:5], -1
                                        ; implicit-def: $sgpr10
	s_and_saveexec_b64 s[8:9], vcc
; %bb.2294:
	s_mov_b32 s10, 0x7f800001
	s_xor_b64 s[4:5], exec, -1
; %bb.2295:
	s_or_b64 exec, exec, s[8:9]
	s_and_b64 s[4:5], s[4:5], exec
                                        ; implicit-def: $vgpr3
	s_or_saveexec_b64 s[6:7], s[6:7]
	v_mov_b32_e32 v4, s10
	s_xor_b64 exec, exec, s[6:7]
	s_cbranch_execz .LBB36_246
.LBB36_2296:
	v_cmp_ne_u16_e32 vcc, 0, v3
	s_andn2_b64 s[4:5], s[4:5], exec
	s_and_b64 s[8:9], vcc, exec
	v_mov_b32_e32 v4, 0
	s_or_b64 s[4:5], s[4:5], s[8:9]
	s_or_b64 exec, exec, s[6:7]
	s_and_saveexec_b64 s[6:7], s[4:5]
	s_cbranch_execnz .LBB36_247
	s_branch .LBB36_248
.LBB36_2297:
	s_movk_i32 s4, 0x80
	v_cmp_eq_u16_sdwa s[12:13], v9, s4 src0_sel:BYTE_3 src1_sel:DWORD
	s_mov_b64 s[4:5], -1
                                        ; implicit-def: $sgpr10
	s_and_saveexec_b64 s[8:9], s[12:13]
; %bb.2298:
	s_mov_b32 s10, 0x7f800001
	s_xor_b64 s[4:5], exec, -1
; %bb.2299:
	s_or_b64 exec, exec, s[8:9]
	s_and_b64 s[4:5], s[4:5], exec
	s_or_saveexec_b64 s[6:7], s[6:7]
	v_mov_b32_e32 v2, s10
	s_xor_b64 exec, exec, s[6:7]
	s_cbranch_execz .LBB36_250
.LBB36_2300:
	v_mov_b32_e32 v2, 0
	v_cmp_ne_u16_sdwa s[8:9], v9, v2 src0_sel:BYTE_3 src1_sel:DWORD
	s_andn2_b64 s[4:5], s[4:5], exec
	s_and_b64 s[8:9], s[8:9], exec
	s_or_b64 s[4:5], s[4:5], s[8:9]
	s_or_b64 exec, exec, s[6:7]
	s_and_saveexec_b64 s[6:7], s[4:5]
	s_cbranch_execnz .LBB36_251
	s_branch .LBB36_252
.LBB36_2301:
	s_movk_i32 s4, 0x80
	v_cmp_eq_u16_sdwa s[12:13], v5, s4 src0_sel:BYTE_3 src1_sel:DWORD
	s_mov_b64 s[4:5], -1
                                        ; implicit-def: $sgpr10
	s_and_saveexec_b64 s[8:9], s[12:13]
; %bb.2302:
	s_mov_b32 s10, 0x7f800001
	s_xor_b64 s[4:5], exec, -1
; %bb.2303:
	s_or_b64 exec, exec, s[8:9]
	s_and_b64 s[4:5], s[4:5], exec
	s_or_saveexec_b64 s[6:7], s[6:7]
	v_mov_b32_e32 v3, s10
	s_xor_b64 exec, exec, s[6:7]
	s_cbranch_execz .LBB36_254
.LBB36_2304:
	v_mov_b32_e32 v3, 0
	v_cmp_ne_u16_sdwa s[8:9], v5, v3 src0_sel:BYTE_3 src1_sel:DWORD
	s_andn2_b64 s[4:5], s[4:5], exec
	s_and_b64 s[8:9], s[8:9], exec
	s_or_b64 s[4:5], s[4:5], s[8:9]
	s_or_b64 exec, exec, s[6:7]
	s_and_saveexec_b64 s[6:7], s[4:5]
	s_cbranch_execnz .LBB36_255
	s_branch .LBB36_256
.LBB36_2305:
	s_movk_i32 s4, 0x80
	v_cmp_eq_u16_sdwa s[12:13], v14, s4 src0_sel:BYTE_0 src1_sel:DWORD
	s_mov_b64 s[4:5], -1
                                        ; implicit-def: $sgpr10
	s_and_saveexec_b64 s[8:9], s[12:13]
; %bb.2306:
	s_mov_b32 s10, 0x7f800001
	s_xor_b64 s[4:5], exec, -1
; %bb.2307:
	s_or_b64 exec, exec, s[8:9]
	s_and_b64 s[4:5], s[4:5], exec
	s_or_saveexec_b64 s[6:7], s[6:7]
	v_mov_b32_e32 v20, s10
	s_xor_b64 exec, exec, s[6:7]
	s_cbranch_execz .LBB36_258
.LBB36_2308:
	v_mov_b32_e32 v20, 0
	v_cmp_ne_u16_sdwa s[8:9], v14, v20 src0_sel:BYTE_0 src1_sel:DWORD
	s_andn2_b64 s[4:5], s[4:5], exec
	s_and_b64 s[8:9], s[8:9], exec
	s_or_b64 s[4:5], s[4:5], s[8:9]
	s_or_b64 exec, exec, s[6:7]
	s_and_saveexec_b64 s[6:7], s[4:5]
	s_cbranch_execnz .LBB36_259
	s_branch .LBB36_260
.LBB36_2309:
	s_movk_i32 s4, 0x80
	v_cmp_eq_u16_sdwa s[12:13], v10, s4 src0_sel:BYTE_0 src1_sel:DWORD
	s_mov_b64 s[4:5], -1
                                        ; implicit-def: $sgpr10
	s_and_saveexec_b64 s[8:9], s[12:13]
; %bb.2310:
	s_mov_b32 s10, 0x7f800001
	s_xor_b64 s[4:5], exec, -1
; %bb.2311:
	s_or_b64 exec, exec, s[8:9]
	s_and_b64 s[4:5], s[4:5], exec
	s_or_saveexec_b64 s[6:7], s[6:7]
	v_mov_b32_e32 v21, s10
	s_xor_b64 exec, exec, s[6:7]
	s_cbranch_execz .LBB36_262
.LBB36_2312:
	v_mov_b32_e32 v21, 0
	v_cmp_ne_u16_sdwa s[8:9], v10, v21 src0_sel:BYTE_0 src1_sel:DWORD
	s_andn2_b64 s[4:5], s[4:5], exec
	s_and_b64 s[8:9], s[8:9], exec
	s_or_b64 s[4:5], s[4:5], s[8:9]
	s_or_b64 exec, exec, s[6:7]
	s_and_saveexec_b64 s[6:7], s[4:5]
	s_cbranch_execnz .LBB36_263
	s_branch .LBB36_264
.LBB36_2313:
	s_movk_i32 s4, 0x80
	v_cmp_eq_u16_sdwa s[12:13], v21, s4 src0_sel:BYTE_0 src1_sel:DWORD
	s_mov_b64 s[4:5], -1
                                        ; implicit-def: $sgpr10
	s_and_saveexec_b64 s[8:9], s[12:13]
; %bb.2314:
	s_mov_b32 s10, 0x7f800001
	s_xor_b64 s[4:5], exec, -1
; %bb.2315:
	s_or_b64 exec, exec, s[8:9]
	s_and_b64 s[4:5], s[4:5], exec
	s_or_saveexec_b64 s[6:7], s[6:7]
	v_mov_b32_e32 v20, s10
	s_xor_b64 exec, exec, s[6:7]
	s_cbranch_execz .LBB36_266
.LBB36_2316:
	v_mov_b32_e32 v20, 0
	v_cmp_ne_u16_sdwa s[8:9], v21, v20 src0_sel:BYTE_0 src1_sel:DWORD
	s_andn2_b64 s[4:5], s[4:5], exec
	s_and_b64 s[8:9], s[8:9], exec
	s_or_b64 s[4:5], s[4:5], s[8:9]
	s_or_b64 exec, exec, s[6:7]
	s_and_saveexec_b64 s[6:7], s[4:5]
	s_cbranch_execnz .LBB36_267
	s_branch .LBB36_268
.LBB36_2317:
	s_movk_i32 s4, 0x80
	v_cmp_eq_u16_sdwa s[12:13], v21, s4 src0_sel:BYTE_0 src1_sel:DWORD
	s_mov_b64 s[4:5], -1
                                        ; implicit-def: $sgpr10
	s_and_saveexec_b64 s[8:9], s[12:13]
; %bb.2318:
	s_mov_b32 s10, 0x7f800001
	s_xor_b64 s[4:5], exec, -1
; %bb.2319:
	s_or_b64 exec, exec, s[8:9]
	s_and_b64 s[4:5], s[4:5], exec
	s_or_saveexec_b64 s[6:7], s[6:7]
	v_mov_b32_e32 v22, s10
	s_xor_b64 exec, exec, s[6:7]
	s_cbranch_execz .LBB36_270
.LBB36_2320:
	v_mov_b32_e32 v22, 0
	v_cmp_ne_u16_sdwa s[8:9], v21, v22 src0_sel:BYTE_0 src1_sel:DWORD
	s_andn2_b64 s[4:5], s[4:5], exec
	s_and_b64 s[8:9], s[8:9], exec
	s_or_b64 s[4:5], s[4:5], s[8:9]
	s_or_b64 exec, exec, s[6:7]
	s_and_saveexec_b64 s[6:7], s[4:5]
	s_cbranch_execnz .LBB36_271
	s_branch .LBB36_272
.LBB36_2321:
	s_movk_i32 s4, 0x80
	v_cmp_eq_u16_e32 vcc, s4, v21
	s_mov_b64 s[4:5], -1
                                        ; implicit-def: $sgpr10
	s_and_saveexec_b64 s[8:9], vcc
; %bb.2322:
	s_mov_b32 s10, 0x7f800001
	s_xor_b64 s[4:5], exec, -1
; %bb.2323:
	s_or_b64 exec, exec, s[8:9]
	s_and_b64 s[4:5], s[4:5], exec
                                        ; implicit-def: $vgpr21
	s_or_saveexec_b64 s[6:7], s[6:7]
	v_mov_b32_e32 v20, s10
	s_xor_b64 exec, exec, s[6:7]
	s_cbranch_execz .LBB36_274
.LBB36_2324:
	v_cmp_ne_u16_e32 vcc, 0, v21
	s_andn2_b64 s[4:5], s[4:5], exec
	s_and_b64 s[8:9], vcc, exec
	v_mov_b32_e32 v20, 0
	s_or_b64 s[4:5], s[4:5], s[8:9]
	s_or_b64 exec, exec, s[6:7]
	s_and_saveexec_b64 s[6:7], s[4:5]
	s_cbranch_execnz .LBB36_275
	s_branch .LBB36_276
.LBB36_2325:
	s_movk_i32 s4, 0x80
	v_cmp_eq_u16_e32 vcc, s4, v21
	s_mov_b64 s[4:5], -1
                                        ; implicit-def: $sgpr10
	s_and_saveexec_b64 s[8:9], vcc
; %bb.2326:
	s_mov_b32 s10, 0x7f800001
	s_xor_b64 s[4:5], exec, -1
; %bb.2327:
	s_or_b64 exec, exec, s[8:9]
	s_and_b64 s[4:5], s[4:5], exec
                                        ; implicit-def: $vgpr21
	s_or_saveexec_b64 s[6:7], s[6:7]
	v_mov_b32_e32 v22, s10
	s_xor_b64 exec, exec, s[6:7]
	s_cbranch_execz .LBB36_278
.LBB36_2328:
	v_cmp_ne_u16_e32 vcc, 0, v21
	s_andn2_b64 s[4:5], s[4:5], exec
	s_and_b64 s[8:9], vcc, exec
	v_mov_b32_e32 v22, 0
	s_or_b64 s[4:5], s[4:5], s[8:9]
	s_or_b64 exec, exec, s[6:7]
	s_and_saveexec_b64 s[6:7], s[4:5]
	s_cbranch_execnz .LBB36_279
	s_branch .LBB36_280
.LBB36_2329:
	s_movk_i32 s4, 0x80
	v_cmp_eq_u16_sdwa s[12:13], v14, s4 src0_sel:BYTE_3 src1_sel:DWORD
	s_mov_b64 s[4:5], -1
                                        ; implicit-def: $sgpr10
	s_and_saveexec_b64 s[8:9], s[12:13]
; %bb.2330:
	s_mov_b32 s10, 0x7f800001
	s_xor_b64 s[4:5], exec, -1
; %bb.2331:
	s_or_b64 exec, exec, s[8:9]
	s_and_b64 s[4:5], s[4:5], exec
	s_or_saveexec_b64 s[6:7], s[6:7]
	v_mov_b32_e32 v20, s10
	s_xor_b64 exec, exec, s[6:7]
	s_cbranch_execz .LBB36_282
.LBB36_2332:
	v_mov_b32_e32 v20, 0
	v_cmp_ne_u16_sdwa s[8:9], v14, v20 src0_sel:BYTE_3 src1_sel:DWORD
	s_andn2_b64 s[4:5], s[4:5], exec
	s_and_b64 s[8:9], s[8:9], exec
	s_or_b64 s[4:5], s[4:5], s[8:9]
	s_or_b64 exec, exec, s[6:7]
	s_and_saveexec_b64 s[6:7], s[4:5]
	s_cbranch_execnz .LBB36_283
	s_branch .LBB36_284
.LBB36_2333:
	s_movk_i32 s4, 0x80
	v_cmp_eq_u16_sdwa s[12:13], v10, s4 src0_sel:BYTE_3 src1_sel:DWORD
	s_mov_b64 s[4:5], -1
                                        ; implicit-def: $sgpr10
	s_and_saveexec_b64 s[8:9], s[12:13]
; %bb.2334:
	s_mov_b32 s10, 0x7f800001
	s_xor_b64 s[4:5], exec, -1
; %bb.2335:
	s_or_b64 exec, exec, s[8:9]
	s_and_b64 s[4:5], s[4:5], exec
	s_or_saveexec_b64 s[6:7], s[6:7]
	v_mov_b32_e32 v14, s10
	s_xor_b64 exec, exec, s[6:7]
	s_cbranch_execz .LBB36_286
.LBB36_2336:
	v_mov_b32_e32 v14, 0
	v_cmp_ne_u16_sdwa s[8:9], v10, v14 src0_sel:BYTE_3 src1_sel:DWORD
	s_andn2_b64 s[4:5], s[4:5], exec
	s_and_b64 s[8:9], s[8:9], exec
	s_or_b64 s[4:5], s[4:5], s[8:9]
	s_or_b64 exec, exec, s[6:7]
	s_and_saveexec_b64 s[6:7], s[4:5]
	s_cbranch_execnz .LBB36_287
	s_branch .LBB36_288
.LBB36_2337:
	s_movk_i32 s4, 0x80
	v_cmp_eq_u16_sdwa s[12:13], v15, s4 src0_sel:BYTE_0 src1_sel:DWORD
	s_mov_b64 s[4:5], -1
                                        ; implicit-def: $sgpr10
	s_and_saveexec_b64 s[8:9], s[12:13]
; %bb.2338:
	s_mov_b32 s10, 0x7f800001
	s_xor_b64 s[4:5], exec, -1
; %bb.2339:
	s_or_b64 exec, exec, s[8:9]
	s_and_b64 s[4:5], s[4:5], exec
	s_or_saveexec_b64 s[6:7], s[6:7]
	v_mov_b32_e32 v10, s10
	s_xor_b64 exec, exec, s[6:7]
	s_cbranch_execz .LBB36_290
.LBB36_2340:
	v_mov_b32_e32 v10, 0
	v_cmp_ne_u16_sdwa s[8:9], v15, v10 src0_sel:BYTE_0 src1_sel:DWORD
	s_andn2_b64 s[4:5], s[4:5], exec
	s_and_b64 s[8:9], s[8:9], exec
	s_or_b64 s[4:5], s[4:5], s[8:9]
	s_or_b64 exec, exec, s[6:7]
	s_and_saveexec_b64 s[6:7], s[4:5]
	s_cbranch_execnz .LBB36_291
	s_branch .LBB36_292
.LBB36_2341:
	s_movk_i32 s4, 0x80
	v_cmp_eq_u16_sdwa s[12:13], v11, s4 src0_sel:BYTE_0 src1_sel:DWORD
	s_mov_b64 s[4:5], -1
                                        ; implicit-def: $sgpr10
	s_and_saveexec_b64 s[8:9], s[12:13]
; %bb.2342:
	s_mov_b32 s10, 0x7f800001
	s_xor_b64 s[4:5], exec, -1
; %bb.2343:
	s_or_b64 exec, exec, s[8:9]
	s_and_b64 s[4:5], s[4:5], exec
	s_or_saveexec_b64 s[6:7], s[6:7]
	v_mov_b32_e32 v14, s10
	s_xor_b64 exec, exec, s[6:7]
	s_cbranch_execz .LBB36_294
.LBB36_2344:
	v_mov_b32_e32 v14, 0
	v_cmp_ne_u16_sdwa s[8:9], v11, v14 src0_sel:BYTE_0 src1_sel:DWORD
	s_andn2_b64 s[4:5], s[4:5], exec
	s_and_b64 s[8:9], s[8:9], exec
	s_or_b64 s[4:5], s[4:5], s[8:9]
	s_or_b64 exec, exec, s[6:7]
	s_and_saveexec_b64 s[6:7], s[4:5]
	s_cbranch_execnz .LBB36_295
	s_branch .LBB36_296
.LBB36_2345:
	s_movk_i32 s4, 0x80
	v_cmp_eq_u16_sdwa s[12:13], v14, s4 src0_sel:BYTE_0 src1_sel:DWORD
	s_mov_b64 s[4:5], -1
                                        ; implicit-def: $sgpr10
	s_and_saveexec_b64 s[8:9], s[12:13]
; %bb.2346:
	s_mov_b32 s10, 0x7f800001
	s_xor_b64 s[4:5], exec, -1
; %bb.2347:
	s_or_b64 exec, exec, s[8:9]
	s_and_b64 s[4:5], s[4:5], exec
	s_or_saveexec_b64 s[6:7], s[6:7]
	v_mov_b32_e32 v10, s10
	s_xor_b64 exec, exec, s[6:7]
	s_cbranch_execz .LBB36_298
.LBB36_2348:
	v_mov_b32_e32 v10, 0
	v_cmp_ne_u16_sdwa s[8:9], v14, v10 src0_sel:BYTE_0 src1_sel:DWORD
	s_andn2_b64 s[4:5], s[4:5], exec
	s_and_b64 s[8:9], s[8:9], exec
	s_or_b64 s[4:5], s[4:5], s[8:9]
	s_or_b64 exec, exec, s[6:7]
	s_and_saveexec_b64 s[6:7], s[4:5]
	s_cbranch_execnz .LBB36_299
	s_branch .LBB36_300
.LBB36_2349:
	s_movk_i32 s4, 0x80
	v_cmp_eq_u16_sdwa s[12:13], v14, s4 src0_sel:BYTE_0 src1_sel:DWORD
	s_mov_b64 s[4:5], -1
                                        ; implicit-def: $sgpr10
	s_and_saveexec_b64 s[8:9], s[12:13]
; %bb.2350:
	s_mov_b32 s10, 0x7f800001
	s_xor_b64 s[4:5], exec, -1
; %bb.2351:
	s_or_b64 exec, exec, s[8:9]
	s_and_b64 s[4:5], s[4:5], exec
	s_or_saveexec_b64 s[6:7], s[6:7]
	v_mov_b32_e32 v20, s10
	s_xor_b64 exec, exec, s[6:7]
	s_cbranch_execz .LBB36_302
.LBB36_2352:
	v_mov_b32_e32 v20, 0
	v_cmp_ne_u16_sdwa s[8:9], v14, v20 src0_sel:BYTE_0 src1_sel:DWORD
	s_andn2_b64 s[4:5], s[4:5], exec
	s_and_b64 s[8:9], s[8:9], exec
	s_or_b64 s[4:5], s[4:5], s[8:9]
	s_or_b64 exec, exec, s[6:7]
	s_and_saveexec_b64 s[6:7], s[4:5]
	s_cbranch_execnz .LBB36_303
	s_branch .LBB36_304
.LBB36_2353:
	s_movk_i32 s4, 0x80
	v_cmp_eq_u16_e32 vcc, s4, v14
	s_mov_b64 s[4:5], -1
                                        ; implicit-def: $sgpr10
	s_and_saveexec_b64 s[8:9], vcc
; %bb.2354:
	s_mov_b32 s10, 0x7f800001
	s_xor_b64 s[4:5], exec, -1
; %bb.2355:
	s_or_b64 exec, exec, s[8:9]
	s_and_b64 s[4:5], s[4:5], exec
                                        ; implicit-def: $vgpr14
	s_or_saveexec_b64 s[6:7], s[6:7]
	v_mov_b32_e32 v10, s10
	s_xor_b64 exec, exec, s[6:7]
	s_cbranch_execz .LBB36_306
.LBB36_2356:
	v_cmp_ne_u16_e32 vcc, 0, v14
	s_andn2_b64 s[4:5], s[4:5], exec
	s_and_b64 s[8:9], vcc, exec
	v_mov_b32_e32 v10, 0
	s_or_b64 s[4:5], s[4:5], s[8:9]
	s_or_b64 exec, exec, s[6:7]
	s_and_saveexec_b64 s[6:7], s[4:5]
	s_cbranch_execnz .LBB36_307
	s_branch .LBB36_308
.LBB36_2357:
	s_movk_i32 s4, 0x80
	v_cmp_eq_u16_e32 vcc, s4, v14
	s_mov_b64 s[4:5], -1
                                        ; implicit-def: $sgpr10
	s_and_saveexec_b64 s[8:9], vcc
; %bb.2358:
	s_mov_b32 s10, 0x7f800001
	s_xor_b64 s[4:5], exec, -1
; %bb.2359:
	s_or_b64 exec, exec, s[8:9]
	s_and_b64 s[4:5], s[4:5], exec
                                        ; implicit-def: $vgpr14
	s_or_saveexec_b64 s[6:7], s[6:7]
	v_mov_b32_e32 v20, s10
	s_xor_b64 exec, exec, s[6:7]
	s_cbranch_execz .LBB36_310
.LBB36_2360:
	v_cmp_ne_u16_e32 vcc, 0, v14
	s_andn2_b64 s[4:5], s[4:5], exec
	s_and_b64 s[8:9], vcc, exec
	v_mov_b32_e32 v20, 0
	s_or_b64 s[4:5], s[4:5], s[8:9]
	s_or_b64 exec, exec, s[6:7]
	s_and_saveexec_b64 s[6:7], s[4:5]
	s_cbranch_execnz .LBB36_311
	s_branch .LBB36_312
.LBB36_2361:
	s_movk_i32 s4, 0x80
	v_cmp_eq_u16_sdwa s[12:13], v15, s4 src0_sel:BYTE_3 src1_sel:DWORD
	s_mov_b64 s[4:5], -1
                                        ; implicit-def: $sgpr10
	s_and_saveexec_b64 s[8:9], s[12:13]
; %bb.2362:
	s_mov_b32 s10, 0x7f800001
	s_xor_b64 s[4:5], exec, -1
; %bb.2363:
	s_or_b64 exec, exec, s[8:9]
	s_and_b64 s[4:5], s[4:5], exec
	s_or_saveexec_b64 s[6:7], s[6:7]
	v_mov_b32_e32 v10, s10
	s_xor_b64 exec, exec, s[6:7]
	s_cbranch_execz .LBB36_314
.LBB36_2364:
	v_mov_b32_e32 v10, 0
	v_cmp_ne_u16_sdwa s[8:9], v15, v10 src0_sel:BYTE_3 src1_sel:DWORD
	s_andn2_b64 s[4:5], s[4:5], exec
	s_and_b64 s[8:9], s[8:9], exec
	s_or_b64 s[4:5], s[4:5], s[8:9]
	s_or_b64 exec, exec, s[6:7]
	s_and_saveexec_b64 s[6:7], s[4:5]
	s_cbranch_execnz .LBB36_315
	s_branch .LBB36_316
.LBB36_2365:
	s_movk_i32 s4, 0x80
	v_cmp_eq_u16_sdwa s[12:13], v11, s4 src0_sel:BYTE_3 src1_sel:DWORD
	s_mov_b64 s[4:5], -1
                                        ; implicit-def: $sgpr10
	s_and_saveexec_b64 s[8:9], s[12:13]
; %bb.2366:
	s_mov_b32 s10, 0x7f800001
	s_xor_b64 s[4:5], exec, -1
; %bb.2367:
	s_or_b64 exec, exec, s[8:9]
	s_and_b64 s[4:5], s[4:5], exec
	s_or_saveexec_b64 s[6:7], s[6:7]
	v_mov_b32_e32 v14, s10
	s_xor_b64 exec, exec, s[6:7]
	s_cbranch_execz .LBB36_318
.LBB36_2368:
	v_mov_b32_e32 v14, 0
	v_cmp_ne_u16_sdwa s[8:9], v11, v14 src0_sel:BYTE_3 src1_sel:DWORD
	s_andn2_b64 s[4:5], s[4:5], exec
	s_and_b64 s[8:9], s[8:9], exec
	s_or_b64 s[4:5], s[4:5], s[8:9]
	s_or_b64 exec, exec, s[6:7]
	s_and_saveexec_b64 s[6:7], s[4:5]
	s_cbranch_execnz .LBB36_319
	s_branch .LBB36_320
.LBB36_2369:
	s_movk_i32 s4, 0x80
	v_cmp_eq_u16_sdwa s[12:13], v16, s4 src0_sel:BYTE_0 src1_sel:DWORD
	s_mov_b64 s[4:5], -1
                                        ; implicit-def: $sgpr10
	s_and_saveexec_b64 s[8:9], s[12:13]
; %bb.2370:
	s_mov_b32 s10, 0x7f800001
	s_xor_b64 s[4:5], exec, -1
; %bb.2371:
	s_or_b64 exec, exec, s[8:9]
	s_and_b64 s[4:5], s[4:5], exec
	s_or_saveexec_b64 s[6:7], s[6:7]
	v_mov_b32_e32 v10, s10
	s_xor_b64 exec, exec, s[6:7]
	s_cbranch_execz .LBB36_322
.LBB36_2372:
	v_mov_b32_e32 v10, 0
	v_cmp_ne_u16_sdwa s[8:9], v16, v10 src0_sel:BYTE_0 src1_sel:DWORD
	s_andn2_b64 s[4:5], s[4:5], exec
	s_and_b64 s[8:9], s[8:9], exec
	s_or_b64 s[4:5], s[4:5], s[8:9]
	s_or_b64 exec, exec, s[6:7]
	s_and_saveexec_b64 s[6:7], s[4:5]
	s_cbranch_execnz .LBB36_323
	s_branch .LBB36_324
.LBB36_2373:
	s_movk_i32 s4, 0x80
	v_cmp_eq_u16_sdwa s[12:13], v12, s4 src0_sel:BYTE_0 src1_sel:DWORD
	s_mov_b64 s[4:5], -1
                                        ; implicit-def: $sgpr10
	s_and_saveexec_b64 s[8:9], s[12:13]
; %bb.2374:
	s_mov_b32 s10, 0x7f800001
	s_xor_b64 s[4:5], exec, -1
; %bb.2375:
	s_or_b64 exec, exec, s[8:9]
	s_and_b64 s[4:5], s[4:5], exec
	s_or_saveexec_b64 s[6:7], s[6:7]
	v_mov_b32_e32 v11, s10
	s_xor_b64 exec, exec, s[6:7]
	s_cbranch_execz .LBB36_326
.LBB36_2376:
	v_mov_b32_e32 v11, 0
	v_cmp_ne_u16_sdwa s[8:9], v12, v11 src0_sel:BYTE_0 src1_sel:DWORD
	s_andn2_b64 s[4:5], s[4:5], exec
	s_and_b64 s[8:9], s[8:9], exec
	s_or_b64 s[4:5], s[4:5], s[8:9]
	s_or_b64 exec, exec, s[6:7]
	s_and_saveexec_b64 s[6:7], s[4:5]
	s_cbranch_execnz .LBB36_327
	s_branch .LBB36_328
.LBB36_2377:
	s_movk_i32 s4, 0x80
	v_cmp_eq_u16_sdwa s[12:13], v11, s4 src0_sel:BYTE_0 src1_sel:DWORD
	s_mov_b64 s[4:5], -1
                                        ; implicit-def: $sgpr10
	s_and_saveexec_b64 s[8:9], s[12:13]
; %bb.2378:
	s_mov_b32 s10, 0x7f800001
	s_xor_b64 s[4:5], exec, -1
; %bb.2379:
	s_or_b64 exec, exec, s[8:9]
	s_and_b64 s[4:5], s[4:5], exec
	s_or_saveexec_b64 s[6:7], s[6:7]
	v_mov_b32_e32 v10, s10
	s_xor_b64 exec, exec, s[6:7]
	s_cbranch_execz .LBB36_330
.LBB36_2380:
	v_mov_b32_e32 v10, 0
	v_cmp_ne_u16_sdwa s[8:9], v11, v10 src0_sel:BYTE_0 src1_sel:DWORD
	s_andn2_b64 s[4:5], s[4:5], exec
	s_and_b64 s[8:9], s[8:9], exec
	s_or_b64 s[4:5], s[4:5], s[8:9]
	s_or_b64 exec, exec, s[6:7]
	s_and_saveexec_b64 s[6:7], s[4:5]
	s_cbranch_execnz .LBB36_331
	s_branch .LBB36_332
.LBB36_2381:
	s_movk_i32 s4, 0x80
	v_cmp_eq_u16_sdwa s[12:13], v11, s4 src0_sel:BYTE_0 src1_sel:DWORD
	s_mov_b64 s[4:5], -1
                                        ; implicit-def: $sgpr10
	s_and_saveexec_b64 s[8:9], s[12:13]
; %bb.2382:
	s_mov_b32 s10, 0x7f800001
	s_xor_b64 s[4:5], exec, -1
; %bb.2383:
	s_or_b64 exec, exec, s[8:9]
	s_and_b64 s[4:5], s[4:5], exec
	s_or_saveexec_b64 s[6:7], s[6:7]
	v_mov_b32_e32 v14, s10
	s_xor_b64 exec, exec, s[6:7]
	s_cbranch_execz .LBB36_334
.LBB36_2384:
	v_mov_b32_e32 v14, 0
	v_cmp_ne_u16_sdwa s[8:9], v11, v14 src0_sel:BYTE_0 src1_sel:DWORD
	s_andn2_b64 s[4:5], s[4:5], exec
	s_and_b64 s[8:9], s[8:9], exec
	s_or_b64 s[4:5], s[4:5], s[8:9]
	s_or_b64 exec, exec, s[6:7]
	s_and_saveexec_b64 s[6:7], s[4:5]
	s_cbranch_execnz .LBB36_335
	s_branch .LBB36_336
.LBB36_2385:
	s_movk_i32 s4, 0x80
	v_cmp_eq_u16_e32 vcc, s4, v11
	s_mov_b64 s[4:5], -1
                                        ; implicit-def: $sgpr10
	s_and_saveexec_b64 s[8:9], vcc
; %bb.2386:
	s_mov_b32 s10, 0x7f800001
	s_xor_b64 s[4:5], exec, -1
; %bb.2387:
	s_or_b64 exec, exec, s[8:9]
	s_and_b64 s[4:5], s[4:5], exec
                                        ; implicit-def: $vgpr11
	s_or_saveexec_b64 s[6:7], s[6:7]
	v_mov_b32_e32 v10, s10
	s_xor_b64 exec, exec, s[6:7]
	s_cbranch_execz .LBB36_338
.LBB36_2388:
	v_cmp_ne_u16_e32 vcc, 0, v11
	s_andn2_b64 s[4:5], s[4:5], exec
	s_and_b64 s[8:9], vcc, exec
	v_mov_b32_e32 v10, 0
	s_or_b64 s[4:5], s[4:5], s[8:9]
	s_or_b64 exec, exec, s[6:7]
	s_and_saveexec_b64 s[6:7], s[4:5]
	s_cbranch_execnz .LBB36_339
	s_branch .LBB36_340
.LBB36_2389:
	s_movk_i32 s4, 0x80
	v_cmp_eq_u16_e32 vcc, s4, v11
	s_mov_b64 s[4:5], -1
                                        ; implicit-def: $sgpr10
	s_and_saveexec_b64 s[8:9], vcc
; %bb.2390:
	s_mov_b32 s10, 0x7f800001
	s_xor_b64 s[4:5], exec, -1
; %bb.2391:
	s_or_b64 exec, exec, s[8:9]
	s_and_b64 s[4:5], s[4:5], exec
                                        ; implicit-def: $vgpr11
	s_or_saveexec_b64 s[6:7], s[6:7]
	v_mov_b32_e32 v14, s10
	s_xor_b64 exec, exec, s[6:7]
	s_cbranch_execz .LBB36_342
.LBB36_2392:
	v_cmp_ne_u16_e32 vcc, 0, v11
	s_andn2_b64 s[4:5], s[4:5], exec
	s_and_b64 s[8:9], vcc, exec
	v_mov_b32_e32 v14, 0
	s_or_b64 s[4:5], s[4:5], s[8:9]
	s_or_b64 exec, exec, s[6:7]
	s_and_saveexec_b64 s[6:7], s[4:5]
	s_cbranch_execnz .LBB36_343
	s_branch .LBB36_344
.LBB36_2393:
	s_movk_i32 s4, 0x80
	v_cmp_eq_u16_sdwa s[12:13], v16, s4 src0_sel:BYTE_3 src1_sel:DWORD
	s_mov_b64 s[4:5], -1
                                        ; implicit-def: $sgpr10
	s_and_saveexec_b64 s[8:9], s[12:13]
; %bb.2394:
	s_mov_b32 s10, 0x7f800001
	s_xor_b64 s[4:5], exec, -1
; %bb.2395:
	s_or_b64 exec, exec, s[8:9]
	s_and_b64 s[4:5], s[4:5], exec
	s_or_saveexec_b64 s[6:7], s[6:7]
	v_mov_b32_e32 v10, s10
	s_xor_b64 exec, exec, s[6:7]
	s_cbranch_execz .LBB36_346
.LBB36_2396:
	v_mov_b32_e32 v10, 0
	v_cmp_ne_u16_sdwa s[8:9], v16, v10 src0_sel:BYTE_3 src1_sel:DWORD
	s_andn2_b64 s[4:5], s[4:5], exec
	s_and_b64 s[8:9], s[8:9], exec
	s_or_b64 s[4:5], s[4:5], s[8:9]
	s_or_b64 exec, exec, s[6:7]
	s_and_saveexec_b64 s[6:7], s[4:5]
	s_cbranch_execnz .LBB36_347
	s_branch .LBB36_348
.LBB36_2397:
	s_movk_i32 s4, 0x80
	v_cmp_eq_u16_sdwa s[12:13], v12, s4 src0_sel:BYTE_3 src1_sel:DWORD
	s_mov_b64 s[4:5], -1
                                        ; implicit-def: $sgpr10
	s_and_saveexec_b64 s[8:9], s[12:13]
; %bb.2398:
	s_mov_b32 s10, 0x7f800001
	s_xor_b64 s[4:5], exec, -1
; %bb.2399:
	s_or_b64 exec, exec, s[8:9]
	s_and_b64 s[4:5], s[4:5], exec
	s_or_saveexec_b64 s[6:7], s[6:7]
	v_mov_b32_e32 v11, s10
	s_xor_b64 exec, exec, s[6:7]
	s_cbranch_execz .LBB36_350
.LBB36_2400:
	v_mov_b32_e32 v11, 0
	v_cmp_ne_u16_sdwa s[8:9], v12, v11 src0_sel:BYTE_3 src1_sel:DWORD
	s_andn2_b64 s[4:5], s[4:5], exec
	s_and_b64 s[8:9], s[8:9], exec
	s_or_b64 s[4:5], s[4:5], s[8:9]
	s_or_b64 exec, exec, s[6:7]
	s_and_saveexec_b64 s[6:7], s[4:5]
	s_cbranch_execnz .LBB36_351
	s_branch .LBB36_352
.LBB36_2401:
	s_movk_i32 s4, 0x80
	v_cmp_eq_u16_sdwa s[12:13], v17, s4 src0_sel:BYTE_0 src1_sel:DWORD
	s_mov_b64 s[4:5], -1
                                        ; implicit-def: $sgpr10
	s_and_saveexec_b64 s[8:9], s[12:13]
; %bb.2402:
	s_mov_b32 s10, 0x7f800001
	s_xor_b64 s[4:5], exec, -1
; %bb.2403:
	s_or_b64 exec, exec, s[8:9]
	s_and_b64 s[4:5], s[4:5], exec
	s_or_saveexec_b64 s[6:7], s[6:7]
	v_mov_b32_e32 v10, s10
	s_xor_b64 exec, exec, s[6:7]
	s_cbranch_execz .LBB36_354
.LBB36_2404:
	v_mov_b32_e32 v10, 0
	v_cmp_ne_u16_sdwa s[8:9], v17, v10 src0_sel:BYTE_0 src1_sel:DWORD
	s_andn2_b64 s[4:5], s[4:5], exec
	s_and_b64 s[8:9], s[8:9], exec
	s_or_b64 s[4:5], s[4:5], s[8:9]
	s_or_b64 exec, exec, s[6:7]
	s_and_saveexec_b64 s[6:7], s[4:5]
	s_cbranch_execnz .LBB36_355
	s_branch .LBB36_356
.LBB36_2405:
	s_movk_i32 s4, 0x80
	v_cmp_eq_u16_sdwa s[12:13], v13, s4 src0_sel:BYTE_0 src1_sel:DWORD
	s_mov_b64 s[4:5], -1
                                        ; implicit-def: $sgpr10
	s_and_saveexec_b64 s[8:9], s[12:13]
; %bb.2406:
	s_mov_b32 s10, 0x7f800001
	s_xor_b64 s[4:5], exec, -1
; %bb.2407:
	s_or_b64 exec, exec, s[8:9]
	s_and_b64 s[4:5], s[4:5], exec
	s_or_saveexec_b64 s[6:7], s[6:7]
	v_mov_b32_e32 v11, s10
	s_xor_b64 exec, exec, s[6:7]
	s_cbranch_execz .LBB36_358
.LBB36_2408:
	v_mov_b32_e32 v11, 0
	v_cmp_ne_u16_sdwa s[8:9], v13, v11 src0_sel:BYTE_0 src1_sel:DWORD
	s_andn2_b64 s[4:5], s[4:5], exec
	s_and_b64 s[8:9], s[8:9], exec
	s_or_b64 s[4:5], s[4:5], s[8:9]
	s_or_b64 exec, exec, s[6:7]
	s_and_saveexec_b64 s[6:7], s[4:5]
	s_cbranch_execnz .LBB36_359
	s_branch .LBB36_360
.LBB36_2409:
	s_movk_i32 s4, 0x80
	v_cmp_eq_u16_sdwa s[12:13], v11, s4 src0_sel:BYTE_0 src1_sel:DWORD
	s_mov_b64 s[4:5], -1
                                        ; implicit-def: $sgpr10
	s_and_saveexec_b64 s[8:9], s[12:13]
; %bb.2410:
	s_mov_b32 s10, 0x7f800001
	s_xor_b64 s[4:5], exec, -1
; %bb.2411:
	s_or_b64 exec, exec, s[8:9]
	s_and_b64 s[4:5], s[4:5], exec
	s_or_saveexec_b64 s[6:7], s[6:7]
	v_mov_b32_e32 v10, s10
	s_xor_b64 exec, exec, s[6:7]
	s_cbranch_execz .LBB36_362
.LBB36_2412:
	v_mov_b32_e32 v10, 0
	v_cmp_ne_u16_sdwa s[8:9], v11, v10 src0_sel:BYTE_0 src1_sel:DWORD
	s_andn2_b64 s[4:5], s[4:5], exec
	s_and_b64 s[8:9], s[8:9], exec
	s_or_b64 s[4:5], s[4:5], s[8:9]
	s_or_b64 exec, exec, s[6:7]
	s_and_saveexec_b64 s[6:7], s[4:5]
	s_cbranch_execnz .LBB36_363
	s_branch .LBB36_364
.LBB36_2413:
	s_movk_i32 s4, 0x80
	v_cmp_eq_u16_sdwa s[12:13], v11, s4 src0_sel:BYTE_0 src1_sel:DWORD
	s_mov_b64 s[4:5], -1
                                        ; implicit-def: $sgpr10
	s_and_saveexec_b64 s[8:9], s[12:13]
; %bb.2414:
	s_mov_b32 s10, 0x7f800001
	s_xor_b64 s[4:5], exec, -1
; %bb.2415:
	s_or_b64 exec, exec, s[8:9]
	s_and_b64 s[4:5], s[4:5], exec
	s_or_saveexec_b64 s[6:7], s[6:7]
	v_mov_b32_e32 v12, s10
	s_xor_b64 exec, exec, s[6:7]
	s_cbranch_execz .LBB36_366
.LBB36_2416:
	v_mov_b32_e32 v12, 0
	v_cmp_ne_u16_sdwa s[8:9], v11, v12 src0_sel:BYTE_0 src1_sel:DWORD
	s_andn2_b64 s[4:5], s[4:5], exec
	s_and_b64 s[8:9], s[8:9], exec
	s_or_b64 s[4:5], s[4:5], s[8:9]
	s_or_b64 exec, exec, s[6:7]
	s_and_saveexec_b64 s[6:7], s[4:5]
	s_cbranch_execnz .LBB36_367
	s_branch .LBB36_368
.LBB36_2417:
	s_movk_i32 s4, 0x80
	v_cmp_eq_u16_e32 vcc, s4, v11
	s_mov_b64 s[4:5], -1
                                        ; implicit-def: $sgpr10
	s_and_saveexec_b64 s[8:9], vcc
; %bb.2418:
	s_mov_b32 s10, 0x7f800001
	s_xor_b64 s[4:5], exec, -1
; %bb.2419:
	s_or_b64 exec, exec, s[8:9]
	s_and_b64 s[4:5], s[4:5], exec
                                        ; implicit-def: $vgpr11
	s_or_saveexec_b64 s[6:7], s[6:7]
	v_mov_b32_e32 v10, s10
	s_xor_b64 exec, exec, s[6:7]
	s_cbranch_execz .LBB36_370
.LBB36_2420:
	v_cmp_ne_u16_e32 vcc, 0, v11
	s_andn2_b64 s[4:5], s[4:5], exec
	s_and_b64 s[8:9], vcc, exec
	v_mov_b32_e32 v10, 0
	s_or_b64 s[4:5], s[4:5], s[8:9]
	s_or_b64 exec, exec, s[6:7]
	s_and_saveexec_b64 s[6:7], s[4:5]
	s_cbranch_execnz .LBB36_371
	s_branch .LBB36_372
.LBB36_2421:
	s_movk_i32 s4, 0x80
	v_cmp_eq_u16_e32 vcc, s4, v11
	s_mov_b64 s[4:5], -1
                                        ; implicit-def: $sgpr10
	s_and_saveexec_b64 s[8:9], vcc
; %bb.2422:
	s_mov_b32 s10, 0x7f800001
	s_xor_b64 s[4:5], exec, -1
; %bb.2423:
	s_or_b64 exec, exec, s[8:9]
	s_and_b64 s[4:5], s[4:5], exec
                                        ; implicit-def: $vgpr11
	s_or_saveexec_b64 s[6:7], s[6:7]
	v_mov_b32_e32 v12, s10
	s_xor_b64 exec, exec, s[6:7]
	s_cbranch_execz .LBB36_374
.LBB36_2424:
	v_cmp_ne_u16_e32 vcc, 0, v11
	s_andn2_b64 s[4:5], s[4:5], exec
	s_and_b64 s[8:9], vcc, exec
	v_mov_b32_e32 v12, 0
	s_or_b64 s[4:5], s[4:5], s[8:9]
	s_or_b64 exec, exec, s[6:7]
	s_and_saveexec_b64 s[6:7], s[4:5]
	s_cbranch_execnz .LBB36_375
	s_branch .LBB36_376
.LBB36_2425:
	s_movk_i32 s4, 0x80
	v_cmp_eq_u16_sdwa s[12:13], v17, s4 src0_sel:BYTE_3 src1_sel:DWORD
	s_mov_b64 s[4:5], -1
                                        ; implicit-def: $sgpr10
	s_and_saveexec_b64 s[8:9], s[12:13]
; %bb.2426:
	s_mov_b32 s10, 0x7f800001
	s_xor_b64 s[4:5], exec, -1
; %bb.2427:
	s_or_b64 exec, exec, s[8:9]
	s_and_b64 s[4:5], s[4:5], exec
	s_or_saveexec_b64 s[6:7], s[6:7]
	v_mov_b32_e32 v10, s10
	s_xor_b64 exec, exec, s[6:7]
	s_cbranch_execz .LBB36_378
.LBB36_2428:
	v_mov_b32_e32 v10, 0
	v_cmp_ne_u16_sdwa s[8:9], v17, v10 src0_sel:BYTE_3 src1_sel:DWORD
	s_andn2_b64 s[4:5], s[4:5], exec
	s_and_b64 s[8:9], s[8:9], exec
	s_or_b64 s[4:5], s[4:5], s[8:9]
	s_or_b64 exec, exec, s[6:7]
	s_and_saveexec_b64 s[6:7], s[4:5]
	s_cbranch_execnz .LBB36_379
	s_branch .LBB36_380
.LBB36_2429:
	s_movk_i32 s4, 0x80
	v_cmp_eq_u16_sdwa s[12:13], v13, s4 src0_sel:BYTE_3 src1_sel:DWORD
	s_mov_b64 s[4:5], -1
                                        ; implicit-def: $sgpr10
	s_and_saveexec_b64 s[8:9], s[12:13]
; %bb.2430:
	s_mov_b32 s10, 0x7f800001
	s_xor_b64 s[4:5], exec, -1
; %bb.2431:
	s_or_b64 exec, exec, s[8:9]
	s_and_b64 s[4:5], s[4:5], exec
	s_or_saveexec_b64 s[6:7], s[6:7]
	v_mov_b32_e32 v11, s10
	s_xor_b64 exec, exec, s[6:7]
	s_cbranch_execz .LBB36_382
.LBB36_2432:
	v_mov_b32_e32 v11, 0
	v_cmp_ne_u16_sdwa s[8:9], v13, v11 src0_sel:BYTE_3 src1_sel:DWORD
	s_andn2_b64 s[4:5], s[4:5], exec
	s_and_b64 s[8:9], s[8:9], exec
	s_or_b64 s[4:5], s[4:5], s[8:9]
	s_or_b64 exec, exec, s[6:7]
	s_and_saveexec_b64 s[6:7], s[4:5]
	s_cbranch_execnz .LBB36_383
	s_branch .LBB36_384
.LBB36_2433:
	s_movk_i32 s4, 0x80
	v_cmp_eq_u16_sdwa s[12:13], v6, s4 src0_sel:BYTE_0 src1_sel:DWORD
	s_mov_b64 s[4:5], -1
                                        ; implicit-def: $sgpr10
	s_and_saveexec_b64 s[8:9], s[12:13]
; %bb.2434:
	s_mov_b32 s10, 0x7f800001
	s_xor_b64 s[4:5], exec, -1
; %bb.2435:
	s_or_b64 exec, exec, s[8:9]
	s_and_b64 s[4:5], s[4:5], exec
	s_or_saveexec_b64 s[6:7], s[6:7]
	v_mov_b32_e32 v10, s10
	s_xor_b64 exec, exec, s[6:7]
	s_cbranch_execz .LBB36_386
.LBB36_2436:
	v_mov_b32_e32 v10, 0
	v_cmp_ne_u16_sdwa s[8:9], v6, v10 src0_sel:BYTE_0 src1_sel:DWORD
	s_andn2_b64 s[4:5], s[4:5], exec
	s_and_b64 s[8:9], s[8:9], exec
	s_or_b64 s[4:5], s[4:5], s[8:9]
	s_or_b64 exec, exec, s[6:7]
	s_and_saveexec_b64 s[6:7], s[4:5]
	s_cbranch_execnz .LBB36_387
	s_branch .LBB36_388
.LBB36_2437:
	s_movk_i32 s4, 0x80
	v_cmp_eq_u16_sdwa s[12:13], v2, s4 src0_sel:BYTE_0 src1_sel:DWORD
	s_mov_b64 s[4:5], -1
                                        ; implicit-def: $sgpr10
	s_and_saveexec_b64 s[8:9], s[12:13]
; %bb.2438:
	s_mov_b32 s10, 0x7f800001
	s_xor_b64 s[4:5], exec, -1
; %bb.2439:
	s_or_b64 exec, exec, s[8:9]
	s_and_b64 s[4:5], s[4:5], exec
	s_or_saveexec_b64 s[6:7], s[6:7]
	v_mov_b32_e32 v11, s10
	s_xor_b64 exec, exec, s[6:7]
	s_cbranch_execz .LBB36_390
.LBB36_2440:
	v_mov_b32_e32 v11, 0
	v_cmp_ne_u16_sdwa s[8:9], v2, v11 src0_sel:BYTE_0 src1_sel:DWORD
	s_andn2_b64 s[4:5], s[4:5], exec
	s_and_b64 s[8:9], s[8:9], exec
	s_or_b64 s[4:5], s[4:5], s[8:9]
	s_or_b64 exec, exec, s[6:7]
	s_and_saveexec_b64 s[6:7], s[4:5]
	s_cbranch_execnz .LBB36_391
	s_branch .LBB36_392
.LBB36_2441:
	s_movk_i32 s4, 0x80
	v_cmp_eq_u16_sdwa s[12:13], v11, s4 src0_sel:BYTE_0 src1_sel:DWORD
	s_mov_b64 s[4:5], -1
                                        ; implicit-def: $sgpr10
	s_and_saveexec_b64 s[8:9], s[12:13]
; %bb.2442:
	s_mov_b32 s10, 0x7f800001
	s_xor_b64 s[4:5], exec, -1
; %bb.2443:
	s_or_b64 exec, exec, s[8:9]
	s_and_b64 s[4:5], s[4:5], exec
	s_or_saveexec_b64 s[6:7], s[6:7]
	v_mov_b32_e32 v10, s10
	s_xor_b64 exec, exec, s[6:7]
	s_cbranch_execz .LBB36_394
.LBB36_2444:
	v_mov_b32_e32 v10, 0
	v_cmp_ne_u16_sdwa s[8:9], v11, v10 src0_sel:BYTE_0 src1_sel:DWORD
	s_andn2_b64 s[4:5], s[4:5], exec
	s_and_b64 s[8:9], s[8:9], exec
	s_or_b64 s[4:5], s[4:5], s[8:9]
	s_or_b64 exec, exec, s[6:7]
	s_and_saveexec_b64 s[6:7], s[4:5]
	s_cbranch_execnz .LBB36_395
	s_branch .LBB36_396
.LBB36_2445:
	s_movk_i32 s4, 0x80
	v_cmp_eq_u16_sdwa s[12:13], v11, s4 src0_sel:BYTE_0 src1_sel:DWORD
	s_mov_b64 s[4:5], -1
                                        ; implicit-def: $sgpr10
	s_and_saveexec_b64 s[8:9], s[12:13]
; %bb.2446:
	s_mov_b32 s10, 0x7f800001
	s_xor_b64 s[4:5], exec, -1
; %bb.2447:
	s_or_b64 exec, exec, s[8:9]
	s_and_b64 s[4:5], s[4:5], exec
	s_or_saveexec_b64 s[6:7], s[6:7]
	v_mov_b32_e32 v12, s10
	s_xor_b64 exec, exec, s[6:7]
	s_cbranch_execz .LBB36_398
.LBB36_2448:
	v_mov_b32_e32 v12, 0
	v_cmp_ne_u16_sdwa s[8:9], v11, v12 src0_sel:BYTE_0 src1_sel:DWORD
	s_andn2_b64 s[4:5], s[4:5], exec
	s_and_b64 s[8:9], s[8:9], exec
	s_or_b64 s[4:5], s[4:5], s[8:9]
	s_or_b64 exec, exec, s[6:7]
	s_and_saveexec_b64 s[6:7], s[4:5]
	s_cbranch_execnz .LBB36_399
	s_branch .LBB36_400
.LBB36_2449:
	s_movk_i32 s4, 0x80
	v_cmp_eq_u16_e32 vcc, s4, v11
	s_mov_b64 s[4:5], -1
                                        ; implicit-def: $sgpr10
	s_and_saveexec_b64 s[8:9], vcc
; %bb.2450:
	s_mov_b32 s10, 0x7f800001
	s_xor_b64 s[4:5], exec, -1
; %bb.2451:
	s_or_b64 exec, exec, s[8:9]
	s_and_b64 s[4:5], s[4:5], exec
                                        ; implicit-def: $vgpr11
	s_or_saveexec_b64 s[6:7], s[6:7]
	v_mov_b32_e32 v10, s10
	s_xor_b64 exec, exec, s[6:7]
	s_cbranch_execz .LBB36_402
.LBB36_2452:
	v_cmp_ne_u16_e32 vcc, 0, v11
	s_andn2_b64 s[4:5], s[4:5], exec
	s_and_b64 s[8:9], vcc, exec
	v_mov_b32_e32 v10, 0
	s_or_b64 s[4:5], s[4:5], s[8:9]
	s_or_b64 exec, exec, s[6:7]
	s_and_saveexec_b64 s[6:7], s[4:5]
	s_cbranch_execnz .LBB36_403
	s_branch .LBB36_404
.LBB36_2453:
	s_movk_i32 s4, 0x80
	v_cmp_eq_u16_e32 vcc, s4, v11
	s_mov_b64 s[4:5], -1
                                        ; implicit-def: $sgpr10
	s_and_saveexec_b64 s[8:9], vcc
; %bb.2454:
	s_mov_b32 s10, 0x7f800001
	s_xor_b64 s[4:5], exec, -1
; %bb.2455:
	s_or_b64 exec, exec, s[8:9]
	s_and_b64 s[4:5], s[4:5], exec
                                        ; implicit-def: $vgpr11
	s_or_saveexec_b64 s[6:7], s[6:7]
	v_mov_b32_e32 v12, s10
	s_xor_b64 exec, exec, s[6:7]
	s_cbranch_execz .LBB36_406
.LBB36_2456:
	v_cmp_ne_u16_e32 vcc, 0, v11
	s_andn2_b64 s[4:5], s[4:5], exec
	s_and_b64 s[8:9], vcc, exec
	v_mov_b32_e32 v12, 0
	s_or_b64 s[4:5], s[4:5], s[8:9]
	s_or_b64 exec, exec, s[6:7]
	s_and_saveexec_b64 s[6:7], s[4:5]
	s_cbranch_execnz .LBB36_407
	s_branch .LBB36_408
.LBB36_2457:
	s_movk_i32 s4, 0x80
	v_cmp_eq_u16_sdwa s[12:13], v6, s4 src0_sel:BYTE_3 src1_sel:DWORD
	s_mov_b64 s[4:5], -1
                                        ; implicit-def: $sgpr10
	s_and_saveexec_b64 s[8:9], s[12:13]
; %bb.2458:
	s_mov_b32 s10, 0x7f800001
	s_xor_b64 s[4:5], exec, -1
; %bb.2459:
	s_or_b64 exec, exec, s[8:9]
	s_and_b64 s[4:5], s[4:5], exec
	s_or_saveexec_b64 s[6:7], s[6:7]
	v_mov_b32_e32 v10, s10
	s_xor_b64 exec, exec, s[6:7]
	s_cbranch_execz .LBB36_410
.LBB36_2460:
	v_mov_b32_e32 v10, 0
	v_cmp_ne_u16_sdwa s[8:9], v6, v10 src0_sel:BYTE_3 src1_sel:DWORD
	s_andn2_b64 s[4:5], s[4:5], exec
	s_and_b64 s[8:9], s[8:9], exec
	s_or_b64 s[4:5], s[4:5], s[8:9]
	s_or_b64 exec, exec, s[6:7]
	s_and_saveexec_b64 s[6:7], s[4:5]
	s_cbranch_execnz .LBB36_411
	s_branch .LBB36_412
.LBB36_2461:
	s_movk_i32 s4, 0x80
	v_cmp_eq_u16_sdwa s[12:13], v2, s4 src0_sel:BYTE_3 src1_sel:DWORD
	s_mov_b64 s[4:5], -1
                                        ; implicit-def: $sgpr10
	s_and_saveexec_b64 s[8:9], s[12:13]
; %bb.2462:
	s_mov_b32 s10, 0x7f800001
	s_xor_b64 s[4:5], exec, -1
; %bb.2463:
	s_or_b64 exec, exec, s[8:9]
	s_and_b64 s[4:5], s[4:5], exec
	s_or_saveexec_b64 s[6:7], s[6:7]
	v_mov_b32_e32 v6, s10
	s_xor_b64 exec, exec, s[6:7]
	s_cbranch_execz .LBB36_414
.LBB36_2464:
	v_mov_b32_e32 v6, 0
	v_cmp_ne_u16_sdwa s[8:9], v2, v6 src0_sel:BYTE_3 src1_sel:DWORD
	s_andn2_b64 s[4:5], s[4:5], exec
	s_and_b64 s[8:9], s[8:9], exec
	s_or_b64 s[4:5], s[4:5], s[8:9]
	s_or_b64 exec, exec, s[6:7]
	s_and_saveexec_b64 s[6:7], s[4:5]
	s_cbranch_execnz .LBB36_415
	s_branch .LBB36_416
.LBB36_2465:
	s_movk_i32 s4, 0x80
	v_cmp_eq_u16_sdwa s[12:13], v7, s4 src0_sel:BYTE_0 src1_sel:DWORD
	s_mov_b64 s[4:5], -1
                                        ; implicit-def: $sgpr10
	s_and_saveexec_b64 s[8:9], s[12:13]
; %bb.2466:
	s_mov_b32 s10, 0x7f800001
	s_xor_b64 s[4:5], exec, -1
; %bb.2467:
	s_or_b64 exec, exec, s[8:9]
	s_and_b64 s[4:5], s[4:5], exec
	s_or_saveexec_b64 s[6:7], s[6:7]
	v_mov_b32_e32 v2, s10
	s_xor_b64 exec, exec, s[6:7]
	s_cbranch_execz .LBB36_418
.LBB36_2468:
	v_mov_b32_e32 v2, 0
	v_cmp_ne_u16_sdwa s[8:9], v7, v2 src0_sel:BYTE_0 src1_sel:DWORD
	s_andn2_b64 s[4:5], s[4:5], exec
	s_and_b64 s[8:9], s[8:9], exec
	s_or_b64 s[4:5], s[4:5], s[8:9]
	s_or_b64 exec, exec, s[6:7]
	s_and_saveexec_b64 s[6:7], s[4:5]
	s_cbranch_execnz .LBB36_419
	s_branch .LBB36_420
.LBB36_2469:
	s_movk_i32 s4, 0x80
	v_cmp_eq_u16_sdwa s[12:13], v3, s4 src0_sel:BYTE_0 src1_sel:DWORD
	s_mov_b64 s[4:5], -1
                                        ; implicit-def: $sgpr10
	s_and_saveexec_b64 s[8:9], s[12:13]
; %bb.2470:
	s_mov_b32 s10, 0x7f800001
	s_xor_b64 s[4:5], exec, -1
; %bb.2471:
	s_or_b64 exec, exec, s[8:9]
	s_and_b64 s[4:5], s[4:5], exec
	s_or_saveexec_b64 s[6:7], s[6:7]
	v_mov_b32_e32 v6, s10
	s_xor_b64 exec, exec, s[6:7]
	s_cbranch_execz .LBB36_422
.LBB36_2472:
	v_mov_b32_e32 v6, 0
	v_cmp_ne_u16_sdwa s[8:9], v3, v6 src0_sel:BYTE_0 src1_sel:DWORD
	s_andn2_b64 s[4:5], s[4:5], exec
	s_and_b64 s[8:9], s[8:9], exec
	s_or_b64 s[4:5], s[4:5], s[8:9]
	s_or_b64 exec, exec, s[6:7]
	s_and_saveexec_b64 s[6:7], s[4:5]
	s_cbranch_execnz .LBB36_423
	s_branch .LBB36_424
.LBB36_2473:
	s_movk_i32 s4, 0x80
	v_cmp_eq_u16_sdwa s[12:13], v6, s4 src0_sel:BYTE_0 src1_sel:DWORD
	s_mov_b64 s[4:5], -1
                                        ; implicit-def: $sgpr10
	s_and_saveexec_b64 s[8:9], s[12:13]
; %bb.2474:
	s_mov_b32 s10, 0x7f800001
	s_xor_b64 s[4:5], exec, -1
; %bb.2475:
	s_or_b64 exec, exec, s[8:9]
	s_and_b64 s[4:5], s[4:5], exec
	s_or_saveexec_b64 s[6:7], s[6:7]
	v_mov_b32_e32 v2, s10
	s_xor_b64 exec, exec, s[6:7]
	s_cbranch_execz .LBB36_426
.LBB36_2476:
	v_mov_b32_e32 v2, 0
	v_cmp_ne_u16_sdwa s[8:9], v6, v2 src0_sel:BYTE_0 src1_sel:DWORD
	s_andn2_b64 s[4:5], s[4:5], exec
	s_and_b64 s[8:9], s[8:9], exec
	s_or_b64 s[4:5], s[4:5], s[8:9]
	s_or_b64 exec, exec, s[6:7]
	s_and_saveexec_b64 s[6:7], s[4:5]
	s_cbranch_execnz .LBB36_427
	s_branch .LBB36_428
.LBB36_2477:
	s_movk_i32 s4, 0x80
	v_cmp_eq_u16_sdwa s[12:13], v6, s4 src0_sel:BYTE_0 src1_sel:DWORD
	s_mov_b64 s[4:5], -1
                                        ; implicit-def: $sgpr10
	s_and_saveexec_b64 s[8:9], s[12:13]
; %bb.2478:
	s_mov_b32 s10, 0x7f800001
	s_xor_b64 s[4:5], exec, -1
; %bb.2479:
	s_or_b64 exec, exec, s[8:9]
	s_and_b64 s[4:5], s[4:5], exec
	s_or_saveexec_b64 s[6:7], s[6:7]
	v_mov_b32_e32 v10, s10
	s_xor_b64 exec, exec, s[6:7]
	s_cbranch_execz .LBB36_430
.LBB36_2480:
	v_mov_b32_e32 v10, 0
	v_cmp_ne_u16_sdwa s[8:9], v6, v10 src0_sel:BYTE_0 src1_sel:DWORD
	s_andn2_b64 s[4:5], s[4:5], exec
	s_and_b64 s[8:9], s[8:9], exec
	s_or_b64 s[4:5], s[4:5], s[8:9]
	s_or_b64 exec, exec, s[6:7]
	s_and_saveexec_b64 s[6:7], s[4:5]
	s_cbranch_execnz .LBB36_431
	s_branch .LBB36_432
.LBB36_2481:
	s_movk_i32 s4, 0x80
	v_cmp_eq_u16_e32 vcc, s4, v6
	s_mov_b64 s[4:5], -1
                                        ; implicit-def: $sgpr10
	s_and_saveexec_b64 s[8:9], vcc
; %bb.2482:
	s_mov_b32 s10, 0x7f800001
	s_xor_b64 s[4:5], exec, -1
; %bb.2483:
	s_or_b64 exec, exec, s[8:9]
	s_and_b64 s[4:5], s[4:5], exec
                                        ; implicit-def: $vgpr6
	s_or_saveexec_b64 s[6:7], s[6:7]
	v_mov_b32_e32 v2, s10
	s_xor_b64 exec, exec, s[6:7]
	s_cbranch_execz .LBB36_434
.LBB36_2484:
	v_cmp_ne_u16_e32 vcc, 0, v6
	s_andn2_b64 s[4:5], s[4:5], exec
	s_and_b64 s[8:9], vcc, exec
	v_mov_b32_e32 v2, 0
	s_or_b64 s[4:5], s[4:5], s[8:9]
	s_or_b64 exec, exec, s[6:7]
	s_and_saveexec_b64 s[6:7], s[4:5]
	s_cbranch_execnz .LBB36_435
	s_branch .LBB36_436
.LBB36_2485:
	s_movk_i32 s4, 0x80
	v_cmp_eq_u16_e32 vcc, s4, v6
	s_mov_b64 s[4:5], -1
                                        ; implicit-def: $sgpr10
	s_and_saveexec_b64 s[8:9], vcc
; %bb.2486:
	s_mov_b32 s10, 0x7f800001
	s_xor_b64 s[4:5], exec, -1
; %bb.2487:
	s_or_b64 exec, exec, s[8:9]
	s_and_b64 s[4:5], s[4:5], exec
                                        ; implicit-def: $vgpr6
	s_or_saveexec_b64 s[6:7], s[6:7]
	v_mov_b32_e32 v10, s10
	s_xor_b64 exec, exec, s[6:7]
	s_cbranch_execz .LBB36_438
.LBB36_2488:
	v_cmp_ne_u16_e32 vcc, 0, v6
	s_andn2_b64 s[4:5], s[4:5], exec
	s_and_b64 s[8:9], vcc, exec
	v_mov_b32_e32 v10, 0
	s_or_b64 s[4:5], s[4:5], s[8:9]
	s_or_b64 exec, exec, s[6:7]
	s_and_saveexec_b64 s[6:7], s[4:5]
	s_cbranch_execnz .LBB36_439
	s_branch .LBB36_440
.LBB36_2489:
	s_movk_i32 s4, 0x80
	v_cmp_eq_u16_sdwa s[12:13], v7, s4 src0_sel:BYTE_3 src1_sel:DWORD
	s_mov_b64 s[4:5], -1
                                        ; implicit-def: $sgpr10
	s_and_saveexec_b64 s[8:9], s[12:13]
; %bb.2490:
	s_mov_b32 s10, 0x7f800001
	s_xor_b64 s[4:5], exec, -1
; %bb.2491:
	s_or_b64 exec, exec, s[8:9]
	s_and_b64 s[4:5], s[4:5], exec
	s_or_saveexec_b64 s[6:7], s[6:7]
	v_mov_b32_e32 v2, s10
	s_xor_b64 exec, exec, s[6:7]
	s_cbranch_execz .LBB36_442
.LBB36_2492:
	v_mov_b32_e32 v2, 0
	v_cmp_ne_u16_sdwa s[8:9], v7, v2 src0_sel:BYTE_3 src1_sel:DWORD
	s_andn2_b64 s[4:5], s[4:5], exec
	s_and_b64 s[8:9], s[8:9], exec
	s_or_b64 s[4:5], s[4:5], s[8:9]
	s_or_b64 exec, exec, s[6:7]
	s_and_saveexec_b64 s[6:7], s[4:5]
	s_cbranch_execnz .LBB36_443
	s_branch .LBB36_444
.LBB36_2493:
	s_movk_i32 s4, 0x80
	v_cmp_eq_u16_sdwa s[12:13], v3, s4 src0_sel:BYTE_3 src1_sel:DWORD
	s_mov_b64 s[4:5], -1
                                        ; implicit-def: $sgpr10
	s_and_saveexec_b64 s[8:9], s[12:13]
; %bb.2494:
	s_mov_b32 s10, 0x7f800001
	s_xor_b64 s[4:5], exec, -1
; %bb.2495:
	s_or_b64 exec, exec, s[8:9]
	s_and_b64 s[4:5], s[4:5], exec
	s_or_saveexec_b64 s[6:7], s[6:7]
	v_mov_b32_e32 v6, s10
	s_xor_b64 exec, exec, s[6:7]
	s_cbranch_execz .LBB36_446
.LBB36_2496:
	v_mov_b32_e32 v6, 0
	v_cmp_ne_u16_sdwa s[8:9], v3, v6 src0_sel:BYTE_3 src1_sel:DWORD
	s_andn2_b64 s[4:5], s[4:5], exec
	s_and_b64 s[8:9], s[8:9], exec
	s_or_b64 s[4:5], s[4:5], s[8:9]
	s_or_b64 exec, exec, s[6:7]
	s_and_saveexec_b64 s[6:7], s[4:5]
	s_cbranch_execnz .LBB36_447
	s_branch .LBB36_448
.LBB36_2497:
	s_movk_i32 s4, 0x80
	v_cmp_eq_u16_sdwa s[12:13], v8, s4 src0_sel:BYTE_0 src1_sel:DWORD
	s_mov_b64 s[4:5], -1
                                        ; implicit-def: $sgpr10
	s_and_saveexec_b64 s[8:9], s[12:13]
; %bb.2498:
	s_mov_b32 s10, 0x7f800001
	s_xor_b64 s[4:5], exec, -1
; %bb.2499:
	s_or_b64 exec, exec, s[8:9]
	s_and_b64 s[4:5], s[4:5], exec
	s_or_saveexec_b64 s[6:7], s[6:7]
	v_mov_b32_e32 v2, s10
	s_xor_b64 exec, exec, s[6:7]
	s_cbranch_execz .LBB36_450
.LBB36_2500:
	v_mov_b32_e32 v2, 0
	v_cmp_ne_u16_sdwa s[8:9], v8, v2 src0_sel:BYTE_0 src1_sel:DWORD
	s_andn2_b64 s[4:5], s[4:5], exec
	s_and_b64 s[8:9], s[8:9], exec
	s_or_b64 s[4:5], s[4:5], s[8:9]
	s_or_b64 exec, exec, s[6:7]
	s_and_saveexec_b64 s[6:7], s[4:5]
	s_cbranch_execnz .LBB36_451
	s_branch .LBB36_452
.LBB36_2501:
	s_movk_i32 s4, 0x80
	v_cmp_eq_u16_sdwa s[12:13], v4, s4 src0_sel:BYTE_0 src1_sel:DWORD
	s_mov_b64 s[4:5], -1
                                        ; implicit-def: $sgpr10
	s_and_saveexec_b64 s[8:9], s[12:13]
; %bb.2502:
	s_mov_b32 s10, 0x7f800001
	s_xor_b64 s[4:5], exec, -1
; %bb.2503:
	s_or_b64 exec, exec, s[8:9]
	s_and_b64 s[4:5], s[4:5], exec
	s_or_saveexec_b64 s[6:7], s[6:7]
	v_mov_b32_e32 v3, s10
	s_xor_b64 exec, exec, s[6:7]
	s_cbranch_execz .LBB36_454
.LBB36_2504:
	v_mov_b32_e32 v3, 0
	v_cmp_ne_u16_sdwa s[8:9], v4, v3 src0_sel:BYTE_0 src1_sel:DWORD
	s_andn2_b64 s[4:5], s[4:5], exec
	s_and_b64 s[8:9], s[8:9], exec
	s_or_b64 s[4:5], s[4:5], s[8:9]
	s_or_b64 exec, exec, s[6:7]
	s_and_saveexec_b64 s[6:7], s[4:5]
	s_cbranch_execnz .LBB36_455
	s_branch .LBB36_456
.LBB36_2505:
	s_movk_i32 s4, 0x80
	v_cmp_eq_u16_sdwa s[12:13], v3, s4 src0_sel:BYTE_0 src1_sel:DWORD
	s_mov_b64 s[4:5], -1
                                        ; implicit-def: $sgpr10
	s_and_saveexec_b64 s[8:9], s[12:13]
; %bb.2506:
	s_mov_b32 s10, 0x7f800001
	s_xor_b64 s[4:5], exec, -1
; %bb.2507:
	s_or_b64 exec, exec, s[8:9]
	s_and_b64 s[4:5], s[4:5], exec
	s_or_saveexec_b64 s[6:7], s[6:7]
	v_mov_b32_e32 v2, s10
	s_xor_b64 exec, exec, s[6:7]
	s_cbranch_execz .LBB36_458
.LBB36_2508:
	v_mov_b32_e32 v2, 0
	v_cmp_ne_u16_sdwa s[8:9], v3, v2 src0_sel:BYTE_0 src1_sel:DWORD
	s_andn2_b64 s[4:5], s[4:5], exec
	s_and_b64 s[8:9], s[8:9], exec
	s_or_b64 s[4:5], s[4:5], s[8:9]
	s_or_b64 exec, exec, s[6:7]
	s_and_saveexec_b64 s[6:7], s[4:5]
	s_cbranch_execnz .LBB36_459
	s_branch .LBB36_460
.LBB36_2509:
	s_movk_i32 s4, 0x80
	v_cmp_eq_u16_sdwa s[12:13], v3, s4 src0_sel:BYTE_0 src1_sel:DWORD
	s_mov_b64 s[4:5], -1
                                        ; implicit-def: $sgpr10
	s_and_saveexec_b64 s[8:9], s[12:13]
; %bb.2510:
	s_mov_b32 s10, 0x7f800001
	s_xor_b64 s[4:5], exec, -1
; %bb.2511:
	s_or_b64 exec, exec, s[8:9]
	s_and_b64 s[4:5], s[4:5], exec
	s_or_saveexec_b64 s[6:7], s[6:7]
	v_mov_b32_e32 v6, s10
	s_xor_b64 exec, exec, s[6:7]
	s_cbranch_execz .LBB36_462
.LBB36_2512:
	v_mov_b32_e32 v6, 0
	v_cmp_ne_u16_sdwa s[8:9], v3, v6 src0_sel:BYTE_0 src1_sel:DWORD
	s_andn2_b64 s[4:5], s[4:5], exec
	s_and_b64 s[8:9], s[8:9], exec
	s_or_b64 s[4:5], s[4:5], s[8:9]
	s_or_b64 exec, exec, s[6:7]
	s_and_saveexec_b64 s[6:7], s[4:5]
	s_cbranch_execnz .LBB36_463
	s_branch .LBB36_464
.LBB36_2513:
	s_movk_i32 s4, 0x80
	v_cmp_eq_u16_e32 vcc, s4, v3
	s_mov_b64 s[4:5], -1
                                        ; implicit-def: $sgpr10
	s_and_saveexec_b64 s[8:9], vcc
; %bb.2514:
	s_mov_b32 s10, 0x7f800001
	s_xor_b64 s[4:5], exec, -1
; %bb.2515:
	s_or_b64 exec, exec, s[8:9]
	s_and_b64 s[4:5], s[4:5], exec
                                        ; implicit-def: $vgpr3
	s_or_saveexec_b64 s[6:7], s[6:7]
	v_mov_b32_e32 v2, s10
	s_xor_b64 exec, exec, s[6:7]
	s_cbranch_execz .LBB36_466
.LBB36_2516:
	v_cmp_ne_u16_e32 vcc, 0, v3
	s_andn2_b64 s[4:5], s[4:5], exec
	s_and_b64 s[8:9], vcc, exec
	v_mov_b32_e32 v2, 0
	s_or_b64 s[4:5], s[4:5], s[8:9]
	s_or_b64 exec, exec, s[6:7]
	s_and_saveexec_b64 s[6:7], s[4:5]
	s_cbranch_execnz .LBB36_467
	s_branch .LBB36_468
.LBB36_2517:
	s_movk_i32 s4, 0x80
	v_cmp_eq_u16_e32 vcc, s4, v3
	s_mov_b64 s[4:5], -1
                                        ; implicit-def: $sgpr10
	s_and_saveexec_b64 s[8:9], vcc
; %bb.2518:
	s_mov_b32 s10, 0x7f800001
	s_xor_b64 s[4:5], exec, -1
; %bb.2519:
	s_or_b64 exec, exec, s[8:9]
	s_and_b64 s[4:5], s[4:5], exec
                                        ; implicit-def: $vgpr3
	s_or_saveexec_b64 s[6:7], s[6:7]
	v_mov_b32_e32 v6, s10
	s_xor_b64 exec, exec, s[6:7]
	s_cbranch_execz .LBB36_470
.LBB36_2520:
	v_cmp_ne_u16_e32 vcc, 0, v3
	s_andn2_b64 s[4:5], s[4:5], exec
	s_and_b64 s[8:9], vcc, exec
	v_mov_b32_e32 v6, 0
	s_or_b64 s[4:5], s[4:5], s[8:9]
	s_or_b64 exec, exec, s[6:7]
	s_and_saveexec_b64 s[6:7], s[4:5]
	s_cbranch_execnz .LBB36_471
	s_branch .LBB36_472
.LBB36_2521:
	s_movk_i32 s4, 0x80
	v_cmp_eq_u16_sdwa s[12:13], v8, s4 src0_sel:BYTE_3 src1_sel:DWORD
	s_mov_b64 s[4:5], -1
                                        ; implicit-def: $sgpr10
	s_and_saveexec_b64 s[8:9], s[12:13]
; %bb.2522:
	s_mov_b32 s10, 0x7f800001
	s_xor_b64 s[4:5], exec, -1
; %bb.2523:
	s_or_b64 exec, exec, s[8:9]
	s_and_b64 s[4:5], s[4:5], exec
	s_or_saveexec_b64 s[6:7], s[6:7]
	v_mov_b32_e32 v2, s10
	s_xor_b64 exec, exec, s[6:7]
	s_cbranch_execz .LBB36_474
.LBB36_2524:
	v_mov_b32_e32 v2, 0
	v_cmp_ne_u16_sdwa s[8:9], v8, v2 src0_sel:BYTE_3 src1_sel:DWORD
	s_andn2_b64 s[4:5], s[4:5], exec
	s_and_b64 s[8:9], s[8:9], exec
	s_or_b64 s[4:5], s[4:5], s[8:9]
	s_or_b64 exec, exec, s[6:7]
	s_and_saveexec_b64 s[6:7], s[4:5]
	s_cbranch_execnz .LBB36_475
	s_branch .LBB36_476
.LBB36_2525:
	s_movk_i32 s4, 0x80
	v_cmp_eq_u16_sdwa s[12:13], v4, s4 src0_sel:BYTE_3 src1_sel:DWORD
	s_mov_b64 s[4:5], -1
                                        ; implicit-def: $sgpr10
	s_and_saveexec_b64 s[8:9], s[12:13]
; %bb.2526:
	s_mov_b32 s10, 0x7f800001
	s_xor_b64 s[4:5], exec, -1
; %bb.2527:
	s_or_b64 exec, exec, s[8:9]
	s_and_b64 s[4:5], s[4:5], exec
	s_or_saveexec_b64 s[6:7], s[6:7]
	v_mov_b32_e32 v3, s10
	s_xor_b64 exec, exec, s[6:7]
	s_cbranch_execz .LBB36_478
.LBB36_2528:
	v_mov_b32_e32 v3, 0
	v_cmp_ne_u16_sdwa s[8:9], v4, v3 src0_sel:BYTE_3 src1_sel:DWORD
	s_andn2_b64 s[4:5], s[4:5], exec
	s_and_b64 s[8:9], s[8:9], exec
	s_or_b64 s[4:5], s[4:5], s[8:9]
	s_or_b64 exec, exec, s[6:7]
	s_and_saveexec_b64 s[6:7], s[4:5]
	s_cbranch_execnz .LBB36_479
	s_branch .LBB36_480
.LBB36_2529:
	s_movk_i32 s4, 0x80
	v_cmp_eq_u16_sdwa s[12:13], v9, s4 src0_sel:BYTE_0 src1_sel:DWORD
	s_mov_b64 s[4:5], -1
                                        ; implicit-def: $sgpr10
	s_and_saveexec_b64 s[8:9], s[12:13]
; %bb.2530:
	s_mov_b32 s10, 0x7f800001
	s_xor_b64 s[4:5], exec, -1
; %bb.2531:
	s_or_b64 exec, exec, s[8:9]
	s_and_b64 s[4:5], s[4:5], exec
	s_or_saveexec_b64 s[6:7], s[6:7]
	v_mov_b32_e32 v2, s10
	s_xor_b64 exec, exec, s[6:7]
	s_cbranch_execz .LBB36_482
.LBB36_2532:
	v_mov_b32_e32 v2, 0
	v_cmp_ne_u16_sdwa s[8:9], v9, v2 src0_sel:BYTE_0 src1_sel:DWORD
	s_andn2_b64 s[4:5], s[4:5], exec
	s_and_b64 s[8:9], s[8:9], exec
	s_or_b64 s[4:5], s[4:5], s[8:9]
	s_or_b64 exec, exec, s[6:7]
	s_and_saveexec_b64 s[6:7], s[4:5]
	s_cbranch_execnz .LBB36_483
	s_branch .LBB36_484
.LBB36_2533:
	s_movk_i32 s4, 0x80
	v_cmp_eq_u16_sdwa s[12:13], v5, s4 src0_sel:BYTE_0 src1_sel:DWORD
	s_mov_b64 s[4:5], -1
                                        ; implicit-def: $sgpr10
	s_and_saveexec_b64 s[8:9], s[12:13]
; %bb.2534:
	s_mov_b32 s10, 0x7f800001
	s_xor_b64 s[4:5], exec, -1
; %bb.2535:
	s_or_b64 exec, exec, s[8:9]
	s_and_b64 s[4:5], s[4:5], exec
	s_or_saveexec_b64 s[6:7], s[6:7]
	v_mov_b32_e32 v3, s10
	s_xor_b64 exec, exec, s[6:7]
	s_cbranch_execz .LBB36_486
.LBB36_2536:
	v_mov_b32_e32 v3, 0
	v_cmp_ne_u16_sdwa s[8:9], v5, v3 src0_sel:BYTE_0 src1_sel:DWORD
	s_andn2_b64 s[4:5], s[4:5], exec
	s_and_b64 s[8:9], s[8:9], exec
	s_or_b64 s[4:5], s[4:5], s[8:9]
	s_or_b64 exec, exec, s[6:7]
	s_and_saveexec_b64 s[6:7], s[4:5]
	s_cbranch_execnz .LBB36_487
	s_branch .LBB36_488
.LBB36_2537:
	s_movk_i32 s4, 0x80
	v_cmp_eq_u16_sdwa s[12:13], v3, s4 src0_sel:BYTE_0 src1_sel:DWORD
	s_mov_b64 s[4:5], -1
                                        ; implicit-def: $sgpr10
	s_and_saveexec_b64 s[8:9], s[12:13]
; %bb.2538:
	s_mov_b32 s10, 0x7f800001
	s_xor_b64 s[4:5], exec, -1
; %bb.2539:
	s_or_b64 exec, exec, s[8:9]
	s_and_b64 s[4:5], s[4:5], exec
	s_or_saveexec_b64 s[6:7], s[6:7]
	v_mov_b32_e32 v2, s10
	s_xor_b64 exec, exec, s[6:7]
	s_cbranch_execz .LBB36_490
.LBB36_2540:
	v_mov_b32_e32 v2, 0
	v_cmp_ne_u16_sdwa s[8:9], v3, v2 src0_sel:BYTE_0 src1_sel:DWORD
	s_andn2_b64 s[4:5], s[4:5], exec
	s_and_b64 s[8:9], s[8:9], exec
	s_or_b64 s[4:5], s[4:5], s[8:9]
	s_or_b64 exec, exec, s[6:7]
	s_and_saveexec_b64 s[6:7], s[4:5]
	s_cbranch_execnz .LBB36_491
	s_branch .LBB36_492
.LBB36_2541:
	s_movk_i32 s4, 0x80
	v_cmp_eq_u16_sdwa s[12:13], v3, s4 src0_sel:BYTE_0 src1_sel:DWORD
	s_mov_b64 s[4:5], -1
                                        ; implicit-def: $sgpr10
	s_and_saveexec_b64 s[8:9], s[12:13]
; %bb.2542:
	s_mov_b32 s10, 0x7f800001
	s_xor_b64 s[4:5], exec, -1
; %bb.2543:
	s_or_b64 exec, exec, s[8:9]
	s_and_b64 s[4:5], s[4:5], exec
	s_or_saveexec_b64 s[6:7], s[6:7]
	v_mov_b32_e32 v4, s10
	s_xor_b64 exec, exec, s[6:7]
	s_cbranch_execz .LBB36_494
.LBB36_2544:
	v_mov_b32_e32 v4, 0
	v_cmp_ne_u16_sdwa s[8:9], v3, v4 src0_sel:BYTE_0 src1_sel:DWORD
	s_andn2_b64 s[4:5], s[4:5], exec
	s_and_b64 s[8:9], s[8:9], exec
	s_or_b64 s[4:5], s[4:5], s[8:9]
	s_or_b64 exec, exec, s[6:7]
	s_and_saveexec_b64 s[6:7], s[4:5]
	s_cbranch_execnz .LBB36_495
	s_branch .LBB36_496
.LBB36_2545:
	s_movk_i32 s4, 0x80
	v_cmp_eq_u16_e32 vcc, s4, v3
	s_mov_b64 s[4:5], -1
                                        ; implicit-def: $sgpr10
	s_and_saveexec_b64 s[8:9], vcc
; %bb.2546:
	s_mov_b32 s10, 0x7f800001
	s_xor_b64 s[4:5], exec, -1
; %bb.2547:
	s_or_b64 exec, exec, s[8:9]
	s_and_b64 s[4:5], s[4:5], exec
                                        ; implicit-def: $vgpr3
	s_or_saveexec_b64 s[6:7], s[6:7]
	v_mov_b32_e32 v2, s10
	s_xor_b64 exec, exec, s[6:7]
	s_cbranch_execz .LBB36_498
.LBB36_2548:
	v_cmp_ne_u16_e32 vcc, 0, v3
	s_andn2_b64 s[4:5], s[4:5], exec
	s_and_b64 s[8:9], vcc, exec
	v_mov_b32_e32 v2, 0
	s_or_b64 s[4:5], s[4:5], s[8:9]
	s_or_b64 exec, exec, s[6:7]
	s_and_saveexec_b64 s[6:7], s[4:5]
	s_cbranch_execnz .LBB36_499
	s_branch .LBB36_500
.LBB36_2549:
	s_movk_i32 s4, 0x80
	v_cmp_eq_u16_e32 vcc, s4, v3
	s_mov_b64 s[4:5], -1
                                        ; implicit-def: $sgpr10
	s_and_saveexec_b64 s[8:9], vcc
; %bb.2550:
	s_mov_b32 s10, 0x7f800001
	s_xor_b64 s[4:5], exec, -1
; %bb.2551:
	s_or_b64 exec, exec, s[8:9]
	s_and_b64 s[4:5], s[4:5], exec
                                        ; implicit-def: $vgpr3
	s_or_saveexec_b64 s[6:7], s[6:7]
	v_mov_b32_e32 v4, s10
	s_xor_b64 exec, exec, s[6:7]
	s_cbranch_execz .LBB36_502
.LBB36_2552:
	v_cmp_ne_u16_e32 vcc, 0, v3
	s_andn2_b64 s[4:5], s[4:5], exec
	s_and_b64 s[8:9], vcc, exec
	v_mov_b32_e32 v4, 0
	s_or_b64 s[4:5], s[4:5], s[8:9]
	s_or_b64 exec, exec, s[6:7]
	s_and_saveexec_b64 s[6:7], s[4:5]
	s_cbranch_execnz .LBB36_503
	s_branch .LBB36_504
.LBB36_2553:
	s_movk_i32 s4, 0x80
	v_cmp_eq_u16_sdwa s[12:13], v9, s4 src0_sel:BYTE_3 src1_sel:DWORD
	s_mov_b64 s[4:5], -1
                                        ; implicit-def: $sgpr10
	s_and_saveexec_b64 s[8:9], s[12:13]
; %bb.2554:
	s_mov_b32 s10, 0x7f800001
	s_xor_b64 s[4:5], exec, -1
; %bb.2555:
	s_or_b64 exec, exec, s[8:9]
	s_and_b64 s[4:5], s[4:5], exec
	s_or_saveexec_b64 s[6:7], s[6:7]
	v_mov_b32_e32 v2, s10
	s_xor_b64 exec, exec, s[6:7]
	s_cbranch_execz .LBB36_506
.LBB36_2556:
	v_mov_b32_e32 v2, 0
	v_cmp_ne_u16_sdwa s[8:9], v9, v2 src0_sel:BYTE_3 src1_sel:DWORD
	s_andn2_b64 s[4:5], s[4:5], exec
	s_and_b64 s[8:9], s[8:9], exec
	s_or_b64 s[4:5], s[4:5], s[8:9]
	s_or_b64 exec, exec, s[6:7]
	s_and_saveexec_b64 s[6:7], s[4:5]
	s_cbranch_execnz .LBB36_507
	s_branch .LBB36_508
.LBB36_2557:
	s_movk_i32 s4, 0x80
	v_cmp_eq_u16_sdwa s[12:13], v5, s4 src0_sel:BYTE_3 src1_sel:DWORD
	s_mov_b64 s[4:5], -1
                                        ; implicit-def: $sgpr10
	s_and_saveexec_b64 s[8:9], s[12:13]
; %bb.2558:
	s_mov_b32 s10, 0x7f800001
	s_xor_b64 s[4:5], exec, -1
; %bb.2559:
	s_or_b64 exec, exec, s[8:9]
	s_and_b64 s[4:5], s[4:5], exec
	s_or_saveexec_b64 s[6:7], s[6:7]
	v_mov_b32_e32 v3, s10
	s_xor_b64 exec, exec, s[6:7]
	s_cbranch_execz .LBB36_510
.LBB36_2560:
	v_mov_b32_e32 v3, 0
	v_cmp_ne_u16_sdwa s[8:9], v5, v3 src0_sel:BYTE_3 src1_sel:DWORD
	s_andn2_b64 s[4:5], s[4:5], exec
	s_and_b64 s[8:9], s[8:9], exec
	s_or_b64 s[4:5], s[4:5], s[8:9]
	s_or_b64 exec, exec, s[6:7]
	s_and_saveexec_b64 s[6:7], s[4:5]
	s_cbranch_execnz .LBB36_511
	s_branch .LBB36_512
.LBB36_2561:
	s_movk_i32 s4, 0x80
	v_cmp_eq_u16_sdwa s[12:13], v14, s4 src0_sel:BYTE_0 src1_sel:DWORD
	s_mov_b64 s[4:5], -1
                                        ; implicit-def: $sgpr10
	s_and_saveexec_b64 s[8:9], s[12:13]
; %bb.2562:
	s_mov_b32 s10, 0x7f800001
	s_xor_b64 s[4:5], exec, -1
; %bb.2563:
	s_or_b64 exec, exec, s[8:9]
	s_and_b64 s[4:5], s[4:5], exec
	s_or_saveexec_b64 s[6:7], s[6:7]
	v_mov_b32_e32 v20, s10
	s_xor_b64 exec, exec, s[6:7]
	s_cbranch_execz .LBB36_514
.LBB36_2564:
	v_mov_b32_e32 v20, 0
	v_cmp_ne_u16_sdwa s[8:9], v14, v20 src0_sel:BYTE_0 src1_sel:DWORD
	s_andn2_b64 s[4:5], s[4:5], exec
	s_and_b64 s[8:9], s[8:9], exec
	s_or_b64 s[4:5], s[4:5], s[8:9]
	s_or_b64 exec, exec, s[6:7]
	s_and_saveexec_b64 s[6:7], s[4:5]
	s_cbranch_execnz .LBB36_515
	s_branch .LBB36_516
.LBB36_2565:
	s_movk_i32 s4, 0x80
	v_cmp_eq_u16_sdwa s[12:13], v10, s4 src0_sel:BYTE_0 src1_sel:DWORD
	s_mov_b64 s[4:5], -1
                                        ; implicit-def: $sgpr10
	s_and_saveexec_b64 s[8:9], s[12:13]
; %bb.2566:
	s_mov_b32 s10, 0x7f800001
	s_xor_b64 s[4:5], exec, -1
; %bb.2567:
	s_or_b64 exec, exec, s[8:9]
	s_and_b64 s[4:5], s[4:5], exec
	s_or_saveexec_b64 s[6:7], s[6:7]
	v_mov_b32_e32 v21, s10
	s_xor_b64 exec, exec, s[6:7]
	s_cbranch_execz .LBB36_518
.LBB36_2568:
	v_mov_b32_e32 v21, 0
	v_cmp_ne_u16_sdwa s[8:9], v10, v21 src0_sel:BYTE_0 src1_sel:DWORD
	s_andn2_b64 s[4:5], s[4:5], exec
	s_and_b64 s[8:9], s[8:9], exec
	s_or_b64 s[4:5], s[4:5], s[8:9]
	s_or_b64 exec, exec, s[6:7]
	s_and_saveexec_b64 s[6:7], s[4:5]
	s_cbranch_execnz .LBB36_519
	s_branch .LBB36_520
.LBB36_2569:
	s_movk_i32 s4, 0x80
	v_cmp_eq_u16_sdwa s[12:13], v21, s4 src0_sel:BYTE_0 src1_sel:DWORD
	s_mov_b64 s[4:5], -1
                                        ; implicit-def: $sgpr10
	s_and_saveexec_b64 s[8:9], s[12:13]
; %bb.2570:
	s_mov_b32 s10, 0x7f800001
	s_xor_b64 s[4:5], exec, -1
; %bb.2571:
	s_or_b64 exec, exec, s[8:9]
	s_and_b64 s[4:5], s[4:5], exec
	s_or_saveexec_b64 s[6:7], s[6:7]
	v_mov_b32_e32 v20, s10
	s_xor_b64 exec, exec, s[6:7]
	s_cbranch_execz .LBB36_522
.LBB36_2572:
	v_mov_b32_e32 v20, 0
	v_cmp_ne_u16_sdwa s[8:9], v21, v20 src0_sel:BYTE_0 src1_sel:DWORD
	s_andn2_b64 s[4:5], s[4:5], exec
	s_and_b64 s[8:9], s[8:9], exec
	s_or_b64 s[4:5], s[4:5], s[8:9]
	s_or_b64 exec, exec, s[6:7]
	s_and_saveexec_b64 s[6:7], s[4:5]
	s_cbranch_execnz .LBB36_523
	s_branch .LBB36_524
.LBB36_2573:
	s_movk_i32 s4, 0x80
	v_cmp_eq_u16_sdwa s[12:13], v21, s4 src0_sel:BYTE_0 src1_sel:DWORD
	s_mov_b64 s[4:5], -1
                                        ; implicit-def: $sgpr10
	s_and_saveexec_b64 s[8:9], s[12:13]
; %bb.2574:
	s_mov_b32 s10, 0x7f800001
	s_xor_b64 s[4:5], exec, -1
; %bb.2575:
	s_or_b64 exec, exec, s[8:9]
	s_and_b64 s[4:5], s[4:5], exec
	s_or_saveexec_b64 s[6:7], s[6:7]
	v_mov_b32_e32 v22, s10
	s_xor_b64 exec, exec, s[6:7]
	s_cbranch_execz .LBB36_526
.LBB36_2576:
	v_mov_b32_e32 v22, 0
	v_cmp_ne_u16_sdwa s[8:9], v21, v22 src0_sel:BYTE_0 src1_sel:DWORD
	s_andn2_b64 s[4:5], s[4:5], exec
	s_and_b64 s[8:9], s[8:9], exec
	s_or_b64 s[4:5], s[4:5], s[8:9]
	s_or_b64 exec, exec, s[6:7]
	s_and_saveexec_b64 s[6:7], s[4:5]
	s_cbranch_execnz .LBB36_527
	s_branch .LBB36_528
.LBB36_2577:
	s_movk_i32 s4, 0x80
	v_cmp_eq_u16_e32 vcc, s4, v21
	s_mov_b64 s[4:5], -1
                                        ; implicit-def: $sgpr10
	s_and_saveexec_b64 s[8:9], vcc
; %bb.2578:
	s_mov_b32 s10, 0x7f800001
	s_xor_b64 s[4:5], exec, -1
; %bb.2579:
	s_or_b64 exec, exec, s[8:9]
	s_and_b64 s[4:5], s[4:5], exec
                                        ; implicit-def: $vgpr21
	s_or_saveexec_b64 s[6:7], s[6:7]
	v_mov_b32_e32 v20, s10
	s_xor_b64 exec, exec, s[6:7]
	s_cbranch_execz .LBB36_530
.LBB36_2580:
	v_cmp_ne_u16_e32 vcc, 0, v21
	s_andn2_b64 s[4:5], s[4:5], exec
	s_and_b64 s[8:9], vcc, exec
	v_mov_b32_e32 v20, 0
	s_or_b64 s[4:5], s[4:5], s[8:9]
	s_or_b64 exec, exec, s[6:7]
	s_and_saveexec_b64 s[6:7], s[4:5]
	s_cbranch_execnz .LBB36_531
	s_branch .LBB36_532
.LBB36_2581:
	s_movk_i32 s4, 0x80
	v_cmp_eq_u16_e32 vcc, s4, v21
	s_mov_b64 s[4:5], -1
                                        ; implicit-def: $sgpr10
	s_and_saveexec_b64 s[8:9], vcc
; %bb.2582:
	s_mov_b32 s10, 0x7f800001
	s_xor_b64 s[4:5], exec, -1
; %bb.2583:
	s_or_b64 exec, exec, s[8:9]
	s_and_b64 s[4:5], s[4:5], exec
                                        ; implicit-def: $vgpr21
	s_or_saveexec_b64 s[6:7], s[6:7]
	v_mov_b32_e32 v22, s10
	s_xor_b64 exec, exec, s[6:7]
	s_cbranch_execz .LBB36_534
.LBB36_2584:
	v_cmp_ne_u16_e32 vcc, 0, v21
	s_andn2_b64 s[4:5], s[4:5], exec
	s_and_b64 s[8:9], vcc, exec
	v_mov_b32_e32 v22, 0
	s_or_b64 s[4:5], s[4:5], s[8:9]
	s_or_b64 exec, exec, s[6:7]
	s_and_saveexec_b64 s[6:7], s[4:5]
	s_cbranch_execnz .LBB36_535
	s_branch .LBB36_536
.LBB36_2585:
	s_movk_i32 s4, 0x80
	v_cmp_eq_u16_sdwa s[12:13], v14, s4 src0_sel:BYTE_3 src1_sel:DWORD
	s_mov_b64 s[4:5], -1
                                        ; implicit-def: $sgpr10
	s_and_saveexec_b64 s[8:9], s[12:13]
; %bb.2586:
	s_mov_b32 s10, 0x7f800001
	s_xor_b64 s[4:5], exec, -1
; %bb.2587:
	s_or_b64 exec, exec, s[8:9]
	s_and_b64 s[4:5], s[4:5], exec
	s_or_saveexec_b64 s[6:7], s[6:7]
	v_mov_b32_e32 v20, s10
	s_xor_b64 exec, exec, s[6:7]
	s_cbranch_execz .LBB36_538
.LBB36_2588:
	v_mov_b32_e32 v20, 0
	v_cmp_ne_u16_sdwa s[8:9], v14, v20 src0_sel:BYTE_3 src1_sel:DWORD
	s_andn2_b64 s[4:5], s[4:5], exec
	s_and_b64 s[8:9], s[8:9], exec
	s_or_b64 s[4:5], s[4:5], s[8:9]
	s_or_b64 exec, exec, s[6:7]
	s_and_saveexec_b64 s[6:7], s[4:5]
	s_cbranch_execnz .LBB36_539
	s_branch .LBB36_540
.LBB36_2589:
	s_movk_i32 s4, 0x80
	v_cmp_eq_u16_sdwa s[12:13], v10, s4 src0_sel:BYTE_3 src1_sel:DWORD
	s_mov_b64 s[4:5], -1
                                        ; implicit-def: $sgpr10
	s_and_saveexec_b64 s[8:9], s[12:13]
; %bb.2590:
	s_mov_b32 s10, 0x7f800001
	s_xor_b64 s[4:5], exec, -1
; %bb.2591:
	s_or_b64 exec, exec, s[8:9]
	s_and_b64 s[4:5], s[4:5], exec
	s_or_saveexec_b64 s[6:7], s[6:7]
	v_mov_b32_e32 v14, s10
	s_xor_b64 exec, exec, s[6:7]
	s_cbranch_execz .LBB36_542
.LBB36_2592:
	v_mov_b32_e32 v14, 0
	v_cmp_ne_u16_sdwa s[8:9], v10, v14 src0_sel:BYTE_3 src1_sel:DWORD
	s_andn2_b64 s[4:5], s[4:5], exec
	s_and_b64 s[8:9], s[8:9], exec
	s_or_b64 s[4:5], s[4:5], s[8:9]
	s_or_b64 exec, exec, s[6:7]
	s_and_saveexec_b64 s[6:7], s[4:5]
	s_cbranch_execnz .LBB36_543
	s_branch .LBB36_544
.LBB36_2593:
	s_movk_i32 s4, 0x80
	v_cmp_eq_u16_sdwa s[12:13], v15, s4 src0_sel:BYTE_0 src1_sel:DWORD
	s_mov_b64 s[4:5], -1
                                        ; implicit-def: $sgpr10
	s_and_saveexec_b64 s[8:9], s[12:13]
; %bb.2594:
	s_mov_b32 s10, 0x7f800001
	s_xor_b64 s[4:5], exec, -1
; %bb.2595:
	s_or_b64 exec, exec, s[8:9]
	s_and_b64 s[4:5], s[4:5], exec
	s_or_saveexec_b64 s[6:7], s[6:7]
	v_mov_b32_e32 v10, s10
	s_xor_b64 exec, exec, s[6:7]
	s_cbranch_execz .LBB36_546
.LBB36_2596:
	v_mov_b32_e32 v10, 0
	v_cmp_ne_u16_sdwa s[8:9], v15, v10 src0_sel:BYTE_0 src1_sel:DWORD
	s_andn2_b64 s[4:5], s[4:5], exec
	s_and_b64 s[8:9], s[8:9], exec
	s_or_b64 s[4:5], s[4:5], s[8:9]
	s_or_b64 exec, exec, s[6:7]
	s_and_saveexec_b64 s[6:7], s[4:5]
	s_cbranch_execnz .LBB36_547
	s_branch .LBB36_548
.LBB36_2597:
	s_movk_i32 s4, 0x80
	v_cmp_eq_u16_sdwa s[12:13], v11, s4 src0_sel:BYTE_0 src1_sel:DWORD
	s_mov_b64 s[4:5], -1
                                        ; implicit-def: $sgpr10
	s_and_saveexec_b64 s[8:9], s[12:13]
; %bb.2598:
	s_mov_b32 s10, 0x7f800001
	s_xor_b64 s[4:5], exec, -1
; %bb.2599:
	s_or_b64 exec, exec, s[8:9]
	s_and_b64 s[4:5], s[4:5], exec
	s_or_saveexec_b64 s[6:7], s[6:7]
	v_mov_b32_e32 v14, s10
	s_xor_b64 exec, exec, s[6:7]
	s_cbranch_execz .LBB36_550
.LBB36_2600:
	v_mov_b32_e32 v14, 0
	v_cmp_ne_u16_sdwa s[8:9], v11, v14 src0_sel:BYTE_0 src1_sel:DWORD
	s_andn2_b64 s[4:5], s[4:5], exec
	s_and_b64 s[8:9], s[8:9], exec
	s_or_b64 s[4:5], s[4:5], s[8:9]
	s_or_b64 exec, exec, s[6:7]
	s_and_saveexec_b64 s[6:7], s[4:5]
	s_cbranch_execnz .LBB36_551
	s_branch .LBB36_552
.LBB36_2601:
	s_movk_i32 s4, 0x80
	v_cmp_eq_u16_sdwa s[12:13], v14, s4 src0_sel:BYTE_0 src1_sel:DWORD
	s_mov_b64 s[4:5], -1
                                        ; implicit-def: $sgpr10
	s_and_saveexec_b64 s[8:9], s[12:13]
; %bb.2602:
	s_mov_b32 s10, 0x7f800001
	s_xor_b64 s[4:5], exec, -1
; %bb.2603:
	s_or_b64 exec, exec, s[8:9]
	s_and_b64 s[4:5], s[4:5], exec
	s_or_saveexec_b64 s[6:7], s[6:7]
	v_mov_b32_e32 v10, s10
	s_xor_b64 exec, exec, s[6:7]
	s_cbranch_execz .LBB36_554
.LBB36_2604:
	v_mov_b32_e32 v10, 0
	v_cmp_ne_u16_sdwa s[8:9], v14, v10 src0_sel:BYTE_0 src1_sel:DWORD
	s_andn2_b64 s[4:5], s[4:5], exec
	s_and_b64 s[8:9], s[8:9], exec
	s_or_b64 s[4:5], s[4:5], s[8:9]
	s_or_b64 exec, exec, s[6:7]
	s_and_saveexec_b64 s[6:7], s[4:5]
	s_cbranch_execnz .LBB36_555
	s_branch .LBB36_556
.LBB36_2605:
	s_movk_i32 s4, 0x80
	v_cmp_eq_u16_sdwa s[12:13], v14, s4 src0_sel:BYTE_0 src1_sel:DWORD
	s_mov_b64 s[4:5], -1
                                        ; implicit-def: $sgpr10
	s_and_saveexec_b64 s[8:9], s[12:13]
; %bb.2606:
	s_mov_b32 s10, 0x7f800001
	s_xor_b64 s[4:5], exec, -1
; %bb.2607:
	s_or_b64 exec, exec, s[8:9]
	s_and_b64 s[4:5], s[4:5], exec
	s_or_saveexec_b64 s[6:7], s[6:7]
	v_mov_b32_e32 v20, s10
	s_xor_b64 exec, exec, s[6:7]
	s_cbranch_execz .LBB36_558
.LBB36_2608:
	v_mov_b32_e32 v20, 0
	v_cmp_ne_u16_sdwa s[8:9], v14, v20 src0_sel:BYTE_0 src1_sel:DWORD
	s_andn2_b64 s[4:5], s[4:5], exec
	s_and_b64 s[8:9], s[8:9], exec
	s_or_b64 s[4:5], s[4:5], s[8:9]
	s_or_b64 exec, exec, s[6:7]
	s_and_saveexec_b64 s[6:7], s[4:5]
	s_cbranch_execnz .LBB36_559
	s_branch .LBB36_560
.LBB36_2609:
	s_movk_i32 s4, 0x80
	v_cmp_eq_u16_e32 vcc, s4, v14
	s_mov_b64 s[4:5], -1
                                        ; implicit-def: $sgpr10
	s_and_saveexec_b64 s[8:9], vcc
; %bb.2610:
	s_mov_b32 s10, 0x7f800001
	s_xor_b64 s[4:5], exec, -1
; %bb.2611:
	s_or_b64 exec, exec, s[8:9]
	s_and_b64 s[4:5], s[4:5], exec
                                        ; implicit-def: $vgpr14
	s_or_saveexec_b64 s[6:7], s[6:7]
	v_mov_b32_e32 v10, s10
	s_xor_b64 exec, exec, s[6:7]
	s_cbranch_execz .LBB36_562
.LBB36_2612:
	v_cmp_ne_u16_e32 vcc, 0, v14
	s_andn2_b64 s[4:5], s[4:5], exec
	s_and_b64 s[8:9], vcc, exec
	v_mov_b32_e32 v10, 0
	s_or_b64 s[4:5], s[4:5], s[8:9]
	s_or_b64 exec, exec, s[6:7]
	s_and_saveexec_b64 s[6:7], s[4:5]
	s_cbranch_execnz .LBB36_563
	s_branch .LBB36_564
.LBB36_2613:
	s_movk_i32 s4, 0x80
	v_cmp_eq_u16_e32 vcc, s4, v14
	s_mov_b64 s[4:5], -1
                                        ; implicit-def: $sgpr10
	s_and_saveexec_b64 s[8:9], vcc
; %bb.2614:
	s_mov_b32 s10, 0x7f800001
	s_xor_b64 s[4:5], exec, -1
; %bb.2615:
	s_or_b64 exec, exec, s[8:9]
	s_and_b64 s[4:5], s[4:5], exec
                                        ; implicit-def: $vgpr14
	s_or_saveexec_b64 s[6:7], s[6:7]
	v_mov_b32_e32 v20, s10
	s_xor_b64 exec, exec, s[6:7]
	s_cbranch_execz .LBB36_566
.LBB36_2616:
	v_cmp_ne_u16_e32 vcc, 0, v14
	s_andn2_b64 s[4:5], s[4:5], exec
	s_and_b64 s[8:9], vcc, exec
	v_mov_b32_e32 v20, 0
	s_or_b64 s[4:5], s[4:5], s[8:9]
	s_or_b64 exec, exec, s[6:7]
	s_and_saveexec_b64 s[6:7], s[4:5]
	s_cbranch_execnz .LBB36_567
	s_branch .LBB36_568
.LBB36_2617:
	s_movk_i32 s4, 0x80
	v_cmp_eq_u16_sdwa s[12:13], v15, s4 src0_sel:BYTE_3 src1_sel:DWORD
	s_mov_b64 s[4:5], -1
                                        ; implicit-def: $sgpr10
	s_and_saveexec_b64 s[8:9], s[12:13]
; %bb.2618:
	s_mov_b32 s10, 0x7f800001
	s_xor_b64 s[4:5], exec, -1
; %bb.2619:
	s_or_b64 exec, exec, s[8:9]
	s_and_b64 s[4:5], s[4:5], exec
	s_or_saveexec_b64 s[6:7], s[6:7]
	v_mov_b32_e32 v10, s10
	s_xor_b64 exec, exec, s[6:7]
	s_cbranch_execz .LBB36_570
.LBB36_2620:
	v_mov_b32_e32 v10, 0
	v_cmp_ne_u16_sdwa s[8:9], v15, v10 src0_sel:BYTE_3 src1_sel:DWORD
	s_andn2_b64 s[4:5], s[4:5], exec
	s_and_b64 s[8:9], s[8:9], exec
	s_or_b64 s[4:5], s[4:5], s[8:9]
	s_or_b64 exec, exec, s[6:7]
	s_and_saveexec_b64 s[6:7], s[4:5]
	s_cbranch_execnz .LBB36_571
	s_branch .LBB36_572
.LBB36_2621:
	s_movk_i32 s4, 0x80
	v_cmp_eq_u16_sdwa s[12:13], v11, s4 src0_sel:BYTE_3 src1_sel:DWORD
	s_mov_b64 s[4:5], -1
                                        ; implicit-def: $sgpr10
	s_and_saveexec_b64 s[8:9], s[12:13]
; %bb.2622:
	s_mov_b32 s10, 0x7f800001
	s_xor_b64 s[4:5], exec, -1
; %bb.2623:
	s_or_b64 exec, exec, s[8:9]
	s_and_b64 s[4:5], s[4:5], exec
	s_or_saveexec_b64 s[6:7], s[6:7]
	v_mov_b32_e32 v14, s10
	s_xor_b64 exec, exec, s[6:7]
	s_cbranch_execz .LBB36_574
.LBB36_2624:
	v_mov_b32_e32 v14, 0
	v_cmp_ne_u16_sdwa s[8:9], v11, v14 src0_sel:BYTE_3 src1_sel:DWORD
	s_andn2_b64 s[4:5], s[4:5], exec
	s_and_b64 s[8:9], s[8:9], exec
	s_or_b64 s[4:5], s[4:5], s[8:9]
	s_or_b64 exec, exec, s[6:7]
	s_and_saveexec_b64 s[6:7], s[4:5]
	s_cbranch_execnz .LBB36_575
	s_branch .LBB36_576
.LBB36_2625:
	s_movk_i32 s4, 0x80
	v_cmp_eq_u16_sdwa s[12:13], v16, s4 src0_sel:BYTE_0 src1_sel:DWORD
	s_mov_b64 s[4:5], -1
                                        ; implicit-def: $sgpr10
	s_and_saveexec_b64 s[8:9], s[12:13]
; %bb.2626:
	s_mov_b32 s10, 0x7f800001
	s_xor_b64 s[4:5], exec, -1
; %bb.2627:
	s_or_b64 exec, exec, s[8:9]
	s_and_b64 s[4:5], s[4:5], exec
	s_or_saveexec_b64 s[6:7], s[6:7]
	v_mov_b32_e32 v10, s10
	s_xor_b64 exec, exec, s[6:7]
	s_cbranch_execz .LBB36_578
.LBB36_2628:
	v_mov_b32_e32 v10, 0
	v_cmp_ne_u16_sdwa s[8:9], v16, v10 src0_sel:BYTE_0 src1_sel:DWORD
	s_andn2_b64 s[4:5], s[4:5], exec
	s_and_b64 s[8:9], s[8:9], exec
	s_or_b64 s[4:5], s[4:5], s[8:9]
	s_or_b64 exec, exec, s[6:7]
	s_and_saveexec_b64 s[6:7], s[4:5]
	s_cbranch_execnz .LBB36_579
	s_branch .LBB36_580
.LBB36_2629:
	s_movk_i32 s4, 0x80
	v_cmp_eq_u16_sdwa s[12:13], v12, s4 src0_sel:BYTE_0 src1_sel:DWORD
	s_mov_b64 s[4:5], -1
                                        ; implicit-def: $sgpr10
	s_and_saveexec_b64 s[8:9], s[12:13]
; %bb.2630:
	s_mov_b32 s10, 0x7f800001
	s_xor_b64 s[4:5], exec, -1
; %bb.2631:
	s_or_b64 exec, exec, s[8:9]
	s_and_b64 s[4:5], s[4:5], exec
	s_or_saveexec_b64 s[6:7], s[6:7]
	v_mov_b32_e32 v11, s10
	s_xor_b64 exec, exec, s[6:7]
	s_cbranch_execz .LBB36_582
.LBB36_2632:
	v_mov_b32_e32 v11, 0
	v_cmp_ne_u16_sdwa s[8:9], v12, v11 src0_sel:BYTE_0 src1_sel:DWORD
	s_andn2_b64 s[4:5], s[4:5], exec
	s_and_b64 s[8:9], s[8:9], exec
	s_or_b64 s[4:5], s[4:5], s[8:9]
	s_or_b64 exec, exec, s[6:7]
	s_and_saveexec_b64 s[6:7], s[4:5]
	s_cbranch_execnz .LBB36_583
	s_branch .LBB36_584
.LBB36_2633:
	s_movk_i32 s4, 0x80
	v_cmp_eq_u16_sdwa s[12:13], v11, s4 src0_sel:BYTE_0 src1_sel:DWORD
	s_mov_b64 s[4:5], -1
                                        ; implicit-def: $sgpr10
	s_and_saveexec_b64 s[8:9], s[12:13]
; %bb.2634:
	s_mov_b32 s10, 0x7f800001
	s_xor_b64 s[4:5], exec, -1
; %bb.2635:
	s_or_b64 exec, exec, s[8:9]
	s_and_b64 s[4:5], s[4:5], exec
	s_or_saveexec_b64 s[6:7], s[6:7]
	v_mov_b32_e32 v10, s10
	s_xor_b64 exec, exec, s[6:7]
	s_cbranch_execz .LBB36_586
.LBB36_2636:
	v_mov_b32_e32 v10, 0
	v_cmp_ne_u16_sdwa s[8:9], v11, v10 src0_sel:BYTE_0 src1_sel:DWORD
	s_andn2_b64 s[4:5], s[4:5], exec
	s_and_b64 s[8:9], s[8:9], exec
	s_or_b64 s[4:5], s[4:5], s[8:9]
	s_or_b64 exec, exec, s[6:7]
	s_and_saveexec_b64 s[6:7], s[4:5]
	s_cbranch_execnz .LBB36_587
	s_branch .LBB36_588
.LBB36_2637:
	s_movk_i32 s4, 0x80
	v_cmp_eq_u16_sdwa s[12:13], v11, s4 src0_sel:BYTE_0 src1_sel:DWORD
	s_mov_b64 s[4:5], -1
                                        ; implicit-def: $sgpr10
	s_and_saveexec_b64 s[8:9], s[12:13]
; %bb.2638:
	s_mov_b32 s10, 0x7f800001
	s_xor_b64 s[4:5], exec, -1
; %bb.2639:
	s_or_b64 exec, exec, s[8:9]
	s_and_b64 s[4:5], s[4:5], exec
	s_or_saveexec_b64 s[6:7], s[6:7]
	v_mov_b32_e32 v14, s10
	s_xor_b64 exec, exec, s[6:7]
	s_cbranch_execz .LBB36_590
.LBB36_2640:
	v_mov_b32_e32 v14, 0
	v_cmp_ne_u16_sdwa s[8:9], v11, v14 src0_sel:BYTE_0 src1_sel:DWORD
	s_andn2_b64 s[4:5], s[4:5], exec
	s_and_b64 s[8:9], s[8:9], exec
	s_or_b64 s[4:5], s[4:5], s[8:9]
	s_or_b64 exec, exec, s[6:7]
	s_and_saveexec_b64 s[6:7], s[4:5]
	s_cbranch_execnz .LBB36_591
	s_branch .LBB36_592
.LBB36_2641:
	s_movk_i32 s4, 0x80
	v_cmp_eq_u16_e32 vcc, s4, v11
	s_mov_b64 s[4:5], -1
                                        ; implicit-def: $sgpr10
	s_and_saveexec_b64 s[8:9], vcc
; %bb.2642:
	s_mov_b32 s10, 0x7f800001
	s_xor_b64 s[4:5], exec, -1
; %bb.2643:
	s_or_b64 exec, exec, s[8:9]
	s_and_b64 s[4:5], s[4:5], exec
                                        ; implicit-def: $vgpr11
	s_or_saveexec_b64 s[6:7], s[6:7]
	v_mov_b32_e32 v10, s10
	s_xor_b64 exec, exec, s[6:7]
	s_cbranch_execz .LBB36_594
.LBB36_2644:
	v_cmp_ne_u16_e32 vcc, 0, v11
	s_andn2_b64 s[4:5], s[4:5], exec
	s_and_b64 s[8:9], vcc, exec
	v_mov_b32_e32 v10, 0
	s_or_b64 s[4:5], s[4:5], s[8:9]
	s_or_b64 exec, exec, s[6:7]
	s_and_saveexec_b64 s[6:7], s[4:5]
	s_cbranch_execnz .LBB36_595
	s_branch .LBB36_596
.LBB36_2645:
	s_movk_i32 s4, 0x80
	v_cmp_eq_u16_e32 vcc, s4, v11
	s_mov_b64 s[4:5], -1
                                        ; implicit-def: $sgpr10
	s_and_saveexec_b64 s[8:9], vcc
; %bb.2646:
	s_mov_b32 s10, 0x7f800001
	s_xor_b64 s[4:5], exec, -1
; %bb.2647:
	s_or_b64 exec, exec, s[8:9]
	s_and_b64 s[4:5], s[4:5], exec
                                        ; implicit-def: $vgpr11
	s_or_saveexec_b64 s[6:7], s[6:7]
	v_mov_b32_e32 v14, s10
	s_xor_b64 exec, exec, s[6:7]
	s_cbranch_execz .LBB36_598
.LBB36_2648:
	v_cmp_ne_u16_e32 vcc, 0, v11
	s_andn2_b64 s[4:5], s[4:5], exec
	s_and_b64 s[8:9], vcc, exec
	v_mov_b32_e32 v14, 0
	s_or_b64 s[4:5], s[4:5], s[8:9]
	s_or_b64 exec, exec, s[6:7]
	s_and_saveexec_b64 s[6:7], s[4:5]
	s_cbranch_execnz .LBB36_599
	s_branch .LBB36_600
.LBB36_2649:
	s_movk_i32 s4, 0x80
	v_cmp_eq_u16_sdwa s[12:13], v16, s4 src0_sel:BYTE_3 src1_sel:DWORD
	s_mov_b64 s[4:5], -1
                                        ; implicit-def: $sgpr10
	s_and_saveexec_b64 s[8:9], s[12:13]
; %bb.2650:
	s_mov_b32 s10, 0x7f800001
	s_xor_b64 s[4:5], exec, -1
; %bb.2651:
	s_or_b64 exec, exec, s[8:9]
	s_and_b64 s[4:5], s[4:5], exec
	s_or_saveexec_b64 s[6:7], s[6:7]
	v_mov_b32_e32 v10, s10
	s_xor_b64 exec, exec, s[6:7]
	s_cbranch_execz .LBB36_602
.LBB36_2652:
	v_mov_b32_e32 v10, 0
	v_cmp_ne_u16_sdwa s[8:9], v16, v10 src0_sel:BYTE_3 src1_sel:DWORD
	s_andn2_b64 s[4:5], s[4:5], exec
	s_and_b64 s[8:9], s[8:9], exec
	s_or_b64 s[4:5], s[4:5], s[8:9]
	s_or_b64 exec, exec, s[6:7]
	s_and_saveexec_b64 s[6:7], s[4:5]
	s_cbranch_execnz .LBB36_603
	s_branch .LBB36_604
.LBB36_2653:
	s_movk_i32 s4, 0x80
	v_cmp_eq_u16_sdwa s[12:13], v12, s4 src0_sel:BYTE_3 src1_sel:DWORD
	s_mov_b64 s[4:5], -1
                                        ; implicit-def: $sgpr10
	s_and_saveexec_b64 s[8:9], s[12:13]
; %bb.2654:
	s_mov_b32 s10, 0x7f800001
	s_xor_b64 s[4:5], exec, -1
; %bb.2655:
	s_or_b64 exec, exec, s[8:9]
	s_and_b64 s[4:5], s[4:5], exec
	s_or_saveexec_b64 s[6:7], s[6:7]
	v_mov_b32_e32 v11, s10
	s_xor_b64 exec, exec, s[6:7]
	s_cbranch_execz .LBB36_606
.LBB36_2656:
	v_mov_b32_e32 v11, 0
	v_cmp_ne_u16_sdwa s[8:9], v12, v11 src0_sel:BYTE_3 src1_sel:DWORD
	s_andn2_b64 s[4:5], s[4:5], exec
	s_and_b64 s[8:9], s[8:9], exec
	s_or_b64 s[4:5], s[4:5], s[8:9]
	s_or_b64 exec, exec, s[6:7]
	s_and_saveexec_b64 s[6:7], s[4:5]
	s_cbranch_execnz .LBB36_607
	s_branch .LBB36_608
.LBB36_2657:
	s_movk_i32 s4, 0x80
	v_cmp_eq_u16_sdwa s[12:13], v17, s4 src0_sel:BYTE_0 src1_sel:DWORD
	s_mov_b64 s[4:5], -1
                                        ; implicit-def: $sgpr10
	s_and_saveexec_b64 s[8:9], s[12:13]
; %bb.2658:
	s_mov_b32 s10, 0x7f800001
	s_xor_b64 s[4:5], exec, -1
; %bb.2659:
	s_or_b64 exec, exec, s[8:9]
	s_and_b64 s[4:5], s[4:5], exec
	s_or_saveexec_b64 s[6:7], s[6:7]
	v_mov_b32_e32 v10, s10
	s_xor_b64 exec, exec, s[6:7]
	s_cbranch_execz .LBB36_610
.LBB36_2660:
	v_mov_b32_e32 v10, 0
	v_cmp_ne_u16_sdwa s[8:9], v17, v10 src0_sel:BYTE_0 src1_sel:DWORD
	s_andn2_b64 s[4:5], s[4:5], exec
	s_and_b64 s[8:9], s[8:9], exec
	s_or_b64 s[4:5], s[4:5], s[8:9]
	s_or_b64 exec, exec, s[6:7]
	s_and_saveexec_b64 s[6:7], s[4:5]
	s_cbranch_execnz .LBB36_611
	s_branch .LBB36_612
.LBB36_2661:
	s_movk_i32 s4, 0x80
	v_cmp_eq_u16_sdwa s[12:13], v13, s4 src0_sel:BYTE_0 src1_sel:DWORD
	s_mov_b64 s[4:5], -1
                                        ; implicit-def: $sgpr10
	s_and_saveexec_b64 s[8:9], s[12:13]
; %bb.2662:
	s_mov_b32 s10, 0x7f800001
	s_xor_b64 s[4:5], exec, -1
; %bb.2663:
	s_or_b64 exec, exec, s[8:9]
	s_and_b64 s[4:5], s[4:5], exec
	s_or_saveexec_b64 s[6:7], s[6:7]
	v_mov_b32_e32 v11, s10
	s_xor_b64 exec, exec, s[6:7]
	s_cbranch_execz .LBB36_614
.LBB36_2664:
	v_mov_b32_e32 v11, 0
	v_cmp_ne_u16_sdwa s[8:9], v13, v11 src0_sel:BYTE_0 src1_sel:DWORD
	s_andn2_b64 s[4:5], s[4:5], exec
	s_and_b64 s[8:9], s[8:9], exec
	s_or_b64 s[4:5], s[4:5], s[8:9]
	s_or_b64 exec, exec, s[6:7]
	s_and_saveexec_b64 s[6:7], s[4:5]
	s_cbranch_execnz .LBB36_615
	s_branch .LBB36_616
.LBB36_2665:
	s_movk_i32 s4, 0x80
	v_cmp_eq_u16_sdwa s[12:13], v11, s4 src0_sel:BYTE_0 src1_sel:DWORD
	s_mov_b64 s[4:5], -1
                                        ; implicit-def: $sgpr10
	s_and_saveexec_b64 s[8:9], s[12:13]
; %bb.2666:
	s_mov_b32 s10, 0x7f800001
	s_xor_b64 s[4:5], exec, -1
; %bb.2667:
	s_or_b64 exec, exec, s[8:9]
	s_and_b64 s[4:5], s[4:5], exec
	s_or_saveexec_b64 s[6:7], s[6:7]
	v_mov_b32_e32 v10, s10
	s_xor_b64 exec, exec, s[6:7]
	s_cbranch_execz .LBB36_618
.LBB36_2668:
	v_mov_b32_e32 v10, 0
	v_cmp_ne_u16_sdwa s[8:9], v11, v10 src0_sel:BYTE_0 src1_sel:DWORD
	s_andn2_b64 s[4:5], s[4:5], exec
	s_and_b64 s[8:9], s[8:9], exec
	s_or_b64 s[4:5], s[4:5], s[8:9]
	s_or_b64 exec, exec, s[6:7]
	s_and_saveexec_b64 s[6:7], s[4:5]
	s_cbranch_execnz .LBB36_619
	s_branch .LBB36_620
.LBB36_2669:
	s_movk_i32 s4, 0x80
	v_cmp_eq_u16_sdwa s[12:13], v11, s4 src0_sel:BYTE_0 src1_sel:DWORD
	s_mov_b64 s[4:5], -1
                                        ; implicit-def: $sgpr10
	s_and_saveexec_b64 s[8:9], s[12:13]
; %bb.2670:
	s_mov_b32 s10, 0x7f800001
	s_xor_b64 s[4:5], exec, -1
; %bb.2671:
	s_or_b64 exec, exec, s[8:9]
	s_and_b64 s[4:5], s[4:5], exec
	s_or_saveexec_b64 s[6:7], s[6:7]
	v_mov_b32_e32 v12, s10
	s_xor_b64 exec, exec, s[6:7]
	s_cbranch_execz .LBB36_622
.LBB36_2672:
	v_mov_b32_e32 v12, 0
	v_cmp_ne_u16_sdwa s[8:9], v11, v12 src0_sel:BYTE_0 src1_sel:DWORD
	s_andn2_b64 s[4:5], s[4:5], exec
	s_and_b64 s[8:9], s[8:9], exec
	s_or_b64 s[4:5], s[4:5], s[8:9]
	s_or_b64 exec, exec, s[6:7]
	s_and_saveexec_b64 s[6:7], s[4:5]
	s_cbranch_execnz .LBB36_623
	s_branch .LBB36_624
.LBB36_2673:
	s_movk_i32 s4, 0x80
	v_cmp_eq_u16_e32 vcc, s4, v11
	s_mov_b64 s[4:5], -1
                                        ; implicit-def: $sgpr10
	s_and_saveexec_b64 s[8:9], vcc
; %bb.2674:
	s_mov_b32 s10, 0x7f800001
	s_xor_b64 s[4:5], exec, -1
; %bb.2675:
	s_or_b64 exec, exec, s[8:9]
	s_and_b64 s[4:5], s[4:5], exec
                                        ; implicit-def: $vgpr11
	s_or_saveexec_b64 s[6:7], s[6:7]
	v_mov_b32_e32 v10, s10
	s_xor_b64 exec, exec, s[6:7]
	s_cbranch_execz .LBB36_626
.LBB36_2676:
	v_cmp_ne_u16_e32 vcc, 0, v11
	s_andn2_b64 s[4:5], s[4:5], exec
	s_and_b64 s[8:9], vcc, exec
	v_mov_b32_e32 v10, 0
	s_or_b64 s[4:5], s[4:5], s[8:9]
	s_or_b64 exec, exec, s[6:7]
	s_and_saveexec_b64 s[6:7], s[4:5]
	s_cbranch_execnz .LBB36_627
	s_branch .LBB36_628
.LBB36_2677:
	s_movk_i32 s4, 0x80
	v_cmp_eq_u16_e32 vcc, s4, v11
	s_mov_b64 s[4:5], -1
                                        ; implicit-def: $sgpr10
	s_and_saveexec_b64 s[8:9], vcc
; %bb.2678:
	s_mov_b32 s10, 0x7f800001
	s_xor_b64 s[4:5], exec, -1
; %bb.2679:
	s_or_b64 exec, exec, s[8:9]
	s_and_b64 s[4:5], s[4:5], exec
                                        ; implicit-def: $vgpr11
	s_or_saveexec_b64 s[6:7], s[6:7]
	v_mov_b32_e32 v12, s10
	s_xor_b64 exec, exec, s[6:7]
	s_cbranch_execz .LBB36_630
.LBB36_2680:
	v_cmp_ne_u16_e32 vcc, 0, v11
	s_andn2_b64 s[4:5], s[4:5], exec
	s_and_b64 s[8:9], vcc, exec
	v_mov_b32_e32 v12, 0
	s_or_b64 s[4:5], s[4:5], s[8:9]
	s_or_b64 exec, exec, s[6:7]
	s_and_saveexec_b64 s[6:7], s[4:5]
	s_cbranch_execnz .LBB36_631
	s_branch .LBB36_632
.LBB36_2681:
	s_movk_i32 s4, 0x80
	v_cmp_eq_u16_sdwa s[12:13], v17, s4 src0_sel:BYTE_3 src1_sel:DWORD
	s_mov_b64 s[4:5], -1
                                        ; implicit-def: $sgpr10
	s_and_saveexec_b64 s[8:9], s[12:13]
; %bb.2682:
	s_mov_b32 s10, 0x7f800001
	s_xor_b64 s[4:5], exec, -1
; %bb.2683:
	s_or_b64 exec, exec, s[8:9]
	s_and_b64 s[4:5], s[4:5], exec
	s_or_saveexec_b64 s[6:7], s[6:7]
	v_mov_b32_e32 v10, s10
	s_xor_b64 exec, exec, s[6:7]
	s_cbranch_execz .LBB36_634
.LBB36_2684:
	v_mov_b32_e32 v10, 0
	v_cmp_ne_u16_sdwa s[8:9], v17, v10 src0_sel:BYTE_3 src1_sel:DWORD
	s_andn2_b64 s[4:5], s[4:5], exec
	s_and_b64 s[8:9], s[8:9], exec
	s_or_b64 s[4:5], s[4:5], s[8:9]
	s_or_b64 exec, exec, s[6:7]
	s_and_saveexec_b64 s[6:7], s[4:5]
	s_cbranch_execnz .LBB36_635
	s_branch .LBB36_636
.LBB36_2685:
	s_movk_i32 s4, 0x80
	v_cmp_eq_u16_sdwa s[12:13], v13, s4 src0_sel:BYTE_3 src1_sel:DWORD
	s_mov_b64 s[4:5], -1
                                        ; implicit-def: $sgpr10
	s_and_saveexec_b64 s[8:9], s[12:13]
; %bb.2686:
	s_mov_b32 s10, 0x7f800001
	s_xor_b64 s[4:5], exec, -1
; %bb.2687:
	s_or_b64 exec, exec, s[8:9]
	s_and_b64 s[4:5], s[4:5], exec
	s_or_saveexec_b64 s[6:7], s[6:7]
	v_mov_b32_e32 v11, s10
	s_xor_b64 exec, exec, s[6:7]
	s_cbranch_execz .LBB36_638
.LBB36_2688:
	v_mov_b32_e32 v11, 0
	v_cmp_ne_u16_sdwa s[8:9], v13, v11 src0_sel:BYTE_3 src1_sel:DWORD
	s_andn2_b64 s[4:5], s[4:5], exec
	s_and_b64 s[8:9], s[8:9], exec
	s_or_b64 s[4:5], s[4:5], s[8:9]
	s_or_b64 exec, exec, s[6:7]
	s_and_saveexec_b64 s[6:7], s[4:5]
	s_cbranch_execnz .LBB36_639
	s_branch .LBB36_640
.LBB36_2689:
	s_movk_i32 s4, 0x80
	v_cmp_eq_u16_sdwa s[12:13], v6, s4 src0_sel:BYTE_0 src1_sel:DWORD
	s_mov_b64 s[4:5], -1
                                        ; implicit-def: $sgpr10
	s_and_saveexec_b64 s[8:9], s[12:13]
; %bb.2690:
	s_mov_b32 s10, 0x7f800001
	s_xor_b64 s[4:5], exec, -1
; %bb.2691:
	s_or_b64 exec, exec, s[8:9]
	s_and_b64 s[4:5], s[4:5], exec
	s_or_saveexec_b64 s[6:7], s[6:7]
	v_mov_b32_e32 v10, s10
	s_xor_b64 exec, exec, s[6:7]
	s_cbranch_execz .LBB36_642
.LBB36_2692:
	v_mov_b32_e32 v10, 0
	v_cmp_ne_u16_sdwa s[8:9], v6, v10 src0_sel:BYTE_0 src1_sel:DWORD
	s_andn2_b64 s[4:5], s[4:5], exec
	s_and_b64 s[8:9], s[8:9], exec
	s_or_b64 s[4:5], s[4:5], s[8:9]
	s_or_b64 exec, exec, s[6:7]
	s_and_saveexec_b64 s[6:7], s[4:5]
	s_cbranch_execnz .LBB36_643
	s_branch .LBB36_644
.LBB36_2693:
	s_movk_i32 s4, 0x80
	v_cmp_eq_u16_sdwa s[12:13], v2, s4 src0_sel:BYTE_0 src1_sel:DWORD
	s_mov_b64 s[4:5], -1
                                        ; implicit-def: $sgpr10
	s_and_saveexec_b64 s[8:9], s[12:13]
; %bb.2694:
	s_mov_b32 s10, 0x7f800001
	s_xor_b64 s[4:5], exec, -1
; %bb.2695:
	s_or_b64 exec, exec, s[8:9]
	s_and_b64 s[4:5], s[4:5], exec
	s_or_saveexec_b64 s[6:7], s[6:7]
	v_mov_b32_e32 v11, s10
	s_xor_b64 exec, exec, s[6:7]
	s_cbranch_execz .LBB36_646
.LBB36_2696:
	v_mov_b32_e32 v11, 0
	v_cmp_ne_u16_sdwa s[8:9], v2, v11 src0_sel:BYTE_0 src1_sel:DWORD
	s_andn2_b64 s[4:5], s[4:5], exec
	s_and_b64 s[8:9], s[8:9], exec
	s_or_b64 s[4:5], s[4:5], s[8:9]
	s_or_b64 exec, exec, s[6:7]
	s_and_saveexec_b64 s[6:7], s[4:5]
	s_cbranch_execnz .LBB36_647
	s_branch .LBB36_648
.LBB36_2697:
	s_movk_i32 s4, 0x80
	v_cmp_eq_u16_sdwa s[12:13], v11, s4 src0_sel:BYTE_0 src1_sel:DWORD
	s_mov_b64 s[4:5], -1
                                        ; implicit-def: $sgpr10
	s_and_saveexec_b64 s[8:9], s[12:13]
; %bb.2698:
	s_mov_b32 s10, 0x7f800001
	s_xor_b64 s[4:5], exec, -1
; %bb.2699:
	s_or_b64 exec, exec, s[8:9]
	s_and_b64 s[4:5], s[4:5], exec
	s_or_saveexec_b64 s[6:7], s[6:7]
	v_mov_b32_e32 v10, s10
	s_xor_b64 exec, exec, s[6:7]
	s_cbranch_execz .LBB36_650
.LBB36_2700:
	v_mov_b32_e32 v10, 0
	v_cmp_ne_u16_sdwa s[8:9], v11, v10 src0_sel:BYTE_0 src1_sel:DWORD
	s_andn2_b64 s[4:5], s[4:5], exec
	s_and_b64 s[8:9], s[8:9], exec
	s_or_b64 s[4:5], s[4:5], s[8:9]
	s_or_b64 exec, exec, s[6:7]
	s_and_saveexec_b64 s[6:7], s[4:5]
	s_cbranch_execnz .LBB36_651
	s_branch .LBB36_652
.LBB36_2701:
	s_movk_i32 s4, 0x80
	v_cmp_eq_u16_sdwa s[12:13], v11, s4 src0_sel:BYTE_0 src1_sel:DWORD
	s_mov_b64 s[4:5], -1
                                        ; implicit-def: $sgpr10
	s_and_saveexec_b64 s[8:9], s[12:13]
; %bb.2702:
	s_mov_b32 s10, 0x7f800001
	s_xor_b64 s[4:5], exec, -1
; %bb.2703:
	s_or_b64 exec, exec, s[8:9]
	s_and_b64 s[4:5], s[4:5], exec
	s_or_saveexec_b64 s[6:7], s[6:7]
	v_mov_b32_e32 v12, s10
	s_xor_b64 exec, exec, s[6:7]
	s_cbranch_execz .LBB36_654
.LBB36_2704:
	v_mov_b32_e32 v12, 0
	v_cmp_ne_u16_sdwa s[8:9], v11, v12 src0_sel:BYTE_0 src1_sel:DWORD
	s_andn2_b64 s[4:5], s[4:5], exec
	s_and_b64 s[8:9], s[8:9], exec
	s_or_b64 s[4:5], s[4:5], s[8:9]
	s_or_b64 exec, exec, s[6:7]
	s_and_saveexec_b64 s[6:7], s[4:5]
	s_cbranch_execnz .LBB36_655
	s_branch .LBB36_656
.LBB36_2705:
	s_movk_i32 s4, 0x80
	v_cmp_eq_u16_e32 vcc, s4, v11
	s_mov_b64 s[4:5], -1
                                        ; implicit-def: $sgpr10
	s_and_saveexec_b64 s[8:9], vcc
; %bb.2706:
	s_mov_b32 s10, 0x7f800001
	s_xor_b64 s[4:5], exec, -1
; %bb.2707:
	s_or_b64 exec, exec, s[8:9]
	s_and_b64 s[4:5], s[4:5], exec
                                        ; implicit-def: $vgpr11
	s_or_saveexec_b64 s[6:7], s[6:7]
	v_mov_b32_e32 v10, s10
	s_xor_b64 exec, exec, s[6:7]
	s_cbranch_execz .LBB36_658
.LBB36_2708:
	v_cmp_ne_u16_e32 vcc, 0, v11
	s_andn2_b64 s[4:5], s[4:5], exec
	s_and_b64 s[8:9], vcc, exec
	v_mov_b32_e32 v10, 0
	s_or_b64 s[4:5], s[4:5], s[8:9]
	s_or_b64 exec, exec, s[6:7]
	s_and_saveexec_b64 s[6:7], s[4:5]
	s_cbranch_execnz .LBB36_659
	s_branch .LBB36_660
.LBB36_2709:
	s_movk_i32 s4, 0x80
	v_cmp_eq_u16_e32 vcc, s4, v11
	s_mov_b64 s[4:5], -1
                                        ; implicit-def: $sgpr10
	s_and_saveexec_b64 s[8:9], vcc
; %bb.2710:
	s_mov_b32 s10, 0x7f800001
	s_xor_b64 s[4:5], exec, -1
; %bb.2711:
	s_or_b64 exec, exec, s[8:9]
	s_and_b64 s[4:5], s[4:5], exec
                                        ; implicit-def: $vgpr11
	s_or_saveexec_b64 s[6:7], s[6:7]
	v_mov_b32_e32 v12, s10
	s_xor_b64 exec, exec, s[6:7]
	s_cbranch_execz .LBB36_662
.LBB36_2712:
	v_cmp_ne_u16_e32 vcc, 0, v11
	s_andn2_b64 s[4:5], s[4:5], exec
	s_and_b64 s[8:9], vcc, exec
	v_mov_b32_e32 v12, 0
	s_or_b64 s[4:5], s[4:5], s[8:9]
	s_or_b64 exec, exec, s[6:7]
	s_and_saveexec_b64 s[6:7], s[4:5]
	s_cbranch_execnz .LBB36_663
	s_branch .LBB36_664
.LBB36_2713:
	s_movk_i32 s4, 0x80
	v_cmp_eq_u16_sdwa s[12:13], v6, s4 src0_sel:BYTE_3 src1_sel:DWORD
	s_mov_b64 s[4:5], -1
                                        ; implicit-def: $sgpr10
	s_and_saveexec_b64 s[8:9], s[12:13]
; %bb.2714:
	s_mov_b32 s10, 0x7f800001
	s_xor_b64 s[4:5], exec, -1
; %bb.2715:
	s_or_b64 exec, exec, s[8:9]
	s_and_b64 s[4:5], s[4:5], exec
	s_or_saveexec_b64 s[6:7], s[6:7]
	v_mov_b32_e32 v10, s10
	s_xor_b64 exec, exec, s[6:7]
	s_cbranch_execz .LBB36_666
.LBB36_2716:
	v_mov_b32_e32 v10, 0
	v_cmp_ne_u16_sdwa s[8:9], v6, v10 src0_sel:BYTE_3 src1_sel:DWORD
	s_andn2_b64 s[4:5], s[4:5], exec
	s_and_b64 s[8:9], s[8:9], exec
	s_or_b64 s[4:5], s[4:5], s[8:9]
	s_or_b64 exec, exec, s[6:7]
	s_and_saveexec_b64 s[6:7], s[4:5]
	s_cbranch_execnz .LBB36_667
	s_branch .LBB36_668
.LBB36_2717:
	s_movk_i32 s4, 0x80
	v_cmp_eq_u16_sdwa s[12:13], v2, s4 src0_sel:BYTE_3 src1_sel:DWORD
	s_mov_b64 s[4:5], -1
                                        ; implicit-def: $sgpr10
	s_and_saveexec_b64 s[8:9], s[12:13]
; %bb.2718:
	s_mov_b32 s10, 0x7f800001
	s_xor_b64 s[4:5], exec, -1
; %bb.2719:
	s_or_b64 exec, exec, s[8:9]
	s_and_b64 s[4:5], s[4:5], exec
	s_or_saveexec_b64 s[6:7], s[6:7]
	v_mov_b32_e32 v6, s10
	s_xor_b64 exec, exec, s[6:7]
	s_cbranch_execz .LBB36_670
.LBB36_2720:
	v_mov_b32_e32 v6, 0
	v_cmp_ne_u16_sdwa s[8:9], v2, v6 src0_sel:BYTE_3 src1_sel:DWORD
	s_andn2_b64 s[4:5], s[4:5], exec
	s_and_b64 s[8:9], s[8:9], exec
	s_or_b64 s[4:5], s[4:5], s[8:9]
	s_or_b64 exec, exec, s[6:7]
	s_and_saveexec_b64 s[6:7], s[4:5]
	s_cbranch_execnz .LBB36_671
	s_branch .LBB36_672
.LBB36_2721:
	s_movk_i32 s4, 0x80
	v_cmp_eq_u16_sdwa s[12:13], v7, s4 src0_sel:BYTE_0 src1_sel:DWORD
	s_mov_b64 s[4:5], -1
                                        ; implicit-def: $sgpr10
	s_and_saveexec_b64 s[8:9], s[12:13]
; %bb.2722:
	s_mov_b32 s10, 0x7f800001
	s_xor_b64 s[4:5], exec, -1
; %bb.2723:
	s_or_b64 exec, exec, s[8:9]
	s_and_b64 s[4:5], s[4:5], exec
	s_or_saveexec_b64 s[6:7], s[6:7]
	v_mov_b32_e32 v2, s10
	s_xor_b64 exec, exec, s[6:7]
	s_cbranch_execz .LBB36_674
.LBB36_2724:
	v_mov_b32_e32 v2, 0
	v_cmp_ne_u16_sdwa s[8:9], v7, v2 src0_sel:BYTE_0 src1_sel:DWORD
	s_andn2_b64 s[4:5], s[4:5], exec
	s_and_b64 s[8:9], s[8:9], exec
	s_or_b64 s[4:5], s[4:5], s[8:9]
	s_or_b64 exec, exec, s[6:7]
	s_and_saveexec_b64 s[6:7], s[4:5]
	s_cbranch_execnz .LBB36_675
	s_branch .LBB36_676
.LBB36_2725:
	s_movk_i32 s4, 0x80
	v_cmp_eq_u16_sdwa s[12:13], v3, s4 src0_sel:BYTE_0 src1_sel:DWORD
	s_mov_b64 s[4:5], -1
                                        ; implicit-def: $sgpr10
	s_and_saveexec_b64 s[8:9], s[12:13]
; %bb.2726:
	s_mov_b32 s10, 0x7f800001
	s_xor_b64 s[4:5], exec, -1
; %bb.2727:
	s_or_b64 exec, exec, s[8:9]
	s_and_b64 s[4:5], s[4:5], exec
	s_or_saveexec_b64 s[6:7], s[6:7]
	v_mov_b32_e32 v6, s10
	s_xor_b64 exec, exec, s[6:7]
	s_cbranch_execz .LBB36_678
.LBB36_2728:
	v_mov_b32_e32 v6, 0
	v_cmp_ne_u16_sdwa s[8:9], v3, v6 src0_sel:BYTE_0 src1_sel:DWORD
	s_andn2_b64 s[4:5], s[4:5], exec
	s_and_b64 s[8:9], s[8:9], exec
	s_or_b64 s[4:5], s[4:5], s[8:9]
	s_or_b64 exec, exec, s[6:7]
	s_and_saveexec_b64 s[6:7], s[4:5]
	s_cbranch_execnz .LBB36_679
	s_branch .LBB36_680
.LBB36_2729:
	s_movk_i32 s4, 0x80
	v_cmp_eq_u16_sdwa s[12:13], v6, s4 src0_sel:BYTE_0 src1_sel:DWORD
	s_mov_b64 s[4:5], -1
                                        ; implicit-def: $sgpr10
	s_and_saveexec_b64 s[8:9], s[12:13]
; %bb.2730:
	s_mov_b32 s10, 0x7f800001
	s_xor_b64 s[4:5], exec, -1
; %bb.2731:
	s_or_b64 exec, exec, s[8:9]
	s_and_b64 s[4:5], s[4:5], exec
	s_or_saveexec_b64 s[6:7], s[6:7]
	v_mov_b32_e32 v2, s10
	s_xor_b64 exec, exec, s[6:7]
	s_cbranch_execz .LBB36_682
.LBB36_2732:
	v_mov_b32_e32 v2, 0
	v_cmp_ne_u16_sdwa s[8:9], v6, v2 src0_sel:BYTE_0 src1_sel:DWORD
	s_andn2_b64 s[4:5], s[4:5], exec
	s_and_b64 s[8:9], s[8:9], exec
	s_or_b64 s[4:5], s[4:5], s[8:9]
	s_or_b64 exec, exec, s[6:7]
	s_and_saveexec_b64 s[6:7], s[4:5]
	s_cbranch_execnz .LBB36_683
	s_branch .LBB36_684
.LBB36_2733:
	s_movk_i32 s4, 0x80
	v_cmp_eq_u16_sdwa s[12:13], v6, s4 src0_sel:BYTE_0 src1_sel:DWORD
	s_mov_b64 s[4:5], -1
                                        ; implicit-def: $sgpr10
	s_and_saveexec_b64 s[8:9], s[12:13]
; %bb.2734:
	s_mov_b32 s10, 0x7f800001
	s_xor_b64 s[4:5], exec, -1
; %bb.2735:
	s_or_b64 exec, exec, s[8:9]
	s_and_b64 s[4:5], s[4:5], exec
	s_or_saveexec_b64 s[6:7], s[6:7]
	v_mov_b32_e32 v10, s10
	s_xor_b64 exec, exec, s[6:7]
	s_cbranch_execz .LBB36_686
.LBB36_2736:
	v_mov_b32_e32 v10, 0
	v_cmp_ne_u16_sdwa s[8:9], v6, v10 src0_sel:BYTE_0 src1_sel:DWORD
	s_andn2_b64 s[4:5], s[4:5], exec
	s_and_b64 s[8:9], s[8:9], exec
	s_or_b64 s[4:5], s[4:5], s[8:9]
	s_or_b64 exec, exec, s[6:7]
	s_and_saveexec_b64 s[6:7], s[4:5]
	s_cbranch_execnz .LBB36_687
	s_branch .LBB36_688
.LBB36_2737:
	s_movk_i32 s4, 0x80
	v_cmp_eq_u16_e32 vcc, s4, v6
	s_mov_b64 s[4:5], -1
                                        ; implicit-def: $sgpr10
	s_and_saveexec_b64 s[8:9], vcc
; %bb.2738:
	s_mov_b32 s10, 0x7f800001
	s_xor_b64 s[4:5], exec, -1
; %bb.2739:
	s_or_b64 exec, exec, s[8:9]
	s_and_b64 s[4:5], s[4:5], exec
                                        ; implicit-def: $vgpr6
	s_or_saveexec_b64 s[6:7], s[6:7]
	v_mov_b32_e32 v2, s10
	s_xor_b64 exec, exec, s[6:7]
	s_cbranch_execz .LBB36_690
.LBB36_2740:
	v_cmp_ne_u16_e32 vcc, 0, v6
	s_andn2_b64 s[4:5], s[4:5], exec
	s_and_b64 s[8:9], vcc, exec
	v_mov_b32_e32 v2, 0
	s_or_b64 s[4:5], s[4:5], s[8:9]
	s_or_b64 exec, exec, s[6:7]
	s_and_saveexec_b64 s[6:7], s[4:5]
	s_cbranch_execnz .LBB36_691
	s_branch .LBB36_692
.LBB36_2741:
	s_movk_i32 s4, 0x80
	v_cmp_eq_u16_e32 vcc, s4, v6
	s_mov_b64 s[4:5], -1
                                        ; implicit-def: $sgpr10
	s_and_saveexec_b64 s[8:9], vcc
; %bb.2742:
	s_mov_b32 s10, 0x7f800001
	s_xor_b64 s[4:5], exec, -1
; %bb.2743:
	s_or_b64 exec, exec, s[8:9]
	s_and_b64 s[4:5], s[4:5], exec
                                        ; implicit-def: $vgpr6
	s_or_saveexec_b64 s[6:7], s[6:7]
	v_mov_b32_e32 v10, s10
	s_xor_b64 exec, exec, s[6:7]
	s_cbranch_execz .LBB36_694
.LBB36_2744:
	v_cmp_ne_u16_e32 vcc, 0, v6
	s_andn2_b64 s[4:5], s[4:5], exec
	s_and_b64 s[8:9], vcc, exec
	v_mov_b32_e32 v10, 0
	s_or_b64 s[4:5], s[4:5], s[8:9]
	s_or_b64 exec, exec, s[6:7]
	s_and_saveexec_b64 s[6:7], s[4:5]
	s_cbranch_execnz .LBB36_695
	s_branch .LBB36_696
.LBB36_2745:
	s_movk_i32 s4, 0x80
	v_cmp_eq_u16_sdwa s[12:13], v7, s4 src0_sel:BYTE_3 src1_sel:DWORD
	s_mov_b64 s[4:5], -1
                                        ; implicit-def: $sgpr10
	s_and_saveexec_b64 s[8:9], s[12:13]
; %bb.2746:
	s_mov_b32 s10, 0x7f800001
	s_xor_b64 s[4:5], exec, -1
; %bb.2747:
	s_or_b64 exec, exec, s[8:9]
	s_and_b64 s[4:5], s[4:5], exec
	s_or_saveexec_b64 s[6:7], s[6:7]
	v_mov_b32_e32 v2, s10
	s_xor_b64 exec, exec, s[6:7]
	s_cbranch_execz .LBB36_698
.LBB36_2748:
	v_mov_b32_e32 v2, 0
	v_cmp_ne_u16_sdwa s[8:9], v7, v2 src0_sel:BYTE_3 src1_sel:DWORD
	s_andn2_b64 s[4:5], s[4:5], exec
	s_and_b64 s[8:9], s[8:9], exec
	s_or_b64 s[4:5], s[4:5], s[8:9]
	s_or_b64 exec, exec, s[6:7]
	s_and_saveexec_b64 s[6:7], s[4:5]
	s_cbranch_execnz .LBB36_699
	s_branch .LBB36_700
.LBB36_2749:
	s_movk_i32 s4, 0x80
	v_cmp_eq_u16_sdwa s[12:13], v3, s4 src0_sel:BYTE_3 src1_sel:DWORD
	s_mov_b64 s[4:5], -1
                                        ; implicit-def: $sgpr10
	s_and_saveexec_b64 s[8:9], s[12:13]
; %bb.2750:
	s_mov_b32 s10, 0x7f800001
	s_xor_b64 s[4:5], exec, -1
; %bb.2751:
	s_or_b64 exec, exec, s[8:9]
	s_and_b64 s[4:5], s[4:5], exec
	s_or_saveexec_b64 s[6:7], s[6:7]
	v_mov_b32_e32 v6, s10
	s_xor_b64 exec, exec, s[6:7]
	s_cbranch_execz .LBB36_702
.LBB36_2752:
	v_mov_b32_e32 v6, 0
	v_cmp_ne_u16_sdwa s[8:9], v3, v6 src0_sel:BYTE_3 src1_sel:DWORD
	s_andn2_b64 s[4:5], s[4:5], exec
	s_and_b64 s[8:9], s[8:9], exec
	s_or_b64 s[4:5], s[4:5], s[8:9]
	s_or_b64 exec, exec, s[6:7]
	s_and_saveexec_b64 s[6:7], s[4:5]
	s_cbranch_execnz .LBB36_703
	s_branch .LBB36_704
.LBB36_2753:
	s_movk_i32 s4, 0x80
	v_cmp_eq_u16_sdwa s[12:13], v8, s4 src0_sel:BYTE_0 src1_sel:DWORD
	s_mov_b64 s[4:5], -1
                                        ; implicit-def: $sgpr10
	s_and_saveexec_b64 s[8:9], s[12:13]
; %bb.2754:
	s_mov_b32 s10, 0x7f800001
	s_xor_b64 s[4:5], exec, -1
; %bb.2755:
	s_or_b64 exec, exec, s[8:9]
	s_and_b64 s[4:5], s[4:5], exec
	s_or_saveexec_b64 s[6:7], s[6:7]
	v_mov_b32_e32 v2, s10
	s_xor_b64 exec, exec, s[6:7]
	s_cbranch_execz .LBB36_706
.LBB36_2756:
	v_mov_b32_e32 v2, 0
	v_cmp_ne_u16_sdwa s[8:9], v8, v2 src0_sel:BYTE_0 src1_sel:DWORD
	s_andn2_b64 s[4:5], s[4:5], exec
	s_and_b64 s[8:9], s[8:9], exec
	s_or_b64 s[4:5], s[4:5], s[8:9]
	s_or_b64 exec, exec, s[6:7]
	s_and_saveexec_b64 s[6:7], s[4:5]
	s_cbranch_execnz .LBB36_707
	s_branch .LBB36_708
.LBB36_2757:
	s_movk_i32 s4, 0x80
	v_cmp_eq_u16_sdwa s[12:13], v4, s4 src0_sel:BYTE_0 src1_sel:DWORD
	s_mov_b64 s[4:5], -1
                                        ; implicit-def: $sgpr10
	s_and_saveexec_b64 s[8:9], s[12:13]
; %bb.2758:
	s_mov_b32 s10, 0x7f800001
	s_xor_b64 s[4:5], exec, -1
; %bb.2759:
	s_or_b64 exec, exec, s[8:9]
	s_and_b64 s[4:5], s[4:5], exec
	s_or_saveexec_b64 s[6:7], s[6:7]
	v_mov_b32_e32 v3, s10
	s_xor_b64 exec, exec, s[6:7]
	s_cbranch_execz .LBB36_710
.LBB36_2760:
	v_mov_b32_e32 v3, 0
	v_cmp_ne_u16_sdwa s[8:9], v4, v3 src0_sel:BYTE_0 src1_sel:DWORD
	s_andn2_b64 s[4:5], s[4:5], exec
	s_and_b64 s[8:9], s[8:9], exec
	s_or_b64 s[4:5], s[4:5], s[8:9]
	s_or_b64 exec, exec, s[6:7]
	s_and_saveexec_b64 s[6:7], s[4:5]
	s_cbranch_execnz .LBB36_711
	s_branch .LBB36_712
.LBB36_2761:
	s_movk_i32 s4, 0x80
	v_cmp_eq_u16_sdwa s[12:13], v3, s4 src0_sel:BYTE_0 src1_sel:DWORD
	s_mov_b64 s[4:5], -1
                                        ; implicit-def: $sgpr10
	s_and_saveexec_b64 s[8:9], s[12:13]
; %bb.2762:
	s_mov_b32 s10, 0x7f800001
	s_xor_b64 s[4:5], exec, -1
; %bb.2763:
	s_or_b64 exec, exec, s[8:9]
	s_and_b64 s[4:5], s[4:5], exec
	s_or_saveexec_b64 s[6:7], s[6:7]
	v_mov_b32_e32 v2, s10
	s_xor_b64 exec, exec, s[6:7]
	s_cbranch_execz .LBB36_714
.LBB36_2764:
	v_mov_b32_e32 v2, 0
	v_cmp_ne_u16_sdwa s[8:9], v3, v2 src0_sel:BYTE_0 src1_sel:DWORD
	s_andn2_b64 s[4:5], s[4:5], exec
	s_and_b64 s[8:9], s[8:9], exec
	s_or_b64 s[4:5], s[4:5], s[8:9]
	s_or_b64 exec, exec, s[6:7]
	s_and_saveexec_b64 s[6:7], s[4:5]
	s_cbranch_execnz .LBB36_715
	s_branch .LBB36_716
.LBB36_2765:
	s_movk_i32 s4, 0x80
	v_cmp_eq_u16_sdwa s[12:13], v3, s4 src0_sel:BYTE_0 src1_sel:DWORD
	s_mov_b64 s[4:5], -1
                                        ; implicit-def: $sgpr10
	s_and_saveexec_b64 s[8:9], s[12:13]
; %bb.2766:
	s_mov_b32 s10, 0x7f800001
	s_xor_b64 s[4:5], exec, -1
; %bb.2767:
	s_or_b64 exec, exec, s[8:9]
	s_and_b64 s[4:5], s[4:5], exec
	s_or_saveexec_b64 s[6:7], s[6:7]
	v_mov_b32_e32 v6, s10
	s_xor_b64 exec, exec, s[6:7]
	s_cbranch_execz .LBB36_718
.LBB36_2768:
	v_mov_b32_e32 v6, 0
	v_cmp_ne_u16_sdwa s[8:9], v3, v6 src0_sel:BYTE_0 src1_sel:DWORD
	s_andn2_b64 s[4:5], s[4:5], exec
	s_and_b64 s[8:9], s[8:9], exec
	s_or_b64 s[4:5], s[4:5], s[8:9]
	s_or_b64 exec, exec, s[6:7]
	s_and_saveexec_b64 s[6:7], s[4:5]
	s_cbranch_execnz .LBB36_719
	s_branch .LBB36_720
.LBB36_2769:
	s_movk_i32 s4, 0x80
	v_cmp_eq_u16_e32 vcc, s4, v3
	s_mov_b64 s[4:5], -1
                                        ; implicit-def: $sgpr10
	s_and_saveexec_b64 s[8:9], vcc
; %bb.2770:
	s_mov_b32 s10, 0x7f800001
	s_xor_b64 s[4:5], exec, -1
; %bb.2771:
	s_or_b64 exec, exec, s[8:9]
	s_and_b64 s[4:5], s[4:5], exec
                                        ; implicit-def: $vgpr3
	s_or_saveexec_b64 s[6:7], s[6:7]
	v_mov_b32_e32 v2, s10
	s_xor_b64 exec, exec, s[6:7]
	s_cbranch_execz .LBB36_722
.LBB36_2772:
	v_cmp_ne_u16_e32 vcc, 0, v3
	s_andn2_b64 s[4:5], s[4:5], exec
	s_and_b64 s[8:9], vcc, exec
	v_mov_b32_e32 v2, 0
	s_or_b64 s[4:5], s[4:5], s[8:9]
	s_or_b64 exec, exec, s[6:7]
	s_and_saveexec_b64 s[6:7], s[4:5]
	s_cbranch_execnz .LBB36_723
	s_branch .LBB36_724
.LBB36_2773:
	s_movk_i32 s4, 0x80
	v_cmp_eq_u16_e32 vcc, s4, v3
	s_mov_b64 s[4:5], -1
                                        ; implicit-def: $sgpr10
	s_and_saveexec_b64 s[8:9], vcc
; %bb.2774:
	s_mov_b32 s10, 0x7f800001
	s_xor_b64 s[4:5], exec, -1
; %bb.2775:
	s_or_b64 exec, exec, s[8:9]
	s_and_b64 s[4:5], s[4:5], exec
                                        ; implicit-def: $vgpr3
	s_or_saveexec_b64 s[6:7], s[6:7]
	v_mov_b32_e32 v6, s10
	s_xor_b64 exec, exec, s[6:7]
	s_cbranch_execz .LBB36_726
.LBB36_2776:
	v_cmp_ne_u16_e32 vcc, 0, v3
	s_andn2_b64 s[4:5], s[4:5], exec
	s_and_b64 s[8:9], vcc, exec
	v_mov_b32_e32 v6, 0
	s_or_b64 s[4:5], s[4:5], s[8:9]
	s_or_b64 exec, exec, s[6:7]
	s_and_saveexec_b64 s[6:7], s[4:5]
	s_cbranch_execnz .LBB36_727
	s_branch .LBB36_728
.LBB36_2777:
	s_movk_i32 s4, 0x80
	v_cmp_eq_u16_sdwa s[12:13], v8, s4 src0_sel:BYTE_3 src1_sel:DWORD
	s_mov_b64 s[4:5], -1
                                        ; implicit-def: $sgpr10
	s_and_saveexec_b64 s[8:9], s[12:13]
; %bb.2778:
	s_mov_b32 s10, 0x7f800001
	s_xor_b64 s[4:5], exec, -1
; %bb.2779:
	s_or_b64 exec, exec, s[8:9]
	s_and_b64 s[4:5], s[4:5], exec
	s_or_saveexec_b64 s[6:7], s[6:7]
	v_mov_b32_e32 v2, s10
	s_xor_b64 exec, exec, s[6:7]
	s_cbranch_execz .LBB36_730
.LBB36_2780:
	v_mov_b32_e32 v2, 0
	v_cmp_ne_u16_sdwa s[8:9], v8, v2 src0_sel:BYTE_3 src1_sel:DWORD
	s_andn2_b64 s[4:5], s[4:5], exec
	s_and_b64 s[8:9], s[8:9], exec
	s_or_b64 s[4:5], s[4:5], s[8:9]
	s_or_b64 exec, exec, s[6:7]
	s_and_saveexec_b64 s[6:7], s[4:5]
	s_cbranch_execnz .LBB36_731
	s_branch .LBB36_732
.LBB36_2781:
	s_movk_i32 s4, 0x80
	v_cmp_eq_u16_sdwa s[12:13], v4, s4 src0_sel:BYTE_3 src1_sel:DWORD
	s_mov_b64 s[4:5], -1
                                        ; implicit-def: $sgpr10
	s_and_saveexec_b64 s[8:9], s[12:13]
; %bb.2782:
	s_mov_b32 s10, 0x7f800001
	s_xor_b64 s[4:5], exec, -1
; %bb.2783:
	s_or_b64 exec, exec, s[8:9]
	s_and_b64 s[4:5], s[4:5], exec
	s_or_saveexec_b64 s[6:7], s[6:7]
	v_mov_b32_e32 v3, s10
	s_xor_b64 exec, exec, s[6:7]
	s_cbranch_execz .LBB36_734
.LBB36_2784:
	v_mov_b32_e32 v3, 0
	v_cmp_ne_u16_sdwa s[8:9], v4, v3 src0_sel:BYTE_3 src1_sel:DWORD
	s_andn2_b64 s[4:5], s[4:5], exec
	s_and_b64 s[8:9], s[8:9], exec
	s_or_b64 s[4:5], s[4:5], s[8:9]
	s_or_b64 exec, exec, s[6:7]
	s_and_saveexec_b64 s[6:7], s[4:5]
	s_cbranch_execnz .LBB36_735
	s_branch .LBB36_736
.LBB36_2785:
	s_movk_i32 s4, 0x80
	v_cmp_eq_u16_sdwa s[12:13], v9, s4 src0_sel:BYTE_0 src1_sel:DWORD
	s_mov_b64 s[4:5], -1
                                        ; implicit-def: $sgpr10
	s_and_saveexec_b64 s[8:9], s[12:13]
; %bb.2786:
	s_mov_b32 s10, 0x7f800001
	s_xor_b64 s[4:5], exec, -1
; %bb.2787:
	s_or_b64 exec, exec, s[8:9]
	s_and_b64 s[4:5], s[4:5], exec
	s_or_saveexec_b64 s[6:7], s[6:7]
	v_mov_b32_e32 v2, s10
	s_xor_b64 exec, exec, s[6:7]
	s_cbranch_execz .LBB36_738
.LBB36_2788:
	v_mov_b32_e32 v2, 0
	v_cmp_ne_u16_sdwa s[8:9], v9, v2 src0_sel:BYTE_0 src1_sel:DWORD
	s_andn2_b64 s[4:5], s[4:5], exec
	s_and_b64 s[8:9], s[8:9], exec
	s_or_b64 s[4:5], s[4:5], s[8:9]
	s_or_b64 exec, exec, s[6:7]
	s_and_saveexec_b64 s[6:7], s[4:5]
	s_cbranch_execnz .LBB36_739
	s_branch .LBB36_740
.LBB36_2789:
	s_movk_i32 s4, 0x80
	v_cmp_eq_u16_sdwa s[12:13], v5, s4 src0_sel:BYTE_0 src1_sel:DWORD
	s_mov_b64 s[4:5], -1
                                        ; implicit-def: $sgpr10
	s_and_saveexec_b64 s[8:9], s[12:13]
; %bb.2790:
	s_mov_b32 s10, 0x7f800001
	s_xor_b64 s[4:5], exec, -1
; %bb.2791:
	s_or_b64 exec, exec, s[8:9]
	s_and_b64 s[4:5], s[4:5], exec
	s_or_saveexec_b64 s[6:7], s[6:7]
	v_mov_b32_e32 v3, s10
	s_xor_b64 exec, exec, s[6:7]
	s_cbranch_execz .LBB36_742
.LBB36_2792:
	v_mov_b32_e32 v3, 0
	v_cmp_ne_u16_sdwa s[8:9], v5, v3 src0_sel:BYTE_0 src1_sel:DWORD
	s_andn2_b64 s[4:5], s[4:5], exec
	s_and_b64 s[8:9], s[8:9], exec
	s_or_b64 s[4:5], s[4:5], s[8:9]
	s_or_b64 exec, exec, s[6:7]
	s_and_saveexec_b64 s[6:7], s[4:5]
	s_cbranch_execnz .LBB36_743
	s_branch .LBB36_744
.LBB36_2793:
	s_movk_i32 s4, 0x80
	v_cmp_eq_u16_sdwa s[12:13], v3, s4 src0_sel:BYTE_0 src1_sel:DWORD
	s_mov_b64 s[4:5], -1
                                        ; implicit-def: $sgpr10
	s_and_saveexec_b64 s[8:9], s[12:13]
; %bb.2794:
	s_mov_b32 s10, 0x7f800001
	s_xor_b64 s[4:5], exec, -1
; %bb.2795:
	s_or_b64 exec, exec, s[8:9]
	s_and_b64 s[4:5], s[4:5], exec
	s_or_saveexec_b64 s[6:7], s[6:7]
	v_mov_b32_e32 v2, s10
	s_xor_b64 exec, exec, s[6:7]
	s_cbranch_execz .LBB36_746
.LBB36_2796:
	v_mov_b32_e32 v2, 0
	v_cmp_ne_u16_sdwa s[8:9], v3, v2 src0_sel:BYTE_0 src1_sel:DWORD
	s_andn2_b64 s[4:5], s[4:5], exec
	s_and_b64 s[8:9], s[8:9], exec
	s_or_b64 s[4:5], s[4:5], s[8:9]
	s_or_b64 exec, exec, s[6:7]
	s_and_saveexec_b64 s[6:7], s[4:5]
	s_cbranch_execnz .LBB36_747
	s_branch .LBB36_748
.LBB36_2797:
	s_movk_i32 s4, 0x80
	v_cmp_eq_u16_sdwa s[12:13], v3, s4 src0_sel:BYTE_0 src1_sel:DWORD
	s_mov_b64 s[4:5], -1
                                        ; implicit-def: $sgpr10
	s_and_saveexec_b64 s[8:9], s[12:13]
; %bb.2798:
	s_mov_b32 s10, 0x7f800001
	s_xor_b64 s[4:5], exec, -1
; %bb.2799:
	s_or_b64 exec, exec, s[8:9]
	s_and_b64 s[4:5], s[4:5], exec
	s_or_saveexec_b64 s[6:7], s[6:7]
	v_mov_b32_e32 v4, s10
	s_xor_b64 exec, exec, s[6:7]
	s_cbranch_execz .LBB36_750
.LBB36_2800:
	v_mov_b32_e32 v4, 0
	v_cmp_ne_u16_sdwa s[8:9], v3, v4 src0_sel:BYTE_0 src1_sel:DWORD
	s_andn2_b64 s[4:5], s[4:5], exec
	s_and_b64 s[8:9], s[8:9], exec
	s_or_b64 s[4:5], s[4:5], s[8:9]
	s_or_b64 exec, exec, s[6:7]
	s_and_saveexec_b64 s[6:7], s[4:5]
	s_cbranch_execnz .LBB36_751
	s_branch .LBB36_752
.LBB36_2801:
	s_movk_i32 s4, 0x80
	v_cmp_eq_u16_e32 vcc, s4, v3
	s_mov_b64 s[4:5], -1
                                        ; implicit-def: $sgpr10
	s_and_saveexec_b64 s[8:9], vcc
; %bb.2802:
	s_mov_b32 s10, 0x7f800001
	s_xor_b64 s[4:5], exec, -1
; %bb.2803:
	s_or_b64 exec, exec, s[8:9]
	s_and_b64 s[4:5], s[4:5], exec
                                        ; implicit-def: $vgpr3
	s_or_saveexec_b64 s[6:7], s[6:7]
	v_mov_b32_e32 v2, s10
	s_xor_b64 exec, exec, s[6:7]
	s_cbranch_execz .LBB36_754
.LBB36_2804:
	v_cmp_ne_u16_e32 vcc, 0, v3
	s_andn2_b64 s[4:5], s[4:5], exec
	s_and_b64 s[8:9], vcc, exec
	v_mov_b32_e32 v2, 0
	s_or_b64 s[4:5], s[4:5], s[8:9]
	s_or_b64 exec, exec, s[6:7]
	s_and_saveexec_b64 s[6:7], s[4:5]
	s_cbranch_execnz .LBB36_755
	s_branch .LBB36_756
.LBB36_2805:
	s_movk_i32 s4, 0x80
	v_cmp_eq_u16_e32 vcc, s4, v3
	s_mov_b64 s[4:5], -1
                                        ; implicit-def: $sgpr10
	s_and_saveexec_b64 s[8:9], vcc
; %bb.2806:
	s_mov_b32 s10, 0x7f800001
	s_xor_b64 s[4:5], exec, -1
; %bb.2807:
	s_or_b64 exec, exec, s[8:9]
	s_and_b64 s[4:5], s[4:5], exec
                                        ; implicit-def: $vgpr3
	s_or_saveexec_b64 s[6:7], s[6:7]
	v_mov_b32_e32 v4, s10
	s_xor_b64 exec, exec, s[6:7]
	s_cbranch_execz .LBB36_758
.LBB36_2808:
	v_cmp_ne_u16_e32 vcc, 0, v3
	s_andn2_b64 s[4:5], s[4:5], exec
	s_and_b64 s[8:9], vcc, exec
	v_mov_b32_e32 v4, 0
	s_or_b64 s[4:5], s[4:5], s[8:9]
	s_or_b64 exec, exec, s[6:7]
	s_and_saveexec_b64 s[6:7], s[4:5]
	s_cbranch_execnz .LBB36_759
	s_branch .LBB36_760
.LBB36_2809:
	s_movk_i32 s4, 0x80
	v_cmp_eq_u16_sdwa s[12:13], v9, s4 src0_sel:BYTE_3 src1_sel:DWORD
	s_mov_b64 s[4:5], -1
                                        ; implicit-def: $sgpr10
	s_and_saveexec_b64 s[8:9], s[12:13]
; %bb.2810:
	s_mov_b32 s10, 0x7f800001
	s_xor_b64 s[4:5], exec, -1
; %bb.2811:
	s_or_b64 exec, exec, s[8:9]
	s_and_b64 s[4:5], s[4:5], exec
	s_or_saveexec_b64 s[6:7], s[6:7]
	v_mov_b32_e32 v2, s10
	s_xor_b64 exec, exec, s[6:7]
	s_cbranch_execz .LBB36_762
.LBB36_2812:
	v_mov_b32_e32 v2, 0
	v_cmp_ne_u16_sdwa s[8:9], v9, v2 src0_sel:BYTE_3 src1_sel:DWORD
	s_andn2_b64 s[4:5], s[4:5], exec
	s_and_b64 s[8:9], s[8:9], exec
	s_or_b64 s[4:5], s[4:5], s[8:9]
	s_or_b64 exec, exec, s[6:7]
	s_and_saveexec_b64 s[6:7], s[4:5]
	s_cbranch_execnz .LBB36_763
	s_branch .LBB36_764
.LBB36_2813:
	s_movk_i32 s4, 0x80
	v_cmp_eq_u16_sdwa s[12:13], v5, s4 src0_sel:BYTE_3 src1_sel:DWORD
	s_mov_b64 s[4:5], -1
                                        ; implicit-def: $sgpr10
	s_and_saveexec_b64 s[8:9], s[12:13]
; %bb.2814:
	s_mov_b32 s10, 0x7f800001
	s_xor_b64 s[4:5], exec, -1
; %bb.2815:
	s_or_b64 exec, exec, s[8:9]
	s_and_b64 s[4:5], s[4:5], exec
	s_or_saveexec_b64 s[6:7], s[6:7]
	v_mov_b32_e32 v3, s10
	s_xor_b64 exec, exec, s[6:7]
	s_cbranch_execz .LBB36_766
.LBB36_2816:
	v_mov_b32_e32 v3, 0
	v_cmp_ne_u16_sdwa s[8:9], v5, v3 src0_sel:BYTE_3 src1_sel:DWORD
	s_andn2_b64 s[4:5], s[4:5], exec
	s_and_b64 s[8:9], s[8:9], exec
	s_or_b64 s[4:5], s[4:5], s[8:9]
	s_or_b64 exec, exec, s[6:7]
	s_and_saveexec_b64 s[6:7], s[4:5]
	s_cbranch_execnz .LBB36_767
	s_branch .LBB36_768
.LBB36_2817:
	s_movk_i32 s4, 0x80
	v_cmp_eq_u16_sdwa s[12:13], v14, s4 src0_sel:BYTE_0 src1_sel:DWORD
	s_mov_b64 s[4:5], -1
                                        ; implicit-def: $sgpr10
	s_and_saveexec_b64 s[8:9], s[12:13]
; %bb.2818:
	s_mov_b32 s10, 0x7f800001
	s_xor_b64 s[4:5], exec, -1
; %bb.2819:
	s_or_b64 exec, exec, s[8:9]
	s_and_b64 s[4:5], s[4:5], exec
	s_or_saveexec_b64 s[6:7], s[6:7]
	v_mov_b32_e32 v20, s10
	s_xor_b64 exec, exec, s[6:7]
	s_cbranch_execz .LBB36_770
.LBB36_2820:
	v_mov_b32_e32 v20, 0
	v_cmp_ne_u16_sdwa s[8:9], v14, v20 src0_sel:BYTE_0 src1_sel:DWORD
	s_andn2_b64 s[4:5], s[4:5], exec
	s_and_b64 s[8:9], s[8:9], exec
	s_or_b64 s[4:5], s[4:5], s[8:9]
	s_or_b64 exec, exec, s[6:7]
	s_and_saveexec_b64 s[6:7], s[4:5]
	s_cbranch_execnz .LBB36_771
	s_branch .LBB36_772
.LBB36_2821:
	s_movk_i32 s4, 0x80
	v_cmp_eq_u16_sdwa s[12:13], v10, s4 src0_sel:BYTE_0 src1_sel:DWORD
	s_mov_b64 s[4:5], -1
                                        ; implicit-def: $sgpr10
	s_and_saveexec_b64 s[8:9], s[12:13]
; %bb.2822:
	s_mov_b32 s10, 0x7f800001
	s_xor_b64 s[4:5], exec, -1
; %bb.2823:
	s_or_b64 exec, exec, s[8:9]
	s_and_b64 s[4:5], s[4:5], exec
	s_or_saveexec_b64 s[6:7], s[6:7]
	v_mov_b32_e32 v21, s10
	s_xor_b64 exec, exec, s[6:7]
	s_cbranch_execz .LBB36_774
.LBB36_2824:
	v_mov_b32_e32 v21, 0
	v_cmp_ne_u16_sdwa s[8:9], v10, v21 src0_sel:BYTE_0 src1_sel:DWORD
	s_andn2_b64 s[4:5], s[4:5], exec
	s_and_b64 s[8:9], s[8:9], exec
	s_or_b64 s[4:5], s[4:5], s[8:9]
	s_or_b64 exec, exec, s[6:7]
	s_and_saveexec_b64 s[6:7], s[4:5]
	s_cbranch_execnz .LBB36_775
	s_branch .LBB36_776
.LBB36_2825:
	s_movk_i32 s4, 0x80
	v_cmp_eq_u16_sdwa s[12:13], v21, s4 src0_sel:BYTE_0 src1_sel:DWORD
	s_mov_b64 s[4:5], -1
                                        ; implicit-def: $sgpr10
	s_and_saveexec_b64 s[8:9], s[12:13]
; %bb.2826:
	s_mov_b32 s10, 0x7f800001
	s_xor_b64 s[4:5], exec, -1
; %bb.2827:
	s_or_b64 exec, exec, s[8:9]
	s_and_b64 s[4:5], s[4:5], exec
	s_or_saveexec_b64 s[6:7], s[6:7]
	v_mov_b32_e32 v20, s10
	s_xor_b64 exec, exec, s[6:7]
	s_cbranch_execz .LBB36_778
.LBB36_2828:
	v_mov_b32_e32 v20, 0
	v_cmp_ne_u16_sdwa s[8:9], v21, v20 src0_sel:BYTE_0 src1_sel:DWORD
	s_andn2_b64 s[4:5], s[4:5], exec
	s_and_b64 s[8:9], s[8:9], exec
	s_or_b64 s[4:5], s[4:5], s[8:9]
	s_or_b64 exec, exec, s[6:7]
	s_and_saveexec_b64 s[6:7], s[4:5]
	s_cbranch_execnz .LBB36_779
	s_branch .LBB36_780
.LBB36_2829:
	s_movk_i32 s4, 0x80
	v_cmp_eq_u16_sdwa s[12:13], v21, s4 src0_sel:BYTE_0 src1_sel:DWORD
	s_mov_b64 s[4:5], -1
                                        ; implicit-def: $sgpr10
	s_and_saveexec_b64 s[8:9], s[12:13]
; %bb.2830:
	s_mov_b32 s10, 0x7f800001
	s_xor_b64 s[4:5], exec, -1
; %bb.2831:
	s_or_b64 exec, exec, s[8:9]
	s_and_b64 s[4:5], s[4:5], exec
	s_or_saveexec_b64 s[6:7], s[6:7]
	v_mov_b32_e32 v22, s10
	s_xor_b64 exec, exec, s[6:7]
	s_cbranch_execz .LBB36_782
.LBB36_2832:
	v_mov_b32_e32 v22, 0
	v_cmp_ne_u16_sdwa s[8:9], v21, v22 src0_sel:BYTE_0 src1_sel:DWORD
	s_andn2_b64 s[4:5], s[4:5], exec
	s_and_b64 s[8:9], s[8:9], exec
	s_or_b64 s[4:5], s[4:5], s[8:9]
	s_or_b64 exec, exec, s[6:7]
	s_and_saveexec_b64 s[6:7], s[4:5]
	s_cbranch_execnz .LBB36_783
	s_branch .LBB36_784
.LBB36_2833:
	s_movk_i32 s4, 0x80
	v_cmp_eq_u16_e32 vcc, s4, v21
	s_mov_b64 s[4:5], -1
                                        ; implicit-def: $sgpr10
	s_and_saveexec_b64 s[8:9], vcc
; %bb.2834:
	s_mov_b32 s10, 0x7f800001
	s_xor_b64 s[4:5], exec, -1
; %bb.2835:
	s_or_b64 exec, exec, s[8:9]
	s_and_b64 s[4:5], s[4:5], exec
                                        ; implicit-def: $vgpr21
	s_or_saveexec_b64 s[6:7], s[6:7]
	v_mov_b32_e32 v20, s10
	s_xor_b64 exec, exec, s[6:7]
	s_cbranch_execz .LBB36_786
.LBB36_2836:
	v_cmp_ne_u16_e32 vcc, 0, v21
	s_andn2_b64 s[4:5], s[4:5], exec
	s_and_b64 s[8:9], vcc, exec
	v_mov_b32_e32 v20, 0
	s_or_b64 s[4:5], s[4:5], s[8:9]
	s_or_b64 exec, exec, s[6:7]
	s_and_saveexec_b64 s[6:7], s[4:5]
	s_cbranch_execnz .LBB36_787
	s_branch .LBB36_788
.LBB36_2837:
	s_movk_i32 s4, 0x80
	v_cmp_eq_u16_e32 vcc, s4, v21
	s_mov_b64 s[4:5], -1
                                        ; implicit-def: $sgpr10
	s_and_saveexec_b64 s[8:9], vcc
; %bb.2838:
	s_mov_b32 s10, 0x7f800001
	s_xor_b64 s[4:5], exec, -1
; %bb.2839:
	s_or_b64 exec, exec, s[8:9]
	s_and_b64 s[4:5], s[4:5], exec
                                        ; implicit-def: $vgpr21
	s_or_saveexec_b64 s[6:7], s[6:7]
	v_mov_b32_e32 v22, s10
	s_xor_b64 exec, exec, s[6:7]
	s_cbranch_execz .LBB36_790
.LBB36_2840:
	v_cmp_ne_u16_e32 vcc, 0, v21
	s_andn2_b64 s[4:5], s[4:5], exec
	s_and_b64 s[8:9], vcc, exec
	v_mov_b32_e32 v22, 0
	s_or_b64 s[4:5], s[4:5], s[8:9]
	s_or_b64 exec, exec, s[6:7]
	s_and_saveexec_b64 s[6:7], s[4:5]
	s_cbranch_execnz .LBB36_791
	s_branch .LBB36_792
.LBB36_2841:
	s_movk_i32 s4, 0x80
	v_cmp_eq_u16_sdwa s[12:13], v14, s4 src0_sel:BYTE_3 src1_sel:DWORD
	s_mov_b64 s[4:5], -1
                                        ; implicit-def: $sgpr10
	s_and_saveexec_b64 s[8:9], s[12:13]
; %bb.2842:
	s_mov_b32 s10, 0x7f800001
	s_xor_b64 s[4:5], exec, -1
; %bb.2843:
	s_or_b64 exec, exec, s[8:9]
	s_and_b64 s[4:5], s[4:5], exec
	s_or_saveexec_b64 s[6:7], s[6:7]
	v_mov_b32_e32 v20, s10
	s_xor_b64 exec, exec, s[6:7]
	s_cbranch_execz .LBB36_794
.LBB36_2844:
	v_mov_b32_e32 v20, 0
	v_cmp_ne_u16_sdwa s[8:9], v14, v20 src0_sel:BYTE_3 src1_sel:DWORD
	s_andn2_b64 s[4:5], s[4:5], exec
	s_and_b64 s[8:9], s[8:9], exec
	s_or_b64 s[4:5], s[4:5], s[8:9]
	s_or_b64 exec, exec, s[6:7]
	s_and_saveexec_b64 s[6:7], s[4:5]
	s_cbranch_execnz .LBB36_795
	s_branch .LBB36_796
.LBB36_2845:
	s_movk_i32 s4, 0x80
	v_cmp_eq_u16_sdwa s[12:13], v10, s4 src0_sel:BYTE_3 src1_sel:DWORD
	s_mov_b64 s[4:5], -1
                                        ; implicit-def: $sgpr10
	s_and_saveexec_b64 s[8:9], s[12:13]
; %bb.2846:
	s_mov_b32 s10, 0x7f800001
	s_xor_b64 s[4:5], exec, -1
; %bb.2847:
	s_or_b64 exec, exec, s[8:9]
	s_and_b64 s[4:5], s[4:5], exec
	s_or_saveexec_b64 s[6:7], s[6:7]
	v_mov_b32_e32 v14, s10
	s_xor_b64 exec, exec, s[6:7]
	s_cbranch_execz .LBB36_798
.LBB36_2848:
	v_mov_b32_e32 v14, 0
	v_cmp_ne_u16_sdwa s[8:9], v10, v14 src0_sel:BYTE_3 src1_sel:DWORD
	s_andn2_b64 s[4:5], s[4:5], exec
	s_and_b64 s[8:9], s[8:9], exec
	s_or_b64 s[4:5], s[4:5], s[8:9]
	s_or_b64 exec, exec, s[6:7]
	s_and_saveexec_b64 s[6:7], s[4:5]
	s_cbranch_execnz .LBB36_799
	s_branch .LBB36_800
.LBB36_2849:
	s_movk_i32 s4, 0x80
	v_cmp_eq_u16_sdwa s[12:13], v15, s4 src0_sel:BYTE_0 src1_sel:DWORD
	s_mov_b64 s[4:5], -1
                                        ; implicit-def: $sgpr10
	s_and_saveexec_b64 s[8:9], s[12:13]
; %bb.2850:
	s_mov_b32 s10, 0x7f800001
	s_xor_b64 s[4:5], exec, -1
; %bb.2851:
	s_or_b64 exec, exec, s[8:9]
	s_and_b64 s[4:5], s[4:5], exec
	s_or_saveexec_b64 s[6:7], s[6:7]
	v_mov_b32_e32 v10, s10
	s_xor_b64 exec, exec, s[6:7]
	s_cbranch_execz .LBB36_802
.LBB36_2852:
	v_mov_b32_e32 v10, 0
	v_cmp_ne_u16_sdwa s[8:9], v15, v10 src0_sel:BYTE_0 src1_sel:DWORD
	s_andn2_b64 s[4:5], s[4:5], exec
	s_and_b64 s[8:9], s[8:9], exec
	s_or_b64 s[4:5], s[4:5], s[8:9]
	s_or_b64 exec, exec, s[6:7]
	s_and_saveexec_b64 s[6:7], s[4:5]
	s_cbranch_execnz .LBB36_803
	s_branch .LBB36_804
.LBB36_2853:
	s_movk_i32 s4, 0x80
	v_cmp_eq_u16_sdwa s[12:13], v11, s4 src0_sel:BYTE_0 src1_sel:DWORD
	s_mov_b64 s[4:5], -1
                                        ; implicit-def: $sgpr10
	s_and_saveexec_b64 s[8:9], s[12:13]
; %bb.2854:
	s_mov_b32 s10, 0x7f800001
	s_xor_b64 s[4:5], exec, -1
; %bb.2855:
	s_or_b64 exec, exec, s[8:9]
	s_and_b64 s[4:5], s[4:5], exec
	s_or_saveexec_b64 s[6:7], s[6:7]
	v_mov_b32_e32 v14, s10
	s_xor_b64 exec, exec, s[6:7]
	s_cbranch_execz .LBB36_806
.LBB36_2856:
	v_mov_b32_e32 v14, 0
	v_cmp_ne_u16_sdwa s[8:9], v11, v14 src0_sel:BYTE_0 src1_sel:DWORD
	s_andn2_b64 s[4:5], s[4:5], exec
	s_and_b64 s[8:9], s[8:9], exec
	s_or_b64 s[4:5], s[4:5], s[8:9]
	s_or_b64 exec, exec, s[6:7]
	s_and_saveexec_b64 s[6:7], s[4:5]
	s_cbranch_execnz .LBB36_807
	s_branch .LBB36_808
.LBB36_2857:
	s_movk_i32 s4, 0x80
	v_cmp_eq_u16_sdwa s[12:13], v14, s4 src0_sel:BYTE_0 src1_sel:DWORD
	s_mov_b64 s[4:5], -1
                                        ; implicit-def: $sgpr10
	s_and_saveexec_b64 s[8:9], s[12:13]
; %bb.2858:
	s_mov_b32 s10, 0x7f800001
	s_xor_b64 s[4:5], exec, -1
; %bb.2859:
	s_or_b64 exec, exec, s[8:9]
	s_and_b64 s[4:5], s[4:5], exec
	s_or_saveexec_b64 s[6:7], s[6:7]
	v_mov_b32_e32 v10, s10
	s_xor_b64 exec, exec, s[6:7]
	s_cbranch_execz .LBB36_810
.LBB36_2860:
	v_mov_b32_e32 v10, 0
	v_cmp_ne_u16_sdwa s[8:9], v14, v10 src0_sel:BYTE_0 src1_sel:DWORD
	s_andn2_b64 s[4:5], s[4:5], exec
	s_and_b64 s[8:9], s[8:9], exec
	s_or_b64 s[4:5], s[4:5], s[8:9]
	s_or_b64 exec, exec, s[6:7]
	s_and_saveexec_b64 s[6:7], s[4:5]
	s_cbranch_execnz .LBB36_811
	s_branch .LBB36_812
.LBB36_2861:
	s_movk_i32 s4, 0x80
	v_cmp_eq_u16_sdwa s[12:13], v14, s4 src0_sel:BYTE_0 src1_sel:DWORD
	s_mov_b64 s[4:5], -1
                                        ; implicit-def: $sgpr10
	s_and_saveexec_b64 s[8:9], s[12:13]
; %bb.2862:
	s_mov_b32 s10, 0x7f800001
	s_xor_b64 s[4:5], exec, -1
; %bb.2863:
	s_or_b64 exec, exec, s[8:9]
	s_and_b64 s[4:5], s[4:5], exec
	s_or_saveexec_b64 s[6:7], s[6:7]
	v_mov_b32_e32 v20, s10
	s_xor_b64 exec, exec, s[6:7]
	s_cbranch_execz .LBB36_814
.LBB36_2864:
	v_mov_b32_e32 v20, 0
	v_cmp_ne_u16_sdwa s[8:9], v14, v20 src0_sel:BYTE_0 src1_sel:DWORD
	s_andn2_b64 s[4:5], s[4:5], exec
	s_and_b64 s[8:9], s[8:9], exec
	s_or_b64 s[4:5], s[4:5], s[8:9]
	s_or_b64 exec, exec, s[6:7]
	s_and_saveexec_b64 s[6:7], s[4:5]
	s_cbranch_execnz .LBB36_815
	s_branch .LBB36_816
.LBB36_2865:
	s_movk_i32 s4, 0x80
	v_cmp_eq_u16_e32 vcc, s4, v14
	s_mov_b64 s[4:5], -1
                                        ; implicit-def: $sgpr10
	s_and_saveexec_b64 s[8:9], vcc
; %bb.2866:
	s_mov_b32 s10, 0x7f800001
	s_xor_b64 s[4:5], exec, -1
; %bb.2867:
	s_or_b64 exec, exec, s[8:9]
	s_and_b64 s[4:5], s[4:5], exec
                                        ; implicit-def: $vgpr14
	s_or_saveexec_b64 s[6:7], s[6:7]
	v_mov_b32_e32 v10, s10
	s_xor_b64 exec, exec, s[6:7]
	s_cbranch_execz .LBB36_818
.LBB36_2868:
	v_cmp_ne_u16_e32 vcc, 0, v14
	s_andn2_b64 s[4:5], s[4:5], exec
	s_and_b64 s[8:9], vcc, exec
	v_mov_b32_e32 v10, 0
	s_or_b64 s[4:5], s[4:5], s[8:9]
	s_or_b64 exec, exec, s[6:7]
	s_and_saveexec_b64 s[6:7], s[4:5]
	s_cbranch_execnz .LBB36_819
	s_branch .LBB36_820
.LBB36_2869:
	s_movk_i32 s4, 0x80
	v_cmp_eq_u16_e32 vcc, s4, v14
	s_mov_b64 s[4:5], -1
                                        ; implicit-def: $sgpr10
	s_and_saveexec_b64 s[8:9], vcc
; %bb.2870:
	s_mov_b32 s10, 0x7f800001
	s_xor_b64 s[4:5], exec, -1
; %bb.2871:
	s_or_b64 exec, exec, s[8:9]
	s_and_b64 s[4:5], s[4:5], exec
                                        ; implicit-def: $vgpr14
	s_or_saveexec_b64 s[6:7], s[6:7]
	v_mov_b32_e32 v20, s10
	s_xor_b64 exec, exec, s[6:7]
	s_cbranch_execz .LBB36_822
.LBB36_2872:
	v_cmp_ne_u16_e32 vcc, 0, v14
	s_andn2_b64 s[4:5], s[4:5], exec
	s_and_b64 s[8:9], vcc, exec
	v_mov_b32_e32 v20, 0
	s_or_b64 s[4:5], s[4:5], s[8:9]
	s_or_b64 exec, exec, s[6:7]
	s_and_saveexec_b64 s[6:7], s[4:5]
	s_cbranch_execnz .LBB36_823
	s_branch .LBB36_824
.LBB36_2873:
	s_movk_i32 s4, 0x80
	v_cmp_eq_u16_sdwa s[12:13], v15, s4 src0_sel:BYTE_3 src1_sel:DWORD
	s_mov_b64 s[4:5], -1
                                        ; implicit-def: $sgpr10
	s_and_saveexec_b64 s[8:9], s[12:13]
; %bb.2874:
	s_mov_b32 s10, 0x7f800001
	s_xor_b64 s[4:5], exec, -1
; %bb.2875:
	s_or_b64 exec, exec, s[8:9]
	s_and_b64 s[4:5], s[4:5], exec
	s_or_saveexec_b64 s[6:7], s[6:7]
	v_mov_b32_e32 v10, s10
	s_xor_b64 exec, exec, s[6:7]
	s_cbranch_execz .LBB36_826
.LBB36_2876:
	v_mov_b32_e32 v10, 0
	v_cmp_ne_u16_sdwa s[8:9], v15, v10 src0_sel:BYTE_3 src1_sel:DWORD
	s_andn2_b64 s[4:5], s[4:5], exec
	s_and_b64 s[8:9], s[8:9], exec
	s_or_b64 s[4:5], s[4:5], s[8:9]
	s_or_b64 exec, exec, s[6:7]
	s_and_saveexec_b64 s[6:7], s[4:5]
	s_cbranch_execnz .LBB36_827
	s_branch .LBB36_828
.LBB36_2877:
	s_movk_i32 s4, 0x80
	v_cmp_eq_u16_sdwa s[12:13], v11, s4 src0_sel:BYTE_3 src1_sel:DWORD
	s_mov_b64 s[4:5], -1
                                        ; implicit-def: $sgpr10
	s_and_saveexec_b64 s[8:9], s[12:13]
; %bb.2878:
	s_mov_b32 s10, 0x7f800001
	s_xor_b64 s[4:5], exec, -1
; %bb.2879:
	s_or_b64 exec, exec, s[8:9]
	s_and_b64 s[4:5], s[4:5], exec
	s_or_saveexec_b64 s[6:7], s[6:7]
	v_mov_b32_e32 v14, s10
	s_xor_b64 exec, exec, s[6:7]
	s_cbranch_execz .LBB36_830
.LBB36_2880:
	v_mov_b32_e32 v14, 0
	v_cmp_ne_u16_sdwa s[8:9], v11, v14 src0_sel:BYTE_3 src1_sel:DWORD
	s_andn2_b64 s[4:5], s[4:5], exec
	s_and_b64 s[8:9], s[8:9], exec
	s_or_b64 s[4:5], s[4:5], s[8:9]
	s_or_b64 exec, exec, s[6:7]
	s_and_saveexec_b64 s[6:7], s[4:5]
	s_cbranch_execnz .LBB36_831
	s_branch .LBB36_832
.LBB36_2881:
	s_movk_i32 s4, 0x80
	v_cmp_eq_u16_sdwa s[12:13], v16, s4 src0_sel:BYTE_0 src1_sel:DWORD
	s_mov_b64 s[4:5], -1
                                        ; implicit-def: $sgpr10
	s_and_saveexec_b64 s[8:9], s[12:13]
; %bb.2882:
	s_mov_b32 s10, 0x7f800001
	s_xor_b64 s[4:5], exec, -1
; %bb.2883:
	s_or_b64 exec, exec, s[8:9]
	s_and_b64 s[4:5], s[4:5], exec
	s_or_saveexec_b64 s[6:7], s[6:7]
	v_mov_b32_e32 v10, s10
	s_xor_b64 exec, exec, s[6:7]
	s_cbranch_execz .LBB36_834
.LBB36_2884:
	v_mov_b32_e32 v10, 0
	v_cmp_ne_u16_sdwa s[8:9], v16, v10 src0_sel:BYTE_0 src1_sel:DWORD
	s_andn2_b64 s[4:5], s[4:5], exec
	s_and_b64 s[8:9], s[8:9], exec
	s_or_b64 s[4:5], s[4:5], s[8:9]
	s_or_b64 exec, exec, s[6:7]
	s_and_saveexec_b64 s[6:7], s[4:5]
	s_cbranch_execnz .LBB36_835
	s_branch .LBB36_836
.LBB36_2885:
	s_movk_i32 s4, 0x80
	v_cmp_eq_u16_sdwa s[12:13], v12, s4 src0_sel:BYTE_0 src1_sel:DWORD
	s_mov_b64 s[4:5], -1
                                        ; implicit-def: $sgpr10
	s_and_saveexec_b64 s[8:9], s[12:13]
; %bb.2886:
	s_mov_b32 s10, 0x7f800001
	s_xor_b64 s[4:5], exec, -1
; %bb.2887:
	s_or_b64 exec, exec, s[8:9]
	s_and_b64 s[4:5], s[4:5], exec
	s_or_saveexec_b64 s[6:7], s[6:7]
	v_mov_b32_e32 v11, s10
	s_xor_b64 exec, exec, s[6:7]
	s_cbranch_execz .LBB36_838
.LBB36_2888:
	v_mov_b32_e32 v11, 0
	v_cmp_ne_u16_sdwa s[8:9], v12, v11 src0_sel:BYTE_0 src1_sel:DWORD
	s_andn2_b64 s[4:5], s[4:5], exec
	s_and_b64 s[8:9], s[8:9], exec
	s_or_b64 s[4:5], s[4:5], s[8:9]
	s_or_b64 exec, exec, s[6:7]
	s_and_saveexec_b64 s[6:7], s[4:5]
	s_cbranch_execnz .LBB36_839
	s_branch .LBB36_840
.LBB36_2889:
	s_movk_i32 s4, 0x80
	v_cmp_eq_u16_sdwa s[12:13], v11, s4 src0_sel:BYTE_0 src1_sel:DWORD
	s_mov_b64 s[4:5], -1
                                        ; implicit-def: $sgpr10
	s_and_saveexec_b64 s[8:9], s[12:13]
; %bb.2890:
	s_mov_b32 s10, 0x7f800001
	s_xor_b64 s[4:5], exec, -1
; %bb.2891:
	s_or_b64 exec, exec, s[8:9]
	s_and_b64 s[4:5], s[4:5], exec
	s_or_saveexec_b64 s[6:7], s[6:7]
	v_mov_b32_e32 v10, s10
	s_xor_b64 exec, exec, s[6:7]
	s_cbranch_execz .LBB36_842
.LBB36_2892:
	v_mov_b32_e32 v10, 0
	v_cmp_ne_u16_sdwa s[8:9], v11, v10 src0_sel:BYTE_0 src1_sel:DWORD
	s_andn2_b64 s[4:5], s[4:5], exec
	s_and_b64 s[8:9], s[8:9], exec
	s_or_b64 s[4:5], s[4:5], s[8:9]
	s_or_b64 exec, exec, s[6:7]
	s_and_saveexec_b64 s[6:7], s[4:5]
	s_cbranch_execnz .LBB36_843
	s_branch .LBB36_844
.LBB36_2893:
	s_movk_i32 s4, 0x80
	v_cmp_eq_u16_sdwa s[12:13], v11, s4 src0_sel:BYTE_0 src1_sel:DWORD
	s_mov_b64 s[4:5], -1
                                        ; implicit-def: $sgpr10
	s_and_saveexec_b64 s[8:9], s[12:13]
; %bb.2894:
	s_mov_b32 s10, 0x7f800001
	s_xor_b64 s[4:5], exec, -1
; %bb.2895:
	s_or_b64 exec, exec, s[8:9]
	s_and_b64 s[4:5], s[4:5], exec
	s_or_saveexec_b64 s[6:7], s[6:7]
	v_mov_b32_e32 v14, s10
	s_xor_b64 exec, exec, s[6:7]
	s_cbranch_execz .LBB36_846
.LBB36_2896:
	v_mov_b32_e32 v14, 0
	v_cmp_ne_u16_sdwa s[8:9], v11, v14 src0_sel:BYTE_0 src1_sel:DWORD
	s_andn2_b64 s[4:5], s[4:5], exec
	s_and_b64 s[8:9], s[8:9], exec
	s_or_b64 s[4:5], s[4:5], s[8:9]
	s_or_b64 exec, exec, s[6:7]
	s_and_saveexec_b64 s[6:7], s[4:5]
	s_cbranch_execnz .LBB36_847
	s_branch .LBB36_848
.LBB36_2897:
	s_movk_i32 s4, 0x80
	v_cmp_eq_u16_e32 vcc, s4, v11
	s_mov_b64 s[4:5], -1
                                        ; implicit-def: $sgpr10
	s_and_saveexec_b64 s[8:9], vcc
; %bb.2898:
	s_mov_b32 s10, 0x7f800001
	s_xor_b64 s[4:5], exec, -1
; %bb.2899:
	s_or_b64 exec, exec, s[8:9]
	s_and_b64 s[4:5], s[4:5], exec
                                        ; implicit-def: $vgpr11
	s_or_saveexec_b64 s[6:7], s[6:7]
	v_mov_b32_e32 v10, s10
	s_xor_b64 exec, exec, s[6:7]
	s_cbranch_execz .LBB36_850
.LBB36_2900:
	v_cmp_ne_u16_e32 vcc, 0, v11
	s_andn2_b64 s[4:5], s[4:5], exec
	s_and_b64 s[8:9], vcc, exec
	v_mov_b32_e32 v10, 0
	s_or_b64 s[4:5], s[4:5], s[8:9]
	s_or_b64 exec, exec, s[6:7]
	s_and_saveexec_b64 s[6:7], s[4:5]
	s_cbranch_execnz .LBB36_851
	s_branch .LBB36_852
.LBB36_2901:
	s_movk_i32 s4, 0x80
	v_cmp_eq_u16_e32 vcc, s4, v11
	s_mov_b64 s[4:5], -1
                                        ; implicit-def: $sgpr10
	s_and_saveexec_b64 s[8:9], vcc
; %bb.2902:
	s_mov_b32 s10, 0x7f800001
	s_xor_b64 s[4:5], exec, -1
; %bb.2903:
	s_or_b64 exec, exec, s[8:9]
	s_and_b64 s[4:5], s[4:5], exec
                                        ; implicit-def: $vgpr11
	s_or_saveexec_b64 s[6:7], s[6:7]
	v_mov_b32_e32 v14, s10
	s_xor_b64 exec, exec, s[6:7]
	s_cbranch_execz .LBB36_854
.LBB36_2904:
	v_cmp_ne_u16_e32 vcc, 0, v11
	s_andn2_b64 s[4:5], s[4:5], exec
	s_and_b64 s[8:9], vcc, exec
	v_mov_b32_e32 v14, 0
	s_or_b64 s[4:5], s[4:5], s[8:9]
	s_or_b64 exec, exec, s[6:7]
	s_and_saveexec_b64 s[6:7], s[4:5]
	s_cbranch_execnz .LBB36_855
	s_branch .LBB36_856
.LBB36_2905:
	s_movk_i32 s4, 0x80
	v_cmp_eq_u16_sdwa s[12:13], v16, s4 src0_sel:BYTE_3 src1_sel:DWORD
	s_mov_b64 s[4:5], -1
                                        ; implicit-def: $sgpr10
	s_and_saveexec_b64 s[8:9], s[12:13]
; %bb.2906:
	s_mov_b32 s10, 0x7f800001
	s_xor_b64 s[4:5], exec, -1
; %bb.2907:
	s_or_b64 exec, exec, s[8:9]
	s_and_b64 s[4:5], s[4:5], exec
	s_or_saveexec_b64 s[6:7], s[6:7]
	v_mov_b32_e32 v10, s10
	s_xor_b64 exec, exec, s[6:7]
	s_cbranch_execz .LBB36_858
.LBB36_2908:
	v_mov_b32_e32 v10, 0
	v_cmp_ne_u16_sdwa s[8:9], v16, v10 src0_sel:BYTE_3 src1_sel:DWORD
	s_andn2_b64 s[4:5], s[4:5], exec
	s_and_b64 s[8:9], s[8:9], exec
	s_or_b64 s[4:5], s[4:5], s[8:9]
	s_or_b64 exec, exec, s[6:7]
	s_and_saveexec_b64 s[6:7], s[4:5]
	s_cbranch_execnz .LBB36_859
	s_branch .LBB36_860
.LBB36_2909:
	s_movk_i32 s4, 0x80
	v_cmp_eq_u16_sdwa s[12:13], v12, s4 src0_sel:BYTE_3 src1_sel:DWORD
	s_mov_b64 s[4:5], -1
                                        ; implicit-def: $sgpr10
	s_and_saveexec_b64 s[8:9], s[12:13]
; %bb.2910:
	s_mov_b32 s10, 0x7f800001
	s_xor_b64 s[4:5], exec, -1
; %bb.2911:
	s_or_b64 exec, exec, s[8:9]
	s_and_b64 s[4:5], s[4:5], exec
	s_or_saveexec_b64 s[6:7], s[6:7]
	v_mov_b32_e32 v11, s10
	s_xor_b64 exec, exec, s[6:7]
	s_cbranch_execz .LBB36_862
.LBB36_2912:
	v_mov_b32_e32 v11, 0
	v_cmp_ne_u16_sdwa s[8:9], v12, v11 src0_sel:BYTE_3 src1_sel:DWORD
	s_andn2_b64 s[4:5], s[4:5], exec
	s_and_b64 s[8:9], s[8:9], exec
	s_or_b64 s[4:5], s[4:5], s[8:9]
	s_or_b64 exec, exec, s[6:7]
	s_and_saveexec_b64 s[6:7], s[4:5]
	s_cbranch_execnz .LBB36_863
	s_branch .LBB36_864
.LBB36_2913:
	s_movk_i32 s4, 0x80
	v_cmp_eq_u16_sdwa s[12:13], v17, s4 src0_sel:BYTE_0 src1_sel:DWORD
	s_mov_b64 s[4:5], -1
                                        ; implicit-def: $sgpr10
	s_and_saveexec_b64 s[8:9], s[12:13]
; %bb.2914:
	s_mov_b32 s10, 0x7f800001
	s_xor_b64 s[4:5], exec, -1
; %bb.2915:
	s_or_b64 exec, exec, s[8:9]
	s_and_b64 s[4:5], s[4:5], exec
	s_or_saveexec_b64 s[6:7], s[6:7]
	v_mov_b32_e32 v10, s10
	s_xor_b64 exec, exec, s[6:7]
	s_cbranch_execz .LBB36_866
.LBB36_2916:
	v_mov_b32_e32 v10, 0
	v_cmp_ne_u16_sdwa s[8:9], v17, v10 src0_sel:BYTE_0 src1_sel:DWORD
	s_andn2_b64 s[4:5], s[4:5], exec
	s_and_b64 s[8:9], s[8:9], exec
	s_or_b64 s[4:5], s[4:5], s[8:9]
	s_or_b64 exec, exec, s[6:7]
	s_and_saveexec_b64 s[6:7], s[4:5]
	s_cbranch_execnz .LBB36_867
	s_branch .LBB36_868
.LBB36_2917:
	s_movk_i32 s4, 0x80
	v_cmp_eq_u16_sdwa s[12:13], v13, s4 src0_sel:BYTE_0 src1_sel:DWORD
	s_mov_b64 s[4:5], -1
                                        ; implicit-def: $sgpr10
	s_and_saveexec_b64 s[8:9], s[12:13]
; %bb.2918:
	s_mov_b32 s10, 0x7f800001
	s_xor_b64 s[4:5], exec, -1
; %bb.2919:
	s_or_b64 exec, exec, s[8:9]
	s_and_b64 s[4:5], s[4:5], exec
	s_or_saveexec_b64 s[6:7], s[6:7]
	v_mov_b32_e32 v11, s10
	s_xor_b64 exec, exec, s[6:7]
	s_cbranch_execz .LBB36_870
.LBB36_2920:
	v_mov_b32_e32 v11, 0
	v_cmp_ne_u16_sdwa s[8:9], v13, v11 src0_sel:BYTE_0 src1_sel:DWORD
	s_andn2_b64 s[4:5], s[4:5], exec
	s_and_b64 s[8:9], s[8:9], exec
	s_or_b64 s[4:5], s[4:5], s[8:9]
	s_or_b64 exec, exec, s[6:7]
	s_and_saveexec_b64 s[6:7], s[4:5]
	s_cbranch_execnz .LBB36_871
	s_branch .LBB36_872
.LBB36_2921:
	s_movk_i32 s4, 0x80
	v_cmp_eq_u16_sdwa s[12:13], v11, s4 src0_sel:BYTE_0 src1_sel:DWORD
	s_mov_b64 s[4:5], -1
                                        ; implicit-def: $sgpr10
	s_and_saveexec_b64 s[8:9], s[12:13]
; %bb.2922:
	s_mov_b32 s10, 0x7f800001
	s_xor_b64 s[4:5], exec, -1
; %bb.2923:
	s_or_b64 exec, exec, s[8:9]
	s_and_b64 s[4:5], s[4:5], exec
	s_or_saveexec_b64 s[6:7], s[6:7]
	v_mov_b32_e32 v10, s10
	s_xor_b64 exec, exec, s[6:7]
	s_cbranch_execz .LBB36_874
.LBB36_2924:
	v_mov_b32_e32 v10, 0
	v_cmp_ne_u16_sdwa s[8:9], v11, v10 src0_sel:BYTE_0 src1_sel:DWORD
	s_andn2_b64 s[4:5], s[4:5], exec
	s_and_b64 s[8:9], s[8:9], exec
	s_or_b64 s[4:5], s[4:5], s[8:9]
	s_or_b64 exec, exec, s[6:7]
	s_and_saveexec_b64 s[6:7], s[4:5]
	s_cbranch_execnz .LBB36_875
	s_branch .LBB36_876
.LBB36_2925:
	s_movk_i32 s4, 0x80
	v_cmp_eq_u16_sdwa s[12:13], v11, s4 src0_sel:BYTE_0 src1_sel:DWORD
	s_mov_b64 s[4:5], -1
                                        ; implicit-def: $sgpr10
	s_and_saveexec_b64 s[8:9], s[12:13]
; %bb.2926:
	s_mov_b32 s10, 0x7f800001
	s_xor_b64 s[4:5], exec, -1
; %bb.2927:
	s_or_b64 exec, exec, s[8:9]
	s_and_b64 s[4:5], s[4:5], exec
	s_or_saveexec_b64 s[6:7], s[6:7]
	v_mov_b32_e32 v12, s10
	s_xor_b64 exec, exec, s[6:7]
	s_cbranch_execz .LBB36_878
.LBB36_2928:
	v_mov_b32_e32 v12, 0
	v_cmp_ne_u16_sdwa s[8:9], v11, v12 src0_sel:BYTE_0 src1_sel:DWORD
	s_andn2_b64 s[4:5], s[4:5], exec
	s_and_b64 s[8:9], s[8:9], exec
	s_or_b64 s[4:5], s[4:5], s[8:9]
	s_or_b64 exec, exec, s[6:7]
	s_and_saveexec_b64 s[6:7], s[4:5]
	s_cbranch_execnz .LBB36_879
	s_branch .LBB36_880
.LBB36_2929:
	s_movk_i32 s4, 0x80
	v_cmp_eq_u16_e32 vcc, s4, v11
	s_mov_b64 s[4:5], -1
                                        ; implicit-def: $sgpr10
	s_and_saveexec_b64 s[8:9], vcc
; %bb.2930:
	s_mov_b32 s10, 0x7f800001
	s_xor_b64 s[4:5], exec, -1
; %bb.2931:
	s_or_b64 exec, exec, s[8:9]
	s_and_b64 s[4:5], s[4:5], exec
                                        ; implicit-def: $vgpr11
	s_or_saveexec_b64 s[6:7], s[6:7]
	v_mov_b32_e32 v10, s10
	s_xor_b64 exec, exec, s[6:7]
	s_cbranch_execz .LBB36_882
.LBB36_2932:
	v_cmp_ne_u16_e32 vcc, 0, v11
	s_andn2_b64 s[4:5], s[4:5], exec
	s_and_b64 s[8:9], vcc, exec
	v_mov_b32_e32 v10, 0
	s_or_b64 s[4:5], s[4:5], s[8:9]
	s_or_b64 exec, exec, s[6:7]
	s_and_saveexec_b64 s[6:7], s[4:5]
	s_cbranch_execnz .LBB36_883
	s_branch .LBB36_884
.LBB36_2933:
	s_movk_i32 s4, 0x80
	v_cmp_eq_u16_e32 vcc, s4, v11
	s_mov_b64 s[4:5], -1
                                        ; implicit-def: $sgpr10
	s_and_saveexec_b64 s[8:9], vcc
; %bb.2934:
	s_mov_b32 s10, 0x7f800001
	s_xor_b64 s[4:5], exec, -1
; %bb.2935:
	s_or_b64 exec, exec, s[8:9]
	s_and_b64 s[4:5], s[4:5], exec
                                        ; implicit-def: $vgpr11
	s_or_saveexec_b64 s[6:7], s[6:7]
	v_mov_b32_e32 v12, s10
	s_xor_b64 exec, exec, s[6:7]
	s_cbranch_execz .LBB36_886
.LBB36_2936:
	v_cmp_ne_u16_e32 vcc, 0, v11
	s_andn2_b64 s[4:5], s[4:5], exec
	s_and_b64 s[8:9], vcc, exec
	v_mov_b32_e32 v12, 0
	s_or_b64 s[4:5], s[4:5], s[8:9]
	s_or_b64 exec, exec, s[6:7]
	s_and_saveexec_b64 s[6:7], s[4:5]
	s_cbranch_execnz .LBB36_887
	s_branch .LBB36_888
.LBB36_2937:
	s_movk_i32 s4, 0x80
	v_cmp_eq_u16_sdwa s[12:13], v17, s4 src0_sel:BYTE_3 src1_sel:DWORD
	s_mov_b64 s[4:5], -1
                                        ; implicit-def: $sgpr10
	s_and_saveexec_b64 s[8:9], s[12:13]
; %bb.2938:
	s_mov_b32 s10, 0x7f800001
	s_xor_b64 s[4:5], exec, -1
; %bb.2939:
	s_or_b64 exec, exec, s[8:9]
	s_and_b64 s[4:5], s[4:5], exec
	s_or_saveexec_b64 s[6:7], s[6:7]
	v_mov_b32_e32 v10, s10
	s_xor_b64 exec, exec, s[6:7]
	s_cbranch_execz .LBB36_890
.LBB36_2940:
	v_mov_b32_e32 v10, 0
	v_cmp_ne_u16_sdwa s[8:9], v17, v10 src0_sel:BYTE_3 src1_sel:DWORD
	s_andn2_b64 s[4:5], s[4:5], exec
	s_and_b64 s[8:9], s[8:9], exec
	s_or_b64 s[4:5], s[4:5], s[8:9]
	s_or_b64 exec, exec, s[6:7]
	s_and_saveexec_b64 s[6:7], s[4:5]
	s_cbranch_execnz .LBB36_891
	s_branch .LBB36_892
.LBB36_2941:
	s_movk_i32 s4, 0x80
	v_cmp_eq_u16_sdwa s[12:13], v13, s4 src0_sel:BYTE_3 src1_sel:DWORD
	s_mov_b64 s[4:5], -1
                                        ; implicit-def: $sgpr10
	s_and_saveexec_b64 s[8:9], s[12:13]
; %bb.2942:
	s_mov_b32 s10, 0x7f800001
	s_xor_b64 s[4:5], exec, -1
; %bb.2943:
	s_or_b64 exec, exec, s[8:9]
	s_and_b64 s[4:5], s[4:5], exec
	s_or_saveexec_b64 s[6:7], s[6:7]
	v_mov_b32_e32 v11, s10
	s_xor_b64 exec, exec, s[6:7]
	s_cbranch_execz .LBB36_894
.LBB36_2944:
	v_mov_b32_e32 v11, 0
	v_cmp_ne_u16_sdwa s[8:9], v13, v11 src0_sel:BYTE_3 src1_sel:DWORD
	s_andn2_b64 s[4:5], s[4:5], exec
	s_and_b64 s[8:9], s[8:9], exec
	s_or_b64 s[4:5], s[4:5], s[8:9]
	s_or_b64 exec, exec, s[6:7]
	s_and_saveexec_b64 s[6:7], s[4:5]
	s_cbranch_execnz .LBB36_895
	s_branch .LBB36_896
.LBB36_2945:
	s_movk_i32 s4, 0x80
	v_cmp_eq_u16_sdwa s[12:13], v6, s4 src0_sel:BYTE_0 src1_sel:DWORD
	s_mov_b64 s[4:5], -1
                                        ; implicit-def: $sgpr10
	s_and_saveexec_b64 s[8:9], s[12:13]
; %bb.2946:
	s_mov_b32 s10, 0x7f800001
	s_xor_b64 s[4:5], exec, -1
; %bb.2947:
	s_or_b64 exec, exec, s[8:9]
	s_and_b64 s[4:5], s[4:5], exec
	s_or_saveexec_b64 s[6:7], s[6:7]
	v_mov_b32_e32 v10, s10
	s_xor_b64 exec, exec, s[6:7]
	s_cbranch_execz .LBB36_898
.LBB36_2948:
	v_mov_b32_e32 v10, 0
	v_cmp_ne_u16_sdwa s[8:9], v6, v10 src0_sel:BYTE_0 src1_sel:DWORD
	s_andn2_b64 s[4:5], s[4:5], exec
	s_and_b64 s[8:9], s[8:9], exec
	s_or_b64 s[4:5], s[4:5], s[8:9]
	s_or_b64 exec, exec, s[6:7]
	s_and_saveexec_b64 s[6:7], s[4:5]
	s_cbranch_execnz .LBB36_899
	s_branch .LBB36_900
.LBB36_2949:
	s_movk_i32 s4, 0x80
	v_cmp_eq_u16_sdwa s[12:13], v2, s4 src0_sel:BYTE_0 src1_sel:DWORD
	s_mov_b64 s[4:5], -1
                                        ; implicit-def: $sgpr10
	s_and_saveexec_b64 s[8:9], s[12:13]
; %bb.2950:
	s_mov_b32 s10, 0x7f800001
	s_xor_b64 s[4:5], exec, -1
; %bb.2951:
	s_or_b64 exec, exec, s[8:9]
	s_and_b64 s[4:5], s[4:5], exec
	s_or_saveexec_b64 s[6:7], s[6:7]
	v_mov_b32_e32 v11, s10
	s_xor_b64 exec, exec, s[6:7]
	s_cbranch_execz .LBB36_902
.LBB36_2952:
	v_mov_b32_e32 v11, 0
	v_cmp_ne_u16_sdwa s[8:9], v2, v11 src0_sel:BYTE_0 src1_sel:DWORD
	s_andn2_b64 s[4:5], s[4:5], exec
	s_and_b64 s[8:9], s[8:9], exec
	s_or_b64 s[4:5], s[4:5], s[8:9]
	s_or_b64 exec, exec, s[6:7]
	s_and_saveexec_b64 s[6:7], s[4:5]
	s_cbranch_execnz .LBB36_903
	s_branch .LBB36_904
.LBB36_2953:
	s_movk_i32 s4, 0x80
	v_cmp_eq_u16_sdwa s[12:13], v11, s4 src0_sel:BYTE_0 src1_sel:DWORD
	s_mov_b64 s[4:5], -1
                                        ; implicit-def: $sgpr10
	s_and_saveexec_b64 s[8:9], s[12:13]
; %bb.2954:
	s_mov_b32 s10, 0x7f800001
	s_xor_b64 s[4:5], exec, -1
; %bb.2955:
	s_or_b64 exec, exec, s[8:9]
	s_and_b64 s[4:5], s[4:5], exec
	s_or_saveexec_b64 s[6:7], s[6:7]
	v_mov_b32_e32 v10, s10
	s_xor_b64 exec, exec, s[6:7]
	s_cbranch_execz .LBB36_906
.LBB36_2956:
	v_mov_b32_e32 v10, 0
	v_cmp_ne_u16_sdwa s[8:9], v11, v10 src0_sel:BYTE_0 src1_sel:DWORD
	s_andn2_b64 s[4:5], s[4:5], exec
	s_and_b64 s[8:9], s[8:9], exec
	s_or_b64 s[4:5], s[4:5], s[8:9]
	s_or_b64 exec, exec, s[6:7]
	s_and_saveexec_b64 s[6:7], s[4:5]
	s_cbranch_execnz .LBB36_907
	s_branch .LBB36_908
.LBB36_2957:
	s_movk_i32 s4, 0x80
	v_cmp_eq_u16_sdwa s[12:13], v11, s4 src0_sel:BYTE_0 src1_sel:DWORD
	s_mov_b64 s[4:5], -1
                                        ; implicit-def: $sgpr10
	s_and_saveexec_b64 s[8:9], s[12:13]
; %bb.2958:
	s_mov_b32 s10, 0x7f800001
	s_xor_b64 s[4:5], exec, -1
; %bb.2959:
	s_or_b64 exec, exec, s[8:9]
	s_and_b64 s[4:5], s[4:5], exec
	s_or_saveexec_b64 s[6:7], s[6:7]
	v_mov_b32_e32 v12, s10
	s_xor_b64 exec, exec, s[6:7]
	s_cbranch_execz .LBB36_910
.LBB36_2960:
	v_mov_b32_e32 v12, 0
	v_cmp_ne_u16_sdwa s[8:9], v11, v12 src0_sel:BYTE_0 src1_sel:DWORD
	s_andn2_b64 s[4:5], s[4:5], exec
	s_and_b64 s[8:9], s[8:9], exec
	s_or_b64 s[4:5], s[4:5], s[8:9]
	s_or_b64 exec, exec, s[6:7]
	s_and_saveexec_b64 s[6:7], s[4:5]
	s_cbranch_execnz .LBB36_911
	s_branch .LBB36_912
.LBB36_2961:
	s_movk_i32 s4, 0x80
	v_cmp_eq_u16_e32 vcc, s4, v11
	s_mov_b64 s[4:5], -1
                                        ; implicit-def: $sgpr10
	s_and_saveexec_b64 s[8:9], vcc
; %bb.2962:
	s_mov_b32 s10, 0x7f800001
	s_xor_b64 s[4:5], exec, -1
; %bb.2963:
	s_or_b64 exec, exec, s[8:9]
	s_and_b64 s[4:5], s[4:5], exec
                                        ; implicit-def: $vgpr11
	s_or_saveexec_b64 s[6:7], s[6:7]
	v_mov_b32_e32 v10, s10
	s_xor_b64 exec, exec, s[6:7]
	s_cbranch_execz .LBB36_914
.LBB36_2964:
	v_cmp_ne_u16_e32 vcc, 0, v11
	s_andn2_b64 s[4:5], s[4:5], exec
	s_and_b64 s[8:9], vcc, exec
	v_mov_b32_e32 v10, 0
	s_or_b64 s[4:5], s[4:5], s[8:9]
	s_or_b64 exec, exec, s[6:7]
	s_and_saveexec_b64 s[6:7], s[4:5]
	s_cbranch_execnz .LBB36_915
	s_branch .LBB36_916
.LBB36_2965:
	s_movk_i32 s4, 0x80
	v_cmp_eq_u16_e32 vcc, s4, v11
	s_mov_b64 s[4:5], -1
                                        ; implicit-def: $sgpr10
	s_and_saveexec_b64 s[8:9], vcc
; %bb.2966:
	s_mov_b32 s10, 0x7f800001
	s_xor_b64 s[4:5], exec, -1
; %bb.2967:
	s_or_b64 exec, exec, s[8:9]
	s_and_b64 s[4:5], s[4:5], exec
                                        ; implicit-def: $vgpr11
	s_or_saveexec_b64 s[6:7], s[6:7]
	v_mov_b32_e32 v12, s10
	s_xor_b64 exec, exec, s[6:7]
	s_cbranch_execz .LBB36_918
.LBB36_2968:
	v_cmp_ne_u16_e32 vcc, 0, v11
	s_andn2_b64 s[4:5], s[4:5], exec
	s_and_b64 s[8:9], vcc, exec
	v_mov_b32_e32 v12, 0
	s_or_b64 s[4:5], s[4:5], s[8:9]
	s_or_b64 exec, exec, s[6:7]
	s_and_saveexec_b64 s[6:7], s[4:5]
	s_cbranch_execnz .LBB36_919
	s_branch .LBB36_920
.LBB36_2969:
	s_movk_i32 s4, 0x80
	v_cmp_eq_u16_sdwa s[12:13], v6, s4 src0_sel:BYTE_3 src1_sel:DWORD
	s_mov_b64 s[4:5], -1
                                        ; implicit-def: $sgpr10
	s_and_saveexec_b64 s[8:9], s[12:13]
; %bb.2970:
	s_mov_b32 s10, 0x7f800001
	s_xor_b64 s[4:5], exec, -1
; %bb.2971:
	s_or_b64 exec, exec, s[8:9]
	s_and_b64 s[4:5], s[4:5], exec
	s_or_saveexec_b64 s[6:7], s[6:7]
	v_mov_b32_e32 v10, s10
	s_xor_b64 exec, exec, s[6:7]
	s_cbranch_execz .LBB36_922
.LBB36_2972:
	v_mov_b32_e32 v10, 0
	v_cmp_ne_u16_sdwa s[8:9], v6, v10 src0_sel:BYTE_3 src1_sel:DWORD
	s_andn2_b64 s[4:5], s[4:5], exec
	s_and_b64 s[8:9], s[8:9], exec
	s_or_b64 s[4:5], s[4:5], s[8:9]
	s_or_b64 exec, exec, s[6:7]
	s_and_saveexec_b64 s[6:7], s[4:5]
	s_cbranch_execnz .LBB36_923
	s_branch .LBB36_924
.LBB36_2973:
	s_movk_i32 s4, 0x80
	v_cmp_eq_u16_sdwa s[12:13], v2, s4 src0_sel:BYTE_3 src1_sel:DWORD
	s_mov_b64 s[4:5], -1
                                        ; implicit-def: $sgpr10
	s_and_saveexec_b64 s[8:9], s[12:13]
; %bb.2974:
	s_mov_b32 s10, 0x7f800001
	s_xor_b64 s[4:5], exec, -1
; %bb.2975:
	s_or_b64 exec, exec, s[8:9]
	s_and_b64 s[4:5], s[4:5], exec
	s_or_saveexec_b64 s[6:7], s[6:7]
	v_mov_b32_e32 v6, s10
	s_xor_b64 exec, exec, s[6:7]
	s_cbranch_execz .LBB36_926
.LBB36_2976:
	v_mov_b32_e32 v6, 0
	v_cmp_ne_u16_sdwa s[8:9], v2, v6 src0_sel:BYTE_3 src1_sel:DWORD
	s_andn2_b64 s[4:5], s[4:5], exec
	s_and_b64 s[8:9], s[8:9], exec
	s_or_b64 s[4:5], s[4:5], s[8:9]
	s_or_b64 exec, exec, s[6:7]
	s_and_saveexec_b64 s[6:7], s[4:5]
	s_cbranch_execnz .LBB36_927
	s_branch .LBB36_928
.LBB36_2977:
	s_movk_i32 s4, 0x80
	v_cmp_eq_u16_sdwa s[12:13], v7, s4 src0_sel:BYTE_0 src1_sel:DWORD
	s_mov_b64 s[4:5], -1
                                        ; implicit-def: $sgpr10
	s_and_saveexec_b64 s[8:9], s[12:13]
; %bb.2978:
	s_mov_b32 s10, 0x7f800001
	s_xor_b64 s[4:5], exec, -1
; %bb.2979:
	s_or_b64 exec, exec, s[8:9]
	s_and_b64 s[4:5], s[4:5], exec
	s_or_saveexec_b64 s[6:7], s[6:7]
	v_mov_b32_e32 v2, s10
	s_xor_b64 exec, exec, s[6:7]
	s_cbranch_execz .LBB36_930
.LBB36_2980:
	v_mov_b32_e32 v2, 0
	v_cmp_ne_u16_sdwa s[8:9], v7, v2 src0_sel:BYTE_0 src1_sel:DWORD
	s_andn2_b64 s[4:5], s[4:5], exec
	s_and_b64 s[8:9], s[8:9], exec
	s_or_b64 s[4:5], s[4:5], s[8:9]
	s_or_b64 exec, exec, s[6:7]
	s_and_saveexec_b64 s[6:7], s[4:5]
	s_cbranch_execnz .LBB36_931
	s_branch .LBB36_932
.LBB36_2981:
	s_movk_i32 s4, 0x80
	v_cmp_eq_u16_sdwa s[12:13], v3, s4 src0_sel:BYTE_0 src1_sel:DWORD
	s_mov_b64 s[4:5], -1
                                        ; implicit-def: $sgpr10
	s_and_saveexec_b64 s[8:9], s[12:13]
; %bb.2982:
	s_mov_b32 s10, 0x7f800001
	s_xor_b64 s[4:5], exec, -1
; %bb.2983:
	s_or_b64 exec, exec, s[8:9]
	s_and_b64 s[4:5], s[4:5], exec
	s_or_saveexec_b64 s[6:7], s[6:7]
	v_mov_b32_e32 v6, s10
	s_xor_b64 exec, exec, s[6:7]
	s_cbranch_execz .LBB36_934
.LBB36_2984:
	v_mov_b32_e32 v6, 0
	v_cmp_ne_u16_sdwa s[8:9], v3, v6 src0_sel:BYTE_0 src1_sel:DWORD
	s_andn2_b64 s[4:5], s[4:5], exec
	s_and_b64 s[8:9], s[8:9], exec
	s_or_b64 s[4:5], s[4:5], s[8:9]
	s_or_b64 exec, exec, s[6:7]
	s_and_saveexec_b64 s[6:7], s[4:5]
	s_cbranch_execnz .LBB36_935
	s_branch .LBB36_936
.LBB36_2985:
	s_movk_i32 s4, 0x80
	v_cmp_eq_u16_sdwa s[12:13], v6, s4 src0_sel:BYTE_0 src1_sel:DWORD
	s_mov_b64 s[4:5], -1
                                        ; implicit-def: $sgpr10
	s_and_saveexec_b64 s[8:9], s[12:13]
; %bb.2986:
	s_mov_b32 s10, 0x7f800001
	s_xor_b64 s[4:5], exec, -1
; %bb.2987:
	s_or_b64 exec, exec, s[8:9]
	s_and_b64 s[4:5], s[4:5], exec
	s_or_saveexec_b64 s[6:7], s[6:7]
	v_mov_b32_e32 v2, s10
	s_xor_b64 exec, exec, s[6:7]
	s_cbranch_execz .LBB36_938
.LBB36_2988:
	v_mov_b32_e32 v2, 0
	v_cmp_ne_u16_sdwa s[8:9], v6, v2 src0_sel:BYTE_0 src1_sel:DWORD
	s_andn2_b64 s[4:5], s[4:5], exec
	s_and_b64 s[8:9], s[8:9], exec
	s_or_b64 s[4:5], s[4:5], s[8:9]
	s_or_b64 exec, exec, s[6:7]
	s_and_saveexec_b64 s[6:7], s[4:5]
	s_cbranch_execnz .LBB36_939
	s_branch .LBB36_940
.LBB36_2989:
	s_movk_i32 s4, 0x80
	v_cmp_eq_u16_sdwa s[12:13], v6, s4 src0_sel:BYTE_0 src1_sel:DWORD
	s_mov_b64 s[4:5], -1
                                        ; implicit-def: $sgpr10
	s_and_saveexec_b64 s[8:9], s[12:13]
; %bb.2990:
	s_mov_b32 s10, 0x7f800001
	s_xor_b64 s[4:5], exec, -1
; %bb.2991:
	s_or_b64 exec, exec, s[8:9]
	s_and_b64 s[4:5], s[4:5], exec
	s_or_saveexec_b64 s[6:7], s[6:7]
	v_mov_b32_e32 v10, s10
	s_xor_b64 exec, exec, s[6:7]
	s_cbranch_execz .LBB36_942
.LBB36_2992:
	v_mov_b32_e32 v10, 0
	v_cmp_ne_u16_sdwa s[8:9], v6, v10 src0_sel:BYTE_0 src1_sel:DWORD
	s_andn2_b64 s[4:5], s[4:5], exec
	s_and_b64 s[8:9], s[8:9], exec
	s_or_b64 s[4:5], s[4:5], s[8:9]
	s_or_b64 exec, exec, s[6:7]
	s_and_saveexec_b64 s[6:7], s[4:5]
	s_cbranch_execnz .LBB36_943
	s_branch .LBB36_944
.LBB36_2993:
	s_movk_i32 s4, 0x80
	v_cmp_eq_u16_e32 vcc, s4, v6
	s_mov_b64 s[4:5], -1
                                        ; implicit-def: $sgpr10
	s_and_saveexec_b64 s[8:9], vcc
; %bb.2994:
	s_mov_b32 s10, 0x7f800001
	s_xor_b64 s[4:5], exec, -1
; %bb.2995:
	s_or_b64 exec, exec, s[8:9]
	s_and_b64 s[4:5], s[4:5], exec
                                        ; implicit-def: $vgpr6
	s_or_saveexec_b64 s[6:7], s[6:7]
	v_mov_b32_e32 v2, s10
	s_xor_b64 exec, exec, s[6:7]
	s_cbranch_execz .LBB36_946
.LBB36_2996:
	v_cmp_ne_u16_e32 vcc, 0, v6
	s_andn2_b64 s[4:5], s[4:5], exec
	s_and_b64 s[8:9], vcc, exec
	v_mov_b32_e32 v2, 0
	s_or_b64 s[4:5], s[4:5], s[8:9]
	s_or_b64 exec, exec, s[6:7]
	s_and_saveexec_b64 s[6:7], s[4:5]
	s_cbranch_execnz .LBB36_947
	s_branch .LBB36_948
.LBB36_2997:
	s_movk_i32 s4, 0x80
	v_cmp_eq_u16_e32 vcc, s4, v6
	s_mov_b64 s[4:5], -1
                                        ; implicit-def: $sgpr10
	s_and_saveexec_b64 s[8:9], vcc
; %bb.2998:
	s_mov_b32 s10, 0x7f800001
	s_xor_b64 s[4:5], exec, -1
; %bb.2999:
	s_or_b64 exec, exec, s[8:9]
	s_and_b64 s[4:5], s[4:5], exec
                                        ; implicit-def: $vgpr6
	s_or_saveexec_b64 s[6:7], s[6:7]
	v_mov_b32_e32 v10, s10
	s_xor_b64 exec, exec, s[6:7]
	s_cbranch_execz .LBB36_950
.LBB36_3000:
	v_cmp_ne_u16_e32 vcc, 0, v6
	s_andn2_b64 s[4:5], s[4:5], exec
	s_and_b64 s[8:9], vcc, exec
	v_mov_b32_e32 v10, 0
	s_or_b64 s[4:5], s[4:5], s[8:9]
	s_or_b64 exec, exec, s[6:7]
	s_and_saveexec_b64 s[6:7], s[4:5]
	s_cbranch_execnz .LBB36_951
	s_branch .LBB36_952
.LBB36_3001:
	s_movk_i32 s4, 0x80
	v_cmp_eq_u16_sdwa s[12:13], v7, s4 src0_sel:BYTE_3 src1_sel:DWORD
	s_mov_b64 s[4:5], -1
                                        ; implicit-def: $sgpr10
	s_and_saveexec_b64 s[8:9], s[12:13]
; %bb.3002:
	s_mov_b32 s10, 0x7f800001
	s_xor_b64 s[4:5], exec, -1
; %bb.3003:
	s_or_b64 exec, exec, s[8:9]
	s_and_b64 s[4:5], s[4:5], exec
	s_or_saveexec_b64 s[6:7], s[6:7]
	v_mov_b32_e32 v2, s10
	s_xor_b64 exec, exec, s[6:7]
	s_cbranch_execz .LBB36_954
.LBB36_3004:
	v_mov_b32_e32 v2, 0
	v_cmp_ne_u16_sdwa s[8:9], v7, v2 src0_sel:BYTE_3 src1_sel:DWORD
	s_andn2_b64 s[4:5], s[4:5], exec
	s_and_b64 s[8:9], s[8:9], exec
	s_or_b64 s[4:5], s[4:5], s[8:9]
	s_or_b64 exec, exec, s[6:7]
	s_and_saveexec_b64 s[6:7], s[4:5]
	s_cbranch_execnz .LBB36_955
	s_branch .LBB36_956
.LBB36_3005:
	s_movk_i32 s4, 0x80
	v_cmp_eq_u16_sdwa s[12:13], v3, s4 src0_sel:BYTE_3 src1_sel:DWORD
	s_mov_b64 s[4:5], -1
                                        ; implicit-def: $sgpr10
	s_and_saveexec_b64 s[8:9], s[12:13]
; %bb.3006:
	s_mov_b32 s10, 0x7f800001
	s_xor_b64 s[4:5], exec, -1
; %bb.3007:
	s_or_b64 exec, exec, s[8:9]
	s_and_b64 s[4:5], s[4:5], exec
	s_or_saveexec_b64 s[6:7], s[6:7]
	v_mov_b32_e32 v6, s10
	s_xor_b64 exec, exec, s[6:7]
	s_cbranch_execz .LBB36_958
.LBB36_3008:
	v_mov_b32_e32 v6, 0
	v_cmp_ne_u16_sdwa s[8:9], v3, v6 src0_sel:BYTE_3 src1_sel:DWORD
	s_andn2_b64 s[4:5], s[4:5], exec
	s_and_b64 s[8:9], s[8:9], exec
	s_or_b64 s[4:5], s[4:5], s[8:9]
	s_or_b64 exec, exec, s[6:7]
	s_and_saveexec_b64 s[6:7], s[4:5]
	s_cbranch_execnz .LBB36_959
	s_branch .LBB36_960
.LBB36_3009:
	s_movk_i32 s4, 0x80
	v_cmp_eq_u16_sdwa s[12:13], v8, s4 src0_sel:BYTE_0 src1_sel:DWORD
	s_mov_b64 s[4:5], -1
                                        ; implicit-def: $sgpr10
	s_and_saveexec_b64 s[8:9], s[12:13]
; %bb.3010:
	s_mov_b32 s10, 0x7f800001
	s_xor_b64 s[4:5], exec, -1
; %bb.3011:
	s_or_b64 exec, exec, s[8:9]
	s_and_b64 s[4:5], s[4:5], exec
	s_or_saveexec_b64 s[6:7], s[6:7]
	v_mov_b32_e32 v2, s10
	s_xor_b64 exec, exec, s[6:7]
	s_cbranch_execz .LBB36_962
.LBB36_3012:
	v_mov_b32_e32 v2, 0
	v_cmp_ne_u16_sdwa s[8:9], v8, v2 src0_sel:BYTE_0 src1_sel:DWORD
	s_andn2_b64 s[4:5], s[4:5], exec
	s_and_b64 s[8:9], s[8:9], exec
	s_or_b64 s[4:5], s[4:5], s[8:9]
	s_or_b64 exec, exec, s[6:7]
	s_and_saveexec_b64 s[6:7], s[4:5]
	s_cbranch_execnz .LBB36_963
	s_branch .LBB36_964
.LBB36_3013:
	s_movk_i32 s4, 0x80
	v_cmp_eq_u16_sdwa s[12:13], v4, s4 src0_sel:BYTE_0 src1_sel:DWORD
	s_mov_b64 s[4:5], -1
                                        ; implicit-def: $sgpr10
	s_and_saveexec_b64 s[8:9], s[12:13]
; %bb.3014:
	s_mov_b32 s10, 0x7f800001
	s_xor_b64 s[4:5], exec, -1
; %bb.3015:
	s_or_b64 exec, exec, s[8:9]
	s_and_b64 s[4:5], s[4:5], exec
	s_or_saveexec_b64 s[6:7], s[6:7]
	v_mov_b32_e32 v3, s10
	s_xor_b64 exec, exec, s[6:7]
	s_cbranch_execz .LBB36_966
.LBB36_3016:
	v_mov_b32_e32 v3, 0
	v_cmp_ne_u16_sdwa s[8:9], v4, v3 src0_sel:BYTE_0 src1_sel:DWORD
	s_andn2_b64 s[4:5], s[4:5], exec
	s_and_b64 s[8:9], s[8:9], exec
	s_or_b64 s[4:5], s[4:5], s[8:9]
	s_or_b64 exec, exec, s[6:7]
	s_and_saveexec_b64 s[6:7], s[4:5]
	s_cbranch_execnz .LBB36_967
	s_branch .LBB36_968
.LBB36_3017:
	s_movk_i32 s4, 0x80
	v_cmp_eq_u16_sdwa s[12:13], v3, s4 src0_sel:BYTE_0 src1_sel:DWORD
	s_mov_b64 s[4:5], -1
                                        ; implicit-def: $sgpr10
	s_and_saveexec_b64 s[8:9], s[12:13]
; %bb.3018:
	s_mov_b32 s10, 0x7f800001
	s_xor_b64 s[4:5], exec, -1
; %bb.3019:
	s_or_b64 exec, exec, s[8:9]
	s_and_b64 s[4:5], s[4:5], exec
	s_or_saveexec_b64 s[6:7], s[6:7]
	v_mov_b32_e32 v2, s10
	s_xor_b64 exec, exec, s[6:7]
	s_cbranch_execz .LBB36_970
.LBB36_3020:
	v_mov_b32_e32 v2, 0
	v_cmp_ne_u16_sdwa s[8:9], v3, v2 src0_sel:BYTE_0 src1_sel:DWORD
	s_andn2_b64 s[4:5], s[4:5], exec
	s_and_b64 s[8:9], s[8:9], exec
	s_or_b64 s[4:5], s[4:5], s[8:9]
	s_or_b64 exec, exec, s[6:7]
	s_and_saveexec_b64 s[6:7], s[4:5]
	s_cbranch_execnz .LBB36_971
	s_branch .LBB36_972
.LBB36_3021:
	s_movk_i32 s4, 0x80
	v_cmp_eq_u16_sdwa s[12:13], v3, s4 src0_sel:BYTE_0 src1_sel:DWORD
	s_mov_b64 s[4:5], -1
                                        ; implicit-def: $sgpr10
	s_and_saveexec_b64 s[8:9], s[12:13]
; %bb.3022:
	s_mov_b32 s10, 0x7f800001
	s_xor_b64 s[4:5], exec, -1
; %bb.3023:
	s_or_b64 exec, exec, s[8:9]
	s_and_b64 s[4:5], s[4:5], exec
	s_or_saveexec_b64 s[6:7], s[6:7]
	v_mov_b32_e32 v6, s10
	s_xor_b64 exec, exec, s[6:7]
	s_cbranch_execz .LBB36_974
.LBB36_3024:
	v_mov_b32_e32 v6, 0
	v_cmp_ne_u16_sdwa s[8:9], v3, v6 src0_sel:BYTE_0 src1_sel:DWORD
	s_andn2_b64 s[4:5], s[4:5], exec
	s_and_b64 s[8:9], s[8:9], exec
	s_or_b64 s[4:5], s[4:5], s[8:9]
	s_or_b64 exec, exec, s[6:7]
	s_and_saveexec_b64 s[6:7], s[4:5]
	s_cbranch_execnz .LBB36_975
	s_branch .LBB36_976
.LBB36_3025:
	s_movk_i32 s4, 0x80
	v_cmp_eq_u16_e32 vcc, s4, v3
	s_mov_b64 s[4:5], -1
                                        ; implicit-def: $sgpr10
	s_and_saveexec_b64 s[8:9], vcc
; %bb.3026:
	s_mov_b32 s10, 0x7f800001
	s_xor_b64 s[4:5], exec, -1
; %bb.3027:
	s_or_b64 exec, exec, s[8:9]
	s_and_b64 s[4:5], s[4:5], exec
                                        ; implicit-def: $vgpr3
	s_or_saveexec_b64 s[6:7], s[6:7]
	v_mov_b32_e32 v2, s10
	s_xor_b64 exec, exec, s[6:7]
	s_cbranch_execz .LBB36_978
.LBB36_3028:
	v_cmp_ne_u16_e32 vcc, 0, v3
	s_andn2_b64 s[4:5], s[4:5], exec
	s_and_b64 s[8:9], vcc, exec
	v_mov_b32_e32 v2, 0
	s_or_b64 s[4:5], s[4:5], s[8:9]
	s_or_b64 exec, exec, s[6:7]
	s_and_saveexec_b64 s[6:7], s[4:5]
	s_cbranch_execnz .LBB36_979
	s_branch .LBB36_980
.LBB36_3029:
	s_movk_i32 s4, 0x80
	v_cmp_eq_u16_e32 vcc, s4, v3
	s_mov_b64 s[4:5], -1
                                        ; implicit-def: $sgpr10
	s_and_saveexec_b64 s[8:9], vcc
; %bb.3030:
	s_mov_b32 s10, 0x7f800001
	s_xor_b64 s[4:5], exec, -1
; %bb.3031:
	s_or_b64 exec, exec, s[8:9]
	s_and_b64 s[4:5], s[4:5], exec
                                        ; implicit-def: $vgpr3
	s_or_saveexec_b64 s[6:7], s[6:7]
	v_mov_b32_e32 v6, s10
	s_xor_b64 exec, exec, s[6:7]
	s_cbranch_execz .LBB36_982
.LBB36_3032:
	v_cmp_ne_u16_e32 vcc, 0, v3
	s_andn2_b64 s[4:5], s[4:5], exec
	s_and_b64 s[8:9], vcc, exec
	v_mov_b32_e32 v6, 0
	s_or_b64 s[4:5], s[4:5], s[8:9]
	s_or_b64 exec, exec, s[6:7]
	s_and_saveexec_b64 s[6:7], s[4:5]
	s_cbranch_execnz .LBB36_983
	s_branch .LBB36_984
.LBB36_3033:
	s_movk_i32 s4, 0x80
	v_cmp_eq_u16_sdwa s[12:13], v8, s4 src0_sel:BYTE_3 src1_sel:DWORD
	s_mov_b64 s[4:5], -1
                                        ; implicit-def: $sgpr10
	s_and_saveexec_b64 s[8:9], s[12:13]
; %bb.3034:
	s_mov_b32 s10, 0x7f800001
	s_xor_b64 s[4:5], exec, -1
; %bb.3035:
	s_or_b64 exec, exec, s[8:9]
	s_and_b64 s[4:5], s[4:5], exec
	s_or_saveexec_b64 s[6:7], s[6:7]
	v_mov_b32_e32 v2, s10
	s_xor_b64 exec, exec, s[6:7]
	s_cbranch_execz .LBB36_986
.LBB36_3036:
	v_mov_b32_e32 v2, 0
	v_cmp_ne_u16_sdwa s[8:9], v8, v2 src0_sel:BYTE_3 src1_sel:DWORD
	s_andn2_b64 s[4:5], s[4:5], exec
	s_and_b64 s[8:9], s[8:9], exec
	s_or_b64 s[4:5], s[4:5], s[8:9]
	s_or_b64 exec, exec, s[6:7]
	s_and_saveexec_b64 s[6:7], s[4:5]
	s_cbranch_execnz .LBB36_987
	s_branch .LBB36_988
.LBB36_3037:
	s_movk_i32 s4, 0x80
	v_cmp_eq_u16_sdwa s[12:13], v4, s4 src0_sel:BYTE_3 src1_sel:DWORD
	s_mov_b64 s[4:5], -1
                                        ; implicit-def: $sgpr10
	s_and_saveexec_b64 s[8:9], s[12:13]
; %bb.3038:
	s_mov_b32 s10, 0x7f800001
	s_xor_b64 s[4:5], exec, -1
; %bb.3039:
	s_or_b64 exec, exec, s[8:9]
	s_and_b64 s[4:5], s[4:5], exec
	s_or_saveexec_b64 s[6:7], s[6:7]
	v_mov_b32_e32 v3, s10
	s_xor_b64 exec, exec, s[6:7]
	s_cbranch_execz .LBB36_990
.LBB36_3040:
	v_mov_b32_e32 v3, 0
	v_cmp_ne_u16_sdwa s[8:9], v4, v3 src0_sel:BYTE_3 src1_sel:DWORD
	s_andn2_b64 s[4:5], s[4:5], exec
	s_and_b64 s[8:9], s[8:9], exec
	s_or_b64 s[4:5], s[4:5], s[8:9]
	s_or_b64 exec, exec, s[6:7]
	s_and_saveexec_b64 s[6:7], s[4:5]
	s_cbranch_execnz .LBB36_991
	s_branch .LBB36_992
.LBB36_3041:
	s_movk_i32 s4, 0x80
	v_cmp_eq_u16_sdwa s[12:13], v9, s4 src0_sel:BYTE_0 src1_sel:DWORD
	s_mov_b64 s[4:5], -1
                                        ; implicit-def: $sgpr10
	s_and_saveexec_b64 s[8:9], s[12:13]
; %bb.3042:
	s_mov_b32 s10, 0x7f800001
	s_xor_b64 s[4:5], exec, -1
; %bb.3043:
	s_or_b64 exec, exec, s[8:9]
	s_and_b64 s[4:5], s[4:5], exec
	s_or_saveexec_b64 s[6:7], s[6:7]
	v_mov_b32_e32 v2, s10
	s_xor_b64 exec, exec, s[6:7]
	s_cbranch_execz .LBB36_994
.LBB36_3044:
	v_mov_b32_e32 v2, 0
	v_cmp_ne_u16_sdwa s[8:9], v9, v2 src0_sel:BYTE_0 src1_sel:DWORD
	s_andn2_b64 s[4:5], s[4:5], exec
	s_and_b64 s[8:9], s[8:9], exec
	s_or_b64 s[4:5], s[4:5], s[8:9]
	s_or_b64 exec, exec, s[6:7]
	s_and_saveexec_b64 s[6:7], s[4:5]
	s_cbranch_execnz .LBB36_995
	s_branch .LBB36_996
.LBB36_3045:
	s_movk_i32 s4, 0x80
	v_cmp_eq_u16_sdwa s[12:13], v5, s4 src0_sel:BYTE_0 src1_sel:DWORD
	s_mov_b64 s[4:5], -1
                                        ; implicit-def: $sgpr10
	s_and_saveexec_b64 s[8:9], s[12:13]
; %bb.3046:
	s_mov_b32 s10, 0x7f800001
	s_xor_b64 s[4:5], exec, -1
; %bb.3047:
	s_or_b64 exec, exec, s[8:9]
	s_and_b64 s[4:5], s[4:5], exec
	s_or_saveexec_b64 s[6:7], s[6:7]
	v_mov_b32_e32 v3, s10
	s_xor_b64 exec, exec, s[6:7]
	s_cbranch_execz .LBB36_998
.LBB36_3048:
	v_mov_b32_e32 v3, 0
	v_cmp_ne_u16_sdwa s[8:9], v5, v3 src0_sel:BYTE_0 src1_sel:DWORD
	s_andn2_b64 s[4:5], s[4:5], exec
	s_and_b64 s[8:9], s[8:9], exec
	s_or_b64 s[4:5], s[4:5], s[8:9]
	s_or_b64 exec, exec, s[6:7]
	s_and_saveexec_b64 s[6:7], s[4:5]
	s_cbranch_execnz .LBB36_999
	s_branch .LBB36_1000
.LBB36_3049:
	s_movk_i32 s4, 0x80
	v_cmp_eq_u16_sdwa s[12:13], v3, s4 src0_sel:BYTE_0 src1_sel:DWORD
	s_mov_b64 s[4:5], -1
                                        ; implicit-def: $sgpr10
	s_and_saveexec_b64 s[8:9], s[12:13]
; %bb.3050:
	s_mov_b32 s10, 0x7f800001
	s_xor_b64 s[4:5], exec, -1
; %bb.3051:
	s_or_b64 exec, exec, s[8:9]
	s_and_b64 s[4:5], s[4:5], exec
	s_or_saveexec_b64 s[6:7], s[6:7]
	v_mov_b32_e32 v2, s10
	s_xor_b64 exec, exec, s[6:7]
	s_cbranch_execz .LBB36_1002
.LBB36_3052:
	v_mov_b32_e32 v2, 0
	v_cmp_ne_u16_sdwa s[8:9], v3, v2 src0_sel:BYTE_0 src1_sel:DWORD
	s_andn2_b64 s[4:5], s[4:5], exec
	s_and_b64 s[8:9], s[8:9], exec
	s_or_b64 s[4:5], s[4:5], s[8:9]
	s_or_b64 exec, exec, s[6:7]
	s_and_saveexec_b64 s[6:7], s[4:5]
	s_cbranch_execnz .LBB36_1003
	s_branch .LBB36_1004
.LBB36_3053:
	s_movk_i32 s4, 0x80
	v_cmp_eq_u16_sdwa s[12:13], v3, s4 src0_sel:BYTE_0 src1_sel:DWORD
	s_mov_b64 s[4:5], -1
                                        ; implicit-def: $sgpr10
	s_and_saveexec_b64 s[8:9], s[12:13]
; %bb.3054:
	s_mov_b32 s10, 0x7f800001
	s_xor_b64 s[4:5], exec, -1
; %bb.3055:
	s_or_b64 exec, exec, s[8:9]
	s_and_b64 s[4:5], s[4:5], exec
	s_or_saveexec_b64 s[6:7], s[6:7]
	v_mov_b32_e32 v4, s10
	s_xor_b64 exec, exec, s[6:7]
	s_cbranch_execz .LBB36_1006
.LBB36_3056:
	v_mov_b32_e32 v4, 0
	v_cmp_ne_u16_sdwa s[8:9], v3, v4 src0_sel:BYTE_0 src1_sel:DWORD
	s_andn2_b64 s[4:5], s[4:5], exec
	s_and_b64 s[8:9], s[8:9], exec
	s_or_b64 s[4:5], s[4:5], s[8:9]
	s_or_b64 exec, exec, s[6:7]
	s_and_saveexec_b64 s[6:7], s[4:5]
	s_cbranch_execnz .LBB36_1007
	s_branch .LBB36_1008
.LBB36_3057:
	s_movk_i32 s4, 0x80
	v_cmp_eq_u16_e32 vcc, s4, v3
	s_mov_b64 s[4:5], -1
                                        ; implicit-def: $sgpr10
	s_and_saveexec_b64 s[8:9], vcc
; %bb.3058:
	s_mov_b32 s10, 0x7f800001
	s_xor_b64 s[4:5], exec, -1
; %bb.3059:
	s_or_b64 exec, exec, s[8:9]
	s_and_b64 s[4:5], s[4:5], exec
                                        ; implicit-def: $vgpr3
	s_or_saveexec_b64 s[6:7], s[6:7]
	v_mov_b32_e32 v2, s10
	s_xor_b64 exec, exec, s[6:7]
	s_cbranch_execz .LBB36_1010
.LBB36_3060:
	v_cmp_ne_u16_e32 vcc, 0, v3
	s_andn2_b64 s[4:5], s[4:5], exec
	s_and_b64 s[8:9], vcc, exec
	v_mov_b32_e32 v2, 0
	s_or_b64 s[4:5], s[4:5], s[8:9]
	s_or_b64 exec, exec, s[6:7]
	s_and_saveexec_b64 s[6:7], s[4:5]
	s_cbranch_execnz .LBB36_1011
	s_branch .LBB36_1012
.LBB36_3061:
	s_movk_i32 s4, 0x80
	v_cmp_eq_u16_e32 vcc, s4, v3
	s_mov_b64 s[4:5], -1
                                        ; implicit-def: $sgpr10
	s_and_saveexec_b64 s[8:9], vcc
; %bb.3062:
	s_mov_b32 s10, 0x7f800001
	s_xor_b64 s[4:5], exec, -1
; %bb.3063:
	s_or_b64 exec, exec, s[8:9]
	s_and_b64 s[4:5], s[4:5], exec
                                        ; implicit-def: $vgpr3
	s_or_saveexec_b64 s[6:7], s[6:7]
	v_mov_b32_e32 v4, s10
	s_xor_b64 exec, exec, s[6:7]
	s_cbranch_execz .LBB36_1014
.LBB36_3064:
	v_cmp_ne_u16_e32 vcc, 0, v3
	s_andn2_b64 s[4:5], s[4:5], exec
	s_and_b64 s[8:9], vcc, exec
	v_mov_b32_e32 v4, 0
	s_or_b64 s[4:5], s[4:5], s[8:9]
	s_or_b64 exec, exec, s[6:7]
	s_and_saveexec_b64 s[6:7], s[4:5]
	s_cbranch_execnz .LBB36_1015
	s_branch .LBB36_1016
.LBB36_3065:
	s_movk_i32 s4, 0x80
	v_cmp_eq_u16_sdwa s[12:13], v9, s4 src0_sel:BYTE_3 src1_sel:DWORD
	s_mov_b64 s[4:5], -1
                                        ; implicit-def: $sgpr10
	s_and_saveexec_b64 s[8:9], s[12:13]
; %bb.3066:
	s_mov_b32 s10, 0x7f800001
	s_xor_b64 s[4:5], exec, -1
; %bb.3067:
	s_or_b64 exec, exec, s[8:9]
	s_and_b64 s[4:5], s[4:5], exec
	s_or_saveexec_b64 s[6:7], s[6:7]
	v_mov_b32_e32 v2, s10
	s_xor_b64 exec, exec, s[6:7]
	s_cbranch_execz .LBB36_1018
.LBB36_3068:
	v_mov_b32_e32 v2, 0
	v_cmp_ne_u16_sdwa s[8:9], v9, v2 src0_sel:BYTE_3 src1_sel:DWORD
	s_andn2_b64 s[4:5], s[4:5], exec
	s_and_b64 s[8:9], s[8:9], exec
	s_or_b64 s[4:5], s[4:5], s[8:9]
	s_or_b64 exec, exec, s[6:7]
	s_and_saveexec_b64 s[6:7], s[4:5]
	s_cbranch_execnz .LBB36_1019
	s_branch .LBB36_1020
.LBB36_3069:
	s_movk_i32 s4, 0x80
	v_cmp_eq_u16_sdwa s[12:13], v5, s4 src0_sel:BYTE_3 src1_sel:DWORD
	s_mov_b64 s[4:5], -1
                                        ; implicit-def: $sgpr10
	s_and_saveexec_b64 s[8:9], s[12:13]
; %bb.3070:
	s_mov_b32 s10, 0x7f800001
	s_xor_b64 s[4:5], exec, -1
; %bb.3071:
	s_or_b64 exec, exec, s[8:9]
	s_and_b64 s[4:5], s[4:5], exec
	s_or_saveexec_b64 s[6:7], s[6:7]
	v_mov_b32_e32 v3, s10
	s_xor_b64 exec, exec, s[6:7]
	s_cbranch_execz .LBB36_1022
.LBB36_3072:
	v_mov_b32_e32 v3, 0
	v_cmp_ne_u16_sdwa s[8:9], v5, v3 src0_sel:BYTE_3 src1_sel:DWORD
	s_andn2_b64 s[4:5], s[4:5], exec
	s_and_b64 s[8:9], s[8:9], exec
	s_or_b64 s[4:5], s[4:5], s[8:9]
	s_or_b64 exec, exec, s[6:7]
	s_and_saveexec_b64 s[6:7], s[4:5]
	s_cbranch_execnz .LBB36_1023
	s_branch .LBB36_1024
.LBB36_3073:
	s_movk_i32 s4, 0x80
	v_cmp_eq_u16_sdwa s[12:13], v14, s4 src0_sel:BYTE_0 src1_sel:DWORD
	s_mov_b64 s[4:5], -1
                                        ; implicit-def: $sgpr10
	s_and_saveexec_b64 s[8:9], s[12:13]
; %bb.3074:
	s_mov_b32 s10, 0x7f800001
	s_xor_b64 s[4:5], exec, -1
; %bb.3075:
	s_or_b64 exec, exec, s[8:9]
	s_and_b64 s[4:5], s[4:5], exec
	s_or_saveexec_b64 s[6:7], s[6:7]
	v_mov_b32_e32 v20, s10
	s_xor_b64 exec, exec, s[6:7]
	s_cbranch_execz .LBB36_1026
.LBB36_3076:
	v_mov_b32_e32 v20, 0
	v_cmp_ne_u16_sdwa s[8:9], v14, v20 src0_sel:BYTE_0 src1_sel:DWORD
	s_andn2_b64 s[4:5], s[4:5], exec
	s_and_b64 s[8:9], s[8:9], exec
	s_or_b64 s[4:5], s[4:5], s[8:9]
	s_or_b64 exec, exec, s[6:7]
	s_and_saveexec_b64 s[6:7], s[4:5]
	s_cbranch_execnz .LBB36_1027
	s_branch .LBB36_1028
.LBB36_3077:
	s_movk_i32 s4, 0x80
	v_cmp_eq_u16_sdwa s[12:13], v10, s4 src0_sel:BYTE_0 src1_sel:DWORD
	s_mov_b64 s[4:5], -1
                                        ; implicit-def: $sgpr10
	s_and_saveexec_b64 s[8:9], s[12:13]
; %bb.3078:
	s_mov_b32 s10, 0x7f800001
	s_xor_b64 s[4:5], exec, -1
; %bb.3079:
	s_or_b64 exec, exec, s[8:9]
	s_and_b64 s[4:5], s[4:5], exec
	s_or_saveexec_b64 s[6:7], s[6:7]
	v_mov_b32_e32 v21, s10
	s_xor_b64 exec, exec, s[6:7]
	s_cbranch_execz .LBB36_1030
.LBB36_3080:
	v_mov_b32_e32 v21, 0
	v_cmp_ne_u16_sdwa s[8:9], v10, v21 src0_sel:BYTE_0 src1_sel:DWORD
	s_andn2_b64 s[4:5], s[4:5], exec
	s_and_b64 s[8:9], s[8:9], exec
	s_or_b64 s[4:5], s[4:5], s[8:9]
	s_or_b64 exec, exec, s[6:7]
	s_and_saveexec_b64 s[6:7], s[4:5]
	s_cbranch_execnz .LBB36_1031
	s_branch .LBB36_1032
.LBB36_3081:
	s_movk_i32 s4, 0x80
	v_cmp_eq_u16_sdwa s[12:13], v21, s4 src0_sel:BYTE_0 src1_sel:DWORD
	s_mov_b64 s[4:5], -1
                                        ; implicit-def: $sgpr10
	s_and_saveexec_b64 s[8:9], s[12:13]
; %bb.3082:
	s_mov_b32 s10, 0x7f800001
	s_xor_b64 s[4:5], exec, -1
; %bb.3083:
	s_or_b64 exec, exec, s[8:9]
	s_and_b64 s[4:5], s[4:5], exec
	s_or_saveexec_b64 s[6:7], s[6:7]
	v_mov_b32_e32 v20, s10
	s_xor_b64 exec, exec, s[6:7]
	s_cbranch_execz .LBB36_1034
.LBB36_3084:
	v_mov_b32_e32 v20, 0
	v_cmp_ne_u16_sdwa s[8:9], v21, v20 src0_sel:BYTE_0 src1_sel:DWORD
	s_andn2_b64 s[4:5], s[4:5], exec
	s_and_b64 s[8:9], s[8:9], exec
	s_or_b64 s[4:5], s[4:5], s[8:9]
	s_or_b64 exec, exec, s[6:7]
	s_and_saveexec_b64 s[6:7], s[4:5]
	s_cbranch_execnz .LBB36_1035
	s_branch .LBB36_1036
.LBB36_3085:
	s_movk_i32 s4, 0x80
	v_cmp_eq_u16_sdwa s[12:13], v21, s4 src0_sel:BYTE_0 src1_sel:DWORD
	s_mov_b64 s[4:5], -1
                                        ; implicit-def: $sgpr10
	s_and_saveexec_b64 s[8:9], s[12:13]
; %bb.3086:
	s_mov_b32 s10, 0x7f800001
	s_xor_b64 s[4:5], exec, -1
; %bb.3087:
	s_or_b64 exec, exec, s[8:9]
	s_and_b64 s[4:5], s[4:5], exec
	s_or_saveexec_b64 s[6:7], s[6:7]
	v_mov_b32_e32 v22, s10
	s_xor_b64 exec, exec, s[6:7]
	s_cbranch_execz .LBB36_1038
.LBB36_3088:
	v_mov_b32_e32 v22, 0
	v_cmp_ne_u16_sdwa s[8:9], v21, v22 src0_sel:BYTE_0 src1_sel:DWORD
	s_andn2_b64 s[4:5], s[4:5], exec
	s_and_b64 s[8:9], s[8:9], exec
	s_or_b64 s[4:5], s[4:5], s[8:9]
	s_or_b64 exec, exec, s[6:7]
	s_and_saveexec_b64 s[6:7], s[4:5]
	s_cbranch_execnz .LBB36_1039
	s_branch .LBB36_1040
.LBB36_3089:
	s_movk_i32 s4, 0x80
	v_cmp_eq_u16_e32 vcc, s4, v21
	s_mov_b64 s[4:5], -1
                                        ; implicit-def: $sgpr10
	s_and_saveexec_b64 s[8:9], vcc
; %bb.3090:
	s_mov_b32 s10, 0x7f800001
	s_xor_b64 s[4:5], exec, -1
; %bb.3091:
	s_or_b64 exec, exec, s[8:9]
	s_and_b64 s[4:5], s[4:5], exec
                                        ; implicit-def: $vgpr21
	s_or_saveexec_b64 s[6:7], s[6:7]
	v_mov_b32_e32 v20, s10
	s_xor_b64 exec, exec, s[6:7]
	s_cbranch_execz .LBB36_1042
.LBB36_3092:
	v_cmp_ne_u16_e32 vcc, 0, v21
	s_andn2_b64 s[4:5], s[4:5], exec
	s_and_b64 s[8:9], vcc, exec
	v_mov_b32_e32 v20, 0
	s_or_b64 s[4:5], s[4:5], s[8:9]
	s_or_b64 exec, exec, s[6:7]
	s_and_saveexec_b64 s[6:7], s[4:5]
	s_cbranch_execnz .LBB36_1043
	s_branch .LBB36_1044
.LBB36_3093:
	s_movk_i32 s4, 0x80
	v_cmp_eq_u16_e32 vcc, s4, v21
	s_mov_b64 s[4:5], -1
                                        ; implicit-def: $sgpr10
	s_and_saveexec_b64 s[8:9], vcc
; %bb.3094:
	s_mov_b32 s10, 0x7f800001
	s_xor_b64 s[4:5], exec, -1
; %bb.3095:
	s_or_b64 exec, exec, s[8:9]
	s_and_b64 s[4:5], s[4:5], exec
                                        ; implicit-def: $vgpr21
	s_or_saveexec_b64 s[6:7], s[6:7]
	v_mov_b32_e32 v22, s10
	s_xor_b64 exec, exec, s[6:7]
	s_cbranch_execz .LBB36_1046
.LBB36_3096:
	v_cmp_ne_u16_e32 vcc, 0, v21
	s_andn2_b64 s[4:5], s[4:5], exec
	s_and_b64 s[8:9], vcc, exec
	v_mov_b32_e32 v22, 0
	s_or_b64 s[4:5], s[4:5], s[8:9]
	s_or_b64 exec, exec, s[6:7]
	s_and_saveexec_b64 s[6:7], s[4:5]
	s_cbranch_execnz .LBB36_1047
	s_branch .LBB36_1048
.LBB36_3097:
	s_movk_i32 s4, 0x80
	v_cmp_eq_u16_sdwa s[12:13], v14, s4 src0_sel:BYTE_3 src1_sel:DWORD
	s_mov_b64 s[4:5], -1
                                        ; implicit-def: $sgpr10
	s_and_saveexec_b64 s[8:9], s[12:13]
; %bb.3098:
	s_mov_b32 s10, 0x7f800001
	s_xor_b64 s[4:5], exec, -1
; %bb.3099:
	s_or_b64 exec, exec, s[8:9]
	s_and_b64 s[4:5], s[4:5], exec
	s_or_saveexec_b64 s[6:7], s[6:7]
	v_mov_b32_e32 v20, s10
	s_xor_b64 exec, exec, s[6:7]
	s_cbranch_execz .LBB36_1050
.LBB36_3100:
	v_mov_b32_e32 v20, 0
	v_cmp_ne_u16_sdwa s[8:9], v14, v20 src0_sel:BYTE_3 src1_sel:DWORD
	s_andn2_b64 s[4:5], s[4:5], exec
	s_and_b64 s[8:9], s[8:9], exec
	s_or_b64 s[4:5], s[4:5], s[8:9]
	s_or_b64 exec, exec, s[6:7]
	s_and_saveexec_b64 s[6:7], s[4:5]
	s_cbranch_execnz .LBB36_1051
	s_branch .LBB36_1052
.LBB36_3101:
	s_movk_i32 s4, 0x80
	v_cmp_eq_u16_sdwa s[12:13], v10, s4 src0_sel:BYTE_3 src1_sel:DWORD
	s_mov_b64 s[4:5], -1
                                        ; implicit-def: $sgpr10
	s_and_saveexec_b64 s[8:9], s[12:13]
; %bb.3102:
	s_mov_b32 s10, 0x7f800001
	s_xor_b64 s[4:5], exec, -1
; %bb.3103:
	s_or_b64 exec, exec, s[8:9]
	s_and_b64 s[4:5], s[4:5], exec
	s_or_saveexec_b64 s[6:7], s[6:7]
	v_mov_b32_e32 v14, s10
	s_xor_b64 exec, exec, s[6:7]
	s_cbranch_execz .LBB36_1054
.LBB36_3104:
	v_mov_b32_e32 v14, 0
	v_cmp_ne_u16_sdwa s[8:9], v10, v14 src0_sel:BYTE_3 src1_sel:DWORD
	s_andn2_b64 s[4:5], s[4:5], exec
	s_and_b64 s[8:9], s[8:9], exec
	s_or_b64 s[4:5], s[4:5], s[8:9]
	s_or_b64 exec, exec, s[6:7]
	s_and_saveexec_b64 s[6:7], s[4:5]
	s_cbranch_execnz .LBB36_1055
	s_branch .LBB36_1056
.LBB36_3105:
	s_movk_i32 s4, 0x80
	v_cmp_eq_u16_sdwa s[12:13], v15, s4 src0_sel:BYTE_0 src1_sel:DWORD
	s_mov_b64 s[4:5], -1
                                        ; implicit-def: $sgpr10
	s_and_saveexec_b64 s[8:9], s[12:13]
; %bb.3106:
	s_mov_b32 s10, 0x7f800001
	s_xor_b64 s[4:5], exec, -1
; %bb.3107:
	s_or_b64 exec, exec, s[8:9]
	s_and_b64 s[4:5], s[4:5], exec
	s_or_saveexec_b64 s[6:7], s[6:7]
	v_mov_b32_e32 v10, s10
	s_xor_b64 exec, exec, s[6:7]
	s_cbranch_execz .LBB36_1058
.LBB36_3108:
	v_mov_b32_e32 v10, 0
	v_cmp_ne_u16_sdwa s[8:9], v15, v10 src0_sel:BYTE_0 src1_sel:DWORD
	s_andn2_b64 s[4:5], s[4:5], exec
	s_and_b64 s[8:9], s[8:9], exec
	s_or_b64 s[4:5], s[4:5], s[8:9]
	s_or_b64 exec, exec, s[6:7]
	s_and_saveexec_b64 s[6:7], s[4:5]
	s_cbranch_execnz .LBB36_1059
	s_branch .LBB36_1060
.LBB36_3109:
	s_movk_i32 s4, 0x80
	v_cmp_eq_u16_sdwa s[12:13], v11, s4 src0_sel:BYTE_0 src1_sel:DWORD
	s_mov_b64 s[4:5], -1
                                        ; implicit-def: $sgpr10
	s_and_saveexec_b64 s[8:9], s[12:13]
; %bb.3110:
	s_mov_b32 s10, 0x7f800001
	s_xor_b64 s[4:5], exec, -1
; %bb.3111:
	s_or_b64 exec, exec, s[8:9]
	s_and_b64 s[4:5], s[4:5], exec
	s_or_saveexec_b64 s[6:7], s[6:7]
	v_mov_b32_e32 v14, s10
	s_xor_b64 exec, exec, s[6:7]
	s_cbranch_execz .LBB36_1062
.LBB36_3112:
	v_mov_b32_e32 v14, 0
	v_cmp_ne_u16_sdwa s[8:9], v11, v14 src0_sel:BYTE_0 src1_sel:DWORD
	s_andn2_b64 s[4:5], s[4:5], exec
	s_and_b64 s[8:9], s[8:9], exec
	s_or_b64 s[4:5], s[4:5], s[8:9]
	s_or_b64 exec, exec, s[6:7]
	s_and_saveexec_b64 s[6:7], s[4:5]
	s_cbranch_execnz .LBB36_1063
	s_branch .LBB36_1064
.LBB36_3113:
	s_movk_i32 s4, 0x80
	v_cmp_eq_u16_sdwa s[12:13], v14, s4 src0_sel:BYTE_0 src1_sel:DWORD
	s_mov_b64 s[4:5], -1
                                        ; implicit-def: $sgpr10
	s_and_saveexec_b64 s[8:9], s[12:13]
; %bb.3114:
	s_mov_b32 s10, 0x7f800001
	s_xor_b64 s[4:5], exec, -1
; %bb.3115:
	s_or_b64 exec, exec, s[8:9]
	s_and_b64 s[4:5], s[4:5], exec
	s_or_saveexec_b64 s[6:7], s[6:7]
	v_mov_b32_e32 v10, s10
	s_xor_b64 exec, exec, s[6:7]
	s_cbranch_execz .LBB36_1066
.LBB36_3116:
	v_mov_b32_e32 v10, 0
	v_cmp_ne_u16_sdwa s[8:9], v14, v10 src0_sel:BYTE_0 src1_sel:DWORD
	s_andn2_b64 s[4:5], s[4:5], exec
	s_and_b64 s[8:9], s[8:9], exec
	s_or_b64 s[4:5], s[4:5], s[8:9]
	s_or_b64 exec, exec, s[6:7]
	s_and_saveexec_b64 s[6:7], s[4:5]
	s_cbranch_execnz .LBB36_1067
	s_branch .LBB36_1068
.LBB36_3117:
	s_movk_i32 s4, 0x80
	v_cmp_eq_u16_sdwa s[12:13], v14, s4 src0_sel:BYTE_0 src1_sel:DWORD
	s_mov_b64 s[4:5], -1
                                        ; implicit-def: $sgpr10
	s_and_saveexec_b64 s[8:9], s[12:13]
; %bb.3118:
	s_mov_b32 s10, 0x7f800001
	s_xor_b64 s[4:5], exec, -1
; %bb.3119:
	s_or_b64 exec, exec, s[8:9]
	s_and_b64 s[4:5], s[4:5], exec
	s_or_saveexec_b64 s[6:7], s[6:7]
	v_mov_b32_e32 v20, s10
	s_xor_b64 exec, exec, s[6:7]
	s_cbranch_execz .LBB36_1070
.LBB36_3120:
	v_mov_b32_e32 v20, 0
	v_cmp_ne_u16_sdwa s[8:9], v14, v20 src0_sel:BYTE_0 src1_sel:DWORD
	s_andn2_b64 s[4:5], s[4:5], exec
	s_and_b64 s[8:9], s[8:9], exec
	s_or_b64 s[4:5], s[4:5], s[8:9]
	s_or_b64 exec, exec, s[6:7]
	s_and_saveexec_b64 s[6:7], s[4:5]
	s_cbranch_execnz .LBB36_1071
	s_branch .LBB36_1072
.LBB36_3121:
	s_movk_i32 s4, 0x80
	v_cmp_eq_u16_e32 vcc, s4, v14
	s_mov_b64 s[4:5], -1
                                        ; implicit-def: $sgpr10
	s_and_saveexec_b64 s[8:9], vcc
; %bb.3122:
	s_mov_b32 s10, 0x7f800001
	s_xor_b64 s[4:5], exec, -1
; %bb.3123:
	s_or_b64 exec, exec, s[8:9]
	s_and_b64 s[4:5], s[4:5], exec
                                        ; implicit-def: $vgpr14
	s_or_saveexec_b64 s[6:7], s[6:7]
	v_mov_b32_e32 v10, s10
	s_xor_b64 exec, exec, s[6:7]
	s_cbranch_execz .LBB36_1074
.LBB36_3124:
	v_cmp_ne_u16_e32 vcc, 0, v14
	s_andn2_b64 s[4:5], s[4:5], exec
	s_and_b64 s[8:9], vcc, exec
	v_mov_b32_e32 v10, 0
	s_or_b64 s[4:5], s[4:5], s[8:9]
	s_or_b64 exec, exec, s[6:7]
	s_and_saveexec_b64 s[6:7], s[4:5]
	s_cbranch_execnz .LBB36_1075
	s_branch .LBB36_1076
.LBB36_3125:
	s_movk_i32 s4, 0x80
	v_cmp_eq_u16_e32 vcc, s4, v14
	s_mov_b64 s[4:5], -1
                                        ; implicit-def: $sgpr10
	s_and_saveexec_b64 s[8:9], vcc
; %bb.3126:
	s_mov_b32 s10, 0x7f800001
	s_xor_b64 s[4:5], exec, -1
; %bb.3127:
	s_or_b64 exec, exec, s[8:9]
	s_and_b64 s[4:5], s[4:5], exec
                                        ; implicit-def: $vgpr14
	s_or_saveexec_b64 s[6:7], s[6:7]
	v_mov_b32_e32 v20, s10
	s_xor_b64 exec, exec, s[6:7]
	s_cbranch_execz .LBB36_1078
.LBB36_3128:
	v_cmp_ne_u16_e32 vcc, 0, v14
	s_andn2_b64 s[4:5], s[4:5], exec
	s_and_b64 s[8:9], vcc, exec
	v_mov_b32_e32 v20, 0
	s_or_b64 s[4:5], s[4:5], s[8:9]
	s_or_b64 exec, exec, s[6:7]
	s_and_saveexec_b64 s[6:7], s[4:5]
	s_cbranch_execnz .LBB36_1079
	s_branch .LBB36_1080
.LBB36_3129:
	s_movk_i32 s4, 0x80
	v_cmp_eq_u16_sdwa s[12:13], v15, s4 src0_sel:BYTE_3 src1_sel:DWORD
	s_mov_b64 s[4:5], -1
                                        ; implicit-def: $sgpr10
	s_and_saveexec_b64 s[8:9], s[12:13]
; %bb.3130:
	s_mov_b32 s10, 0x7f800001
	s_xor_b64 s[4:5], exec, -1
; %bb.3131:
	s_or_b64 exec, exec, s[8:9]
	s_and_b64 s[4:5], s[4:5], exec
	s_or_saveexec_b64 s[6:7], s[6:7]
	v_mov_b32_e32 v10, s10
	s_xor_b64 exec, exec, s[6:7]
	s_cbranch_execz .LBB36_1082
.LBB36_3132:
	v_mov_b32_e32 v10, 0
	v_cmp_ne_u16_sdwa s[8:9], v15, v10 src0_sel:BYTE_3 src1_sel:DWORD
	s_andn2_b64 s[4:5], s[4:5], exec
	s_and_b64 s[8:9], s[8:9], exec
	s_or_b64 s[4:5], s[4:5], s[8:9]
	s_or_b64 exec, exec, s[6:7]
	s_and_saveexec_b64 s[6:7], s[4:5]
	s_cbranch_execnz .LBB36_1083
	s_branch .LBB36_1084
.LBB36_3133:
	s_movk_i32 s4, 0x80
	v_cmp_eq_u16_sdwa s[12:13], v11, s4 src0_sel:BYTE_3 src1_sel:DWORD
	s_mov_b64 s[4:5], -1
                                        ; implicit-def: $sgpr10
	s_and_saveexec_b64 s[8:9], s[12:13]
; %bb.3134:
	s_mov_b32 s10, 0x7f800001
	s_xor_b64 s[4:5], exec, -1
; %bb.3135:
	s_or_b64 exec, exec, s[8:9]
	s_and_b64 s[4:5], s[4:5], exec
	s_or_saveexec_b64 s[6:7], s[6:7]
	v_mov_b32_e32 v14, s10
	s_xor_b64 exec, exec, s[6:7]
	s_cbranch_execz .LBB36_1086
.LBB36_3136:
	v_mov_b32_e32 v14, 0
	v_cmp_ne_u16_sdwa s[8:9], v11, v14 src0_sel:BYTE_3 src1_sel:DWORD
	s_andn2_b64 s[4:5], s[4:5], exec
	s_and_b64 s[8:9], s[8:9], exec
	s_or_b64 s[4:5], s[4:5], s[8:9]
	s_or_b64 exec, exec, s[6:7]
	s_and_saveexec_b64 s[6:7], s[4:5]
	s_cbranch_execnz .LBB36_1087
	s_branch .LBB36_1088
.LBB36_3137:
	s_movk_i32 s4, 0x80
	v_cmp_eq_u16_sdwa s[12:13], v16, s4 src0_sel:BYTE_0 src1_sel:DWORD
	s_mov_b64 s[4:5], -1
                                        ; implicit-def: $sgpr10
	s_and_saveexec_b64 s[8:9], s[12:13]
; %bb.3138:
	s_mov_b32 s10, 0x7f800001
	s_xor_b64 s[4:5], exec, -1
; %bb.3139:
	s_or_b64 exec, exec, s[8:9]
	s_and_b64 s[4:5], s[4:5], exec
	s_or_saveexec_b64 s[6:7], s[6:7]
	v_mov_b32_e32 v10, s10
	s_xor_b64 exec, exec, s[6:7]
	s_cbranch_execz .LBB36_1090
.LBB36_3140:
	v_mov_b32_e32 v10, 0
	v_cmp_ne_u16_sdwa s[8:9], v16, v10 src0_sel:BYTE_0 src1_sel:DWORD
	s_andn2_b64 s[4:5], s[4:5], exec
	s_and_b64 s[8:9], s[8:9], exec
	s_or_b64 s[4:5], s[4:5], s[8:9]
	s_or_b64 exec, exec, s[6:7]
	s_and_saveexec_b64 s[6:7], s[4:5]
	s_cbranch_execnz .LBB36_1091
	s_branch .LBB36_1092
.LBB36_3141:
	s_movk_i32 s4, 0x80
	v_cmp_eq_u16_sdwa s[12:13], v12, s4 src0_sel:BYTE_0 src1_sel:DWORD
	s_mov_b64 s[4:5], -1
                                        ; implicit-def: $sgpr10
	s_and_saveexec_b64 s[8:9], s[12:13]
; %bb.3142:
	s_mov_b32 s10, 0x7f800001
	s_xor_b64 s[4:5], exec, -1
; %bb.3143:
	s_or_b64 exec, exec, s[8:9]
	s_and_b64 s[4:5], s[4:5], exec
	s_or_saveexec_b64 s[6:7], s[6:7]
	v_mov_b32_e32 v11, s10
	s_xor_b64 exec, exec, s[6:7]
	s_cbranch_execz .LBB36_1094
.LBB36_3144:
	v_mov_b32_e32 v11, 0
	v_cmp_ne_u16_sdwa s[8:9], v12, v11 src0_sel:BYTE_0 src1_sel:DWORD
	s_andn2_b64 s[4:5], s[4:5], exec
	s_and_b64 s[8:9], s[8:9], exec
	s_or_b64 s[4:5], s[4:5], s[8:9]
	s_or_b64 exec, exec, s[6:7]
	s_and_saveexec_b64 s[6:7], s[4:5]
	s_cbranch_execnz .LBB36_1095
	s_branch .LBB36_1096
.LBB36_3145:
	s_movk_i32 s4, 0x80
	v_cmp_eq_u16_sdwa s[12:13], v11, s4 src0_sel:BYTE_0 src1_sel:DWORD
	s_mov_b64 s[4:5], -1
                                        ; implicit-def: $sgpr10
	s_and_saveexec_b64 s[8:9], s[12:13]
; %bb.3146:
	s_mov_b32 s10, 0x7f800001
	s_xor_b64 s[4:5], exec, -1
; %bb.3147:
	s_or_b64 exec, exec, s[8:9]
	s_and_b64 s[4:5], s[4:5], exec
	s_or_saveexec_b64 s[6:7], s[6:7]
	v_mov_b32_e32 v10, s10
	s_xor_b64 exec, exec, s[6:7]
	s_cbranch_execz .LBB36_1098
.LBB36_3148:
	v_mov_b32_e32 v10, 0
	v_cmp_ne_u16_sdwa s[8:9], v11, v10 src0_sel:BYTE_0 src1_sel:DWORD
	s_andn2_b64 s[4:5], s[4:5], exec
	s_and_b64 s[8:9], s[8:9], exec
	s_or_b64 s[4:5], s[4:5], s[8:9]
	s_or_b64 exec, exec, s[6:7]
	s_and_saveexec_b64 s[6:7], s[4:5]
	s_cbranch_execnz .LBB36_1099
	s_branch .LBB36_1100
.LBB36_3149:
	s_movk_i32 s4, 0x80
	v_cmp_eq_u16_sdwa s[12:13], v11, s4 src0_sel:BYTE_0 src1_sel:DWORD
	s_mov_b64 s[4:5], -1
                                        ; implicit-def: $sgpr10
	s_and_saveexec_b64 s[8:9], s[12:13]
; %bb.3150:
	s_mov_b32 s10, 0x7f800001
	s_xor_b64 s[4:5], exec, -1
; %bb.3151:
	s_or_b64 exec, exec, s[8:9]
	s_and_b64 s[4:5], s[4:5], exec
	s_or_saveexec_b64 s[6:7], s[6:7]
	v_mov_b32_e32 v14, s10
	s_xor_b64 exec, exec, s[6:7]
	s_cbranch_execz .LBB36_1102
.LBB36_3152:
	v_mov_b32_e32 v14, 0
	v_cmp_ne_u16_sdwa s[8:9], v11, v14 src0_sel:BYTE_0 src1_sel:DWORD
	s_andn2_b64 s[4:5], s[4:5], exec
	s_and_b64 s[8:9], s[8:9], exec
	s_or_b64 s[4:5], s[4:5], s[8:9]
	s_or_b64 exec, exec, s[6:7]
	s_and_saveexec_b64 s[6:7], s[4:5]
	s_cbranch_execnz .LBB36_1103
	s_branch .LBB36_1104
.LBB36_3153:
	s_movk_i32 s4, 0x80
	v_cmp_eq_u16_e32 vcc, s4, v11
	s_mov_b64 s[4:5], -1
                                        ; implicit-def: $sgpr10
	s_and_saveexec_b64 s[8:9], vcc
; %bb.3154:
	s_mov_b32 s10, 0x7f800001
	s_xor_b64 s[4:5], exec, -1
; %bb.3155:
	s_or_b64 exec, exec, s[8:9]
	s_and_b64 s[4:5], s[4:5], exec
                                        ; implicit-def: $vgpr11
	s_or_saveexec_b64 s[6:7], s[6:7]
	v_mov_b32_e32 v10, s10
	s_xor_b64 exec, exec, s[6:7]
	s_cbranch_execz .LBB36_1106
.LBB36_3156:
	v_cmp_ne_u16_e32 vcc, 0, v11
	s_andn2_b64 s[4:5], s[4:5], exec
	s_and_b64 s[8:9], vcc, exec
	v_mov_b32_e32 v10, 0
	s_or_b64 s[4:5], s[4:5], s[8:9]
	s_or_b64 exec, exec, s[6:7]
	s_and_saveexec_b64 s[6:7], s[4:5]
	s_cbranch_execnz .LBB36_1107
	s_branch .LBB36_1108
.LBB36_3157:
	s_movk_i32 s4, 0x80
	v_cmp_eq_u16_e32 vcc, s4, v11
	s_mov_b64 s[4:5], -1
                                        ; implicit-def: $sgpr10
	s_and_saveexec_b64 s[8:9], vcc
; %bb.3158:
	s_mov_b32 s10, 0x7f800001
	s_xor_b64 s[4:5], exec, -1
; %bb.3159:
	s_or_b64 exec, exec, s[8:9]
	s_and_b64 s[4:5], s[4:5], exec
                                        ; implicit-def: $vgpr11
	s_or_saveexec_b64 s[6:7], s[6:7]
	v_mov_b32_e32 v14, s10
	s_xor_b64 exec, exec, s[6:7]
	s_cbranch_execz .LBB36_1110
.LBB36_3160:
	v_cmp_ne_u16_e32 vcc, 0, v11
	s_andn2_b64 s[4:5], s[4:5], exec
	s_and_b64 s[8:9], vcc, exec
	v_mov_b32_e32 v14, 0
	s_or_b64 s[4:5], s[4:5], s[8:9]
	s_or_b64 exec, exec, s[6:7]
	s_and_saveexec_b64 s[6:7], s[4:5]
	s_cbranch_execnz .LBB36_1111
	s_branch .LBB36_1112
.LBB36_3161:
	s_movk_i32 s4, 0x80
	v_cmp_eq_u16_sdwa s[12:13], v16, s4 src0_sel:BYTE_3 src1_sel:DWORD
	s_mov_b64 s[4:5], -1
                                        ; implicit-def: $sgpr10
	s_and_saveexec_b64 s[8:9], s[12:13]
; %bb.3162:
	s_mov_b32 s10, 0x7f800001
	s_xor_b64 s[4:5], exec, -1
; %bb.3163:
	s_or_b64 exec, exec, s[8:9]
	s_and_b64 s[4:5], s[4:5], exec
	s_or_saveexec_b64 s[6:7], s[6:7]
	v_mov_b32_e32 v10, s10
	s_xor_b64 exec, exec, s[6:7]
	s_cbranch_execz .LBB36_1114
.LBB36_3164:
	v_mov_b32_e32 v10, 0
	v_cmp_ne_u16_sdwa s[8:9], v16, v10 src0_sel:BYTE_3 src1_sel:DWORD
	s_andn2_b64 s[4:5], s[4:5], exec
	s_and_b64 s[8:9], s[8:9], exec
	s_or_b64 s[4:5], s[4:5], s[8:9]
	s_or_b64 exec, exec, s[6:7]
	s_and_saveexec_b64 s[6:7], s[4:5]
	s_cbranch_execnz .LBB36_1115
	s_branch .LBB36_1116
.LBB36_3165:
	s_movk_i32 s4, 0x80
	v_cmp_eq_u16_sdwa s[12:13], v12, s4 src0_sel:BYTE_3 src1_sel:DWORD
	s_mov_b64 s[4:5], -1
                                        ; implicit-def: $sgpr10
	s_and_saveexec_b64 s[8:9], s[12:13]
; %bb.3166:
	s_mov_b32 s10, 0x7f800001
	s_xor_b64 s[4:5], exec, -1
; %bb.3167:
	s_or_b64 exec, exec, s[8:9]
	s_and_b64 s[4:5], s[4:5], exec
	s_or_saveexec_b64 s[6:7], s[6:7]
	v_mov_b32_e32 v11, s10
	s_xor_b64 exec, exec, s[6:7]
	s_cbranch_execz .LBB36_1118
.LBB36_3168:
	v_mov_b32_e32 v11, 0
	v_cmp_ne_u16_sdwa s[8:9], v12, v11 src0_sel:BYTE_3 src1_sel:DWORD
	s_andn2_b64 s[4:5], s[4:5], exec
	s_and_b64 s[8:9], s[8:9], exec
	s_or_b64 s[4:5], s[4:5], s[8:9]
	s_or_b64 exec, exec, s[6:7]
	s_and_saveexec_b64 s[6:7], s[4:5]
	s_cbranch_execnz .LBB36_1119
	s_branch .LBB36_1120
.LBB36_3169:
	s_movk_i32 s4, 0x80
	v_cmp_eq_u16_sdwa s[12:13], v17, s4 src0_sel:BYTE_0 src1_sel:DWORD
	s_mov_b64 s[4:5], -1
                                        ; implicit-def: $sgpr10
	s_and_saveexec_b64 s[8:9], s[12:13]
; %bb.3170:
	s_mov_b32 s10, 0x7f800001
	s_xor_b64 s[4:5], exec, -1
; %bb.3171:
	s_or_b64 exec, exec, s[8:9]
	s_and_b64 s[4:5], s[4:5], exec
	s_or_saveexec_b64 s[6:7], s[6:7]
	v_mov_b32_e32 v10, s10
	s_xor_b64 exec, exec, s[6:7]
	s_cbranch_execz .LBB36_1122
.LBB36_3172:
	v_mov_b32_e32 v10, 0
	v_cmp_ne_u16_sdwa s[8:9], v17, v10 src0_sel:BYTE_0 src1_sel:DWORD
	s_andn2_b64 s[4:5], s[4:5], exec
	s_and_b64 s[8:9], s[8:9], exec
	s_or_b64 s[4:5], s[4:5], s[8:9]
	s_or_b64 exec, exec, s[6:7]
	s_and_saveexec_b64 s[6:7], s[4:5]
	s_cbranch_execnz .LBB36_1123
	s_branch .LBB36_1124
.LBB36_3173:
	s_movk_i32 s4, 0x80
	v_cmp_eq_u16_sdwa s[12:13], v13, s4 src0_sel:BYTE_0 src1_sel:DWORD
	s_mov_b64 s[4:5], -1
                                        ; implicit-def: $sgpr10
	s_and_saveexec_b64 s[8:9], s[12:13]
; %bb.3174:
	s_mov_b32 s10, 0x7f800001
	s_xor_b64 s[4:5], exec, -1
; %bb.3175:
	s_or_b64 exec, exec, s[8:9]
	s_and_b64 s[4:5], s[4:5], exec
	s_or_saveexec_b64 s[6:7], s[6:7]
	v_mov_b32_e32 v11, s10
	s_xor_b64 exec, exec, s[6:7]
	s_cbranch_execz .LBB36_1126
.LBB36_3176:
	v_mov_b32_e32 v11, 0
	v_cmp_ne_u16_sdwa s[8:9], v13, v11 src0_sel:BYTE_0 src1_sel:DWORD
	s_andn2_b64 s[4:5], s[4:5], exec
	s_and_b64 s[8:9], s[8:9], exec
	s_or_b64 s[4:5], s[4:5], s[8:9]
	s_or_b64 exec, exec, s[6:7]
	s_and_saveexec_b64 s[6:7], s[4:5]
	s_cbranch_execnz .LBB36_1127
	s_branch .LBB36_1128
.LBB36_3177:
	s_movk_i32 s4, 0x80
	v_cmp_eq_u16_sdwa s[12:13], v11, s4 src0_sel:BYTE_0 src1_sel:DWORD
	s_mov_b64 s[4:5], -1
                                        ; implicit-def: $sgpr10
	s_and_saveexec_b64 s[8:9], s[12:13]
; %bb.3178:
	s_mov_b32 s10, 0x7f800001
	s_xor_b64 s[4:5], exec, -1
; %bb.3179:
	s_or_b64 exec, exec, s[8:9]
	s_and_b64 s[4:5], s[4:5], exec
	s_or_saveexec_b64 s[6:7], s[6:7]
	v_mov_b32_e32 v10, s10
	s_xor_b64 exec, exec, s[6:7]
	s_cbranch_execz .LBB36_1130
.LBB36_3180:
	v_mov_b32_e32 v10, 0
	v_cmp_ne_u16_sdwa s[8:9], v11, v10 src0_sel:BYTE_0 src1_sel:DWORD
	s_andn2_b64 s[4:5], s[4:5], exec
	s_and_b64 s[8:9], s[8:9], exec
	s_or_b64 s[4:5], s[4:5], s[8:9]
	s_or_b64 exec, exec, s[6:7]
	s_and_saveexec_b64 s[6:7], s[4:5]
	s_cbranch_execnz .LBB36_1131
	s_branch .LBB36_1132
.LBB36_3181:
	s_movk_i32 s4, 0x80
	v_cmp_eq_u16_sdwa s[12:13], v11, s4 src0_sel:BYTE_0 src1_sel:DWORD
	s_mov_b64 s[4:5], -1
                                        ; implicit-def: $sgpr10
	s_and_saveexec_b64 s[8:9], s[12:13]
; %bb.3182:
	s_mov_b32 s10, 0x7f800001
	s_xor_b64 s[4:5], exec, -1
; %bb.3183:
	s_or_b64 exec, exec, s[8:9]
	s_and_b64 s[4:5], s[4:5], exec
	s_or_saveexec_b64 s[6:7], s[6:7]
	v_mov_b32_e32 v12, s10
	s_xor_b64 exec, exec, s[6:7]
	s_cbranch_execz .LBB36_1134
.LBB36_3184:
	v_mov_b32_e32 v12, 0
	v_cmp_ne_u16_sdwa s[8:9], v11, v12 src0_sel:BYTE_0 src1_sel:DWORD
	s_andn2_b64 s[4:5], s[4:5], exec
	s_and_b64 s[8:9], s[8:9], exec
	s_or_b64 s[4:5], s[4:5], s[8:9]
	s_or_b64 exec, exec, s[6:7]
	s_and_saveexec_b64 s[6:7], s[4:5]
	s_cbranch_execnz .LBB36_1135
	s_branch .LBB36_1136
.LBB36_3185:
	s_movk_i32 s4, 0x80
	v_cmp_eq_u16_e32 vcc, s4, v11
	s_mov_b64 s[4:5], -1
                                        ; implicit-def: $sgpr10
	s_and_saveexec_b64 s[8:9], vcc
; %bb.3186:
	s_mov_b32 s10, 0x7f800001
	s_xor_b64 s[4:5], exec, -1
; %bb.3187:
	s_or_b64 exec, exec, s[8:9]
	s_and_b64 s[4:5], s[4:5], exec
                                        ; implicit-def: $vgpr11
	s_or_saveexec_b64 s[6:7], s[6:7]
	v_mov_b32_e32 v10, s10
	s_xor_b64 exec, exec, s[6:7]
	s_cbranch_execz .LBB36_1138
.LBB36_3188:
	v_cmp_ne_u16_e32 vcc, 0, v11
	s_andn2_b64 s[4:5], s[4:5], exec
	s_and_b64 s[8:9], vcc, exec
	v_mov_b32_e32 v10, 0
	s_or_b64 s[4:5], s[4:5], s[8:9]
	s_or_b64 exec, exec, s[6:7]
	s_and_saveexec_b64 s[6:7], s[4:5]
	s_cbranch_execnz .LBB36_1139
	s_branch .LBB36_1140
.LBB36_3189:
	s_movk_i32 s4, 0x80
	v_cmp_eq_u16_e32 vcc, s4, v11
	s_mov_b64 s[4:5], -1
                                        ; implicit-def: $sgpr10
	s_and_saveexec_b64 s[8:9], vcc
; %bb.3190:
	s_mov_b32 s10, 0x7f800001
	s_xor_b64 s[4:5], exec, -1
; %bb.3191:
	s_or_b64 exec, exec, s[8:9]
	s_and_b64 s[4:5], s[4:5], exec
                                        ; implicit-def: $vgpr11
	s_or_saveexec_b64 s[6:7], s[6:7]
	v_mov_b32_e32 v12, s10
	s_xor_b64 exec, exec, s[6:7]
	s_cbranch_execz .LBB36_1142
.LBB36_3192:
	v_cmp_ne_u16_e32 vcc, 0, v11
	s_andn2_b64 s[4:5], s[4:5], exec
	s_and_b64 s[8:9], vcc, exec
	v_mov_b32_e32 v12, 0
	s_or_b64 s[4:5], s[4:5], s[8:9]
	s_or_b64 exec, exec, s[6:7]
	s_and_saveexec_b64 s[6:7], s[4:5]
	s_cbranch_execnz .LBB36_1143
	s_branch .LBB36_1144
.LBB36_3193:
	s_movk_i32 s4, 0x80
	v_cmp_eq_u16_sdwa s[12:13], v17, s4 src0_sel:BYTE_3 src1_sel:DWORD
	s_mov_b64 s[4:5], -1
                                        ; implicit-def: $sgpr10
	s_and_saveexec_b64 s[8:9], s[12:13]
; %bb.3194:
	s_mov_b32 s10, 0x7f800001
	s_xor_b64 s[4:5], exec, -1
; %bb.3195:
	s_or_b64 exec, exec, s[8:9]
	s_and_b64 s[4:5], s[4:5], exec
	s_or_saveexec_b64 s[6:7], s[6:7]
	v_mov_b32_e32 v10, s10
	s_xor_b64 exec, exec, s[6:7]
	s_cbranch_execz .LBB36_1146
.LBB36_3196:
	v_mov_b32_e32 v10, 0
	v_cmp_ne_u16_sdwa s[8:9], v17, v10 src0_sel:BYTE_3 src1_sel:DWORD
	s_andn2_b64 s[4:5], s[4:5], exec
	s_and_b64 s[8:9], s[8:9], exec
	s_or_b64 s[4:5], s[4:5], s[8:9]
	s_or_b64 exec, exec, s[6:7]
	s_and_saveexec_b64 s[6:7], s[4:5]
	s_cbranch_execnz .LBB36_1147
	s_branch .LBB36_1148
.LBB36_3197:
	s_movk_i32 s4, 0x80
	v_cmp_eq_u16_sdwa s[12:13], v13, s4 src0_sel:BYTE_3 src1_sel:DWORD
	s_mov_b64 s[4:5], -1
                                        ; implicit-def: $sgpr10
	s_and_saveexec_b64 s[8:9], s[12:13]
; %bb.3198:
	s_mov_b32 s10, 0x7f800001
	s_xor_b64 s[4:5], exec, -1
; %bb.3199:
	s_or_b64 exec, exec, s[8:9]
	s_and_b64 s[4:5], s[4:5], exec
	s_or_saveexec_b64 s[6:7], s[6:7]
	v_mov_b32_e32 v11, s10
	s_xor_b64 exec, exec, s[6:7]
	s_cbranch_execz .LBB36_1150
.LBB36_3200:
	v_mov_b32_e32 v11, 0
	v_cmp_ne_u16_sdwa s[8:9], v13, v11 src0_sel:BYTE_3 src1_sel:DWORD
	s_andn2_b64 s[4:5], s[4:5], exec
	s_and_b64 s[8:9], s[8:9], exec
	s_or_b64 s[4:5], s[4:5], s[8:9]
	s_or_b64 exec, exec, s[6:7]
	s_and_saveexec_b64 s[6:7], s[4:5]
	s_cbranch_execnz .LBB36_1151
	s_branch .LBB36_1152
.LBB36_3201:
	s_movk_i32 s4, 0x80
	v_cmp_eq_u16_sdwa s[12:13], v6, s4 src0_sel:BYTE_0 src1_sel:DWORD
	s_mov_b64 s[4:5], -1
                                        ; implicit-def: $sgpr10
	s_and_saveexec_b64 s[8:9], s[12:13]
; %bb.3202:
	s_mov_b32 s10, 0x7f800001
	s_xor_b64 s[4:5], exec, -1
; %bb.3203:
	s_or_b64 exec, exec, s[8:9]
	s_and_b64 s[4:5], s[4:5], exec
	s_or_saveexec_b64 s[6:7], s[6:7]
	v_mov_b32_e32 v10, s10
	s_xor_b64 exec, exec, s[6:7]
	s_cbranch_execz .LBB36_1154
.LBB36_3204:
	v_mov_b32_e32 v10, 0
	v_cmp_ne_u16_sdwa s[8:9], v6, v10 src0_sel:BYTE_0 src1_sel:DWORD
	s_andn2_b64 s[4:5], s[4:5], exec
	s_and_b64 s[8:9], s[8:9], exec
	s_or_b64 s[4:5], s[4:5], s[8:9]
	s_or_b64 exec, exec, s[6:7]
	s_and_saveexec_b64 s[6:7], s[4:5]
	s_cbranch_execnz .LBB36_1155
	s_branch .LBB36_1156
.LBB36_3205:
	s_movk_i32 s4, 0x80
	v_cmp_eq_u16_sdwa s[12:13], v2, s4 src0_sel:BYTE_0 src1_sel:DWORD
	s_mov_b64 s[4:5], -1
                                        ; implicit-def: $sgpr10
	s_and_saveexec_b64 s[8:9], s[12:13]
; %bb.3206:
	s_mov_b32 s10, 0x7f800001
	s_xor_b64 s[4:5], exec, -1
; %bb.3207:
	s_or_b64 exec, exec, s[8:9]
	s_and_b64 s[4:5], s[4:5], exec
	s_or_saveexec_b64 s[6:7], s[6:7]
	v_mov_b32_e32 v11, s10
	s_xor_b64 exec, exec, s[6:7]
	s_cbranch_execz .LBB36_1158
.LBB36_3208:
	v_mov_b32_e32 v11, 0
	v_cmp_ne_u16_sdwa s[8:9], v2, v11 src0_sel:BYTE_0 src1_sel:DWORD
	s_andn2_b64 s[4:5], s[4:5], exec
	s_and_b64 s[8:9], s[8:9], exec
	s_or_b64 s[4:5], s[4:5], s[8:9]
	s_or_b64 exec, exec, s[6:7]
	s_and_saveexec_b64 s[6:7], s[4:5]
	s_cbranch_execnz .LBB36_1159
	s_branch .LBB36_1160
.LBB36_3209:
	s_movk_i32 s4, 0x80
	v_cmp_eq_u16_sdwa s[12:13], v11, s4 src0_sel:BYTE_0 src1_sel:DWORD
	s_mov_b64 s[4:5], -1
                                        ; implicit-def: $sgpr10
	s_and_saveexec_b64 s[8:9], s[12:13]
; %bb.3210:
	s_mov_b32 s10, 0x7f800001
	s_xor_b64 s[4:5], exec, -1
; %bb.3211:
	s_or_b64 exec, exec, s[8:9]
	s_and_b64 s[4:5], s[4:5], exec
	s_or_saveexec_b64 s[6:7], s[6:7]
	v_mov_b32_e32 v10, s10
	s_xor_b64 exec, exec, s[6:7]
	s_cbranch_execz .LBB36_1162
.LBB36_3212:
	v_mov_b32_e32 v10, 0
	v_cmp_ne_u16_sdwa s[8:9], v11, v10 src0_sel:BYTE_0 src1_sel:DWORD
	s_andn2_b64 s[4:5], s[4:5], exec
	s_and_b64 s[8:9], s[8:9], exec
	s_or_b64 s[4:5], s[4:5], s[8:9]
	s_or_b64 exec, exec, s[6:7]
	s_and_saveexec_b64 s[6:7], s[4:5]
	s_cbranch_execnz .LBB36_1163
	s_branch .LBB36_1164
.LBB36_3213:
	s_movk_i32 s4, 0x80
	v_cmp_eq_u16_sdwa s[12:13], v11, s4 src0_sel:BYTE_0 src1_sel:DWORD
	s_mov_b64 s[4:5], -1
                                        ; implicit-def: $sgpr10
	s_and_saveexec_b64 s[8:9], s[12:13]
; %bb.3214:
	s_mov_b32 s10, 0x7f800001
	s_xor_b64 s[4:5], exec, -1
; %bb.3215:
	s_or_b64 exec, exec, s[8:9]
	s_and_b64 s[4:5], s[4:5], exec
	s_or_saveexec_b64 s[6:7], s[6:7]
	v_mov_b32_e32 v12, s10
	s_xor_b64 exec, exec, s[6:7]
	s_cbranch_execz .LBB36_1166
.LBB36_3216:
	v_mov_b32_e32 v12, 0
	v_cmp_ne_u16_sdwa s[8:9], v11, v12 src0_sel:BYTE_0 src1_sel:DWORD
	s_andn2_b64 s[4:5], s[4:5], exec
	s_and_b64 s[8:9], s[8:9], exec
	s_or_b64 s[4:5], s[4:5], s[8:9]
	s_or_b64 exec, exec, s[6:7]
	s_and_saveexec_b64 s[6:7], s[4:5]
	s_cbranch_execnz .LBB36_1167
	s_branch .LBB36_1168
.LBB36_3217:
	s_movk_i32 s4, 0x80
	v_cmp_eq_u16_e32 vcc, s4, v11
	s_mov_b64 s[4:5], -1
                                        ; implicit-def: $sgpr10
	s_and_saveexec_b64 s[8:9], vcc
; %bb.3218:
	s_mov_b32 s10, 0x7f800001
	s_xor_b64 s[4:5], exec, -1
; %bb.3219:
	s_or_b64 exec, exec, s[8:9]
	s_and_b64 s[4:5], s[4:5], exec
                                        ; implicit-def: $vgpr11
	s_or_saveexec_b64 s[6:7], s[6:7]
	v_mov_b32_e32 v10, s10
	s_xor_b64 exec, exec, s[6:7]
	s_cbranch_execz .LBB36_1170
.LBB36_3220:
	v_cmp_ne_u16_e32 vcc, 0, v11
	s_andn2_b64 s[4:5], s[4:5], exec
	s_and_b64 s[8:9], vcc, exec
	v_mov_b32_e32 v10, 0
	s_or_b64 s[4:5], s[4:5], s[8:9]
	s_or_b64 exec, exec, s[6:7]
	s_and_saveexec_b64 s[6:7], s[4:5]
	s_cbranch_execnz .LBB36_1171
	s_branch .LBB36_1172
.LBB36_3221:
	s_movk_i32 s4, 0x80
	v_cmp_eq_u16_e32 vcc, s4, v11
	s_mov_b64 s[4:5], -1
                                        ; implicit-def: $sgpr10
	s_and_saveexec_b64 s[8:9], vcc
; %bb.3222:
	s_mov_b32 s10, 0x7f800001
	s_xor_b64 s[4:5], exec, -1
; %bb.3223:
	s_or_b64 exec, exec, s[8:9]
	s_and_b64 s[4:5], s[4:5], exec
                                        ; implicit-def: $vgpr11
	s_or_saveexec_b64 s[6:7], s[6:7]
	v_mov_b32_e32 v12, s10
	s_xor_b64 exec, exec, s[6:7]
	s_cbranch_execz .LBB36_1174
.LBB36_3224:
	v_cmp_ne_u16_e32 vcc, 0, v11
	s_andn2_b64 s[4:5], s[4:5], exec
	s_and_b64 s[8:9], vcc, exec
	v_mov_b32_e32 v12, 0
	s_or_b64 s[4:5], s[4:5], s[8:9]
	s_or_b64 exec, exec, s[6:7]
	s_and_saveexec_b64 s[6:7], s[4:5]
	s_cbranch_execnz .LBB36_1175
	s_branch .LBB36_1176
.LBB36_3225:
	s_movk_i32 s4, 0x80
	v_cmp_eq_u16_sdwa s[12:13], v6, s4 src0_sel:BYTE_3 src1_sel:DWORD
	s_mov_b64 s[4:5], -1
                                        ; implicit-def: $sgpr10
	s_and_saveexec_b64 s[8:9], s[12:13]
; %bb.3226:
	s_mov_b32 s10, 0x7f800001
	s_xor_b64 s[4:5], exec, -1
; %bb.3227:
	s_or_b64 exec, exec, s[8:9]
	s_and_b64 s[4:5], s[4:5], exec
	s_or_saveexec_b64 s[6:7], s[6:7]
	v_mov_b32_e32 v10, s10
	s_xor_b64 exec, exec, s[6:7]
	s_cbranch_execz .LBB36_1178
.LBB36_3228:
	v_mov_b32_e32 v10, 0
	v_cmp_ne_u16_sdwa s[8:9], v6, v10 src0_sel:BYTE_3 src1_sel:DWORD
	s_andn2_b64 s[4:5], s[4:5], exec
	s_and_b64 s[8:9], s[8:9], exec
	s_or_b64 s[4:5], s[4:5], s[8:9]
	s_or_b64 exec, exec, s[6:7]
	s_and_saveexec_b64 s[6:7], s[4:5]
	s_cbranch_execnz .LBB36_1179
	s_branch .LBB36_1180
.LBB36_3229:
	s_movk_i32 s4, 0x80
	v_cmp_eq_u16_sdwa s[12:13], v2, s4 src0_sel:BYTE_3 src1_sel:DWORD
	s_mov_b64 s[4:5], -1
                                        ; implicit-def: $sgpr10
	s_and_saveexec_b64 s[8:9], s[12:13]
; %bb.3230:
	s_mov_b32 s10, 0x7f800001
	s_xor_b64 s[4:5], exec, -1
; %bb.3231:
	s_or_b64 exec, exec, s[8:9]
	s_and_b64 s[4:5], s[4:5], exec
	s_or_saveexec_b64 s[6:7], s[6:7]
	v_mov_b32_e32 v6, s10
	s_xor_b64 exec, exec, s[6:7]
	s_cbranch_execz .LBB36_1182
.LBB36_3232:
	v_mov_b32_e32 v6, 0
	v_cmp_ne_u16_sdwa s[8:9], v2, v6 src0_sel:BYTE_3 src1_sel:DWORD
	s_andn2_b64 s[4:5], s[4:5], exec
	s_and_b64 s[8:9], s[8:9], exec
	s_or_b64 s[4:5], s[4:5], s[8:9]
	s_or_b64 exec, exec, s[6:7]
	s_and_saveexec_b64 s[6:7], s[4:5]
	s_cbranch_execnz .LBB36_1183
	s_branch .LBB36_1184
.LBB36_3233:
	s_movk_i32 s4, 0x80
	v_cmp_eq_u16_sdwa s[12:13], v7, s4 src0_sel:BYTE_0 src1_sel:DWORD
	s_mov_b64 s[4:5], -1
                                        ; implicit-def: $sgpr10
	s_and_saveexec_b64 s[8:9], s[12:13]
; %bb.3234:
	s_mov_b32 s10, 0x7f800001
	s_xor_b64 s[4:5], exec, -1
; %bb.3235:
	s_or_b64 exec, exec, s[8:9]
	s_and_b64 s[4:5], s[4:5], exec
	s_or_saveexec_b64 s[6:7], s[6:7]
	v_mov_b32_e32 v2, s10
	s_xor_b64 exec, exec, s[6:7]
	s_cbranch_execz .LBB36_1186
.LBB36_3236:
	v_mov_b32_e32 v2, 0
	v_cmp_ne_u16_sdwa s[8:9], v7, v2 src0_sel:BYTE_0 src1_sel:DWORD
	s_andn2_b64 s[4:5], s[4:5], exec
	s_and_b64 s[8:9], s[8:9], exec
	s_or_b64 s[4:5], s[4:5], s[8:9]
	s_or_b64 exec, exec, s[6:7]
	s_and_saveexec_b64 s[6:7], s[4:5]
	s_cbranch_execnz .LBB36_1187
	s_branch .LBB36_1188
.LBB36_3237:
	s_movk_i32 s4, 0x80
	v_cmp_eq_u16_sdwa s[12:13], v3, s4 src0_sel:BYTE_0 src1_sel:DWORD
	s_mov_b64 s[4:5], -1
                                        ; implicit-def: $sgpr10
	s_and_saveexec_b64 s[8:9], s[12:13]
; %bb.3238:
	s_mov_b32 s10, 0x7f800001
	s_xor_b64 s[4:5], exec, -1
; %bb.3239:
	s_or_b64 exec, exec, s[8:9]
	s_and_b64 s[4:5], s[4:5], exec
	s_or_saveexec_b64 s[6:7], s[6:7]
	v_mov_b32_e32 v6, s10
	s_xor_b64 exec, exec, s[6:7]
	s_cbranch_execz .LBB36_1190
.LBB36_3240:
	v_mov_b32_e32 v6, 0
	v_cmp_ne_u16_sdwa s[8:9], v3, v6 src0_sel:BYTE_0 src1_sel:DWORD
	s_andn2_b64 s[4:5], s[4:5], exec
	s_and_b64 s[8:9], s[8:9], exec
	s_or_b64 s[4:5], s[4:5], s[8:9]
	s_or_b64 exec, exec, s[6:7]
	s_and_saveexec_b64 s[6:7], s[4:5]
	s_cbranch_execnz .LBB36_1191
	s_branch .LBB36_1192
.LBB36_3241:
	s_movk_i32 s4, 0x80
	v_cmp_eq_u16_sdwa s[12:13], v6, s4 src0_sel:BYTE_0 src1_sel:DWORD
	s_mov_b64 s[4:5], -1
                                        ; implicit-def: $sgpr10
	s_and_saveexec_b64 s[8:9], s[12:13]
; %bb.3242:
	s_mov_b32 s10, 0x7f800001
	s_xor_b64 s[4:5], exec, -1
; %bb.3243:
	s_or_b64 exec, exec, s[8:9]
	s_and_b64 s[4:5], s[4:5], exec
	s_or_saveexec_b64 s[6:7], s[6:7]
	v_mov_b32_e32 v2, s10
	s_xor_b64 exec, exec, s[6:7]
	s_cbranch_execz .LBB36_1194
.LBB36_3244:
	v_mov_b32_e32 v2, 0
	v_cmp_ne_u16_sdwa s[8:9], v6, v2 src0_sel:BYTE_0 src1_sel:DWORD
	s_andn2_b64 s[4:5], s[4:5], exec
	s_and_b64 s[8:9], s[8:9], exec
	s_or_b64 s[4:5], s[4:5], s[8:9]
	s_or_b64 exec, exec, s[6:7]
	s_and_saveexec_b64 s[6:7], s[4:5]
	s_cbranch_execnz .LBB36_1195
	s_branch .LBB36_1196
.LBB36_3245:
	s_movk_i32 s4, 0x80
	v_cmp_eq_u16_sdwa s[12:13], v6, s4 src0_sel:BYTE_0 src1_sel:DWORD
	s_mov_b64 s[4:5], -1
                                        ; implicit-def: $sgpr10
	s_and_saveexec_b64 s[8:9], s[12:13]
; %bb.3246:
	s_mov_b32 s10, 0x7f800001
	s_xor_b64 s[4:5], exec, -1
; %bb.3247:
	s_or_b64 exec, exec, s[8:9]
	s_and_b64 s[4:5], s[4:5], exec
	s_or_saveexec_b64 s[6:7], s[6:7]
	v_mov_b32_e32 v10, s10
	s_xor_b64 exec, exec, s[6:7]
	s_cbranch_execz .LBB36_1198
.LBB36_3248:
	v_mov_b32_e32 v10, 0
	v_cmp_ne_u16_sdwa s[8:9], v6, v10 src0_sel:BYTE_0 src1_sel:DWORD
	s_andn2_b64 s[4:5], s[4:5], exec
	s_and_b64 s[8:9], s[8:9], exec
	s_or_b64 s[4:5], s[4:5], s[8:9]
	s_or_b64 exec, exec, s[6:7]
	s_and_saveexec_b64 s[6:7], s[4:5]
	s_cbranch_execnz .LBB36_1199
	s_branch .LBB36_1200
.LBB36_3249:
	s_movk_i32 s4, 0x80
	v_cmp_eq_u16_e32 vcc, s4, v6
	s_mov_b64 s[4:5], -1
                                        ; implicit-def: $sgpr10
	s_and_saveexec_b64 s[8:9], vcc
; %bb.3250:
	s_mov_b32 s10, 0x7f800001
	s_xor_b64 s[4:5], exec, -1
; %bb.3251:
	s_or_b64 exec, exec, s[8:9]
	s_and_b64 s[4:5], s[4:5], exec
                                        ; implicit-def: $vgpr6
	s_or_saveexec_b64 s[6:7], s[6:7]
	v_mov_b32_e32 v2, s10
	s_xor_b64 exec, exec, s[6:7]
	s_cbranch_execz .LBB36_1202
.LBB36_3252:
	v_cmp_ne_u16_e32 vcc, 0, v6
	s_andn2_b64 s[4:5], s[4:5], exec
	s_and_b64 s[8:9], vcc, exec
	v_mov_b32_e32 v2, 0
	s_or_b64 s[4:5], s[4:5], s[8:9]
	s_or_b64 exec, exec, s[6:7]
	s_and_saveexec_b64 s[6:7], s[4:5]
	s_cbranch_execnz .LBB36_1203
	s_branch .LBB36_1204
.LBB36_3253:
	s_movk_i32 s4, 0x80
	v_cmp_eq_u16_e32 vcc, s4, v6
	s_mov_b64 s[4:5], -1
                                        ; implicit-def: $sgpr10
	s_and_saveexec_b64 s[8:9], vcc
; %bb.3254:
	s_mov_b32 s10, 0x7f800001
	s_xor_b64 s[4:5], exec, -1
; %bb.3255:
	s_or_b64 exec, exec, s[8:9]
	s_and_b64 s[4:5], s[4:5], exec
                                        ; implicit-def: $vgpr6
	s_or_saveexec_b64 s[6:7], s[6:7]
	v_mov_b32_e32 v10, s10
	s_xor_b64 exec, exec, s[6:7]
	s_cbranch_execz .LBB36_1206
.LBB36_3256:
	v_cmp_ne_u16_e32 vcc, 0, v6
	s_andn2_b64 s[4:5], s[4:5], exec
	s_and_b64 s[8:9], vcc, exec
	v_mov_b32_e32 v10, 0
	s_or_b64 s[4:5], s[4:5], s[8:9]
	s_or_b64 exec, exec, s[6:7]
	s_and_saveexec_b64 s[6:7], s[4:5]
	s_cbranch_execnz .LBB36_1207
	s_branch .LBB36_1208
.LBB36_3257:
	s_movk_i32 s4, 0x80
	v_cmp_eq_u16_sdwa s[12:13], v7, s4 src0_sel:BYTE_3 src1_sel:DWORD
	s_mov_b64 s[4:5], -1
                                        ; implicit-def: $sgpr10
	s_and_saveexec_b64 s[8:9], s[12:13]
; %bb.3258:
	s_mov_b32 s10, 0x7f800001
	s_xor_b64 s[4:5], exec, -1
; %bb.3259:
	s_or_b64 exec, exec, s[8:9]
	s_and_b64 s[4:5], s[4:5], exec
	s_or_saveexec_b64 s[6:7], s[6:7]
	v_mov_b32_e32 v2, s10
	s_xor_b64 exec, exec, s[6:7]
	s_cbranch_execz .LBB36_1210
.LBB36_3260:
	v_mov_b32_e32 v2, 0
	v_cmp_ne_u16_sdwa s[8:9], v7, v2 src0_sel:BYTE_3 src1_sel:DWORD
	s_andn2_b64 s[4:5], s[4:5], exec
	s_and_b64 s[8:9], s[8:9], exec
	s_or_b64 s[4:5], s[4:5], s[8:9]
	s_or_b64 exec, exec, s[6:7]
	s_and_saveexec_b64 s[6:7], s[4:5]
	s_cbranch_execnz .LBB36_1211
	s_branch .LBB36_1212
.LBB36_3261:
	s_movk_i32 s4, 0x80
	v_cmp_eq_u16_sdwa s[12:13], v3, s4 src0_sel:BYTE_3 src1_sel:DWORD
	s_mov_b64 s[4:5], -1
                                        ; implicit-def: $sgpr10
	s_and_saveexec_b64 s[8:9], s[12:13]
; %bb.3262:
	s_mov_b32 s10, 0x7f800001
	s_xor_b64 s[4:5], exec, -1
; %bb.3263:
	s_or_b64 exec, exec, s[8:9]
	s_and_b64 s[4:5], s[4:5], exec
	s_or_saveexec_b64 s[6:7], s[6:7]
	v_mov_b32_e32 v6, s10
	s_xor_b64 exec, exec, s[6:7]
	s_cbranch_execz .LBB36_1214
.LBB36_3264:
	v_mov_b32_e32 v6, 0
	v_cmp_ne_u16_sdwa s[8:9], v3, v6 src0_sel:BYTE_3 src1_sel:DWORD
	s_andn2_b64 s[4:5], s[4:5], exec
	s_and_b64 s[8:9], s[8:9], exec
	s_or_b64 s[4:5], s[4:5], s[8:9]
	s_or_b64 exec, exec, s[6:7]
	s_and_saveexec_b64 s[6:7], s[4:5]
	s_cbranch_execnz .LBB36_1215
	s_branch .LBB36_1216
.LBB36_3265:
	s_movk_i32 s4, 0x80
	v_cmp_eq_u16_sdwa s[12:13], v8, s4 src0_sel:BYTE_0 src1_sel:DWORD
	s_mov_b64 s[4:5], -1
                                        ; implicit-def: $sgpr10
	s_and_saveexec_b64 s[8:9], s[12:13]
; %bb.3266:
	s_mov_b32 s10, 0x7f800001
	s_xor_b64 s[4:5], exec, -1
; %bb.3267:
	s_or_b64 exec, exec, s[8:9]
	s_and_b64 s[4:5], s[4:5], exec
	s_or_saveexec_b64 s[6:7], s[6:7]
	v_mov_b32_e32 v2, s10
	s_xor_b64 exec, exec, s[6:7]
	s_cbranch_execz .LBB36_1218
.LBB36_3268:
	v_mov_b32_e32 v2, 0
	v_cmp_ne_u16_sdwa s[8:9], v8, v2 src0_sel:BYTE_0 src1_sel:DWORD
	s_andn2_b64 s[4:5], s[4:5], exec
	s_and_b64 s[8:9], s[8:9], exec
	s_or_b64 s[4:5], s[4:5], s[8:9]
	s_or_b64 exec, exec, s[6:7]
	s_and_saveexec_b64 s[6:7], s[4:5]
	s_cbranch_execnz .LBB36_1219
	s_branch .LBB36_1220
.LBB36_3269:
	s_movk_i32 s4, 0x80
	v_cmp_eq_u16_sdwa s[12:13], v4, s4 src0_sel:BYTE_0 src1_sel:DWORD
	s_mov_b64 s[4:5], -1
                                        ; implicit-def: $sgpr10
	s_and_saveexec_b64 s[8:9], s[12:13]
; %bb.3270:
	s_mov_b32 s10, 0x7f800001
	s_xor_b64 s[4:5], exec, -1
; %bb.3271:
	s_or_b64 exec, exec, s[8:9]
	s_and_b64 s[4:5], s[4:5], exec
	s_or_saveexec_b64 s[6:7], s[6:7]
	v_mov_b32_e32 v3, s10
	s_xor_b64 exec, exec, s[6:7]
	s_cbranch_execz .LBB36_1222
.LBB36_3272:
	v_mov_b32_e32 v3, 0
	v_cmp_ne_u16_sdwa s[8:9], v4, v3 src0_sel:BYTE_0 src1_sel:DWORD
	s_andn2_b64 s[4:5], s[4:5], exec
	s_and_b64 s[8:9], s[8:9], exec
	s_or_b64 s[4:5], s[4:5], s[8:9]
	s_or_b64 exec, exec, s[6:7]
	s_and_saveexec_b64 s[6:7], s[4:5]
	s_cbranch_execnz .LBB36_1223
	s_branch .LBB36_1224
.LBB36_3273:
	s_movk_i32 s4, 0x80
	v_cmp_eq_u16_sdwa s[12:13], v3, s4 src0_sel:BYTE_0 src1_sel:DWORD
	s_mov_b64 s[4:5], -1
                                        ; implicit-def: $sgpr10
	s_and_saveexec_b64 s[8:9], s[12:13]
; %bb.3274:
	s_mov_b32 s10, 0x7f800001
	s_xor_b64 s[4:5], exec, -1
; %bb.3275:
	s_or_b64 exec, exec, s[8:9]
	s_and_b64 s[4:5], s[4:5], exec
	s_or_saveexec_b64 s[6:7], s[6:7]
	v_mov_b32_e32 v2, s10
	s_xor_b64 exec, exec, s[6:7]
	s_cbranch_execz .LBB36_1226
.LBB36_3276:
	v_mov_b32_e32 v2, 0
	v_cmp_ne_u16_sdwa s[8:9], v3, v2 src0_sel:BYTE_0 src1_sel:DWORD
	s_andn2_b64 s[4:5], s[4:5], exec
	s_and_b64 s[8:9], s[8:9], exec
	s_or_b64 s[4:5], s[4:5], s[8:9]
	s_or_b64 exec, exec, s[6:7]
	s_and_saveexec_b64 s[6:7], s[4:5]
	s_cbranch_execnz .LBB36_1227
	s_branch .LBB36_1228
.LBB36_3277:
	s_movk_i32 s4, 0x80
	v_cmp_eq_u16_sdwa s[12:13], v3, s4 src0_sel:BYTE_0 src1_sel:DWORD
	s_mov_b64 s[4:5], -1
                                        ; implicit-def: $sgpr10
	s_and_saveexec_b64 s[8:9], s[12:13]
; %bb.3278:
	s_mov_b32 s10, 0x7f800001
	s_xor_b64 s[4:5], exec, -1
; %bb.3279:
	s_or_b64 exec, exec, s[8:9]
	s_and_b64 s[4:5], s[4:5], exec
	s_or_saveexec_b64 s[6:7], s[6:7]
	v_mov_b32_e32 v6, s10
	s_xor_b64 exec, exec, s[6:7]
	s_cbranch_execz .LBB36_1230
.LBB36_3280:
	v_mov_b32_e32 v6, 0
	v_cmp_ne_u16_sdwa s[8:9], v3, v6 src0_sel:BYTE_0 src1_sel:DWORD
	s_andn2_b64 s[4:5], s[4:5], exec
	s_and_b64 s[8:9], s[8:9], exec
	s_or_b64 s[4:5], s[4:5], s[8:9]
	s_or_b64 exec, exec, s[6:7]
	s_and_saveexec_b64 s[6:7], s[4:5]
	s_cbranch_execnz .LBB36_1231
	s_branch .LBB36_1232
.LBB36_3281:
	s_movk_i32 s4, 0x80
	v_cmp_eq_u16_e32 vcc, s4, v3
	s_mov_b64 s[4:5], -1
                                        ; implicit-def: $sgpr10
	s_and_saveexec_b64 s[8:9], vcc
; %bb.3282:
	s_mov_b32 s10, 0x7f800001
	s_xor_b64 s[4:5], exec, -1
; %bb.3283:
	s_or_b64 exec, exec, s[8:9]
	s_and_b64 s[4:5], s[4:5], exec
                                        ; implicit-def: $vgpr3
	s_or_saveexec_b64 s[6:7], s[6:7]
	v_mov_b32_e32 v2, s10
	s_xor_b64 exec, exec, s[6:7]
	s_cbranch_execz .LBB36_1234
.LBB36_3284:
	v_cmp_ne_u16_e32 vcc, 0, v3
	s_andn2_b64 s[4:5], s[4:5], exec
	s_and_b64 s[8:9], vcc, exec
	v_mov_b32_e32 v2, 0
	s_or_b64 s[4:5], s[4:5], s[8:9]
	s_or_b64 exec, exec, s[6:7]
	s_and_saveexec_b64 s[6:7], s[4:5]
	s_cbranch_execnz .LBB36_1235
	s_branch .LBB36_1236
.LBB36_3285:
	s_movk_i32 s4, 0x80
	v_cmp_eq_u16_e32 vcc, s4, v3
	s_mov_b64 s[4:5], -1
                                        ; implicit-def: $sgpr10
	s_and_saveexec_b64 s[8:9], vcc
; %bb.3286:
	s_mov_b32 s10, 0x7f800001
	s_xor_b64 s[4:5], exec, -1
; %bb.3287:
	s_or_b64 exec, exec, s[8:9]
	s_and_b64 s[4:5], s[4:5], exec
                                        ; implicit-def: $vgpr3
	s_or_saveexec_b64 s[6:7], s[6:7]
	v_mov_b32_e32 v6, s10
	s_xor_b64 exec, exec, s[6:7]
	s_cbranch_execz .LBB36_1238
.LBB36_3288:
	v_cmp_ne_u16_e32 vcc, 0, v3
	s_andn2_b64 s[4:5], s[4:5], exec
	s_and_b64 s[8:9], vcc, exec
	v_mov_b32_e32 v6, 0
	s_or_b64 s[4:5], s[4:5], s[8:9]
	s_or_b64 exec, exec, s[6:7]
	s_and_saveexec_b64 s[6:7], s[4:5]
	s_cbranch_execnz .LBB36_1239
	s_branch .LBB36_1240
.LBB36_3289:
	s_movk_i32 s4, 0x80
	v_cmp_eq_u16_sdwa s[12:13], v8, s4 src0_sel:BYTE_3 src1_sel:DWORD
	s_mov_b64 s[4:5], -1
                                        ; implicit-def: $sgpr10
	s_and_saveexec_b64 s[8:9], s[12:13]
; %bb.3290:
	s_mov_b32 s10, 0x7f800001
	s_xor_b64 s[4:5], exec, -1
; %bb.3291:
	s_or_b64 exec, exec, s[8:9]
	s_and_b64 s[4:5], s[4:5], exec
	s_or_saveexec_b64 s[6:7], s[6:7]
	v_mov_b32_e32 v2, s10
	s_xor_b64 exec, exec, s[6:7]
	s_cbranch_execz .LBB36_1242
.LBB36_3292:
	v_mov_b32_e32 v2, 0
	v_cmp_ne_u16_sdwa s[8:9], v8, v2 src0_sel:BYTE_3 src1_sel:DWORD
	s_andn2_b64 s[4:5], s[4:5], exec
	s_and_b64 s[8:9], s[8:9], exec
	s_or_b64 s[4:5], s[4:5], s[8:9]
	s_or_b64 exec, exec, s[6:7]
	s_and_saveexec_b64 s[6:7], s[4:5]
	s_cbranch_execnz .LBB36_1243
	s_branch .LBB36_1244
.LBB36_3293:
	s_movk_i32 s4, 0x80
	v_cmp_eq_u16_sdwa s[12:13], v4, s4 src0_sel:BYTE_3 src1_sel:DWORD
	s_mov_b64 s[4:5], -1
                                        ; implicit-def: $sgpr10
	s_and_saveexec_b64 s[8:9], s[12:13]
; %bb.3294:
	s_mov_b32 s10, 0x7f800001
	s_xor_b64 s[4:5], exec, -1
; %bb.3295:
	s_or_b64 exec, exec, s[8:9]
	s_and_b64 s[4:5], s[4:5], exec
	s_or_saveexec_b64 s[6:7], s[6:7]
	v_mov_b32_e32 v3, s10
	s_xor_b64 exec, exec, s[6:7]
	s_cbranch_execz .LBB36_1246
.LBB36_3296:
	v_mov_b32_e32 v3, 0
	v_cmp_ne_u16_sdwa s[8:9], v4, v3 src0_sel:BYTE_3 src1_sel:DWORD
	s_andn2_b64 s[4:5], s[4:5], exec
	s_and_b64 s[8:9], s[8:9], exec
	s_or_b64 s[4:5], s[4:5], s[8:9]
	s_or_b64 exec, exec, s[6:7]
	s_and_saveexec_b64 s[6:7], s[4:5]
	s_cbranch_execnz .LBB36_1247
	s_branch .LBB36_1248
.LBB36_3297:
	s_movk_i32 s4, 0x80
	v_cmp_eq_u16_sdwa s[12:13], v9, s4 src0_sel:BYTE_0 src1_sel:DWORD
	s_mov_b64 s[4:5], -1
                                        ; implicit-def: $sgpr10
	s_and_saveexec_b64 s[8:9], s[12:13]
; %bb.3298:
	s_mov_b32 s10, 0x7f800001
	s_xor_b64 s[4:5], exec, -1
; %bb.3299:
	s_or_b64 exec, exec, s[8:9]
	s_and_b64 s[4:5], s[4:5], exec
	s_or_saveexec_b64 s[6:7], s[6:7]
	v_mov_b32_e32 v2, s10
	s_xor_b64 exec, exec, s[6:7]
	s_cbranch_execz .LBB36_1250
.LBB36_3300:
	v_mov_b32_e32 v2, 0
	v_cmp_ne_u16_sdwa s[8:9], v9, v2 src0_sel:BYTE_0 src1_sel:DWORD
	s_andn2_b64 s[4:5], s[4:5], exec
	s_and_b64 s[8:9], s[8:9], exec
	s_or_b64 s[4:5], s[4:5], s[8:9]
	s_or_b64 exec, exec, s[6:7]
	s_and_saveexec_b64 s[6:7], s[4:5]
	s_cbranch_execnz .LBB36_1251
	s_branch .LBB36_1252
.LBB36_3301:
	s_movk_i32 s4, 0x80
	v_cmp_eq_u16_sdwa s[12:13], v5, s4 src0_sel:BYTE_0 src1_sel:DWORD
	s_mov_b64 s[4:5], -1
                                        ; implicit-def: $sgpr10
	s_and_saveexec_b64 s[8:9], s[12:13]
; %bb.3302:
	s_mov_b32 s10, 0x7f800001
	s_xor_b64 s[4:5], exec, -1
; %bb.3303:
	s_or_b64 exec, exec, s[8:9]
	s_and_b64 s[4:5], s[4:5], exec
	s_or_saveexec_b64 s[6:7], s[6:7]
	v_mov_b32_e32 v3, s10
	s_xor_b64 exec, exec, s[6:7]
	s_cbranch_execz .LBB36_1254
.LBB36_3304:
	v_mov_b32_e32 v3, 0
	v_cmp_ne_u16_sdwa s[8:9], v5, v3 src0_sel:BYTE_0 src1_sel:DWORD
	s_andn2_b64 s[4:5], s[4:5], exec
	s_and_b64 s[8:9], s[8:9], exec
	s_or_b64 s[4:5], s[4:5], s[8:9]
	s_or_b64 exec, exec, s[6:7]
	s_and_saveexec_b64 s[6:7], s[4:5]
	s_cbranch_execnz .LBB36_1255
	s_branch .LBB36_1256
.LBB36_3305:
	s_movk_i32 s4, 0x80
	v_cmp_eq_u16_sdwa s[12:13], v3, s4 src0_sel:BYTE_0 src1_sel:DWORD
	s_mov_b64 s[4:5], -1
                                        ; implicit-def: $sgpr10
	s_and_saveexec_b64 s[8:9], s[12:13]
; %bb.3306:
	s_mov_b32 s10, 0x7f800001
	s_xor_b64 s[4:5], exec, -1
; %bb.3307:
	s_or_b64 exec, exec, s[8:9]
	s_and_b64 s[4:5], s[4:5], exec
	s_or_saveexec_b64 s[6:7], s[6:7]
	v_mov_b32_e32 v2, s10
	s_xor_b64 exec, exec, s[6:7]
	s_cbranch_execz .LBB36_1258
.LBB36_3308:
	v_mov_b32_e32 v2, 0
	v_cmp_ne_u16_sdwa s[8:9], v3, v2 src0_sel:BYTE_0 src1_sel:DWORD
	s_andn2_b64 s[4:5], s[4:5], exec
	s_and_b64 s[8:9], s[8:9], exec
	s_or_b64 s[4:5], s[4:5], s[8:9]
	s_or_b64 exec, exec, s[6:7]
	s_and_saveexec_b64 s[6:7], s[4:5]
	s_cbranch_execnz .LBB36_1259
	s_branch .LBB36_1260
.LBB36_3309:
	s_movk_i32 s4, 0x80
	v_cmp_eq_u16_sdwa s[12:13], v3, s4 src0_sel:BYTE_0 src1_sel:DWORD
	s_mov_b64 s[4:5], -1
                                        ; implicit-def: $sgpr10
	s_and_saveexec_b64 s[8:9], s[12:13]
; %bb.3310:
	s_mov_b32 s10, 0x7f800001
	s_xor_b64 s[4:5], exec, -1
; %bb.3311:
	s_or_b64 exec, exec, s[8:9]
	s_and_b64 s[4:5], s[4:5], exec
	s_or_saveexec_b64 s[6:7], s[6:7]
	v_mov_b32_e32 v4, s10
	s_xor_b64 exec, exec, s[6:7]
	s_cbranch_execz .LBB36_1262
.LBB36_3312:
	v_mov_b32_e32 v4, 0
	v_cmp_ne_u16_sdwa s[8:9], v3, v4 src0_sel:BYTE_0 src1_sel:DWORD
	s_andn2_b64 s[4:5], s[4:5], exec
	s_and_b64 s[8:9], s[8:9], exec
	s_or_b64 s[4:5], s[4:5], s[8:9]
	s_or_b64 exec, exec, s[6:7]
	s_and_saveexec_b64 s[6:7], s[4:5]
	s_cbranch_execnz .LBB36_1263
	s_branch .LBB36_1264
.LBB36_3313:
	s_movk_i32 s4, 0x80
	v_cmp_eq_u16_e32 vcc, s4, v3
	s_mov_b64 s[4:5], -1
                                        ; implicit-def: $sgpr10
	s_and_saveexec_b64 s[8:9], vcc
; %bb.3314:
	s_mov_b32 s10, 0x7f800001
	s_xor_b64 s[4:5], exec, -1
; %bb.3315:
	s_or_b64 exec, exec, s[8:9]
	s_and_b64 s[4:5], s[4:5], exec
                                        ; implicit-def: $vgpr3
	s_or_saveexec_b64 s[6:7], s[6:7]
	v_mov_b32_e32 v2, s10
	s_xor_b64 exec, exec, s[6:7]
	s_cbranch_execz .LBB36_1266
.LBB36_3316:
	v_cmp_ne_u16_e32 vcc, 0, v3
	s_andn2_b64 s[4:5], s[4:5], exec
	s_and_b64 s[8:9], vcc, exec
	v_mov_b32_e32 v2, 0
	s_or_b64 s[4:5], s[4:5], s[8:9]
	s_or_b64 exec, exec, s[6:7]
	s_and_saveexec_b64 s[6:7], s[4:5]
	s_cbranch_execnz .LBB36_1267
	s_branch .LBB36_1268
.LBB36_3317:
	s_movk_i32 s4, 0x80
	v_cmp_eq_u16_e32 vcc, s4, v3
	s_mov_b64 s[4:5], -1
                                        ; implicit-def: $sgpr10
	s_and_saveexec_b64 s[8:9], vcc
; %bb.3318:
	s_mov_b32 s10, 0x7f800001
	s_xor_b64 s[4:5], exec, -1
; %bb.3319:
	s_or_b64 exec, exec, s[8:9]
	s_and_b64 s[4:5], s[4:5], exec
                                        ; implicit-def: $vgpr3
	s_or_saveexec_b64 s[6:7], s[6:7]
	v_mov_b32_e32 v4, s10
	s_xor_b64 exec, exec, s[6:7]
	s_cbranch_execz .LBB36_1270
.LBB36_3320:
	v_cmp_ne_u16_e32 vcc, 0, v3
	s_andn2_b64 s[4:5], s[4:5], exec
	s_and_b64 s[8:9], vcc, exec
	v_mov_b32_e32 v4, 0
	s_or_b64 s[4:5], s[4:5], s[8:9]
	s_or_b64 exec, exec, s[6:7]
	s_and_saveexec_b64 s[6:7], s[4:5]
	s_cbranch_execnz .LBB36_1271
	s_branch .LBB36_1272
.LBB36_3321:
	s_movk_i32 s4, 0x80
	v_cmp_eq_u16_sdwa s[12:13], v9, s4 src0_sel:BYTE_3 src1_sel:DWORD
	s_mov_b64 s[4:5], -1
                                        ; implicit-def: $sgpr10
	s_and_saveexec_b64 s[8:9], s[12:13]
; %bb.3322:
	s_mov_b32 s10, 0x7f800001
	s_xor_b64 s[4:5], exec, -1
; %bb.3323:
	s_or_b64 exec, exec, s[8:9]
	s_and_b64 s[4:5], s[4:5], exec
	s_or_saveexec_b64 s[6:7], s[6:7]
	v_mov_b32_e32 v2, s10
	s_xor_b64 exec, exec, s[6:7]
	s_cbranch_execz .LBB36_1274
.LBB36_3324:
	v_mov_b32_e32 v2, 0
	v_cmp_ne_u16_sdwa s[8:9], v9, v2 src0_sel:BYTE_3 src1_sel:DWORD
	s_andn2_b64 s[4:5], s[4:5], exec
	s_and_b64 s[8:9], s[8:9], exec
	s_or_b64 s[4:5], s[4:5], s[8:9]
	s_or_b64 exec, exec, s[6:7]
	s_and_saveexec_b64 s[6:7], s[4:5]
	s_cbranch_execnz .LBB36_1275
	s_branch .LBB36_1276
.LBB36_3325:
	s_movk_i32 s4, 0x80
	v_cmp_eq_u16_sdwa s[12:13], v5, s4 src0_sel:BYTE_3 src1_sel:DWORD
	s_mov_b64 s[4:5], -1
                                        ; implicit-def: $sgpr10
	s_and_saveexec_b64 s[8:9], s[12:13]
; %bb.3326:
	s_mov_b32 s10, 0x7f800001
	s_xor_b64 s[4:5], exec, -1
; %bb.3327:
	s_or_b64 exec, exec, s[8:9]
	s_and_b64 s[4:5], s[4:5], exec
	s_or_saveexec_b64 s[6:7], s[6:7]
	v_mov_b32_e32 v3, s10
	s_xor_b64 exec, exec, s[6:7]
	s_cbranch_execz .LBB36_1278
.LBB36_3328:
	v_mov_b32_e32 v3, 0
	v_cmp_ne_u16_sdwa s[8:9], v5, v3 src0_sel:BYTE_3 src1_sel:DWORD
	s_andn2_b64 s[4:5], s[4:5], exec
	s_and_b64 s[8:9], s[8:9], exec
	s_or_b64 s[4:5], s[4:5], s[8:9]
	s_or_b64 exec, exec, s[6:7]
	s_and_saveexec_b64 s[6:7], s[4:5]
	s_cbranch_execnz .LBB36_1279
	s_branch .LBB36_1280
.LBB36_3329:
	s_movk_i32 s4, 0x80
	v_cmp_eq_u16_sdwa s[12:13], v14, s4 src0_sel:BYTE_0 src1_sel:DWORD
	s_mov_b64 s[4:5], -1
                                        ; implicit-def: $sgpr10
	s_and_saveexec_b64 s[8:9], s[12:13]
; %bb.3330:
	s_mov_b32 s10, 0x7f800001
	s_xor_b64 s[4:5], exec, -1
; %bb.3331:
	s_or_b64 exec, exec, s[8:9]
	s_and_b64 s[4:5], s[4:5], exec
	s_or_saveexec_b64 s[6:7], s[6:7]
	v_mov_b32_e32 v20, s10
	s_xor_b64 exec, exec, s[6:7]
	s_cbranch_execz .LBB36_1282
.LBB36_3332:
	v_mov_b32_e32 v20, 0
	v_cmp_ne_u16_sdwa s[8:9], v14, v20 src0_sel:BYTE_0 src1_sel:DWORD
	s_andn2_b64 s[4:5], s[4:5], exec
	s_and_b64 s[8:9], s[8:9], exec
	s_or_b64 s[4:5], s[4:5], s[8:9]
	s_or_b64 exec, exec, s[6:7]
	s_and_saveexec_b64 s[6:7], s[4:5]
	s_cbranch_execnz .LBB36_1283
	s_branch .LBB36_1284
.LBB36_3333:
	s_movk_i32 s4, 0x80
	v_cmp_eq_u16_sdwa s[12:13], v10, s4 src0_sel:BYTE_0 src1_sel:DWORD
	s_mov_b64 s[4:5], -1
                                        ; implicit-def: $sgpr10
	s_and_saveexec_b64 s[8:9], s[12:13]
; %bb.3334:
	s_mov_b32 s10, 0x7f800001
	s_xor_b64 s[4:5], exec, -1
; %bb.3335:
	s_or_b64 exec, exec, s[8:9]
	s_and_b64 s[4:5], s[4:5], exec
	s_or_saveexec_b64 s[6:7], s[6:7]
	v_mov_b32_e32 v21, s10
	s_xor_b64 exec, exec, s[6:7]
	s_cbranch_execz .LBB36_1286
.LBB36_3336:
	v_mov_b32_e32 v21, 0
	v_cmp_ne_u16_sdwa s[8:9], v10, v21 src0_sel:BYTE_0 src1_sel:DWORD
	s_andn2_b64 s[4:5], s[4:5], exec
	s_and_b64 s[8:9], s[8:9], exec
	s_or_b64 s[4:5], s[4:5], s[8:9]
	s_or_b64 exec, exec, s[6:7]
	s_and_saveexec_b64 s[6:7], s[4:5]
	s_cbranch_execnz .LBB36_1287
	s_branch .LBB36_1288
.LBB36_3337:
	s_movk_i32 s4, 0x80
	v_cmp_eq_u16_sdwa s[12:13], v21, s4 src0_sel:BYTE_0 src1_sel:DWORD
	s_mov_b64 s[4:5], -1
                                        ; implicit-def: $sgpr10
	s_and_saveexec_b64 s[8:9], s[12:13]
; %bb.3338:
	s_mov_b32 s10, 0x7f800001
	s_xor_b64 s[4:5], exec, -1
; %bb.3339:
	s_or_b64 exec, exec, s[8:9]
	s_and_b64 s[4:5], s[4:5], exec
	s_or_saveexec_b64 s[6:7], s[6:7]
	v_mov_b32_e32 v20, s10
	s_xor_b64 exec, exec, s[6:7]
	s_cbranch_execz .LBB36_1290
.LBB36_3340:
	v_mov_b32_e32 v20, 0
	v_cmp_ne_u16_sdwa s[8:9], v21, v20 src0_sel:BYTE_0 src1_sel:DWORD
	s_andn2_b64 s[4:5], s[4:5], exec
	s_and_b64 s[8:9], s[8:9], exec
	s_or_b64 s[4:5], s[4:5], s[8:9]
	s_or_b64 exec, exec, s[6:7]
	s_and_saveexec_b64 s[6:7], s[4:5]
	s_cbranch_execnz .LBB36_1291
	s_branch .LBB36_1292
.LBB36_3341:
	s_movk_i32 s4, 0x80
	v_cmp_eq_u16_sdwa s[12:13], v21, s4 src0_sel:BYTE_0 src1_sel:DWORD
	s_mov_b64 s[4:5], -1
                                        ; implicit-def: $sgpr10
	s_and_saveexec_b64 s[8:9], s[12:13]
; %bb.3342:
	s_mov_b32 s10, 0x7f800001
	s_xor_b64 s[4:5], exec, -1
; %bb.3343:
	s_or_b64 exec, exec, s[8:9]
	s_and_b64 s[4:5], s[4:5], exec
	s_or_saveexec_b64 s[6:7], s[6:7]
	v_mov_b32_e32 v22, s10
	s_xor_b64 exec, exec, s[6:7]
	s_cbranch_execz .LBB36_1294
.LBB36_3344:
	v_mov_b32_e32 v22, 0
	v_cmp_ne_u16_sdwa s[8:9], v21, v22 src0_sel:BYTE_0 src1_sel:DWORD
	s_andn2_b64 s[4:5], s[4:5], exec
	s_and_b64 s[8:9], s[8:9], exec
	s_or_b64 s[4:5], s[4:5], s[8:9]
	s_or_b64 exec, exec, s[6:7]
	s_and_saveexec_b64 s[6:7], s[4:5]
	s_cbranch_execnz .LBB36_1295
	s_branch .LBB36_1296
.LBB36_3345:
	s_movk_i32 s4, 0x80
	v_cmp_eq_u16_e32 vcc, s4, v21
	s_mov_b64 s[4:5], -1
                                        ; implicit-def: $sgpr10
	s_and_saveexec_b64 s[8:9], vcc
; %bb.3346:
	s_mov_b32 s10, 0x7f800001
	s_xor_b64 s[4:5], exec, -1
; %bb.3347:
	s_or_b64 exec, exec, s[8:9]
	s_and_b64 s[4:5], s[4:5], exec
                                        ; implicit-def: $vgpr21
	s_or_saveexec_b64 s[6:7], s[6:7]
	v_mov_b32_e32 v20, s10
	s_xor_b64 exec, exec, s[6:7]
	s_cbranch_execz .LBB36_1298
.LBB36_3348:
	v_cmp_ne_u16_e32 vcc, 0, v21
	s_andn2_b64 s[4:5], s[4:5], exec
	s_and_b64 s[8:9], vcc, exec
	v_mov_b32_e32 v20, 0
	s_or_b64 s[4:5], s[4:5], s[8:9]
	s_or_b64 exec, exec, s[6:7]
	s_and_saveexec_b64 s[6:7], s[4:5]
	s_cbranch_execnz .LBB36_1299
	s_branch .LBB36_1300
.LBB36_3349:
	s_movk_i32 s4, 0x80
	v_cmp_eq_u16_e32 vcc, s4, v21
	s_mov_b64 s[4:5], -1
                                        ; implicit-def: $sgpr10
	s_and_saveexec_b64 s[8:9], vcc
; %bb.3350:
	s_mov_b32 s10, 0x7f800001
	s_xor_b64 s[4:5], exec, -1
; %bb.3351:
	s_or_b64 exec, exec, s[8:9]
	s_and_b64 s[4:5], s[4:5], exec
                                        ; implicit-def: $vgpr21
	s_or_saveexec_b64 s[6:7], s[6:7]
	v_mov_b32_e32 v22, s10
	s_xor_b64 exec, exec, s[6:7]
	s_cbranch_execz .LBB36_1302
.LBB36_3352:
	v_cmp_ne_u16_e32 vcc, 0, v21
	s_andn2_b64 s[4:5], s[4:5], exec
	s_and_b64 s[8:9], vcc, exec
	v_mov_b32_e32 v22, 0
	s_or_b64 s[4:5], s[4:5], s[8:9]
	s_or_b64 exec, exec, s[6:7]
	s_and_saveexec_b64 s[6:7], s[4:5]
	s_cbranch_execnz .LBB36_1303
	s_branch .LBB36_1304
.LBB36_3353:
	s_movk_i32 s4, 0x80
	v_cmp_eq_u16_sdwa s[12:13], v14, s4 src0_sel:BYTE_3 src1_sel:DWORD
	s_mov_b64 s[4:5], -1
                                        ; implicit-def: $sgpr10
	s_and_saveexec_b64 s[8:9], s[12:13]
; %bb.3354:
	s_mov_b32 s10, 0x7f800001
	s_xor_b64 s[4:5], exec, -1
; %bb.3355:
	s_or_b64 exec, exec, s[8:9]
	s_and_b64 s[4:5], s[4:5], exec
	s_or_saveexec_b64 s[6:7], s[6:7]
	v_mov_b32_e32 v20, s10
	s_xor_b64 exec, exec, s[6:7]
	s_cbranch_execz .LBB36_1306
.LBB36_3356:
	v_mov_b32_e32 v20, 0
	v_cmp_ne_u16_sdwa s[8:9], v14, v20 src0_sel:BYTE_3 src1_sel:DWORD
	s_andn2_b64 s[4:5], s[4:5], exec
	s_and_b64 s[8:9], s[8:9], exec
	s_or_b64 s[4:5], s[4:5], s[8:9]
	s_or_b64 exec, exec, s[6:7]
	s_and_saveexec_b64 s[6:7], s[4:5]
	s_cbranch_execnz .LBB36_1307
	s_branch .LBB36_1308
.LBB36_3357:
	s_movk_i32 s4, 0x80
	v_cmp_eq_u16_sdwa s[12:13], v10, s4 src0_sel:BYTE_3 src1_sel:DWORD
	s_mov_b64 s[4:5], -1
                                        ; implicit-def: $sgpr10
	s_and_saveexec_b64 s[8:9], s[12:13]
; %bb.3358:
	s_mov_b32 s10, 0x7f800001
	s_xor_b64 s[4:5], exec, -1
; %bb.3359:
	s_or_b64 exec, exec, s[8:9]
	s_and_b64 s[4:5], s[4:5], exec
	s_or_saveexec_b64 s[6:7], s[6:7]
	v_mov_b32_e32 v14, s10
	s_xor_b64 exec, exec, s[6:7]
	s_cbranch_execz .LBB36_1310
.LBB36_3360:
	v_mov_b32_e32 v14, 0
	v_cmp_ne_u16_sdwa s[8:9], v10, v14 src0_sel:BYTE_3 src1_sel:DWORD
	s_andn2_b64 s[4:5], s[4:5], exec
	s_and_b64 s[8:9], s[8:9], exec
	s_or_b64 s[4:5], s[4:5], s[8:9]
	s_or_b64 exec, exec, s[6:7]
	s_and_saveexec_b64 s[6:7], s[4:5]
	s_cbranch_execnz .LBB36_1311
	s_branch .LBB36_1312
.LBB36_3361:
	s_movk_i32 s4, 0x80
	v_cmp_eq_u16_sdwa s[12:13], v15, s4 src0_sel:BYTE_0 src1_sel:DWORD
	s_mov_b64 s[4:5], -1
                                        ; implicit-def: $sgpr10
	s_and_saveexec_b64 s[8:9], s[12:13]
; %bb.3362:
	s_mov_b32 s10, 0x7f800001
	s_xor_b64 s[4:5], exec, -1
; %bb.3363:
	s_or_b64 exec, exec, s[8:9]
	s_and_b64 s[4:5], s[4:5], exec
	s_or_saveexec_b64 s[6:7], s[6:7]
	v_mov_b32_e32 v10, s10
	s_xor_b64 exec, exec, s[6:7]
	s_cbranch_execz .LBB36_1314
.LBB36_3364:
	v_mov_b32_e32 v10, 0
	v_cmp_ne_u16_sdwa s[8:9], v15, v10 src0_sel:BYTE_0 src1_sel:DWORD
	s_andn2_b64 s[4:5], s[4:5], exec
	s_and_b64 s[8:9], s[8:9], exec
	s_or_b64 s[4:5], s[4:5], s[8:9]
	s_or_b64 exec, exec, s[6:7]
	s_and_saveexec_b64 s[6:7], s[4:5]
	s_cbranch_execnz .LBB36_1315
	s_branch .LBB36_1316
.LBB36_3365:
	s_movk_i32 s4, 0x80
	v_cmp_eq_u16_sdwa s[12:13], v11, s4 src0_sel:BYTE_0 src1_sel:DWORD
	s_mov_b64 s[4:5], -1
                                        ; implicit-def: $sgpr10
	s_and_saveexec_b64 s[8:9], s[12:13]
; %bb.3366:
	s_mov_b32 s10, 0x7f800001
	s_xor_b64 s[4:5], exec, -1
; %bb.3367:
	s_or_b64 exec, exec, s[8:9]
	s_and_b64 s[4:5], s[4:5], exec
	s_or_saveexec_b64 s[6:7], s[6:7]
	v_mov_b32_e32 v14, s10
	s_xor_b64 exec, exec, s[6:7]
	s_cbranch_execz .LBB36_1318
.LBB36_3368:
	v_mov_b32_e32 v14, 0
	v_cmp_ne_u16_sdwa s[8:9], v11, v14 src0_sel:BYTE_0 src1_sel:DWORD
	s_andn2_b64 s[4:5], s[4:5], exec
	s_and_b64 s[8:9], s[8:9], exec
	s_or_b64 s[4:5], s[4:5], s[8:9]
	s_or_b64 exec, exec, s[6:7]
	s_and_saveexec_b64 s[6:7], s[4:5]
	s_cbranch_execnz .LBB36_1319
	s_branch .LBB36_1320
.LBB36_3369:
	s_movk_i32 s4, 0x80
	v_cmp_eq_u16_sdwa s[12:13], v14, s4 src0_sel:BYTE_0 src1_sel:DWORD
	s_mov_b64 s[4:5], -1
                                        ; implicit-def: $sgpr10
	s_and_saveexec_b64 s[8:9], s[12:13]
; %bb.3370:
	s_mov_b32 s10, 0x7f800001
	s_xor_b64 s[4:5], exec, -1
; %bb.3371:
	s_or_b64 exec, exec, s[8:9]
	s_and_b64 s[4:5], s[4:5], exec
	s_or_saveexec_b64 s[6:7], s[6:7]
	v_mov_b32_e32 v10, s10
	s_xor_b64 exec, exec, s[6:7]
	s_cbranch_execz .LBB36_1322
.LBB36_3372:
	v_mov_b32_e32 v10, 0
	v_cmp_ne_u16_sdwa s[8:9], v14, v10 src0_sel:BYTE_0 src1_sel:DWORD
	s_andn2_b64 s[4:5], s[4:5], exec
	s_and_b64 s[8:9], s[8:9], exec
	s_or_b64 s[4:5], s[4:5], s[8:9]
	s_or_b64 exec, exec, s[6:7]
	s_and_saveexec_b64 s[6:7], s[4:5]
	s_cbranch_execnz .LBB36_1323
	s_branch .LBB36_1324
.LBB36_3373:
	s_movk_i32 s4, 0x80
	v_cmp_eq_u16_sdwa s[12:13], v14, s4 src0_sel:BYTE_0 src1_sel:DWORD
	s_mov_b64 s[4:5], -1
                                        ; implicit-def: $sgpr10
	s_and_saveexec_b64 s[8:9], s[12:13]
; %bb.3374:
	s_mov_b32 s10, 0x7f800001
	s_xor_b64 s[4:5], exec, -1
; %bb.3375:
	s_or_b64 exec, exec, s[8:9]
	s_and_b64 s[4:5], s[4:5], exec
	s_or_saveexec_b64 s[6:7], s[6:7]
	v_mov_b32_e32 v20, s10
	s_xor_b64 exec, exec, s[6:7]
	s_cbranch_execz .LBB36_1326
.LBB36_3376:
	v_mov_b32_e32 v20, 0
	v_cmp_ne_u16_sdwa s[8:9], v14, v20 src0_sel:BYTE_0 src1_sel:DWORD
	s_andn2_b64 s[4:5], s[4:5], exec
	s_and_b64 s[8:9], s[8:9], exec
	s_or_b64 s[4:5], s[4:5], s[8:9]
	s_or_b64 exec, exec, s[6:7]
	s_and_saveexec_b64 s[6:7], s[4:5]
	s_cbranch_execnz .LBB36_1327
	s_branch .LBB36_1328
.LBB36_3377:
	s_movk_i32 s4, 0x80
	v_cmp_eq_u16_e32 vcc, s4, v14
	s_mov_b64 s[4:5], -1
                                        ; implicit-def: $sgpr10
	s_and_saveexec_b64 s[8:9], vcc
; %bb.3378:
	s_mov_b32 s10, 0x7f800001
	s_xor_b64 s[4:5], exec, -1
; %bb.3379:
	s_or_b64 exec, exec, s[8:9]
	s_and_b64 s[4:5], s[4:5], exec
                                        ; implicit-def: $vgpr14
	s_or_saveexec_b64 s[6:7], s[6:7]
	v_mov_b32_e32 v10, s10
	s_xor_b64 exec, exec, s[6:7]
	s_cbranch_execz .LBB36_1330
.LBB36_3380:
	v_cmp_ne_u16_e32 vcc, 0, v14
	s_andn2_b64 s[4:5], s[4:5], exec
	s_and_b64 s[8:9], vcc, exec
	v_mov_b32_e32 v10, 0
	s_or_b64 s[4:5], s[4:5], s[8:9]
	s_or_b64 exec, exec, s[6:7]
	s_and_saveexec_b64 s[6:7], s[4:5]
	s_cbranch_execnz .LBB36_1331
	s_branch .LBB36_1332
.LBB36_3381:
	s_movk_i32 s4, 0x80
	v_cmp_eq_u16_e32 vcc, s4, v14
	s_mov_b64 s[4:5], -1
                                        ; implicit-def: $sgpr10
	s_and_saveexec_b64 s[8:9], vcc
; %bb.3382:
	s_mov_b32 s10, 0x7f800001
	s_xor_b64 s[4:5], exec, -1
; %bb.3383:
	s_or_b64 exec, exec, s[8:9]
	s_and_b64 s[4:5], s[4:5], exec
                                        ; implicit-def: $vgpr14
	s_or_saveexec_b64 s[6:7], s[6:7]
	v_mov_b32_e32 v20, s10
	s_xor_b64 exec, exec, s[6:7]
	s_cbranch_execz .LBB36_1334
.LBB36_3384:
	v_cmp_ne_u16_e32 vcc, 0, v14
	s_andn2_b64 s[4:5], s[4:5], exec
	s_and_b64 s[8:9], vcc, exec
	v_mov_b32_e32 v20, 0
	s_or_b64 s[4:5], s[4:5], s[8:9]
	s_or_b64 exec, exec, s[6:7]
	s_and_saveexec_b64 s[6:7], s[4:5]
	s_cbranch_execnz .LBB36_1335
	s_branch .LBB36_1336
.LBB36_3385:
	s_movk_i32 s4, 0x80
	v_cmp_eq_u16_sdwa s[12:13], v15, s4 src0_sel:BYTE_3 src1_sel:DWORD
	s_mov_b64 s[4:5], -1
                                        ; implicit-def: $sgpr10
	s_and_saveexec_b64 s[8:9], s[12:13]
; %bb.3386:
	s_mov_b32 s10, 0x7f800001
	s_xor_b64 s[4:5], exec, -1
; %bb.3387:
	s_or_b64 exec, exec, s[8:9]
	s_and_b64 s[4:5], s[4:5], exec
	s_or_saveexec_b64 s[6:7], s[6:7]
	v_mov_b32_e32 v10, s10
	s_xor_b64 exec, exec, s[6:7]
	s_cbranch_execz .LBB36_1338
.LBB36_3388:
	v_mov_b32_e32 v10, 0
	v_cmp_ne_u16_sdwa s[8:9], v15, v10 src0_sel:BYTE_3 src1_sel:DWORD
	s_andn2_b64 s[4:5], s[4:5], exec
	s_and_b64 s[8:9], s[8:9], exec
	s_or_b64 s[4:5], s[4:5], s[8:9]
	s_or_b64 exec, exec, s[6:7]
	s_and_saveexec_b64 s[6:7], s[4:5]
	s_cbranch_execnz .LBB36_1339
	s_branch .LBB36_1340
.LBB36_3389:
	s_movk_i32 s4, 0x80
	v_cmp_eq_u16_sdwa s[12:13], v11, s4 src0_sel:BYTE_3 src1_sel:DWORD
	s_mov_b64 s[4:5], -1
                                        ; implicit-def: $sgpr10
	s_and_saveexec_b64 s[8:9], s[12:13]
; %bb.3390:
	s_mov_b32 s10, 0x7f800001
	s_xor_b64 s[4:5], exec, -1
; %bb.3391:
	s_or_b64 exec, exec, s[8:9]
	s_and_b64 s[4:5], s[4:5], exec
	s_or_saveexec_b64 s[6:7], s[6:7]
	v_mov_b32_e32 v14, s10
	s_xor_b64 exec, exec, s[6:7]
	s_cbranch_execz .LBB36_1342
.LBB36_3392:
	v_mov_b32_e32 v14, 0
	v_cmp_ne_u16_sdwa s[8:9], v11, v14 src0_sel:BYTE_3 src1_sel:DWORD
	s_andn2_b64 s[4:5], s[4:5], exec
	s_and_b64 s[8:9], s[8:9], exec
	s_or_b64 s[4:5], s[4:5], s[8:9]
	s_or_b64 exec, exec, s[6:7]
	s_and_saveexec_b64 s[6:7], s[4:5]
	s_cbranch_execnz .LBB36_1343
	s_branch .LBB36_1344
.LBB36_3393:
	s_movk_i32 s4, 0x80
	v_cmp_eq_u16_sdwa s[12:13], v16, s4 src0_sel:BYTE_0 src1_sel:DWORD
	s_mov_b64 s[4:5], -1
                                        ; implicit-def: $sgpr10
	s_and_saveexec_b64 s[8:9], s[12:13]
; %bb.3394:
	s_mov_b32 s10, 0x7f800001
	s_xor_b64 s[4:5], exec, -1
; %bb.3395:
	s_or_b64 exec, exec, s[8:9]
	s_and_b64 s[4:5], s[4:5], exec
	s_or_saveexec_b64 s[6:7], s[6:7]
	v_mov_b32_e32 v10, s10
	s_xor_b64 exec, exec, s[6:7]
	s_cbranch_execz .LBB36_1346
.LBB36_3396:
	v_mov_b32_e32 v10, 0
	v_cmp_ne_u16_sdwa s[8:9], v16, v10 src0_sel:BYTE_0 src1_sel:DWORD
	s_andn2_b64 s[4:5], s[4:5], exec
	s_and_b64 s[8:9], s[8:9], exec
	s_or_b64 s[4:5], s[4:5], s[8:9]
	s_or_b64 exec, exec, s[6:7]
	s_and_saveexec_b64 s[6:7], s[4:5]
	s_cbranch_execnz .LBB36_1347
	s_branch .LBB36_1348
.LBB36_3397:
	s_movk_i32 s4, 0x80
	v_cmp_eq_u16_sdwa s[12:13], v12, s4 src0_sel:BYTE_0 src1_sel:DWORD
	s_mov_b64 s[4:5], -1
                                        ; implicit-def: $sgpr10
	s_and_saveexec_b64 s[8:9], s[12:13]
; %bb.3398:
	s_mov_b32 s10, 0x7f800001
	s_xor_b64 s[4:5], exec, -1
; %bb.3399:
	s_or_b64 exec, exec, s[8:9]
	s_and_b64 s[4:5], s[4:5], exec
	s_or_saveexec_b64 s[6:7], s[6:7]
	v_mov_b32_e32 v11, s10
	s_xor_b64 exec, exec, s[6:7]
	s_cbranch_execz .LBB36_1350
.LBB36_3400:
	v_mov_b32_e32 v11, 0
	v_cmp_ne_u16_sdwa s[8:9], v12, v11 src0_sel:BYTE_0 src1_sel:DWORD
	s_andn2_b64 s[4:5], s[4:5], exec
	s_and_b64 s[8:9], s[8:9], exec
	s_or_b64 s[4:5], s[4:5], s[8:9]
	s_or_b64 exec, exec, s[6:7]
	s_and_saveexec_b64 s[6:7], s[4:5]
	s_cbranch_execnz .LBB36_1351
	s_branch .LBB36_1352
.LBB36_3401:
	s_movk_i32 s4, 0x80
	v_cmp_eq_u16_sdwa s[12:13], v11, s4 src0_sel:BYTE_0 src1_sel:DWORD
	s_mov_b64 s[4:5], -1
                                        ; implicit-def: $sgpr10
	s_and_saveexec_b64 s[8:9], s[12:13]
; %bb.3402:
	s_mov_b32 s10, 0x7f800001
	s_xor_b64 s[4:5], exec, -1
; %bb.3403:
	s_or_b64 exec, exec, s[8:9]
	s_and_b64 s[4:5], s[4:5], exec
	s_or_saveexec_b64 s[6:7], s[6:7]
	v_mov_b32_e32 v10, s10
	s_xor_b64 exec, exec, s[6:7]
	s_cbranch_execz .LBB36_1354
.LBB36_3404:
	v_mov_b32_e32 v10, 0
	v_cmp_ne_u16_sdwa s[8:9], v11, v10 src0_sel:BYTE_0 src1_sel:DWORD
	s_andn2_b64 s[4:5], s[4:5], exec
	s_and_b64 s[8:9], s[8:9], exec
	s_or_b64 s[4:5], s[4:5], s[8:9]
	s_or_b64 exec, exec, s[6:7]
	s_and_saveexec_b64 s[6:7], s[4:5]
	s_cbranch_execnz .LBB36_1355
	s_branch .LBB36_1356
.LBB36_3405:
	s_movk_i32 s4, 0x80
	v_cmp_eq_u16_sdwa s[12:13], v11, s4 src0_sel:BYTE_0 src1_sel:DWORD
	s_mov_b64 s[4:5], -1
                                        ; implicit-def: $sgpr10
	s_and_saveexec_b64 s[8:9], s[12:13]
; %bb.3406:
	s_mov_b32 s10, 0x7f800001
	s_xor_b64 s[4:5], exec, -1
; %bb.3407:
	s_or_b64 exec, exec, s[8:9]
	s_and_b64 s[4:5], s[4:5], exec
	s_or_saveexec_b64 s[6:7], s[6:7]
	v_mov_b32_e32 v14, s10
	s_xor_b64 exec, exec, s[6:7]
	s_cbranch_execz .LBB36_1358
.LBB36_3408:
	v_mov_b32_e32 v14, 0
	v_cmp_ne_u16_sdwa s[8:9], v11, v14 src0_sel:BYTE_0 src1_sel:DWORD
	s_andn2_b64 s[4:5], s[4:5], exec
	s_and_b64 s[8:9], s[8:9], exec
	s_or_b64 s[4:5], s[4:5], s[8:9]
	s_or_b64 exec, exec, s[6:7]
	s_and_saveexec_b64 s[6:7], s[4:5]
	s_cbranch_execnz .LBB36_1359
	s_branch .LBB36_1360
.LBB36_3409:
	s_movk_i32 s4, 0x80
	v_cmp_eq_u16_e32 vcc, s4, v11
	s_mov_b64 s[4:5], -1
                                        ; implicit-def: $sgpr10
	s_and_saveexec_b64 s[8:9], vcc
; %bb.3410:
	s_mov_b32 s10, 0x7f800001
	s_xor_b64 s[4:5], exec, -1
; %bb.3411:
	s_or_b64 exec, exec, s[8:9]
	s_and_b64 s[4:5], s[4:5], exec
                                        ; implicit-def: $vgpr11
	s_or_saveexec_b64 s[6:7], s[6:7]
	v_mov_b32_e32 v10, s10
	s_xor_b64 exec, exec, s[6:7]
	s_cbranch_execz .LBB36_1362
.LBB36_3412:
	v_cmp_ne_u16_e32 vcc, 0, v11
	s_andn2_b64 s[4:5], s[4:5], exec
	s_and_b64 s[8:9], vcc, exec
	v_mov_b32_e32 v10, 0
	s_or_b64 s[4:5], s[4:5], s[8:9]
	s_or_b64 exec, exec, s[6:7]
	s_and_saveexec_b64 s[6:7], s[4:5]
	s_cbranch_execnz .LBB36_1363
	s_branch .LBB36_1364
.LBB36_3413:
	s_movk_i32 s4, 0x80
	v_cmp_eq_u16_e32 vcc, s4, v11
	s_mov_b64 s[4:5], -1
                                        ; implicit-def: $sgpr10
	s_and_saveexec_b64 s[8:9], vcc
; %bb.3414:
	s_mov_b32 s10, 0x7f800001
	s_xor_b64 s[4:5], exec, -1
; %bb.3415:
	s_or_b64 exec, exec, s[8:9]
	s_and_b64 s[4:5], s[4:5], exec
                                        ; implicit-def: $vgpr11
	s_or_saveexec_b64 s[6:7], s[6:7]
	v_mov_b32_e32 v14, s10
	s_xor_b64 exec, exec, s[6:7]
	s_cbranch_execz .LBB36_1366
.LBB36_3416:
	v_cmp_ne_u16_e32 vcc, 0, v11
	s_andn2_b64 s[4:5], s[4:5], exec
	s_and_b64 s[8:9], vcc, exec
	v_mov_b32_e32 v14, 0
	s_or_b64 s[4:5], s[4:5], s[8:9]
	s_or_b64 exec, exec, s[6:7]
	s_and_saveexec_b64 s[6:7], s[4:5]
	s_cbranch_execnz .LBB36_1367
	s_branch .LBB36_1368
.LBB36_3417:
	s_movk_i32 s4, 0x80
	v_cmp_eq_u16_sdwa s[12:13], v16, s4 src0_sel:BYTE_3 src1_sel:DWORD
	s_mov_b64 s[4:5], -1
                                        ; implicit-def: $sgpr10
	s_and_saveexec_b64 s[8:9], s[12:13]
; %bb.3418:
	s_mov_b32 s10, 0x7f800001
	s_xor_b64 s[4:5], exec, -1
; %bb.3419:
	s_or_b64 exec, exec, s[8:9]
	s_and_b64 s[4:5], s[4:5], exec
	s_or_saveexec_b64 s[6:7], s[6:7]
	v_mov_b32_e32 v10, s10
	s_xor_b64 exec, exec, s[6:7]
	s_cbranch_execz .LBB36_1370
.LBB36_3420:
	v_mov_b32_e32 v10, 0
	v_cmp_ne_u16_sdwa s[8:9], v16, v10 src0_sel:BYTE_3 src1_sel:DWORD
	s_andn2_b64 s[4:5], s[4:5], exec
	s_and_b64 s[8:9], s[8:9], exec
	s_or_b64 s[4:5], s[4:5], s[8:9]
	s_or_b64 exec, exec, s[6:7]
	s_and_saveexec_b64 s[6:7], s[4:5]
	s_cbranch_execnz .LBB36_1371
	s_branch .LBB36_1372
.LBB36_3421:
	s_movk_i32 s4, 0x80
	v_cmp_eq_u16_sdwa s[12:13], v12, s4 src0_sel:BYTE_3 src1_sel:DWORD
	s_mov_b64 s[4:5], -1
                                        ; implicit-def: $sgpr10
	s_and_saveexec_b64 s[8:9], s[12:13]
; %bb.3422:
	s_mov_b32 s10, 0x7f800001
	s_xor_b64 s[4:5], exec, -1
; %bb.3423:
	s_or_b64 exec, exec, s[8:9]
	s_and_b64 s[4:5], s[4:5], exec
	s_or_saveexec_b64 s[6:7], s[6:7]
	v_mov_b32_e32 v11, s10
	s_xor_b64 exec, exec, s[6:7]
	s_cbranch_execz .LBB36_1374
.LBB36_3424:
	v_mov_b32_e32 v11, 0
	v_cmp_ne_u16_sdwa s[8:9], v12, v11 src0_sel:BYTE_3 src1_sel:DWORD
	s_andn2_b64 s[4:5], s[4:5], exec
	s_and_b64 s[8:9], s[8:9], exec
	s_or_b64 s[4:5], s[4:5], s[8:9]
	s_or_b64 exec, exec, s[6:7]
	s_and_saveexec_b64 s[6:7], s[4:5]
	s_cbranch_execnz .LBB36_1375
	s_branch .LBB36_1376
.LBB36_3425:
	s_movk_i32 s4, 0x80
	v_cmp_eq_u16_sdwa s[12:13], v17, s4 src0_sel:BYTE_0 src1_sel:DWORD
	s_mov_b64 s[4:5], -1
                                        ; implicit-def: $sgpr10
	s_and_saveexec_b64 s[8:9], s[12:13]
; %bb.3426:
	s_mov_b32 s10, 0x7f800001
	s_xor_b64 s[4:5], exec, -1
; %bb.3427:
	s_or_b64 exec, exec, s[8:9]
	s_and_b64 s[4:5], s[4:5], exec
	s_or_saveexec_b64 s[6:7], s[6:7]
	v_mov_b32_e32 v10, s10
	s_xor_b64 exec, exec, s[6:7]
	s_cbranch_execz .LBB36_1378
.LBB36_3428:
	v_mov_b32_e32 v10, 0
	v_cmp_ne_u16_sdwa s[8:9], v17, v10 src0_sel:BYTE_0 src1_sel:DWORD
	s_andn2_b64 s[4:5], s[4:5], exec
	s_and_b64 s[8:9], s[8:9], exec
	s_or_b64 s[4:5], s[4:5], s[8:9]
	s_or_b64 exec, exec, s[6:7]
	s_and_saveexec_b64 s[6:7], s[4:5]
	s_cbranch_execnz .LBB36_1379
	s_branch .LBB36_1380
.LBB36_3429:
	s_movk_i32 s4, 0x80
	v_cmp_eq_u16_sdwa s[12:13], v13, s4 src0_sel:BYTE_0 src1_sel:DWORD
	s_mov_b64 s[4:5], -1
                                        ; implicit-def: $sgpr10
	s_and_saveexec_b64 s[8:9], s[12:13]
; %bb.3430:
	s_mov_b32 s10, 0x7f800001
	s_xor_b64 s[4:5], exec, -1
; %bb.3431:
	s_or_b64 exec, exec, s[8:9]
	s_and_b64 s[4:5], s[4:5], exec
	s_or_saveexec_b64 s[6:7], s[6:7]
	v_mov_b32_e32 v11, s10
	s_xor_b64 exec, exec, s[6:7]
	s_cbranch_execz .LBB36_1382
.LBB36_3432:
	v_mov_b32_e32 v11, 0
	v_cmp_ne_u16_sdwa s[8:9], v13, v11 src0_sel:BYTE_0 src1_sel:DWORD
	s_andn2_b64 s[4:5], s[4:5], exec
	s_and_b64 s[8:9], s[8:9], exec
	s_or_b64 s[4:5], s[4:5], s[8:9]
	s_or_b64 exec, exec, s[6:7]
	s_and_saveexec_b64 s[6:7], s[4:5]
	s_cbranch_execnz .LBB36_1383
	s_branch .LBB36_1384
.LBB36_3433:
	s_movk_i32 s4, 0x80
	v_cmp_eq_u16_sdwa s[12:13], v11, s4 src0_sel:BYTE_0 src1_sel:DWORD
	s_mov_b64 s[4:5], -1
                                        ; implicit-def: $sgpr10
	s_and_saveexec_b64 s[8:9], s[12:13]
; %bb.3434:
	s_mov_b32 s10, 0x7f800001
	s_xor_b64 s[4:5], exec, -1
; %bb.3435:
	s_or_b64 exec, exec, s[8:9]
	s_and_b64 s[4:5], s[4:5], exec
	s_or_saveexec_b64 s[6:7], s[6:7]
	v_mov_b32_e32 v10, s10
	s_xor_b64 exec, exec, s[6:7]
	s_cbranch_execz .LBB36_1386
.LBB36_3436:
	v_mov_b32_e32 v10, 0
	v_cmp_ne_u16_sdwa s[8:9], v11, v10 src0_sel:BYTE_0 src1_sel:DWORD
	s_andn2_b64 s[4:5], s[4:5], exec
	s_and_b64 s[8:9], s[8:9], exec
	s_or_b64 s[4:5], s[4:5], s[8:9]
	s_or_b64 exec, exec, s[6:7]
	s_and_saveexec_b64 s[6:7], s[4:5]
	s_cbranch_execnz .LBB36_1387
	s_branch .LBB36_1388
.LBB36_3437:
	s_movk_i32 s4, 0x80
	v_cmp_eq_u16_sdwa s[12:13], v11, s4 src0_sel:BYTE_0 src1_sel:DWORD
	s_mov_b64 s[4:5], -1
                                        ; implicit-def: $sgpr10
	s_and_saveexec_b64 s[8:9], s[12:13]
; %bb.3438:
	s_mov_b32 s10, 0x7f800001
	s_xor_b64 s[4:5], exec, -1
; %bb.3439:
	s_or_b64 exec, exec, s[8:9]
	s_and_b64 s[4:5], s[4:5], exec
	s_or_saveexec_b64 s[6:7], s[6:7]
	v_mov_b32_e32 v12, s10
	s_xor_b64 exec, exec, s[6:7]
	s_cbranch_execz .LBB36_1390
.LBB36_3440:
	v_mov_b32_e32 v12, 0
	v_cmp_ne_u16_sdwa s[8:9], v11, v12 src0_sel:BYTE_0 src1_sel:DWORD
	s_andn2_b64 s[4:5], s[4:5], exec
	s_and_b64 s[8:9], s[8:9], exec
	s_or_b64 s[4:5], s[4:5], s[8:9]
	s_or_b64 exec, exec, s[6:7]
	s_and_saveexec_b64 s[6:7], s[4:5]
	s_cbranch_execnz .LBB36_1391
	s_branch .LBB36_1392
.LBB36_3441:
	s_movk_i32 s4, 0x80
	v_cmp_eq_u16_e32 vcc, s4, v11
	s_mov_b64 s[4:5], -1
                                        ; implicit-def: $sgpr10
	s_and_saveexec_b64 s[8:9], vcc
; %bb.3442:
	s_mov_b32 s10, 0x7f800001
	s_xor_b64 s[4:5], exec, -1
; %bb.3443:
	s_or_b64 exec, exec, s[8:9]
	s_and_b64 s[4:5], s[4:5], exec
                                        ; implicit-def: $vgpr11
	s_or_saveexec_b64 s[6:7], s[6:7]
	v_mov_b32_e32 v10, s10
	s_xor_b64 exec, exec, s[6:7]
	s_cbranch_execz .LBB36_1394
.LBB36_3444:
	v_cmp_ne_u16_e32 vcc, 0, v11
	s_andn2_b64 s[4:5], s[4:5], exec
	s_and_b64 s[8:9], vcc, exec
	v_mov_b32_e32 v10, 0
	s_or_b64 s[4:5], s[4:5], s[8:9]
	s_or_b64 exec, exec, s[6:7]
	s_and_saveexec_b64 s[6:7], s[4:5]
	s_cbranch_execnz .LBB36_1395
	s_branch .LBB36_1396
.LBB36_3445:
	s_movk_i32 s4, 0x80
	v_cmp_eq_u16_e32 vcc, s4, v11
	s_mov_b64 s[4:5], -1
                                        ; implicit-def: $sgpr10
	s_and_saveexec_b64 s[8:9], vcc
; %bb.3446:
	s_mov_b32 s10, 0x7f800001
	s_xor_b64 s[4:5], exec, -1
; %bb.3447:
	s_or_b64 exec, exec, s[8:9]
	s_and_b64 s[4:5], s[4:5], exec
                                        ; implicit-def: $vgpr11
	s_or_saveexec_b64 s[6:7], s[6:7]
	v_mov_b32_e32 v12, s10
	s_xor_b64 exec, exec, s[6:7]
	s_cbranch_execz .LBB36_1398
.LBB36_3448:
	v_cmp_ne_u16_e32 vcc, 0, v11
	s_andn2_b64 s[4:5], s[4:5], exec
	s_and_b64 s[8:9], vcc, exec
	v_mov_b32_e32 v12, 0
	s_or_b64 s[4:5], s[4:5], s[8:9]
	s_or_b64 exec, exec, s[6:7]
	s_and_saveexec_b64 s[6:7], s[4:5]
	s_cbranch_execnz .LBB36_1399
	s_branch .LBB36_1400
.LBB36_3449:
	s_movk_i32 s4, 0x80
	v_cmp_eq_u16_sdwa s[12:13], v17, s4 src0_sel:BYTE_3 src1_sel:DWORD
	s_mov_b64 s[4:5], -1
                                        ; implicit-def: $sgpr10
	s_and_saveexec_b64 s[8:9], s[12:13]
; %bb.3450:
	s_mov_b32 s10, 0x7f800001
	s_xor_b64 s[4:5], exec, -1
; %bb.3451:
	s_or_b64 exec, exec, s[8:9]
	s_and_b64 s[4:5], s[4:5], exec
	s_or_saveexec_b64 s[6:7], s[6:7]
	v_mov_b32_e32 v10, s10
	s_xor_b64 exec, exec, s[6:7]
	s_cbranch_execz .LBB36_1402
.LBB36_3452:
	v_mov_b32_e32 v10, 0
	v_cmp_ne_u16_sdwa s[8:9], v17, v10 src0_sel:BYTE_3 src1_sel:DWORD
	s_andn2_b64 s[4:5], s[4:5], exec
	s_and_b64 s[8:9], s[8:9], exec
	s_or_b64 s[4:5], s[4:5], s[8:9]
	s_or_b64 exec, exec, s[6:7]
	s_and_saveexec_b64 s[6:7], s[4:5]
	s_cbranch_execnz .LBB36_1403
	s_branch .LBB36_1404
.LBB36_3453:
	s_movk_i32 s4, 0x80
	v_cmp_eq_u16_sdwa s[12:13], v13, s4 src0_sel:BYTE_3 src1_sel:DWORD
	s_mov_b64 s[4:5], -1
                                        ; implicit-def: $sgpr10
	s_and_saveexec_b64 s[8:9], s[12:13]
; %bb.3454:
	s_mov_b32 s10, 0x7f800001
	s_xor_b64 s[4:5], exec, -1
; %bb.3455:
	s_or_b64 exec, exec, s[8:9]
	s_and_b64 s[4:5], s[4:5], exec
	s_or_saveexec_b64 s[6:7], s[6:7]
	v_mov_b32_e32 v11, s10
	s_xor_b64 exec, exec, s[6:7]
	s_cbranch_execz .LBB36_1406
.LBB36_3456:
	v_mov_b32_e32 v11, 0
	v_cmp_ne_u16_sdwa s[8:9], v13, v11 src0_sel:BYTE_3 src1_sel:DWORD
	s_andn2_b64 s[4:5], s[4:5], exec
	s_and_b64 s[8:9], s[8:9], exec
	s_or_b64 s[4:5], s[4:5], s[8:9]
	s_or_b64 exec, exec, s[6:7]
	s_and_saveexec_b64 s[6:7], s[4:5]
	s_cbranch_execnz .LBB36_1407
	s_branch .LBB36_1408
.LBB36_3457:
	s_movk_i32 s4, 0x80
	v_cmp_eq_u16_sdwa s[12:13], v6, s4 src0_sel:BYTE_0 src1_sel:DWORD
	s_mov_b64 s[4:5], -1
                                        ; implicit-def: $sgpr10
	s_and_saveexec_b64 s[8:9], s[12:13]
; %bb.3458:
	s_mov_b32 s10, 0x7f800001
	s_xor_b64 s[4:5], exec, -1
; %bb.3459:
	s_or_b64 exec, exec, s[8:9]
	s_and_b64 s[4:5], s[4:5], exec
	s_or_saveexec_b64 s[6:7], s[6:7]
	v_mov_b32_e32 v10, s10
	s_xor_b64 exec, exec, s[6:7]
	s_cbranch_execz .LBB36_1410
.LBB36_3460:
	v_mov_b32_e32 v10, 0
	v_cmp_ne_u16_sdwa s[8:9], v6, v10 src0_sel:BYTE_0 src1_sel:DWORD
	s_andn2_b64 s[4:5], s[4:5], exec
	s_and_b64 s[8:9], s[8:9], exec
	s_or_b64 s[4:5], s[4:5], s[8:9]
	s_or_b64 exec, exec, s[6:7]
	s_and_saveexec_b64 s[6:7], s[4:5]
	s_cbranch_execnz .LBB36_1411
	s_branch .LBB36_1412
.LBB36_3461:
	s_movk_i32 s4, 0x80
	v_cmp_eq_u16_sdwa s[12:13], v2, s4 src0_sel:BYTE_0 src1_sel:DWORD
	s_mov_b64 s[4:5], -1
                                        ; implicit-def: $sgpr10
	s_and_saveexec_b64 s[8:9], s[12:13]
; %bb.3462:
	s_mov_b32 s10, 0x7f800001
	s_xor_b64 s[4:5], exec, -1
; %bb.3463:
	s_or_b64 exec, exec, s[8:9]
	s_and_b64 s[4:5], s[4:5], exec
	s_or_saveexec_b64 s[6:7], s[6:7]
	v_mov_b32_e32 v11, s10
	s_xor_b64 exec, exec, s[6:7]
	s_cbranch_execz .LBB36_1414
.LBB36_3464:
	v_mov_b32_e32 v11, 0
	v_cmp_ne_u16_sdwa s[8:9], v2, v11 src0_sel:BYTE_0 src1_sel:DWORD
	s_andn2_b64 s[4:5], s[4:5], exec
	s_and_b64 s[8:9], s[8:9], exec
	s_or_b64 s[4:5], s[4:5], s[8:9]
	s_or_b64 exec, exec, s[6:7]
	s_and_saveexec_b64 s[6:7], s[4:5]
	s_cbranch_execnz .LBB36_1415
	s_branch .LBB36_1416
.LBB36_3465:
	s_movk_i32 s4, 0x80
	v_cmp_eq_u16_sdwa s[12:13], v11, s4 src0_sel:BYTE_0 src1_sel:DWORD
	s_mov_b64 s[4:5], -1
                                        ; implicit-def: $sgpr10
	s_and_saveexec_b64 s[8:9], s[12:13]
; %bb.3466:
	s_mov_b32 s10, 0x7f800001
	s_xor_b64 s[4:5], exec, -1
; %bb.3467:
	s_or_b64 exec, exec, s[8:9]
	s_and_b64 s[4:5], s[4:5], exec
	s_or_saveexec_b64 s[6:7], s[6:7]
	v_mov_b32_e32 v10, s10
	s_xor_b64 exec, exec, s[6:7]
	s_cbranch_execz .LBB36_1418
.LBB36_3468:
	v_mov_b32_e32 v10, 0
	v_cmp_ne_u16_sdwa s[8:9], v11, v10 src0_sel:BYTE_0 src1_sel:DWORD
	s_andn2_b64 s[4:5], s[4:5], exec
	s_and_b64 s[8:9], s[8:9], exec
	s_or_b64 s[4:5], s[4:5], s[8:9]
	s_or_b64 exec, exec, s[6:7]
	s_and_saveexec_b64 s[6:7], s[4:5]
	s_cbranch_execnz .LBB36_1419
	s_branch .LBB36_1420
.LBB36_3469:
	s_movk_i32 s4, 0x80
	v_cmp_eq_u16_sdwa s[12:13], v11, s4 src0_sel:BYTE_0 src1_sel:DWORD
	s_mov_b64 s[4:5], -1
                                        ; implicit-def: $sgpr10
	s_and_saveexec_b64 s[8:9], s[12:13]
; %bb.3470:
	s_mov_b32 s10, 0x7f800001
	s_xor_b64 s[4:5], exec, -1
; %bb.3471:
	s_or_b64 exec, exec, s[8:9]
	s_and_b64 s[4:5], s[4:5], exec
	s_or_saveexec_b64 s[6:7], s[6:7]
	v_mov_b32_e32 v12, s10
	s_xor_b64 exec, exec, s[6:7]
	s_cbranch_execz .LBB36_1422
.LBB36_3472:
	v_mov_b32_e32 v12, 0
	v_cmp_ne_u16_sdwa s[8:9], v11, v12 src0_sel:BYTE_0 src1_sel:DWORD
	s_andn2_b64 s[4:5], s[4:5], exec
	s_and_b64 s[8:9], s[8:9], exec
	s_or_b64 s[4:5], s[4:5], s[8:9]
	s_or_b64 exec, exec, s[6:7]
	s_and_saveexec_b64 s[6:7], s[4:5]
	s_cbranch_execnz .LBB36_1423
	s_branch .LBB36_1424
.LBB36_3473:
	s_movk_i32 s4, 0x80
	v_cmp_eq_u16_e32 vcc, s4, v11
	s_mov_b64 s[4:5], -1
                                        ; implicit-def: $sgpr10
	s_and_saveexec_b64 s[8:9], vcc
; %bb.3474:
	s_mov_b32 s10, 0x7f800001
	s_xor_b64 s[4:5], exec, -1
; %bb.3475:
	s_or_b64 exec, exec, s[8:9]
	s_and_b64 s[4:5], s[4:5], exec
                                        ; implicit-def: $vgpr11
	s_or_saveexec_b64 s[6:7], s[6:7]
	v_mov_b32_e32 v10, s10
	s_xor_b64 exec, exec, s[6:7]
	s_cbranch_execz .LBB36_1426
.LBB36_3476:
	v_cmp_ne_u16_e32 vcc, 0, v11
	s_andn2_b64 s[4:5], s[4:5], exec
	s_and_b64 s[8:9], vcc, exec
	v_mov_b32_e32 v10, 0
	s_or_b64 s[4:5], s[4:5], s[8:9]
	s_or_b64 exec, exec, s[6:7]
	s_and_saveexec_b64 s[6:7], s[4:5]
	s_cbranch_execnz .LBB36_1427
	s_branch .LBB36_1428
.LBB36_3477:
	s_movk_i32 s4, 0x80
	v_cmp_eq_u16_e32 vcc, s4, v11
	s_mov_b64 s[4:5], -1
                                        ; implicit-def: $sgpr10
	s_and_saveexec_b64 s[8:9], vcc
; %bb.3478:
	s_mov_b32 s10, 0x7f800001
	s_xor_b64 s[4:5], exec, -1
; %bb.3479:
	s_or_b64 exec, exec, s[8:9]
	s_and_b64 s[4:5], s[4:5], exec
                                        ; implicit-def: $vgpr11
	s_or_saveexec_b64 s[6:7], s[6:7]
	v_mov_b32_e32 v12, s10
	s_xor_b64 exec, exec, s[6:7]
	s_cbranch_execz .LBB36_1430
.LBB36_3480:
	v_cmp_ne_u16_e32 vcc, 0, v11
	s_andn2_b64 s[4:5], s[4:5], exec
	s_and_b64 s[8:9], vcc, exec
	v_mov_b32_e32 v12, 0
	s_or_b64 s[4:5], s[4:5], s[8:9]
	s_or_b64 exec, exec, s[6:7]
	s_and_saveexec_b64 s[6:7], s[4:5]
	s_cbranch_execnz .LBB36_1431
	s_branch .LBB36_1432
.LBB36_3481:
	s_movk_i32 s4, 0x80
	v_cmp_eq_u16_sdwa s[12:13], v6, s4 src0_sel:BYTE_3 src1_sel:DWORD
	s_mov_b64 s[4:5], -1
                                        ; implicit-def: $sgpr10
	s_and_saveexec_b64 s[8:9], s[12:13]
; %bb.3482:
	s_mov_b32 s10, 0x7f800001
	s_xor_b64 s[4:5], exec, -1
; %bb.3483:
	s_or_b64 exec, exec, s[8:9]
	s_and_b64 s[4:5], s[4:5], exec
	s_or_saveexec_b64 s[6:7], s[6:7]
	v_mov_b32_e32 v10, s10
	s_xor_b64 exec, exec, s[6:7]
	s_cbranch_execz .LBB36_1434
.LBB36_3484:
	v_mov_b32_e32 v10, 0
	v_cmp_ne_u16_sdwa s[8:9], v6, v10 src0_sel:BYTE_3 src1_sel:DWORD
	s_andn2_b64 s[4:5], s[4:5], exec
	s_and_b64 s[8:9], s[8:9], exec
	s_or_b64 s[4:5], s[4:5], s[8:9]
	s_or_b64 exec, exec, s[6:7]
	s_and_saveexec_b64 s[6:7], s[4:5]
	s_cbranch_execnz .LBB36_1435
	s_branch .LBB36_1436
.LBB36_3485:
	s_movk_i32 s4, 0x80
	v_cmp_eq_u16_sdwa s[12:13], v2, s4 src0_sel:BYTE_3 src1_sel:DWORD
	s_mov_b64 s[4:5], -1
                                        ; implicit-def: $sgpr10
	s_and_saveexec_b64 s[8:9], s[12:13]
; %bb.3486:
	s_mov_b32 s10, 0x7f800001
	s_xor_b64 s[4:5], exec, -1
; %bb.3487:
	s_or_b64 exec, exec, s[8:9]
	s_and_b64 s[4:5], s[4:5], exec
	s_or_saveexec_b64 s[6:7], s[6:7]
	v_mov_b32_e32 v6, s10
	s_xor_b64 exec, exec, s[6:7]
	s_cbranch_execz .LBB36_1438
.LBB36_3488:
	v_mov_b32_e32 v6, 0
	v_cmp_ne_u16_sdwa s[8:9], v2, v6 src0_sel:BYTE_3 src1_sel:DWORD
	s_andn2_b64 s[4:5], s[4:5], exec
	s_and_b64 s[8:9], s[8:9], exec
	s_or_b64 s[4:5], s[4:5], s[8:9]
	s_or_b64 exec, exec, s[6:7]
	s_and_saveexec_b64 s[6:7], s[4:5]
	s_cbranch_execnz .LBB36_1439
	s_branch .LBB36_1440
.LBB36_3489:
	s_movk_i32 s4, 0x80
	v_cmp_eq_u16_sdwa s[12:13], v7, s4 src0_sel:BYTE_0 src1_sel:DWORD
	s_mov_b64 s[4:5], -1
                                        ; implicit-def: $sgpr10
	s_and_saveexec_b64 s[8:9], s[12:13]
; %bb.3490:
	s_mov_b32 s10, 0x7f800001
	s_xor_b64 s[4:5], exec, -1
; %bb.3491:
	s_or_b64 exec, exec, s[8:9]
	s_and_b64 s[4:5], s[4:5], exec
	s_or_saveexec_b64 s[6:7], s[6:7]
	v_mov_b32_e32 v2, s10
	s_xor_b64 exec, exec, s[6:7]
	s_cbranch_execz .LBB36_1442
.LBB36_3492:
	v_mov_b32_e32 v2, 0
	v_cmp_ne_u16_sdwa s[8:9], v7, v2 src0_sel:BYTE_0 src1_sel:DWORD
	s_andn2_b64 s[4:5], s[4:5], exec
	s_and_b64 s[8:9], s[8:9], exec
	s_or_b64 s[4:5], s[4:5], s[8:9]
	s_or_b64 exec, exec, s[6:7]
	s_and_saveexec_b64 s[6:7], s[4:5]
	s_cbranch_execnz .LBB36_1443
	s_branch .LBB36_1444
.LBB36_3493:
	s_movk_i32 s4, 0x80
	v_cmp_eq_u16_sdwa s[12:13], v3, s4 src0_sel:BYTE_0 src1_sel:DWORD
	s_mov_b64 s[4:5], -1
                                        ; implicit-def: $sgpr10
	s_and_saveexec_b64 s[8:9], s[12:13]
; %bb.3494:
	s_mov_b32 s10, 0x7f800001
	s_xor_b64 s[4:5], exec, -1
; %bb.3495:
	s_or_b64 exec, exec, s[8:9]
	s_and_b64 s[4:5], s[4:5], exec
	s_or_saveexec_b64 s[6:7], s[6:7]
	v_mov_b32_e32 v6, s10
	s_xor_b64 exec, exec, s[6:7]
	s_cbranch_execz .LBB36_1446
.LBB36_3496:
	v_mov_b32_e32 v6, 0
	v_cmp_ne_u16_sdwa s[8:9], v3, v6 src0_sel:BYTE_0 src1_sel:DWORD
	s_andn2_b64 s[4:5], s[4:5], exec
	s_and_b64 s[8:9], s[8:9], exec
	s_or_b64 s[4:5], s[4:5], s[8:9]
	s_or_b64 exec, exec, s[6:7]
	s_and_saveexec_b64 s[6:7], s[4:5]
	s_cbranch_execnz .LBB36_1447
	s_branch .LBB36_1448
.LBB36_3497:
	s_movk_i32 s4, 0x80
	v_cmp_eq_u16_sdwa s[12:13], v6, s4 src0_sel:BYTE_0 src1_sel:DWORD
	s_mov_b64 s[4:5], -1
                                        ; implicit-def: $sgpr10
	s_and_saveexec_b64 s[8:9], s[12:13]
; %bb.3498:
	s_mov_b32 s10, 0x7f800001
	s_xor_b64 s[4:5], exec, -1
; %bb.3499:
	s_or_b64 exec, exec, s[8:9]
	s_and_b64 s[4:5], s[4:5], exec
	s_or_saveexec_b64 s[6:7], s[6:7]
	v_mov_b32_e32 v2, s10
	s_xor_b64 exec, exec, s[6:7]
	s_cbranch_execz .LBB36_1450
.LBB36_3500:
	v_mov_b32_e32 v2, 0
	v_cmp_ne_u16_sdwa s[8:9], v6, v2 src0_sel:BYTE_0 src1_sel:DWORD
	s_andn2_b64 s[4:5], s[4:5], exec
	s_and_b64 s[8:9], s[8:9], exec
	s_or_b64 s[4:5], s[4:5], s[8:9]
	s_or_b64 exec, exec, s[6:7]
	s_and_saveexec_b64 s[6:7], s[4:5]
	s_cbranch_execnz .LBB36_1451
	s_branch .LBB36_1452
.LBB36_3501:
	s_movk_i32 s4, 0x80
	v_cmp_eq_u16_sdwa s[12:13], v6, s4 src0_sel:BYTE_0 src1_sel:DWORD
	s_mov_b64 s[4:5], -1
                                        ; implicit-def: $sgpr10
	s_and_saveexec_b64 s[8:9], s[12:13]
; %bb.3502:
	s_mov_b32 s10, 0x7f800001
	s_xor_b64 s[4:5], exec, -1
; %bb.3503:
	s_or_b64 exec, exec, s[8:9]
	s_and_b64 s[4:5], s[4:5], exec
	s_or_saveexec_b64 s[6:7], s[6:7]
	v_mov_b32_e32 v10, s10
	s_xor_b64 exec, exec, s[6:7]
	s_cbranch_execz .LBB36_1454
.LBB36_3504:
	v_mov_b32_e32 v10, 0
	v_cmp_ne_u16_sdwa s[8:9], v6, v10 src0_sel:BYTE_0 src1_sel:DWORD
	s_andn2_b64 s[4:5], s[4:5], exec
	s_and_b64 s[8:9], s[8:9], exec
	s_or_b64 s[4:5], s[4:5], s[8:9]
	s_or_b64 exec, exec, s[6:7]
	s_and_saveexec_b64 s[6:7], s[4:5]
	s_cbranch_execnz .LBB36_1455
	s_branch .LBB36_1456
.LBB36_3505:
	s_movk_i32 s4, 0x80
	v_cmp_eq_u16_e32 vcc, s4, v6
	s_mov_b64 s[4:5], -1
                                        ; implicit-def: $sgpr10
	s_and_saveexec_b64 s[8:9], vcc
; %bb.3506:
	s_mov_b32 s10, 0x7f800001
	s_xor_b64 s[4:5], exec, -1
; %bb.3507:
	s_or_b64 exec, exec, s[8:9]
	s_and_b64 s[4:5], s[4:5], exec
                                        ; implicit-def: $vgpr6
	s_or_saveexec_b64 s[6:7], s[6:7]
	v_mov_b32_e32 v2, s10
	s_xor_b64 exec, exec, s[6:7]
	s_cbranch_execz .LBB36_1458
.LBB36_3508:
	v_cmp_ne_u16_e32 vcc, 0, v6
	s_andn2_b64 s[4:5], s[4:5], exec
	s_and_b64 s[8:9], vcc, exec
	v_mov_b32_e32 v2, 0
	s_or_b64 s[4:5], s[4:5], s[8:9]
	s_or_b64 exec, exec, s[6:7]
	s_and_saveexec_b64 s[6:7], s[4:5]
	s_cbranch_execnz .LBB36_1459
	s_branch .LBB36_1460
.LBB36_3509:
	s_movk_i32 s4, 0x80
	v_cmp_eq_u16_e32 vcc, s4, v6
	s_mov_b64 s[4:5], -1
                                        ; implicit-def: $sgpr10
	s_and_saveexec_b64 s[8:9], vcc
; %bb.3510:
	s_mov_b32 s10, 0x7f800001
	s_xor_b64 s[4:5], exec, -1
; %bb.3511:
	s_or_b64 exec, exec, s[8:9]
	s_and_b64 s[4:5], s[4:5], exec
                                        ; implicit-def: $vgpr6
	s_or_saveexec_b64 s[6:7], s[6:7]
	v_mov_b32_e32 v10, s10
	s_xor_b64 exec, exec, s[6:7]
	s_cbranch_execz .LBB36_1462
.LBB36_3512:
	v_cmp_ne_u16_e32 vcc, 0, v6
	s_andn2_b64 s[4:5], s[4:5], exec
	s_and_b64 s[8:9], vcc, exec
	v_mov_b32_e32 v10, 0
	s_or_b64 s[4:5], s[4:5], s[8:9]
	s_or_b64 exec, exec, s[6:7]
	s_and_saveexec_b64 s[6:7], s[4:5]
	s_cbranch_execnz .LBB36_1463
	s_branch .LBB36_1464
.LBB36_3513:
	s_movk_i32 s4, 0x80
	v_cmp_eq_u16_sdwa s[12:13], v7, s4 src0_sel:BYTE_3 src1_sel:DWORD
	s_mov_b64 s[4:5], -1
                                        ; implicit-def: $sgpr10
	s_and_saveexec_b64 s[8:9], s[12:13]
; %bb.3514:
	s_mov_b32 s10, 0x7f800001
	s_xor_b64 s[4:5], exec, -1
; %bb.3515:
	s_or_b64 exec, exec, s[8:9]
	s_and_b64 s[4:5], s[4:5], exec
	s_or_saveexec_b64 s[6:7], s[6:7]
	v_mov_b32_e32 v2, s10
	s_xor_b64 exec, exec, s[6:7]
	s_cbranch_execz .LBB36_1466
.LBB36_3516:
	v_mov_b32_e32 v2, 0
	v_cmp_ne_u16_sdwa s[8:9], v7, v2 src0_sel:BYTE_3 src1_sel:DWORD
	s_andn2_b64 s[4:5], s[4:5], exec
	s_and_b64 s[8:9], s[8:9], exec
	s_or_b64 s[4:5], s[4:5], s[8:9]
	s_or_b64 exec, exec, s[6:7]
	s_and_saveexec_b64 s[6:7], s[4:5]
	s_cbranch_execnz .LBB36_1467
	s_branch .LBB36_1468
.LBB36_3517:
	s_movk_i32 s4, 0x80
	v_cmp_eq_u16_sdwa s[12:13], v3, s4 src0_sel:BYTE_3 src1_sel:DWORD
	s_mov_b64 s[4:5], -1
                                        ; implicit-def: $sgpr10
	s_and_saveexec_b64 s[8:9], s[12:13]
; %bb.3518:
	s_mov_b32 s10, 0x7f800001
	s_xor_b64 s[4:5], exec, -1
; %bb.3519:
	s_or_b64 exec, exec, s[8:9]
	s_and_b64 s[4:5], s[4:5], exec
	s_or_saveexec_b64 s[6:7], s[6:7]
	v_mov_b32_e32 v6, s10
	s_xor_b64 exec, exec, s[6:7]
	s_cbranch_execz .LBB36_1470
.LBB36_3520:
	v_mov_b32_e32 v6, 0
	v_cmp_ne_u16_sdwa s[8:9], v3, v6 src0_sel:BYTE_3 src1_sel:DWORD
	s_andn2_b64 s[4:5], s[4:5], exec
	s_and_b64 s[8:9], s[8:9], exec
	s_or_b64 s[4:5], s[4:5], s[8:9]
	s_or_b64 exec, exec, s[6:7]
	s_and_saveexec_b64 s[6:7], s[4:5]
	s_cbranch_execnz .LBB36_1471
	s_branch .LBB36_1472
.LBB36_3521:
	s_movk_i32 s4, 0x80
	v_cmp_eq_u16_sdwa s[12:13], v8, s4 src0_sel:BYTE_0 src1_sel:DWORD
	s_mov_b64 s[4:5], -1
                                        ; implicit-def: $sgpr10
	s_and_saveexec_b64 s[8:9], s[12:13]
; %bb.3522:
	s_mov_b32 s10, 0x7f800001
	s_xor_b64 s[4:5], exec, -1
; %bb.3523:
	s_or_b64 exec, exec, s[8:9]
	s_and_b64 s[4:5], s[4:5], exec
	s_or_saveexec_b64 s[6:7], s[6:7]
	v_mov_b32_e32 v2, s10
	s_xor_b64 exec, exec, s[6:7]
	s_cbranch_execz .LBB36_1474
.LBB36_3524:
	v_mov_b32_e32 v2, 0
	v_cmp_ne_u16_sdwa s[8:9], v8, v2 src0_sel:BYTE_0 src1_sel:DWORD
	s_andn2_b64 s[4:5], s[4:5], exec
	s_and_b64 s[8:9], s[8:9], exec
	s_or_b64 s[4:5], s[4:5], s[8:9]
	s_or_b64 exec, exec, s[6:7]
	s_and_saveexec_b64 s[6:7], s[4:5]
	s_cbranch_execnz .LBB36_1475
	s_branch .LBB36_1476
.LBB36_3525:
	s_movk_i32 s4, 0x80
	v_cmp_eq_u16_sdwa s[12:13], v4, s4 src0_sel:BYTE_0 src1_sel:DWORD
	s_mov_b64 s[4:5], -1
                                        ; implicit-def: $sgpr10
	s_and_saveexec_b64 s[8:9], s[12:13]
; %bb.3526:
	s_mov_b32 s10, 0x7f800001
	s_xor_b64 s[4:5], exec, -1
; %bb.3527:
	s_or_b64 exec, exec, s[8:9]
	s_and_b64 s[4:5], s[4:5], exec
	s_or_saveexec_b64 s[6:7], s[6:7]
	v_mov_b32_e32 v3, s10
	s_xor_b64 exec, exec, s[6:7]
	s_cbranch_execz .LBB36_1478
.LBB36_3528:
	v_mov_b32_e32 v3, 0
	v_cmp_ne_u16_sdwa s[8:9], v4, v3 src0_sel:BYTE_0 src1_sel:DWORD
	s_andn2_b64 s[4:5], s[4:5], exec
	s_and_b64 s[8:9], s[8:9], exec
	s_or_b64 s[4:5], s[4:5], s[8:9]
	s_or_b64 exec, exec, s[6:7]
	s_and_saveexec_b64 s[6:7], s[4:5]
	s_cbranch_execnz .LBB36_1479
	s_branch .LBB36_1480
.LBB36_3529:
	s_movk_i32 s4, 0x80
	v_cmp_eq_u16_sdwa s[12:13], v3, s4 src0_sel:BYTE_0 src1_sel:DWORD
	s_mov_b64 s[4:5], -1
                                        ; implicit-def: $sgpr10
	s_and_saveexec_b64 s[8:9], s[12:13]
; %bb.3530:
	s_mov_b32 s10, 0x7f800001
	s_xor_b64 s[4:5], exec, -1
; %bb.3531:
	s_or_b64 exec, exec, s[8:9]
	s_and_b64 s[4:5], s[4:5], exec
	s_or_saveexec_b64 s[6:7], s[6:7]
	v_mov_b32_e32 v2, s10
	s_xor_b64 exec, exec, s[6:7]
	s_cbranch_execz .LBB36_1482
.LBB36_3532:
	v_mov_b32_e32 v2, 0
	v_cmp_ne_u16_sdwa s[8:9], v3, v2 src0_sel:BYTE_0 src1_sel:DWORD
	s_andn2_b64 s[4:5], s[4:5], exec
	s_and_b64 s[8:9], s[8:9], exec
	s_or_b64 s[4:5], s[4:5], s[8:9]
	s_or_b64 exec, exec, s[6:7]
	s_and_saveexec_b64 s[6:7], s[4:5]
	s_cbranch_execnz .LBB36_1483
	s_branch .LBB36_1484
.LBB36_3533:
	s_movk_i32 s4, 0x80
	v_cmp_eq_u16_sdwa s[12:13], v3, s4 src0_sel:BYTE_0 src1_sel:DWORD
	s_mov_b64 s[4:5], -1
                                        ; implicit-def: $sgpr10
	s_and_saveexec_b64 s[8:9], s[12:13]
; %bb.3534:
	s_mov_b32 s10, 0x7f800001
	s_xor_b64 s[4:5], exec, -1
; %bb.3535:
	s_or_b64 exec, exec, s[8:9]
	s_and_b64 s[4:5], s[4:5], exec
	s_or_saveexec_b64 s[6:7], s[6:7]
	v_mov_b32_e32 v6, s10
	s_xor_b64 exec, exec, s[6:7]
	s_cbranch_execz .LBB36_1486
.LBB36_3536:
	v_mov_b32_e32 v6, 0
	v_cmp_ne_u16_sdwa s[8:9], v3, v6 src0_sel:BYTE_0 src1_sel:DWORD
	s_andn2_b64 s[4:5], s[4:5], exec
	s_and_b64 s[8:9], s[8:9], exec
	s_or_b64 s[4:5], s[4:5], s[8:9]
	s_or_b64 exec, exec, s[6:7]
	s_and_saveexec_b64 s[6:7], s[4:5]
	s_cbranch_execnz .LBB36_1487
	s_branch .LBB36_1488
.LBB36_3537:
	s_movk_i32 s4, 0x80
	v_cmp_eq_u16_e32 vcc, s4, v3
	s_mov_b64 s[4:5], -1
                                        ; implicit-def: $sgpr10
	s_and_saveexec_b64 s[8:9], vcc
; %bb.3538:
	s_mov_b32 s10, 0x7f800001
	s_xor_b64 s[4:5], exec, -1
; %bb.3539:
	s_or_b64 exec, exec, s[8:9]
	s_and_b64 s[4:5], s[4:5], exec
                                        ; implicit-def: $vgpr3
	s_or_saveexec_b64 s[6:7], s[6:7]
	v_mov_b32_e32 v2, s10
	s_xor_b64 exec, exec, s[6:7]
	s_cbranch_execz .LBB36_1490
.LBB36_3540:
	v_cmp_ne_u16_e32 vcc, 0, v3
	s_andn2_b64 s[4:5], s[4:5], exec
	s_and_b64 s[8:9], vcc, exec
	v_mov_b32_e32 v2, 0
	s_or_b64 s[4:5], s[4:5], s[8:9]
	s_or_b64 exec, exec, s[6:7]
	s_and_saveexec_b64 s[6:7], s[4:5]
	s_cbranch_execnz .LBB36_1491
	s_branch .LBB36_1492
.LBB36_3541:
	s_movk_i32 s4, 0x80
	v_cmp_eq_u16_e32 vcc, s4, v3
	s_mov_b64 s[4:5], -1
                                        ; implicit-def: $sgpr10
	s_and_saveexec_b64 s[8:9], vcc
; %bb.3542:
	s_mov_b32 s10, 0x7f800001
	s_xor_b64 s[4:5], exec, -1
; %bb.3543:
	s_or_b64 exec, exec, s[8:9]
	s_and_b64 s[4:5], s[4:5], exec
                                        ; implicit-def: $vgpr3
	s_or_saveexec_b64 s[6:7], s[6:7]
	v_mov_b32_e32 v6, s10
	s_xor_b64 exec, exec, s[6:7]
	s_cbranch_execz .LBB36_1494
.LBB36_3544:
	v_cmp_ne_u16_e32 vcc, 0, v3
	s_andn2_b64 s[4:5], s[4:5], exec
	s_and_b64 s[8:9], vcc, exec
	v_mov_b32_e32 v6, 0
	s_or_b64 s[4:5], s[4:5], s[8:9]
	s_or_b64 exec, exec, s[6:7]
	s_and_saveexec_b64 s[6:7], s[4:5]
	s_cbranch_execnz .LBB36_1495
	s_branch .LBB36_1496
.LBB36_3545:
	s_movk_i32 s4, 0x80
	v_cmp_eq_u16_sdwa s[12:13], v8, s4 src0_sel:BYTE_3 src1_sel:DWORD
	s_mov_b64 s[4:5], -1
                                        ; implicit-def: $sgpr10
	s_and_saveexec_b64 s[8:9], s[12:13]
; %bb.3546:
	s_mov_b32 s10, 0x7f800001
	s_xor_b64 s[4:5], exec, -1
; %bb.3547:
	s_or_b64 exec, exec, s[8:9]
	s_and_b64 s[4:5], s[4:5], exec
	s_or_saveexec_b64 s[6:7], s[6:7]
	v_mov_b32_e32 v2, s10
	s_xor_b64 exec, exec, s[6:7]
	s_cbranch_execz .LBB36_1498
.LBB36_3548:
	v_mov_b32_e32 v2, 0
	v_cmp_ne_u16_sdwa s[8:9], v8, v2 src0_sel:BYTE_3 src1_sel:DWORD
	s_andn2_b64 s[4:5], s[4:5], exec
	s_and_b64 s[8:9], s[8:9], exec
	s_or_b64 s[4:5], s[4:5], s[8:9]
	s_or_b64 exec, exec, s[6:7]
	s_and_saveexec_b64 s[6:7], s[4:5]
	s_cbranch_execnz .LBB36_1499
	s_branch .LBB36_1500
.LBB36_3549:
	s_movk_i32 s4, 0x80
	v_cmp_eq_u16_sdwa s[12:13], v4, s4 src0_sel:BYTE_3 src1_sel:DWORD
	s_mov_b64 s[4:5], -1
                                        ; implicit-def: $sgpr10
	s_and_saveexec_b64 s[8:9], s[12:13]
; %bb.3550:
	s_mov_b32 s10, 0x7f800001
	s_xor_b64 s[4:5], exec, -1
; %bb.3551:
	s_or_b64 exec, exec, s[8:9]
	s_and_b64 s[4:5], s[4:5], exec
	s_or_saveexec_b64 s[6:7], s[6:7]
	v_mov_b32_e32 v3, s10
	s_xor_b64 exec, exec, s[6:7]
	s_cbranch_execz .LBB36_1502
.LBB36_3552:
	v_mov_b32_e32 v3, 0
	v_cmp_ne_u16_sdwa s[8:9], v4, v3 src0_sel:BYTE_3 src1_sel:DWORD
	s_andn2_b64 s[4:5], s[4:5], exec
	s_and_b64 s[8:9], s[8:9], exec
	s_or_b64 s[4:5], s[4:5], s[8:9]
	s_or_b64 exec, exec, s[6:7]
	s_and_saveexec_b64 s[6:7], s[4:5]
	s_cbranch_execnz .LBB36_1503
	s_branch .LBB36_1504
.LBB36_3553:
	s_movk_i32 s4, 0x80
	v_cmp_eq_u16_sdwa s[12:13], v9, s4 src0_sel:BYTE_0 src1_sel:DWORD
	s_mov_b64 s[4:5], -1
                                        ; implicit-def: $sgpr10
	s_and_saveexec_b64 s[8:9], s[12:13]
; %bb.3554:
	s_mov_b32 s10, 0x7f800001
	s_xor_b64 s[4:5], exec, -1
; %bb.3555:
	s_or_b64 exec, exec, s[8:9]
	s_and_b64 s[4:5], s[4:5], exec
	s_or_saveexec_b64 s[6:7], s[6:7]
	v_mov_b32_e32 v2, s10
	s_xor_b64 exec, exec, s[6:7]
	s_cbranch_execz .LBB36_1506
.LBB36_3556:
	v_mov_b32_e32 v2, 0
	v_cmp_ne_u16_sdwa s[8:9], v9, v2 src0_sel:BYTE_0 src1_sel:DWORD
	s_andn2_b64 s[4:5], s[4:5], exec
	s_and_b64 s[8:9], s[8:9], exec
	s_or_b64 s[4:5], s[4:5], s[8:9]
	s_or_b64 exec, exec, s[6:7]
	s_and_saveexec_b64 s[6:7], s[4:5]
	s_cbranch_execnz .LBB36_1507
	s_branch .LBB36_1508
.LBB36_3557:
	s_movk_i32 s4, 0x80
	v_cmp_eq_u16_sdwa s[12:13], v5, s4 src0_sel:BYTE_0 src1_sel:DWORD
	s_mov_b64 s[4:5], -1
                                        ; implicit-def: $sgpr10
	s_and_saveexec_b64 s[8:9], s[12:13]
; %bb.3558:
	s_mov_b32 s10, 0x7f800001
	s_xor_b64 s[4:5], exec, -1
; %bb.3559:
	s_or_b64 exec, exec, s[8:9]
	s_and_b64 s[4:5], s[4:5], exec
	s_or_saveexec_b64 s[6:7], s[6:7]
	v_mov_b32_e32 v3, s10
	s_xor_b64 exec, exec, s[6:7]
	s_cbranch_execz .LBB36_1510
.LBB36_3560:
	v_mov_b32_e32 v3, 0
	v_cmp_ne_u16_sdwa s[8:9], v5, v3 src0_sel:BYTE_0 src1_sel:DWORD
	s_andn2_b64 s[4:5], s[4:5], exec
	s_and_b64 s[8:9], s[8:9], exec
	s_or_b64 s[4:5], s[4:5], s[8:9]
	s_or_b64 exec, exec, s[6:7]
	s_and_saveexec_b64 s[6:7], s[4:5]
	s_cbranch_execnz .LBB36_1511
	s_branch .LBB36_1512
.LBB36_3561:
	s_movk_i32 s4, 0x80
	v_cmp_eq_u16_sdwa s[12:13], v3, s4 src0_sel:BYTE_0 src1_sel:DWORD
	s_mov_b64 s[4:5], -1
                                        ; implicit-def: $sgpr10
	s_and_saveexec_b64 s[8:9], s[12:13]
; %bb.3562:
	s_mov_b32 s10, 0x7f800001
	s_xor_b64 s[4:5], exec, -1
; %bb.3563:
	s_or_b64 exec, exec, s[8:9]
	s_and_b64 s[4:5], s[4:5], exec
	s_or_saveexec_b64 s[6:7], s[6:7]
	v_mov_b32_e32 v2, s10
	s_xor_b64 exec, exec, s[6:7]
	s_cbranch_execz .LBB36_1514
.LBB36_3564:
	v_mov_b32_e32 v2, 0
	v_cmp_ne_u16_sdwa s[8:9], v3, v2 src0_sel:BYTE_0 src1_sel:DWORD
	s_andn2_b64 s[4:5], s[4:5], exec
	s_and_b64 s[8:9], s[8:9], exec
	s_or_b64 s[4:5], s[4:5], s[8:9]
	s_or_b64 exec, exec, s[6:7]
	s_and_saveexec_b64 s[6:7], s[4:5]
	s_cbranch_execnz .LBB36_1515
	s_branch .LBB36_1516
.LBB36_3565:
	s_movk_i32 s4, 0x80
	v_cmp_eq_u16_sdwa s[12:13], v3, s4 src0_sel:BYTE_0 src1_sel:DWORD
	s_mov_b64 s[4:5], -1
                                        ; implicit-def: $sgpr10
	s_and_saveexec_b64 s[8:9], s[12:13]
; %bb.3566:
	s_mov_b32 s10, 0x7f800001
	s_xor_b64 s[4:5], exec, -1
; %bb.3567:
	s_or_b64 exec, exec, s[8:9]
	s_and_b64 s[4:5], s[4:5], exec
	s_or_saveexec_b64 s[6:7], s[6:7]
	v_mov_b32_e32 v4, s10
	s_xor_b64 exec, exec, s[6:7]
	s_cbranch_execz .LBB36_1518
.LBB36_3568:
	v_mov_b32_e32 v4, 0
	v_cmp_ne_u16_sdwa s[8:9], v3, v4 src0_sel:BYTE_0 src1_sel:DWORD
	s_andn2_b64 s[4:5], s[4:5], exec
	s_and_b64 s[8:9], s[8:9], exec
	s_or_b64 s[4:5], s[4:5], s[8:9]
	s_or_b64 exec, exec, s[6:7]
	s_and_saveexec_b64 s[6:7], s[4:5]
	s_cbranch_execnz .LBB36_1519
	s_branch .LBB36_1520
.LBB36_3569:
	s_movk_i32 s4, 0x80
	v_cmp_eq_u16_e32 vcc, s4, v3
	s_mov_b64 s[4:5], -1
                                        ; implicit-def: $sgpr10
	s_and_saveexec_b64 s[8:9], vcc
; %bb.3570:
	s_mov_b32 s10, 0x7f800001
	s_xor_b64 s[4:5], exec, -1
; %bb.3571:
	s_or_b64 exec, exec, s[8:9]
	s_and_b64 s[4:5], s[4:5], exec
                                        ; implicit-def: $vgpr3
	s_or_saveexec_b64 s[6:7], s[6:7]
	v_mov_b32_e32 v2, s10
	s_xor_b64 exec, exec, s[6:7]
	s_cbranch_execz .LBB36_1522
.LBB36_3572:
	v_cmp_ne_u16_e32 vcc, 0, v3
	s_andn2_b64 s[4:5], s[4:5], exec
	s_and_b64 s[8:9], vcc, exec
	v_mov_b32_e32 v2, 0
	s_or_b64 s[4:5], s[4:5], s[8:9]
	s_or_b64 exec, exec, s[6:7]
	s_and_saveexec_b64 s[6:7], s[4:5]
	s_cbranch_execnz .LBB36_1523
	s_branch .LBB36_1524
.LBB36_3573:
	s_movk_i32 s4, 0x80
	v_cmp_eq_u16_e32 vcc, s4, v3
	s_mov_b64 s[4:5], -1
                                        ; implicit-def: $sgpr10
	s_and_saveexec_b64 s[8:9], vcc
; %bb.3574:
	s_mov_b32 s10, 0x7f800001
	s_xor_b64 s[4:5], exec, -1
; %bb.3575:
	s_or_b64 exec, exec, s[8:9]
	s_and_b64 s[4:5], s[4:5], exec
                                        ; implicit-def: $vgpr3
	s_or_saveexec_b64 s[6:7], s[6:7]
	v_mov_b32_e32 v4, s10
	s_xor_b64 exec, exec, s[6:7]
	s_cbranch_execz .LBB36_1526
.LBB36_3576:
	v_cmp_ne_u16_e32 vcc, 0, v3
	s_andn2_b64 s[4:5], s[4:5], exec
	s_and_b64 s[8:9], vcc, exec
	v_mov_b32_e32 v4, 0
	s_or_b64 s[4:5], s[4:5], s[8:9]
	s_or_b64 exec, exec, s[6:7]
	s_and_saveexec_b64 s[6:7], s[4:5]
	s_cbranch_execnz .LBB36_1527
	s_branch .LBB36_1528
.LBB36_3577:
	s_movk_i32 s4, 0x80
	v_cmp_eq_u16_sdwa s[12:13], v9, s4 src0_sel:BYTE_3 src1_sel:DWORD
	s_mov_b64 s[4:5], -1
                                        ; implicit-def: $sgpr10
	s_and_saveexec_b64 s[8:9], s[12:13]
; %bb.3578:
	s_mov_b32 s10, 0x7f800001
	s_xor_b64 s[4:5], exec, -1
; %bb.3579:
	s_or_b64 exec, exec, s[8:9]
	s_and_b64 s[4:5], s[4:5], exec
	s_or_saveexec_b64 s[6:7], s[6:7]
	v_mov_b32_e32 v2, s10
	s_xor_b64 exec, exec, s[6:7]
	s_cbranch_execz .LBB36_1530
.LBB36_3580:
	v_mov_b32_e32 v2, 0
	v_cmp_ne_u16_sdwa s[8:9], v9, v2 src0_sel:BYTE_3 src1_sel:DWORD
	s_andn2_b64 s[4:5], s[4:5], exec
	s_and_b64 s[8:9], s[8:9], exec
	s_or_b64 s[4:5], s[4:5], s[8:9]
	s_or_b64 exec, exec, s[6:7]
	s_and_saveexec_b64 s[6:7], s[4:5]
	s_cbranch_execnz .LBB36_1531
	s_branch .LBB36_1532
.LBB36_3581:
	s_movk_i32 s4, 0x80
	v_cmp_eq_u16_sdwa s[12:13], v5, s4 src0_sel:BYTE_3 src1_sel:DWORD
	s_mov_b64 s[4:5], -1
                                        ; implicit-def: $sgpr10
	s_and_saveexec_b64 s[8:9], s[12:13]
; %bb.3582:
	s_mov_b32 s10, 0x7f800001
	s_xor_b64 s[4:5], exec, -1
; %bb.3583:
	s_or_b64 exec, exec, s[8:9]
	s_and_b64 s[4:5], s[4:5], exec
	s_or_saveexec_b64 s[6:7], s[6:7]
	v_mov_b32_e32 v3, s10
	s_xor_b64 exec, exec, s[6:7]
	s_cbranch_execz .LBB36_1534
.LBB36_3584:
	v_mov_b32_e32 v3, 0
	v_cmp_ne_u16_sdwa s[8:9], v5, v3 src0_sel:BYTE_3 src1_sel:DWORD
	s_andn2_b64 s[4:5], s[4:5], exec
	s_and_b64 s[8:9], s[8:9], exec
	s_or_b64 s[4:5], s[4:5], s[8:9]
	s_or_b64 exec, exec, s[6:7]
	s_and_saveexec_b64 s[6:7], s[4:5]
	s_cbranch_execnz .LBB36_1535
	s_branch .LBB36_1536
.LBB36_3585:
	s_movk_i32 s4, 0x80
	v_cmp_eq_u16_sdwa s[12:13], v14, s4 src0_sel:BYTE_0 src1_sel:DWORD
	s_mov_b64 s[4:5], -1
                                        ; implicit-def: $sgpr10
	s_and_saveexec_b64 s[8:9], s[12:13]
; %bb.3586:
	s_mov_b32 s10, 0x7f800001
	s_xor_b64 s[4:5], exec, -1
; %bb.3587:
	s_or_b64 exec, exec, s[8:9]
	s_and_b64 s[4:5], s[4:5], exec
	s_or_saveexec_b64 s[6:7], s[6:7]
	v_mov_b32_e32 v20, s10
	s_xor_b64 exec, exec, s[6:7]
	s_cbranch_execz .LBB36_1538
.LBB36_3588:
	v_mov_b32_e32 v20, 0
	v_cmp_ne_u16_sdwa s[8:9], v14, v20 src0_sel:BYTE_0 src1_sel:DWORD
	s_andn2_b64 s[4:5], s[4:5], exec
	s_and_b64 s[8:9], s[8:9], exec
	s_or_b64 s[4:5], s[4:5], s[8:9]
	s_or_b64 exec, exec, s[6:7]
	s_and_saveexec_b64 s[6:7], s[4:5]
	s_cbranch_execnz .LBB36_1539
	s_branch .LBB36_1540
.LBB36_3589:
	s_movk_i32 s4, 0x80
	v_cmp_eq_u16_sdwa s[12:13], v10, s4 src0_sel:BYTE_0 src1_sel:DWORD
	s_mov_b64 s[4:5], -1
                                        ; implicit-def: $sgpr10
	s_and_saveexec_b64 s[8:9], s[12:13]
; %bb.3590:
	s_mov_b32 s10, 0x7f800001
	s_xor_b64 s[4:5], exec, -1
; %bb.3591:
	s_or_b64 exec, exec, s[8:9]
	s_and_b64 s[4:5], s[4:5], exec
	s_or_saveexec_b64 s[6:7], s[6:7]
	v_mov_b32_e32 v21, s10
	s_xor_b64 exec, exec, s[6:7]
	s_cbranch_execz .LBB36_1542
.LBB36_3592:
	v_mov_b32_e32 v21, 0
	v_cmp_ne_u16_sdwa s[8:9], v10, v21 src0_sel:BYTE_0 src1_sel:DWORD
	s_andn2_b64 s[4:5], s[4:5], exec
	s_and_b64 s[8:9], s[8:9], exec
	s_or_b64 s[4:5], s[4:5], s[8:9]
	s_or_b64 exec, exec, s[6:7]
	s_and_saveexec_b64 s[6:7], s[4:5]
	s_cbranch_execnz .LBB36_1543
	s_branch .LBB36_1544
.LBB36_3593:
	s_movk_i32 s4, 0x80
	v_cmp_eq_u16_sdwa s[12:13], v21, s4 src0_sel:BYTE_0 src1_sel:DWORD
	s_mov_b64 s[4:5], -1
                                        ; implicit-def: $sgpr10
	s_and_saveexec_b64 s[8:9], s[12:13]
; %bb.3594:
	s_mov_b32 s10, 0x7f800001
	s_xor_b64 s[4:5], exec, -1
; %bb.3595:
	s_or_b64 exec, exec, s[8:9]
	s_and_b64 s[4:5], s[4:5], exec
	s_or_saveexec_b64 s[6:7], s[6:7]
	v_mov_b32_e32 v20, s10
	s_xor_b64 exec, exec, s[6:7]
	s_cbranch_execz .LBB36_1546
.LBB36_3596:
	v_mov_b32_e32 v20, 0
	v_cmp_ne_u16_sdwa s[8:9], v21, v20 src0_sel:BYTE_0 src1_sel:DWORD
	s_andn2_b64 s[4:5], s[4:5], exec
	s_and_b64 s[8:9], s[8:9], exec
	s_or_b64 s[4:5], s[4:5], s[8:9]
	s_or_b64 exec, exec, s[6:7]
	s_and_saveexec_b64 s[6:7], s[4:5]
	s_cbranch_execnz .LBB36_1547
	s_branch .LBB36_1548
.LBB36_3597:
	s_movk_i32 s4, 0x80
	v_cmp_eq_u16_sdwa s[12:13], v21, s4 src0_sel:BYTE_0 src1_sel:DWORD
	s_mov_b64 s[4:5], -1
                                        ; implicit-def: $sgpr10
	s_and_saveexec_b64 s[8:9], s[12:13]
; %bb.3598:
	s_mov_b32 s10, 0x7f800001
	s_xor_b64 s[4:5], exec, -1
; %bb.3599:
	s_or_b64 exec, exec, s[8:9]
	s_and_b64 s[4:5], s[4:5], exec
	s_or_saveexec_b64 s[6:7], s[6:7]
	v_mov_b32_e32 v22, s10
	s_xor_b64 exec, exec, s[6:7]
	s_cbranch_execz .LBB36_1550
.LBB36_3600:
	v_mov_b32_e32 v22, 0
	v_cmp_ne_u16_sdwa s[8:9], v21, v22 src0_sel:BYTE_0 src1_sel:DWORD
	s_andn2_b64 s[4:5], s[4:5], exec
	s_and_b64 s[8:9], s[8:9], exec
	s_or_b64 s[4:5], s[4:5], s[8:9]
	s_or_b64 exec, exec, s[6:7]
	s_and_saveexec_b64 s[6:7], s[4:5]
	s_cbranch_execnz .LBB36_1551
	s_branch .LBB36_1552
.LBB36_3601:
	s_movk_i32 s4, 0x80
	v_cmp_eq_u16_e32 vcc, s4, v21
	s_mov_b64 s[4:5], -1
                                        ; implicit-def: $sgpr10
	s_and_saveexec_b64 s[8:9], vcc
; %bb.3602:
	s_mov_b32 s10, 0x7f800001
	s_xor_b64 s[4:5], exec, -1
; %bb.3603:
	s_or_b64 exec, exec, s[8:9]
	s_and_b64 s[4:5], s[4:5], exec
                                        ; implicit-def: $vgpr21
	s_or_saveexec_b64 s[6:7], s[6:7]
	v_mov_b32_e32 v20, s10
	s_xor_b64 exec, exec, s[6:7]
	s_cbranch_execz .LBB36_1554
.LBB36_3604:
	v_cmp_ne_u16_e32 vcc, 0, v21
	s_andn2_b64 s[4:5], s[4:5], exec
	s_and_b64 s[8:9], vcc, exec
	v_mov_b32_e32 v20, 0
	s_or_b64 s[4:5], s[4:5], s[8:9]
	s_or_b64 exec, exec, s[6:7]
	s_and_saveexec_b64 s[6:7], s[4:5]
	s_cbranch_execnz .LBB36_1555
	s_branch .LBB36_1556
.LBB36_3605:
	s_movk_i32 s4, 0x80
	v_cmp_eq_u16_e32 vcc, s4, v21
	s_mov_b64 s[4:5], -1
                                        ; implicit-def: $sgpr10
	s_and_saveexec_b64 s[8:9], vcc
; %bb.3606:
	s_mov_b32 s10, 0x7f800001
	s_xor_b64 s[4:5], exec, -1
; %bb.3607:
	s_or_b64 exec, exec, s[8:9]
	s_and_b64 s[4:5], s[4:5], exec
                                        ; implicit-def: $vgpr21
	s_or_saveexec_b64 s[6:7], s[6:7]
	v_mov_b32_e32 v22, s10
	s_xor_b64 exec, exec, s[6:7]
	s_cbranch_execz .LBB36_1558
.LBB36_3608:
	v_cmp_ne_u16_e32 vcc, 0, v21
	s_andn2_b64 s[4:5], s[4:5], exec
	s_and_b64 s[8:9], vcc, exec
	v_mov_b32_e32 v22, 0
	s_or_b64 s[4:5], s[4:5], s[8:9]
	s_or_b64 exec, exec, s[6:7]
	s_and_saveexec_b64 s[6:7], s[4:5]
	s_cbranch_execnz .LBB36_1559
	s_branch .LBB36_1560
.LBB36_3609:
	s_movk_i32 s4, 0x80
	v_cmp_eq_u16_sdwa s[12:13], v14, s4 src0_sel:BYTE_3 src1_sel:DWORD
	s_mov_b64 s[4:5], -1
                                        ; implicit-def: $sgpr10
	s_and_saveexec_b64 s[8:9], s[12:13]
; %bb.3610:
	s_mov_b32 s10, 0x7f800001
	s_xor_b64 s[4:5], exec, -1
; %bb.3611:
	s_or_b64 exec, exec, s[8:9]
	s_and_b64 s[4:5], s[4:5], exec
	s_or_saveexec_b64 s[6:7], s[6:7]
	v_mov_b32_e32 v20, s10
	s_xor_b64 exec, exec, s[6:7]
	s_cbranch_execz .LBB36_1562
.LBB36_3612:
	v_mov_b32_e32 v20, 0
	v_cmp_ne_u16_sdwa s[8:9], v14, v20 src0_sel:BYTE_3 src1_sel:DWORD
	s_andn2_b64 s[4:5], s[4:5], exec
	s_and_b64 s[8:9], s[8:9], exec
	s_or_b64 s[4:5], s[4:5], s[8:9]
	s_or_b64 exec, exec, s[6:7]
	s_and_saveexec_b64 s[6:7], s[4:5]
	s_cbranch_execnz .LBB36_1563
	s_branch .LBB36_1564
.LBB36_3613:
	s_movk_i32 s4, 0x80
	v_cmp_eq_u16_sdwa s[12:13], v10, s4 src0_sel:BYTE_3 src1_sel:DWORD
	s_mov_b64 s[4:5], -1
                                        ; implicit-def: $sgpr10
	s_and_saveexec_b64 s[8:9], s[12:13]
; %bb.3614:
	s_mov_b32 s10, 0x7f800001
	s_xor_b64 s[4:5], exec, -1
; %bb.3615:
	s_or_b64 exec, exec, s[8:9]
	s_and_b64 s[4:5], s[4:5], exec
	s_or_saveexec_b64 s[6:7], s[6:7]
	v_mov_b32_e32 v14, s10
	s_xor_b64 exec, exec, s[6:7]
	s_cbranch_execz .LBB36_1566
.LBB36_3616:
	v_mov_b32_e32 v14, 0
	v_cmp_ne_u16_sdwa s[8:9], v10, v14 src0_sel:BYTE_3 src1_sel:DWORD
	s_andn2_b64 s[4:5], s[4:5], exec
	s_and_b64 s[8:9], s[8:9], exec
	s_or_b64 s[4:5], s[4:5], s[8:9]
	s_or_b64 exec, exec, s[6:7]
	s_and_saveexec_b64 s[6:7], s[4:5]
	s_cbranch_execnz .LBB36_1567
	s_branch .LBB36_1568
.LBB36_3617:
	s_movk_i32 s4, 0x80
	v_cmp_eq_u16_sdwa s[12:13], v15, s4 src0_sel:BYTE_0 src1_sel:DWORD
	s_mov_b64 s[4:5], -1
                                        ; implicit-def: $sgpr10
	s_and_saveexec_b64 s[8:9], s[12:13]
; %bb.3618:
	s_mov_b32 s10, 0x7f800001
	s_xor_b64 s[4:5], exec, -1
; %bb.3619:
	s_or_b64 exec, exec, s[8:9]
	s_and_b64 s[4:5], s[4:5], exec
	s_or_saveexec_b64 s[6:7], s[6:7]
	v_mov_b32_e32 v10, s10
	s_xor_b64 exec, exec, s[6:7]
	s_cbranch_execz .LBB36_1570
.LBB36_3620:
	v_mov_b32_e32 v10, 0
	v_cmp_ne_u16_sdwa s[8:9], v15, v10 src0_sel:BYTE_0 src1_sel:DWORD
	s_andn2_b64 s[4:5], s[4:5], exec
	s_and_b64 s[8:9], s[8:9], exec
	s_or_b64 s[4:5], s[4:5], s[8:9]
	s_or_b64 exec, exec, s[6:7]
	s_and_saveexec_b64 s[6:7], s[4:5]
	s_cbranch_execnz .LBB36_1571
	s_branch .LBB36_1572
.LBB36_3621:
	s_movk_i32 s4, 0x80
	v_cmp_eq_u16_sdwa s[12:13], v11, s4 src0_sel:BYTE_0 src1_sel:DWORD
	s_mov_b64 s[4:5], -1
                                        ; implicit-def: $sgpr10
	s_and_saveexec_b64 s[8:9], s[12:13]
; %bb.3622:
	s_mov_b32 s10, 0x7f800001
	s_xor_b64 s[4:5], exec, -1
; %bb.3623:
	s_or_b64 exec, exec, s[8:9]
	s_and_b64 s[4:5], s[4:5], exec
	s_or_saveexec_b64 s[6:7], s[6:7]
	v_mov_b32_e32 v14, s10
	s_xor_b64 exec, exec, s[6:7]
	s_cbranch_execz .LBB36_1574
.LBB36_3624:
	v_mov_b32_e32 v14, 0
	v_cmp_ne_u16_sdwa s[8:9], v11, v14 src0_sel:BYTE_0 src1_sel:DWORD
	s_andn2_b64 s[4:5], s[4:5], exec
	s_and_b64 s[8:9], s[8:9], exec
	s_or_b64 s[4:5], s[4:5], s[8:9]
	s_or_b64 exec, exec, s[6:7]
	s_and_saveexec_b64 s[6:7], s[4:5]
	s_cbranch_execnz .LBB36_1575
	s_branch .LBB36_1576
.LBB36_3625:
	s_movk_i32 s4, 0x80
	v_cmp_eq_u16_sdwa s[12:13], v14, s4 src0_sel:BYTE_0 src1_sel:DWORD
	s_mov_b64 s[4:5], -1
                                        ; implicit-def: $sgpr10
	s_and_saveexec_b64 s[8:9], s[12:13]
; %bb.3626:
	s_mov_b32 s10, 0x7f800001
	s_xor_b64 s[4:5], exec, -1
; %bb.3627:
	s_or_b64 exec, exec, s[8:9]
	s_and_b64 s[4:5], s[4:5], exec
	s_or_saveexec_b64 s[6:7], s[6:7]
	v_mov_b32_e32 v10, s10
	s_xor_b64 exec, exec, s[6:7]
	s_cbranch_execz .LBB36_1578
.LBB36_3628:
	v_mov_b32_e32 v10, 0
	v_cmp_ne_u16_sdwa s[8:9], v14, v10 src0_sel:BYTE_0 src1_sel:DWORD
	s_andn2_b64 s[4:5], s[4:5], exec
	s_and_b64 s[8:9], s[8:9], exec
	s_or_b64 s[4:5], s[4:5], s[8:9]
	s_or_b64 exec, exec, s[6:7]
	s_and_saveexec_b64 s[6:7], s[4:5]
	s_cbranch_execnz .LBB36_1579
	s_branch .LBB36_1580
.LBB36_3629:
	s_movk_i32 s4, 0x80
	v_cmp_eq_u16_sdwa s[12:13], v14, s4 src0_sel:BYTE_0 src1_sel:DWORD
	s_mov_b64 s[4:5], -1
                                        ; implicit-def: $sgpr10
	s_and_saveexec_b64 s[8:9], s[12:13]
; %bb.3630:
	s_mov_b32 s10, 0x7f800001
	s_xor_b64 s[4:5], exec, -1
; %bb.3631:
	s_or_b64 exec, exec, s[8:9]
	s_and_b64 s[4:5], s[4:5], exec
	s_or_saveexec_b64 s[6:7], s[6:7]
	v_mov_b32_e32 v20, s10
	s_xor_b64 exec, exec, s[6:7]
	s_cbranch_execz .LBB36_1582
.LBB36_3632:
	v_mov_b32_e32 v20, 0
	v_cmp_ne_u16_sdwa s[8:9], v14, v20 src0_sel:BYTE_0 src1_sel:DWORD
	s_andn2_b64 s[4:5], s[4:5], exec
	s_and_b64 s[8:9], s[8:9], exec
	s_or_b64 s[4:5], s[4:5], s[8:9]
	s_or_b64 exec, exec, s[6:7]
	s_and_saveexec_b64 s[6:7], s[4:5]
	s_cbranch_execnz .LBB36_1583
	s_branch .LBB36_1584
.LBB36_3633:
	s_movk_i32 s4, 0x80
	v_cmp_eq_u16_e32 vcc, s4, v14
	s_mov_b64 s[4:5], -1
                                        ; implicit-def: $sgpr10
	s_and_saveexec_b64 s[8:9], vcc
; %bb.3634:
	s_mov_b32 s10, 0x7f800001
	s_xor_b64 s[4:5], exec, -1
; %bb.3635:
	s_or_b64 exec, exec, s[8:9]
	s_and_b64 s[4:5], s[4:5], exec
                                        ; implicit-def: $vgpr14
	s_or_saveexec_b64 s[6:7], s[6:7]
	v_mov_b32_e32 v10, s10
	s_xor_b64 exec, exec, s[6:7]
	s_cbranch_execz .LBB36_1586
.LBB36_3636:
	v_cmp_ne_u16_e32 vcc, 0, v14
	s_andn2_b64 s[4:5], s[4:5], exec
	s_and_b64 s[8:9], vcc, exec
	v_mov_b32_e32 v10, 0
	s_or_b64 s[4:5], s[4:5], s[8:9]
	s_or_b64 exec, exec, s[6:7]
	s_and_saveexec_b64 s[6:7], s[4:5]
	s_cbranch_execnz .LBB36_1587
	s_branch .LBB36_1588
.LBB36_3637:
	s_movk_i32 s4, 0x80
	v_cmp_eq_u16_e32 vcc, s4, v14
	s_mov_b64 s[4:5], -1
                                        ; implicit-def: $sgpr10
	s_and_saveexec_b64 s[8:9], vcc
; %bb.3638:
	s_mov_b32 s10, 0x7f800001
	s_xor_b64 s[4:5], exec, -1
; %bb.3639:
	s_or_b64 exec, exec, s[8:9]
	s_and_b64 s[4:5], s[4:5], exec
                                        ; implicit-def: $vgpr14
	s_or_saveexec_b64 s[6:7], s[6:7]
	v_mov_b32_e32 v20, s10
	s_xor_b64 exec, exec, s[6:7]
	s_cbranch_execz .LBB36_1590
.LBB36_3640:
	v_cmp_ne_u16_e32 vcc, 0, v14
	s_andn2_b64 s[4:5], s[4:5], exec
	s_and_b64 s[8:9], vcc, exec
	v_mov_b32_e32 v20, 0
	s_or_b64 s[4:5], s[4:5], s[8:9]
	s_or_b64 exec, exec, s[6:7]
	s_and_saveexec_b64 s[6:7], s[4:5]
	s_cbranch_execnz .LBB36_1591
	s_branch .LBB36_1592
.LBB36_3641:
	s_movk_i32 s4, 0x80
	v_cmp_eq_u16_sdwa s[12:13], v15, s4 src0_sel:BYTE_3 src1_sel:DWORD
	s_mov_b64 s[4:5], -1
                                        ; implicit-def: $sgpr10
	s_and_saveexec_b64 s[8:9], s[12:13]
; %bb.3642:
	s_mov_b32 s10, 0x7f800001
	s_xor_b64 s[4:5], exec, -1
; %bb.3643:
	s_or_b64 exec, exec, s[8:9]
	s_and_b64 s[4:5], s[4:5], exec
	s_or_saveexec_b64 s[6:7], s[6:7]
	v_mov_b32_e32 v10, s10
	s_xor_b64 exec, exec, s[6:7]
	s_cbranch_execz .LBB36_1594
.LBB36_3644:
	v_mov_b32_e32 v10, 0
	v_cmp_ne_u16_sdwa s[8:9], v15, v10 src0_sel:BYTE_3 src1_sel:DWORD
	s_andn2_b64 s[4:5], s[4:5], exec
	s_and_b64 s[8:9], s[8:9], exec
	s_or_b64 s[4:5], s[4:5], s[8:9]
	s_or_b64 exec, exec, s[6:7]
	s_and_saveexec_b64 s[6:7], s[4:5]
	s_cbranch_execnz .LBB36_1595
	s_branch .LBB36_1596
.LBB36_3645:
	s_movk_i32 s4, 0x80
	v_cmp_eq_u16_sdwa s[12:13], v11, s4 src0_sel:BYTE_3 src1_sel:DWORD
	s_mov_b64 s[4:5], -1
                                        ; implicit-def: $sgpr10
	s_and_saveexec_b64 s[8:9], s[12:13]
; %bb.3646:
	s_mov_b32 s10, 0x7f800001
	s_xor_b64 s[4:5], exec, -1
; %bb.3647:
	s_or_b64 exec, exec, s[8:9]
	s_and_b64 s[4:5], s[4:5], exec
	s_or_saveexec_b64 s[6:7], s[6:7]
	v_mov_b32_e32 v14, s10
	s_xor_b64 exec, exec, s[6:7]
	s_cbranch_execz .LBB36_1598
.LBB36_3648:
	v_mov_b32_e32 v14, 0
	v_cmp_ne_u16_sdwa s[8:9], v11, v14 src0_sel:BYTE_3 src1_sel:DWORD
	s_andn2_b64 s[4:5], s[4:5], exec
	s_and_b64 s[8:9], s[8:9], exec
	s_or_b64 s[4:5], s[4:5], s[8:9]
	s_or_b64 exec, exec, s[6:7]
	s_and_saveexec_b64 s[6:7], s[4:5]
	s_cbranch_execnz .LBB36_1599
	s_branch .LBB36_1600
.LBB36_3649:
	s_movk_i32 s4, 0x80
	v_cmp_eq_u16_sdwa s[12:13], v16, s4 src0_sel:BYTE_0 src1_sel:DWORD
	s_mov_b64 s[4:5], -1
                                        ; implicit-def: $sgpr10
	s_and_saveexec_b64 s[8:9], s[12:13]
; %bb.3650:
	s_mov_b32 s10, 0x7f800001
	s_xor_b64 s[4:5], exec, -1
; %bb.3651:
	s_or_b64 exec, exec, s[8:9]
	s_and_b64 s[4:5], s[4:5], exec
	s_or_saveexec_b64 s[6:7], s[6:7]
	v_mov_b32_e32 v10, s10
	s_xor_b64 exec, exec, s[6:7]
	s_cbranch_execz .LBB36_1602
.LBB36_3652:
	v_mov_b32_e32 v10, 0
	v_cmp_ne_u16_sdwa s[8:9], v16, v10 src0_sel:BYTE_0 src1_sel:DWORD
	s_andn2_b64 s[4:5], s[4:5], exec
	s_and_b64 s[8:9], s[8:9], exec
	s_or_b64 s[4:5], s[4:5], s[8:9]
	s_or_b64 exec, exec, s[6:7]
	s_and_saveexec_b64 s[6:7], s[4:5]
	s_cbranch_execnz .LBB36_1603
	s_branch .LBB36_1604
.LBB36_3653:
	s_movk_i32 s4, 0x80
	v_cmp_eq_u16_sdwa s[12:13], v12, s4 src0_sel:BYTE_0 src1_sel:DWORD
	s_mov_b64 s[4:5], -1
                                        ; implicit-def: $sgpr10
	s_and_saveexec_b64 s[8:9], s[12:13]
; %bb.3654:
	s_mov_b32 s10, 0x7f800001
	s_xor_b64 s[4:5], exec, -1
; %bb.3655:
	s_or_b64 exec, exec, s[8:9]
	s_and_b64 s[4:5], s[4:5], exec
	s_or_saveexec_b64 s[6:7], s[6:7]
	v_mov_b32_e32 v11, s10
	s_xor_b64 exec, exec, s[6:7]
	s_cbranch_execz .LBB36_1606
.LBB36_3656:
	v_mov_b32_e32 v11, 0
	v_cmp_ne_u16_sdwa s[8:9], v12, v11 src0_sel:BYTE_0 src1_sel:DWORD
	s_andn2_b64 s[4:5], s[4:5], exec
	s_and_b64 s[8:9], s[8:9], exec
	s_or_b64 s[4:5], s[4:5], s[8:9]
	s_or_b64 exec, exec, s[6:7]
	s_and_saveexec_b64 s[6:7], s[4:5]
	s_cbranch_execnz .LBB36_1607
	s_branch .LBB36_1608
.LBB36_3657:
	s_movk_i32 s4, 0x80
	v_cmp_eq_u16_sdwa s[12:13], v11, s4 src0_sel:BYTE_0 src1_sel:DWORD
	s_mov_b64 s[4:5], -1
                                        ; implicit-def: $sgpr10
	s_and_saveexec_b64 s[8:9], s[12:13]
; %bb.3658:
	s_mov_b32 s10, 0x7f800001
	s_xor_b64 s[4:5], exec, -1
; %bb.3659:
	s_or_b64 exec, exec, s[8:9]
	s_and_b64 s[4:5], s[4:5], exec
	s_or_saveexec_b64 s[6:7], s[6:7]
	v_mov_b32_e32 v10, s10
	s_xor_b64 exec, exec, s[6:7]
	s_cbranch_execz .LBB36_1610
.LBB36_3660:
	v_mov_b32_e32 v10, 0
	v_cmp_ne_u16_sdwa s[8:9], v11, v10 src0_sel:BYTE_0 src1_sel:DWORD
	s_andn2_b64 s[4:5], s[4:5], exec
	s_and_b64 s[8:9], s[8:9], exec
	s_or_b64 s[4:5], s[4:5], s[8:9]
	s_or_b64 exec, exec, s[6:7]
	s_and_saveexec_b64 s[6:7], s[4:5]
	s_cbranch_execnz .LBB36_1611
	s_branch .LBB36_1612
.LBB36_3661:
	s_movk_i32 s4, 0x80
	v_cmp_eq_u16_sdwa s[12:13], v11, s4 src0_sel:BYTE_0 src1_sel:DWORD
	s_mov_b64 s[4:5], -1
                                        ; implicit-def: $sgpr10
	s_and_saveexec_b64 s[8:9], s[12:13]
; %bb.3662:
	s_mov_b32 s10, 0x7f800001
	s_xor_b64 s[4:5], exec, -1
; %bb.3663:
	s_or_b64 exec, exec, s[8:9]
	s_and_b64 s[4:5], s[4:5], exec
	s_or_saveexec_b64 s[6:7], s[6:7]
	v_mov_b32_e32 v14, s10
	s_xor_b64 exec, exec, s[6:7]
	s_cbranch_execz .LBB36_1614
.LBB36_3664:
	v_mov_b32_e32 v14, 0
	v_cmp_ne_u16_sdwa s[8:9], v11, v14 src0_sel:BYTE_0 src1_sel:DWORD
	s_andn2_b64 s[4:5], s[4:5], exec
	s_and_b64 s[8:9], s[8:9], exec
	s_or_b64 s[4:5], s[4:5], s[8:9]
	s_or_b64 exec, exec, s[6:7]
	s_and_saveexec_b64 s[6:7], s[4:5]
	s_cbranch_execnz .LBB36_1615
	s_branch .LBB36_1616
.LBB36_3665:
	s_movk_i32 s4, 0x80
	v_cmp_eq_u16_e32 vcc, s4, v11
	s_mov_b64 s[4:5], -1
                                        ; implicit-def: $sgpr10
	s_and_saveexec_b64 s[8:9], vcc
; %bb.3666:
	s_mov_b32 s10, 0x7f800001
	s_xor_b64 s[4:5], exec, -1
; %bb.3667:
	s_or_b64 exec, exec, s[8:9]
	s_and_b64 s[4:5], s[4:5], exec
                                        ; implicit-def: $vgpr11
	s_or_saveexec_b64 s[6:7], s[6:7]
	v_mov_b32_e32 v10, s10
	s_xor_b64 exec, exec, s[6:7]
	s_cbranch_execz .LBB36_1618
.LBB36_3668:
	v_cmp_ne_u16_e32 vcc, 0, v11
	s_andn2_b64 s[4:5], s[4:5], exec
	s_and_b64 s[8:9], vcc, exec
	v_mov_b32_e32 v10, 0
	s_or_b64 s[4:5], s[4:5], s[8:9]
	s_or_b64 exec, exec, s[6:7]
	s_and_saveexec_b64 s[6:7], s[4:5]
	s_cbranch_execnz .LBB36_1619
	s_branch .LBB36_1620
.LBB36_3669:
	s_movk_i32 s4, 0x80
	v_cmp_eq_u16_e32 vcc, s4, v11
	s_mov_b64 s[4:5], -1
                                        ; implicit-def: $sgpr10
	s_and_saveexec_b64 s[8:9], vcc
; %bb.3670:
	s_mov_b32 s10, 0x7f800001
	s_xor_b64 s[4:5], exec, -1
; %bb.3671:
	s_or_b64 exec, exec, s[8:9]
	s_and_b64 s[4:5], s[4:5], exec
                                        ; implicit-def: $vgpr11
	s_or_saveexec_b64 s[6:7], s[6:7]
	v_mov_b32_e32 v14, s10
	s_xor_b64 exec, exec, s[6:7]
	s_cbranch_execz .LBB36_1622
.LBB36_3672:
	v_cmp_ne_u16_e32 vcc, 0, v11
	s_andn2_b64 s[4:5], s[4:5], exec
	s_and_b64 s[8:9], vcc, exec
	v_mov_b32_e32 v14, 0
	s_or_b64 s[4:5], s[4:5], s[8:9]
	s_or_b64 exec, exec, s[6:7]
	s_and_saveexec_b64 s[6:7], s[4:5]
	s_cbranch_execnz .LBB36_1623
	s_branch .LBB36_1624
.LBB36_3673:
	s_movk_i32 s4, 0x80
	v_cmp_eq_u16_sdwa s[12:13], v16, s4 src0_sel:BYTE_3 src1_sel:DWORD
	s_mov_b64 s[4:5], -1
                                        ; implicit-def: $sgpr10
	s_and_saveexec_b64 s[8:9], s[12:13]
; %bb.3674:
	s_mov_b32 s10, 0x7f800001
	s_xor_b64 s[4:5], exec, -1
; %bb.3675:
	s_or_b64 exec, exec, s[8:9]
	s_and_b64 s[4:5], s[4:5], exec
	s_or_saveexec_b64 s[6:7], s[6:7]
	v_mov_b32_e32 v10, s10
	s_xor_b64 exec, exec, s[6:7]
	s_cbranch_execz .LBB36_1626
.LBB36_3676:
	v_mov_b32_e32 v10, 0
	v_cmp_ne_u16_sdwa s[8:9], v16, v10 src0_sel:BYTE_3 src1_sel:DWORD
	s_andn2_b64 s[4:5], s[4:5], exec
	s_and_b64 s[8:9], s[8:9], exec
	s_or_b64 s[4:5], s[4:5], s[8:9]
	s_or_b64 exec, exec, s[6:7]
	s_and_saveexec_b64 s[6:7], s[4:5]
	s_cbranch_execnz .LBB36_1627
	s_branch .LBB36_1628
.LBB36_3677:
	s_movk_i32 s4, 0x80
	v_cmp_eq_u16_sdwa s[12:13], v12, s4 src0_sel:BYTE_3 src1_sel:DWORD
	s_mov_b64 s[4:5], -1
                                        ; implicit-def: $sgpr10
	s_and_saveexec_b64 s[8:9], s[12:13]
; %bb.3678:
	s_mov_b32 s10, 0x7f800001
	s_xor_b64 s[4:5], exec, -1
; %bb.3679:
	s_or_b64 exec, exec, s[8:9]
	s_and_b64 s[4:5], s[4:5], exec
	s_or_saveexec_b64 s[6:7], s[6:7]
	v_mov_b32_e32 v11, s10
	s_xor_b64 exec, exec, s[6:7]
	s_cbranch_execz .LBB36_1630
.LBB36_3680:
	v_mov_b32_e32 v11, 0
	v_cmp_ne_u16_sdwa s[8:9], v12, v11 src0_sel:BYTE_3 src1_sel:DWORD
	s_andn2_b64 s[4:5], s[4:5], exec
	s_and_b64 s[8:9], s[8:9], exec
	s_or_b64 s[4:5], s[4:5], s[8:9]
	s_or_b64 exec, exec, s[6:7]
	s_and_saveexec_b64 s[6:7], s[4:5]
	s_cbranch_execnz .LBB36_1631
	s_branch .LBB36_1632
.LBB36_3681:
	s_movk_i32 s4, 0x80
	v_cmp_eq_u16_sdwa s[12:13], v17, s4 src0_sel:BYTE_0 src1_sel:DWORD
	s_mov_b64 s[4:5], -1
                                        ; implicit-def: $sgpr10
	s_and_saveexec_b64 s[8:9], s[12:13]
; %bb.3682:
	s_mov_b32 s10, 0x7f800001
	s_xor_b64 s[4:5], exec, -1
; %bb.3683:
	s_or_b64 exec, exec, s[8:9]
	s_and_b64 s[4:5], s[4:5], exec
	s_or_saveexec_b64 s[6:7], s[6:7]
	v_mov_b32_e32 v10, s10
	s_xor_b64 exec, exec, s[6:7]
	s_cbranch_execz .LBB36_1634
.LBB36_3684:
	v_mov_b32_e32 v10, 0
	v_cmp_ne_u16_sdwa s[8:9], v17, v10 src0_sel:BYTE_0 src1_sel:DWORD
	s_andn2_b64 s[4:5], s[4:5], exec
	s_and_b64 s[8:9], s[8:9], exec
	s_or_b64 s[4:5], s[4:5], s[8:9]
	s_or_b64 exec, exec, s[6:7]
	s_and_saveexec_b64 s[6:7], s[4:5]
	s_cbranch_execnz .LBB36_1635
	s_branch .LBB36_1636
.LBB36_3685:
	s_movk_i32 s4, 0x80
	v_cmp_eq_u16_sdwa s[12:13], v13, s4 src0_sel:BYTE_0 src1_sel:DWORD
	s_mov_b64 s[4:5], -1
                                        ; implicit-def: $sgpr10
	s_and_saveexec_b64 s[8:9], s[12:13]
; %bb.3686:
	s_mov_b32 s10, 0x7f800001
	s_xor_b64 s[4:5], exec, -1
; %bb.3687:
	s_or_b64 exec, exec, s[8:9]
	s_and_b64 s[4:5], s[4:5], exec
	s_or_saveexec_b64 s[6:7], s[6:7]
	v_mov_b32_e32 v11, s10
	s_xor_b64 exec, exec, s[6:7]
	s_cbranch_execz .LBB36_1638
.LBB36_3688:
	v_mov_b32_e32 v11, 0
	v_cmp_ne_u16_sdwa s[8:9], v13, v11 src0_sel:BYTE_0 src1_sel:DWORD
	s_andn2_b64 s[4:5], s[4:5], exec
	s_and_b64 s[8:9], s[8:9], exec
	s_or_b64 s[4:5], s[4:5], s[8:9]
	s_or_b64 exec, exec, s[6:7]
	s_and_saveexec_b64 s[6:7], s[4:5]
	s_cbranch_execnz .LBB36_1639
	s_branch .LBB36_1640
.LBB36_3689:
	s_movk_i32 s4, 0x80
	v_cmp_eq_u16_sdwa s[12:13], v11, s4 src0_sel:BYTE_0 src1_sel:DWORD
	s_mov_b64 s[4:5], -1
                                        ; implicit-def: $sgpr10
	s_and_saveexec_b64 s[8:9], s[12:13]
; %bb.3690:
	s_mov_b32 s10, 0x7f800001
	s_xor_b64 s[4:5], exec, -1
; %bb.3691:
	s_or_b64 exec, exec, s[8:9]
	s_and_b64 s[4:5], s[4:5], exec
	s_or_saveexec_b64 s[6:7], s[6:7]
	v_mov_b32_e32 v10, s10
	s_xor_b64 exec, exec, s[6:7]
	s_cbranch_execz .LBB36_1642
.LBB36_3692:
	v_mov_b32_e32 v10, 0
	v_cmp_ne_u16_sdwa s[8:9], v11, v10 src0_sel:BYTE_0 src1_sel:DWORD
	s_andn2_b64 s[4:5], s[4:5], exec
	s_and_b64 s[8:9], s[8:9], exec
	s_or_b64 s[4:5], s[4:5], s[8:9]
	s_or_b64 exec, exec, s[6:7]
	s_and_saveexec_b64 s[6:7], s[4:5]
	s_cbranch_execnz .LBB36_1643
	s_branch .LBB36_1644
.LBB36_3693:
	s_movk_i32 s4, 0x80
	v_cmp_eq_u16_sdwa s[12:13], v11, s4 src0_sel:BYTE_0 src1_sel:DWORD
	s_mov_b64 s[4:5], -1
                                        ; implicit-def: $sgpr10
	s_and_saveexec_b64 s[8:9], s[12:13]
; %bb.3694:
	s_mov_b32 s10, 0x7f800001
	s_xor_b64 s[4:5], exec, -1
; %bb.3695:
	s_or_b64 exec, exec, s[8:9]
	s_and_b64 s[4:5], s[4:5], exec
	s_or_saveexec_b64 s[6:7], s[6:7]
	v_mov_b32_e32 v12, s10
	s_xor_b64 exec, exec, s[6:7]
	s_cbranch_execz .LBB36_1646
.LBB36_3696:
	v_mov_b32_e32 v12, 0
	v_cmp_ne_u16_sdwa s[8:9], v11, v12 src0_sel:BYTE_0 src1_sel:DWORD
	s_andn2_b64 s[4:5], s[4:5], exec
	s_and_b64 s[8:9], s[8:9], exec
	s_or_b64 s[4:5], s[4:5], s[8:9]
	s_or_b64 exec, exec, s[6:7]
	s_and_saveexec_b64 s[6:7], s[4:5]
	s_cbranch_execnz .LBB36_1647
	s_branch .LBB36_1648
.LBB36_3697:
	s_movk_i32 s4, 0x80
	v_cmp_eq_u16_e32 vcc, s4, v11
	s_mov_b64 s[4:5], -1
                                        ; implicit-def: $sgpr10
	s_and_saveexec_b64 s[8:9], vcc
; %bb.3698:
	s_mov_b32 s10, 0x7f800001
	s_xor_b64 s[4:5], exec, -1
; %bb.3699:
	s_or_b64 exec, exec, s[8:9]
	s_and_b64 s[4:5], s[4:5], exec
                                        ; implicit-def: $vgpr11
	s_or_saveexec_b64 s[6:7], s[6:7]
	v_mov_b32_e32 v10, s10
	s_xor_b64 exec, exec, s[6:7]
	s_cbranch_execz .LBB36_1650
.LBB36_3700:
	v_cmp_ne_u16_e32 vcc, 0, v11
	s_andn2_b64 s[4:5], s[4:5], exec
	s_and_b64 s[8:9], vcc, exec
	v_mov_b32_e32 v10, 0
	s_or_b64 s[4:5], s[4:5], s[8:9]
	s_or_b64 exec, exec, s[6:7]
	s_and_saveexec_b64 s[6:7], s[4:5]
	s_cbranch_execnz .LBB36_1651
	s_branch .LBB36_1652
.LBB36_3701:
	s_movk_i32 s4, 0x80
	v_cmp_eq_u16_e32 vcc, s4, v11
	s_mov_b64 s[4:5], -1
                                        ; implicit-def: $sgpr10
	s_and_saveexec_b64 s[8:9], vcc
; %bb.3702:
	s_mov_b32 s10, 0x7f800001
	s_xor_b64 s[4:5], exec, -1
; %bb.3703:
	s_or_b64 exec, exec, s[8:9]
	s_and_b64 s[4:5], s[4:5], exec
                                        ; implicit-def: $vgpr11
	s_or_saveexec_b64 s[6:7], s[6:7]
	v_mov_b32_e32 v12, s10
	s_xor_b64 exec, exec, s[6:7]
	s_cbranch_execz .LBB36_1654
.LBB36_3704:
	v_cmp_ne_u16_e32 vcc, 0, v11
	s_andn2_b64 s[4:5], s[4:5], exec
	s_and_b64 s[8:9], vcc, exec
	v_mov_b32_e32 v12, 0
	s_or_b64 s[4:5], s[4:5], s[8:9]
	s_or_b64 exec, exec, s[6:7]
	s_and_saveexec_b64 s[6:7], s[4:5]
	s_cbranch_execnz .LBB36_1655
	s_branch .LBB36_1656
.LBB36_3705:
	s_movk_i32 s4, 0x80
	v_cmp_eq_u16_sdwa s[12:13], v17, s4 src0_sel:BYTE_3 src1_sel:DWORD
	s_mov_b64 s[4:5], -1
                                        ; implicit-def: $sgpr10
	s_and_saveexec_b64 s[8:9], s[12:13]
; %bb.3706:
	s_mov_b32 s10, 0x7f800001
	s_xor_b64 s[4:5], exec, -1
; %bb.3707:
	s_or_b64 exec, exec, s[8:9]
	s_and_b64 s[4:5], s[4:5], exec
	s_or_saveexec_b64 s[6:7], s[6:7]
	v_mov_b32_e32 v10, s10
	s_xor_b64 exec, exec, s[6:7]
	s_cbranch_execz .LBB36_1658
.LBB36_3708:
	v_mov_b32_e32 v10, 0
	v_cmp_ne_u16_sdwa s[8:9], v17, v10 src0_sel:BYTE_3 src1_sel:DWORD
	s_andn2_b64 s[4:5], s[4:5], exec
	s_and_b64 s[8:9], s[8:9], exec
	s_or_b64 s[4:5], s[4:5], s[8:9]
	s_or_b64 exec, exec, s[6:7]
	s_and_saveexec_b64 s[6:7], s[4:5]
	s_cbranch_execnz .LBB36_1659
	s_branch .LBB36_1660
.LBB36_3709:
	s_movk_i32 s4, 0x80
	v_cmp_eq_u16_sdwa s[12:13], v13, s4 src0_sel:BYTE_3 src1_sel:DWORD
	s_mov_b64 s[4:5], -1
                                        ; implicit-def: $sgpr10
	s_and_saveexec_b64 s[8:9], s[12:13]
; %bb.3710:
	s_mov_b32 s10, 0x7f800001
	s_xor_b64 s[4:5], exec, -1
; %bb.3711:
	s_or_b64 exec, exec, s[8:9]
	s_and_b64 s[4:5], s[4:5], exec
	s_or_saveexec_b64 s[6:7], s[6:7]
	v_mov_b32_e32 v11, s10
	s_xor_b64 exec, exec, s[6:7]
	s_cbranch_execz .LBB36_1662
.LBB36_3712:
	v_mov_b32_e32 v11, 0
	v_cmp_ne_u16_sdwa s[8:9], v13, v11 src0_sel:BYTE_3 src1_sel:DWORD
	s_andn2_b64 s[4:5], s[4:5], exec
	s_and_b64 s[8:9], s[8:9], exec
	s_or_b64 s[4:5], s[4:5], s[8:9]
	s_or_b64 exec, exec, s[6:7]
	s_and_saveexec_b64 s[6:7], s[4:5]
	s_cbranch_execnz .LBB36_1663
	s_branch .LBB36_1664
.LBB36_3713:
	s_movk_i32 s4, 0x80
	v_cmp_eq_u16_sdwa s[12:13], v6, s4 src0_sel:BYTE_0 src1_sel:DWORD
	s_mov_b64 s[4:5], -1
                                        ; implicit-def: $sgpr10
	s_and_saveexec_b64 s[8:9], s[12:13]
; %bb.3714:
	s_mov_b32 s10, 0x7f800001
	s_xor_b64 s[4:5], exec, -1
; %bb.3715:
	s_or_b64 exec, exec, s[8:9]
	s_and_b64 s[4:5], s[4:5], exec
	s_or_saveexec_b64 s[6:7], s[6:7]
	v_mov_b32_e32 v10, s10
	s_xor_b64 exec, exec, s[6:7]
	s_cbranch_execz .LBB36_1666
.LBB36_3716:
	v_mov_b32_e32 v10, 0
	v_cmp_ne_u16_sdwa s[8:9], v6, v10 src0_sel:BYTE_0 src1_sel:DWORD
	s_andn2_b64 s[4:5], s[4:5], exec
	s_and_b64 s[8:9], s[8:9], exec
	s_or_b64 s[4:5], s[4:5], s[8:9]
	s_or_b64 exec, exec, s[6:7]
	s_and_saveexec_b64 s[6:7], s[4:5]
	s_cbranch_execnz .LBB36_1667
	s_branch .LBB36_1668
.LBB36_3717:
	s_movk_i32 s4, 0x80
	v_cmp_eq_u16_sdwa s[12:13], v2, s4 src0_sel:BYTE_0 src1_sel:DWORD
	s_mov_b64 s[4:5], -1
                                        ; implicit-def: $sgpr10
	s_and_saveexec_b64 s[8:9], s[12:13]
; %bb.3718:
	s_mov_b32 s10, 0x7f800001
	s_xor_b64 s[4:5], exec, -1
; %bb.3719:
	s_or_b64 exec, exec, s[8:9]
	s_and_b64 s[4:5], s[4:5], exec
	s_or_saveexec_b64 s[6:7], s[6:7]
	v_mov_b32_e32 v11, s10
	s_xor_b64 exec, exec, s[6:7]
	s_cbranch_execz .LBB36_1670
.LBB36_3720:
	v_mov_b32_e32 v11, 0
	v_cmp_ne_u16_sdwa s[8:9], v2, v11 src0_sel:BYTE_0 src1_sel:DWORD
	s_andn2_b64 s[4:5], s[4:5], exec
	s_and_b64 s[8:9], s[8:9], exec
	s_or_b64 s[4:5], s[4:5], s[8:9]
	s_or_b64 exec, exec, s[6:7]
	s_and_saveexec_b64 s[6:7], s[4:5]
	s_cbranch_execnz .LBB36_1671
	s_branch .LBB36_1672
.LBB36_3721:
	s_movk_i32 s4, 0x80
	v_cmp_eq_u16_sdwa s[12:13], v11, s4 src0_sel:BYTE_0 src1_sel:DWORD
	s_mov_b64 s[4:5], -1
                                        ; implicit-def: $sgpr10
	s_and_saveexec_b64 s[8:9], s[12:13]
; %bb.3722:
	s_mov_b32 s10, 0x7f800001
	s_xor_b64 s[4:5], exec, -1
; %bb.3723:
	s_or_b64 exec, exec, s[8:9]
	s_and_b64 s[4:5], s[4:5], exec
	s_or_saveexec_b64 s[6:7], s[6:7]
	v_mov_b32_e32 v10, s10
	s_xor_b64 exec, exec, s[6:7]
	s_cbranch_execz .LBB36_1674
.LBB36_3724:
	v_mov_b32_e32 v10, 0
	v_cmp_ne_u16_sdwa s[8:9], v11, v10 src0_sel:BYTE_0 src1_sel:DWORD
	s_andn2_b64 s[4:5], s[4:5], exec
	s_and_b64 s[8:9], s[8:9], exec
	s_or_b64 s[4:5], s[4:5], s[8:9]
	s_or_b64 exec, exec, s[6:7]
	s_and_saveexec_b64 s[6:7], s[4:5]
	s_cbranch_execnz .LBB36_1675
	s_branch .LBB36_1676
.LBB36_3725:
	s_movk_i32 s4, 0x80
	v_cmp_eq_u16_sdwa s[12:13], v11, s4 src0_sel:BYTE_0 src1_sel:DWORD
	s_mov_b64 s[4:5], -1
                                        ; implicit-def: $sgpr10
	s_and_saveexec_b64 s[8:9], s[12:13]
; %bb.3726:
	s_mov_b32 s10, 0x7f800001
	s_xor_b64 s[4:5], exec, -1
; %bb.3727:
	s_or_b64 exec, exec, s[8:9]
	s_and_b64 s[4:5], s[4:5], exec
	s_or_saveexec_b64 s[6:7], s[6:7]
	v_mov_b32_e32 v12, s10
	s_xor_b64 exec, exec, s[6:7]
	s_cbranch_execz .LBB36_1678
.LBB36_3728:
	v_mov_b32_e32 v12, 0
	v_cmp_ne_u16_sdwa s[8:9], v11, v12 src0_sel:BYTE_0 src1_sel:DWORD
	s_andn2_b64 s[4:5], s[4:5], exec
	s_and_b64 s[8:9], s[8:9], exec
	s_or_b64 s[4:5], s[4:5], s[8:9]
	s_or_b64 exec, exec, s[6:7]
	s_and_saveexec_b64 s[6:7], s[4:5]
	s_cbranch_execnz .LBB36_1679
	s_branch .LBB36_1680
.LBB36_3729:
	s_movk_i32 s4, 0x80
	v_cmp_eq_u16_e32 vcc, s4, v11
	s_mov_b64 s[4:5], -1
                                        ; implicit-def: $sgpr10
	s_and_saveexec_b64 s[8:9], vcc
; %bb.3730:
	s_mov_b32 s10, 0x7f800001
	s_xor_b64 s[4:5], exec, -1
; %bb.3731:
	s_or_b64 exec, exec, s[8:9]
	s_and_b64 s[4:5], s[4:5], exec
                                        ; implicit-def: $vgpr11
	s_or_saveexec_b64 s[6:7], s[6:7]
	v_mov_b32_e32 v10, s10
	s_xor_b64 exec, exec, s[6:7]
	s_cbranch_execz .LBB36_1682
.LBB36_3732:
	v_cmp_ne_u16_e32 vcc, 0, v11
	s_andn2_b64 s[4:5], s[4:5], exec
	s_and_b64 s[8:9], vcc, exec
	v_mov_b32_e32 v10, 0
	s_or_b64 s[4:5], s[4:5], s[8:9]
	s_or_b64 exec, exec, s[6:7]
	s_and_saveexec_b64 s[6:7], s[4:5]
	s_cbranch_execnz .LBB36_1683
	s_branch .LBB36_1684
.LBB36_3733:
	s_movk_i32 s4, 0x80
	v_cmp_eq_u16_e32 vcc, s4, v11
	s_mov_b64 s[4:5], -1
                                        ; implicit-def: $sgpr10
	s_and_saveexec_b64 s[8:9], vcc
; %bb.3734:
	s_mov_b32 s10, 0x7f800001
	s_xor_b64 s[4:5], exec, -1
; %bb.3735:
	s_or_b64 exec, exec, s[8:9]
	s_and_b64 s[4:5], s[4:5], exec
                                        ; implicit-def: $vgpr11
	s_or_saveexec_b64 s[6:7], s[6:7]
	v_mov_b32_e32 v12, s10
	s_xor_b64 exec, exec, s[6:7]
	s_cbranch_execz .LBB36_1686
.LBB36_3736:
	v_cmp_ne_u16_e32 vcc, 0, v11
	s_andn2_b64 s[4:5], s[4:5], exec
	s_and_b64 s[8:9], vcc, exec
	v_mov_b32_e32 v12, 0
	s_or_b64 s[4:5], s[4:5], s[8:9]
	s_or_b64 exec, exec, s[6:7]
	s_and_saveexec_b64 s[6:7], s[4:5]
	s_cbranch_execnz .LBB36_1687
	s_branch .LBB36_1688
.LBB36_3737:
	s_movk_i32 s4, 0x80
	v_cmp_eq_u16_sdwa s[12:13], v6, s4 src0_sel:BYTE_3 src1_sel:DWORD
	s_mov_b64 s[4:5], -1
                                        ; implicit-def: $sgpr10
	s_and_saveexec_b64 s[8:9], s[12:13]
; %bb.3738:
	s_mov_b32 s10, 0x7f800001
	s_xor_b64 s[4:5], exec, -1
; %bb.3739:
	s_or_b64 exec, exec, s[8:9]
	s_and_b64 s[4:5], s[4:5], exec
	s_or_saveexec_b64 s[6:7], s[6:7]
	v_mov_b32_e32 v10, s10
	s_xor_b64 exec, exec, s[6:7]
	s_cbranch_execz .LBB36_1690
.LBB36_3740:
	v_mov_b32_e32 v10, 0
	v_cmp_ne_u16_sdwa s[8:9], v6, v10 src0_sel:BYTE_3 src1_sel:DWORD
	s_andn2_b64 s[4:5], s[4:5], exec
	s_and_b64 s[8:9], s[8:9], exec
	s_or_b64 s[4:5], s[4:5], s[8:9]
	s_or_b64 exec, exec, s[6:7]
	s_and_saveexec_b64 s[6:7], s[4:5]
	s_cbranch_execnz .LBB36_1691
	s_branch .LBB36_1692
.LBB36_3741:
	s_movk_i32 s4, 0x80
	v_cmp_eq_u16_sdwa s[12:13], v2, s4 src0_sel:BYTE_3 src1_sel:DWORD
	s_mov_b64 s[4:5], -1
                                        ; implicit-def: $sgpr10
	s_and_saveexec_b64 s[8:9], s[12:13]
; %bb.3742:
	s_mov_b32 s10, 0x7f800001
	s_xor_b64 s[4:5], exec, -1
; %bb.3743:
	s_or_b64 exec, exec, s[8:9]
	s_and_b64 s[4:5], s[4:5], exec
	s_or_saveexec_b64 s[6:7], s[6:7]
	v_mov_b32_e32 v6, s10
	s_xor_b64 exec, exec, s[6:7]
	s_cbranch_execz .LBB36_1694
.LBB36_3744:
	v_mov_b32_e32 v6, 0
	v_cmp_ne_u16_sdwa s[8:9], v2, v6 src0_sel:BYTE_3 src1_sel:DWORD
	s_andn2_b64 s[4:5], s[4:5], exec
	s_and_b64 s[8:9], s[8:9], exec
	s_or_b64 s[4:5], s[4:5], s[8:9]
	s_or_b64 exec, exec, s[6:7]
	s_and_saveexec_b64 s[6:7], s[4:5]
	s_cbranch_execnz .LBB36_1695
	s_branch .LBB36_1696
.LBB36_3745:
	s_movk_i32 s4, 0x80
	v_cmp_eq_u16_sdwa s[12:13], v7, s4 src0_sel:BYTE_0 src1_sel:DWORD
	s_mov_b64 s[4:5], -1
                                        ; implicit-def: $sgpr10
	s_and_saveexec_b64 s[8:9], s[12:13]
; %bb.3746:
	s_mov_b32 s10, 0x7f800001
	s_xor_b64 s[4:5], exec, -1
; %bb.3747:
	s_or_b64 exec, exec, s[8:9]
	s_and_b64 s[4:5], s[4:5], exec
	s_or_saveexec_b64 s[6:7], s[6:7]
	v_mov_b32_e32 v2, s10
	s_xor_b64 exec, exec, s[6:7]
	s_cbranch_execz .LBB36_1698
.LBB36_3748:
	v_mov_b32_e32 v2, 0
	v_cmp_ne_u16_sdwa s[8:9], v7, v2 src0_sel:BYTE_0 src1_sel:DWORD
	s_andn2_b64 s[4:5], s[4:5], exec
	s_and_b64 s[8:9], s[8:9], exec
	s_or_b64 s[4:5], s[4:5], s[8:9]
	s_or_b64 exec, exec, s[6:7]
	s_and_saveexec_b64 s[6:7], s[4:5]
	s_cbranch_execnz .LBB36_1699
	s_branch .LBB36_1700
.LBB36_3749:
	s_movk_i32 s4, 0x80
	v_cmp_eq_u16_sdwa s[12:13], v3, s4 src0_sel:BYTE_0 src1_sel:DWORD
	s_mov_b64 s[4:5], -1
                                        ; implicit-def: $sgpr10
	s_and_saveexec_b64 s[8:9], s[12:13]
; %bb.3750:
	s_mov_b32 s10, 0x7f800001
	s_xor_b64 s[4:5], exec, -1
; %bb.3751:
	s_or_b64 exec, exec, s[8:9]
	s_and_b64 s[4:5], s[4:5], exec
	s_or_saveexec_b64 s[6:7], s[6:7]
	v_mov_b32_e32 v6, s10
	s_xor_b64 exec, exec, s[6:7]
	s_cbranch_execz .LBB36_1702
.LBB36_3752:
	v_mov_b32_e32 v6, 0
	v_cmp_ne_u16_sdwa s[8:9], v3, v6 src0_sel:BYTE_0 src1_sel:DWORD
	s_andn2_b64 s[4:5], s[4:5], exec
	s_and_b64 s[8:9], s[8:9], exec
	s_or_b64 s[4:5], s[4:5], s[8:9]
	s_or_b64 exec, exec, s[6:7]
	s_and_saveexec_b64 s[6:7], s[4:5]
	s_cbranch_execnz .LBB36_1703
	s_branch .LBB36_1704
.LBB36_3753:
	s_movk_i32 s4, 0x80
	v_cmp_eq_u16_sdwa s[12:13], v6, s4 src0_sel:BYTE_0 src1_sel:DWORD
	s_mov_b64 s[4:5], -1
                                        ; implicit-def: $sgpr10
	s_and_saveexec_b64 s[8:9], s[12:13]
; %bb.3754:
	s_mov_b32 s10, 0x7f800001
	s_xor_b64 s[4:5], exec, -1
; %bb.3755:
	s_or_b64 exec, exec, s[8:9]
	s_and_b64 s[4:5], s[4:5], exec
	s_or_saveexec_b64 s[6:7], s[6:7]
	v_mov_b32_e32 v2, s10
	s_xor_b64 exec, exec, s[6:7]
	s_cbranch_execz .LBB36_1706
.LBB36_3756:
	v_mov_b32_e32 v2, 0
	v_cmp_ne_u16_sdwa s[8:9], v6, v2 src0_sel:BYTE_0 src1_sel:DWORD
	s_andn2_b64 s[4:5], s[4:5], exec
	s_and_b64 s[8:9], s[8:9], exec
	s_or_b64 s[4:5], s[4:5], s[8:9]
	s_or_b64 exec, exec, s[6:7]
	s_and_saveexec_b64 s[6:7], s[4:5]
	s_cbranch_execnz .LBB36_1707
	s_branch .LBB36_1708
.LBB36_3757:
	s_movk_i32 s4, 0x80
	v_cmp_eq_u16_sdwa s[12:13], v6, s4 src0_sel:BYTE_0 src1_sel:DWORD
	s_mov_b64 s[4:5], -1
                                        ; implicit-def: $sgpr10
	s_and_saveexec_b64 s[8:9], s[12:13]
; %bb.3758:
	s_mov_b32 s10, 0x7f800001
	s_xor_b64 s[4:5], exec, -1
; %bb.3759:
	s_or_b64 exec, exec, s[8:9]
	s_and_b64 s[4:5], s[4:5], exec
	s_or_saveexec_b64 s[6:7], s[6:7]
	v_mov_b32_e32 v10, s10
	s_xor_b64 exec, exec, s[6:7]
	s_cbranch_execz .LBB36_1710
.LBB36_3760:
	v_mov_b32_e32 v10, 0
	v_cmp_ne_u16_sdwa s[8:9], v6, v10 src0_sel:BYTE_0 src1_sel:DWORD
	s_andn2_b64 s[4:5], s[4:5], exec
	s_and_b64 s[8:9], s[8:9], exec
	s_or_b64 s[4:5], s[4:5], s[8:9]
	s_or_b64 exec, exec, s[6:7]
	s_and_saveexec_b64 s[6:7], s[4:5]
	s_cbranch_execnz .LBB36_1711
	s_branch .LBB36_1712
.LBB36_3761:
	s_movk_i32 s4, 0x80
	v_cmp_eq_u16_e32 vcc, s4, v6
	s_mov_b64 s[4:5], -1
                                        ; implicit-def: $sgpr10
	s_and_saveexec_b64 s[8:9], vcc
; %bb.3762:
	s_mov_b32 s10, 0x7f800001
	s_xor_b64 s[4:5], exec, -1
; %bb.3763:
	s_or_b64 exec, exec, s[8:9]
	s_and_b64 s[4:5], s[4:5], exec
                                        ; implicit-def: $vgpr6
	s_or_saveexec_b64 s[6:7], s[6:7]
	v_mov_b32_e32 v2, s10
	s_xor_b64 exec, exec, s[6:7]
	s_cbranch_execz .LBB36_1714
.LBB36_3764:
	v_cmp_ne_u16_e32 vcc, 0, v6
	s_andn2_b64 s[4:5], s[4:5], exec
	s_and_b64 s[8:9], vcc, exec
	v_mov_b32_e32 v2, 0
	s_or_b64 s[4:5], s[4:5], s[8:9]
	s_or_b64 exec, exec, s[6:7]
	s_and_saveexec_b64 s[6:7], s[4:5]
	s_cbranch_execnz .LBB36_1715
	s_branch .LBB36_1716
.LBB36_3765:
	s_movk_i32 s4, 0x80
	v_cmp_eq_u16_e32 vcc, s4, v6
	s_mov_b64 s[4:5], -1
                                        ; implicit-def: $sgpr10
	s_and_saveexec_b64 s[8:9], vcc
; %bb.3766:
	s_mov_b32 s10, 0x7f800001
	s_xor_b64 s[4:5], exec, -1
; %bb.3767:
	s_or_b64 exec, exec, s[8:9]
	s_and_b64 s[4:5], s[4:5], exec
                                        ; implicit-def: $vgpr6
	s_or_saveexec_b64 s[6:7], s[6:7]
	v_mov_b32_e32 v10, s10
	s_xor_b64 exec, exec, s[6:7]
	s_cbranch_execz .LBB36_1718
.LBB36_3768:
	v_cmp_ne_u16_e32 vcc, 0, v6
	s_andn2_b64 s[4:5], s[4:5], exec
	s_and_b64 s[8:9], vcc, exec
	v_mov_b32_e32 v10, 0
	s_or_b64 s[4:5], s[4:5], s[8:9]
	s_or_b64 exec, exec, s[6:7]
	s_and_saveexec_b64 s[6:7], s[4:5]
	s_cbranch_execnz .LBB36_1719
	s_branch .LBB36_1720
.LBB36_3769:
	s_movk_i32 s4, 0x80
	v_cmp_eq_u16_sdwa s[12:13], v7, s4 src0_sel:BYTE_3 src1_sel:DWORD
	s_mov_b64 s[4:5], -1
                                        ; implicit-def: $sgpr10
	s_and_saveexec_b64 s[8:9], s[12:13]
; %bb.3770:
	s_mov_b32 s10, 0x7f800001
	s_xor_b64 s[4:5], exec, -1
; %bb.3771:
	s_or_b64 exec, exec, s[8:9]
	s_and_b64 s[4:5], s[4:5], exec
	s_or_saveexec_b64 s[6:7], s[6:7]
	v_mov_b32_e32 v2, s10
	s_xor_b64 exec, exec, s[6:7]
	s_cbranch_execz .LBB36_1722
.LBB36_3772:
	v_mov_b32_e32 v2, 0
	v_cmp_ne_u16_sdwa s[8:9], v7, v2 src0_sel:BYTE_3 src1_sel:DWORD
	s_andn2_b64 s[4:5], s[4:5], exec
	s_and_b64 s[8:9], s[8:9], exec
	s_or_b64 s[4:5], s[4:5], s[8:9]
	s_or_b64 exec, exec, s[6:7]
	s_and_saveexec_b64 s[6:7], s[4:5]
	s_cbranch_execnz .LBB36_1723
	s_branch .LBB36_1724
.LBB36_3773:
	s_movk_i32 s4, 0x80
	v_cmp_eq_u16_sdwa s[12:13], v3, s4 src0_sel:BYTE_3 src1_sel:DWORD
	s_mov_b64 s[4:5], -1
                                        ; implicit-def: $sgpr10
	s_and_saveexec_b64 s[8:9], s[12:13]
; %bb.3774:
	s_mov_b32 s10, 0x7f800001
	s_xor_b64 s[4:5], exec, -1
; %bb.3775:
	s_or_b64 exec, exec, s[8:9]
	s_and_b64 s[4:5], s[4:5], exec
	s_or_saveexec_b64 s[6:7], s[6:7]
	v_mov_b32_e32 v6, s10
	s_xor_b64 exec, exec, s[6:7]
	s_cbranch_execz .LBB36_1726
.LBB36_3776:
	v_mov_b32_e32 v6, 0
	v_cmp_ne_u16_sdwa s[8:9], v3, v6 src0_sel:BYTE_3 src1_sel:DWORD
	s_andn2_b64 s[4:5], s[4:5], exec
	s_and_b64 s[8:9], s[8:9], exec
	s_or_b64 s[4:5], s[4:5], s[8:9]
	s_or_b64 exec, exec, s[6:7]
	s_and_saveexec_b64 s[6:7], s[4:5]
	s_cbranch_execnz .LBB36_1727
	s_branch .LBB36_1728
.LBB36_3777:
	s_movk_i32 s4, 0x80
	v_cmp_eq_u16_sdwa s[12:13], v8, s4 src0_sel:BYTE_0 src1_sel:DWORD
	s_mov_b64 s[4:5], -1
                                        ; implicit-def: $sgpr10
	s_and_saveexec_b64 s[8:9], s[12:13]
; %bb.3778:
	s_mov_b32 s10, 0x7f800001
	s_xor_b64 s[4:5], exec, -1
; %bb.3779:
	s_or_b64 exec, exec, s[8:9]
	s_and_b64 s[4:5], s[4:5], exec
	s_or_saveexec_b64 s[6:7], s[6:7]
	v_mov_b32_e32 v2, s10
	s_xor_b64 exec, exec, s[6:7]
	s_cbranch_execz .LBB36_1730
.LBB36_3780:
	v_mov_b32_e32 v2, 0
	v_cmp_ne_u16_sdwa s[8:9], v8, v2 src0_sel:BYTE_0 src1_sel:DWORD
	s_andn2_b64 s[4:5], s[4:5], exec
	s_and_b64 s[8:9], s[8:9], exec
	s_or_b64 s[4:5], s[4:5], s[8:9]
	s_or_b64 exec, exec, s[6:7]
	s_and_saveexec_b64 s[6:7], s[4:5]
	s_cbranch_execnz .LBB36_1731
	s_branch .LBB36_1732
.LBB36_3781:
	s_movk_i32 s4, 0x80
	v_cmp_eq_u16_sdwa s[12:13], v4, s4 src0_sel:BYTE_0 src1_sel:DWORD
	s_mov_b64 s[4:5], -1
                                        ; implicit-def: $sgpr10
	s_and_saveexec_b64 s[8:9], s[12:13]
; %bb.3782:
	s_mov_b32 s10, 0x7f800001
	s_xor_b64 s[4:5], exec, -1
; %bb.3783:
	s_or_b64 exec, exec, s[8:9]
	s_and_b64 s[4:5], s[4:5], exec
	s_or_saveexec_b64 s[6:7], s[6:7]
	v_mov_b32_e32 v3, s10
	s_xor_b64 exec, exec, s[6:7]
	s_cbranch_execz .LBB36_1734
.LBB36_3784:
	v_mov_b32_e32 v3, 0
	v_cmp_ne_u16_sdwa s[8:9], v4, v3 src0_sel:BYTE_0 src1_sel:DWORD
	s_andn2_b64 s[4:5], s[4:5], exec
	s_and_b64 s[8:9], s[8:9], exec
	s_or_b64 s[4:5], s[4:5], s[8:9]
	s_or_b64 exec, exec, s[6:7]
	s_and_saveexec_b64 s[6:7], s[4:5]
	s_cbranch_execnz .LBB36_1735
	s_branch .LBB36_1736
.LBB36_3785:
	s_movk_i32 s4, 0x80
	v_cmp_eq_u16_sdwa s[12:13], v3, s4 src0_sel:BYTE_0 src1_sel:DWORD
	s_mov_b64 s[4:5], -1
                                        ; implicit-def: $sgpr10
	s_and_saveexec_b64 s[8:9], s[12:13]
; %bb.3786:
	s_mov_b32 s10, 0x7f800001
	s_xor_b64 s[4:5], exec, -1
; %bb.3787:
	s_or_b64 exec, exec, s[8:9]
	s_and_b64 s[4:5], s[4:5], exec
	s_or_saveexec_b64 s[6:7], s[6:7]
	v_mov_b32_e32 v2, s10
	s_xor_b64 exec, exec, s[6:7]
	s_cbranch_execz .LBB36_1738
.LBB36_3788:
	v_mov_b32_e32 v2, 0
	v_cmp_ne_u16_sdwa s[8:9], v3, v2 src0_sel:BYTE_0 src1_sel:DWORD
	s_andn2_b64 s[4:5], s[4:5], exec
	s_and_b64 s[8:9], s[8:9], exec
	s_or_b64 s[4:5], s[4:5], s[8:9]
	s_or_b64 exec, exec, s[6:7]
	s_and_saveexec_b64 s[6:7], s[4:5]
	s_cbranch_execnz .LBB36_1739
	s_branch .LBB36_1740
.LBB36_3789:
	s_movk_i32 s4, 0x80
	v_cmp_eq_u16_sdwa s[12:13], v3, s4 src0_sel:BYTE_0 src1_sel:DWORD
	s_mov_b64 s[4:5], -1
                                        ; implicit-def: $sgpr10
	s_and_saveexec_b64 s[8:9], s[12:13]
; %bb.3790:
	s_mov_b32 s10, 0x7f800001
	s_xor_b64 s[4:5], exec, -1
; %bb.3791:
	s_or_b64 exec, exec, s[8:9]
	s_and_b64 s[4:5], s[4:5], exec
	s_or_saveexec_b64 s[6:7], s[6:7]
	v_mov_b32_e32 v6, s10
	s_xor_b64 exec, exec, s[6:7]
	s_cbranch_execz .LBB36_1742
.LBB36_3792:
	v_mov_b32_e32 v6, 0
	v_cmp_ne_u16_sdwa s[8:9], v3, v6 src0_sel:BYTE_0 src1_sel:DWORD
	s_andn2_b64 s[4:5], s[4:5], exec
	s_and_b64 s[8:9], s[8:9], exec
	s_or_b64 s[4:5], s[4:5], s[8:9]
	s_or_b64 exec, exec, s[6:7]
	s_and_saveexec_b64 s[6:7], s[4:5]
	s_cbranch_execnz .LBB36_1743
	s_branch .LBB36_1744
.LBB36_3793:
	s_movk_i32 s4, 0x80
	v_cmp_eq_u16_e32 vcc, s4, v3
	s_mov_b64 s[4:5], -1
                                        ; implicit-def: $sgpr10
	s_and_saveexec_b64 s[8:9], vcc
; %bb.3794:
	s_mov_b32 s10, 0x7f800001
	s_xor_b64 s[4:5], exec, -1
; %bb.3795:
	s_or_b64 exec, exec, s[8:9]
	s_and_b64 s[4:5], s[4:5], exec
                                        ; implicit-def: $vgpr3
	s_or_saveexec_b64 s[6:7], s[6:7]
	v_mov_b32_e32 v2, s10
	s_xor_b64 exec, exec, s[6:7]
	s_cbranch_execz .LBB36_1746
.LBB36_3796:
	v_cmp_ne_u16_e32 vcc, 0, v3
	s_andn2_b64 s[4:5], s[4:5], exec
	s_and_b64 s[8:9], vcc, exec
	v_mov_b32_e32 v2, 0
	s_or_b64 s[4:5], s[4:5], s[8:9]
	s_or_b64 exec, exec, s[6:7]
	s_and_saveexec_b64 s[6:7], s[4:5]
	s_cbranch_execnz .LBB36_1747
	s_branch .LBB36_1748
.LBB36_3797:
	s_movk_i32 s4, 0x80
	v_cmp_eq_u16_e32 vcc, s4, v3
	s_mov_b64 s[4:5], -1
                                        ; implicit-def: $sgpr10
	s_and_saveexec_b64 s[8:9], vcc
; %bb.3798:
	s_mov_b32 s10, 0x7f800001
	s_xor_b64 s[4:5], exec, -1
; %bb.3799:
	s_or_b64 exec, exec, s[8:9]
	s_and_b64 s[4:5], s[4:5], exec
                                        ; implicit-def: $vgpr3
	s_or_saveexec_b64 s[6:7], s[6:7]
	v_mov_b32_e32 v6, s10
	s_xor_b64 exec, exec, s[6:7]
	s_cbranch_execz .LBB36_1750
.LBB36_3800:
	v_cmp_ne_u16_e32 vcc, 0, v3
	s_andn2_b64 s[4:5], s[4:5], exec
	s_and_b64 s[8:9], vcc, exec
	v_mov_b32_e32 v6, 0
	s_or_b64 s[4:5], s[4:5], s[8:9]
	s_or_b64 exec, exec, s[6:7]
	s_and_saveexec_b64 s[6:7], s[4:5]
	s_cbranch_execnz .LBB36_1751
	s_branch .LBB36_1752
.LBB36_3801:
	s_movk_i32 s4, 0x80
	v_cmp_eq_u16_sdwa s[12:13], v8, s4 src0_sel:BYTE_3 src1_sel:DWORD
	s_mov_b64 s[4:5], -1
                                        ; implicit-def: $sgpr10
	s_and_saveexec_b64 s[8:9], s[12:13]
; %bb.3802:
	s_mov_b32 s10, 0x7f800001
	s_xor_b64 s[4:5], exec, -1
; %bb.3803:
	s_or_b64 exec, exec, s[8:9]
	s_and_b64 s[4:5], s[4:5], exec
	s_or_saveexec_b64 s[6:7], s[6:7]
	v_mov_b32_e32 v2, s10
	s_xor_b64 exec, exec, s[6:7]
	s_cbranch_execz .LBB36_1754
.LBB36_3804:
	v_mov_b32_e32 v2, 0
	v_cmp_ne_u16_sdwa s[8:9], v8, v2 src0_sel:BYTE_3 src1_sel:DWORD
	s_andn2_b64 s[4:5], s[4:5], exec
	s_and_b64 s[8:9], s[8:9], exec
	s_or_b64 s[4:5], s[4:5], s[8:9]
	s_or_b64 exec, exec, s[6:7]
	s_and_saveexec_b64 s[6:7], s[4:5]
	s_cbranch_execnz .LBB36_1755
	s_branch .LBB36_1756
.LBB36_3805:
	s_movk_i32 s4, 0x80
	v_cmp_eq_u16_sdwa s[12:13], v4, s4 src0_sel:BYTE_3 src1_sel:DWORD
	s_mov_b64 s[4:5], -1
                                        ; implicit-def: $sgpr10
	s_and_saveexec_b64 s[8:9], s[12:13]
; %bb.3806:
	s_mov_b32 s10, 0x7f800001
	s_xor_b64 s[4:5], exec, -1
; %bb.3807:
	s_or_b64 exec, exec, s[8:9]
	s_and_b64 s[4:5], s[4:5], exec
	s_or_saveexec_b64 s[6:7], s[6:7]
	v_mov_b32_e32 v3, s10
	s_xor_b64 exec, exec, s[6:7]
	s_cbranch_execz .LBB36_1758
.LBB36_3808:
	v_mov_b32_e32 v3, 0
	v_cmp_ne_u16_sdwa s[8:9], v4, v3 src0_sel:BYTE_3 src1_sel:DWORD
	s_andn2_b64 s[4:5], s[4:5], exec
	s_and_b64 s[8:9], s[8:9], exec
	s_or_b64 s[4:5], s[4:5], s[8:9]
	s_or_b64 exec, exec, s[6:7]
	s_and_saveexec_b64 s[6:7], s[4:5]
	s_cbranch_execnz .LBB36_1759
	s_branch .LBB36_1760
.LBB36_3809:
	s_movk_i32 s4, 0x80
	v_cmp_eq_u16_sdwa s[12:13], v9, s4 src0_sel:BYTE_0 src1_sel:DWORD
	s_mov_b64 s[4:5], -1
                                        ; implicit-def: $sgpr10
	s_and_saveexec_b64 s[8:9], s[12:13]
; %bb.3810:
	s_mov_b32 s10, 0x7f800001
	s_xor_b64 s[4:5], exec, -1
; %bb.3811:
	s_or_b64 exec, exec, s[8:9]
	s_and_b64 s[4:5], s[4:5], exec
	s_or_saveexec_b64 s[6:7], s[6:7]
	v_mov_b32_e32 v2, s10
	s_xor_b64 exec, exec, s[6:7]
	s_cbranch_execz .LBB36_1762
.LBB36_3812:
	v_mov_b32_e32 v2, 0
	v_cmp_ne_u16_sdwa s[8:9], v9, v2 src0_sel:BYTE_0 src1_sel:DWORD
	s_andn2_b64 s[4:5], s[4:5], exec
	s_and_b64 s[8:9], s[8:9], exec
	s_or_b64 s[4:5], s[4:5], s[8:9]
	s_or_b64 exec, exec, s[6:7]
	s_and_saveexec_b64 s[6:7], s[4:5]
	s_cbranch_execnz .LBB36_1763
	s_branch .LBB36_1764
.LBB36_3813:
	s_movk_i32 s4, 0x80
	v_cmp_eq_u16_sdwa s[12:13], v5, s4 src0_sel:BYTE_0 src1_sel:DWORD
	s_mov_b64 s[4:5], -1
                                        ; implicit-def: $sgpr10
	s_and_saveexec_b64 s[8:9], s[12:13]
; %bb.3814:
	s_mov_b32 s10, 0x7f800001
	s_xor_b64 s[4:5], exec, -1
; %bb.3815:
	s_or_b64 exec, exec, s[8:9]
	s_and_b64 s[4:5], s[4:5], exec
	s_or_saveexec_b64 s[6:7], s[6:7]
	v_mov_b32_e32 v3, s10
	s_xor_b64 exec, exec, s[6:7]
	s_cbranch_execz .LBB36_1766
.LBB36_3816:
	v_mov_b32_e32 v3, 0
	v_cmp_ne_u16_sdwa s[8:9], v5, v3 src0_sel:BYTE_0 src1_sel:DWORD
	s_andn2_b64 s[4:5], s[4:5], exec
	s_and_b64 s[8:9], s[8:9], exec
	s_or_b64 s[4:5], s[4:5], s[8:9]
	s_or_b64 exec, exec, s[6:7]
	s_and_saveexec_b64 s[6:7], s[4:5]
	s_cbranch_execnz .LBB36_1767
	s_branch .LBB36_1768
.LBB36_3817:
	s_movk_i32 s4, 0x80
	v_cmp_eq_u16_sdwa s[12:13], v3, s4 src0_sel:BYTE_0 src1_sel:DWORD
	s_mov_b64 s[4:5], -1
                                        ; implicit-def: $sgpr10
	s_and_saveexec_b64 s[8:9], s[12:13]
; %bb.3818:
	s_mov_b32 s10, 0x7f800001
	s_xor_b64 s[4:5], exec, -1
; %bb.3819:
	s_or_b64 exec, exec, s[8:9]
	s_and_b64 s[4:5], s[4:5], exec
	s_or_saveexec_b64 s[6:7], s[6:7]
	v_mov_b32_e32 v2, s10
	s_xor_b64 exec, exec, s[6:7]
	s_cbranch_execz .LBB36_1770
.LBB36_3820:
	v_mov_b32_e32 v2, 0
	v_cmp_ne_u16_sdwa s[8:9], v3, v2 src0_sel:BYTE_0 src1_sel:DWORD
	s_andn2_b64 s[4:5], s[4:5], exec
	s_and_b64 s[8:9], s[8:9], exec
	s_or_b64 s[4:5], s[4:5], s[8:9]
	s_or_b64 exec, exec, s[6:7]
	s_and_saveexec_b64 s[6:7], s[4:5]
	s_cbranch_execnz .LBB36_1771
	s_branch .LBB36_1772
.LBB36_3821:
	s_movk_i32 s4, 0x80
	v_cmp_eq_u16_sdwa s[12:13], v3, s4 src0_sel:BYTE_0 src1_sel:DWORD
	s_mov_b64 s[4:5], -1
                                        ; implicit-def: $sgpr10
	s_and_saveexec_b64 s[8:9], s[12:13]
; %bb.3822:
	s_mov_b32 s10, 0x7f800001
	s_xor_b64 s[4:5], exec, -1
; %bb.3823:
	s_or_b64 exec, exec, s[8:9]
	s_and_b64 s[4:5], s[4:5], exec
	s_or_saveexec_b64 s[6:7], s[6:7]
	v_mov_b32_e32 v4, s10
	s_xor_b64 exec, exec, s[6:7]
	s_cbranch_execz .LBB36_1774
.LBB36_3824:
	v_mov_b32_e32 v4, 0
	v_cmp_ne_u16_sdwa s[8:9], v3, v4 src0_sel:BYTE_0 src1_sel:DWORD
	s_andn2_b64 s[4:5], s[4:5], exec
	s_and_b64 s[8:9], s[8:9], exec
	s_or_b64 s[4:5], s[4:5], s[8:9]
	s_or_b64 exec, exec, s[6:7]
	s_and_saveexec_b64 s[6:7], s[4:5]
	s_cbranch_execnz .LBB36_1775
	s_branch .LBB36_1776
.LBB36_3825:
	s_movk_i32 s4, 0x80
	v_cmp_eq_u16_e32 vcc, s4, v3
	s_mov_b64 s[4:5], -1
                                        ; implicit-def: $sgpr10
	s_and_saveexec_b64 s[8:9], vcc
; %bb.3826:
	s_mov_b32 s10, 0x7f800001
	s_xor_b64 s[4:5], exec, -1
; %bb.3827:
	s_or_b64 exec, exec, s[8:9]
	s_and_b64 s[4:5], s[4:5], exec
                                        ; implicit-def: $vgpr3
	s_or_saveexec_b64 s[6:7], s[6:7]
	v_mov_b32_e32 v2, s10
	s_xor_b64 exec, exec, s[6:7]
	s_cbranch_execz .LBB36_1778
.LBB36_3828:
	v_cmp_ne_u16_e32 vcc, 0, v3
	s_andn2_b64 s[4:5], s[4:5], exec
	s_and_b64 s[8:9], vcc, exec
	v_mov_b32_e32 v2, 0
	s_or_b64 s[4:5], s[4:5], s[8:9]
	s_or_b64 exec, exec, s[6:7]
	s_and_saveexec_b64 s[6:7], s[4:5]
	s_cbranch_execnz .LBB36_1779
	s_branch .LBB36_1780
.LBB36_3829:
	s_movk_i32 s4, 0x80
	v_cmp_eq_u16_e32 vcc, s4, v3
	s_mov_b64 s[4:5], -1
                                        ; implicit-def: $sgpr10
	s_and_saveexec_b64 s[8:9], vcc
; %bb.3830:
	s_mov_b32 s10, 0x7f800001
	s_xor_b64 s[4:5], exec, -1
; %bb.3831:
	s_or_b64 exec, exec, s[8:9]
	s_and_b64 s[4:5], s[4:5], exec
                                        ; implicit-def: $vgpr3
	s_or_saveexec_b64 s[6:7], s[6:7]
	v_mov_b32_e32 v4, s10
	s_xor_b64 exec, exec, s[6:7]
	s_cbranch_execz .LBB36_1782
.LBB36_3832:
	v_cmp_ne_u16_e32 vcc, 0, v3
	s_andn2_b64 s[4:5], s[4:5], exec
	s_and_b64 s[8:9], vcc, exec
	v_mov_b32_e32 v4, 0
	s_or_b64 s[4:5], s[4:5], s[8:9]
	s_or_b64 exec, exec, s[6:7]
	s_and_saveexec_b64 s[6:7], s[4:5]
	s_cbranch_execnz .LBB36_1783
	s_branch .LBB36_1784
.LBB36_3833:
	s_movk_i32 s4, 0x80
	v_cmp_eq_u16_sdwa s[12:13], v9, s4 src0_sel:BYTE_3 src1_sel:DWORD
	s_mov_b64 s[4:5], -1
                                        ; implicit-def: $sgpr10
	s_and_saveexec_b64 s[8:9], s[12:13]
; %bb.3834:
	s_mov_b32 s10, 0x7f800001
	s_xor_b64 s[4:5], exec, -1
; %bb.3835:
	s_or_b64 exec, exec, s[8:9]
	s_and_b64 s[4:5], s[4:5], exec
	s_or_saveexec_b64 s[6:7], s[6:7]
	v_mov_b32_e32 v2, s10
	s_xor_b64 exec, exec, s[6:7]
	s_cbranch_execz .LBB36_1786
.LBB36_3836:
	v_mov_b32_e32 v2, 0
	v_cmp_ne_u16_sdwa s[8:9], v9, v2 src0_sel:BYTE_3 src1_sel:DWORD
	s_andn2_b64 s[4:5], s[4:5], exec
	s_and_b64 s[8:9], s[8:9], exec
	s_or_b64 s[4:5], s[4:5], s[8:9]
	s_or_b64 exec, exec, s[6:7]
	s_and_saveexec_b64 s[6:7], s[4:5]
	s_cbranch_execnz .LBB36_1787
	s_branch .LBB36_1788
.LBB36_3837:
	s_movk_i32 s4, 0x80
	v_cmp_eq_u16_sdwa s[12:13], v5, s4 src0_sel:BYTE_3 src1_sel:DWORD
	s_mov_b64 s[4:5], -1
                                        ; implicit-def: $sgpr10
	s_and_saveexec_b64 s[8:9], s[12:13]
; %bb.3838:
	s_mov_b32 s10, 0x7f800001
	s_xor_b64 s[4:5], exec, -1
; %bb.3839:
	s_or_b64 exec, exec, s[8:9]
	s_and_b64 s[4:5], s[4:5], exec
	s_or_saveexec_b64 s[6:7], s[6:7]
	v_mov_b32_e32 v3, s10
	s_xor_b64 exec, exec, s[6:7]
	s_cbranch_execz .LBB36_1790
.LBB36_3840:
	v_mov_b32_e32 v3, 0
	v_cmp_ne_u16_sdwa s[8:9], v5, v3 src0_sel:BYTE_3 src1_sel:DWORD
	s_andn2_b64 s[4:5], s[4:5], exec
	s_and_b64 s[8:9], s[8:9], exec
	s_or_b64 s[4:5], s[4:5], s[8:9]
	s_or_b64 exec, exec, s[6:7]
	s_and_saveexec_b64 s[6:7], s[4:5]
	s_cbranch_execnz .LBB36_1791
	s_branch .LBB36_1792
.LBB36_3841:
	s_movk_i32 s4, 0x80
	v_cmp_eq_u16_sdwa s[12:13], v12, s4 src0_sel:BYTE_0 src1_sel:DWORD
	s_mov_b64 s[4:5], -1
                                        ; implicit-def: $sgpr10
	s_and_saveexec_b64 s[8:9], s[12:13]
; %bb.3842:
	s_mov_b32 s10, 0x7f800001
	s_xor_b64 s[4:5], exec, -1
; %bb.3843:
	s_or_b64 exec, exec, s[8:9]
	s_and_b64 s[4:5], s[4:5], exec
	s_or_saveexec_b64 s[6:7], s[6:7]
	v_mov_b32_e32 v18, s10
	s_xor_b64 exec, exec, s[6:7]
	s_cbranch_execz .LBB36_1794
.LBB36_3844:
	v_mov_b32_e32 v18, 0
	v_cmp_ne_u16_sdwa s[8:9], v12, v18 src0_sel:BYTE_0 src1_sel:DWORD
	s_andn2_b64 s[4:5], s[4:5], exec
	s_and_b64 s[8:9], s[8:9], exec
	s_or_b64 s[4:5], s[4:5], s[8:9]
	s_or_b64 exec, exec, s[6:7]
	s_and_saveexec_b64 s[6:7], s[4:5]
	s_cbranch_execnz .LBB36_1795
	s_branch .LBB36_1796
.LBB36_3845:
	s_movk_i32 s4, 0x80
	v_cmp_eq_u16_sdwa s[12:13], v8, s4 src0_sel:BYTE_0 src1_sel:DWORD
	s_mov_b64 s[4:5], -1
                                        ; implicit-def: $sgpr10
	s_and_saveexec_b64 s[8:9], s[12:13]
; %bb.3846:
	s_mov_b32 s10, 0x7f800001
	s_xor_b64 s[4:5], exec, -1
; %bb.3847:
	s_or_b64 exec, exec, s[8:9]
	s_and_b64 s[4:5], s[4:5], exec
	s_or_saveexec_b64 s[6:7], s[6:7]
	v_mov_b32_e32 v19, s10
	s_xor_b64 exec, exec, s[6:7]
	s_cbranch_execz .LBB36_1798
.LBB36_3848:
	v_mov_b32_e32 v19, 0
	v_cmp_ne_u16_sdwa s[8:9], v8, v19 src0_sel:BYTE_0 src1_sel:DWORD
	s_andn2_b64 s[4:5], s[4:5], exec
	s_and_b64 s[8:9], s[8:9], exec
	s_or_b64 s[4:5], s[4:5], s[8:9]
	s_or_b64 exec, exec, s[6:7]
	s_and_saveexec_b64 s[6:7], s[4:5]
	s_cbranch_execnz .LBB36_1799
	s_branch .LBB36_1800
.LBB36_3849:
	s_movk_i32 s4, 0x80
	v_cmp_eq_u16_sdwa s[12:13], v19, s4 src0_sel:BYTE_0 src1_sel:DWORD
	s_mov_b64 s[4:5], -1
                                        ; implicit-def: $sgpr10
	s_and_saveexec_b64 s[8:9], s[12:13]
; %bb.3850:
	s_mov_b32 s10, 0x7f800001
	s_xor_b64 s[4:5], exec, -1
; %bb.3851:
	s_or_b64 exec, exec, s[8:9]
	s_and_b64 s[4:5], s[4:5], exec
	s_or_saveexec_b64 s[6:7], s[6:7]
	v_mov_b32_e32 v18, s10
	s_xor_b64 exec, exec, s[6:7]
	s_cbranch_execz .LBB36_1802
.LBB36_3852:
	v_mov_b32_e32 v18, 0
	v_cmp_ne_u16_sdwa s[8:9], v19, v18 src0_sel:BYTE_0 src1_sel:DWORD
	s_andn2_b64 s[4:5], s[4:5], exec
	s_and_b64 s[8:9], s[8:9], exec
	s_or_b64 s[4:5], s[4:5], s[8:9]
	s_or_b64 exec, exec, s[6:7]
	s_and_saveexec_b64 s[6:7], s[4:5]
	s_cbranch_execnz .LBB36_1803
	s_branch .LBB36_1804
.LBB36_3853:
	s_movk_i32 s4, 0x80
	v_cmp_eq_u16_sdwa s[12:13], v19, s4 src0_sel:BYTE_0 src1_sel:DWORD
	s_mov_b64 s[4:5], -1
                                        ; implicit-def: $sgpr10
	s_and_saveexec_b64 s[8:9], s[12:13]
; %bb.3854:
	s_mov_b32 s10, 0x7f800001
	s_xor_b64 s[4:5], exec, -1
; %bb.3855:
	s_or_b64 exec, exec, s[8:9]
	s_and_b64 s[4:5], s[4:5], exec
	s_or_saveexec_b64 s[6:7], s[6:7]
	v_mov_b32_e32 v20, s10
	s_xor_b64 exec, exec, s[6:7]
	s_cbranch_execz .LBB36_1806
.LBB36_3856:
	v_mov_b32_e32 v20, 0
	v_cmp_ne_u16_sdwa s[8:9], v19, v20 src0_sel:BYTE_0 src1_sel:DWORD
	s_andn2_b64 s[4:5], s[4:5], exec
	s_and_b64 s[8:9], s[8:9], exec
	s_or_b64 s[4:5], s[4:5], s[8:9]
	s_or_b64 exec, exec, s[6:7]
	s_and_saveexec_b64 s[6:7], s[4:5]
	s_cbranch_execnz .LBB36_1807
	s_branch .LBB36_1808
.LBB36_3857:
	s_movk_i32 s4, 0x80
	v_cmp_eq_u16_e32 vcc, s4, v19
	s_mov_b64 s[4:5], -1
                                        ; implicit-def: $sgpr10
	s_and_saveexec_b64 s[8:9], vcc
; %bb.3858:
	s_mov_b32 s10, 0x7f800001
	s_xor_b64 s[4:5], exec, -1
; %bb.3859:
	s_or_b64 exec, exec, s[8:9]
	s_and_b64 s[4:5], s[4:5], exec
                                        ; implicit-def: $vgpr19
	s_or_saveexec_b64 s[6:7], s[6:7]
	v_mov_b32_e32 v18, s10
	s_xor_b64 exec, exec, s[6:7]
	s_cbranch_execz .LBB36_1810
.LBB36_3860:
	v_cmp_ne_u16_e32 vcc, 0, v19
	s_andn2_b64 s[4:5], s[4:5], exec
	s_and_b64 s[8:9], vcc, exec
	v_mov_b32_e32 v18, 0
	s_or_b64 s[4:5], s[4:5], s[8:9]
	s_or_b64 exec, exec, s[6:7]
	s_and_saveexec_b64 s[6:7], s[4:5]
	s_cbranch_execnz .LBB36_1811
	s_branch .LBB36_1812
.LBB36_3861:
	s_movk_i32 s4, 0x80
	v_cmp_eq_u16_e32 vcc, s4, v19
	s_mov_b64 s[4:5], -1
                                        ; implicit-def: $sgpr10
	s_and_saveexec_b64 s[8:9], vcc
; %bb.3862:
	s_mov_b32 s10, 0x7f800001
	s_xor_b64 s[4:5], exec, -1
; %bb.3863:
	s_or_b64 exec, exec, s[8:9]
	s_and_b64 s[4:5], s[4:5], exec
                                        ; implicit-def: $vgpr19
	s_or_saveexec_b64 s[6:7], s[6:7]
	v_mov_b32_e32 v20, s10
	s_xor_b64 exec, exec, s[6:7]
	s_cbranch_execz .LBB36_1814
.LBB36_3864:
	v_cmp_ne_u16_e32 vcc, 0, v19
	s_andn2_b64 s[4:5], s[4:5], exec
	s_and_b64 s[8:9], vcc, exec
	v_mov_b32_e32 v20, 0
	s_or_b64 s[4:5], s[4:5], s[8:9]
	s_or_b64 exec, exec, s[6:7]
	s_and_saveexec_b64 s[6:7], s[4:5]
	s_cbranch_execnz .LBB36_1815
	s_branch .LBB36_1816
.LBB36_3865:
	s_movk_i32 s4, 0x80
	v_cmp_eq_u16_sdwa s[12:13], v12, s4 src0_sel:BYTE_3 src1_sel:DWORD
	s_mov_b64 s[4:5], -1
                                        ; implicit-def: $sgpr10
	s_and_saveexec_b64 s[8:9], s[12:13]
; %bb.3866:
	s_mov_b32 s10, 0x7f800001
	s_xor_b64 s[4:5], exec, -1
; %bb.3867:
	s_or_b64 exec, exec, s[8:9]
	s_and_b64 s[4:5], s[4:5], exec
	s_or_saveexec_b64 s[6:7], s[6:7]
	v_mov_b32_e32 v18, s10
	s_xor_b64 exec, exec, s[6:7]
	s_cbranch_execz .LBB36_1818
.LBB36_3868:
	v_mov_b32_e32 v18, 0
	v_cmp_ne_u16_sdwa s[8:9], v12, v18 src0_sel:BYTE_3 src1_sel:DWORD
	s_andn2_b64 s[4:5], s[4:5], exec
	s_and_b64 s[8:9], s[8:9], exec
	s_or_b64 s[4:5], s[4:5], s[8:9]
	s_or_b64 exec, exec, s[6:7]
	s_and_saveexec_b64 s[6:7], s[4:5]
	s_cbranch_execnz .LBB36_1819
	s_branch .LBB36_1820
.LBB36_3869:
	s_movk_i32 s4, 0x80
	v_cmp_eq_u16_sdwa s[12:13], v8, s4 src0_sel:BYTE_3 src1_sel:DWORD
	s_mov_b64 s[4:5], -1
                                        ; implicit-def: $sgpr10
	s_and_saveexec_b64 s[8:9], s[12:13]
; %bb.3870:
	s_mov_b32 s10, 0x7f800001
	s_xor_b64 s[4:5], exec, -1
; %bb.3871:
	s_or_b64 exec, exec, s[8:9]
	s_and_b64 s[4:5], s[4:5], exec
	s_or_saveexec_b64 s[6:7], s[6:7]
	v_mov_b32_e32 v12, s10
	s_xor_b64 exec, exec, s[6:7]
	s_cbranch_execz .LBB36_1822
.LBB36_3872:
	v_mov_b32_e32 v12, 0
	v_cmp_ne_u16_sdwa s[8:9], v8, v12 src0_sel:BYTE_3 src1_sel:DWORD
	s_andn2_b64 s[4:5], s[4:5], exec
	s_and_b64 s[8:9], s[8:9], exec
	s_or_b64 s[4:5], s[4:5], s[8:9]
	s_or_b64 exec, exec, s[6:7]
	s_and_saveexec_b64 s[6:7], s[4:5]
	s_cbranch_execnz .LBB36_1823
	s_branch .LBB36_1824
.LBB36_3873:
	s_movk_i32 s4, 0x80
	v_cmp_eq_u16_sdwa s[12:13], v13, s4 src0_sel:BYTE_0 src1_sel:DWORD
	s_mov_b64 s[4:5], -1
                                        ; implicit-def: $sgpr10
	s_and_saveexec_b64 s[8:9], s[12:13]
; %bb.3874:
	s_mov_b32 s10, 0x7f800001
	s_xor_b64 s[4:5], exec, -1
; %bb.3875:
	s_or_b64 exec, exec, s[8:9]
	s_and_b64 s[4:5], s[4:5], exec
	s_or_saveexec_b64 s[6:7], s[6:7]
	v_mov_b32_e32 v8, s10
	s_xor_b64 exec, exec, s[6:7]
	s_cbranch_execz .LBB36_1826
.LBB36_3876:
	v_mov_b32_e32 v8, 0
	v_cmp_ne_u16_sdwa s[8:9], v13, v8 src0_sel:BYTE_0 src1_sel:DWORD
	s_andn2_b64 s[4:5], s[4:5], exec
	s_and_b64 s[8:9], s[8:9], exec
	s_or_b64 s[4:5], s[4:5], s[8:9]
	s_or_b64 exec, exec, s[6:7]
	s_and_saveexec_b64 s[6:7], s[4:5]
	s_cbranch_execnz .LBB36_1827
	s_branch .LBB36_1828
.LBB36_3877:
	s_movk_i32 s4, 0x80
	v_cmp_eq_u16_sdwa s[12:13], v9, s4 src0_sel:BYTE_0 src1_sel:DWORD
	s_mov_b64 s[4:5], -1
                                        ; implicit-def: $sgpr10
	s_and_saveexec_b64 s[8:9], s[12:13]
; %bb.3878:
	s_mov_b32 s10, 0x7f800001
	s_xor_b64 s[4:5], exec, -1
; %bb.3879:
	s_or_b64 exec, exec, s[8:9]
	s_and_b64 s[4:5], s[4:5], exec
	s_or_saveexec_b64 s[6:7], s[6:7]
	v_mov_b32_e32 v12, s10
	s_xor_b64 exec, exec, s[6:7]
	s_cbranch_execz .LBB36_1830
.LBB36_3880:
	v_mov_b32_e32 v12, 0
	v_cmp_ne_u16_sdwa s[8:9], v9, v12 src0_sel:BYTE_0 src1_sel:DWORD
	s_andn2_b64 s[4:5], s[4:5], exec
	s_and_b64 s[8:9], s[8:9], exec
	s_or_b64 s[4:5], s[4:5], s[8:9]
	s_or_b64 exec, exec, s[6:7]
	s_and_saveexec_b64 s[6:7], s[4:5]
	s_cbranch_execnz .LBB36_1831
	s_branch .LBB36_1832
.LBB36_3881:
	s_movk_i32 s4, 0x80
	v_cmp_eq_u16_sdwa s[12:13], v12, s4 src0_sel:BYTE_0 src1_sel:DWORD
	s_mov_b64 s[4:5], -1
                                        ; implicit-def: $sgpr10
	s_and_saveexec_b64 s[8:9], s[12:13]
; %bb.3882:
	s_mov_b32 s10, 0x7f800001
	s_xor_b64 s[4:5], exec, -1
; %bb.3883:
	s_or_b64 exec, exec, s[8:9]
	s_and_b64 s[4:5], s[4:5], exec
	s_or_saveexec_b64 s[6:7], s[6:7]
	v_mov_b32_e32 v8, s10
	s_xor_b64 exec, exec, s[6:7]
	s_cbranch_execz .LBB36_1834
.LBB36_3884:
	v_mov_b32_e32 v8, 0
	v_cmp_ne_u16_sdwa s[8:9], v12, v8 src0_sel:BYTE_0 src1_sel:DWORD
	s_andn2_b64 s[4:5], s[4:5], exec
	s_and_b64 s[8:9], s[8:9], exec
	s_or_b64 s[4:5], s[4:5], s[8:9]
	s_or_b64 exec, exec, s[6:7]
	s_and_saveexec_b64 s[6:7], s[4:5]
	s_cbranch_execnz .LBB36_1835
	s_branch .LBB36_1836
.LBB36_3885:
	s_movk_i32 s4, 0x80
	v_cmp_eq_u16_sdwa s[12:13], v12, s4 src0_sel:BYTE_0 src1_sel:DWORD
	s_mov_b64 s[4:5], -1
                                        ; implicit-def: $sgpr10
	s_and_saveexec_b64 s[8:9], s[12:13]
; %bb.3886:
	s_mov_b32 s10, 0x7f800001
	s_xor_b64 s[4:5], exec, -1
; %bb.3887:
	s_or_b64 exec, exec, s[8:9]
	s_and_b64 s[4:5], s[4:5], exec
	s_or_saveexec_b64 s[6:7], s[6:7]
	v_mov_b32_e32 v18, s10
	s_xor_b64 exec, exec, s[6:7]
	s_cbranch_execz .LBB36_1838
.LBB36_3888:
	v_mov_b32_e32 v18, 0
	v_cmp_ne_u16_sdwa s[8:9], v12, v18 src0_sel:BYTE_0 src1_sel:DWORD
	s_andn2_b64 s[4:5], s[4:5], exec
	s_and_b64 s[8:9], s[8:9], exec
	s_or_b64 s[4:5], s[4:5], s[8:9]
	s_or_b64 exec, exec, s[6:7]
	s_and_saveexec_b64 s[6:7], s[4:5]
	s_cbranch_execnz .LBB36_1839
	s_branch .LBB36_1840
.LBB36_3889:
	s_movk_i32 s4, 0x80
	v_cmp_eq_u16_e32 vcc, s4, v12
	s_mov_b64 s[4:5], -1
                                        ; implicit-def: $sgpr10
	s_and_saveexec_b64 s[8:9], vcc
; %bb.3890:
	s_mov_b32 s10, 0x7f800001
	s_xor_b64 s[4:5], exec, -1
; %bb.3891:
	s_or_b64 exec, exec, s[8:9]
	s_and_b64 s[4:5], s[4:5], exec
                                        ; implicit-def: $vgpr12
	s_or_saveexec_b64 s[6:7], s[6:7]
	v_mov_b32_e32 v8, s10
	s_xor_b64 exec, exec, s[6:7]
	s_cbranch_execz .LBB36_1842
.LBB36_3892:
	v_cmp_ne_u16_e32 vcc, 0, v12
	s_andn2_b64 s[4:5], s[4:5], exec
	s_and_b64 s[8:9], vcc, exec
	v_mov_b32_e32 v8, 0
	s_or_b64 s[4:5], s[4:5], s[8:9]
	s_or_b64 exec, exec, s[6:7]
	s_and_saveexec_b64 s[6:7], s[4:5]
	s_cbranch_execnz .LBB36_1843
	s_branch .LBB36_1844
.LBB36_3893:
	s_movk_i32 s4, 0x80
	v_cmp_eq_u16_e32 vcc, s4, v12
	s_mov_b64 s[4:5], -1
                                        ; implicit-def: $sgpr10
	s_and_saveexec_b64 s[8:9], vcc
; %bb.3894:
	s_mov_b32 s10, 0x7f800001
	s_xor_b64 s[4:5], exec, -1
; %bb.3895:
	s_or_b64 exec, exec, s[8:9]
	s_and_b64 s[4:5], s[4:5], exec
                                        ; implicit-def: $vgpr12
	s_or_saveexec_b64 s[6:7], s[6:7]
	v_mov_b32_e32 v18, s10
	s_xor_b64 exec, exec, s[6:7]
	s_cbranch_execz .LBB36_1846
.LBB36_3896:
	v_cmp_ne_u16_e32 vcc, 0, v12
	s_andn2_b64 s[4:5], s[4:5], exec
	s_and_b64 s[8:9], vcc, exec
	v_mov_b32_e32 v18, 0
	s_or_b64 s[4:5], s[4:5], s[8:9]
	s_or_b64 exec, exec, s[6:7]
	s_and_saveexec_b64 s[6:7], s[4:5]
	s_cbranch_execnz .LBB36_1847
	s_branch .LBB36_1848
.LBB36_3897:
	s_movk_i32 s4, 0x80
	v_cmp_eq_u16_sdwa s[12:13], v13, s4 src0_sel:BYTE_3 src1_sel:DWORD
	s_mov_b64 s[4:5], -1
                                        ; implicit-def: $sgpr10
	s_and_saveexec_b64 s[8:9], s[12:13]
; %bb.3898:
	s_mov_b32 s10, 0x7f800001
	s_xor_b64 s[4:5], exec, -1
; %bb.3899:
	s_or_b64 exec, exec, s[8:9]
	s_and_b64 s[4:5], s[4:5], exec
	s_or_saveexec_b64 s[6:7], s[6:7]
	v_mov_b32_e32 v8, s10
	s_xor_b64 exec, exec, s[6:7]
	s_cbranch_execz .LBB36_1850
.LBB36_3900:
	v_mov_b32_e32 v8, 0
	v_cmp_ne_u16_sdwa s[8:9], v13, v8 src0_sel:BYTE_3 src1_sel:DWORD
	s_andn2_b64 s[4:5], s[4:5], exec
	s_and_b64 s[8:9], s[8:9], exec
	s_or_b64 s[4:5], s[4:5], s[8:9]
	s_or_b64 exec, exec, s[6:7]
	s_and_saveexec_b64 s[6:7], s[4:5]
	s_cbranch_execnz .LBB36_1851
	s_branch .LBB36_1852
.LBB36_3901:
	s_movk_i32 s4, 0x80
	v_cmp_eq_u16_sdwa s[12:13], v9, s4 src0_sel:BYTE_3 src1_sel:DWORD
	s_mov_b64 s[4:5], -1
                                        ; implicit-def: $sgpr10
	s_and_saveexec_b64 s[8:9], s[12:13]
; %bb.3902:
	s_mov_b32 s10, 0x7f800001
	s_xor_b64 s[4:5], exec, -1
; %bb.3903:
	s_or_b64 exec, exec, s[8:9]
	s_and_b64 s[4:5], s[4:5], exec
	s_or_saveexec_b64 s[6:7], s[6:7]
	v_mov_b32_e32 v12, s10
	s_xor_b64 exec, exec, s[6:7]
	s_cbranch_execz .LBB36_1854
.LBB36_3904:
	v_mov_b32_e32 v12, 0
	v_cmp_ne_u16_sdwa s[8:9], v9, v12 src0_sel:BYTE_3 src1_sel:DWORD
	s_andn2_b64 s[4:5], s[4:5], exec
	s_and_b64 s[8:9], s[8:9], exec
	s_or_b64 s[4:5], s[4:5], s[8:9]
	s_or_b64 exec, exec, s[6:7]
	s_and_saveexec_b64 s[6:7], s[4:5]
	s_cbranch_execnz .LBB36_1855
	s_branch .LBB36_1856
.LBB36_3905:
	s_movk_i32 s4, 0x80
	v_cmp_eq_u16_sdwa s[12:13], v14, s4 src0_sel:BYTE_0 src1_sel:DWORD
	s_mov_b64 s[4:5], -1
                                        ; implicit-def: $sgpr10
	s_and_saveexec_b64 s[8:9], s[12:13]
; %bb.3906:
	s_mov_b32 s10, 0x7f800001
	s_xor_b64 s[4:5], exec, -1
; %bb.3907:
	s_or_b64 exec, exec, s[8:9]
	s_and_b64 s[4:5], s[4:5], exec
	s_or_saveexec_b64 s[6:7], s[6:7]
	v_mov_b32_e32 v8, s10
	s_xor_b64 exec, exec, s[6:7]
	s_cbranch_execz .LBB36_1858
.LBB36_3908:
	v_mov_b32_e32 v8, 0
	v_cmp_ne_u16_sdwa s[8:9], v14, v8 src0_sel:BYTE_0 src1_sel:DWORD
	s_andn2_b64 s[4:5], s[4:5], exec
	s_and_b64 s[8:9], s[8:9], exec
	s_or_b64 s[4:5], s[4:5], s[8:9]
	s_or_b64 exec, exec, s[6:7]
	s_and_saveexec_b64 s[6:7], s[4:5]
	s_cbranch_execnz .LBB36_1859
	s_branch .LBB36_1860
.LBB36_3909:
	s_movk_i32 s4, 0x80
	v_cmp_eq_u16_sdwa s[12:13], v10, s4 src0_sel:BYTE_0 src1_sel:DWORD
	s_mov_b64 s[4:5], -1
                                        ; implicit-def: $sgpr10
	s_and_saveexec_b64 s[8:9], s[12:13]
; %bb.3910:
	s_mov_b32 s10, 0x7f800001
	s_xor_b64 s[4:5], exec, -1
; %bb.3911:
	s_or_b64 exec, exec, s[8:9]
	s_and_b64 s[4:5], s[4:5], exec
	s_or_saveexec_b64 s[6:7], s[6:7]
	v_mov_b32_e32 v9, s10
	s_xor_b64 exec, exec, s[6:7]
	s_cbranch_execz .LBB36_1862
.LBB36_3912:
	v_mov_b32_e32 v9, 0
	v_cmp_ne_u16_sdwa s[8:9], v10, v9 src0_sel:BYTE_0 src1_sel:DWORD
	s_andn2_b64 s[4:5], s[4:5], exec
	s_and_b64 s[8:9], s[8:9], exec
	s_or_b64 s[4:5], s[4:5], s[8:9]
	s_or_b64 exec, exec, s[6:7]
	s_and_saveexec_b64 s[6:7], s[4:5]
	s_cbranch_execnz .LBB36_1863
	s_branch .LBB36_1864
.LBB36_3913:
	s_movk_i32 s4, 0x80
	v_cmp_eq_u16_sdwa s[12:13], v9, s4 src0_sel:BYTE_0 src1_sel:DWORD
	s_mov_b64 s[4:5], -1
                                        ; implicit-def: $sgpr10
	s_and_saveexec_b64 s[8:9], s[12:13]
; %bb.3914:
	s_mov_b32 s10, 0x7f800001
	s_xor_b64 s[4:5], exec, -1
; %bb.3915:
	s_or_b64 exec, exec, s[8:9]
	s_and_b64 s[4:5], s[4:5], exec
	s_or_saveexec_b64 s[6:7], s[6:7]
	v_mov_b32_e32 v8, s10
	s_xor_b64 exec, exec, s[6:7]
	s_cbranch_execz .LBB36_1866
.LBB36_3916:
	v_mov_b32_e32 v8, 0
	v_cmp_ne_u16_sdwa s[8:9], v9, v8 src0_sel:BYTE_0 src1_sel:DWORD
	s_andn2_b64 s[4:5], s[4:5], exec
	s_and_b64 s[8:9], s[8:9], exec
	s_or_b64 s[4:5], s[4:5], s[8:9]
	s_or_b64 exec, exec, s[6:7]
	s_and_saveexec_b64 s[6:7], s[4:5]
	s_cbranch_execnz .LBB36_1867
	s_branch .LBB36_1868
.LBB36_3917:
	s_movk_i32 s4, 0x80
	v_cmp_eq_u16_sdwa s[12:13], v9, s4 src0_sel:BYTE_0 src1_sel:DWORD
	s_mov_b64 s[4:5], -1
                                        ; implicit-def: $sgpr10
	s_and_saveexec_b64 s[8:9], s[12:13]
; %bb.3918:
	s_mov_b32 s10, 0x7f800001
	s_xor_b64 s[4:5], exec, -1
; %bb.3919:
	s_or_b64 exec, exec, s[8:9]
	s_and_b64 s[4:5], s[4:5], exec
	s_or_saveexec_b64 s[6:7], s[6:7]
	v_mov_b32_e32 v12, s10
	s_xor_b64 exec, exec, s[6:7]
	s_cbranch_execz .LBB36_1870
.LBB36_3920:
	v_mov_b32_e32 v12, 0
	v_cmp_ne_u16_sdwa s[8:9], v9, v12 src0_sel:BYTE_0 src1_sel:DWORD
	s_andn2_b64 s[4:5], s[4:5], exec
	s_and_b64 s[8:9], s[8:9], exec
	s_or_b64 s[4:5], s[4:5], s[8:9]
	s_or_b64 exec, exec, s[6:7]
	s_and_saveexec_b64 s[6:7], s[4:5]
	s_cbranch_execnz .LBB36_1871
	s_branch .LBB36_1872
.LBB36_3921:
	s_movk_i32 s4, 0x80
	v_cmp_eq_u16_e32 vcc, s4, v9
	s_mov_b64 s[4:5], -1
                                        ; implicit-def: $sgpr10
	s_and_saveexec_b64 s[8:9], vcc
; %bb.3922:
	s_mov_b32 s10, 0x7f800001
	s_xor_b64 s[4:5], exec, -1
; %bb.3923:
	s_or_b64 exec, exec, s[8:9]
	s_and_b64 s[4:5], s[4:5], exec
                                        ; implicit-def: $vgpr9
	s_or_saveexec_b64 s[6:7], s[6:7]
	v_mov_b32_e32 v8, s10
	s_xor_b64 exec, exec, s[6:7]
	s_cbranch_execz .LBB36_1874
.LBB36_3924:
	v_cmp_ne_u16_e32 vcc, 0, v9
	s_andn2_b64 s[4:5], s[4:5], exec
	s_and_b64 s[8:9], vcc, exec
	v_mov_b32_e32 v8, 0
	s_or_b64 s[4:5], s[4:5], s[8:9]
	s_or_b64 exec, exec, s[6:7]
	s_and_saveexec_b64 s[6:7], s[4:5]
	s_cbranch_execnz .LBB36_1875
	s_branch .LBB36_1876
.LBB36_3925:
	s_movk_i32 s4, 0x80
	v_cmp_eq_u16_e32 vcc, s4, v9
	s_mov_b64 s[4:5], -1
                                        ; implicit-def: $sgpr10
	s_and_saveexec_b64 s[8:9], vcc
; %bb.3926:
	s_mov_b32 s10, 0x7f800001
	s_xor_b64 s[4:5], exec, -1
; %bb.3927:
	s_or_b64 exec, exec, s[8:9]
	s_and_b64 s[4:5], s[4:5], exec
                                        ; implicit-def: $vgpr9
	s_or_saveexec_b64 s[6:7], s[6:7]
	v_mov_b32_e32 v12, s10
	s_xor_b64 exec, exec, s[6:7]
	s_cbranch_execz .LBB36_1878
.LBB36_3928:
	v_cmp_ne_u16_e32 vcc, 0, v9
	s_andn2_b64 s[4:5], s[4:5], exec
	s_and_b64 s[8:9], vcc, exec
	v_mov_b32_e32 v12, 0
	s_or_b64 s[4:5], s[4:5], s[8:9]
	s_or_b64 exec, exec, s[6:7]
	s_and_saveexec_b64 s[6:7], s[4:5]
	s_cbranch_execnz .LBB36_1879
	s_branch .LBB36_1880
.LBB36_3929:
	s_movk_i32 s4, 0x80
	v_cmp_eq_u16_sdwa s[12:13], v14, s4 src0_sel:BYTE_3 src1_sel:DWORD
	s_mov_b64 s[4:5], -1
                                        ; implicit-def: $sgpr10
	s_and_saveexec_b64 s[8:9], s[12:13]
; %bb.3930:
	s_mov_b32 s10, 0x7f800001
	s_xor_b64 s[4:5], exec, -1
; %bb.3931:
	s_or_b64 exec, exec, s[8:9]
	s_and_b64 s[4:5], s[4:5], exec
	s_or_saveexec_b64 s[6:7], s[6:7]
	v_mov_b32_e32 v8, s10
	s_xor_b64 exec, exec, s[6:7]
	s_cbranch_execz .LBB36_1882
.LBB36_3932:
	v_mov_b32_e32 v8, 0
	v_cmp_ne_u16_sdwa s[8:9], v14, v8 src0_sel:BYTE_3 src1_sel:DWORD
	s_andn2_b64 s[4:5], s[4:5], exec
	s_and_b64 s[8:9], s[8:9], exec
	s_or_b64 s[4:5], s[4:5], s[8:9]
	s_or_b64 exec, exec, s[6:7]
	s_and_saveexec_b64 s[6:7], s[4:5]
	s_cbranch_execnz .LBB36_1883
	s_branch .LBB36_1884
.LBB36_3933:
	s_movk_i32 s4, 0x80
	v_cmp_eq_u16_sdwa s[12:13], v10, s4 src0_sel:BYTE_3 src1_sel:DWORD
	s_mov_b64 s[4:5], -1
                                        ; implicit-def: $sgpr10
	s_and_saveexec_b64 s[8:9], s[12:13]
; %bb.3934:
	s_mov_b32 s10, 0x7f800001
	s_xor_b64 s[4:5], exec, -1
; %bb.3935:
	s_or_b64 exec, exec, s[8:9]
	s_and_b64 s[4:5], s[4:5], exec
	s_or_saveexec_b64 s[6:7], s[6:7]
	v_mov_b32_e32 v9, s10
	s_xor_b64 exec, exec, s[6:7]
	s_cbranch_execz .LBB36_1886
.LBB36_3936:
	v_mov_b32_e32 v9, 0
	v_cmp_ne_u16_sdwa s[8:9], v10, v9 src0_sel:BYTE_3 src1_sel:DWORD
	s_andn2_b64 s[4:5], s[4:5], exec
	s_and_b64 s[8:9], s[8:9], exec
	s_or_b64 s[4:5], s[4:5], s[8:9]
	s_or_b64 exec, exec, s[6:7]
	s_and_saveexec_b64 s[6:7], s[4:5]
	s_cbranch_execnz .LBB36_1887
	s_branch .LBB36_1888
.LBB36_3937:
	s_movk_i32 s4, 0x80
	v_cmp_eq_u16_sdwa s[12:13], v15, s4 src0_sel:BYTE_0 src1_sel:DWORD
	s_mov_b64 s[4:5], -1
                                        ; implicit-def: $sgpr10
	s_and_saveexec_b64 s[8:9], s[12:13]
; %bb.3938:
	s_mov_b32 s10, 0x7f800001
	s_xor_b64 s[4:5], exec, -1
; %bb.3939:
	s_or_b64 exec, exec, s[8:9]
	s_and_b64 s[4:5], s[4:5], exec
	s_or_saveexec_b64 s[6:7], s[6:7]
	v_mov_b32_e32 v8, s10
	s_xor_b64 exec, exec, s[6:7]
	s_cbranch_execz .LBB36_1890
.LBB36_3940:
	v_mov_b32_e32 v8, 0
	v_cmp_ne_u16_sdwa s[8:9], v15, v8 src0_sel:BYTE_0 src1_sel:DWORD
	s_andn2_b64 s[4:5], s[4:5], exec
	s_and_b64 s[8:9], s[8:9], exec
	s_or_b64 s[4:5], s[4:5], s[8:9]
	s_or_b64 exec, exec, s[6:7]
	s_and_saveexec_b64 s[6:7], s[4:5]
	s_cbranch_execnz .LBB36_1891
	s_branch .LBB36_1892
.LBB36_3941:
	s_movk_i32 s4, 0x80
	v_cmp_eq_u16_sdwa s[12:13], v11, s4 src0_sel:BYTE_0 src1_sel:DWORD
	s_mov_b64 s[4:5], -1
                                        ; implicit-def: $sgpr10
	s_and_saveexec_b64 s[8:9], s[12:13]
; %bb.3942:
	s_mov_b32 s10, 0x7f800001
	s_xor_b64 s[4:5], exec, -1
; %bb.3943:
	s_or_b64 exec, exec, s[8:9]
	s_and_b64 s[4:5], s[4:5], exec
	s_or_saveexec_b64 s[6:7], s[6:7]
	v_mov_b32_e32 v9, s10
	s_xor_b64 exec, exec, s[6:7]
	s_cbranch_execz .LBB36_1894
.LBB36_3944:
	v_mov_b32_e32 v9, 0
	v_cmp_ne_u16_sdwa s[8:9], v11, v9 src0_sel:BYTE_0 src1_sel:DWORD
	s_andn2_b64 s[4:5], s[4:5], exec
	s_and_b64 s[8:9], s[8:9], exec
	s_or_b64 s[4:5], s[4:5], s[8:9]
	s_or_b64 exec, exec, s[6:7]
	s_and_saveexec_b64 s[6:7], s[4:5]
	s_cbranch_execnz .LBB36_1895
	s_branch .LBB36_1896
.LBB36_3945:
	s_movk_i32 s4, 0x80
	v_cmp_eq_u16_sdwa s[12:13], v9, s4 src0_sel:BYTE_0 src1_sel:DWORD
	s_mov_b64 s[4:5], -1
                                        ; implicit-def: $sgpr10
	s_and_saveexec_b64 s[8:9], s[12:13]
; %bb.3946:
	s_mov_b32 s10, 0x7f800001
	s_xor_b64 s[4:5], exec, -1
; %bb.3947:
	s_or_b64 exec, exec, s[8:9]
	s_and_b64 s[4:5], s[4:5], exec
	s_or_saveexec_b64 s[6:7], s[6:7]
	v_mov_b32_e32 v8, s10
	s_xor_b64 exec, exec, s[6:7]
	s_cbranch_execz .LBB36_1898
.LBB36_3948:
	v_mov_b32_e32 v8, 0
	v_cmp_ne_u16_sdwa s[8:9], v9, v8 src0_sel:BYTE_0 src1_sel:DWORD
	s_andn2_b64 s[4:5], s[4:5], exec
	s_and_b64 s[8:9], s[8:9], exec
	s_or_b64 s[4:5], s[4:5], s[8:9]
	s_or_b64 exec, exec, s[6:7]
	s_and_saveexec_b64 s[6:7], s[4:5]
	s_cbranch_execnz .LBB36_1899
	s_branch .LBB36_1900
.LBB36_3949:
	s_movk_i32 s4, 0x80
	v_cmp_eq_u16_sdwa s[12:13], v9, s4 src0_sel:BYTE_0 src1_sel:DWORD
	s_mov_b64 s[4:5], -1
                                        ; implicit-def: $sgpr10
	s_and_saveexec_b64 s[8:9], s[12:13]
; %bb.3950:
	s_mov_b32 s10, 0x7f800001
	s_xor_b64 s[4:5], exec, -1
; %bb.3951:
	s_or_b64 exec, exec, s[8:9]
	s_and_b64 s[4:5], s[4:5], exec
	s_or_saveexec_b64 s[6:7], s[6:7]
	v_mov_b32_e32 v10, s10
	s_xor_b64 exec, exec, s[6:7]
	s_cbranch_execz .LBB36_1902
.LBB36_3952:
	v_mov_b32_e32 v10, 0
	v_cmp_ne_u16_sdwa s[8:9], v9, v10 src0_sel:BYTE_0 src1_sel:DWORD
	s_andn2_b64 s[4:5], s[4:5], exec
	s_and_b64 s[8:9], s[8:9], exec
	s_or_b64 s[4:5], s[4:5], s[8:9]
	s_or_b64 exec, exec, s[6:7]
	s_and_saveexec_b64 s[6:7], s[4:5]
	s_cbranch_execnz .LBB36_1903
	s_branch .LBB36_1904
.LBB36_3953:
	s_movk_i32 s4, 0x80
	v_cmp_eq_u16_e32 vcc, s4, v9
	s_mov_b64 s[4:5], -1
                                        ; implicit-def: $sgpr10
	s_and_saveexec_b64 s[8:9], vcc
; %bb.3954:
	s_mov_b32 s10, 0x7f800001
	s_xor_b64 s[4:5], exec, -1
; %bb.3955:
	s_or_b64 exec, exec, s[8:9]
	s_and_b64 s[4:5], s[4:5], exec
                                        ; implicit-def: $vgpr9
	s_or_saveexec_b64 s[6:7], s[6:7]
	v_mov_b32_e32 v8, s10
	s_xor_b64 exec, exec, s[6:7]
	s_cbranch_execz .LBB36_1906
.LBB36_3956:
	v_cmp_ne_u16_e32 vcc, 0, v9
	s_andn2_b64 s[4:5], s[4:5], exec
	s_and_b64 s[8:9], vcc, exec
	v_mov_b32_e32 v8, 0
	s_or_b64 s[4:5], s[4:5], s[8:9]
	s_or_b64 exec, exec, s[6:7]
	s_and_saveexec_b64 s[6:7], s[4:5]
	s_cbranch_execnz .LBB36_1907
	s_branch .LBB36_1908
.LBB36_3957:
	s_movk_i32 s4, 0x80
	v_cmp_eq_u16_e32 vcc, s4, v9
	s_mov_b64 s[4:5], -1
                                        ; implicit-def: $sgpr10
	s_and_saveexec_b64 s[8:9], vcc
; %bb.3958:
	s_mov_b32 s10, 0x7f800001
	s_xor_b64 s[4:5], exec, -1
; %bb.3959:
	s_or_b64 exec, exec, s[8:9]
	s_and_b64 s[4:5], s[4:5], exec
                                        ; implicit-def: $vgpr9
	s_or_saveexec_b64 s[6:7], s[6:7]
	v_mov_b32_e32 v10, s10
	s_xor_b64 exec, exec, s[6:7]
	s_cbranch_execz .LBB36_1910
.LBB36_3960:
	v_cmp_ne_u16_e32 vcc, 0, v9
	s_andn2_b64 s[4:5], s[4:5], exec
	s_and_b64 s[8:9], vcc, exec
	v_mov_b32_e32 v10, 0
	s_or_b64 s[4:5], s[4:5], s[8:9]
	s_or_b64 exec, exec, s[6:7]
	s_and_saveexec_b64 s[6:7], s[4:5]
	s_cbranch_execnz .LBB36_1911
	s_branch .LBB36_1912
.LBB36_3961:
	s_movk_i32 s4, 0x80
	v_cmp_eq_u16_sdwa s[12:13], v15, s4 src0_sel:BYTE_3 src1_sel:DWORD
	s_mov_b64 s[4:5], -1
                                        ; implicit-def: $sgpr10
	s_and_saveexec_b64 s[8:9], s[12:13]
; %bb.3962:
	s_mov_b32 s10, 0x7f800001
	s_xor_b64 s[4:5], exec, -1
; %bb.3963:
	s_or_b64 exec, exec, s[8:9]
	s_and_b64 s[4:5], s[4:5], exec
	s_or_saveexec_b64 s[6:7], s[6:7]
	v_mov_b32_e32 v8, s10
	s_xor_b64 exec, exec, s[6:7]
	s_cbranch_execz .LBB36_1914
.LBB36_3964:
	v_mov_b32_e32 v8, 0
	v_cmp_ne_u16_sdwa s[8:9], v15, v8 src0_sel:BYTE_3 src1_sel:DWORD
	s_andn2_b64 s[4:5], s[4:5], exec
	s_and_b64 s[8:9], s[8:9], exec
	s_or_b64 s[4:5], s[4:5], s[8:9]
	s_or_b64 exec, exec, s[6:7]
	s_and_saveexec_b64 s[6:7], s[4:5]
	s_cbranch_execnz .LBB36_1915
	s_branch .LBB36_1916
.LBB36_3965:
	s_movk_i32 s4, 0x80
	v_cmp_eq_u16_sdwa s[12:13], v11, s4 src0_sel:BYTE_3 src1_sel:DWORD
	s_mov_b64 s[4:5], -1
                                        ; implicit-def: $sgpr10
	s_and_saveexec_b64 s[8:9], s[12:13]
; %bb.3966:
	s_mov_b32 s10, 0x7f800001
	s_xor_b64 s[4:5], exec, -1
; %bb.3967:
	s_or_b64 exec, exec, s[8:9]
	s_and_b64 s[4:5], s[4:5], exec
	s_or_saveexec_b64 s[6:7], s[6:7]
	v_mov_b32_e32 v9, s10
	s_xor_b64 exec, exec, s[6:7]
	s_cbranch_execz .LBB36_1918
.LBB36_3968:
	v_mov_b32_e32 v9, 0
	v_cmp_ne_u16_sdwa s[8:9], v11, v9 src0_sel:BYTE_3 src1_sel:DWORD
	s_andn2_b64 s[4:5], s[4:5], exec
	s_and_b64 s[8:9], s[8:9], exec
	s_or_b64 s[4:5], s[4:5], s[8:9]
	s_or_b64 exec, exec, s[6:7]
	s_and_saveexec_b64 s[6:7], s[4:5]
	s_cbranch_execnz .LBB36_1919
	s_branch .LBB36_1920
.LBB36_3969:
	s_movk_i32 s4, 0x80
	v_cmp_eq_u16_sdwa s[12:13], v4, s4 src0_sel:BYTE_0 src1_sel:DWORD
	s_mov_b64 s[4:5], -1
                                        ; implicit-def: $sgpr10
	s_and_saveexec_b64 s[8:9], s[12:13]
; %bb.3970:
	s_mov_b32 s10, 0x7f800001
	s_xor_b64 s[4:5], exec, -1
; %bb.3971:
	s_or_b64 exec, exec, s[8:9]
	s_and_b64 s[4:5], s[4:5], exec
	s_or_saveexec_b64 s[6:7], s[6:7]
	v_mov_b32_e32 v8, s10
	s_xor_b64 exec, exec, s[6:7]
	s_cbranch_execz .LBB36_1922
.LBB36_3972:
	v_mov_b32_e32 v8, 0
	v_cmp_ne_u16_sdwa s[8:9], v4, v8 src0_sel:BYTE_0 src1_sel:DWORD
	s_andn2_b64 s[4:5], s[4:5], exec
	s_and_b64 s[8:9], s[8:9], exec
	s_or_b64 s[4:5], s[4:5], s[8:9]
	s_or_b64 exec, exec, s[6:7]
	s_and_saveexec_b64 s[6:7], s[4:5]
	s_cbranch_execnz .LBB36_1923
	s_branch .LBB36_1924
.LBB36_3973:
	s_movk_i32 s4, 0x80
	v_cmp_eq_u16_sdwa s[12:13], v0, s4 src0_sel:BYTE_0 src1_sel:DWORD
	s_mov_b64 s[4:5], -1
                                        ; implicit-def: $sgpr10
	s_and_saveexec_b64 s[8:9], s[12:13]
; %bb.3974:
	s_mov_b32 s10, 0x7f800001
	s_xor_b64 s[4:5], exec, -1
; %bb.3975:
	s_or_b64 exec, exec, s[8:9]
	s_and_b64 s[4:5], s[4:5], exec
	s_or_saveexec_b64 s[6:7], s[6:7]
	v_mov_b32_e32 v9, s10
	s_xor_b64 exec, exec, s[6:7]
	s_cbranch_execz .LBB36_1926
.LBB36_3976:
	v_mov_b32_e32 v9, 0
	v_cmp_ne_u16_sdwa s[8:9], v0, v9 src0_sel:BYTE_0 src1_sel:DWORD
	s_andn2_b64 s[4:5], s[4:5], exec
	s_and_b64 s[8:9], s[8:9], exec
	s_or_b64 s[4:5], s[4:5], s[8:9]
	s_or_b64 exec, exec, s[6:7]
	s_and_saveexec_b64 s[6:7], s[4:5]
	s_cbranch_execnz .LBB36_1927
	s_branch .LBB36_1928
.LBB36_3977:
	s_movk_i32 s4, 0x80
	v_cmp_eq_u16_sdwa s[12:13], v9, s4 src0_sel:BYTE_0 src1_sel:DWORD
	s_mov_b64 s[4:5], -1
                                        ; implicit-def: $sgpr10
	s_and_saveexec_b64 s[8:9], s[12:13]
; %bb.3978:
	s_mov_b32 s10, 0x7f800001
	s_xor_b64 s[4:5], exec, -1
; %bb.3979:
	s_or_b64 exec, exec, s[8:9]
	s_and_b64 s[4:5], s[4:5], exec
	s_or_saveexec_b64 s[6:7], s[6:7]
	v_mov_b32_e32 v8, s10
	s_xor_b64 exec, exec, s[6:7]
	s_cbranch_execz .LBB36_1930
.LBB36_3980:
	v_mov_b32_e32 v8, 0
	v_cmp_ne_u16_sdwa s[8:9], v9, v8 src0_sel:BYTE_0 src1_sel:DWORD
	s_andn2_b64 s[4:5], s[4:5], exec
	s_and_b64 s[8:9], s[8:9], exec
	s_or_b64 s[4:5], s[4:5], s[8:9]
	s_or_b64 exec, exec, s[6:7]
	s_and_saveexec_b64 s[6:7], s[4:5]
	s_cbranch_execnz .LBB36_1931
	s_branch .LBB36_1932
.LBB36_3981:
	s_movk_i32 s4, 0x80
	v_cmp_eq_u16_sdwa s[12:13], v9, s4 src0_sel:BYTE_0 src1_sel:DWORD
	s_mov_b64 s[4:5], -1
                                        ; implicit-def: $sgpr10
	s_and_saveexec_b64 s[8:9], s[12:13]
; %bb.3982:
	s_mov_b32 s10, 0x7f800001
	s_xor_b64 s[4:5], exec, -1
; %bb.3983:
	s_or_b64 exec, exec, s[8:9]
	s_and_b64 s[4:5], s[4:5], exec
	s_or_saveexec_b64 s[6:7], s[6:7]
	v_mov_b32_e32 v10, s10
	s_xor_b64 exec, exec, s[6:7]
	s_cbranch_execz .LBB36_1934
.LBB36_3984:
	v_mov_b32_e32 v10, 0
	v_cmp_ne_u16_sdwa s[8:9], v9, v10 src0_sel:BYTE_0 src1_sel:DWORD
	s_andn2_b64 s[4:5], s[4:5], exec
	s_and_b64 s[8:9], s[8:9], exec
	s_or_b64 s[4:5], s[4:5], s[8:9]
	s_or_b64 exec, exec, s[6:7]
	s_and_saveexec_b64 s[6:7], s[4:5]
	s_cbranch_execnz .LBB36_1935
	s_branch .LBB36_1936
.LBB36_3985:
	s_movk_i32 s4, 0x80
	v_cmp_eq_u16_e32 vcc, s4, v9
	s_mov_b64 s[4:5], -1
                                        ; implicit-def: $sgpr10
	s_and_saveexec_b64 s[8:9], vcc
; %bb.3986:
	s_mov_b32 s10, 0x7f800001
	s_xor_b64 s[4:5], exec, -1
; %bb.3987:
	s_or_b64 exec, exec, s[8:9]
	s_and_b64 s[4:5], s[4:5], exec
                                        ; implicit-def: $vgpr9
	s_or_saveexec_b64 s[6:7], s[6:7]
	v_mov_b32_e32 v8, s10
	s_xor_b64 exec, exec, s[6:7]
	s_cbranch_execz .LBB36_1938
.LBB36_3988:
	v_cmp_ne_u16_e32 vcc, 0, v9
	s_andn2_b64 s[4:5], s[4:5], exec
	s_and_b64 s[8:9], vcc, exec
	v_mov_b32_e32 v8, 0
	s_or_b64 s[4:5], s[4:5], s[8:9]
	s_or_b64 exec, exec, s[6:7]
	s_and_saveexec_b64 s[6:7], s[4:5]
	s_cbranch_execnz .LBB36_1939
	s_branch .LBB36_1940
.LBB36_3989:
	s_movk_i32 s4, 0x80
	v_cmp_eq_u16_e32 vcc, s4, v9
	s_mov_b64 s[4:5], -1
                                        ; implicit-def: $sgpr10
	s_and_saveexec_b64 s[8:9], vcc
; %bb.3990:
	s_mov_b32 s10, 0x7f800001
	s_xor_b64 s[4:5], exec, -1
; %bb.3991:
	s_or_b64 exec, exec, s[8:9]
	s_and_b64 s[4:5], s[4:5], exec
                                        ; implicit-def: $vgpr9
	s_or_saveexec_b64 s[6:7], s[6:7]
	v_mov_b32_e32 v10, s10
	s_xor_b64 exec, exec, s[6:7]
	s_cbranch_execz .LBB36_1942
.LBB36_3992:
	v_cmp_ne_u16_e32 vcc, 0, v9
	s_andn2_b64 s[4:5], s[4:5], exec
	s_and_b64 s[8:9], vcc, exec
	v_mov_b32_e32 v10, 0
	s_or_b64 s[4:5], s[4:5], s[8:9]
	s_or_b64 exec, exec, s[6:7]
	s_and_saveexec_b64 s[6:7], s[4:5]
	s_cbranch_execnz .LBB36_1943
	s_branch .LBB36_1944
.LBB36_3993:
	s_movk_i32 s4, 0x80
	v_cmp_eq_u16_sdwa s[12:13], v4, s4 src0_sel:BYTE_3 src1_sel:DWORD
	s_mov_b64 s[4:5], -1
                                        ; implicit-def: $sgpr10
	s_and_saveexec_b64 s[8:9], s[12:13]
; %bb.3994:
	s_mov_b32 s10, 0x7f800001
	s_xor_b64 s[4:5], exec, -1
; %bb.3995:
	s_or_b64 exec, exec, s[8:9]
	s_and_b64 s[4:5], s[4:5], exec
	s_or_saveexec_b64 s[6:7], s[6:7]
	v_mov_b32_e32 v8, s10
	s_xor_b64 exec, exec, s[6:7]
	s_cbranch_execz .LBB36_1946
.LBB36_3996:
	v_mov_b32_e32 v8, 0
	v_cmp_ne_u16_sdwa s[8:9], v4, v8 src0_sel:BYTE_3 src1_sel:DWORD
	s_andn2_b64 s[4:5], s[4:5], exec
	s_and_b64 s[8:9], s[8:9], exec
	s_or_b64 s[4:5], s[4:5], s[8:9]
	s_or_b64 exec, exec, s[6:7]
	s_and_saveexec_b64 s[6:7], s[4:5]
	s_cbranch_execnz .LBB36_1947
	s_branch .LBB36_1948
.LBB36_3997:
	s_movk_i32 s4, 0x80
	v_cmp_eq_u16_sdwa s[12:13], v0, s4 src0_sel:BYTE_3 src1_sel:DWORD
	s_mov_b64 s[4:5], -1
                                        ; implicit-def: $sgpr10
	s_and_saveexec_b64 s[8:9], s[12:13]
; %bb.3998:
	s_mov_b32 s10, 0x7f800001
	s_xor_b64 s[4:5], exec, -1
; %bb.3999:
	s_or_b64 exec, exec, s[8:9]
	s_and_b64 s[4:5], s[4:5], exec
	s_or_saveexec_b64 s[6:7], s[6:7]
	v_mov_b32_e32 v4, s10
	s_xor_b64 exec, exec, s[6:7]
	s_cbranch_execz .LBB36_1950
.LBB36_4000:
	v_mov_b32_e32 v4, 0
	v_cmp_ne_u16_sdwa s[8:9], v0, v4 src0_sel:BYTE_3 src1_sel:DWORD
	s_andn2_b64 s[4:5], s[4:5], exec
	s_and_b64 s[8:9], s[8:9], exec
	s_or_b64 s[4:5], s[4:5], s[8:9]
	s_or_b64 exec, exec, s[6:7]
	s_and_saveexec_b64 s[6:7], s[4:5]
	s_cbranch_execnz .LBB36_1951
	s_branch .LBB36_1952
.LBB36_4001:
	s_movk_i32 s4, 0x80
	v_cmp_eq_u16_sdwa s[12:13], v5, s4 src0_sel:BYTE_0 src1_sel:DWORD
	s_mov_b64 s[4:5], -1
                                        ; implicit-def: $sgpr10
	s_and_saveexec_b64 s[8:9], s[12:13]
; %bb.4002:
	s_mov_b32 s10, 0x7f800001
	s_xor_b64 s[4:5], exec, -1
; %bb.4003:
	s_or_b64 exec, exec, s[8:9]
	s_and_b64 s[4:5], s[4:5], exec
	s_or_saveexec_b64 s[6:7], s[6:7]
	v_mov_b32_e32 v0, s10
	s_xor_b64 exec, exec, s[6:7]
	s_cbranch_execz .LBB36_1954
.LBB36_4004:
	v_mov_b32_e32 v0, 0
	v_cmp_ne_u16_sdwa s[8:9], v5, v0 src0_sel:BYTE_0 src1_sel:DWORD
	s_andn2_b64 s[4:5], s[4:5], exec
	s_and_b64 s[8:9], s[8:9], exec
	s_or_b64 s[4:5], s[4:5], s[8:9]
	s_or_b64 exec, exec, s[6:7]
	s_and_saveexec_b64 s[6:7], s[4:5]
	s_cbranch_execnz .LBB36_1955
	s_branch .LBB36_1956
.LBB36_4005:
	s_movk_i32 s4, 0x80
	v_cmp_eq_u16_sdwa s[12:13], v1, s4 src0_sel:BYTE_0 src1_sel:DWORD
	s_mov_b64 s[4:5], -1
                                        ; implicit-def: $sgpr10
	s_and_saveexec_b64 s[8:9], s[12:13]
; %bb.4006:
	s_mov_b32 s10, 0x7f800001
	s_xor_b64 s[4:5], exec, -1
; %bb.4007:
	s_or_b64 exec, exec, s[8:9]
	s_and_b64 s[4:5], s[4:5], exec
	s_or_saveexec_b64 s[6:7], s[6:7]
	v_mov_b32_e32 v4, s10
	s_xor_b64 exec, exec, s[6:7]
	s_cbranch_execz .LBB36_1958
.LBB36_4008:
	v_mov_b32_e32 v4, 0
	v_cmp_ne_u16_sdwa s[8:9], v1, v4 src0_sel:BYTE_0 src1_sel:DWORD
	s_andn2_b64 s[4:5], s[4:5], exec
	s_and_b64 s[8:9], s[8:9], exec
	s_or_b64 s[4:5], s[4:5], s[8:9]
	s_or_b64 exec, exec, s[6:7]
	s_and_saveexec_b64 s[6:7], s[4:5]
	s_cbranch_execnz .LBB36_1959
	s_branch .LBB36_1960
.LBB36_4009:
	s_movk_i32 s4, 0x80
	v_cmp_eq_u16_sdwa s[12:13], v4, s4 src0_sel:BYTE_0 src1_sel:DWORD
	s_mov_b64 s[4:5], -1
                                        ; implicit-def: $sgpr10
	s_and_saveexec_b64 s[8:9], s[12:13]
; %bb.4010:
	s_mov_b32 s10, 0x7f800001
	s_xor_b64 s[4:5], exec, -1
; %bb.4011:
	s_or_b64 exec, exec, s[8:9]
	s_and_b64 s[4:5], s[4:5], exec
	s_or_saveexec_b64 s[6:7], s[6:7]
	v_mov_b32_e32 v0, s10
	s_xor_b64 exec, exec, s[6:7]
	s_cbranch_execz .LBB36_1962
.LBB36_4012:
	v_mov_b32_e32 v0, 0
	v_cmp_ne_u16_sdwa s[8:9], v4, v0 src0_sel:BYTE_0 src1_sel:DWORD
	s_andn2_b64 s[4:5], s[4:5], exec
	s_and_b64 s[8:9], s[8:9], exec
	s_or_b64 s[4:5], s[4:5], s[8:9]
	s_or_b64 exec, exec, s[6:7]
	s_and_saveexec_b64 s[6:7], s[4:5]
	s_cbranch_execnz .LBB36_1963
	s_branch .LBB36_1964
.LBB36_4013:
	s_movk_i32 s4, 0x80
	v_cmp_eq_u16_sdwa s[12:13], v4, s4 src0_sel:BYTE_0 src1_sel:DWORD
	s_mov_b64 s[4:5], -1
                                        ; implicit-def: $sgpr10
	s_and_saveexec_b64 s[8:9], s[12:13]
; %bb.4014:
	s_mov_b32 s10, 0x7f800001
	s_xor_b64 s[4:5], exec, -1
; %bb.4015:
	s_or_b64 exec, exec, s[8:9]
	s_and_b64 s[4:5], s[4:5], exec
	s_or_saveexec_b64 s[6:7], s[6:7]
	v_mov_b32_e32 v8, s10
	s_xor_b64 exec, exec, s[6:7]
	s_cbranch_execz .LBB36_1966
.LBB36_4016:
	v_mov_b32_e32 v8, 0
	v_cmp_ne_u16_sdwa s[8:9], v4, v8 src0_sel:BYTE_0 src1_sel:DWORD
	s_andn2_b64 s[4:5], s[4:5], exec
	s_and_b64 s[8:9], s[8:9], exec
	s_or_b64 s[4:5], s[4:5], s[8:9]
	s_or_b64 exec, exec, s[6:7]
	s_and_saveexec_b64 s[6:7], s[4:5]
	s_cbranch_execnz .LBB36_1967
	s_branch .LBB36_1968
.LBB36_4017:
	s_movk_i32 s4, 0x80
	v_cmp_eq_u16_e32 vcc, s4, v4
	s_mov_b64 s[4:5], -1
                                        ; implicit-def: $sgpr10
	s_and_saveexec_b64 s[8:9], vcc
; %bb.4018:
	s_mov_b32 s10, 0x7f800001
	s_xor_b64 s[4:5], exec, -1
; %bb.4019:
	s_or_b64 exec, exec, s[8:9]
	s_and_b64 s[4:5], s[4:5], exec
                                        ; implicit-def: $vgpr4
	s_or_saveexec_b64 s[6:7], s[6:7]
	v_mov_b32_e32 v0, s10
	s_xor_b64 exec, exec, s[6:7]
	s_cbranch_execz .LBB36_1970
.LBB36_4020:
	v_cmp_ne_u16_e32 vcc, 0, v4
	s_andn2_b64 s[4:5], s[4:5], exec
	s_and_b64 s[8:9], vcc, exec
	v_mov_b32_e32 v0, 0
	s_or_b64 s[4:5], s[4:5], s[8:9]
	s_or_b64 exec, exec, s[6:7]
	s_and_saveexec_b64 s[6:7], s[4:5]
	s_cbranch_execnz .LBB36_1971
	s_branch .LBB36_1972
.LBB36_4021:
	s_movk_i32 s4, 0x80
	v_cmp_eq_u16_e32 vcc, s4, v4
	s_mov_b64 s[4:5], -1
                                        ; implicit-def: $sgpr10
	s_and_saveexec_b64 s[8:9], vcc
; %bb.4022:
	s_mov_b32 s10, 0x7f800001
	s_xor_b64 s[4:5], exec, -1
; %bb.4023:
	s_or_b64 exec, exec, s[8:9]
	s_and_b64 s[4:5], s[4:5], exec
                                        ; implicit-def: $vgpr4
	s_or_saveexec_b64 s[6:7], s[6:7]
	v_mov_b32_e32 v8, s10
	s_xor_b64 exec, exec, s[6:7]
	s_cbranch_execz .LBB36_1974
.LBB36_4024:
	v_cmp_ne_u16_e32 vcc, 0, v4
	s_andn2_b64 s[4:5], s[4:5], exec
	s_and_b64 s[8:9], vcc, exec
	v_mov_b32_e32 v8, 0
	s_or_b64 s[4:5], s[4:5], s[8:9]
	s_or_b64 exec, exec, s[6:7]
	s_and_saveexec_b64 s[6:7], s[4:5]
	s_cbranch_execnz .LBB36_1975
	s_branch .LBB36_1976
.LBB36_4025:
	s_movk_i32 s4, 0x80
	v_cmp_eq_u16_sdwa s[12:13], v5, s4 src0_sel:BYTE_3 src1_sel:DWORD
	s_mov_b64 s[4:5], -1
                                        ; implicit-def: $sgpr10
	s_and_saveexec_b64 s[8:9], s[12:13]
; %bb.4026:
	s_mov_b32 s10, 0x7f800001
	s_xor_b64 s[4:5], exec, -1
; %bb.4027:
	s_or_b64 exec, exec, s[8:9]
	s_and_b64 s[4:5], s[4:5], exec
	s_or_saveexec_b64 s[6:7], s[6:7]
	v_mov_b32_e32 v0, s10
	s_xor_b64 exec, exec, s[6:7]
	s_cbranch_execz .LBB36_1978
.LBB36_4028:
	v_mov_b32_e32 v0, 0
	v_cmp_ne_u16_sdwa s[8:9], v5, v0 src0_sel:BYTE_3 src1_sel:DWORD
	s_andn2_b64 s[4:5], s[4:5], exec
	s_and_b64 s[8:9], s[8:9], exec
	s_or_b64 s[4:5], s[4:5], s[8:9]
	s_or_b64 exec, exec, s[6:7]
	s_and_saveexec_b64 s[6:7], s[4:5]
	s_cbranch_execnz .LBB36_1979
	s_branch .LBB36_1980
.LBB36_4029:
	s_movk_i32 s4, 0x80
	v_cmp_eq_u16_sdwa s[12:13], v1, s4 src0_sel:BYTE_3 src1_sel:DWORD
	s_mov_b64 s[4:5], -1
                                        ; implicit-def: $sgpr10
	s_and_saveexec_b64 s[8:9], s[12:13]
; %bb.4030:
	s_mov_b32 s10, 0x7f800001
	s_xor_b64 s[4:5], exec, -1
; %bb.4031:
	s_or_b64 exec, exec, s[8:9]
	s_and_b64 s[4:5], s[4:5], exec
	s_or_saveexec_b64 s[6:7], s[6:7]
	v_mov_b32_e32 v4, s10
	s_xor_b64 exec, exec, s[6:7]
	s_cbranch_execz .LBB36_1982
.LBB36_4032:
	v_mov_b32_e32 v4, 0
	v_cmp_ne_u16_sdwa s[8:9], v1, v4 src0_sel:BYTE_3 src1_sel:DWORD
	s_andn2_b64 s[4:5], s[4:5], exec
	s_and_b64 s[8:9], s[8:9], exec
	s_or_b64 s[4:5], s[4:5], s[8:9]
	s_or_b64 exec, exec, s[6:7]
	s_and_saveexec_b64 s[6:7], s[4:5]
	s_cbranch_execnz .LBB36_1983
	s_branch .LBB36_1984
.LBB36_4033:
	s_movk_i32 s4, 0x80
	v_cmp_eq_u16_sdwa s[12:13], v6, s4 src0_sel:BYTE_0 src1_sel:DWORD
	s_mov_b64 s[4:5], -1
                                        ; implicit-def: $sgpr10
	s_and_saveexec_b64 s[8:9], s[12:13]
; %bb.4034:
	s_mov_b32 s10, 0x7f800001
	s_xor_b64 s[4:5], exec, -1
; %bb.4035:
	s_or_b64 exec, exec, s[8:9]
	s_and_b64 s[4:5], s[4:5], exec
	s_or_saveexec_b64 s[6:7], s[6:7]
	v_mov_b32_e32 v0, s10
	s_xor_b64 exec, exec, s[6:7]
	s_cbranch_execz .LBB36_1986
.LBB36_4036:
	v_mov_b32_e32 v0, 0
	v_cmp_ne_u16_sdwa s[8:9], v6, v0 src0_sel:BYTE_0 src1_sel:DWORD
	s_andn2_b64 s[4:5], s[4:5], exec
	s_and_b64 s[8:9], s[8:9], exec
	s_or_b64 s[4:5], s[4:5], s[8:9]
	s_or_b64 exec, exec, s[6:7]
	s_and_saveexec_b64 s[6:7], s[4:5]
	s_cbranch_execnz .LBB36_1987
	s_branch .LBB36_1988
.LBB36_4037:
	s_movk_i32 s4, 0x80
	v_cmp_eq_u16_sdwa s[12:13], v2, s4 src0_sel:BYTE_0 src1_sel:DWORD
	s_mov_b64 s[4:5], -1
                                        ; implicit-def: $sgpr10
	s_and_saveexec_b64 s[8:9], s[12:13]
; %bb.4038:
	s_mov_b32 s10, 0x7f800001
	s_xor_b64 s[4:5], exec, -1
; %bb.4039:
	s_or_b64 exec, exec, s[8:9]
	s_and_b64 s[4:5], s[4:5], exec
	s_or_saveexec_b64 s[6:7], s[6:7]
	v_mov_b32_e32 v1, s10
	s_xor_b64 exec, exec, s[6:7]
	s_cbranch_execz .LBB36_1990
.LBB36_4040:
	v_mov_b32_e32 v1, 0
	v_cmp_ne_u16_sdwa s[8:9], v2, v1 src0_sel:BYTE_0 src1_sel:DWORD
	s_andn2_b64 s[4:5], s[4:5], exec
	s_and_b64 s[8:9], s[8:9], exec
	s_or_b64 s[4:5], s[4:5], s[8:9]
	s_or_b64 exec, exec, s[6:7]
	s_and_saveexec_b64 s[6:7], s[4:5]
	s_cbranch_execnz .LBB36_1991
	s_branch .LBB36_1992
.LBB36_4041:
	s_movk_i32 s4, 0x80
	v_cmp_eq_u16_sdwa s[12:13], v1, s4 src0_sel:BYTE_0 src1_sel:DWORD
	s_mov_b64 s[4:5], -1
                                        ; implicit-def: $sgpr10
	s_and_saveexec_b64 s[8:9], s[12:13]
; %bb.4042:
	s_mov_b32 s10, 0x7f800001
	s_xor_b64 s[4:5], exec, -1
; %bb.4043:
	s_or_b64 exec, exec, s[8:9]
	s_and_b64 s[4:5], s[4:5], exec
	s_or_saveexec_b64 s[6:7], s[6:7]
	v_mov_b32_e32 v0, s10
	s_xor_b64 exec, exec, s[6:7]
	s_cbranch_execz .LBB36_1994
.LBB36_4044:
	v_mov_b32_e32 v0, 0
	v_cmp_ne_u16_sdwa s[8:9], v1, v0 src0_sel:BYTE_0 src1_sel:DWORD
	s_andn2_b64 s[4:5], s[4:5], exec
	s_and_b64 s[8:9], s[8:9], exec
	s_or_b64 s[4:5], s[4:5], s[8:9]
	s_or_b64 exec, exec, s[6:7]
	s_and_saveexec_b64 s[6:7], s[4:5]
	s_cbranch_execnz .LBB36_1995
	s_branch .LBB36_1996
.LBB36_4045:
	s_movk_i32 s4, 0x80
	v_cmp_eq_u16_sdwa s[12:13], v1, s4 src0_sel:BYTE_0 src1_sel:DWORD
	s_mov_b64 s[4:5], -1
                                        ; implicit-def: $sgpr10
	s_and_saveexec_b64 s[8:9], s[12:13]
; %bb.4046:
	s_mov_b32 s10, 0x7f800001
	s_xor_b64 s[4:5], exec, -1
; %bb.4047:
	s_or_b64 exec, exec, s[8:9]
	s_and_b64 s[4:5], s[4:5], exec
	s_or_saveexec_b64 s[6:7], s[6:7]
	v_mov_b32_e32 v4, s10
	s_xor_b64 exec, exec, s[6:7]
	s_cbranch_execz .LBB36_1998
.LBB36_4048:
	v_mov_b32_e32 v4, 0
	v_cmp_ne_u16_sdwa s[8:9], v1, v4 src0_sel:BYTE_0 src1_sel:DWORD
	s_andn2_b64 s[4:5], s[4:5], exec
	s_and_b64 s[8:9], s[8:9], exec
	s_or_b64 s[4:5], s[4:5], s[8:9]
	s_or_b64 exec, exec, s[6:7]
	s_and_saveexec_b64 s[6:7], s[4:5]
	s_cbranch_execnz .LBB36_1999
	s_branch .LBB36_2000
.LBB36_4049:
	s_movk_i32 s4, 0x80
	v_cmp_eq_u16_e32 vcc, s4, v1
	s_mov_b64 s[4:5], -1
                                        ; implicit-def: $sgpr10
	s_and_saveexec_b64 s[8:9], vcc
; %bb.4050:
	s_mov_b32 s10, 0x7f800001
	s_xor_b64 s[4:5], exec, -1
; %bb.4051:
	s_or_b64 exec, exec, s[8:9]
	s_and_b64 s[4:5], s[4:5], exec
                                        ; implicit-def: $vgpr1
	s_or_saveexec_b64 s[6:7], s[6:7]
	v_mov_b32_e32 v0, s10
	s_xor_b64 exec, exec, s[6:7]
	s_cbranch_execz .LBB36_2002
.LBB36_4052:
	v_cmp_ne_u16_e32 vcc, 0, v1
	s_andn2_b64 s[4:5], s[4:5], exec
	s_and_b64 s[8:9], vcc, exec
	v_mov_b32_e32 v0, 0
	s_or_b64 s[4:5], s[4:5], s[8:9]
	s_or_b64 exec, exec, s[6:7]
	s_and_saveexec_b64 s[6:7], s[4:5]
	s_cbranch_execnz .LBB36_2003
	s_branch .LBB36_2004
.LBB36_4053:
	s_movk_i32 s4, 0x80
	v_cmp_eq_u16_e32 vcc, s4, v1
	s_mov_b64 s[4:5], -1
                                        ; implicit-def: $sgpr10
	s_and_saveexec_b64 s[8:9], vcc
; %bb.4054:
	s_mov_b32 s10, 0x7f800001
	s_xor_b64 s[4:5], exec, -1
; %bb.4055:
	s_or_b64 exec, exec, s[8:9]
	s_and_b64 s[4:5], s[4:5], exec
                                        ; implicit-def: $vgpr1
	s_or_saveexec_b64 s[6:7], s[6:7]
	v_mov_b32_e32 v4, s10
	s_xor_b64 exec, exec, s[6:7]
	s_cbranch_execz .LBB36_2006
.LBB36_4056:
	v_cmp_ne_u16_e32 vcc, 0, v1
	s_andn2_b64 s[4:5], s[4:5], exec
	s_and_b64 s[8:9], vcc, exec
	v_mov_b32_e32 v4, 0
	s_or_b64 s[4:5], s[4:5], s[8:9]
	s_or_b64 exec, exec, s[6:7]
	s_and_saveexec_b64 s[6:7], s[4:5]
	s_cbranch_execnz .LBB36_2007
	s_branch .LBB36_2008
.LBB36_4057:
	s_movk_i32 s4, 0x80
	v_cmp_eq_u16_sdwa s[12:13], v6, s4 src0_sel:BYTE_3 src1_sel:DWORD
	s_mov_b64 s[4:5], -1
                                        ; implicit-def: $sgpr10
	s_and_saveexec_b64 s[8:9], s[12:13]
; %bb.4058:
	s_mov_b32 s10, 0x7f800001
	s_xor_b64 s[4:5], exec, -1
; %bb.4059:
	s_or_b64 exec, exec, s[8:9]
	s_and_b64 s[4:5], s[4:5], exec
	s_or_saveexec_b64 s[6:7], s[6:7]
	v_mov_b32_e32 v0, s10
	s_xor_b64 exec, exec, s[6:7]
	s_cbranch_execz .LBB36_2010
.LBB36_4060:
	v_mov_b32_e32 v0, 0
	v_cmp_ne_u16_sdwa s[8:9], v6, v0 src0_sel:BYTE_3 src1_sel:DWORD
	s_andn2_b64 s[4:5], s[4:5], exec
	s_and_b64 s[8:9], s[8:9], exec
	s_or_b64 s[4:5], s[4:5], s[8:9]
	s_or_b64 exec, exec, s[6:7]
	s_and_saveexec_b64 s[6:7], s[4:5]
	s_cbranch_execnz .LBB36_2011
	s_branch .LBB36_2012
.LBB36_4061:
	s_movk_i32 s4, 0x80
	v_cmp_eq_u16_sdwa s[12:13], v2, s4 src0_sel:BYTE_3 src1_sel:DWORD
	s_mov_b64 s[4:5], -1
                                        ; implicit-def: $sgpr10
	s_and_saveexec_b64 s[8:9], s[12:13]
; %bb.4062:
	s_mov_b32 s10, 0x7f800001
	s_xor_b64 s[4:5], exec, -1
; %bb.4063:
	s_or_b64 exec, exec, s[8:9]
	s_and_b64 s[4:5], s[4:5], exec
	s_or_saveexec_b64 s[6:7], s[6:7]
	v_mov_b32_e32 v1, s10
	s_xor_b64 exec, exec, s[6:7]
	s_cbranch_execz .LBB36_2014
.LBB36_4064:
	v_mov_b32_e32 v1, 0
	v_cmp_ne_u16_sdwa s[8:9], v2, v1 src0_sel:BYTE_3 src1_sel:DWORD
	s_andn2_b64 s[4:5], s[4:5], exec
	s_and_b64 s[8:9], s[8:9], exec
	s_or_b64 s[4:5], s[4:5], s[8:9]
	s_or_b64 exec, exec, s[6:7]
	s_and_saveexec_b64 s[6:7], s[4:5]
	s_cbranch_execnz .LBB36_2015
	s_branch .LBB36_2016
.LBB36_4065:
	s_movk_i32 s4, 0x80
	v_cmp_eq_u16_sdwa s[12:13], v7, s4 src0_sel:BYTE_0 src1_sel:DWORD
	s_mov_b64 s[4:5], -1
                                        ; implicit-def: $sgpr10
	s_and_saveexec_b64 s[8:9], s[12:13]
; %bb.4066:
	s_mov_b32 s10, 0x7f800001
	s_xor_b64 s[4:5], exec, -1
; %bb.4067:
	s_or_b64 exec, exec, s[8:9]
	s_and_b64 s[4:5], s[4:5], exec
	s_or_saveexec_b64 s[6:7], s[6:7]
	v_mov_b32_e32 v0, s10
	s_xor_b64 exec, exec, s[6:7]
	s_cbranch_execz .LBB36_2018
.LBB36_4068:
	v_mov_b32_e32 v0, 0
	v_cmp_ne_u16_sdwa s[8:9], v7, v0 src0_sel:BYTE_0 src1_sel:DWORD
	s_andn2_b64 s[4:5], s[4:5], exec
	s_and_b64 s[8:9], s[8:9], exec
	s_or_b64 s[4:5], s[4:5], s[8:9]
	s_or_b64 exec, exec, s[6:7]
	s_and_saveexec_b64 s[6:7], s[4:5]
	s_cbranch_execnz .LBB36_2019
	s_branch .LBB36_2020
.LBB36_4069:
	s_movk_i32 s4, 0x80
	v_cmp_eq_u16_sdwa s[12:13], v3, s4 src0_sel:BYTE_0 src1_sel:DWORD
	s_mov_b64 s[4:5], -1
                                        ; implicit-def: $sgpr10
	s_and_saveexec_b64 s[8:9], s[12:13]
; %bb.4070:
	s_mov_b32 s10, 0x7f800001
	s_xor_b64 s[4:5], exec, -1
; %bb.4071:
	s_or_b64 exec, exec, s[8:9]
	s_and_b64 s[4:5], s[4:5], exec
	s_or_saveexec_b64 s[6:7], s[6:7]
	v_mov_b32_e32 v1, s10
	s_xor_b64 exec, exec, s[6:7]
	s_cbranch_execz .LBB36_2022
.LBB36_4072:
	v_mov_b32_e32 v1, 0
	v_cmp_ne_u16_sdwa s[8:9], v3, v1 src0_sel:BYTE_0 src1_sel:DWORD
	s_andn2_b64 s[4:5], s[4:5], exec
	s_and_b64 s[8:9], s[8:9], exec
	s_or_b64 s[4:5], s[4:5], s[8:9]
	s_or_b64 exec, exec, s[6:7]
	s_and_saveexec_b64 s[6:7], s[4:5]
	s_cbranch_execnz .LBB36_2023
	s_branch .LBB36_2024
.LBB36_4073:
	s_movk_i32 s4, 0x80
	v_cmp_eq_u16_sdwa s[12:13], v1, s4 src0_sel:BYTE_0 src1_sel:DWORD
	s_mov_b64 s[4:5], -1
                                        ; implicit-def: $sgpr10
	s_and_saveexec_b64 s[8:9], s[12:13]
; %bb.4074:
	s_mov_b32 s10, 0x7f800001
	s_xor_b64 s[4:5], exec, -1
; %bb.4075:
	s_or_b64 exec, exec, s[8:9]
	s_and_b64 s[4:5], s[4:5], exec
	s_or_saveexec_b64 s[6:7], s[6:7]
	v_mov_b32_e32 v0, s10
	s_xor_b64 exec, exec, s[6:7]
	s_cbranch_execz .LBB36_2026
.LBB36_4076:
	v_mov_b32_e32 v0, 0
	v_cmp_ne_u16_sdwa s[8:9], v1, v0 src0_sel:BYTE_0 src1_sel:DWORD
	s_andn2_b64 s[4:5], s[4:5], exec
	s_and_b64 s[8:9], s[8:9], exec
	s_or_b64 s[4:5], s[4:5], s[8:9]
	s_or_b64 exec, exec, s[6:7]
	s_and_saveexec_b64 s[6:7], s[4:5]
	s_cbranch_execnz .LBB36_2027
	s_branch .LBB36_2028
.LBB36_4077:
	s_movk_i32 s4, 0x80
	v_cmp_eq_u16_sdwa s[12:13], v1, s4 src0_sel:BYTE_0 src1_sel:DWORD
	s_mov_b64 s[4:5], -1
                                        ; implicit-def: $sgpr10
	s_and_saveexec_b64 s[8:9], s[12:13]
; %bb.4078:
	s_mov_b32 s10, 0x7f800001
	s_xor_b64 s[4:5], exec, -1
; %bb.4079:
	s_or_b64 exec, exec, s[8:9]
	s_and_b64 s[4:5], s[4:5], exec
	s_or_saveexec_b64 s[6:7], s[6:7]
	v_mov_b32_e32 v2, s10
	s_xor_b64 exec, exec, s[6:7]
	s_cbranch_execz .LBB36_2030
.LBB36_4080:
	v_mov_b32_e32 v2, 0
	v_cmp_ne_u16_sdwa s[8:9], v1, v2 src0_sel:BYTE_0 src1_sel:DWORD
	s_andn2_b64 s[4:5], s[4:5], exec
	s_and_b64 s[8:9], s[8:9], exec
	s_or_b64 s[4:5], s[4:5], s[8:9]
	s_or_b64 exec, exec, s[6:7]
	s_and_saveexec_b64 s[6:7], s[4:5]
	s_cbranch_execnz .LBB36_2031
	s_branch .LBB36_2032
.LBB36_4081:
	s_movk_i32 s4, 0x80
	v_cmp_eq_u16_e32 vcc, s4, v1
	s_mov_b64 s[4:5], -1
                                        ; implicit-def: $sgpr10
	s_and_saveexec_b64 s[8:9], vcc
; %bb.4082:
	s_mov_b32 s10, 0x7f800001
	s_xor_b64 s[4:5], exec, -1
; %bb.4083:
	s_or_b64 exec, exec, s[8:9]
	s_and_b64 s[4:5], s[4:5], exec
                                        ; implicit-def: $vgpr1
	s_or_saveexec_b64 s[6:7], s[6:7]
	v_mov_b32_e32 v0, s10
	s_xor_b64 exec, exec, s[6:7]
	s_cbranch_execz .LBB36_2034
.LBB36_4084:
	v_cmp_ne_u16_e32 vcc, 0, v1
	s_andn2_b64 s[4:5], s[4:5], exec
	s_and_b64 s[8:9], vcc, exec
	v_mov_b32_e32 v0, 0
	s_or_b64 s[4:5], s[4:5], s[8:9]
	s_or_b64 exec, exec, s[6:7]
	s_and_saveexec_b64 s[6:7], s[4:5]
	s_cbranch_execnz .LBB36_2035
	s_branch .LBB36_2036
.LBB36_4085:
	s_movk_i32 s4, 0x80
	v_cmp_eq_u16_e32 vcc, s4, v1
	s_mov_b64 s[4:5], -1
                                        ; implicit-def: $sgpr10
	s_and_saveexec_b64 s[8:9], vcc
; %bb.4086:
	s_mov_b32 s10, 0x7f800001
	s_xor_b64 s[4:5], exec, -1
; %bb.4087:
	s_or_b64 exec, exec, s[8:9]
	s_and_b64 s[4:5], s[4:5], exec
                                        ; implicit-def: $vgpr1
	s_or_saveexec_b64 s[6:7], s[6:7]
	v_mov_b32_e32 v2, s10
	s_xor_b64 exec, exec, s[6:7]
	s_cbranch_execz .LBB36_2038
.LBB36_4088:
	v_cmp_ne_u16_e32 vcc, 0, v1
	s_andn2_b64 s[4:5], s[4:5], exec
	s_and_b64 s[8:9], vcc, exec
	v_mov_b32_e32 v2, 0
	s_or_b64 s[4:5], s[4:5], s[8:9]
	s_or_b64 exec, exec, s[6:7]
	s_and_saveexec_b64 s[6:7], s[4:5]
	s_cbranch_execnz .LBB36_2039
	s_branch .LBB36_2040
.LBB36_4089:
	s_movk_i32 s4, 0x80
	v_cmp_eq_u16_sdwa s[12:13], v7, s4 src0_sel:BYTE_3 src1_sel:DWORD
	s_mov_b64 s[4:5], -1
                                        ; implicit-def: $sgpr10
	s_and_saveexec_b64 s[8:9], s[12:13]
; %bb.4090:
	s_mov_b32 s10, 0x7f800001
	s_xor_b64 s[4:5], exec, -1
; %bb.4091:
	s_or_b64 exec, exec, s[8:9]
	s_and_b64 s[4:5], s[4:5], exec
	s_or_saveexec_b64 s[6:7], s[6:7]
	v_mov_b32_e32 v0, s10
	s_xor_b64 exec, exec, s[6:7]
	s_cbranch_execz .LBB36_2042
.LBB36_4092:
	v_mov_b32_e32 v0, 0
	v_cmp_ne_u16_sdwa s[8:9], v7, v0 src0_sel:BYTE_3 src1_sel:DWORD
	s_andn2_b64 s[4:5], s[4:5], exec
	s_and_b64 s[8:9], s[8:9], exec
	s_or_b64 s[4:5], s[4:5], s[8:9]
	s_or_b64 exec, exec, s[6:7]
	s_and_saveexec_b64 s[6:7], s[4:5]
	s_cbranch_execnz .LBB36_2043
	s_branch .LBB36_2044
.LBB36_4093:
	s_movk_i32 s4, 0x80
	v_cmp_eq_u16_sdwa s[12:13], v3, s4 src0_sel:BYTE_3 src1_sel:DWORD
	s_mov_b64 s[4:5], -1
                                        ; implicit-def: $sgpr10
	s_and_saveexec_b64 s[8:9], s[12:13]
; %bb.4094:
	s_mov_b32 s10, 0x7f800001
	s_xor_b64 s[4:5], exec, -1
; %bb.4095:
	s_or_b64 exec, exec, s[8:9]
	s_and_b64 s[4:5], s[4:5], exec
	s_or_saveexec_b64 s[6:7], s[6:7]
	v_mov_b32_e32 v1, s10
	s_xor_b64 exec, exec, s[6:7]
	s_cbranch_execz .LBB36_2046
.LBB36_4096:
	v_mov_b32_e32 v1, 0
	v_cmp_ne_u16_sdwa s[8:9], v3, v1 src0_sel:BYTE_3 src1_sel:DWORD
	s_andn2_b64 s[4:5], s[4:5], exec
	s_and_b64 s[8:9], s[8:9], exec
	s_or_b64 s[4:5], s[4:5], s[8:9]
	s_or_b64 exec, exec, s[6:7]
	s_and_saveexec_b64 s[6:7], s[4:5]
	s_cbranch_execnz .LBB36_2047
	s_branch .LBB36_2048
.Lfunc_end36:
	.size	_ZNK2ck6detail7applierIiJLi0ELi1ELi2ELi3ELi4ELi5ELi6ELi7EEEclIZNKS_11static_fordINS_8SequenceIJLi1ELi8EEEENS5_IJLi0ELi1EEEEEclIZZZNKS_52BlockwiseGemmXdlops_pipeline_bpreshuffle_bdequant_v3ILNS_26BlockGemmPipelineSchedulerE0ELi256ENS_9f8_fnuz_tENS_7pk_i4_tESC_fNS_16TensorDescriptorINS_5TupleIJNS_5EmbedINSF_IJNS_17integral_constantIiLi8EEENSH_IiLi256EEENSH_IiLi16EEEEEENSF_IJSK_NSH_IiLi128EEENSH_IiLi1EEEEEELb0EEENS_3XorINSF_IJSJ_SI_EEELb1EEENS_11PassThroughISK_EENS_7UnMergeINSF_IJSI_SN_EEELb0EEENST_ISJ_EESU_NST_ISI_EENS_21Merge_v3_division_modINSF_IJSJ_SN_EEEEESU_EEENSF_IJNS5_IJLi0EEEENS5_IJLi2ELi1EEEENS5_IJLi3EEEENS5_IJLi5EEEENS5_IJLi4EEEENS5_IJLi6EEEENS5_IJLi7EEEENS5_IJLi9ELi8EEEENS5_IJLi10EEEEEEENSF_IJNS5_IJLi1ELi2ELi3EEEENS5_IJLi4ELi5EEEES19_NS5_IJLi7ELi8EEEENS5_IJLi9EEEES1C_NS5_IJLi11EEEENS5_IJLi12EEEENS5_IJLi13EEEEEEENS5_IJLi11ELi12ELi13EEEENSH_IlLl32768EEEEENSE_INSF_IJNSV_INSF_IJSI_SN_SN_NSH_IiLi32EEEEEELb0EEEEEENSF_IJS14_EEENSF_IJNS5_IJLi1ELi2ELi3ELi4EEEEEEES1U_NSH_IlLl256EEEEENSE_INSF_IJSP_SS_SU_SX_SY_SU_SZ_S12_SU_NS10_INSF_IJSI_SK_EEEEENSV_INSF_IJSI_NSH_IiLi2EEESK_EEELb0EEEEEENSF_IJS14_S15_S16_S17_S18_S19_S1A_S1B_S1C_NS5_IJLi11ELi13EEEES1J_EEENSF_IJS1E_S1F_S19_S1G_S1H_S1C_S1I_S1J_S1K_NS5_IJLi14EEEENS5_IJLi15ELi16ELi17EEEEEEENS5_IJLi15ELi16ELi17ELi14EEEES1N_EENSE_INSF_IJS1R_NS10_ISW_EES22_EEENSF_IJS14_NS5_IJLi1ELi3EEEENS5_IJLi2EEEEEEENSF_IJS1U_S17_NS5_IJLi6ELi7ELi8EEEEEEENS5_IJLi6ELi7ELi8ELi5EEEES1W_EELi16ELi32ELi256ELi256ELi128ELi16ELi16ELi8ELi8ELi32ELb0EE3RunILb1ELNS_10TailNumberE1ENSE_INSF_IJNSG_INSF_IJiiEEENSF_IJiSN_EEELb0EEENSV_IS2N_Lb0EEENST_IiEEEEENSF_IJS14_S2E_NS5_IJLi1EEEEEEENSF_IJNS5_IJLi1ELi2EEEENS5_IJLi3ELi4EEEES17_EEENS5_IJLi3ELi5ELi4EEEElEES1O_NS_35ThreadGroupTensorSliceTransfer_v4r1INS_15ThisThreadBlockILi256EEENS_16tensor_operation12element_wise11PassThroughES35_LNS_25InMemoryDataOperationEnumE0ENS5_IJLi8ELi256ELi16EEEENS5_IJLi8ELi32ELi1EEEENS5_IJLi1ELi0ELi2EEEESC_SC_RKS2Z_KS1O_S39_NS5_IJLi0ELi1ELi2EEEELi2ELi2ELi16ELi16ELi1ELi1ELb0ELb1ELi2EiEENS_13DynamicBufferILNS_16AddressSpaceEnumE1EKSC_lLb1ELNS_22AmdBufferCoherenceEnumE0EiEENSF_IJNS3F_ILS3G_2ESC_S1N_Lb1ELS3I_0EiEES3K_EEENSF_IJiiiEEENSE_INSF_IJNSG_INSF_IJiiiiEEENSF_IJiiiSN_EEELb0EEEEEES1T_S1V_S1U_lEENS_32ThreadwiseTensorSliceTransfer_v2ISD_SD_RKS3R_KS1X_NS5_IJLi8ELi1ELi1ELi32EEEENS5_IJLi1ELi2ELi0ELi3EEEELi3ELi32ELi0ELb1ELb0ELb0EEENS3F_ILS3G_1EKSD_lLb1ELS3I_0EiEENSF_IJNS_12StaticBufferILS3G_4ESD_Li256ELb1EEES42_EEES3N_NS_25StaticBufferTupleOfVectorILS3G_4EfLi64ELi4ELb1ELb0EEEEEvRKT1_RKT2_RT3_RKT4_RT5_RKT6_RKT7_RT8_RKT9_RT10_RKT11_RT12_iENKUlT_T0_E_clISN_NSH_IiLi0EEEEEDaS51_S52_ENKUlS51_E_clIS55_EEDaS51_EUlS51_E_EEvS51_EUlS51_E_EEvS51_, .Lfunc_end36-_ZNK2ck6detail7applierIiJLi0ELi1ELi2ELi3ELi4ELi5ELi6ELi7EEEclIZNKS_11static_fordINS_8SequenceIJLi1ELi8EEEENS5_IJLi0ELi1EEEEEclIZZZNKS_52BlockwiseGemmXdlops_pipeline_bpreshuffle_bdequant_v3ILNS_26BlockGemmPipelineSchedulerE0ELi256ENS_9f8_fnuz_tENS_7pk_i4_tESC_fNS_16TensorDescriptorINS_5TupleIJNS_5EmbedINSF_IJNS_17integral_constantIiLi8EEENSH_IiLi256EEENSH_IiLi16EEEEEENSF_IJSK_NSH_IiLi128EEENSH_IiLi1EEEEEELb0EEENS_3XorINSF_IJSJ_SI_EEELb1EEENS_11PassThroughISK_EENS_7UnMergeINSF_IJSI_SN_EEELb0EEENST_ISJ_EESU_NST_ISI_EENS_21Merge_v3_division_modINSF_IJSJ_SN_EEEEESU_EEENSF_IJNS5_IJLi0EEEENS5_IJLi2ELi1EEEENS5_IJLi3EEEENS5_IJLi5EEEENS5_IJLi4EEEENS5_IJLi6EEEENS5_IJLi7EEEENS5_IJLi9ELi8EEEENS5_IJLi10EEEEEEENSF_IJNS5_IJLi1ELi2ELi3EEEENS5_IJLi4ELi5EEEES19_NS5_IJLi7ELi8EEEENS5_IJLi9EEEES1C_NS5_IJLi11EEEENS5_IJLi12EEEENS5_IJLi13EEEEEEENS5_IJLi11ELi12ELi13EEEENSH_IlLl32768EEEEENSE_INSF_IJNSV_INSF_IJSI_SN_SN_NSH_IiLi32EEEEEELb0EEEEEENSF_IJS14_EEENSF_IJNS5_IJLi1ELi2ELi3ELi4EEEEEEES1U_NSH_IlLl256EEEEENSE_INSF_IJSP_SS_SU_SX_SY_SU_SZ_S12_SU_NS10_INSF_IJSI_SK_EEEEENSV_INSF_IJSI_NSH_IiLi2EEESK_EEELb0EEEEEENSF_IJS14_S15_S16_S17_S18_S19_S1A_S1B_S1C_NS5_IJLi11ELi13EEEES1J_EEENSF_IJS1E_S1F_S19_S1G_S1H_S1C_S1I_S1J_S1K_NS5_IJLi14EEEENS5_IJLi15ELi16ELi17EEEEEEENS5_IJLi15ELi16ELi17ELi14EEEES1N_EENSE_INSF_IJS1R_NS10_ISW_EES22_EEENSF_IJS14_NS5_IJLi1ELi3EEEENS5_IJLi2EEEEEEENSF_IJS1U_S17_NS5_IJLi6ELi7ELi8EEEEEEENS5_IJLi6ELi7ELi8ELi5EEEES1W_EELi16ELi32ELi256ELi256ELi128ELi16ELi16ELi8ELi8ELi32ELb0EE3RunILb1ELNS_10TailNumberE1ENSE_INSF_IJNSG_INSF_IJiiEEENSF_IJiSN_EEELb0EEENSV_IS2N_Lb0EEENST_IiEEEEENSF_IJS14_S2E_NS5_IJLi1EEEEEEENSF_IJNS5_IJLi1ELi2EEEENS5_IJLi3ELi4EEEES17_EEENS5_IJLi3ELi5ELi4EEEElEES1O_NS_35ThreadGroupTensorSliceTransfer_v4r1INS_15ThisThreadBlockILi256EEENS_16tensor_operation12element_wise11PassThroughES35_LNS_25InMemoryDataOperationEnumE0ENS5_IJLi8ELi256ELi16EEEENS5_IJLi8ELi32ELi1EEEENS5_IJLi1ELi0ELi2EEEESC_SC_RKS2Z_KS1O_S39_NS5_IJLi0ELi1ELi2EEEELi2ELi2ELi16ELi16ELi1ELi1ELb0ELb1ELi2EiEENS_13DynamicBufferILNS_16AddressSpaceEnumE1EKSC_lLb1ELNS_22AmdBufferCoherenceEnumE0EiEENSF_IJNS3F_ILS3G_2ESC_S1N_Lb1ELS3I_0EiEES3K_EEENSF_IJiiiEEENSE_INSF_IJNSG_INSF_IJiiiiEEENSF_IJiiiSN_EEELb0EEEEEES1T_S1V_S1U_lEENS_32ThreadwiseTensorSliceTransfer_v2ISD_SD_RKS3R_KS1X_NS5_IJLi8ELi1ELi1ELi32EEEENS5_IJLi1ELi2ELi0ELi3EEEELi3ELi32ELi0ELb1ELb0ELb0EEENS3F_ILS3G_1EKSD_lLb1ELS3I_0EiEENSF_IJNS_12StaticBufferILS3G_4ESD_Li256ELb1EEES42_EEES3N_NS_25StaticBufferTupleOfVectorILS3G_4EfLi64ELi4ELb1ELb0EEEEEvRKT1_RKT2_RT3_RKT4_RT5_RKT6_RKT7_RT8_RKT9_RT10_RKT11_RT12_iENKUlT_T0_E_clISN_NSH_IiLi0EEEEEDaS51_S52_ENKUlS51_E_clIS55_EEDaS51_EUlS51_E_EEvS51_EUlS51_E_EEvS51_
                                        ; -- End function
	.section	.AMDGPU.csdata,"",@progbits
; Function info:
; codeLenInByte = 133608
; NumSgprs: 36
; NumVgprs: 26
; NumAgprs: 4
; TotalNumVgprs: 32
; ScratchSize: 0
; MemoryBound: 1
	.text
	.p2align	2                               ; -- Begin function _ZNK2ck6detail7applierIiJLi0ELi1ELi2ELi3ELi4ELi5ELi6ELi7EEEclIZNKS_11static_fordINS_8SequenceIJLi1ELi8EEEENS5_IJLi0ELi1EEEEEclIZZZNKS_52BlockwiseGemmXdlops_pipeline_bpreshuffle_bdequant_v3ILNS_26BlockGemmPipelineSchedulerE0ELi256ENS_9f8_fnuz_tENS_7pk_i4_tESC_fNS_16TensorDescriptorINS_5TupleIJNS_5EmbedINSF_IJNS_17integral_constantIiLi8EEENSH_IiLi256EEENSH_IiLi16EEEEEENSF_IJSK_NSH_IiLi128EEENSH_IiLi1EEEEEELb0EEENS_3XorINSF_IJSJ_SI_EEELb1EEENS_11PassThroughISK_EENS_7UnMergeINSF_IJSI_SN_EEELb0EEENST_ISJ_EESU_NST_ISI_EENS_21Merge_v3_division_modINSF_IJSJ_SN_EEEEESU_EEENSF_IJNS5_IJLi0EEEENS5_IJLi2ELi1EEEENS5_IJLi3EEEENS5_IJLi5EEEENS5_IJLi4EEEENS5_IJLi6EEEENS5_IJLi7EEEENS5_IJLi9ELi8EEEENS5_IJLi10EEEEEEENSF_IJNS5_IJLi1ELi2ELi3EEEENS5_IJLi4ELi5EEEES19_NS5_IJLi7ELi8EEEENS5_IJLi9EEEES1C_NS5_IJLi11EEEENS5_IJLi12EEEENS5_IJLi13EEEEEEENS5_IJLi11ELi12ELi13EEEENSH_IlLl32768EEEEENSE_INSF_IJNSV_INSF_IJSI_SN_SN_NSH_IiLi32EEEEEELb0EEEEEENSF_IJS14_EEENSF_IJNS5_IJLi1ELi2ELi3ELi4EEEEEEES1U_NSH_IlLl256EEEEENSE_INSF_IJSP_SS_SU_SX_SY_SU_SZ_S12_SU_NS10_INSF_IJSI_SK_EEEEENSV_INSF_IJSI_NSH_IiLi2EEESK_EEELb0EEEEEENSF_IJS14_S15_S16_S17_S18_S19_S1A_S1B_S1C_NS5_IJLi11ELi13EEEES1J_EEENSF_IJS1E_S1F_S19_S1G_S1H_S1C_S1I_S1J_S1K_NS5_IJLi14EEEENS5_IJLi15ELi16ELi17EEEEEEENS5_IJLi15ELi16ELi17ELi14EEEES1N_EENSE_INSF_IJS1R_NS10_ISW_EES22_EEENSF_IJS14_NS5_IJLi1ELi3EEEENS5_IJLi2EEEEEEENSF_IJS1U_S17_NS5_IJLi6ELi7ELi8EEEEEEENS5_IJLi6ELi7ELi8ELi5EEEES1W_EELi16ELi32ELi256ELi256ELi128ELi16ELi16ELi8ELi8ELi32ELb0EE3RunILb1ELNS_10TailNumberE1ENSE_INSF_IJNSG_INSF_IJiiEEENSF_IJiSN_EEELb0EEENSV_IS2N_Lb0EEENST_IiEEEEENSF_IJS14_S2E_NS5_IJLi1EEEEEEENSF_IJNS5_IJLi1ELi2EEEENS5_IJLi3ELi4EEEES17_EEENS5_IJLi3ELi5ELi4EEEElEES1O_NS_35ThreadGroupTensorSliceTransfer_v4r1INS_15ThisThreadBlockILi256EEENS_16tensor_operation12element_wise11PassThroughES35_LNS_25InMemoryDataOperationEnumE0ENS5_IJLi8ELi256ELi16EEEENS5_IJLi8ELi32ELi1EEEENS5_IJLi1ELi0ELi2EEEESC_SC_RKS2Z_KS1O_S39_NS5_IJLi0ELi1ELi2EEEELi2ELi2ELi16ELi16ELi1ELi1ELb0ELb1ELi2EiEENS_13DynamicBufferILNS_16AddressSpaceEnumE1EKSC_lLb1ELNS_22AmdBufferCoherenceEnumE0EiEENSF_IJNS3F_ILS3G_2ESC_S1N_Lb1ELS3I_0EiEES3K_EEENSF_IJiiiEEENSE_INSF_IJNSG_INSF_IJiiiiEEENSF_IJiiiSN_EEELb0EEEEEES1T_S1V_S1U_lEENS_32ThreadwiseTensorSliceTransfer_v2ISD_SD_RKS3R_KS1X_NS5_IJLi8ELi1ELi1ELi32EEEENS5_IJLi1ELi2ELi0ELi3EEEELi3ELi32ELi0ELb1ELb0ELb0EEENS3F_ILS3G_1EKSD_lLb1ELS3I_0EiEENSF_IJNS_12StaticBufferILS3G_4ESD_Li256ELb1EEES42_EEES3N_NS_25StaticBufferTupleOfVectorILS3G_4EfLi64ELi4ELb1ELb0EEEEEvRKT1_RKT2_RT3_RKT4_RT5_RKT6_RKT7_RT8_RKT9_RT10_RKT11_RT12_iENKUlT_T0_E_clISN_NSH_IiLi0EEEEEDaS51_S52_ENKUlS51_E_clISN_EEDaS51_EUlS51_E_EEvS51_EUlS51_E_EEvS51_
	.type	_ZNK2ck6detail7applierIiJLi0ELi1ELi2ELi3ELi4ELi5ELi6ELi7EEEclIZNKS_11static_fordINS_8SequenceIJLi1ELi8EEEENS5_IJLi0ELi1EEEEEclIZZZNKS_52BlockwiseGemmXdlops_pipeline_bpreshuffle_bdequant_v3ILNS_26BlockGemmPipelineSchedulerE0ELi256ENS_9f8_fnuz_tENS_7pk_i4_tESC_fNS_16TensorDescriptorINS_5TupleIJNS_5EmbedINSF_IJNS_17integral_constantIiLi8EEENSH_IiLi256EEENSH_IiLi16EEEEEENSF_IJSK_NSH_IiLi128EEENSH_IiLi1EEEEEELb0EEENS_3XorINSF_IJSJ_SI_EEELb1EEENS_11PassThroughISK_EENS_7UnMergeINSF_IJSI_SN_EEELb0EEENST_ISJ_EESU_NST_ISI_EENS_21Merge_v3_division_modINSF_IJSJ_SN_EEEEESU_EEENSF_IJNS5_IJLi0EEEENS5_IJLi2ELi1EEEENS5_IJLi3EEEENS5_IJLi5EEEENS5_IJLi4EEEENS5_IJLi6EEEENS5_IJLi7EEEENS5_IJLi9ELi8EEEENS5_IJLi10EEEEEEENSF_IJNS5_IJLi1ELi2ELi3EEEENS5_IJLi4ELi5EEEES19_NS5_IJLi7ELi8EEEENS5_IJLi9EEEES1C_NS5_IJLi11EEEENS5_IJLi12EEEENS5_IJLi13EEEEEEENS5_IJLi11ELi12ELi13EEEENSH_IlLl32768EEEEENSE_INSF_IJNSV_INSF_IJSI_SN_SN_NSH_IiLi32EEEEEELb0EEEEEENSF_IJS14_EEENSF_IJNS5_IJLi1ELi2ELi3ELi4EEEEEEES1U_NSH_IlLl256EEEEENSE_INSF_IJSP_SS_SU_SX_SY_SU_SZ_S12_SU_NS10_INSF_IJSI_SK_EEEEENSV_INSF_IJSI_NSH_IiLi2EEESK_EEELb0EEEEEENSF_IJS14_S15_S16_S17_S18_S19_S1A_S1B_S1C_NS5_IJLi11ELi13EEEES1J_EEENSF_IJS1E_S1F_S19_S1G_S1H_S1C_S1I_S1J_S1K_NS5_IJLi14EEEENS5_IJLi15ELi16ELi17EEEEEEENS5_IJLi15ELi16ELi17ELi14EEEES1N_EENSE_INSF_IJS1R_NS10_ISW_EES22_EEENSF_IJS14_NS5_IJLi1ELi3EEEENS5_IJLi2EEEEEEENSF_IJS1U_S17_NS5_IJLi6ELi7ELi8EEEEEEENS5_IJLi6ELi7ELi8ELi5EEEES1W_EELi16ELi32ELi256ELi256ELi128ELi16ELi16ELi8ELi8ELi32ELb0EE3RunILb1ELNS_10TailNumberE1ENSE_INSF_IJNSG_INSF_IJiiEEENSF_IJiSN_EEELb0EEENSV_IS2N_Lb0EEENST_IiEEEEENSF_IJS14_S2E_NS5_IJLi1EEEEEEENSF_IJNS5_IJLi1ELi2EEEENS5_IJLi3ELi4EEEES17_EEENS5_IJLi3ELi5ELi4EEEElEES1O_NS_35ThreadGroupTensorSliceTransfer_v4r1INS_15ThisThreadBlockILi256EEENS_16tensor_operation12element_wise11PassThroughES35_LNS_25InMemoryDataOperationEnumE0ENS5_IJLi8ELi256ELi16EEEENS5_IJLi8ELi32ELi1EEEENS5_IJLi1ELi0ELi2EEEESC_SC_RKS2Z_KS1O_S39_NS5_IJLi0ELi1ELi2EEEELi2ELi2ELi16ELi16ELi1ELi1ELb0ELb1ELi2EiEENS_13DynamicBufferILNS_16AddressSpaceEnumE1EKSC_lLb1ELNS_22AmdBufferCoherenceEnumE0EiEENSF_IJNS3F_ILS3G_2ESC_S1N_Lb1ELS3I_0EiEES3K_EEENSF_IJiiiEEENSE_INSF_IJNSG_INSF_IJiiiiEEENSF_IJiiiSN_EEELb0EEEEEES1T_S1V_S1U_lEENS_32ThreadwiseTensorSliceTransfer_v2ISD_SD_RKS3R_KS1X_NS5_IJLi8ELi1ELi1ELi32EEEENS5_IJLi1ELi2ELi0ELi3EEEELi3ELi32ELi0ELb1ELb0ELb0EEENS3F_ILS3G_1EKSD_lLb1ELS3I_0EiEENSF_IJNS_12StaticBufferILS3G_4ESD_Li256ELb1EEES42_EEES3N_NS_25StaticBufferTupleOfVectorILS3G_4EfLi64ELi4ELb1ELb0EEEEEvRKT1_RKT2_RT3_RKT4_RT5_RKT6_RKT7_RT8_RKT9_RT10_RKT11_RT12_iENKUlT_T0_E_clISN_NSH_IiLi0EEEEEDaS51_S52_ENKUlS51_E_clISN_EEDaS51_EUlS51_E_EEvS51_EUlS51_E_EEvS51_,@function
_ZNK2ck6detail7applierIiJLi0ELi1ELi2ELi3ELi4ELi5ELi6ELi7EEEclIZNKS_11static_fordINS_8SequenceIJLi1ELi8EEEENS5_IJLi0ELi1EEEEEclIZZZNKS_52BlockwiseGemmXdlops_pipeline_bpreshuffle_bdequant_v3ILNS_26BlockGemmPipelineSchedulerE0ELi256ENS_9f8_fnuz_tENS_7pk_i4_tESC_fNS_16TensorDescriptorINS_5TupleIJNS_5EmbedINSF_IJNS_17integral_constantIiLi8EEENSH_IiLi256EEENSH_IiLi16EEEEEENSF_IJSK_NSH_IiLi128EEENSH_IiLi1EEEEEELb0EEENS_3XorINSF_IJSJ_SI_EEELb1EEENS_11PassThroughISK_EENS_7UnMergeINSF_IJSI_SN_EEELb0EEENST_ISJ_EESU_NST_ISI_EENS_21Merge_v3_division_modINSF_IJSJ_SN_EEEEESU_EEENSF_IJNS5_IJLi0EEEENS5_IJLi2ELi1EEEENS5_IJLi3EEEENS5_IJLi5EEEENS5_IJLi4EEEENS5_IJLi6EEEENS5_IJLi7EEEENS5_IJLi9ELi8EEEENS5_IJLi10EEEEEEENSF_IJNS5_IJLi1ELi2ELi3EEEENS5_IJLi4ELi5EEEES19_NS5_IJLi7ELi8EEEENS5_IJLi9EEEES1C_NS5_IJLi11EEEENS5_IJLi12EEEENS5_IJLi13EEEEEEENS5_IJLi11ELi12ELi13EEEENSH_IlLl32768EEEEENSE_INSF_IJNSV_INSF_IJSI_SN_SN_NSH_IiLi32EEEEEELb0EEEEEENSF_IJS14_EEENSF_IJNS5_IJLi1ELi2ELi3ELi4EEEEEEES1U_NSH_IlLl256EEEEENSE_INSF_IJSP_SS_SU_SX_SY_SU_SZ_S12_SU_NS10_INSF_IJSI_SK_EEEEENSV_INSF_IJSI_NSH_IiLi2EEESK_EEELb0EEEEEENSF_IJS14_S15_S16_S17_S18_S19_S1A_S1B_S1C_NS5_IJLi11ELi13EEEES1J_EEENSF_IJS1E_S1F_S19_S1G_S1H_S1C_S1I_S1J_S1K_NS5_IJLi14EEEENS5_IJLi15ELi16ELi17EEEEEEENS5_IJLi15ELi16ELi17ELi14EEEES1N_EENSE_INSF_IJS1R_NS10_ISW_EES22_EEENSF_IJS14_NS5_IJLi1ELi3EEEENS5_IJLi2EEEEEEENSF_IJS1U_S17_NS5_IJLi6ELi7ELi8EEEEEEENS5_IJLi6ELi7ELi8ELi5EEEES1W_EELi16ELi32ELi256ELi256ELi128ELi16ELi16ELi8ELi8ELi32ELb0EE3RunILb1ELNS_10TailNumberE1ENSE_INSF_IJNSG_INSF_IJiiEEENSF_IJiSN_EEELb0EEENSV_IS2N_Lb0EEENST_IiEEEEENSF_IJS14_S2E_NS5_IJLi1EEEEEEENSF_IJNS5_IJLi1ELi2EEEENS5_IJLi3ELi4EEEES17_EEENS5_IJLi3ELi5ELi4EEEElEES1O_NS_35ThreadGroupTensorSliceTransfer_v4r1INS_15ThisThreadBlockILi256EEENS_16tensor_operation12element_wise11PassThroughES35_LNS_25InMemoryDataOperationEnumE0ENS5_IJLi8ELi256ELi16EEEENS5_IJLi8ELi32ELi1EEEENS5_IJLi1ELi0ELi2EEEESC_SC_RKS2Z_KS1O_S39_NS5_IJLi0ELi1ELi2EEEELi2ELi2ELi16ELi16ELi1ELi1ELb0ELb1ELi2EiEENS_13DynamicBufferILNS_16AddressSpaceEnumE1EKSC_lLb1ELNS_22AmdBufferCoherenceEnumE0EiEENSF_IJNS3F_ILS3G_2ESC_S1N_Lb1ELS3I_0EiEES3K_EEENSF_IJiiiEEENSE_INSF_IJNSG_INSF_IJiiiiEEENSF_IJiiiSN_EEELb0EEEEEES1T_S1V_S1U_lEENS_32ThreadwiseTensorSliceTransfer_v2ISD_SD_RKS3R_KS1X_NS5_IJLi8ELi1ELi1ELi32EEEENS5_IJLi1ELi2ELi0ELi3EEEELi3ELi32ELi0ELb1ELb0ELb0EEENS3F_ILS3G_1EKSD_lLb1ELS3I_0EiEENSF_IJNS_12StaticBufferILS3G_4ESD_Li256ELb1EEES42_EEES3N_NS_25StaticBufferTupleOfVectorILS3G_4EfLi64ELi4ELb1ELb0EEEEEvRKT1_RKT2_RT3_RKT4_RT5_RKT6_RKT7_RT8_RKT9_RT10_RKT11_RT12_iENKUlT_T0_E_clISN_NSH_IiLi0EEEEEDaS51_S52_ENKUlS51_E_clISN_EEDaS51_EUlS51_E_EEvS51_EUlS51_E_EEvS51_: ; @_ZNK2ck6detail7applierIiJLi0ELi1ELi2ELi3ELi4ELi5ELi6ELi7EEEclIZNKS_11static_fordINS_8SequenceIJLi1ELi8EEEENS5_IJLi0ELi1EEEEEclIZZZNKS_52BlockwiseGemmXdlops_pipeline_bpreshuffle_bdequant_v3ILNS_26BlockGemmPipelineSchedulerE0ELi256ENS_9f8_fnuz_tENS_7pk_i4_tESC_fNS_16TensorDescriptorINS_5TupleIJNS_5EmbedINSF_IJNS_17integral_constantIiLi8EEENSH_IiLi256EEENSH_IiLi16EEEEEENSF_IJSK_NSH_IiLi128EEENSH_IiLi1EEEEEELb0EEENS_3XorINSF_IJSJ_SI_EEELb1EEENS_11PassThroughISK_EENS_7UnMergeINSF_IJSI_SN_EEELb0EEENST_ISJ_EESU_NST_ISI_EENS_21Merge_v3_division_modINSF_IJSJ_SN_EEEEESU_EEENSF_IJNS5_IJLi0EEEENS5_IJLi2ELi1EEEENS5_IJLi3EEEENS5_IJLi5EEEENS5_IJLi4EEEENS5_IJLi6EEEENS5_IJLi7EEEENS5_IJLi9ELi8EEEENS5_IJLi10EEEEEEENSF_IJNS5_IJLi1ELi2ELi3EEEENS5_IJLi4ELi5EEEES19_NS5_IJLi7ELi8EEEENS5_IJLi9EEEES1C_NS5_IJLi11EEEENS5_IJLi12EEEENS5_IJLi13EEEEEEENS5_IJLi11ELi12ELi13EEEENSH_IlLl32768EEEEENSE_INSF_IJNSV_INSF_IJSI_SN_SN_NSH_IiLi32EEEEEELb0EEEEEENSF_IJS14_EEENSF_IJNS5_IJLi1ELi2ELi3ELi4EEEEEEES1U_NSH_IlLl256EEEEENSE_INSF_IJSP_SS_SU_SX_SY_SU_SZ_S12_SU_NS10_INSF_IJSI_SK_EEEEENSV_INSF_IJSI_NSH_IiLi2EEESK_EEELb0EEEEEENSF_IJS14_S15_S16_S17_S18_S19_S1A_S1B_S1C_NS5_IJLi11ELi13EEEES1J_EEENSF_IJS1E_S1F_S19_S1G_S1H_S1C_S1I_S1J_S1K_NS5_IJLi14EEEENS5_IJLi15ELi16ELi17EEEEEEENS5_IJLi15ELi16ELi17ELi14EEEES1N_EENSE_INSF_IJS1R_NS10_ISW_EES22_EEENSF_IJS14_NS5_IJLi1ELi3EEEENS5_IJLi2EEEEEEENSF_IJS1U_S17_NS5_IJLi6ELi7ELi8EEEEEEENS5_IJLi6ELi7ELi8ELi5EEEES1W_EELi16ELi32ELi256ELi256ELi128ELi16ELi16ELi8ELi8ELi32ELb0EE3RunILb1ELNS_10TailNumberE1ENSE_INSF_IJNSG_INSF_IJiiEEENSF_IJiSN_EEELb0EEENSV_IS2N_Lb0EEENST_IiEEEEENSF_IJS14_S2E_NS5_IJLi1EEEEEEENSF_IJNS5_IJLi1ELi2EEEENS5_IJLi3ELi4EEEES17_EEENS5_IJLi3ELi5ELi4EEEElEES1O_NS_35ThreadGroupTensorSliceTransfer_v4r1INS_15ThisThreadBlockILi256EEENS_16tensor_operation12element_wise11PassThroughES35_LNS_25InMemoryDataOperationEnumE0ENS5_IJLi8ELi256ELi16EEEENS5_IJLi8ELi32ELi1EEEENS5_IJLi1ELi0ELi2EEEESC_SC_RKS2Z_KS1O_S39_NS5_IJLi0ELi1ELi2EEEELi2ELi2ELi16ELi16ELi1ELi1ELb0ELb1ELi2EiEENS_13DynamicBufferILNS_16AddressSpaceEnumE1EKSC_lLb1ELNS_22AmdBufferCoherenceEnumE0EiEENSF_IJNS3F_ILS3G_2ESC_S1N_Lb1ELS3I_0EiEES3K_EEENSF_IJiiiEEENSE_INSF_IJNSG_INSF_IJiiiiEEENSF_IJiiiSN_EEELb0EEEEEES1T_S1V_S1U_lEENS_32ThreadwiseTensorSliceTransfer_v2ISD_SD_RKS3R_KS1X_NS5_IJLi8ELi1ELi1ELi32EEEENS5_IJLi1ELi2ELi0ELi3EEEELi3ELi32ELi0ELb1ELb0ELb0EEENS3F_ILS3G_1EKSD_lLb1ELS3I_0EiEENSF_IJNS_12StaticBufferILS3G_4ESD_Li256ELb1EEES42_EEES3N_NS_25StaticBufferTupleOfVectorILS3G_4EfLi64ELi4ELb1ELb0EEEEEvRKT1_RKT2_RT3_RKT4_RT5_RKT6_RKT7_RT8_RKT9_RT10_RKT11_RT12_iENKUlT_T0_E_clISN_NSH_IiLi0EEEEEDaS51_S52_ENKUlS51_E_clISN_EEDaS51_EUlS51_E_EEvS51_EUlS51_E_EEvS51_
; %bb.0:
	s_waitcnt vmcnt(0) expcnt(0) lgkmcnt(0)
	flat_load_dwordx4 v[20:23], v[0:1] offset:16
	flat_load_dwordx2 v[18:19], v[0:1] offset:32
	s_movk_i32 s4, 0x7f
                                        ; implicit-def: $sgpr10
	s_waitcnt vmcnt(0) lgkmcnt(0)
	flat_load_dwordx4 v[14:17], v[20:21] offset:32
	flat_load_dwordx4 v[6:9], v[20:21] offset:48
	;; [unrolled: 1-line block ×4, first 2 shown]
	s_waitcnt vmcnt(0) lgkmcnt(0)
	v_cmp_gt_i16_sdwa s[6:7], v14, s4 src0_sel:BYTE_0 src1_sel:DWORD
	s_mov_b64 s[4:5], 0
	s_and_saveexec_b64 s[8:9], s[6:7]
	s_xor_b64 s[6:7], exec, s[8:9]
	s_cbranch_execnz .LBB37_2049
; %bb.1:
	s_or_saveexec_b64 s[6:7], s[6:7]
	v_mov_b32_e32 v20, s10
	s_xor_b64 exec, exec, s[6:7]
	s_cbranch_execnz .LBB37_2052
.LBB37_2:
	s_or_b64 exec, exec, s[6:7]
	s_and_saveexec_b64 s[6:7], s[4:5]
	s_cbranch_execz .LBB37_4
.LBB37_3:
	v_and_b32_e32 v20, 7, v14
	v_ffbh_u32_e32 v22, v20
	v_min_u32_e32 v22, 32, v22
	v_lshrrev_b16_e32 v21, 3, v14
	v_subrev_u32_e32 v23, 28, v22
	v_and_b32_e32 v21, 15, v21
	v_lshlrev_b32_e32 v23, v23, v14
	v_sub_u32_e32 v22, 29, v22
	v_and_b32_e32 v23, 7, v23
	v_cmp_eq_u16_e32 vcc, 0, v21
	v_cndmask_b32_e32 v20, v20, v23, vcc
	v_cndmask_b32_e32 v21, v21, v22, vcc
	v_lshlrev_b32_e32 v22, 24, v14
	v_mov_b32_e32 v23, 0x3b800000
	v_lshlrev_b32_e32 v20, 20, v20
	v_and_b32_e32 v22, 0x80000000, v22
	v_lshl_add_u32 v21, v21, 23, v23
	v_or3_b32 v20, v22, v21, v20
.LBB37_4:
	s_or_b64 exec, exec, s[6:7]
	s_movk_i32 s4, 0x7f
	v_cmp_gt_i16_sdwa s[6:7], v10, s4 src0_sel:BYTE_0 src1_sel:DWORD
	s_mov_b64 s[4:5], 0
                                        ; implicit-def: $sgpr10
	s_and_saveexec_b64 s[8:9], s[6:7]
	s_xor_b64 s[6:7], exec, s[8:9]
	s_cbranch_execnz .LBB37_2053
; %bb.5:
	s_or_saveexec_b64 s[6:7], s[6:7]
	v_mov_b32_e32 v21, s10
	s_xor_b64 exec, exec, s[6:7]
	s_cbranch_execnz .LBB37_2056
.LBB37_6:
	s_or_b64 exec, exec, s[6:7]
	s_and_saveexec_b64 s[6:7], s[4:5]
	s_cbranch_execz .LBB37_8
.LBB37_7:
	v_and_b32_e32 v21, 7, v10
	v_ffbh_u32_e32 v23, v21
	v_min_u32_e32 v23, 32, v23
	v_lshrrev_b16_e32 v22, 3, v10
	v_subrev_u32_e32 v24, 28, v23
	v_and_b32_e32 v22, 15, v22
	v_lshlrev_b32_e32 v24, v24, v10
	v_sub_u32_e32 v23, 29, v23
	v_and_b32_e32 v24, 7, v24
	v_cmp_eq_u16_e32 vcc, 0, v22
	v_cndmask_b32_e32 v21, v21, v24, vcc
	v_cndmask_b32_e32 v22, v22, v23, vcc
	v_lshlrev_b32_e32 v23, 24, v10
	v_mov_b32_e32 v24, 0x3b800000
	v_lshlrev_b32_e32 v21, 20, v21
	v_and_b32_e32 v23, 0x80000000, v23
	v_lshl_add_u32 v22, v22, 23, v24
	v_or3_b32 v21, v23, v22, v21
.LBB37_8:
	s_or_b64 exec, exec, s[6:7]
	flat_load_dwordx4 a[0:3], v[18:19] offset:128
	s_movk_i32 s4, 0x7f
                                        ; implicit-def: $sgpr10
	s_waitcnt vmcnt(0) lgkmcnt(0)
	v_mfma_f32_16x16x4f32 a[0:3], v20, v21, a[0:3]
	v_lshrrev_b32_e32 v21, 8, v14
	v_cmp_gt_i16_sdwa s[6:7], v21, s4 src0_sel:BYTE_0 src1_sel:DWORD
	s_mov_b64 s[4:5], 0
	s_and_saveexec_b64 s[8:9], s[6:7]
	s_xor_b64 s[6:7], exec, s[8:9]
	s_cbranch_execnz .LBB37_2057
; %bb.9:
	s_or_saveexec_b64 s[6:7], s[6:7]
	v_mov_b32_e32 v20, s10
	s_xor_b64 exec, exec, s[6:7]
	s_cbranch_execnz .LBB37_2060
.LBB37_10:
	s_or_b64 exec, exec, s[6:7]
	s_and_saveexec_b64 s[6:7], s[4:5]
	s_cbranch_execz .LBB37_12
.LBB37_11:
	v_bfe_u32 v20, v14, 8, 3
	v_ffbh_u32_e32 v23, v20
	v_min_u32_e32 v23, 32, v23
	v_lshrrev_b16_e32 v22, 3, v21
	v_subrev_u32_e32 v24, 28, v23
	v_and_b32_e32 v22, 15, v22
	v_lshlrev_b32_e32 v21, v24, v21
	v_sub_u32_e32 v23, 29, v23
	v_and_b32_e32 v21, 7, v21
	v_cmp_eq_u16_e32 vcc, 0, v22
	v_cndmask_b32_e32 v20, v20, v21, vcc
	v_cndmask_b32_e32 v21, v22, v23, vcc
	v_lshlrev_b32_e32 v22, 16, v14
	v_mov_b32_e32 v23, 0x3b800000
	v_lshlrev_b32_e32 v20, 20, v20
	v_and_b32_e32 v22, 0x80000000, v22
	v_lshl_add_u32 v21, v21, 23, v23
	v_or3_b32 v20, v22, v21, v20
.LBB37_12:
	s_or_b64 exec, exec, s[6:7]
	v_lshrrev_b32_e32 v21, 8, v10
	s_movk_i32 s4, 0x7f
	v_cmp_gt_i16_sdwa s[6:7], v21, s4 src0_sel:BYTE_0 src1_sel:DWORD
	s_mov_b64 s[4:5], 0
                                        ; implicit-def: $sgpr10
	s_and_saveexec_b64 s[8:9], s[6:7]
	s_xor_b64 s[6:7], exec, s[8:9]
	s_cbranch_execnz .LBB37_2061
; %bb.13:
	s_or_saveexec_b64 s[6:7], s[6:7]
	v_mov_b32_e32 v22, s10
	s_xor_b64 exec, exec, s[6:7]
	s_cbranch_execnz .LBB37_2064
.LBB37_14:
	s_or_b64 exec, exec, s[6:7]
	s_and_saveexec_b64 s[6:7], s[4:5]
	s_cbranch_execz .LBB37_16
.LBB37_15:
	v_bfe_u32 v22, v10, 8, 3
	v_ffbh_u32_e32 v24, v22
	v_min_u32_e32 v24, 32, v24
	v_lshrrev_b16_e32 v23, 3, v21
	v_subrev_u32_e32 v25, 28, v24
	v_and_b32_e32 v23, 15, v23
	v_lshlrev_b32_e32 v21, v25, v21
	v_sub_u32_e32 v24, 29, v24
	v_and_b32_e32 v21, 7, v21
	v_cmp_eq_u16_e32 vcc, 0, v23
	v_cndmask_b32_e32 v21, v22, v21, vcc
	v_cndmask_b32_e32 v22, v23, v24, vcc
	v_lshlrev_b32_e32 v23, 16, v10
	v_mov_b32_e32 v24, 0x3b800000
	v_lshlrev_b32_e32 v21, 20, v21
	v_and_b32_e32 v23, 0x80000000, v23
	v_lshl_add_u32 v22, v22, 23, v24
	v_or3_b32 v22, v23, v22, v21
.LBB37_16:
	s_or_b64 exec, exec, s[6:7]
	s_nop 0
	v_mfma_f32_16x16x4f32 a[0:3], v20, v22, a[0:3]
	s_movk_i32 s4, 0xff
	v_and_b32_sdwa v21, v14, s4 dst_sel:DWORD dst_unused:UNUSED_PAD src0_sel:WORD_1 src1_sel:DWORD
	s_movk_i32 s4, 0x7f
	v_cmp_lt_i16_e32 vcc, s4, v21
	s_mov_b64 s[4:5], 0
                                        ; implicit-def: $sgpr10
	s_and_saveexec_b64 s[6:7], vcc
	s_xor_b64 s[6:7], exec, s[6:7]
	s_cbranch_execnz .LBB37_2065
; %bb.17:
	s_or_saveexec_b64 s[6:7], s[6:7]
	v_mov_b32_e32 v20, s10
	s_xor_b64 exec, exec, s[6:7]
	s_cbranch_execnz .LBB37_2068
.LBB37_18:
	s_or_b64 exec, exec, s[6:7]
	s_and_saveexec_b64 s[6:7], s[4:5]
	s_cbranch_execz .LBB37_20
.LBB37_19:
	v_bfe_u32 v20, v14, 16, 3
	v_ffbh_u32_e32 v23, v20
	v_min_u32_e32 v23, 32, v23
	v_lshrrev_b32_e32 v21, 19, v14
	v_subrev_u32_e32 v24, 28, v23
	v_and_b32_e32 v21, 15, v21
	v_lshlrev_b32_sdwa v24, v24, v14 dst_sel:DWORD dst_unused:UNUSED_PAD src0_sel:DWORD src1_sel:WORD_1
	v_bfe_u32 v22, v14, 19, 4
	v_sub_u32_e32 v23, 29, v23
	v_and_b32_e32 v24, 7, v24
	v_cmp_eq_u16_e32 vcc, 0, v21
	v_cndmask_b32_e32 v20, v20, v24, vcc
	v_cndmask_b32_e32 v21, v22, v23, vcc
	v_lshlrev_b32_e32 v22, 8, v14
	v_mov_b32_e32 v23, 0x3b800000
	v_lshlrev_b32_e32 v20, 20, v20
	v_and_b32_e32 v22, 0x80000000, v22
	v_lshl_add_u32 v21, v21, 23, v23
	v_or3_b32 v20, v22, v21, v20
.LBB37_20:
	s_or_b64 exec, exec, s[6:7]
	s_movk_i32 s4, 0xff
	v_and_b32_sdwa v21, v10, s4 dst_sel:DWORD dst_unused:UNUSED_PAD src0_sel:WORD_1 src1_sel:DWORD
	s_movk_i32 s4, 0x7f
	v_cmp_lt_i16_e32 vcc, s4, v21
	s_mov_b64 s[4:5], 0
                                        ; implicit-def: $sgpr10
	s_and_saveexec_b64 s[6:7], vcc
	s_xor_b64 s[6:7], exec, s[6:7]
	s_cbranch_execnz .LBB37_2069
; %bb.21:
	s_or_saveexec_b64 s[6:7], s[6:7]
	v_mov_b32_e32 v22, s10
	s_xor_b64 exec, exec, s[6:7]
	s_cbranch_execnz .LBB37_2072
.LBB37_22:
	s_or_b64 exec, exec, s[6:7]
	s_and_saveexec_b64 s[6:7], s[4:5]
	s_cbranch_execz .LBB37_24
.LBB37_23:
	v_bfe_u32 v21, v10, 16, 3
	v_ffbh_u32_e32 v24, v21
	v_min_u32_e32 v24, 32, v24
	v_lshrrev_b32_e32 v22, 19, v10
	v_subrev_u32_e32 v25, 28, v24
	v_and_b32_e32 v22, 15, v22
	v_lshlrev_b32_sdwa v25, v25, v10 dst_sel:DWORD dst_unused:UNUSED_PAD src0_sel:DWORD src1_sel:WORD_1
	v_bfe_u32 v23, v10, 19, 4
	v_sub_u32_e32 v24, 29, v24
	v_and_b32_e32 v25, 7, v25
	v_cmp_eq_u16_e32 vcc, 0, v22
	v_cndmask_b32_e32 v21, v21, v25, vcc
	v_cndmask_b32_e32 v22, v23, v24, vcc
	v_lshlrev_b32_e32 v23, 8, v10
	v_mov_b32_e32 v24, 0x3b800000
	v_lshlrev_b32_e32 v21, 20, v21
	v_and_b32_e32 v23, 0x80000000, v23
	v_lshl_add_u32 v22, v22, 23, v24
	v_or3_b32 v22, v23, v22, v21
.LBB37_24:
	s_or_b64 exec, exec, s[6:7]
	s_nop 0
	v_mfma_f32_16x16x4f32 a[0:3], v20, v22, a[0:3]
	s_movk_i32 s4, 0x7f
	v_cmp_gt_i16_sdwa s[6:7], v14, s4 src0_sel:BYTE_3 src1_sel:DWORD
	s_mov_b64 s[4:5], 0
                                        ; implicit-def: $sgpr10
	s_and_saveexec_b64 s[8:9], s[6:7]
	s_xor_b64 s[6:7], exec, s[8:9]
	s_cbranch_execnz .LBB37_2073
; %bb.25:
	s_or_saveexec_b64 s[6:7], s[6:7]
	v_mov_b32_e32 v20, s10
	s_xor_b64 exec, exec, s[6:7]
	s_cbranch_execnz .LBB37_2076
.LBB37_26:
	s_or_b64 exec, exec, s[6:7]
	s_and_saveexec_b64 s[6:7], s[4:5]
	s_cbranch_execz .LBB37_28
.LBB37_27:
	v_bfe_u32 v20, v14, 24, 3
	v_ffbh_u32_e32 v24, v20
	v_min_u32_e32 v24, 32, v24
	v_lshrrev_b32_e32 v22, 27, v14
	v_subrev_u32_e32 v25, 28, v24
	v_and_b32_e32 v21, 0x80000000, v14
	v_and_b32_e32 v22, 15, v22
	v_bfe_u32 v23, v14, 27, 4
	v_lshlrev_b32_sdwa v14, v25, v14 dst_sel:DWORD dst_unused:UNUSED_PAD src0_sel:DWORD src1_sel:BYTE_3
	v_sub_u32_e32 v24, 29, v24
	v_and_b32_e32 v14, 7, v14
	v_cmp_eq_u16_e32 vcc, 0, v22
	v_cndmask_b32_e32 v14, v20, v14, vcc
	v_cndmask_b32_e32 v20, v23, v24, vcc
	v_mov_b32_e32 v22, 0x3b800000
	v_lshlrev_b32_e32 v14, 20, v14
	v_lshl_add_u32 v20, v20, 23, v22
	v_or3_b32 v20, v21, v20, v14
.LBB37_28:
	s_or_b64 exec, exec, s[6:7]
	s_movk_i32 s4, 0x7f
	v_cmp_gt_i16_sdwa s[6:7], v10, s4 src0_sel:BYTE_3 src1_sel:DWORD
	s_mov_b64 s[4:5], 0
                                        ; implicit-def: $sgpr10
	s_and_saveexec_b64 s[8:9], s[6:7]
	s_xor_b64 s[6:7], exec, s[8:9]
	s_cbranch_execnz .LBB37_2077
; %bb.29:
	s_or_saveexec_b64 s[6:7], s[6:7]
	v_mov_b32_e32 v14, s10
	s_xor_b64 exec, exec, s[6:7]
	s_cbranch_execnz .LBB37_2080
.LBB37_30:
	s_or_b64 exec, exec, s[6:7]
	s_and_saveexec_b64 s[6:7], s[4:5]
	s_cbranch_execz .LBB37_32
.LBB37_31:
	v_bfe_u32 v14, v10, 24, 3
	v_ffbh_u32_e32 v24, v14
	v_min_u32_e32 v24, 32, v24
	v_lshrrev_b32_e32 v22, 27, v10
	v_subrev_u32_e32 v25, 28, v24
	v_and_b32_e32 v21, 0x80000000, v10
	v_and_b32_e32 v22, 15, v22
	v_bfe_u32 v23, v10, 27, 4
	v_lshlrev_b32_sdwa v10, v25, v10 dst_sel:DWORD dst_unused:UNUSED_PAD src0_sel:DWORD src1_sel:BYTE_3
	v_sub_u32_e32 v24, 29, v24
	v_and_b32_e32 v10, 7, v10
	v_cmp_eq_u16_e32 vcc, 0, v22
	v_cndmask_b32_e32 v10, v14, v10, vcc
	v_cndmask_b32_e32 v14, v23, v24, vcc
	v_mov_b32_e32 v22, 0x3b800000
	v_lshlrev_b32_e32 v10, 20, v10
	v_lshl_add_u32 v14, v14, 23, v22
	v_or3_b32 v14, v21, v14, v10
.LBB37_32:
	s_or_b64 exec, exec, s[6:7]
	s_nop 0
	v_mfma_f32_16x16x4f32 a[0:3], v20, v14, a[0:3]
	s_movk_i32 s4, 0x7f
	v_cmp_gt_i16_sdwa s[6:7], v15, s4 src0_sel:BYTE_0 src1_sel:DWORD
	s_mov_b64 s[4:5], 0
                                        ; implicit-def: $sgpr10
	s_and_saveexec_b64 s[8:9], s[6:7]
	s_xor_b64 s[6:7], exec, s[8:9]
	s_cbranch_execnz .LBB37_2081
; %bb.33:
	s_or_saveexec_b64 s[6:7], s[6:7]
	v_mov_b32_e32 v10, s10
	s_xor_b64 exec, exec, s[6:7]
	s_cbranch_execnz .LBB37_2084
.LBB37_34:
	s_or_b64 exec, exec, s[6:7]
	s_and_saveexec_b64 s[6:7], s[4:5]
	s_cbranch_execz .LBB37_36
.LBB37_35:
	v_and_b32_e32 v10, 7, v15
	v_ffbh_u32_e32 v20, v10
	v_min_u32_e32 v20, 32, v20
	v_lshrrev_b16_e32 v14, 3, v15
	v_subrev_u32_e32 v21, 28, v20
	v_and_b32_e32 v14, 15, v14
	v_lshlrev_b32_e32 v21, v21, v15
	v_sub_u32_e32 v20, 29, v20
	v_and_b32_e32 v21, 7, v21
	v_cmp_eq_u16_e32 vcc, 0, v14
	v_cndmask_b32_e32 v10, v10, v21, vcc
	v_cndmask_b32_e32 v14, v14, v20, vcc
	v_lshlrev_b32_e32 v20, 24, v15
	v_mov_b32_e32 v21, 0x3b800000
	v_lshlrev_b32_e32 v10, 20, v10
	v_and_b32_e32 v20, 0x80000000, v20
	v_lshl_add_u32 v14, v14, 23, v21
	v_or3_b32 v10, v20, v14, v10
.LBB37_36:
	s_or_b64 exec, exec, s[6:7]
	s_movk_i32 s4, 0x7f
	v_cmp_gt_i16_sdwa s[6:7], v11, s4 src0_sel:BYTE_0 src1_sel:DWORD
	s_mov_b64 s[4:5], 0
                                        ; implicit-def: $sgpr10
	s_and_saveexec_b64 s[8:9], s[6:7]
	s_xor_b64 s[6:7], exec, s[8:9]
	s_cbranch_execnz .LBB37_2085
; %bb.37:
	s_or_saveexec_b64 s[6:7], s[6:7]
	v_mov_b32_e32 v14, s10
	s_xor_b64 exec, exec, s[6:7]
	s_cbranch_execnz .LBB37_2088
.LBB37_38:
	s_or_b64 exec, exec, s[6:7]
	s_and_saveexec_b64 s[6:7], s[4:5]
	s_cbranch_execz .LBB37_40
.LBB37_39:
	v_and_b32_e32 v14, 7, v11
	v_ffbh_u32_e32 v21, v14
	v_min_u32_e32 v21, 32, v21
	v_lshrrev_b16_e32 v20, 3, v11
	v_subrev_u32_e32 v22, 28, v21
	v_and_b32_e32 v20, 15, v20
	v_lshlrev_b32_e32 v22, v22, v11
	v_sub_u32_e32 v21, 29, v21
	v_and_b32_e32 v22, 7, v22
	v_cmp_eq_u16_e32 vcc, 0, v20
	v_cndmask_b32_e32 v14, v14, v22, vcc
	v_cndmask_b32_e32 v20, v20, v21, vcc
	v_lshlrev_b32_e32 v21, 24, v11
	v_mov_b32_e32 v22, 0x3b800000
	v_lshlrev_b32_e32 v14, 20, v14
	v_and_b32_e32 v21, 0x80000000, v21
	v_lshl_add_u32 v20, v20, 23, v22
	v_or3_b32 v14, v21, v20, v14
.LBB37_40:
	s_or_b64 exec, exec, s[6:7]
	s_nop 0
	v_mfma_f32_16x16x4f32 a[0:3], v10, v14, a[0:3]
	v_lshrrev_b32_e32 v14, 8, v15
	s_movk_i32 s4, 0x7f
	v_cmp_gt_i16_sdwa s[6:7], v14, s4 src0_sel:BYTE_0 src1_sel:DWORD
	s_mov_b64 s[4:5], 0
                                        ; implicit-def: $sgpr10
	s_and_saveexec_b64 s[8:9], s[6:7]
	s_xor_b64 s[6:7], exec, s[8:9]
	s_cbranch_execnz .LBB37_2089
; %bb.41:
	s_or_saveexec_b64 s[6:7], s[6:7]
	v_mov_b32_e32 v10, s10
	s_xor_b64 exec, exec, s[6:7]
	s_cbranch_execnz .LBB37_2092
.LBB37_42:
	s_or_b64 exec, exec, s[6:7]
	s_and_saveexec_b64 s[6:7], s[4:5]
	s_cbranch_execz .LBB37_44
.LBB37_43:
	v_bfe_u32 v10, v15, 8, 3
	v_ffbh_u32_e32 v21, v10
	v_min_u32_e32 v21, 32, v21
	v_lshrrev_b16_e32 v20, 3, v14
	v_subrev_u32_e32 v22, 28, v21
	v_and_b32_e32 v20, 15, v20
	v_lshlrev_b32_e32 v14, v22, v14
	v_sub_u32_e32 v21, 29, v21
	v_and_b32_e32 v14, 7, v14
	v_cmp_eq_u16_e32 vcc, 0, v20
	v_cndmask_b32_e32 v10, v10, v14, vcc
	v_cndmask_b32_e32 v14, v20, v21, vcc
	v_lshlrev_b32_e32 v20, 16, v15
	v_mov_b32_e32 v21, 0x3b800000
	v_lshlrev_b32_e32 v10, 20, v10
	v_and_b32_e32 v20, 0x80000000, v20
	v_lshl_add_u32 v14, v14, 23, v21
	v_or3_b32 v10, v20, v14, v10
.LBB37_44:
	s_or_b64 exec, exec, s[6:7]
	v_lshrrev_b32_e32 v14, 8, v11
	s_movk_i32 s4, 0x7f
	v_cmp_gt_i16_sdwa s[6:7], v14, s4 src0_sel:BYTE_0 src1_sel:DWORD
	s_mov_b64 s[4:5], 0
                                        ; implicit-def: $sgpr10
	s_and_saveexec_b64 s[8:9], s[6:7]
	s_xor_b64 s[6:7], exec, s[8:9]
	s_cbranch_execnz .LBB37_2093
; %bb.45:
	s_or_saveexec_b64 s[6:7], s[6:7]
	v_mov_b32_e32 v20, s10
	s_xor_b64 exec, exec, s[6:7]
	s_cbranch_execnz .LBB37_2096
.LBB37_46:
	s_or_b64 exec, exec, s[6:7]
	s_and_saveexec_b64 s[6:7], s[4:5]
	s_cbranch_execz .LBB37_48
.LBB37_47:
	v_bfe_u32 v20, v11, 8, 3
	v_ffbh_u32_e32 v22, v20
	v_min_u32_e32 v22, 32, v22
	v_lshrrev_b16_e32 v21, 3, v14
	v_subrev_u32_e32 v23, 28, v22
	v_and_b32_e32 v21, 15, v21
	v_lshlrev_b32_e32 v14, v23, v14
	v_sub_u32_e32 v22, 29, v22
	v_and_b32_e32 v14, 7, v14
	v_cmp_eq_u16_e32 vcc, 0, v21
	v_cndmask_b32_e32 v14, v20, v14, vcc
	v_cndmask_b32_e32 v20, v21, v22, vcc
	v_lshlrev_b32_e32 v21, 16, v11
	v_mov_b32_e32 v22, 0x3b800000
	v_lshlrev_b32_e32 v14, 20, v14
	v_and_b32_e32 v21, 0x80000000, v21
	v_lshl_add_u32 v20, v20, 23, v22
	v_or3_b32 v20, v21, v20, v14
.LBB37_48:
	s_or_b64 exec, exec, s[6:7]
	s_nop 0
	v_mfma_f32_16x16x4f32 a[0:3], v10, v20, a[0:3]
	s_movk_i32 s4, 0xff
	v_and_b32_sdwa v14, v15, s4 dst_sel:DWORD dst_unused:UNUSED_PAD src0_sel:WORD_1 src1_sel:DWORD
	s_movk_i32 s4, 0x7f
	v_cmp_lt_i16_e32 vcc, s4, v14
	s_mov_b64 s[4:5], 0
                                        ; implicit-def: $sgpr10
	s_and_saveexec_b64 s[6:7], vcc
	s_xor_b64 s[6:7], exec, s[6:7]
	s_cbranch_execnz .LBB37_2097
; %bb.49:
	s_or_saveexec_b64 s[6:7], s[6:7]
	v_mov_b32_e32 v10, s10
	s_xor_b64 exec, exec, s[6:7]
	s_cbranch_execnz .LBB37_2100
.LBB37_50:
	s_or_b64 exec, exec, s[6:7]
	s_and_saveexec_b64 s[6:7], s[4:5]
	s_cbranch_execz .LBB37_52
.LBB37_51:
	v_bfe_u32 v10, v15, 16, 3
	v_ffbh_u32_e32 v21, v10
	v_min_u32_e32 v21, 32, v21
	v_lshrrev_b32_e32 v14, 19, v15
	v_subrev_u32_e32 v22, 28, v21
	v_and_b32_e32 v14, 15, v14
	v_lshlrev_b32_sdwa v22, v22, v15 dst_sel:DWORD dst_unused:UNUSED_PAD src0_sel:DWORD src1_sel:WORD_1
	v_bfe_u32 v20, v15, 19, 4
	v_sub_u32_e32 v21, 29, v21
	v_and_b32_e32 v22, 7, v22
	v_cmp_eq_u16_e32 vcc, 0, v14
	v_cndmask_b32_e32 v10, v10, v22, vcc
	v_cndmask_b32_e32 v14, v20, v21, vcc
	v_lshlrev_b32_e32 v20, 8, v15
	v_mov_b32_e32 v21, 0x3b800000
	v_lshlrev_b32_e32 v10, 20, v10
	v_and_b32_e32 v20, 0x80000000, v20
	v_lshl_add_u32 v14, v14, 23, v21
	v_or3_b32 v10, v20, v14, v10
.LBB37_52:
	s_or_b64 exec, exec, s[6:7]
	s_movk_i32 s4, 0xff
	v_and_b32_sdwa v14, v11, s4 dst_sel:DWORD dst_unused:UNUSED_PAD src0_sel:WORD_1 src1_sel:DWORD
	s_movk_i32 s4, 0x7f
	v_cmp_lt_i16_e32 vcc, s4, v14
	s_mov_b64 s[4:5], 0
                                        ; implicit-def: $sgpr10
	s_and_saveexec_b64 s[6:7], vcc
	s_xor_b64 s[6:7], exec, s[6:7]
	s_cbranch_execnz .LBB37_2101
; %bb.53:
	s_or_saveexec_b64 s[6:7], s[6:7]
	v_mov_b32_e32 v20, s10
	s_xor_b64 exec, exec, s[6:7]
	s_cbranch_execnz .LBB37_2104
.LBB37_54:
	s_or_b64 exec, exec, s[6:7]
	s_and_saveexec_b64 s[6:7], s[4:5]
	s_cbranch_execz .LBB37_56
.LBB37_55:
	v_bfe_u32 v14, v11, 16, 3
	v_ffbh_u32_e32 v22, v14
	v_min_u32_e32 v22, 32, v22
	v_lshrrev_b32_e32 v20, 19, v11
	v_subrev_u32_e32 v23, 28, v22
	v_and_b32_e32 v20, 15, v20
	v_lshlrev_b32_sdwa v23, v23, v11 dst_sel:DWORD dst_unused:UNUSED_PAD src0_sel:DWORD src1_sel:WORD_1
	v_bfe_u32 v21, v11, 19, 4
	v_sub_u32_e32 v22, 29, v22
	v_and_b32_e32 v23, 7, v23
	v_cmp_eq_u16_e32 vcc, 0, v20
	v_cndmask_b32_e32 v14, v14, v23, vcc
	v_cndmask_b32_e32 v20, v21, v22, vcc
	v_lshlrev_b32_e32 v21, 8, v11
	v_mov_b32_e32 v22, 0x3b800000
	v_lshlrev_b32_e32 v14, 20, v14
	v_and_b32_e32 v21, 0x80000000, v21
	v_lshl_add_u32 v20, v20, 23, v22
	v_or3_b32 v20, v21, v20, v14
.LBB37_56:
	s_or_b64 exec, exec, s[6:7]
	s_nop 0
	v_mfma_f32_16x16x4f32 a[0:3], v10, v20, a[0:3]
	s_movk_i32 s4, 0x7f
	v_cmp_gt_i16_sdwa s[6:7], v15, s4 src0_sel:BYTE_3 src1_sel:DWORD
	s_mov_b64 s[4:5], 0
                                        ; implicit-def: $sgpr10
	s_and_saveexec_b64 s[8:9], s[6:7]
	s_xor_b64 s[6:7], exec, s[8:9]
	s_cbranch_execnz .LBB37_2105
; %bb.57:
	s_or_saveexec_b64 s[6:7], s[6:7]
	v_mov_b32_e32 v10, s10
	s_xor_b64 exec, exec, s[6:7]
	s_cbranch_execnz .LBB37_2108
.LBB37_58:
	s_or_b64 exec, exec, s[6:7]
	s_and_saveexec_b64 s[6:7], s[4:5]
	s_cbranch_execz .LBB37_60
.LBB37_59:
	v_bfe_u32 v10, v15, 24, 3
	v_ffbh_u32_e32 v22, v10
	v_min_u32_e32 v22, 32, v22
	v_lshrrev_b32_e32 v20, 27, v15
	v_subrev_u32_e32 v23, 28, v22
	v_and_b32_e32 v14, 0x80000000, v15
	v_and_b32_e32 v20, 15, v20
	v_bfe_u32 v21, v15, 27, 4
	v_lshlrev_b32_sdwa v15, v23, v15 dst_sel:DWORD dst_unused:UNUSED_PAD src0_sel:DWORD src1_sel:BYTE_3
	v_sub_u32_e32 v22, 29, v22
	v_and_b32_e32 v15, 7, v15
	v_cmp_eq_u16_e32 vcc, 0, v20
	v_cndmask_b32_e32 v10, v10, v15, vcc
	v_cndmask_b32_e32 v15, v21, v22, vcc
	v_mov_b32_e32 v20, 0x3b800000
	v_lshlrev_b32_e32 v10, 20, v10
	v_lshl_add_u32 v15, v15, 23, v20
	v_or3_b32 v10, v14, v15, v10
.LBB37_60:
	s_or_b64 exec, exec, s[6:7]
	s_movk_i32 s4, 0x7f
	v_cmp_gt_i16_sdwa s[6:7], v11, s4 src0_sel:BYTE_3 src1_sel:DWORD
	s_mov_b64 s[4:5], 0
                                        ; implicit-def: $sgpr10
	s_and_saveexec_b64 s[8:9], s[6:7]
	s_xor_b64 s[6:7], exec, s[8:9]
	s_cbranch_execnz .LBB37_2109
; %bb.61:
	s_or_saveexec_b64 s[6:7], s[6:7]
	v_mov_b32_e32 v14, s10
	s_xor_b64 exec, exec, s[6:7]
	s_cbranch_execnz .LBB37_2112
.LBB37_62:
	s_or_b64 exec, exec, s[6:7]
	s_and_saveexec_b64 s[6:7], s[4:5]
	s_cbranch_execz .LBB37_64
.LBB37_63:
	v_bfe_u32 v14, v11, 24, 3
	v_ffbh_u32_e32 v22, v14
	v_min_u32_e32 v22, 32, v22
	v_lshrrev_b32_e32 v20, 27, v11
	v_subrev_u32_e32 v23, 28, v22
	v_and_b32_e32 v15, 0x80000000, v11
	v_and_b32_e32 v20, 15, v20
	v_bfe_u32 v21, v11, 27, 4
	v_lshlrev_b32_sdwa v11, v23, v11 dst_sel:DWORD dst_unused:UNUSED_PAD src0_sel:DWORD src1_sel:BYTE_3
	v_sub_u32_e32 v22, 29, v22
	v_and_b32_e32 v11, 7, v11
	v_cmp_eq_u16_e32 vcc, 0, v20
	v_cndmask_b32_e32 v11, v14, v11, vcc
	v_cndmask_b32_e32 v14, v21, v22, vcc
	v_mov_b32_e32 v20, 0x3b800000
	v_lshlrev_b32_e32 v11, 20, v11
	v_lshl_add_u32 v14, v14, 23, v20
	v_or3_b32 v14, v15, v14, v11
.LBB37_64:
	s_or_b64 exec, exec, s[6:7]
	s_nop 0
	v_mfma_f32_16x16x4f32 a[0:3], v10, v14, a[0:3]
	s_movk_i32 s4, 0x7f
	v_cmp_gt_i16_sdwa s[6:7], v16, s4 src0_sel:BYTE_0 src1_sel:DWORD
	s_mov_b64 s[4:5], 0
                                        ; implicit-def: $sgpr10
	s_and_saveexec_b64 s[8:9], s[6:7]
	s_xor_b64 s[6:7], exec, s[8:9]
	s_cbranch_execnz .LBB37_2113
; %bb.65:
	s_or_saveexec_b64 s[6:7], s[6:7]
	v_mov_b32_e32 v10, s10
	s_xor_b64 exec, exec, s[6:7]
	s_cbranch_execnz .LBB37_2116
.LBB37_66:
	s_or_b64 exec, exec, s[6:7]
	s_and_saveexec_b64 s[6:7], s[4:5]
	s_cbranch_execz .LBB37_68
.LBB37_67:
	v_and_b32_e32 v10, 7, v16
	v_ffbh_u32_e32 v14, v10
	v_min_u32_e32 v14, 32, v14
	v_lshrrev_b16_e32 v11, 3, v16
	v_subrev_u32_e32 v15, 28, v14
	v_and_b32_e32 v11, 15, v11
	v_lshlrev_b32_e32 v15, v15, v16
	v_sub_u32_e32 v14, 29, v14
	v_and_b32_e32 v15, 7, v15
	v_cmp_eq_u16_e32 vcc, 0, v11
	v_cndmask_b32_e32 v10, v10, v15, vcc
	v_cndmask_b32_e32 v11, v11, v14, vcc
	v_lshlrev_b32_e32 v14, 24, v16
	v_mov_b32_e32 v15, 0x3b800000
	v_lshlrev_b32_e32 v10, 20, v10
	v_and_b32_e32 v14, 0x80000000, v14
	v_lshl_add_u32 v11, v11, 23, v15
	v_or3_b32 v10, v14, v11, v10
.LBB37_68:
	s_or_b64 exec, exec, s[6:7]
	s_movk_i32 s4, 0x7f
	v_cmp_gt_i16_sdwa s[6:7], v12, s4 src0_sel:BYTE_0 src1_sel:DWORD
	s_mov_b64 s[4:5], 0
                                        ; implicit-def: $sgpr10
	s_and_saveexec_b64 s[8:9], s[6:7]
	s_xor_b64 s[6:7], exec, s[8:9]
	s_cbranch_execnz .LBB37_2117
; %bb.69:
	s_or_saveexec_b64 s[6:7], s[6:7]
	v_mov_b32_e32 v11, s10
	s_xor_b64 exec, exec, s[6:7]
	s_cbranch_execnz .LBB37_2120
.LBB37_70:
	s_or_b64 exec, exec, s[6:7]
	s_and_saveexec_b64 s[6:7], s[4:5]
	s_cbranch_execz .LBB37_72
.LBB37_71:
	v_and_b32_e32 v11, 7, v12
	v_ffbh_u32_e32 v15, v11
	v_min_u32_e32 v15, 32, v15
	v_lshrrev_b16_e32 v14, 3, v12
	v_subrev_u32_e32 v20, 28, v15
	v_and_b32_e32 v14, 15, v14
	v_lshlrev_b32_e32 v20, v20, v12
	v_sub_u32_e32 v15, 29, v15
	v_and_b32_e32 v20, 7, v20
	v_cmp_eq_u16_e32 vcc, 0, v14
	v_cndmask_b32_e32 v11, v11, v20, vcc
	v_cndmask_b32_e32 v14, v14, v15, vcc
	v_lshlrev_b32_e32 v15, 24, v12
	v_mov_b32_e32 v20, 0x3b800000
	v_lshlrev_b32_e32 v11, 20, v11
	v_and_b32_e32 v15, 0x80000000, v15
	v_lshl_add_u32 v14, v14, 23, v20
	v_or3_b32 v11, v15, v14, v11
.LBB37_72:
	s_or_b64 exec, exec, s[6:7]
	s_nop 0
	v_mfma_f32_16x16x4f32 a[0:3], v10, v11, a[0:3]
	v_lshrrev_b32_e32 v11, 8, v16
	s_movk_i32 s4, 0x7f
	v_cmp_gt_i16_sdwa s[6:7], v11, s4 src0_sel:BYTE_0 src1_sel:DWORD
	s_mov_b64 s[4:5], 0
                                        ; implicit-def: $sgpr10
	s_and_saveexec_b64 s[8:9], s[6:7]
	s_xor_b64 s[6:7], exec, s[8:9]
	s_cbranch_execnz .LBB37_2121
; %bb.73:
	s_or_saveexec_b64 s[6:7], s[6:7]
	v_mov_b32_e32 v10, s10
	s_xor_b64 exec, exec, s[6:7]
	s_cbranch_execnz .LBB37_2124
.LBB37_74:
	s_or_b64 exec, exec, s[6:7]
	s_and_saveexec_b64 s[6:7], s[4:5]
	s_cbranch_execz .LBB37_76
.LBB37_75:
	v_bfe_u32 v10, v16, 8, 3
	v_ffbh_u32_e32 v15, v10
	v_min_u32_e32 v15, 32, v15
	v_lshrrev_b16_e32 v14, 3, v11
	v_subrev_u32_e32 v20, 28, v15
	v_and_b32_e32 v14, 15, v14
	v_lshlrev_b32_e32 v11, v20, v11
	v_sub_u32_e32 v15, 29, v15
	v_and_b32_e32 v11, 7, v11
	v_cmp_eq_u16_e32 vcc, 0, v14
	v_cndmask_b32_e32 v10, v10, v11, vcc
	v_cndmask_b32_e32 v11, v14, v15, vcc
	v_lshlrev_b32_e32 v14, 16, v16
	v_mov_b32_e32 v15, 0x3b800000
	v_lshlrev_b32_e32 v10, 20, v10
	v_and_b32_e32 v14, 0x80000000, v14
	v_lshl_add_u32 v11, v11, 23, v15
	v_or3_b32 v10, v14, v11, v10
.LBB37_76:
	s_or_b64 exec, exec, s[6:7]
	v_lshrrev_b32_e32 v11, 8, v12
	s_movk_i32 s4, 0x7f
	v_cmp_gt_i16_sdwa s[6:7], v11, s4 src0_sel:BYTE_0 src1_sel:DWORD
	s_mov_b64 s[4:5], 0
                                        ; implicit-def: $sgpr10
	s_and_saveexec_b64 s[8:9], s[6:7]
	s_xor_b64 s[6:7], exec, s[8:9]
	s_cbranch_execnz .LBB37_2125
; %bb.77:
	s_or_saveexec_b64 s[6:7], s[6:7]
	v_mov_b32_e32 v14, s10
	s_xor_b64 exec, exec, s[6:7]
	s_cbranch_execnz .LBB37_2128
.LBB37_78:
	s_or_b64 exec, exec, s[6:7]
	s_and_saveexec_b64 s[6:7], s[4:5]
	s_cbranch_execz .LBB37_80
.LBB37_79:
	v_bfe_u32 v14, v12, 8, 3
	v_ffbh_u32_e32 v20, v14
	v_min_u32_e32 v20, 32, v20
	v_lshrrev_b16_e32 v15, 3, v11
	v_subrev_u32_e32 v21, 28, v20
	v_and_b32_e32 v15, 15, v15
	v_lshlrev_b32_e32 v11, v21, v11
	v_sub_u32_e32 v20, 29, v20
	v_and_b32_e32 v11, 7, v11
	v_cmp_eq_u16_e32 vcc, 0, v15
	v_cndmask_b32_e32 v11, v14, v11, vcc
	v_cndmask_b32_e32 v14, v15, v20, vcc
	v_lshlrev_b32_e32 v15, 16, v12
	v_mov_b32_e32 v20, 0x3b800000
	v_lshlrev_b32_e32 v11, 20, v11
	v_and_b32_e32 v15, 0x80000000, v15
	v_lshl_add_u32 v14, v14, 23, v20
	v_or3_b32 v14, v15, v14, v11
.LBB37_80:
	s_or_b64 exec, exec, s[6:7]
	s_nop 0
	v_mfma_f32_16x16x4f32 a[0:3], v10, v14, a[0:3]
	s_movk_i32 s4, 0xff
	v_and_b32_sdwa v11, v16, s4 dst_sel:DWORD dst_unused:UNUSED_PAD src0_sel:WORD_1 src1_sel:DWORD
	s_movk_i32 s4, 0x7f
	v_cmp_lt_i16_e32 vcc, s4, v11
	s_mov_b64 s[4:5], 0
                                        ; implicit-def: $sgpr10
	s_and_saveexec_b64 s[6:7], vcc
	s_xor_b64 s[6:7], exec, s[6:7]
	s_cbranch_execnz .LBB37_2129
; %bb.81:
	s_or_saveexec_b64 s[6:7], s[6:7]
	v_mov_b32_e32 v10, s10
	s_xor_b64 exec, exec, s[6:7]
	s_cbranch_execnz .LBB37_2132
.LBB37_82:
	s_or_b64 exec, exec, s[6:7]
	s_and_saveexec_b64 s[6:7], s[4:5]
	s_cbranch_execz .LBB37_84
.LBB37_83:
	v_bfe_u32 v10, v16, 16, 3
	v_ffbh_u32_e32 v15, v10
	v_min_u32_e32 v15, 32, v15
	v_lshrrev_b32_e32 v11, 19, v16
	v_subrev_u32_e32 v20, 28, v15
	v_and_b32_e32 v11, 15, v11
	v_lshlrev_b32_sdwa v20, v20, v16 dst_sel:DWORD dst_unused:UNUSED_PAD src0_sel:DWORD src1_sel:WORD_1
	v_bfe_u32 v14, v16, 19, 4
	v_sub_u32_e32 v15, 29, v15
	v_and_b32_e32 v20, 7, v20
	v_cmp_eq_u16_e32 vcc, 0, v11
	v_cndmask_b32_e32 v10, v10, v20, vcc
	v_cndmask_b32_e32 v11, v14, v15, vcc
	v_lshlrev_b32_e32 v14, 8, v16
	v_mov_b32_e32 v15, 0x3b800000
	v_lshlrev_b32_e32 v10, 20, v10
	v_and_b32_e32 v14, 0x80000000, v14
	v_lshl_add_u32 v11, v11, 23, v15
	v_or3_b32 v10, v14, v11, v10
.LBB37_84:
	s_or_b64 exec, exec, s[6:7]
	s_movk_i32 s4, 0xff
	v_and_b32_sdwa v11, v12, s4 dst_sel:DWORD dst_unused:UNUSED_PAD src0_sel:WORD_1 src1_sel:DWORD
	s_movk_i32 s4, 0x7f
	v_cmp_lt_i16_e32 vcc, s4, v11
	s_mov_b64 s[4:5], 0
                                        ; implicit-def: $sgpr10
	s_and_saveexec_b64 s[6:7], vcc
	s_xor_b64 s[6:7], exec, s[6:7]
	s_cbranch_execnz .LBB37_2133
; %bb.85:
	s_or_saveexec_b64 s[6:7], s[6:7]
	v_mov_b32_e32 v14, s10
	s_xor_b64 exec, exec, s[6:7]
	s_cbranch_execnz .LBB37_2136
.LBB37_86:
	s_or_b64 exec, exec, s[6:7]
	s_and_saveexec_b64 s[6:7], s[4:5]
	s_cbranch_execz .LBB37_88
.LBB37_87:
	v_bfe_u32 v11, v12, 16, 3
	v_ffbh_u32_e32 v20, v11
	v_min_u32_e32 v20, 32, v20
	v_lshrrev_b32_e32 v14, 19, v12
	v_subrev_u32_e32 v21, 28, v20
	v_and_b32_e32 v14, 15, v14
	v_lshlrev_b32_sdwa v21, v21, v12 dst_sel:DWORD dst_unused:UNUSED_PAD src0_sel:DWORD src1_sel:WORD_1
	v_bfe_u32 v15, v12, 19, 4
	v_sub_u32_e32 v20, 29, v20
	v_and_b32_e32 v21, 7, v21
	v_cmp_eq_u16_e32 vcc, 0, v14
	v_cndmask_b32_e32 v11, v11, v21, vcc
	v_cndmask_b32_e32 v14, v15, v20, vcc
	v_lshlrev_b32_e32 v15, 8, v12
	v_mov_b32_e32 v20, 0x3b800000
	v_lshlrev_b32_e32 v11, 20, v11
	v_and_b32_e32 v15, 0x80000000, v15
	v_lshl_add_u32 v14, v14, 23, v20
	v_or3_b32 v14, v15, v14, v11
.LBB37_88:
	s_or_b64 exec, exec, s[6:7]
	s_nop 0
	v_mfma_f32_16x16x4f32 a[0:3], v10, v14, a[0:3]
	s_movk_i32 s4, 0x7f
	v_cmp_gt_i16_sdwa s[6:7], v16, s4 src0_sel:BYTE_3 src1_sel:DWORD
	s_mov_b64 s[4:5], 0
                                        ; implicit-def: $sgpr10
	s_and_saveexec_b64 s[8:9], s[6:7]
	s_xor_b64 s[6:7], exec, s[8:9]
	s_cbranch_execnz .LBB37_2137
; %bb.89:
	s_or_saveexec_b64 s[6:7], s[6:7]
	v_mov_b32_e32 v10, s10
	s_xor_b64 exec, exec, s[6:7]
	s_cbranch_execnz .LBB37_2140
.LBB37_90:
	s_or_b64 exec, exec, s[6:7]
	s_and_saveexec_b64 s[6:7], s[4:5]
	s_cbranch_execz .LBB37_92
.LBB37_91:
	v_bfe_u32 v10, v16, 24, 3
	v_ffbh_u32_e32 v20, v10
	v_min_u32_e32 v20, 32, v20
	v_lshrrev_b32_e32 v14, 27, v16
	v_subrev_u32_e32 v21, 28, v20
	v_and_b32_e32 v11, 0x80000000, v16
	v_and_b32_e32 v14, 15, v14
	v_bfe_u32 v15, v16, 27, 4
	v_lshlrev_b32_sdwa v16, v21, v16 dst_sel:DWORD dst_unused:UNUSED_PAD src0_sel:DWORD src1_sel:BYTE_3
	v_sub_u32_e32 v20, 29, v20
	v_and_b32_e32 v16, 7, v16
	v_cmp_eq_u16_e32 vcc, 0, v14
	v_cndmask_b32_e32 v10, v10, v16, vcc
	v_cndmask_b32_e32 v14, v15, v20, vcc
	v_mov_b32_e32 v15, 0x3b800000
	v_lshlrev_b32_e32 v10, 20, v10
	v_lshl_add_u32 v14, v14, 23, v15
	v_or3_b32 v10, v11, v14, v10
.LBB37_92:
	s_or_b64 exec, exec, s[6:7]
	s_movk_i32 s4, 0x7f
	v_cmp_gt_i16_sdwa s[6:7], v12, s4 src0_sel:BYTE_3 src1_sel:DWORD
	s_mov_b64 s[4:5], 0
                                        ; implicit-def: $sgpr10
	s_and_saveexec_b64 s[8:9], s[6:7]
	s_xor_b64 s[6:7], exec, s[8:9]
	s_cbranch_execnz .LBB37_2141
; %bb.93:
	s_or_saveexec_b64 s[6:7], s[6:7]
	v_mov_b32_e32 v11, s10
	s_xor_b64 exec, exec, s[6:7]
	s_cbranch_execnz .LBB37_2144
.LBB37_94:
	s_or_b64 exec, exec, s[6:7]
	s_and_saveexec_b64 s[6:7], s[4:5]
	s_cbranch_execz .LBB37_96
.LBB37_95:
	v_bfe_u32 v11, v12, 24, 3
	v_ffbh_u32_e32 v20, v11
	v_min_u32_e32 v20, 32, v20
	v_lshrrev_b32_e32 v15, 27, v12
	v_subrev_u32_e32 v21, 28, v20
	v_and_b32_e32 v14, 0x80000000, v12
	v_and_b32_e32 v15, 15, v15
	v_bfe_u32 v16, v12, 27, 4
	v_lshlrev_b32_sdwa v12, v21, v12 dst_sel:DWORD dst_unused:UNUSED_PAD src0_sel:DWORD src1_sel:BYTE_3
	v_sub_u32_e32 v20, 29, v20
	v_and_b32_e32 v12, 7, v12
	v_cmp_eq_u16_e32 vcc, 0, v15
	v_cndmask_b32_e32 v11, v11, v12, vcc
	v_cndmask_b32_e32 v12, v16, v20, vcc
	v_mov_b32_e32 v15, 0x3b800000
	v_lshlrev_b32_e32 v11, 20, v11
	v_lshl_add_u32 v12, v12, 23, v15
	v_or3_b32 v11, v14, v12, v11
.LBB37_96:
	s_or_b64 exec, exec, s[6:7]
	s_nop 0
	v_mfma_f32_16x16x4f32 a[0:3], v10, v11, a[0:3]
	s_movk_i32 s4, 0x7f
	v_cmp_gt_i16_sdwa s[6:7], v17, s4 src0_sel:BYTE_0 src1_sel:DWORD
	s_mov_b64 s[4:5], 0
                                        ; implicit-def: $sgpr10
	s_and_saveexec_b64 s[8:9], s[6:7]
	s_xor_b64 s[6:7], exec, s[8:9]
	s_cbranch_execnz .LBB37_2145
; %bb.97:
	s_or_saveexec_b64 s[6:7], s[6:7]
	v_mov_b32_e32 v10, s10
	s_xor_b64 exec, exec, s[6:7]
	s_cbranch_execnz .LBB37_2148
.LBB37_98:
	s_or_b64 exec, exec, s[6:7]
	s_and_saveexec_b64 s[6:7], s[4:5]
	s_cbranch_execz .LBB37_100
.LBB37_99:
	v_and_b32_e32 v10, 7, v17
	v_ffbh_u32_e32 v12, v10
	v_min_u32_e32 v12, 32, v12
	v_lshrrev_b16_e32 v11, 3, v17
	v_subrev_u32_e32 v14, 28, v12
	v_and_b32_e32 v11, 15, v11
	v_lshlrev_b32_e32 v14, v14, v17
	v_sub_u32_e32 v12, 29, v12
	v_and_b32_e32 v14, 7, v14
	v_cmp_eq_u16_e32 vcc, 0, v11
	v_cndmask_b32_e32 v10, v10, v14, vcc
	v_cndmask_b32_e32 v11, v11, v12, vcc
	v_lshlrev_b32_e32 v12, 24, v17
	v_mov_b32_e32 v14, 0x3b800000
	v_lshlrev_b32_e32 v10, 20, v10
	v_and_b32_e32 v12, 0x80000000, v12
	v_lshl_add_u32 v11, v11, 23, v14
	v_or3_b32 v10, v12, v11, v10
.LBB37_100:
	s_or_b64 exec, exec, s[6:7]
	s_movk_i32 s4, 0x7f
	v_cmp_gt_i16_sdwa s[6:7], v13, s4 src0_sel:BYTE_0 src1_sel:DWORD
	s_mov_b64 s[4:5], 0
                                        ; implicit-def: $sgpr10
	s_and_saveexec_b64 s[8:9], s[6:7]
	s_xor_b64 s[6:7], exec, s[8:9]
	s_cbranch_execnz .LBB37_2149
; %bb.101:
	s_or_saveexec_b64 s[6:7], s[6:7]
	v_mov_b32_e32 v11, s10
	s_xor_b64 exec, exec, s[6:7]
	s_cbranch_execnz .LBB37_2152
.LBB37_102:
	s_or_b64 exec, exec, s[6:7]
	s_and_saveexec_b64 s[6:7], s[4:5]
	s_cbranch_execz .LBB37_104
.LBB37_103:
	v_and_b32_e32 v11, 7, v13
	v_ffbh_u32_e32 v14, v11
	v_min_u32_e32 v14, 32, v14
	v_lshrrev_b16_e32 v12, 3, v13
	v_subrev_u32_e32 v15, 28, v14
	v_and_b32_e32 v12, 15, v12
	v_lshlrev_b32_e32 v15, v15, v13
	v_sub_u32_e32 v14, 29, v14
	v_and_b32_e32 v15, 7, v15
	v_cmp_eq_u16_e32 vcc, 0, v12
	v_cndmask_b32_e32 v11, v11, v15, vcc
	v_cndmask_b32_e32 v12, v12, v14, vcc
	v_lshlrev_b32_e32 v14, 24, v13
	v_mov_b32_e32 v15, 0x3b800000
	v_lshlrev_b32_e32 v11, 20, v11
	v_and_b32_e32 v14, 0x80000000, v14
	v_lshl_add_u32 v12, v12, 23, v15
	v_or3_b32 v11, v14, v12, v11
.LBB37_104:
	s_or_b64 exec, exec, s[6:7]
	s_nop 0
	v_mfma_f32_16x16x4f32 a[0:3], v10, v11, a[0:3]
	v_lshrrev_b32_e32 v11, 8, v17
	s_movk_i32 s4, 0x7f
	v_cmp_gt_i16_sdwa s[6:7], v11, s4 src0_sel:BYTE_0 src1_sel:DWORD
	s_mov_b64 s[4:5], 0
                                        ; implicit-def: $sgpr10
	s_and_saveexec_b64 s[8:9], s[6:7]
	s_xor_b64 s[6:7], exec, s[8:9]
	s_cbranch_execnz .LBB37_2153
; %bb.105:
	s_or_saveexec_b64 s[6:7], s[6:7]
	v_mov_b32_e32 v10, s10
	s_xor_b64 exec, exec, s[6:7]
	s_cbranch_execnz .LBB37_2156
.LBB37_106:
	s_or_b64 exec, exec, s[6:7]
	s_and_saveexec_b64 s[6:7], s[4:5]
	s_cbranch_execz .LBB37_108
.LBB37_107:
	v_bfe_u32 v10, v17, 8, 3
	v_ffbh_u32_e32 v14, v10
	v_min_u32_e32 v14, 32, v14
	v_lshrrev_b16_e32 v12, 3, v11
	v_subrev_u32_e32 v15, 28, v14
	v_and_b32_e32 v12, 15, v12
	v_lshlrev_b32_e32 v11, v15, v11
	v_sub_u32_e32 v14, 29, v14
	v_and_b32_e32 v11, 7, v11
	v_cmp_eq_u16_e32 vcc, 0, v12
	v_cndmask_b32_e32 v10, v10, v11, vcc
	v_cndmask_b32_e32 v11, v12, v14, vcc
	v_lshlrev_b32_e32 v12, 16, v17
	v_mov_b32_e32 v14, 0x3b800000
	v_lshlrev_b32_e32 v10, 20, v10
	v_and_b32_e32 v12, 0x80000000, v12
	v_lshl_add_u32 v11, v11, 23, v14
	v_or3_b32 v10, v12, v11, v10
.LBB37_108:
	s_or_b64 exec, exec, s[6:7]
	v_lshrrev_b32_e32 v11, 8, v13
	s_movk_i32 s4, 0x7f
	v_cmp_gt_i16_sdwa s[6:7], v11, s4 src0_sel:BYTE_0 src1_sel:DWORD
	s_mov_b64 s[4:5], 0
                                        ; implicit-def: $sgpr10
	s_and_saveexec_b64 s[8:9], s[6:7]
	s_xor_b64 s[6:7], exec, s[8:9]
	s_cbranch_execnz .LBB37_2157
; %bb.109:
	s_or_saveexec_b64 s[6:7], s[6:7]
	v_mov_b32_e32 v12, s10
	s_xor_b64 exec, exec, s[6:7]
	s_cbranch_execnz .LBB37_2160
.LBB37_110:
	s_or_b64 exec, exec, s[6:7]
	s_and_saveexec_b64 s[6:7], s[4:5]
	s_cbranch_execz .LBB37_112
.LBB37_111:
	v_bfe_u32 v12, v13, 8, 3
	v_ffbh_u32_e32 v15, v12
	v_min_u32_e32 v15, 32, v15
	v_lshrrev_b16_e32 v14, 3, v11
	v_subrev_u32_e32 v16, 28, v15
	v_and_b32_e32 v14, 15, v14
	v_lshlrev_b32_e32 v11, v16, v11
	v_sub_u32_e32 v15, 29, v15
	v_and_b32_e32 v11, 7, v11
	v_cmp_eq_u16_e32 vcc, 0, v14
	v_cndmask_b32_e32 v11, v12, v11, vcc
	v_cndmask_b32_e32 v12, v14, v15, vcc
	v_lshlrev_b32_e32 v14, 16, v13
	v_mov_b32_e32 v15, 0x3b800000
	v_lshlrev_b32_e32 v11, 20, v11
	v_and_b32_e32 v14, 0x80000000, v14
	v_lshl_add_u32 v12, v12, 23, v15
	v_or3_b32 v12, v14, v12, v11
.LBB37_112:
	s_or_b64 exec, exec, s[6:7]
	s_nop 0
	v_mfma_f32_16x16x4f32 a[0:3], v10, v12, a[0:3]
	s_movk_i32 s4, 0xff
	v_and_b32_sdwa v11, v17, s4 dst_sel:DWORD dst_unused:UNUSED_PAD src0_sel:WORD_1 src1_sel:DWORD
	s_movk_i32 s4, 0x7f
	v_cmp_lt_i16_e32 vcc, s4, v11
	s_mov_b64 s[4:5], 0
                                        ; implicit-def: $sgpr10
	s_and_saveexec_b64 s[6:7], vcc
	s_xor_b64 s[6:7], exec, s[6:7]
	s_cbranch_execnz .LBB37_2161
; %bb.113:
	s_or_saveexec_b64 s[6:7], s[6:7]
	v_mov_b32_e32 v10, s10
	s_xor_b64 exec, exec, s[6:7]
	s_cbranch_execnz .LBB37_2164
.LBB37_114:
	s_or_b64 exec, exec, s[6:7]
	s_and_saveexec_b64 s[6:7], s[4:5]
	s_cbranch_execz .LBB37_116
.LBB37_115:
	v_bfe_u32 v10, v17, 16, 3
	v_ffbh_u32_e32 v14, v10
	v_min_u32_e32 v14, 32, v14
	v_lshrrev_b32_e32 v11, 19, v17
	v_subrev_u32_e32 v15, 28, v14
	v_and_b32_e32 v11, 15, v11
	v_lshlrev_b32_sdwa v15, v15, v17 dst_sel:DWORD dst_unused:UNUSED_PAD src0_sel:DWORD src1_sel:WORD_1
	v_bfe_u32 v12, v17, 19, 4
	v_sub_u32_e32 v14, 29, v14
	v_and_b32_e32 v15, 7, v15
	v_cmp_eq_u16_e32 vcc, 0, v11
	v_cndmask_b32_e32 v10, v10, v15, vcc
	v_cndmask_b32_e32 v11, v12, v14, vcc
	v_lshlrev_b32_e32 v12, 8, v17
	v_mov_b32_e32 v14, 0x3b800000
	v_lshlrev_b32_e32 v10, 20, v10
	v_and_b32_e32 v12, 0x80000000, v12
	v_lshl_add_u32 v11, v11, 23, v14
	v_or3_b32 v10, v12, v11, v10
.LBB37_116:
	s_or_b64 exec, exec, s[6:7]
	s_movk_i32 s4, 0xff
	v_and_b32_sdwa v11, v13, s4 dst_sel:DWORD dst_unused:UNUSED_PAD src0_sel:WORD_1 src1_sel:DWORD
	s_movk_i32 s4, 0x7f
	v_cmp_lt_i16_e32 vcc, s4, v11
	s_mov_b64 s[4:5], 0
                                        ; implicit-def: $sgpr10
	s_and_saveexec_b64 s[6:7], vcc
	s_xor_b64 s[6:7], exec, s[6:7]
	s_cbranch_execnz .LBB37_2165
; %bb.117:
	s_or_saveexec_b64 s[6:7], s[6:7]
	v_mov_b32_e32 v12, s10
	s_xor_b64 exec, exec, s[6:7]
	s_cbranch_execnz .LBB37_2168
.LBB37_118:
	s_or_b64 exec, exec, s[6:7]
	s_and_saveexec_b64 s[6:7], s[4:5]
	s_cbranch_execz .LBB37_120
.LBB37_119:
	v_bfe_u32 v11, v13, 16, 3
	v_ffbh_u32_e32 v15, v11
	v_min_u32_e32 v15, 32, v15
	v_lshrrev_b32_e32 v12, 19, v13
	v_subrev_u32_e32 v16, 28, v15
	v_and_b32_e32 v12, 15, v12
	v_lshlrev_b32_sdwa v16, v16, v13 dst_sel:DWORD dst_unused:UNUSED_PAD src0_sel:DWORD src1_sel:WORD_1
	v_bfe_u32 v14, v13, 19, 4
	v_sub_u32_e32 v15, 29, v15
	v_and_b32_e32 v16, 7, v16
	v_cmp_eq_u16_e32 vcc, 0, v12
	v_cndmask_b32_e32 v11, v11, v16, vcc
	v_cndmask_b32_e32 v12, v14, v15, vcc
	v_lshlrev_b32_e32 v14, 8, v13
	v_mov_b32_e32 v15, 0x3b800000
	v_lshlrev_b32_e32 v11, 20, v11
	v_and_b32_e32 v14, 0x80000000, v14
	v_lshl_add_u32 v12, v12, 23, v15
	v_or3_b32 v12, v14, v12, v11
.LBB37_120:
	s_or_b64 exec, exec, s[6:7]
	s_nop 0
	v_mfma_f32_16x16x4f32 a[0:3], v10, v12, a[0:3]
	s_movk_i32 s4, 0x7f
	v_cmp_gt_i16_sdwa s[6:7], v17, s4 src0_sel:BYTE_3 src1_sel:DWORD
	s_mov_b64 s[4:5], 0
                                        ; implicit-def: $sgpr10
	s_and_saveexec_b64 s[8:9], s[6:7]
	s_xor_b64 s[6:7], exec, s[8:9]
	s_cbranch_execnz .LBB37_2169
; %bb.121:
	s_or_saveexec_b64 s[6:7], s[6:7]
	v_mov_b32_e32 v10, s10
	s_xor_b64 exec, exec, s[6:7]
	s_cbranch_execnz .LBB37_2172
.LBB37_122:
	s_or_b64 exec, exec, s[6:7]
	s_and_saveexec_b64 s[6:7], s[4:5]
	s_cbranch_execz .LBB37_124
.LBB37_123:
	v_bfe_u32 v10, v17, 24, 3
	v_ffbh_u32_e32 v15, v10
	v_min_u32_e32 v15, 32, v15
	v_lshrrev_b32_e32 v12, 27, v17
	v_subrev_u32_e32 v16, 28, v15
	v_and_b32_e32 v12, 15, v12
	v_lshlrev_b32_sdwa v16, v16, v17 dst_sel:DWORD dst_unused:UNUSED_PAD src0_sel:DWORD src1_sel:BYTE_3
	v_bfe_u32 v14, v17, 27, 4
	v_sub_u32_e32 v15, 29, v15
	v_and_b32_e32 v16, 7, v16
	v_cmp_eq_u16_e32 vcc, 0, v12
	v_cndmask_b32_e32 v10, v10, v16, vcc
	v_cndmask_b32_e32 v12, v14, v15, vcc
	v_mov_b32_e32 v14, 0x3b800000
	v_and_b32_e32 v11, 0x80000000, v17
	v_lshlrev_b32_e32 v10, 20, v10
	v_lshl_add_u32 v12, v12, 23, v14
	v_or3_b32 v10, v11, v12, v10
.LBB37_124:
	s_or_b64 exec, exec, s[6:7]
	s_movk_i32 s4, 0x7f
	v_cmp_gt_i16_sdwa s[6:7], v13, s4 src0_sel:BYTE_3 src1_sel:DWORD
	s_mov_b64 s[4:5], 0
                                        ; implicit-def: $sgpr10
	s_and_saveexec_b64 s[8:9], s[6:7]
	s_xor_b64 s[6:7], exec, s[8:9]
	s_cbranch_execnz .LBB37_2173
; %bb.125:
	s_or_saveexec_b64 s[6:7], s[6:7]
	v_mov_b32_e32 v11, s10
	s_xor_b64 exec, exec, s[6:7]
	s_cbranch_execnz .LBB37_2176
.LBB37_126:
	s_or_b64 exec, exec, s[6:7]
	s_and_saveexec_b64 s[6:7], s[4:5]
	s_cbranch_execz .LBB37_128
.LBB37_127:
	v_bfe_u32 v11, v13, 24, 3
	v_ffbh_u32_e32 v16, v11
	v_min_u32_e32 v16, 32, v16
	v_lshrrev_b32_e32 v14, 27, v13
	v_subrev_u32_e32 v17, 28, v16
	v_and_b32_e32 v12, 0x80000000, v13
	v_and_b32_e32 v14, 15, v14
	v_bfe_u32 v15, v13, 27, 4
	v_lshlrev_b32_sdwa v13, v17, v13 dst_sel:DWORD dst_unused:UNUSED_PAD src0_sel:DWORD src1_sel:BYTE_3
	v_sub_u32_e32 v16, 29, v16
	v_and_b32_e32 v13, 7, v13
	v_cmp_eq_u16_e32 vcc, 0, v14
	v_cndmask_b32_e32 v11, v11, v13, vcc
	v_cndmask_b32_e32 v13, v15, v16, vcc
	v_mov_b32_e32 v14, 0x3b800000
	v_lshlrev_b32_e32 v11, 20, v11
	v_lshl_add_u32 v13, v13, 23, v14
	v_or3_b32 v11, v12, v13, v11
.LBB37_128:
	s_or_b64 exec, exec, s[6:7]
	s_nop 0
	v_mfma_f32_16x16x4f32 a[0:3], v10, v11, a[0:3]
	s_movk_i32 s4, 0x7f
	v_cmp_gt_i16_sdwa s[6:7], v6, s4 src0_sel:BYTE_0 src1_sel:DWORD
	s_mov_b64 s[4:5], 0
                                        ; implicit-def: $sgpr10
	s_and_saveexec_b64 s[8:9], s[6:7]
	s_xor_b64 s[6:7], exec, s[8:9]
	s_cbranch_execnz .LBB37_2177
; %bb.129:
	s_or_saveexec_b64 s[6:7], s[6:7]
	v_mov_b32_e32 v10, s10
	s_xor_b64 exec, exec, s[6:7]
	s_cbranch_execnz .LBB37_2180
.LBB37_130:
	s_or_b64 exec, exec, s[6:7]
	s_and_saveexec_b64 s[6:7], s[4:5]
	s_cbranch_execz .LBB37_132
.LBB37_131:
	v_and_b32_e32 v10, 7, v6
	v_ffbh_u32_e32 v12, v10
	v_min_u32_e32 v12, 32, v12
	v_lshrrev_b16_e32 v11, 3, v6
	v_subrev_u32_e32 v13, 28, v12
	v_and_b32_e32 v11, 15, v11
	v_lshlrev_b32_e32 v13, v13, v6
	v_sub_u32_e32 v12, 29, v12
	v_and_b32_e32 v13, 7, v13
	v_cmp_eq_u16_e32 vcc, 0, v11
	v_cndmask_b32_e32 v10, v10, v13, vcc
	v_cndmask_b32_e32 v11, v11, v12, vcc
	v_lshlrev_b32_e32 v12, 24, v6
	v_mov_b32_e32 v13, 0x3b800000
	v_lshlrev_b32_e32 v10, 20, v10
	v_and_b32_e32 v12, 0x80000000, v12
	v_lshl_add_u32 v11, v11, 23, v13
	v_or3_b32 v10, v12, v11, v10
.LBB37_132:
	s_or_b64 exec, exec, s[6:7]
	s_movk_i32 s4, 0x7f
	v_cmp_gt_i16_sdwa s[6:7], v2, s4 src0_sel:BYTE_0 src1_sel:DWORD
	s_mov_b64 s[4:5], 0
                                        ; implicit-def: $sgpr10
	s_and_saveexec_b64 s[8:9], s[6:7]
	s_xor_b64 s[6:7], exec, s[8:9]
	s_cbranch_execnz .LBB37_2181
; %bb.133:
	s_or_saveexec_b64 s[6:7], s[6:7]
	v_mov_b32_e32 v11, s10
	s_xor_b64 exec, exec, s[6:7]
	s_cbranch_execnz .LBB37_2184
.LBB37_134:
	s_or_b64 exec, exec, s[6:7]
	s_and_saveexec_b64 s[6:7], s[4:5]
	s_cbranch_execz .LBB37_136
.LBB37_135:
	v_and_b32_e32 v11, 7, v2
	v_ffbh_u32_e32 v13, v11
	v_min_u32_e32 v13, 32, v13
	v_lshrrev_b16_e32 v12, 3, v2
	v_subrev_u32_e32 v14, 28, v13
	v_and_b32_e32 v12, 15, v12
	v_lshlrev_b32_e32 v14, v14, v2
	v_sub_u32_e32 v13, 29, v13
	v_and_b32_e32 v14, 7, v14
	v_cmp_eq_u16_e32 vcc, 0, v12
	v_cndmask_b32_e32 v11, v11, v14, vcc
	v_cndmask_b32_e32 v12, v12, v13, vcc
	v_lshlrev_b32_e32 v13, 24, v2
	v_mov_b32_e32 v14, 0x3b800000
	v_lshlrev_b32_e32 v11, 20, v11
	v_and_b32_e32 v13, 0x80000000, v13
	v_lshl_add_u32 v12, v12, 23, v14
	v_or3_b32 v11, v13, v12, v11
.LBB37_136:
	s_or_b64 exec, exec, s[6:7]
	s_nop 0
	v_mfma_f32_16x16x4f32 a[0:3], v10, v11, a[0:3]
	v_lshrrev_b32_e32 v11, 8, v6
	s_movk_i32 s4, 0x7f
	v_cmp_gt_i16_sdwa s[6:7], v11, s4 src0_sel:BYTE_0 src1_sel:DWORD
	s_mov_b64 s[4:5], 0
                                        ; implicit-def: $sgpr10
	s_and_saveexec_b64 s[8:9], s[6:7]
	s_xor_b64 s[6:7], exec, s[8:9]
	s_cbranch_execnz .LBB37_2185
; %bb.137:
	s_or_saveexec_b64 s[6:7], s[6:7]
	v_mov_b32_e32 v10, s10
	s_xor_b64 exec, exec, s[6:7]
	s_cbranch_execnz .LBB37_2188
.LBB37_138:
	s_or_b64 exec, exec, s[6:7]
	s_and_saveexec_b64 s[6:7], s[4:5]
	s_cbranch_execz .LBB37_140
.LBB37_139:
	v_bfe_u32 v10, v6, 8, 3
	v_ffbh_u32_e32 v13, v10
	v_min_u32_e32 v13, 32, v13
	v_lshrrev_b16_e32 v12, 3, v11
	v_subrev_u32_e32 v14, 28, v13
	v_and_b32_e32 v12, 15, v12
	v_lshlrev_b32_e32 v11, v14, v11
	v_sub_u32_e32 v13, 29, v13
	v_and_b32_e32 v11, 7, v11
	v_cmp_eq_u16_e32 vcc, 0, v12
	v_cndmask_b32_e32 v10, v10, v11, vcc
	v_cndmask_b32_e32 v11, v12, v13, vcc
	v_lshlrev_b32_e32 v12, 16, v6
	v_mov_b32_e32 v13, 0x3b800000
	v_lshlrev_b32_e32 v10, 20, v10
	v_and_b32_e32 v12, 0x80000000, v12
	v_lshl_add_u32 v11, v11, 23, v13
	v_or3_b32 v10, v12, v11, v10
.LBB37_140:
	s_or_b64 exec, exec, s[6:7]
	v_lshrrev_b32_e32 v11, 8, v2
	s_movk_i32 s4, 0x7f
	v_cmp_gt_i16_sdwa s[6:7], v11, s4 src0_sel:BYTE_0 src1_sel:DWORD
	s_mov_b64 s[4:5], 0
                                        ; implicit-def: $sgpr10
	s_and_saveexec_b64 s[8:9], s[6:7]
	s_xor_b64 s[6:7], exec, s[8:9]
	s_cbranch_execnz .LBB37_2189
; %bb.141:
	s_or_saveexec_b64 s[6:7], s[6:7]
	v_mov_b32_e32 v12, s10
	s_xor_b64 exec, exec, s[6:7]
	s_cbranch_execnz .LBB37_2192
.LBB37_142:
	s_or_b64 exec, exec, s[6:7]
	s_and_saveexec_b64 s[6:7], s[4:5]
	s_cbranch_execz .LBB37_144
.LBB37_143:
	v_bfe_u32 v12, v2, 8, 3
	v_ffbh_u32_e32 v14, v12
	v_min_u32_e32 v14, 32, v14
	v_lshrrev_b16_e32 v13, 3, v11
	v_subrev_u32_e32 v15, 28, v14
	v_and_b32_e32 v13, 15, v13
	v_lshlrev_b32_e32 v11, v15, v11
	v_sub_u32_e32 v14, 29, v14
	v_and_b32_e32 v11, 7, v11
	v_cmp_eq_u16_e32 vcc, 0, v13
	v_cndmask_b32_e32 v11, v12, v11, vcc
	v_cndmask_b32_e32 v12, v13, v14, vcc
	v_lshlrev_b32_e32 v13, 16, v2
	v_mov_b32_e32 v14, 0x3b800000
	v_lshlrev_b32_e32 v11, 20, v11
	v_and_b32_e32 v13, 0x80000000, v13
	v_lshl_add_u32 v12, v12, 23, v14
	v_or3_b32 v12, v13, v12, v11
.LBB37_144:
	s_or_b64 exec, exec, s[6:7]
	s_nop 0
	v_mfma_f32_16x16x4f32 a[0:3], v10, v12, a[0:3]
	s_movk_i32 s4, 0xff
	v_and_b32_sdwa v11, v6, s4 dst_sel:DWORD dst_unused:UNUSED_PAD src0_sel:WORD_1 src1_sel:DWORD
	s_movk_i32 s4, 0x7f
	v_cmp_lt_i16_e32 vcc, s4, v11
	s_mov_b64 s[4:5], 0
                                        ; implicit-def: $sgpr10
	s_and_saveexec_b64 s[6:7], vcc
	s_xor_b64 s[6:7], exec, s[6:7]
	s_cbranch_execnz .LBB37_2193
; %bb.145:
	s_or_saveexec_b64 s[6:7], s[6:7]
	v_mov_b32_e32 v10, s10
	s_xor_b64 exec, exec, s[6:7]
	s_cbranch_execnz .LBB37_2196
.LBB37_146:
	s_or_b64 exec, exec, s[6:7]
	s_and_saveexec_b64 s[6:7], s[4:5]
	s_cbranch_execz .LBB37_148
.LBB37_147:
	v_bfe_u32 v10, v6, 16, 3
	v_ffbh_u32_e32 v13, v10
	v_min_u32_e32 v13, 32, v13
	v_lshrrev_b32_e32 v11, 19, v6
	v_subrev_u32_e32 v14, 28, v13
	v_and_b32_e32 v11, 15, v11
	v_lshlrev_b32_sdwa v14, v14, v6 dst_sel:DWORD dst_unused:UNUSED_PAD src0_sel:DWORD src1_sel:WORD_1
	v_bfe_u32 v12, v6, 19, 4
	v_sub_u32_e32 v13, 29, v13
	v_and_b32_e32 v14, 7, v14
	v_cmp_eq_u16_e32 vcc, 0, v11
	v_cndmask_b32_e32 v10, v10, v14, vcc
	v_cndmask_b32_e32 v11, v12, v13, vcc
	v_lshlrev_b32_e32 v12, 8, v6
	v_mov_b32_e32 v13, 0x3b800000
	v_lshlrev_b32_e32 v10, 20, v10
	v_and_b32_e32 v12, 0x80000000, v12
	v_lshl_add_u32 v11, v11, 23, v13
	v_or3_b32 v10, v12, v11, v10
.LBB37_148:
	s_or_b64 exec, exec, s[6:7]
	s_movk_i32 s4, 0xff
	v_and_b32_sdwa v11, v2, s4 dst_sel:DWORD dst_unused:UNUSED_PAD src0_sel:WORD_1 src1_sel:DWORD
	s_movk_i32 s4, 0x7f
	v_cmp_lt_i16_e32 vcc, s4, v11
	s_mov_b64 s[4:5], 0
                                        ; implicit-def: $sgpr10
	s_and_saveexec_b64 s[6:7], vcc
	s_xor_b64 s[6:7], exec, s[6:7]
	s_cbranch_execnz .LBB37_2197
; %bb.149:
	s_or_saveexec_b64 s[6:7], s[6:7]
	v_mov_b32_e32 v12, s10
	s_xor_b64 exec, exec, s[6:7]
	s_cbranch_execnz .LBB37_2200
.LBB37_150:
	s_or_b64 exec, exec, s[6:7]
	s_and_saveexec_b64 s[6:7], s[4:5]
	s_cbranch_execz .LBB37_152
.LBB37_151:
	v_bfe_u32 v11, v2, 16, 3
	v_ffbh_u32_e32 v14, v11
	v_min_u32_e32 v14, 32, v14
	v_lshrrev_b32_e32 v12, 19, v2
	v_subrev_u32_e32 v15, 28, v14
	v_and_b32_e32 v12, 15, v12
	v_lshlrev_b32_sdwa v15, v15, v2 dst_sel:DWORD dst_unused:UNUSED_PAD src0_sel:DWORD src1_sel:WORD_1
	v_bfe_u32 v13, v2, 19, 4
	v_sub_u32_e32 v14, 29, v14
	v_and_b32_e32 v15, 7, v15
	v_cmp_eq_u16_e32 vcc, 0, v12
	v_cndmask_b32_e32 v11, v11, v15, vcc
	v_cndmask_b32_e32 v12, v13, v14, vcc
	v_lshlrev_b32_e32 v13, 8, v2
	v_mov_b32_e32 v14, 0x3b800000
	v_lshlrev_b32_e32 v11, 20, v11
	v_and_b32_e32 v13, 0x80000000, v13
	v_lshl_add_u32 v12, v12, 23, v14
	v_or3_b32 v12, v13, v12, v11
.LBB37_152:
	s_or_b64 exec, exec, s[6:7]
	s_nop 0
	v_mfma_f32_16x16x4f32 a[0:3], v10, v12, a[0:3]
	s_movk_i32 s4, 0x7f
	v_cmp_gt_i16_sdwa s[6:7], v6, s4 src0_sel:BYTE_3 src1_sel:DWORD
	s_mov_b64 s[4:5], 0
                                        ; implicit-def: $sgpr10
	s_and_saveexec_b64 s[8:9], s[6:7]
	s_xor_b64 s[6:7], exec, s[8:9]
	s_cbranch_execnz .LBB37_2201
; %bb.153:
	s_or_saveexec_b64 s[6:7], s[6:7]
	v_mov_b32_e32 v10, s10
	s_xor_b64 exec, exec, s[6:7]
	s_cbranch_execnz .LBB37_2204
.LBB37_154:
	s_or_b64 exec, exec, s[6:7]
	s_and_saveexec_b64 s[6:7], s[4:5]
	s_cbranch_execz .LBB37_156
.LBB37_155:
	v_bfe_u32 v10, v6, 24, 3
	v_ffbh_u32_e32 v14, v10
	v_min_u32_e32 v14, 32, v14
	v_lshrrev_b32_e32 v12, 27, v6
	v_subrev_u32_e32 v15, 28, v14
	v_and_b32_e32 v11, 0x80000000, v6
	v_and_b32_e32 v12, 15, v12
	v_bfe_u32 v13, v6, 27, 4
	v_lshlrev_b32_sdwa v6, v15, v6 dst_sel:DWORD dst_unused:UNUSED_PAD src0_sel:DWORD src1_sel:BYTE_3
	v_sub_u32_e32 v14, 29, v14
	v_and_b32_e32 v6, 7, v6
	v_cmp_eq_u16_e32 vcc, 0, v12
	v_cndmask_b32_e32 v6, v10, v6, vcc
	v_cndmask_b32_e32 v10, v13, v14, vcc
	v_mov_b32_e32 v12, 0x3b800000
	v_lshlrev_b32_e32 v6, 20, v6
	v_lshl_add_u32 v10, v10, 23, v12
	v_or3_b32 v10, v11, v10, v6
.LBB37_156:
	s_or_b64 exec, exec, s[6:7]
	s_movk_i32 s4, 0x7f
	v_cmp_gt_i16_sdwa s[6:7], v2, s4 src0_sel:BYTE_3 src1_sel:DWORD
	s_mov_b64 s[4:5], 0
                                        ; implicit-def: $sgpr10
	s_and_saveexec_b64 s[8:9], s[6:7]
	s_xor_b64 s[6:7], exec, s[8:9]
	s_cbranch_execnz .LBB37_2205
; %bb.157:
	s_or_saveexec_b64 s[6:7], s[6:7]
	v_mov_b32_e32 v6, s10
	s_xor_b64 exec, exec, s[6:7]
	s_cbranch_execnz .LBB37_2208
.LBB37_158:
	s_or_b64 exec, exec, s[6:7]
	s_and_saveexec_b64 s[6:7], s[4:5]
	s_cbranch_execz .LBB37_160
.LBB37_159:
	v_bfe_u32 v6, v2, 24, 3
	v_ffbh_u32_e32 v14, v6
	v_min_u32_e32 v14, 32, v14
	v_lshrrev_b32_e32 v12, 27, v2
	v_subrev_u32_e32 v15, 28, v14
	v_and_b32_e32 v11, 0x80000000, v2
	v_and_b32_e32 v12, 15, v12
	v_bfe_u32 v13, v2, 27, 4
	v_lshlrev_b32_sdwa v2, v15, v2 dst_sel:DWORD dst_unused:UNUSED_PAD src0_sel:DWORD src1_sel:BYTE_3
	v_sub_u32_e32 v14, 29, v14
	v_and_b32_e32 v2, 7, v2
	v_cmp_eq_u16_e32 vcc, 0, v12
	v_cndmask_b32_e32 v2, v6, v2, vcc
	v_cndmask_b32_e32 v6, v13, v14, vcc
	v_mov_b32_e32 v12, 0x3b800000
	v_lshlrev_b32_e32 v2, 20, v2
	v_lshl_add_u32 v6, v6, 23, v12
	v_or3_b32 v6, v11, v6, v2
.LBB37_160:
	s_or_b64 exec, exec, s[6:7]
	s_nop 0
	v_mfma_f32_16x16x4f32 a[0:3], v10, v6, a[0:3]
	s_movk_i32 s4, 0x7f
	v_cmp_gt_i16_sdwa s[6:7], v7, s4 src0_sel:BYTE_0 src1_sel:DWORD
	s_mov_b64 s[4:5], 0
                                        ; implicit-def: $sgpr10
	s_and_saveexec_b64 s[8:9], s[6:7]
	s_xor_b64 s[6:7], exec, s[8:9]
	s_cbranch_execnz .LBB37_2209
; %bb.161:
	s_or_saveexec_b64 s[6:7], s[6:7]
	v_mov_b32_e32 v2, s10
	s_xor_b64 exec, exec, s[6:7]
	s_cbranch_execnz .LBB37_2212
.LBB37_162:
	s_or_b64 exec, exec, s[6:7]
	s_and_saveexec_b64 s[6:7], s[4:5]
	s_cbranch_execz .LBB37_164
.LBB37_163:
	v_and_b32_e32 v2, 7, v7
	v_ffbh_u32_e32 v10, v2
	v_min_u32_e32 v10, 32, v10
	v_lshrrev_b16_e32 v6, 3, v7
	v_subrev_u32_e32 v11, 28, v10
	v_and_b32_e32 v6, 15, v6
	v_lshlrev_b32_e32 v11, v11, v7
	v_sub_u32_e32 v10, 29, v10
	v_and_b32_e32 v11, 7, v11
	v_cmp_eq_u16_e32 vcc, 0, v6
	v_cndmask_b32_e32 v2, v2, v11, vcc
	v_cndmask_b32_e32 v6, v6, v10, vcc
	v_lshlrev_b32_e32 v10, 24, v7
	v_mov_b32_e32 v11, 0x3b800000
	v_lshlrev_b32_e32 v2, 20, v2
	v_and_b32_e32 v10, 0x80000000, v10
	v_lshl_add_u32 v6, v6, 23, v11
	v_or3_b32 v2, v10, v6, v2
.LBB37_164:
	s_or_b64 exec, exec, s[6:7]
	s_movk_i32 s4, 0x7f
	v_cmp_gt_i16_sdwa s[6:7], v3, s4 src0_sel:BYTE_0 src1_sel:DWORD
	s_mov_b64 s[4:5], 0
                                        ; implicit-def: $sgpr10
	s_and_saveexec_b64 s[8:9], s[6:7]
	s_xor_b64 s[6:7], exec, s[8:9]
	s_cbranch_execnz .LBB37_2213
; %bb.165:
	s_or_saveexec_b64 s[6:7], s[6:7]
	v_mov_b32_e32 v6, s10
	s_xor_b64 exec, exec, s[6:7]
	s_cbranch_execnz .LBB37_2216
.LBB37_166:
	s_or_b64 exec, exec, s[6:7]
	s_and_saveexec_b64 s[6:7], s[4:5]
	s_cbranch_execz .LBB37_168
.LBB37_167:
	v_and_b32_e32 v6, 7, v3
	v_ffbh_u32_e32 v11, v6
	v_min_u32_e32 v11, 32, v11
	v_lshrrev_b16_e32 v10, 3, v3
	v_subrev_u32_e32 v12, 28, v11
	v_and_b32_e32 v10, 15, v10
	v_lshlrev_b32_e32 v12, v12, v3
	v_sub_u32_e32 v11, 29, v11
	v_and_b32_e32 v12, 7, v12
	v_cmp_eq_u16_e32 vcc, 0, v10
	v_cndmask_b32_e32 v6, v6, v12, vcc
	v_cndmask_b32_e32 v10, v10, v11, vcc
	v_lshlrev_b32_e32 v11, 24, v3
	v_mov_b32_e32 v12, 0x3b800000
	v_lshlrev_b32_e32 v6, 20, v6
	v_and_b32_e32 v11, 0x80000000, v11
	v_lshl_add_u32 v10, v10, 23, v12
	v_or3_b32 v6, v11, v10, v6
.LBB37_168:
	s_or_b64 exec, exec, s[6:7]
	s_nop 0
	v_mfma_f32_16x16x4f32 a[0:3], v2, v6, a[0:3]
	v_lshrrev_b32_e32 v6, 8, v7
	s_movk_i32 s4, 0x7f
	v_cmp_gt_i16_sdwa s[6:7], v6, s4 src0_sel:BYTE_0 src1_sel:DWORD
	s_mov_b64 s[4:5], 0
                                        ; implicit-def: $sgpr10
	s_and_saveexec_b64 s[8:9], s[6:7]
	s_xor_b64 s[6:7], exec, s[8:9]
	s_cbranch_execnz .LBB37_2217
; %bb.169:
	s_or_saveexec_b64 s[6:7], s[6:7]
	v_mov_b32_e32 v2, s10
	s_xor_b64 exec, exec, s[6:7]
	s_cbranch_execnz .LBB37_2220
.LBB37_170:
	s_or_b64 exec, exec, s[6:7]
	s_and_saveexec_b64 s[6:7], s[4:5]
	s_cbranch_execz .LBB37_172
.LBB37_171:
	v_bfe_u32 v2, v7, 8, 3
	v_ffbh_u32_e32 v11, v2
	v_min_u32_e32 v11, 32, v11
	v_lshrrev_b16_e32 v10, 3, v6
	v_subrev_u32_e32 v12, 28, v11
	v_and_b32_e32 v10, 15, v10
	v_lshlrev_b32_e32 v6, v12, v6
	v_sub_u32_e32 v11, 29, v11
	v_and_b32_e32 v6, 7, v6
	v_cmp_eq_u16_e32 vcc, 0, v10
	v_cndmask_b32_e32 v2, v2, v6, vcc
	v_cndmask_b32_e32 v6, v10, v11, vcc
	v_lshlrev_b32_e32 v10, 16, v7
	v_mov_b32_e32 v11, 0x3b800000
	v_lshlrev_b32_e32 v2, 20, v2
	v_and_b32_e32 v10, 0x80000000, v10
	v_lshl_add_u32 v6, v6, 23, v11
	v_or3_b32 v2, v10, v6, v2
.LBB37_172:
	s_or_b64 exec, exec, s[6:7]
	v_lshrrev_b32_e32 v6, 8, v3
	s_movk_i32 s4, 0x7f
	v_cmp_gt_i16_sdwa s[6:7], v6, s4 src0_sel:BYTE_0 src1_sel:DWORD
	s_mov_b64 s[4:5], 0
                                        ; implicit-def: $sgpr10
	s_and_saveexec_b64 s[8:9], s[6:7]
	s_xor_b64 s[6:7], exec, s[8:9]
	s_cbranch_execnz .LBB37_2221
; %bb.173:
	s_or_saveexec_b64 s[6:7], s[6:7]
	v_mov_b32_e32 v10, s10
	s_xor_b64 exec, exec, s[6:7]
	s_cbranch_execnz .LBB37_2224
.LBB37_174:
	s_or_b64 exec, exec, s[6:7]
	s_and_saveexec_b64 s[6:7], s[4:5]
	s_cbranch_execz .LBB37_176
.LBB37_175:
	v_bfe_u32 v10, v3, 8, 3
	v_ffbh_u32_e32 v12, v10
	v_min_u32_e32 v12, 32, v12
	v_lshrrev_b16_e32 v11, 3, v6
	v_subrev_u32_e32 v13, 28, v12
	v_and_b32_e32 v11, 15, v11
	v_lshlrev_b32_e32 v6, v13, v6
	v_sub_u32_e32 v12, 29, v12
	v_and_b32_e32 v6, 7, v6
	v_cmp_eq_u16_e32 vcc, 0, v11
	v_cndmask_b32_e32 v6, v10, v6, vcc
	v_cndmask_b32_e32 v10, v11, v12, vcc
	v_lshlrev_b32_e32 v11, 16, v3
	v_mov_b32_e32 v12, 0x3b800000
	v_lshlrev_b32_e32 v6, 20, v6
	v_and_b32_e32 v11, 0x80000000, v11
	v_lshl_add_u32 v10, v10, 23, v12
	v_or3_b32 v10, v11, v10, v6
.LBB37_176:
	s_or_b64 exec, exec, s[6:7]
	s_nop 0
	v_mfma_f32_16x16x4f32 a[0:3], v2, v10, a[0:3]
	s_movk_i32 s4, 0xff
	v_and_b32_sdwa v6, v7, s4 dst_sel:DWORD dst_unused:UNUSED_PAD src0_sel:WORD_1 src1_sel:DWORD
	s_movk_i32 s4, 0x7f
	v_cmp_lt_i16_e32 vcc, s4, v6
	s_mov_b64 s[4:5], 0
                                        ; implicit-def: $sgpr10
	s_and_saveexec_b64 s[6:7], vcc
	s_xor_b64 s[6:7], exec, s[6:7]
	s_cbranch_execnz .LBB37_2225
; %bb.177:
	s_or_saveexec_b64 s[6:7], s[6:7]
	v_mov_b32_e32 v2, s10
	s_xor_b64 exec, exec, s[6:7]
	s_cbranch_execnz .LBB37_2228
.LBB37_178:
	s_or_b64 exec, exec, s[6:7]
	s_and_saveexec_b64 s[6:7], s[4:5]
	s_cbranch_execz .LBB37_180
.LBB37_179:
	v_bfe_u32 v2, v7, 16, 3
	v_ffbh_u32_e32 v11, v2
	v_min_u32_e32 v11, 32, v11
	v_lshrrev_b32_e32 v6, 19, v7
	v_subrev_u32_e32 v12, 28, v11
	v_and_b32_e32 v6, 15, v6
	v_lshlrev_b32_sdwa v12, v12, v7 dst_sel:DWORD dst_unused:UNUSED_PAD src0_sel:DWORD src1_sel:WORD_1
	v_bfe_u32 v10, v7, 19, 4
	v_sub_u32_e32 v11, 29, v11
	v_and_b32_e32 v12, 7, v12
	v_cmp_eq_u16_e32 vcc, 0, v6
	v_cndmask_b32_e32 v2, v2, v12, vcc
	v_cndmask_b32_e32 v6, v10, v11, vcc
	v_lshlrev_b32_e32 v10, 8, v7
	v_mov_b32_e32 v11, 0x3b800000
	v_lshlrev_b32_e32 v2, 20, v2
	v_and_b32_e32 v10, 0x80000000, v10
	v_lshl_add_u32 v6, v6, 23, v11
	v_or3_b32 v2, v10, v6, v2
.LBB37_180:
	s_or_b64 exec, exec, s[6:7]
	s_movk_i32 s4, 0xff
	v_and_b32_sdwa v6, v3, s4 dst_sel:DWORD dst_unused:UNUSED_PAD src0_sel:WORD_1 src1_sel:DWORD
	s_movk_i32 s4, 0x7f
	v_cmp_lt_i16_e32 vcc, s4, v6
	s_mov_b64 s[4:5], 0
                                        ; implicit-def: $sgpr10
	s_and_saveexec_b64 s[6:7], vcc
	s_xor_b64 s[6:7], exec, s[6:7]
	s_cbranch_execnz .LBB37_2229
; %bb.181:
	s_or_saveexec_b64 s[6:7], s[6:7]
	v_mov_b32_e32 v10, s10
	s_xor_b64 exec, exec, s[6:7]
	s_cbranch_execnz .LBB37_2232
.LBB37_182:
	s_or_b64 exec, exec, s[6:7]
	s_and_saveexec_b64 s[6:7], s[4:5]
	s_cbranch_execz .LBB37_184
.LBB37_183:
	v_bfe_u32 v6, v3, 16, 3
	v_ffbh_u32_e32 v12, v6
	v_min_u32_e32 v12, 32, v12
	v_lshrrev_b32_e32 v10, 19, v3
	v_subrev_u32_e32 v13, 28, v12
	v_and_b32_e32 v10, 15, v10
	v_lshlrev_b32_sdwa v13, v13, v3 dst_sel:DWORD dst_unused:UNUSED_PAD src0_sel:DWORD src1_sel:WORD_1
	v_bfe_u32 v11, v3, 19, 4
	v_sub_u32_e32 v12, 29, v12
	v_and_b32_e32 v13, 7, v13
	v_cmp_eq_u16_e32 vcc, 0, v10
	v_cndmask_b32_e32 v6, v6, v13, vcc
	v_cndmask_b32_e32 v10, v11, v12, vcc
	v_lshlrev_b32_e32 v11, 8, v3
	v_mov_b32_e32 v12, 0x3b800000
	v_lshlrev_b32_e32 v6, 20, v6
	v_and_b32_e32 v11, 0x80000000, v11
	v_lshl_add_u32 v10, v10, 23, v12
	v_or3_b32 v10, v11, v10, v6
.LBB37_184:
	s_or_b64 exec, exec, s[6:7]
	s_nop 0
	v_mfma_f32_16x16x4f32 a[0:3], v2, v10, a[0:3]
	s_movk_i32 s4, 0x7f
	v_cmp_gt_i16_sdwa s[6:7], v7, s4 src0_sel:BYTE_3 src1_sel:DWORD
	s_mov_b64 s[4:5], 0
                                        ; implicit-def: $sgpr10
	s_and_saveexec_b64 s[8:9], s[6:7]
	s_xor_b64 s[6:7], exec, s[8:9]
	s_cbranch_execnz .LBB37_2233
; %bb.185:
	s_or_saveexec_b64 s[6:7], s[6:7]
	v_mov_b32_e32 v2, s10
	s_xor_b64 exec, exec, s[6:7]
	s_cbranch_execnz .LBB37_2236
.LBB37_186:
	s_or_b64 exec, exec, s[6:7]
	s_and_saveexec_b64 s[6:7], s[4:5]
	s_cbranch_execz .LBB37_188
.LBB37_187:
	v_bfe_u32 v2, v7, 24, 3
	v_ffbh_u32_e32 v12, v2
	v_min_u32_e32 v12, 32, v12
	v_lshrrev_b32_e32 v10, 27, v7
	v_subrev_u32_e32 v13, 28, v12
	v_and_b32_e32 v6, 0x80000000, v7
	v_and_b32_e32 v10, 15, v10
	v_bfe_u32 v11, v7, 27, 4
	v_lshlrev_b32_sdwa v7, v13, v7 dst_sel:DWORD dst_unused:UNUSED_PAD src0_sel:DWORD src1_sel:BYTE_3
	v_sub_u32_e32 v12, 29, v12
	v_and_b32_e32 v7, 7, v7
	v_cmp_eq_u16_e32 vcc, 0, v10
	v_cndmask_b32_e32 v2, v2, v7, vcc
	v_cndmask_b32_e32 v7, v11, v12, vcc
	v_mov_b32_e32 v10, 0x3b800000
	v_lshlrev_b32_e32 v2, 20, v2
	v_lshl_add_u32 v7, v7, 23, v10
	v_or3_b32 v2, v6, v7, v2
.LBB37_188:
	s_or_b64 exec, exec, s[6:7]
	s_movk_i32 s4, 0x7f
	v_cmp_gt_i16_sdwa s[6:7], v3, s4 src0_sel:BYTE_3 src1_sel:DWORD
	s_mov_b64 s[4:5], 0
                                        ; implicit-def: $sgpr10
	s_and_saveexec_b64 s[8:9], s[6:7]
	s_xor_b64 s[6:7], exec, s[8:9]
	s_cbranch_execnz .LBB37_2237
; %bb.189:
	s_or_saveexec_b64 s[6:7], s[6:7]
	v_mov_b32_e32 v6, s10
	s_xor_b64 exec, exec, s[6:7]
	s_cbranch_execnz .LBB37_2240
.LBB37_190:
	s_or_b64 exec, exec, s[6:7]
	s_and_saveexec_b64 s[6:7], s[4:5]
	s_cbranch_execz .LBB37_192
.LBB37_191:
	v_bfe_u32 v6, v3, 24, 3
	v_ffbh_u32_e32 v12, v6
	v_min_u32_e32 v12, 32, v12
	v_lshrrev_b32_e32 v10, 27, v3
	v_subrev_u32_e32 v13, 28, v12
	v_and_b32_e32 v7, 0x80000000, v3
	v_and_b32_e32 v10, 15, v10
	v_bfe_u32 v11, v3, 27, 4
	v_lshlrev_b32_sdwa v3, v13, v3 dst_sel:DWORD dst_unused:UNUSED_PAD src0_sel:DWORD src1_sel:BYTE_3
	v_sub_u32_e32 v12, 29, v12
	v_and_b32_e32 v3, 7, v3
	v_cmp_eq_u16_e32 vcc, 0, v10
	v_cndmask_b32_e32 v3, v6, v3, vcc
	v_cndmask_b32_e32 v6, v11, v12, vcc
	v_mov_b32_e32 v10, 0x3b800000
	v_lshlrev_b32_e32 v3, 20, v3
	v_lshl_add_u32 v6, v6, 23, v10
	v_or3_b32 v6, v7, v6, v3
.LBB37_192:
	s_or_b64 exec, exec, s[6:7]
	s_nop 0
	v_mfma_f32_16x16x4f32 a[0:3], v2, v6, a[0:3]
	s_movk_i32 s4, 0x7f
	v_cmp_gt_i16_sdwa s[6:7], v8, s4 src0_sel:BYTE_0 src1_sel:DWORD
	s_mov_b64 s[4:5], 0
                                        ; implicit-def: $sgpr10
	s_and_saveexec_b64 s[8:9], s[6:7]
	s_xor_b64 s[6:7], exec, s[8:9]
	s_cbranch_execnz .LBB37_2241
; %bb.193:
	s_or_saveexec_b64 s[6:7], s[6:7]
	v_mov_b32_e32 v2, s10
	s_xor_b64 exec, exec, s[6:7]
	s_cbranch_execnz .LBB37_2244
.LBB37_194:
	s_or_b64 exec, exec, s[6:7]
	s_and_saveexec_b64 s[6:7], s[4:5]
	s_cbranch_execz .LBB37_196
.LBB37_195:
	v_and_b32_e32 v2, 7, v8
	v_ffbh_u32_e32 v6, v2
	v_min_u32_e32 v6, 32, v6
	v_lshrrev_b16_e32 v3, 3, v8
	v_subrev_u32_e32 v7, 28, v6
	v_and_b32_e32 v3, 15, v3
	v_lshlrev_b32_e32 v7, v7, v8
	v_sub_u32_e32 v6, 29, v6
	v_and_b32_e32 v7, 7, v7
	v_cmp_eq_u16_e32 vcc, 0, v3
	v_cndmask_b32_e32 v2, v2, v7, vcc
	v_cndmask_b32_e32 v3, v3, v6, vcc
	v_lshlrev_b32_e32 v6, 24, v8
	v_mov_b32_e32 v7, 0x3b800000
	v_lshlrev_b32_e32 v2, 20, v2
	v_and_b32_e32 v6, 0x80000000, v6
	v_lshl_add_u32 v3, v3, 23, v7
	v_or3_b32 v2, v6, v3, v2
.LBB37_196:
	s_or_b64 exec, exec, s[6:7]
	s_movk_i32 s4, 0x7f
	v_cmp_gt_i16_sdwa s[6:7], v4, s4 src0_sel:BYTE_0 src1_sel:DWORD
	s_mov_b64 s[4:5], 0
                                        ; implicit-def: $sgpr10
	s_and_saveexec_b64 s[8:9], s[6:7]
	s_xor_b64 s[6:7], exec, s[8:9]
	s_cbranch_execnz .LBB37_2245
; %bb.197:
	s_or_saveexec_b64 s[6:7], s[6:7]
	v_mov_b32_e32 v3, s10
	s_xor_b64 exec, exec, s[6:7]
	s_cbranch_execnz .LBB37_2248
.LBB37_198:
	s_or_b64 exec, exec, s[6:7]
	s_and_saveexec_b64 s[6:7], s[4:5]
	s_cbranch_execz .LBB37_200
.LBB37_199:
	v_and_b32_e32 v3, 7, v4
	v_ffbh_u32_e32 v7, v3
	v_min_u32_e32 v7, 32, v7
	v_lshrrev_b16_e32 v6, 3, v4
	v_subrev_u32_e32 v10, 28, v7
	v_and_b32_e32 v6, 15, v6
	v_lshlrev_b32_e32 v10, v10, v4
	v_sub_u32_e32 v7, 29, v7
	v_and_b32_e32 v10, 7, v10
	v_cmp_eq_u16_e32 vcc, 0, v6
	v_cndmask_b32_e32 v3, v3, v10, vcc
	v_cndmask_b32_e32 v6, v6, v7, vcc
	v_lshlrev_b32_e32 v7, 24, v4
	v_mov_b32_e32 v10, 0x3b800000
	v_lshlrev_b32_e32 v3, 20, v3
	v_and_b32_e32 v7, 0x80000000, v7
	v_lshl_add_u32 v6, v6, 23, v10
	v_or3_b32 v3, v7, v6, v3
.LBB37_200:
	s_or_b64 exec, exec, s[6:7]
	s_nop 0
	v_mfma_f32_16x16x4f32 a[0:3], v2, v3, a[0:3]
	v_lshrrev_b32_e32 v3, 8, v8
	s_movk_i32 s4, 0x7f
	v_cmp_gt_i16_sdwa s[6:7], v3, s4 src0_sel:BYTE_0 src1_sel:DWORD
	s_mov_b64 s[4:5], 0
                                        ; implicit-def: $sgpr10
	s_and_saveexec_b64 s[8:9], s[6:7]
	s_xor_b64 s[6:7], exec, s[8:9]
	s_cbranch_execnz .LBB37_2249
; %bb.201:
	s_or_saveexec_b64 s[6:7], s[6:7]
	v_mov_b32_e32 v2, s10
	s_xor_b64 exec, exec, s[6:7]
	s_cbranch_execnz .LBB37_2252
.LBB37_202:
	s_or_b64 exec, exec, s[6:7]
	s_and_saveexec_b64 s[6:7], s[4:5]
	s_cbranch_execz .LBB37_204
.LBB37_203:
	v_bfe_u32 v2, v8, 8, 3
	v_ffbh_u32_e32 v7, v2
	v_min_u32_e32 v7, 32, v7
	v_lshrrev_b16_e32 v6, 3, v3
	v_subrev_u32_e32 v10, 28, v7
	v_and_b32_e32 v6, 15, v6
	v_lshlrev_b32_e32 v3, v10, v3
	v_sub_u32_e32 v7, 29, v7
	v_and_b32_e32 v3, 7, v3
	v_cmp_eq_u16_e32 vcc, 0, v6
	v_cndmask_b32_e32 v2, v2, v3, vcc
	v_cndmask_b32_e32 v3, v6, v7, vcc
	v_lshlrev_b32_e32 v6, 16, v8
	v_mov_b32_e32 v7, 0x3b800000
	v_lshlrev_b32_e32 v2, 20, v2
	v_and_b32_e32 v6, 0x80000000, v6
	v_lshl_add_u32 v3, v3, 23, v7
	v_or3_b32 v2, v6, v3, v2
.LBB37_204:
	s_or_b64 exec, exec, s[6:7]
	v_lshrrev_b32_e32 v3, 8, v4
	s_movk_i32 s4, 0x7f
	v_cmp_gt_i16_sdwa s[6:7], v3, s4 src0_sel:BYTE_0 src1_sel:DWORD
	s_mov_b64 s[4:5], 0
                                        ; implicit-def: $sgpr10
	s_and_saveexec_b64 s[8:9], s[6:7]
	s_xor_b64 s[6:7], exec, s[8:9]
	s_cbranch_execnz .LBB37_2253
; %bb.205:
	s_or_saveexec_b64 s[6:7], s[6:7]
	v_mov_b32_e32 v6, s10
	s_xor_b64 exec, exec, s[6:7]
	s_cbranch_execnz .LBB37_2256
.LBB37_206:
	s_or_b64 exec, exec, s[6:7]
	s_and_saveexec_b64 s[6:7], s[4:5]
	s_cbranch_execz .LBB37_208
.LBB37_207:
	v_bfe_u32 v6, v4, 8, 3
	v_ffbh_u32_e32 v10, v6
	v_min_u32_e32 v10, 32, v10
	v_lshrrev_b16_e32 v7, 3, v3
	v_subrev_u32_e32 v11, 28, v10
	v_and_b32_e32 v7, 15, v7
	v_lshlrev_b32_e32 v3, v11, v3
	v_sub_u32_e32 v10, 29, v10
	v_and_b32_e32 v3, 7, v3
	v_cmp_eq_u16_e32 vcc, 0, v7
	v_cndmask_b32_e32 v3, v6, v3, vcc
	v_cndmask_b32_e32 v6, v7, v10, vcc
	v_lshlrev_b32_e32 v7, 16, v4
	v_mov_b32_e32 v10, 0x3b800000
	v_lshlrev_b32_e32 v3, 20, v3
	v_and_b32_e32 v7, 0x80000000, v7
	v_lshl_add_u32 v6, v6, 23, v10
	v_or3_b32 v6, v7, v6, v3
.LBB37_208:
	s_or_b64 exec, exec, s[6:7]
	s_nop 0
	v_mfma_f32_16x16x4f32 a[0:3], v2, v6, a[0:3]
	s_movk_i32 s4, 0xff
	v_and_b32_sdwa v3, v8, s4 dst_sel:DWORD dst_unused:UNUSED_PAD src0_sel:WORD_1 src1_sel:DWORD
	s_movk_i32 s4, 0x7f
	v_cmp_lt_i16_e32 vcc, s4, v3
	s_mov_b64 s[4:5], 0
                                        ; implicit-def: $sgpr10
	s_and_saveexec_b64 s[6:7], vcc
	s_xor_b64 s[6:7], exec, s[6:7]
	s_cbranch_execnz .LBB37_2257
; %bb.209:
	s_or_saveexec_b64 s[6:7], s[6:7]
	v_mov_b32_e32 v2, s10
	s_xor_b64 exec, exec, s[6:7]
	s_cbranch_execnz .LBB37_2260
.LBB37_210:
	s_or_b64 exec, exec, s[6:7]
	s_and_saveexec_b64 s[6:7], s[4:5]
	s_cbranch_execz .LBB37_212
.LBB37_211:
	v_bfe_u32 v2, v8, 16, 3
	v_ffbh_u32_e32 v7, v2
	v_min_u32_e32 v7, 32, v7
	v_lshrrev_b32_e32 v3, 19, v8
	v_subrev_u32_e32 v10, 28, v7
	v_and_b32_e32 v3, 15, v3
	v_lshlrev_b32_sdwa v10, v10, v8 dst_sel:DWORD dst_unused:UNUSED_PAD src0_sel:DWORD src1_sel:WORD_1
	v_bfe_u32 v6, v8, 19, 4
	v_sub_u32_e32 v7, 29, v7
	v_and_b32_e32 v10, 7, v10
	v_cmp_eq_u16_e32 vcc, 0, v3
	v_cndmask_b32_e32 v2, v2, v10, vcc
	v_cndmask_b32_e32 v3, v6, v7, vcc
	v_lshlrev_b32_e32 v6, 8, v8
	v_mov_b32_e32 v7, 0x3b800000
	v_lshlrev_b32_e32 v2, 20, v2
	v_and_b32_e32 v6, 0x80000000, v6
	v_lshl_add_u32 v3, v3, 23, v7
	v_or3_b32 v2, v6, v3, v2
.LBB37_212:
	s_or_b64 exec, exec, s[6:7]
	s_movk_i32 s4, 0xff
	v_and_b32_sdwa v3, v4, s4 dst_sel:DWORD dst_unused:UNUSED_PAD src0_sel:WORD_1 src1_sel:DWORD
	s_movk_i32 s4, 0x7f
	v_cmp_lt_i16_e32 vcc, s4, v3
	s_mov_b64 s[4:5], 0
                                        ; implicit-def: $sgpr10
	s_and_saveexec_b64 s[6:7], vcc
	s_xor_b64 s[6:7], exec, s[6:7]
	s_cbranch_execnz .LBB37_2261
; %bb.213:
	s_or_saveexec_b64 s[6:7], s[6:7]
	v_mov_b32_e32 v6, s10
	s_xor_b64 exec, exec, s[6:7]
	s_cbranch_execnz .LBB37_2264
.LBB37_214:
	s_or_b64 exec, exec, s[6:7]
	s_and_saveexec_b64 s[6:7], s[4:5]
	s_cbranch_execz .LBB37_216
.LBB37_215:
	v_bfe_u32 v3, v4, 16, 3
	v_ffbh_u32_e32 v10, v3
	v_min_u32_e32 v10, 32, v10
	v_lshrrev_b32_e32 v6, 19, v4
	v_subrev_u32_e32 v11, 28, v10
	v_and_b32_e32 v6, 15, v6
	v_lshlrev_b32_sdwa v11, v11, v4 dst_sel:DWORD dst_unused:UNUSED_PAD src0_sel:DWORD src1_sel:WORD_1
	v_bfe_u32 v7, v4, 19, 4
	v_sub_u32_e32 v10, 29, v10
	v_and_b32_e32 v11, 7, v11
	v_cmp_eq_u16_e32 vcc, 0, v6
	v_cndmask_b32_e32 v3, v3, v11, vcc
	v_cndmask_b32_e32 v6, v7, v10, vcc
	v_lshlrev_b32_e32 v7, 8, v4
	v_mov_b32_e32 v10, 0x3b800000
	v_lshlrev_b32_e32 v3, 20, v3
	v_and_b32_e32 v7, 0x80000000, v7
	v_lshl_add_u32 v6, v6, 23, v10
	v_or3_b32 v6, v7, v6, v3
.LBB37_216:
	s_or_b64 exec, exec, s[6:7]
	s_nop 0
	v_mfma_f32_16x16x4f32 a[0:3], v2, v6, a[0:3]
	s_movk_i32 s4, 0x7f
	v_cmp_gt_i16_sdwa s[6:7], v8, s4 src0_sel:BYTE_3 src1_sel:DWORD
	s_mov_b64 s[4:5], 0
                                        ; implicit-def: $sgpr10
	s_and_saveexec_b64 s[8:9], s[6:7]
	s_xor_b64 s[6:7], exec, s[8:9]
	s_cbranch_execnz .LBB37_2265
; %bb.217:
	s_or_saveexec_b64 s[6:7], s[6:7]
	v_mov_b32_e32 v2, s10
	s_xor_b64 exec, exec, s[6:7]
	s_cbranch_execnz .LBB37_2268
.LBB37_218:
	s_or_b64 exec, exec, s[6:7]
	s_and_saveexec_b64 s[6:7], s[4:5]
	s_cbranch_execz .LBB37_220
.LBB37_219:
	v_bfe_u32 v2, v8, 24, 3
	v_ffbh_u32_e32 v10, v2
	v_min_u32_e32 v10, 32, v10
	v_lshrrev_b32_e32 v6, 27, v8
	v_subrev_u32_e32 v11, 28, v10
	v_and_b32_e32 v3, 0x80000000, v8
	v_and_b32_e32 v6, 15, v6
	v_bfe_u32 v7, v8, 27, 4
	v_lshlrev_b32_sdwa v8, v11, v8 dst_sel:DWORD dst_unused:UNUSED_PAD src0_sel:DWORD src1_sel:BYTE_3
	v_sub_u32_e32 v10, 29, v10
	v_and_b32_e32 v8, 7, v8
	v_cmp_eq_u16_e32 vcc, 0, v6
	v_cndmask_b32_e32 v2, v2, v8, vcc
	v_cndmask_b32_e32 v6, v7, v10, vcc
	v_mov_b32_e32 v7, 0x3b800000
	v_lshlrev_b32_e32 v2, 20, v2
	v_lshl_add_u32 v6, v6, 23, v7
	v_or3_b32 v2, v3, v6, v2
.LBB37_220:
	s_or_b64 exec, exec, s[6:7]
	s_movk_i32 s4, 0x7f
	v_cmp_gt_i16_sdwa s[6:7], v4, s4 src0_sel:BYTE_3 src1_sel:DWORD
	s_mov_b64 s[4:5], 0
                                        ; implicit-def: $sgpr10
	s_and_saveexec_b64 s[8:9], s[6:7]
	s_xor_b64 s[6:7], exec, s[8:9]
	s_cbranch_execnz .LBB37_2269
; %bb.221:
	s_or_saveexec_b64 s[6:7], s[6:7]
	v_mov_b32_e32 v3, s10
	s_xor_b64 exec, exec, s[6:7]
	s_cbranch_execnz .LBB37_2272
.LBB37_222:
	s_or_b64 exec, exec, s[6:7]
	s_and_saveexec_b64 s[6:7], s[4:5]
	s_cbranch_execz .LBB37_224
.LBB37_223:
	v_bfe_u32 v3, v4, 24, 3
	v_ffbh_u32_e32 v10, v3
	v_min_u32_e32 v10, 32, v10
	v_lshrrev_b32_e32 v7, 27, v4
	v_subrev_u32_e32 v11, 28, v10
	v_and_b32_e32 v6, 0x80000000, v4
	v_and_b32_e32 v7, 15, v7
	v_bfe_u32 v8, v4, 27, 4
	v_lshlrev_b32_sdwa v4, v11, v4 dst_sel:DWORD dst_unused:UNUSED_PAD src0_sel:DWORD src1_sel:BYTE_3
	v_sub_u32_e32 v10, 29, v10
	v_and_b32_e32 v4, 7, v4
	v_cmp_eq_u16_e32 vcc, 0, v7
	v_cndmask_b32_e32 v3, v3, v4, vcc
	v_cndmask_b32_e32 v4, v8, v10, vcc
	v_mov_b32_e32 v7, 0x3b800000
	v_lshlrev_b32_e32 v3, 20, v3
	v_lshl_add_u32 v4, v4, 23, v7
	v_or3_b32 v3, v6, v4, v3
.LBB37_224:
	s_or_b64 exec, exec, s[6:7]
	s_nop 0
	v_mfma_f32_16x16x4f32 a[0:3], v2, v3, a[0:3]
	s_movk_i32 s4, 0x7f
	v_cmp_gt_i16_sdwa s[6:7], v9, s4 src0_sel:BYTE_0 src1_sel:DWORD
	s_mov_b64 s[4:5], 0
                                        ; implicit-def: $sgpr10
	s_and_saveexec_b64 s[8:9], s[6:7]
	s_xor_b64 s[6:7], exec, s[8:9]
	s_cbranch_execnz .LBB37_2273
; %bb.225:
	s_or_saveexec_b64 s[6:7], s[6:7]
	v_mov_b32_e32 v2, s10
	s_xor_b64 exec, exec, s[6:7]
	s_cbranch_execnz .LBB37_2276
.LBB37_226:
	s_or_b64 exec, exec, s[6:7]
	s_and_saveexec_b64 s[6:7], s[4:5]
	s_cbranch_execz .LBB37_228
.LBB37_227:
	v_mov_b32_e32 v2, 8
	v_and_b32_e32 v3, 7, v9
	v_lshrrev_b32_sdwa v2, v2, v9 dst_sel:BYTE_1 dst_unused:UNUSED_PAD src0_sel:DWORD src1_sel:DWORD
	v_ffbh_u32_e32 v4, v3
	v_or_b32_sdwa v2, v9, v2 dst_sel:DWORD dst_unused:UNUSED_PAD src0_sel:BYTE_0 src1_sel:DWORD
	v_min_u32_e32 v4, 32, v4
	v_lshrrev_b16_e32 v2, 3, v2
	v_subrev_u32_e32 v6, 28, v4
	v_and_b32_e32 v2, 15, v2
	v_lshlrev_b32_e32 v6, v6, v9
	v_sub_u32_e32 v4, 29, v4
	v_and_b32_e32 v6, 7, v6
	v_cmp_eq_u16_e32 vcc, 0, v2
	v_cndmask_b32_e32 v3, v3, v6, vcc
	v_cndmask_b32_e32 v2, v2, v4, vcc
	v_lshlrev_b32_e32 v4, 24, v9
	v_mov_b32_e32 v6, 0x3b800000
	v_lshlrev_b32_e32 v3, 20, v3
	v_and_b32_e32 v4, 0x80000000, v4
	v_lshl_add_u32 v2, v2, 23, v6
	v_or3_b32 v2, v4, v2, v3
.LBB37_228:
	s_or_b64 exec, exec, s[6:7]
	s_movk_i32 s4, 0x7f
	v_cmp_gt_i16_sdwa s[6:7], v5, s4 src0_sel:BYTE_0 src1_sel:DWORD
	s_mov_b64 s[4:5], 0
                                        ; implicit-def: $sgpr10
	s_and_saveexec_b64 s[8:9], s[6:7]
	s_xor_b64 s[6:7], exec, s[8:9]
	s_cbranch_execnz .LBB37_2277
; %bb.229:
	s_or_saveexec_b64 s[6:7], s[6:7]
	v_mov_b32_e32 v3, s10
	s_xor_b64 exec, exec, s[6:7]
	s_cbranch_execnz .LBB37_2280
.LBB37_230:
	s_or_b64 exec, exec, s[6:7]
	s_and_saveexec_b64 s[6:7], s[4:5]
	s_cbranch_execz .LBB37_232
.LBB37_231:
	v_mov_b32_e32 v3, 8
	v_and_b32_e32 v4, 7, v5
	v_lshrrev_b32_sdwa v3, v3, v5 dst_sel:BYTE_1 dst_unused:UNUSED_PAD src0_sel:DWORD src1_sel:DWORD
	v_ffbh_u32_e32 v6, v4
	v_or_b32_sdwa v3, v5, v3 dst_sel:DWORD dst_unused:UNUSED_PAD src0_sel:BYTE_0 src1_sel:DWORD
	v_min_u32_e32 v6, 32, v6
	v_lshrrev_b16_e32 v3, 3, v3
	v_subrev_u32_e32 v7, 28, v6
	v_and_b32_e32 v3, 15, v3
	v_lshlrev_b32_e32 v7, v7, v5
	v_sub_u32_e32 v6, 29, v6
	v_and_b32_e32 v7, 7, v7
	v_cmp_eq_u16_e32 vcc, 0, v3
	v_cndmask_b32_e32 v4, v4, v7, vcc
	v_cndmask_b32_e32 v3, v3, v6, vcc
	v_lshlrev_b32_e32 v6, 24, v5
	v_mov_b32_e32 v7, 0x3b800000
	v_lshlrev_b32_e32 v4, 20, v4
	v_and_b32_e32 v6, 0x80000000, v6
	v_lshl_add_u32 v3, v3, 23, v7
	v_or3_b32 v3, v6, v3, v4
.LBB37_232:
	s_or_b64 exec, exec, s[6:7]
	s_nop 0
	v_mfma_f32_16x16x4f32 a[0:3], v2, v3, a[0:3]
	v_lshrrev_b32_e32 v3, 8, v9
	s_movk_i32 s4, 0x7f
	v_cmp_gt_i16_sdwa s[6:7], v3, s4 src0_sel:BYTE_0 src1_sel:DWORD
	s_mov_b64 s[4:5], 0
                                        ; implicit-def: $sgpr10
	s_and_saveexec_b64 s[8:9], s[6:7]
	s_xor_b64 s[6:7], exec, s[8:9]
	s_cbranch_execnz .LBB37_2281
; %bb.233:
	s_or_saveexec_b64 s[6:7], s[6:7]
	v_mov_b32_e32 v2, s10
	s_xor_b64 exec, exec, s[6:7]
	s_cbranch_execnz .LBB37_2284
.LBB37_234:
	s_or_b64 exec, exec, s[6:7]
	s_and_saveexec_b64 s[6:7], s[4:5]
	s_cbranch_execz .LBB37_236
.LBB37_235:
	v_bfe_u32 v2, v9, 8, 3
	v_ffbh_u32_e32 v6, v2
	v_min_u32_e32 v6, 32, v6
	v_lshrrev_b16_e32 v4, 3, v3
	v_subrev_u32_e32 v7, 28, v6
	v_and_b32_e32 v4, 15, v4
	v_lshlrev_b32_e32 v3, v7, v3
	v_sub_u32_e32 v6, 29, v6
	v_and_b32_e32 v3, 7, v3
	v_cmp_eq_u16_e32 vcc, 0, v4
	v_cndmask_b32_e32 v2, v2, v3, vcc
	v_cndmask_b32_e32 v3, v4, v6, vcc
	v_lshlrev_b32_e32 v4, 16, v9
	v_mov_b32_e32 v6, 0x3b800000
	v_lshlrev_b32_e32 v2, 20, v2
	v_and_b32_e32 v4, 0x80000000, v4
	v_lshl_add_u32 v3, v3, 23, v6
	v_or3_b32 v2, v4, v3, v2
.LBB37_236:
	s_or_b64 exec, exec, s[6:7]
	v_lshrrev_b32_e32 v3, 8, v5
	s_movk_i32 s4, 0x7f
	v_cmp_gt_i16_sdwa s[6:7], v3, s4 src0_sel:BYTE_0 src1_sel:DWORD
	s_mov_b64 s[4:5], 0
                                        ; implicit-def: $sgpr10
	s_and_saveexec_b64 s[8:9], s[6:7]
	s_xor_b64 s[6:7], exec, s[8:9]
	s_cbranch_execnz .LBB37_2285
; %bb.237:
	s_or_saveexec_b64 s[6:7], s[6:7]
	v_mov_b32_e32 v4, s10
	s_xor_b64 exec, exec, s[6:7]
	s_cbranch_execnz .LBB37_2288
.LBB37_238:
	s_or_b64 exec, exec, s[6:7]
	s_and_saveexec_b64 s[6:7], s[4:5]
	s_cbranch_execz .LBB37_240
.LBB37_239:
	v_bfe_u32 v4, v5, 8, 3
	v_ffbh_u32_e32 v7, v4
	v_min_u32_e32 v7, 32, v7
	v_lshrrev_b16_e32 v6, 3, v3
	v_subrev_u32_e32 v8, 28, v7
	v_and_b32_e32 v6, 15, v6
	v_lshlrev_b32_e32 v3, v8, v3
	v_sub_u32_e32 v7, 29, v7
	v_and_b32_e32 v3, 7, v3
	v_cmp_eq_u16_e32 vcc, 0, v6
	v_cndmask_b32_e32 v3, v4, v3, vcc
	v_cndmask_b32_e32 v4, v6, v7, vcc
	v_lshlrev_b32_e32 v6, 16, v5
	v_mov_b32_e32 v7, 0x3b800000
	v_lshlrev_b32_e32 v3, 20, v3
	v_and_b32_e32 v6, 0x80000000, v6
	v_lshl_add_u32 v4, v4, 23, v7
	v_or3_b32 v4, v6, v4, v3
.LBB37_240:
	s_or_b64 exec, exec, s[6:7]
	s_nop 0
	v_mfma_f32_16x16x4f32 a[0:3], v2, v4, a[0:3]
	s_movk_i32 s4, 0xff
	v_and_b32_sdwa v3, v9, s4 dst_sel:DWORD dst_unused:UNUSED_PAD src0_sel:WORD_1 src1_sel:DWORD
	s_movk_i32 s4, 0x7f
	v_cmp_lt_i16_e32 vcc, s4, v3
	s_mov_b64 s[4:5], 0
                                        ; implicit-def: $sgpr10
	s_and_saveexec_b64 s[6:7], vcc
	s_xor_b64 s[6:7], exec, s[6:7]
	s_cbranch_execnz .LBB37_2289
; %bb.241:
	s_or_saveexec_b64 s[6:7], s[6:7]
	v_mov_b32_e32 v2, s10
	s_xor_b64 exec, exec, s[6:7]
	s_cbranch_execnz .LBB37_2292
.LBB37_242:
	s_or_b64 exec, exec, s[6:7]
	s_and_saveexec_b64 s[6:7], s[4:5]
	s_cbranch_execz .LBB37_244
.LBB37_243:
	v_bfe_u32 v2, v9, 16, 3
	v_ffbh_u32_e32 v6, v2
	v_min_u32_e32 v6, 32, v6
	v_lshrrev_b32_e32 v3, 19, v9
	v_subrev_u32_e32 v7, 28, v6
	v_and_b32_e32 v3, 15, v3
	v_lshlrev_b32_sdwa v7, v7, v9 dst_sel:DWORD dst_unused:UNUSED_PAD src0_sel:DWORD src1_sel:WORD_1
	v_bfe_u32 v4, v9, 19, 4
	v_sub_u32_e32 v6, 29, v6
	v_and_b32_e32 v7, 7, v7
	v_cmp_eq_u16_e32 vcc, 0, v3
	v_cndmask_b32_e32 v2, v2, v7, vcc
	v_cndmask_b32_e32 v3, v4, v6, vcc
	v_lshlrev_b32_e32 v4, 8, v9
	v_mov_b32_e32 v6, 0x3b800000
	v_lshlrev_b32_e32 v2, 20, v2
	v_and_b32_e32 v4, 0x80000000, v4
	v_lshl_add_u32 v3, v3, 23, v6
	v_or3_b32 v2, v4, v3, v2
.LBB37_244:
	s_or_b64 exec, exec, s[6:7]
	s_movk_i32 s4, 0xff
	v_and_b32_sdwa v3, v5, s4 dst_sel:DWORD dst_unused:UNUSED_PAD src0_sel:WORD_1 src1_sel:DWORD
	s_movk_i32 s4, 0x7f
	v_cmp_lt_i16_e32 vcc, s4, v3
	s_mov_b64 s[4:5], 0
                                        ; implicit-def: $sgpr10
	s_and_saveexec_b64 s[6:7], vcc
	s_xor_b64 s[6:7], exec, s[6:7]
	s_cbranch_execnz .LBB37_2293
; %bb.245:
	s_or_saveexec_b64 s[6:7], s[6:7]
	v_mov_b32_e32 v4, s10
	s_xor_b64 exec, exec, s[6:7]
	s_cbranch_execnz .LBB37_2296
.LBB37_246:
	s_or_b64 exec, exec, s[6:7]
	s_and_saveexec_b64 s[6:7], s[4:5]
	s_cbranch_execz .LBB37_248
.LBB37_247:
	v_bfe_u32 v3, v5, 16, 3
	v_ffbh_u32_e32 v7, v3
	v_min_u32_e32 v7, 32, v7
	v_lshrrev_b32_e32 v4, 19, v5
	v_subrev_u32_e32 v8, 28, v7
	v_and_b32_e32 v4, 15, v4
	v_lshlrev_b32_sdwa v8, v8, v5 dst_sel:DWORD dst_unused:UNUSED_PAD src0_sel:DWORD src1_sel:WORD_1
	v_bfe_u32 v6, v5, 19, 4
	v_sub_u32_e32 v7, 29, v7
	v_and_b32_e32 v8, 7, v8
	v_cmp_eq_u16_e32 vcc, 0, v4
	v_cndmask_b32_e32 v3, v3, v8, vcc
	v_cndmask_b32_e32 v4, v6, v7, vcc
	v_lshlrev_b32_e32 v6, 8, v5
	v_mov_b32_e32 v7, 0x3b800000
	v_lshlrev_b32_e32 v3, 20, v3
	v_and_b32_e32 v6, 0x80000000, v6
	v_lshl_add_u32 v4, v4, 23, v7
	v_or3_b32 v4, v6, v4, v3
.LBB37_248:
	s_or_b64 exec, exec, s[6:7]
	s_nop 0
	v_mfma_f32_16x16x4f32 a[0:3], v2, v4, a[0:3]
	s_movk_i32 s4, 0x7f
	v_cmp_gt_i16_sdwa s[6:7], v9, s4 src0_sel:BYTE_3 src1_sel:DWORD
	s_mov_b64 s[4:5], 0
                                        ; implicit-def: $sgpr10
	s_and_saveexec_b64 s[8:9], s[6:7]
	s_xor_b64 s[6:7], exec, s[8:9]
	s_cbranch_execnz .LBB37_2297
; %bb.249:
	s_or_saveexec_b64 s[6:7], s[6:7]
	v_mov_b32_e32 v2, s10
	s_xor_b64 exec, exec, s[6:7]
	s_cbranch_execnz .LBB37_2300
.LBB37_250:
	s_or_b64 exec, exec, s[6:7]
	s_and_saveexec_b64 s[6:7], s[4:5]
	s_cbranch_execz .LBB37_252
.LBB37_251:
	v_bfe_u32 v2, v9, 24, 3
	v_ffbh_u32_e32 v7, v2
	v_min_u32_e32 v7, 32, v7
	v_lshrrev_b32_e32 v4, 27, v9
	v_subrev_u32_e32 v8, 28, v7
	v_and_b32_e32 v4, 15, v4
	v_lshlrev_b32_sdwa v8, v8, v9 dst_sel:DWORD dst_unused:UNUSED_PAD src0_sel:DWORD src1_sel:BYTE_3
	v_bfe_u32 v6, v9, 27, 4
	v_sub_u32_e32 v7, 29, v7
	v_and_b32_e32 v8, 7, v8
	v_cmp_eq_u16_e32 vcc, 0, v4
	v_cndmask_b32_e32 v2, v2, v8, vcc
	v_cndmask_b32_e32 v4, v6, v7, vcc
	v_mov_b32_e32 v6, 0x3b800000
	v_and_b32_e32 v3, 0x80000000, v9
	v_lshlrev_b32_e32 v2, 20, v2
	v_lshl_add_u32 v4, v4, 23, v6
	v_or3_b32 v2, v3, v4, v2
.LBB37_252:
	s_or_b64 exec, exec, s[6:7]
	s_movk_i32 s4, 0x7f
	v_cmp_gt_i16_sdwa s[6:7], v5, s4 src0_sel:BYTE_3 src1_sel:DWORD
	s_mov_b64 s[4:5], 0
                                        ; implicit-def: $sgpr10
	s_and_saveexec_b64 s[8:9], s[6:7]
	s_xor_b64 s[6:7], exec, s[8:9]
	s_cbranch_execnz .LBB37_2301
; %bb.253:
	s_or_saveexec_b64 s[6:7], s[6:7]
	v_mov_b32_e32 v3, s10
	s_xor_b64 exec, exec, s[6:7]
	s_cbranch_execnz .LBB37_2304
.LBB37_254:
	s_or_b64 exec, exec, s[6:7]
	s_and_saveexec_b64 s[6:7], s[4:5]
	s_cbranch_execz .LBB37_256
.LBB37_255:
	v_bfe_u32 v3, v5, 24, 3
	v_ffbh_u32_e32 v8, v3
	v_min_u32_e32 v8, 32, v8
	v_lshrrev_b32_e32 v6, 27, v5
	v_subrev_u32_e32 v9, 28, v8
	v_and_b32_e32 v4, 0x80000000, v5
	v_and_b32_e32 v6, 15, v6
	v_bfe_u32 v7, v5, 27, 4
	v_lshlrev_b32_sdwa v5, v9, v5 dst_sel:DWORD dst_unused:UNUSED_PAD src0_sel:DWORD src1_sel:BYTE_3
	v_sub_u32_e32 v8, 29, v8
	v_and_b32_e32 v5, 7, v5
	v_cmp_eq_u16_e32 vcc, 0, v6
	v_cndmask_b32_e32 v3, v3, v5, vcc
	v_cndmask_b32_e32 v5, v7, v8, vcc
	v_mov_b32_e32 v6, 0x3b800000
	v_lshlrev_b32_e32 v3, 20, v3
	v_lshl_add_u32 v5, v5, 23, v6
	v_or3_b32 v3, v4, v5, v3
.LBB37_256:
	s_or_b64 exec, exec, s[6:7]
	s_nop 0
	v_mfma_f32_16x16x4f32 a[0:3], v2, v3, a[0:3]
	s_movk_i32 s4, 0x7f
                                        ; implicit-def: $sgpr10
	s_nop 7
	s_nop 1
	flat_store_dwordx4 v[18:19], a[0:3] offset:128
	flat_load_dwordx4 v[20:23], v[0:1] offset:16
	s_nop 0
	flat_load_dwordx2 v[18:19], v[0:1] offset:32
	s_waitcnt vmcnt(0) lgkmcnt(0)
	flat_load_dwordx4 v[14:17], v[20:21] offset:32
	flat_load_dwordx4 v[6:9], v[20:21] offset:48
	;; [unrolled: 1-line block ×4, first 2 shown]
	s_waitcnt vmcnt(0) lgkmcnt(0)
	v_cmp_gt_i16_sdwa s[6:7], v14, s4 src0_sel:BYTE_0 src1_sel:DWORD
	s_mov_b64 s[4:5], 0
	s_and_saveexec_b64 s[8:9], s[6:7]
	s_xor_b64 s[6:7], exec, s[8:9]
	s_cbranch_execnz .LBB37_2305
; %bb.257:
	s_or_saveexec_b64 s[6:7], s[6:7]
	v_mov_b32_e32 v20, s10
	s_xor_b64 exec, exec, s[6:7]
	s_cbranch_execnz .LBB37_2308
.LBB37_258:
	s_or_b64 exec, exec, s[6:7]
	s_and_saveexec_b64 s[6:7], s[4:5]
	s_cbranch_execz .LBB37_260
.LBB37_259:
	v_and_b32_e32 v20, 7, v14
	v_ffbh_u32_e32 v22, v20
	v_min_u32_e32 v22, 32, v22
	v_lshrrev_b16_e32 v21, 3, v14
	v_subrev_u32_e32 v23, 28, v22
	v_and_b32_e32 v21, 15, v21
	v_lshlrev_b32_e32 v23, v23, v14
	v_sub_u32_e32 v22, 29, v22
	v_and_b32_e32 v23, 7, v23
	v_cmp_eq_u16_e32 vcc, 0, v21
	v_cndmask_b32_e32 v20, v20, v23, vcc
	v_cndmask_b32_e32 v21, v21, v22, vcc
	v_lshlrev_b32_e32 v22, 24, v14
	v_mov_b32_e32 v23, 0x3b800000
	v_lshlrev_b32_e32 v20, 20, v20
	v_and_b32_e32 v22, 0x80000000, v22
	v_lshl_add_u32 v21, v21, 23, v23
	v_or3_b32 v20, v22, v21, v20
.LBB37_260:
	s_or_b64 exec, exec, s[6:7]
	s_movk_i32 s4, 0x7f
	v_cmp_gt_i16_sdwa s[6:7], v10, s4 src0_sel:BYTE_0 src1_sel:DWORD
	s_mov_b64 s[4:5], 0
                                        ; implicit-def: $sgpr10
	s_and_saveexec_b64 s[8:9], s[6:7]
	s_xor_b64 s[6:7], exec, s[8:9]
	s_cbranch_execnz .LBB37_2309
; %bb.261:
	s_or_saveexec_b64 s[6:7], s[6:7]
	v_mov_b32_e32 v21, s10
	s_xor_b64 exec, exec, s[6:7]
	s_cbranch_execnz .LBB37_2312
.LBB37_262:
	s_or_b64 exec, exec, s[6:7]
	s_and_saveexec_b64 s[6:7], s[4:5]
	s_cbranch_execz .LBB37_264
.LBB37_263:
	v_and_b32_e32 v21, 7, v10
	v_ffbh_u32_e32 v23, v21
	v_min_u32_e32 v23, 32, v23
	v_lshrrev_b16_e32 v22, 3, v10
	v_subrev_u32_e32 v24, 28, v23
	v_and_b32_e32 v22, 15, v22
	v_lshlrev_b32_e32 v24, v24, v10
	v_sub_u32_e32 v23, 29, v23
	v_and_b32_e32 v24, 7, v24
	v_cmp_eq_u16_e32 vcc, 0, v22
	v_cndmask_b32_e32 v21, v21, v24, vcc
	v_cndmask_b32_e32 v22, v22, v23, vcc
	v_lshlrev_b32_e32 v23, 24, v10
	v_mov_b32_e32 v24, 0x3b800000
	v_lshlrev_b32_e32 v21, 20, v21
	v_and_b32_e32 v23, 0x80000000, v23
	v_lshl_add_u32 v22, v22, 23, v24
	v_or3_b32 v21, v23, v22, v21
.LBB37_264:
	s_or_b64 exec, exec, s[6:7]
	flat_load_dwordx4 a[0:3], v[18:19] offset:144
	s_movk_i32 s4, 0x7f
                                        ; implicit-def: $sgpr10
	s_waitcnt vmcnt(0) lgkmcnt(0)
	v_mfma_f32_16x16x4f32 a[0:3], v20, v21, a[0:3]
	v_lshrrev_b32_e32 v21, 8, v14
	v_cmp_gt_i16_sdwa s[6:7], v21, s4 src0_sel:BYTE_0 src1_sel:DWORD
	s_mov_b64 s[4:5], 0
	s_and_saveexec_b64 s[8:9], s[6:7]
	s_xor_b64 s[6:7], exec, s[8:9]
	s_cbranch_execnz .LBB37_2313
; %bb.265:
	s_or_saveexec_b64 s[6:7], s[6:7]
	v_mov_b32_e32 v20, s10
	s_xor_b64 exec, exec, s[6:7]
	s_cbranch_execnz .LBB37_2316
.LBB37_266:
	s_or_b64 exec, exec, s[6:7]
	s_and_saveexec_b64 s[6:7], s[4:5]
	s_cbranch_execz .LBB37_268
.LBB37_267:
	v_bfe_u32 v20, v14, 8, 3
	v_ffbh_u32_e32 v23, v20
	v_min_u32_e32 v23, 32, v23
	v_lshrrev_b16_e32 v22, 3, v21
	v_subrev_u32_e32 v24, 28, v23
	v_and_b32_e32 v22, 15, v22
	v_lshlrev_b32_e32 v21, v24, v21
	v_sub_u32_e32 v23, 29, v23
	v_and_b32_e32 v21, 7, v21
	v_cmp_eq_u16_e32 vcc, 0, v22
	v_cndmask_b32_e32 v20, v20, v21, vcc
	v_cndmask_b32_e32 v21, v22, v23, vcc
	v_lshlrev_b32_e32 v22, 16, v14
	v_mov_b32_e32 v23, 0x3b800000
	v_lshlrev_b32_e32 v20, 20, v20
	v_and_b32_e32 v22, 0x80000000, v22
	v_lshl_add_u32 v21, v21, 23, v23
	v_or3_b32 v20, v22, v21, v20
.LBB37_268:
	s_or_b64 exec, exec, s[6:7]
	v_lshrrev_b32_e32 v21, 8, v10
	s_movk_i32 s4, 0x7f
	v_cmp_gt_i16_sdwa s[6:7], v21, s4 src0_sel:BYTE_0 src1_sel:DWORD
	s_mov_b64 s[4:5], 0
                                        ; implicit-def: $sgpr10
	s_and_saveexec_b64 s[8:9], s[6:7]
	s_xor_b64 s[6:7], exec, s[8:9]
	s_cbranch_execnz .LBB37_2317
; %bb.269:
	s_or_saveexec_b64 s[6:7], s[6:7]
	v_mov_b32_e32 v22, s10
	s_xor_b64 exec, exec, s[6:7]
	s_cbranch_execnz .LBB37_2320
.LBB37_270:
	s_or_b64 exec, exec, s[6:7]
	s_and_saveexec_b64 s[6:7], s[4:5]
	s_cbranch_execz .LBB37_272
.LBB37_271:
	v_bfe_u32 v22, v10, 8, 3
	v_ffbh_u32_e32 v24, v22
	v_min_u32_e32 v24, 32, v24
	v_lshrrev_b16_e32 v23, 3, v21
	v_subrev_u32_e32 v25, 28, v24
	v_and_b32_e32 v23, 15, v23
	v_lshlrev_b32_e32 v21, v25, v21
	v_sub_u32_e32 v24, 29, v24
	v_and_b32_e32 v21, 7, v21
	v_cmp_eq_u16_e32 vcc, 0, v23
	v_cndmask_b32_e32 v21, v22, v21, vcc
	v_cndmask_b32_e32 v22, v23, v24, vcc
	v_lshlrev_b32_e32 v23, 16, v10
	v_mov_b32_e32 v24, 0x3b800000
	v_lshlrev_b32_e32 v21, 20, v21
	v_and_b32_e32 v23, 0x80000000, v23
	v_lshl_add_u32 v22, v22, 23, v24
	v_or3_b32 v22, v23, v22, v21
.LBB37_272:
	s_or_b64 exec, exec, s[6:7]
	s_nop 0
	v_mfma_f32_16x16x4f32 a[0:3], v20, v22, a[0:3]
	s_movk_i32 s4, 0xff
	v_and_b32_sdwa v21, v14, s4 dst_sel:DWORD dst_unused:UNUSED_PAD src0_sel:WORD_1 src1_sel:DWORD
	s_movk_i32 s4, 0x7f
	v_cmp_lt_i16_e32 vcc, s4, v21
	s_mov_b64 s[4:5], 0
                                        ; implicit-def: $sgpr10
	s_and_saveexec_b64 s[6:7], vcc
	s_xor_b64 s[6:7], exec, s[6:7]
	s_cbranch_execnz .LBB37_2321
; %bb.273:
	s_or_saveexec_b64 s[6:7], s[6:7]
	v_mov_b32_e32 v20, s10
	s_xor_b64 exec, exec, s[6:7]
	s_cbranch_execnz .LBB37_2324
.LBB37_274:
	s_or_b64 exec, exec, s[6:7]
	s_and_saveexec_b64 s[6:7], s[4:5]
	s_cbranch_execz .LBB37_276
.LBB37_275:
	v_bfe_u32 v20, v14, 16, 3
	v_ffbh_u32_e32 v23, v20
	v_min_u32_e32 v23, 32, v23
	v_lshrrev_b32_e32 v21, 19, v14
	v_subrev_u32_e32 v24, 28, v23
	v_and_b32_e32 v21, 15, v21
	v_lshlrev_b32_sdwa v24, v24, v14 dst_sel:DWORD dst_unused:UNUSED_PAD src0_sel:DWORD src1_sel:WORD_1
	v_bfe_u32 v22, v14, 19, 4
	v_sub_u32_e32 v23, 29, v23
	v_and_b32_e32 v24, 7, v24
	v_cmp_eq_u16_e32 vcc, 0, v21
	v_cndmask_b32_e32 v20, v20, v24, vcc
	v_cndmask_b32_e32 v21, v22, v23, vcc
	v_lshlrev_b32_e32 v22, 8, v14
	v_mov_b32_e32 v23, 0x3b800000
	v_lshlrev_b32_e32 v20, 20, v20
	v_and_b32_e32 v22, 0x80000000, v22
	v_lshl_add_u32 v21, v21, 23, v23
	v_or3_b32 v20, v22, v21, v20
.LBB37_276:
	s_or_b64 exec, exec, s[6:7]
	s_movk_i32 s4, 0xff
	v_and_b32_sdwa v21, v10, s4 dst_sel:DWORD dst_unused:UNUSED_PAD src0_sel:WORD_1 src1_sel:DWORD
	s_movk_i32 s4, 0x7f
	v_cmp_lt_i16_e32 vcc, s4, v21
	s_mov_b64 s[4:5], 0
                                        ; implicit-def: $sgpr10
	s_and_saveexec_b64 s[6:7], vcc
	s_xor_b64 s[6:7], exec, s[6:7]
	s_cbranch_execnz .LBB37_2325
; %bb.277:
	s_or_saveexec_b64 s[6:7], s[6:7]
	v_mov_b32_e32 v22, s10
	s_xor_b64 exec, exec, s[6:7]
	s_cbranch_execnz .LBB37_2328
.LBB37_278:
	s_or_b64 exec, exec, s[6:7]
	s_and_saveexec_b64 s[6:7], s[4:5]
	s_cbranch_execz .LBB37_280
.LBB37_279:
	v_bfe_u32 v21, v10, 16, 3
	v_ffbh_u32_e32 v24, v21
	v_min_u32_e32 v24, 32, v24
	v_lshrrev_b32_e32 v22, 19, v10
	v_subrev_u32_e32 v25, 28, v24
	v_and_b32_e32 v22, 15, v22
	v_lshlrev_b32_sdwa v25, v25, v10 dst_sel:DWORD dst_unused:UNUSED_PAD src0_sel:DWORD src1_sel:WORD_1
	v_bfe_u32 v23, v10, 19, 4
	v_sub_u32_e32 v24, 29, v24
	v_and_b32_e32 v25, 7, v25
	v_cmp_eq_u16_e32 vcc, 0, v22
	v_cndmask_b32_e32 v21, v21, v25, vcc
	v_cndmask_b32_e32 v22, v23, v24, vcc
	v_lshlrev_b32_e32 v23, 8, v10
	v_mov_b32_e32 v24, 0x3b800000
	v_lshlrev_b32_e32 v21, 20, v21
	v_and_b32_e32 v23, 0x80000000, v23
	v_lshl_add_u32 v22, v22, 23, v24
	v_or3_b32 v22, v23, v22, v21
.LBB37_280:
	s_or_b64 exec, exec, s[6:7]
	s_nop 0
	v_mfma_f32_16x16x4f32 a[0:3], v20, v22, a[0:3]
	s_movk_i32 s4, 0x7f
	v_cmp_gt_i16_sdwa s[6:7], v14, s4 src0_sel:BYTE_3 src1_sel:DWORD
	s_mov_b64 s[4:5], 0
                                        ; implicit-def: $sgpr10
	s_and_saveexec_b64 s[8:9], s[6:7]
	s_xor_b64 s[6:7], exec, s[8:9]
	s_cbranch_execnz .LBB37_2329
; %bb.281:
	s_or_saveexec_b64 s[6:7], s[6:7]
	v_mov_b32_e32 v20, s10
	s_xor_b64 exec, exec, s[6:7]
	s_cbranch_execnz .LBB37_2332
.LBB37_282:
	s_or_b64 exec, exec, s[6:7]
	s_and_saveexec_b64 s[6:7], s[4:5]
	s_cbranch_execz .LBB37_284
.LBB37_283:
	v_bfe_u32 v20, v14, 24, 3
	v_ffbh_u32_e32 v24, v20
	v_min_u32_e32 v24, 32, v24
	v_lshrrev_b32_e32 v22, 27, v14
	v_subrev_u32_e32 v25, 28, v24
	v_and_b32_e32 v21, 0x80000000, v14
	v_and_b32_e32 v22, 15, v22
	v_bfe_u32 v23, v14, 27, 4
	v_lshlrev_b32_sdwa v14, v25, v14 dst_sel:DWORD dst_unused:UNUSED_PAD src0_sel:DWORD src1_sel:BYTE_3
	v_sub_u32_e32 v24, 29, v24
	v_and_b32_e32 v14, 7, v14
	v_cmp_eq_u16_e32 vcc, 0, v22
	v_cndmask_b32_e32 v14, v20, v14, vcc
	v_cndmask_b32_e32 v20, v23, v24, vcc
	v_mov_b32_e32 v22, 0x3b800000
	v_lshlrev_b32_e32 v14, 20, v14
	v_lshl_add_u32 v20, v20, 23, v22
	v_or3_b32 v20, v21, v20, v14
.LBB37_284:
	s_or_b64 exec, exec, s[6:7]
	s_movk_i32 s4, 0x7f
	v_cmp_gt_i16_sdwa s[6:7], v10, s4 src0_sel:BYTE_3 src1_sel:DWORD
	s_mov_b64 s[4:5], 0
                                        ; implicit-def: $sgpr10
	s_and_saveexec_b64 s[8:9], s[6:7]
	s_xor_b64 s[6:7], exec, s[8:9]
	s_cbranch_execnz .LBB37_2333
; %bb.285:
	s_or_saveexec_b64 s[6:7], s[6:7]
	v_mov_b32_e32 v14, s10
	s_xor_b64 exec, exec, s[6:7]
	s_cbranch_execnz .LBB37_2336
.LBB37_286:
	s_or_b64 exec, exec, s[6:7]
	s_and_saveexec_b64 s[6:7], s[4:5]
	s_cbranch_execz .LBB37_288
.LBB37_287:
	v_bfe_u32 v14, v10, 24, 3
	v_ffbh_u32_e32 v24, v14
	v_min_u32_e32 v24, 32, v24
	v_lshrrev_b32_e32 v22, 27, v10
	v_subrev_u32_e32 v25, 28, v24
	v_and_b32_e32 v21, 0x80000000, v10
	v_and_b32_e32 v22, 15, v22
	v_bfe_u32 v23, v10, 27, 4
	v_lshlrev_b32_sdwa v10, v25, v10 dst_sel:DWORD dst_unused:UNUSED_PAD src0_sel:DWORD src1_sel:BYTE_3
	v_sub_u32_e32 v24, 29, v24
	v_and_b32_e32 v10, 7, v10
	v_cmp_eq_u16_e32 vcc, 0, v22
	v_cndmask_b32_e32 v10, v14, v10, vcc
	v_cndmask_b32_e32 v14, v23, v24, vcc
	v_mov_b32_e32 v22, 0x3b800000
	v_lshlrev_b32_e32 v10, 20, v10
	v_lshl_add_u32 v14, v14, 23, v22
	v_or3_b32 v14, v21, v14, v10
.LBB37_288:
	s_or_b64 exec, exec, s[6:7]
	s_nop 0
	v_mfma_f32_16x16x4f32 a[0:3], v20, v14, a[0:3]
	s_movk_i32 s4, 0x7f
	v_cmp_gt_i16_sdwa s[6:7], v15, s4 src0_sel:BYTE_0 src1_sel:DWORD
	s_mov_b64 s[4:5], 0
                                        ; implicit-def: $sgpr10
	s_and_saveexec_b64 s[8:9], s[6:7]
	s_xor_b64 s[6:7], exec, s[8:9]
	s_cbranch_execnz .LBB37_2337
; %bb.289:
	s_or_saveexec_b64 s[6:7], s[6:7]
	v_mov_b32_e32 v10, s10
	s_xor_b64 exec, exec, s[6:7]
	s_cbranch_execnz .LBB37_2340
.LBB37_290:
	s_or_b64 exec, exec, s[6:7]
	s_and_saveexec_b64 s[6:7], s[4:5]
	s_cbranch_execz .LBB37_292
.LBB37_291:
	v_and_b32_e32 v10, 7, v15
	v_ffbh_u32_e32 v20, v10
	v_min_u32_e32 v20, 32, v20
	v_lshrrev_b16_e32 v14, 3, v15
	v_subrev_u32_e32 v21, 28, v20
	v_and_b32_e32 v14, 15, v14
	v_lshlrev_b32_e32 v21, v21, v15
	v_sub_u32_e32 v20, 29, v20
	v_and_b32_e32 v21, 7, v21
	v_cmp_eq_u16_e32 vcc, 0, v14
	v_cndmask_b32_e32 v10, v10, v21, vcc
	v_cndmask_b32_e32 v14, v14, v20, vcc
	v_lshlrev_b32_e32 v20, 24, v15
	v_mov_b32_e32 v21, 0x3b800000
	v_lshlrev_b32_e32 v10, 20, v10
	v_and_b32_e32 v20, 0x80000000, v20
	v_lshl_add_u32 v14, v14, 23, v21
	v_or3_b32 v10, v20, v14, v10
.LBB37_292:
	s_or_b64 exec, exec, s[6:7]
	s_movk_i32 s4, 0x7f
	v_cmp_gt_i16_sdwa s[6:7], v11, s4 src0_sel:BYTE_0 src1_sel:DWORD
	s_mov_b64 s[4:5], 0
                                        ; implicit-def: $sgpr10
	s_and_saveexec_b64 s[8:9], s[6:7]
	s_xor_b64 s[6:7], exec, s[8:9]
	s_cbranch_execnz .LBB37_2341
; %bb.293:
	s_or_saveexec_b64 s[6:7], s[6:7]
	v_mov_b32_e32 v14, s10
	s_xor_b64 exec, exec, s[6:7]
	s_cbranch_execnz .LBB37_2344
.LBB37_294:
	s_or_b64 exec, exec, s[6:7]
	s_and_saveexec_b64 s[6:7], s[4:5]
	s_cbranch_execz .LBB37_296
.LBB37_295:
	v_and_b32_e32 v14, 7, v11
	v_ffbh_u32_e32 v21, v14
	v_min_u32_e32 v21, 32, v21
	v_lshrrev_b16_e32 v20, 3, v11
	v_subrev_u32_e32 v22, 28, v21
	v_and_b32_e32 v20, 15, v20
	v_lshlrev_b32_e32 v22, v22, v11
	v_sub_u32_e32 v21, 29, v21
	v_and_b32_e32 v22, 7, v22
	v_cmp_eq_u16_e32 vcc, 0, v20
	v_cndmask_b32_e32 v14, v14, v22, vcc
	v_cndmask_b32_e32 v20, v20, v21, vcc
	v_lshlrev_b32_e32 v21, 24, v11
	v_mov_b32_e32 v22, 0x3b800000
	v_lshlrev_b32_e32 v14, 20, v14
	v_and_b32_e32 v21, 0x80000000, v21
	v_lshl_add_u32 v20, v20, 23, v22
	v_or3_b32 v14, v21, v20, v14
.LBB37_296:
	s_or_b64 exec, exec, s[6:7]
	s_nop 0
	v_mfma_f32_16x16x4f32 a[0:3], v10, v14, a[0:3]
	v_lshrrev_b32_e32 v14, 8, v15
	s_movk_i32 s4, 0x7f
	v_cmp_gt_i16_sdwa s[6:7], v14, s4 src0_sel:BYTE_0 src1_sel:DWORD
	s_mov_b64 s[4:5], 0
                                        ; implicit-def: $sgpr10
	s_and_saveexec_b64 s[8:9], s[6:7]
	s_xor_b64 s[6:7], exec, s[8:9]
	s_cbranch_execnz .LBB37_2345
; %bb.297:
	s_or_saveexec_b64 s[6:7], s[6:7]
	v_mov_b32_e32 v10, s10
	s_xor_b64 exec, exec, s[6:7]
	s_cbranch_execnz .LBB37_2348
.LBB37_298:
	s_or_b64 exec, exec, s[6:7]
	s_and_saveexec_b64 s[6:7], s[4:5]
	s_cbranch_execz .LBB37_300
.LBB37_299:
	v_bfe_u32 v10, v15, 8, 3
	v_ffbh_u32_e32 v21, v10
	v_min_u32_e32 v21, 32, v21
	v_lshrrev_b16_e32 v20, 3, v14
	v_subrev_u32_e32 v22, 28, v21
	v_and_b32_e32 v20, 15, v20
	v_lshlrev_b32_e32 v14, v22, v14
	v_sub_u32_e32 v21, 29, v21
	v_and_b32_e32 v14, 7, v14
	v_cmp_eq_u16_e32 vcc, 0, v20
	v_cndmask_b32_e32 v10, v10, v14, vcc
	v_cndmask_b32_e32 v14, v20, v21, vcc
	v_lshlrev_b32_e32 v20, 16, v15
	v_mov_b32_e32 v21, 0x3b800000
	v_lshlrev_b32_e32 v10, 20, v10
	v_and_b32_e32 v20, 0x80000000, v20
	v_lshl_add_u32 v14, v14, 23, v21
	v_or3_b32 v10, v20, v14, v10
.LBB37_300:
	s_or_b64 exec, exec, s[6:7]
	v_lshrrev_b32_e32 v14, 8, v11
	s_movk_i32 s4, 0x7f
	v_cmp_gt_i16_sdwa s[6:7], v14, s4 src0_sel:BYTE_0 src1_sel:DWORD
	s_mov_b64 s[4:5], 0
                                        ; implicit-def: $sgpr10
	s_and_saveexec_b64 s[8:9], s[6:7]
	s_xor_b64 s[6:7], exec, s[8:9]
	s_cbranch_execnz .LBB37_2349
; %bb.301:
	s_or_saveexec_b64 s[6:7], s[6:7]
	v_mov_b32_e32 v20, s10
	s_xor_b64 exec, exec, s[6:7]
	s_cbranch_execnz .LBB37_2352
.LBB37_302:
	s_or_b64 exec, exec, s[6:7]
	s_and_saveexec_b64 s[6:7], s[4:5]
	s_cbranch_execz .LBB37_304
.LBB37_303:
	v_bfe_u32 v20, v11, 8, 3
	v_ffbh_u32_e32 v22, v20
	v_min_u32_e32 v22, 32, v22
	v_lshrrev_b16_e32 v21, 3, v14
	v_subrev_u32_e32 v23, 28, v22
	v_and_b32_e32 v21, 15, v21
	v_lshlrev_b32_e32 v14, v23, v14
	v_sub_u32_e32 v22, 29, v22
	v_and_b32_e32 v14, 7, v14
	v_cmp_eq_u16_e32 vcc, 0, v21
	v_cndmask_b32_e32 v14, v20, v14, vcc
	v_cndmask_b32_e32 v20, v21, v22, vcc
	v_lshlrev_b32_e32 v21, 16, v11
	v_mov_b32_e32 v22, 0x3b800000
	v_lshlrev_b32_e32 v14, 20, v14
	v_and_b32_e32 v21, 0x80000000, v21
	v_lshl_add_u32 v20, v20, 23, v22
	v_or3_b32 v20, v21, v20, v14
.LBB37_304:
	s_or_b64 exec, exec, s[6:7]
	s_nop 0
	v_mfma_f32_16x16x4f32 a[0:3], v10, v20, a[0:3]
	s_movk_i32 s4, 0xff
	v_and_b32_sdwa v14, v15, s4 dst_sel:DWORD dst_unused:UNUSED_PAD src0_sel:WORD_1 src1_sel:DWORD
	s_movk_i32 s4, 0x7f
	v_cmp_lt_i16_e32 vcc, s4, v14
	s_mov_b64 s[4:5], 0
                                        ; implicit-def: $sgpr10
	s_and_saveexec_b64 s[6:7], vcc
	s_xor_b64 s[6:7], exec, s[6:7]
	s_cbranch_execnz .LBB37_2353
; %bb.305:
	s_or_saveexec_b64 s[6:7], s[6:7]
	v_mov_b32_e32 v10, s10
	s_xor_b64 exec, exec, s[6:7]
	s_cbranch_execnz .LBB37_2356
.LBB37_306:
	s_or_b64 exec, exec, s[6:7]
	s_and_saveexec_b64 s[6:7], s[4:5]
	s_cbranch_execz .LBB37_308
.LBB37_307:
	v_bfe_u32 v10, v15, 16, 3
	v_ffbh_u32_e32 v21, v10
	v_min_u32_e32 v21, 32, v21
	v_lshrrev_b32_e32 v14, 19, v15
	v_subrev_u32_e32 v22, 28, v21
	v_and_b32_e32 v14, 15, v14
	v_lshlrev_b32_sdwa v22, v22, v15 dst_sel:DWORD dst_unused:UNUSED_PAD src0_sel:DWORD src1_sel:WORD_1
	v_bfe_u32 v20, v15, 19, 4
	v_sub_u32_e32 v21, 29, v21
	v_and_b32_e32 v22, 7, v22
	v_cmp_eq_u16_e32 vcc, 0, v14
	v_cndmask_b32_e32 v10, v10, v22, vcc
	v_cndmask_b32_e32 v14, v20, v21, vcc
	v_lshlrev_b32_e32 v20, 8, v15
	v_mov_b32_e32 v21, 0x3b800000
	v_lshlrev_b32_e32 v10, 20, v10
	v_and_b32_e32 v20, 0x80000000, v20
	v_lshl_add_u32 v14, v14, 23, v21
	v_or3_b32 v10, v20, v14, v10
.LBB37_308:
	s_or_b64 exec, exec, s[6:7]
	s_movk_i32 s4, 0xff
	v_and_b32_sdwa v14, v11, s4 dst_sel:DWORD dst_unused:UNUSED_PAD src0_sel:WORD_1 src1_sel:DWORD
	s_movk_i32 s4, 0x7f
	v_cmp_lt_i16_e32 vcc, s4, v14
	s_mov_b64 s[4:5], 0
                                        ; implicit-def: $sgpr10
	s_and_saveexec_b64 s[6:7], vcc
	s_xor_b64 s[6:7], exec, s[6:7]
	s_cbranch_execnz .LBB37_2357
; %bb.309:
	s_or_saveexec_b64 s[6:7], s[6:7]
	v_mov_b32_e32 v20, s10
	s_xor_b64 exec, exec, s[6:7]
	s_cbranch_execnz .LBB37_2360
.LBB37_310:
	s_or_b64 exec, exec, s[6:7]
	s_and_saveexec_b64 s[6:7], s[4:5]
	s_cbranch_execz .LBB37_312
.LBB37_311:
	v_bfe_u32 v14, v11, 16, 3
	v_ffbh_u32_e32 v22, v14
	v_min_u32_e32 v22, 32, v22
	v_lshrrev_b32_e32 v20, 19, v11
	v_subrev_u32_e32 v23, 28, v22
	v_and_b32_e32 v20, 15, v20
	v_lshlrev_b32_sdwa v23, v23, v11 dst_sel:DWORD dst_unused:UNUSED_PAD src0_sel:DWORD src1_sel:WORD_1
	v_bfe_u32 v21, v11, 19, 4
	v_sub_u32_e32 v22, 29, v22
	v_and_b32_e32 v23, 7, v23
	v_cmp_eq_u16_e32 vcc, 0, v20
	v_cndmask_b32_e32 v14, v14, v23, vcc
	v_cndmask_b32_e32 v20, v21, v22, vcc
	v_lshlrev_b32_e32 v21, 8, v11
	v_mov_b32_e32 v22, 0x3b800000
	v_lshlrev_b32_e32 v14, 20, v14
	v_and_b32_e32 v21, 0x80000000, v21
	v_lshl_add_u32 v20, v20, 23, v22
	v_or3_b32 v20, v21, v20, v14
.LBB37_312:
	s_or_b64 exec, exec, s[6:7]
	s_nop 0
	v_mfma_f32_16x16x4f32 a[0:3], v10, v20, a[0:3]
	s_movk_i32 s4, 0x7f
	v_cmp_gt_i16_sdwa s[6:7], v15, s4 src0_sel:BYTE_3 src1_sel:DWORD
	s_mov_b64 s[4:5], 0
                                        ; implicit-def: $sgpr10
	s_and_saveexec_b64 s[8:9], s[6:7]
	s_xor_b64 s[6:7], exec, s[8:9]
	s_cbranch_execnz .LBB37_2361
; %bb.313:
	s_or_saveexec_b64 s[6:7], s[6:7]
	v_mov_b32_e32 v10, s10
	s_xor_b64 exec, exec, s[6:7]
	s_cbranch_execnz .LBB37_2364
.LBB37_314:
	s_or_b64 exec, exec, s[6:7]
	s_and_saveexec_b64 s[6:7], s[4:5]
	s_cbranch_execz .LBB37_316
.LBB37_315:
	v_bfe_u32 v10, v15, 24, 3
	v_ffbh_u32_e32 v22, v10
	v_min_u32_e32 v22, 32, v22
	v_lshrrev_b32_e32 v20, 27, v15
	v_subrev_u32_e32 v23, 28, v22
	v_and_b32_e32 v14, 0x80000000, v15
	v_and_b32_e32 v20, 15, v20
	v_bfe_u32 v21, v15, 27, 4
	v_lshlrev_b32_sdwa v15, v23, v15 dst_sel:DWORD dst_unused:UNUSED_PAD src0_sel:DWORD src1_sel:BYTE_3
	v_sub_u32_e32 v22, 29, v22
	v_and_b32_e32 v15, 7, v15
	v_cmp_eq_u16_e32 vcc, 0, v20
	v_cndmask_b32_e32 v10, v10, v15, vcc
	v_cndmask_b32_e32 v15, v21, v22, vcc
	v_mov_b32_e32 v20, 0x3b800000
	v_lshlrev_b32_e32 v10, 20, v10
	v_lshl_add_u32 v15, v15, 23, v20
	v_or3_b32 v10, v14, v15, v10
.LBB37_316:
	s_or_b64 exec, exec, s[6:7]
	s_movk_i32 s4, 0x7f
	v_cmp_gt_i16_sdwa s[6:7], v11, s4 src0_sel:BYTE_3 src1_sel:DWORD
	s_mov_b64 s[4:5], 0
                                        ; implicit-def: $sgpr10
	s_and_saveexec_b64 s[8:9], s[6:7]
	s_xor_b64 s[6:7], exec, s[8:9]
	s_cbranch_execnz .LBB37_2365
; %bb.317:
	s_or_saveexec_b64 s[6:7], s[6:7]
	v_mov_b32_e32 v14, s10
	s_xor_b64 exec, exec, s[6:7]
	s_cbranch_execnz .LBB37_2368
.LBB37_318:
	s_or_b64 exec, exec, s[6:7]
	s_and_saveexec_b64 s[6:7], s[4:5]
	s_cbranch_execz .LBB37_320
.LBB37_319:
	v_bfe_u32 v14, v11, 24, 3
	v_ffbh_u32_e32 v22, v14
	v_min_u32_e32 v22, 32, v22
	v_lshrrev_b32_e32 v20, 27, v11
	v_subrev_u32_e32 v23, 28, v22
	v_and_b32_e32 v15, 0x80000000, v11
	v_and_b32_e32 v20, 15, v20
	v_bfe_u32 v21, v11, 27, 4
	v_lshlrev_b32_sdwa v11, v23, v11 dst_sel:DWORD dst_unused:UNUSED_PAD src0_sel:DWORD src1_sel:BYTE_3
	v_sub_u32_e32 v22, 29, v22
	v_and_b32_e32 v11, 7, v11
	v_cmp_eq_u16_e32 vcc, 0, v20
	v_cndmask_b32_e32 v11, v14, v11, vcc
	v_cndmask_b32_e32 v14, v21, v22, vcc
	v_mov_b32_e32 v20, 0x3b800000
	v_lshlrev_b32_e32 v11, 20, v11
	v_lshl_add_u32 v14, v14, 23, v20
	v_or3_b32 v14, v15, v14, v11
.LBB37_320:
	s_or_b64 exec, exec, s[6:7]
	s_nop 0
	v_mfma_f32_16x16x4f32 a[0:3], v10, v14, a[0:3]
	s_movk_i32 s4, 0x7f
	v_cmp_gt_i16_sdwa s[6:7], v16, s4 src0_sel:BYTE_0 src1_sel:DWORD
	s_mov_b64 s[4:5], 0
                                        ; implicit-def: $sgpr10
	s_and_saveexec_b64 s[8:9], s[6:7]
	s_xor_b64 s[6:7], exec, s[8:9]
	s_cbranch_execnz .LBB37_2369
; %bb.321:
	s_or_saveexec_b64 s[6:7], s[6:7]
	v_mov_b32_e32 v10, s10
	s_xor_b64 exec, exec, s[6:7]
	s_cbranch_execnz .LBB37_2372
.LBB37_322:
	s_or_b64 exec, exec, s[6:7]
	s_and_saveexec_b64 s[6:7], s[4:5]
	s_cbranch_execz .LBB37_324
.LBB37_323:
	v_and_b32_e32 v10, 7, v16
	v_ffbh_u32_e32 v14, v10
	v_min_u32_e32 v14, 32, v14
	v_lshrrev_b16_e32 v11, 3, v16
	v_subrev_u32_e32 v15, 28, v14
	v_and_b32_e32 v11, 15, v11
	v_lshlrev_b32_e32 v15, v15, v16
	v_sub_u32_e32 v14, 29, v14
	v_and_b32_e32 v15, 7, v15
	v_cmp_eq_u16_e32 vcc, 0, v11
	v_cndmask_b32_e32 v10, v10, v15, vcc
	v_cndmask_b32_e32 v11, v11, v14, vcc
	v_lshlrev_b32_e32 v14, 24, v16
	v_mov_b32_e32 v15, 0x3b800000
	v_lshlrev_b32_e32 v10, 20, v10
	v_and_b32_e32 v14, 0x80000000, v14
	v_lshl_add_u32 v11, v11, 23, v15
	v_or3_b32 v10, v14, v11, v10
.LBB37_324:
	s_or_b64 exec, exec, s[6:7]
	s_movk_i32 s4, 0x7f
	v_cmp_gt_i16_sdwa s[6:7], v12, s4 src0_sel:BYTE_0 src1_sel:DWORD
	s_mov_b64 s[4:5], 0
                                        ; implicit-def: $sgpr10
	s_and_saveexec_b64 s[8:9], s[6:7]
	s_xor_b64 s[6:7], exec, s[8:9]
	s_cbranch_execnz .LBB37_2373
; %bb.325:
	s_or_saveexec_b64 s[6:7], s[6:7]
	v_mov_b32_e32 v11, s10
	s_xor_b64 exec, exec, s[6:7]
	s_cbranch_execnz .LBB37_2376
.LBB37_326:
	s_or_b64 exec, exec, s[6:7]
	s_and_saveexec_b64 s[6:7], s[4:5]
	s_cbranch_execz .LBB37_328
.LBB37_327:
	v_and_b32_e32 v11, 7, v12
	v_ffbh_u32_e32 v15, v11
	v_min_u32_e32 v15, 32, v15
	v_lshrrev_b16_e32 v14, 3, v12
	v_subrev_u32_e32 v20, 28, v15
	v_and_b32_e32 v14, 15, v14
	v_lshlrev_b32_e32 v20, v20, v12
	v_sub_u32_e32 v15, 29, v15
	v_and_b32_e32 v20, 7, v20
	v_cmp_eq_u16_e32 vcc, 0, v14
	v_cndmask_b32_e32 v11, v11, v20, vcc
	v_cndmask_b32_e32 v14, v14, v15, vcc
	v_lshlrev_b32_e32 v15, 24, v12
	v_mov_b32_e32 v20, 0x3b800000
	v_lshlrev_b32_e32 v11, 20, v11
	v_and_b32_e32 v15, 0x80000000, v15
	v_lshl_add_u32 v14, v14, 23, v20
	v_or3_b32 v11, v15, v14, v11
.LBB37_328:
	s_or_b64 exec, exec, s[6:7]
	s_nop 0
	v_mfma_f32_16x16x4f32 a[0:3], v10, v11, a[0:3]
	v_lshrrev_b32_e32 v11, 8, v16
	s_movk_i32 s4, 0x7f
	v_cmp_gt_i16_sdwa s[6:7], v11, s4 src0_sel:BYTE_0 src1_sel:DWORD
	s_mov_b64 s[4:5], 0
                                        ; implicit-def: $sgpr10
	s_and_saveexec_b64 s[8:9], s[6:7]
	s_xor_b64 s[6:7], exec, s[8:9]
	s_cbranch_execnz .LBB37_2377
; %bb.329:
	s_or_saveexec_b64 s[6:7], s[6:7]
	v_mov_b32_e32 v10, s10
	s_xor_b64 exec, exec, s[6:7]
	s_cbranch_execnz .LBB37_2380
.LBB37_330:
	s_or_b64 exec, exec, s[6:7]
	s_and_saveexec_b64 s[6:7], s[4:5]
	s_cbranch_execz .LBB37_332
.LBB37_331:
	v_bfe_u32 v10, v16, 8, 3
	v_ffbh_u32_e32 v15, v10
	v_min_u32_e32 v15, 32, v15
	v_lshrrev_b16_e32 v14, 3, v11
	v_subrev_u32_e32 v20, 28, v15
	v_and_b32_e32 v14, 15, v14
	v_lshlrev_b32_e32 v11, v20, v11
	v_sub_u32_e32 v15, 29, v15
	v_and_b32_e32 v11, 7, v11
	v_cmp_eq_u16_e32 vcc, 0, v14
	v_cndmask_b32_e32 v10, v10, v11, vcc
	v_cndmask_b32_e32 v11, v14, v15, vcc
	v_lshlrev_b32_e32 v14, 16, v16
	v_mov_b32_e32 v15, 0x3b800000
	v_lshlrev_b32_e32 v10, 20, v10
	v_and_b32_e32 v14, 0x80000000, v14
	v_lshl_add_u32 v11, v11, 23, v15
	v_or3_b32 v10, v14, v11, v10
.LBB37_332:
	s_or_b64 exec, exec, s[6:7]
	v_lshrrev_b32_e32 v11, 8, v12
	s_movk_i32 s4, 0x7f
	v_cmp_gt_i16_sdwa s[6:7], v11, s4 src0_sel:BYTE_0 src1_sel:DWORD
	s_mov_b64 s[4:5], 0
                                        ; implicit-def: $sgpr10
	s_and_saveexec_b64 s[8:9], s[6:7]
	s_xor_b64 s[6:7], exec, s[8:9]
	s_cbranch_execnz .LBB37_2381
; %bb.333:
	s_or_saveexec_b64 s[6:7], s[6:7]
	v_mov_b32_e32 v14, s10
	s_xor_b64 exec, exec, s[6:7]
	s_cbranch_execnz .LBB37_2384
.LBB37_334:
	s_or_b64 exec, exec, s[6:7]
	s_and_saveexec_b64 s[6:7], s[4:5]
	s_cbranch_execz .LBB37_336
.LBB37_335:
	v_bfe_u32 v14, v12, 8, 3
	v_ffbh_u32_e32 v20, v14
	v_min_u32_e32 v20, 32, v20
	v_lshrrev_b16_e32 v15, 3, v11
	v_subrev_u32_e32 v21, 28, v20
	v_and_b32_e32 v15, 15, v15
	v_lshlrev_b32_e32 v11, v21, v11
	v_sub_u32_e32 v20, 29, v20
	v_and_b32_e32 v11, 7, v11
	v_cmp_eq_u16_e32 vcc, 0, v15
	v_cndmask_b32_e32 v11, v14, v11, vcc
	v_cndmask_b32_e32 v14, v15, v20, vcc
	v_lshlrev_b32_e32 v15, 16, v12
	v_mov_b32_e32 v20, 0x3b800000
	v_lshlrev_b32_e32 v11, 20, v11
	v_and_b32_e32 v15, 0x80000000, v15
	v_lshl_add_u32 v14, v14, 23, v20
	v_or3_b32 v14, v15, v14, v11
.LBB37_336:
	s_or_b64 exec, exec, s[6:7]
	s_nop 0
	v_mfma_f32_16x16x4f32 a[0:3], v10, v14, a[0:3]
	s_movk_i32 s4, 0xff
	v_and_b32_sdwa v11, v16, s4 dst_sel:DWORD dst_unused:UNUSED_PAD src0_sel:WORD_1 src1_sel:DWORD
	s_movk_i32 s4, 0x7f
	v_cmp_lt_i16_e32 vcc, s4, v11
	s_mov_b64 s[4:5], 0
                                        ; implicit-def: $sgpr10
	s_and_saveexec_b64 s[6:7], vcc
	s_xor_b64 s[6:7], exec, s[6:7]
	s_cbranch_execnz .LBB37_2385
; %bb.337:
	s_or_saveexec_b64 s[6:7], s[6:7]
	v_mov_b32_e32 v10, s10
	s_xor_b64 exec, exec, s[6:7]
	s_cbranch_execnz .LBB37_2388
.LBB37_338:
	s_or_b64 exec, exec, s[6:7]
	s_and_saveexec_b64 s[6:7], s[4:5]
	s_cbranch_execz .LBB37_340
.LBB37_339:
	v_bfe_u32 v10, v16, 16, 3
	v_ffbh_u32_e32 v15, v10
	v_min_u32_e32 v15, 32, v15
	v_lshrrev_b32_e32 v11, 19, v16
	v_subrev_u32_e32 v20, 28, v15
	v_and_b32_e32 v11, 15, v11
	v_lshlrev_b32_sdwa v20, v20, v16 dst_sel:DWORD dst_unused:UNUSED_PAD src0_sel:DWORD src1_sel:WORD_1
	v_bfe_u32 v14, v16, 19, 4
	v_sub_u32_e32 v15, 29, v15
	v_and_b32_e32 v20, 7, v20
	v_cmp_eq_u16_e32 vcc, 0, v11
	v_cndmask_b32_e32 v10, v10, v20, vcc
	v_cndmask_b32_e32 v11, v14, v15, vcc
	v_lshlrev_b32_e32 v14, 8, v16
	v_mov_b32_e32 v15, 0x3b800000
	v_lshlrev_b32_e32 v10, 20, v10
	v_and_b32_e32 v14, 0x80000000, v14
	v_lshl_add_u32 v11, v11, 23, v15
	v_or3_b32 v10, v14, v11, v10
.LBB37_340:
	s_or_b64 exec, exec, s[6:7]
	s_movk_i32 s4, 0xff
	v_and_b32_sdwa v11, v12, s4 dst_sel:DWORD dst_unused:UNUSED_PAD src0_sel:WORD_1 src1_sel:DWORD
	s_movk_i32 s4, 0x7f
	v_cmp_lt_i16_e32 vcc, s4, v11
	s_mov_b64 s[4:5], 0
                                        ; implicit-def: $sgpr10
	s_and_saveexec_b64 s[6:7], vcc
	s_xor_b64 s[6:7], exec, s[6:7]
	s_cbranch_execnz .LBB37_2389
; %bb.341:
	s_or_saveexec_b64 s[6:7], s[6:7]
	v_mov_b32_e32 v14, s10
	s_xor_b64 exec, exec, s[6:7]
	s_cbranch_execnz .LBB37_2392
.LBB37_342:
	s_or_b64 exec, exec, s[6:7]
	s_and_saveexec_b64 s[6:7], s[4:5]
	s_cbranch_execz .LBB37_344
.LBB37_343:
	v_bfe_u32 v11, v12, 16, 3
	v_ffbh_u32_e32 v20, v11
	v_min_u32_e32 v20, 32, v20
	v_lshrrev_b32_e32 v14, 19, v12
	v_subrev_u32_e32 v21, 28, v20
	v_and_b32_e32 v14, 15, v14
	v_lshlrev_b32_sdwa v21, v21, v12 dst_sel:DWORD dst_unused:UNUSED_PAD src0_sel:DWORD src1_sel:WORD_1
	v_bfe_u32 v15, v12, 19, 4
	v_sub_u32_e32 v20, 29, v20
	v_and_b32_e32 v21, 7, v21
	v_cmp_eq_u16_e32 vcc, 0, v14
	v_cndmask_b32_e32 v11, v11, v21, vcc
	v_cndmask_b32_e32 v14, v15, v20, vcc
	v_lshlrev_b32_e32 v15, 8, v12
	v_mov_b32_e32 v20, 0x3b800000
	v_lshlrev_b32_e32 v11, 20, v11
	v_and_b32_e32 v15, 0x80000000, v15
	v_lshl_add_u32 v14, v14, 23, v20
	v_or3_b32 v14, v15, v14, v11
.LBB37_344:
	s_or_b64 exec, exec, s[6:7]
	s_nop 0
	v_mfma_f32_16x16x4f32 a[0:3], v10, v14, a[0:3]
	s_movk_i32 s4, 0x7f
	v_cmp_gt_i16_sdwa s[6:7], v16, s4 src0_sel:BYTE_3 src1_sel:DWORD
	s_mov_b64 s[4:5], 0
                                        ; implicit-def: $sgpr10
	s_and_saveexec_b64 s[8:9], s[6:7]
	s_xor_b64 s[6:7], exec, s[8:9]
	s_cbranch_execnz .LBB37_2393
; %bb.345:
	s_or_saveexec_b64 s[6:7], s[6:7]
	v_mov_b32_e32 v10, s10
	s_xor_b64 exec, exec, s[6:7]
	s_cbranch_execnz .LBB37_2396
.LBB37_346:
	s_or_b64 exec, exec, s[6:7]
	s_and_saveexec_b64 s[6:7], s[4:5]
	s_cbranch_execz .LBB37_348
.LBB37_347:
	v_bfe_u32 v10, v16, 24, 3
	v_ffbh_u32_e32 v20, v10
	v_min_u32_e32 v20, 32, v20
	v_lshrrev_b32_e32 v14, 27, v16
	v_subrev_u32_e32 v21, 28, v20
	v_and_b32_e32 v11, 0x80000000, v16
	v_and_b32_e32 v14, 15, v14
	v_bfe_u32 v15, v16, 27, 4
	v_lshlrev_b32_sdwa v16, v21, v16 dst_sel:DWORD dst_unused:UNUSED_PAD src0_sel:DWORD src1_sel:BYTE_3
	v_sub_u32_e32 v20, 29, v20
	v_and_b32_e32 v16, 7, v16
	v_cmp_eq_u16_e32 vcc, 0, v14
	v_cndmask_b32_e32 v10, v10, v16, vcc
	v_cndmask_b32_e32 v14, v15, v20, vcc
	v_mov_b32_e32 v15, 0x3b800000
	v_lshlrev_b32_e32 v10, 20, v10
	v_lshl_add_u32 v14, v14, 23, v15
	v_or3_b32 v10, v11, v14, v10
.LBB37_348:
	s_or_b64 exec, exec, s[6:7]
	s_movk_i32 s4, 0x7f
	v_cmp_gt_i16_sdwa s[6:7], v12, s4 src0_sel:BYTE_3 src1_sel:DWORD
	s_mov_b64 s[4:5], 0
                                        ; implicit-def: $sgpr10
	s_and_saveexec_b64 s[8:9], s[6:7]
	s_xor_b64 s[6:7], exec, s[8:9]
	s_cbranch_execnz .LBB37_2397
; %bb.349:
	s_or_saveexec_b64 s[6:7], s[6:7]
	v_mov_b32_e32 v11, s10
	s_xor_b64 exec, exec, s[6:7]
	s_cbranch_execnz .LBB37_2400
.LBB37_350:
	s_or_b64 exec, exec, s[6:7]
	s_and_saveexec_b64 s[6:7], s[4:5]
	s_cbranch_execz .LBB37_352
.LBB37_351:
	v_bfe_u32 v11, v12, 24, 3
	v_ffbh_u32_e32 v20, v11
	v_min_u32_e32 v20, 32, v20
	v_lshrrev_b32_e32 v15, 27, v12
	v_subrev_u32_e32 v21, 28, v20
	v_and_b32_e32 v14, 0x80000000, v12
	v_and_b32_e32 v15, 15, v15
	v_bfe_u32 v16, v12, 27, 4
	v_lshlrev_b32_sdwa v12, v21, v12 dst_sel:DWORD dst_unused:UNUSED_PAD src0_sel:DWORD src1_sel:BYTE_3
	v_sub_u32_e32 v20, 29, v20
	v_and_b32_e32 v12, 7, v12
	v_cmp_eq_u16_e32 vcc, 0, v15
	v_cndmask_b32_e32 v11, v11, v12, vcc
	v_cndmask_b32_e32 v12, v16, v20, vcc
	v_mov_b32_e32 v15, 0x3b800000
	v_lshlrev_b32_e32 v11, 20, v11
	v_lshl_add_u32 v12, v12, 23, v15
	v_or3_b32 v11, v14, v12, v11
.LBB37_352:
	s_or_b64 exec, exec, s[6:7]
	s_nop 0
	v_mfma_f32_16x16x4f32 a[0:3], v10, v11, a[0:3]
	s_movk_i32 s4, 0x7f
	v_cmp_gt_i16_sdwa s[6:7], v17, s4 src0_sel:BYTE_0 src1_sel:DWORD
	s_mov_b64 s[4:5], 0
                                        ; implicit-def: $sgpr10
	s_and_saveexec_b64 s[8:9], s[6:7]
	s_xor_b64 s[6:7], exec, s[8:9]
	s_cbranch_execnz .LBB37_2401
; %bb.353:
	s_or_saveexec_b64 s[6:7], s[6:7]
	v_mov_b32_e32 v10, s10
	s_xor_b64 exec, exec, s[6:7]
	s_cbranch_execnz .LBB37_2404
.LBB37_354:
	s_or_b64 exec, exec, s[6:7]
	s_and_saveexec_b64 s[6:7], s[4:5]
	s_cbranch_execz .LBB37_356
.LBB37_355:
	v_and_b32_e32 v10, 7, v17
	v_ffbh_u32_e32 v12, v10
	v_min_u32_e32 v12, 32, v12
	v_lshrrev_b16_e32 v11, 3, v17
	v_subrev_u32_e32 v14, 28, v12
	v_and_b32_e32 v11, 15, v11
	v_lshlrev_b32_e32 v14, v14, v17
	v_sub_u32_e32 v12, 29, v12
	v_and_b32_e32 v14, 7, v14
	v_cmp_eq_u16_e32 vcc, 0, v11
	v_cndmask_b32_e32 v10, v10, v14, vcc
	v_cndmask_b32_e32 v11, v11, v12, vcc
	v_lshlrev_b32_e32 v12, 24, v17
	v_mov_b32_e32 v14, 0x3b800000
	v_lshlrev_b32_e32 v10, 20, v10
	v_and_b32_e32 v12, 0x80000000, v12
	v_lshl_add_u32 v11, v11, 23, v14
	v_or3_b32 v10, v12, v11, v10
.LBB37_356:
	s_or_b64 exec, exec, s[6:7]
	s_movk_i32 s4, 0x7f
	v_cmp_gt_i16_sdwa s[6:7], v13, s4 src0_sel:BYTE_0 src1_sel:DWORD
	s_mov_b64 s[4:5], 0
                                        ; implicit-def: $sgpr10
	s_and_saveexec_b64 s[8:9], s[6:7]
	s_xor_b64 s[6:7], exec, s[8:9]
	s_cbranch_execnz .LBB37_2405
; %bb.357:
	s_or_saveexec_b64 s[6:7], s[6:7]
	v_mov_b32_e32 v11, s10
	s_xor_b64 exec, exec, s[6:7]
	s_cbranch_execnz .LBB37_2408
.LBB37_358:
	s_or_b64 exec, exec, s[6:7]
	s_and_saveexec_b64 s[6:7], s[4:5]
	s_cbranch_execz .LBB37_360
.LBB37_359:
	v_and_b32_e32 v11, 7, v13
	v_ffbh_u32_e32 v14, v11
	v_min_u32_e32 v14, 32, v14
	v_lshrrev_b16_e32 v12, 3, v13
	v_subrev_u32_e32 v15, 28, v14
	v_and_b32_e32 v12, 15, v12
	v_lshlrev_b32_e32 v15, v15, v13
	v_sub_u32_e32 v14, 29, v14
	v_and_b32_e32 v15, 7, v15
	v_cmp_eq_u16_e32 vcc, 0, v12
	v_cndmask_b32_e32 v11, v11, v15, vcc
	v_cndmask_b32_e32 v12, v12, v14, vcc
	v_lshlrev_b32_e32 v14, 24, v13
	v_mov_b32_e32 v15, 0x3b800000
	v_lshlrev_b32_e32 v11, 20, v11
	v_and_b32_e32 v14, 0x80000000, v14
	v_lshl_add_u32 v12, v12, 23, v15
	v_or3_b32 v11, v14, v12, v11
.LBB37_360:
	s_or_b64 exec, exec, s[6:7]
	s_nop 0
	v_mfma_f32_16x16x4f32 a[0:3], v10, v11, a[0:3]
	v_lshrrev_b32_e32 v11, 8, v17
	s_movk_i32 s4, 0x7f
	v_cmp_gt_i16_sdwa s[6:7], v11, s4 src0_sel:BYTE_0 src1_sel:DWORD
	s_mov_b64 s[4:5], 0
                                        ; implicit-def: $sgpr10
	s_and_saveexec_b64 s[8:9], s[6:7]
	s_xor_b64 s[6:7], exec, s[8:9]
	s_cbranch_execnz .LBB37_2409
; %bb.361:
	s_or_saveexec_b64 s[6:7], s[6:7]
	v_mov_b32_e32 v10, s10
	s_xor_b64 exec, exec, s[6:7]
	s_cbranch_execnz .LBB37_2412
.LBB37_362:
	s_or_b64 exec, exec, s[6:7]
	s_and_saveexec_b64 s[6:7], s[4:5]
	s_cbranch_execz .LBB37_364
.LBB37_363:
	v_bfe_u32 v10, v17, 8, 3
	v_ffbh_u32_e32 v14, v10
	v_min_u32_e32 v14, 32, v14
	v_lshrrev_b16_e32 v12, 3, v11
	v_subrev_u32_e32 v15, 28, v14
	v_and_b32_e32 v12, 15, v12
	v_lshlrev_b32_e32 v11, v15, v11
	v_sub_u32_e32 v14, 29, v14
	v_and_b32_e32 v11, 7, v11
	v_cmp_eq_u16_e32 vcc, 0, v12
	v_cndmask_b32_e32 v10, v10, v11, vcc
	v_cndmask_b32_e32 v11, v12, v14, vcc
	v_lshlrev_b32_e32 v12, 16, v17
	v_mov_b32_e32 v14, 0x3b800000
	v_lshlrev_b32_e32 v10, 20, v10
	v_and_b32_e32 v12, 0x80000000, v12
	v_lshl_add_u32 v11, v11, 23, v14
	v_or3_b32 v10, v12, v11, v10
.LBB37_364:
	s_or_b64 exec, exec, s[6:7]
	v_lshrrev_b32_e32 v11, 8, v13
	s_movk_i32 s4, 0x7f
	v_cmp_gt_i16_sdwa s[6:7], v11, s4 src0_sel:BYTE_0 src1_sel:DWORD
	s_mov_b64 s[4:5], 0
                                        ; implicit-def: $sgpr10
	s_and_saveexec_b64 s[8:9], s[6:7]
	s_xor_b64 s[6:7], exec, s[8:9]
	s_cbranch_execnz .LBB37_2413
; %bb.365:
	s_or_saveexec_b64 s[6:7], s[6:7]
	v_mov_b32_e32 v12, s10
	s_xor_b64 exec, exec, s[6:7]
	s_cbranch_execnz .LBB37_2416
.LBB37_366:
	s_or_b64 exec, exec, s[6:7]
	s_and_saveexec_b64 s[6:7], s[4:5]
	s_cbranch_execz .LBB37_368
.LBB37_367:
	v_bfe_u32 v12, v13, 8, 3
	v_ffbh_u32_e32 v15, v12
	v_min_u32_e32 v15, 32, v15
	v_lshrrev_b16_e32 v14, 3, v11
	v_subrev_u32_e32 v16, 28, v15
	v_and_b32_e32 v14, 15, v14
	v_lshlrev_b32_e32 v11, v16, v11
	v_sub_u32_e32 v15, 29, v15
	v_and_b32_e32 v11, 7, v11
	v_cmp_eq_u16_e32 vcc, 0, v14
	v_cndmask_b32_e32 v11, v12, v11, vcc
	v_cndmask_b32_e32 v12, v14, v15, vcc
	v_lshlrev_b32_e32 v14, 16, v13
	v_mov_b32_e32 v15, 0x3b800000
	v_lshlrev_b32_e32 v11, 20, v11
	v_and_b32_e32 v14, 0x80000000, v14
	v_lshl_add_u32 v12, v12, 23, v15
	v_or3_b32 v12, v14, v12, v11
.LBB37_368:
	s_or_b64 exec, exec, s[6:7]
	s_nop 0
	v_mfma_f32_16x16x4f32 a[0:3], v10, v12, a[0:3]
	s_movk_i32 s4, 0xff
	v_and_b32_sdwa v11, v17, s4 dst_sel:DWORD dst_unused:UNUSED_PAD src0_sel:WORD_1 src1_sel:DWORD
	s_movk_i32 s4, 0x7f
	v_cmp_lt_i16_e32 vcc, s4, v11
	s_mov_b64 s[4:5], 0
                                        ; implicit-def: $sgpr10
	s_and_saveexec_b64 s[6:7], vcc
	s_xor_b64 s[6:7], exec, s[6:7]
	s_cbranch_execnz .LBB37_2417
; %bb.369:
	s_or_saveexec_b64 s[6:7], s[6:7]
	v_mov_b32_e32 v10, s10
	s_xor_b64 exec, exec, s[6:7]
	s_cbranch_execnz .LBB37_2420
.LBB37_370:
	s_or_b64 exec, exec, s[6:7]
	s_and_saveexec_b64 s[6:7], s[4:5]
	s_cbranch_execz .LBB37_372
.LBB37_371:
	v_bfe_u32 v10, v17, 16, 3
	v_ffbh_u32_e32 v14, v10
	v_min_u32_e32 v14, 32, v14
	v_lshrrev_b32_e32 v11, 19, v17
	v_subrev_u32_e32 v15, 28, v14
	v_and_b32_e32 v11, 15, v11
	v_lshlrev_b32_sdwa v15, v15, v17 dst_sel:DWORD dst_unused:UNUSED_PAD src0_sel:DWORD src1_sel:WORD_1
	v_bfe_u32 v12, v17, 19, 4
	v_sub_u32_e32 v14, 29, v14
	v_and_b32_e32 v15, 7, v15
	v_cmp_eq_u16_e32 vcc, 0, v11
	v_cndmask_b32_e32 v10, v10, v15, vcc
	v_cndmask_b32_e32 v11, v12, v14, vcc
	v_lshlrev_b32_e32 v12, 8, v17
	v_mov_b32_e32 v14, 0x3b800000
	v_lshlrev_b32_e32 v10, 20, v10
	v_and_b32_e32 v12, 0x80000000, v12
	v_lshl_add_u32 v11, v11, 23, v14
	v_or3_b32 v10, v12, v11, v10
.LBB37_372:
	s_or_b64 exec, exec, s[6:7]
	s_movk_i32 s4, 0xff
	v_and_b32_sdwa v11, v13, s4 dst_sel:DWORD dst_unused:UNUSED_PAD src0_sel:WORD_1 src1_sel:DWORD
	s_movk_i32 s4, 0x7f
	v_cmp_lt_i16_e32 vcc, s4, v11
	s_mov_b64 s[4:5], 0
                                        ; implicit-def: $sgpr10
	s_and_saveexec_b64 s[6:7], vcc
	s_xor_b64 s[6:7], exec, s[6:7]
	s_cbranch_execnz .LBB37_2421
; %bb.373:
	s_or_saveexec_b64 s[6:7], s[6:7]
	v_mov_b32_e32 v12, s10
	s_xor_b64 exec, exec, s[6:7]
	s_cbranch_execnz .LBB37_2424
.LBB37_374:
	s_or_b64 exec, exec, s[6:7]
	s_and_saveexec_b64 s[6:7], s[4:5]
	s_cbranch_execz .LBB37_376
.LBB37_375:
	v_bfe_u32 v11, v13, 16, 3
	v_ffbh_u32_e32 v15, v11
	v_min_u32_e32 v15, 32, v15
	v_lshrrev_b32_e32 v12, 19, v13
	v_subrev_u32_e32 v16, 28, v15
	v_and_b32_e32 v12, 15, v12
	v_lshlrev_b32_sdwa v16, v16, v13 dst_sel:DWORD dst_unused:UNUSED_PAD src0_sel:DWORD src1_sel:WORD_1
	v_bfe_u32 v14, v13, 19, 4
	v_sub_u32_e32 v15, 29, v15
	v_and_b32_e32 v16, 7, v16
	v_cmp_eq_u16_e32 vcc, 0, v12
	v_cndmask_b32_e32 v11, v11, v16, vcc
	v_cndmask_b32_e32 v12, v14, v15, vcc
	v_lshlrev_b32_e32 v14, 8, v13
	v_mov_b32_e32 v15, 0x3b800000
	v_lshlrev_b32_e32 v11, 20, v11
	v_and_b32_e32 v14, 0x80000000, v14
	v_lshl_add_u32 v12, v12, 23, v15
	v_or3_b32 v12, v14, v12, v11
.LBB37_376:
	s_or_b64 exec, exec, s[6:7]
	s_nop 0
	v_mfma_f32_16x16x4f32 a[0:3], v10, v12, a[0:3]
	s_movk_i32 s4, 0x7f
	v_cmp_gt_i16_sdwa s[6:7], v17, s4 src0_sel:BYTE_3 src1_sel:DWORD
	s_mov_b64 s[4:5], 0
                                        ; implicit-def: $sgpr10
	s_and_saveexec_b64 s[8:9], s[6:7]
	s_xor_b64 s[6:7], exec, s[8:9]
	s_cbranch_execnz .LBB37_2425
; %bb.377:
	s_or_saveexec_b64 s[6:7], s[6:7]
	v_mov_b32_e32 v10, s10
	s_xor_b64 exec, exec, s[6:7]
	s_cbranch_execnz .LBB37_2428
.LBB37_378:
	s_or_b64 exec, exec, s[6:7]
	s_and_saveexec_b64 s[6:7], s[4:5]
	s_cbranch_execz .LBB37_380
.LBB37_379:
	v_bfe_u32 v10, v17, 24, 3
	v_ffbh_u32_e32 v15, v10
	v_min_u32_e32 v15, 32, v15
	v_lshrrev_b32_e32 v12, 27, v17
	v_subrev_u32_e32 v16, 28, v15
	v_and_b32_e32 v12, 15, v12
	v_lshlrev_b32_sdwa v16, v16, v17 dst_sel:DWORD dst_unused:UNUSED_PAD src0_sel:DWORD src1_sel:BYTE_3
	v_bfe_u32 v14, v17, 27, 4
	v_sub_u32_e32 v15, 29, v15
	v_and_b32_e32 v16, 7, v16
	v_cmp_eq_u16_e32 vcc, 0, v12
	v_cndmask_b32_e32 v10, v10, v16, vcc
	v_cndmask_b32_e32 v12, v14, v15, vcc
	v_mov_b32_e32 v14, 0x3b800000
	v_and_b32_e32 v11, 0x80000000, v17
	v_lshlrev_b32_e32 v10, 20, v10
	v_lshl_add_u32 v12, v12, 23, v14
	v_or3_b32 v10, v11, v12, v10
.LBB37_380:
	s_or_b64 exec, exec, s[6:7]
	s_movk_i32 s4, 0x7f
	v_cmp_gt_i16_sdwa s[6:7], v13, s4 src0_sel:BYTE_3 src1_sel:DWORD
	s_mov_b64 s[4:5], 0
                                        ; implicit-def: $sgpr10
	s_and_saveexec_b64 s[8:9], s[6:7]
	s_xor_b64 s[6:7], exec, s[8:9]
	s_cbranch_execnz .LBB37_2429
; %bb.381:
	s_or_saveexec_b64 s[6:7], s[6:7]
	v_mov_b32_e32 v11, s10
	s_xor_b64 exec, exec, s[6:7]
	s_cbranch_execnz .LBB37_2432
.LBB37_382:
	s_or_b64 exec, exec, s[6:7]
	s_and_saveexec_b64 s[6:7], s[4:5]
	s_cbranch_execz .LBB37_384
.LBB37_383:
	v_bfe_u32 v11, v13, 24, 3
	v_ffbh_u32_e32 v16, v11
	v_min_u32_e32 v16, 32, v16
	v_lshrrev_b32_e32 v14, 27, v13
	v_subrev_u32_e32 v17, 28, v16
	v_and_b32_e32 v12, 0x80000000, v13
	v_and_b32_e32 v14, 15, v14
	v_bfe_u32 v15, v13, 27, 4
	v_lshlrev_b32_sdwa v13, v17, v13 dst_sel:DWORD dst_unused:UNUSED_PAD src0_sel:DWORD src1_sel:BYTE_3
	v_sub_u32_e32 v16, 29, v16
	v_and_b32_e32 v13, 7, v13
	v_cmp_eq_u16_e32 vcc, 0, v14
	v_cndmask_b32_e32 v11, v11, v13, vcc
	v_cndmask_b32_e32 v13, v15, v16, vcc
	v_mov_b32_e32 v14, 0x3b800000
	v_lshlrev_b32_e32 v11, 20, v11
	v_lshl_add_u32 v13, v13, 23, v14
	v_or3_b32 v11, v12, v13, v11
.LBB37_384:
	s_or_b64 exec, exec, s[6:7]
	s_nop 0
	v_mfma_f32_16x16x4f32 a[0:3], v10, v11, a[0:3]
	s_movk_i32 s4, 0x7f
	v_cmp_gt_i16_sdwa s[6:7], v6, s4 src0_sel:BYTE_0 src1_sel:DWORD
	s_mov_b64 s[4:5], 0
                                        ; implicit-def: $sgpr10
	s_and_saveexec_b64 s[8:9], s[6:7]
	s_xor_b64 s[6:7], exec, s[8:9]
	s_cbranch_execnz .LBB37_2433
; %bb.385:
	s_or_saveexec_b64 s[6:7], s[6:7]
	v_mov_b32_e32 v10, s10
	s_xor_b64 exec, exec, s[6:7]
	s_cbranch_execnz .LBB37_2436
.LBB37_386:
	s_or_b64 exec, exec, s[6:7]
	s_and_saveexec_b64 s[6:7], s[4:5]
	s_cbranch_execz .LBB37_388
.LBB37_387:
	v_and_b32_e32 v10, 7, v6
	v_ffbh_u32_e32 v12, v10
	v_min_u32_e32 v12, 32, v12
	v_lshrrev_b16_e32 v11, 3, v6
	v_subrev_u32_e32 v13, 28, v12
	v_and_b32_e32 v11, 15, v11
	v_lshlrev_b32_e32 v13, v13, v6
	v_sub_u32_e32 v12, 29, v12
	v_and_b32_e32 v13, 7, v13
	v_cmp_eq_u16_e32 vcc, 0, v11
	v_cndmask_b32_e32 v10, v10, v13, vcc
	v_cndmask_b32_e32 v11, v11, v12, vcc
	v_lshlrev_b32_e32 v12, 24, v6
	v_mov_b32_e32 v13, 0x3b800000
	v_lshlrev_b32_e32 v10, 20, v10
	v_and_b32_e32 v12, 0x80000000, v12
	v_lshl_add_u32 v11, v11, 23, v13
	v_or3_b32 v10, v12, v11, v10
.LBB37_388:
	s_or_b64 exec, exec, s[6:7]
	s_movk_i32 s4, 0x7f
	v_cmp_gt_i16_sdwa s[6:7], v2, s4 src0_sel:BYTE_0 src1_sel:DWORD
	s_mov_b64 s[4:5], 0
                                        ; implicit-def: $sgpr10
	s_and_saveexec_b64 s[8:9], s[6:7]
	s_xor_b64 s[6:7], exec, s[8:9]
	s_cbranch_execnz .LBB37_2437
; %bb.389:
	s_or_saveexec_b64 s[6:7], s[6:7]
	v_mov_b32_e32 v11, s10
	s_xor_b64 exec, exec, s[6:7]
	s_cbranch_execnz .LBB37_2440
.LBB37_390:
	s_or_b64 exec, exec, s[6:7]
	s_and_saveexec_b64 s[6:7], s[4:5]
	s_cbranch_execz .LBB37_392
.LBB37_391:
	v_and_b32_e32 v11, 7, v2
	v_ffbh_u32_e32 v13, v11
	v_min_u32_e32 v13, 32, v13
	v_lshrrev_b16_e32 v12, 3, v2
	v_subrev_u32_e32 v14, 28, v13
	v_and_b32_e32 v12, 15, v12
	v_lshlrev_b32_e32 v14, v14, v2
	v_sub_u32_e32 v13, 29, v13
	v_and_b32_e32 v14, 7, v14
	v_cmp_eq_u16_e32 vcc, 0, v12
	v_cndmask_b32_e32 v11, v11, v14, vcc
	v_cndmask_b32_e32 v12, v12, v13, vcc
	v_lshlrev_b32_e32 v13, 24, v2
	v_mov_b32_e32 v14, 0x3b800000
	v_lshlrev_b32_e32 v11, 20, v11
	v_and_b32_e32 v13, 0x80000000, v13
	v_lshl_add_u32 v12, v12, 23, v14
	v_or3_b32 v11, v13, v12, v11
.LBB37_392:
	s_or_b64 exec, exec, s[6:7]
	s_nop 0
	v_mfma_f32_16x16x4f32 a[0:3], v10, v11, a[0:3]
	v_lshrrev_b32_e32 v11, 8, v6
	s_movk_i32 s4, 0x7f
	v_cmp_gt_i16_sdwa s[6:7], v11, s4 src0_sel:BYTE_0 src1_sel:DWORD
	s_mov_b64 s[4:5], 0
                                        ; implicit-def: $sgpr10
	s_and_saveexec_b64 s[8:9], s[6:7]
	s_xor_b64 s[6:7], exec, s[8:9]
	s_cbranch_execnz .LBB37_2441
; %bb.393:
	s_or_saveexec_b64 s[6:7], s[6:7]
	v_mov_b32_e32 v10, s10
	s_xor_b64 exec, exec, s[6:7]
	s_cbranch_execnz .LBB37_2444
.LBB37_394:
	s_or_b64 exec, exec, s[6:7]
	s_and_saveexec_b64 s[6:7], s[4:5]
	s_cbranch_execz .LBB37_396
.LBB37_395:
	v_bfe_u32 v10, v6, 8, 3
	v_ffbh_u32_e32 v13, v10
	v_min_u32_e32 v13, 32, v13
	v_lshrrev_b16_e32 v12, 3, v11
	v_subrev_u32_e32 v14, 28, v13
	v_and_b32_e32 v12, 15, v12
	v_lshlrev_b32_e32 v11, v14, v11
	v_sub_u32_e32 v13, 29, v13
	v_and_b32_e32 v11, 7, v11
	v_cmp_eq_u16_e32 vcc, 0, v12
	v_cndmask_b32_e32 v10, v10, v11, vcc
	v_cndmask_b32_e32 v11, v12, v13, vcc
	v_lshlrev_b32_e32 v12, 16, v6
	v_mov_b32_e32 v13, 0x3b800000
	v_lshlrev_b32_e32 v10, 20, v10
	v_and_b32_e32 v12, 0x80000000, v12
	v_lshl_add_u32 v11, v11, 23, v13
	v_or3_b32 v10, v12, v11, v10
.LBB37_396:
	s_or_b64 exec, exec, s[6:7]
	v_lshrrev_b32_e32 v11, 8, v2
	s_movk_i32 s4, 0x7f
	v_cmp_gt_i16_sdwa s[6:7], v11, s4 src0_sel:BYTE_0 src1_sel:DWORD
	s_mov_b64 s[4:5], 0
                                        ; implicit-def: $sgpr10
	s_and_saveexec_b64 s[8:9], s[6:7]
	s_xor_b64 s[6:7], exec, s[8:9]
	s_cbranch_execnz .LBB37_2445
; %bb.397:
	s_or_saveexec_b64 s[6:7], s[6:7]
	v_mov_b32_e32 v12, s10
	s_xor_b64 exec, exec, s[6:7]
	s_cbranch_execnz .LBB37_2448
.LBB37_398:
	s_or_b64 exec, exec, s[6:7]
	s_and_saveexec_b64 s[6:7], s[4:5]
	s_cbranch_execz .LBB37_400
.LBB37_399:
	v_bfe_u32 v12, v2, 8, 3
	v_ffbh_u32_e32 v14, v12
	v_min_u32_e32 v14, 32, v14
	v_lshrrev_b16_e32 v13, 3, v11
	v_subrev_u32_e32 v15, 28, v14
	v_and_b32_e32 v13, 15, v13
	v_lshlrev_b32_e32 v11, v15, v11
	v_sub_u32_e32 v14, 29, v14
	v_and_b32_e32 v11, 7, v11
	v_cmp_eq_u16_e32 vcc, 0, v13
	v_cndmask_b32_e32 v11, v12, v11, vcc
	v_cndmask_b32_e32 v12, v13, v14, vcc
	v_lshlrev_b32_e32 v13, 16, v2
	v_mov_b32_e32 v14, 0x3b800000
	v_lshlrev_b32_e32 v11, 20, v11
	v_and_b32_e32 v13, 0x80000000, v13
	v_lshl_add_u32 v12, v12, 23, v14
	v_or3_b32 v12, v13, v12, v11
.LBB37_400:
	s_or_b64 exec, exec, s[6:7]
	s_nop 0
	v_mfma_f32_16x16x4f32 a[0:3], v10, v12, a[0:3]
	s_movk_i32 s4, 0xff
	v_and_b32_sdwa v11, v6, s4 dst_sel:DWORD dst_unused:UNUSED_PAD src0_sel:WORD_1 src1_sel:DWORD
	s_movk_i32 s4, 0x7f
	v_cmp_lt_i16_e32 vcc, s4, v11
	s_mov_b64 s[4:5], 0
                                        ; implicit-def: $sgpr10
	s_and_saveexec_b64 s[6:7], vcc
	s_xor_b64 s[6:7], exec, s[6:7]
	s_cbranch_execnz .LBB37_2449
; %bb.401:
	s_or_saveexec_b64 s[6:7], s[6:7]
	v_mov_b32_e32 v10, s10
	s_xor_b64 exec, exec, s[6:7]
	s_cbranch_execnz .LBB37_2452
.LBB37_402:
	s_or_b64 exec, exec, s[6:7]
	s_and_saveexec_b64 s[6:7], s[4:5]
	s_cbranch_execz .LBB37_404
.LBB37_403:
	v_bfe_u32 v10, v6, 16, 3
	v_ffbh_u32_e32 v13, v10
	v_min_u32_e32 v13, 32, v13
	v_lshrrev_b32_e32 v11, 19, v6
	v_subrev_u32_e32 v14, 28, v13
	v_and_b32_e32 v11, 15, v11
	v_lshlrev_b32_sdwa v14, v14, v6 dst_sel:DWORD dst_unused:UNUSED_PAD src0_sel:DWORD src1_sel:WORD_1
	v_bfe_u32 v12, v6, 19, 4
	v_sub_u32_e32 v13, 29, v13
	v_and_b32_e32 v14, 7, v14
	v_cmp_eq_u16_e32 vcc, 0, v11
	v_cndmask_b32_e32 v10, v10, v14, vcc
	v_cndmask_b32_e32 v11, v12, v13, vcc
	v_lshlrev_b32_e32 v12, 8, v6
	v_mov_b32_e32 v13, 0x3b800000
	v_lshlrev_b32_e32 v10, 20, v10
	v_and_b32_e32 v12, 0x80000000, v12
	v_lshl_add_u32 v11, v11, 23, v13
	v_or3_b32 v10, v12, v11, v10
.LBB37_404:
	s_or_b64 exec, exec, s[6:7]
	s_movk_i32 s4, 0xff
	v_and_b32_sdwa v11, v2, s4 dst_sel:DWORD dst_unused:UNUSED_PAD src0_sel:WORD_1 src1_sel:DWORD
	s_movk_i32 s4, 0x7f
	v_cmp_lt_i16_e32 vcc, s4, v11
	s_mov_b64 s[4:5], 0
                                        ; implicit-def: $sgpr10
	s_and_saveexec_b64 s[6:7], vcc
	s_xor_b64 s[6:7], exec, s[6:7]
	s_cbranch_execnz .LBB37_2453
; %bb.405:
	s_or_saveexec_b64 s[6:7], s[6:7]
	v_mov_b32_e32 v12, s10
	s_xor_b64 exec, exec, s[6:7]
	s_cbranch_execnz .LBB37_2456
.LBB37_406:
	s_or_b64 exec, exec, s[6:7]
	s_and_saveexec_b64 s[6:7], s[4:5]
	s_cbranch_execz .LBB37_408
.LBB37_407:
	v_bfe_u32 v11, v2, 16, 3
	v_ffbh_u32_e32 v14, v11
	v_min_u32_e32 v14, 32, v14
	v_lshrrev_b32_e32 v12, 19, v2
	v_subrev_u32_e32 v15, 28, v14
	v_and_b32_e32 v12, 15, v12
	v_lshlrev_b32_sdwa v15, v15, v2 dst_sel:DWORD dst_unused:UNUSED_PAD src0_sel:DWORD src1_sel:WORD_1
	v_bfe_u32 v13, v2, 19, 4
	v_sub_u32_e32 v14, 29, v14
	v_and_b32_e32 v15, 7, v15
	v_cmp_eq_u16_e32 vcc, 0, v12
	v_cndmask_b32_e32 v11, v11, v15, vcc
	v_cndmask_b32_e32 v12, v13, v14, vcc
	v_lshlrev_b32_e32 v13, 8, v2
	v_mov_b32_e32 v14, 0x3b800000
	v_lshlrev_b32_e32 v11, 20, v11
	v_and_b32_e32 v13, 0x80000000, v13
	v_lshl_add_u32 v12, v12, 23, v14
	v_or3_b32 v12, v13, v12, v11
.LBB37_408:
	s_or_b64 exec, exec, s[6:7]
	s_nop 0
	v_mfma_f32_16x16x4f32 a[0:3], v10, v12, a[0:3]
	s_movk_i32 s4, 0x7f
	v_cmp_gt_i16_sdwa s[6:7], v6, s4 src0_sel:BYTE_3 src1_sel:DWORD
	s_mov_b64 s[4:5], 0
                                        ; implicit-def: $sgpr10
	s_and_saveexec_b64 s[8:9], s[6:7]
	s_xor_b64 s[6:7], exec, s[8:9]
	s_cbranch_execnz .LBB37_2457
; %bb.409:
	s_or_saveexec_b64 s[6:7], s[6:7]
	v_mov_b32_e32 v10, s10
	s_xor_b64 exec, exec, s[6:7]
	s_cbranch_execnz .LBB37_2460
.LBB37_410:
	s_or_b64 exec, exec, s[6:7]
	s_and_saveexec_b64 s[6:7], s[4:5]
	s_cbranch_execz .LBB37_412
.LBB37_411:
	v_bfe_u32 v10, v6, 24, 3
	v_ffbh_u32_e32 v14, v10
	v_min_u32_e32 v14, 32, v14
	v_lshrrev_b32_e32 v12, 27, v6
	v_subrev_u32_e32 v15, 28, v14
	v_and_b32_e32 v11, 0x80000000, v6
	v_and_b32_e32 v12, 15, v12
	v_bfe_u32 v13, v6, 27, 4
	v_lshlrev_b32_sdwa v6, v15, v6 dst_sel:DWORD dst_unused:UNUSED_PAD src0_sel:DWORD src1_sel:BYTE_3
	v_sub_u32_e32 v14, 29, v14
	v_and_b32_e32 v6, 7, v6
	v_cmp_eq_u16_e32 vcc, 0, v12
	v_cndmask_b32_e32 v6, v10, v6, vcc
	v_cndmask_b32_e32 v10, v13, v14, vcc
	v_mov_b32_e32 v12, 0x3b800000
	v_lshlrev_b32_e32 v6, 20, v6
	v_lshl_add_u32 v10, v10, 23, v12
	v_or3_b32 v10, v11, v10, v6
.LBB37_412:
	s_or_b64 exec, exec, s[6:7]
	s_movk_i32 s4, 0x7f
	v_cmp_gt_i16_sdwa s[6:7], v2, s4 src0_sel:BYTE_3 src1_sel:DWORD
	s_mov_b64 s[4:5], 0
                                        ; implicit-def: $sgpr10
	s_and_saveexec_b64 s[8:9], s[6:7]
	s_xor_b64 s[6:7], exec, s[8:9]
	s_cbranch_execnz .LBB37_2461
; %bb.413:
	s_or_saveexec_b64 s[6:7], s[6:7]
	v_mov_b32_e32 v6, s10
	s_xor_b64 exec, exec, s[6:7]
	s_cbranch_execnz .LBB37_2464
.LBB37_414:
	s_or_b64 exec, exec, s[6:7]
	s_and_saveexec_b64 s[6:7], s[4:5]
	s_cbranch_execz .LBB37_416
.LBB37_415:
	v_bfe_u32 v6, v2, 24, 3
	v_ffbh_u32_e32 v14, v6
	v_min_u32_e32 v14, 32, v14
	v_lshrrev_b32_e32 v12, 27, v2
	v_subrev_u32_e32 v15, 28, v14
	v_and_b32_e32 v11, 0x80000000, v2
	v_and_b32_e32 v12, 15, v12
	v_bfe_u32 v13, v2, 27, 4
	v_lshlrev_b32_sdwa v2, v15, v2 dst_sel:DWORD dst_unused:UNUSED_PAD src0_sel:DWORD src1_sel:BYTE_3
	v_sub_u32_e32 v14, 29, v14
	v_and_b32_e32 v2, 7, v2
	v_cmp_eq_u16_e32 vcc, 0, v12
	v_cndmask_b32_e32 v2, v6, v2, vcc
	v_cndmask_b32_e32 v6, v13, v14, vcc
	v_mov_b32_e32 v12, 0x3b800000
	v_lshlrev_b32_e32 v2, 20, v2
	v_lshl_add_u32 v6, v6, 23, v12
	v_or3_b32 v6, v11, v6, v2
.LBB37_416:
	s_or_b64 exec, exec, s[6:7]
	s_nop 0
	v_mfma_f32_16x16x4f32 a[0:3], v10, v6, a[0:3]
	s_movk_i32 s4, 0x7f
	v_cmp_gt_i16_sdwa s[6:7], v7, s4 src0_sel:BYTE_0 src1_sel:DWORD
	s_mov_b64 s[4:5], 0
                                        ; implicit-def: $sgpr10
	s_and_saveexec_b64 s[8:9], s[6:7]
	s_xor_b64 s[6:7], exec, s[8:9]
	s_cbranch_execnz .LBB37_2465
; %bb.417:
	s_or_saveexec_b64 s[6:7], s[6:7]
	v_mov_b32_e32 v2, s10
	s_xor_b64 exec, exec, s[6:7]
	s_cbranch_execnz .LBB37_2468
.LBB37_418:
	s_or_b64 exec, exec, s[6:7]
	s_and_saveexec_b64 s[6:7], s[4:5]
	s_cbranch_execz .LBB37_420
.LBB37_419:
	v_and_b32_e32 v2, 7, v7
	v_ffbh_u32_e32 v10, v2
	v_min_u32_e32 v10, 32, v10
	v_lshrrev_b16_e32 v6, 3, v7
	v_subrev_u32_e32 v11, 28, v10
	v_and_b32_e32 v6, 15, v6
	v_lshlrev_b32_e32 v11, v11, v7
	v_sub_u32_e32 v10, 29, v10
	v_and_b32_e32 v11, 7, v11
	v_cmp_eq_u16_e32 vcc, 0, v6
	v_cndmask_b32_e32 v2, v2, v11, vcc
	v_cndmask_b32_e32 v6, v6, v10, vcc
	v_lshlrev_b32_e32 v10, 24, v7
	v_mov_b32_e32 v11, 0x3b800000
	v_lshlrev_b32_e32 v2, 20, v2
	v_and_b32_e32 v10, 0x80000000, v10
	v_lshl_add_u32 v6, v6, 23, v11
	v_or3_b32 v2, v10, v6, v2
.LBB37_420:
	s_or_b64 exec, exec, s[6:7]
	s_movk_i32 s4, 0x7f
	v_cmp_gt_i16_sdwa s[6:7], v3, s4 src0_sel:BYTE_0 src1_sel:DWORD
	s_mov_b64 s[4:5], 0
                                        ; implicit-def: $sgpr10
	s_and_saveexec_b64 s[8:9], s[6:7]
	s_xor_b64 s[6:7], exec, s[8:9]
	s_cbranch_execnz .LBB37_2469
; %bb.421:
	s_or_saveexec_b64 s[6:7], s[6:7]
	v_mov_b32_e32 v6, s10
	s_xor_b64 exec, exec, s[6:7]
	s_cbranch_execnz .LBB37_2472
.LBB37_422:
	s_or_b64 exec, exec, s[6:7]
	s_and_saveexec_b64 s[6:7], s[4:5]
	s_cbranch_execz .LBB37_424
.LBB37_423:
	v_and_b32_e32 v6, 7, v3
	v_ffbh_u32_e32 v11, v6
	v_min_u32_e32 v11, 32, v11
	v_lshrrev_b16_e32 v10, 3, v3
	v_subrev_u32_e32 v12, 28, v11
	v_and_b32_e32 v10, 15, v10
	v_lshlrev_b32_e32 v12, v12, v3
	v_sub_u32_e32 v11, 29, v11
	v_and_b32_e32 v12, 7, v12
	v_cmp_eq_u16_e32 vcc, 0, v10
	v_cndmask_b32_e32 v6, v6, v12, vcc
	v_cndmask_b32_e32 v10, v10, v11, vcc
	v_lshlrev_b32_e32 v11, 24, v3
	v_mov_b32_e32 v12, 0x3b800000
	v_lshlrev_b32_e32 v6, 20, v6
	v_and_b32_e32 v11, 0x80000000, v11
	v_lshl_add_u32 v10, v10, 23, v12
	v_or3_b32 v6, v11, v10, v6
.LBB37_424:
	s_or_b64 exec, exec, s[6:7]
	s_nop 0
	v_mfma_f32_16x16x4f32 a[0:3], v2, v6, a[0:3]
	v_lshrrev_b32_e32 v6, 8, v7
	s_movk_i32 s4, 0x7f
	v_cmp_gt_i16_sdwa s[6:7], v6, s4 src0_sel:BYTE_0 src1_sel:DWORD
	s_mov_b64 s[4:5], 0
                                        ; implicit-def: $sgpr10
	s_and_saveexec_b64 s[8:9], s[6:7]
	s_xor_b64 s[6:7], exec, s[8:9]
	s_cbranch_execnz .LBB37_2473
; %bb.425:
	s_or_saveexec_b64 s[6:7], s[6:7]
	v_mov_b32_e32 v2, s10
	s_xor_b64 exec, exec, s[6:7]
	s_cbranch_execnz .LBB37_2476
.LBB37_426:
	s_or_b64 exec, exec, s[6:7]
	s_and_saveexec_b64 s[6:7], s[4:5]
	s_cbranch_execz .LBB37_428
.LBB37_427:
	v_bfe_u32 v2, v7, 8, 3
	v_ffbh_u32_e32 v11, v2
	v_min_u32_e32 v11, 32, v11
	v_lshrrev_b16_e32 v10, 3, v6
	v_subrev_u32_e32 v12, 28, v11
	v_and_b32_e32 v10, 15, v10
	v_lshlrev_b32_e32 v6, v12, v6
	v_sub_u32_e32 v11, 29, v11
	v_and_b32_e32 v6, 7, v6
	v_cmp_eq_u16_e32 vcc, 0, v10
	v_cndmask_b32_e32 v2, v2, v6, vcc
	v_cndmask_b32_e32 v6, v10, v11, vcc
	v_lshlrev_b32_e32 v10, 16, v7
	v_mov_b32_e32 v11, 0x3b800000
	v_lshlrev_b32_e32 v2, 20, v2
	v_and_b32_e32 v10, 0x80000000, v10
	v_lshl_add_u32 v6, v6, 23, v11
	v_or3_b32 v2, v10, v6, v2
.LBB37_428:
	s_or_b64 exec, exec, s[6:7]
	v_lshrrev_b32_e32 v6, 8, v3
	s_movk_i32 s4, 0x7f
	v_cmp_gt_i16_sdwa s[6:7], v6, s4 src0_sel:BYTE_0 src1_sel:DWORD
	s_mov_b64 s[4:5], 0
                                        ; implicit-def: $sgpr10
	s_and_saveexec_b64 s[8:9], s[6:7]
	s_xor_b64 s[6:7], exec, s[8:9]
	s_cbranch_execnz .LBB37_2477
; %bb.429:
	s_or_saveexec_b64 s[6:7], s[6:7]
	v_mov_b32_e32 v10, s10
	s_xor_b64 exec, exec, s[6:7]
	s_cbranch_execnz .LBB37_2480
.LBB37_430:
	s_or_b64 exec, exec, s[6:7]
	s_and_saveexec_b64 s[6:7], s[4:5]
	s_cbranch_execz .LBB37_432
.LBB37_431:
	v_bfe_u32 v10, v3, 8, 3
	v_ffbh_u32_e32 v12, v10
	v_min_u32_e32 v12, 32, v12
	v_lshrrev_b16_e32 v11, 3, v6
	v_subrev_u32_e32 v13, 28, v12
	v_and_b32_e32 v11, 15, v11
	v_lshlrev_b32_e32 v6, v13, v6
	v_sub_u32_e32 v12, 29, v12
	v_and_b32_e32 v6, 7, v6
	v_cmp_eq_u16_e32 vcc, 0, v11
	v_cndmask_b32_e32 v6, v10, v6, vcc
	v_cndmask_b32_e32 v10, v11, v12, vcc
	v_lshlrev_b32_e32 v11, 16, v3
	v_mov_b32_e32 v12, 0x3b800000
	v_lshlrev_b32_e32 v6, 20, v6
	v_and_b32_e32 v11, 0x80000000, v11
	v_lshl_add_u32 v10, v10, 23, v12
	v_or3_b32 v10, v11, v10, v6
.LBB37_432:
	s_or_b64 exec, exec, s[6:7]
	s_nop 0
	v_mfma_f32_16x16x4f32 a[0:3], v2, v10, a[0:3]
	s_movk_i32 s4, 0xff
	v_and_b32_sdwa v6, v7, s4 dst_sel:DWORD dst_unused:UNUSED_PAD src0_sel:WORD_1 src1_sel:DWORD
	s_movk_i32 s4, 0x7f
	v_cmp_lt_i16_e32 vcc, s4, v6
	s_mov_b64 s[4:5], 0
                                        ; implicit-def: $sgpr10
	s_and_saveexec_b64 s[6:7], vcc
	s_xor_b64 s[6:7], exec, s[6:7]
	s_cbranch_execnz .LBB37_2481
; %bb.433:
	s_or_saveexec_b64 s[6:7], s[6:7]
	v_mov_b32_e32 v2, s10
	s_xor_b64 exec, exec, s[6:7]
	s_cbranch_execnz .LBB37_2484
.LBB37_434:
	s_or_b64 exec, exec, s[6:7]
	s_and_saveexec_b64 s[6:7], s[4:5]
	s_cbranch_execz .LBB37_436
.LBB37_435:
	v_bfe_u32 v2, v7, 16, 3
	v_ffbh_u32_e32 v11, v2
	v_min_u32_e32 v11, 32, v11
	v_lshrrev_b32_e32 v6, 19, v7
	v_subrev_u32_e32 v12, 28, v11
	v_and_b32_e32 v6, 15, v6
	v_lshlrev_b32_sdwa v12, v12, v7 dst_sel:DWORD dst_unused:UNUSED_PAD src0_sel:DWORD src1_sel:WORD_1
	v_bfe_u32 v10, v7, 19, 4
	v_sub_u32_e32 v11, 29, v11
	v_and_b32_e32 v12, 7, v12
	v_cmp_eq_u16_e32 vcc, 0, v6
	v_cndmask_b32_e32 v2, v2, v12, vcc
	v_cndmask_b32_e32 v6, v10, v11, vcc
	v_lshlrev_b32_e32 v10, 8, v7
	v_mov_b32_e32 v11, 0x3b800000
	v_lshlrev_b32_e32 v2, 20, v2
	v_and_b32_e32 v10, 0x80000000, v10
	v_lshl_add_u32 v6, v6, 23, v11
	v_or3_b32 v2, v10, v6, v2
.LBB37_436:
	s_or_b64 exec, exec, s[6:7]
	s_movk_i32 s4, 0xff
	v_and_b32_sdwa v6, v3, s4 dst_sel:DWORD dst_unused:UNUSED_PAD src0_sel:WORD_1 src1_sel:DWORD
	s_movk_i32 s4, 0x7f
	v_cmp_lt_i16_e32 vcc, s4, v6
	s_mov_b64 s[4:5], 0
                                        ; implicit-def: $sgpr10
	s_and_saveexec_b64 s[6:7], vcc
	s_xor_b64 s[6:7], exec, s[6:7]
	s_cbranch_execnz .LBB37_2485
; %bb.437:
	s_or_saveexec_b64 s[6:7], s[6:7]
	v_mov_b32_e32 v10, s10
	s_xor_b64 exec, exec, s[6:7]
	s_cbranch_execnz .LBB37_2488
.LBB37_438:
	s_or_b64 exec, exec, s[6:7]
	s_and_saveexec_b64 s[6:7], s[4:5]
	s_cbranch_execz .LBB37_440
.LBB37_439:
	v_bfe_u32 v6, v3, 16, 3
	v_ffbh_u32_e32 v12, v6
	v_min_u32_e32 v12, 32, v12
	v_lshrrev_b32_e32 v10, 19, v3
	v_subrev_u32_e32 v13, 28, v12
	v_and_b32_e32 v10, 15, v10
	v_lshlrev_b32_sdwa v13, v13, v3 dst_sel:DWORD dst_unused:UNUSED_PAD src0_sel:DWORD src1_sel:WORD_1
	v_bfe_u32 v11, v3, 19, 4
	v_sub_u32_e32 v12, 29, v12
	v_and_b32_e32 v13, 7, v13
	v_cmp_eq_u16_e32 vcc, 0, v10
	v_cndmask_b32_e32 v6, v6, v13, vcc
	v_cndmask_b32_e32 v10, v11, v12, vcc
	v_lshlrev_b32_e32 v11, 8, v3
	v_mov_b32_e32 v12, 0x3b800000
	v_lshlrev_b32_e32 v6, 20, v6
	v_and_b32_e32 v11, 0x80000000, v11
	v_lshl_add_u32 v10, v10, 23, v12
	v_or3_b32 v10, v11, v10, v6
.LBB37_440:
	s_or_b64 exec, exec, s[6:7]
	s_nop 0
	v_mfma_f32_16x16x4f32 a[0:3], v2, v10, a[0:3]
	s_movk_i32 s4, 0x7f
	v_cmp_gt_i16_sdwa s[6:7], v7, s4 src0_sel:BYTE_3 src1_sel:DWORD
	s_mov_b64 s[4:5], 0
                                        ; implicit-def: $sgpr10
	s_and_saveexec_b64 s[8:9], s[6:7]
	s_xor_b64 s[6:7], exec, s[8:9]
	s_cbranch_execnz .LBB37_2489
; %bb.441:
	s_or_saveexec_b64 s[6:7], s[6:7]
	v_mov_b32_e32 v2, s10
	s_xor_b64 exec, exec, s[6:7]
	s_cbranch_execnz .LBB37_2492
.LBB37_442:
	s_or_b64 exec, exec, s[6:7]
	s_and_saveexec_b64 s[6:7], s[4:5]
	s_cbranch_execz .LBB37_444
.LBB37_443:
	v_bfe_u32 v2, v7, 24, 3
	v_ffbh_u32_e32 v12, v2
	v_min_u32_e32 v12, 32, v12
	v_lshrrev_b32_e32 v10, 27, v7
	v_subrev_u32_e32 v13, 28, v12
	v_and_b32_e32 v6, 0x80000000, v7
	v_and_b32_e32 v10, 15, v10
	v_bfe_u32 v11, v7, 27, 4
	v_lshlrev_b32_sdwa v7, v13, v7 dst_sel:DWORD dst_unused:UNUSED_PAD src0_sel:DWORD src1_sel:BYTE_3
	v_sub_u32_e32 v12, 29, v12
	v_and_b32_e32 v7, 7, v7
	v_cmp_eq_u16_e32 vcc, 0, v10
	v_cndmask_b32_e32 v2, v2, v7, vcc
	v_cndmask_b32_e32 v7, v11, v12, vcc
	v_mov_b32_e32 v10, 0x3b800000
	v_lshlrev_b32_e32 v2, 20, v2
	v_lshl_add_u32 v7, v7, 23, v10
	v_or3_b32 v2, v6, v7, v2
.LBB37_444:
	s_or_b64 exec, exec, s[6:7]
	s_movk_i32 s4, 0x7f
	v_cmp_gt_i16_sdwa s[6:7], v3, s4 src0_sel:BYTE_3 src1_sel:DWORD
	s_mov_b64 s[4:5], 0
                                        ; implicit-def: $sgpr10
	s_and_saveexec_b64 s[8:9], s[6:7]
	s_xor_b64 s[6:7], exec, s[8:9]
	s_cbranch_execnz .LBB37_2493
; %bb.445:
	s_or_saveexec_b64 s[6:7], s[6:7]
	v_mov_b32_e32 v6, s10
	s_xor_b64 exec, exec, s[6:7]
	s_cbranch_execnz .LBB37_2496
.LBB37_446:
	s_or_b64 exec, exec, s[6:7]
	s_and_saveexec_b64 s[6:7], s[4:5]
	s_cbranch_execz .LBB37_448
.LBB37_447:
	v_bfe_u32 v6, v3, 24, 3
	v_ffbh_u32_e32 v12, v6
	v_min_u32_e32 v12, 32, v12
	v_lshrrev_b32_e32 v10, 27, v3
	v_subrev_u32_e32 v13, 28, v12
	v_and_b32_e32 v7, 0x80000000, v3
	v_and_b32_e32 v10, 15, v10
	v_bfe_u32 v11, v3, 27, 4
	v_lshlrev_b32_sdwa v3, v13, v3 dst_sel:DWORD dst_unused:UNUSED_PAD src0_sel:DWORD src1_sel:BYTE_3
	v_sub_u32_e32 v12, 29, v12
	v_and_b32_e32 v3, 7, v3
	v_cmp_eq_u16_e32 vcc, 0, v10
	v_cndmask_b32_e32 v3, v6, v3, vcc
	v_cndmask_b32_e32 v6, v11, v12, vcc
	v_mov_b32_e32 v10, 0x3b800000
	v_lshlrev_b32_e32 v3, 20, v3
	v_lshl_add_u32 v6, v6, 23, v10
	v_or3_b32 v6, v7, v6, v3
.LBB37_448:
	s_or_b64 exec, exec, s[6:7]
	s_nop 0
	v_mfma_f32_16x16x4f32 a[0:3], v2, v6, a[0:3]
	s_movk_i32 s4, 0x7f
	v_cmp_gt_i16_sdwa s[6:7], v8, s4 src0_sel:BYTE_0 src1_sel:DWORD
	s_mov_b64 s[4:5], 0
                                        ; implicit-def: $sgpr10
	s_and_saveexec_b64 s[8:9], s[6:7]
	s_xor_b64 s[6:7], exec, s[8:9]
	s_cbranch_execnz .LBB37_2497
; %bb.449:
	s_or_saveexec_b64 s[6:7], s[6:7]
	v_mov_b32_e32 v2, s10
	s_xor_b64 exec, exec, s[6:7]
	s_cbranch_execnz .LBB37_2500
.LBB37_450:
	s_or_b64 exec, exec, s[6:7]
	s_and_saveexec_b64 s[6:7], s[4:5]
	s_cbranch_execz .LBB37_452
.LBB37_451:
	v_and_b32_e32 v2, 7, v8
	v_ffbh_u32_e32 v6, v2
	v_min_u32_e32 v6, 32, v6
	v_lshrrev_b16_e32 v3, 3, v8
	v_subrev_u32_e32 v7, 28, v6
	v_and_b32_e32 v3, 15, v3
	v_lshlrev_b32_e32 v7, v7, v8
	v_sub_u32_e32 v6, 29, v6
	v_and_b32_e32 v7, 7, v7
	v_cmp_eq_u16_e32 vcc, 0, v3
	v_cndmask_b32_e32 v2, v2, v7, vcc
	v_cndmask_b32_e32 v3, v3, v6, vcc
	v_lshlrev_b32_e32 v6, 24, v8
	v_mov_b32_e32 v7, 0x3b800000
	v_lshlrev_b32_e32 v2, 20, v2
	v_and_b32_e32 v6, 0x80000000, v6
	v_lshl_add_u32 v3, v3, 23, v7
	v_or3_b32 v2, v6, v3, v2
.LBB37_452:
	s_or_b64 exec, exec, s[6:7]
	s_movk_i32 s4, 0x7f
	v_cmp_gt_i16_sdwa s[6:7], v4, s4 src0_sel:BYTE_0 src1_sel:DWORD
	s_mov_b64 s[4:5], 0
                                        ; implicit-def: $sgpr10
	s_and_saveexec_b64 s[8:9], s[6:7]
	s_xor_b64 s[6:7], exec, s[8:9]
	s_cbranch_execnz .LBB37_2501
; %bb.453:
	s_or_saveexec_b64 s[6:7], s[6:7]
	v_mov_b32_e32 v3, s10
	s_xor_b64 exec, exec, s[6:7]
	s_cbranch_execnz .LBB37_2504
.LBB37_454:
	s_or_b64 exec, exec, s[6:7]
	s_and_saveexec_b64 s[6:7], s[4:5]
	s_cbranch_execz .LBB37_456
.LBB37_455:
	v_and_b32_e32 v3, 7, v4
	v_ffbh_u32_e32 v7, v3
	v_min_u32_e32 v7, 32, v7
	v_lshrrev_b16_e32 v6, 3, v4
	v_subrev_u32_e32 v10, 28, v7
	v_and_b32_e32 v6, 15, v6
	v_lshlrev_b32_e32 v10, v10, v4
	v_sub_u32_e32 v7, 29, v7
	v_and_b32_e32 v10, 7, v10
	v_cmp_eq_u16_e32 vcc, 0, v6
	v_cndmask_b32_e32 v3, v3, v10, vcc
	v_cndmask_b32_e32 v6, v6, v7, vcc
	v_lshlrev_b32_e32 v7, 24, v4
	v_mov_b32_e32 v10, 0x3b800000
	v_lshlrev_b32_e32 v3, 20, v3
	v_and_b32_e32 v7, 0x80000000, v7
	v_lshl_add_u32 v6, v6, 23, v10
	v_or3_b32 v3, v7, v6, v3
.LBB37_456:
	s_or_b64 exec, exec, s[6:7]
	s_nop 0
	v_mfma_f32_16x16x4f32 a[0:3], v2, v3, a[0:3]
	v_lshrrev_b32_e32 v3, 8, v8
	s_movk_i32 s4, 0x7f
	v_cmp_gt_i16_sdwa s[6:7], v3, s4 src0_sel:BYTE_0 src1_sel:DWORD
	s_mov_b64 s[4:5], 0
                                        ; implicit-def: $sgpr10
	s_and_saveexec_b64 s[8:9], s[6:7]
	s_xor_b64 s[6:7], exec, s[8:9]
	s_cbranch_execnz .LBB37_2505
; %bb.457:
	s_or_saveexec_b64 s[6:7], s[6:7]
	v_mov_b32_e32 v2, s10
	s_xor_b64 exec, exec, s[6:7]
	s_cbranch_execnz .LBB37_2508
.LBB37_458:
	s_or_b64 exec, exec, s[6:7]
	s_and_saveexec_b64 s[6:7], s[4:5]
	s_cbranch_execz .LBB37_460
.LBB37_459:
	v_bfe_u32 v2, v8, 8, 3
	v_ffbh_u32_e32 v7, v2
	v_min_u32_e32 v7, 32, v7
	v_lshrrev_b16_e32 v6, 3, v3
	v_subrev_u32_e32 v10, 28, v7
	v_and_b32_e32 v6, 15, v6
	v_lshlrev_b32_e32 v3, v10, v3
	v_sub_u32_e32 v7, 29, v7
	v_and_b32_e32 v3, 7, v3
	v_cmp_eq_u16_e32 vcc, 0, v6
	v_cndmask_b32_e32 v2, v2, v3, vcc
	v_cndmask_b32_e32 v3, v6, v7, vcc
	v_lshlrev_b32_e32 v6, 16, v8
	v_mov_b32_e32 v7, 0x3b800000
	v_lshlrev_b32_e32 v2, 20, v2
	v_and_b32_e32 v6, 0x80000000, v6
	v_lshl_add_u32 v3, v3, 23, v7
	v_or3_b32 v2, v6, v3, v2
.LBB37_460:
	s_or_b64 exec, exec, s[6:7]
	v_lshrrev_b32_e32 v3, 8, v4
	s_movk_i32 s4, 0x7f
	v_cmp_gt_i16_sdwa s[6:7], v3, s4 src0_sel:BYTE_0 src1_sel:DWORD
	s_mov_b64 s[4:5], 0
                                        ; implicit-def: $sgpr10
	s_and_saveexec_b64 s[8:9], s[6:7]
	s_xor_b64 s[6:7], exec, s[8:9]
	s_cbranch_execnz .LBB37_2509
; %bb.461:
	s_or_saveexec_b64 s[6:7], s[6:7]
	v_mov_b32_e32 v6, s10
	s_xor_b64 exec, exec, s[6:7]
	s_cbranch_execnz .LBB37_2512
.LBB37_462:
	s_or_b64 exec, exec, s[6:7]
	s_and_saveexec_b64 s[6:7], s[4:5]
	s_cbranch_execz .LBB37_464
.LBB37_463:
	v_bfe_u32 v6, v4, 8, 3
	v_ffbh_u32_e32 v10, v6
	v_min_u32_e32 v10, 32, v10
	v_lshrrev_b16_e32 v7, 3, v3
	v_subrev_u32_e32 v11, 28, v10
	v_and_b32_e32 v7, 15, v7
	v_lshlrev_b32_e32 v3, v11, v3
	v_sub_u32_e32 v10, 29, v10
	v_and_b32_e32 v3, 7, v3
	v_cmp_eq_u16_e32 vcc, 0, v7
	v_cndmask_b32_e32 v3, v6, v3, vcc
	v_cndmask_b32_e32 v6, v7, v10, vcc
	v_lshlrev_b32_e32 v7, 16, v4
	v_mov_b32_e32 v10, 0x3b800000
	v_lshlrev_b32_e32 v3, 20, v3
	v_and_b32_e32 v7, 0x80000000, v7
	v_lshl_add_u32 v6, v6, 23, v10
	v_or3_b32 v6, v7, v6, v3
.LBB37_464:
	s_or_b64 exec, exec, s[6:7]
	s_nop 0
	v_mfma_f32_16x16x4f32 a[0:3], v2, v6, a[0:3]
	s_movk_i32 s4, 0xff
	v_and_b32_sdwa v3, v8, s4 dst_sel:DWORD dst_unused:UNUSED_PAD src0_sel:WORD_1 src1_sel:DWORD
	s_movk_i32 s4, 0x7f
	v_cmp_lt_i16_e32 vcc, s4, v3
	s_mov_b64 s[4:5], 0
                                        ; implicit-def: $sgpr10
	s_and_saveexec_b64 s[6:7], vcc
	s_xor_b64 s[6:7], exec, s[6:7]
	s_cbranch_execnz .LBB37_2513
; %bb.465:
	s_or_saveexec_b64 s[6:7], s[6:7]
	v_mov_b32_e32 v2, s10
	s_xor_b64 exec, exec, s[6:7]
	s_cbranch_execnz .LBB37_2516
.LBB37_466:
	s_or_b64 exec, exec, s[6:7]
	s_and_saveexec_b64 s[6:7], s[4:5]
	s_cbranch_execz .LBB37_468
.LBB37_467:
	v_bfe_u32 v2, v8, 16, 3
	v_ffbh_u32_e32 v7, v2
	v_min_u32_e32 v7, 32, v7
	v_lshrrev_b32_e32 v3, 19, v8
	v_subrev_u32_e32 v10, 28, v7
	v_and_b32_e32 v3, 15, v3
	v_lshlrev_b32_sdwa v10, v10, v8 dst_sel:DWORD dst_unused:UNUSED_PAD src0_sel:DWORD src1_sel:WORD_1
	v_bfe_u32 v6, v8, 19, 4
	v_sub_u32_e32 v7, 29, v7
	v_and_b32_e32 v10, 7, v10
	v_cmp_eq_u16_e32 vcc, 0, v3
	v_cndmask_b32_e32 v2, v2, v10, vcc
	v_cndmask_b32_e32 v3, v6, v7, vcc
	v_lshlrev_b32_e32 v6, 8, v8
	v_mov_b32_e32 v7, 0x3b800000
	v_lshlrev_b32_e32 v2, 20, v2
	v_and_b32_e32 v6, 0x80000000, v6
	v_lshl_add_u32 v3, v3, 23, v7
	v_or3_b32 v2, v6, v3, v2
.LBB37_468:
	s_or_b64 exec, exec, s[6:7]
	s_movk_i32 s4, 0xff
	v_and_b32_sdwa v3, v4, s4 dst_sel:DWORD dst_unused:UNUSED_PAD src0_sel:WORD_1 src1_sel:DWORD
	s_movk_i32 s4, 0x7f
	v_cmp_lt_i16_e32 vcc, s4, v3
	s_mov_b64 s[4:5], 0
                                        ; implicit-def: $sgpr10
	s_and_saveexec_b64 s[6:7], vcc
	s_xor_b64 s[6:7], exec, s[6:7]
	s_cbranch_execnz .LBB37_2517
; %bb.469:
	s_or_saveexec_b64 s[6:7], s[6:7]
	v_mov_b32_e32 v6, s10
	s_xor_b64 exec, exec, s[6:7]
	s_cbranch_execnz .LBB37_2520
.LBB37_470:
	s_or_b64 exec, exec, s[6:7]
	s_and_saveexec_b64 s[6:7], s[4:5]
	s_cbranch_execz .LBB37_472
.LBB37_471:
	v_bfe_u32 v3, v4, 16, 3
	v_ffbh_u32_e32 v10, v3
	v_min_u32_e32 v10, 32, v10
	v_lshrrev_b32_e32 v6, 19, v4
	v_subrev_u32_e32 v11, 28, v10
	v_and_b32_e32 v6, 15, v6
	v_lshlrev_b32_sdwa v11, v11, v4 dst_sel:DWORD dst_unused:UNUSED_PAD src0_sel:DWORD src1_sel:WORD_1
	v_bfe_u32 v7, v4, 19, 4
	v_sub_u32_e32 v10, 29, v10
	v_and_b32_e32 v11, 7, v11
	v_cmp_eq_u16_e32 vcc, 0, v6
	v_cndmask_b32_e32 v3, v3, v11, vcc
	v_cndmask_b32_e32 v6, v7, v10, vcc
	v_lshlrev_b32_e32 v7, 8, v4
	v_mov_b32_e32 v10, 0x3b800000
	v_lshlrev_b32_e32 v3, 20, v3
	v_and_b32_e32 v7, 0x80000000, v7
	v_lshl_add_u32 v6, v6, 23, v10
	v_or3_b32 v6, v7, v6, v3
.LBB37_472:
	s_or_b64 exec, exec, s[6:7]
	s_nop 0
	v_mfma_f32_16x16x4f32 a[0:3], v2, v6, a[0:3]
	s_movk_i32 s4, 0x7f
	v_cmp_gt_i16_sdwa s[6:7], v8, s4 src0_sel:BYTE_3 src1_sel:DWORD
	s_mov_b64 s[4:5], 0
                                        ; implicit-def: $sgpr10
	s_and_saveexec_b64 s[8:9], s[6:7]
	s_xor_b64 s[6:7], exec, s[8:9]
	s_cbranch_execnz .LBB37_2521
; %bb.473:
	s_or_saveexec_b64 s[6:7], s[6:7]
	v_mov_b32_e32 v2, s10
	s_xor_b64 exec, exec, s[6:7]
	s_cbranch_execnz .LBB37_2524
.LBB37_474:
	s_or_b64 exec, exec, s[6:7]
	s_and_saveexec_b64 s[6:7], s[4:5]
	s_cbranch_execz .LBB37_476
.LBB37_475:
	v_bfe_u32 v2, v8, 24, 3
	v_ffbh_u32_e32 v10, v2
	v_min_u32_e32 v10, 32, v10
	v_lshrrev_b32_e32 v6, 27, v8
	v_subrev_u32_e32 v11, 28, v10
	v_and_b32_e32 v3, 0x80000000, v8
	v_and_b32_e32 v6, 15, v6
	v_bfe_u32 v7, v8, 27, 4
	v_lshlrev_b32_sdwa v8, v11, v8 dst_sel:DWORD dst_unused:UNUSED_PAD src0_sel:DWORD src1_sel:BYTE_3
	v_sub_u32_e32 v10, 29, v10
	v_and_b32_e32 v8, 7, v8
	v_cmp_eq_u16_e32 vcc, 0, v6
	v_cndmask_b32_e32 v2, v2, v8, vcc
	v_cndmask_b32_e32 v6, v7, v10, vcc
	v_mov_b32_e32 v7, 0x3b800000
	v_lshlrev_b32_e32 v2, 20, v2
	v_lshl_add_u32 v6, v6, 23, v7
	v_or3_b32 v2, v3, v6, v2
.LBB37_476:
	s_or_b64 exec, exec, s[6:7]
	s_movk_i32 s4, 0x7f
	v_cmp_gt_i16_sdwa s[6:7], v4, s4 src0_sel:BYTE_3 src1_sel:DWORD
	s_mov_b64 s[4:5], 0
                                        ; implicit-def: $sgpr10
	s_and_saveexec_b64 s[8:9], s[6:7]
	s_xor_b64 s[6:7], exec, s[8:9]
	s_cbranch_execnz .LBB37_2525
; %bb.477:
	s_or_saveexec_b64 s[6:7], s[6:7]
	v_mov_b32_e32 v3, s10
	s_xor_b64 exec, exec, s[6:7]
	s_cbranch_execnz .LBB37_2528
.LBB37_478:
	s_or_b64 exec, exec, s[6:7]
	s_and_saveexec_b64 s[6:7], s[4:5]
	s_cbranch_execz .LBB37_480
.LBB37_479:
	v_bfe_u32 v3, v4, 24, 3
	v_ffbh_u32_e32 v10, v3
	v_min_u32_e32 v10, 32, v10
	v_lshrrev_b32_e32 v7, 27, v4
	v_subrev_u32_e32 v11, 28, v10
	v_and_b32_e32 v6, 0x80000000, v4
	v_and_b32_e32 v7, 15, v7
	v_bfe_u32 v8, v4, 27, 4
	v_lshlrev_b32_sdwa v4, v11, v4 dst_sel:DWORD dst_unused:UNUSED_PAD src0_sel:DWORD src1_sel:BYTE_3
	v_sub_u32_e32 v10, 29, v10
	v_and_b32_e32 v4, 7, v4
	v_cmp_eq_u16_e32 vcc, 0, v7
	v_cndmask_b32_e32 v3, v3, v4, vcc
	v_cndmask_b32_e32 v4, v8, v10, vcc
	v_mov_b32_e32 v7, 0x3b800000
	v_lshlrev_b32_e32 v3, 20, v3
	v_lshl_add_u32 v4, v4, 23, v7
	v_or3_b32 v3, v6, v4, v3
.LBB37_480:
	s_or_b64 exec, exec, s[6:7]
	s_nop 0
	v_mfma_f32_16x16x4f32 a[0:3], v2, v3, a[0:3]
	s_movk_i32 s4, 0x7f
	v_cmp_gt_i16_sdwa s[6:7], v9, s4 src0_sel:BYTE_0 src1_sel:DWORD
	s_mov_b64 s[4:5], 0
                                        ; implicit-def: $sgpr10
	s_and_saveexec_b64 s[8:9], s[6:7]
	s_xor_b64 s[6:7], exec, s[8:9]
	s_cbranch_execnz .LBB37_2529
; %bb.481:
	s_or_saveexec_b64 s[6:7], s[6:7]
	v_mov_b32_e32 v2, s10
	s_xor_b64 exec, exec, s[6:7]
	s_cbranch_execnz .LBB37_2532
.LBB37_482:
	s_or_b64 exec, exec, s[6:7]
	s_and_saveexec_b64 s[6:7], s[4:5]
	s_cbranch_execz .LBB37_484
.LBB37_483:
	v_mov_b32_e32 v2, 8
	v_and_b32_e32 v3, 7, v9
	v_lshrrev_b32_sdwa v2, v2, v9 dst_sel:BYTE_1 dst_unused:UNUSED_PAD src0_sel:DWORD src1_sel:DWORD
	v_ffbh_u32_e32 v4, v3
	v_or_b32_sdwa v2, v9, v2 dst_sel:DWORD dst_unused:UNUSED_PAD src0_sel:BYTE_0 src1_sel:DWORD
	v_min_u32_e32 v4, 32, v4
	v_lshrrev_b16_e32 v2, 3, v2
	v_subrev_u32_e32 v6, 28, v4
	v_and_b32_e32 v2, 15, v2
	v_lshlrev_b32_e32 v6, v6, v9
	v_sub_u32_e32 v4, 29, v4
	v_and_b32_e32 v6, 7, v6
	v_cmp_eq_u16_e32 vcc, 0, v2
	v_cndmask_b32_e32 v3, v3, v6, vcc
	v_cndmask_b32_e32 v2, v2, v4, vcc
	v_lshlrev_b32_e32 v4, 24, v9
	v_mov_b32_e32 v6, 0x3b800000
	v_lshlrev_b32_e32 v3, 20, v3
	v_and_b32_e32 v4, 0x80000000, v4
	v_lshl_add_u32 v2, v2, 23, v6
	v_or3_b32 v2, v4, v2, v3
.LBB37_484:
	s_or_b64 exec, exec, s[6:7]
	s_movk_i32 s4, 0x7f
	v_cmp_gt_i16_sdwa s[6:7], v5, s4 src0_sel:BYTE_0 src1_sel:DWORD
	s_mov_b64 s[4:5], 0
                                        ; implicit-def: $sgpr10
	s_and_saveexec_b64 s[8:9], s[6:7]
	s_xor_b64 s[6:7], exec, s[8:9]
	s_cbranch_execnz .LBB37_2533
; %bb.485:
	s_or_saveexec_b64 s[6:7], s[6:7]
	v_mov_b32_e32 v3, s10
	s_xor_b64 exec, exec, s[6:7]
	s_cbranch_execnz .LBB37_2536
.LBB37_486:
	s_or_b64 exec, exec, s[6:7]
	s_and_saveexec_b64 s[6:7], s[4:5]
	s_cbranch_execz .LBB37_488
.LBB37_487:
	v_mov_b32_e32 v3, 8
	v_and_b32_e32 v4, 7, v5
	v_lshrrev_b32_sdwa v3, v3, v5 dst_sel:BYTE_1 dst_unused:UNUSED_PAD src0_sel:DWORD src1_sel:DWORD
	v_ffbh_u32_e32 v6, v4
	v_or_b32_sdwa v3, v5, v3 dst_sel:DWORD dst_unused:UNUSED_PAD src0_sel:BYTE_0 src1_sel:DWORD
	v_min_u32_e32 v6, 32, v6
	v_lshrrev_b16_e32 v3, 3, v3
	v_subrev_u32_e32 v7, 28, v6
	v_and_b32_e32 v3, 15, v3
	v_lshlrev_b32_e32 v7, v7, v5
	v_sub_u32_e32 v6, 29, v6
	v_and_b32_e32 v7, 7, v7
	v_cmp_eq_u16_e32 vcc, 0, v3
	v_cndmask_b32_e32 v4, v4, v7, vcc
	v_cndmask_b32_e32 v3, v3, v6, vcc
	v_lshlrev_b32_e32 v6, 24, v5
	v_mov_b32_e32 v7, 0x3b800000
	v_lshlrev_b32_e32 v4, 20, v4
	v_and_b32_e32 v6, 0x80000000, v6
	v_lshl_add_u32 v3, v3, 23, v7
	v_or3_b32 v3, v6, v3, v4
.LBB37_488:
	s_or_b64 exec, exec, s[6:7]
	s_nop 0
	v_mfma_f32_16x16x4f32 a[0:3], v2, v3, a[0:3]
	v_lshrrev_b32_e32 v3, 8, v9
	s_movk_i32 s4, 0x7f
	v_cmp_gt_i16_sdwa s[6:7], v3, s4 src0_sel:BYTE_0 src1_sel:DWORD
	s_mov_b64 s[4:5], 0
                                        ; implicit-def: $sgpr10
	s_and_saveexec_b64 s[8:9], s[6:7]
	s_xor_b64 s[6:7], exec, s[8:9]
	s_cbranch_execnz .LBB37_2537
; %bb.489:
	s_or_saveexec_b64 s[6:7], s[6:7]
	v_mov_b32_e32 v2, s10
	s_xor_b64 exec, exec, s[6:7]
	s_cbranch_execnz .LBB37_2540
.LBB37_490:
	s_or_b64 exec, exec, s[6:7]
	s_and_saveexec_b64 s[6:7], s[4:5]
	s_cbranch_execz .LBB37_492
.LBB37_491:
	v_bfe_u32 v2, v9, 8, 3
	v_ffbh_u32_e32 v6, v2
	v_min_u32_e32 v6, 32, v6
	v_lshrrev_b16_e32 v4, 3, v3
	v_subrev_u32_e32 v7, 28, v6
	v_and_b32_e32 v4, 15, v4
	v_lshlrev_b32_e32 v3, v7, v3
	v_sub_u32_e32 v6, 29, v6
	v_and_b32_e32 v3, 7, v3
	v_cmp_eq_u16_e32 vcc, 0, v4
	v_cndmask_b32_e32 v2, v2, v3, vcc
	v_cndmask_b32_e32 v3, v4, v6, vcc
	v_lshlrev_b32_e32 v4, 16, v9
	v_mov_b32_e32 v6, 0x3b800000
	v_lshlrev_b32_e32 v2, 20, v2
	v_and_b32_e32 v4, 0x80000000, v4
	v_lshl_add_u32 v3, v3, 23, v6
	v_or3_b32 v2, v4, v3, v2
.LBB37_492:
	s_or_b64 exec, exec, s[6:7]
	v_lshrrev_b32_e32 v3, 8, v5
	s_movk_i32 s4, 0x7f
	v_cmp_gt_i16_sdwa s[6:7], v3, s4 src0_sel:BYTE_0 src1_sel:DWORD
	s_mov_b64 s[4:5], 0
                                        ; implicit-def: $sgpr10
	s_and_saveexec_b64 s[8:9], s[6:7]
	s_xor_b64 s[6:7], exec, s[8:9]
	s_cbranch_execnz .LBB37_2541
; %bb.493:
	s_or_saveexec_b64 s[6:7], s[6:7]
	v_mov_b32_e32 v4, s10
	s_xor_b64 exec, exec, s[6:7]
	s_cbranch_execnz .LBB37_2544
.LBB37_494:
	s_or_b64 exec, exec, s[6:7]
	s_and_saveexec_b64 s[6:7], s[4:5]
	s_cbranch_execz .LBB37_496
.LBB37_495:
	v_bfe_u32 v4, v5, 8, 3
	v_ffbh_u32_e32 v7, v4
	v_min_u32_e32 v7, 32, v7
	v_lshrrev_b16_e32 v6, 3, v3
	v_subrev_u32_e32 v8, 28, v7
	v_and_b32_e32 v6, 15, v6
	v_lshlrev_b32_e32 v3, v8, v3
	v_sub_u32_e32 v7, 29, v7
	v_and_b32_e32 v3, 7, v3
	v_cmp_eq_u16_e32 vcc, 0, v6
	v_cndmask_b32_e32 v3, v4, v3, vcc
	v_cndmask_b32_e32 v4, v6, v7, vcc
	v_lshlrev_b32_e32 v6, 16, v5
	v_mov_b32_e32 v7, 0x3b800000
	v_lshlrev_b32_e32 v3, 20, v3
	v_and_b32_e32 v6, 0x80000000, v6
	v_lshl_add_u32 v4, v4, 23, v7
	v_or3_b32 v4, v6, v4, v3
.LBB37_496:
	s_or_b64 exec, exec, s[6:7]
	s_nop 0
	v_mfma_f32_16x16x4f32 a[0:3], v2, v4, a[0:3]
	s_movk_i32 s4, 0xff
	v_and_b32_sdwa v3, v9, s4 dst_sel:DWORD dst_unused:UNUSED_PAD src0_sel:WORD_1 src1_sel:DWORD
	s_movk_i32 s4, 0x7f
	v_cmp_lt_i16_e32 vcc, s4, v3
	s_mov_b64 s[4:5], 0
                                        ; implicit-def: $sgpr10
	s_and_saveexec_b64 s[6:7], vcc
	s_xor_b64 s[6:7], exec, s[6:7]
	s_cbranch_execnz .LBB37_2545
; %bb.497:
	s_or_saveexec_b64 s[6:7], s[6:7]
	v_mov_b32_e32 v2, s10
	s_xor_b64 exec, exec, s[6:7]
	s_cbranch_execnz .LBB37_2548
.LBB37_498:
	s_or_b64 exec, exec, s[6:7]
	s_and_saveexec_b64 s[6:7], s[4:5]
	s_cbranch_execz .LBB37_500
.LBB37_499:
	v_bfe_u32 v2, v9, 16, 3
	v_ffbh_u32_e32 v6, v2
	v_min_u32_e32 v6, 32, v6
	v_lshrrev_b32_e32 v3, 19, v9
	v_subrev_u32_e32 v7, 28, v6
	v_and_b32_e32 v3, 15, v3
	v_lshlrev_b32_sdwa v7, v7, v9 dst_sel:DWORD dst_unused:UNUSED_PAD src0_sel:DWORD src1_sel:WORD_1
	v_bfe_u32 v4, v9, 19, 4
	v_sub_u32_e32 v6, 29, v6
	v_and_b32_e32 v7, 7, v7
	v_cmp_eq_u16_e32 vcc, 0, v3
	v_cndmask_b32_e32 v2, v2, v7, vcc
	v_cndmask_b32_e32 v3, v4, v6, vcc
	v_lshlrev_b32_e32 v4, 8, v9
	v_mov_b32_e32 v6, 0x3b800000
	v_lshlrev_b32_e32 v2, 20, v2
	v_and_b32_e32 v4, 0x80000000, v4
	v_lshl_add_u32 v3, v3, 23, v6
	v_or3_b32 v2, v4, v3, v2
.LBB37_500:
	s_or_b64 exec, exec, s[6:7]
	s_movk_i32 s4, 0xff
	v_and_b32_sdwa v3, v5, s4 dst_sel:DWORD dst_unused:UNUSED_PAD src0_sel:WORD_1 src1_sel:DWORD
	s_movk_i32 s4, 0x7f
	v_cmp_lt_i16_e32 vcc, s4, v3
	s_mov_b64 s[4:5], 0
                                        ; implicit-def: $sgpr10
	s_and_saveexec_b64 s[6:7], vcc
	s_xor_b64 s[6:7], exec, s[6:7]
	s_cbranch_execnz .LBB37_2549
; %bb.501:
	s_or_saveexec_b64 s[6:7], s[6:7]
	v_mov_b32_e32 v4, s10
	s_xor_b64 exec, exec, s[6:7]
	s_cbranch_execnz .LBB37_2552
.LBB37_502:
	s_or_b64 exec, exec, s[6:7]
	s_and_saveexec_b64 s[6:7], s[4:5]
	s_cbranch_execz .LBB37_504
.LBB37_503:
	v_bfe_u32 v3, v5, 16, 3
	v_ffbh_u32_e32 v7, v3
	v_min_u32_e32 v7, 32, v7
	v_lshrrev_b32_e32 v4, 19, v5
	v_subrev_u32_e32 v8, 28, v7
	v_and_b32_e32 v4, 15, v4
	v_lshlrev_b32_sdwa v8, v8, v5 dst_sel:DWORD dst_unused:UNUSED_PAD src0_sel:DWORD src1_sel:WORD_1
	v_bfe_u32 v6, v5, 19, 4
	v_sub_u32_e32 v7, 29, v7
	v_and_b32_e32 v8, 7, v8
	v_cmp_eq_u16_e32 vcc, 0, v4
	v_cndmask_b32_e32 v3, v3, v8, vcc
	v_cndmask_b32_e32 v4, v6, v7, vcc
	v_lshlrev_b32_e32 v6, 8, v5
	v_mov_b32_e32 v7, 0x3b800000
	v_lshlrev_b32_e32 v3, 20, v3
	v_and_b32_e32 v6, 0x80000000, v6
	v_lshl_add_u32 v4, v4, 23, v7
	v_or3_b32 v4, v6, v4, v3
.LBB37_504:
	s_or_b64 exec, exec, s[6:7]
	s_nop 0
	v_mfma_f32_16x16x4f32 a[0:3], v2, v4, a[0:3]
	s_movk_i32 s4, 0x7f
	v_cmp_gt_i16_sdwa s[6:7], v9, s4 src0_sel:BYTE_3 src1_sel:DWORD
	s_mov_b64 s[4:5], 0
                                        ; implicit-def: $sgpr10
	s_and_saveexec_b64 s[8:9], s[6:7]
	s_xor_b64 s[6:7], exec, s[8:9]
	s_cbranch_execnz .LBB37_2553
; %bb.505:
	s_or_saveexec_b64 s[6:7], s[6:7]
	v_mov_b32_e32 v2, s10
	s_xor_b64 exec, exec, s[6:7]
	s_cbranch_execnz .LBB37_2556
.LBB37_506:
	s_or_b64 exec, exec, s[6:7]
	s_and_saveexec_b64 s[6:7], s[4:5]
	s_cbranch_execz .LBB37_508
.LBB37_507:
	v_bfe_u32 v2, v9, 24, 3
	v_ffbh_u32_e32 v7, v2
	v_min_u32_e32 v7, 32, v7
	v_lshrrev_b32_e32 v4, 27, v9
	v_subrev_u32_e32 v8, 28, v7
	v_and_b32_e32 v4, 15, v4
	v_lshlrev_b32_sdwa v8, v8, v9 dst_sel:DWORD dst_unused:UNUSED_PAD src0_sel:DWORD src1_sel:BYTE_3
	v_bfe_u32 v6, v9, 27, 4
	v_sub_u32_e32 v7, 29, v7
	v_and_b32_e32 v8, 7, v8
	v_cmp_eq_u16_e32 vcc, 0, v4
	v_cndmask_b32_e32 v2, v2, v8, vcc
	v_cndmask_b32_e32 v4, v6, v7, vcc
	v_mov_b32_e32 v6, 0x3b800000
	v_and_b32_e32 v3, 0x80000000, v9
	v_lshlrev_b32_e32 v2, 20, v2
	v_lshl_add_u32 v4, v4, 23, v6
	v_or3_b32 v2, v3, v4, v2
.LBB37_508:
	s_or_b64 exec, exec, s[6:7]
	s_movk_i32 s4, 0x7f
	v_cmp_gt_i16_sdwa s[6:7], v5, s4 src0_sel:BYTE_3 src1_sel:DWORD
	s_mov_b64 s[4:5], 0
                                        ; implicit-def: $sgpr10
	s_and_saveexec_b64 s[8:9], s[6:7]
	s_xor_b64 s[6:7], exec, s[8:9]
	s_cbranch_execnz .LBB37_2557
; %bb.509:
	s_or_saveexec_b64 s[6:7], s[6:7]
	v_mov_b32_e32 v3, s10
	s_xor_b64 exec, exec, s[6:7]
	s_cbranch_execnz .LBB37_2560
.LBB37_510:
	s_or_b64 exec, exec, s[6:7]
	s_and_saveexec_b64 s[6:7], s[4:5]
	s_cbranch_execz .LBB37_512
.LBB37_511:
	v_bfe_u32 v3, v5, 24, 3
	v_ffbh_u32_e32 v8, v3
	v_min_u32_e32 v8, 32, v8
	v_lshrrev_b32_e32 v6, 27, v5
	v_subrev_u32_e32 v9, 28, v8
	v_and_b32_e32 v4, 0x80000000, v5
	v_and_b32_e32 v6, 15, v6
	v_bfe_u32 v7, v5, 27, 4
	v_lshlrev_b32_sdwa v5, v9, v5 dst_sel:DWORD dst_unused:UNUSED_PAD src0_sel:DWORD src1_sel:BYTE_3
	v_sub_u32_e32 v8, 29, v8
	v_and_b32_e32 v5, 7, v5
	v_cmp_eq_u16_e32 vcc, 0, v6
	v_cndmask_b32_e32 v3, v3, v5, vcc
	v_cndmask_b32_e32 v5, v7, v8, vcc
	v_mov_b32_e32 v6, 0x3b800000
	v_lshlrev_b32_e32 v3, 20, v3
	v_lshl_add_u32 v5, v5, 23, v6
	v_or3_b32 v3, v4, v5, v3
.LBB37_512:
	s_or_b64 exec, exec, s[6:7]
	s_nop 0
	v_mfma_f32_16x16x4f32 a[0:3], v2, v3, a[0:3]
	s_movk_i32 s4, 0x7f
                                        ; implicit-def: $sgpr10
	s_nop 7
	s_nop 1
	flat_store_dwordx4 v[18:19], a[0:3] offset:144
	flat_load_dwordx4 v[20:23], v[0:1] offset:16
	s_nop 0
	flat_load_dwordx2 v[18:19], v[0:1] offset:32
	s_waitcnt vmcnt(0) lgkmcnt(0)
	flat_load_dwordx4 v[14:17], v[20:21] offset:32
	flat_load_dwordx4 v[6:9], v[20:21] offset:48
	;; [unrolled: 1-line block ×4, first 2 shown]
	s_waitcnt vmcnt(0) lgkmcnt(0)
	v_cmp_gt_i16_sdwa s[6:7], v14, s4 src0_sel:BYTE_0 src1_sel:DWORD
	s_mov_b64 s[4:5], 0
	s_and_saveexec_b64 s[8:9], s[6:7]
	s_xor_b64 s[6:7], exec, s[8:9]
	s_cbranch_execnz .LBB37_2561
; %bb.513:
	s_or_saveexec_b64 s[6:7], s[6:7]
	v_mov_b32_e32 v20, s10
	s_xor_b64 exec, exec, s[6:7]
	s_cbranch_execnz .LBB37_2564
.LBB37_514:
	s_or_b64 exec, exec, s[6:7]
	s_and_saveexec_b64 s[6:7], s[4:5]
	s_cbranch_execz .LBB37_516
.LBB37_515:
	v_and_b32_e32 v20, 7, v14
	v_ffbh_u32_e32 v22, v20
	v_min_u32_e32 v22, 32, v22
	v_lshrrev_b16_e32 v21, 3, v14
	v_subrev_u32_e32 v23, 28, v22
	v_and_b32_e32 v21, 15, v21
	v_lshlrev_b32_e32 v23, v23, v14
	v_sub_u32_e32 v22, 29, v22
	v_and_b32_e32 v23, 7, v23
	v_cmp_eq_u16_e32 vcc, 0, v21
	v_cndmask_b32_e32 v20, v20, v23, vcc
	v_cndmask_b32_e32 v21, v21, v22, vcc
	v_lshlrev_b32_e32 v22, 24, v14
	v_mov_b32_e32 v23, 0x3b800000
	v_lshlrev_b32_e32 v20, 20, v20
	v_and_b32_e32 v22, 0x80000000, v22
	v_lshl_add_u32 v21, v21, 23, v23
	v_or3_b32 v20, v22, v21, v20
.LBB37_516:
	s_or_b64 exec, exec, s[6:7]
	s_movk_i32 s4, 0x7f
	v_cmp_gt_i16_sdwa s[6:7], v10, s4 src0_sel:BYTE_0 src1_sel:DWORD
	s_mov_b64 s[4:5], 0
                                        ; implicit-def: $sgpr10
	s_and_saveexec_b64 s[8:9], s[6:7]
	s_xor_b64 s[6:7], exec, s[8:9]
	s_cbranch_execnz .LBB37_2565
; %bb.517:
	s_or_saveexec_b64 s[6:7], s[6:7]
	v_mov_b32_e32 v21, s10
	s_xor_b64 exec, exec, s[6:7]
	s_cbranch_execnz .LBB37_2568
.LBB37_518:
	s_or_b64 exec, exec, s[6:7]
	s_and_saveexec_b64 s[6:7], s[4:5]
	s_cbranch_execz .LBB37_520
.LBB37_519:
	v_and_b32_e32 v21, 7, v10
	v_ffbh_u32_e32 v23, v21
	v_min_u32_e32 v23, 32, v23
	v_lshrrev_b16_e32 v22, 3, v10
	v_subrev_u32_e32 v24, 28, v23
	v_and_b32_e32 v22, 15, v22
	v_lshlrev_b32_e32 v24, v24, v10
	v_sub_u32_e32 v23, 29, v23
	v_and_b32_e32 v24, 7, v24
	v_cmp_eq_u16_e32 vcc, 0, v22
	v_cndmask_b32_e32 v21, v21, v24, vcc
	v_cndmask_b32_e32 v22, v22, v23, vcc
	v_lshlrev_b32_e32 v23, 24, v10
	v_mov_b32_e32 v24, 0x3b800000
	v_lshlrev_b32_e32 v21, 20, v21
	v_and_b32_e32 v23, 0x80000000, v23
	v_lshl_add_u32 v22, v22, 23, v24
	v_or3_b32 v21, v23, v22, v21
.LBB37_520:
	s_or_b64 exec, exec, s[6:7]
	flat_load_dwordx4 a[0:3], v[18:19] offset:160
	s_movk_i32 s4, 0x7f
                                        ; implicit-def: $sgpr10
	s_waitcnt vmcnt(0) lgkmcnt(0)
	v_mfma_f32_16x16x4f32 a[0:3], v20, v21, a[0:3]
	v_lshrrev_b32_e32 v21, 8, v14
	v_cmp_gt_i16_sdwa s[6:7], v21, s4 src0_sel:BYTE_0 src1_sel:DWORD
	s_mov_b64 s[4:5], 0
	s_and_saveexec_b64 s[8:9], s[6:7]
	s_xor_b64 s[6:7], exec, s[8:9]
	s_cbranch_execnz .LBB37_2569
; %bb.521:
	s_or_saveexec_b64 s[6:7], s[6:7]
	v_mov_b32_e32 v20, s10
	s_xor_b64 exec, exec, s[6:7]
	s_cbranch_execnz .LBB37_2572
.LBB37_522:
	s_or_b64 exec, exec, s[6:7]
	s_and_saveexec_b64 s[6:7], s[4:5]
	s_cbranch_execz .LBB37_524
.LBB37_523:
	v_bfe_u32 v20, v14, 8, 3
	v_ffbh_u32_e32 v23, v20
	v_min_u32_e32 v23, 32, v23
	v_lshrrev_b16_e32 v22, 3, v21
	v_subrev_u32_e32 v24, 28, v23
	v_and_b32_e32 v22, 15, v22
	v_lshlrev_b32_e32 v21, v24, v21
	v_sub_u32_e32 v23, 29, v23
	v_and_b32_e32 v21, 7, v21
	v_cmp_eq_u16_e32 vcc, 0, v22
	v_cndmask_b32_e32 v20, v20, v21, vcc
	v_cndmask_b32_e32 v21, v22, v23, vcc
	v_lshlrev_b32_e32 v22, 16, v14
	v_mov_b32_e32 v23, 0x3b800000
	v_lshlrev_b32_e32 v20, 20, v20
	v_and_b32_e32 v22, 0x80000000, v22
	v_lshl_add_u32 v21, v21, 23, v23
	v_or3_b32 v20, v22, v21, v20
.LBB37_524:
	s_or_b64 exec, exec, s[6:7]
	v_lshrrev_b32_e32 v21, 8, v10
	s_movk_i32 s4, 0x7f
	v_cmp_gt_i16_sdwa s[6:7], v21, s4 src0_sel:BYTE_0 src1_sel:DWORD
	s_mov_b64 s[4:5], 0
                                        ; implicit-def: $sgpr10
	s_and_saveexec_b64 s[8:9], s[6:7]
	s_xor_b64 s[6:7], exec, s[8:9]
	s_cbranch_execnz .LBB37_2573
; %bb.525:
	s_or_saveexec_b64 s[6:7], s[6:7]
	v_mov_b32_e32 v22, s10
	s_xor_b64 exec, exec, s[6:7]
	s_cbranch_execnz .LBB37_2576
.LBB37_526:
	s_or_b64 exec, exec, s[6:7]
	s_and_saveexec_b64 s[6:7], s[4:5]
	s_cbranch_execz .LBB37_528
.LBB37_527:
	v_bfe_u32 v22, v10, 8, 3
	v_ffbh_u32_e32 v24, v22
	v_min_u32_e32 v24, 32, v24
	v_lshrrev_b16_e32 v23, 3, v21
	v_subrev_u32_e32 v25, 28, v24
	v_and_b32_e32 v23, 15, v23
	v_lshlrev_b32_e32 v21, v25, v21
	v_sub_u32_e32 v24, 29, v24
	v_and_b32_e32 v21, 7, v21
	v_cmp_eq_u16_e32 vcc, 0, v23
	v_cndmask_b32_e32 v21, v22, v21, vcc
	v_cndmask_b32_e32 v22, v23, v24, vcc
	v_lshlrev_b32_e32 v23, 16, v10
	v_mov_b32_e32 v24, 0x3b800000
	v_lshlrev_b32_e32 v21, 20, v21
	v_and_b32_e32 v23, 0x80000000, v23
	v_lshl_add_u32 v22, v22, 23, v24
	v_or3_b32 v22, v23, v22, v21
.LBB37_528:
	s_or_b64 exec, exec, s[6:7]
	s_nop 0
	v_mfma_f32_16x16x4f32 a[0:3], v20, v22, a[0:3]
	s_movk_i32 s4, 0xff
	v_and_b32_sdwa v21, v14, s4 dst_sel:DWORD dst_unused:UNUSED_PAD src0_sel:WORD_1 src1_sel:DWORD
	s_movk_i32 s4, 0x7f
	v_cmp_lt_i16_e32 vcc, s4, v21
	s_mov_b64 s[4:5], 0
                                        ; implicit-def: $sgpr10
	s_and_saveexec_b64 s[6:7], vcc
	s_xor_b64 s[6:7], exec, s[6:7]
	s_cbranch_execnz .LBB37_2577
; %bb.529:
	s_or_saveexec_b64 s[6:7], s[6:7]
	v_mov_b32_e32 v20, s10
	s_xor_b64 exec, exec, s[6:7]
	s_cbranch_execnz .LBB37_2580
.LBB37_530:
	s_or_b64 exec, exec, s[6:7]
	s_and_saveexec_b64 s[6:7], s[4:5]
	s_cbranch_execz .LBB37_532
.LBB37_531:
	v_bfe_u32 v20, v14, 16, 3
	v_ffbh_u32_e32 v23, v20
	v_min_u32_e32 v23, 32, v23
	v_lshrrev_b32_e32 v21, 19, v14
	v_subrev_u32_e32 v24, 28, v23
	v_and_b32_e32 v21, 15, v21
	v_lshlrev_b32_sdwa v24, v24, v14 dst_sel:DWORD dst_unused:UNUSED_PAD src0_sel:DWORD src1_sel:WORD_1
	v_bfe_u32 v22, v14, 19, 4
	v_sub_u32_e32 v23, 29, v23
	v_and_b32_e32 v24, 7, v24
	v_cmp_eq_u16_e32 vcc, 0, v21
	v_cndmask_b32_e32 v20, v20, v24, vcc
	v_cndmask_b32_e32 v21, v22, v23, vcc
	v_lshlrev_b32_e32 v22, 8, v14
	v_mov_b32_e32 v23, 0x3b800000
	v_lshlrev_b32_e32 v20, 20, v20
	v_and_b32_e32 v22, 0x80000000, v22
	v_lshl_add_u32 v21, v21, 23, v23
	v_or3_b32 v20, v22, v21, v20
.LBB37_532:
	s_or_b64 exec, exec, s[6:7]
	s_movk_i32 s4, 0xff
	v_and_b32_sdwa v21, v10, s4 dst_sel:DWORD dst_unused:UNUSED_PAD src0_sel:WORD_1 src1_sel:DWORD
	s_movk_i32 s4, 0x7f
	v_cmp_lt_i16_e32 vcc, s4, v21
	s_mov_b64 s[4:5], 0
                                        ; implicit-def: $sgpr10
	s_and_saveexec_b64 s[6:7], vcc
	s_xor_b64 s[6:7], exec, s[6:7]
	s_cbranch_execnz .LBB37_2581
; %bb.533:
	s_or_saveexec_b64 s[6:7], s[6:7]
	v_mov_b32_e32 v22, s10
	s_xor_b64 exec, exec, s[6:7]
	s_cbranch_execnz .LBB37_2584
.LBB37_534:
	s_or_b64 exec, exec, s[6:7]
	s_and_saveexec_b64 s[6:7], s[4:5]
	s_cbranch_execz .LBB37_536
.LBB37_535:
	v_bfe_u32 v21, v10, 16, 3
	v_ffbh_u32_e32 v24, v21
	v_min_u32_e32 v24, 32, v24
	v_lshrrev_b32_e32 v22, 19, v10
	v_subrev_u32_e32 v25, 28, v24
	v_and_b32_e32 v22, 15, v22
	v_lshlrev_b32_sdwa v25, v25, v10 dst_sel:DWORD dst_unused:UNUSED_PAD src0_sel:DWORD src1_sel:WORD_1
	v_bfe_u32 v23, v10, 19, 4
	v_sub_u32_e32 v24, 29, v24
	v_and_b32_e32 v25, 7, v25
	v_cmp_eq_u16_e32 vcc, 0, v22
	v_cndmask_b32_e32 v21, v21, v25, vcc
	v_cndmask_b32_e32 v22, v23, v24, vcc
	v_lshlrev_b32_e32 v23, 8, v10
	v_mov_b32_e32 v24, 0x3b800000
	v_lshlrev_b32_e32 v21, 20, v21
	v_and_b32_e32 v23, 0x80000000, v23
	v_lshl_add_u32 v22, v22, 23, v24
	v_or3_b32 v22, v23, v22, v21
.LBB37_536:
	s_or_b64 exec, exec, s[6:7]
	s_nop 0
	v_mfma_f32_16x16x4f32 a[0:3], v20, v22, a[0:3]
	s_movk_i32 s4, 0x7f
	v_cmp_gt_i16_sdwa s[6:7], v14, s4 src0_sel:BYTE_3 src1_sel:DWORD
	s_mov_b64 s[4:5], 0
                                        ; implicit-def: $sgpr10
	s_and_saveexec_b64 s[8:9], s[6:7]
	s_xor_b64 s[6:7], exec, s[8:9]
	s_cbranch_execnz .LBB37_2585
; %bb.537:
	s_or_saveexec_b64 s[6:7], s[6:7]
	v_mov_b32_e32 v20, s10
	s_xor_b64 exec, exec, s[6:7]
	s_cbranch_execnz .LBB37_2588
.LBB37_538:
	s_or_b64 exec, exec, s[6:7]
	s_and_saveexec_b64 s[6:7], s[4:5]
	s_cbranch_execz .LBB37_540
.LBB37_539:
	v_bfe_u32 v20, v14, 24, 3
	v_ffbh_u32_e32 v24, v20
	v_min_u32_e32 v24, 32, v24
	v_lshrrev_b32_e32 v22, 27, v14
	v_subrev_u32_e32 v25, 28, v24
	v_and_b32_e32 v21, 0x80000000, v14
	v_and_b32_e32 v22, 15, v22
	v_bfe_u32 v23, v14, 27, 4
	v_lshlrev_b32_sdwa v14, v25, v14 dst_sel:DWORD dst_unused:UNUSED_PAD src0_sel:DWORD src1_sel:BYTE_3
	v_sub_u32_e32 v24, 29, v24
	v_and_b32_e32 v14, 7, v14
	v_cmp_eq_u16_e32 vcc, 0, v22
	v_cndmask_b32_e32 v14, v20, v14, vcc
	v_cndmask_b32_e32 v20, v23, v24, vcc
	v_mov_b32_e32 v22, 0x3b800000
	v_lshlrev_b32_e32 v14, 20, v14
	v_lshl_add_u32 v20, v20, 23, v22
	v_or3_b32 v20, v21, v20, v14
.LBB37_540:
	s_or_b64 exec, exec, s[6:7]
	s_movk_i32 s4, 0x7f
	v_cmp_gt_i16_sdwa s[6:7], v10, s4 src0_sel:BYTE_3 src1_sel:DWORD
	s_mov_b64 s[4:5], 0
                                        ; implicit-def: $sgpr10
	s_and_saveexec_b64 s[8:9], s[6:7]
	s_xor_b64 s[6:7], exec, s[8:9]
	s_cbranch_execnz .LBB37_2589
; %bb.541:
	s_or_saveexec_b64 s[6:7], s[6:7]
	v_mov_b32_e32 v14, s10
	s_xor_b64 exec, exec, s[6:7]
	s_cbranch_execnz .LBB37_2592
.LBB37_542:
	s_or_b64 exec, exec, s[6:7]
	s_and_saveexec_b64 s[6:7], s[4:5]
	s_cbranch_execz .LBB37_544
.LBB37_543:
	v_bfe_u32 v14, v10, 24, 3
	v_ffbh_u32_e32 v24, v14
	v_min_u32_e32 v24, 32, v24
	v_lshrrev_b32_e32 v22, 27, v10
	v_subrev_u32_e32 v25, 28, v24
	v_and_b32_e32 v21, 0x80000000, v10
	v_and_b32_e32 v22, 15, v22
	v_bfe_u32 v23, v10, 27, 4
	v_lshlrev_b32_sdwa v10, v25, v10 dst_sel:DWORD dst_unused:UNUSED_PAD src0_sel:DWORD src1_sel:BYTE_3
	v_sub_u32_e32 v24, 29, v24
	v_and_b32_e32 v10, 7, v10
	v_cmp_eq_u16_e32 vcc, 0, v22
	v_cndmask_b32_e32 v10, v14, v10, vcc
	v_cndmask_b32_e32 v14, v23, v24, vcc
	v_mov_b32_e32 v22, 0x3b800000
	v_lshlrev_b32_e32 v10, 20, v10
	v_lshl_add_u32 v14, v14, 23, v22
	v_or3_b32 v14, v21, v14, v10
.LBB37_544:
	s_or_b64 exec, exec, s[6:7]
	s_nop 0
	v_mfma_f32_16x16x4f32 a[0:3], v20, v14, a[0:3]
	s_movk_i32 s4, 0x7f
	v_cmp_gt_i16_sdwa s[6:7], v15, s4 src0_sel:BYTE_0 src1_sel:DWORD
	s_mov_b64 s[4:5], 0
                                        ; implicit-def: $sgpr10
	s_and_saveexec_b64 s[8:9], s[6:7]
	s_xor_b64 s[6:7], exec, s[8:9]
	s_cbranch_execnz .LBB37_2593
; %bb.545:
	s_or_saveexec_b64 s[6:7], s[6:7]
	v_mov_b32_e32 v10, s10
	s_xor_b64 exec, exec, s[6:7]
	s_cbranch_execnz .LBB37_2596
.LBB37_546:
	s_or_b64 exec, exec, s[6:7]
	s_and_saveexec_b64 s[6:7], s[4:5]
	s_cbranch_execz .LBB37_548
.LBB37_547:
	v_and_b32_e32 v10, 7, v15
	v_ffbh_u32_e32 v20, v10
	v_min_u32_e32 v20, 32, v20
	v_lshrrev_b16_e32 v14, 3, v15
	v_subrev_u32_e32 v21, 28, v20
	v_and_b32_e32 v14, 15, v14
	v_lshlrev_b32_e32 v21, v21, v15
	v_sub_u32_e32 v20, 29, v20
	v_and_b32_e32 v21, 7, v21
	v_cmp_eq_u16_e32 vcc, 0, v14
	v_cndmask_b32_e32 v10, v10, v21, vcc
	v_cndmask_b32_e32 v14, v14, v20, vcc
	v_lshlrev_b32_e32 v20, 24, v15
	v_mov_b32_e32 v21, 0x3b800000
	v_lshlrev_b32_e32 v10, 20, v10
	v_and_b32_e32 v20, 0x80000000, v20
	v_lshl_add_u32 v14, v14, 23, v21
	v_or3_b32 v10, v20, v14, v10
.LBB37_548:
	s_or_b64 exec, exec, s[6:7]
	s_movk_i32 s4, 0x7f
	v_cmp_gt_i16_sdwa s[6:7], v11, s4 src0_sel:BYTE_0 src1_sel:DWORD
	s_mov_b64 s[4:5], 0
                                        ; implicit-def: $sgpr10
	s_and_saveexec_b64 s[8:9], s[6:7]
	s_xor_b64 s[6:7], exec, s[8:9]
	s_cbranch_execnz .LBB37_2597
; %bb.549:
	s_or_saveexec_b64 s[6:7], s[6:7]
	v_mov_b32_e32 v14, s10
	s_xor_b64 exec, exec, s[6:7]
	s_cbranch_execnz .LBB37_2600
.LBB37_550:
	s_or_b64 exec, exec, s[6:7]
	s_and_saveexec_b64 s[6:7], s[4:5]
	s_cbranch_execz .LBB37_552
.LBB37_551:
	v_and_b32_e32 v14, 7, v11
	v_ffbh_u32_e32 v21, v14
	v_min_u32_e32 v21, 32, v21
	v_lshrrev_b16_e32 v20, 3, v11
	v_subrev_u32_e32 v22, 28, v21
	v_and_b32_e32 v20, 15, v20
	v_lshlrev_b32_e32 v22, v22, v11
	v_sub_u32_e32 v21, 29, v21
	v_and_b32_e32 v22, 7, v22
	v_cmp_eq_u16_e32 vcc, 0, v20
	v_cndmask_b32_e32 v14, v14, v22, vcc
	v_cndmask_b32_e32 v20, v20, v21, vcc
	v_lshlrev_b32_e32 v21, 24, v11
	v_mov_b32_e32 v22, 0x3b800000
	v_lshlrev_b32_e32 v14, 20, v14
	v_and_b32_e32 v21, 0x80000000, v21
	v_lshl_add_u32 v20, v20, 23, v22
	v_or3_b32 v14, v21, v20, v14
.LBB37_552:
	s_or_b64 exec, exec, s[6:7]
	s_nop 0
	v_mfma_f32_16x16x4f32 a[0:3], v10, v14, a[0:3]
	v_lshrrev_b32_e32 v14, 8, v15
	s_movk_i32 s4, 0x7f
	v_cmp_gt_i16_sdwa s[6:7], v14, s4 src0_sel:BYTE_0 src1_sel:DWORD
	s_mov_b64 s[4:5], 0
                                        ; implicit-def: $sgpr10
	s_and_saveexec_b64 s[8:9], s[6:7]
	s_xor_b64 s[6:7], exec, s[8:9]
	s_cbranch_execnz .LBB37_2601
; %bb.553:
	s_or_saveexec_b64 s[6:7], s[6:7]
	v_mov_b32_e32 v10, s10
	s_xor_b64 exec, exec, s[6:7]
	s_cbranch_execnz .LBB37_2604
.LBB37_554:
	s_or_b64 exec, exec, s[6:7]
	s_and_saveexec_b64 s[6:7], s[4:5]
	s_cbranch_execz .LBB37_556
.LBB37_555:
	v_bfe_u32 v10, v15, 8, 3
	v_ffbh_u32_e32 v21, v10
	v_min_u32_e32 v21, 32, v21
	v_lshrrev_b16_e32 v20, 3, v14
	v_subrev_u32_e32 v22, 28, v21
	v_and_b32_e32 v20, 15, v20
	v_lshlrev_b32_e32 v14, v22, v14
	v_sub_u32_e32 v21, 29, v21
	v_and_b32_e32 v14, 7, v14
	v_cmp_eq_u16_e32 vcc, 0, v20
	v_cndmask_b32_e32 v10, v10, v14, vcc
	v_cndmask_b32_e32 v14, v20, v21, vcc
	v_lshlrev_b32_e32 v20, 16, v15
	v_mov_b32_e32 v21, 0x3b800000
	v_lshlrev_b32_e32 v10, 20, v10
	v_and_b32_e32 v20, 0x80000000, v20
	v_lshl_add_u32 v14, v14, 23, v21
	v_or3_b32 v10, v20, v14, v10
.LBB37_556:
	s_or_b64 exec, exec, s[6:7]
	v_lshrrev_b32_e32 v14, 8, v11
	s_movk_i32 s4, 0x7f
	v_cmp_gt_i16_sdwa s[6:7], v14, s4 src0_sel:BYTE_0 src1_sel:DWORD
	s_mov_b64 s[4:5], 0
                                        ; implicit-def: $sgpr10
	s_and_saveexec_b64 s[8:9], s[6:7]
	s_xor_b64 s[6:7], exec, s[8:9]
	s_cbranch_execnz .LBB37_2605
; %bb.557:
	s_or_saveexec_b64 s[6:7], s[6:7]
	v_mov_b32_e32 v20, s10
	s_xor_b64 exec, exec, s[6:7]
	s_cbranch_execnz .LBB37_2608
.LBB37_558:
	s_or_b64 exec, exec, s[6:7]
	s_and_saveexec_b64 s[6:7], s[4:5]
	s_cbranch_execz .LBB37_560
.LBB37_559:
	v_bfe_u32 v20, v11, 8, 3
	v_ffbh_u32_e32 v22, v20
	v_min_u32_e32 v22, 32, v22
	v_lshrrev_b16_e32 v21, 3, v14
	v_subrev_u32_e32 v23, 28, v22
	v_and_b32_e32 v21, 15, v21
	v_lshlrev_b32_e32 v14, v23, v14
	v_sub_u32_e32 v22, 29, v22
	v_and_b32_e32 v14, 7, v14
	v_cmp_eq_u16_e32 vcc, 0, v21
	v_cndmask_b32_e32 v14, v20, v14, vcc
	v_cndmask_b32_e32 v20, v21, v22, vcc
	v_lshlrev_b32_e32 v21, 16, v11
	v_mov_b32_e32 v22, 0x3b800000
	v_lshlrev_b32_e32 v14, 20, v14
	v_and_b32_e32 v21, 0x80000000, v21
	v_lshl_add_u32 v20, v20, 23, v22
	v_or3_b32 v20, v21, v20, v14
.LBB37_560:
	s_or_b64 exec, exec, s[6:7]
	s_nop 0
	v_mfma_f32_16x16x4f32 a[0:3], v10, v20, a[0:3]
	s_movk_i32 s4, 0xff
	v_and_b32_sdwa v14, v15, s4 dst_sel:DWORD dst_unused:UNUSED_PAD src0_sel:WORD_1 src1_sel:DWORD
	s_movk_i32 s4, 0x7f
	v_cmp_lt_i16_e32 vcc, s4, v14
	s_mov_b64 s[4:5], 0
                                        ; implicit-def: $sgpr10
	s_and_saveexec_b64 s[6:7], vcc
	s_xor_b64 s[6:7], exec, s[6:7]
	s_cbranch_execnz .LBB37_2609
; %bb.561:
	s_or_saveexec_b64 s[6:7], s[6:7]
	v_mov_b32_e32 v10, s10
	s_xor_b64 exec, exec, s[6:7]
	s_cbranch_execnz .LBB37_2612
.LBB37_562:
	s_or_b64 exec, exec, s[6:7]
	s_and_saveexec_b64 s[6:7], s[4:5]
	s_cbranch_execz .LBB37_564
.LBB37_563:
	v_bfe_u32 v10, v15, 16, 3
	v_ffbh_u32_e32 v21, v10
	v_min_u32_e32 v21, 32, v21
	v_lshrrev_b32_e32 v14, 19, v15
	v_subrev_u32_e32 v22, 28, v21
	v_and_b32_e32 v14, 15, v14
	v_lshlrev_b32_sdwa v22, v22, v15 dst_sel:DWORD dst_unused:UNUSED_PAD src0_sel:DWORD src1_sel:WORD_1
	v_bfe_u32 v20, v15, 19, 4
	v_sub_u32_e32 v21, 29, v21
	v_and_b32_e32 v22, 7, v22
	v_cmp_eq_u16_e32 vcc, 0, v14
	v_cndmask_b32_e32 v10, v10, v22, vcc
	v_cndmask_b32_e32 v14, v20, v21, vcc
	v_lshlrev_b32_e32 v20, 8, v15
	v_mov_b32_e32 v21, 0x3b800000
	v_lshlrev_b32_e32 v10, 20, v10
	v_and_b32_e32 v20, 0x80000000, v20
	v_lshl_add_u32 v14, v14, 23, v21
	v_or3_b32 v10, v20, v14, v10
.LBB37_564:
	s_or_b64 exec, exec, s[6:7]
	s_movk_i32 s4, 0xff
	v_and_b32_sdwa v14, v11, s4 dst_sel:DWORD dst_unused:UNUSED_PAD src0_sel:WORD_1 src1_sel:DWORD
	s_movk_i32 s4, 0x7f
	v_cmp_lt_i16_e32 vcc, s4, v14
	s_mov_b64 s[4:5], 0
                                        ; implicit-def: $sgpr10
	s_and_saveexec_b64 s[6:7], vcc
	s_xor_b64 s[6:7], exec, s[6:7]
	s_cbranch_execnz .LBB37_2613
; %bb.565:
	s_or_saveexec_b64 s[6:7], s[6:7]
	v_mov_b32_e32 v20, s10
	s_xor_b64 exec, exec, s[6:7]
	s_cbranch_execnz .LBB37_2616
.LBB37_566:
	s_or_b64 exec, exec, s[6:7]
	s_and_saveexec_b64 s[6:7], s[4:5]
	s_cbranch_execz .LBB37_568
.LBB37_567:
	v_bfe_u32 v14, v11, 16, 3
	v_ffbh_u32_e32 v22, v14
	v_min_u32_e32 v22, 32, v22
	v_lshrrev_b32_e32 v20, 19, v11
	v_subrev_u32_e32 v23, 28, v22
	v_and_b32_e32 v20, 15, v20
	v_lshlrev_b32_sdwa v23, v23, v11 dst_sel:DWORD dst_unused:UNUSED_PAD src0_sel:DWORD src1_sel:WORD_1
	v_bfe_u32 v21, v11, 19, 4
	v_sub_u32_e32 v22, 29, v22
	v_and_b32_e32 v23, 7, v23
	v_cmp_eq_u16_e32 vcc, 0, v20
	v_cndmask_b32_e32 v14, v14, v23, vcc
	v_cndmask_b32_e32 v20, v21, v22, vcc
	v_lshlrev_b32_e32 v21, 8, v11
	v_mov_b32_e32 v22, 0x3b800000
	v_lshlrev_b32_e32 v14, 20, v14
	v_and_b32_e32 v21, 0x80000000, v21
	v_lshl_add_u32 v20, v20, 23, v22
	v_or3_b32 v20, v21, v20, v14
.LBB37_568:
	s_or_b64 exec, exec, s[6:7]
	s_nop 0
	v_mfma_f32_16x16x4f32 a[0:3], v10, v20, a[0:3]
	s_movk_i32 s4, 0x7f
	v_cmp_gt_i16_sdwa s[6:7], v15, s4 src0_sel:BYTE_3 src1_sel:DWORD
	s_mov_b64 s[4:5], 0
                                        ; implicit-def: $sgpr10
	s_and_saveexec_b64 s[8:9], s[6:7]
	s_xor_b64 s[6:7], exec, s[8:9]
	s_cbranch_execnz .LBB37_2617
; %bb.569:
	s_or_saveexec_b64 s[6:7], s[6:7]
	v_mov_b32_e32 v10, s10
	s_xor_b64 exec, exec, s[6:7]
	s_cbranch_execnz .LBB37_2620
.LBB37_570:
	s_or_b64 exec, exec, s[6:7]
	s_and_saveexec_b64 s[6:7], s[4:5]
	s_cbranch_execz .LBB37_572
.LBB37_571:
	v_bfe_u32 v10, v15, 24, 3
	v_ffbh_u32_e32 v22, v10
	v_min_u32_e32 v22, 32, v22
	v_lshrrev_b32_e32 v20, 27, v15
	v_subrev_u32_e32 v23, 28, v22
	v_and_b32_e32 v14, 0x80000000, v15
	v_and_b32_e32 v20, 15, v20
	v_bfe_u32 v21, v15, 27, 4
	v_lshlrev_b32_sdwa v15, v23, v15 dst_sel:DWORD dst_unused:UNUSED_PAD src0_sel:DWORD src1_sel:BYTE_3
	v_sub_u32_e32 v22, 29, v22
	v_and_b32_e32 v15, 7, v15
	v_cmp_eq_u16_e32 vcc, 0, v20
	v_cndmask_b32_e32 v10, v10, v15, vcc
	v_cndmask_b32_e32 v15, v21, v22, vcc
	v_mov_b32_e32 v20, 0x3b800000
	v_lshlrev_b32_e32 v10, 20, v10
	v_lshl_add_u32 v15, v15, 23, v20
	v_or3_b32 v10, v14, v15, v10
.LBB37_572:
	s_or_b64 exec, exec, s[6:7]
	s_movk_i32 s4, 0x7f
	v_cmp_gt_i16_sdwa s[6:7], v11, s4 src0_sel:BYTE_3 src1_sel:DWORD
	s_mov_b64 s[4:5], 0
                                        ; implicit-def: $sgpr10
	s_and_saveexec_b64 s[8:9], s[6:7]
	s_xor_b64 s[6:7], exec, s[8:9]
	s_cbranch_execnz .LBB37_2621
; %bb.573:
	s_or_saveexec_b64 s[6:7], s[6:7]
	v_mov_b32_e32 v14, s10
	s_xor_b64 exec, exec, s[6:7]
	s_cbranch_execnz .LBB37_2624
.LBB37_574:
	s_or_b64 exec, exec, s[6:7]
	s_and_saveexec_b64 s[6:7], s[4:5]
	s_cbranch_execz .LBB37_576
.LBB37_575:
	v_bfe_u32 v14, v11, 24, 3
	v_ffbh_u32_e32 v22, v14
	v_min_u32_e32 v22, 32, v22
	v_lshrrev_b32_e32 v20, 27, v11
	v_subrev_u32_e32 v23, 28, v22
	v_and_b32_e32 v15, 0x80000000, v11
	v_and_b32_e32 v20, 15, v20
	v_bfe_u32 v21, v11, 27, 4
	v_lshlrev_b32_sdwa v11, v23, v11 dst_sel:DWORD dst_unused:UNUSED_PAD src0_sel:DWORD src1_sel:BYTE_3
	v_sub_u32_e32 v22, 29, v22
	v_and_b32_e32 v11, 7, v11
	v_cmp_eq_u16_e32 vcc, 0, v20
	v_cndmask_b32_e32 v11, v14, v11, vcc
	v_cndmask_b32_e32 v14, v21, v22, vcc
	v_mov_b32_e32 v20, 0x3b800000
	v_lshlrev_b32_e32 v11, 20, v11
	v_lshl_add_u32 v14, v14, 23, v20
	v_or3_b32 v14, v15, v14, v11
.LBB37_576:
	s_or_b64 exec, exec, s[6:7]
	s_nop 0
	v_mfma_f32_16x16x4f32 a[0:3], v10, v14, a[0:3]
	s_movk_i32 s4, 0x7f
	v_cmp_gt_i16_sdwa s[6:7], v16, s4 src0_sel:BYTE_0 src1_sel:DWORD
	s_mov_b64 s[4:5], 0
                                        ; implicit-def: $sgpr10
	s_and_saveexec_b64 s[8:9], s[6:7]
	s_xor_b64 s[6:7], exec, s[8:9]
	s_cbranch_execnz .LBB37_2625
; %bb.577:
	s_or_saveexec_b64 s[6:7], s[6:7]
	v_mov_b32_e32 v10, s10
	s_xor_b64 exec, exec, s[6:7]
	s_cbranch_execnz .LBB37_2628
.LBB37_578:
	s_or_b64 exec, exec, s[6:7]
	s_and_saveexec_b64 s[6:7], s[4:5]
	s_cbranch_execz .LBB37_580
.LBB37_579:
	v_and_b32_e32 v10, 7, v16
	v_ffbh_u32_e32 v14, v10
	v_min_u32_e32 v14, 32, v14
	v_lshrrev_b16_e32 v11, 3, v16
	v_subrev_u32_e32 v15, 28, v14
	v_and_b32_e32 v11, 15, v11
	v_lshlrev_b32_e32 v15, v15, v16
	v_sub_u32_e32 v14, 29, v14
	v_and_b32_e32 v15, 7, v15
	v_cmp_eq_u16_e32 vcc, 0, v11
	v_cndmask_b32_e32 v10, v10, v15, vcc
	v_cndmask_b32_e32 v11, v11, v14, vcc
	v_lshlrev_b32_e32 v14, 24, v16
	v_mov_b32_e32 v15, 0x3b800000
	v_lshlrev_b32_e32 v10, 20, v10
	v_and_b32_e32 v14, 0x80000000, v14
	v_lshl_add_u32 v11, v11, 23, v15
	v_or3_b32 v10, v14, v11, v10
.LBB37_580:
	s_or_b64 exec, exec, s[6:7]
	s_movk_i32 s4, 0x7f
	v_cmp_gt_i16_sdwa s[6:7], v12, s4 src0_sel:BYTE_0 src1_sel:DWORD
	s_mov_b64 s[4:5], 0
                                        ; implicit-def: $sgpr10
	s_and_saveexec_b64 s[8:9], s[6:7]
	s_xor_b64 s[6:7], exec, s[8:9]
	s_cbranch_execnz .LBB37_2629
; %bb.581:
	s_or_saveexec_b64 s[6:7], s[6:7]
	v_mov_b32_e32 v11, s10
	s_xor_b64 exec, exec, s[6:7]
	s_cbranch_execnz .LBB37_2632
.LBB37_582:
	s_or_b64 exec, exec, s[6:7]
	s_and_saveexec_b64 s[6:7], s[4:5]
	s_cbranch_execz .LBB37_584
.LBB37_583:
	v_and_b32_e32 v11, 7, v12
	v_ffbh_u32_e32 v15, v11
	v_min_u32_e32 v15, 32, v15
	v_lshrrev_b16_e32 v14, 3, v12
	v_subrev_u32_e32 v20, 28, v15
	v_and_b32_e32 v14, 15, v14
	v_lshlrev_b32_e32 v20, v20, v12
	v_sub_u32_e32 v15, 29, v15
	v_and_b32_e32 v20, 7, v20
	v_cmp_eq_u16_e32 vcc, 0, v14
	v_cndmask_b32_e32 v11, v11, v20, vcc
	v_cndmask_b32_e32 v14, v14, v15, vcc
	v_lshlrev_b32_e32 v15, 24, v12
	v_mov_b32_e32 v20, 0x3b800000
	v_lshlrev_b32_e32 v11, 20, v11
	v_and_b32_e32 v15, 0x80000000, v15
	v_lshl_add_u32 v14, v14, 23, v20
	v_or3_b32 v11, v15, v14, v11
.LBB37_584:
	s_or_b64 exec, exec, s[6:7]
	s_nop 0
	v_mfma_f32_16x16x4f32 a[0:3], v10, v11, a[0:3]
	v_lshrrev_b32_e32 v11, 8, v16
	s_movk_i32 s4, 0x7f
	v_cmp_gt_i16_sdwa s[6:7], v11, s4 src0_sel:BYTE_0 src1_sel:DWORD
	s_mov_b64 s[4:5], 0
                                        ; implicit-def: $sgpr10
	s_and_saveexec_b64 s[8:9], s[6:7]
	s_xor_b64 s[6:7], exec, s[8:9]
	s_cbranch_execnz .LBB37_2633
; %bb.585:
	s_or_saveexec_b64 s[6:7], s[6:7]
	v_mov_b32_e32 v10, s10
	s_xor_b64 exec, exec, s[6:7]
	s_cbranch_execnz .LBB37_2636
.LBB37_586:
	s_or_b64 exec, exec, s[6:7]
	s_and_saveexec_b64 s[6:7], s[4:5]
	s_cbranch_execz .LBB37_588
.LBB37_587:
	v_bfe_u32 v10, v16, 8, 3
	v_ffbh_u32_e32 v15, v10
	v_min_u32_e32 v15, 32, v15
	v_lshrrev_b16_e32 v14, 3, v11
	v_subrev_u32_e32 v20, 28, v15
	v_and_b32_e32 v14, 15, v14
	v_lshlrev_b32_e32 v11, v20, v11
	v_sub_u32_e32 v15, 29, v15
	v_and_b32_e32 v11, 7, v11
	v_cmp_eq_u16_e32 vcc, 0, v14
	v_cndmask_b32_e32 v10, v10, v11, vcc
	v_cndmask_b32_e32 v11, v14, v15, vcc
	v_lshlrev_b32_e32 v14, 16, v16
	v_mov_b32_e32 v15, 0x3b800000
	v_lshlrev_b32_e32 v10, 20, v10
	v_and_b32_e32 v14, 0x80000000, v14
	v_lshl_add_u32 v11, v11, 23, v15
	v_or3_b32 v10, v14, v11, v10
.LBB37_588:
	s_or_b64 exec, exec, s[6:7]
	v_lshrrev_b32_e32 v11, 8, v12
	s_movk_i32 s4, 0x7f
	v_cmp_gt_i16_sdwa s[6:7], v11, s4 src0_sel:BYTE_0 src1_sel:DWORD
	s_mov_b64 s[4:5], 0
                                        ; implicit-def: $sgpr10
	s_and_saveexec_b64 s[8:9], s[6:7]
	s_xor_b64 s[6:7], exec, s[8:9]
	s_cbranch_execnz .LBB37_2637
; %bb.589:
	s_or_saveexec_b64 s[6:7], s[6:7]
	v_mov_b32_e32 v14, s10
	s_xor_b64 exec, exec, s[6:7]
	s_cbranch_execnz .LBB37_2640
.LBB37_590:
	s_or_b64 exec, exec, s[6:7]
	s_and_saveexec_b64 s[6:7], s[4:5]
	s_cbranch_execz .LBB37_592
.LBB37_591:
	v_bfe_u32 v14, v12, 8, 3
	v_ffbh_u32_e32 v20, v14
	v_min_u32_e32 v20, 32, v20
	v_lshrrev_b16_e32 v15, 3, v11
	v_subrev_u32_e32 v21, 28, v20
	v_and_b32_e32 v15, 15, v15
	v_lshlrev_b32_e32 v11, v21, v11
	v_sub_u32_e32 v20, 29, v20
	v_and_b32_e32 v11, 7, v11
	v_cmp_eq_u16_e32 vcc, 0, v15
	v_cndmask_b32_e32 v11, v14, v11, vcc
	v_cndmask_b32_e32 v14, v15, v20, vcc
	v_lshlrev_b32_e32 v15, 16, v12
	v_mov_b32_e32 v20, 0x3b800000
	v_lshlrev_b32_e32 v11, 20, v11
	v_and_b32_e32 v15, 0x80000000, v15
	v_lshl_add_u32 v14, v14, 23, v20
	v_or3_b32 v14, v15, v14, v11
.LBB37_592:
	s_or_b64 exec, exec, s[6:7]
	s_nop 0
	v_mfma_f32_16x16x4f32 a[0:3], v10, v14, a[0:3]
	s_movk_i32 s4, 0xff
	v_and_b32_sdwa v11, v16, s4 dst_sel:DWORD dst_unused:UNUSED_PAD src0_sel:WORD_1 src1_sel:DWORD
	s_movk_i32 s4, 0x7f
	v_cmp_lt_i16_e32 vcc, s4, v11
	s_mov_b64 s[4:5], 0
                                        ; implicit-def: $sgpr10
	s_and_saveexec_b64 s[6:7], vcc
	s_xor_b64 s[6:7], exec, s[6:7]
	s_cbranch_execnz .LBB37_2641
; %bb.593:
	s_or_saveexec_b64 s[6:7], s[6:7]
	v_mov_b32_e32 v10, s10
	s_xor_b64 exec, exec, s[6:7]
	s_cbranch_execnz .LBB37_2644
.LBB37_594:
	s_or_b64 exec, exec, s[6:7]
	s_and_saveexec_b64 s[6:7], s[4:5]
	s_cbranch_execz .LBB37_596
.LBB37_595:
	v_bfe_u32 v10, v16, 16, 3
	v_ffbh_u32_e32 v15, v10
	v_min_u32_e32 v15, 32, v15
	v_lshrrev_b32_e32 v11, 19, v16
	v_subrev_u32_e32 v20, 28, v15
	v_and_b32_e32 v11, 15, v11
	v_lshlrev_b32_sdwa v20, v20, v16 dst_sel:DWORD dst_unused:UNUSED_PAD src0_sel:DWORD src1_sel:WORD_1
	v_bfe_u32 v14, v16, 19, 4
	v_sub_u32_e32 v15, 29, v15
	v_and_b32_e32 v20, 7, v20
	v_cmp_eq_u16_e32 vcc, 0, v11
	v_cndmask_b32_e32 v10, v10, v20, vcc
	v_cndmask_b32_e32 v11, v14, v15, vcc
	v_lshlrev_b32_e32 v14, 8, v16
	v_mov_b32_e32 v15, 0x3b800000
	v_lshlrev_b32_e32 v10, 20, v10
	v_and_b32_e32 v14, 0x80000000, v14
	v_lshl_add_u32 v11, v11, 23, v15
	v_or3_b32 v10, v14, v11, v10
.LBB37_596:
	s_or_b64 exec, exec, s[6:7]
	s_movk_i32 s4, 0xff
	v_and_b32_sdwa v11, v12, s4 dst_sel:DWORD dst_unused:UNUSED_PAD src0_sel:WORD_1 src1_sel:DWORD
	s_movk_i32 s4, 0x7f
	v_cmp_lt_i16_e32 vcc, s4, v11
	s_mov_b64 s[4:5], 0
                                        ; implicit-def: $sgpr10
	s_and_saveexec_b64 s[6:7], vcc
	s_xor_b64 s[6:7], exec, s[6:7]
	s_cbranch_execnz .LBB37_2645
; %bb.597:
	s_or_saveexec_b64 s[6:7], s[6:7]
	v_mov_b32_e32 v14, s10
	s_xor_b64 exec, exec, s[6:7]
	s_cbranch_execnz .LBB37_2648
.LBB37_598:
	s_or_b64 exec, exec, s[6:7]
	s_and_saveexec_b64 s[6:7], s[4:5]
	s_cbranch_execz .LBB37_600
.LBB37_599:
	v_bfe_u32 v11, v12, 16, 3
	v_ffbh_u32_e32 v20, v11
	v_min_u32_e32 v20, 32, v20
	v_lshrrev_b32_e32 v14, 19, v12
	v_subrev_u32_e32 v21, 28, v20
	v_and_b32_e32 v14, 15, v14
	v_lshlrev_b32_sdwa v21, v21, v12 dst_sel:DWORD dst_unused:UNUSED_PAD src0_sel:DWORD src1_sel:WORD_1
	v_bfe_u32 v15, v12, 19, 4
	v_sub_u32_e32 v20, 29, v20
	v_and_b32_e32 v21, 7, v21
	v_cmp_eq_u16_e32 vcc, 0, v14
	v_cndmask_b32_e32 v11, v11, v21, vcc
	v_cndmask_b32_e32 v14, v15, v20, vcc
	v_lshlrev_b32_e32 v15, 8, v12
	v_mov_b32_e32 v20, 0x3b800000
	v_lshlrev_b32_e32 v11, 20, v11
	v_and_b32_e32 v15, 0x80000000, v15
	v_lshl_add_u32 v14, v14, 23, v20
	v_or3_b32 v14, v15, v14, v11
.LBB37_600:
	s_or_b64 exec, exec, s[6:7]
	s_nop 0
	v_mfma_f32_16x16x4f32 a[0:3], v10, v14, a[0:3]
	s_movk_i32 s4, 0x7f
	v_cmp_gt_i16_sdwa s[6:7], v16, s4 src0_sel:BYTE_3 src1_sel:DWORD
	s_mov_b64 s[4:5], 0
                                        ; implicit-def: $sgpr10
	s_and_saveexec_b64 s[8:9], s[6:7]
	s_xor_b64 s[6:7], exec, s[8:9]
	s_cbranch_execnz .LBB37_2649
; %bb.601:
	s_or_saveexec_b64 s[6:7], s[6:7]
	v_mov_b32_e32 v10, s10
	s_xor_b64 exec, exec, s[6:7]
	s_cbranch_execnz .LBB37_2652
.LBB37_602:
	s_or_b64 exec, exec, s[6:7]
	s_and_saveexec_b64 s[6:7], s[4:5]
	s_cbranch_execz .LBB37_604
.LBB37_603:
	v_bfe_u32 v10, v16, 24, 3
	v_ffbh_u32_e32 v20, v10
	v_min_u32_e32 v20, 32, v20
	v_lshrrev_b32_e32 v14, 27, v16
	v_subrev_u32_e32 v21, 28, v20
	v_and_b32_e32 v11, 0x80000000, v16
	v_and_b32_e32 v14, 15, v14
	v_bfe_u32 v15, v16, 27, 4
	v_lshlrev_b32_sdwa v16, v21, v16 dst_sel:DWORD dst_unused:UNUSED_PAD src0_sel:DWORD src1_sel:BYTE_3
	v_sub_u32_e32 v20, 29, v20
	v_and_b32_e32 v16, 7, v16
	v_cmp_eq_u16_e32 vcc, 0, v14
	v_cndmask_b32_e32 v10, v10, v16, vcc
	v_cndmask_b32_e32 v14, v15, v20, vcc
	v_mov_b32_e32 v15, 0x3b800000
	v_lshlrev_b32_e32 v10, 20, v10
	v_lshl_add_u32 v14, v14, 23, v15
	v_or3_b32 v10, v11, v14, v10
.LBB37_604:
	s_or_b64 exec, exec, s[6:7]
	s_movk_i32 s4, 0x7f
	v_cmp_gt_i16_sdwa s[6:7], v12, s4 src0_sel:BYTE_3 src1_sel:DWORD
	s_mov_b64 s[4:5], 0
                                        ; implicit-def: $sgpr10
	s_and_saveexec_b64 s[8:9], s[6:7]
	s_xor_b64 s[6:7], exec, s[8:9]
	s_cbranch_execnz .LBB37_2653
; %bb.605:
	s_or_saveexec_b64 s[6:7], s[6:7]
	v_mov_b32_e32 v11, s10
	s_xor_b64 exec, exec, s[6:7]
	s_cbranch_execnz .LBB37_2656
.LBB37_606:
	s_or_b64 exec, exec, s[6:7]
	s_and_saveexec_b64 s[6:7], s[4:5]
	s_cbranch_execz .LBB37_608
.LBB37_607:
	v_bfe_u32 v11, v12, 24, 3
	v_ffbh_u32_e32 v20, v11
	v_min_u32_e32 v20, 32, v20
	v_lshrrev_b32_e32 v15, 27, v12
	v_subrev_u32_e32 v21, 28, v20
	v_and_b32_e32 v14, 0x80000000, v12
	v_and_b32_e32 v15, 15, v15
	v_bfe_u32 v16, v12, 27, 4
	v_lshlrev_b32_sdwa v12, v21, v12 dst_sel:DWORD dst_unused:UNUSED_PAD src0_sel:DWORD src1_sel:BYTE_3
	v_sub_u32_e32 v20, 29, v20
	v_and_b32_e32 v12, 7, v12
	v_cmp_eq_u16_e32 vcc, 0, v15
	v_cndmask_b32_e32 v11, v11, v12, vcc
	v_cndmask_b32_e32 v12, v16, v20, vcc
	v_mov_b32_e32 v15, 0x3b800000
	v_lshlrev_b32_e32 v11, 20, v11
	v_lshl_add_u32 v12, v12, 23, v15
	v_or3_b32 v11, v14, v12, v11
.LBB37_608:
	s_or_b64 exec, exec, s[6:7]
	s_nop 0
	v_mfma_f32_16x16x4f32 a[0:3], v10, v11, a[0:3]
	s_movk_i32 s4, 0x7f
	v_cmp_gt_i16_sdwa s[6:7], v17, s4 src0_sel:BYTE_0 src1_sel:DWORD
	s_mov_b64 s[4:5], 0
                                        ; implicit-def: $sgpr10
	s_and_saveexec_b64 s[8:9], s[6:7]
	s_xor_b64 s[6:7], exec, s[8:9]
	s_cbranch_execnz .LBB37_2657
; %bb.609:
	s_or_saveexec_b64 s[6:7], s[6:7]
	v_mov_b32_e32 v10, s10
	s_xor_b64 exec, exec, s[6:7]
	s_cbranch_execnz .LBB37_2660
.LBB37_610:
	s_or_b64 exec, exec, s[6:7]
	s_and_saveexec_b64 s[6:7], s[4:5]
	s_cbranch_execz .LBB37_612
.LBB37_611:
	v_and_b32_e32 v10, 7, v17
	v_ffbh_u32_e32 v12, v10
	v_min_u32_e32 v12, 32, v12
	v_lshrrev_b16_e32 v11, 3, v17
	v_subrev_u32_e32 v14, 28, v12
	v_and_b32_e32 v11, 15, v11
	v_lshlrev_b32_e32 v14, v14, v17
	v_sub_u32_e32 v12, 29, v12
	v_and_b32_e32 v14, 7, v14
	v_cmp_eq_u16_e32 vcc, 0, v11
	v_cndmask_b32_e32 v10, v10, v14, vcc
	v_cndmask_b32_e32 v11, v11, v12, vcc
	v_lshlrev_b32_e32 v12, 24, v17
	v_mov_b32_e32 v14, 0x3b800000
	v_lshlrev_b32_e32 v10, 20, v10
	v_and_b32_e32 v12, 0x80000000, v12
	v_lshl_add_u32 v11, v11, 23, v14
	v_or3_b32 v10, v12, v11, v10
.LBB37_612:
	s_or_b64 exec, exec, s[6:7]
	s_movk_i32 s4, 0x7f
	v_cmp_gt_i16_sdwa s[6:7], v13, s4 src0_sel:BYTE_0 src1_sel:DWORD
	s_mov_b64 s[4:5], 0
                                        ; implicit-def: $sgpr10
	s_and_saveexec_b64 s[8:9], s[6:7]
	s_xor_b64 s[6:7], exec, s[8:9]
	s_cbranch_execnz .LBB37_2661
; %bb.613:
	s_or_saveexec_b64 s[6:7], s[6:7]
	v_mov_b32_e32 v11, s10
	s_xor_b64 exec, exec, s[6:7]
	s_cbranch_execnz .LBB37_2664
.LBB37_614:
	s_or_b64 exec, exec, s[6:7]
	s_and_saveexec_b64 s[6:7], s[4:5]
	s_cbranch_execz .LBB37_616
.LBB37_615:
	v_and_b32_e32 v11, 7, v13
	v_ffbh_u32_e32 v14, v11
	v_min_u32_e32 v14, 32, v14
	v_lshrrev_b16_e32 v12, 3, v13
	v_subrev_u32_e32 v15, 28, v14
	v_and_b32_e32 v12, 15, v12
	v_lshlrev_b32_e32 v15, v15, v13
	v_sub_u32_e32 v14, 29, v14
	v_and_b32_e32 v15, 7, v15
	v_cmp_eq_u16_e32 vcc, 0, v12
	v_cndmask_b32_e32 v11, v11, v15, vcc
	v_cndmask_b32_e32 v12, v12, v14, vcc
	v_lshlrev_b32_e32 v14, 24, v13
	v_mov_b32_e32 v15, 0x3b800000
	v_lshlrev_b32_e32 v11, 20, v11
	v_and_b32_e32 v14, 0x80000000, v14
	v_lshl_add_u32 v12, v12, 23, v15
	v_or3_b32 v11, v14, v12, v11
.LBB37_616:
	s_or_b64 exec, exec, s[6:7]
	s_nop 0
	v_mfma_f32_16x16x4f32 a[0:3], v10, v11, a[0:3]
	v_lshrrev_b32_e32 v11, 8, v17
	s_movk_i32 s4, 0x7f
	v_cmp_gt_i16_sdwa s[6:7], v11, s4 src0_sel:BYTE_0 src1_sel:DWORD
	s_mov_b64 s[4:5], 0
                                        ; implicit-def: $sgpr10
	s_and_saveexec_b64 s[8:9], s[6:7]
	s_xor_b64 s[6:7], exec, s[8:9]
	s_cbranch_execnz .LBB37_2665
; %bb.617:
	s_or_saveexec_b64 s[6:7], s[6:7]
	v_mov_b32_e32 v10, s10
	s_xor_b64 exec, exec, s[6:7]
	s_cbranch_execnz .LBB37_2668
.LBB37_618:
	s_or_b64 exec, exec, s[6:7]
	s_and_saveexec_b64 s[6:7], s[4:5]
	s_cbranch_execz .LBB37_620
.LBB37_619:
	v_bfe_u32 v10, v17, 8, 3
	v_ffbh_u32_e32 v14, v10
	v_min_u32_e32 v14, 32, v14
	v_lshrrev_b16_e32 v12, 3, v11
	v_subrev_u32_e32 v15, 28, v14
	v_and_b32_e32 v12, 15, v12
	v_lshlrev_b32_e32 v11, v15, v11
	v_sub_u32_e32 v14, 29, v14
	v_and_b32_e32 v11, 7, v11
	v_cmp_eq_u16_e32 vcc, 0, v12
	v_cndmask_b32_e32 v10, v10, v11, vcc
	v_cndmask_b32_e32 v11, v12, v14, vcc
	v_lshlrev_b32_e32 v12, 16, v17
	v_mov_b32_e32 v14, 0x3b800000
	v_lshlrev_b32_e32 v10, 20, v10
	v_and_b32_e32 v12, 0x80000000, v12
	v_lshl_add_u32 v11, v11, 23, v14
	v_or3_b32 v10, v12, v11, v10
.LBB37_620:
	s_or_b64 exec, exec, s[6:7]
	v_lshrrev_b32_e32 v11, 8, v13
	s_movk_i32 s4, 0x7f
	v_cmp_gt_i16_sdwa s[6:7], v11, s4 src0_sel:BYTE_0 src1_sel:DWORD
	s_mov_b64 s[4:5], 0
                                        ; implicit-def: $sgpr10
	s_and_saveexec_b64 s[8:9], s[6:7]
	s_xor_b64 s[6:7], exec, s[8:9]
	s_cbranch_execnz .LBB37_2669
; %bb.621:
	s_or_saveexec_b64 s[6:7], s[6:7]
	v_mov_b32_e32 v12, s10
	s_xor_b64 exec, exec, s[6:7]
	s_cbranch_execnz .LBB37_2672
.LBB37_622:
	s_or_b64 exec, exec, s[6:7]
	s_and_saveexec_b64 s[6:7], s[4:5]
	s_cbranch_execz .LBB37_624
.LBB37_623:
	v_bfe_u32 v12, v13, 8, 3
	v_ffbh_u32_e32 v15, v12
	v_min_u32_e32 v15, 32, v15
	v_lshrrev_b16_e32 v14, 3, v11
	v_subrev_u32_e32 v16, 28, v15
	v_and_b32_e32 v14, 15, v14
	v_lshlrev_b32_e32 v11, v16, v11
	v_sub_u32_e32 v15, 29, v15
	v_and_b32_e32 v11, 7, v11
	v_cmp_eq_u16_e32 vcc, 0, v14
	v_cndmask_b32_e32 v11, v12, v11, vcc
	v_cndmask_b32_e32 v12, v14, v15, vcc
	v_lshlrev_b32_e32 v14, 16, v13
	v_mov_b32_e32 v15, 0x3b800000
	v_lshlrev_b32_e32 v11, 20, v11
	v_and_b32_e32 v14, 0x80000000, v14
	v_lshl_add_u32 v12, v12, 23, v15
	v_or3_b32 v12, v14, v12, v11
.LBB37_624:
	s_or_b64 exec, exec, s[6:7]
	s_nop 0
	v_mfma_f32_16x16x4f32 a[0:3], v10, v12, a[0:3]
	s_movk_i32 s4, 0xff
	v_and_b32_sdwa v11, v17, s4 dst_sel:DWORD dst_unused:UNUSED_PAD src0_sel:WORD_1 src1_sel:DWORD
	s_movk_i32 s4, 0x7f
	v_cmp_lt_i16_e32 vcc, s4, v11
	s_mov_b64 s[4:5], 0
                                        ; implicit-def: $sgpr10
	s_and_saveexec_b64 s[6:7], vcc
	s_xor_b64 s[6:7], exec, s[6:7]
	s_cbranch_execnz .LBB37_2673
; %bb.625:
	s_or_saveexec_b64 s[6:7], s[6:7]
	v_mov_b32_e32 v10, s10
	s_xor_b64 exec, exec, s[6:7]
	s_cbranch_execnz .LBB37_2676
.LBB37_626:
	s_or_b64 exec, exec, s[6:7]
	s_and_saveexec_b64 s[6:7], s[4:5]
	s_cbranch_execz .LBB37_628
.LBB37_627:
	v_bfe_u32 v10, v17, 16, 3
	v_ffbh_u32_e32 v14, v10
	v_min_u32_e32 v14, 32, v14
	v_lshrrev_b32_e32 v11, 19, v17
	v_subrev_u32_e32 v15, 28, v14
	v_and_b32_e32 v11, 15, v11
	v_lshlrev_b32_sdwa v15, v15, v17 dst_sel:DWORD dst_unused:UNUSED_PAD src0_sel:DWORD src1_sel:WORD_1
	v_bfe_u32 v12, v17, 19, 4
	v_sub_u32_e32 v14, 29, v14
	v_and_b32_e32 v15, 7, v15
	v_cmp_eq_u16_e32 vcc, 0, v11
	v_cndmask_b32_e32 v10, v10, v15, vcc
	v_cndmask_b32_e32 v11, v12, v14, vcc
	v_lshlrev_b32_e32 v12, 8, v17
	v_mov_b32_e32 v14, 0x3b800000
	v_lshlrev_b32_e32 v10, 20, v10
	v_and_b32_e32 v12, 0x80000000, v12
	v_lshl_add_u32 v11, v11, 23, v14
	v_or3_b32 v10, v12, v11, v10
.LBB37_628:
	s_or_b64 exec, exec, s[6:7]
	s_movk_i32 s4, 0xff
	v_and_b32_sdwa v11, v13, s4 dst_sel:DWORD dst_unused:UNUSED_PAD src0_sel:WORD_1 src1_sel:DWORD
	s_movk_i32 s4, 0x7f
	v_cmp_lt_i16_e32 vcc, s4, v11
	s_mov_b64 s[4:5], 0
                                        ; implicit-def: $sgpr10
	s_and_saveexec_b64 s[6:7], vcc
	s_xor_b64 s[6:7], exec, s[6:7]
	s_cbranch_execnz .LBB37_2677
; %bb.629:
	s_or_saveexec_b64 s[6:7], s[6:7]
	v_mov_b32_e32 v12, s10
	s_xor_b64 exec, exec, s[6:7]
	s_cbranch_execnz .LBB37_2680
.LBB37_630:
	s_or_b64 exec, exec, s[6:7]
	s_and_saveexec_b64 s[6:7], s[4:5]
	s_cbranch_execz .LBB37_632
.LBB37_631:
	v_bfe_u32 v11, v13, 16, 3
	v_ffbh_u32_e32 v15, v11
	v_min_u32_e32 v15, 32, v15
	v_lshrrev_b32_e32 v12, 19, v13
	v_subrev_u32_e32 v16, 28, v15
	v_and_b32_e32 v12, 15, v12
	v_lshlrev_b32_sdwa v16, v16, v13 dst_sel:DWORD dst_unused:UNUSED_PAD src0_sel:DWORD src1_sel:WORD_1
	v_bfe_u32 v14, v13, 19, 4
	v_sub_u32_e32 v15, 29, v15
	v_and_b32_e32 v16, 7, v16
	v_cmp_eq_u16_e32 vcc, 0, v12
	v_cndmask_b32_e32 v11, v11, v16, vcc
	v_cndmask_b32_e32 v12, v14, v15, vcc
	v_lshlrev_b32_e32 v14, 8, v13
	v_mov_b32_e32 v15, 0x3b800000
	v_lshlrev_b32_e32 v11, 20, v11
	v_and_b32_e32 v14, 0x80000000, v14
	v_lshl_add_u32 v12, v12, 23, v15
	v_or3_b32 v12, v14, v12, v11
.LBB37_632:
	s_or_b64 exec, exec, s[6:7]
	s_nop 0
	v_mfma_f32_16x16x4f32 a[0:3], v10, v12, a[0:3]
	s_movk_i32 s4, 0x7f
	v_cmp_gt_i16_sdwa s[6:7], v17, s4 src0_sel:BYTE_3 src1_sel:DWORD
	s_mov_b64 s[4:5], 0
                                        ; implicit-def: $sgpr10
	s_and_saveexec_b64 s[8:9], s[6:7]
	s_xor_b64 s[6:7], exec, s[8:9]
	s_cbranch_execnz .LBB37_2681
; %bb.633:
	s_or_saveexec_b64 s[6:7], s[6:7]
	v_mov_b32_e32 v10, s10
	s_xor_b64 exec, exec, s[6:7]
	s_cbranch_execnz .LBB37_2684
.LBB37_634:
	s_or_b64 exec, exec, s[6:7]
	s_and_saveexec_b64 s[6:7], s[4:5]
	s_cbranch_execz .LBB37_636
.LBB37_635:
	v_bfe_u32 v10, v17, 24, 3
	v_ffbh_u32_e32 v15, v10
	v_min_u32_e32 v15, 32, v15
	v_lshrrev_b32_e32 v12, 27, v17
	v_subrev_u32_e32 v16, 28, v15
	v_and_b32_e32 v12, 15, v12
	v_lshlrev_b32_sdwa v16, v16, v17 dst_sel:DWORD dst_unused:UNUSED_PAD src0_sel:DWORD src1_sel:BYTE_3
	v_bfe_u32 v14, v17, 27, 4
	v_sub_u32_e32 v15, 29, v15
	v_and_b32_e32 v16, 7, v16
	v_cmp_eq_u16_e32 vcc, 0, v12
	v_cndmask_b32_e32 v10, v10, v16, vcc
	v_cndmask_b32_e32 v12, v14, v15, vcc
	v_mov_b32_e32 v14, 0x3b800000
	v_and_b32_e32 v11, 0x80000000, v17
	v_lshlrev_b32_e32 v10, 20, v10
	v_lshl_add_u32 v12, v12, 23, v14
	v_or3_b32 v10, v11, v12, v10
.LBB37_636:
	s_or_b64 exec, exec, s[6:7]
	s_movk_i32 s4, 0x7f
	v_cmp_gt_i16_sdwa s[6:7], v13, s4 src0_sel:BYTE_3 src1_sel:DWORD
	s_mov_b64 s[4:5], 0
                                        ; implicit-def: $sgpr10
	s_and_saveexec_b64 s[8:9], s[6:7]
	s_xor_b64 s[6:7], exec, s[8:9]
	s_cbranch_execnz .LBB37_2685
; %bb.637:
	s_or_saveexec_b64 s[6:7], s[6:7]
	v_mov_b32_e32 v11, s10
	s_xor_b64 exec, exec, s[6:7]
	s_cbranch_execnz .LBB37_2688
.LBB37_638:
	s_or_b64 exec, exec, s[6:7]
	s_and_saveexec_b64 s[6:7], s[4:5]
	s_cbranch_execz .LBB37_640
.LBB37_639:
	v_bfe_u32 v11, v13, 24, 3
	v_ffbh_u32_e32 v16, v11
	v_min_u32_e32 v16, 32, v16
	v_lshrrev_b32_e32 v14, 27, v13
	v_subrev_u32_e32 v17, 28, v16
	v_and_b32_e32 v12, 0x80000000, v13
	v_and_b32_e32 v14, 15, v14
	v_bfe_u32 v15, v13, 27, 4
	v_lshlrev_b32_sdwa v13, v17, v13 dst_sel:DWORD dst_unused:UNUSED_PAD src0_sel:DWORD src1_sel:BYTE_3
	v_sub_u32_e32 v16, 29, v16
	v_and_b32_e32 v13, 7, v13
	v_cmp_eq_u16_e32 vcc, 0, v14
	v_cndmask_b32_e32 v11, v11, v13, vcc
	v_cndmask_b32_e32 v13, v15, v16, vcc
	v_mov_b32_e32 v14, 0x3b800000
	v_lshlrev_b32_e32 v11, 20, v11
	v_lshl_add_u32 v13, v13, 23, v14
	v_or3_b32 v11, v12, v13, v11
.LBB37_640:
	s_or_b64 exec, exec, s[6:7]
	s_nop 0
	v_mfma_f32_16x16x4f32 a[0:3], v10, v11, a[0:3]
	s_movk_i32 s4, 0x7f
	v_cmp_gt_i16_sdwa s[6:7], v6, s4 src0_sel:BYTE_0 src1_sel:DWORD
	s_mov_b64 s[4:5], 0
                                        ; implicit-def: $sgpr10
	s_and_saveexec_b64 s[8:9], s[6:7]
	s_xor_b64 s[6:7], exec, s[8:9]
	s_cbranch_execnz .LBB37_2689
; %bb.641:
	s_or_saveexec_b64 s[6:7], s[6:7]
	v_mov_b32_e32 v10, s10
	s_xor_b64 exec, exec, s[6:7]
	s_cbranch_execnz .LBB37_2692
.LBB37_642:
	s_or_b64 exec, exec, s[6:7]
	s_and_saveexec_b64 s[6:7], s[4:5]
	s_cbranch_execz .LBB37_644
.LBB37_643:
	v_and_b32_e32 v10, 7, v6
	v_ffbh_u32_e32 v12, v10
	v_min_u32_e32 v12, 32, v12
	v_lshrrev_b16_e32 v11, 3, v6
	v_subrev_u32_e32 v13, 28, v12
	v_and_b32_e32 v11, 15, v11
	v_lshlrev_b32_e32 v13, v13, v6
	v_sub_u32_e32 v12, 29, v12
	v_and_b32_e32 v13, 7, v13
	v_cmp_eq_u16_e32 vcc, 0, v11
	v_cndmask_b32_e32 v10, v10, v13, vcc
	v_cndmask_b32_e32 v11, v11, v12, vcc
	v_lshlrev_b32_e32 v12, 24, v6
	v_mov_b32_e32 v13, 0x3b800000
	v_lshlrev_b32_e32 v10, 20, v10
	v_and_b32_e32 v12, 0x80000000, v12
	v_lshl_add_u32 v11, v11, 23, v13
	v_or3_b32 v10, v12, v11, v10
.LBB37_644:
	s_or_b64 exec, exec, s[6:7]
	s_movk_i32 s4, 0x7f
	v_cmp_gt_i16_sdwa s[6:7], v2, s4 src0_sel:BYTE_0 src1_sel:DWORD
	s_mov_b64 s[4:5], 0
                                        ; implicit-def: $sgpr10
	s_and_saveexec_b64 s[8:9], s[6:7]
	s_xor_b64 s[6:7], exec, s[8:9]
	s_cbranch_execnz .LBB37_2693
; %bb.645:
	s_or_saveexec_b64 s[6:7], s[6:7]
	v_mov_b32_e32 v11, s10
	s_xor_b64 exec, exec, s[6:7]
	s_cbranch_execnz .LBB37_2696
.LBB37_646:
	s_or_b64 exec, exec, s[6:7]
	s_and_saveexec_b64 s[6:7], s[4:5]
	s_cbranch_execz .LBB37_648
.LBB37_647:
	v_and_b32_e32 v11, 7, v2
	v_ffbh_u32_e32 v13, v11
	v_min_u32_e32 v13, 32, v13
	v_lshrrev_b16_e32 v12, 3, v2
	v_subrev_u32_e32 v14, 28, v13
	v_and_b32_e32 v12, 15, v12
	v_lshlrev_b32_e32 v14, v14, v2
	v_sub_u32_e32 v13, 29, v13
	v_and_b32_e32 v14, 7, v14
	v_cmp_eq_u16_e32 vcc, 0, v12
	v_cndmask_b32_e32 v11, v11, v14, vcc
	v_cndmask_b32_e32 v12, v12, v13, vcc
	v_lshlrev_b32_e32 v13, 24, v2
	v_mov_b32_e32 v14, 0x3b800000
	v_lshlrev_b32_e32 v11, 20, v11
	v_and_b32_e32 v13, 0x80000000, v13
	v_lshl_add_u32 v12, v12, 23, v14
	v_or3_b32 v11, v13, v12, v11
.LBB37_648:
	s_or_b64 exec, exec, s[6:7]
	s_nop 0
	v_mfma_f32_16x16x4f32 a[0:3], v10, v11, a[0:3]
	v_lshrrev_b32_e32 v11, 8, v6
	s_movk_i32 s4, 0x7f
	v_cmp_gt_i16_sdwa s[6:7], v11, s4 src0_sel:BYTE_0 src1_sel:DWORD
	s_mov_b64 s[4:5], 0
                                        ; implicit-def: $sgpr10
	s_and_saveexec_b64 s[8:9], s[6:7]
	s_xor_b64 s[6:7], exec, s[8:9]
	s_cbranch_execnz .LBB37_2697
; %bb.649:
	s_or_saveexec_b64 s[6:7], s[6:7]
	v_mov_b32_e32 v10, s10
	s_xor_b64 exec, exec, s[6:7]
	s_cbranch_execnz .LBB37_2700
.LBB37_650:
	s_or_b64 exec, exec, s[6:7]
	s_and_saveexec_b64 s[6:7], s[4:5]
	s_cbranch_execz .LBB37_652
.LBB37_651:
	v_bfe_u32 v10, v6, 8, 3
	v_ffbh_u32_e32 v13, v10
	v_min_u32_e32 v13, 32, v13
	v_lshrrev_b16_e32 v12, 3, v11
	v_subrev_u32_e32 v14, 28, v13
	v_and_b32_e32 v12, 15, v12
	v_lshlrev_b32_e32 v11, v14, v11
	v_sub_u32_e32 v13, 29, v13
	v_and_b32_e32 v11, 7, v11
	v_cmp_eq_u16_e32 vcc, 0, v12
	v_cndmask_b32_e32 v10, v10, v11, vcc
	v_cndmask_b32_e32 v11, v12, v13, vcc
	v_lshlrev_b32_e32 v12, 16, v6
	v_mov_b32_e32 v13, 0x3b800000
	v_lshlrev_b32_e32 v10, 20, v10
	v_and_b32_e32 v12, 0x80000000, v12
	v_lshl_add_u32 v11, v11, 23, v13
	v_or3_b32 v10, v12, v11, v10
.LBB37_652:
	s_or_b64 exec, exec, s[6:7]
	v_lshrrev_b32_e32 v11, 8, v2
	s_movk_i32 s4, 0x7f
	v_cmp_gt_i16_sdwa s[6:7], v11, s4 src0_sel:BYTE_0 src1_sel:DWORD
	s_mov_b64 s[4:5], 0
                                        ; implicit-def: $sgpr10
	s_and_saveexec_b64 s[8:9], s[6:7]
	s_xor_b64 s[6:7], exec, s[8:9]
	s_cbranch_execnz .LBB37_2701
; %bb.653:
	s_or_saveexec_b64 s[6:7], s[6:7]
	v_mov_b32_e32 v12, s10
	s_xor_b64 exec, exec, s[6:7]
	s_cbranch_execnz .LBB37_2704
.LBB37_654:
	s_or_b64 exec, exec, s[6:7]
	s_and_saveexec_b64 s[6:7], s[4:5]
	s_cbranch_execz .LBB37_656
.LBB37_655:
	v_bfe_u32 v12, v2, 8, 3
	v_ffbh_u32_e32 v14, v12
	v_min_u32_e32 v14, 32, v14
	v_lshrrev_b16_e32 v13, 3, v11
	v_subrev_u32_e32 v15, 28, v14
	v_and_b32_e32 v13, 15, v13
	v_lshlrev_b32_e32 v11, v15, v11
	v_sub_u32_e32 v14, 29, v14
	v_and_b32_e32 v11, 7, v11
	v_cmp_eq_u16_e32 vcc, 0, v13
	v_cndmask_b32_e32 v11, v12, v11, vcc
	v_cndmask_b32_e32 v12, v13, v14, vcc
	v_lshlrev_b32_e32 v13, 16, v2
	v_mov_b32_e32 v14, 0x3b800000
	v_lshlrev_b32_e32 v11, 20, v11
	v_and_b32_e32 v13, 0x80000000, v13
	v_lshl_add_u32 v12, v12, 23, v14
	v_or3_b32 v12, v13, v12, v11
.LBB37_656:
	s_or_b64 exec, exec, s[6:7]
	s_nop 0
	v_mfma_f32_16x16x4f32 a[0:3], v10, v12, a[0:3]
	s_movk_i32 s4, 0xff
	v_and_b32_sdwa v11, v6, s4 dst_sel:DWORD dst_unused:UNUSED_PAD src0_sel:WORD_1 src1_sel:DWORD
	s_movk_i32 s4, 0x7f
	v_cmp_lt_i16_e32 vcc, s4, v11
	s_mov_b64 s[4:5], 0
                                        ; implicit-def: $sgpr10
	s_and_saveexec_b64 s[6:7], vcc
	s_xor_b64 s[6:7], exec, s[6:7]
	s_cbranch_execnz .LBB37_2705
; %bb.657:
	s_or_saveexec_b64 s[6:7], s[6:7]
	v_mov_b32_e32 v10, s10
	s_xor_b64 exec, exec, s[6:7]
	s_cbranch_execnz .LBB37_2708
.LBB37_658:
	s_or_b64 exec, exec, s[6:7]
	s_and_saveexec_b64 s[6:7], s[4:5]
	s_cbranch_execz .LBB37_660
.LBB37_659:
	v_bfe_u32 v10, v6, 16, 3
	v_ffbh_u32_e32 v13, v10
	v_min_u32_e32 v13, 32, v13
	v_lshrrev_b32_e32 v11, 19, v6
	v_subrev_u32_e32 v14, 28, v13
	v_and_b32_e32 v11, 15, v11
	v_lshlrev_b32_sdwa v14, v14, v6 dst_sel:DWORD dst_unused:UNUSED_PAD src0_sel:DWORD src1_sel:WORD_1
	v_bfe_u32 v12, v6, 19, 4
	v_sub_u32_e32 v13, 29, v13
	v_and_b32_e32 v14, 7, v14
	v_cmp_eq_u16_e32 vcc, 0, v11
	v_cndmask_b32_e32 v10, v10, v14, vcc
	v_cndmask_b32_e32 v11, v12, v13, vcc
	v_lshlrev_b32_e32 v12, 8, v6
	v_mov_b32_e32 v13, 0x3b800000
	v_lshlrev_b32_e32 v10, 20, v10
	v_and_b32_e32 v12, 0x80000000, v12
	v_lshl_add_u32 v11, v11, 23, v13
	v_or3_b32 v10, v12, v11, v10
.LBB37_660:
	s_or_b64 exec, exec, s[6:7]
	s_movk_i32 s4, 0xff
	v_and_b32_sdwa v11, v2, s4 dst_sel:DWORD dst_unused:UNUSED_PAD src0_sel:WORD_1 src1_sel:DWORD
	s_movk_i32 s4, 0x7f
	v_cmp_lt_i16_e32 vcc, s4, v11
	s_mov_b64 s[4:5], 0
                                        ; implicit-def: $sgpr10
	s_and_saveexec_b64 s[6:7], vcc
	s_xor_b64 s[6:7], exec, s[6:7]
	s_cbranch_execnz .LBB37_2709
; %bb.661:
	s_or_saveexec_b64 s[6:7], s[6:7]
	v_mov_b32_e32 v12, s10
	s_xor_b64 exec, exec, s[6:7]
	s_cbranch_execnz .LBB37_2712
.LBB37_662:
	s_or_b64 exec, exec, s[6:7]
	s_and_saveexec_b64 s[6:7], s[4:5]
	s_cbranch_execz .LBB37_664
.LBB37_663:
	v_bfe_u32 v11, v2, 16, 3
	v_ffbh_u32_e32 v14, v11
	v_min_u32_e32 v14, 32, v14
	v_lshrrev_b32_e32 v12, 19, v2
	v_subrev_u32_e32 v15, 28, v14
	v_and_b32_e32 v12, 15, v12
	v_lshlrev_b32_sdwa v15, v15, v2 dst_sel:DWORD dst_unused:UNUSED_PAD src0_sel:DWORD src1_sel:WORD_1
	v_bfe_u32 v13, v2, 19, 4
	v_sub_u32_e32 v14, 29, v14
	v_and_b32_e32 v15, 7, v15
	v_cmp_eq_u16_e32 vcc, 0, v12
	v_cndmask_b32_e32 v11, v11, v15, vcc
	v_cndmask_b32_e32 v12, v13, v14, vcc
	v_lshlrev_b32_e32 v13, 8, v2
	v_mov_b32_e32 v14, 0x3b800000
	v_lshlrev_b32_e32 v11, 20, v11
	v_and_b32_e32 v13, 0x80000000, v13
	v_lshl_add_u32 v12, v12, 23, v14
	v_or3_b32 v12, v13, v12, v11
.LBB37_664:
	s_or_b64 exec, exec, s[6:7]
	s_nop 0
	v_mfma_f32_16x16x4f32 a[0:3], v10, v12, a[0:3]
	s_movk_i32 s4, 0x7f
	v_cmp_gt_i16_sdwa s[6:7], v6, s4 src0_sel:BYTE_3 src1_sel:DWORD
	s_mov_b64 s[4:5], 0
                                        ; implicit-def: $sgpr10
	s_and_saveexec_b64 s[8:9], s[6:7]
	s_xor_b64 s[6:7], exec, s[8:9]
	s_cbranch_execnz .LBB37_2713
; %bb.665:
	s_or_saveexec_b64 s[6:7], s[6:7]
	v_mov_b32_e32 v10, s10
	s_xor_b64 exec, exec, s[6:7]
	s_cbranch_execnz .LBB37_2716
.LBB37_666:
	s_or_b64 exec, exec, s[6:7]
	s_and_saveexec_b64 s[6:7], s[4:5]
	s_cbranch_execz .LBB37_668
.LBB37_667:
	v_bfe_u32 v10, v6, 24, 3
	v_ffbh_u32_e32 v14, v10
	v_min_u32_e32 v14, 32, v14
	v_lshrrev_b32_e32 v12, 27, v6
	v_subrev_u32_e32 v15, 28, v14
	v_and_b32_e32 v11, 0x80000000, v6
	v_and_b32_e32 v12, 15, v12
	v_bfe_u32 v13, v6, 27, 4
	v_lshlrev_b32_sdwa v6, v15, v6 dst_sel:DWORD dst_unused:UNUSED_PAD src0_sel:DWORD src1_sel:BYTE_3
	v_sub_u32_e32 v14, 29, v14
	v_and_b32_e32 v6, 7, v6
	v_cmp_eq_u16_e32 vcc, 0, v12
	v_cndmask_b32_e32 v6, v10, v6, vcc
	v_cndmask_b32_e32 v10, v13, v14, vcc
	v_mov_b32_e32 v12, 0x3b800000
	v_lshlrev_b32_e32 v6, 20, v6
	v_lshl_add_u32 v10, v10, 23, v12
	v_or3_b32 v10, v11, v10, v6
.LBB37_668:
	s_or_b64 exec, exec, s[6:7]
	s_movk_i32 s4, 0x7f
	v_cmp_gt_i16_sdwa s[6:7], v2, s4 src0_sel:BYTE_3 src1_sel:DWORD
	s_mov_b64 s[4:5], 0
                                        ; implicit-def: $sgpr10
	s_and_saveexec_b64 s[8:9], s[6:7]
	s_xor_b64 s[6:7], exec, s[8:9]
	s_cbranch_execnz .LBB37_2717
; %bb.669:
	s_or_saveexec_b64 s[6:7], s[6:7]
	v_mov_b32_e32 v6, s10
	s_xor_b64 exec, exec, s[6:7]
	s_cbranch_execnz .LBB37_2720
.LBB37_670:
	s_or_b64 exec, exec, s[6:7]
	s_and_saveexec_b64 s[6:7], s[4:5]
	s_cbranch_execz .LBB37_672
.LBB37_671:
	v_bfe_u32 v6, v2, 24, 3
	v_ffbh_u32_e32 v14, v6
	v_min_u32_e32 v14, 32, v14
	v_lshrrev_b32_e32 v12, 27, v2
	v_subrev_u32_e32 v15, 28, v14
	v_and_b32_e32 v11, 0x80000000, v2
	v_and_b32_e32 v12, 15, v12
	v_bfe_u32 v13, v2, 27, 4
	v_lshlrev_b32_sdwa v2, v15, v2 dst_sel:DWORD dst_unused:UNUSED_PAD src0_sel:DWORD src1_sel:BYTE_3
	v_sub_u32_e32 v14, 29, v14
	v_and_b32_e32 v2, 7, v2
	v_cmp_eq_u16_e32 vcc, 0, v12
	v_cndmask_b32_e32 v2, v6, v2, vcc
	v_cndmask_b32_e32 v6, v13, v14, vcc
	v_mov_b32_e32 v12, 0x3b800000
	v_lshlrev_b32_e32 v2, 20, v2
	v_lshl_add_u32 v6, v6, 23, v12
	v_or3_b32 v6, v11, v6, v2
.LBB37_672:
	s_or_b64 exec, exec, s[6:7]
	s_nop 0
	v_mfma_f32_16x16x4f32 a[0:3], v10, v6, a[0:3]
	s_movk_i32 s4, 0x7f
	v_cmp_gt_i16_sdwa s[6:7], v7, s4 src0_sel:BYTE_0 src1_sel:DWORD
	s_mov_b64 s[4:5], 0
                                        ; implicit-def: $sgpr10
	s_and_saveexec_b64 s[8:9], s[6:7]
	s_xor_b64 s[6:7], exec, s[8:9]
	s_cbranch_execnz .LBB37_2721
; %bb.673:
	s_or_saveexec_b64 s[6:7], s[6:7]
	v_mov_b32_e32 v2, s10
	s_xor_b64 exec, exec, s[6:7]
	s_cbranch_execnz .LBB37_2724
.LBB37_674:
	s_or_b64 exec, exec, s[6:7]
	s_and_saveexec_b64 s[6:7], s[4:5]
	s_cbranch_execz .LBB37_676
.LBB37_675:
	v_and_b32_e32 v2, 7, v7
	v_ffbh_u32_e32 v10, v2
	v_min_u32_e32 v10, 32, v10
	v_lshrrev_b16_e32 v6, 3, v7
	v_subrev_u32_e32 v11, 28, v10
	v_and_b32_e32 v6, 15, v6
	v_lshlrev_b32_e32 v11, v11, v7
	v_sub_u32_e32 v10, 29, v10
	v_and_b32_e32 v11, 7, v11
	v_cmp_eq_u16_e32 vcc, 0, v6
	v_cndmask_b32_e32 v2, v2, v11, vcc
	v_cndmask_b32_e32 v6, v6, v10, vcc
	v_lshlrev_b32_e32 v10, 24, v7
	v_mov_b32_e32 v11, 0x3b800000
	v_lshlrev_b32_e32 v2, 20, v2
	v_and_b32_e32 v10, 0x80000000, v10
	v_lshl_add_u32 v6, v6, 23, v11
	v_or3_b32 v2, v10, v6, v2
.LBB37_676:
	s_or_b64 exec, exec, s[6:7]
	s_movk_i32 s4, 0x7f
	v_cmp_gt_i16_sdwa s[6:7], v3, s4 src0_sel:BYTE_0 src1_sel:DWORD
	s_mov_b64 s[4:5], 0
                                        ; implicit-def: $sgpr10
	s_and_saveexec_b64 s[8:9], s[6:7]
	s_xor_b64 s[6:7], exec, s[8:9]
	s_cbranch_execnz .LBB37_2725
; %bb.677:
	s_or_saveexec_b64 s[6:7], s[6:7]
	v_mov_b32_e32 v6, s10
	s_xor_b64 exec, exec, s[6:7]
	s_cbranch_execnz .LBB37_2728
.LBB37_678:
	s_or_b64 exec, exec, s[6:7]
	s_and_saveexec_b64 s[6:7], s[4:5]
	s_cbranch_execz .LBB37_680
.LBB37_679:
	v_and_b32_e32 v6, 7, v3
	v_ffbh_u32_e32 v11, v6
	v_min_u32_e32 v11, 32, v11
	v_lshrrev_b16_e32 v10, 3, v3
	v_subrev_u32_e32 v12, 28, v11
	v_and_b32_e32 v10, 15, v10
	v_lshlrev_b32_e32 v12, v12, v3
	v_sub_u32_e32 v11, 29, v11
	v_and_b32_e32 v12, 7, v12
	v_cmp_eq_u16_e32 vcc, 0, v10
	v_cndmask_b32_e32 v6, v6, v12, vcc
	v_cndmask_b32_e32 v10, v10, v11, vcc
	v_lshlrev_b32_e32 v11, 24, v3
	v_mov_b32_e32 v12, 0x3b800000
	v_lshlrev_b32_e32 v6, 20, v6
	v_and_b32_e32 v11, 0x80000000, v11
	v_lshl_add_u32 v10, v10, 23, v12
	v_or3_b32 v6, v11, v10, v6
.LBB37_680:
	s_or_b64 exec, exec, s[6:7]
	s_nop 0
	v_mfma_f32_16x16x4f32 a[0:3], v2, v6, a[0:3]
	v_lshrrev_b32_e32 v6, 8, v7
	s_movk_i32 s4, 0x7f
	v_cmp_gt_i16_sdwa s[6:7], v6, s4 src0_sel:BYTE_0 src1_sel:DWORD
	s_mov_b64 s[4:5], 0
                                        ; implicit-def: $sgpr10
	s_and_saveexec_b64 s[8:9], s[6:7]
	s_xor_b64 s[6:7], exec, s[8:9]
	s_cbranch_execnz .LBB37_2729
; %bb.681:
	s_or_saveexec_b64 s[6:7], s[6:7]
	v_mov_b32_e32 v2, s10
	s_xor_b64 exec, exec, s[6:7]
	s_cbranch_execnz .LBB37_2732
.LBB37_682:
	s_or_b64 exec, exec, s[6:7]
	s_and_saveexec_b64 s[6:7], s[4:5]
	s_cbranch_execz .LBB37_684
.LBB37_683:
	v_bfe_u32 v2, v7, 8, 3
	v_ffbh_u32_e32 v11, v2
	v_min_u32_e32 v11, 32, v11
	v_lshrrev_b16_e32 v10, 3, v6
	v_subrev_u32_e32 v12, 28, v11
	v_and_b32_e32 v10, 15, v10
	v_lshlrev_b32_e32 v6, v12, v6
	v_sub_u32_e32 v11, 29, v11
	v_and_b32_e32 v6, 7, v6
	v_cmp_eq_u16_e32 vcc, 0, v10
	v_cndmask_b32_e32 v2, v2, v6, vcc
	v_cndmask_b32_e32 v6, v10, v11, vcc
	v_lshlrev_b32_e32 v10, 16, v7
	v_mov_b32_e32 v11, 0x3b800000
	v_lshlrev_b32_e32 v2, 20, v2
	v_and_b32_e32 v10, 0x80000000, v10
	v_lshl_add_u32 v6, v6, 23, v11
	v_or3_b32 v2, v10, v6, v2
.LBB37_684:
	s_or_b64 exec, exec, s[6:7]
	v_lshrrev_b32_e32 v6, 8, v3
	s_movk_i32 s4, 0x7f
	v_cmp_gt_i16_sdwa s[6:7], v6, s4 src0_sel:BYTE_0 src1_sel:DWORD
	s_mov_b64 s[4:5], 0
                                        ; implicit-def: $sgpr10
	s_and_saveexec_b64 s[8:9], s[6:7]
	s_xor_b64 s[6:7], exec, s[8:9]
	s_cbranch_execnz .LBB37_2733
; %bb.685:
	s_or_saveexec_b64 s[6:7], s[6:7]
	v_mov_b32_e32 v10, s10
	s_xor_b64 exec, exec, s[6:7]
	s_cbranch_execnz .LBB37_2736
.LBB37_686:
	s_or_b64 exec, exec, s[6:7]
	s_and_saveexec_b64 s[6:7], s[4:5]
	s_cbranch_execz .LBB37_688
.LBB37_687:
	v_bfe_u32 v10, v3, 8, 3
	v_ffbh_u32_e32 v12, v10
	v_min_u32_e32 v12, 32, v12
	v_lshrrev_b16_e32 v11, 3, v6
	v_subrev_u32_e32 v13, 28, v12
	v_and_b32_e32 v11, 15, v11
	v_lshlrev_b32_e32 v6, v13, v6
	v_sub_u32_e32 v12, 29, v12
	v_and_b32_e32 v6, 7, v6
	v_cmp_eq_u16_e32 vcc, 0, v11
	v_cndmask_b32_e32 v6, v10, v6, vcc
	v_cndmask_b32_e32 v10, v11, v12, vcc
	v_lshlrev_b32_e32 v11, 16, v3
	v_mov_b32_e32 v12, 0x3b800000
	v_lshlrev_b32_e32 v6, 20, v6
	v_and_b32_e32 v11, 0x80000000, v11
	v_lshl_add_u32 v10, v10, 23, v12
	v_or3_b32 v10, v11, v10, v6
.LBB37_688:
	s_or_b64 exec, exec, s[6:7]
	s_nop 0
	v_mfma_f32_16x16x4f32 a[0:3], v2, v10, a[0:3]
	s_movk_i32 s4, 0xff
	v_and_b32_sdwa v6, v7, s4 dst_sel:DWORD dst_unused:UNUSED_PAD src0_sel:WORD_1 src1_sel:DWORD
	s_movk_i32 s4, 0x7f
	v_cmp_lt_i16_e32 vcc, s4, v6
	s_mov_b64 s[4:5], 0
                                        ; implicit-def: $sgpr10
	s_and_saveexec_b64 s[6:7], vcc
	s_xor_b64 s[6:7], exec, s[6:7]
	s_cbranch_execnz .LBB37_2737
; %bb.689:
	s_or_saveexec_b64 s[6:7], s[6:7]
	v_mov_b32_e32 v2, s10
	s_xor_b64 exec, exec, s[6:7]
	s_cbranch_execnz .LBB37_2740
.LBB37_690:
	s_or_b64 exec, exec, s[6:7]
	s_and_saveexec_b64 s[6:7], s[4:5]
	s_cbranch_execz .LBB37_692
.LBB37_691:
	v_bfe_u32 v2, v7, 16, 3
	v_ffbh_u32_e32 v11, v2
	v_min_u32_e32 v11, 32, v11
	v_lshrrev_b32_e32 v6, 19, v7
	v_subrev_u32_e32 v12, 28, v11
	v_and_b32_e32 v6, 15, v6
	v_lshlrev_b32_sdwa v12, v12, v7 dst_sel:DWORD dst_unused:UNUSED_PAD src0_sel:DWORD src1_sel:WORD_1
	v_bfe_u32 v10, v7, 19, 4
	v_sub_u32_e32 v11, 29, v11
	v_and_b32_e32 v12, 7, v12
	v_cmp_eq_u16_e32 vcc, 0, v6
	v_cndmask_b32_e32 v2, v2, v12, vcc
	v_cndmask_b32_e32 v6, v10, v11, vcc
	v_lshlrev_b32_e32 v10, 8, v7
	v_mov_b32_e32 v11, 0x3b800000
	v_lshlrev_b32_e32 v2, 20, v2
	v_and_b32_e32 v10, 0x80000000, v10
	v_lshl_add_u32 v6, v6, 23, v11
	v_or3_b32 v2, v10, v6, v2
.LBB37_692:
	s_or_b64 exec, exec, s[6:7]
	s_movk_i32 s4, 0xff
	v_and_b32_sdwa v6, v3, s4 dst_sel:DWORD dst_unused:UNUSED_PAD src0_sel:WORD_1 src1_sel:DWORD
	s_movk_i32 s4, 0x7f
	v_cmp_lt_i16_e32 vcc, s4, v6
	s_mov_b64 s[4:5], 0
                                        ; implicit-def: $sgpr10
	s_and_saveexec_b64 s[6:7], vcc
	s_xor_b64 s[6:7], exec, s[6:7]
	s_cbranch_execnz .LBB37_2741
; %bb.693:
	s_or_saveexec_b64 s[6:7], s[6:7]
	v_mov_b32_e32 v10, s10
	s_xor_b64 exec, exec, s[6:7]
	s_cbranch_execnz .LBB37_2744
.LBB37_694:
	s_or_b64 exec, exec, s[6:7]
	s_and_saveexec_b64 s[6:7], s[4:5]
	s_cbranch_execz .LBB37_696
.LBB37_695:
	v_bfe_u32 v6, v3, 16, 3
	v_ffbh_u32_e32 v12, v6
	v_min_u32_e32 v12, 32, v12
	v_lshrrev_b32_e32 v10, 19, v3
	v_subrev_u32_e32 v13, 28, v12
	v_and_b32_e32 v10, 15, v10
	v_lshlrev_b32_sdwa v13, v13, v3 dst_sel:DWORD dst_unused:UNUSED_PAD src0_sel:DWORD src1_sel:WORD_1
	v_bfe_u32 v11, v3, 19, 4
	v_sub_u32_e32 v12, 29, v12
	v_and_b32_e32 v13, 7, v13
	v_cmp_eq_u16_e32 vcc, 0, v10
	v_cndmask_b32_e32 v6, v6, v13, vcc
	v_cndmask_b32_e32 v10, v11, v12, vcc
	v_lshlrev_b32_e32 v11, 8, v3
	v_mov_b32_e32 v12, 0x3b800000
	v_lshlrev_b32_e32 v6, 20, v6
	v_and_b32_e32 v11, 0x80000000, v11
	v_lshl_add_u32 v10, v10, 23, v12
	v_or3_b32 v10, v11, v10, v6
.LBB37_696:
	s_or_b64 exec, exec, s[6:7]
	s_nop 0
	v_mfma_f32_16x16x4f32 a[0:3], v2, v10, a[0:3]
	s_movk_i32 s4, 0x7f
	v_cmp_gt_i16_sdwa s[6:7], v7, s4 src0_sel:BYTE_3 src1_sel:DWORD
	s_mov_b64 s[4:5], 0
                                        ; implicit-def: $sgpr10
	s_and_saveexec_b64 s[8:9], s[6:7]
	s_xor_b64 s[6:7], exec, s[8:9]
	s_cbranch_execnz .LBB37_2745
; %bb.697:
	s_or_saveexec_b64 s[6:7], s[6:7]
	v_mov_b32_e32 v2, s10
	s_xor_b64 exec, exec, s[6:7]
	s_cbranch_execnz .LBB37_2748
.LBB37_698:
	s_or_b64 exec, exec, s[6:7]
	s_and_saveexec_b64 s[6:7], s[4:5]
	s_cbranch_execz .LBB37_700
.LBB37_699:
	v_bfe_u32 v2, v7, 24, 3
	v_ffbh_u32_e32 v12, v2
	v_min_u32_e32 v12, 32, v12
	v_lshrrev_b32_e32 v10, 27, v7
	v_subrev_u32_e32 v13, 28, v12
	v_and_b32_e32 v6, 0x80000000, v7
	v_and_b32_e32 v10, 15, v10
	v_bfe_u32 v11, v7, 27, 4
	v_lshlrev_b32_sdwa v7, v13, v7 dst_sel:DWORD dst_unused:UNUSED_PAD src0_sel:DWORD src1_sel:BYTE_3
	v_sub_u32_e32 v12, 29, v12
	v_and_b32_e32 v7, 7, v7
	v_cmp_eq_u16_e32 vcc, 0, v10
	v_cndmask_b32_e32 v2, v2, v7, vcc
	v_cndmask_b32_e32 v7, v11, v12, vcc
	v_mov_b32_e32 v10, 0x3b800000
	v_lshlrev_b32_e32 v2, 20, v2
	v_lshl_add_u32 v7, v7, 23, v10
	v_or3_b32 v2, v6, v7, v2
.LBB37_700:
	s_or_b64 exec, exec, s[6:7]
	s_movk_i32 s4, 0x7f
	v_cmp_gt_i16_sdwa s[6:7], v3, s4 src0_sel:BYTE_3 src1_sel:DWORD
	s_mov_b64 s[4:5], 0
                                        ; implicit-def: $sgpr10
	s_and_saveexec_b64 s[8:9], s[6:7]
	s_xor_b64 s[6:7], exec, s[8:9]
	s_cbranch_execnz .LBB37_2749
; %bb.701:
	s_or_saveexec_b64 s[6:7], s[6:7]
	v_mov_b32_e32 v6, s10
	s_xor_b64 exec, exec, s[6:7]
	s_cbranch_execnz .LBB37_2752
.LBB37_702:
	s_or_b64 exec, exec, s[6:7]
	s_and_saveexec_b64 s[6:7], s[4:5]
	s_cbranch_execz .LBB37_704
.LBB37_703:
	v_bfe_u32 v6, v3, 24, 3
	v_ffbh_u32_e32 v12, v6
	v_min_u32_e32 v12, 32, v12
	v_lshrrev_b32_e32 v10, 27, v3
	v_subrev_u32_e32 v13, 28, v12
	v_and_b32_e32 v7, 0x80000000, v3
	v_and_b32_e32 v10, 15, v10
	v_bfe_u32 v11, v3, 27, 4
	v_lshlrev_b32_sdwa v3, v13, v3 dst_sel:DWORD dst_unused:UNUSED_PAD src0_sel:DWORD src1_sel:BYTE_3
	v_sub_u32_e32 v12, 29, v12
	v_and_b32_e32 v3, 7, v3
	v_cmp_eq_u16_e32 vcc, 0, v10
	v_cndmask_b32_e32 v3, v6, v3, vcc
	v_cndmask_b32_e32 v6, v11, v12, vcc
	v_mov_b32_e32 v10, 0x3b800000
	v_lshlrev_b32_e32 v3, 20, v3
	v_lshl_add_u32 v6, v6, 23, v10
	v_or3_b32 v6, v7, v6, v3
.LBB37_704:
	s_or_b64 exec, exec, s[6:7]
	s_nop 0
	v_mfma_f32_16x16x4f32 a[0:3], v2, v6, a[0:3]
	s_movk_i32 s4, 0x7f
	v_cmp_gt_i16_sdwa s[6:7], v8, s4 src0_sel:BYTE_0 src1_sel:DWORD
	s_mov_b64 s[4:5], 0
                                        ; implicit-def: $sgpr10
	s_and_saveexec_b64 s[8:9], s[6:7]
	s_xor_b64 s[6:7], exec, s[8:9]
	s_cbranch_execnz .LBB37_2753
; %bb.705:
	s_or_saveexec_b64 s[6:7], s[6:7]
	v_mov_b32_e32 v2, s10
	s_xor_b64 exec, exec, s[6:7]
	s_cbranch_execnz .LBB37_2756
.LBB37_706:
	s_or_b64 exec, exec, s[6:7]
	s_and_saveexec_b64 s[6:7], s[4:5]
	s_cbranch_execz .LBB37_708
.LBB37_707:
	v_and_b32_e32 v2, 7, v8
	v_ffbh_u32_e32 v6, v2
	v_min_u32_e32 v6, 32, v6
	v_lshrrev_b16_e32 v3, 3, v8
	v_subrev_u32_e32 v7, 28, v6
	v_and_b32_e32 v3, 15, v3
	v_lshlrev_b32_e32 v7, v7, v8
	v_sub_u32_e32 v6, 29, v6
	v_and_b32_e32 v7, 7, v7
	v_cmp_eq_u16_e32 vcc, 0, v3
	v_cndmask_b32_e32 v2, v2, v7, vcc
	v_cndmask_b32_e32 v3, v3, v6, vcc
	v_lshlrev_b32_e32 v6, 24, v8
	v_mov_b32_e32 v7, 0x3b800000
	v_lshlrev_b32_e32 v2, 20, v2
	v_and_b32_e32 v6, 0x80000000, v6
	v_lshl_add_u32 v3, v3, 23, v7
	v_or3_b32 v2, v6, v3, v2
.LBB37_708:
	s_or_b64 exec, exec, s[6:7]
	s_movk_i32 s4, 0x7f
	v_cmp_gt_i16_sdwa s[6:7], v4, s4 src0_sel:BYTE_0 src1_sel:DWORD
	s_mov_b64 s[4:5], 0
                                        ; implicit-def: $sgpr10
	s_and_saveexec_b64 s[8:9], s[6:7]
	s_xor_b64 s[6:7], exec, s[8:9]
	s_cbranch_execnz .LBB37_2757
; %bb.709:
	s_or_saveexec_b64 s[6:7], s[6:7]
	v_mov_b32_e32 v3, s10
	s_xor_b64 exec, exec, s[6:7]
	s_cbranch_execnz .LBB37_2760
.LBB37_710:
	s_or_b64 exec, exec, s[6:7]
	s_and_saveexec_b64 s[6:7], s[4:5]
	s_cbranch_execz .LBB37_712
.LBB37_711:
	v_and_b32_e32 v3, 7, v4
	v_ffbh_u32_e32 v7, v3
	v_min_u32_e32 v7, 32, v7
	v_lshrrev_b16_e32 v6, 3, v4
	v_subrev_u32_e32 v10, 28, v7
	v_and_b32_e32 v6, 15, v6
	v_lshlrev_b32_e32 v10, v10, v4
	v_sub_u32_e32 v7, 29, v7
	v_and_b32_e32 v10, 7, v10
	v_cmp_eq_u16_e32 vcc, 0, v6
	v_cndmask_b32_e32 v3, v3, v10, vcc
	v_cndmask_b32_e32 v6, v6, v7, vcc
	v_lshlrev_b32_e32 v7, 24, v4
	v_mov_b32_e32 v10, 0x3b800000
	v_lshlrev_b32_e32 v3, 20, v3
	v_and_b32_e32 v7, 0x80000000, v7
	v_lshl_add_u32 v6, v6, 23, v10
	v_or3_b32 v3, v7, v6, v3
.LBB37_712:
	s_or_b64 exec, exec, s[6:7]
	s_nop 0
	v_mfma_f32_16x16x4f32 a[0:3], v2, v3, a[0:3]
	v_lshrrev_b32_e32 v3, 8, v8
	s_movk_i32 s4, 0x7f
	v_cmp_gt_i16_sdwa s[6:7], v3, s4 src0_sel:BYTE_0 src1_sel:DWORD
	s_mov_b64 s[4:5], 0
                                        ; implicit-def: $sgpr10
	s_and_saveexec_b64 s[8:9], s[6:7]
	s_xor_b64 s[6:7], exec, s[8:9]
	s_cbranch_execnz .LBB37_2761
; %bb.713:
	s_or_saveexec_b64 s[6:7], s[6:7]
	v_mov_b32_e32 v2, s10
	s_xor_b64 exec, exec, s[6:7]
	s_cbranch_execnz .LBB37_2764
.LBB37_714:
	s_or_b64 exec, exec, s[6:7]
	s_and_saveexec_b64 s[6:7], s[4:5]
	s_cbranch_execz .LBB37_716
.LBB37_715:
	v_bfe_u32 v2, v8, 8, 3
	v_ffbh_u32_e32 v7, v2
	v_min_u32_e32 v7, 32, v7
	v_lshrrev_b16_e32 v6, 3, v3
	v_subrev_u32_e32 v10, 28, v7
	v_and_b32_e32 v6, 15, v6
	v_lshlrev_b32_e32 v3, v10, v3
	v_sub_u32_e32 v7, 29, v7
	v_and_b32_e32 v3, 7, v3
	v_cmp_eq_u16_e32 vcc, 0, v6
	v_cndmask_b32_e32 v2, v2, v3, vcc
	v_cndmask_b32_e32 v3, v6, v7, vcc
	v_lshlrev_b32_e32 v6, 16, v8
	v_mov_b32_e32 v7, 0x3b800000
	v_lshlrev_b32_e32 v2, 20, v2
	v_and_b32_e32 v6, 0x80000000, v6
	v_lshl_add_u32 v3, v3, 23, v7
	v_or3_b32 v2, v6, v3, v2
.LBB37_716:
	s_or_b64 exec, exec, s[6:7]
	v_lshrrev_b32_e32 v3, 8, v4
	s_movk_i32 s4, 0x7f
	v_cmp_gt_i16_sdwa s[6:7], v3, s4 src0_sel:BYTE_0 src1_sel:DWORD
	s_mov_b64 s[4:5], 0
                                        ; implicit-def: $sgpr10
	s_and_saveexec_b64 s[8:9], s[6:7]
	s_xor_b64 s[6:7], exec, s[8:9]
	s_cbranch_execnz .LBB37_2765
; %bb.717:
	s_or_saveexec_b64 s[6:7], s[6:7]
	v_mov_b32_e32 v6, s10
	s_xor_b64 exec, exec, s[6:7]
	s_cbranch_execnz .LBB37_2768
.LBB37_718:
	s_or_b64 exec, exec, s[6:7]
	s_and_saveexec_b64 s[6:7], s[4:5]
	s_cbranch_execz .LBB37_720
.LBB37_719:
	v_bfe_u32 v6, v4, 8, 3
	v_ffbh_u32_e32 v10, v6
	v_min_u32_e32 v10, 32, v10
	v_lshrrev_b16_e32 v7, 3, v3
	v_subrev_u32_e32 v11, 28, v10
	v_and_b32_e32 v7, 15, v7
	v_lshlrev_b32_e32 v3, v11, v3
	v_sub_u32_e32 v10, 29, v10
	v_and_b32_e32 v3, 7, v3
	v_cmp_eq_u16_e32 vcc, 0, v7
	v_cndmask_b32_e32 v3, v6, v3, vcc
	v_cndmask_b32_e32 v6, v7, v10, vcc
	v_lshlrev_b32_e32 v7, 16, v4
	v_mov_b32_e32 v10, 0x3b800000
	v_lshlrev_b32_e32 v3, 20, v3
	v_and_b32_e32 v7, 0x80000000, v7
	v_lshl_add_u32 v6, v6, 23, v10
	v_or3_b32 v6, v7, v6, v3
.LBB37_720:
	s_or_b64 exec, exec, s[6:7]
	s_nop 0
	v_mfma_f32_16x16x4f32 a[0:3], v2, v6, a[0:3]
	s_movk_i32 s4, 0xff
	v_and_b32_sdwa v3, v8, s4 dst_sel:DWORD dst_unused:UNUSED_PAD src0_sel:WORD_1 src1_sel:DWORD
	s_movk_i32 s4, 0x7f
	v_cmp_lt_i16_e32 vcc, s4, v3
	s_mov_b64 s[4:5], 0
                                        ; implicit-def: $sgpr10
	s_and_saveexec_b64 s[6:7], vcc
	s_xor_b64 s[6:7], exec, s[6:7]
	s_cbranch_execnz .LBB37_2769
; %bb.721:
	s_or_saveexec_b64 s[6:7], s[6:7]
	v_mov_b32_e32 v2, s10
	s_xor_b64 exec, exec, s[6:7]
	s_cbranch_execnz .LBB37_2772
.LBB37_722:
	s_or_b64 exec, exec, s[6:7]
	s_and_saveexec_b64 s[6:7], s[4:5]
	s_cbranch_execz .LBB37_724
.LBB37_723:
	v_bfe_u32 v2, v8, 16, 3
	v_ffbh_u32_e32 v7, v2
	v_min_u32_e32 v7, 32, v7
	v_lshrrev_b32_e32 v3, 19, v8
	v_subrev_u32_e32 v10, 28, v7
	v_and_b32_e32 v3, 15, v3
	v_lshlrev_b32_sdwa v10, v10, v8 dst_sel:DWORD dst_unused:UNUSED_PAD src0_sel:DWORD src1_sel:WORD_1
	v_bfe_u32 v6, v8, 19, 4
	v_sub_u32_e32 v7, 29, v7
	v_and_b32_e32 v10, 7, v10
	v_cmp_eq_u16_e32 vcc, 0, v3
	v_cndmask_b32_e32 v2, v2, v10, vcc
	v_cndmask_b32_e32 v3, v6, v7, vcc
	v_lshlrev_b32_e32 v6, 8, v8
	v_mov_b32_e32 v7, 0x3b800000
	v_lshlrev_b32_e32 v2, 20, v2
	v_and_b32_e32 v6, 0x80000000, v6
	v_lshl_add_u32 v3, v3, 23, v7
	v_or3_b32 v2, v6, v3, v2
.LBB37_724:
	s_or_b64 exec, exec, s[6:7]
	s_movk_i32 s4, 0xff
	v_and_b32_sdwa v3, v4, s4 dst_sel:DWORD dst_unused:UNUSED_PAD src0_sel:WORD_1 src1_sel:DWORD
	s_movk_i32 s4, 0x7f
	v_cmp_lt_i16_e32 vcc, s4, v3
	s_mov_b64 s[4:5], 0
                                        ; implicit-def: $sgpr10
	s_and_saveexec_b64 s[6:7], vcc
	s_xor_b64 s[6:7], exec, s[6:7]
	s_cbranch_execnz .LBB37_2773
; %bb.725:
	s_or_saveexec_b64 s[6:7], s[6:7]
	v_mov_b32_e32 v6, s10
	s_xor_b64 exec, exec, s[6:7]
	s_cbranch_execnz .LBB37_2776
.LBB37_726:
	s_or_b64 exec, exec, s[6:7]
	s_and_saveexec_b64 s[6:7], s[4:5]
	s_cbranch_execz .LBB37_728
.LBB37_727:
	v_bfe_u32 v3, v4, 16, 3
	v_ffbh_u32_e32 v10, v3
	v_min_u32_e32 v10, 32, v10
	v_lshrrev_b32_e32 v6, 19, v4
	v_subrev_u32_e32 v11, 28, v10
	v_and_b32_e32 v6, 15, v6
	v_lshlrev_b32_sdwa v11, v11, v4 dst_sel:DWORD dst_unused:UNUSED_PAD src0_sel:DWORD src1_sel:WORD_1
	v_bfe_u32 v7, v4, 19, 4
	v_sub_u32_e32 v10, 29, v10
	v_and_b32_e32 v11, 7, v11
	v_cmp_eq_u16_e32 vcc, 0, v6
	v_cndmask_b32_e32 v3, v3, v11, vcc
	v_cndmask_b32_e32 v6, v7, v10, vcc
	v_lshlrev_b32_e32 v7, 8, v4
	v_mov_b32_e32 v10, 0x3b800000
	v_lshlrev_b32_e32 v3, 20, v3
	v_and_b32_e32 v7, 0x80000000, v7
	v_lshl_add_u32 v6, v6, 23, v10
	v_or3_b32 v6, v7, v6, v3
.LBB37_728:
	s_or_b64 exec, exec, s[6:7]
	s_nop 0
	v_mfma_f32_16x16x4f32 a[0:3], v2, v6, a[0:3]
	s_movk_i32 s4, 0x7f
	v_cmp_gt_i16_sdwa s[6:7], v8, s4 src0_sel:BYTE_3 src1_sel:DWORD
	s_mov_b64 s[4:5], 0
                                        ; implicit-def: $sgpr10
	s_and_saveexec_b64 s[8:9], s[6:7]
	s_xor_b64 s[6:7], exec, s[8:9]
	s_cbranch_execnz .LBB37_2777
; %bb.729:
	s_or_saveexec_b64 s[6:7], s[6:7]
	v_mov_b32_e32 v2, s10
	s_xor_b64 exec, exec, s[6:7]
	s_cbranch_execnz .LBB37_2780
.LBB37_730:
	s_or_b64 exec, exec, s[6:7]
	s_and_saveexec_b64 s[6:7], s[4:5]
	s_cbranch_execz .LBB37_732
.LBB37_731:
	v_bfe_u32 v2, v8, 24, 3
	v_ffbh_u32_e32 v10, v2
	v_min_u32_e32 v10, 32, v10
	v_lshrrev_b32_e32 v6, 27, v8
	v_subrev_u32_e32 v11, 28, v10
	v_and_b32_e32 v3, 0x80000000, v8
	v_and_b32_e32 v6, 15, v6
	v_bfe_u32 v7, v8, 27, 4
	v_lshlrev_b32_sdwa v8, v11, v8 dst_sel:DWORD dst_unused:UNUSED_PAD src0_sel:DWORD src1_sel:BYTE_3
	v_sub_u32_e32 v10, 29, v10
	v_and_b32_e32 v8, 7, v8
	v_cmp_eq_u16_e32 vcc, 0, v6
	v_cndmask_b32_e32 v2, v2, v8, vcc
	v_cndmask_b32_e32 v6, v7, v10, vcc
	v_mov_b32_e32 v7, 0x3b800000
	v_lshlrev_b32_e32 v2, 20, v2
	v_lshl_add_u32 v6, v6, 23, v7
	v_or3_b32 v2, v3, v6, v2
.LBB37_732:
	s_or_b64 exec, exec, s[6:7]
	s_movk_i32 s4, 0x7f
	v_cmp_gt_i16_sdwa s[6:7], v4, s4 src0_sel:BYTE_3 src1_sel:DWORD
	s_mov_b64 s[4:5], 0
                                        ; implicit-def: $sgpr10
	s_and_saveexec_b64 s[8:9], s[6:7]
	s_xor_b64 s[6:7], exec, s[8:9]
	s_cbranch_execnz .LBB37_2781
; %bb.733:
	s_or_saveexec_b64 s[6:7], s[6:7]
	v_mov_b32_e32 v3, s10
	s_xor_b64 exec, exec, s[6:7]
	s_cbranch_execnz .LBB37_2784
.LBB37_734:
	s_or_b64 exec, exec, s[6:7]
	s_and_saveexec_b64 s[6:7], s[4:5]
	s_cbranch_execz .LBB37_736
.LBB37_735:
	v_bfe_u32 v3, v4, 24, 3
	v_ffbh_u32_e32 v10, v3
	v_min_u32_e32 v10, 32, v10
	v_lshrrev_b32_e32 v7, 27, v4
	v_subrev_u32_e32 v11, 28, v10
	v_and_b32_e32 v6, 0x80000000, v4
	v_and_b32_e32 v7, 15, v7
	v_bfe_u32 v8, v4, 27, 4
	v_lshlrev_b32_sdwa v4, v11, v4 dst_sel:DWORD dst_unused:UNUSED_PAD src0_sel:DWORD src1_sel:BYTE_3
	v_sub_u32_e32 v10, 29, v10
	v_and_b32_e32 v4, 7, v4
	v_cmp_eq_u16_e32 vcc, 0, v7
	v_cndmask_b32_e32 v3, v3, v4, vcc
	v_cndmask_b32_e32 v4, v8, v10, vcc
	v_mov_b32_e32 v7, 0x3b800000
	v_lshlrev_b32_e32 v3, 20, v3
	v_lshl_add_u32 v4, v4, 23, v7
	v_or3_b32 v3, v6, v4, v3
.LBB37_736:
	s_or_b64 exec, exec, s[6:7]
	s_nop 0
	v_mfma_f32_16x16x4f32 a[0:3], v2, v3, a[0:3]
	s_movk_i32 s4, 0x7f
	v_cmp_gt_i16_sdwa s[6:7], v9, s4 src0_sel:BYTE_0 src1_sel:DWORD
	s_mov_b64 s[4:5], 0
                                        ; implicit-def: $sgpr10
	s_and_saveexec_b64 s[8:9], s[6:7]
	s_xor_b64 s[6:7], exec, s[8:9]
	s_cbranch_execnz .LBB37_2785
; %bb.737:
	s_or_saveexec_b64 s[6:7], s[6:7]
	v_mov_b32_e32 v2, s10
	s_xor_b64 exec, exec, s[6:7]
	s_cbranch_execnz .LBB37_2788
.LBB37_738:
	s_or_b64 exec, exec, s[6:7]
	s_and_saveexec_b64 s[6:7], s[4:5]
	s_cbranch_execz .LBB37_740
.LBB37_739:
	v_mov_b32_e32 v2, 8
	v_and_b32_e32 v3, 7, v9
	v_lshrrev_b32_sdwa v2, v2, v9 dst_sel:BYTE_1 dst_unused:UNUSED_PAD src0_sel:DWORD src1_sel:DWORD
	v_ffbh_u32_e32 v4, v3
	v_or_b32_sdwa v2, v9, v2 dst_sel:DWORD dst_unused:UNUSED_PAD src0_sel:BYTE_0 src1_sel:DWORD
	v_min_u32_e32 v4, 32, v4
	v_lshrrev_b16_e32 v2, 3, v2
	v_subrev_u32_e32 v6, 28, v4
	v_and_b32_e32 v2, 15, v2
	v_lshlrev_b32_e32 v6, v6, v9
	v_sub_u32_e32 v4, 29, v4
	v_and_b32_e32 v6, 7, v6
	v_cmp_eq_u16_e32 vcc, 0, v2
	v_cndmask_b32_e32 v3, v3, v6, vcc
	v_cndmask_b32_e32 v2, v2, v4, vcc
	v_lshlrev_b32_e32 v4, 24, v9
	v_mov_b32_e32 v6, 0x3b800000
	v_lshlrev_b32_e32 v3, 20, v3
	v_and_b32_e32 v4, 0x80000000, v4
	v_lshl_add_u32 v2, v2, 23, v6
	v_or3_b32 v2, v4, v2, v3
.LBB37_740:
	s_or_b64 exec, exec, s[6:7]
	s_movk_i32 s4, 0x7f
	v_cmp_gt_i16_sdwa s[6:7], v5, s4 src0_sel:BYTE_0 src1_sel:DWORD
	s_mov_b64 s[4:5], 0
                                        ; implicit-def: $sgpr10
	s_and_saveexec_b64 s[8:9], s[6:7]
	s_xor_b64 s[6:7], exec, s[8:9]
	s_cbranch_execnz .LBB37_2789
; %bb.741:
	s_or_saveexec_b64 s[6:7], s[6:7]
	v_mov_b32_e32 v3, s10
	s_xor_b64 exec, exec, s[6:7]
	s_cbranch_execnz .LBB37_2792
.LBB37_742:
	s_or_b64 exec, exec, s[6:7]
	s_and_saveexec_b64 s[6:7], s[4:5]
	s_cbranch_execz .LBB37_744
.LBB37_743:
	v_mov_b32_e32 v3, 8
	v_and_b32_e32 v4, 7, v5
	v_lshrrev_b32_sdwa v3, v3, v5 dst_sel:BYTE_1 dst_unused:UNUSED_PAD src0_sel:DWORD src1_sel:DWORD
	v_ffbh_u32_e32 v6, v4
	v_or_b32_sdwa v3, v5, v3 dst_sel:DWORD dst_unused:UNUSED_PAD src0_sel:BYTE_0 src1_sel:DWORD
	v_min_u32_e32 v6, 32, v6
	v_lshrrev_b16_e32 v3, 3, v3
	v_subrev_u32_e32 v7, 28, v6
	v_and_b32_e32 v3, 15, v3
	v_lshlrev_b32_e32 v7, v7, v5
	v_sub_u32_e32 v6, 29, v6
	v_and_b32_e32 v7, 7, v7
	v_cmp_eq_u16_e32 vcc, 0, v3
	v_cndmask_b32_e32 v4, v4, v7, vcc
	v_cndmask_b32_e32 v3, v3, v6, vcc
	v_lshlrev_b32_e32 v6, 24, v5
	v_mov_b32_e32 v7, 0x3b800000
	v_lshlrev_b32_e32 v4, 20, v4
	v_and_b32_e32 v6, 0x80000000, v6
	v_lshl_add_u32 v3, v3, 23, v7
	v_or3_b32 v3, v6, v3, v4
.LBB37_744:
	s_or_b64 exec, exec, s[6:7]
	s_nop 0
	v_mfma_f32_16x16x4f32 a[0:3], v2, v3, a[0:3]
	v_lshrrev_b32_e32 v3, 8, v9
	s_movk_i32 s4, 0x7f
	v_cmp_gt_i16_sdwa s[6:7], v3, s4 src0_sel:BYTE_0 src1_sel:DWORD
	s_mov_b64 s[4:5], 0
                                        ; implicit-def: $sgpr10
	s_and_saveexec_b64 s[8:9], s[6:7]
	s_xor_b64 s[6:7], exec, s[8:9]
	s_cbranch_execnz .LBB37_2793
; %bb.745:
	s_or_saveexec_b64 s[6:7], s[6:7]
	v_mov_b32_e32 v2, s10
	s_xor_b64 exec, exec, s[6:7]
	s_cbranch_execnz .LBB37_2796
.LBB37_746:
	s_or_b64 exec, exec, s[6:7]
	s_and_saveexec_b64 s[6:7], s[4:5]
	s_cbranch_execz .LBB37_748
.LBB37_747:
	v_bfe_u32 v2, v9, 8, 3
	v_ffbh_u32_e32 v6, v2
	v_min_u32_e32 v6, 32, v6
	v_lshrrev_b16_e32 v4, 3, v3
	v_subrev_u32_e32 v7, 28, v6
	v_and_b32_e32 v4, 15, v4
	v_lshlrev_b32_e32 v3, v7, v3
	v_sub_u32_e32 v6, 29, v6
	v_and_b32_e32 v3, 7, v3
	v_cmp_eq_u16_e32 vcc, 0, v4
	v_cndmask_b32_e32 v2, v2, v3, vcc
	v_cndmask_b32_e32 v3, v4, v6, vcc
	v_lshlrev_b32_e32 v4, 16, v9
	v_mov_b32_e32 v6, 0x3b800000
	v_lshlrev_b32_e32 v2, 20, v2
	v_and_b32_e32 v4, 0x80000000, v4
	v_lshl_add_u32 v3, v3, 23, v6
	v_or3_b32 v2, v4, v3, v2
.LBB37_748:
	s_or_b64 exec, exec, s[6:7]
	v_lshrrev_b32_e32 v3, 8, v5
	s_movk_i32 s4, 0x7f
	v_cmp_gt_i16_sdwa s[6:7], v3, s4 src0_sel:BYTE_0 src1_sel:DWORD
	s_mov_b64 s[4:5], 0
                                        ; implicit-def: $sgpr10
	s_and_saveexec_b64 s[8:9], s[6:7]
	s_xor_b64 s[6:7], exec, s[8:9]
	s_cbranch_execnz .LBB37_2797
; %bb.749:
	s_or_saveexec_b64 s[6:7], s[6:7]
	v_mov_b32_e32 v4, s10
	s_xor_b64 exec, exec, s[6:7]
	s_cbranch_execnz .LBB37_2800
.LBB37_750:
	s_or_b64 exec, exec, s[6:7]
	s_and_saveexec_b64 s[6:7], s[4:5]
	s_cbranch_execz .LBB37_752
.LBB37_751:
	v_bfe_u32 v4, v5, 8, 3
	v_ffbh_u32_e32 v7, v4
	v_min_u32_e32 v7, 32, v7
	v_lshrrev_b16_e32 v6, 3, v3
	v_subrev_u32_e32 v8, 28, v7
	v_and_b32_e32 v6, 15, v6
	v_lshlrev_b32_e32 v3, v8, v3
	v_sub_u32_e32 v7, 29, v7
	v_and_b32_e32 v3, 7, v3
	v_cmp_eq_u16_e32 vcc, 0, v6
	v_cndmask_b32_e32 v3, v4, v3, vcc
	v_cndmask_b32_e32 v4, v6, v7, vcc
	v_lshlrev_b32_e32 v6, 16, v5
	v_mov_b32_e32 v7, 0x3b800000
	v_lshlrev_b32_e32 v3, 20, v3
	v_and_b32_e32 v6, 0x80000000, v6
	v_lshl_add_u32 v4, v4, 23, v7
	v_or3_b32 v4, v6, v4, v3
.LBB37_752:
	s_or_b64 exec, exec, s[6:7]
	s_nop 0
	v_mfma_f32_16x16x4f32 a[0:3], v2, v4, a[0:3]
	s_movk_i32 s4, 0xff
	v_and_b32_sdwa v3, v9, s4 dst_sel:DWORD dst_unused:UNUSED_PAD src0_sel:WORD_1 src1_sel:DWORD
	s_movk_i32 s4, 0x7f
	v_cmp_lt_i16_e32 vcc, s4, v3
	s_mov_b64 s[4:5], 0
                                        ; implicit-def: $sgpr10
	s_and_saveexec_b64 s[6:7], vcc
	s_xor_b64 s[6:7], exec, s[6:7]
	s_cbranch_execnz .LBB37_2801
; %bb.753:
	s_or_saveexec_b64 s[6:7], s[6:7]
	v_mov_b32_e32 v2, s10
	s_xor_b64 exec, exec, s[6:7]
	s_cbranch_execnz .LBB37_2804
.LBB37_754:
	s_or_b64 exec, exec, s[6:7]
	s_and_saveexec_b64 s[6:7], s[4:5]
	s_cbranch_execz .LBB37_756
.LBB37_755:
	v_bfe_u32 v2, v9, 16, 3
	v_ffbh_u32_e32 v6, v2
	v_min_u32_e32 v6, 32, v6
	v_lshrrev_b32_e32 v3, 19, v9
	v_subrev_u32_e32 v7, 28, v6
	v_and_b32_e32 v3, 15, v3
	v_lshlrev_b32_sdwa v7, v7, v9 dst_sel:DWORD dst_unused:UNUSED_PAD src0_sel:DWORD src1_sel:WORD_1
	v_bfe_u32 v4, v9, 19, 4
	v_sub_u32_e32 v6, 29, v6
	v_and_b32_e32 v7, 7, v7
	v_cmp_eq_u16_e32 vcc, 0, v3
	v_cndmask_b32_e32 v2, v2, v7, vcc
	v_cndmask_b32_e32 v3, v4, v6, vcc
	v_lshlrev_b32_e32 v4, 8, v9
	v_mov_b32_e32 v6, 0x3b800000
	v_lshlrev_b32_e32 v2, 20, v2
	v_and_b32_e32 v4, 0x80000000, v4
	v_lshl_add_u32 v3, v3, 23, v6
	v_or3_b32 v2, v4, v3, v2
.LBB37_756:
	s_or_b64 exec, exec, s[6:7]
	s_movk_i32 s4, 0xff
	v_and_b32_sdwa v3, v5, s4 dst_sel:DWORD dst_unused:UNUSED_PAD src0_sel:WORD_1 src1_sel:DWORD
	s_movk_i32 s4, 0x7f
	v_cmp_lt_i16_e32 vcc, s4, v3
	s_mov_b64 s[4:5], 0
                                        ; implicit-def: $sgpr10
	s_and_saveexec_b64 s[6:7], vcc
	s_xor_b64 s[6:7], exec, s[6:7]
	s_cbranch_execnz .LBB37_2805
; %bb.757:
	s_or_saveexec_b64 s[6:7], s[6:7]
	v_mov_b32_e32 v4, s10
	s_xor_b64 exec, exec, s[6:7]
	s_cbranch_execnz .LBB37_2808
.LBB37_758:
	s_or_b64 exec, exec, s[6:7]
	s_and_saveexec_b64 s[6:7], s[4:5]
	s_cbranch_execz .LBB37_760
.LBB37_759:
	v_bfe_u32 v3, v5, 16, 3
	v_ffbh_u32_e32 v7, v3
	v_min_u32_e32 v7, 32, v7
	v_lshrrev_b32_e32 v4, 19, v5
	v_subrev_u32_e32 v8, 28, v7
	v_and_b32_e32 v4, 15, v4
	v_lshlrev_b32_sdwa v8, v8, v5 dst_sel:DWORD dst_unused:UNUSED_PAD src0_sel:DWORD src1_sel:WORD_1
	v_bfe_u32 v6, v5, 19, 4
	v_sub_u32_e32 v7, 29, v7
	v_and_b32_e32 v8, 7, v8
	v_cmp_eq_u16_e32 vcc, 0, v4
	v_cndmask_b32_e32 v3, v3, v8, vcc
	v_cndmask_b32_e32 v4, v6, v7, vcc
	v_lshlrev_b32_e32 v6, 8, v5
	v_mov_b32_e32 v7, 0x3b800000
	v_lshlrev_b32_e32 v3, 20, v3
	v_and_b32_e32 v6, 0x80000000, v6
	v_lshl_add_u32 v4, v4, 23, v7
	v_or3_b32 v4, v6, v4, v3
.LBB37_760:
	s_or_b64 exec, exec, s[6:7]
	s_nop 0
	v_mfma_f32_16x16x4f32 a[0:3], v2, v4, a[0:3]
	s_movk_i32 s4, 0x7f
	v_cmp_gt_i16_sdwa s[6:7], v9, s4 src0_sel:BYTE_3 src1_sel:DWORD
	s_mov_b64 s[4:5], 0
                                        ; implicit-def: $sgpr10
	s_and_saveexec_b64 s[8:9], s[6:7]
	s_xor_b64 s[6:7], exec, s[8:9]
	s_cbranch_execnz .LBB37_2809
; %bb.761:
	s_or_saveexec_b64 s[6:7], s[6:7]
	v_mov_b32_e32 v2, s10
	s_xor_b64 exec, exec, s[6:7]
	s_cbranch_execnz .LBB37_2812
.LBB37_762:
	s_or_b64 exec, exec, s[6:7]
	s_and_saveexec_b64 s[6:7], s[4:5]
	s_cbranch_execz .LBB37_764
.LBB37_763:
	v_bfe_u32 v2, v9, 24, 3
	v_ffbh_u32_e32 v7, v2
	v_min_u32_e32 v7, 32, v7
	v_lshrrev_b32_e32 v4, 27, v9
	v_subrev_u32_e32 v8, 28, v7
	v_and_b32_e32 v4, 15, v4
	v_lshlrev_b32_sdwa v8, v8, v9 dst_sel:DWORD dst_unused:UNUSED_PAD src0_sel:DWORD src1_sel:BYTE_3
	v_bfe_u32 v6, v9, 27, 4
	v_sub_u32_e32 v7, 29, v7
	v_and_b32_e32 v8, 7, v8
	v_cmp_eq_u16_e32 vcc, 0, v4
	v_cndmask_b32_e32 v2, v2, v8, vcc
	v_cndmask_b32_e32 v4, v6, v7, vcc
	v_mov_b32_e32 v6, 0x3b800000
	v_and_b32_e32 v3, 0x80000000, v9
	v_lshlrev_b32_e32 v2, 20, v2
	v_lshl_add_u32 v4, v4, 23, v6
	v_or3_b32 v2, v3, v4, v2
.LBB37_764:
	s_or_b64 exec, exec, s[6:7]
	s_movk_i32 s4, 0x7f
	v_cmp_gt_i16_sdwa s[6:7], v5, s4 src0_sel:BYTE_3 src1_sel:DWORD
	s_mov_b64 s[4:5], 0
                                        ; implicit-def: $sgpr10
	s_and_saveexec_b64 s[8:9], s[6:7]
	s_xor_b64 s[6:7], exec, s[8:9]
	s_cbranch_execnz .LBB37_2813
; %bb.765:
	s_or_saveexec_b64 s[6:7], s[6:7]
	v_mov_b32_e32 v3, s10
	s_xor_b64 exec, exec, s[6:7]
	s_cbranch_execnz .LBB37_2816
.LBB37_766:
	s_or_b64 exec, exec, s[6:7]
	s_and_saveexec_b64 s[6:7], s[4:5]
	s_cbranch_execz .LBB37_768
.LBB37_767:
	v_bfe_u32 v3, v5, 24, 3
	v_ffbh_u32_e32 v8, v3
	v_min_u32_e32 v8, 32, v8
	v_lshrrev_b32_e32 v6, 27, v5
	v_subrev_u32_e32 v9, 28, v8
	v_and_b32_e32 v4, 0x80000000, v5
	v_and_b32_e32 v6, 15, v6
	v_bfe_u32 v7, v5, 27, 4
	v_lshlrev_b32_sdwa v5, v9, v5 dst_sel:DWORD dst_unused:UNUSED_PAD src0_sel:DWORD src1_sel:BYTE_3
	v_sub_u32_e32 v8, 29, v8
	v_and_b32_e32 v5, 7, v5
	v_cmp_eq_u16_e32 vcc, 0, v6
	v_cndmask_b32_e32 v3, v3, v5, vcc
	v_cndmask_b32_e32 v5, v7, v8, vcc
	v_mov_b32_e32 v6, 0x3b800000
	v_lshlrev_b32_e32 v3, 20, v3
	v_lshl_add_u32 v5, v5, 23, v6
	v_or3_b32 v3, v4, v5, v3
.LBB37_768:
	s_or_b64 exec, exec, s[6:7]
	s_nop 0
	v_mfma_f32_16x16x4f32 a[0:3], v2, v3, a[0:3]
	s_movk_i32 s4, 0x7f
                                        ; implicit-def: $sgpr10
	s_nop 7
	s_nop 1
	flat_store_dwordx4 v[18:19], a[0:3] offset:160
	flat_load_dwordx4 v[20:23], v[0:1] offset:16
	s_nop 0
	flat_load_dwordx2 v[18:19], v[0:1] offset:32
	s_waitcnt vmcnt(0) lgkmcnt(0)
	flat_load_dwordx4 v[14:17], v[20:21] offset:32
	flat_load_dwordx4 v[6:9], v[20:21] offset:48
	;; [unrolled: 1-line block ×4, first 2 shown]
	s_waitcnt vmcnt(0) lgkmcnt(0)
	v_cmp_gt_i16_sdwa s[6:7], v14, s4 src0_sel:BYTE_0 src1_sel:DWORD
	s_mov_b64 s[4:5], 0
	s_and_saveexec_b64 s[8:9], s[6:7]
	s_xor_b64 s[6:7], exec, s[8:9]
	s_cbranch_execnz .LBB37_2817
; %bb.769:
	s_or_saveexec_b64 s[6:7], s[6:7]
	v_mov_b32_e32 v20, s10
	s_xor_b64 exec, exec, s[6:7]
	s_cbranch_execnz .LBB37_2820
.LBB37_770:
	s_or_b64 exec, exec, s[6:7]
	s_and_saveexec_b64 s[6:7], s[4:5]
	s_cbranch_execz .LBB37_772
.LBB37_771:
	v_and_b32_e32 v20, 7, v14
	v_ffbh_u32_e32 v22, v20
	v_min_u32_e32 v22, 32, v22
	v_lshrrev_b16_e32 v21, 3, v14
	v_subrev_u32_e32 v23, 28, v22
	v_and_b32_e32 v21, 15, v21
	v_lshlrev_b32_e32 v23, v23, v14
	v_sub_u32_e32 v22, 29, v22
	v_and_b32_e32 v23, 7, v23
	v_cmp_eq_u16_e32 vcc, 0, v21
	v_cndmask_b32_e32 v20, v20, v23, vcc
	v_cndmask_b32_e32 v21, v21, v22, vcc
	v_lshlrev_b32_e32 v22, 24, v14
	v_mov_b32_e32 v23, 0x3b800000
	v_lshlrev_b32_e32 v20, 20, v20
	v_and_b32_e32 v22, 0x80000000, v22
	v_lshl_add_u32 v21, v21, 23, v23
	v_or3_b32 v20, v22, v21, v20
.LBB37_772:
	s_or_b64 exec, exec, s[6:7]
	s_movk_i32 s4, 0x7f
	v_cmp_gt_i16_sdwa s[6:7], v10, s4 src0_sel:BYTE_0 src1_sel:DWORD
	s_mov_b64 s[4:5], 0
                                        ; implicit-def: $sgpr10
	s_and_saveexec_b64 s[8:9], s[6:7]
	s_xor_b64 s[6:7], exec, s[8:9]
	s_cbranch_execnz .LBB37_2821
; %bb.773:
	s_or_saveexec_b64 s[6:7], s[6:7]
	v_mov_b32_e32 v21, s10
	s_xor_b64 exec, exec, s[6:7]
	s_cbranch_execnz .LBB37_2824
.LBB37_774:
	s_or_b64 exec, exec, s[6:7]
	s_and_saveexec_b64 s[6:7], s[4:5]
	s_cbranch_execz .LBB37_776
.LBB37_775:
	v_and_b32_e32 v21, 7, v10
	v_ffbh_u32_e32 v23, v21
	v_min_u32_e32 v23, 32, v23
	v_lshrrev_b16_e32 v22, 3, v10
	v_subrev_u32_e32 v24, 28, v23
	v_and_b32_e32 v22, 15, v22
	v_lshlrev_b32_e32 v24, v24, v10
	v_sub_u32_e32 v23, 29, v23
	v_and_b32_e32 v24, 7, v24
	v_cmp_eq_u16_e32 vcc, 0, v22
	v_cndmask_b32_e32 v21, v21, v24, vcc
	v_cndmask_b32_e32 v22, v22, v23, vcc
	v_lshlrev_b32_e32 v23, 24, v10
	v_mov_b32_e32 v24, 0x3b800000
	v_lshlrev_b32_e32 v21, 20, v21
	v_and_b32_e32 v23, 0x80000000, v23
	v_lshl_add_u32 v22, v22, 23, v24
	v_or3_b32 v21, v23, v22, v21
.LBB37_776:
	s_or_b64 exec, exec, s[6:7]
	flat_load_dwordx4 a[0:3], v[18:19] offset:176
	s_movk_i32 s4, 0x7f
                                        ; implicit-def: $sgpr10
	s_waitcnt vmcnt(0) lgkmcnt(0)
	v_mfma_f32_16x16x4f32 a[0:3], v20, v21, a[0:3]
	v_lshrrev_b32_e32 v21, 8, v14
	v_cmp_gt_i16_sdwa s[6:7], v21, s4 src0_sel:BYTE_0 src1_sel:DWORD
	s_mov_b64 s[4:5], 0
	s_and_saveexec_b64 s[8:9], s[6:7]
	s_xor_b64 s[6:7], exec, s[8:9]
	s_cbranch_execnz .LBB37_2825
; %bb.777:
	s_or_saveexec_b64 s[6:7], s[6:7]
	v_mov_b32_e32 v20, s10
	s_xor_b64 exec, exec, s[6:7]
	s_cbranch_execnz .LBB37_2828
.LBB37_778:
	s_or_b64 exec, exec, s[6:7]
	s_and_saveexec_b64 s[6:7], s[4:5]
	s_cbranch_execz .LBB37_780
.LBB37_779:
	v_bfe_u32 v20, v14, 8, 3
	v_ffbh_u32_e32 v23, v20
	v_min_u32_e32 v23, 32, v23
	v_lshrrev_b16_e32 v22, 3, v21
	v_subrev_u32_e32 v24, 28, v23
	v_and_b32_e32 v22, 15, v22
	v_lshlrev_b32_e32 v21, v24, v21
	v_sub_u32_e32 v23, 29, v23
	v_and_b32_e32 v21, 7, v21
	v_cmp_eq_u16_e32 vcc, 0, v22
	v_cndmask_b32_e32 v20, v20, v21, vcc
	v_cndmask_b32_e32 v21, v22, v23, vcc
	v_lshlrev_b32_e32 v22, 16, v14
	v_mov_b32_e32 v23, 0x3b800000
	v_lshlrev_b32_e32 v20, 20, v20
	v_and_b32_e32 v22, 0x80000000, v22
	v_lshl_add_u32 v21, v21, 23, v23
	v_or3_b32 v20, v22, v21, v20
.LBB37_780:
	s_or_b64 exec, exec, s[6:7]
	v_lshrrev_b32_e32 v21, 8, v10
	s_movk_i32 s4, 0x7f
	v_cmp_gt_i16_sdwa s[6:7], v21, s4 src0_sel:BYTE_0 src1_sel:DWORD
	s_mov_b64 s[4:5], 0
                                        ; implicit-def: $sgpr10
	s_and_saveexec_b64 s[8:9], s[6:7]
	s_xor_b64 s[6:7], exec, s[8:9]
	s_cbranch_execnz .LBB37_2829
; %bb.781:
	s_or_saveexec_b64 s[6:7], s[6:7]
	v_mov_b32_e32 v22, s10
	s_xor_b64 exec, exec, s[6:7]
	s_cbranch_execnz .LBB37_2832
.LBB37_782:
	s_or_b64 exec, exec, s[6:7]
	s_and_saveexec_b64 s[6:7], s[4:5]
	s_cbranch_execz .LBB37_784
.LBB37_783:
	v_bfe_u32 v22, v10, 8, 3
	v_ffbh_u32_e32 v24, v22
	v_min_u32_e32 v24, 32, v24
	v_lshrrev_b16_e32 v23, 3, v21
	v_subrev_u32_e32 v25, 28, v24
	v_and_b32_e32 v23, 15, v23
	v_lshlrev_b32_e32 v21, v25, v21
	v_sub_u32_e32 v24, 29, v24
	v_and_b32_e32 v21, 7, v21
	v_cmp_eq_u16_e32 vcc, 0, v23
	v_cndmask_b32_e32 v21, v22, v21, vcc
	v_cndmask_b32_e32 v22, v23, v24, vcc
	v_lshlrev_b32_e32 v23, 16, v10
	v_mov_b32_e32 v24, 0x3b800000
	v_lshlrev_b32_e32 v21, 20, v21
	v_and_b32_e32 v23, 0x80000000, v23
	v_lshl_add_u32 v22, v22, 23, v24
	v_or3_b32 v22, v23, v22, v21
.LBB37_784:
	s_or_b64 exec, exec, s[6:7]
	s_nop 0
	v_mfma_f32_16x16x4f32 a[0:3], v20, v22, a[0:3]
	s_movk_i32 s4, 0xff
	v_and_b32_sdwa v21, v14, s4 dst_sel:DWORD dst_unused:UNUSED_PAD src0_sel:WORD_1 src1_sel:DWORD
	s_movk_i32 s4, 0x7f
	v_cmp_lt_i16_e32 vcc, s4, v21
	s_mov_b64 s[4:5], 0
                                        ; implicit-def: $sgpr10
	s_and_saveexec_b64 s[6:7], vcc
	s_xor_b64 s[6:7], exec, s[6:7]
	s_cbranch_execnz .LBB37_2833
; %bb.785:
	s_or_saveexec_b64 s[6:7], s[6:7]
	v_mov_b32_e32 v20, s10
	s_xor_b64 exec, exec, s[6:7]
	s_cbranch_execnz .LBB37_2836
.LBB37_786:
	s_or_b64 exec, exec, s[6:7]
	s_and_saveexec_b64 s[6:7], s[4:5]
	s_cbranch_execz .LBB37_788
.LBB37_787:
	v_bfe_u32 v20, v14, 16, 3
	v_ffbh_u32_e32 v23, v20
	v_min_u32_e32 v23, 32, v23
	v_lshrrev_b32_e32 v21, 19, v14
	v_subrev_u32_e32 v24, 28, v23
	v_and_b32_e32 v21, 15, v21
	v_lshlrev_b32_sdwa v24, v24, v14 dst_sel:DWORD dst_unused:UNUSED_PAD src0_sel:DWORD src1_sel:WORD_1
	v_bfe_u32 v22, v14, 19, 4
	v_sub_u32_e32 v23, 29, v23
	v_and_b32_e32 v24, 7, v24
	v_cmp_eq_u16_e32 vcc, 0, v21
	v_cndmask_b32_e32 v20, v20, v24, vcc
	v_cndmask_b32_e32 v21, v22, v23, vcc
	v_lshlrev_b32_e32 v22, 8, v14
	v_mov_b32_e32 v23, 0x3b800000
	v_lshlrev_b32_e32 v20, 20, v20
	v_and_b32_e32 v22, 0x80000000, v22
	v_lshl_add_u32 v21, v21, 23, v23
	v_or3_b32 v20, v22, v21, v20
.LBB37_788:
	s_or_b64 exec, exec, s[6:7]
	s_movk_i32 s4, 0xff
	v_and_b32_sdwa v21, v10, s4 dst_sel:DWORD dst_unused:UNUSED_PAD src0_sel:WORD_1 src1_sel:DWORD
	s_movk_i32 s4, 0x7f
	v_cmp_lt_i16_e32 vcc, s4, v21
	s_mov_b64 s[4:5], 0
                                        ; implicit-def: $sgpr10
	s_and_saveexec_b64 s[6:7], vcc
	s_xor_b64 s[6:7], exec, s[6:7]
	s_cbranch_execnz .LBB37_2837
; %bb.789:
	s_or_saveexec_b64 s[6:7], s[6:7]
	v_mov_b32_e32 v22, s10
	s_xor_b64 exec, exec, s[6:7]
	s_cbranch_execnz .LBB37_2840
.LBB37_790:
	s_or_b64 exec, exec, s[6:7]
	s_and_saveexec_b64 s[6:7], s[4:5]
	s_cbranch_execz .LBB37_792
.LBB37_791:
	v_bfe_u32 v21, v10, 16, 3
	v_ffbh_u32_e32 v24, v21
	v_min_u32_e32 v24, 32, v24
	v_lshrrev_b32_e32 v22, 19, v10
	v_subrev_u32_e32 v25, 28, v24
	v_and_b32_e32 v22, 15, v22
	v_lshlrev_b32_sdwa v25, v25, v10 dst_sel:DWORD dst_unused:UNUSED_PAD src0_sel:DWORD src1_sel:WORD_1
	v_bfe_u32 v23, v10, 19, 4
	v_sub_u32_e32 v24, 29, v24
	v_and_b32_e32 v25, 7, v25
	v_cmp_eq_u16_e32 vcc, 0, v22
	v_cndmask_b32_e32 v21, v21, v25, vcc
	v_cndmask_b32_e32 v22, v23, v24, vcc
	v_lshlrev_b32_e32 v23, 8, v10
	v_mov_b32_e32 v24, 0x3b800000
	v_lshlrev_b32_e32 v21, 20, v21
	v_and_b32_e32 v23, 0x80000000, v23
	v_lshl_add_u32 v22, v22, 23, v24
	v_or3_b32 v22, v23, v22, v21
.LBB37_792:
	s_or_b64 exec, exec, s[6:7]
	s_nop 0
	v_mfma_f32_16x16x4f32 a[0:3], v20, v22, a[0:3]
	s_movk_i32 s4, 0x7f
	v_cmp_gt_i16_sdwa s[6:7], v14, s4 src0_sel:BYTE_3 src1_sel:DWORD
	s_mov_b64 s[4:5], 0
                                        ; implicit-def: $sgpr10
	s_and_saveexec_b64 s[8:9], s[6:7]
	s_xor_b64 s[6:7], exec, s[8:9]
	s_cbranch_execnz .LBB37_2841
; %bb.793:
	s_or_saveexec_b64 s[6:7], s[6:7]
	v_mov_b32_e32 v20, s10
	s_xor_b64 exec, exec, s[6:7]
	s_cbranch_execnz .LBB37_2844
.LBB37_794:
	s_or_b64 exec, exec, s[6:7]
	s_and_saveexec_b64 s[6:7], s[4:5]
	s_cbranch_execz .LBB37_796
.LBB37_795:
	v_bfe_u32 v20, v14, 24, 3
	v_ffbh_u32_e32 v24, v20
	v_min_u32_e32 v24, 32, v24
	v_lshrrev_b32_e32 v22, 27, v14
	v_subrev_u32_e32 v25, 28, v24
	v_and_b32_e32 v21, 0x80000000, v14
	v_and_b32_e32 v22, 15, v22
	v_bfe_u32 v23, v14, 27, 4
	v_lshlrev_b32_sdwa v14, v25, v14 dst_sel:DWORD dst_unused:UNUSED_PAD src0_sel:DWORD src1_sel:BYTE_3
	v_sub_u32_e32 v24, 29, v24
	v_and_b32_e32 v14, 7, v14
	v_cmp_eq_u16_e32 vcc, 0, v22
	v_cndmask_b32_e32 v14, v20, v14, vcc
	v_cndmask_b32_e32 v20, v23, v24, vcc
	v_mov_b32_e32 v22, 0x3b800000
	v_lshlrev_b32_e32 v14, 20, v14
	v_lshl_add_u32 v20, v20, 23, v22
	v_or3_b32 v20, v21, v20, v14
.LBB37_796:
	s_or_b64 exec, exec, s[6:7]
	s_movk_i32 s4, 0x7f
	v_cmp_gt_i16_sdwa s[6:7], v10, s4 src0_sel:BYTE_3 src1_sel:DWORD
	s_mov_b64 s[4:5], 0
                                        ; implicit-def: $sgpr10
	s_and_saveexec_b64 s[8:9], s[6:7]
	s_xor_b64 s[6:7], exec, s[8:9]
	s_cbranch_execnz .LBB37_2845
; %bb.797:
	s_or_saveexec_b64 s[6:7], s[6:7]
	v_mov_b32_e32 v14, s10
	s_xor_b64 exec, exec, s[6:7]
	s_cbranch_execnz .LBB37_2848
.LBB37_798:
	s_or_b64 exec, exec, s[6:7]
	s_and_saveexec_b64 s[6:7], s[4:5]
	s_cbranch_execz .LBB37_800
.LBB37_799:
	v_bfe_u32 v14, v10, 24, 3
	v_ffbh_u32_e32 v24, v14
	v_min_u32_e32 v24, 32, v24
	v_lshrrev_b32_e32 v22, 27, v10
	v_subrev_u32_e32 v25, 28, v24
	v_and_b32_e32 v21, 0x80000000, v10
	v_and_b32_e32 v22, 15, v22
	v_bfe_u32 v23, v10, 27, 4
	v_lshlrev_b32_sdwa v10, v25, v10 dst_sel:DWORD dst_unused:UNUSED_PAD src0_sel:DWORD src1_sel:BYTE_3
	v_sub_u32_e32 v24, 29, v24
	v_and_b32_e32 v10, 7, v10
	v_cmp_eq_u16_e32 vcc, 0, v22
	v_cndmask_b32_e32 v10, v14, v10, vcc
	v_cndmask_b32_e32 v14, v23, v24, vcc
	v_mov_b32_e32 v22, 0x3b800000
	v_lshlrev_b32_e32 v10, 20, v10
	v_lshl_add_u32 v14, v14, 23, v22
	v_or3_b32 v14, v21, v14, v10
.LBB37_800:
	s_or_b64 exec, exec, s[6:7]
	s_nop 0
	v_mfma_f32_16x16x4f32 a[0:3], v20, v14, a[0:3]
	s_movk_i32 s4, 0x7f
	v_cmp_gt_i16_sdwa s[6:7], v15, s4 src0_sel:BYTE_0 src1_sel:DWORD
	s_mov_b64 s[4:5], 0
                                        ; implicit-def: $sgpr10
	s_and_saveexec_b64 s[8:9], s[6:7]
	s_xor_b64 s[6:7], exec, s[8:9]
	s_cbranch_execnz .LBB37_2849
; %bb.801:
	s_or_saveexec_b64 s[6:7], s[6:7]
	v_mov_b32_e32 v10, s10
	s_xor_b64 exec, exec, s[6:7]
	s_cbranch_execnz .LBB37_2852
.LBB37_802:
	s_or_b64 exec, exec, s[6:7]
	s_and_saveexec_b64 s[6:7], s[4:5]
	s_cbranch_execz .LBB37_804
.LBB37_803:
	v_and_b32_e32 v10, 7, v15
	v_ffbh_u32_e32 v20, v10
	v_min_u32_e32 v20, 32, v20
	v_lshrrev_b16_e32 v14, 3, v15
	v_subrev_u32_e32 v21, 28, v20
	v_and_b32_e32 v14, 15, v14
	v_lshlrev_b32_e32 v21, v21, v15
	v_sub_u32_e32 v20, 29, v20
	v_and_b32_e32 v21, 7, v21
	v_cmp_eq_u16_e32 vcc, 0, v14
	v_cndmask_b32_e32 v10, v10, v21, vcc
	v_cndmask_b32_e32 v14, v14, v20, vcc
	v_lshlrev_b32_e32 v20, 24, v15
	v_mov_b32_e32 v21, 0x3b800000
	v_lshlrev_b32_e32 v10, 20, v10
	v_and_b32_e32 v20, 0x80000000, v20
	v_lshl_add_u32 v14, v14, 23, v21
	v_or3_b32 v10, v20, v14, v10
.LBB37_804:
	s_or_b64 exec, exec, s[6:7]
	s_movk_i32 s4, 0x7f
	v_cmp_gt_i16_sdwa s[6:7], v11, s4 src0_sel:BYTE_0 src1_sel:DWORD
	s_mov_b64 s[4:5], 0
                                        ; implicit-def: $sgpr10
	s_and_saveexec_b64 s[8:9], s[6:7]
	s_xor_b64 s[6:7], exec, s[8:9]
	s_cbranch_execnz .LBB37_2853
; %bb.805:
	s_or_saveexec_b64 s[6:7], s[6:7]
	v_mov_b32_e32 v14, s10
	s_xor_b64 exec, exec, s[6:7]
	s_cbranch_execnz .LBB37_2856
.LBB37_806:
	s_or_b64 exec, exec, s[6:7]
	s_and_saveexec_b64 s[6:7], s[4:5]
	s_cbranch_execz .LBB37_808
.LBB37_807:
	v_and_b32_e32 v14, 7, v11
	v_ffbh_u32_e32 v21, v14
	v_min_u32_e32 v21, 32, v21
	v_lshrrev_b16_e32 v20, 3, v11
	v_subrev_u32_e32 v22, 28, v21
	v_and_b32_e32 v20, 15, v20
	v_lshlrev_b32_e32 v22, v22, v11
	v_sub_u32_e32 v21, 29, v21
	v_and_b32_e32 v22, 7, v22
	v_cmp_eq_u16_e32 vcc, 0, v20
	v_cndmask_b32_e32 v14, v14, v22, vcc
	v_cndmask_b32_e32 v20, v20, v21, vcc
	v_lshlrev_b32_e32 v21, 24, v11
	v_mov_b32_e32 v22, 0x3b800000
	v_lshlrev_b32_e32 v14, 20, v14
	v_and_b32_e32 v21, 0x80000000, v21
	v_lshl_add_u32 v20, v20, 23, v22
	v_or3_b32 v14, v21, v20, v14
.LBB37_808:
	s_or_b64 exec, exec, s[6:7]
	s_nop 0
	v_mfma_f32_16x16x4f32 a[0:3], v10, v14, a[0:3]
	v_lshrrev_b32_e32 v14, 8, v15
	s_movk_i32 s4, 0x7f
	v_cmp_gt_i16_sdwa s[6:7], v14, s4 src0_sel:BYTE_0 src1_sel:DWORD
	s_mov_b64 s[4:5], 0
                                        ; implicit-def: $sgpr10
	s_and_saveexec_b64 s[8:9], s[6:7]
	s_xor_b64 s[6:7], exec, s[8:9]
	s_cbranch_execnz .LBB37_2857
; %bb.809:
	s_or_saveexec_b64 s[6:7], s[6:7]
	v_mov_b32_e32 v10, s10
	s_xor_b64 exec, exec, s[6:7]
	s_cbranch_execnz .LBB37_2860
.LBB37_810:
	s_or_b64 exec, exec, s[6:7]
	s_and_saveexec_b64 s[6:7], s[4:5]
	s_cbranch_execz .LBB37_812
.LBB37_811:
	v_bfe_u32 v10, v15, 8, 3
	v_ffbh_u32_e32 v21, v10
	v_min_u32_e32 v21, 32, v21
	v_lshrrev_b16_e32 v20, 3, v14
	v_subrev_u32_e32 v22, 28, v21
	v_and_b32_e32 v20, 15, v20
	v_lshlrev_b32_e32 v14, v22, v14
	v_sub_u32_e32 v21, 29, v21
	v_and_b32_e32 v14, 7, v14
	v_cmp_eq_u16_e32 vcc, 0, v20
	v_cndmask_b32_e32 v10, v10, v14, vcc
	v_cndmask_b32_e32 v14, v20, v21, vcc
	v_lshlrev_b32_e32 v20, 16, v15
	v_mov_b32_e32 v21, 0x3b800000
	v_lshlrev_b32_e32 v10, 20, v10
	v_and_b32_e32 v20, 0x80000000, v20
	v_lshl_add_u32 v14, v14, 23, v21
	v_or3_b32 v10, v20, v14, v10
.LBB37_812:
	s_or_b64 exec, exec, s[6:7]
	v_lshrrev_b32_e32 v14, 8, v11
	s_movk_i32 s4, 0x7f
	v_cmp_gt_i16_sdwa s[6:7], v14, s4 src0_sel:BYTE_0 src1_sel:DWORD
	s_mov_b64 s[4:5], 0
                                        ; implicit-def: $sgpr10
	s_and_saveexec_b64 s[8:9], s[6:7]
	s_xor_b64 s[6:7], exec, s[8:9]
	s_cbranch_execnz .LBB37_2861
; %bb.813:
	s_or_saveexec_b64 s[6:7], s[6:7]
	v_mov_b32_e32 v20, s10
	s_xor_b64 exec, exec, s[6:7]
	s_cbranch_execnz .LBB37_2864
.LBB37_814:
	s_or_b64 exec, exec, s[6:7]
	s_and_saveexec_b64 s[6:7], s[4:5]
	s_cbranch_execz .LBB37_816
.LBB37_815:
	v_bfe_u32 v20, v11, 8, 3
	v_ffbh_u32_e32 v22, v20
	v_min_u32_e32 v22, 32, v22
	v_lshrrev_b16_e32 v21, 3, v14
	v_subrev_u32_e32 v23, 28, v22
	v_and_b32_e32 v21, 15, v21
	v_lshlrev_b32_e32 v14, v23, v14
	v_sub_u32_e32 v22, 29, v22
	v_and_b32_e32 v14, 7, v14
	v_cmp_eq_u16_e32 vcc, 0, v21
	v_cndmask_b32_e32 v14, v20, v14, vcc
	v_cndmask_b32_e32 v20, v21, v22, vcc
	v_lshlrev_b32_e32 v21, 16, v11
	v_mov_b32_e32 v22, 0x3b800000
	v_lshlrev_b32_e32 v14, 20, v14
	v_and_b32_e32 v21, 0x80000000, v21
	v_lshl_add_u32 v20, v20, 23, v22
	v_or3_b32 v20, v21, v20, v14
.LBB37_816:
	s_or_b64 exec, exec, s[6:7]
	s_nop 0
	v_mfma_f32_16x16x4f32 a[0:3], v10, v20, a[0:3]
	s_movk_i32 s4, 0xff
	v_and_b32_sdwa v14, v15, s4 dst_sel:DWORD dst_unused:UNUSED_PAD src0_sel:WORD_1 src1_sel:DWORD
	s_movk_i32 s4, 0x7f
	v_cmp_lt_i16_e32 vcc, s4, v14
	s_mov_b64 s[4:5], 0
                                        ; implicit-def: $sgpr10
	s_and_saveexec_b64 s[6:7], vcc
	s_xor_b64 s[6:7], exec, s[6:7]
	s_cbranch_execnz .LBB37_2865
; %bb.817:
	s_or_saveexec_b64 s[6:7], s[6:7]
	v_mov_b32_e32 v10, s10
	s_xor_b64 exec, exec, s[6:7]
	s_cbranch_execnz .LBB37_2868
.LBB37_818:
	s_or_b64 exec, exec, s[6:7]
	s_and_saveexec_b64 s[6:7], s[4:5]
	s_cbranch_execz .LBB37_820
.LBB37_819:
	v_bfe_u32 v10, v15, 16, 3
	v_ffbh_u32_e32 v21, v10
	v_min_u32_e32 v21, 32, v21
	v_lshrrev_b32_e32 v14, 19, v15
	v_subrev_u32_e32 v22, 28, v21
	v_and_b32_e32 v14, 15, v14
	v_lshlrev_b32_sdwa v22, v22, v15 dst_sel:DWORD dst_unused:UNUSED_PAD src0_sel:DWORD src1_sel:WORD_1
	v_bfe_u32 v20, v15, 19, 4
	v_sub_u32_e32 v21, 29, v21
	v_and_b32_e32 v22, 7, v22
	v_cmp_eq_u16_e32 vcc, 0, v14
	v_cndmask_b32_e32 v10, v10, v22, vcc
	v_cndmask_b32_e32 v14, v20, v21, vcc
	v_lshlrev_b32_e32 v20, 8, v15
	v_mov_b32_e32 v21, 0x3b800000
	v_lshlrev_b32_e32 v10, 20, v10
	v_and_b32_e32 v20, 0x80000000, v20
	v_lshl_add_u32 v14, v14, 23, v21
	v_or3_b32 v10, v20, v14, v10
.LBB37_820:
	s_or_b64 exec, exec, s[6:7]
	s_movk_i32 s4, 0xff
	v_and_b32_sdwa v14, v11, s4 dst_sel:DWORD dst_unused:UNUSED_PAD src0_sel:WORD_1 src1_sel:DWORD
	s_movk_i32 s4, 0x7f
	v_cmp_lt_i16_e32 vcc, s4, v14
	s_mov_b64 s[4:5], 0
                                        ; implicit-def: $sgpr10
	s_and_saveexec_b64 s[6:7], vcc
	s_xor_b64 s[6:7], exec, s[6:7]
	s_cbranch_execnz .LBB37_2869
; %bb.821:
	s_or_saveexec_b64 s[6:7], s[6:7]
	v_mov_b32_e32 v20, s10
	s_xor_b64 exec, exec, s[6:7]
	s_cbranch_execnz .LBB37_2872
.LBB37_822:
	s_or_b64 exec, exec, s[6:7]
	s_and_saveexec_b64 s[6:7], s[4:5]
	s_cbranch_execz .LBB37_824
.LBB37_823:
	v_bfe_u32 v14, v11, 16, 3
	v_ffbh_u32_e32 v22, v14
	v_min_u32_e32 v22, 32, v22
	v_lshrrev_b32_e32 v20, 19, v11
	v_subrev_u32_e32 v23, 28, v22
	v_and_b32_e32 v20, 15, v20
	v_lshlrev_b32_sdwa v23, v23, v11 dst_sel:DWORD dst_unused:UNUSED_PAD src0_sel:DWORD src1_sel:WORD_1
	v_bfe_u32 v21, v11, 19, 4
	v_sub_u32_e32 v22, 29, v22
	v_and_b32_e32 v23, 7, v23
	v_cmp_eq_u16_e32 vcc, 0, v20
	v_cndmask_b32_e32 v14, v14, v23, vcc
	v_cndmask_b32_e32 v20, v21, v22, vcc
	v_lshlrev_b32_e32 v21, 8, v11
	v_mov_b32_e32 v22, 0x3b800000
	v_lshlrev_b32_e32 v14, 20, v14
	v_and_b32_e32 v21, 0x80000000, v21
	v_lshl_add_u32 v20, v20, 23, v22
	v_or3_b32 v20, v21, v20, v14
.LBB37_824:
	s_or_b64 exec, exec, s[6:7]
	s_nop 0
	v_mfma_f32_16x16x4f32 a[0:3], v10, v20, a[0:3]
	s_movk_i32 s4, 0x7f
	v_cmp_gt_i16_sdwa s[6:7], v15, s4 src0_sel:BYTE_3 src1_sel:DWORD
	s_mov_b64 s[4:5], 0
                                        ; implicit-def: $sgpr10
	s_and_saveexec_b64 s[8:9], s[6:7]
	s_xor_b64 s[6:7], exec, s[8:9]
	s_cbranch_execnz .LBB37_2873
; %bb.825:
	s_or_saveexec_b64 s[6:7], s[6:7]
	v_mov_b32_e32 v10, s10
	s_xor_b64 exec, exec, s[6:7]
	s_cbranch_execnz .LBB37_2876
.LBB37_826:
	s_or_b64 exec, exec, s[6:7]
	s_and_saveexec_b64 s[6:7], s[4:5]
	s_cbranch_execz .LBB37_828
.LBB37_827:
	v_bfe_u32 v10, v15, 24, 3
	v_ffbh_u32_e32 v22, v10
	v_min_u32_e32 v22, 32, v22
	v_lshrrev_b32_e32 v20, 27, v15
	v_subrev_u32_e32 v23, 28, v22
	v_and_b32_e32 v14, 0x80000000, v15
	v_and_b32_e32 v20, 15, v20
	v_bfe_u32 v21, v15, 27, 4
	v_lshlrev_b32_sdwa v15, v23, v15 dst_sel:DWORD dst_unused:UNUSED_PAD src0_sel:DWORD src1_sel:BYTE_3
	v_sub_u32_e32 v22, 29, v22
	v_and_b32_e32 v15, 7, v15
	v_cmp_eq_u16_e32 vcc, 0, v20
	v_cndmask_b32_e32 v10, v10, v15, vcc
	v_cndmask_b32_e32 v15, v21, v22, vcc
	v_mov_b32_e32 v20, 0x3b800000
	v_lshlrev_b32_e32 v10, 20, v10
	v_lshl_add_u32 v15, v15, 23, v20
	v_or3_b32 v10, v14, v15, v10
.LBB37_828:
	s_or_b64 exec, exec, s[6:7]
	s_movk_i32 s4, 0x7f
	v_cmp_gt_i16_sdwa s[6:7], v11, s4 src0_sel:BYTE_3 src1_sel:DWORD
	s_mov_b64 s[4:5], 0
                                        ; implicit-def: $sgpr10
	s_and_saveexec_b64 s[8:9], s[6:7]
	s_xor_b64 s[6:7], exec, s[8:9]
	s_cbranch_execnz .LBB37_2877
; %bb.829:
	s_or_saveexec_b64 s[6:7], s[6:7]
	v_mov_b32_e32 v14, s10
	s_xor_b64 exec, exec, s[6:7]
	s_cbranch_execnz .LBB37_2880
.LBB37_830:
	s_or_b64 exec, exec, s[6:7]
	s_and_saveexec_b64 s[6:7], s[4:5]
	s_cbranch_execz .LBB37_832
.LBB37_831:
	v_bfe_u32 v14, v11, 24, 3
	v_ffbh_u32_e32 v22, v14
	v_min_u32_e32 v22, 32, v22
	v_lshrrev_b32_e32 v20, 27, v11
	v_subrev_u32_e32 v23, 28, v22
	v_and_b32_e32 v15, 0x80000000, v11
	v_and_b32_e32 v20, 15, v20
	v_bfe_u32 v21, v11, 27, 4
	v_lshlrev_b32_sdwa v11, v23, v11 dst_sel:DWORD dst_unused:UNUSED_PAD src0_sel:DWORD src1_sel:BYTE_3
	v_sub_u32_e32 v22, 29, v22
	v_and_b32_e32 v11, 7, v11
	v_cmp_eq_u16_e32 vcc, 0, v20
	v_cndmask_b32_e32 v11, v14, v11, vcc
	v_cndmask_b32_e32 v14, v21, v22, vcc
	v_mov_b32_e32 v20, 0x3b800000
	v_lshlrev_b32_e32 v11, 20, v11
	v_lshl_add_u32 v14, v14, 23, v20
	v_or3_b32 v14, v15, v14, v11
.LBB37_832:
	s_or_b64 exec, exec, s[6:7]
	s_nop 0
	v_mfma_f32_16x16x4f32 a[0:3], v10, v14, a[0:3]
	s_movk_i32 s4, 0x7f
	v_cmp_gt_i16_sdwa s[6:7], v16, s4 src0_sel:BYTE_0 src1_sel:DWORD
	s_mov_b64 s[4:5], 0
                                        ; implicit-def: $sgpr10
	s_and_saveexec_b64 s[8:9], s[6:7]
	s_xor_b64 s[6:7], exec, s[8:9]
	s_cbranch_execnz .LBB37_2881
; %bb.833:
	s_or_saveexec_b64 s[6:7], s[6:7]
	v_mov_b32_e32 v10, s10
	s_xor_b64 exec, exec, s[6:7]
	s_cbranch_execnz .LBB37_2884
.LBB37_834:
	s_or_b64 exec, exec, s[6:7]
	s_and_saveexec_b64 s[6:7], s[4:5]
	s_cbranch_execz .LBB37_836
.LBB37_835:
	v_and_b32_e32 v10, 7, v16
	v_ffbh_u32_e32 v14, v10
	v_min_u32_e32 v14, 32, v14
	v_lshrrev_b16_e32 v11, 3, v16
	v_subrev_u32_e32 v15, 28, v14
	v_and_b32_e32 v11, 15, v11
	v_lshlrev_b32_e32 v15, v15, v16
	v_sub_u32_e32 v14, 29, v14
	v_and_b32_e32 v15, 7, v15
	v_cmp_eq_u16_e32 vcc, 0, v11
	v_cndmask_b32_e32 v10, v10, v15, vcc
	v_cndmask_b32_e32 v11, v11, v14, vcc
	v_lshlrev_b32_e32 v14, 24, v16
	v_mov_b32_e32 v15, 0x3b800000
	v_lshlrev_b32_e32 v10, 20, v10
	v_and_b32_e32 v14, 0x80000000, v14
	v_lshl_add_u32 v11, v11, 23, v15
	v_or3_b32 v10, v14, v11, v10
.LBB37_836:
	s_or_b64 exec, exec, s[6:7]
	s_movk_i32 s4, 0x7f
	v_cmp_gt_i16_sdwa s[6:7], v12, s4 src0_sel:BYTE_0 src1_sel:DWORD
	s_mov_b64 s[4:5], 0
                                        ; implicit-def: $sgpr10
	s_and_saveexec_b64 s[8:9], s[6:7]
	s_xor_b64 s[6:7], exec, s[8:9]
	s_cbranch_execnz .LBB37_2885
; %bb.837:
	s_or_saveexec_b64 s[6:7], s[6:7]
	v_mov_b32_e32 v11, s10
	s_xor_b64 exec, exec, s[6:7]
	s_cbranch_execnz .LBB37_2888
.LBB37_838:
	s_or_b64 exec, exec, s[6:7]
	s_and_saveexec_b64 s[6:7], s[4:5]
	s_cbranch_execz .LBB37_840
.LBB37_839:
	v_and_b32_e32 v11, 7, v12
	v_ffbh_u32_e32 v15, v11
	v_min_u32_e32 v15, 32, v15
	v_lshrrev_b16_e32 v14, 3, v12
	v_subrev_u32_e32 v20, 28, v15
	v_and_b32_e32 v14, 15, v14
	v_lshlrev_b32_e32 v20, v20, v12
	v_sub_u32_e32 v15, 29, v15
	v_and_b32_e32 v20, 7, v20
	v_cmp_eq_u16_e32 vcc, 0, v14
	v_cndmask_b32_e32 v11, v11, v20, vcc
	v_cndmask_b32_e32 v14, v14, v15, vcc
	v_lshlrev_b32_e32 v15, 24, v12
	v_mov_b32_e32 v20, 0x3b800000
	v_lshlrev_b32_e32 v11, 20, v11
	v_and_b32_e32 v15, 0x80000000, v15
	v_lshl_add_u32 v14, v14, 23, v20
	v_or3_b32 v11, v15, v14, v11
.LBB37_840:
	s_or_b64 exec, exec, s[6:7]
	s_nop 0
	v_mfma_f32_16x16x4f32 a[0:3], v10, v11, a[0:3]
	v_lshrrev_b32_e32 v11, 8, v16
	s_movk_i32 s4, 0x7f
	v_cmp_gt_i16_sdwa s[6:7], v11, s4 src0_sel:BYTE_0 src1_sel:DWORD
	s_mov_b64 s[4:5], 0
                                        ; implicit-def: $sgpr10
	s_and_saveexec_b64 s[8:9], s[6:7]
	s_xor_b64 s[6:7], exec, s[8:9]
	s_cbranch_execnz .LBB37_2889
; %bb.841:
	s_or_saveexec_b64 s[6:7], s[6:7]
	v_mov_b32_e32 v10, s10
	s_xor_b64 exec, exec, s[6:7]
	s_cbranch_execnz .LBB37_2892
.LBB37_842:
	s_or_b64 exec, exec, s[6:7]
	s_and_saveexec_b64 s[6:7], s[4:5]
	s_cbranch_execz .LBB37_844
.LBB37_843:
	v_bfe_u32 v10, v16, 8, 3
	v_ffbh_u32_e32 v15, v10
	v_min_u32_e32 v15, 32, v15
	v_lshrrev_b16_e32 v14, 3, v11
	v_subrev_u32_e32 v20, 28, v15
	v_and_b32_e32 v14, 15, v14
	v_lshlrev_b32_e32 v11, v20, v11
	v_sub_u32_e32 v15, 29, v15
	v_and_b32_e32 v11, 7, v11
	v_cmp_eq_u16_e32 vcc, 0, v14
	v_cndmask_b32_e32 v10, v10, v11, vcc
	v_cndmask_b32_e32 v11, v14, v15, vcc
	v_lshlrev_b32_e32 v14, 16, v16
	v_mov_b32_e32 v15, 0x3b800000
	v_lshlrev_b32_e32 v10, 20, v10
	v_and_b32_e32 v14, 0x80000000, v14
	v_lshl_add_u32 v11, v11, 23, v15
	v_or3_b32 v10, v14, v11, v10
.LBB37_844:
	s_or_b64 exec, exec, s[6:7]
	v_lshrrev_b32_e32 v11, 8, v12
	s_movk_i32 s4, 0x7f
	v_cmp_gt_i16_sdwa s[6:7], v11, s4 src0_sel:BYTE_0 src1_sel:DWORD
	s_mov_b64 s[4:5], 0
                                        ; implicit-def: $sgpr10
	s_and_saveexec_b64 s[8:9], s[6:7]
	s_xor_b64 s[6:7], exec, s[8:9]
	s_cbranch_execnz .LBB37_2893
; %bb.845:
	s_or_saveexec_b64 s[6:7], s[6:7]
	v_mov_b32_e32 v14, s10
	s_xor_b64 exec, exec, s[6:7]
	s_cbranch_execnz .LBB37_2896
.LBB37_846:
	s_or_b64 exec, exec, s[6:7]
	s_and_saveexec_b64 s[6:7], s[4:5]
	s_cbranch_execz .LBB37_848
.LBB37_847:
	v_bfe_u32 v14, v12, 8, 3
	v_ffbh_u32_e32 v20, v14
	v_min_u32_e32 v20, 32, v20
	v_lshrrev_b16_e32 v15, 3, v11
	v_subrev_u32_e32 v21, 28, v20
	v_and_b32_e32 v15, 15, v15
	v_lshlrev_b32_e32 v11, v21, v11
	v_sub_u32_e32 v20, 29, v20
	v_and_b32_e32 v11, 7, v11
	v_cmp_eq_u16_e32 vcc, 0, v15
	v_cndmask_b32_e32 v11, v14, v11, vcc
	v_cndmask_b32_e32 v14, v15, v20, vcc
	v_lshlrev_b32_e32 v15, 16, v12
	v_mov_b32_e32 v20, 0x3b800000
	v_lshlrev_b32_e32 v11, 20, v11
	v_and_b32_e32 v15, 0x80000000, v15
	v_lshl_add_u32 v14, v14, 23, v20
	v_or3_b32 v14, v15, v14, v11
.LBB37_848:
	s_or_b64 exec, exec, s[6:7]
	s_nop 0
	v_mfma_f32_16x16x4f32 a[0:3], v10, v14, a[0:3]
	s_movk_i32 s4, 0xff
	v_and_b32_sdwa v11, v16, s4 dst_sel:DWORD dst_unused:UNUSED_PAD src0_sel:WORD_1 src1_sel:DWORD
	s_movk_i32 s4, 0x7f
	v_cmp_lt_i16_e32 vcc, s4, v11
	s_mov_b64 s[4:5], 0
                                        ; implicit-def: $sgpr10
	s_and_saveexec_b64 s[6:7], vcc
	s_xor_b64 s[6:7], exec, s[6:7]
	s_cbranch_execnz .LBB37_2897
; %bb.849:
	s_or_saveexec_b64 s[6:7], s[6:7]
	v_mov_b32_e32 v10, s10
	s_xor_b64 exec, exec, s[6:7]
	s_cbranch_execnz .LBB37_2900
.LBB37_850:
	s_or_b64 exec, exec, s[6:7]
	s_and_saveexec_b64 s[6:7], s[4:5]
	s_cbranch_execz .LBB37_852
.LBB37_851:
	v_bfe_u32 v10, v16, 16, 3
	v_ffbh_u32_e32 v15, v10
	v_min_u32_e32 v15, 32, v15
	v_lshrrev_b32_e32 v11, 19, v16
	v_subrev_u32_e32 v20, 28, v15
	v_and_b32_e32 v11, 15, v11
	v_lshlrev_b32_sdwa v20, v20, v16 dst_sel:DWORD dst_unused:UNUSED_PAD src0_sel:DWORD src1_sel:WORD_1
	v_bfe_u32 v14, v16, 19, 4
	v_sub_u32_e32 v15, 29, v15
	v_and_b32_e32 v20, 7, v20
	v_cmp_eq_u16_e32 vcc, 0, v11
	v_cndmask_b32_e32 v10, v10, v20, vcc
	v_cndmask_b32_e32 v11, v14, v15, vcc
	v_lshlrev_b32_e32 v14, 8, v16
	v_mov_b32_e32 v15, 0x3b800000
	v_lshlrev_b32_e32 v10, 20, v10
	v_and_b32_e32 v14, 0x80000000, v14
	v_lshl_add_u32 v11, v11, 23, v15
	v_or3_b32 v10, v14, v11, v10
.LBB37_852:
	s_or_b64 exec, exec, s[6:7]
	s_movk_i32 s4, 0xff
	v_and_b32_sdwa v11, v12, s4 dst_sel:DWORD dst_unused:UNUSED_PAD src0_sel:WORD_1 src1_sel:DWORD
	s_movk_i32 s4, 0x7f
	v_cmp_lt_i16_e32 vcc, s4, v11
	s_mov_b64 s[4:5], 0
                                        ; implicit-def: $sgpr10
	s_and_saveexec_b64 s[6:7], vcc
	s_xor_b64 s[6:7], exec, s[6:7]
	s_cbranch_execnz .LBB37_2901
; %bb.853:
	s_or_saveexec_b64 s[6:7], s[6:7]
	v_mov_b32_e32 v14, s10
	s_xor_b64 exec, exec, s[6:7]
	s_cbranch_execnz .LBB37_2904
.LBB37_854:
	s_or_b64 exec, exec, s[6:7]
	s_and_saveexec_b64 s[6:7], s[4:5]
	s_cbranch_execz .LBB37_856
.LBB37_855:
	v_bfe_u32 v11, v12, 16, 3
	v_ffbh_u32_e32 v20, v11
	v_min_u32_e32 v20, 32, v20
	v_lshrrev_b32_e32 v14, 19, v12
	v_subrev_u32_e32 v21, 28, v20
	v_and_b32_e32 v14, 15, v14
	v_lshlrev_b32_sdwa v21, v21, v12 dst_sel:DWORD dst_unused:UNUSED_PAD src0_sel:DWORD src1_sel:WORD_1
	v_bfe_u32 v15, v12, 19, 4
	v_sub_u32_e32 v20, 29, v20
	v_and_b32_e32 v21, 7, v21
	v_cmp_eq_u16_e32 vcc, 0, v14
	v_cndmask_b32_e32 v11, v11, v21, vcc
	v_cndmask_b32_e32 v14, v15, v20, vcc
	v_lshlrev_b32_e32 v15, 8, v12
	v_mov_b32_e32 v20, 0x3b800000
	v_lshlrev_b32_e32 v11, 20, v11
	v_and_b32_e32 v15, 0x80000000, v15
	v_lshl_add_u32 v14, v14, 23, v20
	v_or3_b32 v14, v15, v14, v11
.LBB37_856:
	s_or_b64 exec, exec, s[6:7]
	s_nop 0
	v_mfma_f32_16x16x4f32 a[0:3], v10, v14, a[0:3]
	s_movk_i32 s4, 0x7f
	v_cmp_gt_i16_sdwa s[6:7], v16, s4 src0_sel:BYTE_3 src1_sel:DWORD
	s_mov_b64 s[4:5], 0
                                        ; implicit-def: $sgpr10
	s_and_saveexec_b64 s[8:9], s[6:7]
	s_xor_b64 s[6:7], exec, s[8:9]
	s_cbranch_execnz .LBB37_2905
; %bb.857:
	s_or_saveexec_b64 s[6:7], s[6:7]
	v_mov_b32_e32 v10, s10
	s_xor_b64 exec, exec, s[6:7]
	s_cbranch_execnz .LBB37_2908
.LBB37_858:
	s_or_b64 exec, exec, s[6:7]
	s_and_saveexec_b64 s[6:7], s[4:5]
	s_cbranch_execz .LBB37_860
.LBB37_859:
	v_bfe_u32 v10, v16, 24, 3
	v_ffbh_u32_e32 v20, v10
	v_min_u32_e32 v20, 32, v20
	v_lshrrev_b32_e32 v14, 27, v16
	v_subrev_u32_e32 v21, 28, v20
	v_and_b32_e32 v11, 0x80000000, v16
	v_and_b32_e32 v14, 15, v14
	v_bfe_u32 v15, v16, 27, 4
	v_lshlrev_b32_sdwa v16, v21, v16 dst_sel:DWORD dst_unused:UNUSED_PAD src0_sel:DWORD src1_sel:BYTE_3
	v_sub_u32_e32 v20, 29, v20
	v_and_b32_e32 v16, 7, v16
	v_cmp_eq_u16_e32 vcc, 0, v14
	v_cndmask_b32_e32 v10, v10, v16, vcc
	v_cndmask_b32_e32 v14, v15, v20, vcc
	v_mov_b32_e32 v15, 0x3b800000
	v_lshlrev_b32_e32 v10, 20, v10
	v_lshl_add_u32 v14, v14, 23, v15
	v_or3_b32 v10, v11, v14, v10
.LBB37_860:
	s_or_b64 exec, exec, s[6:7]
	s_movk_i32 s4, 0x7f
	v_cmp_gt_i16_sdwa s[6:7], v12, s4 src0_sel:BYTE_3 src1_sel:DWORD
	s_mov_b64 s[4:5], 0
                                        ; implicit-def: $sgpr10
	s_and_saveexec_b64 s[8:9], s[6:7]
	s_xor_b64 s[6:7], exec, s[8:9]
	s_cbranch_execnz .LBB37_2909
; %bb.861:
	s_or_saveexec_b64 s[6:7], s[6:7]
	v_mov_b32_e32 v11, s10
	s_xor_b64 exec, exec, s[6:7]
	s_cbranch_execnz .LBB37_2912
.LBB37_862:
	s_or_b64 exec, exec, s[6:7]
	s_and_saveexec_b64 s[6:7], s[4:5]
	s_cbranch_execz .LBB37_864
.LBB37_863:
	v_bfe_u32 v11, v12, 24, 3
	v_ffbh_u32_e32 v20, v11
	v_min_u32_e32 v20, 32, v20
	v_lshrrev_b32_e32 v15, 27, v12
	v_subrev_u32_e32 v21, 28, v20
	v_and_b32_e32 v14, 0x80000000, v12
	v_and_b32_e32 v15, 15, v15
	v_bfe_u32 v16, v12, 27, 4
	v_lshlrev_b32_sdwa v12, v21, v12 dst_sel:DWORD dst_unused:UNUSED_PAD src0_sel:DWORD src1_sel:BYTE_3
	v_sub_u32_e32 v20, 29, v20
	v_and_b32_e32 v12, 7, v12
	v_cmp_eq_u16_e32 vcc, 0, v15
	v_cndmask_b32_e32 v11, v11, v12, vcc
	v_cndmask_b32_e32 v12, v16, v20, vcc
	v_mov_b32_e32 v15, 0x3b800000
	v_lshlrev_b32_e32 v11, 20, v11
	v_lshl_add_u32 v12, v12, 23, v15
	v_or3_b32 v11, v14, v12, v11
.LBB37_864:
	s_or_b64 exec, exec, s[6:7]
	s_nop 0
	v_mfma_f32_16x16x4f32 a[0:3], v10, v11, a[0:3]
	s_movk_i32 s4, 0x7f
	v_cmp_gt_i16_sdwa s[6:7], v17, s4 src0_sel:BYTE_0 src1_sel:DWORD
	s_mov_b64 s[4:5], 0
                                        ; implicit-def: $sgpr10
	s_and_saveexec_b64 s[8:9], s[6:7]
	s_xor_b64 s[6:7], exec, s[8:9]
	s_cbranch_execnz .LBB37_2913
; %bb.865:
	s_or_saveexec_b64 s[6:7], s[6:7]
	v_mov_b32_e32 v10, s10
	s_xor_b64 exec, exec, s[6:7]
	s_cbranch_execnz .LBB37_2916
.LBB37_866:
	s_or_b64 exec, exec, s[6:7]
	s_and_saveexec_b64 s[6:7], s[4:5]
	s_cbranch_execz .LBB37_868
.LBB37_867:
	v_and_b32_e32 v10, 7, v17
	v_ffbh_u32_e32 v12, v10
	v_min_u32_e32 v12, 32, v12
	v_lshrrev_b16_e32 v11, 3, v17
	v_subrev_u32_e32 v14, 28, v12
	v_and_b32_e32 v11, 15, v11
	v_lshlrev_b32_e32 v14, v14, v17
	v_sub_u32_e32 v12, 29, v12
	v_and_b32_e32 v14, 7, v14
	v_cmp_eq_u16_e32 vcc, 0, v11
	v_cndmask_b32_e32 v10, v10, v14, vcc
	v_cndmask_b32_e32 v11, v11, v12, vcc
	v_lshlrev_b32_e32 v12, 24, v17
	v_mov_b32_e32 v14, 0x3b800000
	v_lshlrev_b32_e32 v10, 20, v10
	v_and_b32_e32 v12, 0x80000000, v12
	v_lshl_add_u32 v11, v11, 23, v14
	v_or3_b32 v10, v12, v11, v10
.LBB37_868:
	s_or_b64 exec, exec, s[6:7]
	s_movk_i32 s4, 0x7f
	v_cmp_gt_i16_sdwa s[6:7], v13, s4 src0_sel:BYTE_0 src1_sel:DWORD
	s_mov_b64 s[4:5], 0
                                        ; implicit-def: $sgpr10
	s_and_saveexec_b64 s[8:9], s[6:7]
	s_xor_b64 s[6:7], exec, s[8:9]
	s_cbranch_execnz .LBB37_2917
; %bb.869:
	s_or_saveexec_b64 s[6:7], s[6:7]
	v_mov_b32_e32 v11, s10
	s_xor_b64 exec, exec, s[6:7]
	s_cbranch_execnz .LBB37_2920
.LBB37_870:
	s_or_b64 exec, exec, s[6:7]
	s_and_saveexec_b64 s[6:7], s[4:5]
	s_cbranch_execz .LBB37_872
.LBB37_871:
	v_and_b32_e32 v11, 7, v13
	v_ffbh_u32_e32 v14, v11
	v_min_u32_e32 v14, 32, v14
	v_lshrrev_b16_e32 v12, 3, v13
	v_subrev_u32_e32 v15, 28, v14
	v_and_b32_e32 v12, 15, v12
	v_lshlrev_b32_e32 v15, v15, v13
	v_sub_u32_e32 v14, 29, v14
	v_and_b32_e32 v15, 7, v15
	v_cmp_eq_u16_e32 vcc, 0, v12
	v_cndmask_b32_e32 v11, v11, v15, vcc
	v_cndmask_b32_e32 v12, v12, v14, vcc
	v_lshlrev_b32_e32 v14, 24, v13
	v_mov_b32_e32 v15, 0x3b800000
	v_lshlrev_b32_e32 v11, 20, v11
	v_and_b32_e32 v14, 0x80000000, v14
	v_lshl_add_u32 v12, v12, 23, v15
	v_or3_b32 v11, v14, v12, v11
.LBB37_872:
	s_or_b64 exec, exec, s[6:7]
	s_nop 0
	v_mfma_f32_16x16x4f32 a[0:3], v10, v11, a[0:3]
	v_lshrrev_b32_e32 v11, 8, v17
	s_movk_i32 s4, 0x7f
	v_cmp_gt_i16_sdwa s[6:7], v11, s4 src0_sel:BYTE_0 src1_sel:DWORD
	s_mov_b64 s[4:5], 0
                                        ; implicit-def: $sgpr10
	s_and_saveexec_b64 s[8:9], s[6:7]
	s_xor_b64 s[6:7], exec, s[8:9]
	s_cbranch_execnz .LBB37_2921
; %bb.873:
	s_or_saveexec_b64 s[6:7], s[6:7]
	v_mov_b32_e32 v10, s10
	s_xor_b64 exec, exec, s[6:7]
	s_cbranch_execnz .LBB37_2924
.LBB37_874:
	s_or_b64 exec, exec, s[6:7]
	s_and_saveexec_b64 s[6:7], s[4:5]
	s_cbranch_execz .LBB37_876
.LBB37_875:
	v_bfe_u32 v10, v17, 8, 3
	v_ffbh_u32_e32 v14, v10
	v_min_u32_e32 v14, 32, v14
	v_lshrrev_b16_e32 v12, 3, v11
	v_subrev_u32_e32 v15, 28, v14
	v_and_b32_e32 v12, 15, v12
	v_lshlrev_b32_e32 v11, v15, v11
	v_sub_u32_e32 v14, 29, v14
	v_and_b32_e32 v11, 7, v11
	v_cmp_eq_u16_e32 vcc, 0, v12
	v_cndmask_b32_e32 v10, v10, v11, vcc
	v_cndmask_b32_e32 v11, v12, v14, vcc
	v_lshlrev_b32_e32 v12, 16, v17
	v_mov_b32_e32 v14, 0x3b800000
	v_lshlrev_b32_e32 v10, 20, v10
	v_and_b32_e32 v12, 0x80000000, v12
	v_lshl_add_u32 v11, v11, 23, v14
	v_or3_b32 v10, v12, v11, v10
.LBB37_876:
	s_or_b64 exec, exec, s[6:7]
	v_lshrrev_b32_e32 v11, 8, v13
	s_movk_i32 s4, 0x7f
	v_cmp_gt_i16_sdwa s[6:7], v11, s4 src0_sel:BYTE_0 src1_sel:DWORD
	s_mov_b64 s[4:5], 0
                                        ; implicit-def: $sgpr10
	s_and_saveexec_b64 s[8:9], s[6:7]
	s_xor_b64 s[6:7], exec, s[8:9]
	s_cbranch_execnz .LBB37_2925
; %bb.877:
	s_or_saveexec_b64 s[6:7], s[6:7]
	v_mov_b32_e32 v12, s10
	s_xor_b64 exec, exec, s[6:7]
	s_cbranch_execnz .LBB37_2928
.LBB37_878:
	s_or_b64 exec, exec, s[6:7]
	s_and_saveexec_b64 s[6:7], s[4:5]
	s_cbranch_execz .LBB37_880
.LBB37_879:
	v_bfe_u32 v12, v13, 8, 3
	v_ffbh_u32_e32 v15, v12
	v_min_u32_e32 v15, 32, v15
	v_lshrrev_b16_e32 v14, 3, v11
	v_subrev_u32_e32 v16, 28, v15
	v_and_b32_e32 v14, 15, v14
	v_lshlrev_b32_e32 v11, v16, v11
	v_sub_u32_e32 v15, 29, v15
	v_and_b32_e32 v11, 7, v11
	v_cmp_eq_u16_e32 vcc, 0, v14
	v_cndmask_b32_e32 v11, v12, v11, vcc
	v_cndmask_b32_e32 v12, v14, v15, vcc
	v_lshlrev_b32_e32 v14, 16, v13
	v_mov_b32_e32 v15, 0x3b800000
	v_lshlrev_b32_e32 v11, 20, v11
	v_and_b32_e32 v14, 0x80000000, v14
	v_lshl_add_u32 v12, v12, 23, v15
	v_or3_b32 v12, v14, v12, v11
.LBB37_880:
	s_or_b64 exec, exec, s[6:7]
	s_nop 0
	v_mfma_f32_16x16x4f32 a[0:3], v10, v12, a[0:3]
	s_movk_i32 s4, 0xff
	v_and_b32_sdwa v11, v17, s4 dst_sel:DWORD dst_unused:UNUSED_PAD src0_sel:WORD_1 src1_sel:DWORD
	s_movk_i32 s4, 0x7f
	v_cmp_lt_i16_e32 vcc, s4, v11
	s_mov_b64 s[4:5], 0
                                        ; implicit-def: $sgpr10
	s_and_saveexec_b64 s[6:7], vcc
	s_xor_b64 s[6:7], exec, s[6:7]
	s_cbranch_execnz .LBB37_2929
; %bb.881:
	s_or_saveexec_b64 s[6:7], s[6:7]
	v_mov_b32_e32 v10, s10
	s_xor_b64 exec, exec, s[6:7]
	s_cbranch_execnz .LBB37_2932
.LBB37_882:
	s_or_b64 exec, exec, s[6:7]
	s_and_saveexec_b64 s[6:7], s[4:5]
	s_cbranch_execz .LBB37_884
.LBB37_883:
	v_bfe_u32 v10, v17, 16, 3
	v_ffbh_u32_e32 v14, v10
	v_min_u32_e32 v14, 32, v14
	v_lshrrev_b32_e32 v11, 19, v17
	v_subrev_u32_e32 v15, 28, v14
	v_and_b32_e32 v11, 15, v11
	v_lshlrev_b32_sdwa v15, v15, v17 dst_sel:DWORD dst_unused:UNUSED_PAD src0_sel:DWORD src1_sel:WORD_1
	v_bfe_u32 v12, v17, 19, 4
	v_sub_u32_e32 v14, 29, v14
	v_and_b32_e32 v15, 7, v15
	v_cmp_eq_u16_e32 vcc, 0, v11
	v_cndmask_b32_e32 v10, v10, v15, vcc
	v_cndmask_b32_e32 v11, v12, v14, vcc
	v_lshlrev_b32_e32 v12, 8, v17
	v_mov_b32_e32 v14, 0x3b800000
	v_lshlrev_b32_e32 v10, 20, v10
	v_and_b32_e32 v12, 0x80000000, v12
	v_lshl_add_u32 v11, v11, 23, v14
	v_or3_b32 v10, v12, v11, v10
.LBB37_884:
	s_or_b64 exec, exec, s[6:7]
	s_movk_i32 s4, 0xff
	v_and_b32_sdwa v11, v13, s4 dst_sel:DWORD dst_unused:UNUSED_PAD src0_sel:WORD_1 src1_sel:DWORD
	s_movk_i32 s4, 0x7f
	v_cmp_lt_i16_e32 vcc, s4, v11
	s_mov_b64 s[4:5], 0
                                        ; implicit-def: $sgpr10
	s_and_saveexec_b64 s[6:7], vcc
	s_xor_b64 s[6:7], exec, s[6:7]
	s_cbranch_execnz .LBB37_2933
; %bb.885:
	s_or_saveexec_b64 s[6:7], s[6:7]
	v_mov_b32_e32 v12, s10
	s_xor_b64 exec, exec, s[6:7]
	s_cbranch_execnz .LBB37_2936
.LBB37_886:
	s_or_b64 exec, exec, s[6:7]
	s_and_saveexec_b64 s[6:7], s[4:5]
	s_cbranch_execz .LBB37_888
.LBB37_887:
	v_bfe_u32 v11, v13, 16, 3
	v_ffbh_u32_e32 v15, v11
	v_min_u32_e32 v15, 32, v15
	v_lshrrev_b32_e32 v12, 19, v13
	v_subrev_u32_e32 v16, 28, v15
	v_and_b32_e32 v12, 15, v12
	v_lshlrev_b32_sdwa v16, v16, v13 dst_sel:DWORD dst_unused:UNUSED_PAD src0_sel:DWORD src1_sel:WORD_1
	v_bfe_u32 v14, v13, 19, 4
	v_sub_u32_e32 v15, 29, v15
	v_and_b32_e32 v16, 7, v16
	v_cmp_eq_u16_e32 vcc, 0, v12
	v_cndmask_b32_e32 v11, v11, v16, vcc
	v_cndmask_b32_e32 v12, v14, v15, vcc
	v_lshlrev_b32_e32 v14, 8, v13
	v_mov_b32_e32 v15, 0x3b800000
	v_lshlrev_b32_e32 v11, 20, v11
	v_and_b32_e32 v14, 0x80000000, v14
	v_lshl_add_u32 v12, v12, 23, v15
	v_or3_b32 v12, v14, v12, v11
.LBB37_888:
	s_or_b64 exec, exec, s[6:7]
	s_nop 0
	v_mfma_f32_16x16x4f32 a[0:3], v10, v12, a[0:3]
	s_movk_i32 s4, 0x7f
	v_cmp_gt_i16_sdwa s[6:7], v17, s4 src0_sel:BYTE_3 src1_sel:DWORD
	s_mov_b64 s[4:5], 0
                                        ; implicit-def: $sgpr10
	s_and_saveexec_b64 s[8:9], s[6:7]
	s_xor_b64 s[6:7], exec, s[8:9]
	s_cbranch_execnz .LBB37_2937
; %bb.889:
	s_or_saveexec_b64 s[6:7], s[6:7]
	v_mov_b32_e32 v10, s10
	s_xor_b64 exec, exec, s[6:7]
	s_cbranch_execnz .LBB37_2940
.LBB37_890:
	s_or_b64 exec, exec, s[6:7]
	s_and_saveexec_b64 s[6:7], s[4:5]
	s_cbranch_execz .LBB37_892
.LBB37_891:
	v_bfe_u32 v10, v17, 24, 3
	v_ffbh_u32_e32 v15, v10
	v_min_u32_e32 v15, 32, v15
	v_lshrrev_b32_e32 v12, 27, v17
	v_subrev_u32_e32 v16, 28, v15
	v_and_b32_e32 v12, 15, v12
	v_lshlrev_b32_sdwa v16, v16, v17 dst_sel:DWORD dst_unused:UNUSED_PAD src0_sel:DWORD src1_sel:BYTE_3
	v_bfe_u32 v14, v17, 27, 4
	v_sub_u32_e32 v15, 29, v15
	v_and_b32_e32 v16, 7, v16
	v_cmp_eq_u16_e32 vcc, 0, v12
	v_cndmask_b32_e32 v10, v10, v16, vcc
	v_cndmask_b32_e32 v12, v14, v15, vcc
	v_mov_b32_e32 v14, 0x3b800000
	v_and_b32_e32 v11, 0x80000000, v17
	v_lshlrev_b32_e32 v10, 20, v10
	v_lshl_add_u32 v12, v12, 23, v14
	v_or3_b32 v10, v11, v12, v10
.LBB37_892:
	s_or_b64 exec, exec, s[6:7]
	s_movk_i32 s4, 0x7f
	v_cmp_gt_i16_sdwa s[6:7], v13, s4 src0_sel:BYTE_3 src1_sel:DWORD
	s_mov_b64 s[4:5], 0
                                        ; implicit-def: $sgpr10
	s_and_saveexec_b64 s[8:9], s[6:7]
	s_xor_b64 s[6:7], exec, s[8:9]
	s_cbranch_execnz .LBB37_2941
; %bb.893:
	s_or_saveexec_b64 s[6:7], s[6:7]
	v_mov_b32_e32 v11, s10
	s_xor_b64 exec, exec, s[6:7]
	s_cbranch_execnz .LBB37_2944
.LBB37_894:
	s_or_b64 exec, exec, s[6:7]
	s_and_saveexec_b64 s[6:7], s[4:5]
	s_cbranch_execz .LBB37_896
.LBB37_895:
	v_bfe_u32 v11, v13, 24, 3
	v_ffbh_u32_e32 v16, v11
	v_min_u32_e32 v16, 32, v16
	v_lshrrev_b32_e32 v14, 27, v13
	v_subrev_u32_e32 v17, 28, v16
	v_and_b32_e32 v12, 0x80000000, v13
	v_and_b32_e32 v14, 15, v14
	v_bfe_u32 v15, v13, 27, 4
	v_lshlrev_b32_sdwa v13, v17, v13 dst_sel:DWORD dst_unused:UNUSED_PAD src0_sel:DWORD src1_sel:BYTE_3
	v_sub_u32_e32 v16, 29, v16
	v_and_b32_e32 v13, 7, v13
	v_cmp_eq_u16_e32 vcc, 0, v14
	v_cndmask_b32_e32 v11, v11, v13, vcc
	v_cndmask_b32_e32 v13, v15, v16, vcc
	v_mov_b32_e32 v14, 0x3b800000
	v_lshlrev_b32_e32 v11, 20, v11
	v_lshl_add_u32 v13, v13, 23, v14
	v_or3_b32 v11, v12, v13, v11
.LBB37_896:
	s_or_b64 exec, exec, s[6:7]
	s_nop 0
	v_mfma_f32_16x16x4f32 a[0:3], v10, v11, a[0:3]
	s_movk_i32 s4, 0x7f
	v_cmp_gt_i16_sdwa s[6:7], v6, s4 src0_sel:BYTE_0 src1_sel:DWORD
	s_mov_b64 s[4:5], 0
                                        ; implicit-def: $sgpr10
	s_and_saveexec_b64 s[8:9], s[6:7]
	s_xor_b64 s[6:7], exec, s[8:9]
	s_cbranch_execnz .LBB37_2945
; %bb.897:
	s_or_saveexec_b64 s[6:7], s[6:7]
	v_mov_b32_e32 v10, s10
	s_xor_b64 exec, exec, s[6:7]
	s_cbranch_execnz .LBB37_2948
.LBB37_898:
	s_or_b64 exec, exec, s[6:7]
	s_and_saveexec_b64 s[6:7], s[4:5]
	s_cbranch_execz .LBB37_900
.LBB37_899:
	v_and_b32_e32 v10, 7, v6
	v_ffbh_u32_e32 v12, v10
	v_min_u32_e32 v12, 32, v12
	v_lshrrev_b16_e32 v11, 3, v6
	v_subrev_u32_e32 v13, 28, v12
	v_and_b32_e32 v11, 15, v11
	v_lshlrev_b32_e32 v13, v13, v6
	v_sub_u32_e32 v12, 29, v12
	v_and_b32_e32 v13, 7, v13
	v_cmp_eq_u16_e32 vcc, 0, v11
	v_cndmask_b32_e32 v10, v10, v13, vcc
	v_cndmask_b32_e32 v11, v11, v12, vcc
	v_lshlrev_b32_e32 v12, 24, v6
	v_mov_b32_e32 v13, 0x3b800000
	v_lshlrev_b32_e32 v10, 20, v10
	v_and_b32_e32 v12, 0x80000000, v12
	v_lshl_add_u32 v11, v11, 23, v13
	v_or3_b32 v10, v12, v11, v10
.LBB37_900:
	s_or_b64 exec, exec, s[6:7]
	s_movk_i32 s4, 0x7f
	v_cmp_gt_i16_sdwa s[6:7], v2, s4 src0_sel:BYTE_0 src1_sel:DWORD
	s_mov_b64 s[4:5], 0
                                        ; implicit-def: $sgpr10
	s_and_saveexec_b64 s[8:9], s[6:7]
	s_xor_b64 s[6:7], exec, s[8:9]
	s_cbranch_execnz .LBB37_2949
; %bb.901:
	s_or_saveexec_b64 s[6:7], s[6:7]
	v_mov_b32_e32 v11, s10
	s_xor_b64 exec, exec, s[6:7]
	s_cbranch_execnz .LBB37_2952
.LBB37_902:
	s_or_b64 exec, exec, s[6:7]
	s_and_saveexec_b64 s[6:7], s[4:5]
	s_cbranch_execz .LBB37_904
.LBB37_903:
	v_and_b32_e32 v11, 7, v2
	v_ffbh_u32_e32 v13, v11
	v_min_u32_e32 v13, 32, v13
	v_lshrrev_b16_e32 v12, 3, v2
	v_subrev_u32_e32 v14, 28, v13
	v_and_b32_e32 v12, 15, v12
	v_lshlrev_b32_e32 v14, v14, v2
	v_sub_u32_e32 v13, 29, v13
	v_and_b32_e32 v14, 7, v14
	v_cmp_eq_u16_e32 vcc, 0, v12
	v_cndmask_b32_e32 v11, v11, v14, vcc
	v_cndmask_b32_e32 v12, v12, v13, vcc
	v_lshlrev_b32_e32 v13, 24, v2
	v_mov_b32_e32 v14, 0x3b800000
	v_lshlrev_b32_e32 v11, 20, v11
	v_and_b32_e32 v13, 0x80000000, v13
	v_lshl_add_u32 v12, v12, 23, v14
	v_or3_b32 v11, v13, v12, v11
.LBB37_904:
	s_or_b64 exec, exec, s[6:7]
	s_nop 0
	v_mfma_f32_16x16x4f32 a[0:3], v10, v11, a[0:3]
	v_lshrrev_b32_e32 v11, 8, v6
	s_movk_i32 s4, 0x7f
	v_cmp_gt_i16_sdwa s[6:7], v11, s4 src0_sel:BYTE_0 src1_sel:DWORD
	s_mov_b64 s[4:5], 0
                                        ; implicit-def: $sgpr10
	s_and_saveexec_b64 s[8:9], s[6:7]
	s_xor_b64 s[6:7], exec, s[8:9]
	s_cbranch_execnz .LBB37_2953
; %bb.905:
	s_or_saveexec_b64 s[6:7], s[6:7]
	v_mov_b32_e32 v10, s10
	s_xor_b64 exec, exec, s[6:7]
	s_cbranch_execnz .LBB37_2956
.LBB37_906:
	s_or_b64 exec, exec, s[6:7]
	s_and_saveexec_b64 s[6:7], s[4:5]
	s_cbranch_execz .LBB37_908
.LBB37_907:
	v_bfe_u32 v10, v6, 8, 3
	v_ffbh_u32_e32 v13, v10
	v_min_u32_e32 v13, 32, v13
	v_lshrrev_b16_e32 v12, 3, v11
	v_subrev_u32_e32 v14, 28, v13
	v_and_b32_e32 v12, 15, v12
	v_lshlrev_b32_e32 v11, v14, v11
	v_sub_u32_e32 v13, 29, v13
	v_and_b32_e32 v11, 7, v11
	v_cmp_eq_u16_e32 vcc, 0, v12
	v_cndmask_b32_e32 v10, v10, v11, vcc
	v_cndmask_b32_e32 v11, v12, v13, vcc
	v_lshlrev_b32_e32 v12, 16, v6
	v_mov_b32_e32 v13, 0x3b800000
	v_lshlrev_b32_e32 v10, 20, v10
	v_and_b32_e32 v12, 0x80000000, v12
	v_lshl_add_u32 v11, v11, 23, v13
	v_or3_b32 v10, v12, v11, v10
.LBB37_908:
	s_or_b64 exec, exec, s[6:7]
	v_lshrrev_b32_e32 v11, 8, v2
	s_movk_i32 s4, 0x7f
	v_cmp_gt_i16_sdwa s[6:7], v11, s4 src0_sel:BYTE_0 src1_sel:DWORD
	s_mov_b64 s[4:5], 0
                                        ; implicit-def: $sgpr10
	s_and_saveexec_b64 s[8:9], s[6:7]
	s_xor_b64 s[6:7], exec, s[8:9]
	s_cbranch_execnz .LBB37_2957
; %bb.909:
	s_or_saveexec_b64 s[6:7], s[6:7]
	v_mov_b32_e32 v12, s10
	s_xor_b64 exec, exec, s[6:7]
	s_cbranch_execnz .LBB37_2960
.LBB37_910:
	s_or_b64 exec, exec, s[6:7]
	s_and_saveexec_b64 s[6:7], s[4:5]
	s_cbranch_execz .LBB37_912
.LBB37_911:
	v_bfe_u32 v12, v2, 8, 3
	v_ffbh_u32_e32 v14, v12
	v_min_u32_e32 v14, 32, v14
	v_lshrrev_b16_e32 v13, 3, v11
	v_subrev_u32_e32 v15, 28, v14
	v_and_b32_e32 v13, 15, v13
	v_lshlrev_b32_e32 v11, v15, v11
	v_sub_u32_e32 v14, 29, v14
	v_and_b32_e32 v11, 7, v11
	v_cmp_eq_u16_e32 vcc, 0, v13
	v_cndmask_b32_e32 v11, v12, v11, vcc
	v_cndmask_b32_e32 v12, v13, v14, vcc
	v_lshlrev_b32_e32 v13, 16, v2
	v_mov_b32_e32 v14, 0x3b800000
	v_lshlrev_b32_e32 v11, 20, v11
	v_and_b32_e32 v13, 0x80000000, v13
	v_lshl_add_u32 v12, v12, 23, v14
	v_or3_b32 v12, v13, v12, v11
.LBB37_912:
	s_or_b64 exec, exec, s[6:7]
	s_nop 0
	v_mfma_f32_16x16x4f32 a[0:3], v10, v12, a[0:3]
	s_movk_i32 s4, 0xff
	v_and_b32_sdwa v11, v6, s4 dst_sel:DWORD dst_unused:UNUSED_PAD src0_sel:WORD_1 src1_sel:DWORD
	s_movk_i32 s4, 0x7f
	v_cmp_lt_i16_e32 vcc, s4, v11
	s_mov_b64 s[4:5], 0
                                        ; implicit-def: $sgpr10
	s_and_saveexec_b64 s[6:7], vcc
	s_xor_b64 s[6:7], exec, s[6:7]
	s_cbranch_execnz .LBB37_2961
; %bb.913:
	s_or_saveexec_b64 s[6:7], s[6:7]
	v_mov_b32_e32 v10, s10
	s_xor_b64 exec, exec, s[6:7]
	s_cbranch_execnz .LBB37_2964
.LBB37_914:
	s_or_b64 exec, exec, s[6:7]
	s_and_saveexec_b64 s[6:7], s[4:5]
	s_cbranch_execz .LBB37_916
.LBB37_915:
	v_bfe_u32 v10, v6, 16, 3
	v_ffbh_u32_e32 v13, v10
	v_min_u32_e32 v13, 32, v13
	v_lshrrev_b32_e32 v11, 19, v6
	v_subrev_u32_e32 v14, 28, v13
	v_and_b32_e32 v11, 15, v11
	v_lshlrev_b32_sdwa v14, v14, v6 dst_sel:DWORD dst_unused:UNUSED_PAD src0_sel:DWORD src1_sel:WORD_1
	v_bfe_u32 v12, v6, 19, 4
	v_sub_u32_e32 v13, 29, v13
	v_and_b32_e32 v14, 7, v14
	v_cmp_eq_u16_e32 vcc, 0, v11
	v_cndmask_b32_e32 v10, v10, v14, vcc
	v_cndmask_b32_e32 v11, v12, v13, vcc
	v_lshlrev_b32_e32 v12, 8, v6
	v_mov_b32_e32 v13, 0x3b800000
	v_lshlrev_b32_e32 v10, 20, v10
	v_and_b32_e32 v12, 0x80000000, v12
	v_lshl_add_u32 v11, v11, 23, v13
	v_or3_b32 v10, v12, v11, v10
.LBB37_916:
	s_or_b64 exec, exec, s[6:7]
	s_movk_i32 s4, 0xff
	v_and_b32_sdwa v11, v2, s4 dst_sel:DWORD dst_unused:UNUSED_PAD src0_sel:WORD_1 src1_sel:DWORD
	s_movk_i32 s4, 0x7f
	v_cmp_lt_i16_e32 vcc, s4, v11
	s_mov_b64 s[4:5], 0
                                        ; implicit-def: $sgpr10
	s_and_saveexec_b64 s[6:7], vcc
	s_xor_b64 s[6:7], exec, s[6:7]
	s_cbranch_execnz .LBB37_2965
; %bb.917:
	s_or_saveexec_b64 s[6:7], s[6:7]
	v_mov_b32_e32 v12, s10
	s_xor_b64 exec, exec, s[6:7]
	s_cbranch_execnz .LBB37_2968
.LBB37_918:
	s_or_b64 exec, exec, s[6:7]
	s_and_saveexec_b64 s[6:7], s[4:5]
	s_cbranch_execz .LBB37_920
.LBB37_919:
	v_bfe_u32 v11, v2, 16, 3
	v_ffbh_u32_e32 v14, v11
	v_min_u32_e32 v14, 32, v14
	v_lshrrev_b32_e32 v12, 19, v2
	v_subrev_u32_e32 v15, 28, v14
	v_and_b32_e32 v12, 15, v12
	v_lshlrev_b32_sdwa v15, v15, v2 dst_sel:DWORD dst_unused:UNUSED_PAD src0_sel:DWORD src1_sel:WORD_1
	v_bfe_u32 v13, v2, 19, 4
	v_sub_u32_e32 v14, 29, v14
	v_and_b32_e32 v15, 7, v15
	v_cmp_eq_u16_e32 vcc, 0, v12
	v_cndmask_b32_e32 v11, v11, v15, vcc
	v_cndmask_b32_e32 v12, v13, v14, vcc
	v_lshlrev_b32_e32 v13, 8, v2
	v_mov_b32_e32 v14, 0x3b800000
	v_lshlrev_b32_e32 v11, 20, v11
	v_and_b32_e32 v13, 0x80000000, v13
	v_lshl_add_u32 v12, v12, 23, v14
	v_or3_b32 v12, v13, v12, v11
.LBB37_920:
	s_or_b64 exec, exec, s[6:7]
	s_nop 0
	v_mfma_f32_16x16x4f32 a[0:3], v10, v12, a[0:3]
	s_movk_i32 s4, 0x7f
	v_cmp_gt_i16_sdwa s[6:7], v6, s4 src0_sel:BYTE_3 src1_sel:DWORD
	s_mov_b64 s[4:5], 0
                                        ; implicit-def: $sgpr10
	s_and_saveexec_b64 s[8:9], s[6:7]
	s_xor_b64 s[6:7], exec, s[8:9]
	s_cbranch_execnz .LBB37_2969
; %bb.921:
	s_or_saveexec_b64 s[6:7], s[6:7]
	v_mov_b32_e32 v10, s10
	s_xor_b64 exec, exec, s[6:7]
	s_cbranch_execnz .LBB37_2972
.LBB37_922:
	s_or_b64 exec, exec, s[6:7]
	s_and_saveexec_b64 s[6:7], s[4:5]
	s_cbranch_execz .LBB37_924
.LBB37_923:
	v_bfe_u32 v10, v6, 24, 3
	v_ffbh_u32_e32 v14, v10
	v_min_u32_e32 v14, 32, v14
	v_lshrrev_b32_e32 v12, 27, v6
	v_subrev_u32_e32 v15, 28, v14
	v_and_b32_e32 v11, 0x80000000, v6
	v_and_b32_e32 v12, 15, v12
	v_bfe_u32 v13, v6, 27, 4
	v_lshlrev_b32_sdwa v6, v15, v6 dst_sel:DWORD dst_unused:UNUSED_PAD src0_sel:DWORD src1_sel:BYTE_3
	v_sub_u32_e32 v14, 29, v14
	v_and_b32_e32 v6, 7, v6
	v_cmp_eq_u16_e32 vcc, 0, v12
	v_cndmask_b32_e32 v6, v10, v6, vcc
	v_cndmask_b32_e32 v10, v13, v14, vcc
	v_mov_b32_e32 v12, 0x3b800000
	v_lshlrev_b32_e32 v6, 20, v6
	v_lshl_add_u32 v10, v10, 23, v12
	v_or3_b32 v10, v11, v10, v6
.LBB37_924:
	s_or_b64 exec, exec, s[6:7]
	s_movk_i32 s4, 0x7f
	v_cmp_gt_i16_sdwa s[6:7], v2, s4 src0_sel:BYTE_3 src1_sel:DWORD
	s_mov_b64 s[4:5], 0
                                        ; implicit-def: $sgpr10
	s_and_saveexec_b64 s[8:9], s[6:7]
	s_xor_b64 s[6:7], exec, s[8:9]
	s_cbranch_execnz .LBB37_2973
; %bb.925:
	s_or_saveexec_b64 s[6:7], s[6:7]
	v_mov_b32_e32 v6, s10
	s_xor_b64 exec, exec, s[6:7]
	s_cbranch_execnz .LBB37_2976
.LBB37_926:
	s_or_b64 exec, exec, s[6:7]
	s_and_saveexec_b64 s[6:7], s[4:5]
	s_cbranch_execz .LBB37_928
.LBB37_927:
	v_bfe_u32 v6, v2, 24, 3
	v_ffbh_u32_e32 v14, v6
	v_min_u32_e32 v14, 32, v14
	v_lshrrev_b32_e32 v12, 27, v2
	v_subrev_u32_e32 v15, 28, v14
	v_and_b32_e32 v11, 0x80000000, v2
	v_and_b32_e32 v12, 15, v12
	v_bfe_u32 v13, v2, 27, 4
	v_lshlrev_b32_sdwa v2, v15, v2 dst_sel:DWORD dst_unused:UNUSED_PAD src0_sel:DWORD src1_sel:BYTE_3
	v_sub_u32_e32 v14, 29, v14
	v_and_b32_e32 v2, 7, v2
	v_cmp_eq_u16_e32 vcc, 0, v12
	v_cndmask_b32_e32 v2, v6, v2, vcc
	v_cndmask_b32_e32 v6, v13, v14, vcc
	v_mov_b32_e32 v12, 0x3b800000
	v_lshlrev_b32_e32 v2, 20, v2
	v_lshl_add_u32 v6, v6, 23, v12
	v_or3_b32 v6, v11, v6, v2
.LBB37_928:
	s_or_b64 exec, exec, s[6:7]
	s_nop 0
	v_mfma_f32_16x16x4f32 a[0:3], v10, v6, a[0:3]
	s_movk_i32 s4, 0x7f
	v_cmp_gt_i16_sdwa s[6:7], v7, s4 src0_sel:BYTE_0 src1_sel:DWORD
	s_mov_b64 s[4:5], 0
                                        ; implicit-def: $sgpr10
	s_and_saveexec_b64 s[8:9], s[6:7]
	s_xor_b64 s[6:7], exec, s[8:9]
	s_cbranch_execnz .LBB37_2977
; %bb.929:
	s_or_saveexec_b64 s[6:7], s[6:7]
	v_mov_b32_e32 v2, s10
	s_xor_b64 exec, exec, s[6:7]
	s_cbranch_execnz .LBB37_2980
.LBB37_930:
	s_or_b64 exec, exec, s[6:7]
	s_and_saveexec_b64 s[6:7], s[4:5]
	s_cbranch_execz .LBB37_932
.LBB37_931:
	v_and_b32_e32 v2, 7, v7
	v_ffbh_u32_e32 v10, v2
	v_min_u32_e32 v10, 32, v10
	v_lshrrev_b16_e32 v6, 3, v7
	v_subrev_u32_e32 v11, 28, v10
	v_and_b32_e32 v6, 15, v6
	v_lshlrev_b32_e32 v11, v11, v7
	v_sub_u32_e32 v10, 29, v10
	v_and_b32_e32 v11, 7, v11
	v_cmp_eq_u16_e32 vcc, 0, v6
	v_cndmask_b32_e32 v2, v2, v11, vcc
	v_cndmask_b32_e32 v6, v6, v10, vcc
	v_lshlrev_b32_e32 v10, 24, v7
	v_mov_b32_e32 v11, 0x3b800000
	v_lshlrev_b32_e32 v2, 20, v2
	v_and_b32_e32 v10, 0x80000000, v10
	v_lshl_add_u32 v6, v6, 23, v11
	v_or3_b32 v2, v10, v6, v2
.LBB37_932:
	s_or_b64 exec, exec, s[6:7]
	s_movk_i32 s4, 0x7f
	v_cmp_gt_i16_sdwa s[6:7], v3, s4 src0_sel:BYTE_0 src1_sel:DWORD
	s_mov_b64 s[4:5], 0
                                        ; implicit-def: $sgpr10
	s_and_saveexec_b64 s[8:9], s[6:7]
	s_xor_b64 s[6:7], exec, s[8:9]
	s_cbranch_execnz .LBB37_2981
; %bb.933:
	s_or_saveexec_b64 s[6:7], s[6:7]
	v_mov_b32_e32 v6, s10
	s_xor_b64 exec, exec, s[6:7]
	s_cbranch_execnz .LBB37_2984
.LBB37_934:
	s_or_b64 exec, exec, s[6:7]
	s_and_saveexec_b64 s[6:7], s[4:5]
	s_cbranch_execz .LBB37_936
.LBB37_935:
	v_and_b32_e32 v6, 7, v3
	v_ffbh_u32_e32 v11, v6
	v_min_u32_e32 v11, 32, v11
	v_lshrrev_b16_e32 v10, 3, v3
	v_subrev_u32_e32 v12, 28, v11
	v_and_b32_e32 v10, 15, v10
	v_lshlrev_b32_e32 v12, v12, v3
	v_sub_u32_e32 v11, 29, v11
	v_and_b32_e32 v12, 7, v12
	v_cmp_eq_u16_e32 vcc, 0, v10
	v_cndmask_b32_e32 v6, v6, v12, vcc
	v_cndmask_b32_e32 v10, v10, v11, vcc
	v_lshlrev_b32_e32 v11, 24, v3
	v_mov_b32_e32 v12, 0x3b800000
	v_lshlrev_b32_e32 v6, 20, v6
	v_and_b32_e32 v11, 0x80000000, v11
	v_lshl_add_u32 v10, v10, 23, v12
	v_or3_b32 v6, v11, v10, v6
.LBB37_936:
	s_or_b64 exec, exec, s[6:7]
	s_nop 0
	v_mfma_f32_16x16x4f32 a[0:3], v2, v6, a[0:3]
	v_lshrrev_b32_e32 v6, 8, v7
	s_movk_i32 s4, 0x7f
	v_cmp_gt_i16_sdwa s[6:7], v6, s4 src0_sel:BYTE_0 src1_sel:DWORD
	s_mov_b64 s[4:5], 0
                                        ; implicit-def: $sgpr10
	s_and_saveexec_b64 s[8:9], s[6:7]
	s_xor_b64 s[6:7], exec, s[8:9]
	s_cbranch_execnz .LBB37_2985
; %bb.937:
	s_or_saveexec_b64 s[6:7], s[6:7]
	v_mov_b32_e32 v2, s10
	s_xor_b64 exec, exec, s[6:7]
	s_cbranch_execnz .LBB37_2988
.LBB37_938:
	s_or_b64 exec, exec, s[6:7]
	s_and_saveexec_b64 s[6:7], s[4:5]
	s_cbranch_execz .LBB37_940
.LBB37_939:
	v_bfe_u32 v2, v7, 8, 3
	v_ffbh_u32_e32 v11, v2
	v_min_u32_e32 v11, 32, v11
	v_lshrrev_b16_e32 v10, 3, v6
	v_subrev_u32_e32 v12, 28, v11
	v_and_b32_e32 v10, 15, v10
	v_lshlrev_b32_e32 v6, v12, v6
	v_sub_u32_e32 v11, 29, v11
	v_and_b32_e32 v6, 7, v6
	v_cmp_eq_u16_e32 vcc, 0, v10
	v_cndmask_b32_e32 v2, v2, v6, vcc
	v_cndmask_b32_e32 v6, v10, v11, vcc
	v_lshlrev_b32_e32 v10, 16, v7
	v_mov_b32_e32 v11, 0x3b800000
	v_lshlrev_b32_e32 v2, 20, v2
	v_and_b32_e32 v10, 0x80000000, v10
	v_lshl_add_u32 v6, v6, 23, v11
	v_or3_b32 v2, v10, v6, v2
.LBB37_940:
	s_or_b64 exec, exec, s[6:7]
	v_lshrrev_b32_e32 v6, 8, v3
	s_movk_i32 s4, 0x7f
	v_cmp_gt_i16_sdwa s[6:7], v6, s4 src0_sel:BYTE_0 src1_sel:DWORD
	s_mov_b64 s[4:5], 0
                                        ; implicit-def: $sgpr10
	s_and_saveexec_b64 s[8:9], s[6:7]
	s_xor_b64 s[6:7], exec, s[8:9]
	s_cbranch_execnz .LBB37_2989
; %bb.941:
	s_or_saveexec_b64 s[6:7], s[6:7]
	v_mov_b32_e32 v10, s10
	s_xor_b64 exec, exec, s[6:7]
	s_cbranch_execnz .LBB37_2992
.LBB37_942:
	s_or_b64 exec, exec, s[6:7]
	s_and_saveexec_b64 s[6:7], s[4:5]
	s_cbranch_execz .LBB37_944
.LBB37_943:
	v_bfe_u32 v10, v3, 8, 3
	v_ffbh_u32_e32 v12, v10
	v_min_u32_e32 v12, 32, v12
	v_lshrrev_b16_e32 v11, 3, v6
	v_subrev_u32_e32 v13, 28, v12
	v_and_b32_e32 v11, 15, v11
	v_lshlrev_b32_e32 v6, v13, v6
	v_sub_u32_e32 v12, 29, v12
	v_and_b32_e32 v6, 7, v6
	v_cmp_eq_u16_e32 vcc, 0, v11
	v_cndmask_b32_e32 v6, v10, v6, vcc
	v_cndmask_b32_e32 v10, v11, v12, vcc
	v_lshlrev_b32_e32 v11, 16, v3
	v_mov_b32_e32 v12, 0x3b800000
	v_lshlrev_b32_e32 v6, 20, v6
	v_and_b32_e32 v11, 0x80000000, v11
	v_lshl_add_u32 v10, v10, 23, v12
	v_or3_b32 v10, v11, v10, v6
.LBB37_944:
	s_or_b64 exec, exec, s[6:7]
	s_nop 0
	v_mfma_f32_16x16x4f32 a[0:3], v2, v10, a[0:3]
	s_movk_i32 s4, 0xff
	v_and_b32_sdwa v6, v7, s4 dst_sel:DWORD dst_unused:UNUSED_PAD src0_sel:WORD_1 src1_sel:DWORD
	s_movk_i32 s4, 0x7f
	v_cmp_lt_i16_e32 vcc, s4, v6
	s_mov_b64 s[4:5], 0
                                        ; implicit-def: $sgpr10
	s_and_saveexec_b64 s[6:7], vcc
	s_xor_b64 s[6:7], exec, s[6:7]
	s_cbranch_execnz .LBB37_2993
; %bb.945:
	s_or_saveexec_b64 s[6:7], s[6:7]
	v_mov_b32_e32 v2, s10
	s_xor_b64 exec, exec, s[6:7]
	s_cbranch_execnz .LBB37_2996
.LBB37_946:
	s_or_b64 exec, exec, s[6:7]
	s_and_saveexec_b64 s[6:7], s[4:5]
	s_cbranch_execz .LBB37_948
.LBB37_947:
	v_bfe_u32 v2, v7, 16, 3
	v_ffbh_u32_e32 v11, v2
	v_min_u32_e32 v11, 32, v11
	v_lshrrev_b32_e32 v6, 19, v7
	v_subrev_u32_e32 v12, 28, v11
	v_and_b32_e32 v6, 15, v6
	v_lshlrev_b32_sdwa v12, v12, v7 dst_sel:DWORD dst_unused:UNUSED_PAD src0_sel:DWORD src1_sel:WORD_1
	v_bfe_u32 v10, v7, 19, 4
	v_sub_u32_e32 v11, 29, v11
	v_and_b32_e32 v12, 7, v12
	v_cmp_eq_u16_e32 vcc, 0, v6
	v_cndmask_b32_e32 v2, v2, v12, vcc
	v_cndmask_b32_e32 v6, v10, v11, vcc
	v_lshlrev_b32_e32 v10, 8, v7
	v_mov_b32_e32 v11, 0x3b800000
	v_lshlrev_b32_e32 v2, 20, v2
	v_and_b32_e32 v10, 0x80000000, v10
	v_lshl_add_u32 v6, v6, 23, v11
	v_or3_b32 v2, v10, v6, v2
.LBB37_948:
	s_or_b64 exec, exec, s[6:7]
	s_movk_i32 s4, 0xff
	v_and_b32_sdwa v6, v3, s4 dst_sel:DWORD dst_unused:UNUSED_PAD src0_sel:WORD_1 src1_sel:DWORD
	s_movk_i32 s4, 0x7f
	v_cmp_lt_i16_e32 vcc, s4, v6
	s_mov_b64 s[4:5], 0
                                        ; implicit-def: $sgpr10
	s_and_saveexec_b64 s[6:7], vcc
	s_xor_b64 s[6:7], exec, s[6:7]
	s_cbranch_execnz .LBB37_2997
; %bb.949:
	s_or_saveexec_b64 s[6:7], s[6:7]
	v_mov_b32_e32 v10, s10
	s_xor_b64 exec, exec, s[6:7]
	s_cbranch_execnz .LBB37_3000
.LBB37_950:
	s_or_b64 exec, exec, s[6:7]
	s_and_saveexec_b64 s[6:7], s[4:5]
	s_cbranch_execz .LBB37_952
.LBB37_951:
	v_bfe_u32 v6, v3, 16, 3
	v_ffbh_u32_e32 v12, v6
	v_min_u32_e32 v12, 32, v12
	v_lshrrev_b32_e32 v10, 19, v3
	v_subrev_u32_e32 v13, 28, v12
	v_and_b32_e32 v10, 15, v10
	v_lshlrev_b32_sdwa v13, v13, v3 dst_sel:DWORD dst_unused:UNUSED_PAD src0_sel:DWORD src1_sel:WORD_1
	v_bfe_u32 v11, v3, 19, 4
	v_sub_u32_e32 v12, 29, v12
	v_and_b32_e32 v13, 7, v13
	v_cmp_eq_u16_e32 vcc, 0, v10
	v_cndmask_b32_e32 v6, v6, v13, vcc
	v_cndmask_b32_e32 v10, v11, v12, vcc
	v_lshlrev_b32_e32 v11, 8, v3
	v_mov_b32_e32 v12, 0x3b800000
	v_lshlrev_b32_e32 v6, 20, v6
	v_and_b32_e32 v11, 0x80000000, v11
	v_lshl_add_u32 v10, v10, 23, v12
	v_or3_b32 v10, v11, v10, v6
.LBB37_952:
	s_or_b64 exec, exec, s[6:7]
	s_nop 0
	v_mfma_f32_16x16x4f32 a[0:3], v2, v10, a[0:3]
	s_movk_i32 s4, 0x7f
	v_cmp_gt_i16_sdwa s[6:7], v7, s4 src0_sel:BYTE_3 src1_sel:DWORD
	s_mov_b64 s[4:5], 0
                                        ; implicit-def: $sgpr10
	s_and_saveexec_b64 s[8:9], s[6:7]
	s_xor_b64 s[6:7], exec, s[8:9]
	s_cbranch_execnz .LBB37_3001
; %bb.953:
	s_or_saveexec_b64 s[6:7], s[6:7]
	v_mov_b32_e32 v2, s10
	s_xor_b64 exec, exec, s[6:7]
	s_cbranch_execnz .LBB37_3004
.LBB37_954:
	s_or_b64 exec, exec, s[6:7]
	s_and_saveexec_b64 s[6:7], s[4:5]
	s_cbranch_execz .LBB37_956
.LBB37_955:
	v_bfe_u32 v2, v7, 24, 3
	v_ffbh_u32_e32 v12, v2
	v_min_u32_e32 v12, 32, v12
	v_lshrrev_b32_e32 v10, 27, v7
	v_subrev_u32_e32 v13, 28, v12
	v_and_b32_e32 v6, 0x80000000, v7
	v_and_b32_e32 v10, 15, v10
	v_bfe_u32 v11, v7, 27, 4
	v_lshlrev_b32_sdwa v7, v13, v7 dst_sel:DWORD dst_unused:UNUSED_PAD src0_sel:DWORD src1_sel:BYTE_3
	v_sub_u32_e32 v12, 29, v12
	v_and_b32_e32 v7, 7, v7
	v_cmp_eq_u16_e32 vcc, 0, v10
	v_cndmask_b32_e32 v2, v2, v7, vcc
	v_cndmask_b32_e32 v7, v11, v12, vcc
	v_mov_b32_e32 v10, 0x3b800000
	v_lshlrev_b32_e32 v2, 20, v2
	v_lshl_add_u32 v7, v7, 23, v10
	v_or3_b32 v2, v6, v7, v2
.LBB37_956:
	s_or_b64 exec, exec, s[6:7]
	s_movk_i32 s4, 0x7f
	v_cmp_gt_i16_sdwa s[6:7], v3, s4 src0_sel:BYTE_3 src1_sel:DWORD
	s_mov_b64 s[4:5], 0
                                        ; implicit-def: $sgpr10
	s_and_saveexec_b64 s[8:9], s[6:7]
	s_xor_b64 s[6:7], exec, s[8:9]
	s_cbranch_execnz .LBB37_3005
; %bb.957:
	s_or_saveexec_b64 s[6:7], s[6:7]
	v_mov_b32_e32 v6, s10
	s_xor_b64 exec, exec, s[6:7]
	s_cbranch_execnz .LBB37_3008
.LBB37_958:
	s_or_b64 exec, exec, s[6:7]
	s_and_saveexec_b64 s[6:7], s[4:5]
	s_cbranch_execz .LBB37_960
.LBB37_959:
	v_bfe_u32 v6, v3, 24, 3
	v_ffbh_u32_e32 v12, v6
	v_min_u32_e32 v12, 32, v12
	v_lshrrev_b32_e32 v10, 27, v3
	v_subrev_u32_e32 v13, 28, v12
	v_and_b32_e32 v7, 0x80000000, v3
	v_and_b32_e32 v10, 15, v10
	v_bfe_u32 v11, v3, 27, 4
	v_lshlrev_b32_sdwa v3, v13, v3 dst_sel:DWORD dst_unused:UNUSED_PAD src0_sel:DWORD src1_sel:BYTE_3
	v_sub_u32_e32 v12, 29, v12
	v_and_b32_e32 v3, 7, v3
	v_cmp_eq_u16_e32 vcc, 0, v10
	v_cndmask_b32_e32 v3, v6, v3, vcc
	v_cndmask_b32_e32 v6, v11, v12, vcc
	v_mov_b32_e32 v10, 0x3b800000
	v_lshlrev_b32_e32 v3, 20, v3
	v_lshl_add_u32 v6, v6, 23, v10
	v_or3_b32 v6, v7, v6, v3
.LBB37_960:
	s_or_b64 exec, exec, s[6:7]
	s_nop 0
	v_mfma_f32_16x16x4f32 a[0:3], v2, v6, a[0:3]
	s_movk_i32 s4, 0x7f
	v_cmp_gt_i16_sdwa s[6:7], v8, s4 src0_sel:BYTE_0 src1_sel:DWORD
	s_mov_b64 s[4:5], 0
                                        ; implicit-def: $sgpr10
	s_and_saveexec_b64 s[8:9], s[6:7]
	s_xor_b64 s[6:7], exec, s[8:9]
	s_cbranch_execnz .LBB37_3009
; %bb.961:
	s_or_saveexec_b64 s[6:7], s[6:7]
	v_mov_b32_e32 v2, s10
	s_xor_b64 exec, exec, s[6:7]
	s_cbranch_execnz .LBB37_3012
.LBB37_962:
	s_or_b64 exec, exec, s[6:7]
	s_and_saveexec_b64 s[6:7], s[4:5]
	s_cbranch_execz .LBB37_964
.LBB37_963:
	v_and_b32_e32 v2, 7, v8
	v_ffbh_u32_e32 v6, v2
	v_min_u32_e32 v6, 32, v6
	v_lshrrev_b16_e32 v3, 3, v8
	v_subrev_u32_e32 v7, 28, v6
	v_and_b32_e32 v3, 15, v3
	v_lshlrev_b32_e32 v7, v7, v8
	v_sub_u32_e32 v6, 29, v6
	v_and_b32_e32 v7, 7, v7
	v_cmp_eq_u16_e32 vcc, 0, v3
	v_cndmask_b32_e32 v2, v2, v7, vcc
	v_cndmask_b32_e32 v3, v3, v6, vcc
	v_lshlrev_b32_e32 v6, 24, v8
	v_mov_b32_e32 v7, 0x3b800000
	v_lshlrev_b32_e32 v2, 20, v2
	v_and_b32_e32 v6, 0x80000000, v6
	v_lshl_add_u32 v3, v3, 23, v7
	v_or3_b32 v2, v6, v3, v2
.LBB37_964:
	s_or_b64 exec, exec, s[6:7]
	s_movk_i32 s4, 0x7f
	v_cmp_gt_i16_sdwa s[6:7], v4, s4 src0_sel:BYTE_0 src1_sel:DWORD
	s_mov_b64 s[4:5], 0
                                        ; implicit-def: $sgpr10
	s_and_saveexec_b64 s[8:9], s[6:7]
	s_xor_b64 s[6:7], exec, s[8:9]
	s_cbranch_execnz .LBB37_3013
; %bb.965:
	s_or_saveexec_b64 s[6:7], s[6:7]
	v_mov_b32_e32 v3, s10
	s_xor_b64 exec, exec, s[6:7]
	s_cbranch_execnz .LBB37_3016
.LBB37_966:
	s_or_b64 exec, exec, s[6:7]
	s_and_saveexec_b64 s[6:7], s[4:5]
	s_cbranch_execz .LBB37_968
.LBB37_967:
	v_and_b32_e32 v3, 7, v4
	v_ffbh_u32_e32 v7, v3
	v_min_u32_e32 v7, 32, v7
	v_lshrrev_b16_e32 v6, 3, v4
	v_subrev_u32_e32 v10, 28, v7
	v_and_b32_e32 v6, 15, v6
	v_lshlrev_b32_e32 v10, v10, v4
	v_sub_u32_e32 v7, 29, v7
	v_and_b32_e32 v10, 7, v10
	v_cmp_eq_u16_e32 vcc, 0, v6
	v_cndmask_b32_e32 v3, v3, v10, vcc
	v_cndmask_b32_e32 v6, v6, v7, vcc
	v_lshlrev_b32_e32 v7, 24, v4
	v_mov_b32_e32 v10, 0x3b800000
	v_lshlrev_b32_e32 v3, 20, v3
	v_and_b32_e32 v7, 0x80000000, v7
	v_lshl_add_u32 v6, v6, 23, v10
	v_or3_b32 v3, v7, v6, v3
.LBB37_968:
	s_or_b64 exec, exec, s[6:7]
	s_nop 0
	v_mfma_f32_16x16x4f32 a[0:3], v2, v3, a[0:3]
	v_lshrrev_b32_e32 v3, 8, v8
	s_movk_i32 s4, 0x7f
	v_cmp_gt_i16_sdwa s[6:7], v3, s4 src0_sel:BYTE_0 src1_sel:DWORD
	s_mov_b64 s[4:5], 0
                                        ; implicit-def: $sgpr10
	s_and_saveexec_b64 s[8:9], s[6:7]
	s_xor_b64 s[6:7], exec, s[8:9]
	s_cbranch_execnz .LBB37_3017
; %bb.969:
	s_or_saveexec_b64 s[6:7], s[6:7]
	v_mov_b32_e32 v2, s10
	s_xor_b64 exec, exec, s[6:7]
	s_cbranch_execnz .LBB37_3020
.LBB37_970:
	s_or_b64 exec, exec, s[6:7]
	s_and_saveexec_b64 s[6:7], s[4:5]
	s_cbranch_execz .LBB37_972
.LBB37_971:
	v_bfe_u32 v2, v8, 8, 3
	v_ffbh_u32_e32 v7, v2
	v_min_u32_e32 v7, 32, v7
	v_lshrrev_b16_e32 v6, 3, v3
	v_subrev_u32_e32 v10, 28, v7
	v_and_b32_e32 v6, 15, v6
	v_lshlrev_b32_e32 v3, v10, v3
	v_sub_u32_e32 v7, 29, v7
	v_and_b32_e32 v3, 7, v3
	v_cmp_eq_u16_e32 vcc, 0, v6
	v_cndmask_b32_e32 v2, v2, v3, vcc
	v_cndmask_b32_e32 v3, v6, v7, vcc
	v_lshlrev_b32_e32 v6, 16, v8
	v_mov_b32_e32 v7, 0x3b800000
	v_lshlrev_b32_e32 v2, 20, v2
	v_and_b32_e32 v6, 0x80000000, v6
	v_lshl_add_u32 v3, v3, 23, v7
	v_or3_b32 v2, v6, v3, v2
.LBB37_972:
	s_or_b64 exec, exec, s[6:7]
	v_lshrrev_b32_e32 v3, 8, v4
	s_movk_i32 s4, 0x7f
	v_cmp_gt_i16_sdwa s[6:7], v3, s4 src0_sel:BYTE_0 src1_sel:DWORD
	s_mov_b64 s[4:5], 0
                                        ; implicit-def: $sgpr10
	s_and_saveexec_b64 s[8:9], s[6:7]
	s_xor_b64 s[6:7], exec, s[8:9]
	s_cbranch_execnz .LBB37_3021
; %bb.973:
	s_or_saveexec_b64 s[6:7], s[6:7]
	v_mov_b32_e32 v6, s10
	s_xor_b64 exec, exec, s[6:7]
	s_cbranch_execnz .LBB37_3024
.LBB37_974:
	s_or_b64 exec, exec, s[6:7]
	s_and_saveexec_b64 s[6:7], s[4:5]
	s_cbranch_execz .LBB37_976
.LBB37_975:
	v_bfe_u32 v6, v4, 8, 3
	v_ffbh_u32_e32 v10, v6
	v_min_u32_e32 v10, 32, v10
	v_lshrrev_b16_e32 v7, 3, v3
	v_subrev_u32_e32 v11, 28, v10
	v_and_b32_e32 v7, 15, v7
	v_lshlrev_b32_e32 v3, v11, v3
	v_sub_u32_e32 v10, 29, v10
	v_and_b32_e32 v3, 7, v3
	v_cmp_eq_u16_e32 vcc, 0, v7
	v_cndmask_b32_e32 v3, v6, v3, vcc
	v_cndmask_b32_e32 v6, v7, v10, vcc
	v_lshlrev_b32_e32 v7, 16, v4
	v_mov_b32_e32 v10, 0x3b800000
	v_lshlrev_b32_e32 v3, 20, v3
	v_and_b32_e32 v7, 0x80000000, v7
	v_lshl_add_u32 v6, v6, 23, v10
	v_or3_b32 v6, v7, v6, v3
.LBB37_976:
	s_or_b64 exec, exec, s[6:7]
	s_nop 0
	v_mfma_f32_16x16x4f32 a[0:3], v2, v6, a[0:3]
	s_movk_i32 s4, 0xff
	v_and_b32_sdwa v3, v8, s4 dst_sel:DWORD dst_unused:UNUSED_PAD src0_sel:WORD_1 src1_sel:DWORD
	s_movk_i32 s4, 0x7f
	v_cmp_lt_i16_e32 vcc, s4, v3
	s_mov_b64 s[4:5], 0
                                        ; implicit-def: $sgpr10
	s_and_saveexec_b64 s[6:7], vcc
	s_xor_b64 s[6:7], exec, s[6:7]
	s_cbranch_execnz .LBB37_3025
; %bb.977:
	s_or_saveexec_b64 s[6:7], s[6:7]
	v_mov_b32_e32 v2, s10
	s_xor_b64 exec, exec, s[6:7]
	s_cbranch_execnz .LBB37_3028
.LBB37_978:
	s_or_b64 exec, exec, s[6:7]
	s_and_saveexec_b64 s[6:7], s[4:5]
	s_cbranch_execz .LBB37_980
.LBB37_979:
	v_bfe_u32 v2, v8, 16, 3
	v_ffbh_u32_e32 v7, v2
	v_min_u32_e32 v7, 32, v7
	v_lshrrev_b32_e32 v3, 19, v8
	v_subrev_u32_e32 v10, 28, v7
	v_and_b32_e32 v3, 15, v3
	v_lshlrev_b32_sdwa v10, v10, v8 dst_sel:DWORD dst_unused:UNUSED_PAD src0_sel:DWORD src1_sel:WORD_1
	v_bfe_u32 v6, v8, 19, 4
	v_sub_u32_e32 v7, 29, v7
	v_and_b32_e32 v10, 7, v10
	v_cmp_eq_u16_e32 vcc, 0, v3
	v_cndmask_b32_e32 v2, v2, v10, vcc
	v_cndmask_b32_e32 v3, v6, v7, vcc
	v_lshlrev_b32_e32 v6, 8, v8
	v_mov_b32_e32 v7, 0x3b800000
	v_lshlrev_b32_e32 v2, 20, v2
	v_and_b32_e32 v6, 0x80000000, v6
	v_lshl_add_u32 v3, v3, 23, v7
	v_or3_b32 v2, v6, v3, v2
.LBB37_980:
	s_or_b64 exec, exec, s[6:7]
	s_movk_i32 s4, 0xff
	v_and_b32_sdwa v3, v4, s4 dst_sel:DWORD dst_unused:UNUSED_PAD src0_sel:WORD_1 src1_sel:DWORD
	s_movk_i32 s4, 0x7f
	v_cmp_lt_i16_e32 vcc, s4, v3
	s_mov_b64 s[4:5], 0
                                        ; implicit-def: $sgpr10
	s_and_saveexec_b64 s[6:7], vcc
	s_xor_b64 s[6:7], exec, s[6:7]
	s_cbranch_execnz .LBB37_3029
; %bb.981:
	s_or_saveexec_b64 s[6:7], s[6:7]
	v_mov_b32_e32 v6, s10
	s_xor_b64 exec, exec, s[6:7]
	s_cbranch_execnz .LBB37_3032
.LBB37_982:
	s_or_b64 exec, exec, s[6:7]
	s_and_saveexec_b64 s[6:7], s[4:5]
	s_cbranch_execz .LBB37_984
.LBB37_983:
	v_bfe_u32 v3, v4, 16, 3
	v_ffbh_u32_e32 v10, v3
	v_min_u32_e32 v10, 32, v10
	v_lshrrev_b32_e32 v6, 19, v4
	v_subrev_u32_e32 v11, 28, v10
	v_and_b32_e32 v6, 15, v6
	v_lshlrev_b32_sdwa v11, v11, v4 dst_sel:DWORD dst_unused:UNUSED_PAD src0_sel:DWORD src1_sel:WORD_1
	v_bfe_u32 v7, v4, 19, 4
	v_sub_u32_e32 v10, 29, v10
	v_and_b32_e32 v11, 7, v11
	v_cmp_eq_u16_e32 vcc, 0, v6
	v_cndmask_b32_e32 v3, v3, v11, vcc
	v_cndmask_b32_e32 v6, v7, v10, vcc
	v_lshlrev_b32_e32 v7, 8, v4
	v_mov_b32_e32 v10, 0x3b800000
	v_lshlrev_b32_e32 v3, 20, v3
	v_and_b32_e32 v7, 0x80000000, v7
	v_lshl_add_u32 v6, v6, 23, v10
	v_or3_b32 v6, v7, v6, v3
.LBB37_984:
	s_or_b64 exec, exec, s[6:7]
	s_nop 0
	v_mfma_f32_16x16x4f32 a[0:3], v2, v6, a[0:3]
	s_movk_i32 s4, 0x7f
	v_cmp_gt_i16_sdwa s[6:7], v8, s4 src0_sel:BYTE_3 src1_sel:DWORD
	s_mov_b64 s[4:5], 0
                                        ; implicit-def: $sgpr10
	s_and_saveexec_b64 s[8:9], s[6:7]
	s_xor_b64 s[6:7], exec, s[8:9]
	s_cbranch_execnz .LBB37_3033
; %bb.985:
	s_or_saveexec_b64 s[6:7], s[6:7]
	v_mov_b32_e32 v2, s10
	s_xor_b64 exec, exec, s[6:7]
	s_cbranch_execnz .LBB37_3036
.LBB37_986:
	s_or_b64 exec, exec, s[6:7]
	s_and_saveexec_b64 s[6:7], s[4:5]
	s_cbranch_execz .LBB37_988
.LBB37_987:
	v_bfe_u32 v2, v8, 24, 3
	v_ffbh_u32_e32 v10, v2
	v_min_u32_e32 v10, 32, v10
	v_lshrrev_b32_e32 v6, 27, v8
	v_subrev_u32_e32 v11, 28, v10
	v_and_b32_e32 v3, 0x80000000, v8
	v_and_b32_e32 v6, 15, v6
	v_bfe_u32 v7, v8, 27, 4
	v_lshlrev_b32_sdwa v8, v11, v8 dst_sel:DWORD dst_unused:UNUSED_PAD src0_sel:DWORD src1_sel:BYTE_3
	v_sub_u32_e32 v10, 29, v10
	v_and_b32_e32 v8, 7, v8
	v_cmp_eq_u16_e32 vcc, 0, v6
	v_cndmask_b32_e32 v2, v2, v8, vcc
	v_cndmask_b32_e32 v6, v7, v10, vcc
	v_mov_b32_e32 v7, 0x3b800000
	v_lshlrev_b32_e32 v2, 20, v2
	v_lshl_add_u32 v6, v6, 23, v7
	v_or3_b32 v2, v3, v6, v2
.LBB37_988:
	s_or_b64 exec, exec, s[6:7]
	s_movk_i32 s4, 0x7f
	v_cmp_gt_i16_sdwa s[6:7], v4, s4 src0_sel:BYTE_3 src1_sel:DWORD
	s_mov_b64 s[4:5], 0
                                        ; implicit-def: $sgpr10
	s_and_saveexec_b64 s[8:9], s[6:7]
	s_xor_b64 s[6:7], exec, s[8:9]
	s_cbranch_execnz .LBB37_3037
; %bb.989:
	s_or_saveexec_b64 s[6:7], s[6:7]
	v_mov_b32_e32 v3, s10
	s_xor_b64 exec, exec, s[6:7]
	s_cbranch_execnz .LBB37_3040
.LBB37_990:
	s_or_b64 exec, exec, s[6:7]
	s_and_saveexec_b64 s[6:7], s[4:5]
	s_cbranch_execz .LBB37_992
.LBB37_991:
	v_bfe_u32 v3, v4, 24, 3
	v_ffbh_u32_e32 v10, v3
	v_min_u32_e32 v10, 32, v10
	v_lshrrev_b32_e32 v7, 27, v4
	v_subrev_u32_e32 v11, 28, v10
	v_and_b32_e32 v6, 0x80000000, v4
	v_and_b32_e32 v7, 15, v7
	v_bfe_u32 v8, v4, 27, 4
	v_lshlrev_b32_sdwa v4, v11, v4 dst_sel:DWORD dst_unused:UNUSED_PAD src0_sel:DWORD src1_sel:BYTE_3
	v_sub_u32_e32 v10, 29, v10
	v_and_b32_e32 v4, 7, v4
	v_cmp_eq_u16_e32 vcc, 0, v7
	v_cndmask_b32_e32 v3, v3, v4, vcc
	v_cndmask_b32_e32 v4, v8, v10, vcc
	v_mov_b32_e32 v7, 0x3b800000
	v_lshlrev_b32_e32 v3, 20, v3
	v_lshl_add_u32 v4, v4, 23, v7
	v_or3_b32 v3, v6, v4, v3
.LBB37_992:
	s_or_b64 exec, exec, s[6:7]
	s_nop 0
	v_mfma_f32_16x16x4f32 a[0:3], v2, v3, a[0:3]
	s_movk_i32 s4, 0x7f
	v_cmp_gt_i16_sdwa s[6:7], v9, s4 src0_sel:BYTE_0 src1_sel:DWORD
	s_mov_b64 s[4:5], 0
                                        ; implicit-def: $sgpr10
	s_and_saveexec_b64 s[8:9], s[6:7]
	s_xor_b64 s[6:7], exec, s[8:9]
	s_cbranch_execnz .LBB37_3041
; %bb.993:
	s_or_saveexec_b64 s[6:7], s[6:7]
	v_mov_b32_e32 v2, s10
	s_xor_b64 exec, exec, s[6:7]
	s_cbranch_execnz .LBB37_3044
.LBB37_994:
	s_or_b64 exec, exec, s[6:7]
	s_and_saveexec_b64 s[6:7], s[4:5]
	s_cbranch_execz .LBB37_996
.LBB37_995:
	v_mov_b32_e32 v2, 8
	v_and_b32_e32 v3, 7, v9
	v_lshrrev_b32_sdwa v2, v2, v9 dst_sel:BYTE_1 dst_unused:UNUSED_PAD src0_sel:DWORD src1_sel:DWORD
	v_ffbh_u32_e32 v4, v3
	v_or_b32_sdwa v2, v9, v2 dst_sel:DWORD dst_unused:UNUSED_PAD src0_sel:BYTE_0 src1_sel:DWORD
	v_min_u32_e32 v4, 32, v4
	v_lshrrev_b16_e32 v2, 3, v2
	v_subrev_u32_e32 v6, 28, v4
	v_and_b32_e32 v2, 15, v2
	v_lshlrev_b32_e32 v6, v6, v9
	v_sub_u32_e32 v4, 29, v4
	v_and_b32_e32 v6, 7, v6
	v_cmp_eq_u16_e32 vcc, 0, v2
	v_cndmask_b32_e32 v3, v3, v6, vcc
	v_cndmask_b32_e32 v2, v2, v4, vcc
	v_lshlrev_b32_e32 v4, 24, v9
	v_mov_b32_e32 v6, 0x3b800000
	v_lshlrev_b32_e32 v3, 20, v3
	v_and_b32_e32 v4, 0x80000000, v4
	v_lshl_add_u32 v2, v2, 23, v6
	v_or3_b32 v2, v4, v2, v3
.LBB37_996:
	s_or_b64 exec, exec, s[6:7]
	s_movk_i32 s4, 0x7f
	v_cmp_gt_i16_sdwa s[6:7], v5, s4 src0_sel:BYTE_0 src1_sel:DWORD
	s_mov_b64 s[4:5], 0
                                        ; implicit-def: $sgpr10
	s_and_saveexec_b64 s[8:9], s[6:7]
	s_xor_b64 s[6:7], exec, s[8:9]
	s_cbranch_execnz .LBB37_3045
; %bb.997:
	s_or_saveexec_b64 s[6:7], s[6:7]
	v_mov_b32_e32 v3, s10
	s_xor_b64 exec, exec, s[6:7]
	s_cbranch_execnz .LBB37_3048
.LBB37_998:
	s_or_b64 exec, exec, s[6:7]
	s_and_saveexec_b64 s[6:7], s[4:5]
	s_cbranch_execz .LBB37_1000
.LBB37_999:
	v_mov_b32_e32 v3, 8
	v_and_b32_e32 v4, 7, v5
	v_lshrrev_b32_sdwa v3, v3, v5 dst_sel:BYTE_1 dst_unused:UNUSED_PAD src0_sel:DWORD src1_sel:DWORD
	v_ffbh_u32_e32 v6, v4
	v_or_b32_sdwa v3, v5, v3 dst_sel:DWORD dst_unused:UNUSED_PAD src0_sel:BYTE_0 src1_sel:DWORD
	v_min_u32_e32 v6, 32, v6
	v_lshrrev_b16_e32 v3, 3, v3
	v_subrev_u32_e32 v7, 28, v6
	v_and_b32_e32 v3, 15, v3
	v_lshlrev_b32_e32 v7, v7, v5
	v_sub_u32_e32 v6, 29, v6
	v_and_b32_e32 v7, 7, v7
	v_cmp_eq_u16_e32 vcc, 0, v3
	v_cndmask_b32_e32 v4, v4, v7, vcc
	v_cndmask_b32_e32 v3, v3, v6, vcc
	v_lshlrev_b32_e32 v6, 24, v5
	v_mov_b32_e32 v7, 0x3b800000
	v_lshlrev_b32_e32 v4, 20, v4
	v_and_b32_e32 v6, 0x80000000, v6
	v_lshl_add_u32 v3, v3, 23, v7
	v_or3_b32 v3, v6, v3, v4
.LBB37_1000:
	s_or_b64 exec, exec, s[6:7]
	s_nop 0
	v_mfma_f32_16x16x4f32 a[0:3], v2, v3, a[0:3]
	v_lshrrev_b32_e32 v3, 8, v9
	s_movk_i32 s4, 0x7f
	v_cmp_gt_i16_sdwa s[6:7], v3, s4 src0_sel:BYTE_0 src1_sel:DWORD
	s_mov_b64 s[4:5], 0
                                        ; implicit-def: $sgpr10
	s_and_saveexec_b64 s[8:9], s[6:7]
	s_xor_b64 s[6:7], exec, s[8:9]
	s_cbranch_execnz .LBB37_3049
; %bb.1001:
	s_or_saveexec_b64 s[6:7], s[6:7]
	v_mov_b32_e32 v2, s10
	s_xor_b64 exec, exec, s[6:7]
	s_cbranch_execnz .LBB37_3052
.LBB37_1002:
	s_or_b64 exec, exec, s[6:7]
	s_and_saveexec_b64 s[6:7], s[4:5]
	s_cbranch_execz .LBB37_1004
.LBB37_1003:
	v_bfe_u32 v2, v9, 8, 3
	v_ffbh_u32_e32 v6, v2
	v_min_u32_e32 v6, 32, v6
	v_lshrrev_b16_e32 v4, 3, v3
	v_subrev_u32_e32 v7, 28, v6
	v_and_b32_e32 v4, 15, v4
	v_lshlrev_b32_e32 v3, v7, v3
	v_sub_u32_e32 v6, 29, v6
	v_and_b32_e32 v3, 7, v3
	v_cmp_eq_u16_e32 vcc, 0, v4
	v_cndmask_b32_e32 v2, v2, v3, vcc
	v_cndmask_b32_e32 v3, v4, v6, vcc
	v_lshlrev_b32_e32 v4, 16, v9
	v_mov_b32_e32 v6, 0x3b800000
	v_lshlrev_b32_e32 v2, 20, v2
	v_and_b32_e32 v4, 0x80000000, v4
	v_lshl_add_u32 v3, v3, 23, v6
	v_or3_b32 v2, v4, v3, v2
.LBB37_1004:
	s_or_b64 exec, exec, s[6:7]
	v_lshrrev_b32_e32 v3, 8, v5
	s_movk_i32 s4, 0x7f
	v_cmp_gt_i16_sdwa s[6:7], v3, s4 src0_sel:BYTE_0 src1_sel:DWORD
	s_mov_b64 s[4:5], 0
                                        ; implicit-def: $sgpr10
	s_and_saveexec_b64 s[8:9], s[6:7]
	s_xor_b64 s[6:7], exec, s[8:9]
	s_cbranch_execnz .LBB37_3053
; %bb.1005:
	s_or_saveexec_b64 s[6:7], s[6:7]
	v_mov_b32_e32 v4, s10
	s_xor_b64 exec, exec, s[6:7]
	s_cbranch_execnz .LBB37_3056
.LBB37_1006:
	s_or_b64 exec, exec, s[6:7]
	s_and_saveexec_b64 s[6:7], s[4:5]
	s_cbranch_execz .LBB37_1008
.LBB37_1007:
	v_bfe_u32 v4, v5, 8, 3
	v_ffbh_u32_e32 v7, v4
	v_min_u32_e32 v7, 32, v7
	v_lshrrev_b16_e32 v6, 3, v3
	v_subrev_u32_e32 v8, 28, v7
	v_and_b32_e32 v6, 15, v6
	v_lshlrev_b32_e32 v3, v8, v3
	v_sub_u32_e32 v7, 29, v7
	v_and_b32_e32 v3, 7, v3
	v_cmp_eq_u16_e32 vcc, 0, v6
	v_cndmask_b32_e32 v3, v4, v3, vcc
	v_cndmask_b32_e32 v4, v6, v7, vcc
	v_lshlrev_b32_e32 v6, 16, v5
	v_mov_b32_e32 v7, 0x3b800000
	v_lshlrev_b32_e32 v3, 20, v3
	v_and_b32_e32 v6, 0x80000000, v6
	v_lshl_add_u32 v4, v4, 23, v7
	v_or3_b32 v4, v6, v4, v3
.LBB37_1008:
	s_or_b64 exec, exec, s[6:7]
	s_nop 0
	v_mfma_f32_16x16x4f32 a[0:3], v2, v4, a[0:3]
	s_movk_i32 s4, 0xff
	v_and_b32_sdwa v3, v9, s4 dst_sel:DWORD dst_unused:UNUSED_PAD src0_sel:WORD_1 src1_sel:DWORD
	s_movk_i32 s4, 0x7f
	v_cmp_lt_i16_e32 vcc, s4, v3
	s_mov_b64 s[4:5], 0
                                        ; implicit-def: $sgpr10
	s_and_saveexec_b64 s[6:7], vcc
	s_xor_b64 s[6:7], exec, s[6:7]
	s_cbranch_execnz .LBB37_3057
; %bb.1009:
	s_or_saveexec_b64 s[6:7], s[6:7]
	v_mov_b32_e32 v2, s10
	s_xor_b64 exec, exec, s[6:7]
	s_cbranch_execnz .LBB37_3060
.LBB37_1010:
	s_or_b64 exec, exec, s[6:7]
	s_and_saveexec_b64 s[6:7], s[4:5]
	s_cbranch_execz .LBB37_1012
.LBB37_1011:
	v_bfe_u32 v2, v9, 16, 3
	v_ffbh_u32_e32 v6, v2
	v_min_u32_e32 v6, 32, v6
	v_lshrrev_b32_e32 v3, 19, v9
	v_subrev_u32_e32 v7, 28, v6
	v_and_b32_e32 v3, 15, v3
	v_lshlrev_b32_sdwa v7, v7, v9 dst_sel:DWORD dst_unused:UNUSED_PAD src0_sel:DWORD src1_sel:WORD_1
	v_bfe_u32 v4, v9, 19, 4
	v_sub_u32_e32 v6, 29, v6
	v_and_b32_e32 v7, 7, v7
	v_cmp_eq_u16_e32 vcc, 0, v3
	v_cndmask_b32_e32 v2, v2, v7, vcc
	v_cndmask_b32_e32 v3, v4, v6, vcc
	v_lshlrev_b32_e32 v4, 8, v9
	v_mov_b32_e32 v6, 0x3b800000
	v_lshlrev_b32_e32 v2, 20, v2
	v_and_b32_e32 v4, 0x80000000, v4
	v_lshl_add_u32 v3, v3, 23, v6
	v_or3_b32 v2, v4, v3, v2
.LBB37_1012:
	s_or_b64 exec, exec, s[6:7]
	s_movk_i32 s4, 0xff
	v_and_b32_sdwa v3, v5, s4 dst_sel:DWORD dst_unused:UNUSED_PAD src0_sel:WORD_1 src1_sel:DWORD
	s_movk_i32 s4, 0x7f
	v_cmp_lt_i16_e32 vcc, s4, v3
	s_mov_b64 s[4:5], 0
                                        ; implicit-def: $sgpr10
	s_and_saveexec_b64 s[6:7], vcc
	s_xor_b64 s[6:7], exec, s[6:7]
	s_cbranch_execnz .LBB37_3061
; %bb.1013:
	s_or_saveexec_b64 s[6:7], s[6:7]
	v_mov_b32_e32 v4, s10
	s_xor_b64 exec, exec, s[6:7]
	s_cbranch_execnz .LBB37_3064
.LBB37_1014:
	s_or_b64 exec, exec, s[6:7]
	s_and_saveexec_b64 s[6:7], s[4:5]
	s_cbranch_execz .LBB37_1016
.LBB37_1015:
	v_bfe_u32 v3, v5, 16, 3
	v_ffbh_u32_e32 v7, v3
	v_min_u32_e32 v7, 32, v7
	v_lshrrev_b32_e32 v4, 19, v5
	v_subrev_u32_e32 v8, 28, v7
	v_and_b32_e32 v4, 15, v4
	v_lshlrev_b32_sdwa v8, v8, v5 dst_sel:DWORD dst_unused:UNUSED_PAD src0_sel:DWORD src1_sel:WORD_1
	v_bfe_u32 v6, v5, 19, 4
	v_sub_u32_e32 v7, 29, v7
	v_and_b32_e32 v8, 7, v8
	v_cmp_eq_u16_e32 vcc, 0, v4
	v_cndmask_b32_e32 v3, v3, v8, vcc
	v_cndmask_b32_e32 v4, v6, v7, vcc
	v_lshlrev_b32_e32 v6, 8, v5
	v_mov_b32_e32 v7, 0x3b800000
	v_lshlrev_b32_e32 v3, 20, v3
	v_and_b32_e32 v6, 0x80000000, v6
	v_lshl_add_u32 v4, v4, 23, v7
	v_or3_b32 v4, v6, v4, v3
.LBB37_1016:
	s_or_b64 exec, exec, s[6:7]
	s_nop 0
	v_mfma_f32_16x16x4f32 a[0:3], v2, v4, a[0:3]
	s_movk_i32 s4, 0x7f
	v_cmp_gt_i16_sdwa s[6:7], v9, s4 src0_sel:BYTE_3 src1_sel:DWORD
	s_mov_b64 s[4:5], 0
                                        ; implicit-def: $sgpr10
	s_and_saveexec_b64 s[8:9], s[6:7]
	s_xor_b64 s[6:7], exec, s[8:9]
	s_cbranch_execnz .LBB37_3065
; %bb.1017:
	s_or_saveexec_b64 s[6:7], s[6:7]
	v_mov_b32_e32 v2, s10
	s_xor_b64 exec, exec, s[6:7]
	s_cbranch_execnz .LBB37_3068
.LBB37_1018:
	s_or_b64 exec, exec, s[6:7]
	s_and_saveexec_b64 s[6:7], s[4:5]
	s_cbranch_execz .LBB37_1020
.LBB37_1019:
	v_bfe_u32 v2, v9, 24, 3
	v_ffbh_u32_e32 v7, v2
	v_min_u32_e32 v7, 32, v7
	v_lshrrev_b32_e32 v4, 27, v9
	v_subrev_u32_e32 v8, 28, v7
	v_and_b32_e32 v4, 15, v4
	v_lshlrev_b32_sdwa v8, v8, v9 dst_sel:DWORD dst_unused:UNUSED_PAD src0_sel:DWORD src1_sel:BYTE_3
	v_bfe_u32 v6, v9, 27, 4
	v_sub_u32_e32 v7, 29, v7
	v_and_b32_e32 v8, 7, v8
	v_cmp_eq_u16_e32 vcc, 0, v4
	v_cndmask_b32_e32 v2, v2, v8, vcc
	v_cndmask_b32_e32 v4, v6, v7, vcc
	v_mov_b32_e32 v6, 0x3b800000
	v_and_b32_e32 v3, 0x80000000, v9
	v_lshlrev_b32_e32 v2, 20, v2
	v_lshl_add_u32 v4, v4, 23, v6
	v_or3_b32 v2, v3, v4, v2
.LBB37_1020:
	s_or_b64 exec, exec, s[6:7]
	s_movk_i32 s4, 0x7f
	v_cmp_gt_i16_sdwa s[6:7], v5, s4 src0_sel:BYTE_3 src1_sel:DWORD
	s_mov_b64 s[4:5], 0
                                        ; implicit-def: $sgpr10
	s_and_saveexec_b64 s[8:9], s[6:7]
	s_xor_b64 s[6:7], exec, s[8:9]
	s_cbranch_execnz .LBB37_3069
; %bb.1021:
	s_or_saveexec_b64 s[6:7], s[6:7]
	v_mov_b32_e32 v3, s10
	s_xor_b64 exec, exec, s[6:7]
	s_cbranch_execnz .LBB37_3072
.LBB37_1022:
	s_or_b64 exec, exec, s[6:7]
	s_and_saveexec_b64 s[6:7], s[4:5]
	s_cbranch_execz .LBB37_1024
.LBB37_1023:
	v_bfe_u32 v3, v5, 24, 3
	v_ffbh_u32_e32 v8, v3
	v_min_u32_e32 v8, 32, v8
	v_lshrrev_b32_e32 v6, 27, v5
	v_subrev_u32_e32 v9, 28, v8
	v_and_b32_e32 v4, 0x80000000, v5
	v_and_b32_e32 v6, 15, v6
	v_bfe_u32 v7, v5, 27, 4
	v_lshlrev_b32_sdwa v5, v9, v5 dst_sel:DWORD dst_unused:UNUSED_PAD src0_sel:DWORD src1_sel:BYTE_3
	v_sub_u32_e32 v8, 29, v8
	v_and_b32_e32 v5, 7, v5
	v_cmp_eq_u16_e32 vcc, 0, v6
	v_cndmask_b32_e32 v3, v3, v5, vcc
	v_cndmask_b32_e32 v5, v7, v8, vcc
	v_mov_b32_e32 v6, 0x3b800000
	v_lshlrev_b32_e32 v3, 20, v3
	v_lshl_add_u32 v5, v5, 23, v6
	v_or3_b32 v3, v4, v5, v3
.LBB37_1024:
	s_or_b64 exec, exec, s[6:7]
	s_nop 0
	v_mfma_f32_16x16x4f32 a[0:3], v2, v3, a[0:3]
	s_movk_i32 s4, 0x7f
                                        ; implicit-def: $sgpr10
	s_nop 7
	s_nop 1
	flat_store_dwordx4 v[18:19], a[0:3] offset:176
	flat_load_dwordx4 v[20:23], v[0:1] offset:16
	s_nop 0
	flat_load_dwordx2 v[18:19], v[0:1] offset:32
	s_waitcnt vmcnt(0) lgkmcnt(0)
	flat_load_dwordx4 v[14:17], v[20:21] offset:32
	flat_load_dwordx4 v[6:9], v[20:21] offset:48
	;; [unrolled: 1-line block ×4, first 2 shown]
	s_waitcnt vmcnt(0) lgkmcnt(0)
	v_cmp_gt_i16_sdwa s[6:7], v14, s4 src0_sel:BYTE_0 src1_sel:DWORD
	s_mov_b64 s[4:5], 0
	s_and_saveexec_b64 s[8:9], s[6:7]
	s_xor_b64 s[6:7], exec, s[8:9]
	s_cbranch_execnz .LBB37_3073
; %bb.1025:
	s_or_saveexec_b64 s[6:7], s[6:7]
	v_mov_b32_e32 v20, s10
	s_xor_b64 exec, exec, s[6:7]
	s_cbranch_execnz .LBB37_3076
.LBB37_1026:
	s_or_b64 exec, exec, s[6:7]
	s_and_saveexec_b64 s[6:7], s[4:5]
	s_cbranch_execz .LBB37_1028
.LBB37_1027:
	v_and_b32_e32 v20, 7, v14
	v_ffbh_u32_e32 v22, v20
	v_min_u32_e32 v22, 32, v22
	v_lshrrev_b16_e32 v21, 3, v14
	v_subrev_u32_e32 v23, 28, v22
	v_and_b32_e32 v21, 15, v21
	v_lshlrev_b32_e32 v23, v23, v14
	v_sub_u32_e32 v22, 29, v22
	v_and_b32_e32 v23, 7, v23
	v_cmp_eq_u16_e32 vcc, 0, v21
	v_cndmask_b32_e32 v20, v20, v23, vcc
	v_cndmask_b32_e32 v21, v21, v22, vcc
	v_lshlrev_b32_e32 v22, 24, v14
	v_mov_b32_e32 v23, 0x3b800000
	v_lshlrev_b32_e32 v20, 20, v20
	v_and_b32_e32 v22, 0x80000000, v22
	v_lshl_add_u32 v21, v21, 23, v23
	v_or3_b32 v20, v22, v21, v20
.LBB37_1028:
	s_or_b64 exec, exec, s[6:7]
	s_movk_i32 s4, 0x7f
	v_cmp_gt_i16_sdwa s[6:7], v10, s4 src0_sel:BYTE_0 src1_sel:DWORD
	s_mov_b64 s[4:5], 0
                                        ; implicit-def: $sgpr10
	s_and_saveexec_b64 s[8:9], s[6:7]
	s_xor_b64 s[6:7], exec, s[8:9]
	s_cbranch_execnz .LBB37_3077
; %bb.1029:
	s_or_saveexec_b64 s[6:7], s[6:7]
	v_mov_b32_e32 v21, s10
	s_xor_b64 exec, exec, s[6:7]
	s_cbranch_execnz .LBB37_3080
.LBB37_1030:
	s_or_b64 exec, exec, s[6:7]
	s_and_saveexec_b64 s[6:7], s[4:5]
	s_cbranch_execz .LBB37_1032
.LBB37_1031:
	v_and_b32_e32 v21, 7, v10
	v_ffbh_u32_e32 v23, v21
	v_min_u32_e32 v23, 32, v23
	v_lshrrev_b16_e32 v22, 3, v10
	v_subrev_u32_e32 v24, 28, v23
	v_and_b32_e32 v22, 15, v22
	v_lshlrev_b32_e32 v24, v24, v10
	v_sub_u32_e32 v23, 29, v23
	v_and_b32_e32 v24, 7, v24
	v_cmp_eq_u16_e32 vcc, 0, v22
	v_cndmask_b32_e32 v21, v21, v24, vcc
	v_cndmask_b32_e32 v22, v22, v23, vcc
	v_lshlrev_b32_e32 v23, 24, v10
	v_mov_b32_e32 v24, 0x3b800000
	v_lshlrev_b32_e32 v21, 20, v21
	v_and_b32_e32 v23, 0x80000000, v23
	v_lshl_add_u32 v22, v22, 23, v24
	v_or3_b32 v21, v23, v22, v21
.LBB37_1032:
	s_or_b64 exec, exec, s[6:7]
	flat_load_dwordx4 a[0:3], v[18:19] offset:192
	s_movk_i32 s4, 0x7f
                                        ; implicit-def: $sgpr10
	s_waitcnt vmcnt(0) lgkmcnt(0)
	v_mfma_f32_16x16x4f32 a[0:3], v20, v21, a[0:3]
	v_lshrrev_b32_e32 v21, 8, v14
	v_cmp_gt_i16_sdwa s[6:7], v21, s4 src0_sel:BYTE_0 src1_sel:DWORD
	s_mov_b64 s[4:5], 0
	s_and_saveexec_b64 s[8:9], s[6:7]
	s_xor_b64 s[6:7], exec, s[8:9]
	s_cbranch_execnz .LBB37_3081
; %bb.1033:
	s_or_saveexec_b64 s[6:7], s[6:7]
	v_mov_b32_e32 v20, s10
	s_xor_b64 exec, exec, s[6:7]
	s_cbranch_execnz .LBB37_3084
.LBB37_1034:
	s_or_b64 exec, exec, s[6:7]
	s_and_saveexec_b64 s[6:7], s[4:5]
	s_cbranch_execz .LBB37_1036
.LBB37_1035:
	v_bfe_u32 v20, v14, 8, 3
	v_ffbh_u32_e32 v23, v20
	v_min_u32_e32 v23, 32, v23
	v_lshrrev_b16_e32 v22, 3, v21
	v_subrev_u32_e32 v24, 28, v23
	v_and_b32_e32 v22, 15, v22
	v_lshlrev_b32_e32 v21, v24, v21
	v_sub_u32_e32 v23, 29, v23
	v_and_b32_e32 v21, 7, v21
	v_cmp_eq_u16_e32 vcc, 0, v22
	v_cndmask_b32_e32 v20, v20, v21, vcc
	v_cndmask_b32_e32 v21, v22, v23, vcc
	v_lshlrev_b32_e32 v22, 16, v14
	v_mov_b32_e32 v23, 0x3b800000
	v_lshlrev_b32_e32 v20, 20, v20
	v_and_b32_e32 v22, 0x80000000, v22
	v_lshl_add_u32 v21, v21, 23, v23
	v_or3_b32 v20, v22, v21, v20
.LBB37_1036:
	s_or_b64 exec, exec, s[6:7]
	v_lshrrev_b32_e32 v21, 8, v10
	s_movk_i32 s4, 0x7f
	v_cmp_gt_i16_sdwa s[6:7], v21, s4 src0_sel:BYTE_0 src1_sel:DWORD
	s_mov_b64 s[4:5], 0
                                        ; implicit-def: $sgpr10
	s_and_saveexec_b64 s[8:9], s[6:7]
	s_xor_b64 s[6:7], exec, s[8:9]
	s_cbranch_execnz .LBB37_3085
; %bb.1037:
	s_or_saveexec_b64 s[6:7], s[6:7]
	v_mov_b32_e32 v22, s10
	s_xor_b64 exec, exec, s[6:7]
	s_cbranch_execnz .LBB37_3088
.LBB37_1038:
	s_or_b64 exec, exec, s[6:7]
	s_and_saveexec_b64 s[6:7], s[4:5]
	s_cbranch_execz .LBB37_1040
.LBB37_1039:
	v_bfe_u32 v22, v10, 8, 3
	v_ffbh_u32_e32 v24, v22
	v_min_u32_e32 v24, 32, v24
	v_lshrrev_b16_e32 v23, 3, v21
	v_subrev_u32_e32 v25, 28, v24
	v_and_b32_e32 v23, 15, v23
	v_lshlrev_b32_e32 v21, v25, v21
	v_sub_u32_e32 v24, 29, v24
	v_and_b32_e32 v21, 7, v21
	v_cmp_eq_u16_e32 vcc, 0, v23
	v_cndmask_b32_e32 v21, v22, v21, vcc
	v_cndmask_b32_e32 v22, v23, v24, vcc
	v_lshlrev_b32_e32 v23, 16, v10
	v_mov_b32_e32 v24, 0x3b800000
	v_lshlrev_b32_e32 v21, 20, v21
	v_and_b32_e32 v23, 0x80000000, v23
	v_lshl_add_u32 v22, v22, 23, v24
	v_or3_b32 v22, v23, v22, v21
.LBB37_1040:
	s_or_b64 exec, exec, s[6:7]
	s_nop 0
	v_mfma_f32_16x16x4f32 a[0:3], v20, v22, a[0:3]
	s_movk_i32 s4, 0xff
	v_and_b32_sdwa v21, v14, s4 dst_sel:DWORD dst_unused:UNUSED_PAD src0_sel:WORD_1 src1_sel:DWORD
	s_movk_i32 s4, 0x7f
	v_cmp_lt_i16_e32 vcc, s4, v21
	s_mov_b64 s[4:5], 0
                                        ; implicit-def: $sgpr10
	s_and_saveexec_b64 s[6:7], vcc
	s_xor_b64 s[6:7], exec, s[6:7]
	s_cbranch_execnz .LBB37_3089
; %bb.1041:
	s_or_saveexec_b64 s[6:7], s[6:7]
	v_mov_b32_e32 v20, s10
	s_xor_b64 exec, exec, s[6:7]
	s_cbranch_execnz .LBB37_3092
.LBB37_1042:
	s_or_b64 exec, exec, s[6:7]
	s_and_saveexec_b64 s[6:7], s[4:5]
	s_cbranch_execz .LBB37_1044
.LBB37_1043:
	v_bfe_u32 v20, v14, 16, 3
	v_ffbh_u32_e32 v23, v20
	v_min_u32_e32 v23, 32, v23
	v_lshrrev_b32_e32 v21, 19, v14
	v_subrev_u32_e32 v24, 28, v23
	v_and_b32_e32 v21, 15, v21
	v_lshlrev_b32_sdwa v24, v24, v14 dst_sel:DWORD dst_unused:UNUSED_PAD src0_sel:DWORD src1_sel:WORD_1
	v_bfe_u32 v22, v14, 19, 4
	v_sub_u32_e32 v23, 29, v23
	v_and_b32_e32 v24, 7, v24
	v_cmp_eq_u16_e32 vcc, 0, v21
	v_cndmask_b32_e32 v20, v20, v24, vcc
	v_cndmask_b32_e32 v21, v22, v23, vcc
	v_lshlrev_b32_e32 v22, 8, v14
	v_mov_b32_e32 v23, 0x3b800000
	v_lshlrev_b32_e32 v20, 20, v20
	v_and_b32_e32 v22, 0x80000000, v22
	v_lshl_add_u32 v21, v21, 23, v23
	v_or3_b32 v20, v22, v21, v20
.LBB37_1044:
	s_or_b64 exec, exec, s[6:7]
	s_movk_i32 s4, 0xff
	v_and_b32_sdwa v21, v10, s4 dst_sel:DWORD dst_unused:UNUSED_PAD src0_sel:WORD_1 src1_sel:DWORD
	s_movk_i32 s4, 0x7f
	v_cmp_lt_i16_e32 vcc, s4, v21
	s_mov_b64 s[4:5], 0
                                        ; implicit-def: $sgpr10
	s_and_saveexec_b64 s[6:7], vcc
	s_xor_b64 s[6:7], exec, s[6:7]
	s_cbranch_execnz .LBB37_3093
; %bb.1045:
	s_or_saveexec_b64 s[6:7], s[6:7]
	v_mov_b32_e32 v22, s10
	s_xor_b64 exec, exec, s[6:7]
	s_cbranch_execnz .LBB37_3096
.LBB37_1046:
	s_or_b64 exec, exec, s[6:7]
	s_and_saveexec_b64 s[6:7], s[4:5]
	s_cbranch_execz .LBB37_1048
.LBB37_1047:
	v_bfe_u32 v21, v10, 16, 3
	v_ffbh_u32_e32 v24, v21
	v_min_u32_e32 v24, 32, v24
	v_lshrrev_b32_e32 v22, 19, v10
	v_subrev_u32_e32 v25, 28, v24
	v_and_b32_e32 v22, 15, v22
	v_lshlrev_b32_sdwa v25, v25, v10 dst_sel:DWORD dst_unused:UNUSED_PAD src0_sel:DWORD src1_sel:WORD_1
	v_bfe_u32 v23, v10, 19, 4
	v_sub_u32_e32 v24, 29, v24
	v_and_b32_e32 v25, 7, v25
	v_cmp_eq_u16_e32 vcc, 0, v22
	v_cndmask_b32_e32 v21, v21, v25, vcc
	v_cndmask_b32_e32 v22, v23, v24, vcc
	v_lshlrev_b32_e32 v23, 8, v10
	v_mov_b32_e32 v24, 0x3b800000
	v_lshlrev_b32_e32 v21, 20, v21
	v_and_b32_e32 v23, 0x80000000, v23
	v_lshl_add_u32 v22, v22, 23, v24
	v_or3_b32 v22, v23, v22, v21
.LBB37_1048:
	s_or_b64 exec, exec, s[6:7]
	s_nop 0
	v_mfma_f32_16x16x4f32 a[0:3], v20, v22, a[0:3]
	s_movk_i32 s4, 0x7f
	v_cmp_gt_i16_sdwa s[6:7], v14, s4 src0_sel:BYTE_3 src1_sel:DWORD
	s_mov_b64 s[4:5], 0
                                        ; implicit-def: $sgpr10
	s_and_saveexec_b64 s[8:9], s[6:7]
	s_xor_b64 s[6:7], exec, s[8:9]
	s_cbranch_execnz .LBB37_3097
; %bb.1049:
	s_or_saveexec_b64 s[6:7], s[6:7]
	v_mov_b32_e32 v20, s10
	s_xor_b64 exec, exec, s[6:7]
	s_cbranch_execnz .LBB37_3100
.LBB37_1050:
	s_or_b64 exec, exec, s[6:7]
	s_and_saveexec_b64 s[6:7], s[4:5]
	s_cbranch_execz .LBB37_1052
.LBB37_1051:
	v_bfe_u32 v20, v14, 24, 3
	v_ffbh_u32_e32 v24, v20
	v_min_u32_e32 v24, 32, v24
	v_lshrrev_b32_e32 v22, 27, v14
	v_subrev_u32_e32 v25, 28, v24
	v_and_b32_e32 v21, 0x80000000, v14
	v_and_b32_e32 v22, 15, v22
	v_bfe_u32 v23, v14, 27, 4
	v_lshlrev_b32_sdwa v14, v25, v14 dst_sel:DWORD dst_unused:UNUSED_PAD src0_sel:DWORD src1_sel:BYTE_3
	v_sub_u32_e32 v24, 29, v24
	v_and_b32_e32 v14, 7, v14
	v_cmp_eq_u16_e32 vcc, 0, v22
	v_cndmask_b32_e32 v14, v20, v14, vcc
	v_cndmask_b32_e32 v20, v23, v24, vcc
	v_mov_b32_e32 v22, 0x3b800000
	v_lshlrev_b32_e32 v14, 20, v14
	v_lshl_add_u32 v20, v20, 23, v22
	v_or3_b32 v20, v21, v20, v14
.LBB37_1052:
	s_or_b64 exec, exec, s[6:7]
	s_movk_i32 s4, 0x7f
	v_cmp_gt_i16_sdwa s[6:7], v10, s4 src0_sel:BYTE_3 src1_sel:DWORD
	s_mov_b64 s[4:5], 0
                                        ; implicit-def: $sgpr10
	s_and_saveexec_b64 s[8:9], s[6:7]
	s_xor_b64 s[6:7], exec, s[8:9]
	s_cbranch_execnz .LBB37_3101
; %bb.1053:
	s_or_saveexec_b64 s[6:7], s[6:7]
	v_mov_b32_e32 v14, s10
	s_xor_b64 exec, exec, s[6:7]
	s_cbranch_execnz .LBB37_3104
.LBB37_1054:
	s_or_b64 exec, exec, s[6:7]
	s_and_saveexec_b64 s[6:7], s[4:5]
	s_cbranch_execz .LBB37_1056
.LBB37_1055:
	v_bfe_u32 v14, v10, 24, 3
	v_ffbh_u32_e32 v24, v14
	v_min_u32_e32 v24, 32, v24
	v_lshrrev_b32_e32 v22, 27, v10
	v_subrev_u32_e32 v25, 28, v24
	v_and_b32_e32 v21, 0x80000000, v10
	v_and_b32_e32 v22, 15, v22
	v_bfe_u32 v23, v10, 27, 4
	v_lshlrev_b32_sdwa v10, v25, v10 dst_sel:DWORD dst_unused:UNUSED_PAD src0_sel:DWORD src1_sel:BYTE_3
	v_sub_u32_e32 v24, 29, v24
	v_and_b32_e32 v10, 7, v10
	v_cmp_eq_u16_e32 vcc, 0, v22
	v_cndmask_b32_e32 v10, v14, v10, vcc
	v_cndmask_b32_e32 v14, v23, v24, vcc
	v_mov_b32_e32 v22, 0x3b800000
	v_lshlrev_b32_e32 v10, 20, v10
	v_lshl_add_u32 v14, v14, 23, v22
	v_or3_b32 v14, v21, v14, v10
.LBB37_1056:
	s_or_b64 exec, exec, s[6:7]
	s_nop 0
	v_mfma_f32_16x16x4f32 a[0:3], v20, v14, a[0:3]
	s_movk_i32 s4, 0x7f
	v_cmp_gt_i16_sdwa s[6:7], v15, s4 src0_sel:BYTE_0 src1_sel:DWORD
	s_mov_b64 s[4:5], 0
                                        ; implicit-def: $sgpr10
	s_and_saveexec_b64 s[8:9], s[6:7]
	s_xor_b64 s[6:7], exec, s[8:9]
	s_cbranch_execnz .LBB37_3105
; %bb.1057:
	s_or_saveexec_b64 s[6:7], s[6:7]
	v_mov_b32_e32 v10, s10
	s_xor_b64 exec, exec, s[6:7]
	s_cbranch_execnz .LBB37_3108
.LBB37_1058:
	s_or_b64 exec, exec, s[6:7]
	s_and_saveexec_b64 s[6:7], s[4:5]
	s_cbranch_execz .LBB37_1060
.LBB37_1059:
	v_and_b32_e32 v10, 7, v15
	v_ffbh_u32_e32 v20, v10
	v_min_u32_e32 v20, 32, v20
	v_lshrrev_b16_e32 v14, 3, v15
	v_subrev_u32_e32 v21, 28, v20
	v_and_b32_e32 v14, 15, v14
	v_lshlrev_b32_e32 v21, v21, v15
	v_sub_u32_e32 v20, 29, v20
	v_and_b32_e32 v21, 7, v21
	v_cmp_eq_u16_e32 vcc, 0, v14
	v_cndmask_b32_e32 v10, v10, v21, vcc
	v_cndmask_b32_e32 v14, v14, v20, vcc
	v_lshlrev_b32_e32 v20, 24, v15
	v_mov_b32_e32 v21, 0x3b800000
	v_lshlrev_b32_e32 v10, 20, v10
	v_and_b32_e32 v20, 0x80000000, v20
	v_lshl_add_u32 v14, v14, 23, v21
	v_or3_b32 v10, v20, v14, v10
.LBB37_1060:
	s_or_b64 exec, exec, s[6:7]
	s_movk_i32 s4, 0x7f
	v_cmp_gt_i16_sdwa s[6:7], v11, s4 src0_sel:BYTE_0 src1_sel:DWORD
	s_mov_b64 s[4:5], 0
                                        ; implicit-def: $sgpr10
	s_and_saveexec_b64 s[8:9], s[6:7]
	s_xor_b64 s[6:7], exec, s[8:9]
	s_cbranch_execnz .LBB37_3109
; %bb.1061:
	s_or_saveexec_b64 s[6:7], s[6:7]
	v_mov_b32_e32 v14, s10
	s_xor_b64 exec, exec, s[6:7]
	s_cbranch_execnz .LBB37_3112
.LBB37_1062:
	s_or_b64 exec, exec, s[6:7]
	s_and_saveexec_b64 s[6:7], s[4:5]
	s_cbranch_execz .LBB37_1064
.LBB37_1063:
	v_and_b32_e32 v14, 7, v11
	v_ffbh_u32_e32 v21, v14
	v_min_u32_e32 v21, 32, v21
	v_lshrrev_b16_e32 v20, 3, v11
	v_subrev_u32_e32 v22, 28, v21
	v_and_b32_e32 v20, 15, v20
	v_lshlrev_b32_e32 v22, v22, v11
	v_sub_u32_e32 v21, 29, v21
	v_and_b32_e32 v22, 7, v22
	v_cmp_eq_u16_e32 vcc, 0, v20
	v_cndmask_b32_e32 v14, v14, v22, vcc
	v_cndmask_b32_e32 v20, v20, v21, vcc
	v_lshlrev_b32_e32 v21, 24, v11
	v_mov_b32_e32 v22, 0x3b800000
	v_lshlrev_b32_e32 v14, 20, v14
	v_and_b32_e32 v21, 0x80000000, v21
	v_lshl_add_u32 v20, v20, 23, v22
	v_or3_b32 v14, v21, v20, v14
.LBB37_1064:
	s_or_b64 exec, exec, s[6:7]
	s_nop 0
	v_mfma_f32_16x16x4f32 a[0:3], v10, v14, a[0:3]
	v_lshrrev_b32_e32 v14, 8, v15
	s_movk_i32 s4, 0x7f
	v_cmp_gt_i16_sdwa s[6:7], v14, s4 src0_sel:BYTE_0 src1_sel:DWORD
	s_mov_b64 s[4:5], 0
                                        ; implicit-def: $sgpr10
	s_and_saveexec_b64 s[8:9], s[6:7]
	s_xor_b64 s[6:7], exec, s[8:9]
	s_cbranch_execnz .LBB37_3113
; %bb.1065:
	s_or_saveexec_b64 s[6:7], s[6:7]
	v_mov_b32_e32 v10, s10
	s_xor_b64 exec, exec, s[6:7]
	s_cbranch_execnz .LBB37_3116
.LBB37_1066:
	s_or_b64 exec, exec, s[6:7]
	s_and_saveexec_b64 s[6:7], s[4:5]
	s_cbranch_execz .LBB37_1068
.LBB37_1067:
	v_bfe_u32 v10, v15, 8, 3
	v_ffbh_u32_e32 v21, v10
	v_min_u32_e32 v21, 32, v21
	v_lshrrev_b16_e32 v20, 3, v14
	v_subrev_u32_e32 v22, 28, v21
	v_and_b32_e32 v20, 15, v20
	v_lshlrev_b32_e32 v14, v22, v14
	v_sub_u32_e32 v21, 29, v21
	v_and_b32_e32 v14, 7, v14
	v_cmp_eq_u16_e32 vcc, 0, v20
	v_cndmask_b32_e32 v10, v10, v14, vcc
	v_cndmask_b32_e32 v14, v20, v21, vcc
	v_lshlrev_b32_e32 v20, 16, v15
	v_mov_b32_e32 v21, 0x3b800000
	v_lshlrev_b32_e32 v10, 20, v10
	v_and_b32_e32 v20, 0x80000000, v20
	v_lshl_add_u32 v14, v14, 23, v21
	v_or3_b32 v10, v20, v14, v10
.LBB37_1068:
	s_or_b64 exec, exec, s[6:7]
	v_lshrrev_b32_e32 v14, 8, v11
	s_movk_i32 s4, 0x7f
	v_cmp_gt_i16_sdwa s[6:7], v14, s4 src0_sel:BYTE_0 src1_sel:DWORD
	s_mov_b64 s[4:5], 0
                                        ; implicit-def: $sgpr10
	s_and_saveexec_b64 s[8:9], s[6:7]
	s_xor_b64 s[6:7], exec, s[8:9]
	s_cbranch_execnz .LBB37_3117
; %bb.1069:
	s_or_saveexec_b64 s[6:7], s[6:7]
	v_mov_b32_e32 v20, s10
	s_xor_b64 exec, exec, s[6:7]
	s_cbranch_execnz .LBB37_3120
.LBB37_1070:
	s_or_b64 exec, exec, s[6:7]
	s_and_saveexec_b64 s[6:7], s[4:5]
	s_cbranch_execz .LBB37_1072
.LBB37_1071:
	v_bfe_u32 v20, v11, 8, 3
	v_ffbh_u32_e32 v22, v20
	v_min_u32_e32 v22, 32, v22
	v_lshrrev_b16_e32 v21, 3, v14
	v_subrev_u32_e32 v23, 28, v22
	v_and_b32_e32 v21, 15, v21
	v_lshlrev_b32_e32 v14, v23, v14
	v_sub_u32_e32 v22, 29, v22
	v_and_b32_e32 v14, 7, v14
	v_cmp_eq_u16_e32 vcc, 0, v21
	v_cndmask_b32_e32 v14, v20, v14, vcc
	v_cndmask_b32_e32 v20, v21, v22, vcc
	v_lshlrev_b32_e32 v21, 16, v11
	v_mov_b32_e32 v22, 0x3b800000
	v_lshlrev_b32_e32 v14, 20, v14
	v_and_b32_e32 v21, 0x80000000, v21
	v_lshl_add_u32 v20, v20, 23, v22
	v_or3_b32 v20, v21, v20, v14
.LBB37_1072:
	s_or_b64 exec, exec, s[6:7]
	s_nop 0
	v_mfma_f32_16x16x4f32 a[0:3], v10, v20, a[0:3]
	s_movk_i32 s4, 0xff
	v_and_b32_sdwa v14, v15, s4 dst_sel:DWORD dst_unused:UNUSED_PAD src0_sel:WORD_1 src1_sel:DWORD
	s_movk_i32 s4, 0x7f
	v_cmp_lt_i16_e32 vcc, s4, v14
	s_mov_b64 s[4:5], 0
                                        ; implicit-def: $sgpr10
	s_and_saveexec_b64 s[6:7], vcc
	s_xor_b64 s[6:7], exec, s[6:7]
	s_cbranch_execnz .LBB37_3121
; %bb.1073:
	s_or_saveexec_b64 s[6:7], s[6:7]
	v_mov_b32_e32 v10, s10
	s_xor_b64 exec, exec, s[6:7]
	s_cbranch_execnz .LBB37_3124
.LBB37_1074:
	s_or_b64 exec, exec, s[6:7]
	s_and_saveexec_b64 s[6:7], s[4:5]
	s_cbranch_execz .LBB37_1076
.LBB37_1075:
	v_bfe_u32 v10, v15, 16, 3
	v_ffbh_u32_e32 v21, v10
	v_min_u32_e32 v21, 32, v21
	v_lshrrev_b32_e32 v14, 19, v15
	v_subrev_u32_e32 v22, 28, v21
	v_and_b32_e32 v14, 15, v14
	v_lshlrev_b32_sdwa v22, v22, v15 dst_sel:DWORD dst_unused:UNUSED_PAD src0_sel:DWORD src1_sel:WORD_1
	v_bfe_u32 v20, v15, 19, 4
	v_sub_u32_e32 v21, 29, v21
	v_and_b32_e32 v22, 7, v22
	v_cmp_eq_u16_e32 vcc, 0, v14
	v_cndmask_b32_e32 v10, v10, v22, vcc
	v_cndmask_b32_e32 v14, v20, v21, vcc
	v_lshlrev_b32_e32 v20, 8, v15
	v_mov_b32_e32 v21, 0x3b800000
	v_lshlrev_b32_e32 v10, 20, v10
	v_and_b32_e32 v20, 0x80000000, v20
	v_lshl_add_u32 v14, v14, 23, v21
	v_or3_b32 v10, v20, v14, v10
.LBB37_1076:
	s_or_b64 exec, exec, s[6:7]
	s_movk_i32 s4, 0xff
	v_and_b32_sdwa v14, v11, s4 dst_sel:DWORD dst_unused:UNUSED_PAD src0_sel:WORD_1 src1_sel:DWORD
	s_movk_i32 s4, 0x7f
	v_cmp_lt_i16_e32 vcc, s4, v14
	s_mov_b64 s[4:5], 0
                                        ; implicit-def: $sgpr10
	s_and_saveexec_b64 s[6:7], vcc
	s_xor_b64 s[6:7], exec, s[6:7]
	s_cbranch_execnz .LBB37_3125
; %bb.1077:
	s_or_saveexec_b64 s[6:7], s[6:7]
	v_mov_b32_e32 v20, s10
	s_xor_b64 exec, exec, s[6:7]
	s_cbranch_execnz .LBB37_3128
.LBB37_1078:
	s_or_b64 exec, exec, s[6:7]
	s_and_saveexec_b64 s[6:7], s[4:5]
	s_cbranch_execz .LBB37_1080
.LBB37_1079:
	v_bfe_u32 v14, v11, 16, 3
	v_ffbh_u32_e32 v22, v14
	v_min_u32_e32 v22, 32, v22
	v_lshrrev_b32_e32 v20, 19, v11
	v_subrev_u32_e32 v23, 28, v22
	v_and_b32_e32 v20, 15, v20
	v_lshlrev_b32_sdwa v23, v23, v11 dst_sel:DWORD dst_unused:UNUSED_PAD src0_sel:DWORD src1_sel:WORD_1
	v_bfe_u32 v21, v11, 19, 4
	v_sub_u32_e32 v22, 29, v22
	v_and_b32_e32 v23, 7, v23
	v_cmp_eq_u16_e32 vcc, 0, v20
	v_cndmask_b32_e32 v14, v14, v23, vcc
	v_cndmask_b32_e32 v20, v21, v22, vcc
	v_lshlrev_b32_e32 v21, 8, v11
	v_mov_b32_e32 v22, 0x3b800000
	v_lshlrev_b32_e32 v14, 20, v14
	v_and_b32_e32 v21, 0x80000000, v21
	v_lshl_add_u32 v20, v20, 23, v22
	v_or3_b32 v20, v21, v20, v14
.LBB37_1080:
	s_or_b64 exec, exec, s[6:7]
	s_nop 0
	v_mfma_f32_16x16x4f32 a[0:3], v10, v20, a[0:3]
	s_movk_i32 s4, 0x7f
	v_cmp_gt_i16_sdwa s[6:7], v15, s4 src0_sel:BYTE_3 src1_sel:DWORD
	s_mov_b64 s[4:5], 0
                                        ; implicit-def: $sgpr10
	s_and_saveexec_b64 s[8:9], s[6:7]
	s_xor_b64 s[6:7], exec, s[8:9]
	s_cbranch_execnz .LBB37_3129
; %bb.1081:
	s_or_saveexec_b64 s[6:7], s[6:7]
	v_mov_b32_e32 v10, s10
	s_xor_b64 exec, exec, s[6:7]
	s_cbranch_execnz .LBB37_3132
.LBB37_1082:
	s_or_b64 exec, exec, s[6:7]
	s_and_saveexec_b64 s[6:7], s[4:5]
	s_cbranch_execz .LBB37_1084
.LBB37_1083:
	v_bfe_u32 v10, v15, 24, 3
	v_ffbh_u32_e32 v22, v10
	v_min_u32_e32 v22, 32, v22
	v_lshrrev_b32_e32 v20, 27, v15
	v_subrev_u32_e32 v23, 28, v22
	v_and_b32_e32 v14, 0x80000000, v15
	v_and_b32_e32 v20, 15, v20
	v_bfe_u32 v21, v15, 27, 4
	v_lshlrev_b32_sdwa v15, v23, v15 dst_sel:DWORD dst_unused:UNUSED_PAD src0_sel:DWORD src1_sel:BYTE_3
	v_sub_u32_e32 v22, 29, v22
	v_and_b32_e32 v15, 7, v15
	v_cmp_eq_u16_e32 vcc, 0, v20
	v_cndmask_b32_e32 v10, v10, v15, vcc
	v_cndmask_b32_e32 v15, v21, v22, vcc
	v_mov_b32_e32 v20, 0x3b800000
	v_lshlrev_b32_e32 v10, 20, v10
	v_lshl_add_u32 v15, v15, 23, v20
	v_or3_b32 v10, v14, v15, v10
.LBB37_1084:
	s_or_b64 exec, exec, s[6:7]
	s_movk_i32 s4, 0x7f
	v_cmp_gt_i16_sdwa s[6:7], v11, s4 src0_sel:BYTE_3 src1_sel:DWORD
	s_mov_b64 s[4:5], 0
                                        ; implicit-def: $sgpr10
	s_and_saveexec_b64 s[8:9], s[6:7]
	s_xor_b64 s[6:7], exec, s[8:9]
	s_cbranch_execnz .LBB37_3133
; %bb.1085:
	s_or_saveexec_b64 s[6:7], s[6:7]
	v_mov_b32_e32 v14, s10
	s_xor_b64 exec, exec, s[6:7]
	s_cbranch_execnz .LBB37_3136
.LBB37_1086:
	s_or_b64 exec, exec, s[6:7]
	s_and_saveexec_b64 s[6:7], s[4:5]
	s_cbranch_execz .LBB37_1088
.LBB37_1087:
	v_bfe_u32 v14, v11, 24, 3
	v_ffbh_u32_e32 v22, v14
	v_min_u32_e32 v22, 32, v22
	v_lshrrev_b32_e32 v20, 27, v11
	v_subrev_u32_e32 v23, 28, v22
	v_and_b32_e32 v15, 0x80000000, v11
	v_and_b32_e32 v20, 15, v20
	v_bfe_u32 v21, v11, 27, 4
	v_lshlrev_b32_sdwa v11, v23, v11 dst_sel:DWORD dst_unused:UNUSED_PAD src0_sel:DWORD src1_sel:BYTE_3
	v_sub_u32_e32 v22, 29, v22
	v_and_b32_e32 v11, 7, v11
	v_cmp_eq_u16_e32 vcc, 0, v20
	v_cndmask_b32_e32 v11, v14, v11, vcc
	v_cndmask_b32_e32 v14, v21, v22, vcc
	v_mov_b32_e32 v20, 0x3b800000
	v_lshlrev_b32_e32 v11, 20, v11
	v_lshl_add_u32 v14, v14, 23, v20
	v_or3_b32 v14, v15, v14, v11
.LBB37_1088:
	s_or_b64 exec, exec, s[6:7]
	s_nop 0
	v_mfma_f32_16x16x4f32 a[0:3], v10, v14, a[0:3]
	s_movk_i32 s4, 0x7f
	v_cmp_gt_i16_sdwa s[6:7], v16, s4 src0_sel:BYTE_0 src1_sel:DWORD
	s_mov_b64 s[4:5], 0
                                        ; implicit-def: $sgpr10
	s_and_saveexec_b64 s[8:9], s[6:7]
	s_xor_b64 s[6:7], exec, s[8:9]
	s_cbranch_execnz .LBB37_3137
; %bb.1089:
	s_or_saveexec_b64 s[6:7], s[6:7]
	v_mov_b32_e32 v10, s10
	s_xor_b64 exec, exec, s[6:7]
	s_cbranch_execnz .LBB37_3140
.LBB37_1090:
	s_or_b64 exec, exec, s[6:7]
	s_and_saveexec_b64 s[6:7], s[4:5]
	s_cbranch_execz .LBB37_1092
.LBB37_1091:
	v_and_b32_e32 v10, 7, v16
	v_ffbh_u32_e32 v14, v10
	v_min_u32_e32 v14, 32, v14
	v_lshrrev_b16_e32 v11, 3, v16
	v_subrev_u32_e32 v15, 28, v14
	v_and_b32_e32 v11, 15, v11
	v_lshlrev_b32_e32 v15, v15, v16
	v_sub_u32_e32 v14, 29, v14
	v_and_b32_e32 v15, 7, v15
	v_cmp_eq_u16_e32 vcc, 0, v11
	v_cndmask_b32_e32 v10, v10, v15, vcc
	v_cndmask_b32_e32 v11, v11, v14, vcc
	v_lshlrev_b32_e32 v14, 24, v16
	v_mov_b32_e32 v15, 0x3b800000
	v_lshlrev_b32_e32 v10, 20, v10
	v_and_b32_e32 v14, 0x80000000, v14
	v_lshl_add_u32 v11, v11, 23, v15
	v_or3_b32 v10, v14, v11, v10
.LBB37_1092:
	s_or_b64 exec, exec, s[6:7]
	s_movk_i32 s4, 0x7f
	v_cmp_gt_i16_sdwa s[6:7], v12, s4 src0_sel:BYTE_0 src1_sel:DWORD
	s_mov_b64 s[4:5], 0
                                        ; implicit-def: $sgpr10
	s_and_saveexec_b64 s[8:9], s[6:7]
	s_xor_b64 s[6:7], exec, s[8:9]
	s_cbranch_execnz .LBB37_3141
; %bb.1093:
	s_or_saveexec_b64 s[6:7], s[6:7]
	v_mov_b32_e32 v11, s10
	s_xor_b64 exec, exec, s[6:7]
	s_cbranch_execnz .LBB37_3144
.LBB37_1094:
	s_or_b64 exec, exec, s[6:7]
	s_and_saveexec_b64 s[6:7], s[4:5]
	s_cbranch_execz .LBB37_1096
.LBB37_1095:
	v_and_b32_e32 v11, 7, v12
	v_ffbh_u32_e32 v15, v11
	v_min_u32_e32 v15, 32, v15
	v_lshrrev_b16_e32 v14, 3, v12
	v_subrev_u32_e32 v20, 28, v15
	v_and_b32_e32 v14, 15, v14
	v_lshlrev_b32_e32 v20, v20, v12
	v_sub_u32_e32 v15, 29, v15
	v_and_b32_e32 v20, 7, v20
	v_cmp_eq_u16_e32 vcc, 0, v14
	v_cndmask_b32_e32 v11, v11, v20, vcc
	v_cndmask_b32_e32 v14, v14, v15, vcc
	v_lshlrev_b32_e32 v15, 24, v12
	v_mov_b32_e32 v20, 0x3b800000
	v_lshlrev_b32_e32 v11, 20, v11
	v_and_b32_e32 v15, 0x80000000, v15
	v_lshl_add_u32 v14, v14, 23, v20
	v_or3_b32 v11, v15, v14, v11
.LBB37_1096:
	s_or_b64 exec, exec, s[6:7]
	s_nop 0
	v_mfma_f32_16x16x4f32 a[0:3], v10, v11, a[0:3]
	v_lshrrev_b32_e32 v11, 8, v16
	s_movk_i32 s4, 0x7f
	v_cmp_gt_i16_sdwa s[6:7], v11, s4 src0_sel:BYTE_0 src1_sel:DWORD
	s_mov_b64 s[4:5], 0
                                        ; implicit-def: $sgpr10
	s_and_saveexec_b64 s[8:9], s[6:7]
	s_xor_b64 s[6:7], exec, s[8:9]
	s_cbranch_execnz .LBB37_3145
; %bb.1097:
	s_or_saveexec_b64 s[6:7], s[6:7]
	v_mov_b32_e32 v10, s10
	s_xor_b64 exec, exec, s[6:7]
	s_cbranch_execnz .LBB37_3148
.LBB37_1098:
	s_or_b64 exec, exec, s[6:7]
	s_and_saveexec_b64 s[6:7], s[4:5]
	s_cbranch_execz .LBB37_1100
.LBB37_1099:
	v_bfe_u32 v10, v16, 8, 3
	v_ffbh_u32_e32 v15, v10
	v_min_u32_e32 v15, 32, v15
	v_lshrrev_b16_e32 v14, 3, v11
	v_subrev_u32_e32 v20, 28, v15
	v_and_b32_e32 v14, 15, v14
	v_lshlrev_b32_e32 v11, v20, v11
	v_sub_u32_e32 v15, 29, v15
	v_and_b32_e32 v11, 7, v11
	v_cmp_eq_u16_e32 vcc, 0, v14
	v_cndmask_b32_e32 v10, v10, v11, vcc
	v_cndmask_b32_e32 v11, v14, v15, vcc
	v_lshlrev_b32_e32 v14, 16, v16
	v_mov_b32_e32 v15, 0x3b800000
	v_lshlrev_b32_e32 v10, 20, v10
	v_and_b32_e32 v14, 0x80000000, v14
	v_lshl_add_u32 v11, v11, 23, v15
	v_or3_b32 v10, v14, v11, v10
.LBB37_1100:
	s_or_b64 exec, exec, s[6:7]
	v_lshrrev_b32_e32 v11, 8, v12
	s_movk_i32 s4, 0x7f
	v_cmp_gt_i16_sdwa s[6:7], v11, s4 src0_sel:BYTE_0 src1_sel:DWORD
	s_mov_b64 s[4:5], 0
                                        ; implicit-def: $sgpr10
	s_and_saveexec_b64 s[8:9], s[6:7]
	s_xor_b64 s[6:7], exec, s[8:9]
	s_cbranch_execnz .LBB37_3149
; %bb.1101:
	s_or_saveexec_b64 s[6:7], s[6:7]
	v_mov_b32_e32 v14, s10
	s_xor_b64 exec, exec, s[6:7]
	s_cbranch_execnz .LBB37_3152
.LBB37_1102:
	s_or_b64 exec, exec, s[6:7]
	s_and_saveexec_b64 s[6:7], s[4:5]
	s_cbranch_execz .LBB37_1104
.LBB37_1103:
	v_bfe_u32 v14, v12, 8, 3
	v_ffbh_u32_e32 v20, v14
	v_min_u32_e32 v20, 32, v20
	v_lshrrev_b16_e32 v15, 3, v11
	v_subrev_u32_e32 v21, 28, v20
	v_and_b32_e32 v15, 15, v15
	v_lshlrev_b32_e32 v11, v21, v11
	v_sub_u32_e32 v20, 29, v20
	v_and_b32_e32 v11, 7, v11
	v_cmp_eq_u16_e32 vcc, 0, v15
	v_cndmask_b32_e32 v11, v14, v11, vcc
	v_cndmask_b32_e32 v14, v15, v20, vcc
	v_lshlrev_b32_e32 v15, 16, v12
	v_mov_b32_e32 v20, 0x3b800000
	v_lshlrev_b32_e32 v11, 20, v11
	v_and_b32_e32 v15, 0x80000000, v15
	v_lshl_add_u32 v14, v14, 23, v20
	v_or3_b32 v14, v15, v14, v11
.LBB37_1104:
	s_or_b64 exec, exec, s[6:7]
	s_nop 0
	v_mfma_f32_16x16x4f32 a[0:3], v10, v14, a[0:3]
	s_movk_i32 s4, 0xff
	v_and_b32_sdwa v11, v16, s4 dst_sel:DWORD dst_unused:UNUSED_PAD src0_sel:WORD_1 src1_sel:DWORD
	s_movk_i32 s4, 0x7f
	v_cmp_lt_i16_e32 vcc, s4, v11
	s_mov_b64 s[4:5], 0
                                        ; implicit-def: $sgpr10
	s_and_saveexec_b64 s[6:7], vcc
	s_xor_b64 s[6:7], exec, s[6:7]
	s_cbranch_execnz .LBB37_3153
; %bb.1105:
	s_or_saveexec_b64 s[6:7], s[6:7]
	v_mov_b32_e32 v10, s10
	s_xor_b64 exec, exec, s[6:7]
	s_cbranch_execnz .LBB37_3156
.LBB37_1106:
	s_or_b64 exec, exec, s[6:7]
	s_and_saveexec_b64 s[6:7], s[4:5]
	s_cbranch_execz .LBB37_1108
.LBB37_1107:
	v_bfe_u32 v10, v16, 16, 3
	v_ffbh_u32_e32 v15, v10
	v_min_u32_e32 v15, 32, v15
	v_lshrrev_b32_e32 v11, 19, v16
	v_subrev_u32_e32 v20, 28, v15
	v_and_b32_e32 v11, 15, v11
	v_lshlrev_b32_sdwa v20, v20, v16 dst_sel:DWORD dst_unused:UNUSED_PAD src0_sel:DWORD src1_sel:WORD_1
	v_bfe_u32 v14, v16, 19, 4
	v_sub_u32_e32 v15, 29, v15
	v_and_b32_e32 v20, 7, v20
	v_cmp_eq_u16_e32 vcc, 0, v11
	v_cndmask_b32_e32 v10, v10, v20, vcc
	v_cndmask_b32_e32 v11, v14, v15, vcc
	v_lshlrev_b32_e32 v14, 8, v16
	v_mov_b32_e32 v15, 0x3b800000
	v_lshlrev_b32_e32 v10, 20, v10
	v_and_b32_e32 v14, 0x80000000, v14
	v_lshl_add_u32 v11, v11, 23, v15
	v_or3_b32 v10, v14, v11, v10
.LBB37_1108:
	s_or_b64 exec, exec, s[6:7]
	s_movk_i32 s4, 0xff
	v_and_b32_sdwa v11, v12, s4 dst_sel:DWORD dst_unused:UNUSED_PAD src0_sel:WORD_1 src1_sel:DWORD
	s_movk_i32 s4, 0x7f
	v_cmp_lt_i16_e32 vcc, s4, v11
	s_mov_b64 s[4:5], 0
                                        ; implicit-def: $sgpr10
	s_and_saveexec_b64 s[6:7], vcc
	s_xor_b64 s[6:7], exec, s[6:7]
	s_cbranch_execnz .LBB37_3157
; %bb.1109:
	s_or_saveexec_b64 s[6:7], s[6:7]
	v_mov_b32_e32 v14, s10
	s_xor_b64 exec, exec, s[6:7]
	s_cbranch_execnz .LBB37_3160
.LBB37_1110:
	s_or_b64 exec, exec, s[6:7]
	s_and_saveexec_b64 s[6:7], s[4:5]
	s_cbranch_execz .LBB37_1112
.LBB37_1111:
	v_bfe_u32 v11, v12, 16, 3
	v_ffbh_u32_e32 v20, v11
	v_min_u32_e32 v20, 32, v20
	v_lshrrev_b32_e32 v14, 19, v12
	v_subrev_u32_e32 v21, 28, v20
	v_and_b32_e32 v14, 15, v14
	v_lshlrev_b32_sdwa v21, v21, v12 dst_sel:DWORD dst_unused:UNUSED_PAD src0_sel:DWORD src1_sel:WORD_1
	v_bfe_u32 v15, v12, 19, 4
	v_sub_u32_e32 v20, 29, v20
	v_and_b32_e32 v21, 7, v21
	v_cmp_eq_u16_e32 vcc, 0, v14
	v_cndmask_b32_e32 v11, v11, v21, vcc
	v_cndmask_b32_e32 v14, v15, v20, vcc
	v_lshlrev_b32_e32 v15, 8, v12
	v_mov_b32_e32 v20, 0x3b800000
	v_lshlrev_b32_e32 v11, 20, v11
	v_and_b32_e32 v15, 0x80000000, v15
	v_lshl_add_u32 v14, v14, 23, v20
	v_or3_b32 v14, v15, v14, v11
.LBB37_1112:
	s_or_b64 exec, exec, s[6:7]
	s_nop 0
	v_mfma_f32_16x16x4f32 a[0:3], v10, v14, a[0:3]
	s_movk_i32 s4, 0x7f
	v_cmp_gt_i16_sdwa s[6:7], v16, s4 src0_sel:BYTE_3 src1_sel:DWORD
	s_mov_b64 s[4:5], 0
                                        ; implicit-def: $sgpr10
	s_and_saveexec_b64 s[8:9], s[6:7]
	s_xor_b64 s[6:7], exec, s[8:9]
	s_cbranch_execnz .LBB37_3161
; %bb.1113:
	s_or_saveexec_b64 s[6:7], s[6:7]
	v_mov_b32_e32 v10, s10
	s_xor_b64 exec, exec, s[6:7]
	s_cbranch_execnz .LBB37_3164
.LBB37_1114:
	s_or_b64 exec, exec, s[6:7]
	s_and_saveexec_b64 s[6:7], s[4:5]
	s_cbranch_execz .LBB37_1116
.LBB37_1115:
	v_bfe_u32 v10, v16, 24, 3
	v_ffbh_u32_e32 v20, v10
	v_min_u32_e32 v20, 32, v20
	v_lshrrev_b32_e32 v14, 27, v16
	v_subrev_u32_e32 v21, 28, v20
	v_and_b32_e32 v11, 0x80000000, v16
	v_and_b32_e32 v14, 15, v14
	v_bfe_u32 v15, v16, 27, 4
	v_lshlrev_b32_sdwa v16, v21, v16 dst_sel:DWORD dst_unused:UNUSED_PAD src0_sel:DWORD src1_sel:BYTE_3
	v_sub_u32_e32 v20, 29, v20
	v_and_b32_e32 v16, 7, v16
	v_cmp_eq_u16_e32 vcc, 0, v14
	v_cndmask_b32_e32 v10, v10, v16, vcc
	v_cndmask_b32_e32 v14, v15, v20, vcc
	v_mov_b32_e32 v15, 0x3b800000
	v_lshlrev_b32_e32 v10, 20, v10
	v_lshl_add_u32 v14, v14, 23, v15
	v_or3_b32 v10, v11, v14, v10
.LBB37_1116:
	s_or_b64 exec, exec, s[6:7]
	s_movk_i32 s4, 0x7f
	v_cmp_gt_i16_sdwa s[6:7], v12, s4 src0_sel:BYTE_3 src1_sel:DWORD
	s_mov_b64 s[4:5], 0
                                        ; implicit-def: $sgpr10
	s_and_saveexec_b64 s[8:9], s[6:7]
	s_xor_b64 s[6:7], exec, s[8:9]
	s_cbranch_execnz .LBB37_3165
; %bb.1117:
	s_or_saveexec_b64 s[6:7], s[6:7]
	v_mov_b32_e32 v11, s10
	s_xor_b64 exec, exec, s[6:7]
	s_cbranch_execnz .LBB37_3168
.LBB37_1118:
	s_or_b64 exec, exec, s[6:7]
	s_and_saveexec_b64 s[6:7], s[4:5]
	s_cbranch_execz .LBB37_1120
.LBB37_1119:
	v_bfe_u32 v11, v12, 24, 3
	v_ffbh_u32_e32 v20, v11
	v_min_u32_e32 v20, 32, v20
	v_lshrrev_b32_e32 v15, 27, v12
	v_subrev_u32_e32 v21, 28, v20
	v_and_b32_e32 v14, 0x80000000, v12
	v_and_b32_e32 v15, 15, v15
	v_bfe_u32 v16, v12, 27, 4
	v_lshlrev_b32_sdwa v12, v21, v12 dst_sel:DWORD dst_unused:UNUSED_PAD src0_sel:DWORD src1_sel:BYTE_3
	v_sub_u32_e32 v20, 29, v20
	v_and_b32_e32 v12, 7, v12
	v_cmp_eq_u16_e32 vcc, 0, v15
	v_cndmask_b32_e32 v11, v11, v12, vcc
	v_cndmask_b32_e32 v12, v16, v20, vcc
	v_mov_b32_e32 v15, 0x3b800000
	v_lshlrev_b32_e32 v11, 20, v11
	v_lshl_add_u32 v12, v12, 23, v15
	v_or3_b32 v11, v14, v12, v11
.LBB37_1120:
	s_or_b64 exec, exec, s[6:7]
	s_nop 0
	v_mfma_f32_16x16x4f32 a[0:3], v10, v11, a[0:3]
	s_movk_i32 s4, 0x7f
	v_cmp_gt_i16_sdwa s[6:7], v17, s4 src0_sel:BYTE_0 src1_sel:DWORD
	s_mov_b64 s[4:5], 0
                                        ; implicit-def: $sgpr10
	s_and_saveexec_b64 s[8:9], s[6:7]
	s_xor_b64 s[6:7], exec, s[8:9]
	s_cbranch_execnz .LBB37_3169
; %bb.1121:
	s_or_saveexec_b64 s[6:7], s[6:7]
	v_mov_b32_e32 v10, s10
	s_xor_b64 exec, exec, s[6:7]
	s_cbranch_execnz .LBB37_3172
.LBB37_1122:
	s_or_b64 exec, exec, s[6:7]
	s_and_saveexec_b64 s[6:7], s[4:5]
	s_cbranch_execz .LBB37_1124
.LBB37_1123:
	v_and_b32_e32 v10, 7, v17
	v_ffbh_u32_e32 v12, v10
	v_min_u32_e32 v12, 32, v12
	v_lshrrev_b16_e32 v11, 3, v17
	v_subrev_u32_e32 v14, 28, v12
	v_and_b32_e32 v11, 15, v11
	v_lshlrev_b32_e32 v14, v14, v17
	v_sub_u32_e32 v12, 29, v12
	v_and_b32_e32 v14, 7, v14
	v_cmp_eq_u16_e32 vcc, 0, v11
	v_cndmask_b32_e32 v10, v10, v14, vcc
	v_cndmask_b32_e32 v11, v11, v12, vcc
	v_lshlrev_b32_e32 v12, 24, v17
	v_mov_b32_e32 v14, 0x3b800000
	v_lshlrev_b32_e32 v10, 20, v10
	v_and_b32_e32 v12, 0x80000000, v12
	v_lshl_add_u32 v11, v11, 23, v14
	v_or3_b32 v10, v12, v11, v10
.LBB37_1124:
	s_or_b64 exec, exec, s[6:7]
	s_movk_i32 s4, 0x7f
	v_cmp_gt_i16_sdwa s[6:7], v13, s4 src0_sel:BYTE_0 src1_sel:DWORD
	s_mov_b64 s[4:5], 0
                                        ; implicit-def: $sgpr10
	s_and_saveexec_b64 s[8:9], s[6:7]
	s_xor_b64 s[6:7], exec, s[8:9]
	s_cbranch_execnz .LBB37_3173
; %bb.1125:
	s_or_saveexec_b64 s[6:7], s[6:7]
	v_mov_b32_e32 v11, s10
	s_xor_b64 exec, exec, s[6:7]
	s_cbranch_execnz .LBB37_3176
.LBB37_1126:
	s_or_b64 exec, exec, s[6:7]
	s_and_saveexec_b64 s[6:7], s[4:5]
	s_cbranch_execz .LBB37_1128
.LBB37_1127:
	v_and_b32_e32 v11, 7, v13
	v_ffbh_u32_e32 v14, v11
	v_min_u32_e32 v14, 32, v14
	v_lshrrev_b16_e32 v12, 3, v13
	v_subrev_u32_e32 v15, 28, v14
	v_and_b32_e32 v12, 15, v12
	v_lshlrev_b32_e32 v15, v15, v13
	v_sub_u32_e32 v14, 29, v14
	v_and_b32_e32 v15, 7, v15
	v_cmp_eq_u16_e32 vcc, 0, v12
	v_cndmask_b32_e32 v11, v11, v15, vcc
	v_cndmask_b32_e32 v12, v12, v14, vcc
	v_lshlrev_b32_e32 v14, 24, v13
	v_mov_b32_e32 v15, 0x3b800000
	v_lshlrev_b32_e32 v11, 20, v11
	v_and_b32_e32 v14, 0x80000000, v14
	v_lshl_add_u32 v12, v12, 23, v15
	v_or3_b32 v11, v14, v12, v11
.LBB37_1128:
	s_or_b64 exec, exec, s[6:7]
	s_nop 0
	v_mfma_f32_16x16x4f32 a[0:3], v10, v11, a[0:3]
	v_lshrrev_b32_e32 v11, 8, v17
	s_movk_i32 s4, 0x7f
	v_cmp_gt_i16_sdwa s[6:7], v11, s4 src0_sel:BYTE_0 src1_sel:DWORD
	s_mov_b64 s[4:5], 0
                                        ; implicit-def: $sgpr10
	s_and_saveexec_b64 s[8:9], s[6:7]
	s_xor_b64 s[6:7], exec, s[8:9]
	s_cbranch_execnz .LBB37_3177
; %bb.1129:
	s_or_saveexec_b64 s[6:7], s[6:7]
	v_mov_b32_e32 v10, s10
	s_xor_b64 exec, exec, s[6:7]
	s_cbranch_execnz .LBB37_3180
.LBB37_1130:
	s_or_b64 exec, exec, s[6:7]
	s_and_saveexec_b64 s[6:7], s[4:5]
	s_cbranch_execz .LBB37_1132
.LBB37_1131:
	v_bfe_u32 v10, v17, 8, 3
	v_ffbh_u32_e32 v14, v10
	v_min_u32_e32 v14, 32, v14
	v_lshrrev_b16_e32 v12, 3, v11
	v_subrev_u32_e32 v15, 28, v14
	v_and_b32_e32 v12, 15, v12
	v_lshlrev_b32_e32 v11, v15, v11
	v_sub_u32_e32 v14, 29, v14
	v_and_b32_e32 v11, 7, v11
	v_cmp_eq_u16_e32 vcc, 0, v12
	v_cndmask_b32_e32 v10, v10, v11, vcc
	v_cndmask_b32_e32 v11, v12, v14, vcc
	v_lshlrev_b32_e32 v12, 16, v17
	v_mov_b32_e32 v14, 0x3b800000
	v_lshlrev_b32_e32 v10, 20, v10
	v_and_b32_e32 v12, 0x80000000, v12
	v_lshl_add_u32 v11, v11, 23, v14
	v_or3_b32 v10, v12, v11, v10
.LBB37_1132:
	s_or_b64 exec, exec, s[6:7]
	v_lshrrev_b32_e32 v11, 8, v13
	s_movk_i32 s4, 0x7f
	v_cmp_gt_i16_sdwa s[6:7], v11, s4 src0_sel:BYTE_0 src1_sel:DWORD
	s_mov_b64 s[4:5], 0
                                        ; implicit-def: $sgpr10
	s_and_saveexec_b64 s[8:9], s[6:7]
	s_xor_b64 s[6:7], exec, s[8:9]
	s_cbranch_execnz .LBB37_3181
; %bb.1133:
	s_or_saveexec_b64 s[6:7], s[6:7]
	v_mov_b32_e32 v12, s10
	s_xor_b64 exec, exec, s[6:7]
	s_cbranch_execnz .LBB37_3184
.LBB37_1134:
	s_or_b64 exec, exec, s[6:7]
	s_and_saveexec_b64 s[6:7], s[4:5]
	s_cbranch_execz .LBB37_1136
.LBB37_1135:
	v_bfe_u32 v12, v13, 8, 3
	v_ffbh_u32_e32 v15, v12
	v_min_u32_e32 v15, 32, v15
	v_lshrrev_b16_e32 v14, 3, v11
	v_subrev_u32_e32 v16, 28, v15
	v_and_b32_e32 v14, 15, v14
	v_lshlrev_b32_e32 v11, v16, v11
	v_sub_u32_e32 v15, 29, v15
	v_and_b32_e32 v11, 7, v11
	v_cmp_eq_u16_e32 vcc, 0, v14
	v_cndmask_b32_e32 v11, v12, v11, vcc
	v_cndmask_b32_e32 v12, v14, v15, vcc
	v_lshlrev_b32_e32 v14, 16, v13
	v_mov_b32_e32 v15, 0x3b800000
	v_lshlrev_b32_e32 v11, 20, v11
	v_and_b32_e32 v14, 0x80000000, v14
	v_lshl_add_u32 v12, v12, 23, v15
	v_or3_b32 v12, v14, v12, v11
.LBB37_1136:
	s_or_b64 exec, exec, s[6:7]
	s_nop 0
	v_mfma_f32_16x16x4f32 a[0:3], v10, v12, a[0:3]
	s_movk_i32 s4, 0xff
	v_and_b32_sdwa v11, v17, s4 dst_sel:DWORD dst_unused:UNUSED_PAD src0_sel:WORD_1 src1_sel:DWORD
	s_movk_i32 s4, 0x7f
	v_cmp_lt_i16_e32 vcc, s4, v11
	s_mov_b64 s[4:5], 0
                                        ; implicit-def: $sgpr10
	s_and_saveexec_b64 s[6:7], vcc
	s_xor_b64 s[6:7], exec, s[6:7]
	s_cbranch_execnz .LBB37_3185
; %bb.1137:
	s_or_saveexec_b64 s[6:7], s[6:7]
	v_mov_b32_e32 v10, s10
	s_xor_b64 exec, exec, s[6:7]
	s_cbranch_execnz .LBB37_3188
.LBB37_1138:
	s_or_b64 exec, exec, s[6:7]
	s_and_saveexec_b64 s[6:7], s[4:5]
	s_cbranch_execz .LBB37_1140
.LBB37_1139:
	v_bfe_u32 v10, v17, 16, 3
	v_ffbh_u32_e32 v14, v10
	v_min_u32_e32 v14, 32, v14
	v_lshrrev_b32_e32 v11, 19, v17
	v_subrev_u32_e32 v15, 28, v14
	v_and_b32_e32 v11, 15, v11
	v_lshlrev_b32_sdwa v15, v15, v17 dst_sel:DWORD dst_unused:UNUSED_PAD src0_sel:DWORD src1_sel:WORD_1
	v_bfe_u32 v12, v17, 19, 4
	v_sub_u32_e32 v14, 29, v14
	v_and_b32_e32 v15, 7, v15
	v_cmp_eq_u16_e32 vcc, 0, v11
	v_cndmask_b32_e32 v10, v10, v15, vcc
	v_cndmask_b32_e32 v11, v12, v14, vcc
	v_lshlrev_b32_e32 v12, 8, v17
	v_mov_b32_e32 v14, 0x3b800000
	v_lshlrev_b32_e32 v10, 20, v10
	v_and_b32_e32 v12, 0x80000000, v12
	v_lshl_add_u32 v11, v11, 23, v14
	v_or3_b32 v10, v12, v11, v10
.LBB37_1140:
	s_or_b64 exec, exec, s[6:7]
	s_movk_i32 s4, 0xff
	v_and_b32_sdwa v11, v13, s4 dst_sel:DWORD dst_unused:UNUSED_PAD src0_sel:WORD_1 src1_sel:DWORD
	s_movk_i32 s4, 0x7f
	v_cmp_lt_i16_e32 vcc, s4, v11
	s_mov_b64 s[4:5], 0
                                        ; implicit-def: $sgpr10
	s_and_saveexec_b64 s[6:7], vcc
	s_xor_b64 s[6:7], exec, s[6:7]
	s_cbranch_execnz .LBB37_3189
; %bb.1141:
	s_or_saveexec_b64 s[6:7], s[6:7]
	v_mov_b32_e32 v12, s10
	s_xor_b64 exec, exec, s[6:7]
	s_cbranch_execnz .LBB37_3192
.LBB37_1142:
	s_or_b64 exec, exec, s[6:7]
	s_and_saveexec_b64 s[6:7], s[4:5]
	s_cbranch_execz .LBB37_1144
.LBB37_1143:
	v_bfe_u32 v11, v13, 16, 3
	v_ffbh_u32_e32 v15, v11
	v_min_u32_e32 v15, 32, v15
	v_lshrrev_b32_e32 v12, 19, v13
	v_subrev_u32_e32 v16, 28, v15
	v_and_b32_e32 v12, 15, v12
	v_lshlrev_b32_sdwa v16, v16, v13 dst_sel:DWORD dst_unused:UNUSED_PAD src0_sel:DWORD src1_sel:WORD_1
	v_bfe_u32 v14, v13, 19, 4
	v_sub_u32_e32 v15, 29, v15
	v_and_b32_e32 v16, 7, v16
	v_cmp_eq_u16_e32 vcc, 0, v12
	v_cndmask_b32_e32 v11, v11, v16, vcc
	v_cndmask_b32_e32 v12, v14, v15, vcc
	v_lshlrev_b32_e32 v14, 8, v13
	v_mov_b32_e32 v15, 0x3b800000
	v_lshlrev_b32_e32 v11, 20, v11
	v_and_b32_e32 v14, 0x80000000, v14
	v_lshl_add_u32 v12, v12, 23, v15
	v_or3_b32 v12, v14, v12, v11
.LBB37_1144:
	s_or_b64 exec, exec, s[6:7]
	s_nop 0
	v_mfma_f32_16x16x4f32 a[0:3], v10, v12, a[0:3]
	s_movk_i32 s4, 0x7f
	v_cmp_gt_i16_sdwa s[6:7], v17, s4 src0_sel:BYTE_3 src1_sel:DWORD
	s_mov_b64 s[4:5], 0
                                        ; implicit-def: $sgpr10
	s_and_saveexec_b64 s[8:9], s[6:7]
	s_xor_b64 s[6:7], exec, s[8:9]
	s_cbranch_execnz .LBB37_3193
; %bb.1145:
	s_or_saveexec_b64 s[6:7], s[6:7]
	v_mov_b32_e32 v10, s10
	s_xor_b64 exec, exec, s[6:7]
	s_cbranch_execnz .LBB37_3196
.LBB37_1146:
	s_or_b64 exec, exec, s[6:7]
	s_and_saveexec_b64 s[6:7], s[4:5]
	s_cbranch_execz .LBB37_1148
.LBB37_1147:
	v_bfe_u32 v10, v17, 24, 3
	v_ffbh_u32_e32 v15, v10
	v_min_u32_e32 v15, 32, v15
	v_lshrrev_b32_e32 v12, 27, v17
	v_subrev_u32_e32 v16, 28, v15
	v_and_b32_e32 v12, 15, v12
	v_lshlrev_b32_sdwa v16, v16, v17 dst_sel:DWORD dst_unused:UNUSED_PAD src0_sel:DWORD src1_sel:BYTE_3
	v_bfe_u32 v14, v17, 27, 4
	v_sub_u32_e32 v15, 29, v15
	v_and_b32_e32 v16, 7, v16
	v_cmp_eq_u16_e32 vcc, 0, v12
	v_cndmask_b32_e32 v10, v10, v16, vcc
	v_cndmask_b32_e32 v12, v14, v15, vcc
	v_mov_b32_e32 v14, 0x3b800000
	v_and_b32_e32 v11, 0x80000000, v17
	v_lshlrev_b32_e32 v10, 20, v10
	v_lshl_add_u32 v12, v12, 23, v14
	v_or3_b32 v10, v11, v12, v10
.LBB37_1148:
	s_or_b64 exec, exec, s[6:7]
	s_movk_i32 s4, 0x7f
	v_cmp_gt_i16_sdwa s[6:7], v13, s4 src0_sel:BYTE_3 src1_sel:DWORD
	s_mov_b64 s[4:5], 0
                                        ; implicit-def: $sgpr10
	s_and_saveexec_b64 s[8:9], s[6:7]
	s_xor_b64 s[6:7], exec, s[8:9]
	s_cbranch_execnz .LBB37_3197
; %bb.1149:
	s_or_saveexec_b64 s[6:7], s[6:7]
	v_mov_b32_e32 v11, s10
	s_xor_b64 exec, exec, s[6:7]
	s_cbranch_execnz .LBB37_3200
.LBB37_1150:
	s_or_b64 exec, exec, s[6:7]
	s_and_saveexec_b64 s[6:7], s[4:5]
	s_cbranch_execz .LBB37_1152
.LBB37_1151:
	v_bfe_u32 v11, v13, 24, 3
	v_ffbh_u32_e32 v16, v11
	v_min_u32_e32 v16, 32, v16
	v_lshrrev_b32_e32 v14, 27, v13
	v_subrev_u32_e32 v17, 28, v16
	v_and_b32_e32 v12, 0x80000000, v13
	v_and_b32_e32 v14, 15, v14
	v_bfe_u32 v15, v13, 27, 4
	v_lshlrev_b32_sdwa v13, v17, v13 dst_sel:DWORD dst_unused:UNUSED_PAD src0_sel:DWORD src1_sel:BYTE_3
	v_sub_u32_e32 v16, 29, v16
	v_and_b32_e32 v13, 7, v13
	v_cmp_eq_u16_e32 vcc, 0, v14
	v_cndmask_b32_e32 v11, v11, v13, vcc
	v_cndmask_b32_e32 v13, v15, v16, vcc
	v_mov_b32_e32 v14, 0x3b800000
	v_lshlrev_b32_e32 v11, 20, v11
	v_lshl_add_u32 v13, v13, 23, v14
	v_or3_b32 v11, v12, v13, v11
.LBB37_1152:
	s_or_b64 exec, exec, s[6:7]
	s_nop 0
	v_mfma_f32_16x16x4f32 a[0:3], v10, v11, a[0:3]
	s_movk_i32 s4, 0x7f
	v_cmp_gt_i16_sdwa s[6:7], v6, s4 src0_sel:BYTE_0 src1_sel:DWORD
	s_mov_b64 s[4:5], 0
                                        ; implicit-def: $sgpr10
	s_and_saveexec_b64 s[8:9], s[6:7]
	s_xor_b64 s[6:7], exec, s[8:9]
	s_cbranch_execnz .LBB37_3201
; %bb.1153:
	s_or_saveexec_b64 s[6:7], s[6:7]
	v_mov_b32_e32 v10, s10
	s_xor_b64 exec, exec, s[6:7]
	s_cbranch_execnz .LBB37_3204
.LBB37_1154:
	s_or_b64 exec, exec, s[6:7]
	s_and_saveexec_b64 s[6:7], s[4:5]
	s_cbranch_execz .LBB37_1156
.LBB37_1155:
	v_and_b32_e32 v10, 7, v6
	v_ffbh_u32_e32 v12, v10
	v_min_u32_e32 v12, 32, v12
	v_lshrrev_b16_e32 v11, 3, v6
	v_subrev_u32_e32 v13, 28, v12
	v_and_b32_e32 v11, 15, v11
	v_lshlrev_b32_e32 v13, v13, v6
	v_sub_u32_e32 v12, 29, v12
	v_and_b32_e32 v13, 7, v13
	v_cmp_eq_u16_e32 vcc, 0, v11
	v_cndmask_b32_e32 v10, v10, v13, vcc
	v_cndmask_b32_e32 v11, v11, v12, vcc
	v_lshlrev_b32_e32 v12, 24, v6
	v_mov_b32_e32 v13, 0x3b800000
	v_lshlrev_b32_e32 v10, 20, v10
	v_and_b32_e32 v12, 0x80000000, v12
	v_lshl_add_u32 v11, v11, 23, v13
	v_or3_b32 v10, v12, v11, v10
.LBB37_1156:
	s_or_b64 exec, exec, s[6:7]
	s_movk_i32 s4, 0x7f
	v_cmp_gt_i16_sdwa s[6:7], v2, s4 src0_sel:BYTE_0 src1_sel:DWORD
	s_mov_b64 s[4:5], 0
                                        ; implicit-def: $sgpr10
	s_and_saveexec_b64 s[8:9], s[6:7]
	s_xor_b64 s[6:7], exec, s[8:9]
	s_cbranch_execnz .LBB37_3205
; %bb.1157:
	s_or_saveexec_b64 s[6:7], s[6:7]
	v_mov_b32_e32 v11, s10
	s_xor_b64 exec, exec, s[6:7]
	s_cbranch_execnz .LBB37_3208
.LBB37_1158:
	s_or_b64 exec, exec, s[6:7]
	s_and_saveexec_b64 s[6:7], s[4:5]
	s_cbranch_execz .LBB37_1160
.LBB37_1159:
	v_and_b32_e32 v11, 7, v2
	v_ffbh_u32_e32 v13, v11
	v_min_u32_e32 v13, 32, v13
	v_lshrrev_b16_e32 v12, 3, v2
	v_subrev_u32_e32 v14, 28, v13
	v_and_b32_e32 v12, 15, v12
	v_lshlrev_b32_e32 v14, v14, v2
	v_sub_u32_e32 v13, 29, v13
	v_and_b32_e32 v14, 7, v14
	v_cmp_eq_u16_e32 vcc, 0, v12
	v_cndmask_b32_e32 v11, v11, v14, vcc
	v_cndmask_b32_e32 v12, v12, v13, vcc
	v_lshlrev_b32_e32 v13, 24, v2
	v_mov_b32_e32 v14, 0x3b800000
	v_lshlrev_b32_e32 v11, 20, v11
	v_and_b32_e32 v13, 0x80000000, v13
	v_lshl_add_u32 v12, v12, 23, v14
	v_or3_b32 v11, v13, v12, v11
.LBB37_1160:
	s_or_b64 exec, exec, s[6:7]
	s_nop 0
	v_mfma_f32_16x16x4f32 a[0:3], v10, v11, a[0:3]
	v_lshrrev_b32_e32 v11, 8, v6
	s_movk_i32 s4, 0x7f
	v_cmp_gt_i16_sdwa s[6:7], v11, s4 src0_sel:BYTE_0 src1_sel:DWORD
	s_mov_b64 s[4:5], 0
                                        ; implicit-def: $sgpr10
	s_and_saveexec_b64 s[8:9], s[6:7]
	s_xor_b64 s[6:7], exec, s[8:9]
	s_cbranch_execnz .LBB37_3209
; %bb.1161:
	s_or_saveexec_b64 s[6:7], s[6:7]
	v_mov_b32_e32 v10, s10
	s_xor_b64 exec, exec, s[6:7]
	s_cbranch_execnz .LBB37_3212
.LBB37_1162:
	s_or_b64 exec, exec, s[6:7]
	s_and_saveexec_b64 s[6:7], s[4:5]
	s_cbranch_execz .LBB37_1164
.LBB37_1163:
	v_bfe_u32 v10, v6, 8, 3
	v_ffbh_u32_e32 v13, v10
	v_min_u32_e32 v13, 32, v13
	v_lshrrev_b16_e32 v12, 3, v11
	v_subrev_u32_e32 v14, 28, v13
	v_and_b32_e32 v12, 15, v12
	v_lshlrev_b32_e32 v11, v14, v11
	v_sub_u32_e32 v13, 29, v13
	v_and_b32_e32 v11, 7, v11
	v_cmp_eq_u16_e32 vcc, 0, v12
	v_cndmask_b32_e32 v10, v10, v11, vcc
	v_cndmask_b32_e32 v11, v12, v13, vcc
	v_lshlrev_b32_e32 v12, 16, v6
	v_mov_b32_e32 v13, 0x3b800000
	v_lshlrev_b32_e32 v10, 20, v10
	v_and_b32_e32 v12, 0x80000000, v12
	v_lshl_add_u32 v11, v11, 23, v13
	v_or3_b32 v10, v12, v11, v10
.LBB37_1164:
	s_or_b64 exec, exec, s[6:7]
	v_lshrrev_b32_e32 v11, 8, v2
	s_movk_i32 s4, 0x7f
	v_cmp_gt_i16_sdwa s[6:7], v11, s4 src0_sel:BYTE_0 src1_sel:DWORD
	s_mov_b64 s[4:5], 0
                                        ; implicit-def: $sgpr10
	s_and_saveexec_b64 s[8:9], s[6:7]
	s_xor_b64 s[6:7], exec, s[8:9]
	s_cbranch_execnz .LBB37_3213
; %bb.1165:
	s_or_saveexec_b64 s[6:7], s[6:7]
	v_mov_b32_e32 v12, s10
	s_xor_b64 exec, exec, s[6:7]
	s_cbranch_execnz .LBB37_3216
.LBB37_1166:
	s_or_b64 exec, exec, s[6:7]
	s_and_saveexec_b64 s[6:7], s[4:5]
	s_cbranch_execz .LBB37_1168
.LBB37_1167:
	v_bfe_u32 v12, v2, 8, 3
	v_ffbh_u32_e32 v14, v12
	v_min_u32_e32 v14, 32, v14
	v_lshrrev_b16_e32 v13, 3, v11
	v_subrev_u32_e32 v15, 28, v14
	v_and_b32_e32 v13, 15, v13
	v_lshlrev_b32_e32 v11, v15, v11
	v_sub_u32_e32 v14, 29, v14
	v_and_b32_e32 v11, 7, v11
	v_cmp_eq_u16_e32 vcc, 0, v13
	v_cndmask_b32_e32 v11, v12, v11, vcc
	v_cndmask_b32_e32 v12, v13, v14, vcc
	v_lshlrev_b32_e32 v13, 16, v2
	v_mov_b32_e32 v14, 0x3b800000
	v_lshlrev_b32_e32 v11, 20, v11
	v_and_b32_e32 v13, 0x80000000, v13
	v_lshl_add_u32 v12, v12, 23, v14
	v_or3_b32 v12, v13, v12, v11
.LBB37_1168:
	s_or_b64 exec, exec, s[6:7]
	s_nop 0
	v_mfma_f32_16x16x4f32 a[0:3], v10, v12, a[0:3]
	s_movk_i32 s4, 0xff
	v_and_b32_sdwa v11, v6, s4 dst_sel:DWORD dst_unused:UNUSED_PAD src0_sel:WORD_1 src1_sel:DWORD
	s_movk_i32 s4, 0x7f
	v_cmp_lt_i16_e32 vcc, s4, v11
	s_mov_b64 s[4:5], 0
                                        ; implicit-def: $sgpr10
	s_and_saveexec_b64 s[6:7], vcc
	s_xor_b64 s[6:7], exec, s[6:7]
	s_cbranch_execnz .LBB37_3217
; %bb.1169:
	s_or_saveexec_b64 s[6:7], s[6:7]
	v_mov_b32_e32 v10, s10
	s_xor_b64 exec, exec, s[6:7]
	s_cbranch_execnz .LBB37_3220
.LBB37_1170:
	s_or_b64 exec, exec, s[6:7]
	s_and_saveexec_b64 s[6:7], s[4:5]
	s_cbranch_execz .LBB37_1172
.LBB37_1171:
	v_bfe_u32 v10, v6, 16, 3
	v_ffbh_u32_e32 v13, v10
	v_min_u32_e32 v13, 32, v13
	v_lshrrev_b32_e32 v11, 19, v6
	v_subrev_u32_e32 v14, 28, v13
	v_and_b32_e32 v11, 15, v11
	v_lshlrev_b32_sdwa v14, v14, v6 dst_sel:DWORD dst_unused:UNUSED_PAD src0_sel:DWORD src1_sel:WORD_1
	v_bfe_u32 v12, v6, 19, 4
	v_sub_u32_e32 v13, 29, v13
	v_and_b32_e32 v14, 7, v14
	v_cmp_eq_u16_e32 vcc, 0, v11
	v_cndmask_b32_e32 v10, v10, v14, vcc
	v_cndmask_b32_e32 v11, v12, v13, vcc
	v_lshlrev_b32_e32 v12, 8, v6
	v_mov_b32_e32 v13, 0x3b800000
	v_lshlrev_b32_e32 v10, 20, v10
	v_and_b32_e32 v12, 0x80000000, v12
	v_lshl_add_u32 v11, v11, 23, v13
	v_or3_b32 v10, v12, v11, v10
.LBB37_1172:
	s_or_b64 exec, exec, s[6:7]
	s_movk_i32 s4, 0xff
	v_and_b32_sdwa v11, v2, s4 dst_sel:DWORD dst_unused:UNUSED_PAD src0_sel:WORD_1 src1_sel:DWORD
	s_movk_i32 s4, 0x7f
	v_cmp_lt_i16_e32 vcc, s4, v11
	s_mov_b64 s[4:5], 0
                                        ; implicit-def: $sgpr10
	s_and_saveexec_b64 s[6:7], vcc
	s_xor_b64 s[6:7], exec, s[6:7]
	s_cbranch_execnz .LBB37_3221
; %bb.1173:
	s_or_saveexec_b64 s[6:7], s[6:7]
	v_mov_b32_e32 v12, s10
	s_xor_b64 exec, exec, s[6:7]
	s_cbranch_execnz .LBB37_3224
.LBB37_1174:
	s_or_b64 exec, exec, s[6:7]
	s_and_saveexec_b64 s[6:7], s[4:5]
	s_cbranch_execz .LBB37_1176
.LBB37_1175:
	v_bfe_u32 v11, v2, 16, 3
	v_ffbh_u32_e32 v14, v11
	v_min_u32_e32 v14, 32, v14
	v_lshrrev_b32_e32 v12, 19, v2
	v_subrev_u32_e32 v15, 28, v14
	v_and_b32_e32 v12, 15, v12
	v_lshlrev_b32_sdwa v15, v15, v2 dst_sel:DWORD dst_unused:UNUSED_PAD src0_sel:DWORD src1_sel:WORD_1
	v_bfe_u32 v13, v2, 19, 4
	v_sub_u32_e32 v14, 29, v14
	v_and_b32_e32 v15, 7, v15
	v_cmp_eq_u16_e32 vcc, 0, v12
	v_cndmask_b32_e32 v11, v11, v15, vcc
	v_cndmask_b32_e32 v12, v13, v14, vcc
	v_lshlrev_b32_e32 v13, 8, v2
	v_mov_b32_e32 v14, 0x3b800000
	v_lshlrev_b32_e32 v11, 20, v11
	v_and_b32_e32 v13, 0x80000000, v13
	v_lshl_add_u32 v12, v12, 23, v14
	v_or3_b32 v12, v13, v12, v11
.LBB37_1176:
	s_or_b64 exec, exec, s[6:7]
	s_nop 0
	v_mfma_f32_16x16x4f32 a[0:3], v10, v12, a[0:3]
	s_movk_i32 s4, 0x7f
	v_cmp_gt_i16_sdwa s[6:7], v6, s4 src0_sel:BYTE_3 src1_sel:DWORD
	s_mov_b64 s[4:5], 0
                                        ; implicit-def: $sgpr10
	s_and_saveexec_b64 s[8:9], s[6:7]
	s_xor_b64 s[6:7], exec, s[8:9]
	s_cbranch_execnz .LBB37_3225
; %bb.1177:
	s_or_saveexec_b64 s[6:7], s[6:7]
	v_mov_b32_e32 v10, s10
	s_xor_b64 exec, exec, s[6:7]
	s_cbranch_execnz .LBB37_3228
.LBB37_1178:
	s_or_b64 exec, exec, s[6:7]
	s_and_saveexec_b64 s[6:7], s[4:5]
	s_cbranch_execz .LBB37_1180
.LBB37_1179:
	v_bfe_u32 v10, v6, 24, 3
	v_ffbh_u32_e32 v14, v10
	v_min_u32_e32 v14, 32, v14
	v_lshrrev_b32_e32 v12, 27, v6
	v_subrev_u32_e32 v15, 28, v14
	v_and_b32_e32 v11, 0x80000000, v6
	v_and_b32_e32 v12, 15, v12
	v_bfe_u32 v13, v6, 27, 4
	v_lshlrev_b32_sdwa v6, v15, v6 dst_sel:DWORD dst_unused:UNUSED_PAD src0_sel:DWORD src1_sel:BYTE_3
	v_sub_u32_e32 v14, 29, v14
	v_and_b32_e32 v6, 7, v6
	v_cmp_eq_u16_e32 vcc, 0, v12
	v_cndmask_b32_e32 v6, v10, v6, vcc
	v_cndmask_b32_e32 v10, v13, v14, vcc
	v_mov_b32_e32 v12, 0x3b800000
	v_lshlrev_b32_e32 v6, 20, v6
	v_lshl_add_u32 v10, v10, 23, v12
	v_or3_b32 v10, v11, v10, v6
.LBB37_1180:
	s_or_b64 exec, exec, s[6:7]
	s_movk_i32 s4, 0x7f
	v_cmp_gt_i16_sdwa s[6:7], v2, s4 src0_sel:BYTE_3 src1_sel:DWORD
	s_mov_b64 s[4:5], 0
                                        ; implicit-def: $sgpr10
	s_and_saveexec_b64 s[8:9], s[6:7]
	s_xor_b64 s[6:7], exec, s[8:9]
	s_cbranch_execnz .LBB37_3229
; %bb.1181:
	s_or_saveexec_b64 s[6:7], s[6:7]
	v_mov_b32_e32 v6, s10
	s_xor_b64 exec, exec, s[6:7]
	s_cbranch_execnz .LBB37_3232
.LBB37_1182:
	s_or_b64 exec, exec, s[6:7]
	s_and_saveexec_b64 s[6:7], s[4:5]
	s_cbranch_execz .LBB37_1184
.LBB37_1183:
	v_bfe_u32 v6, v2, 24, 3
	v_ffbh_u32_e32 v14, v6
	v_min_u32_e32 v14, 32, v14
	v_lshrrev_b32_e32 v12, 27, v2
	v_subrev_u32_e32 v15, 28, v14
	v_and_b32_e32 v11, 0x80000000, v2
	v_and_b32_e32 v12, 15, v12
	v_bfe_u32 v13, v2, 27, 4
	v_lshlrev_b32_sdwa v2, v15, v2 dst_sel:DWORD dst_unused:UNUSED_PAD src0_sel:DWORD src1_sel:BYTE_3
	v_sub_u32_e32 v14, 29, v14
	v_and_b32_e32 v2, 7, v2
	v_cmp_eq_u16_e32 vcc, 0, v12
	v_cndmask_b32_e32 v2, v6, v2, vcc
	v_cndmask_b32_e32 v6, v13, v14, vcc
	v_mov_b32_e32 v12, 0x3b800000
	v_lshlrev_b32_e32 v2, 20, v2
	v_lshl_add_u32 v6, v6, 23, v12
	v_or3_b32 v6, v11, v6, v2
.LBB37_1184:
	s_or_b64 exec, exec, s[6:7]
	s_nop 0
	v_mfma_f32_16x16x4f32 a[0:3], v10, v6, a[0:3]
	s_movk_i32 s4, 0x7f
	v_cmp_gt_i16_sdwa s[6:7], v7, s4 src0_sel:BYTE_0 src1_sel:DWORD
	s_mov_b64 s[4:5], 0
                                        ; implicit-def: $sgpr10
	s_and_saveexec_b64 s[8:9], s[6:7]
	s_xor_b64 s[6:7], exec, s[8:9]
	s_cbranch_execnz .LBB37_3233
; %bb.1185:
	s_or_saveexec_b64 s[6:7], s[6:7]
	v_mov_b32_e32 v2, s10
	s_xor_b64 exec, exec, s[6:7]
	s_cbranch_execnz .LBB37_3236
.LBB37_1186:
	s_or_b64 exec, exec, s[6:7]
	s_and_saveexec_b64 s[6:7], s[4:5]
	s_cbranch_execz .LBB37_1188
.LBB37_1187:
	v_and_b32_e32 v2, 7, v7
	v_ffbh_u32_e32 v10, v2
	v_min_u32_e32 v10, 32, v10
	v_lshrrev_b16_e32 v6, 3, v7
	v_subrev_u32_e32 v11, 28, v10
	v_and_b32_e32 v6, 15, v6
	v_lshlrev_b32_e32 v11, v11, v7
	v_sub_u32_e32 v10, 29, v10
	v_and_b32_e32 v11, 7, v11
	v_cmp_eq_u16_e32 vcc, 0, v6
	v_cndmask_b32_e32 v2, v2, v11, vcc
	v_cndmask_b32_e32 v6, v6, v10, vcc
	v_lshlrev_b32_e32 v10, 24, v7
	v_mov_b32_e32 v11, 0x3b800000
	v_lshlrev_b32_e32 v2, 20, v2
	v_and_b32_e32 v10, 0x80000000, v10
	v_lshl_add_u32 v6, v6, 23, v11
	v_or3_b32 v2, v10, v6, v2
.LBB37_1188:
	s_or_b64 exec, exec, s[6:7]
	s_movk_i32 s4, 0x7f
	v_cmp_gt_i16_sdwa s[6:7], v3, s4 src0_sel:BYTE_0 src1_sel:DWORD
	s_mov_b64 s[4:5], 0
                                        ; implicit-def: $sgpr10
	s_and_saveexec_b64 s[8:9], s[6:7]
	s_xor_b64 s[6:7], exec, s[8:9]
	s_cbranch_execnz .LBB37_3237
; %bb.1189:
	s_or_saveexec_b64 s[6:7], s[6:7]
	v_mov_b32_e32 v6, s10
	s_xor_b64 exec, exec, s[6:7]
	s_cbranch_execnz .LBB37_3240
.LBB37_1190:
	s_or_b64 exec, exec, s[6:7]
	s_and_saveexec_b64 s[6:7], s[4:5]
	s_cbranch_execz .LBB37_1192
.LBB37_1191:
	v_and_b32_e32 v6, 7, v3
	v_ffbh_u32_e32 v11, v6
	v_min_u32_e32 v11, 32, v11
	v_lshrrev_b16_e32 v10, 3, v3
	v_subrev_u32_e32 v12, 28, v11
	v_and_b32_e32 v10, 15, v10
	v_lshlrev_b32_e32 v12, v12, v3
	v_sub_u32_e32 v11, 29, v11
	v_and_b32_e32 v12, 7, v12
	v_cmp_eq_u16_e32 vcc, 0, v10
	v_cndmask_b32_e32 v6, v6, v12, vcc
	v_cndmask_b32_e32 v10, v10, v11, vcc
	v_lshlrev_b32_e32 v11, 24, v3
	v_mov_b32_e32 v12, 0x3b800000
	v_lshlrev_b32_e32 v6, 20, v6
	v_and_b32_e32 v11, 0x80000000, v11
	v_lshl_add_u32 v10, v10, 23, v12
	v_or3_b32 v6, v11, v10, v6
.LBB37_1192:
	s_or_b64 exec, exec, s[6:7]
	s_nop 0
	v_mfma_f32_16x16x4f32 a[0:3], v2, v6, a[0:3]
	v_lshrrev_b32_e32 v6, 8, v7
	s_movk_i32 s4, 0x7f
	v_cmp_gt_i16_sdwa s[6:7], v6, s4 src0_sel:BYTE_0 src1_sel:DWORD
	s_mov_b64 s[4:5], 0
                                        ; implicit-def: $sgpr10
	s_and_saveexec_b64 s[8:9], s[6:7]
	s_xor_b64 s[6:7], exec, s[8:9]
	s_cbranch_execnz .LBB37_3241
; %bb.1193:
	s_or_saveexec_b64 s[6:7], s[6:7]
	v_mov_b32_e32 v2, s10
	s_xor_b64 exec, exec, s[6:7]
	s_cbranch_execnz .LBB37_3244
.LBB37_1194:
	s_or_b64 exec, exec, s[6:7]
	s_and_saveexec_b64 s[6:7], s[4:5]
	s_cbranch_execz .LBB37_1196
.LBB37_1195:
	v_bfe_u32 v2, v7, 8, 3
	v_ffbh_u32_e32 v11, v2
	v_min_u32_e32 v11, 32, v11
	v_lshrrev_b16_e32 v10, 3, v6
	v_subrev_u32_e32 v12, 28, v11
	v_and_b32_e32 v10, 15, v10
	v_lshlrev_b32_e32 v6, v12, v6
	v_sub_u32_e32 v11, 29, v11
	v_and_b32_e32 v6, 7, v6
	v_cmp_eq_u16_e32 vcc, 0, v10
	v_cndmask_b32_e32 v2, v2, v6, vcc
	v_cndmask_b32_e32 v6, v10, v11, vcc
	v_lshlrev_b32_e32 v10, 16, v7
	v_mov_b32_e32 v11, 0x3b800000
	v_lshlrev_b32_e32 v2, 20, v2
	v_and_b32_e32 v10, 0x80000000, v10
	v_lshl_add_u32 v6, v6, 23, v11
	v_or3_b32 v2, v10, v6, v2
.LBB37_1196:
	s_or_b64 exec, exec, s[6:7]
	v_lshrrev_b32_e32 v6, 8, v3
	s_movk_i32 s4, 0x7f
	v_cmp_gt_i16_sdwa s[6:7], v6, s4 src0_sel:BYTE_0 src1_sel:DWORD
	s_mov_b64 s[4:5], 0
                                        ; implicit-def: $sgpr10
	s_and_saveexec_b64 s[8:9], s[6:7]
	s_xor_b64 s[6:7], exec, s[8:9]
	s_cbranch_execnz .LBB37_3245
; %bb.1197:
	s_or_saveexec_b64 s[6:7], s[6:7]
	v_mov_b32_e32 v10, s10
	s_xor_b64 exec, exec, s[6:7]
	s_cbranch_execnz .LBB37_3248
.LBB37_1198:
	s_or_b64 exec, exec, s[6:7]
	s_and_saveexec_b64 s[6:7], s[4:5]
	s_cbranch_execz .LBB37_1200
.LBB37_1199:
	v_bfe_u32 v10, v3, 8, 3
	v_ffbh_u32_e32 v12, v10
	v_min_u32_e32 v12, 32, v12
	v_lshrrev_b16_e32 v11, 3, v6
	v_subrev_u32_e32 v13, 28, v12
	v_and_b32_e32 v11, 15, v11
	v_lshlrev_b32_e32 v6, v13, v6
	v_sub_u32_e32 v12, 29, v12
	v_and_b32_e32 v6, 7, v6
	v_cmp_eq_u16_e32 vcc, 0, v11
	v_cndmask_b32_e32 v6, v10, v6, vcc
	v_cndmask_b32_e32 v10, v11, v12, vcc
	v_lshlrev_b32_e32 v11, 16, v3
	v_mov_b32_e32 v12, 0x3b800000
	v_lshlrev_b32_e32 v6, 20, v6
	v_and_b32_e32 v11, 0x80000000, v11
	v_lshl_add_u32 v10, v10, 23, v12
	v_or3_b32 v10, v11, v10, v6
.LBB37_1200:
	s_or_b64 exec, exec, s[6:7]
	s_nop 0
	v_mfma_f32_16x16x4f32 a[0:3], v2, v10, a[0:3]
	s_movk_i32 s4, 0xff
	v_and_b32_sdwa v6, v7, s4 dst_sel:DWORD dst_unused:UNUSED_PAD src0_sel:WORD_1 src1_sel:DWORD
	s_movk_i32 s4, 0x7f
	v_cmp_lt_i16_e32 vcc, s4, v6
	s_mov_b64 s[4:5], 0
                                        ; implicit-def: $sgpr10
	s_and_saveexec_b64 s[6:7], vcc
	s_xor_b64 s[6:7], exec, s[6:7]
	s_cbranch_execnz .LBB37_3249
; %bb.1201:
	s_or_saveexec_b64 s[6:7], s[6:7]
	v_mov_b32_e32 v2, s10
	s_xor_b64 exec, exec, s[6:7]
	s_cbranch_execnz .LBB37_3252
.LBB37_1202:
	s_or_b64 exec, exec, s[6:7]
	s_and_saveexec_b64 s[6:7], s[4:5]
	s_cbranch_execz .LBB37_1204
.LBB37_1203:
	v_bfe_u32 v2, v7, 16, 3
	v_ffbh_u32_e32 v11, v2
	v_min_u32_e32 v11, 32, v11
	v_lshrrev_b32_e32 v6, 19, v7
	v_subrev_u32_e32 v12, 28, v11
	v_and_b32_e32 v6, 15, v6
	v_lshlrev_b32_sdwa v12, v12, v7 dst_sel:DWORD dst_unused:UNUSED_PAD src0_sel:DWORD src1_sel:WORD_1
	v_bfe_u32 v10, v7, 19, 4
	v_sub_u32_e32 v11, 29, v11
	v_and_b32_e32 v12, 7, v12
	v_cmp_eq_u16_e32 vcc, 0, v6
	v_cndmask_b32_e32 v2, v2, v12, vcc
	v_cndmask_b32_e32 v6, v10, v11, vcc
	v_lshlrev_b32_e32 v10, 8, v7
	v_mov_b32_e32 v11, 0x3b800000
	v_lshlrev_b32_e32 v2, 20, v2
	v_and_b32_e32 v10, 0x80000000, v10
	v_lshl_add_u32 v6, v6, 23, v11
	v_or3_b32 v2, v10, v6, v2
.LBB37_1204:
	s_or_b64 exec, exec, s[6:7]
	s_movk_i32 s4, 0xff
	v_and_b32_sdwa v6, v3, s4 dst_sel:DWORD dst_unused:UNUSED_PAD src0_sel:WORD_1 src1_sel:DWORD
	s_movk_i32 s4, 0x7f
	v_cmp_lt_i16_e32 vcc, s4, v6
	s_mov_b64 s[4:5], 0
                                        ; implicit-def: $sgpr10
	s_and_saveexec_b64 s[6:7], vcc
	s_xor_b64 s[6:7], exec, s[6:7]
	s_cbranch_execnz .LBB37_3253
; %bb.1205:
	s_or_saveexec_b64 s[6:7], s[6:7]
	v_mov_b32_e32 v10, s10
	s_xor_b64 exec, exec, s[6:7]
	s_cbranch_execnz .LBB37_3256
.LBB37_1206:
	s_or_b64 exec, exec, s[6:7]
	s_and_saveexec_b64 s[6:7], s[4:5]
	s_cbranch_execz .LBB37_1208
.LBB37_1207:
	v_bfe_u32 v6, v3, 16, 3
	v_ffbh_u32_e32 v12, v6
	v_min_u32_e32 v12, 32, v12
	v_lshrrev_b32_e32 v10, 19, v3
	v_subrev_u32_e32 v13, 28, v12
	v_and_b32_e32 v10, 15, v10
	v_lshlrev_b32_sdwa v13, v13, v3 dst_sel:DWORD dst_unused:UNUSED_PAD src0_sel:DWORD src1_sel:WORD_1
	v_bfe_u32 v11, v3, 19, 4
	v_sub_u32_e32 v12, 29, v12
	v_and_b32_e32 v13, 7, v13
	v_cmp_eq_u16_e32 vcc, 0, v10
	v_cndmask_b32_e32 v6, v6, v13, vcc
	v_cndmask_b32_e32 v10, v11, v12, vcc
	v_lshlrev_b32_e32 v11, 8, v3
	v_mov_b32_e32 v12, 0x3b800000
	v_lshlrev_b32_e32 v6, 20, v6
	v_and_b32_e32 v11, 0x80000000, v11
	v_lshl_add_u32 v10, v10, 23, v12
	v_or3_b32 v10, v11, v10, v6
.LBB37_1208:
	s_or_b64 exec, exec, s[6:7]
	s_nop 0
	v_mfma_f32_16x16x4f32 a[0:3], v2, v10, a[0:3]
	s_movk_i32 s4, 0x7f
	v_cmp_gt_i16_sdwa s[6:7], v7, s4 src0_sel:BYTE_3 src1_sel:DWORD
	s_mov_b64 s[4:5], 0
                                        ; implicit-def: $sgpr10
	s_and_saveexec_b64 s[8:9], s[6:7]
	s_xor_b64 s[6:7], exec, s[8:9]
	s_cbranch_execnz .LBB37_3257
; %bb.1209:
	s_or_saveexec_b64 s[6:7], s[6:7]
	v_mov_b32_e32 v2, s10
	s_xor_b64 exec, exec, s[6:7]
	s_cbranch_execnz .LBB37_3260
.LBB37_1210:
	s_or_b64 exec, exec, s[6:7]
	s_and_saveexec_b64 s[6:7], s[4:5]
	s_cbranch_execz .LBB37_1212
.LBB37_1211:
	v_bfe_u32 v2, v7, 24, 3
	v_ffbh_u32_e32 v12, v2
	v_min_u32_e32 v12, 32, v12
	v_lshrrev_b32_e32 v10, 27, v7
	v_subrev_u32_e32 v13, 28, v12
	v_and_b32_e32 v6, 0x80000000, v7
	v_and_b32_e32 v10, 15, v10
	v_bfe_u32 v11, v7, 27, 4
	v_lshlrev_b32_sdwa v7, v13, v7 dst_sel:DWORD dst_unused:UNUSED_PAD src0_sel:DWORD src1_sel:BYTE_3
	v_sub_u32_e32 v12, 29, v12
	v_and_b32_e32 v7, 7, v7
	v_cmp_eq_u16_e32 vcc, 0, v10
	v_cndmask_b32_e32 v2, v2, v7, vcc
	v_cndmask_b32_e32 v7, v11, v12, vcc
	v_mov_b32_e32 v10, 0x3b800000
	v_lshlrev_b32_e32 v2, 20, v2
	v_lshl_add_u32 v7, v7, 23, v10
	v_or3_b32 v2, v6, v7, v2
.LBB37_1212:
	s_or_b64 exec, exec, s[6:7]
	s_movk_i32 s4, 0x7f
	v_cmp_gt_i16_sdwa s[6:7], v3, s4 src0_sel:BYTE_3 src1_sel:DWORD
	s_mov_b64 s[4:5], 0
                                        ; implicit-def: $sgpr10
	s_and_saveexec_b64 s[8:9], s[6:7]
	s_xor_b64 s[6:7], exec, s[8:9]
	s_cbranch_execnz .LBB37_3261
; %bb.1213:
	s_or_saveexec_b64 s[6:7], s[6:7]
	v_mov_b32_e32 v6, s10
	s_xor_b64 exec, exec, s[6:7]
	s_cbranch_execnz .LBB37_3264
.LBB37_1214:
	s_or_b64 exec, exec, s[6:7]
	s_and_saveexec_b64 s[6:7], s[4:5]
	s_cbranch_execz .LBB37_1216
.LBB37_1215:
	v_bfe_u32 v6, v3, 24, 3
	v_ffbh_u32_e32 v12, v6
	v_min_u32_e32 v12, 32, v12
	v_lshrrev_b32_e32 v10, 27, v3
	v_subrev_u32_e32 v13, 28, v12
	v_and_b32_e32 v7, 0x80000000, v3
	v_and_b32_e32 v10, 15, v10
	v_bfe_u32 v11, v3, 27, 4
	v_lshlrev_b32_sdwa v3, v13, v3 dst_sel:DWORD dst_unused:UNUSED_PAD src0_sel:DWORD src1_sel:BYTE_3
	v_sub_u32_e32 v12, 29, v12
	v_and_b32_e32 v3, 7, v3
	v_cmp_eq_u16_e32 vcc, 0, v10
	v_cndmask_b32_e32 v3, v6, v3, vcc
	v_cndmask_b32_e32 v6, v11, v12, vcc
	v_mov_b32_e32 v10, 0x3b800000
	v_lshlrev_b32_e32 v3, 20, v3
	v_lshl_add_u32 v6, v6, 23, v10
	v_or3_b32 v6, v7, v6, v3
.LBB37_1216:
	s_or_b64 exec, exec, s[6:7]
	s_nop 0
	v_mfma_f32_16x16x4f32 a[0:3], v2, v6, a[0:3]
	s_movk_i32 s4, 0x7f
	v_cmp_gt_i16_sdwa s[6:7], v8, s4 src0_sel:BYTE_0 src1_sel:DWORD
	s_mov_b64 s[4:5], 0
                                        ; implicit-def: $sgpr10
	s_and_saveexec_b64 s[8:9], s[6:7]
	s_xor_b64 s[6:7], exec, s[8:9]
	s_cbranch_execnz .LBB37_3265
; %bb.1217:
	s_or_saveexec_b64 s[6:7], s[6:7]
	v_mov_b32_e32 v2, s10
	s_xor_b64 exec, exec, s[6:7]
	s_cbranch_execnz .LBB37_3268
.LBB37_1218:
	s_or_b64 exec, exec, s[6:7]
	s_and_saveexec_b64 s[6:7], s[4:5]
	s_cbranch_execz .LBB37_1220
.LBB37_1219:
	v_and_b32_e32 v2, 7, v8
	v_ffbh_u32_e32 v6, v2
	v_min_u32_e32 v6, 32, v6
	v_lshrrev_b16_e32 v3, 3, v8
	v_subrev_u32_e32 v7, 28, v6
	v_and_b32_e32 v3, 15, v3
	v_lshlrev_b32_e32 v7, v7, v8
	v_sub_u32_e32 v6, 29, v6
	v_and_b32_e32 v7, 7, v7
	v_cmp_eq_u16_e32 vcc, 0, v3
	v_cndmask_b32_e32 v2, v2, v7, vcc
	v_cndmask_b32_e32 v3, v3, v6, vcc
	v_lshlrev_b32_e32 v6, 24, v8
	v_mov_b32_e32 v7, 0x3b800000
	v_lshlrev_b32_e32 v2, 20, v2
	v_and_b32_e32 v6, 0x80000000, v6
	v_lshl_add_u32 v3, v3, 23, v7
	v_or3_b32 v2, v6, v3, v2
.LBB37_1220:
	s_or_b64 exec, exec, s[6:7]
	s_movk_i32 s4, 0x7f
	v_cmp_gt_i16_sdwa s[6:7], v4, s4 src0_sel:BYTE_0 src1_sel:DWORD
	s_mov_b64 s[4:5], 0
                                        ; implicit-def: $sgpr10
	s_and_saveexec_b64 s[8:9], s[6:7]
	s_xor_b64 s[6:7], exec, s[8:9]
	s_cbranch_execnz .LBB37_3269
; %bb.1221:
	s_or_saveexec_b64 s[6:7], s[6:7]
	v_mov_b32_e32 v3, s10
	s_xor_b64 exec, exec, s[6:7]
	s_cbranch_execnz .LBB37_3272
.LBB37_1222:
	s_or_b64 exec, exec, s[6:7]
	s_and_saveexec_b64 s[6:7], s[4:5]
	s_cbranch_execz .LBB37_1224
.LBB37_1223:
	v_and_b32_e32 v3, 7, v4
	v_ffbh_u32_e32 v7, v3
	v_min_u32_e32 v7, 32, v7
	v_lshrrev_b16_e32 v6, 3, v4
	v_subrev_u32_e32 v10, 28, v7
	v_and_b32_e32 v6, 15, v6
	v_lshlrev_b32_e32 v10, v10, v4
	v_sub_u32_e32 v7, 29, v7
	v_and_b32_e32 v10, 7, v10
	v_cmp_eq_u16_e32 vcc, 0, v6
	v_cndmask_b32_e32 v3, v3, v10, vcc
	v_cndmask_b32_e32 v6, v6, v7, vcc
	v_lshlrev_b32_e32 v7, 24, v4
	v_mov_b32_e32 v10, 0x3b800000
	v_lshlrev_b32_e32 v3, 20, v3
	v_and_b32_e32 v7, 0x80000000, v7
	v_lshl_add_u32 v6, v6, 23, v10
	v_or3_b32 v3, v7, v6, v3
.LBB37_1224:
	s_or_b64 exec, exec, s[6:7]
	s_nop 0
	v_mfma_f32_16x16x4f32 a[0:3], v2, v3, a[0:3]
	v_lshrrev_b32_e32 v3, 8, v8
	s_movk_i32 s4, 0x7f
	v_cmp_gt_i16_sdwa s[6:7], v3, s4 src0_sel:BYTE_0 src1_sel:DWORD
	s_mov_b64 s[4:5], 0
                                        ; implicit-def: $sgpr10
	s_and_saveexec_b64 s[8:9], s[6:7]
	s_xor_b64 s[6:7], exec, s[8:9]
	s_cbranch_execnz .LBB37_3273
; %bb.1225:
	s_or_saveexec_b64 s[6:7], s[6:7]
	v_mov_b32_e32 v2, s10
	s_xor_b64 exec, exec, s[6:7]
	s_cbranch_execnz .LBB37_3276
.LBB37_1226:
	s_or_b64 exec, exec, s[6:7]
	s_and_saveexec_b64 s[6:7], s[4:5]
	s_cbranch_execz .LBB37_1228
.LBB37_1227:
	v_bfe_u32 v2, v8, 8, 3
	v_ffbh_u32_e32 v7, v2
	v_min_u32_e32 v7, 32, v7
	v_lshrrev_b16_e32 v6, 3, v3
	v_subrev_u32_e32 v10, 28, v7
	v_and_b32_e32 v6, 15, v6
	v_lshlrev_b32_e32 v3, v10, v3
	v_sub_u32_e32 v7, 29, v7
	v_and_b32_e32 v3, 7, v3
	v_cmp_eq_u16_e32 vcc, 0, v6
	v_cndmask_b32_e32 v2, v2, v3, vcc
	v_cndmask_b32_e32 v3, v6, v7, vcc
	v_lshlrev_b32_e32 v6, 16, v8
	v_mov_b32_e32 v7, 0x3b800000
	v_lshlrev_b32_e32 v2, 20, v2
	v_and_b32_e32 v6, 0x80000000, v6
	v_lshl_add_u32 v3, v3, 23, v7
	v_or3_b32 v2, v6, v3, v2
.LBB37_1228:
	s_or_b64 exec, exec, s[6:7]
	v_lshrrev_b32_e32 v3, 8, v4
	s_movk_i32 s4, 0x7f
	v_cmp_gt_i16_sdwa s[6:7], v3, s4 src0_sel:BYTE_0 src1_sel:DWORD
	s_mov_b64 s[4:5], 0
                                        ; implicit-def: $sgpr10
	s_and_saveexec_b64 s[8:9], s[6:7]
	s_xor_b64 s[6:7], exec, s[8:9]
	s_cbranch_execnz .LBB37_3277
; %bb.1229:
	s_or_saveexec_b64 s[6:7], s[6:7]
	v_mov_b32_e32 v6, s10
	s_xor_b64 exec, exec, s[6:7]
	s_cbranch_execnz .LBB37_3280
.LBB37_1230:
	s_or_b64 exec, exec, s[6:7]
	s_and_saveexec_b64 s[6:7], s[4:5]
	s_cbranch_execz .LBB37_1232
.LBB37_1231:
	v_bfe_u32 v6, v4, 8, 3
	v_ffbh_u32_e32 v10, v6
	v_min_u32_e32 v10, 32, v10
	v_lshrrev_b16_e32 v7, 3, v3
	v_subrev_u32_e32 v11, 28, v10
	v_and_b32_e32 v7, 15, v7
	v_lshlrev_b32_e32 v3, v11, v3
	v_sub_u32_e32 v10, 29, v10
	v_and_b32_e32 v3, 7, v3
	v_cmp_eq_u16_e32 vcc, 0, v7
	v_cndmask_b32_e32 v3, v6, v3, vcc
	v_cndmask_b32_e32 v6, v7, v10, vcc
	v_lshlrev_b32_e32 v7, 16, v4
	v_mov_b32_e32 v10, 0x3b800000
	v_lshlrev_b32_e32 v3, 20, v3
	v_and_b32_e32 v7, 0x80000000, v7
	v_lshl_add_u32 v6, v6, 23, v10
	v_or3_b32 v6, v7, v6, v3
.LBB37_1232:
	s_or_b64 exec, exec, s[6:7]
	s_nop 0
	v_mfma_f32_16x16x4f32 a[0:3], v2, v6, a[0:3]
	s_movk_i32 s4, 0xff
	v_and_b32_sdwa v3, v8, s4 dst_sel:DWORD dst_unused:UNUSED_PAD src0_sel:WORD_1 src1_sel:DWORD
	s_movk_i32 s4, 0x7f
	v_cmp_lt_i16_e32 vcc, s4, v3
	s_mov_b64 s[4:5], 0
                                        ; implicit-def: $sgpr10
	s_and_saveexec_b64 s[6:7], vcc
	s_xor_b64 s[6:7], exec, s[6:7]
	s_cbranch_execnz .LBB37_3281
; %bb.1233:
	s_or_saveexec_b64 s[6:7], s[6:7]
	v_mov_b32_e32 v2, s10
	s_xor_b64 exec, exec, s[6:7]
	s_cbranch_execnz .LBB37_3284
.LBB37_1234:
	s_or_b64 exec, exec, s[6:7]
	s_and_saveexec_b64 s[6:7], s[4:5]
	s_cbranch_execz .LBB37_1236
.LBB37_1235:
	v_bfe_u32 v2, v8, 16, 3
	v_ffbh_u32_e32 v7, v2
	v_min_u32_e32 v7, 32, v7
	v_lshrrev_b32_e32 v3, 19, v8
	v_subrev_u32_e32 v10, 28, v7
	v_and_b32_e32 v3, 15, v3
	v_lshlrev_b32_sdwa v10, v10, v8 dst_sel:DWORD dst_unused:UNUSED_PAD src0_sel:DWORD src1_sel:WORD_1
	v_bfe_u32 v6, v8, 19, 4
	v_sub_u32_e32 v7, 29, v7
	v_and_b32_e32 v10, 7, v10
	v_cmp_eq_u16_e32 vcc, 0, v3
	v_cndmask_b32_e32 v2, v2, v10, vcc
	v_cndmask_b32_e32 v3, v6, v7, vcc
	v_lshlrev_b32_e32 v6, 8, v8
	v_mov_b32_e32 v7, 0x3b800000
	v_lshlrev_b32_e32 v2, 20, v2
	v_and_b32_e32 v6, 0x80000000, v6
	v_lshl_add_u32 v3, v3, 23, v7
	v_or3_b32 v2, v6, v3, v2
.LBB37_1236:
	s_or_b64 exec, exec, s[6:7]
	s_movk_i32 s4, 0xff
	v_and_b32_sdwa v3, v4, s4 dst_sel:DWORD dst_unused:UNUSED_PAD src0_sel:WORD_1 src1_sel:DWORD
	s_movk_i32 s4, 0x7f
	v_cmp_lt_i16_e32 vcc, s4, v3
	s_mov_b64 s[4:5], 0
                                        ; implicit-def: $sgpr10
	s_and_saveexec_b64 s[6:7], vcc
	s_xor_b64 s[6:7], exec, s[6:7]
	s_cbranch_execnz .LBB37_3285
; %bb.1237:
	s_or_saveexec_b64 s[6:7], s[6:7]
	v_mov_b32_e32 v6, s10
	s_xor_b64 exec, exec, s[6:7]
	s_cbranch_execnz .LBB37_3288
.LBB37_1238:
	s_or_b64 exec, exec, s[6:7]
	s_and_saveexec_b64 s[6:7], s[4:5]
	s_cbranch_execz .LBB37_1240
.LBB37_1239:
	v_bfe_u32 v3, v4, 16, 3
	v_ffbh_u32_e32 v10, v3
	v_min_u32_e32 v10, 32, v10
	v_lshrrev_b32_e32 v6, 19, v4
	v_subrev_u32_e32 v11, 28, v10
	v_and_b32_e32 v6, 15, v6
	v_lshlrev_b32_sdwa v11, v11, v4 dst_sel:DWORD dst_unused:UNUSED_PAD src0_sel:DWORD src1_sel:WORD_1
	v_bfe_u32 v7, v4, 19, 4
	v_sub_u32_e32 v10, 29, v10
	v_and_b32_e32 v11, 7, v11
	v_cmp_eq_u16_e32 vcc, 0, v6
	v_cndmask_b32_e32 v3, v3, v11, vcc
	v_cndmask_b32_e32 v6, v7, v10, vcc
	v_lshlrev_b32_e32 v7, 8, v4
	v_mov_b32_e32 v10, 0x3b800000
	v_lshlrev_b32_e32 v3, 20, v3
	v_and_b32_e32 v7, 0x80000000, v7
	v_lshl_add_u32 v6, v6, 23, v10
	v_or3_b32 v6, v7, v6, v3
.LBB37_1240:
	s_or_b64 exec, exec, s[6:7]
	s_nop 0
	v_mfma_f32_16x16x4f32 a[0:3], v2, v6, a[0:3]
	s_movk_i32 s4, 0x7f
	v_cmp_gt_i16_sdwa s[6:7], v8, s4 src0_sel:BYTE_3 src1_sel:DWORD
	s_mov_b64 s[4:5], 0
                                        ; implicit-def: $sgpr10
	s_and_saveexec_b64 s[8:9], s[6:7]
	s_xor_b64 s[6:7], exec, s[8:9]
	s_cbranch_execnz .LBB37_3289
; %bb.1241:
	s_or_saveexec_b64 s[6:7], s[6:7]
	v_mov_b32_e32 v2, s10
	s_xor_b64 exec, exec, s[6:7]
	s_cbranch_execnz .LBB37_3292
.LBB37_1242:
	s_or_b64 exec, exec, s[6:7]
	s_and_saveexec_b64 s[6:7], s[4:5]
	s_cbranch_execz .LBB37_1244
.LBB37_1243:
	v_bfe_u32 v2, v8, 24, 3
	v_ffbh_u32_e32 v10, v2
	v_min_u32_e32 v10, 32, v10
	v_lshrrev_b32_e32 v6, 27, v8
	v_subrev_u32_e32 v11, 28, v10
	v_and_b32_e32 v3, 0x80000000, v8
	v_and_b32_e32 v6, 15, v6
	v_bfe_u32 v7, v8, 27, 4
	v_lshlrev_b32_sdwa v8, v11, v8 dst_sel:DWORD dst_unused:UNUSED_PAD src0_sel:DWORD src1_sel:BYTE_3
	v_sub_u32_e32 v10, 29, v10
	v_and_b32_e32 v8, 7, v8
	v_cmp_eq_u16_e32 vcc, 0, v6
	v_cndmask_b32_e32 v2, v2, v8, vcc
	v_cndmask_b32_e32 v6, v7, v10, vcc
	v_mov_b32_e32 v7, 0x3b800000
	v_lshlrev_b32_e32 v2, 20, v2
	v_lshl_add_u32 v6, v6, 23, v7
	v_or3_b32 v2, v3, v6, v2
.LBB37_1244:
	s_or_b64 exec, exec, s[6:7]
	s_movk_i32 s4, 0x7f
	v_cmp_gt_i16_sdwa s[6:7], v4, s4 src0_sel:BYTE_3 src1_sel:DWORD
	s_mov_b64 s[4:5], 0
                                        ; implicit-def: $sgpr10
	s_and_saveexec_b64 s[8:9], s[6:7]
	s_xor_b64 s[6:7], exec, s[8:9]
	s_cbranch_execnz .LBB37_3293
; %bb.1245:
	s_or_saveexec_b64 s[6:7], s[6:7]
	v_mov_b32_e32 v3, s10
	s_xor_b64 exec, exec, s[6:7]
	s_cbranch_execnz .LBB37_3296
.LBB37_1246:
	s_or_b64 exec, exec, s[6:7]
	s_and_saveexec_b64 s[6:7], s[4:5]
	s_cbranch_execz .LBB37_1248
.LBB37_1247:
	v_bfe_u32 v3, v4, 24, 3
	v_ffbh_u32_e32 v10, v3
	v_min_u32_e32 v10, 32, v10
	v_lshrrev_b32_e32 v7, 27, v4
	v_subrev_u32_e32 v11, 28, v10
	v_and_b32_e32 v6, 0x80000000, v4
	v_and_b32_e32 v7, 15, v7
	v_bfe_u32 v8, v4, 27, 4
	v_lshlrev_b32_sdwa v4, v11, v4 dst_sel:DWORD dst_unused:UNUSED_PAD src0_sel:DWORD src1_sel:BYTE_3
	v_sub_u32_e32 v10, 29, v10
	v_and_b32_e32 v4, 7, v4
	v_cmp_eq_u16_e32 vcc, 0, v7
	v_cndmask_b32_e32 v3, v3, v4, vcc
	v_cndmask_b32_e32 v4, v8, v10, vcc
	v_mov_b32_e32 v7, 0x3b800000
	v_lshlrev_b32_e32 v3, 20, v3
	v_lshl_add_u32 v4, v4, 23, v7
	v_or3_b32 v3, v6, v4, v3
.LBB37_1248:
	s_or_b64 exec, exec, s[6:7]
	s_nop 0
	v_mfma_f32_16x16x4f32 a[0:3], v2, v3, a[0:3]
	s_movk_i32 s4, 0x7f
	v_cmp_gt_i16_sdwa s[6:7], v9, s4 src0_sel:BYTE_0 src1_sel:DWORD
	s_mov_b64 s[4:5], 0
                                        ; implicit-def: $sgpr10
	s_and_saveexec_b64 s[8:9], s[6:7]
	s_xor_b64 s[6:7], exec, s[8:9]
	s_cbranch_execnz .LBB37_3297
; %bb.1249:
	s_or_saveexec_b64 s[6:7], s[6:7]
	v_mov_b32_e32 v2, s10
	s_xor_b64 exec, exec, s[6:7]
	s_cbranch_execnz .LBB37_3300
.LBB37_1250:
	s_or_b64 exec, exec, s[6:7]
	s_and_saveexec_b64 s[6:7], s[4:5]
	s_cbranch_execz .LBB37_1252
.LBB37_1251:
	v_mov_b32_e32 v2, 8
	v_and_b32_e32 v3, 7, v9
	v_lshrrev_b32_sdwa v2, v2, v9 dst_sel:BYTE_1 dst_unused:UNUSED_PAD src0_sel:DWORD src1_sel:DWORD
	v_ffbh_u32_e32 v4, v3
	v_or_b32_sdwa v2, v9, v2 dst_sel:DWORD dst_unused:UNUSED_PAD src0_sel:BYTE_0 src1_sel:DWORD
	v_min_u32_e32 v4, 32, v4
	v_lshrrev_b16_e32 v2, 3, v2
	v_subrev_u32_e32 v6, 28, v4
	v_and_b32_e32 v2, 15, v2
	v_lshlrev_b32_e32 v6, v6, v9
	v_sub_u32_e32 v4, 29, v4
	v_and_b32_e32 v6, 7, v6
	v_cmp_eq_u16_e32 vcc, 0, v2
	v_cndmask_b32_e32 v3, v3, v6, vcc
	v_cndmask_b32_e32 v2, v2, v4, vcc
	v_lshlrev_b32_e32 v4, 24, v9
	v_mov_b32_e32 v6, 0x3b800000
	v_lshlrev_b32_e32 v3, 20, v3
	v_and_b32_e32 v4, 0x80000000, v4
	v_lshl_add_u32 v2, v2, 23, v6
	v_or3_b32 v2, v4, v2, v3
.LBB37_1252:
	s_or_b64 exec, exec, s[6:7]
	s_movk_i32 s4, 0x7f
	v_cmp_gt_i16_sdwa s[6:7], v5, s4 src0_sel:BYTE_0 src1_sel:DWORD
	s_mov_b64 s[4:5], 0
                                        ; implicit-def: $sgpr10
	s_and_saveexec_b64 s[8:9], s[6:7]
	s_xor_b64 s[6:7], exec, s[8:9]
	s_cbranch_execnz .LBB37_3301
; %bb.1253:
	s_or_saveexec_b64 s[6:7], s[6:7]
	v_mov_b32_e32 v3, s10
	s_xor_b64 exec, exec, s[6:7]
	s_cbranch_execnz .LBB37_3304
.LBB37_1254:
	s_or_b64 exec, exec, s[6:7]
	s_and_saveexec_b64 s[6:7], s[4:5]
	s_cbranch_execz .LBB37_1256
.LBB37_1255:
	v_mov_b32_e32 v3, 8
	v_and_b32_e32 v4, 7, v5
	v_lshrrev_b32_sdwa v3, v3, v5 dst_sel:BYTE_1 dst_unused:UNUSED_PAD src0_sel:DWORD src1_sel:DWORD
	v_ffbh_u32_e32 v6, v4
	v_or_b32_sdwa v3, v5, v3 dst_sel:DWORD dst_unused:UNUSED_PAD src0_sel:BYTE_0 src1_sel:DWORD
	v_min_u32_e32 v6, 32, v6
	v_lshrrev_b16_e32 v3, 3, v3
	v_subrev_u32_e32 v7, 28, v6
	v_and_b32_e32 v3, 15, v3
	v_lshlrev_b32_e32 v7, v7, v5
	v_sub_u32_e32 v6, 29, v6
	v_and_b32_e32 v7, 7, v7
	v_cmp_eq_u16_e32 vcc, 0, v3
	v_cndmask_b32_e32 v4, v4, v7, vcc
	v_cndmask_b32_e32 v3, v3, v6, vcc
	v_lshlrev_b32_e32 v6, 24, v5
	v_mov_b32_e32 v7, 0x3b800000
	v_lshlrev_b32_e32 v4, 20, v4
	v_and_b32_e32 v6, 0x80000000, v6
	v_lshl_add_u32 v3, v3, 23, v7
	v_or3_b32 v3, v6, v3, v4
.LBB37_1256:
	s_or_b64 exec, exec, s[6:7]
	s_nop 0
	v_mfma_f32_16x16x4f32 a[0:3], v2, v3, a[0:3]
	v_lshrrev_b32_e32 v3, 8, v9
	s_movk_i32 s4, 0x7f
	v_cmp_gt_i16_sdwa s[6:7], v3, s4 src0_sel:BYTE_0 src1_sel:DWORD
	s_mov_b64 s[4:5], 0
                                        ; implicit-def: $sgpr10
	s_and_saveexec_b64 s[8:9], s[6:7]
	s_xor_b64 s[6:7], exec, s[8:9]
	s_cbranch_execnz .LBB37_3305
; %bb.1257:
	s_or_saveexec_b64 s[6:7], s[6:7]
	v_mov_b32_e32 v2, s10
	s_xor_b64 exec, exec, s[6:7]
	s_cbranch_execnz .LBB37_3308
.LBB37_1258:
	s_or_b64 exec, exec, s[6:7]
	s_and_saveexec_b64 s[6:7], s[4:5]
	s_cbranch_execz .LBB37_1260
.LBB37_1259:
	v_bfe_u32 v2, v9, 8, 3
	v_ffbh_u32_e32 v6, v2
	v_min_u32_e32 v6, 32, v6
	v_lshrrev_b16_e32 v4, 3, v3
	v_subrev_u32_e32 v7, 28, v6
	v_and_b32_e32 v4, 15, v4
	v_lshlrev_b32_e32 v3, v7, v3
	v_sub_u32_e32 v6, 29, v6
	v_and_b32_e32 v3, 7, v3
	v_cmp_eq_u16_e32 vcc, 0, v4
	v_cndmask_b32_e32 v2, v2, v3, vcc
	v_cndmask_b32_e32 v3, v4, v6, vcc
	v_lshlrev_b32_e32 v4, 16, v9
	v_mov_b32_e32 v6, 0x3b800000
	v_lshlrev_b32_e32 v2, 20, v2
	v_and_b32_e32 v4, 0x80000000, v4
	v_lshl_add_u32 v3, v3, 23, v6
	v_or3_b32 v2, v4, v3, v2
.LBB37_1260:
	s_or_b64 exec, exec, s[6:7]
	v_lshrrev_b32_e32 v3, 8, v5
	s_movk_i32 s4, 0x7f
	v_cmp_gt_i16_sdwa s[6:7], v3, s4 src0_sel:BYTE_0 src1_sel:DWORD
	s_mov_b64 s[4:5], 0
                                        ; implicit-def: $sgpr10
	s_and_saveexec_b64 s[8:9], s[6:7]
	s_xor_b64 s[6:7], exec, s[8:9]
	s_cbranch_execnz .LBB37_3309
; %bb.1261:
	s_or_saveexec_b64 s[6:7], s[6:7]
	v_mov_b32_e32 v4, s10
	s_xor_b64 exec, exec, s[6:7]
	s_cbranch_execnz .LBB37_3312
.LBB37_1262:
	s_or_b64 exec, exec, s[6:7]
	s_and_saveexec_b64 s[6:7], s[4:5]
	s_cbranch_execz .LBB37_1264
.LBB37_1263:
	v_bfe_u32 v4, v5, 8, 3
	v_ffbh_u32_e32 v7, v4
	v_min_u32_e32 v7, 32, v7
	v_lshrrev_b16_e32 v6, 3, v3
	v_subrev_u32_e32 v8, 28, v7
	v_and_b32_e32 v6, 15, v6
	v_lshlrev_b32_e32 v3, v8, v3
	v_sub_u32_e32 v7, 29, v7
	v_and_b32_e32 v3, 7, v3
	v_cmp_eq_u16_e32 vcc, 0, v6
	v_cndmask_b32_e32 v3, v4, v3, vcc
	v_cndmask_b32_e32 v4, v6, v7, vcc
	v_lshlrev_b32_e32 v6, 16, v5
	v_mov_b32_e32 v7, 0x3b800000
	v_lshlrev_b32_e32 v3, 20, v3
	v_and_b32_e32 v6, 0x80000000, v6
	v_lshl_add_u32 v4, v4, 23, v7
	v_or3_b32 v4, v6, v4, v3
.LBB37_1264:
	s_or_b64 exec, exec, s[6:7]
	s_nop 0
	v_mfma_f32_16x16x4f32 a[0:3], v2, v4, a[0:3]
	s_movk_i32 s4, 0xff
	v_and_b32_sdwa v3, v9, s4 dst_sel:DWORD dst_unused:UNUSED_PAD src0_sel:WORD_1 src1_sel:DWORD
	s_movk_i32 s4, 0x7f
	v_cmp_lt_i16_e32 vcc, s4, v3
	s_mov_b64 s[4:5], 0
                                        ; implicit-def: $sgpr10
	s_and_saveexec_b64 s[6:7], vcc
	s_xor_b64 s[6:7], exec, s[6:7]
	s_cbranch_execnz .LBB37_3313
; %bb.1265:
	s_or_saveexec_b64 s[6:7], s[6:7]
	v_mov_b32_e32 v2, s10
	s_xor_b64 exec, exec, s[6:7]
	s_cbranch_execnz .LBB37_3316
.LBB37_1266:
	s_or_b64 exec, exec, s[6:7]
	s_and_saveexec_b64 s[6:7], s[4:5]
	s_cbranch_execz .LBB37_1268
.LBB37_1267:
	v_bfe_u32 v2, v9, 16, 3
	v_ffbh_u32_e32 v6, v2
	v_min_u32_e32 v6, 32, v6
	v_lshrrev_b32_e32 v3, 19, v9
	v_subrev_u32_e32 v7, 28, v6
	v_and_b32_e32 v3, 15, v3
	v_lshlrev_b32_sdwa v7, v7, v9 dst_sel:DWORD dst_unused:UNUSED_PAD src0_sel:DWORD src1_sel:WORD_1
	v_bfe_u32 v4, v9, 19, 4
	v_sub_u32_e32 v6, 29, v6
	v_and_b32_e32 v7, 7, v7
	v_cmp_eq_u16_e32 vcc, 0, v3
	v_cndmask_b32_e32 v2, v2, v7, vcc
	v_cndmask_b32_e32 v3, v4, v6, vcc
	v_lshlrev_b32_e32 v4, 8, v9
	v_mov_b32_e32 v6, 0x3b800000
	v_lshlrev_b32_e32 v2, 20, v2
	v_and_b32_e32 v4, 0x80000000, v4
	v_lshl_add_u32 v3, v3, 23, v6
	v_or3_b32 v2, v4, v3, v2
.LBB37_1268:
	s_or_b64 exec, exec, s[6:7]
	s_movk_i32 s4, 0xff
	v_and_b32_sdwa v3, v5, s4 dst_sel:DWORD dst_unused:UNUSED_PAD src0_sel:WORD_1 src1_sel:DWORD
	s_movk_i32 s4, 0x7f
	v_cmp_lt_i16_e32 vcc, s4, v3
	s_mov_b64 s[4:5], 0
                                        ; implicit-def: $sgpr10
	s_and_saveexec_b64 s[6:7], vcc
	s_xor_b64 s[6:7], exec, s[6:7]
	s_cbranch_execnz .LBB37_3317
; %bb.1269:
	s_or_saveexec_b64 s[6:7], s[6:7]
	v_mov_b32_e32 v4, s10
	s_xor_b64 exec, exec, s[6:7]
	s_cbranch_execnz .LBB37_3320
.LBB37_1270:
	s_or_b64 exec, exec, s[6:7]
	s_and_saveexec_b64 s[6:7], s[4:5]
	s_cbranch_execz .LBB37_1272
.LBB37_1271:
	v_bfe_u32 v3, v5, 16, 3
	v_ffbh_u32_e32 v7, v3
	v_min_u32_e32 v7, 32, v7
	v_lshrrev_b32_e32 v4, 19, v5
	v_subrev_u32_e32 v8, 28, v7
	v_and_b32_e32 v4, 15, v4
	v_lshlrev_b32_sdwa v8, v8, v5 dst_sel:DWORD dst_unused:UNUSED_PAD src0_sel:DWORD src1_sel:WORD_1
	v_bfe_u32 v6, v5, 19, 4
	v_sub_u32_e32 v7, 29, v7
	v_and_b32_e32 v8, 7, v8
	v_cmp_eq_u16_e32 vcc, 0, v4
	v_cndmask_b32_e32 v3, v3, v8, vcc
	v_cndmask_b32_e32 v4, v6, v7, vcc
	v_lshlrev_b32_e32 v6, 8, v5
	v_mov_b32_e32 v7, 0x3b800000
	v_lshlrev_b32_e32 v3, 20, v3
	v_and_b32_e32 v6, 0x80000000, v6
	v_lshl_add_u32 v4, v4, 23, v7
	v_or3_b32 v4, v6, v4, v3
.LBB37_1272:
	s_or_b64 exec, exec, s[6:7]
	s_nop 0
	v_mfma_f32_16x16x4f32 a[0:3], v2, v4, a[0:3]
	s_movk_i32 s4, 0x7f
	v_cmp_gt_i16_sdwa s[6:7], v9, s4 src0_sel:BYTE_3 src1_sel:DWORD
	s_mov_b64 s[4:5], 0
                                        ; implicit-def: $sgpr10
	s_and_saveexec_b64 s[8:9], s[6:7]
	s_xor_b64 s[6:7], exec, s[8:9]
	s_cbranch_execnz .LBB37_3321
; %bb.1273:
	s_or_saveexec_b64 s[6:7], s[6:7]
	v_mov_b32_e32 v2, s10
	s_xor_b64 exec, exec, s[6:7]
	s_cbranch_execnz .LBB37_3324
.LBB37_1274:
	s_or_b64 exec, exec, s[6:7]
	s_and_saveexec_b64 s[6:7], s[4:5]
	s_cbranch_execz .LBB37_1276
.LBB37_1275:
	v_bfe_u32 v2, v9, 24, 3
	v_ffbh_u32_e32 v7, v2
	v_min_u32_e32 v7, 32, v7
	v_lshrrev_b32_e32 v4, 27, v9
	v_subrev_u32_e32 v8, 28, v7
	v_and_b32_e32 v4, 15, v4
	v_lshlrev_b32_sdwa v8, v8, v9 dst_sel:DWORD dst_unused:UNUSED_PAD src0_sel:DWORD src1_sel:BYTE_3
	v_bfe_u32 v6, v9, 27, 4
	v_sub_u32_e32 v7, 29, v7
	v_and_b32_e32 v8, 7, v8
	v_cmp_eq_u16_e32 vcc, 0, v4
	v_cndmask_b32_e32 v2, v2, v8, vcc
	v_cndmask_b32_e32 v4, v6, v7, vcc
	v_mov_b32_e32 v6, 0x3b800000
	v_and_b32_e32 v3, 0x80000000, v9
	v_lshlrev_b32_e32 v2, 20, v2
	v_lshl_add_u32 v4, v4, 23, v6
	v_or3_b32 v2, v3, v4, v2
.LBB37_1276:
	s_or_b64 exec, exec, s[6:7]
	s_movk_i32 s4, 0x7f
	v_cmp_gt_i16_sdwa s[6:7], v5, s4 src0_sel:BYTE_3 src1_sel:DWORD
	s_mov_b64 s[4:5], 0
                                        ; implicit-def: $sgpr10
	s_and_saveexec_b64 s[8:9], s[6:7]
	s_xor_b64 s[6:7], exec, s[8:9]
	s_cbranch_execnz .LBB37_3325
; %bb.1277:
	s_or_saveexec_b64 s[6:7], s[6:7]
	v_mov_b32_e32 v3, s10
	s_xor_b64 exec, exec, s[6:7]
	s_cbranch_execnz .LBB37_3328
.LBB37_1278:
	s_or_b64 exec, exec, s[6:7]
	s_and_saveexec_b64 s[6:7], s[4:5]
	s_cbranch_execz .LBB37_1280
.LBB37_1279:
	v_bfe_u32 v3, v5, 24, 3
	v_ffbh_u32_e32 v8, v3
	v_min_u32_e32 v8, 32, v8
	v_lshrrev_b32_e32 v6, 27, v5
	v_subrev_u32_e32 v9, 28, v8
	v_and_b32_e32 v4, 0x80000000, v5
	v_and_b32_e32 v6, 15, v6
	v_bfe_u32 v7, v5, 27, 4
	v_lshlrev_b32_sdwa v5, v9, v5 dst_sel:DWORD dst_unused:UNUSED_PAD src0_sel:DWORD src1_sel:BYTE_3
	v_sub_u32_e32 v8, 29, v8
	v_and_b32_e32 v5, 7, v5
	v_cmp_eq_u16_e32 vcc, 0, v6
	v_cndmask_b32_e32 v3, v3, v5, vcc
	v_cndmask_b32_e32 v5, v7, v8, vcc
	v_mov_b32_e32 v6, 0x3b800000
	v_lshlrev_b32_e32 v3, 20, v3
	v_lshl_add_u32 v5, v5, 23, v6
	v_or3_b32 v3, v4, v5, v3
.LBB37_1280:
	s_or_b64 exec, exec, s[6:7]
	s_nop 0
	v_mfma_f32_16x16x4f32 a[0:3], v2, v3, a[0:3]
	s_movk_i32 s4, 0x7f
                                        ; implicit-def: $sgpr10
	s_nop 7
	s_nop 1
	flat_store_dwordx4 v[18:19], a[0:3] offset:192
	flat_load_dwordx4 v[20:23], v[0:1] offset:16
	s_nop 0
	flat_load_dwordx2 v[18:19], v[0:1] offset:32
	s_waitcnt vmcnt(0) lgkmcnt(0)
	flat_load_dwordx4 v[14:17], v[20:21] offset:32
	flat_load_dwordx4 v[6:9], v[20:21] offset:48
	;; [unrolled: 1-line block ×4, first 2 shown]
	s_waitcnt vmcnt(0) lgkmcnt(0)
	v_cmp_gt_i16_sdwa s[6:7], v14, s4 src0_sel:BYTE_0 src1_sel:DWORD
	s_mov_b64 s[4:5], 0
	s_and_saveexec_b64 s[8:9], s[6:7]
	s_xor_b64 s[6:7], exec, s[8:9]
	s_cbranch_execnz .LBB37_3329
; %bb.1281:
	s_or_saveexec_b64 s[6:7], s[6:7]
	v_mov_b32_e32 v20, s10
	s_xor_b64 exec, exec, s[6:7]
	s_cbranch_execnz .LBB37_3332
.LBB37_1282:
	s_or_b64 exec, exec, s[6:7]
	s_and_saveexec_b64 s[6:7], s[4:5]
	s_cbranch_execz .LBB37_1284
.LBB37_1283:
	v_and_b32_e32 v20, 7, v14
	v_ffbh_u32_e32 v22, v20
	v_min_u32_e32 v22, 32, v22
	v_lshrrev_b16_e32 v21, 3, v14
	v_subrev_u32_e32 v23, 28, v22
	v_and_b32_e32 v21, 15, v21
	v_lshlrev_b32_e32 v23, v23, v14
	v_sub_u32_e32 v22, 29, v22
	v_and_b32_e32 v23, 7, v23
	v_cmp_eq_u16_e32 vcc, 0, v21
	v_cndmask_b32_e32 v20, v20, v23, vcc
	v_cndmask_b32_e32 v21, v21, v22, vcc
	v_lshlrev_b32_e32 v22, 24, v14
	v_mov_b32_e32 v23, 0x3b800000
	v_lshlrev_b32_e32 v20, 20, v20
	v_and_b32_e32 v22, 0x80000000, v22
	v_lshl_add_u32 v21, v21, 23, v23
	v_or3_b32 v20, v22, v21, v20
.LBB37_1284:
	s_or_b64 exec, exec, s[6:7]
	s_movk_i32 s4, 0x7f
	v_cmp_gt_i16_sdwa s[6:7], v10, s4 src0_sel:BYTE_0 src1_sel:DWORD
	s_mov_b64 s[4:5], 0
                                        ; implicit-def: $sgpr10
	s_and_saveexec_b64 s[8:9], s[6:7]
	s_xor_b64 s[6:7], exec, s[8:9]
	s_cbranch_execnz .LBB37_3333
; %bb.1285:
	s_or_saveexec_b64 s[6:7], s[6:7]
	v_mov_b32_e32 v21, s10
	s_xor_b64 exec, exec, s[6:7]
	s_cbranch_execnz .LBB37_3336
.LBB37_1286:
	s_or_b64 exec, exec, s[6:7]
	s_and_saveexec_b64 s[6:7], s[4:5]
	s_cbranch_execz .LBB37_1288
.LBB37_1287:
	v_and_b32_e32 v21, 7, v10
	v_ffbh_u32_e32 v23, v21
	v_min_u32_e32 v23, 32, v23
	v_lshrrev_b16_e32 v22, 3, v10
	v_subrev_u32_e32 v24, 28, v23
	v_and_b32_e32 v22, 15, v22
	v_lshlrev_b32_e32 v24, v24, v10
	v_sub_u32_e32 v23, 29, v23
	v_and_b32_e32 v24, 7, v24
	v_cmp_eq_u16_e32 vcc, 0, v22
	v_cndmask_b32_e32 v21, v21, v24, vcc
	v_cndmask_b32_e32 v22, v22, v23, vcc
	v_lshlrev_b32_e32 v23, 24, v10
	v_mov_b32_e32 v24, 0x3b800000
	v_lshlrev_b32_e32 v21, 20, v21
	v_and_b32_e32 v23, 0x80000000, v23
	v_lshl_add_u32 v22, v22, 23, v24
	v_or3_b32 v21, v23, v22, v21
.LBB37_1288:
	s_or_b64 exec, exec, s[6:7]
	flat_load_dwordx4 a[0:3], v[18:19] offset:208
	s_movk_i32 s4, 0x7f
                                        ; implicit-def: $sgpr10
	s_waitcnt vmcnt(0) lgkmcnt(0)
	v_mfma_f32_16x16x4f32 a[0:3], v20, v21, a[0:3]
	v_lshrrev_b32_e32 v21, 8, v14
	v_cmp_gt_i16_sdwa s[6:7], v21, s4 src0_sel:BYTE_0 src1_sel:DWORD
	s_mov_b64 s[4:5], 0
	s_and_saveexec_b64 s[8:9], s[6:7]
	s_xor_b64 s[6:7], exec, s[8:9]
	s_cbranch_execnz .LBB37_3337
; %bb.1289:
	s_or_saveexec_b64 s[6:7], s[6:7]
	v_mov_b32_e32 v20, s10
	s_xor_b64 exec, exec, s[6:7]
	s_cbranch_execnz .LBB37_3340
.LBB37_1290:
	s_or_b64 exec, exec, s[6:7]
	s_and_saveexec_b64 s[6:7], s[4:5]
	s_cbranch_execz .LBB37_1292
.LBB37_1291:
	v_bfe_u32 v20, v14, 8, 3
	v_ffbh_u32_e32 v23, v20
	v_min_u32_e32 v23, 32, v23
	v_lshrrev_b16_e32 v22, 3, v21
	v_subrev_u32_e32 v24, 28, v23
	v_and_b32_e32 v22, 15, v22
	v_lshlrev_b32_e32 v21, v24, v21
	v_sub_u32_e32 v23, 29, v23
	v_and_b32_e32 v21, 7, v21
	v_cmp_eq_u16_e32 vcc, 0, v22
	v_cndmask_b32_e32 v20, v20, v21, vcc
	v_cndmask_b32_e32 v21, v22, v23, vcc
	v_lshlrev_b32_e32 v22, 16, v14
	v_mov_b32_e32 v23, 0x3b800000
	v_lshlrev_b32_e32 v20, 20, v20
	v_and_b32_e32 v22, 0x80000000, v22
	v_lshl_add_u32 v21, v21, 23, v23
	v_or3_b32 v20, v22, v21, v20
.LBB37_1292:
	s_or_b64 exec, exec, s[6:7]
	v_lshrrev_b32_e32 v21, 8, v10
	s_movk_i32 s4, 0x7f
	v_cmp_gt_i16_sdwa s[6:7], v21, s4 src0_sel:BYTE_0 src1_sel:DWORD
	s_mov_b64 s[4:5], 0
                                        ; implicit-def: $sgpr10
	s_and_saveexec_b64 s[8:9], s[6:7]
	s_xor_b64 s[6:7], exec, s[8:9]
	s_cbranch_execnz .LBB37_3341
; %bb.1293:
	s_or_saveexec_b64 s[6:7], s[6:7]
	v_mov_b32_e32 v22, s10
	s_xor_b64 exec, exec, s[6:7]
	s_cbranch_execnz .LBB37_3344
.LBB37_1294:
	s_or_b64 exec, exec, s[6:7]
	s_and_saveexec_b64 s[6:7], s[4:5]
	s_cbranch_execz .LBB37_1296
.LBB37_1295:
	v_bfe_u32 v22, v10, 8, 3
	v_ffbh_u32_e32 v24, v22
	v_min_u32_e32 v24, 32, v24
	v_lshrrev_b16_e32 v23, 3, v21
	v_subrev_u32_e32 v25, 28, v24
	v_and_b32_e32 v23, 15, v23
	v_lshlrev_b32_e32 v21, v25, v21
	v_sub_u32_e32 v24, 29, v24
	v_and_b32_e32 v21, 7, v21
	v_cmp_eq_u16_e32 vcc, 0, v23
	v_cndmask_b32_e32 v21, v22, v21, vcc
	v_cndmask_b32_e32 v22, v23, v24, vcc
	v_lshlrev_b32_e32 v23, 16, v10
	v_mov_b32_e32 v24, 0x3b800000
	v_lshlrev_b32_e32 v21, 20, v21
	v_and_b32_e32 v23, 0x80000000, v23
	v_lshl_add_u32 v22, v22, 23, v24
	v_or3_b32 v22, v23, v22, v21
.LBB37_1296:
	s_or_b64 exec, exec, s[6:7]
	s_nop 0
	v_mfma_f32_16x16x4f32 a[0:3], v20, v22, a[0:3]
	s_movk_i32 s4, 0xff
	v_and_b32_sdwa v21, v14, s4 dst_sel:DWORD dst_unused:UNUSED_PAD src0_sel:WORD_1 src1_sel:DWORD
	s_movk_i32 s4, 0x7f
	v_cmp_lt_i16_e32 vcc, s4, v21
	s_mov_b64 s[4:5], 0
                                        ; implicit-def: $sgpr10
	s_and_saveexec_b64 s[6:7], vcc
	s_xor_b64 s[6:7], exec, s[6:7]
	s_cbranch_execnz .LBB37_3345
; %bb.1297:
	s_or_saveexec_b64 s[6:7], s[6:7]
	v_mov_b32_e32 v20, s10
	s_xor_b64 exec, exec, s[6:7]
	s_cbranch_execnz .LBB37_3348
.LBB37_1298:
	s_or_b64 exec, exec, s[6:7]
	s_and_saveexec_b64 s[6:7], s[4:5]
	s_cbranch_execz .LBB37_1300
.LBB37_1299:
	v_bfe_u32 v20, v14, 16, 3
	v_ffbh_u32_e32 v23, v20
	v_min_u32_e32 v23, 32, v23
	v_lshrrev_b32_e32 v21, 19, v14
	v_subrev_u32_e32 v24, 28, v23
	v_and_b32_e32 v21, 15, v21
	v_lshlrev_b32_sdwa v24, v24, v14 dst_sel:DWORD dst_unused:UNUSED_PAD src0_sel:DWORD src1_sel:WORD_1
	v_bfe_u32 v22, v14, 19, 4
	v_sub_u32_e32 v23, 29, v23
	v_and_b32_e32 v24, 7, v24
	v_cmp_eq_u16_e32 vcc, 0, v21
	v_cndmask_b32_e32 v20, v20, v24, vcc
	v_cndmask_b32_e32 v21, v22, v23, vcc
	v_lshlrev_b32_e32 v22, 8, v14
	v_mov_b32_e32 v23, 0x3b800000
	v_lshlrev_b32_e32 v20, 20, v20
	v_and_b32_e32 v22, 0x80000000, v22
	v_lshl_add_u32 v21, v21, 23, v23
	v_or3_b32 v20, v22, v21, v20
.LBB37_1300:
	s_or_b64 exec, exec, s[6:7]
	s_movk_i32 s4, 0xff
	v_and_b32_sdwa v21, v10, s4 dst_sel:DWORD dst_unused:UNUSED_PAD src0_sel:WORD_1 src1_sel:DWORD
	s_movk_i32 s4, 0x7f
	v_cmp_lt_i16_e32 vcc, s4, v21
	s_mov_b64 s[4:5], 0
                                        ; implicit-def: $sgpr10
	s_and_saveexec_b64 s[6:7], vcc
	s_xor_b64 s[6:7], exec, s[6:7]
	s_cbranch_execnz .LBB37_3349
; %bb.1301:
	s_or_saveexec_b64 s[6:7], s[6:7]
	v_mov_b32_e32 v22, s10
	s_xor_b64 exec, exec, s[6:7]
	s_cbranch_execnz .LBB37_3352
.LBB37_1302:
	s_or_b64 exec, exec, s[6:7]
	s_and_saveexec_b64 s[6:7], s[4:5]
	s_cbranch_execz .LBB37_1304
.LBB37_1303:
	v_bfe_u32 v21, v10, 16, 3
	v_ffbh_u32_e32 v24, v21
	v_min_u32_e32 v24, 32, v24
	v_lshrrev_b32_e32 v22, 19, v10
	v_subrev_u32_e32 v25, 28, v24
	v_and_b32_e32 v22, 15, v22
	v_lshlrev_b32_sdwa v25, v25, v10 dst_sel:DWORD dst_unused:UNUSED_PAD src0_sel:DWORD src1_sel:WORD_1
	v_bfe_u32 v23, v10, 19, 4
	v_sub_u32_e32 v24, 29, v24
	v_and_b32_e32 v25, 7, v25
	v_cmp_eq_u16_e32 vcc, 0, v22
	v_cndmask_b32_e32 v21, v21, v25, vcc
	v_cndmask_b32_e32 v22, v23, v24, vcc
	v_lshlrev_b32_e32 v23, 8, v10
	v_mov_b32_e32 v24, 0x3b800000
	v_lshlrev_b32_e32 v21, 20, v21
	v_and_b32_e32 v23, 0x80000000, v23
	v_lshl_add_u32 v22, v22, 23, v24
	v_or3_b32 v22, v23, v22, v21
.LBB37_1304:
	s_or_b64 exec, exec, s[6:7]
	s_nop 0
	v_mfma_f32_16x16x4f32 a[0:3], v20, v22, a[0:3]
	s_movk_i32 s4, 0x7f
	v_cmp_gt_i16_sdwa s[6:7], v14, s4 src0_sel:BYTE_3 src1_sel:DWORD
	s_mov_b64 s[4:5], 0
                                        ; implicit-def: $sgpr10
	s_and_saveexec_b64 s[8:9], s[6:7]
	s_xor_b64 s[6:7], exec, s[8:9]
	s_cbranch_execnz .LBB37_3353
; %bb.1305:
	s_or_saveexec_b64 s[6:7], s[6:7]
	v_mov_b32_e32 v20, s10
	s_xor_b64 exec, exec, s[6:7]
	s_cbranch_execnz .LBB37_3356
.LBB37_1306:
	s_or_b64 exec, exec, s[6:7]
	s_and_saveexec_b64 s[6:7], s[4:5]
	s_cbranch_execz .LBB37_1308
.LBB37_1307:
	v_bfe_u32 v20, v14, 24, 3
	v_ffbh_u32_e32 v24, v20
	v_min_u32_e32 v24, 32, v24
	v_lshrrev_b32_e32 v22, 27, v14
	v_subrev_u32_e32 v25, 28, v24
	v_and_b32_e32 v21, 0x80000000, v14
	v_and_b32_e32 v22, 15, v22
	v_bfe_u32 v23, v14, 27, 4
	v_lshlrev_b32_sdwa v14, v25, v14 dst_sel:DWORD dst_unused:UNUSED_PAD src0_sel:DWORD src1_sel:BYTE_3
	v_sub_u32_e32 v24, 29, v24
	v_and_b32_e32 v14, 7, v14
	v_cmp_eq_u16_e32 vcc, 0, v22
	v_cndmask_b32_e32 v14, v20, v14, vcc
	v_cndmask_b32_e32 v20, v23, v24, vcc
	v_mov_b32_e32 v22, 0x3b800000
	v_lshlrev_b32_e32 v14, 20, v14
	v_lshl_add_u32 v20, v20, 23, v22
	v_or3_b32 v20, v21, v20, v14
.LBB37_1308:
	s_or_b64 exec, exec, s[6:7]
	s_movk_i32 s4, 0x7f
	v_cmp_gt_i16_sdwa s[6:7], v10, s4 src0_sel:BYTE_3 src1_sel:DWORD
	s_mov_b64 s[4:5], 0
                                        ; implicit-def: $sgpr10
	s_and_saveexec_b64 s[8:9], s[6:7]
	s_xor_b64 s[6:7], exec, s[8:9]
	s_cbranch_execnz .LBB37_3357
; %bb.1309:
	s_or_saveexec_b64 s[6:7], s[6:7]
	v_mov_b32_e32 v14, s10
	s_xor_b64 exec, exec, s[6:7]
	s_cbranch_execnz .LBB37_3360
.LBB37_1310:
	s_or_b64 exec, exec, s[6:7]
	s_and_saveexec_b64 s[6:7], s[4:5]
	s_cbranch_execz .LBB37_1312
.LBB37_1311:
	v_bfe_u32 v14, v10, 24, 3
	v_ffbh_u32_e32 v24, v14
	v_min_u32_e32 v24, 32, v24
	v_lshrrev_b32_e32 v22, 27, v10
	v_subrev_u32_e32 v25, 28, v24
	v_and_b32_e32 v21, 0x80000000, v10
	v_and_b32_e32 v22, 15, v22
	v_bfe_u32 v23, v10, 27, 4
	v_lshlrev_b32_sdwa v10, v25, v10 dst_sel:DWORD dst_unused:UNUSED_PAD src0_sel:DWORD src1_sel:BYTE_3
	v_sub_u32_e32 v24, 29, v24
	v_and_b32_e32 v10, 7, v10
	v_cmp_eq_u16_e32 vcc, 0, v22
	v_cndmask_b32_e32 v10, v14, v10, vcc
	v_cndmask_b32_e32 v14, v23, v24, vcc
	v_mov_b32_e32 v22, 0x3b800000
	v_lshlrev_b32_e32 v10, 20, v10
	v_lshl_add_u32 v14, v14, 23, v22
	v_or3_b32 v14, v21, v14, v10
.LBB37_1312:
	s_or_b64 exec, exec, s[6:7]
	s_nop 0
	v_mfma_f32_16x16x4f32 a[0:3], v20, v14, a[0:3]
	s_movk_i32 s4, 0x7f
	v_cmp_gt_i16_sdwa s[6:7], v15, s4 src0_sel:BYTE_0 src1_sel:DWORD
	s_mov_b64 s[4:5], 0
                                        ; implicit-def: $sgpr10
	s_and_saveexec_b64 s[8:9], s[6:7]
	s_xor_b64 s[6:7], exec, s[8:9]
	s_cbranch_execnz .LBB37_3361
; %bb.1313:
	s_or_saveexec_b64 s[6:7], s[6:7]
	v_mov_b32_e32 v10, s10
	s_xor_b64 exec, exec, s[6:7]
	s_cbranch_execnz .LBB37_3364
.LBB37_1314:
	s_or_b64 exec, exec, s[6:7]
	s_and_saveexec_b64 s[6:7], s[4:5]
	s_cbranch_execz .LBB37_1316
.LBB37_1315:
	v_and_b32_e32 v10, 7, v15
	v_ffbh_u32_e32 v20, v10
	v_min_u32_e32 v20, 32, v20
	v_lshrrev_b16_e32 v14, 3, v15
	v_subrev_u32_e32 v21, 28, v20
	v_and_b32_e32 v14, 15, v14
	v_lshlrev_b32_e32 v21, v21, v15
	v_sub_u32_e32 v20, 29, v20
	v_and_b32_e32 v21, 7, v21
	v_cmp_eq_u16_e32 vcc, 0, v14
	v_cndmask_b32_e32 v10, v10, v21, vcc
	v_cndmask_b32_e32 v14, v14, v20, vcc
	v_lshlrev_b32_e32 v20, 24, v15
	v_mov_b32_e32 v21, 0x3b800000
	v_lshlrev_b32_e32 v10, 20, v10
	v_and_b32_e32 v20, 0x80000000, v20
	v_lshl_add_u32 v14, v14, 23, v21
	v_or3_b32 v10, v20, v14, v10
.LBB37_1316:
	s_or_b64 exec, exec, s[6:7]
	s_movk_i32 s4, 0x7f
	v_cmp_gt_i16_sdwa s[6:7], v11, s4 src0_sel:BYTE_0 src1_sel:DWORD
	s_mov_b64 s[4:5], 0
                                        ; implicit-def: $sgpr10
	s_and_saveexec_b64 s[8:9], s[6:7]
	s_xor_b64 s[6:7], exec, s[8:9]
	s_cbranch_execnz .LBB37_3365
; %bb.1317:
	s_or_saveexec_b64 s[6:7], s[6:7]
	v_mov_b32_e32 v14, s10
	s_xor_b64 exec, exec, s[6:7]
	s_cbranch_execnz .LBB37_3368
.LBB37_1318:
	s_or_b64 exec, exec, s[6:7]
	s_and_saveexec_b64 s[6:7], s[4:5]
	s_cbranch_execz .LBB37_1320
.LBB37_1319:
	v_and_b32_e32 v14, 7, v11
	v_ffbh_u32_e32 v21, v14
	v_min_u32_e32 v21, 32, v21
	v_lshrrev_b16_e32 v20, 3, v11
	v_subrev_u32_e32 v22, 28, v21
	v_and_b32_e32 v20, 15, v20
	v_lshlrev_b32_e32 v22, v22, v11
	v_sub_u32_e32 v21, 29, v21
	v_and_b32_e32 v22, 7, v22
	v_cmp_eq_u16_e32 vcc, 0, v20
	v_cndmask_b32_e32 v14, v14, v22, vcc
	v_cndmask_b32_e32 v20, v20, v21, vcc
	v_lshlrev_b32_e32 v21, 24, v11
	v_mov_b32_e32 v22, 0x3b800000
	v_lshlrev_b32_e32 v14, 20, v14
	v_and_b32_e32 v21, 0x80000000, v21
	v_lshl_add_u32 v20, v20, 23, v22
	v_or3_b32 v14, v21, v20, v14
.LBB37_1320:
	s_or_b64 exec, exec, s[6:7]
	s_nop 0
	v_mfma_f32_16x16x4f32 a[0:3], v10, v14, a[0:3]
	v_lshrrev_b32_e32 v14, 8, v15
	s_movk_i32 s4, 0x7f
	v_cmp_gt_i16_sdwa s[6:7], v14, s4 src0_sel:BYTE_0 src1_sel:DWORD
	s_mov_b64 s[4:5], 0
                                        ; implicit-def: $sgpr10
	s_and_saveexec_b64 s[8:9], s[6:7]
	s_xor_b64 s[6:7], exec, s[8:9]
	s_cbranch_execnz .LBB37_3369
; %bb.1321:
	s_or_saveexec_b64 s[6:7], s[6:7]
	v_mov_b32_e32 v10, s10
	s_xor_b64 exec, exec, s[6:7]
	s_cbranch_execnz .LBB37_3372
.LBB37_1322:
	s_or_b64 exec, exec, s[6:7]
	s_and_saveexec_b64 s[6:7], s[4:5]
	s_cbranch_execz .LBB37_1324
.LBB37_1323:
	v_bfe_u32 v10, v15, 8, 3
	v_ffbh_u32_e32 v21, v10
	v_min_u32_e32 v21, 32, v21
	v_lshrrev_b16_e32 v20, 3, v14
	v_subrev_u32_e32 v22, 28, v21
	v_and_b32_e32 v20, 15, v20
	v_lshlrev_b32_e32 v14, v22, v14
	v_sub_u32_e32 v21, 29, v21
	v_and_b32_e32 v14, 7, v14
	v_cmp_eq_u16_e32 vcc, 0, v20
	v_cndmask_b32_e32 v10, v10, v14, vcc
	v_cndmask_b32_e32 v14, v20, v21, vcc
	v_lshlrev_b32_e32 v20, 16, v15
	v_mov_b32_e32 v21, 0x3b800000
	v_lshlrev_b32_e32 v10, 20, v10
	v_and_b32_e32 v20, 0x80000000, v20
	v_lshl_add_u32 v14, v14, 23, v21
	v_or3_b32 v10, v20, v14, v10
.LBB37_1324:
	s_or_b64 exec, exec, s[6:7]
	v_lshrrev_b32_e32 v14, 8, v11
	s_movk_i32 s4, 0x7f
	v_cmp_gt_i16_sdwa s[6:7], v14, s4 src0_sel:BYTE_0 src1_sel:DWORD
	s_mov_b64 s[4:5], 0
                                        ; implicit-def: $sgpr10
	s_and_saveexec_b64 s[8:9], s[6:7]
	s_xor_b64 s[6:7], exec, s[8:9]
	s_cbranch_execnz .LBB37_3373
; %bb.1325:
	s_or_saveexec_b64 s[6:7], s[6:7]
	v_mov_b32_e32 v20, s10
	s_xor_b64 exec, exec, s[6:7]
	s_cbranch_execnz .LBB37_3376
.LBB37_1326:
	s_or_b64 exec, exec, s[6:7]
	s_and_saveexec_b64 s[6:7], s[4:5]
	s_cbranch_execz .LBB37_1328
.LBB37_1327:
	v_bfe_u32 v20, v11, 8, 3
	v_ffbh_u32_e32 v22, v20
	v_min_u32_e32 v22, 32, v22
	v_lshrrev_b16_e32 v21, 3, v14
	v_subrev_u32_e32 v23, 28, v22
	v_and_b32_e32 v21, 15, v21
	v_lshlrev_b32_e32 v14, v23, v14
	v_sub_u32_e32 v22, 29, v22
	v_and_b32_e32 v14, 7, v14
	v_cmp_eq_u16_e32 vcc, 0, v21
	v_cndmask_b32_e32 v14, v20, v14, vcc
	v_cndmask_b32_e32 v20, v21, v22, vcc
	v_lshlrev_b32_e32 v21, 16, v11
	v_mov_b32_e32 v22, 0x3b800000
	v_lshlrev_b32_e32 v14, 20, v14
	v_and_b32_e32 v21, 0x80000000, v21
	v_lshl_add_u32 v20, v20, 23, v22
	v_or3_b32 v20, v21, v20, v14
.LBB37_1328:
	s_or_b64 exec, exec, s[6:7]
	s_nop 0
	v_mfma_f32_16x16x4f32 a[0:3], v10, v20, a[0:3]
	s_movk_i32 s4, 0xff
	v_and_b32_sdwa v14, v15, s4 dst_sel:DWORD dst_unused:UNUSED_PAD src0_sel:WORD_1 src1_sel:DWORD
	s_movk_i32 s4, 0x7f
	v_cmp_lt_i16_e32 vcc, s4, v14
	s_mov_b64 s[4:5], 0
                                        ; implicit-def: $sgpr10
	s_and_saveexec_b64 s[6:7], vcc
	s_xor_b64 s[6:7], exec, s[6:7]
	s_cbranch_execnz .LBB37_3377
; %bb.1329:
	s_or_saveexec_b64 s[6:7], s[6:7]
	v_mov_b32_e32 v10, s10
	s_xor_b64 exec, exec, s[6:7]
	s_cbranch_execnz .LBB37_3380
.LBB37_1330:
	s_or_b64 exec, exec, s[6:7]
	s_and_saveexec_b64 s[6:7], s[4:5]
	s_cbranch_execz .LBB37_1332
.LBB37_1331:
	v_bfe_u32 v10, v15, 16, 3
	v_ffbh_u32_e32 v21, v10
	v_min_u32_e32 v21, 32, v21
	v_lshrrev_b32_e32 v14, 19, v15
	v_subrev_u32_e32 v22, 28, v21
	v_and_b32_e32 v14, 15, v14
	v_lshlrev_b32_sdwa v22, v22, v15 dst_sel:DWORD dst_unused:UNUSED_PAD src0_sel:DWORD src1_sel:WORD_1
	v_bfe_u32 v20, v15, 19, 4
	v_sub_u32_e32 v21, 29, v21
	v_and_b32_e32 v22, 7, v22
	v_cmp_eq_u16_e32 vcc, 0, v14
	v_cndmask_b32_e32 v10, v10, v22, vcc
	v_cndmask_b32_e32 v14, v20, v21, vcc
	v_lshlrev_b32_e32 v20, 8, v15
	v_mov_b32_e32 v21, 0x3b800000
	v_lshlrev_b32_e32 v10, 20, v10
	v_and_b32_e32 v20, 0x80000000, v20
	v_lshl_add_u32 v14, v14, 23, v21
	v_or3_b32 v10, v20, v14, v10
.LBB37_1332:
	s_or_b64 exec, exec, s[6:7]
	s_movk_i32 s4, 0xff
	v_and_b32_sdwa v14, v11, s4 dst_sel:DWORD dst_unused:UNUSED_PAD src0_sel:WORD_1 src1_sel:DWORD
	s_movk_i32 s4, 0x7f
	v_cmp_lt_i16_e32 vcc, s4, v14
	s_mov_b64 s[4:5], 0
                                        ; implicit-def: $sgpr10
	s_and_saveexec_b64 s[6:7], vcc
	s_xor_b64 s[6:7], exec, s[6:7]
	s_cbranch_execnz .LBB37_3381
; %bb.1333:
	s_or_saveexec_b64 s[6:7], s[6:7]
	v_mov_b32_e32 v20, s10
	s_xor_b64 exec, exec, s[6:7]
	s_cbranch_execnz .LBB37_3384
.LBB37_1334:
	s_or_b64 exec, exec, s[6:7]
	s_and_saveexec_b64 s[6:7], s[4:5]
	s_cbranch_execz .LBB37_1336
.LBB37_1335:
	v_bfe_u32 v14, v11, 16, 3
	v_ffbh_u32_e32 v22, v14
	v_min_u32_e32 v22, 32, v22
	v_lshrrev_b32_e32 v20, 19, v11
	v_subrev_u32_e32 v23, 28, v22
	v_and_b32_e32 v20, 15, v20
	v_lshlrev_b32_sdwa v23, v23, v11 dst_sel:DWORD dst_unused:UNUSED_PAD src0_sel:DWORD src1_sel:WORD_1
	v_bfe_u32 v21, v11, 19, 4
	v_sub_u32_e32 v22, 29, v22
	v_and_b32_e32 v23, 7, v23
	v_cmp_eq_u16_e32 vcc, 0, v20
	v_cndmask_b32_e32 v14, v14, v23, vcc
	v_cndmask_b32_e32 v20, v21, v22, vcc
	v_lshlrev_b32_e32 v21, 8, v11
	v_mov_b32_e32 v22, 0x3b800000
	v_lshlrev_b32_e32 v14, 20, v14
	v_and_b32_e32 v21, 0x80000000, v21
	v_lshl_add_u32 v20, v20, 23, v22
	v_or3_b32 v20, v21, v20, v14
.LBB37_1336:
	s_or_b64 exec, exec, s[6:7]
	s_nop 0
	v_mfma_f32_16x16x4f32 a[0:3], v10, v20, a[0:3]
	s_movk_i32 s4, 0x7f
	v_cmp_gt_i16_sdwa s[6:7], v15, s4 src0_sel:BYTE_3 src1_sel:DWORD
	s_mov_b64 s[4:5], 0
                                        ; implicit-def: $sgpr10
	s_and_saveexec_b64 s[8:9], s[6:7]
	s_xor_b64 s[6:7], exec, s[8:9]
	s_cbranch_execnz .LBB37_3385
; %bb.1337:
	s_or_saveexec_b64 s[6:7], s[6:7]
	v_mov_b32_e32 v10, s10
	s_xor_b64 exec, exec, s[6:7]
	s_cbranch_execnz .LBB37_3388
.LBB37_1338:
	s_or_b64 exec, exec, s[6:7]
	s_and_saveexec_b64 s[6:7], s[4:5]
	s_cbranch_execz .LBB37_1340
.LBB37_1339:
	v_bfe_u32 v10, v15, 24, 3
	v_ffbh_u32_e32 v22, v10
	v_min_u32_e32 v22, 32, v22
	v_lshrrev_b32_e32 v20, 27, v15
	v_subrev_u32_e32 v23, 28, v22
	v_and_b32_e32 v14, 0x80000000, v15
	v_and_b32_e32 v20, 15, v20
	v_bfe_u32 v21, v15, 27, 4
	v_lshlrev_b32_sdwa v15, v23, v15 dst_sel:DWORD dst_unused:UNUSED_PAD src0_sel:DWORD src1_sel:BYTE_3
	v_sub_u32_e32 v22, 29, v22
	v_and_b32_e32 v15, 7, v15
	v_cmp_eq_u16_e32 vcc, 0, v20
	v_cndmask_b32_e32 v10, v10, v15, vcc
	v_cndmask_b32_e32 v15, v21, v22, vcc
	v_mov_b32_e32 v20, 0x3b800000
	v_lshlrev_b32_e32 v10, 20, v10
	v_lshl_add_u32 v15, v15, 23, v20
	v_or3_b32 v10, v14, v15, v10
.LBB37_1340:
	s_or_b64 exec, exec, s[6:7]
	s_movk_i32 s4, 0x7f
	v_cmp_gt_i16_sdwa s[6:7], v11, s4 src0_sel:BYTE_3 src1_sel:DWORD
	s_mov_b64 s[4:5], 0
                                        ; implicit-def: $sgpr10
	s_and_saveexec_b64 s[8:9], s[6:7]
	s_xor_b64 s[6:7], exec, s[8:9]
	s_cbranch_execnz .LBB37_3389
; %bb.1341:
	s_or_saveexec_b64 s[6:7], s[6:7]
	v_mov_b32_e32 v14, s10
	s_xor_b64 exec, exec, s[6:7]
	s_cbranch_execnz .LBB37_3392
.LBB37_1342:
	s_or_b64 exec, exec, s[6:7]
	s_and_saveexec_b64 s[6:7], s[4:5]
	s_cbranch_execz .LBB37_1344
.LBB37_1343:
	v_bfe_u32 v14, v11, 24, 3
	v_ffbh_u32_e32 v22, v14
	v_min_u32_e32 v22, 32, v22
	v_lshrrev_b32_e32 v20, 27, v11
	v_subrev_u32_e32 v23, 28, v22
	v_and_b32_e32 v15, 0x80000000, v11
	v_and_b32_e32 v20, 15, v20
	v_bfe_u32 v21, v11, 27, 4
	v_lshlrev_b32_sdwa v11, v23, v11 dst_sel:DWORD dst_unused:UNUSED_PAD src0_sel:DWORD src1_sel:BYTE_3
	v_sub_u32_e32 v22, 29, v22
	v_and_b32_e32 v11, 7, v11
	v_cmp_eq_u16_e32 vcc, 0, v20
	v_cndmask_b32_e32 v11, v14, v11, vcc
	v_cndmask_b32_e32 v14, v21, v22, vcc
	v_mov_b32_e32 v20, 0x3b800000
	v_lshlrev_b32_e32 v11, 20, v11
	v_lshl_add_u32 v14, v14, 23, v20
	v_or3_b32 v14, v15, v14, v11
.LBB37_1344:
	s_or_b64 exec, exec, s[6:7]
	s_nop 0
	v_mfma_f32_16x16x4f32 a[0:3], v10, v14, a[0:3]
	s_movk_i32 s4, 0x7f
	v_cmp_gt_i16_sdwa s[6:7], v16, s4 src0_sel:BYTE_0 src1_sel:DWORD
	s_mov_b64 s[4:5], 0
                                        ; implicit-def: $sgpr10
	s_and_saveexec_b64 s[8:9], s[6:7]
	s_xor_b64 s[6:7], exec, s[8:9]
	s_cbranch_execnz .LBB37_3393
; %bb.1345:
	s_or_saveexec_b64 s[6:7], s[6:7]
	v_mov_b32_e32 v10, s10
	s_xor_b64 exec, exec, s[6:7]
	s_cbranch_execnz .LBB37_3396
.LBB37_1346:
	s_or_b64 exec, exec, s[6:7]
	s_and_saveexec_b64 s[6:7], s[4:5]
	s_cbranch_execz .LBB37_1348
.LBB37_1347:
	v_and_b32_e32 v10, 7, v16
	v_ffbh_u32_e32 v14, v10
	v_min_u32_e32 v14, 32, v14
	v_lshrrev_b16_e32 v11, 3, v16
	v_subrev_u32_e32 v15, 28, v14
	v_and_b32_e32 v11, 15, v11
	v_lshlrev_b32_e32 v15, v15, v16
	v_sub_u32_e32 v14, 29, v14
	v_and_b32_e32 v15, 7, v15
	v_cmp_eq_u16_e32 vcc, 0, v11
	v_cndmask_b32_e32 v10, v10, v15, vcc
	v_cndmask_b32_e32 v11, v11, v14, vcc
	v_lshlrev_b32_e32 v14, 24, v16
	v_mov_b32_e32 v15, 0x3b800000
	v_lshlrev_b32_e32 v10, 20, v10
	v_and_b32_e32 v14, 0x80000000, v14
	v_lshl_add_u32 v11, v11, 23, v15
	v_or3_b32 v10, v14, v11, v10
.LBB37_1348:
	s_or_b64 exec, exec, s[6:7]
	s_movk_i32 s4, 0x7f
	v_cmp_gt_i16_sdwa s[6:7], v12, s4 src0_sel:BYTE_0 src1_sel:DWORD
	s_mov_b64 s[4:5], 0
                                        ; implicit-def: $sgpr10
	s_and_saveexec_b64 s[8:9], s[6:7]
	s_xor_b64 s[6:7], exec, s[8:9]
	s_cbranch_execnz .LBB37_3397
; %bb.1349:
	s_or_saveexec_b64 s[6:7], s[6:7]
	v_mov_b32_e32 v11, s10
	s_xor_b64 exec, exec, s[6:7]
	s_cbranch_execnz .LBB37_3400
.LBB37_1350:
	s_or_b64 exec, exec, s[6:7]
	s_and_saveexec_b64 s[6:7], s[4:5]
	s_cbranch_execz .LBB37_1352
.LBB37_1351:
	v_and_b32_e32 v11, 7, v12
	v_ffbh_u32_e32 v15, v11
	v_min_u32_e32 v15, 32, v15
	v_lshrrev_b16_e32 v14, 3, v12
	v_subrev_u32_e32 v20, 28, v15
	v_and_b32_e32 v14, 15, v14
	v_lshlrev_b32_e32 v20, v20, v12
	v_sub_u32_e32 v15, 29, v15
	v_and_b32_e32 v20, 7, v20
	v_cmp_eq_u16_e32 vcc, 0, v14
	v_cndmask_b32_e32 v11, v11, v20, vcc
	v_cndmask_b32_e32 v14, v14, v15, vcc
	v_lshlrev_b32_e32 v15, 24, v12
	v_mov_b32_e32 v20, 0x3b800000
	v_lshlrev_b32_e32 v11, 20, v11
	v_and_b32_e32 v15, 0x80000000, v15
	v_lshl_add_u32 v14, v14, 23, v20
	v_or3_b32 v11, v15, v14, v11
.LBB37_1352:
	s_or_b64 exec, exec, s[6:7]
	s_nop 0
	v_mfma_f32_16x16x4f32 a[0:3], v10, v11, a[0:3]
	v_lshrrev_b32_e32 v11, 8, v16
	s_movk_i32 s4, 0x7f
	v_cmp_gt_i16_sdwa s[6:7], v11, s4 src0_sel:BYTE_0 src1_sel:DWORD
	s_mov_b64 s[4:5], 0
                                        ; implicit-def: $sgpr10
	s_and_saveexec_b64 s[8:9], s[6:7]
	s_xor_b64 s[6:7], exec, s[8:9]
	s_cbranch_execnz .LBB37_3401
; %bb.1353:
	s_or_saveexec_b64 s[6:7], s[6:7]
	v_mov_b32_e32 v10, s10
	s_xor_b64 exec, exec, s[6:7]
	s_cbranch_execnz .LBB37_3404
.LBB37_1354:
	s_or_b64 exec, exec, s[6:7]
	s_and_saveexec_b64 s[6:7], s[4:5]
	s_cbranch_execz .LBB37_1356
.LBB37_1355:
	v_bfe_u32 v10, v16, 8, 3
	v_ffbh_u32_e32 v15, v10
	v_min_u32_e32 v15, 32, v15
	v_lshrrev_b16_e32 v14, 3, v11
	v_subrev_u32_e32 v20, 28, v15
	v_and_b32_e32 v14, 15, v14
	v_lshlrev_b32_e32 v11, v20, v11
	v_sub_u32_e32 v15, 29, v15
	v_and_b32_e32 v11, 7, v11
	v_cmp_eq_u16_e32 vcc, 0, v14
	v_cndmask_b32_e32 v10, v10, v11, vcc
	v_cndmask_b32_e32 v11, v14, v15, vcc
	v_lshlrev_b32_e32 v14, 16, v16
	v_mov_b32_e32 v15, 0x3b800000
	v_lshlrev_b32_e32 v10, 20, v10
	v_and_b32_e32 v14, 0x80000000, v14
	v_lshl_add_u32 v11, v11, 23, v15
	v_or3_b32 v10, v14, v11, v10
.LBB37_1356:
	s_or_b64 exec, exec, s[6:7]
	v_lshrrev_b32_e32 v11, 8, v12
	s_movk_i32 s4, 0x7f
	v_cmp_gt_i16_sdwa s[6:7], v11, s4 src0_sel:BYTE_0 src1_sel:DWORD
	s_mov_b64 s[4:5], 0
                                        ; implicit-def: $sgpr10
	s_and_saveexec_b64 s[8:9], s[6:7]
	s_xor_b64 s[6:7], exec, s[8:9]
	s_cbranch_execnz .LBB37_3405
; %bb.1357:
	s_or_saveexec_b64 s[6:7], s[6:7]
	v_mov_b32_e32 v14, s10
	s_xor_b64 exec, exec, s[6:7]
	s_cbranch_execnz .LBB37_3408
.LBB37_1358:
	s_or_b64 exec, exec, s[6:7]
	s_and_saveexec_b64 s[6:7], s[4:5]
	s_cbranch_execz .LBB37_1360
.LBB37_1359:
	v_bfe_u32 v14, v12, 8, 3
	v_ffbh_u32_e32 v20, v14
	v_min_u32_e32 v20, 32, v20
	v_lshrrev_b16_e32 v15, 3, v11
	v_subrev_u32_e32 v21, 28, v20
	v_and_b32_e32 v15, 15, v15
	v_lshlrev_b32_e32 v11, v21, v11
	v_sub_u32_e32 v20, 29, v20
	v_and_b32_e32 v11, 7, v11
	v_cmp_eq_u16_e32 vcc, 0, v15
	v_cndmask_b32_e32 v11, v14, v11, vcc
	v_cndmask_b32_e32 v14, v15, v20, vcc
	v_lshlrev_b32_e32 v15, 16, v12
	v_mov_b32_e32 v20, 0x3b800000
	v_lshlrev_b32_e32 v11, 20, v11
	v_and_b32_e32 v15, 0x80000000, v15
	v_lshl_add_u32 v14, v14, 23, v20
	v_or3_b32 v14, v15, v14, v11
.LBB37_1360:
	s_or_b64 exec, exec, s[6:7]
	s_nop 0
	v_mfma_f32_16x16x4f32 a[0:3], v10, v14, a[0:3]
	s_movk_i32 s4, 0xff
	v_and_b32_sdwa v11, v16, s4 dst_sel:DWORD dst_unused:UNUSED_PAD src0_sel:WORD_1 src1_sel:DWORD
	s_movk_i32 s4, 0x7f
	v_cmp_lt_i16_e32 vcc, s4, v11
	s_mov_b64 s[4:5], 0
                                        ; implicit-def: $sgpr10
	s_and_saveexec_b64 s[6:7], vcc
	s_xor_b64 s[6:7], exec, s[6:7]
	s_cbranch_execnz .LBB37_3409
; %bb.1361:
	s_or_saveexec_b64 s[6:7], s[6:7]
	v_mov_b32_e32 v10, s10
	s_xor_b64 exec, exec, s[6:7]
	s_cbranch_execnz .LBB37_3412
.LBB37_1362:
	s_or_b64 exec, exec, s[6:7]
	s_and_saveexec_b64 s[6:7], s[4:5]
	s_cbranch_execz .LBB37_1364
.LBB37_1363:
	v_bfe_u32 v10, v16, 16, 3
	v_ffbh_u32_e32 v15, v10
	v_min_u32_e32 v15, 32, v15
	v_lshrrev_b32_e32 v11, 19, v16
	v_subrev_u32_e32 v20, 28, v15
	v_and_b32_e32 v11, 15, v11
	v_lshlrev_b32_sdwa v20, v20, v16 dst_sel:DWORD dst_unused:UNUSED_PAD src0_sel:DWORD src1_sel:WORD_1
	v_bfe_u32 v14, v16, 19, 4
	v_sub_u32_e32 v15, 29, v15
	v_and_b32_e32 v20, 7, v20
	v_cmp_eq_u16_e32 vcc, 0, v11
	v_cndmask_b32_e32 v10, v10, v20, vcc
	v_cndmask_b32_e32 v11, v14, v15, vcc
	v_lshlrev_b32_e32 v14, 8, v16
	v_mov_b32_e32 v15, 0x3b800000
	v_lshlrev_b32_e32 v10, 20, v10
	v_and_b32_e32 v14, 0x80000000, v14
	v_lshl_add_u32 v11, v11, 23, v15
	v_or3_b32 v10, v14, v11, v10
.LBB37_1364:
	s_or_b64 exec, exec, s[6:7]
	s_movk_i32 s4, 0xff
	v_and_b32_sdwa v11, v12, s4 dst_sel:DWORD dst_unused:UNUSED_PAD src0_sel:WORD_1 src1_sel:DWORD
	s_movk_i32 s4, 0x7f
	v_cmp_lt_i16_e32 vcc, s4, v11
	s_mov_b64 s[4:5], 0
                                        ; implicit-def: $sgpr10
	s_and_saveexec_b64 s[6:7], vcc
	s_xor_b64 s[6:7], exec, s[6:7]
	s_cbranch_execnz .LBB37_3413
; %bb.1365:
	s_or_saveexec_b64 s[6:7], s[6:7]
	v_mov_b32_e32 v14, s10
	s_xor_b64 exec, exec, s[6:7]
	s_cbranch_execnz .LBB37_3416
.LBB37_1366:
	s_or_b64 exec, exec, s[6:7]
	s_and_saveexec_b64 s[6:7], s[4:5]
	s_cbranch_execz .LBB37_1368
.LBB37_1367:
	v_bfe_u32 v11, v12, 16, 3
	v_ffbh_u32_e32 v20, v11
	v_min_u32_e32 v20, 32, v20
	v_lshrrev_b32_e32 v14, 19, v12
	v_subrev_u32_e32 v21, 28, v20
	v_and_b32_e32 v14, 15, v14
	v_lshlrev_b32_sdwa v21, v21, v12 dst_sel:DWORD dst_unused:UNUSED_PAD src0_sel:DWORD src1_sel:WORD_1
	v_bfe_u32 v15, v12, 19, 4
	v_sub_u32_e32 v20, 29, v20
	v_and_b32_e32 v21, 7, v21
	v_cmp_eq_u16_e32 vcc, 0, v14
	v_cndmask_b32_e32 v11, v11, v21, vcc
	v_cndmask_b32_e32 v14, v15, v20, vcc
	v_lshlrev_b32_e32 v15, 8, v12
	v_mov_b32_e32 v20, 0x3b800000
	v_lshlrev_b32_e32 v11, 20, v11
	v_and_b32_e32 v15, 0x80000000, v15
	v_lshl_add_u32 v14, v14, 23, v20
	v_or3_b32 v14, v15, v14, v11
.LBB37_1368:
	s_or_b64 exec, exec, s[6:7]
	s_nop 0
	v_mfma_f32_16x16x4f32 a[0:3], v10, v14, a[0:3]
	s_movk_i32 s4, 0x7f
	v_cmp_gt_i16_sdwa s[6:7], v16, s4 src0_sel:BYTE_3 src1_sel:DWORD
	s_mov_b64 s[4:5], 0
                                        ; implicit-def: $sgpr10
	s_and_saveexec_b64 s[8:9], s[6:7]
	s_xor_b64 s[6:7], exec, s[8:9]
	s_cbranch_execnz .LBB37_3417
; %bb.1369:
	s_or_saveexec_b64 s[6:7], s[6:7]
	v_mov_b32_e32 v10, s10
	s_xor_b64 exec, exec, s[6:7]
	s_cbranch_execnz .LBB37_3420
.LBB37_1370:
	s_or_b64 exec, exec, s[6:7]
	s_and_saveexec_b64 s[6:7], s[4:5]
	s_cbranch_execz .LBB37_1372
.LBB37_1371:
	v_bfe_u32 v10, v16, 24, 3
	v_ffbh_u32_e32 v20, v10
	v_min_u32_e32 v20, 32, v20
	v_lshrrev_b32_e32 v14, 27, v16
	v_subrev_u32_e32 v21, 28, v20
	v_and_b32_e32 v11, 0x80000000, v16
	v_and_b32_e32 v14, 15, v14
	v_bfe_u32 v15, v16, 27, 4
	v_lshlrev_b32_sdwa v16, v21, v16 dst_sel:DWORD dst_unused:UNUSED_PAD src0_sel:DWORD src1_sel:BYTE_3
	v_sub_u32_e32 v20, 29, v20
	v_and_b32_e32 v16, 7, v16
	v_cmp_eq_u16_e32 vcc, 0, v14
	v_cndmask_b32_e32 v10, v10, v16, vcc
	v_cndmask_b32_e32 v14, v15, v20, vcc
	v_mov_b32_e32 v15, 0x3b800000
	v_lshlrev_b32_e32 v10, 20, v10
	v_lshl_add_u32 v14, v14, 23, v15
	v_or3_b32 v10, v11, v14, v10
.LBB37_1372:
	s_or_b64 exec, exec, s[6:7]
	s_movk_i32 s4, 0x7f
	v_cmp_gt_i16_sdwa s[6:7], v12, s4 src0_sel:BYTE_3 src1_sel:DWORD
	s_mov_b64 s[4:5], 0
                                        ; implicit-def: $sgpr10
	s_and_saveexec_b64 s[8:9], s[6:7]
	s_xor_b64 s[6:7], exec, s[8:9]
	s_cbranch_execnz .LBB37_3421
; %bb.1373:
	s_or_saveexec_b64 s[6:7], s[6:7]
	v_mov_b32_e32 v11, s10
	s_xor_b64 exec, exec, s[6:7]
	s_cbranch_execnz .LBB37_3424
.LBB37_1374:
	s_or_b64 exec, exec, s[6:7]
	s_and_saveexec_b64 s[6:7], s[4:5]
	s_cbranch_execz .LBB37_1376
.LBB37_1375:
	v_bfe_u32 v11, v12, 24, 3
	v_ffbh_u32_e32 v20, v11
	v_min_u32_e32 v20, 32, v20
	v_lshrrev_b32_e32 v15, 27, v12
	v_subrev_u32_e32 v21, 28, v20
	v_and_b32_e32 v14, 0x80000000, v12
	v_and_b32_e32 v15, 15, v15
	v_bfe_u32 v16, v12, 27, 4
	v_lshlrev_b32_sdwa v12, v21, v12 dst_sel:DWORD dst_unused:UNUSED_PAD src0_sel:DWORD src1_sel:BYTE_3
	v_sub_u32_e32 v20, 29, v20
	v_and_b32_e32 v12, 7, v12
	v_cmp_eq_u16_e32 vcc, 0, v15
	v_cndmask_b32_e32 v11, v11, v12, vcc
	v_cndmask_b32_e32 v12, v16, v20, vcc
	v_mov_b32_e32 v15, 0x3b800000
	v_lshlrev_b32_e32 v11, 20, v11
	v_lshl_add_u32 v12, v12, 23, v15
	v_or3_b32 v11, v14, v12, v11
.LBB37_1376:
	s_or_b64 exec, exec, s[6:7]
	s_nop 0
	v_mfma_f32_16x16x4f32 a[0:3], v10, v11, a[0:3]
	s_movk_i32 s4, 0x7f
	v_cmp_gt_i16_sdwa s[6:7], v17, s4 src0_sel:BYTE_0 src1_sel:DWORD
	s_mov_b64 s[4:5], 0
                                        ; implicit-def: $sgpr10
	s_and_saveexec_b64 s[8:9], s[6:7]
	s_xor_b64 s[6:7], exec, s[8:9]
	s_cbranch_execnz .LBB37_3425
; %bb.1377:
	s_or_saveexec_b64 s[6:7], s[6:7]
	v_mov_b32_e32 v10, s10
	s_xor_b64 exec, exec, s[6:7]
	s_cbranch_execnz .LBB37_3428
.LBB37_1378:
	s_or_b64 exec, exec, s[6:7]
	s_and_saveexec_b64 s[6:7], s[4:5]
	s_cbranch_execz .LBB37_1380
.LBB37_1379:
	v_and_b32_e32 v10, 7, v17
	v_ffbh_u32_e32 v12, v10
	v_min_u32_e32 v12, 32, v12
	v_lshrrev_b16_e32 v11, 3, v17
	v_subrev_u32_e32 v14, 28, v12
	v_and_b32_e32 v11, 15, v11
	v_lshlrev_b32_e32 v14, v14, v17
	v_sub_u32_e32 v12, 29, v12
	v_and_b32_e32 v14, 7, v14
	v_cmp_eq_u16_e32 vcc, 0, v11
	v_cndmask_b32_e32 v10, v10, v14, vcc
	v_cndmask_b32_e32 v11, v11, v12, vcc
	v_lshlrev_b32_e32 v12, 24, v17
	v_mov_b32_e32 v14, 0x3b800000
	v_lshlrev_b32_e32 v10, 20, v10
	v_and_b32_e32 v12, 0x80000000, v12
	v_lshl_add_u32 v11, v11, 23, v14
	v_or3_b32 v10, v12, v11, v10
.LBB37_1380:
	s_or_b64 exec, exec, s[6:7]
	s_movk_i32 s4, 0x7f
	v_cmp_gt_i16_sdwa s[6:7], v13, s4 src0_sel:BYTE_0 src1_sel:DWORD
	s_mov_b64 s[4:5], 0
                                        ; implicit-def: $sgpr10
	s_and_saveexec_b64 s[8:9], s[6:7]
	s_xor_b64 s[6:7], exec, s[8:9]
	s_cbranch_execnz .LBB37_3429
; %bb.1381:
	s_or_saveexec_b64 s[6:7], s[6:7]
	v_mov_b32_e32 v11, s10
	s_xor_b64 exec, exec, s[6:7]
	s_cbranch_execnz .LBB37_3432
.LBB37_1382:
	s_or_b64 exec, exec, s[6:7]
	s_and_saveexec_b64 s[6:7], s[4:5]
	s_cbranch_execz .LBB37_1384
.LBB37_1383:
	v_and_b32_e32 v11, 7, v13
	v_ffbh_u32_e32 v14, v11
	v_min_u32_e32 v14, 32, v14
	v_lshrrev_b16_e32 v12, 3, v13
	v_subrev_u32_e32 v15, 28, v14
	v_and_b32_e32 v12, 15, v12
	v_lshlrev_b32_e32 v15, v15, v13
	v_sub_u32_e32 v14, 29, v14
	v_and_b32_e32 v15, 7, v15
	v_cmp_eq_u16_e32 vcc, 0, v12
	v_cndmask_b32_e32 v11, v11, v15, vcc
	v_cndmask_b32_e32 v12, v12, v14, vcc
	v_lshlrev_b32_e32 v14, 24, v13
	v_mov_b32_e32 v15, 0x3b800000
	v_lshlrev_b32_e32 v11, 20, v11
	v_and_b32_e32 v14, 0x80000000, v14
	v_lshl_add_u32 v12, v12, 23, v15
	v_or3_b32 v11, v14, v12, v11
.LBB37_1384:
	s_or_b64 exec, exec, s[6:7]
	s_nop 0
	v_mfma_f32_16x16x4f32 a[0:3], v10, v11, a[0:3]
	v_lshrrev_b32_e32 v11, 8, v17
	s_movk_i32 s4, 0x7f
	v_cmp_gt_i16_sdwa s[6:7], v11, s4 src0_sel:BYTE_0 src1_sel:DWORD
	s_mov_b64 s[4:5], 0
                                        ; implicit-def: $sgpr10
	s_and_saveexec_b64 s[8:9], s[6:7]
	s_xor_b64 s[6:7], exec, s[8:9]
	s_cbranch_execnz .LBB37_3433
; %bb.1385:
	s_or_saveexec_b64 s[6:7], s[6:7]
	v_mov_b32_e32 v10, s10
	s_xor_b64 exec, exec, s[6:7]
	s_cbranch_execnz .LBB37_3436
.LBB37_1386:
	s_or_b64 exec, exec, s[6:7]
	s_and_saveexec_b64 s[6:7], s[4:5]
	s_cbranch_execz .LBB37_1388
.LBB37_1387:
	v_bfe_u32 v10, v17, 8, 3
	v_ffbh_u32_e32 v14, v10
	v_min_u32_e32 v14, 32, v14
	v_lshrrev_b16_e32 v12, 3, v11
	v_subrev_u32_e32 v15, 28, v14
	v_and_b32_e32 v12, 15, v12
	v_lshlrev_b32_e32 v11, v15, v11
	v_sub_u32_e32 v14, 29, v14
	v_and_b32_e32 v11, 7, v11
	v_cmp_eq_u16_e32 vcc, 0, v12
	v_cndmask_b32_e32 v10, v10, v11, vcc
	v_cndmask_b32_e32 v11, v12, v14, vcc
	v_lshlrev_b32_e32 v12, 16, v17
	v_mov_b32_e32 v14, 0x3b800000
	v_lshlrev_b32_e32 v10, 20, v10
	v_and_b32_e32 v12, 0x80000000, v12
	v_lshl_add_u32 v11, v11, 23, v14
	v_or3_b32 v10, v12, v11, v10
.LBB37_1388:
	s_or_b64 exec, exec, s[6:7]
	v_lshrrev_b32_e32 v11, 8, v13
	s_movk_i32 s4, 0x7f
	v_cmp_gt_i16_sdwa s[6:7], v11, s4 src0_sel:BYTE_0 src1_sel:DWORD
	s_mov_b64 s[4:5], 0
                                        ; implicit-def: $sgpr10
	s_and_saveexec_b64 s[8:9], s[6:7]
	s_xor_b64 s[6:7], exec, s[8:9]
	s_cbranch_execnz .LBB37_3437
; %bb.1389:
	s_or_saveexec_b64 s[6:7], s[6:7]
	v_mov_b32_e32 v12, s10
	s_xor_b64 exec, exec, s[6:7]
	s_cbranch_execnz .LBB37_3440
.LBB37_1390:
	s_or_b64 exec, exec, s[6:7]
	s_and_saveexec_b64 s[6:7], s[4:5]
	s_cbranch_execz .LBB37_1392
.LBB37_1391:
	v_bfe_u32 v12, v13, 8, 3
	v_ffbh_u32_e32 v15, v12
	v_min_u32_e32 v15, 32, v15
	v_lshrrev_b16_e32 v14, 3, v11
	v_subrev_u32_e32 v16, 28, v15
	v_and_b32_e32 v14, 15, v14
	v_lshlrev_b32_e32 v11, v16, v11
	v_sub_u32_e32 v15, 29, v15
	v_and_b32_e32 v11, 7, v11
	v_cmp_eq_u16_e32 vcc, 0, v14
	v_cndmask_b32_e32 v11, v12, v11, vcc
	v_cndmask_b32_e32 v12, v14, v15, vcc
	v_lshlrev_b32_e32 v14, 16, v13
	v_mov_b32_e32 v15, 0x3b800000
	v_lshlrev_b32_e32 v11, 20, v11
	v_and_b32_e32 v14, 0x80000000, v14
	v_lshl_add_u32 v12, v12, 23, v15
	v_or3_b32 v12, v14, v12, v11
.LBB37_1392:
	s_or_b64 exec, exec, s[6:7]
	s_nop 0
	v_mfma_f32_16x16x4f32 a[0:3], v10, v12, a[0:3]
	s_movk_i32 s4, 0xff
	v_and_b32_sdwa v11, v17, s4 dst_sel:DWORD dst_unused:UNUSED_PAD src0_sel:WORD_1 src1_sel:DWORD
	s_movk_i32 s4, 0x7f
	v_cmp_lt_i16_e32 vcc, s4, v11
	s_mov_b64 s[4:5], 0
                                        ; implicit-def: $sgpr10
	s_and_saveexec_b64 s[6:7], vcc
	s_xor_b64 s[6:7], exec, s[6:7]
	s_cbranch_execnz .LBB37_3441
; %bb.1393:
	s_or_saveexec_b64 s[6:7], s[6:7]
	v_mov_b32_e32 v10, s10
	s_xor_b64 exec, exec, s[6:7]
	s_cbranch_execnz .LBB37_3444
.LBB37_1394:
	s_or_b64 exec, exec, s[6:7]
	s_and_saveexec_b64 s[6:7], s[4:5]
	s_cbranch_execz .LBB37_1396
.LBB37_1395:
	v_bfe_u32 v10, v17, 16, 3
	v_ffbh_u32_e32 v14, v10
	v_min_u32_e32 v14, 32, v14
	v_lshrrev_b32_e32 v11, 19, v17
	v_subrev_u32_e32 v15, 28, v14
	v_and_b32_e32 v11, 15, v11
	v_lshlrev_b32_sdwa v15, v15, v17 dst_sel:DWORD dst_unused:UNUSED_PAD src0_sel:DWORD src1_sel:WORD_1
	v_bfe_u32 v12, v17, 19, 4
	v_sub_u32_e32 v14, 29, v14
	v_and_b32_e32 v15, 7, v15
	v_cmp_eq_u16_e32 vcc, 0, v11
	v_cndmask_b32_e32 v10, v10, v15, vcc
	v_cndmask_b32_e32 v11, v12, v14, vcc
	v_lshlrev_b32_e32 v12, 8, v17
	v_mov_b32_e32 v14, 0x3b800000
	v_lshlrev_b32_e32 v10, 20, v10
	v_and_b32_e32 v12, 0x80000000, v12
	v_lshl_add_u32 v11, v11, 23, v14
	v_or3_b32 v10, v12, v11, v10
.LBB37_1396:
	s_or_b64 exec, exec, s[6:7]
	s_movk_i32 s4, 0xff
	v_and_b32_sdwa v11, v13, s4 dst_sel:DWORD dst_unused:UNUSED_PAD src0_sel:WORD_1 src1_sel:DWORD
	s_movk_i32 s4, 0x7f
	v_cmp_lt_i16_e32 vcc, s4, v11
	s_mov_b64 s[4:5], 0
                                        ; implicit-def: $sgpr10
	s_and_saveexec_b64 s[6:7], vcc
	s_xor_b64 s[6:7], exec, s[6:7]
	s_cbranch_execnz .LBB37_3445
; %bb.1397:
	s_or_saveexec_b64 s[6:7], s[6:7]
	v_mov_b32_e32 v12, s10
	s_xor_b64 exec, exec, s[6:7]
	s_cbranch_execnz .LBB37_3448
.LBB37_1398:
	s_or_b64 exec, exec, s[6:7]
	s_and_saveexec_b64 s[6:7], s[4:5]
	s_cbranch_execz .LBB37_1400
.LBB37_1399:
	v_bfe_u32 v11, v13, 16, 3
	v_ffbh_u32_e32 v15, v11
	v_min_u32_e32 v15, 32, v15
	v_lshrrev_b32_e32 v12, 19, v13
	v_subrev_u32_e32 v16, 28, v15
	v_and_b32_e32 v12, 15, v12
	v_lshlrev_b32_sdwa v16, v16, v13 dst_sel:DWORD dst_unused:UNUSED_PAD src0_sel:DWORD src1_sel:WORD_1
	v_bfe_u32 v14, v13, 19, 4
	v_sub_u32_e32 v15, 29, v15
	v_and_b32_e32 v16, 7, v16
	v_cmp_eq_u16_e32 vcc, 0, v12
	v_cndmask_b32_e32 v11, v11, v16, vcc
	v_cndmask_b32_e32 v12, v14, v15, vcc
	v_lshlrev_b32_e32 v14, 8, v13
	v_mov_b32_e32 v15, 0x3b800000
	v_lshlrev_b32_e32 v11, 20, v11
	v_and_b32_e32 v14, 0x80000000, v14
	v_lshl_add_u32 v12, v12, 23, v15
	v_or3_b32 v12, v14, v12, v11
.LBB37_1400:
	s_or_b64 exec, exec, s[6:7]
	s_nop 0
	v_mfma_f32_16x16x4f32 a[0:3], v10, v12, a[0:3]
	s_movk_i32 s4, 0x7f
	v_cmp_gt_i16_sdwa s[6:7], v17, s4 src0_sel:BYTE_3 src1_sel:DWORD
	s_mov_b64 s[4:5], 0
                                        ; implicit-def: $sgpr10
	s_and_saveexec_b64 s[8:9], s[6:7]
	s_xor_b64 s[6:7], exec, s[8:9]
	s_cbranch_execnz .LBB37_3449
; %bb.1401:
	s_or_saveexec_b64 s[6:7], s[6:7]
	v_mov_b32_e32 v10, s10
	s_xor_b64 exec, exec, s[6:7]
	s_cbranch_execnz .LBB37_3452
.LBB37_1402:
	s_or_b64 exec, exec, s[6:7]
	s_and_saveexec_b64 s[6:7], s[4:5]
	s_cbranch_execz .LBB37_1404
.LBB37_1403:
	v_bfe_u32 v10, v17, 24, 3
	v_ffbh_u32_e32 v15, v10
	v_min_u32_e32 v15, 32, v15
	v_lshrrev_b32_e32 v12, 27, v17
	v_subrev_u32_e32 v16, 28, v15
	v_and_b32_e32 v12, 15, v12
	v_lshlrev_b32_sdwa v16, v16, v17 dst_sel:DWORD dst_unused:UNUSED_PAD src0_sel:DWORD src1_sel:BYTE_3
	v_bfe_u32 v14, v17, 27, 4
	v_sub_u32_e32 v15, 29, v15
	v_and_b32_e32 v16, 7, v16
	v_cmp_eq_u16_e32 vcc, 0, v12
	v_cndmask_b32_e32 v10, v10, v16, vcc
	v_cndmask_b32_e32 v12, v14, v15, vcc
	v_mov_b32_e32 v14, 0x3b800000
	v_and_b32_e32 v11, 0x80000000, v17
	v_lshlrev_b32_e32 v10, 20, v10
	v_lshl_add_u32 v12, v12, 23, v14
	v_or3_b32 v10, v11, v12, v10
.LBB37_1404:
	s_or_b64 exec, exec, s[6:7]
	s_movk_i32 s4, 0x7f
	v_cmp_gt_i16_sdwa s[6:7], v13, s4 src0_sel:BYTE_3 src1_sel:DWORD
	s_mov_b64 s[4:5], 0
                                        ; implicit-def: $sgpr10
	s_and_saveexec_b64 s[8:9], s[6:7]
	s_xor_b64 s[6:7], exec, s[8:9]
	s_cbranch_execnz .LBB37_3453
; %bb.1405:
	s_or_saveexec_b64 s[6:7], s[6:7]
	v_mov_b32_e32 v11, s10
	s_xor_b64 exec, exec, s[6:7]
	s_cbranch_execnz .LBB37_3456
.LBB37_1406:
	s_or_b64 exec, exec, s[6:7]
	s_and_saveexec_b64 s[6:7], s[4:5]
	s_cbranch_execz .LBB37_1408
.LBB37_1407:
	v_bfe_u32 v11, v13, 24, 3
	v_ffbh_u32_e32 v16, v11
	v_min_u32_e32 v16, 32, v16
	v_lshrrev_b32_e32 v14, 27, v13
	v_subrev_u32_e32 v17, 28, v16
	v_and_b32_e32 v12, 0x80000000, v13
	v_and_b32_e32 v14, 15, v14
	v_bfe_u32 v15, v13, 27, 4
	v_lshlrev_b32_sdwa v13, v17, v13 dst_sel:DWORD dst_unused:UNUSED_PAD src0_sel:DWORD src1_sel:BYTE_3
	v_sub_u32_e32 v16, 29, v16
	v_and_b32_e32 v13, 7, v13
	v_cmp_eq_u16_e32 vcc, 0, v14
	v_cndmask_b32_e32 v11, v11, v13, vcc
	v_cndmask_b32_e32 v13, v15, v16, vcc
	v_mov_b32_e32 v14, 0x3b800000
	v_lshlrev_b32_e32 v11, 20, v11
	v_lshl_add_u32 v13, v13, 23, v14
	v_or3_b32 v11, v12, v13, v11
.LBB37_1408:
	s_or_b64 exec, exec, s[6:7]
	s_nop 0
	v_mfma_f32_16x16x4f32 a[0:3], v10, v11, a[0:3]
	s_movk_i32 s4, 0x7f
	v_cmp_gt_i16_sdwa s[6:7], v6, s4 src0_sel:BYTE_0 src1_sel:DWORD
	s_mov_b64 s[4:5], 0
                                        ; implicit-def: $sgpr10
	s_and_saveexec_b64 s[8:9], s[6:7]
	s_xor_b64 s[6:7], exec, s[8:9]
	s_cbranch_execnz .LBB37_3457
; %bb.1409:
	s_or_saveexec_b64 s[6:7], s[6:7]
	v_mov_b32_e32 v10, s10
	s_xor_b64 exec, exec, s[6:7]
	s_cbranch_execnz .LBB37_3460
.LBB37_1410:
	s_or_b64 exec, exec, s[6:7]
	s_and_saveexec_b64 s[6:7], s[4:5]
	s_cbranch_execz .LBB37_1412
.LBB37_1411:
	v_and_b32_e32 v10, 7, v6
	v_ffbh_u32_e32 v12, v10
	v_min_u32_e32 v12, 32, v12
	v_lshrrev_b16_e32 v11, 3, v6
	v_subrev_u32_e32 v13, 28, v12
	v_and_b32_e32 v11, 15, v11
	v_lshlrev_b32_e32 v13, v13, v6
	v_sub_u32_e32 v12, 29, v12
	v_and_b32_e32 v13, 7, v13
	v_cmp_eq_u16_e32 vcc, 0, v11
	v_cndmask_b32_e32 v10, v10, v13, vcc
	v_cndmask_b32_e32 v11, v11, v12, vcc
	v_lshlrev_b32_e32 v12, 24, v6
	v_mov_b32_e32 v13, 0x3b800000
	v_lshlrev_b32_e32 v10, 20, v10
	v_and_b32_e32 v12, 0x80000000, v12
	v_lshl_add_u32 v11, v11, 23, v13
	v_or3_b32 v10, v12, v11, v10
.LBB37_1412:
	s_or_b64 exec, exec, s[6:7]
	s_movk_i32 s4, 0x7f
	v_cmp_gt_i16_sdwa s[6:7], v2, s4 src0_sel:BYTE_0 src1_sel:DWORD
	s_mov_b64 s[4:5], 0
                                        ; implicit-def: $sgpr10
	s_and_saveexec_b64 s[8:9], s[6:7]
	s_xor_b64 s[6:7], exec, s[8:9]
	s_cbranch_execnz .LBB37_3461
; %bb.1413:
	s_or_saveexec_b64 s[6:7], s[6:7]
	v_mov_b32_e32 v11, s10
	s_xor_b64 exec, exec, s[6:7]
	s_cbranch_execnz .LBB37_3464
.LBB37_1414:
	s_or_b64 exec, exec, s[6:7]
	s_and_saveexec_b64 s[6:7], s[4:5]
	s_cbranch_execz .LBB37_1416
.LBB37_1415:
	v_and_b32_e32 v11, 7, v2
	v_ffbh_u32_e32 v13, v11
	v_min_u32_e32 v13, 32, v13
	v_lshrrev_b16_e32 v12, 3, v2
	v_subrev_u32_e32 v14, 28, v13
	v_and_b32_e32 v12, 15, v12
	v_lshlrev_b32_e32 v14, v14, v2
	v_sub_u32_e32 v13, 29, v13
	v_and_b32_e32 v14, 7, v14
	v_cmp_eq_u16_e32 vcc, 0, v12
	v_cndmask_b32_e32 v11, v11, v14, vcc
	v_cndmask_b32_e32 v12, v12, v13, vcc
	v_lshlrev_b32_e32 v13, 24, v2
	v_mov_b32_e32 v14, 0x3b800000
	v_lshlrev_b32_e32 v11, 20, v11
	v_and_b32_e32 v13, 0x80000000, v13
	v_lshl_add_u32 v12, v12, 23, v14
	v_or3_b32 v11, v13, v12, v11
.LBB37_1416:
	s_or_b64 exec, exec, s[6:7]
	s_nop 0
	v_mfma_f32_16x16x4f32 a[0:3], v10, v11, a[0:3]
	v_lshrrev_b32_e32 v11, 8, v6
	s_movk_i32 s4, 0x7f
	v_cmp_gt_i16_sdwa s[6:7], v11, s4 src0_sel:BYTE_0 src1_sel:DWORD
	s_mov_b64 s[4:5], 0
                                        ; implicit-def: $sgpr10
	s_and_saveexec_b64 s[8:9], s[6:7]
	s_xor_b64 s[6:7], exec, s[8:9]
	s_cbranch_execnz .LBB37_3465
; %bb.1417:
	s_or_saveexec_b64 s[6:7], s[6:7]
	v_mov_b32_e32 v10, s10
	s_xor_b64 exec, exec, s[6:7]
	s_cbranch_execnz .LBB37_3468
.LBB37_1418:
	s_or_b64 exec, exec, s[6:7]
	s_and_saveexec_b64 s[6:7], s[4:5]
	s_cbranch_execz .LBB37_1420
.LBB37_1419:
	v_bfe_u32 v10, v6, 8, 3
	v_ffbh_u32_e32 v13, v10
	v_min_u32_e32 v13, 32, v13
	v_lshrrev_b16_e32 v12, 3, v11
	v_subrev_u32_e32 v14, 28, v13
	v_and_b32_e32 v12, 15, v12
	v_lshlrev_b32_e32 v11, v14, v11
	v_sub_u32_e32 v13, 29, v13
	v_and_b32_e32 v11, 7, v11
	v_cmp_eq_u16_e32 vcc, 0, v12
	v_cndmask_b32_e32 v10, v10, v11, vcc
	v_cndmask_b32_e32 v11, v12, v13, vcc
	v_lshlrev_b32_e32 v12, 16, v6
	v_mov_b32_e32 v13, 0x3b800000
	v_lshlrev_b32_e32 v10, 20, v10
	v_and_b32_e32 v12, 0x80000000, v12
	v_lshl_add_u32 v11, v11, 23, v13
	v_or3_b32 v10, v12, v11, v10
.LBB37_1420:
	s_or_b64 exec, exec, s[6:7]
	v_lshrrev_b32_e32 v11, 8, v2
	s_movk_i32 s4, 0x7f
	v_cmp_gt_i16_sdwa s[6:7], v11, s4 src0_sel:BYTE_0 src1_sel:DWORD
	s_mov_b64 s[4:5], 0
                                        ; implicit-def: $sgpr10
	s_and_saveexec_b64 s[8:9], s[6:7]
	s_xor_b64 s[6:7], exec, s[8:9]
	s_cbranch_execnz .LBB37_3469
; %bb.1421:
	s_or_saveexec_b64 s[6:7], s[6:7]
	v_mov_b32_e32 v12, s10
	s_xor_b64 exec, exec, s[6:7]
	s_cbranch_execnz .LBB37_3472
.LBB37_1422:
	s_or_b64 exec, exec, s[6:7]
	s_and_saveexec_b64 s[6:7], s[4:5]
	s_cbranch_execz .LBB37_1424
.LBB37_1423:
	v_bfe_u32 v12, v2, 8, 3
	v_ffbh_u32_e32 v14, v12
	v_min_u32_e32 v14, 32, v14
	v_lshrrev_b16_e32 v13, 3, v11
	v_subrev_u32_e32 v15, 28, v14
	v_and_b32_e32 v13, 15, v13
	v_lshlrev_b32_e32 v11, v15, v11
	v_sub_u32_e32 v14, 29, v14
	v_and_b32_e32 v11, 7, v11
	v_cmp_eq_u16_e32 vcc, 0, v13
	v_cndmask_b32_e32 v11, v12, v11, vcc
	v_cndmask_b32_e32 v12, v13, v14, vcc
	v_lshlrev_b32_e32 v13, 16, v2
	v_mov_b32_e32 v14, 0x3b800000
	v_lshlrev_b32_e32 v11, 20, v11
	v_and_b32_e32 v13, 0x80000000, v13
	v_lshl_add_u32 v12, v12, 23, v14
	v_or3_b32 v12, v13, v12, v11
.LBB37_1424:
	s_or_b64 exec, exec, s[6:7]
	s_nop 0
	v_mfma_f32_16x16x4f32 a[0:3], v10, v12, a[0:3]
	s_movk_i32 s4, 0xff
	v_and_b32_sdwa v11, v6, s4 dst_sel:DWORD dst_unused:UNUSED_PAD src0_sel:WORD_1 src1_sel:DWORD
	s_movk_i32 s4, 0x7f
	v_cmp_lt_i16_e32 vcc, s4, v11
	s_mov_b64 s[4:5], 0
                                        ; implicit-def: $sgpr10
	s_and_saveexec_b64 s[6:7], vcc
	s_xor_b64 s[6:7], exec, s[6:7]
	s_cbranch_execnz .LBB37_3473
; %bb.1425:
	s_or_saveexec_b64 s[6:7], s[6:7]
	v_mov_b32_e32 v10, s10
	s_xor_b64 exec, exec, s[6:7]
	s_cbranch_execnz .LBB37_3476
.LBB37_1426:
	s_or_b64 exec, exec, s[6:7]
	s_and_saveexec_b64 s[6:7], s[4:5]
	s_cbranch_execz .LBB37_1428
.LBB37_1427:
	v_bfe_u32 v10, v6, 16, 3
	v_ffbh_u32_e32 v13, v10
	v_min_u32_e32 v13, 32, v13
	v_lshrrev_b32_e32 v11, 19, v6
	v_subrev_u32_e32 v14, 28, v13
	v_and_b32_e32 v11, 15, v11
	v_lshlrev_b32_sdwa v14, v14, v6 dst_sel:DWORD dst_unused:UNUSED_PAD src0_sel:DWORD src1_sel:WORD_1
	v_bfe_u32 v12, v6, 19, 4
	v_sub_u32_e32 v13, 29, v13
	v_and_b32_e32 v14, 7, v14
	v_cmp_eq_u16_e32 vcc, 0, v11
	v_cndmask_b32_e32 v10, v10, v14, vcc
	v_cndmask_b32_e32 v11, v12, v13, vcc
	v_lshlrev_b32_e32 v12, 8, v6
	v_mov_b32_e32 v13, 0x3b800000
	v_lshlrev_b32_e32 v10, 20, v10
	v_and_b32_e32 v12, 0x80000000, v12
	v_lshl_add_u32 v11, v11, 23, v13
	v_or3_b32 v10, v12, v11, v10
.LBB37_1428:
	s_or_b64 exec, exec, s[6:7]
	s_movk_i32 s4, 0xff
	v_and_b32_sdwa v11, v2, s4 dst_sel:DWORD dst_unused:UNUSED_PAD src0_sel:WORD_1 src1_sel:DWORD
	s_movk_i32 s4, 0x7f
	v_cmp_lt_i16_e32 vcc, s4, v11
	s_mov_b64 s[4:5], 0
                                        ; implicit-def: $sgpr10
	s_and_saveexec_b64 s[6:7], vcc
	s_xor_b64 s[6:7], exec, s[6:7]
	s_cbranch_execnz .LBB37_3477
; %bb.1429:
	s_or_saveexec_b64 s[6:7], s[6:7]
	v_mov_b32_e32 v12, s10
	s_xor_b64 exec, exec, s[6:7]
	s_cbranch_execnz .LBB37_3480
.LBB37_1430:
	s_or_b64 exec, exec, s[6:7]
	s_and_saveexec_b64 s[6:7], s[4:5]
	s_cbranch_execz .LBB37_1432
.LBB37_1431:
	v_bfe_u32 v11, v2, 16, 3
	v_ffbh_u32_e32 v14, v11
	v_min_u32_e32 v14, 32, v14
	v_lshrrev_b32_e32 v12, 19, v2
	v_subrev_u32_e32 v15, 28, v14
	v_and_b32_e32 v12, 15, v12
	v_lshlrev_b32_sdwa v15, v15, v2 dst_sel:DWORD dst_unused:UNUSED_PAD src0_sel:DWORD src1_sel:WORD_1
	v_bfe_u32 v13, v2, 19, 4
	v_sub_u32_e32 v14, 29, v14
	v_and_b32_e32 v15, 7, v15
	v_cmp_eq_u16_e32 vcc, 0, v12
	v_cndmask_b32_e32 v11, v11, v15, vcc
	v_cndmask_b32_e32 v12, v13, v14, vcc
	v_lshlrev_b32_e32 v13, 8, v2
	v_mov_b32_e32 v14, 0x3b800000
	v_lshlrev_b32_e32 v11, 20, v11
	v_and_b32_e32 v13, 0x80000000, v13
	v_lshl_add_u32 v12, v12, 23, v14
	v_or3_b32 v12, v13, v12, v11
.LBB37_1432:
	s_or_b64 exec, exec, s[6:7]
	s_nop 0
	v_mfma_f32_16x16x4f32 a[0:3], v10, v12, a[0:3]
	s_movk_i32 s4, 0x7f
	v_cmp_gt_i16_sdwa s[6:7], v6, s4 src0_sel:BYTE_3 src1_sel:DWORD
	s_mov_b64 s[4:5], 0
                                        ; implicit-def: $sgpr10
	s_and_saveexec_b64 s[8:9], s[6:7]
	s_xor_b64 s[6:7], exec, s[8:9]
	s_cbranch_execnz .LBB37_3481
; %bb.1433:
	s_or_saveexec_b64 s[6:7], s[6:7]
	v_mov_b32_e32 v10, s10
	s_xor_b64 exec, exec, s[6:7]
	s_cbranch_execnz .LBB37_3484
.LBB37_1434:
	s_or_b64 exec, exec, s[6:7]
	s_and_saveexec_b64 s[6:7], s[4:5]
	s_cbranch_execz .LBB37_1436
.LBB37_1435:
	v_bfe_u32 v10, v6, 24, 3
	v_ffbh_u32_e32 v14, v10
	v_min_u32_e32 v14, 32, v14
	v_lshrrev_b32_e32 v12, 27, v6
	v_subrev_u32_e32 v15, 28, v14
	v_and_b32_e32 v11, 0x80000000, v6
	v_and_b32_e32 v12, 15, v12
	v_bfe_u32 v13, v6, 27, 4
	v_lshlrev_b32_sdwa v6, v15, v6 dst_sel:DWORD dst_unused:UNUSED_PAD src0_sel:DWORD src1_sel:BYTE_3
	v_sub_u32_e32 v14, 29, v14
	v_and_b32_e32 v6, 7, v6
	v_cmp_eq_u16_e32 vcc, 0, v12
	v_cndmask_b32_e32 v6, v10, v6, vcc
	v_cndmask_b32_e32 v10, v13, v14, vcc
	v_mov_b32_e32 v12, 0x3b800000
	v_lshlrev_b32_e32 v6, 20, v6
	v_lshl_add_u32 v10, v10, 23, v12
	v_or3_b32 v10, v11, v10, v6
.LBB37_1436:
	s_or_b64 exec, exec, s[6:7]
	s_movk_i32 s4, 0x7f
	v_cmp_gt_i16_sdwa s[6:7], v2, s4 src0_sel:BYTE_3 src1_sel:DWORD
	s_mov_b64 s[4:5], 0
                                        ; implicit-def: $sgpr10
	s_and_saveexec_b64 s[8:9], s[6:7]
	s_xor_b64 s[6:7], exec, s[8:9]
	s_cbranch_execnz .LBB37_3485
; %bb.1437:
	s_or_saveexec_b64 s[6:7], s[6:7]
	v_mov_b32_e32 v6, s10
	s_xor_b64 exec, exec, s[6:7]
	s_cbranch_execnz .LBB37_3488
.LBB37_1438:
	s_or_b64 exec, exec, s[6:7]
	s_and_saveexec_b64 s[6:7], s[4:5]
	s_cbranch_execz .LBB37_1440
.LBB37_1439:
	v_bfe_u32 v6, v2, 24, 3
	v_ffbh_u32_e32 v14, v6
	v_min_u32_e32 v14, 32, v14
	v_lshrrev_b32_e32 v12, 27, v2
	v_subrev_u32_e32 v15, 28, v14
	v_and_b32_e32 v11, 0x80000000, v2
	v_and_b32_e32 v12, 15, v12
	v_bfe_u32 v13, v2, 27, 4
	v_lshlrev_b32_sdwa v2, v15, v2 dst_sel:DWORD dst_unused:UNUSED_PAD src0_sel:DWORD src1_sel:BYTE_3
	v_sub_u32_e32 v14, 29, v14
	v_and_b32_e32 v2, 7, v2
	v_cmp_eq_u16_e32 vcc, 0, v12
	v_cndmask_b32_e32 v2, v6, v2, vcc
	v_cndmask_b32_e32 v6, v13, v14, vcc
	v_mov_b32_e32 v12, 0x3b800000
	v_lshlrev_b32_e32 v2, 20, v2
	v_lshl_add_u32 v6, v6, 23, v12
	v_or3_b32 v6, v11, v6, v2
.LBB37_1440:
	s_or_b64 exec, exec, s[6:7]
	s_nop 0
	v_mfma_f32_16x16x4f32 a[0:3], v10, v6, a[0:3]
	s_movk_i32 s4, 0x7f
	v_cmp_gt_i16_sdwa s[6:7], v7, s4 src0_sel:BYTE_0 src1_sel:DWORD
	s_mov_b64 s[4:5], 0
                                        ; implicit-def: $sgpr10
	s_and_saveexec_b64 s[8:9], s[6:7]
	s_xor_b64 s[6:7], exec, s[8:9]
	s_cbranch_execnz .LBB37_3489
; %bb.1441:
	s_or_saveexec_b64 s[6:7], s[6:7]
	v_mov_b32_e32 v2, s10
	s_xor_b64 exec, exec, s[6:7]
	s_cbranch_execnz .LBB37_3492
.LBB37_1442:
	s_or_b64 exec, exec, s[6:7]
	s_and_saveexec_b64 s[6:7], s[4:5]
	s_cbranch_execz .LBB37_1444
.LBB37_1443:
	v_and_b32_e32 v2, 7, v7
	v_ffbh_u32_e32 v10, v2
	v_min_u32_e32 v10, 32, v10
	v_lshrrev_b16_e32 v6, 3, v7
	v_subrev_u32_e32 v11, 28, v10
	v_and_b32_e32 v6, 15, v6
	v_lshlrev_b32_e32 v11, v11, v7
	v_sub_u32_e32 v10, 29, v10
	v_and_b32_e32 v11, 7, v11
	v_cmp_eq_u16_e32 vcc, 0, v6
	v_cndmask_b32_e32 v2, v2, v11, vcc
	v_cndmask_b32_e32 v6, v6, v10, vcc
	v_lshlrev_b32_e32 v10, 24, v7
	v_mov_b32_e32 v11, 0x3b800000
	v_lshlrev_b32_e32 v2, 20, v2
	v_and_b32_e32 v10, 0x80000000, v10
	v_lshl_add_u32 v6, v6, 23, v11
	v_or3_b32 v2, v10, v6, v2
.LBB37_1444:
	s_or_b64 exec, exec, s[6:7]
	s_movk_i32 s4, 0x7f
	v_cmp_gt_i16_sdwa s[6:7], v3, s4 src0_sel:BYTE_0 src1_sel:DWORD
	s_mov_b64 s[4:5], 0
                                        ; implicit-def: $sgpr10
	s_and_saveexec_b64 s[8:9], s[6:7]
	s_xor_b64 s[6:7], exec, s[8:9]
	s_cbranch_execnz .LBB37_3493
; %bb.1445:
	s_or_saveexec_b64 s[6:7], s[6:7]
	v_mov_b32_e32 v6, s10
	s_xor_b64 exec, exec, s[6:7]
	s_cbranch_execnz .LBB37_3496
.LBB37_1446:
	s_or_b64 exec, exec, s[6:7]
	s_and_saveexec_b64 s[6:7], s[4:5]
	s_cbranch_execz .LBB37_1448
.LBB37_1447:
	v_and_b32_e32 v6, 7, v3
	v_ffbh_u32_e32 v11, v6
	v_min_u32_e32 v11, 32, v11
	v_lshrrev_b16_e32 v10, 3, v3
	v_subrev_u32_e32 v12, 28, v11
	v_and_b32_e32 v10, 15, v10
	v_lshlrev_b32_e32 v12, v12, v3
	v_sub_u32_e32 v11, 29, v11
	v_and_b32_e32 v12, 7, v12
	v_cmp_eq_u16_e32 vcc, 0, v10
	v_cndmask_b32_e32 v6, v6, v12, vcc
	v_cndmask_b32_e32 v10, v10, v11, vcc
	v_lshlrev_b32_e32 v11, 24, v3
	v_mov_b32_e32 v12, 0x3b800000
	v_lshlrev_b32_e32 v6, 20, v6
	v_and_b32_e32 v11, 0x80000000, v11
	v_lshl_add_u32 v10, v10, 23, v12
	v_or3_b32 v6, v11, v10, v6
.LBB37_1448:
	s_or_b64 exec, exec, s[6:7]
	s_nop 0
	v_mfma_f32_16x16x4f32 a[0:3], v2, v6, a[0:3]
	v_lshrrev_b32_e32 v6, 8, v7
	s_movk_i32 s4, 0x7f
	v_cmp_gt_i16_sdwa s[6:7], v6, s4 src0_sel:BYTE_0 src1_sel:DWORD
	s_mov_b64 s[4:5], 0
                                        ; implicit-def: $sgpr10
	s_and_saveexec_b64 s[8:9], s[6:7]
	s_xor_b64 s[6:7], exec, s[8:9]
	s_cbranch_execnz .LBB37_3497
; %bb.1449:
	s_or_saveexec_b64 s[6:7], s[6:7]
	v_mov_b32_e32 v2, s10
	s_xor_b64 exec, exec, s[6:7]
	s_cbranch_execnz .LBB37_3500
.LBB37_1450:
	s_or_b64 exec, exec, s[6:7]
	s_and_saveexec_b64 s[6:7], s[4:5]
	s_cbranch_execz .LBB37_1452
.LBB37_1451:
	v_bfe_u32 v2, v7, 8, 3
	v_ffbh_u32_e32 v11, v2
	v_min_u32_e32 v11, 32, v11
	v_lshrrev_b16_e32 v10, 3, v6
	v_subrev_u32_e32 v12, 28, v11
	v_and_b32_e32 v10, 15, v10
	v_lshlrev_b32_e32 v6, v12, v6
	v_sub_u32_e32 v11, 29, v11
	v_and_b32_e32 v6, 7, v6
	v_cmp_eq_u16_e32 vcc, 0, v10
	v_cndmask_b32_e32 v2, v2, v6, vcc
	v_cndmask_b32_e32 v6, v10, v11, vcc
	v_lshlrev_b32_e32 v10, 16, v7
	v_mov_b32_e32 v11, 0x3b800000
	v_lshlrev_b32_e32 v2, 20, v2
	v_and_b32_e32 v10, 0x80000000, v10
	v_lshl_add_u32 v6, v6, 23, v11
	v_or3_b32 v2, v10, v6, v2
.LBB37_1452:
	s_or_b64 exec, exec, s[6:7]
	v_lshrrev_b32_e32 v6, 8, v3
	s_movk_i32 s4, 0x7f
	v_cmp_gt_i16_sdwa s[6:7], v6, s4 src0_sel:BYTE_0 src1_sel:DWORD
	s_mov_b64 s[4:5], 0
                                        ; implicit-def: $sgpr10
	s_and_saveexec_b64 s[8:9], s[6:7]
	s_xor_b64 s[6:7], exec, s[8:9]
	s_cbranch_execnz .LBB37_3501
; %bb.1453:
	s_or_saveexec_b64 s[6:7], s[6:7]
	v_mov_b32_e32 v10, s10
	s_xor_b64 exec, exec, s[6:7]
	s_cbranch_execnz .LBB37_3504
.LBB37_1454:
	s_or_b64 exec, exec, s[6:7]
	s_and_saveexec_b64 s[6:7], s[4:5]
	s_cbranch_execz .LBB37_1456
.LBB37_1455:
	v_bfe_u32 v10, v3, 8, 3
	v_ffbh_u32_e32 v12, v10
	v_min_u32_e32 v12, 32, v12
	v_lshrrev_b16_e32 v11, 3, v6
	v_subrev_u32_e32 v13, 28, v12
	v_and_b32_e32 v11, 15, v11
	v_lshlrev_b32_e32 v6, v13, v6
	v_sub_u32_e32 v12, 29, v12
	v_and_b32_e32 v6, 7, v6
	v_cmp_eq_u16_e32 vcc, 0, v11
	v_cndmask_b32_e32 v6, v10, v6, vcc
	v_cndmask_b32_e32 v10, v11, v12, vcc
	v_lshlrev_b32_e32 v11, 16, v3
	v_mov_b32_e32 v12, 0x3b800000
	v_lshlrev_b32_e32 v6, 20, v6
	v_and_b32_e32 v11, 0x80000000, v11
	v_lshl_add_u32 v10, v10, 23, v12
	v_or3_b32 v10, v11, v10, v6
.LBB37_1456:
	s_or_b64 exec, exec, s[6:7]
	s_nop 0
	v_mfma_f32_16x16x4f32 a[0:3], v2, v10, a[0:3]
	s_movk_i32 s4, 0xff
	v_and_b32_sdwa v6, v7, s4 dst_sel:DWORD dst_unused:UNUSED_PAD src0_sel:WORD_1 src1_sel:DWORD
	s_movk_i32 s4, 0x7f
	v_cmp_lt_i16_e32 vcc, s4, v6
	s_mov_b64 s[4:5], 0
                                        ; implicit-def: $sgpr10
	s_and_saveexec_b64 s[6:7], vcc
	s_xor_b64 s[6:7], exec, s[6:7]
	s_cbranch_execnz .LBB37_3505
; %bb.1457:
	s_or_saveexec_b64 s[6:7], s[6:7]
	v_mov_b32_e32 v2, s10
	s_xor_b64 exec, exec, s[6:7]
	s_cbranch_execnz .LBB37_3508
.LBB37_1458:
	s_or_b64 exec, exec, s[6:7]
	s_and_saveexec_b64 s[6:7], s[4:5]
	s_cbranch_execz .LBB37_1460
.LBB37_1459:
	v_bfe_u32 v2, v7, 16, 3
	v_ffbh_u32_e32 v11, v2
	v_min_u32_e32 v11, 32, v11
	v_lshrrev_b32_e32 v6, 19, v7
	v_subrev_u32_e32 v12, 28, v11
	v_and_b32_e32 v6, 15, v6
	v_lshlrev_b32_sdwa v12, v12, v7 dst_sel:DWORD dst_unused:UNUSED_PAD src0_sel:DWORD src1_sel:WORD_1
	v_bfe_u32 v10, v7, 19, 4
	v_sub_u32_e32 v11, 29, v11
	v_and_b32_e32 v12, 7, v12
	v_cmp_eq_u16_e32 vcc, 0, v6
	v_cndmask_b32_e32 v2, v2, v12, vcc
	v_cndmask_b32_e32 v6, v10, v11, vcc
	v_lshlrev_b32_e32 v10, 8, v7
	v_mov_b32_e32 v11, 0x3b800000
	v_lshlrev_b32_e32 v2, 20, v2
	v_and_b32_e32 v10, 0x80000000, v10
	v_lshl_add_u32 v6, v6, 23, v11
	v_or3_b32 v2, v10, v6, v2
.LBB37_1460:
	s_or_b64 exec, exec, s[6:7]
	s_movk_i32 s4, 0xff
	v_and_b32_sdwa v6, v3, s4 dst_sel:DWORD dst_unused:UNUSED_PAD src0_sel:WORD_1 src1_sel:DWORD
	s_movk_i32 s4, 0x7f
	v_cmp_lt_i16_e32 vcc, s4, v6
	s_mov_b64 s[4:5], 0
                                        ; implicit-def: $sgpr10
	s_and_saveexec_b64 s[6:7], vcc
	s_xor_b64 s[6:7], exec, s[6:7]
	s_cbranch_execnz .LBB37_3509
; %bb.1461:
	s_or_saveexec_b64 s[6:7], s[6:7]
	v_mov_b32_e32 v10, s10
	s_xor_b64 exec, exec, s[6:7]
	s_cbranch_execnz .LBB37_3512
.LBB37_1462:
	s_or_b64 exec, exec, s[6:7]
	s_and_saveexec_b64 s[6:7], s[4:5]
	s_cbranch_execz .LBB37_1464
.LBB37_1463:
	v_bfe_u32 v6, v3, 16, 3
	v_ffbh_u32_e32 v12, v6
	v_min_u32_e32 v12, 32, v12
	v_lshrrev_b32_e32 v10, 19, v3
	v_subrev_u32_e32 v13, 28, v12
	v_and_b32_e32 v10, 15, v10
	v_lshlrev_b32_sdwa v13, v13, v3 dst_sel:DWORD dst_unused:UNUSED_PAD src0_sel:DWORD src1_sel:WORD_1
	v_bfe_u32 v11, v3, 19, 4
	v_sub_u32_e32 v12, 29, v12
	v_and_b32_e32 v13, 7, v13
	v_cmp_eq_u16_e32 vcc, 0, v10
	v_cndmask_b32_e32 v6, v6, v13, vcc
	v_cndmask_b32_e32 v10, v11, v12, vcc
	v_lshlrev_b32_e32 v11, 8, v3
	v_mov_b32_e32 v12, 0x3b800000
	v_lshlrev_b32_e32 v6, 20, v6
	v_and_b32_e32 v11, 0x80000000, v11
	v_lshl_add_u32 v10, v10, 23, v12
	v_or3_b32 v10, v11, v10, v6
.LBB37_1464:
	s_or_b64 exec, exec, s[6:7]
	s_nop 0
	v_mfma_f32_16x16x4f32 a[0:3], v2, v10, a[0:3]
	s_movk_i32 s4, 0x7f
	v_cmp_gt_i16_sdwa s[6:7], v7, s4 src0_sel:BYTE_3 src1_sel:DWORD
	s_mov_b64 s[4:5], 0
                                        ; implicit-def: $sgpr10
	s_and_saveexec_b64 s[8:9], s[6:7]
	s_xor_b64 s[6:7], exec, s[8:9]
	s_cbranch_execnz .LBB37_3513
; %bb.1465:
	s_or_saveexec_b64 s[6:7], s[6:7]
	v_mov_b32_e32 v2, s10
	s_xor_b64 exec, exec, s[6:7]
	s_cbranch_execnz .LBB37_3516
.LBB37_1466:
	s_or_b64 exec, exec, s[6:7]
	s_and_saveexec_b64 s[6:7], s[4:5]
	s_cbranch_execz .LBB37_1468
.LBB37_1467:
	v_bfe_u32 v2, v7, 24, 3
	v_ffbh_u32_e32 v12, v2
	v_min_u32_e32 v12, 32, v12
	v_lshrrev_b32_e32 v10, 27, v7
	v_subrev_u32_e32 v13, 28, v12
	v_and_b32_e32 v6, 0x80000000, v7
	v_and_b32_e32 v10, 15, v10
	v_bfe_u32 v11, v7, 27, 4
	v_lshlrev_b32_sdwa v7, v13, v7 dst_sel:DWORD dst_unused:UNUSED_PAD src0_sel:DWORD src1_sel:BYTE_3
	v_sub_u32_e32 v12, 29, v12
	v_and_b32_e32 v7, 7, v7
	v_cmp_eq_u16_e32 vcc, 0, v10
	v_cndmask_b32_e32 v2, v2, v7, vcc
	v_cndmask_b32_e32 v7, v11, v12, vcc
	v_mov_b32_e32 v10, 0x3b800000
	v_lshlrev_b32_e32 v2, 20, v2
	v_lshl_add_u32 v7, v7, 23, v10
	v_or3_b32 v2, v6, v7, v2
.LBB37_1468:
	s_or_b64 exec, exec, s[6:7]
	s_movk_i32 s4, 0x7f
	v_cmp_gt_i16_sdwa s[6:7], v3, s4 src0_sel:BYTE_3 src1_sel:DWORD
	s_mov_b64 s[4:5], 0
                                        ; implicit-def: $sgpr10
	s_and_saveexec_b64 s[8:9], s[6:7]
	s_xor_b64 s[6:7], exec, s[8:9]
	s_cbranch_execnz .LBB37_3517
; %bb.1469:
	s_or_saveexec_b64 s[6:7], s[6:7]
	v_mov_b32_e32 v6, s10
	s_xor_b64 exec, exec, s[6:7]
	s_cbranch_execnz .LBB37_3520
.LBB37_1470:
	s_or_b64 exec, exec, s[6:7]
	s_and_saveexec_b64 s[6:7], s[4:5]
	s_cbranch_execz .LBB37_1472
.LBB37_1471:
	v_bfe_u32 v6, v3, 24, 3
	v_ffbh_u32_e32 v12, v6
	v_min_u32_e32 v12, 32, v12
	v_lshrrev_b32_e32 v10, 27, v3
	v_subrev_u32_e32 v13, 28, v12
	v_and_b32_e32 v7, 0x80000000, v3
	v_and_b32_e32 v10, 15, v10
	v_bfe_u32 v11, v3, 27, 4
	v_lshlrev_b32_sdwa v3, v13, v3 dst_sel:DWORD dst_unused:UNUSED_PAD src0_sel:DWORD src1_sel:BYTE_3
	v_sub_u32_e32 v12, 29, v12
	v_and_b32_e32 v3, 7, v3
	v_cmp_eq_u16_e32 vcc, 0, v10
	v_cndmask_b32_e32 v3, v6, v3, vcc
	v_cndmask_b32_e32 v6, v11, v12, vcc
	v_mov_b32_e32 v10, 0x3b800000
	v_lshlrev_b32_e32 v3, 20, v3
	v_lshl_add_u32 v6, v6, 23, v10
	v_or3_b32 v6, v7, v6, v3
.LBB37_1472:
	s_or_b64 exec, exec, s[6:7]
	s_nop 0
	v_mfma_f32_16x16x4f32 a[0:3], v2, v6, a[0:3]
	s_movk_i32 s4, 0x7f
	v_cmp_gt_i16_sdwa s[6:7], v8, s4 src0_sel:BYTE_0 src1_sel:DWORD
	s_mov_b64 s[4:5], 0
                                        ; implicit-def: $sgpr10
	s_and_saveexec_b64 s[8:9], s[6:7]
	s_xor_b64 s[6:7], exec, s[8:9]
	s_cbranch_execnz .LBB37_3521
; %bb.1473:
	s_or_saveexec_b64 s[6:7], s[6:7]
	v_mov_b32_e32 v2, s10
	s_xor_b64 exec, exec, s[6:7]
	s_cbranch_execnz .LBB37_3524
.LBB37_1474:
	s_or_b64 exec, exec, s[6:7]
	s_and_saveexec_b64 s[6:7], s[4:5]
	s_cbranch_execz .LBB37_1476
.LBB37_1475:
	v_and_b32_e32 v2, 7, v8
	v_ffbh_u32_e32 v6, v2
	v_min_u32_e32 v6, 32, v6
	v_lshrrev_b16_e32 v3, 3, v8
	v_subrev_u32_e32 v7, 28, v6
	v_and_b32_e32 v3, 15, v3
	v_lshlrev_b32_e32 v7, v7, v8
	v_sub_u32_e32 v6, 29, v6
	v_and_b32_e32 v7, 7, v7
	v_cmp_eq_u16_e32 vcc, 0, v3
	v_cndmask_b32_e32 v2, v2, v7, vcc
	v_cndmask_b32_e32 v3, v3, v6, vcc
	v_lshlrev_b32_e32 v6, 24, v8
	v_mov_b32_e32 v7, 0x3b800000
	v_lshlrev_b32_e32 v2, 20, v2
	v_and_b32_e32 v6, 0x80000000, v6
	v_lshl_add_u32 v3, v3, 23, v7
	v_or3_b32 v2, v6, v3, v2
.LBB37_1476:
	s_or_b64 exec, exec, s[6:7]
	s_movk_i32 s4, 0x7f
	v_cmp_gt_i16_sdwa s[6:7], v4, s4 src0_sel:BYTE_0 src1_sel:DWORD
	s_mov_b64 s[4:5], 0
                                        ; implicit-def: $sgpr10
	s_and_saveexec_b64 s[8:9], s[6:7]
	s_xor_b64 s[6:7], exec, s[8:9]
	s_cbranch_execnz .LBB37_3525
; %bb.1477:
	s_or_saveexec_b64 s[6:7], s[6:7]
	v_mov_b32_e32 v3, s10
	s_xor_b64 exec, exec, s[6:7]
	s_cbranch_execnz .LBB37_3528
.LBB37_1478:
	s_or_b64 exec, exec, s[6:7]
	s_and_saveexec_b64 s[6:7], s[4:5]
	s_cbranch_execz .LBB37_1480
.LBB37_1479:
	v_and_b32_e32 v3, 7, v4
	v_ffbh_u32_e32 v7, v3
	v_min_u32_e32 v7, 32, v7
	v_lshrrev_b16_e32 v6, 3, v4
	v_subrev_u32_e32 v10, 28, v7
	v_and_b32_e32 v6, 15, v6
	v_lshlrev_b32_e32 v10, v10, v4
	v_sub_u32_e32 v7, 29, v7
	v_and_b32_e32 v10, 7, v10
	v_cmp_eq_u16_e32 vcc, 0, v6
	v_cndmask_b32_e32 v3, v3, v10, vcc
	v_cndmask_b32_e32 v6, v6, v7, vcc
	v_lshlrev_b32_e32 v7, 24, v4
	v_mov_b32_e32 v10, 0x3b800000
	v_lshlrev_b32_e32 v3, 20, v3
	v_and_b32_e32 v7, 0x80000000, v7
	v_lshl_add_u32 v6, v6, 23, v10
	v_or3_b32 v3, v7, v6, v3
.LBB37_1480:
	s_or_b64 exec, exec, s[6:7]
	s_nop 0
	v_mfma_f32_16x16x4f32 a[0:3], v2, v3, a[0:3]
	v_lshrrev_b32_e32 v3, 8, v8
	s_movk_i32 s4, 0x7f
	v_cmp_gt_i16_sdwa s[6:7], v3, s4 src0_sel:BYTE_0 src1_sel:DWORD
	s_mov_b64 s[4:5], 0
                                        ; implicit-def: $sgpr10
	s_and_saveexec_b64 s[8:9], s[6:7]
	s_xor_b64 s[6:7], exec, s[8:9]
	s_cbranch_execnz .LBB37_3529
; %bb.1481:
	s_or_saveexec_b64 s[6:7], s[6:7]
	v_mov_b32_e32 v2, s10
	s_xor_b64 exec, exec, s[6:7]
	s_cbranch_execnz .LBB37_3532
.LBB37_1482:
	s_or_b64 exec, exec, s[6:7]
	s_and_saveexec_b64 s[6:7], s[4:5]
	s_cbranch_execz .LBB37_1484
.LBB37_1483:
	v_bfe_u32 v2, v8, 8, 3
	v_ffbh_u32_e32 v7, v2
	v_min_u32_e32 v7, 32, v7
	v_lshrrev_b16_e32 v6, 3, v3
	v_subrev_u32_e32 v10, 28, v7
	v_and_b32_e32 v6, 15, v6
	v_lshlrev_b32_e32 v3, v10, v3
	v_sub_u32_e32 v7, 29, v7
	v_and_b32_e32 v3, 7, v3
	v_cmp_eq_u16_e32 vcc, 0, v6
	v_cndmask_b32_e32 v2, v2, v3, vcc
	v_cndmask_b32_e32 v3, v6, v7, vcc
	v_lshlrev_b32_e32 v6, 16, v8
	v_mov_b32_e32 v7, 0x3b800000
	v_lshlrev_b32_e32 v2, 20, v2
	v_and_b32_e32 v6, 0x80000000, v6
	v_lshl_add_u32 v3, v3, 23, v7
	v_or3_b32 v2, v6, v3, v2
.LBB37_1484:
	s_or_b64 exec, exec, s[6:7]
	v_lshrrev_b32_e32 v3, 8, v4
	s_movk_i32 s4, 0x7f
	v_cmp_gt_i16_sdwa s[6:7], v3, s4 src0_sel:BYTE_0 src1_sel:DWORD
	s_mov_b64 s[4:5], 0
                                        ; implicit-def: $sgpr10
	s_and_saveexec_b64 s[8:9], s[6:7]
	s_xor_b64 s[6:7], exec, s[8:9]
	s_cbranch_execnz .LBB37_3533
; %bb.1485:
	s_or_saveexec_b64 s[6:7], s[6:7]
	v_mov_b32_e32 v6, s10
	s_xor_b64 exec, exec, s[6:7]
	s_cbranch_execnz .LBB37_3536
.LBB37_1486:
	s_or_b64 exec, exec, s[6:7]
	s_and_saveexec_b64 s[6:7], s[4:5]
	s_cbranch_execz .LBB37_1488
.LBB37_1487:
	v_bfe_u32 v6, v4, 8, 3
	v_ffbh_u32_e32 v10, v6
	v_min_u32_e32 v10, 32, v10
	v_lshrrev_b16_e32 v7, 3, v3
	v_subrev_u32_e32 v11, 28, v10
	v_and_b32_e32 v7, 15, v7
	v_lshlrev_b32_e32 v3, v11, v3
	v_sub_u32_e32 v10, 29, v10
	v_and_b32_e32 v3, 7, v3
	v_cmp_eq_u16_e32 vcc, 0, v7
	v_cndmask_b32_e32 v3, v6, v3, vcc
	v_cndmask_b32_e32 v6, v7, v10, vcc
	v_lshlrev_b32_e32 v7, 16, v4
	v_mov_b32_e32 v10, 0x3b800000
	v_lshlrev_b32_e32 v3, 20, v3
	v_and_b32_e32 v7, 0x80000000, v7
	v_lshl_add_u32 v6, v6, 23, v10
	v_or3_b32 v6, v7, v6, v3
.LBB37_1488:
	s_or_b64 exec, exec, s[6:7]
	s_nop 0
	v_mfma_f32_16x16x4f32 a[0:3], v2, v6, a[0:3]
	s_movk_i32 s4, 0xff
	v_and_b32_sdwa v3, v8, s4 dst_sel:DWORD dst_unused:UNUSED_PAD src0_sel:WORD_1 src1_sel:DWORD
	s_movk_i32 s4, 0x7f
	v_cmp_lt_i16_e32 vcc, s4, v3
	s_mov_b64 s[4:5], 0
                                        ; implicit-def: $sgpr10
	s_and_saveexec_b64 s[6:7], vcc
	s_xor_b64 s[6:7], exec, s[6:7]
	s_cbranch_execnz .LBB37_3537
; %bb.1489:
	s_or_saveexec_b64 s[6:7], s[6:7]
	v_mov_b32_e32 v2, s10
	s_xor_b64 exec, exec, s[6:7]
	s_cbranch_execnz .LBB37_3540
.LBB37_1490:
	s_or_b64 exec, exec, s[6:7]
	s_and_saveexec_b64 s[6:7], s[4:5]
	s_cbranch_execz .LBB37_1492
.LBB37_1491:
	v_bfe_u32 v2, v8, 16, 3
	v_ffbh_u32_e32 v7, v2
	v_min_u32_e32 v7, 32, v7
	v_lshrrev_b32_e32 v3, 19, v8
	v_subrev_u32_e32 v10, 28, v7
	v_and_b32_e32 v3, 15, v3
	v_lshlrev_b32_sdwa v10, v10, v8 dst_sel:DWORD dst_unused:UNUSED_PAD src0_sel:DWORD src1_sel:WORD_1
	v_bfe_u32 v6, v8, 19, 4
	v_sub_u32_e32 v7, 29, v7
	v_and_b32_e32 v10, 7, v10
	v_cmp_eq_u16_e32 vcc, 0, v3
	v_cndmask_b32_e32 v2, v2, v10, vcc
	v_cndmask_b32_e32 v3, v6, v7, vcc
	v_lshlrev_b32_e32 v6, 8, v8
	v_mov_b32_e32 v7, 0x3b800000
	v_lshlrev_b32_e32 v2, 20, v2
	v_and_b32_e32 v6, 0x80000000, v6
	v_lshl_add_u32 v3, v3, 23, v7
	v_or3_b32 v2, v6, v3, v2
.LBB37_1492:
	s_or_b64 exec, exec, s[6:7]
	s_movk_i32 s4, 0xff
	v_and_b32_sdwa v3, v4, s4 dst_sel:DWORD dst_unused:UNUSED_PAD src0_sel:WORD_1 src1_sel:DWORD
	s_movk_i32 s4, 0x7f
	v_cmp_lt_i16_e32 vcc, s4, v3
	s_mov_b64 s[4:5], 0
                                        ; implicit-def: $sgpr10
	s_and_saveexec_b64 s[6:7], vcc
	s_xor_b64 s[6:7], exec, s[6:7]
	s_cbranch_execnz .LBB37_3541
; %bb.1493:
	s_or_saveexec_b64 s[6:7], s[6:7]
	v_mov_b32_e32 v6, s10
	s_xor_b64 exec, exec, s[6:7]
	s_cbranch_execnz .LBB37_3544
.LBB37_1494:
	s_or_b64 exec, exec, s[6:7]
	s_and_saveexec_b64 s[6:7], s[4:5]
	s_cbranch_execz .LBB37_1496
.LBB37_1495:
	v_bfe_u32 v3, v4, 16, 3
	v_ffbh_u32_e32 v10, v3
	v_min_u32_e32 v10, 32, v10
	v_lshrrev_b32_e32 v6, 19, v4
	v_subrev_u32_e32 v11, 28, v10
	v_and_b32_e32 v6, 15, v6
	v_lshlrev_b32_sdwa v11, v11, v4 dst_sel:DWORD dst_unused:UNUSED_PAD src0_sel:DWORD src1_sel:WORD_1
	v_bfe_u32 v7, v4, 19, 4
	v_sub_u32_e32 v10, 29, v10
	v_and_b32_e32 v11, 7, v11
	v_cmp_eq_u16_e32 vcc, 0, v6
	v_cndmask_b32_e32 v3, v3, v11, vcc
	v_cndmask_b32_e32 v6, v7, v10, vcc
	v_lshlrev_b32_e32 v7, 8, v4
	v_mov_b32_e32 v10, 0x3b800000
	v_lshlrev_b32_e32 v3, 20, v3
	v_and_b32_e32 v7, 0x80000000, v7
	v_lshl_add_u32 v6, v6, 23, v10
	v_or3_b32 v6, v7, v6, v3
.LBB37_1496:
	s_or_b64 exec, exec, s[6:7]
	s_nop 0
	v_mfma_f32_16x16x4f32 a[0:3], v2, v6, a[0:3]
	s_movk_i32 s4, 0x7f
	v_cmp_gt_i16_sdwa s[6:7], v8, s4 src0_sel:BYTE_3 src1_sel:DWORD
	s_mov_b64 s[4:5], 0
                                        ; implicit-def: $sgpr10
	s_and_saveexec_b64 s[8:9], s[6:7]
	s_xor_b64 s[6:7], exec, s[8:9]
	s_cbranch_execnz .LBB37_3545
; %bb.1497:
	s_or_saveexec_b64 s[6:7], s[6:7]
	v_mov_b32_e32 v2, s10
	s_xor_b64 exec, exec, s[6:7]
	s_cbranch_execnz .LBB37_3548
.LBB37_1498:
	s_or_b64 exec, exec, s[6:7]
	s_and_saveexec_b64 s[6:7], s[4:5]
	s_cbranch_execz .LBB37_1500
.LBB37_1499:
	v_bfe_u32 v2, v8, 24, 3
	v_ffbh_u32_e32 v10, v2
	v_min_u32_e32 v10, 32, v10
	v_lshrrev_b32_e32 v6, 27, v8
	v_subrev_u32_e32 v11, 28, v10
	v_and_b32_e32 v3, 0x80000000, v8
	v_and_b32_e32 v6, 15, v6
	v_bfe_u32 v7, v8, 27, 4
	v_lshlrev_b32_sdwa v8, v11, v8 dst_sel:DWORD dst_unused:UNUSED_PAD src0_sel:DWORD src1_sel:BYTE_3
	v_sub_u32_e32 v10, 29, v10
	v_and_b32_e32 v8, 7, v8
	v_cmp_eq_u16_e32 vcc, 0, v6
	v_cndmask_b32_e32 v2, v2, v8, vcc
	v_cndmask_b32_e32 v6, v7, v10, vcc
	v_mov_b32_e32 v7, 0x3b800000
	v_lshlrev_b32_e32 v2, 20, v2
	v_lshl_add_u32 v6, v6, 23, v7
	v_or3_b32 v2, v3, v6, v2
.LBB37_1500:
	s_or_b64 exec, exec, s[6:7]
	s_movk_i32 s4, 0x7f
	v_cmp_gt_i16_sdwa s[6:7], v4, s4 src0_sel:BYTE_3 src1_sel:DWORD
	s_mov_b64 s[4:5], 0
                                        ; implicit-def: $sgpr10
	s_and_saveexec_b64 s[8:9], s[6:7]
	s_xor_b64 s[6:7], exec, s[8:9]
	s_cbranch_execnz .LBB37_3549
; %bb.1501:
	s_or_saveexec_b64 s[6:7], s[6:7]
	v_mov_b32_e32 v3, s10
	s_xor_b64 exec, exec, s[6:7]
	s_cbranch_execnz .LBB37_3552
.LBB37_1502:
	s_or_b64 exec, exec, s[6:7]
	s_and_saveexec_b64 s[6:7], s[4:5]
	s_cbranch_execz .LBB37_1504
.LBB37_1503:
	v_bfe_u32 v3, v4, 24, 3
	v_ffbh_u32_e32 v10, v3
	v_min_u32_e32 v10, 32, v10
	v_lshrrev_b32_e32 v7, 27, v4
	v_subrev_u32_e32 v11, 28, v10
	v_and_b32_e32 v6, 0x80000000, v4
	v_and_b32_e32 v7, 15, v7
	v_bfe_u32 v8, v4, 27, 4
	v_lshlrev_b32_sdwa v4, v11, v4 dst_sel:DWORD dst_unused:UNUSED_PAD src0_sel:DWORD src1_sel:BYTE_3
	v_sub_u32_e32 v10, 29, v10
	v_and_b32_e32 v4, 7, v4
	v_cmp_eq_u16_e32 vcc, 0, v7
	v_cndmask_b32_e32 v3, v3, v4, vcc
	v_cndmask_b32_e32 v4, v8, v10, vcc
	v_mov_b32_e32 v7, 0x3b800000
	v_lshlrev_b32_e32 v3, 20, v3
	v_lshl_add_u32 v4, v4, 23, v7
	v_or3_b32 v3, v6, v4, v3
.LBB37_1504:
	s_or_b64 exec, exec, s[6:7]
	s_nop 0
	v_mfma_f32_16x16x4f32 a[0:3], v2, v3, a[0:3]
	s_movk_i32 s4, 0x7f
	v_cmp_gt_i16_sdwa s[6:7], v9, s4 src0_sel:BYTE_0 src1_sel:DWORD
	s_mov_b64 s[4:5], 0
                                        ; implicit-def: $sgpr10
	s_and_saveexec_b64 s[8:9], s[6:7]
	s_xor_b64 s[6:7], exec, s[8:9]
	s_cbranch_execnz .LBB37_3553
; %bb.1505:
	s_or_saveexec_b64 s[6:7], s[6:7]
	v_mov_b32_e32 v2, s10
	s_xor_b64 exec, exec, s[6:7]
	s_cbranch_execnz .LBB37_3556
.LBB37_1506:
	s_or_b64 exec, exec, s[6:7]
	s_and_saveexec_b64 s[6:7], s[4:5]
	s_cbranch_execz .LBB37_1508
.LBB37_1507:
	v_mov_b32_e32 v2, 8
	v_and_b32_e32 v3, 7, v9
	v_lshrrev_b32_sdwa v2, v2, v9 dst_sel:BYTE_1 dst_unused:UNUSED_PAD src0_sel:DWORD src1_sel:DWORD
	v_ffbh_u32_e32 v4, v3
	v_or_b32_sdwa v2, v9, v2 dst_sel:DWORD dst_unused:UNUSED_PAD src0_sel:BYTE_0 src1_sel:DWORD
	v_min_u32_e32 v4, 32, v4
	v_lshrrev_b16_e32 v2, 3, v2
	v_subrev_u32_e32 v6, 28, v4
	v_and_b32_e32 v2, 15, v2
	v_lshlrev_b32_e32 v6, v6, v9
	v_sub_u32_e32 v4, 29, v4
	v_and_b32_e32 v6, 7, v6
	v_cmp_eq_u16_e32 vcc, 0, v2
	v_cndmask_b32_e32 v3, v3, v6, vcc
	v_cndmask_b32_e32 v2, v2, v4, vcc
	v_lshlrev_b32_e32 v4, 24, v9
	v_mov_b32_e32 v6, 0x3b800000
	v_lshlrev_b32_e32 v3, 20, v3
	v_and_b32_e32 v4, 0x80000000, v4
	v_lshl_add_u32 v2, v2, 23, v6
	v_or3_b32 v2, v4, v2, v3
.LBB37_1508:
	s_or_b64 exec, exec, s[6:7]
	s_movk_i32 s4, 0x7f
	v_cmp_gt_i16_sdwa s[6:7], v5, s4 src0_sel:BYTE_0 src1_sel:DWORD
	s_mov_b64 s[4:5], 0
                                        ; implicit-def: $sgpr10
	s_and_saveexec_b64 s[8:9], s[6:7]
	s_xor_b64 s[6:7], exec, s[8:9]
	s_cbranch_execnz .LBB37_3557
; %bb.1509:
	s_or_saveexec_b64 s[6:7], s[6:7]
	v_mov_b32_e32 v3, s10
	s_xor_b64 exec, exec, s[6:7]
	s_cbranch_execnz .LBB37_3560
.LBB37_1510:
	s_or_b64 exec, exec, s[6:7]
	s_and_saveexec_b64 s[6:7], s[4:5]
	s_cbranch_execz .LBB37_1512
.LBB37_1511:
	v_mov_b32_e32 v3, 8
	v_and_b32_e32 v4, 7, v5
	v_lshrrev_b32_sdwa v3, v3, v5 dst_sel:BYTE_1 dst_unused:UNUSED_PAD src0_sel:DWORD src1_sel:DWORD
	v_ffbh_u32_e32 v6, v4
	v_or_b32_sdwa v3, v5, v3 dst_sel:DWORD dst_unused:UNUSED_PAD src0_sel:BYTE_0 src1_sel:DWORD
	v_min_u32_e32 v6, 32, v6
	v_lshrrev_b16_e32 v3, 3, v3
	v_subrev_u32_e32 v7, 28, v6
	v_and_b32_e32 v3, 15, v3
	v_lshlrev_b32_e32 v7, v7, v5
	v_sub_u32_e32 v6, 29, v6
	v_and_b32_e32 v7, 7, v7
	v_cmp_eq_u16_e32 vcc, 0, v3
	v_cndmask_b32_e32 v4, v4, v7, vcc
	v_cndmask_b32_e32 v3, v3, v6, vcc
	v_lshlrev_b32_e32 v6, 24, v5
	v_mov_b32_e32 v7, 0x3b800000
	v_lshlrev_b32_e32 v4, 20, v4
	v_and_b32_e32 v6, 0x80000000, v6
	v_lshl_add_u32 v3, v3, 23, v7
	v_or3_b32 v3, v6, v3, v4
.LBB37_1512:
	s_or_b64 exec, exec, s[6:7]
	s_nop 0
	v_mfma_f32_16x16x4f32 a[0:3], v2, v3, a[0:3]
	v_lshrrev_b32_e32 v3, 8, v9
	s_movk_i32 s4, 0x7f
	v_cmp_gt_i16_sdwa s[6:7], v3, s4 src0_sel:BYTE_0 src1_sel:DWORD
	s_mov_b64 s[4:5], 0
                                        ; implicit-def: $sgpr10
	s_and_saveexec_b64 s[8:9], s[6:7]
	s_xor_b64 s[6:7], exec, s[8:9]
	s_cbranch_execnz .LBB37_3561
; %bb.1513:
	s_or_saveexec_b64 s[6:7], s[6:7]
	v_mov_b32_e32 v2, s10
	s_xor_b64 exec, exec, s[6:7]
	s_cbranch_execnz .LBB37_3564
.LBB37_1514:
	s_or_b64 exec, exec, s[6:7]
	s_and_saveexec_b64 s[6:7], s[4:5]
	s_cbranch_execz .LBB37_1516
.LBB37_1515:
	v_bfe_u32 v2, v9, 8, 3
	v_ffbh_u32_e32 v6, v2
	v_min_u32_e32 v6, 32, v6
	v_lshrrev_b16_e32 v4, 3, v3
	v_subrev_u32_e32 v7, 28, v6
	v_and_b32_e32 v4, 15, v4
	v_lshlrev_b32_e32 v3, v7, v3
	v_sub_u32_e32 v6, 29, v6
	v_and_b32_e32 v3, 7, v3
	v_cmp_eq_u16_e32 vcc, 0, v4
	v_cndmask_b32_e32 v2, v2, v3, vcc
	v_cndmask_b32_e32 v3, v4, v6, vcc
	v_lshlrev_b32_e32 v4, 16, v9
	v_mov_b32_e32 v6, 0x3b800000
	v_lshlrev_b32_e32 v2, 20, v2
	v_and_b32_e32 v4, 0x80000000, v4
	v_lshl_add_u32 v3, v3, 23, v6
	v_or3_b32 v2, v4, v3, v2
.LBB37_1516:
	s_or_b64 exec, exec, s[6:7]
	v_lshrrev_b32_e32 v3, 8, v5
	s_movk_i32 s4, 0x7f
	v_cmp_gt_i16_sdwa s[6:7], v3, s4 src0_sel:BYTE_0 src1_sel:DWORD
	s_mov_b64 s[4:5], 0
                                        ; implicit-def: $sgpr10
	s_and_saveexec_b64 s[8:9], s[6:7]
	s_xor_b64 s[6:7], exec, s[8:9]
	s_cbranch_execnz .LBB37_3565
; %bb.1517:
	s_or_saveexec_b64 s[6:7], s[6:7]
	v_mov_b32_e32 v4, s10
	s_xor_b64 exec, exec, s[6:7]
	s_cbranch_execnz .LBB37_3568
.LBB37_1518:
	s_or_b64 exec, exec, s[6:7]
	s_and_saveexec_b64 s[6:7], s[4:5]
	s_cbranch_execz .LBB37_1520
.LBB37_1519:
	v_bfe_u32 v4, v5, 8, 3
	v_ffbh_u32_e32 v7, v4
	v_min_u32_e32 v7, 32, v7
	v_lshrrev_b16_e32 v6, 3, v3
	v_subrev_u32_e32 v8, 28, v7
	v_and_b32_e32 v6, 15, v6
	v_lshlrev_b32_e32 v3, v8, v3
	v_sub_u32_e32 v7, 29, v7
	v_and_b32_e32 v3, 7, v3
	v_cmp_eq_u16_e32 vcc, 0, v6
	v_cndmask_b32_e32 v3, v4, v3, vcc
	v_cndmask_b32_e32 v4, v6, v7, vcc
	v_lshlrev_b32_e32 v6, 16, v5
	v_mov_b32_e32 v7, 0x3b800000
	v_lshlrev_b32_e32 v3, 20, v3
	v_and_b32_e32 v6, 0x80000000, v6
	v_lshl_add_u32 v4, v4, 23, v7
	v_or3_b32 v4, v6, v4, v3
.LBB37_1520:
	s_or_b64 exec, exec, s[6:7]
	s_nop 0
	v_mfma_f32_16x16x4f32 a[0:3], v2, v4, a[0:3]
	s_movk_i32 s4, 0xff
	v_and_b32_sdwa v3, v9, s4 dst_sel:DWORD dst_unused:UNUSED_PAD src0_sel:WORD_1 src1_sel:DWORD
	s_movk_i32 s4, 0x7f
	v_cmp_lt_i16_e32 vcc, s4, v3
	s_mov_b64 s[4:5], 0
                                        ; implicit-def: $sgpr10
	s_and_saveexec_b64 s[6:7], vcc
	s_xor_b64 s[6:7], exec, s[6:7]
	s_cbranch_execnz .LBB37_3569
; %bb.1521:
	s_or_saveexec_b64 s[6:7], s[6:7]
	v_mov_b32_e32 v2, s10
	s_xor_b64 exec, exec, s[6:7]
	s_cbranch_execnz .LBB37_3572
.LBB37_1522:
	s_or_b64 exec, exec, s[6:7]
	s_and_saveexec_b64 s[6:7], s[4:5]
	s_cbranch_execz .LBB37_1524
.LBB37_1523:
	v_bfe_u32 v2, v9, 16, 3
	v_ffbh_u32_e32 v6, v2
	v_min_u32_e32 v6, 32, v6
	v_lshrrev_b32_e32 v3, 19, v9
	v_subrev_u32_e32 v7, 28, v6
	v_and_b32_e32 v3, 15, v3
	v_lshlrev_b32_sdwa v7, v7, v9 dst_sel:DWORD dst_unused:UNUSED_PAD src0_sel:DWORD src1_sel:WORD_1
	v_bfe_u32 v4, v9, 19, 4
	v_sub_u32_e32 v6, 29, v6
	v_and_b32_e32 v7, 7, v7
	v_cmp_eq_u16_e32 vcc, 0, v3
	v_cndmask_b32_e32 v2, v2, v7, vcc
	v_cndmask_b32_e32 v3, v4, v6, vcc
	v_lshlrev_b32_e32 v4, 8, v9
	v_mov_b32_e32 v6, 0x3b800000
	v_lshlrev_b32_e32 v2, 20, v2
	v_and_b32_e32 v4, 0x80000000, v4
	v_lshl_add_u32 v3, v3, 23, v6
	v_or3_b32 v2, v4, v3, v2
.LBB37_1524:
	s_or_b64 exec, exec, s[6:7]
	s_movk_i32 s4, 0xff
	v_and_b32_sdwa v3, v5, s4 dst_sel:DWORD dst_unused:UNUSED_PAD src0_sel:WORD_1 src1_sel:DWORD
	s_movk_i32 s4, 0x7f
	v_cmp_lt_i16_e32 vcc, s4, v3
	s_mov_b64 s[4:5], 0
                                        ; implicit-def: $sgpr10
	s_and_saveexec_b64 s[6:7], vcc
	s_xor_b64 s[6:7], exec, s[6:7]
	s_cbranch_execnz .LBB37_3573
; %bb.1525:
	s_or_saveexec_b64 s[6:7], s[6:7]
	v_mov_b32_e32 v4, s10
	s_xor_b64 exec, exec, s[6:7]
	s_cbranch_execnz .LBB37_3576
.LBB37_1526:
	s_or_b64 exec, exec, s[6:7]
	s_and_saveexec_b64 s[6:7], s[4:5]
	s_cbranch_execz .LBB37_1528
.LBB37_1527:
	v_bfe_u32 v3, v5, 16, 3
	v_ffbh_u32_e32 v7, v3
	v_min_u32_e32 v7, 32, v7
	v_lshrrev_b32_e32 v4, 19, v5
	v_subrev_u32_e32 v8, 28, v7
	v_and_b32_e32 v4, 15, v4
	v_lshlrev_b32_sdwa v8, v8, v5 dst_sel:DWORD dst_unused:UNUSED_PAD src0_sel:DWORD src1_sel:WORD_1
	v_bfe_u32 v6, v5, 19, 4
	v_sub_u32_e32 v7, 29, v7
	v_and_b32_e32 v8, 7, v8
	v_cmp_eq_u16_e32 vcc, 0, v4
	v_cndmask_b32_e32 v3, v3, v8, vcc
	v_cndmask_b32_e32 v4, v6, v7, vcc
	v_lshlrev_b32_e32 v6, 8, v5
	v_mov_b32_e32 v7, 0x3b800000
	v_lshlrev_b32_e32 v3, 20, v3
	v_and_b32_e32 v6, 0x80000000, v6
	v_lshl_add_u32 v4, v4, 23, v7
	v_or3_b32 v4, v6, v4, v3
.LBB37_1528:
	s_or_b64 exec, exec, s[6:7]
	s_nop 0
	v_mfma_f32_16x16x4f32 a[0:3], v2, v4, a[0:3]
	s_movk_i32 s4, 0x7f
	v_cmp_gt_i16_sdwa s[6:7], v9, s4 src0_sel:BYTE_3 src1_sel:DWORD
	s_mov_b64 s[4:5], 0
                                        ; implicit-def: $sgpr10
	s_and_saveexec_b64 s[8:9], s[6:7]
	s_xor_b64 s[6:7], exec, s[8:9]
	s_cbranch_execnz .LBB37_3577
; %bb.1529:
	s_or_saveexec_b64 s[6:7], s[6:7]
	v_mov_b32_e32 v2, s10
	s_xor_b64 exec, exec, s[6:7]
	s_cbranch_execnz .LBB37_3580
.LBB37_1530:
	s_or_b64 exec, exec, s[6:7]
	s_and_saveexec_b64 s[6:7], s[4:5]
	s_cbranch_execz .LBB37_1532
.LBB37_1531:
	v_bfe_u32 v2, v9, 24, 3
	v_ffbh_u32_e32 v7, v2
	v_min_u32_e32 v7, 32, v7
	v_lshrrev_b32_e32 v4, 27, v9
	v_subrev_u32_e32 v8, 28, v7
	v_and_b32_e32 v4, 15, v4
	v_lshlrev_b32_sdwa v8, v8, v9 dst_sel:DWORD dst_unused:UNUSED_PAD src0_sel:DWORD src1_sel:BYTE_3
	v_bfe_u32 v6, v9, 27, 4
	v_sub_u32_e32 v7, 29, v7
	v_and_b32_e32 v8, 7, v8
	v_cmp_eq_u16_e32 vcc, 0, v4
	v_cndmask_b32_e32 v2, v2, v8, vcc
	v_cndmask_b32_e32 v4, v6, v7, vcc
	v_mov_b32_e32 v6, 0x3b800000
	v_and_b32_e32 v3, 0x80000000, v9
	v_lshlrev_b32_e32 v2, 20, v2
	v_lshl_add_u32 v4, v4, 23, v6
	v_or3_b32 v2, v3, v4, v2
.LBB37_1532:
	s_or_b64 exec, exec, s[6:7]
	s_movk_i32 s4, 0x7f
	v_cmp_gt_i16_sdwa s[6:7], v5, s4 src0_sel:BYTE_3 src1_sel:DWORD
	s_mov_b64 s[4:5], 0
                                        ; implicit-def: $sgpr10
	s_and_saveexec_b64 s[8:9], s[6:7]
	s_xor_b64 s[6:7], exec, s[8:9]
	s_cbranch_execnz .LBB37_3581
; %bb.1533:
	s_or_saveexec_b64 s[6:7], s[6:7]
	v_mov_b32_e32 v3, s10
	s_xor_b64 exec, exec, s[6:7]
	s_cbranch_execnz .LBB37_3584
.LBB37_1534:
	s_or_b64 exec, exec, s[6:7]
	s_and_saveexec_b64 s[6:7], s[4:5]
	s_cbranch_execz .LBB37_1536
.LBB37_1535:
	v_bfe_u32 v3, v5, 24, 3
	v_ffbh_u32_e32 v8, v3
	v_min_u32_e32 v8, 32, v8
	v_lshrrev_b32_e32 v6, 27, v5
	v_subrev_u32_e32 v9, 28, v8
	v_and_b32_e32 v4, 0x80000000, v5
	v_and_b32_e32 v6, 15, v6
	v_bfe_u32 v7, v5, 27, 4
	v_lshlrev_b32_sdwa v5, v9, v5 dst_sel:DWORD dst_unused:UNUSED_PAD src0_sel:DWORD src1_sel:BYTE_3
	v_sub_u32_e32 v8, 29, v8
	v_and_b32_e32 v5, 7, v5
	v_cmp_eq_u16_e32 vcc, 0, v6
	v_cndmask_b32_e32 v3, v3, v5, vcc
	v_cndmask_b32_e32 v5, v7, v8, vcc
	v_mov_b32_e32 v6, 0x3b800000
	v_lshlrev_b32_e32 v3, 20, v3
	v_lshl_add_u32 v5, v5, 23, v6
	v_or3_b32 v3, v4, v5, v3
.LBB37_1536:
	s_or_b64 exec, exec, s[6:7]
	s_nop 0
	v_mfma_f32_16x16x4f32 a[0:3], v2, v3, a[0:3]
	s_movk_i32 s4, 0x7f
                                        ; implicit-def: $sgpr10
	s_nop 7
	s_nop 1
	flat_store_dwordx4 v[18:19], a[0:3] offset:208
	flat_load_dwordx4 v[20:23], v[0:1] offset:16
	s_nop 0
	flat_load_dwordx2 v[18:19], v[0:1] offset:32
	s_waitcnt vmcnt(0) lgkmcnt(0)
	flat_load_dwordx4 v[14:17], v[20:21] offset:32
	flat_load_dwordx4 v[6:9], v[20:21] offset:48
	;; [unrolled: 1-line block ×4, first 2 shown]
	s_waitcnt vmcnt(0) lgkmcnt(0)
	v_cmp_gt_i16_sdwa s[6:7], v14, s4 src0_sel:BYTE_0 src1_sel:DWORD
	s_mov_b64 s[4:5], 0
	s_and_saveexec_b64 s[8:9], s[6:7]
	s_xor_b64 s[6:7], exec, s[8:9]
	s_cbranch_execnz .LBB37_3585
; %bb.1537:
	s_or_saveexec_b64 s[6:7], s[6:7]
	v_mov_b32_e32 v20, s10
	s_xor_b64 exec, exec, s[6:7]
	s_cbranch_execnz .LBB37_3588
.LBB37_1538:
	s_or_b64 exec, exec, s[6:7]
	s_and_saveexec_b64 s[6:7], s[4:5]
	s_cbranch_execz .LBB37_1540
.LBB37_1539:
	v_and_b32_e32 v20, 7, v14
	v_ffbh_u32_e32 v22, v20
	v_min_u32_e32 v22, 32, v22
	v_lshrrev_b16_e32 v21, 3, v14
	v_subrev_u32_e32 v23, 28, v22
	v_and_b32_e32 v21, 15, v21
	v_lshlrev_b32_e32 v23, v23, v14
	v_sub_u32_e32 v22, 29, v22
	v_and_b32_e32 v23, 7, v23
	v_cmp_eq_u16_e32 vcc, 0, v21
	v_cndmask_b32_e32 v20, v20, v23, vcc
	v_cndmask_b32_e32 v21, v21, v22, vcc
	v_lshlrev_b32_e32 v22, 24, v14
	v_mov_b32_e32 v23, 0x3b800000
	v_lshlrev_b32_e32 v20, 20, v20
	v_and_b32_e32 v22, 0x80000000, v22
	v_lshl_add_u32 v21, v21, 23, v23
	v_or3_b32 v20, v22, v21, v20
.LBB37_1540:
	s_or_b64 exec, exec, s[6:7]
	s_movk_i32 s4, 0x7f
	v_cmp_gt_i16_sdwa s[6:7], v10, s4 src0_sel:BYTE_0 src1_sel:DWORD
	s_mov_b64 s[4:5], 0
                                        ; implicit-def: $sgpr10
	s_and_saveexec_b64 s[8:9], s[6:7]
	s_xor_b64 s[6:7], exec, s[8:9]
	s_cbranch_execnz .LBB37_3589
; %bb.1541:
	s_or_saveexec_b64 s[6:7], s[6:7]
	v_mov_b32_e32 v21, s10
	s_xor_b64 exec, exec, s[6:7]
	s_cbranch_execnz .LBB37_3592
.LBB37_1542:
	s_or_b64 exec, exec, s[6:7]
	s_and_saveexec_b64 s[6:7], s[4:5]
	s_cbranch_execz .LBB37_1544
.LBB37_1543:
	v_and_b32_e32 v21, 7, v10
	v_ffbh_u32_e32 v23, v21
	v_min_u32_e32 v23, 32, v23
	v_lshrrev_b16_e32 v22, 3, v10
	v_subrev_u32_e32 v24, 28, v23
	v_and_b32_e32 v22, 15, v22
	v_lshlrev_b32_e32 v24, v24, v10
	v_sub_u32_e32 v23, 29, v23
	v_and_b32_e32 v24, 7, v24
	v_cmp_eq_u16_e32 vcc, 0, v22
	v_cndmask_b32_e32 v21, v21, v24, vcc
	v_cndmask_b32_e32 v22, v22, v23, vcc
	v_lshlrev_b32_e32 v23, 24, v10
	v_mov_b32_e32 v24, 0x3b800000
	v_lshlrev_b32_e32 v21, 20, v21
	v_and_b32_e32 v23, 0x80000000, v23
	v_lshl_add_u32 v22, v22, 23, v24
	v_or3_b32 v21, v23, v22, v21
.LBB37_1544:
	s_or_b64 exec, exec, s[6:7]
	flat_load_dwordx4 a[0:3], v[18:19] offset:224
	s_movk_i32 s4, 0x7f
                                        ; implicit-def: $sgpr10
	s_waitcnt vmcnt(0) lgkmcnt(0)
	v_mfma_f32_16x16x4f32 a[0:3], v20, v21, a[0:3]
	v_lshrrev_b32_e32 v21, 8, v14
	v_cmp_gt_i16_sdwa s[6:7], v21, s4 src0_sel:BYTE_0 src1_sel:DWORD
	s_mov_b64 s[4:5], 0
	s_and_saveexec_b64 s[8:9], s[6:7]
	s_xor_b64 s[6:7], exec, s[8:9]
	s_cbranch_execnz .LBB37_3593
; %bb.1545:
	s_or_saveexec_b64 s[6:7], s[6:7]
	v_mov_b32_e32 v20, s10
	s_xor_b64 exec, exec, s[6:7]
	s_cbranch_execnz .LBB37_3596
.LBB37_1546:
	s_or_b64 exec, exec, s[6:7]
	s_and_saveexec_b64 s[6:7], s[4:5]
	s_cbranch_execz .LBB37_1548
.LBB37_1547:
	v_bfe_u32 v20, v14, 8, 3
	v_ffbh_u32_e32 v23, v20
	v_min_u32_e32 v23, 32, v23
	v_lshrrev_b16_e32 v22, 3, v21
	v_subrev_u32_e32 v24, 28, v23
	v_and_b32_e32 v22, 15, v22
	v_lshlrev_b32_e32 v21, v24, v21
	v_sub_u32_e32 v23, 29, v23
	v_and_b32_e32 v21, 7, v21
	v_cmp_eq_u16_e32 vcc, 0, v22
	v_cndmask_b32_e32 v20, v20, v21, vcc
	v_cndmask_b32_e32 v21, v22, v23, vcc
	v_lshlrev_b32_e32 v22, 16, v14
	v_mov_b32_e32 v23, 0x3b800000
	v_lshlrev_b32_e32 v20, 20, v20
	v_and_b32_e32 v22, 0x80000000, v22
	v_lshl_add_u32 v21, v21, 23, v23
	v_or3_b32 v20, v22, v21, v20
.LBB37_1548:
	s_or_b64 exec, exec, s[6:7]
	v_lshrrev_b32_e32 v21, 8, v10
	s_movk_i32 s4, 0x7f
	v_cmp_gt_i16_sdwa s[6:7], v21, s4 src0_sel:BYTE_0 src1_sel:DWORD
	s_mov_b64 s[4:5], 0
                                        ; implicit-def: $sgpr10
	s_and_saveexec_b64 s[8:9], s[6:7]
	s_xor_b64 s[6:7], exec, s[8:9]
	s_cbranch_execnz .LBB37_3597
; %bb.1549:
	s_or_saveexec_b64 s[6:7], s[6:7]
	v_mov_b32_e32 v22, s10
	s_xor_b64 exec, exec, s[6:7]
	s_cbranch_execnz .LBB37_3600
.LBB37_1550:
	s_or_b64 exec, exec, s[6:7]
	s_and_saveexec_b64 s[6:7], s[4:5]
	s_cbranch_execz .LBB37_1552
.LBB37_1551:
	v_bfe_u32 v22, v10, 8, 3
	v_ffbh_u32_e32 v24, v22
	v_min_u32_e32 v24, 32, v24
	v_lshrrev_b16_e32 v23, 3, v21
	v_subrev_u32_e32 v25, 28, v24
	v_and_b32_e32 v23, 15, v23
	v_lshlrev_b32_e32 v21, v25, v21
	v_sub_u32_e32 v24, 29, v24
	v_and_b32_e32 v21, 7, v21
	v_cmp_eq_u16_e32 vcc, 0, v23
	v_cndmask_b32_e32 v21, v22, v21, vcc
	v_cndmask_b32_e32 v22, v23, v24, vcc
	v_lshlrev_b32_e32 v23, 16, v10
	v_mov_b32_e32 v24, 0x3b800000
	v_lshlrev_b32_e32 v21, 20, v21
	v_and_b32_e32 v23, 0x80000000, v23
	v_lshl_add_u32 v22, v22, 23, v24
	v_or3_b32 v22, v23, v22, v21
.LBB37_1552:
	s_or_b64 exec, exec, s[6:7]
	s_nop 0
	v_mfma_f32_16x16x4f32 a[0:3], v20, v22, a[0:3]
	s_movk_i32 s4, 0xff
	v_and_b32_sdwa v21, v14, s4 dst_sel:DWORD dst_unused:UNUSED_PAD src0_sel:WORD_1 src1_sel:DWORD
	s_movk_i32 s4, 0x7f
	v_cmp_lt_i16_e32 vcc, s4, v21
	s_mov_b64 s[4:5], 0
                                        ; implicit-def: $sgpr10
	s_and_saveexec_b64 s[6:7], vcc
	s_xor_b64 s[6:7], exec, s[6:7]
	s_cbranch_execnz .LBB37_3601
; %bb.1553:
	s_or_saveexec_b64 s[6:7], s[6:7]
	v_mov_b32_e32 v20, s10
	s_xor_b64 exec, exec, s[6:7]
	s_cbranch_execnz .LBB37_3604
.LBB37_1554:
	s_or_b64 exec, exec, s[6:7]
	s_and_saveexec_b64 s[6:7], s[4:5]
	s_cbranch_execz .LBB37_1556
.LBB37_1555:
	v_bfe_u32 v20, v14, 16, 3
	v_ffbh_u32_e32 v23, v20
	v_min_u32_e32 v23, 32, v23
	v_lshrrev_b32_e32 v21, 19, v14
	v_subrev_u32_e32 v24, 28, v23
	v_and_b32_e32 v21, 15, v21
	v_lshlrev_b32_sdwa v24, v24, v14 dst_sel:DWORD dst_unused:UNUSED_PAD src0_sel:DWORD src1_sel:WORD_1
	v_bfe_u32 v22, v14, 19, 4
	v_sub_u32_e32 v23, 29, v23
	v_and_b32_e32 v24, 7, v24
	v_cmp_eq_u16_e32 vcc, 0, v21
	v_cndmask_b32_e32 v20, v20, v24, vcc
	v_cndmask_b32_e32 v21, v22, v23, vcc
	v_lshlrev_b32_e32 v22, 8, v14
	v_mov_b32_e32 v23, 0x3b800000
	v_lshlrev_b32_e32 v20, 20, v20
	v_and_b32_e32 v22, 0x80000000, v22
	v_lshl_add_u32 v21, v21, 23, v23
	v_or3_b32 v20, v22, v21, v20
.LBB37_1556:
	s_or_b64 exec, exec, s[6:7]
	s_movk_i32 s4, 0xff
	v_and_b32_sdwa v21, v10, s4 dst_sel:DWORD dst_unused:UNUSED_PAD src0_sel:WORD_1 src1_sel:DWORD
	s_movk_i32 s4, 0x7f
	v_cmp_lt_i16_e32 vcc, s4, v21
	s_mov_b64 s[4:5], 0
                                        ; implicit-def: $sgpr10
	s_and_saveexec_b64 s[6:7], vcc
	s_xor_b64 s[6:7], exec, s[6:7]
	s_cbranch_execnz .LBB37_3605
; %bb.1557:
	s_or_saveexec_b64 s[6:7], s[6:7]
	v_mov_b32_e32 v22, s10
	s_xor_b64 exec, exec, s[6:7]
	s_cbranch_execnz .LBB37_3608
.LBB37_1558:
	s_or_b64 exec, exec, s[6:7]
	s_and_saveexec_b64 s[6:7], s[4:5]
	s_cbranch_execz .LBB37_1560
.LBB37_1559:
	v_bfe_u32 v21, v10, 16, 3
	v_ffbh_u32_e32 v24, v21
	v_min_u32_e32 v24, 32, v24
	v_lshrrev_b32_e32 v22, 19, v10
	v_subrev_u32_e32 v25, 28, v24
	v_and_b32_e32 v22, 15, v22
	v_lshlrev_b32_sdwa v25, v25, v10 dst_sel:DWORD dst_unused:UNUSED_PAD src0_sel:DWORD src1_sel:WORD_1
	v_bfe_u32 v23, v10, 19, 4
	v_sub_u32_e32 v24, 29, v24
	v_and_b32_e32 v25, 7, v25
	v_cmp_eq_u16_e32 vcc, 0, v22
	v_cndmask_b32_e32 v21, v21, v25, vcc
	v_cndmask_b32_e32 v22, v23, v24, vcc
	v_lshlrev_b32_e32 v23, 8, v10
	v_mov_b32_e32 v24, 0x3b800000
	v_lshlrev_b32_e32 v21, 20, v21
	v_and_b32_e32 v23, 0x80000000, v23
	v_lshl_add_u32 v22, v22, 23, v24
	v_or3_b32 v22, v23, v22, v21
.LBB37_1560:
	s_or_b64 exec, exec, s[6:7]
	s_nop 0
	v_mfma_f32_16x16x4f32 a[0:3], v20, v22, a[0:3]
	s_movk_i32 s4, 0x7f
	v_cmp_gt_i16_sdwa s[6:7], v14, s4 src0_sel:BYTE_3 src1_sel:DWORD
	s_mov_b64 s[4:5], 0
                                        ; implicit-def: $sgpr10
	s_and_saveexec_b64 s[8:9], s[6:7]
	s_xor_b64 s[6:7], exec, s[8:9]
	s_cbranch_execnz .LBB37_3609
; %bb.1561:
	s_or_saveexec_b64 s[6:7], s[6:7]
	v_mov_b32_e32 v20, s10
	s_xor_b64 exec, exec, s[6:7]
	s_cbranch_execnz .LBB37_3612
.LBB37_1562:
	s_or_b64 exec, exec, s[6:7]
	s_and_saveexec_b64 s[6:7], s[4:5]
	s_cbranch_execz .LBB37_1564
.LBB37_1563:
	v_bfe_u32 v20, v14, 24, 3
	v_ffbh_u32_e32 v24, v20
	v_min_u32_e32 v24, 32, v24
	v_lshrrev_b32_e32 v22, 27, v14
	v_subrev_u32_e32 v25, 28, v24
	v_and_b32_e32 v21, 0x80000000, v14
	v_and_b32_e32 v22, 15, v22
	v_bfe_u32 v23, v14, 27, 4
	v_lshlrev_b32_sdwa v14, v25, v14 dst_sel:DWORD dst_unused:UNUSED_PAD src0_sel:DWORD src1_sel:BYTE_3
	v_sub_u32_e32 v24, 29, v24
	v_and_b32_e32 v14, 7, v14
	v_cmp_eq_u16_e32 vcc, 0, v22
	v_cndmask_b32_e32 v14, v20, v14, vcc
	v_cndmask_b32_e32 v20, v23, v24, vcc
	v_mov_b32_e32 v22, 0x3b800000
	v_lshlrev_b32_e32 v14, 20, v14
	v_lshl_add_u32 v20, v20, 23, v22
	v_or3_b32 v20, v21, v20, v14
.LBB37_1564:
	s_or_b64 exec, exec, s[6:7]
	s_movk_i32 s4, 0x7f
	v_cmp_gt_i16_sdwa s[6:7], v10, s4 src0_sel:BYTE_3 src1_sel:DWORD
	s_mov_b64 s[4:5], 0
                                        ; implicit-def: $sgpr10
	s_and_saveexec_b64 s[8:9], s[6:7]
	s_xor_b64 s[6:7], exec, s[8:9]
	s_cbranch_execnz .LBB37_3613
; %bb.1565:
	s_or_saveexec_b64 s[6:7], s[6:7]
	v_mov_b32_e32 v14, s10
	s_xor_b64 exec, exec, s[6:7]
	s_cbranch_execnz .LBB37_3616
.LBB37_1566:
	s_or_b64 exec, exec, s[6:7]
	s_and_saveexec_b64 s[6:7], s[4:5]
	s_cbranch_execz .LBB37_1568
.LBB37_1567:
	v_bfe_u32 v14, v10, 24, 3
	v_ffbh_u32_e32 v24, v14
	v_min_u32_e32 v24, 32, v24
	v_lshrrev_b32_e32 v22, 27, v10
	v_subrev_u32_e32 v25, 28, v24
	v_and_b32_e32 v21, 0x80000000, v10
	v_and_b32_e32 v22, 15, v22
	v_bfe_u32 v23, v10, 27, 4
	v_lshlrev_b32_sdwa v10, v25, v10 dst_sel:DWORD dst_unused:UNUSED_PAD src0_sel:DWORD src1_sel:BYTE_3
	v_sub_u32_e32 v24, 29, v24
	v_and_b32_e32 v10, 7, v10
	v_cmp_eq_u16_e32 vcc, 0, v22
	v_cndmask_b32_e32 v10, v14, v10, vcc
	v_cndmask_b32_e32 v14, v23, v24, vcc
	v_mov_b32_e32 v22, 0x3b800000
	v_lshlrev_b32_e32 v10, 20, v10
	v_lshl_add_u32 v14, v14, 23, v22
	v_or3_b32 v14, v21, v14, v10
.LBB37_1568:
	s_or_b64 exec, exec, s[6:7]
	s_nop 0
	v_mfma_f32_16x16x4f32 a[0:3], v20, v14, a[0:3]
	s_movk_i32 s4, 0x7f
	v_cmp_gt_i16_sdwa s[6:7], v15, s4 src0_sel:BYTE_0 src1_sel:DWORD
	s_mov_b64 s[4:5], 0
                                        ; implicit-def: $sgpr10
	s_and_saveexec_b64 s[8:9], s[6:7]
	s_xor_b64 s[6:7], exec, s[8:9]
	s_cbranch_execnz .LBB37_3617
; %bb.1569:
	s_or_saveexec_b64 s[6:7], s[6:7]
	v_mov_b32_e32 v10, s10
	s_xor_b64 exec, exec, s[6:7]
	s_cbranch_execnz .LBB37_3620
.LBB37_1570:
	s_or_b64 exec, exec, s[6:7]
	s_and_saveexec_b64 s[6:7], s[4:5]
	s_cbranch_execz .LBB37_1572
.LBB37_1571:
	v_and_b32_e32 v10, 7, v15
	v_ffbh_u32_e32 v20, v10
	v_min_u32_e32 v20, 32, v20
	v_lshrrev_b16_e32 v14, 3, v15
	v_subrev_u32_e32 v21, 28, v20
	v_and_b32_e32 v14, 15, v14
	v_lshlrev_b32_e32 v21, v21, v15
	v_sub_u32_e32 v20, 29, v20
	v_and_b32_e32 v21, 7, v21
	v_cmp_eq_u16_e32 vcc, 0, v14
	v_cndmask_b32_e32 v10, v10, v21, vcc
	v_cndmask_b32_e32 v14, v14, v20, vcc
	v_lshlrev_b32_e32 v20, 24, v15
	v_mov_b32_e32 v21, 0x3b800000
	v_lshlrev_b32_e32 v10, 20, v10
	v_and_b32_e32 v20, 0x80000000, v20
	v_lshl_add_u32 v14, v14, 23, v21
	v_or3_b32 v10, v20, v14, v10
.LBB37_1572:
	s_or_b64 exec, exec, s[6:7]
	s_movk_i32 s4, 0x7f
	v_cmp_gt_i16_sdwa s[6:7], v11, s4 src0_sel:BYTE_0 src1_sel:DWORD
	s_mov_b64 s[4:5], 0
                                        ; implicit-def: $sgpr10
	s_and_saveexec_b64 s[8:9], s[6:7]
	s_xor_b64 s[6:7], exec, s[8:9]
	s_cbranch_execnz .LBB37_3621
; %bb.1573:
	s_or_saveexec_b64 s[6:7], s[6:7]
	v_mov_b32_e32 v14, s10
	s_xor_b64 exec, exec, s[6:7]
	s_cbranch_execnz .LBB37_3624
.LBB37_1574:
	s_or_b64 exec, exec, s[6:7]
	s_and_saveexec_b64 s[6:7], s[4:5]
	s_cbranch_execz .LBB37_1576
.LBB37_1575:
	v_and_b32_e32 v14, 7, v11
	v_ffbh_u32_e32 v21, v14
	v_min_u32_e32 v21, 32, v21
	v_lshrrev_b16_e32 v20, 3, v11
	v_subrev_u32_e32 v22, 28, v21
	v_and_b32_e32 v20, 15, v20
	v_lshlrev_b32_e32 v22, v22, v11
	v_sub_u32_e32 v21, 29, v21
	v_and_b32_e32 v22, 7, v22
	v_cmp_eq_u16_e32 vcc, 0, v20
	v_cndmask_b32_e32 v14, v14, v22, vcc
	v_cndmask_b32_e32 v20, v20, v21, vcc
	v_lshlrev_b32_e32 v21, 24, v11
	v_mov_b32_e32 v22, 0x3b800000
	v_lshlrev_b32_e32 v14, 20, v14
	v_and_b32_e32 v21, 0x80000000, v21
	v_lshl_add_u32 v20, v20, 23, v22
	v_or3_b32 v14, v21, v20, v14
.LBB37_1576:
	s_or_b64 exec, exec, s[6:7]
	s_nop 0
	v_mfma_f32_16x16x4f32 a[0:3], v10, v14, a[0:3]
	v_lshrrev_b32_e32 v14, 8, v15
	s_movk_i32 s4, 0x7f
	v_cmp_gt_i16_sdwa s[6:7], v14, s4 src0_sel:BYTE_0 src1_sel:DWORD
	s_mov_b64 s[4:5], 0
                                        ; implicit-def: $sgpr10
	s_and_saveexec_b64 s[8:9], s[6:7]
	s_xor_b64 s[6:7], exec, s[8:9]
	s_cbranch_execnz .LBB37_3625
; %bb.1577:
	s_or_saveexec_b64 s[6:7], s[6:7]
	v_mov_b32_e32 v10, s10
	s_xor_b64 exec, exec, s[6:7]
	s_cbranch_execnz .LBB37_3628
.LBB37_1578:
	s_or_b64 exec, exec, s[6:7]
	s_and_saveexec_b64 s[6:7], s[4:5]
	s_cbranch_execz .LBB37_1580
.LBB37_1579:
	v_bfe_u32 v10, v15, 8, 3
	v_ffbh_u32_e32 v21, v10
	v_min_u32_e32 v21, 32, v21
	v_lshrrev_b16_e32 v20, 3, v14
	v_subrev_u32_e32 v22, 28, v21
	v_and_b32_e32 v20, 15, v20
	v_lshlrev_b32_e32 v14, v22, v14
	v_sub_u32_e32 v21, 29, v21
	v_and_b32_e32 v14, 7, v14
	v_cmp_eq_u16_e32 vcc, 0, v20
	v_cndmask_b32_e32 v10, v10, v14, vcc
	v_cndmask_b32_e32 v14, v20, v21, vcc
	v_lshlrev_b32_e32 v20, 16, v15
	v_mov_b32_e32 v21, 0x3b800000
	v_lshlrev_b32_e32 v10, 20, v10
	v_and_b32_e32 v20, 0x80000000, v20
	v_lshl_add_u32 v14, v14, 23, v21
	v_or3_b32 v10, v20, v14, v10
.LBB37_1580:
	s_or_b64 exec, exec, s[6:7]
	v_lshrrev_b32_e32 v14, 8, v11
	s_movk_i32 s4, 0x7f
	v_cmp_gt_i16_sdwa s[6:7], v14, s4 src0_sel:BYTE_0 src1_sel:DWORD
	s_mov_b64 s[4:5], 0
                                        ; implicit-def: $sgpr10
	s_and_saveexec_b64 s[8:9], s[6:7]
	s_xor_b64 s[6:7], exec, s[8:9]
	s_cbranch_execnz .LBB37_3629
; %bb.1581:
	s_or_saveexec_b64 s[6:7], s[6:7]
	v_mov_b32_e32 v20, s10
	s_xor_b64 exec, exec, s[6:7]
	s_cbranch_execnz .LBB37_3632
.LBB37_1582:
	s_or_b64 exec, exec, s[6:7]
	s_and_saveexec_b64 s[6:7], s[4:5]
	s_cbranch_execz .LBB37_1584
.LBB37_1583:
	v_bfe_u32 v20, v11, 8, 3
	v_ffbh_u32_e32 v22, v20
	v_min_u32_e32 v22, 32, v22
	v_lshrrev_b16_e32 v21, 3, v14
	v_subrev_u32_e32 v23, 28, v22
	v_and_b32_e32 v21, 15, v21
	v_lshlrev_b32_e32 v14, v23, v14
	v_sub_u32_e32 v22, 29, v22
	v_and_b32_e32 v14, 7, v14
	v_cmp_eq_u16_e32 vcc, 0, v21
	v_cndmask_b32_e32 v14, v20, v14, vcc
	v_cndmask_b32_e32 v20, v21, v22, vcc
	v_lshlrev_b32_e32 v21, 16, v11
	v_mov_b32_e32 v22, 0x3b800000
	v_lshlrev_b32_e32 v14, 20, v14
	v_and_b32_e32 v21, 0x80000000, v21
	v_lshl_add_u32 v20, v20, 23, v22
	v_or3_b32 v20, v21, v20, v14
.LBB37_1584:
	s_or_b64 exec, exec, s[6:7]
	s_nop 0
	v_mfma_f32_16x16x4f32 a[0:3], v10, v20, a[0:3]
	s_movk_i32 s4, 0xff
	v_and_b32_sdwa v14, v15, s4 dst_sel:DWORD dst_unused:UNUSED_PAD src0_sel:WORD_1 src1_sel:DWORD
	s_movk_i32 s4, 0x7f
	v_cmp_lt_i16_e32 vcc, s4, v14
	s_mov_b64 s[4:5], 0
                                        ; implicit-def: $sgpr10
	s_and_saveexec_b64 s[6:7], vcc
	s_xor_b64 s[6:7], exec, s[6:7]
	s_cbranch_execnz .LBB37_3633
; %bb.1585:
	s_or_saveexec_b64 s[6:7], s[6:7]
	v_mov_b32_e32 v10, s10
	s_xor_b64 exec, exec, s[6:7]
	s_cbranch_execnz .LBB37_3636
.LBB37_1586:
	s_or_b64 exec, exec, s[6:7]
	s_and_saveexec_b64 s[6:7], s[4:5]
	s_cbranch_execz .LBB37_1588
.LBB37_1587:
	v_bfe_u32 v10, v15, 16, 3
	v_ffbh_u32_e32 v21, v10
	v_min_u32_e32 v21, 32, v21
	v_lshrrev_b32_e32 v14, 19, v15
	v_subrev_u32_e32 v22, 28, v21
	v_and_b32_e32 v14, 15, v14
	v_lshlrev_b32_sdwa v22, v22, v15 dst_sel:DWORD dst_unused:UNUSED_PAD src0_sel:DWORD src1_sel:WORD_1
	v_bfe_u32 v20, v15, 19, 4
	v_sub_u32_e32 v21, 29, v21
	v_and_b32_e32 v22, 7, v22
	v_cmp_eq_u16_e32 vcc, 0, v14
	v_cndmask_b32_e32 v10, v10, v22, vcc
	v_cndmask_b32_e32 v14, v20, v21, vcc
	v_lshlrev_b32_e32 v20, 8, v15
	v_mov_b32_e32 v21, 0x3b800000
	v_lshlrev_b32_e32 v10, 20, v10
	v_and_b32_e32 v20, 0x80000000, v20
	v_lshl_add_u32 v14, v14, 23, v21
	v_or3_b32 v10, v20, v14, v10
.LBB37_1588:
	s_or_b64 exec, exec, s[6:7]
	s_movk_i32 s4, 0xff
	v_and_b32_sdwa v14, v11, s4 dst_sel:DWORD dst_unused:UNUSED_PAD src0_sel:WORD_1 src1_sel:DWORD
	s_movk_i32 s4, 0x7f
	v_cmp_lt_i16_e32 vcc, s4, v14
	s_mov_b64 s[4:5], 0
                                        ; implicit-def: $sgpr10
	s_and_saveexec_b64 s[6:7], vcc
	s_xor_b64 s[6:7], exec, s[6:7]
	s_cbranch_execnz .LBB37_3637
; %bb.1589:
	s_or_saveexec_b64 s[6:7], s[6:7]
	v_mov_b32_e32 v20, s10
	s_xor_b64 exec, exec, s[6:7]
	s_cbranch_execnz .LBB37_3640
.LBB37_1590:
	s_or_b64 exec, exec, s[6:7]
	s_and_saveexec_b64 s[6:7], s[4:5]
	s_cbranch_execz .LBB37_1592
.LBB37_1591:
	v_bfe_u32 v14, v11, 16, 3
	v_ffbh_u32_e32 v22, v14
	v_min_u32_e32 v22, 32, v22
	v_lshrrev_b32_e32 v20, 19, v11
	v_subrev_u32_e32 v23, 28, v22
	v_and_b32_e32 v20, 15, v20
	v_lshlrev_b32_sdwa v23, v23, v11 dst_sel:DWORD dst_unused:UNUSED_PAD src0_sel:DWORD src1_sel:WORD_1
	v_bfe_u32 v21, v11, 19, 4
	v_sub_u32_e32 v22, 29, v22
	v_and_b32_e32 v23, 7, v23
	v_cmp_eq_u16_e32 vcc, 0, v20
	v_cndmask_b32_e32 v14, v14, v23, vcc
	v_cndmask_b32_e32 v20, v21, v22, vcc
	v_lshlrev_b32_e32 v21, 8, v11
	v_mov_b32_e32 v22, 0x3b800000
	v_lshlrev_b32_e32 v14, 20, v14
	v_and_b32_e32 v21, 0x80000000, v21
	v_lshl_add_u32 v20, v20, 23, v22
	v_or3_b32 v20, v21, v20, v14
.LBB37_1592:
	s_or_b64 exec, exec, s[6:7]
	s_nop 0
	v_mfma_f32_16x16x4f32 a[0:3], v10, v20, a[0:3]
	s_movk_i32 s4, 0x7f
	v_cmp_gt_i16_sdwa s[6:7], v15, s4 src0_sel:BYTE_3 src1_sel:DWORD
	s_mov_b64 s[4:5], 0
                                        ; implicit-def: $sgpr10
	s_and_saveexec_b64 s[8:9], s[6:7]
	s_xor_b64 s[6:7], exec, s[8:9]
	s_cbranch_execnz .LBB37_3641
; %bb.1593:
	s_or_saveexec_b64 s[6:7], s[6:7]
	v_mov_b32_e32 v10, s10
	s_xor_b64 exec, exec, s[6:7]
	s_cbranch_execnz .LBB37_3644
.LBB37_1594:
	s_or_b64 exec, exec, s[6:7]
	s_and_saveexec_b64 s[6:7], s[4:5]
	s_cbranch_execz .LBB37_1596
.LBB37_1595:
	v_bfe_u32 v10, v15, 24, 3
	v_ffbh_u32_e32 v22, v10
	v_min_u32_e32 v22, 32, v22
	v_lshrrev_b32_e32 v20, 27, v15
	v_subrev_u32_e32 v23, 28, v22
	v_and_b32_e32 v14, 0x80000000, v15
	v_and_b32_e32 v20, 15, v20
	v_bfe_u32 v21, v15, 27, 4
	v_lshlrev_b32_sdwa v15, v23, v15 dst_sel:DWORD dst_unused:UNUSED_PAD src0_sel:DWORD src1_sel:BYTE_3
	v_sub_u32_e32 v22, 29, v22
	v_and_b32_e32 v15, 7, v15
	v_cmp_eq_u16_e32 vcc, 0, v20
	v_cndmask_b32_e32 v10, v10, v15, vcc
	v_cndmask_b32_e32 v15, v21, v22, vcc
	v_mov_b32_e32 v20, 0x3b800000
	v_lshlrev_b32_e32 v10, 20, v10
	v_lshl_add_u32 v15, v15, 23, v20
	v_or3_b32 v10, v14, v15, v10
.LBB37_1596:
	s_or_b64 exec, exec, s[6:7]
	s_movk_i32 s4, 0x7f
	v_cmp_gt_i16_sdwa s[6:7], v11, s4 src0_sel:BYTE_3 src1_sel:DWORD
	s_mov_b64 s[4:5], 0
                                        ; implicit-def: $sgpr10
	s_and_saveexec_b64 s[8:9], s[6:7]
	s_xor_b64 s[6:7], exec, s[8:9]
	s_cbranch_execnz .LBB37_3645
; %bb.1597:
	s_or_saveexec_b64 s[6:7], s[6:7]
	v_mov_b32_e32 v14, s10
	s_xor_b64 exec, exec, s[6:7]
	s_cbranch_execnz .LBB37_3648
.LBB37_1598:
	s_or_b64 exec, exec, s[6:7]
	s_and_saveexec_b64 s[6:7], s[4:5]
	s_cbranch_execz .LBB37_1600
.LBB37_1599:
	v_bfe_u32 v14, v11, 24, 3
	v_ffbh_u32_e32 v22, v14
	v_min_u32_e32 v22, 32, v22
	v_lshrrev_b32_e32 v20, 27, v11
	v_subrev_u32_e32 v23, 28, v22
	v_and_b32_e32 v15, 0x80000000, v11
	v_and_b32_e32 v20, 15, v20
	v_bfe_u32 v21, v11, 27, 4
	v_lshlrev_b32_sdwa v11, v23, v11 dst_sel:DWORD dst_unused:UNUSED_PAD src0_sel:DWORD src1_sel:BYTE_3
	v_sub_u32_e32 v22, 29, v22
	v_and_b32_e32 v11, 7, v11
	v_cmp_eq_u16_e32 vcc, 0, v20
	v_cndmask_b32_e32 v11, v14, v11, vcc
	v_cndmask_b32_e32 v14, v21, v22, vcc
	v_mov_b32_e32 v20, 0x3b800000
	v_lshlrev_b32_e32 v11, 20, v11
	v_lshl_add_u32 v14, v14, 23, v20
	v_or3_b32 v14, v15, v14, v11
.LBB37_1600:
	s_or_b64 exec, exec, s[6:7]
	s_nop 0
	v_mfma_f32_16x16x4f32 a[0:3], v10, v14, a[0:3]
	s_movk_i32 s4, 0x7f
	v_cmp_gt_i16_sdwa s[6:7], v16, s4 src0_sel:BYTE_0 src1_sel:DWORD
	s_mov_b64 s[4:5], 0
                                        ; implicit-def: $sgpr10
	s_and_saveexec_b64 s[8:9], s[6:7]
	s_xor_b64 s[6:7], exec, s[8:9]
	s_cbranch_execnz .LBB37_3649
; %bb.1601:
	s_or_saveexec_b64 s[6:7], s[6:7]
	v_mov_b32_e32 v10, s10
	s_xor_b64 exec, exec, s[6:7]
	s_cbranch_execnz .LBB37_3652
.LBB37_1602:
	s_or_b64 exec, exec, s[6:7]
	s_and_saveexec_b64 s[6:7], s[4:5]
	s_cbranch_execz .LBB37_1604
.LBB37_1603:
	v_and_b32_e32 v10, 7, v16
	v_ffbh_u32_e32 v14, v10
	v_min_u32_e32 v14, 32, v14
	v_lshrrev_b16_e32 v11, 3, v16
	v_subrev_u32_e32 v15, 28, v14
	v_and_b32_e32 v11, 15, v11
	v_lshlrev_b32_e32 v15, v15, v16
	v_sub_u32_e32 v14, 29, v14
	v_and_b32_e32 v15, 7, v15
	v_cmp_eq_u16_e32 vcc, 0, v11
	v_cndmask_b32_e32 v10, v10, v15, vcc
	v_cndmask_b32_e32 v11, v11, v14, vcc
	v_lshlrev_b32_e32 v14, 24, v16
	v_mov_b32_e32 v15, 0x3b800000
	v_lshlrev_b32_e32 v10, 20, v10
	v_and_b32_e32 v14, 0x80000000, v14
	v_lshl_add_u32 v11, v11, 23, v15
	v_or3_b32 v10, v14, v11, v10
.LBB37_1604:
	s_or_b64 exec, exec, s[6:7]
	s_movk_i32 s4, 0x7f
	v_cmp_gt_i16_sdwa s[6:7], v12, s4 src0_sel:BYTE_0 src1_sel:DWORD
	s_mov_b64 s[4:5], 0
                                        ; implicit-def: $sgpr10
	s_and_saveexec_b64 s[8:9], s[6:7]
	s_xor_b64 s[6:7], exec, s[8:9]
	s_cbranch_execnz .LBB37_3653
; %bb.1605:
	s_or_saveexec_b64 s[6:7], s[6:7]
	v_mov_b32_e32 v11, s10
	s_xor_b64 exec, exec, s[6:7]
	s_cbranch_execnz .LBB37_3656
.LBB37_1606:
	s_or_b64 exec, exec, s[6:7]
	s_and_saveexec_b64 s[6:7], s[4:5]
	s_cbranch_execz .LBB37_1608
.LBB37_1607:
	v_and_b32_e32 v11, 7, v12
	v_ffbh_u32_e32 v15, v11
	v_min_u32_e32 v15, 32, v15
	v_lshrrev_b16_e32 v14, 3, v12
	v_subrev_u32_e32 v20, 28, v15
	v_and_b32_e32 v14, 15, v14
	v_lshlrev_b32_e32 v20, v20, v12
	v_sub_u32_e32 v15, 29, v15
	v_and_b32_e32 v20, 7, v20
	v_cmp_eq_u16_e32 vcc, 0, v14
	v_cndmask_b32_e32 v11, v11, v20, vcc
	v_cndmask_b32_e32 v14, v14, v15, vcc
	v_lshlrev_b32_e32 v15, 24, v12
	v_mov_b32_e32 v20, 0x3b800000
	v_lshlrev_b32_e32 v11, 20, v11
	v_and_b32_e32 v15, 0x80000000, v15
	v_lshl_add_u32 v14, v14, 23, v20
	v_or3_b32 v11, v15, v14, v11
.LBB37_1608:
	s_or_b64 exec, exec, s[6:7]
	s_nop 0
	v_mfma_f32_16x16x4f32 a[0:3], v10, v11, a[0:3]
	v_lshrrev_b32_e32 v11, 8, v16
	s_movk_i32 s4, 0x7f
	v_cmp_gt_i16_sdwa s[6:7], v11, s4 src0_sel:BYTE_0 src1_sel:DWORD
	s_mov_b64 s[4:5], 0
                                        ; implicit-def: $sgpr10
	s_and_saveexec_b64 s[8:9], s[6:7]
	s_xor_b64 s[6:7], exec, s[8:9]
	s_cbranch_execnz .LBB37_3657
; %bb.1609:
	s_or_saveexec_b64 s[6:7], s[6:7]
	v_mov_b32_e32 v10, s10
	s_xor_b64 exec, exec, s[6:7]
	s_cbranch_execnz .LBB37_3660
.LBB37_1610:
	s_or_b64 exec, exec, s[6:7]
	s_and_saveexec_b64 s[6:7], s[4:5]
	s_cbranch_execz .LBB37_1612
.LBB37_1611:
	v_bfe_u32 v10, v16, 8, 3
	v_ffbh_u32_e32 v15, v10
	v_min_u32_e32 v15, 32, v15
	v_lshrrev_b16_e32 v14, 3, v11
	v_subrev_u32_e32 v20, 28, v15
	v_and_b32_e32 v14, 15, v14
	v_lshlrev_b32_e32 v11, v20, v11
	v_sub_u32_e32 v15, 29, v15
	v_and_b32_e32 v11, 7, v11
	v_cmp_eq_u16_e32 vcc, 0, v14
	v_cndmask_b32_e32 v10, v10, v11, vcc
	v_cndmask_b32_e32 v11, v14, v15, vcc
	v_lshlrev_b32_e32 v14, 16, v16
	v_mov_b32_e32 v15, 0x3b800000
	v_lshlrev_b32_e32 v10, 20, v10
	v_and_b32_e32 v14, 0x80000000, v14
	v_lshl_add_u32 v11, v11, 23, v15
	v_or3_b32 v10, v14, v11, v10
.LBB37_1612:
	s_or_b64 exec, exec, s[6:7]
	v_lshrrev_b32_e32 v11, 8, v12
	s_movk_i32 s4, 0x7f
	v_cmp_gt_i16_sdwa s[6:7], v11, s4 src0_sel:BYTE_0 src1_sel:DWORD
	s_mov_b64 s[4:5], 0
                                        ; implicit-def: $sgpr10
	s_and_saveexec_b64 s[8:9], s[6:7]
	s_xor_b64 s[6:7], exec, s[8:9]
	s_cbranch_execnz .LBB37_3661
; %bb.1613:
	s_or_saveexec_b64 s[6:7], s[6:7]
	v_mov_b32_e32 v14, s10
	s_xor_b64 exec, exec, s[6:7]
	s_cbranch_execnz .LBB37_3664
.LBB37_1614:
	s_or_b64 exec, exec, s[6:7]
	s_and_saveexec_b64 s[6:7], s[4:5]
	s_cbranch_execz .LBB37_1616
.LBB37_1615:
	v_bfe_u32 v14, v12, 8, 3
	v_ffbh_u32_e32 v20, v14
	v_min_u32_e32 v20, 32, v20
	v_lshrrev_b16_e32 v15, 3, v11
	v_subrev_u32_e32 v21, 28, v20
	v_and_b32_e32 v15, 15, v15
	v_lshlrev_b32_e32 v11, v21, v11
	v_sub_u32_e32 v20, 29, v20
	v_and_b32_e32 v11, 7, v11
	v_cmp_eq_u16_e32 vcc, 0, v15
	v_cndmask_b32_e32 v11, v14, v11, vcc
	v_cndmask_b32_e32 v14, v15, v20, vcc
	v_lshlrev_b32_e32 v15, 16, v12
	v_mov_b32_e32 v20, 0x3b800000
	v_lshlrev_b32_e32 v11, 20, v11
	v_and_b32_e32 v15, 0x80000000, v15
	v_lshl_add_u32 v14, v14, 23, v20
	v_or3_b32 v14, v15, v14, v11
.LBB37_1616:
	s_or_b64 exec, exec, s[6:7]
	s_nop 0
	v_mfma_f32_16x16x4f32 a[0:3], v10, v14, a[0:3]
	s_movk_i32 s4, 0xff
	v_and_b32_sdwa v11, v16, s4 dst_sel:DWORD dst_unused:UNUSED_PAD src0_sel:WORD_1 src1_sel:DWORD
	s_movk_i32 s4, 0x7f
	v_cmp_lt_i16_e32 vcc, s4, v11
	s_mov_b64 s[4:5], 0
                                        ; implicit-def: $sgpr10
	s_and_saveexec_b64 s[6:7], vcc
	s_xor_b64 s[6:7], exec, s[6:7]
	s_cbranch_execnz .LBB37_3665
; %bb.1617:
	s_or_saveexec_b64 s[6:7], s[6:7]
	v_mov_b32_e32 v10, s10
	s_xor_b64 exec, exec, s[6:7]
	s_cbranch_execnz .LBB37_3668
.LBB37_1618:
	s_or_b64 exec, exec, s[6:7]
	s_and_saveexec_b64 s[6:7], s[4:5]
	s_cbranch_execz .LBB37_1620
.LBB37_1619:
	v_bfe_u32 v10, v16, 16, 3
	v_ffbh_u32_e32 v15, v10
	v_min_u32_e32 v15, 32, v15
	v_lshrrev_b32_e32 v11, 19, v16
	v_subrev_u32_e32 v20, 28, v15
	v_and_b32_e32 v11, 15, v11
	v_lshlrev_b32_sdwa v20, v20, v16 dst_sel:DWORD dst_unused:UNUSED_PAD src0_sel:DWORD src1_sel:WORD_1
	v_bfe_u32 v14, v16, 19, 4
	v_sub_u32_e32 v15, 29, v15
	v_and_b32_e32 v20, 7, v20
	v_cmp_eq_u16_e32 vcc, 0, v11
	v_cndmask_b32_e32 v10, v10, v20, vcc
	v_cndmask_b32_e32 v11, v14, v15, vcc
	v_lshlrev_b32_e32 v14, 8, v16
	v_mov_b32_e32 v15, 0x3b800000
	v_lshlrev_b32_e32 v10, 20, v10
	v_and_b32_e32 v14, 0x80000000, v14
	v_lshl_add_u32 v11, v11, 23, v15
	v_or3_b32 v10, v14, v11, v10
.LBB37_1620:
	s_or_b64 exec, exec, s[6:7]
	s_movk_i32 s4, 0xff
	v_and_b32_sdwa v11, v12, s4 dst_sel:DWORD dst_unused:UNUSED_PAD src0_sel:WORD_1 src1_sel:DWORD
	s_movk_i32 s4, 0x7f
	v_cmp_lt_i16_e32 vcc, s4, v11
	s_mov_b64 s[4:5], 0
                                        ; implicit-def: $sgpr10
	s_and_saveexec_b64 s[6:7], vcc
	s_xor_b64 s[6:7], exec, s[6:7]
	s_cbranch_execnz .LBB37_3669
; %bb.1621:
	s_or_saveexec_b64 s[6:7], s[6:7]
	v_mov_b32_e32 v14, s10
	s_xor_b64 exec, exec, s[6:7]
	s_cbranch_execnz .LBB37_3672
.LBB37_1622:
	s_or_b64 exec, exec, s[6:7]
	s_and_saveexec_b64 s[6:7], s[4:5]
	s_cbranch_execz .LBB37_1624
.LBB37_1623:
	v_bfe_u32 v11, v12, 16, 3
	v_ffbh_u32_e32 v20, v11
	v_min_u32_e32 v20, 32, v20
	v_lshrrev_b32_e32 v14, 19, v12
	v_subrev_u32_e32 v21, 28, v20
	v_and_b32_e32 v14, 15, v14
	v_lshlrev_b32_sdwa v21, v21, v12 dst_sel:DWORD dst_unused:UNUSED_PAD src0_sel:DWORD src1_sel:WORD_1
	v_bfe_u32 v15, v12, 19, 4
	v_sub_u32_e32 v20, 29, v20
	v_and_b32_e32 v21, 7, v21
	v_cmp_eq_u16_e32 vcc, 0, v14
	v_cndmask_b32_e32 v11, v11, v21, vcc
	v_cndmask_b32_e32 v14, v15, v20, vcc
	v_lshlrev_b32_e32 v15, 8, v12
	v_mov_b32_e32 v20, 0x3b800000
	v_lshlrev_b32_e32 v11, 20, v11
	v_and_b32_e32 v15, 0x80000000, v15
	v_lshl_add_u32 v14, v14, 23, v20
	v_or3_b32 v14, v15, v14, v11
.LBB37_1624:
	s_or_b64 exec, exec, s[6:7]
	s_nop 0
	v_mfma_f32_16x16x4f32 a[0:3], v10, v14, a[0:3]
	s_movk_i32 s4, 0x7f
	v_cmp_gt_i16_sdwa s[6:7], v16, s4 src0_sel:BYTE_3 src1_sel:DWORD
	s_mov_b64 s[4:5], 0
                                        ; implicit-def: $sgpr10
	s_and_saveexec_b64 s[8:9], s[6:7]
	s_xor_b64 s[6:7], exec, s[8:9]
	s_cbranch_execnz .LBB37_3673
; %bb.1625:
	s_or_saveexec_b64 s[6:7], s[6:7]
	v_mov_b32_e32 v10, s10
	s_xor_b64 exec, exec, s[6:7]
	s_cbranch_execnz .LBB37_3676
.LBB37_1626:
	s_or_b64 exec, exec, s[6:7]
	s_and_saveexec_b64 s[6:7], s[4:5]
	s_cbranch_execz .LBB37_1628
.LBB37_1627:
	v_bfe_u32 v10, v16, 24, 3
	v_ffbh_u32_e32 v20, v10
	v_min_u32_e32 v20, 32, v20
	v_lshrrev_b32_e32 v14, 27, v16
	v_subrev_u32_e32 v21, 28, v20
	v_and_b32_e32 v11, 0x80000000, v16
	v_and_b32_e32 v14, 15, v14
	v_bfe_u32 v15, v16, 27, 4
	v_lshlrev_b32_sdwa v16, v21, v16 dst_sel:DWORD dst_unused:UNUSED_PAD src0_sel:DWORD src1_sel:BYTE_3
	v_sub_u32_e32 v20, 29, v20
	v_and_b32_e32 v16, 7, v16
	v_cmp_eq_u16_e32 vcc, 0, v14
	v_cndmask_b32_e32 v10, v10, v16, vcc
	v_cndmask_b32_e32 v14, v15, v20, vcc
	v_mov_b32_e32 v15, 0x3b800000
	v_lshlrev_b32_e32 v10, 20, v10
	v_lshl_add_u32 v14, v14, 23, v15
	v_or3_b32 v10, v11, v14, v10
.LBB37_1628:
	s_or_b64 exec, exec, s[6:7]
	s_movk_i32 s4, 0x7f
	v_cmp_gt_i16_sdwa s[6:7], v12, s4 src0_sel:BYTE_3 src1_sel:DWORD
	s_mov_b64 s[4:5], 0
                                        ; implicit-def: $sgpr10
	s_and_saveexec_b64 s[8:9], s[6:7]
	s_xor_b64 s[6:7], exec, s[8:9]
	s_cbranch_execnz .LBB37_3677
; %bb.1629:
	s_or_saveexec_b64 s[6:7], s[6:7]
	v_mov_b32_e32 v11, s10
	s_xor_b64 exec, exec, s[6:7]
	s_cbranch_execnz .LBB37_3680
.LBB37_1630:
	s_or_b64 exec, exec, s[6:7]
	s_and_saveexec_b64 s[6:7], s[4:5]
	s_cbranch_execz .LBB37_1632
.LBB37_1631:
	v_bfe_u32 v11, v12, 24, 3
	v_ffbh_u32_e32 v20, v11
	v_min_u32_e32 v20, 32, v20
	v_lshrrev_b32_e32 v15, 27, v12
	v_subrev_u32_e32 v21, 28, v20
	v_and_b32_e32 v14, 0x80000000, v12
	v_and_b32_e32 v15, 15, v15
	v_bfe_u32 v16, v12, 27, 4
	v_lshlrev_b32_sdwa v12, v21, v12 dst_sel:DWORD dst_unused:UNUSED_PAD src0_sel:DWORD src1_sel:BYTE_3
	v_sub_u32_e32 v20, 29, v20
	v_and_b32_e32 v12, 7, v12
	v_cmp_eq_u16_e32 vcc, 0, v15
	v_cndmask_b32_e32 v11, v11, v12, vcc
	v_cndmask_b32_e32 v12, v16, v20, vcc
	v_mov_b32_e32 v15, 0x3b800000
	v_lshlrev_b32_e32 v11, 20, v11
	v_lshl_add_u32 v12, v12, 23, v15
	v_or3_b32 v11, v14, v12, v11
.LBB37_1632:
	s_or_b64 exec, exec, s[6:7]
	s_nop 0
	v_mfma_f32_16x16x4f32 a[0:3], v10, v11, a[0:3]
	s_movk_i32 s4, 0x7f
	v_cmp_gt_i16_sdwa s[6:7], v17, s4 src0_sel:BYTE_0 src1_sel:DWORD
	s_mov_b64 s[4:5], 0
                                        ; implicit-def: $sgpr10
	s_and_saveexec_b64 s[8:9], s[6:7]
	s_xor_b64 s[6:7], exec, s[8:9]
	s_cbranch_execnz .LBB37_3681
; %bb.1633:
	s_or_saveexec_b64 s[6:7], s[6:7]
	v_mov_b32_e32 v10, s10
	s_xor_b64 exec, exec, s[6:7]
	s_cbranch_execnz .LBB37_3684
.LBB37_1634:
	s_or_b64 exec, exec, s[6:7]
	s_and_saveexec_b64 s[6:7], s[4:5]
	s_cbranch_execz .LBB37_1636
.LBB37_1635:
	v_and_b32_e32 v10, 7, v17
	v_ffbh_u32_e32 v12, v10
	v_min_u32_e32 v12, 32, v12
	v_lshrrev_b16_e32 v11, 3, v17
	v_subrev_u32_e32 v14, 28, v12
	v_and_b32_e32 v11, 15, v11
	v_lshlrev_b32_e32 v14, v14, v17
	v_sub_u32_e32 v12, 29, v12
	v_and_b32_e32 v14, 7, v14
	v_cmp_eq_u16_e32 vcc, 0, v11
	v_cndmask_b32_e32 v10, v10, v14, vcc
	v_cndmask_b32_e32 v11, v11, v12, vcc
	v_lshlrev_b32_e32 v12, 24, v17
	v_mov_b32_e32 v14, 0x3b800000
	v_lshlrev_b32_e32 v10, 20, v10
	v_and_b32_e32 v12, 0x80000000, v12
	v_lshl_add_u32 v11, v11, 23, v14
	v_or3_b32 v10, v12, v11, v10
.LBB37_1636:
	s_or_b64 exec, exec, s[6:7]
	s_movk_i32 s4, 0x7f
	v_cmp_gt_i16_sdwa s[6:7], v13, s4 src0_sel:BYTE_0 src1_sel:DWORD
	s_mov_b64 s[4:5], 0
                                        ; implicit-def: $sgpr10
	s_and_saveexec_b64 s[8:9], s[6:7]
	s_xor_b64 s[6:7], exec, s[8:9]
	s_cbranch_execnz .LBB37_3685
; %bb.1637:
	s_or_saveexec_b64 s[6:7], s[6:7]
	v_mov_b32_e32 v11, s10
	s_xor_b64 exec, exec, s[6:7]
	s_cbranch_execnz .LBB37_3688
.LBB37_1638:
	s_or_b64 exec, exec, s[6:7]
	s_and_saveexec_b64 s[6:7], s[4:5]
	s_cbranch_execz .LBB37_1640
.LBB37_1639:
	v_and_b32_e32 v11, 7, v13
	v_ffbh_u32_e32 v14, v11
	v_min_u32_e32 v14, 32, v14
	v_lshrrev_b16_e32 v12, 3, v13
	v_subrev_u32_e32 v15, 28, v14
	v_and_b32_e32 v12, 15, v12
	v_lshlrev_b32_e32 v15, v15, v13
	v_sub_u32_e32 v14, 29, v14
	v_and_b32_e32 v15, 7, v15
	v_cmp_eq_u16_e32 vcc, 0, v12
	v_cndmask_b32_e32 v11, v11, v15, vcc
	v_cndmask_b32_e32 v12, v12, v14, vcc
	v_lshlrev_b32_e32 v14, 24, v13
	v_mov_b32_e32 v15, 0x3b800000
	v_lshlrev_b32_e32 v11, 20, v11
	v_and_b32_e32 v14, 0x80000000, v14
	v_lshl_add_u32 v12, v12, 23, v15
	v_or3_b32 v11, v14, v12, v11
.LBB37_1640:
	s_or_b64 exec, exec, s[6:7]
	s_nop 0
	v_mfma_f32_16x16x4f32 a[0:3], v10, v11, a[0:3]
	v_lshrrev_b32_e32 v11, 8, v17
	s_movk_i32 s4, 0x7f
	v_cmp_gt_i16_sdwa s[6:7], v11, s4 src0_sel:BYTE_0 src1_sel:DWORD
	s_mov_b64 s[4:5], 0
                                        ; implicit-def: $sgpr10
	s_and_saveexec_b64 s[8:9], s[6:7]
	s_xor_b64 s[6:7], exec, s[8:9]
	s_cbranch_execnz .LBB37_3689
; %bb.1641:
	s_or_saveexec_b64 s[6:7], s[6:7]
	v_mov_b32_e32 v10, s10
	s_xor_b64 exec, exec, s[6:7]
	s_cbranch_execnz .LBB37_3692
.LBB37_1642:
	s_or_b64 exec, exec, s[6:7]
	s_and_saveexec_b64 s[6:7], s[4:5]
	s_cbranch_execz .LBB37_1644
.LBB37_1643:
	v_bfe_u32 v10, v17, 8, 3
	v_ffbh_u32_e32 v14, v10
	v_min_u32_e32 v14, 32, v14
	v_lshrrev_b16_e32 v12, 3, v11
	v_subrev_u32_e32 v15, 28, v14
	v_and_b32_e32 v12, 15, v12
	v_lshlrev_b32_e32 v11, v15, v11
	v_sub_u32_e32 v14, 29, v14
	v_and_b32_e32 v11, 7, v11
	v_cmp_eq_u16_e32 vcc, 0, v12
	v_cndmask_b32_e32 v10, v10, v11, vcc
	v_cndmask_b32_e32 v11, v12, v14, vcc
	v_lshlrev_b32_e32 v12, 16, v17
	v_mov_b32_e32 v14, 0x3b800000
	v_lshlrev_b32_e32 v10, 20, v10
	v_and_b32_e32 v12, 0x80000000, v12
	v_lshl_add_u32 v11, v11, 23, v14
	v_or3_b32 v10, v12, v11, v10
.LBB37_1644:
	s_or_b64 exec, exec, s[6:7]
	v_lshrrev_b32_e32 v11, 8, v13
	s_movk_i32 s4, 0x7f
	v_cmp_gt_i16_sdwa s[6:7], v11, s4 src0_sel:BYTE_0 src1_sel:DWORD
	s_mov_b64 s[4:5], 0
                                        ; implicit-def: $sgpr10
	s_and_saveexec_b64 s[8:9], s[6:7]
	s_xor_b64 s[6:7], exec, s[8:9]
	s_cbranch_execnz .LBB37_3693
; %bb.1645:
	s_or_saveexec_b64 s[6:7], s[6:7]
	v_mov_b32_e32 v12, s10
	s_xor_b64 exec, exec, s[6:7]
	s_cbranch_execnz .LBB37_3696
.LBB37_1646:
	s_or_b64 exec, exec, s[6:7]
	s_and_saveexec_b64 s[6:7], s[4:5]
	s_cbranch_execz .LBB37_1648
.LBB37_1647:
	v_bfe_u32 v12, v13, 8, 3
	v_ffbh_u32_e32 v15, v12
	v_min_u32_e32 v15, 32, v15
	v_lshrrev_b16_e32 v14, 3, v11
	v_subrev_u32_e32 v16, 28, v15
	v_and_b32_e32 v14, 15, v14
	v_lshlrev_b32_e32 v11, v16, v11
	v_sub_u32_e32 v15, 29, v15
	v_and_b32_e32 v11, 7, v11
	v_cmp_eq_u16_e32 vcc, 0, v14
	v_cndmask_b32_e32 v11, v12, v11, vcc
	v_cndmask_b32_e32 v12, v14, v15, vcc
	v_lshlrev_b32_e32 v14, 16, v13
	v_mov_b32_e32 v15, 0x3b800000
	v_lshlrev_b32_e32 v11, 20, v11
	v_and_b32_e32 v14, 0x80000000, v14
	v_lshl_add_u32 v12, v12, 23, v15
	v_or3_b32 v12, v14, v12, v11
.LBB37_1648:
	s_or_b64 exec, exec, s[6:7]
	s_nop 0
	v_mfma_f32_16x16x4f32 a[0:3], v10, v12, a[0:3]
	s_movk_i32 s4, 0xff
	v_and_b32_sdwa v11, v17, s4 dst_sel:DWORD dst_unused:UNUSED_PAD src0_sel:WORD_1 src1_sel:DWORD
	s_movk_i32 s4, 0x7f
	v_cmp_lt_i16_e32 vcc, s4, v11
	s_mov_b64 s[4:5], 0
                                        ; implicit-def: $sgpr10
	s_and_saveexec_b64 s[6:7], vcc
	s_xor_b64 s[6:7], exec, s[6:7]
	s_cbranch_execnz .LBB37_3697
; %bb.1649:
	s_or_saveexec_b64 s[6:7], s[6:7]
	v_mov_b32_e32 v10, s10
	s_xor_b64 exec, exec, s[6:7]
	s_cbranch_execnz .LBB37_3700
.LBB37_1650:
	s_or_b64 exec, exec, s[6:7]
	s_and_saveexec_b64 s[6:7], s[4:5]
	s_cbranch_execz .LBB37_1652
.LBB37_1651:
	v_bfe_u32 v10, v17, 16, 3
	v_ffbh_u32_e32 v14, v10
	v_min_u32_e32 v14, 32, v14
	v_lshrrev_b32_e32 v11, 19, v17
	v_subrev_u32_e32 v15, 28, v14
	v_and_b32_e32 v11, 15, v11
	v_lshlrev_b32_sdwa v15, v15, v17 dst_sel:DWORD dst_unused:UNUSED_PAD src0_sel:DWORD src1_sel:WORD_1
	v_bfe_u32 v12, v17, 19, 4
	v_sub_u32_e32 v14, 29, v14
	v_and_b32_e32 v15, 7, v15
	v_cmp_eq_u16_e32 vcc, 0, v11
	v_cndmask_b32_e32 v10, v10, v15, vcc
	v_cndmask_b32_e32 v11, v12, v14, vcc
	v_lshlrev_b32_e32 v12, 8, v17
	v_mov_b32_e32 v14, 0x3b800000
	v_lshlrev_b32_e32 v10, 20, v10
	v_and_b32_e32 v12, 0x80000000, v12
	v_lshl_add_u32 v11, v11, 23, v14
	v_or3_b32 v10, v12, v11, v10
.LBB37_1652:
	s_or_b64 exec, exec, s[6:7]
	s_movk_i32 s4, 0xff
	v_and_b32_sdwa v11, v13, s4 dst_sel:DWORD dst_unused:UNUSED_PAD src0_sel:WORD_1 src1_sel:DWORD
	s_movk_i32 s4, 0x7f
	v_cmp_lt_i16_e32 vcc, s4, v11
	s_mov_b64 s[4:5], 0
                                        ; implicit-def: $sgpr10
	s_and_saveexec_b64 s[6:7], vcc
	s_xor_b64 s[6:7], exec, s[6:7]
	s_cbranch_execnz .LBB37_3701
; %bb.1653:
	s_or_saveexec_b64 s[6:7], s[6:7]
	v_mov_b32_e32 v12, s10
	s_xor_b64 exec, exec, s[6:7]
	s_cbranch_execnz .LBB37_3704
.LBB37_1654:
	s_or_b64 exec, exec, s[6:7]
	s_and_saveexec_b64 s[6:7], s[4:5]
	s_cbranch_execz .LBB37_1656
.LBB37_1655:
	v_bfe_u32 v11, v13, 16, 3
	v_ffbh_u32_e32 v15, v11
	v_min_u32_e32 v15, 32, v15
	v_lshrrev_b32_e32 v12, 19, v13
	v_subrev_u32_e32 v16, 28, v15
	v_and_b32_e32 v12, 15, v12
	v_lshlrev_b32_sdwa v16, v16, v13 dst_sel:DWORD dst_unused:UNUSED_PAD src0_sel:DWORD src1_sel:WORD_1
	v_bfe_u32 v14, v13, 19, 4
	v_sub_u32_e32 v15, 29, v15
	v_and_b32_e32 v16, 7, v16
	v_cmp_eq_u16_e32 vcc, 0, v12
	v_cndmask_b32_e32 v11, v11, v16, vcc
	v_cndmask_b32_e32 v12, v14, v15, vcc
	v_lshlrev_b32_e32 v14, 8, v13
	v_mov_b32_e32 v15, 0x3b800000
	v_lshlrev_b32_e32 v11, 20, v11
	v_and_b32_e32 v14, 0x80000000, v14
	v_lshl_add_u32 v12, v12, 23, v15
	v_or3_b32 v12, v14, v12, v11
.LBB37_1656:
	s_or_b64 exec, exec, s[6:7]
	s_nop 0
	v_mfma_f32_16x16x4f32 a[0:3], v10, v12, a[0:3]
	s_movk_i32 s4, 0x7f
	v_cmp_gt_i16_sdwa s[6:7], v17, s4 src0_sel:BYTE_3 src1_sel:DWORD
	s_mov_b64 s[4:5], 0
                                        ; implicit-def: $sgpr10
	s_and_saveexec_b64 s[8:9], s[6:7]
	s_xor_b64 s[6:7], exec, s[8:9]
	s_cbranch_execnz .LBB37_3705
; %bb.1657:
	s_or_saveexec_b64 s[6:7], s[6:7]
	v_mov_b32_e32 v10, s10
	s_xor_b64 exec, exec, s[6:7]
	s_cbranch_execnz .LBB37_3708
.LBB37_1658:
	s_or_b64 exec, exec, s[6:7]
	s_and_saveexec_b64 s[6:7], s[4:5]
	s_cbranch_execz .LBB37_1660
.LBB37_1659:
	v_bfe_u32 v10, v17, 24, 3
	v_ffbh_u32_e32 v15, v10
	v_min_u32_e32 v15, 32, v15
	v_lshrrev_b32_e32 v12, 27, v17
	v_subrev_u32_e32 v16, 28, v15
	v_and_b32_e32 v12, 15, v12
	v_lshlrev_b32_sdwa v16, v16, v17 dst_sel:DWORD dst_unused:UNUSED_PAD src0_sel:DWORD src1_sel:BYTE_3
	v_bfe_u32 v14, v17, 27, 4
	v_sub_u32_e32 v15, 29, v15
	v_and_b32_e32 v16, 7, v16
	v_cmp_eq_u16_e32 vcc, 0, v12
	v_cndmask_b32_e32 v10, v10, v16, vcc
	v_cndmask_b32_e32 v12, v14, v15, vcc
	v_mov_b32_e32 v14, 0x3b800000
	v_and_b32_e32 v11, 0x80000000, v17
	v_lshlrev_b32_e32 v10, 20, v10
	v_lshl_add_u32 v12, v12, 23, v14
	v_or3_b32 v10, v11, v12, v10
.LBB37_1660:
	s_or_b64 exec, exec, s[6:7]
	s_movk_i32 s4, 0x7f
	v_cmp_gt_i16_sdwa s[6:7], v13, s4 src0_sel:BYTE_3 src1_sel:DWORD
	s_mov_b64 s[4:5], 0
                                        ; implicit-def: $sgpr10
	s_and_saveexec_b64 s[8:9], s[6:7]
	s_xor_b64 s[6:7], exec, s[8:9]
	s_cbranch_execnz .LBB37_3709
; %bb.1661:
	s_or_saveexec_b64 s[6:7], s[6:7]
	v_mov_b32_e32 v11, s10
	s_xor_b64 exec, exec, s[6:7]
	s_cbranch_execnz .LBB37_3712
.LBB37_1662:
	s_or_b64 exec, exec, s[6:7]
	s_and_saveexec_b64 s[6:7], s[4:5]
	s_cbranch_execz .LBB37_1664
.LBB37_1663:
	v_bfe_u32 v11, v13, 24, 3
	v_ffbh_u32_e32 v16, v11
	v_min_u32_e32 v16, 32, v16
	v_lshrrev_b32_e32 v14, 27, v13
	v_subrev_u32_e32 v17, 28, v16
	v_and_b32_e32 v12, 0x80000000, v13
	v_and_b32_e32 v14, 15, v14
	v_bfe_u32 v15, v13, 27, 4
	v_lshlrev_b32_sdwa v13, v17, v13 dst_sel:DWORD dst_unused:UNUSED_PAD src0_sel:DWORD src1_sel:BYTE_3
	v_sub_u32_e32 v16, 29, v16
	v_and_b32_e32 v13, 7, v13
	v_cmp_eq_u16_e32 vcc, 0, v14
	v_cndmask_b32_e32 v11, v11, v13, vcc
	v_cndmask_b32_e32 v13, v15, v16, vcc
	v_mov_b32_e32 v14, 0x3b800000
	v_lshlrev_b32_e32 v11, 20, v11
	v_lshl_add_u32 v13, v13, 23, v14
	v_or3_b32 v11, v12, v13, v11
.LBB37_1664:
	s_or_b64 exec, exec, s[6:7]
	s_nop 0
	v_mfma_f32_16x16x4f32 a[0:3], v10, v11, a[0:3]
	s_movk_i32 s4, 0x7f
	v_cmp_gt_i16_sdwa s[6:7], v6, s4 src0_sel:BYTE_0 src1_sel:DWORD
	s_mov_b64 s[4:5], 0
                                        ; implicit-def: $sgpr10
	s_and_saveexec_b64 s[8:9], s[6:7]
	s_xor_b64 s[6:7], exec, s[8:9]
	s_cbranch_execnz .LBB37_3713
; %bb.1665:
	s_or_saveexec_b64 s[6:7], s[6:7]
	v_mov_b32_e32 v10, s10
	s_xor_b64 exec, exec, s[6:7]
	s_cbranch_execnz .LBB37_3716
.LBB37_1666:
	s_or_b64 exec, exec, s[6:7]
	s_and_saveexec_b64 s[6:7], s[4:5]
	s_cbranch_execz .LBB37_1668
.LBB37_1667:
	v_and_b32_e32 v10, 7, v6
	v_ffbh_u32_e32 v12, v10
	v_min_u32_e32 v12, 32, v12
	v_lshrrev_b16_e32 v11, 3, v6
	v_subrev_u32_e32 v13, 28, v12
	v_and_b32_e32 v11, 15, v11
	v_lshlrev_b32_e32 v13, v13, v6
	v_sub_u32_e32 v12, 29, v12
	v_and_b32_e32 v13, 7, v13
	v_cmp_eq_u16_e32 vcc, 0, v11
	v_cndmask_b32_e32 v10, v10, v13, vcc
	v_cndmask_b32_e32 v11, v11, v12, vcc
	v_lshlrev_b32_e32 v12, 24, v6
	v_mov_b32_e32 v13, 0x3b800000
	v_lshlrev_b32_e32 v10, 20, v10
	v_and_b32_e32 v12, 0x80000000, v12
	v_lshl_add_u32 v11, v11, 23, v13
	v_or3_b32 v10, v12, v11, v10
.LBB37_1668:
	s_or_b64 exec, exec, s[6:7]
	s_movk_i32 s4, 0x7f
	v_cmp_gt_i16_sdwa s[6:7], v2, s4 src0_sel:BYTE_0 src1_sel:DWORD
	s_mov_b64 s[4:5], 0
                                        ; implicit-def: $sgpr10
	s_and_saveexec_b64 s[8:9], s[6:7]
	s_xor_b64 s[6:7], exec, s[8:9]
	s_cbranch_execnz .LBB37_3717
; %bb.1669:
	s_or_saveexec_b64 s[6:7], s[6:7]
	v_mov_b32_e32 v11, s10
	s_xor_b64 exec, exec, s[6:7]
	s_cbranch_execnz .LBB37_3720
.LBB37_1670:
	s_or_b64 exec, exec, s[6:7]
	s_and_saveexec_b64 s[6:7], s[4:5]
	s_cbranch_execz .LBB37_1672
.LBB37_1671:
	v_and_b32_e32 v11, 7, v2
	v_ffbh_u32_e32 v13, v11
	v_min_u32_e32 v13, 32, v13
	v_lshrrev_b16_e32 v12, 3, v2
	v_subrev_u32_e32 v14, 28, v13
	v_and_b32_e32 v12, 15, v12
	v_lshlrev_b32_e32 v14, v14, v2
	v_sub_u32_e32 v13, 29, v13
	v_and_b32_e32 v14, 7, v14
	v_cmp_eq_u16_e32 vcc, 0, v12
	v_cndmask_b32_e32 v11, v11, v14, vcc
	v_cndmask_b32_e32 v12, v12, v13, vcc
	v_lshlrev_b32_e32 v13, 24, v2
	v_mov_b32_e32 v14, 0x3b800000
	v_lshlrev_b32_e32 v11, 20, v11
	v_and_b32_e32 v13, 0x80000000, v13
	v_lshl_add_u32 v12, v12, 23, v14
	v_or3_b32 v11, v13, v12, v11
.LBB37_1672:
	s_or_b64 exec, exec, s[6:7]
	s_nop 0
	v_mfma_f32_16x16x4f32 a[0:3], v10, v11, a[0:3]
	v_lshrrev_b32_e32 v11, 8, v6
	s_movk_i32 s4, 0x7f
	v_cmp_gt_i16_sdwa s[6:7], v11, s4 src0_sel:BYTE_0 src1_sel:DWORD
	s_mov_b64 s[4:5], 0
                                        ; implicit-def: $sgpr10
	s_and_saveexec_b64 s[8:9], s[6:7]
	s_xor_b64 s[6:7], exec, s[8:9]
	s_cbranch_execnz .LBB37_3721
; %bb.1673:
	s_or_saveexec_b64 s[6:7], s[6:7]
	v_mov_b32_e32 v10, s10
	s_xor_b64 exec, exec, s[6:7]
	s_cbranch_execnz .LBB37_3724
.LBB37_1674:
	s_or_b64 exec, exec, s[6:7]
	s_and_saveexec_b64 s[6:7], s[4:5]
	s_cbranch_execz .LBB37_1676
.LBB37_1675:
	v_bfe_u32 v10, v6, 8, 3
	v_ffbh_u32_e32 v13, v10
	v_min_u32_e32 v13, 32, v13
	v_lshrrev_b16_e32 v12, 3, v11
	v_subrev_u32_e32 v14, 28, v13
	v_and_b32_e32 v12, 15, v12
	v_lshlrev_b32_e32 v11, v14, v11
	v_sub_u32_e32 v13, 29, v13
	v_and_b32_e32 v11, 7, v11
	v_cmp_eq_u16_e32 vcc, 0, v12
	v_cndmask_b32_e32 v10, v10, v11, vcc
	v_cndmask_b32_e32 v11, v12, v13, vcc
	v_lshlrev_b32_e32 v12, 16, v6
	v_mov_b32_e32 v13, 0x3b800000
	v_lshlrev_b32_e32 v10, 20, v10
	v_and_b32_e32 v12, 0x80000000, v12
	v_lshl_add_u32 v11, v11, 23, v13
	v_or3_b32 v10, v12, v11, v10
.LBB37_1676:
	s_or_b64 exec, exec, s[6:7]
	v_lshrrev_b32_e32 v11, 8, v2
	s_movk_i32 s4, 0x7f
	v_cmp_gt_i16_sdwa s[6:7], v11, s4 src0_sel:BYTE_0 src1_sel:DWORD
	s_mov_b64 s[4:5], 0
                                        ; implicit-def: $sgpr10
	s_and_saveexec_b64 s[8:9], s[6:7]
	s_xor_b64 s[6:7], exec, s[8:9]
	s_cbranch_execnz .LBB37_3725
; %bb.1677:
	s_or_saveexec_b64 s[6:7], s[6:7]
	v_mov_b32_e32 v12, s10
	s_xor_b64 exec, exec, s[6:7]
	s_cbranch_execnz .LBB37_3728
.LBB37_1678:
	s_or_b64 exec, exec, s[6:7]
	s_and_saveexec_b64 s[6:7], s[4:5]
	s_cbranch_execz .LBB37_1680
.LBB37_1679:
	v_bfe_u32 v12, v2, 8, 3
	v_ffbh_u32_e32 v14, v12
	v_min_u32_e32 v14, 32, v14
	v_lshrrev_b16_e32 v13, 3, v11
	v_subrev_u32_e32 v15, 28, v14
	v_and_b32_e32 v13, 15, v13
	v_lshlrev_b32_e32 v11, v15, v11
	v_sub_u32_e32 v14, 29, v14
	v_and_b32_e32 v11, 7, v11
	v_cmp_eq_u16_e32 vcc, 0, v13
	v_cndmask_b32_e32 v11, v12, v11, vcc
	v_cndmask_b32_e32 v12, v13, v14, vcc
	v_lshlrev_b32_e32 v13, 16, v2
	v_mov_b32_e32 v14, 0x3b800000
	v_lshlrev_b32_e32 v11, 20, v11
	v_and_b32_e32 v13, 0x80000000, v13
	v_lshl_add_u32 v12, v12, 23, v14
	v_or3_b32 v12, v13, v12, v11
.LBB37_1680:
	s_or_b64 exec, exec, s[6:7]
	s_nop 0
	v_mfma_f32_16x16x4f32 a[0:3], v10, v12, a[0:3]
	s_movk_i32 s4, 0xff
	v_and_b32_sdwa v11, v6, s4 dst_sel:DWORD dst_unused:UNUSED_PAD src0_sel:WORD_1 src1_sel:DWORD
	s_movk_i32 s4, 0x7f
	v_cmp_lt_i16_e32 vcc, s4, v11
	s_mov_b64 s[4:5], 0
                                        ; implicit-def: $sgpr10
	s_and_saveexec_b64 s[6:7], vcc
	s_xor_b64 s[6:7], exec, s[6:7]
	s_cbranch_execnz .LBB37_3729
; %bb.1681:
	s_or_saveexec_b64 s[6:7], s[6:7]
	v_mov_b32_e32 v10, s10
	s_xor_b64 exec, exec, s[6:7]
	s_cbranch_execnz .LBB37_3732
.LBB37_1682:
	s_or_b64 exec, exec, s[6:7]
	s_and_saveexec_b64 s[6:7], s[4:5]
	s_cbranch_execz .LBB37_1684
.LBB37_1683:
	v_bfe_u32 v10, v6, 16, 3
	v_ffbh_u32_e32 v13, v10
	v_min_u32_e32 v13, 32, v13
	v_lshrrev_b32_e32 v11, 19, v6
	v_subrev_u32_e32 v14, 28, v13
	v_and_b32_e32 v11, 15, v11
	v_lshlrev_b32_sdwa v14, v14, v6 dst_sel:DWORD dst_unused:UNUSED_PAD src0_sel:DWORD src1_sel:WORD_1
	v_bfe_u32 v12, v6, 19, 4
	v_sub_u32_e32 v13, 29, v13
	v_and_b32_e32 v14, 7, v14
	v_cmp_eq_u16_e32 vcc, 0, v11
	v_cndmask_b32_e32 v10, v10, v14, vcc
	v_cndmask_b32_e32 v11, v12, v13, vcc
	v_lshlrev_b32_e32 v12, 8, v6
	v_mov_b32_e32 v13, 0x3b800000
	v_lshlrev_b32_e32 v10, 20, v10
	v_and_b32_e32 v12, 0x80000000, v12
	v_lshl_add_u32 v11, v11, 23, v13
	v_or3_b32 v10, v12, v11, v10
.LBB37_1684:
	s_or_b64 exec, exec, s[6:7]
	s_movk_i32 s4, 0xff
	v_and_b32_sdwa v11, v2, s4 dst_sel:DWORD dst_unused:UNUSED_PAD src0_sel:WORD_1 src1_sel:DWORD
	s_movk_i32 s4, 0x7f
	v_cmp_lt_i16_e32 vcc, s4, v11
	s_mov_b64 s[4:5], 0
                                        ; implicit-def: $sgpr10
	s_and_saveexec_b64 s[6:7], vcc
	s_xor_b64 s[6:7], exec, s[6:7]
	s_cbranch_execnz .LBB37_3733
; %bb.1685:
	s_or_saveexec_b64 s[6:7], s[6:7]
	v_mov_b32_e32 v12, s10
	s_xor_b64 exec, exec, s[6:7]
	s_cbranch_execnz .LBB37_3736
.LBB37_1686:
	s_or_b64 exec, exec, s[6:7]
	s_and_saveexec_b64 s[6:7], s[4:5]
	s_cbranch_execz .LBB37_1688
.LBB37_1687:
	v_bfe_u32 v11, v2, 16, 3
	v_ffbh_u32_e32 v14, v11
	v_min_u32_e32 v14, 32, v14
	v_lshrrev_b32_e32 v12, 19, v2
	v_subrev_u32_e32 v15, 28, v14
	v_and_b32_e32 v12, 15, v12
	v_lshlrev_b32_sdwa v15, v15, v2 dst_sel:DWORD dst_unused:UNUSED_PAD src0_sel:DWORD src1_sel:WORD_1
	v_bfe_u32 v13, v2, 19, 4
	v_sub_u32_e32 v14, 29, v14
	v_and_b32_e32 v15, 7, v15
	v_cmp_eq_u16_e32 vcc, 0, v12
	v_cndmask_b32_e32 v11, v11, v15, vcc
	v_cndmask_b32_e32 v12, v13, v14, vcc
	v_lshlrev_b32_e32 v13, 8, v2
	v_mov_b32_e32 v14, 0x3b800000
	v_lshlrev_b32_e32 v11, 20, v11
	v_and_b32_e32 v13, 0x80000000, v13
	v_lshl_add_u32 v12, v12, 23, v14
	v_or3_b32 v12, v13, v12, v11
.LBB37_1688:
	s_or_b64 exec, exec, s[6:7]
	s_nop 0
	v_mfma_f32_16x16x4f32 a[0:3], v10, v12, a[0:3]
	s_movk_i32 s4, 0x7f
	v_cmp_gt_i16_sdwa s[6:7], v6, s4 src0_sel:BYTE_3 src1_sel:DWORD
	s_mov_b64 s[4:5], 0
                                        ; implicit-def: $sgpr10
	s_and_saveexec_b64 s[8:9], s[6:7]
	s_xor_b64 s[6:7], exec, s[8:9]
	s_cbranch_execnz .LBB37_3737
; %bb.1689:
	s_or_saveexec_b64 s[6:7], s[6:7]
	v_mov_b32_e32 v10, s10
	s_xor_b64 exec, exec, s[6:7]
	s_cbranch_execnz .LBB37_3740
.LBB37_1690:
	s_or_b64 exec, exec, s[6:7]
	s_and_saveexec_b64 s[6:7], s[4:5]
	s_cbranch_execz .LBB37_1692
.LBB37_1691:
	v_bfe_u32 v10, v6, 24, 3
	v_ffbh_u32_e32 v14, v10
	v_min_u32_e32 v14, 32, v14
	v_lshrrev_b32_e32 v12, 27, v6
	v_subrev_u32_e32 v15, 28, v14
	v_and_b32_e32 v11, 0x80000000, v6
	v_and_b32_e32 v12, 15, v12
	v_bfe_u32 v13, v6, 27, 4
	v_lshlrev_b32_sdwa v6, v15, v6 dst_sel:DWORD dst_unused:UNUSED_PAD src0_sel:DWORD src1_sel:BYTE_3
	v_sub_u32_e32 v14, 29, v14
	v_and_b32_e32 v6, 7, v6
	v_cmp_eq_u16_e32 vcc, 0, v12
	v_cndmask_b32_e32 v6, v10, v6, vcc
	v_cndmask_b32_e32 v10, v13, v14, vcc
	v_mov_b32_e32 v12, 0x3b800000
	v_lshlrev_b32_e32 v6, 20, v6
	v_lshl_add_u32 v10, v10, 23, v12
	v_or3_b32 v10, v11, v10, v6
.LBB37_1692:
	s_or_b64 exec, exec, s[6:7]
	s_movk_i32 s4, 0x7f
	v_cmp_gt_i16_sdwa s[6:7], v2, s4 src0_sel:BYTE_3 src1_sel:DWORD
	s_mov_b64 s[4:5], 0
                                        ; implicit-def: $sgpr10
	s_and_saveexec_b64 s[8:9], s[6:7]
	s_xor_b64 s[6:7], exec, s[8:9]
	s_cbranch_execnz .LBB37_3741
; %bb.1693:
	s_or_saveexec_b64 s[6:7], s[6:7]
	v_mov_b32_e32 v6, s10
	s_xor_b64 exec, exec, s[6:7]
	s_cbranch_execnz .LBB37_3744
.LBB37_1694:
	s_or_b64 exec, exec, s[6:7]
	s_and_saveexec_b64 s[6:7], s[4:5]
	s_cbranch_execz .LBB37_1696
.LBB37_1695:
	v_bfe_u32 v6, v2, 24, 3
	v_ffbh_u32_e32 v14, v6
	v_min_u32_e32 v14, 32, v14
	v_lshrrev_b32_e32 v12, 27, v2
	v_subrev_u32_e32 v15, 28, v14
	v_and_b32_e32 v11, 0x80000000, v2
	v_and_b32_e32 v12, 15, v12
	v_bfe_u32 v13, v2, 27, 4
	v_lshlrev_b32_sdwa v2, v15, v2 dst_sel:DWORD dst_unused:UNUSED_PAD src0_sel:DWORD src1_sel:BYTE_3
	v_sub_u32_e32 v14, 29, v14
	v_and_b32_e32 v2, 7, v2
	v_cmp_eq_u16_e32 vcc, 0, v12
	v_cndmask_b32_e32 v2, v6, v2, vcc
	v_cndmask_b32_e32 v6, v13, v14, vcc
	v_mov_b32_e32 v12, 0x3b800000
	v_lshlrev_b32_e32 v2, 20, v2
	v_lshl_add_u32 v6, v6, 23, v12
	v_or3_b32 v6, v11, v6, v2
.LBB37_1696:
	s_or_b64 exec, exec, s[6:7]
	s_nop 0
	v_mfma_f32_16x16x4f32 a[0:3], v10, v6, a[0:3]
	s_movk_i32 s4, 0x7f
	v_cmp_gt_i16_sdwa s[6:7], v7, s4 src0_sel:BYTE_0 src1_sel:DWORD
	s_mov_b64 s[4:5], 0
                                        ; implicit-def: $sgpr10
	s_and_saveexec_b64 s[8:9], s[6:7]
	s_xor_b64 s[6:7], exec, s[8:9]
	s_cbranch_execnz .LBB37_3745
; %bb.1697:
	s_or_saveexec_b64 s[6:7], s[6:7]
	v_mov_b32_e32 v2, s10
	s_xor_b64 exec, exec, s[6:7]
	s_cbranch_execnz .LBB37_3748
.LBB37_1698:
	s_or_b64 exec, exec, s[6:7]
	s_and_saveexec_b64 s[6:7], s[4:5]
	s_cbranch_execz .LBB37_1700
.LBB37_1699:
	v_and_b32_e32 v2, 7, v7
	v_ffbh_u32_e32 v10, v2
	v_min_u32_e32 v10, 32, v10
	v_lshrrev_b16_e32 v6, 3, v7
	v_subrev_u32_e32 v11, 28, v10
	v_and_b32_e32 v6, 15, v6
	v_lshlrev_b32_e32 v11, v11, v7
	v_sub_u32_e32 v10, 29, v10
	v_and_b32_e32 v11, 7, v11
	v_cmp_eq_u16_e32 vcc, 0, v6
	v_cndmask_b32_e32 v2, v2, v11, vcc
	v_cndmask_b32_e32 v6, v6, v10, vcc
	v_lshlrev_b32_e32 v10, 24, v7
	v_mov_b32_e32 v11, 0x3b800000
	v_lshlrev_b32_e32 v2, 20, v2
	v_and_b32_e32 v10, 0x80000000, v10
	v_lshl_add_u32 v6, v6, 23, v11
	v_or3_b32 v2, v10, v6, v2
.LBB37_1700:
	s_or_b64 exec, exec, s[6:7]
	s_movk_i32 s4, 0x7f
	v_cmp_gt_i16_sdwa s[6:7], v3, s4 src0_sel:BYTE_0 src1_sel:DWORD
	s_mov_b64 s[4:5], 0
                                        ; implicit-def: $sgpr10
	s_and_saveexec_b64 s[8:9], s[6:7]
	s_xor_b64 s[6:7], exec, s[8:9]
	s_cbranch_execnz .LBB37_3749
; %bb.1701:
	s_or_saveexec_b64 s[6:7], s[6:7]
	v_mov_b32_e32 v6, s10
	s_xor_b64 exec, exec, s[6:7]
	s_cbranch_execnz .LBB37_3752
.LBB37_1702:
	s_or_b64 exec, exec, s[6:7]
	s_and_saveexec_b64 s[6:7], s[4:5]
	s_cbranch_execz .LBB37_1704
.LBB37_1703:
	v_and_b32_e32 v6, 7, v3
	v_ffbh_u32_e32 v11, v6
	v_min_u32_e32 v11, 32, v11
	v_lshrrev_b16_e32 v10, 3, v3
	v_subrev_u32_e32 v12, 28, v11
	v_and_b32_e32 v10, 15, v10
	v_lshlrev_b32_e32 v12, v12, v3
	v_sub_u32_e32 v11, 29, v11
	v_and_b32_e32 v12, 7, v12
	v_cmp_eq_u16_e32 vcc, 0, v10
	v_cndmask_b32_e32 v6, v6, v12, vcc
	v_cndmask_b32_e32 v10, v10, v11, vcc
	v_lshlrev_b32_e32 v11, 24, v3
	v_mov_b32_e32 v12, 0x3b800000
	v_lshlrev_b32_e32 v6, 20, v6
	v_and_b32_e32 v11, 0x80000000, v11
	v_lshl_add_u32 v10, v10, 23, v12
	v_or3_b32 v6, v11, v10, v6
.LBB37_1704:
	s_or_b64 exec, exec, s[6:7]
	s_nop 0
	v_mfma_f32_16x16x4f32 a[0:3], v2, v6, a[0:3]
	v_lshrrev_b32_e32 v6, 8, v7
	s_movk_i32 s4, 0x7f
	v_cmp_gt_i16_sdwa s[6:7], v6, s4 src0_sel:BYTE_0 src1_sel:DWORD
	s_mov_b64 s[4:5], 0
                                        ; implicit-def: $sgpr10
	s_and_saveexec_b64 s[8:9], s[6:7]
	s_xor_b64 s[6:7], exec, s[8:9]
	s_cbranch_execnz .LBB37_3753
; %bb.1705:
	s_or_saveexec_b64 s[6:7], s[6:7]
	v_mov_b32_e32 v2, s10
	s_xor_b64 exec, exec, s[6:7]
	s_cbranch_execnz .LBB37_3756
.LBB37_1706:
	s_or_b64 exec, exec, s[6:7]
	s_and_saveexec_b64 s[6:7], s[4:5]
	s_cbranch_execz .LBB37_1708
.LBB37_1707:
	v_bfe_u32 v2, v7, 8, 3
	v_ffbh_u32_e32 v11, v2
	v_min_u32_e32 v11, 32, v11
	v_lshrrev_b16_e32 v10, 3, v6
	v_subrev_u32_e32 v12, 28, v11
	v_and_b32_e32 v10, 15, v10
	v_lshlrev_b32_e32 v6, v12, v6
	v_sub_u32_e32 v11, 29, v11
	v_and_b32_e32 v6, 7, v6
	v_cmp_eq_u16_e32 vcc, 0, v10
	v_cndmask_b32_e32 v2, v2, v6, vcc
	v_cndmask_b32_e32 v6, v10, v11, vcc
	v_lshlrev_b32_e32 v10, 16, v7
	v_mov_b32_e32 v11, 0x3b800000
	v_lshlrev_b32_e32 v2, 20, v2
	v_and_b32_e32 v10, 0x80000000, v10
	v_lshl_add_u32 v6, v6, 23, v11
	v_or3_b32 v2, v10, v6, v2
.LBB37_1708:
	s_or_b64 exec, exec, s[6:7]
	v_lshrrev_b32_e32 v6, 8, v3
	s_movk_i32 s4, 0x7f
	v_cmp_gt_i16_sdwa s[6:7], v6, s4 src0_sel:BYTE_0 src1_sel:DWORD
	s_mov_b64 s[4:5], 0
                                        ; implicit-def: $sgpr10
	s_and_saveexec_b64 s[8:9], s[6:7]
	s_xor_b64 s[6:7], exec, s[8:9]
	s_cbranch_execnz .LBB37_3757
; %bb.1709:
	s_or_saveexec_b64 s[6:7], s[6:7]
	v_mov_b32_e32 v10, s10
	s_xor_b64 exec, exec, s[6:7]
	s_cbranch_execnz .LBB37_3760
.LBB37_1710:
	s_or_b64 exec, exec, s[6:7]
	s_and_saveexec_b64 s[6:7], s[4:5]
	s_cbranch_execz .LBB37_1712
.LBB37_1711:
	v_bfe_u32 v10, v3, 8, 3
	v_ffbh_u32_e32 v12, v10
	v_min_u32_e32 v12, 32, v12
	v_lshrrev_b16_e32 v11, 3, v6
	v_subrev_u32_e32 v13, 28, v12
	v_and_b32_e32 v11, 15, v11
	v_lshlrev_b32_e32 v6, v13, v6
	v_sub_u32_e32 v12, 29, v12
	v_and_b32_e32 v6, 7, v6
	v_cmp_eq_u16_e32 vcc, 0, v11
	v_cndmask_b32_e32 v6, v10, v6, vcc
	v_cndmask_b32_e32 v10, v11, v12, vcc
	v_lshlrev_b32_e32 v11, 16, v3
	v_mov_b32_e32 v12, 0x3b800000
	v_lshlrev_b32_e32 v6, 20, v6
	v_and_b32_e32 v11, 0x80000000, v11
	v_lshl_add_u32 v10, v10, 23, v12
	v_or3_b32 v10, v11, v10, v6
.LBB37_1712:
	s_or_b64 exec, exec, s[6:7]
	s_nop 0
	v_mfma_f32_16x16x4f32 a[0:3], v2, v10, a[0:3]
	s_movk_i32 s4, 0xff
	v_and_b32_sdwa v6, v7, s4 dst_sel:DWORD dst_unused:UNUSED_PAD src0_sel:WORD_1 src1_sel:DWORD
	s_movk_i32 s4, 0x7f
	v_cmp_lt_i16_e32 vcc, s4, v6
	s_mov_b64 s[4:5], 0
                                        ; implicit-def: $sgpr10
	s_and_saveexec_b64 s[6:7], vcc
	s_xor_b64 s[6:7], exec, s[6:7]
	s_cbranch_execnz .LBB37_3761
; %bb.1713:
	s_or_saveexec_b64 s[6:7], s[6:7]
	v_mov_b32_e32 v2, s10
	s_xor_b64 exec, exec, s[6:7]
	s_cbranch_execnz .LBB37_3764
.LBB37_1714:
	s_or_b64 exec, exec, s[6:7]
	s_and_saveexec_b64 s[6:7], s[4:5]
	s_cbranch_execz .LBB37_1716
.LBB37_1715:
	v_bfe_u32 v2, v7, 16, 3
	v_ffbh_u32_e32 v11, v2
	v_min_u32_e32 v11, 32, v11
	v_lshrrev_b32_e32 v6, 19, v7
	v_subrev_u32_e32 v12, 28, v11
	v_and_b32_e32 v6, 15, v6
	v_lshlrev_b32_sdwa v12, v12, v7 dst_sel:DWORD dst_unused:UNUSED_PAD src0_sel:DWORD src1_sel:WORD_1
	v_bfe_u32 v10, v7, 19, 4
	v_sub_u32_e32 v11, 29, v11
	v_and_b32_e32 v12, 7, v12
	v_cmp_eq_u16_e32 vcc, 0, v6
	v_cndmask_b32_e32 v2, v2, v12, vcc
	v_cndmask_b32_e32 v6, v10, v11, vcc
	v_lshlrev_b32_e32 v10, 8, v7
	v_mov_b32_e32 v11, 0x3b800000
	v_lshlrev_b32_e32 v2, 20, v2
	v_and_b32_e32 v10, 0x80000000, v10
	v_lshl_add_u32 v6, v6, 23, v11
	v_or3_b32 v2, v10, v6, v2
.LBB37_1716:
	s_or_b64 exec, exec, s[6:7]
	s_movk_i32 s4, 0xff
	v_and_b32_sdwa v6, v3, s4 dst_sel:DWORD dst_unused:UNUSED_PAD src0_sel:WORD_1 src1_sel:DWORD
	s_movk_i32 s4, 0x7f
	v_cmp_lt_i16_e32 vcc, s4, v6
	s_mov_b64 s[4:5], 0
                                        ; implicit-def: $sgpr10
	s_and_saveexec_b64 s[6:7], vcc
	s_xor_b64 s[6:7], exec, s[6:7]
	s_cbranch_execnz .LBB37_3765
; %bb.1717:
	s_or_saveexec_b64 s[6:7], s[6:7]
	v_mov_b32_e32 v10, s10
	s_xor_b64 exec, exec, s[6:7]
	s_cbranch_execnz .LBB37_3768
.LBB37_1718:
	s_or_b64 exec, exec, s[6:7]
	s_and_saveexec_b64 s[6:7], s[4:5]
	s_cbranch_execz .LBB37_1720
.LBB37_1719:
	v_bfe_u32 v6, v3, 16, 3
	v_ffbh_u32_e32 v12, v6
	v_min_u32_e32 v12, 32, v12
	v_lshrrev_b32_e32 v10, 19, v3
	v_subrev_u32_e32 v13, 28, v12
	v_and_b32_e32 v10, 15, v10
	v_lshlrev_b32_sdwa v13, v13, v3 dst_sel:DWORD dst_unused:UNUSED_PAD src0_sel:DWORD src1_sel:WORD_1
	v_bfe_u32 v11, v3, 19, 4
	v_sub_u32_e32 v12, 29, v12
	v_and_b32_e32 v13, 7, v13
	v_cmp_eq_u16_e32 vcc, 0, v10
	v_cndmask_b32_e32 v6, v6, v13, vcc
	v_cndmask_b32_e32 v10, v11, v12, vcc
	v_lshlrev_b32_e32 v11, 8, v3
	v_mov_b32_e32 v12, 0x3b800000
	v_lshlrev_b32_e32 v6, 20, v6
	v_and_b32_e32 v11, 0x80000000, v11
	v_lshl_add_u32 v10, v10, 23, v12
	v_or3_b32 v10, v11, v10, v6
.LBB37_1720:
	s_or_b64 exec, exec, s[6:7]
	s_nop 0
	v_mfma_f32_16x16x4f32 a[0:3], v2, v10, a[0:3]
	s_movk_i32 s4, 0x7f
	v_cmp_gt_i16_sdwa s[6:7], v7, s4 src0_sel:BYTE_3 src1_sel:DWORD
	s_mov_b64 s[4:5], 0
                                        ; implicit-def: $sgpr10
	s_and_saveexec_b64 s[8:9], s[6:7]
	s_xor_b64 s[6:7], exec, s[8:9]
	s_cbranch_execnz .LBB37_3769
; %bb.1721:
	s_or_saveexec_b64 s[6:7], s[6:7]
	v_mov_b32_e32 v2, s10
	s_xor_b64 exec, exec, s[6:7]
	s_cbranch_execnz .LBB37_3772
.LBB37_1722:
	s_or_b64 exec, exec, s[6:7]
	s_and_saveexec_b64 s[6:7], s[4:5]
	s_cbranch_execz .LBB37_1724
.LBB37_1723:
	v_bfe_u32 v2, v7, 24, 3
	v_ffbh_u32_e32 v12, v2
	v_min_u32_e32 v12, 32, v12
	v_lshrrev_b32_e32 v10, 27, v7
	v_subrev_u32_e32 v13, 28, v12
	v_and_b32_e32 v6, 0x80000000, v7
	v_and_b32_e32 v10, 15, v10
	v_bfe_u32 v11, v7, 27, 4
	v_lshlrev_b32_sdwa v7, v13, v7 dst_sel:DWORD dst_unused:UNUSED_PAD src0_sel:DWORD src1_sel:BYTE_3
	v_sub_u32_e32 v12, 29, v12
	v_and_b32_e32 v7, 7, v7
	v_cmp_eq_u16_e32 vcc, 0, v10
	v_cndmask_b32_e32 v2, v2, v7, vcc
	v_cndmask_b32_e32 v7, v11, v12, vcc
	v_mov_b32_e32 v10, 0x3b800000
	v_lshlrev_b32_e32 v2, 20, v2
	v_lshl_add_u32 v7, v7, 23, v10
	v_or3_b32 v2, v6, v7, v2
.LBB37_1724:
	s_or_b64 exec, exec, s[6:7]
	s_movk_i32 s4, 0x7f
	v_cmp_gt_i16_sdwa s[6:7], v3, s4 src0_sel:BYTE_3 src1_sel:DWORD
	s_mov_b64 s[4:5], 0
                                        ; implicit-def: $sgpr10
	s_and_saveexec_b64 s[8:9], s[6:7]
	s_xor_b64 s[6:7], exec, s[8:9]
	s_cbranch_execnz .LBB37_3773
; %bb.1725:
	s_or_saveexec_b64 s[6:7], s[6:7]
	v_mov_b32_e32 v6, s10
	s_xor_b64 exec, exec, s[6:7]
	s_cbranch_execnz .LBB37_3776
.LBB37_1726:
	s_or_b64 exec, exec, s[6:7]
	s_and_saveexec_b64 s[6:7], s[4:5]
	s_cbranch_execz .LBB37_1728
.LBB37_1727:
	v_bfe_u32 v6, v3, 24, 3
	v_ffbh_u32_e32 v12, v6
	v_min_u32_e32 v12, 32, v12
	v_lshrrev_b32_e32 v10, 27, v3
	v_subrev_u32_e32 v13, 28, v12
	v_and_b32_e32 v7, 0x80000000, v3
	v_and_b32_e32 v10, 15, v10
	v_bfe_u32 v11, v3, 27, 4
	v_lshlrev_b32_sdwa v3, v13, v3 dst_sel:DWORD dst_unused:UNUSED_PAD src0_sel:DWORD src1_sel:BYTE_3
	v_sub_u32_e32 v12, 29, v12
	v_and_b32_e32 v3, 7, v3
	v_cmp_eq_u16_e32 vcc, 0, v10
	v_cndmask_b32_e32 v3, v6, v3, vcc
	v_cndmask_b32_e32 v6, v11, v12, vcc
	v_mov_b32_e32 v10, 0x3b800000
	v_lshlrev_b32_e32 v3, 20, v3
	v_lshl_add_u32 v6, v6, 23, v10
	v_or3_b32 v6, v7, v6, v3
.LBB37_1728:
	s_or_b64 exec, exec, s[6:7]
	s_nop 0
	v_mfma_f32_16x16x4f32 a[0:3], v2, v6, a[0:3]
	s_movk_i32 s4, 0x7f
	v_cmp_gt_i16_sdwa s[6:7], v8, s4 src0_sel:BYTE_0 src1_sel:DWORD
	s_mov_b64 s[4:5], 0
                                        ; implicit-def: $sgpr10
	s_and_saveexec_b64 s[8:9], s[6:7]
	s_xor_b64 s[6:7], exec, s[8:9]
	s_cbranch_execnz .LBB37_3777
; %bb.1729:
	s_or_saveexec_b64 s[6:7], s[6:7]
	v_mov_b32_e32 v2, s10
	s_xor_b64 exec, exec, s[6:7]
	s_cbranch_execnz .LBB37_3780
.LBB37_1730:
	s_or_b64 exec, exec, s[6:7]
	s_and_saveexec_b64 s[6:7], s[4:5]
	s_cbranch_execz .LBB37_1732
.LBB37_1731:
	v_and_b32_e32 v2, 7, v8
	v_ffbh_u32_e32 v6, v2
	v_min_u32_e32 v6, 32, v6
	v_lshrrev_b16_e32 v3, 3, v8
	v_subrev_u32_e32 v7, 28, v6
	v_and_b32_e32 v3, 15, v3
	v_lshlrev_b32_e32 v7, v7, v8
	v_sub_u32_e32 v6, 29, v6
	v_and_b32_e32 v7, 7, v7
	v_cmp_eq_u16_e32 vcc, 0, v3
	v_cndmask_b32_e32 v2, v2, v7, vcc
	v_cndmask_b32_e32 v3, v3, v6, vcc
	v_lshlrev_b32_e32 v6, 24, v8
	v_mov_b32_e32 v7, 0x3b800000
	v_lshlrev_b32_e32 v2, 20, v2
	v_and_b32_e32 v6, 0x80000000, v6
	v_lshl_add_u32 v3, v3, 23, v7
	v_or3_b32 v2, v6, v3, v2
.LBB37_1732:
	s_or_b64 exec, exec, s[6:7]
	s_movk_i32 s4, 0x7f
	v_cmp_gt_i16_sdwa s[6:7], v4, s4 src0_sel:BYTE_0 src1_sel:DWORD
	s_mov_b64 s[4:5], 0
                                        ; implicit-def: $sgpr10
	s_and_saveexec_b64 s[8:9], s[6:7]
	s_xor_b64 s[6:7], exec, s[8:9]
	s_cbranch_execnz .LBB37_3781
; %bb.1733:
	s_or_saveexec_b64 s[6:7], s[6:7]
	v_mov_b32_e32 v3, s10
	s_xor_b64 exec, exec, s[6:7]
	s_cbranch_execnz .LBB37_3784
.LBB37_1734:
	s_or_b64 exec, exec, s[6:7]
	s_and_saveexec_b64 s[6:7], s[4:5]
	s_cbranch_execz .LBB37_1736
.LBB37_1735:
	v_and_b32_e32 v3, 7, v4
	v_ffbh_u32_e32 v7, v3
	v_min_u32_e32 v7, 32, v7
	v_lshrrev_b16_e32 v6, 3, v4
	v_subrev_u32_e32 v10, 28, v7
	v_and_b32_e32 v6, 15, v6
	v_lshlrev_b32_e32 v10, v10, v4
	v_sub_u32_e32 v7, 29, v7
	v_and_b32_e32 v10, 7, v10
	v_cmp_eq_u16_e32 vcc, 0, v6
	v_cndmask_b32_e32 v3, v3, v10, vcc
	v_cndmask_b32_e32 v6, v6, v7, vcc
	v_lshlrev_b32_e32 v7, 24, v4
	v_mov_b32_e32 v10, 0x3b800000
	v_lshlrev_b32_e32 v3, 20, v3
	v_and_b32_e32 v7, 0x80000000, v7
	v_lshl_add_u32 v6, v6, 23, v10
	v_or3_b32 v3, v7, v6, v3
.LBB37_1736:
	s_or_b64 exec, exec, s[6:7]
	s_nop 0
	v_mfma_f32_16x16x4f32 a[0:3], v2, v3, a[0:3]
	v_lshrrev_b32_e32 v3, 8, v8
	s_movk_i32 s4, 0x7f
	v_cmp_gt_i16_sdwa s[6:7], v3, s4 src0_sel:BYTE_0 src1_sel:DWORD
	s_mov_b64 s[4:5], 0
                                        ; implicit-def: $sgpr10
	s_and_saveexec_b64 s[8:9], s[6:7]
	s_xor_b64 s[6:7], exec, s[8:9]
	s_cbranch_execnz .LBB37_3785
; %bb.1737:
	s_or_saveexec_b64 s[6:7], s[6:7]
	v_mov_b32_e32 v2, s10
	s_xor_b64 exec, exec, s[6:7]
	s_cbranch_execnz .LBB37_3788
.LBB37_1738:
	s_or_b64 exec, exec, s[6:7]
	s_and_saveexec_b64 s[6:7], s[4:5]
	s_cbranch_execz .LBB37_1740
.LBB37_1739:
	v_bfe_u32 v2, v8, 8, 3
	v_ffbh_u32_e32 v7, v2
	v_min_u32_e32 v7, 32, v7
	v_lshrrev_b16_e32 v6, 3, v3
	v_subrev_u32_e32 v10, 28, v7
	v_and_b32_e32 v6, 15, v6
	v_lshlrev_b32_e32 v3, v10, v3
	v_sub_u32_e32 v7, 29, v7
	v_and_b32_e32 v3, 7, v3
	v_cmp_eq_u16_e32 vcc, 0, v6
	v_cndmask_b32_e32 v2, v2, v3, vcc
	v_cndmask_b32_e32 v3, v6, v7, vcc
	v_lshlrev_b32_e32 v6, 16, v8
	v_mov_b32_e32 v7, 0x3b800000
	v_lshlrev_b32_e32 v2, 20, v2
	v_and_b32_e32 v6, 0x80000000, v6
	v_lshl_add_u32 v3, v3, 23, v7
	v_or3_b32 v2, v6, v3, v2
.LBB37_1740:
	s_or_b64 exec, exec, s[6:7]
	v_lshrrev_b32_e32 v3, 8, v4
	s_movk_i32 s4, 0x7f
	v_cmp_gt_i16_sdwa s[6:7], v3, s4 src0_sel:BYTE_0 src1_sel:DWORD
	s_mov_b64 s[4:5], 0
                                        ; implicit-def: $sgpr10
	s_and_saveexec_b64 s[8:9], s[6:7]
	s_xor_b64 s[6:7], exec, s[8:9]
	s_cbranch_execnz .LBB37_3789
; %bb.1741:
	s_or_saveexec_b64 s[6:7], s[6:7]
	v_mov_b32_e32 v6, s10
	s_xor_b64 exec, exec, s[6:7]
	s_cbranch_execnz .LBB37_3792
.LBB37_1742:
	s_or_b64 exec, exec, s[6:7]
	s_and_saveexec_b64 s[6:7], s[4:5]
	s_cbranch_execz .LBB37_1744
.LBB37_1743:
	v_bfe_u32 v6, v4, 8, 3
	v_ffbh_u32_e32 v10, v6
	v_min_u32_e32 v10, 32, v10
	v_lshrrev_b16_e32 v7, 3, v3
	v_subrev_u32_e32 v11, 28, v10
	v_and_b32_e32 v7, 15, v7
	v_lshlrev_b32_e32 v3, v11, v3
	v_sub_u32_e32 v10, 29, v10
	v_and_b32_e32 v3, 7, v3
	v_cmp_eq_u16_e32 vcc, 0, v7
	v_cndmask_b32_e32 v3, v6, v3, vcc
	v_cndmask_b32_e32 v6, v7, v10, vcc
	v_lshlrev_b32_e32 v7, 16, v4
	v_mov_b32_e32 v10, 0x3b800000
	v_lshlrev_b32_e32 v3, 20, v3
	v_and_b32_e32 v7, 0x80000000, v7
	v_lshl_add_u32 v6, v6, 23, v10
	v_or3_b32 v6, v7, v6, v3
.LBB37_1744:
	s_or_b64 exec, exec, s[6:7]
	s_nop 0
	v_mfma_f32_16x16x4f32 a[0:3], v2, v6, a[0:3]
	s_movk_i32 s4, 0xff
	v_and_b32_sdwa v3, v8, s4 dst_sel:DWORD dst_unused:UNUSED_PAD src0_sel:WORD_1 src1_sel:DWORD
	s_movk_i32 s4, 0x7f
	v_cmp_lt_i16_e32 vcc, s4, v3
	s_mov_b64 s[4:5], 0
                                        ; implicit-def: $sgpr10
	s_and_saveexec_b64 s[6:7], vcc
	s_xor_b64 s[6:7], exec, s[6:7]
	s_cbranch_execnz .LBB37_3793
; %bb.1745:
	s_or_saveexec_b64 s[6:7], s[6:7]
	v_mov_b32_e32 v2, s10
	s_xor_b64 exec, exec, s[6:7]
	s_cbranch_execnz .LBB37_3796
.LBB37_1746:
	s_or_b64 exec, exec, s[6:7]
	s_and_saveexec_b64 s[6:7], s[4:5]
	s_cbranch_execz .LBB37_1748
.LBB37_1747:
	v_bfe_u32 v2, v8, 16, 3
	v_ffbh_u32_e32 v7, v2
	v_min_u32_e32 v7, 32, v7
	v_lshrrev_b32_e32 v3, 19, v8
	v_subrev_u32_e32 v10, 28, v7
	v_and_b32_e32 v3, 15, v3
	v_lshlrev_b32_sdwa v10, v10, v8 dst_sel:DWORD dst_unused:UNUSED_PAD src0_sel:DWORD src1_sel:WORD_1
	v_bfe_u32 v6, v8, 19, 4
	v_sub_u32_e32 v7, 29, v7
	v_and_b32_e32 v10, 7, v10
	v_cmp_eq_u16_e32 vcc, 0, v3
	v_cndmask_b32_e32 v2, v2, v10, vcc
	v_cndmask_b32_e32 v3, v6, v7, vcc
	v_lshlrev_b32_e32 v6, 8, v8
	v_mov_b32_e32 v7, 0x3b800000
	v_lshlrev_b32_e32 v2, 20, v2
	v_and_b32_e32 v6, 0x80000000, v6
	v_lshl_add_u32 v3, v3, 23, v7
	v_or3_b32 v2, v6, v3, v2
.LBB37_1748:
	s_or_b64 exec, exec, s[6:7]
	s_movk_i32 s4, 0xff
	v_and_b32_sdwa v3, v4, s4 dst_sel:DWORD dst_unused:UNUSED_PAD src0_sel:WORD_1 src1_sel:DWORD
	s_movk_i32 s4, 0x7f
	v_cmp_lt_i16_e32 vcc, s4, v3
	s_mov_b64 s[4:5], 0
                                        ; implicit-def: $sgpr10
	s_and_saveexec_b64 s[6:7], vcc
	s_xor_b64 s[6:7], exec, s[6:7]
	s_cbranch_execnz .LBB37_3797
; %bb.1749:
	s_or_saveexec_b64 s[6:7], s[6:7]
	v_mov_b32_e32 v6, s10
	s_xor_b64 exec, exec, s[6:7]
	s_cbranch_execnz .LBB37_3800
.LBB37_1750:
	s_or_b64 exec, exec, s[6:7]
	s_and_saveexec_b64 s[6:7], s[4:5]
	s_cbranch_execz .LBB37_1752
.LBB37_1751:
	v_bfe_u32 v3, v4, 16, 3
	v_ffbh_u32_e32 v10, v3
	v_min_u32_e32 v10, 32, v10
	v_lshrrev_b32_e32 v6, 19, v4
	v_subrev_u32_e32 v11, 28, v10
	v_and_b32_e32 v6, 15, v6
	v_lshlrev_b32_sdwa v11, v11, v4 dst_sel:DWORD dst_unused:UNUSED_PAD src0_sel:DWORD src1_sel:WORD_1
	v_bfe_u32 v7, v4, 19, 4
	v_sub_u32_e32 v10, 29, v10
	v_and_b32_e32 v11, 7, v11
	v_cmp_eq_u16_e32 vcc, 0, v6
	v_cndmask_b32_e32 v3, v3, v11, vcc
	v_cndmask_b32_e32 v6, v7, v10, vcc
	v_lshlrev_b32_e32 v7, 8, v4
	v_mov_b32_e32 v10, 0x3b800000
	v_lshlrev_b32_e32 v3, 20, v3
	v_and_b32_e32 v7, 0x80000000, v7
	v_lshl_add_u32 v6, v6, 23, v10
	v_or3_b32 v6, v7, v6, v3
.LBB37_1752:
	s_or_b64 exec, exec, s[6:7]
	s_nop 0
	v_mfma_f32_16x16x4f32 a[0:3], v2, v6, a[0:3]
	s_movk_i32 s4, 0x7f
	v_cmp_gt_i16_sdwa s[6:7], v8, s4 src0_sel:BYTE_3 src1_sel:DWORD
	s_mov_b64 s[4:5], 0
                                        ; implicit-def: $sgpr10
	s_and_saveexec_b64 s[8:9], s[6:7]
	s_xor_b64 s[6:7], exec, s[8:9]
	s_cbranch_execnz .LBB37_3801
; %bb.1753:
	s_or_saveexec_b64 s[6:7], s[6:7]
	v_mov_b32_e32 v2, s10
	s_xor_b64 exec, exec, s[6:7]
	s_cbranch_execnz .LBB37_3804
.LBB37_1754:
	s_or_b64 exec, exec, s[6:7]
	s_and_saveexec_b64 s[6:7], s[4:5]
	s_cbranch_execz .LBB37_1756
.LBB37_1755:
	v_bfe_u32 v2, v8, 24, 3
	v_ffbh_u32_e32 v10, v2
	v_min_u32_e32 v10, 32, v10
	v_lshrrev_b32_e32 v6, 27, v8
	v_subrev_u32_e32 v11, 28, v10
	v_and_b32_e32 v3, 0x80000000, v8
	v_and_b32_e32 v6, 15, v6
	v_bfe_u32 v7, v8, 27, 4
	v_lshlrev_b32_sdwa v8, v11, v8 dst_sel:DWORD dst_unused:UNUSED_PAD src0_sel:DWORD src1_sel:BYTE_3
	v_sub_u32_e32 v10, 29, v10
	v_and_b32_e32 v8, 7, v8
	v_cmp_eq_u16_e32 vcc, 0, v6
	v_cndmask_b32_e32 v2, v2, v8, vcc
	v_cndmask_b32_e32 v6, v7, v10, vcc
	v_mov_b32_e32 v7, 0x3b800000
	v_lshlrev_b32_e32 v2, 20, v2
	v_lshl_add_u32 v6, v6, 23, v7
	v_or3_b32 v2, v3, v6, v2
.LBB37_1756:
	s_or_b64 exec, exec, s[6:7]
	s_movk_i32 s4, 0x7f
	v_cmp_gt_i16_sdwa s[6:7], v4, s4 src0_sel:BYTE_3 src1_sel:DWORD
	s_mov_b64 s[4:5], 0
                                        ; implicit-def: $sgpr10
	s_and_saveexec_b64 s[8:9], s[6:7]
	s_xor_b64 s[6:7], exec, s[8:9]
	s_cbranch_execnz .LBB37_3805
; %bb.1757:
	s_or_saveexec_b64 s[6:7], s[6:7]
	v_mov_b32_e32 v3, s10
	s_xor_b64 exec, exec, s[6:7]
	s_cbranch_execnz .LBB37_3808
.LBB37_1758:
	s_or_b64 exec, exec, s[6:7]
	s_and_saveexec_b64 s[6:7], s[4:5]
	s_cbranch_execz .LBB37_1760
.LBB37_1759:
	v_bfe_u32 v3, v4, 24, 3
	v_ffbh_u32_e32 v10, v3
	v_min_u32_e32 v10, 32, v10
	v_lshrrev_b32_e32 v7, 27, v4
	v_subrev_u32_e32 v11, 28, v10
	v_and_b32_e32 v6, 0x80000000, v4
	v_and_b32_e32 v7, 15, v7
	v_bfe_u32 v8, v4, 27, 4
	v_lshlrev_b32_sdwa v4, v11, v4 dst_sel:DWORD dst_unused:UNUSED_PAD src0_sel:DWORD src1_sel:BYTE_3
	v_sub_u32_e32 v10, 29, v10
	v_and_b32_e32 v4, 7, v4
	v_cmp_eq_u16_e32 vcc, 0, v7
	v_cndmask_b32_e32 v3, v3, v4, vcc
	v_cndmask_b32_e32 v4, v8, v10, vcc
	v_mov_b32_e32 v7, 0x3b800000
	v_lshlrev_b32_e32 v3, 20, v3
	v_lshl_add_u32 v4, v4, 23, v7
	v_or3_b32 v3, v6, v4, v3
.LBB37_1760:
	s_or_b64 exec, exec, s[6:7]
	s_nop 0
	v_mfma_f32_16x16x4f32 a[0:3], v2, v3, a[0:3]
	s_movk_i32 s4, 0x7f
	v_cmp_gt_i16_sdwa s[6:7], v9, s4 src0_sel:BYTE_0 src1_sel:DWORD
	s_mov_b64 s[4:5], 0
                                        ; implicit-def: $sgpr10
	s_and_saveexec_b64 s[8:9], s[6:7]
	s_xor_b64 s[6:7], exec, s[8:9]
	s_cbranch_execnz .LBB37_3809
; %bb.1761:
	s_or_saveexec_b64 s[6:7], s[6:7]
	v_mov_b32_e32 v2, s10
	s_xor_b64 exec, exec, s[6:7]
	s_cbranch_execnz .LBB37_3812
.LBB37_1762:
	s_or_b64 exec, exec, s[6:7]
	s_and_saveexec_b64 s[6:7], s[4:5]
	s_cbranch_execz .LBB37_1764
.LBB37_1763:
	v_mov_b32_e32 v2, 8
	v_and_b32_e32 v3, 7, v9
	v_lshrrev_b32_sdwa v2, v2, v9 dst_sel:BYTE_1 dst_unused:UNUSED_PAD src0_sel:DWORD src1_sel:DWORD
	v_ffbh_u32_e32 v4, v3
	v_or_b32_sdwa v2, v9, v2 dst_sel:DWORD dst_unused:UNUSED_PAD src0_sel:BYTE_0 src1_sel:DWORD
	v_min_u32_e32 v4, 32, v4
	v_lshrrev_b16_e32 v2, 3, v2
	v_subrev_u32_e32 v6, 28, v4
	v_and_b32_e32 v2, 15, v2
	v_lshlrev_b32_e32 v6, v6, v9
	v_sub_u32_e32 v4, 29, v4
	v_and_b32_e32 v6, 7, v6
	v_cmp_eq_u16_e32 vcc, 0, v2
	v_cndmask_b32_e32 v3, v3, v6, vcc
	v_cndmask_b32_e32 v2, v2, v4, vcc
	v_lshlrev_b32_e32 v4, 24, v9
	v_mov_b32_e32 v6, 0x3b800000
	v_lshlrev_b32_e32 v3, 20, v3
	v_and_b32_e32 v4, 0x80000000, v4
	v_lshl_add_u32 v2, v2, 23, v6
	v_or3_b32 v2, v4, v2, v3
.LBB37_1764:
	s_or_b64 exec, exec, s[6:7]
	s_movk_i32 s4, 0x7f
	v_cmp_gt_i16_sdwa s[6:7], v5, s4 src0_sel:BYTE_0 src1_sel:DWORD
	s_mov_b64 s[4:5], 0
                                        ; implicit-def: $sgpr10
	s_and_saveexec_b64 s[8:9], s[6:7]
	s_xor_b64 s[6:7], exec, s[8:9]
	s_cbranch_execnz .LBB37_3813
; %bb.1765:
	s_or_saveexec_b64 s[6:7], s[6:7]
	v_mov_b32_e32 v3, s10
	s_xor_b64 exec, exec, s[6:7]
	s_cbranch_execnz .LBB37_3816
.LBB37_1766:
	s_or_b64 exec, exec, s[6:7]
	s_and_saveexec_b64 s[6:7], s[4:5]
	s_cbranch_execz .LBB37_1768
.LBB37_1767:
	v_mov_b32_e32 v3, 8
	v_and_b32_e32 v4, 7, v5
	v_lshrrev_b32_sdwa v3, v3, v5 dst_sel:BYTE_1 dst_unused:UNUSED_PAD src0_sel:DWORD src1_sel:DWORD
	v_ffbh_u32_e32 v6, v4
	v_or_b32_sdwa v3, v5, v3 dst_sel:DWORD dst_unused:UNUSED_PAD src0_sel:BYTE_0 src1_sel:DWORD
	v_min_u32_e32 v6, 32, v6
	v_lshrrev_b16_e32 v3, 3, v3
	v_subrev_u32_e32 v7, 28, v6
	v_and_b32_e32 v3, 15, v3
	v_lshlrev_b32_e32 v7, v7, v5
	v_sub_u32_e32 v6, 29, v6
	v_and_b32_e32 v7, 7, v7
	v_cmp_eq_u16_e32 vcc, 0, v3
	v_cndmask_b32_e32 v4, v4, v7, vcc
	v_cndmask_b32_e32 v3, v3, v6, vcc
	v_lshlrev_b32_e32 v6, 24, v5
	v_mov_b32_e32 v7, 0x3b800000
	v_lshlrev_b32_e32 v4, 20, v4
	v_and_b32_e32 v6, 0x80000000, v6
	v_lshl_add_u32 v3, v3, 23, v7
	v_or3_b32 v3, v6, v3, v4
.LBB37_1768:
	s_or_b64 exec, exec, s[6:7]
	s_nop 0
	v_mfma_f32_16x16x4f32 a[0:3], v2, v3, a[0:3]
	v_lshrrev_b32_e32 v3, 8, v9
	s_movk_i32 s4, 0x7f
	v_cmp_gt_i16_sdwa s[6:7], v3, s4 src0_sel:BYTE_0 src1_sel:DWORD
	s_mov_b64 s[4:5], 0
                                        ; implicit-def: $sgpr10
	s_and_saveexec_b64 s[8:9], s[6:7]
	s_xor_b64 s[6:7], exec, s[8:9]
	s_cbranch_execnz .LBB37_3817
; %bb.1769:
	s_or_saveexec_b64 s[6:7], s[6:7]
	v_mov_b32_e32 v2, s10
	s_xor_b64 exec, exec, s[6:7]
	s_cbranch_execnz .LBB37_3820
.LBB37_1770:
	s_or_b64 exec, exec, s[6:7]
	s_and_saveexec_b64 s[6:7], s[4:5]
	s_cbranch_execz .LBB37_1772
.LBB37_1771:
	v_bfe_u32 v2, v9, 8, 3
	v_ffbh_u32_e32 v6, v2
	v_min_u32_e32 v6, 32, v6
	v_lshrrev_b16_e32 v4, 3, v3
	v_subrev_u32_e32 v7, 28, v6
	v_and_b32_e32 v4, 15, v4
	v_lshlrev_b32_e32 v3, v7, v3
	v_sub_u32_e32 v6, 29, v6
	v_and_b32_e32 v3, 7, v3
	v_cmp_eq_u16_e32 vcc, 0, v4
	v_cndmask_b32_e32 v2, v2, v3, vcc
	v_cndmask_b32_e32 v3, v4, v6, vcc
	v_lshlrev_b32_e32 v4, 16, v9
	v_mov_b32_e32 v6, 0x3b800000
	v_lshlrev_b32_e32 v2, 20, v2
	v_and_b32_e32 v4, 0x80000000, v4
	v_lshl_add_u32 v3, v3, 23, v6
	v_or3_b32 v2, v4, v3, v2
.LBB37_1772:
	s_or_b64 exec, exec, s[6:7]
	v_lshrrev_b32_e32 v3, 8, v5
	s_movk_i32 s4, 0x7f
	v_cmp_gt_i16_sdwa s[6:7], v3, s4 src0_sel:BYTE_0 src1_sel:DWORD
	s_mov_b64 s[4:5], 0
                                        ; implicit-def: $sgpr10
	s_and_saveexec_b64 s[8:9], s[6:7]
	s_xor_b64 s[6:7], exec, s[8:9]
	s_cbranch_execnz .LBB37_3821
; %bb.1773:
	s_or_saveexec_b64 s[6:7], s[6:7]
	v_mov_b32_e32 v4, s10
	s_xor_b64 exec, exec, s[6:7]
	s_cbranch_execnz .LBB37_3824
.LBB37_1774:
	s_or_b64 exec, exec, s[6:7]
	s_and_saveexec_b64 s[6:7], s[4:5]
	s_cbranch_execz .LBB37_1776
.LBB37_1775:
	v_bfe_u32 v4, v5, 8, 3
	v_ffbh_u32_e32 v7, v4
	v_min_u32_e32 v7, 32, v7
	v_lshrrev_b16_e32 v6, 3, v3
	v_subrev_u32_e32 v8, 28, v7
	v_and_b32_e32 v6, 15, v6
	v_lshlrev_b32_e32 v3, v8, v3
	v_sub_u32_e32 v7, 29, v7
	v_and_b32_e32 v3, 7, v3
	v_cmp_eq_u16_e32 vcc, 0, v6
	v_cndmask_b32_e32 v3, v4, v3, vcc
	v_cndmask_b32_e32 v4, v6, v7, vcc
	v_lshlrev_b32_e32 v6, 16, v5
	v_mov_b32_e32 v7, 0x3b800000
	v_lshlrev_b32_e32 v3, 20, v3
	v_and_b32_e32 v6, 0x80000000, v6
	v_lshl_add_u32 v4, v4, 23, v7
	v_or3_b32 v4, v6, v4, v3
.LBB37_1776:
	s_or_b64 exec, exec, s[6:7]
	s_nop 0
	v_mfma_f32_16x16x4f32 a[0:3], v2, v4, a[0:3]
	s_movk_i32 s4, 0xff
	v_and_b32_sdwa v3, v9, s4 dst_sel:DWORD dst_unused:UNUSED_PAD src0_sel:WORD_1 src1_sel:DWORD
	s_movk_i32 s4, 0x7f
	v_cmp_lt_i16_e32 vcc, s4, v3
	s_mov_b64 s[4:5], 0
                                        ; implicit-def: $sgpr10
	s_and_saveexec_b64 s[6:7], vcc
	s_xor_b64 s[6:7], exec, s[6:7]
	s_cbranch_execnz .LBB37_3825
; %bb.1777:
	s_or_saveexec_b64 s[6:7], s[6:7]
	v_mov_b32_e32 v2, s10
	s_xor_b64 exec, exec, s[6:7]
	s_cbranch_execnz .LBB37_3828
.LBB37_1778:
	s_or_b64 exec, exec, s[6:7]
	s_and_saveexec_b64 s[6:7], s[4:5]
	s_cbranch_execz .LBB37_1780
.LBB37_1779:
	v_bfe_u32 v2, v9, 16, 3
	v_ffbh_u32_e32 v6, v2
	v_min_u32_e32 v6, 32, v6
	v_lshrrev_b32_e32 v3, 19, v9
	v_subrev_u32_e32 v7, 28, v6
	v_and_b32_e32 v3, 15, v3
	v_lshlrev_b32_sdwa v7, v7, v9 dst_sel:DWORD dst_unused:UNUSED_PAD src0_sel:DWORD src1_sel:WORD_1
	v_bfe_u32 v4, v9, 19, 4
	v_sub_u32_e32 v6, 29, v6
	v_and_b32_e32 v7, 7, v7
	v_cmp_eq_u16_e32 vcc, 0, v3
	v_cndmask_b32_e32 v2, v2, v7, vcc
	v_cndmask_b32_e32 v3, v4, v6, vcc
	v_lshlrev_b32_e32 v4, 8, v9
	v_mov_b32_e32 v6, 0x3b800000
	v_lshlrev_b32_e32 v2, 20, v2
	v_and_b32_e32 v4, 0x80000000, v4
	v_lshl_add_u32 v3, v3, 23, v6
	v_or3_b32 v2, v4, v3, v2
.LBB37_1780:
	s_or_b64 exec, exec, s[6:7]
	s_movk_i32 s4, 0xff
	v_and_b32_sdwa v3, v5, s4 dst_sel:DWORD dst_unused:UNUSED_PAD src0_sel:WORD_1 src1_sel:DWORD
	s_movk_i32 s4, 0x7f
	v_cmp_lt_i16_e32 vcc, s4, v3
	s_mov_b64 s[4:5], 0
                                        ; implicit-def: $sgpr10
	s_and_saveexec_b64 s[6:7], vcc
	s_xor_b64 s[6:7], exec, s[6:7]
	s_cbranch_execnz .LBB37_3829
; %bb.1781:
	s_or_saveexec_b64 s[6:7], s[6:7]
	v_mov_b32_e32 v4, s10
	s_xor_b64 exec, exec, s[6:7]
	s_cbranch_execnz .LBB37_3832
.LBB37_1782:
	s_or_b64 exec, exec, s[6:7]
	s_and_saveexec_b64 s[6:7], s[4:5]
	s_cbranch_execz .LBB37_1784
.LBB37_1783:
	v_bfe_u32 v3, v5, 16, 3
	v_ffbh_u32_e32 v7, v3
	v_min_u32_e32 v7, 32, v7
	v_lshrrev_b32_e32 v4, 19, v5
	v_subrev_u32_e32 v8, 28, v7
	v_and_b32_e32 v4, 15, v4
	v_lshlrev_b32_sdwa v8, v8, v5 dst_sel:DWORD dst_unused:UNUSED_PAD src0_sel:DWORD src1_sel:WORD_1
	v_bfe_u32 v6, v5, 19, 4
	v_sub_u32_e32 v7, 29, v7
	v_and_b32_e32 v8, 7, v8
	v_cmp_eq_u16_e32 vcc, 0, v4
	v_cndmask_b32_e32 v3, v3, v8, vcc
	v_cndmask_b32_e32 v4, v6, v7, vcc
	v_lshlrev_b32_e32 v6, 8, v5
	v_mov_b32_e32 v7, 0x3b800000
	v_lshlrev_b32_e32 v3, 20, v3
	v_and_b32_e32 v6, 0x80000000, v6
	v_lshl_add_u32 v4, v4, 23, v7
	v_or3_b32 v4, v6, v4, v3
.LBB37_1784:
	s_or_b64 exec, exec, s[6:7]
	s_nop 0
	v_mfma_f32_16x16x4f32 a[0:3], v2, v4, a[0:3]
	s_movk_i32 s4, 0x7f
	v_cmp_gt_i16_sdwa s[6:7], v9, s4 src0_sel:BYTE_3 src1_sel:DWORD
	s_mov_b64 s[4:5], 0
                                        ; implicit-def: $sgpr10
	s_and_saveexec_b64 s[8:9], s[6:7]
	s_xor_b64 s[6:7], exec, s[8:9]
	s_cbranch_execnz .LBB37_3833
; %bb.1785:
	s_or_saveexec_b64 s[6:7], s[6:7]
	v_mov_b32_e32 v2, s10
	s_xor_b64 exec, exec, s[6:7]
	s_cbranch_execnz .LBB37_3836
.LBB37_1786:
	s_or_b64 exec, exec, s[6:7]
	s_and_saveexec_b64 s[6:7], s[4:5]
	s_cbranch_execz .LBB37_1788
.LBB37_1787:
	v_bfe_u32 v2, v9, 24, 3
	v_ffbh_u32_e32 v7, v2
	v_min_u32_e32 v7, 32, v7
	v_lshrrev_b32_e32 v4, 27, v9
	v_subrev_u32_e32 v8, 28, v7
	v_and_b32_e32 v4, 15, v4
	v_lshlrev_b32_sdwa v8, v8, v9 dst_sel:DWORD dst_unused:UNUSED_PAD src0_sel:DWORD src1_sel:BYTE_3
	v_bfe_u32 v6, v9, 27, 4
	v_sub_u32_e32 v7, 29, v7
	v_and_b32_e32 v8, 7, v8
	v_cmp_eq_u16_e32 vcc, 0, v4
	v_cndmask_b32_e32 v2, v2, v8, vcc
	v_cndmask_b32_e32 v4, v6, v7, vcc
	v_mov_b32_e32 v6, 0x3b800000
	v_and_b32_e32 v3, 0x80000000, v9
	v_lshlrev_b32_e32 v2, 20, v2
	v_lshl_add_u32 v4, v4, 23, v6
	v_or3_b32 v2, v3, v4, v2
.LBB37_1788:
	s_or_b64 exec, exec, s[6:7]
	s_movk_i32 s4, 0x7f
	v_cmp_gt_i16_sdwa s[6:7], v5, s4 src0_sel:BYTE_3 src1_sel:DWORD
	s_mov_b64 s[4:5], 0
                                        ; implicit-def: $sgpr10
	s_and_saveexec_b64 s[8:9], s[6:7]
	s_xor_b64 s[6:7], exec, s[8:9]
	s_cbranch_execnz .LBB37_3837
; %bb.1789:
	s_or_saveexec_b64 s[6:7], s[6:7]
	v_mov_b32_e32 v3, s10
	s_xor_b64 exec, exec, s[6:7]
	s_cbranch_execnz .LBB37_3840
.LBB37_1790:
	s_or_b64 exec, exec, s[6:7]
	s_and_saveexec_b64 s[6:7], s[4:5]
	s_cbranch_execz .LBB37_1792
.LBB37_1791:
	v_bfe_u32 v3, v5, 24, 3
	v_ffbh_u32_e32 v8, v3
	v_min_u32_e32 v8, 32, v8
	v_lshrrev_b32_e32 v6, 27, v5
	v_subrev_u32_e32 v9, 28, v8
	v_and_b32_e32 v4, 0x80000000, v5
	v_and_b32_e32 v6, 15, v6
	v_bfe_u32 v7, v5, 27, 4
	v_lshlrev_b32_sdwa v5, v9, v5 dst_sel:DWORD dst_unused:UNUSED_PAD src0_sel:DWORD src1_sel:BYTE_3
	v_sub_u32_e32 v8, 29, v8
	v_and_b32_e32 v5, 7, v5
	v_cmp_eq_u16_e32 vcc, 0, v6
	v_cndmask_b32_e32 v3, v3, v5, vcc
	v_cndmask_b32_e32 v5, v7, v8, vcc
	v_mov_b32_e32 v6, 0x3b800000
	v_lshlrev_b32_e32 v3, 20, v3
	v_lshl_add_u32 v5, v5, 23, v6
	v_or3_b32 v3, v4, v5, v3
.LBB37_1792:
	s_or_b64 exec, exec, s[6:7]
	s_nop 0
	v_mfma_f32_16x16x4f32 a[0:3], v2, v3, a[0:3]
	s_movk_i32 s4, 0x7f
                                        ; implicit-def: $sgpr10
	s_nop 7
	s_nop 1
	flat_store_dwordx4 v[18:19], a[0:3] offset:224
	flat_load_dwordx4 v[18:21], v[0:1] offset:16
	s_nop 0
	flat_load_dwordx2 v[16:17], v[0:1] offset:32
	s_waitcnt vmcnt(0) lgkmcnt(0)
	flat_load_dwordx4 v[12:15], v[18:19] offset:32
	flat_load_dwordx4 v[4:7], v[18:19] offset:48
	;; [unrolled: 1-line block ×4, first 2 shown]
	s_waitcnt vmcnt(0) lgkmcnt(0)
	v_cmp_gt_i16_sdwa s[6:7], v12, s4 src0_sel:BYTE_0 src1_sel:DWORD
	s_mov_b64 s[4:5], 0
	s_and_saveexec_b64 s[8:9], s[6:7]
	s_xor_b64 s[6:7], exec, s[8:9]
	s_cbranch_execnz .LBB37_3841
; %bb.1793:
	s_or_saveexec_b64 s[6:7], s[6:7]
	v_mov_b32_e32 v18, s10
	s_xor_b64 exec, exec, s[6:7]
	s_cbranch_execnz .LBB37_3844
.LBB37_1794:
	s_or_b64 exec, exec, s[6:7]
	s_and_saveexec_b64 s[6:7], s[4:5]
	s_cbranch_execz .LBB37_1796
.LBB37_1795:
	v_and_b32_e32 v18, 7, v12
	v_ffbh_u32_e32 v20, v18
	v_min_u32_e32 v20, 32, v20
	v_lshrrev_b16_e32 v19, 3, v12
	v_subrev_u32_e32 v21, 28, v20
	v_and_b32_e32 v19, 15, v19
	v_lshlrev_b32_e32 v21, v21, v12
	v_sub_u32_e32 v20, 29, v20
	v_and_b32_e32 v21, 7, v21
	v_cmp_eq_u16_e32 vcc, 0, v19
	v_cndmask_b32_e32 v18, v18, v21, vcc
	v_cndmask_b32_e32 v19, v19, v20, vcc
	v_lshlrev_b32_e32 v20, 24, v12
	v_mov_b32_e32 v21, 0x3b800000
	v_lshlrev_b32_e32 v18, 20, v18
	v_and_b32_e32 v20, 0x80000000, v20
	v_lshl_add_u32 v19, v19, 23, v21
	v_or3_b32 v18, v20, v19, v18
.LBB37_1796:
	s_or_b64 exec, exec, s[6:7]
	s_movk_i32 s4, 0x7f
	v_cmp_gt_i16_sdwa s[6:7], v8, s4 src0_sel:BYTE_0 src1_sel:DWORD
	s_mov_b64 s[4:5], 0
                                        ; implicit-def: $sgpr10
	s_and_saveexec_b64 s[8:9], s[6:7]
	s_xor_b64 s[6:7], exec, s[8:9]
	s_cbranch_execnz .LBB37_3845
; %bb.1797:
	s_or_saveexec_b64 s[6:7], s[6:7]
	v_mov_b32_e32 v19, s10
	s_xor_b64 exec, exec, s[6:7]
	s_cbranch_execnz .LBB37_3848
.LBB37_1798:
	s_or_b64 exec, exec, s[6:7]
	s_and_saveexec_b64 s[6:7], s[4:5]
	s_cbranch_execz .LBB37_1800
.LBB37_1799:
	v_and_b32_e32 v19, 7, v8
	v_ffbh_u32_e32 v21, v19
	v_min_u32_e32 v21, 32, v21
	v_lshrrev_b16_e32 v20, 3, v8
	v_subrev_u32_e32 v22, 28, v21
	v_and_b32_e32 v20, 15, v20
	v_lshlrev_b32_e32 v22, v22, v8
	v_sub_u32_e32 v21, 29, v21
	v_and_b32_e32 v22, 7, v22
	v_cmp_eq_u16_e32 vcc, 0, v20
	v_cndmask_b32_e32 v19, v19, v22, vcc
	v_cndmask_b32_e32 v20, v20, v21, vcc
	v_lshlrev_b32_e32 v21, 24, v8
	v_mov_b32_e32 v22, 0x3b800000
	v_lshlrev_b32_e32 v19, 20, v19
	v_and_b32_e32 v21, 0x80000000, v21
	v_lshl_add_u32 v20, v20, 23, v22
	v_or3_b32 v19, v21, v20, v19
.LBB37_1800:
	s_or_b64 exec, exec, s[6:7]
	flat_load_dwordx4 a[0:3], v[16:17] offset:240
	s_movk_i32 s4, 0x7f
                                        ; implicit-def: $sgpr10
	s_waitcnt vmcnt(0) lgkmcnt(0)
	v_mfma_f32_16x16x4f32 a[0:3], v18, v19, a[0:3]
	v_lshrrev_b32_e32 v19, 8, v12
	v_cmp_gt_i16_sdwa s[6:7], v19, s4 src0_sel:BYTE_0 src1_sel:DWORD
	s_mov_b64 s[4:5], 0
	s_and_saveexec_b64 s[8:9], s[6:7]
	s_xor_b64 s[6:7], exec, s[8:9]
	s_cbranch_execnz .LBB37_3849
; %bb.1801:
	s_or_saveexec_b64 s[6:7], s[6:7]
	v_mov_b32_e32 v18, s10
	s_xor_b64 exec, exec, s[6:7]
	s_cbranch_execnz .LBB37_3852
.LBB37_1802:
	s_or_b64 exec, exec, s[6:7]
	s_and_saveexec_b64 s[6:7], s[4:5]
	s_cbranch_execz .LBB37_1804
.LBB37_1803:
	v_bfe_u32 v18, v12, 8, 3
	v_ffbh_u32_e32 v21, v18
	v_min_u32_e32 v21, 32, v21
	v_lshrrev_b16_e32 v20, 3, v19
	v_subrev_u32_e32 v22, 28, v21
	v_and_b32_e32 v20, 15, v20
	v_lshlrev_b32_e32 v19, v22, v19
	v_sub_u32_e32 v21, 29, v21
	v_and_b32_e32 v19, 7, v19
	v_cmp_eq_u16_e32 vcc, 0, v20
	v_cndmask_b32_e32 v18, v18, v19, vcc
	v_cndmask_b32_e32 v19, v20, v21, vcc
	v_lshlrev_b32_e32 v20, 16, v12
	v_mov_b32_e32 v21, 0x3b800000
	v_lshlrev_b32_e32 v18, 20, v18
	v_and_b32_e32 v20, 0x80000000, v20
	v_lshl_add_u32 v19, v19, 23, v21
	v_or3_b32 v18, v20, v19, v18
.LBB37_1804:
	s_or_b64 exec, exec, s[6:7]
	v_lshrrev_b32_e32 v19, 8, v8
	s_movk_i32 s4, 0x7f
	v_cmp_gt_i16_sdwa s[6:7], v19, s4 src0_sel:BYTE_0 src1_sel:DWORD
	s_mov_b64 s[4:5], 0
                                        ; implicit-def: $sgpr10
	s_and_saveexec_b64 s[8:9], s[6:7]
	s_xor_b64 s[6:7], exec, s[8:9]
	s_cbranch_execnz .LBB37_3853
; %bb.1805:
	s_or_saveexec_b64 s[6:7], s[6:7]
	v_mov_b32_e32 v20, s10
	s_xor_b64 exec, exec, s[6:7]
	s_cbranch_execnz .LBB37_3856
.LBB37_1806:
	s_or_b64 exec, exec, s[6:7]
	s_and_saveexec_b64 s[6:7], s[4:5]
	s_cbranch_execz .LBB37_1808
.LBB37_1807:
	v_bfe_u32 v20, v8, 8, 3
	v_ffbh_u32_e32 v22, v20
	v_min_u32_e32 v22, 32, v22
	v_lshrrev_b16_e32 v21, 3, v19
	v_subrev_u32_e32 v23, 28, v22
	v_and_b32_e32 v21, 15, v21
	v_lshlrev_b32_e32 v19, v23, v19
	v_sub_u32_e32 v22, 29, v22
	v_and_b32_e32 v19, 7, v19
	v_cmp_eq_u16_e32 vcc, 0, v21
	v_cndmask_b32_e32 v19, v20, v19, vcc
	v_cndmask_b32_e32 v20, v21, v22, vcc
	v_lshlrev_b32_e32 v21, 16, v8
	v_mov_b32_e32 v22, 0x3b800000
	v_lshlrev_b32_e32 v19, 20, v19
	v_and_b32_e32 v21, 0x80000000, v21
	v_lshl_add_u32 v20, v20, 23, v22
	v_or3_b32 v20, v21, v20, v19
.LBB37_1808:
	s_or_b64 exec, exec, s[6:7]
	s_nop 0
	v_mfma_f32_16x16x4f32 a[0:3], v18, v20, a[0:3]
	s_movk_i32 s4, 0xff
	v_and_b32_sdwa v19, v12, s4 dst_sel:DWORD dst_unused:UNUSED_PAD src0_sel:WORD_1 src1_sel:DWORD
	s_movk_i32 s4, 0x7f
	v_cmp_lt_i16_e32 vcc, s4, v19
	s_mov_b64 s[4:5], 0
                                        ; implicit-def: $sgpr10
	s_and_saveexec_b64 s[6:7], vcc
	s_xor_b64 s[6:7], exec, s[6:7]
	s_cbranch_execnz .LBB37_3857
; %bb.1809:
	s_or_saveexec_b64 s[6:7], s[6:7]
	v_mov_b32_e32 v18, s10
	s_xor_b64 exec, exec, s[6:7]
	s_cbranch_execnz .LBB37_3860
.LBB37_1810:
	s_or_b64 exec, exec, s[6:7]
	s_and_saveexec_b64 s[6:7], s[4:5]
	s_cbranch_execz .LBB37_1812
.LBB37_1811:
	v_bfe_u32 v18, v12, 16, 3
	v_ffbh_u32_e32 v21, v18
	v_min_u32_e32 v21, 32, v21
	v_lshrrev_b32_e32 v19, 19, v12
	v_subrev_u32_e32 v22, 28, v21
	v_and_b32_e32 v19, 15, v19
	v_lshlrev_b32_sdwa v22, v22, v12 dst_sel:DWORD dst_unused:UNUSED_PAD src0_sel:DWORD src1_sel:WORD_1
	v_bfe_u32 v20, v12, 19, 4
	v_sub_u32_e32 v21, 29, v21
	v_and_b32_e32 v22, 7, v22
	v_cmp_eq_u16_e32 vcc, 0, v19
	v_cndmask_b32_e32 v18, v18, v22, vcc
	v_cndmask_b32_e32 v19, v20, v21, vcc
	v_lshlrev_b32_e32 v20, 8, v12
	v_mov_b32_e32 v21, 0x3b800000
	v_lshlrev_b32_e32 v18, 20, v18
	v_and_b32_e32 v20, 0x80000000, v20
	v_lshl_add_u32 v19, v19, 23, v21
	v_or3_b32 v18, v20, v19, v18
.LBB37_1812:
	s_or_b64 exec, exec, s[6:7]
	s_movk_i32 s4, 0xff
	v_and_b32_sdwa v19, v8, s4 dst_sel:DWORD dst_unused:UNUSED_PAD src0_sel:WORD_1 src1_sel:DWORD
	s_movk_i32 s4, 0x7f
	v_cmp_lt_i16_e32 vcc, s4, v19
	s_mov_b64 s[4:5], 0
                                        ; implicit-def: $sgpr10
	s_and_saveexec_b64 s[6:7], vcc
	s_xor_b64 s[6:7], exec, s[6:7]
	s_cbranch_execnz .LBB37_3861
; %bb.1813:
	s_or_saveexec_b64 s[6:7], s[6:7]
	v_mov_b32_e32 v20, s10
	s_xor_b64 exec, exec, s[6:7]
	s_cbranch_execnz .LBB37_3864
.LBB37_1814:
	s_or_b64 exec, exec, s[6:7]
	s_and_saveexec_b64 s[6:7], s[4:5]
	s_cbranch_execz .LBB37_1816
.LBB37_1815:
	v_bfe_u32 v19, v8, 16, 3
	v_ffbh_u32_e32 v22, v19
	v_min_u32_e32 v22, 32, v22
	v_lshrrev_b32_e32 v20, 19, v8
	v_subrev_u32_e32 v23, 28, v22
	v_and_b32_e32 v20, 15, v20
	v_lshlrev_b32_sdwa v23, v23, v8 dst_sel:DWORD dst_unused:UNUSED_PAD src0_sel:DWORD src1_sel:WORD_1
	v_bfe_u32 v21, v8, 19, 4
	v_sub_u32_e32 v22, 29, v22
	v_and_b32_e32 v23, 7, v23
	v_cmp_eq_u16_e32 vcc, 0, v20
	v_cndmask_b32_e32 v19, v19, v23, vcc
	v_cndmask_b32_e32 v20, v21, v22, vcc
	v_lshlrev_b32_e32 v21, 8, v8
	v_mov_b32_e32 v22, 0x3b800000
	v_lshlrev_b32_e32 v19, 20, v19
	v_and_b32_e32 v21, 0x80000000, v21
	v_lshl_add_u32 v20, v20, 23, v22
	v_or3_b32 v20, v21, v20, v19
.LBB37_1816:
	s_or_b64 exec, exec, s[6:7]
	s_nop 0
	v_mfma_f32_16x16x4f32 a[0:3], v18, v20, a[0:3]
	s_movk_i32 s4, 0x7f
	v_cmp_gt_i16_sdwa s[6:7], v12, s4 src0_sel:BYTE_3 src1_sel:DWORD
	s_mov_b64 s[4:5], 0
                                        ; implicit-def: $sgpr10
	s_and_saveexec_b64 s[8:9], s[6:7]
	s_xor_b64 s[6:7], exec, s[8:9]
	s_cbranch_execnz .LBB37_3865
; %bb.1817:
	s_or_saveexec_b64 s[6:7], s[6:7]
	v_mov_b32_e32 v18, s10
	s_xor_b64 exec, exec, s[6:7]
	s_cbranch_execnz .LBB37_3868
.LBB37_1818:
	s_or_b64 exec, exec, s[6:7]
	s_and_saveexec_b64 s[6:7], s[4:5]
	s_cbranch_execz .LBB37_1820
.LBB37_1819:
	v_bfe_u32 v18, v12, 24, 3
	v_ffbh_u32_e32 v22, v18
	v_min_u32_e32 v22, 32, v22
	v_lshrrev_b32_e32 v20, 27, v12
	v_subrev_u32_e32 v23, 28, v22
	v_and_b32_e32 v19, 0x80000000, v12
	v_and_b32_e32 v20, 15, v20
	v_bfe_u32 v21, v12, 27, 4
	v_lshlrev_b32_sdwa v12, v23, v12 dst_sel:DWORD dst_unused:UNUSED_PAD src0_sel:DWORD src1_sel:BYTE_3
	v_sub_u32_e32 v22, 29, v22
	v_and_b32_e32 v12, 7, v12
	v_cmp_eq_u16_e32 vcc, 0, v20
	v_cndmask_b32_e32 v12, v18, v12, vcc
	v_cndmask_b32_e32 v18, v21, v22, vcc
	v_mov_b32_e32 v20, 0x3b800000
	v_lshlrev_b32_e32 v12, 20, v12
	v_lshl_add_u32 v18, v18, 23, v20
	v_or3_b32 v18, v19, v18, v12
.LBB37_1820:
	s_or_b64 exec, exec, s[6:7]
	s_movk_i32 s4, 0x7f
	v_cmp_gt_i16_sdwa s[6:7], v8, s4 src0_sel:BYTE_3 src1_sel:DWORD
	s_mov_b64 s[4:5], 0
                                        ; implicit-def: $sgpr10
	s_and_saveexec_b64 s[8:9], s[6:7]
	s_xor_b64 s[6:7], exec, s[8:9]
	s_cbranch_execnz .LBB37_3869
; %bb.1821:
	s_or_saveexec_b64 s[6:7], s[6:7]
	v_mov_b32_e32 v12, s10
	s_xor_b64 exec, exec, s[6:7]
	s_cbranch_execnz .LBB37_3872
.LBB37_1822:
	s_or_b64 exec, exec, s[6:7]
	s_and_saveexec_b64 s[6:7], s[4:5]
	s_cbranch_execz .LBB37_1824
.LBB37_1823:
	v_bfe_u32 v12, v8, 24, 3
	v_ffbh_u32_e32 v22, v12
	v_min_u32_e32 v22, 32, v22
	v_lshrrev_b32_e32 v20, 27, v8
	v_subrev_u32_e32 v23, 28, v22
	v_and_b32_e32 v19, 0x80000000, v8
	v_and_b32_e32 v20, 15, v20
	v_bfe_u32 v21, v8, 27, 4
	v_lshlrev_b32_sdwa v8, v23, v8 dst_sel:DWORD dst_unused:UNUSED_PAD src0_sel:DWORD src1_sel:BYTE_3
	v_sub_u32_e32 v22, 29, v22
	v_and_b32_e32 v8, 7, v8
	v_cmp_eq_u16_e32 vcc, 0, v20
	v_cndmask_b32_e32 v8, v12, v8, vcc
	v_cndmask_b32_e32 v12, v21, v22, vcc
	v_mov_b32_e32 v20, 0x3b800000
	v_lshlrev_b32_e32 v8, 20, v8
	v_lshl_add_u32 v12, v12, 23, v20
	v_or3_b32 v12, v19, v12, v8
.LBB37_1824:
	s_or_b64 exec, exec, s[6:7]
	s_nop 0
	v_mfma_f32_16x16x4f32 a[0:3], v18, v12, a[0:3]
	s_movk_i32 s4, 0x7f
	v_cmp_gt_i16_sdwa s[6:7], v13, s4 src0_sel:BYTE_0 src1_sel:DWORD
	s_mov_b64 s[4:5], 0
                                        ; implicit-def: $sgpr10
	s_and_saveexec_b64 s[8:9], s[6:7]
	s_xor_b64 s[6:7], exec, s[8:9]
	s_cbranch_execnz .LBB37_3873
; %bb.1825:
	s_or_saveexec_b64 s[6:7], s[6:7]
	v_mov_b32_e32 v8, s10
	s_xor_b64 exec, exec, s[6:7]
	s_cbranch_execnz .LBB37_3876
.LBB37_1826:
	s_or_b64 exec, exec, s[6:7]
	s_and_saveexec_b64 s[6:7], s[4:5]
	s_cbranch_execz .LBB37_1828
.LBB37_1827:
	v_and_b32_e32 v8, 7, v13
	v_ffbh_u32_e32 v18, v8
	v_min_u32_e32 v18, 32, v18
	v_lshrrev_b16_e32 v12, 3, v13
	v_subrev_u32_e32 v19, 28, v18
	v_and_b32_e32 v12, 15, v12
	v_lshlrev_b32_e32 v19, v19, v13
	v_sub_u32_e32 v18, 29, v18
	v_and_b32_e32 v19, 7, v19
	v_cmp_eq_u16_e32 vcc, 0, v12
	v_cndmask_b32_e32 v8, v8, v19, vcc
	v_cndmask_b32_e32 v12, v12, v18, vcc
	v_lshlrev_b32_e32 v18, 24, v13
	v_mov_b32_e32 v19, 0x3b800000
	v_lshlrev_b32_e32 v8, 20, v8
	v_and_b32_e32 v18, 0x80000000, v18
	v_lshl_add_u32 v12, v12, 23, v19
	v_or3_b32 v8, v18, v12, v8
.LBB37_1828:
	s_or_b64 exec, exec, s[6:7]
	s_movk_i32 s4, 0x7f
	v_cmp_gt_i16_sdwa s[6:7], v9, s4 src0_sel:BYTE_0 src1_sel:DWORD
	s_mov_b64 s[4:5], 0
                                        ; implicit-def: $sgpr10
	s_and_saveexec_b64 s[8:9], s[6:7]
	s_xor_b64 s[6:7], exec, s[8:9]
	s_cbranch_execnz .LBB37_3877
; %bb.1829:
	s_or_saveexec_b64 s[6:7], s[6:7]
	v_mov_b32_e32 v12, s10
	s_xor_b64 exec, exec, s[6:7]
	s_cbranch_execnz .LBB37_3880
.LBB37_1830:
	s_or_b64 exec, exec, s[6:7]
	s_and_saveexec_b64 s[6:7], s[4:5]
	s_cbranch_execz .LBB37_1832
.LBB37_1831:
	v_and_b32_e32 v12, 7, v9
	v_ffbh_u32_e32 v19, v12
	v_min_u32_e32 v19, 32, v19
	v_lshrrev_b16_e32 v18, 3, v9
	v_subrev_u32_e32 v20, 28, v19
	v_and_b32_e32 v18, 15, v18
	v_lshlrev_b32_e32 v20, v20, v9
	v_sub_u32_e32 v19, 29, v19
	v_and_b32_e32 v20, 7, v20
	v_cmp_eq_u16_e32 vcc, 0, v18
	v_cndmask_b32_e32 v12, v12, v20, vcc
	v_cndmask_b32_e32 v18, v18, v19, vcc
	v_lshlrev_b32_e32 v19, 24, v9
	v_mov_b32_e32 v20, 0x3b800000
	v_lshlrev_b32_e32 v12, 20, v12
	v_and_b32_e32 v19, 0x80000000, v19
	v_lshl_add_u32 v18, v18, 23, v20
	v_or3_b32 v12, v19, v18, v12
.LBB37_1832:
	s_or_b64 exec, exec, s[6:7]
	s_nop 0
	v_mfma_f32_16x16x4f32 a[0:3], v8, v12, a[0:3]
	v_lshrrev_b32_e32 v12, 8, v13
	s_movk_i32 s4, 0x7f
	v_cmp_gt_i16_sdwa s[6:7], v12, s4 src0_sel:BYTE_0 src1_sel:DWORD
	s_mov_b64 s[4:5], 0
                                        ; implicit-def: $sgpr10
	s_and_saveexec_b64 s[8:9], s[6:7]
	s_xor_b64 s[6:7], exec, s[8:9]
	s_cbranch_execnz .LBB37_3881
; %bb.1833:
	s_or_saveexec_b64 s[6:7], s[6:7]
	v_mov_b32_e32 v8, s10
	s_xor_b64 exec, exec, s[6:7]
	s_cbranch_execnz .LBB37_3884
.LBB37_1834:
	s_or_b64 exec, exec, s[6:7]
	s_and_saveexec_b64 s[6:7], s[4:5]
	s_cbranch_execz .LBB37_1836
.LBB37_1835:
	v_bfe_u32 v8, v13, 8, 3
	v_ffbh_u32_e32 v19, v8
	v_min_u32_e32 v19, 32, v19
	v_lshrrev_b16_e32 v18, 3, v12
	v_subrev_u32_e32 v20, 28, v19
	v_and_b32_e32 v18, 15, v18
	v_lshlrev_b32_e32 v12, v20, v12
	v_sub_u32_e32 v19, 29, v19
	v_and_b32_e32 v12, 7, v12
	v_cmp_eq_u16_e32 vcc, 0, v18
	v_cndmask_b32_e32 v8, v8, v12, vcc
	v_cndmask_b32_e32 v12, v18, v19, vcc
	v_lshlrev_b32_e32 v18, 16, v13
	v_mov_b32_e32 v19, 0x3b800000
	v_lshlrev_b32_e32 v8, 20, v8
	v_and_b32_e32 v18, 0x80000000, v18
	v_lshl_add_u32 v12, v12, 23, v19
	v_or3_b32 v8, v18, v12, v8
.LBB37_1836:
	s_or_b64 exec, exec, s[6:7]
	v_lshrrev_b32_e32 v12, 8, v9
	s_movk_i32 s4, 0x7f
	v_cmp_gt_i16_sdwa s[6:7], v12, s4 src0_sel:BYTE_0 src1_sel:DWORD
	s_mov_b64 s[4:5], 0
                                        ; implicit-def: $sgpr10
	s_and_saveexec_b64 s[8:9], s[6:7]
	s_xor_b64 s[6:7], exec, s[8:9]
	s_cbranch_execnz .LBB37_3885
; %bb.1837:
	s_or_saveexec_b64 s[6:7], s[6:7]
	v_mov_b32_e32 v18, s10
	s_xor_b64 exec, exec, s[6:7]
	s_cbranch_execnz .LBB37_3888
.LBB37_1838:
	s_or_b64 exec, exec, s[6:7]
	s_and_saveexec_b64 s[6:7], s[4:5]
	s_cbranch_execz .LBB37_1840
.LBB37_1839:
	v_bfe_u32 v18, v9, 8, 3
	v_ffbh_u32_e32 v20, v18
	v_min_u32_e32 v20, 32, v20
	v_lshrrev_b16_e32 v19, 3, v12
	v_subrev_u32_e32 v21, 28, v20
	v_and_b32_e32 v19, 15, v19
	v_lshlrev_b32_e32 v12, v21, v12
	v_sub_u32_e32 v20, 29, v20
	v_and_b32_e32 v12, 7, v12
	v_cmp_eq_u16_e32 vcc, 0, v19
	v_cndmask_b32_e32 v12, v18, v12, vcc
	v_cndmask_b32_e32 v18, v19, v20, vcc
	v_lshlrev_b32_e32 v19, 16, v9
	v_mov_b32_e32 v20, 0x3b800000
	v_lshlrev_b32_e32 v12, 20, v12
	v_and_b32_e32 v19, 0x80000000, v19
	v_lshl_add_u32 v18, v18, 23, v20
	v_or3_b32 v18, v19, v18, v12
.LBB37_1840:
	s_or_b64 exec, exec, s[6:7]
	s_nop 0
	v_mfma_f32_16x16x4f32 a[0:3], v8, v18, a[0:3]
	s_movk_i32 s4, 0xff
	v_and_b32_sdwa v12, v13, s4 dst_sel:DWORD dst_unused:UNUSED_PAD src0_sel:WORD_1 src1_sel:DWORD
	s_movk_i32 s4, 0x7f
	v_cmp_lt_i16_e32 vcc, s4, v12
	s_mov_b64 s[4:5], 0
                                        ; implicit-def: $sgpr10
	s_and_saveexec_b64 s[6:7], vcc
	s_xor_b64 s[6:7], exec, s[6:7]
	s_cbranch_execnz .LBB37_3889
; %bb.1841:
	s_or_saveexec_b64 s[6:7], s[6:7]
	v_mov_b32_e32 v8, s10
	s_xor_b64 exec, exec, s[6:7]
	s_cbranch_execnz .LBB37_3892
.LBB37_1842:
	s_or_b64 exec, exec, s[6:7]
	s_and_saveexec_b64 s[6:7], s[4:5]
	s_cbranch_execz .LBB37_1844
.LBB37_1843:
	v_bfe_u32 v8, v13, 16, 3
	v_ffbh_u32_e32 v19, v8
	v_min_u32_e32 v19, 32, v19
	v_lshrrev_b32_e32 v12, 19, v13
	v_subrev_u32_e32 v20, 28, v19
	v_and_b32_e32 v12, 15, v12
	v_lshlrev_b32_sdwa v20, v20, v13 dst_sel:DWORD dst_unused:UNUSED_PAD src0_sel:DWORD src1_sel:WORD_1
	v_bfe_u32 v18, v13, 19, 4
	v_sub_u32_e32 v19, 29, v19
	v_and_b32_e32 v20, 7, v20
	v_cmp_eq_u16_e32 vcc, 0, v12
	v_cndmask_b32_e32 v8, v8, v20, vcc
	v_cndmask_b32_e32 v12, v18, v19, vcc
	v_lshlrev_b32_e32 v18, 8, v13
	v_mov_b32_e32 v19, 0x3b800000
	v_lshlrev_b32_e32 v8, 20, v8
	v_and_b32_e32 v18, 0x80000000, v18
	v_lshl_add_u32 v12, v12, 23, v19
	v_or3_b32 v8, v18, v12, v8
.LBB37_1844:
	s_or_b64 exec, exec, s[6:7]
	s_movk_i32 s4, 0xff
	v_and_b32_sdwa v12, v9, s4 dst_sel:DWORD dst_unused:UNUSED_PAD src0_sel:WORD_1 src1_sel:DWORD
	s_movk_i32 s4, 0x7f
	v_cmp_lt_i16_e32 vcc, s4, v12
	s_mov_b64 s[4:5], 0
                                        ; implicit-def: $sgpr10
	s_and_saveexec_b64 s[6:7], vcc
	s_xor_b64 s[6:7], exec, s[6:7]
	s_cbranch_execnz .LBB37_3893
; %bb.1845:
	s_or_saveexec_b64 s[6:7], s[6:7]
	v_mov_b32_e32 v18, s10
	s_xor_b64 exec, exec, s[6:7]
	s_cbranch_execnz .LBB37_3896
.LBB37_1846:
	s_or_b64 exec, exec, s[6:7]
	s_and_saveexec_b64 s[6:7], s[4:5]
	s_cbranch_execz .LBB37_1848
.LBB37_1847:
	v_bfe_u32 v12, v9, 16, 3
	v_ffbh_u32_e32 v20, v12
	v_min_u32_e32 v20, 32, v20
	v_lshrrev_b32_e32 v18, 19, v9
	v_subrev_u32_e32 v21, 28, v20
	v_and_b32_e32 v18, 15, v18
	v_lshlrev_b32_sdwa v21, v21, v9 dst_sel:DWORD dst_unused:UNUSED_PAD src0_sel:DWORD src1_sel:WORD_1
	v_bfe_u32 v19, v9, 19, 4
	v_sub_u32_e32 v20, 29, v20
	v_and_b32_e32 v21, 7, v21
	v_cmp_eq_u16_e32 vcc, 0, v18
	v_cndmask_b32_e32 v12, v12, v21, vcc
	v_cndmask_b32_e32 v18, v19, v20, vcc
	v_lshlrev_b32_e32 v19, 8, v9
	v_mov_b32_e32 v20, 0x3b800000
	v_lshlrev_b32_e32 v12, 20, v12
	v_and_b32_e32 v19, 0x80000000, v19
	v_lshl_add_u32 v18, v18, 23, v20
	v_or3_b32 v18, v19, v18, v12
.LBB37_1848:
	s_or_b64 exec, exec, s[6:7]
	s_nop 0
	v_mfma_f32_16x16x4f32 a[0:3], v8, v18, a[0:3]
	s_movk_i32 s4, 0x7f
	v_cmp_gt_i16_sdwa s[6:7], v13, s4 src0_sel:BYTE_3 src1_sel:DWORD
	s_mov_b64 s[4:5], 0
                                        ; implicit-def: $sgpr10
	s_and_saveexec_b64 s[8:9], s[6:7]
	s_xor_b64 s[6:7], exec, s[8:9]
	s_cbranch_execnz .LBB37_3897
; %bb.1849:
	s_or_saveexec_b64 s[6:7], s[6:7]
	v_mov_b32_e32 v8, s10
	s_xor_b64 exec, exec, s[6:7]
	s_cbranch_execnz .LBB37_3900
.LBB37_1850:
	s_or_b64 exec, exec, s[6:7]
	s_and_saveexec_b64 s[6:7], s[4:5]
	s_cbranch_execz .LBB37_1852
.LBB37_1851:
	v_bfe_u32 v8, v13, 24, 3
	v_ffbh_u32_e32 v20, v8
	v_min_u32_e32 v20, 32, v20
	v_lshrrev_b32_e32 v18, 27, v13
	v_subrev_u32_e32 v21, 28, v20
	v_and_b32_e32 v12, 0x80000000, v13
	v_and_b32_e32 v18, 15, v18
	v_bfe_u32 v19, v13, 27, 4
	v_lshlrev_b32_sdwa v13, v21, v13 dst_sel:DWORD dst_unused:UNUSED_PAD src0_sel:DWORD src1_sel:BYTE_3
	v_sub_u32_e32 v20, 29, v20
	v_and_b32_e32 v13, 7, v13
	v_cmp_eq_u16_e32 vcc, 0, v18
	v_cndmask_b32_e32 v8, v8, v13, vcc
	v_cndmask_b32_e32 v13, v19, v20, vcc
	v_mov_b32_e32 v18, 0x3b800000
	v_lshlrev_b32_e32 v8, 20, v8
	v_lshl_add_u32 v13, v13, 23, v18
	v_or3_b32 v8, v12, v13, v8
.LBB37_1852:
	s_or_b64 exec, exec, s[6:7]
	s_movk_i32 s4, 0x7f
	v_cmp_gt_i16_sdwa s[6:7], v9, s4 src0_sel:BYTE_3 src1_sel:DWORD
	s_mov_b64 s[4:5], 0
                                        ; implicit-def: $sgpr10
	s_and_saveexec_b64 s[8:9], s[6:7]
	s_xor_b64 s[6:7], exec, s[8:9]
	s_cbranch_execnz .LBB37_3901
; %bb.1853:
	s_or_saveexec_b64 s[6:7], s[6:7]
	v_mov_b32_e32 v12, s10
	s_xor_b64 exec, exec, s[6:7]
	s_cbranch_execnz .LBB37_3904
.LBB37_1854:
	s_or_b64 exec, exec, s[6:7]
	s_and_saveexec_b64 s[6:7], s[4:5]
	s_cbranch_execz .LBB37_1856
.LBB37_1855:
	v_bfe_u32 v12, v9, 24, 3
	v_ffbh_u32_e32 v20, v12
	v_min_u32_e32 v20, 32, v20
	v_lshrrev_b32_e32 v18, 27, v9
	v_subrev_u32_e32 v21, 28, v20
	v_and_b32_e32 v13, 0x80000000, v9
	v_and_b32_e32 v18, 15, v18
	v_bfe_u32 v19, v9, 27, 4
	v_lshlrev_b32_sdwa v9, v21, v9 dst_sel:DWORD dst_unused:UNUSED_PAD src0_sel:DWORD src1_sel:BYTE_3
	v_sub_u32_e32 v20, 29, v20
	v_and_b32_e32 v9, 7, v9
	v_cmp_eq_u16_e32 vcc, 0, v18
	v_cndmask_b32_e32 v9, v12, v9, vcc
	v_cndmask_b32_e32 v12, v19, v20, vcc
	v_mov_b32_e32 v18, 0x3b800000
	v_lshlrev_b32_e32 v9, 20, v9
	v_lshl_add_u32 v12, v12, 23, v18
	v_or3_b32 v12, v13, v12, v9
.LBB37_1856:
	s_or_b64 exec, exec, s[6:7]
	s_nop 0
	v_mfma_f32_16x16x4f32 a[0:3], v8, v12, a[0:3]
	s_movk_i32 s4, 0x7f
	v_cmp_gt_i16_sdwa s[6:7], v14, s4 src0_sel:BYTE_0 src1_sel:DWORD
	s_mov_b64 s[4:5], 0
                                        ; implicit-def: $sgpr10
	s_and_saveexec_b64 s[8:9], s[6:7]
	s_xor_b64 s[6:7], exec, s[8:9]
	s_cbranch_execnz .LBB37_3905
; %bb.1857:
	s_or_saveexec_b64 s[6:7], s[6:7]
	v_mov_b32_e32 v8, s10
	s_xor_b64 exec, exec, s[6:7]
	s_cbranch_execnz .LBB37_3908
.LBB37_1858:
	s_or_b64 exec, exec, s[6:7]
	s_and_saveexec_b64 s[6:7], s[4:5]
	s_cbranch_execz .LBB37_1860
.LBB37_1859:
	v_and_b32_e32 v8, 7, v14
	v_ffbh_u32_e32 v12, v8
	v_min_u32_e32 v12, 32, v12
	v_lshrrev_b16_e32 v9, 3, v14
	v_subrev_u32_e32 v13, 28, v12
	v_and_b32_e32 v9, 15, v9
	v_lshlrev_b32_e32 v13, v13, v14
	v_sub_u32_e32 v12, 29, v12
	v_and_b32_e32 v13, 7, v13
	v_cmp_eq_u16_e32 vcc, 0, v9
	v_cndmask_b32_e32 v8, v8, v13, vcc
	v_cndmask_b32_e32 v9, v9, v12, vcc
	v_lshlrev_b32_e32 v12, 24, v14
	v_mov_b32_e32 v13, 0x3b800000
	v_lshlrev_b32_e32 v8, 20, v8
	v_and_b32_e32 v12, 0x80000000, v12
	v_lshl_add_u32 v9, v9, 23, v13
	v_or3_b32 v8, v12, v9, v8
.LBB37_1860:
	s_or_b64 exec, exec, s[6:7]
	s_movk_i32 s4, 0x7f
	v_cmp_gt_i16_sdwa s[6:7], v10, s4 src0_sel:BYTE_0 src1_sel:DWORD
	s_mov_b64 s[4:5], 0
                                        ; implicit-def: $sgpr10
	s_and_saveexec_b64 s[8:9], s[6:7]
	s_xor_b64 s[6:7], exec, s[8:9]
	s_cbranch_execnz .LBB37_3909
; %bb.1861:
	s_or_saveexec_b64 s[6:7], s[6:7]
	v_mov_b32_e32 v9, s10
	s_xor_b64 exec, exec, s[6:7]
	s_cbranch_execnz .LBB37_3912
.LBB37_1862:
	s_or_b64 exec, exec, s[6:7]
	s_and_saveexec_b64 s[6:7], s[4:5]
	s_cbranch_execz .LBB37_1864
.LBB37_1863:
	v_and_b32_e32 v9, 7, v10
	v_ffbh_u32_e32 v13, v9
	v_min_u32_e32 v13, 32, v13
	v_lshrrev_b16_e32 v12, 3, v10
	v_subrev_u32_e32 v18, 28, v13
	v_and_b32_e32 v12, 15, v12
	v_lshlrev_b32_e32 v18, v18, v10
	v_sub_u32_e32 v13, 29, v13
	v_and_b32_e32 v18, 7, v18
	v_cmp_eq_u16_e32 vcc, 0, v12
	v_cndmask_b32_e32 v9, v9, v18, vcc
	v_cndmask_b32_e32 v12, v12, v13, vcc
	v_lshlrev_b32_e32 v13, 24, v10
	v_mov_b32_e32 v18, 0x3b800000
	v_lshlrev_b32_e32 v9, 20, v9
	v_and_b32_e32 v13, 0x80000000, v13
	v_lshl_add_u32 v12, v12, 23, v18
	v_or3_b32 v9, v13, v12, v9
.LBB37_1864:
	s_or_b64 exec, exec, s[6:7]
	s_nop 0
	v_mfma_f32_16x16x4f32 a[0:3], v8, v9, a[0:3]
	v_lshrrev_b32_e32 v9, 8, v14
	s_movk_i32 s4, 0x7f
	v_cmp_gt_i16_sdwa s[6:7], v9, s4 src0_sel:BYTE_0 src1_sel:DWORD
	s_mov_b64 s[4:5], 0
                                        ; implicit-def: $sgpr10
	s_and_saveexec_b64 s[8:9], s[6:7]
	s_xor_b64 s[6:7], exec, s[8:9]
	s_cbranch_execnz .LBB37_3913
; %bb.1865:
	s_or_saveexec_b64 s[6:7], s[6:7]
	v_mov_b32_e32 v8, s10
	s_xor_b64 exec, exec, s[6:7]
	s_cbranch_execnz .LBB37_3916
.LBB37_1866:
	s_or_b64 exec, exec, s[6:7]
	s_and_saveexec_b64 s[6:7], s[4:5]
	s_cbranch_execz .LBB37_1868
.LBB37_1867:
	v_bfe_u32 v8, v14, 8, 3
	v_ffbh_u32_e32 v13, v8
	v_min_u32_e32 v13, 32, v13
	v_lshrrev_b16_e32 v12, 3, v9
	v_subrev_u32_e32 v18, 28, v13
	v_and_b32_e32 v12, 15, v12
	v_lshlrev_b32_e32 v9, v18, v9
	v_sub_u32_e32 v13, 29, v13
	v_and_b32_e32 v9, 7, v9
	v_cmp_eq_u16_e32 vcc, 0, v12
	v_cndmask_b32_e32 v8, v8, v9, vcc
	v_cndmask_b32_e32 v9, v12, v13, vcc
	v_lshlrev_b32_e32 v12, 16, v14
	v_mov_b32_e32 v13, 0x3b800000
	v_lshlrev_b32_e32 v8, 20, v8
	v_and_b32_e32 v12, 0x80000000, v12
	v_lshl_add_u32 v9, v9, 23, v13
	v_or3_b32 v8, v12, v9, v8
.LBB37_1868:
	s_or_b64 exec, exec, s[6:7]
	v_lshrrev_b32_e32 v9, 8, v10
	s_movk_i32 s4, 0x7f
	v_cmp_gt_i16_sdwa s[6:7], v9, s4 src0_sel:BYTE_0 src1_sel:DWORD
	s_mov_b64 s[4:5], 0
                                        ; implicit-def: $sgpr10
	s_and_saveexec_b64 s[8:9], s[6:7]
	s_xor_b64 s[6:7], exec, s[8:9]
	s_cbranch_execnz .LBB37_3917
; %bb.1869:
	s_or_saveexec_b64 s[6:7], s[6:7]
	v_mov_b32_e32 v12, s10
	s_xor_b64 exec, exec, s[6:7]
	s_cbranch_execnz .LBB37_3920
.LBB37_1870:
	s_or_b64 exec, exec, s[6:7]
	s_and_saveexec_b64 s[6:7], s[4:5]
	s_cbranch_execz .LBB37_1872
.LBB37_1871:
	v_bfe_u32 v12, v10, 8, 3
	v_ffbh_u32_e32 v18, v12
	v_min_u32_e32 v18, 32, v18
	v_lshrrev_b16_e32 v13, 3, v9
	v_subrev_u32_e32 v19, 28, v18
	v_and_b32_e32 v13, 15, v13
	v_lshlrev_b32_e32 v9, v19, v9
	v_sub_u32_e32 v18, 29, v18
	v_and_b32_e32 v9, 7, v9
	v_cmp_eq_u16_e32 vcc, 0, v13
	v_cndmask_b32_e32 v9, v12, v9, vcc
	v_cndmask_b32_e32 v12, v13, v18, vcc
	v_lshlrev_b32_e32 v13, 16, v10
	v_mov_b32_e32 v18, 0x3b800000
	v_lshlrev_b32_e32 v9, 20, v9
	v_and_b32_e32 v13, 0x80000000, v13
	v_lshl_add_u32 v12, v12, 23, v18
	v_or3_b32 v12, v13, v12, v9
.LBB37_1872:
	s_or_b64 exec, exec, s[6:7]
	s_nop 0
	v_mfma_f32_16x16x4f32 a[0:3], v8, v12, a[0:3]
	s_movk_i32 s4, 0xff
	v_and_b32_sdwa v9, v14, s4 dst_sel:DWORD dst_unused:UNUSED_PAD src0_sel:WORD_1 src1_sel:DWORD
	s_movk_i32 s4, 0x7f
	v_cmp_lt_i16_e32 vcc, s4, v9
	s_mov_b64 s[4:5], 0
                                        ; implicit-def: $sgpr10
	s_and_saveexec_b64 s[6:7], vcc
	s_xor_b64 s[6:7], exec, s[6:7]
	s_cbranch_execnz .LBB37_3921
; %bb.1873:
	s_or_saveexec_b64 s[6:7], s[6:7]
	v_mov_b32_e32 v8, s10
	s_xor_b64 exec, exec, s[6:7]
	s_cbranch_execnz .LBB37_3924
.LBB37_1874:
	s_or_b64 exec, exec, s[6:7]
	s_and_saveexec_b64 s[6:7], s[4:5]
	s_cbranch_execz .LBB37_1876
.LBB37_1875:
	v_bfe_u32 v8, v14, 16, 3
	v_ffbh_u32_e32 v13, v8
	v_min_u32_e32 v13, 32, v13
	v_lshrrev_b32_e32 v9, 19, v14
	v_subrev_u32_e32 v18, 28, v13
	v_and_b32_e32 v9, 15, v9
	v_lshlrev_b32_sdwa v18, v18, v14 dst_sel:DWORD dst_unused:UNUSED_PAD src0_sel:DWORD src1_sel:WORD_1
	v_bfe_u32 v12, v14, 19, 4
	v_sub_u32_e32 v13, 29, v13
	v_and_b32_e32 v18, 7, v18
	v_cmp_eq_u16_e32 vcc, 0, v9
	v_cndmask_b32_e32 v8, v8, v18, vcc
	v_cndmask_b32_e32 v9, v12, v13, vcc
	v_lshlrev_b32_e32 v12, 8, v14
	v_mov_b32_e32 v13, 0x3b800000
	v_lshlrev_b32_e32 v8, 20, v8
	v_and_b32_e32 v12, 0x80000000, v12
	v_lshl_add_u32 v9, v9, 23, v13
	v_or3_b32 v8, v12, v9, v8
.LBB37_1876:
	s_or_b64 exec, exec, s[6:7]
	s_movk_i32 s4, 0xff
	v_and_b32_sdwa v9, v10, s4 dst_sel:DWORD dst_unused:UNUSED_PAD src0_sel:WORD_1 src1_sel:DWORD
	s_movk_i32 s4, 0x7f
	v_cmp_lt_i16_e32 vcc, s4, v9
	s_mov_b64 s[4:5], 0
                                        ; implicit-def: $sgpr10
	s_and_saveexec_b64 s[6:7], vcc
	s_xor_b64 s[6:7], exec, s[6:7]
	s_cbranch_execnz .LBB37_3925
; %bb.1877:
	s_or_saveexec_b64 s[6:7], s[6:7]
	v_mov_b32_e32 v12, s10
	s_xor_b64 exec, exec, s[6:7]
	s_cbranch_execnz .LBB37_3928
.LBB37_1878:
	s_or_b64 exec, exec, s[6:7]
	s_and_saveexec_b64 s[6:7], s[4:5]
	s_cbranch_execz .LBB37_1880
.LBB37_1879:
	v_bfe_u32 v9, v10, 16, 3
	v_ffbh_u32_e32 v18, v9
	v_min_u32_e32 v18, 32, v18
	v_lshrrev_b32_e32 v12, 19, v10
	v_subrev_u32_e32 v19, 28, v18
	v_and_b32_e32 v12, 15, v12
	v_lshlrev_b32_sdwa v19, v19, v10 dst_sel:DWORD dst_unused:UNUSED_PAD src0_sel:DWORD src1_sel:WORD_1
	v_bfe_u32 v13, v10, 19, 4
	v_sub_u32_e32 v18, 29, v18
	v_and_b32_e32 v19, 7, v19
	v_cmp_eq_u16_e32 vcc, 0, v12
	v_cndmask_b32_e32 v9, v9, v19, vcc
	v_cndmask_b32_e32 v12, v13, v18, vcc
	v_lshlrev_b32_e32 v13, 8, v10
	v_mov_b32_e32 v18, 0x3b800000
	v_lshlrev_b32_e32 v9, 20, v9
	v_and_b32_e32 v13, 0x80000000, v13
	v_lshl_add_u32 v12, v12, 23, v18
	v_or3_b32 v12, v13, v12, v9
.LBB37_1880:
	s_or_b64 exec, exec, s[6:7]
	s_nop 0
	v_mfma_f32_16x16x4f32 a[0:3], v8, v12, a[0:3]
	s_movk_i32 s4, 0x7f
	v_cmp_gt_i16_sdwa s[6:7], v14, s4 src0_sel:BYTE_3 src1_sel:DWORD
	s_mov_b64 s[4:5], 0
                                        ; implicit-def: $sgpr10
	s_and_saveexec_b64 s[8:9], s[6:7]
	s_xor_b64 s[6:7], exec, s[8:9]
	s_cbranch_execnz .LBB37_3929
; %bb.1881:
	s_or_saveexec_b64 s[6:7], s[6:7]
	v_mov_b32_e32 v8, s10
	s_xor_b64 exec, exec, s[6:7]
	s_cbranch_execnz .LBB37_3932
.LBB37_1882:
	s_or_b64 exec, exec, s[6:7]
	s_and_saveexec_b64 s[6:7], s[4:5]
	s_cbranch_execz .LBB37_1884
.LBB37_1883:
	v_bfe_u32 v8, v14, 24, 3
	v_ffbh_u32_e32 v18, v8
	v_min_u32_e32 v18, 32, v18
	v_lshrrev_b32_e32 v12, 27, v14
	v_subrev_u32_e32 v19, 28, v18
	v_and_b32_e32 v9, 0x80000000, v14
	v_and_b32_e32 v12, 15, v12
	v_bfe_u32 v13, v14, 27, 4
	v_lshlrev_b32_sdwa v14, v19, v14 dst_sel:DWORD dst_unused:UNUSED_PAD src0_sel:DWORD src1_sel:BYTE_3
	v_sub_u32_e32 v18, 29, v18
	v_and_b32_e32 v14, 7, v14
	v_cmp_eq_u16_e32 vcc, 0, v12
	v_cndmask_b32_e32 v8, v8, v14, vcc
	v_cndmask_b32_e32 v12, v13, v18, vcc
	v_mov_b32_e32 v13, 0x3b800000
	v_lshlrev_b32_e32 v8, 20, v8
	v_lshl_add_u32 v12, v12, 23, v13
	v_or3_b32 v8, v9, v12, v8
.LBB37_1884:
	s_or_b64 exec, exec, s[6:7]
	s_movk_i32 s4, 0x7f
	v_cmp_gt_i16_sdwa s[6:7], v10, s4 src0_sel:BYTE_3 src1_sel:DWORD
	s_mov_b64 s[4:5], 0
                                        ; implicit-def: $sgpr10
	s_and_saveexec_b64 s[8:9], s[6:7]
	s_xor_b64 s[6:7], exec, s[8:9]
	s_cbranch_execnz .LBB37_3933
; %bb.1885:
	s_or_saveexec_b64 s[6:7], s[6:7]
	v_mov_b32_e32 v9, s10
	s_xor_b64 exec, exec, s[6:7]
	s_cbranch_execnz .LBB37_3936
.LBB37_1886:
	s_or_b64 exec, exec, s[6:7]
	s_and_saveexec_b64 s[6:7], s[4:5]
	s_cbranch_execz .LBB37_1888
.LBB37_1887:
	v_bfe_u32 v9, v10, 24, 3
	v_ffbh_u32_e32 v18, v9
	v_min_u32_e32 v18, 32, v18
	v_lshrrev_b32_e32 v13, 27, v10
	v_subrev_u32_e32 v19, 28, v18
	v_and_b32_e32 v12, 0x80000000, v10
	v_and_b32_e32 v13, 15, v13
	v_bfe_u32 v14, v10, 27, 4
	v_lshlrev_b32_sdwa v10, v19, v10 dst_sel:DWORD dst_unused:UNUSED_PAD src0_sel:DWORD src1_sel:BYTE_3
	v_sub_u32_e32 v18, 29, v18
	v_and_b32_e32 v10, 7, v10
	v_cmp_eq_u16_e32 vcc, 0, v13
	v_cndmask_b32_e32 v9, v9, v10, vcc
	v_cndmask_b32_e32 v10, v14, v18, vcc
	v_mov_b32_e32 v13, 0x3b800000
	v_lshlrev_b32_e32 v9, 20, v9
	v_lshl_add_u32 v10, v10, 23, v13
	v_or3_b32 v9, v12, v10, v9
.LBB37_1888:
	s_or_b64 exec, exec, s[6:7]
	s_nop 0
	v_mfma_f32_16x16x4f32 a[0:3], v8, v9, a[0:3]
	s_movk_i32 s4, 0x7f
	v_cmp_gt_i16_sdwa s[6:7], v15, s4 src0_sel:BYTE_0 src1_sel:DWORD
	s_mov_b64 s[4:5], 0
                                        ; implicit-def: $sgpr10
	s_and_saveexec_b64 s[8:9], s[6:7]
	s_xor_b64 s[6:7], exec, s[8:9]
	s_cbranch_execnz .LBB37_3937
; %bb.1889:
	s_or_saveexec_b64 s[6:7], s[6:7]
	v_mov_b32_e32 v8, s10
	s_xor_b64 exec, exec, s[6:7]
	s_cbranch_execnz .LBB37_3940
.LBB37_1890:
	s_or_b64 exec, exec, s[6:7]
	s_and_saveexec_b64 s[6:7], s[4:5]
	s_cbranch_execz .LBB37_1892
.LBB37_1891:
	v_and_b32_e32 v8, 7, v15
	v_ffbh_u32_e32 v10, v8
	v_min_u32_e32 v10, 32, v10
	v_lshrrev_b16_e32 v9, 3, v15
	v_subrev_u32_e32 v12, 28, v10
	v_and_b32_e32 v9, 15, v9
	v_lshlrev_b32_e32 v12, v12, v15
	v_sub_u32_e32 v10, 29, v10
	v_and_b32_e32 v12, 7, v12
	v_cmp_eq_u16_e32 vcc, 0, v9
	v_cndmask_b32_e32 v8, v8, v12, vcc
	v_cndmask_b32_e32 v9, v9, v10, vcc
	v_lshlrev_b32_e32 v10, 24, v15
	v_mov_b32_e32 v12, 0x3b800000
	v_lshlrev_b32_e32 v8, 20, v8
	v_and_b32_e32 v10, 0x80000000, v10
	v_lshl_add_u32 v9, v9, 23, v12
	v_or3_b32 v8, v10, v9, v8
.LBB37_1892:
	s_or_b64 exec, exec, s[6:7]
	s_movk_i32 s4, 0x7f
	v_cmp_gt_i16_sdwa s[6:7], v11, s4 src0_sel:BYTE_0 src1_sel:DWORD
	s_mov_b64 s[4:5], 0
                                        ; implicit-def: $sgpr10
	s_and_saveexec_b64 s[8:9], s[6:7]
	s_xor_b64 s[6:7], exec, s[8:9]
	s_cbranch_execnz .LBB37_3941
; %bb.1893:
	s_or_saveexec_b64 s[6:7], s[6:7]
	v_mov_b32_e32 v9, s10
	s_xor_b64 exec, exec, s[6:7]
	s_cbranch_execnz .LBB37_3944
.LBB37_1894:
	s_or_b64 exec, exec, s[6:7]
	s_and_saveexec_b64 s[6:7], s[4:5]
	s_cbranch_execz .LBB37_1896
.LBB37_1895:
	v_and_b32_e32 v9, 7, v11
	v_ffbh_u32_e32 v12, v9
	v_min_u32_e32 v12, 32, v12
	v_lshrrev_b16_e32 v10, 3, v11
	v_subrev_u32_e32 v13, 28, v12
	v_and_b32_e32 v10, 15, v10
	v_lshlrev_b32_e32 v13, v13, v11
	v_sub_u32_e32 v12, 29, v12
	v_and_b32_e32 v13, 7, v13
	v_cmp_eq_u16_e32 vcc, 0, v10
	v_cndmask_b32_e32 v9, v9, v13, vcc
	v_cndmask_b32_e32 v10, v10, v12, vcc
	v_lshlrev_b32_e32 v12, 24, v11
	v_mov_b32_e32 v13, 0x3b800000
	v_lshlrev_b32_e32 v9, 20, v9
	v_and_b32_e32 v12, 0x80000000, v12
	v_lshl_add_u32 v10, v10, 23, v13
	v_or3_b32 v9, v12, v10, v9
.LBB37_1896:
	s_or_b64 exec, exec, s[6:7]
	s_nop 0
	v_mfma_f32_16x16x4f32 a[0:3], v8, v9, a[0:3]
	v_lshrrev_b32_e32 v9, 8, v15
	s_movk_i32 s4, 0x7f
	v_cmp_gt_i16_sdwa s[6:7], v9, s4 src0_sel:BYTE_0 src1_sel:DWORD
	s_mov_b64 s[4:5], 0
                                        ; implicit-def: $sgpr10
	s_and_saveexec_b64 s[8:9], s[6:7]
	s_xor_b64 s[6:7], exec, s[8:9]
	s_cbranch_execnz .LBB37_3945
; %bb.1897:
	s_or_saveexec_b64 s[6:7], s[6:7]
	v_mov_b32_e32 v8, s10
	s_xor_b64 exec, exec, s[6:7]
	s_cbranch_execnz .LBB37_3948
.LBB37_1898:
	s_or_b64 exec, exec, s[6:7]
	s_and_saveexec_b64 s[6:7], s[4:5]
	s_cbranch_execz .LBB37_1900
.LBB37_1899:
	v_bfe_u32 v8, v15, 8, 3
	v_ffbh_u32_e32 v12, v8
	v_min_u32_e32 v12, 32, v12
	v_lshrrev_b16_e32 v10, 3, v9
	v_subrev_u32_e32 v13, 28, v12
	v_and_b32_e32 v10, 15, v10
	v_lshlrev_b32_e32 v9, v13, v9
	v_sub_u32_e32 v12, 29, v12
	v_and_b32_e32 v9, 7, v9
	v_cmp_eq_u16_e32 vcc, 0, v10
	v_cndmask_b32_e32 v8, v8, v9, vcc
	v_cndmask_b32_e32 v9, v10, v12, vcc
	v_lshlrev_b32_e32 v10, 16, v15
	v_mov_b32_e32 v12, 0x3b800000
	v_lshlrev_b32_e32 v8, 20, v8
	v_and_b32_e32 v10, 0x80000000, v10
	v_lshl_add_u32 v9, v9, 23, v12
	v_or3_b32 v8, v10, v9, v8
.LBB37_1900:
	s_or_b64 exec, exec, s[6:7]
	v_lshrrev_b32_e32 v9, 8, v11
	s_movk_i32 s4, 0x7f
	v_cmp_gt_i16_sdwa s[6:7], v9, s4 src0_sel:BYTE_0 src1_sel:DWORD
	s_mov_b64 s[4:5], 0
                                        ; implicit-def: $sgpr10
	s_and_saveexec_b64 s[8:9], s[6:7]
	s_xor_b64 s[6:7], exec, s[8:9]
	s_cbranch_execnz .LBB37_3949
; %bb.1901:
	s_or_saveexec_b64 s[6:7], s[6:7]
	v_mov_b32_e32 v10, s10
	s_xor_b64 exec, exec, s[6:7]
	s_cbranch_execnz .LBB37_3952
.LBB37_1902:
	s_or_b64 exec, exec, s[6:7]
	s_and_saveexec_b64 s[6:7], s[4:5]
	s_cbranch_execz .LBB37_1904
.LBB37_1903:
	v_bfe_u32 v10, v11, 8, 3
	v_ffbh_u32_e32 v13, v10
	v_min_u32_e32 v13, 32, v13
	v_lshrrev_b16_e32 v12, 3, v9
	v_subrev_u32_e32 v14, 28, v13
	v_and_b32_e32 v12, 15, v12
	v_lshlrev_b32_e32 v9, v14, v9
	v_sub_u32_e32 v13, 29, v13
	v_and_b32_e32 v9, 7, v9
	v_cmp_eq_u16_e32 vcc, 0, v12
	v_cndmask_b32_e32 v9, v10, v9, vcc
	v_cndmask_b32_e32 v10, v12, v13, vcc
	v_lshlrev_b32_e32 v12, 16, v11
	v_mov_b32_e32 v13, 0x3b800000
	v_lshlrev_b32_e32 v9, 20, v9
	v_and_b32_e32 v12, 0x80000000, v12
	v_lshl_add_u32 v10, v10, 23, v13
	v_or3_b32 v10, v12, v10, v9
.LBB37_1904:
	s_or_b64 exec, exec, s[6:7]
	s_nop 0
	v_mfma_f32_16x16x4f32 a[0:3], v8, v10, a[0:3]
	s_movk_i32 s4, 0xff
	v_and_b32_sdwa v9, v15, s4 dst_sel:DWORD dst_unused:UNUSED_PAD src0_sel:WORD_1 src1_sel:DWORD
	s_movk_i32 s4, 0x7f
	v_cmp_lt_i16_e32 vcc, s4, v9
	s_mov_b64 s[4:5], 0
                                        ; implicit-def: $sgpr10
	s_and_saveexec_b64 s[6:7], vcc
	s_xor_b64 s[6:7], exec, s[6:7]
	s_cbranch_execnz .LBB37_3953
; %bb.1905:
	s_or_saveexec_b64 s[6:7], s[6:7]
	v_mov_b32_e32 v8, s10
	s_xor_b64 exec, exec, s[6:7]
	s_cbranch_execnz .LBB37_3956
.LBB37_1906:
	s_or_b64 exec, exec, s[6:7]
	s_and_saveexec_b64 s[6:7], s[4:5]
	s_cbranch_execz .LBB37_1908
.LBB37_1907:
	v_bfe_u32 v8, v15, 16, 3
	v_ffbh_u32_e32 v12, v8
	v_min_u32_e32 v12, 32, v12
	v_lshrrev_b32_e32 v9, 19, v15
	v_subrev_u32_e32 v13, 28, v12
	v_and_b32_e32 v9, 15, v9
	v_lshlrev_b32_sdwa v13, v13, v15 dst_sel:DWORD dst_unused:UNUSED_PAD src0_sel:DWORD src1_sel:WORD_1
	v_bfe_u32 v10, v15, 19, 4
	v_sub_u32_e32 v12, 29, v12
	v_and_b32_e32 v13, 7, v13
	v_cmp_eq_u16_e32 vcc, 0, v9
	v_cndmask_b32_e32 v8, v8, v13, vcc
	v_cndmask_b32_e32 v9, v10, v12, vcc
	v_lshlrev_b32_e32 v10, 8, v15
	v_mov_b32_e32 v12, 0x3b800000
	v_lshlrev_b32_e32 v8, 20, v8
	v_and_b32_e32 v10, 0x80000000, v10
	v_lshl_add_u32 v9, v9, 23, v12
	v_or3_b32 v8, v10, v9, v8
.LBB37_1908:
	s_or_b64 exec, exec, s[6:7]
	s_movk_i32 s4, 0xff
	v_and_b32_sdwa v9, v11, s4 dst_sel:DWORD dst_unused:UNUSED_PAD src0_sel:WORD_1 src1_sel:DWORD
	s_movk_i32 s4, 0x7f
	v_cmp_lt_i16_e32 vcc, s4, v9
	s_mov_b64 s[4:5], 0
                                        ; implicit-def: $sgpr10
	s_and_saveexec_b64 s[6:7], vcc
	s_xor_b64 s[6:7], exec, s[6:7]
	s_cbranch_execnz .LBB37_3957
; %bb.1909:
	s_or_saveexec_b64 s[6:7], s[6:7]
	v_mov_b32_e32 v10, s10
	s_xor_b64 exec, exec, s[6:7]
	s_cbranch_execnz .LBB37_3960
.LBB37_1910:
	s_or_b64 exec, exec, s[6:7]
	s_and_saveexec_b64 s[6:7], s[4:5]
	s_cbranch_execz .LBB37_1912
.LBB37_1911:
	v_bfe_u32 v9, v11, 16, 3
	v_ffbh_u32_e32 v13, v9
	v_min_u32_e32 v13, 32, v13
	v_lshrrev_b32_e32 v10, 19, v11
	v_subrev_u32_e32 v14, 28, v13
	v_and_b32_e32 v10, 15, v10
	v_lshlrev_b32_sdwa v14, v14, v11 dst_sel:DWORD dst_unused:UNUSED_PAD src0_sel:DWORD src1_sel:WORD_1
	v_bfe_u32 v12, v11, 19, 4
	v_sub_u32_e32 v13, 29, v13
	v_and_b32_e32 v14, 7, v14
	v_cmp_eq_u16_e32 vcc, 0, v10
	v_cndmask_b32_e32 v9, v9, v14, vcc
	v_cndmask_b32_e32 v10, v12, v13, vcc
	v_lshlrev_b32_e32 v12, 8, v11
	v_mov_b32_e32 v13, 0x3b800000
	v_lshlrev_b32_e32 v9, 20, v9
	v_and_b32_e32 v12, 0x80000000, v12
	v_lshl_add_u32 v10, v10, 23, v13
	v_or3_b32 v10, v12, v10, v9
.LBB37_1912:
	s_or_b64 exec, exec, s[6:7]
	s_nop 0
	v_mfma_f32_16x16x4f32 a[0:3], v8, v10, a[0:3]
	s_movk_i32 s4, 0x7f
	v_cmp_gt_i16_sdwa s[6:7], v15, s4 src0_sel:BYTE_3 src1_sel:DWORD
	s_mov_b64 s[4:5], 0
                                        ; implicit-def: $sgpr10
	s_and_saveexec_b64 s[8:9], s[6:7]
	s_xor_b64 s[6:7], exec, s[8:9]
	s_cbranch_execnz .LBB37_3961
; %bb.1913:
	s_or_saveexec_b64 s[6:7], s[6:7]
	v_mov_b32_e32 v8, s10
	s_xor_b64 exec, exec, s[6:7]
	s_cbranch_execnz .LBB37_3964
.LBB37_1914:
	s_or_b64 exec, exec, s[6:7]
	s_and_saveexec_b64 s[6:7], s[4:5]
	s_cbranch_execz .LBB37_1916
.LBB37_1915:
	v_bfe_u32 v8, v15, 24, 3
	v_ffbh_u32_e32 v13, v8
	v_min_u32_e32 v13, 32, v13
	v_lshrrev_b32_e32 v10, 27, v15
	v_subrev_u32_e32 v14, 28, v13
	v_and_b32_e32 v10, 15, v10
	v_lshlrev_b32_sdwa v14, v14, v15 dst_sel:DWORD dst_unused:UNUSED_PAD src0_sel:DWORD src1_sel:BYTE_3
	v_bfe_u32 v12, v15, 27, 4
	v_sub_u32_e32 v13, 29, v13
	v_and_b32_e32 v14, 7, v14
	v_cmp_eq_u16_e32 vcc, 0, v10
	v_cndmask_b32_e32 v8, v8, v14, vcc
	v_cndmask_b32_e32 v10, v12, v13, vcc
	v_mov_b32_e32 v12, 0x3b800000
	v_and_b32_e32 v9, 0x80000000, v15
	v_lshlrev_b32_e32 v8, 20, v8
	v_lshl_add_u32 v10, v10, 23, v12
	v_or3_b32 v8, v9, v10, v8
.LBB37_1916:
	s_or_b64 exec, exec, s[6:7]
	s_movk_i32 s4, 0x7f
	v_cmp_gt_i16_sdwa s[6:7], v11, s4 src0_sel:BYTE_3 src1_sel:DWORD
	s_mov_b64 s[4:5], 0
                                        ; implicit-def: $sgpr10
	s_and_saveexec_b64 s[8:9], s[6:7]
	s_xor_b64 s[6:7], exec, s[8:9]
	s_cbranch_execnz .LBB37_3965
; %bb.1917:
	s_or_saveexec_b64 s[6:7], s[6:7]
	v_mov_b32_e32 v9, s10
	s_xor_b64 exec, exec, s[6:7]
	s_cbranch_execnz .LBB37_3968
.LBB37_1918:
	s_or_b64 exec, exec, s[6:7]
	s_and_saveexec_b64 s[6:7], s[4:5]
	s_cbranch_execz .LBB37_1920
.LBB37_1919:
	v_bfe_u32 v9, v11, 24, 3
	v_ffbh_u32_e32 v14, v9
	v_min_u32_e32 v14, 32, v14
	v_lshrrev_b32_e32 v12, 27, v11
	v_subrev_u32_e32 v15, 28, v14
	v_and_b32_e32 v10, 0x80000000, v11
	v_and_b32_e32 v12, 15, v12
	v_bfe_u32 v13, v11, 27, 4
	v_lshlrev_b32_sdwa v11, v15, v11 dst_sel:DWORD dst_unused:UNUSED_PAD src0_sel:DWORD src1_sel:BYTE_3
	v_sub_u32_e32 v14, 29, v14
	v_and_b32_e32 v11, 7, v11
	v_cmp_eq_u16_e32 vcc, 0, v12
	v_cndmask_b32_e32 v9, v9, v11, vcc
	v_cndmask_b32_e32 v11, v13, v14, vcc
	v_mov_b32_e32 v12, 0x3b800000
	v_lshlrev_b32_e32 v9, 20, v9
	v_lshl_add_u32 v11, v11, 23, v12
	v_or3_b32 v9, v10, v11, v9
.LBB37_1920:
	s_or_b64 exec, exec, s[6:7]
	s_nop 0
	v_mfma_f32_16x16x4f32 a[0:3], v8, v9, a[0:3]
	s_movk_i32 s4, 0x7f
	v_cmp_gt_i16_sdwa s[6:7], v4, s4 src0_sel:BYTE_0 src1_sel:DWORD
	s_mov_b64 s[4:5], 0
                                        ; implicit-def: $sgpr10
	s_and_saveexec_b64 s[8:9], s[6:7]
	s_xor_b64 s[6:7], exec, s[8:9]
	s_cbranch_execnz .LBB37_3969
; %bb.1921:
	s_or_saveexec_b64 s[6:7], s[6:7]
	v_mov_b32_e32 v8, s10
	s_xor_b64 exec, exec, s[6:7]
	s_cbranch_execnz .LBB37_3972
.LBB37_1922:
	s_or_b64 exec, exec, s[6:7]
	s_and_saveexec_b64 s[6:7], s[4:5]
	s_cbranch_execz .LBB37_1924
.LBB37_1923:
	v_and_b32_e32 v8, 7, v4
	v_ffbh_u32_e32 v10, v8
	v_min_u32_e32 v10, 32, v10
	v_lshrrev_b16_e32 v9, 3, v4
	v_subrev_u32_e32 v11, 28, v10
	v_and_b32_e32 v9, 15, v9
	v_lshlrev_b32_e32 v11, v11, v4
	v_sub_u32_e32 v10, 29, v10
	v_and_b32_e32 v11, 7, v11
	v_cmp_eq_u16_e32 vcc, 0, v9
	v_cndmask_b32_e32 v8, v8, v11, vcc
	v_cndmask_b32_e32 v9, v9, v10, vcc
	v_lshlrev_b32_e32 v10, 24, v4
	v_mov_b32_e32 v11, 0x3b800000
	v_lshlrev_b32_e32 v8, 20, v8
	v_and_b32_e32 v10, 0x80000000, v10
	v_lshl_add_u32 v9, v9, 23, v11
	v_or3_b32 v8, v10, v9, v8
.LBB37_1924:
	s_or_b64 exec, exec, s[6:7]
	s_movk_i32 s4, 0x7f
	v_cmp_gt_i16_sdwa s[6:7], v0, s4 src0_sel:BYTE_0 src1_sel:DWORD
	s_mov_b64 s[4:5], 0
                                        ; implicit-def: $sgpr10
	s_and_saveexec_b64 s[8:9], s[6:7]
	s_xor_b64 s[6:7], exec, s[8:9]
	s_cbranch_execnz .LBB37_3973
; %bb.1925:
	s_or_saveexec_b64 s[6:7], s[6:7]
	v_mov_b32_e32 v9, s10
	s_xor_b64 exec, exec, s[6:7]
	s_cbranch_execnz .LBB37_3976
.LBB37_1926:
	s_or_b64 exec, exec, s[6:7]
	s_and_saveexec_b64 s[6:7], s[4:5]
	s_cbranch_execz .LBB37_1928
.LBB37_1927:
	v_and_b32_e32 v9, 7, v0
	v_ffbh_u32_e32 v11, v9
	v_min_u32_e32 v11, 32, v11
	v_lshrrev_b16_e32 v10, 3, v0
	v_subrev_u32_e32 v12, 28, v11
	v_and_b32_e32 v10, 15, v10
	v_lshlrev_b32_e32 v12, v12, v0
	v_sub_u32_e32 v11, 29, v11
	v_and_b32_e32 v12, 7, v12
	v_cmp_eq_u16_e32 vcc, 0, v10
	v_cndmask_b32_e32 v9, v9, v12, vcc
	v_cndmask_b32_e32 v10, v10, v11, vcc
	v_lshlrev_b32_e32 v11, 24, v0
	v_mov_b32_e32 v12, 0x3b800000
	v_lshlrev_b32_e32 v9, 20, v9
	v_and_b32_e32 v11, 0x80000000, v11
	v_lshl_add_u32 v10, v10, 23, v12
	v_or3_b32 v9, v11, v10, v9
.LBB37_1928:
	s_or_b64 exec, exec, s[6:7]
	s_nop 0
	v_mfma_f32_16x16x4f32 a[0:3], v8, v9, a[0:3]
	v_lshrrev_b32_e32 v9, 8, v4
	s_movk_i32 s4, 0x7f
	v_cmp_gt_i16_sdwa s[6:7], v9, s4 src0_sel:BYTE_0 src1_sel:DWORD
	s_mov_b64 s[4:5], 0
                                        ; implicit-def: $sgpr10
	s_and_saveexec_b64 s[8:9], s[6:7]
	s_xor_b64 s[6:7], exec, s[8:9]
	s_cbranch_execnz .LBB37_3977
; %bb.1929:
	s_or_saveexec_b64 s[6:7], s[6:7]
	v_mov_b32_e32 v8, s10
	s_xor_b64 exec, exec, s[6:7]
	s_cbranch_execnz .LBB37_3980
.LBB37_1930:
	s_or_b64 exec, exec, s[6:7]
	s_and_saveexec_b64 s[6:7], s[4:5]
	s_cbranch_execz .LBB37_1932
.LBB37_1931:
	v_bfe_u32 v8, v4, 8, 3
	v_ffbh_u32_e32 v11, v8
	v_min_u32_e32 v11, 32, v11
	v_lshrrev_b16_e32 v10, 3, v9
	v_subrev_u32_e32 v12, 28, v11
	v_and_b32_e32 v10, 15, v10
	v_lshlrev_b32_e32 v9, v12, v9
	v_sub_u32_e32 v11, 29, v11
	v_and_b32_e32 v9, 7, v9
	v_cmp_eq_u16_e32 vcc, 0, v10
	v_cndmask_b32_e32 v8, v8, v9, vcc
	v_cndmask_b32_e32 v9, v10, v11, vcc
	v_lshlrev_b32_e32 v10, 16, v4
	v_mov_b32_e32 v11, 0x3b800000
	v_lshlrev_b32_e32 v8, 20, v8
	v_and_b32_e32 v10, 0x80000000, v10
	v_lshl_add_u32 v9, v9, 23, v11
	v_or3_b32 v8, v10, v9, v8
.LBB37_1932:
	s_or_b64 exec, exec, s[6:7]
	v_lshrrev_b32_e32 v9, 8, v0
	s_movk_i32 s4, 0x7f
	v_cmp_gt_i16_sdwa s[6:7], v9, s4 src0_sel:BYTE_0 src1_sel:DWORD
	s_mov_b64 s[4:5], 0
                                        ; implicit-def: $sgpr10
	s_and_saveexec_b64 s[8:9], s[6:7]
	s_xor_b64 s[6:7], exec, s[8:9]
	s_cbranch_execnz .LBB37_3981
; %bb.1933:
	s_or_saveexec_b64 s[6:7], s[6:7]
	v_mov_b32_e32 v10, s10
	s_xor_b64 exec, exec, s[6:7]
	s_cbranch_execnz .LBB37_3984
.LBB37_1934:
	s_or_b64 exec, exec, s[6:7]
	s_and_saveexec_b64 s[6:7], s[4:5]
	s_cbranch_execz .LBB37_1936
.LBB37_1935:
	v_bfe_u32 v10, v0, 8, 3
	v_ffbh_u32_e32 v12, v10
	v_min_u32_e32 v12, 32, v12
	v_lshrrev_b16_e32 v11, 3, v9
	v_subrev_u32_e32 v13, 28, v12
	v_and_b32_e32 v11, 15, v11
	v_lshlrev_b32_e32 v9, v13, v9
	v_sub_u32_e32 v12, 29, v12
	v_and_b32_e32 v9, 7, v9
	v_cmp_eq_u16_e32 vcc, 0, v11
	v_cndmask_b32_e32 v9, v10, v9, vcc
	v_cndmask_b32_e32 v10, v11, v12, vcc
	v_lshlrev_b32_e32 v11, 16, v0
	v_mov_b32_e32 v12, 0x3b800000
	v_lshlrev_b32_e32 v9, 20, v9
	v_and_b32_e32 v11, 0x80000000, v11
	v_lshl_add_u32 v10, v10, 23, v12
	v_or3_b32 v10, v11, v10, v9
.LBB37_1936:
	s_or_b64 exec, exec, s[6:7]
	s_nop 0
	v_mfma_f32_16x16x4f32 a[0:3], v8, v10, a[0:3]
	s_movk_i32 s4, 0xff
	v_and_b32_sdwa v9, v4, s4 dst_sel:DWORD dst_unused:UNUSED_PAD src0_sel:WORD_1 src1_sel:DWORD
	s_movk_i32 s4, 0x7f
	v_cmp_lt_i16_e32 vcc, s4, v9
	s_mov_b64 s[4:5], 0
                                        ; implicit-def: $sgpr10
	s_and_saveexec_b64 s[6:7], vcc
	s_xor_b64 s[6:7], exec, s[6:7]
	s_cbranch_execnz .LBB37_3985
; %bb.1937:
	s_or_saveexec_b64 s[6:7], s[6:7]
	v_mov_b32_e32 v8, s10
	s_xor_b64 exec, exec, s[6:7]
	s_cbranch_execnz .LBB37_3988
.LBB37_1938:
	s_or_b64 exec, exec, s[6:7]
	s_and_saveexec_b64 s[6:7], s[4:5]
	s_cbranch_execz .LBB37_1940
.LBB37_1939:
	v_bfe_u32 v8, v4, 16, 3
	v_ffbh_u32_e32 v11, v8
	v_min_u32_e32 v11, 32, v11
	v_lshrrev_b32_e32 v9, 19, v4
	v_subrev_u32_e32 v12, 28, v11
	v_and_b32_e32 v9, 15, v9
	v_lshlrev_b32_sdwa v12, v12, v4 dst_sel:DWORD dst_unused:UNUSED_PAD src0_sel:DWORD src1_sel:WORD_1
	v_bfe_u32 v10, v4, 19, 4
	v_sub_u32_e32 v11, 29, v11
	v_and_b32_e32 v12, 7, v12
	v_cmp_eq_u16_e32 vcc, 0, v9
	v_cndmask_b32_e32 v8, v8, v12, vcc
	v_cndmask_b32_e32 v9, v10, v11, vcc
	v_lshlrev_b32_e32 v10, 8, v4
	v_mov_b32_e32 v11, 0x3b800000
	v_lshlrev_b32_e32 v8, 20, v8
	v_and_b32_e32 v10, 0x80000000, v10
	v_lshl_add_u32 v9, v9, 23, v11
	v_or3_b32 v8, v10, v9, v8
.LBB37_1940:
	s_or_b64 exec, exec, s[6:7]
	s_movk_i32 s4, 0xff
	v_and_b32_sdwa v9, v0, s4 dst_sel:DWORD dst_unused:UNUSED_PAD src0_sel:WORD_1 src1_sel:DWORD
	s_movk_i32 s4, 0x7f
	v_cmp_lt_i16_e32 vcc, s4, v9
	s_mov_b64 s[4:5], 0
                                        ; implicit-def: $sgpr10
	s_and_saveexec_b64 s[6:7], vcc
	s_xor_b64 s[6:7], exec, s[6:7]
	s_cbranch_execnz .LBB37_3989
; %bb.1941:
	s_or_saveexec_b64 s[6:7], s[6:7]
	v_mov_b32_e32 v10, s10
	s_xor_b64 exec, exec, s[6:7]
	s_cbranch_execnz .LBB37_3992
.LBB37_1942:
	s_or_b64 exec, exec, s[6:7]
	s_and_saveexec_b64 s[6:7], s[4:5]
	s_cbranch_execz .LBB37_1944
.LBB37_1943:
	v_bfe_u32 v9, v0, 16, 3
	v_ffbh_u32_e32 v12, v9
	v_min_u32_e32 v12, 32, v12
	v_lshrrev_b32_e32 v10, 19, v0
	v_subrev_u32_e32 v13, 28, v12
	v_and_b32_e32 v10, 15, v10
	v_lshlrev_b32_sdwa v13, v13, v0 dst_sel:DWORD dst_unused:UNUSED_PAD src0_sel:DWORD src1_sel:WORD_1
	v_bfe_u32 v11, v0, 19, 4
	v_sub_u32_e32 v12, 29, v12
	v_and_b32_e32 v13, 7, v13
	v_cmp_eq_u16_e32 vcc, 0, v10
	v_cndmask_b32_e32 v9, v9, v13, vcc
	v_cndmask_b32_e32 v10, v11, v12, vcc
	v_lshlrev_b32_e32 v11, 8, v0
	v_mov_b32_e32 v12, 0x3b800000
	v_lshlrev_b32_e32 v9, 20, v9
	v_and_b32_e32 v11, 0x80000000, v11
	v_lshl_add_u32 v10, v10, 23, v12
	v_or3_b32 v10, v11, v10, v9
.LBB37_1944:
	s_or_b64 exec, exec, s[6:7]
	s_nop 0
	v_mfma_f32_16x16x4f32 a[0:3], v8, v10, a[0:3]
	s_movk_i32 s4, 0x7f
	v_cmp_gt_i16_sdwa s[6:7], v4, s4 src0_sel:BYTE_3 src1_sel:DWORD
	s_mov_b64 s[4:5], 0
                                        ; implicit-def: $sgpr10
	s_and_saveexec_b64 s[8:9], s[6:7]
	s_xor_b64 s[6:7], exec, s[8:9]
	s_cbranch_execnz .LBB37_3993
; %bb.1945:
	s_or_saveexec_b64 s[6:7], s[6:7]
	v_mov_b32_e32 v8, s10
	s_xor_b64 exec, exec, s[6:7]
	s_cbranch_execnz .LBB37_3996
.LBB37_1946:
	s_or_b64 exec, exec, s[6:7]
	s_and_saveexec_b64 s[6:7], s[4:5]
	s_cbranch_execz .LBB37_1948
.LBB37_1947:
	v_bfe_u32 v8, v4, 24, 3
	v_ffbh_u32_e32 v12, v8
	v_min_u32_e32 v12, 32, v12
	v_lshrrev_b32_e32 v10, 27, v4
	v_subrev_u32_e32 v13, 28, v12
	v_and_b32_e32 v9, 0x80000000, v4
	v_and_b32_e32 v10, 15, v10
	v_bfe_u32 v11, v4, 27, 4
	v_lshlrev_b32_sdwa v4, v13, v4 dst_sel:DWORD dst_unused:UNUSED_PAD src0_sel:DWORD src1_sel:BYTE_3
	v_sub_u32_e32 v12, 29, v12
	v_and_b32_e32 v4, 7, v4
	v_cmp_eq_u16_e32 vcc, 0, v10
	v_cndmask_b32_e32 v4, v8, v4, vcc
	v_cndmask_b32_e32 v8, v11, v12, vcc
	v_mov_b32_e32 v10, 0x3b800000
	v_lshlrev_b32_e32 v4, 20, v4
	v_lshl_add_u32 v8, v8, 23, v10
	v_or3_b32 v8, v9, v8, v4
.LBB37_1948:
	s_or_b64 exec, exec, s[6:7]
	s_movk_i32 s4, 0x7f
	v_cmp_gt_i16_sdwa s[6:7], v0, s4 src0_sel:BYTE_3 src1_sel:DWORD
	s_mov_b64 s[4:5], 0
                                        ; implicit-def: $sgpr10
	s_and_saveexec_b64 s[8:9], s[6:7]
	s_xor_b64 s[6:7], exec, s[8:9]
	s_cbranch_execnz .LBB37_3997
; %bb.1949:
	s_or_saveexec_b64 s[6:7], s[6:7]
	v_mov_b32_e32 v4, s10
	s_xor_b64 exec, exec, s[6:7]
	s_cbranch_execnz .LBB37_4000
.LBB37_1950:
	s_or_b64 exec, exec, s[6:7]
	s_and_saveexec_b64 s[6:7], s[4:5]
	s_cbranch_execz .LBB37_1952
.LBB37_1951:
	v_bfe_u32 v4, v0, 24, 3
	v_ffbh_u32_e32 v12, v4
	v_min_u32_e32 v12, 32, v12
	v_lshrrev_b32_e32 v10, 27, v0
	v_subrev_u32_e32 v13, 28, v12
	v_and_b32_e32 v9, 0x80000000, v0
	v_and_b32_e32 v10, 15, v10
	v_bfe_u32 v11, v0, 27, 4
	v_lshlrev_b32_sdwa v0, v13, v0 dst_sel:DWORD dst_unused:UNUSED_PAD src0_sel:DWORD src1_sel:BYTE_3
	v_sub_u32_e32 v12, 29, v12
	v_and_b32_e32 v0, 7, v0
	v_cmp_eq_u16_e32 vcc, 0, v10
	v_cndmask_b32_e32 v0, v4, v0, vcc
	v_cndmask_b32_e32 v4, v11, v12, vcc
	v_mov_b32_e32 v10, 0x3b800000
	v_lshlrev_b32_e32 v0, 20, v0
	v_lshl_add_u32 v4, v4, 23, v10
	v_or3_b32 v4, v9, v4, v0
.LBB37_1952:
	s_or_b64 exec, exec, s[6:7]
	s_nop 0
	v_mfma_f32_16x16x4f32 a[0:3], v8, v4, a[0:3]
	s_movk_i32 s4, 0x7f
	v_cmp_gt_i16_sdwa s[6:7], v5, s4 src0_sel:BYTE_0 src1_sel:DWORD
	s_mov_b64 s[4:5], 0
                                        ; implicit-def: $sgpr10
	s_and_saveexec_b64 s[8:9], s[6:7]
	s_xor_b64 s[6:7], exec, s[8:9]
	s_cbranch_execnz .LBB37_4001
; %bb.1953:
	s_or_saveexec_b64 s[6:7], s[6:7]
	v_mov_b32_e32 v0, s10
	s_xor_b64 exec, exec, s[6:7]
	s_cbranch_execnz .LBB37_4004
.LBB37_1954:
	s_or_b64 exec, exec, s[6:7]
	s_and_saveexec_b64 s[6:7], s[4:5]
	s_cbranch_execz .LBB37_1956
.LBB37_1955:
	v_and_b32_e32 v0, 7, v5
	v_ffbh_u32_e32 v8, v0
	v_min_u32_e32 v8, 32, v8
	v_lshrrev_b16_e32 v4, 3, v5
	v_subrev_u32_e32 v9, 28, v8
	v_and_b32_e32 v4, 15, v4
	v_lshlrev_b32_e32 v9, v9, v5
	v_sub_u32_e32 v8, 29, v8
	v_and_b32_e32 v9, 7, v9
	v_cmp_eq_u16_e32 vcc, 0, v4
	v_cndmask_b32_e32 v0, v0, v9, vcc
	v_cndmask_b32_e32 v4, v4, v8, vcc
	v_lshlrev_b32_e32 v8, 24, v5
	v_mov_b32_e32 v9, 0x3b800000
	v_lshlrev_b32_e32 v0, 20, v0
	v_and_b32_e32 v8, 0x80000000, v8
	v_lshl_add_u32 v4, v4, 23, v9
	v_or3_b32 v0, v8, v4, v0
.LBB37_1956:
	s_or_b64 exec, exec, s[6:7]
	s_movk_i32 s4, 0x7f
	v_cmp_gt_i16_sdwa s[6:7], v1, s4 src0_sel:BYTE_0 src1_sel:DWORD
	s_mov_b64 s[4:5], 0
                                        ; implicit-def: $sgpr10
	s_and_saveexec_b64 s[8:9], s[6:7]
	s_xor_b64 s[6:7], exec, s[8:9]
	s_cbranch_execnz .LBB37_4005
; %bb.1957:
	s_or_saveexec_b64 s[6:7], s[6:7]
	v_mov_b32_e32 v4, s10
	s_xor_b64 exec, exec, s[6:7]
	s_cbranch_execnz .LBB37_4008
.LBB37_1958:
	s_or_b64 exec, exec, s[6:7]
	s_and_saveexec_b64 s[6:7], s[4:5]
	s_cbranch_execz .LBB37_1960
.LBB37_1959:
	v_and_b32_e32 v4, 7, v1
	v_ffbh_u32_e32 v9, v4
	v_min_u32_e32 v9, 32, v9
	v_lshrrev_b16_e32 v8, 3, v1
	v_subrev_u32_e32 v10, 28, v9
	v_and_b32_e32 v8, 15, v8
	v_lshlrev_b32_e32 v10, v10, v1
	v_sub_u32_e32 v9, 29, v9
	v_and_b32_e32 v10, 7, v10
	v_cmp_eq_u16_e32 vcc, 0, v8
	v_cndmask_b32_e32 v4, v4, v10, vcc
	v_cndmask_b32_e32 v8, v8, v9, vcc
	v_lshlrev_b32_e32 v9, 24, v1
	v_mov_b32_e32 v10, 0x3b800000
	v_lshlrev_b32_e32 v4, 20, v4
	v_and_b32_e32 v9, 0x80000000, v9
	v_lshl_add_u32 v8, v8, 23, v10
	v_or3_b32 v4, v9, v8, v4
.LBB37_1960:
	s_or_b64 exec, exec, s[6:7]
	s_nop 0
	v_mfma_f32_16x16x4f32 a[0:3], v0, v4, a[0:3]
	v_lshrrev_b32_e32 v4, 8, v5
	s_movk_i32 s4, 0x7f
	v_cmp_gt_i16_sdwa s[6:7], v4, s4 src0_sel:BYTE_0 src1_sel:DWORD
	s_mov_b64 s[4:5], 0
                                        ; implicit-def: $sgpr10
	s_and_saveexec_b64 s[8:9], s[6:7]
	s_xor_b64 s[6:7], exec, s[8:9]
	s_cbranch_execnz .LBB37_4009
; %bb.1961:
	s_or_saveexec_b64 s[6:7], s[6:7]
	v_mov_b32_e32 v0, s10
	s_xor_b64 exec, exec, s[6:7]
	s_cbranch_execnz .LBB37_4012
.LBB37_1962:
	s_or_b64 exec, exec, s[6:7]
	s_and_saveexec_b64 s[6:7], s[4:5]
	s_cbranch_execz .LBB37_1964
.LBB37_1963:
	v_bfe_u32 v0, v5, 8, 3
	v_ffbh_u32_e32 v9, v0
	v_min_u32_e32 v9, 32, v9
	v_lshrrev_b16_e32 v8, 3, v4
	v_subrev_u32_e32 v10, 28, v9
	v_and_b32_e32 v8, 15, v8
	v_lshlrev_b32_e32 v4, v10, v4
	v_sub_u32_e32 v9, 29, v9
	v_and_b32_e32 v4, 7, v4
	v_cmp_eq_u16_e32 vcc, 0, v8
	v_cndmask_b32_e32 v0, v0, v4, vcc
	v_cndmask_b32_e32 v4, v8, v9, vcc
	v_lshlrev_b32_e32 v8, 16, v5
	v_mov_b32_e32 v9, 0x3b800000
	v_lshlrev_b32_e32 v0, 20, v0
	v_and_b32_e32 v8, 0x80000000, v8
	v_lshl_add_u32 v4, v4, 23, v9
	v_or3_b32 v0, v8, v4, v0
.LBB37_1964:
	s_or_b64 exec, exec, s[6:7]
	v_lshrrev_b32_e32 v4, 8, v1
	s_movk_i32 s4, 0x7f
	v_cmp_gt_i16_sdwa s[6:7], v4, s4 src0_sel:BYTE_0 src1_sel:DWORD
	s_mov_b64 s[4:5], 0
                                        ; implicit-def: $sgpr10
	s_and_saveexec_b64 s[8:9], s[6:7]
	s_xor_b64 s[6:7], exec, s[8:9]
	s_cbranch_execnz .LBB37_4013
; %bb.1965:
	s_or_saveexec_b64 s[6:7], s[6:7]
	v_mov_b32_e32 v8, s10
	s_xor_b64 exec, exec, s[6:7]
	s_cbranch_execnz .LBB37_4016
.LBB37_1966:
	s_or_b64 exec, exec, s[6:7]
	s_and_saveexec_b64 s[6:7], s[4:5]
	s_cbranch_execz .LBB37_1968
.LBB37_1967:
	v_bfe_u32 v8, v1, 8, 3
	v_ffbh_u32_e32 v10, v8
	v_min_u32_e32 v10, 32, v10
	v_lshrrev_b16_e32 v9, 3, v4
	v_subrev_u32_e32 v11, 28, v10
	v_and_b32_e32 v9, 15, v9
	v_lshlrev_b32_e32 v4, v11, v4
	v_sub_u32_e32 v10, 29, v10
	v_and_b32_e32 v4, 7, v4
	v_cmp_eq_u16_e32 vcc, 0, v9
	v_cndmask_b32_e32 v4, v8, v4, vcc
	v_cndmask_b32_e32 v8, v9, v10, vcc
	v_lshlrev_b32_e32 v9, 16, v1
	v_mov_b32_e32 v10, 0x3b800000
	v_lshlrev_b32_e32 v4, 20, v4
	v_and_b32_e32 v9, 0x80000000, v9
	v_lshl_add_u32 v8, v8, 23, v10
	v_or3_b32 v8, v9, v8, v4
.LBB37_1968:
	s_or_b64 exec, exec, s[6:7]
	s_nop 0
	v_mfma_f32_16x16x4f32 a[0:3], v0, v8, a[0:3]
	s_movk_i32 s4, 0xff
	v_and_b32_sdwa v4, v5, s4 dst_sel:DWORD dst_unused:UNUSED_PAD src0_sel:WORD_1 src1_sel:DWORD
	s_movk_i32 s4, 0x7f
	v_cmp_lt_i16_e32 vcc, s4, v4
	s_mov_b64 s[4:5], 0
                                        ; implicit-def: $sgpr10
	s_and_saveexec_b64 s[6:7], vcc
	s_xor_b64 s[6:7], exec, s[6:7]
	s_cbranch_execnz .LBB37_4017
; %bb.1969:
	s_or_saveexec_b64 s[6:7], s[6:7]
	v_mov_b32_e32 v0, s10
	s_xor_b64 exec, exec, s[6:7]
	s_cbranch_execnz .LBB37_4020
.LBB37_1970:
	s_or_b64 exec, exec, s[6:7]
	s_and_saveexec_b64 s[6:7], s[4:5]
	s_cbranch_execz .LBB37_1972
.LBB37_1971:
	v_bfe_u32 v0, v5, 16, 3
	v_ffbh_u32_e32 v9, v0
	v_min_u32_e32 v9, 32, v9
	v_lshrrev_b32_e32 v4, 19, v5
	v_subrev_u32_e32 v10, 28, v9
	v_and_b32_e32 v4, 15, v4
	v_lshlrev_b32_sdwa v10, v10, v5 dst_sel:DWORD dst_unused:UNUSED_PAD src0_sel:DWORD src1_sel:WORD_1
	v_bfe_u32 v8, v5, 19, 4
	v_sub_u32_e32 v9, 29, v9
	v_and_b32_e32 v10, 7, v10
	v_cmp_eq_u16_e32 vcc, 0, v4
	v_cndmask_b32_e32 v0, v0, v10, vcc
	v_cndmask_b32_e32 v4, v8, v9, vcc
	v_lshlrev_b32_e32 v8, 8, v5
	v_mov_b32_e32 v9, 0x3b800000
	v_lshlrev_b32_e32 v0, 20, v0
	v_and_b32_e32 v8, 0x80000000, v8
	v_lshl_add_u32 v4, v4, 23, v9
	v_or3_b32 v0, v8, v4, v0
.LBB37_1972:
	s_or_b64 exec, exec, s[6:7]
	s_movk_i32 s4, 0xff
	v_and_b32_sdwa v4, v1, s4 dst_sel:DWORD dst_unused:UNUSED_PAD src0_sel:WORD_1 src1_sel:DWORD
	s_movk_i32 s4, 0x7f
	v_cmp_lt_i16_e32 vcc, s4, v4
	s_mov_b64 s[4:5], 0
                                        ; implicit-def: $sgpr10
	s_and_saveexec_b64 s[6:7], vcc
	s_xor_b64 s[6:7], exec, s[6:7]
	s_cbranch_execnz .LBB37_4021
; %bb.1973:
	s_or_saveexec_b64 s[6:7], s[6:7]
	v_mov_b32_e32 v8, s10
	s_xor_b64 exec, exec, s[6:7]
	s_cbranch_execnz .LBB37_4024
.LBB37_1974:
	s_or_b64 exec, exec, s[6:7]
	s_and_saveexec_b64 s[6:7], s[4:5]
	s_cbranch_execz .LBB37_1976
.LBB37_1975:
	v_bfe_u32 v4, v1, 16, 3
	v_ffbh_u32_e32 v10, v4
	v_min_u32_e32 v10, 32, v10
	v_lshrrev_b32_e32 v8, 19, v1
	v_subrev_u32_e32 v11, 28, v10
	v_and_b32_e32 v8, 15, v8
	v_lshlrev_b32_sdwa v11, v11, v1 dst_sel:DWORD dst_unused:UNUSED_PAD src0_sel:DWORD src1_sel:WORD_1
	v_bfe_u32 v9, v1, 19, 4
	v_sub_u32_e32 v10, 29, v10
	v_and_b32_e32 v11, 7, v11
	v_cmp_eq_u16_e32 vcc, 0, v8
	v_cndmask_b32_e32 v4, v4, v11, vcc
	v_cndmask_b32_e32 v8, v9, v10, vcc
	v_lshlrev_b32_e32 v9, 8, v1
	v_mov_b32_e32 v10, 0x3b800000
	v_lshlrev_b32_e32 v4, 20, v4
	v_and_b32_e32 v9, 0x80000000, v9
	v_lshl_add_u32 v8, v8, 23, v10
	v_or3_b32 v8, v9, v8, v4
.LBB37_1976:
	s_or_b64 exec, exec, s[6:7]
	s_nop 0
	v_mfma_f32_16x16x4f32 a[0:3], v0, v8, a[0:3]
	s_movk_i32 s4, 0x7f
	v_cmp_gt_i16_sdwa s[6:7], v5, s4 src0_sel:BYTE_3 src1_sel:DWORD
	s_mov_b64 s[4:5], 0
                                        ; implicit-def: $sgpr10
	s_and_saveexec_b64 s[8:9], s[6:7]
	s_xor_b64 s[6:7], exec, s[8:9]
	s_cbranch_execnz .LBB37_4025
; %bb.1977:
	s_or_saveexec_b64 s[6:7], s[6:7]
	v_mov_b32_e32 v0, s10
	s_xor_b64 exec, exec, s[6:7]
	s_cbranch_execnz .LBB37_4028
.LBB37_1978:
	s_or_b64 exec, exec, s[6:7]
	s_and_saveexec_b64 s[6:7], s[4:5]
	s_cbranch_execz .LBB37_1980
.LBB37_1979:
	v_bfe_u32 v0, v5, 24, 3
	v_ffbh_u32_e32 v10, v0
	v_min_u32_e32 v10, 32, v10
	v_lshrrev_b32_e32 v8, 27, v5
	v_subrev_u32_e32 v11, 28, v10
	v_and_b32_e32 v4, 0x80000000, v5
	v_and_b32_e32 v8, 15, v8
	v_bfe_u32 v9, v5, 27, 4
	v_lshlrev_b32_sdwa v5, v11, v5 dst_sel:DWORD dst_unused:UNUSED_PAD src0_sel:DWORD src1_sel:BYTE_3
	v_sub_u32_e32 v10, 29, v10
	v_and_b32_e32 v5, 7, v5
	v_cmp_eq_u16_e32 vcc, 0, v8
	v_cndmask_b32_e32 v0, v0, v5, vcc
	v_cndmask_b32_e32 v5, v9, v10, vcc
	v_mov_b32_e32 v8, 0x3b800000
	v_lshlrev_b32_e32 v0, 20, v0
	v_lshl_add_u32 v5, v5, 23, v8
	v_or3_b32 v0, v4, v5, v0
.LBB37_1980:
	s_or_b64 exec, exec, s[6:7]
	s_movk_i32 s4, 0x7f
	v_cmp_gt_i16_sdwa s[6:7], v1, s4 src0_sel:BYTE_3 src1_sel:DWORD
	s_mov_b64 s[4:5], 0
                                        ; implicit-def: $sgpr10
	s_and_saveexec_b64 s[8:9], s[6:7]
	s_xor_b64 s[6:7], exec, s[8:9]
	s_cbranch_execnz .LBB37_4029
; %bb.1981:
	s_or_saveexec_b64 s[6:7], s[6:7]
	v_mov_b32_e32 v4, s10
	s_xor_b64 exec, exec, s[6:7]
	s_cbranch_execnz .LBB37_4032
.LBB37_1982:
	s_or_b64 exec, exec, s[6:7]
	s_and_saveexec_b64 s[6:7], s[4:5]
	s_cbranch_execz .LBB37_1984
.LBB37_1983:
	v_bfe_u32 v4, v1, 24, 3
	v_ffbh_u32_e32 v10, v4
	v_min_u32_e32 v10, 32, v10
	v_lshrrev_b32_e32 v8, 27, v1
	v_subrev_u32_e32 v11, 28, v10
	v_and_b32_e32 v5, 0x80000000, v1
	v_and_b32_e32 v8, 15, v8
	v_bfe_u32 v9, v1, 27, 4
	v_lshlrev_b32_sdwa v1, v11, v1 dst_sel:DWORD dst_unused:UNUSED_PAD src0_sel:DWORD src1_sel:BYTE_3
	v_sub_u32_e32 v10, 29, v10
	v_and_b32_e32 v1, 7, v1
	v_cmp_eq_u16_e32 vcc, 0, v8
	v_cndmask_b32_e32 v1, v4, v1, vcc
	v_cndmask_b32_e32 v4, v9, v10, vcc
	v_mov_b32_e32 v8, 0x3b800000
	v_lshlrev_b32_e32 v1, 20, v1
	v_lshl_add_u32 v4, v4, 23, v8
	v_or3_b32 v4, v5, v4, v1
.LBB37_1984:
	s_or_b64 exec, exec, s[6:7]
	s_nop 0
	v_mfma_f32_16x16x4f32 a[0:3], v0, v4, a[0:3]
	s_movk_i32 s4, 0x7f
	v_cmp_gt_i16_sdwa s[6:7], v6, s4 src0_sel:BYTE_0 src1_sel:DWORD
	s_mov_b64 s[4:5], 0
                                        ; implicit-def: $sgpr10
	s_and_saveexec_b64 s[8:9], s[6:7]
	s_xor_b64 s[6:7], exec, s[8:9]
	s_cbranch_execnz .LBB37_4033
; %bb.1985:
	s_or_saveexec_b64 s[6:7], s[6:7]
	v_mov_b32_e32 v0, s10
	s_xor_b64 exec, exec, s[6:7]
	s_cbranch_execnz .LBB37_4036
.LBB37_1986:
	s_or_b64 exec, exec, s[6:7]
	s_and_saveexec_b64 s[6:7], s[4:5]
	s_cbranch_execz .LBB37_1988
.LBB37_1987:
	v_and_b32_e32 v0, 7, v6
	v_ffbh_u32_e32 v4, v0
	v_min_u32_e32 v4, 32, v4
	v_lshrrev_b16_e32 v1, 3, v6
	v_subrev_u32_e32 v5, 28, v4
	v_and_b32_e32 v1, 15, v1
	v_lshlrev_b32_e32 v5, v5, v6
	v_sub_u32_e32 v4, 29, v4
	v_and_b32_e32 v5, 7, v5
	v_cmp_eq_u16_e32 vcc, 0, v1
	v_cndmask_b32_e32 v0, v0, v5, vcc
	v_cndmask_b32_e32 v1, v1, v4, vcc
	v_lshlrev_b32_e32 v4, 24, v6
	v_mov_b32_e32 v5, 0x3b800000
	v_lshlrev_b32_e32 v0, 20, v0
	v_and_b32_e32 v4, 0x80000000, v4
	v_lshl_add_u32 v1, v1, 23, v5
	v_or3_b32 v0, v4, v1, v0
.LBB37_1988:
	s_or_b64 exec, exec, s[6:7]
	s_movk_i32 s4, 0x7f
	v_cmp_gt_i16_sdwa s[6:7], v2, s4 src0_sel:BYTE_0 src1_sel:DWORD
	s_mov_b64 s[4:5], 0
                                        ; implicit-def: $sgpr10
	s_and_saveexec_b64 s[8:9], s[6:7]
	s_xor_b64 s[6:7], exec, s[8:9]
	s_cbranch_execnz .LBB37_4037
; %bb.1989:
	s_or_saveexec_b64 s[6:7], s[6:7]
	v_mov_b32_e32 v1, s10
	s_xor_b64 exec, exec, s[6:7]
	s_cbranch_execnz .LBB37_4040
.LBB37_1990:
	s_or_b64 exec, exec, s[6:7]
	s_and_saveexec_b64 s[6:7], s[4:5]
	s_cbranch_execz .LBB37_1992
.LBB37_1991:
	v_and_b32_e32 v1, 7, v2
	v_ffbh_u32_e32 v5, v1
	v_min_u32_e32 v5, 32, v5
	v_lshrrev_b16_e32 v4, 3, v2
	v_subrev_u32_e32 v8, 28, v5
	v_and_b32_e32 v4, 15, v4
	v_lshlrev_b32_e32 v8, v8, v2
	v_sub_u32_e32 v5, 29, v5
	v_and_b32_e32 v8, 7, v8
	v_cmp_eq_u16_e32 vcc, 0, v4
	v_cndmask_b32_e32 v1, v1, v8, vcc
	v_cndmask_b32_e32 v4, v4, v5, vcc
	v_lshlrev_b32_e32 v5, 24, v2
	v_mov_b32_e32 v8, 0x3b800000
	v_lshlrev_b32_e32 v1, 20, v1
	v_and_b32_e32 v5, 0x80000000, v5
	v_lshl_add_u32 v4, v4, 23, v8
	v_or3_b32 v1, v5, v4, v1
.LBB37_1992:
	s_or_b64 exec, exec, s[6:7]
	s_nop 0
	v_mfma_f32_16x16x4f32 a[0:3], v0, v1, a[0:3]
	v_lshrrev_b32_e32 v1, 8, v6
	s_movk_i32 s4, 0x7f
	v_cmp_gt_i16_sdwa s[6:7], v1, s4 src0_sel:BYTE_0 src1_sel:DWORD
	s_mov_b64 s[4:5], 0
                                        ; implicit-def: $sgpr10
	s_and_saveexec_b64 s[8:9], s[6:7]
	s_xor_b64 s[6:7], exec, s[8:9]
	s_cbranch_execnz .LBB37_4041
; %bb.1993:
	s_or_saveexec_b64 s[6:7], s[6:7]
	v_mov_b32_e32 v0, s10
	s_xor_b64 exec, exec, s[6:7]
	s_cbranch_execnz .LBB37_4044
.LBB37_1994:
	s_or_b64 exec, exec, s[6:7]
	s_and_saveexec_b64 s[6:7], s[4:5]
	s_cbranch_execz .LBB37_1996
.LBB37_1995:
	v_bfe_u32 v0, v6, 8, 3
	v_ffbh_u32_e32 v5, v0
	v_min_u32_e32 v5, 32, v5
	v_lshrrev_b16_e32 v4, 3, v1
	v_subrev_u32_e32 v8, 28, v5
	v_and_b32_e32 v4, 15, v4
	v_lshlrev_b32_e32 v1, v8, v1
	v_sub_u32_e32 v5, 29, v5
	v_and_b32_e32 v1, 7, v1
	v_cmp_eq_u16_e32 vcc, 0, v4
	v_cndmask_b32_e32 v0, v0, v1, vcc
	v_cndmask_b32_e32 v1, v4, v5, vcc
	v_lshlrev_b32_e32 v4, 16, v6
	v_mov_b32_e32 v5, 0x3b800000
	v_lshlrev_b32_e32 v0, 20, v0
	v_and_b32_e32 v4, 0x80000000, v4
	v_lshl_add_u32 v1, v1, 23, v5
	v_or3_b32 v0, v4, v1, v0
.LBB37_1996:
	s_or_b64 exec, exec, s[6:7]
	v_lshrrev_b32_e32 v1, 8, v2
	s_movk_i32 s4, 0x7f
	v_cmp_gt_i16_sdwa s[6:7], v1, s4 src0_sel:BYTE_0 src1_sel:DWORD
	s_mov_b64 s[4:5], 0
                                        ; implicit-def: $sgpr10
	s_and_saveexec_b64 s[8:9], s[6:7]
	s_xor_b64 s[6:7], exec, s[8:9]
	s_cbranch_execnz .LBB37_4045
; %bb.1997:
	s_or_saveexec_b64 s[6:7], s[6:7]
	v_mov_b32_e32 v4, s10
	s_xor_b64 exec, exec, s[6:7]
	s_cbranch_execnz .LBB37_4048
.LBB37_1998:
	s_or_b64 exec, exec, s[6:7]
	s_and_saveexec_b64 s[6:7], s[4:5]
	s_cbranch_execz .LBB37_2000
.LBB37_1999:
	v_bfe_u32 v4, v2, 8, 3
	v_ffbh_u32_e32 v8, v4
	v_min_u32_e32 v8, 32, v8
	v_lshrrev_b16_e32 v5, 3, v1
	v_subrev_u32_e32 v9, 28, v8
	v_and_b32_e32 v5, 15, v5
	v_lshlrev_b32_e32 v1, v9, v1
	v_sub_u32_e32 v8, 29, v8
	v_and_b32_e32 v1, 7, v1
	v_cmp_eq_u16_e32 vcc, 0, v5
	v_cndmask_b32_e32 v1, v4, v1, vcc
	v_cndmask_b32_e32 v4, v5, v8, vcc
	v_lshlrev_b32_e32 v5, 16, v2
	v_mov_b32_e32 v8, 0x3b800000
	v_lshlrev_b32_e32 v1, 20, v1
	v_and_b32_e32 v5, 0x80000000, v5
	v_lshl_add_u32 v4, v4, 23, v8
	v_or3_b32 v4, v5, v4, v1
.LBB37_2000:
	s_or_b64 exec, exec, s[6:7]
	s_nop 0
	v_mfma_f32_16x16x4f32 a[0:3], v0, v4, a[0:3]
	s_movk_i32 s4, 0xff
	v_and_b32_sdwa v1, v6, s4 dst_sel:DWORD dst_unused:UNUSED_PAD src0_sel:WORD_1 src1_sel:DWORD
	s_movk_i32 s4, 0x7f
	v_cmp_lt_i16_e32 vcc, s4, v1
	s_mov_b64 s[4:5], 0
                                        ; implicit-def: $sgpr10
	s_and_saveexec_b64 s[6:7], vcc
	s_xor_b64 s[6:7], exec, s[6:7]
	s_cbranch_execnz .LBB37_4049
; %bb.2001:
	s_or_saveexec_b64 s[6:7], s[6:7]
	v_mov_b32_e32 v0, s10
	s_xor_b64 exec, exec, s[6:7]
	s_cbranch_execnz .LBB37_4052
.LBB37_2002:
	s_or_b64 exec, exec, s[6:7]
	s_and_saveexec_b64 s[6:7], s[4:5]
	s_cbranch_execz .LBB37_2004
.LBB37_2003:
	v_bfe_u32 v0, v6, 16, 3
	v_ffbh_u32_e32 v5, v0
	v_min_u32_e32 v5, 32, v5
	v_lshrrev_b32_e32 v1, 19, v6
	v_subrev_u32_e32 v8, 28, v5
	v_and_b32_e32 v1, 15, v1
	v_lshlrev_b32_sdwa v8, v8, v6 dst_sel:DWORD dst_unused:UNUSED_PAD src0_sel:DWORD src1_sel:WORD_1
	v_bfe_u32 v4, v6, 19, 4
	v_sub_u32_e32 v5, 29, v5
	v_and_b32_e32 v8, 7, v8
	v_cmp_eq_u16_e32 vcc, 0, v1
	v_cndmask_b32_e32 v0, v0, v8, vcc
	v_cndmask_b32_e32 v1, v4, v5, vcc
	v_lshlrev_b32_e32 v4, 8, v6
	v_mov_b32_e32 v5, 0x3b800000
	v_lshlrev_b32_e32 v0, 20, v0
	v_and_b32_e32 v4, 0x80000000, v4
	v_lshl_add_u32 v1, v1, 23, v5
	v_or3_b32 v0, v4, v1, v0
.LBB37_2004:
	s_or_b64 exec, exec, s[6:7]
	s_movk_i32 s4, 0xff
	v_and_b32_sdwa v1, v2, s4 dst_sel:DWORD dst_unused:UNUSED_PAD src0_sel:WORD_1 src1_sel:DWORD
	s_movk_i32 s4, 0x7f
	v_cmp_lt_i16_e32 vcc, s4, v1
	s_mov_b64 s[4:5], 0
                                        ; implicit-def: $sgpr10
	s_and_saveexec_b64 s[6:7], vcc
	s_xor_b64 s[6:7], exec, s[6:7]
	s_cbranch_execnz .LBB37_4053
; %bb.2005:
	s_or_saveexec_b64 s[6:7], s[6:7]
	v_mov_b32_e32 v4, s10
	s_xor_b64 exec, exec, s[6:7]
	s_cbranch_execnz .LBB37_4056
.LBB37_2006:
	s_or_b64 exec, exec, s[6:7]
	s_and_saveexec_b64 s[6:7], s[4:5]
	s_cbranch_execz .LBB37_2008
.LBB37_2007:
	v_bfe_u32 v1, v2, 16, 3
	v_ffbh_u32_e32 v8, v1
	v_min_u32_e32 v8, 32, v8
	v_lshrrev_b32_e32 v4, 19, v2
	v_subrev_u32_e32 v9, 28, v8
	v_and_b32_e32 v4, 15, v4
	v_lshlrev_b32_sdwa v9, v9, v2 dst_sel:DWORD dst_unused:UNUSED_PAD src0_sel:DWORD src1_sel:WORD_1
	v_bfe_u32 v5, v2, 19, 4
	v_sub_u32_e32 v8, 29, v8
	v_and_b32_e32 v9, 7, v9
	v_cmp_eq_u16_e32 vcc, 0, v4
	v_cndmask_b32_e32 v1, v1, v9, vcc
	v_cndmask_b32_e32 v4, v5, v8, vcc
	v_lshlrev_b32_e32 v5, 8, v2
	v_mov_b32_e32 v8, 0x3b800000
	v_lshlrev_b32_e32 v1, 20, v1
	v_and_b32_e32 v5, 0x80000000, v5
	v_lshl_add_u32 v4, v4, 23, v8
	v_or3_b32 v4, v5, v4, v1
.LBB37_2008:
	s_or_b64 exec, exec, s[6:7]
	s_nop 0
	v_mfma_f32_16x16x4f32 a[0:3], v0, v4, a[0:3]
	s_movk_i32 s4, 0x7f
	v_cmp_gt_i16_sdwa s[6:7], v6, s4 src0_sel:BYTE_3 src1_sel:DWORD
	s_mov_b64 s[4:5], 0
                                        ; implicit-def: $sgpr10
	s_and_saveexec_b64 s[8:9], s[6:7]
	s_xor_b64 s[6:7], exec, s[8:9]
	s_cbranch_execnz .LBB37_4057
; %bb.2009:
	s_or_saveexec_b64 s[6:7], s[6:7]
	v_mov_b32_e32 v0, s10
	s_xor_b64 exec, exec, s[6:7]
	s_cbranch_execnz .LBB37_4060
.LBB37_2010:
	s_or_b64 exec, exec, s[6:7]
	s_and_saveexec_b64 s[6:7], s[4:5]
	s_cbranch_execz .LBB37_2012
.LBB37_2011:
	v_bfe_u32 v0, v6, 24, 3
	v_ffbh_u32_e32 v8, v0
	v_min_u32_e32 v8, 32, v8
	v_lshrrev_b32_e32 v4, 27, v6
	v_subrev_u32_e32 v9, 28, v8
	v_and_b32_e32 v1, 0x80000000, v6
	v_and_b32_e32 v4, 15, v4
	v_bfe_u32 v5, v6, 27, 4
	v_lshlrev_b32_sdwa v6, v9, v6 dst_sel:DWORD dst_unused:UNUSED_PAD src0_sel:DWORD src1_sel:BYTE_3
	v_sub_u32_e32 v8, 29, v8
	v_and_b32_e32 v6, 7, v6
	v_cmp_eq_u16_e32 vcc, 0, v4
	v_cndmask_b32_e32 v0, v0, v6, vcc
	v_cndmask_b32_e32 v4, v5, v8, vcc
	v_mov_b32_e32 v5, 0x3b800000
	v_lshlrev_b32_e32 v0, 20, v0
	v_lshl_add_u32 v4, v4, 23, v5
	v_or3_b32 v0, v1, v4, v0
.LBB37_2012:
	s_or_b64 exec, exec, s[6:7]
	s_movk_i32 s4, 0x7f
	v_cmp_gt_i16_sdwa s[6:7], v2, s4 src0_sel:BYTE_3 src1_sel:DWORD
	s_mov_b64 s[4:5], 0
                                        ; implicit-def: $sgpr10
	s_and_saveexec_b64 s[8:9], s[6:7]
	s_xor_b64 s[6:7], exec, s[8:9]
	s_cbranch_execnz .LBB37_4061
; %bb.2013:
	s_or_saveexec_b64 s[6:7], s[6:7]
	v_mov_b32_e32 v1, s10
	s_xor_b64 exec, exec, s[6:7]
	s_cbranch_execnz .LBB37_4064
.LBB37_2014:
	s_or_b64 exec, exec, s[6:7]
	s_and_saveexec_b64 s[6:7], s[4:5]
	s_cbranch_execz .LBB37_2016
.LBB37_2015:
	v_bfe_u32 v1, v2, 24, 3
	v_ffbh_u32_e32 v8, v1
	v_min_u32_e32 v8, 32, v8
	v_lshrrev_b32_e32 v5, 27, v2
	v_subrev_u32_e32 v9, 28, v8
	v_and_b32_e32 v4, 0x80000000, v2
	v_and_b32_e32 v5, 15, v5
	v_bfe_u32 v6, v2, 27, 4
	v_lshlrev_b32_sdwa v2, v9, v2 dst_sel:DWORD dst_unused:UNUSED_PAD src0_sel:DWORD src1_sel:BYTE_3
	v_sub_u32_e32 v8, 29, v8
	v_and_b32_e32 v2, 7, v2
	v_cmp_eq_u16_e32 vcc, 0, v5
	v_cndmask_b32_e32 v1, v1, v2, vcc
	v_cndmask_b32_e32 v2, v6, v8, vcc
	v_mov_b32_e32 v5, 0x3b800000
	v_lshlrev_b32_e32 v1, 20, v1
	v_lshl_add_u32 v2, v2, 23, v5
	v_or3_b32 v1, v4, v2, v1
.LBB37_2016:
	s_or_b64 exec, exec, s[6:7]
	s_nop 0
	v_mfma_f32_16x16x4f32 a[0:3], v0, v1, a[0:3]
	s_movk_i32 s4, 0x7f
	v_cmp_gt_i16_sdwa s[6:7], v7, s4 src0_sel:BYTE_0 src1_sel:DWORD
	s_mov_b64 s[4:5], 0
                                        ; implicit-def: $sgpr10
	s_and_saveexec_b64 s[8:9], s[6:7]
	s_xor_b64 s[6:7], exec, s[8:9]
	s_cbranch_execnz .LBB37_4065
; %bb.2017:
	s_or_saveexec_b64 s[6:7], s[6:7]
	v_mov_b32_e32 v0, s10
	s_xor_b64 exec, exec, s[6:7]
	s_cbranch_execnz .LBB37_4068
.LBB37_2018:
	s_or_b64 exec, exec, s[6:7]
	s_and_saveexec_b64 s[6:7], s[4:5]
	s_cbranch_execz .LBB37_2020
.LBB37_2019:
	v_mov_b32_e32 v0, 8
	v_and_b32_e32 v1, 7, v7
	v_lshrrev_b32_sdwa v0, v0, v7 dst_sel:BYTE_1 dst_unused:UNUSED_PAD src0_sel:DWORD src1_sel:DWORD
	v_ffbh_u32_e32 v2, v1
	v_or_b32_sdwa v0, v7, v0 dst_sel:DWORD dst_unused:UNUSED_PAD src0_sel:BYTE_0 src1_sel:DWORD
	v_min_u32_e32 v2, 32, v2
	v_lshrrev_b16_e32 v0, 3, v0
	v_subrev_u32_e32 v4, 28, v2
	v_and_b32_e32 v0, 15, v0
	v_lshlrev_b32_e32 v4, v4, v7
	v_sub_u32_e32 v2, 29, v2
	v_and_b32_e32 v4, 7, v4
	v_cmp_eq_u16_e32 vcc, 0, v0
	v_cndmask_b32_e32 v1, v1, v4, vcc
	v_cndmask_b32_e32 v0, v0, v2, vcc
	v_lshlrev_b32_e32 v2, 24, v7
	v_mov_b32_e32 v4, 0x3b800000
	v_lshlrev_b32_e32 v1, 20, v1
	v_and_b32_e32 v2, 0x80000000, v2
	v_lshl_add_u32 v0, v0, 23, v4
	v_or3_b32 v0, v2, v0, v1
.LBB37_2020:
	s_or_b64 exec, exec, s[6:7]
	s_movk_i32 s4, 0x7f
	v_cmp_gt_i16_sdwa s[6:7], v3, s4 src0_sel:BYTE_0 src1_sel:DWORD
	s_mov_b64 s[4:5], 0
                                        ; implicit-def: $sgpr10
	s_and_saveexec_b64 s[8:9], s[6:7]
	s_xor_b64 s[6:7], exec, s[8:9]
	s_cbranch_execnz .LBB37_4069
; %bb.2021:
	s_or_saveexec_b64 s[6:7], s[6:7]
	v_mov_b32_e32 v1, s10
	s_xor_b64 exec, exec, s[6:7]
	s_cbranch_execnz .LBB37_4072
.LBB37_2022:
	s_or_b64 exec, exec, s[6:7]
	s_and_saveexec_b64 s[6:7], s[4:5]
	s_cbranch_execz .LBB37_2024
.LBB37_2023:
	v_mov_b32_e32 v1, 8
	v_and_b32_e32 v2, 7, v3
	v_lshrrev_b32_sdwa v1, v1, v3 dst_sel:BYTE_1 dst_unused:UNUSED_PAD src0_sel:DWORD src1_sel:DWORD
	v_ffbh_u32_e32 v4, v2
	v_or_b32_sdwa v1, v3, v1 dst_sel:DWORD dst_unused:UNUSED_PAD src0_sel:BYTE_0 src1_sel:DWORD
	v_min_u32_e32 v4, 32, v4
	v_lshrrev_b16_e32 v1, 3, v1
	v_subrev_u32_e32 v5, 28, v4
	v_and_b32_e32 v1, 15, v1
	v_lshlrev_b32_e32 v5, v5, v3
	v_sub_u32_e32 v4, 29, v4
	v_and_b32_e32 v5, 7, v5
	v_cmp_eq_u16_e32 vcc, 0, v1
	v_cndmask_b32_e32 v2, v2, v5, vcc
	v_cndmask_b32_e32 v1, v1, v4, vcc
	v_lshlrev_b32_e32 v4, 24, v3
	v_mov_b32_e32 v5, 0x3b800000
	v_lshlrev_b32_e32 v2, 20, v2
	v_and_b32_e32 v4, 0x80000000, v4
	v_lshl_add_u32 v1, v1, 23, v5
	v_or3_b32 v1, v4, v1, v2
.LBB37_2024:
	s_or_b64 exec, exec, s[6:7]
	s_nop 0
	v_mfma_f32_16x16x4f32 a[0:3], v0, v1, a[0:3]
	v_lshrrev_b32_e32 v1, 8, v7
	s_movk_i32 s4, 0x7f
	v_cmp_gt_i16_sdwa s[6:7], v1, s4 src0_sel:BYTE_0 src1_sel:DWORD
	s_mov_b64 s[4:5], 0
                                        ; implicit-def: $sgpr10
	s_and_saveexec_b64 s[8:9], s[6:7]
	s_xor_b64 s[6:7], exec, s[8:9]
	s_cbranch_execnz .LBB37_4073
; %bb.2025:
	s_or_saveexec_b64 s[6:7], s[6:7]
	v_mov_b32_e32 v0, s10
	s_xor_b64 exec, exec, s[6:7]
	s_cbranch_execnz .LBB37_4076
.LBB37_2026:
	s_or_b64 exec, exec, s[6:7]
	s_and_saveexec_b64 s[6:7], s[4:5]
	s_cbranch_execz .LBB37_2028
.LBB37_2027:
	v_bfe_u32 v0, v7, 8, 3
	v_ffbh_u32_e32 v4, v0
	v_min_u32_e32 v4, 32, v4
	v_lshrrev_b16_e32 v2, 3, v1
	v_subrev_u32_e32 v5, 28, v4
	v_and_b32_e32 v2, 15, v2
	v_lshlrev_b32_e32 v1, v5, v1
	v_sub_u32_e32 v4, 29, v4
	v_and_b32_e32 v1, 7, v1
	v_cmp_eq_u16_e32 vcc, 0, v2
	v_cndmask_b32_e32 v0, v0, v1, vcc
	v_cndmask_b32_e32 v1, v2, v4, vcc
	v_lshlrev_b32_e32 v2, 16, v7
	v_mov_b32_e32 v4, 0x3b800000
	v_lshlrev_b32_e32 v0, 20, v0
	v_and_b32_e32 v2, 0x80000000, v2
	v_lshl_add_u32 v1, v1, 23, v4
	v_or3_b32 v0, v2, v1, v0
.LBB37_2028:
	s_or_b64 exec, exec, s[6:7]
	v_lshrrev_b32_e32 v1, 8, v3
	s_movk_i32 s4, 0x7f
	v_cmp_gt_i16_sdwa s[6:7], v1, s4 src0_sel:BYTE_0 src1_sel:DWORD
	s_mov_b64 s[4:5], 0
                                        ; implicit-def: $sgpr10
	s_and_saveexec_b64 s[8:9], s[6:7]
	s_xor_b64 s[6:7], exec, s[8:9]
	s_cbranch_execnz .LBB37_4077
; %bb.2029:
	s_or_saveexec_b64 s[6:7], s[6:7]
	v_mov_b32_e32 v2, s10
	s_xor_b64 exec, exec, s[6:7]
	s_cbranch_execnz .LBB37_4080
.LBB37_2030:
	s_or_b64 exec, exec, s[6:7]
	s_and_saveexec_b64 s[6:7], s[4:5]
	s_cbranch_execz .LBB37_2032
.LBB37_2031:
	v_bfe_u32 v2, v3, 8, 3
	v_ffbh_u32_e32 v5, v2
	v_min_u32_e32 v5, 32, v5
	v_lshrrev_b16_e32 v4, 3, v1
	v_subrev_u32_e32 v6, 28, v5
	v_and_b32_e32 v4, 15, v4
	v_lshlrev_b32_e32 v1, v6, v1
	v_sub_u32_e32 v5, 29, v5
	v_and_b32_e32 v1, 7, v1
	v_cmp_eq_u16_e32 vcc, 0, v4
	v_cndmask_b32_e32 v1, v2, v1, vcc
	v_cndmask_b32_e32 v2, v4, v5, vcc
	v_lshlrev_b32_e32 v4, 16, v3
	v_mov_b32_e32 v5, 0x3b800000
	v_lshlrev_b32_e32 v1, 20, v1
	v_and_b32_e32 v4, 0x80000000, v4
	v_lshl_add_u32 v2, v2, 23, v5
	v_or3_b32 v2, v4, v2, v1
.LBB37_2032:
	s_or_b64 exec, exec, s[6:7]
	s_nop 0
	v_mfma_f32_16x16x4f32 a[0:3], v0, v2, a[0:3]
	s_movk_i32 s4, 0xff
	v_and_b32_sdwa v1, v7, s4 dst_sel:DWORD dst_unused:UNUSED_PAD src0_sel:WORD_1 src1_sel:DWORD
	s_movk_i32 s4, 0x7f
	v_cmp_lt_i16_e32 vcc, s4, v1
	s_mov_b64 s[4:5], 0
                                        ; implicit-def: $sgpr10
	s_and_saveexec_b64 s[6:7], vcc
	s_xor_b64 s[6:7], exec, s[6:7]
	s_cbranch_execnz .LBB37_4081
; %bb.2033:
	s_or_saveexec_b64 s[6:7], s[6:7]
	v_mov_b32_e32 v0, s10
	s_xor_b64 exec, exec, s[6:7]
	s_cbranch_execnz .LBB37_4084
.LBB37_2034:
	s_or_b64 exec, exec, s[6:7]
	s_and_saveexec_b64 s[6:7], s[4:5]
	s_cbranch_execz .LBB37_2036
.LBB37_2035:
	v_bfe_u32 v0, v7, 16, 3
	v_ffbh_u32_e32 v4, v0
	v_min_u32_e32 v4, 32, v4
	v_lshrrev_b32_e32 v1, 19, v7
	v_subrev_u32_e32 v5, 28, v4
	v_and_b32_e32 v1, 15, v1
	v_lshlrev_b32_sdwa v5, v5, v7 dst_sel:DWORD dst_unused:UNUSED_PAD src0_sel:DWORD src1_sel:WORD_1
	v_bfe_u32 v2, v7, 19, 4
	v_sub_u32_e32 v4, 29, v4
	v_and_b32_e32 v5, 7, v5
	v_cmp_eq_u16_e32 vcc, 0, v1
	v_cndmask_b32_e32 v0, v0, v5, vcc
	v_cndmask_b32_e32 v1, v2, v4, vcc
	v_lshlrev_b32_e32 v2, 8, v7
	v_mov_b32_e32 v4, 0x3b800000
	v_lshlrev_b32_e32 v0, 20, v0
	v_and_b32_e32 v2, 0x80000000, v2
	v_lshl_add_u32 v1, v1, 23, v4
	v_or3_b32 v0, v2, v1, v0
.LBB37_2036:
	s_or_b64 exec, exec, s[6:7]
	s_movk_i32 s4, 0xff
	v_and_b32_sdwa v1, v3, s4 dst_sel:DWORD dst_unused:UNUSED_PAD src0_sel:WORD_1 src1_sel:DWORD
	s_movk_i32 s4, 0x7f
	v_cmp_lt_i16_e32 vcc, s4, v1
	s_mov_b64 s[4:5], 0
                                        ; implicit-def: $sgpr10
	s_and_saveexec_b64 s[6:7], vcc
	s_xor_b64 s[6:7], exec, s[6:7]
	s_cbranch_execnz .LBB37_4085
; %bb.2037:
	s_or_saveexec_b64 s[6:7], s[6:7]
	v_mov_b32_e32 v2, s10
	s_xor_b64 exec, exec, s[6:7]
	s_cbranch_execnz .LBB37_4088
.LBB37_2038:
	s_or_b64 exec, exec, s[6:7]
	s_and_saveexec_b64 s[6:7], s[4:5]
	s_cbranch_execz .LBB37_2040
.LBB37_2039:
	v_bfe_u32 v1, v3, 16, 3
	v_ffbh_u32_e32 v5, v1
	v_min_u32_e32 v5, 32, v5
	v_lshrrev_b32_e32 v2, 19, v3
	v_subrev_u32_e32 v6, 28, v5
	v_and_b32_e32 v2, 15, v2
	v_lshlrev_b32_sdwa v6, v6, v3 dst_sel:DWORD dst_unused:UNUSED_PAD src0_sel:DWORD src1_sel:WORD_1
	v_bfe_u32 v4, v3, 19, 4
	v_sub_u32_e32 v5, 29, v5
	v_and_b32_e32 v6, 7, v6
	v_cmp_eq_u16_e32 vcc, 0, v2
	v_cndmask_b32_e32 v1, v1, v6, vcc
	v_cndmask_b32_e32 v2, v4, v5, vcc
	v_lshlrev_b32_e32 v4, 8, v3
	v_mov_b32_e32 v5, 0x3b800000
	v_lshlrev_b32_e32 v1, 20, v1
	v_and_b32_e32 v4, 0x80000000, v4
	v_lshl_add_u32 v2, v2, 23, v5
	v_or3_b32 v2, v4, v2, v1
.LBB37_2040:
	s_or_b64 exec, exec, s[6:7]
	s_nop 0
	v_mfma_f32_16x16x4f32 a[0:3], v0, v2, a[0:3]
	s_movk_i32 s4, 0x7f
	v_cmp_gt_i16_sdwa s[6:7], v7, s4 src0_sel:BYTE_3 src1_sel:DWORD
	s_mov_b64 s[4:5], 0
                                        ; implicit-def: $sgpr10
	s_and_saveexec_b64 s[8:9], s[6:7]
	s_xor_b64 s[6:7], exec, s[8:9]
	s_cbranch_execnz .LBB37_4089
; %bb.2041:
	s_or_saveexec_b64 s[6:7], s[6:7]
	v_mov_b32_e32 v0, s10
	s_xor_b64 exec, exec, s[6:7]
	s_cbranch_execnz .LBB37_4092
.LBB37_2042:
	s_or_b64 exec, exec, s[6:7]
	s_and_saveexec_b64 s[6:7], s[4:5]
	s_cbranch_execz .LBB37_2044
.LBB37_2043:
	v_bfe_u32 v0, v7, 24, 3
	v_ffbh_u32_e32 v5, v0
	v_min_u32_e32 v5, 32, v5
	v_lshrrev_b32_e32 v2, 27, v7
	v_subrev_u32_e32 v6, 28, v5
	v_and_b32_e32 v2, 15, v2
	v_lshlrev_b32_sdwa v6, v6, v7 dst_sel:DWORD dst_unused:UNUSED_PAD src0_sel:DWORD src1_sel:BYTE_3
	v_bfe_u32 v4, v7, 27, 4
	v_sub_u32_e32 v5, 29, v5
	v_and_b32_e32 v6, 7, v6
	v_cmp_eq_u16_e32 vcc, 0, v2
	v_cndmask_b32_e32 v0, v0, v6, vcc
	v_cndmask_b32_e32 v2, v4, v5, vcc
	v_mov_b32_e32 v4, 0x3b800000
	v_and_b32_e32 v1, 0x80000000, v7
	v_lshlrev_b32_e32 v0, 20, v0
	v_lshl_add_u32 v2, v2, 23, v4
	v_or3_b32 v0, v1, v2, v0
.LBB37_2044:
	s_or_b64 exec, exec, s[6:7]
	s_movk_i32 s4, 0x7f
	v_cmp_gt_i16_sdwa s[6:7], v3, s4 src0_sel:BYTE_3 src1_sel:DWORD
	s_mov_b64 s[4:5], 0
                                        ; implicit-def: $sgpr10
	s_and_saveexec_b64 s[8:9], s[6:7]
	s_xor_b64 s[6:7], exec, s[8:9]
	s_cbranch_execnz .LBB37_4093
; %bb.2045:
	s_or_saveexec_b64 s[6:7], s[6:7]
	v_mov_b32_e32 v1, s10
	s_xor_b64 exec, exec, s[6:7]
	s_cbranch_execnz .LBB37_4096
.LBB37_2046:
	s_or_b64 exec, exec, s[6:7]
	s_and_saveexec_b64 s[6:7], s[4:5]
	s_cbranch_execz .LBB37_2048
.LBB37_2047:
	v_bfe_u32 v1, v3, 24, 3
	v_ffbh_u32_e32 v6, v1
	v_min_u32_e32 v6, 32, v6
	v_lshrrev_b32_e32 v4, 27, v3
	v_subrev_u32_e32 v7, 28, v6
	v_and_b32_e32 v2, 0x80000000, v3
	v_and_b32_e32 v4, 15, v4
	v_bfe_u32 v5, v3, 27, 4
	v_lshlrev_b32_sdwa v3, v7, v3 dst_sel:DWORD dst_unused:UNUSED_PAD src0_sel:DWORD src1_sel:BYTE_3
	v_sub_u32_e32 v6, 29, v6
	v_and_b32_e32 v3, 7, v3
	v_cmp_eq_u16_e32 vcc, 0, v4
	v_cndmask_b32_e32 v1, v1, v3, vcc
	v_cndmask_b32_e32 v3, v5, v6, vcc
	v_mov_b32_e32 v4, 0x3b800000
	v_lshlrev_b32_e32 v1, 20, v1
	v_lshl_add_u32 v3, v3, 23, v4
	v_or3_b32 v1, v2, v3, v1
.LBB37_2048:
	s_or_b64 exec, exec, s[6:7]
	s_nop 0
	v_mfma_f32_16x16x4f32 a[0:3], v0, v1, a[0:3]
	s_nop 7
	s_nop 2
	flat_store_dwordx4 v[16:17], a[0:3] offset:240
	s_waitcnt vmcnt(0) lgkmcnt(0)
	s_setpc_b64 s[30:31]
.LBB37_2049:
	s_movk_i32 s4, 0x80
	v_cmp_eq_u16_sdwa s[12:13], v14, s4 src0_sel:BYTE_0 src1_sel:DWORD
	s_mov_b64 s[4:5], -1
                                        ; implicit-def: $sgpr10
	s_and_saveexec_b64 s[8:9], s[12:13]
; %bb.2050:
	s_mov_b32 s10, 0x7f800001
	s_xor_b64 s[4:5], exec, -1
; %bb.2051:
	s_or_b64 exec, exec, s[8:9]
	s_and_b64 s[4:5], s[4:5], exec
	s_or_saveexec_b64 s[6:7], s[6:7]
	v_mov_b32_e32 v20, s10
	s_xor_b64 exec, exec, s[6:7]
	s_cbranch_execz .LBB37_2
.LBB37_2052:
	v_mov_b32_e32 v20, 0
	v_cmp_ne_u16_sdwa s[8:9], v14, v20 src0_sel:BYTE_0 src1_sel:DWORD
	s_andn2_b64 s[4:5], s[4:5], exec
	s_and_b64 s[8:9], s[8:9], exec
	s_or_b64 s[4:5], s[4:5], s[8:9]
	s_or_b64 exec, exec, s[6:7]
	s_and_saveexec_b64 s[6:7], s[4:5]
	s_cbranch_execnz .LBB37_3
	s_branch .LBB37_4
.LBB37_2053:
	s_movk_i32 s4, 0x80
	v_cmp_eq_u16_sdwa s[12:13], v10, s4 src0_sel:BYTE_0 src1_sel:DWORD
	s_mov_b64 s[4:5], -1
                                        ; implicit-def: $sgpr10
	s_and_saveexec_b64 s[8:9], s[12:13]
; %bb.2054:
	s_mov_b32 s10, 0x7f800001
	s_xor_b64 s[4:5], exec, -1
; %bb.2055:
	s_or_b64 exec, exec, s[8:9]
	s_and_b64 s[4:5], s[4:5], exec
	s_or_saveexec_b64 s[6:7], s[6:7]
	v_mov_b32_e32 v21, s10
	s_xor_b64 exec, exec, s[6:7]
	s_cbranch_execz .LBB37_6
.LBB37_2056:
	v_mov_b32_e32 v21, 0
	v_cmp_ne_u16_sdwa s[8:9], v10, v21 src0_sel:BYTE_0 src1_sel:DWORD
	s_andn2_b64 s[4:5], s[4:5], exec
	s_and_b64 s[8:9], s[8:9], exec
	s_or_b64 s[4:5], s[4:5], s[8:9]
	s_or_b64 exec, exec, s[6:7]
	s_and_saveexec_b64 s[6:7], s[4:5]
	s_cbranch_execnz .LBB37_7
	s_branch .LBB37_8
.LBB37_2057:
	s_movk_i32 s4, 0x80
	v_cmp_eq_u16_sdwa s[12:13], v21, s4 src0_sel:BYTE_0 src1_sel:DWORD
	s_mov_b64 s[4:5], -1
                                        ; implicit-def: $sgpr10
	s_and_saveexec_b64 s[8:9], s[12:13]
; %bb.2058:
	s_mov_b32 s10, 0x7f800001
	s_xor_b64 s[4:5], exec, -1
; %bb.2059:
	s_or_b64 exec, exec, s[8:9]
	s_and_b64 s[4:5], s[4:5], exec
	s_or_saveexec_b64 s[6:7], s[6:7]
	v_mov_b32_e32 v20, s10
	s_xor_b64 exec, exec, s[6:7]
	s_cbranch_execz .LBB37_10
.LBB37_2060:
	v_mov_b32_e32 v20, 0
	v_cmp_ne_u16_sdwa s[8:9], v21, v20 src0_sel:BYTE_0 src1_sel:DWORD
	s_andn2_b64 s[4:5], s[4:5], exec
	s_and_b64 s[8:9], s[8:9], exec
	s_or_b64 s[4:5], s[4:5], s[8:9]
	s_or_b64 exec, exec, s[6:7]
	s_and_saveexec_b64 s[6:7], s[4:5]
	s_cbranch_execnz .LBB37_11
	s_branch .LBB37_12
.LBB37_2061:
	s_movk_i32 s4, 0x80
	v_cmp_eq_u16_sdwa s[12:13], v21, s4 src0_sel:BYTE_0 src1_sel:DWORD
	s_mov_b64 s[4:5], -1
                                        ; implicit-def: $sgpr10
	s_and_saveexec_b64 s[8:9], s[12:13]
; %bb.2062:
	s_mov_b32 s10, 0x7f800001
	s_xor_b64 s[4:5], exec, -1
; %bb.2063:
	s_or_b64 exec, exec, s[8:9]
	s_and_b64 s[4:5], s[4:5], exec
	s_or_saveexec_b64 s[6:7], s[6:7]
	v_mov_b32_e32 v22, s10
	s_xor_b64 exec, exec, s[6:7]
	s_cbranch_execz .LBB37_14
.LBB37_2064:
	v_mov_b32_e32 v22, 0
	v_cmp_ne_u16_sdwa s[8:9], v21, v22 src0_sel:BYTE_0 src1_sel:DWORD
	s_andn2_b64 s[4:5], s[4:5], exec
	s_and_b64 s[8:9], s[8:9], exec
	s_or_b64 s[4:5], s[4:5], s[8:9]
	s_or_b64 exec, exec, s[6:7]
	s_and_saveexec_b64 s[6:7], s[4:5]
	s_cbranch_execnz .LBB37_15
	s_branch .LBB37_16
.LBB37_2065:
	s_movk_i32 s4, 0x80
	v_cmp_eq_u16_e32 vcc, s4, v21
	s_mov_b64 s[4:5], -1
                                        ; implicit-def: $sgpr10
	s_and_saveexec_b64 s[8:9], vcc
; %bb.2066:
	s_mov_b32 s10, 0x7f800001
	s_xor_b64 s[4:5], exec, -1
; %bb.2067:
	s_or_b64 exec, exec, s[8:9]
	s_and_b64 s[4:5], s[4:5], exec
                                        ; implicit-def: $vgpr21
	s_or_saveexec_b64 s[6:7], s[6:7]
	v_mov_b32_e32 v20, s10
	s_xor_b64 exec, exec, s[6:7]
	s_cbranch_execz .LBB37_18
.LBB37_2068:
	v_cmp_ne_u16_e32 vcc, 0, v21
	s_andn2_b64 s[4:5], s[4:5], exec
	s_and_b64 s[8:9], vcc, exec
	v_mov_b32_e32 v20, 0
	s_or_b64 s[4:5], s[4:5], s[8:9]
	s_or_b64 exec, exec, s[6:7]
	s_and_saveexec_b64 s[6:7], s[4:5]
	s_cbranch_execnz .LBB37_19
	s_branch .LBB37_20
.LBB37_2069:
	s_movk_i32 s4, 0x80
	v_cmp_eq_u16_e32 vcc, s4, v21
	s_mov_b64 s[4:5], -1
                                        ; implicit-def: $sgpr10
	s_and_saveexec_b64 s[8:9], vcc
; %bb.2070:
	s_mov_b32 s10, 0x7f800001
	s_xor_b64 s[4:5], exec, -1
; %bb.2071:
	s_or_b64 exec, exec, s[8:9]
	s_and_b64 s[4:5], s[4:5], exec
                                        ; implicit-def: $vgpr21
	s_or_saveexec_b64 s[6:7], s[6:7]
	v_mov_b32_e32 v22, s10
	s_xor_b64 exec, exec, s[6:7]
	s_cbranch_execz .LBB37_22
.LBB37_2072:
	v_cmp_ne_u16_e32 vcc, 0, v21
	s_andn2_b64 s[4:5], s[4:5], exec
	s_and_b64 s[8:9], vcc, exec
	v_mov_b32_e32 v22, 0
	s_or_b64 s[4:5], s[4:5], s[8:9]
	s_or_b64 exec, exec, s[6:7]
	s_and_saveexec_b64 s[6:7], s[4:5]
	s_cbranch_execnz .LBB37_23
	s_branch .LBB37_24
.LBB37_2073:
	s_movk_i32 s4, 0x80
	v_cmp_eq_u16_sdwa s[12:13], v14, s4 src0_sel:BYTE_3 src1_sel:DWORD
	s_mov_b64 s[4:5], -1
                                        ; implicit-def: $sgpr10
	s_and_saveexec_b64 s[8:9], s[12:13]
; %bb.2074:
	s_mov_b32 s10, 0x7f800001
	s_xor_b64 s[4:5], exec, -1
; %bb.2075:
	s_or_b64 exec, exec, s[8:9]
	s_and_b64 s[4:5], s[4:5], exec
	s_or_saveexec_b64 s[6:7], s[6:7]
	v_mov_b32_e32 v20, s10
	s_xor_b64 exec, exec, s[6:7]
	s_cbranch_execz .LBB37_26
.LBB37_2076:
	v_mov_b32_e32 v20, 0
	v_cmp_ne_u16_sdwa s[8:9], v14, v20 src0_sel:BYTE_3 src1_sel:DWORD
	s_andn2_b64 s[4:5], s[4:5], exec
	s_and_b64 s[8:9], s[8:9], exec
	s_or_b64 s[4:5], s[4:5], s[8:9]
	s_or_b64 exec, exec, s[6:7]
	s_and_saveexec_b64 s[6:7], s[4:5]
	s_cbranch_execnz .LBB37_27
	s_branch .LBB37_28
.LBB37_2077:
	s_movk_i32 s4, 0x80
	v_cmp_eq_u16_sdwa s[12:13], v10, s4 src0_sel:BYTE_3 src1_sel:DWORD
	s_mov_b64 s[4:5], -1
                                        ; implicit-def: $sgpr10
	s_and_saveexec_b64 s[8:9], s[12:13]
; %bb.2078:
	s_mov_b32 s10, 0x7f800001
	s_xor_b64 s[4:5], exec, -1
; %bb.2079:
	s_or_b64 exec, exec, s[8:9]
	s_and_b64 s[4:5], s[4:5], exec
	s_or_saveexec_b64 s[6:7], s[6:7]
	v_mov_b32_e32 v14, s10
	s_xor_b64 exec, exec, s[6:7]
	s_cbranch_execz .LBB37_30
.LBB37_2080:
	v_mov_b32_e32 v14, 0
	v_cmp_ne_u16_sdwa s[8:9], v10, v14 src0_sel:BYTE_3 src1_sel:DWORD
	s_andn2_b64 s[4:5], s[4:5], exec
	s_and_b64 s[8:9], s[8:9], exec
	s_or_b64 s[4:5], s[4:5], s[8:9]
	s_or_b64 exec, exec, s[6:7]
	s_and_saveexec_b64 s[6:7], s[4:5]
	s_cbranch_execnz .LBB37_31
	s_branch .LBB37_32
.LBB37_2081:
	s_movk_i32 s4, 0x80
	v_cmp_eq_u16_sdwa s[12:13], v15, s4 src0_sel:BYTE_0 src1_sel:DWORD
	s_mov_b64 s[4:5], -1
                                        ; implicit-def: $sgpr10
	s_and_saveexec_b64 s[8:9], s[12:13]
; %bb.2082:
	s_mov_b32 s10, 0x7f800001
	s_xor_b64 s[4:5], exec, -1
; %bb.2083:
	s_or_b64 exec, exec, s[8:9]
	s_and_b64 s[4:5], s[4:5], exec
	s_or_saveexec_b64 s[6:7], s[6:7]
	v_mov_b32_e32 v10, s10
	s_xor_b64 exec, exec, s[6:7]
	s_cbranch_execz .LBB37_34
.LBB37_2084:
	v_mov_b32_e32 v10, 0
	v_cmp_ne_u16_sdwa s[8:9], v15, v10 src0_sel:BYTE_0 src1_sel:DWORD
	s_andn2_b64 s[4:5], s[4:5], exec
	s_and_b64 s[8:9], s[8:9], exec
	s_or_b64 s[4:5], s[4:5], s[8:9]
	s_or_b64 exec, exec, s[6:7]
	s_and_saveexec_b64 s[6:7], s[4:5]
	s_cbranch_execnz .LBB37_35
	s_branch .LBB37_36
.LBB37_2085:
	s_movk_i32 s4, 0x80
	v_cmp_eq_u16_sdwa s[12:13], v11, s4 src0_sel:BYTE_0 src1_sel:DWORD
	s_mov_b64 s[4:5], -1
                                        ; implicit-def: $sgpr10
	s_and_saveexec_b64 s[8:9], s[12:13]
; %bb.2086:
	s_mov_b32 s10, 0x7f800001
	s_xor_b64 s[4:5], exec, -1
; %bb.2087:
	s_or_b64 exec, exec, s[8:9]
	s_and_b64 s[4:5], s[4:5], exec
	s_or_saveexec_b64 s[6:7], s[6:7]
	v_mov_b32_e32 v14, s10
	s_xor_b64 exec, exec, s[6:7]
	s_cbranch_execz .LBB37_38
.LBB37_2088:
	v_mov_b32_e32 v14, 0
	v_cmp_ne_u16_sdwa s[8:9], v11, v14 src0_sel:BYTE_0 src1_sel:DWORD
	s_andn2_b64 s[4:5], s[4:5], exec
	s_and_b64 s[8:9], s[8:9], exec
	s_or_b64 s[4:5], s[4:5], s[8:9]
	s_or_b64 exec, exec, s[6:7]
	s_and_saveexec_b64 s[6:7], s[4:5]
	s_cbranch_execnz .LBB37_39
	s_branch .LBB37_40
.LBB37_2089:
	s_movk_i32 s4, 0x80
	v_cmp_eq_u16_sdwa s[12:13], v14, s4 src0_sel:BYTE_0 src1_sel:DWORD
	s_mov_b64 s[4:5], -1
                                        ; implicit-def: $sgpr10
	s_and_saveexec_b64 s[8:9], s[12:13]
; %bb.2090:
	s_mov_b32 s10, 0x7f800001
	s_xor_b64 s[4:5], exec, -1
; %bb.2091:
	s_or_b64 exec, exec, s[8:9]
	s_and_b64 s[4:5], s[4:5], exec
	s_or_saveexec_b64 s[6:7], s[6:7]
	v_mov_b32_e32 v10, s10
	s_xor_b64 exec, exec, s[6:7]
	s_cbranch_execz .LBB37_42
.LBB37_2092:
	v_mov_b32_e32 v10, 0
	v_cmp_ne_u16_sdwa s[8:9], v14, v10 src0_sel:BYTE_0 src1_sel:DWORD
	s_andn2_b64 s[4:5], s[4:5], exec
	s_and_b64 s[8:9], s[8:9], exec
	s_or_b64 s[4:5], s[4:5], s[8:9]
	s_or_b64 exec, exec, s[6:7]
	s_and_saveexec_b64 s[6:7], s[4:5]
	s_cbranch_execnz .LBB37_43
	s_branch .LBB37_44
.LBB37_2093:
	s_movk_i32 s4, 0x80
	v_cmp_eq_u16_sdwa s[12:13], v14, s4 src0_sel:BYTE_0 src1_sel:DWORD
	s_mov_b64 s[4:5], -1
                                        ; implicit-def: $sgpr10
	s_and_saveexec_b64 s[8:9], s[12:13]
; %bb.2094:
	s_mov_b32 s10, 0x7f800001
	s_xor_b64 s[4:5], exec, -1
; %bb.2095:
	s_or_b64 exec, exec, s[8:9]
	s_and_b64 s[4:5], s[4:5], exec
	s_or_saveexec_b64 s[6:7], s[6:7]
	v_mov_b32_e32 v20, s10
	s_xor_b64 exec, exec, s[6:7]
	s_cbranch_execz .LBB37_46
.LBB37_2096:
	v_mov_b32_e32 v20, 0
	v_cmp_ne_u16_sdwa s[8:9], v14, v20 src0_sel:BYTE_0 src1_sel:DWORD
	s_andn2_b64 s[4:5], s[4:5], exec
	s_and_b64 s[8:9], s[8:9], exec
	s_or_b64 s[4:5], s[4:5], s[8:9]
	s_or_b64 exec, exec, s[6:7]
	s_and_saveexec_b64 s[6:7], s[4:5]
	s_cbranch_execnz .LBB37_47
	s_branch .LBB37_48
.LBB37_2097:
	s_movk_i32 s4, 0x80
	v_cmp_eq_u16_e32 vcc, s4, v14
	s_mov_b64 s[4:5], -1
                                        ; implicit-def: $sgpr10
	s_and_saveexec_b64 s[8:9], vcc
; %bb.2098:
	s_mov_b32 s10, 0x7f800001
	s_xor_b64 s[4:5], exec, -1
; %bb.2099:
	s_or_b64 exec, exec, s[8:9]
	s_and_b64 s[4:5], s[4:5], exec
                                        ; implicit-def: $vgpr14
	s_or_saveexec_b64 s[6:7], s[6:7]
	v_mov_b32_e32 v10, s10
	s_xor_b64 exec, exec, s[6:7]
	s_cbranch_execz .LBB37_50
.LBB37_2100:
	v_cmp_ne_u16_e32 vcc, 0, v14
	s_andn2_b64 s[4:5], s[4:5], exec
	s_and_b64 s[8:9], vcc, exec
	v_mov_b32_e32 v10, 0
	s_or_b64 s[4:5], s[4:5], s[8:9]
	s_or_b64 exec, exec, s[6:7]
	s_and_saveexec_b64 s[6:7], s[4:5]
	s_cbranch_execnz .LBB37_51
	s_branch .LBB37_52
.LBB37_2101:
	s_movk_i32 s4, 0x80
	v_cmp_eq_u16_e32 vcc, s4, v14
	s_mov_b64 s[4:5], -1
                                        ; implicit-def: $sgpr10
	s_and_saveexec_b64 s[8:9], vcc
; %bb.2102:
	s_mov_b32 s10, 0x7f800001
	s_xor_b64 s[4:5], exec, -1
; %bb.2103:
	s_or_b64 exec, exec, s[8:9]
	s_and_b64 s[4:5], s[4:5], exec
                                        ; implicit-def: $vgpr14
	s_or_saveexec_b64 s[6:7], s[6:7]
	v_mov_b32_e32 v20, s10
	s_xor_b64 exec, exec, s[6:7]
	s_cbranch_execz .LBB37_54
.LBB37_2104:
	v_cmp_ne_u16_e32 vcc, 0, v14
	s_andn2_b64 s[4:5], s[4:5], exec
	s_and_b64 s[8:9], vcc, exec
	v_mov_b32_e32 v20, 0
	s_or_b64 s[4:5], s[4:5], s[8:9]
	s_or_b64 exec, exec, s[6:7]
	s_and_saveexec_b64 s[6:7], s[4:5]
	s_cbranch_execnz .LBB37_55
	s_branch .LBB37_56
.LBB37_2105:
	s_movk_i32 s4, 0x80
	v_cmp_eq_u16_sdwa s[12:13], v15, s4 src0_sel:BYTE_3 src1_sel:DWORD
	s_mov_b64 s[4:5], -1
                                        ; implicit-def: $sgpr10
	s_and_saveexec_b64 s[8:9], s[12:13]
; %bb.2106:
	s_mov_b32 s10, 0x7f800001
	s_xor_b64 s[4:5], exec, -1
; %bb.2107:
	s_or_b64 exec, exec, s[8:9]
	s_and_b64 s[4:5], s[4:5], exec
	s_or_saveexec_b64 s[6:7], s[6:7]
	v_mov_b32_e32 v10, s10
	s_xor_b64 exec, exec, s[6:7]
	s_cbranch_execz .LBB37_58
.LBB37_2108:
	v_mov_b32_e32 v10, 0
	v_cmp_ne_u16_sdwa s[8:9], v15, v10 src0_sel:BYTE_3 src1_sel:DWORD
	s_andn2_b64 s[4:5], s[4:5], exec
	s_and_b64 s[8:9], s[8:9], exec
	s_or_b64 s[4:5], s[4:5], s[8:9]
	s_or_b64 exec, exec, s[6:7]
	s_and_saveexec_b64 s[6:7], s[4:5]
	s_cbranch_execnz .LBB37_59
	s_branch .LBB37_60
.LBB37_2109:
	s_movk_i32 s4, 0x80
	v_cmp_eq_u16_sdwa s[12:13], v11, s4 src0_sel:BYTE_3 src1_sel:DWORD
	s_mov_b64 s[4:5], -1
                                        ; implicit-def: $sgpr10
	s_and_saveexec_b64 s[8:9], s[12:13]
; %bb.2110:
	s_mov_b32 s10, 0x7f800001
	s_xor_b64 s[4:5], exec, -1
; %bb.2111:
	s_or_b64 exec, exec, s[8:9]
	s_and_b64 s[4:5], s[4:5], exec
	s_or_saveexec_b64 s[6:7], s[6:7]
	v_mov_b32_e32 v14, s10
	s_xor_b64 exec, exec, s[6:7]
	s_cbranch_execz .LBB37_62
.LBB37_2112:
	v_mov_b32_e32 v14, 0
	v_cmp_ne_u16_sdwa s[8:9], v11, v14 src0_sel:BYTE_3 src1_sel:DWORD
	s_andn2_b64 s[4:5], s[4:5], exec
	s_and_b64 s[8:9], s[8:9], exec
	s_or_b64 s[4:5], s[4:5], s[8:9]
	s_or_b64 exec, exec, s[6:7]
	s_and_saveexec_b64 s[6:7], s[4:5]
	s_cbranch_execnz .LBB37_63
	s_branch .LBB37_64
.LBB37_2113:
	s_movk_i32 s4, 0x80
	v_cmp_eq_u16_sdwa s[12:13], v16, s4 src0_sel:BYTE_0 src1_sel:DWORD
	s_mov_b64 s[4:5], -1
                                        ; implicit-def: $sgpr10
	s_and_saveexec_b64 s[8:9], s[12:13]
; %bb.2114:
	s_mov_b32 s10, 0x7f800001
	s_xor_b64 s[4:5], exec, -1
; %bb.2115:
	s_or_b64 exec, exec, s[8:9]
	s_and_b64 s[4:5], s[4:5], exec
	s_or_saveexec_b64 s[6:7], s[6:7]
	v_mov_b32_e32 v10, s10
	s_xor_b64 exec, exec, s[6:7]
	s_cbranch_execz .LBB37_66
.LBB37_2116:
	v_mov_b32_e32 v10, 0
	v_cmp_ne_u16_sdwa s[8:9], v16, v10 src0_sel:BYTE_0 src1_sel:DWORD
	s_andn2_b64 s[4:5], s[4:5], exec
	s_and_b64 s[8:9], s[8:9], exec
	s_or_b64 s[4:5], s[4:5], s[8:9]
	s_or_b64 exec, exec, s[6:7]
	s_and_saveexec_b64 s[6:7], s[4:5]
	s_cbranch_execnz .LBB37_67
	s_branch .LBB37_68
.LBB37_2117:
	s_movk_i32 s4, 0x80
	v_cmp_eq_u16_sdwa s[12:13], v12, s4 src0_sel:BYTE_0 src1_sel:DWORD
	s_mov_b64 s[4:5], -1
                                        ; implicit-def: $sgpr10
	s_and_saveexec_b64 s[8:9], s[12:13]
; %bb.2118:
	s_mov_b32 s10, 0x7f800001
	s_xor_b64 s[4:5], exec, -1
; %bb.2119:
	s_or_b64 exec, exec, s[8:9]
	s_and_b64 s[4:5], s[4:5], exec
	s_or_saveexec_b64 s[6:7], s[6:7]
	v_mov_b32_e32 v11, s10
	s_xor_b64 exec, exec, s[6:7]
	s_cbranch_execz .LBB37_70
.LBB37_2120:
	v_mov_b32_e32 v11, 0
	v_cmp_ne_u16_sdwa s[8:9], v12, v11 src0_sel:BYTE_0 src1_sel:DWORD
	s_andn2_b64 s[4:5], s[4:5], exec
	s_and_b64 s[8:9], s[8:9], exec
	s_or_b64 s[4:5], s[4:5], s[8:9]
	s_or_b64 exec, exec, s[6:7]
	s_and_saveexec_b64 s[6:7], s[4:5]
	s_cbranch_execnz .LBB37_71
	s_branch .LBB37_72
.LBB37_2121:
	s_movk_i32 s4, 0x80
	v_cmp_eq_u16_sdwa s[12:13], v11, s4 src0_sel:BYTE_0 src1_sel:DWORD
	s_mov_b64 s[4:5], -1
                                        ; implicit-def: $sgpr10
	s_and_saveexec_b64 s[8:9], s[12:13]
; %bb.2122:
	s_mov_b32 s10, 0x7f800001
	s_xor_b64 s[4:5], exec, -1
; %bb.2123:
	s_or_b64 exec, exec, s[8:9]
	s_and_b64 s[4:5], s[4:5], exec
	s_or_saveexec_b64 s[6:7], s[6:7]
	v_mov_b32_e32 v10, s10
	s_xor_b64 exec, exec, s[6:7]
	s_cbranch_execz .LBB37_74
.LBB37_2124:
	v_mov_b32_e32 v10, 0
	v_cmp_ne_u16_sdwa s[8:9], v11, v10 src0_sel:BYTE_0 src1_sel:DWORD
	s_andn2_b64 s[4:5], s[4:5], exec
	s_and_b64 s[8:9], s[8:9], exec
	s_or_b64 s[4:5], s[4:5], s[8:9]
	s_or_b64 exec, exec, s[6:7]
	s_and_saveexec_b64 s[6:7], s[4:5]
	s_cbranch_execnz .LBB37_75
	s_branch .LBB37_76
.LBB37_2125:
	s_movk_i32 s4, 0x80
	v_cmp_eq_u16_sdwa s[12:13], v11, s4 src0_sel:BYTE_0 src1_sel:DWORD
	s_mov_b64 s[4:5], -1
                                        ; implicit-def: $sgpr10
	s_and_saveexec_b64 s[8:9], s[12:13]
; %bb.2126:
	s_mov_b32 s10, 0x7f800001
	s_xor_b64 s[4:5], exec, -1
; %bb.2127:
	s_or_b64 exec, exec, s[8:9]
	s_and_b64 s[4:5], s[4:5], exec
	s_or_saveexec_b64 s[6:7], s[6:7]
	v_mov_b32_e32 v14, s10
	s_xor_b64 exec, exec, s[6:7]
	s_cbranch_execz .LBB37_78
.LBB37_2128:
	v_mov_b32_e32 v14, 0
	v_cmp_ne_u16_sdwa s[8:9], v11, v14 src0_sel:BYTE_0 src1_sel:DWORD
	s_andn2_b64 s[4:5], s[4:5], exec
	s_and_b64 s[8:9], s[8:9], exec
	s_or_b64 s[4:5], s[4:5], s[8:9]
	s_or_b64 exec, exec, s[6:7]
	s_and_saveexec_b64 s[6:7], s[4:5]
	s_cbranch_execnz .LBB37_79
	s_branch .LBB37_80
.LBB37_2129:
	s_movk_i32 s4, 0x80
	v_cmp_eq_u16_e32 vcc, s4, v11
	s_mov_b64 s[4:5], -1
                                        ; implicit-def: $sgpr10
	s_and_saveexec_b64 s[8:9], vcc
; %bb.2130:
	s_mov_b32 s10, 0x7f800001
	s_xor_b64 s[4:5], exec, -1
; %bb.2131:
	s_or_b64 exec, exec, s[8:9]
	s_and_b64 s[4:5], s[4:5], exec
                                        ; implicit-def: $vgpr11
	s_or_saveexec_b64 s[6:7], s[6:7]
	v_mov_b32_e32 v10, s10
	s_xor_b64 exec, exec, s[6:7]
	s_cbranch_execz .LBB37_82
.LBB37_2132:
	v_cmp_ne_u16_e32 vcc, 0, v11
	s_andn2_b64 s[4:5], s[4:5], exec
	s_and_b64 s[8:9], vcc, exec
	v_mov_b32_e32 v10, 0
	s_or_b64 s[4:5], s[4:5], s[8:9]
	s_or_b64 exec, exec, s[6:7]
	s_and_saveexec_b64 s[6:7], s[4:5]
	s_cbranch_execnz .LBB37_83
	s_branch .LBB37_84
.LBB37_2133:
	s_movk_i32 s4, 0x80
	v_cmp_eq_u16_e32 vcc, s4, v11
	s_mov_b64 s[4:5], -1
                                        ; implicit-def: $sgpr10
	s_and_saveexec_b64 s[8:9], vcc
; %bb.2134:
	s_mov_b32 s10, 0x7f800001
	s_xor_b64 s[4:5], exec, -1
; %bb.2135:
	s_or_b64 exec, exec, s[8:9]
	s_and_b64 s[4:5], s[4:5], exec
                                        ; implicit-def: $vgpr11
	s_or_saveexec_b64 s[6:7], s[6:7]
	v_mov_b32_e32 v14, s10
	s_xor_b64 exec, exec, s[6:7]
	s_cbranch_execz .LBB37_86
.LBB37_2136:
	v_cmp_ne_u16_e32 vcc, 0, v11
	s_andn2_b64 s[4:5], s[4:5], exec
	s_and_b64 s[8:9], vcc, exec
	v_mov_b32_e32 v14, 0
	s_or_b64 s[4:5], s[4:5], s[8:9]
	s_or_b64 exec, exec, s[6:7]
	s_and_saveexec_b64 s[6:7], s[4:5]
	s_cbranch_execnz .LBB37_87
	s_branch .LBB37_88
.LBB37_2137:
	s_movk_i32 s4, 0x80
	v_cmp_eq_u16_sdwa s[12:13], v16, s4 src0_sel:BYTE_3 src1_sel:DWORD
	s_mov_b64 s[4:5], -1
                                        ; implicit-def: $sgpr10
	s_and_saveexec_b64 s[8:9], s[12:13]
; %bb.2138:
	s_mov_b32 s10, 0x7f800001
	s_xor_b64 s[4:5], exec, -1
; %bb.2139:
	s_or_b64 exec, exec, s[8:9]
	s_and_b64 s[4:5], s[4:5], exec
	s_or_saveexec_b64 s[6:7], s[6:7]
	v_mov_b32_e32 v10, s10
	s_xor_b64 exec, exec, s[6:7]
	s_cbranch_execz .LBB37_90
.LBB37_2140:
	v_mov_b32_e32 v10, 0
	v_cmp_ne_u16_sdwa s[8:9], v16, v10 src0_sel:BYTE_3 src1_sel:DWORD
	s_andn2_b64 s[4:5], s[4:5], exec
	s_and_b64 s[8:9], s[8:9], exec
	s_or_b64 s[4:5], s[4:5], s[8:9]
	s_or_b64 exec, exec, s[6:7]
	s_and_saveexec_b64 s[6:7], s[4:5]
	s_cbranch_execnz .LBB37_91
	s_branch .LBB37_92
.LBB37_2141:
	s_movk_i32 s4, 0x80
	v_cmp_eq_u16_sdwa s[12:13], v12, s4 src0_sel:BYTE_3 src1_sel:DWORD
	s_mov_b64 s[4:5], -1
                                        ; implicit-def: $sgpr10
	s_and_saveexec_b64 s[8:9], s[12:13]
; %bb.2142:
	s_mov_b32 s10, 0x7f800001
	s_xor_b64 s[4:5], exec, -1
; %bb.2143:
	s_or_b64 exec, exec, s[8:9]
	s_and_b64 s[4:5], s[4:5], exec
	s_or_saveexec_b64 s[6:7], s[6:7]
	v_mov_b32_e32 v11, s10
	s_xor_b64 exec, exec, s[6:7]
	s_cbranch_execz .LBB37_94
.LBB37_2144:
	v_mov_b32_e32 v11, 0
	v_cmp_ne_u16_sdwa s[8:9], v12, v11 src0_sel:BYTE_3 src1_sel:DWORD
	s_andn2_b64 s[4:5], s[4:5], exec
	s_and_b64 s[8:9], s[8:9], exec
	s_or_b64 s[4:5], s[4:5], s[8:9]
	s_or_b64 exec, exec, s[6:7]
	s_and_saveexec_b64 s[6:7], s[4:5]
	s_cbranch_execnz .LBB37_95
	s_branch .LBB37_96
.LBB37_2145:
	s_movk_i32 s4, 0x80
	v_cmp_eq_u16_sdwa s[12:13], v17, s4 src0_sel:BYTE_0 src1_sel:DWORD
	s_mov_b64 s[4:5], -1
                                        ; implicit-def: $sgpr10
	s_and_saveexec_b64 s[8:9], s[12:13]
; %bb.2146:
	s_mov_b32 s10, 0x7f800001
	s_xor_b64 s[4:5], exec, -1
; %bb.2147:
	s_or_b64 exec, exec, s[8:9]
	s_and_b64 s[4:5], s[4:5], exec
	s_or_saveexec_b64 s[6:7], s[6:7]
	v_mov_b32_e32 v10, s10
	s_xor_b64 exec, exec, s[6:7]
	s_cbranch_execz .LBB37_98
.LBB37_2148:
	v_mov_b32_e32 v10, 0
	v_cmp_ne_u16_sdwa s[8:9], v17, v10 src0_sel:BYTE_0 src1_sel:DWORD
	s_andn2_b64 s[4:5], s[4:5], exec
	s_and_b64 s[8:9], s[8:9], exec
	s_or_b64 s[4:5], s[4:5], s[8:9]
	s_or_b64 exec, exec, s[6:7]
	s_and_saveexec_b64 s[6:7], s[4:5]
	s_cbranch_execnz .LBB37_99
	s_branch .LBB37_100
.LBB37_2149:
	s_movk_i32 s4, 0x80
	v_cmp_eq_u16_sdwa s[12:13], v13, s4 src0_sel:BYTE_0 src1_sel:DWORD
	s_mov_b64 s[4:5], -1
                                        ; implicit-def: $sgpr10
	s_and_saveexec_b64 s[8:9], s[12:13]
; %bb.2150:
	s_mov_b32 s10, 0x7f800001
	s_xor_b64 s[4:5], exec, -1
; %bb.2151:
	s_or_b64 exec, exec, s[8:9]
	s_and_b64 s[4:5], s[4:5], exec
	s_or_saveexec_b64 s[6:7], s[6:7]
	v_mov_b32_e32 v11, s10
	s_xor_b64 exec, exec, s[6:7]
	s_cbranch_execz .LBB37_102
.LBB37_2152:
	v_mov_b32_e32 v11, 0
	v_cmp_ne_u16_sdwa s[8:9], v13, v11 src0_sel:BYTE_0 src1_sel:DWORD
	s_andn2_b64 s[4:5], s[4:5], exec
	s_and_b64 s[8:9], s[8:9], exec
	s_or_b64 s[4:5], s[4:5], s[8:9]
	s_or_b64 exec, exec, s[6:7]
	s_and_saveexec_b64 s[6:7], s[4:5]
	s_cbranch_execnz .LBB37_103
	s_branch .LBB37_104
.LBB37_2153:
	s_movk_i32 s4, 0x80
	v_cmp_eq_u16_sdwa s[12:13], v11, s4 src0_sel:BYTE_0 src1_sel:DWORD
	s_mov_b64 s[4:5], -1
                                        ; implicit-def: $sgpr10
	s_and_saveexec_b64 s[8:9], s[12:13]
; %bb.2154:
	s_mov_b32 s10, 0x7f800001
	s_xor_b64 s[4:5], exec, -1
; %bb.2155:
	s_or_b64 exec, exec, s[8:9]
	s_and_b64 s[4:5], s[4:5], exec
	s_or_saveexec_b64 s[6:7], s[6:7]
	v_mov_b32_e32 v10, s10
	s_xor_b64 exec, exec, s[6:7]
	s_cbranch_execz .LBB37_106
.LBB37_2156:
	v_mov_b32_e32 v10, 0
	v_cmp_ne_u16_sdwa s[8:9], v11, v10 src0_sel:BYTE_0 src1_sel:DWORD
	s_andn2_b64 s[4:5], s[4:5], exec
	s_and_b64 s[8:9], s[8:9], exec
	s_or_b64 s[4:5], s[4:5], s[8:9]
	s_or_b64 exec, exec, s[6:7]
	s_and_saveexec_b64 s[6:7], s[4:5]
	s_cbranch_execnz .LBB37_107
	s_branch .LBB37_108
.LBB37_2157:
	s_movk_i32 s4, 0x80
	v_cmp_eq_u16_sdwa s[12:13], v11, s4 src0_sel:BYTE_0 src1_sel:DWORD
	s_mov_b64 s[4:5], -1
                                        ; implicit-def: $sgpr10
	s_and_saveexec_b64 s[8:9], s[12:13]
; %bb.2158:
	s_mov_b32 s10, 0x7f800001
	s_xor_b64 s[4:5], exec, -1
; %bb.2159:
	s_or_b64 exec, exec, s[8:9]
	s_and_b64 s[4:5], s[4:5], exec
	s_or_saveexec_b64 s[6:7], s[6:7]
	v_mov_b32_e32 v12, s10
	s_xor_b64 exec, exec, s[6:7]
	s_cbranch_execz .LBB37_110
.LBB37_2160:
	v_mov_b32_e32 v12, 0
	v_cmp_ne_u16_sdwa s[8:9], v11, v12 src0_sel:BYTE_0 src1_sel:DWORD
	s_andn2_b64 s[4:5], s[4:5], exec
	s_and_b64 s[8:9], s[8:9], exec
	s_or_b64 s[4:5], s[4:5], s[8:9]
	s_or_b64 exec, exec, s[6:7]
	s_and_saveexec_b64 s[6:7], s[4:5]
	s_cbranch_execnz .LBB37_111
	s_branch .LBB37_112
.LBB37_2161:
	s_movk_i32 s4, 0x80
	v_cmp_eq_u16_e32 vcc, s4, v11
	s_mov_b64 s[4:5], -1
                                        ; implicit-def: $sgpr10
	s_and_saveexec_b64 s[8:9], vcc
; %bb.2162:
	s_mov_b32 s10, 0x7f800001
	s_xor_b64 s[4:5], exec, -1
; %bb.2163:
	s_or_b64 exec, exec, s[8:9]
	s_and_b64 s[4:5], s[4:5], exec
                                        ; implicit-def: $vgpr11
	s_or_saveexec_b64 s[6:7], s[6:7]
	v_mov_b32_e32 v10, s10
	s_xor_b64 exec, exec, s[6:7]
	s_cbranch_execz .LBB37_114
.LBB37_2164:
	v_cmp_ne_u16_e32 vcc, 0, v11
	s_andn2_b64 s[4:5], s[4:5], exec
	s_and_b64 s[8:9], vcc, exec
	v_mov_b32_e32 v10, 0
	s_or_b64 s[4:5], s[4:5], s[8:9]
	s_or_b64 exec, exec, s[6:7]
	s_and_saveexec_b64 s[6:7], s[4:5]
	s_cbranch_execnz .LBB37_115
	s_branch .LBB37_116
.LBB37_2165:
	s_movk_i32 s4, 0x80
	v_cmp_eq_u16_e32 vcc, s4, v11
	s_mov_b64 s[4:5], -1
                                        ; implicit-def: $sgpr10
	s_and_saveexec_b64 s[8:9], vcc
; %bb.2166:
	s_mov_b32 s10, 0x7f800001
	s_xor_b64 s[4:5], exec, -1
; %bb.2167:
	s_or_b64 exec, exec, s[8:9]
	s_and_b64 s[4:5], s[4:5], exec
                                        ; implicit-def: $vgpr11
	s_or_saveexec_b64 s[6:7], s[6:7]
	v_mov_b32_e32 v12, s10
	s_xor_b64 exec, exec, s[6:7]
	s_cbranch_execz .LBB37_118
.LBB37_2168:
	v_cmp_ne_u16_e32 vcc, 0, v11
	s_andn2_b64 s[4:5], s[4:5], exec
	s_and_b64 s[8:9], vcc, exec
	v_mov_b32_e32 v12, 0
	s_or_b64 s[4:5], s[4:5], s[8:9]
	s_or_b64 exec, exec, s[6:7]
	s_and_saveexec_b64 s[6:7], s[4:5]
	s_cbranch_execnz .LBB37_119
	s_branch .LBB37_120
.LBB37_2169:
	s_movk_i32 s4, 0x80
	v_cmp_eq_u16_sdwa s[12:13], v17, s4 src0_sel:BYTE_3 src1_sel:DWORD
	s_mov_b64 s[4:5], -1
                                        ; implicit-def: $sgpr10
	s_and_saveexec_b64 s[8:9], s[12:13]
; %bb.2170:
	s_mov_b32 s10, 0x7f800001
	s_xor_b64 s[4:5], exec, -1
; %bb.2171:
	s_or_b64 exec, exec, s[8:9]
	s_and_b64 s[4:5], s[4:5], exec
	s_or_saveexec_b64 s[6:7], s[6:7]
	v_mov_b32_e32 v10, s10
	s_xor_b64 exec, exec, s[6:7]
	s_cbranch_execz .LBB37_122
.LBB37_2172:
	v_mov_b32_e32 v10, 0
	v_cmp_ne_u16_sdwa s[8:9], v17, v10 src0_sel:BYTE_3 src1_sel:DWORD
	s_andn2_b64 s[4:5], s[4:5], exec
	s_and_b64 s[8:9], s[8:9], exec
	s_or_b64 s[4:5], s[4:5], s[8:9]
	s_or_b64 exec, exec, s[6:7]
	s_and_saveexec_b64 s[6:7], s[4:5]
	s_cbranch_execnz .LBB37_123
	s_branch .LBB37_124
.LBB37_2173:
	s_movk_i32 s4, 0x80
	v_cmp_eq_u16_sdwa s[12:13], v13, s4 src0_sel:BYTE_3 src1_sel:DWORD
	s_mov_b64 s[4:5], -1
                                        ; implicit-def: $sgpr10
	s_and_saveexec_b64 s[8:9], s[12:13]
; %bb.2174:
	s_mov_b32 s10, 0x7f800001
	s_xor_b64 s[4:5], exec, -1
; %bb.2175:
	s_or_b64 exec, exec, s[8:9]
	s_and_b64 s[4:5], s[4:5], exec
	s_or_saveexec_b64 s[6:7], s[6:7]
	v_mov_b32_e32 v11, s10
	s_xor_b64 exec, exec, s[6:7]
	s_cbranch_execz .LBB37_126
.LBB37_2176:
	v_mov_b32_e32 v11, 0
	v_cmp_ne_u16_sdwa s[8:9], v13, v11 src0_sel:BYTE_3 src1_sel:DWORD
	s_andn2_b64 s[4:5], s[4:5], exec
	s_and_b64 s[8:9], s[8:9], exec
	s_or_b64 s[4:5], s[4:5], s[8:9]
	s_or_b64 exec, exec, s[6:7]
	s_and_saveexec_b64 s[6:7], s[4:5]
	s_cbranch_execnz .LBB37_127
	s_branch .LBB37_128
.LBB37_2177:
	s_movk_i32 s4, 0x80
	v_cmp_eq_u16_sdwa s[12:13], v6, s4 src0_sel:BYTE_0 src1_sel:DWORD
	s_mov_b64 s[4:5], -1
                                        ; implicit-def: $sgpr10
	s_and_saveexec_b64 s[8:9], s[12:13]
; %bb.2178:
	s_mov_b32 s10, 0x7f800001
	s_xor_b64 s[4:5], exec, -1
; %bb.2179:
	s_or_b64 exec, exec, s[8:9]
	s_and_b64 s[4:5], s[4:5], exec
	s_or_saveexec_b64 s[6:7], s[6:7]
	v_mov_b32_e32 v10, s10
	s_xor_b64 exec, exec, s[6:7]
	s_cbranch_execz .LBB37_130
.LBB37_2180:
	v_mov_b32_e32 v10, 0
	v_cmp_ne_u16_sdwa s[8:9], v6, v10 src0_sel:BYTE_0 src1_sel:DWORD
	s_andn2_b64 s[4:5], s[4:5], exec
	s_and_b64 s[8:9], s[8:9], exec
	s_or_b64 s[4:5], s[4:5], s[8:9]
	s_or_b64 exec, exec, s[6:7]
	s_and_saveexec_b64 s[6:7], s[4:5]
	s_cbranch_execnz .LBB37_131
	s_branch .LBB37_132
.LBB37_2181:
	s_movk_i32 s4, 0x80
	v_cmp_eq_u16_sdwa s[12:13], v2, s4 src0_sel:BYTE_0 src1_sel:DWORD
	s_mov_b64 s[4:5], -1
                                        ; implicit-def: $sgpr10
	s_and_saveexec_b64 s[8:9], s[12:13]
; %bb.2182:
	s_mov_b32 s10, 0x7f800001
	s_xor_b64 s[4:5], exec, -1
; %bb.2183:
	s_or_b64 exec, exec, s[8:9]
	s_and_b64 s[4:5], s[4:5], exec
	s_or_saveexec_b64 s[6:7], s[6:7]
	v_mov_b32_e32 v11, s10
	s_xor_b64 exec, exec, s[6:7]
	s_cbranch_execz .LBB37_134
.LBB37_2184:
	v_mov_b32_e32 v11, 0
	v_cmp_ne_u16_sdwa s[8:9], v2, v11 src0_sel:BYTE_0 src1_sel:DWORD
	s_andn2_b64 s[4:5], s[4:5], exec
	s_and_b64 s[8:9], s[8:9], exec
	s_or_b64 s[4:5], s[4:5], s[8:9]
	s_or_b64 exec, exec, s[6:7]
	s_and_saveexec_b64 s[6:7], s[4:5]
	s_cbranch_execnz .LBB37_135
	s_branch .LBB37_136
.LBB37_2185:
	s_movk_i32 s4, 0x80
	v_cmp_eq_u16_sdwa s[12:13], v11, s4 src0_sel:BYTE_0 src1_sel:DWORD
	s_mov_b64 s[4:5], -1
                                        ; implicit-def: $sgpr10
	s_and_saveexec_b64 s[8:9], s[12:13]
; %bb.2186:
	s_mov_b32 s10, 0x7f800001
	s_xor_b64 s[4:5], exec, -1
; %bb.2187:
	s_or_b64 exec, exec, s[8:9]
	s_and_b64 s[4:5], s[4:5], exec
	s_or_saveexec_b64 s[6:7], s[6:7]
	v_mov_b32_e32 v10, s10
	s_xor_b64 exec, exec, s[6:7]
	s_cbranch_execz .LBB37_138
.LBB37_2188:
	v_mov_b32_e32 v10, 0
	v_cmp_ne_u16_sdwa s[8:9], v11, v10 src0_sel:BYTE_0 src1_sel:DWORD
	s_andn2_b64 s[4:5], s[4:5], exec
	s_and_b64 s[8:9], s[8:9], exec
	s_or_b64 s[4:5], s[4:5], s[8:9]
	s_or_b64 exec, exec, s[6:7]
	s_and_saveexec_b64 s[6:7], s[4:5]
	s_cbranch_execnz .LBB37_139
	s_branch .LBB37_140
.LBB37_2189:
	s_movk_i32 s4, 0x80
	v_cmp_eq_u16_sdwa s[12:13], v11, s4 src0_sel:BYTE_0 src1_sel:DWORD
	s_mov_b64 s[4:5], -1
                                        ; implicit-def: $sgpr10
	s_and_saveexec_b64 s[8:9], s[12:13]
; %bb.2190:
	s_mov_b32 s10, 0x7f800001
	s_xor_b64 s[4:5], exec, -1
; %bb.2191:
	s_or_b64 exec, exec, s[8:9]
	s_and_b64 s[4:5], s[4:5], exec
	s_or_saveexec_b64 s[6:7], s[6:7]
	v_mov_b32_e32 v12, s10
	s_xor_b64 exec, exec, s[6:7]
	s_cbranch_execz .LBB37_142
.LBB37_2192:
	v_mov_b32_e32 v12, 0
	v_cmp_ne_u16_sdwa s[8:9], v11, v12 src0_sel:BYTE_0 src1_sel:DWORD
	s_andn2_b64 s[4:5], s[4:5], exec
	s_and_b64 s[8:9], s[8:9], exec
	s_or_b64 s[4:5], s[4:5], s[8:9]
	s_or_b64 exec, exec, s[6:7]
	s_and_saveexec_b64 s[6:7], s[4:5]
	s_cbranch_execnz .LBB37_143
	s_branch .LBB37_144
.LBB37_2193:
	s_movk_i32 s4, 0x80
	v_cmp_eq_u16_e32 vcc, s4, v11
	s_mov_b64 s[4:5], -1
                                        ; implicit-def: $sgpr10
	s_and_saveexec_b64 s[8:9], vcc
; %bb.2194:
	s_mov_b32 s10, 0x7f800001
	s_xor_b64 s[4:5], exec, -1
; %bb.2195:
	s_or_b64 exec, exec, s[8:9]
	s_and_b64 s[4:5], s[4:5], exec
                                        ; implicit-def: $vgpr11
	s_or_saveexec_b64 s[6:7], s[6:7]
	v_mov_b32_e32 v10, s10
	s_xor_b64 exec, exec, s[6:7]
	s_cbranch_execz .LBB37_146
.LBB37_2196:
	v_cmp_ne_u16_e32 vcc, 0, v11
	s_andn2_b64 s[4:5], s[4:5], exec
	s_and_b64 s[8:9], vcc, exec
	v_mov_b32_e32 v10, 0
	s_or_b64 s[4:5], s[4:5], s[8:9]
	s_or_b64 exec, exec, s[6:7]
	s_and_saveexec_b64 s[6:7], s[4:5]
	s_cbranch_execnz .LBB37_147
	s_branch .LBB37_148
.LBB37_2197:
	s_movk_i32 s4, 0x80
	v_cmp_eq_u16_e32 vcc, s4, v11
	s_mov_b64 s[4:5], -1
                                        ; implicit-def: $sgpr10
	s_and_saveexec_b64 s[8:9], vcc
; %bb.2198:
	s_mov_b32 s10, 0x7f800001
	s_xor_b64 s[4:5], exec, -1
; %bb.2199:
	s_or_b64 exec, exec, s[8:9]
	s_and_b64 s[4:5], s[4:5], exec
                                        ; implicit-def: $vgpr11
	s_or_saveexec_b64 s[6:7], s[6:7]
	v_mov_b32_e32 v12, s10
	s_xor_b64 exec, exec, s[6:7]
	s_cbranch_execz .LBB37_150
.LBB37_2200:
	v_cmp_ne_u16_e32 vcc, 0, v11
	s_andn2_b64 s[4:5], s[4:5], exec
	s_and_b64 s[8:9], vcc, exec
	v_mov_b32_e32 v12, 0
	s_or_b64 s[4:5], s[4:5], s[8:9]
	s_or_b64 exec, exec, s[6:7]
	s_and_saveexec_b64 s[6:7], s[4:5]
	s_cbranch_execnz .LBB37_151
	s_branch .LBB37_152
.LBB37_2201:
	s_movk_i32 s4, 0x80
	v_cmp_eq_u16_sdwa s[12:13], v6, s4 src0_sel:BYTE_3 src1_sel:DWORD
	s_mov_b64 s[4:5], -1
                                        ; implicit-def: $sgpr10
	s_and_saveexec_b64 s[8:9], s[12:13]
; %bb.2202:
	s_mov_b32 s10, 0x7f800001
	s_xor_b64 s[4:5], exec, -1
; %bb.2203:
	s_or_b64 exec, exec, s[8:9]
	s_and_b64 s[4:5], s[4:5], exec
	s_or_saveexec_b64 s[6:7], s[6:7]
	v_mov_b32_e32 v10, s10
	s_xor_b64 exec, exec, s[6:7]
	s_cbranch_execz .LBB37_154
.LBB37_2204:
	v_mov_b32_e32 v10, 0
	v_cmp_ne_u16_sdwa s[8:9], v6, v10 src0_sel:BYTE_3 src1_sel:DWORD
	s_andn2_b64 s[4:5], s[4:5], exec
	s_and_b64 s[8:9], s[8:9], exec
	s_or_b64 s[4:5], s[4:5], s[8:9]
	s_or_b64 exec, exec, s[6:7]
	s_and_saveexec_b64 s[6:7], s[4:5]
	s_cbranch_execnz .LBB37_155
	s_branch .LBB37_156
.LBB37_2205:
	s_movk_i32 s4, 0x80
	v_cmp_eq_u16_sdwa s[12:13], v2, s4 src0_sel:BYTE_3 src1_sel:DWORD
	s_mov_b64 s[4:5], -1
                                        ; implicit-def: $sgpr10
	s_and_saveexec_b64 s[8:9], s[12:13]
; %bb.2206:
	s_mov_b32 s10, 0x7f800001
	s_xor_b64 s[4:5], exec, -1
; %bb.2207:
	s_or_b64 exec, exec, s[8:9]
	s_and_b64 s[4:5], s[4:5], exec
	s_or_saveexec_b64 s[6:7], s[6:7]
	v_mov_b32_e32 v6, s10
	s_xor_b64 exec, exec, s[6:7]
	s_cbranch_execz .LBB37_158
.LBB37_2208:
	v_mov_b32_e32 v6, 0
	v_cmp_ne_u16_sdwa s[8:9], v2, v6 src0_sel:BYTE_3 src1_sel:DWORD
	s_andn2_b64 s[4:5], s[4:5], exec
	s_and_b64 s[8:9], s[8:9], exec
	s_or_b64 s[4:5], s[4:5], s[8:9]
	s_or_b64 exec, exec, s[6:7]
	s_and_saveexec_b64 s[6:7], s[4:5]
	s_cbranch_execnz .LBB37_159
	s_branch .LBB37_160
.LBB37_2209:
	s_movk_i32 s4, 0x80
	v_cmp_eq_u16_sdwa s[12:13], v7, s4 src0_sel:BYTE_0 src1_sel:DWORD
	s_mov_b64 s[4:5], -1
                                        ; implicit-def: $sgpr10
	s_and_saveexec_b64 s[8:9], s[12:13]
; %bb.2210:
	s_mov_b32 s10, 0x7f800001
	s_xor_b64 s[4:5], exec, -1
; %bb.2211:
	s_or_b64 exec, exec, s[8:9]
	s_and_b64 s[4:5], s[4:5], exec
	s_or_saveexec_b64 s[6:7], s[6:7]
	v_mov_b32_e32 v2, s10
	s_xor_b64 exec, exec, s[6:7]
	s_cbranch_execz .LBB37_162
.LBB37_2212:
	v_mov_b32_e32 v2, 0
	v_cmp_ne_u16_sdwa s[8:9], v7, v2 src0_sel:BYTE_0 src1_sel:DWORD
	s_andn2_b64 s[4:5], s[4:5], exec
	s_and_b64 s[8:9], s[8:9], exec
	s_or_b64 s[4:5], s[4:5], s[8:9]
	s_or_b64 exec, exec, s[6:7]
	s_and_saveexec_b64 s[6:7], s[4:5]
	s_cbranch_execnz .LBB37_163
	s_branch .LBB37_164
.LBB37_2213:
	s_movk_i32 s4, 0x80
	v_cmp_eq_u16_sdwa s[12:13], v3, s4 src0_sel:BYTE_0 src1_sel:DWORD
	s_mov_b64 s[4:5], -1
                                        ; implicit-def: $sgpr10
	s_and_saveexec_b64 s[8:9], s[12:13]
; %bb.2214:
	s_mov_b32 s10, 0x7f800001
	s_xor_b64 s[4:5], exec, -1
; %bb.2215:
	s_or_b64 exec, exec, s[8:9]
	s_and_b64 s[4:5], s[4:5], exec
	s_or_saveexec_b64 s[6:7], s[6:7]
	v_mov_b32_e32 v6, s10
	s_xor_b64 exec, exec, s[6:7]
	s_cbranch_execz .LBB37_166
.LBB37_2216:
	v_mov_b32_e32 v6, 0
	v_cmp_ne_u16_sdwa s[8:9], v3, v6 src0_sel:BYTE_0 src1_sel:DWORD
	s_andn2_b64 s[4:5], s[4:5], exec
	s_and_b64 s[8:9], s[8:9], exec
	s_or_b64 s[4:5], s[4:5], s[8:9]
	s_or_b64 exec, exec, s[6:7]
	s_and_saveexec_b64 s[6:7], s[4:5]
	s_cbranch_execnz .LBB37_167
	s_branch .LBB37_168
.LBB37_2217:
	s_movk_i32 s4, 0x80
	v_cmp_eq_u16_sdwa s[12:13], v6, s4 src0_sel:BYTE_0 src1_sel:DWORD
	s_mov_b64 s[4:5], -1
                                        ; implicit-def: $sgpr10
	s_and_saveexec_b64 s[8:9], s[12:13]
; %bb.2218:
	s_mov_b32 s10, 0x7f800001
	s_xor_b64 s[4:5], exec, -1
; %bb.2219:
	s_or_b64 exec, exec, s[8:9]
	s_and_b64 s[4:5], s[4:5], exec
	s_or_saveexec_b64 s[6:7], s[6:7]
	v_mov_b32_e32 v2, s10
	s_xor_b64 exec, exec, s[6:7]
	s_cbranch_execz .LBB37_170
.LBB37_2220:
	v_mov_b32_e32 v2, 0
	v_cmp_ne_u16_sdwa s[8:9], v6, v2 src0_sel:BYTE_0 src1_sel:DWORD
	s_andn2_b64 s[4:5], s[4:5], exec
	s_and_b64 s[8:9], s[8:9], exec
	s_or_b64 s[4:5], s[4:5], s[8:9]
	s_or_b64 exec, exec, s[6:7]
	s_and_saveexec_b64 s[6:7], s[4:5]
	s_cbranch_execnz .LBB37_171
	s_branch .LBB37_172
.LBB37_2221:
	s_movk_i32 s4, 0x80
	v_cmp_eq_u16_sdwa s[12:13], v6, s4 src0_sel:BYTE_0 src1_sel:DWORD
	s_mov_b64 s[4:5], -1
                                        ; implicit-def: $sgpr10
	s_and_saveexec_b64 s[8:9], s[12:13]
; %bb.2222:
	s_mov_b32 s10, 0x7f800001
	s_xor_b64 s[4:5], exec, -1
; %bb.2223:
	s_or_b64 exec, exec, s[8:9]
	s_and_b64 s[4:5], s[4:5], exec
	s_or_saveexec_b64 s[6:7], s[6:7]
	v_mov_b32_e32 v10, s10
	s_xor_b64 exec, exec, s[6:7]
	s_cbranch_execz .LBB37_174
.LBB37_2224:
	v_mov_b32_e32 v10, 0
	v_cmp_ne_u16_sdwa s[8:9], v6, v10 src0_sel:BYTE_0 src1_sel:DWORD
	s_andn2_b64 s[4:5], s[4:5], exec
	s_and_b64 s[8:9], s[8:9], exec
	s_or_b64 s[4:5], s[4:5], s[8:9]
	s_or_b64 exec, exec, s[6:7]
	s_and_saveexec_b64 s[6:7], s[4:5]
	s_cbranch_execnz .LBB37_175
	s_branch .LBB37_176
.LBB37_2225:
	s_movk_i32 s4, 0x80
	v_cmp_eq_u16_e32 vcc, s4, v6
	s_mov_b64 s[4:5], -1
                                        ; implicit-def: $sgpr10
	s_and_saveexec_b64 s[8:9], vcc
; %bb.2226:
	s_mov_b32 s10, 0x7f800001
	s_xor_b64 s[4:5], exec, -1
; %bb.2227:
	s_or_b64 exec, exec, s[8:9]
	s_and_b64 s[4:5], s[4:5], exec
                                        ; implicit-def: $vgpr6
	s_or_saveexec_b64 s[6:7], s[6:7]
	v_mov_b32_e32 v2, s10
	s_xor_b64 exec, exec, s[6:7]
	s_cbranch_execz .LBB37_178
.LBB37_2228:
	v_cmp_ne_u16_e32 vcc, 0, v6
	s_andn2_b64 s[4:5], s[4:5], exec
	s_and_b64 s[8:9], vcc, exec
	v_mov_b32_e32 v2, 0
	s_or_b64 s[4:5], s[4:5], s[8:9]
	s_or_b64 exec, exec, s[6:7]
	s_and_saveexec_b64 s[6:7], s[4:5]
	s_cbranch_execnz .LBB37_179
	s_branch .LBB37_180
.LBB37_2229:
	s_movk_i32 s4, 0x80
	v_cmp_eq_u16_e32 vcc, s4, v6
	s_mov_b64 s[4:5], -1
                                        ; implicit-def: $sgpr10
	s_and_saveexec_b64 s[8:9], vcc
; %bb.2230:
	s_mov_b32 s10, 0x7f800001
	s_xor_b64 s[4:5], exec, -1
; %bb.2231:
	s_or_b64 exec, exec, s[8:9]
	s_and_b64 s[4:5], s[4:5], exec
                                        ; implicit-def: $vgpr6
	s_or_saveexec_b64 s[6:7], s[6:7]
	v_mov_b32_e32 v10, s10
	s_xor_b64 exec, exec, s[6:7]
	s_cbranch_execz .LBB37_182
.LBB37_2232:
	v_cmp_ne_u16_e32 vcc, 0, v6
	s_andn2_b64 s[4:5], s[4:5], exec
	s_and_b64 s[8:9], vcc, exec
	v_mov_b32_e32 v10, 0
	s_or_b64 s[4:5], s[4:5], s[8:9]
	s_or_b64 exec, exec, s[6:7]
	s_and_saveexec_b64 s[6:7], s[4:5]
	s_cbranch_execnz .LBB37_183
	s_branch .LBB37_184
.LBB37_2233:
	s_movk_i32 s4, 0x80
	v_cmp_eq_u16_sdwa s[12:13], v7, s4 src0_sel:BYTE_3 src1_sel:DWORD
	s_mov_b64 s[4:5], -1
                                        ; implicit-def: $sgpr10
	s_and_saveexec_b64 s[8:9], s[12:13]
; %bb.2234:
	s_mov_b32 s10, 0x7f800001
	s_xor_b64 s[4:5], exec, -1
; %bb.2235:
	s_or_b64 exec, exec, s[8:9]
	s_and_b64 s[4:5], s[4:5], exec
	s_or_saveexec_b64 s[6:7], s[6:7]
	v_mov_b32_e32 v2, s10
	s_xor_b64 exec, exec, s[6:7]
	s_cbranch_execz .LBB37_186
.LBB37_2236:
	v_mov_b32_e32 v2, 0
	v_cmp_ne_u16_sdwa s[8:9], v7, v2 src0_sel:BYTE_3 src1_sel:DWORD
	s_andn2_b64 s[4:5], s[4:5], exec
	s_and_b64 s[8:9], s[8:9], exec
	s_or_b64 s[4:5], s[4:5], s[8:9]
	s_or_b64 exec, exec, s[6:7]
	s_and_saveexec_b64 s[6:7], s[4:5]
	s_cbranch_execnz .LBB37_187
	s_branch .LBB37_188
.LBB37_2237:
	s_movk_i32 s4, 0x80
	v_cmp_eq_u16_sdwa s[12:13], v3, s4 src0_sel:BYTE_3 src1_sel:DWORD
	s_mov_b64 s[4:5], -1
                                        ; implicit-def: $sgpr10
	s_and_saveexec_b64 s[8:9], s[12:13]
; %bb.2238:
	s_mov_b32 s10, 0x7f800001
	s_xor_b64 s[4:5], exec, -1
; %bb.2239:
	s_or_b64 exec, exec, s[8:9]
	s_and_b64 s[4:5], s[4:5], exec
	s_or_saveexec_b64 s[6:7], s[6:7]
	v_mov_b32_e32 v6, s10
	s_xor_b64 exec, exec, s[6:7]
	s_cbranch_execz .LBB37_190
.LBB37_2240:
	v_mov_b32_e32 v6, 0
	v_cmp_ne_u16_sdwa s[8:9], v3, v6 src0_sel:BYTE_3 src1_sel:DWORD
	s_andn2_b64 s[4:5], s[4:5], exec
	s_and_b64 s[8:9], s[8:9], exec
	s_or_b64 s[4:5], s[4:5], s[8:9]
	s_or_b64 exec, exec, s[6:7]
	s_and_saveexec_b64 s[6:7], s[4:5]
	s_cbranch_execnz .LBB37_191
	s_branch .LBB37_192
.LBB37_2241:
	s_movk_i32 s4, 0x80
	v_cmp_eq_u16_sdwa s[12:13], v8, s4 src0_sel:BYTE_0 src1_sel:DWORD
	s_mov_b64 s[4:5], -1
                                        ; implicit-def: $sgpr10
	s_and_saveexec_b64 s[8:9], s[12:13]
; %bb.2242:
	s_mov_b32 s10, 0x7f800001
	s_xor_b64 s[4:5], exec, -1
; %bb.2243:
	s_or_b64 exec, exec, s[8:9]
	s_and_b64 s[4:5], s[4:5], exec
	s_or_saveexec_b64 s[6:7], s[6:7]
	v_mov_b32_e32 v2, s10
	s_xor_b64 exec, exec, s[6:7]
	s_cbranch_execz .LBB37_194
.LBB37_2244:
	v_mov_b32_e32 v2, 0
	v_cmp_ne_u16_sdwa s[8:9], v8, v2 src0_sel:BYTE_0 src1_sel:DWORD
	s_andn2_b64 s[4:5], s[4:5], exec
	s_and_b64 s[8:9], s[8:9], exec
	s_or_b64 s[4:5], s[4:5], s[8:9]
	s_or_b64 exec, exec, s[6:7]
	s_and_saveexec_b64 s[6:7], s[4:5]
	s_cbranch_execnz .LBB37_195
	s_branch .LBB37_196
.LBB37_2245:
	s_movk_i32 s4, 0x80
	v_cmp_eq_u16_sdwa s[12:13], v4, s4 src0_sel:BYTE_0 src1_sel:DWORD
	s_mov_b64 s[4:5], -1
                                        ; implicit-def: $sgpr10
	s_and_saveexec_b64 s[8:9], s[12:13]
; %bb.2246:
	s_mov_b32 s10, 0x7f800001
	s_xor_b64 s[4:5], exec, -1
; %bb.2247:
	s_or_b64 exec, exec, s[8:9]
	s_and_b64 s[4:5], s[4:5], exec
	s_or_saveexec_b64 s[6:7], s[6:7]
	v_mov_b32_e32 v3, s10
	s_xor_b64 exec, exec, s[6:7]
	s_cbranch_execz .LBB37_198
.LBB37_2248:
	v_mov_b32_e32 v3, 0
	v_cmp_ne_u16_sdwa s[8:9], v4, v3 src0_sel:BYTE_0 src1_sel:DWORD
	s_andn2_b64 s[4:5], s[4:5], exec
	s_and_b64 s[8:9], s[8:9], exec
	s_or_b64 s[4:5], s[4:5], s[8:9]
	s_or_b64 exec, exec, s[6:7]
	s_and_saveexec_b64 s[6:7], s[4:5]
	s_cbranch_execnz .LBB37_199
	s_branch .LBB37_200
.LBB37_2249:
	s_movk_i32 s4, 0x80
	v_cmp_eq_u16_sdwa s[12:13], v3, s4 src0_sel:BYTE_0 src1_sel:DWORD
	s_mov_b64 s[4:5], -1
                                        ; implicit-def: $sgpr10
	s_and_saveexec_b64 s[8:9], s[12:13]
; %bb.2250:
	s_mov_b32 s10, 0x7f800001
	s_xor_b64 s[4:5], exec, -1
; %bb.2251:
	s_or_b64 exec, exec, s[8:9]
	s_and_b64 s[4:5], s[4:5], exec
	s_or_saveexec_b64 s[6:7], s[6:7]
	v_mov_b32_e32 v2, s10
	s_xor_b64 exec, exec, s[6:7]
	s_cbranch_execz .LBB37_202
.LBB37_2252:
	v_mov_b32_e32 v2, 0
	v_cmp_ne_u16_sdwa s[8:9], v3, v2 src0_sel:BYTE_0 src1_sel:DWORD
	s_andn2_b64 s[4:5], s[4:5], exec
	s_and_b64 s[8:9], s[8:9], exec
	s_or_b64 s[4:5], s[4:5], s[8:9]
	s_or_b64 exec, exec, s[6:7]
	s_and_saveexec_b64 s[6:7], s[4:5]
	s_cbranch_execnz .LBB37_203
	s_branch .LBB37_204
.LBB37_2253:
	s_movk_i32 s4, 0x80
	v_cmp_eq_u16_sdwa s[12:13], v3, s4 src0_sel:BYTE_0 src1_sel:DWORD
	s_mov_b64 s[4:5], -1
                                        ; implicit-def: $sgpr10
	s_and_saveexec_b64 s[8:9], s[12:13]
; %bb.2254:
	s_mov_b32 s10, 0x7f800001
	s_xor_b64 s[4:5], exec, -1
; %bb.2255:
	s_or_b64 exec, exec, s[8:9]
	s_and_b64 s[4:5], s[4:5], exec
	s_or_saveexec_b64 s[6:7], s[6:7]
	v_mov_b32_e32 v6, s10
	s_xor_b64 exec, exec, s[6:7]
	s_cbranch_execz .LBB37_206
.LBB37_2256:
	v_mov_b32_e32 v6, 0
	v_cmp_ne_u16_sdwa s[8:9], v3, v6 src0_sel:BYTE_0 src1_sel:DWORD
	s_andn2_b64 s[4:5], s[4:5], exec
	s_and_b64 s[8:9], s[8:9], exec
	s_or_b64 s[4:5], s[4:5], s[8:9]
	s_or_b64 exec, exec, s[6:7]
	s_and_saveexec_b64 s[6:7], s[4:5]
	s_cbranch_execnz .LBB37_207
	s_branch .LBB37_208
.LBB37_2257:
	s_movk_i32 s4, 0x80
	v_cmp_eq_u16_e32 vcc, s4, v3
	s_mov_b64 s[4:5], -1
                                        ; implicit-def: $sgpr10
	s_and_saveexec_b64 s[8:9], vcc
; %bb.2258:
	s_mov_b32 s10, 0x7f800001
	s_xor_b64 s[4:5], exec, -1
; %bb.2259:
	s_or_b64 exec, exec, s[8:9]
	s_and_b64 s[4:5], s[4:5], exec
                                        ; implicit-def: $vgpr3
	s_or_saveexec_b64 s[6:7], s[6:7]
	v_mov_b32_e32 v2, s10
	s_xor_b64 exec, exec, s[6:7]
	s_cbranch_execz .LBB37_210
.LBB37_2260:
	v_cmp_ne_u16_e32 vcc, 0, v3
	s_andn2_b64 s[4:5], s[4:5], exec
	s_and_b64 s[8:9], vcc, exec
	v_mov_b32_e32 v2, 0
	s_or_b64 s[4:5], s[4:5], s[8:9]
	s_or_b64 exec, exec, s[6:7]
	s_and_saveexec_b64 s[6:7], s[4:5]
	s_cbranch_execnz .LBB37_211
	s_branch .LBB37_212
.LBB37_2261:
	s_movk_i32 s4, 0x80
	v_cmp_eq_u16_e32 vcc, s4, v3
	s_mov_b64 s[4:5], -1
                                        ; implicit-def: $sgpr10
	s_and_saveexec_b64 s[8:9], vcc
; %bb.2262:
	s_mov_b32 s10, 0x7f800001
	s_xor_b64 s[4:5], exec, -1
; %bb.2263:
	s_or_b64 exec, exec, s[8:9]
	s_and_b64 s[4:5], s[4:5], exec
                                        ; implicit-def: $vgpr3
	s_or_saveexec_b64 s[6:7], s[6:7]
	v_mov_b32_e32 v6, s10
	s_xor_b64 exec, exec, s[6:7]
	s_cbranch_execz .LBB37_214
.LBB37_2264:
	v_cmp_ne_u16_e32 vcc, 0, v3
	s_andn2_b64 s[4:5], s[4:5], exec
	s_and_b64 s[8:9], vcc, exec
	v_mov_b32_e32 v6, 0
	s_or_b64 s[4:5], s[4:5], s[8:9]
	s_or_b64 exec, exec, s[6:7]
	s_and_saveexec_b64 s[6:7], s[4:5]
	s_cbranch_execnz .LBB37_215
	s_branch .LBB37_216
.LBB37_2265:
	s_movk_i32 s4, 0x80
	v_cmp_eq_u16_sdwa s[12:13], v8, s4 src0_sel:BYTE_3 src1_sel:DWORD
	s_mov_b64 s[4:5], -1
                                        ; implicit-def: $sgpr10
	s_and_saveexec_b64 s[8:9], s[12:13]
; %bb.2266:
	s_mov_b32 s10, 0x7f800001
	s_xor_b64 s[4:5], exec, -1
; %bb.2267:
	s_or_b64 exec, exec, s[8:9]
	s_and_b64 s[4:5], s[4:5], exec
	s_or_saveexec_b64 s[6:7], s[6:7]
	v_mov_b32_e32 v2, s10
	s_xor_b64 exec, exec, s[6:7]
	s_cbranch_execz .LBB37_218
.LBB37_2268:
	v_mov_b32_e32 v2, 0
	v_cmp_ne_u16_sdwa s[8:9], v8, v2 src0_sel:BYTE_3 src1_sel:DWORD
	s_andn2_b64 s[4:5], s[4:5], exec
	s_and_b64 s[8:9], s[8:9], exec
	s_or_b64 s[4:5], s[4:5], s[8:9]
	s_or_b64 exec, exec, s[6:7]
	s_and_saveexec_b64 s[6:7], s[4:5]
	s_cbranch_execnz .LBB37_219
	s_branch .LBB37_220
.LBB37_2269:
	s_movk_i32 s4, 0x80
	v_cmp_eq_u16_sdwa s[12:13], v4, s4 src0_sel:BYTE_3 src1_sel:DWORD
	s_mov_b64 s[4:5], -1
                                        ; implicit-def: $sgpr10
	s_and_saveexec_b64 s[8:9], s[12:13]
; %bb.2270:
	s_mov_b32 s10, 0x7f800001
	s_xor_b64 s[4:5], exec, -1
; %bb.2271:
	s_or_b64 exec, exec, s[8:9]
	s_and_b64 s[4:5], s[4:5], exec
	s_or_saveexec_b64 s[6:7], s[6:7]
	v_mov_b32_e32 v3, s10
	s_xor_b64 exec, exec, s[6:7]
	s_cbranch_execz .LBB37_222
.LBB37_2272:
	v_mov_b32_e32 v3, 0
	v_cmp_ne_u16_sdwa s[8:9], v4, v3 src0_sel:BYTE_3 src1_sel:DWORD
	s_andn2_b64 s[4:5], s[4:5], exec
	s_and_b64 s[8:9], s[8:9], exec
	s_or_b64 s[4:5], s[4:5], s[8:9]
	s_or_b64 exec, exec, s[6:7]
	s_and_saveexec_b64 s[6:7], s[4:5]
	s_cbranch_execnz .LBB37_223
	s_branch .LBB37_224
.LBB37_2273:
	s_movk_i32 s4, 0x80
	v_cmp_eq_u16_sdwa s[12:13], v9, s4 src0_sel:BYTE_0 src1_sel:DWORD
	s_mov_b64 s[4:5], -1
                                        ; implicit-def: $sgpr10
	s_and_saveexec_b64 s[8:9], s[12:13]
; %bb.2274:
	s_mov_b32 s10, 0x7f800001
	s_xor_b64 s[4:5], exec, -1
; %bb.2275:
	s_or_b64 exec, exec, s[8:9]
	s_and_b64 s[4:5], s[4:5], exec
	s_or_saveexec_b64 s[6:7], s[6:7]
	v_mov_b32_e32 v2, s10
	s_xor_b64 exec, exec, s[6:7]
	s_cbranch_execz .LBB37_226
.LBB37_2276:
	v_mov_b32_e32 v2, 0
	v_cmp_ne_u16_sdwa s[8:9], v9, v2 src0_sel:BYTE_0 src1_sel:DWORD
	s_andn2_b64 s[4:5], s[4:5], exec
	s_and_b64 s[8:9], s[8:9], exec
	s_or_b64 s[4:5], s[4:5], s[8:9]
	s_or_b64 exec, exec, s[6:7]
	s_and_saveexec_b64 s[6:7], s[4:5]
	s_cbranch_execnz .LBB37_227
	s_branch .LBB37_228
.LBB37_2277:
	s_movk_i32 s4, 0x80
	v_cmp_eq_u16_sdwa s[12:13], v5, s4 src0_sel:BYTE_0 src1_sel:DWORD
	s_mov_b64 s[4:5], -1
                                        ; implicit-def: $sgpr10
	s_and_saveexec_b64 s[8:9], s[12:13]
; %bb.2278:
	s_mov_b32 s10, 0x7f800001
	s_xor_b64 s[4:5], exec, -1
; %bb.2279:
	s_or_b64 exec, exec, s[8:9]
	s_and_b64 s[4:5], s[4:5], exec
	s_or_saveexec_b64 s[6:7], s[6:7]
	v_mov_b32_e32 v3, s10
	s_xor_b64 exec, exec, s[6:7]
	s_cbranch_execz .LBB37_230
.LBB37_2280:
	v_mov_b32_e32 v3, 0
	v_cmp_ne_u16_sdwa s[8:9], v5, v3 src0_sel:BYTE_0 src1_sel:DWORD
	s_andn2_b64 s[4:5], s[4:5], exec
	s_and_b64 s[8:9], s[8:9], exec
	s_or_b64 s[4:5], s[4:5], s[8:9]
	s_or_b64 exec, exec, s[6:7]
	s_and_saveexec_b64 s[6:7], s[4:5]
	s_cbranch_execnz .LBB37_231
	s_branch .LBB37_232
.LBB37_2281:
	s_movk_i32 s4, 0x80
	v_cmp_eq_u16_sdwa s[12:13], v3, s4 src0_sel:BYTE_0 src1_sel:DWORD
	s_mov_b64 s[4:5], -1
                                        ; implicit-def: $sgpr10
	s_and_saveexec_b64 s[8:9], s[12:13]
; %bb.2282:
	s_mov_b32 s10, 0x7f800001
	s_xor_b64 s[4:5], exec, -1
; %bb.2283:
	s_or_b64 exec, exec, s[8:9]
	s_and_b64 s[4:5], s[4:5], exec
	s_or_saveexec_b64 s[6:7], s[6:7]
	v_mov_b32_e32 v2, s10
	s_xor_b64 exec, exec, s[6:7]
	s_cbranch_execz .LBB37_234
.LBB37_2284:
	v_mov_b32_e32 v2, 0
	v_cmp_ne_u16_sdwa s[8:9], v3, v2 src0_sel:BYTE_0 src1_sel:DWORD
	s_andn2_b64 s[4:5], s[4:5], exec
	s_and_b64 s[8:9], s[8:9], exec
	s_or_b64 s[4:5], s[4:5], s[8:9]
	s_or_b64 exec, exec, s[6:7]
	s_and_saveexec_b64 s[6:7], s[4:5]
	s_cbranch_execnz .LBB37_235
	s_branch .LBB37_236
.LBB37_2285:
	s_movk_i32 s4, 0x80
	v_cmp_eq_u16_sdwa s[12:13], v3, s4 src0_sel:BYTE_0 src1_sel:DWORD
	s_mov_b64 s[4:5], -1
                                        ; implicit-def: $sgpr10
	s_and_saveexec_b64 s[8:9], s[12:13]
; %bb.2286:
	s_mov_b32 s10, 0x7f800001
	s_xor_b64 s[4:5], exec, -1
; %bb.2287:
	s_or_b64 exec, exec, s[8:9]
	s_and_b64 s[4:5], s[4:5], exec
	s_or_saveexec_b64 s[6:7], s[6:7]
	v_mov_b32_e32 v4, s10
	s_xor_b64 exec, exec, s[6:7]
	s_cbranch_execz .LBB37_238
.LBB37_2288:
	v_mov_b32_e32 v4, 0
	v_cmp_ne_u16_sdwa s[8:9], v3, v4 src0_sel:BYTE_0 src1_sel:DWORD
	s_andn2_b64 s[4:5], s[4:5], exec
	s_and_b64 s[8:9], s[8:9], exec
	s_or_b64 s[4:5], s[4:5], s[8:9]
	s_or_b64 exec, exec, s[6:7]
	s_and_saveexec_b64 s[6:7], s[4:5]
	s_cbranch_execnz .LBB37_239
	s_branch .LBB37_240
.LBB37_2289:
	s_movk_i32 s4, 0x80
	v_cmp_eq_u16_e32 vcc, s4, v3
	s_mov_b64 s[4:5], -1
                                        ; implicit-def: $sgpr10
	s_and_saveexec_b64 s[8:9], vcc
; %bb.2290:
	s_mov_b32 s10, 0x7f800001
	s_xor_b64 s[4:5], exec, -1
; %bb.2291:
	s_or_b64 exec, exec, s[8:9]
	s_and_b64 s[4:5], s[4:5], exec
                                        ; implicit-def: $vgpr3
	s_or_saveexec_b64 s[6:7], s[6:7]
	v_mov_b32_e32 v2, s10
	s_xor_b64 exec, exec, s[6:7]
	s_cbranch_execz .LBB37_242
.LBB37_2292:
	v_cmp_ne_u16_e32 vcc, 0, v3
	s_andn2_b64 s[4:5], s[4:5], exec
	s_and_b64 s[8:9], vcc, exec
	v_mov_b32_e32 v2, 0
	s_or_b64 s[4:5], s[4:5], s[8:9]
	s_or_b64 exec, exec, s[6:7]
	s_and_saveexec_b64 s[6:7], s[4:5]
	s_cbranch_execnz .LBB37_243
	s_branch .LBB37_244
.LBB37_2293:
	s_movk_i32 s4, 0x80
	v_cmp_eq_u16_e32 vcc, s4, v3
	s_mov_b64 s[4:5], -1
                                        ; implicit-def: $sgpr10
	s_and_saveexec_b64 s[8:9], vcc
; %bb.2294:
	s_mov_b32 s10, 0x7f800001
	s_xor_b64 s[4:5], exec, -1
; %bb.2295:
	s_or_b64 exec, exec, s[8:9]
	s_and_b64 s[4:5], s[4:5], exec
                                        ; implicit-def: $vgpr3
	s_or_saveexec_b64 s[6:7], s[6:7]
	v_mov_b32_e32 v4, s10
	s_xor_b64 exec, exec, s[6:7]
	s_cbranch_execz .LBB37_246
.LBB37_2296:
	v_cmp_ne_u16_e32 vcc, 0, v3
	s_andn2_b64 s[4:5], s[4:5], exec
	s_and_b64 s[8:9], vcc, exec
	v_mov_b32_e32 v4, 0
	s_or_b64 s[4:5], s[4:5], s[8:9]
	s_or_b64 exec, exec, s[6:7]
	s_and_saveexec_b64 s[6:7], s[4:5]
	s_cbranch_execnz .LBB37_247
	s_branch .LBB37_248
.LBB37_2297:
	s_movk_i32 s4, 0x80
	v_cmp_eq_u16_sdwa s[12:13], v9, s4 src0_sel:BYTE_3 src1_sel:DWORD
	s_mov_b64 s[4:5], -1
                                        ; implicit-def: $sgpr10
	s_and_saveexec_b64 s[8:9], s[12:13]
; %bb.2298:
	s_mov_b32 s10, 0x7f800001
	s_xor_b64 s[4:5], exec, -1
; %bb.2299:
	s_or_b64 exec, exec, s[8:9]
	s_and_b64 s[4:5], s[4:5], exec
	s_or_saveexec_b64 s[6:7], s[6:7]
	v_mov_b32_e32 v2, s10
	s_xor_b64 exec, exec, s[6:7]
	s_cbranch_execz .LBB37_250
.LBB37_2300:
	v_mov_b32_e32 v2, 0
	v_cmp_ne_u16_sdwa s[8:9], v9, v2 src0_sel:BYTE_3 src1_sel:DWORD
	s_andn2_b64 s[4:5], s[4:5], exec
	s_and_b64 s[8:9], s[8:9], exec
	s_or_b64 s[4:5], s[4:5], s[8:9]
	s_or_b64 exec, exec, s[6:7]
	s_and_saveexec_b64 s[6:7], s[4:5]
	s_cbranch_execnz .LBB37_251
	s_branch .LBB37_252
.LBB37_2301:
	s_movk_i32 s4, 0x80
	v_cmp_eq_u16_sdwa s[12:13], v5, s4 src0_sel:BYTE_3 src1_sel:DWORD
	s_mov_b64 s[4:5], -1
                                        ; implicit-def: $sgpr10
	s_and_saveexec_b64 s[8:9], s[12:13]
; %bb.2302:
	s_mov_b32 s10, 0x7f800001
	s_xor_b64 s[4:5], exec, -1
; %bb.2303:
	s_or_b64 exec, exec, s[8:9]
	s_and_b64 s[4:5], s[4:5], exec
	s_or_saveexec_b64 s[6:7], s[6:7]
	v_mov_b32_e32 v3, s10
	s_xor_b64 exec, exec, s[6:7]
	s_cbranch_execz .LBB37_254
.LBB37_2304:
	v_mov_b32_e32 v3, 0
	v_cmp_ne_u16_sdwa s[8:9], v5, v3 src0_sel:BYTE_3 src1_sel:DWORD
	s_andn2_b64 s[4:5], s[4:5], exec
	s_and_b64 s[8:9], s[8:9], exec
	s_or_b64 s[4:5], s[4:5], s[8:9]
	s_or_b64 exec, exec, s[6:7]
	s_and_saveexec_b64 s[6:7], s[4:5]
	s_cbranch_execnz .LBB37_255
	s_branch .LBB37_256
.LBB37_2305:
	s_movk_i32 s4, 0x80
	v_cmp_eq_u16_sdwa s[12:13], v14, s4 src0_sel:BYTE_0 src1_sel:DWORD
	s_mov_b64 s[4:5], -1
                                        ; implicit-def: $sgpr10
	s_and_saveexec_b64 s[8:9], s[12:13]
; %bb.2306:
	s_mov_b32 s10, 0x7f800001
	s_xor_b64 s[4:5], exec, -1
; %bb.2307:
	s_or_b64 exec, exec, s[8:9]
	s_and_b64 s[4:5], s[4:5], exec
	s_or_saveexec_b64 s[6:7], s[6:7]
	v_mov_b32_e32 v20, s10
	s_xor_b64 exec, exec, s[6:7]
	s_cbranch_execz .LBB37_258
.LBB37_2308:
	v_mov_b32_e32 v20, 0
	v_cmp_ne_u16_sdwa s[8:9], v14, v20 src0_sel:BYTE_0 src1_sel:DWORD
	s_andn2_b64 s[4:5], s[4:5], exec
	s_and_b64 s[8:9], s[8:9], exec
	s_or_b64 s[4:5], s[4:5], s[8:9]
	s_or_b64 exec, exec, s[6:7]
	s_and_saveexec_b64 s[6:7], s[4:5]
	s_cbranch_execnz .LBB37_259
	s_branch .LBB37_260
.LBB37_2309:
	s_movk_i32 s4, 0x80
	v_cmp_eq_u16_sdwa s[12:13], v10, s4 src0_sel:BYTE_0 src1_sel:DWORD
	s_mov_b64 s[4:5], -1
                                        ; implicit-def: $sgpr10
	s_and_saveexec_b64 s[8:9], s[12:13]
; %bb.2310:
	s_mov_b32 s10, 0x7f800001
	s_xor_b64 s[4:5], exec, -1
; %bb.2311:
	s_or_b64 exec, exec, s[8:9]
	s_and_b64 s[4:5], s[4:5], exec
	s_or_saveexec_b64 s[6:7], s[6:7]
	v_mov_b32_e32 v21, s10
	s_xor_b64 exec, exec, s[6:7]
	s_cbranch_execz .LBB37_262
.LBB37_2312:
	v_mov_b32_e32 v21, 0
	v_cmp_ne_u16_sdwa s[8:9], v10, v21 src0_sel:BYTE_0 src1_sel:DWORD
	s_andn2_b64 s[4:5], s[4:5], exec
	s_and_b64 s[8:9], s[8:9], exec
	s_or_b64 s[4:5], s[4:5], s[8:9]
	s_or_b64 exec, exec, s[6:7]
	s_and_saveexec_b64 s[6:7], s[4:5]
	s_cbranch_execnz .LBB37_263
	s_branch .LBB37_264
.LBB37_2313:
	s_movk_i32 s4, 0x80
	v_cmp_eq_u16_sdwa s[12:13], v21, s4 src0_sel:BYTE_0 src1_sel:DWORD
	s_mov_b64 s[4:5], -1
                                        ; implicit-def: $sgpr10
	s_and_saveexec_b64 s[8:9], s[12:13]
; %bb.2314:
	s_mov_b32 s10, 0x7f800001
	s_xor_b64 s[4:5], exec, -1
; %bb.2315:
	s_or_b64 exec, exec, s[8:9]
	s_and_b64 s[4:5], s[4:5], exec
	s_or_saveexec_b64 s[6:7], s[6:7]
	v_mov_b32_e32 v20, s10
	s_xor_b64 exec, exec, s[6:7]
	s_cbranch_execz .LBB37_266
.LBB37_2316:
	v_mov_b32_e32 v20, 0
	v_cmp_ne_u16_sdwa s[8:9], v21, v20 src0_sel:BYTE_0 src1_sel:DWORD
	s_andn2_b64 s[4:5], s[4:5], exec
	s_and_b64 s[8:9], s[8:9], exec
	s_or_b64 s[4:5], s[4:5], s[8:9]
	s_or_b64 exec, exec, s[6:7]
	s_and_saveexec_b64 s[6:7], s[4:5]
	s_cbranch_execnz .LBB37_267
	s_branch .LBB37_268
.LBB37_2317:
	s_movk_i32 s4, 0x80
	v_cmp_eq_u16_sdwa s[12:13], v21, s4 src0_sel:BYTE_0 src1_sel:DWORD
	s_mov_b64 s[4:5], -1
                                        ; implicit-def: $sgpr10
	s_and_saveexec_b64 s[8:9], s[12:13]
; %bb.2318:
	s_mov_b32 s10, 0x7f800001
	s_xor_b64 s[4:5], exec, -1
; %bb.2319:
	s_or_b64 exec, exec, s[8:9]
	s_and_b64 s[4:5], s[4:5], exec
	s_or_saveexec_b64 s[6:7], s[6:7]
	v_mov_b32_e32 v22, s10
	s_xor_b64 exec, exec, s[6:7]
	s_cbranch_execz .LBB37_270
.LBB37_2320:
	v_mov_b32_e32 v22, 0
	v_cmp_ne_u16_sdwa s[8:9], v21, v22 src0_sel:BYTE_0 src1_sel:DWORD
	s_andn2_b64 s[4:5], s[4:5], exec
	s_and_b64 s[8:9], s[8:9], exec
	s_or_b64 s[4:5], s[4:5], s[8:9]
	s_or_b64 exec, exec, s[6:7]
	s_and_saveexec_b64 s[6:7], s[4:5]
	s_cbranch_execnz .LBB37_271
	s_branch .LBB37_272
.LBB37_2321:
	s_movk_i32 s4, 0x80
	v_cmp_eq_u16_e32 vcc, s4, v21
	s_mov_b64 s[4:5], -1
                                        ; implicit-def: $sgpr10
	s_and_saveexec_b64 s[8:9], vcc
; %bb.2322:
	s_mov_b32 s10, 0x7f800001
	s_xor_b64 s[4:5], exec, -1
; %bb.2323:
	s_or_b64 exec, exec, s[8:9]
	s_and_b64 s[4:5], s[4:5], exec
                                        ; implicit-def: $vgpr21
	s_or_saveexec_b64 s[6:7], s[6:7]
	v_mov_b32_e32 v20, s10
	s_xor_b64 exec, exec, s[6:7]
	s_cbranch_execz .LBB37_274
.LBB37_2324:
	v_cmp_ne_u16_e32 vcc, 0, v21
	s_andn2_b64 s[4:5], s[4:5], exec
	s_and_b64 s[8:9], vcc, exec
	v_mov_b32_e32 v20, 0
	s_or_b64 s[4:5], s[4:5], s[8:9]
	s_or_b64 exec, exec, s[6:7]
	s_and_saveexec_b64 s[6:7], s[4:5]
	s_cbranch_execnz .LBB37_275
	s_branch .LBB37_276
.LBB37_2325:
	s_movk_i32 s4, 0x80
	v_cmp_eq_u16_e32 vcc, s4, v21
	s_mov_b64 s[4:5], -1
                                        ; implicit-def: $sgpr10
	s_and_saveexec_b64 s[8:9], vcc
; %bb.2326:
	s_mov_b32 s10, 0x7f800001
	s_xor_b64 s[4:5], exec, -1
; %bb.2327:
	s_or_b64 exec, exec, s[8:9]
	s_and_b64 s[4:5], s[4:5], exec
                                        ; implicit-def: $vgpr21
	s_or_saveexec_b64 s[6:7], s[6:7]
	v_mov_b32_e32 v22, s10
	s_xor_b64 exec, exec, s[6:7]
	s_cbranch_execz .LBB37_278
.LBB37_2328:
	v_cmp_ne_u16_e32 vcc, 0, v21
	s_andn2_b64 s[4:5], s[4:5], exec
	s_and_b64 s[8:9], vcc, exec
	v_mov_b32_e32 v22, 0
	s_or_b64 s[4:5], s[4:5], s[8:9]
	s_or_b64 exec, exec, s[6:7]
	s_and_saveexec_b64 s[6:7], s[4:5]
	s_cbranch_execnz .LBB37_279
	s_branch .LBB37_280
.LBB37_2329:
	s_movk_i32 s4, 0x80
	v_cmp_eq_u16_sdwa s[12:13], v14, s4 src0_sel:BYTE_3 src1_sel:DWORD
	s_mov_b64 s[4:5], -1
                                        ; implicit-def: $sgpr10
	s_and_saveexec_b64 s[8:9], s[12:13]
; %bb.2330:
	s_mov_b32 s10, 0x7f800001
	s_xor_b64 s[4:5], exec, -1
; %bb.2331:
	s_or_b64 exec, exec, s[8:9]
	s_and_b64 s[4:5], s[4:5], exec
	s_or_saveexec_b64 s[6:7], s[6:7]
	v_mov_b32_e32 v20, s10
	s_xor_b64 exec, exec, s[6:7]
	s_cbranch_execz .LBB37_282
.LBB37_2332:
	v_mov_b32_e32 v20, 0
	v_cmp_ne_u16_sdwa s[8:9], v14, v20 src0_sel:BYTE_3 src1_sel:DWORD
	s_andn2_b64 s[4:5], s[4:5], exec
	s_and_b64 s[8:9], s[8:9], exec
	s_or_b64 s[4:5], s[4:5], s[8:9]
	s_or_b64 exec, exec, s[6:7]
	s_and_saveexec_b64 s[6:7], s[4:5]
	s_cbranch_execnz .LBB37_283
	s_branch .LBB37_284
.LBB37_2333:
	s_movk_i32 s4, 0x80
	v_cmp_eq_u16_sdwa s[12:13], v10, s4 src0_sel:BYTE_3 src1_sel:DWORD
	s_mov_b64 s[4:5], -1
                                        ; implicit-def: $sgpr10
	s_and_saveexec_b64 s[8:9], s[12:13]
; %bb.2334:
	s_mov_b32 s10, 0x7f800001
	s_xor_b64 s[4:5], exec, -1
; %bb.2335:
	s_or_b64 exec, exec, s[8:9]
	s_and_b64 s[4:5], s[4:5], exec
	s_or_saveexec_b64 s[6:7], s[6:7]
	v_mov_b32_e32 v14, s10
	s_xor_b64 exec, exec, s[6:7]
	s_cbranch_execz .LBB37_286
.LBB37_2336:
	v_mov_b32_e32 v14, 0
	v_cmp_ne_u16_sdwa s[8:9], v10, v14 src0_sel:BYTE_3 src1_sel:DWORD
	s_andn2_b64 s[4:5], s[4:5], exec
	s_and_b64 s[8:9], s[8:9], exec
	s_or_b64 s[4:5], s[4:5], s[8:9]
	s_or_b64 exec, exec, s[6:7]
	s_and_saveexec_b64 s[6:7], s[4:5]
	s_cbranch_execnz .LBB37_287
	s_branch .LBB37_288
.LBB37_2337:
	s_movk_i32 s4, 0x80
	v_cmp_eq_u16_sdwa s[12:13], v15, s4 src0_sel:BYTE_0 src1_sel:DWORD
	s_mov_b64 s[4:5], -1
                                        ; implicit-def: $sgpr10
	s_and_saveexec_b64 s[8:9], s[12:13]
; %bb.2338:
	s_mov_b32 s10, 0x7f800001
	s_xor_b64 s[4:5], exec, -1
; %bb.2339:
	s_or_b64 exec, exec, s[8:9]
	s_and_b64 s[4:5], s[4:5], exec
	s_or_saveexec_b64 s[6:7], s[6:7]
	v_mov_b32_e32 v10, s10
	s_xor_b64 exec, exec, s[6:7]
	s_cbranch_execz .LBB37_290
.LBB37_2340:
	v_mov_b32_e32 v10, 0
	v_cmp_ne_u16_sdwa s[8:9], v15, v10 src0_sel:BYTE_0 src1_sel:DWORD
	s_andn2_b64 s[4:5], s[4:5], exec
	s_and_b64 s[8:9], s[8:9], exec
	s_or_b64 s[4:5], s[4:5], s[8:9]
	s_or_b64 exec, exec, s[6:7]
	s_and_saveexec_b64 s[6:7], s[4:5]
	s_cbranch_execnz .LBB37_291
	s_branch .LBB37_292
.LBB37_2341:
	s_movk_i32 s4, 0x80
	v_cmp_eq_u16_sdwa s[12:13], v11, s4 src0_sel:BYTE_0 src1_sel:DWORD
	s_mov_b64 s[4:5], -1
                                        ; implicit-def: $sgpr10
	s_and_saveexec_b64 s[8:9], s[12:13]
; %bb.2342:
	s_mov_b32 s10, 0x7f800001
	s_xor_b64 s[4:5], exec, -1
; %bb.2343:
	s_or_b64 exec, exec, s[8:9]
	s_and_b64 s[4:5], s[4:5], exec
	s_or_saveexec_b64 s[6:7], s[6:7]
	v_mov_b32_e32 v14, s10
	s_xor_b64 exec, exec, s[6:7]
	s_cbranch_execz .LBB37_294
.LBB37_2344:
	v_mov_b32_e32 v14, 0
	v_cmp_ne_u16_sdwa s[8:9], v11, v14 src0_sel:BYTE_0 src1_sel:DWORD
	s_andn2_b64 s[4:5], s[4:5], exec
	s_and_b64 s[8:9], s[8:9], exec
	s_or_b64 s[4:5], s[4:5], s[8:9]
	s_or_b64 exec, exec, s[6:7]
	s_and_saveexec_b64 s[6:7], s[4:5]
	s_cbranch_execnz .LBB37_295
	s_branch .LBB37_296
.LBB37_2345:
	s_movk_i32 s4, 0x80
	v_cmp_eq_u16_sdwa s[12:13], v14, s4 src0_sel:BYTE_0 src1_sel:DWORD
	s_mov_b64 s[4:5], -1
                                        ; implicit-def: $sgpr10
	s_and_saveexec_b64 s[8:9], s[12:13]
; %bb.2346:
	s_mov_b32 s10, 0x7f800001
	s_xor_b64 s[4:5], exec, -1
; %bb.2347:
	s_or_b64 exec, exec, s[8:9]
	s_and_b64 s[4:5], s[4:5], exec
	s_or_saveexec_b64 s[6:7], s[6:7]
	v_mov_b32_e32 v10, s10
	s_xor_b64 exec, exec, s[6:7]
	s_cbranch_execz .LBB37_298
.LBB37_2348:
	v_mov_b32_e32 v10, 0
	v_cmp_ne_u16_sdwa s[8:9], v14, v10 src0_sel:BYTE_0 src1_sel:DWORD
	s_andn2_b64 s[4:5], s[4:5], exec
	s_and_b64 s[8:9], s[8:9], exec
	s_or_b64 s[4:5], s[4:5], s[8:9]
	s_or_b64 exec, exec, s[6:7]
	s_and_saveexec_b64 s[6:7], s[4:5]
	s_cbranch_execnz .LBB37_299
	s_branch .LBB37_300
.LBB37_2349:
	s_movk_i32 s4, 0x80
	v_cmp_eq_u16_sdwa s[12:13], v14, s4 src0_sel:BYTE_0 src1_sel:DWORD
	s_mov_b64 s[4:5], -1
                                        ; implicit-def: $sgpr10
	s_and_saveexec_b64 s[8:9], s[12:13]
; %bb.2350:
	s_mov_b32 s10, 0x7f800001
	s_xor_b64 s[4:5], exec, -1
; %bb.2351:
	s_or_b64 exec, exec, s[8:9]
	s_and_b64 s[4:5], s[4:5], exec
	s_or_saveexec_b64 s[6:7], s[6:7]
	v_mov_b32_e32 v20, s10
	s_xor_b64 exec, exec, s[6:7]
	s_cbranch_execz .LBB37_302
.LBB37_2352:
	v_mov_b32_e32 v20, 0
	v_cmp_ne_u16_sdwa s[8:9], v14, v20 src0_sel:BYTE_0 src1_sel:DWORD
	s_andn2_b64 s[4:5], s[4:5], exec
	s_and_b64 s[8:9], s[8:9], exec
	s_or_b64 s[4:5], s[4:5], s[8:9]
	s_or_b64 exec, exec, s[6:7]
	s_and_saveexec_b64 s[6:7], s[4:5]
	s_cbranch_execnz .LBB37_303
	s_branch .LBB37_304
.LBB37_2353:
	s_movk_i32 s4, 0x80
	v_cmp_eq_u16_e32 vcc, s4, v14
	s_mov_b64 s[4:5], -1
                                        ; implicit-def: $sgpr10
	s_and_saveexec_b64 s[8:9], vcc
; %bb.2354:
	s_mov_b32 s10, 0x7f800001
	s_xor_b64 s[4:5], exec, -1
; %bb.2355:
	s_or_b64 exec, exec, s[8:9]
	s_and_b64 s[4:5], s[4:5], exec
                                        ; implicit-def: $vgpr14
	s_or_saveexec_b64 s[6:7], s[6:7]
	v_mov_b32_e32 v10, s10
	s_xor_b64 exec, exec, s[6:7]
	s_cbranch_execz .LBB37_306
.LBB37_2356:
	v_cmp_ne_u16_e32 vcc, 0, v14
	s_andn2_b64 s[4:5], s[4:5], exec
	s_and_b64 s[8:9], vcc, exec
	v_mov_b32_e32 v10, 0
	s_or_b64 s[4:5], s[4:5], s[8:9]
	s_or_b64 exec, exec, s[6:7]
	s_and_saveexec_b64 s[6:7], s[4:5]
	s_cbranch_execnz .LBB37_307
	s_branch .LBB37_308
.LBB37_2357:
	s_movk_i32 s4, 0x80
	v_cmp_eq_u16_e32 vcc, s4, v14
	s_mov_b64 s[4:5], -1
                                        ; implicit-def: $sgpr10
	s_and_saveexec_b64 s[8:9], vcc
; %bb.2358:
	s_mov_b32 s10, 0x7f800001
	s_xor_b64 s[4:5], exec, -1
; %bb.2359:
	s_or_b64 exec, exec, s[8:9]
	s_and_b64 s[4:5], s[4:5], exec
                                        ; implicit-def: $vgpr14
	s_or_saveexec_b64 s[6:7], s[6:7]
	v_mov_b32_e32 v20, s10
	s_xor_b64 exec, exec, s[6:7]
	s_cbranch_execz .LBB37_310
.LBB37_2360:
	v_cmp_ne_u16_e32 vcc, 0, v14
	s_andn2_b64 s[4:5], s[4:5], exec
	s_and_b64 s[8:9], vcc, exec
	v_mov_b32_e32 v20, 0
	s_or_b64 s[4:5], s[4:5], s[8:9]
	s_or_b64 exec, exec, s[6:7]
	s_and_saveexec_b64 s[6:7], s[4:5]
	s_cbranch_execnz .LBB37_311
	s_branch .LBB37_312
.LBB37_2361:
	s_movk_i32 s4, 0x80
	v_cmp_eq_u16_sdwa s[12:13], v15, s4 src0_sel:BYTE_3 src1_sel:DWORD
	s_mov_b64 s[4:5], -1
                                        ; implicit-def: $sgpr10
	s_and_saveexec_b64 s[8:9], s[12:13]
; %bb.2362:
	s_mov_b32 s10, 0x7f800001
	s_xor_b64 s[4:5], exec, -1
; %bb.2363:
	s_or_b64 exec, exec, s[8:9]
	s_and_b64 s[4:5], s[4:5], exec
	s_or_saveexec_b64 s[6:7], s[6:7]
	v_mov_b32_e32 v10, s10
	s_xor_b64 exec, exec, s[6:7]
	s_cbranch_execz .LBB37_314
.LBB37_2364:
	v_mov_b32_e32 v10, 0
	v_cmp_ne_u16_sdwa s[8:9], v15, v10 src0_sel:BYTE_3 src1_sel:DWORD
	s_andn2_b64 s[4:5], s[4:5], exec
	s_and_b64 s[8:9], s[8:9], exec
	s_or_b64 s[4:5], s[4:5], s[8:9]
	s_or_b64 exec, exec, s[6:7]
	s_and_saveexec_b64 s[6:7], s[4:5]
	s_cbranch_execnz .LBB37_315
	s_branch .LBB37_316
.LBB37_2365:
	s_movk_i32 s4, 0x80
	v_cmp_eq_u16_sdwa s[12:13], v11, s4 src0_sel:BYTE_3 src1_sel:DWORD
	s_mov_b64 s[4:5], -1
                                        ; implicit-def: $sgpr10
	s_and_saveexec_b64 s[8:9], s[12:13]
; %bb.2366:
	s_mov_b32 s10, 0x7f800001
	s_xor_b64 s[4:5], exec, -1
; %bb.2367:
	s_or_b64 exec, exec, s[8:9]
	s_and_b64 s[4:5], s[4:5], exec
	s_or_saveexec_b64 s[6:7], s[6:7]
	v_mov_b32_e32 v14, s10
	s_xor_b64 exec, exec, s[6:7]
	s_cbranch_execz .LBB37_318
.LBB37_2368:
	v_mov_b32_e32 v14, 0
	v_cmp_ne_u16_sdwa s[8:9], v11, v14 src0_sel:BYTE_3 src1_sel:DWORD
	s_andn2_b64 s[4:5], s[4:5], exec
	s_and_b64 s[8:9], s[8:9], exec
	s_or_b64 s[4:5], s[4:5], s[8:9]
	s_or_b64 exec, exec, s[6:7]
	s_and_saveexec_b64 s[6:7], s[4:5]
	s_cbranch_execnz .LBB37_319
	s_branch .LBB37_320
.LBB37_2369:
	s_movk_i32 s4, 0x80
	v_cmp_eq_u16_sdwa s[12:13], v16, s4 src0_sel:BYTE_0 src1_sel:DWORD
	s_mov_b64 s[4:5], -1
                                        ; implicit-def: $sgpr10
	s_and_saveexec_b64 s[8:9], s[12:13]
; %bb.2370:
	s_mov_b32 s10, 0x7f800001
	s_xor_b64 s[4:5], exec, -1
; %bb.2371:
	s_or_b64 exec, exec, s[8:9]
	s_and_b64 s[4:5], s[4:5], exec
	s_or_saveexec_b64 s[6:7], s[6:7]
	v_mov_b32_e32 v10, s10
	s_xor_b64 exec, exec, s[6:7]
	s_cbranch_execz .LBB37_322
.LBB37_2372:
	v_mov_b32_e32 v10, 0
	v_cmp_ne_u16_sdwa s[8:9], v16, v10 src0_sel:BYTE_0 src1_sel:DWORD
	s_andn2_b64 s[4:5], s[4:5], exec
	s_and_b64 s[8:9], s[8:9], exec
	s_or_b64 s[4:5], s[4:5], s[8:9]
	s_or_b64 exec, exec, s[6:7]
	s_and_saveexec_b64 s[6:7], s[4:5]
	s_cbranch_execnz .LBB37_323
	s_branch .LBB37_324
.LBB37_2373:
	s_movk_i32 s4, 0x80
	v_cmp_eq_u16_sdwa s[12:13], v12, s4 src0_sel:BYTE_0 src1_sel:DWORD
	s_mov_b64 s[4:5], -1
                                        ; implicit-def: $sgpr10
	s_and_saveexec_b64 s[8:9], s[12:13]
; %bb.2374:
	s_mov_b32 s10, 0x7f800001
	s_xor_b64 s[4:5], exec, -1
; %bb.2375:
	s_or_b64 exec, exec, s[8:9]
	s_and_b64 s[4:5], s[4:5], exec
	s_or_saveexec_b64 s[6:7], s[6:7]
	v_mov_b32_e32 v11, s10
	s_xor_b64 exec, exec, s[6:7]
	s_cbranch_execz .LBB37_326
.LBB37_2376:
	v_mov_b32_e32 v11, 0
	v_cmp_ne_u16_sdwa s[8:9], v12, v11 src0_sel:BYTE_0 src1_sel:DWORD
	s_andn2_b64 s[4:5], s[4:5], exec
	s_and_b64 s[8:9], s[8:9], exec
	s_or_b64 s[4:5], s[4:5], s[8:9]
	s_or_b64 exec, exec, s[6:7]
	s_and_saveexec_b64 s[6:7], s[4:5]
	s_cbranch_execnz .LBB37_327
	s_branch .LBB37_328
.LBB37_2377:
	s_movk_i32 s4, 0x80
	v_cmp_eq_u16_sdwa s[12:13], v11, s4 src0_sel:BYTE_0 src1_sel:DWORD
	s_mov_b64 s[4:5], -1
                                        ; implicit-def: $sgpr10
	s_and_saveexec_b64 s[8:9], s[12:13]
; %bb.2378:
	s_mov_b32 s10, 0x7f800001
	s_xor_b64 s[4:5], exec, -1
; %bb.2379:
	s_or_b64 exec, exec, s[8:9]
	s_and_b64 s[4:5], s[4:5], exec
	s_or_saveexec_b64 s[6:7], s[6:7]
	v_mov_b32_e32 v10, s10
	s_xor_b64 exec, exec, s[6:7]
	s_cbranch_execz .LBB37_330
.LBB37_2380:
	v_mov_b32_e32 v10, 0
	v_cmp_ne_u16_sdwa s[8:9], v11, v10 src0_sel:BYTE_0 src1_sel:DWORD
	s_andn2_b64 s[4:5], s[4:5], exec
	s_and_b64 s[8:9], s[8:9], exec
	s_or_b64 s[4:5], s[4:5], s[8:9]
	s_or_b64 exec, exec, s[6:7]
	s_and_saveexec_b64 s[6:7], s[4:5]
	s_cbranch_execnz .LBB37_331
	s_branch .LBB37_332
.LBB37_2381:
	s_movk_i32 s4, 0x80
	v_cmp_eq_u16_sdwa s[12:13], v11, s4 src0_sel:BYTE_0 src1_sel:DWORD
	s_mov_b64 s[4:5], -1
                                        ; implicit-def: $sgpr10
	s_and_saveexec_b64 s[8:9], s[12:13]
; %bb.2382:
	s_mov_b32 s10, 0x7f800001
	s_xor_b64 s[4:5], exec, -1
; %bb.2383:
	s_or_b64 exec, exec, s[8:9]
	s_and_b64 s[4:5], s[4:5], exec
	s_or_saveexec_b64 s[6:7], s[6:7]
	v_mov_b32_e32 v14, s10
	s_xor_b64 exec, exec, s[6:7]
	s_cbranch_execz .LBB37_334
.LBB37_2384:
	v_mov_b32_e32 v14, 0
	v_cmp_ne_u16_sdwa s[8:9], v11, v14 src0_sel:BYTE_0 src1_sel:DWORD
	s_andn2_b64 s[4:5], s[4:5], exec
	s_and_b64 s[8:9], s[8:9], exec
	s_or_b64 s[4:5], s[4:5], s[8:9]
	s_or_b64 exec, exec, s[6:7]
	s_and_saveexec_b64 s[6:7], s[4:5]
	s_cbranch_execnz .LBB37_335
	s_branch .LBB37_336
.LBB37_2385:
	s_movk_i32 s4, 0x80
	v_cmp_eq_u16_e32 vcc, s4, v11
	s_mov_b64 s[4:5], -1
                                        ; implicit-def: $sgpr10
	s_and_saveexec_b64 s[8:9], vcc
; %bb.2386:
	s_mov_b32 s10, 0x7f800001
	s_xor_b64 s[4:5], exec, -1
; %bb.2387:
	s_or_b64 exec, exec, s[8:9]
	s_and_b64 s[4:5], s[4:5], exec
                                        ; implicit-def: $vgpr11
	s_or_saveexec_b64 s[6:7], s[6:7]
	v_mov_b32_e32 v10, s10
	s_xor_b64 exec, exec, s[6:7]
	s_cbranch_execz .LBB37_338
.LBB37_2388:
	v_cmp_ne_u16_e32 vcc, 0, v11
	s_andn2_b64 s[4:5], s[4:5], exec
	s_and_b64 s[8:9], vcc, exec
	v_mov_b32_e32 v10, 0
	s_or_b64 s[4:5], s[4:5], s[8:9]
	s_or_b64 exec, exec, s[6:7]
	s_and_saveexec_b64 s[6:7], s[4:5]
	s_cbranch_execnz .LBB37_339
	s_branch .LBB37_340
.LBB37_2389:
	s_movk_i32 s4, 0x80
	v_cmp_eq_u16_e32 vcc, s4, v11
	s_mov_b64 s[4:5], -1
                                        ; implicit-def: $sgpr10
	s_and_saveexec_b64 s[8:9], vcc
; %bb.2390:
	s_mov_b32 s10, 0x7f800001
	s_xor_b64 s[4:5], exec, -1
; %bb.2391:
	s_or_b64 exec, exec, s[8:9]
	s_and_b64 s[4:5], s[4:5], exec
                                        ; implicit-def: $vgpr11
	s_or_saveexec_b64 s[6:7], s[6:7]
	v_mov_b32_e32 v14, s10
	s_xor_b64 exec, exec, s[6:7]
	s_cbranch_execz .LBB37_342
.LBB37_2392:
	v_cmp_ne_u16_e32 vcc, 0, v11
	s_andn2_b64 s[4:5], s[4:5], exec
	s_and_b64 s[8:9], vcc, exec
	v_mov_b32_e32 v14, 0
	s_or_b64 s[4:5], s[4:5], s[8:9]
	s_or_b64 exec, exec, s[6:7]
	s_and_saveexec_b64 s[6:7], s[4:5]
	s_cbranch_execnz .LBB37_343
	s_branch .LBB37_344
.LBB37_2393:
	s_movk_i32 s4, 0x80
	v_cmp_eq_u16_sdwa s[12:13], v16, s4 src0_sel:BYTE_3 src1_sel:DWORD
	s_mov_b64 s[4:5], -1
                                        ; implicit-def: $sgpr10
	s_and_saveexec_b64 s[8:9], s[12:13]
; %bb.2394:
	s_mov_b32 s10, 0x7f800001
	s_xor_b64 s[4:5], exec, -1
; %bb.2395:
	s_or_b64 exec, exec, s[8:9]
	s_and_b64 s[4:5], s[4:5], exec
	s_or_saveexec_b64 s[6:7], s[6:7]
	v_mov_b32_e32 v10, s10
	s_xor_b64 exec, exec, s[6:7]
	s_cbranch_execz .LBB37_346
.LBB37_2396:
	v_mov_b32_e32 v10, 0
	v_cmp_ne_u16_sdwa s[8:9], v16, v10 src0_sel:BYTE_3 src1_sel:DWORD
	s_andn2_b64 s[4:5], s[4:5], exec
	s_and_b64 s[8:9], s[8:9], exec
	s_or_b64 s[4:5], s[4:5], s[8:9]
	s_or_b64 exec, exec, s[6:7]
	s_and_saveexec_b64 s[6:7], s[4:5]
	s_cbranch_execnz .LBB37_347
	s_branch .LBB37_348
.LBB37_2397:
	s_movk_i32 s4, 0x80
	v_cmp_eq_u16_sdwa s[12:13], v12, s4 src0_sel:BYTE_3 src1_sel:DWORD
	s_mov_b64 s[4:5], -1
                                        ; implicit-def: $sgpr10
	s_and_saveexec_b64 s[8:9], s[12:13]
; %bb.2398:
	s_mov_b32 s10, 0x7f800001
	s_xor_b64 s[4:5], exec, -1
; %bb.2399:
	s_or_b64 exec, exec, s[8:9]
	s_and_b64 s[4:5], s[4:5], exec
	s_or_saveexec_b64 s[6:7], s[6:7]
	v_mov_b32_e32 v11, s10
	s_xor_b64 exec, exec, s[6:7]
	s_cbranch_execz .LBB37_350
.LBB37_2400:
	v_mov_b32_e32 v11, 0
	v_cmp_ne_u16_sdwa s[8:9], v12, v11 src0_sel:BYTE_3 src1_sel:DWORD
	s_andn2_b64 s[4:5], s[4:5], exec
	s_and_b64 s[8:9], s[8:9], exec
	s_or_b64 s[4:5], s[4:5], s[8:9]
	s_or_b64 exec, exec, s[6:7]
	s_and_saveexec_b64 s[6:7], s[4:5]
	s_cbranch_execnz .LBB37_351
	s_branch .LBB37_352
.LBB37_2401:
	s_movk_i32 s4, 0x80
	v_cmp_eq_u16_sdwa s[12:13], v17, s4 src0_sel:BYTE_0 src1_sel:DWORD
	s_mov_b64 s[4:5], -1
                                        ; implicit-def: $sgpr10
	s_and_saveexec_b64 s[8:9], s[12:13]
; %bb.2402:
	s_mov_b32 s10, 0x7f800001
	s_xor_b64 s[4:5], exec, -1
; %bb.2403:
	s_or_b64 exec, exec, s[8:9]
	s_and_b64 s[4:5], s[4:5], exec
	s_or_saveexec_b64 s[6:7], s[6:7]
	v_mov_b32_e32 v10, s10
	s_xor_b64 exec, exec, s[6:7]
	s_cbranch_execz .LBB37_354
.LBB37_2404:
	v_mov_b32_e32 v10, 0
	v_cmp_ne_u16_sdwa s[8:9], v17, v10 src0_sel:BYTE_0 src1_sel:DWORD
	s_andn2_b64 s[4:5], s[4:5], exec
	s_and_b64 s[8:9], s[8:9], exec
	s_or_b64 s[4:5], s[4:5], s[8:9]
	s_or_b64 exec, exec, s[6:7]
	s_and_saveexec_b64 s[6:7], s[4:5]
	s_cbranch_execnz .LBB37_355
	s_branch .LBB37_356
.LBB37_2405:
	s_movk_i32 s4, 0x80
	v_cmp_eq_u16_sdwa s[12:13], v13, s4 src0_sel:BYTE_0 src1_sel:DWORD
	s_mov_b64 s[4:5], -1
                                        ; implicit-def: $sgpr10
	s_and_saveexec_b64 s[8:9], s[12:13]
; %bb.2406:
	s_mov_b32 s10, 0x7f800001
	s_xor_b64 s[4:5], exec, -1
; %bb.2407:
	s_or_b64 exec, exec, s[8:9]
	s_and_b64 s[4:5], s[4:5], exec
	s_or_saveexec_b64 s[6:7], s[6:7]
	v_mov_b32_e32 v11, s10
	s_xor_b64 exec, exec, s[6:7]
	s_cbranch_execz .LBB37_358
.LBB37_2408:
	v_mov_b32_e32 v11, 0
	v_cmp_ne_u16_sdwa s[8:9], v13, v11 src0_sel:BYTE_0 src1_sel:DWORD
	s_andn2_b64 s[4:5], s[4:5], exec
	s_and_b64 s[8:9], s[8:9], exec
	s_or_b64 s[4:5], s[4:5], s[8:9]
	s_or_b64 exec, exec, s[6:7]
	s_and_saveexec_b64 s[6:7], s[4:5]
	s_cbranch_execnz .LBB37_359
	s_branch .LBB37_360
.LBB37_2409:
	s_movk_i32 s4, 0x80
	v_cmp_eq_u16_sdwa s[12:13], v11, s4 src0_sel:BYTE_0 src1_sel:DWORD
	s_mov_b64 s[4:5], -1
                                        ; implicit-def: $sgpr10
	s_and_saveexec_b64 s[8:9], s[12:13]
; %bb.2410:
	s_mov_b32 s10, 0x7f800001
	s_xor_b64 s[4:5], exec, -1
; %bb.2411:
	s_or_b64 exec, exec, s[8:9]
	s_and_b64 s[4:5], s[4:5], exec
	s_or_saveexec_b64 s[6:7], s[6:7]
	v_mov_b32_e32 v10, s10
	s_xor_b64 exec, exec, s[6:7]
	s_cbranch_execz .LBB37_362
.LBB37_2412:
	v_mov_b32_e32 v10, 0
	v_cmp_ne_u16_sdwa s[8:9], v11, v10 src0_sel:BYTE_0 src1_sel:DWORD
	s_andn2_b64 s[4:5], s[4:5], exec
	s_and_b64 s[8:9], s[8:9], exec
	s_or_b64 s[4:5], s[4:5], s[8:9]
	s_or_b64 exec, exec, s[6:7]
	s_and_saveexec_b64 s[6:7], s[4:5]
	s_cbranch_execnz .LBB37_363
	s_branch .LBB37_364
.LBB37_2413:
	s_movk_i32 s4, 0x80
	v_cmp_eq_u16_sdwa s[12:13], v11, s4 src0_sel:BYTE_0 src1_sel:DWORD
	s_mov_b64 s[4:5], -1
                                        ; implicit-def: $sgpr10
	s_and_saveexec_b64 s[8:9], s[12:13]
; %bb.2414:
	s_mov_b32 s10, 0x7f800001
	s_xor_b64 s[4:5], exec, -1
; %bb.2415:
	s_or_b64 exec, exec, s[8:9]
	s_and_b64 s[4:5], s[4:5], exec
	s_or_saveexec_b64 s[6:7], s[6:7]
	v_mov_b32_e32 v12, s10
	s_xor_b64 exec, exec, s[6:7]
	s_cbranch_execz .LBB37_366
.LBB37_2416:
	v_mov_b32_e32 v12, 0
	v_cmp_ne_u16_sdwa s[8:9], v11, v12 src0_sel:BYTE_0 src1_sel:DWORD
	s_andn2_b64 s[4:5], s[4:5], exec
	s_and_b64 s[8:9], s[8:9], exec
	s_or_b64 s[4:5], s[4:5], s[8:9]
	s_or_b64 exec, exec, s[6:7]
	s_and_saveexec_b64 s[6:7], s[4:5]
	s_cbranch_execnz .LBB37_367
	s_branch .LBB37_368
.LBB37_2417:
	s_movk_i32 s4, 0x80
	v_cmp_eq_u16_e32 vcc, s4, v11
	s_mov_b64 s[4:5], -1
                                        ; implicit-def: $sgpr10
	s_and_saveexec_b64 s[8:9], vcc
; %bb.2418:
	s_mov_b32 s10, 0x7f800001
	s_xor_b64 s[4:5], exec, -1
; %bb.2419:
	s_or_b64 exec, exec, s[8:9]
	s_and_b64 s[4:5], s[4:5], exec
                                        ; implicit-def: $vgpr11
	s_or_saveexec_b64 s[6:7], s[6:7]
	v_mov_b32_e32 v10, s10
	s_xor_b64 exec, exec, s[6:7]
	s_cbranch_execz .LBB37_370
.LBB37_2420:
	v_cmp_ne_u16_e32 vcc, 0, v11
	s_andn2_b64 s[4:5], s[4:5], exec
	s_and_b64 s[8:9], vcc, exec
	v_mov_b32_e32 v10, 0
	s_or_b64 s[4:5], s[4:5], s[8:9]
	s_or_b64 exec, exec, s[6:7]
	s_and_saveexec_b64 s[6:7], s[4:5]
	s_cbranch_execnz .LBB37_371
	s_branch .LBB37_372
.LBB37_2421:
	s_movk_i32 s4, 0x80
	v_cmp_eq_u16_e32 vcc, s4, v11
	s_mov_b64 s[4:5], -1
                                        ; implicit-def: $sgpr10
	s_and_saveexec_b64 s[8:9], vcc
; %bb.2422:
	s_mov_b32 s10, 0x7f800001
	s_xor_b64 s[4:5], exec, -1
; %bb.2423:
	s_or_b64 exec, exec, s[8:9]
	s_and_b64 s[4:5], s[4:5], exec
                                        ; implicit-def: $vgpr11
	s_or_saveexec_b64 s[6:7], s[6:7]
	v_mov_b32_e32 v12, s10
	s_xor_b64 exec, exec, s[6:7]
	s_cbranch_execz .LBB37_374
.LBB37_2424:
	v_cmp_ne_u16_e32 vcc, 0, v11
	s_andn2_b64 s[4:5], s[4:5], exec
	s_and_b64 s[8:9], vcc, exec
	v_mov_b32_e32 v12, 0
	s_or_b64 s[4:5], s[4:5], s[8:9]
	s_or_b64 exec, exec, s[6:7]
	s_and_saveexec_b64 s[6:7], s[4:5]
	s_cbranch_execnz .LBB37_375
	s_branch .LBB37_376
.LBB37_2425:
	s_movk_i32 s4, 0x80
	v_cmp_eq_u16_sdwa s[12:13], v17, s4 src0_sel:BYTE_3 src1_sel:DWORD
	s_mov_b64 s[4:5], -1
                                        ; implicit-def: $sgpr10
	s_and_saveexec_b64 s[8:9], s[12:13]
; %bb.2426:
	s_mov_b32 s10, 0x7f800001
	s_xor_b64 s[4:5], exec, -1
; %bb.2427:
	s_or_b64 exec, exec, s[8:9]
	s_and_b64 s[4:5], s[4:5], exec
	s_or_saveexec_b64 s[6:7], s[6:7]
	v_mov_b32_e32 v10, s10
	s_xor_b64 exec, exec, s[6:7]
	s_cbranch_execz .LBB37_378
.LBB37_2428:
	v_mov_b32_e32 v10, 0
	v_cmp_ne_u16_sdwa s[8:9], v17, v10 src0_sel:BYTE_3 src1_sel:DWORD
	s_andn2_b64 s[4:5], s[4:5], exec
	s_and_b64 s[8:9], s[8:9], exec
	s_or_b64 s[4:5], s[4:5], s[8:9]
	s_or_b64 exec, exec, s[6:7]
	s_and_saveexec_b64 s[6:7], s[4:5]
	s_cbranch_execnz .LBB37_379
	s_branch .LBB37_380
.LBB37_2429:
	s_movk_i32 s4, 0x80
	v_cmp_eq_u16_sdwa s[12:13], v13, s4 src0_sel:BYTE_3 src1_sel:DWORD
	s_mov_b64 s[4:5], -1
                                        ; implicit-def: $sgpr10
	s_and_saveexec_b64 s[8:9], s[12:13]
; %bb.2430:
	s_mov_b32 s10, 0x7f800001
	s_xor_b64 s[4:5], exec, -1
; %bb.2431:
	s_or_b64 exec, exec, s[8:9]
	s_and_b64 s[4:5], s[4:5], exec
	s_or_saveexec_b64 s[6:7], s[6:7]
	v_mov_b32_e32 v11, s10
	s_xor_b64 exec, exec, s[6:7]
	s_cbranch_execz .LBB37_382
.LBB37_2432:
	v_mov_b32_e32 v11, 0
	v_cmp_ne_u16_sdwa s[8:9], v13, v11 src0_sel:BYTE_3 src1_sel:DWORD
	s_andn2_b64 s[4:5], s[4:5], exec
	s_and_b64 s[8:9], s[8:9], exec
	s_or_b64 s[4:5], s[4:5], s[8:9]
	s_or_b64 exec, exec, s[6:7]
	s_and_saveexec_b64 s[6:7], s[4:5]
	s_cbranch_execnz .LBB37_383
	s_branch .LBB37_384
.LBB37_2433:
	s_movk_i32 s4, 0x80
	v_cmp_eq_u16_sdwa s[12:13], v6, s4 src0_sel:BYTE_0 src1_sel:DWORD
	s_mov_b64 s[4:5], -1
                                        ; implicit-def: $sgpr10
	s_and_saveexec_b64 s[8:9], s[12:13]
; %bb.2434:
	s_mov_b32 s10, 0x7f800001
	s_xor_b64 s[4:5], exec, -1
; %bb.2435:
	s_or_b64 exec, exec, s[8:9]
	s_and_b64 s[4:5], s[4:5], exec
	s_or_saveexec_b64 s[6:7], s[6:7]
	v_mov_b32_e32 v10, s10
	s_xor_b64 exec, exec, s[6:7]
	s_cbranch_execz .LBB37_386
.LBB37_2436:
	v_mov_b32_e32 v10, 0
	v_cmp_ne_u16_sdwa s[8:9], v6, v10 src0_sel:BYTE_0 src1_sel:DWORD
	s_andn2_b64 s[4:5], s[4:5], exec
	s_and_b64 s[8:9], s[8:9], exec
	s_or_b64 s[4:5], s[4:5], s[8:9]
	s_or_b64 exec, exec, s[6:7]
	s_and_saveexec_b64 s[6:7], s[4:5]
	s_cbranch_execnz .LBB37_387
	s_branch .LBB37_388
.LBB37_2437:
	s_movk_i32 s4, 0x80
	v_cmp_eq_u16_sdwa s[12:13], v2, s4 src0_sel:BYTE_0 src1_sel:DWORD
	s_mov_b64 s[4:5], -1
                                        ; implicit-def: $sgpr10
	s_and_saveexec_b64 s[8:9], s[12:13]
; %bb.2438:
	s_mov_b32 s10, 0x7f800001
	s_xor_b64 s[4:5], exec, -1
; %bb.2439:
	s_or_b64 exec, exec, s[8:9]
	s_and_b64 s[4:5], s[4:5], exec
	s_or_saveexec_b64 s[6:7], s[6:7]
	v_mov_b32_e32 v11, s10
	s_xor_b64 exec, exec, s[6:7]
	s_cbranch_execz .LBB37_390
.LBB37_2440:
	v_mov_b32_e32 v11, 0
	v_cmp_ne_u16_sdwa s[8:9], v2, v11 src0_sel:BYTE_0 src1_sel:DWORD
	s_andn2_b64 s[4:5], s[4:5], exec
	s_and_b64 s[8:9], s[8:9], exec
	s_or_b64 s[4:5], s[4:5], s[8:9]
	s_or_b64 exec, exec, s[6:7]
	s_and_saveexec_b64 s[6:7], s[4:5]
	s_cbranch_execnz .LBB37_391
	s_branch .LBB37_392
.LBB37_2441:
	s_movk_i32 s4, 0x80
	v_cmp_eq_u16_sdwa s[12:13], v11, s4 src0_sel:BYTE_0 src1_sel:DWORD
	s_mov_b64 s[4:5], -1
                                        ; implicit-def: $sgpr10
	s_and_saveexec_b64 s[8:9], s[12:13]
; %bb.2442:
	s_mov_b32 s10, 0x7f800001
	s_xor_b64 s[4:5], exec, -1
; %bb.2443:
	s_or_b64 exec, exec, s[8:9]
	s_and_b64 s[4:5], s[4:5], exec
	s_or_saveexec_b64 s[6:7], s[6:7]
	v_mov_b32_e32 v10, s10
	s_xor_b64 exec, exec, s[6:7]
	s_cbranch_execz .LBB37_394
.LBB37_2444:
	v_mov_b32_e32 v10, 0
	v_cmp_ne_u16_sdwa s[8:9], v11, v10 src0_sel:BYTE_0 src1_sel:DWORD
	s_andn2_b64 s[4:5], s[4:5], exec
	s_and_b64 s[8:9], s[8:9], exec
	s_or_b64 s[4:5], s[4:5], s[8:9]
	s_or_b64 exec, exec, s[6:7]
	s_and_saveexec_b64 s[6:7], s[4:5]
	s_cbranch_execnz .LBB37_395
	s_branch .LBB37_396
.LBB37_2445:
	s_movk_i32 s4, 0x80
	v_cmp_eq_u16_sdwa s[12:13], v11, s4 src0_sel:BYTE_0 src1_sel:DWORD
	s_mov_b64 s[4:5], -1
                                        ; implicit-def: $sgpr10
	s_and_saveexec_b64 s[8:9], s[12:13]
; %bb.2446:
	s_mov_b32 s10, 0x7f800001
	s_xor_b64 s[4:5], exec, -1
; %bb.2447:
	s_or_b64 exec, exec, s[8:9]
	s_and_b64 s[4:5], s[4:5], exec
	s_or_saveexec_b64 s[6:7], s[6:7]
	v_mov_b32_e32 v12, s10
	s_xor_b64 exec, exec, s[6:7]
	s_cbranch_execz .LBB37_398
.LBB37_2448:
	v_mov_b32_e32 v12, 0
	v_cmp_ne_u16_sdwa s[8:9], v11, v12 src0_sel:BYTE_0 src1_sel:DWORD
	s_andn2_b64 s[4:5], s[4:5], exec
	s_and_b64 s[8:9], s[8:9], exec
	s_or_b64 s[4:5], s[4:5], s[8:9]
	s_or_b64 exec, exec, s[6:7]
	s_and_saveexec_b64 s[6:7], s[4:5]
	s_cbranch_execnz .LBB37_399
	s_branch .LBB37_400
.LBB37_2449:
	s_movk_i32 s4, 0x80
	v_cmp_eq_u16_e32 vcc, s4, v11
	s_mov_b64 s[4:5], -1
                                        ; implicit-def: $sgpr10
	s_and_saveexec_b64 s[8:9], vcc
; %bb.2450:
	s_mov_b32 s10, 0x7f800001
	s_xor_b64 s[4:5], exec, -1
; %bb.2451:
	s_or_b64 exec, exec, s[8:9]
	s_and_b64 s[4:5], s[4:5], exec
                                        ; implicit-def: $vgpr11
	s_or_saveexec_b64 s[6:7], s[6:7]
	v_mov_b32_e32 v10, s10
	s_xor_b64 exec, exec, s[6:7]
	s_cbranch_execz .LBB37_402
.LBB37_2452:
	v_cmp_ne_u16_e32 vcc, 0, v11
	s_andn2_b64 s[4:5], s[4:5], exec
	s_and_b64 s[8:9], vcc, exec
	v_mov_b32_e32 v10, 0
	s_or_b64 s[4:5], s[4:5], s[8:9]
	s_or_b64 exec, exec, s[6:7]
	s_and_saveexec_b64 s[6:7], s[4:5]
	s_cbranch_execnz .LBB37_403
	s_branch .LBB37_404
.LBB37_2453:
	s_movk_i32 s4, 0x80
	v_cmp_eq_u16_e32 vcc, s4, v11
	s_mov_b64 s[4:5], -1
                                        ; implicit-def: $sgpr10
	s_and_saveexec_b64 s[8:9], vcc
; %bb.2454:
	s_mov_b32 s10, 0x7f800001
	s_xor_b64 s[4:5], exec, -1
; %bb.2455:
	s_or_b64 exec, exec, s[8:9]
	s_and_b64 s[4:5], s[4:5], exec
                                        ; implicit-def: $vgpr11
	s_or_saveexec_b64 s[6:7], s[6:7]
	v_mov_b32_e32 v12, s10
	s_xor_b64 exec, exec, s[6:7]
	s_cbranch_execz .LBB37_406
.LBB37_2456:
	v_cmp_ne_u16_e32 vcc, 0, v11
	s_andn2_b64 s[4:5], s[4:5], exec
	s_and_b64 s[8:9], vcc, exec
	v_mov_b32_e32 v12, 0
	s_or_b64 s[4:5], s[4:5], s[8:9]
	s_or_b64 exec, exec, s[6:7]
	s_and_saveexec_b64 s[6:7], s[4:5]
	s_cbranch_execnz .LBB37_407
	s_branch .LBB37_408
.LBB37_2457:
	s_movk_i32 s4, 0x80
	v_cmp_eq_u16_sdwa s[12:13], v6, s4 src0_sel:BYTE_3 src1_sel:DWORD
	s_mov_b64 s[4:5], -1
                                        ; implicit-def: $sgpr10
	s_and_saveexec_b64 s[8:9], s[12:13]
; %bb.2458:
	s_mov_b32 s10, 0x7f800001
	s_xor_b64 s[4:5], exec, -1
; %bb.2459:
	s_or_b64 exec, exec, s[8:9]
	s_and_b64 s[4:5], s[4:5], exec
	s_or_saveexec_b64 s[6:7], s[6:7]
	v_mov_b32_e32 v10, s10
	s_xor_b64 exec, exec, s[6:7]
	s_cbranch_execz .LBB37_410
.LBB37_2460:
	v_mov_b32_e32 v10, 0
	v_cmp_ne_u16_sdwa s[8:9], v6, v10 src0_sel:BYTE_3 src1_sel:DWORD
	s_andn2_b64 s[4:5], s[4:5], exec
	s_and_b64 s[8:9], s[8:9], exec
	s_or_b64 s[4:5], s[4:5], s[8:9]
	s_or_b64 exec, exec, s[6:7]
	s_and_saveexec_b64 s[6:7], s[4:5]
	s_cbranch_execnz .LBB37_411
	s_branch .LBB37_412
.LBB37_2461:
	s_movk_i32 s4, 0x80
	v_cmp_eq_u16_sdwa s[12:13], v2, s4 src0_sel:BYTE_3 src1_sel:DWORD
	s_mov_b64 s[4:5], -1
                                        ; implicit-def: $sgpr10
	s_and_saveexec_b64 s[8:9], s[12:13]
; %bb.2462:
	s_mov_b32 s10, 0x7f800001
	s_xor_b64 s[4:5], exec, -1
; %bb.2463:
	s_or_b64 exec, exec, s[8:9]
	s_and_b64 s[4:5], s[4:5], exec
	s_or_saveexec_b64 s[6:7], s[6:7]
	v_mov_b32_e32 v6, s10
	s_xor_b64 exec, exec, s[6:7]
	s_cbranch_execz .LBB37_414
.LBB37_2464:
	v_mov_b32_e32 v6, 0
	v_cmp_ne_u16_sdwa s[8:9], v2, v6 src0_sel:BYTE_3 src1_sel:DWORD
	s_andn2_b64 s[4:5], s[4:5], exec
	s_and_b64 s[8:9], s[8:9], exec
	s_or_b64 s[4:5], s[4:5], s[8:9]
	s_or_b64 exec, exec, s[6:7]
	s_and_saveexec_b64 s[6:7], s[4:5]
	s_cbranch_execnz .LBB37_415
	s_branch .LBB37_416
.LBB37_2465:
	s_movk_i32 s4, 0x80
	v_cmp_eq_u16_sdwa s[12:13], v7, s4 src0_sel:BYTE_0 src1_sel:DWORD
	s_mov_b64 s[4:5], -1
                                        ; implicit-def: $sgpr10
	s_and_saveexec_b64 s[8:9], s[12:13]
; %bb.2466:
	s_mov_b32 s10, 0x7f800001
	s_xor_b64 s[4:5], exec, -1
; %bb.2467:
	s_or_b64 exec, exec, s[8:9]
	s_and_b64 s[4:5], s[4:5], exec
	s_or_saveexec_b64 s[6:7], s[6:7]
	v_mov_b32_e32 v2, s10
	s_xor_b64 exec, exec, s[6:7]
	s_cbranch_execz .LBB37_418
.LBB37_2468:
	v_mov_b32_e32 v2, 0
	v_cmp_ne_u16_sdwa s[8:9], v7, v2 src0_sel:BYTE_0 src1_sel:DWORD
	s_andn2_b64 s[4:5], s[4:5], exec
	s_and_b64 s[8:9], s[8:9], exec
	s_or_b64 s[4:5], s[4:5], s[8:9]
	s_or_b64 exec, exec, s[6:7]
	s_and_saveexec_b64 s[6:7], s[4:5]
	s_cbranch_execnz .LBB37_419
	s_branch .LBB37_420
.LBB37_2469:
	s_movk_i32 s4, 0x80
	v_cmp_eq_u16_sdwa s[12:13], v3, s4 src0_sel:BYTE_0 src1_sel:DWORD
	s_mov_b64 s[4:5], -1
                                        ; implicit-def: $sgpr10
	s_and_saveexec_b64 s[8:9], s[12:13]
; %bb.2470:
	s_mov_b32 s10, 0x7f800001
	s_xor_b64 s[4:5], exec, -1
; %bb.2471:
	s_or_b64 exec, exec, s[8:9]
	s_and_b64 s[4:5], s[4:5], exec
	s_or_saveexec_b64 s[6:7], s[6:7]
	v_mov_b32_e32 v6, s10
	s_xor_b64 exec, exec, s[6:7]
	s_cbranch_execz .LBB37_422
.LBB37_2472:
	v_mov_b32_e32 v6, 0
	v_cmp_ne_u16_sdwa s[8:9], v3, v6 src0_sel:BYTE_0 src1_sel:DWORD
	s_andn2_b64 s[4:5], s[4:5], exec
	s_and_b64 s[8:9], s[8:9], exec
	s_or_b64 s[4:5], s[4:5], s[8:9]
	s_or_b64 exec, exec, s[6:7]
	s_and_saveexec_b64 s[6:7], s[4:5]
	s_cbranch_execnz .LBB37_423
	s_branch .LBB37_424
.LBB37_2473:
	s_movk_i32 s4, 0x80
	v_cmp_eq_u16_sdwa s[12:13], v6, s4 src0_sel:BYTE_0 src1_sel:DWORD
	s_mov_b64 s[4:5], -1
                                        ; implicit-def: $sgpr10
	s_and_saveexec_b64 s[8:9], s[12:13]
; %bb.2474:
	s_mov_b32 s10, 0x7f800001
	s_xor_b64 s[4:5], exec, -1
; %bb.2475:
	s_or_b64 exec, exec, s[8:9]
	s_and_b64 s[4:5], s[4:5], exec
	s_or_saveexec_b64 s[6:7], s[6:7]
	v_mov_b32_e32 v2, s10
	s_xor_b64 exec, exec, s[6:7]
	s_cbranch_execz .LBB37_426
.LBB37_2476:
	v_mov_b32_e32 v2, 0
	v_cmp_ne_u16_sdwa s[8:9], v6, v2 src0_sel:BYTE_0 src1_sel:DWORD
	s_andn2_b64 s[4:5], s[4:5], exec
	s_and_b64 s[8:9], s[8:9], exec
	s_or_b64 s[4:5], s[4:5], s[8:9]
	s_or_b64 exec, exec, s[6:7]
	s_and_saveexec_b64 s[6:7], s[4:5]
	s_cbranch_execnz .LBB37_427
	s_branch .LBB37_428
.LBB37_2477:
	s_movk_i32 s4, 0x80
	v_cmp_eq_u16_sdwa s[12:13], v6, s4 src0_sel:BYTE_0 src1_sel:DWORD
	s_mov_b64 s[4:5], -1
                                        ; implicit-def: $sgpr10
	s_and_saveexec_b64 s[8:9], s[12:13]
; %bb.2478:
	s_mov_b32 s10, 0x7f800001
	s_xor_b64 s[4:5], exec, -1
; %bb.2479:
	s_or_b64 exec, exec, s[8:9]
	s_and_b64 s[4:5], s[4:5], exec
	s_or_saveexec_b64 s[6:7], s[6:7]
	v_mov_b32_e32 v10, s10
	s_xor_b64 exec, exec, s[6:7]
	s_cbranch_execz .LBB37_430
.LBB37_2480:
	v_mov_b32_e32 v10, 0
	v_cmp_ne_u16_sdwa s[8:9], v6, v10 src0_sel:BYTE_0 src1_sel:DWORD
	s_andn2_b64 s[4:5], s[4:5], exec
	s_and_b64 s[8:9], s[8:9], exec
	s_or_b64 s[4:5], s[4:5], s[8:9]
	s_or_b64 exec, exec, s[6:7]
	s_and_saveexec_b64 s[6:7], s[4:5]
	s_cbranch_execnz .LBB37_431
	s_branch .LBB37_432
.LBB37_2481:
	s_movk_i32 s4, 0x80
	v_cmp_eq_u16_e32 vcc, s4, v6
	s_mov_b64 s[4:5], -1
                                        ; implicit-def: $sgpr10
	s_and_saveexec_b64 s[8:9], vcc
; %bb.2482:
	s_mov_b32 s10, 0x7f800001
	s_xor_b64 s[4:5], exec, -1
; %bb.2483:
	s_or_b64 exec, exec, s[8:9]
	s_and_b64 s[4:5], s[4:5], exec
                                        ; implicit-def: $vgpr6
	s_or_saveexec_b64 s[6:7], s[6:7]
	v_mov_b32_e32 v2, s10
	s_xor_b64 exec, exec, s[6:7]
	s_cbranch_execz .LBB37_434
.LBB37_2484:
	v_cmp_ne_u16_e32 vcc, 0, v6
	s_andn2_b64 s[4:5], s[4:5], exec
	s_and_b64 s[8:9], vcc, exec
	v_mov_b32_e32 v2, 0
	s_or_b64 s[4:5], s[4:5], s[8:9]
	s_or_b64 exec, exec, s[6:7]
	s_and_saveexec_b64 s[6:7], s[4:5]
	s_cbranch_execnz .LBB37_435
	s_branch .LBB37_436
.LBB37_2485:
	s_movk_i32 s4, 0x80
	v_cmp_eq_u16_e32 vcc, s4, v6
	s_mov_b64 s[4:5], -1
                                        ; implicit-def: $sgpr10
	s_and_saveexec_b64 s[8:9], vcc
; %bb.2486:
	s_mov_b32 s10, 0x7f800001
	s_xor_b64 s[4:5], exec, -1
; %bb.2487:
	s_or_b64 exec, exec, s[8:9]
	s_and_b64 s[4:5], s[4:5], exec
                                        ; implicit-def: $vgpr6
	s_or_saveexec_b64 s[6:7], s[6:7]
	v_mov_b32_e32 v10, s10
	s_xor_b64 exec, exec, s[6:7]
	s_cbranch_execz .LBB37_438
.LBB37_2488:
	v_cmp_ne_u16_e32 vcc, 0, v6
	s_andn2_b64 s[4:5], s[4:5], exec
	s_and_b64 s[8:9], vcc, exec
	v_mov_b32_e32 v10, 0
	s_or_b64 s[4:5], s[4:5], s[8:9]
	s_or_b64 exec, exec, s[6:7]
	s_and_saveexec_b64 s[6:7], s[4:5]
	s_cbranch_execnz .LBB37_439
	s_branch .LBB37_440
.LBB37_2489:
	s_movk_i32 s4, 0x80
	v_cmp_eq_u16_sdwa s[12:13], v7, s4 src0_sel:BYTE_3 src1_sel:DWORD
	s_mov_b64 s[4:5], -1
                                        ; implicit-def: $sgpr10
	s_and_saveexec_b64 s[8:9], s[12:13]
; %bb.2490:
	s_mov_b32 s10, 0x7f800001
	s_xor_b64 s[4:5], exec, -1
; %bb.2491:
	s_or_b64 exec, exec, s[8:9]
	s_and_b64 s[4:5], s[4:5], exec
	s_or_saveexec_b64 s[6:7], s[6:7]
	v_mov_b32_e32 v2, s10
	s_xor_b64 exec, exec, s[6:7]
	s_cbranch_execz .LBB37_442
.LBB37_2492:
	v_mov_b32_e32 v2, 0
	v_cmp_ne_u16_sdwa s[8:9], v7, v2 src0_sel:BYTE_3 src1_sel:DWORD
	s_andn2_b64 s[4:5], s[4:5], exec
	s_and_b64 s[8:9], s[8:9], exec
	s_or_b64 s[4:5], s[4:5], s[8:9]
	s_or_b64 exec, exec, s[6:7]
	s_and_saveexec_b64 s[6:7], s[4:5]
	s_cbranch_execnz .LBB37_443
	s_branch .LBB37_444
.LBB37_2493:
	s_movk_i32 s4, 0x80
	v_cmp_eq_u16_sdwa s[12:13], v3, s4 src0_sel:BYTE_3 src1_sel:DWORD
	s_mov_b64 s[4:5], -1
                                        ; implicit-def: $sgpr10
	s_and_saveexec_b64 s[8:9], s[12:13]
; %bb.2494:
	s_mov_b32 s10, 0x7f800001
	s_xor_b64 s[4:5], exec, -1
; %bb.2495:
	s_or_b64 exec, exec, s[8:9]
	s_and_b64 s[4:5], s[4:5], exec
	s_or_saveexec_b64 s[6:7], s[6:7]
	v_mov_b32_e32 v6, s10
	s_xor_b64 exec, exec, s[6:7]
	s_cbranch_execz .LBB37_446
.LBB37_2496:
	v_mov_b32_e32 v6, 0
	v_cmp_ne_u16_sdwa s[8:9], v3, v6 src0_sel:BYTE_3 src1_sel:DWORD
	s_andn2_b64 s[4:5], s[4:5], exec
	s_and_b64 s[8:9], s[8:9], exec
	s_or_b64 s[4:5], s[4:5], s[8:9]
	s_or_b64 exec, exec, s[6:7]
	s_and_saveexec_b64 s[6:7], s[4:5]
	s_cbranch_execnz .LBB37_447
	s_branch .LBB37_448
.LBB37_2497:
	s_movk_i32 s4, 0x80
	v_cmp_eq_u16_sdwa s[12:13], v8, s4 src0_sel:BYTE_0 src1_sel:DWORD
	s_mov_b64 s[4:5], -1
                                        ; implicit-def: $sgpr10
	s_and_saveexec_b64 s[8:9], s[12:13]
; %bb.2498:
	s_mov_b32 s10, 0x7f800001
	s_xor_b64 s[4:5], exec, -1
; %bb.2499:
	s_or_b64 exec, exec, s[8:9]
	s_and_b64 s[4:5], s[4:5], exec
	s_or_saveexec_b64 s[6:7], s[6:7]
	v_mov_b32_e32 v2, s10
	s_xor_b64 exec, exec, s[6:7]
	s_cbranch_execz .LBB37_450
.LBB37_2500:
	v_mov_b32_e32 v2, 0
	v_cmp_ne_u16_sdwa s[8:9], v8, v2 src0_sel:BYTE_0 src1_sel:DWORD
	s_andn2_b64 s[4:5], s[4:5], exec
	s_and_b64 s[8:9], s[8:9], exec
	s_or_b64 s[4:5], s[4:5], s[8:9]
	s_or_b64 exec, exec, s[6:7]
	s_and_saveexec_b64 s[6:7], s[4:5]
	s_cbranch_execnz .LBB37_451
	s_branch .LBB37_452
.LBB37_2501:
	s_movk_i32 s4, 0x80
	v_cmp_eq_u16_sdwa s[12:13], v4, s4 src0_sel:BYTE_0 src1_sel:DWORD
	s_mov_b64 s[4:5], -1
                                        ; implicit-def: $sgpr10
	s_and_saveexec_b64 s[8:9], s[12:13]
; %bb.2502:
	s_mov_b32 s10, 0x7f800001
	s_xor_b64 s[4:5], exec, -1
; %bb.2503:
	s_or_b64 exec, exec, s[8:9]
	s_and_b64 s[4:5], s[4:5], exec
	s_or_saveexec_b64 s[6:7], s[6:7]
	v_mov_b32_e32 v3, s10
	s_xor_b64 exec, exec, s[6:7]
	s_cbranch_execz .LBB37_454
.LBB37_2504:
	v_mov_b32_e32 v3, 0
	v_cmp_ne_u16_sdwa s[8:9], v4, v3 src0_sel:BYTE_0 src1_sel:DWORD
	s_andn2_b64 s[4:5], s[4:5], exec
	s_and_b64 s[8:9], s[8:9], exec
	s_or_b64 s[4:5], s[4:5], s[8:9]
	s_or_b64 exec, exec, s[6:7]
	s_and_saveexec_b64 s[6:7], s[4:5]
	s_cbranch_execnz .LBB37_455
	s_branch .LBB37_456
.LBB37_2505:
	s_movk_i32 s4, 0x80
	v_cmp_eq_u16_sdwa s[12:13], v3, s4 src0_sel:BYTE_0 src1_sel:DWORD
	s_mov_b64 s[4:5], -1
                                        ; implicit-def: $sgpr10
	s_and_saveexec_b64 s[8:9], s[12:13]
; %bb.2506:
	s_mov_b32 s10, 0x7f800001
	s_xor_b64 s[4:5], exec, -1
; %bb.2507:
	s_or_b64 exec, exec, s[8:9]
	s_and_b64 s[4:5], s[4:5], exec
	s_or_saveexec_b64 s[6:7], s[6:7]
	v_mov_b32_e32 v2, s10
	s_xor_b64 exec, exec, s[6:7]
	s_cbranch_execz .LBB37_458
.LBB37_2508:
	v_mov_b32_e32 v2, 0
	v_cmp_ne_u16_sdwa s[8:9], v3, v2 src0_sel:BYTE_0 src1_sel:DWORD
	s_andn2_b64 s[4:5], s[4:5], exec
	s_and_b64 s[8:9], s[8:9], exec
	s_or_b64 s[4:5], s[4:5], s[8:9]
	s_or_b64 exec, exec, s[6:7]
	s_and_saveexec_b64 s[6:7], s[4:5]
	s_cbranch_execnz .LBB37_459
	s_branch .LBB37_460
.LBB37_2509:
	s_movk_i32 s4, 0x80
	v_cmp_eq_u16_sdwa s[12:13], v3, s4 src0_sel:BYTE_0 src1_sel:DWORD
	s_mov_b64 s[4:5], -1
                                        ; implicit-def: $sgpr10
	s_and_saveexec_b64 s[8:9], s[12:13]
; %bb.2510:
	s_mov_b32 s10, 0x7f800001
	s_xor_b64 s[4:5], exec, -1
; %bb.2511:
	s_or_b64 exec, exec, s[8:9]
	s_and_b64 s[4:5], s[4:5], exec
	s_or_saveexec_b64 s[6:7], s[6:7]
	v_mov_b32_e32 v6, s10
	s_xor_b64 exec, exec, s[6:7]
	s_cbranch_execz .LBB37_462
.LBB37_2512:
	v_mov_b32_e32 v6, 0
	v_cmp_ne_u16_sdwa s[8:9], v3, v6 src0_sel:BYTE_0 src1_sel:DWORD
	s_andn2_b64 s[4:5], s[4:5], exec
	s_and_b64 s[8:9], s[8:9], exec
	s_or_b64 s[4:5], s[4:5], s[8:9]
	s_or_b64 exec, exec, s[6:7]
	s_and_saveexec_b64 s[6:7], s[4:5]
	s_cbranch_execnz .LBB37_463
	s_branch .LBB37_464
.LBB37_2513:
	s_movk_i32 s4, 0x80
	v_cmp_eq_u16_e32 vcc, s4, v3
	s_mov_b64 s[4:5], -1
                                        ; implicit-def: $sgpr10
	s_and_saveexec_b64 s[8:9], vcc
; %bb.2514:
	s_mov_b32 s10, 0x7f800001
	s_xor_b64 s[4:5], exec, -1
; %bb.2515:
	s_or_b64 exec, exec, s[8:9]
	s_and_b64 s[4:5], s[4:5], exec
                                        ; implicit-def: $vgpr3
	s_or_saveexec_b64 s[6:7], s[6:7]
	v_mov_b32_e32 v2, s10
	s_xor_b64 exec, exec, s[6:7]
	s_cbranch_execz .LBB37_466
.LBB37_2516:
	v_cmp_ne_u16_e32 vcc, 0, v3
	s_andn2_b64 s[4:5], s[4:5], exec
	s_and_b64 s[8:9], vcc, exec
	v_mov_b32_e32 v2, 0
	s_or_b64 s[4:5], s[4:5], s[8:9]
	s_or_b64 exec, exec, s[6:7]
	s_and_saveexec_b64 s[6:7], s[4:5]
	s_cbranch_execnz .LBB37_467
	s_branch .LBB37_468
.LBB37_2517:
	s_movk_i32 s4, 0x80
	v_cmp_eq_u16_e32 vcc, s4, v3
	s_mov_b64 s[4:5], -1
                                        ; implicit-def: $sgpr10
	s_and_saveexec_b64 s[8:9], vcc
; %bb.2518:
	s_mov_b32 s10, 0x7f800001
	s_xor_b64 s[4:5], exec, -1
; %bb.2519:
	s_or_b64 exec, exec, s[8:9]
	s_and_b64 s[4:5], s[4:5], exec
                                        ; implicit-def: $vgpr3
	s_or_saveexec_b64 s[6:7], s[6:7]
	v_mov_b32_e32 v6, s10
	s_xor_b64 exec, exec, s[6:7]
	s_cbranch_execz .LBB37_470
.LBB37_2520:
	v_cmp_ne_u16_e32 vcc, 0, v3
	s_andn2_b64 s[4:5], s[4:5], exec
	s_and_b64 s[8:9], vcc, exec
	v_mov_b32_e32 v6, 0
	s_or_b64 s[4:5], s[4:5], s[8:9]
	s_or_b64 exec, exec, s[6:7]
	s_and_saveexec_b64 s[6:7], s[4:5]
	s_cbranch_execnz .LBB37_471
	s_branch .LBB37_472
.LBB37_2521:
	s_movk_i32 s4, 0x80
	v_cmp_eq_u16_sdwa s[12:13], v8, s4 src0_sel:BYTE_3 src1_sel:DWORD
	s_mov_b64 s[4:5], -1
                                        ; implicit-def: $sgpr10
	s_and_saveexec_b64 s[8:9], s[12:13]
; %bb.2522:
	s_mov_b32 s10, 0x7f800001
	s_xor_b64 s[4:5], exec, -1
; %bb.2523:
	s_or_b64 exec, exec, s[8:9]
	s_and_b64 s[4:5], s[4:5], exec
	s_or_saveexec_b64 s[6:7], s[6:7]
	v_mov_b32_e32 v2, s10
	s_xor_b64 exec, exec, s[6:7]
	s_cbranch_execz .LBB37_474
.LBB37_2524:
	v_mov_b32_e32 v2, 0
	v_cmp_ne_u16_sdwa s[8:9], v8, v2 src0_sel:BYTE_3 src1_sel:DWORD
	s_andn2_b64 s[4:5], s[4:5], exec
	s_and_b64 s[8:9], s[8:9], exec
	s_or_b64 s[4:5], s[4:5], s[8:9]
	s_or_b64 exec, exec, s[6:7]
	s_and_saveexec_b64 s[6:7], s[4:5]
	s_cbranch_execnz .LBB37_475
	s_branch .LBB37_476
.LBB37_2525:
	s_movk_i32 s4, 0x80
	v_cmp_eq_u16_sdwa s[12:13], v4, s4 src0_sel:BYTE_3 src1_sel:DWORD
	s_mov_b64 s[4:5], -1
                                        ; implicit-def: $sgpr10
	s_and_saveexec_b64 s[8:9], s[12:13]
; %bb.2526:
	s_mov_b32 s10, 0x7f800001
	s_xor_b64 s[4:5], exec, -1
; %bb.2527:
	s_or_b64 exec, exec, s[8:9]
	s_and_b64 s[4:5], s[4:5], exec
	s_or_saveexec_b64 s[6:7], s[6:7]
	v_mov_b32_e32 v3, s10
	s_xor_b64 exec, exec, s[6:7]
	s_cbranch_execz .LBB37_478
.LBB37_2528:
	v_mov_b32_e32 v3, 0
	v_cmp_ne_u16_sdwa s[8:9], v4, v3 src0_sel:BYTE_3 src1_sel:DWORD
	s_andn2_b64 s[4:5], s[4:5], exec
	s_and_b64 s[8:9], s[8:9], exec
	s_or_b64 s[4:5], s[4:5], s[8:9]
	s_or_b64 exec, exec, s[6:7]
	s_and_saveexec_b64 s[6:7], s[4:5]
	s_cbranch_execnz .LBB37_479
	s_branch .LBB37_480
.LBB37_2529:
	s_movk_i32 s4, 0x80
	v_cmp_eq_u16_sdwa s[12:13], v9, s4 src0_sel:BYTE_0 src1_sel:DWORD
	s_mov_b64 s[4:5], -1
                                        ; implicit-def: $sgpr10
	s_and_saveexec_b64 s[8:9], s[12:13]
; %bb.2530:
	s_mov_b32 s10, 0x7f800001
	s_xor_b64 s[4:5], exec, -1
; %bb.2531:
	s_or_b64 exec, exec, s[8:9]
	s_and_b64 s[4:5], s[4:5], exec
	s_or_saveexec_b64 s[6:7], s[6:7]
	v_mov_b32_e32 v2, s10
	s_xor_b64 exec, exec, s[6:7]
	s_cbranch_execz .LBB37_482
.LBB37_2532:
	v_mov_b32_e32 v2, 0
	v_cmp_ne_u16_sdwa s[8:9], v9, v2 src0_sel:BYTE_0 src1_sel:DWORD
	s_andn2_b64 s[4:5], s[4:5], exec
	s_and_b64 s[8:9], s[8:9], exec
	s_or_b64 s[4:5], s[4:5], s[8:9]
	s_or_b64 exec, exec, s[6:7]
	s_and_saveexec_b64 s[6:7], s[4:5]
	s_cbranch_execnz .LBB37_483
	s_branch .LBB37_484
.LBB37_2533:
	s_movk_i32 s4, 0x80
	v_cmp_eq_u16_sdwa s[12:13], v5, s4 src0_sel:BYTE_0 src1_sel:DWORD
	s_mov_b64 s[4:5], -1
                                        ; implicit-def: $sgpr10
	s_and_saveexec_b64 s[8:9], s[12:13]
; %bb.2534:
	s_mov_b32 s10, 0x7f800001
	s_xor_b64 s[4:5], exec, -1
; %bb.2535:
	s_or_b64 exec, exec, s[8:9]
	s_and_b64 s[4:5], s[4:5], exec
	s_or_saveexec_b64 s[6:7], s[6:7]
	v_mov_b32_e32 v3, s10
	s_xor_b64 exec, exec, s[6:7]
	s_cbranch_execz .LBB37_486
.LBB37_2536:
	v_mov_b32_e32 v3, 0
	v_cmp_ne_u16_sdwa s[8:9], v5, v3 src0_sel:BYTE_0 src1_sel:DWORD
	s_andn2_b64 s[4:5], s[4:5], exec
	s_and_b64 s[8:9], s[8:9], exec
	s_or_b64 s[4:5], s[4:5], s[8:9]
	s_or_b64 exec, exec, s[6:7]
	s_and_saveexec_b64 s[6:7], s[4:5]
	s_cbranch_execnz .LBB37_487
	s_branch .LBB37_488
.LBB37_2537:
	s_movk_i32 s4, 0x80
	v_cmp_eq_u16_sdwa s[12:13], v3, s4 src0_sel:BYTE_0 src1_sel:DWORD
	s_mov_b64 s[4:5], -1
                                        ; implicit-def: $sgpr10
	s_and_saveexec_b64 s[8:9], s[12:13]
; %bb.2538:
	s_mov_b32 s10, 0x7f800001
	s_xor_b64 s[4:5], exec, -1
; %bb.2539:
	s_or_b64 exec, exec, s[8:9]
	s_and_b64 s[4:5], s[4:5], exec
	s_or_saveexec_b64 s[6:7], s[6:7]
	v_mov_b32_e32 v2, s10
	s_xor_b64 exec, exec, s[6:7]
	s_cbranch_execz .LBB37_490
.LBB37_2540:
	v_mov_b32_e32 v2, 0
	v_cmp_ne_u16_sdwa s[8:9], v3, v2 src0_sel:BYTE_0 src1_sel:DWORD
	s_andn2_b64 s[4:5], s[4:5], exec
	s_and_b64 s[8:9], s[8:9], exec
	s_or_b64 s[4:5], s[4:5], s[8:9]
	s_or_b64 exec, exec, s[6:7]
	s_and_saveexec_b64 s[6:7], s[4:5]
	s_cbranch_execnz .LBB37_491
	s_branch .LBB37_492
.LBB37_2541:
	s_movk_i32 s4, 0x80
	v_cmp_eq_u16_sdwa s[12:13], v3, s4 src0_sel:BYTE_0 src1_sel:DWORD
	s_mov_b64 s[4:5], -1
                                        ; implicit-def: $sgpr10
	s_and_saveexec_b64 s[8:9], s[12:13]
; %bb.2542:
	s_mov_b32 s10, 0x7f800001
	s_xor_b64 s[4:5], exec, -1
; %bb.2543:
	s_or_b64 exec, exec, s[8:9]
	s_and_b64 s[4:5], s[4:5], exec
	s_or_saveexec_b64 s[6:7], s[6:7]
	v_mov_b32_e32 v4, s10
	s_xor_b64 exec, exec, s[6:7]
	s_cbranch_execz .LBB37_494
.LBB37_2544:
	v_mov_b32_e32 v4, 0
	v_cmp_ne_u16_sdwa s[8:9], v3, v4 src0_sel:BYTE_0 src1_sel:DWORD
	s_andn2_b64 s[4:5], s[4:5], exec
	s_and_b64 s[8:9], s[8:9], exec
	s_or_b64 s[4:5], s[4:5], s[8:9]
	s_or_b64 exec, exec, s[6:7]
	s_and_saveexec_b64 s[6:7], s[4:5]
	s_cbranch_execnz .LBB37_495
	s_branch .LBB37_496
.LBB37_2545:
	s_movk_i32 s4, 0x80
	v_cmp_eq_u16_e32 vcc, s4, v3
	s_mov_b64 s[4:5], -1
                                        ; implicit-def: $sgpr10
	s_and_saveexec_b64 s[8:9], vcc
; %bb.2546:
	s_mov_b32 s10, 0x7f800001
	s_xor_b64 s[4:5], exec, -1
; %bb.2547:
	s_or_b64 exec, exec, s[8:9]
	s_and_b64 s[4:5], s[4:5], exec
                                        ; implicit-def: $vgpr3
	s_or_saveexec_b64 s[6:7], s[6:7]
	v_mov_b32_e32 v2, s10
	s_xor_b64 exec, exec, s[6:7]
	s_cbranch_execz .LBB37_498
.LBB37_2548:
	v_cmp_ne_u16_e32 vcc, 0, v3
	s_andn2_b64 s[4:5], s[4:5], exec
	s_and_b64 s[8:9], vcc, exec
	v_mov_b32_e32 v2, 0
	s_or_b64 s[4:5], s[4:5], s[8:9]
	s_or_b64 exec, exec, s[6:7]
	s_and_saveexec_b64 s[6:7], s[4:5]
	s_cbranch_execnz .LBB37_499
	s_branch .LBB37_500
.LBB37_2549:
	s_movk_i32 s4, 0x80
	v_cmp_eq_u16_e32 vcc, s4, v3
	s_mov_b64 s[4:5], -1
                                        ; implicit-def: $sgpr10
	s_and_saveexec_b64 s[8:9], vcc
; %bb.2550:
	s_mov_b32 s10, 0x7f800001
	s_xor_b64 s[4:5], exec, -1
; %bb.2551:
	s_or_b64 exec, exec, s[8:9]
	s_and_b64 s[4:5], s[4:5], exec
                                        ; implicit-def: $vgpr3
	s_or_saveexec_b64 s[6:7], s[6:7]
	v_mov_b32_e32 v4, s10
	s_xor_b64 exec, exec, s[6:7]
	s_cbranch_execz .LBB37_502
.LBB37_2552:
	v_cmp_ne_u16_e32 vcc, 0, v3
	s_andn2_b64 s[4:5], s[4:5], exec
	s_and_b64 s[8:9], vcc, exec
	v_mov_b32_e32 v4, 0
	s_or_b64 s[4:5], s[4:5], s[8:9]
	s_or_b64 exec, exec, s[6:7]
	s_and_saveexec_b64 s[6:7], s[4:5]
	s_cbranch_execnz .LBB37_503
	s_branch .LBB37_504
.LBB37_2553:
	s_movk_i32 s4, 0x80
	v_cmp_eq_u16_sdwa s[12:13], v9, s4 src0_sel:BYTE_3 src1_sel:DWORD
	s_mov_b64 s[4:5], -1
                                        ; implicit-def: $sgpr10
	s_and_saveexec_b64 s[8:9], s[12:13]
; %bb.2554:
	s_mov_b32 s10, 0x7f800001
	s_xor_b64 s[4:5], exec, -1
; %bb.2555:
	s_or_b64 exec, exec, s[8:9]
	s_and_b64 s[4:5], s[4:5], exec
	s_or_saveexec_b64 s[6:7], s[6:7]
	v_mov_b32_e32 v2, s10
	s_xor_b64 exec, exec, s[6:7]
	s_cbranch_execz .LBB37_506
.LBB37_2556:
	v_mov_b32_e32 v2, 0
	v_cmp_ne_u16_sdwa s[8:9], v9, v2 src0_sel:BYTE_3 src1_sel:DWORD
	s_andn2_b64 s[4:5], s[4:5], exec
	s_and_b64 s[8:9], s[8:9], exec
	s_or_b64 s[4:5], s[4:5], s[8:9]
	s_or_b64 exec, exec, s[6:7]
	s_and_saveexec_b64 s[6:7], s[4:5]
	s_cbranch_execnz .LBB37_507
	s_branch .LBB37_508
.LBB37_2557:
	s_movk_i32 s4, 0x80
	v_cmp_eq_u16_sdwa s[12:13], v5, s4 src0_sel:BYTE_3 src1_sel:DWORD
	s_mov_b64 s[4:5], -1
                                        ; implicit-def: $sgpr10
	s_and_saveexec_b64 s[8:9], s[12:13]
; %bb.2558:
	s_mov_b32 s10, 0x7f800001
	s_xor_b64 s[4:5], exec, -1
; %bb.2559:
	s_or_b64 exec, exec, s[8:9]
	s_and_b64 s[4:5], s[4:5], exec
	s_or_saveexec_b64 s[6:7], s[6:7]
	v_mov_b32_e32 v3, s10
	s_xor_b64 exec, exec, s[6:7]
	s_cbranch_execz .LBB37_510
.LBB37_2560:
	v_mov_b32_e32 v3, 0
	v_cmp_ne_u16_sdwa s[8:9], v5, v3 src0_sel:BYTE_3 src1_sel:DWORD
	s_andn2_b64 s[4:5], s[4:5], exec
	s_and_b64 s[8:9], s[8:9], exec
	s_or_b64 s[4:5], s[4:5], s[8:9]
	s_or_b64 exec, exec, s[6:7]
	s_and_saveexec_b64 s[6:7], s[4:5]
	s_cbranch_execnz .LBB37_511
	s_branch .LBB37_512
.LBB37_2561:
	s_movk_i32 s4, 0x80
	v_cmp_eq_u16_sdwa s[12:13], v14, s4 src0_sel:BYTE_0 src1_sel:DWORD
	s_mov_b64 s[4:5], -1
                                        ; implicit-def: $sgpr10
	s_and_saveexec_b64 s[8:9], s[12:13]
; %bb.2562:
	s_mov_b32 s10, 0x7f800001
	s_xor_b64 s[4:5], exec, -1
; %bb.2563:
	s_or_b64 exec, exec, s[8:9]
	s_and_b64 s[4:5], s[4:5], exec
	s_or_saveexec_b64 s[6:7], s[6:7]
	v_mov_b32_e32 v20, s10
	s_xor_b64 exec, exec, s[6:7]
	s_cbranch_execz .LBB37_514
.LBB37_2564:
	v_mov_b32_e32 v20, 0
	v_cmp_ne_u16_sdwa s[8:9], v14, v20 src0_sel:BYTE_0 src1_sel:DWORD
	s_andn2_b64 s[4:5], s[4:5], exec
	s_and_b64 s[8:9], s[8:9], exec
	s_or_b64 s[4:5], s[4:5], s[8:9]
	s_or_b64 exec, exec, s[6:7]
	s_and_saveexec_b64 s[6:7], s[4:5]
	s_cbranch_execnz .LBB37_515
	s_branch .LBB37_516
.LBB37_2565:
	s_movk_i32 s4, 0x80
	v_cmp_eq_u16_sdwa s[12:13], v10, s4 src0_sel:BYTE_0 src1_sel:DWORD
	s_mov_b64 s[4:5], -1
                                        ; implicit-def: $sgpr10
	s_and_saveexec_b64 s[8:9], s[12:13]
; %bb.2566:
	s_mov_b32 s10, 0x7f800001
	s_xor_b64 s[4:5], exec, -1
; %bb.2567:
	s_or_b64 exec, exec, s[8:9]
	s_and_b64 s[4:5], s[4:5], exec
	s_or_saveexec_b64 s[6:7], s[6:7]
	v_mov_b32_e32 v21, s10
	s_xor_b64 exec, exec, s[6:7]
	s_cbranch_execz .LBB37_518
.LBB37_2568:
	v_mov_b32_e32 v21, 0
	v_cmp_ne_u16_sdwa s[8:9], v10, v21 src0_sel:BYTE_0 src1_sel:DWORD
	s_andn2_b64 s[4:5], s[4:5], exec
	s_and_b64 s[8:9], s[8:9], exec
	s_or_b64 s[4:5], s[4:5], s[8:9]
	s_or_b64 exec, exec, s[6:7]
	s_and_saveexec_b64 s[6:7], s[4:5]
	s_cbranch_execnz .LBB37_519
	s_branch .LBB37_520
.LBB37_2569:
	s_movk_i32 s4, 0x80
	v_cmp_eq_u16_sdwa s[12:13], v21, s4 src0_sel:BYTE_0 src1_sel:DWORD
	s_mov_b64 s[4:5], -1
                                        ; implicit-def: $sgpr10
	s_and_saveexec_b64 s[8:9], s[12:13]
; %bb.2570:
	s_mov_b32 s10, 0x7f800001
	s_xor_b64 s[4:5], exec, -1
; %bb.2571:
	s_or_b64 exec, exec, s[8:9]
	s_and_b64 s[4:5], s[4:5], exec
	s_or_saveexec_b64 s[6:7], s[6:7]
	v_mov_b32_e32 v20, s10
	s_xor_b64 exec, exec, s[6:7]
	s_cbranch_execz .LBB37_522
.LBB37_2572:
	v_mov_b32_e32 v20, 0
	v_cmp_ne_u16_sdwa s[8:9], v21, v20 src0_sel:BYTE_0 src1_sel:DWORD
	s_andn2_b64 s[4:5], s[4:5], exec
	s_and_b64 s[8:9], s[8:9], exec
	s_or_b64 s[4:5], s[4:5], s[8:9]
	s_or_b64 exec, exec, s[6:7]
	s_and_saveexec_b64 s[6:7], s[4:5]
	s_cbranch_execnz .LBB37_523
	s_branch .LBB37_524
.LBB37_2573:
	s_movk_i32 s4, 0x80
	v_cmp_eq_u16_sdwa s[12:13], v21, s4 src0_sel:BYTE_0 src1_sel:DWORD
	s_mov_b64 s[4:5], -1
                                        ; implicit-def: $sgpr10
	s_and_saveexec_b64 s[8:9], s[12:13]
; %bb.2574:
	s_mov_b32 s10, 0x7f800001
	s_xor_b64 s[4:5], exec, -1
; %bb.2575:
	s_or_b64 exec, exec, s[8:9]
	s_and_b64 s[4:5], s[4:5], exec
	s_or_saveexec_b64 s[6:7], s[6:7]
	v_mov_b32_e32 v22, s10
	s_xor_b64 exec, exec, s[6:7]
	s_cbranch_execz .LBB37_526
.LBB37_2576:
	v_mov_b32_e32 v22, 0
	v_cmp_ne_u16_sdwa s[8:9], v21, v22 src0_sel:BYTE_0 src1_sel:DWORD
	s_andn2_b64 s[4:5], s[4:5], exec
	s_and_b64 s[8:9], s[8:9], exec
	s_or_b64 s[4:5], s[4:5], s[8:9]
	s_or_b64 exec, exec, s[6:7]
	s_and_saveexec_b64 s[6:7], s[4:5]
	s_cbranch_execnz .LBB37_527
	s_branch .LBB37_528
.LBB37_2577:
	s_movk_i32 s4, 0x80
	v_cmp_eq_u16_e32 vcc, s4, v21
	s_mov_b64 s[4:5], -1
                                        ; implicit-def: $sgpr10
	s_and_saveexec_b64 s[8:9], vcc
; %bb.2578:
	s_mov_b32 s10, 0x7f800001
	s_xor_b64 s[4:5], exec, -1
; %bb.2579:
	s_or_b64 exec, exec, s[8:9]
	s_and_b64 s[4:5], s[4:5], exec
                                        ; implicit-def: $vgpr21
	s_or_saveexec_b64 s[6:7], s[6:7]
	v_mov_b32_e32 v20, s10
	s_xor_b64 exec, exec, s[6:7]
	s_cbranch_execz .LBB37_530
.LBB37_2580:
	v_cmp_ne_u16_e32 vcc, 0, v21
	s_andn2_b64 s[4:5], s[4:5], exec
	s_and_b64 s[8:9], vcc, exec
	v_mov_b32_e32 v20, 0
	s_or_b64 s[4:5], s[4:5], s[8:9]
	s_or_b64 exec, exec, s[6:7]
	s_and_saveexec_b64 s[6:7], s[4:5]
	s_cbranch_execnz .LBB37_531
	s_branch .LBB37_532
.LBB37_2581:
	s_movk_i32 s4, 0x80
	v_cmp_eq_u16_e32 vcc, s4, v21
	s_mov_b64 s[4:5], -1
                                        ; implicit-def: $sgpr10
	s_and_saveexec_b64 s[8:9], vcc
; %bb.2582:
	s_mov_b32 s10, 0x7f800001
	s_xor_b64 s[4:5], exec, -1
; %bb.2583:
	s_or_b64 exec, exec, s[8:9]
	s_and_b64 s[4:5], s[4:5], exec
                                        ; implicit-def: $vgpr21
	s_or_saveexec_b64 s[6:7], s[6:7]
	v_mov_b32_e32 v22, s10
	s_xor_b64 exec, exec, s[6:7]
	s_cbranch_execz .LBB37_534
.LBB37_2584:
	v_cmp_ne_u16_e32 vcc, 0, v21
	s_andn2_b64 s[4:5], s[4:5], exec
	s_and_b64 s[8:9], vcc, exec
	v_mov_b32_e32 v22, 0
	s_or_b64 s[4:5], s[4:5], s[8:9]
	s_or_b64 exec, exec, s[6:7]
	s_and_saveexec_b64 s[6:7], s[4:5]
	s_cbranch_execnz .LBB37_535
	s_branch .LBB37_536
.LBB37_2585:
	s_movk_i32 s4, 0x80
	v_cmp_eq_u16_sdwa s[12:13], v14, s4 src0_sel:BYTE_3 src1_sel:DWORD
	s_mov_b64 s[4:5], -1
                                        ; implicit-def: $sgpr10
	s_and_saveexec_b64 s[8:9], s[12:13]
; %bb.2586:
	s_mov_b32 s10, 0x7f800001
	s_xor_b64 s[4:5], exec, -1
; %bb.2587:
	s_or_b64 exec, exec, s[8:9]
	s_and_b64 s[4:5], s[4:5], exec
	s_or_saveexec_b64 s[6:7], s[6:7]
	v_mov_b32_e32 v20, s10
	s_xor_b64 exec, exec, s[6:7]
	s_cbranch_execz .LBB37_538
.LBB37_2588:
	v_mov_b32_e32 v20, 0
	v_cmp_ne_u16_sdwa s[8:9], v14, v20 src0_sel:BYTE_3 src1_sel:DWORD
	s_andn2_b64 s[4:5], s[4:5], exec
	s_and_b64 s[8:9], s[8:9], exec
	s_or_b64 s[4:5], s[4:5], s[8:9]
	s_or_b64 exec, exec, s[6:7]
	s_and_saveexec_b64 s[6:7], s[4:5]
	s_cbranch_execnz .LBB37_539
	s_branch .LBB37_540
.LBB37_2589:
	s_movk_i32 s4, 0x80
	v_cmp_eq_u16_sdwa s[12:13], v10, s4 src0_sel:BYTE_3 src1_sel:DWORD
	s_mov_b64 s[4:5], -1
                                        ; implicit-def: $sgpr10
	s_and_saveexec_b64 s[8:9], s[12:13]
; %bb.2590:
	s_mov_b32 s10, 0x7f800001
	s_xor_b64 s[4:5], exec, -1
; %bb.2591:
	s_or_b64 exec, exec, s[8:9]
	s_and_b64 s[4:5], s[4:5], exec
	s_or_saveexec_b64 s[6:7], s[6:7]
	v_mov_b32_e32 v14, s10
	s_xor_b64 exec, exec, s[6:7]
	s_cbranch_execz .LBB37_542
.LBB37_2592:
	v_mov_b32_e32 v14, 0
	v_cmp_ne_u16_sdwa s[8:9], v10, v14 src0_sel:BYTE_3 src1_sel:DWORD
	s_andn2_b64 s[4:5], s[4:5], exec
	s_and_b64 s[8:9], s[8:9], exec
	s_or_b64 s[4:5], s[4:5], s[8:9]
	s_or_b64 exec, exec, s[6:7]
	s_and_saveexec_b64 s[6:7], s[4:5]
	s_cbranch_execnz .LBB37_543
	s_branch .LBB37_544
.LBB37_2593:
	s_movk_i32 s4, 0x80
	v_cmp_eq_u16_sdwa s[12:13], v15, s4 src0_sel:BYTE_0 src1_sel:DWORD
	s_mov_b64 s[4:5], -1
                                        ; implicit-def: $sgpr10
	s_and_saveexec_b64 s[8:9], s[12:13]
; %bb.2594:
	s_mov_b32 s10, 0x7f800001
	s_xor_b64 s[4:5], exec, -1
; %bb.2595:
	s_or_b64 exec, exec, s[8:9]
	s_and_b64 s[4:5], s[4:5], exec
	s_or_saveexec_b64 s[6:7], s[6:7]
	v_mov_b32_e32 v10, s10
	s_xor_b64 exec, exec, s[6:7]
	s_cbranch_execz .LBB37_546
.LBB37_2596:
	v_mov_b32_e32 v10, 0
	v_cmp_ne_u16_sdwa s[8:9], v15, v10 src0_sel:BYTE_0 src1_sel:DWORD
	s_andn2_b64 s[4:5], s[4:5], exec
	s_and_b64 s[8:9], s[8:9], exec
	s_or_b64 s[4:5], s[4:5], s[8:9]
	s_or_b64 exec, exec, s[6:7]
	s_and_saveexec_b64 s[6:7], s[4:5]
	s_cbranch_execnz .LBB37_547
	s_branch .LBB37_548
.LBB37_2597:
	s_movk_i32 s4, 0x80
	v_cmp_eq_u16_sdwa s[12:13], v11, s4 src0_sel:BYTE_0 src1_sel:DWORD
	s_mov_b64 s[4:5], -1
                                        ; implicit-def: $sgpr10
	s_and_saveexec_b64 s[8:9], s[12:13]
; %bb.2598:
	s_mov_b32 s10, 0x7f800001
	s_xor_b64 s[4:5], exec, -1
; %bb.2599:
	s_or_b64 exec, exec, s[8:9]
	s_and_b64 s[4:5], s[4:5], exec
	s_or_saveexec_b64 s[6:7], s[6:7]
	v_mov_b32_e32 v14, s10
	s_xor_b64 exec, exec, s[6:7]
	s_cbranch_execz .LBB37_550
.LBB37_2600:
	v_mov_b32_e32 v14, 0
	v_cmp_ne_u16_sdwa s[8:9], v11, v14 src0_sel:BYTE_0 src1_sel:DWORD
	s_andn2_b64 s[4:5], s[4:5], exec
	s_and_b64 s[8:9], s[8:9], exec
	s_or_b64 s[4:5], s[4:5], s[8:9]
	s_or_b64 exec, exec, s[6:7]
	s_and_saveexec_b64 s[6:7], s[4:5]
	s_cbranch_execnz .LBB37_551
	s_branch .LBB37_552
.LBB37_2601:
	s_movk_i32 s4, 0x80
	v_cmp_eq_u16_sdwa s[12:13], v14, s4 src0_sel:BYTE_0 src1_sel:DWORD
	s_mov_b64 s[4:5], -1
                                        ; implicit-def: $sgpr10
	s_and_saveexec_b64 s[8:9], s[12:13]
; %bb.2602:
	s_mov_b32 s10, 0x7f800001
	s_xor_b64 s[4:5], exec, -1
; %bb.2603:
	s_or_b64 exec, exec, s[8:9]
	s_and_b64 s[4:5], s[4:5], exec
	s_or_saveexec_b64 s[6:7], s[6:7]
	v_mov_b32_e32 v10, s10
	s_xor_b64 exec, exec, s[6:7]
	s_cbranch_execz .LBB37_554
.LBB37_2604:
	v_mov_b32_e32 v10, 0
	v_cmp_ne_u16_sdwa s[8:9], v14, v10 src0_sel:BYTE_0 src1_sel:DWORD
	s_andn2_b64 s[4:5], s[4:5], exec
	s_and_b64 s[8:9], s[8:9], exec
	s_or_b64 s[4:5], s[4:5], s[8:9]
	s_or_b64 exec, exec, s[6:7]
	s_and_saveexec_b64 s[6:7], s[4:5]
	s_cbranch_execnz .LBB37_555
	s_branch .LBB37_556
.LBB37_2605:
	s_movk_i32 s4, 0x80
	v_cmp_eq_u16_sdwa s[12:13], v14, s4 src0_sel:BYTE_0 src1_sel:DWORD
	s_mov_b64 s[4:5], -1
                                        ; implicit-def: $sgpr10
	s_and_saveexec_b64 s[8:9], s[12:13]
; %bb.2606:
	s_mov_b32 s10, 0x7f800001
	s_xor_b64 s[4:5], exec, -1
; %bb.2607:
	s_or_b64 exec, exec, s[8:9]
	s_and_b64 s[4:5], s[4:5], exec
	s_or_saveexec_b64 s[6:7], s[6:7]
	v_mov_b32_e32 v20, s10
	s_xor_b64 exec, exec, s[6:7]
	s_cbranch_execz .LBB37_558
.LBB37_2608:
	v_mov_b32_e32 v20, 0
	v_cmp_ne_u16_sdwa s[8:9], v14, v20 src0_sel:BYTE_0 src1_sel:DWORD
	s_andn2_b64 s[4:5], s[4:5], exec
	s_and_b64 s[8:9], s[8:9], exec
	s_or_b64 s[4:5], s[4:5], s[8:9]
	s_or_b64 exec, exec, s[6:7]
	s_and_saveexec_b64 s[6:7], s[4:5]
	s_cbranch_execnz .LBB37_559
	s_branch .LBB37_560
.LBB37_2609:
	s_movk_i32 s4, 0x80
	v_cmp_eq_u16_e32 vcc, s4, v14
	s_mov_b64 s[4:5], -1
                                        ; implicit-def: $sgpr10
	s_and_saveexec_b64 s[8:9], vcc
; %bb.2610:
	s_mov_b32 s10, 0x7f800001
	s_xor_b64 s[4:5], exec, -1
; %bb.2611:
	s_or_b64 exec, exec, s[8:9]
	s_and_b64 s[4:5], s[4:5], exec
                                        ; implicit-def: $vgpr14
	s_or_saveexec_b64 s[6:7], s[6:7]
	v_mov_b32_e32 v10, s10
	s_xor_b64 exec, exec, s[6:7]
	s_cbranch_execz .LBB37_562
.LBB37_2612:
	v_cmp_ne_u16_e32 vcc, 0, v14
	s_andn2_b64 s[4:5], s[4:5], exec
	s_and_b64 s[8:9], vcc, exec
	v_mov_b32_e32 v10, 0
	s_or_b64 s[4:5], s[4:5], s[8:9]
	s_or_b64 exec, exec, s[6:7]
	s_and_saveexec_b64 s[6:7], s[4:5]
	s_cbranch_execnz .LBB37_563
	s_branch .LBB37_564
.LBB37_2613:
	s_movk_i32 s4, 0x80
	v_cmp_eq_u16_e32 vcc, s4, v14
	s_mov_b64 s[4:5], -1
                                        ; implicit-def: $sgpr10
	s_and_saveexec_b64 s[8:9], vcc
; %bb.2614:
	s_mov_b32 s10, 0x7f800001
	s_xor_b64 s[4:5], exec, -1
; %bb.2615:
	s_or_b64 exec, exec, s[8:9]
	s_and_b64 s[4:5], s[4:5], exec
                                        ; implicit-def: $vgpr14
	s_or_saveexec_b64 s[6:7], s[6:7]
	v_mov_b32_e32 v20, s10
	s_xor_b64 exec, exec, s[6:7]
	s_cbranch_execz .LBB37_566
.LBB37_2616:
	v_cmp_ne_u16_e32 vcc, 0, v14
	s_andn2_b64 s[4:5], s[4:5], exec
	s_and_b64 s[8:9], vcc, exec
	v_mov_b32_e32 v20, 0
	s_or_b64 s[4:5], s[4:5], s[8:9]
	s_or_b64 exec, exec, s[6:7]
	s_and_saveexec_b64 s[6:7], s[4:5]
	s_cbranch_execnz .LBB37_567
	s_branch .LBB37_568
.LBB37_2617:
	s_movk_i32 s4, 0x80
	v_cmp_eq_u16_sdwa s[12:13], v15, s4 src0_sel:BYTE_3 src1_sel:DWORD
	s_mov_b64 s[4:5], -1
                                        ; implicit-def: $sgpr10
	s_and_saveexec_b64 s[8:9], s[12:13]
; %bb.2618:
	s_mov_b32 s10, 0x7f800001
	s_xor_b64 s[4:5], exec, -1
; %bb.2619:
	s_or_b64 exec, exec, s[8:9]
	s_and_b64 s[4:5], s[4:5], exec
	s_or_saveexec_b64 s[6:7], s[6:7]
	v_mov_b32_e32 v10, s10
	s_xor_b64 exec, exec, s[6:7]
	s_cbranch_execz .LBB37_570
.LBB37_2620:
	v_mov_b32_e32 v10, 0
	v_cmp_ne_u16_sdwa s[8:9], v15, v10 src0_sel:BYTE_3 src1_sel:DWORD
	s_andn2_b64 s[4:5], s[4:5], exec
	s_and_b64 s[8:9], s[8:9], exec
	s_or_b64 s[4:5], s[4:5], s[8:9]
	s_or_b64 exec, exec, s[6:7]
	s_and_saveexec_b64 s[6:7], s[4:5]
	s_cbranch_execnz .LBB37_571
	s_branch .LBB37_572
.LBB37_2621:
	s_movk_i32 s4, 0x80
	v_cmp_eq_u16_sdwa s[12:13], v11, s4 src0_sel:BYTE_3 src1_sel:DWORD
	s_mov_b64 s[4:5], -1
                                        ; implicit-def: $sgpr10
	s_and_saveexec_b64 s[8:9], s[12:13]
; %bb.2622:
	s_mov_b32 s10, 0x7f800001
	s_xor_b64 s[4:5], exec, -1
; %bb.2623:
	s_or_b64 exec, exec, s[8:9]
	s_and_b64 s[4:5], s[4:5], exec
	s_or_saveexec_b64 s[6:7], s[6:7]
	v_mov_b32_e32 v14, s10
	s_xor_b64 exec, exec, s[6:7]
	s_cbranch_execz .LBB37_574
.LBB37_2624:
	v_mov_b32_e32 v14, 0
	v_cmp_ne_u16_sdwa s[8:9], v11, v14 src0_sel:BYTE_3 src1_sel:DWORD
	s_andn2_b64 s[4:5], s[4:5], exec
	s_and_b64 s[8:9], s[8:9], exec
	s_or_b64 s[4:5], s[4:5], s[8:9]
	s_or_b64 exec, exec, s[6:7]
	s_and_saveexec_b64 s[6:7], s[4:5]
	s_cbranch_execnz .LBB37_575
	s_branch .LBB37_576
.LBB37_2625:
	s_movk_i32 s4, 0x80
	v_cmp_eq_u16_sdwa s[12:13], v16, s4 src0_sel:BYTE_0 src1_sel:DWORD
	s_mov_b64 s[4:5], -1
                                        ; implicit-def: $sgpr10
	s_and_saveexec_b64 s[8:9], s[12:13]
; %bb.2626:
	s_mov_b32 s10, 0x7f800001
	s_xor_b64 s[4:5], exec, -1
; %bb.2627:
	s_or_b64 exec, exec, s[8:9]
	s_and_b64 s[4:5], s[4:5], exec
	s_or_saveexec_b64 s[6:7], s[6:7]
	v_mov_b32_e32 v10, s10
	s_xor_b64 exec, exec, s[6:7]
	s_cbranch_execz .LBB37_578
.LBB37_2628:
	v_mov_b32_e32 v10, 0
	v_cmp_ne_u16_sdwa s[8:9], v16, v10 src0_sel:BYTE_0 src1_sel:DWORD
	s_andn2_b64 s[4:5], s[4:5], exec
	s_and_b64 s[8:9], s[8:9], exec
	s_or_b64 s[4:5], s[4:5], s[8:9]
	s_or_b64 exec, exec, s[6:7]
	s_and_saveexec_b64 s[6:7], s[4:5]
	s_cbranch_execnz .LBB37_579
	s_branch .LBB37_580
.LBB37_2629:
	s_movk_i32 s4, 0x80
	v_cmp_eq_u16_sdwa s[12:13], v12, s4 src0_sel:BYTE_0 src1_sel:DWORD
	s_mov_b64 s[4:5], -1
                                        ; implicit-def: $sgpr10
	s_and_saveexec_b64 s[8:9], s[12:13]
; %bb.2630:
	s_mov_b32 s10, 0x7f800001
	s_xor_b64 s[4:5], exec, -1
; %bb.2631:
	s_or_b64 exec, exec, s[8:9]
	s_and_b64 s[4:5], s[4:5], exec
	s_or_saveexec_b64 s[6:7], s[6:7]
	v_mov_b32_e32 v11, s10
	s_xor_b64 exec, exec, s[6:7]
	s_cbranch_execz .LBB37_582
.LBB37_2632:
	v_mov_b32_e32 v11, 0
	v_cmp_ne_u16_sdwa s[8:9], v12, v11 src0_sel:BYTE_0 src1_sel:DWORD
	s_andn2_b64 s[4:5], s[4:5], exec
	s_and_b64 s[8:9], s[8:9], exec
	s_or_b64 s[4:5], s[4:5], s[8:9]
	s_or_b64 exec, exec, s[6:7]
	s_and_saveexec_b64 s[6:7], s[4:5]
	s_cbranch_execnz .LBB37_583
	s_branch .LBB37_584
.LBB37_2633:
	s_movk_i32 s4, 0x80
	v_cmp_eq_u16_sdwa s[12:13], v11, s4 src0_sel:BYTE_0 src1_sel:DWORD
	s_mov_b64 s[4:5], -1
                                        ; implicit-def: $sgpr10
	s_and_saveexec_b64 s[8:9], s[12:13]
; %bb.2634:
	s_mov_b32 s10, 0x7f800001
	s_xor_b64 s[4:5], exec, -1
; %bb.2635:
	s_or_b64 exec, exec, s[8:9]
	s_and_b64 s[4:5], s[4:5], exec
	s_or_saveexec_b64 s[6:7], s[6:7]
	v_mov_b32_e32 v10, s10
	s_xor_b64 exec, exec, s[6:7]
	s_cbranch_execz .LBB37_586
.LBB37_2636:
	v_mov_b32_e32 v10, 0
	v_cmp_ne_u16_sdwa s[8:9], v11, v10 src0_sel:BYTE_0 src1_sel:DWORD
	s_andn2_b64 s[4:5], s[4:5], exec
	s_and_b64 s[8:9], s[8:9], exec
	s_or_b64 s[4:5], s[4:5], s[8:9]
	s_or_b64 exec, exec, s[6:7]
	s_and_saveexec_b64 s[6:7], s[4:5]
	s_cbranch_execnz .LBB37_587
	s_branch .LBB37_588
.LBB37_2637:
	s_movk_i32 s4, 0x80
	v_cmp_eq_u16_sdwa s[12:13], v11, s4 src0_sel:BYTE_0 src1_sel:DWORD
	s_mov_b64 s[4:5], -1
                                        ; implicit-def: $sgpr10
	s_and_saveexec_b64 s[8:9], s[12:13]
; %bb.2638:
	s_mov_b32 s10, 0x7f800001
	s_xor_b64 s[4:5], exec, -1
; %bb.2639:
	s_or_b64 exec, exec, s[8:9]
	s_and_b64 s[4:5], s[4:5], exec
	s_or_saveexec_b64 s[6:7], s[6:7]
	v_mov_b32_e32 v14, s10
	s_xor_b64 exec, exec, s[6:7]
	s_cbranch_execz .LBB37_590
.LBB37_2640:
	v_mov_b32_e32 v14, 0
	v_cmp_ne_u16_sdwa s[8:9], v11, v14 src0_sel:BYTE_0 src1_sel:DWORD
	s_andn2_b64 s[4:5], s[4:5], exec
	s_and_b64 s[8:9], s[8:9], exec
	s_or_b64 s[4:5], s[4:5], s[8:9]
	s_or_b64 exec, exec, s[6:7]
	s_and_saveexec_b64 s[6:7], s[4:5]
	s_cbranch_execnz .LBB37_591
	s_branch .LBB37_592
.LBB37_2641:
	s_movk_i32 s4, 0x80
	v_cmp_eq_u16_e32 vcc, s4, v11
	s_mov_b64 s[4:5], -1
                                        ; implicit-def: $sgpr10
	s_and_saveexec_b64 s[8:9], vcc
; %bb.2642:
	s_mov_b32 s10, 0x7f800001
	s_xor_b64 s[4:5], exec, -1
; %bb.2643:
	s_or_b64 exec, exec, s[8:9]
	s_and_b64 s[4:5], s[4:5], exec
                                        ; implicit-def: $vgpr11
	s_or_saveexec_b64 s[6:7], s[6:7]
	v_mov_b32_e32 v10, s10
	s_xor_b64 exec, exec, s[6:7]
	s_cbranch_execz .LBB37_594
.LBB37_2644:
	v_cmp_ne_u16_e32 vcc, 0, v11
	s_andn2_b64 s[4:5], s[4:5], exec
	s_and_b64 s[8:9], vcc, exec
	v_mov_b32_e32 v10, 0
	s_or_b64 s[4:5], s[4:5], s[8:9]
	s_or_b64 exec, exec, s[6:7]
	s_and_saveexec_b64 s[6:7], s[4:5]
	s_cbranch_execnz .LBB37_595
	s_branch .LBB37_596
.LBB37_2645:
	s_movk_i32 s4, 0x80
	v_cmp_eq_u16_e32 vcc, s4, v11
	s_mov_b64 s[4:5], -1
                                        ; implicit-def: $sgpr10
	s_and_saveexec_b64 s[8:9], vcc
; %bb.2646:
	s_mov_b32 s10, 0x7f800001
	s_xor_b64 s[4:5], exec, -1
; %bb.2647:
	s_or_b64 exec, exec, s[8:9]
	s_and_b64 s[4:5], s[4:5], exec
                                        ; implicit-def: $vgpr11
	s_or_saveexec_b64 s[6:7], s[6:7]
	v_mov_b32_e32 v14, s10
	s_xor_b64 exec, exec, s[6:7]
	s_cbranch_execz .LBB37_598
.LBB37_2648:
	v_cmp_ne_u16_e32 vcc, 0, v11
	s_andn2_b64 s[4:5], s[4:5], exec
	s_and_b64 s[8:9], vcc, exec
	v_mov_b32_e32 v14, 0
	s_or_b64 s[4:5], s[4:5], s[8:9]
	s_or_b64 exec, exec, s[6:7]
	s_and_saveexec_b64 s[6:7], s[4:5]
	s_cbranch_execnz .LBB37_599
	s_branch .LBB37_600
.LBB37_2649:
	s_movk_i32 s4, 0x80
	v_cmp_eq_u16_sdwa s[12:13], v16, s4 src0_sel:BYTE_3 src1_sel:DWORD
	s_mov_b64 s[4:5], -1
                                        ; implicit-def: $sgpr10
	s_and_saveexec_b64 s[8:9], s[12:13]
; %bb.2650:
	s_mov_b32 s10, 0x7f800001
	s_xor_b64 s[4:5], exec, -1
; %bb.2651:
	s_or_b64 exec, exec, s[8:9]
	s_and_b64 s[4:5], s[4:5], exec
	s_or_saveexec_b64 s[6:7], s[6:7]
	v_mov_b32_e32 v10, s10
	s_xor_b64 exec, exec, s[6:7]
	s_cbranch_execz .LBB37_602
.LBB37_2652:
	v_mov_b32_e32 v10, 0
	v_cmp_ne_u16_sdwa s[8:9], v16, v10 src0_sel:BYTE_3 src1_sel:DWORD
	s_andn2_b64 s[4:5], s[4:5], exec
	s_and_b64 s[8:9], s[8:9], exec
	s_or_b64 s[4:5], s[4:5], s[8:9]
	s_or_b64 exec, exec, s[6:7]
	s_and_saveexec_b64 s[6:7], s[4:5]
	s_cbranch_execnz .LBB37_603
	s_branch .LBB37_604
.LBB37_2653:
	s_movk_i32 s4, 0x80
	v_cmp_eq_u16_sdwa s[12:13], v12, s4 src0_sel:BYTE_3 src1_sel:DWORD
	s_mov_b64 s[4:5], -1
                                        ; implicit-def: $sgpr10
	s_and_saveexec_b64 s[8:9], s[12:13]
; %bb.2654:
	s_mov_b32 s10, 0x7f800001
	s_xor_b64 s[4:5], exec, -1
; %bb.2655:
	s_or_b64 exec, exec, s[8:9]
	s_and_b64 s[4:5], s[4:5], exec
	s_or_saveexec_b64 s[6:7], s[6:7]
	v_mov_b32_e32 v11, s10
	s_xor_b64 exec, exec, s[6:7]
	s_cbranch_execz .LBB37_606
.LBB37_2656:
	v_mov_b32_e32 v11, 0
	v_cmp_ne_u16_sdwa s[8:9], v12, v11 src0_sel:BYTE_3 src1_sel:DWORD
	s_andn2_b64 s[4:5], s[4:5], exec
	s_and_b64 s[8:9], s[8:9], exec
	s_or_b64 s[4:5], s[4:5], s[8:9]
	s_or_b64 exec, exec, s[6:7]
	s_and_saveexec_b64 s[6:7], s[4:5]
	s_cbranch_execnz .LBB37_607
	s_branch .LBB37_608
.LBB37_2657:
	s_movk_i32 s4, 0x80
	v_cmp_eq_u16_sdwa s[12:13], v17, s4 src0_sel:BYTE_0 src1_sel:DWORD
	s_mov_b64 s[4:5], -1
                                        ; implicit-def: $sgpr10
	s_and_saveexec_b64 s[8:9], s[12:13]
; %bb.2658:
	s_mov_b32 s10, 0x7f800001
	s_xor_b64 s[4:5], exec, -1
; %bb.2659:
	s_or_b64 exec, exec, s[8:9]
	s_and_b64 s[4:5], s[4:5], exec
	s_or_saveexec_b64 s[6:7], s[6:7]
	v_mov_b32_e32 v10, s10
	s_xor_b64 exec, exec, s[6:7]
	s_cbranch_execz .LBB37_610
.LBB37_2660:
	v_mov_b32_e32 v10, 0
	v_cmp_ne_u16_sdwa s[8:9], v17, v10 src0_sel:BYTE_0 src1_sel:DWORD
	s_andn2_b64 s[4:5], s[4:5], exec
	s_and_b64 s[8:9], s[8:9], exec
	s_or_b64 s[4:5], s[4:5], s[8:9]
	s_or_b64 exec, exec, s[6:7]
	s_and_saveexec_b64 s[6:7], s[4:5]
	s_cbranch_execnz .LBB37_611
	s_branch .LBB37_612
.LBB37_2661:
	s_movk_i32 s4, 0x80
	v_cmp_eq_u16_sdwa s[12:13], v13, s4 src0_sel:BYTE_0 src1_sel:DWORD
	s_mov_b64 s[4:5], -1
                                        ; implicit-def: $sgpr10
	s_and_saveexec_b64 s[8:9], s[12:13]
; %bb.2662:
	s_mov_b32 s10, 0x7f800001
	s_xor_b64 s[4:5], exec, -1
; %bb.2663:
	s_or_b64 exec, exec, s[8:9]
	s_and_b64 s[4:5], s[4:5], exec
	s_or_saveexec_b64 s[6:7], s[6:7]
	v_mov_b32_e32 v11, s10
	s_xor_b64 exec, exec, s[6:7]
	s_cbranch_execz .LBB37_614
.LBB37_2664:
	v_mov_b32_e32 v11, 0
	v_cmp_ne_u16_sdwa s[8:9], v13, v11 src0_sel:BYTE_0 src1_sel:DWORD
	s_andn2_b64 s[4:5], s[4:5], exec
	s_and_b64 s[8:9], s[8:9], exec
	s_or_b64 s[4:5], s[4:5], s[8:9]
	s_or_b64 exec, exec, s[6:7]
	s_and_saveexec_b64 s[6:7], s[4:5]
	s_cbranch_execnz .LBB37_615
	s_branch .LBB37_616
.LBB37_2665:
	s_movk_i32 s4, 0x80
	v_cmp_eq_u16_sdwa s[12:13], v11, s4 src0_sel:BYTE_0 src1_sel:DWORD
	s_mov_b64 s[4:5], -1
                                        ; implicit-def: $sgpr10
	s_and_saveexec_b64 s[8:9], s[12:13]
; %bb.2666:
	s_mov_b32 s10, 0x7f800001
	s_xor_b64 s[4:5], exec, -1
; %bb.2667:
	s_or_b64 exec, exec, s[8:9]
	s_and_b64 s[4:5], s[4:5], exec
	s_or_saveexec_b64 s[6:7], s[6:7]
	v_mov_b32_e32 v10, s10
	s_xor_b64 exec, exec, s[6:7]
	s_cbranch_execz .LBB37_618
.LBB37_2668:
	v_mov_b32_e32 v10, 0
	v_cmp_ne_u16_sdwa s[8:9], v11, v10 src0_sel:BYTE_0 src1_sel:DWORD
	s_andn2_b64 s[4:5], s[4:5], exec
	s_and_b64 s[8:9], s[8:9], exec
	s_or_b64 s[4:5], s[4:5], s[8:9]
	s_or_b64 exec, exec, s[6:7]
	s_and_saveexec_b64 s[6:7], s[4:5]
	s_cbranch_execnz .LBB37_619
	s_branch .LBB37_620
.LBB37_2669:
	s_movk_i32 s4, 0x80
	v_cmp_eq_u16_sdwa s[12:13], v11, s4 src0_sel:BYTE_0 src1_sel:DWORD
	s_mov_b64 s[4:5], -1
                                        ; implicit-def: $sgpr10
	s_and_saveexec_b64 s[8:9], s[12:13]
; %bb.2670:
	s_mov_b32 s10, 0x7f800001
	s_xor_b64 s[4:5], exec, -1
; %bb.2671:
	s_or_b64 exec, exec, s[8:9]
	s_and_b64 s[4:5], s[4:5], exec
	s_or_saveexec_b64 s[6:7], s[6:7]
	v_mov_b32_e32 v12, s10
	s_xor_b64 exec, exec, s[6:7]
	s_cbranch_execz .LBB37_622
.LBB37_2672:
	v_mov_b32_e32 v12, 0
	v_cmp_ne_u16_sdwa s[8:9], v11, v12 src0_sel:BYTE_0 src1_sel:DWORD
	s_andn2_b64 s[4:5], s[4:5], exec
	s_and_b64 s[8:9], s[8:9], exec
	s_or_b64 s[4:5], s[4:5], s[8:9]
	s_or_b64 exec, exec, s[6:7]
	s_and_saveexec_b64 s[6:7], s[4:5]
	s_cbranch_execnz .LBB37_623
	s_branch .LBB37_624
.LBB37_2673:
	s_movk_i32 s4, 0x80
	v_cmp_eq_u16_e32 vcc, s4, v11
	s_mov_b64 s[4:5], -1
                                        ; implicit-def: $sgpr10
	s_and_saveexec_b64 s[8:9], vcc
; %bb.2674:
	s_mov_b32 s10, 0x7f800001
	s_xor_b64 s[4:5], exec, -1
; %bb.2675:
	s_or_b64 exec, exec, s[8:9]
	s_and_b64 s[4:5], s[4:5], exec
                                        ; implicit-def: $vgpr11
	s_or_saveexec_b64 s[6:7], s[6:7]
	v_mov_b32_e32 v10, s10
	s_xor_b64 exec, exec, s[6:7]
	s_cbranch_execz .LBB37_626
.LBB37_2676:
	v_cmp_ne_u16_e32 vcc, 0, v11
	s_andn2_b64 s[4:5], s[4:5], exec
	s_and_b64 s[8:9], vcc, exec
	v_mov_b32_e32 v10, 0
	s_or_b64 s[4:5], s[4:5], s[8:9]
	s_or_b64 exec, exec, s[6:7]
	s_and_saveexec_b64 s[6:7], s[4:5]
	s_cbranch_execnz .LBB37_627
	s_branch .LBB37_628
.LBB37_2677:
	s_movk_i32 s4, 0x80
	v_cmp_eq_u16_e32 vcc, s4, v11
	s_mov_b64 s[4:5], -1
                                        ; implicit-def: $sgpr10
	s_and_saveexec_b64 s[8:9], vcc
; %bb.2678:
	s_mov_b32 s10, 0x7f800001
	s_xor_b64 s[4:5], exec, -1
; %bb.2679:
	s_or_b64 exec, exec, s[8:9]
	s_and_b64 s[4:5], s[4:5], exec
                                        ; implicit-def: $vgpr11
	s_or_saveexec_b64 s[6:7], s[6:7]
	v_mov_b32_e32 v12, s10
	s_xor_b64 exec, exec, s[6:7]
	s_cbranch_execz .LBB37_630
.LBB37_2680:
	v_cmp_ne_u16_e32 vcc, 0, v11
	s_andn2_b64 s[4:5], s[4:5], exec
	s_and_b64 s[8:9], vcc, exec
	v_mov_b32_e32 v12, 0
	s_or_b64 s[4:5], s[4:5], s[8:9]
	s_or_b64 exec, exec, s[6:7]
	s_and_saveexec_b64 s[6:7], s[4:5]
	s_cbranch_execnz .LBB37_631
	s_branch .LBB37_632
.LBB37_2681:
	s_movk_i32 s4, 0x80
	v_cmp_eq_u16_sdwa s[12:13], v17, s4 src0_sel:BYTE_3 src1_sel:DWORD
	s_mov_b64 s[4:5], -1
                                        ; implicit-def: $sgpr10
	s_and_saveexec_b64 s[8:9], s[12:13]
; %bb.2682:
	s_mov_b32 s10, 0x7f800001
	s_xor_b64 s[4:5], exec, -1
; %bb.2683:
	s_or_b64 exec, exec, s[8:9]
	s_and_b64 s[4:5], s[4:5], exec
	s_or_saveexec_b64 s[6:7], s[6:7]
	v_mov_b32_e32 v10, s10
	s_xor_b64 exec, exec, s[6:7]
	s_cbranch_execz .LBB37_634
.LBB37_2684:
	v_mov_b32_e32 v10, 0
	v_cmp_ne_u16_sdwa s[8:9], v17, v10 src0_sel:BYTE_3 src1_sel:DWORD
	s_andn2_b64 s[4:5], s[4:5], exec
	s_and_b64 s[8:9], s[8:9], exec
	s_or_b64 s[4:5], s[4:5], s[8:9]
	s_or_b64 exec, exec, s[6:7]
	s_and_saveexec_b64 s[6:7], s[4:5]
	s_cbranch_execnz .LBB37_635
	s_branch .LBB37_636
.LBB37_2685:
	s_movk_i32 s4, 0x80
	v_cmp_eq_u16_sdwa s[12:13], v13, s4 src0_sel:BYTE_3 src1_sel:DWORD
	s_mov_b64 s[4:5], -1
                                        ; implicit-def: $sgpr10
	s_and_saveexec_b64 s[8:9], s[12:13]
; %bb.2686:
	s_mov_b32 s10, 0x7f800001
	s_xor_b64 s[4:5], exec, -1
; %bb.2687:
	s_or_b64 exec, exec, s[8:9]
	s_and_b64 s[4:5], s[4:5], exec
	s_or_saveexec_b64 s[6:7], s[6:7]
	v_mov_b32_e32 v11, s10
	s_xor_b64 exec, exec, s[6:7]
	s_cbranch_execz .LBB37_638
.LBB37_2688:
	v_mov_b32_e32 v11, 0
	v_cmp_ne_u16_sdwa s[8:9], v13, v11 src0_sel:BYTE_3 src1_sel:DWORD
	s_andn2_b64 s[4:5], s[4:5], exec
	s_and_b64 s[8:9], s[8:9], exec
	s_or_b64 s[4:5], s[4:5], s[8:9]
	s_or_b64 exec, exec, s[6:7]
	s_and_saveexec_b64 s[6:7], s[4:5]
	s_cbranch_execnz .LBB37_639
	s_branch .LBB37_640
.LBB37_2689:
	s_movk_i32 s4, 0x80
	v_cmp_eq_u16_sdwa s[12:13], v6, s4 src0_sel:BYTE_0 src1_sel:DWORD
	s_mov_b64 s[4:5], -1
                                        ; implicit-def: $sgpr10
	s_and_saveexec_b64 s[8:9], s[12:13]
; %bb.2690:
	s_mov_b32 s10, 0x7f800001
	s_xor_b64 s[4:5], exec, -1
; %bb.2691:
	s_or_b64 exec, exec, s[8:9]
	s_and_b64 s[4:5], s[4:5], exec
	s_or_saveexec_b64 s[6:7], s[6:7]
	v_mov_b32_e32 v10, s10
	s_xor_b64 exec, exec, s[6:7]
	s_cbranch_execz .LBB37_642
.LBB37_2692:
	v_mov_b32_e32 v10, 0
	v_cmp_ne_u16_sdwa s[8:9], v6, v10 src0_sel:BYTE_0 src1_sel:DWORD
	s_andn2_b64 s[4:5], s[4:5], exec
	s_and_b64 s[8:9], s[8:9], exec
	s_or_b64 s[4:5], s[4:5], s[8:9]
	s_or_b64 exec, exec, s[6:7]
	s_and_saveexec_b64 s[6:7], s[4:5]
	s_cbranch_execnz .LBB37_643
	s_branch .LBB37_644
.LBB37_2693:
	s_movk_i32 s4, 0x80
	v_cmp_eq_u16_sdwa s[12:13], v2, s4 src0_sel:BYTE_0 src1_sel:DWORD
	s_mov_b64 s[4:5], -1
                                        ; implicit-def: $sgpr10
	s_and_saveexec_b64 s[8:9], s[12:13]
; %bb.2694:
	s_mov_b32 s10, 0x7f800001
	s_xor_b64 s[4:5], exec, -1
; %bb.2695:
	s_or_b64 exec, exec, s[8:9]
	s_and_b64 s[4:5], s[4:5], exec
	s_or_saveexec_b64 s[6:7], s[6:7]
	v_mov_b32_e32 v11, s10
	s_xor_b64 exec, exec, s[6:7]
	s_cbranch_execz .LBB37_646
.LBB37_2696:
	v_mov_b32_e32 v11, 0
	v_cmp_ne_u16_sdwa s[8:9], v2, v11 src0_sel:BYTE_0 src1_sel:DWORD
	s_andn2_b64 s[4:5], s[4:5], exec
	s_and_b64 s[8:9], s[8:9], exec
	s_or_b64 s[4:5], s[4:5], s[8:9]
	s_or_b64 exec, exec, s[6:7]
	s_and_saveexec_b64 s[6:7], s[4:5]
	s_cbranch_execnz .LBB37_647
	s_branch .LBB37_648
.LBB37_2697:
	s_movk_i32 s4, 0x80
	v_cmp_eq_u16_sdwa s[12:13], v11, s4 src0_sel:BYTE_0 src1_sel:DWORD
	s_mov_b64 s[4:5], -1
                                        ; implicit-def: $sgpr10
	s_and_saveexec_b64 s[8:9], s[12:13]
; %bb.2698:
	s_mov_b32 s10, 0x7f800001
	s_xor_b64 s[4:5], exec, -1
; %bb.2699:
	s_or_b64 exec, exec, s[8:9]
	s_and_b64 s[4:5], s[4:5], exec
	s_or_saveexec_b64 s[6:7], s[6:7]
	v_mov_b32_e32 v10, s10
	s_xor_b64 exec, exec, s[6:7]
	s_cbranch_execz .LBB37_650
.LBB37_2700:
	v_mov_b32_e32 v10, 0
	v_cmp_ne_u16_sdwa s[8:9], v11, v10 src0_sel:BYTE_0 src1_sel:DWORD
	s_andn2_b64 s[4:5], s[4:5], exec
	s_and_b64 s[8:9], s[8:9], exec
	s_or_b64 s[4:5], s[4:5], s[8:9]
	s_or_b64 exec, exec, s[6:7]
	s_and_saveexec_b64 s[6:7], s[4:5]
	s_cbranch_execnz .LBB37_651
	s_branch .LBB37_652
.LBB37_2701:
	s_movk_i32 s4, 0x80
	v_cmp_eq_u16_sdwa s[12:13], v11, s4 src0_sel:BYTE_0 src1_sel:DWORD
	s_mov_b64 s[4:5], -1
                                        ; implicit-def: $sgpr10
	s_and_saveexec_b64 s[8:9], s[12:13]
; %bb.2702:
	s_mov_b32 s10, 0x7f800001
	s_xor_b64 s[4:5], exec, -1
; %bb.2703:
	s_or_b64 exec, exec, s[8:9]
	s_and_b64 s[4:5], s[4:5], exec
	s_or_saveexec_b64 s[6:7], s[6:7]
	v_mov_b32_e32 v12, s10
	s_xor_b64 exec, exec, s[6:7]
	s_cbranch_execz .LBB37_654
.LBB37_2704:
	v_mov_b32_e32 v12, 0
	v_cmp_ne_u16_sdwa s[8:9], v11, v12 src0_sel:BYTE_0 src1_sel:DWORD
	s_andn2_b64 s[4:5], s[4:5], exec
	s_and_b64 s[8:9], s[8:9], exec
	s_or_b64 s[4:5], s[4:5], s[8:9]
	s_or_b64 exec, exec, s[6:7]
	s_and_saveexec_b64 s[6:7], s[4:5]
	s_cbranch_execnz .LBB37_655
	s_branch .LBB37_656
.LBB37_2705:
	s_movk_i32 s4, 0x80
	v_cmp_eq_u16_e32 vcc, s4, v11
	s_mov_b64 s[4:5], -1
                                        ; implicit-def: $sgpr10
	s_and_saveexec_b64 s[8:9], vcc
; %bb.2706:
	s_mov_b32 s10, 0x7f800001
	s_xor_b64 s[4:5], exec, -1
; %bb.2707:
	s_or_b64 exec, exec, s[8:9]
	s_and_b64 s[4:5], s[4:5], exec
                                        ; implicit-def: $vgpr11
	s_or_saveexec_b64 s[6:7], s[6:7]
	v_mov_b32_e32 v10, s10
	s_xor_b64 exec, exec, s[6:7]
	s_cbranch_execz .LBB37_658
.LBB37_2708:
	v_cmp_ne_u16_e32 vcc, 0, v11
	s_andn2_b64 s[4:5], s[4:5], exec
	s_and_b64 s[8:9], vcc, exec
	v_mov_b32_e32 v10, 0
	s_or_b64 s[4:5], s[4:5], s[8:9]
	s_or_b64 exec, exec, s[6:7]
	s_and_saveexec_b64 s[6:7], s[4:5]
	s_cbranch_execnz .LBB37_659
	s_branch .LBB37_660
.LBB37_2709:
	s_movk_i32 s4, 0x80
	v_cmp_eq_u16_e32 vcc, s4, v11
	s_mov_b64 s[4:5], -1
                                        ; implicit-def: $sgpr10
	s_and_saveexec_b64 s[8:9], vcc
; %bb.2710:
	s_mov_b32 s10, 0x7f800001
	s_xor_b64 s[4:5], exec, -1
; %bb.2711:
	s_or_b64 exec, exec, s[8:9]
	s_and_b64 s[4:5], s[4:5], exec
                                        ; implicit-def: $vgpr11
	s_or_saveexec_b64 s[6:7], s[6:7]
	v_mov_b32_e32 v12, s10
	s_xor_b64 exec, exec, s[6:7]
	s_cbranch_execz .LBB37_662
.LBB37_2712:
	v_cmp_ne_u16_e32 vcc, 0, v11
	s_andn2_b64 s[4:5], s[4:5], exec
	s_and_b64 s[8:9], vcc, exec
	v_mov_b32_e32 v12, 0
	s_or_b64 s[4:5], s[4:5], s[8:9]
	s_or_b64 exec, exec, s[6:7]
	s_and_saveexec_b64 s[6:7], s[4:5]
	s_cbranch_execnz .LBB37_663
	s_branch .LBB37_664
.LBB37_2713:
	s_movk_i32 s4, 0x80
	v_cmp_eq_u16_sdwa s[12:13], v6, s4 src0_sel:BYTE_3 src1_sel:DWORD
	s_mov_b64 s[4:5], -1
                                        ; implicit-def: $sgpr10
	s_and_saveexec_b64 s[8:9], s[12:13]
; %bb.2714:
	s_mov_b32 s10, 0x7f800001
	s_xor_b64 s[4:5], exec, -1
; %bb.2715:
	s_or_b64 exec, exec, s[8:9]
	s_and_b64 s[4:5], s[4:5], exec
	s_or_saveexec_b64 s[6:7], s[6:7]
	v_mov_b32_e32 v10, s10
	s_xor_b64 exec, exec, s[6:7]
	s_cbranch_execz .LBB37_666
.LBB37_2716:
	v_mov_b32_e32 v10, 0
	v_cmp_ne_u16_sdwa s[8:9], v6, v10 src0_sel:BYTE_3 src1_sel:DWORD
	s_andn2_b64 s[4:5], s[4:5], exec
	s_and_b64 s[8:9], s[8:9], exec
	s_or_b64 s[4:5], s[4:5], s[8:9]
	s_or_b64 exec, exec, s[6:7]
	s_and_saveexec_b64 s[6:7], s[4:5]
	s_cbranch_execnz .LBB37_667
	s_branch .LBB37_668
.LBB37_2717:
	s_movk_i32 s4, 0x80
	v_cmp_eq_u16_sdwa s[12:13], v2, s4 src0_sel:BYTE_3 src1_sel:DWORD
	s_mov_b64 s[4:5], -1
                                        ; implicit-def: $sgpr10
	s_and_saveexec_b64 s[8:9], s[12:13]
; %bb.2718:
	s_mov_b32 s10, 0x7f800001
	s_xor_b64 s[4:5], exec, -1
; %bb.2719:
	s_or_b64 exec, exec, s[8:9]
	s_and_b64 s[4:5], s[4:5], exec
	s_or_saveexec_b64 s[6:7], s[6:7]
	v_mov_b32_e32 v6, s10
	s_xor_b64 exec, exec, s[6:7]
	s_cbranch_execz .LBB37_670
.LBB37_2720:
	v_mov_b32_e32 v6, 0
	v_cmp_ne_u16_sdwa s[8:9], v2, v6 src0_sel:BYTE_3 src1_sel:DWORD
	s_andn2_b64 s[4:5], s[4:5], exec
	s_and_b64 s[8:9], s[8:9], exec
	s_or_b64 s[4:5], s[4:5], s[8:9]
	s_or_b64 exec, exec, s[6:7]
	s_and_saveexec_b64 s[6:7], s[4:5]
	s_cbranch_execnz .LBB37_671
	s_branch .LBB37_672
.LBB37_2721:
	s_movk_i32 s4, 0x80
	v_cmp_eq_u16_sdwa s[12:13], v7, s4 src0_sel:BYTE_0 src1_sel:DWORD
	s_mov_b64 s[4:5], -1
                                        ; implicit-def: $sgpr10
	s_and_saveexec_b64 s[8:9], s[12:13]
; %bb.2722:
	s_mov_b32 s10, 0x7f800001
	s_xor_b64 s[4:5], exec, -1
; %bb.2723:
	s_or_b64 exec, exec, s[8:9]
	s_and_b64 s[4:5], s[4:5], exec
	s_or_saveexec_b64 s[6:7], s[6:7]
	v_mov_b32_e32 v2, s10
	s_xor_b64 exec, exec, s[6:7]
	s_cbranch_execz .LBB37_674
.LBB37_2724:
	v_mov_b32_e32 v2, 0
	v_cmp_ne_u16_sdwa s[8:9], v7, v2 src0_sel:BYTE_0 src1_sel:DWORD
	s_andn2_b64 s[4:5], s[4:5], exec
	s_and_b64 s[8:9], s[8:9], exec
	s_or_b64 s[4:5], s[4:5], s[8:9]
	s_or_b64 exec, exec, s[6:7]
	s_and_saveexec_b64 s[6:7], s[4:5]
	s_cbranch_execnz .LBB37_675
	s_branch .LBB37_676
.LBB37_2725:
	s_movk_i32 s4, 0x80
	v_cmp_eq_u16_sdwa s[12:13], v3, s4 src0_sel:BYTE_0 src1_sel:DWORD
	s_mov_b64 s[4:5], -1
                                        ; implicit-def: $sgpr10
	s_and_saveexec_b64 s[8:9], s[12:13]
; %bb.2726:
	s_mov_b32 s10, 0x7f800001
	s_xor_b64 s[4:5], exec, -1
; %bb.2727:
	s_or_b64 exec, exec, s[8:9]
	s_and_b64 s[4:5], s[4:5], exec
	s_or_saveexec_b64 s[6:7], s[6:7]
	v_mov_b32_e32 v6, s10
	s_xor_b64 exec, exec, s[6:7]
	s_cbranch_execz .LBB37_678
.LBB37_2728:
	v_mov_b32_e32 v6, 0
	v_cmp_ne_u16_sdwa s[8:9], v3, v6 src0_sel:BYTE_0 src1_sel:DWORD
	s_andn2_b64 s[4:5], s[4:5], exec
	s_and_b64 s[8:9], s[8:9], exec
	s_or_b64 s[4:5], s[4:5], s[8:9]
	s_or_b64 exec, exec, s[6:7]
	s_and_saveexec_b64 s[6:7], s[4:5]
	s_cbranch_execnz .LBB37_679
	s_branch .LBB37_680
.LBB37_2729:
	s_movk_i32 s4, 0x80
	v_cmp_eq_u16_sdwa s[12:13], v6, s4 src0_sel:BYTE_0 src1_sel:DWORD
	s_mov_b64 s[4:5], -1
                                        ; implicit-def: $sgpr10
	s_and_saveexec_b64 s[8:9], s[12:13]
; %bb.2730:
	s_mov_b32 s10, 0x7f800001
	s_xor_b64 s[4:5], exec, -1
; %bb.2731:
	s_or_b64 exec, exec, s[8:9]
	s_and_b64 s[4:5], s[4:5], exec
	s_or_saveexec_b64 s[6:7], s[6:7]
	v_mov_b32_e32 v2, s10
	s_xor_b64 exec, exec, s[6:7]
	s_cbranch_execz .LBB37_682
.LBB37_2732:
	v_mov_b32_e32 v2, 0
	v_cmp_ne_u16_sdwa s[8:9], v6, v2 src0_sel:BYTE_0 src1_sel:DWORD
	s_andn2_b64 s[4:5], s[4:5], exec
	s_and_b64 s[8:9], s[8:9], exec
	s_or_b64 s[4:5], s[4:5], s[8:9]
	s_or_b64 exec, exec, s[6:7]
	s_and_saveexec_b64 s[6:7], s[4:5]
	s_cbranch_execnz .LBB37_683
	s_branch .LBB37_684
.LBB37_2733:
	s_movk_i32 s4, 0x80
	v_cmp_eq_u16_sdwa s[12:13], v6, s4 src0_sel:BYTE_0 src1_sel:DWORD
	s_mov_b64 s[4:5], -1
                                        ; implicit-def: $sgpr10
	s_and_saveexec_b64 s[8:9], s[12:13]
; %bb.2734:
	s_mov_b32 s10, 0x7f800001
	s_xor_b64 s[4:5], exec, -1
; %bb.2735:
	s_or_b64 exec, exec, s[8:9]
	s_and_b64 s[4:5], s[4:5], exec
	s_or_saveexec_b64 s[6:7], s[6:7]
	v_mov_b32_e32 v10, s10
	s_xor_b64 exec, exec, s[6:7]
	s_cbranch_execz .LBB37_686
.LBB37_2736:
	v_mov_b32_e32 v10, 0
	v_cmp_ne_u16_sdwa s[8:9], v6, v10 src0_sel:BYTE_0 src1_sel:DWORD
	s_andn2_b64 s[4:5], s[4:5], exec
	s_and_b64 s[8:9], s[8:9], exec
	s_or_b64 s[4:5], s[4:5], s[8:9]
	s_or_b64 exec, exec, s[6:7]
	s_and_saveexec_b64 s[6:7], s[4:5]
	s_cbranch_execnz .LBB37_687
	s_branch .LBB37_688
.LBB37_2737:
	s_movk_i32 s4, 0x80
	v_cmp_eq_u16_e32 vcc, s4, v6
	s_mov_b64 s[4:5], -1
                                        ; implicit-def: $sgpr10
	s_and_saveexec_b64 s[8:9], vcc
; %bb.2738:
	s_mov_b32 s10, 0x7f800001
	s_xor_b64 s[4:5], exec, -1
; %bb.2739:
	s_or_b64 exec, exec, s[8:9]
	s_and_b64 s[4:5], s[4:5], exec
                                        ; implicit-def: $vgpr6
	s_or_saveexec_b64 s[6:7], s[6:7]
	v_mov_b32_e32 v2, s10
	s_xor_b64 exec, exec, s[6:7]
	s_cbranch_execz .LBB37_690
.LBB37_2740:
	v_cmp_ne_u16_e32 vcc, 0, v6
	s_andn2_b64 s[4:5], s[4:5], exec
	s_and_b64 s[8:9], vcc, exec
	v_mov_b32_e32 v2, 0
	s_or_b64 s[4:5], s[4:5], s[8:9]
	s_or_b64 exec, exec, s[6:7]
	s_and_saveexec_b64 s[6:7], s[4:5]
	s_cbranch_execnz .LBB37_691
	s_branch .LBB37_692
.LBB37_2741:
	s_movk_i32 s4, 0x80
	v_cmp_eq_u16_e32 vcc, s4, v6
	s_mov_b64 s[4:5], -1
                                        ; implicit-def: $sgpr10
	s_and_saveexec_b64 s[8:9], vcc
; %bb.2742:
	s_mov_b32 s10, 0x7f800001
	s_xor_b64 s[4:5], exec, -1
; %bb.2743:
	s_or_b64 exec, exec, s[8:9]
	s_and_b64 s[4:5], s[4:5], exec
                                        ; implicit-def: $vgpr6
	s_or_saveexec_b64 s[6:7], s[6:7]
	v_mov_b32_e32 v10, s10
	s_xor_b64 exec, exec, s[6:7]
	s_cbranch_execz .LBB37_694
.LBB37_2744:
	v_cmp_ne_u16_e32 vcc, 0, v6
	s_andn2_b64 s[4:5], s[4:5], exec
	s_and_b64 s[8:9], vcc, exec
	v_mov_b32_e32 v10, 0
	s_or_b64 s[4:5], s[4:5], s[8:9]
	s_or_b64 exec, exec, s[6:7]
	s_and_saveexec_b64 s[6:7], s[4:5]
	s_cbranch_execnz .LBB37_695
	s_branch .LBB37_696
.LBB37_2745:
	s_movk_i32 s4, 0x80
	v_cmp_eq_u16_sdwa s[12:13], v7, s4 src0_sel:BYTE_3 src1_sel:DWORD
	s_mov_b64 s[4:5], -1
                                        ; implicit-def: $sgpr10
	s_and_saveexec_b64 s[8:9], s[12:13]
; %bb.2746:
	s_mov_b32 s10, 0x7f800001
	s_xor_b64 s[4:5], exec, -1
; %bb.2747:
	s_or_b64 exec, exec, s[8:9]
	s_and_b64 s[4:5], s[4:5], exec
	s_or_saveexec_b64 s[6:7], s[6:7]
	v_mov_b32_e32 v2, s10
	s_xor_b64 exec, exec, s[6:7]
	s_cbranch_execz .LBB37_698
.LBB37_2748:
	v_mov_b32_e32 v2, 0
	v_cmp_ne_u16_sdwa s[8:9], v7, v2 src0_sel:BYTE_3 src1_sel:DWORD
	s_andn2_b64 s[4:5], s[4:5], exec
	s_and_b64 s[8:9], s[8:9], exec
	s_or_b64 s[4:5], s[4:5], s[8:9]
	s_or_b64 exec, exec, s[6:7]
	s_and_saveexec_b64 s[6:7], s[4:5]
	s_cbranch_execnz .LBB37_699
	s_branch .LBB37_700
.LBB37_2749:
	s_movk_i32 s4, 0x80
	v_cmp_eq_u16_sdwa s[12:13], v3, s4 src0_sel:BYTE_3 src1_sel:DWORD
	s_mov_b64 s[4:5], -1
                                        ; implicit-def: $sgpr10
	s_and_saveexec_b64 s[8:9], s[12:13]
; %bb.2750:
	s_mov_b32 s10, 0x7f800001
	s_xor_b64 s[4:5], exec, -1
; %bb.2751:
	s_or_b64 exec, exec, s[8:9]
	s_and_b64 s[4:5], s[4:5], exec
	s_or_saveexec_b64 s[6:7], s[6:7]
	v_mov_b32_e32 v6, s10
	s_xor_b64 exec, exec, s[6:7]
	s_cbranch_execz .LBB37_702
.LBB37_2752:
	v_mov_b32_e32 v6, 0
	v_cmp_ne_u16_sdwa s[8:9], v3, v6 src0_sel:BYTE_3 src1_sel:DWORD
	s_andn2_b64 s[4:5], s[4:5], exec
	s_and_b64 s[8:9], s[8:9], exec
	s_or_b64 s[4:5], s[4:5], s[8:9]
	s_or_b64 exec, exec, s[6:7]
	s_and_saveexec_b64 s[6:7], s[4:5]
	s_cbranch_execnz .LBB37_703
	s_branch .LBB37_704
.LBB37_2753:
	s_movk_i32 s4, 0x80
	v_cmp_eq_u16_sdwa s[12:13], v8, s4 src0_sel:BYTE_0 src1_sel:DWORD
	s_mov_b64 s[4:5], -1
                                        ; implicit-def: $sgpr10
	s_and_saveexec_b64 s[8:9], s[12:13]
; %bb.2754:
	s_mov_b32 s10, 0x7f800001
	s_xor_b64 s[4:5], exec, -1
; %bb.2755:
	s_or_b64 exec, exec, s[8:9]
	s_and_b64 s[4:5], s[4:5], exec
	s_or_saveexec_b64 s[6:7], s[6:7]
	v_mov_b32_e32 v2, s10
	s_xor_b64 exec, exec, s[6:7]
	s_cbranch_execz .LBB37_706
.LBB37_2756:
	v_mov_b32_e32 v2, 0
	v_cmp_ne_u16_sdwa s[8:9], v8, v2 src0_sel:BYTE_0 src1_sel:DWORD
	s_andn2_b64 s[4:5], s[4:5], exec
	s_and_b64 s[8:9], s[8:9], exec
	s_or_b64 s[4:5], s[4:5], s[8:9]
	s_or_b64 exec, exec, s[6:7]
	s_and_saveexec_b64 s[6:7], s[4:5]
	s_cbranch_execnz .LBB37_707
	s_branch .LBB37_708
.LBB37_2757:
	s_movk_i32 s4, 0x80
	v_cmp_eq_u16_sdwa s[12:13], v4, s4 src0_sel:BYTE_0 src1_sel:DWORD
	s_mov_b64 s[4:5], -1
                                        ; implicit-def: $sgpr10
	s_and_saveexec_b64 s[8:9], s[12:13]
; %bb.2758:
	s_mov_b32 s10, 0x7f800001
	s_xor_b64 s[4:5], exec, -1
; %bb.2759:
	s_or_b64 exec, exec, s[8:9]
	s_and_b64 s[4:5], s[4:5], exec
	s_or_saveexec_b64 s[6:7], s[6:7]
	v_mov_b32_e32 v3, s10
	s_xor_b64 exec, exec, s[6:7]
	s_cbranch_execz .LBB37_710
.LBB37_2760:
	v_mov_b32_e32 v3, 0
	v_cmp_ne_u16_sdwa s[8:9], v4, v3 src0_sel:BYTE_0 src1_sel:DWORD
	s_andn2_b64 s[4:5], s[4:5], exec
	s_and_b64 s[8:9], s[8:9], exec
	s_or_b64 s[4:5], s[4:5], s[8:9]
	s_or_b64 exec, exec, s[6:7]
	s_and_saveexec_b64 s[6:7], s[4:5]
	s_cbranch_execnz .LBB37_711
	s_branch .LBB37_712
.LBB37_2761:
	s_movk_i32 s4, 0x80
	v_cmp_eq_u16_sdwa s[12:13], v3, s4 src0_sel:BYTE_0 src1_sel:DWORD
	s_mov_b64 s[4:5], -1
                                        ; implicit-def: $sgpr10
	s_and_saveexec_b64 s[8:9], s[12:13]
; %bb.2762:
	s_mov_b32 s10, 0x7f800001
	s_xor_b64 s[4:5], exec, -1
; %bb.2763:
	s_or_b64 exec, exec, s[8:9]
	s_and_b64 s[4:5], s[4:5], exec
	s_or_saveexec_b64 s[6:7], s[6:7]
	v_mov_b32_e32 v2, s10
	s_xor_b64 exec, exec, s[6:7]
	s_cbranch_execz .LBB37_714
.LBB37_2764:
	v_mov_b32_e32 v2, 0
	v_cmp_ne_u16_sdwa s[8:9], v3, v2 src0_sel:BYTE_0 src1_sel:DWORD
	s_andn2_b64 s[4:5], s[4:5], exec
	s_and_b64 s[8:9], s[8:9], exec
	s_or_b64 s[4:5], s[4:5], s[8:9]
	s_or_b64 exec, exec, s[6:7]
	s_and_saveexec_b64 s[6:7], s[4:5]
	s_cbranch_execnz .LBB37_715
	s_branch .LBB37_716
.LBB37_2765:
	s_movk_i32 s4, 0x80
	v_cmp_eq_u16_sdwa s[12:13], v3, s4 src0_sel:BYTE_0 src1_sel:DWORD
	s_mov_b64 s[4:5], -1
                                        ; implicit-def: $sgpr10
	s_and_saveexec_b64 s[8:9], s[12:13]
; %bb.2766:
	s_mov_b32 s10, 0x7f800001
	s_xor_b64 s[4:5], exec, -1
; %bb.2767:
	s_or_b64 exec, exec, s[8:9]
	s_and_b64 s[4:5], s[4:5], exec
	s_or_saveexec_b64 s[6:7], s[6:7]
	v_mov_b32_e32 v6, s10
	s_xor_b64 exec, exec, s[6:7]
	s_cbranch_execz .LBB37_718
.LBB37_2768:
	v_mov_b32_e32 v6, 0
	v_cmp_ne_u16_sdwa s[8:9], v3, v6 src0_sel:BYTE_0 src1_sel:DWORD
	s_andn2_b64 s[4:5], s[4:5], exec
	s_and_b64 s[8:9], s[8:9], exec
	s_or_b64 s[4:5], s[4:5], s[8:9]
	s_or_b64 exec, exec, s[6:7]
	s_and_saveexec_b64 s[6:7], s[4:5]
	s_cbranch_execnz .LBB37_719
	s_branch .LBB37_720
.LBB37_2769:
	s_movk_i32 s4, 0x80
	v_cmp_eq_u16_e32 vcc, s4, v3
	s_mov_b64 s[4:5], -1
                                        ; implicit-def: $sgpr10
	s_and_saveexec_b64 s[8:9], vcc
; %bb.2770:
	s_mov_b32 s10, 0x7f800001
	s_xor_b64 s[4:5], exec, -1
; %bb.2771:
	s_or_b64 exec, exec, s[8:9]
	s_and_b64 s[4:5], s[4:5], exec
                                        ; implicit-def: $vgpr3
	s_or_saveexec_b64 s[6:7], s[6:7]
	v_mov_b32_e32 v2, s10
	s_xor_b64 exec, exec, s[6:7]
	s_cbranch_execz .LBB37_722
.LBB37_2772:
	v_cmp_ne_u16_e32 vcc, 0, v3
	s_andn2_b64 s[4:5], s[4:5], exec
	s_and_b64 s[8:9], vcc, exec
	v_mov_b32_e32 v2, 0
	s_or_b64 s[4:5], s[4:5], s[8:9]
	s_or_b64 exec, exec, s[6:7]
	s_and_saveexec_b64 s[6:7], s[4:5]
	s_cbranch_execnz .LBB37_723
	s_branch .LBB37_724
.LBB37_2773:
	s_movk_i32 s4, 0x80
	v_cmp_eq_u16_e32 vcc, s4, v3
	s_mov_b64 s[4:5], -1
                                        ; implicit-def: $sgpr10
	s_and_saveexec_b64 s[8:9], vcc
; %bb.2774:
	s_mov_b32 s10, 0x7f800001
	s_xor_b64 s[4:5], exec, -1
; %bb.2775:
	s_or_b64 exec, exec, s[8:9]
	s_and_b64 s[4:5], s[4:5], exec
                                        ; implicit-def: $vgpr3
	s_or_saveexec_b64 s[6:7], s[6:7]
	v_mov_b32_e32 v6, s10
	s_xor_b64 exec, exec, s[6:7]
	s_cbranch_execz .LBB37_726
.LBB37_2776:
	v_cmp_ne_u16_e32 vcc, 0, v3
	s_andn2_b64 s[4:5], s[4:5], exec
	s_and_b64 s[8:9], vcc, exec
	v_mov_b32_e32 v6, 0
	s_or_b64 s[4:5], s[4:5], s[8:9]
	s_or_b64 exec, exec, s[6:7]
	s_and_saveexec_b64 s[6:7], s[4:5]
	s_cbranch_execnz .LBB37_727
	s_branch .LBB37_728
.LBB37_2777:
	s_movk_i32 s4, 0x80
	v_cmp_eq_u16_sdwa s[12:13], v8, s4 src0_sel:BYTE_3 src1_sel:DWORD
	s_mov_b64 s[4:5], -1
                                        ; implicit-def: $sgpr10
	s_and_saveexec_b64 s[8:9], s[12:13]
; %bb.2778:
	s_mov_b32 s10, 0x7f800001
	s_xor_b64 s[4:5], exec, -1
; %bb.2779:
	s_or_b64 exec, exec, s[8:9]
	s_and_b64 s[4:5], s[4:5], exec
	s_or_saveexec_b64 s[6:7], s[6:7]
	v_mov_b32_e32 v2, s10
	s_xor_b64 exec, exec, s[6:7]
	s_cbranch_execz .LBB37_730
.LBB37_2780:
	v_mov_b32_e32 v2, 0
	v_cmp_ne_u16_sdwa s[8:9], v8, v2 src0_sel:BYTE_3 src1_sel:DWORD
	s_andn2_b64 s[4:5], s[4:5], exec
	s_and_b64 s[8:9], s[8:9], exec
	s_or_b64 s[4:5], s[4:5], s[8:9]
	s_or_b64 exec, exec, s[6:7]
	s_and_saveexec_b64 s[6:7], s[4:5]
	s_cbranch_execnz .LBB37_731
	s_branch .LBB37_732
.LBB37_2781:
	s_movk_i32 s4, 0x80
	v_cmp_eq_u16_sdwa s[12:13], v4, s4 src0_sel:BYTE_3 src1_sel:DWORD
	s_mov_b64 s[4:5], -1
                                        ; implicit-def: $sgpr10
	s_and_saveexec_b64 s[8:9], s[12:13]
; %bb.2782:
	s_mov_b32 s10, 0x7f800001
	s_xor_b64 s[4:5], exec, -1
; %bb.2783:
	s_or_b64 exec, exec, s[8:9]
	s_and_b64 s[4:5], s[4:5], exec
	s_or_saveexec_b64 s[6:7], s[6:7]
	v_mov_b32_e32 v3, s10
	s_xor_b64 exec, exec, s[6:7]
	s_cbranch_execz .LBB37_734
.LBB37_2784:
	v_mov_b32_e32 v3, 0
	v_cmp_ne_u16_sdwa s[8:9], v4, v3 src0_sel:BYTE_3 src1_sel:DWORD
	s_andn2_b64 s[4:5], s[4:5], exec
	s_and_b64 s[8:9], s[8:9], exec
	s_or_b64 s[4:5], s[4:5], s[8:9]
	s_or_b64 exec, exec, s[6:7]
	s_and_saveexec_b64 s[6:7], s[4:5]
	s_cbranch_execnz .LBB37_735
	s_branch .LBB37_736
.LBB37_2785:
	s_movk_i32 s4, 0x80
	v_cmp_eq_u16_sdwa s[12:13], v9, s4 src0_sel:BYTE_0 src1_sel:DWORD
	s_mov_b64 s[4:5], -1
                                        ; implicit-def: $sgpr10
	s_and_saveexec_b64 s[8:9], s[12:13]
; %bb.2786:
	s_mov_b32 s10, 0x7f800001
	s_xor_b64 s[4:5], exec, -1
; %bb.2787:
	s_or_b64 exec, exec, s[8:9]
	s_and_b64 s[4:5], s[4:5], exec
	s_or_saveexec_b64 s[6:7], s[6:7]
	v_mov_b32_e32 v2, s10
	s_xor_b64 exec, exec, s[6:7]
	s_cbranch_execz .LBB37_738
.LBB37_2788:
	v_mov_b32_e32 v2, 0
	v_cmp_ne_u16_sdwa s[8:9], v9, v2 src0_sel:BYTE_0 src1_sel:DWORD
	s_andn2_b64 s[4:5], s[4:5], exec
	s_and_b64 s[8:9], s[8:9], exec
	s_or_b64 s[4:5], s[4:5], s[8:9]
	s_or_b64 exec, exec, s[6:7]
	s_and_saveexec_b64 s[6:7], s[4:5]
	s_cbranch_execnz .LBB37_739
	s_branch .LBB37_740
.LBB37_2789:
	s_movk_i32 s4, 0x80
	v_cmp_eq_u16_sdwa s[12:13], v5, s4 src0_sel:BYTE_0 src1_sel:DWORD
	s_mov_b64 s[4:5], -1
                                        ; implicit-def: $sgpr10
	s_and_saveexec_b64 s[8:9], s[12:13]
; %bb.2790:
	s_mov_b32 s10, 0x7f800001
	s_xor_b64 s[4:5], exec, -1
; %bb.2791:
	s_or_b64 exec, exec, s[8:9]
	s_and_b64 s[4:5], s[4:5], exec
	s_or_saveexec_b64 s[6:7], s[6:7]
	v_mov_b32_e32 v3, s10
	s_xor_b64 exec, exec, s[6:7]
	s_cbranch_execz .LBB37_742
.LBB37_2792:
	v_mov_b32_e32 v3, 0
	v_cmp_ne_u16_sdwa s[8:9], v5, v3 src0_sel:BYTE_0 src1_sel:DWORD
	s_andn2_b64 s[4:5], s[4:5], exec
	s_and_b64 s[8:9], s[8:9], exec
	s_or_b64 s[4:5], s[4:5], s[8:9]
	s_or_b64 exec, exec, s[6:7]
	s_and_saveexec_b64 s[6:7], s[4:5]
	s_cbranch_execnz .LBB37_743
	s_branch .LBB37_744
.LBB37_2793:
	s_movk_i32 s4, 0x80
	v_cmp_eq_u16_sdwa s[12:13], v3, s4 src0_sel:BYTE_0 src1_sel:DWORD
	s_mov_b64 s[4:5], -1
                                        ; implicit-def: $sgpr10
	s_and_saveexec_b64 s[8:9], s[12:13]
; %bb.2794:
	s_mov_b32 s10, 0x7f800001
	s_xor_b64 s[4:5], exec, -1
; %bb.2795:
	s_or_b64 exec, exec, s[8:9]
	s_and_b64 s[4:5], s[4:5], exec
	s_or_saveexec_b64 s[6:7], s[6:7]
	v_mov_b32_e32 v2, s10
	s_xor_b64 exec, exec, s[6:7]
	s_cbranch_execz .LBB37_746
.LBB37_2796:
	v_mov_b32_e32 v2, 0
	v_cmp_ne_u16_sdwa s[8:9], v3, v2 src0_sel:BYTE_0 src1_sel:DWORD
	s_andn2_b64 s[4:5], s[4:5], exec
	s_and_b64 s[8:9], s[8:9], exec
	s_or_b64 s[4:5], s[4:5], s[8:9]
	s_or_b64 exec, exec, s[6:7]
	s_and_saveexec_b64 s[6:7], s[4:5]
	s_cbranch_execnz .LBB37_747
	s_branch .LBB37_748
.LBB37_2797:
	s_movk_i32 s4, 0x80
	v_cmp_eq_u16_sdwa s[12:13], v3, s4 src0_sel:BYTE_0 src1_sel:DWORD
	s_mov_b64 s[4:5], -1
                                        ; implicit-def: $sgpr10
	s_and_saveexec_b64 s[8:9], s[12:13]
; %bb.2798:
	s_mov_b32 s10, 0x7f800001
	s_xor_b64 s[4:5], exec, -1
; %bb.2799:
	s_or_b64 exec, exec, s[8:9]
	s_and_b64 s[4:5], s[4:5], exec
	s_or_saveexec_b64 s[6:7], s[6:7]
	v_mov_b32_e32 v4, s10
	s_xor_b64 exec, exec, s[6:7]
	s_cbranch_execz .LBB37_750
.LBB37_2800:
	v_mov_b32_e32 v4, 0
	v_cmp_ne_u16_sdwa s[8:9], v3, v4 src0_sel:BYTE_0 src1_sel:DWORD
	s_andn2_b64 s[4:5], s[4:5], exec
	s_and_b64 s[8:9], s[8:9], exec
	s_or_b64 s[4:5], s[4:5], s[8:9]
	s_or_b64 exec, exec, s[6:7]
	s_and_saveexec_b64 s[6:7], s[4:5]
	s_cbranch_execnz .LBB37_751
	s_branch .LBB37_752
.LBB37_2801:
	s_movk_i32 s4, 0x80
	v_cmp_eq_u16_e32 vcc, s4, v3
	s_mov_b64 s[4:5], -1
                                        ; implicit-def: $sgpr10
	s_and_saveexec_b64 s[8:9], vcc
; %bb.2802:
	s_mov_b32 s10, 0x7f800001
	s_xor_b64 s[4:5], exec, -1
; %bb.2803:
	s_or_b64 exec, exec, s[8:9]
	s_and_b64 s[4:5], s[4:5], exec
                                        ; implicit-def: $vgpr3
	s_or_saveexec_b64 s[6:7], s[6:7]
	v_mov_b32_e32 v2, s10
	s_xor_b64 exec, exec, s[6:7]
	s_cbranch_execz .LBB37_754
.LBB37_2804:
	v_cmp_ne_u16_e32 vcc, 0, v3
	s_andn2_b64 s[4:5], s[4:5], exec
	s_and_b64 s[8:9], vcc, exec
	v_mov_b32_e32 v2, 0
	s_or_b64 s[4:5], s[4:5], s[8:9]
	s_or_b64 exec, exec, s[6:7]
	s_and_saveexec_b64 s[6:7], s[4:5]
	s_cbranch_execnz .LBB37_755
	s_branch .LBB37_756
.LBB37_2805:
	s_movk_i32 s4, 0x80
	v_cmp_eq_u16_e32 vcc, s4, v3
	s_mov_b64 s[4:5], -1
                                        ; implicit-def: $sgpr10
	s_and_saveexec_b64 s[8:9], vcc
; %bb.2806:
	s_mov_b32 s10, 0x7f800001
	s_xor_b64 s[4:5], exec, -1
; %bb.2807:
	s_or_b64 exec, exec, s[8:9]
	s_and_b64 s[4:5], s[4:5], exec
                                        ; implicit-def: $vgpr3
	s_or_saveexec_b64 s[6:7], s[6:7]
	v_mov_b32_e32 v4, s10
	s_xor_b64 exec, exec, s[6:7]
	s_cbranch_execz .LBB37_758
.LBB37_2808:
	v_cmp_ne_u16_e32 vcc, 0, v3
	s_andn2_b64 s[4:5], s[4:5], exec
	s_and_b64 s[8:9], vcc, exec
	v_mov_b32_e32 v4, 0
	s_or_b64 s[4:5], s[4:5], s[8:9]
	s_or_b64 exec, exec, s[6:7]
	s_and_saveexec_b64 s[6:7], s[4:5]
	s_cbranch_execnz .LBB37_759
	s_branch .LBB37_760
.LBB37_2809:
	s_movk_i32 s4, 0x80
	v_cmp_eq_u16_sdwa s[12:13], v9, s4 src0_sel:BYTE_3 src1_sel:DWORD
	s_mov_b64 s[4:5], -1
                                        ; implicit-def: $sgpr10
	s_and_saveexec_b64 s[8:9], s[12:13]
; %bb.2810:
	s_mov_b32 s10, 0x7f800001
	s_xor_b64 s[4:5], exec, -1
; %bb.2811:
	s_or_b64 exec, exec, s[8:9]
	s_and_b64 s[4:5], s[4:5], exec
	s_or_saveexec_b64 s[6:7], s[6:7]
	v_mov_b32_e32 v2, s10
	s_xor_b64 exec, exec, s[6:7]
	s_cbranch_execz .LBB37_762
.LBB37_2812:
	v_mov_b32_e32 v2, 0
	v_cmp_ne_u16_sdwa s[8:9], v9, v2 src0_sel:BYTE_3 src1_sel:DWORD
	s_andn2_b64 s[4:5], s[4:5], exec
	s_and_b64 s[8:9], s[8:9], exec
	s_or_b64 s[4:5], s[4:5], s[8:9]
	s_or_b64 exec, exec, s[6:7]
	s_and_saveexec_b64 s[6:7], s[4:5]
	s_cbranch_execnz .LBB37_763
	s_branch .LBB37_764
.LBB37_2813:
	s_movk_i32 s4, 0x80
	v_cmp_eq_u16_sdwa s[12:13], v5, s4 src0_sel:BYTE_3 src1_sel:DWORD
	s_mov_b64 s[4:5], -1
                                        ; implicit-def: $sgpr10
	s_and_saveexec_b64 s[8:9], s[12:13]
; %bb.2814:
	s_mov_b32 s10, 0x7f800001
	s_xor_b64 s[4:5], exec, -1
; %bb.2815:
	s_or_b64 exec, exec, s[8:9]
	s_and_b64 s[4:5], s[4:5], exec
	s_or_saveexec_b64 s[6:7], s[6:7]
	v_mov_b32_e32 v3, s10
	s_xor_b64 exec, exec, s[6:7]
	s_cbranch_execz .LBB37_766
.LBB37_2816:
	v_mov_b32_e32 v3, 0
	v_cmp_ne_u16_sdwa s[8:9], v5, v3 src0_sel:BYTE_3 src1_sel:DWORD
	s_andn2_b64 s[4:5], s[4:5], exec
	s_and_b64 s[8:9], s[8:9], exec
	s_or_b64 s[4:5], s[4:5], s[8:9]
	s_or_b64 exec, exec, s[6:7]
	s_and_saveexec_b64 s[6:7], s[4:5]
	s_cbranch_execnz .LBB37_767
	s_branch .LBB37_768
.LBB37_2817:
	s_movk_i32 s4, 0x80
	v_cmp_eq_u16_sdwa s[12:13], v14, s4 src0_sel:BYTE_0 src1_sel:DWORD
	s_mov_b64 s[4:5], -1
                                        ; implicit-def: $sgpr10
	s_and_saveexec_b64 s[8:9], s[12:13]
; %bb.2818:
	s_mov_b32 s10, 0x7f800001
	s_xor_b64 s[4:5], exec, -1
; %bb.2819:
	s_or_b64 exec, exec, s[8:9]
	s_and_b64 s[4:5], s[4:5], exec
	s_or_saveexec_b64 s[6:7], s[6:7]
	v_mov_b32_e32 v20, s10
	s_xor_b64 exec, exec, s[6:7]
	s_cbranch_execz .LBB37_770
.LBB37_2820:
	v_mov_b32_e32 v20, 0
	v_cmp_ne_u16_sdwa s[8:9], v14, v20 src0_sel:BYTE_0 src1_sel:DWORD
	s_andn2_b64 s[4:5], s[4:5], exec
	s_and_b64 s[8:9], s[8:9], exec
	s_or_b64 s[4:5], s[4:5], s[8:9]
	s_or_b64 exec, exec, s[6:7]
	s_and_saveexec_b64 s[6:7], s[4:5]
	s_cbranch_execnz .LBB37_771
	s_branch .LBB37_772
.LBB37_2821:
	s_movk_i32 s4, 0x80
	v_cmp_eq_u16_sdwa s[12:13], v10, s4 src0_sel:BYTE_0 src1_sel:DWORD
	s_mov_b64 s[4:5], -1
                                        ; implicit-def: $sgpr10
	s_and_saveexec_b64 s[8:9], s[12:13]
; %bb.2822:
	s_mov_b32 s10, 0x7f800001
	s_xor_b64 s[4:5], exec, -1
; %bb.2823:
	s_or_b64 exec, exec, s[8:9]
	s_and_b64 s[4:5], s[4:5], exec
	s_or_saveexec_b64 s[6:7], s[6:7]
	v_mov_b32_e32 v21, s10
	s_xor_b64 exec, exec, s[6:7]
	s_cbranch_execz .LBB37_774
.LBB37_2824:
	v_mov_b32_e32 v21, 0
	v_cmp_ne_u16_sdwa s[8:9], v10, v21 src0_sel:BYTE_0 src1_sel:DWORD
	s_andn2_b64 s[4:5], s[4:5], exec
	s_and_b64 s[8:9], s[8:9], exec
	s_or_b64 s[4:5], s[4:5], s[8:9]
	s_or_b64 exec, exec, s[6:7]
	s_and_saveexec_b64 s[6:7], s[4:5]
	s_cbranch_execnz .LBB37_775
	s_branch .LBB37_776
.LBB37_2825:
	s_movk_i32 s4, 0x80
	v_cmp_eq_u16_sdwa s[12:13], v21, s4 src0_sel:BYTE_0 src1_sel:DWORD
	s_mov_b64 s[4:5], -1
                                        ; implicit-def: $sgpr10
	s_and_saveexec_b64 s[8:9], s[12:13]
; %bb.2826:
	s_mov_b32 s10, 0x7f800001
	s_xor_b64 s[4:5], exec, -1
; %bb.2827:
	s_or_b64 exec, exec, s[8:9]
	s_and_b64 s[4:5], s[4:5], exec
	s_or_saveexec_b64 s[6:7], s[6:7]
	v_mov_b32_e32 v20, s10
	s_xor_b64 exec, exec, s[6:7]
	s_cbranch_execz .LBB37_778
.LBB37_2828:
	v_mov_b32_e32 v20, 0
	v_cmp_ne_u16_sdwa s[8:9], v21, v20 src0_sel:BYTE_0 src1_sel:DWORD
	s_andn2_b64 s[4:5], s[4:5], exec
	s_and_b64 s[8:9], s[8:9], exec
	s_or_b64 s[4:5], s[4:5], s[8:9]
	s_or_b64 exec, exec, s[6:7]
	s_and_saveexec_b64 s[6:7], s[4:5]
	s_cbranch_execnz .LBB37_779
	s_branch .LBB37_780
.LBB37_2829:
	s_movk_i32 s4, 0x80
	v_cmp_eq_u16_sdwa s[12:13], v21, s4 src0_sel:BYTE_0 src1_sel:DWORD
	s_mov_b64 s[4:5], -1
                                        ; implicit-def: $sgpr10
	s_and_saveexec_b64 s[8:9], s[12:13]
; %bb.2830:
	s_mov_b32 s10, 0x7f800001
	s_xor_b64 s[4:5], exec, -1
; %bb.2831:
	s_or_b64 exec, exec, s[8:9]
	s_and_b64 s[4:5], s[4:5], exec
	s_or_saveexec_b64 s[6:7], s[6:7]
	v_mov_b32_e32 v22, s10
	s_xor_b64 exec, exec, s[6:7]
	s_cbranch_execz .LBB37_782
.LBB37_2832:
	v_mov_b32_e32 v22, 0
	v_cmp_ne_u16_sdwa s[8:9], v21, v22 src0_sel:BYTE_0 src1_sel:DWORD
	s_andn2_b64 s[4:5], s[4:5], exec
	s_and_b64 s[8:9], s[8:9], exec
	s_or_b64 s[4:5], s[4:5], s[8:9]
	s_or_b64 exec, exec, s[6:7]
	s_and_saveexec_b64 s[6:7], s[4:5]
	s_cbranch_execnz .LBB37_783
	s_branch .LBB37_784
.LBB37_2833:
	s_movk_i32 s4, 0x80
	v_cmp_eq_u16_e32 vcc, s4, v21
	s_mov_b64 s[4:5], -1
                                        ; implicit-def: $sgpr10
	s_and_saveexec_b64 s[8:9], vcc
; %bb.2834:
	s_mov_b32 s10, 0x7f800001
	s_xor_b64 s[4:5], exec, -1
; %bb.2835:
	s_or_b64 exec, exec, s[8:9]
	s_and_b64 s[4:5], s[4:5], exec
                                        ; implicit-def: $vgpr21
	s_or_saveexec_b64 s[6:7], s[6:7]
	v_mov_b32_e32 v20, s10
	s_xor_b64 exec, exec, s[6:7]
	s_cbranch_execz .LBB37_786
.LBB37_2836:
	v_cmp_ne_u16_e32 vcc, 0, v21
	s_andn2_b64 s[4:5], s[4:5], exec
	s_and_b64 s[8:9], vcc, exec
	v_mov_b32_e32 v20, 0
	s_or_b64 s[4:5], s[4:5], s[8:9]
	s_or_b64 exec, exec, s[6:7]
	s_and_saveexec_b64 s[6:7], s[4:5]
	s_cbranch_execnz .LBB37_787
	s_branch .LBB37_788
.LBB37_2837:
	s_movk_i32 s4, 0x80
	v_cmp_eq_u16_e32 vcc, s4, v21
	s_mov_b64 s[4:5], -1
                                        ; implicit-def: $sgpr10
	s_and_saveexec_b64 s[8:9], vcc
; %bb.2838:
	s_mov_b32 s10, 0x7f800001
	s_xor_b64 s[4:5], exec, -1
; %bb.2839:
	s_or_b64 exec, exec, s[8:9]
	s_and_b64 s[4:5], s[4:5], exec
                                        ; implicit-def: $vgpr21
	s_or_saveexec_b64 s[6:7], s[6:7]
	v_mov_b32_e32 v22, s10
	s_xor_b64 exec, exec, s[6:7]
	s_cbranch_execz .LBB37_790
.LBB37_2840:
	v_cmp_ne_u16_e32 vcc, 0, v21
	s_andn2_b64 s[4:5], s[4:5], exec
	s_and_b64 s[8:9], vcc, exec
	v_mov_b32_e32 v22, 0
	s_or_b64 s[4:5], s[4:5], s[8:9]
	s_or_b64 exec, exec, s[6:7]
	s_and_saveexec_b64 s[6:7], s[4:5]
	s_cbranch_execnz .LBB37_791
	s_branch .LBB37_792
.LBB37_2841:
	s_movk_i32 s4, 0x80
	v_cmp_eq_u16_sdwa s[12:13], v14, s4 src0_sel:BYTE_3 src1_sel:DWORD
	s_mov_b64 s[4:5], -1
                                        ; implicit-def: $sgpr10
	s_and_saveexec_b64 s[8:9], s[12:13]
; %bb.2842:
	s_mov_b32 s10, 0x7f800001
	s_xor_b64 s[4:5], exec, -1
; %bb.2843:
	s_or_b64 exec, exec, s[8:9]
	s_and_b64 s[4:5], s[4:5], exec
	s_or_saveexec_b64 s[6:7], s[6:7]
	v_mov_b32_e32 v20, s10
	s_xor_b64 exec, exec, s[6:7]
	s_cbranch_execz .LBB37_794
.LBB37_2844:
	v_mov_b32_e32 v20, 0
	v_cmp_ne_u16_sdwa s[8:9], v14, v20 src0_sel:BYTE_3 src1_sel:DWORD
	s_andn2_b64 s[4:5], s[4:5], exec
	s_and_b64 s[8:9], s[8:9], exec
	s_or_b64 s[4:5], s[4:5], s[8:9]
	s_or_b64 exec, exec, s[6:7]
	s_and_saveexec_b64 s[6:7], s[4:5]
	s_cbranch_execnz .LBB37_795
	s_branch .LBB37_796
.LBB37_2845:
	s_movk_i32 s4, 0x80
	v_cmp_eq_u16_sdwa s[12:13], v10, s4 src0_sel:BYTE_3 src1_sel:DWORD
	s_mov_b64 s[4:5], -1
                                        ; implicit-def: $sgpr10
	s_and_saveexec_b64 s[8:9], s[12:13]
; %bb.2846:
	s_mov_b32 s10, 0x7f800001
	s_xor_b64 s[4:5], exec, -1
; %bb.2847:
	s_or_b64 exec, exec, s[8:9]
	s_and_b64 s[4:5], s[4:5], exec
	s_or_saveexec_b64 s[6:7], s[6:7]
	v_mov_b32_e32 v14, s10
	s_xor_b64 exec, exec, s[6:7]
	s_cbranch_execz .LBB37_798
.LBB37_2848:
	v_mov_b32_e32 v14, 0
	v_cmp_ne_u16_sdwa s[8:9], v10, v14 src0_sel:BYTE_3 src1_sel:DWORD
	s_andn2_b64 s[4:5], s[4:5], exec
	s_and_b64 s[8:9], s[8:9], exec
	s_or_b64 s[4:5], s[4:5], s[8:9]
	s_or_b64 exec, exec, s[6:7]
	s_and_saveexec_b64 s[6:7], s[4:5]
	s_cbranch_execnz .LBB37_799
	s_branch .LBB37_800
.LBB37_2849:
	s_movk_i32 s4, 0x80
	v_cmp_eq_u16_sdwa s[12:13], v15, s4 src0_sel:BYTE_0 src1_sel:DWORD
	s_mov_b64 s[4:5], -1
                                        ; implicit-def: $sgpr10
	s_and_saveexec_b64 s[8:9], s[12:13]
; %bb.2850:
	s_mov_b32 s10, 0x7f800001
	s_xor_b64 s[4:5], exec, -1
; %bb.2851:
	s_or_b64 exec, exec, s[8:9]
	s_and_b64 s[4:5], s[4:5], exec
	s_or_saveexec_b64 s[6:7], s[6:7]
	v_mov_b32_e32 v10, s10
	s_xor_b64 exec, exec, s[6:7]
	s_cbranch_execz .LBB37_802
.LBB37_2852:
	v_mov_b32_e32 v10, 0
	v_cmp_ne_u16_sdwa s[8:9], v15, v10 src0_sel:BYTE_0 src1_sel:DWORD
	s_andn2_b64 s[4:5], s[4:5], exec
	s_and_b64 s[8:9], s[8:9], exec
	s_or_b64 s[4:5], s[4:5], s[8:9]
	s_or_b64 exec, exec, s[6:7]
	s_and_saveexec_b64 s[6:7], s[4:5]
	s_cbranch_execnz .LBB37_803
	s_branch .LBB37_804
.LBB37_2853:
	s_movk_i32 s4, 0x80
	v_cmp_eq_u16_sdwa s[12:13], v11, s4 src0_sel:BYTE_0 src1_sel:DWORD
	s_mov_b64 s[4:5], -1
                                        ; implicit-def: $sgpr10
	s_and_saveexec_b64 s[8:9], s[12:13]
; %bb.2854:
	s_mov_b32 s10, 0x7f800001
	s_xor_b64 s[4:5], exec, -1
; %bb.2855:
	s_or_b64 exec, exec, s[8:9]
	s_and_b64 s[4:5], s[4:5], exec
	s_or_saveexec_b64 s[6:7], s[6:7]
	v_mov_b32_e32 v14, s10
	s_xor_b64 exec, exec, s[6:7]
	s_cbranch_execz .LBB37_806
.LBB37_2856:
	v_mov_b32_e32 v14, 0
	v_cmp_ne_u16_sdwa s[8:9], v11, v14 src0_sel:BYTE_0 src1_sel:DWORD
	s_andn2_b64 s[4:5], s[4:5], exec
	s_and_b64 s[8:9], s[8:9], exec
	s_or_b64 s[4:5], s[4:5], s[8:9]
	s_or_b64 exec, exec, s[6:7]
	s_and_saveexec_b64 s[6:7], s[4:5]
	s_cbranch_execnz .LBB37_807
	s_branch .LBB37_808
.LBB37_2857:
	s_movk_i32 s4, 0x80
	v_cmp_eq_u16_sdwa s[12:13], v14, s4 src0_sel:BYTE_0 src1_sel:DWORD
	s_mov_b64 s[4:5], -1
                                        ; implicit-def: $sgpr10
	s_and_saveexec_b64 s[8:9], s[12:13]
; %bb.2858:
	s_mov_b32 s10, 0x7f800001
	s_xor_b64 s[4:5], exec, -1
; %bb.2859:
	s_or_b64 exec, exec, s[8:9]
	s_and_b64 s[4:5], s[4:5], exec
	s_or_saveexec_b64 s[6:7], s[6:7]
	v_mov_b32_e32 v10, s10
	s_xor_b64 exec, exec, s[6:7]
	s_cbranch_execz .LBB37_810
.LBB37_2860:
	v_mov_b32_e32 v10, 0
	v_cmp_ne_u16_sdwa s[8:9], v14, v10 src0_sel:BYTE_0 src1_sel:DWORD
	s_andn2_b64 s[4:5], s[4:5], exec
	s_and_b64 s[8:9], s[8:9], exec
	s_or_b64 s[4:5], s[4:5], s[8:9]
	s_or_b64 exec, exec, s[6:7]
	s_and_saveexec_b64 s[6:7], s[4:5]
	s_cbranch_execnz .LBB37_811
	s_branch .LBB37_812
.LBB37_2861:
	s_movk_i32 s4, 0x80
	v_cmp_eq_u16_sdwa s[12:13], v14, s4 src0_sel:BYTE_0 src1_sel:DWORD
	s_mov_b64 s[4:5], -1
                                        ; implicit-def: $sgpr10
	s_and_saveexec_b64 s[8:9], s[12:13]
; %bb.2862:
	s_mov_b32 s10, 0x7f800001
	s_xor_b64 s[4:5], exec, -1
; %bb.2863:
	s_or_b64 exec, exec, s[8:9]
	s_and_b64 s[4:5], s[4:5], exec
	s_or_saveexec_b64 s[6:7], s[6:7]
	v_mov_b32_e32 v20, s10
	s_xor_b64 exec, exec, s[6:7]
	s_cbranch_execz .LBB37_814
.LBB37_2864:
	v_mov_b32_e32 v20, 0
	v_cmp_ne_u16_sdwa s[8:9], v14, v20 src0_sel:BYTE_0 src1_sel:DWORD
	s_andn2_b64 s[4:5], s[4:5], exec
	s_and_b64 s[8:9], s[8:9], exec
	s_or_b64 s[4:5], s[4:5], s[8:9]
	s_or_b64 exec, exec, s[6:7]
	s_and_saveexec_b64 s[6:7], s[4:5]
	s_cbranch_execnz .LBB37_815
	s_branch .LBB37_816
.LBB37_2865:
	s_movk_i32 s4, 0x80
	v_cmp_eq_u16_e32 vcc, s4, v14
	s_mov_b64 s[4:5], -1
                                        ; implicit-def: $sgpr10
	s_and_saveexec_b64 s[8:9], vcc
; %bb.2866:
	s_mov_b32 s10, 0x7f800001
	s_xor_b64 s[4:5], exec, -1
; %bb.2867:
	s_or_b64 exec, exec, s[8:9]
	s_and_b64 s[4:5], s[4:5], exec
                                        ; implicit-def: $vgpr14
	s_or_saveexec_b64 s[6:7], s[6:7]
	v_mov_b32_e32 v10, s10
	s_xor_b64 exec, exec, s[6:7]
	s_cbranch_execz .LBB37_818
.LBB37_2868:
	v_cmp_ne_u16_e32 vcc, 0, v14
	s_andn2_b64 s[4:5], s[4:5], exec
	s_and_b64 s[8:9], vcc, exec
	v_mov_b32_e32 v10, 0
	s_or_b64 s[4:5], s[4:5], s[8:9]
	s_or_b64 exec, exec, s[6:7]
	s_and_saveexec_b64 s[6:7], s[4:5]
	s_cbranch_execnz .LBB37_819
	s_branch .LBB37_820
.LBB37_2869:
	s_movk_i32 s4, 0x80
	v_cmp_eq_u16_e32 vcc, s4, v14
	s_mov_b64 s[4:5], -1
                                        ; implicit-def: $sgpr10
	s_and_saveexec_b64 s[8:9], vcc
; %bb.2870:
	s_mov_b32 s10, 0x7f800001
	s_xor_b64 s[4:5], exec, -1
; %bb.2871:
	s_or_b64 exec, exec, s[8:9]
	s_and_b64 s[4:5], s[4:5], exec
                                        ; implicit-def: $vgpr14
	s_or_saveexec_b64 s[6:7], s[6:7]
	v_mov_b32_e32 v20, s10
	s_xor_b64 exec, exec, s[6:7]
	s_cbranch_execz .LBB37_822
.LBB37_2872:
	v_cmp_ne_u16_e32 vcc, 0, v14
	s_andn2_b64 s[4:5], s[4:5], exec
	s_and_b64 s[8:9], vcc, exec
	v_mov_b32_e32 v20, 0
	s_or_b64 s[4:5], s[4:5], s[8:9]
	s_or_b64 exec, exec, s[6:7]
	s_and_saveexec_b64 s[6:7], s[4:5]
	s_cbranch_execnz .LBB37_823
	s_branch .LBB37_824
.LBB37_2873:
	s_movk_i32 s4, 0x80
	v_cmp_eq_u16_sdwa s[12:13], v15, s4 src0_sel:BYTE_3 src1_sel:DWORD
	s_mov_b64 s[4:5], -1
                                        ; implicit-def: $sgpr10
	s_and_saveexec_b64 s[8:9], s[12:13]
; %bb.2874:
	s_mov_b32 s10, 0x7f800001
	s_xor_b64 s[4:5], exec, -1
; %bb.2875:
	s_or_b64 exec, exec, s[8:9]
	s_and_b64 s[4:5], s[4:5], exec
	s_or_saveexec_b64 s[6:7], s[6:7]
	v_mov_b32_e32 v10, s10
	s_xor_b64 exec, exec, s[6:7]
	s_cbranch_execz .LBB37_826
.LBB37_2876:
	v_mov_b32_e32 v10, 0
	v_cmp_ne_u16_sdwa s[8:9], v15, v10 src0_sel:BYTE_3 src1_sel:DWORD
	s_andn2_b64 s[4:5], s[4:5], exec
	s_and_b64 s[8:9], s[8:9], exec
	s_or_b64 s[4:5], s[4:5], s[8:9]
	s_or_b64 exec, exec, s[6:7]
	s_and_saveexec_b64 s[6:7], s[4:5]
	s_cbranch_execnz .LBB37_827
	s_branch .LBB37_828
.LBB37_2877:
	s_movk_i32 s4, 0x80
	v_cmp_eq_u16_sdwa s[12:13], v11, s4 src0_sel:BYTE_3 src1_sel:DWORD
	s_mov_b64 s[4:5], -1
                                        ; implicit-def: $sgpr10
	s_and_saveexec_b64 s[8:9], s[12:13]
; %bb.2878:
	s_mov_b32 s10, 0x7f800001
	s_xor_b64 s[4:5], exec, -1
; %bb.2879:
	s_or_b64 exec, exec, s[8:9]
	s_and_b64 s[4:5], s[4:5], exec
	s_or_saveexec_b64 s[6:7], s[6:7]
	v_mov_b32_e32 v14, s10
	s_xor_b64 exec, exec, s[6:7]
	s_cbranch_execz .LBB37_830
.LBB37_2880:
	v_mov_b32_e32 v14, 0
	v_cmp_ne_u16_sdwa s[8:9], v11, v14 src0_sel:BYTE_3 src1_sel:DWORD
	s_andn2_b64 s[4:5], s[4:5], exec
	s_and_b64 s[8:9], s[8:9], exec
	s_or_b64 s[4:5], s[4:5], s[8:9]
	s_or_b64 exec, exec, s[6:7]
	s_and_saveexec_b64 s[6:7], s[4:5]
	s_cbranch_execnz .LBB37_831
	s_branch .LBB37_832
.LBB37_2881:
	s_movk_i32 s4, 0x80
	v_cmp_eq_u16_sdwa s[12:13], v16, s4 src0_sel:BYTE_0 src1_sel:DWORD
	s_mov_b64 s[4:5], -1
                                        ; implicit-def: $sgpr10
	s_and_saveexec_b64 s[8:9], s[12:13]
; %bb.2882:
	s_mov_b32 s10, 0x7f800001
	s_xor_b64 s[4:5], exec, -1
; %bb.2883:
	s_or_b64 exec, exec, s[8:9]
	s_and_b64 s[4:5], s[4:5], exec
	s_or_saveexec_b64 s[6:7], s[6:7]
	v_mov_b32_e32 v10, s10
	s_xor_b64 exec, exec, s[6:7]
	s_cbranch_execz .LBB37_834
.LBB37_2884:
	v_mov_b32_e32 v10, 0
	v_cmp_ne_u16_sdwa s[8:9], v16, v10 src0_sel:BYTE_0 src1_sel:DWORD
	s_andn2_b64 s[4:5], s[4:5], exec
	s_and_b64 s[8:9], s[8:9], exec
	s_or_b64 s[4:5], s[4:5], s[8:9]
	s_or_b64 exec, exec, s[6:7]
	s_and_saveexec_b64 s[6:7], s[4:5]
	s_cbranch_execnz .LBB37_835
	s_branch .LBB37_836
.LBB37_2885:
	s_movk_i32 s4, 0x80
	v_cmp_eq_u16_sdwa s[12:13], v12, s4 src0_sel:BYTE_0 src1_sel:DWORD
	s_mov_b64 s[4:5], -1
                                        ; implicit-def: $sgpr10
	s_and_saveexec_b64 s[8:9], s[12:13]
; %bb.2886:
	s_mov_b32 s10, 0x7f800001
	s_xor_b64 s[4:5], exec, -1
; %bb.2887:
	s_or_b64 exec, exec, s[8:9]
	s_and_b64 s[4:5], s[4:5], exec
	s_or_saveexec_b64 s[6:7], s[6:7]
	v_mov_b32_e32 v11, s10
	s_xor_b64 exec, exec, s[6:7]
	s_cbranch_execz .LBB37_838
.LBB37_2888:
	v_mov_b32_e32 v11, 0
	v_cmp_ne_u16_sdwa s[8:9], v12, v11 src0_sel:BYTE_0 src1_sel:DWORD
	s_andn2_b64 s[4:5], s[4:5], exec
	s_and_b64 s[8:9], s[8:9], exec
	s_or_b64 s[4:5], s[4:5], s[8:9]
	s_or_b64 exec, exec, s[6:7]
	s_and_saveexec_b64 s[6:7], s[4:5]
	s_cbranch_execnz .LBB37_839
	s_branch .LBB37_840
.LBB37_2889:
	s_movk_i32 s4, 0x80
	v_cmp_eq_u16_sdwa s[12:13], v11, s4 src0_sel:BYTE_0 src1_sel:DWORD
	s_mov_b64 s[4:5], -1
                                        ; implicit-def: $sgpr10
	s_and_saveexec_b64 s[8:9], s[12:13]
; %bb.2890:
	s_mov_b32 s10, 0x7f800001
	s_xor_b64 s[4:5], exec, -1
; %bb.2891:
	s_or_b64 exec, exec, s[8:9]
	s_and_b64 s[4:5], s[4:5], exec
	s_or_saveexec_b64 s[6:7], s[6:7]
	v_mov_b32_e32 v10, s10
	s_xor_b64 exec, exec, s[6:7]
	s_cbranch_execz .LBB37_842
.LBB37_2892:
	v_mov_b32_e32 v10, 0
	v_cmp_ne_u16_sdwa s[8:9], v11, v10 src0_sel:BYTE_0 src1_sel:DWORD
	s_andn2_b64 s[4:5], s[4:5], exec
	s_and_b64 s[8:9], s[8:9], exec
	s_or_b64 s[4:5], s[4:5], s[8:9]
	s_or_b64 exec, exec, s[6:7]
	s_and_saveexec_b64 s[6:7], s[4:5]
	s_cbranch_execnz .LBB37_843
	s_branch .LBB37_844
.LBB37_2893:
	s_movk_i32 s4, 0x80
	v_cmp_eq_u16_sdwa s[12:13], v11, s4 src0_sel:BYTE_0 src1_sel:DWORD
	s_mov_b64 s[4:5], -1
                                        ; implicit-def: $sgpr10
	s_and_saveexec_b64 s[8:9], s[12:13]
; %bb.2894:
	s_mov_b32 s10, 0x7f800001
	s_xor_b64 s[4:5], exec, -1
; %bb.2895:
	s_or_b64 exec, exec, s[8:9]
	s_and_b64 s[4:5], s[4:5], exec
	s_or_saveexec_b64 s[6:7], s[6:7]
	v_mov_b32_e32 v14, s10
	s_xor_b64 exec, exec, s[6:7]
	s_cbranch_execz .LBB37_846
.LBB37_2896:
	v_mov_b32_e32 v14, 0
	v_cmp_ne_u16_sdwa s[8:9], v11, v14 src0_sel:BYTE_0 src1_sel:DWORD
	s_andn2_b64 s[4:5], s[4:5], exec
	s_and_b64 s[8:9], s[8:9], exec
	s_or_b64 s[4:5], s[4:5], s[8:9]
	s_or_b64 exec, exec, s[6:7]
	s_and_saveexec_b64 s[6:7], s[4:5]
	s_cbranch_execnz .LBB37_847
	s_branch .LBB37_848
.LBB37_2897:
	s_movk_i32 s4, 0x80
	v_cmp_eq_u16_e32 vcc, s4, v11
	s_mov_b64 s[4:5], -1
                                        ; implicit-def: $sgpr10
	s_and_saveexec_b64 s[8:9], vcc
; %bb.2898:
	s_mov_b32 s10, 0x7f800001
	s_xor_b64 s[4:5], exec, -1
; %bb.2899:
	s_or_b64 exec, exec, s[8:9]
	s_and_b64 s[4:5], s[4:5], exec
                                        ; implicit-def: $vgpr11
	s_or_saveexec_b64 s[6:7], s[6:7]
	v_mov_b32_e32 v10, s10
	s_xor_b64 exec, exec, s[6:7]
	s_cbranch_execz .LBB37_850
.LBB37_2900:
	v_cmp_ne_u16_e32 vcc, 0, v11
	s_andn2_b64 s[4:5], s[4:5], exec
	s_and_b64 s[8:9], vcc, exec
	v_mov_b32_e32 v10, 0
	s_or_b64 s[4:5], s[4:5], s[8:9]
	s_or_b64 exec, exec, s[6:7]
	s_and_saveexec_b64 s[6:7], s[4:5]
	s_cbranch_execnz .LBB37_851
	s_branch .LBB37_852
.LBB37_2901:
	s_movk_i32 s4, 0x80
	v_cmp_eq_u16_e32 vcc, s4, v11
	s_mov_b64 s[4:5], -1
                                        ; implicit-def: $sgpr10
	s_and_saveexec_b64 s[8:9], vcc
; %bb.2902:
	s_mov_b32 s10, 0x7f800001
	s_xor_b64 s[4:5], exec, -1
; %bb.2903:
	s_or_b64 exec, exec, s[8:9]
	s_and_b64 s[4:5], s[4:5], exec
                                        ; implicit-def: $vgpr11
	s_or_saveexec_b64 s[6:7], s[6:7]
	v_mov_b32_e32 v14, s10
	s_xor_b64 exec, exec, s[6:7]
	s_cbranch_execz .LBB37_854
.LBB37_2904:
	v_cmp_ne_u16_e32 vcc, 0, v11
	s_andn2_b64 s[4:5], s[4:5], exec
	s_and_b64 s[8:9], vcc, exec
	v_mov_b32_e32 v14, 0
	s_or_b64 s[4:5], s[4:5], s[8:9]
	s_or_b64 exec, exec, s[6:7]
	s_and_saveexec_b64 s[6:7], s[4:5]
	s_cbranch_execnz .LBB37_855
	s_branch .LBB37_856
.LBB37_2905:
	s_movk_i32 s4, 0x80
	v_cmp_eq_u16_sdwa s[12:13], v16, s4 src0_sel:BYTE_3 src1_sel:DWORD
	s_mov_b64 s[4:5], -1
                                        ; implicit-def: $sgpr10
	s_and_saveexec_b64 s[8:9], s[12:13]
; %bb.2906:
	s_mov_b32 s10, 0x7f800001
	s_xor_b64 s[4:5], exec, -1
; %bb.2907:
	s_or_b64 exec, exec, s[8:9]
	s_and_b64 s[4:5], s[4:5], exec
	s_or_saveexec_b64 s[6:7], s[6:7]
	v_mov_b32_e32 v10, s10
	s_xor_b64 exec, exec, s[6:7]
	s_cbranch_execz .LBB37_858
.LBB37_2908:
	v_mov_b32_e32 v10, 0
	v_cmp_ne_u16_sdwa s[8:9], v16, v10 src0_sel:BYTE_3 src1_sel:DWORD
	s_andn2_b64 s[4:5], s[4:5], exec
	s_and_b64 s[8:9], s[8:9], exec
	s_or_b64 s[4:5], s[4:5], s[8:9]
	s_or_b64 exec, exec, s[6:7]
	s_and_saveexec_b64 s[6:7], s[4:5]
	s_cbranch_execnz .LBB37_859
	s_branch .LBB37_860
.LBB37_2909:
	s_movk_i32 s4, 0x80
	v_cmp_eq_u16_sdwa s[12:13], v12, s4 src0_sel:BYTE_3 src1_sel:DWORD
	s_mov_b64 s[4:5], -1
                                        ; implicit-def: $sgpr10
	s_and_saveexec_b64 s[8:9], s[12:13]
; %bb.2910:
	s_mov_b32 s10, 0x7f800001
	s_xor_b64 s[4:5], exec, -1
; %bb.2911:
	s_or_b64 exec, exec, s[8:9]
	s_and_b64 s[4:5], s[4:5], exec
	s_or_saveexec_b64 s[6:7], s[6:7]
	v_mov_b32_e32 v11, s10
	s_xor_b64 exec, exec, s[6:7]
	s_cbranch_execz .LBB37_862
.LBB37_2912:
	v_mov_b32_e32 v11, 0
	v_cmp_ne_u16_sdwa s[8:9], v12, v11 src0_sel:BYTE_3 src1_sel:DWORD
	s_andn2_b64 s[4:5], s[4:5], exec
	s_and_b64 s[8:9], s[8:9], exec
	s_or_b64 s[4:5], s[4:5], s[8:9]
	s_or_b64 exec, exec, s[6:7]
	s_and_saveexec_b64 s[6:7], s[4:5]
	s_cbranch_execnz .LBB37_863
	s_branch .LBB37_864
.LBB37_2913:
	s_movk_i32 s4, 0x80
	v_cmp_eq_u16_sdwa s[12:13], v17, s4 src0_sel:BYTE_0 src1_sel:DWORD
	s_mov_b64 s[4:5], -1
                                        ; implicit-def: $sgpr10
	s_and_saveexec_b64 s[8:9], s[12:13]
; %bb.2914:
	s_mov_b32 s10, 0x7f800001
	s_xor_b64 s[4:5], exec, -1
; %bb.2915:
	s_or_b64 exec, exec, s[8:9]
	s_and_b64 s[4:5], s[4:5], exec
	s_or_saveexec_b64 s[6:7], s[6:7]
	v_mov_b32_e32 v10, s10
	s_xor_b64 exec, exec, s[6:7]
	s_cbranch_execz .LBB37_866
.LBB37_2916:
	v_mov_b32_e32 v10, 0
	v_cmp_ne_u16_sdwa s[8:9], v17, v10 src0_sel:BYTE_0 src1_sel:DWORD
	s_andn2_b64 s[4:5], s[4:5], exec
	s_and_b64 s[8:9], s[8:9], exec
	s_or_b64 s[4:5], s[4:5], s[8:9]
	s_or_b64 exec, exec, s[6:7]
	s_and_saveexec_b64 s[6:7], s[4:5]
	s_cbranch_execnz .LBB37_867
	s_branch .LBB37_868
.LBB37_2917:
	s_movk_i32 s4, 0x80
	v_cmp_eq_u16_sdwa s[12:13], v13, s4 src0_sel:BYTE_0 src1_sel:DWORD
	s_mov_b64 s[4:5], -1
                                        ; implicit-def: $sgpr10
	s_and_saveexec_b64 s[8:9], s[12:13]
; %bb.2918:
	s_mov_b32 s10, 0x7f800001
	s_xor_b64 s[4:5], exec, -1
; %bb.2919:
	s_or_b64 exec, exec, s[8:9]
	s_and_b64 s[4:5], s[4:5], exec
	s_or_saveexec_b64 s[6:7], s[6:7]
	v_mov_b32_e32 v11, s10
	s_xor_b64 exec, exec, s[6:7]
	s_cbranch_execz .LBB37_870
.LBB37_2920:
	v_mov_b32_e32 v11, 0
	v_cmp_ne_u16_sdwa s[8:9], v13, v11 src0_sel:BYTE_0 src1_sel:DWORD
	s_andn2_b64 s[4:5], s[4:5], exec
	s_and_b64 s[8:9], s[8:9], exec
	s_or_b64 s[4:5], s[4:5], s[8:9]
	s_or_b64 exec, exec, s[6:7]
	s_and_saveexec_b64 s[6:7], s[4:5]
	s_cbranch_execnz .LBB37_871
	s_branch .LBB37_872
.LBB37_2921:
	s_movk_i32 s4, 0x80
	v_cmp_eq_u16_sdwa s[12:13], v11, s4 src0_sel:BYTE_0 src1_sel:DWORD
	s_mov_b64 s[4:5], -1
                                        ; implicit-def: $sgpr10
	s_and_saveexec_b64 s[8:9], s[12:13]
; %bb.2922:
	s_mov_b32 s10, 0x7f800001
	s_xor_b64 s[4:5], exec, -1
; %bb.2923:
	s_or_b64 exec, exec, s[8:9]
	s_and_b64 s[4:5], s[4:5], exec
	s_or_saveexec_b64 s[6:7], s[6:7]
	v_mov_b32_e32 v10, s10
	s_xor_b64 exec, exec, s[6:7]
	s_cbranch_execz .LBB37_874
.LBB37_2924:
	v_mov_b32_e32 v10, 0
	v_cmp_ne_u16_sdwa s[8:9], v11, v10 src0_sel:BYTE_0 src1_sel:DWORD
	s_andn2_b64 s[4:5], s[4:5], exec
	s_and_b64 s[8:9], s[8:9], exec
	s_or_b64 s[4:5], s[4:5], s[8:9]
	s_or_b64 exec, exec, s[6:7]
	s_and_saveexec_b64 s[6:7], s[4:5]
	s_cbranch_execnz .LBB37_875
	s_branch .LBB37_876
.LBB37_2925:
	s_movk_i32 s4, 0x80
	v_cmp_eq_u16_sdwa s[12:13], v11, s4 src0_sel:BYTE_0 src1_sel:DWORD
	s_mov_b64 s[4:5], -1
                                        ; implicit-def: $sgpr10
	s_and_saveexec_b64 s[8:9], s[12:13]
; %bb.2926:
	s_mov_b32 s10, 0x7f800001
	s_xor_b64 s[4:5], exec, -1
; %bb.2927:
	s_or_b64 exec, exec, s[8:9]
	s_and_b64 s[4:5], s[4:5], exec
	s_or_saveexec_b64 s[6:7], s[6:7]
	v_mov_b32_e32 v12, s10
	s_xor_b64 exec, exec, s[6:7]
	s_cbranch_execz .LBB37_878
.LBB37_2928:
	v_mov_b32_e32 v12, 0
	v_cmp_ne_u16_sdwa s[8:9], v11, v12 src0_sel:BYTE_0 src1_sel:DWORD
	s_andn2_b64 s[4:5], s[4:5], exec
	s_and_b64 s[8:9], s[8:9], exec
	s_or_b64 s[4:5], s[4:5], s[8:9]
	s_or_b64 exec, exec, s[6:7]
	s_and_saveexec_b64 s[6:7], s[4:5]
	s_cbranch_execnz .LBB37_879
	s_branch .LBB37_880
.LBB37_2929:
	s_movk_i32 s4, 0x80
	v_cmp_eq_u16_e32 vcc, s4, v11
	s_mov_b64 s[4:5], -1
                                        ; implicit-def: $sgpr10
	s_and_saveexec_b64 s[8:9], vcc
; %bb.2930:
	s_mov_b32 s10, 0x7f800001
	s_xor_b64 s[4:5], exec, -1
; %bb.2931:
	s_or_b64 exec, exec, s[8:9]
	s_and_b64 s[4:5], s[4:5], exec
                                        ; implicit-def: $vgpr11
	s_or_saveexec_b64 s[6:7], s[6:7]
	v_mov_b32_e32 v10, s10
	s_xor_b64 exec, exec, s[6:7]
	s_cbranch_execz .LBB37_882
.LBB37_2932:
	v_cmp_ne_u16_e32 vcc, 0, v11
	s_andn2_b64 s[4:5], s[4:5], exec
	s_and_b64 s[8:9], vcc, exec
	v_mov_b32_e32 v10, 0
	s_or_b64 s[4:5], s[4:5], s[8:9]
	s_or_b64 exec, exec, s[6:7]
	s_and_saveexec_b64 s[6:7], s[4:5]
	s_cbranch_execnz .LBB37_883
	s_branch .LBB37_884
.LBB37_2933:
	s_movk_i32 s4, 0x80
	v_cmp_eq_u16_e32 vcc, s4, v11
	s_mov_b64 s[4:5], -1
                                        ; implicit-def: $sgpr10
	s_and_saveexec_b64 s[8:9], vcc
; %bb.2934:
	s_mov_b32 s10, 0x7f800001
	s_xor_b64 s[4:5], exec, -1
; %bb.2935:
	s_or_b64 exec, exec, s[8:9]
	s_and_b64 s[4:5], s[4:5], exec
                                        ; implicit-def: $vgpr11
	s_or_saveexec_b64 s[6:7], s[6:7]
	v_mov_b32_e32 v12, s10
	s_xor_b64 exec, exec, s[6:7]
	s_cbranch_execz .LBB37_886
.LBB37_2936:
	v_cmp_ne_u16_e32 vcc, 0, v11
	s_andn2_b64 s[4:5], s[4:5], exec
	s_and_b64 s[8:9], vcc, exec
	v_mov_b32_e32 v12, 0
	s_or_b64 s[4:5], s[4:5], s[8:9]
	s_or_b64 exec, exec, s[6:7]
	s_and_saveexec_b64 s[6:7], s[4:5]
	s_cbranch_execnz .LBB37_887
	s_branch .LBB37_888
.LBB37_2937:
	s_movk_i32 s4, 0x80
	v_cmp_eq_u16_sdwa s[12:13], v17, s4 src0_sel:BYTE_3 src1_sel:DWORD
	s_mov_b64 s[4:5], -1
                                        ; implicit-def: $sgpr10
	s_and_saveexec_b64 s[8:9], s[12:13]
; %bb.2938:
	s_mov_b32 s10, 0x7f800001
	s_xor_b64 s[4:5], exec, -1
; %bb.2939:
	s_or_b64 exec, exec, s[8:9]
	s_and_b64 s[4:5], s[4:5], exec
	s_or_saveexec_b64 s[6:7], s[6:7]
	v_mov_b32_e32 v10, s10
	s_xor_b64 exec, exec, s[6:7]
	s_cbranch_execz .LBB37_890
.LBB37_2940:
	v_mov_b32_e32 v10, 0
	v_cmp_ne_u16_sdwa s[8:9], v17, v10 src0_sel:BYTE_3 src1_sel:DWORD
	s_andn2_b64 s[4:5], s[4:5], exec
	s_and_b64 s[8:9], s[8:9], exec
	s_or_b64 s[4:5], s[4:5], s[8:9]
	s_or_b64 exec, exec, s[6:7]
	s_and_saveexec_b64 s[6:7], s[4:5]
	s_cbranch_execnz .LBB37_891
	s_branch .LBB37_892
.LBB37_2941:
	s_movk_i32 s4, 0x80
	v_cmp_eq_u16_sdwa s[12:13], v13, s4 src0_sel:BYTE_3 src1_sel:DWORD
	s_mov_b64 s[4:5], -1
                                        ; implicit-def: $sgpr10
	s_and_saveexec_b64 s[8:9], s[12:13]
; %bb.2942:
	s_mov_b32 s10, 0x7f800001
	s_xor_b64 s[4:5], exec, -1
; %bb.2943:
	s_or_b64 exec, exec, s[8:9]
	s_and_b64 s[4:5], s[4:5], exec
	s_or_saveexec_b64 s[6:7], s[6:7]
	v_mov_b32_e32 v11, s10
	s_xor_b64 exec, exec, s[6:7]
	s_cbranch_execz .LBB37_894
.LBB37_2944:
	v_mov_b32_e32 v11, 0
	v_cmp_ne_u16_sdwa s[8:9], v13, v11 src0_sel:BYTE_3 src1_sel:DWORD
	s_andn2_b64 s[4:5], s[4:5], exec
	s_and_b64 s[8:9], s[8:9], exec
	s_or_b64 s[4:5], s[4:5], s[8:9]
	s_or_b64 exec, exec, s[6:7]
	s_and_saveexec_b64 s[6:7], s[4:5]
	s_cbranch_execnz .LBB37_895
	s_branch .LBB37_896
.LBB37_2945:
	s_movk_i32 s4, 0x80
	v_cmp_eq_u16_sdwa s[12:13], v6, s4 src0_sel:BYTE_0 src1_sel:DWORD
	s_mov_b64 s[4:5], -1
                                        ; implicit-def: $sgpr10
	s_and_saveexec_b64 s[8:9], s[12:13]
; %bb.2946:
	s_mov_b32 s10, 0x7f800001
	s_xor_b64 s[4:5], exec, -1
; %bb.2947:
	s_or_b64 exec, exec, s[8:9]
	s_and_b64 s[4:5], s[4:5], exec
	s_or_saveexec_b64 s[6:7], s[6:7]
	v_mov_b32_e32 v10, s10
	s_xor_b64 exec, exec, s[6:7]
	s_cbranch_execz .LBB37_898
.LBB37_2948:
	v_mov_b32_e32 v10, 0
	v_cmp_ne_u16_sdwa s[8:9], v6, v10 src0_sel:BYTE_0 src1_sel:DWORD
	s_andn2_b64 s[4:5], s[4:5], exec
	s_and_b64 s[8:9], s[8:9], exec
	s_or_b64 s[4:5], s[4:5], s[8:9]
	s_or_b64 exec, exec, s[6:7]
	s_and_saveexec_b64 s[6:7], s[4:5]
	s_cbranch_execnz .LBB37_899
	s_branch .LBB37_900
.LBB37_2949:
	s_movk_i32 s4, 0x80
	v_cmp_eq_u16_sdwa s[12:13], v2, s4 src0_sel:BYTE_0 src1_sel:DWORD
	s_mov_b64 s[4:5], -1
                                        ; implicit-def: $sgpr10
	s_and_saveexec_b64 s[8:9], s[12:13]
; %bb.2950:
	s_mov_b32 s10, 0x7f800001
	s_xor_b64 s[4:5], exec, -1
; %bb.2951:
	s_or_b64 exec, exec, s[8:9]
	s_and_b64 s[4:5], s[4:5], exec
	s_or_saveexec_b64 s[6:7], s[6:7]
	v_mov_b32_e32 v11, s10
	s_xor_b64 exec, exec, s[6:7]
	s_cbranch_execz .LBB37_902
.LBB37_2952:
	v_mov_b32_e32 v11, 0
	v_cmp_ne_u16_sdwa s[8:9], v2, v11 src0_sel:BYTE_0 src1_sel:DWORD
	s_andn2_b64 s[4:5], s[4:5], exec
	s_and_b64 s[8:9], s[8:9], exec
	s_or_b64 s[4:5], s[4:5], s[8:9]
	s_or_b64 exec, exec, s[6:7]
	s_and_saveexec_b64 s[6:7], s[4:5]
	s_cbranch_execnz .LBB37_903
	s_branch .LBB37_904
.LBB37_2953:
	s_movk_i32 s4, 0x80
	v_cmp_eq_u16_sdwa s[12:13], v11, s4 src0_sel:BYTE_0 src1_sel:DWORD
	s_mov_b64 s[4:5], -1
                                        ; implicit-def: $sgpr10
	s_and_saveexec_b64 s[8:9], s[12:13]
; %bb.2954:
	s_mov_b32 s10, 0x7f800001
	s_xor_b64 s[4:5], exec, -1
; %bb.2955:
	s_or_b64 exec, exec, s[8:9]
	s_and_b64 s[4:5], s[4:5], exec
	s_or_saveexec_b64 s[6:7], s[6:7]
	v_mov_b32_e32 v10, s10
	s_xor_b64 exec, exec, s[6:7]
	s_cbranch_execz .LBB37_906
.LBB37_2956:
	v_mov_b32_e32 v10, 0
	v_cmp_ne_u16_sdwa s[8:9], v11, v10 src0_sel:BYTE_0 src1_sel:DWORD
	s_andn2_b64 s[4:5], s[4:5], exec
	s_and_b64 s[8:9], s[8:9], exec
	s_or_b64 s[4:5], s[4:5], s[8:9]
	s_or_b64 exec, exec, s[6:7]
	s_and_saveexec_b64 s[6:7], s[4:5]
	s_cbranch_execnz .LBB37_907
	s_branch .LBB37_908
.LBB37_2957:
	s_movk_i32 s4, 0x80
	v_cmp_eq_u16_sdwa s[12:13], v11, s4 src0_sel:BYTE_0 src1_sel:DWORD
	s_mov_b64 s[4:5], -1
                                        ; implicit-def: $sgpr10
	s_and_saveexec_b64 s[8:9], s[12:13]
; %bb.2958:
	s_mov_b32 s10, 0x7f800001
	s_xor_b64 s[4:5], exec, -1
; %bb.2959:
	s_or_b64 exec, exec, s[8:9]
	s_and_b64 s[4:5], s[4:5], exec
	s_or_saveexec_b64 s[6:7], s[6:7]
	v_mov_b32_e32 v12, s10
	s_xor_b64 exec, exec, s[6:7]
	s_cbranch_execz .LBB37_910
.LBB37_2960:
	v_mov_b32_e32 v12, 0
	v_cmp_ne_u16_sdwa s[8:9], v11, v12 src0_sel:BYTE_0 src1_sel:DWORD
	s_andn2_b64 s[4:5], s[4:5], exec
	s_and_b64 s[8:9], s[8:9], exec
	s_or_b64 s[4:5], s[4:5], s[8:9]
	s_or_b64 exec, exec, s[6:7]
	s_and_saveexec_b64 s[6:7], s[4:5]
	s_cbranch_execnz .LBB37_911
	s_branch .LBB37_912
.LBB37_2961:
	s_movk_i32 s4, 0x80
	v_cmp_eq_u16_e32 vcc, s4, v11
	s_mov_b64 s[4:5], -1
                                        ; implicit-def: $sgpr10
	s_and_saveexec_b64 s[8:9], vcc
; %bb.2962:
	s_mov_b32 s10, 0x7f800001
	s_xor_b64 s[4:5], exec, -1
; %bb.2963:
	s_or_b64 exec, exec, s[8:9]
	s_and_b64 s[4:5], s[4:5], exec
                                        ; implicit-def: $vgpr11
	s_or_saveexec_b64 s[6:7], s[6:7]
	v_mov_b32_e32 v10, s10
	s_xor_b64 exec, exec, s[6:7]
	s_cbranch_execz .LBB37_914
.LBB37_2964:
	v_cmp_ne_u16_e32 vcc, 0, v11
	s_andn2_b64 s[4:5], s[4:5], exec
	s_and_b64 s[8:9], vcc, exec
	v_mov_b32_e32 v10, 0
	s_or_b64 s[4:5], s[4:5], s[8:9]
	s_or_b64 exec, exec, s[6:7]
	s_and_saveexec_b64 s[6:7], s[4:5]
	s_cbranch_execnz .LBB37_915
	s_branch .LBB37_916
.LBB37_2965:
	s_movk_i32 s4, 0x80
	v_cmp_eq_u16_e32 vcc, s4, v11
	s_mov_b64 s[4:5], -1
                                        ; implicit-def: $sgpr10
	s_and_saveexec_b64 s[8:9], vcc
; %bb.2966:
	s_mov_b32 s10, 0x7f800001
	s_xor_b64 s[4:5], exec, -1
; %bb.2967:
	s_or_b64 exec, exec, s[8:9]
	s_and_b64 s[4:5], s[4:5], exec
                                        ; implicit-def: $vgpr11
	s_or_saveexec_b64 s[6:7], s[6:7]
	v_mov_b32_e32 v12, s10
	s_xor_b64 exec, exec, s[6:7]
	s_cbranch_execz .LBB37_918
.LBB37_2968:
	v_cmp_ne_u16_e32 vcc, 0, v11
	s_andn2_b64 s[4:5], s[4:5], exec
	s_and_b64 s[8:9], vcc, exec
	v_mov_b32_e32 v12, 0
	s_or_b64 s[4:5], s[4:5], s[8:9]
	s_or_b64 exec, exec, s[6:7]
	s_and_saveexec_b64 s[6:7], s[4:5]
	s_cbranch_execnz .LBB37_919
	s_branch .LBB37_920
.LBB37_2969:
	s_movk_i32 s4, 0x80
	v_cmp_eq_u16_sdwa s[12:13], v6, s4 src0_sel:BYTE_3 src1_sel:DWORD
	s_mov_b64 s[4:5], -1
                                        ; implicit-def: $sgpr10
	s_and_saveexec_b64 s[8:9], s[12:13]
; %bb.2970:
	s_mov_b32 s10, 0x7f800001
	s_xor_b64 s[4:5], exec, -1
; %bb.2971:
	s_or_b64 exec, exec, s[8:9]
	s_and_b64 s[4:5], s[4:5], exec
	s_or_saveexec_b64 s[6:7], s[6:7]
	v_mov_b32_e32 v10, s10
	s_xor_b64 exec, exec, s[6:7]
	s_cbranch_execz .LBB37_922
.LBB37_2972:
	v_mov_b32_e32 v10, 0
	v_cmp_ne_u16_sdwa s[8:9], v6, v10 src0_sel:BYTE_3 src1_sel:DWORD
	s_andn2_b64 s[4:5], s[4:5], exec
	s_and_b64 s[8:9], s[8:9], exec
	s_or_b64 s[4:5], s[4:5], s[8:9]
	s_or_b64 exec, exec, s[6:7]
	s_and_saveexec_b64 s[6:7], s[4:5]
	s_cbranch_execnz .LBB37_923
	s_branch .LBB37_924
.LBB37_2973:
	s_movk_i32 s4, 0x80
	v_cmp_eq_u16_sdwa s[12:13], v2, s4 src0_sel:BYTE_3 src1_sel:DWORD
	s_mov_b64 s[4:5], -1
                                        ; implicit-def: $sgpr10
	s_and_saveexec_b64 s[8:9], s[12:13]
; %bb.2974:
	s_mov_b32 s10, 0x7f800001
	s_xor_b64 s[4:5], exec, -1
; %bb.2975:
	s_or_b64 exec, exec, s[8:9]
	s_and_b64 s[4:5], s[4:5], exec
	s_or_saveexec_b64 s[6:7], s[6:7]
	v_mov_b32_e32 v6, s10
	s_xor_b64 exec, exec, s[6:7]
	s_cbranch_execz .LBB37_926
.LBB37_2976:
	v_mov_b32_e32 v6, 0
	v_cmp_ne_u16_sdwa s[8:9], v2, v6 src0_sel:BYTE_3 src1_sel:DWORD
	s_andn2_b64 s[4:5], s[4:5], exec
	s_and_b64 s[8:9], s[8:9], exec
	s_or_b64 s[4:5], s[4:5], s[8:9]
	s_or_b64 exec, exec, s[6:7]
	s_and_saveexec_b64 s[6:7], s[4:5]
	s_cbranch_execnz .LBB37_927
	s_branch .LBB37_928
.LBB37_2977:
	s_movk_i32 s4, 0x80
	v_cmp_eq_u16_sdwa s[12:13], v7, s4 src0_sel:BYTE_0 src1_sel:DWORD
	s_mov_b64 s[4:5], -1
                                        ; implicit-def: $sgpr10
	s_and_saveexec_b64 s[8:9], s[12:13]
; %bb.2978:
	s_mov_b32 s10, 0x7f800001
	s_xor_b64 s[4:5], exec, -1
; %bb.2979:
	s_or_b64 exec, exec, s[8:9]
	s_and_b64 s[4:5], s[4:5], exec
	s_or_saveexec_b64 s[6:7], s[6:7]
	v_mov_b32_e32 v2, s10
	s_xor_b64 exec, exec, s[6:7]
	s_cbranch_execz .LBB37_930
.LBB37_2980:
	v_mov_b32_e32 v2, 0
	v_cmp_ne_u16_sdwa s[8:9], v7, v2 src0_sel:BYTE_0 src1_sel:DWORD
	s_andn2_b64 s[4:5], s[4:5], exec
	s_and_b64 s[8:9], s[8:9], exec
	s_or_b64 s[4:5], s[4:5], s[8:9]
	s_or_b64 exec, exec, s[6:7]
	s_and_saveexec_b64 s[6:7], s[4:5]
	s_cbranch_execnz .LBB37_931
	s_branch .LBB37_932
.LBB37_2981:
	s_movk_i32 s4, 0x80
	v_cmp_eq_u16_sdwa s[12:13], v3, s4 src0_sel:BYTE_0 src1_sel:DWORD
	s_mov_b64 s[4:5], -1
                                        ; implicit-def: $sgpr10
	s_and_saveexec_b64 s[8:9], s[12:13]
; %bb.2982:
	s_mov_b32 s10, 0x7f800001
	s_xor_b64 s[4:5], exec, -1
; %bb.2983:
	s_or_b64 exec, exec, s[8:9]
	s_and_b64 s[4:5], s[4:5], exec
	s_or_saveexec_b64 s[6:7], s[6:7]
	v_mov_b32_e32 v6, s10
	s_xor_b64 exec, exec, s[6:7]
	s_cbranch_execz .LBB37_934
.LBB37_2984:
	v_mov_b32_e32 v6, 0
	v_cmp_ne_u16_sdwa s[8:9], v3, v6 src0_sel:BYTE_0 src1_sel:DWORD
	s_andn2_b64 s[4:5], s[4:5], exec
	s_and_b64 s[8:9], s[8:9], exec
	s_or_b64 s[4:5], s[4:5], s[8:9]
	s_or_b64 exec, exec, s[6:7]
	s_and_saveexec_b64 s[6:7], s[4:5]
	s_cbranch_execnz .LBB37_935
	s_branch .LBB37_936
.LBB37_2985:
	s_movk_i32 s4, 0x80
	v_cmp_eq_u16_sdwa s[12:13], v6, s4 src0_sel:BYTE_0 src1_sel:DWORD
	s_mov_b64 s[4:5], -1
                                        ; implicit-def: $sgpr10
	s_and_saveexec_b64 s[8:9], s[12:13]
; %bb.2986:
	s_mov_b32 s10, 0x7f800001
	s_xor_b64 s[4:5], exec, -1
; %bb.2987:
	s_or_b64 exec, exec, s[8:9]
	s_and_b64 s[4:5], s[4:5], exec
	s_or_saveexec_b64 s[6:7], s[6:7]
	v_mov_b32_e32 v2, s10
	s_xor_b64 exec, exec, s[6:7]
	s_cbranch_execz .LBB37_938
.LBB37_2988:
	v_mov_b32_e32 v2, 0
	v_cmp_ne_u16_sdwa s[8:9], v6, v2 src0_sel:BYTE_0 src1_sel:DWORD
	s_andn2_b64 s[4:5], s[4:5], exec
	s_and_b64 s[8:9], s[8:9], exec
	s_or_b64 s[4:5], s[4:5], s[8:9]
	s_or_b64 exec, exec, s[6:7]
	s_and_saveexec_b64 s[6:7], s[4:5]
	s_cbranch_execnz .LBB37_939
	s_branch .LBB37_940
.LBB37_2989:
	s_movk_i32 s4, 0x80
	v_cmp_eq_u16_sdwa s[12:13], v6, s4 src0_sel:BYTE_0 src1_sel:DWORD
	s_mov_b64 s[4:5], -1
                                        ; implicit-def: $sgpr10
	s_and_saveexec_b64 s[8:9], s[12:13]
; %bb.2990:
	s_mov_b32 s10, 0x7f800001
	s_xor_b64 s[4:5], exec, -1
; %bb.2991:
	s_or_b64 exec, exec, s[8:9]
	s_and_b64 s[4:5], s[4:5], exec
	s_or_saveexec_b64 s[6:7], s[6:7]
	v_mov_b32_e32 v10, s10
	s_xor_b64 exec, exec, s[6:7]
	s_cbranch_execz .LBB37_942
.LBB37_2992:
	v_mov_b32_e32 v10, 0
	v_cmp_ne_u16_sdwa s[8:9], v6, v10 src0_sel:BYTE_0 src1_sel:DWORD
	s_andn2_b64 s[4:5], s[4:5], exec
	s_and_b64 s[8:9], s[8:9], exec
	s_or_b64 s[4:5], s[4:5], s[8:9]
	s_or_b64 exec, exec, s[6:7]
	s_and_saveexec_b64 s[6:7], s[4:5]
	s_cbranch_execnz .LBB37_943
	s_branch .LBB37_944
.LBB37_2993:
	s_movk_i32 s4, 0x80
	v_cmp_eq_u16_e32 vcc, s4, v6
	s_mov_b64 s[4:5], -1
                                        ; implicit-def: $sgpr10
	s_and_saveexec_b64 s[8:9], vcc
; %bb.2994:
	s_mov_b32 s10, 0x7f800001
	s_xor_b64 s[4:5], exec, -1
; %bb.2995:
	s_or_b64 exec, exec, s[8:9]
	s_and_b64 s[4:5], s[4:5], exec
                                        ; implicit-def: $vgpr6
	s_or_saveexec_b64 s[6:7], s[6:7]
	v_mov_b32_e32 v2, s10
	s_xor_b64 exec, exec, s[6:7]
	s_cbranch_execz .LBB37_946
.LBB37_2996:
	v_cmp_ne_u16_e32 vcc, 0, v6
	s_andn2_b64 s[4:5], s[4:5], exec
	s_and_b64 s[8:9], vcc, exec
	v_mov_b32_e32 v2, 0
	s_or_b64 s[4:5], s[4:5], s[8:9]
	s_or_b64 exec, exec, s[6:7]
	s_and_saveexec_b64 s[6:7], s[4:5]
	s_cbranch_execnz .LBB37_947
	s_branch .LBB37_948
.LBB37_2997:
	s_movk_i32 s4, 0x80
	v_cmp_eq_u16_e32 vcc, s4, v6
	s_mov_b64 s[4:5], -1
                                        ; implicit-def: $sgpr10
	s_and_saveexec_b64 s[8:9], vcc
; %bb.2998:
	s_mov_b32 s10, 0x7f800001
	s_xor_b64 s[4:5], exec, -1
; %bb.2999:
	s_or_b64 exec, exec, s[8:9]
	s_and_b64 s[4:5], s[4:5], exec
                                        ; implicit-def: $vgpr6
	s_or_saveexec_b64 s[6:7], s[6:7]
	v_mov_b32_e32 v10, s10
	s_xor_b64 exec, exec, s[6:7]
	s_cbranch_execz .LBB37_950
.LBB37_3000:
	v_cmp_ne_u16_e32 vcc, 0, v6
	s_andn2_b64 s[4:5], s[4:5], exec
	s_and_b64 s[8:9], vcc, exec
	v_mov_b32_e32 v10, 0
	s_or_b64 s[4:5], s[4:5], s[8:9]
	s_or_b64 exec, exec, s[6:7]
	s_and_saveexec_b64 s[6:7], s[4:5]
	s_cbranch_execnz .LBB37_951
	s_branch .LBB37_952
.LBB37_3001:
	s_movk_i32 s4, 0x80
	v_cmp_eq_u16_sdwa s[12:13], v7, s4 src0_sel:BYTE_3 src1_sel:DWORD
	s_mov_b64 s[4:5], -1
                                        ; implicit-def: $sgpr10
	s_and_saveexec_b64 s[8:9], s[12:13]
; %bb.3002:
	s_mov_b32 s10, 0x7f800001
	s_xor_b64 s[4:5], exec, -1
; %bb.3003:
	s_or_b64 exec, exec, s[8:9]
	s_and_b64 s[4:5], s[4:5], exec
	s_or_saveexec_b64 s[6:7], s[6:7]
	v_mov_b32_e32 v2, s10
	s_xor_b64 exec, exec, s[6:7]
	s_cbranch_execz .LBB37_954
.LBB37_3004:
	v_mov_b32_e32 v2, 0
	v_cmp_ne_u16_sdwa s[8:9], v7, v2 src0_sel:BYTE_3 src1_sel:DWORD
	s_andn2_b64 s[4:5], s[4:5], exec
	s_and_b64 s[8:9], s[8:9], exec
	s_or_b64 s[4:5], s[4:5], s[8:9]
	s_or_b64 exec, exec, s[6:7]
	s_and_saveexec_b64 s[6:7], s[4:5]
	s_cbranch_execnz .LBB37_955
	s_branch .LBB37_956
.LBB37_3005:
	s_movk_i32 s4, 0x80
	v_cmp_eq_u16_sdwa s[12:13], v3, s4 src0_sel:BYTE_3 src1_sel:DWORD
	s_mov_b64 s[4:5], -1
                                        ; implicit-def: $sgpr10
	s_and_saveexec_b64 s[8:9], s[12:13]
; %bb.3006:
	s_mov_b32 s10, 0x7f800001
	s_xor_b64 s[4:5], exec, -1
; %bb.3007:
	s_or_b64 exec, exec, s[8:9]
	s_and_b64 s[4:5], s[4:5], exec
	s_or_saveexec_b64 s[6:7], s[6:7]
	v_mov_b32_e32 v6, s10
	s_xor_b64 exec, exec, s[6:7]
	s_cbranch_execz .LBB37_958
.LBB37_3008:
	v_mov_b32_e32 v6, 0
	v_cmp_ne_u16_sdwa s[8:9], v3, v6 src0_sel:BYTE_3 src1_sel:DWORD
	s_andn2_b64 s[4:5], s[4:5], exec
	s_and_b64 s[8:9], s[8:9], exec
	s_or_b64 s[4:5], s[4:5], s[8:9]
	s_or_b64 exec, exec, s[6:7]
	s_and_saveexec_b64 s[6:7], s[4:5]
	s_cbranch_execnz .LBB37_959
	s_branch .LBB37_960
.LBB37_3009:
	s_movk_i32 s4, 0x80
	v_cmp_eq_u16_sdwa s[12:13], v8, s4 src0_sel:BYTE_0 src1_sel:DWORD
	s_mov_b64 s[4:5], -1
                                        ; implicit-def: $sgpr10
	s_and_saveexec_b64 s[8:9], s[12:13]
; %bb.3010:
	s_mov_b32 s10, 0x7f800001
	s_xor_b64 s[4:5], exec, -1
; %bb.3011:
	s_or_b64 exec, exec, s[8:9]
	s_and_b64 s[4:5], s[4:5], exec
	s_or_saveexec_b64 s[6:7], s[6:7]
	v_mov_b32_e32 v2, s10
	s_xor_b64 exec, exec, s[6:7]
	s_cbranch_execz .LBB37_962
.LBB37_3012:
	v_mov_b32_e32 v2, 0
	v_cmp_ne_u16_sdwa s[8:9], v8, v2 src0_sel:BYTE_0 src1_sel:DWORD
	s_andn2_b64 s[4:5], s[4:5], exec
	s_and_b64 s[8:9], s[8:9], exec
	s_or_b64 s[4:5], s[4:5], s[8:9]
	s_or_b64 exec, exec, s[6:7]
	s_and_saveexec_b64 s[6:7], s[4:5]
	s_cbranch_execnz .LBB37_963
	s_branch .LBB37_964
.LBB37_3013:
	s_movk_i32 s4, 0x80
	v_cmp_eq_u16_sdwa s[12:13], v4, s4 src0_sel:BYTE_0 src1_sel:DWORD
	s_mov_b64 s[4:5], -1
                                        ; implicit-def: $sgpr10
	s_and_saveexec_b64 s[8:9], s[12:13]
; %bb.3014:
	s_mov_b32 s10, 0x7f800001
	s_xor_b64 s[4:5], exec, -1
; %bb.3015:
	s_or_b64 exec, exec, s[8:9]
	s_and_b64 s[4:5], s[4:5], exec
	s_or_saveexec_b64 s[6:7], s[6:7]
	v_mov_b32_e32 v3, s10
	s_xor_b64 exec, exec, s[6:7]
	s_cbranch_execz .LBB37_966
.LBB37_3016:
	v_mov_b32_e32 v3, 0
	v_cmp_ne_u16_sdwa s[8:9], v4, v3 src0_sel:BYTE_0 src1_sel:DWORD
	s_andn2_b64 s[4:5], s[4:5], exec
	s_and_b64 s[8:9], s[8:9], exec
	s_or_b64 s[4:5], s[4:5], s[8:9]
	s_or_b64 exec, exec, s[6:7]
	s_and_saveexec_b64 s[6:7], s[4:5]
	s_cbranch_execnz .LBB37_967
	s_branch .LBB37_968
.LBB37_3017:
	s_movk_i32 s4, 0x80
	v_cmp_eq_u16_sdwa s[12:13], v3, s4 src0_sel:BYTE_0 src1_sel:DWORD
	s_mov_b64 s[4:5], -1
                                        ; implicit-def: $sgpr10
	s_and_saveexec_b64 s[8:9], s[12:13]
; %bb.3018:
	s_mov_b32 s10, 0x7f800001
	s_xor_b64 s[4:5], exec, -1
; %bb.3019:
	s_or_b64 exec, exec, s[8:9]
	s_and_b64 s[4:5], s[4:5], exec
	s_or_saveexec_b64 s[6:7], s[6:7]
	v_mov_b32_e32 v2, s10
	s_xor_b64 exec, exec, s[6:7]
	s_cbranch_execz .LBB37_970
.LBB37_3020:
	v_mov_b32_e32 v2, 0
	v_cmp_ne_u16_sdwa s[8:9], v3, v2 src0_sel:BYTE_0 src1_sel:DWORD
	s_andn2_b64 s[4:5], s[4:5], exec
	s_and_b64 s[8:9], s[8:9], exec
	s_or_b64 s[4:5], s[4:5], s[8:9]
	s_or_b64 exec, exec, s[6:7]
	s_and_saveexec_b64 s[6:7], s[4:5]
	s_cbranch_execnz .LBB37_971
	s_branch .LBB37_972
.LBB37_3021:
	s_movk_i32 s4, 0x80
	v_cmp_eq_u16_sdwa s[12:13], v3, s4 src0_sel:BYTE_0 src1_sel:DWORD
	s_mov_b64 s[4:5], -1
                                        ; implicit-def: $sgpr10
	s_and_saveexec_b64 s[8:9], s[12:13]
; %bb.3022:
	s_mov_b32 s10, 0x7f800001
	s_xor_b64 s[4:5], exec, -1
; %bb.3023:
	s_or_b64 exec, exec, s[8:9]
	s_and_b64 s[4:5], s[4:5], exec
	s_or_saveexec_b64 s[6:7], s[6:7]
	v_mov_b32_e32 v6, s10
	s_xor_b64 exec, exec, s[6:7]
	s_cbranch_execz .LBB37_974
.LBB37_3024:
	v_mov_b32_e32 v6, 0
	v_cmp_ne_u16_sdwa s[8:9], v3, v6 src0_sel:BYTE_0 src1_sel:DWORD
	s_andn2_b64 s[4:5], s[4:5], exec
	s_and_b64 s[8:9], s[8:9], exec
	s_or_b64 s[4:5], s[4:5], s[8:9]
	s_or_b64 exec, exec, s[6:7]
	s_and_saveexec_b64 s[6:7], s[4:5]
	s_cbranch_execnz .LBB37_975
	s_branch .LBB37_976
.LBB37_3025:
	s_movk_i32 s4, 0x80
	v_cmp_eq_u16_e32 vcc, s4, v3
	s_mov_b64 s[4:5], -1
                                        ; implicit-def: $sgpr10
	s_and_saveexec_b64 s[8:9], vcc
; %bb.3026:
	s_mov_b32 s10, 0x7f800001
	s_xor_b64 s[4:5], exec, -1
; %bb.3027:
	s_or_b64 exec, exec, s[8:9]
	s_and_b64 s[4:5], s[4:5], exec
                                        ; implicit-def: $vgpr3
	s_or_saveexec_b64 s[6:7], s[6:7]
	v_mov_b32_e32 v2, s10
	s_xor_b64 exec, exec, s[6:7]
	s_cbranch_execz .LBB37_978
.LBB37_3028:
	v_cmp_ne_u16_e32 vcc, 0, v3
	s_andn2_b64 s[4:5], s[4:5], exec
	s_and_b64 s[8:9], vcc, exec
	v_mov_b32_e32 v2, 0
	s_or_b64 s[4:5], s[4:5], s[8:9]
	s_or_b64 exec, exec, s[6:7]
	s_and_saveexec_b64 s[6:7], s[4:5]
	s_cbranch_execnz .LBB37_979
	s_branch .LBB37_980
.LBB37_3029:
	s_movk_i32 s4, 0x80
	v_cmp_eq_u16_e32 vcc, s4, v3
	s_mov_b64 s[4:5], -1
                                        ; implicit-def: $sgpr10
	s_and_saveexec_b64 s[8:9], vcc
; %bb.3030:
	s_mov_b32 s10, 0x7f800001
	s_xor_b64 s[4:5], exec, -1
; %bb.3031:
	s_or_b64 exec, exec, s[8:9]
	s_and_b64 s[4:5], s[4:5], exec
                                        ; implicit-def: $vgpr3
	s_or_saveexec_b64 s[6:7], s[6:7]
	v_mov_b32_e32 v6, s10
	s_xor_b64 exec, exec, s[6:7]
	s_cbranch_execz .LBB37_982
.LBB37_3032:
	v_cmp_ne_u16_e32 vcc, 0, v3
	s_andn2_b64 s[4:5], s[4:5], exec
	s_and_b64 s[8:9], vcc, exec
	v_mov_b32_e32 v6, 0
	s_or_b64 s[4:5], s[4:5], s[8:9]
	s_or_b64 exec, exec, s[6:7]
	s_and_saveexec_b64 s[6:7], s[4:5]
	s_cbranch_execnz .LBB37_983
	s_branch .LBB37_984
.LBB37_3033:
	s_movk_i32 s4, 0x80
	v_cmp_eq_u16_sdwa s[12:13], v8, s4 src0_sel:BYTE_3 src1_sel:DWORD
	s_mov_b64 s[4:5], -1
                                        ; implicit-def: $sgpr10
	s_and_saveexec_b64 s[8:9], s[12:13]
; %bb.3034:
	s_mov_b32 s10, 0x7f800001
	s_xor_b64 s[4:5], exec, -1
; %bb.3035:
	s_or_b64 exec, exec, s[8:9]
	s_and_b64 s[4:5], s[4:5], exec
	s_or_saveexec_b64 s[6:7], s[6:7]
	v_mov_b32_e32 v2, s10
	s_xor_b64 exec, exec, s[6:7]
	s_cbranch_execz .LBB37_986
.LBB37_3036:
	v_mov_b32_e32 v2, 0
	v_cmp_ne_u16_sdwa s[8:9], v8, v2 src0_sel:BYTE_3 src1_sel:DWORD
	s_andn2_b64 s[4:5], s[4:5], exec
	s_and_b64 s[8:9], s[8:9], exec
	s_or_b64 s[4:5], s[4:5], s[8:9]
	s_or_b64 exec, exec, s[6:7]
	s_and_saveexec_b64 s[6:7], s[4:5]
	s_cbranch_execnz .LBB37_987
	s_branch .LBB37_988
.LBB37_3037:
	s_movk_i32 s4, 0x80
	v_cmp_eq_u16_sdwa s[12:13], v4, s4 src0_sel:BYTE_3 src1_sel:DWORD
	s_mov_b64 s[4:5], -1
                                        ; implicit-def: $sgpr10
	s_and_saveexec_b64 s[8:9], s[12:13]
; %bb.3038:
	s_mov_b32 s10, 0x7f800001
	s_xor_b64 s[4:5], exec, -1
; %bb.3039:
	s_or_b64 exec, exec, s[8:9]
	s_and_b64 s[4:5], s[4:5], exec
	s_or_saveexec_b64 s[6:7], s[6:7]
	v_mov_b32_e32 v3, s10
	s_xor_b64 exec, exec, s[6:7]
	s_cbranch_execz .LBB37_990
.LBB37_3040:
	v_mov_b32_e32 v3, 0
	v_cmp_ne_u16_sdwa s[8:9], v4, v3 src0_sel:BYTE_3 src1_sel:DWORD
	s_andn2_b64 s[4:5], s[4:5], exec
	s_and_b64 s[8:9], s[8:9], exec
	s_or_b64 s[4:5], s[4:5], s[8:9]
	s_or_b64 exec, exec, s[6:7]
	s_and_saveexec_b64 s[6:7], s[4:5]
	s_cbranch_execnz .LBB37_991
	s_branch .LBB37_992
.LBB37_3041:
	s_movk_i32 s4, 0x80
	v_cmp_eq_u16_sdwa s[12:13], v9, s4 src0_sel:BYTE_0 src1_sel:DWORD
	s_mov_b64 s[4:5], -1
                                        ; implicit-def: $sgpr10
	s_and_saveexec_b64 s[8:9], s[12:13]
; %bb.3042:
	s_mov_b32 s10, 0x7f800001
	s_xor_b64 s[4:5], exec, -1
; %bb.3043:
	s_or_b64 exec, exec, s[8:9]
	s_and_b64 s[4:5], s[4:5], exec
	s_or_saveexec_b64 s[6:7], s[6:7]
	v_mov_b32_e32 v2, s10
	s_xor_b64 exec, exec, s[6:7]
	s_cbranch_execz .LBB37_994
.LBB37_3044:
	v_mov_b32_e32 v2, 0
	v_cmp_ne_u16_sdwa s[8:9], v9, v2 src0_sel:BYTE_0 src1_sel:DWORD
	s_andn2_b64 s[4:5], s[4:5], exec
	s_and_b64 s[8:9], s[8:9], exec
	s_or_b64 s[4:5], s[4:5], s[8:9]
	s_or_b64 exec, exec, s[6:7]
	s_and_saveexec_b64 s[6:7], s[4:5]
	s_cbranch_execnz .LBB37_995
	s_branch .LBB37_996
.LBB37_3045:
	s_movk_i32 s4, 0x80
	v_cmp_eq_u16_sdwa s[12:13], v5, s4 src0_sel:BYTE_0 src1_sel:DWORD
	s_mov_b64 s[4:5], -1
                                        ; implicit-def: $sgpr10
	s_and_saveexec_b64 s[8:9], s[12:13]
; %bb.3046:
	s_mov_b32 s10, 0x7f800001
	s_xor_b64 s[4:5], exec, -1
; %bb.3047:
	s_or_b64 exec, exec, s[8:9]
	s_and_b64 s[4:5], s[4:5], exec
	s_or_saveexec_b64 s[6:7], s[6:7]
	v_mov_b32_e32 v3, s10
	s_xor_b64 exec, exec, s[6:7]
	s_cbranch_execz .LBB37_998
.LBB37_3048:
	v_mov_b32_e32 v3, 0
	v_cmp_ne_u16_sdwa s[8:9], v5, v3 src0_sel:BYTE_0 src1_sel:DWORD
	s_andn2_b64 s[4:5], s[4:5], exec
	s_and_b64 s[8:9], s[8:9], exec
	s_or_b64 s[4:5], s[4:5], s[8:9]
	s_or_b64 exec, exec, s[6:7]
	s_and_saveexec_b64 s[6:7], s[4:5]
	s_cbranch_execnz .LBB37_999
	s_branch .LBB37_1000
.LBB37_3049:
	s_movk_i32 s4, 0x80
	v_cmp_eq_u16_sdwa s[12:13], v3, s4 src0_sel:BYTE_0 src1_sel:DWORD
	s_mov_b64 s[4:5], -1
                                        ; implicit-def: $sgpr10
	s_and_saveexec_b64 s[8:9], s[12:13]
; %bb.3050:
	s_mov_b32 s10, 0x7f800001
	s_xor_b64 s[4:5], exec, -1
; %bb.3051:
	s_or_b64 exec, exec, s[8:9]
	s_and_b64 s[4:5], s[4:5], exec
	s_or_saveexec_b64 s[6:7], s[6:7]
	v_mov_b32_e32 v2, s10
	s_xor_b64 exec, exec, s[6:7]
	s_cbranch_execz .LBB37_1002
.LBB37_3052:
	v_mov_b32_e32 v2, 0
	v_cmp_ne_u16_sdwa s[8:9], v3, v2 src0_sel:BYTE_0 src1_sel:DWORD
	s_andn2_b64 s[4:5], s[4:5], exec
	s_and_b64 s[8:9], s[8:9], exec
	s_or_b64 s[4:5], s[4:5], s[8:9]
	s_or_b64 exec, exec, s[6:7]
	s_and_saveexec_b64 s[6:7], s[4:5]
	s_cbranch_execnz .LBB37_1003
	s_branch .LBB37_1004
.LBB37_3053:
	s_movk_i32 s4, 0x80
	v_cmp_eq_u16_sdwa s[12:13], v3, s4 src0_sel:BYTE_0 src1_sel:DWORD
	s_mov_b64 s[4:5], -1
                                        ; implicit-def: $sgpr10
	s_and_saveexec_b64 s[8:9], s[12:13]
; %bb.3054:
	s_mov_b32 s10, 0x7f800001
	s_xor_b64 s[4:5], exec, -1
; %bb.3055:
	s_or_b64 exec, exec, s[8:9]
	s_and_b64 s[4:5], s[4:5], exec
	s_or_saveexec_b64 s[6:7], s[6:7]
	v_mov_b32_e32 v4, s10
	s_xor_b64 exec, exec, s[6:7]
	s_cbranch_execz .LBB37_1006
.LBB37_3056:
	v_mov_b32_e32 v4, 0
	v_cmp_ne_u16_sdwa s[8:9], v3, v4 src0_sel:BYTE_0 src1_sel:DWORD
	s_andn2_b64 s[4:5], s[4:5], exec
	s_and_b64 s[8:9], s[8:9], exec
	s_or_b64 s[4:5], s[4:5], s[8:9]
	s_or_b64 exec, exec, s[6:7]
	s_and_saveexec_b64 s[6:7], s[4:5]
	s_cbranch_execnz .LBB37_1007
	s_branch .LBB37_1008
.LBB37_3057:
	s_movk_i32 s4, 0x80
	v_cmp_eq_u16_e32 vcc, s4, v3
	s_mov_b64 s[4:5], -1
                                        ; implicit-def: $sgpr10
	s_and_saveexec_b64 s[8:9], vcc
; %bb.3058:
	s_mov_b32 s10, 0x7f800001
	s_xor_b64 s[4:5], exec, -1
; %bb.3059:
	s_or_b64 exec, exec, s[8:9]
	s_and_b64 s[4:5], s[4:5], exec
                                        ; implicit-def: $vgpr3
	s_or_saveexec_b64 s[6:7], s[6:7]
	v_mov_b32_e32 v2, s10
	s_xor_b64 exec, exec, s[6:7]
	s_cbranch_execz .LBB37_1010
.LBB37_3060:
	v_cmp_ne_u16_e32 vcc, 0, v3
	s_andn2_b64 s[4:5], s[4:5], exec
	s_and_b64 s[8:9], vcc, exec
	v_mov_b32_e32 v2, 0
	s_or_b64 s[4:5], s[4:5], s[8:9]
	s_or_b64 exec, exec, s[6:7]
	s_and_saveexec_b64 s[6:7], s[4:5]
	s_cbranch_execnz .LBB37_1011
	s_branch .LBB37_1012
.LBB37_3061:
	s_movk_i32 s4, 0x80
	v_cmp_eq_u16_e32 vcc, s4, v3
	s_mov_b64 s[4:5], -1
                                        ; implicit-def: $sgpr10
	s_and_saveexec_b64 s[8:9], vcc
; %bb.3062:
	s_mov_b32 s10, 0x7f800001
	s_xor_b64 s[4:5], exec, -1
; %bb.3063:
	s_or_b64 exec, exec, s[8:9]
	s_and_b64 s[4:5], s[4:5], exec
                                        ; implicit-def: $vgpr3
	s_or_saveexec_b64 s[6:7], s[6:7]
	v_mov_b32_e32 v4, s10
	s_xor_b64 exec, exec, s[6:7]
	s_cbranch_execz .LBB37_1014
.LBB37_3064:
	v_cmp_ne_u16_e32 vcc, 0, v3
	s_andn2_b64 s[4:5], s[4:5], exec
	s_and_b64 s[8:9], vcc, exec
	v_mov_b32_e32 v4, 0
	s_or_b64 s[4:5], s[4:5], s[8:9]
	s_or_b64 exec, exec, s[6:7]
	s_and_saveexec_b64 s[6:7], s[4:5]
	s_cbranch_execnz .LBB37_1015
	s_branch .LBB37_1016
.LBB37_3065:
	s_movk_i32 s4, 0x80
	v_cmp_eq_u16_sdwa s[12:13], v9, s4 src0_sel:BYTE_3 src1_sel:DWORD
	s_mov_b64 s[4:5], -1
                                        ; implicit-def: $sgpr10
	s_and_saveexec_b64 s[8:9], s[12:13]
; %bb.3066:
	s_mov_b32 s10, 0x7f800001
	s_xor_b64 s[4:5], exec, -1
; %bb.3067:
	s_or_b64 exec, exec, s[8:9]
	s_and_b64 s[4:5], s[4:5], exec
	s_or_saveexec_b64 s[6:7], s[6:7]
	v_mov_b32_e32 v2, s10
	s_xor_b64 exec, exec, s[6:7]
	s_cbranch_execz .LBB37_1018
.LBB37_3068:
	v_mov_b32_e32 v2, 0
	v_cmp_ne_u16_sdwa s[8:9], v9, v2 src0_sel:BYTE_3 src1_sel:DWORD
	s_andn2_b64 s[4:5], s[4:5], exec
	s_and_b64 s[8:9], s[8:9], exec
	s_or_b64 s[4:5], s[4:5], s[8:9]
	s_or_b64 exec, exec, s[6:7]
	s_and_saveexec_b64 s[6:7], s[4:5]
	s_cbranch_execnz .LBB37_1019
	s_branch .LBB37_1020
.LBB37_3069:
	s_movk_i32 s4, 0x80
	v_cmp_eq_u16_sdwa s[12:13], v5, s4 src0_sel:BYTE_3 src1_sel:DWORD
	s_mov_b64 s[4:5], -1
                                        ; implicit-def: $sgpr10
	s_and_saveexec_b64 s[8:9], s[12:13]
; %bb.3070:
	s_mov_b32 s10, 0x7f800001
	s_xor_b64 s[4:5], exec, -1
; %bb.3071:
	s_or_b64 exec, exec, s[8:9]
	s_and_b64 s[4:5], s[4:5], exec
	s_or_saveexec_b64 s[6:7], s[6:7]
	v_mov_b32_e32 v3, s10
	s_xor_b64 exec, exec, s[6:7]
	s_cbranch_execz .LBB37_1022
.LBB37_3072:
	v_mov_b32_e32 v3, 0
	v_cmp_ne_u16_sdwa s[8:9], v5, v3 src0_sel:BYTE_3 src1_sel:DWORD
	s_andn2_b64 s[4:5], s[4:5], exec
	s_and_b64 s[8:9], s[8:9], exec
	s_or_b64 s[4:5], s[4:5], s[8:9]
	s_or_b64 exec, exec, s[6:7]
	s_and_saveexec_b64 s[6:7], s[4:5]
	s_cbranch_execnz .LBB37_1023
	s_branch .LBB37_1024
.LBB37_3073:
	s_movk_i32 s4, 0x80
	v_cmp_eq_u16_sdwa s[12:13], v14, s4 src0_sel:BYTE_0 src1_sel:DWORD
	s_mov_b64 s[4:5], -1
                                        ; implicit-def: $sgpr10
	s_and_saveexec_b64 s[8:9], s[12:13]
; %bb.3074:
	s_mov_b32 s10, 0x7f800001
	s_xor_b64 s[4:5], exec, -1
; %bb.3075:
	s_or_b64 exec, exec, s[8:9]
	s_and_b64 s[4:5], s[4:5], exec
	s_or_saveexec_b64 s[6:7], s[6:7]
	v_mov_b32_e32 v20, s10
	s_xor_b64 exec, exec, s[6:7]
	s_cbranch_execz .LBB37_1026
.LBB37_3076:
	v_mov_b32_e32 v20, 0
	v_cmp_ne_u16_sdwa s[8:9], v14, v20 src0_sel:BYTE_0 src1_sel:DWORD
	s_andn2_b64 s[4:5], s[4:5], exec
	s_and_b64 s[8:9], s[8:9], exec
	s_or_b64 s[4:5], s[4:5], s[8:9]
	s_or_b64 exec, exec, s[6:7]
	s_and_saveexec_b64 s[6:7], s[4:5]
	s_cbranch_execnz .LBB37_1027
	s_branch .LBB37_1028
.LBB37_3077:
	s_movk_i32 s4, 0x80
	v_cmp_eq_u16_sdwa s[12:13], v10, s4 src0_sel:BYTE_0 src1_sel:DWORD
	s_mov_b64 s[4:5], -1
                                        ; implicit-def: $sgpr10
	s_and_saveexec_b64 s[8:9], s[12:13]
; %bb.3078:
	s_mov_b32 s10, 0x7f800001
	s_xor_b64 s[4:5], exec, -1
; %bb.3079:
	s_or_b64 exec, exec, s[8:9]
	s_and_b64 s[4:5], s[4:5], exec
	s_or_saveexec_b64 s[6:7], s[6:7]
	v_mov_b32_e32 v21, s10
	s_xor_b64 exec, exec, s[6:7]
	s_cbranch_execz .LBB37_1030
.LBB37_3080:
	v_mov_b32_e32 v21, 0
	v_cmp_ne_u16_sdwa s[8:9], v10, v21 src0_sel:BYTE_0 src1_sel:DWORD
	s_andn2_b64 s[4:5], s[4:5], exec
	s_and_b64 s[8:9], s[8:9], exec
	s_or_b64 s[4:5], s[4:5], s[8:9]
	s_or_b64 exec, exec, s[6:7]
	s_and_saveexec_b64 s[6:7], s[4:5]
	s_cbranch_execnz .LBB37_1031
	s_branch .LBB37_1032
.LBB37_3081:
	s_movk_i32 s4, 0x80
	v_cmp_eq_u16_sdwa s[12:13], v21, s4 src0_sel:BYTE_0 src1_sel:DWORD
	s_mov_b64 s[4:5], -1
                                        ; implicit-def: $sgpr10
	s_and_saveexec_b64 s[8:9], s[12:13]
; %bb.3082:
	s_mov_b32 s10, 0x7f800001
	s_xor_b64 s[4:5], exec, -1
; %bb.3083:
	s_or_b64 exec, exec, s[8:9]
	s_and_b64 s[4:5], s[4:5], exec
	s_or_saveexec_b64 s[6:7], s[6:7]
	v_mov_b32_e32 v20, s10
	s_xor_b64 exec, exec, s[6:7]
	s_cbranch_execz .LBB37_1034
.LBB37_3084:
	v_mov_b32_e32 v20, 0
	v_cmp_ne_u16_sdwa s[8:9], v21, v20 src0_sel:BYTE_0 src1_sel:DWORD
	s_andn2_b64 s[4:5], s[4:5], exec
	s_and_b64 s[8:9], s[8:9], exec
	s_or_b64 s[4:5], s[4:5], s[8:9]
	s_or_b64 exec, exec, s[6:7]
	s_and_saveexec_b64 s[6:7], s[4:5]
	s_cbranch_execnz .LBB37_1035
	s_branch .LBB37_1036
.LBB37_3085:
	s_movk_i32 s4, 0x80
	v_cmp_eq_u16_sdwa s[12:13], v21, s4 src0_sel:BYTE_0 src1_sel:DWORD
	s_mov_b64 s[4:5], -1
                                        ; implicit-def: $sgpr10
	s_and_saveexec_b64 s[8:9], s[12:13]
; %bb.3086:
	s_mov_b32 s10, 0x7f800001
	s_xor_b64 s[4:5], exec, -1
; %bb.3087:
	s_or_b64 exec, exec, s[8:9]
	s_and_b64 s[4:5], s[4:5], exec
	s_or_saveexec_b64 s[6:7], s[6:7]
	v_mov_b32_e32 v22, s10
	s_xor_b64 exec, exec, s[6:7]
	s_cbranch_execz .LBB37_1038
.LBB37_3088:
	v_mov_b32_e32 v22, 0
	v_cmp_ne_u16_sdwa s[8:9], v21, v22 src0_sel:BYTE_0 src1_sel:DWORD
	s_andn2_b64 s[4:5], s[4:5], exec
	s_and_b64 s[8:9], s[8:9], exec
	s_or_b64 s[4:5], s[4:5], s[8:9]
	s_or_b64 exec, exec, s[6:7]
	s_and_saveexec_b64 s[6:7], s[4:5]
	s_cbranch_execnz .LBB37_1039
	s_branch .LBB37_1040
.LBB37_3089:
	s_movk_i32 s4, 0x80
	v_cmp_eq_u16_e32 vcc, s4, v21
	s_mov_b64 s[4:5], -1
                                        ; implicit-def: $sgpr10
	s_and_saveexec_b64 s[8:9], vcc
; %bb.3090:
	s_mov_b32 s10, 0x7f800001
	s_xor_b64 s[4:5], exec, -1
; %bb.3091:
	s_or_b64 exec, exec, s[8:9]
	s_and_b64 s[4:5], s[4:5], exec
                                        ; implicit-def: $vgpr21
	s_or_saveexec_b64 s[6:7], s[6:7]
	v_mov_b32_e32 v20, s10
	s_xor_b64 exec, exec, s[6:7]
	s_cbranch_execz .LBB37_1042
.LBB37_3092:
	v_cmp_ne_u16_e32 vcc, 0, v21
	s_andn2_b64 s[4:5], s[4:5], exec
	s_and_b64 s[8:9], vcc, exec
	v_mov_b32_e32 v20, 0
	s_or_b64 s[4:5], s[4:5], s[8:9]
	s_or_b64 exec, exec, s[6:7]
	s_and_saveexec_b64 s[6:7], s[4:5]
	s_cbranch_execnz .LBB37_1043
	s_branch .LBB37_1044
.LBB37_3093:
	s_movk_i32 s4, 0x80
	v_cmp_eq_u16_e32 vcc, s4, v21
	s_mov_b64 s[4:5], -1
                                        ; implicit-def: $sgpr10
	s_and_saveexec_b64 s[8:9], vcc
; %bb.3094:
	s_mov_b32 s10, 0x7f800001
	s_xor_b64 s[4:5], exec, -1
; %bb.3095:
	s_or_b64 exec, exec, s[8:9]
	s_and_b64 s[4:5], s[4:5], exec
                                        ; implicit-def: $vgpr21
	s_or_saveexec_b64 s[6:7], s[6:7]
	v_mov_b32_e32 v22, s10
	s_xor_b64 exec, exec, s[6:7]
	s_cbranch_execz .LBB37_1046
.LBB37_3096:
	v_cmp_ne_u16_e32 vcc, 0, v21
	s_andn2_b64 s[4:5], s[4:5], exec
	s_and_b64 s[8:9], vcc, exec
	v_mov_b32_e32 v22, 0
	s_or_b64 s[4:5], s[4:5], s[8:9]
	s_or_b64 exec, exec, s[6:7]
	s_and_saveexec_b64 s[6:7], s[4:5]
	s_cbranch_execnz .LBB37_1047
	s_branch .LBB37_1048
.LBB37_3097:
	s_movk_i32 s4, 0x80
	v_cmp_eq_u16_sdwa s[12:13], v14, s4 src0_sel:BYTE_3 src1_sel:DWORD
	s_mov_b64 s[4:5], -1
                                        ; implicit-def: $sgpr10
	s_and_saveexec_b64 s[8:9], s[12:13]
; %bb.3098:
	s_mov_b32 s10, 0x7f800001
	s_xor_b64 s[4:5], exec, -1
; %bb.3099:
	s_or_b64 exec, exec, s[8:9]
	s_and_b64 s[4:5], s[4:5], exec
	s_or_saveexec_b64 s[6:7], s[6:7]
	v_mov_b32_e32 v20, s10
	s_xor_b64 exec, exec, s[6:7]
	s_cbranch_execz .LBB37_1050
.LBB37_3100:
	v_mov_b32_e32 v20, 0
	v_cmp_ne_u16_sdwa s[8:9], v14, v20 src0_sel:BYTE_3 src1_sel:DWORD
	s_andn2_b64 s[4:5], s[4:5], exec
	s_and_b64 s[8:9], s[8:9], exec
	s_or_b64 s[4:5], s[4:5], s[8:9]
	s_or_b64 exec, exec, s[6:7]
	s_and_saveexec_b64 s[6:7], s[4:5]
	s_cbranch_execnz .LBB37_1051
	s_branch .LBB37_1052
.LBB37_3101:
	s_movk_i32 s4, 0x80
	v_cmp_eq_u16_sdwa s[12:13], v10, s4 src0_sel:BYTE_3 src1_sel:DWORD
	s_mov_b64 s[4:5], -1
                                        ; implicit-def: $sgpr10
	s_and_saveexec_b64 s[8:9], s[12:13]
; %bb.3102:
	s_mov_b32 s10, 0x7f800001
	s_xor_b64 s[4:5], exec, -1
; %bb.3103:
	s_or_b64 exec, exec, s[8:9]
	s_and_b64 s[4:5], s[4:5], exec
	s_or_saveexec_b64 s[6:7], s[6:7]
	v_mov_b32_e32 v14, s10
	s_xor_b64 exec, exec, s[6:7]
	s_cbranch_execz .LBB37_1054
.LBB37_3104:
	v_mov_b32_e32 v14, 0
	v_cmp_ne_u16_sdwa s[8:9], v10, v14 src0_sel:BYTE_3 src1_sel:DWORD
	s_andn2_b64 s[4:5], s[4:5], exec
	s_and_b64 s[8:9], s[8:9], exec
	s_or_b64 s[4:5], s[4:5], s[8:9]
	s_or_b64 exec, exec, s[6:7]
	s_and_saveexec_b64 s[6:7], s[4:5]
	s_cbranch_execnz .LBB37_1055
	s_branch .LBB37_1056
.LBB37_3105:
	s_movk_i32 s4, 0x80
	v_cmp_eq_u16_sdwa s[12:13], v15, s4 src0_sel:BYTE_0 src1_sel:DWORD
	s_mov_b64 s[4:5], -1
                                        ; implicit-def: $sgpr10
	s_and_saveexec_b64 s[8:9], s[12:13]
; %bb.3106:
	s_mov_b32 s10, 0x7f800001
	s_xor_b64 s[4:5], exec, -1
; %bb.3107:
	s_or_b64 exec, exec, s[8:9]
	s_and_b64 s[4:5], s[4:5], exec
	s_or_saveexec_b64 s[6:7], s[6:7]
	v_mov_b32_e32 v10, s10
	s_xor_b64 exec, exec, s[6:7]
	s_cbranch_execz .LBB37_1058
.LBB37_3108:
	v_mov_b32_e32 v10, 0
	v_cmp_ne_u16_sdwa s[8:9], v15, v10 src0_sel:BYTE_0 src1_sel:DWORD
	s_andn2_b64 s[4:5], s[4:5], exec
	s_and_b64 s[8:9], s[8:9], exec
	s_or_b64 s[4:5], s[4:5], s[8:9]
	s_or_b64 exec, exec, s[6:7]
	s_and_saveexec_b64 s[6:7], s[4:5]
	s_cbranch_execnz .LBB37_1059
	s_branch .LBB37_1060
.LBB37_3109:
	s_movk_i32 s4, 0x80
	v_cmp_eq_u16_sdwa s[12:13], v11, s4 src0_sel:BYTE_0 src1_sel:DWORD
	s_mov_b64 s[4:5], -1
                                        ; implicit-def: $sgpr10
	s_and_saveexec_b64 s[8:9], s[12:13]
; %bb.3110:
	s_mov_b32 s10, 0x7f800001
	s_xor_b64 s[4:5], exec, -1
; %bb.3111:
	s_or_b64 exec, exec, s[8:9]
	s_and_b64 s[4:5], s[4:5], exec
	s_or_saveexec_b64 s[6:7], s[6:7]
	v_mov_b32_e32 v14, s10
	s_xor_b64 exec, exec, s[6:7]
	s_cbranch_execz .LBB37_1062
.LBB37_3112:
	v_mov_b32_e32 v14, 0
	v_cmp_ne_u16_sdwa s[8:9], v11, v14 src0_sel:BYTE_0 src1_sel:DWORD
	s_andn2_b64 s[4:5], s[4:5], exec
	s_and_b64 s[8:9], s[8:9], exec
	s_or_b64 s[4:5], s[4:5], s[8:9]
	s_or_b64 exec, exec, s[6:7]
	s_and_saveexec_b64 s[6:7], s[4:5]
	s_cbranch_execnz .LBB37_1063
	s_branch .LBB37_1064
.LBB37_3113:
	s_movk_i32 s4, 0x80
	v_cmp_eq_u16_sdwa s[12:13], v14, s4 src0_sel:BYTE_0 src1_sel:DWORD
	s_mov_b64 s[4:5], -1
                                        ; implicit-def: $sgpr10
	s_and_saveexec_b64 s[8:9], s[12:13]
; %bb.3114:
	s_mov_b32 s10, 0x7f800001
	s_xor_b64 s[4:5], exec, -1
; %bb.3115:
	s_or_b64 exec, exec, s[8:9]
	s_and_b64 s[4:5], s[4:5], exec
	s_or_saveexec_b64 s[6:7], s[6:7]
	v_mov_b32_e32 v10, s10
	s_xor_b64 exec, exec, s[6:7]
	s_cbranch_execz .LBB37_1066
.LBB37_3116:
	v_mov_b32_e32 v10, 0
	v_cmp_ne_u16_sdwa s[8:9], v14, v10 src0_sel:BYTE_0 src1_sel:DWORD
	s_andn2_b64 s[4:5], s[4:5], exec
	s_and_b64 s[8:9], s[8:9], exec
	s_or_b64 s[4:5], s[4:5], s[8:9]
	s_or_b64 exec, exec, s[6:7]
	s_and_saveexec_b64 s[6:7], s[4:5]
	s_cbranch_execnz .LBB37_1067
	s_branch .LBB37_1068
.LBB37_3117:
	s_movk_i32 s4, 0x80
	v_cmp_eq_u16_sdwa s[12:13], v14, s4 src0_sel:BYTE_0 src1_sel:DWORD
	s_mov_b64 s[4:5], -1
                                        ; implicit-def: $sgpr10
	s_and_saveexec_b64 s[8:9], s[12:13]
; %bb.3118:
	s_mov_b32 s10, 0x7f800001
	s_xor_b64 s[4:5], exec, -1
; %bb.3119:
	s_or_b64 exec, exec, s[8:9]
	s_and_b64 s[4:5], s[4:5], exec
	s_or_saveexec_b64 s[6:7], s[6:7]
	v_mov_b32_e32 v20, s10
	s_xor_b64 exec, exec, s[6:7]
	s_cbranch_execz .LBB37_1070
.LBB37_3120:
	v_mov_b32_e32 v20, 0
	v_cmp_ne_u16_sdwa s[8:9], v14, v20 src0_sel:BYTE_0 src1_sel:DWORD
	s_andn2_b64 s[4:5], s[4:5], exec
	s_and_b64 s[8:9], s[8:9], exec
	s_or_b64 s[4:5], s[4:5], s[8:9]
	s_or_b64 exec, exec, s[6:7]
	s_and_saveexec_b64 s[6:7], s[4:5]
	s_cbranch_execnz .LBB37_1071
	s_branch .LBB37_1072
.LBB37_3121:
	s_movk_i32 s4, 0x80
	v_cmp_eq_u16_e32 vcc, s4, v14
	s_mov_b64 s[4:5], -1
                                        ; implicit-def: $sgpr10
	s_and_saveexec_b64 s[8:9], vcc
; %bb.3122:
	s_mov_b32 s10, 0x7f800001
	s_xor_b64 s[4:5], exec, -1
; %bb.3123:
	s_or_b64 exec, exec, s[8:9]
	s_and_b64 s[4:5], s[4:5], exec
                                        ; implicit-def: $vgpr14
	s_or_saveexec_b64 s[6:7], s[6:7]
	v_mov_b32_e32 v10, s10
	s_xor_b64 exec, exec, s[6:7]
	s_cbranch_execz .LBB37_1074
.LBB37_3124:
	v_cmp_ne_u16_e32 vcc, 0, v14
	s_andn2_b64 s[4:5], s[4:5], exec
	s_and_b64 s[8:9], vcc, exec
	v_mov_b32_e32 v10, 0
	s_or_b64 s[4:5], s[4:5], s[8:9]
	s_or_b64 exec, exec, s[6:7]
	s_and_saveexec_b64 s[6:7], s[4:5]
	s_cbranch_execnz .LBB37_1075
	s_branch .LBB37_1076
.LBB37_3125:
	s_movk_i32 s4, 0x80
	v_cmp_eq_u16_e32 vcc, s4, v14
	s_mov_b64 s[4:5], -1
                                        ; implicit-def: $sgpr10
	s_and_saveexec_b64 s[8:9], vcc
; %bb.3126:
	s_mov_b32 s10, 0x7f800001
	s_xor_b64 s[4:5], exec, -1
; %bb.3127:
	s_or_b64 exec, exec, s[8:9]
	s_and_b64 s[4:5], s[4:5], exec
                                        ; implicit-def: $vgpr14
	s_or_saveexec_b64 s[6:7], s[6:7]
	v_mov_b32_e32 v20, s10
	s_xor_b64 exec, exec, s[6:7]
	s_cbranch_execz .LBB37_1078
.LBB37_3128:
	v_cmp_ne_u16_e32 vcc, 0, v14
	s_andn2_b64 s[4:5], s[4:5], exec
	s_and_b64 s[8:9], vcc, exec
	v_mov_b32_e32 v20, 0
	s_or_b64 s[4:5], s[4:5], s[8:9]
	s_or_b64 exec, exec, s[6:7]
	s_and_saveexec_b64 s[6:7], s[4:5]
	s_cbranch_execnz .LBB37_1079
	s_branch .LBB37_1080
.LBB37_3129:
	s_movk_i32 s4, 0x80
	v_cmp_eq_u16_sdwa s[12:13], v15, s4 src0_sel:BYTE_3 src1_sel:DWORD
	s_mov_b64 s[4:5], -1
                                        ; implicit-def: $sgpr10
	s_and_saveexec_b64 s[8:9], s[12:13]
; %bb.3130:
	s_mov_b32 s10, 0x7f800001
	s_xor_b64 s[4:5], exec, -1
; %bb.3131:
	s_or_b64 exec, exec, s[8:9]
	s_and_b64 s[4:5], s[4:5], exec
	s_or_saveexec_b64 s[6:7], s[6:7]
	v_mov_b32_e32 v10, s10
	s_xor_b64 exec, exec, s[6:7]
	s_cbranch_execz .LBB37_1082
.LBB37_3132:
	v_mov_b32_e32 v10, 0
	v_cmp_ne_u16_sdwa s[8:9], v15, v10 src0_sel:BYTE_3 src1_sel:DWORD
	s_andn2_b64 s[4:5], s[4:5], exec
	s_and_b64 s[8:9], s[8:9], exec
	s_or_b64 s[4:5], s[4:5], s[8:9]
	s_or_b64 exec, exec, s[6:7]
	s_and_saveexec_b64 s[6:7], s[4:5]
	s_cbranch_execnz .LBB37_1083
	s_branch .LBB37_1084
.LBB37_3133:
	s_movk_i32 s4, 0x80
	v_cmp_eq_u16_sdwa s[12:13], v11, s4 src0_sel:BYTE_3 src1_sel:DWORD
	s_mov_b64 s[4:5], -1
                                        ; implicit-def: $sgpr10
	s_and_saveexec_b64 s[8:9], s[12:13]
; %bb.3134:
	s_mov_b32 s10, 0x7f800001
	s_xor_b64 s[4:5], exec, -1
; %bb.3135:
	s_or_b64 exec, exec, s[8:9]
	s_and_b64 s[4:5], s[4:5], exec
	s_or_saveexec_b64 s[6:7], s[6:7]
	v_mov_b32_e32 v14, s10
	s_xor_b64 exec, exec, s[6:7]
	s_cbranch_execz .LBB37_1086
.LBB37_3136:
	v_mov_b32_e32 v14, 0
	v_cmp_ne_u16_sdwa s[8:9], v11, v14 src0_sel:BYTE_3 src1_sel:DWORD
	s_andn2_b64 s[4:5], s[4:5], exec
	s_and_b64 s[8:9], s[8:9], exec
	s_or_b64 s[4:5], s[4:5], s[8:9]
	s_or_b64 exec, exec, s[6:7]
	s_and_saveexec_b64 s[6:7], s[4:5]
	s_cbranch_execnz .LBB37_1087
	s_branch .LBB37_1088
.LBB37_3137:
	s_movk_i32 s4, 0x80
	v_cmp_eq_u16_sdwa s[12:13], v16, s4 src0_sel:BYTE_0 src1_sel:DWORD
	s_mov_b64 s[4:5], -1
                                        ; implicit-def: $sgpr10
	s_and_saveexec_b64 s[8:9], s[12:13]
; %bb.3138:
	s_mov_b32 s10, 0x7f800001
	s_xor_b64 s[4:5], exec, -1
; %bb.3139:
	s_or_b64 exec, exec, s[8:9]
	s_and_b64 s[4:5], s[4:5], exec
	s_or_saveexec_b64 s[6:7], s[6:7]
	v_mov_b32_e32 v10, s10
	s_xor_b64 exec, exec, s[6:7]
	s_cbranch_execz .LBB37_1090
.LBB37_3140:
	v_mov_b32_e32 v10, 0
	v_cmp_ne_u16_sdwa s[8:9], v16, v10 src0_sel:BYTE_0 src1_sel:DWORD
	s_andn2_b64 s[4:5], s[4:5], exec
	s_and_b64 s[8:9], s[8:9], exec
	s_or_b64 s[4:5], s[4:5], s[8:9]
	s_or_b64 exec, exec, s[6:7]
	s_and_saveexec_b64 s[6:7], s[4:5]
	s_cbranch_execnz .LBB37_1091
	s_branch .LBB37_1092
.LBB37_3141:
	s_movk_i32 s4, 0x80
	v_cmp_eq_u16_sdwa s[12:13], v12, s4 src0_sel:BYTE_0 src1_sel:DWORD
	s_mov_b64 s[4:5], -1
                                        ; implicit-def: $sgpr10
	s_and_saveexec_b64 s[8:9], s[12:13]
; %bb.3142:
	s_mov_b32 s10, 0x7f800001
	s_xor_b64 s[4:5], exec, -1
; %bb.3143:
	s_or_b64 exec, exec, s[8:9]
	s_and_b64 s[4:5], s[4:5], exec
	s_or_saveexec_b64 s[6:7], s[6:7]
	v_mov_b32_e32 v11, s10
	s_xor_b64 exec, exec, s[6:7]
	s_cbranch_execz .LBB37_1094
.LBB37_3144:
	v_mov_b32_e32 v11, 0
	v_cmp_ne_u16_sdwa s[8:9], v12, v11 src0_sel:BYTE_0 src1_sel:DWORD
	s_andn2_b64 s[4:5], s[4:5], exec
	s_and_b64 s[8:9], s[8:9], exec
	s_or_b64 s[4:5], s[4:5], s[8:9]
	s_or_b64 exec, exec, s[6:7]
	s_and_saveexec_b64 s[6:7], s[4:5]
	s_cbranch_execnz .LBB37_1095
	s_branch .LBB37_1096
.LBB37_3145:
	s_movk_i32 s4, 0x80
	v_cmp_eq_u16_sdwa s[12:13], v11, s4 src0_sel:BYTE_0 src1_sel:DWORD
	s_mov_b64 s[4:5], -1
                                        ; implicit-def: $sgpr10
	s_and_saveexec_b64 s[8:9], s[12:13]
; %bb.3146:
	s_mov_b32 s10, 0x7f800001
	s_xor_b64 s[4:5], exec, -1
; %bb.3147:
	s_or_b64 exec, exec, s[8:9]
	s_and_b64 s[4:5], s[4:5], exec
	s_or_saveexec_b64 s[6:7], s[6:7]
	v_mov_b32_e32 v10, s10
	s_xor_b64 exec, exec, s[6:7]
	s_cbranch_execz .LBB37_1098
.LBB37_3148:
	v_mov_b32_e32 v10, 0
	v_cmp_ne_u16_sdwa s[8:9], v11, v10 src0_sel:BYTE_0 src1_sel:DWORD
	s_andn2_b64 s[4:5], s[4:5], exec
	s_and_b64 s[8:9], s[8:9], exec
	s_or_b64 s[4:5], s[4:5], s[8:9]
	s_or_b64 exec, exec, s[6:7]
	s_and_saveexec_b64 s[6:7], s[4:5]
	s_cbranch_execnz .LBB37_1099
	s_branch .LBB37_1100
.LBB37_3149:
	s_movk_i32 s4, 0x80
	v_cmp_eq_u16_sdwa s[12:13], v11, s4 src0_sel:BYTE_0 src1_sel:DWORD
	s_mov_b64 s[4:5], -1
                                        ; implicit-def: $sgpr10
	s_and_saveexec_b64 s[8:9], s[12:13]
; %bb.3150:
	s_mov_b32 s10, 0x7f800001
	s_xor_b64 s[4:5], exec, -1
; %bb.3151:
	s_or_b64 exec, exec, s[8:9]
	s_and_b64 s[4:5], s[4:5], exec
	s_or_saveexec_b64 s[6:7], s[6:7]
	v_mov_b32_e32 v14, s10
	s_xor_b64 exec, exec, s[6:7]
	s_cbranch_execz .LBB37_1102
.LBB37_3152:
	v_mov_b32_e32 v14, 0
	v_cmp_ne_u16_sdwa s[8:9], v11, v14 src0_sel:BYTE_0 src1_sel:DWORD
	s_andn2_b64 s[4:5], s[4:5], exec
	s_and_b64 s[8:9], s[8:9], exec
	s_or_b64 s[4:5], s[4:5], s[8:9]
	s_or_b64 exec, exec, s[6:7]
	s_and_saveexec_b64 s[6:7], s[4:5]
	s_cbranch_execnz .LBB37_1103
	s_branch .LBB37_1104
.LBB37_3153:
	s_movk_i32 s4, 0x80
	v_cmp_eq_u16_e32 vcc, s4, v11
	s_mov_b64 s[4:5], -1
                                        ; implicit-def: $sgpr10
	s_and_saveexec_b64 s[8:9], vcc
; %bb.3154:
	s_mov_b32 s10, 0x7f800001
	s_xor_b64 s[4:5], exec, -1
; %bb.3155:
	s_or_b64 exec, exec, s[8:9]
	s_and_b64 s[4:5], s[4:5], exec
                                        ; implicit-def: $vgpr11
	s_or_saveexec_b64 s[6:7], s[6:7]
	v_mov_b32_e32 v10, s10
	s_xor_b64 exec, exec, s[6:7]
	s_cbranch_execz .LBB37_1106
.LBB37_3156:
	v_cmp_ne_u16_e32 vcc, 0, v11
	s_andn2_b64 s[4:5], s[4:5], exec
	s_and_b64 s[8:9], vcc, exec
	v_mov_b32_e32 v10, 0
	s_or_b64 s[4:5], s[4:5], s[8:9]
	s_or_b64 exec, exec, s[6:7]
	s_and_saveexec_b64 s[6:7], s[4:5]
	s_cbranch_execnz .LBB37_1107
	s_branch .LBB37_1108
.LBB37_3157:
	s_movk_i32 s4, 0x80
	v_cmp_eq_u16_e32 vcc, s4, v11
	s_mov_b64 s[4:5], -1
                                        ; implicit-def: $sgpr10
	s_and_saveexec_b64 s[8:9], vcc
; %bb.3158:
	s_mov_b32 s10, 0x7f800001
	s_xor_b64 s[4:5], exec, -1
; %bb.3159:
	s_or_b64 exec, exec, s[8:9]
	s_and_b64 s[4:5], s[4:5], exec
                                        ; implicit-def: $vgpr11
	s_or_saveexec_b64 s[6:7], s[6:7]
	v_mov_b32_e32 v14, s10
	s_xor_b64 exec, exec, s[6:7]
	s_cbranch_execz .LBB37_1110
.LBB37_3160:
	v_cmp_ne_u16_e32 vcc, 0, v11
	s_andn2_b64 s[4:5], s[4:5], exec
	s_and_b64 s[8:9], vcc, exec
	v_mov_b32_e32 v14, 0
	s_or_b64 s[4:5], s[4:5], s[8:9]
	s_or_b64 exec, exec, s[6:7]
	s_and_saveexec_b64 s[6:7], s[4:5]
	s_cbranch_execnz .LBB37_1111
	s_branch .LBB37_1112
.LBB37_3161:
	s_movk_i32 s4, 0x80
	v_cmp_eq_u16_sdwa s[12:13], v16, s4 src0_sel:BYTE_3 src1_sel:DWORD
	s_mov_b64 s[4:5], -1
                                        ; implicit-def: $sgpr10
	s_and_saveexec_b64 s[8:9], s[12:13]
; %bb.3162:
	s_mov_b32 s10, 0x7f800001
	s_xor_b64 s[4:5], exec, -1
; %bb.3163:
	s_or_b64 exec, exec, s[8:9]
	s_and_b64 s[4:5], s[4:5], exec
	s_or_saveexec_b64 s[6:7], s[6:7]
	v_mov_b32_e32 v10, s10
	s_xor_b64 exec, exec, s[6:7]
	s_cbranch_execz .LBB37_1114
.LBB37_3164:
	v_mov_b32_e32 v10, 0
	v_cmp_ne_u16_sdwa s[8:9], v16, v10 src0_sel:BYTE_3 src1_sel:DWORD
	s_andn2_b64 s[4:5], s[4:5], exec
	s_and_b64 s[8:9], s[8:9], exec
	s_or_b64 s[4:5], s[4:5], s[8:9]
	s_or_b64 exec, exec, s[6:7]
	s_and_saveexec_b64 s[6:7], s[4:5]
	s_cbranch_execnz .LBB37_1115
	s_branch .LBB37_1116
.LBB37_3165:
	s_movk_i32 s4, 0x80
	v_cmp_eq_u16_sdwa s[12:13], v12, s4 src0_sel:BYTE_3 src1_sel:DWORD
	s_mov_b64 s[4:5], -1
                                        ; implicit-def: $sgpr10
	s_and_saveexec_b64 s[8:9], s[12:13]
; %bb.3166:
	s_mov_b32 s10, 0x7f800001
	s_xor_b64 s[4:5], exec, -1
; %bb.3167:
	s_or_b64 exec, exec, s[8:9]
	s_and_b64 s[4:5], s[4:5], exec
	s_or_saveexec_b64 s[6:7], s[6:7]
	v_mov_b32_e32 v11, s10
	s_xor_b64 exec, exec, s[6:7]
	s_cbranch_execz .LBB37_1118
.LBB37_3168:
	v_mov_b32_e32 v11, 0
	v_cmp_ne_u16_sdwa s[8:9], v12, v11 src0_sel:BYTE_3 src1_sel:DWORD
	s_andn2_b64 s[4:5], s[4:5], exec
	s_and_b64 s[8:9], s[8:9], exec
	s_or_b64 s[4:5], s[4:5], s[8:9]
	s_or_b64 exec, exec, s[6:7]
	s_and_saveexec_b64 s[6:7], s[4:5]
	s_cbranch_execnz .LBB37_1119
	s_branch .LBB37_1120
.LBB37_3169:
	s_movk_i32 s4, 0x80
	v_cmp_eq_u16_sdwa s[12:13], v17, s4 src0_sel:BYTE_0 src1_sel:DWORD
	s_mov_b64 s[4:5], -1
                                        ; implicit-def: $sgpr10
	s_and_saveexec_b64 s[8:9], s[12:13]
; %bb.3170:
	s_mov_b32 s10, 0x7f800001
	s_xor_b64 s[4:5], exec, -1
; %bb.3171:
	s_or_b64 exec, exec, s[8:9]
	s_and_b64 s[4:5], s[4:5], exec
	s_or_saveexec_b64 s[6:7], s[6:7]
	v_mov_b32_e32 v10, s10
	s_xor_b64 exec, exec, s[6:7]
	s_cbranch_execz .LBB37_1122
.LBB37_3172:
	v_mov_b32_e32 v10, 0
	v_cmp_ne_u16_sdwa s[8:9], v17, v10 src0_sel:BYTE_0 src1_sel:DWORD
	s_andn2_b64 s[4:5], s[4:5], exec
	s_and_b64 s[8:9], s[8:9], exec
	s_or_b64 s[4:5], s[4:5], s[8:9]
	s_or_b64 exec, exec, s[6:7]
	s_and_saveexec_b64 s[6:7], s[4:5]
	s_cbranch_execnz .LBB37_1123
	s_branch .LBB37_1124
.LBB37_3173:
	s_movk_i32 s4, 0x80
	v_cmp_eq_u16_sdwa s[12:13], v13, s4 src0_sel:BYTE_0 src1_sel:DWORD
	s_mov_b64 s[4:5], -1
                                        ; implicit-def: $sgpr10
	s_and_saveexec_b64 s[8:9], s[12:13]
; %bb.3174:
	s_mov_b32 s10, 0x7f800001
	s_xor_b64 s[4:5], exec, -1
; %bb.3175:
	s_or_b64 exec, exec, s[8:9]
	s_and_b64 s[4:5], s[4:5], exec
	s_or_saveexec_b64 s[6:7], s[6:7]
	v_mov_b32_e32 v11, s10
	s_xor_b64 exec, exec, s[6:7]
	s_cbranch_execz .LBB37_1126
.LBB37_3176:
	v_mov_b32_e32 v11, 0
	v_cmp_ne_u16_sdwa s[8:9], v13, v11 src0_sel:BYTE_0 src1_sel:DWORD
	s_andn2_b64 s[4:5], s[4:5], exec
	s_and_b64 s[8:9], s[8:9], exec
	s_or_b64 s[4:5], s[4:5], s[8:9]
	s_or_b64 exec, exec, s[6:7]
	s_and_saveexec_b64 s[6:7], s[4:5]
	s_cbranch_execnz .LBB37_1127
	s_branch .LBB37_1128
.LBB37_3177:
	s_movk_i32 s4, 0x80
	v_cmp_eq_u16_sdwa s[12:13], v11, s4 src0_sel:BYTE_0 src1_sel:DWORD
	s_mov_b64 s[4:5], -1
                                        ; implicit-def: $sgpr10
	s_and_saveexec_b64 s[8:9], s[12:13]
; %bb.3178:
	s_mov_b32 s10, 0x7f800001
	s_xor_b64 s[4:5], exec, -1
; %bb.3179:
	s_or_b64 exec, exec, s[8:9]
	s_and_b64 s[4:5], s[4:5], exec
	s_or_saveexec_b64 s[6:7], s[6:7]
	v_mov_b32_e32 v10, s10
	s_xor_b64 exec, exec, s[6:7]
	s_cbranch_execz .LBB37_1130
.LBB37_3180:
	v_mov_b32_e32 v10, 0
	v_cmp_ne_u16_sdwa s[8:9], v11, v10 src0_sel:BYTE_0 src1_sel:DWORD
	s_andn2_b64 s[4:5], s[4:5], exec
	s_and_b64 s[8:9], s[8:9], exec
	s_or_b64 s[4:5], s[4:5], s[8:9]
	s_or_b64 exec, exec, s[6:7]
	s_and_saveexec_b64 s[6:7], s[4:5]
	s_cbranch_execnz .LBB37_1131
	s_branch .LBB37_1132
.LBB37_3181:
	s_movk_i32 s4, 0x80
	v_cmp_eq_u16_sdwa s[12:13], v11, s4 src0_sel:BYTE_0 src1_sel:DWORD
	s_mov_b64 s[4:5], -1
                                        ; implicit-def: $sgpr10
	s_and_saveexec_b64 s[8:9], s[12:13]
; %bb.3182:
	s_mov_b32 s10, 0x7f800001
	s_xor_b64 s[4:5], exec, -1
; %bb.3183:
	s_or_b64 exec, exec, s[8:9]
	s_and_b64 s[4:5], s[4:5], exec
	s_or_saveexec_b64 s[6:7], s[6:7]
	v_mov_b32_e32 v12, s10
	s_xor_b64 exec, exec, s[6:7]
	s_cbranch_execz .LBB37_1134
.LBB37_3184:
	v_mov_b32_e32 v12, 0
	v_cmp_ne_u16_sdwa s[8:9], v11, v12 src0_sel:BYTE_0 src1_sel:DWORD
	s_andn2_b64 s[4:5], s[4:5], exec
	s_and_b64 s[8:9], s[8:9], exec
	s_or_b64 s[4:5], s[4:5], s[8:9]
	s_or_b64 exec, exec, s[6:7]
	s_and_saveexec_b64 s[6:7], s[4:5]
	s_cbranch_execnz .LBB37_1135
	s_branch .LBB37_1136
.LBB37_3185:
	s_movk_i32 s4, 0x80
	v_cmp_eq_u16_e32 vcc, s4, v11
	s_mov_b64 s[4:5], -1
                                        ; implicit-def: $sgpr10
	s_and_saveexec_b64 s[8:9], vcc
; %bb.3186:
	s_mov_b32 s10, 0x7f800001
	s_xor_b64 s[4:5], exec, -1
; %bb.3187:
	s_or_b64 exec, exec, s[8:9]
	s_and_b64 s[4:5], s[4:5], exec
                                        ; implicit-def: $vgpr11
	s_or_saveexec_b64 s[6:7], s[6:7]
	v_mov_b32_e32 v10, s10
	s_xor_b64 exec, exec, s[6:7]
	s_cbranch_execz .LBB37_1138
.LBB37_3188:
	v_cmp_ne_u16_e32 vcc, 0, v11
	s_andn2_b64 s[4:5], s[4:5], exec
	s_and_b64 s[8:9], vcc, exec
	v_mov_b32_e32 v10, 0
	s_or_b64 s[4:5], s[4:5], s[8:9]
	s_or_b64 exec, exec, s[6:7]
	s_and_saveexec_b64 s[6:7], s[4:5]
	s_cbranch_execnz .LBB37_1139
	s_branch .LBB37_1140
.LBB37_3189:
	s_movk_i32 s4, 0x80
	v_cmp_eq_u16_e32 vcc, s4, v11
	s_mov_b64 s[4:5], -1
                                        ; implicit-def: $sgpr10
	s_and_saveexec_b64 s[8:9], vcc
; %bb.3190:
	s_mov_b32 s10, 0x7f800001
	s_xor_b64 s[4:5], exec, -1
; %bb.3191:
	s_or_b64 exec, exec, s[8:9]
	s_and_b64 s[4:5], s[4:5], exec
                                        ; implicit-def: $vgpr11
	s_or_saveexec_b64 s[6:7], s[6:7]
	v_mov_b32_e32 v12, s10
	s_xor_b64 exec, exec, s[6:7]
	s_cbranch_execz .LBB37_1142
.LBB37_3192:
	v_cmp_ne_u16_e32 vcc, 0, v11
	s_andn2_b64 s[4:5], s[4:5], exec
	s_and_b64 s[8:9], vcc, exec
	v_mov_b32_e32 v12, 0
	s_or_b64 s[4:5], s[4:5], s[8:9]
	s_or_b64 exec, exec, s[6:7]
	s_and_saveexec_b64 s[6:7], s[4:5]
	s_cbranch_execnz .LBB37_1143
	s_branch .LBB37_1144
.LBB37_3193:
	s_movk_i32 s4, 0x80
	v_cmp_eq_u16_sdwa s[12:13], v17, s4 src0_sel:BYTE_3 src1_sel:DWORD
	s_mov_b64 s[4:5], -1
                                        ; implicit-def: $sgpr10
	s_and_saveexec_b64 s[8:9], s[12:13]
; %bb.3194:
	s_mov_b32 s10, 0x7f800001
	s_xor_b64 s[4:5], exec, -1
; %bb.3195:
	s_or_b64 exec, exec, s[8:9]
	s_and_b64 s[4:5], s[4:5], exec
	s_or_saveexec_b64 s[6:7], s[6:7]
	v_mov_b32_e32 v10, s10
	s_xor_b64 exec, exec, s[6:7]
	s_cbranch_execz .LBB37_1146
.LBB37_3196:
	v_mov_b32_e32 v10, 0
	v_cmp_ne_u16_sdwa s[8:9], v17, v10 src0_sel:BYTE_3 src1_sel:DWORD
	s_andn2_b64 s[4:5], s[4:5], exec
	s_and_b64 s[8:9], s[8:9], exec
	s_or_b64 s[4:5], s[4:5], s[8:9]
	s_or_b64 exec, exec, s[6:7]
	s_and_saveexec_b64 s[6:7], s[4:5]
	s_cbranch_execnz .LBB37_1147
	s_branch .LBB37_1148
.LBB37_3197:
	s_movk_i32 s4, 0x80
	v_cmp_eq_u16_sdwa s[12:13], v13, s4 src0_sel:BYTE_3 src1_sel:DWORD
	s_mov_b64 s[4:5], -1
                                        ; implicit-def: $sgpr10
	s_and_saveexec_b64 s[8:9], s[12:13]
; %bb.3198:
	s_mov_b32 s10, 0x7f800001
	s_xor_b64 s[4:5], exec, -1
; %bb.3199:
	s_or_b64 exec, exec, s[8:9]
	s_and_b64 s[4:5], s[4:5], exec
	s_or_saveexec_b64 s[6:7], s[6:7]
	v_mov_b32_e32 v11, s10
	s_xor_b64 exec, exec, s[6:7]
	s_cbranch_execz .LBB37_1150
.LBB37_3200:
	v_mov_b32_e32 v11, 0
	v_cmp_ne_u16_sdwa s[8:9], v13, v11 src0_sel:BYTE_3 src1_sel:DWORD
	s_andn2_b64 s[4:5], s[4:5], exec
	s_and_b64 s[8:9], s[8:9], exec
	s_or_b64 s[4:5], s[4:5], s[8:9]
	s_or_b64 exec, exec, s[6:7]
	s_and_saveexec_b64 s[6:7], s[4:5]
	s_cbranch_execnz .LBB37_1151
	s_branch .LBB37_1152
.LBB37_3201:
	s_movk_i32 s4, 0x80
	v_cmp_eq_u16_sdwa s[12:13], v6, s4 src0_sel:BYTE_0 src1_sel:DWORD
	s_mov_b64 s[4:5], -1
                                        ; implicit-def: $sgpr10
	s_and_saveexec_b64 s[8:9], s[12:13]
; %bb.3202:
	s_mov_b32 s10, 0x7f800001
	s_xor_b64 s[4:5], exec, -1
; %bb.3203:
	s_or_b64 exec, exec, s[8:9]
	s_and_b64 s[4:5], s[4:5], exec
	s_or_saveexec_b64 s[6:7], s[6:7]
	v_mov_b32_e32 v10, s10
	s_xor_b64 exec, exec, s[6:7]
	s_cbranch_execz .LBB37_1154
.LBB37_3204:
	v_mov_b32_e32 v10, 0
	v_cmp_ne_u16_sdwa s[8:9], v6, v10 src0_sel:BYTE_0 src1_sel:DWORD
	s_andn2_b64 s[4:5], s[4:5], exec
	s_and_b64 s[8:9], s[8:9], exec
	s_or_b64 s[4:5], s[4:5], s[8:9]
	s_or_b64 exec, exec, s[6:7]
	s_and_saveexec_b64 s[6:7], s[4:5]
	s_cbranch_execnz .LBB37_1155
	s_branch .LBB37_1156
.LBB37_3205:
	s_movk_i32 s4, 0x80
	v_cmp_eq_u16_sdwa s[12:13], v2, s4 src0_sel:BYTE_0 src1_sel:DWORD
	s_mov_b64 s[4:5], -1
                                        ; implicit-def: $sgpr10
	s_and_saveexec_b64 s[8:9], s[12:13]
; %bb.3206:
	s_mov_b32 s10, 0x7f800001
	s_xor_b64 s[4:5], exec, -1
; %bb.3207:
	s_or_b64 exec, exec, s[8:9]
	s_and_b64 s[4:5], s[4:5], exec
	s_or_saveexec_b64 s[6:7], s[6:7]
	v_mov_b32_e32 v11, s10
	s_xor_b64 exec, exec, s[6:7]
	s_cbranch_execz .LBB37_1158
.LBB37_3208:
	v_mov_b32_e32 v11, 0
	v_cmp_ne_u16_sdwa s[8:9], v2, v11 src0_sel:BYTE_0 src1_sel:DWORD
	s_andn2_b64 s[4:5], s[4:5], exec
	s_and_b64 s[8:9], s[8:9], exec
	s_or_b64 s[4:5], s[4:5], s[8:9]
	s_or_b64 exec, exec, s[6:7]
	s_and_saveexec_b64 s[6:7], s[4:5]
	s_cbranch_execnz .LBB37_1159
	s_branch .LBB37_1160
.LBB37_3209:
	s_movk_i32 s4, 0x80
	v_cmp_eq_u16_sdwa s[12:13], v11, s4 src0_sel:BYTE_0 src1_sel:DWORD
	s_mov_b64 s[4:5], -1
                                        ; implicit-def: $sgpr10
	s_and_saveexec_b64 s[8:9], s[12:13]
; %bb.3210:
	s_mov_b32 s10, 0x7f800001
	s_xor_b64 s[4:5], exec, -1
; %bb.3211:
	s_or_b64 exec, exec, s[8:9]
	s_and_b64 s[4:5], s[4:5], exec
	s_or_saveexec_b64 s[6:7], s[6:7]
	v_mov_b32_e32 v10, s10
	s_xor_b64 exec, exec, s[6:7]
	s_cbranch_execz .LBB37_1162
.LBB37_3212:
	v_mov_b32_e32 v10, 0
	v_cmp_ne_u16_sdwa s[8:9], v11, v10 src0_sel:BYTE_0 src1_sel:DWORD
	s_andn2_b64 s[4:5], s[4:5], exec
	s_and_b64 s[8:9], s[8:9], exec
	s_or_b64 s[4:5], s[4:5], s[8:9]
	s_or_b64 exec, exec, s[6:7]
	s_and_saveexec_b64 s[6:7], s[4:5]
	s_cbranch_execnz .LBB37_1163
	s_branch .LBB37_1164
.LBB37_3213:
	s_movk_i32 s4, 0x80
	v_cmp_eq_u16_sdwa s[12:13], v11, s4 src0_sel:BYTE_0 src1_sel:DWORD
	s_mov_b64 s[4:5], -1
                                        ; implicit-def: $sgpr10
	s_and_saveexec_b64 s[8:9], s[12:13]
; %bb.3214:
	s_mov_b32 s10, 0x7f800001
	s_xor_b64 s[4:5], exec, -1
; %bb.3215:
	s_or_b64 exec, exec, s[8:9]
	s_and_b64 s[4:5], s[4:5], exec
	s_or_saveexec_b64 s[6:7], s[6:7]
	v_mov_b32_e32 v12, s10
	s_xor_b64 exec, exec, s[6:7]
	s_cbranch_execz .LBB37_1166
.LBB37_3216:
	v_mov_b32_e32 v12, 0
	v_cmp_ne_u16_sdwa s[8:9], v11, v12 src0_sel:BYTE_0 src1_sel:DWORD
	s_andn2_b64 s[4:5], s[4:5], exec
	s_and_b64 s[8:9], s[8:9], exec
	s_or_b64 s[4:5], s[4:5], s[8:9]
	s_or_b64 exec, exec, s[6:7]
	s_and_saveexec_b64 s[6:7], s[4:5]
	s_cbranch_execnz .LBB37_1167
	s_branch .LBB37_1168
.LBB37_3217:
	s_movk_i32 s4, 0x80
	v_cmp_eq_u16_e32 vcc, s4, v11
	s_mov_b64 s[4:5], -1
                                        ; implicit-def: $sgpr10
	s_and_saveexec_b64 s[8:9], vcc
; %bb.3218:
	s_mov_b32 s10, 0x7f800001
	s_xor_b64 s[4:5], exec, -1
; %bb.3219:
	s_or_b64 exec, exec, s[8:9]
	s_and_b64 s[4:5], s[4:5], exec
                                        ; implicit-def: $vgpr11
	s_or_saveexec_b64 s[6:7], s[6:7]
	v_mov_b32_e32 v10, s10
	s_xor_b64 exec, exec, s[6:7]
	s_cbranch_execz .LBB37_1170
.LBB37_3220:
	v_cmp_ne_u16_e32 vcc, 0, v11
	s_andn2_b64 s[4:5], s[4:5], exec
	s_and_b64 s[8:9], vcc, exec
	v_mov_b32_e32 v10, 0
	s_or_b64 s[4:5], s[4:5], s[8:9]
	s_or_b64 exec, exec, s[6:7]
	s_and_saveexec_b64 s[6:7], s[4:5]
	s_cbranch_execnz .LBB37_1171
	s_branch .LBB37_1172
.LBB37_3221:
	s_movk_i32 s4, 0x80
	v_cmp_eq_u16_e32 vcc, s4, v11
	s_mov_b64 s[4:5], -1
                                        ; implicit-def: $sgpr10
	s_and_saveexec_b64 s[8:9], vcc
; %bb.3222:
	s_mov_b32 s10, 0x7f800001
	s_xor_b64 s[4:5], exec, -1
; %bb.3223:
	s_or_b64 exec, exec, s[8:9]
	s_and_b64 s[4:5], s[4:5], exec
                                        ; implicit-def: $vgpr11
	s_or_saveexec_b64 s[6:7], s[6:7]
	v_mov_b32_e32 v12, s10
	s_xor_b64 exec, exec, s[6:7]
	s_cbranch_execz .LBB37_1174
.LBB37_3224:
	v_cmp_ne_u16_e32 vcc, 0, v11
	s_andn2_b64 s[4:5], s[4:5], exec
	s_and_b64 s[8:9], vcc, exec
	v_mov_b32_e32 v12, 0
	s_or_b64 s[4:5], s[4:5], s[8:9]
	s_or_b64 exec, exec, s[6:7]
	s_and_saveexec_b64 s[6:7], s[4:5]
	s_cbranch_execnz .LBB37_1175
	s_branch .LBB37_1176
.LBB37_3225:
	s_movk_i32 s4, 0x80
	v_cmp_eq_u16_sdwa s[12:13], v6, s4 src0_sel:BYTE_3 src1_sel:DWORD
	s_mov_b64 s[4:5], -1
                                        ; implicit-def: $sgpr10
	s_and_saveexec_b64 s[8:9], s[12:13]
; %bb.3226:
	s_mov_b32 s10, 0x7f800001
	s_xor_b64 s[4:5], exec, -1
; %bb.3227:
	s_or_b64 exec, exec, s[8:9]
	s_and_b64 s[4:5], s[4:5], exec
	s_or_saveexec_b64 s[6:7], s[6:7]
	v_mov_b32_e32 v10, s10
	s_xor_b64 exec, exec, s[6:7]
	s_cbranch_execz .LBB37_1178
.LBB37_3228:
	v_mov_b32_e32 v10, 0
	v_cmp_ne_u16_sdwa s[8:9], v6, v10 src0_sel:BYTE_3 src1_sel:DWORD
	s_andn2_b64 s[4:5], s[4:5], exec
	s_and_b64 s[8:9], s[8:9], exec
	s_or_b64 s[4:5], s[4:5], s[8:9]
	s_or_b64 exec, exec, s[6:7]
	s_and_saveexec_b64 s[6:7], s[4:5]
	s_cbranch_execnz .LBB37_1179
	s_branch .LBB37_1180
.LBB37_3229:
	s_movk_i32 s4, 0x80
	v_cmp_eq_u16_sdwa s[12:13], v2, s4 src0_sel:BYTE_3 src1_sel:DWORD
	s_mov_b64 s[4:5], -1
                                        ; implicit-def: $sgpr10
	s_and_saveexec_b64 s[8:9], s[12:13]
; %bb.3230:
	s_mov_b32 s10, 0x7f800001
	s_xor_b64 s[4:5], exec, -1
; %bb.3231:
	s_or_b64 exec, exec, s[8:9]
	s_and_b64 s[4:5], s[4:5], exec
	s_or_saveexec_b64 s[6:7], s[6:7]
	v_mov_b32_e32 v6, s10
	s_xor_b64 exec, exec, s[6:7]
	s_cbranch_execz .LBB37_1182
.LBB37_3232:
	v_mov_b32_e32 v6, 0
	v_cmp_ne_u16_sdwa s[8:9], v2, v6 src0_sel:BYTE_3 src1_sel:DWORD
	s_andn2_b64 s[4:5], s[4:5], exec
	s_and_b64 s[8:9], s[8:9], exec
	s_or_b64 s[4:5], s[4:5], s[8:9]
	s_or_b64 exec, exec, s[6:7]
	s_and_saveexec_b64 s[6:7], s[4:5]
	s_cbranch_execnz .LBB37_1183
	s_branch .LBB37_1184
.LBB37_3233:
	s_movk_i32 s4, 0x80
	v_cmp_eq_u16_sdwa s[12:13], v7, s4 src0_sel:BYTE_0 src1_sel:DWORD
	s_mov_b64 s[4:5], -1
                                        ; implicit-def: $sgpr10
	s_and_saveexec_b64 s[8:9], s[12:13]
; %bb.3234:
	s_mov_b32 s10, 0x7f800001
	s_xor_b64 s[4:5], exec, -1
; %bb.3235:
	s_or_b64 exec, exec, s[8:9]
	s_and_b64 s[4:5], s[4:5], exec
	s_or_saveexec_b64 s[6:7], s[6:7]
	v_mov_b32_e32 v2, s10
	s_xor_b64 exec, exec, s[6:7]
	s_cbranch_execz .LBB37_1186
.LBB37_3236:
	v_mov_b32_e32 v2, 0
	v_cmp_ne_u16_sdwa s[8:9], v7, v2 src0_sel:BYTE_0 src1_sel:DWORD
	s_andn2_b64 s[4:5], s[4:5], exec
	s_and_b64 s[8:9], s[8:9], exec
	s_or_b64 s[4:5], s[4:5], s[8:9]
	s_or_b64 exec, exec, s[6:7]
	s_and_saveexec_b64 s[6:7], s[4:5]
	s_cbranch_execnz .LBB37_1187
	s_branch .LBB37_1188
.LBB37_3237:
	s_movk_i32 s4, 0x80
	v_cmp_eq_u16_sdwa s[12:13], v3, s4 src0_sel:BYTE_0 src1_sel:DWORD
	s_mov_b64 s[4:5], -1
                                        ; implicit-def: $sgpr10
	s_and_saveexec_b64 s[8:9], s[12:13]
; %bb.3238:
	s_mov_b32 s10, 0x7f800001
	s_xor_b64 s[4:5], exec, -1
; %bb.3239:
	s_or_b64 exec, exec, s[8:9]
	s_and_b64 s[4:5], s[4:5], exec
	s_or_saveexec_b64 s[6:7], s[6:7]
	v_mov_b32_e32 v6, s10
	s_xor_b64 exec, exec, s[6:7]
	s_cbranch_execz .LBB37_1190
.LBB37_3240:
	v_mov_b32_e32 v6, 0
	v_cmp_ne_u16_sdwa s[8:9], v3, v6 src0_sel:BYTE_0 src1_sel:DWORD
	s_andn2_b64 s[4:5], s[4:5], exec
	s_and_b64 s[8:9], s[8:9], exec
	s_or_b64 s[4:5], s[4:5], s[8:9]
	s_or_b64 exec, exec, s[6:7]
	s_and_saveexec_b64 s[6:7], s[4:5]
	s_cbranch_execnz .LBB37_1191
	s_branch .LBB37_1192
.LBB37_3241:
	s_movk_i32 s4, 0x80
	v_cmp_eq_u16_sdwa s[12:13], v6, s4 src0_sel:BYTE_0 src1_sel:DWORD
	s_mov_b64 s[4:5], -1
                                        ; implicit-def: $sgpr10
	s_and_saveexec_b64 s[8:9], s[12:13]
; %bb.3242:
	s_mov_b32 s10, 0x7f800001
	s_xor_b64 s[4:5], exec, -1
; %bb.3243:
	s_or_b64 exec, exec, s[8:9]
	s_and_b64 s[4:5], s[4:5], exec
	s_or_saveexec_b64 s[6:7], s[6:7]
	v_mov_b32_e32 v2, s10
	s_xor_b64 exec, exec, s[6:7]
	s_cbranch_execz .LBB37_1194
.LBB37_3244:
	v_mov_b32_e32 v2, 0
	v_cmp_ne_u16_sdwa s[8:9], v6, v2 src0_sel:BYTE_0 src1_sel:DWORD
	s_andn2_b64 s[4:5], s[4:5], exec
	s_and_b64 s[8:9], s[8:9], exec
	s_or_b64 s[4:5], s[4:5], s[8:9]
	s_or_b64 exec, exec, s[6:7]
	s_and_saveexec_b64 s[6:7], s[4:5]
	s_cbranch_execnz .LBB37_1195
	s_branch .LBB37_1196
.LBB37_3245:
	s_movk_i32 s4, 0x80
	v_cmp_eq_u16_sdwa s[12:13], v6, s4 src0_sel:BYTE_0 src1_sel:DWORD
	s_mov_b64 s[4:5], -1
                                        ; implicit-def: $sgpr10
	s_and_saveexec_b64 s[8:9], s[12:13]
; %bb.3246:
	s_mov_b32 s10, 0x7f800001
	s_xor_b64 s[4:5], exec, -1
; %bb.3247:
	s_or_b64 exec, exec, s[8:9]
	s_and_b64 s[4:5], s[4:5], exec
	s_or_saveexec_b64 s[6:7], s[6:7]
	v_mov_b32_e32 v10, s10
	s_xor_b64 exec, exec, s[6:7]
	s_cbranch_execz .LBB37_1198
.LBB37_3248:
	v_mov_b32_e32 v10, 0
	v_cmp_ne_u16_sdwa s[8:9], v6, v10 src0_sel:BYTE_0 src1_sel:DWORD
	s_andn2_b64 s[4:5], s[4:5], exec
	s_and_b64 s[8:9], s[8:9], exec
	s_or_b64 s[4:5], s[4:5], s[8:9]
	s_or_b64 exec, exec, s[6:7]
	s_and_saveexec_b64 s[6:7], s[4:5]
	s_cbranch_execnz .LBB37_1199
	s_branch .LBB37_1200
.LBB37_3249:
	s_movk_i32 s4, 0x80
	v_cmp_eq_u16_e32 vcc, s4, v6
	s_mov_b64 s[4:5], -1
                                        ; implicit-def: $sgpr10
	s_and_saveexec_b64 s[8:9], vcc
; %bb.3250:
	s_mov_b32 s10, 0x7f800001
	s_xor_b64 s[4:5], exec, -1
; %bb.3251:
	s_or_b64 exec, exec, s[8:9]
	s_and_b64 s[4:5], s[4:5], exec
                                        ; implicit-def: $vgpr6
	s_or_saveexec_b64 s[6:7], s[6:7]
	v_mov_b32_e32 v2, s10
	s_xor_b64 exec, exec, s[6:7]
	s_cbranch_execz .LBB37_1202
.LBB37_3252:
	v_cmp_ne_u16_e32 vcc, 0, v6
	s_andn2_b64 s[4:5], s[4:5], exec
	s_and_b64 s[8:9], vcc, exec
	v_mov_b32_e32 v2, 0
	s_or_b64 s[4:5], s[4:5], s[8:9]
	s_or_b64 exec, exec, s[6:7]
	s_and_saveexec_b64 s[6:7], s[4:5]
	s_cbranch_execnz .LBB37_1203
	s_branch .LBB37_1204
.LBB37_3253:
	s_movk_i32 s4, 0x80
	v_cmp_eq_u16_e32 vcc, s4, v6
	s_mov_b64 s[4:5], -1
                                        ; implicit-def: $sgpr10
	s_and_saveexec_b64 s[8:9], vcc
; %bb.3254:
	s_mov_b32 s10, 0x7f800001
	s_xor_b64 s[4:5], exec, -1
; %bb.3255:
	s_or_b64 exec, exec, s[8:9]
	s_and_b64 s[4:5], s[4:5], exec
                                        ; implicit-def: $vgpr6
	s_or_saveexec_b64 s[6:7], s[6:7]
	v_mov_b32_e32 v10, s10
	s_xor_b64 exec, exec, s[6:7]
	s_cbranch_execz .LBB37_1206
.LBB37_3256:
	v_cmp_ne_u16_e32 vcc, 0, v6
	s_andn2_b64 s[4:5], s[4:5], exec
	s_and_b64 s[8:9], vcc, exec
	v_mov_b32_e32 v10, 0
	s_or_b64 s[4:5], s[4:5], s[8:9]
	s_or_b64 exec, exec, s[6:7]
	s_and_saveexec_b64 s[6:7], s[4:5]
	s_cbranch_execnz .LBB37_1207
	s_branch .LBB37_1208
.LBB37_3257:
	s_movk_i32 s4, 0x80
	v_cmp_eq_u16_sdwa s[12:13], v7, s4 src0_sel:BYTE_3 src1_sel:DWORD
	s_mov_b64 s[4:5], -1
                                        ; implicit-def: $sgpr10
	s_and_saveexec_b64 s[8:9], s[12:13]
; %bb.3258:
	s_mov_b32 s10, 0x7f800001
	s_xor_b64 s[4:5], exec, -1
; %bb.3259:
	s_or_b64 exec, exec, s[8:9]
	s_and_b64 s[4:5], s[4:5], exec
	s_or_saveexec_b64 s[6:7], s[6:7]
	v_mov_b32_e32 v2, s10
	s_xor_b64 exec, exec, s[6:7]
	s_cbranch_execz .LBB37_1210
.LBB37_3260:
	v_mov_b32_e32 v2, 0
	v_cmp_ne_u16_sdwa s[8:9], v7, v2 src0_sel:BYTE_3 src1_sel:DWORD
	s_andn2_b64 s[4:5], s[4:5], exec
	s_and_b64 s[8:9], s[8:9], exec
	s_or_b64 s[4:5], s[4:5], s[8:9]
	s_or_b64 exec, exec, s[6:7]
	s_and_saveexec_b64 s[6:7], s[4:5]
	s_cbranch_execnz .LBB37_1211
	s_branch .LBB37_1212
.LBB37_3261:
	s_movk_i32 s4, 0x80
	v_cmp_eq_u16_sdwa s[12:13], v3, s4 src0_sel:BYTE_3 src1_sel:DWORD
	s_mov_b64 s[4:5], -1
                                        ; implicit-def: $sgpr10
	s_and_saveexec_b64 s[8:9], s[12:13]
; %bb.3262:
	s_mov_b32 s10, 0x7f800001
	s_xor_b64 s[4:5], exec, -1
; %bb.3263:
	s_or_b64 exec, exec, s[8:9]
	s_and_b64 s[4:5], s[4:5], exec
	s_or_saveexec_b64 s[6:7], s[6:7]
	v_mov_b32_e32 v6, s10
	s_xor_b64 exec, exec, s[6:7]
	s_cbranch_execz .LBB37_1214
.LBB37_3264:
	v_mov_b32_e32 v6, 0
	v_cmp_ne_u16_sdwa s[8:9], v3, v6 src0_sel:BYTE_3 src1_sel:DWORD
	s_andn2_b64 s[4:5], s[4:5], exec
	s_and_b64 s[8:9], s[8:9], exec
	s_or_b64 s[4:5], s[4:5], s[8:9]
	s_or_b64 exec, exec, s[6:7]
	s_and_saveexec_b64 s[6:7], s[4:5]
	s_cbranch_execnz .LBB37_1215
	s_branch .LBB37_1216
.LBB37_3265:
	s_movk_i32 s4, 0x80
	v_cmp_eq_u16_sdwa s[12:13], v8, s4 src0_sel:BYTE_0 src1_sel:DWORD
	s_mov_b64 s[4:5], -1
                                        ; implicit-def: $sgpr10
	s_and_saveexec_b64 s[8:9], s[12:13]
; %bb.3266:
	s_mov_b32 s10, 0x7f800001
	s_xor_b64 s[4:5], exec, -1
; %bb.3267:
	s_or_b64 exec, exec, s[8:9]
	s_and_b64 s[4:5], s[4:5], exec
	s_or_saveexec_b64 s[6:7], s[6:7]
	v_mov_b32_e32 v2, s10
	s_xor_b64 exec, exec, s[6:7]
	s_cbranch_execz .LBB37_1218
.LBB37_3268:
	v_mov_b32_e32 v2, 0
	v_cmp_ne_u16_sdwa s[8:9], v8, v2 src0_sel:BYTE_0 src1_sel:DWORD
	s_andn2_b64 s[4:5], s[4:5], exec
	s_and_b64 s[8:9], s[8:9], exec
	s_or_b64 s[4:5], s[4:5], s[8:9]
	s_or_b64 exec, exec, s[6:7]
	s_and_saveexec_b64 s[6:7], s[4:5]
	s_cbranch_execnz .LBB37_1219
	s_branch .LBB37_1220
.LBB37_3269:
	s_movk_i32 s4, 0x80
	v_cmp_eq_u16_sdwa s[12:13], v4, s4 src0_sel:BYTE_0 src1_sel:DWORD
	s_mov_b64 s[4:5], -1
                                        ; implicit-def: $sgpr10
	s_and_saveexec_b64 s[8:9], s[12:13]
; %bb.3270:
	s_mov_b32 s10, 0x7f800001
	s_xor_b64 s[4:5], exec, -1
; %bb.3271:
	s_or_b64 exec, exec, s[8:9]
	s_and_b64 s[4:5], s[4:5], exec
	s_or_saveexec_b64 s[6:7], s[6:7]
	v_mov_b32_e32 v3, s10
	s_xor_b64 exec, exec, s[6:7]
	s_cbranch_execz .LBB37_1222
.LBB37_3272:
	v_mov_b32_e32 v3, 0
	v_cmp_ne_u16_sdwa s[8:9], v4, v3 src0_sel:BYTE_0 src1_sel:DWORD
	s_andn2_b64 s[4:5], s[4:5], exec
	s_and_b64 s[8:9], s[8:9], exec
	s_or_b64 s[4:5], s[4:5], s[8:9]
	s_or_b64 exec, exec, s[6:7]
	s_and_saveexec_b64 s[6:7], s[4:5]
	s_cbranch_execnz .LBB37_1223
	s_branch .LBB37_1224
.LBB37_3273:
	s_movk_i32 s4, 0x80
	v_cmp_eq_u16_sdwa s[12:13], v3, s4 src0_sel:BYTE_0 src1_sel:DWORD
	s_mov_b64 s[4:5], -1
                                        ; implicit-def: $sgpr10
	s_and_saveexec_b64 s[8:9], s[12:13]
; %bb.3274:
	s_mov_b32 s10, 0x7f800001
	s_xor_b64 s[4:5], exec, -1
; %bb.3275:
	s_or_b64 exec, exec, s[8:9]
	s_and_b64 s[4:5], s[4:5], exec
	s_or_saveexec_b64 s[6:7], s[6:7]
	v_mov_b32_e32 v2, s10
	s_xor_b64 exec, exec, s[6:7]
	s_cbranch_execz .LBB37_1226
.LBB37_3276:
	v_mov_b32_e32 v2, 0
	v_cmp_ne_u16_sdwa s[8:9], v3, v2 src0_sel:BYTE_0 src1_sel:DWORD
	s_andn2_b64 s[4:5], s[4:5], exec
	s_and_b64 s[8:9], s[8:9], exec
	s_or_b64 s[4:5], s[4:5], s[8:9]
	s_or_b64 exec, exec, s[6:7]
	s_and_saveexec_b64 s[6:7], s[4:5]
	s_cbranch_execnz .LBB37_1227
	s_branch .LBB37_1228
.LBB37_3277:
	s_movk_i32 s4, 0x80
	v_cmp_eq_u16_sdwa s[12:13], v3, s4 src0_sel:BYTE_0 src1_sel:DWORD
	s_mov_b64 s[4:5], -1
                                        ; implicit-def: $sgpr10
	s_and_saveexec_b64 s[8:9], s[12:13]
; %bb.3278:
	s_mov_b32 s10, 0x7f800001
	s_xor_b64 s[4:5], exec, -1
; %bb.3279:
	s_or_b64 exec, exec, s[8:9]
	s_and_b64 s[4:5], s[4:5], exec
	s_or_saveexec_b64 s[6:7], s[6:7]
	v_mov_b32_e32 v6, s10
	s_xor_b64 exec, exec, s[6:7]
	s_cbranch_execz .LBB37_1230
.LBB37_3280:
	v_mov_b32_e32 v6, 0
	v_cmp_ne_u16_sdwa s[8:9], v3, v6 src0_sel:BYTE_0 src1_sel:DWORD
	s_andn2_b64 s[4:5], s[4:5], exec
	s_and_b64 s[8:9], s[8:9], exec
	s_or_b64 s[4:5], s[4:5], s[8:9]
	s_or_b64 exec, exec, s[6:7]
	s_and_saveexec_b64 s[6:7], s[4:5]
	s_cbranch_execnz .LBB37_1231
	s_branch .LBB37_1232
.LBB37_3281:
	s_movk_i32 s4, 0x80
	v_cmp_eq_u16_e32 vcc, s4, v3
	s_mov_b64 s[4:5], -1
                                        ; implicit-def: $sgpr10
	s_and_saveexec_b64 s[8:9], vcc
; %bb.3282:
	s_mov_b32 s10, 0x7f800001
	s_xor_b64 s[4:5], exec, -1
; %bb.3283:
	s_or_b64 exec, exec, s[8:9]
	s_and_b64 s[4:5], s[4:5], exec
                                        ; implicit-def: $vgpr3
	s_or_saveexec_b64 s[6:7], s[6:7]
	v_mov_b32_e32 v2, s10
	s_xor_b64 exec, exec, s[6:7]
	s_cbranch_execz .LBB37_1234
.LBB37_3284:
	v_cmp_ne_u16_e32 vcc, 0, v3
	s_andn2_b64 s[4:5], s[4:5], exec
	s_and_b64 s[8:9], vcc, exec
	v_mov_b32_e32 v2, 0
	s_or_b64 s[4:5], s[4:5], s[8:9]
	s_or_b64 exec, exec, s[6:7]
	s_and_saveexec_b64 s[6:7], s[4:5]
	s_cbranch_execnz .LBB37_1235
	s_branch .LBB37_1236
.LBB37_3285:
	s_movk_i32 s4, 0x80
	v_cmp_eq_u16_e32 vcc, s4, v3
	s_mov_b64 s[4:5], -1
                                        ; implicit-def: $sgpr10
	s_and_saveexec_b64 s[8:9], vcc
; %bb.3286:
	s_mov_b32 s10, 0x7f800001
	s_xor_b64 s[4:5], exec, -1
; %bb.3287:
	s_or_b64 exec, exec, s[8:9]
	s_and_b64 s[4:5], s[4:5], exec
                                        ; implicit-def: $vgpr3
	s_or_saveexec_b64 s[6:7], s[6:7]
	v_mov_b32_e32 v6, s10
	s_xor_b64 exec, exec, s[6:7]
	s_cbranch_execz .LBB37_1238
.LBB37_3288:
	v_cmp_ne_u16_e32 vcc, 0, v3
	s_andn2_b64 s[4:5], s[4:5], exec
	s_and_b64 s[8:9], vcc, exec
	v_mov_b32_e32 v6, 0
	s_or_b64 s[4:5], s[4:5], s[8:9]
	s_or_b64 exec, exec, s[6:7]
	s_and_saveexec_b64 s[6:7], s[4:5]
	s_cbranch_execnz .LBB37_1239
	s_branch .LBB37_1240
.LBB37_3289:
	s_movk_i32 s4, 0x80
	v_cmp_eq_u16_sdwa s[12:13], v8, s4 src0_sel:BYTE_3 src1_sel:DWORD
	s_mov_b64 s[4:5], -1
                                        ; implicit-def: $sgpr10
	s_and_saveexec_b64 s[8:9], s[12:13]
; %bb.3290:
	s_mov_b32 s10, 0x7f800001
	s_xor_b64 s[4:5], exec, -1
; %bb.3291:
	s_or_b64 exec, exec, s[8:9]
	s_and_b64 s[4:5], s[4:5], exec
	s_or_saveexec_b64 s[6:7], s[6:7]
	v_mov_b32_e32 v2, s10
	s_xor_b64 exec, exec, s[6:7]
	s_cbranch_execz .LBB37_1242
.LBB37_3292:
	v_mov_b32_e32 v2, 0
	v_cmp_ne_u16_sdwa s[8:9], v8, v2 src0_sel:BYTE_3 src1_sel:DWORD
	s_andn2_b64 s[4:5], s[4:5], exec
	s_and_b64 s[8:9], s[8:9], exec
	s_or_b64 s[4:5], s[4:5], s[8:9]
	s_or_b64 exec, exec, s[6:7]
	s_and_saveexec_b64 s[6:7], s[4:5]
	s_cbranch_execnz .LBB37_1243
	s_branch .LBB37_1244
.LBB37_3293:
	s_movk_i32 s4, 0x80
	v_cmp_eq_u16_sdwa s[12:13], v4, s4 src0_sel:BYTE_3 src1_sel:DWORD
	s_mov_b64 s[4:5], -1
                                        ; implicit-def: $sgpr10
	s_and_saveexec_b64 s[8:9], s[12:13]
; %bb.3294:
	s_mov_b32 s10, 0x7f800001
	s_xor_b64 s[4:5], exec, -1
; %bb.3295:
	s_or_b64 exec, exec, s[8:9]
	s_and_b64 s[4:5], s[4:5], exec
	s_or_saveexec_b64 s[6:7], s[6:7]
	v_mov_b32_e32 v3, s10
	s_xor_b64 exec, exec, s[6:7]
	s_cbranch_execz .LBB37_1246
.LBB37_3296:
	v_mov_b32_e32 v3, 0
	v_cmp_ne_u16_sdwa s[8:9], v4, v3 src0_sel:BYTE_3 src1_sel:DWORD
	s_andn2_b64 s[4:5], s[4:5], exec
	s_and_b64 s[8:9], s[8:9], exec
	s_or_b64 s[4:5], s[4:5], s[8:9]
	s_or_b64 exec, exec, s[6:7]
	s_and_saveexec_b64 s[6:7], s[4:5]
	s_cbranch_execnz .LBB37_1247
	s_branch .LBB37_1248
.LBB37_3297:
	s_movk_i32 s4, 0x80
	v_cmp_eq_u16_sdwa s[12:13], v9, s4 src0_sel:BYTE_0 src1_sel:DWORD
	s_mov_b64 s[4:5], -1
                                        ; implicit-def: $sgpr10
	s_and_saveexec_b64 s[8:9], s[12:13]
; %bb.3298:
	s_mov_b32 s10, 0x7f800001
	s_xor_b64 s[4:5], exec, -1
; %bb.3299:
	s_or_b64 exec, exec, s[8:9]
	s_and_b64 s[4:5], s[4:5], exec
	s_or_saveexec_b64 s[6:7], s[6:7]
	v_mov_b32_e32 v2, s10
	s_xor_b64 exec, exec, s[6:7]
	s_cbranch_execz .LBB37_1250
.LBB37_3300:
	v_mov_b32_e32 v2, 0
	v_cmp_ne_u16_sdwa s[8:9], v9, v2 src0_sel:BYTE_0 src1_sel:DWORD
	s_andn2_b64 s[4:5], s[4:5], exec
	s_and_b64 s[8:9], s[8:9], exec
	s_or_b64 s[4:5], s[4:5], s[8:9]
	s_or_b64 exec, exec, s[6:7]
	s_and_saveexec_b64 s[6:7], s[4:5]
	s_cbranch_execnz .LBB37_1251
	s_branch .LBB37_1252
.LBB37_3301:
	s_movk_i32 s4, 0x80
	v_cmp_eq_u16_sdwa s[12:13], v5, s4 src0_sel:BYTE_0 src1_sel:DWORD
	s_mov_b64 s[4:5], -1
                                        ; implicit-def: $sgpr10
	s_and_saveexec_b64 s[8:9], s[12:13]
; %bb.3302:
	s_mov_b32 s10, 0x7f800001
	s_xor_b64 s[4:5], exec, -1
; %bb.3303:
	s_or_b64 exec, exec, s[8:9]
	s_and_b64 s[4:5], s[4:5], exec
	s_or_saveexec_b64 s[6:7], s[6:7]
	v_mov_b32_e32 v3, s10
	s_xor_b64 exec, exec, s[6:7]
	s_cbranch_execz .LBB37_1254
.LBB37_3304:
	v_mov_b32_e32 v3, 0
	v_cmp_ne_u16_sdwa s[8:9], v5, v3 src0_sel:BYTE_0 src1_sel:DWORD
	s_andn2_b64 s[4:5], s[4:5], exec
	s_and_b64 s[8:9], s[8:9], exec
	s_or_b64 s[4:5], s[4:5], s[8:9]
	s_or_b64 exec, exec, s[6:7]
	s_and_saveexec_b64 s[6:7], s[4:5]
	s_cbranch_execnz .LBB37_1255
	s_branch .LBB37_1256
.LBB37_3305:
	s_movk_i32 s4, 0x80
	v_cmp_eq_u16_sdwa s[12:13], v3, s4 src0_sel:BYTE_0 src1_sel:DWORD
	s_mov_b64 s[4:5], -1
                                        ; implicit-def: $sgpr10
	s_and_saveexec_b64 s[8:9], s[12:13]
; %bb.3306:
	s_mov_b32 s10, 0x7f800001
	s_xor_b64 s[4:5], exec, -1
; %bb.3307:
	s_or_b64 exec, exec, s[8:9]
	s_and_b64 s[4:5], s[4:5], exec
	s_or_saveexec_b64 s[6:7], s[6:7]
	v_mov_b32_e32 v2, s10
	s_xor_b64 exec, exec, s[6:7]
	s_cbranch_execz .LBB37_1258
.LBB37_3308:
	v_mov_b32_e32 v2, 0
	v_cmp_ne_u16_sdwa s[8:9], v3, v2 src0_sel:BYTE_0 src1_sel:DWORD
	s_andn2_b64 s[4:5], s[4:5], exec
	s_and_b64 s[8:9], s[8:9], exec
	s_or_b64 s[4:5], s[4:5], s[8:9]
	s_or_b64 exec, exec, s[6:7]
	s_and_saveexec_b64 s[6:7], s[4:5]
	s_cbranch_execnz .LBB37_1259
	s_branch .LBB37_1260
.LBB37_3309:
	s_movk_i32 s4, 0x80
	v_cmp_eq_u16_sdwa s[12:13], v3, s4 src0_sel:BYTE_0 src1_sel:DWORD
	s_mov_b64 s[4:5], -1
                                        ; implicit-def: $sgpr10
	s_and_saveexec_b64 s[8:9], s[12:13]
; %bb.3310:
	s_mov_b32 s10, 0x7f800001
	s_xor_b64 s[4:5], exec, -1
; %bb.3311:
	s_or_b64 exec, exec, s[8:9]
	s_and_b64 s[4:5], s[4:5], exec
	s_or_saveexec_b64 s[6:7], s[6:7]
	v_mov_b32_e32 v4, s10
	s_xor_b64 exec, exec, s[6:7]
	s_cbranch_execz .LBB37_1262
.LBB37_3312:
	v_mov_b32_e32 v4, 0
	v_cmp_ne_u16_sdwa s[8:9], v3, v4 src0_sel:BYTE_0 src1_sel:DWORD
	s_andn2_b64 s[4:5], s[4:5], exec
	s_and_b64 s[8:9], s[8:9], exec
	s_or_b64 s[4:5], s[4:5], s[8:9]
	s_or_b64 exec, exec, s[6:7]
	s_and_saveexec_b64 s[6:7], s[4:5]
	s_cbranch_execnz .LBB37_1263
	s_branch .LBB37_1264
.LBB37_3313:
	s_movk_i32 s4, 0x80
	v_cmp_eq_u16_e32 vcc, s4, v3
	s_mov_b64 s[4:5], -1
                                        ; implicit-def: $sgpr10
	s_and_saveexec_b64 s[8:9], vcc
; %bb.3314:
	s_mov_b32 s10, 0x7f800001
	s_xor_b64 s[4:5], exec, -1
; %bb.3315:
	s_or_b64 exec, exec, s[8:9]
	s_and_b64 s[4:5], s[4:5], exec
                                        ; implicit-def: $vgpr3
	s_or_saveexec_b64 s[6:7], s[6:7]
	v_mov_b32_e32 v2, s10
	s_xor_b64 exec, exec, s[6:7]
	s_cbranch_execz .LBB37_1266
.LBB37_3316:
	v_cmp_ne_u16_e32 vcc, 0, v3
	s_andn2_b64 s[4:5], s[4:5], exec
	s_and_b64 s[8:9], vcc, exec
	v_mov_b32_e32 v2, 0
	s_or_b64 s[4:5], s[4:5], s[8:9]
	s_or_b64 exec, exec, s[6:7]
	s_and_saveexec_b64 s[6:7], s[4:5]
	s_cbranch_execnz .LBB37_1267
	s_branch .LBB37_1268
.LBB37_3317:
	s_movk_i32 s4, 0x80
	v_cmp_eq_u16_e32 vcc, s4, v3
	s_mov_b64 s[4:5], -1
                                        ; implicit-def: $sgpr10
	s_and_saveexec_b64 s[8:9], vcc
; %bb.3318:
	s_mov_b32 s10, 0x7f800001
	s_xor_b64 s[4:5], exec, -1
; %bb.3319:
	s_or_b64 exec, exec, s[8:9]
	s_and_b64 s[4:5], s[4:5], exec
                                        ; implicit-def: $vgpr3
	s_or_saveexec_b64 s[6:7], s[6:7]
	v_mov_b32_e32 v4, s10
	s_xor_b64 exec, exec, s[6:7]
	s_cbranch_execz .LBB37_1270
.LBB37_3320:
	v_cmp_ne_u16_e32 vcc, 0, v3
	s_andn2_b64 s[4:5], s[4:5], exec
	s_and_b64 s[8:9], vcc, exec
	v_mov_b32_e32 v4, 0
	s_or_b64 s[4:5], s[4:5], s[8:9]
	s_or_b64 exec, exec, s[6:7]
	s_and_saveexec_b64 s[6:7], s[4:5]
	s_cbranch_execnz .LBB37_1271
	s_branch .LBB37_1272
.LBB37_3321:
	s_movk_i32 s4, 0x80
	v_cmp_eq_u16_sdwa s[12:13], v9, s4 src0_sel:BYTE_3 src1_sel:DWORD
	s_mov_b64 s[4:5], -1
                                        ; implicit-def: $sgpr10
	s_and_saveexec_b64 s[8:9], s[12:13]
; %bb.3322:
	s_mov_b32 s10, 0x7f800001
	s_xor_b64 s[4:5], exec, -1
; %bb.3323:
	s_or_b64 exec, exec, s[8:9]
	s_and_b64 s[4:5], s[4:5], exec
	s_or_saveexec_b64 s[6:7], s[6:7]
	v_mov_b32_e32 v2, s10
	s_xor_b64 exec, exec, s[6:7]
	s_cbranch_execz .LBB37_1274
.LBB37_3324:
	v_mov_b32_e32 v2, 0
	v_cmp_ne_u16_sdwa s[8:9], v9, v2 src0_sel:BYTE_3 src1_sel:DWORD
	s_andn2_b64 s[4:5], s[4:5], exec
	s_and_b64 s[8:9], s[8:9], exec
	s_or_b64 s[4:5], s[4:5], s[8:9]
	s_or_b64 exec, exec, s[6:7]
	s_and_saveexec_b64 s[6:7], s[4:5]
	s_cbranch_execnz .LBB37_1275
	s_branch .LBB37_1276
.LBB37_3325:
	s_movk_i32 s4, 0x80
	v_cmp_eq_u16_sdwa s[12:13], v5, s4 src0_sel:BYTE_3 src1_sel:DWORD
	s_mov_b64 s[4:5], -1
                                        ; implicit-def: $sgpr10
	s_and_saveexec_b64 s[8:9], s[12:13]
; %bb.3326:
	s_mov_b32 s10, 0x7f800001
	s_xor_b64 s[4:5], exec, -1
; %bb.3327:
	s_or_b64 exec, exec, s[8:9]
	s_and_b64 s[4:5], s[4:5], exec
	s_or_saveexec_b64 s[6:7], s[6:7]
	v_mov_b32_e32 v3, s10
	s_xor_b64 exec, exec, s[6:7]
	s_cbranch_execz .LBB37_1278
.LBB37_3328:
	v_mov_b32_e32 v3, 0
	v_cmp_ne_u16_sdwa s[8:9], v5, v3 src0_sel:BYTE_3 src1_sel:DWORD
	s_andn2_b64 s[4:5], s[4:5], exec
	s_and_b64 s[8:9], s[8:9], exec
	s_or_b64 s[4:5], s[4:5], s[8:9]
	s_or_b64 exec, exec, s[6:7]
	s_and_saveexec_b64 s[6:7], s[4:5]
	s_cbranch_execnz .LBB37_1279
	s_branch .LBB37_1280
.LBB37_3329:
	s_movk_i32 s4, 0x80
	v_cmp_eq_u16_sdwa s[12:13], v14, s4 src0_sel:BYTE_0 src1_sel:DWORD
	s_mov_b64 s[4:5], -1
                                        ; implicit-def: $sgpr10
	s_and_saveexec_b64 s[8:9], s[12:13]
; %bb.3330:
	s_mov_b32 s10, 0x7f800001
	s_xor_b64 s[4:5], exec, -1
; %bb.3331:
	s_or_b64 exec, exec, s[8:9]
	s_and_b64 s[4:5], s[4:5], exec
	s_or_saveexec_b64 s[6:7], s[6:7]
	v_mov_b32_e32 v20, s10
	s_xor_b64 exec, exec, s[6:7]
	s_cbranch_execz .LBB37_1282
.LBB37_3332:
	v_mov_b32_e32 v20, 0
	v_cmp_ne_u16_sdwa s[8:9], v14, v20 src0_sel:BYTE_0 src1_sel:DWORD
	s_andn2_b64 s[4:5], s[4:5], exec
	s_and_b64 s[8:9], s[8:9], exec
	s_or_b64 s[4:5], s[4:5], s[8:9]
	s_or_b64 exec, exec, s[6:7]
	s_and_saveexec_b64 s[6:7], s[4:5]
	s_cbranch_execnz .LBB37_1283
	s_branch .LBB37_1284
.LBB37_3333:
	s_movk_i32 s4, 0x80
	v_cmp_eq_u16_sdwa s[12:13], v10, s4 src0_sel:BYTE_0 src1_sel:DWORD
	s_mov_b64 s[4:5], -1
                                        ; implicit-def: $sgpr10
	s_and_saveexec_b64 s[8:9], s[12:13]
; %bb.3334:
	s_mov_b32 s10, 0x7f800001
	s_xor_b64 s[4:5], exec, -1
; %bb.3335:
	s_or_b64 exec, exec, s[8:9]
	s_and_b64 s[4:5], s[4:5], exec
	s_or_saveexec_b64 s[6:7], s[6:7]
	v_mov_b32_e32 v21, s10
	s_xor_b64 exec, exec, s[6:7]
	s_cbranch_execz .LBB37_1286
.LBB37_3336:
	v_mov_b32_e32 v21, 0
	v_cmp_ne_u16_sdwa s[8:9], v10, v21 src0_sel:BYTE_0 src1_sel:DWORD
	s_andn2_b64 s[4:5], s[4:5], exec
	s_and_b64 s[8:9], s[8:9], exec
	s_or_b64 s[4:5], s[4:5], s[8:9]
	s_or_b64 exec, exec, s[6:7]
	s_and_saveexec_b64 s[6:7], s[4:5]
	s_cbranch_execnz .LBB37_1287
	s_branch .LBB37_1288
.LBB37_3337:
	s_movk_i32 s4, 0x80
	v_cmp_eq_u16_sdwa s[12:13], v21, s4 src0_sel:BYTE_0 src1_sel:DWORD
	s_mov_b64 s[4:5], -1
                                        ; implicit-def: $sgpr10
	s_and_saveexec_b64 s[8:9], s[12:13]
; %bb.3338:
	s_mov_b32 s10, 0x7f800001
	s_xor_b64 s[4:5], exec, -1
; %bb.3339:
	s_or_b64 exec, exec, s[8:9]
	s_and_b64 s[4:5], s[4:5], exec
	s_or_saveexec_b64 s[6:7], s[6:7]
	v_mov_b32_e32 v20, s10
	s_xor_b64 exec, exec, s[6:7]
	s_cbranch_execz .LBB37_1290
.LBB37_3340:
	v_mov_b32_e32 v20, 0
	v_cmp_ne_u16_sdwa s[8:9], v21, v20 src0_sel:BYTE_0 src1_sel:DWORD
	s_andn2_b64 s[4:5], s[4:5], exec
	s_and_b64 s[8:9], s[8:9], exec
	s_or_b64 s[4:5], s[4:5], s[8:9]
	s_or_b64 exec, exec, s[6:7]
	s_and_saveexec_b64 s[6:7], s[4:5]
	s_cbranch_execnz .LBB37_1291
	s_branch .LBB37_1292
.LBB37_3341:
	s_movk_i32 s4, 0x80
	v_cmp_eq_u16_sdwa s[12:13], v21, s4 src0_sel:BYTE_0 src1_sel:DWORD
	s_mov_b64 s[4:5], -1
                                        ; implicit-def: $sgpr10
	s_and_saveexec_b64 s[8:9], s[12:13]
; %bb.3342:
	s_mov_b32 s10, 0x7f800001
	s_xor_b64 s[4:5], exec, -1
; %bb.3343:
	s_or_b64 exec, exec, s[8:9]
	s_and_b64 s[4:5], s[4:5], exec
	s_or_saveexec_b64 s[6:7], s[6:7]
	v_mov_b32_e32 v22, s10
	s_xor_b64 exec, exec, s[6:7]
	s_cbranch_execz .LBB37_1294
.LBB37_3344:
	v_mov_b32_e32 v22, 0
	v_cmp_ne_u16_sdwa s[8:9], v21, v22 src0_sel:BYTE_0 src1_sel:DWORD
	s_andn2_b64 s[4:5], s[4:5], exec
	s_and_b64 s[8:9], s[8:9], exec
	s_or_b64 s[4:5], s[4:5], s[8:9]
	s_or_b64 exec, exec, s[6:7]
	s_and_saveexec_b64 s[6:7], s[4:5]
	s_cbranch_execnz .LBB37_1295
	s_branch .LBB37_1296
.LBB37_3345:
	s_movk_i32 s4, 0x80
	v_cmp_eq_u16_e32 vcc, s4, v21
	s_mov_b64 s[4:5], -1
                                        ; implicit-def: $sgpr10
	s_and_saveexec_b64 s[8:9], vcc
; %bb.3346:
	s_mov_b32 s10, 0x7f800001
	s_xor_b64 s[4:5], exec, -1
; %bb.3347:
	s_or_b64 exec, exec, s[8:9]
	s_and_b64 s[4:5], s[4:5], exec
                                        ; implicit-def: $vgpr21
	s_or_saveexec_b64 s[6:7], s[6:7]
	v_mov_b32_e32 v20, s10
	s_xor_b64 exec, exec, s[6:7]
	s_cbranch_execz .LBB37_1298
.LBB37_3348:
	v_cmp_ne_u16_e32 vcc, 0, v21
	s_andn2_b64 s[4:5], s[4:5], exec
	s_and_b64 s[8:9], vcc, exec
	v_mov_b32_e32 v20, 0
	s_or_b64 s[4:5], s[4:5], s[8:9]
	s_or_b64 exec, exec, s[6:7]
	s_and_saveexec_b64 s[6:7], s[4:5]
	s_cbranch_execnz .LBB37_1299
	s_branch .LBB37_1300
.LBB37_3349:
	s_movk_i32 s4, 0x80
	v_cmp_eq_u16_e32 vcc, s4, v21
	s_mov_b64 s[4:5], -1
                                        ; implicit-def: $sgpr10
	s_and_saveexec_b64 s[8:9], vcc
; %bb.3350:
	s_mov_b32 s10, 0x7f800001
	s_xor_b64 s[4:5], exec, -1
; %bb.3351:
	s_or_b64 exec, exec, s[8:9]
	s_and_b64 s[4:5], s[4:5], exec
                                        ; implicit-def: $vgpr21
	s_or_saveexec_b64 s[6:7], s[6:7]
	v_mov_b32_e32 v22, s10
	s_xor_b64 exec, exec, s[6:7]
	s_cbranch_execz .LBB37_1302
.LBB37_3352:
	v_cmp_ne_u16_e32 vcc, 0, v21
	s_andn2_b64 s[4:5], s[4:5], exec
	s_and_b64 s[8:9], vcc, exec
	v_mov_b32_e32 v22, 0
	s_or_b64 s[4:5], s[4:5], s[8:9]
	s_or_b64 exec, exec, s[6:7]
	s_and_saveexec_b64 s[6:7], s[4:5]
	s_cbranch_execnz .LBB37_1303
	s_branch .LBB37_1304
.LBB37_3353:
	s_movk_i32 s4, 0x80
	v_cmp_eq_u16_sdwa s[12:13], v14, s4 src0_sel:BYTE_3 src1_sel:DWORD
	s_mov_b64 s[4:5], -1
                                        ; implicit-def: $sgpr10
	s_and_saveexec_b64 s[8:9], s[12:13]
; %bb.3354:
	s_mov_b32 s10, 0x7f800001
	s_xor_b64 s[4:5], exec, -1
; %bb.3355:
	s_or_b64 exec, exec, s[8:9]
	s_and_b64 s[4:5], s[4:5], exec
	s_or_saveexec_b64 s[6:7], s[6:7]
	v_mov_b32_e32 v20, s10
	s_xor_b64 exec, exec, s[6:7]
	s_cbranch_execz .LBB37_1306
.LBB37_3356:
	v_mov_b32_e32 v20, 0
	v_cmp_ne_u16_sdwa s[8:9], v14, v20 src0_sel:BYTE_3 src1_sel:DWORD
	s_andn2_b64 s[4:5], s[4:5], exec
	s_and_b64 s[8:9], s[8:9], exec
	s_or_b64 s[4:5], s[4:5], s[8:9]
	s_or_b64 exec, exec, s[6:7]
	s_and_saveexec_b64 s[6:7], s[4:5]
	s_cbranch_execnz .LBB37_1307
	s_branch .LBB37_1308
.LBB37_3357:
	s_movk_i32 s4, 0x80
	v_cmp_eq_u16_sdwa s[12:13], v10, s4 src0_sel:BYTE_3 src1_sel:DWORD
	s_mov_b64 s[4:5], -1
                                        ; implicit-def: $sgpr10
	s_and_saveexec_b64 s[8:9], s[12:13]
; %bb.3358:
	s_mov_b32 s10, 0x7f800001
	s_xor_b64 s[4:5], exec, -1
; %bb.3359:
	s_or_b64 exec, exec, s[8:9]
	s_and_b64 s[4:5], s[4:5], exec
	s_or_saveexec_b64 s[6:7], s[6:7]
	v_mov_b32_e32 v14, s10
	s_xor_b64 exec, exec, s[6:7]
	s_cbranch_execz .LBB37_1310
.LBB37_3360:
	v_mov_b32_e32 v14, 0
	v_cmp_ne_u16_sdwa s[8:9], v10, v14 src0_sel:BYTE_3 src1_sel:DWORD
	s_andn2_b64 s[4:5], s[4:5], exec
	s_and_b64 s[8:9], s[8:9], exec
	s_or_b64 s[4:5], s[4:5], s[8:9]
	s_or_b64 exec, exec, s[6:7]
	s_and_saveexec_b64 s[6:7], s[4:5]
	s_cbranch_execnz .LBB37_1311
	s_branch .LBB37_1312
.LBB37_3361:
	s_movk_i32 s4, 0x80
	v_cmp_eq_u16_sdwa s[12:13], v15, s4 src0_sel:BYTE_0 src1_sel:DWORD
	s_mov_b64 s[4:5], -1
                                        ; implicit-def: $sgpr10
	s_and_saveexec_b64 s[8:9], s[12:13]
; %bb.3362:
	s_mov_b32 s10, 0x7f800001
	s_xor_b64 s[4:5], exec, -1
; %bb.3363:
	s_or_b64 exec, exec, s[8:9]
	s_and_b64 s[4:5], s[4:5], exec
	s_or_saveexec_b64 s[6:7], s[6:7]
	v_mov_b32_e32 v10, s10
	s_xor_b64 exec, exec, s[6:7]
	s_cbranch_execz .LBB37_1314
.LBB37_3364:
	v_mov_b32_e32 v10, 0
	v_cmp_ne_u16_sdwa s[8:9], v15, v10 src0_sel:BYTE_0 src1_sel:DWORD
	s_andn2_b64 s[4:5], s[4:5], exec
	s_and_b64 s[8:9], s[8:9], exec
	s_or_b64 s[4:5], s[4:5], s[8:9]
	s_or_b64 exec, exec, s[6:7]
	s_and_saveexec_b64 s[6:7], s[4:5]
	s_cbranch_execnz .LBB37_1315
	s_branch .LBB37_1316
.LBB37_3365:
	s_movk_i32 s4, 0x80
	v_cmp_eq_u16_sdwa s[12:13], v11, s4 src0_sel:BYTE_0 src1_sel:DWORD
	s_mov_b64 s[4:5], -1
                                        ; implicit-def: $sgpr10
	s_and_saveexec_b64 s[8:9], s[12:13]
; %bb.3366:
	s_mov_b32 s10, 0x7f800001
	s_xor_b64 s[4:5], exec, -1
; %bb.3367:
	s_or_b64 exec, exec, s[8:9]
	s_and_b64 s[4:5], s[4:5], exec
	s_or_saveexec_b64 s[6:7], s[6:7]
	v_mov_b32_e32 v14, s10
	s_xor_b64 exec, exec, s[6:7]
	s_cbranch_execz .LBB37_1318
.LBB37_3368:
	v_mov_b32_e32 v14, 0
	v_cmp_ne_u16_sdwa s[8:9], v11, v14 src0_sel:BYTE_0 src1_sel:DWORD
	s_andn2_b64 s[4:5], s[4:5], exec
	s_and_b64 s[8:9], s[8:9], exec
	s_or_b64 s[4:5], s[4:5], s[8:9]
	s_or_b64 exec, exec, s[6:7]
	s_and_saveexec_b64 s[6:7], s[4:5]
	s_cbranch_execnz .LBB37_1319
	s_branch .LBB37_1320
.LBB37_3369:
	s_movk_i32 s4, 0x80
	v_cmp_eq_u16_sdwa s[12:13], v14, s4 src0_sel:BYTE_0 src1_sel:DWORD
	s_mov_b64 s[4:5], -1
                                        ; implicit-def: $sgpr10
	s_and_saveexec_b64 s[8:9], s[12:13]
; %bb.3370:
	s_mov_b32 s10, 0x7f800001
	s_xor_b64 s[4:5], exec, -1
; %bb.3371:
	s_or_b64 exec, exec, s[8:9]
	s_and_b64 s[4:5], s[4:5], exec
	s_or_saveexec_b64 s[6:7], s[6:7]
	v_mov_b32_e32 v10, s10
	s_xor_b64 exec, exec, s[6:7]
	s_cbranch_execz .LBB37_1322
.LBB37_3372:
	v_mov_b32_e32 v10, 0
	v_cmp_ne_u16_sdwa s[8:9], v14, v10 src0_sel:BYTE_0 src1_sel:DWORD
	s_andn2_b64 s[4:5], s[4:5], exec
	s_and_b64 s[8:9], s[8:9], exec
	s_or_b64 s[4:5], s[4:5], s[8:9]
	s_or_b64 exec, exec, s[6:7]
	s_and_saveexec_b64 s[6:7], s[4:5]
	s_cbranch_execnz .LBB37_1323
	s_branch .LBB37_1324
.LBB37_3373:
	s_movk_i32 s4, 0x80
	v_cmp_eq_u16_sdwa s[12:13], v14, s4 src0_sel:BYTE_0 src1_sel:DWORD
	s_mov_b64 s[4:5], -1
                                        ; implicit-def: $sgpr10
	s_and_saveexec_b64 s[8:9], s[12:13]
; %bb.3374:
	s_mov_b32 s10, 0x7f800001
	s_xor_b64 s[4:5], exec, -1
; %bb.3375:
	s_or_b64 exec, exec, s[8:9]
	s_and_b64 s[4:5], s[4:5], exec
	s_or_saveexec_b64 s[6:7], s[6:7]
	v_mov_b32_e32 v20, s10
	s_xor_b64 exec, exec, s[6:7]
	s_cbranch_execz .LBB37_1326
.LBB37_3376:
	v_mov_b32_e32 v20, 0
	v_cmp_ne_u16_sdwa s[8:9], v14, v20 src0_sel:BYTE_0 src1_sel:DWORD
	s_andn2_b64 s[4:5], s[4:5], exec
	s_and_b64 s[8:9], s[8:9], exec
	s_or_b64 s[4:5], s[4:5], s[8:9]
	s_or_b64 exec, exec, s[6:7]
	s_and_saveexec_b64 s[6:7], s[4:5]
	s_cbranch_execnz .LBB37_1327
	s_branch .LBB37_1328
.LBB37_3377:
	s_movk_i32 s4, 0x80
	v_cmp_eq_u16_e32 vcc, s4, v14
	s_mov_b64 s[4:5], -1
                                        ; implicit-def: $sgpr10
	s_and_saveexec_b64 s[8:9], vcc
; %bb.3378:
	s_mov_b32 s10, 0x7f800001
	s_xor_b64 s[4:5], exec, -1
; %bb.3379:
	s_or_b64 exec, exec, s[8:9]
	s_and_b64 s[4:5], s[4:5], exec
                                        ; implicit-def: $vgpr14
	s_or_saveexec_b64 s[6:7], s[6:7]
	v_mov_b32_e32 v10, s10
	s_xor_b64 exec, exec, s[6:7]
	s_cbranch_execz .LBB37_1330
.LBB37_3380:
	v_cmp_ne_u16_e32 vcc, 0, v14
	s_andn2_b64 s[4:5], s[4:5], exec
	s_and_b64 s[8:9], vcc, exec
	v_mov_b32_e32 v10, 0
	s_or_b64 s[4:5], s[4:5], s[8:9]
	s_or_b64 exec, exec, s[6:7]
	s_and_saveexec_b64 s[6:7], s[4:5]
	s_cbranch_execnz .LBB37_1331
	s_branch .LBB37_1332
.LBB37_3381:
	s_movk_i32 s4, 0x80
	v_cmp_eq_u16_e32 vcc, s4, v14
	s_mov_b64 s[4:5], -1
                                        ; implicit-def: $sgpr10
	s_and_saveexec_b64 s[8:9], vcc
; %bb.3382:
	s_mov_b32 s10, 0x7f800001
	s_xor_b64 s[4:5], exec, -1
; %bb.3383:
	s_or_b64 exec, exec, s[8:9]
	s_and_b64 s[4:5], s[4:5], exec
                                        ; implicit-def: $vgpr14
	s_or_saveexec_b64 s[6:7], s[6:7]
	v_mov_b32_e32 v20, s10
	s_xor_b64 exec, exec, s[6:7]
	s_cbranch_execz .LBB37_1334
.LBB37_3384:
	v_cmp_ne_u16_e32 vcc, 0, v14
	s_andn2_b64 s[4:5], s[4:5], exec
	s_and_b64 s[8:9], vcc, exec
	v_mov_b32_e32 v20, 0
	s_or_b64 s[4:5], s[4:5], s[8:9]
	s_or_b64 exec, exec, s[6:7]
	s_and_saveexec_b64 s[6:7], s[4:5]
	s_cbranch_execnz .LBB37_1335
	s_branch .LBB37_1336
.LBB37_3385:
	s_movk_i32 s4, 0x80
	v_cmp_eq_u16_sdwa s[12:13], v15, s4 src0_sel:BYTE_3 src1_sel:DWORD
	s_mov_b64 s[4:5], -1
                                        ; implicit-def: $sgpr10
	s_and_saveexec_b64 s[8:9], s[12:13]
; %bb.3386:
	s_mov_b32 s10, 0x7f800001
	s_xor_b64 s[4:5], exec, -1
; %bb.3387:
	s_or_b64 exec, exec, s[8:9]
	s_and_b64 s[4:5], s[4:5], exec
	s_or_saveexec_b64 s[6:7], s[6:7]
	v_mov_b32_e32 v10, s10
	s_xor_b64 exec, exec, s[6:7]
	s_cbranch_execz .LBB37_1338
.LBB37_3388:
	v_mov_b32_e32 v10, 0
	v_cmp_ne_u16_sdwa s[8:9], v15, v10 src0_sel:BYTE_3 src1_sel:DWORD
	s_andn2_b64 s[4:5], s[4:5], exec
	s_and_b64 s[8:9], s[8:9], exec
	s_or_b64 s[4:5], s[4:5], s[8:9]
	s_or_b64 exec, exec, s[6:7]
	s_and_saveexec_b64 s[6:7], s[4:5]
	s_cbranch_execnz .LBB37_1339
	s_branch .LBB37_1340
.LBB37_3389:
	s_movk_i32 s4, 0x80
	v_cmp_eq_u16_sdwa s[12:13], v11, s4 src0_sel:BYTE_3 src1_sel:DWORD
	s_mov_b64 s[4:5], -1
                                        ; implicit-def: $sgpr10
	s_and_saveexec_b64 s[8:9], s[12:13]
; %bb.3390:
	s_mov_b32 s10, 0x7f800001
	s_xor_b64 s[4:5], exec, -1
; %bb.3391:
	s_or_b64 exec, exec, s[8:9]
	s_and_b64 s[4:5], s[4:5], exec
	s_or_saveexec_b64 s[6:7], s[6:7]
	v_mov_b32_e32 v14, s10
	s_xor_b64 exec, exec, s[6:7]
	s_cbranch_execz .LBB37_1342
.LBB37_3392:
	v_mov_b32_e32 v14, 0
	v_cmp_ne_u16_sdwa s[8:9], v11, v14 src0_sel:BYTE_3 src1_sel:DWORD
	s_andn2_b64 s[4:5], s[4:5], exec
	s_and_b64 s[8:9], s[8:9], exec
	s_or_b64 s[4:5], s[4:5], s[8:9]
	s_or_b64 exec, exec, s[6:7]
	s_and_saveexec_b64 s[6:7], s[4:5]
	s_cbranch_execnz .LBB37_1343
	s_branch .LBB37_1344
.LBB37_3393:
	s_movk_i32 s4, 0x80
	v_cmp_eq_u16_sdwa s[12:13], v16, s4 src0_sel:BYTE_0 src1_sel:DWORD
	s_mov_b64 s[4:5], -1
                                        ; implicit-def: $sgpr10
	s_and_saveexec_b64 s[8:9], s[12:13]
; %bb.3394:
	s_mov_b32 s10, 0x7f800001
	s_xor_b64 s[4:5], exec, -1
; %bb.3395:
	s_or_b64 exec, exec, s[8:9]
	s_and_b64 s[4:5], s[4:5], exec
	s_or_saveexec_b64 s[6:7], s[6:7]
	v_mov_b32_e32 v10, s10
	s_xor_b64 exec, exec, s[6:7]
	s_cbranch_execz .LBB37_1346
.LBB37_3396:
	v_mov_b32_e32 v10, 0
	v_cmp_ne_u16_sdwa s[8:9], v16, v10 src0_sel:BYTE_0 src1_sel:DWORD
	s_andn2_b64 s[4:5], s[4:5], exec
	s_and_b64 s[8:9], s[8:9], exec
	s_or_b64 s[4:5], s[4:5], s[8:9]
	s_or_b64 exec, exec, s[6:7]
	s_and_saveexec_b64 s[6:7], s[4:5]
	s_cbranch_execnz .LBB37_1347
	s_branch .LBB37_1348
.LBB37_3397:
	s_movk_i32 s4, 0x80
	v_cmp_eq_u16_sdwa s[12:13], v12, s4 src0_sel:BYTE_0 src1_sel:DWORD
	s_mov_b64 s[4:5], -1
                                        ; implicit-def: $sgpr10
	s_and_saveexec_b64 s[8:9], s[12:13]
; %bb.3398:
	s_mov_b32 s10, 0x7f800001
	s_xor_b64 s[4:5], exec, -1
; %bb.3399:
	s_or_b64 exec, exec, s[8:9]
	s_and_b64 s[4:5], s[4:5], exec
	s_or_saveexec_b64 s[6:7], s[6:7]
	v_mov_b32_e32 v11, s10
	s_xor_b64 exec, exec, s[6:7]
	s_cbranch_execz .LBB37_1350
.LBB37_3400:
	v_mov_b32_e32 v11, 0
	v_cmp_ne_u16_sdwa s[8:9], v12, v11 src0_sel:BYTE_0 src1_sel:DWORD
	s_andn2_b64 s[4:5], s[4:5], exec
	s_and_b64 s[8:9], s[8:9], exec
	s_or_b64 s[4:5], s[4:5], s[8:9]
	s_or_b64 exec, exec, s[6:7]
	s_and_saveexec_b64 s[6:7], s[4:5]
	s_cbranch_execnz .LBB37_1351
	s_branch .LBB37_1352
.LBB37_3401:
	s_movk_i32 s4, 0x80
	v_cmp_eq_u16_sdwa s[12:13], v11, s4 src0_sel:BYTE_0 src1_sel:DWORD
	s_mov_b64 s[4:5], -1
                                        ; implicit-def: $sgpr10
	s_and_saveexec_b64 s[8:9], s[12:13]
; %bb.3402:
	s_mov_b32 s10, 0x7f800001
	s_xor_b64 s[4:5], exec, -1
; %bb.3403:
	s_or_b64 exec, exec, s[8:9]
	s_and_b64 s[4:5], s[4:5], exec
	s_or_saveexec_b64 s[6:7], s[6:7]
	v_mov_b32_e32 v10, s10
	s_xor_b64 exec, exec, s[6:7]
	s_cbranch_execz .LBB37_1354
.LBB37_3404:
	v_mov_b32_e32 v10, 0
	v_cmp_ne_u16_sdwa s[8:9], v11, v10 src0_sel:BYTE_0 src1_sel:DWORD
	s_andn2_b64 s[4:5], s[4:5], exec
	s_and_b64 s[8:9], s[8:9], exec
	s_or_b64 s[4:5], s[4:5], s[8:9]
	s_or_b64 exec, exec, s[6:7]
	s_and_saveexec_b64 s[6:7], s[4:5]
	s_cbranch_execnz .LBB37_1355
	s_branch .LBB37_1356
.LBB37_3405:
	s_movk_i32 s4, 0x80
	v_cmp_eq_u16_sdwa s[12:13], v11, s4 src0_sel:BYTE_0 src1_sel:DWORD
	s_mov_b64 s[4:5], -1
                                        ; implicit-def: $sgpr10
	s_and_saveexec_b64 s[8:9], s[12:13]
; %bb.3406:
	s_mov_b32 s10, 0x7f800001
	s_xor_b64 s[4:5], exec, -1
; %bb.3407:
	s_or_b64 exec, exec, s[8:9]
	s_and_b64 s[4:5], s[4:5], exec
	s_or_saveexec_b64 s[6:7], s[6:7]
	v_mov_b32_e32 v14, s10
	s_xor_b64 exec, exec, s[6:7]
	s_cbranch_execz .LBB37_1358
.LBB37_3408:
	v_mov_b32_e32 v14, 0
	v_cmp_ne_u16_sdwa s[8:9], v11, v14 src0_sel:BYTE_0 src1_sel:DWORD
	s_andn2_b64 s[4:5], s[4:5], exec
	s_and_b64 s[8:9], s[8:9], exec
	s_or_b64 s[4:5], s[4:5], s[8:9]
	s_or_b64 exec, exec, s[6:7]
	s_and_saveexec_b64 s[6:7], s[4:5]
	s_cbranch_execnz .LBB37_1359
	s_branch .LBB37_1360
.LBB37_3409:
	s_movk_i32 s4, 0x80
	v_cmp_eq_u16_e32 vcc, s4, v11
	s_mov_b64 s[4:5], -1
                                        ; implicit-def: $sgpr10
	s_and_saveexec_b64 s[8:9], vcc
; %bb.3410:
	s_mov_b32 s10, 0x7f800001
	s_xor_b64 s[4:5], exec, -1
; %bb.3411:
	s_or_b64 exec, exec, s[8:9]
	s_and_b64 s[4:5], s[4:5], exec
                                        ; implicit-def: $vgpr11
	s_or_saveexec_b64 s[6:7], s[6:7]
	v_mov_b32_e32 v10, s10
	s_xor_b64 exec, exec, s[6:7]
	s_cbranch_execz .LBB37_1362
.LBB37_3412:
	v_cmp_ne_u16_e32 vcc, 0, v11
	s_andn2_b64 s[4:5], s[4:5], exec
	s_and_b64 s[8:9], vcc, exec
	v_mov_b32_e32 v10, 0
	s_or_b64 s[4:5], s[4:5], s[8:9]
	s_or_b64 exec, exec, s[6:7]
	s_and_saveexec_b64 s[6:7], s[4:5]
	s_cbranch_execnz .LBB37_1363
	s_branch .LBB37_1364
.LBB37_3413:
	s_movk_i32 s4, 0x80
	v_cmp_eq_u16_e32 vcc, s4, v11
	s_mov_b64 s[4:5], -1
                                        ; implicit-def: $sgpr10
	s_and_saveexec_b64 s[8:9], vcc
; %bb.3414:
	s_mov_b32 s10, 0x7f800001
	s_xor_b64 s[4:5], exec, -1
; %bb.3415:
	s_or_b64 exec, exec, s[8:9]
	s_and_b64 s[4:5], s[4:5], exec
                                        ; implicit-def: $vgpr11
	s_or_saveexec_b64 s[6:7], s[6:7]
	v_mov_b32_e32 v14, s10
	s_xor_b64 exec, exec, s[6:7]
	s_cbranch_execz .LBB37_1366
.LBB37_3416:
	v_cmp_ne_u16_e32 vcc, 0, v11
	s_andn2_b64 s[4:5], s[4:5], exec
	s_and_b64 s[8:9], vcc, exec
	v_mov_b32_e32 v14, 0
	s_or_b64 s[4:5], s[4:5], s[8:9]
	s_or_b64 exec, exec, s[6:7]
	s_and_saveexec_b64 s[6:7], s[4:5]
	s_cbranch_execnz .LBB37_1367
	s_branch .LBB37_1368
.LBB37_3417:
	s_movk_i32 s4, 0x80
	v_cmp_eq_u16_sdwa s[12:13], v16, s4 src0_sel:BYTE_3 src1_sel:DWORD
	s_mov_b64 s[4:5], -1
                                        ; implicit-def: $sgpr10
	s_and_saveexec_b64 s[8:9], s[12:13]
; %bb.3418:
	s_mov_b32 s10, 0x7f800001
	s_xor_b64 s[4:5], exec, -1
; %bb.3419:
	s_or_b64 exec, exec, s[8:9]
	s_and_b64 s[4:5], s[4:5], exec
	s_or_saveexec_b64 s[6:7], s[6:7]
	v_mov_b32_e32 v10, s10
	s_xor_b64 exec, exec, s[6:7]
	s_cbranch_execz .LBB37_1370
.LBB37_3420:
	v_mov_b32_e32 v10, 0
	v_cmp_ne_u16_sdwa s[8:9], v16, v10 src0_sel:BYTE_3 src1_sel:DWORD
	s_andn2_b64 s[4:5], s[4:5], exec
	s_and_b64 s[8:9], s[8:9], exec
	s_or_b64 s[4:5], s[4:5], s[8:9]
	s_or_b64 exec, exec, s[6:7]
	s_and_saveexec_b64 s[6:7], s[4:5]
	s_cbranch_execnz .LBB37_1371
	s_branch .LBB37_1372
.LBB37_3421:
	s_movk_i32 s4, 0x80
	v_cmp_eq_u16_sdwa s[12:13], v12, s4 src0_sel:BYTE_3 src1_sel:DWORD
	s_mov_b64 s[4:5], -1
                                        ; implicit-def: $sgpr10
	s_and_saveexec_b64 s[8:9], s[12:13]
; %bb.3422:
	s_mov_b32 s10, 0x7f800001
	s_xor_b64 s[4:5], exec, -1
; %bb.3423:
	s_or_b64 exec, exec, s[8:9]
	s_and_b64 s[4:5], s[4:5], exec
	s_or_saveexec_b64 s[6:7], s[6:7]
	v_mov_b32_e32 v11, s10
	s_xor_b64 exec, exec, s[6:7]
	s_cbranch_execz .LBB37_1374
.LBB37_3424:
	v_mov_b32_e32 v11, 0
	v_cmp_ne_u16_sdwa s[8:9], v12, v11 src0_sel:BYTE_3 src1_sel:DWORD
	s_andn2_b64 s[4:5], s[4:5], exec
	s_and_b64 s[8:9], s[8:9], exec
	s_or_b64 s[4:5], s[4:5], s[8:9]
	s_or_b64 exec, exec, s[6:7]
	s_and_saveexec_b64 s[6:7], s[4:5]
	s_cbranch_execnz .LBB37_1375
	s_branch .LBB37_1376
.LBB37_3425:
	s_movk_i32 s4, 0x80
	v_cmp_eq_u16_sdwa s[12:13], v17, s4 src0_sel:BYTE_0 src1_sel:DWORD
	s_mov_b64 s[4:5], -1
                                        ; implicit-def: $sgpr10
	s_and_saveexec_b64 s[8:9], s[12:13]
; %bb.3426:
	s_mov_b32 s10, 0x7f800001
	s_xor_b64 s[4:5], exec, -1
; %bb.3427:
	s_or_b64 exec, exec, s[8:9]
	s_and_b64 s[4:5], s[4:5], exec
	s_or_saveexec_b64 s[6:7], s[6:7]
	v_mov_b32_e32 v10, s10
	s_xor_b64 exec, exec, s[6:7]
	s_cbranch_execz .LBB37_1378
.LBB37_3428:
	v_mov_b32_e32 v10, 0
	v_cmp_ne_u16_sdwa s[8:9], v17, v10 src0_sel:BYTE_0 src1_sel:DWORD
	s_andn2_b64 s[4:5], s[4:5], exec
	s_and_b64 s[8:9], s[8:9], exec
	s_or_b64 s[4:5], s[4:5], s[8:9]
	s_or_b64 exec, exec, s[6:7]
	s_and_saveexec_b64 s[6:7], s[4:5]
	s_cbranch_execnz .LBB37_1379
	s_branch .LBB37_1380
.LBB37_3429:
	s_movk_i32 s4, 0x80
	v_cmp_eq_u16_sdwa s[12:13], v13, s4 src0_sel:BYTE_0 src1_sel:DWORD
	s_mov_b64 s[4:5], -1
                                        ; implicit-def: $sgpr10
	s_and_saveexec_b64 s[8:9], s[12:13]
; %bb.3430:
	s_mov_b32 s10, 0x7f800001
	s_xor_b64 s[4:5], exec, -1
; %bb.3431:
	s_or_b64 exec, exec, s[8:9]
	s_and_b64 s[4:5], s[4:5], exec
	s_or_saveexec_b64 s[6:7], s[6:7]
	v_mov_b32_e32 v11, s10
	s_xor_b64 exec, exec, s[6:7]
	s_cbranch_execz .LBB37_1382
.LBB37_3432:
	v_mov_b32_e32 v11, 0
	v_cmp_ne_u16_sdwa s[8:9], v13, v11 src0_sel:BYTE_0 src1_sel:DWORD
	s_andn2_b64 s[4:5], s[4:5], exec
	s_and_b64 s[8:9], s[8:9], exec
	s_or_b64 s[4:5], s[4:5], s[8:9]
	s_or_b64 exec, exec, s[6:7]
	s_and_saveexec_b64 s[6:7], s[4:5]
	s_cbranch_execnz .LBB37_1383
	s_branch .LBB37_1384
.LBB37_3433:
	s_movk_i32 s4, 0x80
	v_cmp_eq_u16_sdwa s[12:13], v11, s4 src0_sel:BYTE_0 src1_sel:DWORD
	s_mov_b64 s[4:5], -1
                                        ; implicit-def: $sgpr10
	s_and_saveexec_b64 s[8:9], s[12:13]
; %bb.3434:
	s_mov_b32 s10, 0x7f800001
	s_xor_b64 s[4:5], exec, -1
; %bb.3435:
	s_or_b64 exec, exec, s[8:9]
	s_and_b64 s[4:5], s[4:5], exec
	s_or_saveexec_b64 s[6:7], s[6:7]
	v_mov_b32_e32 v10, s10
	s_xor_b64 exec, exec, s[6:7]
	s_cbranch_execz .LBB37_1386
.LBB37_3436:
	v_mov_b32_e32 v10, 0
	v_cmp_ne_u16_sdwa s[8:9], v11, v10 src0_sel:BYTE_0 src1_sel:DWORD
	s_andn2_b64 s[4:5], s[4:5], exec
	s_and_b64 s[8:9], s[8:9], exec
	s_or_b64 s[4:5], s[4:5], s[8:9]
	s_or_b64 exec, exec, s[6:7]
	s_and_saveexec_b64 s[6:7], s[4:5]
	s_cbranch_execnz .LBB37_1387
	s_branch .LBB37_1388
.LBB37_3437:
	s_movk_i32 s4, 0x80
	v_cmp_eq_u16_sdwa s[12:13], v11, s4 src0_sel:BYTE_0 src1_sel:DWORD
	s_mov_b64 s[4:5], -1
                                        ; implicit-def: $sgpr10
	s_and_saveexec_b64 s[8:9], s[12:13]
; %bb.3438:
	s_mov_b32 s10, 0x7f800001
	s_xor_b64 s[4:5], exec, -1
; %bb.3439:
	s_or_b64 exec, exec, s[8:9]
	s_and_b64 s[4:5], s[4:5], exec
	s_or_saveexec_b64 s[6:7], s[6:7]
	v_mov_b32_e32 v12, s10
	s_xor_b64 exec, exec, s[6:7]
	s_cbranch_execz .LBB37_1390
.LBB37_3440:
	v_mov_b32_e32 v12, 0
	v_cmp_ne_u16_sdwa s[8:9], v11, v12 src0_sel:BYTE_0 src1_sel:DWORD
	s_andn2_b64 s[4:5], s[4:5], exec
	s_and_b64 s[8:9], s[8:9], exec
	s_or_b64 s[4:5], s[4:5], s[8:9]
	s_or_b64 exec, exec, s[6:7]
	s_and_saveexec_b64 s[6:7], s[4:5]
	s_cbranch_execnz .LBB37_1391
	s_branch .LBB37_1392
.LBB37_3441:
	s_movk_i32 s4, 0x80
	v_cmp_eq_u16_e32 vcc, s4, v11
	s_mov_b64 s[4:5], -1
                                        ; implicit-def: $sgpr10
	s_and_saveexec_b64 s[8:9], vcc
; %bb.3442:
	s_mov_b32 s10, 0x7f800001
	s_xor_b64 s[4:5], exec, -1
; %bb.3443:
	s_or_b64 exec, exec, s[8:9]
	s_and_b64 s[4:5], s[4:5], exec
                                        ; implicit-def: $vgpr11
	s_or_saveexec_b64 s[6:7], s[6:7]
	v_mov_b32_e32 v10, s10
	s_xor_b64 exec, exec, s[6:7]
	s_cbranch_execz .LBB37_1394
.LBB37_3444:
	v_cmp_ne_u16_e32 vcc, 0, v11
	s_andn2_b64 s[4:5], s[4:5], exec
	s_and_b64 s[8:9], vcc, exec
	v_mov_b32_e32 v10, 0
	s_or_b64 s[4:5], s[4:5], s[8:9]
	s_or_b64 exec, exec, s[6:7]
	s_and_saveexec_b64 s[6:7], s[4:5]
	s_cbranch_execnz .LBB37_1395
	s_branch .LBB37_1396
.LBB37_3445:
	s_movk_i32 s4, 0x80
	v_cmp_eq_u16_e32 vcc, s4, v11
	s_mov_b64 s[4:5], -1
                                        ; implicit-def: $sgpr10
	s_and_saveexec_b64 s[8:9], vcc
; %bb.3446:
	s_mov_b32 s10, 0x7f800001
	s_xor_b64 s[4:5], exec, -1
; %bb.3447:
	s_or_b64 exec, exec, s[8:9]
	s_and_b64 s[4:5], s[4:5], exec
                                        ; implicit-def: $vgpr11
	s_or_saveexec_b64 s[6:7], s[6:7]
	v_mov_b32_e32 v12, s10
	s_xor_b64 exec, exec, s[6:7]
	s_cbranch_execz .LBB37_1398
.LBB37_3448:
	v_cmp_ne_u16_e32 vcc, 0, v11
	s_andn2_b64 s[4:5], s[4:5], exec
	s_and_b64 s[8:9], vcc, exec
	v_mov_b32_e32 v12, 0
	s_or_b64 s[4:5], s[4:5], s[8:9]
	s_or_b64 exec, exec, s[6:7]
	s_and_saveexec_b64 s[6:7], s[4:5]
	s_cbranch_execnz .LBB37_1399
	s_branch .LBB37_1400
.LBB37_3449:
	s_movk_i32 s4, 0x80
	v_cmp_eq_u16_sdwa s[12:13], v17, s4 src0_sel:BYTE_3 src1_sel:DWORD
	s_mov_b64 s[4:5], -1
                                        ; implicit-def: $sgpr10
	s_and_saveexec_b64 s[8:9], s[12:13]
; %bb.3450:
	s_mov_b32 s10, 0x7f800001
	s_xor_b64 s[4:5], exec, -1
; %bb.3451:
	s_or_b64 exec, exec, s[8:9]
	s_and_b64 s[4:5], s[4:5], exec
	s_or_saveexec_b64 s[6:7], s[6:7]
	v_mov_b32_e32 v10, s10
	s_xor_b64 exec, exec, s[6:7]
	s_cbranch_execz .LBB37_1402
.LBB37_3452:
	v_mov_b32_e32 v10, 0
	v_cmp_ne_u16_sdwa s[8:9], v17, v10 src0_sel:BYTE_3 src1_sel:DWORD
	s_andn2_b64 s[4:5], s[4:5], exec
	s_and_b64 s[8:9], s[8:9], exec
	s_or_b64 s[4:5], s[4:5], s[8:9]
	s_or_b64 exec, exec, s[6:7]
	s_and_saveexec_b64 s[6:7], s[4:5]
	s_cbranch_execnz .LBB37_1403
	s_branch .LBB37_1404
.LBB37_3453:
	s_movk_i32 s4, 0x80
	v_cmp_eq_u16_sdwa s[12:13], v13, s4 src0_sel:BYTE_3 src1_sel:DWORD
	s_mov_b64 s[4:5], -1
                                        ; implicit-def: $sgpr10
	s_and_saveexec_b64 s[8:9], s[12:13]
; %bb.3454:
	s_mov_b32 s10, 0x7f800001
	s_xor_b64 s[4:5], exec, -1
; %bb.3455:
	s_or_b64 exec, exec, s[8:9]
	s_and_b64 s[4:5], s[4:5], exec
	s_or_saveexec_b64 s[6:7], s[6:7]
	v_mov_b32_e32 v11, s10
	s_xor_b64 exec, exec, s[6:7]
	s_cbranch_execz .LBB37_1406
.LBB37_3456:
	v_mov_b32_e32 v11, 0
	v_cmp_ne_u16_sdwa s[8:9], v13, v11 src0_sel:BYTE_3 src1_sel:DWORD
	s_andn2_b64 s[4:5], s[4:5], exec
	s_and_b64 s[8:9], s[8:9], exec
	s_or_b64 s[4:5], s[4:5], s[8:9]
	s_or_b64 exec, exec, s[6:7]
	s_and_saveexec_b64 s[6:7], s[4:5]
	s_cbranch_execnz .LBB37_1407
	s_branch .LBB37_1408
.LBB37_3457:
	s_movk_i32 s4, 0x80
	v_cmp_eq_u16_sdwa s[12:13], v6, s4 src0_sel:BYTE_0 src1_sel:DWORD
	s_mov_b64 s[4:5], -1
                                        ; implicit-def: $sgpr10
	s_and_saveexec_b64 s[8:9], s[12:13]
; %bb.3458:
	s_mov_b32 s10, 0x7f800001
	s_xor_b64 s[4:5], exec, -1
; %bb.3459:
	s_or_b64 exec, exec, s[8:9]
	s_and_b64 s[4:5], s[4:5], exec
	s_or_saveexec_b64 s[6:7], s[6:7]
	v_mov_b32_e32 v10, s10
	s_xor_b64 exec, exec, s[6:7]
	s_cbranch_execz .LBB37_1410
.LBB37_3460:
	v_mov_b32_e32 v10, 0
	v_cmp_ne_u16_sdwa s[8:9], v6, v10 src0_sel:BYTE_0 src1_sel:DWORD
	s_andn2_b64 s[4:5], s[4:5], exec
	s_and_b64 s[8:9], s[8:9], exec
	s_or_b64 s[4:5], s[4:5], s[8:9]
	s_or_b64 exec, exec, s[6:7]
	s_and_saveexec_b64 s[6:7], s[4:5]
	s_cbranch_execnz .LBB37_1411
	s_branch .LBB37_1412
.LBB37_3461:
	s_movk_i32 s4, 0x80
	v_cmp_eq_u16_sdwa s[12:13], v2, s4 src0_sel:BYTE_0 src1_sel:DWORD
	s_mov_b64 s[4:5], -1
                                        ; implicit-def: $sgpr10
	s_and_saveexec_b64 s[8:9], s[12:13]
; %bb.3462:
	s_mov_b32 s10, 0x7f800001
	s_xor_b64 s[4:5], exec, -1
; %bb.3463:
	s_or_b64 exec, exec, s[8:9]
	s_and_b64 s[4:5], s[4:5], exec
	s_or_saveexec_b64 s[6:7], s[6:7]
	v_mov_b32_e32 v11, s10
	s_xor_b64 exec, exec, s[6:7]
	s_cbranch_execz .LBB37_1414
.LBB37_3464:
	v_mov_b32_e32 v11, 0
	v_cmp_ne_u16_sdwa s[8:9], v2, v11 src0_sel:BYTE_0 src1_sel:DWORD
	s_andn2_b64 s[4:5], s[4:5], exec
	s_and_b64 s[8:9], s[8:9], exec
	s_or_b64 s[4:5], s[4:5], s[8:9]
	s_or_b64 exec, exec, s[6:7]
	s_and_saveexec_b64 s[6:7], s[4:5]
	s_cbranch_execnz .LBB37_1415
	s_branch .LBB37_1416
.LBB37_3465:
	s_movk_i32 s4, 0x80
	v_cmp_eq_u16_sdwa s[12:13], v11, s4 src0_sel:BYTE_0 src1_sel:DWORD
	s_mov_b64 s[4:5], -1
                                        ; implicit-def: $sgpr10
	s_and_saveexec_b64 s[8:9], s[12:13]
; %bb.3466:
	s_mov_b32 s10, 0x7f800001
	s_xor_b64 s[4:5], exec, -1
; %bb.3467:
	s_or_b64 exec, exec, s[8:9]
	s_and_b64 s[4:5], s[4:5], exec
	s_or_saveexec_b64 s[6:7], s[6:7]
	v_mov_b32_e32 v10, s10
	s_xor_b64 exec, exec, s[6:7]
	s_cbranch_execz .LBB37_1418
.LBB37_3468:
	v_mov_b32_e32 v10, 0
	v_cmp_ne_u16_sdwa s[8:9], v11, v10 src0_sel:BYTE_0 src1_sel:DWORD
	s_andn2_b64 s[4:5], s[4:5], exec
	s_and_b64 s[8:9], s[8:9], exec
	s_or_b64 s[4:5], s[4:5], s[8:9]
	s_or_b64 exec, exec, s[6:7]
	s_and_saveexec_b64 s[6:7], s[4:5]
	s_cbranch_execnz .LBB37_1419
	s_branch .LBB37_1420
.LBB37_3469:
	s_movk_i32 s4, 0x80
	v_cmp_eq_u16_sdwa s[12:13], v11, s4 src0_sel:BYTE_0 src1_sel:DWORD
	s_mov_b64 s[4:5], -1
                                        ; implicit-def: $sgpr10
	s_and_saveexec_b64 s[8:9], s[12:13]
; %bb.3470:
	s_mov_b32 s10, 0x7f800001
	s_xor_b64 s[4:5], exec, -1
; %bb.3471:
	s_or_b64 exec, exec, s[8:9]
	s_and_b64 s[4:5], s[4:5], exec
	s_or_saveexec_b64 s[6:7], s[6:7]
	v_mov_b32_e32 v12, s10
	s_xor_b64 exec, exec, s[6:7]
	s_cbranch_execz .LBB37_1422
.LBB37_3472:
	v_mov_b32_e32 v12, 0
	v_cmp_ne_u16_sdwa s[8:9], v11, v12 src0_sel:BYTE_0 src1_sel:DWORD
	s_andn2_b64 s[4:5], s[4:5], exec
	s_and_b64 s[8:9], s[8:9], exec
	s_or_b64 s[4:5], s[4:5], s[8:9]
	s_or_b64 exec, exec, s[6:7]
	s_and_saveexec_b64 s[6:7], s[4:5]
	s_cbranch_execnz .LBB37_1423
	s_branch .LBB37_1424
.LBB37_3473:
	s_movk_i32 s4, 0x80
	v_cmp_eq_u16_e32 vcc, s4, v11
	s_mov_b64 s[4:5], -1
                                        ; implicit-def: $sgpr10
	s_and_saveexec_b64 s[8:9], vcc
; %bb.3474:
	s_mov_b32 s10, 0x7f800001
	s_xor_b64 s[4:5], exec, -1
; %bb.3475:
	s_or_b64 exec, exec, s[8:9]
	s_and_b64 s[4:5], s[4:5], exec
                                        ; implicit-def: $vgpr11
	s_or_saveexec_b64 s[6:7], s[6:7]
	v_mov_b32_e32 v10, s10
	s_xor_b64 exec, exec, s[6:7]
	s_cbranch_execz .LBB37_1426
.LBB37_3476:
	v_cmp_ne_u16_e32 vcc, 0, v11
	s_andn2_b64 s[4:5], s[4:5], exec
	s_and_b64 s[8:9], vcc, exec
	v_mov_b32_e32 v10, 0
	s_or_b64 s[4:5], s[4:5], s[8:9]
	s_or_b64 exec, exec, s[6:7]
	s_and_saveexec_b64 s[6:7], s[4:5]
	s_cbranch_execnz .LBB37_1427
	s_branch .LBB37_1428
.LBB37_3477:
	s_movk_i32 s4, 0x80
	v_cmp_eq_u16_e32 vcc, s4, v11
	s_mov_b64 s[4:5], -1
                                        ; implicit-def: $sgpr10
	s_and_saveexec_b64 s[8:9], vcc
; %bb.3478:
	s_mov_b32 s10, 0x7f800001
	s_xor_b64 s[4:5], exec, -1
; %bb.3479:
	s_or_b64 exec, exec, s[8:9]
	s_and_b64 s[4:5], s[4:5], exec
                                        ; implicit-def: $vgpr11
	s_or_saveexec_b64 s[6:7], s[6:7]
	v_mov_b32_e32 v12, s10
	s_xor_b64 exec, exec, s[6:7]
	s_cbranch_execz .LBB37_1430
.LBB37_3480:
	v_cmp_ne_u16_e32 vcc, 0, v11
	s_andn2_b64 s[4:5], s[4:5], exec
	s_and_b64 s[8:9], vcc, exec
	v_mov_b32_e32 v12, 0
	s_or_b64 s[4:5], s[4:5], s[8:9]
	s_or_b64 exec, exec, s[6:7]
	s_and_saveexec_b64 s[6:7], s[4:5]
	s_cbranch_execnz .LBB37_1431
	s_branch .LBB37_1432
.LBB37_3481:
	s_movk_i32 s4, 0x80
	v_cmp_eq_u16_sdwa s[12:13], v6, s4 src0_sel:BYTE_3 src1_sel:DWORD
	s_mov_b64 s[4:5], -1
                                        ; implicit-def: $sgpr10
	s_and_saveexec_b64 s[8:9], s[12:13]
; %bb.3482:
	s_mov_b32 s10, 0x7f800001
	s_xor_b64 s[4:5], exec, -1
; %bb.3483:
	s_or_b64 exec, exec, s[8:9]
	s_and_b64 s[4:5], s[4:5], exec
	s_or_saveexec_b64 s[6:7], s[6:7]
	v_mov_b32_e32 v10, s10
	s_xor_b64 exec, exec, s[6:7]
	s_cbranch_execz .LBB37_1434
.LBB37_3484:
	v_mov_b32_e32 v10, 0
	v_cmp_ne_u16_sdwa s[8:9], v6, v10 src0_sel:BYTE_3 src1_sel:DWORD
	s_andn2_b64 s[4:5], s[4:5], exec
	s_and_b64 s[8:9], s[8:9], exec
	s_or_b64 s[4:5], s[4:5], s[8:9]
	s_or_b64 exec, exec, s[6:7]
	s_and_saveexec_b64 s[6:7], s[4:5]
	s_cbranch_execnz .LBB37_1435
	s_branch .LBB37_1436
.LBB37_3485:
	s_movk_i32 s4, 0x80
	v_cmp_eq_u16_sdwa s[12:13], v2, s4 src0_sel:BYTE_3 src1_sel:DWORD
	s_mov_b64 s[4:5], -1
                                        ; implicit-def: $sgpr10
	s_and_saveexec_b64 s[8:9], s[12:13]
; %bb.3486:
	s_mov_b32 s10, 0x7f800001
	s_xor_b64 s[4:5], exec, -1
; %bb.3487:
	s_or_b64 exec, exec, s[8:9]
	s_and_b64 s[4:5], s[4:5], exec
	s_or_saveexec_b64 s[6:7], s[6:7]
	v_mov_b32_e32 v6, s10
	s_xor_b64 exec, exec, s[6:7]
	s_cbranch_execz .LBB37_1438
.LBB37_3488:
	v_mov_b32_e32 v6, 0
	v_cmp_ne_u16_sdwa s[8:9], v2, v6 src0_sel:BYTE_3 src1_sel:DWORD
	s_andn2_b64 s[4:5], s[4:5], exec
	s_and_b64 s[8:9], s[8:9], exec
	s_or_b64 s[4:5], s[4:5], s[8:9]
	s_or_b64 exec, exec, s[6:7]
	s_and_saveexec_b64 s[6:7], s[4:5]
	s_cbranch_execnz .LBB37_1439
	s_branch .LBB37_1440
.LBB37_3489:
	s_movk_i32 s4, 0x80
	v_cmp_eq_u16_sdwa s[12:13], v7, s4 src0_sel:BYTE_0 src1_sel:DWORD
	s_mov_b64 s[4:5], -1
                                        ; implicit-def: $sgpr10
	s_and_saveexec_b64 s[8:9], s[12:13]
; %bb.3490:
	s_mov_b32 s10, 0x7f800001
	s_xor_b64 s[4:5], exec, -1
; %bb.3491:
	s_or_b64 exec, exec, s[8:9]
	s_and_b64 s[4:5], s[4:5], exec
	s_or_saveexec_b64 s[6:7], s[6:7]
	v_mov_b32_e32 v2, s10
	s_xor_b64 exec, exec, s[6:7]
	s_cbranch_execz .LBB37_1442
.LBB37_3492:
	v_mov_b32_e32 v2, 0
	v_cmp_ne_u16_sdwa s[8:9], v7, v2 src0_sel:BYTE_0 src1_sel:DWORD
	s_andn2_b64 s[4:5], s[4:5], exec
	s_and_b64 s[8:9], s[8:9], exec
	s_or_b64 s[4:5], s[4:5], s[8:9]
	s_or_b64 exec, exec, s[6:7]
	s_and_saveexec_b64 s[6:7], s[4:5]
	s_cbranch_execnz .LBB37_1443
	s_branch .LBB37_1444
.LBB37_3493:
	s_movk_i32 s4, 0x80
	v_cmp_eq_u16_sdwa s[12:13], v3, s4 src0_sel:BYTE_0 src1_sel:DWORD
	s_mov_b64 s[4:5], -1
                                        ; implicit-def: $sgpr10
	s_and_saveexec_b64 s[8:9], s[12:13]
; %bb.3494:
	s_mov_b32 s10, 0x7f800001
	s_xor_b64 s[4:5], exec, -1
; %bb.3495:
	s_or_b64 exec, exec, s[8:9]
	s_and_b64 s[4:5], s[4:5], exec
	s_or_saveexec_b64 s[6:7], s[6:7]
	v_mov_b32_e32 v6, s10
	s_xor_b64 exec, exec, s[6:7]
	s_cbranch_execz .LBB37_1446
.LBB37_3496:
	v_mov_b32_e32 v6, 0
	v_cmp_ne_u16_sdwa s[8:9], v3, v6 src0_sel:BYTE_0 src1_sel:DWORD
	s_andn2_b64 s[4:5], s[4:5], exec
	s_and_b64 s[8:9], s[8:9], exec
	s_or_b64 s[4:5], s[4:5], s[8:9]
	s_or_b64 exec, exec, s[6:7]
	s_and_saveexec_b64 s[6:7], s[4:5]
	s_cbranch_execnz .LBB37_1447
	s_branch .LBB37_1448
.LBB37_3497:
	s_movk_i32 s4, 0x80
	v_cmp_eq_u16_sdwa s[12:13], v6, s4 src0_sel:BYTE_0 src1_sel:DWORD
	s_mov_b64 s[4:5], -1
                                        ; implicit-def: $sgpr10
	s_and_saveexec_b64 s[8:9], s[12:13]
; %bb.3498:
	s_mov_b32 s10, 0x7f800001
	s_xor_b64 s[4:5], exec, -1
; %bb.3499:
	s_or_b64 exec, exec, s[8:9]
	s_and_b64 s[4:5], s[4:5], exec
	s_or_saveexec_b64 s[6:7], s[6:7]
	v_mov_b32_e32 v2, s10
	s_xor_b64 exec, exec, s[6:7]
	s_cbranch_execz .LBB37_1450
.LBB37_3500:
	v_mov_b32_e32 v2, 0
	v_cmp_ne_u16_sdwa s[8:9], v6, v2 src0_sel:BYTE_0 src1_sel:DWORD
	s_andn2_b64 s[4:5], s[4:5], exec
	s_and_b64 s[8:9], s[8:9], exec
	s_or_b64 s[4:5], s[4:5], s[8:9]
	s_or_b64 exec, exec, s[6:7]
	s_and_saveexec_b64 s[6:7], s[4:5]
	s_cbranch_execnz .LBB37_1451
	s_branch .LBB37_1452
.LBB37_3501:
	s_movk_i32 s4, 0x80
	v_cmp_eq_u16_sdwa s[12:13], v6, s4 src0_sel:BYTE_0 src1_sel:DWORD
	s_mov_b64 s[4:5], -1
                                        ; implicit-def: $sgpr10
	s_and_saveexec_b64 s[8:9], s[12:13]
; %bb.3502:
	s_mov_b32 s10, 0x7f800001
	s_xor_b64 s[4:5], exec, -1
; %bb.3503:
	s_or_b64 exec, exec, s[8:9]
	s_and_b64 s[4:5], s[4:5], exec
	s_or_saveexec_b64 s[6:7], s[6:7]
	v_mov_b32_e32 v10, s10
	s_xor_b64 exec, exec, s[6:7]
	s_cbranch_execz .LBB37_1454
.LBB37_3504:
	v_mov_b32_e32 v10, 0
	v_cmp_ne_u16_sdwa s[8:9], v6, v10 src0_sel:BYTE_0 src1_sel:DWORD
	s_andn2_b64 s[4:5], s[4:5], exec
	s_and_b64 s[8:9], s[8:9], exec
	s_or_b64 s[4:5], s[4:5], s[8:9]
	s_or_b64 exec, exec, s[6:7]
	s_and_saveexec_b64 s[6:7], s[4:5]
	s_cbranch_execnz .LBB37_1455
	s_branch .LBB37_1456
.LBB37_3505:
	s_movk_i32 s4, 0x80
	v_cmp_eq_u16_e32 vcc, s4, v6
	s_mov_b64 s[4:5], -1
                                        ; implicit-def: $sgpr10
	s_and_saveexec_b64 s[8:9], vcc
; %bb.3506:
	s_mov_b32 s10, 0x7f800001
	s_xor_b64 s[4:5], exec, -1
; %bb.3507:
	s_or_b64 exec, exec, s[8:9]
	s_and_b64 s[4:5], s[4:5], exec
                                        ; implicit-def: $vgpr6
	s_or_saveexec_b64 s[6:7], s[6:7]
	v_mov_b32_e32 v2, s10
	s_xor_b64 exec, exec, s[6:7]
	s_cbranch_execz .LBB37_1458
.LBB37_3508:
	v_cmp_ne_u16_e32 vcc, 0, v6
	s_andn2_b64 s[4:5], s[4:5], exec
	s_and_b64 s[8:9], vcc, exec
	v_mov_b32_e32 v2, 0
	s_or_b64 s[4:5], s[4:5], s[8:9]
	s_or_b64 exec, exec, s[6:7]
	s_and_saveexec_b64 s[6:7], s[4:5]
	s_cbranch_execnz .LBB37_1459
	s_branch .LBB37_1460
.LBB37_3509:
	s_movk_i32 s4, 0x80
	v_cmp_eq_u16_e32 vcc, s4, v6
	s_mov_b64 s[4:5], -1
                                        ; implicit-def: $sgpr10
	s_and_saveexec_b64 s[8:9], vcc
; %bb.3510:
	s_mov_b32 s10, 0x7f800001
	s_xor_b64 s[4:5], exec, -1
; %bb.3511:
	s_or_b64 exec, exec, s[8:9]
	s_and_b64 s[4:5], s[4:5], exec
                                        ; implicit-def: $vgpr6
	s_or_saveexec_b64 s[6:7], s[6:7]
	v_mov_b32_e32 v10, s10
	s_xor_b64 exec, exec, s[6:7]
	s_cbranch_execz .LBB37_1462
.LBB37_3512:
	v_cmp_ne_u16_e32 vcc, 0, v6
	s_andn2_b64 s[4:5], s[4:5], exec
	s_and_b64 s[8:9], vcc, exec
	v_mov_b32_e32 v10, 0
	s_or_b64 s[4:5], s[4:5], s[8:9]
	s_or_b64 exec, exec, s[6:7]
	s_and_saveexec_b64 s[6:7], s[4:5]
	s_cbranch_execnz .LBB37_1463
	s_branch .LBB37_1464
.LBB37_3513:
	s_movk_i32 s4, 0x80
	v_cmp_eq_u16_sdwa s[12:13], v7, s4 src0_sel:BYTE_3 src1_sel:DWORD
	s_mov_b64 s[4:5], -1
                                        ; implicit-def: $sgpr10
	s_and_saveexec_b64 s[8:9], s[12:13]
; %bb.3514:
	s_mov_b32 s10, 0x7f800001
	s_xor_b64 s[4:5], exec, -1
; %bb.3515:
	s_or_b64 exec, exec, s[8:9]
	s_and_b64 s[4:5], s[4:5], exec
	s_or_saveexec_b64 s[6:7], s[6:7]
	v_mov_b32_e32 v2, s10
	s_xor_b64 exec, exec, s[6:7]
	s_cbranch_execz .LBB37_1466
.LBB37_3516:
	v_mov_b32_e32 v2, 0
	v_cmp_ne_u16_sdwa s[8:9], v7, v2 src0_sel:BYTE_3 src1_sel:DWORD
	s_andn2_b64 s[4:5], s[4:5], exec
	s_and_b64 s[8:9], s[8:9], exec
	s_or_b64 s[4:5], s[4:5], s[8:9]
	s_or_b64 exec, exec, s[6:7]
	s_and_saveexec_b64 s[6:7], s[4:5]
	s_cbranch_execnz .LBB37_1467
	s_branch .LBB37_1468
.LBB37_3517:
	s_movk_i32 s4, 0x80
	v_cmp_eq_u16_sdwa s[12:13], v3, s4 src0_sel:BYTE_3 src1_sel:DWORD
	s_mov_b64 s[4:5], -1
                                        ; implicit-def: $sgpr10
	s_and_saveexec_b64 s[8:9], s[12:13]
; %bb.3518:
	s_mov_b32 s10, 0x7f800001
	s_xor_b64 s[4:5], exec, -1
; %bb.3519:
	s_or_b64 exec, exec, s[8:9]
	s_and_b64 s[4:5], s[4:5], exec
	s_or_saveexec_b64 s[6:7], s[6:7]
	v_mov_b32_e32 v6, s10
	s_xor_b64 exec, exec, s[6:7]
	s_cbranch_execz .LBB37_1470
.LBB37_3520:
	v_mov_b32_e32 v6, 0
	v_cmp_ne_u16_sdwa s[8:9], v3, v6 src0_sel:BYTE_3 src1_sel:DWORD
	s_andn2_b64 s[4:5], s[4:5], exec
	s_and_b64 s[8:9], s[8:9], exec
	s_or_b64 s[4:5], s[4:5], s[8:9]
	s_or_b64 exec, exec, s[6:7]
	s_and_saveexec_b64 s[6:7], s[4:5]
	s_cbranch_execnz .LBB37_1471
	s_branch .LBB37_1472
.LBB37_3521:
	s_movk_i32 s4, 0x80
	v_cmp_eq_u16_sdwa s[12:13], v8, s4 src0_sel:BYTE_0 src1_sel:DWORD
	s_mov_b64 s[4:5], -1
                                        ; implicit-def: $sgpr10
	s_and_saveexec_b64 s[8:9], s[12:13]
; %bb.3522:
	s_mov_b32 s10, 0x7f800001
	s_xor_b64 s[4:5], exec, -1
; %bb.3523:
	s_or_b64 exec, exec, s[8:9]
	s_and_b64 s[4:5], s[4:5], exec
	s_or_saveexec_b64 s[6:7], s[6:7]
	v_mov_b32_e32 v2, s10
	s_xor_b64 exec, exec, s[6:7]
	s_cbranch_execz .LBB37_1474
.LBB37_3524:
	v_mov_b32_e32 v2, 0
	v_cmp_ne_u16_sdwa s[8:9], v8, v2 src0_sel:BYTE_0 src1_sel:DWORD
	s_andn2_b64 s[4:5], s[4:5], exec
	s_and_b64 s[8:9], s[8:9], exec
	s_or_b64 s[4:5], s[4:5], s[8:9]
	s_or_b64 exec, exec, s[6:7]
	s_and_saveexec_b64 s[6:7], s[4:5]
	s_cbranch_execnz .LBB37_1475
	s_branch .LBB37_1476
.LBB37_3525:
	s_movk_i32 s4, 0x80
	v_cmp_eq_u16_sdwa s[12:13], v4, s4 src0_sel:BYTE_0 src1_sel:DWORD
	s_mov_b64 s[4:5], -1
                                        ; implicit-def: $sgpr10
	s_and_saveexec_b64 s[8:9], s[12:13]
; %bb.3526:
	s_mov_b32 s10, 0x7f800001
	s_xor_b64 s[4:5], exec, -1
; %bb.3527:
	s_or_b64 exec, exec, s[8:9]
	s_and_b64 s[4:5], s[4:5], exec
	s_or_saveexec_b64 s[6:7], s[6:7]
	v_mov_b32_e32 v3, s10
	s_xor_b64 exec, exec, s[6:7]
	s_cbranch_execz .LBB37_1478
.LBB37_3528:
	v_mov_b32_e32 v3, 0
	v_cmp_ne_u16_sdwa s[8:9], v4, v3 src0_sel:BYTE_0 src1_sel:DWORD
	s_andn2_b64 s[4:5], s[4:5], exec
	s_and_b64 s[8:9], s[8:9], exec
	s_or_b64 s[4:5], s[4:5], s[8:9]
	s_or_b64 exec, exec, s[6:7]
	s_and_saveexec_b64 s[6:7], s[4:5]
	s_cbranch_execnz .LBB37_1479
	s_branch .LBB37_1480
.LBB37_3529:
	s_movk_i32 s4, 0x80
	v_cmp_eq_u16_sdwa s[12:13], v3, s4 src0_sel:BYTE_0 src1_sel:DWORD
	s_mov_b64 s[4:5], -1
                                        ; implicit-def: $sgpr10
	s_and_saveexec_b64 s[8:9], s[12:13]
; %bb.3530:
	s_mov_b32 s10, 0x7f800001
	s_xor_b64 s[4:5], exec, -1
; %bb.3531:
	s_or_b64 exec, exec, s[8:9]
	s_and_b64 s[4:5], s[4:5], exec
	s_or_saveexec_b64 s[6:7], s[6:7]
	v_mov_b32_e32 v2, s10
	s_xor_b64 exec, exec, s[6:7]
	s_cbranch_execz .LBB37_1482
.LBB37_3532:
	v_mov_b32_e32 v2, 0
	v_cmp_ne_u16_sdwa s[8:9], v3, v2 src0_sel:BYTE_0 src1_sel:DWORD
	s_andn2_b64 s[4:5], s[4:5], exec
	s_and_b64 s[8:9], s[8:9], exec
	s_or_b64 s[4:5], s[4:5], s[8:9]
	s_or_b64 exec, exec, s[6:7]
	s_and_saveexec_b64 s[6:7], s[4:5]
	s_cbranch_execnz .LBB37_1483
	s_branch .LBB37_1484
.LBB37_3533:
	s_movk_i32 s4, 0x80
	v_cmp_eq_u16_sdwa s[12:13], v3, s4 src0_sel:BYTE_0 src1_sel:DWORD
	s_mov_b64 s[4:5], -1
                                        ; implicit-def: $sgpr10
	s_and_saveexec_b64 s[8:9], s[12:13]
; %bb.3534:
	s_mov_b32 s10, 0x7f800001
	s_xor_b64 s[4:5], exec, -1
; %bb.3535:
	s_or_b64 exec, exec, s[8:9]
	s_and_b64 s[4:5], s[4:5], exec
	s_or_saveexec_b64 s[6:7], s[6:7]
	v_mov_b32_e32 v6, s10
	s_xor_b64 exec, exec, s[6:7]
	s_cbranch_execz .LBB37_1486
.LBB37_3536:
	v_mov_b32_e32 v6, 0
	v_cmp_ne_u16_sdwa s[8:9], v3, v6 src0_sel:BYTE_0 src1_sel:DWORD
	s_andn2_b64 s[4:5], s[4:5], exec
	s_and_b64 s[8:9], s[8:9], exec
	s_or_b64 s[4:5], s[4:5], s[8:9]
	s_or_b64 exec, exec, s[6:7]
	s_and_saveexec_b64 s[6:7], s[4:5]
	s_cbranch_execnz .LBB37_1487
	s_branch .LBB37_1488
.LBB37_3537:
	s_movk_i32 s4, 0x80
	v_cmp_eq_u16_e32 vcc, s4, v3
	s_mov_b64 s[4:5], -1
                                        ; implicit-def: $sgpr10
	s_and_saveexec_b64 s[8:9], vcc
; %bb.3538:
	s_mov_b32 s10, 0x7f800001
	s_xor_b64 s[4:5], exec, -1
; %bb.3539:
	s_or_b64 exec, exec, s[8:9]
	s_and_b64 s[4:5], s[4:5], exec
                                        ; implicit-def: $vgpr3
	s_or_saveexec_b64 s[6:7], s[6:7]
	v_mov_b32_e32 v2, s10
	s_xor_b64 exec, exec, s[6:7]
	s_cbranch_execz .LBB37_1490
.LBB37_3540:
	v_cmp_ne_u16_e32 vcc, 0, v3
	s_andn2_b64 s[4:5], s[4:5], exec
	s_and_b64 s[8:9], vcc, exec
	v_mov_b32_e32 v2, 0
	s_or_b64 s[4:5], s[4:5], s[8:9]
	s_or_b64 exec, exec, s[6:7]
	s_and_saveexec_b64 s[6:7], s[4:5]
	s_cbranch_execnz .LBB37_1491
	s_branch .LBB37_1492
.LBB37_3541:
	s_movk_i32 s4, 0x80
	v_cmp_eq_u16_e32 vcc, s4, v3
	s_mov_b64 s[4:5], -1
                                        ; implicit-def: $sgpr10
	s_and_saveexec_b64 s[8:9], vcc
; %bb.3542:
	s_mov_b32 s10, 0x7f800001
	s_xor_b64 s[4:5], exec, -1
; %bb.3543:
	s_or_b64 exec, exec, s[8:9]
	s_and_b64 s[4:5], s[4:5], exec
                                        ; implicit-def: $vgpr3
	s_or_saveexec_b64 s[6:7], s[6:7]
	v_mov_b32_e32 v6, s10
	s_xor_b64 exec, exec, s[6:7]
	s_cbranch_execz .LBB37_1494
.LBB37_3544:
	v_cmp_ne_u16_e32 vcc, 0, v3
	s_andn2_b64 s[4:5], s[4:5], exec
	s_and_b64 s[8:9], vcc, exec
	v_mov_b32_e32 v6, 0
	s_or_b64 s[4:5], s[4:5], s[8:9]
	s_or_b64 exec, exec, s[6:7]
	s_and_saveexec_b64 s[6:7], s[4:5]
	s_cbranch_execnz .LBB37_1495
	s_branch .LBB37_1496
.LBB37_3545:
	s_movk_i32 s4, 0x80
	v_cmp_eq_u16_sdwa s[12:13], v8, s4 src0_sel:BYTE_3 src1_sel:DWORD
	s_mov_b64 s[4:5], -1
                                        ; implicit-def: $sgpr10
	s_and_saveexec_b64 s[8:9], s[12:13]
; %bb.3546:
	s_mov_b32 s10, 0x7f800001
	s_xor_b64 s[4:5], exec, -1
; %bb.3547:
	s_or_b64 exec, exec, s[8:9]
	s_and_b64 s[4:5], s[4:5], exec
	s_or_saveexec_b64 s[6:7], s[6:7]
	v_mov_b32_e32 v2, s10
	s_xor_b64 exec, exec, s[6:7]
	s_cbranch_execz .LBB37_1498
.LBB37_3548:
	v_mov_b32_e32 v2, 0
	v_cmp_ne_u16_sdwa s[8:9], v8, v2 src0_sel:BYTE_3 src1_sel:DWORD
	s_andn2_b64 s[4:5], s[4:5], exec
	s_and_b64 s[8:9], s[8:9], exec
	s_or_b64 s[4:5], s[4:5], s[8:9]
	s_or_b64 exec, exec, s[6:7]
	s_and_saveexec_b64 s[6:7], s[4:5]
	s_cbranch_execnz .LBB37_1499
	s_branch .LBB37_1500
.LBB37_3549:
	s_movk_i32 s4, 0x80
	v_cmp_eq_u16_sdwa s[12:13], v4, s4 src0_sel:BYTE_3 src1_sel:DWORD
	s_mov_b64 s[4:5], -1
                                        ; implicit-def: $sgpr10
	s_and_saveexec_b64 s[8:9], s[12:13]
; %bb.3550:
	s_mov_b32 s10, 0x7f800001
	s_xor_b64 s[4:5], exec, -1
; %bb.3551:
	s_or_b64 exec, exec, s[8:9]
	s_and_b64 s[4:5], s[4:5], exec
	s_or_saveexec_b64 s[6:7], s[6:7]
	v_mov_b32_e32 v3, s10
	s_xor_b64 exec, exec, s[6:7]
	s_cbranch_execz .LBB37_1502
.LBB37_3552:
	v_mov_b32_e32 v3, 0
	v_cmp_ne_u16_sdwa s[8:9], v4, v3 src0_sel:BYTE_3 src1_sel:DWORD
	s_andn2_b64 s[4:5], s[4:5], exec
	s_and_b64 s[8:9], s[8:9], exec
	s_or_b64 s[4:5], s[4:5], s[8:9]
	s_or_b64 exec, exec, s[6:7]
	s_and_saveexec_b64 s[6:7], s[4:5]
	s_cbranch_execnz .LBB37_1503
	s_branch .LBB37_1504
.LBB37_3553:
	s_movk_i32 s4, 0x80
	v_cmp_eq_u16_sdwa s[12:13], v9, s4 src0_sel:BYTE_0 src1_sel:DWORD
	s_mov_b64 s[4:5], -1
                                        ; implicit-def: $sgpr10
	s_and_saveexec_b64 s[8:9], s[12:13]
; %bb.3554:
	s_mov_b32 s10, 0x7f800001
	s_xor_b64 s[4:5], exec, -1
; %bb.3555:
	s_or_b64 exec, exec, s[8:9]
	s_and_b64 s[4:5], s[4:5], exec
	s_or_saveexec_b64 s[6:7], s[6:7]
	v_mov_b32_e32 v2, s10
	s_xor_b64 exec, exec, s[6:7]
	s_cbranch_execz .LBB37_1506
.LBB37_3556:
	v_mov_b32_e32 v2, 0
	v_cmp_ne_u16_sdwa s[8:9], v9, v2 src0_sel:BYTE_0 src1_sel:DWORD
	s_andn2_b64 s[4:5], s[4:5], exec
	s_and_b64 s[8:9], s[8:9], exec
	s_or_b64 s[4:5], s[4:5], s[8:9]
	s_or_b64 exec, exec, s[6:7]
	s_and_saveexec_b64 s[6:7], s[4:5]
	s_cbranch_execnz .LBB37_1507
	s_branch .LBB37_1508
.LBB37_3557:
	s_movk_i32 s4, 0x80
	v_cmp_eq_u16_sdwa s[12:13], v5, s4 src0_sel:BYTE_0 src1_sel:DWORD
	s_mov_b64 s[4:5], -1
                                        ; implicit-def: $sgpr10
	s_and_saveexec_b64 s[8:9], s[12:13]
; %bb.3558:
	s_mov_b32 s10, 0x7f800001
	s_xor_b64 s[4:5], exec, -1
; %bb.3559:
	s_or_b64 exec, exec, s[8:9]
	s_and_b64 s[4:5], s[4:5], exec
	s_or_saveexec_b64 s[6:7], s[6:7]
	v_mov_b32_e32 v3, s10
	s_xor_b64 exec, exec, s[6:7]
	s_cbranch_execz .LBB37_1510
.LBB37_3560:
	v_mov_b32_e32 v3, 0
	v_cmp_ne_u16_sdwa s[8:9], v5, v3 src0_sel:BYTE_0 src1_sel:DWORD
	s_andn2_b64 s[4:5], s[4:5], exec
	s_and_b64 s[8:9], s[8:9], exec
	s_or_b64 s[4:5], s[4:5], s[8:9]
	s_or_b64 exec, exec, s[6:7]
	s_and_saveexec_b64 s[6:7], s[4:5]
	s_cbranch_execnz .LBB37_1511
	s_branch .LBB37_1512
.LBB37_3561:
	s_movk_i32 s4, 0x80
	v_cmp_eq_u16_sdwa s[12:13], v3, s4 src0_sel:BYTE_0 src1_sel:DWORD
	s_mov_b64 s[4:5], -1
                                        ; implicit-def: $sgpr10
	s_and_saveexec_b64 s[8:9], s[12:13]
; %bb.3562:
	s_mov_b32 s10, 0x7f800001
	s_xor_b64 s[4:5], exec, -1
; %bb.3563:
	s_or_b64 exec, exec, s[8:9]
	s_and_b64 s[4:5], s[4:5], exec
	s_or_saveexec_b64 s[6:7], s[6:7]
	v_mov_b32_e32 v2, s10
	s_xor_b64 exec, exec, s[6:7]
	s_cbranch_execz .LBB37_1514
.LBB37_3564:
	v_mov_b32_e32 v2, 0
	v_cmp_ne_u16_sdwa s[8:9], v3, v2 src0_sel:BYTE_0 src1_sel:DWORD
	s_andn2_b64 s[4:5], s[4:5], exec
	s_and_b64 s[8:9], s[8:9], exec
	s_or_b64 s[4:5], s[4:5], s[8:9]
	s_or_b64 exec, exec, s[6:7]
	s_and_saveexec_b64 s[6:7], s[4:5]
	s_cbranch_execnz .LBB37_1515
	s_branch .LBB37_1516
.LBB37_3565:
	s_movk_i32 s4, 0x80
	v_cmp_eq_u16_sdwa s[12:13], v3, s4 src0_sel:BYTE_0 src1_sel:DWORD
	s_mov_b64 s[4:5], -1
                                        ; implicit-def: $sgpr10
	s_and_saveexec_b64 s[8:9], s[12:13]
; %bb.3566:
	s_mov_b32 s10, 0x7f800001
	s_xor_b64 s[4:5], exec, -1
; %bb.3567:
	s_or_b64 exec, exec, s[8:9]
	s_and_b64 s[4:5], s[4:5], exec
	s_or_saveexec_b64 s[6:7], s[6:7]
	v_mov_b32_e32 v4, s10
	s_xor_b64 exec, exec, s[6:7]
	s_cbranch_execz .LBB37_1518
.LBB37_3568:
	v_mov_b32_e32 v4, 0
	v_cmp_ne_u16_sdwa s[8:9], v3, v4 src0_sel:BYTE_0 src1_sel:DWORD
	s_andn2_b64 s[4:5], s[4:5], exec
	s_and_b64 s[8:9], s[8:9], exec
	s_or_b64 s[4:5], s[4:5], s[8:9]
	s_or_b64 exec, exec, s[6:7]
	s_and_saveexec_b64 s[6:7], s[4:5]
	s_cbranch_execnz .LBB37_1519
	s_branch .LBB37_1520
.LBB37_3569:
	s_movk_i32 s4, 0x80
	v_cmp_eq_u16_e32 vcc, s4, v3
	s_mov_b64 s[4:5], -1
                                        ; implicit-def: $sgpr10
	s_and_saveexec_b64 s[8:9], vcc
; %bb.3570:
	s_mov_b32 s10, 0x7f800001
	s_xor_b64 s[4:5], exec, -1
; %bb.3571:
	s_or_b64 exec, exec, s[8:9]
	s_and_b64 s[4:5], s[4:5], exec
                                        ; implicit-def: $vgpr3
	s_or_saveexec_b64 s[6:7], s[6:7]
	v_mov_b32_e32 v2, s10
	s_xor_b64 exec, exec, s[6:7]
	s_cbranch_execz .LBB37_1522
.LBB37_3572:
	v_cmp_ne_u16_e32 vcc, 0, v3
	s_andn2_b64 s[4:5], s[4:5], exec
	s_and_b64 s[8:9], vcc, exec
	v_mov_b32_e32 v2, 0
	s_or_b64 s[4:5], s[4:5], s[8:9]
	s_or_b64 exec, exec, s[6:7]
	s_and_saveexec_b64 s[6:7], s[4:5]
	s_cbranch_execnz .LBB37_1523
	s_branch .LBB37_1524
.LBB37_3573:
	s_movk_i32 s4, 0x80
	v_cmp_eq_u16_e32 vcc, s4, v3
	s_mov_b64 s[4:5], -1
                                        ; implicit-def: $sgpr10
	s_and_saveexec_b64 s[8:9], vcc
; %bb.3574:
	s_mov_b32 s10, 0x7f800001
	s_xor_b64 s[4:5], exec, -1
; %bb.3575:
	s_or_b64 exec, exec, s[8:9]
	s_and_b64 s[4:5], s[4:5], exec
                                        ; implicit-def: $vgpr3
	s_or_saveexec_b64 s[6:7], s[6:7]
	v_mov_b32_e32 v4, s10
	s_xor_b64 exec, exec, s[6:7]
	s_cbranch_execz .LBB37_1526
.LBB37_3576:
	v_cmp_ne_u16_e32 vcc, 0, v3
	s_andn2_b64 s[4:5], s[4:5], exec
	s_and_b64 s[8:9], vcc, exec
	v_mov_b32_e32 v4, 0
	s_or_b64 s[4:5], s[4:5], s[8:9]
	s_or_b64 exec, exec, s[6:7]
	s_and_saveexec_b64 s[6:7], s[4:5]
	s_cbranch_execnz .LBB37_1527
	s_branch .LBB37_1528
.LBB37_3577:
	s_movk_i32 s4, 0x80
	v_cmp_eq_u16_sdwa s[12:13], v9, s4 src0_sel:BYTE_3 src1_sel:DWORD
	s_mov_b64 s[4:5], -1
                                        ; implicit-def: $sgpr10
	s_and_saveexec_b64 s[8:9], s[12:13]
; %bb.3578:
	s_mov_b32 s10, 0x7f800001
	s_xor_b64 s[4:5], exec, -1
; %bb.3579:
	s_or_b64 exec, exec, s[8:9]
	s_and_b64 s[4:5], s[4:5], exec
	s_or_saveexec_b64 s[6:7], s[6:7]
	v_mov_b32_e32 v2, s10
	s_xor_b64 exec, exec, s[6:7]
	s_cbranch_execz .LBB37_1530
.LBB37_3580:
	v_mov_b32_e32 v2, 0
	v_cmp_ne_u16_sdwa s[8:9], v9, v2 src0_sel:BYTE_3 src1_sel:DWORD
	s_andn2_b64 s[4:5], s[4:5], exec
	s_and_b64 s[8:9], s[8:9], exec
	s_or_b64 s[4:5], s[4:5], s[8:9]
	s_or_b64 exec, exec, s[6:7]
	s_and_saveexec_b64 s[6:7], s[4:5]
	s_cbranch_execnz .LBB37_1531
	s_branch .LBB37_1532
.LBB37_3581:
	s_movk_i32 s4, 0x80
	v_cmp_eq_u16_sdwa s[12:13], v5, s4 src0_sel:BYTE_3 src1_sel:DWORD
	s_mov_b64 s[4:5], -1
                                        ; implicit-def: $sgpr10
	s_and_saveexec_b64 s[8:9], s[12:13]
; %bb.3582:
	s_mov_b32 s10, 0x7f800001
	s_xor_b64 s[4:5], exec, -1
; %bb.3583:
	s_or_b64 exec, exec, s[8:9]
	s_and_b64 s[4:5], s[4:5], exec
	s_or_saveexec_b64 s[6:7], s[6:7]
	v_mov_b32_e32 v3, s10
	s_xor_b64 exec, exec, s[6:7]
	s_cbranch_execz .LBB37_1534
.LBB37_3584:
	v_mov_b32_e32 v3, 0
	v_cmp_ne_u16_sdwa s[8:9], v5, v3 src0_sel:BYTE_3 src1_sel:DWORD
	s_andn2_b64 s[4:5], s[4:5], exec
	s_and_b64 s[8:9], s[8:9], exec
	s_or_b64 s[4:5], s[4:5], s[8:9]
	s_or_b64 exec, exec, s[6:7]
	s_and_saveexec_b64 s[6:7], s[4:5]
	s_cbranch_execnz .LBB37_1535
	s_branch .LBB37_1536
.LBB37_3585:
	s_movk_i32 s4, 0x80
	v_cmp_eq_u16_sdwa s[12:13], v14, s4 src0_sel:BYTE_0 src1_sel:DWORD
	s_mov_b64 s[4:5], -1
                                        ; implicit-def: $sgpr10
	s_and_saveexec_b64 s[8:9], s[12:13]
; %bb.3586:
	s_mov_b32 s10, 0x7f800001
	s_xor_b64 s[4:5], exec, -1
; %bb.3587:
	s_or_b64 exec, exec, s[8:9]
	s_and_b64 s[4:5], s[4:5], exec
	s_or_saveexec_b64 s[6:7], s[6:7]
	v_mov_b32_e32 v20, s10
	s_xor_b64 exec, exec, s[6:7]
	s_cbranch_execz .LBB37_1538
.LBB37_3588:
	v_mov_b32_e32 v20, 0
	v_cmp_ne_u16_sdwa s[8:9], v14, v20 src0_sel:BYTE_0 src1_sel:DWORD
	s_andn2_b64 s[4:5], s[4:5], exec
	s_and_b64 s[8:9], s[8:9], exec
	s_or_b64 s[4:5], s[4:5], s[8:9]
	s_or_b64 exec, exec, s[6:7]
	s_and_saveexec_b64 s[6:7], s[4:5]
	s_cbranch_execnz .LBB37_1539
	s_branch .LBB37_1540
.LBB37_3589:
	s_movk_i32 s4, 0x80
	v_cmp_eq_u16_sdwa s[12:13], v10, s4 src0_sel:BYTE_0 src1_sel:DWORD
	s_mov_b64 s[4:5], -1
                                        ; implicit-def: $sgpr10
	s_and_saveexec_b64 s[8:9], s[12:13]
; %bb.3590:
	s_mov_b32 s10, 0x7f800001
	s_xor_b64 s[4:5], exec, -1
; %bb.3591:
	s_or_b64 exec, exec, s[8:9]
	s_and_b64 s[4:5], s[4:5], exec
	s_or_saveexec_b64 s[6:7], s[6:7]
	v_mov_b32_e32 v21, s10
	s_xor_b64 exec, exec, s[6:7]
	s_cbranch_execz .LBB37_1542
.LBB37_3592:
	v_mov_b32_e32 v21, 0
	v_cmp_ne_u16_sdwa s[8:9], v10, v21 src0_sel:BYTE_0 src1_sel:DWORD
	s_andn2_b64 s[4:5], s[4:5], exec
	s_and_b64 s[8:9], s[8:9], exec
	s_or_b64 s[4:5], s[4:5], s[8:9]
	s_or_b64 exec, exec, s[6:7]
	s_and_saveexec_b64 s[6:7], s[4:5]
	s_cbranch_execnz .LBB37_1543
	s_branch .LBB37_1544
.LBB37_3593:
	s_movk_i32 s4, 0x80
	v_cmp_eq_u16_sdwa s[12:13], v21, s4 src0_sel:BYTE_0 src1_sel:DWORD
	s_mov_b64 s[4:5], -1
                                        ; implicit-def: $sgpr10
	s_and_saveexec_b64 s[8:9], s[12:13]
; %bb.3594:
	s_mov_b32 s10, 0x7f800001
	s_xor_b64 s[4:5], exec, -1
; %bb.3595:
	s_or_b64 exec, exec, s[8:9]
	s_and_b64 s[4:5], s[4:5], exec
	s_or_saveexec_b64 s[6:7], s[6:7]
	v_mov_b32_e32 v20, s10
	s_xor_b64 exec, exec, s[6:7]
	s_cbranch_execz .LBB37_1546
.LBB37_3596:
	v_mov_b32_e32 v20, 0
	v_cmp_ne_u16_sdwa s[8:9], v21, v20 src0_sel:BYTE_0 src1_sel:DWORD
	s_andn2_b64 s[4:5], s[4:5], exec
	s_and_b64 s[8:9], s[8:9], exec
	s_or_b64 s[4:5], s[4:5], s[8:9]
	s_or_b64 exec, exec, s[6:7]
	s_and_saveexec_b64 s[6:7], s[4:5]
	s_cbranch_execnz .LBB37_1547
	s_branch .LBB37_1548
.LBB37_3597:
	s_movk_i32 s4, 0x80
	v_cmp_eq_u16_sdwa s[12:13], v21, s4 src0_sel:BYTE_0 src1_sel:DWORD
	s_mov_b64 s[4:5], -1
                                        ; implicit-def: $sgpr10
	s_and_saveexec_b64 s[8:9], s[12:13]
; %bb.3598:
	s_mov_b32 s10, 0x7f800001
	s_xor_b64 s[4:5], exec, -1
; %bb.3599:
	s_or_b64 exec, exec, s[8:9]
	s_and_b64 s[4:5], s[4:5], exec
	s_or_saveexec_b64 s[6:7], s[6:7]
	v_mov_b32_e32 v22, s10
	s_xor_b64 exec, exec, s[6:7]
	s_cbranch_execz .LBB37_1550
.LBB37_3600:
	v_mov_b32_e32 v22, 0
	v_cmp_ne_u16_sdwa s[8:9], v21, v22 src0_sel:BYTE_0 src1_sel:DWORD
	s_andn2_b64 s[4:5], s[4:5], exec
	s_and_b64 s[8:9], s[8:9], exec
	s_or_b64 s[4:5], s[4:5], s[8:9]
	s_or_b64 exec, exec, s[6:7]
	s_and_saveexec_b64 s[6:7], s[4:5]
	s_cbranch_execnz .LBB37_1551
	s_branch .LBB37_1552
.LBB37_3601:
	s_movk_i32 s4, 0x80
	v_cmp_eq_u16_e32 vcc, s4, v21
	s_mov_b64 s[4:5], -1
                                        ; implicit-def: $sgpr10
	s_and_saveexec_b64 s[8:9], vcc
; %bb.3602:
	s_mov_b32 s10, 0x7f800001
	s_xor_b64 s[4:5], exec, -1
; %bb.3603:
	s_or_b64 exec, exec, s[8:9]
	s_and_b64 s[4:5], s[4:5], exec
                                        ; implicit-def: $vgpr21
	s_or_saveexec_b64 s[6:7], s[6:7]
	v_mov_b32_e32 v20, s10
	s_xor_b64 exec, exec, s[6:7]
	s_cbranch_execz .LBB37_1554
.LBB37_3604:
	v_cmp_ne_u16_e32 vcc, 0, v21
	s_andn2_b64 s[4:5], s[4:5], exec
	s_and_b64 s[8:9], vcc, exec
	v_mov_b32_e32 v20, 0
	s_or_b64 s[4:5], s[4:5], s[8:9]
	s_or_b64 exec, exec, s[6:7]
	s_and_saveexec_b64 s[6:7], s[4:5]
	s_cbranch_execnz .LBB37_1555
	s_branch .LBB37_1556
.LBB37_3605:
	s_movk_i32 s4, 0x80
	v_cmp_eq_u16_e32 vcc, s4, v21
	s_mov_b64 s[4:5], -1
                                        ; implicit-def: $sgpr10
	s_and_saveexec_b64 s[8:9], vcc
; %bb.3606:
	s_mov_b32 s10, 0x7f800001
	s_xor_b64 s[4:5], exec, -1
; %bb.3607:
	s_or_b64 exec, exec, s[8:9]
	s_and_b64 s[4:5], s[4:5], exec
                                        ; implicit-def: $vgpr21
	s_or_saveexec_b64 s[6:7], s[6:7]
	v_mov_b32_e32 v22, s10
	s_xor_b64 exec, exec, s[6:7]
	s_cbranch_execz .LBB37_1558
.LBB37_3608:
	v_cmp_ne_u16_e32 vcc, 0, v21
	s_andn2_b64 s[4:5], s[4:5], exec
	s_and_b64 s[8:9], vcc, exec
	v_mov_b32_e32 v22, 0
	s_or_b64 s[4:5], s[4:5], s[8:9]
	s_or_b64 exec, exec, s[6:7]
	s_and_saveexec_b64 s[6:7], s[4:5]
	s_cbranch_execnz .LBB37_1559
	s_branch .LBB37_1560
.LBB37_3609:
	s_movk_i32 s4, 0x80
	v_cmp_eq_u16_sdwa s[12:13], v14, s4 src0_sel:BYTE_3 src1_sel:DWORD
	s_mov_b64 s[4:5], -1
                                        ; implicit-def: $sgpr10
	s_and_saveexec_b64 s[8:9], s[12:13]
; %bb.3610:
	s_mov_b32 s10, 0x7f800001
	s_xor_b64 s[4:5], exec, -1
; %bb.3611:
	s_or_b64 exec, exec, s[8:9]
	s_and_b64 s[4:5], s[4:5], exec
	s_or_saveexec_b64 s[6:7], s[6:7]
	v_mov_b32_e32 v20, s10
	s_xor_b64 exec, exec, s[6:7]
	s_cbranch_execz .LBB37_1562
.LBB37_3612:
	v_mov_b32_e32 v20, 0
	v_cmp_ne_u16_sdwa s[8:9], v14, v20 src0_sel:BYTE_3 src1_sel:DWORD
	s_andn2_b64 s[4:5], s[4:5], exec
	s_and_b64 s[8:9], s[8:9], exec
	s_or_b64 s[4:5], s[4:5], s[8:9]
	s_or_b64 exec, exec, s[6:7]
	s_and_saveexec_b64 s[6:7], s[4:5]
	s_cbranch_execnz .LBB37_1563
	s_branch .LBB37_1564
.LBB37_3613:
	s_movk_i32 s4, 0x80
	v_cmp_eq_u16_sdwa s[12:13], v10, s4 src0_sel:BYTE_3 src1_sel:DWORD
	s_mov_b64 s[4:5], -1
                                        ; implicit-def: $sgpr10
	s_and_saveexec_b64 s[8:9], s[12:13]
; %bb.3614:
	s_mov_b32 s10, 0x7f800001
	s_xor_b64 s[4:5], exec, -1
; %bb.3615:
	s_or_b64 exec, exec, s[8:9]
	s_and_b64 s[4:5], s[4:5], exec
	s_or_saveexec_b64 s[6:7], s[6:7]
	v_mov_b32_e32 v14, s10
	s_xor_b64 exec, exec, s[6:7]
	s_cbranch_execz .LBB37_1566
.LBB37_3616:
	v_mov_b32_e32 v14, 0
	v_cmp_ne_u16_sdwa s[8:9], v10, v14 src0_sel:BYTE_3 src1_sel:DWORD
	s_andn2_b64 s[4:5], s[4:5], exec
	s_and_b64 s[8:9], s[8:9], exec
	s_or_b64 s[4:5], s[4:5], s[8:9]
	s_or_b64 exec, exec, s[6:7]
	s_and_saveexec_b64 s[6:7], s[4:5]
	s_cbranch_execnz .LBB37_1567
	s_branch .LBB37_1568
.LBB37_3617:
	s_movk_i32 s4, 0x80
	v_cmp_eq_u16_sdwa s[12:13], v15, s4 src0_sel:BYTE_0 src1_sel:DWORD
	s_mov_b64 s[4:5], -1
                                        ; implicit-def: $sgpr10
	s_and_saveexec_b64 s[8:9], s[12:13]
; %bb.3618:
	s_mov_b32 s10, 0x7f800001
	s_xor_b64 s[4:5], exec, -1
; %bb.3619:
	s_or_b64 exec, exec, s[8:9]
	s_and_b64 s[4:5], s[4:5], exec
	s_or_saveexec_b64 s[6:7], s[6:7]
	v_mov_b32_e32 v10, s10
	s_xor_b64 exec, exec, s[6:7]
	s_cbranch_execz .LBB37_1570
.LBB37_3620:
	v_mov_b32_e32 v10, 0
	v_cmp_ne_u16_sdwa s[8:9], v15, v10 src0_sel:BYTE_0 src1_sel:DWORD
	s_andn2_b64 s[4:5], s[4:5], exec
	s_and_b64 s[8:9], s[8:9], exec
	s_or_b64 s[4:5], s[4:5], s[8:9]
	s_or_b64 exec, exec, s[6:7]
	s_and_saveexec_b64 s[6:7], s[4:5]
	s_cbranch_execnz .LBB37_1571
	s_branch .LBB37_1572
.LBB37_3621:
	s_movk_i32 s4, 0x80
	v_cmp_eq_u16_sdwa s[12:13], v11, s4 src0_sel:BYTE_0 src1_sel:DWORD
	s_mov_b64 s[4:5], -1
                                        ; implicit-def: $sgpr10
	s_and_saveexec_b64 s[8:9], s[12:13]
; %bb.3622:
	s_mov_b32 s10, 0x7f800001
	s_xor_b64 s[4:5], exec, -1
; %bb.3623:
	s_or_b64 exec, exec, s[8:9]
	s_and_b64 s[4:5], s[4:5], exec
	s_or_saveexec_b64 s[6:7], s[6:7]
	v_mov_b32_e32 v14, s10
	s_xor_b64 exec, exec, s[6:7]
	s_cbranch_execz .LBB37_1574
.LBB37_3624:
	v_mov_b32_e32 v14, 0
	v_cmp_ne_u16_sdwa s[8:9], v11, v14 src0_sel:BYTE_0 src1_sel:DWORD
	s_andn2_b64 s[4:5], s[4:5], exec
	s_and_b64 s[8:9], s[8:9], exec
	s_or_b64 s[4:5], s[4:5], s[8:9]
	s_or_b64 exec, exec, s[6:7]
	s_and_saveexec_b64 s[6:7], s[4:5]
	s_cbranch_execnz .LBB37_1575
	s_branch .LBB37_1576
.LBB37_3625:
	s_movk_i32 s4, 0x80
	v_cmp_eq_u16_sdwa s[12:13], v14, s4 src0_sel:BYTE_0 src1_sel:DWORD
	s_mov_b64 s[4:5], -1
                                        ; implicit-def: $sgpr10
	s_and_saveexec_b64 s[8:9], s[12:13]
; %bb.3626:
	s_mov_b32 s10, 0x7f800001
	s_xor_b64 s[4:5], exec, -1
; %bb.3627:
	s_or_b64 exec, exec, s[8:9]
	s_and_b64 s[4:5], s[4:5], exec
	s_or_saveexec_b64 s[6:7], s[6:7]
	v_mov_b32_e32 v10, s10
	s_xor_b64 exec, exec, s[6:7]
	s_cbranch_execz .LBB37_1578
.LBB37_3628:
	v_mov_b32_e32 v10, 0
	v_cmp_ne_u16_sdwa s[8:9], v14, v10 src0_sel:BYTE_0 src1_sel:DWORD
	s_andn2_b64 s[4:5], s[4:5], exec
	s_and_b64 s[8:9], s[8:9], exec
	s_or_b64 s[4:5], s[4:5], s[8:9]
	s_or_b64 exec, exec, s[6:7]
	s_and_saveexec_b64 s[6:7], s[4:5]
	s_cbranch_execnz .LBB37_1579
	s_branch .LBB37_1580
.LBB37_3629:
	s_movk_i32 s4, 0x80
	v_cmp_eq_u16_sdwa s[12:13], v14, s4 src0_sel:BYTE_0 src1_sel:DWORD
	s_mov_b64 s[4:5], -1
                                        ; implicit-def: $sgpr10
	s_and_saveexec_b64 s[8:9], s[12:13]
; %bb.3630:
	s_mov_b32 s10, 0x7f800001
	s_xor_b64 s[4:5], exec, -1
; %bb.3631:
	s_or_b64 exec, exec, s[8:9]
	s_and_b64 s[4:5], s[4:5], exec
	s_or_saveexec_b64 s[6:7], s[6:7]
	v_mov_b32_e32 v20, s10
	s_xor_b64 exec, exec, s[6:7]
	s_cbranch_execz .LBB37_1582
.LBB37_3632:
	v_mov_b32_e32 v20, 0
	v_cmp_ne_u16_sdwa s[8:9], v14, v20 src0_sel:BYTE_0 src1_sel:DWORD
	s_andn2_b64 s[4:5], s[4:5], exec
	s_and_b64 s[8:9], s[8:9], exec
	s_or_b64 s[4:5], s[4:5], s[8:9]
	s_or_b64 exec, exec, s[6:7]
	s_and_saveexec_b64 s[6:7], s[4:5]
	s_cbranch_execnz .LBB37_1583
	s_branch .LBB37_1584
.LBB37_3633:
	s_movk_i32 s4, 0x80
	v_cmp_eq_u16_e32 vcc, s4, v14
	s_mov_b64 s[4:5], -1
                                        ; implicit-def: $sgpr10
	s_and_saveexec_b64 s[8:9], vcc
; %bb.3634:
	s_mov_b32 s10, 0x7f800001
	s_xor_b64 s[4:5], exec, -1
; %bb.3635:
	s_or_b64 exec, exec, s[8:9]
	s_and_b64 s[4:5], s[4:5], exec
                                        ; implicit-def: $vgpr14
	s_or_saveexec_b64 s[6:7], s[6:7]
	v_mov_b32_e32 v10, s10
	s_xor_b64 exec, exec, s[6:7]
	s_cbranch_execz .LBB37_1586
.LBB37_3636:
	v_cmp_ne_u16_e32 vcc, 0, v14
	s_andn2_b64 s[4:5], s[4:5], exec
	s_and_b64 s[8:9], vcc, exec
	v_mov_b32_e32 v10, 0
	s_or_b64 s[4:5], s[4:5], s[8:9]
	s_or_b64 exec, exec, s[6:7]
	s_and_saveexec_b64 s[6:7], s[4:5]
	s_cbranch_execnz .LBB37_1587
	s_branch .LBB37_1588
.LBB37_3637:
	s_movk_i32 s4, 0x80
	v_cmp_eq_u16_e32 vcc, s4, v14
	s_mov_b64 s[4:5], -1
                                        ; implicit-def: $sgpr10
	s_and_saveexec_b64 s[8:9], vcc
; %bb.3638:
	s_mov_b32 s10, 0x7f800001
	s_xor_b64 s[4:5], exec, -1
; %bb.3639:
	s_or_b64 exec, exec, s[8:9]
	s_and_b64 s[4:5], s[4:5], exec
                                        ; implicit-def: $vgpr14
	s_or_saveexec_b64 s[6:7], s[6:7]
	v_mov_b32_e32 v20, s10
	s_xor_b64 exec, exec, s[6:7]
	s_cbranch_execz .LBB37_1590
.LBB37_3640:
	v_cmp_ne_u16_e32 vcc, 0, v14
	s_andn2_b64 s[4:5], s[4:5], exec
	s_and_b64 s[8:9], vcc, exec
	v_mov_b32_e32 v20, 0
	s_or_b64 s[4:5], s[4:5], s[8:9]
	s_or_b64 exec, exec, s[6:7]
	s_and_saveexec_b64 s[6:7], s[4:5]
	s_cbranch_execnz .LBB37_1591
	s_branch .LBB37_1592
.LBB37_3641:
	s_movk_i32 s4, 0x80
	v_cmp_eq_u16_sdwa s[12:13], v15, s4 src0_sel:BYTE_3 src1_sel:DWORD
	s_mov_b64 s[4:5], -1
                                        ; implicit-def: $sgpr10
	s_and_saveexec_b64 s[8:9], s[12:13]
; %bb.3642:
	s_mov_b32 s10, 0x7f800001
	s_xor_b64 s[4:5], exec, -1
; %bb.3643:
	s_or_b64 exec, exec, s[8:9]
	s_and_b64 s[4:5], s[4:5], exec
	s_or_saveexec_b64 s[6:7], s[6:7]
	v_mov_b32_e32 v10, s10
	s_xor_b64 exec, exec, s[6:7]
	s_cbranch_execz .LBB37_1594
.LBB37_3644:
	v_mov_b32_e32 v10, 0
	v_cmp_ne_u16_sdwa s[8:9], v15, v10 src0_sel:BYTE_3 src1_sel:DWORD
	s_andn2_b64 s[4:5], s[4:5], exec
	s_and_b64 s[8:9], s[8:9], exec
	s_or_b64 s[4:5], s[4:5], s[8:9]
	s_or_b64 exec, exec, s[6:7]
	s_and_saveexec_b64 s[6:7], s[4:5]
	s_cbranch_execnz .LBB37_1595
	s_branch .LBB37_1596
.LBB37_3645:
	s_movk_i32 s4, 0x80
	v_cmp_eq_u16_sdwa s[12:13], v11, s4 src0_sel:BYTE_3 src1_sel:DWORD
	s_mov_b64 s[4:5], -1
                                        ; implicit-def: $sgpr10
	s_and_saveexec_b64 s[8:9], s[12:13]
; %bb.3646:
	s_mov_b32 s10, 0x7f800001
	s_xor_b64 s[4:5], exec, -1
; %bb.3647:
	s_or_b64 exec, exec, s[8:9]
	s_and_b64 s[4:5], s[4:5], exec
	s_or_saveexec_b64 s[6:7], s[6:7]
	v_mov_b32_e32 v14, s10
	s_xor_b64 exec, exec, s[6:7]
	s_cbranch_execz .LBB37_1598
.LBB37_3648:
	v_mov_b32_e32 v14, 0
	v_cmp_ne_u16_sdwa s[8:9], v11, v14 src0_sel:BYTE_3 src1_sel:DWORD
	s_andn2_b64 s[4:5], s[4:5], exec
	s_and_b64 s[8:9], s[8:9], exec
	s_or_b64 s[4:5], s[4:5], s[8:9]
	s_or_b64 exec, exec, s[6:7]
	s_and_saveexec_b64 s[6:7], s[4:5]
	s_cbranch_execnz .LBB37_1599
	s_branch .LBB37_1600
.LBB37_3649:
	s_movk_i32 s4, 0x80
	v_cmp_eq_u16_sdwa s[12:13], v16, s4 src0_sel:BYTE_0 src1_sel:DWORD
	s_mov_b64 s[4:5], -1
                                        ; implicit-def: $sgpr10
	s_and_saveexec_b64 s[8:9], s[12:13]
; %bb.3650:
	s_mov_b32 s10, 0x7f800001
	s_xor_b64 s[4:5], exec, -1
; %bb.3651:
	s_or_b64 exec, exec, s[8:9]
	s_and_b64 s[4:5], s[4:5], exec
	s_or_saveexec_b64 s[6:7], s[6:7]
	v_mov_b32_e32 v10, s10
	s_xor_b64 exec, exec, s[6:7]
	s_cbranch_execz .LBB37_1602
.LBB37_3652:
	v_mov_b32_e32 v10, 0
	v_cmp_ne_u16_sdwa s[8:9], v16, v10 src0_sel:BYTE_0 src1_sel:DWORD
	s_andn2_b64 s[4:5], s[4:5], exec
	s_and_b64 s[8:9], s[8:9], exec
	s_or_b64 s[4:5], s[4:5], s[8:9]
	s_or_b64 exec, exec, s[6:7]
	s_and_saveexec_b64 s[6:7], s[4:5]
	s_cbranch_execnz .LBB37_1603
	s_branch .LBB37_1604
.LBB37_3653:
	s_movk_i32 s4, 0x80
	v_cmp_eq_u16_sdwa s[12:13], v12, s4 src0_sel:BYTE_0 src1_sel:DWORD
	s_mov_b64 s[4:5], -1
                                        ; implicit-def: $sgpr10
	s_and_saveexec_b64 s[8:9], s[12:13]
; %bb.3654:
	s_mov_b32 s10, 0x7f800001
	s_xor_b64 s[4:5], exec, -1
; %bb.3655:
	s_or_b64 exec, exec, s[8:9]
	s_and_b64 s[4:5], s[4:5], exec
	s_or_saveexec_b64 s[6:7], s[6:7]
	v_mov_b32_e32 v11, s10
	s_xor_b64 exec, exec, s[6:7]
	s_cbranch_execz .LBB37_1606
.LBB37_3656:
	v_mov_b32_e32 v11, 0
	v_cmp_ne_u16_sdwa s[8:9], v12, v11 src0_sel:BYTE_0 src1_sel:DWORD
	s_andn2_b64 s[4:5], s[4:5], exec
	s_and_b64 s[8:9], s[8:9], exec
	s_or_b64 s[4:5], s[4:5], s[8:9]
	s_or_b64 exec, exec, s[6:7]
	s_and_saveexec_b64 s[6:7], s[4:5]
	s_cbranch_execnz .LBB37_1607
	s_branch .LBB37_1608
.LBB37_3657:
	s_movk_i32 s4, 0x80
	v_cmp_eq_u16_sdwa s[12:13], v11, s4 src0_sel:BYTE_0 src1_sel:DWORD
	s_mov_b64 s[4:5], -1
                                        ; implicit-def: $sgpr10
	s_and_saveexec_b64 s[8:9], s[12:13]
; %bb.3658:
	s_mov_b32 s10, 0x7f800001
	s_xor_b64 s[4:5], exec, -1
; %bb.3659:
	s_or_b64 exec, exec, s[8:9]
	s_and_b64 s[4:5], s[4:5], exec
	s_or_saveexec_b64 s[6:7], s[6:7]
	v_mov_b32_e32 v10, s10
	s_xor_b64 exec, exec, s[6:7]
	s_cbranch_execz .LBB37_1610
.LBB37_3660:
	v_mov_b32_e32 v10, 0
	v_cmp_ne_u16_sdwa s[8:9], v11, v10 src0_sel:BYTE_0 src1_sel:DWORD
	s_andn2_b64 s[4:5], s[4:5], exec
	s_and_b64 s[8:9], s[8:9], exec
	s_or_b64 s[4:5], s[4:5], s[8:9]
	s_or_b64 exec, exec, s[6:7]
	s_and_saveexec_b64 s[6:7], s[4:5]
	s_cbranch_execnz .LBB37_1611
	s_branch .LBB37_1612
.LBB37_3661:
	s_movk_i32 s4, 0x80
	v_cmp_eq_u16_sdwa s[12:13], v11, s4 src0_sel:BYTE_0 src1_sel:DWORD
	s_mov_b64 s[4:5], -1
                                        ; implicit-def: $sgpr10
	s_and_saveexec_b64 s[8:9], s[12:13]
; %bb.3662:
	s_mov_b32 s10, 0x7f800001
	s_xor_b64 s[4:5], exec, -1
; %bb.3663:
	s_or_b64 exec, exec, s[8:9]
	s_and_b64 s[4:5], s[4:5], exec
	s_or_saveexec_b64 s[6:7], s[6:7]
	v_mov_b32_e32 v14, s10
	s_xor_b64 exec, exec, s[6:7]
	s_cbranch_execz .LBB37_1614
.LBB37_3664:
	v_mov_b32_e32 v14, 0
	v_cmp_ne_u16_sdwa s[8:9], v11, v14 src0_sel:BYTE_0 src1_sel:DWORD
	s_andn2_b64 s[4:5], s[4:5], exec
	s_and_b64 s[8:9], s[8:9], exec
	s_or_b64 s[4:5], s[4:5], s[8:9]
	s_or_b64 exec, exec, s[6:7]
	s_and_saveexec_b64 s[6:7], s[4:5]
	s_cbranch_execnz .LBB37_1615
	s_branch .LBB37_1616
.LBB37_3665:
	s_movk_i32 s4, 0x80
	v_cmp_eq_u16_e32 vcc, s4, v11
	s_mov_b64 s[4:5], -1
                                        ; implicit-def: $sgpr10
	s_and_saveexec_b64 s[8:9], vcc
; %bb.3666:
	s_mov_b32 s10, 0x7f800001
	s_xor_b64 s[4:5], exec, -1
; %bb.3667:
	s_or_b64 exec, exec, s[8:9]
	s_and_b64 s[4:5], s[4:5], exec
                                        ; implicit-def: $vgpr11
	s_or_saveexec_b64 s[6:7], s[6:7]
	v_mov_b32_e32 v10, s10
	s_xor_b64 exec, exec, s[6:7]
	s_cbranch_execz .LBB37_1618
.LBB37_3668:
	v_cmp_ne_u16_e32 vcc, 0, v11
	s_andn2_b64 s[4:5], s[4:5], exec
	s_and_b64 s[8:9], vcc, exec
	v_mov_b32_e32 v10, 0
	s_or_b64 s[4:5], s[4:5], s[8:9]
	s_or_b64 exec, exec, s[6:7]
	s_and_saveexec_b64 s[6:7], s[4:5]
	s_cbranch_execnz .LBB37_1619
	s_branch .LBB37_1620
.LBB37_3669:
	s_movk_i32 s4, 0x80
	v_cmp_eq_u16_e32 vcc, s4, v11
	s_mov_b64 s[4:5], -1
                                        ; implicit-def: $sgpr10
	s_and_saveexec_b64 s[8:9], vcc
; %bb.3670:
	s_mov_b32 s10, 0x7f800001
	s_xor_b64 s[4:5], exec, -1
; %bb.3671:
	s_or_b64 exec, exec, s[8:9]
	s_and_b64 s[4:5], s[4:5], exec
                                        ; implicit-def: $vgpr11
	s_or_saveexec_b64 s[6:7], s[6:7]
	v_mov_b32_e32 v14, s10
	s_xor_b64 exec, exec, s[6:7]
	s_cbranch_execz .LBB37_1622
.LBB37_3672:
	v_cmp_ne_u16_e32 vcc, 0, v11
	s_andn2_b64 s[4:5], s[4:5], exec
	s_and_b64 s[8:9], vcc, exec
	v_mov_b32_e32 v14, 0
	s_or_b64 s[4:5], s[4:5], s[8:9]
	s_or_b64 exec, exec, s[6:7]
	s_and_saveexec_b64 s[6:7], s[4:5]
	s_cbranch_execnz .LBB37_1623
	s_branch .LBB37_1624
.LBB37_3673:
	s_movk_i32 s4, 0x80
	v_cmp_eq_u16_sdwa s[12:13], v16, s4 src0_sel:BYTE_3 src1_sel:DWORD
	s_mov_b64 s[4:5], -1
                                        ; implicit-def: $sgpr10
	s_and_saveexec_b64 s[8:9], s[12:13]
; %bb.3674:
	s_mov_b32 s10, 0x7f800001
	s_xor_b64 s[4:5], exec, -1
; %bb.3675:
	s_or_b64 exec, exec, s[8:9]
	s_and_b64 s[4:5], s[4:5], exec
	s_or_saveexec_b64 s[6:7], s[6:7]
	v_mov_b32_e32 v10, s10
	s_xor_b64 exec, exec, s[6:7]
	s_cbranch_execz .LBB37_1626
.LBB37_3676:
	v_mov_b32_e32 v10, 0
	v_cmp_ne_u16_sdwa s[8:9], v16, v10 src0_sel:BYTE_3 src1_sel:DWORD
	s_andn2_b64 s[4:5], s[4:5], exec
	s_and_b64 s[8:9], s[8:9], exec
	s_or_b64 s[4:5], s[4:5], s[8:9]
	s_or_b64 exec, exec, s[6:7]
	s_and_saveexec_b64 s[6:7], s[4:5]
	s_cbranch_execnz .LBB37_1627
	s_branch .LBB37_1628
.LBB37_3677:
	s_movk_i32 s4, 0x80
	v_cmp_eq_u16_sdwa s[12:13], v12, s4 src0_sel:BYTE_3 src1_sel:DWORD
	s_mov_b64 s[4:5], -1
                                        ; implicit-def: $sgpr10
	s_and_saveexec_b64 s[8:9], s[12:13]
; %bb.3678:
	s_mov_b32 s10, 0x7f800001
	s_xor_b64 s[4:5], exec, -1
; %bb.3679:
	s_or_b64 exec, exec, s[8:9]
	s_and_b64 s[4:5], s[4:5], exec
	s_or_saveexec_b64 s[6:7], s[6:7]
	v_mov_b32_e32 v11, s10
	s_xor_b64 exec, exec, s[6:7]
	s_cbranch_execz .LBB37_1630
.LBB37_3680:
	v_mov_b32_e32 v11, 0
	v_cmp_ne_u16_sdwa s[8:9], v12, v11 src0_sel:BYTE_3 src1_sel:DWORD
	s_andn2_b64 s[4:5], s[4:5], exec
	s_and_b64 s[8:9], s[8:9], exec
	s_or_b64 s[4:5], s[4:5], s[8:9]
	s_or_b64 exec, exec, s[6:7]
	s_and_saveexec_b64 s[6:7], s[4:5]
	s_cbranch_execnz .LBB37_1631
	s_branch .LBB37_1632
.LBB37_3681:
	s_movk_i32 s4, 0x80
	v_cmp_eq_u16_sdwa s[12:13], v17, s4 src0_sel:BYTE_0 src1_sel:DWORD
	s_mov_b64 s[4:5], -1
                                        ; implicit-def: $sgpr10
	s_and_saveexec_b64 s[8:9], s[12:13]
; %bb.3682:
	s_mov_b32 s10, 0x7f800001
	s_xor_b64 s[4:5], exec, -1
; %bb.3683:
	s_or_b64 exec, exec, s[8:9]
	s_and_b64 s[4:5], s[4:5], exec
	s_or_saveexec_b64 s[6:7], s[6:7]
	v_mov_b32_e32 v10, s10
	s_xor_b64 exec, exec, s[6:7]
	s_cbranch_execz .LBB37_1634
.LBB37_3684:
	v_mov_b32_e32 v10, 0
	v_cmp_ne_u16_sdwa s[8:9], v17, v10 src0_sel:BYTE_0 src1_sel:DWORD
	s_andn2_b64 s[4:5], s[4:5], exec
	s_and_b64 s[8:9], s[8:9], exec
	s_or_b64 s[4:5], s[4:5], s[8:9]
	s_or_b64 exec, exec, s[6:7]
	s_and_saveexec_b64 s[6:7], s[4:5]
	s_cbranch_execnz .LBB37_1635
	s_branch .LBB37_1636
.LBB37_3685:
	s_movk_i32 s4, 0x80
	v_cmp_eq_u16_sdwa s[12:13], v13, s4 src0_sel:BYTE_0 src1_sel:DWORD
	s_mov_b64 s[4:5], -1
                                        ; implicit-def: $sgpr10
	s_and_saveexec_b64 s[8:9], s[12:13]
; %bb.3686:
	s_mov_b32 s10, 0x7f800001
	s_xor_b64 s[4:5], exec, -1
; %bb.3687:
	s_or_b64 exec, exec, s[8:9]
	s_and_b64 s[4:5], s[4:5], exec
	s_or_saveexec_b64 s[6:7], s[6:7]
	v_mov_b32_e32 v11, s10
	s_xor_b64 exec, exec, s[6:7]
	s_cbranch_execz .LBB37_1638
.LBB37_3688:
	v_mov_b32_e32 v11, 0
	v_cmp_ne_u16_sdwa s[8:9], v13, v11 src0_sel:BYTE_0 src1_sel:DWORD
	s_andn2_b64 s[4:5], s[4:5], exec
	s_and_b64 s[8:9], s[8:9], exec
	s_or_b64 s[4:5], s[4:5], s[8:9]
	s_or_b64 exec, exec, s[6:7]
	s_and_saveexec_b64 s[6:7], s[4:5]
	s_cbranch_execnz .LBB37_1639
	s_branch .LBB37_1640
.LBB37_3689:
	s_movk_i32 s4, 0x80
	v_cmp_eq_u16_sdwa s[12:13], v11, s4 src0_sel:BYTE_0 src1_sel:DWORD
	s_mov_b64 s[4:5], -1
                                        ; implicit-def: $sgpr10
	s_and_saveexec_b64 s[8:9], s[12:13]
; %bb.3690:
	s_mov_b32 s10, 0x7f800001
	s_xor_b64 s[4:5], exec, -1
; %bb.3691:
	s_or_b64 exec, exec, s[8:9]
	s_and_b64 s[4:5], s[4:5], exec
	s_or_saveexec_b64 s[6:7], s[6:7]
	v_mov_b32_e32 v10, s10
	s_xor_b64 exec, exec, s[6:7]
	s_cbranch_execz .LBB37_1642
.LBB37_3692:
	v_mov_b32_e32 v10, 0
	v_cmp_ne_u16_sdwa s[8:9], v11, v10 src0_sel:BYTE_0 src1_sel:DWORD
	s_andn2_b64 s[4:5], s[4:5], exec
	s_and_b64 s[8:9], s[8:9], exec
	s_or_b64 s[4:5], s[4:5], s[8:9]
	s_or_b64 exec, exec, s[6:7]
	s_and_saveexec_b64 s[6:7], s[4:5]
	s_cbranch_execnz .LBB37_1643
	s_branch .LBB37_1644
.LBB37_3693:
	s_movk_i32 s4, 0x80
	v_cmp_eq_u16_sdwa s[12:13], v11, s4 src0_sel:BYTE_0 src1_sel:DWORD
	s_mov_b64 s[4:5], -1
                                        ; implicit-def: $sgpr10
	s_and_saveexec_b64 s[8:9], s[12:13]
; %bb.3694:
	s_mov_b32 s10, 0x7f800001
	s_xor_b64 s[4:5], exec, -1
; %bb.3695:
	s_or_b64 exec, exec, s[8:9]
	s_and_b64 s[4:5], s[4:5], exec
	s_or_saveexec_b64 s[6:7], s[6:7]
	v_mov_b32_e32 v12, s10
	s_xor_b64 exec, exec, s[6:7]
	s_cbranch_execz .LBB37_1646
.LBB37_3696:
	v_mov_b32_e32 v12, 0
	v_cmp_ne_u16_sdwa s[8:9], v11, v12 src0_sel:BYTE_0 src1_sel:DWORD
	s_andn2_b64 s[4:5], s[4:5], exec
	s_and_b64 s[8:9], s[8:9], exec
	s_or_b64 s[4:5], s[4:5], s[8:9]
	s_or_b64 exec, exec, s[6:7]
	s_and_saveexec_b64 s[6:7], s[4:5]
	s_cbranch_execnz .LBB37_1647
	s_branch .LBB37_1648
.LBB37_3697:
	s_movk_i32 s4, 0x80
	v_cmp_eq_u16_e32 vcc, s4, v11
	s_mov_b64 s[4:5], -1
                                        ; implicit-def: $sgpr10
	s_and_saveexec_b64 s[8:9], vcc
; %bb.3698:
	s_mov_b32 s10, 0x7f800001
	s_xor_b64 s[4:5], exec, -1
; %bb.3699:
	s_or_b64 exec, exec, s[8:9]
	s_and_b64 s[4:5], s[4:5], exec
                                        ; implicit-def: $vgpr11
	s_or_saveexec_b64 s[6:7], s[6:7]
	v_mov_b32_e32 v10, s10
	s_xor_b64 exec, exec, s[6:7]
	s_cbranch_execz .LBB37_1650
.LBB37_3700:
	v_cmp_ne_u16_e32 vcc, 0, v11
	s_andn2_b64 s[4:5], s[4:5], exec
	s_and_b64 s[8:9], vcc, exec
	v_mov_b32_e32 v10, 0
	s_or_b64 s[4:5], s[4:5], s[8:9]
	s_or_b64 exec, exec, s[6:7]
	s_and_saveexec_b64 s[6:7], s[4:5]
	s_cbranch_execnz .LBB37_1651
	s_branch .LBB37_1652
.LBB37_3701:
	s_movk_i32 s4, 0x80
	v_cmp_eq_u16_e32 vcc, s4, v11
	s_mov_b64 s[4:5], -1
                                        ; implicit-def: $sgpr10
	s_and_saveexec_b64 s[8:9], vcc
; %bb.3702:
	s_mov_b32 s10, 0x7f800001
	s_xor_b64 s[4:5], exec, -1
; %bb.3703:
	s_or_b64 exec, exec, s[8:9]
	s_and_b64 s[4:5], s[4:5], exec
                                        ; implicit-def: $vgpr11
	s_or_saveexec_b64 s[6:7], s[6:7]
	v_mov_b32_e32 v12, s10
	s_xor_b64 exec, exec, s[6:7]
	s_cbranch_execz .LBB37_1654
.LBB37_3704:
	v_cmp_ne_u16_e32 vcc, 0, v11
	s_andn2_b64 s[4:5], s[4:5], exec
	s_and_b64 s[8:9], vcc, exec
	v_mov_b32_e32 v12, 0
	s_or_b64 s[4:5], s[4:5], s[8:9]
	s_or_b64 exec, exec, s[6:7]
	s_and_saveexec_b64 s[6:7], s[4:5]
	s_cbranch_execnz .LBB37_1655
	s_branch .LBB37_1656
.LBB37_3705:
	s_movk_i32 s4, 0x80
	v_cmp_eq_u16_sdwa s[12:13], v17, s4 src0_sel:BYTE_3 src1_sel:DWORD
	s_mov_b64 s[4:5], -1
                                        ; implicit-def: $sgpr10
	s_and_saveexec_b64 s[8:9], s[12:13]
; %bb.3706:
	s_mov_b32 s10, 0x7f800001
	s_xor_b64 s[4:5], exec, -1
; %bb.3707:
	s_or_b64 exec, exec, s[8:9]
	s_and_b64 s[4:5], s[4:5], exec
	s_or_saveexec_b64 s[6:7], s[6:7]
	v_mov_b32_e32 v10, s10
	s_xor_b64 exec, exec, s[6:7]
	s_cbranch_execz .LBB37_1658
.LBB37_3708:
	v_mov_b32_e32 v10, 0
	v_cmp_ne_u16_sdwa s[8:9], v17, v10 src0_sel:BYTE_3 src1_sel:DWORD
	s_andn2_b64 s[4:5], s[4:5], exec
	s_and_b64 s[8:9], s[8:9], exec
	s_or_b64 s[4:5], s[4:5], s[8:9]
	s_or_b64 exec, exec, s[6:7]
	s_and_saveexec_b64 s[6:7], s[4:5]
	s_cbranch_execnz .LBB37_1659
	s_branch .LBB37_1660
.LBB37_3709:
	s_movk_i32 s4, 0x80
	v_cmp_eq_u16_sdwa s[12:13], v13, s4 src0_sel:BYTE_3 src1_sel:DWORD
	s_mov_b64 s[4:5], -1
                                        ; implicit-def: $sgpr10
	s_and_saveexec_b64 s[8:9], s[12:13]
; %bb.3710:
	s_mov_b32 s10, 0x7f800001
	s_xor_b64 s[4:5], exec, -1
; %bb.3711:
	s_or_b64 exec, exec, s[8:9]
	s_and_b64 s[4:5], s[4:5], exec
	s_or_saveexec_b64 s[6:7], s[6:7]
	v_mov_b32_e32 v11, s10
	s_xor_b64 exec, exec, s[6:7]
	s_cbranch_execz .LBB37_1662
.LBB37_3712:
	v_mov_b32_e32 v11, 0
	v_cmp_ne_u16_sdwa s[8:9], v13, v11 src0_sel:BYTE_3 src1_sel:DWORD
	s_andn2_b64 s[4:5], s[4:5], exec
	s_and_b64 s[8:9], s[8:9], exec
	s_or_b64 s[4:5], s[4:5], s[8:9]
	s_or_b64 exec, exec, s[6:7]
	s_and_saveexec_b64 s[6:7], s[4:5]
	s_cbranch_execnz .LBB37_1663
	s_branch .LBB37_1664
.LBB37_3713:
	s_movk_i32 s4, 0x80
	v_cmp_eq_u16_sdwa s[12:13], v6, s4 src0_sel:BYTE_0 src1_sel:DWORD
	s_mov_b64 s[4:5], -1
                                        ; implicit-def: $sgpr10
	s_and_saveexec_b64 s[8:9], s[12:13]
; %bb.3714:
	s_mov_b32 s10, 0x7f800001
	s_xor_b64 s[4:5], exec, -1
; %bb.3715:
	s_or_b64 exec, exec, s[8:9]
	s_and_b64 s[4:5], s[4:5], exec
	s_or_saveexec_b64 s[6:7], s[6:7]
	v_mov_b32_e32 v10, s10
	s_xor_b64 exec, exec, s[6:7]
	s_cbranch_execz .LBB37_1666
.LBB37_3716:
	v_mov_b32_e32 v10, 0
	v_cmp_ne_u16_sdwa s[8:9], v6, v10 src0_sel:BYTE_0 src1_sel:DWORD
	s_andn2_b64 s[4:5], s[4:5], exec
	s_and_b64 s[8:9], s[8:9], exec
	s_or_b64 s[4:5], s[4:5], s[8:9]
	s_or_b64 exec, exec, s[6:7]
	s_and_saveexec_b64 s[6:7], s[4:5]
	s_cbranch_execnz .LBB37_1667
	s_branch .LBB37_1668
.LBB37_3717:
	s_movk_i32 s4, 0x80
	v_cmp_eq_u16_sdwa s[12:13], v2, s4 src0_sel:BYTE_0 src1_sel:DWORD
	s_mov_b64 s[4:5], -1
                                        ; implicit-def: $sgpr10
	s_and_saveexec_b64 s[8:9], s[12:13]
; %bb.3718:
	s_mov_b32 s10, 0x7f800001
	s_xor_b64 s[4:5], exec, -1
; %bb.3719:
	s_or_b64 exec, exec, s[8:9]
	s_and_b64 s[4:5], s[4:5], exec
	s_or_saveexec_b64 s[6:7], s[6:7]
	v_mov_b32_e32 v11, s10
	s_xor_b64 exec, exec, s[6:7]
	s_cbranch_execz .LBB37_1670
.LBB37_3720:
	v_mov_b32_e32 v11, 0
	v_cmp_ne_u16_sdwa s[8:9], v2, v11 src0_sel:BYTE_0 src1_sel:DWORD
	s_andn2_b64 s[4:5], s[4:5], exec
	s_and_b64 s[8:9], s[8:9], exec
	s_or_b64 s[4:5], s[4:5], s[8:9]
	s_or_b64 exec, exec, s[6:7]
	s_and_saveexec_b64 s[6:7], s[4:5]
	s_cbranch_execnz .LBB37_1671
	s_branch .LBB37_1672
.LBB37_3721:
	s_movk_i32 s4, 0x80
	v_cmp_eq_u16_sdwa s[12:13], v11, s4 src0_sel:BYTE_0 src1_sel:DWORD
	s_mov_b64 s[4:5], -1
                                        ; implicit-def: $sgpr10
	s_and_saveexec_b64 s[8:9], s[12:13]
; %bb.3722:
	s_mov_b32 s10, 0x7f800001
	s_xor_b64 s[4:5], exec, -1
; %bb.3723:
	s_or_b64 exec, exec, s[8:9]
	s_and_b64 s[4:5], s[4:5], exec
	s_or_saveexec_b64 s[6:7], s[6:7]
	v_mov_b32_e32 v10, s10
	s_xor_b64 exec, exec, s[6:7]
	s_cbranch_execz .LBB37_1674
.LBB37_3724:
	v_mov_b32_e32 v10, 0
	v_cmp_ne_u16_sdwa s[8:9], v11, v10 src0_sel:BYTE_0 src1_sel:DWORD
	s_andn2_b64 s[4:5], s[4:5], exec
	s_and_b64 s[8:9], s[8:9], exec
	s_or_b64 s[4:5], s[4:5], s[8:9]
	s_or_b64 exec, exec, s[6:7]
	s_and_saveexec_b64 s[6:7], s[4:5]
	s_cbranch_execnz .LBB37_1675
	s_branch .LBB37_1676
.LBB37_3725:
	s_movk_i32 s4, 0x80
	v_cmp_eq_u16_sdwa s[12:13], v11, s4 src0_sel:BYTE_0 src1_sel:DWORD
	s_mov_b64 s[4:5], -1
                                        ; implicit-def: $sgpr10
	s_and_saveexec_b64 s[8:9], s[12:13]
; %bb.3726:
	s_mov_b32 s10, 0x7f800001
	s_xor_b64 s[4:5], exec, -1
; %bb.3727:
	s_or_b64 exec, exec, s[8:9]
	s_and_b64 s[4:5], s[4:5], exec
	s_or_saveexec_b64 s[6:7], s[6:7]
	v_mov_b32_e32 v12, s10
	s_xor_b64 exec, exec, s[6:7]
	s_cbranch_execz .LBB37_1678
.LBB37_3728:
	v_mov_b32_e32 v12, 0
	v_cmp_ne_u16_sdwa s[8:9], v11, v12 src0_sel:BYTE_0 src1_sel:DWORD
	s_andn2_b64 s[4:5], s[4:5], exec
	s_and_b64 s[8:9], s[8:9], exec
	s_or_b64 s[4:5], s[4:5], s[8:9]
	s_or_b64 exec, exec, s[6:7]
	s_and_saveexec_b64 s[6:7], s[4:5]
	s_cbranch_execnz .LBB37_1679
	s_branch .LBB37_1680
.LBB37_3729:
	s_movk_i32 s4, 0x80
	v_cmp_eq_u16_e32 vcc, s4, v11
	s_mov_b64 s[4:5], -1
                                        ; implicit-def: $sgpr10
	s_and_saveexec_b64 s[8:9], vcc
; %bb.3730:
	s_mov_b32 s10, 0x7f800001
	s_xor_b64 s[4:5], exec, -1
; %bb.3731:
	s_or_b64 exec, exec, s[8:9]
	s_and_b64 s[4:5], s[4:5], exec
                                        ; implicit-def: $vgpr11
	s_or_saveexec_b64 s[6:7], s[6:7]
	v_mov_b32_e32 v10, s10
	s_xor_b64 exec, exec, s[6:7]
	s_cbranch_execz .LBB37_1682
.LBB37_3732:
	v_cmp_ne_u16_e32 vcc, 0, v11
	s_andn2_b64 s[4:5], s[4:5], exec
	s_and_b64 s[8:9], vcc, exec
	v_mov_b32_e32 v10, 0
	s_or_b64 s[4:5], s[4:5], s[8:9]
	s_or_b64 exec, exec, s[6:7]
	s_and_saveexec_b64 s[6:7], s[4:5]
	s_cbranch_execnz .LBB37_1683
	s_branch .LBB37_1684
.LBB37_3733:
	s_movk_i32 s4, 0x80
	v_cmp_eq_u16_e32 vcc, s4, v11
	s_mov_b64 s[4:5], -1
                                        ; implicit-def: $sgpr10
	s_and_saveexec_b64 s[8:9], vcc
; %bb.3734:
	s_mov_b32 s10, 0x7f800001
	s_xor_b64 s[4:5], exec, -1
; %bb.3735:
	s_or_b64 exec, exec, s[8:9]
	s_and_b64 s[4:5], s[4:5], exec
                                        ; implicit-def: $vgpr11
	s_or_saveexec_b64 s[6:7], s[6:7]
	v_mov_b32_e32 v12, s10
	s_xor_b64 exec, exec, s[6:7]
	s_cbranch_execz .LBB37_1686
.LBB37_3736:
	v_cmp_ne_u16_e32 vcc, 0, v11
	s_andn2_b64 s[4:5], s[4:5], exec
	s_and_b64 s[8:9], vcc, exec
	v_mov_b32_e32 v12, 0
	s_or_b64 s[4:5], s[4:5], s[8:9]
	s_or_b64 exec, exec, s[6:7]
	s_and_saveexec_b64 s[6:7], s[4:5]
	s_cbranch_execnz .LBB37_1687
	s_branch .LBB37_1688
.LBB37_3737:
	s_movk_i32 s4, 0x80
	v_cmp_eq_u16_sdwa s[12:13], v6, s4 src0_sel:BYTE_3 src1_sel:DWORD
	s_mov_b64 s[4:5], -1
                                        ; implicit-def: $sgpr10
	s_and_saveexec_b64 s[8:9], s[12:13]
; %bb.3738:
	s_mov_b32 s10, 0x7f800001
	s_xor_b64 s[4:5], exec, -1
; %bb.3739:
	s_or_b64 exec, exec, s[8:9]
	s_and_b64 s[4:5], s[4:5], exec
	s_or_saveexec_b64 s[6:7], s[6:7]
	v_mov_b32_e32 v10, s10
	s_xor_b64 exec, exec, s[6:7]
	s_cbranch_execz .LBB37_1690
.LBB37_3740:
	v_mov_b32_e32 v10, 0
	v_cmp_ne_u16_sdwa s[8:9], v6, v10 src0_sel:BYTE_3 src1_sel:DWORD
	s_andn2_b64 s[4:5], s[4:5], exec
	s_and_b64 s[8:9], s[8:9], exec
	s_or_b64 s[4:5], s[4:5], s[8:9]
	s_or_b64 exec, exec, s[6:7]
	s_and_saveexec_b64 s[6:7], s[4:5]
	s_cbranch_execnz .LBB37_1691
	s_branch .LBB37_1692
.LBB37_3741:
	s_movk_i32 s4, 0x80
	v_cmp_eq_u16_sdwa s[12:13], v2, s4 src0_sel:BYTE_3 src1_sel:DWORD
	s_mov_b64 s[4:5], -1
                                        ; implicit-def: $sgpr10
	s_and_saveexec_b64 s[8:9], s[12:13]
; %bb.3742:
	s_mov_b32 s10, 0x7f800001
	s_xor_b64 s[4:5], exec, -1
; %bb.3743:
	s_or_b64 exec, exec, s[8:9]
	s_and_b64 s[4:5], s[4:5], exec
	s_or_saveexec_b64 s[6:7], s[6:7]
	v_mov_b32_e32 v6, s10
	s_xor_b64 exec, exec, s[6:7]
	s_cbranch_execz .LBB37_1694
.LBB37_3744:
	v_mov_b32_e32 v6, 0
	v_cmp_ne_u16_sdwa s[8:9], v2, v6 src0_sel:BYTE_3 src1_sel:DWORD
	s_andn2_b64 s[4:5], s[4:5], exec
	s_and_b64 s[8:9], s[8:9], exec
	s_or_b64 s[4:5], s[4:5], s[8:9]
	s_or_b64 exec, exec, s[6:7]
	s_and_saveexec_b64 s[6:7], s[4:5]
	s_cbranch_execnz .LBB37_1695
	s_branch .LBB37_1696
.LBB37_3745:
	s_movk_i32 s4, 0x80
	v_cmp_eq_u16_sdwa s[12:13], v7, s4 src0_sel:BYTE_0 src1_sel:DWORD
	s_mov_b64 s[4:5], -1
                                        ; implicit-def: $sgpr10
	s_and_saveexec_b64 s[8:9], s[12:13]
; %bb.3746:
	s_mov_b32 s10, 0x7f800001
	s_xor_b64 s[4:5], exec, -1
; %bb.3747:
	s_or_b64 exec, exec, s[8:9]
	s_and_b64 s[4:5], s[4:5], exec
	s_or_saveexec_b64 s[6:7], s[6:7]
	v_mov_b32_e32 v2, s10
	s_xor_b64 exec, exec, s[6:7]
	s_cbranch_execz .LBB37_1698
.LBB37_3748:
	v_mov_b32_e32 v2, 0
	v_cmp_ne_u16_sdwa s[8:9], v7, v2 src0_sel:BYTE_0 src1_sel:DWORD
	s_andn2_b64 s[4:5], s[4:5], exec
	s_and_b64 s[8:9], s[8:9], exec
	s_or_b64 s[4:5], s[4:5], s[8:9]
	s_or_b64 exec, exec, s[6:7]
	s_and_saveexec_b64 s[6:7], s[4:5]
	s_cbranch_execnz .LBB37_1699
	s_branch .LBB37_1700
.LBB37_3749:
	s_movk_i32 s4, 0x80
	v_cmp_eq_u16_sdwa s[12:13], v3, s4 src0_sel:BYTE_0 src1_sel:DWORD
	s_mov_b64 s[4:5], -1
                                        ; implicit-def: $sgpr10
	s_and_saveexec_b64 s[8:9], s[12:13]
; %bb.3750:
	s_mov_b32 s10, 0x7f800001
	s_xor_b64 s[4:5], exec, -1
; %bb.3751:
	s_or_b64 exec, exec, s[8:9]
	s_and_b64 s[4:5], s[4:5], exec
	s_or_saveexec_b64 s[6:7], s[6:7]
	v_mov_b32_e32 v6, s10
	s_xor_b64 exec, exec, s[6:7]
	s_cbranch_execz .LBB37_1702
.LBB37_3752:
	v_mov_b32_e32 v6, 0
	v_cmp_ne_u16_sdwa s[8:9], v3, v6 src0_sel:BYTE_0 src1_sel:DWORD
	s_andn2_b64 s[4:5], s[4:5], exec
	s_and_b64 s[8:9], s[8:9], exec
	s_or_b64 s[4:5], s[4:5], s[8:9]
	s_or_b64 exec, exec, s[6:7]
	s_and_saveexec_b64 s[6:7], s[4:5]
	s_cbranch_execnz .LBB37_1703
	s_branch .LBB37_1704
.LBB37_3753:
	s_movk_i32 s4, 0x80
	v_cmp_eq_u16_sdwa s[12:13], v6, s4 src0_sel:BYTE_0 src1_sel:DWORD
	s_mov_b64 s[4:5], -1
                                        ; implicit-def: $sgpr10
	s_and_saveexec_b64 s[8:9], s[12:13]
; %bb.3754:
	s_mov_b32 s10, 0x7f800001
	s_xor_b64 s[4:5], exec, -1
; %bb.3755:
	s_or_b64 exec, exec, s[8:9]
	s_and_b64 s[4:5], s[4:5], exec
	s_or_saveexec_b64 s[6:7], s[6:7]
	v_mov_b32_e32 v2, s10
	s_xor_b64 exec, exec, s[6:7]
	s_cbranch_execz .LBB37_1706
.LBB37_3756:
	v_mov_b32_e32 v2, 0
	v_cmp_ne_u16_sdwa s[8:9], v6, v2 src0_sel:BYTE_0 src1_sel:DWORD
	s_andn2_b64 s[4:5], s[4:5], exec
	s_and_b64 s[8:9], s[8:9], exec
	s_or_b64 s[4:5], s[4:5], s[8:9]
	s_or_b64 exec, exec, s[6:7]
	s_and_saveexec_b64 s[6:7], s[4:5]
	s_cbranch_execnz .LBB37_1707
	s_branch .LBB37_1708
.LBB37_3757:
	s_movk_i32 s4, 0x80
	v_cmp_eq_u16_sdwa s[12:13], v6, s4 src0_sel:BYTE_0 src1_sel:DWORD
	s_mov_b64 s[4:5], -1
                                        ; implicit-def: $sgpr10
	s_and_saveexec_b64 s[8:9], s[12:13]
; %bb.3758:
	s_mov_b32 s10, 0x7f800001
	s_xor_b64 s[4:5], exec, -1
; %bb.3759:
	s_or_b64 exec, exec, s[8:9]
	s_and_b64 s[4:5], s[4:5], exec
	s_or_saveexec_b64 s[6:7], s[6:7]
	v_mov_b32_e32 v10, s10
	s_xor_b64 exec, exec, s[6:7]
	s_cbranch_execz .LBB37_1710
.LBB37_3760:
	v_mov_b32_e32 v10, 0
	v_cmp_ne_u16_sdwa s[8:9], v6, v10 src0_sel:BYTE_0 src1_sel:DWORD
	s_andn2_b64 s[4:5], s[4:5], exec
	s_and_b64 s[8:9], s[8:9], exec
	s_or_b64 s[4:5], s[4:5], s[8:9]
	s_or_b64 exec, exec, s[6:7]
	s_and_saveexec_b64 s[6:7], s[4:5]
	s_cbranch_execnz .LBB37_1711
	s_branch .LBB37_1712
.LBB37_3761:
	s_movk_i32 s4, 0x80
	v_cmp_eq_u16_e32 vcc, s4, v6
	s_mov_b64 s[4:5], -1
                                        ; implicit-def: $sgpr10
	s_and_saveexec_b64 s[8:9], vcc
; %bb.3762:
	s_mov_b32 s10, 0x7f800001
	s_xor_b64 s[4:5], exec, -1
; %bb.3763:
	s_or_b64 exec, exec, s[8:9]
	s_and_b64 s[4:5], s[4:5], exec
                                        ; implicit-def: $vgpr6
	s_or_saveexec_b64 s[6:7], s[6:7]
	v_mov_b32_e32 v2, s10
	s_xor_b64 exec, exec, s[6:7]
	s_cbranch_execz .LBB37_1714
.LBB37_3764:
	v_cmp_ne_u16_e32 vcc, 0, v6
	s_andn2_b64 s[4:5], s[4:5], exec
	s_and_b64 s[8:9], vcc, exec
	v_mov_b32_e32 v2, 0
	s_or_b64 s[4:5], s[4:5], s[8:9]
	s_or_b64 exec, exec, s[6:7]
	s_and_saveexec_b64 s[6:7], s[4:5]
	s_cbranch_execnz .LBB37_1715
	s_branch .LBB37_1716
.LBB37_3765:
	s_movk_i32 s4, 0x80
	v_cmp_eq_u16_e32 vcc, s4, v6
	s_mov_b64 s[4:5], -1
                                        ; implicit-def: $sgpr10
	s_and_saveexec_b64 s[8:9], vcc
; %bb.3766:
	s_mov_b32 s10, 0x7f800001
	s_xor_b64 s[4:5], exec, -1
; %bb.3767:
	s_or_b64 exec, exec, s[8:9]
	s_and_b64 s[4:5], s[4:5], exec
                                        ; implicit-def: $vgpr6
	s_or_saveexec_b64 s[6:7], s[6:7]
	v_mov_b32_e32 v10, s10
	s_xor_b64 exec, exec, s[6:7]
	s_cbranch_execz .LBB37_1718
.LBB37_3768:
	v_cmp_ne_u16_e32 vcc, 0, v6
	s_andn2_b64 s[4:5], s[4:5], exec
	s_and_b64 s[8:9], vcc, exec
	v_mov_b32_e32 v10, 0
	s_or_b64 s[4:5], s[4:5], s[8:9]
	s_or_b64 exec, exec, s[6:7]
	s_and_saveexec_b64 s[6:7], s[4:5]
	s_cbranch_execnz .LBB37_1719
	s_branch .LBB37_1720
.LBB37_3769:
	s_movk_i32 s4, 0x80
	v_cmp_eq_u16_sdwa s[12:13], v7, s4 src0_sel:BYTE_3 src1_sel:DWORD
	s_mov_b64 s[4:5], -1
                                        ; implicit-def: $sgpr10
	s_and_saveexec_b64 s[8:9], s[12:13]
; %bb.3770:
	s_mov_b32 s10, 0x7f800001
	s_xor_b64 s[4:5], exec, -1
; %bb.3771:
	s_or_b64 exec, exec, s[8:9]
	s_and_b64 s[4:5], s[4:5], exec
	s_or_saveexec_b64 s[6:7], s[6:7]
	v_mov_b32_e32 v2, s10
	s_xor_b64 exec, exec, s[6:7]
	s_cbranch_execz .LBB37_1722
.LBB37_3772:
	v_mov_b32_e32 v2, 0
	v_cmp_ne_u16_sdwa s[8:9], v7, v2 src0_sel:BYTE_3 src1_sel:DWORD
	s_andn2_b64 s[4:5], s[4:5], exec
	s_and_b64 s[8:9], s[8:9], exec
	s_or_b64 s[4:5], s[4:5], s[8:9]
	s_or_b64 exec, exec, s[6:7]
	s_and_saveexec_b64 s[6:7], s[4:5]
	s_cbranch_execnz .LBB37_1723
	s_branch .LBB37_1724
.LBB37_3773:
	s_movk_i32 s4, 0x80
	v_cmp_eq_u16_sdwa s[12:13], v3, s4 src0_sel:BYTE_3 src1_sel:DWORD
	s_mov_b64 s[4:5], -1
                                        ; implicit-def: $sgpr10
	s_and_saveexec_b64 s[8:9], s[12:13]
; %bb.3774:
	s_mov_b32 s10, 0x7f800001
	s_xor_b64 s[4:5], exec, -1
; %bb.3775:
	s_or_b64 exec, exec, s[8:9]
	s_and_b64 s[4:5], s[4:5], exec
	s_or_saveexec_b64 s[6:7], s[6:7]
	v_mov_b32_e32 v6, s10
	s_xor_b64 exec, exec, s[6:7]
	s_cbranch_execz .LBB37_1726
.LBB37_3776:
	v_mov_b32_e32 v6, 0
	v_cmp_ne_u16_sdwa s[8:9], v3, v6 src0_sel:BYTE_3 src1_sel:DWORD
	s_andn2_b64 s[4:5], s[4:5], exec
	s_and_b64 s[8:9], s[8:9], exec
	s_or_b64 s[4:5], s[4:5], s[8:9]
	s_or_b64 exec, exec, s[6:7]
	s_and_saveexec_b64 s[6:7], s[4:5]
	s_cbranch_execnz .LBB37_1727
	s_branch .LBB37_1728
.LBB37_3777:
	s_movk_i32 s4, 0x80
	v_cmp_eq_u16_sdwa s[12:13], v8, s4 src0_sel:BYTE_0 src1_sel:DWORD
	s_mov_b64 s[4:5], -1
                                        ; implicit-def: $sgpr10
	s_and_saveexec_b64 s[8:9], s[12:13]
; %bb.3778:
	s_mov_b32 s10, 0x7f800001
	s_xor_b64 s[4:5], exec, -1
; %bb.3779:
	s_or_b64 exec, exec, s[8:9]
	s_and_b64 s[4:5], s[4:5], exec
	s_or_saveexec_b64 s[6:7], s[6:7]
	v_mov_b32_e32 v2, s10
	s_xor_b64 exec, exec, s[6:7]
	s_cbranch_execz .LBB37_1730
.LBB37_3780:
	v_mov_b32_e32 v2, 0
	v_cmp_ne_u16_sdwa s[8:9], v8, v2 src0_sel:BYTE_0 src1_sel:DWORD
	s_andn2_b64 s[4:5], s[4:5], exec
	s_and_b64 s[8:9], s[8:9], exec
	s_or_b64 s[4:5], s[4:5], s[8:9]
	s_or_b64 exec, exec, s[6:7]
	s_and_saveexec_b64 s[6:7], s[4:5]
	s_cbranch_execnz .LBB37_1731
	s_branch .LBB37_1732
.LBB37_3781:
	s_movk_i32 s4, 0x80
	v_cmp_eq_u16_sdwa s[12:13], v4, s4 src0_sel:BYTE_0 src1_sel:DWORD
	s_mov_b64 s[4:5], -1
                                        ; implicit-def: $sgpr10
	s_and_saveexec_b64 s[8:9], s[12:13]
; %bb.3782:
	s_mov_b32 s10, 0x7f800001
	s_xor_b64 s[4:5], exec, -1
; %bb.3783:
	s_or_b64 exec, exec, s[8:9]
	s_and_b64 s[4:5], s[4:5], exec
	s_or_saveexec_b64 s[6:7], s[6:7]
	v_mov_b32_e32 v3, s10
	s_xor_b64 exec, exec, s[6:7]
	s_cbranch_execz .LBB37_1734
.LBB37_3784:
	v_mov_b32_e32 v3, 0
	v_cmp_ne_u16_sdwa s[8:9], v4, v3 src0_sel:BYTE_0 src1_sel:DWORD
	s_andn2_b64 s[4:5], s[4:5], exec
	s_and_b64 s[8:9], s[8:9], exec
	s_or_b64 s[4:5], s[4:5], s[8:9]
	s_or_b64 exec, exec, s[6:7]
	s_and_saveexec_b64 s[6:7], s[4:5]
	s_cbranch_execnz .LBB37_1735
	s_branch .LBB37_1736
.LBB37_3785:
	s_movk_i32 s4, 0x80
	v_cmp_eq_u16_sdwa s[12:13], v3, s4 src0_sel:BYTE_0 src1_sel:DWORD
	s_mov_b64 s[4:5], -1
                                        ; implicit-def: $sgpr10
	s_and_saveexec_b64 s[8:9], s[12:13]
; %bb.3786:
	s_mov_b32 s10, 0x7f800001
	s_xor_b64 s[4:5], exec, -1
; %bb.3787:
	s_or_b64 exec, exec, s[8:9]
	s_and_b64 s[4:5], s[4:5], exec
	s_or_saveexec_b64 s[6:7], s[6:7]
	v_mov_b32_e32 v2, s10
	s_xor_b64 exec, exec, s[6:7]
	s_cbranch_execz .LBB37_1738
.LBB37_3788:
	v_mov_b32_e32 v2, 0
	v_cmp_ne_u16_sdwa s[8:9], v3, v2 src0_sel:BYTE_0 src1_sel:DWORD
	s_andn2_b64 s[4:5], s[4:5], exec
	s_and_b64 s[8:9], s[8:9], exec
	s_or_b64 s[4:5], s[4:5], s[8:9]
	s_or_b64 exec, exec, s[6:7]
	s_and_saveexec_b64 s[6:7], s[4:5]
	s_cbranch_execnz .LBB37_1739
	s_branch .LBB37_1740
.LBB37_3789:
	s_movk_i32 s4, 0x80
	v_cmp_eq_u16_sdwa s[12:13], v3, s4 src0_sel:BYTE_0 src1_sel:DWORD
	s_mov_b64 s[4:5], -1
                                        ; implicit-def: $sgpr10
	s_and_saveexec_b64 s[8:9], s[12:13]
; %bb.3790:
	s_mov_b32 s10, 0x7f800001
	s_xor_b64 s[4:5], exec, -1
; %bb.3791:
	s_or_b64 exec, exec, s[8:9]
	s_and_b64 s[4:5], s[4:5], exec
	s_or_saveexec_b64 s[6:7], s[6:7]
	v_mov_b32_e32 v6, s10
	s_xor_b64 exec, exec, s[6:7]
	s_cbranch_execz .LBB37_1742
.LBB37_3792:
	v_mov_b32_e32 v6, 0
	v_cmp_ne_u16_sdwa s[8:9], v3, v6 src0_sel:BYTE_0 src1_sel:DWORD
	s_andn2_b64 s[4:5], s[4:5], exec
	s_and_b64 s[8:9], s[8:9], exec
	s_or_b64 s[4:5], s[4:5], s[8:9]
	s_or_b64 exec, exec, s[6:7]
	s_and_saveexec_b64 s[6:7], s[4:5]
	s_cbranch_execnz .LBB37_1743
	s_branch .LBB37_1744
.LBB37_3793:
	s_movk_i32 s4, 0x80
	v_cmp_eq_u16_e32 vcc, s4, v3
	s_mov_b64 s[4:5], -1
                                        ; implicit-def: $sgpr10
	s_and_saveexec_b64 s[8:9], vcc
; %bb.3794:
	s_mov_b32 s10, 0x7f800001
	s_xor_b64 s[4:5], exec, -1
; %bb.3795:
	s_or_b64 exec, exec, s[8:9]
	s_and_b64 s[4:5], s[4:5], exec
                                        ; implicit-def: $vgpr3
	s_or_saveexec_b64 s[6:7], s[6:7]
	v_mov_b32_e32 v2, s10
	s_xor_b64 exec, exec, s[6:7]
	s_cbranch_execz .LBB37_1746
.LBB37_3796:
	v_cmp_ne_u16_e32 vcc, 0, v3
	s_andn2_b64 s[4:5], s[4:5], exec
	s_and_b64 s[8:9], vcc, exec
	v_mov_b32_e32 v2, 0
	s_or_b64 s[4:5], s[4:5], s[8:9]
	s_or_b64 exec, exec, s[6:7]
	s_and_saveexec_b64 s[6:7], s[4:5]
	s_cbranch_execnz .LBB37_1747
	s_branch .LBB37_1748
.LBB37_3797:
	s_movk_i32 s4, 0x80
	v_cmp_eq_u16_e32 vcc, s4, v3
	s_mov_b64 s[4:5], -1
                                        ; implicit-def: $sgpr10
	s_and_saveexec_b64 s[8:9], vcc
; %bb.3798:
	s_mov_b32 s10, 0x7f800001
	s_xor_b64 s[4:5], exec, -1
; %bb.3799:
	s_or_b64 exec, exec, s[8:9]
	s_and_b64 s[4:5], s[4:5], exec
                                        ; implicit-def: $vgpr3
	s_or_saveexec_b64 s[6:7], s[6:7]
	v_mov_b32_e32 v6, s10
	s_xor_b64 exec, exec, s[6:7]
	s_cbranch_execz .LBB37_1750
.LBB37_3800:
	v_cmp_ne_u16_e32 vcc, 0, v3
	s_andn2_b64 s[4:5], s[4:5], exec
	s_and_b64 s[8:9], vcc, exec
	v_mov_b32_e32 v6, 0
	s_or_b64 s[4:5], s[4:5], s[8:9]
	s_or_b64 exec, exec, s[6:7]
	s_and_saveexec_b64 s[6:7], s[4:5]
	s_cbranch_execnz .LBB37_1751
	s_branch .LBB37_1752
.LBB37_3801:
	s_movk_i32 s4, 0x80
	v_cmp_eq_u16_sdwa s[12:13], v8, s4 src0_sel:BYTE_3 src1_sel:DWORD
	s_mov_b64 s[4:5], -1
                                        ; implicit-def: $sgpr10
	s_and_saveexec_b64 s[8:9], s[12:13]
; %bb.3802:
	s_mov_b32 s10, 0x7f800001
	s_xor_b64 s[4:5], exec, -1
; %bb.3803:
	s_or_b64 exec, exec, s[8:9]
	s_and_b64 s[4:5], s[4:5], exec
	s_or_saveexec_b64 s[6:7], s[6:7]
	v_mov_b32_e32 v2, s10
	s_xor_b64 exec, exec, s[6:7]
	s_cbranch_execz .LBB37_1754
.LBB37_3804:
	v_mov_b32_e32 v2, 0
	v_cmp_ne_u16_sdwa s[8:9], v8, v2 src0_sel:BYTE_3 src1_sel:DWORD
	s_andn2_b64 s[4:5], s[4:5], exec
	s_and_b64 s[8:9], s[8:9], exec
	s_or_b64 s[4:5], s[4:5], s[8:9]
	s_or_b64 exec, exec, s[6:7]
	s_and_saveexec_b64 s[6:7], s[4:5]
	s_cbranch_execnz .LBB37_1755
	s_branch .LBB37_1756
.LBB37_3805:
	s_movk_i32 s4, 0x80
	v_cmp_eq_u16_sdwa s[12:13], v4, s4 src0_sel:BYTE_3 src1_sel:DWORD
	s_mov_b64 s[4:5], -1
                                        ; implicit-def: $sgpr10
	s_and_saveexec_b64 s[8:9], s[12:13]
; %bb.3806:
	s_mov_b32 s10, 0x7f800001
	s_xor_b64 s[4:5], exec, -1
; %bb.3807:
	s_or_b64 exec, exec, s[8:9]
	s_and_b64 s[4:5], s[4:5], exec
	s_or_saveexec_b64 s[6:7], s[6:7]
	v_mov_b32_e32 v3, s10
	s_xor_b64 exec, exec, s[6:7]
	s_cbranch_execz .LBB37_1758
.LBB37_3808:
	v_mov_b32_e32 v3, 0
	v_cmp_ne_u16_sdwa s[8:9], v4, v3 src0_sel:BYTE_3 src1_sel:DWORD
	s_andn2_b64 s[4:5], s[4:5], exec
	s_and_b64 s[8:9], s[8:9], exec
	s_or_b64 s[4:5], s[4:5], s[8:9]
	s_or_b64 exec, exec, s[6:7]
	s_and_saveexec_b64 s[6:7], s[4:5]
	s_cbranch_execnz .LBB37_1759
	s_branch .LBB37_1760
.LBB37_3809:
	s_movk_i32 s4, 0x80
	v_cmp_eq_u16_sdwa s[12:13], v9, s4 src0_sel:BYTE_0 src1_sel:DWORD
	s_mov_b64 s[4:5], -1
                                        ; implicit-def: $sgpr10
	s_and_saveexec_b64 s[8:9], s[12:13]
; %bb.3810:
	s_mov_b32 s10, 0x7f800001
	s_xor_b64 s[4:5], exec, -1
; %bb.3811:
	s_or_b64 exec, exec, s[8:9]
	s_and_b64 s[4:5], s[4:5], exec
	s_or_saveexec_b64 s[6:7], s[6:7]
	v_mov_b32_e32 v2, s10
	s_xor_b64 exec, exec, s[6:7]
	s_cbranch_execz .LBB37_1762
.LBB37_3812:
	v_mov_b32_e32 v2, 0
	v_cmp_ne_u16_sdwa s[8:9], v9, v2 src0_sel:BYTE_0 src1_sel:DWORD
	s_andn2_b64 s[4:5], s[4:5], exec
	s_and_b64 s[8:9], s[8:9], exec
	s_or_b64 s[4:5], s[4:5], s[8:9]
	s_or_b64 exec, exec, s[6:7]
	s_and_saveexec_b64 s[6:7], s[4:5]
	s_cbranch_execnz .LBB37_1763
	s_branch .LBB37_1764
.LBB37_3813:
	s_movk_i32 s4, 0x80
	v_cmp_eq_u16_sdwa s[12:13], v5, s4 src0_sel:BYTE_0 src1_sel:DWORD
	s_mov_b64 s[4:5], -1
                                        ; implicit-def: $sgpr10
	s_and_saveexec_b64 s[8:9], s[12:13]
; %bb.3814:
	s_mov_b32 s10, 0x7f800001
	s_xor_b64 s[4:5], exec, -1
; %bb.3815:
	s_or_b64 exec, exec, s[8:9]
	s_and_b64 s[4:5], s[4:5], exec
	s_or_saveexec_b64 s[6:7], s[6:7]
	v_mov_b32_e32 v3, s10
	s_xor_b64 exec, exec, s[6:7]
	s_cbranch_execz .LBB37_1766
.LBB37_3816:
	v_mov_b32_e32 v3, 0
	v_cmp_ne_u16_sdwa s[8:9], v5, v3 src0_sel:BYTE_0 src1_sel:DWORD
	s_andn2_b64 s[4:5], s[4:5], exec
	s_and_b64 s[8:9], s[8:9], exec
	s_or_b64 s[4:5], s[4:5], s[8:9]
	s_or_b64 exec, exec, s[6:7]
	s_and_saveexec_b64 s[6:7], s[4:5]
	s_cbranch_execnz .LBB37_1767
	s_branch .LBB37_1768
.LBB37_3817:
	s_movk_i32 s4, 0x80
	v_cmp_eq_u16_sdwa s[12:13], v3, s4 src0_sel:BYTE_0 src1_sel:DWORD
	s_mov_b64 s[4:5], -1
                                        ; implicit-def: $sgpr10
	s_and_saveexec_b64 s[8:9], s[12:13]
; %bb.3818:
	s_mov_b32 s10, 0x7f800001
	s_xor_b64 s[4:5], exec, -1
; %bb.3819:
	s_or_b64 exec, exec, s[8:9]
	s_and_b64 s[4:5], s[4:5], exec
	s_or_saveexec_b64 s[6:7], s[6:7]
	v_mov_b32_e32 v2, s10
	s_xor_b64 exec, exec, s[6:7]
	s_cbranch_execz .LBB37_1770
.LBB37_3820:
	v_mov_b32_e32 v2, 0
	v_cmp_ne_u16_sdwa s[8:9], v3, v2 src0_sel:BYTE_0 src1_sel:DWORD
	s_andn2_b64 s[4:5], s[4:5], exec
	s_and_b64 s[8:9], s[8:9], exec
	s_or_b64 s[4:5], s[4:5], s[8:9]
	s_or_b64 exec, exec, s[6:7]
	s_and_saveexec_b64 s[6:7], s[4:5]
	s_cbranch_execnz .LBB37_1771
	s_branch .LBB37_1772
.LBB37_3821:
	s_movk_i32 s4, 0x80
	v_cmp_eq_u16_sdwa s[12:13], v3, s4 src0_sel:BYTE_0 src1_sel:DWORD
	s_mov_b64 s[4:5], -1
                                        ; implicit-def: $sgpr10
	s_and_saveexec_b64 s[8:9], s[12:13]
; %bb.3822:
	s_mov_b32 s10, 0x7f800001
	s_xor_b64 s[4:5], exec, -1
; %bb.3823:
	s_or_b64 exec, exec, s[8:9]
	s_and_b64 s[4:5], s[4:5], exec
	s_or_saveexec_b64 s[6:7], s[6:7]
	v_mov_b32_e32 v4, s10
	s_xor_b64 exec, exec, s[6:7]
	s_cbranch_execz .LBB37_1774
.LBB37_3824:
	v_mov_b32_e32 v4, 0
	v_cmp_ne_u16_sdwa s[8:9], v3, v4 src0_sel:BYTE_0 src1_sel:DWORD
	s_andn2_b64 s[4:5], s[4:5], exec
	s_and_b64 s[8:9], s[8:9], exec
	s_or_b64 s[4:5], s[4:5], s[8:9]
	s_or_b64 exec, exec, s[6:7]
	s_and_saveexec_b64 s[6:7], s[4:5]
	s_cbranch_execnz .LBB37_1775
	s_branch .LBB37_1776
.LBB37_3825:
	s_movk_i32 s4, 0x80
	v_cmp_eq_u16_e32 vcc, s4, v3
	s_mov_b64 s[4:5], -1
                                        ; implicit-def: $sgpr10
	s_and_saveexec_b64 s[8:9], vcc
; %bb.3826:
	s_mov_b32 s10, 0x7f800001
	s_xor_b64 s[4:5], exec, -1
; %bb.3827:
	s_or_b64 exec, exec, s[8:9]
	s_and_b64 s[4:5], s[4:5], exec
                                        ; implicit-def: $vgpr3
	s_or_saveexec_b64 s[6:7], s[6:7]
	v_mov_b32_e32 v2, s10
	s_xor_b64 exec, exec, s[6:7]
	s_cbranch_execz .LBB37_1778
.LBB37_3828:
	v_cmp_ne_u16_e32 vcc, 0, v3
	s_andn2_b64 s[4:5], s[4:5], exec
	s_and_b64 s[8:9], vcc, exec
	v_mov_b32_e32 v2, 0
	s_or_b64 s[4:5], s[4:5], s[8:9]
	s_or_b64 exec, exec, s[6:7]
	s_and_saveexec_b64 s[6:7], s[4:5]
	s_cbranch_execnz .LBB37_1779
	s_branch .LBB37_1780
.LBB37_3829:
	s_movk_i32 s4, 0x80
	v_cmp_eq_u16_e32 vcc, s4, v3
	s_mov_b64 s[4:5], -1
                                        ; implicit-def: $sgpr10
	s_and_saveexec_b64 s[8:9], vcc
; %bb.3830:
	s_mov_b32 s10, 0x7f800001
	s_xor_b64 s[4:5], exec, -1
; %bb.3831:
	s_or_b64 exec, exec, s[8:9]
	s_and_b64 s[4:5], s[4:5], exec
                                        ; implicit-def: $vgpr3
	s_or_saveexec_b64 s[6:7], s[6:7]
	v_mov_b32_e32 v4, s10
	s_xor_b64 exec, exec, s[6:7]
	s_cbranch_execz .LBB37_1782
.LBB37_3832:
	v_cmp_ne_u16_e32 vcc, 0, v3
	s_andn2_b64 s[4:5], s[4:5], exec
	s_and_b64 s[8:9], vcc, exec
	v_mov_b32_e32 v4, 0
	s_or_b64 s[4:5], s[4:5], s[8:9]
	s_or_b64 exec, exec, s[6:7]
	s_and_saveexec_b64 s[6:7], s[4:5]
	s_cbranch_execnz .LBB37_1783
	s_branch .LBB37_1784
.LBB37_3833:
	s_movk_i32 s4, 0x80
	v_cmp_eq_u16_sdwa s[12:13], v9, s4 src0_sel:BYTE_3 src1_sel:DWORD
	s_mov_b64 s[4:5], -1
                                        ; implicit-def: $sgpr10
	s_and_saveexec_b64 s[8:9], s[12:13]
; %bb.3834:
	s_mov_b32 s10, 0x7f800001
	s_xor_b64 s[4:5], exec, -1
; %bb.3835:
	s_or_b64 exec, exec, s[8:9]
	s_and_b64 s[4:5], s[4:5], exec
	s_or_saveexec_b64 s[6:7], s[6:7]
	v_mov_b32_e32 v2, s10
	s_xor_b64 exec, exec, s[6:7]
	s_cbranch_execz .LBB37_1786
.LBB37_3836:
	v_mov_b32_e32 v2, 0
	v_cmp_ne_u16_sdwa s[8:9], v9, v2 src0_sel:BYTE_3 src1_sel:DWORD
	s_andn2_b64 s[4:5], s[4:5], exec
	s_and_b64 s[8:9], s[8:9], exec
	s_or_b64 s[4:5], s[4:5], s[8:9]
	s_or_b64 exec, exec, s[6:7]
	s_and_saveexec_b64 s[6:7], s[4:5]
	s_cbranch_execnz .LBB37_1787
	s_branch .LBB37_1788
.LBB37_3837:
	s_movk_i32 s4, 0x80
	v_cmp_eq_u16_sdwa s[12:13], v5, s4 src0_sel:BYTE_3 src1_sel:DWORD
	s_mov_b64 s[4:5], -1
                                        ; implicit-def: $sgpr10
	s_and_saveexec_b64 s[8:9], s[12:13]
; %bb.3838:
	s_mov_b32 s10, 0x7f800001
	s_xor_b64 s[4:5], exec, -1
; %bb.3839:
	s_or_b64 exec, exec, s[8:9]
	s_and_b64 s[4:5], s[4:5], exec
	s_or_saveexec_b64 s[6:7], s[6:7]
	v_mov_b32_e32 v3, s10
	s_xor_b64 exec, exec, s[6:7]
	s_cbranch_execz .LBB37_1790
.LBB37_3840:
	v_mov_b32_e32 v3, 0
	v_cmp_ne_u16_sdwa s[8:9], v5, v3 src0_sel:BYTE_3 src1_sel:DWORD
	s_andn2_b64 s[4:5], s[4:5], exec
	s_and_b64 s[8:9], s[8:9], exec
	s_or_b64 s[4:5], s[4:5], s[8:9]
	s_or_b64 exec, exec, s[6:7]
	s_and_saveexec_b64 s[6:7], s[4:5]
	s_cbranch_execnz .LBB37_1791
	s_branch .LBB37_1792
.LBB37_3841:
	s_movk_i32 s4, 0x80
	v_cmp_eq_u16_sdwa s[12:13], v12, s4 src0_sel:BYTE_0 src1_sel:DWORD
	s_mov_b64 s[4:5], -1
                                        ; implicit-def: $sgpr10
	s_and_saveexec_b64 s[8:9], s[12:13]
; %bb.3842:
	s_mov_b32 s10, 0x7f800001
	s_xor_b64 s[4:5], exec, -1
; %bb.3843:
	s_or_b64 exec, exec, s[8:9]
	s_and_b64 s[4:5], s[4:5], exec
	s_or_saveexec_b64 s[6:7], s[6:7]
	v_mov_b32_e32 v18, s10
	s_xor_b64 exec, exec, s[6:7]
	s_cbranch_execz .LBB37_1794
.LBB37_3844:
	v_mov_b32_e32 v18, 0
	v_cmp_ne_u16_sdwa s[8:9], v12, v18 src0_sel:BYTE_0 src1_sel:DWORD
	s_andn2_b64 s[4:5], s[4:5], exec
	s_and_b64 s[8:9], s[8:9], exec
	s_or_b64 s[4:5], s[4:5], s[8:9]
	s_or_b64 exec, exec, s[6:7]
	s_and_saveexec_b64 s[6:7], s[4:5]
	s_cbranch_execnz .LBB37_1795
	s_branch .LBB37_1796
.LBB37_3845:
	s_movk_i32 s4, 0x80
	v_cmp_eq_u16_sdwa s[12:13], v8, s4 src0_sel:BYTE_0 src1_sel:DWORD
	s_mov_b64 s[4:5], -1
                                        ; implicit-def: $sgpr10
	s_and_saveexec_b64 s[8:9], s[12:13]
; %bb.3846:
	s_mov_b32 s10, 0x7f800001
	s_xor_b64 s[4:5], exec, -1
; %bb.3847:
	s_or_b64 exec, exec, s[8:9]
	s_and_b64 s[4:5], s[4:5], exec
	s_or_saveexec_b64 s[6:7], s[6:7]
	v_mov_b32_e32 v19, s10
	s_xor_b64 exec, exec, s[6:7]
	s_cbranch_execz .LBB37_1798
.LBB37_3848:
	v_mov_b32_e32 v19, 0
	v_cmp_ne_u16_sdwa s[8:9], v8, v19 src0_sel:BYTE_0 src1_sel:DWORD
	s_andn2_b64 s[4:5], s[4:5], exec
	s_and_b64 s[8:9], s[8:9], exec
	s_or_b64 s[4:5], s[4:5], s[8:9]
	s_or_b64 exec, exec, s[6:7]
	s_and_saveexec_b64 s[6:7], s[4:5]
	s_cbranch_execnz .LBB37_1799
	s_branch .LBB37_1800
.LBB37_3849:
	s_movk_i32 s4, 0x80
	v_cmp_eq_u16_sdwa s[12:13], v19, s4 src0_sel:BYTE_0 src1_sel:DWORD
	s_mov_b64 s[4:5], -1
                                        ; implicit-def: $sgpr10
	s_and_saveexec_b64 s[8:9], s[12:13]
; %bb.3850:
	s_mov_b32 s10, 0x7f800001
	s_xor_b64 s[4:5], exec, -1
; %bb.3851:
	s_or_b64 exec, exec, s[8:9]
	s_and_b64 s[4:5], s[4:5], exec
	s_or_saveexec_b64 s[6:7], s[6:7]
	v_mov_b32_e32 v18, s10
	s_xor_b64 exec, exec, s[6:7]
	s_cbranch_execz .LBB37_1802
.LBB37_3852:
	v_mov_b32_e32 v18, 0
	v_cmp_ne_u16_sdwa s[8:9], v19, v18 src0_sel:BYTE_0 src1_sel:DWORD
	s_andn2_b64 s[4:5], s[4:5], exec
	s_and_b64 s[8:9], s[8:9], exec
	s_or_b64 s[4:5], s[4:5], s[8:9]
	s_or_b64 exec, exec, s[6:7]
	s_and_saveexec_b64 s[6:7], s[4:5]
	s_cbranch_execnz .LBB37_1803
	s_branch .LBB37_1804
.LBB37_3853:
	s_movk_i32 s4, 0x80
	v_cmp_eq_u16_sdwa s[12:13], v19, s4 src0_sel:BYTE_0 src1_sel:DWORD
	s_mov_b64 s[4:5], -1
                                        ; implicit-def: $sgpr10
	s_and_saveexec_b64 s[8:9], s[12:13]
; %bb.3854:
	s_mov_b32 s10, 0x7f800001
	s_xor_b64 s[4:5], exec, -1
; %bb.3855:
	s_or_b64 exec, exec, s[8:9]
	s_and_b64 s[4:5], s[4:5], exec
	s_or_saveexec_b64 s[6:7], s[6:7]
	v_mov_b32_e32 v20, s10
	s_xor_b64 exec, exec, s[6:7]
	s_cbranch_execz .LBB37_1806
.LBB37_3856:
	v_mov_b32_e32 v20, 0
	v_cmp_ne_u16_sdwa s[8:9], v19, v20 src0_sel:BYTE_0 src1_sel:DWORD
	s_andn2_b64 s[4:5], s[4:5], exec
	s_and_b64 s[8:9], s[8:9], exec
	s_or_b64 s[4:5], s[4:5], s[8:9]
	s_or_b64 exec, exec, s[6:7]
	s_and_saveexec_b64 s[6:7], s[4:5]
	s_cbranch_execnz .LBB37_1807
	s_branch .LBB37_1808
.LBB37_3857:
	s_movk_i32 s4, 0x80
	v_cmp_eq_u16_e32 vcc, s4, v19
	s_mov_b64 s[4:5], -1
                                        ; implicit-def: $sgpr10
	s_and_saveexec_b64 s[8:9], vcc
; %bb.3858:
	s_mov_b32 s10, 0x7f800001
	s_xor_b64 s[4:5], exec, -1
; %bb.3859:
	s_or_b64 exec, exec, s[8:9]
	s_and_b64 s[4:5], s[4:5], exec
                                        ; implicit-def: $vgpr19
	s_or_saveexec_b64 s[6:7], s[6:7]
	v_mov_b32_e32 v18, s10
	s_xor_b64 exec, exec, s[6:7]
	s_cbranch_execz .LBB37_1810
.LBB37_3860:
	v_cmp_ne_u16_e32 vcc, 0, v19
	s_andn2_b64 s[4:5], s[4:5], exec
	s_and_b64 s[8:9], vcc, exec
	v_mov_b32_e32 v18, 0
	s_or_b64 s[4:5], s[4:5], s[8:9]
	s_or_b64 exec, exec, s[6:7]
	s_and_saveexec_b64 s[6:7], s[4:5]
	s_cbranch_execnz .LBB37_1811
	s_branch .LBB37_1812
.LBB37_3861:
	s_movk_i32 s4, 0x80
	v_cmp_eq_u16_e32 vcc, s4, v19
	s_mov_b64 s[4:5], -1
                                        ; implicit-def: $sgpr10
	s_and_saveexec_b64 s[8:9], vcc
; %bb.3862:
	s_mov_b32 s10, 0x7f800001
	s_xor_b64 s[4:5], exec, -1
; %bb.3863:
	s_or_b64 exec, exec, s[8:9]
	s_and_b64 s[4:5], s[4:5], exec
                                        ; implicit-def: $vgpr19
	s_or_saveexec_b64 s[6:7], s[6:7]
	v_mov_b32_e32 v20, s10
	s_xor_b64 exec, exec, s[6:7]
	s_cbranch_execz .LBB37_1814
.LBB37_3864:
	v_cmp_ne_u16_e32 vcc, 0, v19
	s_andn2_b64 s[4:5], s[4:5], exec
	s_and_b64 s[8:9], vcc, exec
	v_mov_b32_e32 v20, 0
	s_or_b64 s[4:5], s[4:5], s[8:9]
	s_or_b64 exec, exec, s[6:7]
	s_and_saveexec_b64 s[6:7], s[4:5]
	s_cbranch_execnz .LBB37_1815
	s_branch .LBB37_1816
.LBB37_3865:
	s_movk_i32 s4, 0x80
	v_cmp_eq_u16_sdwa s[12:13], v12, s4 src0_sel:BYTE_3 src1_sel:DWORD
	s_mov_b64 s[4:5], -1
                                        ; implicit-def: $sgpr10
	s_and_saveexec_b64 s[8:9], s[12:13]
; %bb.3866:
	s_mov_b32 s10, 0x7f800001
	s_xor_b64 s[4:5], exec, -1
; %bb.3867:
	s_or_b64 exec, exec, s[8:9]
	s_and_b64 s[4:5], s[4:5], exec
	s_or_saveexec_b64 s[6:7], s[6:7]
	v_mov_b32_e32 v18, s10
	s_xor_b64 exec, exec, s[6:7]
	s_cbranch_execz .LBB37_1818
.LBB37_3868:
	v_mov_b32_e32 v18, 0
	v_cmp_ne_u16_sdwa s[8:9], v12, v18 src0_sel:BYTE_3 src1_sel:DWORD
	s_andn2_b64 s[4:5], s[4:5], exec
	s_and_b64 s[8:9], s[8:9], exec
	s_or_b64 s[4:5], s[4:5], s[8:9]
	s_or_b64 exec, exec, s[6:7]
	s_and_saveexec_b64 s[6:7], s[4:5]
	s_cbranch_execnz .LBB37_1819
	s_branch .LBB37_1820
.LBB37_3869:
	s_movk_i32 s4, 0x80
	v_cmp_eq_u16_sdwa s[12:13], v8, s4 src0_sel:BYTE_3 src1_sel:DWORD
	s_mov_b64 s[4:5], -1
                                        ; implicit-def: $sgpr10
	s_and_saveexec_b64 s[8:9], s[12:13]
; %bb.3870:
	s_mov_b32 s10, 0x7f800001
	s_xor_b64 s[4:5], exec, -1
; %bb.3871:
	s_or_b64 exec, exec, s[8:9]
	s_and_b64 s[4:5], s[4:5], exec
	s_or_saveexec_b64 s[6:7], s[6:7]
	v_mov_b32_e32 v12, s10
	s_xor_b64 exec, exec, s[6:7]
	s_cbranch_execz .LBB37_1822
.LBB37_3872:
	v_mov_b32_e32 v12, 0
	v_cmp_ne_u16_sdwa s[8:9], v8, v12 src0_sel:BYTE_3 src1_sel:DWORD
	s_andn2_b64 s[4:5], s[4:5], exec
	s_and_b64 s[8:9], s[8:9], exec
	s_or_b64 s[4:5], s[4:5], s[8:9]
	s_or_b64 exec, exec, s[6:7]
	s_and_saveexec_b64 s[6:7], s[4:5]
	s_cbranch_execnz .LBB37_1823
	s_branch .LBB37_1824
.LBB37_3873:
	s_movk_i32 s4, 0x80
	v_cmp_eq_u16_sdwa s[12:13], v13, s4 src0_sel:BYTE_0 src1_sel:DWORD
	s_mov_b64 s[4:5], -1
                                        ; implicit-def: $sgpr10
	s_and_saveexec_b64 s[8:9], s[12:13]
; %bb.3874:
	s_mov_b32 s10, 0x7f800001
	s_xor_b64 s[4:5], exec, -1
; %bb.3875:
	s_or_b64 exec, exec, s[8:9]
	s_and_b64 s[4:5], s[4:5], exec
	s_or_saveexec_b64 s[6:7], s[6:7]
	v_mov_b32_e32 v8, s10
	s_xor_b64 exec, exec, s[6:7]
	s_cbranch_execz .LBB37_1826
.LBB37_3876:
	v_mov_b32_e32 v8, 0
	v_cmp_ne_u16_sdwa s[8:9], v13, v8 src0_sel:BYTE_0 src1_sel:DWORD
	s_andn2_b64 s[4:5], s[4:5], exec
	s_and_b64 s[8:9], s[8:9], exec
	s_or_b64 s[4:5], s[4:5], s[8:9]
	s_or_b64 exec, exec, s[6:7]
	s_and_saveexec_b64 s[6:7], s[4:5]
	s_cbranch_execnz .LBB37_1827
	s_branch .LBB37_1828
.LBB37_3877:
	s_movk_i32 s4, 0x80
	v_cmp_eq_u16_sdwa s[12:13], v9, s4 src0_sel:BYTE_0 src1_sel:DWORD
	s_mov_b64 s[4:5], -1
                                        ; implicit-def: $sgpr10
	s_and_saveexec_b64 s[8:9], s[12:13]
; %bb.3878:
	s_mov_b32 s10, 0x7f800001
	s_xor_b64 s[4:5], exec, -1
; %bb.3879:
	s_or_b64 exec, exec, s[8:9]
	s_and_b64 s[4:5], s[4:5], exec
	s_or_saveexec_b64 s[6:7], s[6:7]
	v_mov_b32_e32 v12, s10
	s_xor_b64 exec, exec, s[6:7]
	s_cbranch_execz .LBB37_1830
.LBB37_3880:
	v_mov_b32_e32 v12, 0
	v_cmp_ne_u16_sdwa s[8:9], v9, v12 src0_sel:BYTE_0 src1_sel:DWORD
	s_andn2_b64 s[4:5], s[4:5], exec
	s_and_b64 s[8:9], s[8:9], exec
	s_or_b64 s[4:5], s[4:5], s[8:9]
	s_or_b64 exec, exec, s[6:7]
	s_and_saveexec_b64 s[6:7], s[4:5]
	s_cbranch_execnz .LBB37_1831
	s_branch .LBB37_1832
.LBB37_3881:
	s_movk_i32 s4, 0x80
	v_cmp_eq_u16_sdwa s[12:13], v12, s4 src0_sel:BYTE_0 src1_sel:DWORD
	s_mov_b64 s[4:5], -1
                                        ; implicit-def: $sgpr10
	s_and_saveexec_b64 s[8:9], s[12:13]
; %bb.3882:
	s_mov_b32 s10, 0x7f800001
	s_xor_b64 s[4:5], exec, -1
; %bb.3883:
	s_or_b64 exec, exec, s[8:9]
	s_and_b64 s[4:5], s[4:5], exec
	s_or_saveexec_b64 s[6:7], s[6:7]
	v_mov_b32_e32 v8, s10
	s_xor_b64 exec, exec, s[6:7]
	s_cbranch_execz .LBB37_1834
.LBB37_3884:
	v_mov_b32_e32 v8, 0
	v_cmp_ne_u16_sdwa s[8:9], v12, v8 src0_sel:BYTE_0 src1_sel:DWORD
	s_andn2_b64 s[4:5], s[4:5], exec
	s_and_b64 s[8:9], s[8:9], exec
	s_or_b64 s[4:5], s[4:5], s[8:9]
	s_or_b64 exec, exec, s[6:7]
	s_and_saveexec_b64 s[6:7], s[4:5]
	s_cbranch_execnz .LBB37_1835
	s_branch .LBB37_1836
.LBB37_3885:
	s_movk_i32 s4, 0x80
	v_cmp_eq_u16_sdwa s[12:13], v12, s4 src0_sel:BYTE_0 src1_sel:DWORD
	s_mov_b64 s[4:5], -1
                                        ; implicit-def: $sgpr10
	s_and_saveexec_b64 s[8:9], s[12:13]
; %bb.3886:
	s_mov_b32 s10, 0x7f800001
	s_xor_b64 s[4:5], exec, -1
; %bb.3887:
	s_or_b64 exec, exec, s[8:9]
	s_and_b64 s[4:5], s[4:5], exec
	s_or_saveexec_b64 s[6:7], s[6:7]
	v_mov_b32_e32 v18, s10
	s_xor_b64 exec, exec, s[6:7]
	s_cbranch_execz .LBB37_1838
.LBB37_3888:
	v_mov_b32_e32 v18, 0
	v_cmp_ne_u16_sdwa s[8:9], v12, v18 src0_sel:BYTE_0 src1_sel:DWORD
	s_andn2_b64 s[4:5], s[4:5], exec
	s_and_b64 s[8:9], s[8:9], exec
	s_or_b64 s[4:5], s[4:5], s[8:9]
	s_or_b64 exec, exec, s[6:7]
	s_and_saveexec_b64 s[6:7], s[4:5]
	s_cbranch_execnz .LBB37_1839
	s_branch .LBB37_1840
.LBB37_3889:
	s_movk_i32 s4, 0x80
	v_cmp_eq_u16_e32 vcc, s4, v12
	s_mov_b64 s[4:5], -1
                                        ; implicit-def: $sgpr10
	s_and_saveexec_b64 s[8:9], vcc
; %bb.3890:
	s_mov_b32 s10, 0x7f800001
	s_xor_b64 s[4:5], exec, -1
; %bb.3891:
	s_or_b64 exec, exec, s[8:9]
	s_and_b64 s[4:5], s[4:5], exec
                                        ; implicit-def: $vgpr12
	s_or_saveexec_b64 s[6:7], s[6:7]
	v_mov_b32_e32 v8, s10
	s_xor_b64 exec, exec, s[6:7]
	s_cbranch_execz .LBB37_1842
.LBB37_3892:
	v_cmp_ne_u16_e32 vcc, 0, v12
	s_andn2_b64 s[4:5], s[4:5], exec
	s_and_b64 s[8:9], vcc, exec
	v_mov_b32_e32 v8, 0
	s_or_b64 s[4:5], s[4:5], s[8:9]
	s_or_b64 exec, exec, s[6:7]
	s_and_saveexec_b64 s[6:7], s[4:5]
	s_cbranch_execnz .LBB37_1843
	s_branch .LBB37_1844
.LBB37_3893:
	s_movk_i32 s4, 0x80
	v_cmp_eq_u16_e32 vcc, s4, v12
	s_mov_b64 s[4:5], -1
                                        ; implicit-def: $sgpr10
	s_and_saveexec_b64 s[8:9], vcc
; %bb.3894:
	s_mov_b32 s10, 0x7f800001
	s_xor_b64 s[4:5], exec, -1
; %bb.3895:
	s_or_b64 exec, exec, s[8:9]
	s_and_b64 s[4:5], s[4:5], exec
                                        ; implicit-def: $vgpr12
	s_or_saveexec_b64 s[6:7], s[6:7]
	v_mov_b32_e32 v18, s10
	s_xor_b64 exec, exec, s[6:7]
	s_cbranch_execz .LBB37_1846
.LBB37_3896:
	v_cmp_ne_u16_e32 vcc, 0, v12
	s_andn2_b64 s[4:5], s[4:5], exec
	s_and_b64 s[8:9], vcc, exec
	v_mov_b32_e32 v18, 0
	s_or_b64 s[4:5], s[4:5], s[8:9]
	s_or_b64 exec, exec, s[6:7]
	s_and_saveexec_b64 s[6:7], s[4:5]
	s_cbranch_execnz .LBB37_1847
	s_branch .LBB37_1848
.LBB37_3897:
	s_movk_i32 s4, 0x80
	v_cmp_eq_u16_sdwa s[12:13], v13, s4 src0_sel:BYTE_3 src1_sel:DWORD
	s_mov_b64 s[4:5], -1
                                        ; implicit-def: $sgpr10
	s_and_saveexec_b64 s[8:9], s[12:13]
; %bb.3898:
	s_mov_b32 s10, 0x7f800001
	s_xor_b64 s[4:5], exec, -1
; %bb.3899:
	s_or_b64 exec, exec, s[8:9]
	s_and_b64 s[4:5], s[4:5], exec
	s_or_saveexec_b64 s[6:7], s[6:7]
	v_mov_b32_e32 v8, s10
	s_xor_b64 exec, exec, s[6:7]
	s_cbranch_execz .LBB37_1850
.LBB37_3900:
	v_mov_b32_e32 v8, 0
	v_cmp_ne_u16_sdwa s[8:9], v13, v8 src0_sel:BYTE_3 src1_sel:DWORD
	s_andn2_b64 s[4:5], s[4:5], exec
	s_and_b64 s[8:9], s[8:9], exec
	s_or_b64 s[4:5], s[4:5], s[8:9]
	s_or_b64 exec, exec, s[6:7]
	s_and_saveexec_b64 s[6:7], s[4:5]
	s_cbranch_execnz .LBB37_1851
	s_branch .LBB37_1852
.LBB37_3901:
	s_movk_i32 s4, 0x80
	v_cmp_eq_u16_sdwa s[12:13], v9, s4 src0_sel:BYTE_3 src1_sel:DWORD
	s_mov_b64 s[4:5], -1
                                        ; implicit-def: $sgpr10
	s_and_saveexec_b64 s[8:9], s[12:13]
; %bb.3902:
	s_mov_b32 s10, 0x7f800001
	s_xor_b64 s[4:5], exec, -1
; %bb.3903:
	s_or_b64 exec, exec, s[8:9]
	s_and_b64 s[4:5], s[4:5], exec
	s_or_saveexec_b64 s[6:7], s[6:7]
	v_mov_b32_e32 v12, s10
	s_xor_b64 exec, exec, s[6:7]
	s_cbranch_execz .LBB37_1854
.LBB37_3904:
	v_mov_b32_e32 v12, 0
	v_cmp_ne_u16_sdwa s[8:9], v9, v12 src0_sel:BYTE_3 src1_sel:DWORD
	s_andn2_b64 s[4:5], s[4:5], exec
	s_and_b64 s[8:9], s[8:9], exec
	s_or_b64 s[4:5], s[4:5], s[8:9]
	s_or_b64 exec, exec, s[6:7]
	s_and_saveexec_b64 s[6:7], s[4:5]
	s_cbranch_execnz .LBB37_1855
	s_branch .LBB37_1856
.LBB37_3905:
	s_movk_i32 s4, 0x80
	v_cmp_eq_u16_sdwa s[12:13], v14, s4 src0_sel:BYTE_0 src1_sel:DWORD
	s_mov_b64 s[4:5], -1
                                        ; implicit-def: $sgpr10
	s_and_saveexec_b64 s[8:9], s[12:13]
; %bb.3906:
	s_mov_b32 s10, 0x7f800001
	s_xor_b64 s[4:5], exec, -1
; %bb.3907:
	s_or_b64 exec, exec, s[8:9]
	s_and_b64 s[4:5], s[4:5], exec
	s_or_saveexec_b64 s[6:7], s[6:7]
	v_mov_b32_e32 v8, s10
	s_xor_b64 exec, exec, s[6:7]
	s_cbranch_execz .LBB37_1858
.LBB37_3908:
	v_mov_b32_e32 v8, 0
	v_cmp_ne_u16_sdwa s[8:9], v14, v8 src0_sel:BYTE_0 src1_sel:DWORD
	s_andn2_b64 s[4:5], s[4:5], exec
	s_and_b64 s[8:9], s[8:9], exec
	s_or_b64 s[4:5], s[4:5], s[8:9]
	s_or_b64 exec, exec, s[6:7]
	s_and_saveexec_b64 s[6:7], s[4:5]
	s_cbranch_execnz .LBB37_1859
	s_branch .LBB37_1860
.LBB37_3909:
	s_movk_i32 s4, 0x80
	v_cmp_eq_u16_sdwa s[12:13], v10, s4 src0_sel:BYTE_0 src1_sel:DWORD
	s_mov_b64 s[4:5], -1
                                        ; implicit-def: $sgpr10
	s_and_saveexec_b64 s[8:9], s[12:13]
; %bb.3910:
	s_mov_b32 s10, 0x7f800001
	s_xor_b64 s[4:5], exec, -1
; %bb.3911:
	s_or_b64 exec, exec, s[8:9]
	s_and_b64 s[4:5], s[4:5], exec
	s_or_saveexec_b64 s[6:7], s[6:7]
	v_mov_b32_e32 v9, s10
	s_xor_b64 exec, exec, s[6:7]
	s_cbranch_execz .LBB37_1862
.LBB37_3912:
	v_mov_b32_e32 v9, 0
	v_cmp_ne_u16_sdwa s[8:9], v10, v9 src0_sel:BYTE_0 src1_sel:DWORD
	s_andn2_b64 s[4:5], s[4:5], exec
	s_and_b64 s[8:9], s[8:9], exec
	s_or_b64 s[4:5], s[4:5], s[8:9]
	s_or_b64 exec, exec, s[6:7]
	s_and_saveexec_b64 s[6:7], s[4:5]
	s_cbranch_execnz .LBB37_1863
	s_branch .LBB37_1864
.LBB37_3913:
	s_movk_i32 s4, 0x80
	v_cmp_eq_u16_sdwa s[12:13], v9, s4 src0_sel:BYTE_0 src1_sel:DWORD
	s_mov_b64 s[4:5], -1
                                        ; implicit-def: $sgpr10
	s_and_saveexec_b64 s[8:9], s[12:13]
; %bb.3914:
	s_mov_b32 s10, 0x7f800001
	s_xor_b64 s[4:5], exec, -1
; %bb.3915:
	s_or_b64 exec, exec, s[8:9]
	s_and_b64 s[4:5], s[4:5], exec
	s_or_saveexec_b64 s[6:7], s[6:7]
	v_mov_b32_e32 v8, s10
	s_xor_b64 exec, exec, s[6:7]
	s_cbranch_execz .LBB37_1866
.LBB37_3916:
	v_mov_b32_e32 v8, 0
	v_cmp_ne_u16_sdwa s[8:9], v9, v8 src0_sel:BYTE_0 src1_sel:DWORD
	s_andn2_b64 s[4:5], s[4:5], exec
	s_and_b64 s[8:9], s[8:9], exec
	s_or_b64 s[4:5], s[4:5], s[8:9]
	s_or_b64 exec, exec, s[6:7]
	s_and_saveexec_b64 s[6:7], s[4:5]
	s_cbranch_execnz .LBB37_1867
	s_branch .LBB37_1868
.LBB37_3917:
	s_movk_i32 s4, 0x80
	v_cmp_eq_u16_sdwa s[12:13], v9, s4 src0_sel:BYTE_0 src1_sel:DWORD
	s_mov_b64 s[4:5], -1
                                        ; implicit-def: $sgpr10
	s_and_saveexec_b64 s[8:9], s[12:13]
; %bb.3918:
	s_mov_b32 s10, 0x7f800001
	s_xor_b64 s[4:5], exec, -1
; %bb.3919:
	s_or_b64 exec, exec, s[8:9]
	s_and_b64 s[4:5], s[4:5], exec
	s_or_saveexec_b64 s[6:7], s[6:7]
	v_mov_b32_e32 v12, s10
	s_xor_b64 exec, exec, s[6:7]
	s_cbranch_execz .LBB37_1870
.LBB37_3920:
	v_mov_b32_e32 v12, 0
	v_cmp_ne_u16_sdwa s[8:9], v9, v12 src0_sel:BYTE_0 src1_sel:DWORD
	s_andn2_b64 s[4:5], s[4:5], exec
	s_and_b64 s[8:9], s[8:9], exec
	s_or_b64 s[4:5], s[4:5], s[8:9]
	s_or_b64 exec, exec, s[6:7]
	s_and_saveexec_b64 s[6:7], s[4:5]
	s_cbranch_execnz .LBB37_1871
	s_branch .LBB37_1872
.LBB37_3921:
	s_movk_i32 s4, 0x80
	v_cmp_eq_u16_e32 vcc, s4, v9
	s_mov_b64 s[4:5], -1
                                        ; implicit-def: $sgpr10
	s_and_saveexec_b64 s[8:9], vcc
; %bb.3922:
	s_mov_b32 s10, 0x7f800001
	s_xor_b64 s[4:5], exec, -1
; %bb.3923:
	s_or_b64 exec, exec, s[8:9]
	s_and_b64 s[4:5], s[4:5], exec
                                        ; implicit-def: $vgpr9
	s_or_saveexec_b64 s[6:7], s[6:7]
	v_mov_b32_e32 v8, s10
	s_xor_b64 exec, exec, s[6:7]
	s_cbranch_execz .LBB37_1874
.LBB37_3924:
	v_cmp_ne_u16_e32 vcc, 0, v9
	s_andn2_b64 s[4:5], s[4:5], exec
	s_and_b64 s[8:9], vcc, exec
	v_mov_b32_e32 v8, 0
	s_or_b64 s[4:5], s[4:5], s[8:9]
	s_or_b64 exec, exec, s[6:7]
	s_and_saveexec_b64 s[6:7], s[4:5]
	s_cbranch_execnz .LBB37_1875
	s_branch .LBB37_1876
.LBB37_3925:
	s_movk_i32 s4, 0x80
	v_cmp_eq_u16_e32 vcc, s4, v9
	s_mov_b64 s[4:5], -1
                                        ; implicit-def: $sgpr10
	s_and_saveexec_b64 s[8:9], vcc
; %bb.3926:
	s_mov_b32 s10, 0x7f800001
	s_xor_b64 s[4:5], exec, -1
; %bb.3927:
	s_or_b64 exec, exec, s[8:9]
	s_and_b64 s[4:5], s[4:5], exec
                                        ; implicit-def: $vgpr9
	s_or_saveexec_b64 s[6:7], s[6:7]
	v_mov_b32_e32 v12, s10
	s_xor_b64 exec, exec, s[6:7]
	s_cbranch_execz .LBB37_1878
.LBB37_3928:
	v_cmp_ne_u16_e32 vcc, 0, v9
	s_andn2_b64 s[4:5], s[4:5], exec
	s_and_b64 s[8:9], vcc, exec
	v_mov_b32_e32 v12, 0
	s_or_b64 s[4:5], s[4:5], s[8:9]
	s_or_b64 exec, exec, s[6:7]
	s_and_saveexec_b64 s[6:7], s[4:5]
	s_cbranch_execnz .LBB37_1879
	s_branch .LBB37_1880
.LBB37_3929:
	s_movk_i32 s4, 0x80
	v_cmp_eq_u16_sdwa s[12:13], v14, s4 src0_sel:BYTE_3 src1_sel:DWORD
	s_mov_b64 s[4:5], -1
                                        ; implicit-def: $sgpr10
	s_and_saveexec_b64 s[8:9], s[12:13]
; %bb.3930:
	s_mov_b32 s10, 0x7f800001
	s_xor_b64 s[4:5], exec, -1
; %bb.3931:
	s_or_b64 exec, exec, s[8:9]
	s_and_b64 s[4:5], s[4:5], exec
	s_or_saveexec_b64 s[6:7], s[6:7]
	v_mov_b32_e32 v8, s10
	s_xor_b64 exec, exec, s[6:7]
	s_cbranch_execz .LBB37_1882
.LBB37_3932:
	v_mov_b32_e32 v8, 0
	v_cmp_ne_u16_sdwa s[8:9], v14, v8 src0_sel:BYTE_3 src1_sel:DWORD
	s_andn2_b64 s[4:5], s[4:5], exec
	s_and_b64 s[8:9], s[8:9], exec
	s_or_b64 s[4:5], s[4:5], s[8:9]
	s_or_b64 exec, exec, s[6:7]
	s_and_saveexec_b64 s[6:7], s[4:5]
	s_cbranch_execnz .LBB37_1883
	s_branch .LBB37_1884
.LBB37_3933:
	s_movk_i32 s4, 0x80
	v_cmp_eq_u16_sdwa s[12:13], v10, s4 src0_sel:BYTE_3 src1_sel:DWORD
	s_mov_b64 s[4:5], -1
                                        ; implicit-def: $sgpr10
	s_and_saveexec_b64 s[8:9], s[12:13]
; %bb.3934:
	s_mov_b32 s10, 0x7f800001
	s_xor_b64 s[4:5], exec, -1
; %bb.3935:
	s_or_b64 exec, exec, s[8:9]
	s_and_b64 s[4:5], s[4:5], exec
	s_or_saveexec_b64 s[6:7], s[6:7]
	v_mov_b32_e32 v9, s10
	s_xor_b64 exec, exec, s[6:7]
	s_cbranch_execz .LBB37_1886
.LBB37_3936:
	v_mov_b32_e32 v9, 0
	v_cmp_ne_u16_sdwa s[8:9], v10, v9 src0_sel:BYTE_3 src1_sel:DWORD
	s_andn2_b64 s[4:5], s[4:5], exec
	s_and_b64 s[8:9], s[8:9], exec
	s_or_b64 s[4:5], s[4:5], s[8:9]
	s_or_b64 exec, exec, s[6:7]
	s_and_saveexec_b64 s[6:7], s[4:5]
	s_cbranch_execnz .LBB37_1887
	s_branch .LBB37_1888
.LBB37_3937:
	s_movk_i32 s4, 0x80
	v_cmp_eq_u16_sdwa s[12:13], v15, s4 src0_sel:BYTE_0 src1_sel:DWORD
	s_mov_b64 s[4:5], -1
                                        ; implicit-def: $sgpr10
	s_and_saveexec_b64 s[8:9], s[12:13]
; %bb.3938:
	s_mov_b32 s10, 0x7f800001
	s_xor_b64 s[4:5], exec, -1
; %bb.3939:
	s_or_b64 exec, exec, s[8:9]
	s_and_b64 s[4:5], s[4:5], exec
	s_or_saveexec_b64 s[6:7], s[6:7]
	v_mov_b32_e32 v8, s10
	s_xor_b64 exec, exec, s[6:7]
	s_cbranch_execz .LBB37_1890
.LBB37_3940:
	v_mov_b32_e32 v8, 0
	v_cmp_ne_u16_sdwa s[8:9], v15, v8 src0_sel:BYTE_0 src1_sel:DWORD
	s_andn2_b64 s[4:5], s[4:5], exec
	s_and_b64 s[8:9], s[8:9], exec
	s_or_b64 s[4:5], s[4:5], s[8:9]
	s_or_b64 exec, exec, s[6:7]
	s_and_saveexec_b64 s[6:7], s[4:5]
	s_cbranch_execnz .LBB37_1891
	s_branch .LBB37_1892
.LBB37_3941:
	s_movk_i32 s4, 0x80
	v_cmp_eq_u16_sdwa s[12:13], v11, s4 src0_sel:BYTE_0 src1_sel:DWORD
	s_mov_b64 s[4:5], -1
                                        ; implicit-def: $sgpr10
	s_and_saveexec_b64 s[8:9], s[12:13]
; %bb.3942:
	s_mov_b32 s10, 0x7f800001
	s_xor_b64 s[4:5], exec, -1
; %bb.3943:
	s_or_b64 exec, exec, s[8:9]
	s_and_b64 s[4:5], s[4:5], exec
	s_or_saveexec_b64 s[6:7], s[6:7]
	v_mov_b32_e32 v9, s10
	s_xor_b64 exec, exec, s[6:7]
	s_cbranch_execz .LBB37_1894
.LBB37_3944:
	v_mov_b32_e32 v9, 0
	v_cmp_ne_u16_sdwa s[8:9], v11, v9 src0_sel:BYTE_0 src1_sel:DWORD
	s_andn2_b64 s[4:5], s[4:5], exec
	s_and_b64 s[8:9], s[8:9], exec
	s_or_b64 s[4:5], s[4:5], s[8:9]
	s_or_b64 exec, exec, s[6:7]
	s_and_saveexec_b64 s[6:7], s[4:5]
	s_cbranch_execnz .LBB37_1895
	s_branch .LBB37_1896
.LBB37_3945:
	s_movk_i32 s4, 0x80
	v_cmp_eq_u16_sdwa s[12:13], v9, s4 src0_sel:BYTE_0 src1_sel:DWORD
	s_mov_b64 s[4:5], -1
                                        ; implicit-def: $sgpr10
	s_and_saveexec_b64 s[8:9], s[12:13]
; %bb.3946:
	s_mov_b32 s10, 0x7f800001
	s_xor_b64 s[4:5], exec, -1
; %bb.3947:
	s_or_b64 exec, exec, s[8:9]
	s_and_b64 s[4:5], s[4:5], exec
	s_or_saveexec_b64 s[6:7], s[6:7]
	v_mov_b32_e32 v8, s10
	s_xor_b64 exec, exec, s[6:7]
	s_cbranch_execz .LBB37_1898
.LBB37_3948:
	v_mov_b32_e32 v8, 0
	v_cmp_ne_u16_sdwa s[8:9], v9, v8 src0_sel:BYTE_0 src1_sel:DWORD
	s_andn2_b64 s[4:5], s[4:5], exec
	s_and_b64 s[8:9], s[8:9], exec
	s_or_b64 s[4:5], s[4:5], s[8:9]
	s_or_b64 exec, exec, s[6:7]
	s_and_saveexec_b64 s[6:7], s[4:5]
	s_cbranch_execnz .LBB37_1899
	s_branch .LBB37_1900
.LBB37_3949:
	s_movk_i32 s4, 0x80
	v_cmp_eq_u16_sdwa s[12:13], v9, s4 src0_sel:BYTE_0 src1_sel:DWORD
	s_mov_b64 s[4:5], -1
                                        ; implicit-def: $sgpr10
	s_and_saveexec_b64 s[8:9], s[12:13]
; %bb.3950:
	s_mov_b32 s10, 0x7f800001
	s_xor_b64 s[4:5], exec, -1
; %bb.3951:
	s_or_b64 exec, exec, s[8:9]
	s_and_b64 s[4:5], s[4:5], exec
	s_or_saveexec_b64 s[6:7], s[6:7]
	v_mov_b32_e32 v10, s10
	s_xor_b64 exec, exec, s[6:7]
	s_cbranch_execz .LBB37_1902
.LBB37_3952:
	v_mov_b32_e32 v10, 0
	v_cmp_ne_u16_sdwa s[8:9], v9, v10 src0_sel:BYTE_0 src1_sel:DWORD
	s_andn2_b64 s[4:5], s[4:5], exec
	s_and_b64 s[8:9], s[8:9], exec
	s_or_b64 s[4:5], s[4:5], s[8:9]
	s_or_b64 exec, exec, s[6:7]
	s_and_saveexec_b64 s[6:7], s[4:5]
	s_cbranch_execnz .LBB37_1903
	s_branch .LBB37_1904
.LBB37_3953:
	s_movk_i32 s4, 0x80
	v_cmp_eq_u16_e32 vcc, s4, v9
	s_mov_b64 s[4:5], -1
                                        ; implicit-def: $sgpr10
	s_and_saveexec_b64 s[8:9], vcc
; %bb.3954:
	s_mov_b32 s10, 0x7f800001
	s_xor_b64 s[4:5], exec, -1
; %bb.3955:
	s_or_b64 exec, exec, s[8:9]
	s_and_b64 s[4:5], s[4:5], exec
                                        ; implicit-def: $vgpr9
	s_or_saveexec_b64 s[6:7], s[6:7]
	v_mov_b32_e32 v8, s10
	s_xor_b64 exec, exec, s[6:7]
	s_cbranch_execz .LBB37_1906
.LBB37_3956:
	v_cmp_ne_u16_e32 vcc, 0, v9
	s_andn2_b64 s[4:5], s[4:5], exec
	s_and_b64 s[8:9], vcc, exec
	v_mov_b32_e32 v8, 0
	s_or_b64 s[4:5], s[4:5], s[8:9]
	s_or_b64 exec, exec, s[6:7]
	s_and_saveexec_b64 s[6:7], s[4:5]
	s_cbranch_execnz .LBB37_1907
	s_branch .LBB37_1908
.LBB37_3957:
	s_movk_i32 s4, 0x80
	v_cmp_eq_u16_e32 vcc, s4, v9
	s_mov_b64 s[4:5], -1
                                        ; implicit-def: $sgpr10
	s_and_saveexec_b64 s[8:9], vcc
; %bb.3958:
	s_mov_b32 s10, 0x7f800001
	s_xor_b64 s[4:5], exec, -1
; %bb.3959:
	s_or_b64 exec, exec, s[8:9]
	s_and_b64 s[4:5], s[4:5], exec
                                        ; implicit-def: $vgpr9
	s_or_saveexec_b64 s[6:7], s[6:7]
	v_mov_b32_e32 v10, s10
	s_xor_b64 exec, exec, s[6:7]
	s_cbranch_execz .LBB37_1910
.LBB37_3960:
	v_cmp_ne_u16_e32 vcc, 0, v9
	s_andn2_b64 s[4:5], s[4:5], exec
	s_and_b64 s[8:9], vcc, exec
	v_mov_b32_e32 v10, 0
	s_or_b64 s[4:5], s[4:5], s[8:9]
	s_or_b64 exec, exec, s[6:7]
	s_and_saveexec_b64 s[6:7], s[4:5]
	s_cbranch_execnz .LBB37_1911
	s_branch .LBB37_1912
.LBB37_3961:
	s_movk_i32 s4, 0x80
	v_cmp_eq_u16_sdwa s[12:13], v15, s4 src0_sel:BYTE_3 src1_sel:DWORD
	s_mov_b64 s[4:5], -1
                                        ; implicit-def: $sgpr10
	s_and_saveexec_b64 s[8:9], s[12:13]
; %bb.3962:
	s_mov_b32 s10, 0x7f800001
	s_xor_b64 s[4:5], exec, -1
; %bb.3963:
	s_or_b64 exec, exec, s[8:9]
	s_and_b64 s[4:5], s[4:5], exec
	s_or_saveexec_b64 s[6:7], s[6:7]
	v_mov_b32_e32 v8, s10
	s_xor_b64 exec, exec, s[6:7]
	s_cbranch_execz .LBB37_1914
.LBB37_3964:
	v_mov_b32_e32 v8, 0
	v_cmp_ne_u16_sdwa s[8:9], v15, v8 src0_sel:BYTE_3 src1_sel:DWORD
	s_andn2_b64 s[4:5], s[4:5], exec
	s_and_b64 s[8:9], s[8:9], exec
	s_or_b64 s[4:5], s[4:5], s[8:9]
	s_or_b64 exec, exec, s[6:7]
	s_and_saveexec_b64 s[6:7], s[4:5]
	s_cbranch_execnz .LBB37_1915
	s_branch .LBB37_1916
.LBB37_3965:
	s_movk_i32 s4, 0x80
	v_cmp_eq_u16_sdwa s[12:13], v11, s4 src0_sel:BYTE_3 src1_sel:DWORD
	s_mov_b64 s[4:5], -1
                                        ; implicit-def: $sgpr10
	s_and_saveexec_b64 s[8:9], s[12:13]
; %bb.3966:
	s_mov_b32 s10, 0x7f800001
	s_xor_b64 s[4:5], exec, -1
; %bb.3967:
	s_or_b64 exec, exec, s[8:9]
	s_and_b64 s[4:5], s[4:5], exec
	s_or_saveexec_b64 s[6:7], s[6:7]
	v_mov_b32_e32 v9, s10
	s_xor_b64 exec, exec, s[6:7]
	s_cbranch_execz .LBB37_1918
.LBB37_3968:
	v_mov_b32_e32 v9, 0
	v_cmp_ne_u16_sdwa s[8:9], v11, v9 src0_sel:BYTE_3 src1_sel:DWORD
	s_andn2_b64 s[4:5], s[4:5], exec
	s_and_b64 s[8:9], s[8:9], exec
	s_or_b64 s[4:5], s[4:5], s[8:9]
	s_or_b64 exec, exec, s[6:7]
	s_and_saveexec_b64 s[6:7], s[4:5]
	s_cbranch_execnz .LBB37_1919
	s_branch .LBB37_1920
.LBB37_3969:
	s_movk_i32 s4, 0x80
	v_cmp_eq_u16_sdwa s[12:13], v4, s4 src0_sel:BYTE_0 src1_sel:DWORD
	s_mov_b64 s[4:5], -1
                                        ; implicit-def: $sgpr10
	s_and_saveexec_b64 s[8:9], s[12:13]
; %bb.3970:
	s_mov_b32 s10, 0x7f800001
	s_xor_b64 s[4:5], exec, -1
; %bb.3971:
	s_or_b64 exec, exec, s[8:9]
	s_and_b64 s[4:5], s[4:5], exec
	s_or_saveexec_b64 s[6:7], s[6:7]
	v_mov_b32_e32 v8, s10
	s_xor_b64 exec, exec, s[6:7]
	s_cbranch_execz .LBB37_1922
.LBB37_3972:
	v_mov_b32_e32 v8, 0
	v_cmp_ne_u16_sdwa s[8:9], v4, v8 src0_sel:BYTE_0 src1_sel:DWORD
	s_andn2_b64 s[4:5], s[4:5], exec
	s_and_b64 s[8:9], s[8:9], exec
	s_or_b64 s[4:5], s[4:5], s[8:9]
	s_or_b64 exec, exec, s[6:7]
	s_and_saveexec_b64 s[6:7], s[4:5]
	s_cbranch_execnz .LBB37_1923
	s_branch .LBB37_1924
.LBB37_3973:
	s_movk_i32 s4, 0x80
	v_cmp_eq_u16_sdwa s[12:13], v0, s4 src0_sel:BYTE_0 src1_sel:DWORD
	s_mov_b64 s[4:5], -1
                                        ; implicit-def: $sgpr10
	s_and_saveexec_b64 s[8:9], s[12:13]
; %bb.3974:
	s_mov_b32 s10, 0x7f800001
	s_xor_b64 s[4:5], exec, -1
; %bb.3975:
	s_or_b64 exec, exec, s[8:9]
	s_and_b64 s[4:5], s[4:5], exec
	s_or_saveexec_b64 s[6:7], s[6:7]
	v_mov_b32_e32 v9, s10
	s_xor_b64 exec, exec, s[6:7]
	s_cbranch_execz .LBB37_1926
.LBB37_3976:
	v_mov_b32_e32 v9, 0
	v_cmp_ne_u16_sdwa s[8:9], v0, v9 src0_sel:BYTE_0 src1_sel:DWORD
	s_andn2_b64 s[4:5], s[4:5], exec
	s_and_b64 s[8:9], s[8:9], exec
	s_or_b64 s[4:5], s[4:5], s[8:9]
	s_or_b64 exec, exec, s[6:7]
	s_and_saveexec_b64 s[6:7], s[4:5]
	s_cbranch_execnz .LBB37_1927
	s_branch .LBB37_1928
.LBB37_3977:
	s_movk_i32 s4, 0x80
	v_cmp_eq_u16_sdwa s[12:13], v9, s4 src0_sel:BYTE_0 src1_sel:DWORD
	s_mov_b64 s[4:5], -1
                                        ; implicit-def: $sgpr10
	s_and_saveexec_b64 s[8:9], s[12:13]
; %bb.3978:
	s_mov_b32 s10, 0x7f800001
	s_xor_b64 s[4:5], exec, -1
; %bb.3979:
	s_or_b64 exec, exec, s[8:9]
	s_and_b64 s[4:5], s[4:5], exec
	s_or_saveexec_b64 s[6:7], s[6:7]
	v_mov_b32_e32 v8, s10
	s_xor_b64 exec, exec, s[6:7]
	s_cbranch_execz .LBB37_1930
.LBB37_3980:
	v_mov_b32_e32 v8, 0
	v_cmp_ne_u16_sdwa s[8:9], v9, v8 src0_sel:BYTE_0 src1_sel:DWORD
	s_andn2_b64 s[4:5], s[4:5], exec
	s_and_b64 s[8:9], s[8:9], exec
	s_or_b64 s[4:5], s[4:5], s[8:9]
	s_or_b64 exec, exec, s[6:7]
	s_and_saveexec_b64 s[6:7], s[4:5]
	s_cbranch_execnz .LBB37_1931
	s_branch .LBB37_1932
.LBB37_3981:
	s_movk_i32 s4, 0x80
	v_cmp_eq_u16_sdwa s[12:13], v9, s4 src0_sel:BYTE_0 src1_sel:DWORD
	s_mov_b64 s[4:5], -1
                                        ; implicit-def: $sgpr10
	s_and_saveexec_b64 s[8:9], s[12:13]
; %bb.3982:
	s_mov_b32 s10, 0x7f800001
	s_xor_b64 s[4:5], exec, -1
; %bb.3983:
	s_or_b64 exec, exec, s[8:9]
	s_and_b64 s[4:5], s[4:5], exec
	s_or_saveexec_b64 s[6:7], s[6:7]
	v_mov_b32_e32 v10, s10
	s_xor_b64 exec, exec, s[6:7]
	s_cbranch_execz .LBB37_1934
.LBB37_3984:
	v_mov_b32_e32 v10, 0
	v_cmp_ne_u16_sdwa s[8:9], v9, v10 src0_sel:BYTE_0 src1_sel:DWORD
	s_andn2_b64 s[4:5], s[4:5], exec
	s_and_b64 s[8:9], s[8:9], exec
	s_or_b64 s[4:5], s[4:5], s[8:9]
	s_or_b64 exec, exec, s[6:7]
	s_and_saveexec_b64 s[6:7], s[4:5]
	s_cbranch_execnz .LBB37_1935
	s_branch .LBB37_1936
.LBB37_3985:
	s_movk_i32 s4, 0x80
	v_cmp_eq_u16_e32 vcc, s4, v9
	s_mov_b64 s[4:5], -1
                                        ; implicit-def: $sgpr10
	s_and_saveexec_b64 s[8:9], vcc
; %bb.3986:
	s_mov_b32 s10, 0x7f800001
	s_xor_b64 s[4:5], exec, -1
; %bb.3987:
	s_or_b64 exec, exec, s[8:9]
	s_and_b64 s[4:5], s[4:5], exec
                                        ; implicit-def: $vgpr9
	s_or_saveexec_b64 s[6:7], s[6:7]
	v_mov_b32_e32 v8, s10
	s_xor_b64 exec, exec, s[6:7]
	s_cbranch_execz .LBB37_1938
.LBB37_3988:
	v_cmp_ne_u16_e32 vcc, 0, v9
	s_andn2_b64 s[4:5], s[4:5], exec
	s_and_b64 s[8:9], vcc, exec
	v_mov_b32_e32 v8, 0
	s_or_b64 s[4:5], s[4:5], s[8:9]
	s_or_b64 exec, exec, s[6:7]
	s_and_saveexec_b64 s[6:7], s[4:5]
	s_cbranch_execnz .LBB37_1939
	s_branch .LBB37_1940
.LBB37_3989:
	s_movk_i32 s4, 0x80
	v_cmp_eq_u16_e32 vcc, s4, v9
	s_mov_b64 s[4:5], -1
                                        ; implicit-def: $sgpr10
	s_and_saveexec_b64 s[8:9], vcc
; %bb.3990:
	s_mov_b32 s10, 0x7f800001
	s_xor_b64 s[4:5], exec, -1
; %bb.3991:
	s_or_b64 exec, exec, s[8:9]
	s_and_b64 s[4:5], s[4:5], exec
                                        ; implicit-def: $vgpr9
	s_or_saveexec_b64 s[6:7], s[6:7]
	v_mov_b32_e32 v10, s10
	s_xor_b64 exec, exec, s[6:7]
	s_cbranch_execz .LBB37_1942
.LBB37_3992:
	v_cmp_ne_u16_e32 vcc, 0, v9
	s_andn2_b64 s[4:5], s[4:5], exec
	s_and_b64 s[8:9], vcc, exec
	v_mov_b32_e32 v10, 0
	s_or_b64 s[4:5], s[4:5], s[8:9]
	s_or_b64 exec, exec, s[6:7]
	s_and_saveexec_b64 s[6:7], s[4:5]
	s_cbranch_execnz .LBB37_1943
	s_branch .LBB37_1944
.LBB37_3993:
	s_movk_i32 s4, 0x80
	v_cmp_eq_u16_sdwa s[12:13], v4, s4 src0_sel:BYTE_3 src1_sel:DWORD
	s_mov_b64 s[4:5], -1
                                        ; implicit-def: $sgpr10
	s_and_saveexec_b64 s[8:9], s[12:13]
; %bb.3994:
	s_mov_b32 s10, 0x7f800001
	s_xor_b64 s[4:5], exec, -1
; %bb.3995:
	s_or_b64 exec, exec, s[8:9]
	s_and_b64 s[4:5], s[4:5], exec
	s_or_saveexec_b64 s[6:7], s[6:7]
	v_mov_b32_e32 v8, s10
	s_xor_b64 exec, exec, s[6:7]
	s_cbranch_execz .LBB37_1946
.LBB37_3996:
	v_mov_b32_e32 v8, 0
	v_cmp_ne_u16_sdwa s[8:9], v4, v8 src0_sel:BYTE_3 src1_sel:DWORD
	s_andn2_b64 s[4:5], s[4:5], exec
	s_and_b64 s[8:9], s[8:9], exec
	s_or_b64 s[4:5], s[4:5], s[8:9]
	s_or_b64 exec, exec, s[6:7]
	s_and_saveexec_b64 s[6:7], s[4:5]
	s_cbranch_execnz .LBB37_1947
	s_branch .LBB37_1948
.LBB37_3997:
	s_movk_i32 s4, 0x80
	v_cmp_eq_u16_sdwa s[12:13], v0, s4 src0_sel:BYTE_3 src1_sel:DWORD
	s_mov_b64 s[4:5], -1
                                        ; implicit-def: $sgpr10
	s_and_saveexec_b64 s[8:9], s[12:13]
; %bb.3998:
	s_mov_b32 s10, 0x7f800001
	s_xor_b64 s[4:5], exec, -1
; %bb.3999:
	s_or_b64 exec, exec, s[8:9]
	s_and_b64 s[4:5], s[4:5], exec
	s_or_saveexec_b64 s[6:7], s[6:7]
	v_mov_b32_e32 v4, s10
	s_xor_b64 exec, exec, s[6:7]
	s_cbranch_execz .LBB37_1950
.LBB37_4000:
	v_mov_b32_e32 v4, 0
	v_cmp_ne_u16_sdwa s[8:9], v0, v4 src0_sel:BYTE_3 src1_sel:DWORD
	s_andn2_b64 s[4:5], s[4:5], exec
	s_and_b64 s[8:9], s[8:9], exec
	s_or_b64 s[4:5], s[4:5], s[8:9]
	s_or_b64 exec, exec, s[6:7]
	s_and_saveexec_b64 s[6:7], s[4:5]
	s_cbranch_execnz .LBB37_1951
	s_branch .LBB37_1952
.LBB37_4001:
	s_movk_i32 s4, 0x80
	v_cmp_eq_u16_sdwa s[12:13], v5, s4 src0_sel:BYTE_0 src1_sel:DWORD
	s_mov_b64 s[4:5], -1
                                        ; implicit-def: $sgpr10
	s_and_saveexec_b64 s[8:9], s[12:13]
; %bb.4002:
	s_mov_b32 s10, 0x7f800001
	s_xor_b64 s[4:5], exec, -1
; %bb.4003:
	s_or_b64 exec, exec, s[8:9]
	s_and_b64 s[4:5], s[4:5], exec
	s_or_saveexec_b64 s[6:7], s[6:7]
	v_mov_b32_e32 v0, s10
	s_xor_b64 exec, exec, s[6:7]
	s_cbranch_execz .LBB37_1954
.LBB37_4004:
	v_mov_b32_e32 v0, 0
	v_cmp_ne_u16_sdwa s[8:9], v5, v0 src0_sel:BYTE_0 src1_sel:DWORD
	s_andn2_b64 s[4:5], s[4:5], exec
	s_and_b64 s[8:9], s[8:9], exec
	s_or_b64 s[4:5], s[4:5], s[8:9]
	s_or_b64 exec, exec, s[6:7]
	s_and_saveexec_b64 s[6:7], s[4:5]
	s_cbranch_execnz .LBB37_1955
	s_branch .LBB37_1956
.LBB37_4005:
	s_movk_i32 s4, 0x80
	v_cmp_eq_u16_sdwa s[12:13], v1, s4 src0_sel:BYTE_0 src1_sel:DWORD
	s_mov_b64 s[4:5], -1
                                        ; implicit-def: $sgpr10
	s_and_saveexec_b64 s[8:9], s[12:13]
; %bb.4006:
	s_mov_b32 s10, 0x7f800001
	s_xor_b64 s[4:5], exec, -1
; %bb.4007:
	s_or_b64 exec, exec, s[8:9]
	s_and_b64 s[4:5], s[4:5], exec
	s_or_saveexec_b64 s[6:7], s[6:7]
	v_mov_b32_e32 v4, s10
	s_xor_b64 exec, exec, s[6:7]
	s_cbranch_execz .LBB37_1958
.LBB37_4008:
	v_mov_b32_e32 v4, 0
	v_cmp_ne_u16_sdwa s[8:9], v1, v4 src0_sel:BYTE_0 src1_sel:DWORD
	s_andn2_b64 s[4:5], s[4:5], exec
	s_and_b64 s[8:9], s[8:9], exec
	s_or_b64 s[4:5], s[4:5], s[8:9]
	s_or_b64 exec, exec, s[6:7]
	s_and_saveexec_b64 s[6:7], s[4:5]
	s_cbranch_execnz .LBB37_1959
	s_branch .LBB37_1960
.LBB37_4009:
	s_movk_i32 s4, 0x80
	v_cmp_eq_u16_sdwa s[12:13], v4, s4 src0_sel:BYTE_0 src1_sel:DWORD
	s_mov_b64 s[4:5], -1
                                        ; implicit-def: $sgpr10
	s_and_saveexec_b64 s[8:9], s[12:13]
; %bb.4010:
	s_mov_b32 s10, 0x7f800001
	s_xor_b64 s[4:5], exec, -1
; %bb.4011:
	s_or_b64 exec, exec, s[8:9]
	s_and_b64 s[4:5], s[4:5], exec
	s_or_saveexec_b64 s[6:7], s[6:7]
	v_mov_b32_e32 v0, s10
	s_xor_b64 exec, exec, s[6:7]
	s_cbranch_execz .LBB37_1962
.LBB37_4012:
	v_mov_b32_e32 v0, 0
	v_cmp_ne_u16_sdwa s[8:9], v4, v0 src0_sel:BYTE_0 src1_sel:DWORD
	s_andn2_b64 s[4:5], s[4:5], exec
	s_and_b64 s[8:9], s[8:9], exec
	s_or_b64 s[4:5], s[4:5], s[8:9]
	s_or_b64 exec, exec, s[6:7]
	s_and_saveexec_b64 s[6:7], s[4:5]
	s_cbranch_execnz .LBB37_1963
	s_branch .LBB37_1964
.LBB37_4013:
	s_movk_i32 s4, 0x80
	v_cmp_eq_u16_sdwa s[12:13], v4, s4 src0_sel:BYTE_0 src1_sel:DWORD
	s_mov_b64 s[4:5], -1
                                        ; implicit-def: $sgpr10
	s_and_saveexec_b64 s[8:9], s[12:13]
; %bb.4014:
	s_mov_b32 s10, 0x7f800001
	s_xor_b64 s[4:5], exec, -1
; %bb.4015:
	s_or_b64 exec, exec, s[8:9]
	s_and_b64 s[4:5], s[4:5], exec
	s_or_saveexec_b64 s[6:7], s[6:7]
	v_mov_b32_e32 v8, s10
	s_xor_b64 exec, exec, s[6:7]
	s_cbranch_execz .LBB37_1966
.LBB37_4016:
	v_mov_b32_e32 v8, 0
	v_cmp_ne_u16_sdwa s[8:9], v4, v8 src0_sel:BYTE_0 src1_sel:DWORD
	s_andn2_b64 s[4:5], s[4:5], exec
	s_and_b64 s[8:9], s[8:9], exec
	s_or_b64 s[4:5], s[4:5], s[8:9]
	s_or_b64 exec, exec, s[6:7]
	s_and_saveexec_b64 s[6:7], s[4:5]
	s_cbranch_execnz .LBB37_1967
	s_branch .LBB37_1968
.LBB37_4017:
	s_movk_i32 s4, 0x80
	v_cmp_eq_u16_e32 vcc, s4, v4
	s_mov_b64 s[4:5], -1
                                        ; implicit-def: $sgpr10
	s_and_saveexec_b64 s[8:9], vcc
; %bb.4018:
	s_mov_b32 s10, 0x7f800001
	s_xor_b64 s[4:5], exec, -1
; %bb.4019:
	s_or_b64 exec, exec, s[8:9]
	s_and_b64 s[4:5], s[4:5], exec
                                        ; implicit-def: $vgpr4
	s_or_saveexec_b64 s[6:7], s[6:7]
	v_mov_b32_e32 v0, s10
	s_xor_b64 exec, exec, s[6:7]
	s_cbranch_execz .LBB37_1970
.LBB37_4020:
	v_cmp_ne_u16_e32 vcc, 0, v4
	s_andn2_b64 s[4:5], s[4:5], exec
	s_and_b64 s[8:9], vcc, exec
	v_mov_b32_e32 v0, 0
	s_or_b64 s[4:5], s[4:5], s[8:9]
	s_or_b64 exec, exec, s[6:7]
	s_and_saveexec_b64 s[6:7], s[4:5]
	s_cbranch_execnz .LBB37_1971
	s_branch .LBB37_1972
.LBB37_4021:
	s_movk_i32 s4, 0x80
	v_cmp_eq_u16_e32 vcc, s4, v4
	s_mov_b64 s[4:5], -1
                                        ; implicit-def: $sgpr10
	s_and_saveexec_b64 s[8:9], vcc
; %bb.4022:
	s_mov_b32 s10, 0x7f800001
	s_xor_b64 s[4:5], exec, -1
; %bb.4023:
	s_or_b64 exec, exec, s[8:9]
	s_and_b64 s[4:5], s[4:5], exec
                                        ; implicit-def: $vgpr4
	s_or_saveexec_b64 s[6:7], s[6:7]
	v_mov_b32_e32 v8, s10
	s_xor_b64 exec, exec, s[6:7]
	s_cbranch_execz .LBB37_1974
.LBB37_4024:
	v_cmp_ne_u16_e32 vcc, 0, v4
	s_andn2_b64 s[4:5], s[4:5], exec
	s_and_b64 s[8:9], vcc, exec
	v_mov_b32_e32 v8, 0
	s_or_b64 s[4:5], s[4:5], s[8:9]
	s_or_b64 exec, exec, s[6:7]
	s_and_saveexec_b64 s[6:7], s[4:5]
	s_cbranch_execnz .LBB37_1975
	s_branch .LBB37_1976
.LBB37_4025:
	s_movk_i32 s4, 0x80
	v_cmp_eq_u16_sdwa s[12:13], v5, s4 src0_sel:BYTE_3 src1_sel:DWORD
	s_mov_b64 s[4:5], -1
                                        ; implicit-def: $sgpr10
	s_and_saveexec_b64 s[8:9], s[12:13]
; %bb.4026:
	s_mov_b32 s10, 0x7f800001
	s_xor_b64 s[4:5], exec, -1
; %bb.4027:
	s_or_b64 exec, exec, s[8:9]
	s_and_b64 s[4:5], s[4:5], exec
	s_or_saveexec_b64 s[6:7], s[6:7]
	v_mov_b32_e32 v0, s10
	s_xor_b64 exec, exec, s[6:7]
	s_cbranch_execz .LBB37_1978
.LBB37_4028:
	v_mov_b32_e32 v0, 0
	v_cmp_ne_u16_sdwa s[8:9], v5, v0 src0_sel:BYTE_3 src1_sel:DWORD
	s_andn2_b64 s[4:5], s[4:5], exec
	s_and_b64 s[8:9], s[8:9], exec
	s_or_b64 s[4:5], s[4:5], s[8:9]
	s_or_b64 exec, exec, s[6:7]
	s_and_saveexec_b64 s[6:7], s[4:5]
	s_cbranch_execnz .LBB37_1979
	s_branch .LBB37_1980
.LBB37_4029:
	s_movk_i32 s4, 0x80
	v_cmp_eq_u16_sdwa s[12:13], v1, s4 src0_sel:BYTE_3 src1_sel:DWORD
	s_mov_b64 s[4:5], -1
                                        ; implicit-def: $sgpr10
	s_and_saveexec_b64 s[8:9], s[12:13]
; %bb.4030:
	s_mov_b32 s10, 0x7f800001
	s_xor_b64 s[4:5], exec, -1
; %bb.4031:
	s_or_b64 exec, exec, s[8:9]
	s_and_b64 s[4:5], s[4:5], exec
	s_or_saveexec_b64 s[6:7], s[6:7]
	v_mov_b32_e32 v4, s10
	s_xor_b64 exec, exec, s[6:7]
	s_cbranch_execz .LBB37_1982
.LBB37_4032:
	v_mov_b32_e32 v4, 0
	v_cmp_ne_u16_sdwa s[8:9], v1, v4 src0_sel:BYTE_3 src1_sel:DWORD
	s_andn2_b64 s[4:5], s[4:5], exec
	s_and_b64 s[8:9], s[8:9], exec
	s_or_b64 s[4:5], s[4:5], s[8:9]
	s_or_b64 exec, exec, s[6:7]
	s_and_saveexec_b64 s[6:7], s[4:5]
	s_cbranch_execnz .LBB37_1983
	s_branch .LBB37_1984
.LBB37_4033:
	s_movk_i32 s4, 0x80
	v_cmp_eq_u16_sdwa s[12:13], v6, s4 src0_sel:BYTE_0 src1_sel:DWORD
	s_mov_b64 s[4:5], -1
                                        ; implicit-def: $sgpr10
	s_and_saveexec_b64 s[8:9], s[12:13]
; %bb.4034:
	s_mov_b32 s10, 0x7f800001
	s_xor_b64 s[4:5], exec, -1
; %bb.4035:
	s_or_b64 exec, exec, s[8:9]
	s_and_b64 s[4:5], s[4:5], exec
	s_or_saveexec_b64 s[6:7], s[6:7]
	v_mov_b32_e32 v0, s10
	s_xor_b64 exec, exec, s[6:7]
	s_cbranch_execz .LBB37_1986
.LBB37_4036:
	v_mov_b32_e32 v0, 0
	v_cmp_ne_u16_sdwa s[8:9], v6, v0 src0_sel:BYTE_0 src1_sel:DWORD
	s_andn2_b64 s[4:5], s[4:5], exec
	s_and_b64 s[8:9], s[8:9], exec
	s_or_b64 s[4:5], s[4:5], s[8:9]
	s_or_b64 exec, exec, s[6:7]
	s_and_saveexec_b64 s[6:7], s[4:5]
	s_cbranch_execnz .LBB37_1987
	s_branch .LBB37_1988
.LBB37_4037:
	s_movk_i32 s4, 0x80
	v_cmp_eq_u16_sdwa s[12:13], v2, s4 src0_sel:BYTE_0 src1_sel:DWORD
	s_mov_b64 s[4:5], -1
                                        ; implicit-def: $sgpr10
	s_and_saveexec_b64 s[8:9], s[12:13]
; %bb.4038:
	s_mov_b32 s10, 0x7f800001
	s_xor_b64 s[4:5], exec, -1
; %bb.4039:
	s_or_b64 exec, exec, s[8:9]
	s_and_b64 s[4:5], s[4:5], exec
	s_or_saveexec_b64 s[6:7], s[6:7]
	v_mov_b32_e32 v1, s10
	s_xor_b64 exec, exec, s[6:7]
	s_cbranch_execz .LBB37_1990
.LBB37_4040:
	v_mov_b32_e32 v1, 0
	v_cmp_ne_u16_sdwa s[8:9], v2, v1 src0_sel:BYTE_0 src1_sel:DWORD
	s_andn2_b64 s[4:5], s[4:5], exec
	s_and_b64 s[8:9], s[8:9], exec
	s_or_b64 s[4:5], s[4:5], s[8:9]
	s_or_b64 exec, exec, s[6:7]
	s_and_saveexec_b64 s[6:7], s[4:5]
	s_cbranch_execnz .LBB37_1991
	s_branch .LBB37_1992
.LBB37_4041:
	s_movk_i32 s4, 0x80
	v_cmp_eq_u16_sdwa s[12:13], v1, s4 src0_sel:BYTE_0 src1_sel:DWORD
	s_mov_b64 s[4:5], -1
                                        ; implicit-def: $sgpr10
	s_and_saveexec_b64 s[8:9], s[12:13]
; %bb.4042:
	s_mov_b32 s10, 0x7f800001
	s_xor_b64 s[4:5], exec, -1
; %bb.4043:
	s_or_b64 exec, exec, s[8:9]
	s_and_b64 s[4:5], s[4:5], exec
	s_or_saveexec_b64 s[6:7], s[6:7]
	v_mov_b32_e32 v0, s10
	s_xor_b64 exec, exec, s[6:7]
	s_cbranch_execz .LBB37_1994
.LBB37_4044:
	v_mov_b32_e32 v0, 0
	v_cmp_ne_u16_sdwa s[8:9], v1, v0 src0_sel:BYTE_0 src1_sel:DWORD
	s_andn2_b64 s[4:5], s[4:5], exec
	s_and_b64 s[8:9], s[8:9], exec
	s_or_b64 s[4:5], s[4:5], s[8:9]
	s_or_b64 exec, exec, s[6:7]
	s_and_saveexec_b64 s[6:7], s[4:5]
	s_cbranch_execnz .LBB37_1995
	s_branch .LBB37_1996
.LBB37_4045:
	s_movk_i32 s4, 0x80
	v_cmp_eq_u16_sdwa s[12:13], v1, s4 src0_sel:BYTE_0 src1_sel:DWORD
	s_mov_b64 s[4:5], -1
                                        ; implicit-def: $sgpr10
	s_and_saveexec_b64 s[8:9], s[12:13]
; %bb.4046:
	s_mov_b32 s10, 0x7f800001
	s_xor_b64 s[4:5], exec, -1
; %bb.4047:
	s_or_b64 exec, exec, s[8:9]
	s_and_b64 s[4:5], s[4:5], exec
	s_or_saveexec_b64 s[6:7], s[6:7]
	v_mov_b32_e32 v4, s10
	s_xor_b64 exec, exec, s[6:7]
	s_cbranch_execz .LBB37_1998
.LBB37_4048:
	v_mov_b32_e32 v4, 0
	v_cmp_ne_u16_sdwa s[8:9], v1, v4 src0_sel:BYTE_0 src1_sel:DWORD
	s_andn2_b64 s[4:5], s[4:5], exec
	s_and_b64 s[8:9], s[8:9], exec
	s_or_b64 s[4:5], s[4:5], s[8:9]
	s_or_b64 exec, exec, s[6:7]
	s_and_saveexec_b64 s[6:7], s[4:5]
	s_cbranch_execnz .LBB37_1999
	s_branch .LBB37_2000
.LBB37_4049:
	s_movk_i32 s4, 0x80
	v_cmp_eq_u16_e32 vcc, s4, v1
	s_mov_b64 s[4:5], -1
                                        ; implicit-def: $sgpr10
	s_and_saveexec_b64 s[8:9], vcc
; %bb.4050:
	s_mov_b32 s10, 0x7f800001
	s_xor_b64 s[4:5], exec, -1
; %bb.4051:
	s_or_b64 exec, exec, s[8:9]
	s_and_b64 s[4:5], s[4:5], exec
                                        ; implicit-def: $vgpr1
	s_or_saveexec_b64 s[6:7], s[6:7]
	v_mov_b32_e32 v0, s10
	s_xor_b64 exec, exec, s[6:7]
	s_cbranch_execz .LBB37_2002
.LBB37_4052:
	v_cmp_ne_u16_e32 vcc, 0, v1
	s_andn2_b64 s[4:5], s[4:5], exec
	s_and_b64 s[8:9], vcc, exec
	v_mov_b32_e32 v0, 0
	s_or_b64 s[4:5], s[4:5], s[8:9]
	s_or_b64 exec, exec, s[6:7]
	s_and_saveexec_b64 s[6:7], s[4:5]
	s_cbranch_execnz .LBB37_2003
	s_branch .LBB37_2004
.LBB37_4053:
	s_movk_i32 s4, 0x80
	v_cmp_eq_u16_e32 vcc, s4, v1
	s_mov_b64 s[4:5], -1
                                        ; implicit-def: $sgpr10
	s_and_saveexec_b64 s[8:9], vcc
; %bb.4054:
	s_mov_b32 s10, 0x7f800001
	s_xor_b64 s[4:5], exec, -1
; %bb.4055:
	s_or_b64 exec, exec, s[8:9]
	s_and_b64 s[4:5], s[4:5], exec
                                        ; implicit-def: $vgpr1
	s_or_saveexec_b64 s[6:7], s[6:7]
	v_mov_b32_e32 v4, s10
	s_xor_b64 exec, exec, s[6:7]
	s_cbranch_execz .LBB37_2006
.LBB37_4056:
	v_cmp_ne_u16_e32 vcc, 0, v1
	s_andn2_b64 s[4:5], s[4:5], exec
	s_and_b64 s[8:9], vcc, exec
	v_mov_b32_e32 v4, 0
	s_or_b64 s[4:5], s[4:5], s[8:9]
	s_or_b64 exec, exec, s[6:7]
	s_and_saveexec_b64 s[6:7], s[4:5]
	s_cbranch_execnz .LBB37_2007
	s_branch .LBB37_2008
.LBB37_4057:
	s_movk_i32 s4, 0x80
	v_cmp_eq_u16_sdwa s[12:13], v6, s4 src0_sel:BYTE_3 src1_sel:DWORD
	s_mov_b64 s[4:5], -1
                                        ; implicit-def: $sgpr10
	s_and_saveexec_b64 s[8:9], s[12:13]
; %bb.4058:
	s_mov_b32 s10, 0x7f800001
	s_xor_b64 s[4:5], exec, -1
; %bb.4059:
	s_or_b64 exec, exec, s[8:9]
	s_and_b64 s[4:5], s[4:5], exec
	s_or_saveexec_b64 s[6:7], s[6:7]
	v_mov_b32_e32 v0, s10
	s_xor_b64 exec, exec, s[6:7]
	s_cbranch_execz .LBB37_2010
.LBB37_4060:
	v_mov_b32_e32 v0, 0
	v_cmp_ne_u16_sdwa s[8:9], v6, v0 src0_sel:BYTE_3 src1_sel:DWORD
	s_andn2_b64 s[4:5], s[4:5], exec
	s_and_b64 s[8:9], s[8:9], exec
	s_or_b64 s[4:5], s[4:5], s[8:9]
	s_or_b64 exec, exec, s[6:7]
	s_and_saveexec_b64 s[6:7], s[4:5]
	s_cbranch_execnz .LBB37_2011
	s_branch .LBB37_2012
.LBB37_4061:
	s_movk_i32 s4, 0x80
	v_cmp_eq_u16_sdwa s[12:13], v2, s4 src0_sel:BYTE_3 src1_sel:DWORD
	s_mov_b64 s[4:5], -1
                                        ; implicit-def: $sgpr10
	s_and_saveexec_b64 s[8:9], s[12:13]
; %bb.4062:
	s_mov_b32 s10, 0x7f800001
	s_xor_b64 s[4:5], exec, -1
; %bb.4063:
	s_or_b64 exec, exec, s[8:9]
	s_and_b64 s[4:5], s[4:5], exec
	s_or_saveexec_b64 s[6:7], s[6:7]
	v_mov_b32_e32 v1, s10
	s_xor_b64 exec, exec, s[6:7]
	s_cbranch_execz .LBB37_2014
.LBB37_4064:
	v_mov_b32_e32 v1, 0
	v_cmp_ne_u16_sdwa s[8:9], v2, v1 src0_sel:BYTE_3 src1_sel:DWORD
	s_andn2_b64 s[4:5], s[4:5], exec
	s_and_b64 s[8:9], s[8:9], exec
	s_or_b64 s[4:5], s[4:5], s[8:9]
	s_or_b64 exec, exec, s[6:7]
	s_and_saveexec_b64 s[6:7], s[4:5]
	s_cbranch_execnz .LBB37_2015
	s_branch .LBB37_2016
.LBB37_4065:
	s_movk_i32 s4, 0x80
	v_cmp_eq_u16_sdwa s[12:13], v7, s4 src0_sel:BYTE_0 src1_sel:DWORD
	s_mov_b64 s[4:5], -1
                                        ; implicit-def: $sgpr10
	s_and_saveexec_b64 s[8:9], s[12:13]
; %bb.4066:
	s_mov_b32 s10, 0x7f800001
	s_xor_b64 s[4:5], exec, -1
; %bb.4067:
	s_or_b64 exec, exec, s[8:9]
	s_and_b64 s[4:5], s[4:5], exec
	s_or_saveexec_b64 s[6:7], s[6:7]
	v_mov_b32_e32 v0, s10
	s_xor_b64 exec, exec, s[6:7]
	s_cbranch_execz .LBB37_2018
.LBB37_4068:
	v_mov_b32_e32 v0, 0
	v_cmp_ne_u16_sdwa s[8:9], v7, v0 src0_sel:BYTE_0 src1_sel:DWORD
	s_andn2_b64 s[4:5], s[4:5], exec
	s_and_b64 s[8:9], s[8:9], exec
	s_or_b64 s[4:5], s[4:5], s[8:9]
	s_or_b64 exec, exec, s[6:7]
	s_and_saveexec_b64 s[6:7], s[4:5]
	s_cbranch_execnz .LBB37_2019
	s_branch .LBB37_2020
.LBB37_4069:
	s_movk_i32 s4, 0x80
	v_cmp_eq_u16_sdwa s[12:13], v3, s4 src0_sel:BYTE_0 src1_sel:DWORD
	s_mov_b64 s[4:5], -1
                                        ; implicit-def: $sgpr10
	s_and_saveexec_b64 s[8:9], s[12:13]
; %bb.4070:
	s_mov_b32 s10, 0x7f800001
	s_xor_b64 s[4:5], exec, -1
; %bb.4071:
	s_or_b64 exec, exec, s[8:9]
	s_and_b64 s[4:5], s[4:5], exec
	s_or_saveexec_b64 s[6:7], s[6:7]
	v_mov_b32_e32 v1, s10
	s_xor_b64 exec, exec, s[6:7]
	s_cbranch_execz .LBB37_2022
.LBB37_4072:
	v_mov_b32_e32 v1, 0
	v_cmp_ne_u16_sdwa s[8:9], v3, v1 src0_sel:BYTE_0 src1_sel:DWORD
	s_andn2_b64 s[4:5], s[4:5], exec
	s_and_b64 s[8:9], s[8:9], exec
	s_or_b64 s[4:5], s[4:5], s[8:9]
	s_or_b64 exec, exec, s[6:7]
	s_and_saveexec_b64 s[6:7], s[4:5]
	s_cbranch_execnz .LBB37_2023
	s_branch .LBB37_2024
.LBB37_4073:
	s_movk_i32 s4, 0x80
	v_cmp_eq_u16_sdwa s[12:13], v1, s4 src0_sel:BYTE_0 src1_sel:DWORD
	s_mov_b64 s[4:5], -1
                                        ; implicit-def: $sgpr10
	s_and_saveexec_b64 s[8:9], s[12:13]
; %bb.4074:
	s_mov_b32 s10, 0x7f800001
	s_xor_b64 s[4:5], exec, -1
; %bb.4075:
	s_or_b64 exec, exec, s[8:9]
	s_and_b64 s[4:5], s[4:5], exec
	s_or_saveexec_b64 s[6:7], s[6:7]
	v_mov_b32_e32 v0, s10
	s_xor_b64 exec, exec, s[6:7]
	s_cbranch_execz .LBB37_2026
.LBB37_4076:
	v_mov_b32_e32 v0, 0
	v_cmp_ne_u16_sdwa s[8:9], v1, v0 src0_sel:BYTE_0 src1_sel:DWORD
	s_andn2_b64 s[4:5], s[4:5], exec
	s_and_b64 s[8:9], s[8:9], exec
	s_or_b64 s[4:5], s[4:5], s[8:9]
	s_or_b64 exec, exec, s[6:7]
	s_and_saveexec_b64 s[6:7], s[4:5]
	s_cbranch_execnz .LBB37_2027
	s_branch .LBB37_2028
.LBB37_4077:
	s_movk_i32 s4, 0x80
	v_cmp_eq_u16_sdwa s[12:13], v1, s4 src0_sel:BYTE_0 src1_sel:DWORD
	s_mov_b64 s[4:5], -1
                                        ; implicit-def: $sgpr10
	s_and_saveexec_b64 s[8:9], s[12:13]
; %bb.4078:
	s_mov_b32 s10, 0x7f800001
	s_xor_b64 s[4:5], exec, -1
; %bb.4079:
	s_or_b64 exec, exec, s[8:9]
	s_and_b64 s[4:5], s[4:5], exec
	s_or_saveexec_b64 s[6:7], s[6:7]
	v_mov_b32_e32 v2, s10
	s_xor_b64 exec, exec, s[6:7]
	s_cbranch_execz .LBB37_2030
.LBB37_4080:
	v_mov_b32_e32 v2, 0
	v_cmp_ne_u16_sdwa s[8:9], v1, v2 src0_sel:BYTE_0 src1_sel:DWORD
	s_andn2_b64 s[4:5], s[4:5], exec
	s_and_b64 s[8:9], s[8:9], exec
	s_or_b64 s[4:5], s[4:5], s[8:9]
	s_or_b64 exec, exec, s[6:7]
	s_and_saveexec_b64 s[6:7], s[4:5]
	s_cbranch_execnz .LBB37_2031
	s_branch .LBB37_2032
.LBB37_4081:
	s_movk_i32 s4, 0x80
	v_cmp_eq_u16_e32 vcc, s4, v1
	s_mov_b64 s[4:5], -1
                                        ; implicit-def: $sgpr10
	s_and_saveexec_b64 s[8:9], vcc
; %bb.4082:
	s_mov_b32 s10, 0x7f800001
	s_xor_b64 s[4:5], exec, -1
; %bb.4083:
	s_or_b64 exec, exec, s[8:9]
	s_and_b64 s[4:5], s[4:5], exec
                                        ; implicit-def: $vgpr1
	s_or_saveexec_b64 s[6:7], s[6:7]
	v_mov_b32_e32 v0, s10
	s_xor_b64 exec, exec, s[6:7]
	s_cbranch_execz .LBB37_2034
.LBB37_4084:
	v_cmp_ne_u16_e32 vcc, 0, v1
	s_andn2_b64 s[4:5], s[4:5], exec
	s_and_b64 s[8:9], vcc, exec
	v_mov_b32_e32 v0, 0
	s_or_b64 s[4:5], s[4:5], s[8:9]
	s_or_b64 exec, exec, s[6:7]
	s_and_saveexec_b64 s[6:7], s[4:5]
	s_cbranch_execnz .LBB37_2035
	s_branch .LBB37_2036
.LBB37_4085:
	s_movk_i32 s4, 0x80
	v_cmp_eq_u16_e32 vcc, s4, v1
	s_mov_b64 s[4:5], -1
                                        ; implicit-def: $sgpr10
	s_and_saveexec_b64 s[8:9], vcc
; %bb.4086:
	s_mov_b32 s10, 0x7f800001
	s_xor_b64 s[4:5], exec, -1
; %bb.4087:
	s_or_b64 exec, exec, s[8:9]
	s_and_b64 s[4:5], s[4:5], exec
                                        ; implicit-def: $vgpr1
	s_or_saveexec_b64 s[6:7], s[6:7]
	v_mov_b32_e32 v2, s10
	s_xor_b64 exec, exec, s[6:7]
	s_cbranch_execz .LBB37_2038
.LBB37_4088:
	v_cmp_ne_u16_e32 vcc, 0, v1
	s_andn2_b64 s[4:5], s[4:5], exec
	s_and_b64 s[8:9], vcc, exec
	v_mov_b32_e32 v2, 0
	s_or_b64 s[4:5], s[4:5], s[8:9]
	s_or_b64 exec, exec, s[6:7]
	s_and_saveexec_b64 s[6:7], s[4:5]
	s_cbranch_execnz .LBB37_2039
	s_branch .LBB37_2040
.LBB37_4089:
	s_movk_i32 s4, 0x80
	v_cmp_eq_u16_sdwa s[12:13], v7, s4 src0_sel:BYTE_3 src1_sel:DWORD
	s_mov_b64 s[4:5], -1
                                        ; implicit-def: $sgpr10
	s_and_saveexec_b64 s[8:9], s[12:13]
; %bb.4090:
	s_mov_b32 s10, 0x7f800001
	s_xor_b64 s[4:5], exec, -1
; %bb.4091:
	s_or_b64 exec, exec, s[8:9]
	s_and_b64 s[4:5], s[4:5], exec
	s_or_saveexec_b64 s[6:7], s[6:7]
	v_mov_b32_e32 v0, s10
	s_xor_b64 exec, exec, s[6:7]
	s_cbranch_execz .LBB37_2042
.LBB37_4092:
	v_mov_b32_e32 v0, 0
	v_cmp_ne_u16_sdwa s[8:9], v7, v0 src0_sel:BYTE_3 src1_sel:DWORD
	s_andn2_b64 s[4:5], s[4:5], exec
	s_and_b64 s[8:9], s[8:9], exec
	s_or_b64 s[4:5], s[4:5], s[8:9]
	s_or_b64 exec, exec, s[6:7]
	s_and_saveexec_b64 s[6:7], s[4:5]
	s_cbranch_execnz .LBB37_2043
	s_branch .LBB37_2044
.LBB37_4093:
	s_movk_i32 s4, 0x80
	v_cmp_eq_u16_sdwa s[12:13], v3, s4 src0_sel:BYTE_3 src1_sel:DWORD
	s_mov_b64 s[4:5], -1
                                        ; implicit-def: $sgpr10
	s_and_saveexec_b64 s[8:9], s[12:13]
; %bb.4094:
	s_mov_b32 s10, 0x7f800001
	s_xor_b64 s[4:5], exec, -1
; %bb.4095:
	s_or_b64 exec, exec, s[8:9]
	s_and_b64 s[4:5], s[4:5], exec
	s_or_saveexec_b64 s[6:7], s[6:7]
	v_mov_b32_e32 v1, s10
	s_xor_b64 exec, exec, s[6:7]
	s_cbranch_execz .LBB37_2046
.LBB37_4096:
	v_mov_b32_e32 v1, 0
	v_cmp_ne_u16_sdwa s[8:9], v3, v1 src0_sel:BYTE_3 src1_sel:DWORD
	s_andn2_b64 s[4:5], s[4:5], exec
	s_and_b64 s[8:9], s[8:9], exec
	s_or_b64 s[4:5], s[4:5], s[8:9]
	s_or_b64 exec, exec, s[6:7]
	s_and_saveexec_b64 s[6:7], s[4:5]
	s_cbranch_execnz .LBB37_2047
	s_branch .LBB37_2048
.Lfunc_end37:
	.size	_ZNK2ck6detail7applierIiJLi0ELi1ELi2ELi3ELi4ELi5ELi6ELi7EEEclIZNKS_11static_fordINS_8SequenceIJLi1ELi8EEEENS5_IJLi0ELi1EEEEEclIZZZNKS_52BlockwiseGemmXdlops_pipeline_bpreshuffle_bdequant_v3ILNS_26BlockGemmPipelineSchedulerE0ELi256ENS_9f8_fnuz_tENS_7pk_i4_tESC_fNS_16TensorDescriptorINS_5TupleIJNS_5EmbedINSF_IJNS_17integral_constantIiLi8EEENSH_IiLi256EEENSH_IiLi16EEEEEENSF_IJSK_NSH_IiLi128EEENSH_IiLi1EEEEEELb0EEENS_3XorINSF_IJSJ_SI_EEELb1EEENS_11PassThroughISK_EENS_7UnMergeINSF_IJSI_SN_EEELb0EEENST_ISJ_EESU_NST_ISI_EENS_21Merge_v3_division_modINSF_IJSJ_SN_EEEEESU_EEENSF_IJNS5_IJLi0EEEENS5_IJLi2ELi1EEEENS5_IJLi3EEEENS5_IJLi5EEEENS5_IJLi4EEEENS5_IJLi6EEEENS5_IJLi7EEEENS5_IJLi9ELi8EEEENS5_IJLi10EEEEEEENSF_IJNS5_IJLi1ELi2ELi3EEEENS5_IJLi4ELi5EEEES19_NS5_IJLi7ELi8EEEENS5_IJLi9EEEES1C_NS5_IJLi11EEEENS5_IJLi12EEEENS5_IJLi13EEEEEEENS5_IJLi11ELi12ELi13EEEENSH_IlLl32768EEEEENSE_INSF_IJNSV_INSF_IJSI_SN_SN_NSH_IiLi32EEEEEELb0EEEEEENSF_IJS14_EEENSF_IJNS5_IJLi1ELi2ELi3ELi4EEEEEEES1U_NSH_IlLl256EEEEENSE_INSF_IJSP_SS_SU_SX_SY_SU_SZ_S12_SU_NS10_INSF_IJSI_SK_EEEEENSV_INSF_IJSI_NSH_IiLi2EEESK_EEELb0EEEEEENSF_IJS14_S15_S16_S17_S18_S19_S1A_S1B_S1C_NS5_IJLi11ELi13EEEES1J_EEENSF_IJS1E_S1F_S19_S1G_S1H_S1C_S1I_S1J_S1K_NS5_IJLi14EEEENS5_IJLi15ELi16ELi17EEEEEEENS5_IJLi15ELi16ELi17ELi14EEEES1N_EENSE_INSF_IJS1R_NS10_ISW_EES22_EEENSF_IJS14_NS5_IJLi1ELi3EEEENS5_IJLi2EEEEEEENSF_IJS1U_S17_NS5_IJLi6ELi7ELi8EEEEEEENS5_IJLi6ELi7ELi8ELi5EEEES1W_EELi16ELi32ELi256ELi256ELi128ELi16ELi16ELi8ELi8ELi32ELb0EE3RunILb1ELNS_10TailNumberE1ENSE_INSF_IJNSG_INSF_IJiiEEENSF_IJiSN_EEELb0EEENSV_IS2N_Lb0EEENST_IiEEEEENSF_IJS14_S2E_NS5_IJLi1EEEEEEENSF_IJNS5_IJLi1ELi2EEEENS5_IJLi3ELi4EEEES17_EEENS5_IJLi3ELi5ELi4EEEElEES1O_NS_35ThreadGroupTensorSliceTransfer_v4r1INS_15ThisThreadBlockILi256EEENS_16tensor_operation12element_wise11PassThroughES35_LNS_25InMemoryDataOperationEnumE0ENS5_IJLi8ELi256ELi16EEEENS5_IJLi8ELi32ELi1EEEENS5_IJLi1ELi0ELi2EEEESC_SC_RKS2Z_KS1O_S39_NS5_IJLi0ELi1ELi2EEEELi2ELi2ELi16ELi16ELi1ELi1ELb0ELb1ELi2EiEENS_13DynamicBufferILNS_16AddressSpaceEnumE1EKSC_lLb1ELNS_22AmdBufferCoherenceEnumE0EiEENSF_IJNS3F_ILS3G_2ESC_S1N_Lb1ELS3I_0EiEES3K_EEENSF_IJiiiEEENSE_INSF_IJNSG_INSF_IJiiiiEEENSF_IJiiiSN_EEELb0EEEEEES1T_S1V_S1U_lEENS_32ThreadwiseTensorSliceTransfer_v2ISD_SD_RKS3R_KS1X_NS5_IJLi8ELi1ELi1ELi32EEEENS5_IJLi1ELi2ELi0ELi3EEEELi3ELi32ELi0ELb1ELb0ELb0EEENS3F_ILS3G_1EKSD_lLb1ELS3I_0EiEENSF_IJNS_12StaticBufferILS3G_4ESD_Li256ELb1EEES42_EEES3N_NS_25StaticBufferTupleOfVectorILS3G_4EfLi64ELi4ELb1ELb0EEEEEvRKT1_RKT2_RT3_RKT4_RT5_RKT6_RKT7_RT8_RKT9_RT10_RKT11_RT12_iENKUlT_T0_E_clISN_NSH_IiLi0EEEEEDaS51_S52_ENKUlS51_E_clISN_EEDaS51_EUlS51_E_EEvS51_EUlS51_E_EEvS51_, .Lfunc_end37-_ZNK2ck6detail7applierIiJLi0ELi1ELi2ELi3ELi4ELi5ELi6ELi7EEEclIZNKS_11static_fordINS_8SequenceIJLi1ELi8EEEENS5_IJLi0ELi1EEEEEclIZZZNKS_52BlockwiseGemmXdlops_pipeline_bpreshuffle_bdequant_v3ILNS_26BlockGemmPipelineSchedulerE0ELi256ENS_9f8_fnuz_tENS_7pk_i4_tESC_fNS_16TensorDescriptorINS_5TupleIJNS_5EmbedINSF_IJNS_17integral_constantIiLi8EEENSH_IiLi256EEENSH_IiLi16EEEEEENSF_IJSK_NSH_IiLi128EEENSH_IiLi1EEEEEELb0EEENS_3XorINSF_IJSJ_SI_EEELb1EEENS_11PassThroughISK_EENS_7UnMergeINSF_IJSI_SN_EEELb0EEENST_ISJ_EESU_NST_ISI_EENS_21Merge_v3_division_modINSF_IJSJ_SN_EEEEESU_EEENSF_IJNS5_IJLi0EEEENS5_IJLi2ELi1EEEENS5_IJLi3EEEENS5_IJLi5EEEENS5_IJLi4EEEENS5_IJLi6EEEENS5_IJLi7EEEENS5_IJLi9ELi8EEEENS5_IJLi10EEEEEEENSF_IJNS5_IJLi1ELi2ELi3EEEENS5_IJLi4ELi5EEEES19_NS5_IJLi7ELi8EEEENS5_IJLi9EEEES1C_NS5_IJLi11EEEENS5_IJLi12EEEENS5_IJLi13EEEEEEENS5_IJLi11ELi12ELi13EEEENSH_IlLl32768EEEEENSE_INSF_IJNSV_INSF_IJSI_SN_SN_NSH_IiLi32EEEEEELb0EEEEEENSF_IJS14_EEENSF_IJNS5_IJLi1ELi2ELi3ELi4EEEEEEES1U_NSH_IlLl256EEEEENSE_INSF_IJSP_SS_SU_SX_SY_SU_SZ_S12_SU_NS10_INSF_IJSI_SK_EEEEENSV_INSF_IJSI_NSH_IiLi2EEESK_EEELb0EEEEEENSF_IJS14_S15_S16_S17_S18_S19_S1A_S1B_S1C_NS5_IJLi11ELi13EEEES1J_EEENSF_IJS1E_S1F_S19_S1G_S1H_S1C_S1I_S1J_S1K_NS5_IJLi14EEEENS5_IJLi15ELi16ELi17EEEEEEENS5_IJLi15ELi16ELi17ELi14EEEES1N_EENSE_INSF_IJS1R_NS10_ISW_EES22_EEENSF_IJS14_NS5_IJLi1ELi3EEEENS5_IJLi2EEEEEEENSF_IJS1U_S17_NS5_IJLi6ELi7ELi8EEEEEEENS5_IJLi6ELi7ELi8ELi5EEEES1W_EELi16ELi32ELi256ELi256ELi128ELi16ELi16ELi8ELi8ELi32ELb0EE3RunILb1ELNS_10TailNumberE1ENSE_INSF_IJNSG_INSF_IJiiEEENSF_IJiSN_EEELb0EEENSV_IS2N_Lb0EEENST_IiEEEEENSF_IJS14_S2E_NS5_IJLi1EEEEEEENSF_IJNS5_IJLi1ELi2EEEENS5_IJLi3ELi4EEEES17_EEENS5_IJLi3ELi5ELi4EEEElEES1O_NS_35ThreadGroupTensorSliceTransfer_v4r1INS_15ThisThreadBlockILi256EEENS_16tensor_operation12element_wise11PassThroughES35_LNS_25InMemoryDataOperationEnumE0ENS5_IJLi8ELi256ELi16EEEENS5_IJLi8ELi32ELi1EEEENS5_IJLi1ELi0ELi2EEEESC_SC_RKS2Z_KS1O_S39_NS5_IJLi0ELi1ELi2EEEELi2ELi2ELi16ELi16ELi1ELi1ELb0ELb1ELi2EiEENS_13DynamicBufferILNS_16AddressSpaceEnumE1EKSC_lLb1ELNS_22AmdBufferCoherenceEnumE0EiEENSF_IJNS3F_ILS3G_2ESC_S1N_Lb1ELS3I_0EiEES3K_EEENSF_IJiiiEEENSE_INSF_IJNSG_INSF_IJiiiiEEENSF_IJiiiSN_EEELb0EEEEEES1T_S1V_S1U_lEENS_32ThreadwiseTensorSliceTransfer_v2ISD_SD_RKS3R_KS1X_NS5_IJLi8ELi1ELi1ELi32EEEENS5_IJLi1ELi2ELi0ELi3EEEELi3ELi32ELi0ELb1ELb0ELb0EEENS3F_ILS3G_1EKSD_lLb1ELS3I_0EiEENSF_IJNS_12StaticBufferILS3G_4ESD_Li256ELb1EEES42_EEES3N_NS_25StaticBufferTupleOfVectorILS3G_4EfLi64ELi4ELb1ELb0EEEEEvRKT1_RKT2_RT3_RKT4_RT5_RKT6_RKT7_RT8_RKT9_RT10_RKT11_RT12_iENKUlT_T0_E_clISN_NSH_IiLi0EEEEEDaS51_S52_ENKUlS51_E_clISN_EEDaS51_EUlS51_E_EEvS51_EUlS51_E_EEvS51_
                                        ; -- End function
	.section	.AMDGPU.csdata,"",@progbits
; Function info:
; codeLenInByte = 133608
; NumSgprs: 36
; NumVgprs: 26
; NumAgprs: 4
; TotalNumVgprs: 32
; ScratchSize: 0
; MemoryBound: 1
	.text
	.p2align	2                               ; -- Begin function _ZNK2ck6detail7applierIiJLi0ELi1ELi2ELi3ELi4ELi5ELi6ELi7EEEclIZNKS_11static_fordINS_8SequenceIJLi1ELi8EEEENS5_IJLi0ELi1EEEEEclIZZZNKS_52BlockwiseGemmXdlops_pipeline_bpreshuffle_bdequant_v3ILNS_26BlockGemmPipelineSchedulerE0ELi256ENS_9f8_fnuz_tENS_7pk_i4_tESC_fNS_16TensorDescriptorINS_5TupleIJNS_5EmbedINSF_IJNS_17integral_constantIiLi8EEENSH_IiLi256EEENSH_IiLi16EEEEEENSF_IJSK_NSH_IiLi128EEENSH_IiLi1EEEEEELb0EEENS_3XorINSF_IJSJ_SI_EEELb1EEENS_11PassThroughISK_EENS_7UnMergeINSF_IJSI_SN_EEELb0EEENST_ISJ_EESU_NST_ISI_EENS_21Merge_v3_division_modINSF_IJSJ_SN_EEEEESU_EEENSF_IJNS5_IJLi0EEEENS5_IJLi2ELi1EEEENS5_IJLi3EEEENS5_IJLi5EEEENS5_IJLi4EEEENS5_IJLi6EEEENS5_IJLi7EEEENS5_IJLi9ELi8EEEENS5_IJLi10EEEEEEENSF_IJNS5_IJLi1ELi2ELi3EEEENS5_IJLi4ELi5EEEES19_NS5_IJLi7ELi8EEEENS5_IJLi9EEEES1C_NS5_IJLi11EEEENS5_IJLi12EEEENS5_IJLi13EEEEEEENS5_IJLi11ELi12ELi13EEEENSH_IlLl32768EEEEENSE_INSF_IJNSV_INSF_IJSI_SN_SN_NSH_IiLi32EEEEEELb0EEEEEENSF_IJS14_EEENSF_IJNS5_IJLi1ELi2ELi3ELi4EEEEEEES1U_NSH_IlLl256EEEEENSE_INSF_IJSP_SS_SU_SX_SY_SU_SZ_S12_SU_NS10_INSF_IJSI_SK_EEEEENSV_INSF_IJSI_NSH_IiLi2EEESK_EEELb0EEEEEENSF_IJS14_S15_S16_S17_S18_S19_S1A_S1B_S1C_NS5_IJLi11ELi13EEEES1J_EEENSF_IJS1E_S1F_S19_S1G_S1H_S1C_S1I_S1J_S1K_NS5_IJLi14EEEENS5_IJLi15ELi16ELi17EEEEEEENS5_IJLi15ELi16ELi17ELi14EEEES1N_EENSE_INSF_IJS1R_NS10_ISW_EES22_EEENSF_IJS14_NS5_IJLi1ELi3EEEENS5_IJLi2EEEEEEENSF_IJS1U_S17_NS5_IJLi6ELi7ELi8EEEEEEENS5_IJLi6ELi7ELi8ELi5EEEES1W_EELi16ELi32ELi256ELi256ELi128ELi16ELi16ELi8ELi8ELi32ELb0EE3RunILb1ELNS_10TailNumberE1ENSE_INSF_IJNSG_INSF_IJiiEEENSF_IJiSN_EEELb0EEENSV_IS2N_Lb0EEENST_IiEEEEENSF_IJS14_S2E_NS5_IJLi1EEEEEEENSF_IJNS5_IJLi1ELi2EEEENS5_IJLi3ELi4EEEES17_EEENS5_IJLi3ELi5ELi4EEEElEES1O_NS_35ThreadGroupTensorSliceTransfer_v4r1INS_15ThisThreadBlockILi256EEENS_16tensor_operation12element_wise11PassThroughES35_LNS_25InMemoryDataOperationEnumE0ENS5_IJLi8ELi256ELi16EEEENS5_IJLi8ELi32ELi1EEEENS5_IJLi1ELi0ELi2EEEESC_SC_RKS2Z_KS1O_S39_NS5_IJLi0ELi1ELi2EEEELi2ELi2ELi16ELi16ELi1ELi1ELb0ELb1ELi2EiEENS_13DynamicBufferILNS_16AddressSpaceEnumE1EKSC_lLb1ELNS_22AmdBufferCoherenceEnumE0EiEENSF_IJNS3F_ILS3G_2ESC_S1N_Lb1ELS3I_0EiEES3K_EEENSF_IJiiiEEENSE_INSF_IJNSG_INSF_IJiiiiEEENSF_IJiiiSN_EEELb0EEEEEES1T_S1V_S1U_lEENS_32ThreadwiseTensorSliceTransfer_v2ISD_SD_RKS3R_KS1X_NS5_IJLi8ELi1ELi1ELi32EEEENS5_IJLi1ELi2ELi0ELi3EEEELi3ELi32ELi0ELb1ELb0ELb0EEENS3F_ILS3G_1EKSD_lLb1ELS3I_0EiEENSF_IJNS_12StaticBufferILS3G_4ESD_Li256ELb1EEES42_EEES3N_NS_25StaticBufferTupleOfVectorILS3G_4EfLi64ELi4ELb1ELb0EEEEEvRKT1_RKT2_RT3_RKT4_RT5_RKT6_RKT7_RT8_RKT9_RT10_RKT11_RT12_iENKUlT_T0_E_clISN_NSH_IiLi0EEEEEDaS51_S52_ENKUlS51_E_clIS20_EEDaS51_EUlS51_E_EEvS51_EUlS51_E_EEvS51_
	.type	_ZNK2ck6detail7applierIiJLi0ELi1ELi2ELi3ELi4ELi5ELi6ELi7EEEclIZNKS_11static_fordINS_8SequenceIJLi1ELi8EEEENS5_IJLi0ELi1EEEEEclIZZZNKS_52BlockwiseGemmXdlops_pipeline_bpreshuffle_bdequant_v3ILNS_26BlockGemmPipelineSchedulerE0ELi256ENS_9f8_fnuz_tENS_7pk_i4_tESC_fNS_16TensorDescriptorINS_5TupleIJNS_5EmbedINSF_IJNS_17integral_constantIiLi8EEENSH_IiLi256EEENSH_IiLi16EEEEEENSF_IJSK_NSH_IiLi128EEENSH_IiLi1EEEEEELb0EEENS_3XorINSF_IJSJ_SI_EEELb1EEENS_11PassThroughISK_EENS_7UnMergeINSF_IJSI_SN_EEELb0EEENST_ISJ_EESU_NST_ISI_EENS_21Merge_v3_division_modINSF_IJSJ_SN_EEEEESU_EEENSF_IJNS5_IJLi0EEEENS5_IJLi2ELi1EEEENS5_IJLi3EEEENS5_IJLi5EEEENS5_IJLi4EEEENS5_IJLi6EEEENS5_IJLi7EEEENS5_IJLi9ELi8EEEENS5_IJLi10EEEEEEENSF_IJNS5_IJLi1ELi2ELi3EEEENS5_IJLi4ELi5EEEES19_NS5_IJLi7ELi8EEEENS5_IJLi9EEEES1C_NS5_IJLi11EEEENS5_IJLi12EEEENS5_IJLi13EEEEEEENS5_IJLi11ELi12ELi13EEEENSH_IlLl32768EEEEENSE_INSF_IJNSV_INSF_IJSI_SN_SN_NSH_IiLi32EEEEEELb0EEEEEENSF_IJS14_EEENSF_IJNS5_IJLi1ELi2ELi3ELi4EEEEEEES1U_NSH_IlLl256EEEEENSE_INSF_IJSP_SS_SU_SX_SY_SU_SZ_S12_SU_NS10_INSF_IJSI_SK_EEEEENSV_INSF_IJSI_NSH_IiLi2EEESK_EEELb0EEEEEENSF_IJS14_S15_S16_S17_S18_S19_S1A_S1B_S1C_NS5_IJLi11ELi13EEEES1J_EEENSF_IJS1E_S1F_S19_S1G_S1H_S1C_S1I_S1J_S1K_NS5_IJLi14EEEENS5_IJLi15ELi16ELi17EEEEEEENS5_IJLi15ELi16ELi17ELi14EEEES1N_EENSE_INSF_IJS1R_NS10_ISW_EES22_EEENSF_IJS14_NS5_IJLi1ELi3EEEENS5_IJLi2EEEEEEENSF_IJS1U_S17_NS5_IJLi6ELi7ELi8EEEEEEENS5_IJLi6ELi7ELi8ELi5EEEES1W_EELi16ELi32ELi256ELi256ELi128ELi16ELi16ELi8ELi8ELi32ELb0EE3RunILb1ELNS_10TailNumberE1ENSE_INSF_IJNSG_INSF_IJiiEEENSF_IJiSN_EEELb0EEENSV_IS2N_Lb0EEENST_IiEEEEENSF_IJS14_S2E_NS5_IJLi1EEEEEEENSF_IJNS5_IJLi1ELi2EEEENS5_IJLi3ELi4EEEES17_EEENS5_IJLi3ELi5ELi4EEEElEES1O_NS_35ThreadGroupTensorSliceTransfer_v4r1INS_15ThisThreadBlockILi256EEENS_16tensor_operation12element_wise11PassThroughES35_LNS_25InMemoryDataOperationEnumE0ENS5_IJLi8ELi256ELi16EEEENS5_IJLi8ELi32ELi1EEEENS5_IJLi1ELi0ELi2EEEESC_SC_RKS2Z_KS1O_S39_NS5_IJLi0ELi1ELi2EEEELi2ELi2ELi16ELi16ELi1ELi1ELb0ELb1ELi2EiEENS_13DynamicBufferILNS_16AddressSpaceEnumE1EKSC_lLb1ELNS_22AmdBufferCoherenceEnumE0EiEENSF_IJNS3F_ILS3G_2ESC_S1N_Lb1ELS3I_0EiEES3K_EEENSF_IJiiiEEENSE_INSF_IJNSG_INSF_IJiiiiEEENSF_IJiiiSN_EEELb0EEEEEES1T_S1V_S1U_lEENS_32ThreadwiseTensorSliceTransfer_v2ISD_SD_RKS3R_KS1X_NS5_IJLi8ELi1ELi1ELi32EEEENS5_IJLi1ELi2ELi0ELi3EEEELi3ELi32ELi0ELb1ELb0ELb0EEENS3F_ILS3G_1EKSD_lLb1ELS3I_0EiEENSF_IJNS_12StaticBufferILS3G_4ESD_Li256ELb1EEES42_EEES3N_NS_25StaticBufferTupleOfVectorILS3G_4EfLi64ELi4ELb1ELb0EEEEEvRKT1_RKT2_RT3_RKT4_RT5_RKT6_RKT7_RT8_RKT9_RT10_RKT11_RT12_iENKUlT_T0_E_clISN_NSH_IiLi0EEEEEDaS51_S52_ENKUlS51_E_clIS20_EEDaS51_EUlS51_E_EEvS51_EUlS51_E_EEvS51_,@function
_ZNK2ck6detail7applierIiJLi0ELi1ELi2ELi3ELi4ELi5ELi6ELi7EEEclIZNKS_11static_fordINS_8SequenceIJLi1ELi8EEEENS5_IJLi0ELi1EEEEEclIZZZNKS_52BlockwiseGemmXdlops_pipeline_bpreshuffle_bdequant_v3ILNS_26BlockGemmPipelineSchedulerE0ELi256ENS_9f8_fnuz_tENS_7pk_i4_tESC_fNS_16TensorDescriptorINS_5TupleIJNS_5EmbedINSF_IJNS_17integral_constantIiLi8EEENSH_IiLi256EEENSH_IiLi16EEEEEENSF_IJSK_NSH_IiLi128EEENSH_IiLi1EEEEEELb0EEENS_3XorINSF_IJSJ_SI_EEELb1EEENS_11PassThroughISK_EENS_7UnMergeINSF_IJSI_SN_EEELb0EEENST_ISJ_EESU_NST_ISI_EENS_21Merge_v3_division_modINSF_IJSJ_SN_EEEEESU_EEENSF_IJNS5_IJLi0EEEENS5_IJLi2ELi1EEEENS5_IJLi3EEEENS5_IJLi5EEEENS5_IJLi4EEEENS5_IJLi6EEEENS5_IJLi7EEEENS5_IJLi9ELi8EEEENS5_IJLi10EEEEEEENSF_IJNS5_IJLi1ELi2ELi3EEEENS5_IJLi4ELi5EEEES19_NS5_IJLi7ELi8EEEENS5_IJLi9EEEES1C_NS5_IJLi11EEEENS5_IJLi12EEEENS5_IJLi13EEEEEEENS5_IJLi11ELi12ELi13EEEENSH_IlLl32768EEEEENSE_INSF_IJNSV_INSF_IJSI_SN_SN_NSH_IiLi32EEEEEELb0EEEEEENSF_IJS14_EEENSF_IJNS5_IJLi1ELi2ELi3ELi4EEEEEEES1U_NSH_IlLl256EEEEENSE_INSF_IJSP_SS_SU_SX_SY_SU_SZ_S12_SU_NS10_INSF_IJSI_SK_EEEEENSV_INSF_IJSI_NSH_IiLi2EEESK_EEELb0EEEEEENSF_IJS14_S15_S16_S17_S18_S19_S1A_S1B_S1C_NS5_IJLi11ELi13EEEES1J_EEENSF_IJS1E_S1F_S19_S1G_S1H_S1C_S1I_S1J_S1K_NS5_IJLi14EEEENS5_IJLi15ELi16ELi17EEEEEEENS5_IJLi15ELi16ELi17ELi14EEEES1N_EENSE_INSF_IJS1R_NS10_ISW_EES22_EEENSF_IJS14_NS5_IJLi1ELi3EEEENS5_IJLi2EEEEEEENSF_IJS1U_S17_NS5_IJLi6ELi7ELi8EEEEEEENS5_IJLi6ELi7ELi8ELi5EEEES1W_EELi16ELi32ELi256ELi256ELi128ELi16ELi16ELi8ELi8ELi32ELb0EE3RunILb1ELNS_10TailNumberE1ENSE_INSF_IJNSG_INSF_IJiiEEENSF_IJiSN_EEELb0EEENSV_IS2N_Lb0EEENST_IiEEEEENSF_IJS14_S2E_NS5_IJLi1EEEEEEENSF_IJNS5_IJLi1ELi2EEEENS5_IJLi3ELi4EEEES17_EEENS5_IJLi3ELi5ELi4EEEElEES1O_NS_35ThreadGroupTensorSliceTransfer_v4r1INS_15ThisThreadBlockILi256EEENS_16tensor_operation12element_wise11PassThroughES35_LNS_25InMemoryDataOperationEnumE0ENS5_IJLi8ELi256ELi16EEEENS5_IJLi8ELi32ELi1EEEENS5_IJLi1ELi0ELi2EEEESC_SC_RKS2Z_KS1O_S39_NS5_IJLi0ELi1ELi2EEEELi2ELi2ELi16ELi16ELi1ELi1ELb0ELb1ELi2EiEENS_13DynamicBufferILNS_16AddressSpaceEnumE1EKSC_lLb1ELNS_22AmdBufferCoherenceEnumE0EiEENSF_IJNS3F_ILS3G_2ESC_S1N_Lb1ELS3I_0EiEES3K_EEENSF_IJiiiEEENSE_INSF_IJNSG_INSF_IJiiiiEEENSF_IJiiiSN_EEELb0EEEEEES1T_S1V_S1U_lEENS_32ThreadwiseTensorSliceTransfer_v2ISD_SD_RKS3R_KS1X_NS5_IJLi8ELi1ELi1ELi32EEEENS5_IJLi1ELi2ELi0ELi3EEEELi3ELi32ELi0ELb1ELb0ELb0EEENS3F_ILS3G_1EKSD_lLb1ELS3I_0EiEENSF_IJNS_12StaticBufferILS3G_4ESD_Li256ELb1EEES42_EEES3N_NS_25StaticBufferTupleOfVectorILS3G_4EfLi64ELi4ELb1ELb0EEEEEvRKT1_RKT2_RT3_RKT4_RT5_RKT6_RKT7_RT8_RKT9_RT10_RKT11_RT12_iENKUlT_T0_E_clISN_NSH_IiLi0EEEEEDaS51_S52_ENKUlS51_E_clIS20_EEDaS51_EUlS51_E_EEvS51_EUlS51_E_EEvS51_: ; @_ZNK2ck6detail7applierIiJLi0ELi1ELi2ELi3ELi4ELi5ELi6ELi7EEEclIZNKS_11static_fordINS_8SequenceIJLi1ELi8EEEENS5_IJLi0ELi1EEEEEclIZZZNKS_52BlockwiseGemmXdlops_pipeline_bpreshuffle_bdequant_v3ILNS_26BlockGemmPipelineSchedulerE0ELi256ENS_9f8_fnuz_tENS_7pk_i4_tESC_fNS_16TensorDescriptorINS_5TupleIJNS_5EmbedINSF_IJNS_17integral_constantIiLi8EEENSH_IiLi256EEENSH_IiLi16EEEEEENSF_IJSK_NSH_IiLi128EEENSH_IiLi1EEEEEELb0EEENS_3XorINSF_IJSJ_SI_EEELb1EEENS_11PassThroughISK_EENS_7UnMergeINSF_IJSI_SN_EEELb0EEENST_ISJ_EESU_NST_ISI_EENS_21Merge_v3_division_modINSF_IJSJ_SN_EEEEESU_EEENSF_IJNS5_IJLi0EEEENS5_IJLi2ELi1EEEENS5_IJLi3EEEENS5_IJLi5EEEENS5_IJLi4EEEENS5_IJLi6EEEENS5_IJLi7EEEENS5_IJLi9ELi8EEEENS5_IJLi10EEEEEEENSF_IJNS5_IJLi1ELi2ELi3EEEENS5_IJLi4ELi5EEEES19_NS5_IJLi7ELi8EEEENS5_IJLi9EEEES1C_NS5_IJLi11EEEENS5_IJLi12EEEENS5_IJLi13EEEEEEENS5_IJLi11ELi12ELi13EEEENSH_IlLl32768EEEEENSE_INSF_IJNSV_INSF_IJSI_SN_SN_NSH_IiLi32EEEEEELb0EEEEEENSF_IJS14_EEENSF_IJNS5_IJLi1ELi2ELi3ELi4EEEEEEES1U_NSH_IlLl256EEEEENSE_INSF_IJSP_SS_SU_SX_SY_SU_SZ_S12_SU_NS10_INSF_IJSI_SK_EEEEENSV_INSF_IJSI_NSH_IiLi2EEESK_EEELb0EEEEEENSF_IJS14_S15_S16_S17_S18_S19_S1A_S1B_S1C_NS5_IJLi11ELi13EEEES1J_EEENSF_IJS1E_S1F_S19_S1G_S1H_S1C_S1I_S1J_S1K_NS5_IJLi14EEEENS5_IJLi15ELi16ELi17EEEEEEENS5_IJLi15ELi16ELi17ELi14EEEES1N_EENSE_INSF_IJS1R_NS10_ISW_EES22_EEENSF_IJS14_NS5_IJLi1ELi3EEEENS5_IJLi2EEEEEEENSF_IJS1U_S17_NS5_IJLi6ELi7ELi8EEEEEEENS5_IJLi6ELi7ELi8ELi5EEEES1W_EELi16ELi32ELi256ELi256ELi128ELi16ELi16ELi8ELi8ELi32ELb0EE3RunILb1ELNS_10TailNumberE1ENSE_INSF_IJNSG_INSF_IJiiEEENSF_IJiSN_EEELb0EEENSV_IS2N_Lb0EEENST_IiEEEEENSF_IJS14_S2E_NS5_IJLi1EEEEEEENSF_IJNS5_IJLi1ELi2EEEENS5_IJLi3ELi4EEEES17_EEENS5_IJLi3ELi5ELi4EEEElEES1O_NS_35ThreadGroupTensorSliceTransfer_v4r1INS_15ThisThreadBlockILi256EEENS_16tensor_operation12element_wise11PassThroughES35_LNS_25InMemoryDataOperationEnumE0ENS5_IJLi8ELi256ELi16EEEENS5_IJLi8ELi32ELi1EEEENS5_IJLi1ELi0ELi2EEEESC_SC_RKS2Z_KS1O_S39_NS5_IJLi0ELi1ELi2EEEELi2ELi2ELi16ELi16ELi1ELi1ELb0ELb1ELi2EiEENS_13DynamicBufferILNS_16AddressSpaceEnumE1EKSC_lLb1ELNS_22AmdBufferCoherenceEnumE0EiEENSF_IJNS3F_ILS3G_2ESC_S1N_Lb1ELS3I_0EiEES3K_EEENSF_IJiiiEEENSE_INSF_IJNSG_INSF_IJiiiiEEENSF_IJiiiSN_EEELb0EEEEEES1T_S1V_S1U_lEENS_32ThreadwiseTensorSliceTransfer_v2ISD_SD_RKS3R_KS1X_NS5_IJLi8ELi1ELi1ELi32EEEENS5_IJLi1ELi2ELi0ELi3EEEELi3ELi32ELi0ELb1ELb0ELb0EEENS3F_ILS3G_1EKSD_lLb1ELS3I_0EiEENSF_IJNS_12StaticBufferILS3G_4ESD_Li256ELb1EEES42_EEES3N_NS_25StaticBufferTupleOfVectorILS3G_4EfLi64ELi4ELb1ELb0EEEEEvRKT1_RKT2_RT3_RKT4_RT5_RKT6_RKT7_RT8_RKT9_RT10_RKT11_RT12_iENKUlT_T0_E_clISN_NSH_IiLi0EEEEEDaS51_S52_ENKUlS51_E_clIS20_EEDaS51_EUlS51_E_EEvS51_EUlS51_E_EEvS51_
; %bb.0:
	s_waitcnt vmcnt(0) expcnt(0) lgkmcnt(0)
	flat_load_dwordx4 v[20:23], v[0:1] offset:16
	flat_load_dwordx2 v[18:19], v[0:1] offset:32
	s_movk_i32 s4, 0x7f
                                        ; implicit-def: $sgpr10
	s_waitcnt vmcnt(0) lgkmcnt(0)
	flat_load_dwordx4 v[14:17], v[20:21]
	flat_load_dwordx4 v[6:9], v[20:21] offset:16
	flat_load_dwordx4 v[10:13], v[22:23] offset:256
	;; [unrolled: 1-line block ×3, first 2 shown]
	s_waitcnt vmcnt(0) lgkmcnt(0)
	v_cmp_gt_i16_sdwa s[6:7], v14, s4 src0_sel:BYTE_0 src1_sel:DWORD
	s_mov_b64 s[4:5], 0
	s_and_saveexec_b64 s[8:9], s[6:7]
	s_xor_b64 s[6:7], exec, s[8:9]
	s_cbranch_execnz .LBB38_2049
; %bb.1:
	s_or_saveexec_b64 s[6:7], s[6:7]
	v_mov_b32_e32 v20, s10
	s_xor_b64 exec, exec, s[6:7]
	s_cbranch_execnz .LBB38_2052
.LBB38_2:
	s_or_b64 exec, exec, s[6:7]
	s_and_saveexec_b64 s[6:7], s[4:5]
	s_cbranch_execz .LBB38_4
.LBB38_3:
	v_and_b32_e32 v20, 7, v14
	v_ffbh_u32_e32 v22, v20
	v_min_u32_e32 v22, 32, v22
	v_lshrrev_b16_e32 v21, 3, v14
	v_subrev_u32_e32 v23, 28, v22
	v_and_b32_e32 v21, 15, v21
	v_lshlrev_b32_e32 v23, v23, v14
	v_sub_u32_e32 v22, 29, v22
	v_and_b32_e32 v23, 7, v23
	v_cmp_eq_u16_e32 vcc, 0, v21
	v_cndmask_b32_e32 v20, v20, v23, vcc
	v_cndmask_b32_e32 v21, v21, v22, vcc
	v_lshlrev_b32_e32 v22, 24, v14
	v_mov_b32_e32 v23, 0x3b800000
	v_lshlrev_b32_e32 v20, 20, v20
	v_and_b32_e32 v22, 0x80000000, v22
	v_lshl_add_u32 v21, v21, 23, v23
	v_or3_b32 v20, v22, v21, v20
.LBB38_4:
	s_or_b64 exec, exec, s[6:7]
	s_movk_i32 s4, 0x7f
	v_cmp_gt_i16_sdwa s[6:7], v10, s4 src0_sel:BYTE_0 src1_sel:DWORD
	s_mov_b64 s[4:5], 0
                                        ; implicit-def: $sgpr10
	s_and_saveexec_b64 s[8:9], s[6:7]
	s_xor_b64 s[6:7], exec, s[8:9]
	s_cbranch_execnz .LBB38_2053
; %bb.5:
	s_or_saveexec_b64 s[6:7], s[6:7]
	v_mov_b32_e32 v21, s10
	s_xor_b64 exec, exec, s[6:7]
	s_cbranch_execnz .LBB38_2056
.LBB38_6:
	s_or_b64 exec, exec, s[6:7]
	s_and_saveexec_b64 s[6:7], s[4:5]
	s_cbranch_execz .LBB38_8
.LBB38_7:
	v_and_b32_e32 v21, 7, v10
	v_ffbh_u32_e32 v23, v21
	v_min_u32_e32 v23, 32, v23
	v_lshrrev_b16_e32 v22, 3, v10
	v_subrev_u32_e32 v24, 28, v23
	v_and_b32_e32 v22, 15, v22
	v_lshlrev_b32_e32 v24, v24, v10
	v_sub_u32_e32 v23, 29, v23
	v_and_b32_e32 v24, 7, v24
	v_cmp_eq_u16_e32 vcc, 0, v22
	v_cndmask_b32_e32 v21, v21, v24, vcc
	v_cndmask_b32_e32 v22, v22, v23, vcc
	v_lshlrev_b32_e32 v23, 24, v10
	v_mov_b32_e32 v24, 0x3b800000
	v_lshlrev_b32_e32 v21, 20, v21
	v_and_b32_e32 v23, 0x80000000, v23
	v_lshl_add_u32 v22, v22, 23, v24
	v_or3_b32 v21, v23, v22, v21
.LBB38_8:
	s_or_b64 exec, exec, s[6:7]
	flat_load_dwordx4 a[0:3], v[18:19] offset:256
	s_movk_i32 s4, 0x7f
                                        ; implicit-def: $sgpr10
	s_waitcnt vmcnt(0) lgkmcnt(0)
	v_mfma_f32_16x16x4f32 a[0:3], v20, v21, a[0:3]
	v_lshrrev_b32_e32 v21, 8, v14
	v_cmp_gt_i16_sdwa s[6:7], v21, s4 src0_sel:BYTE_0 src1_sel:DWORD
	s_mov_b64 s[4:5], 0
	s_and_saveexec_b64 s[8:9], s[6:7]
	s_xor_b64 s[6:7], exec, s[8:9]
	s_cbranch_execnz .LBB38_2057
; %bb.9:
	s_or_saveexec_b64 s[6:7], s[6:7]
	v_mov_b32_e32 v20, s10
	s_xor_b64 exec, exec, s[6:7]
	s_cbranch_execnz .LBB38_2060
.LBB38_10:
	s_or_b64 exec, exec, s[6:7]
	s_and_saveexec_b64 s[6:7], s[4:5]
	s_cbranch_execz .LBB38_12
.LBB38_11:
	v_bfe_u32 v20, v14, 8, 3
	v_ffbh_u32_e32 v23, v20
	v_min_u32_e32 v23, 32, v23
	v_lshrrev_b16_e32 v22, 3, v21
	v_subrev_u32_e32 v24, 28, v23
	v_and_b32_e32 v22, 15, v22
	v_lshlrev_b32_e32 v21, v24, v21
	v_sub_u32_e32 v23, 29, v23
	v_and_b32_e32 v21, 7, v21
	v_cmp_eq_u16_e32 vcc, 0, v22
	v_cndmask_b32_e32 v20, v20, v21, vcc
	v_cndmask_b32_e32 v21, v22, v23, vcc
	v_lshlrev_b32_e32 v22, 16, v14
	v_mov_b32_e32 v23, 0x3b800000
	v_lshlrev_b32_e32 v20, 20, v20
	v_and_b32_e32 v22, 0x80000000, v22
	v_lshl_add_u32 v21, v21, 23, v23
	v_or3_b32 v20, v22, v21, v20
.LBB38_12:
	s_or_b64 exec, exec, s[6:7]
	v_lshrrev_b32_e32 v21, 8, v10
	s_movk_i32 s4, 0x7f
	v_cmp_gt_i16_sdwa s[6:7], v21, s4 src0_sel:BYTE_0 src1_sel:DWORD
	s_mov_b64 s[4:5], 0
                                        ; implicit-def: $sgpr10
	s_and_saveexec_b64 s[8:9], s[6:7]
	s_xor_b64 s[6:7], exec, s[8:9]
	s_cbranch_execnz .LBB38_2061
; %bb.13:
	s_or_saveexec_b64 s[6:7], s[6:7]
	v_mov_b32_e32 v22, s10
	s_xor_b64 exec, exec, s[6:7]
	s_cbranch_execnz .LBB38_2064
.LBB38_14:
	s_or_b64 exec, exec, s[6:7]
	s_and_saveexec_b64 s[6:7], s[4:5]
	s_cbranch_execz .LBB38_16
.LBB38_15:
	v_bfe_u32 v22, v10, 8, 3
	v_ffbh_u32_e32 v24, v22
	v_min_u32_e32 v24, 32, v24
	v_lshrrev_b16_e32 v23, 3, v21
	v_subrev_u32_e32 v25, 28, v24
	v_and_b32_e32 v23, 15, v23
	v_lshlrev_b32_e32 v21, v25, v21
	v_sub_u32_e32 v24, 29, v24
	v_and_b32_e32 v21, 7, v21
	v_cmp_eq_u16_e32 vcc, 0, v23
	v_cndmask_b32_e32 v21, v22, v21, vcc
	v_cndmask_b32_e32 v22, v23, v24, vcc
	v_lshlrev_b32_e32 v23, 16, v10
	v_mov_b32_e32 v24, 0x3b800000
	v_lshlrev_b32_e32 v21, 20, v21
	v_and_b32_e32 v23, 0x80000000, v23
	v_lshl_add_u32 v22, v22, 23, v24
	v_or3_b32 v22, v23, v22, v21
.LBB38_16:
	s_or_b64 exec, exec, s[6:7]
	s_nop 0
	v_mfma_f32_16x16x4f32 a[0:3], v20, v22, a[0:3]
	s_movk_i32 s4, 0xff
	v_and_b32_sdwa v21, v14, s4 dst_sel:DWORD dst_unused:UNUSED_PAD src0_sel:WORD_1 src1_sel:DWORD
	s_movk_i32 s4, 0x7f
	v_cmp_lt_i16_e32 vcc, s4, v21
	s_mov_b64 s[4:5], 0
                                        ; implicit-def: $sgpr10
	s_and_saveexec_b64 s[6:7], vcc
	s_xor_b64 s[6:7], exec, s[6:7]
	s_cbranch_execnz .LBB38_2065
; %bb.17:
	s_or_saveexec_b64 s[6:7], s[6:7]
	v_mov_b32_e32 v20, s10
	s_xor_b64 exec, exec, s[6:7]
	s_cbranch_execnz .LBB38_2068
.LBB38_18:
	s_or_b64 exec, exec, s[6:7]
	s_and_saveexec_b64 s[6:7], s[4:5]
	s_cbranch_execz .LBB38_20
.LBB38_19:
	v_bfe_u32 v20, v14, 16, 3
	v_ffbh_u32_e32 v23, v20
	v_min_u32_e32 v23, 32, v23
	v_lshrrev_b32_e32 v21, 19, v14
	v_subrev_u32_e32 v24, 28, v23
	v_and_b32_e32 v21, 15, v21
	v_lshlrev_b32_sdwa v24, v24, v14 dst_sel:DWORD dst_unused:UNUSED_PAD src0_sel:DWORD src1_sel:WORD_1
	v_bfe_u32 v22, v14, 19, 4
	v_sub_u32_e32 v23, 29, v23
	v_and_b32_e32 v24, 7, v24
	v_cmp_eq_u16_e32 vcc, 0, v21
	v_cndmask_b32_e32 v20, v20, v24, vcc
	v_cndmask_b32_e32 v21, v22, v23, vcc
	v_lshlrev_b32_e32 v22, 8, v14
	v_mov_b32_e32 v23, 0x3b800000
	v_lshlrev_b32_e32 v20, 20, v20
	v_and_b32_e32 v22, 0x80000000, v22
	v_lshl_add_u32 v21, v21, 23, v23
	v_or3_b32 v20, v22, v21, v20
.LBB38_20:
	s_or_b64 exec, exec, s[6:7]
	s_movk_i32 s4, 0xff
	v_and_b32_sdwa v21, v10, s4 dst_sel:DWORD dst_unused:UNUSED_PAD src0_sel:WORD_1 src1_sel:DWORD
	s_movk_i32 s4, 0x7f
	v_cmp_lt_i16_e32 vcc, s4, v21
	s_mov_b64 s[4:5], 0
                                        ; implicit-def: $sgpr10
	s_and_saveexec_b64 s[6:7], vcc
	s_xor_b64 s[6:7], exec, s[6:7]
	s_cbranch_execnz .LBB38_2069
; %bb.21:
	s_or_saveexec_b64 s[6:7], s[6:7]
	v_mov_b32_e32 v22, s10
	s_xor_b64 exec, exec, s[6:7]
	s_cbranch_execnz .LBB38_2072
.LBB38_22:
	s_or_b64 exec, exec, s[6:7]
	s_and_saveexec_b64 s[6:7], s[4:5]
	s_cbranch_execz .LBB38_24
.LBB38_23:
	v_bfe_u32 v21, v10, 16, 3
	v_ffbh_u32_e32 v24, v21
	v_min_u32_e32 v24, 32, v24
	v_lshrrev_b32_e32 v22, 19, v10
	v_subrev_u32_e32 v25, 28, v24
	v_and_b32_e32 v22, 15, v22
	v_lshlrev_b32_sdwa v25, v25, v10 dst_sel:DWORD dst_unused:UNUSED_PAD src0_sel:DWORD src1_sel:WORD_1
	v_bfe_u32 v23, v10, 19, 4
	v_sub_u32_e32 v24, 29, v24
	v_and_b32_e32 v25, 7, v25
	v_cmp_eq_u16_e32 vcc, 0, v22
	v_cndmask_b32_e32 v21, v21, v25, vcc
	v_cndmask_b32_e32 v22, v23, v24, vcc
	v_lshlrev_b32_e32 v23, 8, v10
	v_mov_b32_e32 v24, 0x3b800000
	v_lshlrev_b32_e32 v21, 20, v21
	v_and_b32_e32 v23, 0x80000000, v23
	v_lshl_add_u32 v22, v22, 23, v24
	v_or3_b32 v22, v23, v22, v21
.LBB38_24:
	s_or_b64 exec, exec, s[6:7]
	s_nop 0
	v_mfma_f32_16x16x4f32 a[0:3], v20, v22, a[0:3]
	s_movk_i32 s4, 0x7f
	v_cmp_gt_i16_sdwa s[6:7], v14, s4 src0_sel:BYTE_3 src1_sel:DWORD
	s_mov_b64 s[4:5], 0
                                        ; implicit-def: $sgpr10
	s_and_saveexec_b64 s[8:9], s[6:7]
	s_xor_b64 s[6:7], exec, s[8:9]
	s_cbranch_execnz .LBB38_2073
; %bb.25:
	s_or_saveexec_b64 s[6:7], s[6:7]
	v_mov_b32_e32 v20, s10
	s_xor_b64 exec, exec, s[6:7]
	s_cbranch_execnz .LBB38_2076
.LBB38_26:
	s_or_b64 exec, exec, s[6:7]
	s_and_saveexec_b64 s[6:7], s[4:5]
	s_cbranch_execz .LBB38_28
.LBB38_27:
	v_bfe_u32 v20, v14, 24, 3
	v_ffbh_u32_e32 v24, v20
	v_min_u32_e32 v24, 32, v24
	v_lshrrev_b32_e32 v22, 27, v14
	v_subrev_u32_e32 v25, 28, v24
	v_and_b32_e32 v21, 0x80000000, v14
	v_and_b32_e32 v22, 15, v22
	v_bfe_u32 v23, v14, 27, 4
	v_lshlrev_b32_sdwa v14, v25, v14 dst_sel:DWORD dst_unused:UNUSED_PAD src0_sel:DWORD src1_sel:BYTE_3
	v_sub_u32_e32 v24, 29, v24
	v_and_b32_e32 v14, 7, v14
	v_cmp_eq_u16_e32 vcc, 0, v22
	v_cndmask_b32_e32 v14, v20, v14, vcc
	v_cndmask_b32_e32 v20, v23, v24, vcc
	v_mov_b32_e32 v22, 0x3b800000
	v_lshlrev_b32_e32 v14, 20, v14
	v_lshl_add_u32 v20, v20, 23, v22
	v_or3_b32 v20, v21, v20, v14
.LBB38_28:
	s_or_b64 exec, exec, s[6:7]
	s_movk_i32 s4, 0x7f
	v_cmp_gt_i16_sdwa s[6:7], v10, s4 src0_sel:BYTE_3 src1_sel:DWORD
	s_mov_b64 s[4:5], 0
                                        ; implicit-def: $sgpr10
	s_and_saveexec_b64 s[8:9], s[6:7]
	s_xor_b64 s[6:7], exec, s[8:9]
	s_cbranch_execnz .LBB38_2077
; %bb.29:
	s_or_saveexec_b64 s[6:7], s[6:7]
	v_mov_b32_e32 v14, s10
	s_xor_b64 exec, exec, s[6:7]
	s_cbranch_execnz .LBB38_2080
.LBB38_30:
	s_or_b64 exec, exec, s[6:7]
	s_and_saveexec_b64 s[6:7], s[4:5]
	s_cbranch_execz .LBB38_32
.LBB38_31:
	v_bfe_u32 v14, v10, 24, 3
	v_ffbh_u32_e32 v24, v14
	v_min_u32_e32 v24, 32, v24
	v_lshrrev_b32_e32 v22, 27, v10
	v_subrev_u32_e32 v25, 28, v24
	v_and_b32_e32 v21, 0x80000000, v10
	v_and_b32_e32 v22, 15, v22
	v_bfe_u32 v23, v10, 27, 4
	v_lshlrev_b32_sdwa v10, v25, v10 dst_sel:DWORD dst_unused:UNUSED_PAD src0_sel:DWORD src1_sel:BYTE_3
	v_sub_u32_e32 v24, 29, v24
	v_and_b32_e32 v10, 7, v10
	v_cmp_eq_u16_e32 vcc, 0, v22
	v_cndmask_b32_e32 v10, v14, v10, vcc
	v_cndmask_b32_e32 v14, v23, v24, vcc
	v_mov_b32_e32 v22, 0x3b800000
	v_lshlrev_b32_e32 v10, 20, v10
	v_lshl_add_u32 v14, v14, 23, v22
	v_or3_b32 v14, v21, v14, v10
.LBB38_32:
	s_or_b64 exec, exec, s[6:7]
	s_nop 0
	v_mfma_f32_16x16x4f32 a[0:3], v20, v14, a[0:3]
	s_movk_i32 s4, 0x7f
	v_cmp_gt_i16_sdwa s[6:7], v15, s4 src0_sel:BYTE_0 src1_sel:DWORD
	s_mov_b64 s[4:5], 0
                                        ; implicit-def: $sgpr10
	s_and_saveexec_b64 s[8:9], s[6:7]
	s_xor_b64 s[6:7], exec, s[8:9]
	s_cbranch_execnz .LBB38_2081
; %bb.33:
	s_or_saveexec_b64 s[6:7], s[6:7]
	v_mov_b32_e32 v10, s10
	s_xor_b64 exec, exec, s[6:7]
	s_cbranch_execnz .LBB38_2084
.LBB38_34:
	s_or_b64 exec, exec, s[6:7]
	s_and_saveexec_b64 s[6:7], s[4:5]
	s_cbranch_execz .LBB38_36
.LBB38_35:
	v_and_b32_e32 v10, 7, v15
	v_ffbh_u32_e32 v20, v10
	v_min_u32_e32 v20, 32, v20
	v_lshrrev_b16_e32 v14, 3, v15
	v_subrev_u32_e32 v21, 28, v20
	v_and_b32_e32 v14, 15, v14
	v_lshlrev_b32_e32 v21, v21, v15
	v_sub_u32_e32 v20, 29, v20
	v_and_b32_e32 v21, 7, v21
	v_cmp_eq_u16_e32 vcc, 0, v14
	v_cndmask_b32_e32 v10, v10, v21, vcc
	v_cndmask_b32_e32 v14, v14, v20, vcc
	v_lshlrev_b32_e32 v20, 24, v15
	v_mov_b32_e32 v21, 0x3b800000
	v_lshlrev_b32_e32 v10, 20, v10
	v_and_b32_e32 v20, 0x80000000, v20
	v_lshl_add_u32 v14, v14, 23, v21
	v_or3_b32 v10, v20, v14, v10
.LBB38_36:
	s_or_b64 exec, exec, s[6:7]
	s_movk_i32 s4, 0x7f
	v_cmp_gt_i16_sdwa s[6:7], v11, s4 src0_sel:BYTE_0 src1_sel:DWORD
	s_mov_b64 s[4:5], 0
                                        ; implicit-def: $sgpr10
	s_and_saveexec_b64 s[8:9], s[6:7]
	s_xor_b64 s[6:7], exec, s[8:9]
	s_cbranch_execnz .LBB38_2085
; %bb.37:
	s_or_saveexec_b64 s[6:7], s[6:7]
	v_mov_b32_e32 v14, s10
	s_xor_b64 exec, exec, s[6:7]
	s_cbranch_execnz .LBB38_2088
.LBB38_38:
	s_or_b64 exec, exec, s[6:7]
	s_and_saveexec_b64 s[6:7], s[4:5]
	s_cbranch_execz .LBB38_40
.LBB38_39:
	v_and_b32_e32 v14, 7, v11
	v_ffbh_u32_e32 v21, v14
	v_min_u32_e32 v21, 32, v21
	v_lshrrev_b16_e32 v20, 3, v11
	v_subrev_u32_e32 v22, 28, v21
	v_and_b32_e32 v20, 15, v20
	v_lshlrev_b32_e32 v22, v22, v11
	v_sub_u32_e32 v21, 29, v21
	v_and_b32_e32 v22, 7, v22
	v_cmp_eq_u16_e32 vcc, 0, v20
	v_cndmask_b32_e32 v14, v14, v22, vcc
	v_cndmask_b32_e32 v20, v20, v21, vcc
	v_lshlrev_b32_e32 v21, 24, v11
	v_mov_b32_e32 v22, 0x3b800000
	v_lshlrev_b32_e32 v14, 20, v14
	v_and_b32_e32 v21, 0x80000000, v21
	v_lshl_add_u32 v20, v20, 23, v22
	v_or3_b32 v14, v21, v20, v14
.LBB38_40:
	s_or_b64 exec, exec, s[6:7]
	s_nop 0
	v_mfma_f32_16x16x4f32 a[0:3], v10, v14, a[0:3]
	v_lshrrev_b32_e32 v14, 8, v15
	s_movk_i32 s4, 0x7f
	v_cmp_gt_i16_sdwa s[6:7], v14, s4 src0_sel:BYTE_0 src1_sel:DWORD
	s_mov_b64 s[4:5], 0
                                        ; implicit-def: $sgpr10
	s_and_saveexec_b64 s[8:9], s[6:7]
	s_xor_b64 s[6:7], exec, s[8:9]
	s_cbranch_execnz .LBB38_2089
; %bb.41:
	s_or_saveexec_b64 s[6:7], s[6:7]
	v_mov_b32_e32 v10, s10
	s_xor_b64 exec, exec, s[6:7]
	s_cbranch_execnz .LBB38_2092
.LBB38_42:
	s_or_b64 exec, exec, s[6:7]
	s_and_saveexec_b64 s[6:7], s[4:5]
	s_cbranch_execz .LBB38_44
.LBB38_43:
	v_bfe_u32 v10, v15, 8, 3
	v_ffbh_u32_e32 v21, v10
	v_min_u32_e32 v21, 32, v21
	v_lshrrev_b16_e32 v20, 3, v14
	v_subrev_u32_e32 v22, 28, v21
	v_and_b32_e32 v20, 15, v20
	v_lshlrev_b32_e32 v14, v22, v14
	v_sub_u32_e32 v21, 29, v21
	v_and_b32_e32 v14, 7, v14
	v_cmp_eq_u16_e32 vcc, 0, v20
	v_cndmask_b32_e32 v10, v10, v14, vcc
	v_cndmask_b32_e32 v14, v20, v21, vcc
	v_lshlrev_b32_e32 v20, 16, v15
	v_mov_b32_e32 v21, 0x3b800000
	v_lshlrev_b32_e32 v10, 20, v10
	v_and_b32_e32 v20, 0x80000000, v20
	v_lshl_add_u32 v14, v14, 23, v21
	v_or3_b32 v10, v20, v14, v10
.LBB38_44:
	s_or_b64 exec, exec, s[6:7]
	v_lshrrev_b32_e32 v14, 8, v11
	s_movk_i32 s4, 0x7f
	v_cmp_gt_i16_sdwa s[6:7], v14, s4 src0_sel:BYTE_0 src1_sel:DWORD
	s_mov_b64 s[4:5], 0
                                        ; implicit-def: $sgpr10
	s_and_saveexec_b64 s[8:9], s[6:7]
	s_xor_b64 s[6:7], exec, s[8:9]
	s_cbranch_execnz .LBB38_2093
; %bb.45:
	s_or_saveexec_b64 s[6:7], s[6:7]
	v_mov_b32_e32 v20, s10
	s_xor_b64 exec, exec, s[6:7]
	s_cbranch_execnz .LBB38_2096
.LBB38_46:
	s_or_b64 exec, exec, s[6:7]
	s_and_saveexec_b64 s[6:7], s[4:5]
	s_cbranch_execz .LBB38_48
.LBB38_47:
	v_bfe_u32 v20, v11, 8, 3
	v_ffbh_u32_e32 v22, v20
	v_min_u32_e32 v22, 32, v22
	v_lshrrev_b16_e32 v21, 3, v14
	v_subrev_u32_e32 v23, 28, v22
	v_and_b32_e32 v21, 15, v21
	v_lshlrev_b32_e32 v14, v23, v14
	v_sub_u32_e32 v22, 29, v22
	v_and_b32_e32 v14, 7, v14
	v_cmp_eq_u16_e32 vcc, 0, v21
	v_cndmask_b32_e32 v14, v20, v14, vcc
	v_cndmask_b32_e32 v20, v21, v22, vcc
	v_lshlrev_b32_e32 v21, 16, v11
	v_mov_b32_e32 v22, 0x3b800000
	v_lshlrev_b32_e32 v14, 20, v14
	v_and_b32_e32 v21, 0x80000000, v21
	v_lshl_add_u32 v20, v20, 23, v22
	v_or3_b32 v20, v21, v20, v14
.LBB38_48:
	s_or_b64 exec, exec, s[6:7]
	s_nop 0
	v_mfma_f32_16x16x4f32 a[0:3], v10, v20, a[0:3]
	s_movk_i32 s4, 0xff
	v_and_b32_sdwa v14, v15, s4 dst_sel:DWORD dst_unused:UNUSED_PAD src0_sel:WORD_1 src1_sel:DWORD
	s_movk_i32 s4, 0x7f
	v_cmp_lt_i16_e32 vcc, s4, v14
	s_mov_b64 s[4:5], 0
                                        ; implicit-def: $sgpr10
	s_and_saveexec_b64 s[6:7], vcc
	s_xor_b64 s[6:7], exec, s[6:7]
	s_cbranch_execnz .LBB38_2097
; %bb.49:
	s_or_saveexec_b64 s[6:7], s[6:7]
	v_mov_b32_e32 v10, s10
	s_xor_b64 exec, exec, s[6:7]
	s_cbranch_execnz .LBB38_2100
.LBB38_50:
	s_or_b64 exec, exec, s[6:7]
	s_and_saveexec_b64 s[6:7], s[4:5]
	s_cbranch_execz .LBB38_52
.LBB38_51:
	v_bfe_u32 v10, v15, 16, 3
	v_ffbh_u32_e32 v21, v10
	v_min_u32_e32 v21, 32, v21
	v_lshrrev_b32_e32 v14, 19, v15
	v_subrev_u32_e32 v22, 28, v21
	v_and_b32_e32 v14, 15, v14
	v_lshlrev_b32_sdwa v22, v22, v15 dst_sel:DWORD dst_unused:UNUSED_PAD src0_sel:DWORD src1_sel:WORD_1
	v_bfe_u32 v20, v15, 19, 4
	v_sub_u32_e32 v21, 29, v21
	v_and_b32_e32 v22, 7, v22
	v_cmp_eq_u16_e32 vcc, 0, v14
	v_cndmask_b32_e32 v10, v10, v22, vcc
	v_cndmask_b32_e32 v14, v20, v21, vcc
	v_lshlrev_b32_e32 v20, 8, v15
	v_mov_b32_e32 v21, 0x3b800000
	v_lshlrev_b32_e32 v10, 20, v10
	v_and_b32_e32 v20, 0x80000000, v20
	v_lshl_add_u32 v14, v14, 23, v21
	v_or3_b32 v10, v20, v14, v10
.LBB38_52:
	s_or_b64 exec, exec, s[6:7]
	s_movk_i32 s4, 0xff
	v_and_b32_sdwa v14, v11, s4 dst_sel:DWORD dst_unused:UNUSED_PAD src0_sel:WORD_1 src1_sel:DWORD
	s_movk_i32 s4, 0x7f
	v_cmp_lt_i16_e32 vcc, s4, v14
	s_mov_b64 s[4:5], 0
                                        ; implicit-def: $sgpr10
	s_and_saveexec_b64 s[6:7], vcc
	s_xor_b64 s[6:7], exec, s[6:7]
	s_cbranch_execnz .LBB38_2101
; %bb.53:
	s_or_saveexec_b64 s[6:7], s[6:7]
	v_mov_b32_e32 v20, s10
	s_xor_b64 exec, exec, s[6:7]
	s_cbranch_execnz .LBB38_2104
.LBB38_54:
	s_or_b64 exec, exec, s[6:7]
	s_and_saveexec_b64 s[6:7], s[4:5]
	s_cbranch_execz .LBB38_56
.LBB38_55:
	v_bfe_u32 v14, v11, 16, 3
	v_ffbh_u32_e32 v22, v14
	v_min_u32_e32 v22, 32, v22
	v_lshrrev_b32_e32 v20, 19, v11
	v_subrev_u32_e32 v23, 28, v22
	v_and_b32_e32 v20, 15, v20
	v_lshlrev_b32_sdwa v23, v23, v11 dst_sel:DWORD dst_unused:UNUSED_PAD src0_sel:DWORD src1_sel:WORD_1
	v_bfe_u32 v21, v11, 19, 4
	v_sub_u32_e32 v22, 29, v22
	v_and_b32_e32 v23, 7, v23
	v_cmp_eq_u16_e32 vcc, 0, v20
	v_cndmask_b32_e32 v14, v14, v23, vcc
	v_cndmask_b32_e32 v20, v21, v22, vcc
	v_lshlrev_b32_e32 v21, 8, v11
	v_mov_b32_e32 v22, 0x3b800000
	v_lshlrev_b32_e32 v14, 20, v14
	v_and_b32_e32 v21, 0x80000000, v21
	v_lshl_add_u32 v20, v20, 23, v22
	v_or3_b32 v20, v21, v20, v14
.LBB38_56:
	s_or_b64 exec, exec, s[6:7]
	s_nop 0
	v_mfma_f32_16x16x4f32 a[0:3], v10, v20, a[0:3]
	s_movk_i32 s4, 0x7f
	v_cmp_gt_i16_sdwa s[6:7], v15, s4 src0_sel:BYTE_3 src1_sel:DWORD
	s_mov_b64 s[4:5], 0
                                        ; implicit-def: $sgpr10
	s_and_saveexec_b64 s[8:9], s[6:7]
	s_xor_b64 s[6:7], exec, s[8:9]
	s_cbranch_execnz .LBB38_2105
; %bb.57:
	s_or_saveexec_b64 s[6:7], s[6:7]
	v_mov_b32_e32 v10, s10
	s_xor_b64 exec, exec, s[6:7]
	s_cbranch_execnz .LBB38_2108
.LBB38_58:
	s_or_b64 exec, exec, s[6:7]
	s_and_saveexec_b64 s[6:7], s[4:5]
	s_cbranch_execz .LBB38_60
.LBB38_59:
	v_bfe_u32 v10, v15, 24, 3
	v_ffbh_u32_e32 v22, v10
	v_min_u32_e32 v22, 32, v22
	v_lshrrev_b32_e32 v20, 27, v15
	v_subrev_u32_e32 v23, 28, v22
	v_and_b32_e32 v14, 0x80000000, v15
	v_and_b32_e32 v20, 15, v20
	v_bfe_u32 v21, v15, 27, 4
	v_lshlrev_b32_sdwa v15, v23, v15 dst_sel:DWORD dst_unused:UNUSED_PAD src0_sel:DWORD src1_sel:BYTE_3
	v_sub_u32_e32 v22, 29, v22
	v_and_b32_e32 v15, 7, v15
	v_cmp_eq_u16_e32 vcc, 0, v20
	v_cndmask_b32_e32 v10, v10, v15, vcc
	v_cndmask_b32_e32 v15, v21, v22, vcc
	v_mov_b32_e32 v20, 0x3b800000
	v_lshlrev_b32_e32 v10, 20, v10
	v_lshl_add_u32 v15, v15, 23, v20
	v_or3_b32 v10, v14, v15, v10
.LBB38_60:
	s_or_b64 exec, exec, s[6:7]
	s_movk_i32 s4, 0x7f
	v_cmp_gt_i16_sdwa s[6:7], v11, s4 src0_sel:BYTE_3 src1_sel:DWORD
	s_mov_b64 s[4:5], 0
                                        ; implicit-def: $sgpr10
	s_and_saveexec_b64 s[8:9], s[6:7]
	s_xor_b64 s[6:7], exec, s[8:9]
	s_cbranch_execnz .LBB38_2109
; %bb.61:
	s_or_saveexec_b64 s[6:7], s[6:7]
	v_mov_b32_e32 v14, s10
	s_xor_b64 exec, exec, s[6:7]
	s_cbranch_execnz .LBB38_2112
.LBB38_62:
	s_or_b64 exec, exec, s[6:7]
	s_and_saveexec_b64 s[6:7], s[4:5]
	s_cbranch_execz .LBB38_64
.LBB38_63:
	v_bfe_u32 v14, v11, 24, 3
	v_ffbh_u32_e32 v22, v14
	v_min_u32_e32 v22, 32, v22
	v_lshrrev_b32_e32 v20, 27, v11
	v_subrev_u32_e32 v23, 28, v22
	v_and_b32_e32 v15, 0x80000000, v11
	v_and_b32_e32 v20, 15, v20
	v_bfe_u32 v21, v11, 27, 4
	v_lshlrev_b32_sdwa v11, v23, v11 dst_sel:DWORD dst_unused:UNUSED_PAD src0_sel:DWORD src1_sel:BYTE_3
	v_sub_u32_e32 v22, 29, v22
	v_and_b32_e32 v11, 7, v11
	v_cmp_eq_u16_e32 vcc, 0, v20
	v_cndmask_b32_e32 v11, v14, v11, vcc
	v_cndmask_b32_e32 v14, v21, v22, vcc
	v_mov_b32_e32 v20, 0x3b800000
	v_lshlrev_b32_e32 v11, 20, v11
	v_lshl_add_u32 v14, v14, 23, v20
	v_or3_b32 v14, v15, v14, v11
.LBB38_64:
	s_or_b64 exec, exec, s[6:7]
	s_nop 0
	v_mfma_f32_16x16x4f32 a[0:3], v10, v14, a[0:3]
	s_movk_i32 s4, 0x7f
	v_cmp_gt_i16_sdwa s[6:7], v16, s4 src0_sel:BYTE_0 src1_sel:DWORD
	s_mov_b64 s[4:5], 0
                                        ; implicit-def: $sgpr10
	s_and_saveexec_b64 s[8:9], s[6:7]
	s_xor_b64 s[6:7], exec, s[8:9]
	s_cbranch_execnz .LBB38_2113
; %bb.65:
	s_or_saveexec_b64 s[6:7], s[6:7]
	v_mov_b32_e32 v10, s10
	s_xor_b64 exec, exec, s[6:7]
	s_cbranch_execnz .LBB38_2116
.LBB38_66:
	s_or_b64 exec, exec, s[6:7]
	s_and_saveexec_b64 s[6:7], s[4:5]
	s_cbranch_execz .LBB38_68
.LBB38_67:
	v_and_b32_e32 v10, 7, v16
	v_ffbh_u32_e32 v14, v10
	v_min_u32_e32 v14, 32, v14
	v_lshrrev_b16_e32 v11, 3, v16
	v_subrev_u32_e32 v15, 28, v14
	v_and_b32_e32 v11, 15, v11
	v_lshlrev_b32_e32 v15, v15, v16
	v_sub_u32_e32 v14, 29, v14
	v_and_b32_e32 v15, 7, v15
	v_cmp_eq_u16_e32 vcc, 0, v11
	v_cndmask_b32_e32 v10, v10, v15, vcc
	v_cndmask_b32_e32 v11, v11, v14, vcc
	v_lshlrev_b32_e32 v14, 24, v16
	v_mov_b32_e32 v15, 0x3b800000
	v_lshlrev_b32_e32 v10, 20, v10
	v_and_b32_e32 v14, 0x80000000, v14
	v_lshl_add_u32 v11, v11, 23, v15
	v_or3_b32 v10, v14, v11, v10
.LBB38_68:
	s_or_b64 exec, exec, s[6:7]
	s_movk_i32 s4, 0x7f
	v_cmp_gt_i16_sdwa s[6:7], v12, s4 src0_sel:BYTE_0 src1_sel:DWORD
	s_mov_b64 s[4:5], 0
                                        ; implicit-def: $sgpr10
	s_and_saveexec_b64 s[8:9], s[6:7]
	s_xor_b64 s[6:7], exec, s[8:9]
	s_cbranch_execnz .LBB38_2117
; %bb.69:
	s_or_saveexec_b64 s[6:7], s[6:7]
	v_mov_b32_e32 v11, s10
	s_xor_b64 exec, exec, s[6:7]
	s_cbranch_execnz .LBB38_2120
.LBB38_70:
	s_or_b64 exec, exec, s[6:7]
	s_and_saveexec_b64 s[6:7], s[4:5]
	s_cbranch_execz .LBB38_72
.LBB38_71:
	v_and_b32_e32 v11, 7, v12
	v_ffbh_u32_e32 v15, v11
	v_min_u32_e32 v15, 32, v15
	v_lshrrev_b16_e32 v14, 3, v12
	v_subrev_u32_e32 v20, 28, v15
	v_and_b32_e32 v14, 15, v14
	v_lshlrev_b32_e32 v20, v20, v12
	v_sub_u32_e32 v15, 29, v15
	v_and_b32_e32 v20, 7, v20
	v_cmp_eq_u16_e32 vcc, 0, v14
	v_cndmask_b32_e32 v11, v11, v20, vcc
	v_cndmask_b32_e32 v14, v14, v15, vcc
	v_lshlrev_b32_e32 v15, 24, v12
	v_mov_b32_e32 v20, 0x3b800000
	v_lshlrev_b32_e32 v11, 20, v11
	v_and_b32_e32 v15, 0x80000000, v15
	v_lshl_add_u32 v14, v14, 23, v20
	v_or3_b32 v11, v15, v14, v11
.LBB38_72:
	s_or_b64 exec, exec, s[6:7]
	s_nop 0
	v_mfma_f32_16x16x4f32 a[0:3], v10, v11, a[0:3]
	v_lshrrev_b32_e32 v11, 8, v16
	s_movk_i32 s4, 0x7f
	v_cmp_gt_i16_sdwa s[6:7], v11, s4 src0_sel:BYTE_0 src1_sel:DWORD
	s_mov_b64 s[4:5], 0
                                        ; implicit-def: $sgpr10
	s_and_saveexec_b64 s[8:9], s[6:7]
	s_xor_b64 s[6:7], exec, s[8:9]
	s_cbranch_execnz .LBB38_2121
; %bb.73:
	s_or_saveexec_b64 s[6:7], s[6:7]
	v_mov_b32_e32 v10, s10
	s_xor_b64 exec, exec, s[6:7]
	s_cbranch_execnz .LBB38_2124
.LBB38_74:
	s_or_b64 exec, exec, s[6:7]
	s_and_saveexec_b64 s[6:7], s[4:5]
	s_cbranch_execz .LBB38_76
.LBB38_75:
	v_bfe_u32 v10, v16, 8, 3
	v_ffbh_u32_e32 v15, v10
	v_min_u32_e32 v15, 32, v15
	v_lshrrev_b16_e32 v14, 3, v11
	v_subrev_u32_e32 v20, 28, v15
	v_and_b32_e32 v14, 15, v14
	v_lshlrev_b32_e32 v11, v20, v11
	v_sub_u32_e32 v15, 29, v15
	v_and_b32_e32 v11, 7, v11
	v_cmp_eq_u16_e32 vcc, 0, v14
	v_cndmask_b32_e32 v10, v10, v11, vcc
	v_cndmask_b32_e32 v11, v14, v15, vcc
	v_lshlrev_b32_e32 v14, 16, v16
	v_mov_b32_e32 v15, 0x3b800000
	v_lshlrev_b32_e32 v10, 20, v10
	v_and_b32_e32 v14, 0x80000000, v14
	v_lshl_add_u32 v11, v11, 23, v15
	v_or3_b32 v10, v14, v11, v10
.LBB38_76:
	s_or_b64 exec, exec, s[6:7]
	v_lshrrev_b32_e32 v11, 8, v12
	s_movk_i32 s4, 0x7f
	v_cmp_gt_i16_sdwa s[6:7], v11, s4 src0_sel:BYTE_0 src1_sel:DWORD
	s_mov_b64 s[4:5], 0
                                        ; implicit-def: $sgpr10
	s_and_saveexec_b64 s[8:9], s[6:7]
	s_xor_b64 s[6:7], exec, s[8:9]
	s_cbranch_execnz .LBB38_2125
; %bb.77:
	s_or_saveexec_b64 s[6:7], s[6:7]
	v_mov_b32_e32 v14, s10
	s_xor_b64 exec, exec, s[6:7]
	s_cbranch_execnz .LBB38_2128
.LBB38_78:
	s_or_b64 exec, exec, s[6:7]
	s_and_saveexec_b64 s[6:7], s[4:5]
	s_cbranch_execz .LBB38_80
.LBB38_79:
	v_bfe_u32 v14, v12, 8, 3
	v_ffbh_u32_e32 v20, v14
	v_min_u32_e32 v20, 32, v20
	v_lshrrev_b16_e32 v15, 3, v11
	v_subrev_u32_e32 v21, 28, v20
	v_and_b32_e32 v15, 15, v15
	v_lshlrev_b32_e32 v11, v21, v11
	v_sub_u32_e32 v20, 29, v20
	v_and_b32_e32 v11, 7, v11
	v_cmp_eq_u16_e32 vcc, 0, v15
	v_cndmask_b32_e32 v11, v14, v11, vcc
	v_cndmask_b32_e32 v14, v15, v20, vcc
	v_lshlrev_b32_e32 v15, 16, v12
	v_mov_b32_e32 v20, 0x3b800000
	v_lshlrev_b32_e32 v11, 20, v11
	v_and_b32_e32 v15, 0x80000000, v15
	v_lshl_add_u32 v14, v14, 23, v20
	v_or3_b32 v14, v15, v14, v11
.LBB38_80:
	s_or_b64 exec, exec, s[6:7]
	s_nop 0
	v_mfma_f32_16x16x4f32 a[0:3], v10, v14, a[0:3]
	s_movk_i32 s4, 0xff
	v_and_b32_sdwa v11, v16, s4 dst_sel:DWORD dst_unused:UNUSED_PAD src0_sel:WORD_1 src1_sel:DWORD
	s_movk_i32 s4, 0x7f
	v_cmp_lt_i16_e32 vcc, s4, v11
	s_mov_b64 s[4:5], 0
                                        ; implicit-def: $sgpr10
	s_and_saveexec_b64 s[6:7], vcc
	s_xor_b64 s[6:7], exec, s[6:7]
	s_cbranch_execnz .LBB38_2129
; %bb.81:
	s_or_saveexec_b64 s[6:7], s[6:7]
	v_mov_b32_e32 v10, s10
	s_xor_b64 exec, exec, s[6:7]
	s_cbranch_execnz .LBB38_2132
.LBB38_82:
	s_or_b64 exec, exec, s[6:7]
	s_and_saveexec_b64 s[6:7], s[4:5]
	s_cbranch_execz .LBB38_84
.LBB38_83:
	v_bfe_u32 v10, v16, 16, 3
	v_ffbh_u32_e32 v15, v10
	v_min_u32_e32 v15, 32, v15
	v_lshrrev_b32_e32 v11, 19, v16
	v_subrev_u32_e32 v20, 28, v15
	v_and_b32_e32 v11, 15, v11
	v_lshlrev_b32_sdwa v20, v20, v16 dst_sel:DWORD dst_unused:UNUSED_PAD src0_sel:DWORD src1_sel:WORD_1
	v_bfe_u32 v14, v16, 19, 4
	v_sub_u32_e32 v15, 29, v15
	v_and_b32_e32 v20, 7, v20
	v_cmp_eq_u16_e32 vcc, 0, v11
	v_cndmask_b32_e32 v10, v10, v20, vcc
	v_cndmask_b32_e32 v11, v14, v15, vcc
	v_lshlrev_b32_e32 v14, 8, v16
	v_mov_b32_e32 v15, 0x3b800000
	v_lshlrev_b32_e32 v10, 20, v10
	v_and_b32_e32 v14, 0x80000000, v14
	v_lshl_add_u32 v11, v11, 23, v15
	v_or3_b32 v10, v14, v11, v10
.LBB38_84:
	s_or_b64 exec, exec, s[6:7]
	s_movk_i32 s4, 0xff
	v_and_b32_sdwa v11, v12, s4 dst_sel:DWORD dst_unused:UNUSED_PAD src0_sel:WORD_1 src1_sel:DWORD
	s_movk_i32 s4, 0x7f
	v_cmp_lt_i16_e32 vcc, s4, v11
	s_mov_b64 s[4:5], 0
                                        ; implicit-def: $sgpr10
	s_and_saveexec_b64 s[6:7], vcc
	s_xor_b64 s[6:7], exec, s[6:7]
	s_cbranch_execnz .LBB38_2133
; %bb.85:
	s_or_saveexec_b64 s[6:7], s[6:7]
	v_mov_b32_e32 v14, s10
	s_xor_b64 exec, exec, s[6:7]
	s_cbranch_execnz .LBB38_2136
.LBB38_86:
	s_or_b64 exec, exec, s[6:7]
	s_and_saveexec_b64 s[6:7], s[4:5]
	s_cbranch_execz .LBB38_88
.LBB38_87:
	v_bfe_u32 v11, v12, 16, 3
	v_ffbh_u32_e32 v20, v11
	v_min_u32_e32 v20, 32, v20
	v_lshrrev_b32_e32 v14, 19, v12
	v_subrev_u32_e32 v21, 28, v20
	v_and_b32_e32 v14, 15, v14
	v_lshlrev_b32_sdwa v21, v21, v12 dst_sel:DWORD dst_unused:UNUSED_PAD src0_sel:DWORD src1_sel:WORD_1
	v_bfe_u32 v15, v12, 19, 4
	v_sub_u32_e32 v20, 29, v20
	v_and_b32_e32 v21, 7, v21
	v_cmp_eq_u16_e32 vcc, 0, v14
	v_cndmask_b32_e32 v11, v11, v21, vcc
	v_cndmask_b32_e32 v14, v15, v20, vcc
	v_lshlrev_b32_e32 v15, 8, v12
	v_mov_b32_e32 v20, 0x3b800000
	v_lshlrev_b32_e32 v11, 20, v11
	v_and_b32_e32 v15, 0x80000000, v15
	v_lshl_add_u32 v14, v14, 23, v20
	v_or3_b32 v14, v15, v14, v11
.LBB38_88:
	s_or_b64 exec, exec, s[6:7]
	s_nop 0
	v_mfma_f32_16x16x4f32 a[0:3], v10, v14, a[0:3]
	s_movk_i32 s4, 0x7f
	v_cmp_gt_i16_sdwa s[6:7], v16, s4 src0_sel:BYTE_3 src1_sel:DWORD
	s_mov_b64 s[4:5], 0
                                        ; implicit-def: $sgpr10
	s_and_saveexec_b64 s[8:9], s[6:7]
	s_xor_b64 s[6:7], exec, s[8:9]
	s_cbranch_execnz .LBB38_2137
; %bb.89:
	s_or_saveexec_b64 s[6:7], s[6:7]
	v_mov_b32_e32 v10, s10
	s_xor_b64 exec, exec, s[6:7]
	s_cbranch_execnz .LBB38_2140
.LBB38_90:
	s_or_b64 exec, exec, s[6:7]
	s_and_saveexec_b64 s[6:7], s[4:5]
	s_cbranch_execz .LBB38_92
.LBB38_91:
	v_bfe_u32 v10, v16, 24, 3
	v_ffbh_u32_e32 v20, v10
	v_min_u32_e32 v20, 32, v20
	v_lshrrev_b32_e32 v14, 27, v16
	v_subrev_u32_e32 v21, 28, v20
	v_and_b32_e32 v11, 0x80000000, v16
	v_and_b32_e32 v14, 15, v14
	v_bfe_u32 v15, v16, 27, 4
	v_lshlrev_b32_sdwa v16, v21, v16 dst_sel:DWORD dst_unused:UNUSED_PAD src0_sel:DWORD src1_sel:BYTE_3
	v_sub_u32_e32 v20, 29, v20
	v_and_b32_e32 v16, 7, v16
	v_cmp_eq_u16_e32 vcc, 0, v14
	v_cndmask_b32_e32 v10, v10, v16, vcc
	v_cndmask_b32_e32 v14, v15, v20, vcc
	v_mov_b32_e32 v15, 0x3b800000
	v_lshlrev_b32_e32 v10, 20, v10
	v_lshl_add_u32 v14, v14, 23, v15
	v_or3_b32 v10, v11, v14, v10
.LBB38_92:
	s_or_b64 exec, exec, s[6:7]
	s_movk_i32 s4, 0x7f
	v_cmp_gt_i16_sdwa s[6:7], v12, s4 src0_sel:BYTE_3 src1_sel:DWORD
	s_mov_b64 s[4:5], 0
                                        ; implicit-def: $sgpr10
	s_and_saveexec_b64 s[8:9], s[6:7]
	s_xor_b64 s[6:7], exec, s[8:9]
	s_cbranch_execnz .LBB38_2141
; %bb.93:
	s_or_saveexec_b64 s[6:7], s[6:7]
	v_mov_b32_e32 v11, s10
	s_xor_b64 exec, exec, s[6:7]
	s_cbranch_execnz .LBB38_2144
.LBB38_94:
	s_or_b64 exec, exec, s[6:7]
	s_and_saveexec_b64 s[6:7], s[4:5]
	s_cbranch_execz .LBB38_96
.LBB38_95:
	v_bfe_u32 v11, v12, 24, 3
	v_ffbh_u32_e32 v20, v11
	v_min_u32_e32 v20, 32, v20
	v_lshrrev_b32_e32 v15, 27, v12
	v_subrev_u32_e32 v21, 28, v20
	v_and_b32_e32 v14, 0x80000000, v12
	v_and_b32_e32 v15, 15, v15
	v_bfe_u32 v16, v12, 27, 4
	v_lshlrev_b32_sdwa v12, v21, v12 dst_sel:DWORD dst_unused:UNUSED_PAD src0_sel:DWORD src1_sel:BYTE_3
	v_sub_u32_e32 v20, 29, v20
	v_and_b32_e32 v12, 7, v12
	v_cmp_eq_u16_e32 vcc, 0, v15
	v_cndmask_b32_e32 v11, v11, v12, vcc
	v_cndmask_b32_e32 v12, v16, v20, vcc
	v_mov_b32_e32 v15, 0x3b800000
	v_lshlrev_b32_e32 v11, 20, v11
	v_lshl_add_u32 v12, v12, 23, v15
	v_or3_b32 v11, v14, v12, v11
.LBB38_96:
	s_or_b64 exec, exec, s[6:7]
	s_nop 0
	v_mfma_f32_16x16x4f32 a[0:3], v10, v11, a[0:3]
	s_movk_i32 s4, 0x7f
	v_cmp_gt_i16_sdwa s[6:7], v17, s4 src0_sel:BYTE_0 src1_sel:DWORD
	s_mov_b64 s[4:5], 0
                                        ; implicit-def: $sgpr10
	s_and_saveexec_b64 s[8:9], s[6:7]
	s_xor_b64 s[6:7], exec, s[8:9]
	s_cbranch_execnz .LBB38_2145
; %bb.97:
	s_or_saveexec_b64 s[6:7], s[6:7]
	v_mov_b32_e32 v10, s10
	s_xor_b64 exec, exec, s[6:7]
	s_cbranch_execnz .LBB38_2148
.LBB38_98:
	s_or_b64 exec, exec, s[6:7]
	s_and_saveexec_b64 s[6:7], s[4:5]
	s_cbranch_execz .LBB38_100
.LBB38_99:
	v_and_b32_e32 v10, 7, v17
	v_ffbh_u32_e32 v12, v10
	v_min_u32_e32 v12, 32, v12
	v_lshrrev_b16_e32 v11, 3, v17
	v_subrev_u32_e32 v14, 28, v12
	v_and_b32_e32 v11, 15, v11
	v_lshlrev_b32_e32 v14, v14, v17
	v_sub_u32_e32 v12, 29, v12
	v_and_b32_e32 v14, 7, v14
	v_cmp_eq_u16_e32 vcc, 0, v11
	v_cndmask_b32_e32 v10, v10, v14, vcc
	v_cndmask_b32_e32 v11, v11, v12, vcc
	v_lshlrev_b32_e32 v12, 24, v17
	v_mov_b32_e32 v14, 0x3b800000
	v_lshlrev_b32_e32 v10, 20, v10
	v_and_b32_e32 v12, 0x80000000, v12
	v_lshl_add_u32 v11, v11, 23, v14
	v_or3_b32 v10, v12, v11, v10
.LBB38_100:
	s_or_b64 exec, exec, s[6:7]
	s_movk_i32 s4, 0x7f
	v_cmp_gt_i16_sdwa s[6:7], v13, s4 src0_sel:BYTE_0 src1_sel:DWORD
	s_mov_b64 s[4:5], 0
                                        ; implicit-def: $sgpr10
	s_and_saveexec_b64 s[8:9], s[6:7]
	s_xor_b64 s[6:7], exec, s[8:9]
	s_cbranch_execnz .LBB38_2149
; %bb.101:
	s_or_saveexec_b64 s[6:7], s[6:7]
	v_mov_b32_e32 v11, s10
	s_xor_b64 exec, exec, s[6:7]
	s_cbranch_execnz .LBB38_2152
.LBB38_102:
	s_or_b64 exec, exec, s[6:7]
	s_and_saveexec_b64 s[6:7], s[4:5]
	s_cbranch_execz .LBB38_104
.LBB38_103:
	v_and_b32_e32 v11, 7, v13
	v_ffbh_u32_e32 v14, v11
	v_min_u32_e32 v14, 32, v14
	v_lshrrev_b16_e32 v12, 3, v13
	v_subrev_u32_e32 v15, 28, v14
	v_and_b32_e32 v12, 15, v12
	v_lshlrev_b32_e32 v15, v15, v13
	v_sub_u32_e32 v14, 29, v14
	v_and_b32_e32 v15, 7, v15
	v_cmp_eq_u16_e32 vcc, 0, v12
	v_cndmask_b32_e32 v11, v11, v15, vcc
	v_cndmask_b32_e32 v12, v12, v14, vcc
	v_lshlrev_b32_e32 v14, 24, v13
	v_mov_b32_e32 v15, 0x3b800000
	v_lshlrev_b32_e32 v11, 20, v11
	v_and_b32_e32 v14, 0x80000000, v14
	v_lshl_add_u32 v12, v12, 23, v15
	v_or3_b32 v11, v14, v12, v11
.LBB38_104:
	s_or_b64 exec, exec, s[6:7]
	s_nop 0
	v_mfma_f32_16x16x4f32 a[0:3], v10, v11, a[0:3]
	v_lshrrev_b32_e32 v11, 8, v17
	s_movk_i32 s4, 0x7f
	v_cmp_gt_i16_sdwa s[6:7], v11, s4 src0_sel:BYTE_0 src1_sel:DWORD
	s_mov_b64 s[4:5], 0
                                        ; implicit-def: $sgpr10
	s_and_saveexec_b64 s[8:9], s[6:7]
	s_xor_b64 s[6:7], exec, s[8:9]
	s_cbranch_execnz .LBB38_2153
; %bb.105:
	s_or_saveexec_b64 s[6:7], s[6:7]
	v_mov_b32_e32 v10, s10
	s_xor_b64 exec, exec, s[6:7]
	s_cbranch_execnz .LBB38_2156
.LBB38_106:
	s_or_b64 exec, exec, s[6:7]
	s_and_saveexec_b64 s[6:7], s[4:5]
	s_cbranch_execz .LBB38_108
.LBB38_107:
	v_bfe_u32 v10, v17, 8, 3
	v_ffbh_u32_e32 v14, v10
	v_min_u32_e32 v14, 32, v14
	v_lshrrev_b16_e32 v12, 3, v11
	v_subrev_u32_e32 v15, 28, v14
	v_and_b32_e32 v12, 15, v12
	v_lshlrev_b32_e32 v11, v15, v11
	v_sub_u32_e32 v14, 29, v14
	v_and_b32_e32 v11, 7, v11
	v_cmp_eq_u16_e32 vcc, 0, v12
	v_cndmask_b32_e32 v10, v10, v11, vcc
	v_cndmask_b32_e32 v11, v12, v14, vcc
	v_lshlrev_b32_e32 v12, 16, v17
	v_mov_b32_e32 v14, 0x3b800000
	v_lshlrev_b32_e32 v10, 20, v10
	v_and_b32_e32 v12, 0x80000000, v12
	v_lshl_add_u32 v11, v11, 23, v14
	v_or3_b32 v10, v12, v11, v10
.LBB38_108:
	s_or_b64 exec, exec, s[6:7]
	v_lshrrev_b32_e32 v11, 8, v13
	s_movk_i32 s4, 0x7f
	v_cmp_gt_i16_sdwa s[6:7], v11, s4 src0_sel:BYTE_0 src1_sel:DWORD
	s_mov_b64 s[4:5], 0
                                        ; implicit-def: $sgpr10
	s_and_saveexec_b64 s[8:9], s[6:7]
	s_xor_b64 s[6:7], exec, s[8:9]
	s_cbranch_execnz .LBB38_2157
; %bb.109:
	s_or_saveexec_b64 s[6:7], s[6:7]
	v_mov_b32_e32 v12, s10
	s_xor_b64 exec, exec, s[6:7]
	s_cbranch_execnz .LBB38_2160
.LBB38_110:
	s_or_b64 exec, exec, s[6:7]
	s_and_saveexec_b64 s[6:7], s[4:5]
	s_cbranch_execz .LBB38_112
.LBB38_111:
	v_bfe_u32 v12, v13, 8, 3
	v_ffbh_u32_e32 v15, v12
	v_min_u32_e32 v15, 32, v15
	v_lshrrev_b16_e32 v14, 3, v11
	v_subrev_u32_e32 v16, 28, v15
	v_and_b32_e32 v14, 15, v14
	v_lshlrev_b32_e32 v11, v16, v11
	v_sub_u32_e32 v15, 29, v15
	v_and_b32_e32 v11, 7, v11
	v_cmp_eq_u16_e32 vcc, 0, v14
	v_cndmask_b32_e32 v11, v12, v11, vcc
	v_cndmask_b32_e32 v12, v14, v15, vcc
	v_lshlrev_b32_e32 v14, 16, v13
	v_mov_b32_e32 v15, 0x3b800000
	v_lshlrev_b32_e32 v11, 20, v11
	v_and_b32_e32 v14, 0x80000000, v14
	v_lshl_add_u32 v12, v12, 23, v15
	v_or3_b32 v12, v14, v12, v11
.LBB38_112:
	s_or_b64 exec, exec, s[6:7]
	s_nop 0
	v_mfma_f32_16x16x4f32 a[0:3], v10, v12, a[0:3]
	s_movk_i32 s4, 0xff
	v_and_b32_sdwa v11, v17, s4 dst_sel:DWORD dst_unused:UNUSED_PAD src0_sel:WORD_1 src1_sel:DWORD
	s_movk_i32 s4, 0x7f
	v_cmp_lt_i16_e32 vcc, s4, v11
	s_mov_b64 s[4:5], 0
                                        ; implicit-def: $sgpr10
	s_and_saveexec_b64 s[6:7], vcc
	s_xor_b64 s[6:7], exec, s[6:7]
	s_cbranch_execnz .LBB38_2161
; %bb.113:
	s_or_saveexec_b64 s[6:7], s[6:7]
	v_mov_b32_e32 v10, s10
	s_xor_b64 exec, exec, s[6:7]
	s_cbranch_execnz .LBB38_2164
.LBB38_114:
	s_or_b64 exec, exec, s[6:7]
	s_and_saveexec_b64 s[6:7], s[4:5]
	s_cbranch_execz .LBB38_116
.LBB38_115:
	v_bfe_u32 v10, v17, 16, 3
	v_ffbh_u32_e32 v14, v10
	v_min_u32_e32 v14, 32, v14
	v_lshrrev_b32_e32 v11, 19, v17
	v_subrev_u32_e32 v15, 28, v14
	v_and_b32_e32 v11, 15, v11
	v_lshlrev_b32_sdwa v15, v15, v17 dst_sel:DWORD dst_unused:UNUSED_PAD src0_sel:DWORD src1_sel:WORD_1
	v_bfe_u32 v12, v17, 19, 4
	v_sub_u32_e32 v14, 29, v14
	v_and_b32_e32 v15, 7, v15
	v_cmp_eq_u16_e32 vcc, 0, v11
	v_cndmask_b32_e32 v10, v10, v15, vcc
	v_cndmask_b32_e32 v11, v12, v14, vcc
	v_lshlrev_b32_e32 v12, 8, v17
	v_mov_b32_e32 v14, 0x3b800000
	v_lshlrev_b32_e32 v10, 20, v10
	v_and_b32_e32 v12, 0x80000000, v12
	v_lshl_add_u32 v11, v11, 23, v14
	v_or3_b32 v10, v12, v11, v10
.LBB38_116:
	s_or_b64 exec, exec, s[6:7]
	s_movk_i32 s4, 0xff
	v_and_b32_sdwa v11, v13, s4 dst_sel:DWORD dst_unused:UNUSED_PAD src0_sel:WORD_1 src1_sel:DWORD
	s_movk_i32 s4, 0x7f
	v_cmp_lt_i16_e32 vcc, s4, v11
	s_mov_b64 s[4:5], 0
                                        ; implicit-def: $sgpr10
	s_and_saveexec_b64 s[6:7], vcc
	s_xor_b64 s[6:7], exec, s[6:7]
	s_cbranch_execnz .LBB38_2165
; %bb.117:
	s_or_saveexec_b64 s[6:7], s[6:7]
	v_mov_b32_e32 v12, s10
	s_xor_b64 exec, exec, s[6:7]
	s_cbranch_execnz .LBB38_2168
.LBB38_118:
	s_or_b64 exec, exec, s[6:7]
	s_and_saveexec_b64 s[6:7], s[4:5]
	s_cbranch_execz .LBB38_120
.LBB38_119:
	v_bfe_u32 v11, v13, 16, 3
	v_ffbh_u32_e32 v15, v11
	v_min_u32_e32 v15, 32, v15
	v_lshrrev_b32_e32 v12, 19, v13
	v_subrev_u32_e32 v16, 28, v15
	v_and_b32_e32 v12, 15, v12
	v_lshlrev_b32_sdwa v16, v16, v13 dst_sel:DWORD dst_unused:UNUSED_PAD src0_sel:DWORD src1_sel:WORD_1
	v_bfe_u32 v14, v13, 19, 4
	v_sub_u32_e32 v15, 29, v15
	v_and_b32_e32 v16, 7, v16
	v_cmp_eq_u16_e32 vcc, 0, v12
	v_cndmask_b32_e32 v11, v11, v16, vcc
	v_cndmask_b32_e32 v12, v14, v15, vcc
	v_lshlrev_b32_e32 v14, 8, v13
	v_mov_b32_e32 v15, 0x3b800000
	v_lshlrev_b32_e32 v11, 20, v11
	v_and_b32_e32 v14, 0x80000000, v14
	v_lshl_add_u32 v12, v12, 23, v15
	v_or3_b32 v12, v14, v12, v11
.LBB38_120:
	s_or_b64 exec, exec, s[6:7]
	s_nop 0
	v_mfma_f32_16x16x4f32 a[0:3], v10, v12, a[0:3]
	s_movk_i32 s4, 0x7f
	v_cmp_gt_i16_sdwa s[6:7], v17, s4 src0_sel:BYTE_3 src1_sel:DWORD
	s_mov_b64 s[4:5], 0
                                        ; implicit-def: $sgpr10
	s_and_saveexec_b64 s[8:9], s[6:7]
	s_xor_b64 s[6:7], exec, s[8:9]
	s_cbranch_execnz .LBB38_2169
; %bb.121:
	s_or_saveexec_b64 s[6:7], s[6:7]
	v_mov_b32_e32 v10, s10
	s_xor_b64 exec, exec, s[6:7]
	s_cbranch_execnz .LBB38_2172
.LBB38_122:
	s_or_b64 exec, exec, s[6:7]
	s_and_saveexec_b64 s[6:7], s[4:5]
	s_cbranch_execz .LBB38_124
.LBB38_123:
	v_bfe_u32 v10, v17, 24, 3
	v_ffbh_u32_e32 v15, v10
	v_min_u32_e32 v15, 32, v15
	v_lshrrev_b32_e32 v12, 27, v17
	v_subrev_u32_e32 v16, 28, v15
	v_and_b32_e32 v12, 15, v12
	v_lshlrev_b32_sdwa v16, v16, v17 dst_sel:DWORD dst_unused:UNUSED_PAD src0_sel:DWORD src1_sel:BYTE_3
	v_bfe_u32 v14, v17, 27, 4
	v_sub_u32_e32 v15, 29, v15
	v_and_b32_e32 v16, 7, v16
	v_cmp_eq_u16_e32 vcc, 0, v12
	v_cndmask_b32_e32 v10, v10, v16, vcc
	v_cndmask_b32_e32 v12, v14, v15, vcc
	v_mov_b32_e32 v14, 0x3b800000
	v_and_b32_e32 v11, 0x80000000, v17
	v_lshlrev_b32_e32 v10, 20, v10
	v_lshl_add_u32 v12, v12, 23, v14
	v_or3_b32 v10, v11, v12, v10
.LBB38_124:
	s_or_b64 exec, exec, s[6:7]
	s_movk_i32 s4, 0x7f
	v_cmp_gt_i16_sdwa s[6:7], v13, s4 src0_sel:BYTE_3 src1_sel:DWORD
	s_mov_b64 s[4:5], 0
                                        ; implicit-def: $sgpr10
	s_and_saveexec_b64 s[8:9], s[6:7]
	s_xor_b64 s[6:7], exec, s[8:9]
	s_cbranch_execnz .LBB38_2173
; %bb.125:
	s_or_saveexec_b64 s[6:7], s[6:7]
	v_mov_b32_e32 v11, s10
	s_xor_b64 exec, exec, s[6:7]
	s_cbranch_execnz .LBB38_2176
.LBB38_126:
	s_or_b64 exec, exec, s[6:7]
	s_and_saveexec_b64 s[6:7], s[4:5]
	s_cbranch_execz .LBB38_128
.LBB38_127:
	v_bfe_u32 v11, v13, 24, 3
	v_ffbh_u32_e32 v16, v11
	v_min_u32_e32 v16, 32, v16
	v_lshrrev_b32_e32 v14, 27, v13
	v_subrev_u32_e32 v17, 28, v16
	v_and_b32_e32 v12, 0x80000000, v13
	v_and_b32_e32 v14, 15, v14
	v_bfe_u32 v15, v13, 27, 4
	v_lshlrev_b32_sdwa v13, v17, v13 dst_sel:DWORD dst_unused:UNUSED_PAD src0_sel:DWORD src1_sel:BYTE_3
	v_sub_u32_e32 v16, 29, v16
	v_and_b32_e32 v13, 7, v13
	v_cmp_eq_u16_e32 vcc, 0, v14
	v_cndmask_b32_e32 v11, v11, v13, vcc
	v_cndmask_b32_e32 v13, v15, v16, vcc
	v_mov_b32_e32 v14, 0x3b800000
	v_lshlrev_b32_e32 v11, 20, v11
	v_lshl_add_u32 v13, v13, 23, v14
	v_or3_b32 v11, v12, v13, v11
.LBB38_128:
	s_or_b64 exec, exec, s[6:7]
	s_nop 0
	v_mfma_f32_16x16x4f32 a[0:3], v10, v11, a[0:3]
	s_movk_i32 s4, 0x7f
	v_cmp_gt_i16_sdwa s[6:7], v6, s4 src0_sel:BYTE_0 src1_sel:DWORD
	s_mov_b64 s[4:5], 0
                                        ; implicit-def: $sgpr10
	s_and_saveexec_b64 s[8:9], s[6:7]
	s_xor_b64 s[6:7], exec, s[8:9]
	s_cbranch_execnz .LBB38_2177
; %bb.129:
	s_or_saveexec_b64 s[6:7], s[6:7]
	v_mov_b32_e32 v10, s10
	s_xor_b64 exec, exec, s[6:7]
	s_cbranch_execnz .LBB38_2180
.LBB38_130:
	s_or_b64 exec, exec, s[6:7]
	s_and_saveexec_b64 s[6:7], s[4:5]
	s_cbranch_execz .LBB38_132
.LBB38_131:
	v_and_b32_e32 v10, 7, v6
	v_ffbh_u32_e32 v12, v10
	v_min_u32_e32 v12, 32, v12
	v_lshrrev_b16_e32 v11, 3, v6
	v_subrev_u32_e32 v13, 28, v12
	v_and_b32_e32 v11, 15, v11
	v_lshlrev_b32_e32 v13, v13, v6
	v_sub_u32_e32 v12, 29, v12
	v_and_b32_e32 v13, 7, v13
	v_cmp_eq_u16_e32 vcc, 0, v11
	v_cndmask_b32_e32 v10, v10, v13, vcc
	v_cndmask_b32_e32 v11, v11, v12, vcc
	v_lshlrev_b32_e32 v12, 24, v6
	v_mov_b32_e32 v13, 0x3b800000
	v_lshlrev_b32_e32 v10, 20, v10
	v_and_b32_e32 v12, 0x80000000, v12
	v_lshl_add_u32 v11, v11, 23, v13
	v_or3_b32 v10, v12, v11, v10
.LBB38_132:
	s_or_b64 exec, exec, s[6:7]
	s_movk_i32 s4, 0x7f
	v_cmp_gt_i16_sdwa s[6:7], v2, s4 src0_sel:BYTE_0 src1_sel:DWORD
	s_mov_b64 s[4:5], 0
                                        ; implicit-def: $sgpr10
	s_and_saveexec_b64 s[8:9], s[6:7]
	s_xor_b64 s[6:7], exec, s[8:9]
	s_cbranch_execnz .LBB38_2181
; %bb.133:
	s_or_saveexec_b64 s[6:7], s[6:7]
	v_mov_b32_e32 v11, s10
	s_xor_b64 exec, exec, s[6:7]
	s_cbranch_execnz .LBB38_2184
.LBB38_134:
	s_or_b64 exec, exec, s[6:7]
	s_and_saveexec_b64 s[6:7], s[4:5]
	s_cbranch_execz .LBB38_136
.LBB38_135:
	v_and_b32_e32 v11, 7, v2
	v_ffbh_u32_e32 v13, v11
	v_min_u32_e32 v13, 32, v13
	v_lshrrev_b16_e32 v12, 3, v2
	v_subrev_u32_e32 v14, 28, v13
	v_and_b32_e32 v12, 15, v12
	v_lshlrev_b32_e32 v14, v14, v2
	v_sub_u32_e32 v13, 29, v13
	v_and_b32_e32 v14, 7, v14
	v_cmp_eq_u16_e32 vcc, 0, v12
	v_cndmask_b32_e32 v11, v11, v14, vcc
	v_cndmask_b32_e32 v12, v12, v13, vcc
	v_lshlrev_b32_e32 v13, 24, v2
	v_mov_b32_e32 v14, 0x3b800000
	v_lshlrev_b32_e32 v11, 20, v11
	v_and_b32_e32 v13, 0x80000000, v13
	v_lshl_add_u32 v12, v12, 23, v14
	v_or3_b32 v11, v13, v12, v11
.LBB38_136:
	s_or_b64 exec, exec, s[6:7]
	s_nop 0
	v_mfma_f32_16x16x4f32 a[0:3], v10, v11, a[0:3]
	v_lshrrev_b32_e32 v11, 8, v6
	s_movk_i32 s4, 0x7f
	v_cmp_gt_i16_sdwa s[6:7], v11, s4 src0_sel:BYTE_0 src1_sel:DWORD
	s_mov_b64 s[4:5], 0
                                        ; implicit-def: $sgpr10
	s_and_saveexec_b64 s[8:9], s[6:7]
	s_xor_b64 s[6:7], exec, s[8:9]
	s_cbranch_execnz .LBB38_2185
; %bb.137:
	s_or_saveexec_b64 s[6:7], s[6:7]
	v_mov_b32_e32 v10, s10
	s_xor_b64 exec, exec, s[6:7]
	s_cbranch_execnz .LBB38_2188
.LBB38_138:
	s_or_b64 exec, exec, s[6:7]
	s_and_saveexec_b64 s[6:7], s[4:5]
	s_cbranch_execz .LBB38_140
.LBB38_139:
	v_bfe_u32 v10, v6, 8, 3
	v_ffbh_u32_e32 v13, v10
	v_min_u32_e32 v13, 32, v13
	v_lshrrev_b16_e32 v12, 3, v11
	v_subrev_u32_e32 v14, 28, v13
	v_and_b32_e32 v12, 15, v12
	v_lshlrev_b32_e32 v11, v14, v11
	v_sub_u32_e32 v13, 29, v13
	v_and_b32_e32 v11, 7, v11
	v_cmp_eq_u16_e32 vcc, 0, v12
	v_cndmask_b32_e32 v10, v10, v11, vcc
	v_cndmask_b32_e32 v11, v12, v13, vcc
	v_lshlrev_b32_e32 v12, 16, v6
	v_mov_b32_e32 v13, 0x3b800000
	v_lshlrev_b32_e32 v10, 20, v10
	v_and_b32_e32 v12, 0x80000000, v12
	v_lshl_add_u32 v11, v11, 23, v13
	v_or3_b32 v10, v12, v11, v10
.LBB38_140:
	s_or_b64 exec, exec, s[6:7]
	v_lshrrev_b32_e32 v11, 8, v2
	s_movk_i32 s4, 0x7f
	v_cmp_gt_i16_sdwa s[6:7], v11, s4 src0_sel:BYTE_0 src1_sel:DWORD
	s_mov_b64 s[4:5], 0
                                        ; implicit-def: $sgpr10
	s_and_saveexec_b64 s[8:9], s[6:7]
	s_xor_b64 s[6:7], exec, s[8:9]
	s_cbranch_execnz .LBB38_2189
; %bb.141:
	s_or_saveexec_b64 s[6:7], s[6:7]
	v_mov_b32_e32 v12, s10
	s_xor_b64 exec, exec, s[6:7]
	s_cbranch_execnz .LBB38_2192
.LBB38_142:
	s_or_b64 exec, exec, s[6:7]
	s_and_saveexec_b64 s[6:7], s[4:5]
	s_cbranch_execz .LBB38_144
.LBB38_143:
	v_bfe_u32 v12, v2, 8, 3
	v_ffbh_u32_e32 v14, v12
	v_min_u32_e32 v14, 32, v14
	v_lshrrev_b16_e32 v13, 3, v11
	v_subrev_u32_e32 v15, 28, v14
	v_and_b32_e32 v13, 15, v13
	v_lshlrev_b32_e32 v11, v15, v11
	v_sub_u32_e32 v14, 29, v14
	v_and_b32_e32 v11, 7, v11
	v_cmp_eq_u16_e32 vcc, 0, v13
	v_cndmask_b32_e32 v11, v12, v11, vcc
	v_cndmask_b32_e32 v12, v13, v14, vcc
	v_lshlrev_b32_e32 v13, 16, v2
	v_mov_b32_e32 v14, 0x3b800000
	v_lshlrev_b32_e32 v11, 20, v11
	v_and_b32_e32 v13, 0x80000000, v13
	v_lshl_add_u32 v12, v12, 23, v14
	v_or3_b32 v12, v13, v12, v11
.LBB38_144:
	s_or_b64 exec, exec, s[6:7]
	s_nop 0
	v_mfma_f32_16x16x4f32 a[0:3], v10, v12, a[0:3]
	s_movk_i32 s4, 0xff
	v_and_b32_sdwa v11, v6, s4 dst_sel:DWORD dst_unused:UNUSED_PAD src0_sel:WORD_1 src1_sel:DWORD
	s_movk_i32 s4, 0x7f
	v_cmp_lt_i16_e32 vcc, s4, v11
	s_mov_b64 s[4:5], 0
                                        ; implicit-def: $sgpr10
	s_and_saveexec_b64 s[6:7], vcc
	s_xor_b64 s[6:7], exec, s[6:7]
	s_cbranch_execnz .LBB38_2193
; %bb.145:
	s_or_saveexec_b64 s[6:7], s[6:7]
	v_mov_b32_e32 v10, s10
	s_xor_b64 exec, exec, s[6:7]
	s_cbranch_execnz .LBB38_2196
.LBB38_146:
	s_or_b64 exec, exec, s[6:7]
	s_and_saveexec_b64 s[6:7], s[4:5]
	s_cbranch_execz .LBB38_148
.LBB38_147:
	v_bfe_u32 v10, v6, 16, 3
	v_ffbh_u32_e32 v13, v10
	v_min_u32_e32 v13, 32, v13
	v_lshrrev_b32_e32 v11, 19, v6
	v_subrev_u32_e32 v14, 28, v13
	v_and_b32_e32 v11, 15, v11
	v_lshlrev_b32_sdwa v14, v14, v6 dst_sel:DWORD dst_unused:UNUSED_PAD src0_sel:DWORD src1_sel:WORD_1
	v_bfe_u32 v12, v6, 19, 4
	v_sub_u32_e32 v13, 29, v13
	v_and_b32_e32 v14, 7, v14
	v_cmp_eq_u16_e32 vcc, 0, v11
	v_cndmask_b32_e32 v10, v10, v14, vcc
	v_cndmask_b32_e32 v11, v12, v13, vcc
	v_lshlrev_b32_e32 v12, 8, v6
	v_mov_b32_e32 v13, 0x3b800000
	v_lshlrev_b32_e32 v10, 20, v10
	v_and_b32_e32 v12, 0x80000000, v12
	v_lshl_add_u32 v11, v11, 23, v13
	v_or3_b32 v10, v12, v11, v10
.LBB38_148:
	s_or_b64 exec, exec, s[6:7]
	s_movk_i32 s4, 0xff
	v_and_b32_sdwa v11, v2, s4 dst_sel:DWORD dst_unused:UNUSED_PAD src0_sel:WORD_1 src1_sel:DWORD
	s_movk_i32 s4, 0x7f
	v_cmp_lt_i16_e32 vcc, s4, v11
	s_mov_b64 s[4:5], 0
                                        ; implicit-def: $sgpr10
	s_and_saveexec_b64 s[6:7], vcc
	s_xor_b64 s[6:7], exec, s[6:7]
	s_cbranch_execnz .LBB38_2197
; %bb.149:
	s_or_saveexec_b64 s[6:7], s[6:7]
	v_mov_b32_e32 v12, s10
	s_xor_b64 exec, exec, s[6:7]
	s_cbranch_execnz .LBB38_2200
.LBB38_150:
	s_or_b64 exec, exec, s[6:7]
	s_and_saveexec_b64 s[6:7], s[4:5]
	s_cbranch_execz .LBB38_152
.LBB38_151:
	v_bfe_u32 v11, v2, 16, 3
	v_ffbh_u32_e32 v14, v11
	v_min_u32_e32 v14, 32, v14
	v_lshrrev_b32_e32 v12, 19, v2
	v_subrev_u32_e32 v15, 28, v14
	v_and_b32_e32 v12, 15, v12
	v_lshlrev_b32_sdwa v15, v15, v2 dst_sel:DWORD dst_unused:UNUSED_PAD src0_sel:DWORD src1_sel:WORD_1
	v_bfe_u32 v13, v2, 19, 4
	v_sub_u32_e32 v14, 29, v14
	v_and_b32_e32 v15, 7, v15
	v_cmp_eq_u16_e32 vcc, 0, v12
	v_cndmask_b32_e32 v11, v11, v15, vcc
	v_cndmask_b32_e32 v12, v13, v14, vcc
	v_lshlrev_b32_e32 v13, 8, v2
	v_mov_b32_e32 v14, 0x3b800000
	v_lshlrev_b32_e32 v11, 20, v11
	v_and_b32_e32 v13, 0x80000000, v13
	v_lshl_add_u32 v12, v12, 23, v14
	v_or3_b32 v12, v13, v12, v11
.LBB38_152:
	s_or_b64 exec, exec, s[6:7]
	s_nop 0
	v_mfma_f32_16x16x4f32 a[0:3], v10, v12, a[0:3]
	s_movk_i32 s4, 0x7f
	v_cmp_gt_i16_sdwa s[6:7], v6, s4 src0_sel:BYTE_3 src1_sel:DWORD
	s_mov_b64 s[4:5], 0
                                        ; implicit-def: $sgpr10
	s_and_saveexec_b64 s[8:9], s[6:7]
	s_xor_b64 s[6:7], exec, s[8:9]
	s_cbranch_execnz .LBB38_2201
; %bb.153:
	s_or_saveexec_b64 s[6:7], s[6:7]
	v_mov_b32_e32 v10, s10
	s_xor_b64 exec, exec, s[6:7]
	s_cbranch_execnz .LBB38_2204
.LBB38_154:
	s_or_b64 exec, exec, s[6:7]
	s_and_saveexec_b64 s[6:7], s[4:5]
	s_cbranch_execz .LBB38_156
.LBB38_155:
	v_bfe_u32 v10, v6, 24, 3
	v_ffbh_u32_e32 v14, v10
	v_min_u32_e32 v14, 32, v14
	v_lshrrev_b32_e32 v12, 27, v6
	v_subrev_u32_e32 v15, 28, v14
	v_and_b32_e32 v11, 0x80000000, v6
	v_and_b32_e32 v12, 15, v12
	v_bfe_u32 v13, v6, 27, 4
	v_lshlrev_b32_sdwa v6, v15, v6 dst_sel:DWORD dst_unused:UNUSED_PAD src0_sel:DWORD src1_sel:BYTE_3
	v_sub_u32_e32 v14, 29, v14
	v_and_b32_e32 v6, 7, v6
	v_cmp_eq_u16_e32 vcc, 0, v12
	v_cndmask_b32_e32 v6, v10, v6, vcc
	v_cndmask_b32_e32 v10, v13, v14, vcc
	v_mov_b32_e32 v12, 0x3b800000
	v_lshlrev_b32_e32 v6, 20, v6
	v_lshl_add_u32 v10, v10, 23, v12
	v_or3_b32 v10, v11, v10, v6
.LBB38_156:
	s_or_b64 exec, exec, s[6:7]
	s_movk_i32 s4, 0x7f
	v_cmp_gt_i16_sdwa s[6:7], v2, s4 src0_sel:BYTE_3 src1_sel:DWORD
	s_mov_b64 s[4:5], 0
                                        ; implicit-def: $sgpr10
	s_and_saveexec_b64 s[8:9], s[6:7]
	s_xor_b64 s[6:7], exec, s[8:9]
	s_cbranch_execnz .LBB38_2205
; %bb.157:
	s_or_saveexec_b64 s[6:7], s[6:7]
	v_mov_b32_e32 v6, s10
	s_xor_b64 exec, exec, s[6:7]
	s_cbranch_execnz .LBB38_2208
.LBB38_158:
	s_or_b64 exec, exec, s[6:7]
	s_and_saveexec_b64 s[6:7], s[4:5]
	s_cbranch_execz .LBB38_160
.LBB38_159:
	v_bfe_u32 v6, v2, 24, 3
	v_ffbh_u32_e32 v14, v6
	v_min_u32_e32 v14, 32, v14
	v_lshrrev_b32_e32 v12, 27, v2
	v_subrev_u32_e32 v15, 28, v14
	v_and_b32_e32 v11, 0x80000000, v2
	v_and_b32_e32 v12, 15, v12
	v_bfe_u32 v13, v2, 27, 4
	v_lshlrev_b32_sdwa v2, v15, v2 dst_sel:DWORD dst_unused:UNUSED_PAD src0_sel:DWORD src1_sel:BYTE_3
	v_sub_u32_e32 v14, 29, v14
	v_and_b32_e32 v2, 7, v2
	v_cmp_eq_u16_e32 vcc, 0, v12
	v_cndmask_b32_e32 v2, v6, v2, vcc
	v_cndmask_b32_e32 v6, v13, v14, vcc
	v_mov_b32_e32 v12, 0x3b800000
	v_lshlrev_b32_e32 v2, 20, v2
	v_lshl_add_u32 v6, v6, 23, v12
	v_or3_b32 v6, v11, v6, v2
.LBB38_160:
	s_or_b64 exec, exec, s[6:7]
	s_nop 0
	v_mfma_f32_16x16x4f32 a[0:3], v10, v6, a[0:3]
	s_movk_i32 s4, 0x7f
	v_cmp_gt_i16_sdwa s[6:7], v7, s4 src0_sel:BYTE_0 src1_sel:DWORD
	s_mov_b64 s[4:5], 0
                                        ; implicit-def: $sgpr10
	s_and_saveexec_b64 s[8:9], s[6:7]
	s_xor_b64 s[6:7], exec, s[8:9]
	s_cbranch_execnz .LBB38_2209
; %bb.161:
	s_or_saveexec_b64 s[6:7], s[6:7]
	v_mov_b32_e32 v2, s10
	s_xor_b64 exec, exec, s[6:7]
	s_cbranch_execnz .LBB38_2212
.LBB38_162:
	s_or_b64 exec, exec, s[6:7]
	s_and_saveexec_b64 s[6:7], s[4:5]
	s_cbranch_execz .LBB38_164
.LBB38_163:
	v_and_b32_e32 v2, 7, v7
	v_ffbh_u32_e32 v10, v2
	v_min_u32_e32 v10, 32, v10
	v_lshrrev_b16_e32 v6, 3, v7
	v_subrev_u32_e32 v11, 28, v10
	v_and_b32_e32 v6, 15, v6
	v_lshlrev_b32_e32 v11, v11, v7
	v_sub_u32_e32 v10, 29, v10
	v_and_b32_e32 v11, 7, v11
	v_cmp_eq_u16_e32 vcc, 0, v6
	v_cndmask_b32_e32 v2, v2, v11, vcc
	v_cndmask_b32_e32 v6, v6, v10, vcc
	v_lshlrev_b32_e32 v10, 24, v7
	v_mov_b32_e32 v11, 0x3b800000
	v_lshlrev_b32_e32 v2, 20, v2
	v_and_b32_e32 v10, 0x80000000, v10
	v_lshl_add_u32 v6, v6, 23, v11
	v_or3_b32 v2, v10, v6, v2
.LBB38_164:
	s_or_b64 exec, exec, s[6:7]
	s_movk_i32 s4, 0x7f
	v_cmp_gt_i16_sdwa s[6:7], v3, s4 src0_sel:BYTE_0 src1_sel:DWORD
	s_mov_b64 s[4:5], 0
                                        ; implicit-def: $sgpr10
	s_and_saveexec_b64 s[8:9], s[6:7]
	s_xor_b64 s[6:7], exec, s[8:9]
	s_cbranch_execnz .LBB38_2213
; %bb.165:
	s_or_saveexec_b64 s[6:7], s[6:7]
	v_mov_b32_e32 v6, s10
	s_xor_b64 exec, exec, s[6:7]
	s_cbranch_execnz .LBB38_2216
.LBB38_166:
	s_or_b64 exec, exec, s[6:7]
	s_and_saveexec_b64 s[6:7], s[4:5]
	s_cbranch_execz .LBB38_168
.LBB38_167:
	v_and_b32_e32 v6, 7, v3
	v_ffbh_u32_e32 v11, v6
	v_min_u32_e32 v11, 32, v11
	v_lshrrev_b16_e32 v10, 3, v3
	v_subrev_u32_e32 v12, 28, v11
	v_and_b32_e32 v10, 15, v10
	v_lshlrev_b32_e32 v12, v12, v3
	v_sub_u32_e32 v11, 29, v11
	v_and_b32_e32 v12, 7, v12
	v_cmp_eq_u16_e32 vcc, 0, v10
	v_cndmask_b32_e32 v6, v6, v12, vcc
	v_cndmask_b32_e32 v10, v10, v11, vcc
	v_lshlrev_b32_e32 v11, 24, v3
	v_mov_b32_e32 v12, 0x3b800000
	v_lshlrev_b32_e32 v6, 20, v6
	v_and_b32_e32 v11, 0x80000000, v11
	v_lshl_add_u32 v10, v10, 23, v12
	v_or3_b32 v6, v11, v10, v6
.LBB38_168:
	s_or_b64 exec, exec, s[6:7]
	s_nop 0
	v_mfma_f32_16x16x4f32 a[0:3], v2, v6, a[0:3]
	v_lshrrev_b32_e32 v6, 8, v7
	s_movk_i32 s4, 0x7f
	v_cmp_gt_i16_sdwa s[6:7], v6, s4 src0_sel:BYTE_0 src1_sel:DWORD
	s_mov_b64 s[4:5], 0
                                        ; implicit-def: $sgpr10
	s_and_saveexec_b64 s[8:9], s[6:7]
	s_xor_b64 s[6:7], exec, s[8:9]
	s_cbranch_execnz .LBB38_2217
; %bb.169:
	s_or_saveexec_b64 s[6:7], s[6:7]
	v_mov_b32_e32 v2, s10
	s_xor_b64 exec, exec, s[6:7]
	s_cbranch_execnz .LBB38_2220
.LBB38_170:
	s_or_b64 exec, exec, s[6:7]
	s_and_saveexec_b64 s[6:7], s[4:5]
	s_cbranch_execz .LBB38_172
.LBB38_171:
	v_bfe_u32 v2, v7, 8, 3
	v_ffbh_u32_e32 v11, v2
	v_min_u32_e32 v11, 32, v11
	v_lshrrev_b16_e32 v10, 3, v6
	v_subrev_u32_e32 v12, 28, v11
	v_and_b32_e32 v10, 15, v10
	v_lshlrev_b32_e32 v6, v12, v6
	v_sub_u32_e32 v11, 29, v11
	v_and_b32_e32 v6, 7, v6
	v_cmp_eq_u16_e32 vcc, 0, v10
	v_cndmask_b32_e32 v2, v2, v6, vcc
	v_cndmask_b32_e32 v6, v10, v11, vcc
	v_lshlrev_b32_e32 v10, 16, v7
	v_mov_b32_e32 v11, 0x3b800000
	v_lshlrev_b32_e32 v2, 20, v2
	v_and_b32_e32 v10, 0x80000000, v10
	v_lshl_add_u32 v6, v6, 23, v11
	v_or3_b32 v2, v10, v6, v2
.LBB38_172:
	s_or_b64 exec, exec, s[6:7]
	v_lshrrev_b32_e32 v6, 8, v3
	s_movk_i32 s4, 0x7f
	v_cmp_gt_i16_sdwa s[6:7], v6, s4 src0_sel:BYTE_0 src1_sel:DWORD
	s_mov_b64 s[4:5], 0
                                        ; implicit-def: $sgpr10
	s_and_saveexec_b64 s[8:9], s[6:7]
	s_xor_b64 s[6:7], exec, s[8:9]
	s_cbranch_execnz .LBB38_2221
; %bb.173:
	s_or_saveexec_b64 s[6:7], s[6:7]
	v_mov_b32_e32 v10, s10
	s_xor_b64 exec, exec, s[6:7]
	s_cbranch_execnz .LBB38_2224
.LBB38_174:
	s_or_b64 exec, exec, s[6:7]
	s_and_saveexec_b64 s[6:7], s[4:5]
	s_cbranch_execz .LBB38_176
.LBB38_175:
	v_bfe_u32 v10, v3, 8, 3
	v_ffbh_u32_e32 v12, v10
	v_min_u32_e32 v12, 32, v12
	v_lshrrev_b16_e32 v11, 3, v6
	v_subrev_u32_e32 v13, 28, v12
	v_and_b32_e32 v11, 15, v11
	v_lshlrev_b32_e32 v6, v13, v6
	v_sub_u32_e32 v12, 29, v12
	v_and_b32_e32 v6, 7, v6
	v_cmp_eq_u16_e32 vcc, 0, v11
	v_cndmask_b32_e32 v6, v10, v6, vcc
	v_cndmask_b32_e32 v10, v11, v12, vcc
	v_lshlrev_b32_e32 v11, 16, v3
	v_mov_b32_e32 v12, 0x3b800000
	v_lshlrev_b32_e32 v6, 20, v6
	v_and_b32_e32 v11, 0x80000000, v11
	v_lshl_add_u32 v10, v10, 23, v12
	v_or3_b32 v10, v11, v10, v6
.LBB38_176:
	s_or_b64 exec, exec, s[6:7]
	s_nop 0
	v_mfma_f32_16x16x4f32 a[0:3], v2, v10, a[0:3]
	s_movk_i32 s4, 0xff
	v_and_b32_sdwa v6, v7, s4 dst_sel:DWORD dst_unused:UNUSED_PAD src0_sel:WORD_1 src1_sel:DWORD
	s_movk_i32 s4, 0x7f
	v_cmp_lt_i16_e32 vcc, s4, v6
	s_mov_b64 s[4:5], 0
                                        ; implicit-def: $sgpr10
	s_and_saveexec_b64 s[6:7], vcc
	s_xor_b64 s[6:7], exec, s[6:7]
	s_cbranch_execnz .LBB38_2225
; %bb.177:
	s_or_saveexec_b64 s[6:7], s[6:7]
	v_mov_b32_e32 v2, s10
	s_xor_b64 exec, exec, s[6:7]
	s_cbranch_execnz .LBB38_2228
.LBB38_178:
	s_or_b64 exec, exec, s[6:7]
	s_and_saveexec_b64 s[6:7], s[4:5]
	s_cbranch_execz .LBB38_180
.LBB38_179:
	v_bfe_u32 v2, v7, 16, 3
	v_ffbh_u32_e32 v11, v2
	v_min_u32_e32 v11, 32, v11
	v_lshrrev_b32_e32 v6, 19, v7
	v_subrev_u32_e32 v12, 28, v11
	v_and_b32_e32 v6, 15, v6
	v_lshlrev_b32_sdwa v12, v12, v7 dst_sel:DWORD dst_unused:UNUSED_PAD src0_sel:DWORD src1_sel:WORD_1
	v_bfe_u32 v10, v7, 19, 4
	v_sub_u32_e32 v11, 29, v11
	v_and_b32_e32 v12, 7, v12
	v_cmp_eq_u16_e32 vcc, 0, v6
	v_cndmask_b32_e32 v2, v2, v12, vcc
	v_cndmask_b32_e32 v6, v10, v11, vcc
	v_lshlrev_b32_e32 v10, 8, v7
	v_mov_b32_e32 v11, 0x3b800000
	v_lshlrev_b32_e32 v2, 20, v2
	v_and_b32_e32 v10, 0x80000000, v10
	v_lshl_add_u32 v6, v6, 23, v11
	v_or3_b32 v2, v10, v6, v2
.LBB38_180:
	s_or_b64 exec, exec, s[6:7]
	s_movk_i32 s4, 0xff
	v_and_b32_sdwa v6, v3, s4 dst_sel:DWORD dst_unused:UNUSED_PAD src0_sel:WORD_1 src1_sel:DWORD
	s_movk_i32 s4, 0x7f
	v_cmp_lt_i16_e32 vcc, s4, v6
	s_mov_b64 s[4:5], 0
                                        ; implicit-def: $sgpr10
	s_and_saveexec_b64 s[6:7], vcc
	s_xor_b64 s[6:7], exec, s[6:7]
	s_cbranch_execnz .LBB38_2229
; %bb.181:
	s_or_saveexec_b64 s[6:7], s[6:7]
	v_mov_b32_e32 v10, s10
	s_xor_b64 exec, exec, s[6:7]
	s_cbranch_execnz .LBB38_2232
.LBB38_182:
	s_or_b64 exec, exec, s[6:7]
	s_and_saveexec_b64 s[6:7], s[4:5]
	s_cbranch_execz .LBB38_184
.LBB38_183:
	v_bfe_u32 v6, v3, 16, 3
	v_ffbh_u32_e32 v12, v6
	v_min_u32_e32 v12, 32, v12
	v_lshrrev_b32_e32 v10, 19, v3
	v_subrev_u32_e32 v13, 28, v12
	v_and_b32_e32 v10, 15, v10
	v_lshlrev_b32_sdwa v13, v13, v3 dst_sel:DWORD dst_unused:UNUSED_PAD src0_sel:DWORD src1_sel:WORD_1
	v_bfe_u32 v11, v3, 19, 4
	v_sub_u32_e32 v12, 29, v12
	v_and_b32_e32 v13, 7, v13
	v_cmp_eq_u16_e32 vcc, 0, v10
	v_cndmask_b32_e32 v6, v6, v13, vcc
	v_cndmask_b32_e32 v10, v11, v12, vcc
	v_lshlrev_b32_e32 v11, 8, v3
	v_mov_b32_e32 v12, 0x3b800000
	v_lshlrev_b32_e32 v6, 20, v6
	v_and_b32_e32 v11, 0x80000000, v11
	v_lshl_add_u32 v10, v10, 23, v12
	v_or3_b32 v10, v11, v10, v6
.LBB38_184:
	s_or_b64 exec, exec, s[6:7]
	s_nop 0
	v_mfma_f32_16x16x4f32 a[0:3], v2, v10, a[0:3]
	s_movk_i32 s4, 0x7f
	v_cmp_gt_i16_sdwa s[6:7], v7, s4 src0_sel:BYTE_3 src1_sel:DWORD
	s_mov_b64 s[4:5], 0
                                        ; implicit-def: $sgpr10
	s_and_saveexec_b64 s[8:9], s[6:7]
	s_xor_b64 s[6:7], exec, s[8:9]
	s_cbranch_execnz .LBB38_2233
; %bb.185:
	s_or_saveexec_b64 s[6:7], s[6:7]
	v_mov_b32_e32 v2, s10
	s_xor_b64 exec, exec, s[6:7]
	s_cbranch_execnz .LBB38_2236
.LBB38_186:
	s_or_b64 exec, exec, s[6:7]
	s_and_saveexec_b64 s[6:7], s[4:5]
	s_cbranch_execz .LBB38_188
.LBB38_187:
	v_bfe_u32 v2, v7, 24, 3
	v_ffbh_u32_e32 v12, v2
	v_min_u32_e32 v12, 32, v12
	v_lshrrev_b32_e32 v10, 27, v7
	v_subrev_u32_e32 v13, 28, v12
	v_and_b32_e32 v6, 0x80000000, v7
	v_and_b32_e32 v10, 15, v10
	v_bfe_u32 v11, v7, 27, 4
	v_lshlrev_b32_sdwa v7, v13, v7 dst_sel:DWORD dst_unused:UNUSED_PAD src0_sel:DWORD src1_sel:BYTE_3
	v_sub_u32_e32 v12, 29, v12
	v_and_b32_e32 v7, 7, v7
	v_cmp_eq_u16_e32 vcc, 0, v10
	v_cndmask_b32_e32 v2, v2, v7, vcc
	v_cndmask_b32_e32 v7, v11, v12, vcc
	v_mov_b32_e32 v10, 0x3b800000
	v_lshlrev_b32_e32 v2, 20, v2
	v_lshl_add_u32 v7, v7, 23, v10
	v_or3_b32 v2, v6, v7, v2
.LBB38_188:
	s_or_b64 exec, exec, s[6:7]
	s_movk_i32 s4, 0x7f
	v_cmp_gt_i16_sdwa s[6:7], v3, s4 src0_sel:BYTE_3 src1_sel:DWORD
	s_mov_b64 s[4:5], 0
                                        ; implicit-def: $sgpr10
	s_and_saveexec_b64 s[8:9], s[6:7]
	s_xor_b64 s[6:7], exec, s[8:9]
	s_cbranch_execnz .LBB38_2237
; %bb.189:
	s_or_saveexec_b64 s[6:7], s[6:7]
	v_mov_b32_e32 v6, s10
	s_xor_b64 exec, exec, s[6:7]
	s_cbranch_execnz .LBB38_2240
.LBB38_190:
	s_or_b64 exec, exec, s[6:7]
	s_and_saveexec_b64 s[6:7], s[4:5]
	s_cbranch_execz .LBB38_192
.LBB38_191:
	v_bfe_u32 v6, v3, 24, 3
	v_ffbh_u32_e32 v12, v6
	v_min_u32_e32 v12, 32, v12
	v_lshrrev_b32_e32 v10, 27, v3
	v_subrev_u32_e32 v13, 28, v12
	v_and_b32_e32 v7, 0x80000000, v3
	v_and_b32_e32 v10, 15, v10
	v_bfe_u32 v11, v3, 27, 4
	v_lshlrev_b32_sdwa v3, v13, v3 dst_sel:DWORD dst_unused:UNUSED_PAD src0_sel:DWORD src1_sel:BYTE_3
	v_sub_u32_e32 v12, 29, v12
	v_and_b32_e32 v3, 7, v3
	v_cmp_eq_u16_e32 vcc, 0, v10
	v_cndmask_b32_e32 v3, v6, v3, vcc
	v_cndmask_b32_e32 v6, v11, v12, vcc
	v_mov_b32_e32 v10, 0x3b800000
	v_lshlrev_b32_e32 v3, 20, v3
	v_lshl_add_u32 v6, v6, 23, v10
	v_or3_b32 v6, v7, v6, v3
.LBB38_192:
	s_or_b64 exec, exec, s[6:7]
	s_nop 0
	v_mfma_f32_16x16x4f32 a[0:3], v2, v6, a[0:3]
	s_movk_i32 s4, 0x7f
	v_cmp_gt_i16_sdwa s[6:7], v8, s4 src0_sel:BYTE_0 src1_sel:DWORD
	s_mov_b64 s[4:5], 0
                                        ; implicit-def: $sgpr10
	s_and_saveexec_b64 s[8:9], s[6:7]
	s_xor_b64 s[6:7], exec, s[8:9]
	s_cbranch_execnz .LBB38_2241
; %bb.193:
	s_or_saveexec_b64 s[6:7], s[6:7]
	v_mov_b32_e32 v2, s10
	s_xor_b64 exec, exec, s[6:7]
	s_cbranch_execnz .LBB38_2244
.LBB38_194:
	s_or_b64 exec, exec, s[6:7]
	s_and_saveexec_b64 s[6:7], s[4:5]
	s_cbranch_execz .LBB38_196
.LBB38_195:
	v_and_b32_e32 v2, 7, v8
	v_ffbh_u32_e32 v6, v2
	v_min_u32_e32 v6, 32, v6
	v_lshrrev_b16_e32 v3, 3, v8
	v_subrev_u32_e32 v7, 28, v6
	v_and_b32_e32 v3, 15, v3
	v_lshlrev_b32_e32 v7, v7, v8
	v_sub_u32_e32 v6, 29, v6
	v_and_b32_e32 v7, 7, v7
	v_cmp_eq_u16_e32 vcc, 0, v3
	v_cndmask_b32_e32 v2, v2, v7, vcc
	v_cndmask_b32_e32 v3, v3, v6, vcc
	v_lshlrev_b32_e32 v6, 24, v8
	v_mov_b32_e32 v7, 0x3b800000
	v_lshlrev_b32_e32 v2, 20, v2
	v_and_b32_e32 v6, 0x80000000, v6
	v_lshl_add_u32 v3, v3, 23, v7
	v_or3_b32 v2, v6, v3, v2
.LBB38_196:
	s_or_b64 exec, exec, s[6:7]
	s_movk_i32 s4, 0x7f
	v_cmp_gt_i16_sdwa s[6:7], v4, s4 src0_sel:BYTE_0 src1_sel:DWORD
	s_mov_b64 s[4:5], 0
                                        ; implicit-def: $sgpr10
	s_and_saveexec_b64 s[8:9], s[6:7]
	s_xor_b64 s[6:7], exec, s[8:9]
	s_cbranch_execnz .LBB38_2245
; %bb.197:
	s_or_saveexec_b64 s[6:7], s[6:7]
	v_mov_b32_e32 v3, s10
	s_xor_b64 exec, exec, s[6:7]
	s_cbranch_execnz .LBB38_2248
.LBB38_198:
	s_or_b64 exec, exec, s[6:7]
	s_and_saveexec_b64 s[6:7], s[4:5]
	s_cbranch_execz .LBB38_200
.LBB38_199:
	v_and_b32_e32 v3, 7, v4
	v_ffbh_u32_e32 v7, v3
	v_min_u32_e32 v7, 32, v7
	v_lshrrev_b16_e32 v6, 3, v4
	v_subrev_u32_e32 v10, 28, v7
	v_and_b32_e32 v6, 15, v6
	v_lshlrev_b32_e32 v10, v10, v4
	v_sub_u32_e32 v7, 29, v7
	v_and_b32_e32 v10, 7, v10
	v_cmp_eq_u16_e32 vcc, 0, v6
	v_cndmask_b32_e32 v3, v3, v10, vcc
	v_cndmask_b32_e32 v6, v6, v7, vcc
	v_lshlrev_b32_e32 v7, 24, v4
	v_mov_b32_e32 v10, 0x3b800000
	v_lshlrev_b32_e32 v3, 20, v3
	v_and_b32_e32 v7, 0x80000000, v7
	v_lshl_add_u32 v6, v6, 23, v10
	v_or3_b32 v3, v7, v6, v3
.LBB38_200:
	s_or_b64 exec, exec, s[6:7]
	s_nop 0
	v_mfma_f32_16x16x4f32 a[0:3], v2, v3, a[0:3]
	v_lshrrev_b32_e32 v3, 8, v8
	s_movk_i32 s4, 0x7f
	v_cmp_gt_i16_sdwa s[6:7], v3, s4 src0_sel:BYTE_0 src1_sel:DWORD
	s_mov_b64 s[4:5], 0
                                        ; implicit-def: $sgpr10
	s_and_saveexec_b64 s[8:9], s[6:7]
	s_xor_b64 s[6:7], exec, s[8:9]
	s_cbranch_execnz .LBB38_2249
; %bb.201:
	s_or_saveexec_b64 s[6:7], s[6:7]
	v_mov_b32_e32 v2, s10
	s_xor_b64 exec, exec, s[6:7]
	s_cbranch_execnz .LBB38_2252
.LBB38_202:
	s_or_b64 exec, exec, s[6:7]
	s_and_saveexec_b64 s[6:7], s[4:5]
	s_cbranch_execz .LBB38_204
.LBB38_203:
	v_bfe_u32 v2, v8, 8, 3
	v_ffbh_u32_e32 v7, v2
	v_min_u32_e32 v7, 32, v7
	v_lshrrev_b16_e32 v6, 3, v3
	v_subrev_u32_e32 v10, 28, v7
	v_and_b32_e32 v6, 15, v6
	v_lshlrev_b32_e32 v3, v10, v3
	v_sub_u32_e32 v7, 29, v7
	v_and_b32_e32 v3, 7, v3
	v_cmp_eq_u16_e32 vcc, 0, v6
	v_cndmask_b32_e32 v2, v2, v3, vcc
	v_cndmask_b32_e32 v3, v6, v7, vcc
	v_lshlrev_b32_e32 v6, 16, v8
	v_mov_b32_e32 v7, 0x3b800000
	v_lshlrev_b32_e32 v2, 20, v2
	v_and_b32_e32 v6, 0x80000000, v6
	v_lshl_add_u32 v3, v3, 23, v7
	v_or3_b32 v2, v6, v3, v2
.LBB38_204:
	s_or_b64 exec, exec, s[6:7]
	v_lshrrev_b32_e32 v3, 8, v4
	s_movk_i32 s4, 0x7f
	v_cmp_gt_i16_sdwa s[6:7], v3, s4 src0_sel:BYTE_0 src1_sel:DWORD
	s_mov_b64 s[4:5], 0
                                        ; implicit-def: $sgpr10
	s_and_saveexec_b64 s[8:9], s[6:7]
	s_xor_b64 s[6:7], exec, s[8:9]
	s_cbranch_execnz .LBB38_2253
; %bb.205:
	s_or_saveexec_b64 s[6:7], s[6:7]
	v_mov_b32_e32 v6, s10
	s_xor_b64 exec, exec, s[6:7]
	s_cbranch_execnz .LBB38_2256
.LBB38_206:
	s_or_b64 exec, exec, s[6:7]
	s_and_saveexec_b64 s[6:7], s[4:5]
	s_cbranch_execz .LBB38_208
.LBB38_207:
	v_bfe_u32 v6, v4, 8, 3
	v_ffbh_u32_e32 v10, v6
	v_min_u32_e32 v10, 32, v10
	v_lshrrev_b16_e32 v7, 3, v3
	v_subrev_u32_e32 v11, 28, v10
	v_and_b32_e32 v7, 15, v7
	v_lshlrev_b32_e32 v3, v11, v3
	v_sub_u32_e32 v10, 29, v10
	v_and_b32_e32 v3, 7, v3
	v_cmp_eq_u16_e32 vcc, 0, v7
	v_cndmask_b32_e32 v3, v6, v3, vcc
	v_cndmask_b32_e32 v6, v7, v10, vcc
	v_lshlrev_b32_e32 v7, 16, v4
	v_mov_b32_e32 v10, 0x3b800000
	v_lshlrev_b32_e32 v3, 20, v3
	v_and_b32_e32 v7, 0x80000000, v7
	v_lshl_add_u32 v6, v6, 23, v10
	v_or3_b32 v6, v7, v6, v3
.LBB38_208:
	s_or_b64 exec, exec, s[6:7]
	s_nop 0
	v_mfma_f32_16x16x4f32 a[0:3], v2, v6, a[0:3]
	s_movk_i32 s4, 0xff
	v_and_b32_sdwa v3, v8, s4 dst_sel:DWORD dst_unused:UNUSED_PAD src0_sel:WORD_1 src1_sel:DWORD
	s_movk_i32 s4, 0x7f
	v_cmp_lt_i16_e32 vcc, s4, v3
	s_mov_b64 s[4:5], 0
                                        ; implicit-def: $sgpr10
	s_and_saveexec_b64 s[6:7], vcc
	s_xor_b64 s[6:7], exec, s[6:7]
	s_cbranch_execnz .LBB38_2257
; %bb.209:
	s_or_saveexec_b64 s[6:7], s[6:7]
	v_mov_b32_e32 v2, s10
	s_xor_b64 exec, exec, s[6:7]
	s_cbranch_execnz .LBB38_2260
.LBB38_210:
	s_or_b64 exec, exec, s[6:7]
	s_and_saveexec_b64 s[6:7], s[4:5]
	s_cbranch_execz .LBB38_212
.LBB38_211:
	v_bfe_u32 v2, v8, 16, 3
	v_ffbh_u32_e32 v7, v2
	v_min_u32_e32 v7, 32, v7
	v_lshrrev_b32_e32 v3, 19, v8
	v_subrev_u32_e32 v10, 28, v7
	v_and_b32_e32 v3, 15, v3
	v_lshlrev_b32_sdwa v10, v10, v8 dst_sel:DWORD dst_unused:UNUSED_PAD src0_sel:DWORD src1_sel:WORD_1
	v_bfe_u32 v6, v8, 19, 4
	v_sub_u32_e32 v7, 29, v7
	v_and_b32_e32 v10, 7, v10
	v_cmp_eq_u16_e32 vcc, 0, v3
	v_cndmask_b32_e32 v2, v2, v10, vcc
	v_cndmask_b32_e32 v3, v6, v7, vcc
	v_lshlrev_b32_e32 v6, 8, v8
	v_mov_b32_e32 v7, 0x3b800000
	v_lshlrev_b32_e32 v2, 20, v2
	v_and_b32_e32 v6, 0x80000000, v6
	v_lshl_add_u32 v3, v3, 23, v7
	v_or3_b32 v2, v6, v3, v2
.LBB38_212:
	s_or_b64 exec, exec, s[6:7]
	s_movk_i32 s4, 0xff
	v_and_b32_sdwa v3, v4, s4 dst_sel:DWORD dst_unused:UNUSED_PAD src0_sel:WORD_1 src1_sel:DWORD
	s_movk_i32 s4, 0x7f
	v_cmp_lt_i16_e32 vcc, s4, v3
	s_mov_b64 s[4:5], 0
                                        ; implicit-def: $sgpr10
	s_and_saveexec_b64 s[6:7], vcc
	s_xor_b64 s[6:7], exec, s[6:7]
	s_cbranch_execnz .LBB38_2261
; %bb.213:
	s_or_saveexec_b64 s[6:7], s[6:7]
	v_mov_b32_e32 v6, s10
	s_xor_b64 exec, exec, s[6:7]
	s_cbranch_execnz .LBB38_2264
.LBB38_214:
	s_or_b64 exec, exec, s[6:7]
	s_and_saveexec_b64 s[6:7], s[4:5]
	s_cbranch_execz .LBB38_216
.LBB38_215:
	v_bfe_u32 v3, v4, 16, 3
	v_ffbh_u32_e32 v10, v3
	v_min_u32_e32 v10, 32, v10
	v_lshrrev_b32_e32 v6, 19, v4
	v_subrev_u32_e32 v11, 28, v10
	v_and_b32_e32 v6, 15, v6
	v_lshlrev_b32_sdwa v11, v11, v4 dst_sel:DWORD dst_unused:UNUSED_PAD src0_sel:DWORD src1_sel:WORD_1
	v_bfe_u32 v7, v4, 19, 4
	v_sub_u32_e32 v10, 29, v10
	v_and_b32_e32 v11, 7, v11
	v_cmp_eq_u16_e32 vcc, 0, v6
	v_cndmask_b32_e32 v3, v3, v11, vcc
	v_cndmask_b32_e32 v6, v7, v10, vcc
	v_lshlrev_b32_e32 v7, 8, v4
	v_mov_b32_e32 v10, 0x3b800000
	v_lshlrev_b32_e32 v3, 20, v3
	v_and_b32_e32 v7, 0x80000000, v7
	v_lshl_add_u32 v6, v6, 23, v10
	v_or3_b32 v6, v7, v6, v3
.LBB38_216:
	s_or_b64 exec, exec, s[6:7]
	s_nop 0
	v_mfma_f32_16x16x4f32 a[0:3], v2, v6, a[0:3]
	s_movk_i32 s4, 0x7f
	v_cmp_gt_i16_sdwa s[6:7], v8, s4 src0_sel:BYTE_3 src1_sel:DWORD
	s_mov_b64 s[4:5], 0
                                        ; implicit-def: $sgpr10
	s_and_saveexec_b64 s[8:9], s[6:7]
	s_xor_b64 s[6:7], exec, s[8:9]
	s_cbranch_execnz .LBB38_2265
; %bb.217:
	s_or_saveexec_b64 s[6:7], s[6:7]
	v_mov_b32_e32 v2, s10
	s_xor_b64 exec, exec, s[6:7]
	s_cbranch_execnz .LBB38_2268
.LBB38_218:
	s_or_b64 exec, exec, s[6:7]
	s_and_saveexec_b64 s[6:7], s[4:5]
	s_cbranch_execz .LBB38_220
.LBB38_219:
	v_bfe_u32 v2, v8, 24, 3
	v_ffbh_u32_e32 v10, v2
	v_min_u32_e32 v10, 32, v10
	v_lshrrev_b32_e32 v6, 27, v8
	v_subrev_u32_e32 v11, 28, v10
	v_and_b32_e32 v3, 0x80000000, v8
	v_and_b32_e32 v6, 15, v6
	v_bfe_u32 v7, v8, 27, 4
	v_lshlrev_b32_sdwa v8, v11, v8 dst_sel:DWORD dst_unused:UNUSED_PAD src0_sel:DWORD src1_sel:BYTE_3
	v_sub_u32_e32 v10, 29, v10
	v_and_b32_e32 v8, 7, v8
	v_cmp_eq_u16_e32 vcc, 0, v6
	v_cndmask_b32_e32 v2, v2, v8, vcc
	v_cndmask_b32_e32 v6, v7, v10, vcc
	v_mov_b32_e32 v7, 0x3b800000
	v_lshlrev_b32_e32 v2, 20, v2
	v_lshl_add_u32 v6, v6, 23, v7
	v_or3_b32 v2, v3, v6, v2
.LBB38_220:
	s_or_b64 exec, exec, s[6:7]
	s_movk_i32 s4, 0x7f
	v_cmp_gt_i16_sdwa s[6:7], v4, s4 src0_sel:BYTE_3 src1_sel:DWORD
	s_mov_b64 s[4:5], 0
                                        ; implicit-def: $sgpr10
	s_and_saveexec_b64 s[8:9], s[6:7]
	s_xor_b64 s[6:7], exec, s[8:9]
	s_cbranch_execnz .LBB38_2269
; %bb.221:
	s_or_saveexec_b64 s[6:7], s[6:7]
	v_mov_b32_e32 v3, s10
	s_xor_b64 exec, exec, s[6:7]
	s_cbranch_execnz .LBB38_2272
.LBB38_222:
	s_or_b64 exec, exec, s[6:7]
	s_and_saveexec_b64 s[6:7], s[4:5]
	s_cbranch_execz .LBB38_224
.LBB38_223:
	v_bfe_u32 v3, v4, 24, 3
	v_ffbh_u32_e32 v10, v3
	v_min_u32_e32 v10, 32, v10
	v_lshrrev_b32_e32 v7, 27, v4
	v_subrev_u32_e32 v11, 28, v10
	v_and_b32_e32 v6, 0x80000000, v4
	v_and_b32_e32 v7, 15, v7
	v_bfe_u32 v8, v4, 27, 4
	v_lshlrev_b32_sdwa v4, v11, v4 dst_sel:DWORD dst_unused:UNUSED_PAD src0_sel:DWORD src1_sel:BYTE_3
	v_sub_u32_e32 v10, 29, v10
	v_and_b32_e32 v4, 7, v4
	v_cmp_eq_u16_e32 vcc, 0, v7
	v_cndmask_b32_e32 v3, v3, v4, vcc
	v_cndmask_b32_e32 v4, v8, v10, vcc
	v_mov_b32_e32 v7, 0x3b800000
	v_lshlrev_b32_e32 v3, 20, v3
	v_lshl_add_u32 v4, v4, 23, v7
	v_or3_b32 v3, v6, v4, v3
.LBB38_224:
	s_or_b64 exec, exec, s[6:7]
	s_nop 0
	v_mfma_f32_16x16x4f32 a[0:3], v2, v3, a[0:3]
	s_movk_i32 s4, 0x7f
	v_cmp_gt_i16_sdwa s[6:7], v9, s4 src0_sel:BYTE_0 src1_sel:DWORD
	s_mov_b64 s[4:5], 0
                                        ; implicit-def: $sgpr10
	s_and_saveexec_b64 s[8:9], s[6:7]
	s_xor_b64 s[6:7], exec, s[8:9]
	s_cbranch_execnz .LBB38_2273
; %bb.225:
	s_or_saveexec_b64 s[6:7], s[6:7]
	v_mov_b32_e32 v2, s10
	s_xor_b64 exec, exec, s[6:7]
	s_cbranch_execnz .LBB38_2276
.LBB38_226:
	s_or_b64 exec, exec, s[6:7]
	s_and_saveexec_b64 s[6:7], s[4:5]
	s_cbranch_execz .LBB38_228
.LBB38_227:
	v_mov_b32_e32 v2, 8
	v_and_b32_e32 v3, 7, v9
	v_lshrrev_b32_sdwa v2, v2, v9 dst_sel:BYTE_1 dst_unused:UNUSED_PAD src0_sel:DWORD src1_sel:DWORD
	v_ffbh_u32_e32 v4, v3
	v_or_b32_sdwa v2, v9, v2 dst_sel:DWORD dst_unused:UNUSED_PAD src0_sel:BYTE_0 src1_sel:DWORD
	v_min_u32_e32 v4, 32, v4
	v_lshrrev_b16_e32 v2, 3, v2
	v_subrev_u32_e32 v6, 28, v4
	v_and_b32_e32 v2, 15, v2
	v_lshlrev_b32_e32 v6, v6, v9
	v_sub_u32_e32 v4, 29, v4
	v_and_b32_e32 v6, 7, v6
	v_cmp_eq_u16_e32 vcc, 0, v2
	v_cndmask_b32_e32 v3, v3, v6, vcc
	v_cndmask_b32_e32 v2, v2, v4, vcc
	v_lshlrev_b32_e32 v4, 24, v9
	v_mov_b32_e32 v6, 0x3b800000
	v_lshlrev_b32_e32 v3, 20, v3
	v_and_b32_e32 v4, 0x80000000, v4
	v_lshl_add_u32 v2, v2, 23, v6
	v_or3_b32 v2, v4, v2, v3
.LBB38_228:
	s_or_b64 exec, exec, s[6:7]
	s_movk_i32 s4, 0x7f
	v_cmp_gt_i16_sdwa s[6:7], v5, s4 src0_sel:BYTE_0 src1_sel:DWORD
	s_mov_b64 s[4:5], 0
                                        ; implicit-def: $sgpr10
	s_and_saveexec_b64 s[8:9], s[6:7]
	s_xor_b64 s[6:7], exec, s[8:9]
	s_cbranch_execnz .LBB38_2277
; %bb.229:
	s_or_saveexec_b64 s[6:7], s[6:7]
	v_mov_b32_e32 v3, s10
	s_xor_b64 exec, exec, s[6:7]
	s_cbranch_execnz .LBB38_2280
.LBB38_230:
	s_or_b64 exec, exec, s[6:7]
	s_and_saveexec_b64 s[6:7], s[4:5]
	s_cbranch_execz .LBB38_232
.LBB38_231:
	v_mov_b32_e32 v3, 8
	v_and_b32_e32 v4, 7, v5
	v_lshrrev_b32_sdwa v3, v3, v5 dst_sel:BYTE_1 dst_unused:UNUSED_PAD src0_sel:DWORD src1_sel:DWORD
	v_ffbh_u32_e32 v6, v4
	v_or_b32_sdwa v3, v5, v3 dst_sel:DWORD dst_unused:UNUSED_PAD src0_sel:BYTE_0 src1_sel:DWORD
	v_min_u32_e32 v6, 32, v6
	v_lshrrev_b16_e32 v3, 3, v3
	v_subrev_u32_e32 v7, 28, v6
	v_and_b32_e32 v3, 15, v3
	v_lshlrev_b32_e32 v7, v7, v5
	v_sub_u32_e32 v6, 29, v6
	v_and_b32_e32 v7, 7, v7
	v_cmp_eq_u16_e32 vcc, 0, v3
	v_cndmask_b32_e32 v4, v4, v7, vcc
	v_cndmask_b32_e32 v3, v3, v6, vcc
	v_lshlrev_b32_e32 v6, 24, v5
	v_mov_b32_e32 v7, 0x3b800000
	v_lshlrev_b32_e32 v4, 20, v4
	v_and_b32_e32 v6, 0x80000000, v6
	v_lshl_add_u32 v3, v3, 23, v7
	v_or3_b32 v3, v6, v3, v4
.LBB38_232:
	s_or_b64 exec, exec, s[6:7]
	s_nop 0
	v_mfma_f32_16x16x4f32 a[0:3], v2, v3, a[0:3]
	v_lshrrev_b32_e32 v3, 8, v9
	s_movk_i32 s4, 0x7f
	v_cmp_gt_i16_sdwa s[6:7], v3, s4 src0_sel:BYTE_0 src1_sel:DWORD
	s_mov_b64 s[4:5], 0
                                        ; implicit-def: $sgpr10
	s_and_saveexec_b64 s[8:9], s[6:7]
	s_xor_b64 s[6:7], exec, s[8:9]
	s_cbranch_execnz .LBB38_2281
; %bb.233:
	s_or_saveexec_b64 s[6:7], s[6:7]
	v_mov_b32_e32 v2, s10
	s_xor_b64 exec, exec, s[6:7]
	s_cbranch_execnz .LBB38_2284
.LBB38_234:
	s_or_b64 exec, exec, s[6:7]
	s_and_saveexec_b64 s[6:7], s[4:5]
	s_cbranch_execz .LBB38_236
.LBB38_235:
	v_bfe_u32 v2, v9, 8, 3
	v_ffbh_u32_e32 v6, v2
	v_min_u32_e32 v6, 32, v6
	v_lshrrev_b16_e32 v4, 3, v3
	v_subrev_u32_e32 v7, 28, v6
	v_and_b32_e32 v4, 15, v4
	v_lshlrev_b32_e32 v3, v7, v3
	v_sub_u32_e32 v6, 29, v6
	v_and_b32_e32 v3, 7, v3
	v_cmp_eq_u16_e32 vcc, 0, v4
	v_cndmask_b32_e32 v2, v2, v3, vcc
	v_cndmask_b32_e32 v3, v4, v6, vcc
	v_lshlrev_b32_e32 v4, 16, v9
	v_mov_b32_e32 v6, 0x3b800000
	v_lshlrev_b32_e32 v2, 20, v2
	v_and_b32_e32 v4, 0x80000000, v4
	v_lshl_add_u32 v3, v3, 23, v6
	v_or3_b32 v2, v4, v3, v2
.LBB38_236:
	s_or_b64 exec, exec, s[6:7]
	v_lshrrev_b32_e32 v3, 8, v5
	s_movk_i32 s4, 0x7f
	v_cmp_gt_i16_sdwa s[6:7], v3, s4 src0_sel:BYTE_0 src1_sel:DWORD
	s_mov_b64 s[4:5], 0
                                        ; implicit-def: $sgpr10
	s_and_saveexec_b64 s[8:9], s[6:7]
	s_xor_b64 s[6:7], exec, s[8:9]
	s_cbranch_execnz .LBB38_2285
; %bb.237:
	s_or_saveexec_b64 s[6:7], s[6:7]
	v_mov_b32_e32 v4, s10
	s_xor_b64 exec, exec, s[6:7]
	s_cbranch_execnz .LBB38_2288
.LBB38_238:
	s_or_b64 exec, exec, s[6:7]
	s_and_saveexec_b64 s[6:7], s[4:5]
	s_cbranch_execz .LBB38_240
.LBB38_239:
	v_bfe_u32 v4, v5, 8, 3
	v_ffbh_u32_e32 v7, v4
	v_min_u32_e32 v7, 32, v7
	v_lshrrev_b16_e32 v6, 3, v3
	v_subrev_u32_e32 v8, 28, v7
	v_and_b32_e32 v6, 15, v6
	v_lshlrev_b32_e32 v3, v8, v3
	v_sub_u32_e32 v7, 29, v7
	v_and_b32_e32 v3, 7, v3
	v_cmp_eq_u16_e32 vcc, 0, v6
	v_cndmask_b32_e32 v3, v4, v3, vcc
	v_cndmask_b32_e32 v4, v6, v7, vcc
	v_lshlrev_b32_e32 v6, 16, v5
	v_mov_b32_e32 v7, 0x3b800000
	v_lshlrev_b32_e32 v3, 20, v3
	v_and_b32_e32 v6, 0x80000000, v6
	v_lshl_add_u32 v4, v4, 23, v7
	v_or3_b32 v4, v6, v4, v3
.LBB38_240:
	s_or_b64 exec, exec, s[6:7]
	s_nop 0
	v_mfma_f32_16x16x4f32 a[0:3], v2, v4, a[0:3]
	s_movk_i32 s4, 0xff
	v_and_b32_sdwa v3, v9, s4 dst_sel:DWORD dst_unused:UNUSED_PAD src0_sel:WORD_1 src1_sel:DWORD
	s_movk_i32 s4, 0x7f
	v_cmp_lt_i16_e32 vcc, s4, v3
	s_mov_b64 s[4:5], 0
                                        ; implicit-def: $sgpr10
	s_and_saveexec_b64 s[6:7], vcc
	s_xor_b64 s[6:7], exec, s[6:7]
	s_cbranch_execnz .LBB38_2289
; %bb.241:
	s_or_saveexec_b64 s[6:7], s[6:7]
	v_mov_b32_e32 v2, s10
	s_xor_b64 exec, exec, s[6:7]
	s_cbranch_execnz .LBB38_2292
.LBB38_242:
	s_or_b64 exec, exec, s[6:7]
	s_and_saveexec_b64 s[6:7], s[4:5]
	s_cbranch_execz .LBB38_244
.LBB38_243:
	v_bfe_u32 v2, v9, 16, 3
	v_ffbh_u32_e32 v6, v2
	v_min_u32_e32 v6, 32, v6
	v_lshrrev_b32_e32 v3, 19, v9
	v_subrev_u32_e32 v7, 28, v6
	v_and_b32_e32 v3, 15, v3
	v_lshlrev_b32_sdwa v7, v7, v9 dst_sel:DWORD dst_unused:UNUSED_PAD src0_sel:DWORD src1_sel:WORD_1
	v_bfe_u32 v4, v9, 19, 4
	v_sub_u32_e32 v6, 29, v6
	v_and_b32_e32 v7, 7, v7
	v_cmp_eq_u16_e32 vcc, 0, v3
	v_cndmask_b32_e32 v2, v2, v7, vcc
	v_cndmask_b32_e32 v3, v4, v6, vcc
	v_lshlrev_b32_e32 v4, 8, v9
	v_mov_b32_e32 v6, 0x3b800000
	v_lshlrev_b32_e32 v2, 20, v2
	v_and_b32_e32 v4, 0x80000000, v4
	v_lshl_add_u32 v3, v3, 23, v6
	v_or3_b32 v2, v4, v3, v2
.LBB38_244:
	s_or_b64 exec, exec, s[6:7]
	s_movk_i32 s4, 0xff
	v_and_b32_sdwa v3, v5, s4 dst_sel:DWORD dst_unused:UNUSED_PAD src0_sel:WORD_1 src1_sel:DWORD
	s_movk_i32 s4, 0x7f
	v_cmp_lt_i16_e32 vcc, s4, v3
	s_mov_b64 s[4:5], 0
                                        ; implicit-def: $sgpr10
	s_and_saveexec_b64 s[6:7], vcc
	s_xor_b64 s[6:7], exec, s[6:7]
	s_cbranch_execnz .LBB38_2293
; %bb.245:
	s_or_saveexec_b64 s[6:7], s[6:7]
	v_mov_b32_e32 v4, s10
	s_xor_b64 exec, exec, s[6:7]
	s_cbranch_execnz .LBB38_2296
.LBB38_246:
	s_or_b64 exec, exec, s[6:7]
	s_and_saveexec_b64 s[6:7], s[4:5]
	s_cbranch_execz .LBB38_248
.LBB38_247:
	v_bfe_u32 v3, v5, 16, 3
	v_ffbh_u32_e32 v7, v3
	v_min_u32_e32 v7, 32, v7
	v_lshrrev_b32_e32 v4, 19, v5
	v_subrev_u32_e32 v8, 28, v7
	v_and_b32_e32 v4, 15, v4
	v_lshlrev_b32_sdwa v8, v8, v5 dst_sel:DWORD dst_unused:UNUSED_PAD src0_sel:DWORD src1_sel:WORD_1
	v_bfe_u32 v6, v5, 19, 4
	v_sub_u32_e32 v7, 29, v7
	v_and_b32_e32 v8, 7, v8
	v_cmp_eq_u16_e32 vcc, 0, v4
	v_cndmask_b32_e32 v3, v3, v8, vcc
	v_cndmask_b32_e32 v4, v6, v7, vcc
	v_lshlrev_b32_e32 v6, 8, v5
	v_mov_b32_e32 v7, 0x3b800000
	v_lshlrev_b32_e32 v3, 20, v3
	v_and_b32_e32 v6, 0x80000000, v6
	v_lshl_add_u32 v4, v4, 23, v7
	v_or3_b32 v4, v6, v4, v3
.LBB38_248:
	s_or_b64 exec, exec, s[6:7]
	s_nop 0
	v_mfma_f32_16x16x4f32 a[0:3], v2, v4, a[0:3]
	s_movk_i32 s4, 0x7f
	v_cmp_gt_i16_sdwa s[6:7], v9, s4 src0_sel:BYTE_3 src1_sel:DWORD
	s_mov_b64 s[4:5], 0
                                        ; implicit-def: $sgpr10
	s_and_saveexec_b64 s[8:9], s[6:7]
	s_xor_b64 s[6:7], exec, s[8:9]
	s_cbranch_execnz .LBB38_2297
; %bb.249:
	s_or_saveexec_b64 s[6:7], s[6:7]
	v_mov_b32_e32 v2, s10
	s_xor_b64 exec, exec, s[6:7]
	s_cbranch_execnz .LBB38_2300
.LBB38_250:
	s_or_b64 exec, exec, s[6:7]
	s_and_saveexec_b64 s[6:7], s[4:5]
	s_cbranch_execz .LBB38_252
.LBB38_251:
	v_bfe_u32 v2, v9, 24, 3
	v_ffbh_u32_e32 v7, v2
	v_min_u32_e32 v7, 32, v7
	v_lshrrev_b32_e32 v4, 27, v9
	v_subrev_u32_e32 v8, 28, v7
	v_and_b32_e32 v4, 15, v4
	v_lshlrev_b32_sdwa v8, v8, v9 dst_sel:DWORD dst_unused:UNUSED_PAD src0_sel:DWORD src1_sel:BYTE_3
	v_bfe_u32 v6, v9, 27, 4
	v_sub_u32_e32 v7, 29, v7
	v_and_b32_e32 v8, 7, v8
	v_cmp_eq_u16_e32 vcc, 0, v4
	v_cndmask_b32_e32 v2, v2, v8, vcc
	v_cndmask_b32_e32 v4, v6, v7, vcc
	v_mov_b32_e32 v6, 0x3b800000
	v_and_b32_e32 v3, 0x80000000, v9
	v_lshlrev_b32_e32 v2, 20, v2
	v_lshl_add_u32 v4, v4, 23, v6
	v_or3_b32 v2, v3, v4, v2
.LBB38_252:
	s_or_b64 exec, exec, s[6:7]
	s_movk_i32 s4, 0x7f
	v_cmp_gt_i16_sdwa s[6:7], v5, s4 src0_sel:BYTE_3 src1_sel:DWORD
	s_mov_b64 s[4:5], 0
                                        ; implicit-def: $sgpr10
	s_and_saveexec_b64 s[8:9], s[6:7]
	s_xor_b64 s[6:7], exec, s[8:9]
	s_cbranch_execnz .LBB38_2301
; %bb.253:
	s_or_saveexec_b64 s[6:7], s[6:7]
	v_mov_b32_e32 v3, s10
	s_xor_b64 exec, exec, s[6:7]
	s_cbranch_execnz .LBB38_2304
.LBB38_254:
	s_or_b64 exec, exec, s[6:7]
	s_and_saveexec_b64 s[6:7], s[4:5]
	s_cbranch_execz .LBB38_256
.LBB38_255:
	v_bfe_u32 v3, v5, 24, 3
	v_ffbh_u32_e32 v8, v3
	v_min_u32_e32 v8, 32, v8
	v_lshrrev_b32_e32 v6, 27, v5
	v_subrev_u32_e32 v9, 28, v8
	v_and_b32_e32 v4, 0x80000000, v5
	v_and_b32_e32 v6, 15, v6
	v_bfe_u32 v7, v5, 27, 4
	v_lshlrev_b32_sdwa v5, v9, v5 dst_sel:DWORD dst_unused:UNUSED_PAD src0_sel:DWORD src1_sel:BYTE_3
	v_sub_u32_e32 v8, 29, v8
	v_and_b32_e32 v5, 7, v5
	v_cmp_eq_u16_e32 vcc, 0, v6
	v_cndmask_b32_e32 v3, v3, v5, vcc
	v_cndmask_b32_e32 v5, v7, v8, vcc
	v_mov_b32_e32 v6, 0x3b800000
	v_lshlrev_b32_e32 v3, 20, v3
	v_lshl_add_u32 v5, v5, 23, v6
	v_or3_b32 v3, v4, v5, v3
.LBB38_256:
	s_or_b64 exec, exec, s[6:7]
	s_nop 0
	v_mfma_f32_16x16x4f32 a[0:3], v2, v3, a[0:3]
	s_movk_i32 s4, 0x7f
                                        ; implicit-def: $sgpr10
	s_nop 7
	s_nop 1
	flat_store_dwordx4 v[18:19], a[0:3] offset:256
	flat_load_dwordx4 v[20:23], v[0:1] offset:16
	s_nop 0
	flat_load_dwordx2 v[18:19], v[0:1] offset:32
	s_waitcnt vmcnt(0) lgkmcnt(0)
	flat_load_dwordx4 v[14:17], v[20:21]
	flat_load_dwordx4 v[6:9], v[20:21] offset:16
	flat_load_dwordx4 v[10:13], v[22:23] offset:288
	;; [unrolled: 1-line block ×3, first 2 shown]
	s_waitcnt vmcnt(0) lgkmcnt(0)
	v_cmp_gt_i16_sdwa s[6:7], v14, s4 src0_sel:BYTE_0 src1_sel:DWORD
	s_mov_b64 s[4:5], 0
	s_and_saveexec_b64 s[8:9], s[6:7]
	s_xor_b64 s[6:7], exec, s[8:9]
	s_cbranch_execnz .LBB38_2305
; %bb.257:
	s_or_saveexec_b64 s[6:7], s[6:7]
	v_mov_b32_e32 v20, s10
	s_xor_b64 exec, exec, s[6:7]
	s_cbranch_execnz .LBB38_2308
.LBB38_258:
	s_or_b64 exec, exec, s[6:7]
	s_and_saveexec_b64 s[6:7], s[4:5]
	s_cbranch_execz .LBB38_260
.LBB38_259:
	v_and_b32_e32 v20, 7, v14
	v_ffbh_u32_e32 v22, v20
	v_min_u32_e32 v22, 32, v22
	v_lshrrev_b16_e32 v21, 3, v14
	v_subrev_u32_e32 v23, 28, v22
	v_and_b32_e32 v21, 15, v21
	v_lshlrev_b32_e32 v23, v23, v14
	v_sub_u32_e32 v22, 29, v22
	v_and_b32_e32 v23, 7, v23
	v_cmp_eq_u16_e32 vcc, 0, v21
	v_cndmask_b32_e32 v20, v20, v23, vcc
	v_cndmask_b32_e32 v21, v21, v22, vcc
	v_lshlrev_b32_e32 v22, 24, v14
	v_mov_b32_e32 v23, 0x3b800000
	v_lshlrev_b32_e32 v20, 20, v20
	v_and_b32_e32 v22, 0x80000000, v22
	v_lshl_add_u32 v21, v21, 23, v23
	v_or3_b32 v20, v22, v21, v20
.LBB38_260:
	s_or_b64 exec, exec, s[6:7]
	s_movk_i32 s4, 0x7f
	v_cmp_gt_i16_sdwa s[6:7], v10, s4 src0_sel:BYTE_0 src1_sel:DWORD
	s_mov_b64 s[4:5], 0
                                        ; implicit-def: $sgpr10
	s_and_saveexec_b64 s[8:9], s[6:7]
	s_xor_b64 s[6:7], exec, s[8:9]
	s_cbranch_execnz .LBB38_2309
; %bb.261:
	s_or_saveexec_b64 s[6:7], s[6:7]
	v_mov_b32_e32 v21, s10
	s_xor_b64 exec, exec, s[6:7]
	s_cbranch_execnz .LBB38_2312
.LBB38_262:
	s_or_b64 exec, exec, s[6:7]
	s_and_saveexec_b64 s[6:7], s[4:5]
	s_cbranch_execz .LBB38_264
.LBB38_263:
	v_and_b32_e32 v21, 7, v10
	v_ffbh_u32_e32 v23, v21
	v_min_u32_e32 v23, 32, v23
	v_lshrrev_b16_e32 v22, 3, v10
	v_subrev_u32_e32 v24, 28, v23
	v_and_b32_e32 v22, 15, v22
	v_lshlrev_b32_e32 v24, v24, v10
	v_sub_u32_e32 v23, 29, v23
	v_and_b32_e32 v24, 7, v24
	v_cmp_eq_u16_e32 vcc, 0, v22
	v_cndmask_b32_e32 v21, v21, v24, vcc
	v_cndmask_b32_e32 v22, v22, v23, vcc
	v_lshlrev_b32_e32 v23, 24, v10
	v_mov_b32_e32 v24, 0x3b800000
	v_lshlrev_b32_e32 v21, 20, v21
	v_and_b32_e32 v23, 0x80000000, v23
	v_lshl_add_u32 v22, v22, 23, v24
	v_or3_b32 v21, v23, v22, v21
.LBB38_264:
	s_or_b64 exec, exec, s[6:7]
	flat_load_dwordx4 a[0:3], v[18:19] offset:272
	s_movk_i32 s4, 0x7f
                                        ; implicit-def: $sgpr10
	s_waitcnt vmcnt(0) lgkmcnt(0)
	v_mfma_f32_16x16x4f32 a[0:3], v20, v21, a[0:3]
	v_lshrrev_b32_e32 v21, 8, v14
	v_cmp_gt_i16_sdwa s[6:7], v21, s4 src0_sel:BYTE_0 src1_sel:DWORD
	s_mov_b64 s[4:5], 0
	s_and_saveexec_b64 s[8:9], s[6:7]
	s_xor_b64 s[6:7], exec, s[8:9]
	s_cbranch_execnz .LBB38_2313
; %bb.265:
	s_or_saveexec_b64 s[6:7], s[6:7]
	v_mov_b32_e32 v20, s10
	s_xor_b64 exec, exec, s[6:7]
	s_cbranch_execnz .LBB38_2316
.LBB38_266:
	s_or_b64 exec, exec, s[6:7]
	s_and_saveexec_b64 s[6:7], s[4:5]
	s_cbranch_execz .LBB38_268
.LBB38_267:
	v_bfe_u32 v20, v14, 8, 3
	v_ffbh_u32_e32 v23, v20
	v_min_u32_e32 v23, 32, v23
	v_lshrrev_b16_e32 v22, 3, v21
	v_subrev_u32_e32 v24, 28, v23
	v_and_b32_e32 v22, 15, v22
	v_lshlrev_b32_e32 v21, v24, v21
	v_sub_u32_e32 v23, 29, v23
	v_and_b32_e32 v21, 7, v21
	v_cmp_eq_u16_e32 vcc, 0, v22
	v_cndmask_b32_e32 v20, v20, v21, vcc
	v_cndmask_b32_e32 v21, v22, v23, vcc
	v_lshlrev_b32_e32 v22, 16, v14
	v_mov_b32_e32 v23, 0x3b800000
	v_lshlrev_b32_e32 v20, 20, v20
	v_and_b32_e32 v22, 0x80000000, v22
	v_lshl_add_u32 v21, v21, 23, v23
	v_or3_b32 v20, v22, v21, v20
.LBB38_268:
	s_or_b64 exec, exec, s[6:7]
	v_lshrrev_b32_e32 v21, 8, v10
	s_movk_i32 s4, 0x7f
	v_cmp_gt_i16_sdwa s[6:7], v21, s4 src0_sel:BYTE_0 src1_sel:DWORD
	s_mov_b64 s[4:5], 0
                                        ; implicit-def: $sgpr10
	s_and_saveexec_b64 s[8:9], s[6:7]
	s_xor_b64 s[6:7], exec, s[8:9]
	s_cbranch_execnz .LBB38_2317
; %bb.269:
	s_or_saveexec_b64 s[6:7], s[6:7]
	v_mov_b32_e32 v22, s10
	s_xor_b64 exec, exec, s[6:7]
	s_cbranch_execnz .LBB38_2320
.LBB38_270:
	s_or_b64 exec, exec, s[6:7]
	s_and_saveexec_b64 s[6:7], s[4:5]
	s_cbranch_execz .LBB38_272
.LBB38_271:
	v_bfe_u32 v22, v10, 8, 3
	v_ffbh_u32_e32 v24, v22
	v_min_u32_e32 v24, 32, v24
	v_lshrrev_b16_e32 v23, 3, v21
	v_subrev_u32_e32 v25, 28, v24
	v_and_b32_e32 v23, 15, v23
	v_lshlrev_b32_e32 v21, v25, v21
	v_sub_u32_e32 v24, 29, v24
	v_and_b32_e32 v21, 7, v21
	v_cmp_eq_u16_e32 vcc, 0, v23
	v_cndmask_b32_e32 v21, v22, v21, vcc
	v_cndmask_b32_e32 v22, v23, v24, vcc
	v_lshlrev_b32_e32 v23, 16, v10
	v_mov_b32_e32 v24, 0x3b800000
	v_lshlrev_b32_e32 v21, 20, v21
	v_and_b32_e32 v23, 0x80000000, v23
	v_lshl_add_u32 v22, v22, 23, v24
	v_or3_b32 v22, v23, v22, v21
.LBB38_272:
	s_or_b64 exec, exec, s[6:7]
	s_nop 0
	v_mfma_f32_16x16x4f32 a[0:3], v20, v22, a[0:3]
	s_movk_i32 s4, 0xff
	v_and_b32_sdwa v21, v14, s4 dst_sel:DWORD dst_unused:UNUSED_PAD src0_sel:WORD_1 src1_sel:DWORD
	s_movk_i32 s4, 0x7f
	v_cmp_lt_i16_e32 vcc, s4, v21
	s_mov_b64 s[4:5], 0
                                        ; implicit-def: $sgpr10
	s_and_saveexec_b64 s[6:7], vcc
	s_xor_b64 s[6:7], exec, s[6:7]
	s_cbranch_execnz .LBB38_2321
; %bb.273:
	s_or_saveexec_b64 s[6:7], s[6:7]
	v_mov_b32_e32 v20, s10
	s_xor_b64 exec, exec, s[6:7]
	s_cbranch_execnz .LBB38_2324
.LBB38_274:
	s_or_b64 exec, exec, s[6:7]
	s_and_saveexec_b64 s[6:7], s[4:5]
	s_cbranch_execz .LBB38_276
.LBB38_275:
	v_bfe_u32 v20, v14, 16, 3
	v_ffbh_u32_e32 v23, v20
	v_min_u32_e32 v23, 32, v23
	v_lshrrev_b32_e32 v21, 19, v14
	v_subrev_u32_e32 v24, 28, v23
	v_and_b32_e32 v21, 15, v21
	v_lshlrev_b32_sdwa v24, v24, v14 dst_sel:DWORD dst_unused:UNUSED_PAD src0_sel:DWORD src1_sel:WORD_1
	v_bfe_u32 v22, v14, 19, 4
	v_sub_u32_e32 v23, 29, v23
	v_and_b32_e32 v24, 7, v24
	v_cmp_eq_u16_e32 vcc, 0, v21
	v_cndmask_b32_e32 v20, v20, v24, vcc
	v_cndmask_b32_e32 v21, v22, v23, vcc
	v_lshlrev_b32_e32 v22, 8, v14
	v_mov_b32_e32 v23, 0x3b800000
	v_lshlrev_b32_e32 v20, 20, v20
	v_and_b32_e32 v22, 0x80000000, v22
	v_lshl_add_u32 v21, v21, 23, v23
	v_or3_b32 v20, v22, v21, v20
.LBB38_276:
	s_or_b64 exec, exec, s[6:7]
	s_movk_i32 s4, 0xff
	v_and_b32_sdwa v21, v10, s4 dst_sel:DWORD dst_unused:UNUSED_PAD src0_sel:WORD_1 src1_sel:DWORD
	s_movk_i32 s4, 0x7f
	v_cmp_lt_i16_e32 vcc, s4, v21
	s_mov_b64 s[4:5], 0
                                        ; implicit-def: $sgpr10
	s_and_saveexec_b64 s[6:7], vcc
	s_xor_b64 s[6:7], exec, s[6:7]
	s_cbranch_execnz .LBB38_2325
; %bb.277:
	s_or_saveexec_b64 s[6:7], s[6:7]
	v_mov_b32_e32 v22, s10
	s_xor_b64 exec, exec, s[6:7]
	s_cbranch_execnz .LBB38_2328
.LBB38_278:
	s_or_b64 exec, exec, s[6:7]
	s_and_saveexec_b64 s[6:7], s[4:5]
	s_cbranch_execz .LBB38_280
.LBB38_279:
	v_bfe_u32 v21, v10, 16, 3
	v_ffbh_u32_e32 v24, v21
	v_min_u32_e32 v24, 32, v24
	v_lshrrev_b32_e32 v22, 19, v10
	v_subrev_u32_e32 v25, 28, v24
	v_and_b32_e32 v22, 15, v22
	v_lshlrev_b32_sdwa v25, v25, v10 dst_sel:DWORD dst_unused:UNUSED_PAD src0_sel:DWORD src1_sel:WORD_1
	v_bfe_u32 v23, v10, 19, 4
	v_sub_u32_e32 v24, 29, v24
	v_and_b32_e32 v25, 7, v25
	v_cmp_eq_u16_e32 vcc, 0, v22
	v_cndmask_b32_e32 v21, v21, v25, vcc
	v_cndmask_b32_e32 v22, v23, v24, vcc
	v_lshlrev_b32_e32 v23, 8, v10
	v_mov_b32_e32 v24, 0x3b800000
	v_lshlrev_b32_e32 v21, 20, v21
	v_and_b32_e32 v23, 0x80000000, v23
	v_lshl_add_u32 v22, v22, 23, v24
	v_or3_b32 v22, v23, v22, v21
.LBB38_280:
	s_or_b64 exec, exec, s[6:7]
	s_nop 0
	v_mfma_f32_16x16x4f32 a[0:3], v20, v22, a[0:3]
	s_movk_i32 s4, 0x7f
	v_cmp_gt_i16_sdwa s[6:7], v14, s4 src0_sel:BYTE_3 src1_sel:DWORD
	s_mov_b64 s[4:5], 0
                                        ; implicit-def: $sgpr10
	s_and_saveexec_b64 s[8:9], s[6:7]
	s_xor_b64 s[6:7], exec, s[8:9]
	s_cbranch_execnz .LBB38_2329
; %bb.281:
	s_or_saveexec_b64 s[6:7], s[6:7]
	v_mov_b32_e32 v20, s10
	s_xor_b64 exec, exec, s[6:7]
	s_cbranch_execnz .LBB38_2332
.LBB38_282:
	s_or_b64 exec, exec, s[6:7]
	s_and_saveexec_b64 s[6:7], s[4:5]
	s_cbranch_execz .LBB38_284
.LBB38_283:
	v_bfe_u32 v20, v14, 24, 3
	v_ffbh_u32_e32 v24, v20
	v_min_u32_e32 v24, 32, v24
	v_lshrrev_b32_e32 v22, 27, v14
	v_subrev_u32_e32 v25, 28, v24
	v_and_b32_e32 v21, 0x80000000, v14
	v_and_b32_e32 v22, 15, v22
	v_bfe_u32 v23, v14, 27, 4
	v_lshlrev_b32_sdwa v14, v25, v14 dst_sel:DWORD dst_unused:UNUSED_PAD src0_sel:DWORD src1_sel:BYTE_3
	v_sub_u32_e32 v24, 29, v24
	v_and_b32_e32 v14, 7, v14
	v_cmp_eq_u16_e32 vcc, 0, v22
	v_cndmask_b32_e32 v14, v20, v14, vcc
	v_cndmask_b32_e32 v20, v23, v24, vcc
	v_mov_b32_e32 v22, 0x3b800000
	v_lshlrev_b32_e32 v14, 20, v14
	v_lshl_add_u32 v20, v20, 23, v22
	v_or3_b32 v20, v21, v20, v14
.LBB38_284:
	s_or_b64 exec, exec, s[6:7]
	s_movk_i32 s4, 0x7f
	v_cmp_gt_i16_sdwa s[6:7], v10, s4 src0_sel:BYTE_3 src1_sel:DWORD
	s_mov_b64 s[4:5], 0
                                        ; implicit-def: $sgpr10
	s_and_saveexec_b64 s[8:9], s[6:7]
	s_xor_b64 s[6:7], exec, s[8:9]
	s_cbranch_execnz .LBB38_2333
; %bb.285:
	s_or_saveexec_b64 s[6:7], s[6:7]
	v_mov_b32_e32 v14, s10
	s_xor_b64 exec, exec, s[6:7]
	s_cbranch_execnz .LBB38_2336
.LBB38_286:
	s_or_b64 exec, exec, s[6:7]
	s_and_saveexec_b64 s[6:7], s[4:5]
	s_cbranch_execz .LBB38_288
.LBB38_287:
	v_bfe_u32 v14, v10, 24, 3
	v_ffbh_u32_e32 v24, v14
	v_min_u32_e32 v24, 32, v24
	v_lshrrev_b32_e32 v22, 27, v10
	v_subrev_u32_e32 v25, 28, v24
	v_and_b32_e32 v21, 0x80000000, v10
	v_and_b32_e32 v22, 15, v22
	v_bfe_u32 v23, v10, 27, 4
	v_lshlrev_b32_sdwa v10, v25, v10 dst_sel:DWORD dst_unused:UNUSED_PAD src0_sel:DWORD src1_sel:BYTE_3
	v_sub_u32_e32 v24, 29, v24
	v_and_b32_e32 v10, 7, v10
	v_cmp_eq_u16_e32 vcc, 0, v22
	v_cndmask_b32_e32 v10, v14, v10, vcc
	v_cndmask_b32_e32 v14, v23, v24, vcc
	v_mov_b32_e32 v22, 0x3b800000
	v_lshlrev_b32_e32 v10, 20, v10
	v_lshl_add_u32 v14, v14, 23, v22
	v_or3_b32 v14, v21, v14, v10
.LBB38_288:
	s_or_b64 exec, exec, s[6:7]
	s_nop 0
	v_mfma_f32_16x16x4f32 a[0:3], v20, v14, a[0:3]
	s_movk_i32 s4, 0x7f
	v_cmp_gt_i16_sdwa s[6:7], v15, s4 src0_sel:BYTE_0 src1_sel:DWORD
	s_mov_b64 s[4:5], 0
                                        ; implicit-def: $sgpr10
	s_and_saveexec_b64 s[8:9], s[6:7]
	s_xor_b64 s[6:7], exec, s[8:9]
	s_cbranch_execnz .LBB38_2337
; %bb.289:
	s_or_saveexec_b64 s[6:7], s[6:7]
	v_mov_b32_e32 v10, s10
	s_xor_b64 exec, exec, s[6:7]
	s_cbranch_execnz .LBB38_2340
.LBB38_290:
	s_or_b64 exec, exec, s[6:7]
	s_and_saveexec_b64 s[6:7], s[4:5]
	s_cbranch_execz .LBB38_292
.LBB38_291:
	v_and_b32_e32 v10, 7, v15
	v_ffbh_u32_e32 v20, v10
	v_min_u32_e32 v20, 32, v20
	v_lshrrev_b16_e32 v14, 3, v15
	v_subrev_u32_e32 v21, 28, v20
	v_and_b32_e32 v14, 15, v14
	v_lshlrev_b32_e32 v21, v21, v15
	v_sub_u32_e32 v20, 29, v20
	v_and_b32_e32 v21, 7, v21
	v_cmp_eq_u16_e32 vcc, 0, v14
	v_cndmask_b32_e32 v10, v10, v21, vcc
	v_cndmask_b32_e32 v14, v14, v20, vcc
	v_lshlrev_b32_e32 v20, 24, v15
	v_mov_b32_e32 v21, 0x3b800000
	v_lshlrev_b32_e32 v10, 20, v10
	v_and_b32_e32 v20, 0x80000000, v20
	v_lshl_add_u32 v14, v14, 23, v21
	v_or3_b32 v10, v20, v14, v10
.LBB38_292:
	s_or_b64 exec, exec, s[6:7]
	s_movk_i32 s4, 0x7f
	v_cmp_gt_i16_sdwa s[6:7], v11, s4 src0_sel:BYTE_0 src1_sel:DWORD
	s_mov_b64 s[4:5], 0
                                        ; implicit-def: $sgpr10
	s_and_saveexec_b64 s[8:9], s[6:7]
	s_xor_b64 s[6:7], exec, s[8:9]
	s_cbranch_execnz .LBB38_2341
; %bb.293:
	s_or_saveexec_b64 s[6:7], s[6:7]
	v_mov_b32_e32 v14, s10
	s_xor_b64 exec, exec, s[6:7]
	s_cbranch_execnz .LBB38_2344
.LBB38_294:
	s_or_b64 exec, exec, s[6:7]
	s_and_saveexec_b64 s[6:7], s[4:5]
	s_cbranch_execz .LBB38_296
.LBB38_295:
	v_and_b32_e32 v14, 7, v11
	v_ffbh_u32_e32 v21, v14
	v_min_u32_e32 v21, 32, v21
	v_lshrrev_b16_e32 v20, 3, v11
	v_subrev_u32_e32 v22, 28, v21
	v_and_b32_e32 v20, 15, v20
	v_lshlrev_b32_e32 v22, v22, v11
	v_sub_u32_e32 v21, 29, v21
	v_and_b32_e32 v22, 7, v22
	v_cmp_eq_u16_e32 vcc, 0, v20
	v_cndmask_b32_e32 v14, v14, v22, vcc
	v_cndmask_b32_e32 v20, v20, v21, vcc
	v_lshlrev_b32_e32 v21, 24, v11
	v_mov_b32_e32 v22, 0x3b800000
	v_lshlrev_b32_e32 v14, 20, v14
	v_and_b32_e32 v21, 0x80000000, v21
	v_lshl_add_u32 v20, v20, 23, v22
	v_or3_b32 v14, v21, v20, v14
.LBB38_296:
	s_or_b64 exec, exec, s[6:7]
	s_nop 0
	v_mfma_f32_16x16x4f32 a[0:3], v10, v14, a[0:3]
	v_lshrrev_b32_e32 v14, 8, v15
	s_movk_i32 s4, 0x7f
	v_cmp_gt_i16_sdwa s[6:7], v14, s4 src0_sel:BYTE_0 src1_sel:DWORD
	s_mov_b64 s[4:5], 0
                                        ; implicit-def: $sgpr10
	s_and_saveexec_b64 s[8:9], s[6:7]
	s_xor_b64 s[6:7], exec, s[8:9]
	s_cbranch_execnz .LBB38_2345
; %bb.297:
	s_or_saveexec_b64 s[6:7], s[6:7]
	v_mov_b32_e32 v10, s10
	s_xor_b64 exec, exec, s[6:7]
	s_cbranch_execnz .LBB38_2348
.LBB38_298:
	s_or_b64 exec, exec, s[6:7]
	s_and_saveexec_b64 s[6:7], s[4:5]
	s_cbranch_execz .LBB38_300
.LBB38_299:
	v_bfe_u32 v10, v15, 8, 3
	v_ffbh_u32_e32 v21, v10
	v_min_u32_e32 v21, 32, v21
	v_lshrrev_b16_e32 v20, 3, v14
	v_subrev_u32_e32 v22, 28, v21
	v_and_b32_e32 v20, 15, v20
	v_lshlrev_b32_e32 v14, v22, v14
	v_sub_u32_e32 v21, 29, v21
	v_and_b32_e32 v14, 7, v14
	v_cmp_eq_u16_e32 vcc, 0, v20
	v_cndmask_b32_e32 v10, v10, v14, vcc
	v_cndmask_b32_e32 v14, v20, v21, vcc
	v_lshlrev_b32_e32 v20, 16, v15
	v_mov_b32_e32 v21, 0x3b800000
	v_lshlrev_b32_e32 v10, 20, v10
	v_and_b32_e32 v20, 0x80000000, v20
	v_lshl_add_u32 v14, v14, 23, v21
	v_or3_b32 v10, v20, v14, v10
.LBB38_300:
	s_or_b64 exec, exec, s[6:7]
	v_lshrrev_b32_e32 v14, 8, v11
	s_movk_i32 s4, 0x7f
	v_cmp_gt_i16_sdwa s[6:7], v14, s4 src0_sel:BYTE_0 src1_sel:DWORD
	s_mov_b64 s[4:5], 0
                                        ; implicit-def: $sgpr10
	s_and_saveexec_b64 s[8:9], s[6:7]
	s_xor_b64 s[6:7], exec, s[8:9]
	s_cbranch_execnz .LBB38_2349
; %bb.301:
	s_or_saveexec_b64 s[6:7], s[6:7]
	v_mov_b32_e32 v20, s10
	s_xor_b64 exec, exec, s[6:7]
	s_cbranch_execnz .LBB38_2352
.LBB38_302:
	s_or_b64 exec, exec, s[6:7]
	s_and_saveexec_b64 s[6:7], s[4:5]
	s_cbranch_execz .LBB38_304
.LBB38_303:
	v_bfe_u32 v20, v11, 8, 3
	v_ffbh_u32_e32 v22, v20
	v_min_u32_e32 v22, 32, v22
	v_lshrrev_b16_e32 v21, 3, v14
	v_subrev_u32_e32 v23, 28, v22
	v_and_b32_e32 v21, 15, v21
	v_lshlrev_b32_e32 v14, v23, v14
	v_sub_u32_e32 v22, 29, v22
	v_and_b32_e32 v14, 7, v14
	v_cmp_eq_u16_e32 vcc, 0, v21
	v_cndmask_b32_e32 v14, v20, v14, vcc
	v_cndmask_b32_e32 v20, v21, v22, vcc
	v_lshlrev_b32_e32 v21, 16, v11
	v_mov_b32_e32 v22, 0x3b800000
	v_lshlrev_b32_e32 v14, 20, v14
	v_and_b32_e32 v21, 0x80000000, v21
	v_lshl_add_u32 v20, v20, 23, v22
	v_or3_b32 v20, v21, v20, v14
.LBB38_304:
	s_or_b64 exec, exec, s[6:7]
	s_nop 0
	v_mfma_f32_16x16x4f32 a[0:3], v10, v20, a[0:3]
	s_movk_i32 s4, 0xff
	v_and_b32_sdwa v14, v15, s4 dst_sel:DWORD dst_unused:UNUSED_PAD src0_sel:WORD_1 src1_sel:DWORD
	s_movk_i32 s4, 0x7f
	v_cmp_lt_i16_e32 vcc, s4, v14
	s_mov_b64 s[4:5], 0
                                        ; implicit-def: $sgpr10
	s_and_saveexec_b64 s[6:7], vcc
	s_xor_b64 s[6:7], exec, s[6:7]
	s_cbranch_execnz .LBB38_2353
; %bb.305:
	s_or_saveexec_b64 s[6:7], s[6:7]
	v_mov_b32_e32 v10, s10
	s_xor_b64 exec, exec, s[6:7]
	s_cbranch_execnz .LBB38_2356
.LBB38_306:
	s_or_b64 exec, exec, s[6:7]
	s_and_saveexec_b64 s[6:7], s[4:5]
	s_cbranch_execz .LBB38_308
.LBB38_307:
	v_bfe_u32 v10, v15, 16, 3
	v_ffbh_u32_e32 v21, v10
	v_min_u32_e32 v21, 32, v21
	v_lshrrev_b32_e32 v14, 19, v15
	v_subrev_u32_e32 v22, 28, v21
	v_and_b32_e32 v14, 15, v14
	v_lshlrev_b32_sdwa v22, v22, v15 dst_sel:DWORD dst_unused:UNUSED_PAD src0_sel:DWORD src1_sel:WORD_1
	v_bfe_u32 v20, v15, 19, 4
	v_sub_u32_e32 v21, 29, v21
	v_and_b32_e32 v22, 7, v22
	v_cmp_eq_u16_e32 vcc, 0, v14
	v_cndmask_b32_e32 v10, v10, v22, vcc
	v_cndmask_b32_e32 v14, v20, v21, vcc
	v_lshlrev_b32_e32 v20, 8, v15
	v_mov_b32_e32 v21, 0x3b800000
	v_lshlrev_b32_e32 v10, 20, v10
	v_and_b32_e32 v20, 0x80000000, v20
	v_lshl_add_u32 v14, v14, 23, v21
	v_or3_b32 v10, v20, v14, v10
.LBB38_308:
	s_or_b64 exec, exec, s[6:7]
	s_movk_i32 s4, 0xff
	v_and_b32_sdwa v14, v11, s4 dst_sel:DWORD dst_unused:UNUSED_PAD src0_sel:WORD_1 src1_sel:DWORD
	s_movk_i32 s4, 0x7f
	v_cmp_lt_i16_e32 vcc, s4, v14
	s_mov_b64 s[4:5], 0
                                        ; implicit-def: $sgpr10
	s_and_saveexec_b64 s[6:7], vcc
	s_xor_b64 s[6:7], exec, s[6:7]
	s_cbranch_execnz .LBB38_2357
; %bb.309:
	s_or_saveexec_b64 s[6:7], s[6:7]
	v_mov_b32_e32 v20, s10
	s_xor_b64 exec, exec, s[6:7]
	s_cbranch_execnz .LBB38_2360
.LBB38_310:
	s_or_b64 exec, exec, s[6:7]
	s_and_saveexec_b64 s[6:7], s[4:5]
	s_cbranch_execz .LBB38_312
.LBB38_311:
	v_bfe_u32 v14, v11, 16, 3
	v_ffbh_u32_e32 v22, v14
	v_min_u32_e32 v22, 32, v22
	v_lshrrev_b32_e32 v20, 19, v11
	v_subrev_u32_e32 v23, 28, v22
	v_and_b32_e32 v20, 15, v20
	v_lshlrev_b32_sdwa v23, v23, v11 dst_sel:DWORD dst_unused:UNUSED_PAD src0_sel:DWORD src1_sel:WORD_1
	v_bfe_u32 v21, v11, 19, 4
	v_sub_u32_e32 v22, 29, v22
	v_and_b32_e32 v23, 7, v23
	v_cmp_eq_u16_e32 vcc, 0, v20
	v_cndmask_b32_e32 v14, v14, v23, vcc
	v_cndmask_b32_e32 v20, v21, v22, vcc
	v_lshlrev_b32_e32 v21, 8, v11
	v_mov_b32_e32 v22, 0x3b800000
	v_lshlrev_b32_e32 v14, 20, v14
	v_and_b32_e32 v21, 0x80000000, v21
	v_lshl_add_u32 v20, v20, 23, v22
	v_or3_b32 v20, v21, v20, v14
.LBB38_312:
	s_or_b64 exec, exec, s[6:7]
	s_nop 0
	v_mfma_f32_16x16x4f32 a[0:3], v10, v20, a[0:3]
	s_movk_i32 s4, 0x7f
	v_cmp_gt_i16_sdwa s[6:7], v15, s4 src0_sel:BYTE_3 src1_sel:DWORD
	s_mov_b64 s[4:5], 0
                                        ; implicit-def: $sgpr10
	s_and_saveexec_b64 s[8:9], s[6:7]
	s_xor_b64 s[6:7], exec, s[8:9]
	s_cbranch_execnz .LBB38_2361
; %bb.313:
	s_or_saveexec_b64 s[6:7], s[6:7]
	v_mov_b32_e32 v10, s10
	s_xor_b64 exec, exec, s[6:7]
	s_cbranch_execnz .LBB38_2364
.LBB38_314:
	s_or_b64 exec, exec, s[6:7]
	s_and_saveexec_b64 s[6:7], s[4:5]
	s_cbranch_execz .LBB38_316
.LBB38_315:
	v_bfe_u32 v10, v15, 24, 3
	v_ffbh_u32_e32 v22, v10
	v_min_u32_e32 v22, 32, v22
	v_lshrrev_b32_e32 v20, 27, v15
	v_subrev_u32_e32 v23, 28, v22
	v_and_b32_e32 v14, 0x80000000, v15
	v_and_b32_e32 v20, 15, v20
	v_bfe_u32 v21, v15, 27, 4
	v_lshlrev_b32_sdwa v15, v23, v15 dst_sel:DWORD dst_unused:UNUSED_PAD src0_sel:DWORD src1_sel:BYTE_3
	v_sub_u32_e32 v22, 29, v22
	v_and_b32_e32 v15, 7, v15
	v_cmp_eq_u16_e32 vcc, 0, v20
	v_cndmask_b32_e32 v10, v10, v15, vcc
	v_cndmask_b32_e32 v15, v21, v22, vcc
	v_mov_b32_e32 v20, 0x3b800000
	v_lshlrev_b32_e32 v10, 20, v10
	v_lshl_add_u32 v15, v15, 23, v20
	v_or3_b32 v10, v14, v15, v10
.LBB38_316:
	s_or_b64 exec, exec, s[6:7]
	s_movk_i32 s4, 0x7f
	v_cmp_gt_i16_sdwa s[6:7], v11, s4 src0_sel:BYTE_3 src1_sel:DWORD
	s_mov_b64 s[4:5], 0
                                        ; implicit-def: $sgpr10
	s_and_saveexec_b64 s[8:9], s[6:7]
	s_xor_b64 s[6:7], exec, s[8:9]
	s_cbranch_execnz .LBB38_2365
; %bb.317:
	s_or_saveexec_b64 s[6:7], s[6:7]
	v_mov_b32_e32 v14, s10
	s_xor_b64 exec, exec, s[6:7]
	s_cbranch_execnz .LBB38_2368
.LBB38_318:
	s_or_b64 exec, exec, s[6:7]
	s_and_saveexec_b64 s[6:7], s[4:5]
	s_cbranch_execz .LBB38_320
.LBB38_319:
	v_bfe_u32 v14, v11, 24, 3
	v_ffbh_u32_e32 v22, v14
	v_min_u32_e32 v22, 32, v22
	v_lshrrev_b32_e32 v20, 27, v11
	v_subrev_u32_e32 v23, 28, v22
	v_and_b32_e32 v15, 0x80000000, v11
	v_and_b32_e32 v20, 15, v20
	v_bfe_u32 v21, v11, 27, 4
	v_lshlrev_b32_sdwa v11, v23, v11 dst_sel:DWORD dst_unused:UNUSED_PAD src0_sel:DWORD src1_sel:BYTE_3
	v_sub_u32_e32 v22, 29, v22
	v_and_b32_e32 v11, 7, v11
	v_cmp_eq_u16_e32 vcc, 0, v20
	v_cndmask_b32_e32 v11, v14, v11, vcc
	v_cndmask_b32_e32 v14, v21, v22, vcc
	v_mov_b32_e32 v20, 0x3b800000
	v_lshlrev_b32_e32 v11, 20, v11
	v_lshl_add_u32 v14, v14, 23, v20
	v_or3_b32 v14, v15, v14, v11
.LBB38_320:
	s_or_b64 exec, exec, s[6:7]
	s_nop 0
	v_mfma_f32_16x16x4f32 a[0:3], v10, v14, a[0:3]
	s_movk_i32 s4, 0x7f
	v_cmp_gt_i16_sdwa s[6:7], v16, s4 src0_sel:BYTE_0 src1_sel:DWORD
	s_mov_b64 s[4:5], 0
                                        ; implicit-def: $sgpr10
	s_and_saveexec_b64 s[8:9], s[6:7]
	s_xor_b64 s[6:7], exec, s[8:9]
	s_cbranch_execnz .LBB38_2369
; %bb.321:
	s_or_saveexec_b64 s[6:7], s[6:7]
	v_mov_b32_e32 v10, s10
	s_xor_b64 exec, exec, s[6:7]
	s_cbranch_execnz .LBB38_2372
.LBB38_322:
	s_or_b64 exec, exec, s[6:7]
	s_and_saveexec_b64 s[6:7], s[4:5]
	s_cbranch_execz .LBB38_324
.LBB38_323:
	v_and_b32_e32 v10, 7, v16
	v_ffbh_u32_e32 v14, v10
	v_min_u32_e32 v14, 32, v14
	v_lshrrev_b16_e32 v11, 3, v16
	v_subrev_u32_e32 v15, 28, v14
	v_and_b32_e32 v11, 15, v11
	v_lshlrev_b32_e32 v15, v15, v16
	v_sub_u32_e32 v14, 29, v14
	v_and_b32_e32 v15, 7, v15
	v_cmp_eq_u16_e32 vcc, 0, v11
	v_cndmask_b32_e32 v10, v10, v15, vcc
	v_cndmask_b32_e32 v11, v11, v14, vcc
	v_lshlrev_b32_e32 v14, 24, v16
	v_mov_b32_e32 v15, 0x3b800000
	v_lshlrev_b32_e32 v10, 20, v10
	v_and_b32_e32 v14, 0x80000000, v14
	v_lshl_add_u32 v11, v11, 23, v15
	v_or3_b32 v10, v14, v11, v10
.LBB38_324:
	s_or_b64 exec, exec, s[6:7]
	s_movk_i32 s4, 0x7f
	v_cmp_gt_i16_sdwa s[6:7], v12, s4 src0_sel:BYTE_0 src1_sel:DWORD
	s_mov_b64 s[4:5], 0
                                        ; implicit-def: $sgpr10
	s_and_saveexec_b64 s[8:9], s[6:7]
	s_xor_b64 s[6:7], exec, s[8:9]
	s_cbranch_execnz .LBB38_2373
; %bb.325:
	s_or_saveexec_b64 s[6:7], s[6:7]
	v_mov_b32_e32 v11, s10
	s_xor_b64 exec, exec, s[6:7]
	s_cbranch_execnz .LBB38_2376
.LBB38_326:
	s_or_b64 exec, exec, s[6:7]
	s_and_saveexec_b64 s[6:7], s[4:5]
	s_cbranch_execz .LBB38_328
.LBB38_327:
	v_and_b32_e32 v11, 7, v12
	v_ffbh_u32_e32 v15, v11
	v_min_u32_e32 v15, 32, v15
	v_lshrrev_b16_e32 v14, 3, v12
	v_subrev_u32_e32 v20, 28, v15
	v_and_b32_e32 v14, 15, v14
	v_lshlrev_b32_e32 v20, v20, v12
	v_sub_u32_e32 v15, 29, v15
	v_and_b32_e32 v20, 7, v20
	v_cmp_eq_u16_e32 vcc, 0, v14
	v_cndmask_b32_e32 v11, v11, v20, vcc
	v_cndmask_b32_e32 v14, v14, v15, vcc
	v_lshlrev_b32_e32 v15, 24, v12
	v_mov_b32_e32 v20, 0x3b800000
	v_lshlrev_b32_e32 v11, 20, v11
	v_and_b32_e32 v15, 0x80000000, v15
	v_lshl_add_u32 v14, v14, 23, v20
	v_or3_b32 v11, v15, v14, v11
.LBB38_328:
	s_or_b64 exec, exec, s[6:7]
	s_nop 0
	v_mfma_f32_16x16x4f32 a[0:3], v10, v11, a[0:3]
	v_lshrrev_b32_e32 v11, 8, v16
	s_movk_i32 s4, 0x7f
	v_cmp_gt_i16_sdwa s[6:7], v11, s4 src0_sel:BYTE_0 src1_sel:DWORD
	s_mov_b64 s[4:5], 0
                                        ; implicit-def: $sgpr10
	s_and_saveexec_b64 s[8:9], s[6:7]
	s_xor_b64 s[6:7], exec, s[8:9]
	s_cbranch_execnz .LBB38_2377
; %bb.329:
	s_or_saveexec_b64 s[6:7], s[6:7]
	v_mov_b32_e32 v10, s10
	s_xor_b64 exec, exec, s[6:7]
	s_cbranch_execnz .LBB38_2380
.LBB38_330:
	s_or_b64 exec, exec, s[6:7]
	s_and_saveexec_b64 s[6:7], s[4:5]
	s_cbranch_execz .LBB38_332
.LBB38_331:
	v_bfe_u32 v10, v16, 8, 3
	v_ffbh_u32_e32 v15, v10
	v_min_u32_e32 v15, 32, v15
	v_lshrrev_b16_e32 v14, 3, v11
	v_subrev_u32_e32 v20, 28, v15
	v_and_b32_e32 v14, 15, v14
	v_lshlrev_b32_e32 v11, v20, v11
	v_sub_u32_e32 v15, 29, v15
	v_and_b32_e32 v11, 7, v11
	v_cmp_eq_u16_e32 vcc, 0, v14
	v_cndmask_b32_e32 v10, v10, v11, vcc
	v_cndmask_b32_e32 v11, v14, v15, vcc
	v_lshlrev_b32_e32 v14, 16, v16
	v_mov_b32_e32 v15, 0x3b800000
	v_lshlrev_b32_e32 v10, 20, v10
	v_and_b32_e32 v14, 0x80000000, v14
	v_lshl_add_u32 v11, v11, 23, v15
	v_or3_b32 v10, v14, v11, v10
.LBB38_332:
	s_or_b64 exec, exec, s[6:7]
	v_lshrrev_b32_e32 v11, 8, v12
	s_movk_i32 s4, 0x7f
	v_cmp_gt_i16_sdwa s[6:7], v11, s4 src0_sel:BYTE_0 src1_sel:DWORD
	s_mov_b64 s[4:5], 0
                                        ; implicit-def: $sgpr10
	s_and_saveexec_b64 s[8:9], s[6:7]
	s_xor_b64 s[6:7], exec, s[8:9]
	s_cbranch_execnz .LBB38_2381
; %bb.333:
	s_or_saveexec_b64 s[6:7], s[6:7]
	v_mov_b32_e32 v14, s10
	s_xor_b64 exec, exec, s[6:7]
	s_cbranch_execnz .LBB38_2384
.LBB38_334:
	s_or_b64 exec, exec, s[6:7]
	s_and_saveexec_b64 s[6:7], s[4:5]
	s_cbranch_execz .LBB38_336
.LBB38_335:
	v_bfe_u32 v14, v12, 8, 3
	v_ffbh_u32_e32 v20, v14
	v_min_u32_e32 v20, 32, v20
	v_lshrrev_b16_e32 v15, 3, v11
	v_subrev_u32_e32 v21, 28, v20
	v_and_b32_e32 v15, 15, v15
	v_lshlrev_b32_e32 v11, v21, v11
	v_sub_u32_e32 v20, 29, v20
	v_and_b32_e32 v11, 7, v11
	v_cmp_eq_u16_e32 vcc, 0, v15
	v_cndmask_b32_e32 v11, v14, v11, vcc
	v_cndmask_b32_e32 v14, v15, v20, vcc
	v_lshlrev_b32_e32 v15, 16, v12
	v_mov_b32_e32 v20, 0x3b800000
	v_lshlrev_b32_e32 v11, 20, v11
	v_and_b32_e32 v15, 0x80000000, v15
	v_lshl_add_u32 v14, v14, 23, v20
	v_or3_b32 v14, v15, v14, v11
.LBB38_336:
	s_or_b64 exec, exec, s[6:7]
	s_nop 0
	v_mfma_f32_16x16x4f32 a[0:3], v10, v14, a[0:3]
	s_movk_i32 s4, 0xff
	v_and_b32_sdwa v11, v16, s4 dst_sel:DWORD dst_unused:UNUSED_PAD src0_sel:WORD_1 src1_sel:DWORD
	s_movk_i32 s4, 0x7f
	v_cmp_lt_i16_e32 vcc, s4, v11
	s_mov_b64 s[4:5], 0
                                        ; implicit-def: $sgpr10
	s_and_saveexec_b64 s[6:7], vcc
	s_xor_b64 s[6:7], exec, s[6:7]
	s_cbranch_execnz .LBB38_2385
; %bb.337:
	s_or_saveexec_b64 s[6:7], s[6:7]
	v_mov_b32_e32 v10, s10
	s_xor_b64 exec, exec, s[6:7]
	s_cbranch_execnz .LBB38_2388
.LBB38_338:
	s_or_b64 exec, exec, s[6:7]
	s_and_saveexec_b64 s[6:7], s[4:5]
	s_cbranch_execz .LBB38_340
.LBB38_339:
	v_bfe_u32 v10, v16, 16, 3
	v_ffbh_u32_e32 v15, v10
	v_min_u32_e32 v15, 32, v15
	v_lshrrev_b32_e32 v11, 19, v16
	v_subrev_u32_e32 v20, 28, v15
	v_and_b32_e32 v11, 15, v11
	v_lshlrev_b32_sdwa v20, v20, v16 dst_sel:DWORD dst_unused:UNUSED_PAD src0_sel:DWORD src1_sel:WORD_1
	v_bfe_u32 v14, v16, 19, 4
	v_sub_u32_e32 v15, 29, v15
	v_and_b32_e32 v20, 7, v20
	v_cmp_eq_u16_e32 vcc, 0, v11
	v_cndmask_b32_e32 v10, v10, v20, vcc
	v_cndmask_b32_e32 v11, v14, v15, vcc
	v_lshlrev_b32_e32 v14, 8, v16
	v_mov_b32_e32 v15, 0x3b800000
	v_lshlrev_b32_e32 v10, 20, v10
	v_and_b32_e32 v14, 0x80000000, v14
	v_lshl_add_u32 v11, v11, 23, v15
	v_or3_b32 v10, v14, v11, v10
.LBB38_340:
	s_or_b64 exec, exec, s[6:7]
	s_movk_i32 s4, 0xff
	v_and_b32_sdwa v11, v12, s4 dst_sel:DWORD dst_unused:UNUSED_PAD src0_sel:WORD_1 src1_sel:DWORD
	s_movk_i32 s4, 0x7f
	v_cmp_lt_i16_e32 vcc, s4, v11
	s_mov_b64 s[4:5], 0
                                        ; implicit-def: $sgpr10
	s_and_saveexec_b64 s[6:7], vcc
	s_xor_b64 s[6:7], exec, s[6:7]
	s_cbranch_execnz .LBB38_2389
; %bb.341:
	s_or_saveexec_b64 s[6:7], s[6:7]
	v_mov_b32_e32 v14, s10
	s_xor_b64 exec, exec, s[6:7]
	s_cbranch_execnz .LBB38_2392
.LBB38_342:
	s_or_b64 exec, exec, s[6:7]
	s_and_saveexec_b64 s[6:7], s[4:5]
	s_cbranch_execz .LBB38_344
.LBB38_343:
	v_bfe_u32 v11, v12, 16, 3
	v_ffbh_u32_e32 v20, v11
	v_min_u32_e32 v20, 32, v20
	v_lshrrev_b32_e32 v14, 19, v12
	v_subrev_u32_e32 v21, 28, v20
	v_and_b32_e32 v14, 15, v14
	v_lshlrev_b32_sdwa v21, v21, v12 dst_sel:DWORD dst_unused:UNUSED_PAD src0_sel:DWORD src1_sel:WORD_1
	v_bfe_u32 v15, v12, 19, 4
	v_sub_u32_e32 v20, 29, v20
	v_and_b32_e32 v21, 7, v21
	v_cmp_eq_u16_e32 vcc, 0, v14
	v_cndmask_b32_e32 v11, v11, v21, vcc
	v_cndmask_b32_e32 v14, v15, v20, vcc
	v_lshlrev_b32_e32 v15, 8, v12
	v_mov_b32_e32 v20, 0x3b800000
	v_lshlrev_b32_e32 v11, 20, v11
	v_and_b32_e32 v15, 0x80000000, v15
	v_lshl_add_u32 v14, v14, 23, v20
	v_or3_b32 v14, v15, v14, v11
.LBB38_344:
	s_or_b64 exec, exec, s[6:7]
	s_nop 0
	v_mfma_f32_16x16x4f32 a[0:3], v10, v14, a[0:3]
	s_movk_i32 s4, 0x7f
	v_cmp_gt_i16_sdwa s[6:7], v16, s4 src0_sel:BYTE_3 src1_sel:DWORD
	s_mov_b64 s[4:5], 0
                                        ; implicit-def: $sgpr10
	s_and_saveexec_b64 s[8:9], s[6:7]
	s_xor_b64 s[6:7], exec, s[8:9]
	s_cbranch_execnz .LBB38_2393
; %bb.345:
	s_or_saveexec_b64 s[6:7], s[6:7]
	v_mov_b32_e32 v10, s10
	s_xor_b64 exec, exec, s[6:7]
	s_cbranch_execnz .LBB38_2396
.LBB38_346:
	s_or_b64 exec, exec, s[6:7]
	s_and_saveexec_b64 s[6:7], s[4:5]
	s_cbranch_execz .LBB38_348
.LBB38_347:
	v_bfe_u32 v10, v16, 24, 3
	v_ffbh_u32_e32 v20, v10
	v_min_u32_e32 v20, 32, v20
	v_lshrrev_b32_e32 v14, 27, v16
	v_subrev_u32_e32 v21, 28, v20
	v_and_b32_e32 v11, 0x80000000, v16
	v_and_b32_e32 v14, 15, v14
	v_bfe_u32 v15, v16, 27, 4
	v_lshlrev_b32_sdwa v16, v21, v16 dst_sel:DWORD dst_unused:UNUSED_PAD src0_sel:DWORD src1_sel:BYTE_3
	v_sub_u32_e32 v20, 29, v20
	v_and_b32_e32 v16, 7, v16
	v_cmp_eq_u16_e32 vcc, 0, v14
	v_cndmask_b32_e32 v10, v10, v16, vcc
	v_cndmask_b32_e32 v14, v15, v20, vcc
	v_mov_b32_e32 v15, 0x3b800000
	v_lshlrev_b32_e32 v10, 20, v10
	v_lshl_add_u32 v14, v14, 23, v15
	v_or3_b32 v10, v11, v14, v10
.LBB38_348:
	s_or_b64 exec, exec, s[6:7]
	s_movk_i32 s4, 0x7f
	v_cmp_gt_i16_sdwa s[6:7], v12, s4 src0_sel:BYTE_3 src1_sel:DWORD
	s_mov_b64 s[4:5], 0
                                        ; implicit-def: $sgpr10
	s_and_saveexec_b64 s[8:9], s[6:7]
	s_xor_b64 s[6:7], exec, s[8:9]
	s_cbranch_execnz .LBB38_2397
; %bb.349:
	s_or_saveexec_b64 s[6:7], s[6:7]
	v_mov_b32_e32 v11, s10
	s_xor_b64 exec, exec, s[6:7]
	s_cbranch_execnz .LBB38_2400
.LBB38_350:
	s_or_b64 exec, exec, s[6:7]
	s_and_saveexec_b64 s[6:7], s[4:5]
	s_cbranch_execz .LBB38_352
.LBB38_351:
	v_bfe_u32 v11, v12, 24, 3
	v_ffbh_u32_e32 v20, v11
	v_min_u32_e32 v20, 32, v20
	v_lshrrev_b32_e32 v15, 27, v12
	v_subrev_u32_e32 v21, 28, v20
	v_and_b32_e32 v14, 0x80000000, v12
	v_and_b32_e32 v15, 15, v15
	v_bfe_u32 v16, v12, 27, 4
	v_lshlrev_b32_sdwa v12, v21, v12 dst_sel:DWORD dst_unused:UNUSED_PAD src0_sel:DWORD src1_sel:BYTE_3
	v_sub_u32_e32 v20, 29, v20
	v_and_b32_e32 v12, 7, v12
	v_cmp_eq_u16_e32 vcc, 0, v15
	v_cndmask_b32_e32 v11, v11, v12, vcc
	v_cndmask_b32_e32 v12, v16, v20, vcc
	v_mov_b32_e32 v15, 0x3b800000
	v_lshlrev_b32_e32 v11, 20, v11
	v_lshl_add_u32 v12, v12, 23, v15
	v_or3_b32 v11, v14, v12, v11
.LBB38_352:
	s_or_b64 exec, exec, s[6:7]
	s_nop 0
	v_mfma_f32_16x16x4f32 a[0:3], v10, v11, a[0:3]
	s_movk_i32 s4, 0x7f
	v_cmp_gt_i16_sdwa s[6:7], v17, s4 src0_sel:BYTE_0 src1_sel:DWORD
	s_mov_b64 s[4:5], 0
                                        ; implicit-def: $sgpr10
	s_and_saveexec_b64 s[8:9], s[6:7]
	s_xor_b64 s[6:7], exec, s[8:9]
	s_cbranch_execnz .LBB38_2401
; %bb.353:
	s_or_saveexec_b64 s[6:7], s[6:7]
	v_mov_b32_e32 v10, s10
	s_xor_b64 exec, exec, s[6:7]
	s_cbranch_execnz .LBB38_2404
.LBB38_354:
	s_or_b64 exec, exec, s[6:7]
	s_and_saveexec_b64 s[6:7], s[4:5]
	s_cbranch_execz .LBB38_356
.LBB38_355:
	v_and_b32_e32 v10, 7, v17
	v_ffbh_u32_e32 v12, v10
	v_min_u32_e32 v12, 32, v12
	v_lshrrev_b16_e32 v11, 3, v17
	v_subrev_u32_e32 v14, 28, v12
	v_and_b32_e32 v11, 15, v11
	v_lshlrev_b32_e32 v14, v14, v17
	v_sub_u32_e32 v12, 29, v12
	v_and_b32_e32 v14, 7, v14
	v_cmp_eq_u16_e32 vcc, 0, v11
	v_cndmask_b32_e32 v10, v10, v14, vcc
	v_cndmask_b32_e32 v11, v11, v12, vcc
	v_lshlrev_b32_e32 v12, 24, v17
	v_mov_b32_e32 v14, 0x3b800000
	v_lshlrev_b32_e32 v10, 20, v10
	v_and_b32_e32 v12, 0x80000000, v12
	v_lshl_add_u32 v11, v11, 23, v14
	v_or3_b32 v10, v12, v11, v10
.LBB38_356:
	s_or_b64 exec, exec, s[6:7]
	s_movk_i32 s4, 0x7f
	v_cmp_gt_i16_sdwa s[6:7], v13, s4 src0_sel:BYTE_0 src1_sel:DWORD
	s_mov_b64 s[4:5], 0
                                        ; implicit-def: $sgpr10
	s_and_saveexec_b64 s[8:9], s[6:7]
	s_xor_b64 s[6:7], exec, s[8:9]
	s_cbranch_execnz .LBB38_2405
; %bb.357:
	s_or_saveexec_b64 s[6:7], s[6:7]
	v_mov_b32_e32 v11, s10
	s_xor_b64 exec, exec, s[6:7]
	s_cbranch_execnz .LBB38_2408
.LBB38_358:
	s_or_b64 exec, exec, s[6:7]
	s_and_saveexec_b64 s[6:7], s[4:5]
	s_cbranch_execz .LBB38_360
.LBB38_359:
	v_and_b32_e32 v11, 7, v13
	v_ffbh_u32_e32 v14, v11
	v_min_u32_e32 v14, 32, v14
	v_lshrrev_b16_e32 v12, 3, v13
	v_subrev_u32_e32 v15, 28, v14
	v_and_b32_e32 v12, 15, v12
	v_lshlrev_b32_e32 v15, v15, v13
	v_sub_u32_e32 v14, 29, v14
	v_and_b32_e32 v15, 7, v15
	v_cmp_eq_u16_e32 vcc, 0, v12
	v_cndmask_b32_e32 v11, v11, v15, vcc
	v_cndmask_b32_e32 v12, v12, v14, vcc
	v_lshlrev_b32_e32 v14, 24, v13
	v_mov_b32_e32 v15, 0x3b800000
	v_lshlrev_b32_e32 v11, 20, v11
	v_and_b32_e32 v14, 0x80000000, v14
	v_lshl_add_u32 v12, v12, 23, v15
	v_or3_b32 v11, v14, v12, v11
.LBB38_360:
	s_or_b64 exec, exec, s[6:7]
	s_nop 0
	v_mfma_f32_16x16x4f32 a[0:3], v10, v11, a[0:3]
	v_lshrrev_b32_e32 v11, 8, v17
	s_movk_i32 s4, 0x7f
	v_cmp_gt_i16_sdwa s[6:7], v11, s4 src0_sel:BYTE_0 src1_sel:DWORD
	s_mov_b64 s[4:5], 0
                                        ; implicit-def: $sgpr10
	s_and_saveexec_b64 s[8:9], s[6:7]
	s_xor_b64 s[6:7], exec, s[8:9]
	s_cbranch_execnz .LBB38_2409
; %bb.361:
	s_or_saveexec_b64 s[6:7], s[6:7]
	v_mov_b32_e32 v10, s10
	s_xor_b64 exec, exec, s[6:7]
	s_cbranch_execnz .LBB38_2412
.LBB38_362:
	s_or_b64 exec, exec, s[6:7]
	s_and_saveexec_b64 s[6:7], s[4:5]
	s_cbranch_execz .LBB38_364
.LBB38_363:
	v_bfe_u32 v10, v17, 8, 3
	v_ffbh_u32_e32 v14, v10
	v_min_u32_e32 v14, 32, v14
	v_lshrrev_b16_e32 v12, 3, v11
	v_subrev_u32_e32 v15, 28, v14
	v_and_b32_e32 v12, 15, v12
	v_lshlrev_b32_e32 v11, v15, v11
	v_sub_u32_e32 v14, 29, v14
	v_and_b32_e32 v11, 7, v11
	v_cmp_eq_u16_e32 vcc, 0, v12
	v_cndmask_b32_e32 v10, v10, v11, vcc
	v_cndmask_b32_e32 v11, v12, v14, vcc
	v_lshlrev_b32_e32 v12, 16, v17
	v_mov_b32_e32 v14, 0x3b800000
	v_lshlrev_b32_e32 v10, 20, v10
	v_and_b32_e32 v12, 0x80000000, v12
	v_lshl_add_u32 v11, v11, 23, v14
	v_or3_b32 v10, v12, v11, v10
.LBB38_364:
	s_or_b64 exec, exec, s[6:7]
	v_lshrrev_b32_e32 v11, 8, v13
	s_movk_i32 s4, 0x7f
	v_cmp_gt_i16_sdwa s[6:7], v11, s4 src0_sel:BYTE_0 src1_sel:DWORD
	s_mov_b64 s[4:5], 0
                                        ; implicit-def: $sgpr10
	s_and_saveexec_b64 s[8:9], s[6:7]
	s_xor_b64 s[6:7], exec, s[8:9]
	s_cbranch_execnz .LBB38_2413
; %bb.365:
	s_or_saveexec_b64 s[6:7], s[6:7]
	v_mov_b32_e32 v12, s10
	s_xor_b64 exec, exec, s[6:7]
	s_cbranch_execnz .LBB38_2416
.LBB38_366:
	s_or_b64 exec, exec, s[6:7]
	s_and_saveexec_b64 s[6:7], s[4:5]
	s_cbranch_execz .LBB38_368
.LBB38_367:
	v_bfe_u32 v12, v13, 8, 3
	v_ffbh_u32_e32 v15, v12
	v_min_u32_e32 v15, 32, v15
	v_lshrrev_b16_e32 v14, 3, v11
	v_subrev_u32_e32 v16, 28, v15
	v_and_b32_e32 v14, 15, v14
	v_lshlrev_b32_e32 v11, v16, v11
	v_sub_u32_e32 v15, 29, v15
	v_and_b32_e32 v11, 7, v11
	v_cmp_eq_u16_e32 vcc, 0, v14
	v_cndmask_b32_e32 v11, v12, v11, vcc
	v_cndmask_b32_e32 v12, v14, v15, vcc
	v_lshlrev_b32_e32 v14, 16, v13
	v_mov_b32_e32 v15, 0x3b800000
	v_lshlrev_b32_e32 v11, 20, v11
	v_and_b32_e32 v14, 0x80000000, v14
	v_lshl_add_u32 v12, v12, 23, v15
	v_or3_b32 v12, v14, v12, v11
.LBB38_368:
	s_or_b64 exec, exec, s[6:7]
	s_nop 0
	v_mfma_f32_16x16x4f32 a[0:3], v10, v12, a[0:3]
	s_movk_i32 s4, 0xff
	v_and_b32_sdwa v11, v17, s4 dst_sel:DWORD dst_unused:UNUSED_PAD src0_sel:WORD_1 src1_sel:DWORD
	s_movk_i32 s4, 0x7f
	v_cmp_lt_i16_e32 vcc, s4, v11
	s_mov_b64 s[4:5], 0
                                        ; implicit-def: $sgpr10
	s_and_saveexec_b64 s[6:7], vcc
	s_xor_b64 s[6:7], exec, s[6:7]
	s_cbranch_execnz .LBB38_2417
; %bb.369:
	s_or_saveexec_b64 s[6:7], s[6:7]
	v_mov_b32_e32 v10, s10
	s_xor_b64 exec, exec, s[6:7]
	s_cbranch_execnz .LBB38_2420
.LBB38_370:
	s_or_b64 exec, exec, s[6:7]
	s_and_saveexec_b64 s[6:7], s[4:5]
	s_cbranch_execz .LBB38_372
.LBB38_371:
	v_bfe_u32 v10, v17, 16, 3
	v_ffbh_u32_e32 v14, v10
	v_min_u32_e32 v14, 32, v14
	v_lshrrev_b32_e32 v11, 19, v17
	v_subrev_u32_e32 v15, 28, v14
	v_and_b32_e32 v11, 15, v11
	v_lshlrev_b32_sdwa v15, v15, v17 dst_sel:DWORD dst_unused:UNUSED_PAD src0_sel:DWORD src1_sel:WORD_1
	v_bfe_u32 v12, v17, 19, 4
	v_sub_u32_e32 v14, 29, v14
	v_and_b32_e32 v15, 7, v15
	v_cmp_eq_u16_e32 vcc, 0, v11
	v_cndmask_b32_e32 v10, v10, v15, vcc
	v_cndmask_b32_e32 v11, v12, v14, vcc
	v_lshlrev_b32_e32 v12, 8, v17
	v_mov_b32_e32 v14, 0x3b800000
	v_lshlrev_b32_e32 v10, 20, v10
	v_and_b32_e32 v12, 0x80000000, v12
	v_lshl_add_u32 v11, v11, 23, v14
	v_or3_b32 v10, v12, v11, v10
.LBB38_372:
	s_or_b64 exec, exec, s[6:7]
	s_movk_i32 s4, 0xff
	v_and_b32_sdwa v11, v13, s4 dst_sel:DWORD dst_unused:UNUSED_PAD src0_sel:WORD_1 src1_sel:DWORD
	s_movk_i32 s4, 0x7f
	v_cmp_lt_i16_e32 vcc, s4, v11
	s_mov_b64 s[4:5], 0
                                        ; implicit-def: $sgpr10
	s_and_saveexec_b64 s[6:7], vcc
	s_xor_b64 s[6:7], exec, s[6:7]
	s_cbranch_execnz .LBB38_2421
; %bb.373:
	s_or_saveexec_b64 s[6:7], s[6:7]
	v_mov_b32_e32 v12, s10
	s_xor_b64 exec, exec, s[6:7]
	s_cbranch_execnz .LBB38_2424
.LBB38_374:
	s_or_b64 exec, exec, s[6:7]
	s_and_saveexec_b64 s[6:7], s[4:5]
	s_cbranch_execz .LBB38_376
.LBB38_375:
	v_bfe_u32 v11, v13, 16, 3
	v_ffbh_u32_e32 v15, v11
	v_min_u32_e32 v15, 32, v15
	v_lshrrev_b32_e32 v12, 19, v13
	v_subrev_u32_e32 v16, 28, v15
	v_and_b32_e32 v12, 15, v12
	v_lshlrev_b32_sdwa v16, v16, v13 dst_sel:DWORD dst_unused:UNUSED_PAD src0_sel:DWORD src1_sel:WORD_1
	v_bfe_u32 v14, v13, 19, 4
	v_sub_u32_e32 v15, 29, v15
	v_and_b32_e32 v16, 7, v16
	v_cmp_eq_u16_e32 vcc, 0, v12
	v_cndmask_b32_e32 v11, v11, v16, vcc
	v_cndmask_b32_e32 v12, v14, v15, vcc
	v_lshlrev_b32_e32 v14, 8, v13
	v_mov_b32_e32 v15, 0x3b800000
	v_lshlrev_b32_e32 v11, 20, v11
	v_and_b32_e32 v14, 0x80000000, v14
	v_lshl_add_u32 v12, v12, 23, v15
	v_or3_b32 v12, v14, v12, v11
.LBB38_376:
	s_or_b64 exec, exec, s[6:7]
	s_nop 0
	v_mfma_f32_16x16x4f32 a[0:3], v10, v12, a[0:3]
	s_movk_i32 s4, 0x7f
	v_cmp_gt_i16_sdwa s[6:7], v17, s4 src0_sel:BYTE_3 src1_sel:DWORD
	s_mov_b64 s[4:5], 0
                                        ; implicit-def: $sgpr10
	s_and_saveexec_b64 s[8:9], s[6:7]
	s_xor_b64 s[6:7], exec, s[8:9]
	s_cbranch_execnz .LBB38_2425
; %bb.377:
	s_or_saveexec_b64 s[6:7], s[6:7]
	v_mov_b32_e32 v10, s10
	s_xor_b64 exec, exec, s[6:7]
	s_cbranch_execnz .LBB38_2428
.LBB38_378:
	s_or_b64 exec, exec, s[6:7]
	s_and_saveexec_b64 s[6:7], s[4:5]
	s_cbranch_execz .LBB38_380
.LBB38_379:
	v_bfe_u32 v10, v17, 24, 3
	v_ffbh_u32_e32 v15, v10
	v_min_u32_e32 v15, 32, v15
	v_lshrrev_b32_e32 v12, 27, v17
	v_subrev_u32_e32 v16, 28, v15
	v_and_b32_e32 v12, 15, v12
	v_lshlrev_b32_sdwa v16, v16, v17 dst_sel:DWORD dst_unused:UNUSED_PAD src0_sel:DWORD src1_sel:BYTE_3
	v_bfe_u32 v14, v17, 27, 4
	v_sub_u32_e32 v15, 29, v15
	v_and_b32_e32 v16, 7, v16
	v_cmp_eq_u16_e32 vcc, 0, v12
	v_cndmask_b32_e32 v10, v10, v16, vcc
	v_cndmask_b32_e32 v12, v14, v15, vcc
	v_mov_b32_e32 v14, 0x3b800000
	v_and_b32_e32 v11, 0x80000000, v17
	v_lshlrev_b32_e32 v10, 20, v10
	v_lshl_add_u32 v12, v12, 23, v14
	v_or3_b32 v10, v11, v12, v10
.LBB38_380:
	s_or_b64 exec, exec, s[6:7]
	s_movk_i32 s4, 0x7f
	v_cmp_gt_i16_sdwa s[6:7], v13, s4 src0_sel:BYTE_3 src1_sel:DWORD
	s_mov_b64 s[4:5], 0
                                        ; implicit-def: $sgpr10
	s_and_saveexec_b64 s[8:9], s[6:7]
	s_xor_b64 s[6:7], exec, s[8:9]
	s_cbranch_execnz .LBB38_2429
; %bb.381:
	s_or_saveexec_b64 s[6:7], s[6:7]
	v_mov_b32_e32 v11, s10
	s_xor_b64 exec, exec, s[6:7]
	s_cbranch_execnz .LBB38_2432
.LBB38_382:
	s_or_b64 exec, exec, s[6:7]
	s_and_saveexec_b64 s[6:7], s[4:5]
	s_cbranch_execz .LBB38_384
.LBB38_383:
	v_bfe_u32 v11, v13, 24, 3
	v_ffbh_u32_e32 v16, v11
	v_min_u32_e32 v16, 32, v16
	v_lshrrev_b32_e32 v14, 27, v13
	v_subrev_u32_e32 v17, 28, v16
	v_and_b32_e32 v12, 0x80000000, v13
	v_and_b32_e32 v14, 15, v14
	v_bfe_u32 v15, v13, 27, 4
	v_lshlrev_b32_sdwa v13, v17, v13 dst_sel:DWORD dst_unused:UNUSED_PAD src0_sel:DWORD src1_sel:BYTE_3
	v_sub_u32_e32 v16, 29, v16
	v_and_b32_e32 v13, 7, v13
	v_cmp_eq_u16_e32 vcc, 0, v14
	v_cndmask_b32_e32 v11, v11, v13, vcc
	v_cndmask_b32_e32 v13, v15, v16, vcc
	v_mov_b32_e32 v14, 0x3b800000
	v_lshlrev_b32_e32 v11, 20, v11
	v_lshl_add_u32 v13, v13, 23, v14
	v_or3_b32 v11, v12, v13, v11
.LBB38_384:
	s_or_b64 exec, exec, s[6:7]
	s_nop 0
	v_mfma_f32_16x16x4f32 a[0:3], v10, v11, a[0:3]
	s_movk_i32 s4, 0x7f
	v_cmp_gt_i16_sdwa s[6:7], v6, s4 src0_sel:BYTE_0 src1_sel:DWORD
	s_mov_b64 s[4:5], 0
                                        ; implicit-def: $sgpr10
	s_and_saveexec_b64 s[8:9], s[6:7]
	s_xor_b64 s[6:7], exec, s[8:9]
	s_cbranch_execnz .LBB38_2433
; %bb.385:
	s_or_saveexec_b64 s[6:7], s[6:7]
	v_mov_b32_e32 v10, s10
	s_xor_b64 exec, exec, s[6:7]
	s_cbranch_execnz .LBB38_2436
.LBB38_386:
	s_or_b64 exec, exec, s[6:7]
	s_and_saveexec_b64 s[6:7], s[4:5]
	s_cbranch_execz .LBB38_388
.LBB38_387:
	v_and_b32_e32 v10, 7, v6
	v_ffbh_u32_e32 v12, v10
	v_min_u32_e32 v12, 32, v12
	v_lshrrev_b16_e32 v11, 3, v6
	v_subrev_u32_e32 v13, 28, v12
	v_and_b32_e32 v11, 15, v11
	v_lshlrev_b32_e32 v13, v13, v6
	v_sub_u32_e32 v12, 29, v12
	v_and_b32_e32 v13, 7, v13
	v_cmp_eq_u16_e32 vcc, 0, v11
	v_cndmask_b32_e32 v10, v10, v13, vcc
	v_cndmask_b32_e32 v11, v11, v12, vcc
	v_lshlrev_b32_e32 v12, 24, v6
	v_mov_b32_e32 v13, 0x3b800000
	v_lshlrev_b32_e32 v10, 20, v10
	v_and_b32_e32 v12, 0x80000000, v12
	v_lshl_add_u32 v11, v11, 23, v13
	v_or3_b32 v10, v12, v11, v10
.LBB38_388:
	s_or_b64 exec, exec, s[6:7]
	s_movk_i32 s4, 0x7f
	v_cmp_gt_i16_sdwa s[6:7], v2, s4 src0_sel:BYTE_0 src1_sel:DWORD
	s_mov_b64 s[4:5], 0
                                        ; implicit-def: $sgpr10
	s_and_saveexec_b64 s[8:9], s[6:7]
	s_xor_b64 s[6:7], exec, s[8:9]
	s_cbranch_execnz .LBB38_2437
; %bb.389:
	s_or_saveexec_b64 s[6:7], s[6:7]
	v_mov_b32_e32 v11, s10
	s_xor_b64 exec, exec, s[6:7]
	s_cbranch_execnz .LBB38_2440
.LBB38_390:
	s_or_b64 exec, exec, s[6:7]
	s_and_saveexec_b64 s[6:7], s[4:5]
	s_cbranch_execz .LBB38_392
.LBB38_391:
	v_and_b32_e32 v11, 7, v2
	v_ffbh_u32_e32 v13, v11
	v_min_u32_e32 v13, 32, v13
	v_lshrrev_b16_e32 v12, 3, v2
	v_subrev_u32_e32 v14, 28, v13
	v_and_b32_e32 v12, 15, v12
	v_lshlrev_b32_e32 v14, v14, v2
	v_sub_u32_e32 v13, 29, v13
	v_and_b32_e32 v14, 7, v14
	v_cmp_eq_u16_e32 vcc, 0, v12
	v_cndmask_b32_e32 v11, v11, v14, vcc
	v_cndmask_b32_e32 v12, v12, v13, vcc
	v_lshlrev_b32_e32 v13, 24, v2
	v_mov_b32_e32 v14, 0x3b800000
	v_lshlrev_b32_e32 v11, 20, v11
	v_and_b32_e32 v13, 0x80000000, v13
	v_lshl_add_u32 v12, v12, 23, v14
	v_or3_b32 v11, v13, v12, v11
.LBB38_392:
	s_or_b64 exec, exec, s[6:7]
	s_nop 0
	v_mfma_f32_16x16x4f32 a[0:3], v10, v11, a[0:3]
	v_lshrrev_b32_e32 v11, 8, v6
	s_movk_i32 s4, 0x7f
	v_cmp_gt_i16_sdwa s[6:7], v11, s4 src0_sel:BYTE_0 src1_sel:DWORD
	s_mov_b64 s[4:5], 0
                                        ; implicit-def: $sgpr10
	s_and_saveexec_b64 s[8:9], s[6:7]
	s_xor_b64 s[6:7], exec, s[8:9]
	s_cbranch_execnz .LBB38_2441
; %bb.393:
	s_or_saveexec_b64 s[6:7], s[6:7]
	v_mov_b32_e32 v10, s10
	s_xor_b64 exec, exec, s[6:7]
	s_cbranch_execnz .LBB38_2444
.LBB38_394:
	s_or_b64 exec, exec, s[6:7]
	s_and_saveexec_b64 s[6:7], s[4:5]
	s_cbranch_execz .LBB38_396
.LBB38_395:
	v_bfe_u32 v10, v6, 8, 3
	v_ffbh_u32_e32 v13, v10
	v_min_u32_e32 v13, 32, v13
	v_lshrrev_b16_e32 v12, 3, v11
	v_subrev_u32_e32 v14, 28, v13
	v_and_b32_e32 v12, 15, v12
	v_lshlrev_b32_e32 v11, v14, v11
	v_sub_u32_e32 v13, 29, v13
	v_and_b32_e32 v11, 7, v11
	v_cmp_eq_u16_e32 vcc, 0, v12
	v_cndmask_b32_e32 v10, v10, v11, vcc
	v_cndmask_b32_e32 v11, v12, v13, vcc
	v_lshlrev_b32_e32 v12, 16, v6
	v_mov_b32_e32 v13, 0x3b800000
	v_lshlrev_b32_e32 v10, 20, v10
	v_and_b32_e32 v12, 0x80000000, v12
	v_lshl_add_u32 v11, v11, 23, v13
	v_or3_b32 v10, v12, v11, v10
.LBB38_396:
	s_or_b64 exec, exec, s[6:7]
	v_lshrrev_b32_e32 v11, 8, v2
	s_movk_i32 s4, 0x7f
	v_cmp_gt_i16_sdwa s[6:7], v11, s4 src0_sel:BYTE_0 src1_sel:DWORD
	s_mov_b64 s[4:5], 0
                                        ; implicit-def: $sgpr10
	s_and_saveexec_b64 s[8:9], s[6:7]
	s_xor_b64 s[6:7], exec, s[8:9]
	s_cbranch_execnz .LBB38_2445
; %bb.397:
	s_or_saveexec_b64 s[6:7], s[6:7]
	v_mov_b32_e32 v12, s10
	s_xor_b64 exec, exec, s[6:7]
	s_cbranch_execnz .LBB38_2448
.LBB38_398:
	s_or_b64 exec, exec, s[6:7]
	s_and_saveexec_b64 s[6:7], s[4:5]
	s_cbranch_execz .LBB38_400
.LBB38_399:
	v_bfe_u32 v12, v2, 8, 3
	v_ffbh_u32_e32 v14, v12
	v_min_u32_e32 v14, 32, v14
	v_lshrrev_b16_e32 v13, 3, v11
	v_subrev_u32_e32 v15, 28, v14
	v_and_b32_e32 v13, 15, v13
	v_lshlrev_b32_e32 v11, v15, v11
	v_sub_u32_e32 v14, 29, v14
	v_and_b32_e32 v11, 7, v11
	v_cmp_eq_u16_e32 vcc, 0, v13
	v_cndmask_b32_e32 v11, v12, v11, vcc
	v_cndmask_b32_e32 v12, v13, v14, vcc
	v_lshlrev_b32_e32 v13, 16, v2
	v_mov_b32_e32 v14, 0x3b800000
	v_lshlrev_b32_e32 v11, 20, v11
	v_and_b32_e32 v13, 0x80000000, v13
	v_lshl_add_u32 v12, v12, 23, v14
	v_or3_b32 v12, v13, v12, v11
.LBB38_400:
	s_or_b64 exec, exec, s[6:7]
	s_nop 0
	v_mfma_f32_16x16x4f32 a[0:3], v10, v12, a[0:3]
	s_movk_i32 s4, 0xff
	v_and_b32_sdwa v11, v6, s4 dst_sel:DWORD dst_unused:UNUSED_PAD src0_sel:WORD_1 src1_sel:DWORD
	s_movk_i32 s4, 0x7f
	v_cmp_lt_i16_e32 vcc, s4, v11
	s_mov_b64 s[4:5], 0
                                        ; implicit-def: $sgpr10
	s_and_saveexec_b64 s[6:7], vcc
	s_xor_b64 s[6:7], exec, s[6:7]
	s_cbranch_execnz .LBB38_2449
; %bb.401:
	s_or_saveexec_b64 s[6:7], s[6:7]
	v_mov_b32_e32 v10, s10
	s_xor_b64 exec, exec, s[6:7]
	s_cbranch_execnz .LBB38_2452
.LBB38_402:
	s_or_b64 exec, exec, s[6:7]
	s_and_saveexec_b64 s[6:7], s[4:5]
	s_cbranch_execz .LBB38_404
.LBB38_403:
	v_bfe_u32 v10, v6, 16, 3
	v_ffbh_u32_e32 v13, v10
	v_min_u32_e32 v13, 32, v13
	v_lshrrev_b32_e32 v11, 19, v6
	v_subrev_u32_e32 v14, 28, v13
	v_and_b32_e32 v11, 15, v11
	v_lshlrev_b32_sdwa v14, v14, v6 dst_sel:DWORD dst_unused:UNUSED_PAD src0_sel:DWORD src1_sel:WORD_1
	v_bfe_u32 v12, v6, 19, 4
	v_sub_u32_e32 v13, 29, v13
	v_and_b32_e32 v14, 7, v14
	v_cmp_eq_u16_e32 vcc, 0, v11
	v_cndmask_b32_e32 v10, v10, v14, vcc
	v_cndmask_b32_e32 v11, v12, v13, vcc
	v_lshlrev_b32_e32 v12, 8, v6
	v_mov_b32_e32 v13, 0x3b800000
	v_lshlrev_b32_e32 v10, 20, v10
	v_and_b32_e32 v12, 0x80000000, v12
	v_lshl_add_u32 v11, v11, 23, v13
	v_or3_b32 v10, v12, v11, v10
.LBB38_404:
	s_or_b64 exec, exec, s[6:7]
	s_movk_i32 s4, 0xff
	v_and_b32_sdwa v11, v2, s4 dst_sel:DWORD dst_unused:UNUSED_PAD src0_sel:WORD_1 src1_sel:DWORD
	s_movk_i32 s4, 0x7f
	v_cmp_lt_i16_e32 vcc, s4, v11
	s_mov_b64 s[4:5], 0
                                        ; implicit-def: $sgpr10
	s_and_saveexec_b64 s[6:7], vcc
	s_xor_b64 s[6:7], exec, s[6:7]
	s_cbranch_execnz .LBB38_2453
; %bb.405:
	s_or_saveexec_b64 s[6:7], s[6:7]
	v_mov_b32_e32 v12, s10
	s_xor_b64 exec, exec, s[6:7]
	s_cbranch_execnz .LBB38_2456
.LBB38_406:
	s_or_b64 exec, exec, s[6:7]
	s_and_saveexec_b64 s[6:7], s[4:5]
	s_cbranch_execz .LBB38_408
.LBB38_407:
	v_bfe_u32 v11, v2, 16, 3
	v_ffbh_u32_e32 v14, v11
	v_min_u32_e32 v14, 32, v14
	v_lshrrev_b32_e32 v12, 19, v2
	v_subrev_u32_e32 v15, 28, v14
	v_and_b32_e32 v12, 15, v12
	v_lshlrev_b32_sdwa v15, v15, v2 dst_sel:DWORD dst_unused:UNUSED_PAD src0_sel:DWORD src1_sel:WORD_1
	v_bfe_u32 v13, v2, 19, 4
	v_sub_u32_e32 v14, 29, v14
	v_and_b32_e32 v15, 7, v15
	v_cmp_eq_u16_e32 vcc, 0, v12
	v_cndmask_b32_e32 v11, v11, v15, vcc
	v_cndmask_b32_e32 v12, v13, v14, vcc
	v_lshlrev_b32_e32 v13, 8, v2
	v_mov_b32_e32 v14, 0x3b800000
	v_lshlrev_b32_e32 v11, 20, v11
	v_and_b32_e32 v13, 0x80000000, v13
	v_lshl_add_u32 v12, v12, 23, v14
	v_or3_b32 v12, v13, v12, v11
.LBB38_408:
	s_or_b64 exec, exec, s[6:7]
	s_nop 0
	v_mfma_f32_16x16x4f32 a[0:3], v10, v12, a[0:3]
	s_movk_i32 s4, 0x7f
	v_cmp_gt_i16_sdwa s[6:7], v6, s4 src0_sel:BYTE_3 src1_sel:DWORD
	s_mov_b64 s[4:5], 0
                                        ; implicit-def: $sgpr10
	s_and_saveexec_b64 s[8:9], s[6:7]
	s_xor_b64 s[6:7], exec, s[8:9]
	s_cbranch_execnz .LBB38_2457
; %bb.409:
	s_or_saveexec_b64 s[6:7], s[6:7]
	v_mov_b32_e32 v10, s10
	s_xor_b64 exec, exec, s[6:7]
	s_cbranch_execnz .LBB38_2460
.LBB38_410:
	s_or_b64 exec, exec, s[6:7]
	s_and_saveexec_b64 s[6:7], s[4:5]
	s_cbranch_execz .LBB38_412
.LBB38_411:
	v_bfe_u32 v10, v6, 24, 3
	v_ffbh_u32_e32 v14, v10
	v_min_u32_e32 v14, 32, v14
	v_lshrrev_b32_e32 v12, 27, v6
	v_subrev_u32_e32 v15, 28, v14
	v_and_b32_e32 v11, 0x80000000, v6
	v_and_b32_e32 v12, 15, v12
	v_bfe_u32 v13, v6, 27, 4
	v_lshlrev_b32_sdwa v6, v15, v6 dst_sel:DWORD dst_unused:UNUSED_PAD src0_sel:DWORD src1_sel:BYTE_3
	v_sub_u32_e32 v14, 29, v14
	v_and_b32_e32 v6, 7, v6
	v_cmp_eq_u16_e32 vcc, 0, v12
	v_cndmask_b32_e32 v6, v10, v6, vcc
	v_cndmask_b32_e32 v10, v13, v14, vcc
	v_mov_b32_e32 v12, 0x3b800000
	v_lshlrev_b32_e32 v6, 20, v6
	v_lshl_add_u32 v10, v10, 23, v12
	v_or3_b32 v10, v11, v10, v6
.LBB38_412:
	s_or_b64 exec, exec, s[6:7]
	s_movk_i32 s4, 0x7f
	v_cmp_gt_i16_sdwa s[6:7], v2, s4 src0_sel:BYTE_3 src1_sel:DWORD
	s_mov_b64 s[4:5], 0
                                        ; implicit-def: $sgpr10
	s_and_saveexec_b64 s[8:9], s[6:7]
	s_xor_b64 s[6:7], exec, s[8:9]
	s_cbranch_execnz .LBB38_2461
; %bb.413:
	s_or_saveexec_b64 s[6:7], s[6:7]
	v_mov_b32_e32 v6, s10
	s_xor_b64 exec, exec, s[6:7]
	s_cbranch_execnz .LBB38_2464
.LBB38_414:
	s_or_b64 exec, exec, s[6:7]
	s_and_saveexec_b64 s[6:7], s[4:5]
	s_cbranch_execz .LBB38_416
.LBB38_415:
	v_bfe_u32 v6, v2, 24, 3
	v_ffbh_u32_e32 v14, v6
	v_min_u32_e32 v14, 32, v14
	v_lshrrev_b32_e32 v12, 27, v2
	v_subrev_u32_e32 v15, 28, v14
	v_and_b32_e32 v11, 0x80000000, v2
	v_and_b32_e32 v12, 15, v12
	v_bfe_u32 v13, v2, 27, 4
	v_lshlrev_b32_sdwa v2, v15, v2 dst_sel:DWORD dst_unused:UNUSED_PAD src0_sel:DWORD src1_sel:BYTE_3
	v_sub_u32_e32 v14, 29, v14
	v_and_b32_e32 v2, 7, v2
	v_cmp_eq_u16_e32 vcc, 0, v12
	v_cndmask_b32_e32 v2, v6, v2, vcc
	v_cndmask_b32_e32 v6, v13, v14, vcc
	v_mov_b32_e32 v12, 0x3b800000
	v_lshlrev_b32_e32 v2, 20, v2
	v_lshl_add_u32 v6, v6, 23, v12
	v_or3_b32 v6, v11, v6, v2
.LBB38_416:
	s_or_b64 exec, exec, s[6:7]
	s_nop 0
	v_mfma_f32_16x16x4f32 a[0:3], v10, v6, a[0:3]
	s_movk_i32 s4, 0x7f
	v_cmp_gt_i16_sdwa s[6:7], v7, s4 src0_sel:BYTE_0 src1_sel:DWORD
	s_mov_b64 s[4:5], 0
                                        ; implicit-def: $sgpr10
	s_and_saveexec_b64 s[8:9], s[6:7]
	s_xor_b64 s[6:7], exec, s[8:9]
	s_cbranch_execnz .LBB38_2465
; %bb.417:
	s_or_saveexec_b64 s[6:7], s[6:7]
	v_mov_b32_e32 v2, s10
	s_xor_b64 exec, exec, s[6:7]
	s_cbranch_execnz .LBB38_2468
.LBB38_418:
	s_or_b64 exec, exec, s[6:7]
	s_and_saveexec_b64 s[6:7], s[4:5]
	s_cbranch_execz .LBB38_420
.LBB38_419:
	v_and_b32_e32 v2, 7, v7
	v_ffbh_u32_e32 v10, v2
	v_min_u32_e32 v10, 32, v10
	v_lshrrev_b16_e32 v6, 3, v7
	v_subrev_u32_e32 v11, 28, v10
	v_and_b32_e32 v6, 15, v6
	v_lshlrev_b32_e32 v11, v11, v7
	v_sub_u32_e32 v10, 29, v10
	v_and_b32_e32 v11, 7, v11
	v_cmp_eq_u16_e32 vcc, 0, v6
	v_cndmask_b32_e32 v2, v2, v11, vcc
	v_cndmask_b32_e32 v6, v6, v10, vcc
	v_lshlrev_b32_e32 v10, 24, v7
	v_mov_b32_e32 v11, 0x3b800000
	v_lshlrev_b32_e32 v2, 20, v2
	v_and_b32_e32 v10, 0x80000000, v10
	v_lshl_add_u32 v6, v6, 23, v11
	v_or3_b32 v2, v10, v6, v2
.LBB38_420:
	s_or_b64 exec, exec, s[6:7]
	s_movk_i32 s4, 0x7f
	v_cmp_gt_i16_sdwa s[6:7], v3, s4 src0_sel:BYTE_0 src1_sel:DWORD
	s_mov_b64 s[4:5], 0
                                        ; implicit-def: $sgpr10
	s_and_saveexec_b64 s[8:9], s[6:7]
	s_xor_b64 s[6:7], exec, s[8:9]
	s_cbranch_execnz .LBB38_2469
; %bb.421:
	s_or_saveexec_b64 s[6:7], s[6:7]
	v_mov_b32_e32 v6, s10
	s_xor_b64 exec, exec, s[6:7]
	s_cbranch_execnz .LBB38_2472
.LBB38_422:
	s_or_b64 exec, exec, s[6:7]
	s_and_saveexec_b64 s[6:7], s[4:5]
	s_cbranch_execz .LBB38_424
.LBB38_423:
	v_and_b32_e32 v6, 7, v3
	v_ffbh_u32_e32 v11, v6
	v_min_u32_e32 v11, 32, v11
	v_lshrrev_b16_e32 v10, 3, v3
	v_subrev_u32_e32 v12, 28, v11
	v_and_b32_e32 v10, 15, v10
	v_lshlrev_b32_e32 v12, v12, v3
	v_sub_u32_e32 v11, 29, v11
	v_and_b32_e32 v12, 7, v12
	v_cmp_eq_u16_e32 vcc, 0, v10
	v_cndmask_b32_e32 v6, v6, v12, vcc
	v_cndmask_b32_e32 v10, v10, v11, vcc
	v_lshlrev_b32_e32 v11, 24, v3
	v_mov_b32_e32 v12, 0x3b800000
	v_lshlrev_b32_e32 v6, 20, v6
	v_and_b32_e32 v11, 0x80000000, v11
	v_lshl_add_u32 v10, v10, 23, v12
	v_or3_b32 v6, v11, v10, v6
.LBB38_424:
	s_or_b64 exec, exec, s[6:7]
	s_nop 0
	v_mfma_f32_16x16x4f32 a[0:3], v2, v6, a[0:3]
	v_lshrrev_b32_e32 v6, 8, v7
	s_movk_i32 s4, 0x7f
	v_cmp_gt_i16_sdwa s[6:7], v6, s4 src0_sel:BYTE_0 src1_sel:DWORD
	s_mov_b64 s[4:5], 0
                                        ; implicit-def: $sgpr10
	s_and_saveexec_b64 s[8:9], s[6:7]
	s_xor_b64 s[6:7], exec, s[8:9]
	s_cbranch_execnz .LBB38_2473
; %bb.425:
	s_or_saveexec_b64 s[6:7], s[6:7]
	v_mov_b32_e32 v2, s10
	s_xor_b64 exec, exec, s[6:7]
	s_cbranch_execnz .LBB38_2476
.LBB38_426:
	s_or_b64 exec, exec, s[6:7]
	s_and_saveexec_b64 s[6:7], s[4:5]
	s_cbranch_execz .LBB38_428
.LBB38_427:
	v_bfe_u32 v2, v7, 8, 3
	v_ffbh_u32_e32 v11, v2
	v_min_u32_e32 v11, 32, v11
	v_lshrrev_b16_e32 v10, 3, v6
	v_subrev_u32_e32 v12, 28, v11
	v_and_b32_e32 v10, 15, v10
	v_lshlrev_b32_e32 v6, v12, v6
	v_sub_u32_e32 v11, 29, v11
	v_and_b32_e32 v6, 7, v6
	v_cmp_eq_u16_e32 vcc, 0, v10
	v_cndmask_b32_e32 v2, v2, v6, vcc
	v_cndmask_b32_e32 v6, v10, v11, vcc
	v_lshlrev_b32_e32 v10, 16, v7
	v_mov_b32_e32 v11, 0x3b800000
	v_lshlrev_b32_e32 v2, 20, v2
	v_and_b32_e32 v10, 0x80000000, v10
	v_lshl_add_u32 v6, v6, 23, v11
	v_or3_b32 v2, v10, v6, v2
.LBB38_428:
	s_or_b64 exec, exec, s[6:7]
	v_lshrrev_b32_e32 v6, 8, v3
	s_movk_i32 s4, 0x7f
	v_cmp_gt_i16_sdwa s[6:7], v6, s4 src0_sel:BYTE_0 src1_sel:DWORD
	s_mov_b64 s[4:5], 0
                                        ; implicit-def: $sgpr10
	s_and_saveexec_b64 s[8:9], s[6:7]
	s_xor_b64 s[6:7], exec, s[8:9]
	s_cbranch_execnz .LBB38_2477
; %bb.429:
	s_or_saveexec_b64 s[6:7], s[6:7]
	v_mov_b32_e32 v10, s10
	s_xor_b64 exec, exec, s[6:7]
	s_cbranch_execnz .LBB38_2480
.LBB38_430:
	s_or_b64 exec, exec, s[6:7]
	s_and_saveexec_b64 s[6:7], s[4:5]
	s_cbranch_execz .LBB38_432
.LBB38_431:
	v_bfe_u32 v10, v3, 8, 3
	v_ffbh_u32_e32 v12, v10
	v_min_u32_e32 v12, 32, v12
	v_lshrrev_b16_e32 v11, 3, v6
	v_subrev_u32_e32 v13, 28, v12
	v_and_b32_e32 v11, 15, v11
	v_lshlrev_b32_e32 v6, v13, v6
	v_sub_u32_e32 v12, 29, v12
	v_and_b32_e32 v6, 7, v6
	v_cmp_eq_u16_e32 vcc, 0, v11
	v_cndmask_b32_e32 v6, v10, v6, vcc
	v_cndmask_b32_e32 v10, v11, v12, vcc
	v_lshlrev_b32_e32 v11, 16, v3
	v_mov_b32_e32 v12, 0x3b800000
	v_lshlrev_b32_e32 v6, 20, v6
	v_and_b32_e32 v11, 0x80000000, v11
	v_lshl_add_u32 v10, v10, 23, v12
	v_or3_b32 v10, v11, v10, v6
.LBB38_432:
	s_or_b64 exec, exec, s[6:7]
	s_nop 0
	v_mfma_f32_16x16x4f32 a[0:3], v2, v10, a[0:3]
	s_movk_i32 s4, 0xff
	v_and_b32_sdwa v6, v7, s4 dst_sel:DWORD dst_unused:UNUSED_PAD src0_sel:WORD_1 src1_sel:DWORD
	s_movk_i32 s4, 0x7f
	v_cmp_lt_i16_e32 vcc, s4, v6
	s_mov_b64 s[4:5], 0
                                        ; implicit-def: $sgpr10
	s_and_saveexec_b64 s[6:7], vcc
	s_xor_b64 s[6:7], exec, s[6:7]
	s_cbranch_execnz .LBB38_2481
; %bb.433:
	s_or_saveexec_b64 s[6:7], s[6:7]
	v_mov_b32_e32 v2, s10
	s_xor_b64 exec, exec, s[6:7]
	s_cbranch_execnz .LBB38_2484
.LBB38_434:
	s_or_b64 exec, exec, s[6:7]
	s_and_saveexec_b64 s[6:7], s[4:5]
	s_cbranch_execz .LBB38_436
.LBB38_435:
	v_bfe_u32 v2, v7, 16, 3
	v_ffbh_u32_e32 v11, v2
	v_min_u32_e32 v11, 32, v11
	v_lshrrev_b32_e32 v6, 19, v7
	v_subrev_u32_e32 v12, 28, v11
	v_and_b32_e32 v6, 15, v6
	v_lshlrev_b32_sdwa v12, v12, v7 dst_sel:DWORD dst_unused:UNUSED_PAD src0_sel:DWORD src1_sel:WORD_1
	v_bfe_u32 v10, v7, 19, 4
	v_sub_u32_e32 v11, 29, v11
	v_and_b32_e32 v12, 7, v12
	v_cmp_eq_u16_e32 vcc, 0, v6
	v_cndmask_b32_e32 v2, v2, v12, vcc
	v_cndmask_b32_e32 v6, v10, v11, vcc
	v_lshlrev_b32_e32 v10, 8, v7
	v_mov_b32_e32 v11, 0x3b800000
	v_lshlrev_b32_e32 v2, 20, v2
	v_and_b32_e32 v10, 0x80000000, v10
	v_lshl_add_u32 v6, v6, 23, v11
	v_or3_b32 v2, v10, v6, v2
.LBB38_436:
	s_or_b64 exec, exec, s[6:7]
	s_movk_i32 s4, 0xff
	v_and_b32_sdwa v6, v3, s4 dst_sel:DWORD dst_unused:UNUSED_PAD src0_sel:WORD_1 src1_sel:DWORD
	s_movk_i32 s4, 0x7f
	v_cmp_lt_i16_e32 vcc, s4, v6
	s_mov_b64 s[4:5], 0
                                        ; implicit-def: $sgpr10
	s_and_saveexec_b64 s[6:7], vcc
	s_xor_b64 s[6:7], exec, s[6:7]
	s_cbranch_execnz .LBB38_2485
; %bb.437:
	s_or_saveexec_b64 s[6:7], s[6:7]
	v_mov_b32_e32 v10, s10
	s_xor_b64 exec, exec, s[6:7]
	s_cbranch_execnz .LBB38_2488
.LBB38_438:
	s_or_b64 exec, exec, s[6:7]
	s_and_saveexec_b64 s[6:7], s[4:5]
	s_cbranch_execz .LBB38_440
.LBB38_439:
	v_bfe_u32 v6, v3, 16, 3
	v_ffbh_u32_e32 v12, v6
	v_min_u32_e32 v12, 32, v12
	v_lshrrev_b32_e32 v10, 19, v3
	v_subrev_u32_e32 v13, 28, v12
	v_and_b32_e32 v10, 15, v10
	v_lshlrev_b32_sdwa v13, v13, v3 dst_sel:DWORD dst_unused:UNUSED_PAD src0_sel:DWORD src1_sel:WORD_1
	v_bfe_u32 v11, v3, 19, 4
	v_sub_u32_e32 v12, 29, v12
	v_and_b32_e32 v13, 7, v13
	v_cmp_eq_u16_e32 vcc, 0, v10
	v_cndmask_b32_e32 v6, v6, v13, vcc
	v_cndmask_b32_e32 v10, v11, v12, vcc
	v_lshlrev_b32_e32 v11, 8, v3
	v_mov_b32_e32 v12, 0x3b800000
	v_lshlrev_b32_e32 v6, 20, v6
	v_and_b32_e32 v11, 0x80000000, v11
	v_lshl_add_u32 v10, v10, 23, v12
	v_or3_b32 v10, v11, v10, v6
.LBB38_440:
	s_or_b64 exec, exec, s[6:7]
	s_nop 0
	v_mfma_f32_16x16x4f32 a[0:3], v2, v10, a[0:3]
	s_movk_i32 s4, 0x7f
	v_cmp_gt_i16_sdwa s[6:7], v7, s4 src0_sel:BYTE_3 src1_sel:DWORD
	s_mov_b64 s[4:5], 0
                                        ; implicit-def: $sgpr10
	s_and_saveexec_b64 s[8:9], s[6:7]
	s_xor_b64 s[6:7], exec, s[8:9]
	s_cbranch_execnz .LBB38_2489
; %bb.441:
	s_or_saveexec_b64 s[6:7], s[6:7]
	v_mov_b32_e32 v2, s10
	s_xor_b64 exec, exec, s[6:7]
	s_cbranch_execnz .LBB38_2492
.LBB38_442:
	s_or_b64 exec, exec, s[6:7]
	s_and_saveexec_b64 s[6:7], s[4:5]
	s_cbranch_execz .LBB38_444
.LBB38_443:
	v_bfe_u32 v2, v7, 24, 3
	v_ffbh_u32_e32 v12, v2
	v_min_u32_e32 v12, 32, v12
	v_lshrrev_b32_e32 v10, 27, v7
	v_subrev_u32_e32 v13, 28, v12
	v_and_b32_e32 v6, 0x80000000, v7
	v_and_b32_e32 v10, 15, v10
	v_bfe_u32 v11, v7, 27, 4
	v_lshlrev_b32_sdwa v7, v13, v7 dst_sel:DWORD dst_unused:UNUSED_PAD src0_sel:DWORD src1_sel:BYTE_3
	v_sub_u32_e32 v12, 29, v12
	v_and_b32_e32 v7, 7, v7
	v_cmp_eq_u16_e32 vcc, 0, v10
	v_cndmask_b32_e32 v2, v2, v7, vcc
	v_cndmask_b32_e32 v7, v11, v12, vcc
	v_mov_b32_e32 v10, 0x3b800000
	v_lshlrev_b32_e32 v2, 20, v2
	v_lshl_add_u32 v7, v7, 23, v10
	v_or3_b32 v2, v6, v7, v2
.LBB38_444:
	s_or_b64 exec, exec, s[6:7]
	s_movk_i32 s4, 0x7f
	v_cmp_gt_i16_sdwa s[6:7], v3, s4 src0_sel:BYTE_3 src1_sel:DWORD
	s_mov_b64 s[4:5], 0
                                        ; implicit-def: $sgpr10
	s_and_saveexec_b64 s[8:9], s[6:7]
	s_xor_b64 s[6:7], exec, s[8:9]
	s_cbranch_execnz .LBB38_2493
; %bb.445:
	s_or_saveexec_b64 s[6:7], s[6:7]
	v_mov_b32_e32 v6, s10
	s_xor_b64 exec, exec, s[6:7]
	s_cbranch_execnz .LBB38_2496
.LBB38_446:
	s_or_b64 exec, exec, s[6:7]
	s_and_saveexec_b64 s[6:7], s[4:5]
	s_cbranch_execz .LBB38_448
.LBB38_447:
	v_bfe_u32 v6, v3, 24, 3
	v_ffbh_u32_e32 v12, v6
	v_min_u32_e32 v12, 32, v12
	v_lshrrev_b32_e32 v10, 27, v3
	v_subrev_u32_e32 v13, 28, v12
	v_and_b32_e32 v7, 0x80000000, v3
	v_and_b32_e32 v10, 15, v10
	v_bfe_u32 v11, v3, 27, 4
	v_lshlrev_b32_sdwa v3, v13, v3 dst_sel:DWORD dst_unused:UNUSED_PAD src0_sel:DWORD src1_sel:BYTE_3
	v_sub_u32_e32 v12, 29, v12
	v_and_b32_e32 v3, 7, v3
	v_cmp_eq_u16_e32 vcc, 0, v10
	v_cndmask_b32_e32 v3, v6, v3, vcc
	v_cndmask_b32_e32 v6, v11, v12, vcc
	v_mov_b32_e32 v10, 0x3b800000
	v_lshlrev_b32_e32 v3, 20, v3
	v_lshl_add_u32 v6, v6, 23, v10
	v_or3_b32 v6, v7, v6, v3
.LBB38_448:
	s_or_b64 exec, exec, s[6:7]
	s_nop 0
	v_mfma_f32_16x16x4f32 a[0:3], v2, v6, a[0:3]
	s_movk_i32 s4, 0x7f
	v_cmp_gt_i16_sdwa s[6:7], v8, s4 src0_sel:BYTE_0 src1_sel:DWORD
	s_mov_b64 s[4:5], 0
                                        ; implicit-def: $sgpr10
	s_and_saveexec_b64 s[8:9], s[6:7]
	s_xor_b64 s[6:7], exec, s[8:9]
	s_cbranch_execnz .LBB38_2497
; %bb.449:
	s_or_saveexec_b64 s[6:7], s[6:7]
	v_mov_b32_e32 v2, s10
	s_xor_b64 exec, exec, s[6:7]
	s_cbranch_execnz .LBB38_2500
.LBB38_450:
	s_or_b64 exec, exec, s[6:7]
	s_and_saveexec_b64 s[6:7], s[4:5]
	s_cbranch_execz .LBB38_452
.LBB38_451:
	v_and_b32_e32 v2, 7, v8
	v_ffbh_u32_e32 v6, v2
	v_min_u32_e32 v6, 32, v6
	v_lshrrev_b16_e32 v3, 3, v8
	v_subrev_u32_e32 v7, 28, v6
	v_and_b32_e32 v3, 15, v3
	v_lshlrev_b32_e32 v7, v7, v8
	v_sub_u32_e32 v6, 29, v6
	v_and_b32_e32 v7, 7, v7
	v_cmp_eq_u16_e32 vcc, 0, v3
	v_cndmask_b32_e32 v2, v2, v7, vcc
	v_cndmask_b32_e32 v3, v3, v6, vcc
	v_lshlrev_b32_e32 v6, 24, v8
	v_mov_b32_e32 v7, 0x3b800000
	v_lshlrev_b32_e32 v2, 20, v2
	v_and_b32_e32 v6, 0x80000000, v6
	v_lshl_add_u32 v3, v3, 23, v7
	v_or3_b32 v2, v6, v3, v2
.LBB38_452:
	s_or_b64 exec, exec, s[6:7]
	s_movk_i32 s4, 0x7f
	v_cmp_gt_i16_sdwa s[6:7], v4, s4 src0_sel:BYTE_0 src1_sel:DWORD
	s_mov_b64 s[4:5], 0
                                        ; implicit-def: $sgpr10
	s_and_saveexec_b64 s[8:9], s[6:7]
	s_xor_b64 s[6:7], exec, s[8:9]
	s_cbranch_execnz .LBB38_2501
; %bb.453:
	s_or_saveexec_b64 s[6:7], s[6:7]
	v_mov_b32_e32 v3, s10
	s_xor_b64 exec, exec, s[6:7]
	s_cbranch_execnz .LBB38_2504
.LBB38_454:
	s_or_b64 exec, exec, s[6:7]
	s_and_saveexec_b64 s[6:7], s[4:5]
	s_cbranch_execz .LBB38_456
.LBB38_455:
	v_and_b32_e32 v3, 7, v4
	v_ffbh_u32_e32 v7, v3
	v_min_u32_e32 v7, 32, v7
	v_lshrrev_b16_e32 v6, 3, v4
	v_subrev_u32_e32 v10, 28, v7
	v_and_b32_e32 v6, 15, v6
	v_lshlrev_b32_e32 v10, v10, v4
	v_sub_u32_e32 v7, 29, v7
	v_and_b32_e32 v10, 7, v10
	v_cmp_eq_u16_e32 vcc, 0, v6
	v_cndmask_b32_e32 v3, v3, v10, vcc
	v_cndmask_b32_e32 v6, v6, v7, vcc
	v_lshlrev_b32_e32 v7, 24, v4
	v_mov_b32_e32 v10, 0x3b800000
	v_lshlrev_b32_e32 v3, 20, v3
	v_and_b32_e32 v7, 0x80000000, v7
	v_lshl_add_u32 v6, v6, 23, v10
	v_or3_b32 v3, v7, v6, v3
.LBB38_456:
	s_or_b64 exec, exec, s[6:7]
	s_nop 0
	v_mfma_f32_16x16x4f32 a[0:3], v2, v3, a[0:3]
	v_lshrrev_b32_e32 v3, 8, v8
	s_movk_i32 s4, 0x7f
	v_cmp_gt_i16_sdwa s[6:7], v3, s4 src0_sel:BYTE_0 src1_sel:DWORD
	s_mov_b64 s[4:5], 0
                                        ; implicit-def: $sgpr10
	s_and_saveexec_b64 s[8:9], s[6:7]
	s_xor_b64 s[6:7], exec, s[8:9]
	s_cbranch_execnz .LBB38_2505
; %bb.457:
	s_or_saveexec_b64 s[6:7], s[6:7]
	v_mov_b32_e32 v2, s10
	s_xor_b64 exec, exec, s[6:7]
	s_cbranch_execnz .LBB38_2508
.LBB38_458:
	s_or_b64 exec, exec, s[6:7]
	s_and_saveexec_b64 s[6:7], s[4:5]
	s_cbranch_execz .LBB38_460
.LBB38_459:
	v_bfe_u32 v2, v8, 8, 3
	v_ffbh_u32_e32 v7, v2
	v_min_u32_e32 v7, 32, v7
	v_lshrrev_b16_e32 v6, 3, v3
	v_subrev_u32_e32 v10, 28, v7
	v_and_b32_e32 v6, 15, v6
	v_lshlrev_b32_e32 v3, v10, v3
	v_sub_u32_e32 v7, 29, v7
	v_and_b32_e32 v3, 7, v3
	v_cmp_eq_u16_e32 vcc, 0, v6
	v_cndmask_b32_e32 v2, v2, v3, vcc
	v_cndmask_b32_e32 v3, v6, v7, vcc
	v_lshlrev_b32_e32 v6, 16, v8
	v_mov_b32_e32 v7, 0x3b800000
	v_lshlrev_b32_e32 v2, 20, v2
	v_and_b32_e32 v6, 0x80000000, v6
	v_lshl_add_u32 v3, v3, 23, v7
	v_or3_b32 v2, v6, v3, v2
.LBB38_460:
	s_or_b64 exec, exec, s[6:7]
	v_lshrrev_b32_e32 v3, 8, v4
	s_movk_i32 s4, 0x7f
	v_cmp_gt_i16_sdwa s[6:7], v3, s4 src0_sel:BYTE_0 src1_sel:DWORD
	s_mov_b64 s[4:5], 0
                                        ; implicit-def: $sgpr10
	s_and_saveexec_b64 s[8:9], s[6:7]
	s_xor_b64 s[6:7], exec, s[8:9]
	s_cbranch_execnz .LBB38_2509
; %bb.461:
	s_or_saveexec_b64 s[6:7], s[6:7]
	v_mov_b32_e32 v6, s10
	s_xor_b64 exec, exec, s[6:7]
	s_cbranch_execnz .LBB38_2512
.LBB38_462:
	s_or_b64 exec, exec, s[6:7]
	s_and_saveexec_b64 s[6:7], s[4:5]
	s_cbranch_execz .LBB38_464
.LBB38_463:
	v_bfe_u32 v6, v4, 8, 3
	v_ffbh_u32_e32 v10, v6
	v_min_u32_e32 v10, 32, v10
	v_lshrrev_b16_e32 v7, 3, v3
	v_subrev_u32_e32 v11, 28, v10
	v_and_b32_e32 v7, 15, v7
	v_lshlrev_b32_e32 v3, v11, v3
	v_sub_u32_e32 v10, 29, v10
	v_and_b32_e32 v3, 7, v3
	v_cmp_eq_u16_e32 vcc, 0, v7
	v_cndmask_b32_e32 v3, v6, v3, vcc
	v_cndmask_b32_e32 v6, v7, v10, vcc
	v_lshlrev_b32_e32 v7, 16, v4
	v_mov_b32_e32 v10, 0x3b800000
	v_lshlrev_b32_e32 v3, 20, v3
	v_and_b32_e32 v7, 0x80000000, v7
	v_lshl_add_u32 v6, v6, 23, v10
	v_or3_b32 v6, v7, v6, v3
.LBB38_464:
	s_or_b64 exec, exec, s[6:7]
	s_nop 0
	v_mfma_f32_16x16x4f32 a[0:3], v2, v6, a[0:3]
	s_movk_i32 s4, 0xff
	v_and_b32_sdwa v3, v8, s4 dst_sel:DWORD dst_unused:UNUSED_PAD src0_sel:WORD_1 src1_sel:DWORD
	s_movk_i32 s4, 0x7f
	v_cmp_lt_i16_e32 vcc, s4, v3
	s_mov_b64 s[4:5], 0
                                        ; implicit-def: $sgpr10
	s_and_saveexec_b64 s[6:7], vcc
	s_xor_b64 s[6:7], exec, s[6:7]
	s_cbranch_execnz .LBB38_2513
; %bb.465:
	s_or_saveexec_b64 s[6:7], s[6:7]
	v_mov_b32_e32 v2, s10
	s_xor_b64 exec, exec, s[6:7]
	s_cbranch_execnz .LBB38_2516
.LBB38_466:
	s_or_b64 exec, exec, s[6:7]
	s_and_saveexec_b64 s[6:7], s[4:5]
	s_cbranch_execz .LBB38_468
.LBB38_467:
	v_bfe_u32 v2, v8, 16, 3
	v_ffbh_u32_e32 v7, v2
	v_min_u32_e32 v7, 32, v7
	v_lshrrev_b32_e32 v3, 19, v8
	v_subrev_u32_e32 v10, 28, v7
	v_and_b32_e32 v3, 15, v3
	v_lshlrev_b32_sdwa v10, v10, v8 dst_sel:DWORD dst_unused:UNUSED_PAD src0_sel:DWORD src1_sel:WORD_1
	v_bfe_u32 v6, v8, 19, 4
	v_sub_u32_e32 v7, 29, v7
	v_and_b32_e32 v10, 7, v10
	v_cmp_eq_u16_e32 vcc, 0, v3
	v_cndmask_b32_e32 v2, v2, v10, vcc
	v_cndmask_b32_e32 v3, v6, v7, vcc
	v_lshlrev_b32_e32 v6, 8, v8
	v_mov_b32_e32 v7, 0x3b800000
	v_lshlrev_b32_e32 v2, 20, v2
	v_and_b32_e32 v6, 0x80000000, v6
	v_lshl_add_u32 v3, v3, 23, v7
	v_or3_b32 v2, v6, v3, v2
.LBB38_468:
	s_or_b64 exec, exec, s[6:7]
	s_movk_i32 s4, 0xff
	v_and_b32_sdwa v3, v4, s4 dst_sel:DWORD dst_unused:UNUSED_PAD src0_sel:WORD_1 src1_sel:DWORD
	s_movk_i32 s4, 0x7f
	v_cmp_lt_i16_e32 vcc, s4, v3
	s_mov_b64 s[4:5], 0
                                        ; implicit-def: $sgpr10
	s_and_saveexec_b64 s[6:7], vcc
	s_xor_b64 s[6:7], exec, s[6:7]
	s_cbranch_execnz .LBB38_2517
; %bb.469:
	s_or_saveexec_b64 s[6:7], s[6:7]
	v_mov_b32_e32 v6, s10
	s_xor_b64 exec, exec, s[6:7]
	s_cbranch_execnz .LBB38_2520
.LBB38_470:
	s_or_b64 exec, exec, s[6:7]
	s_and_saveexec_b64 s[6:7], s[4:5]
	s_cbranch_execz .LBB38_472
.LBB38_471:
	v_bfe_u32 v3, v4, 16, 3
	v_ffbh_u32_e32 v10, v3
	v_min_u32_e32 v10, 32, v10
	v_lshrrev_b32_e32 v6, 19, v4
	v_subrev_u32_e32 v11, 28, v10
	v_and_b32_e32 v6, 15, v6
	v_lshlrev_b32_sdwa v11, v11, v4 dst_sel:DWORD dst_unused:UNUSED_PAD src0_sel:DWORD src1_sel:WORD_1
	v_bfe_u32 v7, v4, 19, 4
	v_sub_u32_e32 v10, 29, v10
	v_and_b32_e32 v11, 7, v11
	v_cmp_eq_u16_e32 vcc, 0, v6
	v_cndmask_b32_e32 v3, v3, v11, vcc
	v_cndmask_b32_e32 v6, v7, v10, vcc
	v_lshlrev_b32_e32 v7, 8, v4
	v_mov_b32_e32 v10, 0x3b800000
	v_lshlrev_b32_e32 v3, 20, v3
	v_and_b32_e32 v7, 0x80000000, v7
	v_lshl_add_u32 v6, v6, 23, v10
	v_or3_b32 v6, v7, v6, v3
.LBB38_472:
	s_or_b64 exec, exec, s[6:7]
	s_nop 0
	v_mfma_f32_16x16x4f32 a[0:3], v2, v6, a[0:3]
	s_movk_i32 s4, 0x7f
	v_cmp_gt_i16_sdwa s[6:7], v8, s4 src0_sel:BYTE_3 src1_sel:DWORD
	s_mov_b64 s[4:5], 0
                                        ; implicit-def: $sgpr10
	s_and_saveexec_b64 s[8:9], s[6:7]
	s_xor_b64 s[6:7], exec, s[8:9]
	s_cbranch_execnz .LBB38_2521
; %bb.473:
	s_or_saveexec_b64 s[6:7], s[6:7]
	v_mov_b32_e32 v2, s10
	s_xor_b64 exec, exec, s[6:7]
	s_cbranch_execnz .LBB38_2524
.LBB38_474:
	s_or_b64 exec, exec, s[6:7]
	s_and_saveexec_b64 s[6:7], s[4:5]
	s_cbranch_execz .LBB38_476
.LBB38_475:
	v_bfe_u32 v2, v8, 24, 3
	v_ffbh_u32_e32 v10, v2
	v_min_u32_e32 v10, 32, v10
	v_lshrrev_b32_e32 v6, 27, v8
	v_subrev_u32_e32 v11, 28, v10
	v_and_b32_e32 v3, 0x80000000, v8
	v_and_b32_e32 v6, 15, v6
	v_bfe_u32 v7, v8, 27, 4
	v_lshlrev_b32_sdwa v8, v11, v8 dst_sel:DWORD dst_unused:UNUSED_PAD src0_sel:DWORD src1_sel:BYTE_3
	v_sub_u32_e32 v10, 29, v10
	v_and_b32_e32 v8, 7, v8
	v_cmp_eq_u16_e32 vcc, 0, v6
	v_cndmask_b32_e32 v2, v2, v8, vcc
	v_cndmask_b32_e32 v6, v7, v10, vcc
	v_mov_b32_e32 v7, 0x3b800000
	v_lshlrev_b32_e32 v2, 20, v2
	v_lshl_add_u32 v6, v6, 23, v7
	v_or3_b32 v2, v3, v6, v2
.LBB38_476:
	s_or_b64 exec, exec, s[6:7]
	s_movk_i32 s4, 0x7f
	v_cmp_gt_i16_sdwa s[6:7], v4, s4 src0_sel:BYTE_3 src1_sel:DWORD
	s_mov_b64 s[4:5], 0
                                        ; implicit-def: $sgpr10
	s_and_saveexec_b64 s[8:9], s[6:7]
	s_xor_b64 s[6:7], exec, s[8:9]
	s_cbranch_execnz .LBB38_2525
; %bb.477:
	s_or_saveexec_b64 s[6:7], s[6:7]
	v_mov_b32_e32 v3, s10
	s_xor_b64 exec, exec, s[6:7]
	s_cbranch_execnz .LBB38_2528
.LBB38_478:
	s_or_b64 exec, exec, s[6:7]
	s_and_saveexec_b64 s[6:7], s[4:5]
	s_cbranch_execz .LBB38_480
.LBB38_479:
	v_bfe_u32 v3, v4, 24, 3
	v_ffbh_u32_e32 v10, v3
	v_min_u32_e32 v10, 32, v10
	v_lshrrev_b32_e32 v7, 27, v4
	v_subrev_u32_e32 v11, 28, v10
	v_and_b32_e32 v6, 0x80000000, v4
	v_and_b32_e32 v7, 15, v7
	v_bfe_u32 v8, v4, 27, 4
	v_lshlrev_b32_sdwa v4, v11, v4 dst_sel:DWORD dst_unused:UNUSED_PAD src0_sel:DWORD src1_sel:BYTE_3
	v_sub_u32_e32 v10, 29, v10
	v_and_b32_e32 v4, 7, v4
	v_cmp_eq_u16_e32 vcc, 0, v7
	v_cndmask_b32_e32 v3, v3, v4, vcc
	v_cndmask_b32_e32 v4, v8, v10, vcc
	v_mov_b32_e32 v7, 0x3b800000
	v_lshlrev_b32_e32 v3, 20, v3
	v_lshl_add_u32 v4, v4, 23, v7
	v_or3_b32 v3, v6, v4, v3
.LBB38_480:
	s_or_b64 exec, exec, s[6:7]
	s_nop 0
	v_mfma_f32_16x16x4f32 a[0:3], v2, v3, a[0:3]
	s_movk_i32 s4, 0x7f
	v_cmp_gt_i16_sdwa s[6:7], v9, s4 src0_sel:BYTE_0 src1_sel:DWORD
	s_mov_b64 s[4:5], 0
                                        ; implicit-def: $sgpr10
	s_and_saveexec_b64 s[8:9], s[6:7]
	s_xor_b64 s[6:7], exec, s[8:9]
	s_cbranch_execnz .LBB38_2529
; %bb.481:
	s_or_saveexec_b64 s[6:7], s[6:7]
	v_mov_b32_e32 v2, s10
	s_xor_b64 exec, exec, s[6:7]
	s_cbranch_execnz .LBB38_2532
.LBB38_482:
	s_or_b64 exec, exec, s[6:7]
	s_and_saveexec_b64 s[6:7], s[4:5]
	s_cbranch_execz .LBB38_484
.LBB38_483:
	v_mov_b32_e32 v2, 8
	v_and_b32_e32 v3, 7, v9
	v_lshrrev_b32_sdwa v2, v2, v9 dst_sel:BYTE_1 dst_unused:UNUSED_PAD src0_sel:DWORD src1_sel:DWORD
	v_ffbh_u32_e32 v4, v3
	v_or_b32_sdwa v2, v9, v2 dst_sel:DWORD dst_unused:UNUSED_PAD src0_sel:BYTE_0 src1_sel:DWORD
	v_min_u32_e32 v4, 32, v4
	v_lshrrev_b16_e32 v2, 3, v2
	v_subrev_u32_e32 v6, 28, v4
	v_and_b32_e32 v2, 15, v2
	v_lshlrev_b32_e32 v6, v6, v9
	v_sub_u32_e32 v4, 29, v4
	v_and_b32_e32 v6, 7, v6
	v_cmp_eq_u16_e32 vcc, 0, v2
	v_cndmask_b32_e32 v3, v3, v6, vcc
	v_cndmask_b32_e32 v2, v2, v4, vcc
	v_lshlrev_b32_e32 v4, 24, v9
	v_mov_b32_e32 v6, 0x3b800000
	v_lshlrev_b32_e32 v3, 20, v3
	v_and_b32_e32 v4, 0x80000000, v4
	v_lshl_add_u32 v2, v2, 23, v6
	v_or3_b32 v2, v4, v2, v3
.LBB38_484:
	s_or_b64 exec, exec, s[6:7]
	s_movk_i32 s4, 0x7f
	v_cmp_gt_i16_sdwa s[6:7], v5, s4 src0_sel:BYTE_0 src1_sel:DWORD
	s_mov_b64 s[4:5], 0
                                        ; implicit-def: $sgpr10
	s_and_saveexec_b64 s[8:9], s[6:7]
	s_xor_b64 s[6:7], exec, s[8:9]
	s_cbranch_execnz .LBB38_2533
; %bb.485:
	s_or_saveexec_b64 s[6:7], s[6:7]
	v_mov_b32_e32 v3, s10
	s_xor_b64 exec, exec, s[6:7]
	s_cbranch_execnz .LBB38_2536
.LBB38_486:
	s_or_b64 exec, exec, s[6:7]
	s_and_saveexec_b64 s[6:7], s[4:5]
	s_cbranch_execz .LBB38_488
.LBB38_487:
	v_mov_b32_e32 v3, 8
	v_and_b32_e32 v4, 7, v5
	v_lshrrev_b32_sdwa v3, v3, v5 dst_sel:BYTE_1 dst_unused:UNUSED_PAD src0_sel:DWORD src1_sel:DWORD
	v_ffbh_u32_e32 v6, v4
	v_or_b32_sdwa v3, v5, v3 dst_sel:DWORD dst_unused:UNUSED_PAD src0_sel:BYTE_0 src1_sel:DWORD
	v_min_u32_e32 v6, 32, v6
	v_lshrrev_b16_e32 v3, 3, v3
	v_subrev_u32_e32 v7, 28, v6
	v_and_b32_e32 v3, 15, v3
	v_lshlrev_b32_e32 v7, v7, v5
	v_sub_u32_e32 v6, 29, v6
	v_and_b32_e32 v7, 7, v7
	v_cmp_eq_u16_e32 vcc, 0, v3
	v_cndmask_b32_e32 v4, v4, v7, vcc
	v_cndmask_b32_e32 v3, v3, v6, vcc
	v_lshlrev_b32_e32 v6, 24, v5
	v_mov_b32_e32 v7, 0x3b800000
	v_lshlrev_b32_e32 v4, 20, v4
	v_and_b32_e32 v6, 0x80000000, v6
	v_lshl_add_u32 v3, v3, 23, v7
	v_or3_b32 v3, v6, v3, v4
.LBB38_488:
	s_or_b64 exec, exec, s[6:7]
	s_nop 0
	v_mfma_f32_16x16x4f32 a[0:3], v2, v3, a[0:3]
	v_lshrrev_b32_e32 v3, 8, v9
	s_movk_i32 s4, 0x7f
	v_cmp_gt_i16_sdwa s[6:7], v3, s4 src0_sel:BYTE_0 src1_sel:DWORD
	s_mov_b64 s[4:5], 0
                                        ; implicit-def: $sgpr10
	s_and_saveexec_b64 s[8:9], s[6:7]
	s_xor_b64 s[6:7], exec, s[8:9]
	s_cbranch_execnz .LBB38_2537
; %bb.489:
	s_or_saveexec_b64 s[6:7], s[6:7]
	v_mov_b32_e32 v2, s10
	s_xor_b64 exec, exec, s[6:7]
	s_cbranch_execnz .LBB38_2540
.LBB38_490:
	s_or_b64 exec, exec, s[6:7]
	s_and_saveexec_b64 s[6:7], s[4:5]
	s_cbranch_execz .LBB38_492
.LBB38_491:
	v_bfe_u32 v2, v9, 8, 3
	v_ffbh_u32_e32 v6, v2
	v_min_u32_e32 v6, 32, v6
	v_lshrrev_b16_e32 v4, 3, v3
	v_subrev_u32_e32 v7, 28, v6
	v_and_b32_e32 v4, 15, v4
	v_lshlrev_b32_e32 v3, v7, v3
	v_sub_u32_e32 v6, 29, v6
	v_and_b32_e32 v3, 7, v3
	v_cmp_eq_u16_e32 vcc, 0, v4
	v_cndmask_b32_e32 v2, v2, v3, vcc
	v_cndmask_b32_e32 v3, v4, v6, vcc
	v_lshlrev_b32_e32 v4, 16, v9
	v_mov_b32_e32 v6, 0x3b800000
	v_lshlrev_b32_e32 v2, 20, v2
	v_and_b32_e32 v4, 0x80000000, v4
	v_lshl_add_u32 v3, v3, 23, v6
	v_or3_b32 v2, v4, v3, v2
.LBB38_492:
	s_or_b64 exec, exec, s[6:7]
	v_lshrrev_b32_e32 v3, 8, v5
	s_movk_i32 s4, 0x7f
	v_cmp_gt_i16_sdwa s[6:7], v3, s4 src0_sel:BYTE_0 src1_sel:DWORD
	s_mov_b64 s[4:5], 0
                                        ; implicit-def: $sgpr10
	s_and_saveexec_b64 s[8:9], s[6:7]
	s_xor_b64 s[6:7], exec, s[8:9]
	s_cbranch_execnz .LBB38_2541
; %bb.493:
	s_or_saveexec_b64 s[6:7], s[6:7]
	v_mov_b32_e32 v4, s10
	s_xor_b64 exec, exec, s[6:7]
	s_cbranch_execnz .LBB38_2544
.LBB38_494:
	s_or_b64 exec, exec, s[6:7]
	s_and_saveexec_b64 s[6:7], s[4:5]
	s_cbranch_execz .LBB38_496
.LBB38_495:
	v_bfe_u32 v4, v5, 8, 3
	v_ffbh_u32_e32 v7, v4
	v_min_u32_e32 v7, 32, v7
	v_lshrrev_b16_e32 v6, 3, v3
	v_subrev_u32_e32 v8, 28, v7
	v_and_b32_e32 v6, 15, v6
	v_lshlrev_b32_e32 v3, v8, v3
	v_sub_u32_e32 v7, 29, v7
	v_and_b32_e32 v3, 7, v3
	v_cmp_eq_u16_e32 vcc, 0, v6
	v_cndmask_b32_e32 v3, v4, v3, vcc
	v_cndmask_b32_e32 v4, v6, v7, vcc
	v_lshlrev_b32_e32 v6, 16, v5
	v_mov_b32_e32 v7, 0x3b800000
	v_lshlrev_b32_e32 v3, 20, v3
	v_and_b32_e32 v6, 0x80000000, v6
	v_lshl_add_u32 v4, v4, 23, v7
	v_or3_b32 v4, v6, v4, v3
.LBB38_496:
	s_or_b64 exec, exec, s[6:7]
	s_nop 0
	v_mfma_f32_16x16x4f32 a[0:3], v2, v4, a[0:3]
	s_movk_i32 s4, 0xff
	v_and_b32_sdwa v3, v9, s4 dst_sel:DWORD dst_unused:UNUSED_PAD src0_sel:WORD_1 src1_sel:DWORD
	s_movk_i32 s4, 0x7f
	v_cmp_lt_i16_e32 vcc, s4, v3
	s_mov_b64 s[4:5], 0
                                        ; implicit-def: $sgpr10
	s_and_saveexec_b64 s[6:7], vcc
	s_xor_b64 s[6:7], exec, s[6:7]
	s_cbranch_execnz .LBB38_2545
; %bb.497:
	s_or_saveexec_b64 s[6:7], s[6:7]
	v_mov_b32_e32 v2, s10
	s_xor_b64 exec, exec, s[6:7]
	s_cbranch_execnz .LBB38_2548
.LBB38_498:
	s_or_b64 exec, exec, s[6:7]
	s_and_saveexec_b64 s[6:7], s[4:5]
	s_cbranch_execz .LBB38_500
.LBB38_499:
	v_bfe_u32 v2, v9, 16, 3
	v_ffbh_u32_e32 v6, v2
	v_min_u32_e32 v6, 32, v6
	v_lshrrev_b32_e32 v3, 19, v9
	v_subrev_u32_e32 v7, 28, v6
	v_and_b32_e32 v3, 15, v3
	v_lshlrev_b32_sdwa v7, v7, v9 dst_sel:DWORD dst_unused:UNUSED_PAD src0_sel:DWORD src1_sel:WORD_1
	v_bfe_u32 v4, v9, 19, 4
	v_sub_u32_e32 v6, 29, v6
	v_and_b32_e32 v7, 7, v7
	v_cmp_eq_u16_e32 vcc, 0, v3
	v_cndmask_b32_e32 v2, v2, v7, vcc
	v_cndmask_b32_e32 v3, v4, v6, vcc
	v_lshlrev_b32_e32 v4, 8, v9
	v_mov_b32_e32 v6, 0x3b800000
	v_lshlrev_b32_e32 v2, 20, v2
	v_and_b32_e32 v4, 0x80000000, v4
	v_lshl_add_u32 v3, v3, 23, v6
	v_or3_b32 v2, v4, v3, v2
.LBB38_500:
	s_or_b64 exec, exec, s[6:7]
	s_movk_i32 s4, 0xff
	v_and_b32_sdwa v3, v5, s4 dst_sel:DWORD dst_unused:UNUSED_PAD src0_sel:WORD_1 src1_sel:DWORD
	s_movk_i32 s4, 0x7f
	v_cmp_lt_i16_e32 vcc, s4, v3
	s_mov_b64 s[4:5], 0
                                        ; implicit-def: $sgpr10
	s_and_saveexec_b64 s[6:7], vcc
	s_xor_b64 s[6:7], exec, s[6:7]
	s_cbranch_execnz .LBB38_2549
; %bb.501:
	s_or_saveexec_b64 s[6:7], s[6:7]
	v_mov_b32_e32 v4, s10
	s_xor_b64 exec, exec, s[6:7]
	s_cbranch_execnz .LBB38_2552
.LBB38_502:
	s_or_b64 exec, exec, s[6:7]
	s_and_saveexec_b64 s[6:7], s[4:5]
	s_cbranch_execz .LBB38_504
.LBB38_503:
	v_bfe_u32 v3, v5, 16, 3
	v_ffbh_u32_e32 v7, v3
	v_min_u32_e32 v7, 32, v7
	v_lshrrev_b32_e32 v4, 19, v5
	v_subrev_u32_e32 v8, 28, v7
	v_and_b32_e32 v4, 15, v4
	v_lshlrev_b32_sdwa v8, v8, v5 dst_sel:DWORD dst_unused:UNUSED_PAD src0_sel:DWORD src1_sel:WORD_1
	v_bfe_u32 v6, v5, 19, 4
	v_sub_u32_e32 v7, 29, v7
	v_and_b32_e32 v8, 7, v8
	v_cmp_eq_u16_e32 vcc, 0, v4
	v_cndmask_b32_e32 v3, v3, v8, vcc
	v_cndmask_b32_e32 v4, v6, v7, vcc
	v_lshlrev_b32_e32 v6, 8, v5
	v_mov_b32_e32 v7, 0x3b800000
	v_lshlrev_b32_e32 v3, 20, v3
	v_and_b32_e32 v6, 0x80000000, v6
	v_lshl_add_u32 v4, v4, 23, v7
	v_or3_b32 v4, v6, v4, v3
.LBB38_504:
	s_or_b64 exec, exec, s[6:7]
	s_nop 0
	v_mfma_f32_16x16x4f32 a[0:3], v2, v4, a[0:3]
	s_movk_i32 s4, 0x7f
	v_cmp_gt_i16_sdwa s[6:7], v9, s4 src0_sel:BYTE_3 src1_sel:DWORD
	s_mov_b64 s[4:5], 0
                                        ; implicit-def: $sgpr10
	s_and_saveexec_b64 s[8:9], s[6:7]
	s_xor_b64 s[6:7], exec, s[8:9]
	s_cbranch_execnz .LBB38_2553
; %bb.505:
	s_or_saveexec_b64 s[6:7], s[6:7]
	v_mov_b32_e32 v2, s10
	s_xor_b64 exec, exec, s[6:7]
	s_cbranch_execnz .LBB38_2556
.LBB38_506:
	s_or_b64 exec, exec, s[6:7]
	s_and_saveexec_b64 s[6:7], s[4:5]
	s_cbranch_execz .LBB38_508
.LBB38_507:
	v_bfe_u32 v2, v9, 24, 3
	v_ffbh_u32_e32 v7, v2
	v_min_u32_e32 v7, 32, v7
	v_lshrrev_b32_e32 v4, 27, v9
	v_subrev_u32_e32 v8, 28, v7
	v_and_b32_e32 v4, 15, v4
	v_lshlrev_b32_sdwa v8, v8, v9 dst_sel:DWORD dst_unused:UNUSED_PAD src0_sel:DWORD src1_sel:BYTE_3
	v_bfe_u32 v6, v9, 27, 4
	v_sub_u32_e32 v7, 29, v7
	v_and_b32_e32 v8, 7, v8
	v_cmp_eq_u16_e32 vcc, 0, v4
	v_cndmask_b32_e32 v2, v2, v8, vcc
	v_cndmask_b32_e32 v4, v6, v7, vcc
	v_mov_b32_e32 v6, 0x3b800000
	v_and_b32_e32 v3, 0x80000000, v9
	v_lshlrev_b32_e32 v2, 20, v2
	v_lshl_add_u32 v4, v4, 23, v6
	v_or3_b32 v2, v3, v4, v2
.LBB38_508:
	s_or_b64 exec, exec, s[6:7]
	s_movk_i32 s4, 0x7f
	v_cmp_gt_i16_sdwa s[6:7], v5, s4 src0_sel:BYTE_3 src1_sel:DWORD
	s_mov_b64 s[4:5], 0
                                        ; implicit-def: $sgpr10
	s_and_saveexec_b64 s[8:9], s[6:7]
	s_xor_b64 s[6:7], exec, s[8:9]
	s_cbranch_execnz .LBB38_2557
; %bb.509:
	s_or_saveexec_b64 s[6:7], s[6:7]
	v_mov_b32_e32 v3, s10
	s_xor_b64 exec, exec, s[6:7]
	s_cbranch_execnz .LBB38_2560
.LBB38_510:
	s_or_b64 exec, exec, s[6:7]
	s_and_saveexec_b64 s[6:7], s[4:5]
	s_cbranch_execz .LBB38_512
.LBB38_511:
	v_bfe_u32 v3, v5, 24, 3
	v_ffbh_u32_e32 v8, v3
	v_min_u32_e32 v8, 32, v8
	v_lshrrev_b32_e32 v6, 27, v5
	v_subrev_u32_e32 v9, 28, v8
	v_and_b32_e32 v4, 0x80000000, v5
	v_and_b32_e32 v6, 15, v6
	v_bfe_u32 v7, v5, 27, 4
	v_lshlrev_b32_sdwa v5, v9, v5 dst_sel:DWORD dst_unused:UNUSED_PAD src0_sel:DWORD src1_sel:BYTE_3
	v_sub_u32_e32 v8, 29, v8
	v_and_b32_e32 v5, 7, v5
	v_cmp_eq_u16_e32 vcc, 0, v6
	v_cndmask_b32_e32 v3, v3, v5, vcc
	v_cndmask_b32_e32 v5, v7, v8, vcc
	v_mov_b32_e32 v6, 0x3b800000
	v_lshlrev_b32_e32 v3, 20, v3
	v_lshl_add_u32 v5, v5, 23, v6
	v_or3_b32 v3, v4, v5, v3
.LBB38_512:
	s_or_b64 exec, exec, s[6:7]
	s_nop 0
	v_mfma_f32_16x16x4f32 a[0:3], v2, v3, a[0:3]
	s_movk_i32 s4, 0x7f
                                        ; implicit-def: $sgpr10
	s_nop 7
	s_nop 1
	flat_store_dwordx4 v[18:19], a[0:3] offset:272
	flat_load_dwordx4 v[20:23], v[0:1] offset:16
	s_nop 0
	flat_load_dwordx2 v[18:19], v[0:1] offset:32
	s_waitcnt vmcnt(0) lgkmcnt(0)
	flat_load_dwordx4 v[14:17], v[20:21]
	flat_load_dwordx4 v[6:9], v[20:21] offset:16
	flat_load_dwordx4 v[10:13], v[22:23] offset:320
	;; [unrolled: 1-line block ×3, first 2 shown]
	s_waitcnt vmcnt(0) lgkmcnt(0)
	v_cmp_gt_i16_sdwa s[6:7], v14, s4 src0_sel:BYTE_0 src1_sel:DWORD
	s_mov_b64 s[4:5], 0
	s_and_saveexec_b64 s[8:9], s[6:7]
	s_xor_b64 s[6:7], exec, s[8:9]
	s_cbranch_execnz .LBB38_2561
; %bb.513:
	s_or_saveexec_b64 s[6:7], s[6:7]
	v_mov_b32_e32 v20, s10
	s_xor_b64 exec, exec, s[6:7]
	s_cbranch_execnz .LBB38_2564
.LBB38_514:
	s_or_b64 exec, exec, s[6:7]
	s_and_saveexec_b64 s[6:7], s[4:5]
	s_cbranch_execz .LBB38_516
.LBB38_515:
	v_and_b32_e32 v20, 7, v14
	v_ffbh_u32_e32 v22, v20
	v_min_u32_e32 v22, 32, v22
	v_lshrrev_b16_e32 v21, 3, v14
	v_subrev_u32_e32 v23, 28, v22
	v_and_b32_e32 v21, 15, v21
	v_lshlrev_b32_e32 v23, v23, v14
	v_sub_u32_e32 v22, 29, v22
	v_and_b32_e32 v23, 7, v23
	v_cmp_eq_u16_e32 vcc, 0, v21
	v_cndmask_b32_e32 v20, v20, v23, vcc
	v_cndmask_b32_e32 v21, v21, v22, vcc
	v_lshlrev_b32_e32 v22, 24, v14
	v_mov_b32_e32 v23, 0x3b800000
	v_lshlrev_b32_e32 v20, 20, v20
	v_and_b32_e32 v22, 0x80000000, v22
	v_lshl_add_u32 v21, v21, 23, v23
	v_or3_b32 v20, v22, v21, v20
.LBB38_516:
	s_or_b64 exec, exec, s[6:7]
	s_movk_i32 s4, 0x7f
	v_cmp_gt_i16_sdwa s[6:7], v10, s4 src0_sel:BYTE_0 src1_sel:DWORD
	s_mov_b64 s[4:5], 0
                                        ; implicit-def: $sgpr10
	s_and_saveexec_b64 s[8:9], s[6:7]
	s_xor_b64 s[6:7], exec, s[8:9]
	s_cbranch_execnz .LBB38_2565
; %bb.517:
	s_or_saveexec_b64 s[6:7], s[6:7]
	v_mov_b32_e32 v21, s10
	s_xor_b64 exec, exec, s[6:7]
	s_cbranch_execnz .LBB38_2568
.LBB38_518:
	s_or_b64 exec, exec, s[6:7]
	s_and_saveexec_b64 s[6:7], s[4:5]
	s_cbranch_execz .LBB38_520
.LBB38_519:
	v_and_b32_e32 v21, 7, v10
	v_ffbh_u32_e32 v23, v21
	v_min_u32_e32 v23, 32, v23
	v_lshrrev_b16_e32 v22, 3, v10
	v_subrev_u32_e32 v24, 28, v23
	v_and_b32_e32 v22, 15, v22
	v_lshlrev_b32_e32 v24, v24, v10
	v_sub_u32_e32 v23, 29, v23
	v_and_b32_e32 v24, 7, v24
	v_cmp_eq_u16_e32 vcc, 0, v22
	v_cndmask_b32_e32 v21, v21, v24, vcc
	v_cndmask_b32_e32 v22, v22, v23, vcc
	v_lshlrev_b32_e32 v23, 24, v10
	v_mov_b32_e32 v24, 0x3b800000
	v_lshlrev_b32_e32 v21, 20, v21
	v_and_b32_e32 v23, 0x80000000, v23
	v_lshl_add_u32 v22, v22, 23, v24
	v_or3_b32 v21, v23, v22, v21
.LBB38_520:
	s_or_b64 exec, exec, s[6:7]
	flat_load_dwordx4 a[0:3], v[18:19] offset:288
	s_movk_i32 s4, 0x7f
                                        ; implicit-def: $sgpr10
	s_waitcnt vmcnt(0) lgkmcnt(0)
	v_mfma_f32_16x16x4f32 a[0:3], v20, v21, a[0:3]
	v_lshrrev_b32_e32 v21, 8, v14
	v_cmp_gt_i16_sdwa s[6:7], v21, s4 src0_sel:BYTE_0 src1_sel:DWORD
	s_mov_b64 s[4:5], 0
	s_and_saveexec_b64 s[8:9], s[6:7]
	s_xor_b64 s[6:7], exec, s[8:9]
	s_cbranch_execnz .LBB38_2569
; %bb.521:
	s_or_saveexec_b64 s[6:7], s[6:7]
	v_mov_b32_e32 v20, s10
	s_xor_b64 exec, exec, s[6:7]
	s_cbranch_execnz .LBB38_2572
.LBB38_522:
	s_or_b64 exec, exec, s[6:7]
	s_and_saveexec_b64 s[6:7], s[4:5]
	s_cbranch_execz .LBB38_524
.LBB38_523:
	v_bfe_u32 v20, v14, 8, 3
	v_ffbh_u32_e32 v23, v20
	v_min_u32_e32 v23, 32, v23
	v_lshrrev_b16_e32 v22, 3, v21
	v_subrev_u32_e32 v24, 28, v23
	v_and_b32_e32 v22, 15, v22
	v_lshlrev_b32_e32 v21, v24, v21
	v_sub_u32_e32 v23, 29, v23
	v_and_b32_e32 v21, 7, v21
	v_cmp_eq_u16_e32 vcc, 0, v22
	v_cndmask_b32_e32 v20, v20, v21, vcc
	v_cndmask_b32_e32 v21, v22, v23, vcc
	v_lshlrev_b32_e32 v22, 16, v14
	v_mov_b32_e32 v23, 0x3b800000
	v_lshlrev_b32_e32 v20, 20, v20
	v_and_b32_e32 v22, 0x80000000, v22
	v_lshl_add_u32 v21, v21, 23, v23
	v_or3_b32 v20, v22, v21, v20
.LBB38_524:
	s_or_b64 exec, exec, s[6:7]
	v_lshrrev_b32_e32 v21, 8, v10
	s_movk_i32 s4, 0x7f
	v_cmp_gt_i16_sdwa s[6:7], v21, s4 src0_sel:BYTE_0 src1_sel:DWORD
	s_mov_b64 s[4:5], 0
                                        ; implicit-def: $sgpr10
	s_and_saveexec_b64 s[8:9], s[6:7]
	s_xor_b64 s[6:7], exec, s[8:9]
	s_cbranch_execnz .LBB38_2573
; %bb.525:
	s_or_saveexec_b64 s[6:7], s[6:7]
	v_mov_b32_e32 v22, s10
	s_xor_b64 exec, exec, s[6:7]
	s_cbranch_execnz .LBB38_2576
.LBB38_526:
	s_or_b64 exec, exec, s[6:7]
	s_and_saveexec_b64 s[6:7], s[4:5]
	s_cbranch_execz .LBB38_528
.LBB38_527:
	v_bfe_u32 v22, v10, 8, 3
	v_ffbh_u32_e32 v24, v22
	v_min_u32_e32 v24, 32, v24
	v_lshrrev_b16_e32 v23, 3, v21
	v_subrev_u32_e32 v25, 28, v24
	v_and_b32_e32 v23, 15, v23
	v_lshlrev_b32_e32 v21, v25, v21
	v_sub_u32_e32 v24, 29, v24
	v_and_b32_e32 v21, 7, v21
	v_cmp_eq_u16_e32 vcc, 0, v23
	v_cndmask_b32_e32 v21, v22, v21, vcc
	v_cndmask_b32_e32 v22, v23, v24, vcc
	v_lshlrev_b32_e32 v23, 16, v10
	v_mov_b32_e32 v24, 0x3b800000
	v_lshlrev_b32_e32 v21, 20, v21
	v_and_b32_e32 v23, 0x80000000, v23
	v_lshl_add_u32 v22, v22, 23, v24
	v_or3_b32 v22, v23, v22, v21
.LBB38_528:
	s_or_b64 exec, exec, s[6:7]
	s_nop 0
	v_mfma_f32_16x16x4f32 a[0:3], v20, v22, a[0:3]
	s_movk_i32 s4, 0xff
	v_and_b32_sdwa v21, v14, s4 dst_sel:DWORD dst_unused:UNUSED_PAD src0_sel:WORD_1 src1_sel:DWORD
	s_movk_i32 s4, 0x7f
	v_cmp_lt_i16_e32 vcc, s4, v21
	s_mov_b64 s[4:5], 0
                                        ; implicit-def: $sgpr10
	s_and_saveexec_b64 s[6:7], vcc
	s_xor_b64 s[6:7], exec, s[6:7]
	s_cbranch_execnz .LBB38_2577
; %bb.529:
	s_or_saveexec_b64 s[6:7], s[6:7]
	v_mov_b32_e32 v20, s10
	s_xor_b64 exec, exec, s[6:7]
	s_cbranch_execnz .LBB38_2580
.LBB38_530:
	s_or_b64 exec, exec, s[6:7]
	s_and_saveexec_b64 s[6:7], s[4:5]
	s_cbranch_execz .LBB38_532
.LBB38_531:
	v_bfe_u32 v20, v14, 16, 3
	v_ffbh_u32_e32 v23, v20
	v_min_u32_e32 v23, 32, v23
	v_lshrrev_b32_e32 v21, 19, v14
	v_subrev_u32_e32 v24, 28, v23
	v_and_b32_e32 v21, 15, v21
	v_lshlrev_b32_sdwa v24, v24, v14 dst_sel:DWORD dst_unused:UNUSED_PAD src0_sel:DWORD src1_sel:WORD_1
	v_bfe_u32 v22, v14, 19, 4
	v_sub_u32_e32 v23, 29, v23
	v_and_b32_e32 v24, 7, v24
	v_cmp_eq_u16_e32 vcc, 0, v21
	v_cndmask_b32_e32 v20, v20, v24, vcc
	v_cndmask_b32_e32 v21, v22, v23, vcc
	v_lshlrev_b32_e32 v22, 8, v14
	v_mov_b32_e32 v23, 0x3b800000
	v_lshlrev_b32_e32 v20, 20, v20
	v_and_b32_e32 v22, 0x80000000, v22
	v_lshl_add_u32 v21, v21, 23, v23
	v_or3_b32 v20, v22, v21, v20
.LBB38_532:
	s_or_b64 exec, exec, s[6:7]
	s_movk_i32 s4, 0xff
	v_and_b32_sdwa v21, v10, s4 dst_sel:DWORD dst_unused:UNUSED_PAD src0_sel:WORD_1 src1_sel:DWORD
	s_movk_i32 s4, 0x7f
	v_cmp_lt_i16_e32 vcc, s4, v21
	s_mov_b64 s[4:5], 0
                                        ; implicit-def: $sgpr10
	s_and_saveexec_b64 s[6:7], vcc
	s_xor_b64 s[6:7], exec, s[6:7]
	s_cbranch_execnz .LBB38_2581
; %bb.533:
	s_or_saveexec_b64 s[6:7], s[6:7]
	v_mov_b32_e32 v22, s10
	s_xor_b64 exec, exec, s[6:7]
	s_cbranch_execnz .LBB38_2584
.LBB38_534:
	s_or_b64 exec, exec, s[6:7]
	s_and_saveexec_b64 s[6:7], s[4:5]
	s_cbranch_execz .LBB38_536
.LBB38_535:
	v_bfe_u32 v21, v10, 16, 3
	v_ffbh_u32_e32 v24, v21
	v_min_u32_e32 v24, 32, v24
	v_lshrrev_b32_e32 v22, 19, v10
	v_subrev_u32_e32 v25, 28, v24
	v_and_b32_e32 v22, 15, v22
	v_lshlrev_b32_sdwa v25, v25, v10 dst_sel:DWORD dst_unused:UNUSED_PAD src0_sel:DWORD src1_sel:WORD_1
	v_bfe_u32 v23, v10, 19, 4
	v_sub_u32_e32 v24, 29, v24
	v_and_b32_e32 v25, 7, v25
	v_cmp_eq_u16_e32 vcc, 0, v22
	v_cndmask_b32_e32 v21, v21, v25, vcc
	v_cndmask_b32_e32 v22, v23, v24, vcc
	v_lshlrev_b32_e32 v23, 8, v10
	v_mov_b32_e32 v24, 0x3b800000
	v_lshlrev_b32_e32 v21, 20, v21
	v_and_b32_e32 v23, 0x80000000, v23
	v_lshl_add_u32 v22, v22, 23, v24
	v_or3_b32 v22, v23, v22, v21
.LBB38_536:
	s_or_b64 exec, exec, s[6:7]
	s_nop 0
	v_mfma_f32_16x16x4f32 a[0:3], v20, v22, a[0:3]
	s_movk_i32 s4, 0x7f
	v_cmp_gt_i16_sdwa s[6:7], v14, s4 src0_sel:BYTE_3 src1_sel:DWORD
	s_mov_b64 s[4:5], 0
                                        ; implicit-def: $sgpr10
	s_and_saveexec_b64 s[8:9], s[6:7]
	s_xor_b64 s[6:7], exec, s[8:9]
	s_cbranch_execnz .LBB38_2585
; %bb.537:
	s_or_saveexec_b64 s[6:7], s[6:7]
	v_mov_b32_e32 v20, s10
	s_xor_b64 exec, exec, s[6:7]
	s_cbranch_execnz .LBB38_2588
.LBB38_538:
	s_or_b64 exec, exec, s[6:7]
	s_and_saveexec_b64 s[6:7], s[4:5]
	s_cbranch_execz .LBB38_540
.LBB38_539:
	v_bfe_u32 v20, v14, 24, 3
	v_ffbh_u32_e32 v24, v20
	v_min_u32_e32 v24, 32, v24
	v_lshrrev_b32_e32 v22, 27, v14
	v_subrev_u32_e32 v25, 28, v24
	v_and_b32_e32 v21, 0x80000000, v14
	v_and_b32_e32 v22, 15, v22
	v_bfe_u32 v23, v14, 27, 4
	v_lshlrev_b32_sdwa v14, v25, v14 dst_sel:DWORD dst_unused:UNUSED_PAD src0_sel:DWORD src1_sel:BYTE_3
	v_sub_u32_e32 v24, 29, v24
	v_and_b32_e32 v14, 7, v14
	v_cmp_eq_u16_e32 vcc, 0, v22
	v_cndmask_b32_e32 v14, v20, v14, vcc
	v_cndmask_b32_e32 v20, v23, v24, vcc
	v_mov_b32_e32 v22, 0x3b800000
	v_lshlrev_b32_e32 v14, 20, v14
	v_lshl_add_u32 v20, v20, 23, v22
	v_or3_b32 v20, v21, v20, v14
.LBB38_540:
	s_or_b64 exec, exec, s[6:7]
	s_movk_i32 s4, 0x7f
	v_cmp_gt_i16_sdwa s[6:7], v10, s4 src0_sel:BYTE_3 src1_sel:DWORD
	s_mov_b64 s[4:5], 0
                                        ; implicit-def: $sgpr10
	s_and_saveexec_b64 s[8:9], s[6:7]
	s_xor_b64 s[6:7], exec, s[8:9]
	s_cbranch_execnz .LBB38_2589
; %bb.541:
	s_or_saveexec_b64 s[6:7], s[6:7]
	v_mov_b32_e32 v14, s10
	s_xor_b64 exec, exec, s[6:7]
	s_cbranch_execnz .LBB38_2592
.LBB38_542:
	s_or_b64 exec, exec, s[6:7]
	s_and_saveexec_b64 s[6:7], s[4:5]
	s_cbranch_execz .LBB38_544
.LBB38_543:
	v_bfe_u32 v14, v10, 24, 3
	v_ffbh_u32_e32 v24, v14
	v_min_u32_e32 v24, 32, v24
	v_lshrrev_b32_e32 v22, 27, v10
	v_subrev_u32_e32 v25, 28, v24
	v_and_b32_e32 v21, 0x80000000, v10
	v_and_b32_e32 v22, 15, v22
	v_bfe_u32 v23, v10, 27, 4
	v_lshlrev_b32_sdwa v10, v25, v10 dst_sel:DWORD dst_unused:UNUSED_PAD src0_sel:DWORD src1_sel:BYTE_3
	v_sub_u32_e32 v24, 29, v24
	v_and_b32_e32 v10, 7, v10
	v_cmp_eq_u16_e32 vcc, 0, v22
	v_cndmask_b32_e32 v10, v14, v10, vcc
	v_cndmask_b32_e32 v14, v23, v24, vcc
	v_mov_b32_e32 v22, 0x3b800000
	v_lshlrev_b32_e32 v10, 20, v10
	v_lshl_add_u32 v14, v14, 23, v22
	v_or3_b32 v14, v21, v14, v10
.LBB38_544:
	s_or_b64 exec, exec, s[6:7]
	s_nop 0
	v_mfma_f32_16x16x4f32 a[0:3], v20, v14, a[0:3]
	s_movk_i32 s4, 0x7f
	v_cmp_gt_i16_sdwa s[6:7], v15, s4 src0_sel:BYTE_0 src1_sel:DWORD
	s_mov_b64 s[4:5], 0
                                        ; implicit-def: $sgpr10
	s_and_saveexec_b64 s[8:9], s[6:7]
	s_xor_b64 s[6:7], exec, s[8:9]
	s_cbranch_execnz .LBB38_2593
; %bb.545:
	s_or_saveexec_b64 s[6:7], s[6:7]
	v_mov_b32_e32 v10, s10
	s_xor_b64 exec, exec, s[6:7]
	s_cbranch_execnz .LBB38_2596
.LBB38_546:
	s_or_b64 exec, exec, s[6:7]
	s_and_saveexec_b64 s[6:7], s[4:5]
	s_cbranch_execz .LBB38_548
.LBB38_547:
	v_and_b32_e32 v10, 7, v15
	v_ffbh_u32_e32 v20, v10
	v_min_u32_e32 v20, 32, v20
	v_lshrrev_b16_e32 v14, 3, v15
	v_subrev_u32_e32 v21, 28, v20
	v_and_b32_e32 v14, 15, v14
	v_lshlrev_b32_e32 v21, v21, v15
	v_sub_u32_e32 v20, 29, v20
	v_and_b32_e32 v21, 7, v21
	v_cmp_eq_u16_e32 vcc, 0, v14
	v_cndmask_b32_e32 v10, v10, v21, vcc
	v_cndmask_b32_e32 v14, v14, v20, vcc
	v_lshlrev_b32_e32 v20, 24, v15
	v_mov_b32_e32 v21, 0x3b800000
	v_lshlrev_b32_e32 v10, 20, v10
	v_and_b32_e32 v20, 0x80000000, v20
	v_lshl_add_u32 v14, v14, 23, v21
	v_or3_b32 v10, v20, v14, v10
.LBB38_548:
	s_or_b64 exec, exec, s[6:7]
	s_movk_i32 s4, 0x7f
	v_cmp_gt_i16_sdwa s[6:7], v11, s4 src0_sel:BYTE_0 src1_sel:DWORD
	s_mov_b64 s[4:5], 0
                                        ; implicit-def: $sgpr10
	s_and_saveexec_b64 s[8:9], s[6:7]
	s_xor_b64 s[6:7], exec, s[8:9]
	s_cbranch_execnz .LBB38_2597
; %bb.549:
	s_or_saveexec_b64 s[6:7], s[6:7]
	v_mov_b32_e32 v14, s10
	s_xor_b64 exec, exec, s[6:7]
	s_cbranch_execnz .LBB38_2600
.LBB38_550:
	s_or_b64 exec, exec, s[6:7]
	s_and_saveexec_b64 s[6:7], s[4:5]
	s_cbranch_execz .LBB38_552
.LBB38_551:
	v_and_b32_e32 v14, 7, v11
	v_ffbh_u32_e32 v21, v14
	v_min_u32_e32 v21, 32, v21
	v_lshrrev_b16_e32 v20, 3, v11
	v_subrev_u32_e32 v22, 28, v21
	v_and_b32_e32 v20, 15, v20
	v_lshlrev_b32_e32 v22, v22, v11
	v_sub_u32_e32 v21, 29, v21
	v_and_b32_e32 v22, 7, v22
	v_cmp_eq_u16_e32 vcc, 0, v20
	v_cndmask_b32_e32 v14, v14, v22, vcc
	v_cndmask_b32_e32 v20, v20, v21, vcc
	v_lshlrev_b32_e32 v21, 24, v11
	v_mov_b32_e32 v22, 0x3b800000
	v_lshlrev_b32_e32 v14, 20, v14
	v_and_b32_e32 v21, 0x80000000, v21
	v_lshl_add_u32 v20, v20, 23, v22
	v_or3_b32 v14, v21, v20, v14
.LBB38_552:
	s_or_b64 exec, exec, s[6:7]
	s_nop 0
	v_mfma_f32_16x16x4f32 a[0:3], v10, v14, a[0:3]
	v_lshrrev_b32_e32 v14, 8, v15
	s_movk_i32 s4, 0x7f
	v_cmp_gt_i16_sdwa s[6:7], v14, s4 src0_sel:BYTE_0 src1_sel:DWORD
	s_mov_b64 s[4:5], 0
                                        ; implicit-def: $sgpr10
	s_and_saveexec_b64 s[8:9], s[6:7]
	s_xor_b64 s[6:7], exec, s[8:9]
	s_cbranch_execnz .LBB38_2601
; %bb.553:
	s_or_saveexec_b64 s[6:7], s[6:7]
	v_mov_b32_e32 v10, s10
	s_xor_b64 exec, exec, s[6:7]
	s_cbranch_execnz .LBB38_2604
.LBB38_554:
	s_or_b64 exec, exec, s[6:7]
	s_and_saveexec_b64 s[6:7], s[4:5]
	s_cbranch_execz .LBB38_556
.LBB38_555:
	v_bfe_u32 v10, v15, 8, 3
	v_ffbh_u32_e32 v21, v10
	v_min_u32_e32 v21, 32, v21
	v_lshrrev_b16_e32 v20, 3, v14
	v_subrev_u32_e32 v22, 28, v21
	v_and_b32_e32 v20, 15, v20
	v_lshlrev_b32_e32 v14, v22, v14
	v_sub_u32_e32 v21, 29, v21
	v_and_b32_e32 v14, 7, v14
	v_cmp_eq_u16_e32 vcc, 0, v20
	v_cndmask_b32_e32 v10, v10, v14, vcc
	v_cndmask_b32_e32 v14, v20, v21, vcc
	v_lshlrev_b32_e32 v20, 16, v15
	v_mov_b32_e32 v21, 0x3b800000
	v_lshlrev_b32_e32 v10, 20, v10
	v_and_b32_e32 v20, 0x80000000, v20
	v_lshl_add_u32 v14, v14, 23, v21
	v_or3_b32 v10, v20, v14, v10
.LBB38_556:
	s_or_b64 exec, exec, s[6:7]
	v_lshrrev_b32_e32 v14, 8, v11
	s_movk_i32 s4, 0x7f
	v_cmp_gt_i16_sdwa s[6:7], v14, s4 src0_sel:BYTE_0 src1_sel:DWORD
	s_mov_b64 s[4:5], 0
                                        ; implicit-def: $sgpr10
	s_and_saveexec_b64 s[8:9], s[6:7]
	s_xor_b64 s[6:7], exec, s[8:9]
	s_cbranch_execnz .LBB38_2605
; %bb.557:
	s_or_saveexec_b64 s[6:7], s[6:7]
	v_mov_b32_e32 v20, s10
	s_xor_b64 exec, exec, s[6:7]
	s_cbranch_execnz .LBB38_2608
.LBB38_558:
	s_or_b64 exec, exec, s[6:7]
	s_and_saveexec_b64 s[6:7], s[4:5]
	s_cbranch_execz .LBB38_560
.LBB38_559:
	v_bfe_u32 v20, v11, 8, 3
	v_ffbh_u32_e32 v22, v20
	v_min_u32_e32 v22, 32, v22
	v_lshrrev_b16_e32 v21, 3, v14
	v_subrev_u32_e32 v23, 28, v22
	v_and_b32_e32 v21, 15, v21
	v_lshlrev_b32_e32 v14, v23, v14
	v_sub_u32_e32 v22, 29, v22
	v_and_b32_e32 v14, 7, v14
	v_cmp_eq_u16_e32 vcc, 0, v21
	v_cndmask_b32_e32 v14, v20, v14, vcc
	v_cndmask_b32_e32 v20, v21, v22, vcc
	v_lshlrev_b32_e32 v21, 16, v11
	v_mov_b32_e32 v22, 0x3b800000
	v_lshlrev_b32_e32 v14, 20, v14
	v_and_b32_e32 v21, 0x80000000, v21
	v_lshl_add_u32 v20, v20, 23, v22
	v_or3_b32 v20, v21, v20, v14
.LBB38_560:
	s_or_b64 exec, exec, s[6:7]
	s_nop 0
	v_mfma_f32_16x16x4f32 a[0:3], v10, v20, a[0:3]
	s_movk_i32 s4, 0xff
	v_and_b32_sdwa v14, v15, s4 dst_sel:DWORD dst_unused:UNUSED_PAD src0_sel:WORD_1 src1_sel:DWORD
	s_movk_i32 s4, 0x7f
	v_cmp_lt_i16_e32 vcc, s4, v14
	s_mov_b64 s[4:5], 0
                                        ; implicit-def: $sgpr10
	s_and_saveexec_b64 s[6:7], vcc
	s_xor_b64 s[6:7], exec, s[6:7]
	s_cbranch_execnz .LBB38_2609
; %bb.561:
	s_or_saveexec_b64 s[6:7], s[6:7]
	v_mov_b32_e32 v10, s10
	s_xor_b64 exec, exec, s[6:7]
	s_cbranch_execnz .LBB38_2612
.LBB38_562:
	s_or_b64 exec, exec, s[6:7]
	s_and_saveexec_b64 s[6:7], s[4:5]
	s_cbranch_execz .LBB38_564
.LBB38_563:
	v_bfe_u32 v10, v15, 16, 3
	v_ffbh_u32_e32 v21, v10
	v_min_u32_e32 v21, 32, v21
	v_lshrrev_b32_e32 v14, 19, v15
	v_subrev_u32_e32 v22, 28, v21
	v_and_b32_e32 v14, 15, v14
	v_lshlrev_b32_sdwa v22, v22, v15 dst_sel:DWORD dst_unused:UNUSED_PAD src0_sel:DWORD src1_sel:WORD_1
	v_bfe_u32 v20, v15, 19, 4
	v_sub_u32_e32 v21, 29, v21
	v_and_b32_e32 v22, 7, v22
	v_cmp_eq_u16_e32 vcc, 0, v14
	v_cndmask_b32_e32 v10, v10, v22, vcc
	v_cndmask_b32_e32 v14, v20, v21, vcc
	v_lshlrev_b32_e32 v20, 8, v15
	v_mov_b32_e32 v21, 0x3b800000
	v_lshlrev_b32_e32 v10, 20, v10
	v_and_b32_e32 v20, 0x80000000, v20
	v_lshl_add_u32 v14, v14, 23, v21
	v_or3_b32 v10, v20, v14, v10
.LBB38_564:
	s_or_b64 exec, exec, s[6:7]
	s_movk_i32 s4, 0xff
	v_and_b32_sdwa v14, v11, s4 dst_sel:DWORD dst_unused:UNUSED_PAD src0_sel:WORD_1 src1_sel:DWORD
	s_movk_i32 s4, 0x7f
	v_cmp_lt_i16_e32 vcc, s4, v14
	s_mov_b64 s[4:5], 0
                                        ; implicit-def: $sgpr10
	s_and_saveexec_b64 s[6:7], vcc
	s_xor_b64 s[6:7], exec, s[6:7]
	s_cbranch_execnz .LBB38_2613
; %bb.565:
	s_or_saveexec_b64 s[6:7], s[6:7]
	v_mov_b32_e32 v20, s10
	s_xor_b64 exec, exec, s[6:7]
	s_cbranch_execnz .LBB38_2616
.LBB38_566:
	s_or_b64 exec, exec, s[6:7]
	s_and_saveexec_b64 s[6:7], s[4:5]
	s_cbranch_execz .LBB38_568
.LBB38_567:
	v_bfe_u32 v14, v11, 16, 3
	v_ffbh_u32_e32 v22, v14
	v_min_u32_e32 v22, 32, v22
	v_lshrrev_b32_e32 v20, 19, v11
	v_subrev_u32_e32 v23, 28, v22
	v_and_b32_e32 v20, 15, v20
	v_lshlrev_b32_sdwa v23, v23, v11 dst_sel:DWORD dst_unused:UNUSED_PAD src0_sel:DWORD src1_sel:WORD_1
	v_bfe_u32 v21, v11, 19, 4
	v_sub_u32_e32 v22, 29, v22
	v_and_b32_e32 v23, 7, v23
	v_cmp_eq_u16_e32 vcc, 0, v20
	v_cndmask_b32_e32 v14, v14, v23, vcc
	v_cndmask_b32_e32 v20, v21, v22, vcc
	v_lshlrev_b32_e32 v21, 8, v11
	v_mov_b32_e32 v22, 0x3b800000
	v_lshlrev_b32_e32 v14, 20, v14
	v_and_b32_e32 v21, 0x80000000, v21
	v_lshl_add_u32 v20, v20, 23, v22
	v_or3_b32 v20, v21, v20, v14
.LBB38_568:
	s_or_b64 exec, exec, s[6:7]
	s_nop 0
	v_mfma_f32_16x16x4f32 a[0:3], v10, v20, a[0:3]
	s_movk_i32 s4, 0x7f
	v_cmp_gt_i16_sdwa s[6:7], v15, s4 src0_sel:BYTE_3 src1_sel:DWORD
	s_mov_b64 s[4:5], 0
                                        ; implicit-def: $sgpr10
	s_and_saveexec_b64 s[8:9], s[6:7]
	s_xor_b64 s[6:7], exec, s[8:9]
	s_cbranch_execnz .LBB38_2617
; %bb.569:
	s_or_saveexec_b64 s[6:7], s[6:7]
	v_mov_b32_e32 v10, s10
	s_xor_b64 exec, exec, s[6:7]
	s_cbranch_execnz .LBB38_2620
.LBB38_570:
	s_or_b64 exec, exec, s[6:7]
	s_and_saveexec_b64 s[6:7], s[4:5]
	s_cbranch_execz .LBB38_572
.LBB38_571:
	v_bfe_u32 v10, v15, 24, 3
	v_ffbh_u32_e32 v22, v10
	v_min_u32_e32 v22, 32, v22
	v_lshrrev_b32_e32 v20, 27, v15
	v_subrev_u32_e32 v23, 28, v22
	v_and_b32_e32 v14, 0x80000000, v15
	v_and_b32_e32 v20, 15, v20
	v_bfe_u32 v21, v15, 27, 4
	v_lshlrev_b32_sdwa v15, v23, v15 dst_sel:DWORD dst_unused:UNUSED_PAD src0_sel:DWORD src1_sel:BYTE_3
	v_sub_u32_e32 v22, 29, v22
	v_and_b32_e32 v15, 7, v15
	v_cmp_eq_u16_e32 vcc, 0, v20
	v_cndmask_b32_e32 v10, v10, v15, vcc
	v_cndmask_b32_e32 v15, v21, v22, vcc
	v_mov_b32_e32 v20, 0x3b800000
	v_lshlrev_b32_e32 v10, 20, v10
	v_lshl_add_u32 v15, v15, 23, v20
	v_or3_b32 v10, v14, v15, v10
.LBB38_572:
	s_or_b64 exec, exec, s[6:7]
	s_movk_i32 s4, 0x7f
	v_cmp_gt_i16_sdwa s[6:7], v11, s4 src0_sel:BYTE_3 src1_sel:DWORD
	s_mov_b64 s[4:5], 0
                                        ; implicit-def: $sgpr10
	s_and_saveexec_b64 s[8:9], s[6:7]
	s_xor_b64 s[6:7], exec, s[8:9]
	s_cbranch_execnz .LBB38_2621
; %bb.573:
	s_or_saveexec_b64 s[6:7], s[6:7]
	v_mov_b32_e32 v14, s10
	s_xor_b64 exec, exec, s[6:7]
	s_cbranch_execnz .LBB38_2624
.LBB38_574:
	s_or_b64 exec, exec, s[6:7]
	s_and_saveexec_b64 s[6:7], s[4:5]
	s_cbranch_execz .LBB38_576
.LBB38_575:
	v_bfe_u32 v14, v11, 24, 3
	v_ffbh_u32_e32 v22, v14
	v_min_u32_e32 v22, 32, v22
	v_lshrrev_b32_e32 v20, 27, v11
	v_subrev_u32_e32 v23, 28, v22
	v_and_b32_e32 v15, 0x80000000, v11
	v_and_b32_e32 v20, 15, v20
	v_bfe_u32 v21, v11, 27, 4
	v_lshlrev_b32_sdwa v11, v23, v11 dst_sel:DWORD dst_unused:UNUSED_PAD src0_sel:DWORD src1_sel:BYTE_3
	v_sub_u32_e32 v22, 29, v22
	v_and_b32_e32 v11, 7, v11
	v_cmp_eq_u16_e32 vcc, 0, v20
	v_cndmask_b32_e32 v11, v14, v11, vcc
	v_cndmask_b32_e32 v14, v21, v22, vcc
	v_mov_b32_e32 v20, 0x3b800000
	v_lshlrev_b32_e32 v11, 20, v11
	v_lshl_add_u32 v14, v14, 23, v20
	v_or3_b32 v14, v15, v14, v11
.LBB38_576:
	s_or_b64 exec, exec, s[6:7]
	s_nop 0
	v_mfma_f32_16x16x4f32 a[0:3], v10, v14, a[0:3]
	s_movk_i32 s4, 0x7f
	v_cmp_gt_i16_sdwa s[6:7], v16, s4 src0_sel:BYTE_0 src1_sel:DWORD
	s_mov_b64 s[4:5], 0
                                        ; implicit-def: $sgpr10
	s_and_saveexec_b64 s[8:9], s[6:7]
	s_xor_b64 s[6:7], exec, s[8:9]
	s_cbranch_execnz .LBB38_2625
; %bb.577:
	s_or_saveexec_b64 s[6:7], s[6:7]
	v_mov_b32_e32 v10, s10
	s_xor_b64 exec, exec, s[6:7]
	s_cbranch_execnz .LBB38_2628
.LBB38_578:
	s_or_b64 exec, exec, s[6:7]
	s_and_saveexec_b64 s[6:7], s[4:5]
	s_cbranch_execz .LBB38_580
.LBB38_579:
	v_and_b32_e32 v10, 7, v16
	v_ffbh_u32_e32 v14, v10
	v_min_u32_e32 v14, 32, v14
	v_lshrrev_b16_e32 v11, 3, v16
	v_subrev_u32_e32 v15, 28, v14
	v_and_b32_e32 v11, 15, v11
	v_lshlrev_b32_e32 v15, v15, v16
	v_sub_u32_e32 v14, 29, v14
	v_and_b32_e32 v15, 7, v15
	v_cmp_eq_u16_e32 vcc, 0, v11
	v_cndmask_b32_e32 v10, v10, v15, vcc
	v_cndmask_b32_e32 v11, v11, v14, vcc
	v_lshlrev_b32_e32 v14, 24, v16
	v_mov_b32_e32 v15, 0x3b800000
	v_lshlrev_b32_e32 v10, 20, v10
	v_and_b32_e32 v14, 0x80000000, v14
	v_lshl_add_u32 v11, v11, 23, v15
	v_or3_b32 v10, v14, v11, v10
.LBB38_580:
	s_or_b64 exec, exec, s[6:7]
	s_movk_i32 s4, 0x7f
	v_cmp_gt_i16_sdwa s[6:7], v12, s4 src0_sel:BYTE_0 src1_sel:DWORD
	s_mov_b64 s[4:5], 0
                                        ; implicit-def: $sgpr10
	s_and_saveexec_b64 s[8:9], s[6:7]
	s_xor_b64 s[6:7], exec, s[8:9]
	s_cbranch_execnz .LBB38_2629
; %bb.581:
	s_or_saveexec_b64 s[6:7], s[6:7]
	v_mov_b32_e32 v11, s10
	s_xor_b64 exec, exec, s[6:7]
	s_cbranch_execnz .LBB38_2632
.LBB38_582:
	s_or_b64 exec, exec, s[6:7]
	s_and_saveexec_b64 s[6:7], s[4:5]
	s_cbranch_execz .LBB38_584
.LBB38_583:
	v_and_b32_e32 v11, 7, v12
	v_ffbh_u32_e32 v15, v11
	v_min_u32_e32 v15, 32, v15
	v_lshrrev_b16_e32 v14, 3, v12
	v_subrev_u32_e32 v20, 28, v15
	v_and_b32_e32 v14, 15, v14
	v_lshlrev_b32_e32 v20, v20, v12
	v_sub_u32_e32 v15, 29, v15
	v_and_b32_e32 v20, 7, v20
	v_cmp_eq_u16_e32 vcc, 0, v14
	v_cndmask_b32_e32 v11, v11, v20, vcc
	v_cndmask_b32_e32 v14, v14, v15, vcc
	v_lshlrev_b32_e32 v15, 24, v12
	v_mov_b32_e32 v20, 0x3b800000
	v_lshlrev_b32_e32 v11, 20, v11
	v_and_b32_e32 v15, 0x80000000, v15
	v_lshl_add_u32 v14, v14, 23, v20
	v_or3_b32 v11, v15, v14, v11
.LBB38_584:
	s_or_b64 exec, exec, s[6:7]
	s_nop 0
	v_mfma_f32_16x16x4f32 a[0:3], v10, v11, a[0:3]
	v_lshrrev_b32_e32 v11, 8, v16
	s_movk_i32 s4, 0x7f
	v_cmp_gt_i16_sdwa s[6:7], v11, s4 src0_sel:BYTE_0 src1_sel:DWORD
	s_mov_b64 s[4:5], 0
                                        ; implicit-def: $sgpr10
	s_and_saveexec_b64 s[8:9], s[6:7]
	s_xor_b64 s[6:7], exec, s[8:9]
	s_cbranch_execnz .LBB38_2633
; %bb.585:
	s_or_saveexec_b64 s[6:7], s[6:7]
	v_mov_b32_e32 v10, s10
	s_xor_b64 exec, exec, s[6:7]
	s_cbranch_execnz .LBB38_2636
.LBB38_586:
	s_or_b64 exec, exec, s[6:7]
	s_and_saveexec_b64 s[6:7], s[4:5]
	s_cbranch_execz .LBB38_588
.LBB38_587:
	v_bfe_u32 v10, v16, 8, 3
	v_ffbh_u32_e32 v15, v10
	v_min_u32_e32 v15, 32, v15
	v_lshrrev_b16_e32 v14, 3, v11
	v_subrev_u32_e32 v20, 28, v15
	v_and_b32_e32 v14, 15, v14
	v_lshlrev_b32_e32 v11, v20, v11
	v_sub_u32_e32 v15, 29, v15
	v_and_b32_e32 v11, 7, v11
	v_cmp_eq_u16_e32 vcc, 0, v14
	v_cndmask_b32_e32 v10, v10, v11, vcc
	v_cndmask_b32_e32 v11, v14, v15, vcc
	v_lshlrev_b32_e32 v14, 16, v16
	v_mov_b32_e32 v15, 0x3b800000
	v_lshlrev_b32_e32 v10, 20, v10
	v_and_b32_e32 v14, 0x80000000, v14
	v_lshl_add_u32 v11, v11, 23, v15
	v_or3_b32 v10, v14, v11, v10
.LBB38_588:
	s_or_b64 exec, exec, s[6:7]
	v_lshrrev_b32_e32 v11, 8, v12
	s_movk_i32 s4, 0x7f
	v_cmp_gt_i16_sdwa s[6:7], v11, s4 src0_sel:BYTE_0 src1_sel:DWORD
	s_mov_b64 s[4:5], 0
                                        ; implicit-def: $sgpr10
	s_and_saveexec_b64 s[8:9], s[6:7]
	s_xor_b64 s[6:7], exec, s[8:9]
	s_cbranch_execnz .LBB38_2637
; %bb.589:
	s_or_saveexec_b64 s[6:7], s[6:7]
	v_mov_b32_e32 v14, s10
	s_xor_b64 exec, exec, s[6:7]
	s_cbranch_execnz .LBB38_2640
.LBB38_590:
	s_or_b64 exec, exec, s[6:7]
	s_and_saveexec_b64 s[6:7], s[4:5]
	s_cbranch_execz .LBB38_592
.LBB38_591:
	v_bfe_u32 v14, v12, 8, 3
	v_ffbh_u32_e32 v20, v14
	v_min_u32_e32 v20, 32, v20
	v_lshrrev_b16_e32 v15, 3, v11
	v_subrev_u32_e32 v21, 28, v20
	v_and_b32_e32 v15, 15, v15
	v_lshlrev_b32_e32 v11, v21, v11
	v_sub_u32_e32 v20, 29, v20
	v_and_b32_e32 v11, 7, v11
	v_cmp_eq_u16_e32 vcc, 0, v15
	v_cndmask_b32_e32 v11, v14, v11, vcc
	v_cndmask_b32_e32 v14, v15, v20, vcc
	v_lshlrev_b32_e32 v15, 16, v12
	v_mov_b32_e32 v20, 0x3b800000
	v_lshlrev_b32_e32 v11, 20, v11
	v_and_b32_e32 v15, 0x80000000, v15
	v_lshl_add_u32 v14, v14, 23, v20
	v_or3_b32 v14, v15, v14, v11
.LBB38_592:
	s_or_b64 exec, exec, s[6:7]
	s_nop 0
	v_mfma_f32_16x16x4f32 a[0:3], v10, v14, a[0:3]
	s_movk_i32 s4, 0xff
	v_and_b32_sdwa v11, v16, s4 dst_sel:DWORD dst_unused:UNUSED_PAD src0_sel:WORD_1 src1_sel:DWORD
	s_movk_i32 s4, 0x7f
	v_cmp_lt_i16_e32 vcc, s4, v11
	s_mov_b64 s[4:5], 0
                                        ; implicit-def: $sgpr10
	s_and_saveexec_b64 s[6:7], vcc
	s_xor_b64 s[6:7], exec, s[6:7]
	s_cbranch_execnz .LBB38_2641
; %bb.593:
	s_or_saveexec_b64 s[6:7], s[6:7]
	v_mov_b32_e32 v10, s10
	s_xor_b64 exec, exec, s[6:7]
	s_cbranch_execnz .LBB38_2644
.LBB38_594:
	s_or_b64 exec, exec, s[6:7]
	s_and_saveexec_b64 s[6:7], s[4:5]
	s_cbranch_execz .LBB38_596
.LBB38_595:
	v_bfe_u32 v10, v16, 16, 3
	v_ffbh_u32_e32 v15, v10
	v_min_u32_e32 v15, 32, v15
	v_lshrrev_b32_e32 v11, 19, v16
	v_subrev_u32_e32 v20, 28, v15
	v_and_b32_e32 v11, 15, v11
	v_lshlrev_b32_sdwa v20, v20, v16 dst_sel:DWORD dst_unused:UNUSED_PAD src0_sel:DWORD src1_sel:WORD_1
	v_bfe_u32 v14, v16, 19, 4
	v_sub_u32_e32 v15, 29, v15
	v_and_b32_e32 v20, 7, v20
	v_cmp_eq_u16_e32 vcc, 0, v11
	v_cndmask_b32_e32 v10, v10, v20, vcc
	v_cndmask_b32_e32 v11, v14, v15, vcc
	v_lshlrev_b32_e32 v14, 8, v16
	v_mov_b32_e32 v15, 0x3b800000
	v_lshlrev_b32_e32 v10, 20, v10
	v_and_b32_e32 v14, 0x80000000, v14
	v_lshl_add_u32 v11, v11, 23, v15
	v_or3_b32 v10, v14, v11, v10
.LBB38_596:
	s_or_b64 exec, exec, s[6:7]
	s_movk_i32 s4, 0xff
	v_and_b32_sdwa v11, v12, s4 dst_sel:DWORD dst_unused:UNUSED_PAD src0_sel:WORD_1 src1_sel:DWORD
	s_movk_i32 s4, 0x7f
	v_cmp_lt_i16_e32 vcc, s4, v11
	s_mov_b64 s[4:5], 0
                                        ; implicit-def: $sgpr10
	s_and_saveexec_b64 s[6:7], vcc
	s_xor_b64 s[6:7], exec, s[6:7]
	s_cbranch_execnz .LBB38_2645
; %bb.597:
	s_or_saveexec_b64 s[6:7], s[6:7]
	v_mov_b32_e32 v14, s10
	s_xor_b64 exec, exec, s[6:7]
	s_cbranch_execnz .LBB38_2648
.LBB38_598:
	s_or_b64 exec, exec, s[6:7]
	s_and_saveexec_b64 s[6:7], s[4:5]
	s_cbranch_execz .LBB38_600
.LBB38_599:
	v_bfe_u32 v11, v12, 16, 3
	v_ffbh_u32_e32 v20, v11
	v_min_u32_e32 v20, 32, v20
	v_lshrrev_b32_e32 v14, 19, v12
	v_subrev_u32_e32 v21, 28, v20
	v_and_b32_e32 v14, 15, v14
	v_lshlrev_b32_sdwa v21, v21, v12 dst_sel:DWORD dst_unused:UNUSED_PAD src0_sel:DWORD src1_sel:WORD_1
	v_bfe_u32 v15, v12, 19, 4
	v_sub_u32_e32 v20, 29, v20
	v_and_b32_e32 v21, 7, v21
	v_cmp_eq_u16_e32 vcc, 0, v14
	v_cndmask_b32_e32 v11, v11, v21, vcc
	v_cndmask_b32_e32 v14, v15, v20, vcc
	v_lshlrev_b32_e32 v15, 8, v12
	v_mov_b32_e32 v20, 0x3b800000
	v_lshlrev_b32_e32 v11, 20, v11
	v_and_b32_e32 v15, 0x80000000, v15
	v_lshl_add_u32 v14, v14, 23, v20
	v_or3_b32 v14, v15, v14, v11
.LBB38_600:
	s_or_b64 exec, exec, s[6:7]
	s_nop 0
	v_mfma_f32_16x16x4f32 a[0:3], v10, v14, a[0:3]
	s_movk_i32 s4, 0x7f
	v_cmp_gt_i16_sdwa s[6:7], v16, s4 src0_sel:BYTE_3 src1_sel:DWORD
	s_mov_b64 s[4:5], 0
                                        ; implicit-def: $sgpr10
	s_and_saveexec_b64 s[8:9], s[6:7]
	s_xor_b64 s[6:7], exec, s[8:9]
	s_cbranch_execnz .LBB38_2649
; %bb.601:
	s_or_saveexec_b64 s[6:7], s[6:7]
	v_mov_b32_e32 v10, s10
	s_xor_b64 exec, exec, s[6:7]
	s_cbranch_execnz .LBB38_2652
.LBB38_602:
	s_or_b64 exec, exec, s[6:7]
	s_and_saveexec_b64 s[6:7], s[4:5]
	s_cbranch_execz .LBB38_604
.LBB38_603:
	v_bfe_u32 v10, v16, 24, 3
	v_ffbh_u32_e32 v20, v10
	v_min_u32_e32 v20, 32, v20
	v_lshrrev_b32_e32 v14, 27, v16
	v_subrev_u32_e32 v21, 28, v20
	v_and_b32_e32 v11, 0x80000000, v16
	v_and_b32_e32 v14, 15, v14
	v_bfe_u32 v15, v16, 27, 4
	v_lshlrev_b32_sdwa v16, v21, v16 dst_sel:DWORD dst_unused:UNUSED_PAD src0_sel:DWORD src1_sel:BYTE_3
	v_sub_u32_e32 v20, 29, v20
	v_and_b32_e32 v16, 7, v16
	v_cmp_eq_u16_e32 vcc, 0, v14
	v_cndmask_b32_e32 v10, v10, v16, vcc
	v_cndmask_b32_e32 v14, v15, v20, vcc
	v_mov_b32_e32 v15, 0x3b800000
	v_lshlrev_b32_e32 v10, 20, v10
	v_lshl_add_u32 v14, v14, 23, v15
	v_or3_b32 v10, v11, v14, v10
.LBB38_604:
	s_or_b64 exec, exec, s[6:7]
	s_movk_i32 s4, 0x7f
	v_cmp_gt_i16_sdwa s[6:7], v12, s4 src0_sel:BYTE_3 src1_sel:DWORD
	s_mov_b64 s[4:5], 0
                                        ; implicit-def: $sgpr10
	s_and_saveexec_b64 s[8:9], s[6:7]
	s_xor_b64 s[6:7], exec, s[8:9]
	s_cbranch_execnz .LBB38_2653
; %bb.605:
	s_or_saveexec_b64 s[6:7], s[6:7]
	v_mov_b32_e32 v11, s10
	s_xor_b64 exec, exec, s[6:7]
	s_cbranch_execnz .LBB38_2656
.LBB38_606:
	s_or_b64 exec, exec, s[6:7]
	s_and_saveexec_b64 s[6:7], s[4:5]
	s_cbranch_execz .LBB38_608
.LBB38_607:
	v_bfe_u32 v11, v12, 24, 3
	v_ffbh_u32_e32 v20, v11
	v_min_u32_e32 v20, 32, v20
	v_lshrrev_b32_e32 v15, 27, v12
	v_subrev_u32_e32 v21, 28, v20
	v_and_b32_e32 v14, 0x80000000, v12
	v_and_b32_e32 v15, 15, v15
	v_bfe_u32 v16, v12, 27, 4
	v_lshlrev_b32_sdwa v12, v21, v12 dst_sel:DWORD dst_unused:UNUSED_PAD src0_sel:DWORD src1_sel:BYTE_3
	v_sub_u32_e32 v20, 29, v20
	v_and_b32_e32 v12, 7, v12
	v_cmp_eq_u16_e32 vcc, 0, v15
	v_cndmask_b32_e32 v11, v11, v12, vcc
	v_cndmask_b32_e32 v12, v16, v20, vcc
	v_mov_b32_e32 v15, 0x3b800000
	v_lshlrev_b32_e32 v11, 20, v11
	v_lshl_add_u32 v12, v12, 23, v15
	v_or3_b32 v11, v14, v12, v11
.LBB38_608:
	s_or_b64 exec, exec, s[6:7]
	s_nop 0
	v_mfma_f32_16x16x4f32 a[0:3], v10, v11, a[0:3]
	s_movk_i32 s4, 0x7f
	v_cmp_gt_i16_sdwa s[6:7], v17, s4 src0_sel:BYTE_0 src1_sel:DWORD
	s_mov_b64 s[4:5], 0
                                        ; implicit-def: $sgpr10
	s_and_saveexec_b64 s[8:9], s[6:7]
	s_xor_b64 s[6:7], exec, s[8:9]
	s_cbranch_execnz .LBB38_2657
; %bb.609:
	s_or_saveexec_b64 s[6:7], s[6:7]
	v_mov_b32_e32 v10, s10
	s_xor_b64 exec, exec, s[6:7]
	s_cbranch_execnz .LBB38_2660
.LBB38_610:
	s_or_b64 exec, exec, s[6:7]
	s_and_saveexec_b64 s[6:7], s[4:5]
	s_cbranch_execz .LBB38_612
.LBB38_611:
	v_and_b32_e32 v10, 7, v17
	v_ffbh_u32_e32 v12, v10
	v_min_u32_e32 v12, 32, v12
	v_lshrrev_b16_e32 v11, 3, v17
	v_subrev_u32_e32 v14, 28, v12
	v_and_b32_e32 v11, 15, v11
	v_lshlrev_b32_e32 v14, v14, v17
	v_sub_u32_e32 v12, 29, v12
	v_and_b32_e32 v14, 7, v14
	v_cmp_eq_u16_e32 vcc, 0, v11
	v_cndmask_b32_e32 v10, v10, v14, vcc
	v_cndmask_b32_e32 v11, v11, v12, vcc
	v_lshlrev_b32_e32 v12, 24, v17
	v_mov_b32_e32 v14, 0x3b800000
	v_lshlrev_b32_e32 v10, 20, v10
	v_and_b32_e32 v12, 0x80000000, v12
	v_lshl_add_u32 v11, v11, 23, v14
	v_or3_b32 v10, v12, v11, v10
.LBB38_612:
	s_or_b64 exec, exec, s[6:7]
	s_movk_i32 s4, 0x7f
	v_cmp_gt_i16_sdwa s[6:7], v13, s4 src0_sel:BYTE_0 src1_sel:DWORD
	s_mov_b64 s[4:5], 0
                                        ; implicit-def: $sgpr10
	s_and_saveexec_b64 s[8:9], s[6:7]
	s_xor_b64 s[6:7], exec, s[8:9]
	s_cbranch_execnz .LBB38_2661
; %bb.613:
	s_or_saveexec_b64 s[6:7], s[6:7]
	v_mov_b32_e32 v11, s10
	s_xor_b64 exec, exec, s[6:7]
	s_cbranch_execnz .LBB38_2664
.LBB38_614:
	s_or_b64 exec, exec, s[6:7]
	s_and_saveexec_b64 s[6:7], s[4:5]
	s_cbranch_execz .LBB38_616
.LBB38_615:
	v_and_b32_e32 v11, 7, v13
	v_ffbh_u32_e32 v14, v11
	v_min_u32_e32 v14, 32, v14
	v_lshrrev_b16_e32 v12, 3, v13
	v_subrev_u32_e32 v15, 28, v14
	v_and_b32_e32 v12, 15, v12
	v_lshlrev_b32_e32 v15, v15, v13
	v_sub_u32_e32 v14, 29, v14
	v_and_b32_e32 v15, 7, v15
	v_cmp_eq_u16_e32 vcc, 0, v12
	v_cndmask_b32_e32 v11, v11, v15, vcc
	v_cndmask_b32_e32 v12, v12, v14, vcc
	v_lshlrev_b32_e32 v14, 24, v13
	v_mov_b32_e32 v15, 0x3b800000
	v_lshlrev_b32_e32 v11, 20, v11
	v_and_b32_e32 v14, 0x80000000, v14
	v_lshl_add_u32 v12, v12, 23, v15
	v_or3_b32 v11, v14, v12, v11
.LBB38_616:
	s_or_b64 exec, exec, s[6:7]
	s_nop 0
	v_mfma_f32_16x16x4f32 a[0:3], v10, v11, a[0:3]
	v_lshrrev_b32_e32 v11, 8, v17
	s_movk_i32 s4, 0x7f
	v_cmp_gt_i16_sdwa s[6:7], v11, s4 src0_sel:BYTE_0 src1_sel:DWORD
	s_mov_b64 s[4:5], 0
                                        ; implicit-def: $sgpr10
	s_and_saveexec_b64 s[8:9], s[6:7]
	s_xor_b64 s[6:7], exec, s[8:9]
	s_cbranch_execnz .LBB38_2665
; %bb.617:
	s_or_saveexec_b64 s[6:7], s[6:7]
	v_mov_b32_e32 v10, s10
	s_xor_b64 exec, exec, s[6:7]
	s_cbranch_execnz .LBB38_2668
.LBB38_618:
	s_or_b64 exec, exec, s[6:7]
	s_and_saveexec_b64 s[6:7], s[4:5]
	s_cbranch_execz .LBB38_620
.LBB38_619:
	v_bfe_u32 v10, v17, 8, 3
	v_ffbh_u32_e32 v14, v10
	v_min_u32_e32 v14, 32, v14
	v_lshrrev_b16_e32 v12, 3, v11
	v_subrev_u32_e32 v15, 28, v14
	v_and_b32_e32 v12, 15, v12
	v_lshlrev_b32_e32 v11, v15, v11
	v_sub_u32_e32 v14, 29, v14
	v_and_b32_e32 v11, 7, v11
	v_cmp_eq_u16_e32 vcc, 0, v12
	v_cndmask_b32_e32 v10, v10, v11, vcc
	v_cndmask_b32_e32 v11, v12, v14, vcc
	v_lshlrev_b32_e32 v12, 16, v17
	v_mov_b32_e32 v14, 0x3b800000
	v_lshlrev_b32_e32 v10, 20, v10
	v_and_b32_e32 v12, 0x80000000, v12
	v_lshl_add_u32 v11, v11, 23, v14
	v_or3_b32 v10, v12, v11, v10
.LBB38_620:
	s_or_b64 exec, exec, s[6:7]
	v_lshrrev_b32_e32 v11, 8, v13
	s_movk_i32 s4, 0x7f
	v_cmp_gt_i16_sdwa s[6:7], v11, s4 src0_sel:BYTE_0 src1_sel:DWORD
	s_mov_b64 s[4:5], 0
                                        ; implicit-def: $sgpr10
	s_and_saveexec_b64 s[8:9], s[6:7]
	s_xor_b64 s[6:7], exec, s[8:9]
	s_cbranch_execnz .LBB38_2669
; %bb.621:
	s_or_saveexec_b64 s[6:7], s[6:7]
	v_mov_b32_e32 v12, s10
	s_xor_b64 exec, exec, s[6:7]
	s_cbranch_execnz .LBB38_2672
.LBB38_622:
	s_or_b64 exec, exec, s[6:7]
	s_and_saveexec_b64 s[6:7], s[4:5]
	s_cbranch_execz .LBB38_624
.LBB38_623:
	v_bfe_u32 v12, v13, 8, 3
	v_ffbh_u32_e32 v15, v12
	v_min_u32_e32 v15, 32, v15
	v_lshrrev_b16_e32 v14, 3, v11
	v_subrev_u32_e32 v16, 28, v15
	v_and_b32_e32 v14, 15, v14
	v_lshlrev_b32_e32 v11, v16, v11
	v_sub_u32_e32 v15, 29, v15
	v_and_b32_e32 v11, 7, v11
	v_cmp_eq_u16_e32 vcc, 0, v14
	v_cndmask_b32_e32 v11, v12, v11, vcc
	v_cndmask_b32_e32 v12, v14, v15, vcc
	v_lshlrev_b32_e32 v14, 16, v13
	v_mov_b32_e32 v15, 0x3b800000
	v_lshlrev_b32_e32 v11, 20, v11
	v_and_b32_e32 v14, 0x80000000, v14
	v_lshl_add_u32 v12, v12, 23, v15
	v_or3_b32 v12, v14, v12, v11
.LBB38_624:
	s_or_b64 exec, exec, s[6:7]
	s_nop 0
	v_mfma_f32_16x16x4f32 a[0:3], v10, v12, a[0:3]
	s_movk_i32 s4, 0xff
	v_and_b32_sdwa v11, v17, s4 dst_sel:DWORD dst_unused:UNUSED_PAD src0_sel:WORD_1 src1_sel:DWORD
	s_movk_i32 s4, 0x7f
	v_cmp_lt_i16_e32 vcc, s4, v11
	s_mov_b64 s[4:5], 0
                                        ; implicit-def: $sgpr10
	s_and_saveexec_b64 s[6:7], vcc
	s_xor_b64 s[6:7], exec, s[6:7]
	s_cbranch_execnz .LBB38_2673
; %bb.625:
	s_or_saveexec_b64 s[6:7], s[6:7]
	v_mov_b32_e32 v10, s10
	s_xor_b64 exec, exec, s[6:7]
	s_cbranch_execnz .LBB38_2676
.LBB38_626:
	s_or_b64 exec, exec, s[6:7]
	s_and_saveexec_b64 s[6:7], s[4:5]
	s_cbranch_execz .LBB38_628
.LBB38_627:
	v_bfe_u32 v10, v17, 16, 3
	v_ffbh_u32_e32 v14, v10
	v_min_u32_e32 v14, 32, v14
	v_lshrrev_b32_e32 v11, 19, v17
	v_subrev_u32_e32 v15, 28, v14
	v_and_b32_e32 v11, 15, v11
	v_lshlrev_b32_sdwa v15, v15, v17 dst_sel:DWORD dst_unused:UNUSED_PAD src0_sel:DWORD src1_sel:WORD_1
	v_bfe_u32 v12, v17, 19, 4
	v_sub_u32_e32 v14, 29, v14
	v_and_b32_e32 v15, 7, v15
	v_cmp_eq_u16_e32 vcc, 0, v11
	v_cndmask_b32_e32 v10, v10, v15, vcc
	v_cndmask_b32_e32 v11, v12, v14, vcc
	v_lshlrev_b32_e32 v12, 8, v17
	v_mov_b32_e32 v14, 0x3b800000
	v_lshlrev_b32_e32 v10, 20, v10
	v_and_b32_e32 v12, 0x80000000, v12
	v_lshl_add_u32 v11, v11, 23, v14
	v_or3_b32 v10, v12, v11, v10
.LBB38_628:
	s_or_b64 exec, exec, s[6:7]
	s_movk_i32 s4, 0xff
	v_and_b32_sdwa v11, v13, s4 dst_sel:DWORD dst_unused:UNUSED_PAD src0_sel:WORD_1 src1_sel:DWORD
	s_movk_i32 s4, 0x7f
	v_cmp_lt_i16_e32 vcc, s4, v11
	s_mov_b64 s[4:5], 0
                                        ; implicit-def: $sgpr10
	s_and_saveexec_b64 s[6:7], vcc
	s_xor_b64 s[6:7], exec, s[6:7]
	s_cbranch_execnz .LBB38_2677
; %bb.629:
	s_or_saveexec_b64 s[6:7], s[6:7]
	v_mov_b32_e32 v12, s10
	s_xor_b64 exec, exec, s[6:7]
	s_cbranch_execnz .LBB38_2680
.LBB38_630:
	s_or_b64 exec, exec, s[6:7]
	s_and_saveexec_b64 s[6:7], s[4:5]
	s_cbranch_execz .LBB38_632
.LBB38_631:
	v_bfe_u32 v11, v13, 16, 3
	v_ffbh_u32_e32 v15, v11
	v_min_u32_e32 v15, 32, v15
	v_lshrrev_b32_e32 v12, 19, v13
	v_subrev_u32_e32 v16, 28, v15
	v_and_b32_e32 v12, 15, v12
	v_lshlrev_b32_sdwa v16, v16, v13 dst_sel:DWORD dst_unused:UNUSED_PAD src0_sel:DWORD src1_sel:WORD_1
	v_bfe_u32 v14, v13, 19, 4
	v_sub_u32_e32 v15, 29, v15
	v_and_b32_e32 v16, 7, v16
	v_cmp_eq_u16_e32 vcc, 0, v12
	v_cndmask_b32_e32 v11, v11, v16, vcc
	v_cndmask_b32_e32 v12, v14, v15, vcc
	v_lshlrev_b32_e32 v14, 8, v13
	v_mov_b32_e32 v15, 0x3b800000
	v_lshlrev_b32_e32 v11, 20, v11
	v_and_b32_e32 v14, 0x80000000, v14
	v_lshl_add_u32 v12, v12, 23, v15
	v_or3_b32 v12, v14, v12, v11
.LBB38_632:
	s_or_b64 exec, exec, s[6:7]
	s_nop 0
	v_mfma_f32_16x16x4f32 a[0:3], v10, v12, a[0:3]
	s_movk_i32 s4, 0x7f
	v_cmp_gt_i16_sdwa s[6:7], v17, s4 src0_sel:BYTE_3 src1_sel:DWORD
	s_mov_b64 s[4:5], 0
                                        ; implicit-def: $sgpr10
	s_and_saveexec_b64 s[8:9], s[6:7]
	s_xor_b64 s[6:7], exec, s[8:9]
	s_cbranch_execnz .LBB38_2681
; %bb.633:
	s_or_saveexec_b64 s[6:7], s[6:7]
	v_mov_b32_e32 v10, s10
	s_xor_b64 exec, exec, s[6:7]
	s_cbranch_execnz .LBB38_2684
.LBB38_634:
	s_or_b64 exec, exec, s[6:7]
	s_and_saveexec_b64 s[6:7], s[4:5]
	s_cbranch_execz .LBB38_636
.LBB38_635:
	v_bfe_u32 v10, v17, 24, 3
	v_ffbh_u32_e32 v15, v10
	v_min_u32_e32 v15, 32, v15
	v_lshrrev_b32_e32 v12, 27, v17
	v_subrev_u32_e32 v16, 28, v15
	v_and_b32_e32 v12, 15, v12
	v_lshlrev_b32_sdwa v16, v16, v17 dst_sel:DWORD dst_unused:UNUSED_PAD src0_sel:DWORD src1_sel:BYTE_3
	v_bfe_u32 v14, v17, 27, 4
	v_sub_u32_e32 v15, 29, v15
	v_and_b32_e32 v16, 7, v16
	v_cmp_eq_u16_e32 vcc, 0, v12
	v_cndmask_b32_e32 v10, v10, v16, vcc
	v_cndmask_b32_e32 v12, v14, v15, vcc
	v_mov_b32_e32 v14, 0x3b800000
	v_and_b32_e32 v11, 0x80000000, v17
	v_lshlrev_b32_e32 v10, 20, v10
	v_lshl_add_u32 v12, v12, 23, v14
	v_or3_b32 v10, v11, v12, v10
.LBB38_636:
	s_or_b64 exec, exec, s[6:7]
	s_movk_i32 s4, 0x7f
	v_cmp_gt_i16_sdwa s[6:7], v13, s4 src0_sel:BYTE_3 src1_sel:DWORD
	s_mov_b64 s[4:5], 0
                                        ; implicit-def: $sgpr10
	s_and_saveexec_b64 s[8:9], s[6:7]
	s_xor_b64 s[6:7], exec, s[8:9]
	s_cbranch_execnz .LBB38_2685
; %bb.637:
	s_or_saveexec_b64 s[6:7], s[6:7]
	v_mov_b32_e32 v11, s10
	s_xor_b64 exec, exec, s[6:7]
	s_cbranch_execnz .LBB38_2688
.LBB38_638:
	s_or_b64 exec, exec, s[6:7]
	s_and_saveexec_b64 s[6:7], s[4:5]
	s_cbranch_execz .LBB38_640
.LBB38_639:
	v_bfe_u32 v11, v13, 24, 3
	v_ffbh_u32_e32 v16, v11
	v_min_u32_e32 v16, 32, v16
	v_lshrrev_b32_e32 v14, 27, v13
	v_subrev_u32_e32 v17, 28, v16
	v_and_b32_e32 v12, 0x80000000, v13
	v_and_b32_e32 v14, 15, v14
	v_bfe_u32 v15, v13, 27, 4
	v_lshlrev_b32_sdwa v13, v17, v13 dst_sel:DWORD dst_unused:UNUSED_PAD src0_sel:DWORD src1_sel:BYTE_3
	v_sub_u32_e32 v16, 29, v16
	v_and_b32_e32 v13, 7, v13
	v_cmp_eq_u16_e32 vcc, 0, v14
	v_cndmask_b32_e32 v11, v11, v13, vcc
	v_cndmask_b32_e32 v13, v15, v16, vcc
	v_mov_b32_e32 v14, 0x3b800000
	v_lshlrev_b32_e32 v11, 20, v11
	v_lshl_add_u32 v13, v13, 23, v14
	v_or3_b32 v11, v12, v13, v11
.LBB38_640:
	s_or_b64 exec, exec, s[6:7]
	s_nop 0
	v_mfma_f32_16x16x4f32 a[0:3], v10, v11, a[0:3]
	s_movk_i32 s4, 0x7f
	v_cmp_gt_i16_sdwa s[6:7], v6, s4 src0_sel:BYTE_0 src1_sel:DWORD
	s_mov_b64 s[4:5], 0
                                        ; implicit-def: $sgpr10
	s_and_saveexec_b64 s[8:9], s[6:7]
	s_xor_b64 s[6:7], exec, s[8:9]
	s_cbranch_execnz .LBB38_2689
; %bb.641:
	s_or_saveexec_b64 s[6:7], s[6:7]
	v_mov_b32_e32 v10, s10
	s_xor_b64 exec, exec, s[6:7]
	s_cbranch_execnz .LBB38_2692
.LBB38_642:
	s_or_b64 exec, exec, s[6:7]
	s_and_saveexec_b64 s[6:7], s[4:5]
	s_cbranch_execz .LBB38_644
.LBB38_643:
	v_and_b32_e32 v10, 7, v6
	v_ffbh_u32_e32 v12, v10
	v_min_u32_e32 v12, 32, v12
	v_lshrrev_b16_e32 v11, 3, v6
	v_subrev_u32_e32 v13, 28, v12
	v_and_b32_e32 v11, 15, v11
	v_lshlrev_b32_e32 v13, v13, v6
	v_sub_u32_e32 v12, 29, v12
	v_and_b32_e32 v13, 7, v13
	v_cmp_eq_u16_e32 vcc, 0, v11
	v_cndmask_b32_e32 v10, v10, v13, vcc
	v_cndmask_b32_e32 v11, v11, v12, vcc
	v_lshlrev_b32_e32 v12, 24, v6
	v_mov_b32_e32 v13, 0x3b800000
	v_lshlrev_b32_e32 v10, 20, v10
	v_and_b32_e32 v12, 0x80000000, v12
	v_lshl_add_u32 v11, v11, 23, v13
	v_or3_b32 v10, v12, v11, v10
.LBB38_644:
	s_or_b64 exec, exec, s[6:7]
	s_movk_i32 s4, 0x7f
	v_cmp_gt_i16_sdwa s[6:7], v2, s4 src0_sel:BYTE_0 src1_sel:DWORD
	s_mov_b64 s[4:5], 0
                                        ; implicit-def: $sgpr10
	s_and_saveexec_b64 s[8:9], s[6:7]
	s_xor_b64 s[6:7], exec, s[8:9]
	s_cbranch_execnz .LBB38_2693
; %bb.645:
	s_or_saveexec_b64 s[6:7], s[6:7]
	v_mov_b32_e32 v11, s10
	s_xor_b64 exec, exec, s[6:7]
	s_cbranch_execnz .LBB38_2696
.LBB38_646:
	s_or_b64 exec, exec, s[6:7]
	s_and_saveexec_b64 s[6:7], s[4:5]
	s_cbranch_execz .LBB38_648
.LBB38_647:
	v_and_b32_e32 v11, 7, v2
	v_ffbh_u32_e32 v13, v11
	v_min_u32_e32 v13, 32, v13
	v_lshrrev_b16_e32 v12, 3, v2
	v_subrev_u32_e32 v14, 28, v13
	v_and_b32_e32 v12, 15, v12
	v_lshlrev_b32_e32 v14, v14, v2
	v_sub_u32_e32 v13, 29, v13
	v_and_b32_e32 v14, 7, v14
	v_cmp_eq_u16_e32 vcc, 0, v12
	v_cndmask_b32_e32 v11, v11, v14, vcc
	v_cndmask_b32_e32 v12, v12, v13, vcc
	v_lshlrev_b32_e32 v13, 24, v2
	v_mov_b32_e32 v14, 0x3b800000
	v_lshlrev_b32_e32 v11, 20, v11
	v_and_b32_e32 v13, 0x80000000, v13
	v_lshl_add_u32 v12, v12, 23, v14
	v_or3_b32 v11, v13, v12, v11
.LBB38_648:
	s_or_b64 exec, exec, s[6:7]
	s_nop 0
	v_mfma_f32_16x16x4f32 a[0:3], v10, v11, a[0:3]
	v_lshrrev_b32_e32 v11, 8, v6
	s_movk_i32 s4, 0x7f
	v_cmp_gt_i16_sdwa s[6:7], v11, s4 src0_sel:BYTE_0 src1_sel:DWORD
	s_mov_b64 s[4:5], 0
                                        ; implicit-def: $sgpr10
	s_and_saveexec_b64 s[8:9], s[6:7]
	s_xor_b64 s[6:7], exec, s[8:9]
	s_cbranch_execnz .LBB38_2697
; %bb.649:
	s_or_saveexec_b64 s[6:7], s[6:7]
	v_mov_b32_e32 v10, s10
	s_xor_b64 exec, exec, s[6:7]
	s_cbranch_execnz .LBB38_2700
.LBB38_650:
	s_or_b64 exec, exec, s[6:7]
	s_and_saveexec_b64 s[6:7], s[4:5]
	s_cbranch_execz .LBB38_652
.LBB38_651:
	v_bfe_u32 v10, v6, 8, 3
	v_ffbh_u32_e32 v13, v10
	v_min_u32_e32 v13, 32, v13
	v_lshrrev_b16_e32 v12, 3, v11
	v_subrev_u32_e32 v14, 28, v13
	v_and_b32_e32 v12, 15, v12
	v_lshlrev_b32_e32 v11, v14, v11
	v_sub_u32_e32 v13, 29, v13
	v_and_b32_e32 v11, 7, v11
	v_cmp_eq_u16_e32 vcc, 0, v12
	v_cndmask_b32_e32 v10, v10, v11, vcc
	v_cndmask_b32_e32 v11, v12, v13, vcc
	v_lshlrev_b32_e32 v12, 16, v6
	v_mov_b32_e32 v13, 0x3b800000
	v_lshlrev_b32_e32 v10, 20, v10
	v_and_b32_e32 v12, 0x80000000, v12
	v_lshl_add_u32 v11, v11, 23, v13
	v_or3_b32 v10, v12, v11, v10
.LBB38_652:
	s_or_b64 exec, exec, s[6:7]
	v_lshrrev_b32_e32 v11, 8, v2
	s_movk_i32 s4, 0x7f
	v_cmp_gt_i16_sdwa s[6:7], v11, s4 src0_sel:BYTE_0 src1_sel:DWORD
	s_mov_b64 s[4:5], 0
                                        ; implicit-def: $sgpr10
	s_and_saveexec_b64 s[8:9], s[6:7]
	s_xor_b64 s[6:7], exec, s[8:9]
	s_cbranch_execnz .LBB38_2701
; %bb.653:
	s_or_saveexec_b64 s[6:7], s[6:7]
	v_mov_b32_e32 v12, s10
	s_xor_b64 exec, exec, s[6:7]
	s_cbranch_execnz .LBB38_2704
.LBB38_654:
	s_or_b64 exec, exec, s[6:7]
	s_and_saveexec_b64 s[6:7], s[4:5]
	s_cbranch_execz .LBB38_656
.LBB38_655:
	v_bfe_u32 v12, v2, 8, 3
	v_ffbh_u32_e32 v14, v12
	v_min_u32_e32 v14, 32, v14
	v_lshrrev_b16_e32 v13, 3, v11
	v_subrev_u32_e32 v15, 28, v14
	v_and_b32_e32 v13, 15, v13
	v_lshlrev_b32_e32 v11, v15, v11
	v_sub_u32_e32 v14, 29, v14
	v_and_b32_e32 v11, 7, v11
	v_cmp_eq_u16_e32 vcc, 0, v13
	v_cndmask_b32_e32 v11, v12, v11, vcc
	v_cndmask_b32_e32 v12, v13, v14, vcc
	v_lshlrev_b32_e32 v13, 16, v2
	v_mov_b32_e32 v14, 0x3b800000
	v_lshlrev_b32_e32 v11, 20, v11
	v_and_b32_e32 v13, 0x80000000, v13
	v_lshl_add_u32 v12, v12, 23, v14
	v_or3_b32 v12, v13, v12, v11
.LBB38_656:
	s_or_b64 exec, exec, s[6:7]
	s_nop 0
	v_mfma_f32_16x16x4f32 a[0:3], v10, v12, a[0:3]
	s_movk_i32 s4, 0xff
	v_and_b32_sdwa v11, v6, s4 dst_sel:DWORD dst_unused:UNUSED_PAD src0_sel:WORD_1 src1_sel:DWORD
	s_movk_i32 s4, 0x7f
	v_cmp_lt_i16_e32 vcc, s4, v11
	s_mov_b64 s[4:5], 0
                                        ; implicit-def: $sgpr10
	s_and_saveexec_b64 s[6:7], vcc
	s_xor_b64 s[6:7], exec, s[6:7]
	s_cbranch_execnz .LBB38_2705
; %bb.657:
	s_or_saveexec_b64 s[6:7], s[6:7]
	v_mov_b32_e32 v10, s10
	s_xor_b64 exec, exec, s[6:7]
	s_cbranch_execnz .LBB38_2708
.LBB38_658:
	s_or_b64 exec, exec, s[6:7]
	s_and_saveexec_b64 s[6:7], s[4:5]
	s_cbranch_execz .LBB38_660
.LBB38_659:
	v_bfe_u32 v10, v6, 16, 3
	v_ffbh_u32_e32 v13, v10
	v_min_u32_e32 v13, 32, v13
	v_lshrrev_b32_e32 v11, 19, v6
	v_subrev_u32_e32 v14, 28, v13
	v_and_b32_e32 v11, 15, v11
	v_lshlrev_b32_sdwa v14, v14, v6 dst_sel:DWORD dst_unused:UNUSED_PAD src0_sel:DWORD src1_sel:WORD_1
	v_bfe_u32 v12, v6, 19, 4
	v_sub_u32_e32 v13, 29, v13
	v_and_b32_e32 v14, 7, v14
	v_cmp_eq_u16_e32 vcc, 0, v11
	v_cndmask_b32_e32 v10, v10, v14, vcc
	v_cndmask_b32_e32 v11, v12, v13, vcc
	v_lshlrev_b32_e32 v12, 8, v6
	v_mov_b32_e32 v13, 0x3b800000
	v_lshlrev_b32_e32 v10, 20, v10
	v_and_b32_e32 v12, 0x80000000, v12
	v_lshl_add_u32 v11, v11, 23, v13
	v_or3_b32 v10, v12, v11, v10
.LBB38_660:
	s_or_b64 exec, exec, s[6:7]
	s_movk_i32 s4, 0xff
	v_and_b32_sdwa v11, v2, s4 dst_sel:DWORD dst_unused:UNUSED_PAD src0_sel:WORD_1 src1_sel:DWORD
	s_movk_i32 s4, 0x7f
	v_cmp_lt_i16_e32 vcc, s4, v11
	s_mov_b64 s[4:5], 0
                                        ; implicit-def: $sgpr10
	s_and_saveexec_b64 s[6:7], vcc
	s_xor_b64 s[6:7], exec, s[6:7]
	s_cbranch_execnz .LBB38_2709
; %bb.661:
	s_or_saveexec_b64 s[6:7], s[6:7]
	v_mov_b32_e32 v12, s10
	s_xor_b64 exec, exec, s[6:7]
	s_cbranch_execnz .LBB38_2712
.LBB38_662:
	s_or_b64 exec, exec, s[6:7]
	s_and_saveexec_b64 s[6:7], s[4:5]
	s_cbranch_execz .LBB38_664
.LBB38_663:
	v_bfe_u32 v11, v2, 16, 3
	v_ffbh_u32_e32 v14, v11
	v_min_u32_e32 v14, 32, v14
	v_lshrrev_b32_e32 v12, 19, v2
	v_subrev_u32_e32 v15, 28, v14
	v_and_b32_e32 v12, 15, v12
	v_lshlrev_b32_sdwa v15, v15, v2 dst_sel:DWORD dst_unused:UNUSED_PAD src0_sel:DWORD src1_sel:WORD_1
	v_bfe_u32 v13, v2, 19, 4
	v_sub_u32_e32 v14, 29, v14
	v_and_b32_e32 v15, 7, v15
	v_cmp_eq_u16_e32 vcc, 0, v12
	v_cndmask_b32_e32 v11, v11, v15, vcc
	v_cndmask_b32_e32 v12, v13, v14, vcc
	v_lshlrev_b32_e32 v13, 8, v2
	v_mov_b32_e32 v14, 0x3b800000
	v_lshlrev_b32_e32 v11, 20, v11
	v_and_b32_e32 v13, 0x80000000, v13
	v_lshl_add_u32 v12, v12, 23, v14
	v_or3_b32 v12, v13, v12, v11
.LBB38_664:
	s_or_b64 exec, exec, s[6:7]
	s_nop 0
	v_mfma_f32_16x16x4f32 a[0:3], v10, v12, a[0:3]
	s_movk_i32 s4, 0x7f
	v_cmp_gt_i16_sdwa s[6:7], v6, s4 src0_sel:BYTE_3 src1_sel:DWORD
	s_mov_b64 s[4:5], 0
                                        ; implicit-def: $sgpr10
	s_and_saveexec_b64 s[8:9], s[6:7]
	s_xor_b64 s[6:7], exec, s[8:9]
	s_cbranch_execnz .LBB38_2713
; %bb.665:
	s_or_saveexec_b64 s[6:7], s[6:7]
	v_mov_b32_e32 v10, s10
	s_xor_b64 exec, exec, s[6:7]
	s_cbranch_execnz .LBB38_2716
.LBB38_666:
	s_or_b64 exec, exec, s[6:7]
	s_and_saveexec_b64 s[6:7], s[4:5]
	s_cbranch_execz .LBB38_668
.LBB38_667:
	v_bfe_u32 v10, v6, 24, 3
	v_ffbh_u32_e32 v14, v10
	v_min_u32_e32 v14, 32, v14
	v_lshrrev_b32_e32 v12, 27, v6
	v_subrev_u32_e32 v15, 28, v14
	v_and_b32_e32 v11, 0x80000000, v6
	v_and_b32_e32 v12, 15, v12
	v_bfe_u32 v13, v6, 27, 4
	v_lshlrev_b32_sdwa v6, v15, v6 dst_sel:DWORD dst_unused:UNUSED_PAD src0_sel:DWORD src1_sel:BYTE_3
	v_sub_u32_e32 v14, 29, v14
	v_and_b32_e32 v6, 7, v6
	v_cmp_eq_u16_e32 vcc, 0, v12
	v_cndmask_b32_e32 v6, v10, v6, vcc
	v_cndmask_b32_e32 v10, v13, v14, vcc
	v_mov_b32_e32 v12, 0x3b800000
	v_lshlrev_b32_e32 v6, 20, v6
	v_lshl_add_u32 v10, v10, 23, v12
	v_or3_b32 v10, v11, v10, v6
.LBB38_668:
	s_or_b64 exec, exec, s[6:7]
	s_movk_i32 s4, 0x7f
	v_cmp_gt_i16_sdwa s[6:7], v2, s4 src0_sel:BYTE_3 src1_sel:DWORD
	s_mov_b64 s[4:5], 0
                                        ; implicit-def: $sgpr10
	s_and_saveexec_b64 s[8:9], s[6:7]
	s_xor_b64 s[6:7], exec, s[8:9]
	s_cbranch_execnz .LBB38_2717
; %bb.669:
	s_or_saveexec_b64 s[6:7], s[6:7]
	v_mov_b32_e32 v6, s10
	s_xor_b64 exec, exec, s[6:7]
	s_cbranch_execnz .LBB38_2720
.LBB38_670:
	s_or_b64 exec, exec, s[6:7]
	s_and_saveexec_b64 s[6:7], s[4:5]
	s_cbranch_execz .LBB38_672
.LBB38_671:
	v_bfe_u32 v6, v2, 24, 3
	v_ffbh_u32_e32 v14, v6
	v_min_u32_e32 v14, 32, v14
	v_lshrrev_b32_e32 v12, 27, v2
	v_subrev_u32_e32 v15, 28, v14
	v_and_b32_e32 v11, 0x80000000, v2
	v_and_b32_e32 v12, 15, v12
	v_bfe_u32 v13, v2, 27, 4
	v_lshlrev_b32_sdwa v2, v15, v2 dst_sel:DWORD dst_unused:UNUSED_PAD src0_sel:DWORD src1_sel:BYTE_3
	v_sub_u32_e32 v14, 29, v14
	v_and_b32_e32 v2, 7, v2
	v_cmp_eq_u16_e32 vcc, 0, v12
	v_cndmask_b32_e32 v2, v6, v2, vcc
	v_cndmask_b32_e32 v6, v13, v14, vcc
	v_mov_b32_e32 v12, 0x3b800000
	v_lshlrev_b32_e32 v2, 20, v2
	v_lshl_add_u32 v6, v6, 23, v12
	v_or3_b32 v6, v11, v6, v2
.LBB38_672:
	s_or_b64 exec, exec, s[6:7]
	s_nop 0
	v_mfma_f32_16x16x4f32 a[0:3], v10, v6, a[0:3]
	s_movk_i32 s4, 0x7f
	v_cmp_gt_i16_sdwa s[6:7], v7, s4 src0_sel:BYTE_0 src1_sel:DWORD
	s_mov_b64 s[4:5], 0
                                        ; implicit-def: $sgpr10
	s_and_saveexec_b64 s[8:9], s[6:7]
	s_xor_b64 s[6:7], exec, s[8:9]
	s_cbranch_execnz .LBB38_2721
; %bb.673:
	s_or_saveexec_b64 s[6:7], s[6:7]
	v_mov_b32_e32 v2, s10
	s_xor_b64 exec, exec, s[6:7]
	s_cbranch_execnz .LBB38_2724
.LBB38_674:
	s_or_b64 exec, exec, s[6:7]
	s_and_saveexec_b64 s[6:7], s[4:5]
	s_cbranch_execz .LBB38_676
.LBB38_675:
	v_and_b32_e32 v2, 7, v7
	v_ffbh_u32_e32 v10, v2
	v_min_u32_e32 v10, 32, v10
	v_lshrrev_b16_e32 v6, 3, v7
	v_subrev_u32_e32 v11, 28, v10
	v_and_b32_e32 v6, 15, v6
	v_lshlrev_b32_e32 v11, v11, v7
	v_sub_u32_e32 v10, 29, v10
	v_and_b32_e32 v11, 7, v11
	v_cmp_eq_u16_e32 vcc, 0, v6
	v_cndmask_b32_e32 v2, v2, v11, vcc
	v_cndmask_b32_e32 v6, v6, v10, vcc
	v_lshlrev_b32_e32 v10, 24, v7
	v_mov_b32_e32 v11, 0x3b800000
	v_lshlrev_b32_e32 v2, 20, v2
	v_and_b32_e32 v10, 0x80000000, v10
	v_lshl_add_u32 v6, v6, 23, v11
	v_or3_b32 v2, v10, v6, v2
.LBB38_676:
	s_or_b64 exec, exec, s[6:7]
	s_movk_i32 s4, 0x7f
	v_cmp_gt_i16_sdwa s[6:7], v3, s4 src0_sel:BYTE_0 src1_sel:DWORD
	s_mov_b64 s[4:5], 0
                                        ; implicit-def: $sgpr10
	s_and_saveexec_b64 s[8:9], s[6:7]
	s_xor_b64 s[6:7], exec, s[8:9]
	s_cbranch_execnz .LBB38_2725
; %bb.677:
	s_or_saveexec_b64 s[6:7], s[6:7]
	v_mov_b32_e32 v6, s10
	s_xor_b64 exec, exec, s[6:7]
	s_cbranch_execnz .LBB38_2728
.LBB38_678:
	s_or_b64 exec, exec, s[6:7]
	s_and_saveexec_b64 s[6:7], s[4:5]
	s_cbranch_execz .LBB38_680
.LBB38_679:
	v_and_b32_e32 v6, 7, v3
	v_ffbh_u32_e32 v11, v6
	v_min_u32_e32 v11, 32, v11
	v_lshrrev_b16_e32 v10, 3, v3
	v_subrev_u32_e32 v12, 28, v11
	v_and_b32_e32 v10, 15, v10
	v_lshlrev_b32_e32 v12, v12, v3
	v_sub_u32_e32 v11, 29, v11
	v_and_b32_e32 v12, 7, v12
	v_cmp_eq_u16_e32 vcc, 0, v10
	v_cndmask_b32_e32 v6, v6, v12, vcc
	v_cndmask_b32_e32 v10, v10, v11, vcc
	v_lshlrev_b32_e32 v11, 24, v3
	v_mov_b32_e32 v12, 0x3b800000
	v_lshlrev_b32_e32 v6, 20, v6
	v_and_b32_e32 v11, 0x80000000, v11
	v_lshl_add_u32 v10, v10, 23, v12
	v_or3_b32 v6, v11, v10, v6
.LBB38_680:
	s_or_b64 exec, exec, s[6:7]
	s_nop 0
	v_mfma_f32_16x16x4f32 a[0:3], v2, v6, a[0:3]
	v_lshrrev_b32_e32 v6, 8, v7
	s_movk_i32 s4, 0x7f
	v_cmp_gt_i16_sdwa s[6:7], v6, s4 src0_sel:BYTE_0 src1_sel:DWORD
	s_mov_b64 s[4:5], 0
                                        ; implicit-def: $sgpr10
	s_and_saveexec_b64 s[8:9], s[6:7]
	s_xor_b64 s[6:7], exec, s[8:9]
	s_cbranch_execnz .LBB38_2729
; %bb.681:
	s_or_saveexec_b64 s[6:7], s[6:7]
	v_mov_b32_e32 v2, s10
	s_xor_b64 exec, exec, s[6:7]
	s_cbranch_execnz .LBB38_2732
.LBB38_682:
	s_or_b64 exec, exec, s[6:7]
	s_and_saveexec_b64 s[6:7], s[4:5]
	s_cbranch_execz .LBB38_684
.LBB38_683:
	v_bfe_u32 v2, v7, 8, 3
	v_ffbh_u32_e32 v11, v2
	v_min_u32_e32 v11, 32, v11
	v_lshrrev_b16_e32 v10, 3, v6
	v_subrev_u32_e32 v12, 28, v11
	v_and_b32_e32 v10, 15, v10
	v_lshlrev_b32_e32 v6, v12, v6
	v_sub_u32_e32 v11, 29, v11
	v_and_b32_e32 v6, 7, v6
	v_cmp_eq_u16_e32 vcc, 0, v10
	v_cndmask_b32_e32 v2, v2, v6, vcc
	v_cndmask_b32_e32 v6, v10, v11, vcc
	v_lshlrev_b32_e32 v10, 16, v7
	v_mov_b32_e32 v11, 0x3b800000
	v_lshlrev_b32_e32 v2, 20, v2
	v_and_b32_e32 v10, 0x80000000, v10
	v_lshl_add_u32 v6, v6, 23, v11
	v_or3_b32 v2, v10, v6, v2
.LBB38_684:
	s_or_b64 exec, exec, s[6:7]
	v_lshrrev_b32_e32 v6, 8, v3
	s_movk_i32 s4, 0x7f
	v_cmp_gt_i16_sdwa s[6:7], v6, s4 src0_sel:BYTE_0 src1_sel:DWORD
	s_mov_b64 s[4:5], 0
                                        ; implicit-def: $sgpr10
	s_and_saveexec_b64 s[8:9], s[6:7]
	s_xor_b64 s[6:7], exec, s[8:9]
	s_cbranch_execnz .LBB38_2733
; %bb.685:
	s_or_saveexec_b64 s[6:7], s[6:7]
	v_mov_b32_e32 v10, s10
	s_xor_b64 exec, exec, s[6:7]
	s_cbranch_execnz .LBB38_2736
.LBB38_686:
	s_or_b64 exec, exec, s[6:7]
	s_and_saveexec_b64 s[6:7], s[4:5]
	s_cbranch_execz .LBB38_688
.LBB38_687:
	v_bfe_u32 v10, v3, 8, 3
	v_ffbh_u32_e32 v12, v10
	v_min_u32_e32 v12, 32, v12
	v_lshrrev_b16_e32 v11, 3, v6
	v_subrev_u32_e32 v13, 28, v12
	v_and_b32_e32 v11, 15, v11
	v_lshlrev_b32_e32 v6, v13, v6
	v_sub_u32_e32 v12, 29, v12
	v_and_b32_e32 v6, 7, v6
	v_cmp_eq_u16_e32 vcc, 0, v11
	v_cndmask_b32_e32 v6, v10, v6, vcc
	v_cndmask_b32_e32 v10, v11, v12, vcc
	v_lshlrev_b32_e32 v11, 16, v3
	v_mov_b32_e32 v12, 0x3b800000
	v_lshlrev_b32_e32 v6, 20, v6
	v_and_b32_e32 v11, 0x80000000, v11
	v_lshl_add_u32 v10, v10, 23, v12
	v_or3_b32 v10, v11, v10, v6
.LBB38_688:
	s_or_b64 exec, exec, s[6:7]
	s_nop 0
	v_mfma_f32_16x16x4f32 a[0:3], v2, v10, a[0:3]
	s_movk_i32 s4, 0xff
	v_and_b32_sdwa v6, v7, s4 dst_sel:DWORD dst_unused:UNUSED_PAD src0_sel:WORD_1 src1_sel:DWORD
	s_movk_i32 s4, 0x7f
	v_cmp_lt_i16_e32 vcc, s4, v6
	s_mov_b64 s[4:5], 0
                                        ; implicit-def: $sgpr10
	s_and_saveexec_b64 s[6:7], vcc
	s_xor_b64 s[6:7], exec, s[6:7]
	s_cbranch_execnz .LBB38_2737
; %bb.689:
	s_or_saveexec_b64 s[6:7], s[6:7]
	v_mov_b32_e32 v2, s10
	s_xor_b64 exec, exec, s[6:7]
	s_cbranch_execnz .LBB38_2740
.LBB38_690:
	s_or_b64 exec, exec, s[6:7]
	s_and_saveexec_b64 s[6:7], s[4:5]
	s_cbranch_execz .LBB38_692
.LBB38_691:
	v_bfe_u32 v2, v7, 16, 3
	v_ffbh_u32_e32 v11, v2
	v_min_u32_e32 v11, 32, v11
	v_lshrrev_b32_e32 v6, 19, v7
	v_subrev_u32_e32 v12, 28, v11
	v_and_b32_e32 v6, 15, v6
	v_lshlrev_b32_sdwa v12, v12, v7 dst_sel:DWORD dst_unused:UNUSED_PAD src0_sel:DWORD src1_sel:WORD_1
	v_bfe_u32 v10, v7, 19, 4
	v_sub_u32_e32 v11, 29, v11
	v_and_b32_e32 v12, 7, v12
	v_cmp_eq_u16_e32 vcc, 0, v6
	v_cndmask_b32_e32 v2, v2, v12, vcc
	v_cndmask_b32_e32 v6, v10, v11, vcc
	v_lshlrev_b32_e32 v10, 8, v7
	v_mov_b32_e32 v11, 0x3b800000
	v_lshlrev_b32_e32 v2, 20, v2
	v_and_b32_e32 v10, 0x80000000, v10
	v_lshl_add_u32 v6, v6, 23, v11
	v_or3_b32 v2, v10, v6, v2
.LBB38_692:
	s_or_b64 exec, exec, s[6:7]
	s_movk_i32 s4, 0xff
	v_and_b32_sdwa v6, v3, s4 dst_sel:DWORD dst_unused:UNUSED_PAD src0_sel:WORD_1 src1_sel:DWORD
	s_movk_i32 s4, 0x7f
	v_cmp_lt_i16_e32 vcc, s4, v6
	s_mov_b64 s[4:5], 0
                                        ; implicit-def: $sgpr10
	s_and_saveexec_b64 s[6:7], vcc
	s_xor_b64 s[6:7], exec, s[6:7]
	s_cbranch_execnz .LBB38_2741
; %bb.693:
	s_or_saveexec_b64 s[6:7], s[6:7]
	v_mov_b32_e32 v10, s10
	s_xor_b64 exec, exec, s[6:7]
	s_cbranch_execnz .LBB38_2744
.LBB38_694:
	s_or_b64 exec, exec, s[6:7]
	s_and_saveexec_b64 s[6:7], s[4:5]
	s_cbranch_execz .LBB38_696
.LBB38_695:
	v_bfe_u32 v6, v3, 16, 3
	v_ffbh_u32_e32 v12, v6
	v_min_u32_e32 v12, 32, v12
	v_lshrrev_b32_e32 v10, 19, v3
	v_subrev_u32_e32 v13, 28, v12
	v_and_b32_e32 v10, 15, v10
	v_lshlrev_b32_sdwa v13, v13, v3 dst_sel:DWORD dst_unused:UNUSED_PAD src0_sel:DWORD src1_sel:WORD_1
	v_bfe_u32 v11, v3, 19, 4
	v_sub_u32_e32 v12, 29, v12
	v_and_b32_e32 v13, 7, v13
	v_cmp_eq_u16_e32 vcc, 0, v10
	v_cndmask_b32_e32 v6, v6, v13, vcc
	v_cndmask_b32_e32 v10, v11, v12, vcc
	v_lshlrev_b32_e32 v11, 8, v3
	v_mov_b32_e32 v12, 0x3b800000
	v_lshlrev_b32_e32 v6, 20, v6
	v_and_b32_e32 v11, 0x80000000, v11
	v_lshl_add_u32 v10, v10, 23, v12
	v_or3_b32 v10, v11, v10, v6
.LBB38_696:
	s_or_b64 exec, exec, s[6:7]
	s_nop 0
	v_mfma_f32_16x16x4f32 a[0:3], v2, v10, a[0:3]
	s_movk_i32 s4, 0x7f
	v_cmp_gt_i16_sdwa s[6:7], v7, s4 src0_sel:BYTE_3 src1_sel:DWORD
	s_mov_b64 s[4:5], 0
                                        ; implicit-def: $sgpr10
	s_and_saveexec_b64 s[8:9], s[6:7]
	s_xor_b64 s[6:7], exec, s[8:9]
	s_cbranch_execnz .LBB38_2745
; %bb.697:
	s_or_saveexec_b64 s[6:7], s[6:7]
	v_mov_b32_e32 v2, s10
	s_xor_b64 exec, exec, s[6:7]
	s_cbranch_execnz .LBB38_2748
.LBB38_698:
	s_or_b64 exec, exec, s[6:7]
	s_and_saveexec_b64 s[6:7], s[4:5]
	s_cbranch_execz .LBB38_700
.LBB38_699:
	v_bfe_u32 v2, v7, 24, 3
	v_ffbh_u32_e32 v12, v2
	v_min_u32_e32 v12, 32, v12
	v_lshrrev_b32_e32 v10, 27, v7
	v_subrev_u32_e32 v13, 28, v12
	v_and_b32_e32 v6, 0x80000000, v7
	v_and_b32_e32 v10, 15, v10
	v_bfe_u32 v11, v7, 27, 4
	v_lshlrev_b32_sdwa v7, v13, v7 dst_sel:DWORD dst_unused:UNUSED_PAD src0_sel:DWORD src1_sel:BYTE_3
	v_sub_u32_e32 v12, 29, v12
	v_and_b32_e32 v7, 7, v7
	v_cmp_eq_u16_e32 vcc, 0, v10
	v_cndmask_b32_e32 v2, v2, v7, vcc
	v_cndmask_b32_e32 v7, v11, v12, vcc
	v_mov_b32_e32 v10, 0x3b800000
	v_lshlrev_b32_e32 v2, 20, v2
	v_lshl_add_u32 v7, v7, 23, v10
	v_or3_b32 v2, v6, v7, v2
.LBB38_700:
	s_or_b64 exec, exec, s[6:7]
	s_movk_i32 s4, 0x7f
	v_cmp_gt_i16_sdwa s[6:7], v3, s4 src0_sel:BYTE_3 src1_sel:DWORD
	s_mov_b64 s[4:5], 0
                                        ; implicit-def: $sgpr10
	s_and_saveexec_b64 s[8:9], s[6:7]
	s_xor_b64 s[6:7], exec, s[8:9]
	s_cbranch_execnz .LBB38_2749
; %bb.701:
	s_or_saveexec_b64 s[6:7], s[6:7]
	v_mov_b32_e32 v6, s10
	s_xor_b64 exec, exec, s[6:7]
	s_cbranch_execnz .LBB38_2752
.LBB38_702:
	s_or_b64 exec, exec, s[6:7]
	s_and_saveexec_b64 s[6:7], s[4:5]
	s_cbranch_execz .LBB38_704
.LBB38_703:
	v_bfe_u32 v6, v3, 24, 3
	v_ffbh_u32_e32 v12, v6
	v_min_u32_e32 v12, 32, v12
	v_lshrrev_b32_e32 v10, 27, v3
	v_subrev_u32_e32 v13, 28, v12
	v_and_b32_e32 v7, 0x80000000, v3
	v_and_b32_e32 v10, 15, v10
	v_bfe_u32 v11, v3, 27, 4
	v_lshlrev_b32_sdwa v3, v13, v3 dst_sel:DWORD dst_unused:UNUSED_PAD src0_sel:DWORD src1_sel:BYTE_3
	v_sub_u32_e32 v12, 29, v12
	v_and_b32_e32 v3, 7, v3
	v_cmp_eq_u16_e32 vcc, 0, v10
	v_cndmask_b32_e32 v3, v6, v3, vcc
	v_cndmask_b32_e32 v6, v11, v12, vcc
	v_mov_b32_e32 v10, 0x3b800000
	v_lshlrev_b32_e32 v3, 20, v3
	v_lshl_add_u32 v6, v6, 23, v10
	v_or3_b32 v6, v7, v6, v3
.LBB38_704:
	s_or_b64 exec, exec, s[6:7]
	s_nop 0
	v_mfma_f32_16x16x4f32 a[0:3], v2, v6, a[0:3]
	s_movk_i32 s4, 0x7f
	v_cmp_gt_i16_sdwa s[6:7], v8, s4 src0_sel:BYTE_0 src1_sel:DWORD
	s_mov_b64 s[4:5], 0
                                        ; implicit-def: $sgpr10
	s_and_saveexec_b64 s[8:9], s[6:7]
	s_xor_b64 s[6:7], exec, s[8:9]
	s_cbranch_execnz .LBB38_2753
; %bb.705:
	s_or_saveexec_b64 s[6:7], s[6:7]
	v_mov_b32_e32 v2, s10
	s_xor_b64 exec, exec, s[6:7]
	s_cbranch_execnz .LBB38_2756
.LBB38_706:
	s_or_b64 exec, exec, s[6:7]
	s_and_saveexec_b64 s[6:7], s[4:5]
	s_cbranch_execz .LBB38_708
.LBB38_707:
	v_and_b32_e32 v2, 7, v8
	v_ffbh_u32_e32 v6, v2
	v_min_u32_e32 v6, 32, v6
	v_lshrrev_b16_e32 v3, 3, v8
	v_subrev_u32_e32 v7, 28, v6
	v_and_b32_e32 v3, 15, v3
	v_lshlrev_b32_e32 v7, v7, v8
	v_sub_u32_e32 v6, 29, v6
	v_and_b32_e32 v7, 7, v7
	v_cmp_eq_u16_e32 vcc, 0, v3
	v_cndmask_b32_e32 v2, v2, v7, vcc
	v_cndmask_b32_e32 v3, v3, v6, vcc
	v_lshlrev_b32_e32 v6, 24, v8
	v_mov_b32_e32 v7, 0x3b800000
	v_lshlrev_b32_e32 v2, 20, v2
	v_and_b32_e32 v6, 0x80000000, v6
	v_lshl_add_u32 v3, v3, 23, v7
	v_or3_b32 v2, v6, v3, v2
.LBB38_708:
	s_or_b64 exec, exec, s[6:7]
	s_movk_i32 s4, 0x7f
	v_cmp_gt_i16_sdwa s[6:7], v4, s4 src0_sel:BYTE_0 src1_sel:DWORD
	s_mov_b64 s[4:5], 0
                                        ; implicit-def: $sgpr10
	s_and_saveexec_b64 s[8:9], s[6:7]
	s_xor_b64 s[6:7], exec, s[8:9]
	s_cbranch_execnz .LBB38_2757
; %bb.709:
	s_or_saveexec_b64 s[6:7], s[6:7]
	v_mov_b32_e32 v3, s10
	s_xor_b64 exec, exec, s[6:7]
	s_cbranch_execnz .LBB38_2760
.LBB38_710:
	s_or_b64 exec, exec, s[6:7]
	s_and_saveexec_b64 s[6:7], s[4:5]
	s_cbranch_execz .LBB38_712
.LBB38_711:
	v_and_b32_e32 v3, 7, v4
	v_ffbh_u32_e32 v7, v3
	v_min_u32_e32 v7, 32, v7
	v_lshrrev_b16_e32 v6, 3, v4
	v_subrev_u32_e32 v10, 28, v7
	v_and_b32_e32 v6, 15, v6
	v_lshlrev_b32_e32 v10, v10, v4
	v_sub_u32_e32 v7, 29, v7
	v_and_b32_e32 v10, 7, v10
	v_cmp_eq_u16_e32 vcc, 0, v6
	v_cndmask_b32_e32 v3, v3, v10, vcc
	v_cndmask_b32_e32 v6, v6, v7, vcc
	v_lshlrev_b32_e32 v7, 24, v4
	v_mov_b32_e32 v10, 0x3b800000
	v_lshlrev_b32_e32 v3, 20, v3
	v_and_b32_e32 v7, 0x80000000, v7
	v_lshl_add_u32 v6, v6, 23, v10
	v_or3_b32 v3, v7, v6, v3
.LBB38_712:
	s_or_b64 exec, exec, s[6:7]
	s_nop 0
	v_mfma_f32_16x16x4f32 a[0:3], v2, v3, a[0:3]
	v_lshrrev_b32_e32 v3, 8, v8
	s_movk_i32 s4, 0x7f
	v_cmp_gt_i16_sdwa s[6:7], v3, s4 src0_sel:BYTE_0 src1_sel:DWORD
	s_mov_b64 s[4:5], 0
                                        ; implicit-def: $sgpr10
	s_and_saveexec_b64 s[8:9], s[6:7]
	s_xor_b64 s[6:7], exec, s[8:9]
	s_cbranch_execnz .LBB38_2761
; %bb.713:
	s_or_saveexec_b64 s[6:7], s[6:7]
	v_mov_b32_e32 v2, s10
	s_xor_b64 exec, exec, s[6:7]
	s_cbranch_execnz .LBB38_2764
.LBB38_714:
	s_or_b64 exec, exec, s[6:7]
	s_and_saveexec_b64 s[6:7], s[4:5]
	s_cbranch_execz .LBB38_716
.LBB38_715:
	v_bfe_u32 v2, v8, 8, 3
	v_ffbh_u32_e32 v7, v2
	v_min_u32_e32 v7, 32, v7
	v_lshrrev_b16_e32 v6, 3, v3
	v_subrev_u32_e32 v10, 28, v7
	v_and_b32_e32 v6, 15, v6
	v_lshlrev_b32_e32 v3, v10, v3
	v_sub_u32_e32 v7, 29, v7
	v_and_b32_e32 v3, 7, v3
	v_cmp_eq_u16_e32 vcc, 0, v6
	v_cndmask_b32_e32 v2, v2, v3, vcc
	v_cndmask_b32_e32 v3, v6, v7, vcc
	v_lshlrev_b32_e32 v6, 16, v8
	v_mov_b32_e32 v7, 0x3b800000
	v_lshlrev_b32_e32 v2, 20, v2
	v_and_b32_e32 v6, 0x80000000, v6
	v_lshl_add_u32 v3, v3, 23, v7
	v_or3_b32 v2, v6, v3, v2
.LBB38_716:
	s_or_b64 exec, exec, s[6:7]
	v_lshrrev_b32_e32 v3, 8, v4
	s_movk_i32 s4, 0x7f
	v_cmp_gt_i16_sdwa s[6:7], v3, s4 src0_sel:BYTE_0 src1_sel:DWORD
	s_mov_b64 s[4:5], 0
                                        ; implicit-def: $sgpr10
	s_and_saveexec_b64 s[8:9], s[6:7]
	s_xor_b64 s[6:7], exec, s[8:9]
	s_cbranch_execnz .LBB38_2765
; %bb.717:
	s_or_saveexec_b64 s[6:7], s[6:7]
	v_mov_b32_e32 v6, s10
	s_xor_b64 exec, exec, s[6:7]
	s_cbranch_execnz .LBB38_2768
.LBB38_718:
	s_or_b64 exec, exec, s[6:7]
	s_and_saveexec_b64 s[6:7], s[4:5]
	s_cbranch_execz .LBB38_720
.LBB38_719:
	v_bfe_u32 v6, v4, 8, 3
	v_ffbh_u32_e32 v10, v6
	v_min_u32_e32 v10, 32, v10
	v_lshrrev_b16_e32 v7, 3, v3
	v_subrev_u32_e32 v11, 28, v10
	v_and_b32_e32 v7, 15, v7
	v_lshlrev_b32_e32 v3, v11, v3
	v_sub_u32_e32 v10, 29, v10
	v_and_b32_e32 v3, 7, v3
	v_cmp_eq_u16_e32 vcc, 0, v7
	v_cndmask_b32_e32 v3, v6, v3, vcc
	v_cndmask_b32_e32 v6, v7, v10, vcc
	v_lshlrev_b32_e32 v7, 16, v4
	v_mov_b32_e32 v10, 0x3b800000
	v_lshlrev_b32_e32 v3, 20, v3
	v_and_b32_e32 v7, 0x80000000, v7
	v_lshl_add_u32 v6, v6, 23, v10
	v_or3_b32 v6, v7, v6, v3
.LBB38_720:
	s_or_b64 exec, exec, s[6:7]
	s_nop 0
	v_mfma_f32_16x16x4f32 a[0:3], v2, v6, a[0:3]
	s_movk_i32 s4, 0xff
	v_and_b32_sdwa v3, v8, s4 dst_sel:DWORD dst_unused:UNUSED_PAD src0_sel:WORD_1 src1_sel:DWORD
	s_movk_i32 s4, 0x7f
	v_cmp_lt_i16_e32 vcc, s4, v3
	s_mov_b64 s[4:5], 0
                                        ; implicit-def: $sgpr10
	s_and_saveexec_b64 s[6:7], vcc
	s_xor_b64 s[6:7], exec, s[6:7]
	s_cbranch_execnz .LBB38_2769
; %bb.721:
	s_or_saveexec_b64 s[6:7], s[6:7]
	v_mov_b32_e32 v2, s10
	s_xor_b64 exec, exec, s[6:7]
	s_cbranch_execnz .LBB38_2772
.LBB38_722:
	s_or_b64 exec, exec, s[6:7]
	s_and_saveexec_b64 s[6:7], s[4:5]
	s_cbranch_execz .LBB38_724
.LBB38_723:
	v_bfe_u32 v2, v8, 16, 3
	v_ffbh_u32_e32 v7, v2
	v_min_u32_e32 v7, 32, v7
	v_lshrrev_b32_e32 v3, 19, v8
	v_subrev_u32_e32 v10, 28, v7
	v_and_b32_e32 v3, 15, v3
	v_lshlrev_b32_sdwa v10, v10, v8 dst_sel:DWORD dst_unused:UNUSED_PAD src0_sel:DWORD src1_sel:WORD_1
	v_bfe_u32 v6, v8, 19, 4
	v_sub_u32_e32 v7, 29, v7
	v_and_b32_e32 v10, 7, v10
	v_cmp_eq_u16_e32 vcc, 0, v3
	v_cndmask_b32_e32 v2, v2, v10, vcc
	v_cndmask_b32_e32 v3, v6, v7, vcc
	v_lshlrev_b32_e32 v6, 8, v8
	v_mov_b32_e32 v7, 0x3b800000
	v_lshlrev_b32_e32 v2, 20, v2
	v_and_b32_e32 v6, 0x80000000, v6
	v_lshl_add_u32 v3, v3, 23, v7
	v_or3_b32 v2, v6, v3, v2
.LBB38_724:
	s_or_b64 exec, exec, s[6:7]
	s_movk_i32 s4, 0xff
	v_and_b32_sdwa v3, v4, s4 dst_sel:DWORD dst_unused:UNUSED_PAD src0_sel:WORD_1 src1_sel:DWORD
	s_movk_i32 s4, 0x7f
	v_cmp_lt_i16_e32 vcc, s4, v3
	s_mov_b64 s[4:5], 0
                                        ; implicit-def: $sgpr10
	s_and_saveexec_b64 s[6:7], vcc
	s_xor_b64 s[6:7], exec, s[6:7]
	s_cbranch_execnz .LBB38_2773
; %bb.725:
	s_or_saveexec_b64 s[6:7], s[6:7]
	v_mov_b32_e32 v6, s10
	s_xor_b64 exec, exec, s[6:7]
	s_cbranch_execnz .LBB38_2776
.LBB38_726:
	s_or_b64 exec, exec, s[6:7]
	s_and_saveexec_b64 s[6:7], s[4:5]
	s_cbranch_execz .LBB38_728
.LBB38_727:
	v_bfe_u32 v3, v4, 16, 3
	v_ffbh_u32_e32 v10, v3
	v_min_u32_e32 v10, 32, v10
	v_lshrrev_b32_e32 v6, 19, v4
	v_subrev_u32_e32 v11, 28, v10
	v_and_b32_e32 v6, 15, v6
	v_lshlrev_b32_sdwa v11, v11, v4 dst_sel:DWORD dst_unused:UNUSED_PAD src0_sel:DWORD src1_sel:WORD_1
	v_bfe_u32 v7, v4, 19, 4
	v_sub_u32_e32 v10, 29, v10
	v_and_b32_e32 v11, 7, v11
	v_cmp_eq_u16_e32 vcc, 0, v6
	v_cndmask_b32_e32 v3, v3, v11, vcc
	v_cndmask_b32_e32 v6, v7, v10, vcc
	v_lshlrev_b32_e32 v7, 8, v4
	v_mov_b32_e32 v10, 0x3b800000
	v_lshlrev_b32_e32 v3, 20, v3
	v_and_b32_e32 v7, 0x80000000, v7
	v_lshl_add_u32 v6, v6, 23, v10
	v_or3_b32 v6, v7, v6, v3
.LBB38_728:
	s_or_b64 exec, exec, s[6:7]
	s_nop 0
	v_mfma_f32_16x16x4f32 a[0:3], v2, v6, a[0:3]
	s_movk_i32 s4, 0x7f
	v_cmp_gt_i16_sdwa s[6:7], v8, s4 src0_sel:BYTE_3 src1_sel:DWORD
	s_mov_b64 s[4:5], 0
                                        ; implicit-def: $sgpr10
	s_and_saveexec_b64 s[8:9], s[6:7]
	s_xor_b64 s[6:7], exec, s[8:9]
	s_cbranch_execnz .LBB38_2777
; %bb.729:
	s_or_saveexec_b64 s[6:7], s[6:7]
	v_mov_b32_e32 v2, s10
	s_xor_b64 exec, exec, s[6:7]
	s_cbranch_execnz .LBB38_2780
.LBB38_730:
	s_or_b64 exec, exec, s[6:7]
	s_and_saveexec_b64 s[6:7], s[4:5]
	s_cbranch_execz .LBB38_732
.LBB38_731:
	v_bfe_u32 v2, v8, 24, 3
	v_ffbh_u32_e32 v10, v2
	v_min_u32_e32 v10, 32, v10
	v_lshrrev_b32_e32 v6, 27, v8
	v_subrev_u32_e32 v11, 28, v10
	v_and_b32_e32 v3, 0x80000000, v8
	v_and_b32_e32 v6, 15, v6
	v_bfe_u32 v7, v8, 27, 4
	v_lshlrev_b32_sdwa v8, v11, v8 dst_sel:DWORD dst_unused:UNUSED_PAD src0_sel:DWORD src1_sel:BYTE_3
	v_sub_u32_e32 v10, 29, v10
	v_and_b32_e32 v8, 7, v8
	v_cmp_eq_u16_e32 vcc, 0, v6
	v_cndmask_b32_e32 v2, v2, v8, vcc
	v_cndmask_b32_e32 v6, v7, v10, vcc
	v_mov_b32_e32 v7, 0x3b800000
	v_lshlrev_b32_e32 v2, 20, v2
	v_lshl_add_u32 v6, v6, 23, v7
	v_or3_b32 v2, v3, v6, v2
.LBB38_732:
	s_or_b64 exec, exec, s[6:7]
	s_movk_i32 s4, 0x7f
	v_cmp_gt_i16_sdwa s[6:7], v4, s4 src0_sel:BYTE_3 src1_sel:DWORD
	s_mov_b64 s[4:5], 0
                                        ; implicit-def: $sgpr10
	s_and_saveexec_b64 s[8:9], s[6:7]
	s_xor_b64 s[6:7], exec, s[8:9]
	s_cbranch_execnz .LBB38_2781
; %bb.733:
	s_or_saveexec_b64 s[6:7], s[6:7]
	v_mov_b32_e32 v3, s10
	s_xor_b64 exec, exec, s[6:7]
	s_cbranch_execnz .LBB38_2784
.LBB38_734:
	s_or_b64 exec, exec, s[6:7]
	s_and_saveexec_b64 s[6:7], s[4:5]
	s_cbranch_execz .LBB38_736
.LBB38_735:
	v_bfe_u32 v3, v4, 24, 3
	v_ffbh_u32_e32 v10, v3
	v_min_u32_e32 v10, 32, v10
	v_lshrrev_b32_e32 v7, 27, v4
	v_subrev_u32_e32 v11, 28, v10
	v_and_b32_e32 v6, 0x80000000, v4
	v_and_b32_e32 v7, 15, v7
	v_bfe_u32 v8, v4, 27, 4
	v_lshlrev_b32_sdwa v4, v11, v4 dst_sel:DWORD dst_unused:UNUSED_PAD src0_sel:DWORD src1_sel:BYTE_3
	v_sub_u32_e32 v10, 29, v10
	v_and_b32_e32 v4, 7, v4
	v_cmp_eq_u16_e32 vcc, 0, v7
	v_cndmask_b32_e32 v3, v3, v4, vcc
	v_cndmask_b32_e32 v4, v8, v10, vcc
	v_mov_b32_e32 v7, 0x3b800000
	v_lshlrev_b32_e32 v3, 20, v3
	v_lshl_add_u32 v4, v4, 23, v7
	v_or3_b32 v3, v6, v4, v3
.LBB38_736:
	s_or_b64 exec, exec, s[6:7]
	s_nop 0
	v_mfma_f32_16x16x4f32 a[0:3], v2, v3, a[0:3]
	s_movk_i32 s4, 0x7f
	v_cmp_gt_i16_sdwa s[6:7], v9, s4 src0_sel:BYTE_0 src1_sel:DWORD
	s_mov_b64 s[4:5], 0
                                        ; implicit-def: $sgpr10
	s_and_saveexec_b64 s[8:9], s[6:7]
	s_xor_b64 s[6:7], exec, s[8:9]
	s_cbranch_execnz .LBB38_2785
; %bb.737:
	s_or_saveexec_b64 s[6:7], s[6:7]
	v_mov_b32_e32 v2, s10
	s_xor_b64 exec, exec, s[6:7]
	s_cbranch_execnz .LBB38_2788
.LBB38_738:
	s_or_b64 exec, exec, s[6:7]
	s_and_saveexec_b64 s[6:7], s[4:5]
	s_cbranch_execz .LBB38_740
.LBB38_739:
	v_mov_b32_e32 v2, 8
	v_and_b32_e32 v3, 7, v9
	v_lshrrev_b32_sdwa v2, v2, v9 dst_sel:BYTE_1 dst_unused:UNUSED_PAD src0_sel:DWORD src1_sel:DWORD
	v_ffbh_u32_e32 v4, v3
	v_or_b32_sdwa v2, v9, v2 dst_sel:DWORD dst_unused:UNUSED_PAD src0_sel:BYTE_0 src1_sel:DWORD
	v_min_u32_e32 v4, 32, v4
	v_lshrrev_b16_e32 v2, 3, v2
	v_subrev_u32_e32 v6, 28, v4
	v_and_b32_e32 v2, 15, v2
	v_lshlrev_b32_e32 v6, v6, v9
	v_sub_u32_e32 v4, 29, v4
	v_and_b32_e32 v6, 7, v6
	v_cmp_eq_u16_e32 vcc, 0, v2
	v_cndmask_b32_e32 v3, v3, v6, vcc
	v_cndmask_b32_e32 v2, v2, v4, vcc
	v_lshlrev_b32_e32 v4, 24, v9
	v_mov_b32_e32 v6, 0x3b800000
	v_lshlrev_b32_e32 v3, 20, v3
	v_and_b32_e32 v4, 0x80000000, v4
	v_lshl_add_u32 v2, v2, 23, v6
	v_or3_b32 v2, v4, v2, v3
.LBB38_740:
	s_or_b64 exec, exec, s[6:7]
	s_movk_i32 s4, 0x7f
	v_cmp_gt_i16_sdwa s[6:7], v5, s4 src0_sel:BYTE_0 src1_sel:DWORD
	s_mov_b64 s[4:5], 0
                                        ; implicit-def: $sgpr10
	s_and_saveexec_b64 s[8:9], s[6:7]
	s_xor_b64 s[6:7], exec, s[8:9]
	s_cbranch_execnz .LBB38_2789
; %bb.741:
	s_or_saveexec_b64 s[6:7], s[6:7]
	v_mov_b32_e32 v3, s10
	s_xor_b64 exec, exec, s[6:7]
	s_cbranch_execnz .LBB38_2792
.LBB38_742:
	s_or_b64 exec, exec, s[6:7]
	s_and_saveexec_b64 s[6:7], s[4:5]
	s_cbranch_execz .LBB38_744
.LBB38_743:
	v_mov_b32_e32 v3, 8
	v_and_b32_e32 v4, 7, v5
	v_lshrrev_b32_sdwa v3, v3, v5 dst_sel:BYTE_1 dst_unused:UNUSED_PAD src0_sel:DWORD src1_sel:DWORD
	v_ffbh_u32_e32 v6, v4
	v_or_b32_sdwa v3, v5, v3 dst_sel:DWORD dst_unused:UNUSED_PAD src0_sel:BYTE_0 src1_sel:DWORD
	v_min_u32_e32 v6, 32, v6
	v_lshrrev_b16_e32 v3, 3, v3
	v_subrev_u32_e32 v7, 28, v6
	v_and_b32_e32 v3, 15, v3
	v_lshlrev_b32_e32 v7, v7, v5
	v_sub_u32_e32 v6, 29, v6
	v_and_b32_e32 v7, 7, v7
	v_cmp_eq_u16_e32 vcc, 0, v3
	v_cndmask_b32_e32 v4, v4, v7, vcc
	v_cndmask_b32_e32 v3, v3, v6, vcc
	v_lshlrev_b32_e32 v6, 24, v5
	v_mov_b32_e32 v7, 0x3b800000
	v_lshlrev_b32_e32 v4, 20, v4
	v_and_b32_e32 v6, 0x80000000, v6
	v_lshl_add_u32 v3, v3, 23, v7
	v_or3_b32 v3, v6, v3, v4
.LBB38_744:
	s_or_b64 exec, exec, s[6:7]
	s_nop 0
	v_mfma_f32_16x16x4f32 a[0:3], v2, v3, a[0:3]
	v_lshrrev_b32_e32 v3, 8, v9
	s_movk_i32 s4, 0x7f
	v_cmp_gt_i16_sdwa s[6:7], v3, s4 src0_sel:BYTE_0 src1_sel:DWORD
	s_mov_b64 s[4:5], 0
                                        ; implicit-def: $sgpr10
	s_and_saveexec_b64 s[8:9], s[6:7]
	s_xor_b64 s[6:7], exec, s[8:9]
	s_cbranch_execnz .LBB38_2793
; %bb.745:
	s_or_saveexec_b64 s[6:7], s[6:7]
	v_mov_b32_e32 v2, s10
	s_xor_b64 exec, exec, s[6:7]
	s_cbranch_execnz .LBB38_2796
.LBB38_746:
	s_or_b64 exec, exec, s[6:7]
	s_and_saveexec_b64 s[6:7], s[4:5]
	s_cbranch_execz .LBB38_748
.LBB38_747:
	v_bfe_u32 v2, v9, 8, 3
	v_ffbh_u32_e32 v6, v2
	v_min_u32_e32 v6, 32, v6
	v_lshrrev_b16_e32 v4, 3, v3
	v_subrev_u32_e32 v7, 28, v6
	v_and_b32_e32 v4, 15, v4
	v_lshlrev_b32_e32 v3, v7, v3
	v_sub_u32_e32 v6, 29, v6
	v_and_b32_e32 v3, 7, v3
	v_cmp_eq_u16_e32 vcc, 0, v4
	v_cndmask_b32_e32 v2, v2, v3, vcc
	v_cndmask_b32_e32 v3, v4, v6, vcc
	v_lshlrev_b32_e32 v4, 16, v9
	v_mov_b32_e32 v6, 0x3b800000
	v_lshlrev_b32_e32 v2, 20, v2
	v_and_b32_e32 v4, 0x80000000, v4
	v_lshl_add_u32 v3, v3, 23, v6
	v_or3_b32 v2, v4, v3, v2
.LBB38_748:
	s_or_b64 exec, exec, s[6:7]
	v_lshrrev_b32_e32 v3, 8, v5
	s_movk_i32 s4, 0x7f
	v_cmp_gt_i16_sdwa s[6:7], v3, s4 src0_sel:BYTE_0 src1_sel:DWORD
	s_mov_b64 s[4:5], 0
                                        ; implicit-def: $sgpr10
	s_and_saveexec_b64 s[8:9], s[6:7]
	s_xor_b64 s[6:7], exec, s[8:9]
	s_cbranch_execnz .LBB38_2797
; %bb.749:
	s_or_saveexec_b64 s[6:7], s[6:7]
	v_mov_b32_e32 v4, s10
	s_xor_b64 exec, exec, s[6:7]
	s_cbranch_execnz .LBB38_2800
.LBB38_750:
	s_or_b64 exec, exec, s[6:7]
	s_and_saveexec_b64 s[6:7], s[4:5]
	s_cbranch_execz .LBB38_752
.LBB38_751:
	v_bfe_u32 v4, v5, 8, 3
	v_ffbh_u32_e32 v7, v4
	v_min_u32_e32 v7, 32, v7
	v_lshrrev_b16_e32 v6, 3, v3
	v_subrev_u32_e32 v8, 28, v7
	v_and_b32_e32 v6, 15, v6
	v_lshlrev_b32_e32 v3, v8, v3
	v_sub_u32_e32 v7, 29, v7
	v_and_b32_e32 v3, 7, v3
	v_cmp_eq_u16_e32 vcc, 0, v6
	v_cndmask_b32_e32 v3, v4, v3, vcc
	v_cndmask_b32_e32 v4, v6, v7, vcc
	v_lshlrev_b32_e32 v6, 16, v5
	v_mov_b32_e32 v7, 0x3b800000
	v_lshlrev_b32_e32 v3, 20, v3
	v_and_b32_e32 v6, 0x80000000, v6
	v_lshl_add_u32 v4, v4, 23, v7
	v_or3_b32 v4, v6, v4, v3
.LBB38_752:
	s_or_b64 exec, exec, s[6:7]
	s_nop 0
	v_mfma_f32_16x16x4f32 a[0:3], v2, v4, a[0:3]
	s_movk_i32 s4, 0xff
	v_and_b32_sdwa v3, v9, s4 dst_sel:DWORD dst_unused:UNUSED_PAD src0_sel:WORD_1 src1_sel:DWORD
	s_movk_i32 s4, 0x7f
	v_cmp_lt_i16_e32 vcc, s4, v3
	s_mov_b64 s[4:5], 0
                                        ; implicit-def: $sgpr10
	s_and_saveexec_b64 s[6:7], vcc
	s_xor_b64 s[6:7], exec, s[6:7]
	s_cbranch_execnz .LBB38_2801
; %bb.753:
	s_or_saveexec_b64 s[6:7], s[6:7]
	v_mov_b32_e32 v2, s10
	s_xor_b64 exec, exec, s[6:7]
	s_cbranch_execnz .LBB38_2804
.LBB38_754:
	s_or_b64 exec, exec, s[6:7]
	s_and_saveexec_b64 s[6:7], s[4:5]
	s_cbranch_execz .LBB38_756
.LBB38_755:
	v_bfe_u32 v2, v9, 16, 3
	v_ffbh_u32_e32 v6, v2
	v_min_u32_e32 v6, 32, v6
	v_lshrrev_b32_e32 v3, 19, v9
	v_subrev_u32_e32 v7, 28, v6
	v_and_b32_e32 v3, 15, v3
	v_lshlrev_b32_sdwa v7, v7, v9 dst_sel:DWORD dst_unused:UNUSED_PAD src0_sel:DWORD src1_sel:WORD_1
	v_bfe_u32 v4, v9, 19, 4
	v_sub_u32_e32 v6, 29, v6
	v_and_b32_e32 v7, 7, v7
	v_cmp_eq_u16_e32 vcc, 0, v3
	v_cndmask_b32_e32 v2, v2, v7, vcc
	v_cndmask_b32_e32 v3, v4, v6, vcc
	v_lshlrev_b32_e32 v4, 8, v9
	v_mov_b32_e32 v6, 0x3b800000
	v_lshlrev_b32_e32 v2, 20, v2
	v_and_b32_e32 v4, 0x80000000, v4
	v_lshl_add_u32 v3, v3, 23, v6
	v_or3_b32 v2, v4, v3, v2
.LBB38_756:
	s_or_b64 exec, exec, s[6:7]
	s_movk_i32 s4, 0xff
	v_and_b32_sdwa v3, v5, s4 dst_sel:DWORD dst_unused:UNUSED_PAD src0_sel:WORD_1 src1_sel:DWORD
	s_movk_i32 s4, 0x7f
	v_cmp_lt_i16_e32 vcc, s4, v3
	s_mov_b64 s[4:5], 0
                                        ; implicit-def: $sgpr10
	s_and_saveexec_b64 s[6:7], vcc
	s_xor_b64 s[6:7], exec, s[6:7]
	s_cbranch_execnz .LBB38_2805
; %bb.757:
	s_or_saveexec_b64 s[6:7], s[6:7]
	v_mov_b32_e32 v4, s10
	s_xor_b64 exec, exec, s[6:7]
	s_cbranch_execnz .LBB38_2808
.LBB38_758:
	s_or_b64 exec, exec, s[6:7]
	s_and_saveexec_b64 s[6:7], s[4:5]
	s_cbranch_execz .LBB38_760
.LBB38_759:
	v_bfe_u32 v3, v5, 16, 3
	v_ffbh_u32_e32 v7, v3
	v_min_u32_e32 v7, 32, v7
	v_lshrrev_b32_e32 v4, 19, v5
	v_subrev_u32_e32 v8, 28, v7
	v_and_b32_e32 v4, 15, v4
	v_lshlrev_b32_sdwa v8, v8, v5 dst_sel:DWORD dst_unused:UNUSED_PAD src0_sel:DWORD src1_sel:WORD_1
	v_bfe_u32 v6, v5, 19, 4
	v_sub_u32_e32 v7, 29, v7
	v_and_b32_e32 v8, 7, v8
	v_cmp_eq_u16_e32 vcc, 0, v4
	v_cndmask_b32_e32 v3, v3, v8, vcc
	v_cndmask_b32_e32 v4, v6, v7, vcc
	v_lshlrev_b32_e32 v6, 8, v5
	v_mov_b32_e32 v7, 0x3b800000
	v_lshlrev_b32_e32 v3, 20, v3
	v_and_b32_e32 v6, 0x80000000, v6
	v_lshl_add_u32 v4, v4, 23, v7
	v_or3_b32 v4, v6, v4, v3
.LBB38_760:
	s_or_b64 exec, exec, s[6:7]
	s_nop 0
	v_mfma_f32_16x16x4f32 a[0:3], v2, v4, a[0:3]
	s_movk_i32 s4, 0x7f
	v_cmp_gt_i16_sdwa s[6:7], v9, s4 src0_sel:BYTE_3 src1_sel:DWORD
	s_mov_b64 s[4:5], 0
                                        ; implicit-def: $sgpr10
	s_and_saveexec_b64 s[8:9], s[6:7]
	s_xor_b64 s[6:7], exec, s[8:9]
	s_cbranch_execnz .LBB38_2809
; %bb.761:
	s_or_saveexec_b64 s[6:7], s[6:7]
	v_mov_b32_e32 v2, s10
	s_xor_b64 exec, exec, s[6:7]
	s_cbranch_execnz .LBB38_2812
.LBB38_762:
	s_or_b64 exec, exec, s[6:7]
	s_and_saveexec_b64 s[6:7], s[4:5]
	s_cbranch_execz .LBB38_764
.LBB38_763:
	v_bfe_u32 v2, v9, 24, 3
	v_ffbh_u32_e32 v7, v2
	v_min_u32_e32 v7, 32, v7
	v_lshrrev_b32_e32 v4, 27, v9
	v_subrev_u32_e32 v8, 28, v7
	v_and_b32_e32 v4, 15, v4
	v_lshlrev_b32_sdwa v8, v8, v9 dst_sel:DWORD dst_unused:UNUSED_PAD src0_sel:DWORD src1_sel:BYTE_3
	v_bfe_u32 v6, v9, 27, 4
	v_sub_u32_e32 v7, 29, v7
	v_and_b32_e32 v8, 7, v8
	v_cmp_eq_u16_e32 vcc, 0, v4
	v_cndmask_b32_e32 v2, v2, v8, vcc
	v_cndmask_b32_e32 v4, v6, v7, vcc
	v_mov_b32_e32 v6, 0x3b800000
	v_and_b32_e32 v3, 0x80000000, v9
	v_lshlrev_b32_e32 v2, 20, v2
	v_lshl_add_u32 v4, v4, 23, v6
	v_or3_b32 v2, v3, v4, v2
.LBB38_764:
	s_or_b64 exec, exec, s[6:7]
	s_movk_i32 s4, 0x7f
	v_cmp_gt_i16_sdwa s[6:7], v5, s4 src0_sel:BYTE_3 src1_sel:DWORD
	s_mov_b64 s[4:5], 0
                                        ; implicit-def: $sgpr10
	s_and_saveexec_b64 s[8:9], s[6:7]
	s_xor_b64 s[6:7], exec, s[8:9]
	s_cbranch_execnz .LBB38_2813
; %bb.765:
	s_or_saveexec_b64 s[6:7], s[6:7]
	v_mov_b32_e32 v3, s10
	s_xor_b64 exec, exec, s[6:7]
	s_cbranch_execnz .LBB38_2816
.LBB38_766:
	s_or_b64 exec, exec, s[6:7]
	s_and_saveexec_b64 s[6:7], s[4:5]
	s_cbranch_execz .LBB38_768
.LBB38_767:
	v_bfe_u32 v3, v5, 24, 3
	v_ffbh_u32_e32 v8, v3
	v_min_u32_e32 v8, 32, v8
	v_lshrrev_b32_e32 v6, 27, v5
	v_subrev_u32_e32 v9, 28, v8
	v_and_b32_e32 v4, 0x80000000, v5
	v_and_b32_e32 v6, 15, v6
	v_bfe_u32 v7, v5, 27, 4
	v_lshlrev_b32_sdwa v5, v9, v5 dst_sel:DWORD dst_unused:UNUSED_PAD src0_sel:DWORD src1_sel:BYTE_3
	v_sub_u32_e32 v8, 29, v8
	v_and_b32_e32 v5, 7, v5
	v_cmp_eq_u16_e32 vcc, 0, v6
	v_cndmask_b32_e32 v3, v3, v5, vcc
	v_cndmask_b32_e32 v5, v7, v8, vcc
	v_mov_b32_e32 v6, 0x3b800000
	v_lshlrev_b32_e32 v3, 20, v3
	v_lshl_add_u32 v5, v5, 23, v6
	v_or3_b32 v3, v4, v5, v3
.LBB38_768:
	s_or_b64 exec, exec, s[6:7]
	s_nop 0
	v_mfma_f32_16x16x4f32 a[0:3], v2, v3, a[0:3]
	s_movk_i32 s4, 0x7f
                                        ; implicit-def: $sgpr10
	s_nop 7
	s_nop 1
	flat_store_dwordx4 v[18:19], a[0:3] offset:288
	flat_load_dwordx4 v[20:23], v[0:1] offset:16
	s_nop 0
	flat_load_dwordx2 v[18:19], v[0:1] offset:32
	s_waitcnt vmcnt(0) lgkmcnt(0)
	flat_load_dwordx4 v[14:17], v[20:21]
	flat_load_dwordx4 v[6:9], v[20:21] offset:16
	flat_load_dwordx4 v[10:13], v[22:23] offset:352
	;; [unrolled: 1-line block ×3, first 2 shown]
	s_waitcnt vmcnt(0) lgkmcnt(0)
	v_cmp_gt_i16_sdwa s[6:7], v14, s4 src0_sel:BYTE_0 src1_sel:DWORD
	s_mov_b64 s[4:5], 0
	s_and_saveexec_b64 s[8:9], s[6:7]
	s_xor_b64 s[6:7], exec, s[8:9]
	s_cbranch_execnz .LBB38_2817
; %bb.769:
	s_or_saveexec_b64 s[6:7], s[6:7]
	v_mov_b32_e32 v20, s10
	s_xor_b64 exec, exec, s[6:7]
	s_cbranch_execnz .LBB38_2820
.LBB38_770:
	s_or_b64 exec, exec, s[6:7]
	s_and_saveexec_b64 s[6:7], s[4:5]
	s_cbranch_execz .LBB38_772
.LBB38_771:
	v_and_b32_e32 v20, 7, v14
	v_ffbh_u32_e32 v22, v20
	v_min_u32_e32 v22, 32, v22
	v_lshrrev_b16_e32 v21, 3, v14
	v_subrev_u32_e32 v23, 28, v22
	v_and_b32_e32 v21, 15, v21
	v_lshlrev_b32_e32 v23, v23, v14
	v_sub_u32_e32 v22, 29, v22
	v_and_b32_e32 v23, 7, v23
	v_cmp_eq_u16_e32 vcc, 0, v21
	v_cndmask_b32_e32 v20, v20, v23, vcc
	v_cndmask_b32_e32 v21, v21, v22, vcc
	v_lshlrev_b32_e32 v22, 24, v14
	v_mov_b32_e32 v23, 0x3b800000
	v_lshlrev_b32_e32 v20, 20, v20
	v_and_b32_e32 v22, 0x80000000, v22
	v_lshl_add_u32 v21, v21, 23, v23
	v_or3_b32 v20, v22, v21, v20
.LBB38_772:
	s_or_b64 exec, exec, s[6:7]
	s_movk_i32 s4, 0x7f
	v_cmp_gt_i16_sdwa s[6:7], v10, s4 src0_sel:BYTE_0 src1_sel:DWORD
	s_mov_b64 s[4:5], 0
                                        ; implicit-def: $sgpr10
	s_and_saveexec_b64 s[8:9], s[6:7]
	s_xor_b64 s[6:7], exec, s[8:9]
	s_cbranch_execnz .LBB38_2821
; %bb.773:
	s_or_saveexec_b64 s[6:7], s[6:7]
	v_mov_b32_e32 v21, s10
	s_xor_b64 exec, exec, s[6:7]
	s_cbranch_execnz .LBB38_2824
.LBB38_774:
	s_or_b64 exec, exec, s[6:7]
	s_and_saveexec_b64 s[6:7], s[4:5]
	s_cbranch_execz .LBB38_776
.LBB38_775:
	v_and_b32_e32 v21, 7, v10
	v_ffbh_u32_e32 v23, v21
	v_min_u32_e32 v23, 32, v23
	v_lshrrev_b16_e32 v22, 3, v10
	v_subrev_u32_e32 v24, 28, v23
	v_and_b32_e32 v22, 15, v22
	v_lshlrev_b32_e32 v24, v24, v10
	v_sub_u32_e32 v23, 29, v23
	v_and_b32_e32 v24, 7, v24
	v_cmp_eq_u16_e32 vcc, 0, v22
	v_cndmask_b32_e32 v21, v21, v24, vcc
	v_cndmask_b32_e32 v22, v22, v23, vcc
	v_lshlrev_b32_e32 v23, 24, v10
	v_mov_b32_e32 v24, 0x3b800000
	v_lshlrev_b32_e32 v21, 20, v21
	v_and_b32_e32 v23, 0x80000000, v23
	v_lshl_add_u32 v22, v22, 23, v24
	v_or3_b32 v21, v23, v22, v21
.LBB38_776:
	s_or_b64 exec, exec, s[6:7]
	flat_load_dwordx4 a[0:3], v[18:19] offset:304
	s_movk_i32 s4, 0x7f
                                        ; implicit-def: $sgpr10
	s_waitcnt vmcnt(0) lgkmcnt(0)
	v_mfma_f32_16x16x4f32 a[0:3], v20, v21, a[0:3]
	v_lshrrev_b32_e32 v21, 8, v14
	v_cmp_gt_i16_sdwa s[6:7], v21, s4 src0_sel:BYTE_0 src1_sel:DWORD
	s_mov_b64 s[4:5], 0
	s_and_saveexec_b64 s[8:9], s[6:7]
	s_xor_b64 s[6:7], exec, s[8:9]
	s_cbranch_execnz .LBB38_2825
; %bb.777:
	s_or_saveexec_b64 s[6:7], s[6:7]
	v_mov_b32_e32 v20, s10
	s_xor_b64 exec, exec, s[6:7]
	s_cbranch_execnz .LBB38_2828
.LBB38_778:
	s_or_b64 exec, exec, s[6:7]
	s_and_saveexec_b64 s[6:7], s[4:5]
	s_cbranch_execz .LBB38_780
.LBB38_779:
	v_bfe_u32 v20, v14, 8, 3
	v_ffbh_u32_e32 v23, v20
	v_min_u32_e32 v23, 32, v23
	v_lshrrev_b16_e32 v22, 3, v21
	v_subrev_u32_e32 v24, 28, v23
	v_and_b32_e32 v22, 15, v22
	v_lshlrev_b32_e32 v21, v24, v21
	v_sub_u32_e32 v23, 29, v23
	v_and_b32_e32 v21, 7, v21
	v_cmp_eq_u16_e32 vcc, 0, v22
	v_cndmask_b32_e32 v20, v20, v21, vcc
	v_cndmask_b32_e32 v21, v22, v23, vcc
	v_lshlrev_b32_e32 v22, 16, v14
	v_mov_b32_e32 v23, 0x3b800000
	v_lshlrev_b32_e32 v20, 20, v20
	v_and_b32_e32 v22, 0x80000000, v22
	v_lshl_add_u32 v21, v21, 23, v23
	v_or3_b32 v20, v22, v21, v20
.LBB38_780:
	s_or_b64 exec, exec, s[6:7]
	v_lshrrev_b32_e32 v21, 8, v10
	s_movk_i32 s4, 0x7f
	v_cmp_gt_i16_sdwa s[6:7], v21, s4 src0_sel:BYTE_0 src1_sel:DWORD
	s_mov_b64 s[4:5], 0
                                        ; implicit-def: $sgpr10
	s_and_saveexec_b64 s[8:9], s[6:7]
	s_xor_b64 s[6:7], exec, s[8:9]
	s_cbranch_execnz .LBB38_2829
; %bb.781:
	s_or_saveexec_b64 s[6:7], s[6:7]
	v_mov_b32_e32 v22, s10
	s_xor_b64 exec, exec, s[6:7]
	s_cbranch_execnz .LBB38_2832
.LBB38_782:
	s_or_b64 exec, exec, s[6:7]
	s_and_saveexec_b64 s[6:7], s[4:5]
	s_cbranch_execz .LBB38_784
.LBB38_783:
	v_bfe_u32 v22, v10, 8, 3
	v_ffbh_u32_e32 v24, v22
	v_min_u32_e32 v24, 32, v24
	v_lshrrev_b16_e32 v23, 3, v21
	v_subrev_u32_e32 v25, 28, v24
	v_and_b32_e32 v23, 15, v23
	v_lshlrev_b32_e32 v21, v25, v21
	v_sub_u32_e32 v24, 29, v24
	v_and_b32_e32 v21, 7, v21
	v_cmp_eq_u16_e32 vcc, 0, v23
	v_cndmask_b32_e32 v21, v22, v21, vcc
	v_cndmask_b32_e32 v22, v23, v24, vcc
	v_lshlrev_b32_e32 v23, 16, v10
	v_mov_b32_e32 v24, 0x3b800000
	v_lshlrev_b32_e32 v21, 20, v21
	v_and_b32_e32 v23, 0x80000000, v23
	v_lshl_add_u32 v22, v22, 23, v24
	v_or3_b32 v22, v23, v22, v21
.LBB38_784:
	s_or_b64 exec, exec, s[6:7]
	s_nop 0
	v_mfma_f32_16x16x4f32 a[0:3], v20, v22, a[0:3]
	s_movk_i32 s4, 0xff
	v_and_b32_sdwa v21, v14, s4 dst_sel:DWORD dst_unused:UNUSED_PAD src0_sel:WORD_1 src1_sel:DWORD
	s_movk_i32 s4, 0x7f
	v_cmp_lt_i16_e32 vcc, s4, v21
	s_mov_b64 s[4:5], 0
                                        ; implicit-def: $sgpr10
	s_and_saveexec_b64 s[6:7], vcc
	s_xor_b64 s[6:7], exec, s[6:7]
	s_cbranch_execnz .LBB38_2833
; %bb.785:
	s_or_saveexec_b64 s[6:7], s[6:7]
	v_mov_b32_e32 v20, s10
	s_xor_b64 exec, exec, s[6:7]
	s_cbranch_execnz .LBB38_2836
.LBB38_786:
	s_or_b64 exec, exec, s[6:7]
	s_and_saveexec_b64 s[6:7], s[4:5]
	s_cbranch_execz .LBB38_788
.LBB38_787:
	v_bfe_u32 v20, v14, 16, 3
	v_ffbh_u32_e32 v23, v20
	v_min_u32_e32 v23, 32, v23
	v_lshrrev_b32_e32 v21, 19, v14
	v_subrev_u32_e32 v24, 28, v23
	v_and_b32_e32 v21, 15, v21
	v_lshlrev_b32_sdwa v24, v24, v14 dst_sel:DWORD dst_unused:UNUSED_PAD src0_sel:DWORD src1_sel:WORD_1
	v_bfe_u32 v22, v14, 19, 4
	v_sub_u32_e32 v23, 29, v23
	v_and_b32_e32 v24, 7, v24
	v_cmp_eq_u16_e32 vcc, 0, v21
	v_cndmask_b32_e32 v20, v20, v24, vcc
	v_cndmask_b32_e32 v21, v22, v23, vcc
	v_lshlrev_b32_e32 v22, 8, v14
	v_mov_b32_e32 v23, 0x3b800000
	v_lshlrev_b32_e32 v20, 20, v20
	v_and_b32_e32 v22, 0x80000000, v22
	v_lshl_add_u32 v21, v21, 23, v23
	v_or3_b32 v20, v22, v21, v20
.LBB38_788:
	s_or_b64 exec, exec, s[6:7]
	s_movk_i32 s4, 0xff
	v_and_b32_sdwa v21, v10, s4 dst_sel:DWORD dst_unused:UNUSED_PAD src0_sel:WORD_1 src1_sel:DWORD
	s_movk_i32 s4, 0x7f
	v_cmp_lt_i16_e32 vcc, s4, v21
	s_mov_b64 s[4:5], 0
                                        ; implicit-def: $sgpr10
	s_and_saveexec_b64 s[6:7], vcc
	s_xor_b64 s[6:7], exec, s[6:7]
	s_cbranch_execnz .LBB38_2837
; %bb.789:
	s_or_saveexec_b64 s[6:7], s[6:7]
	v_mov_b32_e32 v22, s10
	s_xor_b64 exec, exec, s[6:7]
	s_cbranch_execnz .LBB38_2840
.LBB38_790:
	s_or_b64 exec, exec, s[6:7]
	s_and_saveexec_b64 s[6:7], s[4:5]
	s_cbranch_execz .LBB38_792
.LBB38_791:
	v_bfe_u32 v21, v10, 16, 3
	v_ffbh_u32_e32 v24, v21
	v_min_u32_e32 v24, 32, v24
	v_lshrrev_b32_e32 v22, 19, v10
	v_subrev_u32_e32 v25, 28, v24
	v_and_b32_e32 v22, 15, v22
	v_lshlrev_b32_sdwa v25, v25, v10 dst_sel:DWORD dst_unused:UNUSED_PAD src0_sel:DWORD src1_sel:WORD_1
	v_bfe_u32 v23, v10, 19, 4
	v_sub_u32_e32 v24, 29, v24
	v_and_b32_e32 v25, 7, v25
	v_cmp_eq_u16_e32 vcc, 0, v22
	v_cndmask_b32_e32 v21, v21, v25, vcc
	v_cndmask_b32_e32 v22, v23, v24, vcc
	v_lshlrev_b32_e32 v23, 8, v10
	v_mov_b32_e32 v24, 0x3b800000
	v_lshlrev_b32_e32 v21, 20, v21
	v_and_b32_e32 v23, 0x80000000, v23
	v_lshl_add_u32 v22, v22, 23, v24
	v_or3_b32 v22, v23, v22, v21
.LBB38_792:
	s_or_b64 exec, exec, s[6:7]
	s_nop 0
	v_mfma_f32_16x16x4f32 a[0:3], v20, v22, a[0:3]
	s_movk_i32 s4, 0x7f
	v_cmp_gt_i16_sdwa s[6:7], v14, s4 src0_sel:BYTE_3 src1_sel:DWORD
	s_mov_b64 s[4:5], 0
                                        ; implicit-def: $sgpr10
	s_and_saveexec_b64 s[8:9], s[6:7]
	s_xor_b64 s[6:7], exec, s[8:9]
	s_cbranch_execnz .LBB38_2841
; %bb.793:
	s_or_saveexec_b64 s[6:7], s[6:7]
	v_mov_b32_e32 v20, s10
	s_xor_b64 exec, exec, s[6:7]
	s_cbranch_execnz .LBB38_2844
.LBB38_794:
	s_or_b64 exec, exec, s[6:7]
	s_and_saveexec_b64 s[6:7], s[4:5]
	s_cbranch_execz .LBB38_796
.LBB38_795:
	v_bfe_u32 v20, v14, 24, 3
	v_ffbh_u32_e32 v24, v20
	v_min_u32_e32 v24, 32, v24
	v_lshrrev_b32_e32 v22, 27, v14
	v_subrev_u32_e32 v25, 28, v24
	v_and_b32_e32 v21, 0x80000000, v14
	v_and_b32_e32 v22, 15, v22
	v_bfe_u32 v23, v14, 27, 4
	v_lshlrev_b32_sdwa v14, v25, v14 dst_sel:DWORD dst_unused:UNUSED_PAD src0_sel:DWORD src1_sel:BYTE_3
	v_sub_u32_e32 v24, 29, v24
	v_and_b32_e32 v14, 7, v14
	v_cmp_eq_u16_e32 vcc, 0, v22
	v_cndmask_b32_e32 v14, v20, v14, vcc
	v_cndmask_b32_e32 v20, v23, v24, vcc
	v_mov_b32_e32 v22, 0x3b800000
	v_lshlrev_b32_e32 v14, 20, v14
	v_lshl_add_u32 v20, v20, 23, v22
	v_or3_b32 v20, v21, v20, v14
.LBB38_796:
	s_or_b64 exec, exec, s[6:7]
	s_movk_i32 s4, 0x7f
	v_cmp_gt_i16_sdwa s[6:7], v10, s4 src0_sel:BYTE_3 src1_sel:DWORD
	s_mov_b64 s[4:5], 0
                                        ; implicit-def: $sgpr10
	s_and_saveexec_b64 s[8:9], s[6:7]
	s_xor_b64 s[6:7], exec, s[8:9]
	s_cbranch_execnz .LBB38_2845
; %bb.797:
	s_or_saveexec_b64 s[6:7], s[6:7]
	v_mov_b32_e32 v14, s10
	s_xor_b64 exec, exec, s[6:7]
	s_cbranch_execnz .LBB38_2848
.LBB38_798:
	s_or_b64 exec, exec, s[6:7]
	s_and_saveexec_b64 s[6:7], s[4:5]
	s_cbranch_execz .LBB38_800
.LBB38_799:
	v_bfe_u32 v14, v10, 24, 3
	v_ffbh_u32_e32 v24, v14
	v_min_u32_e32 v24, 32, v24
	v_lshrrev_b32_e32 v22, 27, v10
	v_subrev_u32_e32 v25, 28, v24
	v_and_b32_e32 v21, 0x80000000, v10
	v_and_b32_e32 v22, 15, v22
	v_bfe_u32 v23, v10, 27, 4
	v_lshlrev_b32_sdwa v10, v25, v10 dst_sel:DWORD dst_unused:UNUSED_PAD src0_sel:DWORD src1_sel:BYTE_3
	v_sub_u32_e32 v24, 29, v24
	v_and_b32_e32 v10, 7, v10
	v_cmp_eq_u16_e32 vcc, 0, v22
	v_cndmask_b32_e32 v10, v14, v10, vcc
	v_cndmask_b32_e32 v14, v23, v24, vcc
	v_mov_b32_e32 v22, 0x3b800000
	v_lshlrev_b32_e32 v10, 20, v10
	v_lshl_add_u32 v14, v14, 23, v22
	v_or3_b32 v14, v21, v14, v10
.LBB38_800:
	s_or_b64 exec, exec, s[6:7]
	s_nop 0
	v_mfma_f32_16x16x4f32 a[0:3], v20, v14, a[0:3]
	s_movk_i32 s4, 0x7f
	v_cmp_gt_i16_sdwa s[6:7], v15, s4 src0_sel:BYTE_0 src1_sel:DWORD
	s_mov_b64 s[4:5], 0
                                        ; implicit-def: $sgpr10
	s_and_saveexec_b64 s[8:9], s[6:7]
	s_xor_b64 s[6:7], exec, s[8:9]
	s_cbranch_execnz .LBB38_2849
; %bb.801:
	s_or_saveexec_b64 s[6:7], s[6:7]
	v_mov_b32_e32 v10, s10
	s_xor_b64 exec, exec, s[6:7]
	s_cbranch_execnz .LBB38_2852
.LBB38_802:
	s_or_b64 exec, exec, s[6:7]
	s_and_saveexec_b64 s[6:7], s[4:5]
	s_cbranch_execz .LBB38_804
.LBB38_803:
	v_and_b32_e32 v10, 7, v15
	v_ffbh_u32_e32 v20, v10
	v_min_u32_e32 v20, 32, v20
	v_lshrrev_b16_e32 v14, 3, v15
	v_subrev_u32_e32 v21, 28, v20
	v_and_b32_e32 v14, 15, v14
	v_lshlrev_b32_e32 v21, v21, v15
	v_sub_u32_e32 v20, 29, v20
	v_and_b32_e32 v21, 7, v21
	v_cmp_eq_u16_e32 vcc, 0, v14
	v_cndmask_b32_e32 v10, v10, v21, vcc
	v_cndmask_b32_e32 v14, v14, v20, vcc
	v_lshlrev_b32_e32 v20, 24, v15
	v_mov_b32_e32 v21, 0x3b800000
	v_lshlrev_b32_e32 v10, 20, v10
	v_and_b32_e32 v20, 0x80000000, v20
	v_lshl_add_u32 v14, v14, 23, v21
	v_or3_b32 v10, v20, v14, v10
.LBB38_804:
	s_or_b64 exec, exec, s[6:7]
	s_movk_i32 s4, 0x7f
	v_cmp_gt_i16_sdwa s[6:7], v11, s4 src0_sel:BYTE_0 src1_sel:DWORD
	s_mov_b64 s[4:5], 0
                                        ; implicit-def: $sgpr10
	s_and_saveexec_b64 s[8:9], s[6:7]
	s_xor_b64 s[6:7], exec, s[8:9]
	s_cbranch_execnz .LBB38_2853
; %bb.805:
	s_or_saveexec_b64 s[6:7], s[6:7]
	v_mov_b32_e32 v14, s10
	s_xor_b64 exec, exec, s[6:7]
	s_cbranch_execnz .LBB38_2856
.LBB38_806:
	s_or_b64 exec, exec, s[6:7]
	s_and_saveexec_b64 s[6:7], s[4:5]
	s_cbranch_execz .LBB38_808
.LBB38_807:
	v_and_b32_e32 v14, 7, v11
	v_ffbh_u32_e32 v21, v14
	v_min_u32_e32 v21, 32, v21
	v_lshrrev_b16_e32 v20, 3, v11
	v_subrev_u32_e32 v22, 28, v21
	v_and_b32_e32 v20, 15, v20
	v_lshlrev_b32_e32 v22, v22, v11
	v_sub_u32_e32 v21, 29, v21
	v_and_b32_e32 v22, 7, v22
	v_cmp_eq_u16_e32 vcc, 0, v20
	v_cndmask_b32_e32 v14, v14, v22, vcc
	v_cndmask_b32_e32 v20, v20, v21, vcc
	v_lshlrev_b32_e32 v21, 24, v11
	v_mov_b32_e32 v22, 0x3b800000
	v_lshlrev_b32_e32 v14, 20, v14
	v_and_b32_e32 v21, 0x80000000, v21
	v_lshl_add_u32 v20, v20, 23, v22
	v_or3_b32 v14, v21, v20, v14
.LBB38_808:
	s_or_b64 exec, exec, s[6:7]
	s_nop 0
	v_mfma_f32_16x16x4f32 a[0:3], v10, v14, a[0:3]
	v_lshrrev_b32_e32 v14, 8, v15
	s_movk_i32 s4, 0x7f
	v_cmp_gt_i16_sdwa s[6:7], v14, s4 src0_sel:BYTE_0 src1_sel:DWORD
	s_mov_b64 s[4:5], 0
                                        ; implicit-def: $sgpr10
	s_and_saveexec_b64 s[8:9], s[6:7]
	s_xor_b64 s[6:7], exec, s[8:9]
	s_cbranch_execnz .LBB38_2857
; %bb.809:
	s_or_saveexec_b64 s[6:7], s[6:7]
	v_mov_b32_e32 v10, s10
	s_xor_b64 exec, exec, s[6:7]
	s_cbranch_execnz .LBB38_2860
.LBB38_810:
	s_or_b64 exec, exec, s[6:7]
	s_and_saveexec_b64 s[6:7], s[4:5]
	s_cbranch_execz .LBB38_812
.LBB38_811:
	v_bfe_u32 v10, v15, 8, 3
	v_ffbh_u32_e32 v21, v10
	v_min_u32_e32 v21, 32, v21
	v_lshrrev_b16_e32 v20, 3, v14
	v_subrev_u32_e32 v22, 28, v21
	v_and_b32_e32 v20, 15, v20
	v_lshlrev_b32_e32 v14, v22, v14
	v_sub_u32_e32 v21, 29, v21
	v_and_b32_e32 v14, 7, v14
	v_cmp_eq_u16_e32 vcc, 0, v20
	v_cndmask_b32_e32 v10, v10, v14, vcc
	v_cndmask_b32_e32 v14, v20, v21, vcc
	v_lshlrev_b32_e32 v20, 16, v15
	v_mov_b32_e32 v21, 0x3b800000
	v_lshlrev_b32_e32 v10, 20, v10
	v_and_b32_e32 v20, 0x80000000, v20
	v_lshl_add_u32 v14, v14, 23, v21
	v_or3_b32 v10, v20, v14, v10
.LBB38_812:
	s_or_b64 exec, exec, s[6:7]
	v_lshrrev_b32_e32 v14, 8, v11
	s_movk_i32 s4, 0x7f
	v_cmp_gt_i16_sdwa s[6:7], v14, s4 src0_sel:BYTE_0 src1_sel:DWORD
	s_mov_b64 s[4:5], 0
                                        ; implicit-def: $sgpr10
	s_and_saveexec_b64 s[8:9], s[6:7]
	s_xor_b64 s[6:7], exec, s[8:9]
	s_cbranch_execnz .LBB38_2861
; %bb.813:
	s_or_saveexec_b64 s[6:7], s[6:7]
	v_mov_b32_e32 v20, s10
	s_xor_b64 exec, exec, s[6:7]
	s_cbranch_execnz .LBB38_2864
.LBB38_814:
	s_or_b64 exec, exec, s[6:7]
	s_and_saveexec_b64 s[6:7], s[4:5]
	s_cbranch_execz .LBB38_816
.LBB38_815:
	v_bfe_u32 v20, v11, 8, 3
	v_ffbh_u32_e32 v22, v20
	v_min_u32_e32 v22, 32, v22
	v_lshrrev_b16_e32 v21, 3, v14
	v_subrev_u32_e32 v23, 28, v22
	v_and_b32_e32 v21, 15, v21
	v_lshlrev_b32_e32 v14, v23, v14
	v_sub_u32_e32 v22, 29, v22
	v_and_b32_e32 v14, 7, v14
	v_cmp_eq_u16_e32 vcc, 0, v21
	v_cndmask_b32_e32 v14, v20, v14, vcc
	v_cndmask_b32_e32 v20, v21, v22, vcc
	v_lshlrev_b32_e32 v21, 16, v11
	v_mov_b32_e32 v22, 0x3b800000
	v_lshlrev_b32_e32 v14, 20, v14
	v_and_b32_e32 v21, 0x80000000, v21
	v_lshl_add_u32 v20, v20, 23, v22
	v_or3_b32 v20, v21, v20, v14
.LBB38_816:
	s_or_b64 exec, exec, s[6:7]
	s_nop 0
	v_mfma_f32_16x16x4f32 a[0:3], v10, v20, a[0:3]
	s_movk_i32 s4, 0xff
	v_and_b32_sdwa v14, v15, s4 dst_sel:DWORD dst_unused:UNUSED_PAD src0_sel:WORD_1 src1_sel:DWORD
	s_movk_i32 s4, 0x7f
	v_cmp_lt_i16_e32 vcc, s4, v14
	s_mov_b64 s[4:5], 0
                                        ; implicit-def: $sgpr10
	s_and_saveexec_b64 s[6:7], vcc
	s_xor_b64 s[6:7], exec, s[6:7]
	s_cbranch_execnz .LBB38_2865
; %bb.817:
	s_or_saveexec_b64 s[6:7], s[6:7]
	v_mov_b32_e32 v10, s10
	s_xor_b64 exec, exec, s[6:7]
	s_cbranch_execnz .LBB38_2868
.LBB38_818:
	s_or_b64 exec, exec, s[6:7]
	s_and_saveexec_b64 s[6:7], s[4:5]
	s_cbranch_execz .LBB38_820
.LBB38_819:
	v_bfe_u32 v10, v15, 16, 3
	v_ffbh_u32_e32 v21, v10
	v_min_u32_e32 v21, 32, v21
	v_lshrrev_b32_e32 v14, 19, v15
	v_subrev_u32_e32 v22, 28, v21
	v_and_b32_e32 v14, 15, v14
	v_lshlrev_b32_sdwa v22, v22, v15 dst_sel:DWORD dst_unused:UNUSED_PAD src0_sel:DWORD src1_sel:WORD_1
	v_bfe_u32 v20, v15, 19, 4
	v_sub_u32_e32 v21, 29, v21
	v_and_b32_e32 v22, 7, v22
	v_cmp_eq_u16_e32 vcc, 0, v14
	v_cndmask_b32_e32 v10, v10, v22, vcc
	v_cndmask_b32_e32 v14, v20, v21, vcc
	v_lshlrev_b32_e32 v20, 8, v15
	v_mov_b32_e32 v21, 0x3b800000
	v_lshlrev_b32_e32 v10, 20, v10
	v_and_b32_e32 v20, 0x80000000, v20
	v_lshl_add_u32 v14, v14, 23, v21
	v_or3_b32 v10, v20, v14, v10
.LBB38_820:
	s_or_b64 exec, exec, s[6:7]
	s_movk_i32 s4, 0xff
	v_and_b32_sdwa v14, v11, s4 dst_sel:DWORD dst_unused:UNUSED_PAD src0_sel:WORD_1 src1_sel:DWORD
	s_movk_i32 s4, 0x7f
	v_cmp_lt_i16_e32 vcc, s4, v14
	s_mov_b64 s[4:5], 0
                                        ; implicit-def: $sgpr10
	s_and_saveexec_b64 s[6:7], vcc
	s_xor_b64 s[6:7], exec, s[6:7]
	s_cbranch_execnz .LBB38_2869
; %bb.821:
	s_or_saveexec_b64 s[6:7], s[6:7]
	v_mov_b32_e32 v20, s10
	s_xor_b64 exec, exec, s[6:7]
	s_cbranch_execnz .LBB38_2872
.LBB38_822:
	s_or_b64 exec, exec, s[6:7]
	s_and_saveexec_b64 s[6:7], s[4:5]
	s_cbranch_execz .LBB38_824
.LBB38_823:
	v_bfe_u32 v14, v11, 16, 3
	v_ffbh_u32_e32 v22, v14
	v_min_u32_e32 v22, 32, v22
	v_lshrrev_b32_e32 v20, 19, v11
	v_subrev_u32_e32 v23, 28, v22
	v_and_b32_e32 v20, 15, v20
	v_lshlrev_b32_sdwa v23, v23, v11 dst_sel:DWORD dst_unused:UNUSED_PAD src0_sel:DWORD src1_sel:WORD_1
	v_bfe_u32 v21, v11, 19, 4
	v_sub_u32_e32 v22, 29, v22
	v_and_b32_e32 v23, 7, v23
	v_cmp_eq_u16_e32 vcc, 0, v20
	v_cndmask_b32_e32 v14, v14, v23, vcc
	v_cndmask_b32_e32 v20, v21, v22, vcc
	v_lshlrev_b32_e32 v21, 8, v11
	v_mov_b32_e32 v22, 0x3b800000
	v_lshlrev_b32_e32 v14, 20, v14
	v_and_b32_e32 v21, 0x80000000, v21
	v_lshl_add_u32 v20, v20, 23, v22
	v_or3_b32 v20, v21, v20, v14
.LBB38_824:
	s_or_b64 exec, exec, s[6:7]
	s_nop 0
	v_mfma_f32_16x16x4f32 a[0:3], v10, v20, a[0:3]
	s_movk_i32 s4, 0x7f
	v_cmp_gt_i16_sdwa s[6:7], v15, s4 src0_sel:BYTE_3 src1_sel:DWORD
	s_mov_b64 s[4:5], 0
                                        ; implicit-def: $sgpr10
	s_and_saveexec_b64 s[8:9], s[6:7]
	s_xor_b64 s[6:7], exec, s[8:9]
	s_cbranch_execnz .LBB38_2873
; %bb.825:
	s_or_saveexec_b64 s[6:7], s[6:7]
	v_mov_b32_e32 v10, s10
	s_xor_b64 exec, exec, s[6:7]
	s_cbranch_execnz .LBB38_2876
.LBB38_826:
	s_or_b64 exec, exec, s[6:7]
	s_and_saveexec_b64 s[6:7], s[4:5]
	s_cbranch_execz .LBB38_828
.LBB38_827:
	v_bfe_u32 v10, v15, 24, 3
	v_ffbh_u32_e32 v22, v10
	v_min_u32_e32 v22, 32, v22
	v_lshrrev_b32_e32 v20, 27, v15
	v_subrev_u32_e32 v23, 28, v22
	v_and_b32_e32 v14, 0x80000000, v15
	v_and_b32_e32 v20, 15, v20
	v_bfe_u32 v21, v15, 27, 4
	v_lshlrev_b32_sdwa v15, v23, v15 dst_sel:DWORD dst_unused:UNUSED_PAD src0_sel:DWORD src1_sel:BYTE_3
	v_sub_u32_e32 v22, 29, v22
	v_and_b32_e32 v15, 7, v15
	v_cmp_eq_u16_e32 vcc, 0, v20
	v_cndmask_b32_e32 v10, v10, v15, vcc
	v_cndmask_b32_e32 v15, v21, v22, vcc
	v_mov_b32_e32 v20, 0x3b800000
	v_lshlrev_b32_e32 v10, 20, v10
	v_lshl_add_u32 v15, v15, 23, v20
	v_or3_b32 v10, v14, v15, v10
.LBB38_828:
	s_or_b64 exec, exec, s[6:7]
	s_movk_i32 s4, 0x7f
	v_cmp_gt_i16_sdwa s[6:7], v11, s4 src0_sel:BYTE_3 src1_sel:DWORD
	s_mov_b64 s[4:5], 0
                                        ; implicit-def: $sgpr10
	s_and_saveexec_b64 s[8:9], s[6:7]
	s_xor_b64 s[6:7], exec, s[8:9]
	s_cbranch_execnz .LBB38_2877
; %bb.829:
	s_or_saveexec_b64 s[6:7], s[6:7]
	v_mov_b32_e32 v14, s10
	s_xor_b64 exec, exec, s[6:7]
	s_cbranch_execnz .LBB38_2880
.LBB38_830:
	s_or_b64 exec, exec, s[6:7]
	s_and_saveexec_b64 s[6:7], s[4:5]
	s_cbranch_execz .LBB38_832
.LBB38_831:
	v_bfe_u32 v14, v11, 24, 3
	v_ffbh_u32_e32 v22, v14
	v_min_u32_e32 v22, 32, v22
	v_lshrrev_b32_e32 v20, 27, v11
	v_subrev_u32_e32 v23, 28, v22
	v_and_b32_e32 v15, 0x80000000, v11
	v_and_b32_e32 v20, 15, v20
	v_bfe_u32 v21, v11, 27, 4
	v_lshlrev_b32_sdwa v11, v23, v11 dst_sel:DWORD dst_unused:UNUSED_PAD src0_sel:DWORD src1_sel:BYTE_3
	v_sub_u32_e32 v22, 29, v22
	v_and_b32_e32 v11, 7, v11
	v_cmp_eq_u16_e32 vcc, 0, v20
	v_cndmask_b32_e32 v11, v14, v11, vcc
	v_cndmask_b32_e32 v14, v21, v22, vcc
	v_mov_b32_e32 v20, 0x3b800000
	v_lshlrev_b32_e32 v11, 20, v11
	v_lshl_add_u32 v14, v14, 23, v20
	v_or3_b32 v14, v15, v14, v11
.LBB38_832:
	s_or_b64 exec, exec, s[6:7]
	s_nop 0
	v_mfma_f32_16x16x4f32 a[0:3], v10, v14, a[0:3]
	s_movk_i32 s4, 0x7f
	v_cmp_gt_i16_sdwa s[6:7], v16, s4 src0_sel:BYTE_0 src1_sel:DWORD
	s_mov_b64 s[4:5], 0
                                        ; implicit-def: $sgpr10
	s_and_saveexec_b64 s[8:9], s[6:7]
	s_xor_b64 s[6:7], exec, s[8:9]
	s_cbranch_execnz .LBB38_2881
; %bb.833:
	s_or_saveexec_b64 s[6:7], s[6:7]
	v_mov_b32_e32 v10, s10
	s_xor_b64 exec, exec, s[6:7]
	s_cbranch_execnz .LBB38_2884
.LBB38_834:
	s_or_b64 exec, exec, s[6:7]
	s_and_saveexec_b64 s[6:7], s[4:5]
	s_cbranch_execz .LBB38_836
.LBB38_835:
	v_and_b32_e32 v10, 7, v16
	v_ffbh_u32_e32 v14, v10
	v_min_u32_e32 v14, 32, v14
	v_lshrrev_b16_e32 v11, 3, v16
	v_subrev_u32_e32 v15, 28, v14
	v_and_b32_e32 v11, 15, v11
	v_lshlrev_b32_e32 v15, v15, v16
	v_sub_u32_e32 v14, 29, v14
	v_and_b32_e32 v15, 7, v15
	v_cmp_eq_u16_e32 vcc, 0, v11
	v_cndmask_b32_e32 v10, v10, v15, vcc
	v_cndmask_b32_e32 v11, v11, v14, vcc
	v_lshlrev_b32_e32 v14, 24, v16
	v_mov_b32_e32 v15, 0x3b800000
	v_lshlrev_b32_e32 v10, 20, v10
	v_and_b32_e32 v14, 0x80000000, v14
	v_lshl_add_u32 v11, v11, 23, v15
	v_or3_b32 v10, v14, v11, v10
.LBB38_836:
	s_or_b64 exec, exec, s[6:7]
	s_movk_i32 s4, 0x7f
	v_cmp_gt_i16_sdwa s[6:7], v12, s4 src0_sel:BYTE_0 src1_sel:DWORD
	s_mov_b64 s[4:5], 0
                                        ; implicit-def: $sgpr10
	s_and_saveexec_b64 s[8:9], s[6:7]
	s_xor_b64 s[6:7], exec, s[8:9]
	s_cbranch_execnz .LBB38_2885
; %bb.837:
	s_or_saveexec_b64 s[6:7], s[6:7]
	v_mov_b32_e32 v11, s10
	s_xor_b64 exec, exec, s[6:7]
	s_cbranch_execnz .LBB38_2888
.LBB38_838:
	s_or_b64 exec, exec, s[6:7]
	s_and_saveexec_b64 s[6:7], s[4:5]
	s_cbranch_execz .LBB38_840
.LBB38_839:
	v_and_b32_e32 v11, 7, v12
	v_ffbh_u32_e32 v15, v11
	v_min_u32_e32 v15, 32, v15
	v_lshrrev_b16_e32 v14, 3, v12
	v_subrev_u32_e32 v20, 28, v15
	v_and_b32_e32 v14, 15, v14
	v_lshlrev_b32_e32 v20, v20, v12
	v_sub_u32_e32 v15, 29, v15
	v_and_b32_e32 v20, 7, v20
	v_cmp_eq_u16_e32 vcc, 0, v14
	v_cndmask_b32_e32 v11, v11, v20, vcc
	v_cndmask_b32_e32 v14, v14, v15, vcc
	v_lshlrev_b32_e32 v15, 24, v12
	v_mov_b32_e32 v20, 0x3b800000
	v_lshlrev_b32_e32 v11, 20, v11
	v_and_b32_e32 v15, 0x80000000, v15
	v_lshl_add_u32 v14, v14, 23, v20
	v_or3_b32 v11, v15, v14, v11
.LBB38_840:
	s_or_b64 exec, exec, s[6:7]
	s_nop 0
	v_mfma_f32_16x16x4f32 a[0:3], v10, v11, a[0:3]
	v_lshrrev_b32_e32 v11, 8, v16
	s_movk_i32 s4, 0x7f
	v_cmp_gt_i16_sdwa s[6:7], v11, s4 src0_sel:BYTE_0 src1_sel:DWORD
	s_mov_b64 s[4:5], 0
                                        ; implicit-def: $sgpr10
	s_and_saveexec_b64 s[8:9], s[6:7]
	s_xor_b64 s[6:7], exec, s[8:9]
	s_cbranch_execnz .LBB38_2889
; %bb.841:
	s_or_saveexec_b64 s[6:7], s[6:7]
	v_mov_b32_e32 v10, s10
	s_xor_b64 exec, exec, s[6:7]
	s_cbranch_execnz .LBB38_2892
.LBB38_842:
	s_or_b64 exec, exec, s[6:7]
	s_and_saveexec_b64 s[6:7], s[4:5]
	s_cbranch_execz .LBB38_844
.LBB38_843:
	v_bfe_u32 v10, v16, 8, 3
	v_ffbh_u32_e32 v15, v10
	v_min_u32_e32 v15, 32, v15
	v_lshrrev_b16_e32 v14, 3, v11
	v_subrev_u32_e32 v20, 28, v15
	v_and_b32_e32 v14, 15, v14
	v_lshlrev_b32_e32 v11, v20, v11
	v_sub_u32_e32 v15, 29, v15
	v_and_b32_e32 v11, 7, v11
	v_cmp_eq_u16_e32 vcc, 0, v14
	v_cndmask_b32_e32 v10, v10, v11, vcc
	v_cndmask_b32_e32 v11, v14, v15, vcc
	v_lshlrev_b32_e32 v14, 16, v16
	v_mov_b32_e32 v15, 0x3b800000
	v_lshlrev_b32_e32 v10, 20, v10
	v_and_b32_e32 v14, 0x80000000, v14
	v_lshl_add_u32 v11, v11, 23, v15
	v_or3_b32 v10, v14, v11, v10
.LBB38_844:
	s_or_b64 exec, exec, s[6:7]
	v_lshrrev_b32_e32 v11, 8, v12
	s_movk_i32 s4, 0x7f
	v_cmp_gt_i16_sdwa s[6:7], v11, s4 src0_sel:BYTE_0 src1_sel:DWORD
	s_mov_b64 s[4:5], 0
                                        ; implicit-def: $sgpr10
	s_and_saveexec_b64 s[8:9], s[6:7]
	s_xor_b64 s[6:7], exec, s[8:9]
	s_cbranch_execnz .LBB38_2893
; %bb.845:
	s_or_saveexec_b64 s[6:7], s[6:7]
	v_mov_b32_e32 v14, s10
	s_xor_b64 exec, exec, s[6:7]
	s_cbranch_execnz .LBB38_2896
.LBB38_846:
	s_or_b64 exec, exec, s[6:7]
	s_and_saveexec_b64 s[6:7], s[4:5]
	s_cbranch_execz .LBB38_848
.LBB38_847:
	v_bfe_u32 v14, v12, 8, 3
	v_ffbh_u32_e32 v20, v14
	v_min_u32_e32 v20, 32, v20
	v_lshrrev_b16_e32 v15, 3, v11
	v_subrev_u32_e32 v21, 28, v20
	v_and_b32_e32 v15, 15, v15
	v_lshlrev_b32_e32 v11, v21, v11
	v_sub_u32_e32 v20, 29, v20
	v_and_b32_e32 v11, 7, v11
	v_cmp_eq_u16_e32 vcc, 0, v15
	v_cndmask_b32_e32 v11, v14, v11, vcc
	v_cndmask_b32_e32 v14, v15, v20, vcc
	v_lshlrev_b32_e32 v15, 16, v12
	v_mov_b32_e32 v20, 0x3b800000
	v_lshlrev_b32_e32 v11, 20, v11
	v_and_b32_e32 v15, 0x80000000, v15
	v_lshl_add_u32 v14, v14, 23, v20
	v_or3_b32 v14, v15, v14, v11
.LBB38_848:
	s_or_b64 exec, exec, s[6:7]
	s_nop 0
	v_mfma_f32_16x16x4f32 a[0:3], v10, v14, a[0:3]
	s_movk_i32 s4, 0xff
	v_and_b32_sdwa v11, v16, s4 dst_sel:DWORD dst_unused:UNUSED_PAD src0_sel:WORD_1 src1_sel:DWORD
	s_movk_i32 s4, 0x7f
	v_cmp_lt_i16_e32 vcc, s4, v11
	s_mov_b64 s[4:5], 0
                                        ; implicit-def: $sgpr10
	s_and_saveexec_b64 s[6:7], vcc
	s_xor_b64 s[6:7], exec, s[6:7]
	s_cbranch_execnz .LBB38_2897
; %bb.849:
	s_or_saveexec_b64 s[6:7], s[6:7]
	v_mov_b32_e32 v10, s10
	s_xor_b64 exec, exec, s[6:7]
	s_cbranch_execnz .LBB38_2900
.LBB38_850:
	s_or_b64 exec, exec, s[6:7]
	s_and_saveexec_b64 s[6:7], s[4:5]
	s_cbranch_execz .LBB38_852
.LBB38_851:
	v_bfe_u32 v10, v16, 16, 3
	v_ffbh_u32_e32 v15, v10
	v_min_u32_e32 v15, 32, v15
	v_lshrrev_b32_e32 v11, 19, v16
	v_subrev_u32_e32 v20, 28, v15
	v_and_b32_e32 v11, 15, v11
	v_lshlrev_b32_sdwa v20, v20, v16 dst_sel:DWORD dst_unused:UNUSED_PAD src0_sel:DWORD src1_sel:WORD_1
	v_bfe_u32 v14, v16, 19, 4
	v_sub_u32_e32 v15, 29, v15
	v_and_b32_e32 v20, 7, v20
	v_cmp_eq_u16_e32 vcc, 0, v11
	v_cndmask_b32_e32 v10, v10, v20, vcc
	v_cndmask_b32_e32 v11, v14, v15, vcc
	v_lshlrev_b32_e32 v14, 8, v16
	v_mov_b32_e32 v15, 0x3b800000
	v_lshlrev_b32_e32 v10, 20, v10
	v_and_b32_e32 v14, 0x80000000, v14
	v_lshl_add_u32 v11, v11, 23, v15
	v_or3_b32 v10, v14, v11, v10
.LBB38_852:
	s_or_b64 exec, exec, s[6:7]
	s_movk_i32 s4, 0xff
	v_and_b32_sdwa v11, v12, s4 dst_sel:DWORD dst_unused:UNUSED_PAD src0_sel:WORD_1 src1_sel:DWORD
	s_movk_i32 s4, 0x7f
	v_cmp_lt_i16_e32 vcc, s4, v11
	s_mov_b64 s[4:5], 0
                                        ; implicit-def: $sgpr10
	s_and_saveexec_b64 s[6:7], vcc
	s_xor_b64 s[6:7], exec, s[6:7]
	s_cbranch_execnz .LBB38_2901
; %bb.853:
	s_or_saveexec_b64 s[6:7], s[6:7]
	v_mov_b32_e32 v14, s10
	s_xor_b64 exec, exec, s[6:7]
	s_cbranch_execnz .LBB38_2904
.LBB38_854:
	s_or_b64 exec, exec, s[6:7]
	s_and_saveexec_b64 s[6:7], s[4:5]
	s_cbranch_execz .LBB38_856
.LBB38_855:
	v_bfe_u32 v11, v12, 16, 3
	v_ffbh_u32_e32 v20, v11
	v_min_u32_e32 v20, 32, v20
	v_lshrrev_b32_e32 v14, 19, v12
	v_subrev_u32_e32 v21, 28, v20
	v_and_b32_e32 v14, 15, v14
	v_lshlrev_b32_sdwa v21, v21, v12 dst_sel:DWORD dst_unused:UNUSED_PAD src0_sel:DWORD src1_sel:WORD_1
	v_bfe_u32 v15, v12, 19, 4
	v_sub_u32_e32 v20, 29, v20
	v_and_b32_e32 v21, 7, v21
	v_cmp_eq_u16_e32 vcc, 0, v14
	v_cndmask_b32_e32 v11, v11, v21, vcc
	v_cndmask_b32_e32 v14, v15, v20, vcc
	v_lshlrev_b32_e32 v15, 8, v12
	v_mov_b32_e32 v20, 0x3b800000
	v_lshlrev_b32_e32 v11, 20, v11
	v_and_b32_e32 v15, 0x80000000, v15
	v_lshl_add_u32 v14, v14, 23, v20
	v_or3_b32 v14, v15, v14, v11
.LBB38_856:
	s_or_b64 exec, exec, s[6:7]
	s_nop 0
	v_mfma_f32_16x16x4f32 a[0:3], v10, v14, a[0:3]
	s_movk_i32 s4, 0x7f
	v_cmp_gt_i16_sdwa s[6:7], v16, s4 src0_sel:BYTE_3 src1_sel:DWORD
	s_mov_b64 s[4:5], 0
                                        ; implicit-def: $sgpr10
	s_and_saveexec_b64 s[8:9], s[6:7]
	s_xor_b64 s[6:7], exec, s[8:9]
	s_cbranch_execnz .LBB38_2905
; %bb.857:
	s_or_saveexec_b64 s[6:7], s[6:7]
	v_mov_b32_e32 v10, s10
	s_xor_b64 exec, exec, s[6:7]
	s_cbranch_execnz .LBB38_2908
.LBB38_858:
	s_or_b64 exec, exec, s[6:7]
	s_and_saveexec_b64 s[6:7], s[4:5]
	s_cbranch_execz .LBB38_860
.LBB38_859:
	v_bfe_u32 v10, v16, 24, 3
	v_ffbh_u32_e32 v20, v10
	v_min_u32_e32 v20, 32, v20
	v_lshrrev_b32_e32 v14, 27, v16
	v_subrev_u32_e32 v21, 28, v20
	v_and_b32_e32 v11, 0x80000000, v16
	v_and_b32_e32 v14, 15, v14
	v_bfe_u32 v15, v16, 27, 4
	v_lshlrev_b32_sdwa v16, v21, v16 dst_sel:DWORD dst_unused:UNUSED_PAD src0_sel:DWORD src1_sel:BYTE_3
	v_sub_u32_e32 v20, 29, v20
	v_and_b32_e32 v16, 7, v16
	v_cmp_eq_u16_e32 vcc, 0, v14
	v_cndmask_b32_e32 v10, v10, v16, vcc
	v_cndmask_b32_e32 v14, v15, v20, vcc
	v_mov_b32_e32 v15, 0x3b800000
	v_lshlrev_b32_e32 v10, 20, v10
	v_lshl_add_u32 v14, v14, 23, v15
	v_or3_b32 v10, v11, v14, v10
.LBB38_860:
	s_or_b64 exec, exec, s[6:7]
	s_movk_i32 s4, 0x7f
	v_cmp_gt_i16_sdwa s[6:7], v12, s4 src0_sel:BYTE_3 src1_sel:DWORD
	s_mov_b64 s[4:5], 0
                                        ; implicit-def: $sgpr10
	s_and_saveexec_b64 s[8:9], s[6:7]
	s_xor_b64 s[6:7], exec, s[8:9]
	s_cbranch_execnz .LBB38_2909
; %bb.861:
	s_or_saveexec_b64 s[6:7], s[6:7]
	v_mov_b32_e32 v11, s10
	s_xor_b64 exec, exec, s[6:7]
	s_cbranch_execnz .LBB38_2912
.LBB38_862:
	s_or_b64 exec, exec, s[6:7]
	s_and_saveexec_b64 s[6:7], s[4:5]
	s_cbranch_execz .LBB38_864
.LBB38_863:
	v_bfe_u32 v11, v12, 24, 3
	v_ffbh_u32_e32 v20, v11
	v_min_u32_e32 v20, 32, v20
	v_lshrrev_b32_e32 v15, 27, v12
	v_subrev_u32_e32 v21, 28, v20
	v_and_b32_e32 v14, 0x80000000, v12
	v_and_b32_e32 v15, 15, v15
	v_bfe_u32 v16, v12, 27, 4
	v_lshlrev_b32_sdwa v12, v21, v12 dst_sel:DWORD dst_unused:UNUSED_PAD src0_sel:DWORD src1_sel:BYTE_3
	v_sub_u32_e32 v20, 29, v20
	v_and_b32_e32 v12, 7, v12
	v_cmp_eq_u16_e32 vcc, 0, v15
	v_cndmask_b32_e32 v11, v11, v12, vcc
	v_cndmask_b32_e32 v12, v16, v20, vcc
	v_mov_b32_e32 v15, 0x3b800000
	v_lshlrev_b32_e32 v11, 20, v11
	v_lshl_add_u32 v12, v12, 23, v15
	v_or3_b32 v11, v14, v12, v11
.LBB38_864:
	s_or_b64 exec, exec, s[6:7]
	s_nop 0
	v_mfma_f32_16x16x4f32 a[0:3], v10, v11, a[0:3]
	s_movk_i32 s4, 0x7f
	v_cmp_gt_i16_sdwa s[6:7], v17, s4 src0_sel:BYTE_0 src1_sel:DWORD
	s_mov_b64 s[4:5], 0
                                        ; implicit-def: $sgpr10
	s_and_saveexec_b64 s[8:9], s[6:7]
	s_xor_b64 s[6:7], exec, s[8:9]
	s_cbranch_execnz .LBB38_2913
; %bb.865:
	s_or_saveexec_b64 s[6:7], s[6:7]
	v_mov_b32_e32 v10, s10
	s_xor_b64 exec, exec, s[6:7]
	s_cbranch_execnz .LBB38_2916
.LBB38_866:
	s_or_b64 exec, exec, s[6:7]
	s_and_saveexec_b64 s[6:7], s[4:5]
	s_cbranch_execz .LBB38_868
.LBB38_867:
	v_and_b32_e32 v10, 7, v17
	v_ffbh_u32_e32 v12, v10
	v_min_u32_e32 v12, 32, v12
	v_lshrrev_b16_e32 v11, 3, v17
	v_subrev_u32_e32 v14, 28, v12
	v_and_b32_e32 v11, 15, v11
	v_lshlrev_b32_e32 v14, v14, v17
	v_sub_u32_e32 v12, 29, v12
	v_and_b32_e32 v14, 7, v14
	v_cmp_eq_u16_e32 vcc, 0, v11
	v_cndmask_b32_e32 v10, v10, v14, vcc
	v_cndmask_b32_e32 v11, v11, v12, vcc
	v_lshlrev_b32_e32 v12, 24, v17
	v_mov_b32_e32 v14, 0x3b800000
	v_lshlrev_b32_e32 v10, 20, v10
	v_and_b32_e32 v12, 0x80000000, v12
	v_lshl_add_u32 v11, v11, 23, v14
	v_or3_b32 v10, v12, v11, v10
.LBB38_868:
	s_or_b64 exec, exec, s[6:7]
	s_movk_i32 s4, 0x7f
	v_cmp_gt_i16_sdwa s[6:7], v13, s4 src0_sel:BYTE_0 src1_sel:DWORD
	s_mov_b64 s[4:5], 0
                                        ; implicit-def: $sgpr10
	s_and_saveexec_b64 s[8:9], s[6:7]
	s_xor_b64 s[6:7], exec, s[8:9]
	s_cbranch_execnz .LBB38_2917
; %bb.869:
	s_or_saveexec_b64 s[6:7], s[6:7]
	v_mov_b32_e32 v11, s10
	s_xor_b64 exec, exec, s[6:7]
	s_cbranch_execnz .LBB38_2920
.LBB38_870:
	s_or_b64 exec, exec, s[6:7]
	s_and_saveexec_b64 s[6:7], s[4:5]
	s_cbranch_execz .LBB38_872
.LBB38_871:
	v_and_b32_e32 v11, 7, v13
	v_ffbh_u32_e32 v14, v11
	v_min_u32_e32 v14, 32, v14
	v_lshrrev_b16_e32 v12, 3, v13
	v_subrev_u32_e32 v15, 28, v14
	v_and_b32_e32 v12, 15, v12
	v_lshlrev_b32_e32 v15, v15, v13
	v_sub_u32_e32 v14, 29, v14
	v_and_b32_e32 v15, 7, v15
	v_cmp_eq_u16_e32 vcc, 0, v12
	v_cndmask_b32_e32 v11, v11, v15, vcc
	v_cndmask_b32_e32 v12, v12, v14, vcc
	v_lshlrev_b32_e32 v14, 24, v13
	v_mov_b32_e32 v15, 0x3b800000
	v_lshlrev_b32_e32 v11, 20, v11
	v_and_b32_e32 v14, 0x80000000, v14
	v_lshl_add_u32 v12, v12, 23, v15
	v_or3_b32 v11, v14, v12, v11
.LBB38_872:
	s_or_b64 exec, exec, s[6:7]
	s_nop 0
	v_mfma_f32_16x16x4f32 a[0:3], v10, v11, a[0:3]
	v_lshrrev_b32_e32 v11, 8, v17
	s_movk_i32 s4, 0x7f
	v_cmp_gt_i16_sdwa s[6:7], v11, s4 src0_sel:BYTE_0 src1_sel:DWORD
	s_mov_b64 s[4:5], 0
                                        ; implicit-def: $sgpr10
	s_and_saveexec_b64 s[8:9], s[6:7]
	s_xor_b64 s[6:7], exec, s[8:9]
	s_cbranch_execnz .LBB38_2921
; %bb.873:
	s_or_saveexec_b64 s[6:7], s[6:7]
	v_mov_b32_e32 v10, s10
	s_xor_b64 exec, exec, s[6:7]
	s_cbranch_execnz .LBB38_2924
.LBB38_874:
	s_or_b64 exec, exec, s[6:7]
	s_and_saveexec_b64 s[6:7], s[4:5]
	s_cbranch_execz .LBB38_876
.LBB38_875:
	v_bfe_u32 v10, v17, 8, 3
	v_ffbh_u32_e32 v14, v10
	v_min_u32_e32 v14, 32, v14
	v_lshrrev_b16_e32 v12, 3, v11
	v_subrev_u32_e32 v15, 28, v14
	v_and_b32_e32 v12, 15, v12
	v_lshlrev_b32_e32 v11, v15, v11
	v_sub_u32_e32 v14, 29, v14
	v_and_b32_e32 v11, 7, v11
	v_cmp_eq_u16_e32 vcc, 0, v12
	v_cndmask_b32_e32 v10, v10, v11, vcc
	v_cndmask_b32_e32 v11, v12, v14, vcc
	v_lshlrev_b32_e32 v12, 16, v17
	v_mov_b32_e32 v14, 0x3b800000
	v_lshlrev_b32_e32 v10, 20, v10
	v_and_b32_e32 v12, 0x80000000, v12
	v_lshl_add_u32 v11, v11, 23, v14
	v_or3_b32 v10, v12, v11, v10
.LBB38_876:
	s_or_b64 exec, exec, s[6:7]
	v_lshrrev_b32_e32 v11, 8, v13
	s_movk_i32 s4, 0x7f
	v_cmp_gt_i16_sdwa s[6:7], v11, s4 src0_sel:BYTE_0 src1_sel:DWORD
	s_mov_b64 s[4:5], 0
                                        ; implicit-def: $sgpr10
	s_and_saveexec_b64 s[8:9], s[6:7]
	s_xor_b64 s[6:7], exec, s[8:9]
	s_cbranch_execnz .LBB38_2925
; %bb.877:
	s_or_saveexec_b64 s[6:7], s[6:7]
	v_mov_b32_e32 v12, s10
	s_xor_b64 exec, exec, s[6:7]
	s_cbranch_execnz .LBB38_2928
.LBB38_878:
	s_or_b64 exec, exec, s[6:7]
	s_and_saveexec_b64 s[6:7], s[4:5]
	s_cbranch_execz .LBB38_880
.LBB38_879:
	v_bfe_u32 v12, v13, 8, 3
	v_ffbh_u32_e32 v15, v12
	v_min_u32_e32 v15, 32, v15
	v_lshrrev_b16_e32 v14, 3, v11
	v_subrev_u32_e32 v16, 28, v15
	v_and_b32_e32 v14, 15, v14
	v_lshlrev_b32_e32 v11, v16, v11
	v_sub_u32_e32 v15, 29, v15
	v_and_b32_e32 v11, 7, v11
	v_cmp_eq_u16_e32 vcc, 0, v14
	v_cndmask_b32_e32 v11, v12, v11, vcc
	v_cndmask_b32_e32 v12, v14, v15, vcc
	v_lshlrev_b32_e32 v14, 16, v13
	v_mov_b32_e32 v15, 0x3b800000
	v_lshlrev_b32_e32 v11, 20, v11
	v_and_b32_e32 v14, 0x80000000, v14
	v_lshl_add_u32 v12, v12, 23, v15
	v_or3_b32 v12, v14, v12, v11
.LBB38_880:
	s_or_b64 exec, exec, s[6:7]
	s_nop 0
	v_mfma_f32_16x16x4f32 a[0:3], v10, v12, a[0:3]
	s_movk_i32 s4, 0xff
	v_and_b32_sdwa v11, v17, s4 dst_sel:DWORD dst_unused:UNUSED_PAD src0_sel:WORD_1 src1_sel:DWORD
	s_movk_i32 s4, 0x7f
	v_cmp_lt_i16_e32 vcc, s4, v11
	s_mov_b64 s[4:5], 0
                                        ; implicit-def: $sgpr10
	s_and_saveexec_b64 s[6:7], vcc
	s_xor_b64 s[6:7], exec, s[6:7]
	s_cbranch_execnz .LBB38_2929
; %bb.881:
	s_or_saveexec_b64 s[6:7], s[6:7]
	v_mov_b32_e32 v10, s10
	s_xor_b64 exec, exec, s[6:7]
	s_cbranch_execnz .LBB38_2932
.LBB38_882:
	s_or_b64 exec, exec, s[6:7]
	s_and_saveexec_b64 s[6:7], s[4:5]
	s_cbranch_execz .LBB38_884
.LBB38_883:
	v_bfe_u32 v10, v17, 16, 3
	v_ffbh_u32_e32 v14, v10
	v_min_u32_e32 v14, 32, v14
	v_lshrrev_b32_e32 v11, 19, v17
	v_subrev_u32_e32 v15, 28, v14
	v_and_b32_e32 v11, 15, v11
	v_lshlrev_b32_sdwa v15, v15, v17 dst_sel:DWORD dst_unused:UNUSED_PAD src0_sel:DWORD src1_sel:WORD_1
	v_bfe_u32 v12, v17, 19, 4
	v_sub_u32_e32 v14, 29, v14
	v_and_b32_e32 v15, 7, v15
	v_cmp_eq_u16_e32 vcc, 0, v11
	v_cndmask_b32_e32 v10, v10, v15, vcc
	v_cndmask_b32_e32 v11, v12, v14, vcc
	v_lshlrev_b32_e32 v12, 8, v17
	v_mov_b32_e32 v14, 0x3b800000
	v_lshlrev_b32_e32 v10, 20, v10
	v_and_b32_e32 v12, 0x80000000, v12
	v_lshl_add_u32 v11, v11, 23, v14
	v_or3_b32 v10, v12, v11, v10
.LBB38_884:
	s_or_b64 exec, exec, s[6:7]
	s_movk_i32 s4, 0xff
	v_and_b32_sdwa v11, v13, s4 dst_sel:DWORD dst_unused:UNUSED_PAD src0_sel:WORD_1 src1_sel:DWORD
	s_movk_i32 s4, 0x7f
	v_cmp_lt_i16_e32 vcc, s4, v11
	s_mov_b64 s[4:5], 0
                                        ; implicit-def: $sgpr10
	s_and_saveexec_b64 s[6:7], vcc
	s_xor_b64 s[6:7], exec, s[6:7]
	s_cbranch_execnz .LBB38_2933
; %bb.885:
	s_or_saveexec_b64 s[6:7], s[6:7]
	v_mov_b32_e32 v12, s10
	s_xor_b64 exec, exec, s[6:7]
	s_cbranch_execnz .LBB38_2936
.LBB38_886:
	s_or_b64 exec, exec, s[6:7]
	s_and_saveexec_b64 s[6:7], s[4:5]
	s_cbranch_execz .LBB38_888
.LBB38_887:
	v_bfe_u32 v11, v13, 16, 3
	v_ffbh_u32_e32 v15, v11
	v_min_u32_e32 v15, 32, v15
	v_lshrrev_b32_e32 v12, 19, v13
	v_subrev_u32_e32 v16, 28, v15
	v_and_b32_e32 v12, 15, v12
	v_lshlrev_b32_sdwa v16, v16, v13 dst_sel:DWORD dst_unused:UNUSED_PAD src0_sel:DWORD src1_sel:WORD_1
	v_bfe_u32 v14, v13, 19, 4
	v_sub_u32_e32 v15, 29, v15
	v_and_b32_e32 v16, 7, v16
	v_cmp_eq_u16_e32 vcc, 0, v12
	v_cndmask_b32_e32 v11, v11, v16, vcc
	v_cndmask_b32_e32 v12, v14, v15, vcc
	v_lshlrev_b32_e32 v14, 8, v13
	v_mov_b32_e32 v15, 0x3b800000
	v_lshlrev_b32_e32 v11, 20, v11
	v_and_b32_e32 v14, 0x80000000, v14
	v_lshl_add_u32 v12, v12, 23, v15
	v_or3_b32 v12, v14, v12, v11
.LBB38_888:
	s_or_b64 exec, exec, s[6:7]
	s_nop 0
	v_mfma_f32_16x16x4f32 a[0:3], v10, v12, a[0:3]
	s_movk_i32 s4, 0x7f
	v_cmp_gt_i16_sdwa s[6:7], v17, s4 src0_sel:BYTE_3 src1_sel:DWORD
	s_mov_b64 s[4:5], 0
                                        ; implicit-def: $sgpr10
	s_and_saveexec_b64 s[8:9], s[6:7]
	s_xor_b64 s[6:7], exec, s[8:9]
	s_cbranch_execnz .LBB38_2937
; %bb.889:
	s_or_saveexec_b64 s[6:7], s[6:7]
	v_mov_b32_e32 v10, s10
	s_xor_b64 exec, exec, s[6:7]
	s_cbranch_execnz .LBB38_2940
.LBB38_890:
	s_or_b64 exec, exec, s[6:7]
	s_and_saveexec_b64 s[6:7], s[4:5]
	s_cbranch_execz .LBB38_892
.LBB38_891:
	v_bfe_u32 v10, v17, 24, 3
	v_ffbh_u32_e32 v15, v10
	v_min_u32_e32 v15, 32, v15
	v_lshrrev_b32_e32 v12, 27, v17
	v_subrev_u32_e32 v16, 28, v15
	v_and_b32_e32 v12, 15, v12
	v_lshlrev_b32_sdwa v16, v16, v17 dst_sel:DWORD dst_unused:UNUSED_PAD src0_sel:DWORD src1_sel:BYTE_3
	v_bfe_u32 v14, v17, 27, 4
	v_sub_u32_e32 v15, 29, v15
	v_and_b32_e32 v16, 7, v16
	v_cmp_eq_u16_e32 vcc, 0, v12
	v_cndmask_b32_e32 v10, v10, v16, vcc
	v_cndmask_b32_e32 v12, v14, v15, vcc
	v_mov_b32_e32 v14, 0x3b800000
	v_and_b32_e32 v11, 0x80000000, v17
	v_lshlrev_b32_e32 v10, 20, v10
	v_lshl_add_u32 v12, v12, 23, v14
	v_or3_b32 v10, v11, v12, v10
.LBB38_892:
	s_or_b64 exec, exec, s[6:7]
	s_movk_i32 s4, 0x7f
	v_cmp_gt_i16_sdwa s[6:7], v13, s4 src0_sel:BYTE_3 src1_sel:DWORD
	s_mov_b64 s[4:5], 0
                                        ; implicit-def: $sgpr10
	s_and_saveexec_b64 s[8:9], s[6:7]
	s_xor_b64 s[6:7], exec, s[8:9]
	s_cbranch_execnz .LBB38_2941
; %bb.893:
	s_or_saveexec_b64 s[6:7], s[6:7]
	v_mov_b32_e32 v11, s10
	s_xor_b64 exec, exec, s[6:7]
	s_cbranch_execnz .LBB38_2944
.LBB38_894:
	s_or_b64 exec, exec, s[6:7]
	s_and_saveexec_b64 s[6:7], s[4:5]
	s_cbranch_execz .LBB38_896
.LBB38_895:
	v_bfe_u32 v11, v13, 24, 3
	v_ffbh_u32_e32 v16, v11
	v_min_u32_e32 v16, 32, v16
	v_lshrrev_b32_e32 v14, 27, v13
	v_subrev_u32_e32 v17, 28, v16
	v_and_b32_e32 v12, 0x80000000, v13
	v_and_b32_e32 v14, 15, v14
	v_bfe_u32 v15, v13, 27, 4
	v_lshlrev_b32_sdwa v13, v17, v13 dst_sel:DWORD dst_unused:UNUSED_PAD src0_sel:DWORD src1_sel:BYTE_3
	v_sub_u32_e32 v16, 29, v16
	v_and_b32_e32 v13, 7, v13
	v_cmp_eq_u16_e32 vcc, 0, v14
	v_cndmask_b32_e32 v11, v11, v13, vcc
	v_cndmask_b32_e32 v13, v15, v16, vcc
	v_mov_b32_e32 v14, 0x3b800000
	v_lshlrev_b32_e32 v11, 20, v11
	v_lshl_add_u32 v13, v13, 23, v14
	v_or3_b32 v11, v12, v13, v11
.LBB38_896:
	s_or_b64 exec, exec, s[6:7]
	s_nop 0
	v_mfma_f32_16x16x4f32 a[0:3], v10, v11, a[0:3]
	s_movk_i32 s4, 0x7f
	v_cmp_gt_i16_sdwa s[6:7], v6, s4 src0_sel:BYTE_0 src1_sel:DWORD
	s_mov_b64 s[4:5], 0
                                        ; implicit-def: $sgpr10
	s_and_saveexec_b64 s[8:9], s[6:7]
	s_xor_b64 s[6:7], exec, s[8:9]
	s_cbranch_execnz .LBB38_2945
; %bb.897:
	s_or_saveexec_b64 s[6:7], s[6:7]
	v_mov_b32_e32 v10, s10
	s_xor_b64 exec, exec, s[6:7]
	s_cbranch_execnz .LBB38_2948
.LBB38_898:
	s_or_b64 exec, exec, s[6:7]
	s_and_saveexec_b64 s[6:7], s[4:5]
	s_cbranch_execz .LBB38_900
.LBB38_899:
	v_and_b32_e32 v10, 7, v6
	v_ffbh_u32_e32 v12, v10
	v_min_u32_e32 v12, 32, v12
	v_lshrrev_b16_e32 v11, 3, v6
	v_subrev_u32_e32 v13, 28, v12
	v_and_b32_e32 v11, 15, v11
	v_lshlrev_b32_e32 v13, v13, v6
	v_sub_u32_e32 v12, 29, v12
	v_and_b32_e32 v13, 7, v13
	v_cmp_eq_u16_e32 vcc, 0, v11
	v_cndmask_b32_e32 v10, v10, v13, vcc
	v_cndmask_b32_e32 v11, v11, v12, vcc
	v_lshlrev_b32_e32 v12, 24, v6
	v_mov_b32_e32 v13, 0x3b800000
	v_lshlrev_b32_e32 v10, 20, v10
	v_and_b32_e32 v12, 0x80000000, v12
	v_lshl_add_u32 v11, v11, 23, v13
	v_or3_b32 v10, v12, v11, v10
.LBB38_900:
	s_or_b64 exec, exec, s[6:7]
	s_movk_i32 s4, 0x7f
	v_cmp_gt_i16_sdwa s[6:7], v2, s4 src0_sel:BYTE_0 src1_sel:DWORD
	s_mov_b64 s[4:5], 0
                                        ; implicit-def: $sgpr10
	s_and_saveexec_b64 s[8:9], s[6:7]
	s_xor_b64 s[6:7], exec, s[8:9]
	s_cbranch_execnz .LBB38_2949
; %bb.901:
	s_or_saveexec_b64 s[6:7], s[6:7]
	v_mov_b32_e32 v11, s10
	s_xor_b64 exec, exec, s[6:7]
	s_cbranch_execnz .LBB38_2952
.LBB38_902:
	s_or_b64 exec, exec, s[6:7]
	s_and_saveexec_b64 s[6:7], s[4:5]
	s_cbranch_execz .LBB38_904
.LBB38_903:
	v_and_b32_e32 v11, 7, v2
	v_ffbh_u32_e32 v13, v11
	v_min_u32_e32 v13, 32, v13
	v_lshrrev_b16_e32 v12, 3, v2
	v_subrev_u32_e32 v14, 28, v13
	v_and_b32_e32 v12, 15, v12
	v_lshlrev_b32_e32 v14, v14, v2
	v_sub_u32_e32 v13, 29, v13
	v_and_b32_e32 v14, 7, v14
	v_cmp_eq_u16_e32 vcc, 0, v12
	v_cndmask_b32_e32 v11, v11, v14, vcc
	v_cndmask_b32_e32 v12, v12, v13, vcc
	v_lshlrev_b32_e32 v13, 24, v2
	v_mov_b32_e32 v14, 0x3b800000
	v_lshlrev_b32_e32 v11, 20, v11
	v_and_b32_e32 v13, 0x80000000, v13
	v_lshl_add_u32 v12, v12, 23, v14
	v_or3_b32 v11, v13, v12, v11
.LBB38_904:
	s_or_b64 exec, exec, s[6:7]
	s_nop 0
	v_mfma_f32_16x16x4f32 a[0:3], v10, v11, a[0:3]
	v_lshrrev_b32_e32 v11, 8, v6
	s_movk_i32 s4, 0x7f
	v_cmp_gt_i16_sdwa s[6:7], v11, s4 src0_sel:BYTE_0 src1_sel:DWORD
	s_mov_b64 s[4:5], 0
                                        ; implicit-def: $sgpr10
	s_and_saveexec_b64 s[8:9], s[6:7]
	s_xor_b64 s[6:7], exec, s[8:9]
	s_cbranch_execnz .LBB38_2953
; %bb.905:
	s_or_saveexec_b64 s[6:7], s[6:7]
	v_mov_b32_e32 v10, s10
	s_xor_b64 exec, exec, s[6:7]
	s_cbranch_execnz .LBB38_2956
.LBB38_906:
	s_or_b64 exec, exec, s[6:7]
	s_and_saveexec_b64 s[6:7], s[4:5]
	s_cbranch_execz .LBB38_908
.LBB38_907:
	v_bfe_u32 v10, v6, 8, 3
	v_ffbh_u32_e32 v13, v10
	v_min_u32_e32 v13, 32, v13
	v_lshrrev_b16_e32 v12, 3, v11
	v_subrev_u32_e32 v14, 28, v13
	v_and_b32_e32 v12, 15, v12
	v_lshlrev_b32_e32 v11, v14, v11
	v_sub_u32_e32 v13, 29, v13
	v_and_b32_e32 v11, 7, v11
	v_cmp_eq_u16_e32 vcc, 0, v12
	v_cndmask_b32_e32 v10, v10, v11, vcc
	v_cndmask_b32_e32 v11, v12, v13, vcc
	v_lshlrev_b32_e32 v12, 16, v6
	v_mov_b32_e32 v13, 0x3b800000
	v_lshlrev_b32_e32 v10, 20, v10
	v_and_b32_e32 v12, 0x80000000, v12
	v_lshl_add_u32 v11, v11, 23, v13
	v_or3_b32 v10, v12, v11, v10
.LBB38_908:
	s_or_b64 exec, exec, s[6:7]
	v_lshrrev_b32_e32 v11, 8, v2
	s_movk_i32 s4, 0x7f
	v_cmp_gt_i16_sdwa s[6:7], v11, s4 src0_sel:BYTE_0 src1_sel:DWORD
	s_mov_b64 s[4:5], 0
                                        ; implicit-def: $sgpr10
	s_and_saveexec_b64 s[8:9], s[6:7]
	s_xor_b64 s[6:7], exec, s[8:9]
	s_cbranch_execnz .LBB38_2957
; %bb.909:
	s_or_saveexec_b64 s[6:7], s[6:7]
	v_mov_b32_e32 v12, s10
	s_xor_b64 exec, exec, s[6:7]
	s_cbranch_execnz .LBB38_2960
.LBB38_910:
	s_or_b64 exec, exec, s[6:7]
	s_and_saveexec_b64 s[6:7], s[4:5]
	s_cbranch_execz .LBB38_912
.LBB38_911:
	v_bfe_u32 v12, v2, 8, 3
	v_ffbh_u32_e32 v14, v12
	v_min_u32_e32 v14, 32, v14
	v_lshrrev_b16_e32 v13, 3, v11
	v_subrev_u32_e32 v15, 28, v14
	v_and_b32_e32 v13, 15, v13
	v_lshlrev_b32_e32 v11, v15, v11
	v_sub_u32_e32 v14, 29, v14
	v_and_b32_e32 v11, 7, v11
	v_cmp_eq_u16_e32 vcc, 0, v13
	v_cndmask_b32_e32 v11, v12, v11, vcc
	v_cndmask_b32_e32 v12, v13, v14, vcc
	v_lshlrev_b32_e32 v13, 16, v2
	v_mov_b32_e32 v14, 0x3b800000
	v_lshlrev_b32_e32 v11, 20, v11
	v_and_b32_e32 v13, 0x80000000, v13
	v_lshl_add_u32 v12, v12, 23, v14
	v_or3_b32 v12, v13, v12, v11
.LBB38_912:
	s_or_b64 exec, exec, s[6:7]
	s_nop 0
	v_mfma_f32_16x16x4f32 a[0:3], v10, v12, a[0:3]
	s_movk_i32 s4, 0xff
	v_and_b32_sdwa v11, v6, s4 dst_sel:DWORD dst_unused:UNUSED_PAD src0_sel:WORD_1 src1_sel:DWORD
	s_movk_i32 s4, 0x7f
	v_cmp_lt_i16_e32 vcc, s4, v11
	s_mov_b64 s[4:5], 0
                                        ; implicit-def: $sgpr10
	s_and_saveexec_b64 s[6:7], vcc
	s_xor_b64 s[6:7], exec, s[6:7]
	s_cbranch_execnz .LBB38_2961
; %bb.913:
	s_or_saveexec_b64 s[6:7], s[6:7]
	v_mov_b32_e32 v10, s10
	s_xor_b64 exec, exec, s[6:7]
	s_cbranch_execnz .LBB38_2964
.LBB38_914:
	s_or_b64 exec, exec, s[6:7]
	s_and_saveexec_b64 s[6:7], s[4:5]
	s_cbranch_execz .LBB38_916
.LBB38_915:
	v_bfe_u32 v10, v6, 16, 3
	v_ffbh_u32_e32 v13, v10
	v_min_u32_e32 v13, 32, v13
	v_lshrrev_b32_e32 v11, 19, v6
	v_subrev_u32_e32 v14, 28, v13
	v_and_b32_e32 v11, 15, v11
	v_lshlrev_b32_sdwa v14, v14, v6 dst_sel:DWORD dst_unused:UNUSED_PAD src0_sel:DWORD src1_sel:WORD_1
	v_bfe_u32 v12, v6, 19, 4
	v_sub_u32_e32 v13, 29, v13
	v_and_b32_e32 v14, 7, v14
	v_cmp_eq_u16_e32 vcc, 0, v11
	v_cndmask_b32_e32 v10, v10, v14, vcc
	v_cndmask_b32_e32 v11, v12, v13, vcc
	v_lshlrev_b32_e32 v12, 8, v6
	v_mov_b32_e32 v13, 0x3b800000
	v_lshlrev_b32_e32 v10, 20, v10
	v_and_b32_e32 v12, 0x80000000, v12
	v_lshl_add_u32 v11, v11, 23, v13
	v_or3_b32 v10, v12, v11, v10
.LBB38_916:
	s_or_b64 exec, exec, s[6:7]
	s_movk_i32 s4, 0xff
	v_and_b32_sdwa v11, v2, s4 dst_sel:DWORD dst_unused:UNUSED_PAD src0_sel:WORD_1 src1_sel:DWORD
	s_movk_i32 s4, 0x7f
	v_cmp_lt_i16_e32 vcc, s4, v11
	s_mov_b64 s[4:5], 0
                                        ; implicit-def: $sgpr10
	s_and_saveexec_b64 s[6:7], vcc
	s_xor_b64 s[6:7], exec, s[6:7]
	s_cbranch_execnz .LBB38_2965
; %bb.917:
	s_or_saveexec_b64 s[6:7], s[6:7]
	v_mov_b32_e32 v12, s10
	s_xor_b64 exec, exec, s[6:7]
	s_cbranch_execnz .LBB38_2968
.LBB38_918:
	s_or_b64 exec, exec, s[6:7]
	s_and_saveexec_b64 s[6:7], s[4:5]
	s_cbranch_execz .LBB38_920
.LBB38_919:
	v_bfe_u32 v11, v2, 16, 3
	v_ffbh_u32_e32 v14, v11
	v_min_u32_e32 v14, 32, v14
	v_lshrrev_b32_e32 v12, 19, v2
	v_subrev_u32_e32 v15, 28, v14
	v_and_b32_e32 v12, 15, v12
	v_lshlrev_b32_sdwa v15, v15, v2 dst_sel:DWORD dst_unused:UNUSED_PAD src0_sel:DWORD src1_sel:WORD_1
	v_bfe_u32 v13, v2, 19, 4
	v_sub_u32_e32 v14, 29, v14
	v_and_b32_e32 v15, 7, v15
	v_cmp_eq_u16_e32 vcc, 0, v12
	v_cndmask_b32_e32 v11, v11, v15, vcc
	v_cndmask_b32_e32 v12, v13, v14, vcc
	v_lshlrev_b32_e32 v13, 8, v2
	v_mov_b32_e32 v14, 0x3b800000
	v_lshlrev_b32_e32 v11, 20, v11
	v_and_b32_e32 v13, 0x80000000, v13
	v_lshl_add_u32 v12, v12, 23, v14
	v_or3_b32 v12, v13, v12, v11
.LBB38_920:
	s_or_b64 exec, exec, s[6:7]
	s_nop 0
	v_mfma_f32_16x16x4f32 a[0:3], v10, v12, a[0:3]
	s_movk_i32 s4, 0x7f
	v_cmp_gt_i16_sdwa s[6:7], v6, s4 src0_sel:BYTE_3 src1_sel:DWORD
	s_mov_b64 s[4:5], 0
                                        ; implicit-def: $sgpr10
	s_and_saveexec_b64 s[8:9], s[6:7]
	s_xor_b64 s[6:7], exec, s[8:9]
	s_cbranch_execnz .LBB38_2969
; %bb.921:
	s_or_saveexec_b64 s[6:7], s[6:7]
	v_mov_b32_e32 v10, s10
	s_xor_b64 exec, exec, s[6:7]
	s_cbranch_execnz .LBB38_2972
.LBB38_922:
	s_or_b64 exec, exec, s[6:7]
	s_and_saveexec_b64 s[6:7], s[4:5]
	s_cbranch_execz .LBB38_924
.LBB38_923:
	v_bfe_u32 v10, v6, 24, 3
	v_ffbh_u32_e32 v14, v10
	v_min_u32_e32 v14, 32, v14
	v_lshrrev_b32_e32 v12, 27, v6
	v_subrev_u32_e32 v15, 28, v14
	v_and_b32_e32 v11, 0x80000000, v6
	v_and_b32_e32 v12, 15, v12
	v_bfe_u32 v13, v6, 27, 4
	v_lshlrev_b32_sdwa v6, v15, v6 dst_sel:DWORD dst_unused:UNUSED_PAD src0_sel:DWORD src1_sel:BYTE_3
	v_sub_u32_e32 v14, 29, v14
	v_and_b32_e32 v6, 7, v6
	v_cmp_eq_u16_e32 vcc, 0, v12
	v_cndmask_b32_e32 v6, v10, v6, vcc
	v_cndmask_b32_e32 v10, v13, v14, vcc
	v_mov_b32_e32 v12, 0x3b800000
	v_lshlrev_b32_e32 v6, 20, v6
	v_lshl_add_u32 v10, v10, 23, v12
	v_or3_b32 v10, v11, v10, v6
.LBB38_924:
	s_or_b64 exec, exec, s[6:7]
	s_movk_i32 s4, 0x7f
	v_cmp_gt_i16_sdwa s[6:7], v2, s4 src0_sel:BYTE_3 src1_sel:DWORD
	s_mov_b64 s[4:5], 0
                                        ; implicit-def: $sgpr10
	s_and_saveexec_b64 s[8:9], s[6:7]
	s_xor_b64 s[6:7], exec, s[8:9]
	s_cbranch_execnz .LBB38_2973
; %bb.925:
	s_or_saveexec_b64 s[6:7], s[6:7]
	v_mov_b32_e32 v6, s10
	s_xor_b64 exec, exec, s[6:7]
	s_cbranch_execnz .LBB38_2976
.LBB38_926:
	s_or_b64 exec, exec, s[6:7]
	s_and_saveexec_b64 s[6:7], s[4:5]
	s_cbranch_execz .LBB38_928
.LBB38_927:
	v_bfe_u32 v6, v2, 24, 3
	v_ffbh_u32_e32 v14, v6
	v_min_u32_e32 v14, 32, v14
	v_lshrrev_b32_e32 v12, 27, v2
	v_subrev_u32_e32 v15, 28, v14
	v_and_b32_e32 v11, 0x80000000, v2
	v_and_b32_e32 v12, 15, v12
	v_bfe_u32 v13, v2, 27, 4
	v_lshlrev_b32_sdwa v2, v15, v2 dst_sel:DWORD dst_unused:UNUSED_PAD src0_sel:DWORD src1_sel:BYTE_3
	v_sub_u32_e32 v14, 29, v14
	v_and_b32_e32 v2, 7, v2
	v_cmp_eq_u16_e32 vcc, 0, v12
	v_cndmask_b32_e32 v2, v6, v2, vcc
	v_cndmask_b32_e32 v6, v13, v14, vcc
	v_mov_b32_e32 v12, 0x3b800000
	v_lshlrev_b32_e32 v2, 20, v2
	v_lshl_add_u32 v6, v6, 23, v12
	v_or3_b32 v6, v11, v6, v2
.LBB38_928:
	s_or_b64 exec, exec, s[6:7]
	s_nop 0
	v_mfma_f32_16x16x4f32 a[0:3], v10, v6, a[0:3]
	s_movk_i32 s4, 0x7f
	v_cmp_gt_i16_sdwa s[6:7], v7, s4 src0_sel:BYTE_0 src1_sel:DWORD
	s_mov_b64 s[4:5], 0
                                        ; implicit-def: $sgpr10
	s_and_saveexec_b64 s[8:9], s[6:7]
	s_xor_b64 s[6:7], exec, s[8:9]
	s_cbranch_execnz .LBB38_2977
; %bb.929:
	s_or_saveexec_b64 s[6:7], s[6:7]
	v_mov_b32_e32 v2, s10
	s_xor_b64 exec, exec, s[6:7]
	s_cbranch_execnz .LBB38_2980
.LBB38_930:
	s_or_b64 exec, exec, s[6:7]
	s_and_saveexec_b64 s[6:7], s[4:5]
	s_cbranch_execz .LBB38_932
.LBB38_931:
	v_and_b32_e32 v2, 7, v7
	v_ffbh_u32_e32 v10, v2
	v_min_u32_e32 v10, 32, v10
	v_lshrrev_b16_e32 v6, 3, v7
	v_subrev_u32_e32 v11, 28, v10
	v_and_b32_e32 v6, 15, v6
	v_lshlrev_b32_e32 v11, v11, v7
	v_sub_u32_e32 v10, 29, v10
	v_and_b32_e32 v11, 7, v11
	v_cmp_eq_u16_e32 vcc, 0, v6
	v_cndmask_b32_e32 v2, v2, v11, vcc
	v_cndmask_b32_e32 v6, v6, v10, vcc
	v_lshlrev_b32_e32 v10, 24, v7
	v_mov_b32_e32 v11, 0x3b800000
	v_lshlrev_b32_e32 v2, 20, v2
	v_and_b32_e32 v10, 0x80000000, v10
	v_lshl_add_u32 v6, v6, 23, v11
	v_or3_b32 v2, v10, v6, v2
.LBB38_932:
	s_or_b64 exec, exec, s[6:7]
	s_movk_i32 s4, 0x7f
	v_cmp_gt_i16_sdwa s[6:7], v3, s4 src0_sel:BYTE_0 src1_sel:DWORD
	s_mov_b64 s[4:5], 0
                                        ; implicit-def: $sgpr10
	s_and_saveexec_b64 s[8:9], s[6:7]
	s_xor_b64 s[6:7], exec, s[8:9]
	s_cbranch_execnz .LBB38_2981
; %bb.933:
	s_or_saveexec_b64 s[6:7], s[6:7]
	v_mov_b32_e32 v6, s10
	s_xor_b64 exec, exec, s[6:7]
	s_cbranch_execnz .LBB38_2984
.LBB38_934:
	s_or_b64 exec, exec, s[6:7]
	s_and_saveexec_b64 s[6:7], s[4:5]
	s_cbranch_execz .LBB38_936
.LBB38_935:
	v_and_b32_e32 v6, 7, v3
	v_ffbh_u32_e32 v11, v6
	v_min_u32_e32 v11, 32, v11
	v_lshrrev_b16_e32 v10, 3, v3
	v_subrev_u32_e32 v12, 28, v11
	v_and_b32_e32 v10, 15, v10
	v_lshlrev_b32_e32 v12, v12, v3
	v_sub_u32_e32 v11, 29, v11
	v_and_b32_e32 v12, 7, v12
	v_cmp_eq_u16_e32 vcc, 0, v10
	v_cndmask_b32_e32 v6, v6, v12, vcc
	v_cndmask_b32_e32 v10, v10, v11, vcc
	v_lshlrev_b32_e32 v11, 24, v3
	v_mov_b32_e32 v12, 0x3b800000
	v_lshlrev_b32_e32 v6, 20, v6
	v_and_b32_e32 v11, 0x80000000, v11
	v_lshl_add_u32 v10, v10, 23, v12
	v_or3_b32 v6, v11, v10, v6
.LBB38_936:
	s_or_b64 exec, exec, s[6:7]
	s_nop 0
	v_mfma_f32_16x16x4f32 a[0:3], v2, v6, a[0:3]
	v_lshrrev_b32_e32 v6, 8, v7
	s_movk_i32 s4, 0x7f
	v_cmp_gt_i16_sdwa s[6:7], v6, s4 src0_sel:BYTE_0 src1_sel:DWORD
	s_mov_b64 s[4:5], 0
                                        ; implicit-def: $sgpr10
	s_and_saveexec_b64 s[8:9], s[6:7]
	s_xor_b64 s[6:7], exec, s[8:9]
	s_cbranch_execnz .LBB38_2985
; %bb.937:
	s_or_saveexec_b64 s[6:7], s[6:7]
	v_mov_b32_e32 v2, s10
	s_xor_b64 exec, exec, s[6:7]
	s_cbranch_execnz .LBB38_2988
.LBB38_938:
	s_or_b64 exec, exec, s[6:7]
	s_and_saveexec_b64 s[6:7], s[4:5]
	s_cbranch_execz .LBB38_940
.LBB38_939:
	v_bfe_u32 v2, v7, 8, 3
	v_ffbh_u32_e32 v11, v2
	v_min_u32_e32 v11, 32, v11
	v_lshrrev_b16_e32 v10, 3, v6
	v_subrev_u32_e32 v12, 28, v11
	v_and_b32_e32 v10, 15, v10
	v_lshlrev_b32_e32 v6, v12, v6
	v_sub_u32_e32 v11, 29, v11
	v_and_b32_e32 v6, 7, v6
	v_cmp_eq_u16_e32 vcc, 0, v10
	v_cndmask_b32_e32 v2, v2, v6, vcc
	v_cndmask_b32_e32 v6, v10, v11, vcc
	v_lshlrev_b32_e32 v10, 16, v7
	v_mov_b32_e32 v11, 0x3b800000
	v_lshlrev_b32_e32 v2, 20, v2
	v_and_b32_e32 v10, 0x80000000, v10
	v_lshl_add_u32 v6, v6, 23, v11
	v_or3_b32 v2, v10, v6, v2
.LBB38_940:
	s_or_b64 exec, exec, s[6:7]
	v_lshrrev_b32_e32 v6, 8, v3
	s_movk_i32 s4, 0x7f
	v_cmp_gt_i16_sdwa s[6:7], v6, s4 src0_sel:BYTE_0 src1_sel:DWORD
	s_mov_b64 s[4:5], 0
                                        ; implicit-def: $sgpr10
	s_and_saveexec_b64 s[8:9], s[6:7]
	s_xor_b64 s[6:7], exec, s[8:9]
	s_cbranch_execnz .LBB38_2989
; %bb.941:
	s_or_saveexec_b64 s[6:7], s[6:7]
	v_mov_b32_e32 v10, s10
	s_xor_b64 exec, exec, s[6:7]
	s_cbranch_execnz .LBB38_2992
.LBB38_942:
	s_or_b64 exec, exec, s[6:7]
	s_and_saveexec_b64 s[6:7], s[4:5]
	s_cbranch_execz .LBB38_944
.LBB38_943:
	v_bfe_u32 v10, v3, 8, 3
	v_ffbh_u32_e32 v12, v10
	v_min_u32_e32 v12, 32, v12
	v_lshrrev_b16_e32 v11, 3, v6
	v_subrev_u32_e32 v13, 28, v12
	v_and_b32_e32 v11, 15, v11
	v_lshlrev_b32_e32 v6, v13, v6
	v_sub_u32_e32 v12, 29, v12
	v_and_b32_e32 v6, 7, v6
	v_cmp_eq_u16_e32 vcc, 0, v11
	v_cndmask_b32_e32 v6, v10, v6, vcc
	v_cndmask_b32_e32 v10, v11, v12, vcc
	v_lshlrev_b32_e32 v11, 16, v3
	v_mov_b32_e32 v12, 0x3b800000
	v_lshlrev_b32_e32 v6, 20, v6
	v_and_b32_e32 v11, 0x80000000, v11
	v_lshl_add_u32 v10, v10, 23, v12
	v_or3_b32 v10, v11, v10, v6
.LBB38_944:
	s_or_b64 exec, exec, s[6:7]
	s_nop 0
	v_mfma_f32_16x16x4f32 a[0:3], v2, v10, a[0:3]
	s_movk_i32 s4, 0xff
	v_and_b32_sdwa v6, v7, s4 dst_sel:DWORD dst_unused:UNUSED_PAD src0_sel:WORD_1 src1_sel:DWORD
	s_movk_i32 s4, 0x7f
	v_cmp_lt_i16_e32 vcc, s4, v6
	s_mov_b64 s[4:5], 0
                                        ; implicit-def: $sgpr10
	s_and_saveexec_b64 s[6:7], vcc
	s_xor_b64 s[6:7], exec, s[6:7]
	s_cbranch_execnz .LBB38_2993
; %bb.945:
	s_or_saveexec_b64 s[6:7], s[6:7]
	v_mov_b32_e32 v2, s10
	s_xor_b64 exec, exec, s[6:7]
	s_cbranch_execnz .LBB38_2996
.LBB38_946:
	s_or_b64 exec, exec, s[6:7]
	s_and_saveexec_b64 s[6:7], s[4:5]
	s_cbranch_execz .LBB38_948
.LBB38_947:
	v_bfe_u32 v2, v7, 16, 3
	v_ffbh_u32_e32 v11, v2
	v_min_u32_e32 v11, 32, v11
	v_lshrrev_b32_e32 v6, 19, v7
	v_subrev_u32_e32 v12, 28, v11
	v_and_b32_e32 v6, 15, v6
	v_lshlrev_b32_sdwa v12, v12, v7 dst_sel:DWORD dst_unused:UNUSED_PAD src0_sel:DWORD src1_sel:WORD_1
	v_bfe_u32 v10, v7, 19, 4
	v_sub_u32_e32 v11, 29, v11
	v_and_b32_e32 v12, 7, v12
	v_cmp_eq_u16_e32 vcc, 0, v6
	v_cndmask_b32_e32 v2, v2, v12, vcc
	v_cndmask_b32_e32 v6, v10, v11, vcc
	v_lshlrev_b32_e32 v10, 8, v7
	v_mov_b32_e32 v11, 0x3b800000
	v_lshlrev_b32_e32 v2, 20, v2
	v_and_b32_e32 v10, 0x80000000, v10
	v_lshl_add_u32 v6, v6, 23, v11
	v_or3_b32 v2, v10, v6, v2
.LBB38_948:
	s_or_b64 exec, exec, s[6:7]
	s_movk_i32 s4, 0xff
	v_and_b32_sdwa v6, v3, s4 dst_sel:DWORD dst_unused:UNUSED_PAD src0_sel:WORD_1 src1_sel:DWORD
	s_movk_i32 s4, 0x7f
	v_cmp_lt_i16_e32 vcc, s4, v6
	s_mov_b64 s[4:5], 0
                                        ; implicit-def: $sgpr10
	s_and_saveexec_b64 s[6:7], vcc
	s_xor_b64 s[6:7], exec, s[6:7]
	s_cbranch_execnz .LBB38_2997
; %bb.949:
	s_or_saveexec_b64 s[6:7], s[6:7]
	v_mov_b32_e32 v10, s10
	s_xor_b64 exec, exec, s[6:7]
	s_cbranch_execnz .LBB38_3000
.LBB38_950:
	s_or_b64 exec, exec, s[6:7]
	s_and_saveexec_b64 s[6:7], s[4:5]
	s_cbranch_execz .LBB38_952
.LBB38_951:
	v_bfe_u32 v6, v3, 16, 3
	v_ffbh_u32_e32 v12, v6
	v_min_u32_e32 v12, 32, v12
	v_lshrrev_b32_e32 v10, 19, v3
	v_subrev_u32_e32 v13, 28, v12
	v_and_b32_e32 v10, 15, v10
	v_lshlrev_b32_sdwa v13, v13, v3 dst_sel:DWORD dst_unused:UNUSED_PAD src0_sel:DWORD src1_sel:WORD_1
	v_bfe_u32 v11, v3, 19, 4
	v_sub_u32_e32 v12, 29, v12
	v_and_b32_e32 v13, 7, v13
	v_cmp_eq_u16_e32 vcc, 0, v10
	v_cndmask_b32_e32 v6, v6, v13, vcc
	v_cndmask_b32_e32 v10, v11, v12, vcc
	v_lshlrev_b32_e32 v11, 8, v3
	v_mov_b32_e32 v12, 0x3b800000
	v_lshlrev_b32_e32 v6, 20, v6
	v_and_b32_e32 v11, 0x80000000, v11
	v_lshl_add_u32 v10, v10, 23, v12
	v_or3_b32 v10, v11, v10, v6
.LBB38_952:
	s_or_b64 exec, exec, s[6:7]
	s_nop 0
	v_mfma_f32_16x16x4f32 a[0:3], v2, v10, a[0:3]
	s_movk_i32 s4, 0x7f
	v_cmp_gt_i16_sdwa s[6:7], v7, s4 src0_sel:BYTE_3 src1_sel:DWORD
	s_mov_b64 s[4:5], 0
                                        ; implicit-def: $sgpr10
	s_and_saveexec_b64 s[8:9], s[6:7]
	s_xor_b64 s[6:7], exec, s[8:9]
	s_cbranch_execnz .LBB38_3001
; %bb.953:
	s_or_saveexec_b64 s[6:7], s[6:7]
	v_mov_b32_e32 v2, s10
	s_xor_b64 exec, exec, s[6:7]
	s_cbranch_execnz .LBB38_3004
.LBB38_954:
	s_or_b64 exec, exec, s[6:7]
	s_and_saveexec_b64 s[6:7], s[4:5]
	s_cbranch_execz .LBB38_956
.LBB38_955:
	v_bfe_u32 v2, v7, 24, 3
	v_ffbh_u32_e32 v12, v2
	v_min_u32_e32 v12, 32, v12
	v_lshrrev_b32_e32 v10, 27, v7
	v_subrev_u32_e32 v13, 28, v12
	v_and_b32_e32 v6, 0x80000000, v7
	v_and_b32_e32 v10, 15, v10
	v_bfe_u32 v11, v7, 27, 4
	v_lshlrev_b32_sdwa v7, v13, v7 dst_sel:DWORD dst_unused:UNUSED_PAD src0_sel:DWORD src1_sel:BYTE_3
	v_sub_u32_e32 v12, 29, v12
	v_and_b32_e32 v7, 7, v7
	v_cmp_eq_u16_e32 vcc, 0, v10
	v_cndmask_b32_e32 v2, v2, v7, vcc
	v_cndmask_b32_e32 v7, v11, v12, vcc
	v_mov_b32_e32 v10, 0x3b800000
	v_lshlrev_b32_e32 v2, 20, v2
	v_lshl_add_u32 v7, v7, 23, v10
	v_or3_b32 v2, v6, v7, v2
.LBB38_956:
	s_or_b64 exec, exec, s[6:7]
	s_movk_i32 s4, 0x7f
	v_cmp_gt_i16_sdwa s[6:7], v3, s4 src0_sel:BYTE_3 src1_sel:DWORD
	s_mov_b64 s[4:5], 0
                                        ; implicit-def: $sgpr10
	s_and_saveexec_b64 s[8:9], s[6:7]
	s_xor_b64 s[6:7], exec, s[8:9]
	s_cbranch_execnz .LBB38_3005
; %bb.957:
	s_or_saveexec_b64 s[6:7], s[6:7]
	v_mov_b32_e32 v6, s10
	s_xor_b64 exec, exec, s[6:7]
	s_cbranch_execnz .LBB38_3008
.LBB38_958:
	s_or_b64 exec, exec, s[6:7]
	s_and_saveexec_b64 s[6:7], s[4:5]
	s_cbranch_execz .LBB38_960
.LBB38_959:
	v_bfe_u32 v6, v3, 24, 3
	v_ffbh_u32_e32 v12, v6
	v_min_u32_e32 v12, 32, v12
	v_lshrrev_b32_e32 v10, 27, v3
	v_subrev_u32_e32 v13, 28, v12
	v_and_b32_e32 v7, 0x80000000, v3
	v_and_b32_e32 v10, 15, v10
	v_bfe_u32 v11, v3, 27, 4
	v_lshlrev_b32_sdwa v3, v13, v3 dst_sel:DWORD dst_unused:UNUSED_PAD src0_sel:DWORD src1_sel:BYTE_3
	v_sub_u32_e32 v12, 29, v12
	v_and_b32_e32 v3, 7, v3
	v_cmp_eq_u16_e32 vcc, 0, v10
	v_cndmask_b32_e32 v3, v6, v3, vcc
	v_cndmask_b32_e32 v6, v11, v12, vcc
	v_mov_b32_e32 v10, 0x3b800000
	v_lshlrev_b32_e32 v3, 20, v3
	v_lshl_add_u32 v6, v6, 23, v10
	v_or3_b32 v6, v7, v6, v3
.LBB38_960:
	s_or_b64 exec, exec, s[6:7]
	s_nop 0
	v_mfma_f32_16x16x4f32 a[0:3], v2, v6, a[0:3]
	s_movk_i32 s4, 0x7f
	v_cmp_gt_i16_sdwa s[6:7], v8, s4 src0_sel:BYTE_0 src1_sel:DWORD
	s_mov_b64 s[4:5], 0
                                        ; implicit-def: $sgpr10
	s_and_saveexec_b64 s[8:9], s[6:7]
	s_xor_b64 s[6:7], exec, s[8:9]
	s_cbranch_execnz .LBB38_3009
; %bb.961:
	s_or_saveexec_b64 s[6:7], s[6:7]
	v_mov_b32_e32 v2, s10
	s_xor_b64 exec, exec, s[6:7]
	s_cbranch_execnz .LBB38_3012
.LBB38_962:
	s_or_b64 exec, exec, s[6:7]
	s_and_saveexec_b64 s[6:7], s[4:5]
	s_cbranch_execz .LBB38_964
.LBB38_963:
	v_and_b32_e32 v2, 7, v8
	v_ffbh_u32_e32 v6, v2
	v_min_u32_e32 v6, 32, v6
	v_lshrrev_b16_e32 v3, 3, v8
	v_subrev_u32_e32 v7, 28, v6
	v_and_b32_e32 v3, 15, v3
	v_lshlrev_b32_e32 v7, v7, v8
	v_sub_u32_e32 v6, 29, v6
	v_and_b32_e32 v7, 7, v7
	v_cmp_eq_u16_e32 vcc, 0, v3
	v_cndmask_b32_e32 v2, v2, v7, vcc
	v_cndmask_b32_e32 v3, v3, v6, vcc
	v_lshlrev_b32_e32 v6, 24, v8
	v_mov_b32_e32 v7, 0x3b800000
	v_lshlrev_b32_e32 v2, 20, v2
	v_and_b32_e32 v6, 0x80000000, v6
	v_lshl_add_u32 v3, v3, 23, v7
	v_or3_b32 v2, v6, v3, v2
.LBB38_964:
	s_or_b64 exec, exec, s[6:7]
	s_movk_i32 s4, 0x7f
	v_cmp_gt_i16_sdwa s[6:7], v4, s4 src0_sel:BYTE_0 src1_sel:DWORD
	s_mov_b64 s[4:5], 0
                                        ; implicit-def: $sgpr10
	s_and_saveexec_b64 s[8:9], s[6:7]
	s_xor_b64 s[6:7], exec, s[8:9]
	s_cbranch_execnz .LBB38_3013
; %bb.965:
	s_or_saveexec_b64 s[6:7], s[6:7]
	v_mov_b32_e32 v3, s10
	s_xor_b64 exec, exec, s[6:7]
	s_cbranch_execnz .LBB38_3016
.LBB38_966:
	s_or_b64 exec, exec, s[6:7]
	s_and_saveexec_b64 s[6:7], s[4:5]
	s_cbranch_execz .LBB38_968
.LBB38_967:
	v_and_b32_e32 v3, 7, v4
	v_ffbh_u32_e32 v7, v3
	v_min_u32_e32 v7, 32, v7
	v_lshrrev_b16_e32 v6, 3, v4
	v_subrev_u32_e32 v10, 28, v7
	v_and_b32_e32 v6, 15, v6
	v_lshlrev_b32_e32 v10, v10, v4
	v_sub_u32_e32 v7, 29, v7
	v_and_b32_e32 v10, 7, v10
	v_cmp_eq_u16_e32 vcc, 0, v6
	v_cndmask_b32_e32 v3, v3, v10, vcc
	v_cndmask_b32_e32 v6, v6, v7, vcc
	v_lshlrev_b32_e32 v7, 24, v4
	v_mov_b32_e32 v10, 0x3b800000
	v_lshlrev_b32_e32 v3, 20, v3
	v_and_b32_e32 v7, 0x80000000, v7
	v_lshl_add_u32 v6, v6, 23, v10
	v_or3_b32 v3, v7, v6, v3
.LBB38_968:
	s_or_b64 exec, exec, s[6:7]
	s_nop 0
	v_mfma_f32_16x16x4f32 a[0:3], v2, v3, a[0:3]
	v_lshrrev_b32_e32 v3, 8, v8
	s_movk_i32 s4, 0x7f
	v_cmp_gt_i16_sdwa s[6:7], v3, s4 src0_sel:BYTE_0 src1_sel:DWORD
	s_mov_b64 s[4:5], 0
                                        ; implicit-def: $sgpr10
	s_and_saveexec_b64 s[8:9], s[6:7]
	s_xor_b64 s[6:7], exec, s[8:9]
	s_cbranch_execnz .LBB38_3017
; %bb.969:
	s_or_saveexec_b64 s[6:7], s[6:7]
	v_mov_b32_e32 v2, s10
	s_xor_b64 exec, exec, s[6:7]
	s_cbranch_execnz .LBB38_3020
.LBB38_970:
	s_or_b64 exec, exec, s[6:7]
	s_and_saveexec_b64 s[6:7], s[4:5]
	s_cbranch_execz .LBB38_972
.LBB38_971:
	v_bfe_u32 v2, v8, 8, 3
	v_ffbh_u32_e32 v7, v2
	v_min_u32_e32 v7, 32, v7
	v_lshrrev_b16_e32 v6, 3, v3
	v_subrev_u32_e32 v10, 28, v7
	v_and_b32_e32 v6, 15, v6
	v_lshlrev_b32_e32 v3, v10, v3
	v_sub_u32_e32 v7, 29, v7
	v_and_b32_e32 v3, 7, v3
	v_cmp_eq_u16_e32 vcc, 0, v6
	v_cndmask_b32_e32 v2, v2, v3, vcc
	v_cndmask_b32_e32 v3, v6, v7, vcc
	v_lshlrev_b32_e32 v6, 16, v8
	v_mov_b32_e32 v7, 0x3b800000
	v_lshlrev_b32_e32 v2, 20, v2
	v_and_b32_e32 v6, 0x80000000, v6
	v_lshl_add_u32 v3, v3, 23, v7
	v_or3_b32 v2, v6, v3, v2
.LBB38_972:
	s_or_b64 exec, exec, s[6:7]
	v_lshrrev_b32_e32 v3, 8, v4
	s_movk_i32 s4, 0x7f
	v_cmp_gt_i16_sdwa s[6:7], v3, s4 src0_sel:BYTE_0 src1_sel:DWORD
	s_mov_b64 s[4:5], 0
                                        ; implicit-def: $sgpr10
	s_and_saveexec_b64 s[8:9], s[6:7]
	s_xor_b64 s[6:7], exec, s[8:9]
	s_cbranch_execnz .LBB38_3021
; %bb.973:
	s_or_saveexec_b64 s[6:7], s[6:7]
	v_mov_b32_e32 v6, s10
	s_xor_b64 exec, exec, s[6:7]
	s_cbranch_execnz .LBB38_3024
.LBB38_974:
	s_or_b64 exec, exec, s[6:7]
	s_and_saveexec_b64 s[6:7], s[4:5]
	s_cbranch_execz .LBB38_976
.LBB38_975:
	v_bfe_u32 v6, v4, 8, 3
	v_ffbh_u32_e32 v10, v6
	v_min_u32_e32 v10, 32, v10
	v_lshrrev_b16_e32 v7, 3, v3
	v_subrev_u32_e32 v11, 28, v10
	v_and_b32_e32 v7, 15, v7
	v_lshlrev_b32_e32 v3, v11, v3
	v_sub_u32_e32 v10, 29, v10
	v_and_b32_e32 v3, 7, v3
	v_cmp_eq_u16_e32 vcc, 0, v7
	v_cndmask_b32_e32 v3, v6, v3, vcc
	v_cndmask_b32_e32 v6, v7, v10, vcc
	v_lshlrev_b32_e32 v7, 16, v4
	v_mov_b32_e32 v10, 0x3b800000
	v_lshlrev_b32_e32 v3, 20, v3
	v_and_b32_e32 v7, 0x80000000, v7
	v_lshl_add_u32 v6, v6, 23, v10
	v_or3_b32 v6, v7, v6, v3
.LBB38_976:
	s_or_b64 exec, exec, s[6:7]
	s_nop 0
	v_mfma_f32_16x16x4f32 a[0:3], v2, v6, a[0:3]
	s_movk_i32 s4, 0xff
	v_and_b32_sdwa v3, v8, s4 dst_sel:DWORD dst_unused:UNUSED_PAD src0_sel:WORD_1 src1_sel:DWORD
	s_movk_i32 s4, 0x7f
	v_cmp_lt_i16_e32 vcc, s4, v3
	s_mov_b64 s[4:5], 0
                                        ; implicit-def: $sgpr10
	s_and_saveexec_b64 s[6:7], vcc
	s_xor_b64 s[6:7], exec, s[6:7]
	s_cbranch_execnz .LBB38_3025
; %bb.977:
	s_or_saveexec_b64 s[6:7], s[6:7]
	v_mov_b32_e32 v2, s10
	s_xor_b64 exec, exec, s[6:7]
	s_cbranch_execnz .LBB38_3028
.LBB38_978:
	s_or_b64 exec, exec, s[6:7]
	s_and_saveexec_b64 s[6:7], s[4:5]
	s_cbranch_execz .LBB38_980
.LBB38_979:
	v_bfe_u32 v2, v8, 16, 3
	v_ffbh_u32_e32 v7, v2
	v_min_u32_e32 v7, 32, v7
	v_lshrrev_b32_e32 v3, 19, v8
	v_subrev_u32_e32 v10, 28, v7
	v_and_b32_e32 v3, 15, v3
	v_lshlrev_b32_sdwa v10, v10, v8 dst_sel:DWORD dst_unused:UNUSED_PAD src0_sel:DWORD src1_sel:WORD_1
	v_bfe_u32 v6, v8, 19, 4
	v_sub_u32_e32 v7, 29, v7
	v_and_b32_e32 v10, 7, v10
	v_cmp_eq_u16_e32 vcc, 0, v3
	v_cndmask_b32_e32 v2, v2, v10, vcc
	v_cndmask_b32_e32 v3, v6, v7, vcc
	v_lshlrev_b32_e32 v6, 8, v8
	v_mov_b32_e32 v7, 0x3b800000
	v_lshlrev_b32_e32 v2, 20, v2
	v_and_b32_e32 v6, 0x80000000, v6
	v_lshl_add_u32 v3, v3, 23, v7
	v_or3_b32 v2, v6, v3, v2
.LBB38_980:
	s_or_b64 exec, exec, s[6:7]
	s_movk_i32 s4, 0xff
	v_and_b32_sdwa v3, v4, s4 dst_sel:DWORD dst_unused:UNUSED_PAD src0_sel:WORD_1 src1_sel:DWORD
	s_movk_i32 s4, 0x7f
	v_cmp_lt_i16_e32 vcc, s4, v3
	s_mov_b64 s[4:5], 0
                                        ; implicit-def: $sgpr10
	s_and_saveexec_b64 s[6:7], vcc
	s_xor_b64 s[6:7], exec, s[6:7]
	s_cbranch_execnz .LBB38_3029
; %bb.981:
	s_or_saveexec_b64 s[6:7], s[6:7]
	v_mov_b32_e32 v6, s10
	s_xor_b64 exec, exec, s[6:7]
	s_cbranch_execnz .LBB38_3032
.LBB38_982:
	s_or_b64 exec, exec, s[6:7]
	s_and_saveexec_b64 s[6:7], s[4:5]
	s_cbranch_execz .LBB38_984
.LBB38_983:
	v_bfe_u32 v3, v4, 16, 3
	v_ffbh_u32_e32 v10, v3
	v_min_u32_e32 v10, 32, v10
	v_lshrrev_b32_e32 v6, 19, v4
	v_subrev_u32_e32 v11, 28, v10
	v_and_b32_e32 v6, 15, v6
	v_lshlrev_b32_sdwa v11, v11, v4 dst_sel:DWORD dst_unused:UNUSED_PAD src0_sel:DWORD src1_sel:WORD_1
	v_bfe_u32 v7, v4, 19, 4
	v_sub_u32_e32 v10, 29, v10
	v_and_b32_e32 v11, 7, v11
	v_cmp_eq_u16_e32 vcc, 0, v6
	v_cndmask_b32_e32 v3, v3, v11, vcc
	v_cndmask_b32_e32 v6, v7, v10, vcc
	v_lshlrev_b32_e32 v7, 8, v4
	v_mov_b32_e32 v10, 0x3b800000
	v_lshlrev_b32_e32 v3, 20, v3
	v_and_b32_e32 v7, 0x80000000, v7
	v_lshl_add_u32 v6, v6, 23, v10
	v_or3_b32 v6, v7, v6, v3
.LBB38_984:
	s_or_b64 exec, exec, s[6:7]
	s_nop 0
	v_mfma_f32_16x16x4f32 a[0:3], v2, v6, a[0:3]
	s_movk_i32 s4, 0x7f
	v_cmp_gt_i16_sdwa s[6:7], v8, s4 src0_sel:BYTE_3 src1_sel:DWORD
	s_mov_b64 s[4:5], 0
                                        ; implicit-def: $sgpr10
	s_and_saveexec_b64 s[8:9], s[6:7]
	s_xor_b64 s[6:7], exec, s[8:9]
	s_cbranch_execnz .LBB38_3033
; %bb.985:
	s_or_saveexec_b64 s[6:7], s[6:7]
	v_mov_b32_e32 v2, s10
	s_xor_b64 exec, exec, s[6:7]
	s_cbranch_execnz .LBB38_3036
.LBB38_986:
	s_or_b64 exec, exec, s[6:7]
	s_and_saveexec_b64 s[6:7], s[4:5]
	s_cbranch_execz .LBB38_988
.LBB38_987:
	v_bfe_u32 v2, v8, 24, 3
	v_ffbh_u32_e32 v10, v2
	v_min_u32_e32 v10, 32, v10
	v_lshrrev_b32_e32 v6, 27, v8
	v_subrev_u32_e32 v11, 28, v10
	v_and_b32_e32 v3, 0x80000000, v8
	v_and_b32_e32 v6, 15, v6
	v_bfe_u32 v7, v8, 27, 4
	v_lshlrev_b32_sdwa v8, v11, v8 dst_sel:DWORD dst_unused:UNUSED_PAD src0_sel:DWORD src1_sel:BYTE_3
	v_sub_u32_e32 v10, 29, v10
	v_and_b32_e32 v8, 7, v8
	v_cmp_eq_u16_e32 vcc, 0, v6
	v_cndmask_b32_e32 v2, v2, v8, vcc
	v_cndmask_b32_e32 v6, v7, v10, vcc
	v_mov_b32_e32 v7, 0x3b800000
	v_lshlrev_b32_e32 v2, 20, v2
	v_lshl_add_u32 v6, v6, 23, v7
	v_or3_b32 v2, v3, v6, v2
.LBB38_988:
	s_or_b64 exec, exec, s[6:7]
	s_movk_i32 s4, 0x7f
	v_cmp_gt_i16_sdwa s[6:7], v4, s4 src0_sel:BYTE_3 src1_sel:DWORD
	s_mov_b64 s[4:5], 0
                                        ; implicit-def: $sgpr10
	s_and_saveexec_b64 s[8:9], s[6:7]
	s_xor_b64 s[6:7], exec, s[8:9]
	s_cbranch_execnz .LBB38_3037
; %bb.989:
	s_or_saveexec_b64 s[6:7], s[6:7]
	v_mov_b32_e32 v3, s10
	s_xor_b64 exec, exec, s[6:7]
	s_cbranch_execnz .LBB38_3040
.LBB38_990:
	s_or_b64 exec, exec, s[6:7]
	s_and_saveexec_b64 s[6:7], s[4:5]
	s_cbranch_execz .LBB38_992
.LBB38_991:
	v_bfe_u32 v3, v4, 24, 3
	v_ffbh_u32_e32 v10, v3
	v_min_u32_e32 v10, 32, v10
	v_lshrrev_b32_e32 v7, 27, v4
	v_subrev_u32_e32 v11, 28, v10
	v_and_b32_e32 v6, 0x80000000, v4
	v_and_b32_e32 v7, 15, v7
	v_bfe_u32 v8, v4, 27, 4
	v_lshlrev_b32_sdwa v4, v11, v4 dst_sel:DWORD dst_unused:UNUSED_PAD src0_sel:DWORD src1_sel:BYTE_3
	v_sub_u32_e32 v10, 29, v10
	v_and_b32_e32 v4, 7, v4
	v_cmp_eq_u16_e32 vcc, 0, v7
	v_cndmask_b32_e32 v3, v3, v4, vcc
	v_cndmask_b32_e32 v4, v8, v10, vcc
	v_mov_b32_e32 v7, 0x3b800000
	v_lshlrev_b32_e32 v3, 20, v3
	v_lshl_add_u32 v4, v4, 23, v7
	v_or3_b32 v3, v6, v4, v3
.LBB38_992:
	s_or_b64 exec, exec, s[6:7]
	s_nop 0
	v_mfma_f32_16x16x4f32 a[0:3], v2, v3, a[0:3]
	s_movk_i32 s4, 0x7f
	v_cmp_gt_i16_sdwa s[6:7], v9, s4 src0_sel:BYTE_0 src1_sel:DWORD
	s_mov_b64 s[4:5], 0
                                        ; implicit-def: $sgpr10
	s_and_saveexec_b64 s[8:9], s[6:7]
	s_xor_b64 s[6:7], exec, s[8:9]
	s_cbranch_execnz .LBB38_3041
; %bb.993:
	s_or_saveexec_b64 s[6:7], s[6:7]
	v_mov_b32_e32 v2, s10
	s_xor_b64 exec, exec, s[6:7]
	s_cbranch_execnz .LBB38_3044
.LBB38_994:
	s_or_b64 exec, exec, s[6:7]
	s_and_saveexec_b64 s[6:7], s[4:5]
	s_cbranch_execz .LBB38_996
.LBB38_995:
	v_mov_b32_e32 v2, 8
	v_and_b32_e32 v3, 7, v9
	v_lshrrev_b32_sdwa v2, v2, v9 dst_sel:BYTE_1 dst_unused:UNUSED_PAD src0_sel:DWORD src1_sel:DWORD
	v_ffbh_u32_e32 v4, v3
	v_or_b32_sdwa v2, v9, v2 dst_sel:DWORD dst_unused:UNUSED_PAD src0_sel:BYTE_0 src1_sel:DWORD
	v_min_u32_e32 v4, 32, v4
	v_lshrrev_b16_e32 v2, 3, v2
	v_subrev_u32_e32 v6, 28, v4
	v_and_b32_e32 v2, 15, v2
	v_lshlrev_b32_e32 v6, v6, v9
	v_sub_u32_e32 v4, 29, v4
	v_and_b32_e32 v6, 7, v6
	v_cmp_eq_u16_e32 vcc, 0, v2
	v_cndmask_b32_e32 v3, v3, v6, vcc
	v_cndmask_b32_e32 v2, v2, v4, vcc
	v_lshlrev_b32_e32 v4, 24, v9
	v_mov_b32_e32 v6, 0x3b800000
	v_lshlrev_b32_e32 v3, 20, v3
	v_and_b32_e32 v4, 0x80000000, v4
	v_lshl_add_u32 v2, v2, 23, v6
	v_or3_b32 v2, v4, v2, v3
.LBB38_996:
	s_or_b64 exec, exec, s[6:7]
	s_movk_i32 s4, 0x7f
	v_cmp_gt_i16_sdwa s[6:7], v5, s4 src0_sel:BYTE_0 src1_sel:DWORD
	s_mov_b64 s[4:5], 0
                                        ; implicit-def: $sgpr10
	s_and_saveexec_b64 s[8:9], s[6:7]
	s_xor_b64 s[6:7], exec, s[8:9]
	s_cbranch_execnz .LBB38_3045
; %bb.997:
	s_or_saveexec_b64 s[6:7], s[6:7]
	v_mov_b32_e32 v3, s10
	s_xor_b64 exec, exec, s[6:7]
	s_cbranch_execnz .LBB38_3048
.LBB38_998:
	s_or_b64 exec, exec, s[6:7]
	s_and_saveexec_b64 s[6:7], s[4:5]
	s_cbranch_execz .LBB38_1000
.LBB38_999:
	v_mov_b32_e32 v3, 8
	v_and_b32_e32 v4, 7, v5
	v_lshrrev_b32_sdwa v3, v3, v5 dst_sel:BYTE_1 dst_unused:UNUSED_PAD src0_sel:DWORD src1_sel:DWORD
	v_ffbh_u32_e32 v6, v4
	v_or_b32_sdwa v3, v5, v3 dst_sel:DWORD dst_unused:UNUSED_PAD src0_sel:BYTE_0 src1_sel:DWORD
	v_min_u32_e32 v6, 32, v6
	v_lshrrev_b16_e32 v3, 3, v3
	v_subrev_u32_e32 v7, 28, v6
	v_and_b32_e32 v3, 15, v3
	v_lshlrev_b32_e32 v7, v7, v5
	v_sub_u32_e32 v6, 29, v6
	v_and_b32_e32 v7, 7, v7
	v_cmp_eq_u16_e32 vcc, 0, v3
	v_cndmask_b32_e32 v4, v4, v7, vcc
	v_cndmask_b32_e32 v3, v3, v6, vcc
	v_lshlrev_b32_e32 v6, 24, v5
	v_mov_b32_e32 v7, 0x3b800000
	v_lshlrev_b32_e32 v4, 20, v4
	v_and_b32_e32 v6, 0x80000000, v6
	v_lshl_add_u32 v3, v3, 23, v7
	v_or3_b32 v3, v6, v3, v4
.LBB38_1000:
	s_or_b64 exec, exec, s[6:7]
	s_nop 0
	v_mfma_f32_16x16x4f32 a[0:3], v2, v3, a[0:3]
	v_lshrrev_b32_e32 v3, 8, v9
	s_movk_i32 s4, 0x7f
	v_cmp_gt_i16_sdwa s[6:7], v3, s4 src0_sel:BYTE_0 src1_sel:DWORD
	s_mov_b64 s[4:5], 0
                                        ; implicit-def: $sgpr10
	s_and_saveexec_b64 s[8:9], s[6:7]
	s_xor_b64 s[6:7], exec, s[8:9]
	s_cbranch_execnz .LBB38_3049
; %bb.1001:
	s_or_saveexec_b64 s[6:7], s[6:7]
	v_mov_b32_e32 v2, s10
	s_xor_b64 exec, exec, s[6:7]
	s_cbranch_execnz .LBB38_3052
.LBB38_1002:
	s_or_b64 exec, exec, s[6:7]
	s_and_saveexec_b64 s[6:7], s[4:5]
	s_cbranch_execz .LBB38_1004
.LBB38_1003:
	v_bfe_u32 v2, v9, 8, 3
	v_ffbh_u32_e32 v6, v2
	v_min_u32_e32 v6, 32, v6
	v_lshrrev_b16_e32 v4, 3, v3
	v_subrev_u32_e32 v7, 28, v6
	v_and_b32_e32 v4, 15, v4
	v_lshlrev_b32_e32 v3, v7, v3
	v_sub_u32_e32 v6, 29, v6
	v_and_b32_e32 v3, 7, v3
	v_cmp_eq_u16_e32 vcc, 0, v4
	v_cndmask_b32_e32 v2, v2, v3, vcc
	v_cndmask_b32_e32 v3, v4, v6, vcc
	v_lshlrev_b32_e32 v4, 16, v9
	v_mov_b32_e32 v6, 0x3b800000
	v_lshlrev_b32_e32 v2, 20, v2
	v_and_b32_e32 v4, 0x80000000, v4
	v_lshl_add_u32 v3, v3, 23, v6
	v_or3_b32 v2, v4, v3, v2
.LBB38_1004:
	s_or_b64 exec, exec, s[6:7]
	v_lshrrev_b32_e32 v3, 8, v5
	s_movk_i32 s4, 0x7f
	v_cmp_gt_i16_sdwa s[6:7], v3, s4 src0_sel:BYTE_0 src1_sel:DWORD
	s_mov_b64 s[4:5], 0
                                        ; implicit-def: $sgpr10
	s_and_saveexec_b64 s[8:9], s[6:7]
	s_xor_b64 s[6:7], exec, s[8:9]
	s_cbranch_execnz .LBB38_3053
; %bb.1005:
	s_or_saveexec_b64 s[6:7], s[6:7]
	v_mov_b32_e32 v4, s10
	s_xor_b64 exec, exec, s[6:7]
	s_cbranch_execnz .LBB38_3056
.LBB38_1006:
	s_or_b64 exec, exec, s[6:7]
	s_and_saveexec_b64 s[6:7], s[4:5]
	s_cbranch_execz .LBB38_1008
.LBB38_1007:
	v_bfe_u32 v4, v5, 8, 3
	v_ffbh_u32_e32 v7, v4
	v_min_u32_e32 v7, 32, v7
	v_lshrrev_b16_e32 v6, 3, v3
	v_subrev_u32_e32 v8, 28, v7
	v_and_b32_e32 v6, 15, v6
	v_lshlrev_b32_e32 v3, v8, v3
	v_sub_u32_e32 v7, 29, v7
	v_and_b32_e32 v3, 7, v3
	v_cmp_eq_u16_e32 vcc, 0, v6
	v_cndmask_b32_e32 v3, v4, v3, vcc
	v_cndmask_b32_e32 v4, v6, v7, vcc
	v_lshlrev_b32_e32 v6, 16, v5
	v_mov_b32_e32 v7, 0x3b800000
	v_lshlrev_b32_e32 v3, 20, v3
	v_and_b32_e32 v6, 0x80000000, v6
	v_lshl_add_u32 v4, v4, 23, v7
	v_or3_b32 v4, v6, v4, v3
.LBB38_1008:
	s_or_b64 exec, exec, s[6:7]
	s_nop 0
	v_mfma_f32_16x16x4f32 a[0:3], v2, v4, a[0:3]
	s_movk_i32 s4, 0xff
	v_and_b32_sdwa v3, v9, s4 dst_sel:DWORD dst_unused:UNUSED_PAD src0_sel:WORD_1 src1_sel:DWORD
	s_movk_i32 s4, 0x7f
	v_cmp_lt_i16_e32 vcc, s4, v3
	s_mov_b64 s[4:5], 0
                                        ; implicit-def: $sgpr10
	s_and_saveexec_b64 s[6:7], vcc
	s_xor_b64 s[6:7], exec, s[6:7]
	s_cbranch_execnz .LBB38_3057
; %bb.1009:
	s_or_saveexec_b64 s[6:7], s[6:7]
	v_mov_b32_e32 v2, s10
	s_xor_b64 exec, exec, s[6:7]
	s_cbranch_execnz .LBB38_3060
.LBB38_1010:
	s_or_b64 exec, exec, s[6:7]
	s_and_saveexec_b64 s[6:7], s[4:5]
	s_cbranch_execz .LBB38_1012
.LBB38_1011:
	v_bfe_u32 v2, v9, 16, 3
	v_ffbh_u32_e32 v6, v2
	v_min_u32_e32 v6, 32, v6
	v_lshrrev_b32_e32 v3, 19, v9
	v_subrev_u32_e32 v7, 28, v6
	v_and_b32_e32 v3, 15, v3
	v_lshlrev_b32_sdwa v7, v7, v9 dst_sel:DWORD dst_unused:UNUSED_PAD src0_sel:DWORD src1_sel:WORD_1
	v_bfe_u32 v4, v9, 19, 4
	v_sub_u32_e32 v6, 29, v6
	v_and_b32_e32 v7, 7, v7
	v_cmp_eq_u16_e32 vcc, 0, v3
	v_cndmask_b32_e32 v2, v2, v7, vcc
	v_cndmask_b32_e32 v3, v4, v6, vcc
	v_lshlrev_b32_e32 v4, 8, v9
	v_mov_b32_e32 v6, 0x3b800000
	v_lshlrev_b32_e32 v2, 20, v2
	v_and_b32_e32 v4, 0x80000000, v4
	v_lshl_add_u32 v3, v3, 23, v6
	v_or3_b32 v2, v4, v3, v2
.LBB38_1012:
	s_or_b64 exec, exec, s[6:7]
	s_movk_i32 s4, 0xff
	v_and_b32_sdwa v3, v5, s4 dst_sel:DWORD dst_unused:UNUSED_PAD src0_sel:WORD_1 src1_sel:DWORD
	s_movk_i32 s4, 0x7f
	v_cmp_lt_i16_e32 vcc, s4, v3
	s_mov_b64 s[4:5], 0
                                        ; implicit-def: $sgpr10
	s_and_saveexec_b64 s[6:7], vcc
	s_xor_b64 s[6:7], exec, s[6:7]
	s_cbranch_execnz .LBB38_3061
; %bb.1013:
	s_or_saveexec_b64 s[6:7], s[6:7]
	v_mov_b32_e32 v4, s10
	s_xor_b64 exec, exec, s[6:7]
	s_cbranch_execnz .LBB38_3064
.LBB38_1014:
	s_or_b64 exec, exec, s[6:7]
	s_and_saveexec_b64 s[6:7], s[4:5]
	s_cbranch_execz .LBB38_1016
.LBB38_1015:
	v_bfe_u32 v3, v5, 16, 3
	v_ffbh_u32_e32 v7, v3
	v_min_u32_e32 v7, 32, v7
	v_lshrrev_b32_e32 v4, 19, v5
	v_subrev_u32_e32 v8, 28, v7
	v_and_b32_e32 v4, 15, v4
	v_lshlrev_b32_sdwa v8, v8, v5 dst_sel:DWORD dst_unused:UNUSED_PAD src0_sel:DWORD src1_sel:WORD_1
	v_bfe_u32 v6, v5, 19, 4
	v_sub_u32_e32 v7, 29, v7
	v_and_b32_e32 v8, 7, v8
	v_cmp_eq_u16_e32 vcc, 0, v4
	v_cndmask_b32_e32 v3, v3, v8, vcc
	v_cndmask_b32_e32 v4, v6, v7, vcc
	v_lshlrev_b32_e32 v6, 8, v5
	v_mov_b32_e32 v7, 0x3b800000
	v_lshlrev_b32_e32 v3, 20, v3
	v_and_b32_e32 v6, 0x80000000, v6
	v_lshl_add_u32 v4, v4, 23, v7
	v_or3_b32 v4, v6, v4, v3
.LBB38_1016:
	s_or_b64 exec, exec, s[6:7]
	s_nop 0
	v_mfma_f32_16x16x4f32 a[0:3], v2, v4, a[0:3]
	s_movk_i32 s4, 0x7f
	v_cmp_gt_i16_sdwa s[6:7], v9, s4 src0_sel:BYTE_3 src1_sel:DWORD
	s_mov_b64 s[4:5], 0
                                        ; implicit-def: $sgpr10
	s_and_saveexec_b64 s[8:9], s[6:7]
	s_xor_b64 s[6:7], exec, s[8:9]
	s_cbranch_execnz .LBB38_3065
; %bb.1017:
	s_or_saveexec_b64 s[6:7], s[6:7]
	v_mov_b32_e32 v2, s10
	s_xor_b64 exec, exec, s[6:7]
	s_cbranch_execnz .LBB38_3068
.LBB38_1018:
	s_or_b64 exec, exec, s[6:7]
	s_and_saveexec_b64 s[6:7], s[4:5]
	s_cbranch_execz .LBB38_1020
.LBB38_1019:
	v_bfe_u32 v2, v9, 24, 3
	v_ffbh_u32_e32 v7, v2
	v_min_u32_e32 v7, 32, v7
	v_lshrrev_b32_e32 v4, 27, v9
	v_subrev_u32_e32 v8, 28, v7
	v_and_b32_e32 v4, 15, v4
	v_lshlrev_b32_sdwa v8, v8, v9 dst_sel:DWORD dst_unused:UNUSED_PAD src0_sel:DWORD src1_sel:BYTE_3
	v_bfe_u32 v6, v9, 27, 4
	v_sub_u32_e32 v7, 29, v7
	v_and_b32_e32 v8, 7, v8
	v_cmp_eq_u16_e32 vcc, 0, v4
	v_cndmask_b32_e32 v2, v2, v8, vcc
	v_cndmask_b32_e32 v4, v6, v7, vcc
	v_mov_b32_e32 v6, 0x3b800000
	v_and_b32_e32 v3, 0x80000000, v9
	v_lshlrev_b32_e32 v2, 20, v2
	v_lshl_add_u32 v4, v4, 23, v6
	v_or3_b32 v2, v3, v4, v2
.LBB38_1020:
	s_or_b64 exec, exec, s[6:7]
	s_movk_i32 s4, 0x7f
	v_cmp_gt_i16_sdwa s[6:7], v5, s4 src0_sel:BYTE_3 src1_sel:DWORD
	s_mov_b64 s[4:5], 0
                                        ; implicit-def: $sgpr10
	s_and_saveexec_b64 s[8:9], s[6:7]
	s_xor_b64 s[6:7], exec, s[8:9]
	s_cbranch_execnz .LBB38_3069
; %bb.1021:
	s_or_saveexec_b64 s[6:7], s[6:7]
	v_mov_b32_e32 v3, s10
	s_xor_b64 exec, exec, s[6:7]
	s_cbranch_execnz .LBB38_3072
.LBB38_1022:
	s_or_b64 exec, exec, s[6:7]
	s_and_saveexec_b64 s[6:7], s[4:5]
	s_cbranch_execz .LBB38_1024
.LBB38_1023:
	v_bfe_u32 v3, v5, 24, 3
	v_ffbh_u32_e32 v8, v3
	v_min_u32_e32 v8, 32, v8
	v_lshrrev_b32_e32 v6, 27, v5
	v_subrev_u32_e32 v9, 28, v8
	v_and_b32_e32 v4, 0x80000000, v5
	v_and_b32_e32 v6, 15, v6
	v_bfe_u32 v7, v5, 27, 4
	v_lshlrev_b32_sdwa v5, v9, v5 dst_sel:DWORD dst_unused:UNUSED_PAD src0_sel:DWORD src1_sel:BYTE_3
	v_sub_u32_e32 v8, 29, v8
	v_and_b32_e32 v5, 7, v5
	v_cmp_eq_u16_e32 vcc, 0, v6
	v_cndmask_b32_e32 v3, v3, v5, vcc
	v_cndmask_b32_e32 v5, v7, v8, vcc
	v_mov_b32_e32 v6, 0x3b800000
	v_lshlrev_b32_e32 v3, 20, v3
	v_lshl_add_u32 v5, v5, 23, v6
	v_or3_b32 v3, v4, v5, v3
.LBB38_1024:
	s_or_b64 exec, exec, s[6:7]
	s_nop 0
	v_mfma_f32_16x16x4f32 a[0:3], v2, v3, a[0:3]
	s_movk_i32 s4, 0x7f
                                        ; implicit-def: $sgpr10
	s_nop 7
	s_nop 1
	flat_store_dwordx4 v[18:19], a[0:3] offset:304
	flat_load_dwordx4 v[20:23], v[0:1] offset:16
	s_nop 0
	flat_load_dwordx2 v[18:19], v[0:1] offset:32
	s_waitcnt vmcnt(0) lgkmcnt(0)
	flat_load_dwordx4 v[14:17], v[20:21]
	flat_load_dwordx4 v[6:9], v[20:21] offset:16
	flat_load_dwordx4 v[10:13], v[22:23] offset:384
	;; [unrolled: 1-line block ×3, first 2 shown]
	s_waitcnt vmcnt(0) lgkmcnt(0)
	v_cmp_gt_i16_sdwa s[6:7], v14, s4 src0_sel:BYTE_0 src1_sel:DWORD
	s_mov_b64 s[4:5], 0
	s_and_saveexec_b64 s[8:9], s[6:7]
	s_xor_b64 s[6:7], exec, s[8:9]
	s_cbranch_execnz .LBB38_3073
; %bb.1025:
	s_or_saveexec_b64 s[6:7], s[6:7]
	v_mov_b32_e32 v20, s10
	s_xor_b64 exec, exec, s[6:7]
	s_cbranch_execnz .LBB38_3076
.LBB38_1026:
	s_or_b64 exec, exec, s[6:7]
	s_and_saveexec_b64 s[6:7], s[4:5]
	s_cbranch_execz .LBB38_1028
.LBB38_1027:
	v_and_b32_e32 v20, 7, v14
	v_ffbh_u32_e32 v22, v20
	v_min_u32_e32 v22, 32, v22
	v_lshrrev_b16_e32 v21, 3, v14
	v_subrev_u32_e32 v23, 28, v22
	v_and_b32_e32 v21, 15, v21
	v_lshlrev_b32_e32 v23, v23, v14
	v_sub_u32_e32 v22, 29, v22
	v_and_b32_e32 v23, 7, v23
	v_cmp_eq_u16_e32 vcc, 0, v21
	v_cndmask_b32_e32 v20, v20, v23, vcc
	v_cndmask_b32_e32 v21, v21, v22, vcc
	v_lshlrev_b32_e32 v22, 24, v14
	v_mov_b32_e32 v23, 0x3b800000
	v_lshlrev_b32_e32 v20, 20, v20
	v_and_b32_e32 v22, 0x80000000, v22
	v_lshl_add_u32 v21, v21, 23, v23
	v_or3_b32 v20, v22, v21, v20
.LBB38_1028:
	s_or_b64 exec, exec, s[6:7]
	s_movk_i32 s4, 0x7f
	v_cmp_gt_i16_sdwa s[6:7], v10, s4 src0_sel:BYTE_0 src1_sel:DWORD
	s_mov_b64 s[4:5], 0
                                        ; implicit-def: $sgpr10
	s_and_saveexec_b64 s[8:9], s[6:7]
	s_xor_b64 s[6:7], exec, s[8:9]
	s_cbranch_execnz .LBB38_3077
; %bb.1029:
	s_or_saveexec_b64 s[6:7], s[6:7]
	v_mov_b32_e32 v21, s10
	s_xor_b64 exec, exec, s[6:7]
	s_cbranch_execnz .LBB38_3080
.LBB38_1030:
	s_or_b64 exec, exec, s[6:7]
	s_and_saveexec_b64 s[6:7], s[4:5]
	s_cbranch_execz .LBB38_1032
.LBB38_1031:
	v_and_b32_e32 v21, 7, v10
	v_ffbh_u32_e32 v23, v21
	v_min_u32_e32 v23, 32, v23
	v_lshrrev_b16_e32 v22, 3, v10
	v_subrev_u32_e32 v24, 28, v23
	v_and_b32_e32 v22, 15, v22
	v_lshlrev_b32_e32 v24, v24, v10
	v_sub_u32_e32 v23, 29, v23
	v_and_b32_e32 v24, 7, v24
	v_cmp_eq_u16_e32 vcc, 0, v22
	v_cndmask_b32_e32 v21, v21, v24, vcc
	v_cndmask_b32_e32 v22, v22, v23, vcc
	v_lshlrev_b32_e32 v23, 24, v10
	v_mov_b32_e32 v24, 0x3b800000
	v_lshlrev_b32_e32 v21, 20, v21
	v_and_b32_e32 v23, 0x80000000, v23
	v_lshl_add_u32 v22, v22, 23, v24
	v_or3_b32 v21, v23, v22, v21
.LBB38_1032:
	s_or_b64 exec, exec, s[6:7]
	flat_load_dwordx4 a[0:3], v[18:19] offset:320
	s_movk_i32 s4, 0x7f
                                        ; implicit-def: $sgpr10
	s_waitcnt vmcnt(0) lgkmcnt(0)
	v_mfma_f32_16x16x4f32 a[0:3], v20, v21, a[0:3]
	v_lshrrev_b32_e32 v21, 8, v14
	v_cmp_gt_i16_sdwa s[6:7], v21, s4 src0_sel:BYTE_0 src1_sel:DWORD
	s_mov_b64 s[4:5], 0
	s_and_saveexec_b64 s[8:9], s[6:7]
	s_xor_b64 s[6:7], exec, s[8:9]
	s_cbranch_execnz .LBB38_3081
; %bb.1033:
	s_or_saveexec_b64 s[6:7], s[6:7]
	v_mov_b32_e32 v20, s10
	s_xor_b64 exec, exec, s[6:7]
	s_cbranch_execnz .LBB38_3084
.LBB38_1034:
	s_or_b64 exec, exec, s[6:7]
	s_and_saveexec_b64 s[6:7], s[4:5]
	s_cbranch_execz .LBB38_1036
.LBB38_1035:
	v_bfe_u32 v20, v14, 8, 3
	v_ffbh_u32_e32 v23, v20
	v_min_u32_e32 v23, 32, v23
	v_lshrrev_b16_e32 v22, 3, v21
	v_subrev_u32_e32 v24, 28, v23
	v_and_b32_e32 v22, 15, v22
	v_lshlrev_b32_e32 v21, v24, v21
	v_sub_u32_e32 v23, 29, v23
	v_and_b32_e32 v21, 7, v21
	v_cmp_eq_u16_e32 vcc, 0, v22
	v_cndmask_b32_e32 v20, v20, v21, vcc
	v_cndmask_b32_e32 v21, v22, v23, vcc
	v_lshlrev_b32_e32 v22, 16, v14
	v_mov_b32_e32 v23, 0x3b800000
	v_lshlrev_b32_e32 v20, 20, v20
	v_and_b32_e32 v22, 0x80000000, v22
	v_lshl_add_u32 v21, v21, 23, v23
	v_or3_b32 v20, v22, v21, v20
.LBB38_1036:
	s_or_b64 exec, exec, s[6:7]
	v_lshrrev_b32_e32 v21, 8, v10
	s_movk_i32 s4, 0x7f
	v_cmp_gt_i16_sdwa s[6:7], v21, s4 src0_sel:BYTE_0 src1_sel:DWORD
	s_mov_b64 s[4:5], 0
                                        ; implicit-def: $sgpr10
	s_and_saveexec_b64 s[8:9], s[6:7]
	s_xor_b64 s[6:7], exec, s[8:9]
	s_cbranch_execnz .LBB38_3085
; %bb.1037:
	s_or_saveexec_b64 s[6:7], s[6:7]
	v_mov_b32_e32 v22, s10
	s_xor_b64 exec, exec, s[6:7]
	s_cbranch_execnz .LBB38_3088
.LBB38_1038:
	s_or_b64 exec, exec, s[6:7]
	s_and_saveexec_b64 s[6:7], s[4:5]
	s_cbranch_execz .LBB38_1040
.LBB38_1039:
	v_bfe_u32 v22, v10, 8, 3
	v_ffbh_u32_e32 v24, v22
	v_min_u32_e32 v24, 32, v24
	v_lshrrev_b16_e32 v23, 3, v21
	v_subrev_u32_e32 v25, 28, v24
	v_and_b32_e32 v23, 15, v23
	v_lshlrev_b32_e32 v21, v25, v21
	v_sub_u32_e32 v24, 29, v24
	v_and_b32_e32 v21, 7, v21
	v_cmp_eq_u16_e32 vcc, 0, v23
	v_cndmask_b32_e32 v21, v22, v21, vcc
	v_cndmask_b32_e32 v22, v23, v24, vcc
	v_lshlrev_b32_e32 v23, 16, v10
	v_mov_b32_e32 v24, 0x3b800000
	v_lshlrev_b32_e32 v21, 20, v21
	v_and_b32_e32 v23, 0x80000000, v23
	v_lshl_add_u32 v22, v22, 23, v24
	v_or3_b32 v22, v23, v22, v21
.LBB38_1040:
	s_or_b64 exec, exec, s[6:7]
	s_nop 0
	v_mfma_f32_16x16x4f32 a[0:3], v20, v22, a[0:3]
	s_movk_i32 s4, 0xff
	v_and_b32_sdwa v21, v14, s4 dst_sel:DWORD dst_unused:UNUSED_PAD src0_sel:WORD_1 src1_sel:DWORD
	s_movk_i32 s4, 0x7f
	v_cmp_lt_i16_e32 vcc, s4, v21
	s_mov_b64 s[4:5], 0
                                        ; implicit-def: $sgpr10
	s_and_saveexec_b64 s[6:7], vcc
	s_xor_b64 s[6:7], exec, s[6:7]
	s_cbranch_execnz .LBB38_3089
; %bb.1041:
	s_or_saveexec_b64 s[6:7], s[6:7]
	v_mov_b32_e32 v20, s10
	s_xor_b64 exec, exec, s[6:7]
	s_cbranch_execnz .LBB38_3092
.LBB38_1042:
	s_or_b64 exec, exec, s[6:7]
	s_and_saveexec_b64 s[6:7], s[4:5]
	s_cbranch_execz .LBB38_1044
.LBB38_1043:
	v_bfe_u32 v20, v14, 16, 3
	v_ffbh_u32_e32 v23, v20
	v_min_u32_e32 v23, 32, v23
	v_lshrrev_b32_e32 v21, 19, v14
	v_subrev_u32_e32 v24, 28, v23
	v_and_b32_e32 v21, 15, v21
	v_lshlrev_b32_sdwa v24, v24, v14 dst_sel:DWORD dst_unused:UNUSED_PAD src0_sel:DWORD src1_sel:WORD_1
	v_bfe_u32 v22, v14, 19, 4
	v_sub_u32_e32 v23, 29, v23
	v_and_b32_e32 v24, 7, v24
	v_cmp_eq_u16_e32 vcc, 0, v21
	v_cndmask_b32_e32 v20, v20, v24, vcc
	v_cndmask_b32_e32 v21, v22, v23, vcc
	v_lshlrev_b32_e32 v22, 8, v14
	v_mov_b32_e32 v23, 0x3b800000
	v_lshlrev_b32_e32 v20, 20, v20
	v_and_b32_e32 v22, 0x80000000, v22
	v_lshl_add_u32 v21, v21, 23, v23
	v_or3_b32 v20, v22, v21, v20
.LBB38_1044:
	s_or_b64 exec, exec, s[6:7]
	s_movk_i32 s4, 0xff
	v_and_b32_sdwa v21, v10, s4 dst_sel:DWORD dst_unused:UNUSED_PAD src0_sel:WORD_1 src1_sel:DWORD
	s_movk_i32 s4, 0x7f
	v_cmp_lt_i16_e32 vcc, s4, v21
	s_mov_b64 s[4:5], 0
                                        ; implicit-def: $sgpr10
	s_and_saveexec_b64 s[6:7], vcc
	s_xor_b64 s[6:7], exec, s[6:7]
	s_cbranch_execnz .LBB38_3093
; %bb.1045:
	s_or_saveexec_b64 s[6:7], s[6:7]
	v_mov_b32_e32 v22, s10
	s_xor_b64 exec, exec, s[6:7]
	s_cbranch_execnz .LBB38_3096
.LBB38_1046:
	s_or_b64 exec, exec, s[6:7]
	s_and_saveexec_b64 s[6:7], s[4:5]
	s_cbranch_execz .LBB38_1048
.LBB38_1047:
	v_bfe_u32 v21, v10, 16, 3
	v_ffbh_u32_e32 v24, v21
	v_min_u32_e32 v24, 32, v24
	v_lshrrev_b32_e32 v22, 19, v10
	v_subrev_u32_e32 v25, 28, v24
	v_and_b32_e32 v22, 15, v22
	v_lshlrev_b32_sdwa v25, v25, v10 dst_sel:DWORD dst_unused:UNUSED_PAD src0_sel:DWORD src1_sel:WORD_1
	v_bfe_u32 v23, v10, 19, 4
	v_sub_u32_e32 v24, 29, v24
	v_and_b32_e32 v25, 7, v25
	v_cmp_eq_u16_e32 vcc, 0, v22
	v_cndmask_b32_e32 v21, v21, v25, vcc
	v_cndmask_b32_e32 v22, v23, v24, vcc
	v_lshlrev_b32_e32 v23, 8, v10
	v_mov_b32_e32 v24, 0x3b800000
	v_lshlrev_b32_e32 v21, 20, v21
	v_and_b32_e32 v23, 0x80000000, v23
	v_lshl_add_u32 v22, v22, 23, v24
	v_or3_b32 v22, v23, v22, v21
.LBB38_1048:
	s_or_b64 exec, exec, s[6:7]
	s_nop 0
	v_mfma_f32_16x16x4f32 a[0:3], v20, v22, a[0:3]
	s_movk_i32 s4, 0x7f
	v_cmp_gt_i16_sdwa s[6:7], v14, s4 src0_sel:BYTE_3 src1_sel:DWORD
	s_mov_b64 s[4:5], 0
                                        ; implicit-def: $sgpr10
	s_and_saveexec_b64 s[8:9], s[6:7]
	s_xor_b64 s[6:7], exec, s[8:9]
	s_cbranch_execnz .LBB38_3097
; %bb.1049:
	s_or_saveexec_b64 s[6:7], s[6:7]
	v_mov_b32_e32 v20, s10
	s_xor_b64 exec, exec, s[6:7]
	s_cbranch_execnz .LBB38_3100
.LBB38_1050:
	s_or_b64 exec, exec, s[6:7]
	s_and_saveexec_b64 s[6:7], s[4:5]
	s_cbranch_execz .LBB38_1052
.LBB38_1051:
	v_bfe_u32 v20, v14, 24, 3
	v_ffbh_u32_e32 v24, v20
	v_min_u32_e32 v24, 32, v24
	v_lshrrev_b32_e32 v22, 27, v14
	v_subrev_u32_e32 v25, 28, v24
	v_and_b32_e32 v21, 0x80000000, v14
	v_and_b32_e32 v22, 15, v22
	v_bfe_u32 v23, v14, 27, 4
	v_lshlrev_b32_sdwa v14, v25, v14 dst_sel:DWORD dst_unused:UNUSED_PAD src0_sel:DWORD src1_sel:BYTE_3
	v_sub_u32_e32 v24, 29, v24
	v_and_b32_e32 v14, 7, v14
	v_cmp_eq_u16_e32 vcc, 0, v22
	v_cndmask_b32_e32 v14, v20, v14, vcc
	v_cndmask_b32_e32 v20, v23, v24, vcc
	v_mov_b32_e32 v22, 0x3b800000
	v_lshlrev_b32_e32 v14, 20, v14
	v_lshl_add_u32 v20, v20, 23, v22
	v_or3_b32 v20, v21, v20, v14
.LBB38_1052:
	s_or_b64 exec, exec, s[6:7]
	s_movk_i32 s4, 0x7f
	v_cmp_gt_i16_sdwa s[6:7], v10, s4 src0_sel:BYTE_3 src1_sel:DWORD
	s_mov_b64 s[4:5], 0
                                        ; implicit-def: $sgpr10
	s_and_saveexec_b64 s[8:9], s[6:7]
	s_xor_b64 s[6:7], exec, s[8:9]
	s_cbranch_execnz .LBB38_3101
; %bb.1053:
	s_or_saveexec_b64 s[6:7], s[6:7]
	v_mov_b32_e32 v14, s10
	s_xor_b64 exec, exec, s[6:7]
	s_cbranch_execnz .LBB38_3104
.LBB38_1054:
	s_or_b64 exec, exec, s[6:7]
	s_and_saveexec_b64 s[6:7], s[4:5]
	s_cbranch_execz .LBB38_1056
.LBB38_1055:
	v_bfe_u32 v14, v10, 24, 3
	v_ffbh_u32_e32 v24, v14
	v_min_u32_e32 v24, 32, v24
	v_lshrrev_b32_e32 v22, 27, v10
	v_subrev_u32_e32 v25, 28, v24
	v_and_b32_e32 v21, 0x80000000, v10
	v_and_b32_e32 v22, 15, v22
	v_bfe_u32 v23, v10, 27, 4
	v_lshlrev_b32_sdwa v10, v25, v10 dst_sel:DWORD dst_unused:UNUSED_PAD src0_sel:DWORD src1_sel:BYTE_3
	v_sub_u32_e32 v24, 29, v24
	v_and_b32_e32 v10, 7, v10
	v_cmp_eq_u16_e32 vcc, 0, v22
	v_cndmask_b32_e32 v10, v14, v10, vcc
	v_cndmask_b32_e32 v14, v23, v24, vcc
	v_mov_b32_e32 v22, 0x3b800000
	v_lshlrev_b32_e32 v10, 20, v10
	v_lshl_add_u32 v14, v14, 23, v22
	v_or3_b32 v14, v21, v14, v10
.LBB38_1056:
	s_or_b64 exec, exec, s[6:7]
	s_nop 0
	v_mfma_f32_16x16x4f32 a[0:3], v20, v14, a[0:3]
	s_movk_i32 s4, 0x7f
	v_cmp_gt_i16_sdwa s[6:7], v15, s4 src0_sel:BYTE_0 src1_sel:DWORD
	s_mov_b64 s[4:5], 0
                                        ; implicit-def: $sgpr10
	s_and_saveexec_b64 s[8:9], s[6:7]
	s_xor_b64 s[6:7], exec, s[8:9]
	s_cbranch_execnz .LBB38_3105
; %bb.1057:
	s_or_saveexec_b64 s[6:7], s[6:7]
	v_mov_b32_e32 v10, s10
	s_xor_b64 exec, exec, s[6:7]
	s_cbranch_execnz .LBB38_3108
.LBB38_1058:
	s_or_b64 exec, exec, s[6:7]
	s_and_saveexec_b64 s[6:7], s[4:5]
	s_cbranch_execz .LBB38_1060
.LBB38_1059:
	v_and_b32_e32 v10, 7, v15
	v_ffbh_u32_e32 v20, v10
	v_min_u32_e32 v20, 32, v20
	v_lshrrev_b16_e32 v14, 3, v15
	v_subrev_u32_e32 v21, 28, v20
	v_and_b32_e32 v14, 15, v14
	v_lshlrev_b32_e32 v21, v21, v15
	v_sub_u32_e32 v20, 29, v20
	v_and_b32_e32 v21, 7, v21
	v_cmp_eq_u16_e32 vcc, 0, v14
	v_cndmask_b32_e32 v10, v10, v21, vcc
	v_cndmask_b32_e32 v14, v14, v20, vcc
	v_lshlrev_b32_e32 v20, 24, v15
	v_mov_b32_e32 v21, 0x3b800000
	v_lshlrev_b32_e32 v10, 20, v10
	v_and_b32_e32 v20, 0x80000000, v20
	v_lshl_add_u32 v14, v14, 23, v21
	v_or3_b32 v10, v20, v14, v10
.LBB38_1060:
	s_or_b64 exec, exec, s[6:7]
	s_movk_i32 s4, 0x7f
	v_cmp_gt_i16_sdwa s[6:7], v11, s4 src0_sel:BYTE_0 src1_sel:DWORD
	s_mov_b64 s[4:5], 0
                                        ; implicit-def: $sgpr10
	s_and_saveexec_b64 s[8:9], s[6:7]
	s_xor_b64 s[6:7], exec, s[8:9]
	s_cbranch_execnz .LBB38_3109
; %bb.1061:
	s_or_saveexec_b64 s[6:7], s[6:7]
	v_mov_b32_e32 v14, s10
	s_xor_b64 exec, exec, s[6:7]
	s_cbranch_execnz .LBB38_3112
.LBB38_1062:
	s_or_b64 exec, exec, s[6:7]
	s_and_saveexec_b64 s[6:7], s[4:5]
	s_cbranch_execz .LBB38_1064
.LBB38_1063:
	v_and_b32_e32 v14, 7, v11
	v_ffbh_u32_e32 v21, v14
	v_min_u32_e32 v21, 32, v21
	v_lshrrev_b16_e32 v20, 3, v11
	v_subrev_u32_e32 v22, 28, v21
	v_and_b32_e32 v20, 15, v20
	v_lshlrev_b32_e32 v22, v22, v11
	v_sub_u32_e32 v21, 29, v21
	v_and_b32_e32 v22, 7, v22
	v_cmp_eq_u16_e32 vcc, 0, v20
	v_cndmask_b32_e32 v14, v14, v22, vcc
	v_cndmask_b32_e32 v20, v20, v21, vcc
	v_lshlrev_b32_e32 v21, 24, v11
	v_mov_b32_e32 v22, 0x3b800000
	v_lshlrev_b32_e32 v14, 20, v14
	v_and_b32_e32 v21, 0x80000000, v21
	v_lshl_add_u32 v20, v20, 23, v22
	v_or3_b32 v14, v21, v20, v14
.LBB38_1064:
	s_or_b64 exec, exec, s[6:7]
	s_nop 0
	v_mfma_f32_16x16x4f32 a[0:3], v10, v14, a[0:3]
	v_lshrrev_b32_e32 v14, 8, v15
	s_movk_i32 s4, 0x7f
	v_cmp_gt_i16_sdwa s[6:7], v14, s4 src0_sel:BYTE_0 src1_sel:DWORD
	s_mov_b64 s[4:5], 0
                                        ; implicit-def: $sgpr10
	s_and_saveexec_b64 s[8:9], s[6:7]
	s_xor_b64 s[6:7], exec, s[8:9]
	s_cbranch_execnz .LBB38_3113
; %bb.1065:
	s_or_saveexec_b64 s[6:7], s[6:7]
	v_mov_b32_e32 v10, s10
	s_xor_b64 exec, exec, s[6:7]
	s_cbranch_execnz .LBB38_3116
.LBB38_1066:
	s_or_b64 exec, exec, s[6:7]
	s_and_saveexec_b64 s[6:7], s[4:5]
	s_cbranch_execz .LBB38_1068
.LBB38_1067:
	v_bfe_u32 v10, v15, 8, 3
	v_ffbh_u32_e32 v21, v10
	v_min_u32_e32 v21, 32, v21
	v_lshrrev_b16_e32 v20, 3, v14
	v_subrev_u32_e32 v22, 28, v21
	v_and_b32_e32 v20, 15, v20
	v_lshlrev_b32_e32 v14, v22, v14
	v_sub_u32_e32 v21, 29, v21
	v_and_b32_e32 v14, 7, v14
	v_cmp_eq_u16_e32 vcc, 0, v20
	v_cndmask_b32_e32 v10, v10, v14, vcc
	v_cndmask_b32_e32 v14, v20, v21, vcc
	v_lshlrev_b32_e32 v20, 16, v15
	v_mov_b32_e32 v21, 0x3b800000
	v_lshlrev_b32_e32 v10, 20, v10
	v_and_b32_e32 v20, 0x80000000, v20
	v_lshl_add_u32 v14, v14, 23, v21
	v_or3_b32 v10, v20, v14, v10
.LBB38_1068:
	s_or_b64 exec, exec, s[6:7]
	v_lshrrev_b32_e32 v14, 8, v11
	s_movk_i32 s4, 0x7f
	v_cmp_gt_i16_sdwa s[6:7], v14, s4 src0_sel:BYTE_0 src1_sel:DWORD
	s_mov_b64 s[4:5], 0
                                        ; implicit-def: $sgpr10
	s_and_saveexec_b64 s[8:9], s[6:7]
	s_xor_b64 s[6:7], exec, s[8:9]
	s_cbranch_execnz .LBB38_3117
; %bb.1069:
	s_or_saveexec_b64 s[6:7], s[6:7]
	v_mov_b32_e32 v20, s10
	s_xor_b64 exec, exec, s[6:7]
	s_cbranch_execnz .LBB38_3120
.LBB38_1070:
	s_or_b64 exec, exec, s[6:7]
	s_and_saveexec_b64 s[6:7], s[4:5]
	s_cbranch_execz .LBB38_1072
.LBB38_1071:
	v_bfe_u32 v20, v11, 8, 3
	v_ffbh_u32_e32 v22, v20
	v_min_u32_e32 v22, 32, v22
	v_lshrrev_b16_e32 v21, 3, v14
	v_subrev_u32_e32 v23, 28, v22
	v_and_b32_e32 v21, 15, v21
	v_lshlrev_b32_e32 v14, v23, v14
	v_sub_u32_e32 v22, 29, v22
	v_and_b32_e32 v14, 7, v14
	v_cmp_eq_u16_e32 vcc, 0, v21
	v_cndmask_b32_e32 v14, v20, v14, vcc
	v_cndmask_b32_e32 v20, v21, v22, vcc
	v_lshlrev_b32_e32 v21, 16, v11
	v_mov_b32_e32 v22, 0x3b800000
	v_lshlrev_b32_e32 v14, 20, v14
	v_and_b32_e32 v21, 0x80000000, v21
	v_lshl_add_u32 v20, v20, 23, v22
	v_or3_b32 v20, v21, v20, v14
.LBB38_1072:
	s_or_b64 exec, exec, s[6:7]
	s_nop 0
	v_mfma_f32_16x16x4f32 a[0:3], v10, v20, a[0:3]
	s_movk_i32 s4, 0xff
	v_and_b32_sdwa v14, v15, s4 dst_sel:DWORD dst_unused:UNUSED_PAD src0_sel:WORD_1 src1_sel:DWORD
	s_movk_i32 s4, 0x7f
	v_cmp_lt_i16_e32 vcc, s4, v14
	s_mov_b64 s[4:5], 0
                                        ; implicit-def: $sgpr10
	s_and_saveexec_b64 s[6:7], vcc
	s_xor_b64 s[6:7], exec, s[6:7]
	s_cbranch_execnz .LBB38_3121
; %bb.1073:
	s_or_saveexec_b64 s[6:7], s[6:7]
	v_mov_b32_e32 v10, s10
	s_xor_b64 exec, exec, s[6:7]
	s_cbranch_execnz .LBB38_3124
.LBB38_1074:
	s_or_b64 exec, exec, s[6:7]
	s_and_saveexec_b64 s[6:7], s[4:5]
	s_cbranch_execz .LBB38_1076
.LBB38_1075:
	v_bfe_u32 v10, v15, 16, 3
	v_ffbh_u32_e32 v21, v10
	v_min_u32_e32 v21, 32, v21
	v_lshrrev_b32_e32 v14, 19, v15
	v_subrev_u32_e32 v22, 28, v21
	v_and_b32_e32 v14, 15, v14
	v_lshlrev_b32_sdwa v22, v22, v15 dst_sel:DWORD dst_unused:UNUSED_PAD src0_sel:DWORD src1_sel:WORD_1
	v_bfe_u32 v20, v15, 19, 4
	v_sub_u32_e32 v21, 29, v21
	v_and_b32_e32 v22, 7, v22
	v_cmp_eq_u16_e32 vcc, 0, v14
	v_cndmask_b32_e32 v10, v10, v22, vcc
	v_cndmask_b32_e32 v14, v20, v21, vcc
	v_lshlrev_b32_e32 v20, 8, v15
	v_mov_b32_e32 v21, 0x3b800000
	v_lshlrev_b32_e32 v10, 20, v10
	v_and_b32_e32 v20, 0x80000000, v20
	v_lshl_add_u32 v14, v14, 23, v21
	v_or3_b32 v10, v20, v14, v10
.LBB38_1076:
	s_or_b64 exec, exec, s[6:7]
	s_movk_i32 s4, 0xff
	v_and_b32_sdwa v14, v11, s4 dst_sel:DWORD dst_unused:UNUSED_PAD src0_sel:WORD_1 src1_sel:DWORD
	s_movk_i32 s4, 0x7f
	v_cmp_lt_i16_e32 vcc, s4, v14
	s_mov_b64 s[4:5], 0
                                        ; implicit-def: $sgpr10
	s_and_saveexec_b64 s[6:7], vcc
	s_xor_b64 s[6:7], exec, s[6:7]
	s_cbranch_execnz .LBB38_3125
; %bb.1077:
	s_or_saveexec_b64 s[6:7], s[6:7]
	v_mov_b32_e32 v20, s10
	s_xor_b64 exec, exec, s[6:7]
	s_cbranch_execnz .LBB38_3128
.LBB38_1078:
	s_or_b64 exec, exec, s[6:7]
	s_and_saveexec_b64 s[6:7], s[4:5]
	s_cbranch_execz .LBB38_1080
.LBB38_1079:
	v_bfe_u32 v14, v11, 16, 3
	v_ffbh_u32_e32 v22, v14
	v_min_u32_e32 v22, 32, v22
	v_lshrrev_b32_e32 v20, 19, v11
	v_subrev_u32_e32 v23, 28, v22
	v_and_b32_e32 v20, 15, v20
	v_lshlrev_b32_sdwa v23, v23, v11 dst_sel:DWORD dst_unused:UNUSED_PAD src0_sel:DWORD src1_sel:WORD_1
	v_bfe_u32 v21, v11, 19, 4
	v_sub_u32_e32 v22, 29, v22
	v_and_b32_e32 v23, 7, v23
	v_cmp_eq_u16_e32 vcc, 0, v20
	v_cndmask_b32_e32 v14, v14, v23, vcc
	v_cndmask_b32_e32 v20, v21, v22, vcc
	v_lshlrev_b32_e32 v21, 8, v11
	v_mov_b32_e32 v22, 0x3b800000
	v_lshlrev_b32_e32 v14, 20, v14
	v_and_b32_e32 v21, 0x80000000, v21
	v_lshl_add_u32 v20, v20, 23, v22
	v_or3_b32 v20, v21, v20, v14
.LBB38_1080:
	s_or_b64 exec, exec, s[6:7]
	s_nop 0
	v_mfma_f32_16x16x4f32 a[0:3], v10, v20, a[0:3]
	s_movk_i32 s4, 0x7f
	v_cmp_gt_i16_sdwa s[6:7], v15, s4 src0_sel:BYTE_3 src1_sel:DWORD
	s_mov_b64 s[4:5], 0
                                        ; implicit-def: $sgpr10
	s_and_saveexec_b64 s[8:9], s[6:7]
	s_xor_b64 s[6:7], exec, s[8:9]
	s_cbranch_execnz .LBB38_3129
; %bb.1081:
	s_or_saveexec_b64 s[6:7], s[6:7]
	v_mov_b32_e32 v10, s10
	s_xor_b64 exec, exec, s[6:7]
	s_cbranch_execnz .LBB38_3132
.LBB38_1082:
	s_or_b64 exec, exec, s[6:7]
	s_and_saveexec_b64 s[6:7], s[4:5]
	s_cbranch_execz .LBB38_1084
.LBB38_1083:
	v_bfe_u32 v10, v15, 24, 3
	v_ffbh_u32_e32 v22, v10
	v_min_u32_e32 v22, 32, v22
	v_lshrrev_b32_e32 v20, 27, v15
	v_subrev_u32_e32 v23, 28, v22
	v_and_b32_e32 v14, 0x80000000, v15
	v_and_b32_e32 v20, 15, v20
	v_bfe_u32 v21, v15, 27, 4
	v_lshlrev_b32_sdwa v15, v23, v15 dst_sel:DWORD dst_unused:UNUSED_PAD src0_sel:DWORD src1_sel:BYTE_3
	v_sub_u32_e32 v22, 29, v22
	v_and_b32_e32 v15, 7, v15
	v_cmp_eq_u16_e32 vcc, 0, v20
	v_cndmask_b32_e32 v10, v10, v15, vcc
	v_cndmask_b32_e32 v15, v21, v22, vcc
	v_mov_b32_e32 v20, 0x3b800000
	v_lshlrev_b32_e32 v10, 20, v10
	v_lshl_add_u32 v15, v15, 23, v20
	v_or3_b32 v10, v14, v15, v10
.LBB38_1084:
	s_or_b64 exec, exec, s[6:7]
	s_movk_i32 s4, 0x7f
	v_cmp_gt_i16_sdwa s[6:7], v11, s4 src0_sel:BYTE_3 src1_sel:DWORD
	s_mov_b64 s[4:5], 0
                                        ; implicit-def: $sgpr10
	s_and_saveexec_b64 s[8:9], s[6:7]
	s_xor_b64 s[6:7], exec, s[8:9]
	s_cbranch_execnz .LBB38_3133
; %bb.1085:
	s_or_saveexec_b64 s[6:7], s[6:7]
	v_mov_b32_e32 v14, s10
	s_xor_b64 exec, exec, s[6:7]
	s_cbranch_execnz .LBB38_3136
.LBB38_1086:
	s_or_b64 exec, exec, s[6:7]
	s_and_saveexec_b64 s[6:7], s[4:5]
	s_cbranch_execz .LBB38_1088
.LBB38_1087:
	v_bfe_u32 v14, v11, 24, 3
	v_ffbh_u32_e32 v22, v14
	v_min_u32_e32 v22, 32, v22
	v_lshrrev_b32_e32 v20, 27, v11
	v_subrev_u32_e32 v23, 28, v22
	v_and_b32_e32 v15, 0x80000000, v11
	v_and_b32_e32 v20, 15, v20
	v_bfe_u32 v21, v11, 27, 4
	v_lshlrev_b32_sdwa v11, v23, v11 dst_sel:DWORD dst_unused:UNUSED_PAD src0_sel:DWORD src1_sel:BYTE_3
	v_sub_u32_e32 v22, 29, v22
	v_and_b32_e32 v11, 7, v11
	v_cmp_eq_u16_e32 vcc, 0, v20
	v_cndmask_b32_e32 v11, v14, v11, vcc
	v_cndmask_b32_e32 v14, v21, v22, vcc
	v_mov_b32_e32 v20, 0x3b800000
	v_lshlrev_b32_e32 v11, 20, v11
	v_lshl_add_u32 v14, v14, 23, v20
	v_or3_b32 v14, v15, v14, v11
.LBB38_1088:
	s_or_b64 exec, exec, s[6:7]
	s_nop 0
	v_mfma_f32_16x16x4f32 a[0:3], v10, v14, a[0:3]
	s_movk_i32 s4, 0x7f
	v_cmp_gt_i16_sdwa s[6:7], v16, s4 src0_sel:BYTE_0 src1_sel:DWORD
	s_mov_b64 s[4:5], 0
                                        ; implicit-def: $sgpr10
	s_and_saveexec_b64 s[8:9], s[6:7]
	s_xor_b64 s[6:7], exec, s[8:9]
	s_cbranch_execnz .LBB38_3137
; %bb.1089:
	s_or_saveexec_b64 s[6:7], s[6:7]
	v_mov_b32_e32 v10, s10
	s_xor_b64 exec, exec, s[6:7]
	s_cbranch_execnz .LBB38_3140
.LBB38_1090:
	s_or_b64 exec, exec, s[6:7]
	s_and_saveexec_b64 s[6:7], s[4:5]
	s_cbranch_execz .LBB38_1092
.LBB38_1091:
	v_and_b32_e32 v10, 7, v16
	v_ffbh_u32_e32 v14, v10
	v_min_u32_e32 v14, 32, v14
	v_lshrrev_b16_e32 v11, 3, v16
	v_subrev_u32_e32 v15, 28, v14
	v_and_b32_e32 v11, 15, v11
	v_lshlrev_b32_e32 v15, v15, v16
	v_sub_u32_e32 v14, 29, v14
	v_and_b32_e32 v15, 7, v15
	v_cmp_eq_u16_e32 vcc, 0, v11
	v_cndmask_b32_e32 v10, v10, v15, vcc
	v_cndmask_b32_e32 v11, v11, v14, vcc
	v_lshlrev_b32_e32 v14, 24, v16
	v_mov_b32_e32 v15, 0x3b800000
	v_lshlrev_b32_e32 v10, 20, v10
	v_and_b32_e32 v14, 0x80000000, v14
	v_lshl_add_u32 v11, v11, 23, v15
	v_or3_b32 v10, v14, v11, v10
.LBB38_1092:
	s_or_b64 exec, exec, s[6:7]
	s_movk_i32 s4, 0x7f
	v_cmp_gt_i16_sdwa s[6:7], v12, s4 src0_sel:BYTE_0 src1_sel:DWORD
	s_mov_b64 s[4:5], 0
                                        ; implicit-def: $sgpr10
	s_and_saveexec_b64 s[8:9], s[6:7]
	s_xor_b64 s[6:7], exec, s[8:9]
	s_cbranch_execnz .LBB38_3141
; %bb.1093:
	s_or_saveexec_b64 s[6:7], s[6:7]
	v_mov_b32_e32 v11, s10
	s_xor_b64 exec, exec, s[6:7]
	s_cbranch_execnz .LBB38_3144
.LBB38_1094:
	s_or_b64 exec, exec, s[6:7]
	s_and_saveexec_b64 s[6:7], s[4:5]
	s_cbranch_execz .LBB38_1096
.LBB38_1095:
	v_and_b32_e32 v11, 7, v12
	v_ffbh_u32_e32 v15, v11
	v_min_u32_e32 v15, 32, v15
	v_lshrrev_b16_e32 v14, 3, v12
	v_subrev_u32_e32 v20, 28, v15
	v_and_b32_e32 v14, 15, v14
	v_lshlrev_b32_e32 v20, v20, v12
	v_sub_u32_e32 v15, 29, v15
	v_and_b32_e32 v20, 7, v20
	v_cmp_eq_u16_e32 vcc, 0, v14
	v_cndmask_b32_e32 v11, v11, v20, vcc
	v_cndmask_b32_e32 v14, v14, v15, vcc
	v_lshlrev_b32_e32 v15, 24, v12
	v_mov_b32_e32 v20, 0x3b800000
	v_lshlrev_b32_e32 v11, 20, v11
	v_and_b32_e32 v15, 0x80000000, v15
	v_lshl_add_u32 v14, v14, 23, v20
	v_or3_b32 v11, v15, v14, v11
.LBB38_1096:
	s_or_b64 exec, exec, s[6:7]
	s_nop 0
	v_mfma_f32_16x16x4f32 a[0:3], v10, v11, a[0:3]
	v_lshrrev_b32_e32 v11, 8, v16
	s_movk_i32 s4, 0x7f
	v_cmp_gt_i16_sdwa s[6:7], v11, s4 src0_sel:BYTE_0 src1_sel:DWORD
	s_mov_b64 s[4:5], 0
                                        ; implicit-def: $sgpr10
	s_and_saveexec_b64 s[8:9], s[6:7]
	s_xor_b64 s[6:7], exec, s[8:9]
	s_cbranch_execnz .LBB38_3145
; %bb.1097:
	s_or_saveexec_b64 s[6:7], s[6:7]
	v_mov_b32_e32 v10, s10
	s_xor_b64 exec, exec, s[6:7]
	s_cbranch_execnz .LBB38_3148
.LBB38_1098:
	s_or_b64 exec, exec, s[6:7]
	s_and_saveexec_b64 s[6:7], s[4:5]
	s_cbranch_execz .LBB38_1100
.LBB38_1099:
	v_bfe_u32 v10, v16, 8, 3
	v_ffbh_u32_e32 v15, v10
	v_min_u32_e32 v15, 32, v15
	v_lshrrev_b16_e32 v14, 3, v11
	v_subrev_u32_e32 v20, 28, v15
	v_and_b32_e32 v14, 15, v14
	v_lshlrev_b32_e32 v11, v20, v11
	v_sub_u32_e32 v15, 29, v15
	v_and_b32_e32 v11, 7, v11
	v_cmp_eq_u16_e32 vcc, 0, v14
	v_cndmask_b32_e32 v10, v10, v11, vcc
	v_cndmask_b32_e32 v11, v14, v15, vcc
	v_lshlrev_b32_e32 v14, 16, v16
	v_mov_b32_e32 v15, 0x3b800000
	v_lshlrev_b32_e32 v10, 20, v10
	v_and_b32_e32 v14, 0x80000000, v14
	v_lshl_add_u32 v11, v11, 23, v15
	v_or3_b32 v10, v14, v11, v10
.LBB38_1100:
	s_or_b64 exec, exec, s[6:7]
	v_lshrrev_b32_e32 v11, 8, v12
	s_movk_i32 s4, 0x7f
	v_cmp_gt_i16_sdwa s[6:7], v11, s4 src0_sel:BYTE_0 src1_sel:DWORD
	s_mov_b64 s[4:5], 0
                                        ; implicit-def: $sgpr10
	s_and_saveexec_b64 s[8:9], s[6:7]
	s_xor_b64 s[6:7], exec, s[8:9]
	s_cbranch_execnz .LBB38_3149
; %bb.1101:
	s_or_saveexec_b64 s[6:7], s[6:7]
	v_mov_b32_e32 v14, s10
	s_xor_b64 exec, exec, s[6:7]
	s_cbranch_execnz .LBB38_3152
.LBB38_1102:
	s_or_b64 exec, exec, s[6:7]
	s_and_saveexec_b64 s[6:7], s[4:5]
	s_cbranch_execz .LBB38_1104
.LBB38_1103:
	v_bfe_u32 v14, v12, 8, 3
	v_ffbh_u32_e32 v20, v14
	v_min_u32_e32 v20, 32, v20
	v_lshrrev_b16_e32 v15, 3, v11
	v_subrev_u32_e32 v21, 28, v20
	v_and_b32_e32 v15, 15, v15
	v_lshlrev_b32_e32 v11, v21, v11
	v_sub_u32_e32 v20, 29, v20
	v_and_b32_e32 v11, 7, v11
	v_cmp_eq_u16_e32 vcc, 0, v15
	v_cndmask_b32_e32 v11, v14, v11, vcc
	v_cndmask_b32_e32 v14, v15, v20, vcc
	v_lshlrev_b32_e32 v15, 16, v12
	v_mov_b32_e32 v20, 0x3b800000
	v_lshlrev_b32_e32 v11, 20, v11
	v_and_b32_e32 v15, 0x80000000, v15
	v_lshl_add_u32 v14, v14, 23, v20
	v_or3_b32 v14, v15, v14, v11
.LBB38_1104:
	s_or_b64 exec, exec, s[6:7]
	s_nop 0
	v_mfma_f32_16x16x4f32 a[0:3], v10, v14, a[0:3]
	s_movk_i32 s4, 0xff
	v_and_b32_sdwa v11, v16, s4 dst_sel:DWORD dst_unused:UNUSED_PAD src0_sel:WORD_1 src1_sel:DWORD
	s_movk_i32 s4, 0x7f
	v_cmp_lt_i16_e32 vcc, s4, v11
	s_mov_b64 s[4:5], 0
                                        ; implicit-def: $sgpr10
	s_and_saveexec_b64 s[6:7], vcc
	s_xor_b64 s[6:7], exec, s[6:7]
	s_cbranch_execnz .LBB38_3153
; %bb.1105:
	s_or_saveexec_b64 s[6:7], s[6:7]
	v_mov_b32_e32 v10, s10
	s_xor_b64 exec, exec, s[6:7]
	s_cbranch_execnz .LBB38_3156
.LBB38_1106:
	s_or_b64 exec, exec, s[6:7]
	s_and_saveexec_b64 s[6:7], s[4:5]
	s_cbranch_execz .LBB38_1108
.LBB38_1107:
	v_bfe_u32 v10, v16, 16, 3
	v_ffbh_u32_e32 v15, v10
	v_min_u32_e32 v15, 32, v15
	v_lshrrev_b32_e32 v11, 19, v16
	v_subrev_u32_e32 v20, 28, v15
	v_and_b32_e32 v11, 15, v11
	v_lshlrev_b32_sdwa v20, v20, v16 dst_sel:DWORD dst_unused:UNUSED_PAD src0_sel:DWORD src1_sel:WORD_1
	v_bfe_u32 v14, v16, 19, 4
	v_sub_u32_e32 v15, 29, v15
	v_and_b32_e32 v20, 7, v20
	v_cmp_eq_u16_e32 vcc, 0, v11
	v_cndmask_b32_e32 v10, v10, v20, vcc
	v_cndmask_b32_e32 v11, v14, v15, vcc
	v_lshlrev_b32_e32 v14, 8, v16
	v_mov_b32_e32 v15, 0x3b800000
	v_lshlrev_b32_e32 v10, 20, v10
	v_and_b32_e32 v14, 0x80000000, v14
	v_lshl_add_u32 v11, v11, 23, v15
	v_or3_b32 v10, v14, v11, v10
.LBB38_1108:
	s_or_b64 exec, exec, s[6:7]
	s_movk_i32 s4, 0xff
	v_and_b32_sdwa v11, v12, s4 dst_sel:DWORD dst_unused:UNUSED_PAD src0_sel:WORD_1 src1_sel:DWORD
	s_movk_i32 s4, 0x7f
	v_cmp_lt_i16_e32 vcc, s4, v11
	s_mov_b64 s[4:5], 0
                                        ; implicit-def: $sgpr10
	s_and_saveexec_b64 s[6:7], vcc
	s_xor_b64 s[6:7], exec, s[6:7]
	s_cbranch_execnz .LBB38_3157
; %bb.1109:
	s_or_saveexec_b64 s[6:7], s[6:7]
	v_mov_b32_e32 v14, s10
	s_xor_b64 exec, exec, s[6:7]
	s_cbranch_execnz .LBB38_3160
.LBB38_1110:
	s_or_b64 exec, exec, s[6:7]
	s_and_saveexec_b64 s[6:7], s[4:5]
	s_cbranch_execz .LBB38_1112
.LBB38_1111:
	v_bfe_u32 v11, v12, 16, 3
	v_ffbh_u32_e32 v20, v11
	v_min_u32_e32 v20, 32, v20
	v_lshrrev_b32_e32 v14, 19, v12
	v_subrev_u32_e32 v21, 28, v20
	v_and_b32_e32 v14, 15, v14
	v_lshlrev_b32_sdwa v21, v21, v12 dst_sel:DWORD dst_unused:UNUSED_PAD src0_sel:DWORD src1_sel:WORD_1
	v_bfe_u32 v15, v12, 19, 4
	v_sub_u32_e32 v20, 29, v20
	v_and_b32_e32 v21, 7, v21
	v_cmp_eq_u16_e32 vcc, 0, v14
	v_cndmask_b32_e32 v11, v11, v21, vcc
	v_cndmask_b32_e32 v14, v15, v20, vcc
	v_lshlrev_b32_e32 v15, 8, v12
	v_mov_b32_e32 v20, 0x3b800000
	v_lshlrev_b32_e32 v11, 20, v11
	v_and_b32_e32 v15, 0x80000000, v15
	v_lshl_add_u32 v14, v14, 23, v20
	v_or3_b32 v14, v15, v14, v11
.LBB38_1112:
	s_or_b64 exec, exec, s[6:7]
	s_nop 0
	v_mfma_f32_16x16x4f32 a[0:3], v10, v14, a[0:3]
	s_movk_i32 s4, 0x7f
	v_cmp_gt_i16_sdwa s[6:7], v16, s4 src0_sel:BYTE_3 src1_sel:DWORD
	s_mov_b64 s[4:5], 0
                                        ; implicit-def: $sgpr10
	s_and_saveexec_b64 s[8:9], s[6:7]
	s_xor_b64 s[6:7], exec, s[8:9]
	s_cbranch_execnz .LBB38_3161
; %bb.1113:
	s_or_saveexec_b64 s[6:7], s[6:7]
	v_mov_b32_e32 v10, s10
	s_xor_b64 exec, exec, s[6:7]
	s_cbranch_execnz .LBB38_3164
.LBB38_1114:
	s_or_b64 exec, exec, s[6:7]
	s_and_saveexec_b64 s[6:7], s[4:5]
	s_cbranch_execz .LBB38_1116
.LBB38_1115:
	v_bfe_u32 v10, v16, 24, 3
	v_ffbh_u32_e32 v20, v10
	v_min_u32_e32 v20, 32, v20
	v_lshrrev_b32_e32 v14, 27, v16
	v_subrev_u32_e32 v21, 28, v20
	v_and_b32_e32 v11, 0x80000000, v16
	v_and_b32_e32 v14, 15, v14
	v_bfe_u32 v15, v16, 27, 4
	v_lshlrev_b32_sdwa v16, v21, v16 dst_sel:DWORD dst_unused:UNUSED_PAD src0_sel:DWORD src1_sel:BYTE_3
	v_sub_u32_e32 v20, 29, v20
	v_and_b32_e32 v16, 7, v16
	v_cmp_eq_u16_e32 vcc, 0, v14
	v_cndmask_b32_e32 v10, v10, v16, vcc
	v_cndmask_b32_e32 v14, v15, v20, vcc
	v_mov_b32_e32 v15, 0x3b800000
	v_lshlrev_b32_e32 v10, 20, v10
	v_lshl_add_u32 v14, v14, 23, v15
	v_or3_b32 v10, v11, v14, v10
.LBB38_1116:
	s_or_b64 exec, exec, s[6:7]
	s_movk_i32 s4, 0x7f
	v_cmp_gt_i16_sdwa s[6:7], v12, s4 src0_sel:BYTE_3 src1_sel:DWORD
	s_mov_b64 s[4:5], 0
                                        ; implicit-def: $sgpr10
	s_and_saveexec_b64 s[8:9], s[6:7]
	s_xor_b64 s[6:7], exec, s[8:9]
	s_cbranch_execnz .LBB38_3165
; %bb.1117:
	s_or_saveexec_b64 s[6:7], s[6:7]
	v_mov_b32_e32 v11, s10
	s_xor_b64 exec, exec, s[6:7]
	s_cbranch_execnz .LBB38_3168
.LBB38_1118:
	s_or_b64 exec, exec, s[6:7]
	s_and_saveexec_b64 s[6:7], s[4:5]
	s_cbranch_execz .LBB38_1120
.LBB38_1119:
	v_bfe_u32 v11, v12, 24, 3
	v_ffbh_u32_e32 v20, v11
	v_min_u32_e32 v20, 32, v20
	v_lshrrev_b32_e32 v15, 27, v12
	v_subrev_u32_e32 v21, 28, v20
	v_and_b32_e32 v14, 0x80000000, v12
	v_and_b32_e32 v15, 15, v15
	v_bfe_u32 v16, v12, 27, 4
	v_lshlrev_b32_sdwa v12, v21, v12 dst_sel:DWORD dst_unused:UNUSED_PAD src0_sel:DWORD src1_sel:BYTE_3
	v_sub_u32_e32 v20, 29, v20
	v_and_b32_e32 v12, 7, v12
	v_cmp_eq_u16_e32 vcc, 0, v15
	v_cndmask_b32_e32 v11, v11, v12, vcc
	v_cndmask_b32_e32 v12, v16, v20, vcc
	v_mov_b32_e32 v15, 0x3b800000
	v_lshlrev_b32_e32 v11, 20, v11
	v_lshl_add_u32 v12, v12, 23, v15
	v_or3_b32 v11, v14, v12, v11
.LBB38_1120:
	s_or_b64 exec, exec, s[6:7]
	s_nop 0
	v_mfma_f32_16x16x4f32 a[0:3], v10, v11, a[0:3]
	s_movk_i32 s4, 0x7f
	v_cmp_gt_i16_sdwa s[6:7], v17, s4 src0_sel:BYTE_0 src1_sel:DWORD
	s_mov_b64 s[4:5], 0
                                        ; implicit-def: $sgpr10
	s_and_saveexec_b64 s[8:9], s[6:7]
	s_xor_b64 s[6:7], exec, s[8:9]
	s_cbranch_execnz .LBB38_3169
; %bb.1121:
	s_or_saveexec_b64 s[6:7], s[6:7]
	v_mov_b32_e32 v10, s10
	s_xor_b64 exec, exec, s[6:7]
	s_cbranch_execnz .LBB38_3172
.LBB38_1122:
	s_or_b64 exec, exec, s[6:7]
	s_and_saveexec_b64 s[6:7], s[4:5]
	s_cbranch_execz .LBB38_1124
.LBB38_1123:
	v_and_b32_e32 v10, 7, v17
	v_ffbh_u32_e32 v12, v10
	v_min_u32_e32 v12, 32, v12
	v_lshrrev_b16_e32 v11, 3, v17
	v_subrev_u32_e32 v14, 28, v12
	v_and_b32_e32 v11, 15, v11
	v_lshlrev_b32_e32 v14, v14, v17
	v_sub_u32_e32 v12, 29, v12
	v_and_b32_e32 v14, 7, v14
	v_cmp_eq_u16_e32 vcc, 0, v11
	v_cndmask_b32_e32 v10, v10, v14, vcc
	v_cndmask_b32_e32 v11, v11, v12, vcc
	v_lshlrev_b32_e32 v12, 24, v17
	v_mov_b32_e32 v14, 0x3b800000
	v_lshlrev_b32_e32 v10, 20, v10
	v_and_b32_e32 v12, 0x80000000, v12
	v_lshl_add_u32 v11, v11, 23, v14
	v_or3_b32 v10, v12, v11, v10
.LBB38_1124:
	s_or_b64 exec, exec, s[6:7]
	s_movk_i32 s4, 0x7f
	v_cmp_gt_i16_sdwa s[6:7], v13, s4 src0_sel:BYTE_0 src1_sel:DWORD
	s_mov_b64 s[4:5], 0
                                        ; implicit-def: $sgpr10
	s_and_saveexec_b64 s[8:9], s[6:7]
	s_xor_b64 s[6:7], exec, s[8:9]
	s_cbranch_execnz .LBB38_3173
; %bb.1125:
	s_or_saveexec_b64 s[6:7], s[6:7]
	v_mov_b32_e32 v11, s10
	s_xor_b64 exec, exec, s[6:7]
	s_cbranch_execnz .LBB38_3176
.LBB38_1126:
	s_or_b64 exec, exec, s[6:7]
	s_and_saveexec_b64 s[6:7], s[4:5]
	s_cbranch_execz .LBB38_1128
.LBB38_1127:
	v_and_b32_e32 v11, 7, v13
	v_ffbh_u32_e32 v14, v11
	v_min_u32_e32 v14, 32, v14
	v_lshrrev_b16_e32 v12, 3, v13
	v_subrev_u32_e32 v15, 28, v14
	v_and_b32_e32 v12, 15, v12
	v_lshlrev_b32_e32 v15, v15, v13
	v_sub_u32_e32 v14, 29, v14
	v_and_b32_e32 v15, 7, v15
	v_cmp_eq_u16_e32 vcc, 0, v12
	v_cndmask_b32_e32 v11, v11, v15, vcc
	v_cndmask_b32_e32 v12, v12, v14, vcc
	v_lshlrev_b32_e32 v14, 24, v13
	v_mov_b32_e32 v15, 0x3b800000
	v_lshlrev_b32_e32 v11, 20, v11
	v_and_b32_e32 v14, 0x80000000, v14
	v_lshl_add_u32 v12, v12, 23, v15
	v_or3_b32 v11, v14, v12, v11
.LBB38_1128:
	s_or_b64 exec, exec, s[6:7]
	s_nop 0
	v_mfma_f32_16x16x4f32 a[0:3], v10, v11, a[0:3]
	v_lshrrev_b32_e32 v11, 8, v17
	s_movk_i32 s4, 0x7f
	v_cmp_gt_i16_sdwa s[6:7], v11, s4 src0_sel:BYTE_0 src1_sel:DWORD
	s_mov_b64 s[4:5], 0
                                        ; implicit-def: $sgpr10
	s_and_saveexec_b64 s[8:9], s[6:7]
	s_xor_b64 s[6:7], exec, s[8:9]
	s_cbranch_execnz .LBB38_3177
; %bb.1129:
	s_or_saveexec_b64 s[6:7], s[6:7]
	v_mov_b32_e32 v10, s10
	s_xor_b64 exec, exec, s[6:7]
	s_cbranch_execnz .LBB38_3180
.LBB38_1130:
	s_or_b64 exec, exec, s[6:7]
	s_and_saveexec_b64 s[6:7], s[4:5]
	s_cbranch_execz .LBB38_1132
.LBB38_1131:
	v_bfe_u32 v10, v17, 8, 3
	v_ffbh_u32_e32 v14, v10
	v_min_u32_e32 v14, 32, v14
	v_lshrrev_b16_e32 v12, 3, v11
	v_subrev_u32_e32 v15, 28, v14
	v_and_b32_e32 v12, 15, v12
	v_lshlrev_b32_e32 v11, v15, v11
	v_sub_u32_e32 v14, 29, v14
	v_and_b32_e32 v11, 7, v11
	v_cmp_eq_u16_e32 vcc, 0, v12
	v_cndmask_b32_e32 v10, v10, v11, vcc
	v_cndmask_b32_e32 v11, v12, v14, vcc
	v_lshlrev_b32_e32 v12, 16, v17
	v_mov_b32_e32 v14, 0x3b800000
	v_lshlrev_b32_e32 v10, 20, v10
	v_and_b32_e32 v12, 0x80000000, v12
	v_lshl_add_u32 v11, v11, 23, v14
	v_or3_b32 v10, v12, v11, v10
.LBB38_1132:
	s_or_b64 exec, exec, s[6:7]
	v_lshrrev_b32_e32 v11, 8, v13
	s_movk_i32 s4, 0x7f
	v_cmp_gt_i16_sdwa s[6:7], v11, s4 src0_sel:BYTE_0 src1_sel:DWORD
	s_mov_b64 s[4:5], 0
                                        ; implicit-def: $sgpr10
	s_and_saveexec_b64 s[8:9], s[6:7]
	s_xor_b64 s[6:7], exec, s[8:9]
	s_cbranch_execnz .LBB38_3181
; %bb.1133:
	s_or_saveexec_b64 s[6:7], s[6:7]
	v_mov_b32_e32 v12, s10
	s_xor_b64 exec, exec, s[6:7]
	s_cbranch_execnz .LBB38_3184
.LBB38_1134:
	s_or_b64 exec, exec, s[6:7]
	s_and_saveexec_b64 s[6:7], s[4:5]
	s_cbranch_execz .LBB38_1136
.LBB38_1135:
	v_bfe_u32 v12, v13, 8, 3
	v_ffbh_u32_e32 v15, v12
	v_min_u32_e32 v15, 32, v15
	v_lshrrev_b16_e32 v14, 3, v11
	v_subrev_u32_e32 v16, 28, v15
	v_and_b32_e32 v14, 15, v14
	v_lshlrev_b32_e32 v11, v16, v11
	v_sub_u32_e32 v15, 29, v15
	v_and_b32_e32 v11, 7, v11
	v_cmp_eq_u16_e32 vcc, 0, v14
	v_cndmask_b32_e32 v11, v12, v11, vcc
	v_cndmask_b32_e32 v12, v14, v15, vcc
	v_lshlrev_b32_e32 v14, 16, v13
	v_mov_b32_e32 v15, 0x3b800000
	v_lshlrev_b32_e32 v11, 20, v11
	v_and_b32_e32 v14, 0x80000000, v14
	v_lshl_add_u32 v12, v12, 23, v15
	v_or3_b32 v12, v14, v12, v11
.LBB38_1136:
	s_or_b64 exec, exec, s[6:7]
	s_nop 0
	v_mfma_f32_16x16x4f32 a[0:3], v10, v12, a[0:3]
	s_movk_i32 s4, 0xff
	v_and_b32_sdwa v11, v17, s4 dst_sel:DWORD dst_unused:UNUSED_PAD src0_sel:WORD_1 src1_sel:DWORD
	s_movk_i32 s4, 0x7f
	v_cmp_lt_i16_e32 vcc, s4, v11
	s_mov_b64 s[4:5], 0
                                        ; implicit-def: $sgpr10
	s_and_saveexec_b64 s[6:7], vcc
	s_xor_b64 s[6:7], exec, s[6:7]
	s_cbranch_execnz .LBB38_3185
; %bb.1137:
	s_or_saveexec_b64 s[6:7], s[6:7]
	v_mov_b32_e32 v10, s10
	s_xor_b64 exec, exec, s[6:7]
	s_cbranch_execnz .LBB38_3188
.LBB38_1138:
	s_or_b64 exec, exec, s[6:7]
	s_and_saveexec_b64 s[6:7], s[4:5]
	s_cbranch_execz .LBB38_1140
.LBB38_1139:
	v_bfe_u32 v10, v17, 16, 3
	v_ffbh_u32_e32 v14, v10
	v_min_u32_e32 v14, 32, v14
	v_lshrrev_b32_e32 v11, 19, v17
	v_subrev_u32_e32 v15, 28, v14
	v_and_b32_e32 v11, 15, v11
	v_lshlrev_b32_sdwa v15, v15, v17 dst_sel:DWORD dst_unused:UNUSED_PAD src0_sel:DWORD src1_sel:WORD_1
	v_bfe_u32 v12, v17, 19, 4
	v_sub_u32_e32 v14, 29, v14
	v_and_b32_e32 v15, 7, v15
	v_cmp_eq_u16_e32 vcc, 0, v11
	v_cndmask_b32_e32 v10, v10, v15, vcc
	v_cndmask_b32_e32 v11, v12, v14, vcc
	v_lshlrev_b32_e32 v12, 8, v17
	v_mov_b32_e32 v14, 0x3b800000
	v_lshlrev_b32_e32 v10, 20, v10
	v_and_b32_e32 v12, 0x80000000, v12
	v_lshl_add_u32 v11, v11, 23, v14
	v_or3_b32 v10, v12, v11, v10
.LBB38_1140:
	s_or_b64 exec, exec, s[6:7]
	s_movk_i32 s4, 0xff
	v_and_b32_sdwa v11, v13, s4 dst_sel:DWORD dst_unused:UNUSED_PAD src0_sel:WORD_1 src1_sel:DWORD
	s_movk_i32 s4, 0x7f
	v_cmp_lt_i16_e32 vcc, s4, v11
	s_mov_b64 s[4:5], 0
                                        ; implicit-def: $sgpr10
	s_and_saveexec_b64 s[6:7], vcc
	s_xor_b64 s[6:7], exec, s[6:7]
	s_cbranch_execnz .LBB38_3189
; %bb.1141:
	s_or_saveexec_b64 s[6:7], s[6:7]
	v_mov_b32_e32 v12, s10
	s_xor_b64 exec, exec, s[6:7]
	s_cbranch_execnz .LBB38_3192
.LBB38_1142:
	s_or_b64 exec, exec, s[6:7]
	s_and_saveexec_b64 s[6:7], s[4:5]
	s_cbranch_execz .LBB38_1144
.LBB38_1143:
	v_bfe_u32 v11, v13, 16, 3
	v_ffbh_u32_e32 v15, v11
	v_min_u32_e32 v15, 32, v15
	v_lshrrev_b32_e32 v12, 19, v13
	v_subrev_u32_e32 v16, 28, v15
	v_and_b32_e32 v12, 15, v12
	v_lshlrev_b32_sdwa v16, v16, v13 dst_sel:DWORD dst_unused:UNUSED_PAD src0_sel:DWORD src1_sel:WORD_1
	v_bfe_u32 v14, v13, 19, 4
	v_sub_u32_e32 v15, 29, v15
	v_and_b32_e32 v16, 7, v16
	v_cmp_eq_u16_e32 vcc, 0, v12
	v_cndmask_b32_e32 v11, v11, v16, vcc
	v_cndmask_b32_e32 v12, v14, v15, vcc
	v_lshlrev_b32_e32 v14, 8, v13
	v_mov_b32_e32 v15, 0x3b800000
	v_lshlrev_b32_e32 v11, 20, v11
	v_and_b32_e32 v14, 0x80000000, v14
	v_lshl_add_u32 v12, v12, 23, v15
	v_or3_b32 v12, v14, v12, v11
.LBB38_1144:
	s_or_b64 exec, exec, s[6:7]
	s_nop 0
	v_mfma_f32_16x16x4f32 a[0:3], v10, v12, a[0:3]
	s_movk_i32 s4, 0x7f
	v_cmp_gt_i16_sdwa s[6:7], v17, s4 src0_sel:BYTE_3 src1_sel:DWORD
	s_mov_b64 s[4:5], 0
                                        ; implicit-def: $sgpr10
	s_and_saveexec_b64 s[8:9], s[6:7]
	s_xor_b64 s[6:7], exec, s[8:9]
	s_cbranch_execnz .LBB38_3193
; %bb.1145:
	s_or_saveexec_b64 s[6:7], s[6:7]
	v_mov_b32_e32 v10, s10
	s_xor_b64 exec, exec, s[6:7]
	s_cbranch_execnz .LBB38_3196
.LBB38_1146:
	s_or_b64 exec, exec, s[6:7]
	s_and_saveexec_b64 s[6:7], s[4:5]
	s_cbranch_execz .LBB38_1148
.LBB38_1147:
	v_bfe_u32 v10, v17, 24, 3
	v_ffbh_u32_e32 v15, v10
	v_min_u32_e32 v15, 32, v15
	v_lshrrev_b32_e32 v12, 27, v17
	v_subrev_u32_e32 v16, 28, v15
	v_and_b32_e32 v12, 15, v12
	v_lshlrev_b32_sdwa v16, v16, v17 dst_sel:DWORD dst_unused:UNUSED_PAD src0_sel:DWORD src1_sel:BYTE_3
	v_bfe_u32 v14, v17, 27, 4
	v_sub_u32_e32 v15, 29, v15
	v_and_b32_e32 v16, 7, v16
	v_cmp_eq_u16_e32 vcc, 0, v12
	v_cndmask_b32_e32 v10, v10, v16, vcc
	v_cndmask_b32_e32 v12, v14, v15, vcc
	v_mov_b32_e32 v14, 0x3b800000
	v_and_b32_e32 v11, 0x80000000, v17
	v_lshlrev_b32_e32 v10, 20, v10
	v_lshl_add_u32 v12, v12, 23, v14
	v_or3_b32 v10, v11, v12, v10
.LBB38_1148:
	s_or_b64 exec, exec, s[6:7]
	s_movk_i32 s4, 0x7f
	v_cmp_gt_i16_sdwa s[6:7], v13, s4 src0_sel:BYTE_3 src1_sel:DWORD
	s_mov_b64 s[4:5], 0
                                        ; implicit-def: $sgpr10
	s_and_saveexec_b64 s[8:9], s[6:7]
	s_xor_b64 s[6:7], exec, s[8:9]
	s_cbranch_execnz .LBB38_3197
; %bb.1149:
	s_or_saveexec_b64 s[6:7], s[6:7]
	v_mov_b32_e32 v11, s10
	s_xor_b64 exec, exec, s[6:7]
	s_cbranch_execnz .LBB38_3200
.LBB38_1150:
	s_or_b64 exec, exec, s[6:7]
	s_and_saveexec_b64 s[6:7], s[4:5]
	s_cbranch_execz .LBB38_1152
.LBB38_1151:
	v_bfe_u32 v11, v13, 24, 3
	v_ffbh_u32_e32 v16, v11
	v_min_u32_e32 v16, 32, v16
	v_lshrrev_b32_e32 v14, 27, v13
	v_subrev_u32_e32 v17, 28, v16
	v_and_b32_e32 v12, 0x80000000, v13
	v_and_b32_e32 v14, 15, v14
	v_bfe_u32 v15, v13, 27, 4
	v_lshlrev_b32_sdwa v13, v17, v13 dst_sel:DWORD dst_unused:UNUSED_PAD src0_sel:DWORD src1_sel:BYTE_3
	v_sub_u32_e32 v16, 29, v16
	v_and_b32_e32 v13, 7, v13
	v_cmp_eq_u16_e32 vcc, 0, v14
	v_cndmask_b32_e32 v11, v11, v13, vcc
	v_cndmask_b32_e32 v13, v15, v16, vcc
	v_mov_b32_e32 v14, 0x3b800000
	v_lshlrev_b32_e32 v11, 20, v11
	v_lshl_add_u32 v13, v13, 23, v14
	v_or3_b32 v11, v12, v13, v11
.LBB38_1152:
	s_or_b64 exec, exec, s[6:7]
	s_nop 0
	v_mfma_f32_16x16x4f32 a[0:3], v10, v11, a[0:3]
	s_movk_i32 s4, 0x7f
	v_cmp_gt_i16_sdwa s[6:7], v6, s4 src0_sel:BYTE_0 src1_sel:DWORD
	s_mov_b64 s[4:5], 0
                                        ; implicit-def: $sgpr10
	s_and_saveexec_b64 s[8:9], s[6:7]
	s_xor_b64 s[6:7], exec, s[8:9]
	s_cbranch_execnz .LBB38_3201
; %bb.1153:
	s_or_saveexec_b64 s[6:7], s[6:7]
	v_mov_b32_e32 v10, s10
	s_xor_b64 exec, exec, s[6:7]
	s_cbranch_execnz .LBB38_3204
.LBB38_1154:
	s_or_b64 exec, exec, s[6:7]
	s_and_saveexec_b64 s[6:7], s[4:5]
	s_cbranch_execz .LBB38_1156
.LBB38_1155:
	v_and_b32_e32 v10, 7, v6
	v_ffbh_u32_e32 v12, v10
	v_min_u32_e32 v12, 32, v12
	v_lshrrev_b16_e32 v11, 3, v6
	v_subrev_u32_e32 v13, 28, v12
	v_and_b32_e32 v11, 15, v11
	v_lshlrev_b32_e32 v13, v13, v6
	v_sub_u32_e32 v12, 29, v12
	v_and_b32_e32 v13, 7, v13
	v_cmp_eq_u16_e32 vcc, 0, v11
	v_cndmask_b32_e32 v10, v10, v13, vcc
	v_cndmask_b32_e32 v11, v11, v12, vcc
	v_lshlrev_b32_e32 v12, 24, v6
	v_mov_b32_e32 v13, 0x3b800000
	v_lshlrev_b32_e32 v10, 20, v10
	v_and_b32_e32 v12, 0x80000000, v12
	v_lshl_add_u32 v11, v11, 23, v13
	v_or3_b32 v10, v12, v11, v10
.LBB38_1156:
	s_or_b64 exec, exec, s[6:7]
	s_movk_i32 s4, 0x7f
	v_cmp_gt_i16_sdwa s[6:7], v2, s4 src0_sel:BYTE_0 src1_sel:DWORD
	s_mov_b64 s[4:5], 0
                                        ; implicit-def: $sgpr10
	s_and_saveexec_b64 s[8:9], s[6:7]
	s_xor_b64 s[6:7], exec, s[8:9]
	s_cbranch_execnz .LBB38_3205
; %bb.1157:
	s_or_saveexec_b64 s[6:7], s[6:7]
	v_mov_b32_e32 v11, s10
	s_xor_b64 exec, exec, s[6:7]
	s_cbranch_execnz .LBB38_3208
.LBB38_1158:
	s_or_b64 exec, exec, s[6:7]
	s_and_saveexec_b64 s[6:7], s[4:5]
	s_cbranch_execz .LBB38_1160
.LBB38_1159:
	v_and_b32_e32 v11, 7, v2
	v_ffbh_u32_e32 v13, v11
	v_min_u32_e32 v13, 32, v13
	v_lshrrev_b16_e32 v12, 3, v2
	v_subrev_u32_e32 v14, 28, v13
	v_and_b32_e32 v12, 15, v12
	v_lshlrev_b32_e32 v14, v14, v2
	v_sub_u32_e32 v13, 29, v13
	v_and_b32_e32 v14, 7, v14
	v_cmp_eq_u16_e32 vcc, 0, v12
	v_cndmask_b32_e32 v11, v11, v14, vcc
	v_cndmask_b32_e32 v12, v12, v13, vcc
	v_lshlrev_b32_e32 v13, 24, v2
	v_mov_b32_e32 v14, 0x3b800000
	v_lshlrev_b32_e32 v11, 20, v11
	v_and_b32_e32 v13, 0x80000000, v13
	v_lshl_add_u32 v12, v12, 23, v14
	v_or3_b32 v11, v13, v12, v11
.LBB38_1160:
	s_or_b64 exec, exec, s[6:7]
	s_nop 0
	v_mfma_f32_16x16x4f32 a[0:3], v10, v11, a[0:3]
	v_lshrrev_b32_e32 v11, 8, v6
	s_movk_i32 s4, 0x7f
	v_cmp_gt_i16_sdwa s[6:7], v11, s4 src0_sel:BYTE_0 src1_sel:DWORD
	s_mov_b64 s[4:5], 0
                                        ; implicit-def: $sgpr10
	s_and_saveexec_b64 s[8:9], s[6:7]
	s_xor_b64 s[6:7], exec, s[8:9]
	s_cbranch_execnz .LBB38_3209
; %bb.1161:
	s_or_saveexec_b64 s[6:7], s[6:7]
	v_mov_b32_e32 v10, s10
	s_xor_b64 exec, exec, s[6:7]
	s_cbranch_execnz .LBB38_3212
.LBB38_1162:
	s_or_b64 exec, exec, s[6:7]
	s_and_saveexec_b64 s[6:7], s[4:5]
	s_cbranch_execz .LBB38_1164
.LBB38_1163:
	v_bfe_u32 v10, v6, 8, 3
	v_ffbh_u32_e32 v13, v10
	v_min_u32_e32 v13, 32, v13
	v_lshrrev_b16_e32 v12, 3, v11
	v_subrev_u32_e32 v14, 28, v13
	v_and_b32_e32 v12, 15, v12
	v_lshlrev_b32_e32 v11, v14, v11
	v_sub_u32_e32 v13, 29, v13
	v_and_b32_e32 v11, 7, v11
	v_cmp_eq_u16_e32 vcc, 0, v12
	v_cndmask_b32_e32 v10, v10, v11, vcc
	v_cndmask_b32_e32 v11, v12, v13, vcc
	v_lshlrev_b32_e32 v12, 16, v6
	v_mov_b32_e32 v13, 0x3b800000
	v_lshlrev_b32_e32 v10, 20, v10
	v_and_b32_e32 v12, 0x80000000, v12
	v_lshl_add_u32 v11, v11, 23, v13
	v_or3_b32 v10, v12, v11, v10
.LBB38_1164:
	s_or_b64 exec, exec, s[6:7]
	v_lshrrev_b32_e32 v11, 8, v2
	s_movk_i32 s4, 0x7f
	v_cmp_gt_i16_sdwa s[6:7], v11, s4 src0_sel:BYTE_0 src1_sel:DWORD
	s_mov_b64 s[4:5], 0
                                        ; implicit-def: $sgpr10
	s_and_saveexec_b64 s[8:9], s[6:7]
	s_xor_b64 s[6:7], exec, s[8:9]
	s_cbranch_execnz .LBB38_3213
; %bb.1165:
	s_or_saveexec_b64 s[6:7], s[6:7]
	v_mov_b32_e32 v12, s10
	s_xor_b64 exec, exec, s[6:7]
	s_cbranch_execnz .LBB38_3216
.LBB38_1166:
	s_or_b64 exec, exec, s[6:7]
	s_and_saveexec_b64 s[6:7], s[4:5]
	s_cbranch_execz .LBB38_1168
.LBB38_1167:
	v_bfe_u32 v12, v2, 8, 3
	v_ffbh_u32_e32 v14, v12
	v_min_u32_e32 v14, 32, v14
	v_lshrrev_b16_e32 v13, 3, v11
	v_subrev_u32_e32 v15, 28, v14
	v_and_b32_e32 v13, 15, v13
	v_lshlrev_b32_e32 v11, v15, v11
	v_sub_u32_e32 v14, 29, v14
	v_and_b32_e32 v11, 7, v11
	v_cmp_eq_u16_e32 vcc, 0, v13
	v_cndmask_b32_e32 v11, v12, v11, vcc
	v_cndmask_b32_e32 v12, v13, v14, vcc
	v_lshlrev_b32_e32 v13, 16, v2
	v_mov_b32_e32 v14, 0x3b800000
	v_lshlrev_b32_e32 v11, 20, v11
	v_and_b32_e32 v13, 0x80000000, v13
	v_lshl_add_u32 v12, v12, 23, v14
	v_or3_b32 v12, v13, v12, v11
.LBB38_1168:
	s_or_b64 exec, exec, s[6:7]
	s_nop 0
	v_mfma_f32_16x16x4f32 a[0:3], v10, v12, a[0:3]
	s_movk_i32 s4, 0xff
	v_and_b32_sdwa v11, v6, s4 dst_sel:DWORD dst_unused:UNUSED_PAD src0_sel:WORD_1 src1_sel:DWORD
	s_movk_i32 s4, 0x7f
	v_cmp_lt_i16_e32 vcc, s4, v11
	s_mov_b64 s[4:5], 0
                                        ; implicit-def: $sgpr10
	s_and_saveexec_b64 s[6:7], vcc
	s_xor_b64 s[6:7], exec, s[6:7]
	s_cbranch_execnz .LBB38_3217
; %bb.1169:
	s_or_saveexec_b64 s[6:7], s[6:7]
	v_mov_b32_e32 v10, s10
	s_xor_b64 exec, exec, s[6:7]
	s_cbranch_execnz .LBB38_3220
.LBB38_1170:
	s_or_b64 exec, exec, s[6:7]
	s_and_saveexec_b64 s[6:7], s[4:5]
	s_cbranch_execz .LBB38_1172
.LBB38_1171:
	v_bfe_u32 v10, v6, 16, 3
	v_ffbh_u32_e32 v13, v10
	v_min_u32_e32 v13, 32, v13
	v_lshrrev_b32_e32 v11, 19, v6
	v_subrev_u32_e32 v14, 28, v13
	v_and_b32_e32 v11, 15, v11
	v_lshlrev_b32_sdwa v14, v14, v6 dst_sel:DWORD dst_unused:UNUSED_PAD src0_sel:DWORD src1_sel:WORD_1
	v_bfe_u32 v12, v6, 19, 4
	v_sub_u32_e32 v13, 29, v13
	v_and_b32_e32 v14, 7, v14
	v_cmp_eq_u16_e32 vcc, 0, v11
	v_cndmask_b32_e32 v10, v10, v14, vcc
	v_cndmask_b32_e32 v11, v12, v13, vcc
	v_lshlrev_b32_e32 v12, 8, v6
	v_mov_b32_e32 v13, 0x3b800000
	v_lshlrev_b32_e32 v10, 20, v10
	v_and_b32_e32 v12, 0x80000000, v12
	v_lshl_add_u32 v11, v11, 23, v13
	v_or3_b32 v10, v12, v11, v10
.LBB38_1172:
	s_or_b64 exec, exec, s[6:7]
	s_movk_i32 s4, 0xff
	v_and_b32_sdwa v11, v2, s4 dst_sel:DWORD dst_unused:UNUSED_PAD src0_sel:WORD_1 src1_sel:DWORD
	s_movk_i32 s4, 0x7f
	v_cmp_lt_i16_e32 vcc, s4, v11
	s_mov_b64 s[4:5], 0
                                        ; implicit-def: $sgpr10
	s_and_saveexec_b64 s[6:7], vcc
	s_xor_b64 s[6:7], exec, s[6:7]
	s_cbranch_execnz .LBB38_3221
; %bb.1173:
	s_or_saveexec_b64 s[6:7], s[6:7]
	v_mov_b32_e32 v12, s10
	s_xor_b64 exec, exec, s[6:7]
	s_cbranch_execnz .LBB38_3224
.LBB38_1174:
	s_or_b64 exec, exec, s[6:7]
	s_and_saveexec_b64 s[6:7], s[4:5]
	s_cbranch_execz .LBB38_1176
.LBB38_1175:
	v_bfe_u32 v11, v2, 16, 3
	v_ffbh_u32_e32 v14, v11
	v_min_u32_e32 v14, 32, v14
	v_lshrrev_b32_e32 v12, 19, v2
	v_subrev_u32_e32 v15, 28, v14
	v_and_b32_e32 v12, 15, v12
	v_lshlrev_b32_sdwa v15, v15, v2 dst_sel:DWORD dst_unused:UNUSED_PAD src0_sel:DWORD src1_sel:WORD_1
	v_bfe_u32 v13, v2, 19, 4
	v_sub_u32_e32 v14, 29, v14
	v_and_b32_e32 v15, 7, v15
	v_cmp_eq_u16_e32 vcc, 0, v12
	v_cndmask_b32_e32 v11, v11, v15, vcc
	v_cndmask_b32_e32 v12, v13, v14, vcc
	v_lshlrev_b32_e32 v13, 8, v2
	v_mov_b32_e32 v14, 0x3b800000
	v_lshlrev_b32_e32 v11, 20, v11
	v_and_b32_e32 v13, 0x80000000, v13
	v_lshl_add_u32 v12, v12, 23, v14
	v_or3_b32 v12, v13, v12, v11
.LBB38_1176:
	s_or_b64 exec, exec, s[6:7]
	s_nop 0
	v_mfma_f32_16x16x4f32 a[0:3], v10, v12, a[0:3]
	s_movk_i32 s4, 0x7f
	v_cmp_gt_i16_sdwa s[6:7], v6, s4 src0_sel:BYTE_3 src1_sel:DWORD
	s_mov_b64 s[4:5], 0
                                        ; implicit-def: $sgpr10
	s_and_saveexec_b64 s[8:9], s[6:7]
	s_xor_b64 s[6:7], exec, s[8:9]
	s_cbranch_execnz .LBB38_3225
; %bb.1177:
	s_or_saveexec_b64 s[6:7], s[6:7]
	v_mov_b32_e32 v10, s10
	s_xor_b64 exec, exec, s[6:7]
	s_cbranch_execnz .LBB38_3228
.LBB38_1178:
	s_or_b64 exec, exec, s[6:7]
	s_and_saveexec_b64 s[6:7], s[4:5]
	s_cbranch_execz .LBB38_1180
.LBB38_1179:
	v_bfe_u32 v10, v6, 24, 3
	v_ffbh_u32_e32 v14, v10
	v_min_u32_e32 v14, 32, v14
	v_lshrrev_b32_e32 v12, 27, v6
	v_subrev_u32_e32 v15, 28, v14
	v_and_b32_e32 v11, 0x80000000, v6
	v_and_b32_e32 v12, 15, v12
	v_bfe_u32 v13, v6, 27, 4
	v_lshlrev_b32_sdwa v6, v15, v6 dst_sel:DWORD dst_unused:UNUSED_PAD src0_sel:DWORD src1_sel:BYTE_3
	v_sub_u32_e32 v14, 29, v14
	v_and_b32_e32 v6, 7, v6
	v_cmp_eq_u16_e32 vcc, 0, v12
	v_cndmask_b32_e32 v6, v10, v6, vcc
	v_cndmask_b32_e32 v10, v13, v14, vcc
	v_mov_b32_e32 v12, 0x3b800000
	v_lshlrev_b32_e32 v6, 20, v6
	v_lshl_add_u32 v10, v10, 23, v12
	v_or3_b32 v10, v11, v10, v6
.LBB38_1180:
	s_or_b64 exec, exec, s[6:7]
	s_movk_i32 s4, 0x7f
	v_cmp_gt_i16_sdwa s[6:7], v2, s4 src0_sel:BYTE_3 src1_sel:DWORD
	s_mov_b64 s[4:5], 0
                                        ; implicit-def: $sgpr10
	s_and_saveexec_b64 s[8:9], s[6:7]
	s_xor_b64 s[6:7], exec, s[8:9]
	s_cbranch_execnz .LBB38_3229
; %bb.1181:
	s_or_saveexec_b64 s[6:7], s[6:7]
	v_mov_b32_e32 v6, s10
	s_xor_b64 exec, exec, s[6:7]
	s_cbranch_execnz .LBB38_3232
.LBB38_1182:
	s_or_b64 exec, exec, s[6:7]
	s_and_saveexec_b64 s[6:7], s[4:5]
	s_cbranch_execz .LBB38_1184
.LBB38_1183:
	v_bfe_u32 v6, v2, 24, 3
	v_ffbh_u32_e32 v14, v6
	v_min_u32_e32 v14, 32, v14
	v_lshrrev_b32_e32 v12, 27, v2
	v_subrev_u32_e32 v15, 28, v14
	v_and_b32_e32 v11, 0x80000000, v2
	v_and_b32_e32 v12, 15, v12
	v_bfe_u32 v13, v2, 27, 4
	v_lshlrev_b32_sdwa v2, v15, v2 dst_sel:DWORD dst_unused:UNUSED_PAD src0_sel:DWORD src1_sel:BYTE_3
	v_sub_u32_e32 v14, 29, v14
	v_and_b32_e32 v2, 7, v2
	v_cmp_eq_u16_e32 vcc, 0, v12
	v_cndmask_b32_e32 v2, v6, v2, vcc
	v_cndmask_b32_e32 v6, v13, v14, vcc
	v_mov_b32_e32 v12, 0x3b800000
	v_lshlrev_b32_e32 v2, 20, v2
	v_lshl_add_u32 v6, v6, 23, v12
	v_or3_b32 v6, v11, v6, v2
.LBB38_1184:
	s_or_b64 exec, exec, s[6:7]
	s_nop 0
	v_mfma_f32_16x16x4f32 a[0:3], v10, v6, a[0:3]
	s_movk_i32 s4, 0x7f
	v_cmp_gt_i16_sdwa s[6:7], v7, s4 src0_sel:BYTE_0 src1_sel:DWORD
	s_mov_b64 s[4:5], 0
                                        ; implicit-def: $sgpr10
	s_and_saveexec_b64 s[8:9], s[6:7]
	s_xor_b64 s[6:7], exec, s[8:9]
	s_cbranch_execnz .LBB38_3233
; %bb.1185:
	s_or_saveexec_b64 s[6:7], s[6:7]
	v_mov_b32_e32 v2, s10
	s_xor_b64 exec, exec, s[6:7]
	s_cbranch_execnz .LBB38_3236
.LBB38_1186:
	s_or_b64 exec, exec, s[6:7]
	s_and_saveexec_b64 s[6:7], s[4:5]
	s_cbranch_execz .LBB38_1188
.LBB38_1187:
	v_and_b32_e32 v2, 7, v7
	v_ffbh_u32_e32 v10, v2
	v_min_u32_e32 v10, 32, v10
	v_lshrrev_b16_e32 v6, 3, v7
	v_subrev_u32_e32 v11, 28, v10
	v_and_b32_e32 v6, 15, v6
	v_lshlrev_b32_e32 v11, v11, v7
	v_sub_u32_e32 v10, 29, v10
	v_and_b32_e32 v11, 7, v11
	v_cmp_eq_u16_e32 vcc, 0, v6
	v_cndmask_b32_e32 v2, v2, v11, vcc
	v_cndmask_b32_e32 v6, v6, v10, vcc
	v_lshlrev_b32_e32 v10, 24, v7
	v_mov_b32_e32 v11, 0x3b800000
	v_lshlrev_b32_e32 v2, 20, v2
	v_and_b32_e32 v10, 0x80000000, v10
	v_lshl_add_u32 v6, v6, 23, v11
	v_or3_b32 v2, v10, v6, v2
.LBB38_1188:
	s_or_b64 exec, exec, s[6:7]
	s_movk_i32 s4, 0x7f
	v_cmp_gt_i16_sdwa s[6:7], v3, s4 src0_sel:BYTE_0 src1_sel:DWORD
	s_mov_b64 s[4:5], 0
                                        ; implicit-def: $sgpr10
	s_and_saveexec_b64 s[8:9], s[6:7]
	s_xor_b64 s[6:7], exec, s[8:9]
	s_cbranch_execnz .LBB38_3237
; %bb.1189:
	s_or_saveexec_b64 s[6:7], s[6:7]
	v_mov_b32_e32 v6, s10
	s_xor_b64 exec, exec, s[6:7]
	s_cbranch_execnz .LBB38_3240
.LBB38_1190:
	s_or_b64 exec, exec, s[6:7]
	s_and_saveexec_b64 s[6:7], s[4:5]
	s_cbranch_execz .LBB38_1192
.LBB38_1191:
	v_and_b32_e32 v6, 7, v3
	v_ffbh_u32_e32 v11, v6
	v_min_u32_e32 v11, 32, v11
	v_lshrrev_b16_e32 v10, 3, v3
	v_subrev_u32_e32 v12, 28, v11
	v_and_b32_e32 v10, 15, v10
	v_lshlrev_b32_e32 v12, v12, v3
	v_sub_u32_e32 v11, 29, v11
	v_and_b32_e32 v12, 7, v12
	v_cmp_eq_u16_e32 vcc, 0, v10
	v_cndmask_b32_e32 v6, v6, v12, vcc
	v_cndmask_b32_e32 v10, v10, v11, vcc
	v_lshlrev_b32_e32 v11, 24, v3
	v_mov_b32_e32 v12, 0x3b800000
	v_lshlrev_b32_e32 v6, 20, v6
	v_and_b32_e32 v11, 0x80000000, v11
	v_lshl_add_u32 v10, v10, 23, v12
	v_or3_b32 v6, v11, v10, v6
.LBB38_1192:
	s_or_b64 exec, exec, s[6:7]
	s_nop 0
	v_mfma_f32_16x16x4f32 a[0:3], v2, v6, a[0:3]
	v_lshrrev_b32_e32 v6, 8, v7
	s_movk_i32 s4, 0x7f
	v_cmp_gt_i16_sdwa s[6:7], v6, s4 src0_sel:BYTE_0 src1_sel:DWORD
	s_mov_b64 s[4:5], 0
                                        ; implicit-def: $sgpr10
	s_and_saveexec_b64 s[8:9], s[6:7]
	s_xor_b64 s[6:7], exec, s[8:9]
	s_cbranch_execnz .LBB38_3241
; %bb.1193:
	s_or_saveexec_b64 s[6:7], s[6:7]
	v_mov_b32_e32 v2, s10
	s_xor_b64 exec, exec, s[6:7]
	s_cbranch_execnz .LBB38_3244
.LBB38_1194:
	s_or_b64 exec, exec, s[6:7]
	s_and_saveexec_b64 s[6:7], s[4:5]
	s_cbranch_execz .LBB38_1196
.LBB38_1195:
	v_bfe_u32 v2, v7, 8, 3
	v_ffbh_u32_e32 v11, v2
	v_min_u32_e32 v11, 32, v11
	v_lshrrev_b16_e32 v10, 3, v6
	v_subrev_u32_e32 v12, 28, v11
	v_and_b32_e32 v10, 15, v10
	v_lshlrev_b32_e32 v6, v12, v6
	v_sub_u32_e32 v11, 29, v11
	v_and_b32_e32 v6, 7, v6
	v_cmp_eq_u16_e32 vcc, 0, v10
	v_cndmask_b32_e32 v2, v2, v6, vcc
	v_cndmask_b32_e32 v6, v10, v11, vcc
	v_lshlrev_b32_e32 v10, 16, v7
	v_mov_b32_e32 v11, 0x3b800000
	v_lshlrev_b32_e32 v2, 20, v2
	v_and_b32_e32 v10, 0x80000000, v10
	v_lshl_add_u32 v6, v6, 23, v11
	v_or3_b32 v2, v10, v6, v2
.LBB38_1196:
	s_or_b64 exec, exec, s[6:7]
	v_lshrrev_b32_e32 v6, 8, v3
	s_movk_i32 s4, 0x7f
	v_cmp_gt_i16_sdwa s[6:7], v6, s4 src0_sel:BYTE_0 src1_sel:DWORD
	s_mov_b64 s[4:5], 0
                                        ; implicit-def: $sgpr10
	s_and_saveexec_b64 s[8:9], s[6:7]
	s_xor_b64 s[6:7], exec, s[8:9]
	s_cbranch_execnz .LBB38_3245
; %bb.1197:
	s_or_saveexec_b64 s[6:7], s[6:7]
	v_mov_b32_e32 v10, s10
	s_xor_b64 exec, exec, s[6:7]
	s_cbranch_execnz .LBB38_3248
.LBB38_1198:
	s_or_b64 exec, exec, s[6:7]
	s_and_saveexec_b64 s[6:7], s[4:5]
	s_cbranch_execz .LBB38_1200
.LBB38_1199:
	v_bfe_u32 v10, v3, 8, 3
	v_ffbh_u32_e32 v12, v10
	v_min_u32_e32 v12, 32, v12
	v_lshrrev_b16_e32 v11, 3, v6
	v_subrev_u32_e32 v13, 28, v12
	v_and_b32_e32 v11, 15, v11
	v_lshlrev_b32_e32 v6, v13, v6
	v_sub_u32_e32 v12, 29, v12
	v_and_b32_e32 v6, 7, v6
	v_cmp_eq_u16_e32 vcc, 0, v11
	v_cndmask_b32_e32 v6, v10, v6, vcc
	v_cndmask_b32_e32 v10, v11, v12, vcc
	v_lshlrev_b32_e32 v11, 16, v3
	v_mov_b32_e32 v12, 0x3b800000
	v_lshlrev_b32_e32 v6, 20, v6
	v_and_b32_e32 v11, 0x80000000, v11
	v_lshl_add_u32 v10, v10, 23, v12
	v_or3_b32 v10, v11, v10, v6
.LBB38_1200:
	s_or_b64 exec, exec, s[6:7]
	s_nop 0
	v_mfma_f32_16x16x4f32 a[0:3], v2, v10, a[0:3]
	s_movk_i32 s4, 0xff
	v_and_b32_sdwa v6, v7, s4 dst_sel:DWORD dst_unused:UNUSED_PAD src0_sel:WORD_1 src1_sel:DWORD
	s_movk_i32 s4, 0x7f
	v_cmp_lt_i16_e32 vcc, s4, v6
	s_mov_b64 s[4:5], 0
                                        ; implicit-def: $sgpr10
	s_and_saveexec_b64 s[6:7], vcc
	s_xor_b64 s[6:7], exec, s[6:7]
	s_cbranch_execnz .LBB38_3249
; %bb.1201:
	s_or_saveexec_b64 s[6:7], s[6:7]
	v_mov_b32_e32 v2, s10
	s_xor_b64 exec, exec, s[6:7]
	s_cbranch_execnz .LBB38_3252
.LBB38_1202:
	s_or_b64 exec, exec, s[6:7]
	s_and_saveexec_b64 s[6:7], s[4:5]
	s_cbranch_execz .LBB38_1204
.LBB38_1203:
	v_bfe_u32 v2, v7, 16, 3
	v_ffbh_u32_e32 v11, v2
	v_min_u32_e32 v11, 32, v11
	v_lshrrev_b32_e32 v6, 19, v7
	v_subrev_u32_e32 v12, 28, v11
	v_and_b32_e32 v6, 15, v6
	v_lshlrev_b32_sdwa v12, v12, v7 dst_sel:DWORD dst_unused:UNUSED_PAD src0_sel:DWORD src1_sel:WORD_1
	v_bfe_u32 v10, v7, 19, 4
	v_sub_u32_e32 v11, 29, v11
	v_and_b32_e32 v12, 7, v12
	v_cmp_eq_u16_e32 vcc, 0, v6
	v_cndmask_b32_e32 v2, v2, v12, vcc
	v_cndmask_b32_e32 v6, v10, v11, vcc
	v_lshlrev_b32_e32 v10, 8, v7
	v_mov_b32_e32 v11, 0x3b800000
	v_lshlrev_b32_e32 v2, 20, v2
	v_and_b32_e32 v10, 0x80000000, v10
	v_lshl_add_u32 v6, v6, 23, v11
	v_or3_b32 v2, v10, v6, v2
.LBB38_1204:
	s_or_b64 exec, exec, s[6:7]
	s_movk_i32 s4, 0xff
	v_and_b32_sdwa v6, v3, s4 dst_sel:DWORD dst_unused:UNUSED_PAD src0_sel:WORD_1 src1_sel:DWORD
	s_movk_i32 s4, 0x7f
	v_cmp_lt_i16_e32 vcc, s4, v6
	s_mov_b64 s[4:5], 0
                                        ; implicit-def: $sgpr10
	s_and_saveexec_b64 s[6:7], vcc
	s_xor_b64 s[6:7], exec, s[6:7]
	s_cbranch_execnz .LBB38_3253
; %bb.1205:
	s_or_saveexec_b64 s[6:7], s[6:7]
	v_mov_b32_e32 v10, s10
	s_xor_b64 exec, exec, s[6:7]
	s_cbranch_execnz .LBB38_3256
.LBB38_1206:
	s_or_b64 exec, exec, s[6:7]
	s_and_saveexec_b64 s[6:7], s[4:5]
	s_cbranch_execz .LBB38_1208
.LBB38_1207:
	v_bfe_u32 v6, v3, 16, 3
	v_ffbh_u32_e32 v12, v6
	v_min_u32_e32 v12, 32, v12
	v_lshrrev_b32_e32 v10, 19, v3
	v_subrev_u32_e32 v13, 28, v12
	v_and_b32_e32 v10, 15, v10
	v_lshlrev_b32_sdwa v13, v13, v3 dst_sel:DWORD dst_unused:UNUSED_PAD src0_sel:DWORD src1_sel:WORD_1
	v_bfe_u32 v11, v3, 19, 4
	v_sub_u32_e32 v12, 29, v12
	v_and_b32_e32 v13, 7, v13
	v_cmp_eq_u16_e32 vcc, 0, v10
	v_cndmask_b32_e32 v6, v6, v13, vcc
	v_cndmask_b32_e32 v10, v11, v12, vcc
	v_lshlrev_b32_e32 v11, 8, v3
	v_mov_b32_e32 v12, 0x3b800000
	v_lshlrev_b32_e32 v6, 20, v6
	v_and_b32_e32 v11, 0x80000000, v11
	v_lshl_add_u32 v10, v10, 23, v12
	v_or3_b32 v10, v11, v10, v6
.LBB38_1208:
	s_or_b64 exec, exec, s[6:7]
	s_nop 0
	v_mfma_f32_16x16x4f32 a[0:3], v2, v10, a[0:3]
	s_movk_i32 s4, 0x7f
	v_cmp_gt_i16_sdwa s[6:7], v7, s4 src0_sel:BYTE_3 src1_sel:DWORD
	s_mov_b64 s[4:5], 0
                                        ; implicit-def: $sgpr10
	s_and_saveexec_b64 s[8:9], s[6:7]
	s_xor_b64 s[6:7], exec, s[8:9]
	s_cbranch_execnz .LBB38_3257
; %bb.1209:
	s_or_saveexec_b64 s[6:7], s[6:7]
	v_mov_b32_e32 v2, s10
	s_xor_b64 exec, exec, s[6:7]
	s_cbranch_execnz .LBB38_3260
.LBB38_1210:
	s_or_b64 exec, exec, s[6:7]
	s_and_saveexec_b64 s[6:7], s[4:5]
	s_cbranch_execz .LBB38_1212
.LBB38_1211:
	v_bfe_u32 v2, v7, 24, 3
	v_ffbh_u32_e32 v12, v2
	v_min_u32_e32 v12, 32, v12
	v_lshrrev_b32_e32 v10, 27, v7
	v_subrev_u32_e32 v13, 28, v12
	v_and_b32_e32 v6, 0x80000000, v7
	v_and_b32_e32 v10, 15, v10
	v_bfe_u32 v11, v7, 27, 4
	v_lshlrev_b32_sdwa v7, v13, v7 dst_sel:DWORD dst_unused:UNUSED_PAD src0_sel:DWORD src1_sel:BYTE_3
	v_sub_u32_e32 v12, 29, v12
	v_and_b32_e32 v7, 7, v7
	v_cmp_eq_u16_e32 vcc, 0, v10
	v_cndmask_b32_e32 v2, v2, v7, vcc
	v_cndmask_b32_e32 v7, v11, v12, vcc
	v_mov_b32_e32 v10, 0x3b800000
	v_lshlrev_b32_e32 v2, 20, v2
	v_lshl_add_u32 v7, v7, 23, v10
	v_or3_b32 v2, v6, v7, v2
.LBB38_1212:
	s_or_b64 exec, exec, s[6:7]
	s_movk_i32 s4, 0x7f
	v_cmp_gt_i16_sdwa s[6:7], v3, s4 src0_sel:BYTE_3 src1_sel:DWORD
	s_mov_b64 s[4:5], 0
                                        ; implicit-def: $sgpr10
	s_and_saveexec_b64 s[8:9], s[6:7]
	s_xor_b64 s[6:7], exec, s[8:9]
	s_cbranch_execnz .LBB38_3261
; %bb.1213:
	s_or_saveexec_b64 s[6:7], s[6:7]
	v_mov_b32_e32 v6, s10
	s_xor_b64 exec, exec, s[6:7]
	s_cbranch_execnz .LBB38_3264
.LBB38_1214:
	s_or_b64 exec, exec, s[6:7]
	s_and_saveexec_b64 s[6:7], s[4:5]
	s_cbranch_execz .LBB38_1216
.LBB38_1215:
	v_bfe_u32 v6, v3, 24, 3
	v_ffbh_u32_e32 v12, v6
	v_min_u32_e32 v12, 32, v12
	v_lshrrev_b32_e32 v10, 27, v3
	v_subrev_u32_e32 v13, 28, v12
	v_and_b32_e32 v7, 0x80000000, v3
	v_and_b32_e32 v10, 15, v10
	v_bfe_u32 v11, v3, 27, 4
	v_lshlrev_b32_sdwa v3, v13, v3 dst_sel:DWORD dst_unused:UNUSED_PAD src0_sel:DWORD src1_sel:BYTE_3
	v_sub_u32_e32 v12, 29, v12
	v_and_b32_e32 v3, 7, v3
	v_cmp_eq_u16_e32 vcc, 0, v10
	v_cndmask_b32_e32 v3, v6, v3, vcc
	v_cndmask_b32_e32 v6, v11, v12, vcc
	v_mov_b32_e32 v10, 0x3b800000
	v_lshlrev_b32_e32 v3, 20, v3
	v_lshl_add_u32 v6, v6, 23, v10
	v_or3_b32 v6, v7, v6, v3
.LBB38_1216:
	s_or_b64 exec, exec, s[6:7]
	s_nop 0
	v_mfma_f32_16x16x4f32 a[0:3], v2, v6, a[0:3]
	s_movk_i32 s4, 0x7f
	v_cmp_gt_i16_sdwa s[6:7], v8, s4 src0_sel:BYTE_0 src1_sel:DWORD
	s_mov_b64 s[4:5], 0
                                        ; implicit-def: $sgpr10
	s_and_saveexec_b64 s[8:9], s[6:7]
	s_xor_b64 s[6:7], exec, s[8:9]
	s_cbranch_execnz .LBB38_3265
; %bb.1217:
	s_or_saveexec_b64 s[6:7], s[6:7]
	v_mov_b32_e32 v2, s10
	s_xor_b64 exec, exec, s[6:7]
	s_cbranch_execnz .LBB38_3268
.LBB38_1218:
	s_or_b64 exec, exec, s[6:7]
	s_and_saveexec_b64 s[6:7], s[4:5]
	s_cbranch_execz .LBB38_1220
.LBB38_1219:
	v_and_b32_e32 v2, 7, v8
	v_ffbh_u32_e32 v6, v2
	v_min_u32_e32 v6, 32, v6
	v_lshrrev_b16_e32 v3, 3, v8
	v_subrev_u32_e32 v7, 28, v6
	v_and_b32_e32 v3, 15, v3
	v_lshlrev_b32_e32 v7, v7, v8
	v_sub_u32_e32 v6, 29, v6
	v_and_b32_e32 v7, 7, v7
	v_cmp_eq_u16_e32 vcc, 0, v3
	v_cndmask_b32_e32 v2, v2, v7, vcc
	v_cndmask_b32_e32 v3, v3, v6, vcc
	v_lshlrev_b32_e32 v6, 24, v8
	v_mov_b32_e32 v7, 0x3b800000
	v_lshlrev_b32_e32 v2, 20, v2
	v_and_b32_e32 v6, 0x80000000, v6
	v_lshl_add_u32 v3, v3, 23, v7
	v_or3_b32 v2, v6, v3, v2
.LBB38_1220:
	s_or_b64 exec, exec, s[6:7]
	s_movk_i32 s4, 0x7f
	v_cmp_gt_i16_sdwa s[6:7], v4, s4 src0_sel:BYTE_0 src1_sel:DWORD
	s_mov_b64 s[4:5], 0
                                        ; implicit-def: $sgpr10
	s_and_saveexec_b64 s[8:9], s[6:7]
	s_xor_b64 s[6:7], exec, s[8:9]
	s_cbranch_execnz .LBB38_3269
; %bb.1221:
	s_or_saveexec_b64 s[6:7], s[6:7]
	v_mov_b32_e32 v3, s10
	s_xor_b64 exec, exec, s[6:7]
	s_cbranch_execnz .LBB38_3272
.LBB38_1222:
	s_or_b64 exec, exec, s[6:7]
	s_and_saveexec_b64 s[6:7], s[4:5]
	s_cbranch_execz .LBB38_1224
.LBB38_1223:
	v_and_b32_e32 v3, 7, v4
	v_ffbh_u32_e32 v7, v3
	v_min_u32_e32 v7, 32, v7
	v_lshrrev_b16_e32 v6, 3, v4
	v_subrev_u32_e32 v10, 28, v7
	v_and_b32_e32 v6, 15, v6
	v_lshlrev_b32_e32 v10, v10, v4
	v_sub_u32_e32 v7, 29, v7
	v_and_b32_e32 v10, 7, v10
	v_cmp_eq_u16_e32 vcc, 0, v6
	v_cndmask_b32_e32 v3, v3, v10, vcc
	v_cndmask_b32_e32 v6, v6, v7, vcc
	v_lshlrev_b32_e32 v7, 24, v4
	v_mov_b32_e32 v10, 0x3b800000
	v_lshlrev_b32_e32 v3, 20, v3
	v_and_b32_e32 v7, 0x80000000, v7
	v_lshl_add_u32 v6, v6, 23, v10
	v_or3_b32 v3, v7, v6, v3
.LBB38_1224:
	s_or_b64 exec, exec, s[6:7]
	s_nop 0
	v_mfma_f32_16x16x4f32 a[0:3], v2, v3, a[0:3]
	v_lshrrev_b32_e32 v3, 8, v8
	s_movk_i32 s4, 0x7f
	v_cmp_gt_i16_sdwa s[6:7], v3, s4 src0_sel:BYTE_0 src1_sel:DWORD
	s_mov_b64 s[4:5], 0
                                        ; implicit-def: $sgpr10
	s_and_saveexec_b64 s[8:9], s[6:7]
	s_xor_b64 s[6:7], exec, s[8:9]
	s_cbranch_execnz .LBB38_3273
; %bb.1225:
	s_or_saveexec_b64 s[6:7], s[6:7]
	v_mov_b32_e32 v2, s10
	s_xor_b64 exec, exec, s[6:7]
	s_cbranch_execnz .LBB38_3276
.LBB38_1226:
	s_or_b64 exec, exec, s[6:7]
	s_and_saveexec_b64 s[6:7], s[4:5]
	s_cbranch_execz .LBB38_1228
.LBB38_1227:
	v_bfe_u32 v2, v8, 8, 3
	v_ffbh_u32_e32 v7, v2
	v_min_u32_e32 v7, 32, v7
	v_lshrrev_b16_e32 v6, 3, v3
	v_subrev_u32_e32 v10, 28, v7
	v_and_b32_e32 v6, 15, v6
	v_lshlrev_b32_e32 v3, v10, v3
	v_sub_u32_e32 v7, 29, v7
	v_and_b32_e32 v3, 7, v3
	v_cmp_eq_u16_e32 vcc, 0, v6
	v_cndmask_b32_e32 v2, v2, v3, vcc
	v_cndmask_b32_e32 v3, v6, v7, vcc
	v_lshlrev_b32_e32 v6, 16, v8
	v_mov_b32_e32 v7, 0x3b800000
	v_lshlrev_b32_e32 v2, 20, v2
	v_and_b32_e32 v6, 0x80000000, v6
	v_lshl_add_u32 v3, v3, 23, v7
	v_or3_b32 v2, v6, v3, v2
.LBB38_1228:
	s_or_b64 exec, exec, s[6:7]
	v_lshrrev_b32_e32 v3, 8, v4
	s_movk_i32 s4, 0x7f
	v_cmp_gt_i16_sdwa s[6:7], v3, s4 src0_sel:BYTE_0 src1_sel:DWORD
	s_mov_b64 s[4:5], 0
                                        ; implicit-def: $sgpr10
	s_and_saveexec_b64 s[8:9], s[6:7]
	s_xor_b64 s[6:7], exec, s[8:9]
	s_cbranch_execnz .LBB38_3277
; %bb.1229:
	s_or_saveexec_b64 s[6:7], s[6:7]
	v_mov_b32_e32 v6, s10
	s_xor_b64 exec, exec, s[6:7]
	s_cbranch_execnz .LBB38_3280
.LBB38_1230:
	s_or_b64 exec, exec, s[6:7]
	s_and_saveexec_b64 s[6:7], s[4:5]
	s_cbranch_execz .LBB38_1232
.LBB38_1231:
	v_bfe_u32 v6, v4, 8, 3
	v_ffbh_u32_e32 v10, v6
	v_min_u32_e32 v10, 32, v10
	v_lshrrev_b16_e32 v7, 3, v3
	v_subrev_u32_e32 v11, 28, v10
	v_and_b32_e32 v7, 15, v7
	v_lshlrev_b32_e32 v3, v11, v3
	v_sub_u32_e32 v10, 29, v10
	v_and_b32_e32 v3, 7, v3
	v_cmp_eq_u16_e32 vcc, 0, v7
	v_cndmask_b32_e32 v3, v6, v3, vcc
	v_cndmask_b32_e32 v6, v7, v10, vcc
	v_lshlrev_b32_e32 v7, 16, v4
	v_mov_b32_e32 v10, 0x3b800000
	v_lshlrev_b32_e32 v3, 20, v3
	v_and_b32_e32 v7, 0x80000000, v7
	v_lshl_add_u32 v6, v6, 23, v10
	v_or3_b32 v6, v7, v6, v3
.LBB38_1232:
	s_or_b64 exec, exec, s[6:7]
	s_nop 0
	v_mfma_f32_16x16x4f32 a[0:3], v2, v6, a[0:3]
	s_movk_i32 s4, 0xff
	v_and_b32_sdwa v3, v8, s4 dst_sel:DWORD dst_unused:UNUSED_PAD src0_sel:WORD_1 src1_sel:DWORD
	s_movk_i32 s4, 0x7f
	v_cmp_lt_i16_e32 vcc, s4, v3
	s_mov_b64 s[4:5], 0
                                        ; implicit-def: $sgpr10
	s_and_saveexec_b64 s[6:7], vcc
	s_xor_b64 s[6:7], exec, s[6:7]
	s_cbranch_execnz .LBB38_3281
; %bb.1233:
	s_or_saveexec_b64 s[6:7], s[6:7]
	v_mov_b32_e32 v2, s10
	s_xor_b64 exec, exec, s[6:7]
	s_cbranch_execnz .LBB38_3284
.LBB38_1234:
	s_or_b64 exec, exec, s[6:7]
	s_and_saveexec_b64 s[6:7], s[4:5]
	s_cbranch_execz .LBB38_1236
.LBB38_1235:
	v_bfe_u32 v2, v8, 16, 3
	v_ffbh_u32_e32 v7, v2
	v_min_u32_e32 v7, 32, v7
	v_lshrrev_b32_e32 v3, 19, v8
	v_subrev_u32_e32 v10, 28, v7
	v_and_b32_e32 v3, 15, v3
	v_lshlrev_b32_sdwa v10, v10, v8 dst_sel:DWORD dst_unused:UNUSED_PAD src0_sel:DWORD src1_sel:WORD_1
	v_bfe_u32 v6, v8, 19, 4
	v_sub_u32_e32 v7, 29, v7
	v_and_b32_e32 v10, 7, v10
	v_cmp_eq_u16_e32 vcc, 0, v3
	v_cndmask_b32_e32 v2, v2, v10, vcc
	v_cndmask_b32_e32 v3, v6, v7, vcc
	v_lshlrev_b32_e32 v6, 8, v8
	v_mov_b32_e32 v7, 0x3b800000
	v_lshlrev_b32_e32 v2, 20, v2
	v_and_b32_e32 v6, 0x80000000, v6
	v_lshl_add_u32 v3, v3, 23, v7
	v_or3_b32 v2, v6, v3, v2
.LBB38_1236:
	s_or_b64 exec, exec, s[6:7]
	s_movk_i32 s4, 0xff
	v_and_b32_sdwa v3, v4, s4 dst_sel:DWORD dst_unused:UNUSED_PAD src0_sel:WORD_1 src1_sel:DWORD
	s_movk_i32 s4, 0x7f
	v_cmp_lt_i16_e32 vcc, s4, v3
	s_mov_b64 s[4:5], 0
                                        ; implicit-def: $sgpr10
	s_and_saveexec_b64 s[6:7], vcc
	s_xor_b64 s[6:7], exec, s[6:7]
	s_cbranch_execnz .LBB38_3285
; %bb.1237:
	s_or_saveexec_b64 s[6:7], s[6:7]
	v_mov_b32_e32 v6, s10
	s_xor_b64 exec, exec, s[6:7]
	s_cbranch_execnz .LBB38_3288
.LBB38_1238:
	s_or_b64 exec, exec, s[6:7]
	s_and_saveexec_b64 s[6:7], s[4:5]
	s_cbranch_execz .LBB38_1240
.LBB38_1239:
	v_bfe_u32 v3, v4, 16, 3
	v_ffbh_u32_e32 v10, v3
	v_min_u32_e32 v10, 32, v10
	v_lshrrev_b32_e32 v6, 19, v4
	v_subrev_u32_e32 v11, 28, v10
	v_and_b32_e32 v6, 15, v6
	v_lshlrev_b32_sdwa v11, v11, v4 dst_sel:DWORD dst_unused:UNUSED_PAD src0_sel:DWORD src1_sel:WORD_1
	v_bfe_u32 v7, v4, 19, 4
	v_sub_u32_e32 v10, 29, v10
	v_and_b32_e32 v11, 7, v11
	v_cmp_eq_u16_e32 vcc, 0, v6
	v_cndmask_b32_e32 v3, v3, v11, vcc
	v_cndmask_b32_e32 v6, v7, v10, vcc
	v_lshlrev_b32_e32 v7, 8, v4
	v_mov_b32_e32 v10, 0x3b800000
	v_lshlrev_b32_e32 v3, 20, v3
	v_and_b32_e32 v7, 0x80000000, v7
	v_lshl_add_u32 v6, v6, 23, v10
	v_or3_b32 v6, v7, v6, v3
.LBB38_1240:
	s_or_b64 exec, exec, s[6:7]
	s_nop 0
	v_mfma_f32_16x16x4f32 a[0:3], v2, v6, a[0:3]
	s_movk_i32 s4, 0x7f
	v_cmp_gt_i16_sdwa s[6:7], v8, s4 src0_sel:BYTE_3 src1_sel:DWORD
	s_mov_b64 s[4:5], 0
                                        ; implicit-def: $sgpr10
	s_and_saveexec_b64 s[8:9], s[6:7]
	s_xor_b64 s[6:7], exec, s[8:9]
	s_cbranch_execnz .LBB38_3289
; %bb.1241:
	s_or_saveexec_b64 s[6:7], s[6:7]
	v_mov_b32_e32 v2, s10
	s_xor_b64 exec, exec, s[6:7]
	s_cbranch_execnz .LBB38_3292
.LBB38_1242:
	s_or_b64 exec, exec, s[6:7]
	s_and_saveexec_b64 s[6:7], s[4:5]
	s_cbranch_execz .LBB38_1244
.LBB38_1243:
	v_bfe_u32 v2, v8, 24, 3
	v_ffbh_u32_e32 v10, v2
	v_min_u32_e32 v10, 32, v10
	v_lshrrev_b32_e32 v6, 27, v8
	v_subrev_u32_e32 v11, 28, v10
	v_and_b32_e32 v3, 0x80000000, v8
	v_and_b32_e32 v6, 15, v6
	v_bfe_u32 v7, v8, 27, 4
	v_lshlrev_b32_sdwa v8, v11, v8 dst_sel:DWORD dst_unused:UNUSED_PAD src0_sel:DWORD src1_sel:BYTE_3
	v_sub_u32_e32 v10, 29, v10
	v_and_b32_e32 v8, 7, v8
	v_cmp_eq_u16_e32 vcc, 0, v6
	v_cndmask_b32_e32 v2, v2, v8, vcc
	v_cndmask_b32_e32 v6, v7, v10, vcc
	v_mov_b32_e32 v7, 0x3b800000
	v_lshlrev_b32_e32 v2, 20, v2
	v_lshl_add_u32 v6, v6, 23, v7
	v_or3_b32 v2, v3, v6, v2
.LBB38_1244:
	s_or_b64 exec, exec, s[6:7]
	s_movk_i32 s4, 0x7f
	v_cmp_gt_i16_sdwa s[6:7], v4, s4 src0_sel:BYTE_3 src1_sel:DWORD
	s_mov_b64 s[4:5], 0
                                        ; implicit-def: $sgpr10
	s_and_saveexec_b64 s[8:9], s[6:7]
	s_xor_b64 s[6:7], exec, s[8:9]
	s_cbranch_execnz .LBB38_3293
; %bb.1245:
	s_or_saveexec_b64 s[6:7], s[6:7]
	v_mov_b32_e32 v3, s10
	s_xor_b64 exec, exec, s[6:7]
	s_cbranch_execnz .LBB38_3296
.LBB38_1246:
	s_or_b64 exec, exec, s[6:7]
	s_and_saveexec_b64 s[6:7], s[4:5]
	s_cbranch_execz .LBB38_1248
.LBB38_1247:
	v_bfe_u32 v3, v4, 24, 3
	v_ffbh_u32_e32 v10, v3
	v_min_u32_e32 v10, 32, v10
	v_lshrrev_b32_e32 v7, 27, v4
	v_subrev_u32_e32 v11, 28, v10
	v_and_b32_e32 v6, 0x80000000, v4
	v_and_b32_e32 v7, 15, v7
	v_bfe_u32 v8, v4, 27, 4
	v_lshlrev_b32_sdwa v4, v11, v4 dst_sel:DWORD dst_unused:UNUSED_PAD src0_sel:DWORD src1_sel:BYTE_3
	v_sub_u32_e32 v10, 29, v10
	v_and_b32_e32 v4, 7, v4
	v_cmp_eq_u16_e32 vcc, 0, v7
	v_cndmask_b32_e32 v3, v3, v4, vcc
	v_cndmask_b32_e32 v4, v8, v10, vcc
	v_mov_b32_e32 v7, 0x3b800000
	v_lshlrev_b32_e32 v3, 20, v3
	v_lshl_add_u32 v4, v4, 23, v7
	v_or3_b32 v3, v6, v4, v3
.LBB38_1248:
	s_or_b64 exec, exec, s[6:7]
	s_nop 0
	v_mfma_f32_16x16x4f32 a[0:3], v2, v3, a[0:3]
	s_movk_i32 s4, 0x7f
	v_cmp_gt_i16_sdwa s[6:7], v9, s4 src0_sel:BYTE_0 src1_sel:DWORD
	s_mov_b64 s[4:5], 0
                                        ; implicit-def: $sgpr10
	s_and_saveexec_b64 s[8:9], s[6:7]
	s_xor_b64 s[6:7], exec, s[8:9]
	s_cbranch_execnz .LBB38_3297
; %bb.1249:
	s_or_saveexec_b64 s[6:7], s[6:7]
	v_mov_b32_e32 v2, s10
	s_xor_b64 exec, exec, s[6:7]
	s_cbranch_execnz .LBB38_3300
.LBB38_1250:
	s_or_b64 exec, exec, s[6:7]
	s_and_saveexec_b64 s[6:7], s[4:5]
	s_cbranch_execz .LBB38_1252
.LBB38_1251:
	v_mov_b32_e32 v2, 8
	v_and_b32_e32 v3, 7, v9
	v_lshrrev_b32_sdwa v2, v2, v9 dst_sel:BYTE_1 dst_unused:UNUSED_PAD src0_sel:DWORD src1_sel:DWORD
	v_ffbh_u32_e32 v4, v3
	v_or_b32_sdwa v2, v9, v2 dst_sel:DWORD dst_unused:UNUSED_PAD src0_sel:BYTE_0 src1_sel:DWORD
	v_min_u32_e32 v4, 32, v4
	v_lshrrev_b16_e32 v2, 3, v2
	v_subrev_u32_e32 v6, 28, v4
	v_and_b32_e32 v2, 15, v2
	v_lshlrev_b32_e32 v6, v6, v9
	v_sub_u32_e32 v4, 29, v4
	v_and_b32_e32 v6, 7, v6
	v_cmp_eq_u16_e32 vcc, 0, v2
	v_cndmask_b32_e32 v3, v3, v6, vcc
	v_cndmask_b32_e32 v2, v2, v4, vcc
	v_lshlrev_b32_e32 v4, 24, v9
	v_mov_b32_e32 v6, 0x3b800000
	v_lshlrev_b32_e32 v3, 20, v3
	v_and_b32_e32 v4, 0x80000000, v4
	v_lshl_add_u32 v2, v2, 23, v6
	v_or3_b32 v2, v4, v2, v3
.LBB38_1252:
	s_or_b64 exec, exec, s[6:7]
	s_movk_i32 s4, 0x7f
	v_cmp_gt_i16_sdwa s[6:7], v5, s4 src0_sel:BYTE_0 src1_sel:DWORD
	s_mov_b64 s[4:5], 0
                                        ; implicit-def: $sgpr10
	s_and_saveexec_b64 s[8:9], s[6:7]
	s_xor_b64 s[6:7], exec, s[8:9]
	s_cbranch_execnz .LBB38_3301
; %bb.1253:
	s_or_saveexec_b64 s[6:7], s[6:7]
	v_mov_b32_e32 v3, s10
	s_xor_b64 exec, exec, s[6:7]
	s_cbranch_execnz .LBB38_3304
.LBB38_1254:
	s_or_b64 exec, exec, s[6:7]
	s_and_saveexec_b64 s[6:7], s[4:5]
	s_cbranch_execz .LBB38_1256
.LBB38_1255:
	v_mov_b32_e32 v3, 8
	v_and_b32_e32 v4, 7, v5
	v_lshrrev_b32_sdwa v3, v3, v5 dst_sel:BYTE_1 dst_unused:UNUSED_PAD src0_sel:DWORD src1_sel:DWORD
	v_ffbh_u32_e32 v6, v4
	v_or_b32_sdwa v3, v5, v3 dst_sel:DWORD dst_unused:UNUSED_PAD src0_sel:BYTE_0 src1_sel:DWORD
	v_min_u32_e32 v6, 32, v6
	v_lshrrev_b16_e32 v3, 3, v3
	v_subrev_u32_e32 v7, 28, v6
	v_and_b32_e32 v3, 15, v3
	v_lshlrev_b32_e32 v7, v7, v5
	v_sub_u32_e32 v6, 29, v6
	v_and_b32_e32 v7, 7, v7
	v_cmp_eq_u16_e32 vcc, 0, v3
	v_cndmask_b32_e32 v4, v4, v7, vcc
	v_cndmask_b32_e32 v3, v3, v6, vcc
	v_lshlrev_b32_e32 v6, 24, v5
	v_mov_b32_e32 v7, 0x3b800000
	v_lshlrev_b32_e32 v4, 20, v4
	v_and_b32_e32 v6, 0x80000000, v6
	v_lshl_add_u32 v3, v3, 23, v7
	v_or3_b32 v3, v6, v3, v4
.LBB38_1256:
	s_or_b64 exec, exec, s[6:7]
	s_nop 0
	v_mfma_f32_16x16x4f32 a[0:3], v2, v3, a[0:3]
	v_lshrrev_b32_e32 v3, 8, v9
	s_movk_i32 s4, 0x7f
	v_cmp_gt_i16_sdwa s[6:7], v3, s4 src0_sel:BYTE_0 src1_sel:DWORD
	s_mov_b64 s[4:5], 0
                                        ; implicit-def: $sgpr10
	s_and_saveexec_b64 s[8:9], s[6:7]
	s_xor_b64 s[6:7], exec, s[8:9]
	s_cbranch_execnz .LBB38_3305
; %bb.1257:
	s_or_saveexec_b64 s[6:7], s[6:7]
	v_mov_b32_e32 v2, s10
	s_xor_b64 exec, exec, s[6:7]
	s_cbranch_execnz .LBB38_3308
.LBB38_1258:
	s_or_b64 exec, exec, s[6:7]
	s_and_saveexec_b64 s[6:7], s[4:5]
	s_cbranch_execz .LBB38_1260
.LBB38_1259:
	v_bfe_u32 v2, v9, 8, 3
	v_ffbh_u32_e32 v6, v2
	v_min_u32_e32 v6, 32, v6
	v_lshrrev_b16_e32 v4, 3, v3
	v_subrev_u32_e32 v7, 28, v6
	v_and_b32_e32 v4, 15, v4
	v_lshlrev_b32_e32 v3, v7, v3
	v_sub_u32_e32 v6, 29, v6
	v_and_b32_e32 v3, 7, v3
	v_cmp_eq_u16_e32 vcc, 0, v4
	v_cndmask_b32_e32 v2, v2, v3, vcc
	v_cndmask_b32_e32 v3, v4, v6, vcc
	v_lshlrev_b32_e32 v4, 16, v9
	v_mov_b32_e32 v6, 0x3b800000
	v_lshlrev_b32_e32 v2, 20, v2
	v_and_b32_e32 v4, 0x80000000, v4
	v_lshl_add_u32 v3, v3, 23, v6
	v_or3_b32 v2, v4, v3, v2
.LBB38_1260:
	s_or_b64 exec, exec, s[6:7]
	v_lshrrev_b32_e32 v3, 8, v5
	s_movk_i32 s4, 0x7f
	v_cmp_gt_i16_sdwa s[6:7], v3, s4 src0_sel:BYTE_0 src1_sel:DWORD
	s_mov_b64 s[4:5], 0
                                        ; implicit-def: $sgpr10
	s_and_saveexec_b64 s[8:9], s[6:7]
	s_xor_b64 s[6:7], exec, s[8:9]
	s_cbranch_execnz .LBB38_3309
; %bb.1261:
	s_or_saveexec_b64 s[6:7], s[6:7]
	v_mov_b32_e32 v4, s10
	s_xor_b64 exec, exec, s[6:7]
	s_cbranch_execnz .LBB38_3312
.LBB38_1262:
	s_or_b64 exec, exec, s[6:7]
	s_and_saveexec_b64 s[6:7], s[4:5]
	s_cbranch_execz .LBB38_1264
.LBB38_1263:
	v_bfe_u32 v4, v5, 8, 3
	v_ffbh_u32_e32 v7, v4
	v_min_u32_e32 v7, 32, v7
	v_lshrrev_b16_e32 v6, 3, v3
	v_subrev_u32_e32 v8, 28, v7
	v_and_b32_e32 v6, 15, v6
	v_lshlrev_b32_e32 v3, v8, v3
	v_sub_u32_e32 v7, 29, v7
	v_and_b32_e32 v3, 7, v3
	v_cmp_eq_u16_e32 vcc, 0, v6
	v_cndmask_b32_e32 v3, v4, v3, vcc
	v_cndmask_b32_e32 v4, v6, v7, vcc
	v_lshlrev_b32_e32 v6, 16, v5
	v_mov_b32_e32 v7, 0x3b800000
	v_lshlrev_b32_e32 v3, 20, v3
	v_and_b32_e32 v6, 0x80000000, v6
	v_lshl_add_u32 v4, v4, 23, v7
	v_or3_b32 v4, v6, v4, v3
.LBB38_1264:
	s_or_b64 exec, exec, s[6:7]
	s_nop 0
	v_mfma_f32_16x16x4f32 a[0:3], v2, v4, a[0:3]
	s_movk_i32 s4, 0xff
	v_and_b32_sdwa v3, v9, s4 dst_sel:DWORD dst_unused:UNUSED_PAD src0_sel:WORD_1 src1_sel:DWORD
	s_movk_i32 s4, 0x7f
	v_cmp_lt_i16_e32 vcc, s4, v3
	s_mov_b64 s[4:5], 0
                                        ; implicit-def: $sgpr10
	s_and_saveexec_b64 s[6:7], vcc
	s_xor_b64 s[6:7], exec, s[6:7]
	s_cbranch_execnz .LBB38_3313
; %bb.1265:
	s_or_saveexec_b64 s[6:7], s[6:7]
	v_mov_b32_e32 v2, s10
	s_xor_b64 exec, exec, s[6:7]
	s_cbranch_execnz .LBB38_3316
.LBB38_1266:
	s_or_b64 exec, exec, s[6:7]
	s_and_saveexec_b64 s[6:7], s[4:5]
	s_cbranch_execz .LBB38_1268
.LBB38_1267:
	v_bfe_u32 v2, v9, 16, 3
	v_ffbh_u32_e32 v6, v2
	v_min_u32_e32 v6, 32, v6
	v_lshrrev_b32_e32 v3, 19, v9
	v_subrev_u32_e32 v7, 28, v6
	v_and_b32_e32 v3, 15, v3
	v_lshlrev_b32_sdwa v7, v7, v9 dst_sel:DWORD dst_unused:UNUSED_PAD src0_sel:DWORD src1_sel:WORD_1
	v_bfe_u32 v4, v9, 19, 4
	v_sub_u32_e32 v6, 29, v6
	v_and_b32_e32 v7, 7, v7
	v_cmp_eq_u16_e32 vcc, 0, v3
	v_cndmask_b32_e32 v2, v2, v7, vcc
	v_cndmask_b32_e32 v3, v4, v6, vcc
	v_lshlrev_b32_e32 v4, 8, v9
	v_mov_b32_e32 v6, 0x3b800000
	v_lshlrev_b32_e32 v2, 20, v2
	v_and_b32_e32 v4, 0x80000000, v4
	v_lshl_add_u32 v3, v3, 23, v6
	v_or3_b32 v2, v4, v3, v2
.LBB38_1268:
	s_or_b64 exec, exec, s[6:7]
	s_movk_i32 s4, 0xff
	v_and_b32_sdwa v3, v5, s4 dst_sel:DWORD dst_unused:UNUSED_PAD src0_sel:WORD_1 src1_sel:DWORD
	s_movk_i32 s4, 0x7f
	v_cmp_lt_i16_e32 vcc, s4, v3
	s_mov_b64 s[4:5], 0
                                        ; implicit-def: $sgpr10
	s_and_saveexec_b64 s[6:7], vcc
	s_xor_b64 s[6:7], exec, s[6:7]
	s_cbranch_execnz .LBB38_3317
; %bb.1269:
	s_or_saveexec_b64 s[6:7], s[6:7]
	v_mov_b32_e32 v4, s10
	s_xor_b64 exec, exec, s[6:7]
	s_cbranch_execnz .LBB38_3320
.LBB38_1270:
	s_or_b64 exec, exec, s[6:7]
	s_and_saveexec_b64 s[6:7], s[4:5]
	s_cbranch_execz .LBB38_1272
.LBB38_1271:
	v_bfe_u32 v3, v5, 16, 3
	v_ffbh_u32_e32 v7, v3
	v_min_u32_e32 v7, 32, v7
	v_lshrrev_b32_e32 v4, 19, v5
	v_subrev_u32_e32 v8, 28, v7
	v_and_b32_e32 v4, 15, v4
	v_lshlrev_b32_sdwa v8, v8, v5 dst_sel:DWORD dst_unused:UNUSED_PAD src0_sel:DWORD src1_sel:WORD_1
	v_bfe_u32 v6, v5, 19, 4
	v_sub_u32_e32 v7, 29, v7
	v_and_b32_e32 v8, 7, v8
	v_cmp_eq_u16_e32 vcc, 0, v4
	v_cndmask_b32_e32 v3, v3, v8, vcc
	v_cndmask_b32_e32 v4, v6, v7, vcc
	v_lshlrev_b32_e32 v6, 8, v5
	v_mov_b32_e32 v7, 0x3b800000
	v_lshlrev_b32_e32 v3, 20, v3
	v_and_b32_e32 v6, 0x80000000, v6
	v_lshl_add_u32 v4, v4, 23, v7
	v_or3_b32 v4, v6, v4, v3
.LBB38_1272:
	s_or_b64 exec, exec, s[6:7]
	s_nop 0
	v_mfma_f32_16x16x4f32 a[0:3], v2, v4, a[0:3]
	s_movk_i32 s4, 0x7f
	v_cmp_gt_i16_sdwa s[6:7], v9, s4 src0_sel:BYTE_3 src1_sel:DWORD
	s_mov_b64 s[4:5], 0
                                        ; implicit-def: $sgpr10
	s_and_saveexec_b64 s[8:9], s[6:7]
	s_xor_b64 s[6:7], exec, s[8:9]
	s_cbranch_execnz .LBB38_3321
; %bb.1273:
	s_or_saveexec_b64 s[6:7], s[6:7]
	v_mov_b32_e32 v2, s10
	s_xor_b64 exec, exec, s[6:7]
	s_cbranch_execnz .LBB38_3324
.LBB38_1274:
	s_or_b64 exec, exec, s[6:7]
	s_and_saveexec_b64 s[6:7], s[4:5]
	s_cbranch_execz .LBB38_1276
.LBB38_1275:
	v_bfe_u32 v2, v9, 24, 3
	v_ffbh_u32_e32 v7, v2
	v_min_u32_e32 v7, 32, v7
	v_lshrrev_b32_e32 v4, 27, v9
	v_subrev_u32_e32 v8, 28, v7
	v_and_b32_e32 v4, 15, v4
	v_lshlrev_b32_sdwa v8, v8, v9 dst_sel:DWORD dst_unused:UNUSED_PAD src0_sel:DWORD src1_sel:BYTE_3
	v_bfe_u32 v6, v9, 27, 4
	v_sub_u32_e32 v7, 29, v7
	v_and_b32_e32 v8, 7, v8
	v_cmp_eq_u16_e32 vcc, 0, v4
	v_cndmask_b32_e32 v2, v2, v8, vcc
	v_cndmask_b32_e32 v4, v6, v7, vcc
	v_mov_b32_e32 v6, 0x3b800000
	v_and_b32_e32 v3, 0x80000000, v9
	v_lshlrev_b32_e32 v2, 20, v2
	v_lshl_add_u32 v4, v4, 23, v6
	v_or3_b32 v2, v3, v4, v2
.LBB38_1276:
	s_or_b64 exec, exec, s[6:7]
	s_movk_i32 s4, 0x7f
	v_cmp_gt_i16_sdwa s[6:7], v5, s4 src0_sel:BYTE_3 src1_sel:DWORD
	s_mov_b64 s[4:5], 0
                                        ; implicit-def: $sgpr10
	s_and_saveexec_b64 s[8:9], s[6:7]
	s_xor_b64 s[6:7], exec, s[8:9]
	s_cbranch_execnz .LBB38_3325
; %bb.1277:
	s_or_saveexec_b64 s[6:7], s[6:7]
	v_mov_b32_e32 v3, s10
	s_xor_b64 exec, exec, s[6:7]
	s_cbranch_execnz .LBB38_3328
.LBB38_1278:
	s_or_b64 exec, exec, s[6:7]
	s_and_saveexec_b64 s[6:7], s[4:5]
	s_cbranch_execz .LBB38_1280
.LBB38_1279:
	v_bfe_u32 v3, v5, 24, 3
	v_ffbh_u32_e32 v8, v3
	v_min_u32_e32 v8, 32, v8
	v_lshrrev_b32_e32 v6, 27, v5
	v_subrev_u32_e32 v9, 28, v8
	v_and_b32_e32 v4, 0x80000000, v5
	v_and_b32_e32 v6, 15, v6
	v_bfe_u32 v7, v5, 27, 4
	v_lshlrev_b32_sdwa v5, v9, v5 dst_sel:DWORD dst_unused:UNUSED_PAD src0_sel:DWORD src1_sel:BYTE_3
	v_sub_u32_e32 v8, 29, v8
	v_and_b32_e32 v5, 7, v5
	v_cmp_eq_u16_e32 vcc, 0, v6
	v_cndmask_b32_e32 v3, v3, v5, vcc
	v_cndmask_b32_e32 v5, v7, v8, vcc
	v_mov_b32_e32 v6, 0x3b800000
	v_lshlrev_b32_e32 v3, 20, v3
	v_lshl_add_u32 v5, v5, 23, v6
	v_or3_b32 v3, v4, v5, v3
.LBB38_1280:
	s_or_b64 exec, exec, s[6:7]
	s_nop 0
	v_mfma_f32_16x16x4f32 a[0:3], v2, v3, a[0:3]
	s_movk_i32 s4, 0x7f
                                        ; implicit-def: $sgpr10
	s_nop 7
	s_nop 1
	flat_store_dwordx4 v[18:19], a[0:3] offset:320
	flat_load_dwordx4 v[20:23], v[0:1] offset:16
	s_nop 0
	flat_load_dwordx2 v[18:19], v[0:1] offset:32
	s_waitcnt vmcnt(0) lgkmcnt(0)
	flat_load_dwordx4 v[14:17], v[20:21]
	flat_load_dwordx4 v[6:9], v[20:21] offset:16
	flat_load_dwordx4 v[10:13], v[22:23] offset:416
	;; [unrolled: 1-line block ×3, first 2 shown]
	s_waitcnt vmcnt(0) lgkmcnt(0)
	v_cmp_gt_i16_sdwa s[6:7], v14, s4 src0_sel:BYTE_0 src1_sel:DWORD
	s_mov_b64 s[4:5], 0
	s_and_saveexec_b64 s[8:9], s[6:7]
	s_xor_b64 s[6:7], exec, s[8:9]
	s_cbranch_execnz .LBB38_3329
; %bb.1281:
	s_or_saveexec_b64 s[6:7], s[6:7]
	v_mov_b32_e32 v20, s10
	s_xor_b64 exec, exec, s[6:7]
	s_cbranch_execnz .LBB38_3332
.LBB38_1282:
	s_or_b64 exec, exec, s[6:7]
	s_and_saveexec_b64 s[6:7], s[4:5]
	s_cbranch_execz .LBB38_1284
.LBB38_1283:
	v_and_b32_e32 v20, 7, v14
	v_ffbh_u32_e32 v22, v20
	v_min_u32_e32 v22, 32, v22
	v_lshrrev_b16_e32 v21, 3, v14
	v_subrev_u32_e32 v23, 28, v22
	v_and_b32_e32 v21, 15, v21
	v_lshlrev_b32_e32 v23, v23, v14
	v_sub_u32_e32 v22, 29, v22
	v_and_b32_e32 v23, 7, v23
	v_cmp_eq_u16_e32 vcc, 0, v21
	v_cndmask_b32_e32 v20, v20, v23, vcc
	v_cndmask_b32_e32 v21, v21, v22, vcc
	v_lshlrev_b32_e32 v22, 24, v14
	v_mov_b32_e32 v23, 0x3b800000
	v_lshlrev_b32_e32 v20, 20, v20
	v_and_b32_e32 v22, 0x80000000, v22
	v_lshl_add_u32 v21, v21, 23, v23
	v_or3_b32 v20, v22, v21, v20
.LBB38_1284:
	s_or_b64 exec, exec, s[6:7]
	s_movk_i32 s4, 0x7f
	v_cmp_gt_i16_sdwa s[6:7], v10, s4 src0_sel:BYTE_0 src1_sel:DWORD
	s_mov_b64 s[4:5], 0
                                        ; implicit-def: $sgpr10
	s_and_saveexec_b64 s[8:9], s[6:7]
	s_xor_b64 s[6:7], exec, s[8:9]
	s_cbranch_execnz .LBB38_3333
; %bb.1285:
	s_or_saveexec_b64 s[6:7], s[6:7]
	v_mov_b32_e32 v21, s10
	s_xor_b64 exec, exec, s[6:7]
	s_cbranch_execnz .LBB38_3336
.LBB38_1286:
	s_or_b64 exec, exec, s[6:7]
	s_and_saveexec_b64 s[6:7], s[4:5]
	s_cbranch_execz .LBB38_1288
.LBB38_1287:
	v_and_b32_e32 v21, 7, v10
	v_ffbh_u32_e32 v23, v21
	v_min_u32_e32 v23, 32, v23
	v_lshrrev_b16_e32 v22, 3, v10
	v_subrev_u32_e32 v24, 28, v23
	v_and_b32_e32 v22, 15, v22
	v_lshlrev_b32_e32 v24, v24, v10
	v_sub_u32_e32 v23, 29, v23
	v_and_b32_e32 v24, 7, v24
	v_cmp_eq_u16_e32 vcc, 0, v22
	v_cndmask_b32_e32 v21, v21, v24, vcc
	v_cndmask_b32_e32 v22, v22, v23, vcc
	v_lshlrev_b32_e32 v23, 24, v10
	v_mov_b32_e32 v24, 0x3b800000
	v_lshlrev_b32_e32 v21, 20, v21
	v_and_b32_e32 v23, 0x80000000, v23
	v_lshl_add_u32 v22, v22, 23, v24
	v_or3_b32 v21, v23, v22, v21
.LBB38_1288:
	s_or_b64 exec, exec, s[6:7]
	flat_load_dwordx4 a[0:3], v[18:19] offset:336
	s_movk_i32 s4, 0x7f
                                        ; implicit-def: $sgpr10
	s_waitcnt vmcnt(0) lgkmcnt(0)
	v_mfma_f32_16x16x4f32 a[0:3], v20, v21, a[0:3]
	v_lshrrev_b32_e32 v21, 8, v14
	v_cmp_gt_i16_sdwa s[6:7], v21, s4 src0_sel:BYTE_0 src1_sel:DWORD
	s_mov_b64 s[4:5], 0
	s_and_saveexec_b64 s[8:9], s[6:7]
	s_xor_b64 s[6:7], exec, s[8:9]
	s_cbranch_execnz .LBB38_3337
; %bb.1289:
	s_or_saveexec_b64 s[6:7], s[6:7]
	v_mov_b32_e32 v20, s10
	s_xor_b64 exec, exec, s[6:7]
	s_cbranch_execnz .LBB38_3340
.LBB38_1290:
	s_or_b64 exec, exec, s[6:7]
	s_and_saveexec_b64 s[6:7], s[4:5]
	s_cbranch_execz .LBB38_1292
.LBB38_1291:
	v_bfe_u32 v20, v14, 8, 3
	v_ffbh_u32_e32 v23, v20
	v_min_u32_e32 v23, 32, v23
	v_lshrrev_b16_e32 v22, 3, v21
	v_subrev_u32_e32 v24, 28, v23
	v_and_b32_e32 v22, 15, v22
	v_lshlrev_b32_e32 v21, v24, v21
	v_sub_u32_e32 v23, 29, v23
	v_and_b32_e32 v21, 7, v21
	v_cmp_eq_u16_e32 vcc, 0, v22
	v_cndmask_b32_e32 v20, v20, v21, vcc
	v_cndmask_b32_e32 v21, v22, v23, vcc
	v_lshlrev_b32_e32 v22, 16, v14
	v_mov_b32_e32 v23, 0x3b800000
	v_lshlrev_b32_e32 v20, 20, v20
	v_and_b32_e32 v22, 0x80000000, v22
	v_lshl_add_u32 v21, v21, 23, v23
	v_or3_b32 v20, v22, v21, v20
.LBB38_1292:
	s_or_b64 exec, exec, s[6:7]
	v_lshrrev_b32_e32 v21, 8, v10
	s_movk_i32 s4, 0x7f
	v_cmp_gt_i16_sdwa s[6:7], v21, s4 src0_sel:BYTE_0 src1_sel:DWORD
	s_mov_b64 s[4:5], 0
                                        ; implicit-def: $sgpr10
	s_and_saveexec_b64 s[8:9], s[6:7]
	s_xor_b64 s[6:7], exec, s[8:9]
	s_cbranch_execnz .LBB38_3341
; %bb.1293:
	s_or_saveexec_b64 s[6:7], s[6:7]
	v_mov_b32_e32 v22, s10
	s_xor_b64 exec, exec, s[6:7]
	s_cbranch_execnz .LBB38_3344
.LBB38_1294:
	s_or_b64 exec, exec, s[6:7]
	s_and_saveexec_b64 s[6:7], s[4:5]
	s_cbranch_execz .LBB38_1296
.LBB38_1295:
	v_bfe_u32 v22, v10, 8, 3
	v_ffbh_u32_e32 v24, v22
	v_min_u32_e32 v24, 32, v24
	v_lshrrev_b16_e32 v23, 3, v21
	v_subrev_u32_e32 v25, 28, v24
	v_and_b32_e32 v23, 15, v23
	v_lshlrev_b32_e32 v21, v25, v21
	v_sub_u32_e32 v24, 29, v24
	v_and_b32_e32 v21, 7, v21
	v_cmp_eq_u16_e32 vcc, 0, v23
	v_cndmask_b32_e32 v21, v22, v21, vcc
	v_cndmask_b32_e32 v22, v23, v24, vcc
	v_lshlrev_b32_e32 v23, 16, v10
	v_mov_b32_e32 v24, 0x3b800000
	v_lshlrev_b32_e32 v21, 20, v21
	v_and_b32_e32 v23, 0x80000000, v23
	v_lshl_add_u32 v22, v22, 23, v24
	v_or3_b32 v22, v23, v22, v21
.LBB38_1296:
	s_or_b64 exec, exec, s[6:7]
	s_nop 0
	v_mfma_f32_16x16x4f32 a[0:3], v20, v22, a[0:3]
	s_movk_i32 s4, 0xff
	v_and_b32_sdwa v21, v14, s4 dst_sel:DWORD dst_unused:UNUSED_PAD src0_sel:WORD_1 src1_sel:DWORD
	s_movk_i32 s4, 0x7f
	v_cmp_lt_i16_e32 vcc, s4, v21
	s_mov_b64 s[4:5], 0
                                        ; implicit-def: $sgpr10
	s_and_saveexec_b64 s[6:7], vcc
	s_xor_b64 s[6:7], exec, s[6:7]
	s_cbranch_execnz .LBB38_3345
; %bb.1297:
	s_or_saveexec_b64 s[6:7], s[6:7]
	v_mov_b32_e32 v20, s10
	s_xor_b64 exec, exec, s[6:7]
	s_cbranch_execnz .LBB38_3348
.LBB38_1298:
	s_or_b64 exec, exec, s[6:7]
	s_and_saveexec_b64 s[6:7], s[4:5]
	s_cbranch_execz .LBB38_1300
.LBB38_1299:
	v_bfe_u32 v20, v14, 16, 3
	v_ffbh_u32_e32 v23, v20
	v_min_u32_e32 v23, 32, v23
	v_lshrrev_b32_e32 v21, 19, v14
	v_subrev_u32_e32 v24, 28, v23
	v_and_b32_e32 v21, 15, v21
	v_lshlrev_b32_sdwa v24, v24, v14 dst_sel:DWORD dst_unused:UNUSED_PAD src0_sel:DWORD src1_sel:WORD_1
	v_bfe_u32 v22, v14, 19, 4
	v_sub_u32_e32 v23, 29, v23
	v_and_b32_e32 v24, 7, v24
	v_cmp_eq_u16_e32 vcc, 0, v21
	v_cndmask_b32_e32 v20, v20, v24, vcc
	v_cndmask_b32_e32 v21, v22, v23, vcc
	v_lshlrev_b32_e32 v22, 8, v14
	v_mov_b32_e32 v23, 0x3b800000
	v_lshlrev_b32_e32 v20, 20, v20
	v_and_b32_e32 v22, 0x80000000, v22
	v_lshl_add_u32 v21, v21, 23, v23
	v_or3_b32 v20, v22, v21, v20
.LBB38_1300:
	s_or_b64 exec, exec, s[6:7]
	s_movk_i32 s4, 0xff
	v_and_b32_sdwa v21, v10, s4 dst_sel:DWORD dst_unused:UNUSED_PAD src0_sel:WORD_1 src1_sel:DWORD
	s_movk_i32 s4, 0x7f
	v_cmp_lt_i16_e32 vcc, s4, v21
	s_mov_b64 s[4:5], 0
                                        ; implicit-def: $sgpr10
	s_and_saveexec_b64 s[6:7], vcc
	s_xor_b64 s[6:7], exec, s[6:7]
	s_cbranch_execnz .LBB38_3349
; %bb.1301:
	s_or_saveexec_b64 s[6:7], s[6:7]
	v_mov_b32_e32 v22, s10
	s_xor_b64 exec, exec, s[6:7]
	s_cbranch_execnz .LBB38_3352
.LBB38_1302:
	s_or_b64 exec, exec, s[6:7]
	s_and_saveexec_b64 s[6:7], s[4:5]
	s_cbranch_execz .LBB38_1304
.LBB38_1303:
	v_bfe_u32 v21, v10, 16, 3
	v_ffbh_u32_e32 v24, v21
	v_min_u32_e32 v24, 32, v24
	v_lshrrev_b32_e32 v22, 19, v10
	v_subrev_u32_e32 v25, 28, v24
	v_and_b32_e32 v22, 15, v22
	v_lshlrev_b32_sdwa v25, v25, v10 dst_sel:DWORD dst_unused:UNUSED_PAD src0_sel:DWORD src1_sel:WORD_1
	v_bfe_u32 v23, v10, 19, 4
	v_sub_u32_e32 v24, 29, v24
	v_and_b32_e32 v25, 7, v25
	v_cmp_eq_u16_e32 vcc, 0, v22
	v_cndmask_b32_e32 v21, v21, v25, vcc
	v_cndmask_b32_e32 v22, v23, v24, vcc
	v_lshlrev_b32_e32 v23, 8, v10
	v_mov_b32_e32 v24, 0x3b800000
	v_lshlrev_b32_e32 v21, 20, v21
	v_and_b32_e32 v23, 0x80000000, v23
	v_lshl_add_u32 v22, v22, 23, v24
	v_or3_b32 v22, v23, v22, v21
.LBB38_1304:
	s_or_b64 exec, exec, s[6:7]
	s_nop 0
	v_mfma_f32_16x16x4f32 a[0:3], v20, v22, a[0:3]
	s_movk_i32 s4, 0x7f
	v_cmp_gt_i16_sdwa s[6:7], v14, s4 src0_sel:BYTE_3 src1_sel:DWORD
	s_mov_b64 s[4:5], 0
                                        ; implicit-def: $sgpr10
	s_and_saveexec_b64 s[8:9], s[6:7]
	s_xor_b64 s[6:7], exec, s[8:9]
	s_cbranch_execnz .LBB38_3353
; %bb.1305:
	s_or_saveexec_b64 s[6:7], s[6:7]
	v_mov_b32_e32 v20, s10
	s_xor_b64 exec, exec, s[6:7]
	s_cbranch_execnz .LBB38_3356
.LBB38_1306:
	s_or_b64 exec, exec, s[6:7]
	s_and_saveexec_b64 s[6:7], s[4:5]
	s_cbranch_execz .LBB38_1308
.LBB38_1307:
	v_bfe_u32 v20, v14, 24, 3
	v_ffbh_u32_e32 v24, v20
	v_min_u32_e32 v24, 32, v24
	v_lshrrev_b32_e32 v22, 27, v14
	v_subrev_u32_e32 v25, 28, v24
	v_and_b32_e32 v21, 0x80000000, v14
	v_and_b32_e32 v22, 15, v22
	v_bfe_u32 v23, v14, 27, 4
	v_lshlrev_b32_sdwa v14, v25, v14 dst_sel:DWORD dst_unused:UNUSED_PAD src0_sel:DWORD src1_sel:BYTE_3
	v_sub_u32_e32 v24, 29, v24
	v_and_b32_e32 v14, 7, v14
	v_cmp_eq_u16_e32 vcc, 0, v22
	v_cndmask_b32_e32 v14, v20, v14, vcc
	v_cndmask_b32_e32 v20, v23, v24, vcc
	v_mov_b32_e32 v22, 0x3b800000
	v_lshlrev_b32_e32 v14, 20, v14
	v_lshl_add_u32 v20, v20, 23, v22
	v_or3_b32 v20, v21, v20, v14
.LBB38_1308:
	s_or_b64 exec, exec, s[6:7]
	s_movk_i32 s4, 0x7f
	v_cmp_gt_i16_sdwa s[6:7], v10, s4 src0_sel:BYTE_3 src1_sel:DWORD
	s_mov_b64 s[4:5], 0
                                        ; implicit-def: $sgpr10
	s_and_saveexec_b64 s[8:9], s[6:7]
	s_xor_b64 s[6:7], exec, s[8:9]
	s_cbranch_execnz .LBB38_3357
; %bb.1309:
	s_or_saveexec_b64 s[6:7], s[6:7]
	v_mov_b32_e32 v14, s10
	s_xor_b64 exec, exec, s[6:7]
	s_cbranch_execnz .LBB38_3360
.LBB38_1310:
	s_or_b64 exec, exec, s[6:7]
	s_and_saveexec_b64 s[6:7], s[4:5]
	s_cbranch_execz .LBB38_1312
.LBB38_1311:
	v_bfe_u32 v14, v10, 24, 3
	v_ffbh_u32_e32 v24, v14
	v_min_u32_e32 v24, 32, v24
	v_lshrrev_b32_e32 v22, 27, v10
	v_subrev_u32_e32 v25, 28, v24
	v_and_b32_e32 v21, 0x80000000, v10
	v_and_b32_e32 v22, 15, v22
	v_bfe_u32 v23, v10, 27, 4
	v_lshlrev_b32_sdwa v10, v25, v10 dst_sel:DWORD dst_unused:UNUSED_PAD src0_sel:DWORD src1_sel:BYTE_3
	v_sub_u32_e32 v24, 29, v24
	v_and_b32_e32 v10, 7, v10
	v_cmp_eq_u16_e32 vcc, 0, v22
	v_cndmask_b32_e32 v10, v14, v10, vcc
	v_cndmask_b32_e32 v14, v23, v24, vcc
	v_mov_b32_e32 v22, 0x3b800000
	v_lshlrev_b32_e32 v10, 20, v10
	v_lshl_add_u32 v14, v14, 23, v22
	v_or3_b32 v14, v21, v14, v10
.LBB38_1312:
	s_or_b64 exec, exec, s[6:7]
	s_nop 0
	v_mfma_f32_16x16x4f32 a[0:3], v20, v14, a[0:3]
	s_movk_i32 s4, 0x7f
	v_cmp_gt_i16_sdwa s[6:7], v15, s4 src0_sel:BYTE_0 src1_sel:DWORD
	s_mov_b64 s[4:5], 0
                                        ; implicit-def: $sgpr10
	s_and_saveexec_b64 s[8:9], s[6:7]
	s_xor_b64 s[6:7], exec, s[8:9]
	s_cbranch_execnz .LBB38_3361
; %bb.1313:
	s_or_saveexec_b64 s[6:7], s[6:7]
	v_mov_b32_e32 v10, s10
	s_xor_b64 exec, exec, s[6:7]
	s_cbranch_execnz .LBB38_3364
.LBB38_1314:
	s_or_b64 exec, exec, s[6:7]
	s_and_saveexec_b64 s[6:7], s[4:5]
	s_cbranch_execz .LBB38_1316
.LBB38_1315:
	v_and_b32_e32 v10, 7, v15
	v_ffbh_u32_e32 v20, v10
	v_min_u32_e32 v20, 32, v20
	v_lshrrev_b16_e32 v14, 3, v15
	v_subrev_u32_e32 v21, 28, v20
	v_and_b32_e32 v14, 15, v14
	v_lshlrev_b32_e32 v21, v21, v15
	v_sub_u32_e32 v20, 29, v20
	v_and_b32_e32 v21, 7, v21
	v_cmp_eq_u16_e32 vcc, 0, v14
	v_cndmask_b32_e32 v10, v10, v21, vcc
	v_cndmask_b32_e32 v14, v14, v20, vcc
	v_lshlrev_b32_e32 v20, 24, v15
	v_mov_b32_e32 v21, 0x3b800000
	v_lshlrev_b32_e32 v10, 20, v10
	v_and_b32_e32 v20, 0x80000000, v20
	v_lshl_add_u32 v14, v14, 23, v21
	v_or3_b32 v10, v20, v14, v10
.LBB38_1316:
	s_or_b64 exec, exec, s[6:7]
	s_movk_i32 s4, 0x7f
	v_cmp_gt_i16_sdwa s[6:7], v11, s4 src0_sel:BYTE_0 src1_sel:DWORD
	s_mov_b64 s[4:5], 0
                                        ; implicit-def: $sgpr10
	s_and_saveexec_b64 s[8:9], s[6:7]
	s_xor_b64 s[6:7], exec, s[8:9]
	s_cbranch_execnz .LBB38_3365
; %bb.1317:
	s_or_saveexec_b64 s[6:7], s[6:7]
	v_mov_b32_e32 v14, s10
	s_xor_b64 exec, exec, s[6:7]
	s_cbranch_execnz .LBB38_3368
.LBB38_1318:
	s_or_b64 exec, exec, s[6:7]
	s_and_saveexec_b64 s[6:7], s[4:5]
	s_cbranch_execz .LBB38_1320
.LBB38_1319:
	v_and_b32_e32 v14, 7, v11
	v_ffbh_u32_e32 v21, v14
	v_min_u32_e32 v21, 32, v21
	v_lshrrev_b16_e32 v20, 3, v11
	v_subrev_u32_e32 v22, 28, v21
	v_and_b32_e32 v20, 15, v20
	v_lshlrev_b32_e32 v22, v22, v11
	v_sub_u32_e32 v21, 29, v21
	v_and_b32_e32 v22, 7, v22
	v_cmp_eq_u16_e32 vcc, 0, v20
	v_cndmask_b32_e32 v14, v14, v22, vcc
	v_cndmask_b32_e32 v20, v20, v21, vcc
	v_lshlrev_b32_e32 v21, 24, v11
	v_mov_b32_e32 v22, 0x3b800000
	v_lshlrev_b32_e32 v14, 20, v14
	v_and_b32_e32 v21, 0x80000000, v21
	v_lshl_add_u32 v20, v20, 23, v22
	v_or3_b32 v14, v21, v20, v14
.LBB38_1320:
	s_or_b64 exec, exec, s[6:7]
	s_nop 0
	v_mfma_f32_16x16x4f32 a[0:3], v10, v14, a[0:3]
	v_lshrrev_b32_e32 v14, 8, v15
	s_movk_i32 s4, 0x7f
	v_cmp_gt_i16_sdwa s[6:7], v14, s4 src0_sel:BYTE_0 src1_sel:DWORD
	s_mov_b64 s[4:5], 0
                                        ; implicit-def: $sgpr10
	s_and_saveexec_b64 s[8:9], s[6:7]
	s_xor_b64 s[6:7], exec, s[8:9]
	s_cbranch_execnz .LBB38_3369
; %bb.1321:
	s_or_saveexec_b64 s[6:7], s[6:7]
	v_mov_b32_e32 v10, s10
	s_xor_b64 exec, exec, s[6:7]
	s_cbranch_execnz .LBB38_3372
.LBB38_1322:
	s_or_b64 exec, exec, s[6:7]
	s_and_saveexec_b64 s[6:7], s[4:5]
	s_cbranch_execz .LBB38_1324
.LBB38_1323:
	v_bfe_u32 v10, v15, 8, 3
	v_ffbh_u32_e32 v21, v10
	v_min_u32_e32 v21, 32, v21
	v_lshrrev_b16_e32 v20, 3, v14
	v_subrev_u32_e32 v22, 28, v21
	v_and_b32_e32 v20, 15, v20
	v_lshlrev_b32_e32 v14, v22, v14
	v_sub_u32_e32 v21, 29, v21
	v_and_b32_e32 v14, 7, v14
	v_cmp_eq_u16_e32 vcc, 0, v20
	v_cndmask_b32_e32 v10, v10, v14, vcc
	v_cndmask_b32_e32 v14, v20, v21, vcc
	v_lshlrev_b32_e32 v20, 16, v15
	v_mov_b32_e32 v21, 0x3b800000
	v_lshlrev_b32_e32 v10, 20, v10
	v_and_b32_e32 v20, 0x80000000, v20
	v_lshl_add_u32 v14, v14, 23, v21
	v_or3_b32 v10, v20, v14, v10
.LBB38_1324:
	s_or_b64 exec, exec, s[6:7]
	v_lshrrev_b32_e32 v14, 8, v11
	s_movk_i32 s4, 0x7f
	v_cmp_gt_i16_sdwa s[6:7], v14, s4 src0_sel:BYTE_0 src1_sel:DWORD
	s_mov_b64 s[4:5], 0
                                        ; implicit-def: $sgpr10
	s_and_saveexec_b64 s[8:9], s[6:7]
	s_xor_b64 s[6:7], exec, s[8:9]
	s_cbranch_execnz .LBB38_3373
; %bb.1325:
	s_or_saveexec_b64 s[6:7], s[6:7]
	v_mov_b32_e32 v20, s10
	s_xor_b64 exec, exec, s[6:7]
	s_cbranch_execnz .LBB38_3376
.LBB38_1326:
	s_or_b64 exec, exec, s[6:7]
	s_and_saveexec_b64 s[6:7], s[4:5]
	s_cbranch_execz .LBB38_1328
.LBB38_1327:
	v_bfe_u32 v20, v11, 8, 3
	v_ffbh_u32_e32 v22, v20
	v_min_u32_e32 v22, 32, v22
	v_lshrrev_b16_e32 v21, 3, v14
	v_subrev_u32_e32 v23, 28, v22
	v_and_b32_e32 v21, 15, v21
	v_lshlrev_b32_e32 v14, v23, v14
	v_sub_u32_e32 v22, 29, v22
	v_and_b32_e32 v14, 7, v14
	v_cmp_eq_u16_e32 vcc, 0, v21
	v_cndmask_b32_e32 v14, v20, v14, vcc
	v_cndmask_b32_e32 v20, v21, v22, vcc
	v_lshlrev_b32_e32 v21, 16, v11
	v_mov_b32_e32 v22, 0x3b800000
	v_lshlrev_b32_e32 v14, 20, v14
	v_and_b32_e32 v21, 0x80000000, v21
	v_lshl_add_u32 v20, v20, 23, v22
	v_or3_b32 v20, v21, v20, v14
.LBB38_1328:
	s_or_b64 exec, exec, s[6:7]
	s_nop 0
	v_mfma_f32_16x16x4f32 a[0:3], v10, v20, a[0:3]
	s_movk_i32 s4, 0xff
	v_and_b32_sdwa v14, v15, s4 dst_sel:DWORD dst_unused:UNUSED_PAD src0_sel:WORD_1 src1_sel:DWORD
	s_movk_i32 s4, 0x7f
	v_cmp_lt_i16_e32 vcc, s4, v14
	s_mov_b64 s[4:5], 0
                                        ; implicit-def: $sgpr10
	s_and_saveexec_b64 s[6:7], vcc
	s_xor_b64 s[6:7], exec, s[6:7]
	s_cbranch_execnz .LBB38_3377
; %bb.1329:
	s_or_saveexec_b64 s[6:7], s[6:7]
	v_mov_b32_e32 v10, s10
	s_xor_b64 exec, exec, s[6:7]
	s_cbranch_execnz .LBB38_3380
.LBB38_1330:
	s_or_b64 exec, exec, s[6:7]
	s_and_saveexec_b64 s[6:7], s[4:5]
	s_cbranch_execz .LBB38_1332
.LBB38_1331:
	v_bfe_u32 v10, v15, 16, 3
	v_ffbh_u32_e32 v21, v10
	v_min_u32_e32 v21, 32, v21
	v_lshrrev_b32_e32 v14, 19, v15
	v_subrev_u32_e32 v22, 28, v21
	v_and_b32_e32 v14, 15, v14
	v_lshlrev_b32_sdwa v22, v22, v15 dst_sel:DWORD dst_unused:UNUSED_PAD src0_sel:DWORD src1_sel:WORD_1
	v_bfe_u32 v20, v15, 19, 4
	v_sub_u32_e32 v21, 29, v21
	v_and_b32_e32 v22, 7, v22
	v_cmp_eq_u16_e32 vcc, 0, v14
	v_cndmask_b32_e32 v10, v10, v22, vcc
	v_cndmask_b32_e32 v14, v20, v21, vcc
	v_lshlrev_b32_e32 v20, 8, v15
	v_mov_b32_e32 v21, 0x3b800000
	v_lshlrev_b32_e32 v10, 20, v10
	v_and_b32_e32 v20, 0x80000000, v20
	v_lshl_add_u32 v14, v14, 23, v21
	v_or3_b32 v10, v20, v14, v10
.LBB38_1332:
	s_or_b64 exec, exec, s[6:7]
	s_movk_i32 s4, 0xff
	v_and_b32_sdwa v14, v11, s4 dst_sel:DWORD dst_unused:UNUSED_PAD src0_sel:WORD_1 src1_sel:DWORD
	s_movk_i32 s4, 0x7f
	v_cmp_lt_i16_e32 vcc, s4, v14
	s_mov_b64 s[4:5], 0
                                        ; implicit-def: $sgpr10
	s_and_saveexec_b64 s[6:7], vcc
	s_xor_b64 s[6:7], exec, s[6:7]
	s_cbranch_execnz .LBB38_3381
; %bb.1333:
	s_or_saveexec_b64 s[6:7], s[6:7]
	v_mov_b32_e32 v20, s10
	s_xor_b64 exec, exec, s[6:7]
	s_cbranch_execnz .LBB38_3384
.LBB38_1334:
	s_or_b64 exec, exec, s[6:7]
	s_and_saveexec_b64 s[6:7], s[4:5]
	s_cbranch_execz .LBB38_1336
.LBB38_1335:
	v_bfe_u32 v14, v11, 16, 3
	v_ffbh_u32_e32 v22, v14
	v_min_u32_e32 v22, 32, v22
	v_lshrrev_b32_e32 v20, 19, v11
	v_subrev_u32_e32 v23, 28, v22
	v_and_b32_e32 v20, 15, v20
	v_lshlrev_b32_sdwa v23, v23, v11 dst_sel:DWORD dst_unused:UNUSED_PAD src0_sel:DWORD src1_sel:WORD_1
	v_bfe_u32 v21, v11, 19, 4
	v_sub_u32_e32 v22, 29, v22
	v_and_b32_e32 v23, 7, v23
	v_cmp_eq_u16_e32 vcc, 0, v20
	v_cndmask_b32_e32 v14, v14, v23, vcc
	v_cndmask_b32_e32 v20, v21, v22, vcc
	v_lshlrev_b32_e32 v21, 8, v11
	v_mov_b32_e32 v22, 0x3b800000
	v_lshlrev_b32_e32 v14, 20, v14
	v_and_b32_e32 v21, 0x80000000, v21
	v_lshl_add_u32 v20, v20, 23, v22
	v_or3_b32 v20, v21, v20, v14
.LBB38_1336:
	s_or_b64 exec, exec, s[6:7]
	s_nop 0
	v_mfma_f32_16x16x4f32 a[0:3], v10, v20, a[0:3]
	s_movk_i32 s4, 0x7f
	v_cmp_gt_i16_sdwa s[6:7], v15, s4 src0_sel:BYTE_3 src1_sel:DWORD
	s_mov_b64 s[4:5], 0
                                        ; implicit-def: $sgpr10
	s_and_saveexec_b64 s[8:9], s[6:7]
	s_xor_b64 s[6:7], exec, s[8:9]
	s_cbranch_execnz .LBB38_3385
; %bb.1337:
	s_or_saveexec_b64 s[6:7], s[6:7]
	v_mov_b32_e32 v10, s10
	s_xor_b64 exec, exec, s[6:7]
	s_cbranch_execnz .LBB38_3388
.LBB38_1338:
	s_or_b64 exec, exec, s[6:7]
	s_and_saveexec_b64 s[6:7], s[4:5]
	s_cbranch_execz .LBB38_1340
.LBB38_1339:
	v_bfe_u32 v10, v15, 24, 3
	v_ffbh_u32_e32 v22, v10
	v_min_u32_e32 v22, 32, v22
	v_lshrrev_b32_e32 v20, 27, v15
	v_subrev_u32_e32 v23, 28, v22
	v_and_b32_e32 v14, 0x80000000, v15
	v_and_b32_e32 v20, 15, v20
	v_bfe_u32 v21, v15, 27, 4
	v_lshlrev_b32_sdwa v15, v23, v15 dst_sel:DWORD dst_unused:UNUSED_PAD src0_sel:DWORD src1_sel:BYTE_3
	v_sub_u32_e32 v22, 29, v22
	v_and_b32_e32 v15, 7, v15
	v_cmp_eq_u16_e32 vcc, 0, v20
	v_cndmask_b32_e32 v10, v10, v15, vcc
	v_cndmask_b32_e32 v15, v21, v22, vcc
	v_mov_b32_e32 v20, 0x3b800000
	v_lshlrev_b32_e32 v10, 20, v10
	v_lshl_add_u32 v15, v15, 23, v20
	v_or3_b32 v10, v14, v15, v10
.LBB38_1340:
	s_or_b64 exec, exec, s[6:7]
	s_movk_i32 s4, 0x7f
	v_cmp_gt_i16_sdwa s[6:7], v11, s4 src0_sel:BYTE_3 src1_sel:DWORD
	s_mov_b64 s[4:5], 0
                                        ; implicit-def: $sgpr10
	s_and_saveexec_b64 s[8:9], s[6:7]
	s_xor_b64 s[6:7], exec, s[8:9]
	s_cbranch_execnz .LBB38_3389
; %bb.1341:
	s_or_saveexec_b64 s[6:7], s[6:7]
	v_mov_b32_e32 v14, s10
	s_xor_b64 exec, exec, s[6:7]
	s_cbranch_execnz .LBB38_3392
.LBB38_1342:
	s_or_b64 exec, exec, s[6:7]
	s_and_saveexec_b64 s[6:7], s[4:5]
	s_cbranch_execz .LBB38_1344
.LBB38_1343:
	v_bfe_u32 v14, v11, 24, 3
	v_ffbh_u32_e32 v22, v14
	v_min_u32_e32 v22, 32, v22
	v_lshrrev_b32_e32 v20, 27, v11
	v_subrev_u32_e32 v23, 28, v22
	v_and_b32_e32 v15, 0x80000000, v11
	v_and_b32_e32 v20, 15, v20
	v_bfe_u32 v21, v11, 27, 4
	v_lshlrev_b32_sdwa v11, v23, v11 dst_sel:DWORD dst_unused:UNUSED_PAD src0_sel:DWORD src1_sel:BYTE_3
	v_sub_u32_e32 v22, 29, v22
	v_and_b32_e32 v11, 7, v11
	v_cmp_eq_u16_e32 vcc, 0, v20
	v_cndmask_b32_e32 v11, v14, v11, vcc
	v_cndmask_b32_e32 v14, v21, v22, vcc
	v_mov_b32_e32 v20, 0x3b800000
	v_lshlrev_b32_e32 v11, 20, v11
	v_lshl_add_u32 v14, v14, 23, v20
	v_or3_b32 v14, v15, v14, v11
.LBB38_1344:
	s_or_b64 exec, exec, s[6:7]
	s_nop 0
	v_mfma_f32_16x16x4f32 a[0:3], v10, v14, a[0:3]
	s_movk_i32 s4, 0x7f
	v_cmp_gt_i16_sdwa s[6:7], v16, s4 src0_sel:BYTE_0 src1_sel:DWORD
	s_mov_b64 s[4:5], 0
                                        ; implicit-def: $sgpr10
	s_and_saveexec_b64 s[8:9], s[6:7]
	s_xor_b64 s[6:7], exec, s[8:9]
	s_cbranch_execnz .LBB38_3393
; %bb.1345:
	s_or_saveexec_b64 s[6:7], s[6:7]
	v_mov_b32_e32 v10, s10
	s_xor_b64 exec, exec, s[6:7]
	s_cbranch_execnz .LBB38_3396
.LBB38_1346:
	s_or_b64 exec, exec, s[6:7]
	s_and_saveexec_b64 s[6:7], s[4:5]
	s_cbranch_execz .LBB38_1348
.LBB38_1347:
	v_and_b32_e32 v10, 7, v16
	v_ffbh_u32_e32 v14, v10
	v_min_u32_e32 v14, 32, v14
	v_lshrrev_b16_e32 v11, 3, v16
	v_subrev_u32_e32 v15, 28, v14
	v_and_b32_e32 v11, 15, v11
	v_lshlrev_b32_e32 v15, v15, v16
	v_sub_u32_e32 v14, 29, v14
	v_and_b32_e32 v15, 7, v15
	v_cmp_eq_u16_e32 vcc, 0, v11
	v_cndmask_b32_e32 v10, v10, v15, vcc
	v_cndmask_b32_e32 v11, v11, v14, vcc
	v_lshlrev_b32_e32 v14, 24, v16
	v_mov_b32_e32 v15, 0x3b800000
	v_lshlrev_b32_e32 v10, 20, v10
	v_and_b32_e32 v14, 0x80000000, v14
	v_lshl_add_u32 v11, v11, 23, v15
	v_or3_b32 v10, v14, v11, v10
.LBB38_1348:
	s_or_b64 exec, exec, s[6:7]
	s_movk_i32 s4, 0x7f
	v_cmp_gt_i16_sdwa s[6:7], v12, s4 src0_sel:BYTE_0 src1_sel:DWORD
	s_mov_b64 s[4:5], 0
                                        ; implicit-def: $sgpr10
	s_and_saveexec_b64 s[8:9], s[6:7]
	s_xor_b64 s[6:7], exec, s[8:9]
	s_cbranch_execnz .LBB38_3397
; %bb.1349:
	s_or_saveexec_b64 s[6:7], s[6:7]
	v_mov_b32_e32 v11, s10
	s_xor_b64 exec, exec, s[6:7]
	s_cbranch_execnz .LBB38_3400
.LBB38_1350:
	s_or_b64 exec, exec, s[6:7]
	s_and_saveexec_b64 s[6:7], s[4:5]
	s_cbranch_execz .LBB38_1352
.LBB38_1351:
	v_and_b32_e32 v11, 7, v12
	v_ffbh_u32_e32 v15, v11
	v_min_u32_e32 v15, 32, v15
	v_lshrrev_b16_e32 v14, 3, v12
	v_subrev_u32_e32 v20, 28, v15
	v_and_b32_e32 v14, 15, v14
	v_lshlrev_b32_e32 v20, v20, v12
	v_sub_u32_e32 v15, 29, v15
	v_and_b32_e32 v20, 7, v20
	v_cmp_eq_u16_e32 vcc, 0, v14
	v_cndmask_b32_e32 v11, v11, v20, vcc
	v_cndmask_b32_e32 v14, v14, v15, vcc
	v_lshlrev_b32_e32 v15, 24, v12
	v_mov_b32_e32 v20, 0x3b800000
	v_lshlrev_b32_e32 v11, 20, v11
	v_and_b32_e32 v15, 0x80000000, v15
	v_lshl_add_u32 v14, v14, 23, v20
	v_or3_b32 v11, v15, v14, v11
.LBB38_1352:
	s_or_b64 exec, exec, s[6:7]
	s_nop 0
	v_mfma_f32_16x16x4f32 a[0:3], v10, v11, a[0:3]
	v_lshrrev_b32_e32 v11, 8, v16
	s_movk_i32 s4, 0x7f
	v_cmp_gt_i16_sdwa s[6:7], v11, s4 src0_sel:BYTE_0 src1_sel:DWORD
	s_mov_b64 s[4:5], 0
                                        ; implicit-def: $sgpr10
	s_and_saveexec_b64 s[8:9], s[6:7]
	s_xor_b64 s[6:7], exec, s[8:9]
	s_cbranch_execnz .LBB38_3401
; %bb.1353:
	s_or_saveexec_b64 s[6:7], s[6:7]
	v_mov_b32_e32 v10, s10
	s_xor_b64 exec, exec, s[6:7]
	s_cbranch_execnz .LBB38_3404
.LBB38_1354:
	s_or_b64 exec, exec, s[6:7]
	s_and_saveexec_b64 s[6:7], s[4:5]
	s_cbranch_execz .LBB38_1356
.LBB38_1355:
	v_bfe_u32 v10, v16, 8, 3
	v_ffbh_u32_e32 v15, v10
	v_min_u32_e32 v15, 32, v15
	v_lshrrev_b16_e32 v14, 3, v11
	v_subrev_u32_e32 v20, 28, v15
	v_and_b32_e32 v14, 15, v14
	v_lshlrev_b32_e32 v11, v20, v11
	v_sub_u32_e32 v15, 29, v15
	v_and_b32_e32 v11, 7, v11
	v_cmp_eq_u16_e32 vcc, 0, v14
	v_cndmask_b32_e32 v10, v10, v11, vcc
	v_cndmask_b32_e32 v11, v14, v15, vcc
	v_lshlrev_b32_e32 v14, 16, v16
	v_mov_b32_e32 v15, 0x3b800000
	v_lshlrev_b32_e32 v10, 20, v10
	v_and_b32_e32 v14, 0x80000000, v14
	v_lshl_add_u32 v11, v11, 23, v15
	v_or3_b32 v10, v14, v11, v10
.LBB38_1356:
	s_or_b64 exec, exec, s[6:7]
	v_lshrrev_b32_e32 v11, 8, v12
	s_movk_i32 s4, 0x7f
	v_cmp_gt_i16_sdwa s[6:7], v11, s4 src0_sel:BYTE_0 src1_sel:DWORD
	s_mov_b64 s[4:5], 0
                                        ; implicit-def: $sgpr10
	s_and_saveexec_b64 s[8:9], s[6:7]
	s_xor_b64 s[6:7], exec, s[8:9]
	s_cbranch_execnz .LBB38_3405
; %bb.1357:
	s_or_saveexec_b64 s[6:7], s[6:7]
	v_mov_b32_e32 v14, s10
	s_xor_b64 exec, exec, s[6:7]
	s_cbranch_execnz .LBB38_3408
.LBB38_1358:
	s_or_b64 exec, exec, s[6:7]
	s_and_saveexec_b64 s[6:7], s[4:5]
	s_cbranch_execz .LBB38_1360
.LBB38_1359:
	v_bfe_u32 v14, v12, 8, 3
	v_ffbh_u32_e32 v20, v14
	v_min_u32_e32 v20, 32, v20
	v_lshrrev_b16_e32 v15, 3, v11
	v_subrev_u32_e32 v21, 28, v20
	v_and_b32_e32 v15, 15, v15
	v_lshlrev_b32_e32 v11, v21, v11
	v_sub_u32_e32 v20, 29, v20
	v_and_b32_e32 v11, 7, v11
	v_cmp_eq_u16_e32 vcc, 0, v15
	v_cndmask_b32_e32 v11, v14, v11, vcc
	v_cndmask_b32_e32 v14, v15, v20, vcc
	v_lshlrev_b32_e32 v15, 16, v12
	v_mov_b32_e32 v20, 0x3b800000
	v_lshlrev_b32_e32 v11, 20, v11
	v_and_b32_e32 v15, 0x80000000, v15
	v_lshl_add_u32 v14, v14, 23, v20
	v_or3_b32 v14, v15, v14, v11
.LBB38_1360:
	s_or_b64 exec, exec, s[6:7]
	s_nop 0
	v_mfma_f32_16x16x4f32 a[0:3], v10, v14, a[0:3]
	s_movk_i32 s4, 0xff
	v_and_b32_sdwa v11, v16, s4 dst_sel:DWORD dst_unused:UNUSED_PAD src0_sel:WORD_1 src1_sel:DWORD
	s_movk_i32 s4, 0x7f
	v_cmp_lt_i16_e32 vcc, s4, v11
	s_mov_b64 s[4:5], 0
                                        ; implicit-def: $sgpr10
	s_and_saveexec_b64 s[6:7], vcc
	s_xor_b64 s[6:7], exec, s[6:7]
	s_cbranch_execnz .LBB38_3409
; %bb.1361:
	s_or_saveexec_b64 s[6:7], s[6:7]
	v_mov_b32_e32 v10, s10
	s_xor_b64 exec, exec, s[6:7]
	s_cbranch_execnz .LBB38_3412
.LBB38_1362:
	s_or_b64 exec, exec, s[6:7]
	s_and_saveexec_b64 s[6:7], s[4:5]
	s_cbranch_execz .LBB38_1364
.LBB38_1363:
	v_bfe_u32 v10, v16, 16, 3
	v_ffbh_u32_e32 v15, v10
	v_min_u32_e32 v15, 32, v15
	v_lshrrev_b32_e32 v11, 19, v16
	v_subrev_u32_e32 v20, 28, v15
	v_and_b32_e32 v11, 15, v11
	v_lshlrev_b32_sdwa v20, v20, v16 dst_sel:DWORD dst_unused:UNUSED_PAD src0_sel:DWORD src1_sel:WORD_1
	v_bfe_u32 v14, v16, 19, 4
	v_sub_u32_e32 v15, 29, v15
	v_and_b32_e32 v20, 7, v20
	v_cmp_eq_u16_e32 vcc, 0, v11
	v_cndmask_b32_e32 v10, v10, v20, vcc
	v_cndmask_b32_e32 v11, v14, v15, vcc
	v_lshlrev_b32_e32 v14, 8, v16
	v_mov_b32_e32 v15, 0x3b800000
	v_lshlrev_b32_e32 v10, 20, v10
	v_and_b32_e32 v14, 0x80000000, v14
	v_lshl_add_u32 v11, v11, 23, v15
	v_or3_b32 v10, v14, v11, v10
.LBB38_1364:
	s_or_b64 exec, exec, s[6:7]
	s_movk_i32 s4, 0xff
	v_and_b32_sdwa v11, v12, s4 dst_sel:DWORD dst_unused:UNUSED_PAD src0_sel:WORD_1 src1_sel:DWORD
	s_movk_i32 s4, 0x7f
	v_cmp_lt_i16_e32 vcc, s4, v11
	s_mov_b64 s[4:5], 0
                                        ; implicit-def: $sgpr10
	s_and_saveexec_b64 s[6:7], vcc
	s_xor_b64 s[6:7], exec, s[6:7]
	s_cbranch_execnz .LBB38_3413
; %bb.1365:
	s_or_saveexec_b64 s[6:7], s[6:7]
	v_mov_b32_e32 v14, s10
	s_xor_b64 exec, exec, s[6:7]
	s_cbranch_execnz .LBB38_3416
.LBB38_1366:
	s_or_b64 exec, exec, s[6:7]
	s_and_saveexec_b64 s[6:7], s[4:5]
	s_cbranch_execz .LBB38_1368
.LBB38_1367:
	v_bfe_u32 v11, v12, 16, 3
	v_ffbh_u32_e32 v20, v11
	v_min_u32_e32 v20, 32, v20
	v_lshrrev_b32_e32 v14, 19, v12
	v_subrev_u32_e32 v21, 28, v20
	v_and_b32_e32 v14, 15, v14
	v_lshlrev_b32_sdwa v21, v21, v12 dst_sel:DWORD dst_unused:UNUSED_PAD src0_sel:DWORD src1_sel:WORD_1
	v_bfe_u32 v15, v12, 19, 4
	v_sub_u32_e32 v20, 29, v20
	v_and_b32_e32 v21, 7, v21
	v_cmp_eq_u16_e32 vcc, 0, v14
	v_cndmask_b32_e32 v11, v11, v21, vcc
	v_cndmask_b32_e32 v14, v15, v20, vcc
	v_lshlrev_b32_e32 v15, 8, v12
	v_mov_b32_e32 v20, 0x3b800000
	v_lshlrev_b32_e32 v11, 20, v11
	v_and_b32_e32 v15, 0x80000000, v15
	v_lshl_add_u32 v14, v14, 23, v20
	v_or3_b32 v14, v15, v14, v11
.LBB38_1368:
	s_or_b64 exec, exec, s[6:7]
	s_nop 0
	v_mfma_f32_16x16x4f32 a[0:3], v10, v14, a[0:3]
	s_movk_i32 s4, 0x7f
	v_cmp_gt_i16_sdwa s[6:7], v16, s4 src0_sel:BYTE_3 src1_sel:DWORD
	s_mov_b64 s[4:5], 0
                                        ; implicit-def: $sgpr10
	s_and_saveexec_b64 s[8:9], s[6:7]
	s_xor_b64 s[6:7], exec, s[8:9]
	s_cbranch_execnz .LBB38_3417
; %bb.1369:
	s_or_saveexec_b64 s[6:7], s[6:7]
	v_mov_b32_e32 v10, s10
	s_xor_b64 exec, exec, s[6:7]
	s_cbranch_execnz .LBB38_3420
.LBB38_1370:
	s_or_b64 exec, exec, s[6:7]
	s_and_saveexec_b64 s[6:7], s[4:5]
	s_cbranch_execz .LBB38_1372
.LBB38_1371:
	v_bfe_u32 v10, v16, 24, 3
	v_ffbh_u32_e32 v20, v10
	v_min_u32_e32 v20, 32, v20
	v_lshrrev_b32_e32 v14, 27, v16
	v_subrev_u32_e32 v21, 28, v20
	v_and_b32_e32 v11, 0x80000000, v16
	v_and_b32_e32 v14, 15, v14
	v_bfe_u32 v15, v16, 27, 4
	v_lshlrev_b32_sdwa v16, v21, v16 dst_sel:DWORD dst_unused:UNUSED_PAD src0_sel:DWORD src1_sel:BYTE_3
	v_sub_u32_e32 v20, 29, v20
	v_and_b32_e32 v16, 7, v16
	v_cmp_eq_u16_e32 vcc, 0, v14
	v_cndmask_b32_e32 v10, v10, v16, vcc
	v_cndmask_b32_e32 v14, v15, v20, vcc
	v_mov_b32_e32 v15, 0x3b800000
	v_lshlrev_b32_e32 v10, 20, v10
	v_lshl_add_u32 v14, v14, 23, v15
	v_or3_b32 v10, v11, v14, v10
.LBB38_1372:
	s_or_b64 exec, exec, s[6:7]
	s_movk_i32 s4, 0x7f
	v_cmp_gt_i16_sdwa s[6:7], v12, s4 src0_sel:BYTE_3 src1_sel:DWORD
	s_mov_b64 s[4:5], 0
                                        ; implicit-def: $sgpr10
	s_and_saveexec_b64 s[8:9], s[6:7]
	s_xor_b64 s[6:7], exec, s[8:9]
	s_cbranch_execnz .LBB38_3421
; %bb.1373:
	s_or_saveexec_b64 s[6:7], s[6:7]
	v_mov_b32_e32 v11, s10
	s_xor_b64 exec, exec, s[6:7]
	s_cbranch_execnz .LBB38_3424
.LBB38_1374:
	s_or_b64 exec, exec, s[6:7]
	s_and_saveexec_b64 s[6:7], s[4:5]
	s_cbranch_execz .LBB38_1376
.LBB38_1375:
	v_bfe_u32 v11, v12, 24, 3
	v_ffbh_u32_e32 v20, v11
	v_min_u32_e32 v20, 32, v20
	v_lshrrev_b32_e32 v15, 27, v12
	v_subrev_u32_e32 v21, 28, v20
	v_and_b32_e32 v14, 0x80000000, v12
	v_and_b32_e32 v15, 15, v15
	v_bfe_u32 v16, v12, 27, 4
	v_lshlrev_b32_sdwa v12, v21, v12 dst_sel:DWORD dst_unused:UNUSED_PAD src0_sel:DWORD src1_sel:BYTE_3
	v_sub_u32_e32 v20, 29, v20
	v_and_b32_e32 v12, 7, v12
	v_cmp_eq_u16_e32 vcc, 0, v15
	v_cndmask_b32_e32 v11, v11, v12, vcc
	v_cndmask_b32_e32 v12, v16, v20, vcc
	v_mov_b32_e32 v15, 0x3b800000
	v_lshlrev_b32_e32 v11, 20, v11
	v_lshl_add_u32 v12, v12, 23, v15
	v_or3_b32 v11, v14, v12, v11
.LBB38_1376:
	s_or_b64 exec, exec, s[6:7]
	s_nop 0
	v_mfma_f32_16x16x4f32 a[0:3], v10, v11, a[0:3]
	s_movk_i32 s4, 0x7f
	v_cmp_gt_i16_sdwa s[6:7], v17, s4 src0_sel:BYTE_0 src1_sel:DWORD
	s_mov_b64 s[4:5], 0
                                        ; implicit-def: $sgpr10
	s_and_saveexec_b64 s[8:9], s[6:7]
	s_xor_b64 s[6:7], exec, s[8:9]
	s_cbranch_execnz .LBB38_3425
; %bb.1377:
	s_or_saveexec_b64 s[6:7], s[6:7]
	v_mov_b32_e32 v10, s10
	s_xor_b64 exec, exec, s[6:7]
	s_cbranch_execnz .LBB38_3428
.LBB38_1378:
	s_or_b64 exec, exec, s[6:7]
	s_and_saveexec_b64 s[6:7], s[4:5]
	s_cbranch_execz .LBB38_1380
.LBB38_1379:
	v_and_b32_e32 v10, 7, v17
	v_ffbh_u32_e32 v12, v10
	v_min_u32_e32 v12, 32, v12
	v_lshrrev_b16_e32 v11, 3, v17
	v_subrev_u32_e32 v14, 28, v12
	v_and_b32_e32 v11, 15, v11
	v_lshlrev_b32_e32 v14, v14, v17
	v_sub_u32_e32 v12, 29, v12
	v_and_b32_e32 v14, 7, v14
	v_cmp_eq_u16_e32 vcc, 0, v11
	v_cndmask_b32_e32 v10, v10, v14, vcc
	v_cndmask_b32_e32 v11, v11, v12, vcc
	v_lshlrev_b32_e32 v12, 24, v17
	v_mov_b32_e32 v14, 0x3b800000
	v_lshlrev_b32_e32 v10, 20, v10
	v_and_b32_e32 v12, 0x80000000, v12
	v_lshl_add_u32 v11, v11, 23, v14
	v_or3_b32 v10, v12, v11, v10
.LBB38_1380:
	s_or_b64 exec, exec, s[6:7]
	s_movk_i32 s4, 0x7f
	v_cmp_gt_i16_sdwa s[6:7], v13, s4 src0_sel:BYTE_0 src1_sel:DWORD
	s_mov_b64 s[4:5], 0
                                        ; implicit-def: $sgpr10
	s_and_saveexec_b64 s[8:9], s[6:7]
	s_xor_b64 s[6:7], exec, s[8:9]
	s_cbranch_execnz .LBB38_3429
; %bb.1381:
	s_or_saveexec_b64 s[6:7], s[6:7]
	v_mov_b32_e32 v11, s10
	s_xor_b64 exec, exec, s[6:7]
	s_cbranch_execnz .LBB38_3432
.LBB38_1382:
	s_or_b64 exec, exec, s[6:7]
	s_and_saveexec_b64 s[6:7], s[4:5]
	s_cbranch_execz .LBB38_1384
.LBB38_1383:
	v_and_b32_e32 v11, 7, v13
	v_ffbh_u32_e32 v14, v11
	v_min_u32_e32 v14, 32, v14
	v_lshrrev_b16_e32 v12, 3, v13
	v_subrev_u32_e32 v15, 28, v14
	v_and_b32_e32 v12, 15, v12
	v_lshlrev_b32_e32 v15, v15, v13
	v_sub_u32_e32 v14, 29, v14
	v_and_b32_e32 v15, 7, v15
	v_cmp_eq_u16_e32 vcc, 0, v12
	v_cndmask_b32_e32 v11, v11, v15, vcc
	v_cndmask_b32_e32 v12, v12, v14, vcc
	v_lshlrev_b32_e32 v14, 24, v13
	v_mov_b32_e32 v15, 0x3b800000
	v_lshlrev_b32_e32 v11, 20, v11
	v_and_b32_e32 v14, 0x80000000, v14
	v_lshl_add_u32 v12, v12, 23, v15
	v_or3_b32 v11, v14, v12, v11
.LBB38_1384:
	s_or_b64 exec, exec, s[6:7]
	s_nop 0
	v_mfma_f32_16x16x4f32 a[0:3], v10, v11, a[0:3]
	v_lshrrev_b32_e32 v11, 8, v17
	s_movk_i32 s4, 0x7f
	v_cmp_gt_i16_sdwa s[6:7], v11, s4 src0_sel:BYTE_0 src1_sel:DWORD
	s_mov_b64 s[4:5], 0
                                        ; implicit-def: $sgpr10
	s_and_saveexec_b64 s[8:9], s[6:7]
	s_xor_b64 s[6:7], exec, s[8:9]
	s_cbranch_execnz .LBB38_3433
; %bb.1385:
	s_or_saveexec_b64 s[6:7], s[6:7]
	v_mov_b32_e32 v10, s10
	s_xor_b64 exec, exec, s[6:7]
	s_cbranch_execnz .LBB38_3436
.LBB38_1386:
	s_or_b64 exec, exec, s[6:7]
	s_and_saveexec_b64 s[6:7], s[4:5]
	s_cbranch_execz .LBB38_1388
.LBB38_1387:
	v_bfe_u32 v10, v17, 8, 3
	v_ffbh_u32_e32 v14, v10
	v_min_u32_e32 v14, 32, v14
	v_lshrrev_b16_e32 v12, 3, v11
	v_subrev_u32_e32 v15, 28, v14
	v_and_b32_e32 v12, 15, v12
	v_lshlrev_b32_e32 v11, v15, v11
	v_sub_u32_e32 v14, 29, v14
	v_and_b32_e32 v11, 7, v11
	v_cmp_eq_u16_e32 vcc, 0, v12
	v_cndmask_b32_e32 v10, v10, v11, vcc
	v_cndmask_b32_e32 v11, v12, v14, vcc
	v_lshlrev_b32_e32 v12, 16, v17
	v_mov_b32_e32 v14, 0x3b800000
	v_lshlrev_b32_e32 v10, 20, v10
	v_and_b32_e32 v12, 0x80000000, v12
	v_lshl_add_u32 v11, v11, 23, v14
	v_or3_b32 v10, v12, v11, v10
.LBB38_1388:
	s_or_b64 exec, exec, s[6:7]
	v_lshrrev_b32_e32 v11, 8, v13
	s_movk_i32 s4, 0x7f
	v_cmp_gt_i16_sdwa s[6:7], v11, s4 src0_sel:BYTE_0 src1_sel:DWORD
	s_mov_b64 s[4:5], 0
                                        ; implicit-def: $sgpr10
	s_and_saveexec_b64 s[8:9], s[6:7]
	s_xor_b64 s[6:7], exec, s[8:9]
	s_cbranch_execnz .LBB38_3437
; %bb.1389:
	s_or_saveexec_b64 s[6:7], s[6:7]
	v_mov_b32_e32 v12, s10
	s_xor_b64 exec, exec, s[6:7]
	s_cbranch_execnz .LBB38_3440
.LBB38_1390:
	s_or_b64 exec, exec, s[6:7]
	s_and_saveexec_b64 s[6:7], s[4:5]
	s_cbranch_execz .LBB38_1392
.LBB38_1391:
	v_bfe_u32 v12, v13, 8, 3
	v_ffbh_u32_e32 v15, v12
	v_min_u32_e32 v15, 32, v15
	v_lshrrev_b16_e32 v14, 3, v11
	v_subrev_u32_e32 v16, 28, v15
	v_and_b32_e32 v14, 15, v14
	v_lshlrev_b32_e32 v11, v16, v11
	v_sub_u32_e32 v15, 29, v15
	v_and_b32_e32 v11, 7, v11
	v_cmp_eq_u16_e32 vcc, 0, v14
	v_cndmask_b32_e32 v11, v12, v11, vcc
	v_cndmask_b32_e32 v12, v14, v15, vcc
	v_lshlrev_b32_e32 v14, 16, v13
	v_mov_b32_e32 v15, 0x3b800000
	v_lshlrev_b32_e32 v11, 20, v11
	v_and_b32_e32 v14, 0x80000000, v14
	v_lshl_add_u32 v12, v12, 23, v15
	v_or3_b32 v12, v14, v12, v11
.LBB38_1392:
	s_or_b64 exec, exec, s[6:7]
	s_nop 0
	v_mfma_f32_16x16x4f32 a[0:3], v10, v12, a[0:3]
	s_movk_i32 s4, 0xff
	v_and_b32_sdwa v11, v17, s4 dst_sel:DWORD dst_unused:UNUSED_PAD src0_sel:WORD_1 src1_sel:DWORD
	s_movk_i32 s4, 0x7f
	v_cmp_lt_i16_e32 vcc, s4, v11
	s_mov_b64 s[4:5], 0
                                        ; implicit-def: $sgpr10
	s_and_saveexec_b64 s[6:7], vcc
	s_xor_b64 s[6:7], exec, s[6:7]
	s_cbranch_execnz .LBB38_3441
; %bb.1393:
	s_or_saveexec_b64 s[6:7], s[6:7]
	v_mov_b32_e32 v10, s10
	s_xor_b64 exec, exec, s[6:7]
	s_cbranch_execnz .LBB38_3444
.LBB38_1394:
	s_or_b64 exec, exec, s[6:7]
	s_and_saveexec_b64 s[6:7], s[4:5]
	s_cbranch_execz .LBB38_1396
.LBB38_1395:
	v_bfe_u32 v10, v17, 16, 3
	v_ffbh_u32_e32 v14, v10
	v_min_u32_e32 v14, 32, v14
	v_lshrrev_b32_e32 v11, 19, v17
	v_subrev_u32_e32 v15, 28, v14
	v_and_b32_e32 v11, 15, v11
	v_lshlrev_b32_sdwa v15, v15, v17 dst_sel:DWORD dst_unused:UNUSED_PAD src0_sel:DWORD src1_sel:WORD_1
	v_bfe_u32 v12, v17, 19, 4
	v_sub_u32_e32 v14, 29, v14
	v_and_b32_e32 v15, 7, v15
	v_cmp_eq_u16_e32 vcc, 0, v11
	v_cndmask_b32_e32 v10, v10, v15, vcc
	v_cndmask_b32_e32 v11, v12, v14, vcc
	v_lshlrev_b32_e32 v12, 8, v17
	v_mov_b32_e32 v14, 0x3b800000
	v_lshlrev_b32_e32 v10, 20, v10
	v_and_b32_e32 v12, 0x80000000, v12
	v_lshl_add_u32 v11, v11, 23, v14
	v_or3_b32 v10, v12, v11, v10
.LBB38_1396:
	s_or_b64 exec, exec, s[6:7]
	s_movk_i32 s4, 0xff
	v_and_b32_sdwa v11, v13, s4 dst_sel:DWORD dst_unused:UNUSED_PAD src0_sel:WORD_1 src1_sel:DWORD
	s_movk_i32 s4, 0x7f
	v_cmp_lt_i16_e32 vcc, s4, v11
	s_mov_b64 s[4:5], 0
                                        ; implicit-def: $sgpr10
	s_and_saveexec_b64 s[6:7], vcc
	s_xor_b64 s[6:7], exec, s[6:7]
	s_cbranch_execnz .LBB38_3445
; %bb.1397:
	s_or_saveexec_b64 s[6:7], s[6:7]
	v_mov_b32_e32 v12, s10
	s_xor_b64 exec, exec, s[6:7]
	s_cbranch_execnz .LBB38_3448
.LBB38_1398:
	s_or_b64 exec, exec, s[6:7]
	s_and_saveexec_b64 s[6:7], s[4:5]
	s_cbranch_execz .LBB38_1400
.LBB38_1399:
	v_bfe_u32 v11, v13, 16, 3
	v_ffbh_u32_e32 v15, v11
	v_min_u32_e32 v15, 32, v15
	v_lshrrev_b32_e32 v12, 19, v13
	v_subrev_u32_e32 v16, 28, v15
	v_and_b32_e32 v12, 15, v12
	v_lshlrev_b32_sdwa v16, v16, v13 dst_sel:DWORD dst_unused:UNUSED_PAD src0_sel:DWORD src1_sel:WORD_1
	v_bfe_u32 v14, v13, 19, 4
	v_sub_u32_e32 v15, 29, v15
	v_and_b32_e32 v16, 7, v16
	v_cmp_eq_u16_e32 vcc, 0, v12
	v_cndmask_b32_e32 v11, v11, v16, vcc
	v_cndmask_b32_e32 v12, v14, v15, vcc
	v_lshlrev_b32_e32 v14, 8, v13
	v_mov_b32_e32 v15, 0x3b800000
	v_lshlrev_b32_e32 v11, 20, v11
	v_and_b32_e32 v14, 0x80000000, v14
	v_lshl_add_u32 v12, v12, 23, v15
	v_or3_b32 v12, v14, v12, v11
.LBB38_1400:
	s_or_b64 exec, exec, s[6:7]
	s_nop 0
	v_mfma_f32_16x16x4f32 a[0:3], v10, v12, a[0:3]
	s_movk_i32 s4, 0x7f
	v_cmp_gt_i16_sdwa s[6:7], v17, s4 src0_sel:BYTE_3 src1_sel:DWORD
	s_mov_b64 s[4:5], 0
                                        ; implicit-def: $sgpr10
	s_and_saveexec_b64 s[8:9], s[6:7]
	s_xor_b64 s[6:7], exec, s[8:9]
	s_cbranch_execnz .LBB38_3449
; %bb.1401:
	s_or_saveexec_b64 s[6:7], s[6:7]
	v_mov_b32_e32 v10, s10
	s_xor_b64 exec, exec, s[6:7]
	s_cbranch_execnz .LBB38_3452
.LBB38_1402:
	s_or_b64 exec, exec, s[6:7]
	s_and_saveexec_b64 s[6:7], s[4:5]
	s_cbranch_execz .LBB38_1404
.LBB38_1403:
	v_bfe_u32 v10, v17, 24, 3
	v_ffbh_u32_e32 v15, v10
	v_min_u32_e32 v15, 32, v15
	v_lshrrev_b32_e32 v12, 27, v17
	v_subrev_u32_e32 v16, 28, v15
	v_and_b32_e32 v12, 15, v12
	v_lshlrev_b32_sdwa v16, v16, v17 dst_sel:DWORD dst_unused:UNUSED_PAD src0_sel:DWORD src1_sel:BYTE_3
	v_bfe_u32 v14, v17, 27, 4
	v_sub_u32_e32 v15, 29, v15
	v_and_b32_e32 v16, 7, v16
	v_cmp_eq_u16_e32 vcc, 0, v12
	v_cndmask_b32_e32 v10, v10, v16, vcc
	v_cndmask_b32_e32 v12, v14, v15, vcc
	v_mov_b32_e32 v14, 0x3b800000
	v_and_b32_e32 v11, 0x80000000, v17
	v_lshlrev_b32_e32 v10, 20, v10
	v_lshl_add_u32 v12, v12, 23, v14
	v_or3_b32 v10, v11, v12, v10
.LBB38_1404:
	s_or_b64 exec, exec, s[6:7]
	s_movk_i32 s4, 0x7f
	v_cmp_gt_i16_sdwa s[6:7], v13, s4 src0_sel:BYTE_3 src1_sel:DWORD
	s_mov_b64 s[4:5], 0
                                        ; implicit-def: $sgpr10
	s_and_saveexec_b64 s[8:9], s[6:7]
	s_xor_b64 s[6:7], exec, s[8:9]
	s_cbranch_execnz .LBB38_3453
; %bb.1405:
	s_or_saveexec_b64 s[6:7], s[6:7]
	v_mov_b32_e32 v11, s10
	s_xor_b64 exec, exec, s[6:7]
	s_cbranch_execnz .LBB38_3456
.LBB38_1406:
	s_or_b64 exec, exec, s[6:7]
	s_and_saveexec_b64 s[6:7], s[4:5]
	s_cbranch_execz .LBB38_1408
.LBB38_1407:
	v_bfe_u32 v11, v13, 24, 3
	v_ffbh_u32_e32 v16, v11
	v_min_u32_e32 v16, 32, v16
	v_lshrrev_b32_e32 v14, 27, v13
	v_subrev_u32_e32 v17, 28, v16
	v_and_b32_e32 v12, 0x80000000, v13
	v_and_b32_e32 v14, 15, v14
	v_bfe_u32 v15, v13, 27, 4
	v_lshlrev_b32_sdwa v13, v17, v13 dst_sel:DWORD dst_unused:UNUSED_PAD src0_sel:DWORD src1_sel:BYTE_3
	v_sub_u32_e32 v16, 29, v16
	v_and_b32_e32 v13, 7, v13
	v_cmp_eq_u16_e32 vcc, 0, v14
	v_cndmask_b32_e32 v11, v11, v13, vcc
	v_cndmask_b32_e32 v13, v15, v16, vcc
	v_mov_b32_e32 v14, 0x3b800000
	v_lshlrev_b32_e32 v11, 20, v11
	v_lshl_add_u32 v13, v13, 23, v14
	v_or3_b32 v11, v12, v13, v11
.LBB38_1408:
	s_or_b64 exec, exec, s[6:7]
	s_nop 0
	v_mfma_f32_16x16x4f32 a[0:3], v10, v11, a[0:3]
	s_movk_i32 s4, 0x7f
	v_cmp_gt_i16_sdwa s[6:7], v6, s4 src0_sel:BYTE_0 src1_sel:DWORD
	s_mov_b64 s[4:5], 0
                                        ; implicit-def: $sgpr10
	s_and_saveexec_b64 s[8:9], s[6:7]
	s_xor_b64 s[6:7], exec, s[8:9]
	s_cbranch_execnz .LBB38_3457
; %bb.1409:
	s_or_saveexec_b64 s[6:7], s[6:7]
	v_mov_b32_e32 v10, s10
	s_xor_b64 exec, exec, s[6:7]
	s_cbranch_execnz .LBB38_3460
.LBB38_1410:
	s_or_b64 exec, exec, s[6:7]
	s_and_saveexec_b64 s[6:7], s[4:5]
	s_cbranch_execz .LBB38_1412
.LBB38_1411:
	v_and_b32_e32 v10, 7, v6
	v_ffbh_u32_e32 v12, v10
	v_min_u32_e32 v12, 32, v12
	v_lshrrev_b16_e32 v11, 3, v6
	v_subrev_u32_e32 v13, 28, v12
	v_and_b32_e32 v11, 15, v11
	v_lshlrev_b32_e32 v13, v13, v6
	v_sub_u32_e32 v12, 29, v12
	v_and_b32_e32 v13, 7, v13
	v_cmp_eq_u16_e32 vcc, 0, v11
	v_cndmask_b32_e32 v10, v10, v13, vcc
	v_cndmask_b32_e32 v11, v11, v12, vcc
	v_lshlrev_b32_e32 v12, 24, v6
	v_mov_b32_e32 v13, 0x3b800000
	v_lshlrev_b32_e32 v10, 20, v10
	v_and_b32_e32 v12, 0x80000000, v12
	v_lshl_add_u32 v11, v11, 23, v13
	v_or3_b32 v10, v12, v11, v10
.LBB38_1412:
	s_or_b64 exec, exec, s[6:7]
	s_movk_i32 s4, 0x7f
	v_cmp_gt_i16_sdwa s[6:7], v2, s4 src0_sel:BYTE_0 src1_sel:DWORD
	s_mov_b64 s[4:5], 0
                                        ; implicit-def: $sgpr10
	s_and_saveexec_b64 s[8:9], s[6:7]
	s_xor_b64 s[6:7], exec, s[8:9]
	s_cbranch_execnz .LBB38_3461
; %bb.1413:
	s_or_saveexec_b64 s[6:7], s[6:7]
	v_mov_b32_e32 v11, s10
	s_xor_b64 exec, exec, s[6:7]
	s_cbranch_execnz .LBB38_3464
.LBB38_1414:
	s_or_b64 exec, exec, s[6:7]
	s_and_saveexec_b64 s[6:7], s[4:5]
	s_cbranch_execz .LBB38_1416
.LBB38_1415:
	v_and_b32_e32 v11, 7, v2
	v_ffbh_u32_e32 v13, v11
	v_min_u32_e32 v13, 32, v13
	v_lshrrev_b16_e32 v12, 3, v2
	v_subrev_u32_e32 v14, 28, v13
	v_and_b32_e32 v12, 15, v12
	v_lshlrev_b32_e32 v14, v14, v2
	v_sub_u32_e32 v13, 29, v13
	v_and_b32_e32 v14, 7, v14
	v_cmp_eq_u16_e32 vcc, 0, v12
	v_cndmask_b32_e32 v11, v11, v14, vcc
	v_cndmask_b32_e32 v12, v12, v13, vcc
	v_lshlrev_b32_e32 v13, 24, v2
	v_mov_b32_e32 v14, 0x3b800000
	v_lshlrev_b32_e32 v11, 20, v11
	v_and_b32_e32 v13, 0x80000000, v13
	v_lshl_add_u32 v12, v12, 23, v14
	v_or3_b32 v11, v13, v12, v11
.LBB38_1416:
	s_or_b64 exec, exec, s[6:7]
	s_nop 0
	v_mfma_f32_16x16x4f32 a[0:3], v10, v11, a[0:3]
	v_lshrrev_b32_e32 v11, 8, v6
	s_movk_i32 s4, 0x7f
	v_cmp_gt_i16_sdwa s[6:7], v11, s4 src0_sel:BYTE_0 src1_sel:DWORD
	s_mov_b64 s[4:5], 0
                                        ; implicit-def: $sgpr10
	s_and_saveexec_b64 s[8:9], s[6:7]
	s_xor_b64 s[6:7], exec, s[8:9]
	s_cbranch_execnz .LBB38_3465
; %bb.1417:
	s_or_saveexec_b64 s[6:7], s[6:7]
	v_mov_b32_e32 v10, s10
	s_xor_b64 exec, exec, s[6:7]
	s_cbranch_execnz .LBB38_3468
.LBB38_1418:
	s_or_b64 exec, exec, s[6:7]
	s_and_saveexec_b64 s[6:7], s[4:5]
	s_cbranch_execz .LBB38_1420
.LBB38_1419:
	v_bfe_u32 v10, v6, 8, 3
	v_ffbh_u32_e32 v13, v10
	v_min_u32_e32 v13, 32, v13
	v_lshrrev_b16_e32 v12, 3, v11
	v_subrev_u32_e32 v14, 28, v13
	v_and_b32_e32 v12, 15, v12
	v_lshlrev_b32_e32 v11, v14, v11
	v_sub_u32_e32 v13, 29, v13
	v_and_b32_e32 v11, 7, v11
	v_cmp_eq_u16_e32 vcc, 0, v12
	v_cndmask_b32_e32 v10, v10, v11, vcc
	v_cndmask_b32_e32 v11, v12, v13, vcc
	v_lshlrev_b32_e32 v12, 16, v6
	v_mov_b32_e32 v13, 0x3b800000
	v_lshlrev_b32_e32 v10, 20, v10
	v_and_b32_e32 v12, 0x80000000, v12
	v_lshl_add_u32 v11, v11, 23, v13
	v_or3_b32 v10, v12, v11, v10
.LBB38_1420:
	s_or_b64 exec, exec, s[6:7]
	v_lshrrev_b32_e32 v11, 8, v2
	s_movk_i32 s4, 0x7f
	v_cmp_gt_i16_sdwa s[6:7], v11, s4 src0_sel:BYTE_0 src1_sel:DWORD
	s_mov_b64 s[4:5], 0
                                        ; implicit-def: $sgpr10
	s_and_saveexec_b64 s[8:9], s[6:7]
	s_xor_b64 s[6:7], exec, s[8:9]
	s_cbranch_execnz .LBB38_3469
; %bb.1421:
	s_or_saveexec_b64 s[6:7], s[6:7]
	v_mov_b32_e32 v12, s10
	s_xor_b64 exec, exec, s[6:7]
	s_cbranch_execnz .LBB38_3472
.LBB38_1422:
	s_or_b64 exec, exec, s[6:7]
	s_and_saveexec_b64 s[6:7], s[4:5]
	s_cbranch_execz .LBB38_1424
.LBB38_1423:
	v_bfe_u32 v12, v2, 8, 3
	v_ffbh_u32_e32 v14, v12
	v_min_u32_e32 v14, 32, v14
	v_lshrrev_b16_e32 v13, 3, v11
	v_subrev_u32_e32 v15, 28, v14
	v_and_b32_e32 v13, 15, v13
	v_lshlrev_b32_e32 v11, v15, v11
	v_sub_u32_e32 v14, 29, v14
	v_and_b32_e32 v11, 7, v11
	v_cmp_eq_u16_e32 vcc, 0, v13
	v_cndmask_b32_e32 v11, v12, v11, vcc
	v_cndmask_b32_e32 v12, v13, v14, vcc
	v_lshlrev_b32_e32 v13, 16, v2
	v_mov_b32_e32 v14, 0x3b800000
	v_lshlrev_b32_e32 v11, 20, v11
	v_and_b32_e32 v13, 0x80000000, v13
	v_lshl_add_u32 v12, v12, 23, v14
	v_or3_b32 v12, v13, v12, v11
.LBB38_1424:
	s_or_b64 exec, exec, s[6:7]
	s_nop 0
	v_mfma_f32_16x16x4f32 a[0:3], v10, v12, a[0:3]
	s_movk_i32 s4, 0xff
	v_and_b32_sdwa v11, v6, s4 dst_sel:DWORD dst_unused:UNUSED_PAD src0_sel:WORD_1 src1_sel:DWORD
	s_movk_i32 s4, 0x7f
	v_cmp_lt_i16_e32 vcc, s4, v11
	s_mov_b64 s[4:5], 0
                                        ; implicit-def: $sgpr10
	s_and_saveexec_b64 s[6:7], vcc
	s_xor_b64 s[6:7], exec, s[6:7]
	s_cbranch_execnz .LBB38_3473
; %bb.1425:
	s_or_saveexec_b64 s[6:7], s[6:7]
	v_mov_b32_e32 v10, s10
	s_xor_b64 exec, exec, s[6:7]
	s_cbranch_execnz .LBB38_3476
.LBB38_1426:
	s_or_b64 exec, exec, s[6:7]
	s_and_saveexec_b64 s[6:7], s[4:5]
	s_cbranch_execz .LBB38_1428
.LBB38_1427:
	v_bfe_u32 v10, v6, 16, 3
	v_ffbh_u32_e32 v13, v10
	v_min_u32_e32 v13, 32, v13
	v_lshrrev_b32_e32 v11, 19, v6
	v_subrev_u32_e32 v14, 28, v13
	v_and_b32_e32 v11, 15, v11
	v_lshlrev_b32_sdwa v14, v14, v6 dst_sel:DWORD dst_unused:UNUSED_PAD src0_sel:DWORD src1_sel:WORD_1
	v_bfe_u32 v12, v6, 19, 4
	v_sub_u32_e32 v13, 29, v13
	v_and_b32_e32 v14, 7, v14
	v_cmp_eq_u16_e32 vcc, 0, v11
	v_cndmask_b32_e32 v10, v10, v14, vcc
	v_cndmask_b32_e32 v11, v12, v13, vcc
	v_lshlrev_b32_e32 v12, 8, v6
	v_mov_b32_e32 v13, 0x3b800000
	v_lshlrev_b32_e32 v10, 20, v10
	v_and_b32_e32 v12, 0x80000000, v12
	v_lshl_add_u32 v11, v11, 23, v13
	v_or3_b32 v10, v12, v11, v10
.LBB38_1428:
	s_or_b64 exec, exec, s[6:7]
	s_movk_i32 s4, 0xff
	v_and_b32_sdwa v11, v2, s4 dst_sel:DWORD dst_unused:UNUSED_PAD src0_sel:WORD_1 src1_sel:DWORD
	s_movk_i32 s4, 0x7f
	v_cmp_lt_i16_e32 vcc, s4, v11
	s_mov_b64 s[4:5], 0
                                        ; implicit-def: $sgpr10
	s_and_saveexec_b64 s[6:7], vcc
	s_xor_b64 s[6:7], exec, s[6:7]
	s_cbranch_execnz .LBB38_3477
; %bb.1429:
	s_or_saveexec_b64 s[6:7], s[6:7]
	v_mov_b32_e32 v12, s10
	s_xor_b64 exec, exec, s[6:7]
	s_cbranch_execnz .LBB38_3480
.LBB38_1430:
	s_or_b64 exec, exec, s[6:7]
	s_and_saveexec_b64 s[6:7], s[4:5]
	s_cbranch_execz .LBB38_1432
.LBB38_1431:
	v_bfe_u32 v11, v2, 16, 3
	v_ffbh_u32_e32 v14, v11
	v_min_u32_e32 v14, 32, v14
	v_lshrrev_b32_e32 v12, 19, v2
	v_subrev_u32_e32 v15, 28, v14
	v_and_b32_e32 v12, 15, v12
	v_lshlrev_b32_sdwa v15, v15, v2 dst_sel:DWORD dst_unused:UNUSED_PAD src0_sel:DWORD src1_sel:WORD_1
	v_bfe_u32 v13, v2, 19, 4
	v_sub_u32_e32 v14, 29, v14
	v_and_b32_e32 v15, 7, v15
	v_cmp_eq_u16_e32 vcc, 0, v12
	v_cndmask_b32_e32 v11, v11, v15, vcc
	v_cndmask_b32_e32 v12, v13, v14, vcc
	v_lshlrev_b32_e32 v13, 8, v2
	v_mov_b32_e32 v14, 0x3b800000
	v_lshlrev_b32_e32 v11, 20, v11
	v_and_b32_e32 v13, 0x80000000, v13
	v_lshl_add_u32 v12, v12, 23, v14
	v_or3_b32 v12, v13, v12, v11
.LBB38_1432:
	s_or_b64 exec, exec, s[6:7]
	s_nop 0
	v_mfma_f32_16x16x4f32 a[0:3], v10, v12, a[0:3]
	s_movk_i32 s4, 0x7f
	v_cmp_gt_i16_sdwa s[6:7], v6, s4 src0_sel:BYTE_3 src1_sel:DWORD
	s_mov_b64 s[4:5], 0
                                        ; implicit-def: $sgpr10
	s_and_saveexec_b64 s[8:9], s[6:7]
	s_xor_b64 s[6:7], exec, s[8:9]
	s_cbranch_execnz .LBB38_3481
; %bb.1433:
	s_or_saveexec_b64 s[6:7], s[6:7]
	v_mov_b32_e32 v10, s10
	s_xor_b64 exec, exec, s[6:7]
	s_cbranch_execnz .LBB38_3484
.LBB38_1434:
	s_or_b64 exec, exec, s[6:7]
	s_and_saveexec_b64 s[6:7], s[4:5]
	s_cbranch_execz .LBB38_1436
.LBB38_1435:
	v_bfe_u32 v10, v6, 24, 3
	v_ffbh_u32_e32 v14, v10
	v_min_u32_e32 v14, 32, v14
	v_lshrrev_b32_e32 v12, 27, v6
	v_subrev_u32_e32 v15, 28, v14
	v_and_b32_e32 v11, 0x80000000, v6
	v_and_b32_e32 v12, 15, v12
	v_bfe_u32 v13, v6, 27, 4
	v_lshlrev_b32_sdwa v6, v15, v6 dst_sel:DWORD dst_unused:UNUSED_PAD src0_sel:DWORD src1_sel:BYTE_3
	v_sub_u32_e32 v14, 29, v14
	v_and_b32_e32 v6, 7, v6
	v_cmp_eq_u16_e32 vcc, 0, v12
	v_cndmask_b32_e32 v6, v10, v6, vcc
	v_cndmask_b32_e32 v10, v13, v14, vcc
	v_mov_b32_e32 v12, 0x3b800000
	v_lshlrev_b32_e32 v6, 20, v6
	v_lshl_add_u32 v10, v10, 23, v12
	v_or3_b32 v10, v11, v10, v6
.LBB38_1436:
	s_or_b64 exec, exec, s[6:7]
	s_movk_i32 s4, 0x7f
	v_cmp_gt_i16_sdwa s[6:7], v2, s4 src0_sel:BYTE_3 src1_sel:DWORD
	s_mov_b64 s[4:5], 0
                                        ; implicit-def: $sgpr10
	s_and_saveexec_b64 s[8:9], s[6:7]
	s_xor_b64 s[6:7], exec, s[8:9]
	s_cbranch_execnz .LBB38_3485
; %bb.1437:
	s_or_saveexec_b64 s[6:7], s[6:7]
	v_mov_b32_e32 v6, s10
	s_xor_b64 exec, exec, s[6:7]
	s_cbranch_execnz .LBB38_3488
.LBB38_1438:
	s_or_b64 exec, exec, s[6:7]
	s_and_saveexec_b64 s[6:7], s[4:5]
	s_cbranch_execz .LBB38_1440
.LBB38_1439:
	v_bfe_u32 v6, v2, 24, 3
	v_ffbh_u32_e32 v14, v6
	v_min_u32_e32 v14, 32, v14
	v_lshrrev_b32_e32 v12, 27, v2
	v_subrev_u32_e32 v15, 28, v14
	v_and_b32_e32 v11, 0x80000000, v2
	v_and_b32_e32 v12, 15, v12
	v_bfe_u32 v13, v2, 27, 4
	v_lshlrev_b32_sdwa v2, v15, v2 dst_sel:DWORD dst_unused:UNUSED_PAD src0_sel:DWORD src1_sel:BYTE_3
	v_sub_u32_e32 v14, 29, v14
	v_and_b32_e32 v2, 7, v2
	v_cmp_eq_u16_e32 vcc, 0, v12
	v_cndmask_b32_e32 v2, v6, v2, vcc
	v_cndmask_b32_e32 v6, v13, v14, vcc
	v_mov_b32_e32 v12, 0x3b800000
	v_lshlrev_b32_e32 v2, 20, v2
	v_lshl_add_u32 v6, v6, 23, v12
	v_or3_b32 v6, v11, v6, v2
.LBB38_1440:
	s_or_b64 exec, exec, s[6:7]
	s_nop 0
	v_mfma_f32_16x16x4f32 a[0:3], v10, v6, a[0:3]
	s_movk_i32 s4, 0x7f
	v_cmp_gt_i16_sdwa s[6:7], v7, s4 src0_sel:BYTE_0 src1_sel:DWORD
	s_mov_b64 s[4:5], 0
                                        ; implicit-def: $sgpr10
	s_and_saveexec_b64 s[8:9], s[6:7]
	s_xor_b64 s[6:7], exec, s[8:9]
	s_cbranch_execnz .LBB38_3489
; %bb.1441:
	s_or_saveexec_b64 s[6:7], s[6:7]
	v_mov_b32_e32 v2, s10
	s_xor_b64 exec, exec, s[6:7]
	s_cbranch_execnz .LBB38_3492
.LBB38_1442:
	s_or_b64 exec, exec, s[6:7]
	s_and_saveexec_b64 s[6:7], s[4:5]
	s_cbranch_execz .LBB38_1444
.LBB38_1443:
	v_and_b32_e32 v2, 7, v7
	v_ffbh_u32_e32 v10, v2
	v_min_u32_e32 v10, 32, v10
	v_lshrrev_b16_e32 v6, 3, v7
	v_subrev_u32_e32 v11, 28, v10
	v_and_b32_e32 v6, 15, v6
	v_lshlrev_b32_e32 v11, v11, v7
	v_sub_u32_e32 v10, 29, v10
	v_and_b32_e32 v11, 7, v11
	v_cmp_eq_u16_e32 vcc, 0, v6
	v_cndmask_b32_e32 v2, v2, v11, vcc
	v_cndmask_b32_e32 v6, v6, v10, vcc
	v_lshlrev_b32_e32 v10, 24, v7
	v_mov_b32_e32 v11, 0x3b800000
	v_lshlrev_b32_e32 v2, 20, v2
	v_and_b32_e32 v10, 0x80000000, v10
	v_lshl_add_u32 v6, v6, 23, v11
	v_or3_b32 v2, v10, v6, v2
.LBB38_1444:
	s_or_b64 exec, exec, s[6:7]
	s_movk_i32 s4, 0x7f
	v_cmp_gt_i16_sdwa s[6:7], v3, s4 src0_sel:BYTE_0 src1_sel:DWORD
	s_mov_b64 s[4:5], 0
                                        ; implicit-def: $sgpr10
	s_and_saveexec_b64 s[8:9], s[6:7]
	s_xor_b64 s[6:7], exec, s[8:9]
	s_cbranch_execnz .LBB38_3493
; %bb.1445:
	s_or_saveexec_b64 s[6:7], s[6:7]
	v_mov_b32_e32 v6, s10
	s_xor_b64 exec, exec, s[6:7]
	s_cbranch_execnz .LBB38_3496
.LBB38_1446:
	s_or_b64 exec, exec, s[6:7]
	s_and_saveexec_b64 s[6:7], s[4:5]
	s_cbranch_execz .LBB38_1448
.LBB38_1447:
	v_and_b32_e32 v6, 7, v3
	v_ffbh_u32_e32 v11, v6
	v_min_u32_e32 v11, 32, v11
	v_lshrrev_b16_e32 v10, 3, v3
	v_subrev_u32_e32 v12, 28, v11
	v_and_b32_e32 v10, 15, v10
	v_lshlrev_b32_e32 v12, v12, v3
	v_sub_u32_e32 v11, 29, v11
	v_and_b32_e32 v12, 7, v12
	v_cmp_eq_u16_e32 vcc, 0, v10
	v_cndmask_b32_e32 v6, v6, v12, vcc
	v_cndmask_b32_e32 v10, v10, v11, vcc
	v_lshlrev_b32_e32 v11, 24, v3
	v_mov_b32_e32 v12, 0x3b800000
	v_lshlrev_b32_e32 v6, 20, v6
	v_and_b32_e32 v11, 0x80000000, v11
	v_lshl_add_u32 v10, v10, 23, v12
	v_or3_b32 v6, v11, v10, v6
.LBB38_1448:
	s_or_b64 exec, exec, s[6:7]
	s_nop 0
	v_mfma_f32_16x16x4f32 a[0:3], v2, v6, a[0:3]
	v_lshrrev_b32_e32 v6, 8, v7
	s_movk_i32 s4, 0x7f
	v_cmp_gt_i16_sdwa s[6:7], v6, s4 src0_sel:BYTE_0 src1_sel:DWORD
	s_mov_b64 s[4:5], 0
                                        ; implicit-def: $sgpr10
	s_and_saveexec_b64 s[8:9], s[6:7]
	s_xor_b64 s[6:7], exec, s[8:9]
	s_cbranch_execnz .LBB38_3497
; %bb.1449:
	s_or_saveexec_b64 s[6:7], s[6:7]
	v_mov_b32_e32 v2, s10
	s_xor_b64 exec, exec, s[6:7]
	s_cbranch_execnz .LBB38_3500
.LBB38_1450:
	s_or_b64 exec, exec, s[6:7]
	s_and_saveexec_b64 s[6:7], s[4:5]
	s_cbranch_execz .LBB38_1452
.LBB38_1451:
	v_bfe_u32 v2, v7, 8, 3
	v_ffbh_u32_e32 v11, v2
	v_min_u32_e32 v11, 32, v11
	v_lshrrev_b16_e32 v10, 3, v6
	v_subrev_u32_e32 v12, 28, v11
	v_and_b32_e32 v10, 15, v10
	v_lshlrev_b32_e32 v6, v12, v6
	v_sub_u32_e32 v11, 29, v11
	v_and_b32_e32 v6, 7, v6
	v_cmp_eq_u16_e32 vcc, 0, v10
	v_cndmask_b32_e32 v2, v2, v6, vcc
	v_cndmask_b32_e32 v6, v10, v11, vcc
	v_lshlrev_b32_e32 v10, 16, v7
	v_mov_b32_e32 v11, 0x3b800000
	v_lshlrev_b32_e32 v2, 20, v2
	v_and_b32_e32 v10, 0x80000000, v10
	v_lshl_add_u32 v6, v6, 23, v11
	v_or3_b32 v2, v10, v6, v2
.LBB38_1452:
	s_or_b64 exec, exec, s[6:7]
	v_lshrrev_b32_e32 v6, 8, v3
	s_movk_i32 s4, 0x7f
	v_cmp_gt_i16_sdwa s[6:7], v6, s4 src0_sel:BYTE_0 src1_sel:DWORD
	s_mov_b64 s[4:5], 0
                                        ; implicit-def: $sgpr10
	s_and_saveexec_b64 s[8:9], s[6:7]
	s_xor_b64 s[6:7], exec, s[8:9]
	s_cbranch_execnz .LBB38_3501
; %bb.1453:
	s_or_saveexec_b64 s[6:7], s[6:7]
	v_mov_b32_e32 v10, s10
	s_xor_b64 exec, exec, s[6:7]
	s_cbranch_execnz .LBB38_3504
.LBB38_1454:
	s_or_b64 exec, exec, s[6:7]
	s_and_saveexec_b64 s[6:7], s[4:5]
	s_cbranch_execz .LBB38_1456
.LBB38_1455:
	v_bfe_u32 v10, v3, 8, 3
	v_ffbh_u32_e32 v12, v10
	v_min_u32_e32 v12, 32, v12
	v_lshrrev_b16_e32 v11, 3, v6
	v_subrev_u32_e32 v13, 28, v12
	v_and_b32_e32 v11, 15, v11
	v_lshlrev_b32_e32 v6, v13, v6
	v_sub_u32_e32 v12, 29, v12
	v_and_b32_e32 v6, 7, v6
	v_cmp_eq_u16_e32 vcc, 0, v11
	v_cndmask_b32_e32 v6, v10, v6, vcc
	v_cndmask_b32_e32 v10, v11, v12, vcc
	v_lshlrev_b32_e32 v11, 16, v3
	v_mov_b32_e32 v12, 0x3b800000
	v_lshlrev_b32_e32 v6, 20, v6
	v_and_b32_e32 v11, 0x80000000, v11
	v_lshl_add_u32 v10, v10, 23, v12
	v_or3_b32 v10, v11, v10, v6
.LBB38_1456:
	s_or_b64 exec, exec, s[6:7]
	s_nop 0
	v_mfma_f32_16x16x4f32 a[0:3], v2, v10, a[0:3]
	s_movk_i32 s4, 0xff
	v_and_b32_sdwa v6, v7, s4 dst_sel:DWORD dst_unused:UNUSED_PAD src0_sel:WORD_1 src1_sel:DWORD
	s_movk_i32 s4, 0x7f
	v_cmp_lt_i16_e32 vcc, s4, v6
	s_mov_b64 s[4:5], 0
                                        ; implicit-def: $sgpr10
	s_and_saveexec_b64 s[6:7], vcc
	s_xor_b64 s[6:7], exec, s[6:7]
	s_cbranch_execnz .LBB38_3505
; %bb.1457:
	s_or_saveexec_b64 s[6:7], s[6:7]
	v_mov_b32_e32 v2, s10
	s_xor_b64 exec, exec, s[6:7]
	s_cbranch_execnz .LBB38_3508
.LBB38_1458:
	s_or_b64 exec, exec, s[6:7]
	s_and_saveexec_b64 s[6:7], s[4:5]
	s_cbranch_execz .LBB38_1460
.LBB38_1459:
	v_bfe_u32 v2, v7, 16, 3
	v_ffbh_u32_e32 v11, v2
	v_min_u32_e32 v11, 32, v11
	v_lshrrev_b32_e32 v6, 19, v7
	v_subrev_u32_e32 v12, 28, v11
	v_and_b32_e32 v6, 15, v6
	v_lshlrev_b32_sdwa v12, v12, v7 dst_sel:DWORD dst_unused:UNUSED_PAD src0_sel:DWORD src1_sel:WORD_1
	v_bfe_u32 v10, v7, 19, 4
	v_sub_u32_e32 v11, 29, v11
	v_and_b32_e32 v12, 7, v12
	v_cmp_eq_u16_e32 vcc, 0, v6
	v_cndmask_b32_e32 v2, v2, v12, vcc
	v_cndmask_b32_e32 v6, v10, v11, vcc
	v_lshlrev_b32_e32 v10, 8, v7
	v_mov_b32_e32 v11, 0x3b800000
	v_lshlrev_b32_e32 v2, 20, v2
	v_and_b32_e32 v10, 0x80000000, v10
	v_lshl_add_u32 v6, v6, 23, v11
	v_or3_b32 v2, v10, v6, v2
.LBB38_1460:
	s_or_b64 exec, exec, s[6:7]
	s_movk_i32 s4, 0xff
	v_and_b32_sdwa v6, v3, s4 dst_sel:DWORD dst_unused:UNUSED_PAD src0_sel:WORD_1 src1_sel:DWORD
	s_movk_i32 s4, 0x7f
	v_cmp_lt_i16_e32 vcc, s4, v6
	s_mov_b64 s[4:5], 0
                                        ; implicit-def: $sgpr10
	s_and_saveexec_b64 s[6:7], vcc
	s_xor_b64 s[6:7], exec, s[6:7]
	s_cbranch_execnz .LBB38_3509
; %bb.1461:
	s_or_saveexec_b64 s[6:7], s[6:7]
	v_mov_b32_e32 v10, s10
	s_xor_b64 exec, exec, s[6:7]
	s_cbranch_execnz .LBB38_3512
.LBB38_1462:
	s_or_b64 exec, exec, s[6:7]
	s_and_saveexec_b64 s[6:7], s[4:5]
	s_cbranch_execz .LBB38_1464
.LBB38_1463:
	v_bfe_u32 v6, v3, 16, 3
	v_ffbh_u32_e32 v12, v6
	v_min_u32_e32 v12, 32, v12
	v_lshrrev_b32_e32 v10, 19, v3
	v_subrev_u32_e32 v13, 28, v12
	v_and_b32_e32 v10, 15, v10
	v_lshlrev_b32_sdwa v13, v13, v3 dst_sel:DWORD dst_unused:UNUSED_PAD src0_sel:DWORD src1_sel:WORD_1
	v_bfe_u32 v11, v3, 19, 4
	v_sub_u32_e32 v12, 29, v12
	v_and_b32_e32 v13, 7, v13
	v_cmp_eq_u16_e32 vcc, 0, v10
	v_cndmask_b32_e32 v6, v6, v13, vcc
	v_cndmask_b32_e32 v10, v11, v12, vcc
	v_lshlrev_b32_e32 v11, 8, v3
	v_mov_b32_e32 v12, 0x3b800000
	v_lshlrev_b32_e32 v6, 20, v6
	v_and_b32_e32 v11, 0x80000000, v11
	v_lshl_add_u32 v10, v10, 23, v12
	v_or3_b32 v10, v11, v10, v6
.LBB38_1464:
	s_or_b64 exec, exec, s[6:7]
	s_nop 0
	v_mfma_f32_16x16x4f32 a[0:3], v2, v10, a[0:3]
	s_movk_i32 s4, 0x7f
	v_cmp_gt_i16_sdwa s[6:7], v7, s4 src0_sel:BYTE_3 src1_sel:DWORD
	s_mov_b64 s[4:5], 0
                                        ; implicit-def: $sgpr10
	s_and_saveexec_b64 s[8:9], s[6:7]
	s_xor_b64 s[6:7], exec, s[8:9]
	s_cbranch_execnz .LBB38_3513
; %bb.1465:
	s_or_saveexec_b64 s[6:7], s[6:7]
	v_mov_b32_e32 v2, s10
	s_xor_b64 exec, exec, s[6:7]
	s_cbranch_execnz .LBB38_3516
.LBB38_1466:
	s_or_b64 exec, exec, s[6:7]
	s_and_saveexec_b64 s[6:7], s[4:5]
	s_cbranch_execz .LBB38_1468
.LBB38_1467:
	v_bfe_u32 v2, v7, 24, 3
	v_ffbh_u32_e32 v12, v2
	v_min_u32_e32 v12, 32, v12
	v_lshrrev_b32_e32 v10, 27, v7
	v_subrev_u32_e32 v13, 28, v12
	v_and_b32_e32 v6, 0x80000000, v7
	v_and_b32_e32 v10, 15, v10
	v_bfe_u32 v11, v7, 27, 4
	v_lshlrev_b32_sdwa v7, v13, v7 dst_sel:DWORD dst_unused:UNUSED_PAD src0_sel:DWORD src1_sel:BYTE_3
	v_sub_u32_e32 v12, 29, v12
	v_and_b32_e32 v7, 7, v7
	v_cmp_eq_u16_e32 vcc, 0, v10
	v_cndmask_b32_e32 v2, v2, v7, vcc
	v_cndmask_b32_e32 v7, v11, v12, vcc
	v_mov_b32_e32 v10, 0x3b800000
	v_lshlrev_b32_e32 v2, 20, v2
	v_lshl_add_u32 v7, v7, 23, v10
	v_or3_b32 v2, v6, v7, v2
.LBB38_1468:
	s_or_b64 exec, exec, s[6:7]
	s_movk_i32 s4, 0x7f
	v_cmp_gt_i16_sdwa s[6:7], v3, s4 src0_sel:BYTE_3 src1_sel:DWORD
	s_mov_b64 s[4:5], 0
                                        ; implicit-def: $sgpr10
	s_and_saveexec_b64 s[8:9], s[6:7]
	s_xor_b64 s[6:7], exec, s[8:9]
	s_cbranch_execnz .LBB38_3517
; %bb.1469:
	s_or_saveexec_b64 s[6:7], s[6:7]
	v_mov_b32_e32 v6, s10
	s_xor_b64 exec, exec, s[6:7]
	s_cbranch_execnz .LBB38_3520
.LBB38_1470:
	s_or_b64 exec, exec, s[6:7]
	s_and_saveexec_b64 s[6:7], s[4:5]
	s_cbranch_execz .LBB38_1472
.LBB38_1471:
	v_bfe_u32 v6, v3, 24, 3
	v_ffbh_u32_e32 v12, v6
	v_min_u32_e32 v12, 32, v12
	v_lshrrev_b32_e32 v10, 27, v3
	v_subrev_u32_e32 v13, 28, v12
	v_and_b32_e32 v7, 0x80000000, v3
	v_and_b32_e32 v10, 15, v10
	v_bfe_u32 v11, v3, 27, 4
	v_lshlrev_b32_sdwa v3, v13, v3 dst_sel:DWORD dst_unused:UNUSED_PAD src0_sel:DWORD src1_sel:BYTE_3
	v_sub_u32_e32 v12, 29, v12
	v_and_b32_e32 v3, 7, v3
	v_cmp_eq_u16_e32 vcc, 0, v10
	v_cndmask_b32_e32 v3, v6, v3, vcc
	v_cndmask_b32_e32 v6, v11, v12, vcc
	v_mov_b32_e32 v10, 0x3b800000
	v_lshlrev_b32_e32 v3, 20, v3
	v_lshl_add_u32 v6, v6, 23, v10
	v_or3_b32 v6, v7, v6, v3
.LBB38_1472:
	s_or_b64 exec, exec, s[6:7]
	s_nop 0
	v_mfma_f32_16x16x4f32 a[0:3], v2, v6, a[0:3]
	s_movk_i32 s4, 0x7f
	v_cmp_gt_i16_sdwa s[6:7], v8, s4 src0_sel:BYTE_0 src1_sel:DWORD
	s_mov_b64 s[4:5], 0
                                        ; implicit-def: $sgpr10
	s_and_saveexec_b64 s[8:9], s[6:7]
	s_xor_b64 s[6:7], exec, s[8:9]
	s_cbranch_execnz .LBB38_3521
; %bb.1473:
	s_or_saveexec_b64 s[6:7], s[6:7]
	v_mov_b32_e32 v2, s10
	s_xor_b64 exec, exec, s[6:7]
	s_cbranch_execnz .LBB38_3524
.LBB38_1474:
	s_or_b64 exec, exec, s[6:7]
	s_and_saveexec_b64 s[6:7], s[4:5]
	s_cbranch_execz .LBB38_1476
.LBB38_1475:
	v_and_b32_e32 v2, 7, v8
	v_ffbh_u32_e32 v6, v2
	v_min_u32_e32 v6, 32, v6
	v_lshrrev_b16_e32 v3, 3, v8
	v_subrev_u32_e32 v7, 28, v6
	v_and_b32_e32 v3, 15, v3
	v_lshlrev_b32_e32 v7, v7, v8
	v_sub_u32_e32 v6, 29, v6
	v_and_b32_e32 v7, 7, v7
	v_cmp_eq_u16_e32 vcc, 0, v3
	v_cndmask_b32_e32 v2, v2, v7, vcc
	v_cndmask_b32_e32 v3, v3, v6, vcc
	v_lshlrev_b32_e32 v6, 24, v8
	v_mov_b32_e32 v7, 0x3b800000
	v_lshlrev_b32_e32 v2, 20, v2
	v_and_b32_e32 v6, 0x80000000, v6
	v_lshl_add_u32 v3, v3, 23, v7
	v_or3_b32 v2, v6, v3, v2
.LBB38_1476:
	s_or_b64 exec, exec, s[6:7]
	s_movk_i32 s4, 0x7f
	v_cmp_gt_i16_sdwa s[6:7], v4, s4 src0_sel:BYTE_0 src1_sel:DWORD
	s_mov_b64 s[4:5], 0
                                        ; implicit-def: $sgpr10
	s_and_saveexec_b64 s[8:9], s[6:7]
	s_xor_b64 s[6:7], exec, s[8:9]
	s_cbranch_execnz .LBB38_3525
; %bb.1477:
	s_or_saveexec_b64 s[6:7], s[6:7]
	v_mov_b32_e32 v3, s10
	s_xor_b64 exec, exec, s[6:7]
	s_cbranch_execnz .LBB38_3528
.LBB38_1478:
	s_or_b64 exec, exec, s[6:7]
	s_and_saveexec_b64 s[6:7], s[4:5]
	s_cbranch_execz .LBB38_1480
.LBB38_1479:
	v_and_b32_e32 v3, 7, v4
	v_ffbh_u32_e32 v7, v3
	v_min_u32_e32 v7, 32, v7
	v_lshrrev_b16_e32 v6, 3, v4
	v_subrev_u32_e32 v10, 28, v7
	v_and_b32_e32 v6, 15, v6
	v_lshlrev_b32_e32 v10, v10, v4
	v_sub_u32_e32 v7, 29, v7
	v_and_b32_e32 v10, 7, v10
	v_cmp_eq_u16_e32 vcc, 0, v6
	v_cndmask_b32_e32 v3, v3, v10, vcc
	v_cndmask_b32_e32 v6, v6, v7, vcc
	v_lshlrev_b32_e32 v7, 24, v4
	v_mov_b32_e32 v10, 0x3b800000
	v_lshlrev_b32_e32 v3, 20, v3
	v_and_b32_e32 v7, 0x80000000, v7
	v_lshl_add_u32 v6, v6, 23, v10
	v_or3_b32 v3, v7, v6, v3
.LBB38_1480:
	s_or_b64 exec, exec, s[6:7]
	s_nop 0
	v_mfma_f32_16x16x4f32 a[0:3], v2, v3, a[0:3]
	v_lshrrev_b32_e32 v3, 8, v8
	s_movk_i32 s4, 0x7f
	v_cmp_gt_i16_sdwa s[6:7], v3, s4 src0_sel:BYTE_0 src1_sel:DWORD
	s_mov_b64 s[4:5], 0
                                        ; implicit-def: $sgpr10
	s_and_saveexec_b64 s[8:9], s[6:7]
	s_xor_b64 s[6:7], exec, s[8:9]
	s_cbranch_execnz .LBB38_3529
; %bb.1481:
	s_or_saveexec_b64 s[6:7], s[6:7]
	v_mov_b32_e32 v2, s10
	s_xor_b64 exec, exec, s[6:7]
	s_cbranch_execnz .LBB38_3532
.LBB38_1482:
	s_or_b64 exec, exec, s[6:7]
	s_and_saveexec_b64 s[6:7], s[4:5]
	s_cbranch_execz .LBB38_1484
.LBB38_1483:
	v_bfe_u32 v2, v8, 8, 3
	v_ffbh_u32_e32 v7, v2
	v_min_u32_e32 v7, 32, v7
	v_lshrrev_b16_e32 v6, 3, v3
	v_subrev_u32_e32 v10, 28, v7
	v_and_b32_e32 v6, 15, v6
	v_lshlrev_b32_e32 v3, v10, v3
	v_sub_u32_e32 v7, 29, v7
	v_and_b32_e32 v3, 7, v3
	v_cmp_eq_u16_e32 vcc, 0, v6
	v_cndmask_b32_e32 v2, v2, v3, vcc
	v_cndmask_b32_e32 v3, v6, v7, vcc
	v_lshlrev_b32_e32 v6, 16, v8
	v_mov_b32_e32 v7, 0x3b800000
	v_lshlrev_b32_e32 v2, 20, v2
	v_and_b32_e32 v6, 0x80000000, v6
	v_lshl_add_u32 v3, v3, 23, v7
	v_or3_b32 v2, v6, v3, v2
.LBB38_1484:
	s_or_b64 exec, exec, s[6:7]
	v_lshrrev_b32_e32 v3, 8, v4
	s_movk_i32 s4, 0x7f
	v_cmp_gt_i16_sdwa s[6:7], v3, s4 src0_sel:BYTE_0 src1_sel:DWORD
	s_mov_b64 s[4:5], 0
                                        ; implicit-def: $sgpr10
	s_and_saveexec_b64 s[8:9], s[6:7]
	s_xor_b64 s[6:7], exec, s[8:9]
	s_cbranch_execnz .LBB38_3533
; %bb.1485:
	s_or_saveexec_b64 s[6:7], s[6:7]
	v_mov_b32_e32 v6, s10
	s_xor_b64 exec, exec, s[6:7]
	s_cbranch_execnz .LBB38_3536
.LBB38_1486:
	s_or_b64 exec, exec, s[6:7]
	s_and_saveexec_b64 s[6:7], s[4:5]
	s_cbranch_execz .LBB38_1488
.LBB38_1487:
	v_bfe_u32 v6, v4, 8, 3
	v_ffbh_u32_e32 v10, v6
	v_min_u32_e32 v10, 32, v10
	v_lshrrev_b16_e32 v7, 3, v3
	v_subrev_u32_e32 v11, 28, v10
	v_and_b32_e32 v7, 15, v7
	v_lshlrev_b32_e32 v3, v11, v3
	v_sub_u32_e32 v10, 29, v10
	v_and_b32_e32 v3, 7, v3
	v_cmp_eq_u16_e32 vcc, 0, v7
	v_cndmask_b32_e32 v3, v6, v3, vcc
	v_cndmask_b32_e32 v6, v7, v10, vcc
	v_lshlrev_b32_e32 v7, 16, v4
	v_mov_b32_e32 v10, 0x3b800000
	v_lshlrev_b32_e32 v3, 20, v3
	v_and_b32_e32 v7, 0x80000000, v7
	v_lshl_add_u32 v6, v6, 23, v10
	v_or3_b32 v6, v7, v6, v3
.LBB38_1488:
	s_or_b64 exec, exec, s[6:7]
	s_nop 0
	v_mfma_f32_16x16x4f32 a[0:3], v2, v6, a[0:3]
	s_movk_i32 s4, 0xff
	v_and_b32_sdwa v3, v8, s4 dst_sel:DWORD dst_unused:UNUSED_PAD src0_sel:WORD_1 src1_sel:DWORD
	s_movk_i32 s4, 0x7f
	v_cmp_lt_i16_e32 vcc, s4, v3
	s_mov_b64 s[4:5], 0
                                        ; implicit-def: $sgpr10
	s_and_saveexec_b64 s[6:7], vcc
	s_xor_b64 s[6:7], exec, s[6:7]
	s_cbranch_execnz .LBB38_3537
; %bb.1489:
	s_or_saveexec_b64 s[6:7], s[6:7]
	v_mov_b32_e32 v2, s10
	s_xor_b64 exec, exec, s[6:7]
	s_cbranch_execnz .LBB38_3540
.LBB38_1490:
	s_or_b64 exec, exec, s[6:7]
	s_and_saveexec_b64 s[6:7], s[4:5]
	s_cbranch_execz .LBB38_1492
.LBB38_1491:
	v_bfe_u32 v2, v8, 16, 3
	v_ffbh_u32_e32 v7, v2
	v_min_u32_e32 v7, 32, v7
	v_lshrrev_b32_e32 v3, 19, v8
	v_subrev_u32_e32 v10, 28, v7
	v_and_b32_e32 v3, 15, v3
	v_lshlrev_b32_sdwa v10, v10, v8 dst_sel:DWORD dst_unused:UNUSED_PAD src0_sel:DWORD src1_sel:WORD_1
	v_bfe_u32 v6, v8, 19, 4
	v_sub_u32_e32 v7, 29, v7
	v_and_b32_e32 v10, 7, v10
	v_cmp_eq_u16_e32 vcc, 0, v3
	v_cndmask_b32_e32 v2, v2, v10, vcc
	v_cndmask_b32_e32 v3, v6, v7, vcc
	v_lshlrev_b32_e32 v6, 8, v8
	v_mov_b32_e32 v7, 0x3b800000
	v_lshlrev_b32_e32 v2, 20, v2
	v_and_b32_e32 v6, 0x80000000, v6
	v_lshl_add_u32 v3, v3, 23, v7
	v_or3_b32 v2, v6, v3, v2
.LBB38_1492:
	s_or_b64 exec, exec, s[6:7]
	s_movk_i32 s4, 0xff
	v_and_b32_sdwa v3, v4, s4 dst_sel:DWORD dst_unused:UNUSED_PAD src0_sel:WORD_1 src1_sel:DWORD
	s_movk_i32 s4, 0x7f
	v_cmp_lt_i16_e32 vcc, s4, v3
	s_mov_b64 s[4:5], 0
                                        ; implicit-def: $sgpr10
	s_and_saveexec_b64 s[6:7], vcc
	s_xor_b64 s[6:7], exec, s[6:7]
	s_cbranch_execnz .LBB38_3541
; %bb.1493:
	s_or_saveexec_b64 s[6:7], s[6:7]
	v_mov_b32_e32 v6, s10
	s_xor_b64 exec, exec, s[6:7]
	s_cbranch_execnz .LBB38_3544
.LBB38_1494:
	s_or_b64 exec, exec, s[6:7]
	s_and_saveexec_b64 s[6:7], s[4:5]
	s_cbranch_execz .LBB38_1496
.LBB38_1495:
	v_bfe_u32 v3, v4, 16, 3
	v_ffbh_u32_e32 v10, v3
	v_min_u32_e32 v10, 32, v10
	v_lshrrev_b32_e32 v6, 19, v4
	v_subrev_u32_e32 v11, 28, v10
	v_and_b32_e32 v6, 15, v6
	v_lshlrev_b32_sdwa v11, v11, v4 dst_sel:DWORD dst_unused:UNUSED_PAD src0_sel:DWORD src1_sel:WORD_1
	v_bfe_u32 v7, v4, 19, 4
	v_sub_u32_e32 v10, 29, v10
	v_and_b32_e32 v11, 7, v11
	v_cmp_eq_u16_e32 vcc, 0, v6
	v_cndmask_b32_e32 v3, v3, v11, vcc
	v_cndmask_b32_e32 v6, v7, v10, vcc
	v_lshlrev_b32_e32 v7, 8, v4
	v_mov_b32_e32 v10, 0x3b800000
	v_lshlrev_b32_e32 v3, 20, v3
	v_and_b32_e32 v7, 0x80000000, v7
	v_lshl_add_u32 v6, v6, 23, v10
	v_or3_b32 v6, v7, v6, v3
.LBB38_1496:
	s_or_b64 exec, exec, s[6:7]
	s_nop 0
	v_mfma_f32_16x16x4f32 a[0:3], v2, v6, a[0:3]
	s_movk_i32 s4, 0x7f
	v_cmp_gt_i16_sdwa s[6:7], v8, s4 src0_sel:BYTE_3 src1_sel:DWORD
	s_mov_b64 s[4:5], 0
                                        ; implicit-def: $sgpr10
	s_and_saveexec_b64 s[8:9], s[6:7]
	s_xor_b64 s[6:7], exec, s[8:9]
	s_cbranch_execnz .LBB38_3545
; %bb.1497:
	s_or_saveexec_b64 s[6:7], s[6:7]
	v_mov_b32_e32 v2, s10
	s_xor_b64 exec, exec, s[6:7]
	s_cbranch_execnz .LBB38_3548
.LBB38_1498:
	s_or_b64 exec, exec, s[6:7]
	s_and_saveexec_b64 s[6:7], s[4:5]
	s_cbranch_execz .LBB38_1500
.LBB38_1499:
	v_bfe_u32 v2, v8, 24, 3
	v_ffbh_u32_e32 v10, v2
	v_min_u32_e32 v10, 32, v10
	v_lshrrev_b32_e32 v6, 27, v8
	v_subrev_u32_e32 v11, 28, v10
	v_and_b32_e32 v3, 0x80000000, v8
	v_and_b32_e32 v6, 15, v6
	v_bfe_u32 v7, v8, 27, 4
	v_lshlrev_b32_sdwa v8, v11, v8 dst_sel:DWORD dst_unused:UNUSED_PAD src0_sel:DWORD src1_sel:BYTE_3
	v_sub_u32_e32 v10, 29, v10
	v_and_b32_e32 v8, 7, v8
	v_cmp_eq_u16_e32 vcc, 0, v6
	v_cndmask_b32_e32 v2, v2, v8, vcc
	v_cndmask_b32_e32 v6, v7, v10, vcc
	v_mov_b32_e32 v7, 0x3b800000
	v_lshlrev_b32_e32 v2, 20, v2
	v_lshl_add_u32 v6, v6, 23, v7
	v_or3_b32 v2, v3, v6, v2
.LBB38_1500:
	s_or_b64 exec, exec, s[6:7]
	s_movk_i32 s4, 0x7f
	v_cmp_gt_i16_sdwa s[6:7], v4, s4 src0_sel:BYTE_3 src1_sel:DWORD
	s_mov_b64 s[4:5], 0
                                        ; implicit-def: $sgpr10
	s_and_saveexec_b64 s[8:9], s[6:7]
	s_xor_b64 s[6:7], exec, s[8:9]
	s_cbranch_execnz .LBB38_3549
; %bb.1501:
	s_or_saveexec_b64 s[6:7], s[6:7]
	v_mov_b32_e32 v3, s10
	s_xor_b64 exec, exec, s[6:7]
	s_cbranch_execnz .LBB38_3552
.LBB38_1502:
	s_or_b64 exec, exec, s[6:7]
	s_and_saveexec_b64 s[6:7], s[4:5]
	s_cbranch_execz .LBB38_1504
.LBB38_1503:
	v_bfe_u32 v3, v4, 24, 3
	v_ffbh_u32_e32 v10, v3
	v_min_u32_e32 v10, 32, v10
	v_lshrrev_b32_e32 v7, 27, v4
	v_subrev_u32_e32 v11, 28, v10
	v_and_b32_e32 v6, 0x80000000, v4
	v_and_b32_e32 v7, 15, v7
	v_bfe_u32 v8, v4, 27, 4
	v_lshlrev_b32_sdwa v4, v11, v4 dst_sel:DWORD dst_unused:UNUSED_PAD src0_sel:DWORD src1_sel:BYTE_3
	v_sub_u32_e32 v10, 29, v10
	v_and_b32_e32 v4, 7, v4
	v_cmp_eq_u16_e32 vcc, 0, v7
	v_cndmask_b32_e32 v3, v3, v4, vcc
	v_cndmask_b32_e32 v4, v8, v10, vcc
	v_mov_b32_e32 v7, 0x3b800000
	v_lshlrev_b32_e32 v3, 20, v3
	v_lshl_add_u32 v4, v4, 23, v7
	v_or3_b32 v3, v6, v4, v3
.LBB38_1504:
	s_or_b64 exec, exec, s[6:7]
	s_nop 0
	v_mfma_f32_16x16x4f32 a[0:3], v2, v3, a[0:3]
	s_movk_i32 s4, 0x7f
	v_cmp_gt_i16_sdwa s[6:7], v9, s4 src0_sel:BYTE_0 src1_sel:DWORD
	s_mov_b64 s[4:5], 0
                                        ; implicit-def: $sgpr10
	s_and_saveexec_b64 s[8:9], s[6:7]
	s_xor_b64 s[6:7], exec, s[8:9]
	s_cbranch_execnz .LBB38_3553
; %bb.1505:
	s_or_saveexec_b64 s[6:7], s[6:7]
	v_mov_b32_e32 v2, s10
	s_xor_b64 exec, exec, s[6:7]
	s_cbranch_execnz .LBB38_3556
.LBB38_1506:
	s_or_b64 exec, exec, s[6:7]
	s_and_saveexec_b64 s[6:7], s[4:5]
	s_cbranch_execz .LBB38_1508
.LBB38_1507:
	v_mov_b32_e32 v2, 8
	v_and_b32_e32 v3, 7, v9
	v_lshrrev_b32_sdwa v2, v2, v9 dst_sel:BYTE_1 dst_unused:UNUSED_PAD src0_sel:DWORD src1_sel:DWORD
	v_ffbh_u32_e32 v4, v3
	v_or_b32_sdwa v2, v9, v2 dst_sel:DWORD dst_unused:UNUSED_PAD src0_sel:BYTE_0 src1_sel:DWORD
	v_min_u32_e32 v4, 32, v4
	v_lshrrev_b16_e32 v2, 3, v2
	v_subrev_u32_e32 v6, 28, v4
	v_and_b32_e32 v2, 15, v2
	v_lshlrev_b32_e32 v6, v6, v9
	v_sub_u32_e32 v4, 29, v4
	v_and_b32_e32 v6, 7, v6
	v_cmp_eq_u16_e32 vcc, 0, v2
	v_cndmask_b32_e32 v3, v3, v6, vcc
	v_cndmask_b32_e32 v2, v2, v4, vcc
	v_lshlrev_b32_e32 v4, 24, v9
	v_mov_b32_e32 v6, 0x3b800000
	v_lshlrev_b32_e32 v3, 20, v3
	v_and_b32_e32 v4, 0x80000000, v4
	v_lshl_add_u32 v2, v2, 23, v6
	v_or3_b32 v2, v4, v2, v3
.LBB38_1508:
	s_or_b64 exec, exec, s[6:7]
	s_movk_i32 s4, 0x7f
	v_cmp_gt_i16_sdwa s[6:7], v5, s4 src0_sel:BYTE_0 src1_sel:DWORD
	s_mov_b64 s[4:5], 0
                                        ; implicit-def: $sgpr10
	s_and_saveexec_b64 s[8:9], s[6:7]
	s_xor_b64 s[6:7], exec, s[8:9]
	s_cbranch_execnz .LBB38_3557
; %bb.1509:
	s_or_saveexec_b64 s[6:7], s[6:7]
	v_mov_b32_e32 v3, s10
	s_xor_b64 exec, exec, s[6:7]
	s_cbranch_execnz .LBB38_3560
.LBB38_1510:
	s_or_b64 exec, exec, s[6:7]
	s_and_saveexec_b64 s[6:7], s[4:5]
	s_cbranch_execz .LBB38_1512
.LBB38_1511:
	v_mov_b32_e32 v3, 8
	v_and_b32_e32 v4, 7, v5
	v_lshrrev_b32_sdwa v3, v3, v5 dst_sel:BYTE_1 dst_unused:UNUSED_PAD src0_sel:DWORD src1_sel:DWORD
	v_ffbh_u32_e32 v6, v4
	v_or_b32_sdwa v3, v5, v3 dst_sel:DWORD dst_unused:UNUSED_PAD src0_sel:BYTE_0 src1_sel:DWORD
	v_min_u32_e32 v6, 32, v6
	v_lshrrev_b16_e32 v3, 3, v3
	v_subrev_u32_e32 v7, 28, v6
	v_and_b32_e32 v3, 15, v3
	v_lshlrev_b32_e32 v7, v7, v5
	v_sub_u32_e32 v6, 29, v6
	v_and_b32_e32 v7, 7, v7
	v_cmp_eq_u16_e32 vcc, 0, v3
	v_cndmask_b32_e32 v4, v4, v7, vcc
	v_cndmask_b32_e32 v3, v3, v6, vcc
	v_lshlrev_b32_e32 v6, 24, v5
	v_mov_b32_e32 v7, 0x3b800000
	v_lshlrev_b32_e32 v4, 20, v4
	v_and_b32_e32 v6, 0x80000000, v6
	v_lshl_add_u32 v3, v3, 23, v7
	v_or3_b32 v3, v6, v3, v4
.LBB38_1512:
	s_or_b64 exec, exec, s[6:7]
	s_nop 0
	v_mfma_f32_16x16x4f32 a[0:3], v2, v3, a[0:3]
	v_lshrrev_b32_e32 v3, 8, v9
	s_movk_i32 s4, 0x7f
	v_cmp_gt_i16_sdwa s[6:7], v3, s4 src0_sel:BYTE_0 src1_sel:DWORD
	s_mov_b64 s[4:5], 0
                                        ; implicit-def: $sgpr10
	s_and_saveexec_b64 s[8:9], s[6:7]
	s_xor_b64 s[6:7], exec, s[8:9]
	s_cbranch_execnz .LBB38_3561
; %bb.1513:
	s_or_saveexec_b64 s[6:7], s[6:7]
	v_mov_b32_e32 v2, s10
	s_xor_b64 exec, exec, s[6:7]
	s_cbranch_execnz .LBB38_3564
.LBB38_1514:
	s_or_b64 exec, exec, s[6:7]
	s_and_saveexec_b64 s[6:7], s[4:5]
	s_cbranch_execz .LBB38_1516
.LBB38_1515:
	v_bfe_u32 v2, v9, 8, 3
	v_ffbh_u32_e32 v6, v2
	v_min_u32_e32 v6, 32, v6
	v_lshrrev_b16_e32 v4, 3, v3
	v_subrev_u32_e32 v7, 28, v6
	v_and_b32_e32 v4, 15, v4
	v_lshlrev_b32_e32 v3, v7, v3
	v_sub_u32_e32 v6, 29, v6
	v_and_b32_e32 v3, 7, v3
	v_cmp_eq_u16_e32 vcc, 0, v4
	v_cndmask_b32_e32 v2, v2, v3, vcc
	v_cndmask_b32_e32 v3, v4, v6, vcc
	v_lshlrev_b32_e32 v4, 16, v9
	v_mov_b32_e32 v6, 0x3b800000
	v_lshlrev_b32_e32 v2, 20, v2
	v_and_b32_e32 v4, 0x80000000, v4
	v_lshl_add_u32 v3, v3, 23, v6
	v_or3_b32 v2, v4, v3, v2
.LBB38_1516:
	s_or_b64 exec, exec, s[6:7]
	v_lshrrev_b32_e32 v3, 8, v5
	s_movk_i32 s4, 0x7f
	v_cmp_gt_i16_sdwa s[6:7], v3, s4 src0_sel:BYTE_0 src1_sel:DWORD
	s_mov_b64 s[4:5], 0
                                        ; implicit-def: $sgpr10
	s_and_saveexec_b64 s[8:9], s[6:7]
	s_xor_b64 s[6:7], exec, s[8:9]
	s_cbranch_execnz .LBB38_3565
; %bb.1517:
	s_or_saveexec_b64 s[6:7], s[6:7]
	v_mov_b32_e32 v4, s10
	s_xor_b64 exec, exec, s[6:7]
	s_cbranch_execnz .LBB38_3568
.LBB38_1518:
	s_or_b64 exec, exec, s[6:7]
	s_and_saveexec_b64 s[6:7], s[4:5]
	s_cbranch_execz .LBB38_1520
.LBB38_1519:
	v_bfe_u32 v4, v5, 8, 3
	v_ffbh_u32_e32 v7, v4
	v_min_u32_e32 v7, 32, v7
	v_lshrrev_b16_e32 v6, 3, v3
	v_subrev_u32_e32 v8, 28, v7
	v_and_b32_e32 v6, 15, v6
	v_lshlrev_b32_e32 v3, v8, v3
	v_sub_u32_e32 v7, 29, v7
	v_and_b32_e32 v3, 7, v3
	v_cmp_eq_u16_e32 vcc, 0, v6
	v_cndmask_b32_e32 v3, v4, v3, vcc
	v_cndmask_b32_e32 v4, v6, v7, vcc
	v_lshlrev_b32_e32 v6, 16, v5
	v_mov_b32_e32 v7, 0x3b800000
	v_lshlrev_b32_e32 v3, 20, v3
	v_and_b32_e32 v6, 0x80000000, v6
	v_lshl_add_u32 v4, v4, 23, v7
	v_or3_b32 v4, v6, v4, v3
.LBB38_1520:
	s_or_b64 exec, exec, s[6:7]
	s_nop 0
	v_mfma_f32_16x16x4f32 a[0:3], v2, v4, a[0:3]
	s_movk_i32 s4, 0xff
	v_and_b32_sdwa v3, v9, s4 dst_sel:DWORD dst_unused:UNUSED_PAD src0_sel:WORD_1 src1_sel:DWORD
	s_movk_i32 s4, 0x7f
	v_cmp_lt_i16_e32 vcc, s4, v3
	s_mov_b64 s[4:5], 0
                                        ; implicit-def: $sgpr10
	s_and_saveexec_b64 s[6:7], vcc
	s_xor_b64 s[6:7], exec, s[6:7]
	s_cbranch_execnz .LBB38_3569
; %bb.1521:
	s_or_saveexec_b64 s[6:7], s[6:7]
	v_mov_b32_e32 v2, s10
	s_xor_b64 exec, exec, s[6:7]
	s_cbranch_execnz .LBB38_3572
.LBB38_1522:
	s_or_b64 exec, exec, s[6:7]
	s_and_saveexec_b64 s[6:7], s[4:5]
	s_cbranch_execz .LBB38_1524
.LBB38_1523:
	v_bfe_u32 v2, v9, 16, 3
	v_ffbh_u32_e32 v6, v2
	v_min_u32_e32 v6, 32, v6
	v_lshrrev_b32_e32 v3, 19, v9
	v_subrev_u32_e32 v7, 28, v6
	v_and_b32_e32 v3, 15, v3
	v_lshlrev_b32_sdwa v7, v7, v9 dst_sel:DWORD dst_unused:UNUSED_PAD src0_sel:DWORD src1_sel:WORD_1
	v_bfe_u32 v4, v9, 19, 4
	v_sub_u32_e32 v6, 29, v6
	v_and_b32_e32 v7, 7, v7
	v_cmp_eq_u16_e32 vcc, 0, v3
	v_cndmask_b32_e32 v2, v2, v7, vcc
	v_cndmask_b32_e32 v3, v4, v6, vcc
	v_lshlrev_b32_e32 v4, 8, v9
	v_mov_b32_e32 v6, 0x3b800000
	v_lshlrev_b32_e32 v2, 20, v2
	v_and_b32_e32 v4, 0x80000000, v4
	v_lshl_add_u32 v3, v3, 23, v6
	v_or3_b32 v2, v4, v3, v2
.LBB38_1524:
	s_or_b64 exec, exec, s[6:7]
	s_movk_i32 s4, 0xff
	v_and_b32_sdwa v3, v5, s4 dst_sel:DWORD dst_unused:UNUSED_PAD src0_sel:WORD_1 src1_sel:DWORD
	s_movk_i32 s4, 0x7f
	v_cmp_lt_i16_e32 vcc, s4, v3
	s_mov_b64 s[4:5], 0
                                        ; implicit-def: $sgpr10
	s_and_saveexec_b64 s[6:7], vcc
	s_xor_b64 s[6:7], exec, s[6:7]
	s_cbranch_execnz .LBB38_3573
; %bb.1525:
	s_or_saveexec_b64 s[6:7], s[6:7]
	v_mov_b32_e32 v4, s10
	s_xor_b64 exec, exec, s[6:7]
	s_cbranch_execnz .LBB38_3576
.LBB38_1526:
	s_or_b64 exec, exec, s[6:7]
	s_and_saveexec_b64 s[6:7], s[4:5]
	s_cbranch_execz .LBB38_1528
.LBB38_1527:
	v_bfe_u32 v3, v5, 16, 3
	v_ffbh_u32_e32 v7, v3
	v_min_u32_e32 v7, 32, v7
	v_lshrrev_b32_e32 v4, 19, v5
	v_subrev_u32_e32 v8, 28, v7
	v_and_b32_e32 v4, 15, v4
	v_lshlrev_b32_sdwa v8, v8, v5 dst_sel:DWORD dst_unused:UNUSED_PAD src0_sel:DWORD src1_sel:WORD_1
	v_bfe_u32 v6, v5, 19, 4
	v_sub_u32_e32 v7, 29, v7
	v_and_b32_e32 v8, 7, v8
	v_cmp_eq_u16_e32 vcc, 0, v4
	v_cndmask_b32_e32 v3, v3, v8, vcc
	v_cndmask_b32_e32 v4, v6, v7, vcc
	v_lshlrev_b32_e32 v6, 8, v5
	v_mov_b32_e32 v7, 0x3b800000
	v_lshlrev_b32_e32 v3, 20, v3
	v_and_b32_e32 v6, 0x80000000, v6
	v_lshl_add_u32 v4, v4, 23, v7
	v_or3_b32 v4, v6, v4, v3
.LBB38_1528:
	s_or_b64 exec, exec, s[6:7]
	s_nop 0
	v_mfma_f32_16x16x4f32 a[0:3], v2, v4, a[0:3]
	s_movk_i32 s4, 0x7f
	v_cmp_gt_i16_sdwa s[6:7], v9, s4 src0_sel:BYTE_3 src1_sel:DWORD
	s_mov_b64 s[4:5], 0
                                        ; implicit-def: $sgpr10
	s_and_saveexec_b64 s[8:9], s[6:7]
	s_xor_b64 s[6:7], exec, s[8:9]
	s_cbranch_execnz .LBB38_3577
; %bb.1529:
	s_or_saveexec_b64 s[6:7], s[6:7]
	v_mov_b32_e32 v2, s10
	s_xor_b64 exec, exec, s[6:7]
	s_cbranch_execnz .LBB38_3580
.LBB38_1530:
	s_or_b64 exec, exec, s[6:7]
	s_and_saveexec_b64 s[6:7], s[4:5]
	s_cbranch_execz .LBB38_1532
.LBB38_1531:
	v_bfe_u32 v2, v9, 24, 3
	v_ffbh_u32_e32 v7, v2
	v_min_u32_e32 v7, 32, v7
	v_lshrrev_b32_e32 v4, 27, v9
	v_subrev_u32_e32 v8, 28, v7
	v_and_b32_e32 v4, 15, v4
	v_lshlrev_b32_sdwa v8, v8, v9 dst_sel:DWORD dst_unused:UNUSED_PAD src0_sel:DWORD src1_sel:BYTE_3
	v_bfe_u32 v6, v9, 27, 4
	v_sub_u32_e32 v7, 29, v7
	v_and_b32_e32 v8, 7, v8
	v_cmp_eq_u16_e32 vcc, 0, v4
	v_cndmask_b32_e32 v2, v2, v8, vcc
	v_cndmask_b32_e32 v4, v6, v7, vcc
	v_mov_b32_e32 v6, 0x3b800000
	v_and_b32_e32 v3, 0x80000000, v9
	v_lshlrev_b32_e32 v2, 20, v2
	v_lshl_add_u32 v4, v4, 23, v6
	v_or3_b32 v2, v3, v4, v2
.LBB38_1532:
	s_or_b64 exec, exec, s[6:7]
	s_movk_i32 s4, 0x7f
	v_cmp_gt_i16_sdwa s[6:7], v5, s4 src0_sel:BYTE_3 src1_sel:DWORD
	s_mov_b64 s[4:5], 0
                                        ; implicit-def: $sgpr10
	s_and_saveexec_b64 s[8:9], s[6:7]
	s_xor_b64 s[6:7], exec, s[8:9]
	s_cbranch_execnz .LBB38_3581
; %bb.1533:
	s_or_saveexec_b64 s[6:7], s[6:7]
	v_mov_b32_e32 v3, s10
	s_xor_b64 exec, exec, s[6:7]
	s_cbranch_execnz .LBB38_3584
.LBB38_1534:
	s_or_b64 exec, exec, s[6:7]
	s_and_saveexec_b64 s[6:7], s[4:5]
	s_cbranch_execz .LBB38_1536
.LBB38_1535:
	v_bfe_u32 v3, v5, 24, 3
	v_ffbh_u32_e32 v8, v3
	v_min_u32_e32 v8, 32, v8
	v_lshrrev_b32_e32 v6, 27, v5
	v_subrev_u32_e32 v9, 28, v8
	v_and_b32_e32 v4, 0x80000000, v5
	v_and_b32_e32 v6, 15, v6
	v_bfe_u32 v7, v5, 27, 4
	v_lshlrev_b32_sdwa v5, v9, v5 dst_sel:DWORD dst_unused:UNUSED_PAD src0_sel:DWORD src1_sel:BYTE_3
	v_sub_u32_e32 v8, 29, v8
	v_and_b32_e32 v5, 7, v5
	v_cmp_eq_u16_e32 vcc, 0, v6
	v_cndmask_b32_e32 v3, v3, v5, vcc
	v_cndmask_b32_e32 v5, v7, v8, vcc
	v_mov_b32_e32 v6, 0x3b800000
	v_lshlrev_b32_e32 v3, 20, v3
	v_lshl_add_u32 v5, v5, 23, v6
	v_or3_b32 v3, v4, v5, v3
.LBB38_1536:
	s_or_b64 exec, exec, s[6:7]
	s_nop 0
	v_mfma_f32_16x16x4f32 a[0:3], v2, v3, a[0:3]
	s_movk_i32 s4, 0x7f
                                        ; implicit-def: $sgpr10
	s_nop 7
	s_nop 1
	flat_store_dwordx4 v[18:19], a[0:3] offset:336
	flat_load_dwordx4 v[20:23], v[0:1] offset:16
	s_nop 0
	flat_load_dwordx2 v[18:19], v[0:1] offset:32
	s_waitcnt vmcnt(0) lgkmcnt(0)
	flat_load_dwordx4 v[14:17], v[20:21]
	flat_load_dwordx4 v[6:9], v[20:21] offset:16
	flat_load_dwordx4 v[10:13], v[22:23] offset:448
	;; [unrolled: 1-line block ×3, first 2 shown]
	s_waitcnt vmcnt(0) lgkmcnt(0)
	v_cmp_gt_i16_sdwa s[6:7], v14, s4 src0_sel:BYTE_0 src1_sel:DWORD
	s_mov_b64 s[4:5], 0
	s_and_saveexec_b64 s[8:9], s[6:7]
	s_xor_b64 s[6:7], exec, s[8:9]
	s_cbranch_execnz .LBB38_3585
; %bb.1537:
	s_or_saveexec_b64 s[6:7], s[6:7]
	v_mov_b32_e32 v20, s10
	s_xor_b64 exec, exec, s[6:7]
	s_cbranch_execnz .LBB38_3588
.LBB38_1538:
	s_or_b64 exec, exec, s[6:7]
	s_and_saveexec_b64 s[6:7], s[4:5]
	s_cbranch_execz .LBB38_1540
.LBB38_1539:
	v_and_b32_e32 v20, 7, v14
	v_ffbh_u32_e32 v22, v20
	v_min_u32_e32 v22, 32, v22
	v_lshrrev_b16_e32 v21, 3, v14
	v_subrev_u32_e32 v23, 28, v22
	v_and_b32_e32 v21, 15, v21
	v_lshlrev_b32_e32 v23, v23, v14
	v_sub_u32_e32 v22, 29, v22
	v_and_b32_e32 v23, 7, v23
	v_cmp_eq_u16_e32 vcc, 0, v21
	v_cndmask_b32_e32 v20, v20, v23, vcc
	v_cndmask_b32_e32 v21, v21, v22, vcc
	v_lshlrev_b32_e32 v22, 24, v14
	v_mov_b32_e32 v23, 0x3b800000
	v_lshlrev_b32_e32 v20, 20, v20
	v_and_b32_e32 v22, 0x80000000, v22
	v_lshl_add_u32 v21, v21, 23, v23
	v_or3_b32 v20, v22, v21, v20
.LBB38_1540:
	s_or_b64 exec, exec, s[6:7]
	s_movk_i32 s4, 0x7f
	v_cmp_gt_i16_sdwa s[6:7], v10, s4 src0_sel:BYTE_0 src1_sel:DWORD
	s_mov_b64 s[4:5], 0
                                        ; implicit-def: $sgpr10
	s_and_saveexec_b64 s[8:9], s[6:7]
	s_xor_b64 s[6:7], exec, s[8:9]
	s_cbranch_execnz .LBB38_3589
; %bb.1541:
	s_or_saveexec_b64 s[6:7], s[6:7]
	v_mov_b32_e32 v21, s10
	s_xor_b64 exec, exec, s[6:7]
	s_cbranch_execnz .LBB38_3592
.LBB38_1542:
	s_or_b64 exec, exec, s[6:7]
	s_and_saveexec_b64 s[6:7], s[4:5]
	s_cbranch_execz .LBB38_1544
.LBB38_1543:
	v_and_b32_e32 v21, 7, v10
	v_ffbh_u32_e32 v23, v21
	v_min_u32_e32 v23, 32, v23
	v_lshrrev_b16_e32 v22, 3, v10
	v_subrev_u32_e32 v24, 28, v23
	v_and_b32_e32 v22, 15, v22
	v_lshlrev_b32_e32 v24, v24, v10
	v_sub_u32_e32 v23, 29, v23
	v_and_b32_e32 v24, 7, v24
	v_cmp_eq_u16_e32 vcc, 0, v22
	v_cndmask_b32_e32 v21, v21, v24, vcc
	v_cndmask_b32_e32 v22, v22, v23, vcc
	v_lshlrev_b32_e32 v23, 24, v10
	v_mov_b32_e32 v24, 0x3b800000
	v_lshlrev_b32_e32 v21, 20, v21
	v_and_b32_e32 v23, 0x80000000, v23
	v_lshl_add_u32 v22, v22, 23, v24
	v_or3_b32 v21, v23, v22, v21
.LBB38_1544:
	s_or_b64 exec, exec, s[6:7]
	flat_load_dwordx4 a[0:3], v[18:19] offset:352
	s_movk_i32 s4, 0x7f
                                        ; implicit-def: $sgpr10
	s_waitcnt vmcnt(0) lgkmcnt(0)
	v_mfma_f32_16x16x4f32 a[0:3], v20, v21, a[0:3]
	v_lshrrev_b32_e32 v21, 8, v14
	v_cmp_gt_i16_sdwa s[6:7], v21, s4 src0_sel:BYTE_0 src1_sel:DWORD
	s_mov_b64 s[4:5], 0
	s_and_saveexec_b64 s[8:9], s[6:7]
	s_xor_b64 s[6:7], exec, s[8:9]
	s_cbranch_execnz .LBB38_3593
; %bb.1545:
	s_or_saveexec_b64 s[6:7], s[6:7]
	v_mov_b32_e32 v20, s10
	s_xor_b64 exec, exec, s[6:7]
	s_cbranch_execnz .LBB38_3596
.LBB38_1546:
	s_or_b64 exec, exec, s[6:7]
	s_and_saveexec_b64 s[6:7], s[4:5]
	s_cbranch_execz .LBB38_1548
.LBB38_1547:
	v_bfe_u32 v20, v14, 8, 3
	v_ffbh_u32_e32 v23, v20
	v_min_u32_e32 v23, 32, v23
	v_lshrrev_b16_e32 v22, 3, v21
	v_subrev_u32_e32 v24, 28, v23
	v_and_b32_e32 v22, 15, v22
	v_lshlrev_b32_e32 v21, v24, v21
	v_sub_u32_e32 v23, 29, v23
	v_and_b32_e32 v21, 7, v21
	v_cmp_eq_u16_e32 vcc, 0, v22
	v_cndmask_b32_e32 v20, v20, v21, vcc
	v_cndmask_b32_e32 v21, v22, v23, vcc
	v_lshlrev_b32_e32 v22, 16, v14
	v_mov_b32_e32 v23, 0x3b800000
	v_lshlrev_b32_e32 v20, 20, v20
	v_and_b32_e32 v22, 0x80000000, v22
	v_lshl_add_u32 v21, v21, 23, v23
	v_or3_b32 v20, v22, v21, v20
.LBB38_1548:
	s_or_b64 exec, exec, s[6:7]
	v_lshrrev_b32_e32 v21, 8, v10
	s_movk_i32 s4, 0x7f
	v_cmp_gt_i16_sdwa s[6:7], v21, s4 src0_sel:BYTE_0 src1_sel:DWORD
	s_mov_b64 s[4:5], 0
                                        ; implicit-def: $sgpr10
	s_and_saveexec_b64 s[8:9], s[6:7]
	s_xor_b64 s[6:7], exec, s[8:9]
	s_cbranch_execnz .LBB38_3597
; %bb.1549:
	s_or_saveexec_b64 s[6:7], s[6:7]
	v_mov_b32_e32 v22, s10
	s_xor_b64 exec, exec, s[6:7]
	s_cbranch_execnz .LBB38_3600
.LBB38_1550:
	s_or_b64 exec, exec, s[6:7]
	s_and_saveexec_b64 s[6:7], s[4:5]
	s_cbranch_execz .LBB38_1552
.LBB38_1551:
	v_bfe_u32 v22, v10, 8, 3
	v_ffbh_u32_e32 v24, v22
	v_min_u32_e32 v24, 32, v24
	v_lshrrev_b16_e32 v23, 3, v21
	v_subrev_u32_e32 v25, 28, v24
	v_and_b32_e32 v23, 15, v23
	v_lshlrev_b32_e32 v21, v25, v21
	v_sub_u32_e32 v24, 29, v24
	v_and_b32_e32 v21, 7, v21
	v_cmp_eq_u16_e32 vcc, 0, v23
	v_cndmask_b32_e32 v21, v22, v21, vcc
	v_cndmask_b32_e32 v22, v23, v24, vcc
	v_lshlrev_b32_e32 v23, 16, v10
	v_mov_b32_e32 v24, 0x3b800000
	v_lshlrev_b32_e32 v21, 20, v21
	v_and_b32_e32 v23, 0x80000000, v23
	v_lshl_add_u32 v22, v22, 23, v24
	v_or3_b32 v22, v23, v22, v21
.LBB38_1552:
	s_or_b64 exec, exec, s[6:7]
	s_nop 0
	v_mfma_f32_16x16x4f32 a[0:3], v20, v22, a[0:3]
	s_movk_i32 s4, 0xff
	v_and_b32_sdwa v21, v14, s4 dst_sel:DWORD dst_unused:UNUSED_PAD src0_sel:WORD_1 src1_sel:DWORD
	s_movk_i32 s4, 0x7f
	v_cmp_lt_i16_e32 vcc, s4, v21
	s_mov_b64 s[4:5], 0
                                        ; implicit-def: $sgpr10
	s_and_saveexec_b64 s[6:7], vcc
	s_xor_b64 s[6:7], exec, s[6:7]
	s_cbranch_execnz .LBB38_3601
; %bb.1553:
	s_or_saveexec_b64 s[6:7], s[6:7]
	v_mov_b32_e32 v20, s10
	s_xor_b64 exec, exec, s[6:7]
	s_cbranch_execnz .LBB38_3604
.LBB38_1554:
	s_or_b64 exec, exec, s[6:7]
	s_and_saveexec_b64 s[6:7], s[4:5]
	s_cbranch_execz .LBB38_1556
.LBB38_1555:
	v_bfe_u32 v20, v14, 16, 3
	v_ffbh_u32_e32 v23, v20
	v_min_u32_e32 v23, 32, v23
	v_lshrrev_b32_e32 v21, 19, v14
	v_subrev_u32_e32 v24, 28, v23
	v_and_b32_e32 v21, 15, v21
	v_lshlrev_b32_sdwa v24, v24, v14 dst_sel:DWORD dst_unused:UNUSED_PAD src0_sel:DWORD src1_sel:WORD_1
	v_bfe_u32 v22, v14, 19, 4
	v_sub_u32_e32 v23, 29, v23
	v_and_b32_e32 v24, 7, v24
	v_cmp_eq_u16_e32 vcc, 0, v21
	v_cndmask_b32_e32 v20, v20, v24, vcc
	v_cndmask_b32_e32 v21, v22, v23, vcc
	v_lshlrev_b32_e32 v22, 8, v14
	v_mov_b32_e32 v23, 0x3b800000
	v_lshlrev_b32_e32 v20, 20, v20
	v_and_b32_e32 v22, 0x80000000, v22
	v_lshl_add_u32 v21, v21, 23, v23
	v_or3_b32 v20, v22, v21, v20
.LBB38_1556:
	s_or_b64 exec, exec, s[6:7]
	s_movk_i32 s4, 0xff
	v_and_b32_sdwa v21, v10, s4 dst_sel:DWORD dst_unused:UNUSED_PAD src0_sel:WORD_1 src1_sel:DWORD
	s_movk_i32 s4, 0x7f
	v_cmp_lt_i16_e32 vcc, s4, v21
	s_mov_b64 s[4:5], 0
                                        ; implicit-def: $sgpr10
	s_and_saveexec_b64 s[6:7], vcc
	s_xor_b64 s[6:7], exec, s[6:7]
	s_cbranch_execnz .LBB38_3605
; %bb.1557:
	s_or_saveexec_b64 s[6:7], s[6:7]
	v_mov_b32_e32 v22, s10
	s_xor_b64 exec, exec, s[6:7]
	s_cbranch_execnz .LBB38_3608
.LBB38_1558:
	s_or_b64 exec, exec, s[6:7]
	s_and_saveexec_b64 s[6:7], s[4:5]
	s_cbranch_execz .LBB38_1560
.LBB38_1559:
	v_bfe_u32 v21, v10, 16, 3
	v_ffbh_u32_e32 v24, v21
	v_min_u32_e32 v24, 32, v24
	v_lshrrev_b32_e32 v22, 19, v10
	v_subrev_u32_e32 v25, 28, v24
	v_and_b32_e32 v22, 15, v22
	v_lshlrev_b32_sdwa v25, v25, v10 dst_sel:DWORD dst_unused:UNUSED_PAD src0_sel:DWORD src1_sel:WORD_1
	v_bfe_u32 v23, v10, 19, 4
	v_sub_u32_e32 v24, 29, v24
	v_and_b32_e32 v25, 7, v25
	v_cmp_eq_u16_e32 vcc, 0, v22
	v_cndmask_b32_e32 v21, v21, v25, vcc
	v_cndmask_b32_e32 v22, v23, v24, vcc
	v_lshlrev_b32_e32 v23, 8, v10
	v_mov_b32_e32 v24, 0x3b800000
	v_lshlrev_b32_e32 v21, 20, v21
	v_and_b32_e32 v23, 0x80000000, v23
	v_lshl_add_u32 v22, v22, 23, v24
	v_or3_b32 v22, v23, v22, v21
.LBB38_1560:
	s_or_b64 exec, exec, s[6:7]
	s_nop 0
	v_mfma_f32_16x16x4f32 a[0:3], v20, v22, a[0:3]
	s_movk_i32 s4, 0x7f
	v_cmp_gt_i16_sdwa s[6:7], v14, s4 src0_sel:BYTE_3 src1_sel:DWORD
	s_mov_b64 s[4:5], 0
                                        ; implicit-def: $sgpr10
	s_and_saveexec_b64 s[8:9], s[6:7]
	s_xor_b64 s[6:7], exec, s[8:9]
	s_cbranch_execnz .LBB38_3609
; %bb.1561:
	s_or_saveexec_b64 s[6:7], s[6:7]
	v_mov_b32_e32 v20, s10
	s_xor_b64 exec, exec, s[6:7]
	s_cbranch_execnz .LBB38_3612
.LBB38_1562:
	s_or_b64 exec, exec, s[6:7]
	s_and_saveexec_b64 s[6:7], s[4:5]
	s_cbranch_execz .LBB38_1564
.LBB38_1563:
	v_bfe_u32 v20, v14, 24, 3
	v_ffbh_u32_e32 v24, v20
	v_min_u32_e32 v24, 32, v24
	v_lshrrev_b32_e32 v22, 27, v14
	v_subrev_u32_e32 v25, 28, v24
	v_and_b32_e32 v21, 0x80000000, v14
	v_and_b32_e32 v22, 15, v22
	v_bfe_u32 v23, v14, 27, 4
	v_lshlrev_b32_sdwa v14, v25, v14 dst_sel:DWORD dst_unused:UNUSED_PAD src0_sel:DWORD src1_sel:BYTE_3
	v_sub_u32_e32 v24, 29, v24
	v_and_b32_e32 v14, 7, v14
	v_cmp_eq_u16_e32 vcc, 0, v22
	v_cndmask_b32_e32 v14, v20, v14, vcc
	v_cndmask_b32_e32 v20, v23, v24, vcc
	v_mov_b32_e32 v22, 0x3b800000
	v_lshlrev_b32_e32 v14, 20, v14
	v_lshl_add_u32 v20, v20, 23, v22
	v_or3_b32 v20, v21, v20, v14
.LBB38_1564:
	s_or_b64 exec, exec, s[6:7]
	s_movk_i32 s4, 0x7f
	v_cmp_gt_i16_sdwa s[6:7], v10, s4 src0_sel:BYTE_3 src1_sel:DWORD
	s_mov_b64 s[4:5], 0
                                        ; implicit-def: $sgpr10
	s_and_saveexec_b64 s[8:9], s[6:7]
	s_xor_b64 s[6:7], exec, s[8:9]
	s_cbranch_execnz .LBB38_3613
; %bb.1565:
	s_or_saveexec_b64 s[6:7], s[6:7]
	v_mov_b32_e32 v14, s10
	s_xor_b64 exec, exec, s[6:7]
	s_cbranch_execnz .LBB38_3616
.LBB38_1566:
	s_or_b64 exec, exec, s[6:7]
	s_and_saveexec_b64 s[6:7], s[4:5]
	s_cbranch_execz .LBB38_1568
.LBB38_1567:
	v_bfe_u32 v14, v10, 24, 3
	v_ffbh_u32_e32 v24, v14
	v_min_u32_e32 v24, 32, v24
	v_lshrrev_b32_e32 v22, 27, v10
	v_subrev_u32_e32 v25, 28, v24
	v_and_b32_e32 v21, 0x80000000, v10
	v_and_b32_e32 v22, 15, v22
	v_bfe_u32 v23, v10, 27, 4
	v_lshlrev_b32_sdwa v10, v25, v10 dst_sel:DWORD dst_unused:UNUSED_PAD src0_sel:DWORD src1_sel:BYTE_3
	v_sub_u32_e32 v24, 29, v24
	v_and_b32_e32 v10, 7, v10
	v_cmp_eq_u16_e32 vcc, 0, v22
	v_cndmask_b32_e32 v10, v14, v10, vcc
	v_cndmask_b32_e32 v14, v23, v24, vcc
	v_mov_b32_e32 v22, 0x3b800000
	v_lshlrev_b32_e32 v10, 20, v10
	v_lshl_add_u32 v14, v14, 23, v22
	v_or3_b32 v14, v21, v14, v10
.LBB38_1568:
	s_or_b64 exec, exec, s[6:7]
	s_nop 0
	v_mfma_f32_16x16x4f32 a[0:3], v20, v14, a[0:3]
	s_movk_i32 s4, 0x7f
	v_cmp_gt_i16_sdwa s[6:7], v15, s4 src0_sel:BYTE_0 src1_sel:DWORD
	s_mov_b64 s[4:5], 0
                                        ; implicit-def: $sgpr10
	s_and_saveexec_b64 s[8:9], s[6:7]
	s_xor_b64 s[6:7], exec, s[8:9]
	s_cbranch_execnz .LBB38_3617
; %bb.1569:
	s_or_saveexec_b64 s[6:7], s[6:7]
	v_mov_b32_e32 v10, s10
	s_xor_b64 exec, exec, s[6:7]
	s_cbranch_execnz .LBB38_3620
.LBB38_1570:
	s_or_b64 exec, exec, s[6:7]
	s_and_saveexec_b64 s[6:7], s[4:5]
	s_cbranch_execz .LBB38_1572
.LBB38_1571:
	v_and_b32_e32 v10, 7, v15
	v_ffbh_u32_e32 v20, v10
	v_min_u32_e32 v20, 32, v20
	v_lshrrev_b16_e32 v14, 3, v15
	v_subrev_u32_e32 v21, 28, v20
	v_and_b32_e32 v14, 15, v14
	v_lshlrev_b32_e32 v21, v21, v15
	v_sub_u32_e32 v20, 29, v20
	v_and_b32_e32 v21, 7, v21
	v_cmp_eq_u16_e32 vcc, 0, v14
	v_cndmask_b32_e32 v10, v10, v21, vcc
	v_cndmask_b32_e32 v14, v14, v20, vcc
	v_lshlrev_b32_e32 v20, 24, v15
	v_mov_b32_e32 v21, 0x3b800000
	v_lshlrev_b32_e32 v10, 20, v10
	v_and_b32_e32 v20, 0x80000000, v20
	v_lshl_add_u32 v14, v14, 23, v21
	v_or3_b32 v10, v20, v14, v10
.LBB38_1572:
	s_or_b64 exec, exec, s[6:7]
	s_movk_i32 s4, 0x7f
	v_cmp_gt_i16_sdwa s[6:7], v11, s4 src0_sel:BYTE_0 src1_sel:DWORD
	s_mov_b64 s[4:5], 0
                                        ; implicit-def: $sgpr10
	s_and_saveexec_b64 s[8:9], s[6:7]
	s_xor_b64 s[6:7], exec, s[8:9]
	s_cbranch_execnz .LBB38_3621
; %bb.1573:
	s_or_saveexec_b64 s[6:7], s[6:7]
	v_mov_b32_e32 v14, s10
	s_xor_b64 exec, exec, s[6:7]
	s_cbranch_execnz .LBB38_3624
.LBB38_1574:
	s_or_b64 exec, exec, s[6:7]
	s_and_saveexec_b64 s[6:7], s[4:5]
	s_cbranch_execz .LBB38_1576
.LBB38_1575:
	v_and_b32_e32 v14, 7, v11
	v_ffbh_u32_e32 v21, v14
	v_min_u32_e32 v21, 32, v21
	v_lshrrev_b16_e32 v20, 3, v11
	v_subrev_u32_e32 v22, 28, v21
	v_and_b32_e32 v20, 15, v20
	v_lshlrev_b32_e32 v22, v22, v11
	v_sub_u32_e32 v21, 29, v21
	v_and_b32_e32 v22, 7, v22
	v_cmp_eq_u16_e32 vcc, 0, v20
	v_cndmask_b32_e32 v14, v14, v22, vcc
	v_cndmask_b32_e32 v20, v20, v21, vcc
	v_lshlrev_b32_e32 v21, 24, v11
	v_mov_b32_e32 v22, 0x3b800000
	v_lshlrev_b32_e32 v14, 20, v14
	v_and_b32_e32 v21, 0x80000000, v21
	v_lshl_add_u32 v20, v20, 23, v22
	v_or3_b32 v14, v21, v20, v14
.LBB38_1576:
	s_or_b64 exec, exec, s[6:7]
	s_nop 0
	v_mfma_f32_16x16x4f32 a[0:3], v10, v14, a[0:3]
	v_lshrrev_b32_e32 v14, 8, v15
	s_movk_i32 s4, 0x7f
	v_cmp_gt_i16_sdwa s[6:7], v14, s4 src0_sel:BYTE_0 src1_sel:DWORD
	s_mov_b64 s[4:5], 0
                                        ; implicit-def: $sgpr10
	s_and_saveexec_b64 s[8:9], s[6:7]
	s_xor_b64 s[6:7], exec, s[8:9]
	s_cbranch_execnz .LBB38_3625
; %bb.1577:
	s_or_saveexec_b64 s[6:7], s[6:7]
	v_mov_b32_e32 v10, s10
	s_xor_b64 exec, exec, s[6:7]
	s_cbranch_execnz .LBB38_3628
.LBB38_1578:
	s_or_b64 exec, exec, s[6:7]
	s_and_saveexec_b64 s[6:7], s[4:5]
	s_cbranch_execz .LBB38_1580
.LBB38_1579:
	v_bfe_u32 v10, v15, 8, 3
	v_ffbh_u32_e32 v21, v10
	v_min_u32_e32 v21, 32, v21
	v_lshrrev_b16_e32 v20, 3, v14
	v_subrev_u32_e32 v22, 28, v21
	v_and_b32_e32 v20, 15, v20
	v_lshlrev_b32_e32 v14, v22, v14
	v_sub_u32_e32 v21, 29, v21
	v_and_b32_e32 v14, 7, v14
	v_cmp_eq_u16_e32 vcc, 0, v20
	v_cndmask_b32_e32 v10, v10, v14, vcc
	v_cndmask_b32_e32 v14, v20, v21, vcc
	v_lshlrev_b32_e32 v20, 16, v15
	v_mov_b32_e32 v21, 0x3b800000
	v_lshlrev_b32_e32 v10, 20, v10
	v_and_b32_e32 v20, 0x80000000, v20
	v_lshl_add_u32 v14, v14, 23, v21
	v_or3_b32 v10, v20, v14, v10
.LBB38_1580:
	s_or_b64 exec, exec, s[6:7]
	v_lshrrev_b32_e32 v14, 8, v11
	s_movk_i32 s4, 0x7f
	v_cmp_gt_i16_sdwa s[6:7], v14, s4 src0_sel:BYTE_0 src1_sel:DWORD
	s_mov_b64 s[4:5], 0
                                        ; implicit-def: $sgpr10
	s_and_saveexec_b64 s[8:9], s[6:7]
	s_xor_b64 s[6:7], exec, s[8:9]
	s_cbranch_execnz .LBB38_3629
; %bb.1581:
	s_or_saveexec_b64 s[6:7], s[6:7]
	v_mov_b32_e32 v20, s10
	s_xor_b64 exec, exec, s[6:7]
	s_cbranch_execnz .LBB38_3632
.LBB38_1582:
	s_or_b64 exec, exec, s[6:7]
	s_and_saveexec_b64 s[6:7], s[4:5]
	s_cbranch_execz .LBB38_1584
.LBB38_1583:
	v_bfe_u32 v20, v11, 8, 3
	v_ffbh_u32_e32 v22, v20
	v_min_u32_e32 v22, 32, v22
	v_lshrrev_b16_e32 v21, 3, v14
	v_subrev_u32_e32 v23, 28, v22
	v_and_b32_e32 v21, 15, v21
	v_lshlrev_b32_e32 v14, v23, v14
	v_sub_u32_e32 v22, 29, v22
	v_and_b32_e32 v14, 7, v14
	v_cmp_eq_u16_e32 vcc, 0, v21
	v_cndmask_b32_e32 v14, v20, v14, vcc
	v_cndmask_b32_e32 v20, v21, v22, vcc
	v_lshlrev_b32_e32 v21, 16, v11
	v_mov_b32_e32 v22, 0x3b800000
	v_lshlrev_b32_e32 v14, 20, v14
	v_and_b32_e32 v21, 0x80000000, v21
	v_lshl_add_u32 v20, v20, 23, v22
	v_or3_b32 v20, v21, v20, v14
.LBB38_1584:
	s_or_b64 exec, exec, s[6:7]
	s_nop 0
	v_mfma_f32_16x16x4f32 a[0:3], v10, v20, a[0:3]
	s_movk_i32 s4, 0xff
	v_and_b32_sdwa v14, v15, s4 dst_sel:DWORD dst_unused:UNUSED_PAD src0_sel:WORD_1 src1_sel:DWORD
	s_movk_i32 s4, 0x7f
	v_cmp_lt_i16_e32 vcc, s4, v14
	s_mov_b64 s[4:5], 0
                                        ; implicit-def: $sgpr10
	s_and_saveexec_b64 s[6:7], vcc
	s_xor_b64 s[6:7], exec, s[6:7]
	s_cbranch_execnz .LBB38_3633
; %bb.1585:
	s_or_saveexec_b64 s[6:7], s[6:7]
	v_mov_b32_e32 v10, s10
	s_xor_b64 exec, exec, s[6:7]
	s_cbranch_execnz .LBB38_3636
.LBB38_1586:
	s_or_b64 exec, exec, s[6:7]
	s_and_saveexec_b64 s[6:7], s[4:5]
	s_cbranch_execz .LBB38_1588
.LBB38_1587:
	v_bfe_u32 v10, v15, 16, 3
	v_ffbh_u32_e32 v21, v10
	v_min_u32_e32 v21, 32, v21
	v_lshrrev_b32_e32 v14, 19, v15
	v_subrev_u32_e32 v22, 28, v21
	v_and_b32_e32 v14, 15, v14
	v_lshlrev_b32_sdwa v22, v22, v15 dst_sel:DWORD dst_unused:UNUSED_PAD src0_sel:DWORD src1_sel:WORD_1
	v_bfe_u32 v20, v15, 19, 4
	v_sub_u32_e32 v21, 29, v21
	v_and_b32_e32 v22, 7, v22
	v_cmp_eq_u16_e32 vcc, 0, v14
	v_cndmask_b32_e32 v10, v10, v22, vcc
	v_cndmask_b32_e32 v14, v20, v21, vcc
	v_lshlrev_b32_e32 v20, 8, v15
	v_mov_b32_e32 v21, 0x3b800000
	v_lshlrev_b32_e32 v10, 20, v10
	v_and_b32_e32 v20, 0x80000000, v20
	v_lshl_add_u32 v14, v14, 23, v21
	v_or3_b32 v10, v20, v14, v10
.LBB38_1588:
	s_or_b64 exec, exec, s[6:7]
	s_movk_i32 s4, 0xff
	v_and_b32_sdwa v14, v11, s4 dst_sel:DWORD dst_unused:UNUSED_PAD src0_sel:WORD_1 src1_sel:DWORD
	s_movk_i32 s4, 0x7f
	v_cmp_lt_i16_e32 vcc, s4, v14
	s_mov_b64 s[4:5], 0
                                        ; implicit-def: $sgpr10
	s_and_saveexec_b64 s[6:7], vcc
	s_xor_b64 s[6:7], exec, s[6:7]
	s_cbranch_execnz .LBB38_3637
; %bb.1589:
	s_or_saveexec_b64 s[6:7], s[6:7]
	v_mov_b32_e32 v20, s10
	s_xor_b64 exec, exec, s[6:7]
	s_cbranch_execnz .LBB38_3640
.LBB38_1590:
	s_or_b64 exec, exec, s[6:7]
	s_and_saveexec_b64 s[6:7], s[4:5]
	s_cbranch_execz .LBB38_1592
.LBB38_1591:
	v_bfe_u32 v14, v11, 16, 3
	v_ffbh_u32_e32 v22, v14
	v_min_u32_e32 v22, 32, v22
	v_lshrrev_b32_e32 v20, 19, v11
	v_subrev_u32_e32 v23, 28, v22
	v_and_b32_e32 v20, 15, v20
	v_lshlrev_b32_sdwa v23, v23, v11 dst_sel:DWORD dst_unused:UNUSED_PAD src0_sel:DWORD src1_sel:WORD_1
	v_bfe_u32 v21, v11, 19, 4
	v_sub_u32_e32 v22, 29, v22
	v_and_b32_e32 v23, 7, v23
	v_cmp_eq_u16_e32 vcc, 0, v20
	v_cndmask_b32_e32 v14, v14, v23, vcc
	v_cndmask_b32_e32 v20, v21, v22, vcc
	v_lshlrev_b32_e32 v21, 8, v11
	v_mov_b32_e32 v22, 0x3b800000
	v_lshlrev_b32_e32 v14, 20, v14
	v_and_b32_e32 v21, 0x80000000, v21
	v_lshl_add_u32 v20, v20, 23, v22
	v_or3_b32 v20, v21, v20, v14
.LBB38_1592:
	s_or_b64 exec, exec, s[6:7]
	s_nop 0
	v_mfma_f32_16x16x4f32 a[0:3], v10, v20, a[0:3]
	s_movk_i32 s4, 0x7f
	v_cmp_gt_i16_sdwa s[6:7], v15, s4 src0_sel:BYTE_3 src1_sel:DWORD
	s_mov_b64 s[4:5], 0
                                        ; implicit-def: $sgpr10
	s_and_saveexec_b64 s[8:9], s[6:7]
	s_xor_b64 s[6:7], exec, s[8:9]
	s_cbranch_execnz .LBB38_3641
; %bb.1593:
	s_or_saveexec_b64 s[6:7], s[6:7]
	v_mov_b32_e32 v10, s10
	s_xor_b64 exec, exec, s[6:7]
	s_cbranch_execnz .LBB38_3644
.LBB38_1594:
	s_or_b64 exec, exec, s[6:7]
	s_and_saveexec_b64 s[6:7], s[4:5]
	s_cbranch_execz .LBB38_1596
.LBB38_1595:
	v_bfe_u32 v10, v15, 24, 3
	v_ffbh_u32_e32 v22, v10
	v_min_u32_e32 v22, 32, v22
	v_lshrrev_b32_e32 v20, 27, v15
	v_subrev_u32_e32 v23, 28, v22
	v_and_b32_e32 v14, 0x80000000, v15
	v_and_b32_e32 v20, 15, v20
	v_bfe_u32 v21, v15, 27, 4
	v_lshlrev_b32_sdwa v15, v23, v15 dst_sel:DWORD dst_unused:UNUSED_PAD src0_sel:DWORD src1_sel:BYTE_3
	v_sub_u32_e32 v22, 29, v22
	v_and_b32_e32 v15, 7, v15
	v_cmp_eq_u16_e32 vcc, 0, v20
	v_cndmask_b32_e32 v10, v10, v15, vcc
	v_cndmask_b32_e32 v15, v21, v22, vcc
	v_mov_b32_e32 v20, 0x3b800000
	v_lshlrev_b32_e32 v10, 20, v10
	v_lshl_add_u32 v15, v15, 23, v20
	v_or3_b32 v10, v14, v15, v10
.LBB38_1596:
	s_or_b64 exec, exec, s[6:7]
	s_movk_i32 s4, 0x7f
	v_cmp_gt_i16_sdwa s[6:7], v11, s4 src0_sel:BYTE_3 src1_sel:DWORD
	s_mov_b64 s[4:5], 0
                                        ; implicit-def: $sgpr10
	s_and_saveexec_b64 s[8:9], s[6:7]
	s_xor_b64 s[6:7], exec, s[8:9]
	s_cbranch_execnz .LBB38_3645
; %bb.1597:
	s_or_saveexec_b64 s[6:7], s[6:7]
	v_mov_b32_e32 v14, s10
	s_xor_b64 exec, exec, s[6:7]
	s_cbranch_execnz .LBB38_3648
.LBB38_1598:
	s_or_b64 exec, exec, s[6:7]
	s_and_saveexec_b64 s[6:7], s[4:5]
	s_cbranch_execz .LBB38_1600
.LBB38_1599:
	v_bfe_u32 v14, v11, 24, 3
	v_ffbh_u32_e32 v22, v14
	v_min_u32_e32 v22, 32, v22
	v_lshrrev_b32_e32 v20, 27, v11
	v_subrev_u32_e32 v23, 28, v22
	v_and_b32_e32 v15, 0x80000000, v11
	v_and_b32_e32 v20, 15, v20
	v_bfe_u32 v21, v11, 27, 4
	v_lshlrev_b32_sdwa v11, v23, v11 dst_sel:DWORD dst_unused:UNUSED_PAD src0_sel:DWORD src1_sel:BYTE_3
	v_sub_u32_e32 v22, 29, v22
	v_and_b32_e32 v11, 7, v11
	v_cmp_eq_u16_e32 vcc, 0, v20
	v_cndmask_b32_e32 v11, v14, v11, vcc
	v_cndmask_b32_e32 v14, v21, v22, vcc
	v_mov_b32_e32 v20, 0x3b800000
	v_lshlrev_b32_e32 v11, 20, v11
	v_lshl_add_u32 v14, v14, 23, v20
	v_or3_b32 v14, v15, v14, v11
.LBB38_1600:
	s_or_b64 exec, exec, s[6:7]
	s_nop 0
	v_mfma_f32_16x16x4f32 a[0:3], v10, v14, a[0:3]
	s_movk_i32 s4, 0x7f
	v_cmp_gt_i16_sdwa s[6:7], v16, s4 src0_sel:BYTE_0 src1_sel:DWORD
	s_mov_b64 s[4:5], 0
                                        ; implicit-def: $sgpr10
	s_and_saveexec_b64 s[8:9], s[6:7]
	s_xor_b64 s[6:7], exec, s[8:9]
	s_cbranch_execnz .LBB38_3649
; %bb.1601:
	s_or_saveexec_b64 s[6:7], s[6:7]
	v_mov_b32_e32 v10, s10
	s_xor_b64 exec, exec, s[6:7]
	s_cbranch_execnz .LBB38_3652
.LBB38_1602:
	s_or_b64 exec, exec, s[6:7]
	s_and_saveexec_b64 s[6:7], s[4:5]
	s_cbranch_execz .LBB38_1604
.LBB38_1603:
	v_and_b32_e32 v10, 7, v16
	v_ffbh_u32_e32 v14, v10
	v_min_u32_e32 v14, 32, v14
	v_lshrrev_b16_e32 v11, 3, v16
	v_subrev_u32_e32 v15, 28, v14
	v_and_b32_e32 v11, 15, v11
	v_lshlrev_b32_e32 v15, v15, v16
	v_sub_u32_e32 v14, 29, v14
	v_and_b32_e32 v15, 7, v15
	v_cmp_eq_u16_e32 vcc, 0, v11
	v_cndmask_b32_e32 v10, v10, v15, vcc
	v_cndmask_b32_e32 v11, v11, v14, vcc
	v_lshlrev_b32_e32 v14, 24, v16
	v_mov_b32_e32 v15, 0x3b800000
	v_lshlrev_b32_e32 v10, 20, v10
	v_and_b32_e32 v14, 0x80000000, v14
	v_lshl_add_u32 v11, v11, 23, v15
	v_or3_b32 v10, v14, v11, v10
.LBB38_1604:
	s_or_b64 exec, exec, s[6:7]
	s_movk_i32 s4, 0x7f
	v_cmp_gt_i16_sdwa s[6:7], v12, s4 src0_sel:BYTE_0 src1_sel:DWORD
	s_mov_b64 s[4:5], 0
                                        ; implicit-def: $sgpr10
	s_and_saveexec_b64 s[8:9], s[6:7]
	s_xor_b64 s[6:7], exec, s[8:9]
	s_cbranch_execnz .LBB38_3653
; %bb.1605:
	s_or_saveexec_b64 s[6:7], s[6:7]
	v_mov_b32_e32 v11, s10
	s_xor_b64 exec, exec, s[6:7]
	s_cbranch_execnz .LBB38_3656
.LBB38_1606:
	s_or_b64 exec, exec, s[6:7]
	s_and_saveexec_b64 s[6:7], s[4:5]
	s_cbranch_execz .LBB38_1608
.LBB38_1607:
	v_and_b32_e32 v11, 7, v12
	v_ffbh_u32_e32 v15, v11
	v_min_u32_e32 v15, 32, v15
	v_lshrrev_b16_e32 v14, 3, v12
	v_subrev_u32_e32 v20, 28, v15
	v_and_b32_e32 v14, 15, v14
	v_lshlrev_b32_e32 v20, v20, v12
	v_sub_u32_e32 v15, 29, v15
	v_and_b32_e32 v20, 7, v20
	v_cmp_eq_u16_e32 vcc, 0, v14
	v_cndmask_b32_e32 v11, v11, v20, vcc
	v_cndmask_b32_e32 v14, v14, v15, vcc
	v_lshlrev_b32_e32 v15, 24, v12
	v_mov_b32_e32 v20, 0x3b800000
	v_lshlrev_b32_e32 v11, 20, v11
	v_and_b32_e32 v15, 0x80000000, v15
	v_lshl_add_u32 v14, v14, 23, v20
	v_or3_b32 v11, v15, v14, v11
.LBB38_1608:
	s_or_b64 exec, exec, s[6:7]
	s_nop 0
	v_mfma_f32_16x16x4f32 a[0:3], v10, v11, a[0:3]
	v_lshrrev_b32_e32 v11, 8, v16
	s_movk_i32 s4, 0x7f
	v_cmp_gt_i16_sdwa s[6:7], v11, s4 src0_sel:BYTE_0 src1_sel:DWORD
	s_mov_b64 s[4:5], 0
                                        ; implicit-def: $sgpr10
	s_and_saveexec_b64 s[8:9], s[6:7]
	s_xor_b64 s[6:7], exec, s[8:9]
	s_cbranch_execnz .LBB38_3657
; %bb.1609:
	s_or_saveexec_b64 s[6:7], s[6:7]
	v_mov_b32_e32 v10, s10
	s_xor_b64 exec, exec, s[6:7]
	s_cbranch_execnz .LBB38_3660
.LBB38_1610:
	s_or_b64 exec, exec, s[6:7]
	s_and_saveexec_b64 s[6:7], s[4:5]
	s_cbranch_execz .LBB38_1612
.LBB38_1611:
	v_bfe_u32 v10, v16, 8, 3
	v_ffbh_u32_e32 v15, v10
	v_min_u32_e32 v15, 32, v15
	v_lshrrev_b16_e32 v14, 3, v11
	v_subrev_u32_e32 v20, 28, v15
	v_and_b32_e32 v14, 15, v14
	v_lshlrev_b32_e32 v11, v20, v11
	v_sub_u32_e32 v15, 29, v15
	v_and_b32_e32 v11, 7, v11
	v_cmp_eq_u16_e32 vcc, 0, v14
	v_cndmask_b32_e32 v10, v10, v11, vcc
	v_cndmask_b32_e32 v11, v14, v15, vcc
	v_lshlrev_b32_e32 v14, 16, v16
	v_mov_b32_e32 v15, 0x3b800000
	v_lshlrev_b32_e32 v10, 20, v10
	v_and_b32_e32 v14, 0x80000000, v14
	v_lshl_add_u32 v11, v11, 23, v15
	v_or3_b32 v10, v14, v11, v10
.LBB38_1612:
	s_or_b64 exec, exec, s[6:7]
	v_lshrrev_b32_e32 v11, 8, v12
	s_movk_i32 s4, 0x7f
	v_cmp_gt_i16_sdwa s[6:7], v11, s4 src0_sel:BYTE_0 src1_sel:DWORD
	s_mov_b64 s[4:5], 0
                                        ; implicit-def: $sgpr10
	s_and_saveexec_b64 s[8:9], s[6:7]
	s_xor_b64 s[6:7], exec, s[8:9]
	s_cbranch_execnz .LBB38_3661
; %bb.1613:
	s_or_saveexec_b64 s[6:7], s[6:7]
	v_mov_b32_e32 v14, s10
	s_xor_b64 exec, exec, s[6:7]
	s_cbranch_execnz .LBB38_3664
.LBB38_1614:
	s_or_b64 exec, exec, s[6:7]
	s_and_saveexec_b64 s[6:7], s[4:5]
	s_cbranch_execz .LBB38_1616
.LBB38_1615:
	v_bfe_u32 v14, v12, 8, 3
	v_ffbh_u32_e32 v20, v14
	v_min_u32_e32 v20, 32, v20
	v_lshrrev_b16_e32 v15, 3, v11
	v_subrev_u32_e32 v21, 28, v20
	v_and_b32_e32 v15, 15, v15
	v_lshlrev_b32_e32 v11, v21, v11
	v_sub_u32_e32 v20, 29, v20
	v_and_b32_e32 v11, 7, v11
	v_cmp_eq_u16_e32 vcc, 0, v15
	v_cndmask_b32_e32 v11, v14, v11, vcc
	v_cndmask_b32_e32 v14, v15, v20, vcc
	v_lshlrev_b32_e32 v15, 16, v12
	v_mov_b32_e32 v20, 0x3b800000
	v_lshlrev_b32_e32 v11, 20, v11
	v_and_b32_e32 v15, 0x80000000, v15
	v_lshl_add_u32 v14, v14, 23, v20
	v_or3_b32 v14, v15, v14, v11
.LBB38_1616:
	s_or_b64 exec, exec, s[6:7]
	s_nop 0
	v_mfma_f32_16x16x4f32 a[0:3], v10, v14, a[0:3]
	s_movk_i32 s4, 0xff
	v_and_b32_sdwa v11, v16, s4 dst_sel:DWORD dst_unused:UNUSED_PAD src0_sel:WORD_1 src1_sel:DWORD
	s_movk_i32 s4, 0x7f
	v_cmp_lt_i16_e32 vcc, s4, v11
	s_mov_b64 s[4:5], 0
                                        ; implicit-def: $sgpr10
	s_and_saveexec_b64 s[6:7], vcc
	s_xor_b64 s[6:7], exec, s[6:7]
	s_cbranch_execnz .LBB38_3665
; %bb.1617:
	s_or_saveexec_b64 s[6:7], s[6:7]
	v_mov_b32_e32 v10, s10
	s_xor_b64 exec, exec, s[6:7]
	s_cbranch_execnz .LBB38_3668
.LBB38_1618:
	s_or_b64 exec, exec, s[6:7]
	s_and_saveexec_b64 s[6:7], s[4:5]
	s_cbranch_execz .LBB38_1620
.LBB38_1619:
	v_bfe_u32 v10, v16, 16, 3
	v_ffbh_u32_e32 v15, v10
	v_min_u32_e32 v15, 32, v15
	v_lshrrev_b32_e32 v11, 19, v16
	v_subrev_u32_e32 v20, 28, v15
	v_and_b32_e32 v11, 15, v11
	v_lshlrev_b32_sdwa v20, v20, v16 dst_sel:DWORD dst_unused:UNUSED_PAD src0_sel:DWORD src1_sel:WORD_1
	v_bfe_u32 v14, v16, 19, 4
	v_sub_u32_e32 v15, 29, v15
	v_and_b32_e32 v20, 7, v20
	v_cmp_eq_u16_e32 vcc, 0, v11
	v_cndmask_b32_e32 v10, v10, v20, vcc
	v_cndmask_b32_e32 v11, v14, v15, vcc
	v_lshlrev_b32_e32 v14, 8, v16
	v_mov_b32_e32 v15, 0x3b800000
	v_lshlrev_b32_e32 v10, 20, v10
	v_and_b32_e32 v14, 0x80000000, v14
	v_lshl_add_u32 v11, v11, 23, v15
	v_or3_b32 v10, v14, v11, v10
.LBB38_1620:
	s_or_b64 exec, exec, s[6:7]
	s_movk_i32 s4, 0xff
	v_and_b32_sdwa v11, v12, s4 dst_sel:DWORD dst_unused:UNUSED_PAD src0_sel:WORD_1 src1_sel:DWORD
	s_movk_i32 s4, 0x7f
	v_cmp_lt_i16_e32 vcc, s4, v11
	s_mov_b64 s[4:5], 0
                                        ; implicit-def: $sgpr10
	s_and_saveexec_b64 s[6:7], vcc
	s_xor_b64 s[6:7], exec, s[6:7]
	s_cbranch_execnz .LBB38_3669
; %bb.1621:
	s_or_saveexec_b64 s[6:7], s[6:7]
	v_mov_b32_e32 v14, s10
	s_xor_b64 exec, exec, s[6:7]
	s_cbranch_execnz .LBB38_3672
.LBB38_1622:
	s_or_b64 exec, exec, s[6:7]
	s_and_saveexec_b64 s[6:7], s[4:5]
	s_cbranch_execz .LBB38_1624
.LBB38_1623:
	v_bfe_u32 v11, v12, 16, 3
	v_ffbh_u32_e32 v20, v11
	v_min_u32_e32 v20, 32, v20
	v_lshrrev_b32_e32 v14, 19, v12
	v_subrev_u32_e32 v21, 28, v20
	v_and_b32_e32 v14, 15, v14
	v_lshlrev_b32_sdwa v21, v21, v12 dst_sel:DWORD dst_unused:UNUSED_PAD src0_sel:DWORD src1_sel:WORD_1
	v_bfe_u32 v15, v12, 19, 4
	v_sub_u32_e32 v20, 29, v20
	v_and_b32_e32 v21, 7, v21
	v_cmp_eq_u16_e32 vcc, 0, v14
	v_cndmask_b32_e32 v11, v11, v21, vcc
	v_cndmask_b32_e32 v14, v15, v20, vcc
	v_lshlrev_b32_e32 v15, 8, v12
	v_mov_b32_e32 v20, 0x3b800000
	v_lshlrev_b32_e32 v11, 20, v11
	v_and_b32_e32 v15, 0x80000000, v15
	v_lshl_add_u32 v14, v14, 23, v20
	v_or3_b32 v14, v15, v14, v11
.LBB38_1624:
	s_or_b64 exec, exec, s[6:7]
	s_nop 0
	v_mfma_f32_16x16x4f32 a[0:3], v10, v14, a[0:3]
	s_movk_i32 s4, 0x7f
	v_cmp_gt_i16_sdwa s[6:7], v16, s4 src0_sel:BYTE_3 src1_sel:DWORD
	s_mov_b64 s[4:5], 0
                                        ; implicit-def: $sgpr10
	s_and_saveexec_b64 s[8:9], s[6:7]
	s_xor_b64 s[6:7], exec, s[8:9]
	s_cbranch_execnz .LBB38_3673
; %bb.1625:
	s_or_saveexec_b64 s[6:7], s[6:7]
	v_mov_b32_e32 v10, s10
	s_xor_b64 exec, exec, s[6:7]
	s_cbranch_execnz .LBB38_3676
.LBB38_1626:
	s_or_b64 exec, exec, s[6:7]
	s_and_saveexec_b64 s[6:7], s[4:5]
	s_cbranch_execz .LBB38_1628
.LBB38_1627:
	v_bfe_u32 v10, v16, 24, 3
	v_ffbh_u32_e32 v20, v10
	v_min_u32_e32 v20, 32, v20
	v_lshrrev_b32_e32 v14, 27, v16
	v_subrev_u32_e32 v21, 28, v20
	v_and_b32_e32 v11, 0x80000000, v16
	v_and_b32_e32 v14, 15, v14
	v_bfe_u32 v15, v16, 27, 4
	v_lshlrev_b32_sdwa v16, v21, v16 dst_sel:DWORD dst_unused:UNUSED_PAD src0_sel:DWORD src1_sel:BYTE_3
	v_sub_u32_e32 v20, 29, v20
	v_and_b32_e32 v16, 7, v16
	v_cmp_eq_u16_e32 vcc, 0, v14
	v_cndmask_b32_e32 v10, v10, v16, vcc
	v_cndmask_b32_e32 v14, v15, v20, vcc
	v_mov_b32_e32 v15, 0x3b800000
	v_lshlrev_b32_e32 v10, 20, v10
	v_lshl_add_u32 v14, v14, 23, v15
	v_or3_b32 v10, v11, v14, v10
.LBB38_1628:
	s_or_b64 exec, exec, s[6:7]
	s_movk_i32 s4, 0x7f
	v_cmp_gt_i16_sdwa s[6:7], v12, s4 src0_sel:BYTE_3 src1_sel:DWORD
	s_mov_b64 s[4:5], 0
                                        ; implicit-def: $sgpr10
	s_and_saveexec_b64 s[8:9], s[6:7]
	s_xor_b64 s[6:7], exec, s[8:9]
	s_cbranch_execnz .LBB38_3677
; %bb.1629:
	s_or_saveexec_b64 s[6:7], s[6:7]
	v_mov_b32_e32 v11, s10
	s_xor_b64 exec, exec, s[6:7]
	s_cbranch_execnz .LBB38_3680
.LBB38_1630:
	s_or_b64 exec, exec, s[6:7]
	s_and_saveexec_b64 s[6:7], s[4:5]
	s_cbranch_execz .LBB38_1632
.LBB38_1631:
	v_bfe_u32 v11, v12, 24, 3
	v_ffbh_u32_e32 v20, v11
	v_min_u32_e32 v20, 32, v20
	v_lshrrev_b32_e32 v15, 27, v12
	v_subrev_u32_e32 v21, 28, v20
	v_and_b32_e32 v14, 0x80000000, v12
	v_and_b32_e32 v15, 15, v15
	v_bfe_u32 v16, v12, 27, 4
	v_lshlrev_b32_sdwa v12, v21, v12 dst_sel:DWORD dst_unused:UNUSED_PAD src0_sel:DWORD src1_sel:BYTE_3
	v_sub_u32_e32 v20, 29, v20
	v_and_b32_e32 v12, 7, v12
	v_cmp_eq_u16_e32 vcc, 0, v15
	v_cndmask_b32_e32 v11, v11, v12, vcc
	v_cndmask_b32_e32 v12, v16, v20, vcc
	v_mov_b32_e32 v15, 0x3b800000
	v_lshlrev_b32_e32 v11, 20, v11
	v_lshl_add_u32 v12, v12, 23, v15
	v_or3_b32 v11, v14, v12, v11
.LBB38_1632:
	s_or_b64 exec, exec, s[6:7]
	s_nop 0
	v_mfma_f32_16x16x4f32 a[0:3], v10, v11, a[0:3]
	s_movk_i32 s4, 0x7f
	v_cmp_gt_i16_sdwa s[6:7], v17, s4 src0_sel:BYTE_0 src1_sel:DWORD
	s_mov_b64 s[4:5], 0
                                        ; implicit-def: $sgpr10
	s_and_saveexec_b64 s[8:9], s[6:7]
	s_xor_b64 s[6:7], exec, s[8:9]
	s_cbranch_execnz .LBB38_3681
; %bb.1633:
	s_or_saveexec_b64 s[6:7], s[6:7]
	v_mov_b32_e32 v10, s10
	s_xor_b64 exec, exec, s[6:7]
	s_cbranch_execnz .LBB38_3684
.LBB38_1634:
	s_or_b64 exec, exec, s[6:7]
	s_and_saveexec_b64 s[6:7], s[4:5]
	s_cbranch_execz .LBB38_1636
.LBB38_1635:
	v_and_b32_e32 v10, 7, v17
	v_ffbh_u32_e32 v12, v10
	v_min_u32_e32 v12, 32, v12
	v_lshrrev_b16_e32 v11, 3, v17
	v_subrev_u32_e32 v14, 28, v12
	v_and_b32_e32 v11, 15, v11
	v_lshlrev_b32_e32 v14, v14, v17
	v_sub_u32_e32 v12, 29, v12
	v_and_b32_e32 v14, 7, v14
	v_cmp_eq_u16_e32 vcc, 0, v11
	v_cndmask_b32_e32 v10, v10, v14, vcc
	v_cndmask_b32_e32 v11, v11, v12, vcc
	v_lshlrev_b32_e32 v12, 24, v17
	v_mov_b32_e32 v14, 0x3b800000
	v_lshlrev_b32_e32 v10, 20, v10
	v_and_b32_e32 v12, 0x80000000, v12
	v_lshl_add_u32 v11, v11, 23, v14
	v_or3_b32 v10, v12, v11, v10
.LBB38_1636:
	s_or_b64 exec, exec, s[6:7]
	s_movk_i32 s4, 0x7f
	v_cmp_gt_i16_sdwa s[6:7], v13, s4 src0_sel:BYTE_0 src1_sel:DWORD
	s_mov_b64 s[4:5], 0
                                        ; implicit-def: $sgpr10
	s_and_saveexec_b64 s[8:9], s[6:7]
	s_xor_b64 s[6:7], exec, s[8:9]
	s_cbranch_execnz .LBB38_3685
; %bb.1637:
	s_or_saveexec_b64 s[6:7], s[6:7]
	v_mov_b32_e32 v11, s10
	s_xor_b64 exec, exec, s[6:7]
	s_cbranch_execnz .LBB38_3688
.LBB38_1638:
	s_or_b64 exec, exec, s[6:7]
	s_and_saveexec_b64 s[6:7], s[4:5]
	s_cbranch_execz .LBB38_1640
.LBB38_1639:
	v_and_b32_e32 v11, 7, v13
	v_ffbh_u32_e32 v14, v11
	v_min_u32_e32 v14, 32, v14
	v_lshrrev_b16_e32 v12, 3, v13
	v_subrev_u32_e32 v15, 28, v14
	v_and_b32_e32 v12, 15, v12
	v_lshlrev_b32_e32 v15, v15, v13
	v_sub_u32_e32 v14, 29, v14
	v_and_b32_e32 v15, 7, v15
	v_cmp_eq_u16_e32 vcc, 0, v12
	v_cndmask_b32_e32 v11, v11, v15, vcc
	v_cndmask_b32_e32 v12, v12, v14, vcc
	v_lshlrev_b32_e32 v14, 24, v13
	v_mov_b32_e32 v15, 0x3b800000
	v_lshlrev_b32_e32 v11, 20, v11
	v_and_b32_e32 v14, 0x80000000, v14
	v_lshl_add_u32 v12, v12, 23, v15
	v_or3_b32 v11, v14, v12, v11
.LBB38_1640:
	s_or_b64 exec, exec, s[6:7]
	s_nop 0
	v_mfma_f32_16x16x4f32 a[0:3], v10, v11, a[0:3]
	v_lshrrev_b32_e32 v11, 8, v17
	s_movk_i32 s4, 0x7f
	v_cmp_gt_i16_sdwa s[6:7], v11, s4 src0_sel:BYTE_0 src1_sel:DWORD
	s_mov_b64 s[4:5], 0
                                        ; implicit-def: $sgpr10
	s_and_saveexec_b64 s[8:9], s[6:7]
	s_xor_b64 s[6:7], exec, s[8:9]
	s_cbranch_execnz .LBB38_3689
; %bb.1641:
	s_or_saveexec_b64 s[6:7], s[6:7]
	v_mov_b32_e32 v10, s10
	s_xor_b64 exec, exec, s[6:7]
	s_cbranch_execnz .LBB38_3692
.LBB38_1642:
	s_or_b64 exec, exec, s[6:7]
	s_and_saveexec_b64 s[6:7], s[4:5]
	s_cbranch_execz .LBB38_1644
.LBB38_1643:
	v_bfe_u32 v10, v17, 8, 3
	v_ffbh_u32_e32 v14, v10
	v_min_u32_e32 v14, 32, v14
	v_lshrrev_b16_e32 v12, 3, v11
	v_subrev_u32_e32 v15, 28, v14
	v_and_b32_e32 v12, 15, v12
	v_lshlrev_b32_e32 v11, v15, v11
	v_sub_u32_e32 v14, 29, v14
	v_and_b32_e32 v11, 7, v11
	v_cmp_eq_u16_e32 vcc, 0, v12
	v_cndmask_b32_e32 v10, v10, v11, vcc
	v_cndmask_b32_e32 v11, v12, v14, vcc
	v_lshlrev_b32_e32 v12, 16, v17
	v_mov_b32_e32 v14, 0x3b800000
	v_lshlrev_b32_e32 v10, 20, v10
	v_and_b32_e32 v12, 0x80000000, v12
	v_lshl_add_u32 v11, v11, 23, v14
	v_or3_b32 v10, v12, v11, v10
.LBB38_1644:
	s_or_b64 exec, exec, s[6:7]
	v_lshrrev_b32_e32 v11, 8, v13
	s_movk_i32 s4, 0x7f
	v_cmp_gt_i16_sdwa s[6:7], v11, s4 src0_sel:BYTE_0 src1_sel:DWORD
	s_mov_b64 s[4:5], 0
                                        ; implicit-def: $sgpr10
	s_and_saveexec_b64 s[8:9], s[6:7]
	s_xor_b64 s[6:7], exec, s[8:9]
	s_cbranch_execnz .LBB38_3693
; %bb.1645:
	s_or_saveexec_b64 s[6:7], s[6:7]
	v_mov_b32_e32 v12, s10
	s_xor_b64 exec, exec, s[6:7]
	s_cbranch_execnz .LBB38_3696
.LBB38_1646:
	s_or_b64 exec, exec, s[6:7]
	s_and_saveexec_b64 s[6:7], s[4:5]
	s_cbranch_execz .LBB38_1648
.LBB38_1647:
	v_bfe_u32 v12, v13, 8, 3
	v_ffbh_u32_e32 v15, v12
	v_min_u32_e32 v15, 32, v15
	v_lshrrev_b16_e32 v14, 3, v11
	v_subrev_u32_e32 v16, 28, v15
	v_and_b32_e32 v14, 15, v14
	v_lshlrev_b32_e32 v11, v16, v11
	v_sub_u32_e32 v15, 29, v15
	v_and_b32_e32 v11, 7, v11
	v_cmp_eq_u16_e32 vcc, 0, v14
	v_cndmask_b32_e32 v11, v12, v11, vcc
	v_cndmask_b32_e32 v12, v14, v15, vcc
	v_lshlrev_b32_e32 v14, 16, v13
	v_mov_b32_e32 v15, 0x3b800000
	v_lshlrev_b32_e32 v11, 20, v11
	v_and_b32_e32 v14, 0x80000000, v14
	v_lshl_add_u32 v12, v12, 23, v15
	v_or3_b32 v12, v14, v12, v11
.LBB38_1648:
	s_or_b64 exec, exec, s[6:7]
	s_nop 0
	v_mfma_f32_16x16x4f32 a[0:3], v10, v12, a[0:3]
	s_movk_i32 s4, 0xff
	v_and_b32_sdwa v11, v17, s4 dst_sel:DWORD dst_unused:UNUSED_PAD src0_sel:WORD_1 src1_sel:DWORD
	s_movk_i32 s4, 0x7f
	v_cmp_lt_i16_e32 vcc, s4, v11
	s_mov_b64 s[4:5], 0
                                        ; implicit-def: $sgpr10
	s_and_saveexec_b64 s[6:7], vcc
	s_xor_b64 s[6:7], exec, s[6:7]
	s_cbranch_execnz .LBB38_3697
; %bb.1649:
	s_or_saveexec_b64 s[6:7], s[6:7]
	v_mov_b32_e32 v10, s10
	s_xor_b64 exec, exec, s[6:7]
	s_cbranch_execnz .LBB38_3700
.LBB38_1650:
	s_or_b64 exec, exec, s[6:7]
	s_and_saveexec_b64 s[6:7], s[4:5]
	s_cbranch_execz .LBB38_1652
.LBB38_1651:
	v_bfe_u32 v10, v17, 16, 3
	v_ffbh_u32_e32 v14, v10
	v_min_u32_e32 v14, 32, v14
	v_lshrrev_b32_e32 v11, 19, v17
	v_subrev_u32_e32 v15, 28, v14
	v_and_b32_e32 v11, 15, v11
	v_lshlrev_b32_sdwa v15, v15, v17 dst_sel:DWORD dst_unused:UNUSED_PAD src0_sel:DWORD src1_sel:WORD_1
	v_bfe_u32 v12, v17, 19, 4
	v_sub_u32_e32 v14, 29, v14
	v_and_b32_e32 v15, 7, v15
	v_cmp_eq_u16_e32 vcc, 0, v11
	v_cndmask_b32_e32 v10, v10, v15, vcc
	v_cndmask_b32_e32 v11, v12, v14, vcc
	v_lshlrev_b32_e32 v12, 8, v17
	v_mov_b32_e32 v14, 0x3b800000
	v_lshlrev_b32_e32 v10, 20, v10
	v_and_b32_e32 v12, 0x80000000, v12
	v_lshl_add_u32 v11, v11, 23, v14
	v_or3_b32 v10, v12, v11, v10
.LBB38_1652:
	s_or_b64 exec, exec, s[6:7]
	s_movk_i32 s4, 0xff
	v_and_b32_sdwa v11, v13, s4 dst_sel:DWORD dst_unused:UNUSED_PAD src0_sel:WORD_1 src1_sel:DWORD
	s_movk_i32 s4, 0x7f
	v_cmp_lt_i16_e32 vcc, s4, v11
	s_mov_b64 s[4:5], 0
                                        ; implicit-def: $sgpr10
	s_and_saveexec_b64 s[6:7], vcc
	s_xor_b64 s[6:7], exec, s[6:7]
	s_cbranch_execnz .LBB38_3701
; %bb.1653:
	s_or_saveexec_b64 s[6:7], s[6:7]
	v_mov_b32_e32 v12, s10
	s_xor_b64 exec, exec, s[6:7]
	s_cbranch_execnz .LBB38_3704
.LBB38_1654:
	s_or_b64 exec, exec, s[6:7]
	s_and_saveexec_b64 s[6:7], s[4:5]
	s_cbranch_execz .LBB38_1656
.LBB38_1655:
	v_bfe_u32 v11, v13, 16, 3
	v_ffbh_u32_e32 v15, v11
	v_min_u32_e32 v15, 32, v15
	v_lshrrev_b32_e32 v12, 19, v13
	v_subrev_u32_e32 v16, 28, v15
	v_and_b32_e32 v12, 15, v12
	v_lshlrev_b32_sdwa v16, v16, v13 dst_sel:DWORD dst_unused:UNUSED_PAD src0_sel:DWORD src1_sel:WORD_1
	v_bfe_u32 v14, v13, 19, 4
	v_sub_u32_e32 v15, 29, v15
	v_and_b32_e32 v16, 7, v16
	v_cmp_eq_u16_e32 vcc, 0, v12
	v_cndmask_b32_e32 v11, v11, v16, vcc
	v_cndmask_b32_e32 v12, v14, v15, vcc
	v_lshlrev_b32_e32 v14, 8, v13
	v_mov_b32_e32 v15, 0x3b800000
	v_lshlrev_b32_e32 v11, 20, v11
	v_and_b32_e32 v14, 0x80000000, v14
	v_lshl_add_u32 v12, v12, 23, v15
	v_or3_b32 v12, v14, v12, v11
.LBB38_1656:
	s_or_b64 exec, exec, s[6:7]
	s_nop 0
	v_mfma_f32_16x16x4f32 a[0:3], v10, v12, a[0:3]
	s_movk_i32 s4, 0x7f
	v_cmp_gt_i16_sdwa s[6:7], v17, s4 src0_sel:BYTE_3 src1_sel:DWORD
	s_mov_b64 s[4:5], 0
                                        ; implicit-def: $sgpr10
	s_and_saveexec_b64 s[8:9], s[6:7]
	s_xor_b64 s[6:7], exec, s[8:9]
	s_cbranch_execnz .LBB38_3705
; %bb.1657:
	s_or_saveexec_b64 s[6:7], s[6:7]
	v_mov_b32_e32 v10, s10
	s_xor_b64 exec, exec, s[6:7]
	s_cbranch_execnz .LBB38_3708
.LBB38_1658:
	s_or_b64 exec, exec, s[6:7]
	s_and_saveexec_b64 s[6:7], s[4:5]
	s_cbranch_execz .LBB38_1660
.LBB38_1659:
	v_bfe_u32 v10, v17, 24, 3
	v_ffbh_u32_e32 v15, v10
	v_min_u32_e32 v15, 32, v15
	v_lshrrev_b32_e32 v12, 27, v17
	v_subrev_u32_e32 v16, 28, v15
	v_and_b32_e32 v12, 15, v12
	v_lshlrev_b32_sdwa v16, v16, v17 dst_sel:DWORD dst_unused:UNUSED_PAD src0_sel:DWORD src1_sel:BYTE_3
	v_bfe_u32 v14, v17, 27, 4
	v_sub_u32_e32 v15, 29, v15
	v_and_b32_e32 v16, 7, v16
	v_cmp_eq_u16_e32 vcc, 0, v12
	v_cndmask_b32_e32 v10, v10, v16, vcc
	v_cndmask_b32_e32 v12, v14, v15, vcc
	v_mov_b32_e32 v14, 0x3b800000
	v_and_b32_e32 v11, 0x80000000, v17
	v_lshlrev_b32_e32 v10, 20, v10
	v_lshl_add_u32 v12, v12, 23, v14
	v_or3_b32 v10, v11, v12, v10
.LBB38_1660:
	s_or_b64 exec, exec, s[6:7]
	s_movk_i32 s4, 0x7f
	v_cmp_gt_i16_sdwa s[6:7], v13, s4 src0_sel:BYTE_3 src1_sel:DWORD
	s_mov_b64 s[4:5], 0
                                        ; implicit-def: $sgpr10
	s_and_saveexec_b64 s[8:9], s[6:7]
	s_xor_b64 s[6:7], exec, s[8:9]
	s_cbranch_execnz .LBB38_3709
; %bb.1661:
	s_or_saveexec_b64 s[6:7], s[6:7]
	v_mov_b32_e32 v11, s10
	s_xor_b64 exec, exec, s[6:7]
	s_cbranch_execnz .LBB38_3712
.LBB38_1662:
	s_or_b64 exec, exec, s[6:7]
	s_and_saveexec_b64 s[6:7], s[4:5]
	s_cbranch_execz .LBB38_1664
.LBB38_1663:
	v_bfe_u32 v11, v13, 24, 3
	v_ffbh_u32_e32 v16, v11
	v_min_u32_e32 v16, 32, v16
	v_lshrrev_b32_e32 v14, 27, v13
	v_subrev_u32_e32 v17, 28, v16
	v_and_b32_e32 v12, 0x80000000, v13
	v_and_b32_e32 v14, 15, v14
	v_bfe_u32 v15, v13, 27, 4
	v_lshlrev_b32_sdwa v13, v17, v13 dst_sel:DWORD dst_unused:UNUSED_PAD src0_sel:DWORD src1_sel:BYTE_3
	v_sub_u32_e32 v16, 29, v16
	v_and_b32_e32 v13, 7, v13
	v_cmp_eq_u16_e32 vcc, 0, v14
	v_cndmask_b32_e32 v11, v11, v13, vcc
	v_cndmask_b32_e32 v13, v15, v16, vcc
	v_mov_b32_e32 v14, 0x3b800000
	v_lshlrev_b32_e32 v11, 20, v11
	v_lshl_add_u32 v13, v13, 23, v14
	v_or3_b32 v11, v12, v13, v11
.LBB38_1664:
	s_or_b64 exec, exec, s[6:7]
	s_nop 0
	v_mfma_f32_16x16x4f32 a[0:3], v10, v11, a[0:3]
	s_movk_i32 s4, 0x7f
	v_cmp_gt_i16_sdwa s[6:7], v6, s4 src0_sel:BYTE_0 src1_sel:DWORD
	s_mov_b64 s[4:5], 0
                                        ; implicit-def: $sgpr10
	s_and_saveexec_b64 s[8:9], s[6:7]
	s_xor_b64 s[6:7], exec, s[8:9]
	s_cbranch_execnz .LBB38_3713
; %bb.1665:
	s_or_saveexec_b64 s[6:7], s[6:7]
	v_mov_b32_e32 v10, s10
	s_xor_b64 exec, exec, s[6:7]
	s_cbranch_execnz .LBB38_3716
.LBB38_1666:
	s_or_b64 exec, exec, s[6:7]
	s_and_saveexec_b64 s[6:7], s[4:5]
	s_cbranch_execz .LBB38_1668
.LBB38_1667:
	v_and_b32_e32 v10, 7, v6
	v_ffbh_u32_e32 v12, v10
	v_min_u32_e32 v12, 32, v12
	v_lshrrev_b16_e32 v11, 3, v6
	v_subrev_u32_e32 v13, 28, v12
	v_and_b32_e32 v11, 15, v11
	v_lshlrev_b32_e32 v13, v13, v6
	v_sub_u32_e32 v12, 29, v12
	v_and_b32_e32 v13, 7, v13
	v_cmp_eq_u16_e32 vcc, 0, v11
	v_cndmask_b32_e32 v10, v10, v13, vcc
	v_cndmask_b32_e32 v11, v11, v12, vcc
	v_lshlrev_b32_e32 v12, 24, v6
	v_mov_b32_e32 v13, 0x3b800000
	v_lshlrev_b32_e32 v10, 20, v10
	v_and_b32_e32 v12, 0x80000000, v12
	v_lshl_add_u32 v11, v11, 23, v13
	v_or3_b32 v10, v12, v11, v10
.LBB38_1668:
	s_or_b64 exec, exec, s[6:7]
	s_movk_i32 s4, 0x7f
	v_cmp_gt_i16_sdwa s[6:7], v2, s4 src0_sel:BYTE_0 src1_sel:DWORD
	s_mov_b64 s[4:5], 0
                                        ; implicit-def: $sgpr10
	s_and_saveexec_b64 s[8:9], s[6:7]
	s_xor_b64 s[6:7], exec, s[8:9]
	s_cbranch_execnz .LBB38_3717
; %bb.1669:
	s_or_saveexec_b64 s[6:7], s[6:7]
	v_mov_b32_e32 v11, s10
	s_xor_b64 exec, exec, s[6:7]
	s_cbranch_execnz .LBB38_3720
.LBB38_1670:
	s_or_b64 exec, exec, s[6:7]
	s_and_saveexec_b64 s[6:7], s[4:5]
	s_cbranch_execz .LBB38_1672
.LBB38_1671:
	v_and_b32_e32 v11, 7, v2
	v_ffbh_u32_e32 v13, v11
	v_min_u32_e32 v13, 32, v13
	v_lshrrev_b16_e32 v12, 3, v2
	v_subrev_u32_e32 v14, 28, v13
	v_and_b32_e32 v12, 15, v12
	v_lshlrev_b32_e32 v14, v14, v2
	v_sub_u32_e32 v13, 29, v13
	v_and_b32_e32 v14, 7, v14
	v_cmp_eq_u16_e32 vcc, 0, v12
	v_cndmask_b32_e32 v11, v11, v14, vcc
	v_cndmask_b32_e32 v12, v12, v13, vcc
	v_lshlrev_b32_e32 v13, 24, v2
	v_mov_b32_e32 v14, 0x3b800000
	v_lshlrev_b32_e32 v11, 20, v11
	v_and_b32_e32 v13, 0x80000000, v13
	v_lshl_add_u32 v12, v12, 23, v14
	v_or3_b32 v11, v13, v12, v11
.LBB38_1672:
	s_or_b64 exec, exec, s[6:7]
	s_nop 0
	v_mfma_f32_16x16x4f32 a[0:3], v10, v11, a[0:3]
	v_lshrrev_b32_e32 v11, 8, v6
	s_movk_i32 s4, 0x7f
	v_cmp_gt_i16_sdwa s[6:7], v11, s4 src0_sel:BYTE_0 src1_sel:DWORD
	s_mov_b64 s[4:5], 0
                                        ; implicit-def: $sgpr10
	s_and_saveexec_b64 s[8:9], s[6:7]
	s_xor_b64 s[6:7], exec, s[8:9]
	s_cbranch_execnz .LBB38_3721
; %bb.1673:
	s_or_saveexec_b64 s[6:7], s[6:7]
	v_mov_b32_e32 v10, s10
	s_xor_b64 exec, exec, s[6:7]
	s_cbranch_execnz .LBB38_3724
.LBB38_1674:
	s_or_b64 exec, exec, s[6:7]
	s_and_saveexec_b64 s[6:7], s[4:5]
	s_cbranch_execz .LBB38_1676
.LBB38_1675:
	v_bfe_u32 v10, v6, 8, 3
	v_ffbh_u32_e32 v13, v10
	v_min_u32_e32 v13, 32, v13
	v_lshrrev_b16_e32 v12, 3, v11
	v_subrev_u32_e32 v14, 28, v13
	v_and_b32_e32 v12, 15, v12
	v_lshlrev_b32_e32 v11, v14, v11
	v_sub_u32_e32 v13, 29, v13
	v_and_b32_e32 v11, 7, v11
	v_cmp_eq_u16_e32 vcc, 0, v12
	v_cndmask_b32_e32 v10, v10, v11, vcc
	v_cndmask_b32_e32 v11, v12, v13, vcc
	v_lshlrev_b32_e32 v12, 16, v6
	v_mov_b32_e32 v13, 0x3b800000
	v_lshlrev_b32_e32 v10, 20, v10
	v_and_b32_e32 v12, 0x80000000, v12
	v_lshl_add_u32 v11, v11, 23, v13
	v_or3_b32 v10, v12, v11, v10
.LBB38_1676:
	s_or_b64 exec, exec, s[6:7]
	v_lshrrev_b32_e32 v11, 8, v2
	s_movk_i32 s4, 0x7f
	v_cmp_gt_i16_sdwa s[6:7], v11, s4 src0_sel:BYTE_0 src1_sel:DWORD
	s_mov_b64 s[4:5], 0
                                        ; implicit-def: $sgpr10
	s_and_saveexec_b64 s[8:9], s[6:7]
	s_xor_b64 s[6:7], exec, s[8:9]
	s_cbranch_execnz .LBB38_3725
; %bb.1677:
	s_or_saveexec_b64 s[6:7], s[6:7]
	v_mov_b32_e32 v12, s10
	s_xor_b64 exec, exec, s[6:7]
	s_cbranch_execnz .LBB38_3728
.LBB38_1678:
	s_or_b64 exec, exec, s[6:7]
	s_and_saveexec_b64 s[6:7], s[4:5]
	s_cbranch_execz .LBB38_1680
.LBB38_1679:
	v_bfe_u32 v12, v2, 8, 3
	v_ffbh_u32_e32 v14, v12
	v_min_u32_e32 v14, 32, v14
	v_lshrrev_b16_e32 v13, 3, v11
	v_subrev_u32_e32 v15, 28, v14
	v_and_b32_e32 v13, 15, v13
	v_lshlrev_b32_e32 v11, v15, v11
	v_sub_u32_e32 v14, 29, v14
	v_and_b32_e32 v11, 7, v11
	v_cmp_eq_u16_e32 vcc, 0, v13
	v_cndmask_b32_e32 v11, v12, v11, vcc
	v_cndmask_b32_e32 v12, v13, v14, vcc
	v_lshlrev_b32_e32 v13, 16, v2
	v_mov_b32_e32 v14, 0x3b800000
	v_lshlrev_b32_e32 v11, 20, v11
	v_and_b32_e32 v13, 0x80000000, v13
	v_lshl_add_u32 v12, v12, 23, v14
	v_or3_b32 v12, v13, v12, v11
.LBB38_1680:
	s_or_b64 exec, exec, s[6:7]
	s_nop 0
	v_mfma_f32_16x16x4f32 a[0:3], v10, v12, a[0:3]
	s_movk_i32 s4, 0xff
	v_and_b32_sdwa v11, v6, s4 dst_sel:DWORD dst_unused:UNUSED_PAD src0_sel:WORD_1 src1_sel:DWORD
	s_movk_i32 s4, 0x7f
	v_cmp_lt_i16_e32 vcc, s4, v11
	s_mov_b64 s[4:5], 0
                                        ; implicit-def: $sgpr10
	s_and_saveexec_b64 s[6:7], vcc
	s_xor_b64 s[6:7], exec, s[6:7]
	s_cbranch_execnz .LBB38_3729
; %bb.1681:
	s_or_saveexec_b64 s[6:7], s[6:7]
	v_mov_b32_e32 v10, s10
	s_xor_b64 exec, exec, s[6:7]
	s_cbranch_execnz .LBB38_3732
.LBB38_1682:
	s_or_b64 exec, exec, s[6:7]
	s_and_saveexec_b64 s[6:7], s[4:5]
	s_cbranch_execz .LBB38_1684
.LBB38_1683:
	v_bfe_u32 v10, v6, 16, 3
	v_ffbh_u32_e32 v13, v10
	v_min_u32_e32 v13, 32, v13
	v_lshrrev_b32_e32 v11, 19, v6
	v_subrev_u32_e32 v14, 28, v13
	v_and_b32_e32 v11, 15, v11
	v_lshlrev_b32_sdwa v14, v14, v6 dst_sel:DWORD dst_unused:UNUSED_PAD src0_sel:DWORD src1_sel:WORD_1
	v_bfe_u32 v12, v6, 19, 4
	v_sub_u32_e32 v13, 29, v13
	v_and_b32_e32 v14, 7, v14
	v_cmp_eq_u16_e32 vcc, 0, v11
	v_cndmask_b32_e32 v10, v10, v14, vcc
	v_cndmask_b32_e32 v11, v12, v13, vcc
	v_lshlrev_b32_e32 v12, 8, v6
	v_mov_b32_e32 v13, 0x3b800000
	v_lshlrev_b32_e32 v10, 20, v10
	v_and_b32_e32 v12, 0x80000000, v12
	v_lshl_add_u32 v11, v11, 23, v13
	v_or3_b32 v10, v12, v11, v10
.LBB38_1684:
	s_or_b64 exec, exec, s[6:7]
	s_movk_i32 s4, 0xff
	v_and_b32_sdwa v11, v2, s4 dst_sel:DWORD dst_unused:UNUSED_PAD src0_sel:WORD_1 src1_sel:DWORD
	s_movk_i32 s4, 0x7f
	v_cmp_lt_i16_e32 vcc, s4, v11
	s_mov_b64 s[4:5], 0
                                        ; implicit-def: $sgpr10
	s_and_saveexec_b64 s[6:7], vcc
	s_xor_b64 s[6:7], exec, s[6:7]
	s_cbranch_execnz .LBB38_3733
; %bb.1685:
	s_or_saveexec_b64 s[6:7], s[6:7]
	v_mov_b32_e32 v12, s10
	s_xor_b64 exec, exec, s[6:7]
	s_cbranch_execnz .LBB38_3736
.LBB38_1686:
	s_or_b64 exec, exec, s[6:7]
	s_and_saveexec_b64 s[6:7], s[4:5]
	s_cbranch_execz .LBB38_1688
.LBB38_1687:
	v_bfe_u32 v11, v2, 16, 3
	v_ffbh_u32_e32 v14, v11
	v_min_u32_e32 v14, 32, v14
	v_lshrrev_b32_e32 v12, 19, v2
	v_subrev_u32_e32 v15, 28, v14
	v_and_b32_e32 v12, 15, v12
	v_lshlrev_b32_sdwa v15, v15, v2 dst_sel:DWORD dst_unused:UNUSED_PAD src0_sel:DWORD src1_sel:WORD_1
	v_bfe_u32 v13, v2, 19, 4
	v_sub_u32_e32 v14, 29, v14
	v_and_b32_e32 v15, 7, v15
	v_cmp_eq_u16_e32 vcc, 0, v12
	v_cndmask_b32_e32 v11, v11, v15, vcc
	v_cndmask_b32_e32 v12, v13, v14, vcc
	v_lshlrev_b32_e32 v13, 8, v2
	v_mov_b32_e32 v14, 0x3b800000
	v_lshlrev_b32_e32 v11, 20, v11
	v_and_b32_e32 v13, 0x80000000, v13
	v_lshl_add_u32 v12, v12, 23, v14
	v_or3_b32 v12, v13, v12, v11
.LBB38_1688:
	s_or_b64 exec, exec, s[6:7]
	s_nop 0
	v_mfma_f32_16x16x4f32 a[0:3], v10, v12, a[0:3]
	s_movk_i32 s4, 0x7f
	v_cmp_gt_i16_sdwa s[6:7], v6, s4 src0_sel:BYTE_3 src1_sel:DWORD
	s_mov_b64 s[4:5], 0
                                        ; implicit-def: $sgpr10
	s_and_saveexec_b64 s[8:9], s[6:7]
	s_xor_b64 s[6:7], exec, s[8:9]
	s_cbranch_execnz .LBB38_3737
; %bb.1689:
	s_or_saveexec_b64 s[6:7], s[6:7]
	v_mov_b32_e32 v10, s10
	s_xor_b64 exec, exec, s[6:7]
	s_cbranch_execnz .LBB38_3740
.LBB38_1690:
	s_or_b64 exec, exec, s[6:7]
	s_and_saveexec_b64 s[6:7], s[4:5]
	s_cbranch_execz .LBB38_1692
.LBB38_1691:
	v_bfe_u32 v10, v6, 24, 3
	v_ffbh_u32_e32 v14, v10
	v_min_u32_e32 v14, 32, v14
	v_lshrrev_b32_e32 v12, 27, v6
	v_subrev_u32_e32 v15, 28, v14
	v_and_b32_e32 v11, 0x80000000, v6
	v_and_b32_e32 v12, 15, v12
	v_bfe_u32 v13, v6, 27, 4
	v_lshlrev_b32_sdwa v6, v15, v6 dst_sel:DWORD dst_unused:UNUSED_PAD src0_sel:DWORD src1_sel:BYTE_3
	v_sub_u32_e32 v14, 29, v14
	v_and_b32_e32 v6, 7, v6
	v_cmp_eq_u16_e32 vcc, 0, v12
	v_cndmask_b32_e32 v6, v10, v6, vcc
	v_cndmask_b32_e32 v10, v13, v14, vcc
	v_mov_b32_e32 v12, 0x3b800000
	v_lshlrev_b32_e32 v6, 20, v6
	v_lshl_add_u32 v10, v10, 23, v12
	v_or3_b32 v10, v11, v10, v6
.LBB38_1692:
	s_or_b64 exec, exec, s[6:7]
	s_movk_i32 s4, 0x7f
	v_cmp_gt_i16_sdwa s[6:7], v2, s4 src0_sel:BYTE_3 src1_sel:DWORD
	s_mov_b64 s[4:5], 0
                                        ; implicit-def: $sgpr10
	s_and_saveexec_b64 s[8:9], s[6:7]
	s_xor_b64 s[6:7], exec, s[8:9]
	s_cbranch_execnz .LBB38_3741
; %bb.1693:
	s_or_saveexec_b64 s[6:7], s[6:7]
	v_mov_b32_e32 v6, s10
	s_xor_b64 exec, exec, s[6:7]
	s_cbranch_execnz .LBB38_3744
.LBB38_1694:
	s_or_b64 exec, exec, s[6:7]
	s_and_saveexec_b64 s[6:7], s[4:5]
	s_cbranch_execz .LBB38_1696
.LBB38_1695:
	v_bfe_u32 v6, v2, 24, 3
	v_ffbh_u32_e32 v14, v6
	v_min_u32_e32 v14, 32, v14
	v_lshrrev_b32_e32 v12, 27, v2
	v_subrev_u32_e32 v15, 28, v14
	v_and_b32_e32 v11, 0x80000000, v2
	v_and_b32_e32 v12, 15, v12
	v_bfe_u32 v13, v2, 27, 4
	v_lshlrev_b32_sdwa v2, v15, v2 dst_sel:DWORD dst_unused:UNUSED_PAD src0_sel:DWORD src1_sel:BYTE_3
	v_sub_u32_e32 v14, 29, v14
	v_and_b32_e32 v2, 7, v2
	v_cmp_eq_u16_e32 vcc, 0, v12
	v_cndmask_b32_e32 v2, v6, v2, vcc
	v_cndmask_b32_e32 v6, v13, v14, vcc
	v_mov_b32_e32 v12, 0x3b800000
	v_lshlrev_b32_e32 v2, 20, v2
	v_lshl_add_u32 v6, v6, 23, v12
	v_or3_b32 v6, v11, v6, v2
.LBB38_1696:
	s_or_b64 exec, exec, s[6:7]
	s_nop 0
	v_mfma_f32_16x16x4f32 a[0:3], v10, v6, a[0:3]
	s_movk_i32 s4, 0x7f
	v_cmp_gt_i16_sdwa s[6:7], v7, s4 src0_sel:BYTE_0 src1_sel:DWORD
	s_mov_b64 s[4:5], 0
                                        ; implicit-def: $sgpr10
	s_and_saveexec_b64 s[8:9], s[6:7]
	s_xor_b64 s[6:7], exec, s[8:9]
	s_cbranch_execnz .LBB38_3745
; %bb.1697:
	s_or_saveexec_b64 s[6:7], s[6:7]
	v_mov_b32_e32 v2, s10
	s_xor_b64 exec, exec, s[6:7]
	s_cbranch_execnz .LBB38_3748
.LBB38_1698:
	s_or_b64 exec, exec, s[6:7]
	s_and_saveexec_b64 s[6:7], s[4:5]
	s_cbranch_execz .LBB38_1700
.LBB38_1699:
	v_and_b32_e32 v2, 7, v7
	v_ffbh_u32_e32 v10, v2
	v_min_u32_e32 v10, 32, v10
	v_lshrrev_b16_e32 v6, 3, v7
	v_subrev_u32_e32 v11, 28, v10
	v_and_b32_e32 v6, 15, v6
	v_lshlrev_b32_e32 v11, v11, v7
	v_sub_u32_e32 v10, 29, v10
	v_and_b32_e32 v11, 7, v11
	v_cmp_eq_u16_e32 vcc, 0, v6
	v_cndmask_b32_e32 v2, v2, v11, vcc
	v_cndmask_b32_e32 v6, v6, v10, vcc
	v_lshlrev_b32_e32 v10, 24, v7
	v_mov_b32_e32 v11, 0x3b800000
	v_lshlrev_b32_e32 v2, 20, v2
	v_and_b32_e32 v10, 0x80000000, v10
	v_lshl_add_u32 v6, v6, 23, v11
	v_or3_b32 v2, v10, v6, v2
.LBB38_1700:
	s_or_b64 exec, exec, s[6:7]
	s_movk_i32 s4, 0x7f
	v_cmp_gt_i16_sdwa s[6:7], v3, s4 src0_sel:BYTE_0 src1_sel:DWORD
	s_mov_b64 s[4:5], 0
                                        ; implicit-def: $sgpr10
	s_and_saveexec_b64 s[8:9], s[6:7]
	s_xor_b64 s[6:7], exec, s[8:9]
	s_cbranch_execnz .LBB38_3749
; %bb.1701:
	s_or_saveexec_b64 s[6:7], s[6:7]
	v_mov_b32_e32 v6, s10
	s_xor_b64 exec, exec, s[6:7]
	s_cbranch_execnz .LBB38_3752
.LBB38_1702:
	s_or_b64 exec, exec, s[6:7]
	s_and_saveexec_b64 s[6:7], s[4:5]
	s_cbranch_execz .LBB38_1704
.LBB38_1703:
	v_and_b32_e32 v6, 7, v3
	v_ffbh_u32_e32 v11, v6
	v_min_u32_e32 v11, 32, v11
	v_lshrrev_b16_e32 v10, 3, v3
	v_subrev_u32_e32 v12, 28, v11
	v_and_b32_e32 v10, 15, v10
	v_lshlrev_b32_e32 v12, v12, v3
	v_sub_u32_e32 v11, 29, v11
	v_and_b32_e32 v12, 7, v12
	v_cmp_eq_u16_e32 vcc, 0, v10
	v_cndmask_b32_e32 v6, v6, v12, vcc
	v_cndmask_b32_e32 v10, v10, v11, vcc
	v_lshlrev_b32_e32 v11, 24, v3
	v_mov_b32_e32 v12, 0x3b800000
	v_lshlrev_b32_e32 v6, 20, v6
	v_and_b32_e32 v11, 0x80000000, v11
	v_lshl_add_u32 v10, v10, 23, v12
	v_or3_b32 v6, v11, v10, v6
.LBB38_1704:
	s_or_b64 exec, exec, s[6:7]
	s_nop 0
	v_mfma_f32_16x16x4f32 a[0:3], v2, v6, a[0:3]
	v_lshrrev_b32_e32 v6, 8, v7
	s_movk_i32 s4, 0x7f
	v_cmp_gt_i16_sdwa s[6:7], v6, s4 src0_sel:BYTE_0 src1_sel:DWORD
	s_mov_b64 s[4:5], 0
                                        ; implicit-def: $sgpr10
	s_and_saveexec_b64 s[8:9], s[6:7]
	s_xor_b64 s[6:7], exec, s[8:9]
	s_cbranch_execnz .LBB38_3753
; %bb.1705:
	s_or_saveexec_b64 s[6:7], s[6:7]
	v_mov_b32_e32 v2, s10
	s_xor_b64 exec, exec, s[6:7]
	s_cbranch_execnz .LBB38_3756
.LBB38_1706:
	s_or_b64 exec, exec, s[6:7]
	s_and_saveexec_b64 s[6:7], s[4:5]
	s_cbranch_execz .LBB38_1708
.LBB38_1707:
	v_bfe_u32 v2, v7, 8, 3
	v_ffbh_u32_e32 v11, v2
	v_min_u32_e32 v11, 32, v11
	v_lshrrev_b16_e32 v10, 3, v6
	v_subrev_u32_e32 v12, 28, v11
	v_and_b32_e32 v10, 15, v10
	v_lshlrev_b32_e32 v6, v12, v6
	v_sub_u32_e32 v11, 29, v11
	v_and_b32_e32 v6, 7, v6
	v_cmp_eq_u16_e32 vcc, 0, v10
	v_cndmask_b32_e32 v2, v2, v6, vcc
	v_cndmask_b32_e32 v6, v10, v11, vcc
	v_lshlrev_b32_e32 v10, 16, v7
	v_mov_b32_e32 v11, 0x3b800000
	v_lshlrev_b32_e32 v2, 20, v2
	v_and_b32_e32 v10, 0x80000000, v10
	v_lshl_add_u32 v6, v6, 23, v11
	v_or3_b32 v2, v10, v6, v2
.LBB38_1708:
	s_or_b64 exec, exec, s[6:7]
	v_lshrrev_b32_e32 v6, 8, v3
	s_movk_i32 s4, 0x7f
	v_cmp_gt_i16_sdwa s[6:7], v6, s4 src0_sel:BYTE_0 src1_sel:DWORD
	s_mov_b64 s[4:5], 0
                                        ; implicit-def: $sgpr10
	s_and_saveexec_b64 s[8:9], s[6:7]
	s_xor_b64 s[6:7], exec, s[8:9]
	s_cbranch_execnz .LBB38_3757
; %bb.1709:
	s_or_saveexec_b64 s[6:7], s[6:7]
	v_mov_b32_e32 v10, s10
	s_xor_b64 exec, exec, s[6:7]
	s_cbranch_execnz .LBB38_3760
.LBB38_1710:
	s_or_b64 exec, exec, s[6:7]
	s_and_saveexec_b64 s[6:7], s[4:5]
	s_cbranch_execz .LBB38_1712
.LBB38_1711:
	v_bfe_u32 v10, v3, 8, 3
	v_ffbh_u32_e32 v12, v10
	v_min_u32_e32 v12, 32, v12
	v_lshrrev_b16_e32 v11, 3, v6
	v_subrev_u32_e32 v13, 28, v12
	v_and_b32_e32 v11, 15, v11
	v_lshlrev_b32_e32 v6, v13, v6
	v_sub_u32_e32 v12, 29, v12
	v_and_b32_e32 v6, 7, v6
	v_cmp_eq_u16_e32 vcc, 0, v11
	v_cndmask_b32_e32 v6, v10, v6, vcc
	v_cndmask_b32_e32 v10, v11, v12, vcc
	v_lshlrev_b32_e32 v11, 16, v3
	v_mov_b32_e32 v12, 0x3b800000
	v_lshlrev_b32_e32 v6, 20, v6
	v_and_b32_e32 v11, 0x80000000, v11
	v_lshl_add_u32 v10, v10, 23, v12
	v_or3_b32 v10, v11, v10, v6
.LBB38_1712:
	s_or_b64 exec, exec, s[6:7]
	s_nop 0
	v_mfma_f32_16x16x4f32 a[0:3], v2, v10, a[0:3]
	s_movk_i32 s4, 0xff
	v_and_b32_sdwa v6, v7, s4 dst_sel:DWORD dst_unused:UNUSED_PAD src0_sel:WORD_1 src1_sel:DWORD
	s_movk_i32 s4, 0x7f
	v_cmp_lt_i16_e32 vcc, s4, v6
	s_mov_b64 s[4:5], 0
                                        ; implicit-def: $sgpr10
	s_and_saveexec_b64 s[6:7], vcc
	s_xor_b64 s[6:7], exec, s[6:7]
	s_cbranch_execnz .LBB38_3761
; %bb.1713:
	s_or_saveexec_b64 s[6:7], s[6:7]
	v_mov_b32_e32 v2, s10
	s_xor_b64 exec, exec, s[6:7]
	s_cbranch_execnz .LBB38_3764
.LBB38_1714:
	s_or_b64 exec, exec, s[6:7]
	s_and_saveexec_b64 s[6:7], s[4:5]
	s_cbranch_execz .LBB38_1716
.LBB38_1715:
	v_bfe_u32 v2, v7, 16, 3
	v_ffbh_u32_e32 v11, v2
	v_min_u32_e32 v11, 32, v11
	v_lshrrev_b32_e32 v6, 19, v7
	v_subrev_u32_e32 v12, 28, v11
	v_and_b32_e32 v6, 15, v6
	v_lshlrev_b32_sdwa v12, v12, v7 dst_sel:DWORD dst_unused:UNUSED_PAD src0_sel:DWORD src1_sel:WORD_1
	v_bfe_u32 v10, v7, 19, 4
	v_sub_u32_e32 v11, 29, v11
	v_and_b32_e32 v12, 7, v12
	v_cmp_eq_u16_e32 vcc, 0, v6
	v_cndmask_b32_e32 v2, v2, v12, vcc
	v_cndmask_b32_e32 v6, v10, v11, vcc
	v_lshlrev_b32_e32 v10, 8, v7
	v_mov_b32_e32 v11, 0x3b800000
	v_lshlrev_b32_e32 v2, 20, v2
	v_and_b32_e32 v10, 0x80000000, v10
	v_lshl_add_u32 v6, v6, 23, v11
	v_or3_b32 v2, v10, v6, v2
.LBB38_1716:
	s_or_b64 exec, exec, s[6:7]
	s_movk_i32 s4, 0xff
	v_and_b32_sdwa v6, v3, s4 dst_sel:DWORD dst_unused:UNUSED_PAD src0_sel:WORD_1 src1_sel:DWORD
	s_movk_i32 s4, 0x7f
	v_cmp_lt_i16_e32 vcc, s4, v6
	s_mov_b64 s[4:5], 0
                                        ; implicit-def: $sgpr10
	s_and_saveexec_b64 s[6:7], vcc
	s_xor_b64 s[6:7], exec, s[6:7]
	s_cbranch_execnz .LBB38_3765
; %bb.1717:
	s_or_saveexec_b64 s[6:7], s[6:7]
	v_mov_b32_e32 v10, s10
	s_xor_b64 exec, exec, s[6:7]
	s_cbranch_execnz .LBB38_3768
.LBB38_1718:
	s_or_b64 exec, exec, s[6:7]
	s_and_saveexec_b64 s[6:7], s[4:5]
	s_cbranch_execz .LBB38_1720
.LBB38_1719:
	v_bfe_u32 v6, v3, 16, 3
	v_ffbh_u32_e32 v12, v6
	v_min_u32_e32 v12, 32, v12
	v_lshrrev_b32_e32 v10, 19, v3
	v_subrev_u32_e32 v13, 28, v12
	v_and_b32_e32 v10, 15, v10
	v_lshlrev_b32_sdwa v13, v13, v3 dst_sel:DWORD dst_unused:UNUSED_PAD src0_sel:DWORD src1_sel:WORD_1
	v_bfe_u32 v11, v3, 19, 4
	v_sub_u32_e32 v12, 29, v12
	v_and_b32_e32 v13, 7, v13
	v_cmp_eq_u16_e32 vcc, 0, v10
	v_cndmask_b32_e32 v6, v6, v13, vcc
	v_cndmask_b32_e32 v10, v11, v12, vcc
	v_lshlrev_b32_e32 v11, 8, v3
	v_mov_b32_e32 v12, 0x3b800000
	v_lshlrev_b32_e32 v6, 20, v6
	v_and_b32_e32 v11, 0x80000000, v11
	v_lshl_add_u32 v10, v10, 23, v12
	v_or3_b32 v10, v11, v10, v6
.LBB38_1720:
	s_or_b64 exec, exec, s[6:7]
	s_nop 0
	v_mfma_f32_16x16x4f32 a[0:3], v2, v10, a[0:3]
	s_movk_i32 s4, 0x7f
	v_cmp_gt_i16_sdwa s[6:7], v7, s4 src0_sel:BYTE_3 src1_sel:DWORD
	s_mov_b64 s[4:5], 0
                                        ; implicit-def: $sgpr10
	s_and_saveexec_b64 s[8:9], s[6:7]
	s_xor_b64 s[6:7], exec, s[8:9]
	s_cbranch_execnz .LBB38_3769
; %bb.1721:
	s_or_saveexec_b64 s[6:7], s[6:7]
	v_mov_b32_e32 v2, s10
	s_xor_b64 exec, exec, s[6:7]
	s_cbranch_execnz .LBB38_3772
.LBB38_1722:
	s_or_b64 exec, exec, s[6:7]
	s_and_saveexec_b64 s[6:7], s[4:5]
	s_cbranch_execz .LBB38_1724
.LBB38_1723:
	v_bfe_u32 v2, v7, 24, 3
	v_ffbh_u32_e32 v12, v2
	v_min_u32_e32 v12, 32, v12
	v_lshrrev_b32_e32 v10, 27, v7
	v_subrev_u32_e32 v13, 28, v12
	v_and_b32_e32 v6, 0x80000000, v7
	v_and_b32_e32 v10, 15, v10
	v_bfe_u32 v11, v7, 27, 4
	v_lshlrev_b32_sdwa v7, v13, v7 dst_sel:DWORD dst_unused:UNUSED_PAD src0_sel:DWORD src1_sel:BYTE_3
	v_sub_u32_e32 v12, 29, v12
	v_and_b32_e32 v7, 7, v7
	v_cmp_eq_u16_e32 vcc, 0, v10
	v_cndmask_b32_e32 v2, v2, v7, vcc
	v_cndmask_b32_e32 v7, v11, v12, vcc
	v_mov_b32_e32 v10, 0x3b800000
	v_lshlrev_b32_e32 v2, 20, v2
	v_lshl_add_u32 v7, v7, 23, v10
	v_or3_b32 v2, v6, v7, v2
.LBB38_1724:
	s_or_b64 exec, exec, s[6:7]
	s_movk_i32 s4, 0x7f
	v_cmp_gt_i16_sdwa s[6:7], v3, s4 src0_sel:BYTE_3 src1_sel:DWORD
	s_mov_b64 s[4:5], 0
                                        ; implicit-def: $sgpr10
	s_and_saveexec_b64 s[8:9], s[6:7]
	s_xor_b64 s[6:7], exec, s[8:9]
	s_cbranch_execnz .LBB38_3773
; %bb.1725:
	s_or_saveexec_b64 s[6:7], s[6:7]
	v_mov_b32_e32 v6, s10
	s_xor_b64 exec, exec, s[6:7]
	s_cbranch_execnz .LBB38_3776
.LBB38_1726:
	s_or_b64 exec, exec, s[6:7]
	s_and_saveexec_b64 s[6:7], s[4:5]
	s_cbranch_execz .LBB38_1728
.LBB38_1727:
	v_bfe_u32 v6, v3, 24, 3
	v_ffbh_u32_e32 v12, v6
	v_min_u32_e32 v12, 32, v12
	v_lshrrev_b32_e32 v10, 27, v3
	v_subrev_u32_e32 v13, 28, v12
	v_and_b32_e32 v7, 0x80000000, v3
	v_and_b32_e32 v10, 15, v10
	v_bfe_u32 v11, v3, 27, 4
	v_lshlrev_b32_sdwa v3, v13, v3 dst_sel:DWORD dst_unused:UNUSED_PAD src0_sel:DWORD src1_sel:BYTE_3
	v_sub_u32_e32 v12, 29, v12
	v_and_b32_e32 v3, 7, v3
	v_cmp_eq_u16_e32 vcc, 0, v10
	v_cndmask_b32_e32 v3, v6, v3, vcc
	v_cndmask_b32_e32 v6, v11, v12, vcc
	v_mov_b32_e32 v10, 0x3b800000
	v_lshlrev_b32_e32 v3, 20, v3
	v_lshl_add_u32 v6, v6, 23, v10
	v_or3_b32 v6, v7, v6, v3
.LBB38_1728:
	s_or_b64 exec, exec, s[6:7]
	s_nop 0
	v_mfma_f32_16x16x4f32 a[0:3], v2, v6, a[0:3]
	s_movk_i32 s4, 0x7f
	v_cmp_gt_i16_sdwa s[6:7], v8, s4 src0_sel:BYTE_0 src1_sel:DWORD
	s_mov_b64 s[4:5], 0
                                        ; implicit-def: $sgpr10
	s_and_saveexec_b64 s[8:9], s[6:7]
	s_xor_b64 s[6:7], exec, s[8:9]
	s_cbranch_execnz .LBB38_3777
; %bb.1729:
	s_or_saveexec_b64 s[6:7], s[6:7]
	v_mov_b32_e32 v2, s10
	s_xor_b64 exec, exec, s[6:7]
	s_cbranch_execnz .LBB38_3780
.LBB38_1730:
	s_or_b64 exec, exec, s[6:7]
	s_and_saveexec_b64 s[6:7], s[4:5]
	s_cbranch_execz .LBB38_1732
.LBB38_1731:
	v_and_b32_e32 v2, 7, v8
	v_ffbh_u32_e32 v6, v2
	v_min_u32_e32 v6, 32, v6
	v_lshrrev_b16_e32 v3, 3, v8
	v_subrev_u32_e32 v7, 28, v6
	v_and_b32_e32 v3, 15, v3
	v_lshlrev_b32_e32 v7, v7, v8
	v_sub_u32_e32 v6, 29, v6
	v_and_b32_e32 v7, 7, v7
	v_cmp_eq_u16_e32 vcc, 0, v3
	v_cndmask_b32_e32 v2, v2, v7, vcc
	v_cndmask_b32_e32 v3, v3, v6, vcc
	v_lshlrev_b32_e32 v6, 24, v8
	v_mov_b32_e32 v7, 0x3b800000
	v_lshlrev_b32_e32 v2, 20, v2
	v_and_b32_e32 v6, 0x80000000, v6
	v_lshl_add_u32 v3, v3, 23, v7
	v_or3_b32 v2, v6, v3, v2
.LBB38_1732:
	s_or_b64 exec, exec, s[6:7]
	s_movk_i32 s4, 0x7f
	v_cmp_gt_i16_sdwa s[6:7], v4, s4 src0_sel:BYTE_0 src1_sel:DWORD
	s_mov_b64 s[4:5], 0
                                        ; implicit-def: $sgpr10
	s_and_saveexec_b64 s[8:9], s[6:7]
	s_xor_b64 s[6:7], exec, s[8:9]
	s_cbranch_execnz .LBB38_3781
; %bb.1733:
	s_or_saveexec_b64 s[6:7], s[6:7]
	v_mov_b32_e32 v3, s10
	s_xor_b64 exec, exec, s[6:7]
	s_cbranch_execnz .LBB38_3784
.LBB38_1734:
	s_or_b64 exec, exec, s[6:7]
	s_and_saveexec_b64 s[6:7], s[4:5]
	s_cbranch_execz .LBB38_1736
.LBB38_1735:
	v_and_b32_e32 v3, 7, v4
	v_ffbh_u32_e32 v7, v3
	v_min_u32_e32 v7, 32, v7
	v_lshrrev_b16_e32 v6, 3, v4
	v_subrev_u32_e32 v10, 28, v7
	v_and_b32_e32 v6, 15, v6
	v_lshlrev_b32_e32 v10, v10, v4
	v_sub_u32_e32 v7, 29, v7
	v_and_b32_e32 v10, 7, v10
	v_cmp_eq_u16_e32 vcc, 0, v6
	v_cndmask_b32_e32 v3, v3, v10, vcc
	v_cndmask_b32_e32 v6, v6, v7, vcc
	v_lshlrev_b32_e32 v7, 24, v4
	v_mov_b32_e32 v10, 0x3b800000
	v_lshlrev_b32_e32 v3, 20, v3
	v_and_b32_e32 v7, 0x80000000, v7
	v_lshl_add_u32 v6, v6, 23, v10
	v_or3_b32 v3, v7, v6, v3
.LBB38_1736:
	s_or_b64 exec, exec, s[6:7]
	s_nop 0
	v_mfma_f32_16x16x4f32 a[0:3], v2, v3, a[0:3]
	v_lshrrev_b32_e32 v3, 8, v8
	s_movk_i32 s4, 0x7f
	v_cmp_gt_i16_sdwa s[6:7], v3, s4 src0_sel:BYTE_0 src1_sel:DWORD
	s_mov_b64 s[4:5], 0
                                        ; implicit-def: $sgpr10
	s_and_saveexec_b64 s[8:9], s[6:7]
	s_xor_b64 s[6:7], exec, s[8:9]
	s_cbranch_execnz .LBB38_3785
; %bb.1737:
	s_or_saveexec_b64 s[6:7], s[6:7]
	v_mov_b32_e32 v2, s10
	s_xor_b64 exec, exec, s[6:7]
	s_cbranch_execnz .LBB38_3788
.LBB38_1738:
	s_or_b64 exec, exec, s[6:7]
	s_and_saveexec_b64 s[6:7], s[4:5]
	s_cbranch_execz .LBB38_1740
.LBB38_1739:
	v_bfe_u32 v2, v8, 8, 3
	v_ffbh_u32_e32 v7, v2
	v_min_u32_e32 v7, 32, v7
	v_lshrrev_b16_e32 v6, 3, v3
	v_subrev_u32_e32 v10, 28, v7
	v_and_b32_e32 v6, 15, v6
	v_lshlrev_b32_e32 v3, v10, v3
	v_sub_u32_e32 v7, 29, v7
	v_and_b32_e32 v3, 7, v3
	v_cmp_eq_u16_e32 vcc, 0, v6
	v_cndmask_b32_e32 v2, v2, v3, vcc
	v_cndmask_b32_e32 v3, v6, v7, vcc
	v_lshlrev_b32_e32 v6, 16, v8
	v_mov_b32_e32 v7, 0x3b800000
	v_lshlrev_b32_e32 v2, 20, v2
	v_and_b32_e32 v6, 0x80000000, v6
	v_lshl_add_u32 v3, v3, 23, v7
	v_or3_b32 v2, v6, v3, v2
.LBB38_1740:
	s_or_b64 exec, exec, s[6:7]
	v_lshrrev_b32_e32 v3, 8, v4
	s_movk_i32 s4, 0x7f
	v_cmp_gt_i16_sdwa s[6:7], v3, s4 src0_sel:BYTE_0 src1_sel:DWORD
	s_mov_b64 s[4:5], 0
                                        ; implicit-def: $sgpr10
	s_and_saveexec_b64 s[8:9], s[6:7]
	s_xor_b64 s[6:7], exec, s[8:9]
	s_cbranch_execnz .LBB38_3789
; %bb.1741:
	s_or_saveexec_b64 s[6:7], s[6:7]
	v_mov_b32_e32 v6, s10
	s_xor_b64 exec, exec, s[6:7]
	s_cbranch_execnz .LBB38_3792
.LBB38_1742:
	s_or_b64 exec, exec, s[6:7]
	s_and_saveexec_b64 s[6:7], s[4:5]
	s_cbranch_execz .LBB38_1744
.LBB38_1743:
	v_bfe_u32 v6, v4, 8, 3
	v_ffbh_u32_e32 v10, v6
	v_min_u32_e32 v10, 32, v10
	v_lshrrev_b16_e32 v7, 3, v3
	v_subrev_u32_e32 v11, 28, v10
	v_and_b32_e32 v7, 15, v7
	v_lshlrev_b32_e32 v3, v11, v3
	v_sub_u32_e32 v10, 29, v10
	v_and_b32_e32 v3, 7, v3
	v_cmp_eq_u16_e32 vcc, 0, v7
	v_cndmask_b32_e32 v3, v6, v3, vcc
	v_cndmask_b32_e32 v6, v7, v10, vcc
	v_lshlrev_b32_e32 v7, 16, v4
	v_mov_b32_e32 v10, 0x3b800000
	v_lshlrev_b32_e32 v3, 20, v3
	v_and_b32_e32 v7, 0x80000000, v7
	v_lshl_add_u32 v6, v6, 23, v10
	v_or3_b32 v6, v7, v6, v3
.LBB38_1744:
	s_or_b64 exec, exec, s[6:7]
	s_nop 0
	v_mfma_f32_16x16x4f32 a[0:3], v2, v6, a[0:3]
	s_movk_i32 s4, 0xff
	v_and_b32_sdwa v3, v8, s4 dst_sel:DWORD dst_unused:UNUSED_PAD src0_sel:WORD_1 src1_sel:DWORD
	s_movk_i32 s4, 0x7f
	v_cmp_lt_i16_e32 vcc, s4, v3
	s_mov_b64 s[4:5], 0
                                        ; implicit-def: $sgpr10
	s_and_saveexec_b64 s[6:7], vcc
	s_xor_b64 s[6:7], exec, s[6:7]
	s_cbranch_execnz .LBB38_3793
; %bb.1745:
	s_or_saveexec_b64 s[6:7], s[6:7]
	v_mov_b32_e32 v2, s10
	s_xor_b64 exec, exec, s[6:7]
	s_cbranch_execnz .LBB38_3796
.LBB38_1746:
	s_or_b64 exec, exec, s[6:7]
	s_and_saveexec_b64 s[6:7], s[4:5]
	s_cbranch_execz .LBB38_1748
.LBB38_1747:
	v_bfe_u32 v2, v8, 16, 3
	v_ffbh_u32_e32 v7, v2
	v_min_u32_e32 v7, 32, v7
	v_lshrrev_b32_e32 v3, 19, v8
	v_subrev_u32_e32 v10, 28, v7
	v_and_b32_e32 v3, 15, v3
	v_lshlrev_b32_sdwa v10, v10, v8 dst_sel:DWORD dst_unused:UNUSED_PAD src0_sel:DWORD src1_sel:WORD_1
	v_bfe_u32 v6, v8, 19, 4
	v_sub_u32_e32 v7, 29, v7
	v_and_b32_e32 v10, 7, v10
	v_cmp_eq_u16_e32 vcc, 0, v3
	v_cndmask_b32_e32 v2, v2, v10, vcc
	v_cndmask_b32_e32 v3, v6, v7, vcc
	v_lshlrev_b32_e32 v6, 8, v8
	v_mov_b32_e32 v7, 0x3b800000
	v_lshlrev_b32_e32 v2, 20, v2
	v_and_b32_e32 v6, 0x80000000, v6
	v_lshl_add_u32 v3, v3, 23, v7
	v_or3_b32 v2, v6, v3, v2
.LBB38_1748:
	s_or_b64 exec, exec, s[6:7]
	s_movk_i32 s4, 0xff
	v_and_b32_sdwa v3, v4, s4 dst_sel:DWORD dst_unused:UNUSED_PAD src0_sel:WORD_1 src1_sel:DWORD
	s_movk_i32 s4, 0x7f
	v_cmp_lt_i16_e32 vcc, s4, v3
	s_mov_b64 s[4:5], 0
                                        ; implicit-def: $sgpr10
	s_and_saveexec_b64 s[6:7], vcc
	s_xor_b64 s[6:7], exec, s[6:7]
	s_cbranch_execnz .LBB38_3797
; %bb.1749:
	s_or_saveexec_b64 s[6:7], s[6:7]
	v_mov_b32_e32 v6, s10
	s_xor_b64 exec, exec, s[6:7]
	s_cbranch_execnz .LBB38_3800
.LBB38_1750:
	s_or_b64 exec, exec, s[6:7]
	s_and_saveexec_b64 s[6:7], s[4:5]
	s_cbranch_execz .LBB38_1752
.LBB38_1751:
	v_bfe_u32 v3, v4, 16, 3
	v_ffbh_u32_e32 v10, v3
	v_min_u32_e32 v10, 32, v10
	v_lshrrev_b32_e32 v6, 19, v4
	v_subrev_u32_e32 v11, 28, v10
	v_and_b32_e32 v6, 15, v6
	v_lshlrev_b32_sdwa v11, v11, v4 dst_sel:DWORD dst_unused:UNUSED_PAD src0_sel:DWORD src1_sel:WORD_1
	v_bfe_u32 v7, v4, 19, 4
	v_sub_u32_e32 v10, 29, v10
	v_and_b32_e32 v11, 7, v11
	v_cmp_eq_u16_e32 vcc, 0, v6
	v_cndmask_b32_e32 v3, v3, v11, vcc
	v_cndmask_b32_e32 v6, v7, v10, vcc
	v_lshlrev_b32_e32 v7, 8, v4
	v_mov_b32_e32 v10, 0x3b800000
	v_lshlrev_b32_e32 v3, 20, v3
	v_and_b32_e32 v7, 0x80000000, v7
	v_lshl_add_u32 v6, v6, 23, v10
	v_or3_b32 v6, v7, v6, v3
.LBB38_1752:
	s_or_b64 exec, exec, s[6:7]
	s_nop 0
	v_mfma_f32_16x16x4f32 a[0:3], v2, v6, a[0:3]
	s_movk_i32 s4, 0x7f
	v_cmp_gt_i16_sdwa s[6:7], v8, s4 src0_sel:BYTE_3 src1_sel:DWORD
	s_mov_b64 s[4:5], 0
                                        ; implicit-def: $sgpr10
	s_and_saveexec_b64 s[8:9], s[6:7]
	s_xor_b64 s[6:7], exec, s[8:9]
	s_cbranch_execnz .LBB38_3801
; %bb.1753:
	s_or_saveexec_b64 s[6:7], s[6:7]
	v_mov_b32_e32 v2, s10
	s_xor_b64 exec, exec, s[6:7]
	s_cbranch_execnz .LBB38_3804
.LBB38_1754:
	s_or_b64 exec, exec, s[6:7]
	s_and_saveexec_b64 s[6:7], s[4:5]
	s_cbranch_execz .LBB38_1756
.LBB38_1755:
	v_bfe_u32 v2, v8, 24, 3
	v_ffbh_u32_e32 v10, v2
	v_min_u32_e32 v10, 32, v10
	v_lshrrev_b32_e32 v6, 27, v8
	v_subrev_u32_e32 v11, 28, v10
	v_and_b32_e32 v3, 0x80000000, v8
	v_and_b32_e32 v6, 15, v6
	v_bfe_u32 v7, v8, 27, 4
	v_lshlrev_b32_sdwa v8, v11, v8 dst_sel:DWORD dst_unused:UNUSED_PAD src0_sel:DWORD src1_sel:BYTE_3
	v_sub_u32_e32 v10, 29, v10
	v_and_b32_e32 v8, 7, v8
	v_cmp_eq_u16_e32 vcc, 0, v6
	v_cndmask_b32_e32 v2, v2, v8, vcc
	v_cndmask_b32_e32 v6, v7, v10, vcc
	v_mov_b32_e32 v7, 0x3b800000
	v_lshlrev_b32_e32 v2, 20, v2
	v_lshl_add_u32 v6, v6, 23, v7
	v_or3_b32 v2, v3, v6, v2
.LBB38_1756:
	s_or_b64 exec, exec, s[6:7]
	s_movk_i32 s4, 0x7f
	v_cmp_gt_i16_sdwa s[6:7], v4, s4 src0_sel:BYTE_3 src1_sel:DWORD
	s_mov_b64 s[4:5], 0
                                        ; implicit-def: $sgpr10
	s_and_saveexec_b64 s[8:9], s[6:7]
	s_xor_b64 s[6:7], exec, s[8:9]
	s_cbranch_execnz .LBB38_3805
; %bb.1757:
	s_or_saveexec_b64 s[6:7], s[6:7]
	v_mov_b32_e32 v3, s10
	s_xor_b64 exec, exec, s[6:7]
	s_cbranch_execnz .LBB38_3808
.LBB38_1758:
	s_or_b64 exec, exec, s[6:7]
	s_and_saveexec_b64 s[6:7], s[4:5]
	s_cbranch_execz .LBB38_1760
.LBB38_1759:
	v_bfe_u32 v3, v4, 24, 3
	v_ffbh_u32_e32 v10, v3
	v_min_u32_e32 v10, 32, v10
	v_lshrrev_b32_e32 v7, 27, v4
	v_subrev_u32_e32 v11, 28, v10
	v_and_b32_e32 v6, 0x80000000, v4
	v_and_b32_e32 v7, 15, v7
	v_bfe_u32 v8, v4, 27, 4
	v_lshlrev_b32_sdwa v4, v11, v4 dst_sel:DWORD dst_unused:UNUSED_PAD src0_sel:DWORD src1_sel:BYTE_3
	v_sub_u32_e32 v10, 29, v10
	v_and_b32_e32 v4, 7, v4
	v_cmp_eq_u16_e32 vcc, 0, v7
	v_cndmask_b32_e32 v3, v3, v4, vcc
	v_cndmask_b32_e32 v4, v8, v10, vcc
	v_mov_b32_e32 v7, 0x3b800000
	v_lshlrev_b32_e32 v3, 20, v3
	v_lshl_add_u32 v4, v4, 23, v7
	v_or3_b32 v3, v6, v4, v3
.LBB38_1760:
	s_or_b64 exec, exec, s[6:7]
	s_nop 0
	v_mfma_f32_16x16x4f32 a[0:3], v2, v3, a[0:3]
	s_movk_i32 s4, 0x7f
	v_cmp_gt_i16_sdwa s[6:7], v9, s4 src0_sel:BYTE_0 src1_sel:DWORD
	s_mov_b64 s[4:5], 0
                                        ; implicit-def: $sgpr10
	s_and_saveexec_b64 s[8:9], s[6:7]
	s_xor_b64 s[6:7], exec, s[8:9]
	s_cbranch_execnz .LBB38_3809
; %bb.1761:
	s_or_saveexec_b64 s[6:7], s[6:7]
	v_mov_b32_e32 v2, s10
	s_xor_b64 exec, exec, s[6:7]
	s_cbranch_execnz .LBB38_3812
.LBB38_1762:
	s_or_b64 exec, exec, s[6:7]
	s_and_saveexec_b64 s[6:7], s[4:5]
	s_cbranch_execz .LBB38_1764
.LBB38_1763:
	v_mov_b32_e32 v2, 8
	v_and_b32_e32 v3, 7, v9
	v_lshrrev_b32_sdwa v2, v2, v9 dst_sel:BYTE_1 dst_unused:UNUSED_PAD src0_sel:DWORD src1_sel:DWORD
	v_ffbh_u32_e32 v4, v3
	v_or_b32_sdwa v2, v9, v2 dst_sel:DWORD dst_unused:UNUSED_PAD src0_sel:BYTE_0 src1_sel:DWORD
	v_min_u32_e32 v4, 32, v4
	v_lshrrev_b16_e32 v2, 3, v2
	v_subrev_u32_e32 v6, 28, v4
	v_and_b32_e32 v2, 15, v2
	v_lshlrev_b32_e32 v6, v6, v9
	v_sub_u32_e32 v4, 29, v4
	v_and_b32_e32 v6, 7, v6
	v_cmp_eq_u16_e32 vcc, 0, v2
	v_cndmask_b32_e32 v3, v3, v6, vcc
	v_cndmask_b32_e32 v2, v2, v4, vcc
	v_lshlrev_b32_e32 v4, 24, v9
	v_mov_b32_e32 v6, 0x3b800000
	v_lshlrev_b32_e32 v3, 20, v3
	v_and_b32_e32 v4, 0x80000000, v4
	v_lshl_add_u32 v2, v2, 23, v6
	v_or3_b32 v2, v4, v2, v3
.LBB38_1764:
	s_or_b64 exec, exec, s[6:7]
	s_movk_i32 s4, 0x7f
	v_cmp_gt_i16_sdwa s[6:7], v5, s4 src0_sel:BYTE_0 src1_sel:DWORD
	s_mov_b64 s[4:5], 0
                                        ; implicit-def: $sgpr10
	s_and_saveexec_b64 s[8:9], s[6:7]
	s_xor_b64 s[6:7], exec, s[8:9]
	s_cbranch_execnz .LBB38_3813
; %bb.1765:
	s_or_saveexec_b64 s[6:7], s[6:7]
	v_mov_b32_e32 v3, s10
	s_xor_b64 exec, exec, s[6:7]
	s_cbranch_execnz .LBB38_3816
.LBB38_1766:
	s_or_b64 exec, exec, s[6:7]
	s_and_saveexec_b64 s[6:7], s[4:5]
	s_cbranch_execz .LBB38_1768
.LBB38_1767:
	v_mov_b32_e32 v3, 8
	v_and_b32_e32 v4, 7, v5
	v_lshrrev_b32_sdwa v3, v3, v5 dst_sel:BYTE_1 dst_unused:UNUSED_PAD src0_sel:DWORD src1_sel:DWORD
	v_ffbh_u32_e32 v6, v4
	v_or_b32_sdwa v3, v5, v3 dst_sel:DWORD dst_unused:UNUSED_PAD src0_sel:BYTE_0 src1_sel:DWORD
	v_min_u32_e32 v6, 32, v6
	v_lshrrev_b16_e32 v3, 3, v3
	v_subrev_u32_e32 v7, 28, v6
	v_and_b32_e32 v3, 15, v3
	v_lshlrev_b32_e32 v7, v7, v5
	v_sub_u32_e32 v6, 29, v6
	v_and_b32_e32 v7, 7, v7
	v_cmp_eq_u16_e32 vcc, 0, v3
	v_cndmask_b32_e32 v4, v4, v7, vcc
	v_cndmask_b32_e32 v3, v3, v6, vcc
	v_lshlrev_b32_e32 v6, 24, v5
	v_mov_b32_e32 v7, 0x3b800000
	v_lshlrev_b32_e32 v4, 20, v4
	v_and_b32_e32 v6, 0x80000000, v6
	v_lshl_add_u32 v3, v3, 23, v7
	v_or3_b32 v3, v6, v3, v4
.LBB38_1768:
	s_or_b64 exec, exec, s[6:7]
	s_nop 0
	v_mfma_f32_16x16x4f32 a[0:3], v2, v3, a[0:3]
	v_lshrrev_b32_e32 v3, 8, v9
	s_movk_i32 s4, 0x7f
	v_cmp_gt_i16_sdwa s[6:7], v3, s4 src0_sel:BYTE_0 src1_sel:DWORD
	s_mov_b64 s[4:5], 0
                                        ; implicit-def: $sgpr10
	s_and_saveexec_b64 s[8:9], s[6:7]
	s_xor_b64 s[6:7], exec, s[8:9]
	s_cbranch_execnz .LBB38_3817
; %bb.1769:
	s_or_saveexec_b64 s[6:7], s[6:7]
	v_mov_b32_e32 v2, s10
	s_xor_b64 exec, exec, s[6:7]
	s_cbranch_execnz .LBB38_3820
.LBB38_1770:
	s_or_b64 exec, exec, s[6:7]
	s_and_saveexec_b64 s[6:7], s[4:5]
	s_cbranch_execz .LBB38_1772
.LBB38_1771:
	v_bfe_u32 v2, v9, 8, 3
	v_ffbh_u32_e32 v6, v2
	v_min_u32_e32 v6, 32, v6
	v_lshrrev_b16_e32 v4, 3, v3
	v_subrev_u32_e32 v7, 28, v6
	v_and_b32_e32 v4, 15, v4
	v_lshlrev_b32_e32 v3, v7, v3
	v_sub_u32_e32 v6, 29, v6
	v_and_b32_e32 v3, 7, v3
	v_cmp_eq_u16_e32 vcc, 0, v4
	v_cndmask_b32_e32 v2, v2, v3, vcc
	v_cndmask_b32_e32 v3, v4, v6, vcc
	v_lshlrev_b32_e32 v4, 16, v9
	v_mov_b32_e32 v6, 0x3b800000
	v_lshlrev_b32_e32 v2, 20, v2
	v_and_b32_e32 v4, 0x80000000, v4
	v_lshl_add_u32 v3, v3, 23, v6
	v_or3_b32 v2, v4, v3, v2
.LBB38_1772:
	s_or_b64 exec, exec, s[6:7]
	v_lshrrev_b32_e32 v3, 8, v5
	s_movk_i32 s4, 0x7f
	v_cmp_gt_i16_sdwa s[6:7], v3, s4 src0_sel:BYTE_0 src1_sel:DWORD
	s_mov_b64 s[4:5], 0
                                        ; implicit-def: $sgpr10
	s_and_saveexec_b64 s[8:9], s[6:7]
	s_xor_b64 s[6:7], exec, s[8:9]
	s_cbranch_execnz .LBB38_3821
; %bb.1773:
	s_or_saveexec_b64 s[6:7], s[6:7]
	v_mov_b32_e32 v4, s10
	s_xor_b64 exec, exec, s[6:7]
	s_cbranch_execnz .LBB38_3824
.LBB38_1774:
	s_or_b64 exec, exec, s[6:7]
	s_and_saveexec_b64 s[6:7], s[4:5]
	s_cbranch_execz .LBB38_1776
.LBB38_1775:
	v_bfe_u32 v4, v5, 8, 3
	v_ffbh_u32_e32 v7, v4
	v_min_u32_e32 v7, 32, v7
	v_lshrrev_b16_e32 v6, 3, v3
	v_subrev_u32_e32 v8, 28, v7
	v_and_b32_e32 v6, 15, v6
	v_lshlrev_b32_e32 v3, v8, v3
	v_sub_u32_e32 v7, 29, v7
	v_and_b32_e32 v3, 7, v3
	v_cmp_eq_u16_e32 vcc, 0, v6
	v_cndmask_b32_e32 v3, v4, v3, vcc
	v_cndmask_b32_e32 v4, v6, v7, vcc
	v_lshlrev_b32_e32 v6, 16, v5
	v_mov_b32_e32 v7, 0x3b800000
	v_lshlrev_b32_e32 v3, 20, v3
	v_and_b32_e32 v6, 0x80000000, v6
	v_lshl_add_u32 v4, v4, 23, v7
	v_or3_b32 v4, v6, v4, v3
.LBB38_1776:
	s_or_b64 exec, exec, s[6:7]
	s_nop 0
	v_mfma_f32_16x16x4f32 a[0:3], v2, v4, a[0:3]
	s_movk_i32 s4, 0xff
	v_and_b32_sdwa v3, v9, s4 dst_sel:DWORD dst_unused:UNUSED_PAD src0_sel:WORD_1 src1_sel:DWORD
	s_movk_i32 s4, 0x7f
	v_cmp_lt_i16_e32 vcc, s4, v3
	s_mov_b64 s[4:5], 0
                                        ; implicit-def: $sgpr10
	s_and_saveexec_b64 s[6:7], vcc
	s_xor_b64 s[6:7], exec, s[6:7]
	s_cbranch_execnz .LBB38_3825
; %bb.1777:
	s_or_saveexec_b64 s[6:7], s[6:7]
	v_mov_b32_e32 v2, s10
	s_xor_b64 exec, exec, s[6:7]
	s_cbranch_execnz .LBB38_3828
.LBB38_1778:
	s_or_b64 exec, exec, s[6:7]
	s_and_saveexec_b64 s[6:7], s[4:5]
	s_cbranch_execz .LBB38_1780
.LBB38_1779:
	v_bfe_u32 v2, v9, 16, 3
	v_ffbh_u32_e32 v6, v2
	v_min_u32_e32 v6, 32, v6
	v_lshrrev_b32_e32 v3, 19, v9
	v_subrev_u32_e32 v7, 28, v6
	v_and_b32_e32 v3, 15, v3
	v_lshlrev_b32_sdwa v7, v7, v9 dst_sel:DWORD dst_unused:UNUSED_PAD src0_sel:DWORD src1_sel:WORD_1
	v_bfe_u32 v4, v9, 19, 4
	v_sub_u32_e32 v6, 29, v6
	v_and_b32_e32 v7, 7, v7
	v_cmp_eq_u16_e32 vcc, 0, v3
	v_cndmask_b32_e32 v2, v2, v7, vcc
	v_cndmask_b32_e32 v3, v4, v6, vcc
	v_lshlrev_b32_e32 v4, 8, v9
	v_mov_b32_e32 v6, 0x3b800000
	v_lshlrev_b32_e32 v2, 20, v2
	v_and_b32_e32 v4, 0x80000000, v4
	v_lshl_add_u32 v3, v3, 23, v6
	v_or3_b32 v2, v4, v3, v2
.LBB38_1780:
	s_or_b64 exec, exec, s[6:7]
	s_movk_i32 s4, 0xff
	v_and_b32_sdwa v3, v5, s4 dst_sel:DWORD dst_unused:UNUSED_PAD src0_sel:WORD_1 src1_sel:DWORD
	s_movk_i32 s4, 0x7f
	v_cmp_lt_i16_e32 vcc, s4, v3
	s_mov_b64 s[4:5], 0
                                        ; implicit-def: $sgpr10
	s_and_saveexec_b64 s[6:7], vcc
	s_xor_b64 s[6:7], exec, s[6:7]
	s_cbranch_execnz .LBB38_3829
; %bb.1781:
	s_or_saveexec_b64 s[6:7], s[6:7]
	v_mov_b32_e32 v4, s10
	s_xor_b64 exec, exec, s[6:7]
	s_cbranch_execnz .LBB38_3832
.LBB38_1782:
	s_or_b64 exec, exec, s[6:7]
	s_and_saveexec_b64 s[6:7], s[4:5]
	s_cbranch_execz .LBB38_1784
.LBB38_1783:
	v_bfe_u32 v3, v5, 16, 3
	v_ffbh_u32_e32 v7, v3
	v_min_u32_e32 v7, 32, v7
	v_lshrrev_b32_e32 v4, 19, v5
	v_subrev_u32_e32 v8, 28, v7
	v_and_b32_e32 v4, 15, v4
	v_lshlrev_b32_sdwa v8, v8, v5 dst_sel:DWORD dst_unused:UNUSED_PAD src0_sel:DWORD src1_sel:WORD_1
	v_bfe_u32 v6, v5, 19, 4
	v_sub_u32_e32 v7, 29, v7
	v_and_b32_e32 v8, 7, v8
	v_cmp_eq_u16_e32 vcc, 0, v4
	v_cndmask_b32_e32 v3, v3, v8, vcc
	v_cndmask_b32_e32 v4, v6, v7, vcc
	v_lshlrev_b32_e32 v6, 8, v5
	v_mov_b32_e32 v7, 0x3b800000
	v_lshlrev_b32_e32 v3, 20, v3
	v_and_b32_e32 v6, 0x80000000, v6
	v_lshl_add_u32 v4, v4, 23, v7
	v_or3_b32 v4, v6, v4, v3
.LBB38_1784:
	s_or_b64 exec, exec, s[6:7]
	s_nop 0
	v_mfma_f32_16x16x4f32 a[0:3], v2, v4, a[0:3]
	s_movk_i32 s4, 0x7f
	v_cmp_gt_i16_sdwa s[6:7], v9, s4 src0_sel:BYTE_3 src1_sel:DWORD
	s_mov_b64 s[4:5], 0
                                        ; implicit-def: $sgpr10
	s_and_saveexec_b64 s[8:9], s[6:7]
	s_xor_b64 s[6:7], exec, s[8:9]
	s_cbranch_execnz .LBB38_3833
; %bb.1785:
	s_or_saveexec_b64 s[6:7], s[6:7]
	v_mov_b32_e32 v2, s10
	s_xor_b64 exec, exec, s[6:7]
	s_cbranch_execnz .LBB38_3836
.LBB38_1786:
	s_or_b64 exec, exec, s[6:7]
	s_and_saveexec_b64 s[6:7], s[4:5]
	s_cbranch_execz .LBB38_1788
.LBB38_1787:
	v_bfe_u32 v2, v9, 24, 3
	v_ffbh_u32_e32 v7, v2
	v_min_u32_e32 v7, 32, v7
	v_lshrrev_b32_e32 v4, 27, v9
	v_subrev_u32_e32 v8, 28, v7
	v_and_b32_e32 v4, 15, v4
	v_lshlrev_b32_sdwa v8, v8, v9 dst_sel:DWORD dst_unused:UNUSED_PAD src0_sel:DWORD src1_sel:BYTE_3
	v_bfe_u32 v6, v9, 27, 4
	v_sub_u32_e32 v7, 29, v7
	v_and_b32_e32 v8, 7, v8
	v_cmp_eq_u16_e32 vcc, 0, v4
	v_cndmask_b32_e32 v2, v2, v8, vcc
	v_cndmask_b32_e32 v4, v6, v7, vcc
	v_mov_b32_e32 v6, 0x3b800000
	v_and_b32_e32 v3, 0x80000000, v9
	v_lshlrev_b32_e32 v2, 20, v2
	v_lshl_add_u32 v4, v4, 23, v6
	v_or3_b32 v2, v3, v4, v2
.LBB38_1788:
	s_or_b64 exec, exec, s[6:7]
	s_movk_i32 s4, 0x7f
	v_cmp_gt_i16_sdwa s[6:7], v5, s4 src0_sel:BYTE_3 src1_sel:DWORD
	s_mov_b64 s[4:5], 0
                                        ; implicit-def: $sgpr10
	s_and_saveexec_b64 s[8:9], s[6:7]
	s_xor_b64 s[6:7], exec, s[8:9]
	s_cbranch_execnz .LBB38_3837
; %bb.1789:
	s_or_saveexec_b64 s[6:7], s[6:7]
	v_mov_b32_e32 v3, s10
	s_xor_b64 exec, exec, s[6:7]
	s_cbranch_execnz .LBB38_3840
.LBB38_1790:
	s_or_b64 exec, exec, s[6:7]
	s_and_saveexec_b64 s[6:7], s[4:5]
	s_cbranch_execz .LBB38_1792
.LBB38_1791:
	v_bfe_u32 v3, v5, 24, 3
	v_ffbh_u32_e32 v8, v3
	v_min_u32_e32 v8, 32, v8
	v_lshrrev_b32_e32 v6, 27, v5
	v_subrev_u32_e32 v9, 28, v8
	v_and_b32_e32 v4, 0x80000000, v5
	v_and_b32_e32 v6, 15, v6
	v_bfe_u32 v7, v5, 27, 4
	v_lshlrev_b32_sdwa v5, v9, v5 dst_sel:DWORD dst_unused:UNUSED_PAD src0_sel:DWORD src1_sel:BYTE_3
	v_sub_u32_e32 v8, 29, v8
	v_and_b32_e32 v5, 7, v5
	v_cmp_eq_u16_e32 vcc, 0, v6
	v_cndmask_b32_e32 v3, v3, v5, vcc
	v_cndmask_b32_e32 v5, v7, v8, vcc
	v_mov_b32_e32 v6, 0x3b800000
	v_lshlrev_b32_e32 v3, 20, v3
	v_lshl_add_u32 v5, v5, 23, v6
	v_or3_b32 v3, v4, v5, v3
.LBB38_1792:
	s_or_b64 exec, exec, s[6:7]
	s_nop 0
	v_mfma_f32_16x16x4f32 a[0:3], v2, v3, a[0:3]
	s_movk_i32 s4, 0x7f
                                        ; implicit-def: $sgpr10
	s_nop 7
	s_nop 1
	flat_store_dwordx4 v[18:19], a[0:3] offset:352
	flat_load_dwordx4 v[18:21], v[0:1] offset:16
	s_nop 0
	flat_load_dwordx2 v[16:17], v[0:1] offset:32
	s_waitcnt vmcnt(0) lgkmcnt(0)
	flat_load_dwordx4 v[12:15], v[18:19]
	flat_load_dwordx4 v[4:7], v[18:19] offset:16
	flat_load_dwordx4 v[8:11], v[20:21] offset:480
	;; [unrolled: 1-line block ×3, first 2 shown]
	s_waitcnt vmcnt(0) lgkmcnt(0)
	v_cmp_gt_i16_sdwa s[6:7], v12, s4 src0_sel:BYTE_0 src1_sel:DWORD
	s_mov_b64 s[4:5], 0
	s_and_saveexec_b64 s[8:9], s[6:7]
	s_xor_b64 s[6:7], exec, s[8:9]
	s_cbranch_execnz .LBB38_3841
; %bb.1793:
	s_or_saveexec_b64 s[6:7], s[6:7]
	v_mov_b32_e32 v18, s10
	s_xor_b64 exec, exec, s[6:7]
	s_cbranch_execnz .LBB38_3844
.LBB38_1794:
	s_or_b64 exec, exec, s[6:7]
	s_and_saveexec_b64 s[6:7], s[4:5]
	s_cbranch_execz .LBB38_1796
.LBB38_1795:
	v_and_b32_e32 v18, 7, v12
	v_ffbh_u32_e32 v20, v18
	v_min_u32_e32 v20, 32, v20
	v_lshrrev_b16_e32 v19, 3, v12
	v_subrev_u32_e32 v21, 28, v20
	v_and_b32_e32 v19, 15, v19
	v_lshlrev_b32_e32 v21, v21, v12
	v_sub_u32_e32 v20, 29, v20
	v_and_b32_e32 v21, 7, v21
	v_cmp_eq_u16_e32 vcc, 0, v19
	v_cndmask_b32_e32 v18, v18, v21, vcc
	v_cndmask_b32_e32 v19, v19, v20, vcc
	v_lshlrev_b32_e32 v20, 24, v12
	v_mov_b32_e32 v21, 0x3b800000
	v_lshlrev_b32_e32 v18, 20, v18
	v_and_b32_e32 v20, 0x80000000, v20
	v_lshl_add_u32 v19, v19, 23, v21
	v_or3_b32 v18, v20, v19, v18
.LBB38_1796:
	s_or_b64 exec, exec, s[6:7]
	s_movk_i32 s4, 0x7f
	v_cmp_gt_i16_sdwa s[6:7], v8, s4 src0_sel:BYTE_0 src1_sel:DWORD
	s_mov_b64 s[4:5], 0
                                        ; implicit-def: $sgpr10
	s_and_saveexec_b64 s[8:9], s[6:7]
	s_xor_b64 s[6:7], exec, s[8:9]
	s_cbranch_execnz .LBB38_3845
; %bb.1797:
	s_or_saveexec_b64 s[6:7], s[6:7]
	v_mov_b32_e32 v19, s10
	s_xor_b64 exec, exec, s[6:7]
	s_cbranch_execnz .LBB38_3848
.LBB38_1798:
	s_or_b64 exec, exec, s[6:7]
	s_and_saveexec_b64 s[6:7], s[4:5]
	s_cbranch_execz .LBB38_1800
.LBB38_1799:
	v_and_b32_e32 v19, 7, v8
	v_ffbh_u32_e32 v21, v19
	v_min_u32_e32 v21, 32, v21
	v_lshrrev_b16_e32 v20, 3, v8
	v_subrev_u32_e32 v22, 28, v21
	v_and_b32_e32 v20, 15, v20
	v_lshlrev_b32_e32 v22, v22, v8
	v_sub_u32_e32 v21, 29, v21
	v_and_b32_e32 v22, 7, v22
	v_cmp_eq_u16_e32 vcc, 0, v20
	v_cndmask_b32_e32 v19, v19, v22, vcc
	v_cndmask_b32_e32 v20, v20, v21, vcc
	v_lshlrev_b32_e32 v21, 24, v8
	v_mov_b32_e32 v22, 0x3b800000
	v_lshlrev_b32_e32 v19, 20, v19
	v_and_b32_e32 v21, 0x80000000, v21
	v_lshl_add_u32 v20, v20, 23, v22
	v_or3_b32 v19, v21, v20, v19
.LBB38_1800:
	s_or_b64 exec, exec, s[6:7]
	flat_load_dwordx4 a[0:3], v[16:17] offset:368
	s_movk_i32 s4, 0x7f
                                        ; implicit-def: $sgpr10
	s_waitcnt vmcnt(0) lgkmcnt(0)
	v_mfma_f32_16x16x4f32 a[0:3], v18, v19, a[0:3]
	v_lshrrev_b32_e32 v19, 8, v12
	v_cmp_gt_i16_sdwa s[6:7], v19, s4 src0_sel:BYTE_0 src1_sel:DWORD
	s_mov_b64 s[4:5], 0
	s_and_saveexec_b64 s[8:9], s[6:7]
	s_xor_b64 s[6:7], exec, s[8:9]
	s_cbranch_execnz .LBB38_3849
; %bb.1801:
	s_or_saveexec_b64 s[6:7], s[6:7]
	v_mov_b32_e32 v18, s10
	s_xor_b64 exec, exec, s[6:7]
	s_cbranch_execnz .LBB38_3852
.LBB38_1802:
	s_or_b64 exec, exec, s[6:7]
	s_and_saveexec_b64 s[6:7], s[4:5]
	s_cbranch_execz .LBB38_1804
.LBB38_1803:
	v_bfe_u32 v18, v12, 8, 3
	v_ffbh_u32_e32 v21, v18
	v_min_u32_e32 v21, 32, v21
	v_lshrrev_b16_e32 v20, 3, v19
	v_subrev_u32_e32 v22, 28, v21
	v_and_b32_e32 v20, 15, v20
	v_lshlrev_b32_e32 v19, v22, v19
	v_sub_u32_e32 v21, 29, v21
	v_and_b32_e32 v19, 7, v19
	v_cmp_eq_u16_e32 vcc, 0, v20
	v_cndmask_b32_e32 v18, v18, v19, vcc
	v_cndmask_b32_e32 v19, v20, v21, vcc
	v_lshlrev_b32_e32 v20, 16, v12
	v_mov_b32_e32 v21, 0x3b800000
	v_lshlrev_b32_e32 v18, 20, v18
	v_and_b32_e32 v20, 0x80000000, v20
	v_lshl_add_u32 v19, v19, 23, v21
	v_or3_b32 v18, v20, v19, v18
.LBB38_1804:
	s_or_b64 exec, exec, s[6:7]
	v_lshrrev_b32_e32 v19, 8, v8
	s_movk_i32 s4, 0x7f
	v_cmp_gt_i16_sdwa s[6:7], v19, s4 src0_sel:BYTE_0 src1_sel:DWORD
	s_mov_b64 s[4:5], 0
                                        ; implicit-def: $sgpr10
	s_and_saveexec_b64 s[8:9], s[6:7]
	s_xor_b64 s[6:7], exec, s[8:9]
	s_cbranch_execnz .LBB38_3853
; %bb.1805:
	s_or_saveexec_b64 s[6:7], s[6:7]
	v_mov_b32_e32 v20, s10
	s_xor_b64 exec, exec, s[6:7]
	s_cbranch_execnz .LBB38_3856
.LBB38_1806:
	s_or_b64 exec, exec, s[6:7]
	s_and_saveexec_b64 s[6:7], s[4:5]
	s_cbranch_execz .LBB38_1808
.LBB38_1807:
	v_bfe_u32 v20, v8, 8, 3
	v_ffbh_u32_e32 v22, v20
	v_min_u32_e32 v22, 32, v22
	v_lshrrev_b16_e32 v21, 3, v19
	v_subrev_u32_e32 v23, 28, v22
	v_and_b32_e32 v21, 15, v21
	v_lshlrev_b32_e32 v19, v23, v19
	v_sub_u32_e32 v22, 29, v22
	v_and_b32_e32 v19, 7, v19
	v_cmp_eq_u16_e32 vcc, 0, v21
	v_cndmask_b32_e32 v19, v20, v19, vcc
	v_cndmask_b32_e32 v20, v21, v22, vcc
	v_lshlrev_b32_e32 v21, 16, v8
	v_mov_b32_e32 v22, 0x3b800000
	v_lshlrev_b32_e32 v19, 20, v19
	v_and_b32_e32 v21, 0x80000000, v21
	v_lshl_add_u32 v20, v20, 23, v22
	v_or3_b32 v20, v21, v20, v19
.LBB38_1808:
	s_or_b64 exec, exec, s[6:7]
	s_nop 0
	v_mfma_f32_16x16x4f32 a[0:3], v18, v20, a[0:3]
	s_movk_i32 s4, 0xff
	v_and_b32_sdwa v19, v12, s4 dst_sel:DWORD dst_unused:UNUSED_PAD src0_sel:WORD_1 src1_sel:DWORD
	s_movk_i32 s4, 0x7f
	v_cmp_lt_i16_e32 vcc, s4, v19
	s_mov_b64 s[4:5], 0
                                        ; implicit-def: $sgpr10
	s_and_saveexec_b64 s[6:7], vcc
	s_xor_b64 s[6:7], exec, s[6:7]
	s_cbranch_execnz .LBB38_3857
; %bb.1809:
	s_or_saveexec_b64 s[6:7], s[6:7]
	v_mov_b32_e32 v18, s10
	s_xor_b64 exec, exec, s[6:7]
	s_cbranch_execnz .LBB38_3860
.LBB38_1810:
	s_or_b64 exec, exec, s[6:7]
	s_and_saveexec_b64 s[6:7], s[4:5]
	s_cbranch_execz .LBB38_1812
.LBB38_1811:
	v_bfe_u32 v18, v12, 16, 3
	v_ffbh_u32_e32 v21, v18
	v_min_u32_e32 v21, 32, v21
	v_lshrrev_b32_e32 v19, 19, v12
	v_subrev_u32_e32 v22, 28, v21
	v_and_b32_e32 v19, 15, v19
	v_lshlrev_b32_sdwa v22, v22, v12 dst_sel:DWORD dst_unused:UNUSED_PAD src0_sel:DWORD src1_sel:WORD_1
	v_bfe_u32 v20, v12, 19, 4
	v_sub_u32_e32 v21, 29, v21
	v_and_b32_e32 v22, 7, v22
	v_cmp_eq_u16_e32 vcc, 0, v19
	v_cndmask_b32_e32 v18, v18, v22, vcc
	v_cndmask_b32_e32 v19, v20, v21, vcc
	v_lshlrev_b32_e32 v20, 8, v12
	v_mov_b32_e32 v21, 0x3b800000
	v_lshlrev_b32_e32 v18, 20, v18
	v_and_b32_e32 v20, 0x80000000, v20
	v_lshl_add_u32 v19, v19, 23, v21
	v_or3_b32 v18, v20, v19, v18
.LBB38_1812:
	s_or_b64 exec, exec, s[6:7]
	s_movk_i32 s4, 0xff
	v_and_b32_sdwa v19, v8, s4 dst_sel:DWORD dst_unused:UNUSED_PAD src0_sel:WORD_1 src1_sel:DWORD
	s_movk_i32 s4, 0x7f
	v_cmp_lt_i16_e32 vcc, s4, v19
	s_mov_b64 s[4:5], 0
                                        ; implicit-def: $sgpr10
	s_and_saveexec_b64 s[6:7], vcc
	s_xor_b64 s[6:7], exec, s[6:7]
	s_cbranch_execnz .LBB38_3861
; %bb.1813:
	s_or_saveexec_b64 s[6:7], s[6:7]
	v_mov_b32_e32 v20, s10
	s_xor_b64 exec, exec, s[6:7]
	s_cbranch_execnz .LBB38_3864
.LBB38_1814:
	s_or_b64 exec, exec, s[6:7]
	s_and_saveexec_b64 s[6:7], s[4:5]
	s_cbranch_execz .LBB38_1816
.LBB38_1815:
	v_bfe_u32 v19, v8, 16, 3
	v_ffbh_u32_e32 v22, v19
	v_min_u32_e32 v22, 32, v22
	v_lshrrev_b32_e32 v20, 19, v8
	v_subrev_u32_e32 v23, 28, v22
	v_and_b32_e32 v20, 15, v20
	v_lshlrev_b32_sdwa v23, v23, v8 dst_sel:DWORD dst_unused:UNUSED_PAD src0_sel:DWORD src1_sel:WORD_1
	v_bfe_u32 v21, v8, 19, 4
	v_sub_u32_e32 v22, 29, v22
	v_and_b32_e32 v23, 7, v23
	v_cmp_eq_u16_e32 vcc, 0, v20
	v_cndmask_b32_e32 v19, v19, v23, vcc
	v_cndmask_b32_e32 v20, v21, v22, vcc
	v_lshlrev_b32_e32 v21, 8, v8
	v_mov_b32_e32 v22, 0x3b800000
	v_lshlrev_b32_e32 v19, 20, v19
	v_and_b32_e32 v21, 0x80000000, v21
	v_lshl_add_u32 v20, v20, 23, v22
	v_or3_b32 v20, v21, v20, v19
.LBB38_1816:
	s_or_b64 exec, exec, s[6:7]
	s_nop 0
	v_mfma_f32_16x16x4f32 a[0:3], v18, v20, a[0:3]
	s_movk_i32 s4, 0x7f
	v_cmp_gt_i16_sdwa s[6:7], v12, s4 src0_sel:BYTE_3 src1_sel:DWORD
	s_mov_b64 s[4:5], 0
                                        ; implicit-def: $sgpr10
	s_and_saveexec_b64 s[8:9], s[6:7]
	s_xor_b64 s[6:7], exec, s[8:9]
	s_cbranch_execnz .LBB38_3865
; %bb.1817:
	s_or_saveexec_b64 s[6:7], s[6:7]
	v_mov_b32_e32 v18, s10
	s_xor_b64 exec, exec, s[6:7]
	s_cbranch_execnz .LBB38_3868
.LBB38_1818:
	s_or_b64 exec, exec, s[6:7]
	s_and_saveexec_b64 s[6:7], s[4:5]
	s_cbranch_execz .LBB38_1820
.LBB38_1819:
	v_bfe_u32 v18, v12, 24, 3
	v_ffbh_u32_e32 v22, v18
	v_min_u32_e32 v22, 32, v22
	v_lshrrev_b32_e32 v20, 27, v12
	v_subrev_u32_e32 v23, 28, v22
	v_and_b32_e32 v19, 0x80000000, v12
	v_and_b32_e32 v20, 15, v20
	v_bfe_u32 v21, v12, 27, 4
	v_lshlrev_b32_sdwa v12, v23, v12 dst_sel:DWORD dst_unused:UNUSED_PAD src0_sel:DWORD src1_sel:BYTE_3
	v_sub_u32_e32 v22, 29, v22
	v_and_b32_e32 v12, 7, v12
	v_cmp_eq_u16_e32 vcc, 0, v20
	v_cndmask_b32_e32 v12, v18, v12, vcc
	v_cndmask_b32_e32 v18, v21, v22, vcc
	v_mov_b32_e32 v20, 0x3b800000
	v_lshlrev_b32_e32 v12, 20, v12
	v_lshl_add_u32 v18, v18, 23, v20
	v_or3_b32 v18, v19, v18, v12
.LBB38_1820:
	s_or_b64 exec, exec, s[6:7]
	s_movk_i32 s4, 0x7f
	v_cmp_gt_i16_sdwa s[6:7], v8, s4 src0_sel:BYTE_3 src1_sel:DWORD
	s_mov_b64 s[4:5], 0
                                        ; implicit-def: $sgpr10
	s_and_saveexec_b64 s[8:9], s[6:7]
	s_xor_b64 s[6:7], exec, s[8:9]
	s_cbranch_execnz .LBB38_3869
; %bb.1821:
	s_or_saveexec_b64 s[6:7], s[6:7]
	v_mov_b32_e32 v12, s10
	s_xor_b64 exec, exec, s[6:7]
	s_cbranch_execnz .LBB38_3872
.LBB38_1822:
	s_or_b64 exec, exec, s[6:7]
	s_and_saveexec_b64 s[6:7], s[4:5]
	s_cbranch_execz .LBB38_1824
.LBB38_1823:
	v_bfe_u32 v12, v8, 24, 3
	v_ffbh_u32_e32 v22, v12
	v_min_u32_e32 v22, 32, v22
	v_lshrrev_b32_e32 v20, 27, v8
	v_subrev_u32_e32 v23, 28, v22
	v_and_b32_e32 v19, 0x80000000, v8
	v_and_b32_e32 v20, 15, v20
	v_bfe_u32 v21, v8, 27, 4
	v_lshlrev_b32_sdwa v8, v23, v8 dst_sel:DWORD dst_unused:UNUSED_PAD src0_sel:DWORD src1_sel:BYTE_3
	v_sub_u32_e32 v22, 29, v22
	v_and_b32_e32 v8, 7, v8
	v_cmp_eq_u16_e32 vcc, 0, v20
	v_cndmask_b32_e32 v8, v12, v8, vcc
	v_cndmask_b32_e32 v12, v21, v22, vcc
	v_mov_b32_e32 v20, 0x3b800000
	v_lshlrev_b32_e32 v8, 20, v8
	v_lshl_add_u32 v12, v12, 23, v20
	v_or3_b32 v12, v19, v12, v8
.LBB38_1824:
	s_or_b64 exec, exec, s[6:7]
	s_nop 0
	v_mfma_f32_16x16x4f32 a[0:3], v18, v12, a[0:3]
	s_movk_i32 s4, 0x7f
	v_cmp_gt_i16_sdwa s[6:7], v13, s4 src0_sel:BYTE_0 src1_sel:DWORD
	s_mov_b64 s[4:5], 0
                                        ; implicit-def: $sgpr10
	s_and_saveexec_b64 s[8:9], s[6:7]
	s_xor_b64 s[6:7], exec, s[8:9]
	s_cbranch_execnz .LBB38_3873
; %bb.1825:
	s_or_saveexec_b64 s[6:7], s[6:7]
	v_mov_b32_e32 v8, s10
	s_xor_b64 exec, exec, s[6:7]
	s_cbranch_execnz .LBB38_3876
.LBB38_1826:
	s_or_b64 exec, exec, s[6:7]
	s_and_saveexec_b64 s[6:7], s[4:5]
	s_cbranch_execz .LBB38_1828
.LBB38_1827:
	v_and_b32_e32 v8, 7, v13
	v_ffbh_u32_e32 v18, v8
	v_min_u32_e32 v18, 32, v18
	v_lshrrev_b16_e32 v12, 3, v13
	v_subrev_u32_e32 v19, 28, v18
	v_and_b32_e32 v12, 15, v12
	v_lshlrev_b32_e32 v19, v19, v13
	v_sub_u32_e32 v18, 29, v18
	v_and_b32_e32 v19, 7, v19
	v_cmp_eq_u16_e32 vcc, 0, v12
	v_cndmask_b32_e32 v8, v8, v19, vcc
	v_cndmask_b32_e32 v12, v12, v18, vcc
	v_lshlrev_b32_e32 v18, 24, v13
	v_mov_b32_e32 v19, 0x3b800000
	v_lshlrev_b32_e32 v8, 20, v8
	v_and_b32_e32 v18, 0x80000000, v18
	v_lshl_add_u32 v12, v12, 23, v19
	v_or3_b32 v8, v18, v12, v8
.LBB38_1828:
	s_or_b64 exec, exec, s[6:7]
	s_movk_i32 s4, 0x7f
	v_cmp_gt_i16_sdwa s[6:7], v9, s4 src0_sel:BYTE_0 src1_sel:DWORD
	s_mov_b64 s[4:5], 0
                                        ; implicit-def: $sgpr10
	s_and_saveexec_b64 s[8:9], s[6:7]
	s_xor_b64 s[6:7], exec, s[8:9]
	s_cbranch_execnz .LBB38_3877
; %bb.1829:
	s_or_saveexec_b64 s[6:7], s[6:7]
	v_mov_b32_e32 v12, s10
	s_xor_b64 exec, exec, s[6:7]
	s_cbranch_execnz .LBB38_3880
.LBB38_1830:
	s_or_b64 exec, exec, s[6:7]
	s_and_saveexec_b64 s[6:7], s[4:5]
	s_cbranch_execz .LBB38_1832
.LBB38_1831:
	v_and_b32_e32 v12, 7, v9
	v_ffbh_u32_e32 v19, v12
	v_min_u32_e32 v19, 32, v19
	v_lshrrev_b16_e32 v18, 3, v9
	v_subrev_u32_e32 v20, 28, v19
	v_and_b32_e32 v18, 15, v18
	v_lshlrev_b32_e32 v20, v20, v9
	v_sub_u32_e32 v19, 29, v19
	v_and_b32_e32 v20, 7, v20
	v_cmp_eq_u16_e32 vcc, 0, v18
	v_cndmask_b32_e32 v12, v12, v20, vcc
	v_cndmask_b32_e32 v18, v18, v19, vcc
	v_lshlrev_b32_e32 v19, 24, v9
	v_mov_b32_e32 v20, 0x3b800000
	v_lshlrev_b32_e32 v12, 20, v12
	v_and_b32_e32 v19, 0x80000000, v19
	v_lshl_add_u32 v18, v18, 23, v20
	v_or3_b32 v12, v19, v18, v12
.LBB38_1832:
	s_or_b64 exec, exec, s[6:7]
	s_nop 0
	v_mfma_f32_16x16x4f32 a[0:3], v8, v12, a[0:3]
	v_lshrrev_b32_e32 v12, 8, v13
	s_movk_i32 s4, 0x7f
	v_cmp_gt_i16_sdwa s[6:7], v12, s4 src0_sel:BYTE_0 src1_sel:DWORD
	s_mov_b64 s[4:5], 0
                                        ; implicit-def: $sgpr10
	s_and_saveexec_b64 s[8:9], s[6:7]
	s_xor_b64 s[6:7], exec, s[8:9]
	s_cbranch_execnz .LBB38_3881
; %bb.1833:
	s_or_saveexec_b64 s[6:7], s[6:7]
	v_mov_b32_e32 v8, s10
	s_xor_b64 exec, exec, s[6:7]
	s_cbranch_execnz .LBB38_3884
.LBB38_1834:
	s_or_b64 exec, exec, s[6:7]
	s_and_saveexec_b64 s[6:7], s[4:5]
	s_cbranch_execz .LBB38_1836
.LBB38_1835:
	v_bfe_u32 v8, v13, 8, 3
	v_ffbh_u32_e32 v19, v8
	v_min_u32_e32 v19, 32, v19
	v_lshrrev_b16_e32 v18, 3, v12
	v_subrev_u32_e32 v20, 28, v19
	v_and_b32_e32 v18, 15, v18
	v_lshlrev_b32_e32 v12, v20, v12
	v_sub_u32_e32 v19, 29, v19
	v_and_b32_e32 v12, 7, v12
	v_cmp_eq_u16_e32 vcc, 0, v18
	v_cndmask_b32_e32 v8, v8, v12, vcc
	v_cndmask_b32_e32 v12, v18, v19, vcc
	v_lshlrev_b32_e32 v18, 16, v13
	v_mov_b32_e32 v19, 0x3b800000
	v_lshlrev_b32_e32 v8, 20, v8
	v_and_b32_e32 v18, 0x80000000, v18
	v_lshl_add_u32 v12, v12, 23, v19
	v_or3_b32 v8, v18, v12, v8
.LBB38_1836:
	s_or_b64 exec, exec, s[6:7]
	v_lshrrev_b32_e32 v12, 8, v9
	s_movk_i32 s4, 0x7f
	v_cmp_gt_i16_sdwa s[6:7], v12, s4 src0_sel:BYTE_0 src1_sel:DWORD
	s_mov_b64 s[4:5], 0
                                        ; implicit-def: $sgpr10
	s_and_saveexec_b64 s[8:9], s[6:7]
	s_xor_b64 s[6:7], exec, s[8:9]
	s_cbranch_execnz .LBB38_3885
; %bb.1837:
	s_or_saveexec_b64 s[6:7], s[6:7]
	v_mov_b32_e32 v18, s10
	s_xor_b64 exec, exec, s[6:7]
	s_cbranch_execnz .LBB38_3888
.LBB38_1838:
	s_or_b64 exec, exec, s[6:7]
	s_and_saveexec_b64 s[6:7], s[4:5]
	s_cbranch_execz .LBB38_1840
.LBB38_1839:
	v_bfe_u32 v18, v9, 8, 3
	v_ffbh_u32_e32 v20, v18
	v_min_u32_e32 v20, 32, v20
	v_lshrrev_b16_e32 v19, 3, v12
	v_subrev_u32_e32 v21, 28, v20
	v_and_b32_e32 v19, 15, v19
	v_lshlrev_b32_e32 v12, v21, v12
	v_sub_u32_e32 v20, 29, v20
	v_and_b32_e32 v12, 7, v12
	v_cmp_eq_u16_e32 vcc, 0, v19
	v_cndmask_b32_e32 v12, v18, v12, vcc
	v_cndmask_b32_e32 v18, v19, v20, vcc
	v_lshlrev_b32_e32 v19, 16, v9
	v_mov_b32_e32 v20, 0x3b800000
	v_lshlrev_b32_e32 v12, 20, v12
	v_and_b32_e32 v19, 0x80000000, v19
	v_lshl_add_u32 v18, v18, 23, v20
	v_or3_b32 v18, v19, v18, v12
.LBB38_1840:
	s_or_b64 exec, exec, s[6:7]
	s_nop 0
	v_mfma_f32_16x16x4f32 a[0:3], v8, v18, a[0:3]
	s_movk_i32 s4, 0xff
	v_and_b32_sdwa v12, v13, s4 dst_sel:DWORD dst_unused:UNUSED_PAD src0_sel:WORD_1 src1_sel:DWORD
	s_movk_i32 s4, 0x7f
	v_cmp_lt_i16_e32 vcc, s4, v12
	s_mov_b64 s[4:5], 0
                                        ; implicit-def: $sgpr10
	s_and_saveexec_b64 s[6:7], vcc
	s_xor_b64 s[6:7], exec, s[6:7]
	s_cbranch_execnz .LBB38_3889
; %bb.1841:
	s_or_saveexec_b64 s[6:7], s[6:7]
	v_mov_b32_e32 v8, s10
	s_xor_b64 exec, exec, s[6:7]
	s_cbranch_execnz .LBB38_3892
.LBB38_1842:
	s_or_b64 exec, exec, s[6:7]
	s_and_saveexec_b64 s[6:7], s[4:5]
	s_cbranch_execz .LBB38_1844
.LBB38_1843:
	v_bfe_u32 v8, v13, 16, 3
	v_ffbh_u32_e32 v19, v8
	v_min_u32_e32 v19, 32, v19
	v_lshrrev_b32_e32 v12, 19, v13
	v_subrev_u32_e32 v20, 28, v19
	v_and_b32_e32 v12, 15, v12
	v_lshlrev_b32_sdwa v20, v20, v13 dst_sel:DWORD dst_unused:UNUSED_PAD src0_sel:DWORD src1_sel:WORD_1
	v_bfe_u32 v18, v13, 19, 4
	v_sub_u32_e32 v19, 29, v19
	v_and_b32_e32 v20, 7, v20
	v_cmp_eq_u16_e32 vcc, 0, v12
	v_cndmask_b32_e32 v8, v8, v20, vcc
	v_cndmask_b32_e32 v12, v18, v19, vcc
	v_lshlrev_b32_e32 v18, 8, v13
	v_mov_b32_e32 v19, 0x3b800000
	v_lshlrev_b32_e32 v8, 20, v8
	v_and_b32_e32 v18, 0x80000000, v18
	v_lshl_add_u32 v12, v12, 23, v19
	v_or3_b32 v8, v18, v12, v8
.LBB38_1844:
	s_or_b64 exec, exec, s[6:7]
	s_movk_i32 s4, 0xff
	v_and_b32_sdwa v12, v9, s4 dst_sel:DWORD dst_unused:UNUSED_PAD src0_sel:WORD_1 src1_sel:DWORD
	s_movk_i32 s4, 0x7f
	v_cmp_lt_i16_e32 vcc, s4, v12
	s_mov_b64 s[4:5], 0
                                        ; implicit-def: $sgpr10
	s_and_saveexec_b64 s[6:7], vcc
	s_xor_b64 s[6:7], exec, s[6:7]
	s_cbranch_execnz .LBB38_3893
; %bb.1845:
	s_or_saveexec_b64 s[6:7], s[6:7]
	v_mov_b32_e32 v18, s10
	s_xor_b64 exec, exec, s[6:7]
	s_cbranch_execnz .LBB38_3896
.LBB38_1846:
	s_or_b64 exec, exec, s[6:7]
	s_and_saveexec_b64 s[6:7], s[4:5]
	s_cbranch_execz .LBB38_1848
.LBB38_1847:
	v_bfe_u32 v12, v9, 16, 3
	v_ffbh_u32_e32 v20, v12
	v_min_u32_e32 v20, 32, v20
	v_lshrrev_b32_e32 v18, 19, v9
	v_subrev_u32_e32 v21, 28, v20
	v_and_b32_e32 v18, 15, v18
	v_lshlrev_b32_sdwa v21, v21, v9 dst_sel:DWORD dst_unused:UNUSED_PAD src0_sel:DWORD src1_sel:WORD_1
	v_bfe_u32 v19, v9, 19, 4
	v_sub_u32_e32 v20, 29, v20
	v_and_b32_e32 v21, 7, v21
	v_cmp_eq_u16_e32 vcc, 0, v18
	v_cndmask_b32_e32 v12, v12, v21, vcc
	v_cndmask_b32_e32 v18, v19, v20, vcc
	v_lshlrev_b32_e32 v19, 8, v9
	v_mov_b32_e32 v20, 0x3b800000
	v_lshlrev_b32_e32 v12, 20, v12
	v_and_b32_e32 v19, 0x80000000, v19
	v_lshl_add_u32 v18, v18, 23, v20
	v_or3_b32 v18, v19, v18, v12
.LBB38_1848:
	s_or_b64 exec, exec, s[6:7]
	s_nop 0
	v_mfma_f32_16x16x4f32 a[0:3], v8, v18, a[0:3]
	s_movk_i32 s4, 0x7f
	v_cmp_gt_i16_sdwa s[6:7], v13, s4 src0_sel:BYTE_3 src1_sel:DWORD
	s_mov_b64 s[4:5], 0
                                        ; implicit-def: $sgpr10
	s_and_saveexec_b64 s[8:9], s[6:7]
	s_xor_b64 s[6:7], exec, s[8:9]
	s_cbranch_execnz .LBB38_3897
; %bb.1849:
	s_or_saveexec_b64 s[6:7], s[6:7]
	v_mov_b32_e32 v8, s10
	s_xor_b64 exec, exec, s[6:7]
	s_cbranch_execnz .LBB38_3900
.LBB38_1850:
	s_or_b64 exec, exec, s[6:7]
	s_and_saveexec_b64 s[6:7], s[4:5]
	s_cbranch_execz .LBB38_1852
.LBB38_1851:
	v_bfe_u32 v8, v13, 24, 3
	v_ffbh_u32_e32 v20, v8
	v_min_u32_e32 v20, 32, v20
	v_lshrrev_b32_e32 v18, 27, v13
	v_subrev_u32_e32 v21, 28, v20
	v_and_b32_e32 v12, 0x80000000, v13
	v_and_b32_e32 v18, 15, v18
	v_bfe_u32 v19, v13, 27, 4
	v_lshlrev_b32_sdwa v13, v21, v13 dst_sel:DWORD dst_unused:UNUSED_PAD src0_sel:DWORD src1_sel:BYTE_3
	v_sub_u32_e32 v20, 29, v20
	v_and_b32_e32 v13, 7, v13
	v_cmp_eq_u16_e32 vcc, 0, v18
	v_cndmask_b32_e32 v8, v8, v13, vcc
	v_cndmask_b32_e32 v13, v19, v20, vcc
	v_mov_b32_e32 v18, 0x3b800000
	v_lshlrev_b32_e32 v8, 20, v8
	v_lshl_add_u32 v13, v13, 23, v18
	v_or3_b32 v8, v12, v13, v8
.LBB38_1852:
	s_or_b64 exec, exec, s[6:7]
	s_movk_i32 s4, 0x7f
	v_cmp_gt_i16_sdwa s[6:7], v9, s4 src0_sel:BYTE_3 src1_sel:DWORD
	s_mov_b64 s[4:5], 0
                                        ; implicit-def: $sgpr10
	s_and_saveexec_b64 s[8:9], s[6:7]
	s_xor_b64 s[6:7], exec, s[8:9]
	s_cbranch_execnz .LBB38_3901
; %bb.1853:
	s_or_saveexec_b64 s[6:7], s[6:7]
	v_mov_b32_e32 v12, s10
	s_xor_b64 exec, exec, s[6:7]
	s_cbranch_execnz .LBB38_3904
.LBB38_1854:
	s_or_b64 exec, exec, s[6:7]
	s_and_saveexec_b64 s[6:7], s[4:5]
	s_cbranch_execz .LBB38_1856
.LBB38_1855:
	v_bfe_u32 v12, v9, 24, 3
	v_ffbh_u32_e32 v20, v12
	v_min_u32_e32 v20, 32, v20
	v_lshrrev_b32_e32 v18, 27, v9
	v_subrev_u32_e32 v21, 28, v20
	v_and_b32_e32 v13, 0x80000000, v9
	v_and_b32_e32 v18, 15, v18
	v_bfe_u32 v19, v9, 27, 4
	v_lshlrev_b32_sdwa v9, v21, v9 dst_sel:DWORD dst_unused:UNUSED_PAD src0_sel:DWORD src1_sel:BYTE_3
	v_sub_u32_e32 v20, 29, v20
	v_and_b32_e32 v9, 7, v9
	v_cmp_eq_u16_e32 vcc, 0, v18
	v_cndmask_b32_e32 v9, v12, v9, vcc
	v_cndmask_b32_e32 v12, v19, v20, vcc
	v_mov_b32_e32 v18, 0x3b800000
	v_lshlrev_b32_e32 v9, 20, v9
	v_lshl_add_u32 v12, v12, 23, v18
	v_or3_b32 v12, v13, v12, v9
.LBB38_1856:
	s_or_b64 exec, exec, s[6:7]
	s_nop 0
	v_mfma_f32_16x16x4f32 a[0:3], v8, v12, a[0:3]
	s_movk_i32 s4, 0x7f
	v_cmp_gt_i16_sdwa s[6:7], v14, s4 src0_sel:BYTE_0 src1_sel:DWORD
	s_mov_b64 s[4:5], 0
                                        ; implicit-def: $sgpr10
	s_and_saveexec_b64 s[8:9], s[6:7]
	s_xor_b64 s[6:7], exec, s[8:9]
	s_cbranch_execnz .LBB38_3905
; %bb.1857:
	s_or_saveexec_b64 s[6:7], s[6:7]
	v_mov_b32_e32 v8, s10
	s_xor_b64 exec, exec, s[6:7]
	s_cbranch_execnz .LBB38_3908
.LBB38_1858:
	s_or_b64 exec, exec, s[6:7]
	s_and_saveexec_b64 s[6:7], s[4:5]
	s_cbranch_execz .LBB38_1860
.LBB38_1859:
	v_and_b32_e32 v8, 7, v14
	v_ffbh_u32_e32 v12, v8
	v_min_u32_e32 v12, 32, v12
	v_lshrrev_b16_e32 v9, 3, v14
	v_subrev_u32_e32 v13, 28, v12
	v_and_b32_e32 v9, 15, v9
	v_lshlrev_b32_e32 v13, v13, v14
	v_sub_u32_e32 v12, 29, v12
	v_and_b32_e32 v13, 7, v13
	v_cmp_eq_u16_e32 vcc, 0, v9
	v_cndmask_b32_e32 v8, v8, v13, vcc
	v_cndmask_b32_e32 v9, v9, v12, vcc
	v_lshlrev_b32_e32 v12, 24, v14
	v_mov_b32_e32 v13, 0x3b800000
	v_lshlrev_b32_e32 v8, 20, v8
	v_and_b32_e32 v12, 0x80000000, v12
	v_lshl_add_u32 v9, v9, 23, v13
	v_or3_b32 v8, v12, v9, v8
.LBB38_1860:
	s_or_b64 exec, exec, s[6:7]
	s_movk_i32 s4, 0x7f
	v_cmp_gt_i16_sdwa s[6:7], v10, s4 src0_sel:BYTE_0 src1_sel:DWORD
	s_mov_b64 s[4:5], 0
                                        ; implicit-def: $sgpr10
	s_and_saveexec_b64 s[8:9], s[6:7]
	s_xor_b64 s[6:7], exec, s[8:9]
	s_cbranch_execnz .LBB38_3909
; %bb.1861:
	s_or_saveexec_b64 s[6:7], s[6:7]
	v_mov_b32_e32 v9, s10
	s_xor_b64 exec, exec, s[6:7]
	s_cbranch_execnz .LBB38_3912
.LBB38_1862:
	s_or_b64 exec, exec, s[6:7]
	s_and_saveexec_b64 s[6:7], s[4:5]
	s_cbranch_execz .LBB38_1864
.LBB38_1863:
	v_and_b32_e32 v9, 7, v10
	v_ffbh_u32_e32 v13, v9
	v_min_u32_e32 v13, 32, v13
	v_lshrrev_b16_e32 v12, 3, v10
	v_subrev_u32_e32 v18, 28, v13
	v_and_b32_e32 v12, 15, v12
	v_lshlrev_b32_e32 v18, v18, v10
	v_sub_u32_e32 v13, 29, v13
	v_and_b32_e32 v18, 7, v18
	v_cmp_eq_u16_e32 vcc, 0, v12
	v_cndmask_b32_e32 v9, v9, v18, vcc
	v_cndmask_b32_e32 v12, v12, v13, vcc
	v_lshlrev_b32_e32 v13, 24, v10
	v_mov_b32_e32 v18, 0x3b800000
	v_lshlrev_b32_e32 v9, 20, v9
	v_and_b32_e32 v13, 0x80000000, v13
	v_lshl_add_u32 v12, v12, 23, v18
	v_or3_b32 v9, v13, v12, v9
.LBB38_1864:
	s_or_b64 exec, exec, s[6:7]
	s_nop 0
	v_mfma_f32_16x16x4f32 a[0:3], v8, v9, a[0:3]
	v_lshrrev_b32_e32 v9, 8, v14
	s_movk_i32 s4, 0x7f
	v_cmp_gt_i16_sdwa s[6:7], v9, s4 src0_sel:BYTE_0 src1_sel:DWORD
	s_mov_b64 s[4:5], 0
                                        ; implicit-def: $sgpr10
	s_and_saveexec_b64 s[8:9], s[6:7]
	s_xor_b64 s[6:7], exec, s[8:9]
	s_cbranch_execnz .LBB38_3913
; %bb.1865:
	s_or_saveexec_b64 s[6:7], s[6:7]
	v_mov_b32_e32 v8, s10
	s_xor_b64 exec, exec, s[6:7]
	s_cbranch_execnz .LBB38_3916
.LBB38_1866:
	s_or_b64 exec, exec, s[6:7]
	s_and_saveexec_b64 s[6:7], s[4:5]
	s_cbranch_execz .LBB38_1868
.LBB38_1867:
	v_bfe_u32 v8, v14, 8, 3
	v_ffbh_u32_e32 v13, v8
	v_min_u32_e32 v13, 32, v13
	v_lshrrev_b16_e32 v12, 3, v9
	v_subrev_u32_e32 v18, 28, v13
	v_and_b32_e32 v12, 15, v12
	v_lshlrev_b32_e32 v9, v18, v9
	v_sub_u32_e32 v13, 29, v13
	v_and_b32_e32 v9, 7, v9
	v_cmp_eq_u16_e32 vcc, 0, v12
	v_cndmask_b32_e32 v8, v8, v9, vcc
	v_cndmask_b32_e32 v9, v12, v13, vcc
	v_lshlrev_b32_e32 v12, 16, v14
	v_mov_b32_e32 v13, 0x3b800000
	v_lshlrev_b32_e32 v8, 20, v8
	v_and_b32_e32 v12, 0x80000000, v12
	v_lshl_add_u32 v9, v9, 23, v13
	v_or3_b32 v8, v12, v9, v8
.LBB38_1868:
	s_or_b64 exec, exec, s[6:7]
	v_lshrrev_b32_e32 v9, 8, v10
	s_movk_i32 s4, 0x7f
	v_cmp_gt_i16_sdwa s[6:7], v9, s4 src0_sel:BYTE_0 src1_sel:DWORD
	s_mov_b64 s[4:5], 0
                                        ; implicit-def: $sgpr10
	s_and_saveexec_b64 s[8:9], s[6:7]
	s_xor_b64 s[6:7], exec, s[8:9]
	s_cbranch_execnz .LBB38_3917
; %bb.1869:
	s_or_saveexec_b64 s[6:7], s[6:7]
	v_mov_b32_e32 v12, s10
	s_xor_b64 exec, exec, s[6:7]
	s_cbranch_execnz .LBB38_3920
.LBB38_1870:
	s_or_b64 exec, exec, s[6:7]
	s_and_saveexec_b64 s[6:7], s[4:5]
	s_cbranch_execz .LBB38_1872
.LBB38_1871:
	v_bfe_u32 v12, v10, 8, 3
	v_ffbh_u32_e32 v18, v12
	v_min_u32_e32 v18, 32, v18
	v_lshrrev_b16_e32 v13, 3, v9
	v_subrev_u32_e32 v19, 28, v18
	v_and_b32_e32 v13, 15, v13
	v_lshlrev_b32_e32 v9, v19, v9
	v_sub_u32_e32 v18, 29, v18
	v_and_b32_e32 v9, 7, v9
	v_cmp_eq_u16_e32 vcc, 0, v13
	v_cndmask_b32_e32 v9, v12, v9, vcc
	v_cndmask_b32_e32 v12, v13, v18, vcc
	v_lshlrev_b32_e32 v13, 16, v10
	v_mov_b32_e32 v18, 0x3b800000
	v_lshlrev_b32_e32 v9, 20, v9
	v_and_b32_e32 v13, 0x80000000, v13
	v_lshl_add_u32 v12, v12, 23, v18
	v_or3_b32 v12, v13, v12, v9
.LBB38_1872:
	s_or_b64 exec, exec, s[6:7]
	s_nop 0
	v_mfma_f32_16x16x4f32 a[0:3], v8, v12, a[0:3]
	s_movk_i32 s4, 0xff
	v_and_b32_sdwa v9, v14, s4 dst_sel:DWORD dst_unused:UNUSED_PAD src0_sel:WORD_1 src1_sel:DWORD
	s_movk_i32 s4, 0x7f
	v_cmp_lt_i16_e32 vcc, s4, v9
	s_mov_b64 s[4:5], 0
                                        ; implicit-def: $sgpr10
	s_and_saveexec_b64 s[6:7], vcc
	s_xor_b64 s[6:7], exec, s[6:7]
	s_cbranch_execnz .LBB38_3921
; %bb.1873:
	s_or_saveexec_b64 s[6:7], s[6:7]
	v_mov_b32_e32 v8, s10
	s_xor_b64 exec, exec, s[6:7]
	s_cbranch_execnz .LBB38_3924
.LBB38_1874:
	s_or_b64 exec, exec, s[6:7]
	s_and_saveexec_b64 s[6:7], s[4:5]
	s_cbranch_execz .LBB38_1876
.LBB38_1875:
	v_bfe_u32 v8, v14, 16, 3
	v_ffbh_u32_e32 v13, v8
	v_min_u32_e32 v13, 32, v13
	v_lshrrev_b32_e32 v9, 19, v14
	v_subrev_u32_e32 v18, 28, v13
	v_and_b32_e32 v9, 15, v9
	v_lshlrev_b32_sdwa v18, v18, v14 dst_sel:DWORD dst_unused:UNUSED_PAD src0_sel:DWORD src1_sel:WORD_1
	v_bfe_u32 v12, v14, 19, 4
	v_sub_u32_e32 v13, 29, v13
	v_and_b32_e32 v18, 7, v18
	v_cmp_eq_u16_e32 vcc, 0, v9
	v_cndmask_b32_e32 v8, v8, v18, vcc
	v_cndmask_b32_e32 v9, v12, v13, vcc
	v_lshlrev_b32_e32 v12, 8, v14
	v_mov_b32_e32 v13, 0x3b800000
	v_lshlrev_b32_e32 v8, 20, v8
	v_and_b32_e32 v12, 0x80000000, v12
	v_lshl_add_u32 v9, v9, 23, v13
	v_or3_b32 v8, v12, v9, v8
.LBB38_1876:
	s_or_b64 exec, exec, s[6:7]
	s_movk_i32 s4, 0xff
	v_and_b32_sdwa v9, v10, s4 dst_sel:DWORD dst_unused:UNUSED_PAD src0_sel:WORD_1 src1_sel:DWORD
	s_movk_i32 s4, 0x7f
	v_cmp_lt_i16_e32 vcc, s4, v9
	s_mov_b64 s[4:5], 0
                                        ; implicit-def: $sgpr10
	s_and_saveexec_b64 s[6:7], vcc
	s_xor_b64 s[6:7], exec, s[6:7]
	s_cbranch_execnz .LBB38_3925
; %bb.1877:
	s_or_saveexec_b64 s[6:7], s[6:7]
	v_mov_b32_e32 v12, s10
	s_xor_b64 exec, exec, s[6:7]
	s_cbranch_execnz .LBB38_3928
.LBB38_1878:
	s_or_b64 exec, exec, s[6:7]
	s_and_saveexec_b64 s[6:7], s[4:5]
	s_cbranch_execz .LBB38_1880
.LBB38_1879:
	v_bfe_u32 v9, v10, 16, 3
	v_ffbh_u32_e32 v18, v9
	v_min_u32_e32 v18, 32, v18
	v_lshrrev_b32_e32 v12, 19, v10
	v_subrev_u32_e32 v19, 28, v18
	v_and_b32_e32 v12, 15, v12
	v_lshlrev_b32_sdwa v19, v19, v10 dst_sel:DWORD dst_unused:UNUSED_PAD src0_sel:DWORD src1_sel:WORD_1
	v_bfe_u32 v13, v10, 19, 4
	v_sub_u32_e32 v18, 29, v18
	v_and_b32_e32 v19, 7, v19
	v_cmp_eq_u16_e32 vcc, 0, v12
	v_cndmask_b32_e32 v9, v9, v19, vcc
	v_cndmask_b32_e32 v12, v13, v18, vcc
	v_lshlrev_b32_e32 v13, 8, v10
	v_mov_b32_e32 v18, 0x3b800000
	v_lshlrev_b32_e32 v9, 20, v9
	v_and_b32_e32 v13, 0x80000000, v13
	v_lshl_add_u32 v12, v12, 23, v18
	v_or3_b32 v12, v13, v12, v9
.LBB38_1880:
	s_or_b64 exec, exec, s[6:7]
	s_nop 0
	v_mfma_f32_16x16x4f32 a[0:3], v8, v12, a[0:3]
	s_movk_i32 s4, 0x7f
	v_cmp_gt_i16_sdwa s[6:7], v14, s4 src0_sel:BYTE_3 src1_sel:DWORD
	s_mov_b64 s[4:5], 0
                                        ; implicit-def: $sgpr10
	s_and_saveexec_b64 s[8:9], s[6:7]
	s_xor_b64 s[6:7], exec, s[8:9]
	s_cbranch_execnz .LBB38_3929
; %bb.1881:
	s_or_saveexec_b64 s[6:7], s[6:7]
	v_mov_b32_e32 v8, s10
	s_xor_b64 exec, exec, s[6:7]
	s_cbranch_execnz .LBB38_3932
.LBB38_1882:
	s_or_b64 exec, exec, s[6:7]
	s_and_saveexec_b64 s[6:7], s[4:5]
	s_cbranch_execz .LBB38_1884
.LBB38_1883:
	v_bfe_u32 v8, v14, 24, 3
	v_ffbh_u32_e32 v18, v8
	v_min_u32_e32 v18, 32, v18
	v_lshrrev_b32_e32 v12, 27, v14
	v_subrev_u32_e32 v19, 28, v18
	v_and_b32_e32 v9, 0x80000000, v14
	v_and_b32_e32 v12, 15, v12
	v_bfe_u32 v13, v14, 27, 4
	v_lshlrev_b32_sdwa v14, v19, v14 dst_sel:DWORD dst_unused:UNUSED_PAD src0_sel:DWORD src1_sel:BYTE_3
	v_sub_u32_e32 v18, 29, v18
	v_and_b32_e32 v14, 7, v14
	v_cmp_eq_u16_e32 vcc, 0, v12
	v_cndmask_b32_e32 v8, v8, v14, vcc
	v_cndmask_b32_e32 v12, v13, v18, vcc
	v_mov_b32_e32 v13, 0x3b800000
	v_lshlrev_b32_e32 v8, 20, v8
	v_lshl_add_u32 v12, v12, 23, v13
	v_or3_b32 v8, v9, v12, v8
.LBB38_1884:
	s_or_b64 exec, exec, s[6:7]
	s_movk_i32 s4, 0x7f
	v_cmp_gt_i16_sdwa s[6:7], v10, s4 src0_sel:BYTE_3 src1_sel:DWORD
	s_mov_b64 s[4:5], 0
                                        ; implicit-def: $sgpr10
	s_and_saveexec_b64 s[8:9], s[6:7]
	s_xor_b64 s[6:7], exec, s[8:9]
	s_cbranch_execnz .LBB38_3933
; %bb.1885:
	s_or_saveexec_b64 s[6:7], s[6:7]
	v_mov_b32_e32 v9, s10
	s_xor_b64 exec, exec, s[6:7]
	s_cbranch_execnz .LBB38_3936
.LBB38_1886:
	s_or_b64 exec, exec, s[6:7]
	s_and_saveexec_b64 s[6:7], s[4:5]
	s_cbranch_execz .LBB38_1888
.LBB38_1887:
	v_bfe_u32 v9, v10, 24, 3
	v_ffbh_u32_e32 v18, v9
	v_min_u32_e32 v18, 32, v18
	v_lshrrev_b32_e32 v13, 27, v10
	v_subrev_u32_e32 v19, 28, v18
	v_and_b32_e32 v12, 0x80000000, v10
	v_and_b32_e32 v13, 15, v13
	v_bfe_u32 v14, v10, 27, 4
	v_lshlrev_b32_sdwa v10, v19, v10 dst_sel:DWORD dst_unused:UNUSED_PAD src0_sel:DWORD src1_sel:BYTE_3
	v_sub_u32_e32 v18, 29, v18
	v_and_b32_e32 v10, 7, v10
	v_cmp_eq_u16_e32 vcc, 0, v13
	v_cndmask_b32_e32 v9, v9, v10, vcc
	v_cndmask_b32_e32 v10, v14, v18, vcc
	v_mov_b32_e32 v13, 0x3b800000
	v_lshlrev_b32_e32 v9, 20, v9
	v_lshl_add_u32 v10, v10, 23, v13
	v_or3_b32 v9, v12, v10, v9
.LBB38_1888:
	s_or_b64 exec, exec, s[6:7]
	s_nop 0
	v_mfma_f32_16x16x4f32 a[0:3], v8, v9, a[0:3]
	s_movk_i32 s4, 0x7f
	v_cmp_gt_i16_sdwa s[6:7], v15, s4 src0_sel:BYTE_0 src1_sel:DWORD
	s_mov_b64 s[4:5], 0
                                        ; implicit-def: $sgpr10
	s_and_saveexec_b64 s[8:9], s[6:7]
	s_xor_b64 s[6:7], exec, s[8:9]
	s_cbranch_execnz .LBB38_3937
; %bb.1889:
	s_or_saveexec_b64 s[6:7], s[6:7]
	v_mov_b32_e32 v8, s10
	s_xor_b64 exec, exec, s[6:7]
	s_cbranch_execnz .LBB38_3940
.LBB38_1890:
	s_or_b64 exec, exec, s[6:7]
	s_and_saveexec_b64 s[6:7], s[4:5]
	s_cbranch_execz .LBB38_1892
.LBB38_1891:
	v_and_b32_e32 v8, 7, v15
	v_ffbh_u32_e32 v10, v8
	v_min_u32_e32 v10, 32, v10
	v_lshrrev_b16_e32 v9, 3, v15
	v_subrev_u32_e32 v12, 28, v10
	v_and_b32_e32 v9, 15, v9
	v_lshlrev_b32_e32 v12, v12, v15
	v_sub_u32_e32 v10, 29, v10
	v_and_b32_e32 v12, 7, v12
	v_cmp_eq_u16_e32 vcc, 0, v9
	v_cndmask_b32_e32 v8, v8, v12, vcc
	v_cndmask_b32_e32 v9, v9, v10, vcc
	v_lshlrev_b32_e32 v10, 24, v15
	v_mov_b32_e32 v12, 0x3b800000
	v_lshlrev_b32_e32 v8, 20, v8
	v_and_b32_e32 v10, 0x80000000, v10
	v_lshl_add_u32 v9, v9, 23, v12
	v_or3_b32 v8, v10, v9, v8
.LBB38_1892:
	s_or_b64 exec, exec, s[6:7]
	s_movk_i32 s4, 0x7f
	v_cmp_gt_i16_sdwa s[6:7], v11, s4 src0_sel:BYTE_0 src1_sel:DWORD
	s_mov_b64 s[4:5], 0
                                        ; implicit-def: $sgpr10
	s_and_saveexec_b64 s[8:9], s[6:7]
	s_xor_b64 s[6:7], exec, s[8:9]
	s_cbranch_execnz .LBB38_3941
; %bb.1893:
	s_or_saveexec_b64 s[6:7], s[6:7]
	v_mov_b32_e32 v9, s10
	s_xor_b64 exec, exec, s[6:7]
	s_cbranch_execnz .LBB38_3944
.LBB38_1894:
	s_or_b64 exec, exec, s[6:7]
	s_and_saveexec_b64 s[6:7], s[4:5]
	s_cbranch_execz .LBB38_1896
.LBB38_1895:
	v_and_b32_e32 v9, 7, v11
	v_ffbh_u32_e32 v12, v9
	v_min_u32_e32 v12, 32, v12
	v_lshrrev_b16_e32 v10, 3, v11
	v_subrev_u32_e32 v13, 28, v12
	v_and_b32_e32 v10, 15, v10
	v_lshlrev_b32_e32 v13, v13, v11
	v_sub_u32_e32 v12, 29, v12
	v_and_b32_e32 v13, 7, v13
	v_cmp_eq_u16_e32 vcc, 0, v10
	v_cndmask_b32_e32 v9, v9, v13, vcc
	v_cndmask_b32_e32 v10, v10, v12, vcc
	v_lshlrev_b32_e32 v12, 24, v11
	v_mov_b32_e32 v13, 0x3b800000
	v_lshlrev_b32_e32 v9, 20, v9
	v_and_b32_e32 v12, 0x80000000, v12
	v_lshl_add_u32 v10, v10, 23, v13
	v_or3_b32 v9, v12, v10, v9
.LBB38_1896:
	s_or_b64 exec, exec, s[6:7]
	s_nop 0
	v_mfma_f32_16x16x4f32 a[0:3], v8, v9, a[0:3]
	v_lshrrev_b32_e32 v9, 8, v15
	s_movk_i32 s4, 0x7f
	v_cmp_gt_i16_sdwa s[6:7], v9, s4 src0_sel:BYTE_0 src1_sel:DWORD
	s_mov_b64 s[4:5], 0
                                        ; implicit-def: $sgpr10
	s_and_saveexec_b64 s[8:9], s[6:7]
	s_xor_b64 s[6:7], exec, s[8:9]
	s_cbranch_execnz .LBB38_3945
; %bb.1897:
	s_or_saveexec_b64 s[6:7], s[6:7]
	v_mov_b32_e32 v8, s10
	s_xor_b64 exec, exec, s[6:7]
	s_cbranch_execnz .LBB38_3948
.LBB38_1898:
	s_or_b64 exec, exec, s[6:7]
	s_and_saveexec_b64 s[6:7], s[4:5]
	s_cbranch_execz .LBB38_1900
.LBB38_1899:
	v_bfe_u32 v8, v15, 8, 3
	v_ffbh_u32_e32 v12, v8
	v_min_u32_e32 v12, 32, v12
	v_lshrrev_b16_e32 v10, 3, v9
	v_subrev_u32_e32 v13, 28, v12
	v_and_b32_e32 v10, 15, v10
	v_lshlrev_b32_e32 v9, v13, v9
	v_sub_u32_e32 v12, 29, v12
	v_and_b32_e32 v9, 7, v9
	v_cmp_eq_u16_e32 vcc, 0, v10
	v_cndmask_b32_e32 v8, v8, v9, vcc
	v_cndmask_b32_e32 v9, v10, v12, vcc
	v_lshlrev_b32_e32 v10, 16, v15
	v_mov_b32_e32 v12, 0x3b800000
	v_lshlrev_b32_e32 v8, 20, v8
	v_and_b32_e32 v10, 0x80000000, v10
	v_lshl_add_u32 v9, v9, 23, v12
	v_or3_b32 v8, v10, v9, v8
.LBB38_1900:
	s_or_b64 exec, exec, s[6:7]
	v_lshrrev_b32_e32 v9, 8, v11
	s_movk_i32 s4, 0x7f
	v_cmp_gt_i16_sdwa s[6:7], v9, s4 src0_sel:BYTE_0 src1_sel:DWORD
	s_mov_b64 s[4:5], 0
                                        ; implicit-def: $sgpr10
	s_and_saveexec_b64 s[8:9], s[6:7]
	s_xor_b64 s[6:7], exec, s[8:9]
	s_cbranch_execnz .LBB38_3949
; %bb.1901:
	s_or_saveexec_b64 s[6:7], s[6:7]
	v_mov_b32_e32 v10, s10
	s_xor_b64 exec, exec, s[6:7]
	s_cbranch_execnz .LBB38_3952
.LBB38_1902:
	s_or_b64 exec, exec, s[6:7]
	s_and_saveexec_b64 s[6:7], s[4:5]
	s_cbranch_execz .LBB38_1904
.LBB38_1903:
	v_bfe_u32 v10, v11, 8, 3
	v_ffbh_u32_e32 v13, v10
	v_min_u32_e32 v13, 32, v13
	v_lshrrev_b16_e32 v12, 3, v9
	v_subrev_u32_e32 v14, 28, v13
	v_and_b32_e32 v12, 15, v12
	v_lshlrev_b32_e32 v9, v14, v9
	v_sub_u32_e32 v13, 29, v13
	v_and_b32_e32 v9, 7, v9
	v_cmp_eq_u16_e32 vcc, 0, v12
	v_cndmask_b32_e32 v9, v10, v9, vcc
	v_cndmask_b32_e32 v10, v12, v13, vcc
	v_lshlrev_b32_e32 v12, 16, v11
	v_mov_b32_e32 v13, 0x3b800000
	v_lshlrev_b32_e32 v9, 20, v9
	v_and_b32_e32 v12, 0x80000000, v12
	v_lshl_add_u32 v10, v10, 23, v13
	v_or3_b32 v10, v12, v10, v9
.LBB38_1904:
	s_or_b64 exec, exec, s[6:7]
	s_nop 0
	v_mfma_f32_16x16x4f32 a[0:3], v8, v10, a[0:3]
	s_movk_i32 s4, 0xff
	v_and_b32_sdwa v9, v15, s4 dst_sel:DWORD dst_unused:UNUSED_PAD src0_sel:WORD_1 src1_sel:DWORD
	s_movk_i32 s4, 0x7f
	v_cmp_lt_i16_e32 vcc, s4, v9
	s_mov_b64 s[4:5], 0
                                        ; implicit-def: $sgpr10
	s_and_saveexec_b64 s[6:7], vcc
	s_xor_b64 s[6:7], exec, s[6:7]
	s_cbranch_execnz .LBB38_3953
; %bb.1905:
	s_or_saveexec_b64 s[6:7], s[6:7]
	v_mov_b32_e32 v8, s10
	s_xor_b64 exec, exec, s[6:7]
	s_cbranch_execnz .LBB38_3956
.LBB38_1906:
	s_or_b64 exec, exec, s[6:7]
	s_and_saveexec_b64 s[6:7], s[4:5]
	s_cbranch_execz .LBB38_1908
.LBB38_1907:
	v_bfe_u32 v8, v15, 16, 3
	v_ffbh_u32_e32 v12, v8
	v_min_u32_e32 v12, 32, v12
	v_lshrrev_b32_e32 v9, 19, v15
	v_subrev_u32_e32 v13, 28, v12
	v_and_b32_e32 v9, 15, v9
	v_lshlrev_b32_sdwa v13, v13, v15 dst_sel:DWORD dst_unused:UNUSED_PAD src0_sel:DWORD src1_sel:WORD_1
	v_bfe_u32 v10, v15, 19, 4
	v_sub_u32_e32 v12, 29, v12
	v_and_b32_e32 v13, 7, v13
	v_cmp_eq_u16_e32 vcc, 0, v9
	v_cndmask_b32_e32 v8, v8, v13, vcc
	v_cndmask_b32_e32 v9, v10, v12, vcc
	v_lshlrev_b32_e32 v10, 8, v15
	v_mov_b32_e32 v12, 0x3b800000
	v_lshlrev_b32_e32 v8, 20, v8
	v_and_b32_e32 v10, 0x80000000, v10
	v_lshl_add_u32 v9, v9, 23, v12
	v_or3_b32 v8, v10, v9, v8
.LBB38_1908:
	s_or_b64 exec, exec, s[6:7]
	s_movk_i32 s4, 0xff
	v_and_b32_sdwa v9, v11, s4 dst_sel:DWORD dst_unused:UNUSED_PAD src0_sel:WORD_1 src1_sel:DWORD
	s_movk_i32 s4, 0x7f
	v_cmp_lt_i16_e32 vcc, s4, v9
	s_mov_b64 s[4:5], 0
                                        ; implicit-def: $sgpr10
	s_and_saveexec_b64 s[6:7], vcc
	s_xor_b64 s[6:7], exec, s[6:7]
	s_cbranch_execnz .LBB38_3957
; %bb.1909:
	s_or_saveexec_b64 s[6:7], s[6:7]
	v_mov_b32_e32 v10, s10
	s_xor_b64 exec, exec, s[6:7]
	s_cbranch_execnz .LBB38_3960
.LBB38_1910:
	s_or_b64 exec, exec, s[6:7]
	s_and_saveexec_b64 s[6:7], s[4:5]
	s_cbranch_execz .LBB38_1912
.LBB38_1911:
	v_bfe_u32 v9, v11, 16, 3
	v_ffbh_u32_e32 v13, v9
	v_min_u32_e32 v13, 32, v13
	v_lshrrev_b32_e32 v10, 19, v11
	v_subrev_u32_e32 v14, 28, v13
	v_and_b32_e32 v10, 15, v10
	v_lshlrev_b32_sdwa v14, v14, v11 dst_sel:DWORD dst_unused:UNUSED_PAD src0_sel:DWORD src1_sel:WORD_1
	v_bfe_u32 v12, v11, 19, 4
	v_sub_u32_e32 v13, 29, v13
	v_and_b32_e32 v14, 7, v14
	v_cmp_eq_u16_e32 vcc, 0, v10
	v_cndmask_b32_e32 v9, v9, v14, vcc
	v_cndmask_b32_e32 v10, v12, v13, vcc
	v_lshlrev_b32_e32 v12, 8, v11
	v_mov_b32_e32 v13, 0x3b800000
	v_lshlrev_b32_e32 v9, 20, v9
	v_and_b32_e32 v12, 0x80000000, v12
	v_lshl_add_u32 v10, v10, 23, v13
	v_or3_b32 v10, v12, v10, v9
.LBB38_1912:
	s_or_b64 exec, exec, s[6:7]
	s_nop 0
	v_mfma_f32_16x16x4f32 a[0:3], v8, v10, a[0:3]
	s_movk_i32 s4, 0x7f
	v_cmp_gt_i16_sdwa s[6:7], v15, s4 src0_sel:BYTE_3 src1_sel:DWORD
	s_mov_b64 s[4:5], 0
                                        ; implicit-def: $sgpr10
	s_and_saveexec_b64 s[8:9], s[6:7]
	s_xor_b64 s[6:7], exec, s[8:9]
	s_cbranch_execnz .LBB38_3961
; %bb.1913:
	s_or_saveexec_b64 s[6:7], s[6:7]
	v_mov_b32_e32 v8, s10
	s_xor_b64 exec, exec, s[6:7]
	s_cbranch_execnz .LBB38_3964
.LBB38_1914:
	s_or_b64 exec, exec, s[6:7]
	s_and_saveexec_b64 s[6:7], s[4:5]
	s_cbranch_execz .LBB38_1916
.LBB38_1915:
	v_bfe_u32 v8, v15, 24, 3
	v_ffbh_u32_e32 v13, v8
	v_min_u32_e32 v13, 32, v13
	v_lshrrev_b32_e32 v10, 27, v15
	v_subrev_u32_e32 v14, 28, v13
	v_and_b32_e32 v10, 15, v10
	v_lshlrev_b32_sdwa v14, v14, v15 dst_sel:DWORD dst_unused:UNUSED_PAD src0_sel:DWORD src1_sel:BYTE_3
	v_bfe_u32 v12, v15, 27, 4
	v_sub_u32_e32 v13, 29, v13
	v_and_b32_e32 v14, 7, v14
	v_cmp_eq_u16_e32 vcc, 0, v10
	v_cndmask_b32_e32 v8, v8, v14, vcc
	v_cndmask_b32_e32 v10, v12, v13, vcc
	v_mov_b32_e32 v12, 0x3b800000
	v_and_b32_e32 v9, 0x80000000, v15
	v_lshlrev_b32_e32 v8, 20, v8
	v_lshl_add_u32 v10, v10, 23, v12
	v_or3_b32 v8, v9, v10, v8
.LBB38_1916:
	s_or_b64 exec, exec, s[6:7]
	s_movk_i32 s4, 0x7f
	v_cmp_gt_i16_sdwa s[6:7], v11, s4 src0_sel:BYTE_3 src1_sel:DWORD
	s_mov_b64 s[4:5], 0
                                        ; implicit-def: $sgpr10
	s_and_saveexec_b64 s[8:9], s[6:7]
	s_xor_b64 s[6:7], exec, s[8:9]
	s_cbranch_execnz .LBB38_3965
; %bb.1917:
	s_or_saveexec_b64 s[6:7], s[6:7]
	v_mov_b32_e32 v9, s10
	s_xor_b64 exec, exec, s[6:7]
	s_cbranch_execnz .LBB38_3968
.LBB38_1918:
	s_or_b64 exec, exec, s[6:7]
	s_and_saveexec_b64 s[6:7], s[4:5]
	s_cbranch_execz .LBB38_1920
.LBB38_1919:
	v_bfe_u32 v9, v11, 24, 3
	v_ffbh_u32_e32 v14, v9
	v_min_u32_e32 v14, 32, v14
	v_lshrrev_b32_e32 v12, 27, v11
	v_subrev_u32_e32 v15, 28, v14
	v_and_b32_e32 v10, 0x80000000, v11
	v_and_b32_e32 v12, 15, v12
	v_bfe_u32 v13, v11, 27, 4
	v_lshlrev_b32_sdwa v11, v15, v11 dst_sel:DWORD dst_unused:UNUSED_PAD src0_sel:DWORD src1_sel:BYTE_3
	v_sub_u32_e32 v14, 29, v14
	v_and_b32_e32 v11, 7, v11
	v_cmp_eq_u16_e32 vcc, 0, v12
	v_cndmask_b32_e32 v9, v9, v11, vcc
	v_cndmask_b32_e32 v11, v13, v14, vcc
	v_mov_b32_e32 v12, 0x3b800000
	v_lshlrev_b32_e32 v9, 20, v9
	v_lshl_add_u32 v11, v11, 23, v12
	v_or3_b32 v9, v10, v11, v9
.LBB38_1920:
	s_or_b64 exec, exec, s[6:7]
	s_nop 0
	v_mfma_f32_16x16x4f32 a[0:3], v8, v9, a[0:3]
	s_movk_i32 s4, 0x7f
	v_cmp_gt_i16_sdwa s[6:7], v4, s4 src0_sel:BYTE_0 src1_sel:DWORD
	s_mov_b64 s[4:5], 0
                                        ; implicit-def: $sgpr10
	s_and_saveexec_b64 s[8:9], s[6:7]
	s_xor_b64 s[6:7], exec, s[8:9]
	s_cbranch_execnz .LBB38_3969
; %bb.1921:
	s_or_saveexec_b64 s[6:7], s[6:7]
	v_mov_b32_e32 v8, s10
	s_xor_b64 exec, exec, s[6:7]
	s_cbranch_execnz .LBB38_3972
.LBB38_1922:
	s_or_b64 exec, exec, s[6:7]
	s_and_saveexec_b64 s[6:7], s[4:5]
	s_cbranch_execz .LBB38_1924
.LBB38_1923:
	v_and_b32_e32 v8, 7, v4
	v_ffbh_u32_e32 v10, v8
	v_min_u32_e32 v10, 32, v10
	v_lshrrev_b16_e32 v9, 3, v4
	v_subrev_u32_e32 v11, 28, v10
	v_and_b32_e32 v9, 15, v9
	v_lshlrev_b32_e32 v11, v11, v4
	v_sub_u32_e32 v10, 29, v10
	v_and_b32_e32 v11, 7, v11
	v_cmp_eq_u16_e32 vcc, 0, v9
	v_cndmask_b32_e32 v8, v8, v11, vcc
	v_cndmask_b32_e32 v9, v9, v10, vcc
	v_lshlrev_b32_e32 v10, 24, v4
	v_mov_b32_e32 v11, 0x3b800000
	v_lshlrev_b32_e32 v8, 20, v8
	v_and_b32_e32 v10, 0x80000000, v10
	v_lshl_add_u32 v9, v9, 23, v11
	v_or3_b32 v8, v10, v9, v8
.LBB38_1924:
	s_or_b64 exec, exec, s[6:7]
	s_movk_i32 s4, 0x7f
	v_cmp_gt_i16_sdwa s[6:7], v0, s4 src0_sel:BYTE_0 src1_sel:DWORD
	s_mov_b64 s[4:5], 0
                                        ; implicit-def: $sgpr10
	s_and_saveexec_b64 s[8:9], s[6:7]
	s_xor_b64 s[6:7], exec, s[8:9]
	s_cbranch_execnz .LBB38_3973
; %bb.1925:
	s_or_saveexec_b64 s[6:7], s[6:7]
	v_mov_b32_e32 v9, s10
	s_xor_b64 exec, exec, s[6:7]
	s_cbranch_execnz .LBB38_3976
.LBB38_1926:
	s_or_b64 exec, exec, s[6:7]
	s_and_saveexec_b64 s[6:7], s[4:5]
	s_cbranch_execz .LBB38_1928
.LBB38_1927:
	v_and_b32_e32 v9, 7, v0
	v_ffbh_u32_e32 v11, v9
	v_min_u32_e32 v11, 32, v11
	v_lshrrev_b16_e32 v10, 3, v0
	v_subrev_u32_e32 v12, 28, v11
	v_and_b32_e32 v10, 15, v10
	v_lshlrev_b32_e32 v12, v12, v0
	v_sub_u32_e32 v11, 29, v11
	v_and_b32_e32 v12, 7, v12
	v_cmp_eq_u16_e32 vcc, 0, v10
	v_cndmask_b32_e32 v9, v9, v12, vcc
	v_cndmask_b32_e32 v10, v10, v11, vcc
	v_lshlrev_b32_e32 v11, 24, v0
	v_mov_b32_e32 v12, 0x3b800000
	v_lshlrev_b32_e32 v9, 20, v9
	v_and_b32_e32 v11, 0x80000000, v11
	v_lshl_add_u32 v10, v10, 23, v12
	v_or3_b32 v9, v11, v10, v9
.LBB38_1928:
	s_or_b64 exec, exec, s[6:7]
	s_nop 0
	v_mfma_f32_16x16x4f32 a[0:3], v8, v9, a[0:3]
	v_lshrrev_b32_e32 v9, 8, v4
	s_movk_i32 s4, 0x7f
	v_cmp_gt_i16_sdwa s[6:7], v9, s4 src0_sel:BYTE_0 src1_sel:DWORD
	s_mov_b64 s[4:5], 0
                                        ; implicit-def: $sgpr10
	s_and_saveexec_b64 s[8:9], s[6:7]
	s_xor_b64 s[6:7], exec, s[8:9]
	s_cbranch_execnz .LBB38_3977
; %bb.1929:
	s_or_saveexec_b64 s[6:7], s[6:7]
	v_mov_b32_e32 v8, s10
	s_xor_b64 exec, exec, s[6:7]
	s_cbranch_execnz .LBB38_3980
.LBB38_1930:
	s_or_b64 exec, exec, s[6:7]
	s_and_saveexec_b64 s[6:7], s[4:5]
	s_cbranch_execz .LBB38_1932
.LBB38_1931:
	v_bfe_u32 v8, v4, 8, 3
	v_ffbh_u32_e32 v11, v8
	v_min_u32_e32 v11, 32, v11
	v_lshrrev_b16_e32 v10, 3, v9
	v_subrev_u32_e32 v12, 28, v11
	v_and_b32_e32 v10, 15, v10
	v_lshlrev_b32_e32 v9, v12, v9
	v_sub_u32_e32 v11, 29, v11
	v_and_b32_e32 v9, 7, v9
	v_cmp_eq_u16_e32 vcc, 0, v10
	v_cndmask_b32_e32 v8, v8, v9, vcc
	v_cndmask_b32_e32 v9, v10, v11, vcc
	v_lshlrev_b32_e32 v10, 16, v4
	v_mov_b32_e32 v11, 0x3b800000
	v_lshlrev_b32_e32 v8, 20, v8
	v_and_b32_e32 v10, 0x80000000, v10
	v_lshl_add_u32 v9, v9, 23, v11
	v_or3_b32 v8, v10, v9, v8
.LBB38_1932:
	s_or_b64 exec, exec, s[6:7]
	v_lshrrev_b32_e32 v9, 8, v0
	s_movk_i32 s4, 0x7f
	v_cmp_gt_i16_sdwa s[6:7], v9, s4 src0_sel:BYTE_0 src1_sel:DWORD
	s_mov_b64 s[4:5], 0
                                        ; implicit-def: $sgpr10
	s_and_saveexec_b64 s[8:9], s[6:7]
	s_xor_b64 s[6:7], exec, s[8:9]
	s_cbranch_execnz .LBB38_3981
; %bb.1933:
	s_or_saveexec_b64 s[6:7], s[6:7]
	v_mov_b32_e32 v10, s10
	s_xor_b64 exec, exec, s[6:7]
	s_cbranch_execnz .LBB38_3984
.LBB38_1934:
	s_or_b64 exec, exec, s[6:7]
	s_and_saveexec_b64 s[6:7], s[4:5]
	s_cbranch_execz .LBB38_1936
.LBB38_1935:
	v_bfe_u32 v10, v0, 8, 3
	v_ffbh_u32_e32 v12, v10
	v_min_u32_e32 v12, 32, v12
	v_lshrrev_b16_e32 v11, 3, v9
	v_subrev_u32_e32 v13, 28, v12
	v_and_b32_e32 v11, 15, v11
	v_lshlrev_b32_e32 v9, v13, v9
	v_sub_u32_e32 v12, 29, v12
	v_and_b32_e32 v9, 7, v9
	v_cmp_eq_u16_e32 vcc, 0, v11
	v_cndmask_b32_e32 v9, v10, v9, vcc
	v_cndmask_b32_e32 v10, v11, v12, vcc
	v_lshlrev_b32_e32 v11, 16, v0
	v_mov_b32_e32 v12, 0x3b800000
	v_lshlrev_b32_e32 v9, 20, v9
	v_and_b32_e32 v11, 0x80000000, v11
	v_lshl_add_u32 v10, v10, 23, v12
	v_or3_b32 v10, v11, v10, v9
.LBB38_1936:
	s_or_b64 exec, exec, s[6:7]
	s_nop 0
	v_mfma_f32_16x16x4f32 a[0:3], v8, v10, a[0:3]
	s_movk_i32 s4, 0xff
	v_and_b32_sdwa v9, v4, s4 dst_sel:DWORD dst_unused:UNUSED_PAD src0_sel:WORD_1 src1_sel:DWORD
	s_movk_i32 s4, 0x7f
	v_cmp_lt_i16_e32 vcc, s4, v9
	s_mov_b64 s[4:5], 0
                                        ; implicit-def: $sgpr10
	s_and_saveexec_b64 s[6:7], vcc
	s_xor_b64 s[6:7], exec, s[6:7]
	s_cbranch_execnz .LBB38_3985
; %bb.1937:
	s_or_saveexec_b64 s[6:7], s[6:7]
	v_mov_b32_e32 v8, s10
	s_xor_b64 exec, exec, s[6:7]
	s_cbranch_execnz .LBB38_3988
.LBB38_1938:
	s_or_b64 exec, exec, s[6:7]
	s_and_saveexec_b64 s[6:7], s[4:5]
	s_cbranch_execz .LBB38_1940
.LBB38_1939:
	v_bfe_u32 v8, v4, 16, 3
	v_ffbh_u32_e32 v11, v8
	v_min_u32_e32 v11, 32, v11
	v_lshrrev_b32_e32 v9, 19, v4
	v_subrev_u32_e32 v12, 28, v11
	v_and_b32_e32 v9, 15, v9
	v_lshlrev_b32_sdwa v12, v12, v4 dst_sel:DWORD dst_unused:UNUSED_PAD src0_sel:DWORD src1_sel:WORD_1
	v_bfe_u32 v10, v4, 19, 4
	v_sub_u32_e32 v11, 29, v11
	v_and_b32_e32 v12, 7, v12
	v_cmp_eq_u16_e32 vcc, 0, v9
	v_cndmask_b32_e32 v8, v8, v12, vcc
	v_cndmask_b32_e32 v9, v10, v11, vcc
	v_lshlrev_b32_e32 v10, 8, v4
	v_mov_b32_e32 v11, 0x3b800000
	v_lshlrev_b32_e32 v8, 20, v8
	v_and_b32_e32 v10, 0x80000000, v10
	v_lshl_add_u32 v9, v9, 23, v11
	v_or3_b32 v8, v10, v9, v8
.LBB38_1940:
	s_or_b64 exec, exec, s[6:7]
	s_movk_i32 s4, 0xff
	v_and_b32_sdwa v9, v0, s4 dst_sel:DWORD dst_unused:UNUSED_PAD src0_sel:WORD_1 src1_sel:DWORD
	s_movk_i32 s4, 0x7f
	v_cmp_lt_i16_e32 vcc, s4, v9
	s_mov_b64 s[4:5], 0
                                        ; implicit-def: $sgpr10
	s_and_saveexec_b64 s[6:7], vcc
	s_xor_b64 s[6:7], exec, s[6:7]
	s_cbranch_execnz .LBB38_3989
; %bb.1941:
	s_or_saveexec_b64 s[6:7], s[6:7]
	v_mov_b32_e32 v10, s10
	s_xor_b64 exec, exec, s[6:7]
	s_cbranch_execnz .LBB38_3992
.LBB38_1942:
	s_or_b64 exec, exec, s[6:7]
	s_and_saveexec_b64 s[6:7], s[4:5]
	s_cbranch_execz .LBB38_1944
.LBB38_1943:
	v_bfe_u32 v9, v0, 16, 3
	v_ffbh_u32_e32 v12, v9
	v_min_u32_e32 v12, 32, v12
	v_lshrrev_b32_e32 v10, 19, v0
	v_subrev_u32_e32 v13, 28, v12
	v_and_b32_e32 v10, 15, v10
	v_lshlrev_b32_sdwa v13, v13, v0 dst_sel:DWORD dst_unused:UNUSED_PAD src0_sel:DWORD src1_sel:WORD_1
	v_bfe_u32 v11, v0, 19, 4
	v_sub_u32_e32 v12, 29, v12
	v_and_b32_e32 v13, 7, v13
	v_cmp_eq_u16_e32 vcc, 0, v10
	v_cndmask_b32_e32 v9, v9, v13, vcc
	v_cndmask_b32_e32 v10, v11, v12, vcc
	v_lshlrev_b32_e32 v11, 8, v0
	v_mov_b32_e32 v12, 0x3b800000
	v_lshlrev_b32_e32 v9, 20, v9
	v_and_b32_e32 v11, 0x80000000, v11
	v_lshl_add_u32 v10, v10, 23, v12
	v_or3_b32 v10, v11, v10, v9
.LBB38_1944:
	s_or_b64 exec, exec, s[6:7]
	s_nop 0
	v_mfma_f32_16x16x4f32 a[0:3], v8, v10, a[0:3]
	s_movk_i32 s4, 0x7f
	v_cmp_gt_i16_sdwa s[6:7], v4, s4 src0_sel:BYTE_3 src1_sel:DWORD
	s_mov_b64 s[4:5], 0
                                        ; implicit-def: $sgpr10
	s_and_saveexec_b64 s[8:9], s[6:7]
	s_xor_b64 s[6:7], exec, s[8:9]
	s_cbranch_execnz .LBB38_3993
; %bb.1945:
	s_or_saveexec_b64 s[6:7], s[6:7]
	v_mov_b32_e32 v8, s10
	s_xor_b64 exec, exec, s[6:7]
	s_cbranch_execnz .LBB38_3996
.LBB38_1946:
	s_or_b64 exec, exec, s[6:7]
	s_and_saveexec_b64 s[6:7], s[4:5]
	s_cbranch_execz .LBB38_1948
.LBB38_1947:
	v_bfe_u32 v8, v4, 24, 3
	v_ffbh_u32_e32 v12, v8
	v_min_u32_e32 v12, 32, v12
	v_lshrrev_b32_e32 v10, 27, v4
	v_subrev_u32_e32 v13, 28, v12
	v_and_b32_e32 v9, 0x80000000, v4
	v_and_b32_e32 v10, 15, v10
	v_bfe_u32 v11, v4, 27, 4
	v_lshlrev_b32_sdwa v4, v13, v4 dst_sel:DWORD dst_unused:UNUSED_PAD src0_sel:DWORD src1_sel:BYTE_3
	v_sub_u32_e32 v12, 29, v12
	v_and_b32_e32 v4, 7, v4
	v_cmp_eq_u16_e32 vcc, 0, v10
	v_cndmask_b32_e32 v4, v8, v4, vcc
	v_cndmask_b32_e32 v8, v11, v12, vcc
	v_mov_b32_e32 v10, 0x3b800000
	v_lshlrev_b32_e32 v4, 20, v4
	v_lshl_add_u32 v8, v8, 23, v10
	v_or3_b32 v8, v9, v8, v4
.LBB38_1948:
	s_or_b64 exec, exec, s[6:7]
	s_movk_i32 s4, 0x7f
	v_cmp_gt_i16_sdwa s[6:7], v0, s4 src0_sel:BYTE_3 src1_sel:DWORD
	s_mov_b64 s[4:5], 0
                                        ; implicit-def: $sgpr10
	s_and_saveexec_b64 s[8:9], s[6:7]
	s_xor_b64 s[6:7], exec, s[8:9]
	s_cbranch_execnz .LBB38_3997
; %bb.1949:
	s_or_saveexec_b64 s[6:7], s[6:7]
	v_mov_b32_e32 v4, s10
	s_xor_b64 exec, exec, s[6:7]
	s_cbranch_execnz .LBB38_4000
.LBB38_1950:
	s_or_b64 exec, exec, s[6:7]
	s_and_saveexec_b64 s[6:7], s[4:5]
	s_cbranch_execz .LBB38_1952
.LBB38_1951:
	v_bfe_u32 v4, v0, 24, 3
	v_ffbh_u32_e32 v12, v4
	v_min_u32_e32 v12, 32, v12
	v_lshrrev_b32_e32 v10, 27, v0
	v_subrev_u32_e32 v13, 28, v12
	v_and_b32_e32 v9, 0x80000000, v0
	v_and_b32_e32 v10, 15, v10
	v_bfe_u32 v11, v0, 27, 4
	v_lshlrev_b32_sdwa v0, v13, v0 dst_sel:DWORD dst_unused:UNUSED_PAD src0_sel:DWORD src1_sel:BYTE_3
	v_sub_u32_e32 v12, 29, v12
	v_and_b32_e32 v0, 7, v0
	v_cmp_eq_u16_e32 vcc, 0, v10
	v_cndmask_b32_e32 v0, v4, v0, vcc
	v_cndmask_b32_e32 v4, v11, v12, vcc
	v_mov_b32_e32 v10, 0x3b800000
	v_lshlrev_b32_e32 v0, 20, v0
	v_lshl_add_u32 v4, v4, 23, v10
	v_or3_b32 v4, v9, v4, v0
.LBB38_1952:
	s_or_b64 exec, exec, s[6:7]
	s_nop 0
	v_mfma_f32_16x16x4f32 a[0:3], v8, v4, a[0:3]
	s_movk_i32 s4, 0x7f
	v_cmp_gt_i16_sdwa s[6:7], v5, s4 src0_sel:BYTE_0 src1_sel:DWORD
	s_mov_b64 s[4:5], 0
                                        ; implicit-def: $sgpr10
	s_and_saveexec_b64 s[8:9], s[6:7]
	s_xor_b64 s[6:7], exec, s[8:9]
	s_cbranch_execnz .LBB38_4001
; %bb.1953:
	s_or_saveexec_b64 s[6:7], s[6:7]
	v_mov_b32_e32 v0, s10
	s_xor_b64 exec, exec, s[6:7]
	s_cbranch_execnz .LBB38_4004
.LBB38_1954:
	s_or_b64 exec, exec, s[6:7]
	s_and_saveexec_b64 s[6:7], s[4:5]
	s_cbranch_execz .LBB38_1956
.LBB38_1955:
	v_and_b32_e32 v0, 7, v5
	v_ffbh_u32_e32 v8, v0
	v_min_u32_e32 v8, 32, v8
	v_lshrrev_b16_e32 v4, 3, v5
	v_subrev_u32_e32 v9, 28, v8
	v_and_b32_e32 v4, 15, v4
	v_lshlrev_b32_e32 v9, v9, v5
	v_sub_u32_e32 v8, 29, v8
	v_and_b32_e32 v9, 7, v9
	v_cmp_eq_u16_e32 vcc, 0, v4
	v_cndmask_b32_e32 v0, v0, v9, vcc
	v_cndmask_b32_e32 v4, v4, v8, vcc
	v_lshlrev_b32_e32 v8, 24, v5
	v_mov_b32_e32 v9, 0x3b800000
	v_lshlrev_b32_e32 v0, 20, v0
	v_and_b32_e32 v8, 0x80000000, v8
	v_lshl_add_u32 v4, v4, 23, v9
	v_or3_b32 v0, v8, v4, v0
.LBB38_1956:
	s_or_b64 exec, exec, s[6:7]
	s_movk_i32 s4, 0x7f
	v_cmp_gt_i16_sdwa s[6:7], v1, s4 src0_sel:BYTE_0 src1_sel:DWORD
	s_mov_b64 s[4:5], 0
                                        ; implicit-def: $sgpr10
	s_and_saveexec_b64 s[8:9], s[6:7]
	s_xor_b64 s[6:7], exec, s[8:9]
	s_cbranch_execnz .LBB38_4005
; %bb.1957:
	s_or_saveexec_b64 s[6:7], s[6:7]
	v_mov_b32_e32 v4, s10
	s_xor_b64 exec, exec, s[6:7]
	s_cbranch_execnz .LBB38_4008
.LBB38_1958:
	s_or_b64 exec, exec, s[6:7]
	s_and_saveexec_b64 s[6:7], s[4:5]
	s_cbranch_execz .LBB38_1960
.LBB38_1959:
	v_and_b32_e32 v4, 7, v1
	v_ffbh_u32_e32 v9, v4
	v_min_u32_e32 v9, 32, v9
	v_lshrrev_b16_e32 v8, 3, v1
	v_subrev_u32_e32 v10, 28, v9
	v_and_b32_e32 v8, 15, v8
	v_lshlrev_b32_e32 v10, v10, v1
	v_sub_u32_e32 v9, 29, v9
	v_and_b32_e32 v10, 7, v10
	v_cmp_eq_u16_e32 vcc, 0, v8
	v_cndmask_b32_e32 v4, v4, v10, vcc
	v_cndmask_b32_e32 v8, v8, v9, vcc
	v_lshlrev_b32_e32 v9, 24, v1
	v_mov_b32_e32 v10, 0x3b800000
	v_lshlrev_b32_e32 v4, 20, v4
	v_and_b32_e32 v9, 0x80000000, v9
	v_lshl_add_u32 v8, v8, 23, v10
	v_or3_b32 v4, v9, v8, v4
.LBB38_1960:
	s_or_b64 exec, exec, s[6:7]
	s_nop 0
	v_mfma_f32_16x16x4f32 a[0:3], v0, v4, a[0:3]
	v_lshrrev_b32_e32 v4, 8, v5
	s_movk_i32 s4, 0x7f
	v_cmp_gt_i16_sdwa s[6:7], v4, s4 src0_sel:BYTE_0 src1_sel:DWORD
	s_mov_b64 s[4:5], 0
                                        ; implicit-def: $sgpr10
	s_and_saveexec_b64 s[8:9], s[6:7]
	s_xor_b64 s[6:7], exec, s[8:9]
	s_cbranch_execnz .LBB38_4009
; %bb.1961:
	s_or_saveexec_b64 s[6:7], s[6:7]
	v_mov_b32_e32 v0, s10
	s_xor_b64 exec, exec, s[6:7]
	s_cbranch_execnz .LBB38_4012
.LBB38_1962:
	s_or_b64 exec, exec, s[6:7]
	s_and_saveexec_b64 s[6:7], s[4:5]
	s_cbranch_execz .LBB38_1964
.LBB38_1963:
	v_bfe_u32 v0, v5, 8, 3
	v_ffbh_u32_e32 v9, v0
	v_min_u32_e32 v9, 32, v9
	v_lshrrev_b16_e32 v8, 3, v4
	v_subrev_u32_e32 v10, 28, v9
	v_and_b32_e32 v8, 15, v8
	v_lshlrev_b32_e32 v4, v10, v4
	v_sub_u32_e32 v9, 29, v9
	v_and_b32_e32 v4, 7, v4
	v_cmp_eq_u16_e32 vcc, 0, v8
	v_cndmask_b32_e32 v0, v0, v4, vcc
	v_cndmask_b32_e32 v4, v8, v9, vcc
	v_lshlrev_b32_e32 v8, 16, v5
	v_mov_b32_e32 v9, 0x3b800000
	v_lshlrev_b32_e32 v0, 20, v0
	v_and_b32_e32 v8, 0x80000000, v8
	v_lshl_add_u32 v4, v4, 23, v9
	v_or3_b32 v0, v8, v4, v0
.LBB38_1964:
	s_or_b64 exec, exec, s[6:7]
	v_lshrrev_b32_e32 v4, 8, v1
	s_movk_i32 s4, 0x7f
	v_cmp_gt_i16_sdwa s[6:7], v4, s4 src0_sel:BYTE_0 src1_sel:DWORD
	s_mov_b64 s[4:5], 0
                                        ; implicit-def: $sgpr10
	s_and_saveexec_b64 s[8:9], s[6:7]
	s_xor_b64 s[6:7], exec, s[8:9]
	s_cbranch_execnz .LBB38_4013
; %bb.1965:
	s_or_saveexec_b64 s[6:7], s[6:7]
	v_mov_b32_e32 v8, s10
	s_xor_b64 exec, exec, s[6:7]
	s_cbranch_execnz .LBB38_4016
.LBB38_1966:
	s_or_b64 exec, exec, s[6:7]
	s_and_saveexec_b64 s[6:7], s[4:5]
	s_cbranch_execz .LBB38_1968
.LBB38_1967:
	v_bfe_u32 v8, v1, 8, 3
	v_ffbh_u32_e32 v10, v8
	v_min_u32_e32 v10, 32, v10
	v_lshrrev_b16_e32 v9, 3, v4
	v_subrev_u32_e32 v11, 28, v10
	v_and_b32_e32 v9, 15, v9
	v_lshlrev_b32_e32 v4, v11, v4
	v_sub_u32_e32 v10, 29, v10
	v_and_b32_e32 v4, 7, v4
	v_cmp_eq_u16_e32 vcc, 0, v9
	v_cndmask_b32_e32 v4, v8, v4, vcc
	v_cndmask_b32_e32 v8, v9, v10, vcc
	v_lshlrev_b32_e32 v9, 16, v1
	v_mov_b32_e32 v10, 0x3b800000
	v_lshlrev_b32_e32 v4, 20, v4
	v_and_b32_e32 v9, 0x80000000, v9
	v_lshl_add_u32 v8, v8, 23, v10
	v_or3_b32 v8, v9, v8, v4
.LBB38_1968:
	s_or_b64 exec, exec, s[6:7]
	s_nop 0
	v_mfma_f32_16x16x4f32 a[0:3], v0, v8, a[0:3]
	s_movk_i32 s4, 0xff
	v_and_b32_sdwa v4, v5, s4 dst_sel:DWORD dst_unused:UNUSED_PAD src0_sel:WORD_1 src1_sel:DWORD
	s_movk_i32 s4, 0x7f
	v_cmp_lt_i16_e32 vcc, s4, v4
	s_mov_b64 s[4:5], 0
                                        ; implicit-def: $sgpr10
	s_and_saveexec_b64 s[6:7], vcc
	s_xor_b64 s[6:7], exec, s[6:7]
	s_cbranch_execnz .LBB38_4017
; %bb.1969:
	s_or_saveexec_b64 s[6:7], s[6:7]
	v_mov_b32_e32 v0, s10
	s_xor_b64 exec, exec, s[6:7]
	s_cbranch_execnz .LBB38_4020
.LBB38_1970:
	s_or_b64 exec, exec, s[6:7]
	s_and_saveexec_b64 s[6:7], s[4:5]
	s_cbranch_execz .LBB38_1972
.LBB38_1971:
	v_bfe_u32 v0, v5, 16, 3
	v_ffbh_u32_e32 v9, v0
	v_min_u32_e32 v9, 32, v9
	v_lshrrev_b32_e32 v4, 19, v5
	v_subrev_u32_e32 v10, 28, v9
	v_and_b32_e32 v4, 15, v4
	v_lshlrev_b32_sdwa v10, v10, v5 dst_sel:DWORD dst_unused:UNUSED_PAD src0_sel:DWORD src1_sel:WORD_1
	v_bfe_u32 v8, v5, 19, 4
	v_sub_u32_e32 v9, 29, v9
	v_and_b32_e32 v10, 7, v10
	v_cmp_eq_u16_e32 vcc, 0, v4
	v_cndmask_b32_e32 v0, v0, v10, vcc
	v_cndmask_b32_e32 v4, v8, v9, vcc
	v_lshlrev_b32_e32 v8, 8, v5
	v_mov_b32_e32 v9, 0x3b800000
	v_lshlrev_b32_e32 v0, 20, v0
	v_and_b32_e32 v8, 0x80000000, v8
	v_lshl_add_u32 v4, v4, 23, v9
	v_or3_b32 v0, v8, v4, v0
.LBB38_1972:
	s_or_b64 exec, exec, s[6:7]
	s_movk_i32 s4, 0xff
	v_and_b32_sdwa v4, v1, s4 dst_sel:DWORD dst_unused:UNUSED_PAD src0_sel:WORD_1 src1_sel:DWORD
	s_movk_i32 s4, 0x7f
	v_cmp_lt_i16_e32 vcc, s4, v4
	s_mov_b64 s[4:5], 0
                                        ; implicit-def: $sgpr10
	s_and_saveexec_b64 s[6:7], vcc
	s_xor_b64 s[6:7], exec, s[6:7]
	s_cbranch_execnz .LBB38_4021
; %bb.1973:
	s_or_saveexec_b64 s[6:7], s[6:7]
	v_mov_b32_e32 v8, s10
	s_xor_b64 exec, exec, s[6:7]
	s_cbranch_execnz .LBB38_4024
.LBB38_1974:
	s_or_b64 exec, exec, s[6:7]
	s_and_saveexec_b64 s[6:7], s[4:5]
	s_cbranch_execz .LBB38_1976
.LBB38_1975:
	v_bfe_u32 v4, v1, 16, 3
	v_ffbh_u32_e32 v10, v4
	v_min_u32_e32 v10, 32, v10
	v_lshrrev_b32_e32 v8, 19, v1
	v_subrev_u32_e32 v11, 28, v10
	v_and_b32_e32 v8, 15, v8
	v_lshlrev_b32_sdwa v11, v11, v1 dst_sel:DWORD dst_unused:UNUSED_PAD src0_sel:DWORD src1_sel:WORD_1
	v_bfe_u32 v9, v1, 19, 4
	v_sub_u32_e32 v10, 29, v10
	v_and_b32_e32 v11, 7, v11
	v_cmp_eq_u16_e32 vcc, 0, v8
	v_cndmask_b32_e32 v4, v4, v11, vcc
	v_cndmask_b32_e32 v8, v9, v10, vcc
	v_lshlrev_b32_e32 v9, 8, v1
	v_mov_b32_e32 v10, 0x3b800000
	v_lshlrev_b32_e32 v4, 20, v4
	v_and_b32_e32 v9, 0x80000000, v9
	v_lshl_add_u32 v8, v8, 23, v10
	v_or3_b32 v8, v9, v8, v4
.LBB38_1976:
	s_or_b64 exec, exec, s[6:7]
	s_nop 0
	v_mfma_f32_16x16x4f32 a[0:3], v0, v8, a[0:3]
	s_movk_i32 s4, 0x7f
	v_cmp_gt_i16_sdwa s[6:7], v5, s4 src0_sel:BYTE_3 src1_sel:DWORD
	s_mov_b64 s[4:5], 0
                                        ; implicit-def: $sgpr10
	s_and_saveexec_b64 s[8:9], s[6:7]
	s_xor_b64 s[6:7], exec, s[8:9]
	s_cbranch_execnz .LBB38_4025
; %bb.1977:
	s_or_saveexec_b64 s[6:7], s[6:7]
	v_mov_b32_e32 v0, s10
	s_xor_b64 exec, exec, s[6:7]
	s_cbranch_execnz .LBB38_4028
.LBB38_1978:
	s_or_b64 exec, exec, s[6:7]
	s_and_saveexec_b64 s[6:7], s[4:5]
	s_cbranch_execz .LBB38_1980
.LBB38_1979:
	v_bfe_u32 v0, v5, 24, 3
	v_ffbh_u32_e32 v10, v0
	v_min_u32_e32 v10, 32, v10
	v_lshrrev_b32_e32 v8, 27, v5
	v_subrev_u32_e32 v11, 28, v10
	v_and_b32_e32 v4, 0x80000000, v5
	v_and_b32_e32 v8, 15, v8
	v_bfe_u32 v9, v5, 27, 4
	v_lshlrev_b32_sdwa v5, v11, v5 dst_sel:DWORD dst_unused:UNUSED_PAD src0_sel:DWORD src1_sel:BYTE_3
	v_sub_u32_e32 v10, 29, v10
	v_and_b32_e32 v5, 7, v5
	v_cmp_eq_u16_e32 vcc, 0, v8
	v_cndmask_b32_e32 v0, v0, v5, vcc
	v_cndmask_b32_e32 v5, v9, v10, vcc
	v_mov_b32_e32 v8, 0x3b800000
	v_lshlrev_b32_e32 v0, 20, v0
	v_lshl_add_u32 v5, v5, 23, v8
	v_or3_b32 v0, v4, v5, v0
.LBB38_1980:
	s_or_b64 exec, exec, s[6:7]
	s_movk_i32 s4, 0x7f
	v_cmp_gt_i16_sdwa s[6:7], v1, s4 src0_sel:BYTE_3 src1_sel:DWORD
	s_mov_b64 s[4:5], 0
                                        ; implicit-def: $sgpr10
	s_and_saveexec_b64 s[8:9], s[6:7]
	s_xor_b64 s[6:7], exec, s[8:9]
	s_cbranch_execnz .LBB38_4029
; %bb.1981:
	s_or_saveexec_b64 s[6:7], s[6:7]
	v_mov_b32_e32 v4, s10
	s_xor_b64 exec, exec, s[6:7]
	s_cbranch_execnz .LBB38_4032
.LBB38_1982:
	s_or_b64 exec, exec, s[6:7]
	s_and_saveexec_b64 s[6:7], s[4:5]
	s_cbranch_execz .LBB38_1984
.LBB38_1983:
	v_bfe_u32 v4, v1, 24, 3
	v_ffbh_u32_e32 v10, v4
	v_min_u32_e32 v10, 32, v10
	v_lshrrev_b32_e32 v8, 27, v1
	v_subrev_u32_e32 v11, 28, v10
	v_and_b32_e32 v5, 0x80000000, v1
	v_and_b32_e32 v8, 15, v8
	v_bfe_u32 v9, v1, 27, 4
	v_lshlrev_b32_sdwa v1, v11, v1 dst_sel:DWORD dst_unused:UNUSED_PAD src0_sel:DWORD src1_sel:BYTE_3
	v_sub_u32_e32 v10, 29, v10
	v_and_b32_e32 v1, 7, v1
	v_cmp_eq_u16_e32 vcc, 0, v8
	v_cndmask_b32_e32 v1, v4, v1, vcc
	v_cndmask_b32_e32 v4, v9, v10, vcc
	v_mov_b32_e32 v8, 0x3b800000
	v_lshlrev_b32_e32 v1, 20, v1
	v_lshl_add_u32 v4, v4, 23, v8
	v_or3_b32 v4, v5, v4, v1
.LBB38_1984:
	s_or_b64 exec, exec, s[6:7]
	s_nop 0
	v_mfma_f32_16x16x4f32 a[0:3], v0, v4, a[0:3]
	s_movk_i32 s4, 0x7f
	v_cmp_gt_i16_sdwa s[6:7], v6, s4 src0_sel:BYTE_0 src1_sel:DWORD
	s_mov_b64 s[4:5], 0
                                        ; implicit-def: $sgpr10
	s_and_saveexec_b64 s[8:9], s[6:7]
	s_xor_b64 s[6:7], exec, s[8:9]
	s_cbranch_execnz .LBB38_4033
; %bb.1985:
	s_or_saveexec_b64 s[6:7], s[6:7]
	v_mov_b32_e32 v0, s10
	s_xor_b64 exec, exec, s[6:7]
	s_cbranch_execnz .LBB38_4036
.LBB38_1986:
	s_or_b64 exec, exec, s[6:7]
	s_and_saveexec_b64 s[6:7], s[4:5]
	s_cbranch_execz .LBB38_1988
.LBB38_1987:
	v_and_b32_e32 v0, 7, v6
	v_ffbh_u32_e32 v4, v0
	v_min_u32_e32 v4, 32, v4
	v_lshrrev_b16_e32 v1, 3, v6
	v_subrev_u32_e32 v5, 28, v4
	v_and_b32_e32 v1, 15, v1
	v_lshlrev_b32_e32 v5, v5, v6
	v_sub_u32_e32 v4, 29, v4
	v_and_b32_e32 v5, 7, v5
	v_cmp_eq_u16_e32 vcc, 0, v1
	v_cndmask_b32_e32 v0, v0, v5, vcc
	v_cndmask_b32_e32 v1, v1, v4, vcc
	v_lshlrev_b32_e32 v4, 24, v6
	v_mov_b32_e32 v5, 0x3b800000
	v_lshlrev_b32_e32 v0, 20, v0
	v_and_b32_e32 v4, 0x80000000, v4
	v_lshl_add_u32 v1, v1, 23, v5
	v_or3_b32 v0, v4, v1, v0
.LBB38_1988:
	s_or_b64 exec, exec, s[6:7]
	s_movk_i32 s4, 0x7f
	v_cmp_gt_i16_sdwa s[6:7], v2, s4 src0_sel:BYTE_0 src1_sel:DWORD
	s_mov_b64 s[4:5], 0
                                        ; implicit-def: $sgpr10
	s_and_saveexec_b64 s[8:9], s[6:7]
	s_xor_b64 s[6:7], exec, s[8:9]
	s_cbranch_execnz .LBB38_4037
; %bb.1989:
	s_or_saveexec_b64 s[6:7], s[6:7]
	v_mov_b32_e32 v1, s10
	s_xor_b64 exec, exec, s[6:7]
	s_cbranch_execnz .LBB38_4040
.LBB38_1990:
	s_or_b64 exec, exec, s[6:7]
	s_and_saveexec_b64 s[6:7], s[4:5]
	s_cbranch_execz .LBB38_1992
.LBB38_1991:
	v_and_b32_e32 v1, 7, v2
	v_ffbh_u32_e32 v5, v1
	v_min_u32_e32 v5, 32, v5
	v_lshrrev_b16_e32 v4, 3, v2
	v_subrev_u32_e32 v8, 28, v5
	v_and_b32_e32 v4, 15, v4
	v_lshlrev_b32_e32 v8, v8, v2
	v_sub_u32_e32 v5, 29, v5
	v_and_b32_e32 v8, 7, v8
	v_cmp_eq_u16_e32 vcc, 0, v4
	v_cndmask_b32_e32 v1, v1, v8, vcc
	v_cndmask_b32_e32 v4, v4, v5, vcc
	v_lshlrev_b32_e32 v5, 24, v2
	v_mov_b32_e32 v8, 0x3b800000
	v_lshlrev_b32_e32 v1, 20, v1
	v_and_b32_e32 v5, 0x80000000, v5
	v_lshl_add_u32 v4, v4, 23, v8
	v_or3_b32 v1, v5, v4, v1
.LBB38_1992:
	s_or_b64 exec, exec, s[6:7]
	s_nop 0
	v_mfma_f32_16x16x4f32 a[0:3], v0, v1, a[0:3]
	v_lshrrev_b32_e32 v1, 8, v6
	s_movk_i32 s4, 0x7f
	v_cmp_gt_i16_sdwa s[6:7], v1, s4 src0_sel:BYTE_0 src1_sel:DWORD
	s_mov_b64 s[4:5], 0
                                        ; implicit-def: $sgpr10
	s_and_saveexec_b64 s[8:9], s[6:7]
	s_xor_b64 s[6:7], exec, s[8:9]
	s_cbranch_execnz .LBB38_4041
; %bb.1993:
	s_or_saveexec_b64 s[6:7], s[6:7]
	v_mov_b32_e32 v0, s10
	s_xor_b64 exec, exec, s[6:7]
	s_cbranch_execnz .LBB38_4044
.LBB38_1994:
	s_or_b64 exec, exec, s[6:7]
	s_and_saveexec_b64 s[6:7], s[4:5]
	s_cbranch_execz .LBB38_1996
.LBB38_1995:
	v_bfe_u32 v0, v6, 8, 3
	v_ffbh_u32_e32 v5, v0
	v_min_u32_e32 v5, 32, v5
	v_lshrrev_b16_e32 v4, 3, v1
	v_subrev_u32_e32 v8, 28, v5
	v_and_b32_e32 v4, 15, v4
	v_lshlrev_b32_e32 v1, v8, v1
	v_sub_u32_e32 v5, 29, v5
	v_and_b32_e32 v1, 7, v1
	v_cmp_eq_u16_e32 vcc, 0, v4
	v_cndmask_b32_e32 v0, v0, v1, vcc
	v_cndmask_b32_e32 v1, v4, v5, vcc
	v_lshlrev_b32_e32 v4, 16, v6
	v_mov_b32_e32 v5, 0x3b800000
	v_lshlrev_b32_e32 v0, 20, v0
	v_and_b32_e32 v4, 0x80000000, v4
	v_lshl_add_u32 v1, v1, 23, v5
	v_or3_b32 v0, v4, v1, v0
.LBB38_1996:
	s_or_b64 exec, exec, s[6:7]
	v_lshrrev_b32_e32 v1, 8, v2
	s_movk_i32 s4, 0x7f
	v_cmp_gt_i16_sdwa s[6:7], v1, s4 src0_sel:BYTE_0 src1_sel:DWORD
	s_mov_b64 s[4:5], 0
                                        ; implicit-def: $sgpr10
	s_and_saveexec_b64 s[8:9], s[6:7]
	s_xor_b64 s[6:7], exec, s[8:9]
	s_cbranch_execnz .LBB38_4045
; %bb.1997:
	s_or_saveexec_b64 s[6:7], s[6:7]
	v_mov_b32_e32 v4, s10
	s_xor_b64 exec, exec, s[6:7]
	s_cbranch_execnz .LBB38_4048
.LBB38_1998:
	s_or_b64 exec, exec, s[6:7]
	s_and_saveexec_b64 s[6:7], s[4:5]
	s_cbranch_execz .LBB38_2000
.LBB38_1999:
	v_bfe_u32 v4, v2, 8, 3
	v_ffbh_u32_e32 v8, v4
	v_min_u32_e32 v8, 32, v8
	v_lshrrev_b16_e32 v5, 3, v1
	v_subrev_u32_e32 v9, 28, v8
	v_and_b32_e32 v5, 15, v5
	v_lshlrev_b32_e32 v1, v9, v1
	v_sub_u32_e32 v8, 29, v8
	v_and_b32_e32 v1, 7, v1
	v_cmp_eq_u16_e32 vcc, 0, v5
	v_cndmask_b32_e32 v1, v4, v1, vcc
	v_cndmask_b32_e32 v4, v5, v8, vcc
	v_lshlrev_b32_e32 v5, 16, v2
	v_mov_b32_e32 v8, 0x3b800000
	v_lshlrev_b32_e32 v1, 20, v1
	v_and_b32_e32 v5, 0x80000000, v5
	v_lshl_add_u32 v4, v4, 23, v8
	v_or3_b32 v4, v5, v4, v1
.LBB38_2000:
	s_or_b64 exec, exec, s[6:7]
	s_nop 0
	v_mfma_f32_16x16x4f32 a[0:3], v0, v4, a[0:3]
	s_movk_i32 s4, 0xff
	v_and_b32_sdwa v1, v6, s4 dst_sel:DWORD dst_unused:UNUSED_PAD src0_sel:WORD_1 src1_sel:DWORD
	s_movk_i32 s4, 0x7f
	v_cmp_lt_i16_e32 vcc, s4, v1
	s_mov_b64 s[4:5], 0
                                        ; implicit-def: $sgpr10
	s_and_saveexec_b64 s[6:7], vcc
	s_xor_b64 s[6:7], exec, s[6:7]
	s_cbranch_execnz .LBB38_4049
; %bb.2001:
	s_or_saveexec_b64 s[6:7], s[6:7]
	v_mov_b32_e32 v0, s10
	s_xor_b64 exec, exec, s[6:7]
	s_cbranch_execnz .LBB38_4052
.LBB38_2002:
	s_or_b64 exec, exec, s[6:7]
	s_and_saveexec_b64 s[6:7], s[4:5]
	s_cbranch_execz .LBB38_2004
.LBB38_2003:
	v_bfe_u32 v0, v6, 16, 3
	v_ffbh_u32_e32 v5, v0
	v_min_u32_e32 v5, 32, v5
	v_lshrrev_b32_e32 v1, 19, v6
	v_subrev_u32_e32 v8, 28, v5
	v_and_b32_e32 v1, 15, v1
	v_lshlrev_b32_sdwa v8, v8, v6 dst_sel:DWORD dst_unused:UNUSED_PAD src0_sel:DWORD src1_sel:WORD_1
	v_bfe_u32 v4, v6, 19, 4
	v_sub_u32_e32 v5, 29, v5
	v_and_b32_e32 v8, 7, v8
	v_cmp_eq_u16_e32 vcc, 0, v1
	v_cndmask_b32_e32 v0, v0, v8, vcc
	v_cndmask_b32_e32 v1, v4, v5, vcc
	v_lshlrev_b32_e32 v4, 8, v6
	v_mov_b32_e32 v5, 0x3b800000
	v_lshlrev_b32_e32 v0, 20, v0
	v_and_b32_e32 v4, 0x80000000, v4
	v_lshl_add_u32 v1, v1, 23, v5
	v_or3_b32 v0, v4, v1, v0
.LBB38_2004:
	s_or_b64 exec, exec, s[6:7]
	s_movk_i32 s4, 0xff
	v_and_b32_sdwa v1, v2, s4 dst_sel:DWORD dst_unused:UNUSED_PAD src0_sel:WORD_1 src1_sel:DWORD
	s_movk_i32 s4, 0x7f
	v_cmp_lt_i16_e32 vcc, s4, v1
	s_mov_b64 s[4:5], 0
                                        ; implicit-def: $sgpr10
	s_and_saveexec_b64 s[6:7], vcc
	s_xor_b64 s[6:7], exec, s[6:7]
	s_cbranch_execnz .LBB38_4053
; %bb.2005:
	s_or_saveexec_b64 s[6:7], s[6:7]
	v_mov_b32_e32 v4, s10
	s_xor_b64 exec, exec, s[6:7]
	s_cbranch_execnz .LBB38_4056
.LBB38_2006:
	s_or_b64 exec, exec, s[6:7]
	s_and_saveexec_b64 s[6:7], s[4:5]
	s_cbranch_execz .LBB38_2008
.LBB38_2007:
	v_bfe_u32 v1, v2, 16, 3
	v_ffbh_u32_e32 v8, v1
	v_min_u32_e32 v8, 32, v8
	v_lshrrev_b32_e32 v4, 19, v2
	v_subrev_u32_e32 v9, 28, v8
	v_and_b32_e32 v4, 15, v4
	v_lshlrev_b32_sdwa v9, v9, v2 dst_sel:DWORD dst_unused:UNUSED_PAD src0_sel:DWORD src1_sel:WORD_1
	v_bfe_u32 v5, v2, 19, 4
	v_sub_u32_e32 v8, 29, v8
	v_and_b32_e32 v9, 7, v9
	v_cmp_eq_u16_e32 vcc, 0, v4
	v_cndmask_b32_e32 v1, v1, v9, vcc
	v_cndmask_b32_e32 v4, v5, v8, vcc
	v_lshlrev_b32_e32 v5, 8, v2
	v_mov_b32_e32 v8, 0x3b800000
	v_lshlrev_b32_e32 v1, 20, v1
	v_and_b32_e32 v5, 0x80000000, v5
	v_lshl_add_u32 v4, v4, 23, v8
	v_or3_b32 v4, v5, v4, v1
.LBB38_2008:
	s_or_b64 exec, exec, s[6:7]
	s_nop 0
	v_mfma_f32_16x16x4f32 a[0:3], v0, v4, a[0:3]
	s_movk_i32 s4, 0x7f
	v_cmp_gt_i16_sdwa s[6:7], v6, s4 src0_sel:BYTE_3 src1_sel:DWORD
	s_mov_b64 s[4:5], 0
                                        ; implicit-def: $sgpr10
	s_and_saveexec_b64 s[8:9], s[6:7]
	s_xor_b64 s[6:7], exec, s[8:9]
	s_cbranch_execnz .LBB38_4057
; %bb.2009:
	s_or_saveexec_b64 s[6:7], s[6:7]
	v_mov_b32_e32 v0, s10
	s_xor_b64 exec, exec, s[6:7]
	s_cbranch_execnz .LBB38_4060
.LBB38_2010:
	s_or_b64 exec, exec, s[6:7]
	s_and_saveexec_b64 s[6:7], s[4:5]
	s_cbranch_execz .LBB38_2012
.LBB38_2011:
	v_bfe_u32 v0, v6, 24, 3
	v_ffbh_u32_e32 v8, v0
	v_min_u32_e32 v8, 32, v8
	v_lshrrev_b32_e32 v4, 27, v6
	v_subrev_u32_e32 v9, 28, v8
	v_and_b32_e32 v1, 0x80000000, v6
	v_and_b32_e32 v4, 15, v4
	v_bfe_u32 v5, v6, 27, 4
	v_lshlrev_b32_sdwa v6, v9, v6 dst_sel:DWORD dst_unused:UNUSED_PAD src0_sel:DWORD src1_sel:BYTE_3
	v_sub_u32_e32 v8, 29, v8
	v_and_b32_e32 v6, 7, v6
	v_cmp_eq_u16_e32 vcc, 0, v4
	v_cndmask_b32_e32 v0, v0, v6, vcc
	v_cndmask_b32_e32 v4, v5, v8, vcc
	v_mov_b32_e32 v5, 0x3b800000
	v_lshlrev_b32_e32 v0, 20, v0
	v_lshl_add_u32 v4, v4, 23, v5
	v_or3_b32 v0, v1, v4, v0
.LBB38_2012:
	s_or_b64 exec, exec, s[6:7]
	s_movk_i32 s4, 0x7f
	v_cmp_gt_i16_sdwa s[6:7], v2, s4 src0_sel:BYTE_3 src1_sel:DWORD
	s_mov_b64 s[4:5], 0
                                        ; implicit-def: $sgpr10
	s_and_saveexec_b64 s[8:9], s[6:7]
	s_xor_b64 s[6:7], exec, s[8:9]
	s_cbranch_execnz .LBB38_4061
; %bb.2013:
	s_or_saveexec_b64 s[6:7], s[6:7]
	v_mov_b32_e32 v1, s10
	s_xor_b64 exec, exec, s[6:7]
	s_cbranch_execnz .LBB38_4064
.LBB38_2014:
	s_or_b64 exec, exec, s[6:7]
	s_and_saveexec_b64 s[6:7], s[4:5]
	s_cbranch_execz .LBB38_2016
.LBB38_2015:
	v_bfe_u32 v1, v2, 24, 3
	v_ffbh_u32_e32 v8, v1
	v_min_u32_e32 v8, 32, v8
	v_lshrrev_b32_e32 v5, 27, v2
	v_subrev_u32_e32 v9, 28, v8
	v_and_b32_e32 v4, 0x80000000, v2
	v_and_b32_e32 v5, 15, v5
	v_bfe_u32 v6, v2, 27, 4
	v_lshlrev_b32_sdwa v2, v9, v2 dst_sel:DWORD dst_unused:UNUSED_PAD src0_sel:DWORD src1_sel:BYTE_3
	v_sub_u32_e32 v8, 29, v8
	v_and_b32_e32 v2, 7, v2
	v_cmp_eq_u16_e32 vcc, 0, v5
	v_cndmask_b32_e32 v1, v1, v2, vcc
	v_cndmask_b32_e32 v2, v6, v8, vcc
	v_mov_b32_e32 v5, 0x3b800000
	v_lshlrev_b32_e32 v1, 20, v1
	v_lshl_add_u32 v2, v2, 23, v5
	v_or3_b32 v1, v4, v2, v1
.LBB38_2016:
	s_or_b64 exec, exec, s[6:7]
	s_nop 0
	v_mfma_f32_16x16x4f32 a[0:3], v0, v1, a[0:3]
	s_movk_i32 s4, 0x7f
	v_cmp_gt_i16_sdwa s[6:7], v7, s4 src0_sel:BYTE_0 src1_sel:DWORD
	s_mov_b64 s[4:5], 0
                                        ; implicit-def: $sgpr10
	s_and_saveexec_b64 s[8:9], s[6:7]
	s_xor_b64 s[6:7], exec, s[8:9]
	s_cbranch_execnz .LBB38_4065
; %bb.2017:
	s_or_saveexec_b64 s[6:7], s[6:7]
	v_mov_b32_e32 v0, s10
	s_xor_b64 exec, exec, s[6:7]
	s_cbranch_execnz .LBB38_4068
.LBB38_2018:
	s_or_b64 exec, exec, s[6:7]
	s_and_saveexec_b64 s[6:7], s[4:5]
	s_cbranch_execz .LBB38_2020
.LBB38_2019:
	v_mov_b32_e32 v0, 8
	v_and_b32_e32 v1, 7, v7
	v_lshrrev_b32_sdwa v0, v0, v7 dst_sel:BYTE_1 dst_unused:UNUSED_PAD src0_sel:DWORD src1_sel:DWORD
	v_ffbh_u32_e32 v2, v1
	v_or_b32_sdwa v0, v7, v0 dst_sel:DWORD dst_unused:UNUSED_PAD src0_sel:BYTE_0 src1_sel:DWORD
	v_min_u32_e32 v2, 32, v2
	v_lshrrev_b16_e32 v0, 3, v0
	v_subrev_u32_e32 v4, 28, v2
	v_and_b32_e32 v0, 15, v0
	v_lshlrev_b32_e32 v4, v4, v7
	v_sub_u32_e32 v2, 29, v2
	v_and_b32_e32 v4, 7, v4
	v_cmp_eq_u16_e32 vcc, 0, v0
	v_cndmask_b32_e32 v1, v1, v4, vcc
	v_cndmask_b32_e32 v0, v0, v2, vcc
	v_lshlrev_b32_e32 v2, 24, v7
	v_mov_b32_e32 v4, 0x3b800000
	v_lshlrev_b32_e32 v1, 20, v1
	v_and_b32_e32 v2, 0x80000000, v2
	v_lshl_add_u32 v0, v0, 23, v4
	v_or3_b32 v0, v2, v0, v1
.LBB38_2020:
	s_or_b64 exec, exec, s[6:7]
	s_movk_i32 s4, 0x7f
	v_cmp_gt_i16_sdwa s[6:7], v3, s4 src0_sel:BYTE_0 src1_sel:DWORD
	s_mov_b64 s[4:5], 0
                                        ; implicit-def: $sgpr10
	s_and_saveexec_b64 s[8:9], s[6:7]
	s_xor_b64 s[6:7], exec, s[8:9]
	s_cbranch_execnz .LBB38_4069
; %bb.2021:
	s_or_saveexec_b64 s[6:7], s[6:7]
	v_mov_b32_e32 v1, s10
	s_xor_b64 exec, exec, s[6:7]
	s_cbranch_execnz .LBB38_4072
.LBB38_2022:
	s_or_b64 exec, exec, s[6:7]
	s_and_saveexec_b64 s[6:7], s[4:5]
	s_cbranch_execz .LBB38_2024
.LBB38_2023:
	v_mov_b32_e32 v1, 8
	v_and_b32_e32 v2, 7, v3
	v_lshrrev_b32_sdwa v1, v1, v3 dst_sel:BYTE_1 dst_unused:UNUSED_PAD src0_sel:DWORD src1_sel:DWORD
	v_ffbh_u32_e32 v4, v2
	v_or_b32_sdwa v1, v3, v1 dst_sel:DWORD dst_unused:UNUSED_PAD src0_sel:BYTE_0 src1_sel:DWORD
	v_min_u32_e32 v4, 32, v4
	v_lshrrev_b16_e32 v1, 3, v1
	v_subrev_u32_e32 v5, 28, v4
	v_and_b32_e32 v1, 15, v1
	v_lshlrev_b32_e32 v5, v5, v3
	v_sub_u32_e32 v4, 29, v4
	v_and_b32_e32 v5, 7, v5
	v_cmp_eq_u16_e32 vcc, 0, v1
	v_cndmask_b32_e32 v2, v2, v5, vcc
	v_cndmask_b32_e32 v1, v1, v4, vcc
	v_lshlrev_b32_e32 v4, 24, v3
	v_mov_b32_e32 v5, 0x3b800000
	v_lshlrev_b32_e32 v2, 20, v2
	v_and_b32_e32 v4, 0x80000000, v4
	v_lshl_add_u32 v1, v1, 23, v5
	v_or3_b32 v1, v4, v1, v2
.LBB38_2024:
	s_or_b64 exec, exec, s[6:7]
	s_nop 0
	v_mfma_f32_16x16x4f32 a[0:3], v0, v1, a[0:3]
	v_lshrrev_b32_e32 v1, 8, v7
	s_movk_i32 s4, 0x7f
	v_cmp_gt_i16_sdwa s[6:7], v1, s4 src0_sel:BYTE_0 src1_sel:DWORD
	s_mov_b64 s[4:5], 0
                                        ; implicit-def: $sgpr10
	s_and_saveexec_b64 s[8:9], s[6:7]
	s_xor_b64 s[6:7], exec, s[8:9]
	s_cbranch_execnz .LBB38_4073
; %bb.2025:
	s_or_saveexec_b64 s[6:7], s[6:7]
	v_mov_b32_e32 v0, s10
	s_xor_b64 exec, exec, s[6:7]
	s_cbranch_execnz .LBB38_4076
.LBB38_2026:
	s_or_b64 exec, exec, s[6:7]
	s_and_saveexec_b64 s[6:7], s[4:5]
	s_cbranch_execz .LBB38_2028
.LBB38_2027:
	v_bfe_u32 v0, v7, 8, 3
	v_ffbh_u32_e32 v4, v0
	v_min_u32_e32 v4, 32, v4
	v_lshrrev_b16_e32 v2, 3, v1
	v_subrev_u32_e32 v5, 28, v4
	v_and_b32_e32 v2, 15, v2
	v_lshlrev_b32_e32 v1, v5, v1
	v_sub_u32_e32 v4, 29, v4
	v_and_b32_e32 v1, 7, v1
	v_cmp_eq_u16_e32 vcc, 0, v2
	v_cndmask_b32_e32 v0, v0, v1, vcc
	v_cndmask_b32_e32 v1, v2, v4, vcc
	v_lshlrev_b32_e32 v2, 16, v7
	v_mov_b32_e32 v4, 0x3b800000
	v_lshlrev_b32_e32 v0, 20, v0
	v_and_b32_e32 v2, 0x80000000, v2
	v_lshl_add_u32 v1, v1, 23, v4
	v_or3_b32 v0, v2, v1, v0
.LBB38_2028:
	s_or_b64 exec, exec, s[6:7]
	v_lshrrev_b32_e32 v1, 8, v3
	s_movk_i32 s4, 0x7f
	v_cmp_gt_i16_sdwa s[6:7], v1, s4 src0_sel:BYTE_0 src1_sel:DWORD
	s_mov_b64 s[4:5], 0
                                        ; implicit-def: $sgpr10
	s_and_saveexec_b64 s[8:9], s[6:7]
	s_xor_b64 s[6:7], exec, s[8:9]
	s_cbranch_execnz .LBB38_4077
; %bb.2029:
	s_or_saveexec_b64 s[6:7], s[6:7]
	v_mov_b32_e32 v2, s10
	s_xor_b64 exec, exec, s[6:7]
	s_cbranch_execnz .LBB38_4080
.LBB38_2030:
	s_or_b64 exec, exec, s[6:7]
	s_and_saveexec_b64 s[6:7], s[4:5]
	s_cbranch_execz .LBB38_2032
.LBB38_2031:
	v_bfe_u32 v2, v3, 8, 3
	v_ffbh_u32_e32 v5, v2
	v_min_u32_e32 v5, 32, v5
	v_lshrrev_b16_e32 v4, 3, v1
	v_subrev_u32_e32 v6, 28, v5
	v_and_b32_e32 v4, 15, v4
	v_lshlrev_b32_e32 v1, v6, v1
	v_sub_u32_e32 v5, 29, v5
	v_and_b32_e32 v1, 7, v1
	v_cmp_eq_u16_e32 vcc, 0, v4
	v_cndmask_b32_e32 v1, v2, v1, vcc
	v_cndmask_b32_e32 v2, v4, v5, vcc
	v_lshlrev_b32_e32 v4, 16, v3
	v_mov_b32_e32 v5, 0x3b800000
	v_lshlrev_b32_e32 v1, 20, v1
	v_and_b32_e32 v4, 0x80000000, v4
	v_lshl_add_u32 v2, v2, 23, v5
	v_or3_b32 v2, v4, v2, v1
.LBB38_2032:
	s_or_b64 exec, exec, s[6:7]
	s_nop 0
	v_mfma_f32_16x16x4f32 a[0:3], v0, v2, a[0:3]
	s_movk_i32 s4, 0xff
	v_and_b32_sdwa v1, v7, s4 dst_sel:DWORD dst_unused:UNUSED_PAD src0_sel:WORD_1 src1_sel:DWORD
	s_movk_i32 s4, 0x7f
	v_cmp_lt_i16_e32 vcc, s4, v1
	s_mov_b64 s[4:5], 0
                                        ; implicit-def: $sgpr10
	s_and_saveexec_b64 s[6:7], vcc
	s_xor_b64 s[6:7], exec, s[6:7]
	s_cbranch_execnz .LBB38_4081
; %bb.2033:
	s_or_saveexec_b64 s[6:7], s[6:7]
	v_mov_b32_e32 v0, s10
	s_xor_b64 exec, exec, s[6:7]
	s_cbranch_execnz .LBB38_4084
.LBB38_2034:
	s_or_b64 exec, exec, s[6:7]
	s_and_saveexec_b64 s[6:7], s[4:5]
	s_cbranch_execz .LBB38_2036
.LBB38_2035:
	v_bfe_u32 v0, v7, 16, 3
	v_ffbh_u32_e32 v4, v0
	v_min_u32_e32 v4, 32, v4
	v_lshrrev_b32_e32 v1, 19, v7
	v_subrev_u32_e32 v5, 28, v4
	v_and_b32_e32 v1, 15, v1
	v_lshlrev_b32_sdwa v5, v5, v7 dst_sel:DWORD dst_unused:UNUSED_PAD src0_sel:DWORD src1_sel:WORD_1
	v_bfe_u32 v2, v7, 19, 4
	v_sub_u32_e32 v4, 29, v4
	v_and_b32_e32 v5, 7, v5
	v_cmp_eq_u16_e32 vcc, 0, v1
	v_cndmask_b32_e32 v0, v0, v5, vcc
	v_cndmask_b32_e32 v1, v2, v4, vcc
	v_lshlrev_b32_e32 v2, 8, v7
	v_mov_b32_e32 v4, 0x3b800000
	v_lshlrev_b32_e32 v0, 20, v0
	v_and_b32_e32 v2, 0x80000000, v2
	v_lshl_add_u32 v1, v1, 23, v4
	v_or3_b32 v0, v2, v1, v0
.LBB38_2036:
	s_or_b64 exec, exec, s[6:7]
	s_movk_i32 s4, 0xff
	v_and_b32_sdwa v1, v3, s4 dst_sel:DWORD dst_unused:UNUSED_PAD src0_sel:WORD_1 src1_sel:DWORD
	s_movk_i32 s4, 0x7f
	v_cmp_lt_i16_e32 vcc, s4, v1
	s_mov_b64 s[4:5], 0
                                        ; implicit-def: $sgpr10
	s_and_saveexec_b64 s[6:7], vcc
	s_xor_b64 s[6:7], exec, s[6:7]
	s_cbranch_execnz .LBB38_4085
; %bb.2037:
	s_or_saveexec_b64 s[6:7], s[6:7]
	v_mov_b32_e32 v2, s10
	s_xor_b64 exec, exec, s[6:7]
	s_cbranch_execnz .LBB38_4088
.LBB38_2038:
	s_or_b64 exec, exec, s[6:7]
	s_and_saveexec_b64 s[6:7], s[4:5]
	s_cbranch_execz .LBB38_2040
.LBB38_2039:
	v_bfe_u32 v1, v3, 16, 3
	v_ffbh_u32_e32 v5, v1
	v_min_u32_e32 v5, 32, v5
	v_lshrrev_b32_e32 v2, 19, v3
	v_subrev_u32_e32 v6, 28, v5
	v_and_b32_e32 v2, 15, v2
	v_lshlrev_b32_sdwa v6, v6, v3 dst_sel:DWORD dst_unused:UNUSED_PAD src0_sel:DWORD src1_sel:WORD_1
	v_bfe_u32 v4, v3, 19, 4
	v_sub_u32_e32 v5, 29, v5
	v_and_b32_e32 v6, 7, v6
	v_cmp_eq_u16_e32 vcc, 0, v2
	v_cndmask_b32_e32 v1, v1, v6, vcc
	v_cndmask_b32_e32 v2, v4, v5, vcc
	v_lshlrev_b32_e32 v4, 8, v3
	v_mov_b32_e32 v5, 0x3b800000
	v_lshlrev_b32_e32 v1, 20, v1
	v_and_b32_e32 v4, 0x80000000, v4
	v_lshl_add_u32 v2, v2, 23, v5
	v_or3_b32 v2, v4, v2, v1
.LBB38_2040:
	s_or_b64 exec, exec, s[6:7]
	s_nop 0
	v_mfma_f32_16x16x4f32 a[0:3], v0, v2, a[0:3]
	s_movk_i32 s4, 0x7f
	v_cmp_gt_i16_sdwa s[6:7], v7, s4 src0_sel:BYTE_3 src1_sel:DWORD
	s_mov_b64 s[4:5], 0
                                        ; implicit-def: $sgpr10
	s_and_saveexec_b64 s[8:9], s[6:7]
	s_xor_b64 s[6:7], exec, s[8:9]
	s_cbranch_execnz .LBB38_4089
; %bb.2041:
	s_or_saveexec_b64 s[6:7], s[6:7]
	v_mov_b32_e32 v0, s10
	s_xor_b64 exec, exec, s[6:7]
	s_cbranch_execnz .LBB38_4092
.LBB38_2042:
	s_or_b64 exec, exec, s[6:7]
	s_and_saveexec_b64 s[6:7], s[4:5]
	s_cbranch_execz .LBB38_2044
.LBB38_2043:
	v_bfe_u32 v0, v7, 24, 3
	v_ffbh_u32_e32 v5, v0
	v_min_u32_e32 v5, 32, v5
	v_lshrrev_b32_e32 v2, 27, v7
	v_subrev_u32_e32 v6, 28, v5
	v_and_b32_e32 v2, 15, v2
	v_lshlrev_b32_sdwa v6, v6, v7 dst_sel:DWORD dst_unused:UNUSED_PAD src0_sel:DWORD src1_sel:BYTE_3
	v_bfe_u32 v4, v7, 27, 4
	v_sub_u32_e32 v5, 29, v5
	v_and_b32_e32 v6, 7, v6
	v_cmp_eq_u16_e32 vcc, 0, v2
	v_cndmask_b32_e32 v0, v0, v6, vcc
	v_cndmask_b32_e32 v2, v4, v5, vcc
	v_mov_b32_e32 v4, 0x3b800000
	v_and_b32_e32 v1, 0x80000000, v7
	v_lshlrev_b32_e32 v0, 20, v0
	v_lshl_add_u32 v2, v2, 23, v4
	v_or3_b32 v0, v1, v2, v0
.LBB38_2044:
	s_or_b64 exec, exec, s[6:7]
	s_movk_i32 s4, 0x7f
	v_cmp_gt_i16_sdwa s[6:7], v3, s4 src0_sel:BYTE_3 src1_sel:DWORD
	s_mov_b64 s[4:5], 0
                                        ; implicit-def: $sgpr10
	s_and_saveexec_b64 s[8:9], s[6:7]
	s_xor_b64 s[6:7], exec, s[8:9]
	s_cbranch_execnz .LBB38_4093
; %bb.2045:
	s_or_saveexec_b64 s[6:7], s[6:7]
	v_mov_b32_e32 v1, s10
	s_xor_b64 exec, exec, s[6:7]
	s_cbranch_execnz .LBB38_4096
.LBB38_2046:
	s_or_b64 exec, exec, s[6:7]
	s_and_saveexec_b64 s[6:7], s[4:5]
	s_cbranch_execz .LBB38_2048
.LBB38_2047:
	v_bfe_u32 v1, v3, 24, 3
	v_ffbh_u32_e32 v6, v1
	v_min_u32_e32 v6, 32, v6
	v_lshrrev_b32_e32 v4, 27, v3
	v_subrev_u32_e32 v7, 28, v6
	v_and_b32_e32 v2, 0x80000000, v3
	v_and_b32_e32 v4, 15, v4
	v_bfe_u32 v5, v3, 27, 4
	v_lshlrev_b32_sdwa v3, v7, v3 dst_sel:DWORD dst_unused:UNUSED_PAD src0_sel:DWORD src1_sel:BYTE_3
	v_sub_u32_e32 v6, 29, v6
	v_and_b32_e32 v3, 7, v3
	v_cmp_eq_u16_e32 vcc, 0, v4
	v_cndmask_b32_e32 v1, v1, v3, vcc
	v_cndmask_b32_e32 v3, v5, v6, vcc
	v_mov_b32_e32 v4, 0x3b800000
	v_lshlrev_b32_e32 v1, 20, v1
	v_lshl_add_u32 v3, v3, 23, v4
	v_or3_b32 v1, v2, v3, v1
.LBB38_2048:
	s_or_b64 exec, exec, s[6:7]
	s_nop 0
	v_mfma_f32_16x16x4f32 a[0:3], v0, v1, a[0:3]
	s_nop 7
	s_nop 2
	flat_store_dwordx4 v[16:17], a[0:3] offset:368
	s_waitcnt vmcnt(0) lgkmcnt(0)
	s_setpc_b64 s[30:31]
.LBB38_2049:
	s_movk_i32 s4, 0x80
	v_cmp_eq_u16_sdwa s[12:13], v14, s4 src0_sel:BYTE_0 src1_sel:DWORD
	s_mov_b64 s[4:5], -1
                                        ; implicit-def: $sgpr10
	s_and_saveexec_b64 s[8:9], s[12:13]
; %bb.2050:
	s_mov_b32 s10, 0x7f800001
	s_xor_b64 s[4:5], exec, -1
; %bb.2051:
	s_or_b64 exec, exec, s[8:9]
	s_and_b64 s[4:5], s[4:5], exec
	s_or_saveexec_b64 s[6:7], s[6:7]
	v_mov_b32_e32 v20, s10
	s_xor_b64 exec, exec, s[6:7]
	s_cbranch_execz .LBB38_2
.LBB38_2052:
	v_mov_b32_e32 v20, 0
	v_cmp_ne_u16_sdwa s[8:9], v14, v20 src0_sel:BYTE_0 src1_sel:DWORD
	s_andn2_b64 s[4:5], s[4:5], exec
	s_and_b64 s[8:9], s[8:9], exec
	s_or_b64 s[4:5], s[4:5], s[8:9]
	s_or_b64 exec, exec, s[6:7]
	s_and_saveexec_b64 s[6:7], s[4:5]
	s_cbranch_execnz .LBB38_3
	s_branch .LBB38_4
.LBB38_2053:
	s_movk_i32 s4, 0x80
	v_cmp_eq_u16_sdwa s[12:13], v10, s4 src0_sel:BYTE_0 src1_sel:DWORD
	s_mov_b64 s[4:5], -1
                                        ; implicit-def: $sgpr10
	s_and_saveexec_b64 s[8:9], s[12:13]
; %bb.2054:
	s_mov_b32 s10, 0x7f800001
	s_xor_b64 s[4:5], exec, -1
; %bb.2055:
	s_or_b64 exec, exec, s[8:9]
	s_and_b64 s[4:5], s[4:5], exec
	s_or_saveexec_b64 s[6:7], s[6:7]
	v_mov_b32_e32 v21, s10
	s_xor_b64 exec, exec, s[6:7]
	s_cbranch_execz .LBB38_6
.LBB38_2056:
	v_mov_b32_e32 v21, 0
	v_cmp_ne_u16_sdwa s[8:9], v10, v21 src0_sel:BYTE_0 src1_sel:DWORD
	s_andn2_b64 s[4:5], s[4:5], exec
	s_and_b64 s[8:9], s[8:9], exec
	s_or_b64 s[4:5], s[4:5], s[8:9]
	s_or_b64 exec, exec, s[6:7]
	s_and_saveexec_b64 s[6:7], s[4:5]
	s_cbranch_execnz .LBB38_7
	s_branch .LBB38_8
.LBB38_2057:
	s_movk_i32 s4, 0x80
	v_cmp_eq_u16_sdwa s[12:13], v21, s4 src0_sel:BYTE_0 src1_sel:DWORD
	s_mov_b64 s[4:5], -1
                                        ; implicit-def: $sgpr10
	s_and_saveexec_b64 s[8:9], s[12:13]
; %bb.2058:
	s_mov_b32 s10, 0x7f800001
	s_xor_b64 s[4:5], exec, -1
; %bb.2059:
	s_or_b64 exec, exec, s[8:9]
	s_and_b64 s[4:5], s[4:5], exec
	s_or_saveexec_b64 s[6:7], s[6:7]
	v_mov_b32_e32 v20, s10
	s_xor_b64 exec, exec, s[6:7]
	s_cbranch_execz .LBB38_10
.LBB38_2060:
	v_mov_b32_e32 v20, 0
	v_cmp_ne_u16_sdwa s[8:9], v21, v20 src0_sel:BYTE_0 src1_sel:DWORD
	s_andn2_b64 s[4:5], s[4:5], exec
	s_and_b64 s[8:9], s[8:9], exec
	s_or_b64 s[4:5], s[4:5], s[8:9]
	s_or_b64 exec, exec, s[6:7]
	s_and_saveexec_b64 s[6:7], s[4:5]
	s_cbranch_execnz .LBB38_11
	s_branch .LBB38_12
.LBB38_2061:
	s_movk_i32 s4, 0x80
	v_cmp_eq_u16_sdwa s[12:13], v21, s4 src0_sel:BYTE_0 src1_sel:DWORD
	s_mov_b64 s[4:5], -1
                                        ; implicit-def: $sgpr10
	s_and_saveexec_b64 s[8:9], s[12:13]
; %bb.2062:
	s_mov_b32 s10, 0x7f800001
	s_xor_b64 s[4:5], exec, -1
; %bb.2063:
	s_or_b64 exec, exec, s[8:9]
	s_and_b64 s[4:5], s[4:5], exec
	s_or_saveexec_b64 s[6:7], s[6:7]
	v_mov_b32_e32 v22, s10
	s_xor_b64 exec, exec, s[6:7]
	s_cbranch_execz .LBB38_14
.LBB38_2064:
	v_mov_b32_e32 v22, 0
	v_cmp_ne_u16_sdwa s[8:9], v21, v22 src0_sel:BYTE_0 src1_sel:DWORD
	s_andn2_b64 s[4:5], s[4:5], exec
	s_and_b64 s[8:9], s[8:9], exec
	s_or_b64 s[4:5], s[4:5], s[8:9]
	s_or_b64 exec, exec, s[6:7]
	s_and_saveexec_b64 s[6:7], s[4:5]
	s_cbranch_execnz .LBB38_15
	s_branch .LBB38_16
.LBB38_2065:
	s_movk_i32 s4, 0x80
	v_cmp_eq_u16_e32 vcc, s4, v21
	s_mov_b64 s[4:5], -1
                                        ; implicit-def: $sgpr10
	s_and_saveexec_b64 s[8:9], vcc
; %bb.2066:
	s_mov_b32 s10, 0x7f800001
	s_xor_b64 s[4:5], exec, -1
; %bb.2067:
	s_or_b64 exec, exec, s[8:9]
	s_and_b64 s[4:5], s[4:5], exec
                                        ; implicit-def: $vgpr21
	s_or_saveexec_b64 s[6:7], s[6:7]
	v_mov_b32_e32 v20, s10
	s_xor_b64 exec, exec, s[6:7]
	s_cbranch_execz .LBB38_18
.LBB38_2068:
	v_cmp_ne_u16_e32 vcc, 0, v21
	s_andn2_b64 s[4:5], s[4:5], exec
	s_and_b64 s[8:9], vcc, exec
	v_mov_b32_e32 v20, 0
	s_or_b64 s[4:5], s[4:5], s[8:9]
	s_or_b64 exec, exec, s[6:7]
	s_and_saveexec_b64 s[6:7], s[4:5]
	s_cbranch_execnz .LBB38_19
	s_branch .LBB38_20
.LBB38_2069:
	s_movk_i32 s4, 0x80
	v_cmp_eq_u16_e32 vcc, s4, v21
	s_mov_b64 s[4:5], -1
                                        ; implicit-def: $sgpr10
	s_and_saveexec_b64 s[8:9], vcc
; %bb.2070:
	s_mov_b32 s10, 0x7f800001
	s_xor_b64 s[4:5], exec, -1
; %bb.2071:
	s_or_b64 exec, exec, s[8:9]
	s_and_b64 s[4:5], s[4:5], exec
                                        ; implicit-def: $vgpr21
	s_or_saveexec_b64 s[6:7], s[6:7]
	v_mov_b32_e32 v22, s10
	s_xor_b64 exec, exec, s[6:7]
	s_cbranch_execz .LBB38_22
.LBB38_2072:
	v_cmp_ne_u16_e32 vcc, 0, v21
	s_andn2_b64 s[4:5], s[4:5], exec
	s_and_b64 s[8:9], vcc, exec
	v_mov_b32_e32 v22, 0
	s_or_b64 s[4:5], s[4:5], s[8:9]
	s_or_b64 exec, exec, s[6:7]
	s_and_saveexec_b64 s[6:7], s[4:5]
	s_cbranch_execnz .LBB38_23
	s_branch .LBB38_24
.LBB38_2073:
	s_movk_i32 s4, 0x80
	v_cmp_eq_u16_sdwa s[12:13], v14, s4 src0_sel:BYTE_3 src1_sel:DWORD
	s_mov_b64 s[4:5], -1
                                        ; implicit-def: $sgpr10
	s_and_saveexec_b64 s[8:9], s[12:13]
; %bb.2074:
	s_mov_b32 s10, 0x7f800001
	s_xor_b64 s[4:5], exec, -1
; %bb.2075:
	s_or_b64 exec, exec, s[8:9]
	s_and_b64 s[4:5], s[4:5], exec
	s_or_saveexec_b64 s[6:7], s[6:7]
	v_mov_b32_e32 v20, s10
	s_xor_b64 exec, exec, s[6:7]
	s_cbranch_execz .LBB38_26
.LBB38_2076:
	v_mov_b32_e32 v20, 0
	v_cmp_ne_u16_sdwa s[8:9], v14, v20 src0_sel:BYTE_3 src1_sel:DWORD
	s_andn2_b64 s[4:5], s[4:5], exec
	s_and_b64 s[8:9], s[8:9], exec
	s_or_b64 s[4:5], s[4:5], s[8:9]
	s_or_b64 exec, exec, s[6:7]
	s_and_saveexec_b64 s[6:7], s[4:5]
	s_cbranch_execnz .LBB38_27
	s_branch .LBB38_28
.LBB38_2077:
	s_movk_i32 s4, 0x80
	v_cmp_eq_u16_sdwa s[12:13], v10, s4 src0_sel:BYTE_3 src1_sel:DWORD
	s_mov_b64 s[4:5], -1
                                        ; implicit-def: $sgpr10
	s_and_saveexec_b64 s[8:9], s[12:13]
; %bb.2078:
	s_mov_b32 s10, 0x7f800001
	s_xor_b64 s[4:5], exec, -1
; %bb.2079:
	s_or_b64 exec, exec, s[8:9]
	s_and_b64 s[4:5], s[4:5], exec
	s_or_saveexec_b64 s[6:7], s[6:7]
	v_mov_b32_e32 v14, s10
	s_xor_b64 exec, exec, s[6:7]
	s_cbranch_execz .LBB38_30
.LBB38_2080:
	v_mov_b32_e32 v14, 0
	v_cmp_ne_u16_sdwa s[8:9], v10, v14 src0_sel:BYTE_3 src1_sel:DWORD
	s_andn2_b64 s[4:5], s[4:5], exec
	s_and_b64 s[8:9], s[8:9], exec
	s_or_b64 s[4:5], s[4:5], s[8:9]
	s_or_b64 exec, exec, s[6:7]
	s_and_saveexec_b64 s[6:7], s[4:5]
	s_cbranch_execnz .LBB38_31
	s_branch .LBB38_32
.LBB38_2081:
	s_movk_i32 s4, 0x80
	v_cmp_eq_u16_sdwa s[12:13], v15, s4 src0_sel:BYTE_0 src1_sel:DWORD
	s_mov_b64 s[4:5], -1
                                        ; implicit-def: $sgpr10
	s_and_saveexec_b64 s[8:9], s[12:13]
; %bb.2082:
	s_mov_b32 s10, 0x7f800001
	s_xor_b64 s[4:5], exec, -1
; %bb.2083:
	s_or_b64 exec, exec, s[8:9]
	s_and_b64 s[4:5], s[4:5], exec
	s_or_saveexec_b64 s[6:7], s[6:7]
	v_mov_b32_e32 v10, s10
	s_xor_b64 exec, exec, s[6:7]
	s_cbranch_execz .LBB38_34
.LBB38_2084:
	v_mov_b32_e32 v10, 0
	v_cmp_ne_u16_sdwa s[8:9], v15, v10 src0_sel:BYTE_0 src1_sel:DWORD
	s_andn2_b64 s[4:5], s[4:5], exec
	s_and_b64 s[8:9], s[8:9], exec
	s_or_b64 s[4:5], s[4:5], s[8:9]
	s_or_b64 exec, exec, s[6:7]
	s_and_saveexec_b64 s[6:7], s[4:5]
	s_cbranch_execnz .LBB38_35
	s_branch .LBB38_36
.LBB38_2085:
	s_movk_i32 s4, 0x80
	v_cmp_eq_u16_sdwa s[12:13], v11, s4 src0_sel:BYTE_0 src1_sel:DWORD
	s_mov_b64 s[4:5], -1
                                        ; implicit-def: $sgpr10
	s_and_saveexec_b64 s[8:9], s[12:13]
; %bb.2086:
	s_mov_b32 s10, 0x7f800001
	s_xor_b64 s[4:5], exec, -1
; %bb.2087:
	s_or_b64 exec, exec, s[8:9]
	s_and_b64 s[4:5], s[4:5], exec
	s_or_saveexec_b64 s[6:7], s[6:7]
	v_mov_b32_e32 v14, s10
	s_xor_b64 exec, exec, s[6:7]
	s_cbranch_execz .LBB38_38
.LBB38_2088:
	v_mov_b32_e32 v14, 0
	v_cmp_ne_u16_sdwa s[8:9], v11, v14 src0_sel:BYTE_0 src1_sel:DWORD
	s_andn2_b64 s[4:5], s[4:5], exec
	s_and_b64 s[8:9], s[8:9], exec
	s_or_b64 s[4:5], s[4:5], s[8:9]
	s_or_b64 exec, exec, s[6:7]
	s_and_saveexec_b64 s[6:7], s[4:5]
	s_cbranch_execnz .LBB38_39
	s_branch .LBB38_40
.LBB38_2089:
	s_movk_i32 s4, 0x80
	v_cmp_eq_u16_sdwa s[12:13], v14, s4 src0_sel:BYTE_0 src1_sel:DWORD
	s_mov_b64 s[4:5], -1
                                        ; implicit-def: $sgpr10
	s_and_saveexec_b64 s[8:9], s[12:13]
; %bb.2090:
	s_mov_b32 s10, 0x7f800001
	s_xor_b64 s[4:5], exec, -1
; %bb.2091:
	s_or_b64 exec, exec, s[8:9]
	s_and_b64 s[4:5], s[4:5], exec
	s_or_saveexec_b64 s[6:7], s[6:7]
	v_mov_b32_e32 v10, s10
	s_xor_b64 exec, exec, s[6:7]
	s_cbranch_execz .LBB38_42
.LBB38_2092:
	v_mov_b32_e32 v10, 0
	v_cmp_ne_u16_sdwa s[8:9], v14, v10 src0_sel:BYTE_0 src1_sel:DWORD
	s_andn2_b64 s[4:5], s[4:5], exec
	s_and_b64 s[8:9], s[8:9], exec
	s_or_b64 s[4:5], s[4:5], s[8:9]
	s_or_b64 exec, exec, s[6:7]
	s_and_saveexec_b64 s[6:7], s[4:5]
	s_cbranch_execnz .LBB38_43
	s_branch .LBB38_44
.LBB38_2093:
	s_movk_i32 s4, 0x80
	v_cmp_eq_u16_sdwa s[12:13], v14, s4 src0_sel:BYTE_0 src1_sel:DWORD
	s_mov_b64 s[4:5], -1
                                        ; implicit-def: $sgpr10
	s_and_saveexec_b64 s[8:9], s[12:13]
; %bb.2094:
	s_mov_b32 s10, 0x7f800001
	s_xor_b64 s[4:5], exec, -1
; %bb.2095:
	s_or_b64 exec, exec, s[8:9]
	s_and_b64 s[4:5], s[4:5], exec
	s_or_saveexec_b64 s[6:7], s[6:7]
	v_mov_b32_e32 v20, s10
	s_xor_b64 exec, exec, s[6:7]
	s_cbranch_execz .LBB38_46
.LBB38_2096:
	v_mov_b32_e32 v20, 0
	v_cmp_ne_u16_sdwa s[8:9], v14, v20 src0_sel:BYTE_0 src1_sel:DWORD
	s_andn2_b64 s[4:5], s[4:5], exec
	s_and_b64 s[8:9], s[8:9], exec
	s_or_b64 s[4:5], s[4:5], s[8:9]
	s_or_b64 exec, exec, s[6:7]
	s_and_saveexec_b64 s[6:7], s[4:5]
	s_cbranch_execnz .LBB38_47
	s_branch .LBB38_48
.LBB38_2097:
	s_movk_i32 s4, 0x80
	v_cmp_eq_u16_e32 vcc, s4, v14
	s_mov_b64 s[4:5], -1
                                        ; implicit-def: $sgpr10
	s_and_saveexec_b64 s[8:9], vcc
; %bb.2098:
	s_mov_b32 s10, 0x7f800001
	s_xor_b64 s[4:5], exec, -1
; %bb.2099:
	s_or_b64 exec, exec, s[8:9]
	s_and_b64 s[4:5], s[4:5], exec
                                        ; implicit-def: $vgpr14
	s_or_saveexec_b64 s[6:7], s[6:7]
	v_mov_b32_e32 v10, s10
	s_xor_b64 exec, exec, s[6:7]
	s_cbranch_execz .LBB38_50
.LBB38_2100:
	v_cmp_ne_u16_e32 vcc, 0, v14
	s_andn2_b64 s[4:5], s[4:5], exec
	s_and_b64 s[8:9], vcc, exec
	v_mov_b32_e32 v10, 0
	s_or_b64 s[4:5], s[4:5], s[8:9]
	s_or_b64 exec, exec, s[6:7]
	s_and_saveexec_b64 s[6:7], s[4:5]
	s_cbranch_execnz .LBB38_51
	s_branch .LBB38_52
.LBB38_2101:
	s_movk_i32 s4, 0x80
	v_cmp_eq_u16_e32 vcc, s4, v14
	s_mov_b64 s[4:5], -1
                                        ; implicit-def: $sgpr10
	s_and_saveexec_b64 s[8:9], vcc
; %bb.2102:
	s_mov_b32 s10, 0x7f800001
	s_xor_b64 s[4:5], exec, -1
; %bb.2103:
	s_or_b64 exec, exec, s[8:9]
	s_and_b64 s[4:5], s[4:5], exec
                                        ; implicit-def: $vgpr14
	s_or_saveexec_b64 s[6:7], s[6:7]
	v_mov_b32_e32 v20, s10
	s_xor_b64 exec, exec, s[6:7]
	s_cbranch_execz .LBB38_54
.LBB38_2104:
	v_cmp_ne_u16_e32 vcc, 0, v14
	s_andn2_b64 s[4:5], s[4:5], exec
	s_and_b64 s[8:9], vcc, exec
	v_mov_b32_e32 v20, 0
	s_or_b64 s[4:5], s[4:5], s[8:9]
	s_or_b64 exec, exec, s[6:7]
	s_and_saveexec_b64 s[6:7], s[4:5]
	s_cbranch_execnz .LBB38_55
	s_branch .LBB38_56
.LBB38_2105:
	s_movk_i32 s4, 0x80
	v_cmp_eq_u16_sdwa s[12:13], v15, s4 src0_sel:BYTE_3 src1_sel:DWORD
	s_mov_b64 s[4:5], -1
                                        ; implicit-def: $sgpr10
	s_and_saveexec_b64 s[8:9], s[12:13]
; %bb.2106:
	s_mov_b32 s10, 0x7f800001
	s_xor_b64 s[4:5], exec, -1
; %bb.2107:
	s_or_b64 exec, exec, s[8:9]
	s_and_b64 s[4:5], s[4:5], exec
	s_or_saveexec_b64 s[6:7], s[6:7]
	v_mov_b32_e32 v10, s10
	s_xor_b64 exec, exec, s[6:7]
	s_cbranch_execz .LBB38_58
.LBB38_2108:
	v_mov_b32_e32 v10, 0
	v_cmp_ne_u16_sdwa s[8:9], v15, v10 src0_sel:BYTE_3 src1_sel:DWORD
	s_andn2_b64 s[4:5], s[4:5], exec
	s_and_b64 s[8:9], s[8:9], exec
	s_or_b64 s[4:5], s[4:5], s[8:9]
	s_or_b64 exec, exec, s[6:7]
	s_and_saveexec_b64 s[6:7], s[4:5]
	s_cbranch_execnz .LBB38_59
	s_branch .LBB38_60
.LBB38_2109:
	s_movk_i32 s4, 0x80
	v_cmp_eq_u16_sdwa s[12:13], v11, s4 src0_sel:BYTE_3 src1_sel:DWORD
	s_mov_b64 s[4:5], -1
                                        ; implicit-def: $sgpr10
	s_and_saveexec_b64 s[8:9], s[12:13]
; %bb.2110:
	s_mov_b32 s10, 0x7f800001
	s_xor_b64 s[4:5], exec, -1
; %bb.2111:
	s_or_b64 exec, exec, s[8:9]
	s_and_b64 s[4:5], s[4:5], exec
	s_or_saveexec_b64 s[6:7], s[6:7]
	v_mov_b32_e32 v14, s10
	s_xor_b64 exec, exec, s[6:7]
	s_cbranch_execz .LBB38_62
.LBB38_2112:
	v_mov_b32_e32 v14, 0
	v_cmp_ne_u16_sdwa s[8:9], v11, v14 src0_sel:BYTE_3 src1_sel:DWORD
	s_andn2_b64 s[4:5], s[4:5], exec
	s_and_b64 s[8:9], s[8:9], exec
	s_or_b64 s[4:5], s[4:5], s[8:9]
	s_or_b64 exec, exec, s[6:7]
	s_and_saveexec_b64 s[6:7], s[4:5]
	s_cbranch_execnz .LBB38_63
	s_branch .LBB38_64
.LBB38_2113:
	s_movk_i32 s4, 0x80
	v_cmp_eq_u16_sdwa s[12:13], v16, s4 src0_sel:BYTE_0 src1_sel:DWORD
	s_mov_b64 s[4:5], -1
                                        ; implicit-def: $sgpr10
	s_and_saveexec_b64 s[8:9], s[12:13]
; %bb.2114:
	s_mov_b32 s10, 0x7f800001
	s_xor_b64 s[4:5], exec, -1
; %bb.2115:
	s_or_b64 exec, exec, s[8:9]
	s_and_b64 s[4:5], s[4:5], exec
	s_or_saveexec_b64 s[6:7], s[6:7]
	v_mov_b32_e32 v10, s10
	s_xor_b64 exec, exec, s[6:7]
	s_cbranch_execz .LBB38_66
.LBB38_2116:
	v_mov_b32_e32 v10, 0
	v_cmp_ne_u16_sdwa s[8:9], v16, v10 src0_sel:BYTE_0 src1_sel:DWORD
	s_andn2_b64 s[4:5], s[4:5], exec
	s_and_b64 s[8:9], s[8:9], exec
	s_or_b64 s[4:5], s[4:5], s[8:9]
	s_or_b64 exec, exec, s[6:7]
	s_and_saveexec_b64 s[6:7], s[4:5]
	s_cbranch_execnz .LBB38_67
	s_branch .LBB38_68
.LBB38_2117:
	s_movk_i32 s4, 0x80
	v_cmp_eq_u16_sdwa s[12:13], v12, s4 src0_sel:BYTE_0 src1_sel:DWORD
	s_mov_b64 s[4:5], -1
                                        ; implicit-def: $sgpr10
	s_and_saveexec_b64 s[8:9], s[12:13]
; %bb.2118:
	s_mov_b32 s10, 0x7f800001
	s_xor_b64 s[4:5], exec, -1
; %bb.2119:
	s_or_b64 exec, exec, s[8:9]
	s_and_b64 s[4:5], s[4:5], exec
	s_or_saveexec_b64 s[6:7], s[6:7]
	v_mov_b32_e32 v11, s10
	s_xor_b64 exec, exec, s[6:7]
	s_cbranch_execz .LBB38_70
.LBB38_2120:
	v_mov_b32_e32 v11, 0
	v_cmp_ne_u16_sdwa s[8:9], v12, v11 src0_sel:BYTE_0 src1_sel:DWORD
	s_andn2_b64 s[4:5], s[4:5], exec
	s_and_b64 s[8:9], s[8:9], exec
	s_or_b64 s[4:5], s[4:5], s[8:9]
	s_or_b64 exec, exec, s[6:7]
	s_and_saveexec_b64 s[6:7], s[4:5]
	s_cbranch_execnz .LBB38_71
	s_branch .LBB38_72
.LBB38_2121:
	s_movk_i32 s4, 0x80
	v_cmp_eq_u16_sdwa s[12:13], v11, s4 src0_sel:BYTE_0 src1_sel:DWORD
	s_mov_b64 s[4:5], -1
                                        ; implicit-def: $sgpr10
	s_and_saveexec_b64 s[8:9], s[12:13]
; %bb.2122:
	s_mov_b32 s10, 0x7f800001
	s_xor_b64 s[4:5], exec, -1
; %bb.2123:
	s_or_b64 exec, exec, s[8:9]
	s_and_b64 s[4:5], s[4:5], exec
	s_or_saveexec_b64 s[6:7], s[6:7]
	v_mov_b32_e32 v10, s10
	s_xor_b64 exec, exec, s[6:7]
	s_cbranch_execz .LBB38_74
.LBB38_2124:
	v_mov_b32_e32 v10, 0
	v_cmp_ne_u16_sdwa s[8:9], v11, v10 src0_sel:BYTE_0 src1_sel:DWORD
	s_andn2_b64 s[4:5], s[4:5], exec
	s_and_b64 s[8:9], s[8:9], exec
	s_or_b64 s[4:5], s[4:5], s[8:9]
	s_or_b64 exec, exec, s[6:7]
	s_and_saveexec_b64 s[6:7], s[4:5]
	s_cbranch_execnz .LBB38_75
	s_branch .LBB38_76
.LBB38_2125:
	s_movk_i32 s4, 0x80
	v_cmp_eq_u16_sdwa s[12:13], v11, s4 src0_sel:BYTE_0 src1_sel:DWORD
	s_mov_b64 s[4:5], -1
                                        ; implicit-def: $sgpr10
	s_and_saveexec_b64 s[8:9], s[12:13]
; %bb.2126:
	s_mov_b32 s10, 0x7f800001
	s_xor_b64 s[4:5], exec, -1
; %bb.2127:
	s_or_b64 exec, exec, s[8:9]
	s_and_b64 s[4:5], s[4:5], exec
	s_or_saveexec_b64 s[6:7], s[6:7]
	v_mov_b32_e32 v14, s10
	s_xor_b64 exec, exec, s[6:7]
	s_cbranch_execz .LBB38_78
.LBB38_2128:
	v_mov_b32_e32 v14, 0
	v_cmp_ne_u16_sdwa s[8:9], v11, v14 src0_sel:BYTE_0 src1_sel:DWORD
	s_andn2_b64 s[4:5], s[4:5], exec
	s_and_b64 s[8:9], s[8:9], exec
	s_or_b64 s[4:5], s[4:5], s[8:9]
	s_or_b64 exec, exec, s[6:7]
	s_and_saveexec_b64 s[6:7], s[4:5]
	s_cbranch_execnz .LBB38_79
	s_branch .LBB38_80
.LBB38_2129:
	s_movk_i32 s4, 0x80
	v_cmp_eq_u16_e32 vcc, s4, v11
	s_mov_b64 s[4:5], -1
                                        ; implicit-def: $sgpr10
	s_and_saveexec_b64 s[8:9], vcc
; %bb.2130:
	s_mov_b32 s10, 0x7f800001
	s_xor_b64 s[4:5], exec, -1
; %bb.2131:
	s_or_b64 exec, exec, s[8:9]
	s_and_b64 s[4:5], s[4:5], exec
                                        ; implicit-def: $vgpr11
	s_or_saveexec_b64 s[6:7], s[6:7]
	v_mov_b32_e32 v10, s10
	s_xor_b64 exec, exec, s[6:7]
	s_cbranch_execz .LBB38_82
.LBB38_2132:
	v_cmp_ne_u16_e32 vcc, 0, v11
	s_andn2_b64 s[4:5], s[4:5], exec
	s_and_b64 s[8:9], vcc, exec
	v_mov_b32_e32 v10, 0
	s_or_b64 s[4:5], s[4:5], s[8:9]
	s_or_b64 exec, exec, s[6:7]
	s_and_saveexec_b64 s[6:7], s[4:5]
	s_cbranch_execnz .LBB38_83
	s_branch .LBB38_84
.LBB38_2133:
	s_movk_i32 s4, 0x80
	v_cmp_eq_u16_e32 vcc, s4, v11
	s_mov_b64 s[4:5], -1
                                        ; implicit-def: $sgpr10
	s_and_saveexec_b64 s[8:9], vcc
; %bb.2134:
	s_mov_b32 s10, 0x7f800001
	s_xor_b64 s[4:5], exec, -1
; %bb.2135:
	s_or_b64 exec, exec, s[8:9]
	s_and_b64 s[4:5], s[4:5], exec
                                        ; implicit-def: $vgpr11
	s_or_saveexec_b64 s[6:7], s[6:7]
	v_mov_b32_e32 v14, s10
	s_xor_b64 exec, exec, s[6:7]
	s_cbranch_execz .LBB38_86
.LBB38_2136:
	v_cmp_ne_u16_e32 vcc, 0, v11
	s_andn2_b64 s[4:5], s[4:5], exec
	s_and_b64 s[8:9], vcc, exec
	v_mov_b32_e32 v14, 0
	s_or_b64 s[4:5], s[4:5], s[8:9]
	s_or_b64 exec, exec, s[6:7]
	s_and_saveexec_b64 s[6:7], s[4:5]
	s_cbranch_execnz .LBB38_87
	s_branch .LBB38_88
.LBB38_2137:
	s_movk_i32 s4, 0x80
	v_cmp_eq_u16_sdwa s[12:13], v16, s4 src0_sel:BYTE_3 src1_sel:DWORD
	s_mov_b64 s[4:5], -1
                                        ; implicit-def: $sgpr10
	s_and_saveexec_b64 s[8:9], s[12:13]
; %bb.2138:
	s_mov_b32 s10, 0x7f800001
	s_xor_b64 s[4:5], exec, -1
; %bb.2139:
	s_or_b64 exec, exec, s[8:9]
	s_and_b64 s[4:5], s[4:5], exec
	s_or_saveexec_b64 s[6:7], s[6:7]
	v_mov_b32_e32 v10, s10
	s_xor_b64 exec, exec, s[6:7]
	s_cbranch_execz .LBB38_90
.LBB38_2140:
	v_mov_b32_e32 v10, 0
	v_cmp_ne_u16_sdwa s[8:9], v16, v10 src0_sel:BYTE_3 src1_sel:DWORD
	s_andn2_b64 s[4:5], s[4:5], exec
	s_and_b64 s[8:9], s[8:9], exec
	s_or_b64 s[4:5], s[4:5], s[8:9]
	s_or_b64 exec, exec, s[6:7]
	s_and_saveexec_b64 s[6:7], s[4:5]
	s_cbranch_execnz .LBB38_91
	s_branch .LBB38_92
.LBB38_2141:
	s_movk_i32 s4, 0x80
	v_cmp_eq_u16_sdwa s[12:13], v12, s4 src0_sel:BYTE_3 src1_sel:DWORD
	s_mov_b64 s[4:5], -1
                                        ; implicit-def: $sgpr10
	s_and_saveexec_b64 s[8:9], s[12:13]
; %bb.2142:
	s_mov_b32 s10, 0x7f800001
	s_xor_b64 s[4:5], exec, -1
; %bb.2143:
	s_or_b64 exec, exec, s[8:9]
	s_and_b64 s[4:5], s[4:5], exec
	s_or_saveexec_b64 s[6:7], s[6:7]
	v_mov_b32_e32 v11, s10
	s_xor_b64 exec, exec, s[6:7]
	s_cbranch_execz .LBB38_94
.LBB38_2144:
	v_mov_b32_e32 v11, 0
	v_cmp_ne_u16_sdwa s[8:9], v12, v11 src0_sel:BYTE_3 src1_sel:DWORD
	s_andn2_b64 s[4:5], s[4:5], exec
	s_and_b64 s[8:9], s[8:9], exec
	s_or_b64 s[4:5], s[4:5], s[8:9]
	s_or_b64 exec, exec, s[6:7]
	s_and_saveexec_b64 s[6:7], s[4:5]
	s_cbranch_execnz .LBB38_95
	s_branch .LBB38_96
.LBB38_2145:
	s_movk_i32 s4, 0x80
	v_cmp_eq_u16_sdwa s[12:13], v17, s4 src0_sel:BYTE_0 src1_sel:DWORD
	s_mov_b64 s[4:5], -1
                                        ; implicit-def: $sgpr10
	s_and_saveexec_b64 s[8:9], s[12:13]
; %bb.2146:
	s_mov_b32 s10, 0x7f800001
	s_xor_b64 s[4:5], exec, -1
; %bb.2147:
	s_or_b64 exec, exec, s[8:9]
	s_and_b64 s[4:5], s[4:5], exec
	s_or_saveexec_b64 s[6:7], s[6:7]
	v_mov_b32_e32 v10, s10
	s_xor_b64 exec, exec, s[6:7]
	s_cbranch_execz .LBB38_98
.LBB38_2148:
	v_mov_b32_e32 v10, 0
	v_cmp_ne_u16_sdwa s[8:9], v17, v10 src0_sel:BYTE_0 src1_sel:DWORD
	s_andn2_b64 s[4:5], s[4:5], exec
	s_and_b64 s[8:9], s[8:9], exec
	s_or_b64 s[4:5], s[4:5], s[8:9]
	s_or_b64 exec, exec, s[6:7]
	s_and_saveexec_b64 s[6:7], s[4:5]
	s_cbranch_execnz .LBB38_99
	s_branch .LBB38_100
.LBB38_2149:
	s_movk_i32 s4, 0x80
	v_cmp_eq_u16_sdwa s[12:13], v13, s4 src0_sel:BYTE_0 src1_sel:DWORD
	s_mov_b64 s[4:5], -1
                                        ; implicit-def: $sgpr10
	s_and_saveexec_b64 s[8:9], s[12:13]
; %bb.2150:
	s_mov_b32 s10, 0x7f800001
	s_xor_b64 s[4:5], exec, -1
; %bb.2151:
	s_or_b64 exec, exec, s[8:9]
	s_and_b64 s[4:5], s[4:5], exec
	s_or_saveexec_b64 s[6:7], s[6:7]
	v_mov_b32_e32 v11, s10
	s_xor_b64 exec, exec, s[6:7]
	s_cbranch_execz .LBB38_102
.LBB38_2152:
	v_mov_b32_e32 v11, 0
	v_cmp_ne_u16_sdwa s[8:9], v13, v11 src0_sel:BYTE_0 src1_sel:DWORD
	s_andn2_b64 s[4:5], s[4:5], exec
	s_and_b64 s[8:9], s[8:9], exec
	s_or_b64 s[4:5], s[4:5], s[8:9]
	s_or_b64 exec, exec, s[6:7]
	s_and_saveexec_b64 s[6:7], s[4:5]
	s_cbranch_execnz .LBB38_103
	s_branch .LBB38_104
.LBB38_2153:
	s_movk_i32 s4, 0x80
	v_cmp_eq_u16_sdwa s[12:13], v11, s4 src0_sel:BYTE_0 src1_sel:DWORD
	s_mov_b64 s[4:5], -1
                                        ; implicit-def: $sgpr10
	s_and_saveexec_b64 s[8:9], s[12:13]
; %bb.2154:
	s_mov_b32 s10, 0x7f800001
	s_xor_b64 s[4:5], exec, -1
; %bb.2155:
	s_or_b64 exec, exec, s[8:9]
	s_and_b64 s[4:5], s[4:5], exec
	s_or_saveexec_b64 s[6:7], s[6:7]
	v_mov_b32_e32 v10, s10
	s_xor_b64 exec, exec, s[6:7]
	s_cbranch_execz .LBB38_106
.LBB38_2156:
	v_mov_b32_e32 v10, 0
	v_cmp_ne_u16_sdwa s[8:9], v11, v10 src0_sel:BYTE_0 src1_sel:DWORD
	s_andn2_b64 s[4:5], s[4:5], exec
	s_and_b64 s[8:9], s[8:9], exec
	s_or_b64 s[4:5], s[4:5], s[8:9]
	s_or_b64 exec, exec, s[6:7]
	s_and_saveexec_b64 s[6:7], s[4:5]
	s_cbranch_execnz .LBB38_107
	s_branch .LBB38_108
.LBB38_2157:
	s_movk_i32 s4, 0x80
	v_cmp_eq_u16_sdwa s[12:13], v11, s4 src0_sel:BYTE_0 src1_sel:DWORD
	s_mov_b64 s[4:5], -1
                                        ; implicit-def: $sgpr10
	s_and_saveexec_b64 s[8:9], s[12:13]
; %bb.2158:
	s_mov_b32 s10, 0x7f800001
	s_xor_b64 s[4:5], exec, -1
; %bb.2159:
	s_or_b64 exec, exec, s[8:9]
	s_and_b64 s[4:5], s[4:5], exec
	s_or_saveexec_b64 s[6:7], s[6:7]
	v_mov_b32_e32 v12, s10
	s_xor_b64 exec, exec, s[6:7]
	s_cbranch_execz .LBB38_110
.LBB38_2160:
	v_mov_b32_e32 v12, 0
	v_cmp_ne_u16_sdwa s[8:9], v11, v12 src0_sel:BYTE_0 src1_sel:DWORD
	s_andn2_b64 s[4:5], s[4:5], exec
	s_and_b64 s[8:9], s[8:9], exec
	s_or_b64 s[4:5], s[4:5], s[8:9]
	s_or_b64 exec, exec, s[6:7]
	s_and_saveexec_b64 s[6:7], s[4:5]
	s_cbranch_execnz .LBB38_111
	s_branch .LBB38_112
.LBB38_2161:
	s_movk_i32 s4, 0x80
	v_cmp_eq_u16_e32 vcc, s4, v11
	s_mov_b64 s[4:5], -1
                                        ; implicit-def: $sgpr10
	s_and_saveexec_b64 s[8:9], vcc
; %bb.2162:
	s_mov_b32 s10, 0x7f800001
	s_xor_b64 s[4:5], exec, -1
; %bb.2163:
	s_or_b64 exec, exec, s[8:9]
	s_and_b64 s[4:5], s[4:5], exec
                                        ; implicit-def: $vgpr11
	s_or_saveexec_b64 s[6:7], s[6:7]
	v_mov_b32_e32 v10, s10
	s_xor_b64 exec, exec, s[6:7]
	s_cbranch_execz .LBB38_114
.LBB38_2164:
	v_cmp_ne_u16_e32 vcc, 0, v11
	s_andn2_b64 s[4:5], s[4:5], exec
	s_and_b64 s[8:9], vcc, exec
	v_mov_b32_e32 v10, 0
	s_or_b64 s[4:5], s[4:5], s[8:9]
	s_or_b64 exec, exec, s[6:7]
	s_and_saveexec_b64 s[6:7], s[4:5]
	s_cbranch_execnz .LBB38_115
	s_branch .LBB38_116
.LBB38_2165:
	s_movk_i32 s4, 0x80
	v_cmp_eq_u16_e32 vcc, s4, v11
	s_mov_b64 s[4:5], -1
                                        ; implicit-def: $sgpr10
	s_and_saveexec_b64 s[8:9], vcc
; %bb.2166:
	s_mov_b32 s10, 0x7f800001
	s_xor_b64 s[4:5], exec, -1
; %bb.2167:
	s_or_b64 exec, exec, s[8:9]
	s_and_b64 s[4:5], s[4:5], exec
                                        ; implicit-def: $vgpr11
	s_or_saveexec_b64 s[6:7], s[6:7]
	v_mov_b32_e32 v12, s10
	s_xor_b64 exec, exec, s[6:7]
	s_cbranch_execz .LBB38_118
.LBB38_2168:
	v_cmp_ne_u16_e32 vcc, 0, v11
	s_andn2_b64 s[4:5], s[4:5], exec
	s_and_b64 s[8:9], vcc, exec
	v_mov_b32_e32 v12, 0
	s_or_b64 s[4:5], s[4:5], s[8:9]
	s_or_b64 exec, exec, s[6:7]
	s_and_saveexec_b64 s[6:7], s[4:5]
	s_cbranch_execnz .LBB38_119
	s_branch .LBB38_120
.LBB38_2169:
	s_movk_i32 s4, 0x80
	v_cmp_eq_u16_sdwa s[12:13], v17, s4 src0_sel:BYTE_3 src1_sel:DWORD
	s_mov_b64 s[4:5], -1
                                        ; implicit-def: $sgpr10
	s_and_saveexec_b64 s[8:9], s[12:13]
; %bb.2170:
	s_mov_b32 s10, 0x7f800001
	s_xor_b64 s[4:5], exec, -1
; %bb.2171:
	s_or_b64 exec, exec, s[8:9]
	s_and_b64 s[4:5], s[4:5], exec
	s_or_saveexec_b64 s[6:7], s[6:7]
	v_mov_b32_e32 v10, s10
	s_xor_b64 exec, exec, s[6:7]
	s_cbranch_execz .LBB38_122
.LBB38_2172:
	v_mov_b32_e32 v10, 0
	v_cmp_ne_u16_sdwa s[8:9], v17, v10 src0_sel:BYTE_3 src1_sel:DWORD
	s_andn2_b64 s[4:5], s[4:5], exec
	s_and_b64 s[8:9], s[8:9], exec
	s_or_b64 s[4:5], s[4:5], s[8:9]
	s_or_b64 exec, exec, s[6:7]
	s_and_saveexec_b64 s[6:7], s[4:5]
	s_cbranch_execnz .LBB38_123
	s_branch .LBB38_124
.LBB38_2173:
	s_movk_i32 s4, 0x80
	v_cmp_eq_u16_sdwa s[12:13], v13, s4 src0_sel:BYTE_3 src1_sel:DWORD
	s_mov_b64 s[4:5], -1
                                        ; implicit-def: $sgpr10
	s_and_saveexec_b64 s[8:9], s[12:13]
; %bb.2174:
	s_mov_b32 s10, 0x7f800001
	s_xor_b64 s[4:5], exec, -1
; %bb.2175:
	s_or_b64 exec, exec, s[8:9]
	s_and_b64 s[4:5], s[4:5], exec
	s_or_saveexec_b64 s[6:7], s[6:7]
	v_mov_b32_e32 v11, s10
	s_xor_b64 exec, exec, s[6:7]
	s_cbranch_execz .LBB38_126
.LBB38_2176:
	v_mov_b32_e32 v11, 0
	v_cmp_ne_u16_sdwa s[8:9], v13, v11 src0_sel:BYTE_3 src1_sel:DWORD
	s_andn2_b64 s[4:5], s[4:5], exec
	s_and_b64 s[8:9], s[8:9], exec
	s_or_b64 s[4:5], s[4:5], s[8:9]
	s_or_b64 exec, exec, s[6:7]
	s_and_saveexec_b64 s[6:7], s[4:5]
	s_cbranch_execnz .LBB38_127
	s_branch .LBB38_128
.LBB38_2177:
	s_movk_i32 s4, 0x80
	v_cmp_eq_u16_sdwa s[12:13], v6, s4 src0_sel:BYTE_0 src1_sel:DWORD
	s_mov_b64 s[4:5], -1
                                        ; implicit-def: $sgpr10
	s_and_saveexec_b64 s[8:9], s[12:13]
; %bb.2178:
	s_mov_b32 s10, 0x7f800001
	s_xor_b64 s[4:5], exec, -1
; %bb.2179:
	s_or_b64 exec, exec, s[8:9]
	s_and_b64 s[4:5], s[4:5], exec
	s_or_saveexec_b64 s[6:7], s[6:7]
	v_mov_b32_e32 v10, s10
	s_xor_b64 exec, exec, s[6:7]
	s_cbranch_execz .LBB38_130
.LBB38_2180:
	v_mov_b32_e32 v10, 0
	v_cmp_ne_u16_sdwa s[8:9], v6, v10 src0_sel:BYTE_0 src1_sel:DWORD
	s_andn2_b64 s[4:5], s[4:5], exec
	s_and_b64 s[8:9], s[8:9], exec
	s_or_b64 s[4:5], s[4:5], s[8:9]
	s_or_b64 exec, exec, s[6:7]
	s_and_saveexec_b64 s[6:7], s[4:5]
	s_cbranch_execnz .LBB38_131
	s_branch .LBB38_132
.LBB38_2181:
	s_movk_i32 s4, 0x80
	v_cmp_eq_u16_sdwa s[12:13], v2, s4 src0_sel:BYTE_0 src1_sel:DWORD
	s_mov_b64 s[4:5], -1
                                        ; implicit-def: $sgpr10
	s_and_saveexec_b64 s[8:9], s[12:13]
; %bb.2182:
	s_mov_b32 s10, 0x7f800001
	s_xor_b64 s[4:5], exec, -1
; %bb.2183:
	s_or_b64 exec, exec, s[8:9]
	s_and_b64 s[4:5], s[4:5], exec
	s_or_saveexec_b64 s[6:7], s[6:7]
	v_mov_b32_e32 v11, s10
	s_xor_b64 exec, exec, s[6:7]
	s_cbranch_execz .LBB38_134
.LBB38_2184:
	v_mov_b32_e32 v11, 0
	v_cmp_ne_u16_sdwa s[8:9], v2, v11 src0_sel:BYTE_0 src1_sel:DWORD
	s_andn2_b64 s[4:5], s[4:5], exec
	s_and_b64 s[8:9], s[8:9], exec
	s_or_b64 s[4:5], s[4:5], s[8:9]
	s_or_b64 exec, exec, s[6:7]
	s_and_saveexec_b64 s[6:7], s[4:5]
	s_cbranch_execnz .LBB38_135
	s_branch .LBB38_136
.LBB38_2185:
	s_movk_i32 s4, 0x80
	v_cmp_eq_u16_sdwa s[12:13], v11, s4 src0_sel:BYTE_0 src1_sel:DWORD
	s_mov_b64 s[4:5], -1
                                        ; implicit-def: $sgpr10
	s_and_saveexec_b64 s[8:9], s[12:13]
; %bb.2186:
	s_mov_b32 s10, 0x7f800001
	s_xor_b64 s[4:5], exec, -1
; %bb.2187:
	s_or_b64 exec, exec, s[8:9]
	s_and_b64 s[4:5], s[4:5], exec
	s_or_saveexec_b64 s[6:7], s[6:7]
	v_mov_b32_e32 v10, s10
	s_xor_b64 exec, exec, s[6:7]
	s_cbranch_execz .LBB38_138
.LBB38_2188:
	v_mov_b32_e32 v10, 0
	v_cmp_ne_u16_sdwa s[8:9], v11, v10 src0_sel:BYTE_0 src1_sel:DWORD
	s_andn2_b64 s[4:5], s[4:5], exec
	s_and_b64 s[8:9], s[8:9], exec
	s_or_b64 s[4:5], s[4:5], s[8:9]
	s_or_b64 exec, exec, s[6:7]
	s_and_saveexec_b64 s[6:7], s[4:5]
	s_cbranch_execnz .LBB38_139
	s_branch .LBB38_140
.LBB38_2189:
	s_movk_i32 s4, 0x80
	v_cmp_eq_u16_sdwa s[12:13], v11, s4 src0_sel:BYTE_0 src1_sel:DWORD
	s_mov_b64 s[4:5], -1
                                        ; implicit-def: $sgpr10
	s_and_saveexec_b64 s[8:9], s[12:13]
; %bb.2190:
	s_mov_b32 s10, 0x7f800001
	s_xor_b64 s[4:5], exec, -1
; %bb.2191:
	s_or_b64 exec, exec, s[8:9]
	s_and_b64 s[4:5], s[4:5], exec
	s_or_saveexec_b64 s[6:7], s[6:7]
	v_mov_b32_e32 v12, s10
	s_xor_b64 exec, exec, s[6:7]
	s_cbranch_execz .LBB38_142
.LBB38_2192:
	v_mov_b32_e32 v12, 0
	v_cmp_ne_u16_sdwa s[8:9], v11, v12 src0_sel:BYTE_0 src1_sel:DWORD
	s_andn2_b64 s[4:5], s[4:5], exec
	s_and_b64 s[8:9], s[8:9], exec
	s_or_b64 s[4:5], s[4:5], s[8:9]
	s_or_b64 exec, exec, s[6:7]
	s_and_saveexec_b64 s[6:7], s[4:5]
	s_cbranch_execnz .LBB38_143
	s_branch .LBB38_144
.LBB38_2193:
	s_movk_i32 s4, 0x80
	v_cmp_eq_u16_e32 vcc, s4, v11
	s_mov_b64 s[4:5], -1
                                        ; implicit-def: $sgpr10
	s_and_saveexec_b64 s[8:9], vcc
; %bb.2194:
	s_mov_b32 s10, 0x7f800001
	s_xor_b64 s[4:5], exec, -1
; %bb.2195:
	s_or_b64 exec, exec, s[8:9]
	s_and_b64 s[4:5], s[4:5], exec
                                        ; implicit-def: $vgpr11
	s_or_saveexec_b64 s[6:7], s[6:7]
	v_mov_b32_e32 v10, s10
	s_xor_b64 exec, exec, s[6:7]
	s_cbranch_execz .LBB38_146
.LBB38_2196:
	v_cmp_ne_u16_e32 vcc, 0, v11
	s_andn2_b64 s[4:5], s[4:5], exec
	s_and_b64 s[8:9], vcc, exec
	v_mov_b32_e32 v10, 0
	s_or_b64 s[4:5], s[4:5], s[8:9]
	s_or_b64 exec, exec, s[6:7]
	s_and_saveexec_b64 s[6:7], s[4:5]
	s_cbranch_execnz .LBB38_147
	s_branch .LBB38_148
.LBB38_2197:
	s_movk_i32 s4, 0x80
	v_cmp_eq_u16_e32 vcc, s4, v11
	s_mov_b64 s[4:5], -1
                                        ; implicit-def: $sgpr10
	s_and_saveexec_b64 s[8:9], vcc
; %bb.2198:
	s_mov_b32 s10, 0x7f800001
	s_xor_b64 s[4:5], exec, -1
; %bb.2199:
	s_or_b64 exec, exec, s[8:9]
	s_and_b64 s[4:5], s[4:5], exec
                                        ; implicit-def: $vgpr11
	s_or_saveexec_b64 s[6:7], s[6:7]
	v_mov_b32_e32 v12, s10
	s_xor_b64 exec, exec, s[6:7]
	s_cbranch_execz .LBB38_150
.LBB38_2200:
	v_cmp_ne_u16_e32 vcc, 0, v11
	s_andn2_b64 s[4:5], s[4:5], exec
	s_and_b64 s[8:9], vcc, exec
	v_mov_b32_e32 v12, 0
	s_or_b64 s[4:5], s[4:5], s[8:9]
	s_or_b64 exec, exec, s[6:7]
	s_and_saveexec_b64 s[6:7], s[4:5]
	s_cbranch_execnz .LBB38_151
	s_branch .LBB38_152
.LBB38_2201:
	s_movk_i32 s4, 0x80
	v_cmp_eq_u16_sdwa s[12:13], v6, s4 src0_sel:BYTE_3 src1_sel:DWORD
	s_mov_b64 s[4:5], -1
                                        ; implicit-def: $sgpr10
	s_and_saveexec_b64 s[8:9], s[12:13]
; %bb.2202:
	s_mov_b32 s10, 0x7f800001
	s_xor_b64 s[4:5], exec, -1
; %bb.2203:
	s_or_b64 exec, exec, s[8:9]
	s_and_b64 s[4:5], s[4:5], exec
	s_or_saveexec_b64 s[6:7], s[6:7]
	v_mov_b32_e32 v10, s10
	s_xor_b64 exec, exec, s[6:7]
	s_cbranch_execz .LBB38_154
.LBB38_2204:
	v_mov_b32_e32 v10, 0
	v_cmp_ne_u16_sdwa s[8:9], v6, v10 src0_sel:BYTE_3 src1_sel:DWORD
	s_andn2_b64 s[4:5], s[4:5], exec
	s_and_b64 s[8:9], s[8:9], exec
	s_or_b64 s[4:5], s[4:5], s[8:9]
	s_or_b64 exec, exec, s[6:7]
	s_and_saveexec_b64 s[6:7], s[4:5]
	s_cbranch_execnz .LBB38_155
	s_branch .LBB38_156
.LBB38_2205:
	s_movk_i32 s4, 0x80
	v_cmp_eq_u16_sdwa s[12:13], v2, s4 src0_sel:BYTE_3 src1_sel:DWORD
	s_mov_b64 s[4:5], -1
                                        ; implicit-def: $sgpr10
	s_and_saveexec_b64 s[8:9], s[12:13]
; %bb.2206:
	s_mov_b32 s10, 0x7f800001
	s_xor_b64 s[4:5], exec, -1
; %bb.2207:
	s_or_b64 exec, exec, s[8:9]
	s_and_b64 s[4:5], s[4:5], exec
	s_or_saveexec_b64 s[6:7], s[6:7]
	v_mov_b32_e32 v6, s10
	s_xor_b64 exec, exec, s[6:7]
	s_cbranch_execz .LBB38_158
.LBB38_2208:
	v_mov_b32_e32 v6, 0
	v_cmp_ne_u16_sdwa s[8:9], v2, v6 src0_sel:BYTE_3 src1_sel:DWORD
	s_andn2_b64 s[4:5], s[4:5], exec
	s_and_b64 s[8:9], s[8:9], exec
	s_or_b64 s[4:5], s[4:5], s[8:9]
	s_or_b64 exec, exec, s[6:7]
	s_and_saveexec_b64 s[6:7], s[4:5]
	s_cbranch_execnz .LBB38_159
	s_branch .LBB38_160
.LBB38_2209:
	s_movk_i32 s4, 0x80
	v_cmp_eq_u16_sdwa s[12:13], v7, s4 src0_sel:BYTE_0 src1_sel:DWORD
	s_mov_b64 s[4:5], -1
                                        ; implicit-def: $sgpr10
	s_and_saveexec_b64 s[8:9], s[12:13]
; %bb.2210:
	s_mov_b32 s10, 0x7f800001
	s_xor_b64 s[4:5], exec, -1
; %bb.2211:
	s_or_b64 exec, exec, s[8:9]
	s_and_b64 s[4:5], s[4:5], exec
	s_or_saveexec_b64 s[6:7], s[6:7]
	v_mov_b32_e32 v2, s10
	s_xor_b64 exec, exec, s[6:7]
	s_cbranch_execz .LBB38_162
.LBB38_2212:
	v_mov_b32_e32 v2, 0
	v_cmp_ne_u16_sdwa s[8:9], v7, v2 src0_sel:BYTE_0 src1_sel:DWORD
	s_andn2_b64 s[4:5], s[4:5], exec
	s_and_b64 s[8:9], s[8:9], exec
	s_or_b64 s[4:5], s[4:5], s[8:9]
	s_or_b64 exec, exec, s[6:7]
	s_and_saveexec_b64 s[6:7], s[4:5]
	s_cbranch_execnz .LBB38_163
	s_branch .LBB38_164
.LBB38_2213:
	s_movk_i32 s4, 0x80
	v_cmp_eq_u16_sdwa s[12:13], v3, s4 src0_sel:BYTE_0 src1_sel:DWORD
	s_mov_b64 s[4:5], -1
                                        ; implicit-def: $sgpr10
	s_and_saveexec_b64 s[8:9], s[12:13]
; %bb.2214:
	s_mov_b32 s10, 0x7f800001
	s_xor_b64 s[4:5], exec, -1
; %bb.2215:
	s_or_b64 exec, exec, s[8:9]
	s_and_b64 s[4:5], s[4:5], exec
	s_or_saveexec_b64 s[6:7], s[6:7]
	v_mov_b32_e32 v6, s10
	s_xor_b64 exec, exec, s[6:7]
	s_cbranch_execz .LBB38_166
.LBB38_2216:
	v_mov_b32_e32 v6, 0
	v_cmp_ne_u16_sdwa s[8:9], v3, v6 src0_sel:BYTE_0 src1_sel:DWORD
	s_andn2_b64 s[4:5], s[4:5], exec
	s_and_b64 s[8:9], s[8:9], exec
	s_or_b64 s[4:5], s[4:5], s[8:9]
	s_or_b64 exec, exec, s[6:7]
	s_and_saveexec_b64 s[6:7], s[4:5]
	s_cbranch_execnz .LBB38_167
	s_branch .LBB38_168
.LBB38_2217:
	s_movk_i32 s4, 0x80
	v_cmp_eq_u16_sdwa s[12:13], v6, s4 src0_sel:BYTE_0 src1_sel:DWORD
	s_mov_b64 s[4:5], -1
                                        ; implicit-def: $sgpr10
	s_and_saveexec_b64 s[8:9], s[12:13]
; %bb.2218:
	s_mov_b32 s10, 0x7f800001
	s_xor_b64 s[4:5], exec, -1
; %bb.2219:
	s_or_b64 exec, exec, s[8:9]
	s_and_b64 s[4:5], s[4:5], exec
	s_or_saveexec_b64 s[6:7], s[6:7]
	v_mov_b32_e32 v2, s10
	s_xor_b64 exec, exec, s[6:7]
	s_cbranch_execz .LBB38_170
.LBB38_2220:
	v_mov_b32_e32 v2, 0
	v_cmp_ne_u16_sdwa s[8:9], v6, v2 src0_sel:BYTE_0 src1_sel:DWORD
	s_andn2_b64 s[4:5], s[4:5], exec
	s_and_b64 s[8:9], s[8:9], exec
	s_or_b64 s[4:5], s[4:5], s[8:9]
	s_or_b64 exec, exec, s[6:7]
	s_and_saveexec_b64 s[6:7], s[4:5]
	s_cbranch_execnz .LBB38_171
	s_branch .LBB38_172
.LBB38_2221:
	s_movk_i32 s4, 0x80
	v_cmp_eq_u16_sdwa s[12:13], v6, s4 src0_sel:BYTE_0 src1_sel:DWORD
	s_mov_b64 s[4:5], -1
                                        ; implicit-def: $sgpr10
	s_and_saveexec_b64 s[8:9], s[12:13]
; %bb.2222:
	s_mov_b32 s10, 0x7f800001
	s_xor_b64 s[4:5], exec, -1
; %bb.2223:
	s_or_b64 exec, exec, s[8:9]
	s_and_b64 s[4:5], s[4:5], exec
	s_or_saveexec_b64 s[6:7], s[6:7]
	v_mov_b32_e32 v10, s10
	s_xor_b64 exec, exec, s[6:7]
	s_cbranch_execz .LBB38_174
.LBB38_2224:
	v_mov_b32_e32 v10, 0
	v_cmp_ne_u16_sdwa s[8:9], v6, v10 src0_sel:BYTE_0 src1_sel:DWORD
	s_andn2_b64 s[4:5], s[4:5], exec
	s_and_b64 s[8:9], s[8:9], exec
	s_or_b64 s[4:5], s[4:5], s[8:9]
	s_or_b64 exec, exec, s[6:7]
	s_and_saveexec_b64 s[6:7], s[4:5]
	s_cbranch_execnz .LBB38_175
	s_branch .LBB38_176
.LBB38_2225:
	s_movk_i32 s4, 0x80
	v_cmp_eq_u16_e32 vcc, s4, v6
	s_mov_b64 s[4:5], -1
                                        ; implicit-def: $sgpr10
	s_and_saveexec_b64 s[8:9], vcc
; %bb.2226:
	s_mov_b32 s10, 0x7f800001
	s_xor_b64 s[4:5], exec, -1
; %bb.2227:
	s_or_b64 exec, exec, s[8:9]
	s_and_b64 s[4:5], s[4:5], exec
                                        ; implicit-def: $vgpr6
	s_or_saveexec_b64 s[6:7], s[6:7]
	v_mov_b32_e32 v2, s10
	s_xor_b64 exec, exec, s[6:7]
	s_cbranch_execz .LBB38_178
.LBB38_2228:
	v_cmp_ne_u16_e32 vcc, 0, v6
	s_andn2_b64 s[4:5], s[4:5], exec
	s_and_b64 s[8:9], vcc, exec
	v_mov_b32_e32 v2, 0
	s_or_b64 s[4:5], s[4:5], s[8:9]
	s_or_b64 exec, exec, s[6:7]
	s_and_saveexec_b64 s[6:7], s[4:5]
	s_cbranch_execnz .LBB38_179
	s_branch .LBB38_180
.LBB38_2229:
	s_movk_i32 s4, 0x80
	v_cmp_eq_u16_e32 vcc, s4, v6
	s_mov_b64 s[4:5], -1
                                        ; implicit-def: $sgpr10
	s_and_saveexec_b64 s[8:9], vcc
; %bb.2230:
	s_mov_b32 s10, 0x7f800001
	s_xor_b64 s[4:5], exec, -1
; %bb.2231:
	s_or_b64 exec, exec, s[8:9]
	s_and_b64 s[4:5], s[4:5], exec
                                        ; implicit-def: $vgpr6
	s_or_saveexec_b64 s[6:7], s[6:7]
	v_mov_b32_e32 v10, s10
	s_xor_b64 exec, exec, s[6:7]
	s_cbranch_execz .LBB38_182
.LBB38_2232:
	v_cmp_ne_u16_e32 vcc, 0, v6
	s_andn2_b64 s[4:5], s[4:5], exec
	s_and_b64 s[8:9], vcc, exec
	v_mov_b32_e32 v10, 0
	s_or_b64 s[4:5], s[4:5], s[8:9]
	s_or_b64 exec, exec, s[6:7]
	s_and_saveexec_b64 s[6:7], s[4:5]
	s_cbranch_execnz .LBB38_183
	s_branch .LBB38_184
.LBB38_2233:
	s_movk_i32 s4, 0x80
	v_cmp_eq_u16_sdwa s[12:13], v7, s4 src0_sel:BYTE_3 src1_sel:DWORD
	s_mov_b64 s[4:5], -1
                                        ; implicit-def: $sgpr10
	s_and_saveexec_b64 s[8:9], s[12:13]
; %bb.2234:
	s_mov_b32 s10, 0x7f800001
	s_xor_b64 s[4:5], exec, -1
; %bb.2235:
	s_or_b64 exec, exec, s[8:9]
	s_and_b64 s[4:5], s[4:5], exec
	s_or_saveexec_b64 s[6:7], s[6:7]
	v_mov_b32_e32 v2, s10
	s_xor_b64 exec, exec, s[6:7]
	s_cbranch_execz .LBB38_186
.LBB38_2236:
	v_mov_b32_e32 v2, 0
	v_cmp_ne_u16_sdwa s[8:9], v7, v2 src0_sel:BYTE_3 src1_sel:DWORD
	s_andn2_b64 s[4:5], s[4:5], exec
	s_and_b64 s[8:9], s[8:9], exec
	s_or_b64 s[4:5], s[4:5], s[8:9]
	s_or_b64 exec, exec, s[6:7]
	s_and_saveexec_b64 s[6:7], s[4:5]
	s_cbranch_execnz .LBB38_187
	s_branch .LBB38_188
.LBB38_2237:
	s_movk_i32 s4, 0x80
	v_cmp_eq_u16_sdwa s[12:13], v3, s4 src0_sel:BYTE_3 src1_sel:DWORD
	s_mov_b64 s[4:5], -1
                                        ; implicit-def: $sgpr10
	s_and_saveexec_b64 s[8:9], s[12:13]
; %bb.2238:
	s_mov_b32 s10, 0x7f800001
	s_xor_b64 s[4:5], exec, -1
; %bb.2239:
	s_or_b64 exec, exec, s[8:9]
	s_and_b64 s[4:5], s[4:5], exec
	s_or_saveexec_b64 s[6:7], s[6:7]
	v_mov_b32_e32 v6, s10
	s_xor_b64 exec, exec, s[6:7]
	s_cbranch_execz .LBB38_190
.LBB38_2240:
	v_mov_b32_e32 v6, 0
	v_cmp_ne_u16_sdwa s[8:9], v3, v6 src0_sel:BYTE_3 src1_sel:DWORD
	s_andn2_b64 s[4:5], s[4:5], exec
	s_and_b64 s[8:9], s[8:9], exec
	s_or_b64 s[4:5], s[4:5], s[8:9]
	s_or_b64 exec, exec, s[6:7]
	s_and_saveexec_b64 s[6:7], s[4:5]
	s_cbranch_execnz .LBB38_191
	s_branch .LBB38_192
.LBB38_2241:
	s_movk_i32 s4, 0x80
	v_cmp_eq_u16_sdwa s[12:13], v8, s4 src0_sel:BYTE_0 src1_sel:DWORD
	s_mov_b64 s[4:5], -1
                                        ; implicit-def: $sgpr10
	s_and_saveexec_b64 s[8:9], s[12:13]
; %bb.2242:
	s_mov_b32 s10, 0x7f800001
	s_xor_b64 s[4:5], exec, -1
; %bb.2243:
	s_or_b64 exec, exec, s[8:9]
	s_and_b64 s[4:5], s[4:5], exec
	s_or_saveexec_b64 s[6:7], s[6:7]
	v_mov_b32_e32 v2, s10
	s_xor_b64 exec, exec, s[6:7]
	s_cbranch_execz .LBB38_194
.LBB38_2244:
	v_mov_b32_e32 v2, 0
	v_cmp_ne_u16_sdwa s[8:9], v8, v2 src0_sel:BYTE_0 src1_sel:DWORD
	s_andn2_b64 s[4:5], s[4:5], exec
	s_and_b64 s[8:9], s[8:9], exec
	s_or_b64 s[4:5], s[4:5], s[8:9]
	s_or_b64 exec, exec, s[6:7]
	s_and_saveexec_b64 s[6:7], s[4:5]
	s_cbranch_execnz .LBB38_195
	s_branch .LBB38_196
.LBB38_2245:
	s_movk_i32 s4, 0x80
	v_cmp_eq_u16_sdwa s[12:13], v4, s4 src0_sel:BYTE_0 src1_sel:DWORD
	s_mov_b64 s[4:5], -1
                                        ; implicit-def: $sgpr10
	s_and_saveexec_b64 s[8:9], s[12:13]
; %bb.2246:
	s_mov_b32 s10, 0x7f800001
	s_xor_b64 s[4:5], exec, -1
; %bb.2247:
	s_or_b64 exec, exec, s[8:9]
	s_and_b64 s[4:5], s[4:5], exec
	s_or_saveexec_b64 s[6:7], s[6:7]
	v_mov_b32_e32 v3, s10
	s_xor_b64 exec, exec, s[6:7]
	s_cbranch_execz .LBB38_198
.LBB38_2248:
	v_mov_b32_e32 v3, 0
	v_cmp_ne_u16_sdwa s[8:9], v4, v3 src0_sel:BYTE_0 src1_sel:DWORD
	s_andn2_b64 s[4:5], s[4:5], exec
	s_and_b64 s[8:9], s[8:9], exec
	s_or_b64 s[4:5], s[4:5], s[8:9]
	s_or_b64 exec, exec, s[6:7]
	s_and_saveexec_b64 s[6:7], s[4:5]
	s_cbranch_execnz .LBB38_199
	s_branch .LBB38_200
.LBB38_2249:
	s_movk_i32 s4, 0x80
	v_cmp_eq_u16_sdwa s[12:13], v3, s4 src0_sel:BYTE_0 src1_sel:DWORD
	s_mov_b64 s[4:5], -1
                                        ; implicit-def: $sgpr10
	s_and_saveexec_b64 s[8:9], s[12:13]
; %bb.2250:
	s_mov_b32 s10, 0x7f800001
	s_xor_b64 s[4:5], exec, -1
; %bb.2251:
	s_or_b64 exec, exec, s[8:9]
	s_and_b64 s[4:5], s[4:5], exec
	s_or_saveexec_b64 s[6:7], s[6:7]
	v_mov_b32_e32 v2, s10
	s_xor_b64 exec, exec, s[6:7]
	s_cbranch_execz .LBB38_202
.LBB38_2252:
	v_mov_b32_e32 v2, 0
	v_cmp_ne_u16_sdwa s[8:9], v3, v2 src0_sel:BYTE_0 src1_sel:DWORD
	s_andn2_b64 s[4:5], s[4:5], exec
	s_and_b64 s[8:9], s[8:9], exec
	s_or_b64 s[4:5], s[4:5], s[8:9]
	s_or_b64 exec, exec, s[6:7]
	s_and_saveexec_b64 s[6:7], s[4:5]
	s_cbranch_execnz .LBB38_203
	s_branch .LBB38_204
.LBB38_2253:
	s_movk_i32 s4, 0x80
	v_cmp_eq_u16_sdwa s[12:13], v3, s4 src0_sel:BYTE_0 src1_sel:DWORD
	s_mov_b64 s[4:5], -1
                                        ; implicit-def: $sgpr10
	s_and_saveexec_b64 s[8:9], s[12:13]
; %bb.2254:
	s_mov_b32 s10, 0x7f800001
	s_xor_b64 s[4:5], exec, -1
; %bb.2255:
	s_or_b64 exec, exec, s[8:9]
	s_and_b64 s[4:5], s[4:5], exec
	s_or_saveexec_b64 s[6:7], s[6:7]
	v_mov_b32_e32 v6, s10
	s_xor_b64 exec, exec, s[6:7]
	s_cbranch_execz .LBB38_206
.LBB38_2256:
	v_mov_b32_e32 v6, 0
	v_cmp_ne_u16_sdwa s[8:9], v3, v6 src0_sel:BYTE_0 src1_sel:DWORD
	s_andn2_b64 s[4:5], s[4:5], exec
	s_and_b64 s[8:9], s[8:9], exec
	s_or_b64 s[4:5], s[4:5], s[8:9]
	s_or_b64 exec, exec, s[6:7]
	s_and_saveexec_b64 s[6:7], s[4:5]
	s_cbranch_execnz .LBB38_207
	s_branch .LBB38_208
.LBB38_2257:
	s_movk_i32 s4, 0x80
	v_cmp_eq_u16_e32 vcc, s4, v3
	s_mov_b64 s[4:5], -1
                                        ; implicit-def: $sgpr10
	s_and_saveexec_b64 s[8:9], vcc
; %bb.2258:
	s_mov_b32 s10, 0x7f800001
	s_xor_b64 s[4:5], exec, -1
; %bb.2259:
	s_or_b64 exec, exec, s[8:9]
	s_and_b64 s[4:5], s[4:5], exec
                                        ; implicit-def: $vgpr3
	s_or_saveexec_b64 s[6:7], s[6:7]
	v_mov_b32_e32 v2, s10
	s_xor_b64 exec, exec, s[6:7]
	s_cbranch_execz .LBB38_210
.LBB38_2260:
	v_cmp_ne_u16_e32 vcc, 0, v3
	s_andn2_b64 s[4:5], s[4:5], exec
	s_and_b64 s[8:9], vcc, exec
	v_mov_b32_e32 v2, 0
	s_or_b64 s[4:5], s[4:5], s[8:9]
	s_or_b64 exec, exec, s[6:7]
	s_and_saveexec_b64 s[6:7], s[4:5]
	s_cbranch_execnz .LBB38_211
	s_branch .LBB38_212
.LBB38_2261:
	s_movk_i32 s4, 0x80
	v_cmp_eq_u16_e32 vcc, s4, v3
	s_mov_b64 s[4:5], -1
                                        ; implicit-def: $sgpr10
	s_and_saveexec_b64 s[8:9], vcc
; %bb.2262:
	s_mov_b32 s10, 0x7f800001
	s_xor_b64 s[4:5], exec, -1
; %bb.2263:
	s_or_b64 exec, exec, s[8:9]
	s_and_b64 s[4:5], s[4:5], exec
                                        ; implicit-def: $vgpr3
	s_or_saveexec_b64 s[6:7], s[6:7]
	v_mov_b32_e32 v6, s10
	s_xor_b64 exec, exec, s[6:7]
	s_cbranch_execz .LBB38_214
.LBB38_2264:
	v_cmp_ne_u16_e32 vcc, 0, v3
	s_andn2_b64 s[4:5], s[4:5], exec
	s_and_b64 s[8:9], vcc, exec
	v_mov_b32_e32 v6, 0
	s_or_b64 s[4:5], s[4:5], s[8:9]
	s_or_b64 exec, exec, s[6:7]
	s_and_saveexec_b64 s[6:7], s[4:5]
	s_cbranch_execnz .LBB38_215
	s_branch .LBB38_216
.LBB38_2265:
	s_movk_i32 s4, 0x80
	v_cmp_eq_u16_sdwa s[12:13], v8, s4 src0_sel:BYTE_3 src1_sel:DWORD
	s_mov_b64 s[4:5], -1
                                        ; implicit-def: $sgpr10
	s_and_saveexec_b64 s[8:9], s[12:13]
; %bb.2266:
	s_mov_b32 s10, 0x7f800001
	s_xor_b64 s[4:5], exec, -1
; %bb.2267:
	s_or_b64 exec, exec, s[8:9]
	s_and_b64 s[4:5], s[4:5], exec
	s_or_saveexec_b64 s[6:7], s[6:7]
	v_mov_b32_e32 v2, s10
	s_xor_b64 exec, exec, s[6:7]
	s_cbranch_execz .LBB38_218
.LBB38_2268:
	v_mov_b32_e32 v2, 0
	v_cmp_ne_u16_sdwa s[8:9], v8, v2 src0_sel:BYTE_3 src1_sel:DWORD
	s_andn2_b64 s[4:5], s[4:5], exec
	s_and_b64 s[8:9], s[8:9], exec
	s_or_b64 s[4:5], s[4:5], s[8:9]
	s_or_b64 exec, exec, s[6:7]
	s_and_saveexec_b64 s[6:7], s[4:5]
	s_cbranch_execnz .LBB38_219
	s_branch .LBB38_220
.LBB38_2269:
	s_movk_i32 s4, 0x80
	v_cmp_eq_u16_sdwa s[12:13], v4, s4 src0_sel:BYTE_3 src1_sel:DWORD
	s_mov_b64 s[4:5], -1
                                        ; implicit-def: $sgpr10
	s_and_saveexec_b64 s[8:9], s[12:13]
; %bb.2270:
	s_mov_b32 s10, 0x7f800001
	s_xor_b64 s[4:5], exec, -1
; %bb.2271:
	s_or_b64 exec, exec, s[8:9]
	s_and_b64 s[4:5], s[4:5], exec
	s_or_saveexec_b64 s[6:7], s[6:7]
	v_mov_b32_e32 v3, s10
	s_xor_b64 exec, exec, s[6:7]
	s_cbranch_execz .LBB38_222
.LBB38_2272:
	v_mov_b32_e32 v3, 0
	v_cmp_ne_u16_sdwa s[8:9], v4, v3 src0_sel:BYTE_3 src1_sel:DWORD
	s_andn2_b64 s[4:5], s[4:5], exec
	s_and_b64 s[8:9], s[8:9], exec
	s_or_b64 s[4:5], s[4:5], s[8:9]
	s_or_b64 exec, exec, s[6:7]
	s_and_saveexec_b64 s[6:7], s[4:5]
	s_cbranch_execnz .LBB38_223
	s_branch .LBB38_224
.LBB38_2273:
	s_movk_i32 s4, 0x80
	v_cmp_eq_u16_sdwa s[12:13], v9, s4 src0_sel:BYTE_0 src1_sel:DWORD
	s_mov_b64 s[4:5], -1
                                        ; implicit-def: $sgpr10
	s_and_saveexec_b64 s[8:9], s[12:13]
; %bb.2274:
	s_mov_b32 s10, 0x7f800001
	s_xor_b64 s[4:5], exec, -1
; %bb.2275:
	s_or_b64 exec, exec, s[8:9]
	s_and_b64 s[4:5], s[4:5], exec
	s_or_saveexec_b64 s[6:7], s[6:7]
	v_mov_b32_e32 v2, s10
	s_xor_b64 exec, exec, s[6:7]
	s_cbranch_execz .LBB38_226
.LBB38_2276:
	v_mov_b32_e32 v2, 0
	v_cmp_ne_u16_sdwa s[8:9], v9, v2 src0_sel:BYTE_0 src1_sel:DWORD
	s_andn2_b64 s[4:5], s[4:5], exec
	s_and_b64 s[8:9], s[8:9], exec
	s_or_b64 s[4:5], s[4:5], s[8:9]
	s_or_b64 exec, exec, s[6:7]
	s_and_saveexec_b64 s[6:7], s[4:5]
	s_cbranch_execnz .LBB38_227
	s_branch .LBB38_228
.LBB38_2277:
	s_movk_i32 s4, 0x80
	v_cmp_eq_u16_sdwa s[12:13], v5, s4 src0_sel:BYTE_0 src1_sel:DWORD
	s_mov_b64 s[4:5], -1
                                        ; implicit-def: $sgpr10
	s_and_saveexec_b64 s[8:9], s[12:13]
; %bb.2278:
	s_mov_b32 s10, 0x7f800001
	s_xor_b64 s[4:5], exec, -1
; %bb.2279:
	s_or_b64 exec, exec, s[8:9]
	s_and_b64 s[4:5], s[4:5], exec
	s_or_saveexec_b64 s[6:7], s[6:7]
	v_mov_b32_e32 v3, s10
	s_xor_b64 exec, exec, s[6:7]
	s_cbranch_execz .LBB38_230
.LBB38_2280:
	v_mov_b32_e32 v3, 0
	v_cmp_ne_u16_sdwa s[8:9], v5, v3 src0_sel:BYTE_0 src1_sel:DWORD
	s_andn2_b64 s[4:5], s[4:5], exec
	s_and_b64 s[8:9], s[8:9], exec
	s_or_b64 s[4:5], s[4:5], s[8:9]
	s_or_b64 exec, exec, s[6:7]
	s_and_saveexec_b64 s[6:7], s[4:5]
	s_cbranch_execnz .LBB38_231
	s_branch .LBB38_232
.LBB38_2281:
	s_movk_i32 s4, 0x80
	v_cmp_eq_u16_sdwa s[12:13], v3, s4 src0_sel:BYTE_0 src1_sel:DWORD
	s_mov_b64 s[4:5], -1
                                        ; implicit-def: $sgpr10
	s_and_saveexec_b64 s[8:9], s[12:13]
; %bb.2282:
	s_mov_b32 s10, 0x7f800001
	s_xor_b64 s[4:5], exec, -1
; %bb.2283:
	s_or_b64 exec, exec, s[8:9]
	s_and_b64 s[4:5], s[4:5], exec
	s_or_saveexec_b64 s[6:7], s[6:7]
	v_mov_b32_e32 v2, s10
	s_xor_b64 exec, exec, s[6:7]
	s_cbranch_execz .LBB38_234
.LBB38_2284:
	v_mov_b32_e32 v2, 0
	v_cmp_ne_u16_sdwa s[8:9], v3, v2 src0_sel:BYTE_0 src1_sel:DWORD
	s_andn2_b64 s[4:5], s[4:5], exec
	s_and_b64 s[8:9], s[8:9], exec
	s_or_b64 s[4:5], s[4:5], s[8:9]
	s_or_b64 exec, exec, s[6:7]
	s_and_saveexec_b64 s[6:7], s[4:5]
	s_cbranch_execnz .LBB38_235
	s_branch .LBB38_236
.LBB38_2285:
	s_movk_i32 s4, 0x80
	v_cmp_eq_u16_sdwa s[12:13], v3, s4 src0_sel:BYTE_0 src1_sel:DWORD
	s_mov_b64 s[4:5], -1
                                        ; implicit-def: $sgpr10
	s_and_saveexec_b64 s[8:9], s[12:13]
; %bb.2286:
	s_mov_b32 s10, 0x7f800001
	s_xor_b64 s[4:5], exec, -1
; %bb.2287:
	s_or_b64 exec, exec, s[8:9]
	s_and_b64 s[4:5], s[4:5], exec
	s_or_saveexec_b64 s[6:7], s[6:7]
	v_mov_b32_e32 v4, s10
	s_xor_b64 exec, exec, s[6:7]
	s_cbranch_execz .LBB38_238
.LBB38_2288:
	v_mov_b32_e32 v4, 0
	v_cmp_ne_u16_sdwa s[8:9], v3, v4 src0_sel:BYTE_0 src1_sel:DWORD
	s_andn2_b64 s[4:5], s[4:5], exec
	s_and_b64 s[8:9], s[8:9], exec
	s_or_b64 s[4:5], s[4:5], s[8:9]
	s_or_b64 exec, exec, s[6:7]
	s_and_saveexec_b64 s[6:7], s[4:5]
	s_cbranch_execnz .LBB38_239
	s_branch .LBB38_240
.LBB38_2289:
	s_movk_i32 s4, 0x80
	v_cmp_eq_u16_e32 vcc, s4, v3
	s_mov_b64 s[4:5], -1
                                        ; implicit-def: $sgpr10
	s_and_saveexec_b64 s[8:9], vcc
; %bb.2290:
	s_mov_b32 s10, 0x7f800001
	s_xor_b64 s[4:5], exec, -1
; %bb.2291:
	s_or_b64 exec, exec, s[8:9]
	s_and_b64 s[4:5], s[4:5], exec
                                        ; implicit-def: $vgpr3
	s_or_saveexec_b64 s[6:7], s[6:7]
	v_mov_b32_e32 v2, s10
	s_xor_b64 exec, exec, s[6:7]
	s_cbranch_execz .LBB38_242
.LBB38_2292:
	v_cmp_ne_u16_e32 vcc, 0, v3
	s_andn2_b64 s[4:5], s[4:5], exec
	s_and_b64 s[8:9], vcc, exec
	v_mov_b32_e32 v2, 0
	s_or_b64 s[4:5], s[4:5], s[8:9]
	s_or_b64 exec, exec, s[6:7]
	s_and_saveexec_b64 s[6:7], s[4:5]
	s_cbranch_execnz .LBB38_243
	s_branch .LBB38_244
.LBB38_2293:
	s_movk_i32 s4, 0x80
	v_cmp_eq_u16_e32 vcc, s4, v3
	s_mov_b64 s[4:5], -1
                                        ; implicit-def: $sgpr10
	s_and_saveexec_b64 s[8:9], vcc
; %bb.2294:
	s_mov_b32 s10, 0x7f800001
	s_xor_b64 s[4:5], exec, -1
; %bb.2295:
	s_or_b64 exec, exec, s[8:9]
	s_and_b64 s[4:5], s[4:5], exec
                                        ; implicit-def: $vgpr3
	s_or_saveexec_b64 s[6:7], s[6:7]
	v_mov_b32_e32 v4, s10
	s_xor_b64 exec, exec, s[6:7]
	s_cbranch_execz .LBB38_246
.LBB38_2296:
	v_cmp_ne_u16_e32 vcc, 0, v3
	s_andn2_b64 s[4:5], s[4:5], exec
	s_and_b64 s[8:9], vcc, exec
	v_mov_b32_e32 v4, 0
	s_or_b64 s[4:5], s[4:5], s[8:9]
	s_or_b64 exec, exec, s[6:7]
	s_and_saveexec_b64 s[6:7], s[4:5]
	s_cbranch_execnz .LBB38_247
	s_branch .LBB38_248
.LBB38_2297:
	s_movk_i32 s4, 0x80
	v_cmp_eq_u16_sdwa s[12:13], v9, s4 src0_sel:BYTE_3 src1_sel:DWORD
	s_mov_b64 s[4:5], -1
                                        ; implicit-def: $sgpr10
	s_and_saveexec_b64 s[8:9], s[12:13]
; %bb.2298:
	s_mov_b32 s10, 0x7f800001
	s_xor_b64 s[4:5], exec, -1
; %bb.2299:
	s_or_b64 exec, exec, s[8:9]
	s_and_b64 s[4:5], s[4:5], exec
	s_or_saveexec_b64 s[6:7], s[6:7]
	v_mov_b32_e32 v2, s10
	s_xor_b64 exec, exec, s[6:7]
	s_cbranch_execz .LBB38_250
.LBB38_2300:
	v_mov_b32_e32 v2, 0
	v_cmp_ne_u16_sdwa s[8:9], v9, v2 src0_sel:BYTE_3 src1_sel:DWORD
	s_andn2_b64 s[4:5], s[4:5], exec
	s_and_b64 s[8:9], s[8:9], exec
	s_or_b64 s[4:5], s[4:5], s[8:9]
	s_or_b64 exec, exec, s[6:7]
	s_and_saveexec_b64 s[6:7], s[4:5]
	s_cbranch_execnz .LBB38_251
	s_branch .LBB38_252
.LBB38_2301:
	s_movk_i32 s4, 0x80
	v_cmp_eq_u16_sdwa s[12:13], v5, s4 src0_sel:BYTE_3 src1_sel:DWORD
	s_mov_b64 s[4:5], -1
                                        ; implicit-def: $sgpr10
	s_and_saveexec_b64 s[8:9], s[12:13]
; %bb.2302:
	s_mov_b32 s10, 0x7f800001
	s_xor_b64 s[4:5], exec, -1
; %bb.2303:
	s_or_b64 exec, exec, s[8:9]
	s_and_b64 s[4:5], s[4:5], exec
	s_or_saveexec_b64 s[6:7], s[6:7]
	v_mov_b32_e32 v3, s10
	s_xor_b64 exec, exec, s[6:7]
	s_cbranch_execz .LBB38_254
.LBB38_2304:
	v_mov_b32_e32 v3, 0
	v_cmp_ne_u16_sdwa s[8:9], v5, v3 src0_sel:BYTE_3 src1_sel:DWORD
	s_andn2_b64 s[4:5], s[4:5], exec
	s_and_b64 s[8:9], s[8:9], exec
	s_or_b64 s[4:5], s[4:5], s[8:9]
	s_or_b64 exec, exec, s[6:7]
	s_and_saveexec_b64 s[6:7], s[4:5]
	s_cbranch_execnz .LBB38_255
	s_branch .LBB38_256
.LBB38_2305:
	s_movk_i32 s4, 0x80
	v_cmp_eq_u16_sdwa s[12:13], v14, s4 src0_sel:BYTE_0 src1_sel:DWORD
	s_mov_b64 s[4:5], -1
                                        ; implicit-def: $sgpr10
	s_and_saveexec_b64 s[8:9], s[12:13]
; %bb.2306:
	s_mov_b32 s10, 0x7f800001
	s_xor_b64 s[4:5], exec, -1
; %bb.2307:
	s_or_b64 exec, exec, s[8:9]
	s_and_b64 s[4:5], s[4:5], exec
	s_or_saveexec_b64 s[6:7], s[6:7]
	v_mov_b32_e32 v20, s10
	s_xor_b64 exec, exec, s[6:7]
	s_cbranch_execz .LBB38_258
.LBB38_2308:
	v_mov_b32_e32 v20, 0
	v_cmp_ne_u16_sdwa s[8:9], v14, v20 src0_sel:BYTE_0 src1_sel:DWORD
	s_andn2_b64 s[4:5], s[4:5], exec
	s_and_b64 s[8:9], s[8:9], exec
	s_or_b64 s[4:5], s[4:5], s[8:9]
	s_or_b64 exec, exec, s[6:7]
	s_and_saveexec_b64 s[6:7], s[4:5]
	s_cbranch_execnz .LBB38_259
	s_branch .LBB38_260
.LBB38_2309:
	s_movk_i32 s4, 0x80
	v_cmp_eq_u16_sdwa s[12:13], v10, s4 src0_sel:BYTE_0 src1_sel:DWORD
	s_mov_b64 s[4:5], -1
                                        ; implicit-def: $sgpr10
	s_and_saveexec_b64 s[8:9], s[12:13]
; %bb.2310:
	s_mov_b32 s10, 0x7f800001
	s_xor_b64 s[4:5], exec, -1
; %bb.2311:
	s_or_b64 exec, exec, s[8:9]
	s_and_b64 s[4:5], s[4:5], exec
	s_or_saveexec_b64 s[6:7], s[6:7]
	v_mov_b32_e32 v21, s10
	s_xor_b64 exec, exec, s[6:7]
	s_cbranch_execz .LBB38_262
.LBB38_2312:
	v_mov_b32_e32 v21, 0
	v_cmp_ne_u16_sdwa s[8:9], v10, v21 src0_sel:BYTE_0 src1_sel:DWORD
	s_andn2_b64 s[4:5], s[4:5], exec
	s_and_b64 s[8:9], s[8:9], exec
	s_or_b64 s[4:5], s[4:5], s[8:9]
	s_or_b64 exec, exec, s[6:7]
	s_and_saveexec_b64 s[6:7], s[4:5]
	s_cbranch_execnz .LBB38_263
	s_branch .LBB38_264
.LBB38_2313:
	s_movk_i32 s4, 0x80
	v_cmp_eq_u16_sdwa s[12:13], v21, s4 src0_sel:BYTE_0 src1_sel:DWORD
	s_mov_b64 s[4:5], -1
                                        ; implicit-def: $sgpr10
	s_and_saveexec_b64 s[8:9], s[12:13]
; %bb.2314:
	s_mov_b32 s10, 0x7f800001
	s_xor_b64 s[4:5], exec, -1
; %bb.2315:
	s_or_b64 exec, exec, s[8:9]
	s_and_b64 s[4:5], s[4:5], exec
	s_or_saveexec_b64 s[6:7], s[6:7]
	v_mov_b32_e32 v20, s10
	s_xor_b64 exec, exec, s[6:7]
	s_cbranch_execz .LBB38_266
.LBB38_2316:
	v_mov_b32_e32 v20, 0
	v_cmp_ne_u16_sdwa s[8:9], v21, v20 src0_sel:BYTE_0 src1_sel:DWORD
	s_andn2_b64 s[4:5], s[4:5], exec
	s_and_b64 s[8:9], s[8:9], exec
	s_or_b64 s[4:5], s[4:5], s[8:9]
	s_or_b64 exec, exec, s[6:7]
	s_and_saveexec_b64 s[6:7], s[4:5]
	s_cbranch_execnz .LBB38_267
	s_branch .LBB38_268
.LBB38_2317:
	s_movk_i32 s4, 0x80
	v_cmp_eq_u16_sdwa s[12:13], v21, s4 src0_sel:BYTE_0 src1_sel:DWORD
	s_mov_b64 s[4:5], -1
                                        ; implicit-def: $sgpr10
	s_and_saveexec_b64 s[8:9], s[12:13]
; %bb.2318:
	s_mov_b32 s10, 0x7f800001
	s_xor_b64 s[4:5], exec, -1
; %bb.2319:
	s_or_b64 exec, exec, s[8:9]
	s_and_b64 s[4:5], s[4:5], exec
	s_or_saveexec_b64 s[6:7], s[6:7]
	v_mov_b32_e32 v22, s10
	s_xor_b64 exec, exec, s[6:7]
	s_cbranch_execz .LBB38_270
.LBB38_2320:
	v_mov_b32_e32 v22, 0
	v_cmp_ne_u16_sdwa s[8:9], v21, v22 src0_sel:BYTE_0 src1_sel:DWORD
	s_andn2_b64 s[4:5], s[4:5], exec
	s_and_b64 s[8:9], s[8:9], exec
	s_or_b64 s[4:5], s[4:5], s[8:9]
	s_or_b64 exec, exec, s[6:7]
	s_and_saveexec_b64 s[6:7], s[4:5]
	s_cbranch_execnz .LBB38_271
	s_branch .LBB38_272
.LBB38_2321:
	s_movk_i32 s4, 0x80
	v_cmp_eq_u16_e32 vcc, s4, v21
	s_mov_b64 s[4:5], -1
                                        ; implicit-def: $sgpr10
	s_and_saveexec_b64 s[8:9], vcc
; %bb.2322:
	s_mov_b32 s10, 0x7f800001
	s_xor_b64 s[4:5], exec, -1
; %bb.2323:
	s_or_b64 exec, exec, s[8:9]
	s_and_b64 s[4:5], s[4:5], exec
                                        ; implicit-def: $vgpr21
	s_or_saveexec_b64 s[6:7], s[6:7]
	v_mov_b32_e32 v20, s10
	s_xor_b64 exec, exec, s[6:7]
	s_cbranch_execz .LBB38_274
.LBB38_2324:
	v_cmp_ne_u16_e32 vcc, 0, v21
	s_andn2_b64 s[4:5], s[4:5], exec
	s_and_b64 s[8:9], vcc, exec
	v_mov_b32_e32 v20, 0
	s_or_b64 s[4:5], s[4:5], s[8:9]
	s_or_b64 exec, exec, s[6:7]
	s_and_saveexec_b64 s[6:7], s[4:5]
	s_cbranch_execnz .LBB38_275
	s_branch .LBB38_276
.LBB38_2325:
	s_movk_i32 s4, 0x80
	v_cmp_eq_u16_e32 vcc, s4, v21
	s_mov_b64 s[4:5], -1
                                        ; implicit-def: $sgpr10
	s_and_saveexec_b64 s[8:9], vcc
; %bb.2326:
	s_mov_b32 s10, 0x7f800001
	s_xor_b64 s[4:5], exec, -1
; %bb.2327:
	s_or_b64 exec, exec, s[8:9]
	s_and_b64 s[4:5], s[4:5], exec
                                        ; implicit-def: $vgpr21
	s_or_saveexec_b64 s[6:7], s[6:7]
	v_mov_b32_e32 v22, s10
	s_xor_b64 exec, exec, s[6:7]
	s_cbranch_execz .LBB38_278
.LBB38_2328:
	v_cmp_ne_u16_e32 vcc, 0, v21
	s_andn2_b64 s[4:5], s[4:5], exec
	s_and_b64 s[8:9], vcc, exec
	v_mov_b32_e32 v22, 0
	s_or_b64 s[4:5], s[4:5], s[8:9]
	s_or_b64 exec, exec, s[6:7]
	s_and_saveexec_b64 s[6:7], s[4:5]
	s_cbranch_execnz .LBB38_279
	s_branch .LBB38_280
.LBB38_2329:
	s_movk_i32 s4, 0x80
	v_cmp_eq_u16_sdwa s[12:13], v14, s4 src0_sel:BYTE_3 src1_sel:DWORD
	s_mov_b64 s[4:5], -1
                                        ; implicit-def: $sgpr10
	s_and_saveexec_b64 s[8:9], s[12:13]
; %bb.2330:
	s_mov_b32 s10, 0x7f800001
	s_xor_b64 s[4:5], exec, -1
; %bb.2331:
	s_or_b64 exec, exec, s[8:9]
	s_and_b64 s[4:5], s[4:5], exec
	s_or_saveexec_b64 s[6:7], s[6:7]
	v_mov_b32_e32 v20, s10
	s_xor_b64 exec, exec, s[6:7]
	s_cbranch_execz .LBB38_282
.LBB38_2332:
	v_mov_b32_e32 v20, 0
	v_cmp_ne_u16_sdwa s[8:9], v14, v20 src0_sel:BYTE_3 src1_sel:DWORD
	s_andn2_b64 s[4:5], s[4:5], exec
	s_and_b64 s[8:9], s[8:9], exec
	s_or_b64 s[4:5], s[4:5], s[8:9]
	s_or_b64 exec, exec, s[6:7]
	s_and_saveexec_b64 s[6:7], s[4:5]
	s_cbranch_execnz .LBB38_283
	s_branch .LBB38_284
.LBB38_2333:
	s_movk_i32 s4, 0x80
	v_cmp_eq_u16_sdwa s[12:13], v10, s4 src0_sel:BYTE_3 src1_sel:DWORD
	s_mov_b64 s[4:5], -1
                                        ; implicit-def: $sgpr10
	s_and_saveexec_b64 s[8:9], s[12:13]
; %bb.2334:
	s_mov_b32 s10, 0x7f800001
	s_xor_b64 s[4:5], exec, -1
; %bb.2335:
	s_or_b64 exec, exec, s[8:9]
	s_and_b64 s[4:5], s[4:5], exec
	s_or_saveexec_b64 s[6:7], s[6:7]
	v_mov_b32_e32 v14, s10
	s_xor_b64 exec, exec, s[6:7]
	s_cbranch_execz .LBB38_286
.LBB38_2336:
	v_mov_b32_e32 v14, 0
	v_cmp_ne_u16_sdwa s[8:9], v10, v14 src0_sel:BYTE_3 src1_sel:DWORD
	s_andn2_b64 s[4:5], s[4:5], exec
	s_and_b64 s[8:9], s[8:9], exec
	s_or_b64 s[4:5], s[4:5], s[8:9]
	s_or_b64 exec, exec, s[6:7]
	s_and_saveexec_b64 s[6:7], s[4:5]
	s_cbranch_execnz .LBB38_287
	s_branch .LBB38_288
.LBB38_2337:
	s_movk_i32 s4, 0x80
	v_cmp_eq_u16_sdwa s[12:13], v15, s4 src0_sel:BYTE_0 src1_sel:DWORD
	s_mov_b64 s[4:5], -1
                                        ; implicit-def: $sgpr10
	s_and_saveexec_b64 s[8:9], s[12:13]
; %bb.2338:
	s_mov_b32 s10, 0x7f800001
	s_xor_b64 s[4:5], exec, -1
; %bb.2339:
	s_or_b64 exec, exec, s[8:9]
	s_and_b64 s[4:5], s[4:5], exec
	s_or_saveexec_b64 s[6:7], s[6:7]
	v_mov_b32_e32 v10, s10
	s_xor_b64 exec, exec, s[6:7]
	s_cbranch_execz .LBB38_290
.LBB38_2340:
	v_mov_b32_e32 v10, 0
	v_cmp_ne_u16_sdwa s[8:9], v15, v10 src0_sel:BYTE_0 src1_sel:DWORD
	s_andn2_b64 s[4:5], s[4:5], exec
	s_and_b64 s[8:9], s[8:9], exec
	s_or_b64 s[4:5], s[4:5], s[8:9]
	s_or_b64 exec, exec, s[6:7]
	s_and_saveexec_b64 s[6:7], s[4:5]
	s_cbranch_execnz .LBB38_291
	s_branch .LBB38_292
.LBB38_2341:
	s_movk_i32 s4, 0x80
	v_cmp_eq_u16_sdwa s[12:13], v11, s4 src0_sel:BYTE_0 src1_sel:DWORD
	s_mov_b64 s[4:5], -1
                                        ; implicit-def: $sgpr10
	s_and_saveexec_b64 s[8:9], s[12:13]
; %bb.2342:
	s_mov_b32 s10, 0x7f800001
	s_xor_b64 s[4:5], exec, -1
; %bb.2343:
	s_or_b64 exec, exec, s[8:9]
	s_and_b64 s[4:5], s[4:5], exec
	s_or_saveexec_b64 s[6:7], s[6:7]
	v_mov_b32_e32 v14, s10
	s_xor_b64 exec, exec, s[6:7]
	s_cbranch_execz .LBB38_294
.LBB38_2344:
	v_mov_b32_e32 v14, 0
	v_cmp_ne_u16_sdwa s[8:9], v11, v14 src0_sel:BYTE_0 src1_sel:DWORD
	s_andn2_b64 s[4:5], s[4:5], exec
	s_and_b64 s[8:9], s[8:9], exec
	s_or_b64 s[4:5], s[4:5], s[8:9]
	s_or_b64 exec, exec, s[6:7]
	s_and_saveexec_b64 s[6:7], s[4:5]
	s_cbranch_execnz .LBB38_295
	s_branch .LBB38_296
.LBB38_2345:
	s_movk_i32 s4, 0x80
	v_cmp_eq_u16_sdwa s[12:13], v14, s4 src0_sel:BYTE_0 src1_sel:DWORD
	s_mov_b64 s[4:5], -1
                                        ; implicit-def: $sgpr10
	s_and_saveexec_b64 s[8:9], s[12:13]
; %bb.2346:
	s_mov_b32 s10, 0x7f800001
	s_xor_b64 s[4:5], exec, -1
; %bb.2347:
	s_or_b64 exec, exec, s[8:9]
	s_and_b64 s[4:5], s[4:5], exec
	s_or_saveexec_b64 s[6:7], s[6:7]
	v_mov_b32_e32 v10, s10
	s_xor_b64 exec, exec, s[6:7]
	s_cbranch_execz .LBB38_298
.LBB38_2348:
	v_mov_b32_e32 v10, 0
	v_cmp_ne_u16_sdwa s[8:9], v14, v10 src0_sel:BYTE_0 src1_sel:DWORD
	s_andn2_b64 s[4:5], s[4:5], exec
	s_and_b64 s[8:9], s[8:9], exec
	s_or_b64 s[4:5], s[4:5], s[8:9]
	s_or_b64 exec, exec, s[6:7]
	s_and_saveexec_b64 s[6:7], s[4:5]
	s_cbranch_execnz .LBB38_299
	s_branch .LBB38_300
.LBB38_2349:
	s_movk_i32 s4, 0x80
	v_cmp_eq_u16_sdwa s[12:13], v14, s4 src0_sel:BYTE_0 src1_sel:DWORD
	s_mov_b64 s[4:5], -1
                                        ; implicit-def: $sgpr10
	s_and_saveexec_b64 s[8:9], s[12:13]
; %bb.2350:
	s_mov_b32 s10, 0x7f800001
	s_xor_b64 s[4:5], exec, -1
; %bb.2351:
	s_or_b64 exec, exec, s[8:9]
	s_and_b64 s[4:5], s[4:5], exec
	s_or_saveexec_b64 s[6:7], s[6:7]
	v_mov_b32_e32 v20, s10
	s_xor_b64 exec, exec, s[6:7]
	s_cbranch_execz .LBB38_302
.LBB38_2352:
	v_mov_b32_e32 v20, 0
	v_cmp_ne_u16_sdwa s[8:9], v14, v20 src0_sel:BYTE_0 src1_sel:DWORD
	s_andn2_b64 s[4:5], s[4:5], exec
	s_and_b64 s[8:9], s[8:9], exec
	s_or_b64 s[4:5], s[4:5], s[8:9]
	s_or_b64 exec, exec, s[6:7]
	s_and_saveexec_b64 s[6:7], s[4:5]
	s_cbranch_execnz .LBB38_303
	s_branch .LBB38_304
.LBB38_2353:
	s_movk_i32 s4, 0x80
	v_cmp_eq_u16_e32 vcc, s4, v14
	s_mov_b64 s[4:5], -1
                                        ; implicit-def: $sgpr10
	s_and_saveexec_b64 s[8:9], vcc
; %bb.2354:
	s_mov_b32 s10, 0x7f800001
	s_xor_b64 s[4:5], exec, -1
; %bb.2355:
	s_or_b64 exec, exec, s[8:9]
	s_and_b64 s[4:5], s[4:5], exec
                                        ; implicit-def: $vgpr14
	s_or_saveexec_b64 s[6:7], s[6:7]
	v_mov_b32_e32 v10, s10
	s_xor_b64 exec, exec, s[6:7]
	s_cbranch_execz .LBB38_306
.LBB38_2356:
	v_cmp_ne_u16_e32 vcc, 0, v14
	s_andn2_b64 s[4:5], s[4:5], exec
	s_and_b64 s[8:9], vcc, exec
	v_mov_b32_e32 v10, 0
	s_or_b64 s[4:5], s[4:5], s[8:9]
	s_or_b64 exec, exec, s[6:7]
	s_and_saveexec_b64 s[6:7], s[4:5]
	s_cbranch_execnz .LBB38_307
	s_branch .LBB38_308
.LBB38_2357:
	s_movk_i32 s4, 0x80
	v_cmp_eq_u16_e32 vcc, s4, v14
	s_mov_b64 s[4:5], -1
                                        ; implicit-def: $sgpr10
	s_and_saveexec_b64 s[8:9], vcc
; %bb.2358:
	s_mov_b32 s10, 0x7f800001
	s_xor_b64 s[4:5], exec, -1
; %bb.2359:
	s_or_b64 exec, exec, s[8:9]
	s_and_b64 s[4:5], s[4:5], exec
                                        ; implicit-def: $vgpr14
	s_or_saveexec_b64 s[6:7], s[6:7]
	v_mov_b32_e32 v20, s10
	s_xor_b64 exec, exec, s[6:7]
	s_cbranch_execz .LBB38_310
.LBB38_2360:
	v_cmp_ne_u16_e32 vcc, 0, v14
	s_andn2_b64 s[4:5], s[4:5], exec
	s_and_b64 s[8:9], vcc, exec
	v_mov_b32_e32 v20, 0
	s_or_b64 s[4:5], s[4:5], s[8:9]
	s_or_b64 exec, exec, s[6:7]
	s_and_saveexec_b64 s[6:7], s[4:5]
	s_cbranch_execnz .LBB38_311
	s_branch .LBB38_312
.LBB38_2361:
	s_movk_i32 s4, 0x80
	v_cmp_eq_u16_sdwa s[12:13], v15, s4 src0_sel:BYTE_3 src1_sel:DWORD
	s_mov_b64 s[4:5], -1
                                        ; implicit-def: $sgpr10
	s_and_saveexec_b64 s[8:9], s[12:13]
; %bb.2362:
	s_mov_b32 s10, 0x7f800001
	s_xor_b64 s[4:5], exec, -1
; %bb.2363:
	s_or_b64 exec, exec, s[8:9]
	s_and_b64 s[4:5], s[4:5], exec
	s_or_saveexec_b64 s[6:7], s[6:7]
	v_mov_b32_e32 v10, s10
	s_xor_b64 exec, exec, s[6:7]
	s_cbranch_execz .LBB38_314
.LBB38_2364:
	v_mov_b32_e32 v10, 0
	v_cmp_ne_u16_sdwa s[8:9], v15, v10 src0_sel:BYTE_3 src1_sel:DWORD
	s_andn2_b64 s[4:5], s[4:5], exec
	s_and_b64 s[8:9], s[8:9], exec
	s_or_b64 s[4:5], s[4:5], s[8:9]
	s_or_b64 exec, exec, s[6:7]
	s_and_saveexec_b64 s[6:7], s[4:5]
	s_cbranch_execnz .LBB38_315
	s_branch .LBB38_316
.LBB38_2365:
	s_movk_i32 s4, 0x80
	v_cmp_eq_u16_sdwa s[12:13], v11, s4 src0_sel:BYTE_3 src1_sel:DWORD
	s_mov_b64 s[4:5], -1
                                        ; implicit-def: $sgpr10
	s_and_saveexec_b64 s[8:9], s[12:13]
; %bb.2366:
	s_mov_b32 s10, 0x7f800001
	s_xor_b64 s[4:5], exec, -1
; %bb.2367:
	s_or_b64 exec, exec, s[8:9]
	s_and_b64 s[4:5], s[4:5], exec
	s_or_saveexec_b64 s[6:7], s[6:7]
	v_mov_b32_e32 v14, s10
	s_xor_b64 exec, exec, s[6:7]
	s_cbranch_execz .LBB38_318
.LBB38_2368:
	v_mov_b32_e32 v14, 0
	v_cmp_ne_u16_sdwa s[8:9], v11, v14 src0_sel:BYTE_3 src1_sel:DWORD
	s_andn2_b64 s[4:5], s[4:5], exec
	s_and_b64 s[8:9], s[8:9], exec
	s_or_b64 s[4:5], s[4:5], s[8:9]
	s_or_b64 exec, exec, s[6:7]
	s_and_saveexec_b64 s[6:7], s[4:5]
	s_cbranch_execnz .LBB38_319
	s_branch .LBB38_320
.LBB38_2369:
	s_movk_i32 s4, 0x80
	v_cmp_eq_u16_sdwa s[12:13], v16, s4 src0_sel:BYTE_0 src1_sel:DWORD
	s_mov_b64 s[4:5], -1
                                        ; implicit-def: $sgpr10
	s_and_saveexec_b64 s[8:9], s[12:13]
; %bb.2370:
	s_mov_b32 s10, 0x7f800001
	s_xor_b64 s[4:5], exec, -1
; %bb.2371:
	s_or_b64 exec, exec, s[8:9]
	s_and_b64 s[4:5], s[4:5], exec
	s_or_saveexec_b64 s[6:7], s[6:7]
	v_mov_b32_e32 v10, s10
	s_xor_b64 exec, exec, s[6:7]
	s_cbranch_execz .LBB38_322
.LBB38_2372:
	v_mov_b32_e32 v10, 0
	v_cmp_ne_u16_sdwa s[8:9], v16, v10 src0_sel:BYTE_0 src1_sel:DWORD
	s_andn2_b64 s[4:5], s[4:5], exec
	s_and_b64 s[8:9], s[8:9], exec
	s_or_b64 s[4:5], s[4:5], s[8:9]
	s_or_b64 exec, exec, s[6:7]
	s_and_saveexec_b64 s[6:7], s[4:5]
	s_cbranch_execnz .LBB38_323
	s_branch .LBB38_324
.LBB38_2373:
	s_movk_i32 s4, 0x80
	v_cmp_eq_u16_sdwa s[12:13], v12, s4 src0_sel:BYTE_0 src1_sel:DWORD
	s_mov_b64 s[4:5], -1
                                        ; implicit-def: $sgpr10
	s_and_saveexec_b64 s[8:9], s[12:13]
; %bb.2374:
	s_mov_b32 s10, 0x7f800001
	s_xor_b64 s[4:5], exec, -1
; %bb.2375:
	s_or_b64 exec, exec, s[8:9]
	s_and_b64 s[4:5], s[4:5], exec
	s_or_saveexec_b64 s[6:7], s[6:7]
	v_mov_b32_e32 v11, s10
	s_xor_b64 exec, exec, s[6:7]
	s_cbranch_execz .LBB38_326
.LBB38_2376:
	v_mov_b32_e32 v11, 0
	v_cmp_ne_u16_sdwa s[8:9], v12, v11 src0_sel:BYTE_0 src1_sel:DWORD
	s_andn2_b64 s[4:5], s[4:5], exec
	s_and_b64 s[8:9], s[8:9], exec
	s_or_b64 s[4:5], s[4:5], s[8:9]
	s_or_b64 exec, exec, s[6:7]
	s_and_saveexec_b64 s[6:7], s[4:5]
	s_cbranch_execnz .LBB38_327
	s_branch .LBB38_328
.LBB38_2377:
	s_movk_i32 s4, 0x80
	v_cmp_eq_u16_sdwa s[12:13], v11, s4 src0_sel:BYTE_0 src1_sel:DWORD
	s_mov_b64 s[4:5], -1
                                        ; implicit-def: $sgpr10
	s_and_saveexec_b64 s[8:9], s[12:13]
; %bb.2378:
	s_mov_b32 s10, 0x7f800001
	s_xor_b64 s[4:5], exec, -1
; %bb.2379:
	s_or_b64 exec, exec, s[8:9]
	s_and_b64 s[4:5], s[4:5], exec
	s_or_saveexec_b64 s[6:7], s[6:7]
	v_mov_b32_e32 v10, s10
	s_xor_b64 exec, exec, s[6:7]
	s_cbranch_execz .LBB38_330
.LBB38_2380:
	v_mov_b32_e32 v10, 0
	v_cmp_ne_u16_sdwa s[8:9], v11, v10 src0_sel:BYTE_0 src1_sel:DWORD
	s_andn2_b64 s[4:5], s[4:5], exec
	s_and_b64 s[8:9], s[8:9], exec
	s_or_b64 s[4:5], s[4:5], s[8:9]
	s_or_b64 exec, exec, s[6:7]
	s_and_saveexec_b64 s[6:7], s[4:5]
	s_cbranch_execnz .LBB38_331
	s_branch .LBB38_332
.LBB38_2381:
	s_movk_i32 s4, 0x80
	v_cmp_eq_u16_sdwa s[12:13], v11, s4 src0_sel:BYTE_0 src1_sel:DWORD
	s_mov_b64 s[4:5], -1
                                        ; implicit-def: $sgpr10
	s_and_saveexec_b64 s[8:9], s[12:13]
; %bb.2382:
	s_mov_b32 s10, 0x7f800001
	s_xor_b64 s[4:5], exec, -1
; %bb.2383:
	s_or_b64 exec, exec, s[8:9]
	s_and_b64 s[4:5], s[4:5], exec
	s_or_saveexec_b64 s[6:7], s[6:7]
	v_mov_b32_e32 v14, s10
	s_xor_b64 exec, exec, s[6:7]
	s_cbranch_execz .LBB38_334
.LBB38_2384:
	v_mov_b32_e32 v14, 0
	v_cmp_ne_u16_sdwa s[8:9], v11, v14 src0_sel:BYTE_0 src1_sel:DWORD
	s_andn2_b64 s[4:5], s[4:5], exec
	s_and_b64 s[8:9], s[8:9], exec
	s_or_b64 s[4:5], s[4:5], s[8:9]
	s_or_b64 exec, exec, s[6:7]
	s_and_saveexec_b64 s[6:7], s[4:5]
	s_cbranch_execnz .LBB38_335
	s_branch .LBB38_336
.LBB38_2385:
	s_movk_i32 s4, 0x80
	v_cmp_eq_u16_e32 vcc, s4, v11
	s_mov_b64 s[4:5], -1
                                        ; implicit-def: $sgpr10
	s_and_saveexec_b64 s[8:9], vcc
; %bb.2386:
	s_mov_b32 s10, 0x7f800001
	s_xor_b64 s[4:5], exec, -1
; %bb.2387:
	s_or_b64 exec, exec, s[8:9]
	s_and_b64 s[4:5], s[4:5], exec
                                        ; implicit-def: $vgpr11
	s_or_saveexec_b64 s[6:7], s[6:7]
	v_mov_b32_e32 v10, s10
	s_xor_b64 exec, exec, s[6:7]
	s_cbranch_execz .LBB38_338
.LBB38_2388:
	v_cmp_ne_u16_e32 vcc, 0, v11
	s_andn2_b64 s[4:5], s[4:5], exec
	s_and_b64 s[8:9], vcc, exec
	v_mov_b32_e32 v10, 0
	s_or_b64 s[4:5], s[4:5], s[8:9]
	s_or_b64 exec, exec, s[6:7]
	s_and_saveexec_b64 s[6:7], s[4:5]
	s_cbranch_execnz .LBB38_339
	s_branch .LBB38_340
.LBB38_2389:
	s_movk_i32 s4, 0x80
	v_cmp_eq_u16_e32 vcc, s4, v11
	s_mov_b64 s[4:5], -1
                                        ; implicit-def: $sgpr10
	s_and_saveexec_b64 s[8:9], vcc
; %bb.2390:
	s_mov_b32 s10, 0x7f800001
	s_xor_b64 s[4:5], exec, -1
; %bb.2391:
	s_or_b64 exec, exec, s[8:9]
	s_and_b64 s[4:5], s[4:5], exec
                                        ; implicit-def: $vgpr11
	s_or_saveexec_b64 s[6:7], s[6:7]
	v_mov_b32_e32 v14, s10
	s_xor_b64 exec, exec, s[6:7]
	s_cbranch_execz .LBB38_342
.LBB38_2392:
	v_cmp_ne_u16_e32 vcc, 0, v11
	s_andn2_b64 s[4:5], s[4:5], exec
	s_and_b64 s[8:9], vcc, exec
	v_mov_b32_e32 v14, 0
	s_or_b64 s[4:5], s[4:5], s[8:9]
	s_or_b64 exec, exec, s[6:7]
	s_and_saveexec_b64 s[6:7], s[4:5]
	s_cbranch_execnz .LBB38_343
	s_branch .LBB38_344
.LBB38_2393:
	s_movk_i32 s4, 0x80
	v_cmp_eq_u16_sdwa s[12:13], v16, s4 src0_sel:BYTE_3 src1_sel:DWORD
	s_mov_b64 s[4:5], -1
                                        ; implicit-def: $sgpr10
	s_and_saveexec_b64 s[8:9], s[12:13]
; %bb.2394:
	s_mov_b32 s10, 0x7f800001
	s_xor_b64 s[4:5], exec, -1
; %bb.2395:
	s_or_b64 exec, exec, s[8:9]
	s_and_b64 s[4:5], s[4:5], exec
	s_or_saveexec_b64 s[6:7], s[6:7]
	v_mov_b32_e32 v10, s10
	s_xor_b64 exec, exec, s[6:7]
	s_cbranch_execz .LBB38_346
.LBB38_2396:
	v_mov_b32_e32 v10, 0
	v_cmp_ne_u16_sdwa s[8:9], v16, v10 src0_sel:BYTE_3 src1_sel:DWORD
	s_andn2_b64 s[4:5], s[4:5], exec
	s_and_b64 s[8:9], s[8:9], exec
	s_or_b64 s[4:5], s[4:5], s[8:9]
	s_or_b64 exec, exec, s[6:7]
	s_and_saveexec_b64 s[6:7], s[4:5]
	s_cbranch_execnz .LBB38_347
	s_branch .LBB38_348
.LBB38_2397:
	s_movk_i32 s4, 0x80
	v_cmp_eq_u16_sdwa s[12:13], v12, s4 src0_sel:BYTE_3 src1_sel:DWORD
	s_mov_b64 s[4:5], -1
                                        ; implicit-def: $sgpr10
	s_and_saveexec_b64 s[8:9], s[12:13]
; %bb.2398:
	s_mov_b32 s10, 0x7f800001
	s_xor_b64 s[4:5], exec, -1
; %bb.2399:
	s_or_b64 exec, exec, s[8:9]
	s_and_b64 s[4:5], s[4:5], exec
	s_or_saveexec_b64 s[6:7], s[6:7]
	v_mov_b32_e32 v11, s10
	s_xor_b64 exec, exec, s[6:7]
	s_cbranch_execz .LBB38_350
.LBB38_2400:
	v_mov_b32_e32 v11, 0
	v_cmp_ne_u16_sdwa s[8:9], v12, v11 src0_sel:BYTE_3 src1_sel:DWORD
	s_andn2_b64 s[4:5], s[4:5], exec
	s_and_b64 s[8:9], s[8:9], exec
	s_or_b64 s[4:5], s[4:5], s[8:9]
	s_or_b64 exec, exec, s[6:7]
	s_and_saveexec_b64 s[6:7], s[4:5]
	s_cbranch_execnz .LBB38_351
	s_branch .LBB38_352
.LBB38_2401:
	s_movk_i32 s4, 0x80
	v_cmp_eq_u16_sdwa s[12:13], v17, s4 src0_sel:BYTE_0 src1_sel:DWORD
	s_mov_b64 s[4:5], -1
                                        ; implicit-def: $sgpr10
	s_and_saveexec_b64 s[8:9], s[12:13]
; %bb.2402:
	s_mov_b32 s10, 0x7f800001
	s_xor_b64 s[4:5], exec, -1
; %bb.2403:
	s_or_b64 exec, exec, s[8:9]
	s_and_b64 s[4:5], s[4:5], exec
	s_or_saveexec_b64 s[6:7], s[6:7]
	v_mov_b32_e32 v10, s10
	s_xor_b64 exec, exec, s[6:7]
	s_cbranch_execz .LBB38_354
.LBB38_2404:
	v_mov_b32_e32 v10, 0
	v_cmp_ne_u16_sdwa s[8:9], v17, v10 src0_sel:BYTE_0 src1_sel:DWORD
	s_andn2_b64 s[4:5], s[4:5], exec
	s_and_b64 s[8:9], s[8:9], exec
	s_or_b64 s[4:5], s[4:5], s[8:9]
	s_or_b64 exec, exec, s[6:7]
	s_and_saveexec_b64 s[6:7], s[4:5]
	s_cbranch_execnz .LBB38_355
	s_branch .LBB38_356
.LBB38_2405:
	s_movk_i32 s4, 0x80
	v_cmp_eq_u16_sdwa s[12:13], v13, s4 src0_sel:BYTE_0 src1_sel:DWORD
	s_mov_b64 s[4:5], -1
                                        ; implicit-def: $sgpr10
	s_and_saveexec_b64 s[8:9], s[12:13]
; %bb.2406:
	s_mov_b32 s10, 0x7f800001
	s_xor_b64 s[4:5], exec, -1
; %bb.2407:
	s_or_b64 exec, exec, s[8:9]
	s_and_b64 s[4:5], s[4:5], exec
	s_or_saveexec_b64 s[6:7], s[6:7]
	v_mov_b32_e32 v11, s10
	s_xor_b64 exec, exec, s[6:7]
	s_cbranch_execz .LBB38_358
.LBB38_2408:
	v_mov_b32_e32 v11, 0
	v_cmp_ne_u16_sdwa s[8:9], v13, v11 src0_sel:BYTE_0 src1_sel:DWORD
	s_andn2_b64 s[4:5], s[4:5], exec
	s_and_b64 s[8:9], s[8:9], exec
	s_or_b64 s[4:5], s[4:5], s[8:9]
	s_or_b64 exec, exec, s[6:7]
	s_and_saveexec_b64 s[6:7], s[4:5]
	s_cbranch_execnz .LBB38_359
	s_branch .LBB38_360
.LBB38_2409:
	s_movk_i32 s4, 0x80
	v_cmp_eq_u16_sdwa s[12:13], v11, s4 src0_sel:BYTE_0 src1_sel:DWORD
	s_mov_b64 s[4:5], -1
                                        ; implicit-def: $sgpr10
	s_and_saveexec_b64 s[8:9], s[12:13]
; %bb.2410:
	s_mov_b32 s10, 0x7f800001
	s_xor_b64 s[4:5], exec, -1
; %bb.2411:
	s_or_b64 exec, exec, s[8:9]
	s_and_b64 s[4:5], s[4:5], exec
	s_or_saveexec_b64 s[6:7], s[6:7]
	v_mov_b32_e32 v10, s10
	s_xor_b64 exec, exec, s[6:7]
	s_cbranch_execz .LBB38_362
.LBB38_2412:
	v_mov_b32_e32 v10, 0
	v_cmp_ne_u16_sdwa s[8:9], v11, v10 src0_sel:BYTE_0 src1_sel:DWORD
	s_andn2_b64 s[4:5], s[4:5], exec
	s_and_b64 s[8:9], s[8:9], exec
	s_or_b64 s[4:5], s[4:5], s[8:9]
	s_or_b64 exec, exec, s[6:7]
	s_and_saveexec_b64 s[6:7], s[4:5]
	s_cbranch_execnz .LBB38_363
	s_branch .LBB38_364
.LBB38_2413:
	s_movk_i32 s4, 0x80
	v_cmp_eq_u16_sdwa s[12:13], v11, s4 src0_sel:BYTE_0 src1_sel:DWORD
	s_mov_b64 s[4:5], -1
                                        ; implicit-def: $sgpr10
	s_and_saveexec_b64 s[8:9], s[12:13]
; %bb.2414:
	s_mov_b32 s10, 0x7f800001
	s_xor_b64 s[4:5], exec, -1
; %bb.2415:
	s_or_b64 exec, exec, s[8:9]
	s_and_b64 s[4:5], s[4:5], exec
	s_or_saveexec_b64 s[6:7], s[6:7]
	v_mov_b32_e32 v12, s10
	s_xor_b64 exec, exec, s[6:7]
	s_cbranch_execz .LBB38_366
.LBB38_2416:
	v_mov_b32_e32 v12, 0
	v_cmp_ne_u16_sdwa s[8:9], v11, v12 src0_sel:BYTE_0 src1_sel:DWORD
	s_andn2_b64 s[4:5], s[4:5], exec
	s_and_b64 s[8:9], s[8:9], exec
	s_or_b64 s[4:5], s[4:5], s[8:9]
	s_or_b64 exec, exec, s[6:7]
	s_and_saveexec_b64 s[6:7], s[4:5]
	s_cbranch_execnz .LBB38_367
	s_branch .LBB38_368
.LBB38_2417:
	s_movk_i32 s4, 0x80
	v_cmp_eq_u16_e32 vcc, s4, v11
	s_mov_b64 s[4:5], -1
                                        ; implicit-def: $sgpr10
	s_and_saveexec_b64 s[8:9], vcc
; %bb.2418:
	s_mov_b32 s10, 0x7f800001
	s_xor_b64 s[4:5], exec, -1
; %bb.2419:
	s_or_b64 exec, exec, s[8:9]
	s_and_b64 s[4:5], s[4:5], exec
                                        ; implicit-def: $vgpr11
	s_or_saveexec_b64 s[6:7], s[6:7]
	v_mov_b32_e32 v10, s10
	s_xor_b64 exec, exec, s[6:7]
	s_cbranch_execz .LBB38_370
.LBB38_2420:
	v_cmp_ne_u16_e32 vcc, 0, v11
	s_andn2_b64 s[4:5], s[4:5], exec
	s_and_b64 s[8:9], vcc, exec
	v_mov_b32_e32 v10, 0
	s_or_b64 s[4:5], s[4:5], s[8:9]
	s_or_b64 exec, exec, s[6:7]
	s_and_saveexec_b64 s[6:7], s[4:5]
	s_cbranch_execnz .LBB38_371
	s_branch .LBB38_372
.LBB38_2421:
	s_movk_i32 s4, 0x80
	v_cmp_eq_u16_e32 vcc, s4, v11
	s_mov_b64 s[4:5], -1
                                        ; implicit-def: $sgpr10
	s_and_saveexec_b64 s[8:9], vcc
; %bb.2422:
	s_mov_b32 s10, 0x7f800001
	s_xor_b64 s[4:5], exec, -1
; %bb.2423:
	s_or_b64 exec, exec, s[8:9]
	s_and_b64 s[4:5], s[4:5], exec
                                        ; implicit-def: $vgpr11
	s_or_saveexec_b64 s[6:7], s[6:7]
	v_mov_b32_e32 v12, s10
	s_xor_b64 exec, exec, s[6:7]
	s_cbranch_execz .LBB38_374
.LBB38_2424:
	v_cmp_ne_u16_e32 vcc, 0, v11
	s_andn2_b64 s[4:5], s[4:5], exec
	s_and_b64 s[8:9], vcc, exec
	v_mov_b32_e32 v12, 0
	s_or_b64 s[4:5], s[4:5], s[8:9]
	s_or_b64 exec, exec, s[6:7]
	s_and_saveexec_b64 s[6:7], s[4:5]
	s_cbranch_execnz .LBB38_375
	s_branch .LBB38_376
.LBB38_2425:
	s_movk_i32 s4, 0x80
	v_cmp_eq_u16_sdwa s[12:13], v17, s4 src0_sel:BYTE_3 src1_sel:DWORD
	s_mov_b64 s[4:5], -1
                                        ; implicit-def: $sgpr10
	s_and_saveexec_b64 s[8:9], s[12:13]
; %bb.2426:
	s_mov_b32 s10, 0x7f800001
	s_xor_b64 s[4:5], exec, -1
; %bb.2427:
	s_or_b64 exec, exec, s[8:9]
	s_and_b64 s[4:5], s[4:5], exec
	s_or_saveexec_b64 s[6:7], s[6:7]
	v_mov_b32_e32 v10, s10
	s_xor_b64 exec, exec, s[6:7]
	s_cbranch_execz .LBB38_378
.LBB38_2428:
	v_mov_b32_e32 v10, 0
	v_cmp_ne_u16_sdwa s[8:9], v17, v10 src0_sel:BYTE_3 src1_sel:DWORD
	s_andn2_b64 s[4:5], s[4:5], exec
	s_and_b64 s[8:9], s[8:9], exec
	s_or_b64 s[4:5], s[4:5], s[8:9]
	s_or_b64 exec, exec, s[6:7]
	s_and_saveexec_b64 s[6:7], s[4:5]
	s_cbranch_execnz .LBB38_379
	s_branch .LBB38_380
.LBB38_2429:
	s_movk_i32 s4, 0x80
	v_cmp_eq_u16_sdwa s[12:13], v13, s4 src0_sel:BYTE_3 src1_sel:DWORD
	s_mov_b64 s[4:5], -1
                                        ; implicit-def: $sgpr10
	s_and_saveexec_b64 s[8:9], s[12:13]
; %bb.2430:
	s_mov_b32 s10, 0x7f800001
	s_xor_b64 s[4:5], exec, -1
; %bb.2431:
	s_or_b64 exec, exec, s[8:9]
	s_and_b64 s[4:5], s[4:5], exec
	s_or_saveexec_b64 s[6:7], s[6:7]
	v_mov_b32_e32 v11, s10
	s_xor_b64 exec, exec, s[6:7]
	s_cbranch_execz .LBB38_382
.LBB38_2432:
	v_mov_b32_e32 v11, 0
	v_cmp_ne_u16_sdwa s[8:9], v13, v11 src0_sel:BYTE_3 src1_sel:DWORD
	s_andn2_b64 s[4:5], s[4:5], exec
	s_and_b64 s[8:9], s[8:9], exec
	s_or_b64 s[4:5], s[4:5], s[8:9]
	s_or_b64 exec, exec, s[6:7]
	s_and_saveexec_b64 s[6:7], s[4:5]
	s_cbranch_execnz .LBB38_383
	s_branch .LBB38_384
.LBB38_2433:
	s_movk_i32 s4, 0x80
	v_cmp_eq_u16_sdwa s[12:13], v6, s4 src0_sel:BYTE_0 src1_sel:DWORD
	s_mov_b64 s[4:5], -1
                                        ; implicit-def: $sgpr10
	s_and_saveexec_b64 s[8:9], s[12:13]
; %bb.2434:
	s_mov_b32 s10, 0x7f800001
	s_xor_b64 s[4:5], exec, -1
; %bb.2435:
	s_or_b64 exec, exec, s[8:9]
	s_and_b64 s[4:5], s[4:5], exec
	s_or_saveexec_b64 s[6:7], s[6:7]
	v_mov_b32_e32 v10, s10
	s_xor_b64 exec, exec, s[6:7]
	s_cbranch_execz .LBB38_386
.LBB38_2436:
	v_mov_b32_e32 v10, 0
	v_cmp_ne_u16_sdwa s[8:9], v6, v10 src0_sel:BYTE_0 src1_sel:DWORD
	s_andn2_b64 s[4:5], s[4:5], exec
	s_and_b64 s[8:9], s[8:9], exec
	s_or_b64 s[4:5], s[4:5], s[8:9]
	s_or_b64 exec, exec, s[6:7]
	s_and_saveexec_b64 s[6:7], s[4:5]
	s_cbranch_execnz .LBB38_387
	s_branch .LBB38_388
.LBB38_2437:
	s_movk_i32 s4, 0x80
	v_cmp_eq_u16_sdwa s[12:13], v2, s4 src0_sel:BYTE_0 src1_sel:DWORD
	s_mov_b64 s[4:5], -1
                                        ; implicit-def: $sgpr10
	s_and_saveexec_b64 s[8:9], s[12:13]
; %bb.2438:
	s_mov_b32 s10, 0x7f800001
	s_xor_b64 s[4:5], exec, -1
; %bb.2439:
	s_or_b64 exec, exec, s[8:9]
	s_and_b64 s[4:5], s[4:5], exec
	s_or_saveexec_b64 s[6:7], s[6:7]
	v_mov_b32_e32 v11, s10
	s_xor_b64 exec, exec, s[6:7]
	s_cbranch_execz .LBB38_390
.LBB38_2440:
	v_mov_b32_e32 v11, 0
	v_cmp_ne_u16_sdwa s[8:9], v2, v11 src0_sel:BYTE_0 src1_sel:DWORD
	s_andn2_b64 s[4:5], s[4:5], exec
	s_and_b64 s[8:9], s[8:9], exec
	s_or_b64 s[4:5], s[4:5], s[8:9]
	s_or_b64 exec, exec, s[6:7]
	s_and_saveexec_b64 s[6:7], s[4:5]
	s_cbranch_execnz .LBB38_391
	s_branch .LBB38_392
.LBB38_2441:
	s_movk_i32 s4, 0x80
	v_cmp_eq_u16_sdwa s[12:13], v11, s4 src0_sel:BYTE_0 src1_sel:DWORD
	s_mov_b64 s[4:5], -1
                                        ; implicit-def: $sgpr10
	s_and_saveexec_b64 s[8:9], s[12:13]
; %bb.2442:
	s_mov_b32 s10, 0x7f800001
	s_xor_b64 s[4:5], exec, -1
; %bb.2443:
	s_or_b64 exec, exec, s[8:9]
	s_and_b64 s[4:5], s[4:5], exec
	s_or_saveexec_b64 s[6:7], s[6:7]
	v_mov_b32_e32 v10, s10
	s_xor_b64 exec, exec, s[6:7]
	s_cbranch_execz .LBB38_394
.LBB38_2444:
	v_mov_b32_e32 v10, 0
	v_cmp_ne_u16_sdwa s[8:9], v11, v10 src0_sel:BYTE_0 src1_sel:DWORD
	s_andn2_b64 s[4:5], s[4:5], exec
	s_and_b64 s[8:9], s[8:9], exec
	s_or_b64 s[4:5], s[4:5], s[8:9]
	s_or_b64 exec, exec, s[6:7]
	s_and_saveexec_b64 s[6:7], s[4:5]
	s_cbranch_execnz .LBB38_395
	s_branch .LBB38_396
.LBB38_2445:
	s_movk_i32 s4, 0x80
	v_cmp_eq_u16_sdwa s[12:13], v11, s4 src0_sel:BYTE_0 src1_sel:DWORD
	s_mov_b64 s[4:5], -1
                                        ; implicit-def: $sgpr10
	s_and_saveexec_b64 s[8:9], s[12:13]
; %bb.2446:
	s_mov_b32 s10, 0x7f800001
	s_xor_b64 s[4:5], exec, -1
; %bb.2447:
	s_or_b64 exec, exec, s[8:9]
	s_and_b64 s[4:5], s[4:5], exec
	s_or_saveexec_b64 s[6:7], s[6:7]
	v_mov_b32_e32 v12, s10
	s_xor_b64 exec, exec, s[6:7]
	s_cbranch_execz .LBB38_398
.LBB38_2448:
	v_mov_b32_e32 v12, 0
	v_cmp_ne_u16_sdwa s[8:9], v11, v12 src0_sel:BYTE_0 src1_sel:DWORD
	s_andn2_b64 s[4:5], s[4:5], exec
	s_and_b64 s[8:9], s[8:9], exec
	s_or_b64 s[4:5], s[4:5], s[8:9]
	s_or_b64 exec, exec, s[6:7]
	s_and_saveexec_b64 s[6:7], s[4:5]
	s_cbranch_execnz .LBB38_399
	s_branch .LBB38_400
.LBB38_2449:
	s_movk_i32 s4, 0x80
	v_cmp_eq_u16_e32 vcc, s4, v11
	s_mov_b64 s[4:5], -1
                                        ; implicit-def: $sgpr10
	s_and_saveexec_b64 s[8:9], vcc
; %bb.2450:
	s_mov_b32 s10, 0x7f800001
	s_xor_b64 s[4:5], exec, -1
; %bb.2451:
	s_or_b64 exec, exec, s[8:9]
	s_and_b64 s[4:5], s[4:5], exec
                                        ; implicit-def: $vgpr11
	s_or_saveexec_b64 s[6:7], s[6:7]
	v_mov_b32_e32 v10, s10
	s_xor_b64 exec, exec, s[6:7]
	s_cbranch_execz .LBB38_402
.LBB38_2452:
	v_cmp_ne_u16_e32 vcc, 0, v11
	s_andn2_b64 s[4:5], s[4:5], exec
	s_and_b64 s[8:9], vcc, exec
	v_mov_b32_e32 v10, 0
	s_or_b64 s[4:5], s[4:5], s[8:9]
	s_or_b64 exec, exec, s[6:7]
	s_and_saveexec_b64 s[6:7], s[4:5]
	s_cbranch_execnz .LBB38_403
	s_branch .LBB38_404
.LBB38_2453:
	s_movk_i32 s4, 0x80
	v_cmp_eq_u16_e32 vcc, s4, v11
	s_mov_b64 s[4:5], -1
                                        ; implicit-def: $sgpr10
	s_and_saveexec_b64 s[8:9], vcc
; %bb.2454:
	s_mov_b32 s10, 0x7f800001
	s_xor_b64 s[4:5], exec, -1
; %bb.2455:
	s_or_b64 exec, exec, s[8:9]
	s_and_b64 s[4:5], s[4:5], exec
                                        ; implicit-def: $vgpr11
	s_or_saveexec_b64 s[6:7], s[6:7]
	v_mov_b32_e32 v12, s10
	s_xor_b64 exec, exec, s[6:7]
	s_cbranch_execz .LBB38_406
.LBB38_2456:
	v_cmp_ne_u16_e32 vcc, 0, v11
	s_andn2_b64 s[4:5], s[4:5], exec
	s_and_b64 s[8:9], vcc, exec
	v_mov_b32_e32 v12, 0
	s_or_b64 s[4:5], s[4:5], s[8:9]
	s_or_b64 exec, exec, s[6:7]
	s_and_saveexec_b64 s[6:7], s[4:5]
	s_cbranch_execnz .LBB38_407
	s_branch .LBB38_408
.LBB38_2457:
	s_movk_i32 s4, 0x80
	v_cmp_eq_u16_sdwa s[12:13], v6, s4 src0_sel:BYTE_3 src1_sel:DWORD
	s_mov_b64 s[4:5], -1
                                        ; implicit-def: $sgpr10
	s_and_saveexec_b64 s[8:9], s[12:13]
; %bb.2458:
	s_mov_b32 s10, 0x7f800001
	s_xor_b64 s[4:5], exec, -1
; %bb.2459:
	s_or_b64 exec, exec, s[8:9]
	s_and_b64 s[4:5], s[4:5], exec
	s_or_saveexec_b64 s[6:7], s[6:7]
	v_mov_b32_e32 v10, s10
	s_xor_b64 exec, exec, s[6:7]
	s_cbranch_execz .LBB38_410
.LBB38_2460:
	v_mov_b32_e32 v10, 0
	v_cmp_ne_u16_sdwa s[8:9], v6, v10 src0_sel:BYTE_3 src1_sel:DWORD
	s_andn2_b64 s[4:5], s[4:5], exec
	s_and_b64 s[8:9], s[8:9], exec
	s_or_b64 s[4:5], s[4:5], s[8:9]
	s_or_b64 exec, exec, s[6:7]
	s_and_saveexec_b64 s[6:7], s[4:5]
	s_cbranch_execnz .LBB38_411
	s_branch .LBB38_412
.LBB38_2461:
	s_movk_i32 s4, 0x80
	v_cmp_eq_u16_sdwa s[12:13], v2, s4 src0_sel:BYTE_3 src1_sel:DWORD
	s_mov_b64 s[4:5], -1
                                        ; implicit-def: $sgpr10
	s_and_saveexec_b64 s[8:9], s[12:13]
; %bb.2462:
	s_mov_b32 s10, 0x7f800001
	s_xor_b64 s[4:5], exec, -1
; %bb.2463:
	s_or_b64 exec, exec, s[8:9]
	s_and_b64 s[4:5], s[4:5], exec
	s_or_saveexec_b64 s[6:7], s[6:7]
	v_mov_b32_e32 v6, s10
	s_xor_b64 exec, exec, s[6:7]
	s_cbranch_execz .LBB38_414
.LBB38_2464:
	v_mov_b32_e32 v6, 0
	v_cmp_ne_u16_sdwa s[8:9], v2, v6 src0_sel:BYTE_3 src1_sel:DWORD
	s_andn2_b64 s[4:5], s[4:5], exec
	s_and_b64 s[8:9], s[8:9], exec
	s_or_b64 s[4:5], s[4:5], s[8:9]
	s_or_b64 exec, exec, s[6:7]
	s_and_saveexec_b64 s[6:7], s[4:5]
	s_cbranch_execnz .LBB38_415
	s_branch .LBB38_416
.LBB38_2465:
	s_movk_i32 s4, 0x80
	v_cmp_eq_u16_sdwa s[12:13], v7, s4 src0_sel:BYTE_0 src1_sel:DWORD
	s_mov_b64 s[4:5], -1
                                        ; implicit-def: $sgpr10
	s_and_saveexec_b64 s[8:9], s[12:13]
; %bb.2466:
	s_mov_b32 s10, 0x7f800001
	s_xor_b64 s[4:5], exec, -1
; %bb.2467:
	s_or_b64 exec, exec, s[8:9]
	s_and_b64 s[4:5], s[4:5], exec
	s_or_saveexec_b64 s[6:7], s[6:7]
	v_mov_b32_e32 v2, s10
	s_xor_b64 exec, exec, s[6:7]
	s_cbranch_execz .LBB38_418
.LBB38_2468:
	v_mov_b32_e32 v2, 0
	v_cmp_ne_u16_sdwa s[8:9], v7, v2 src0_sel:BYTE_0 src1_sel:DWORD
	s_andn2_b64 s[4:5], s[4:5], exec
	s_and_b64 s[8:9], s[8:9], exec
	s_or_b64 s[4:5], s[4:5], s[8:9]
	s_or_b64 exec, exec, s[6:7]
	s_and_saveexec_b64 s[6:7], s[4:5]
	s_cbranch_execnz .LBB38_419
	s_branch .LBB38_420
.LBB38_2469:
	s_movk_i32 s4, 0x80
	v_cmp_eq_u16_sdwa s[12:13], v3, s4 src0_sel:BYTE_0 src1_sel:DWORD
	s_mov_b64 s[4:5], -1
                                        ; implicit-def: $sgpr10
	s_and_saveexec_b64 s[8:9], s[12:13]
; %bb.2470:
	s_mov_b32 s10, 0x7f800001
	s_xor_b64 s[4:5], exec, -1
; %bb.2471:
	s_or_b64 exec, exec, s[8:9]
	s_and_b64 s[4:5], s[4:5], exec
	s_or_saveexec_b64 s[6:7], s[6:7]
	v_mov_b32_e32 v6, s10
	s_xor_b64 exec, exec, s[6:7]
	s_cbranch_execz .LBB38_422
.LBB38_2472:
	v_mov_b32_e32 v6, 0
	v_cmp_ne_u16_sdwa s[8:9], v3, v6 src0_sel:BYTE_0 src1_sel:DWORD
	s_andn2_b64 s[4:5], s[4:5], exec
	s_and_b64 s[8:9], s[8:9], exec
	s_or_b64 s[4:5], s[4:5], s[8:9]
	s_or_b64 exec, exec, s[6:7]
	s_and_saveexec_b64 s[6:7], s[4:5]
	s_cbranch_execnz .LBB38_423
	s_branch .LBB38_424
.LBB38_2473:
	s_movk_i32 s4, 0x80
	v_cmp_eq_u16_sdwa s[12:13], v6, s4 src0_sel:BYTE_0 src1_sel:DWORD
	s_mov_b64 s[4:5], -1
                                        ; implicit-def: $sgpr10
	s_and_saveexec_b64 s[8:9], s[12:13]
; %bb.2474:
	s_mov_b32 s10, 0x7f800001
	s_xor_b64 s[4:5], exec, -1
; %bb.2475:
	s_or_b64 exec, exec, s[8:9]
	s_and_b64 s[4:5], s[4:5], exec
	s_or_saveexec_b64 s[6:7], s[6:7]
	v_mov_b32_e32 v2, s10
	s_xor_b64 exec, exec, s[6:7]
	s_cbranch_execz .LBB38_426
.LBB38_2476:
	v_mov_b32_e32 v2, 0
	v_cmp_ne_u16_sdwa s[8:9], v6, v2 src0_sel:BYTE_0 src1_sel:DWORD
	s_andn2_b64 s[4:5], s[4:5], exec
	s_and_b64 s[8:9], s[8:9], exec
	s_or_b64 s[4:5], s[4:5], s[8:9]
	s_or_b64 exec, exec, s[6:7]
	s_and_saveexec_b64 s[6:7], s[4:5]
	s_cbranch_execnz .LBB38_427
	s_branch .LBB38_428
.LBB38_2477:
	s_movk_i32 s4, 0x80
	v_cmp_eq_u16_sdwa s[12:13], v6, s4 src0_sel:BYTE_0 src1_sel:DWORD
	s_mov_b64 s[4:5], -1
                                        ; implicit-def: $sgpr10
	s_and_saveexec_b64 s[8:9], s[12:13]
; %bb.2478:
	s_mov_b32 s10, 0x7f800001
	s_xor_b64 s[4:5], exec, -1
; %bb.2479:
	s_or_b64 exec, exec, s[8:9]
	s_and_b64 s[4:5], s[4:5], exec
	s_or_saveexec_b64 s[6:7], s[6:7]
	v_mov_b32_e32 v10, s10
	s_xor_b64 exec, exec, s[6:7]
	s_cbranch_execz .LBB38_430
.LBB38_2480:
	v_mov_b32_e32 v10, 0
	v_cmp_ne_u16_sdwa s[8:9], v6, v10 src0_sel:BYTE_0 src1_sel:DWORD
	s_andn2_b64 s[4:5], s[4:5], exec
	s_and_b64 s[8:9], s[8:9], exec
	s_or_b64 s[4:5], s[4:5], s[8:9]
	s_or_b64 exec, exec, s[6:7]
	s_and_saveexec_b64 s[6:7], s[4:5]
	s_cbranch_execnz .LBB38_431
	s_branch .LBB38_432
.LBB38_2481:
	s_movk_i32 s4, 0x80
	v_cmp_eq_u16_e32 vcc, s4, v6
	s_mov_b64 s[4:5], -1
                                        ; implicit-def: $sgpr10
	s_and_saveexec_b64 s[8:9], vcc
; %bb.2482:
	s_mov_b32 s10, 0x7f800001
	s_xor_b64 s[4:5], exec, -1
; %bb.2483:
	s_or_b64 exec, exec, s[8:9]
	s_and_b64 s[4:5], s[4:5], exec
                                        ; implicit-def: $vgpr6
	s_or_saveexec_b64 s[6:7], s[6:7]
	v_mov_b32_e32 v2, s10
	s_xor_b64 exec, exec, s[6:7]
	s_cbranch_execz .LBB38_434
.LBB38_2484:
	v_cmp_ne_u16_e32 vcc, 0, v6
	s_andn2_b64 s[4:5], s[4:5], exec
	s_and_b64 s[8:9], vcc, exec
	v_mov_b32_e32 v2, 0
	s_or_b64 s[4:5], s[4:5], s[8:9]
	s_or_b64 exec, exec, s[6:7]
	s_and_saveexec_b64 s[6:7], s[4:5]
	s_cbranch_execnz .LBB38_435
	s_branch .LBB38_436
.LBB38_2485:
	s_movk_i32 s4, 0x80
	v_cmp_eq_u16_e32 vcc, s4, v6
	s_mov_b64 s[4:5], -1
                                        ; implicit-def: $sgpr10
	s_and_saveexec_b64 s[8:9], vcc
; %bb.2486:
	s_mov_b32 s10, 0x7f800001
	s_xor_b64 s[4:5], exec, -1
; %bb.2487:
	s_or_b64 exec, exec, s[8:9]
	s_and_b64 s[4:5], s[4:5], exec
                                        ; implicit-def: $vgpr6
	s_or_saveexec_b64 s[6:7], s[6:7]
	v_mov_b32_e32 v10, s10
	s_xor_b64 exec, exec, s[6:7]
	s_cbranch_execz .LBB38_438
.LBB38_2488:
	v_cmp_ne_u16_e32 vcc, 0, v6
	s_andn2_b64 s[4:5], s[4:5], exec
	s_and_b64 s[8:9], vcc, exec
	v_mov_b32_e32 v10, 0
	s_or_b64 s[4:5], s[4:5], s[8:9]
	s_or_b64 exec, exec, s[6:7]
	s_and_saveexec_b64 s[6:7], s[4:5]
	s_cbranch_execnz .LBB38_439
	s_branch .LBB38_440
.LBB38_2489:
	s_movk_i32 s4, 0x80
	v_cmp_eq_u16_sdwa s[12:13], v7, s4 src0_sel:BYTE_3 src1_sel:DWORD
	s_mov_b64 s[4:5], -1
                                        ; implicit-def: $sgpr10
	s_and_saveexec_b64 s[8:9], s[12:13]
; %bb.2490:
	s_mov_b32 s10, 0x7f800001
	s_xor_b64 s[4:5], exec, -1
; %bb.2491:
	s_or_b64 exec, exec, s[8:9]
	s_and_b64 s[4:5], s[4:5], exec
	s_or_saveexec_b64 s[6:7], s[6:7]
	v_mov_b32_e32 v2, s10
	s_xor_b64 exec, exec, s[6:7]
	s_cbranch_execz .LBB38_442
.LBB38_2492:
	v_mov_b32_e32 v2, 0
	v_cmp_ne_u16_sdwa s[8:9], v7, v2 src0_sel:BYTE_3 src1_sel:DWORD
	s_andn2_b64 s[4:5], s[4:5], exec
	s_and_b64 s[8:9], s[8:9], exec
	s_or_b64 s[4:5], s[4:5], s[8:9]
	s_or_b64 exec, exec, s[6:7]
	s_and_saveexec_b64 s[6:7], s[4:5]
	s_cbranch_execnz .LBB38_443
	s_branch .LBB38_444
.LBB38_2493:
	s_movk_i32 s4, 0x80
	v_cmp_eq_u16_sdwa s[12:13], v3, s4 src0_sel:BYTE_3 src1_sel:DWORD
	s_mov_b64 s[4:5], -1
                                        ; implicit-def: $sgpr10
	s_and_saveexec_b64 s[8:9], s[12:13]
; %bb.2494:
	s_mov_b32 s10, 0x7f800001
	s_xor_b64 s[4:5], exec, -1
; %bb.2495:
	s_or_b64 exec, exec, s[8:9]
	s_and_b64 s[4:5], s[4:5], exec
	s_or_saveexec_b64 s[6:7], s[6:7]
	v_mov_b32_e32 v6, s10
	s_xor_b64 exec, exec, s[6:7]
	s_cbranch_execz .LBB38_446
.LBB38_2496:
	v_mov_b32_e32 v6, 0
	v_cmp_ne_u16_sdwa s[8:9], v3, v6 src0_sel:BYTE_3 src1_sel:DWORD
	s_andn2_b64 s[4:5], s[4:5], exec
	s_and_b64 s[8:9], s[8:9], exec
	s_or_b64 s[4:5], s[4:5], s[8:9]
	s_or_b64 exec, exec, s[6:7]
	s_and_saveexec_b64 s[6:7], s[4:5]
	s_cbranch_execnz .LBB38_447
	s_branch .LBB38_448
.LBB38_2497:
	s_movk_i32 s4, 0x80
	v_cmp_eq_u16_sdwa s[12:13], v8, s4 src0_sel:BYTE_0 src1_sel:DWORD
	s_mov_b64 s[4:5], -1
                                        ; implicit-def: $sgpr10
	s_and_saveexec_b64 s[8:9], s[12:13]
; %bb.2498:
	s_mov_b32 s10, 0x7f800001
	s_xor_b64 s[4:5], exec, -1
; %bb.2499:
	s_or_b64 exec, exec, s[8:9]
	s_and_b64 s[4:5], s[4:5], exec
	s_or_saveexec_b64 s[6:7], s[6:7]
	v_mov_b32_e32 v2, s10
	s_xor_b64 exec, exec, s[6:7]
	s_cbranch_execz .LBB38_450
.LBB38_2500:
	v_mov_b32_e32 v2, 0
	v_cmp_ne_u16_sdwa s[8:9], v8, v2 src0_sel:BYTE_0 src1_sel:DWORD
	s_andn2_b64 s[4:5], s[4:5], exec
	s_and_b64 s[8:9], s[8:9], exec
	s_or_b64 s[4:5], s[4:5], s[8:9]
	s_or_b64 exec, exec, s[6:7]
	s_and_saveexec_b64 s[6:7], s[4:5]
	s_cbranch_execnz .LBB38_451
	s_branch .LBB38_452
.LBB38_2501:
	s_movk_i32 s4, 0x80
	v_cmp_eq_u16_sdwa s[12:13], v4, s4 src0_sel:BYTE_0 src1_sel:DWORD
	s_mov_b64 s[4:5], -1
                                        ; implicit-def: $sgpr10
	s_and_saveexec_b64 s[8:9], s[12:13]
; %bb.2502:
	s_mov_b32 s10, 0x7f800001
	s_xor_b64 s[4:5], exec, -1
; %bb.2503:
	s_or_b64 exec, exec, s[8:9]
	s_and_b64 s[4:5], s[4:5], exec
	s_or_saveexec_b64 s[6:7], s[6:7]
	v_mov_b32_e32 v3, s10
	s_xor_b64 exec, exec, s[6:7]
	s_cbranch_execz .LBB38_454
.LBB38_2504:
	v_mov_b32_e32 v3, 0
	v_cmp_ne_u16_sdwa s[8:9], v4, v3 src0_sel:BYTE_0 src1_sel:DWORD
	s_andn2_b64 s[4:5], s[4:5], exec
	s_and_b64 s[8:9], s[8:9], exec
	s_or_b64 s[4:5], s[4:5], s[8:9]
	s_or_b64 exec, exec, s[6:7]
	s_and_saveexec_b64 s[6:7], s[4:5]
	s_cbranch_execnz .LBB38_455
	s_branch .LBB38_456
.LBB38_2505:
	s_movk_i32 s4, 0x80
	v_cmp_eq_u16_sdwa s[12:13], v3, s4 src0_sel:BYTE_0 src1_sel:DWORD
	s_mov_b64 s[4:5], -1
                                        ; implicit-def: $sgpr10
	s_and_saveexec_b64 s[8:9], s[12:13]
; %bb.2506:
	s_mov_b32 s10, 0x7f800001
	s_xor_b64 s[4:5], exec, -1
; %bb.2507:
	s_or_b64 exec, exec, s[8:9]
	s_and_b64 s[4:5], s[4:5], exec
	s_or_saveexec_b64 s[6:7], s[6:7]
	v_mov_b32_e32 v2, s10
	s_xor_b64 exec, exec, s[6:7]
	s_cbranch_execz .LBB38_458
.LBB38_2508:
	v_mov_b32_e32 v2, 0
	v_cmp_ne_u16_sdwa s[8:9], v3, v2 src0_sel:BYTE_0 src1_sel:DWORD
	s_andn2_b64 s[4:5], s[4:5], exec
	s_and_b64 s[8:9], s[8:9], exec
	s_or_b64 s[4:5], s[4:5], s[8:9]
	s_or_b64 exec, exec, s[6:7]
	s_and_saveexec_b64 s[6:7], s[4:5]
	s_cbranch_execnz .LBB38_459
	s_branch .LBB38_460
.LBB38_2509:
	s_movk_i32 s4, 0x80
	v_cmp_eq_u16_sdwa s[12:13], v3, s4 src0_sel:BYTE_0 src1_sel:DWORD
	s_mov_b64 s[4:5], -1
                                        ; implicit-def: $sgpr10
	s_and_saveexec_b64 s[8:9], s[12:13]
; %bb.2510:
	s_mov_b32 s10, 0x7f800001
	s_xor_b64 s[4:5], exec, -1
; %bb.2511:
	s_or_b64 exec, exec, s[8:9]
	s_and_b64 s[4:5], s[4:5], exec
	s_or_saveexec_b64 s[6:7], s[6:7]
	v_mov_b32_e32 v6, s10
	s_xor_b64 exec, exec, s[6:7]
	s_cbranch_execz .LBB38_462
.LBB38_2512:
	v_mov_b32_e32 v6, 0
	v_cmp_ne_u16_sdwa s[8:9], v3, v6 src0_sel:BYTE_0 src1_sel:DWORD
	s_andn2_b64 s[4:5], s[4:5], exec
	s_and_b64 s[8:9], s[8:9], exec
	s_or_b64 s[4:5], s[4:5], s[8:9]
	s_or_b64 exec, exec, s[6:7]
	s_and_saveexec_b64 s[6:7], s[4:5]
	s_cbranch_execnz .LBB38_463
	s_branch .LBB38_464
.LBB38_2513:
	s_movk_i32 s4, 0x80
	v_cmp_eq_u16_e32 vcc, s4, v3
	s_mov_b64 s[4:5], -1
                                        ; implicit-def: $sgpr10
	s_and_saveexec_b64 s[8:9], vcc
; %bb.2514:
	s_mov_b32 s10, 0x7f800001
	s_xor_b64 s[4:5], exec, -1
; %bb.2515:
	s_or_b64 exec, exec, s[8:9]
	s_and_b64 s[4:5], s[4:5], exec
                                        ; implicit-def: $vgpr3
	s_or_saveexec_b64 s[6:7], s[6:7]
	v_mov_b32_e32 v2, s10
	s_xor_b64 exec, exec, s[6:7]
	s_cbranch_execz .LBB38_466
.LBB38_2516:
	v_cmp_ne_u16_e32 vcc, 0, v3
	s_andn2_b64 s[4:5], s[4:5], exec
	s_and_b64 s[8:9], vcc, exec
	v_mov_b32_e32 v2, 0
	s_or_b64 s[4:5], s[4:5], s[8:9]
	s_or_b64 exec, exec, s[6:7]
	s_and_saveexec_b64 s[6:7], s[4:5]
	s_cbranch_execnz .LBB38_467
	s_branch .LBB38_468
.LBB38_2517:
	s_movk_i32 s4, 0x80
	v_cmp_eq_u16_e32 vcc, s4, v3
	s_mov_b64 s[4:5], -1
                                        ; implicit-def: $sgpr10
	s_and_saveexec_b64 s[8:9], vcc
; %bb.2518:
	s_mov_b32 s10, 0x7f800001
	s_xor_b64 s[4:5], exec, -1
; %bb.2519:
	s_or_b64 exec, exec, s[8:9]
	s_and_b64 s[4:5], s[4:5], exec
                                        ; implicit-def: $vgpr3
	s_or_saveexec_b64 s[6:7], s[6:7]
	v_mov_b32_e32 v6, s10
	s_xor_b64 exec, exec, s[6:7]
	s_cbranch_execz .LBB38_470
.LBB38_2520:
	v_cmp_ne_u16_e32 vcc, 0, v3
	s_andn2_b64 s[4:5], s[4:5], exec
	s_and_b64 s[8:9], vcc, exec
	v_mov_b32_e32 v6, 0
	s_or_b64 s[4:5], s[4:5], s[8:9]
	s_or_b64 exec, exec, s[6:7]
	s_and_saveexec_b64 s[6:7], s[4:5]
	s_cbranch_execnz .LBB38_471
	s_branch .LBB38_472
.LBB38_2521:
	s_movk_i32 s4, 0x80
	v_cmp_eq_u16_sdwa s[12:13], v8, s4 src0_sel:BYTE_3 src1_sel:DWORD
	s_mov_b64 s[4:5], -1
                                        ; implicit-def: $sgpr10
	s_and_saveexec_b64 s[8:9], s[12:13]
; %bb.2522:
	s_mov_b32 s10, 0x7f800001
	s_xor_b64 s[4:5], exec, -1
; %bb.2523:
	s_or_b64 exec, exec, s[8:9]
	s_and_b64 s[4:5], s[4:5], exec
	s_or_saveexec_b64 s[6:7], s[6:7]
	v_mov_b32_e32 v2, s10
	s_xor_b64 exec, exec, s[6:7]
	s_cbranch_execz .LBB38_474
.LBB38_2524:
	v_mov_b32_e32 v2, 0
	v_cmp_ne_u16_sdwa s[8:9], v8, v2 src0_sel:BYTE_3 src1_sel:DWORD
	s_andn2_b64 s[4:5], s[4:5], exec
	s_and_b64 s[8:9], s[8:9], exec
	s_or_b64 s[4:5], s[4:5], s[8:9]
	s_or_b64 exec, exec, s[6:7]
	s_and_saveexec_b64 s[6:7], s[4:5]
	s_cbranch_execnz .LBB38_475
	s_branch .LBB38_476
.LBB38_2525:
	s_movk_i32 s4, 0x80
	v_cmp_eq_u16_sdwa s[12:13], v4, s4 src0_sel:BYTE_3 src1_sel:DWORD
	s_mov_b64 s[4:5], -1
                                        ; implicit-def: $sgpr10
	s_and_saveexec_b64 s[8:9], s[12:13]
; %bb.2526:
	s_mov_b32 s10, 0x7f800001
	s_xor_b64 s[4:5], exec, -1
; %bb.2527:
	s_or_b64 exec, exec, s[8:9]
	s_and_b64 s[4:5], s[4:5], exec
	s_or_saveexec_b64 s[6:7], s[6:7]
	v_mov_b32_e32 v3, s10
	s_xor_b64 exec, exec, s[6:7]
	s_cbranch_execz .LBB38_478
.LBB38_2528:
	v_mov_b32_e32 v3, 0
	v_cmp_ne_u16_sdwa s[8:9], v4, v3 src0_sel:BYTE_3 src1_sel:DWORD
	s_andn2_b64 s[4:5], s[4:5], exec
	s_and_b64 s[8:9], s[8:9], exec
	s_or_b64 s[4:5], s[4:5], s[8:9]
	s_or_b64 exec, exec, s[6:7]
	s_and_saveexec_b64 s[6:7], s[4:5]
	s_cbranch_execnz .LBB38_479
	s_branch .LBB38_480
.LBB38_2529:
	s_movk_i32 s4, 0x80
	v_cmp_eq_u16_sdwa s[12:13], v9, s4 src0_sel:BYTE_0 src1_sel:DWORD
	s_mov_b64 s[4:5], -1
                                        ; implicit-def: $sgpr10
	s_and_saveexec_b64 s[8:9], s[12:13]
; %bb.2530:
	s_mov_b32 s10, 0x7f800001
	s_xor_b64 s[4:5], exec, -1
; %bb.2531:
	s_or_b64 exec, exec, s[8:9]
	s_and_b64 s[4:5], s[4:5], exec
	s_or_saveexec_b64 s[6:7], s[6:7]
	v_mov_b32_e32 v2, s10
	s_xor_b64 exec, exec, s[6:7]
	s_cbranch_execz .LBB38_482
.LBB38_2532:
	v_mov_b32_e32 v2, 0
	v_cmp_ne_u16_sdwa s[8:9], v9, v2 src0_sel:BYTE_0 src1_sel:DWORD
	s_andn2_b64 s[4:5], s[4:5], exec
	s_and_b64 s[8:9], s[8:9], exec
	s_or_b64 s[4:5], s[4:5], s[8:9]
	s_or_b64 exec, exec, s[6:7]
	s_and_saveexec_b64 s[6:7], s[4:5]
	s_cbranch_execnz .LBB38_483
	s_branch .LBB38_484
.LBB38_2533:
	s_movk_i32 s4, 0x80
	v_cmp_eq_u16_sdwa s[12:13], v5, s4 src0_sel:BYTE_0 src1_sel:DWORD
	s_mov_b64 s[4:5], -1
                                        ; implicit-def: $sgpr10
	s_and_saveexec_b64 s[8:9], s[12:13]
; %bb.2534:
	s_mov_b32 s10, 0x7f800001
	s_xor_b64 s[4:5], exec, -1
; %bb.2535:
	s_or_b64 exec, exec, s[8:9]
	s_and_b64 s[4:5], s[4:5], exec
	s_or_saveexec_b64 s[6:7], s[6:7]
	v_mov_b32_e32 v3, s10
	s_xor_b64 exec, exec, s[6:7]
	s_cbranch_execz .LBB38_486
.LBB38_2536:
	v_mov_b32_e32 v3, 0
	v_cmp_ne_u16_sdwa s[8:9], v5, v3 src0_sel:BYTE_0 src1_sel:DWORD
	s_andn2_b64 s[4:5], s[4:5], exec
	s_and_b64 s[8:9], s[8:9], exec
	s_or_b64 s[4:5], s[4:5], s[8:9]
	s_or_b64 exec, exec, s[6:7]
	s_and_saveexec_b64 s[6:7], s[4:5]
	s_cbranch_execnz .LBB38_487
	s_branch .LBB38_488
.LBB38_2537:
	s_movk_i32 s4, 0x80
	v_cmp_eq_u16_sdwa s[12:13], v3, s4 src0_sel:BYTE_0 src1_sel:DWORD
	s_mov_b64 s[4:5], -1
                                        ; implicit-def: $sgpr10
	s_and_saveexec_b64 s[8:9], s[12:13]
; %bb.2538:
	s_mov_b32 s10, 0x7f800001
	s_xor_b64 s[4:5], exec, -1
; %bb.2539:
	s_or_b64 exec, exec, s[8:9]
	s_and_b64 s[4:5], s[4:5], exec
	s_or_saveexec_b64 s[6:7], s[6:7]
	v_mov_b32_e32 v2, s10
	s_xor_b64 exec, exec, s[6:7]
	s_cbranch_execz .LBB38_490
.LBB38_2540:
	v_mov_b32_e32 v2, 0
	v_cmp_ne_u16_sdwa s[8:9], v3, v2 src0_sel:BYTE_0 src1_sel:DWORD
	s_andn2_b64 s[4:5], s[4:5], exec
	s_and_b64 s[8:9], s[8:9], exec
	s_or_b64 s[4:5], s[4:5], s[8:9]
	s_or_b64 exec, exec, s[6:7]
	s_and_saveexec_b64 s[6:7], s[4:5]
	s_cbranch_execnz .LBB38_491
	s_branch .LBB38_492
.LBB38_2541:
	s_movk_i32 s4, 0x80
	v_cmp_eq_u16_sdwa s[12:13], v3, s4 src0_sel:BYTE_0 src1_sel:DWORD
	s_mov_b64 s[4:5], -1
                                        ; implicit-def: $sgpr10
	s_and_saveexec_b64 s[8:9], s[12:13]
; %bb.2542:
	s_mov_b32 s10, 0x7f800001
	s_xor_b64 s[4:5], exec, -1
; %bb.2543:
	s_or_b64 exec, exec, s[8:9]
	s_and_b64 s[4:5], s[4:5], exec
	s_or_saveexec_b64 s[6:7], s[6:7]
	v_mov_b32_e32 v4, s10
	s_xor_b64 exec, exec, s[6:7]
	s_cbranch_execz .LBB38_494
.LBB38_2544:
	v_mov_b32_e32 v4, 0
	v_cmp_ne_u16_sdwa s[8:9], v3, v4 src0_sel:BYTE_0 src1_sel:DWORD
	s_andn2_b64 s[4:5], s[4:5], exec
	s_and_b64 s[8:9], s[8:9], exec
	s_or_b64 s[4:5], s[4:5], s[8:9]
	s_or_b64 exec, exec, s[6:7]
	s_and_saveexec_b64 s[6:7], s[4:5]
	s_cbranch_execnz .LBB38_495
	s_branch .LBB38_496
.LBB38_2545:
	s_movk_i32 s4, 0x80
	v_cmp_eq_u16_e32 vcc, s4, v3
	s_mov_b64 s[4:5], -1
                                        ; implicit-def: $sgpr10
	s_and_saveexec_b64 s[8:9], vcc
; %bb.2546:
	s_mov_b32 s10, 0x7f800001
	s_xor_b64 s[4:5], exec, -1
; %bb.2547:
	s_or_b64 exec, exec, s[8:9]
	s_and_b64 s[4:5], s[4:5], exec
                                        ; implicit-def: $vgpr3
	s_or_saveexec_b64 s[6:7], s[6:7]
	v_mov_b32_e32 v2, s10
	s_xor_b64 exec, exec, s[6:7]
	s_cbranch_execz .LBB38_498
.LBB38_2548:
	v_cmp_ne_u16_e32 vcc, 0, v3
	s_andn2_b64 s[4:5], s[4:5], exec
	s_and_b64 s[8:9], vcc, exec
	v_mov_b32_e32 v2, 0
	s_or_b64 s[4:5], s[4:5], s[8:9]
	s_or_b64 exec, exec, s[6:7]
	s_and_saveexec_b64 s[6:7], s[4:5]
	s_cbranch_execnz .LBB38_499
	s_branch .LBB38_500
.LBB38_2549:
	s_movk_i32 s4, 0x80
	v_cmp_eq_u16_e32 vcc, s4, v3
	s_mov_b64 s[4:5], -1
                                        ; implicit-def: $sgpr10
	s_and_saveexec_b64 s[8:9], vcc
; %bb.2550:
	s_mov_b32 s10, 0x7f800001
	s_xor_b64 s[4:5], exec, -1
; %bb.2551:
	s_or_b64 exec, exec, s[8:9]
	s_and_b64 s[4:5], s[4:5], exec
                                        ; implicit-def: $vgpr3
	s_or_saveexec_b64 s[6:7], s[6:7]
	v_mov_b32_e32 v4, s10
	s_xor_b64 exec, exec, s[6:7]
	s_cbranch_execz .LBB38_502
.LBB38_2552:
	v_cmp_ne_u16_e32 vcc, 0, v3
	s_andn2_b64 s[4:5], s[4:5], exec
	s_and_b64 s[8:9], vcc, exec
	v_mov_b32_e32 v4, 0
	s_or_b64 s[4:5], s[4:5], s[8:9]
	s_or_b64 exec, exec, s[6:7]
	s_and_saveexec_b64 s[6:7], s[4:5]
	s_cbranch_execnz .LBB38_503
	s_branch .LBB38_504
.LBB38_2553:
	s_movk_i32 s4, 0x80
	v_cmp_eq_u16_sdwa s[12:13], v9, s4 src0_sel:BYTE_3 src1_sel:DWORD
	s_mov_b64 s[4:5], -1
                                        ; implicit-def: $sgpr10
	s_and_saveexec_b64 s[8:9], s[12:13]
; %bb.2554:
	s_mov_b32 s10, 0x7f800001
	s_xor_b64 s[4:5], exec, -1
; %bb.2555:
	s_or_b64 exec, exec, s[8:9]
	s_and_b64 s[4:5], s[4:5], exec
	s_or_saveexec_b64 s[6:7], s[6:7]
	v_mov_b32_e32 v2, s10
	s_xor_b64 exec, exec, s[6:7]
	s_cbranch_execz .LBB38_506
.LBB38_2556:
	v_mov_b32_e32 v2, 0
	v_cmp_ne_u16_sdwa s[8:9], v9, v2 src0_sel:BYTE_3 src1_sel:DWORD
	s_andn2_b64 s[4:5], s[4:5], exec
	s_and_b64 s[8:9], s[8:9], exec
	s_or_b64 s[4:5], s[4:5], s[8:9]
	s_or_b64 exec, exec, s[6:7]
	s_and_saveexec_b64 s[6:7], s[4:5]
	s_cbranch_execnz .LBB38_507
	s_branch .LBB38_508
.LBB38_2557:
	s_movk_i32 s4, 0x80
	v_cmp_eq_u16_sdwa s[12:13], v5, s4 src0_sel:BYTE_3 src1_sel:DWORD
	s_mov_b64 s[4:5], -1
                                        ; implicit-def: $sgpr10
	s_and_saveexec_b64 s[8:9], s[12:13]
; %bb.2558:
	s_mov_b32 s10, 0x7f800001
	s_xor_b64 s[4:5], exec, -1
; %bb.2559:
	s_or_b64 exec, exec, s[8:9]
	s_and_b64 s[4:5], s[4:5], exec
	s_or_saveexec_b64 s[6:7], s[6:7]
	v_mov_b32_e32 v3, s10
	s_xor_b64 exec, exec, s[6:7]
	s_cbranch_execz .LBB38_510
.LBB38_2560:
	v_mov_b32_e32 v3, 0
	v_cmp_ne_u16_sdwa s[8:9], v5, v3 src0_sel:BYTE_3 src1_sel:DWORD
	s_andn2_b64 s[4:5], s[4:5], exec
	s_and_b64 s[8:9], s[8:9], exec
	s_or_b64 s[4:5], s[4:5], s[8:9]
	s_or_b64 exec, exec, s[6:7]
	s_and_saveexec_b64 s[6:7], s[4:5]
	s_cbranch_execnz .LBB38_511
	s_branch .LBB38_512
.LBB38_2561:
	s_movk_i32 s4, 0x80
	v_cmp_eq_u16_sdwa s[12:13], v14, s4 src0_sel:BYTE_0 src1_sel:DWORD
	s_mov_b64 s[4:5], -1
                                        ; implicit-def: $sgpr10
	s_and_saveexec_b64 s[8:9], s[12:13]
; %bb.2562:
	s_mov_b32 s10, 0x7f800001
	s_xor_b64 s[4:5], exec, -1
; %bb.2563:
	s_or_b64 exec, exec, s[8:9]
	s_and_b64 s[4:5], s[4:5], exec
	s_or_saveexec_b64 s[6:7], s[6:7]
	v_mov_b32_e32 v20, s10
	s_xor_b64 exec, exec, s[6:7]
	s_cbranch_execz .LBB38_514
.LBB38_2564:
	v_mov_b32_e32 v20, 0
	v_cmp_ne_u16_sdwa s[8:9], v14, v20 src0_sel:BYTE_0 src1_sel:DWORD
	s_andn2_b64 s[4:5], s[4:5], exec
	s_and_b64 s[8:9], s[8:9], exec
	s_or_b64 s[4:5], s[4:5], s[8:9]
	s_or_b64 exec, exec, s[6:7]
	s_and_saveexec_b64 s[6:7], s[4:5]
	s_cbranch_execnz .LBB38_515
	s_branch .LBB38_516
.LBB38_2565:
	s_movk_i32 s4, 0x80
	v_cmp_eq_u16_sdwa s[12:13], v10, s4 src0_sel:BYTE_0 src1_sel:DWORD
	s_mov_b64 s[4:5], -1
                                        ; implicit-def: $sgpr10
	s_and_saveexec_b64 s[8:9], s[12:13]
; %bb.2566:
	s_mov_b32 s10, 0x7f800001
	s_xor_b64 s[4:5], exec, -1
; %bb.2567:
	s_or_b64 exec, exec, s[8:9]
	s_and_b64 s[4:5], s[4:5], exec
	s_or_saveexec_b64 s[6:7], s[6:7]
	v_mov_b32_e32 v21, s10
	s_xor_b64 exec, exec, s[6:7]
	s_cbranch_execz .LBB38_518
.LBB38_2568:
	v_mov_b32_e32 v21, 0
	v_cmp_ne_u16_sdwa s[8:9], v10, v21 src0_sel:BYTE_0 src1_sel:DWORD
	s_andn2_b64 s[4:5], s[4:5], exec
	s_and_b64 s[8:9], s[8:9], exec
	s_or_b64 s[4:5], s[4:5], s[8:9]
	s_or_b64 exec, exec, s[6:7]
	s_and_saveexec_b64 s[6:7], s[4:5]
	s_cbranch_execnz .LBB38_519
	s_branch .LBB38_520
.LBB38_2569:
	s_movk_i32 s4, 0x80
	v_cmp_eq_u16_sdwa s[12:13], v21, s4 src0_sel:BYTE_0 src1_sel:DWORD
	s_mov_b64 s[4:5], -1
                                        ; implicit-def: $sgpr10
	s_and_saveexec_b64 s[8:9], s[12:13]
; %bb.2570:
	s_mov_b32 s10, 0x7f800001
	s_xor_b64 s[4:5], exec, -1
; %bb.2571:
	s_or_b64 exec, exec, s[8:9]
	s_and_b64 s[4:5], s[4:5], exec
	s_or_saveexec_b64 s[6:7], s[6:7]
	v_mov_b32_e32 v20, s10
	s_xor_b64 exec, exec, s[6:7]
	s_cbranch_execz .LBB38_522
.LBB38_2572:
	v_mov_b32_e32 v20, 0
	v_cmp_ne_u16_sdwa s[8:9], v21, v20 src0_sel:BYTE_0 src1_sel:DWORD
	s_andn2_b64 s[4:5], s[4:5], exec
	s_and_b64 s[8:9], s[8:9], exec
	s_or_b64 s[4:5], s[4:5], s[8:9]
	s_or_b64 exec, exec, s[6:7]
	s_and_saveexec_b64 s[6:7], s[4:5]
	s_cbranch_execnz .LBB38_523
	s_branch .LBB38_524
.LBB38_2573:
	s_movk_i32 s4, 0x80
	v_cmp_eq_u16_sdwa s[12:13], v21, s4 src0_sel:BYTE_0 src1_sel:DWORD
	s_mov_b64 s[4:5], -1
                                        ; implicit-def: $sgpr10
	s_and_saveexec_b64 s[8:9], s[12:13]
; %bb.2574:
	s_mov_b32 s10, 0x7f800001
	s_xor_b64 s[4:5], exec, -1
; %bb.2575:
	s_or_b64 exec, exec, s[8:9]
	s_and_b64 s[4:5], s[4:5], exec
	s_or_saveexec_b64 s[6:7], s[6:7]
	v_mov_b32_e32 v22, s10
	s_xor_b64 exec, exec, s[6:7]
	s_cbranch_execz .LBB38_526
.LBB38_2576:
	v_mov_b32_e32 v22, 0
	v_cmp_ne_u16_sdwa s[8:9], v21, v22 src0_sel:BYTE_0 src1_sel:DWORD
	s_andn2_b64 s[4:5], s[4:5], exec
	s_and_b64 s[8:9], s[8:9], exec
	s_or_b64 s[4:5], s[4:5], s[8:9]
	s_or_b64 exec, exec, s[6:7]
	s_and_saveexec_b64 s[6:7], s[4:5]
	s_cbranch_execnz .LBB38_527
	s_branch .LBB38_528
.LBB38_2577:
	s_movk_i32 s4, 0x80
	v_cmp_eq_u16_e32 vcc, s4, v21
	s_mov_b64 s[4:5], -1
                                        ; implicit-def: $sgpr10
	s_and_saveexec_b64 s[8:9], vcc
; %bb.2578:
	s_mov_b32 s10, 0x7f800001
	s_xor_b64 s[4:5], exec, -1
; %bb.2579:
	s_or_b64 exec, exec, s[8:9]
	s_and_b64 s[4:5], s[4:5], exec
                                        ; implicit-def: $vgpr21
	s_or_saveexec_b64 s[6:7], s[6:7]
	v_mov_b32_e32 v20, s10
	s_xor_b64 exec, exec, s[6:7]
	s_cbranch_execz .LBB38_530
.LBB38_2580:
	v_cmp_ne_u16_e32 vcc, 0, v21
	s_andn2_b64 s[4:5], s[4:5], exec
	s_and_b64 s[8:9], vcc, exec
	v_mov_b32_e32 v20, 0
	s_or_b64 s[4:5], s[4:5], s[8:9]
	s_or_b64 exec, exec, s[6:7]
	s_and_saveexec_b64 s[6:7], s[4:5]
	s_cbranch_execnz .LBB38_531
	s_branch .LBB38_532
.LBB38_2581:
	s_movk_i32 s4, 0x80
	v_cmp_eq_u16_e32 vcc, s4, v21
	s_mov_b64 s[4:5], -1
                                        ; implicit-def: $sgpr10
	s_and_saveexec_b64 s[8:9], vcc
; %bb.2582:
	s_mov_b32 s10, 0x7f800001
	s_xor_b64 s[4:5], exec, -1
; %bb.2583:
	s_or_b64 exec, exec, s[8:9]
	s_and_b64 s[4:5], s[4:5], exec
                                        ; implicit-def: $vgpr21
	s_or_saveexec_b64 s[6:7], s[6:7]
	v_mov_b32_e32 v22, s10
	s_xor_b64 exec, exec, s[6:7]
	s_cbranch_execz .LBB38_534
.LBB38_2584:
	v_cmp_ne_u16_e32 vcc, 0, v21
	s_andn2_b64 s[4:5], s[4:5], exec
	s_and_b64 s[8:9], vcc, exec
	v_mov_b32_e32 v22, 0
	s_or_b64 s[4:5], s[4:5], s[8:9]
	s_or_b64 exec, exec, s[6:7]
	s_and_saveexec_b64 s[6:7], s[4:5]
	s_cbranch_execnz .LBB38_535
	s_branch .LBB38_536
.LBB38_2585:
	s_movk_i32 s4, 0x80
	v_cmp_eq_u16_sdwa s[12:13], v14, s4 src0_sel:BYTE_3 src1_sel:DWORD
	s_mov_b64 s[4:5], -1
                                        ; implicit-def: $sgpr10
	s_and_saveexec_b64 s[8:9], s[12:13]
; %bb.2586:
	s_mov_b32 s10, 0x7f800001
	s_xor_b64 s[4:5], exec, -1
; %bb.2587:
	s_or_b64 exec, exec, s[8:9]
	s_and_b64 s[4:5], s[4:5], exec
	s_or_saveexec_b64 s[6:7], s[6:7]
	v_mov_b32_e32 v20, s10
	s_xor_b64 exec, exec, s[6:7]
	s_cbranch_execz .LBB38_538
.LBB38_2588:
	v_mov_b32_e32 v20, 0
	v_cmp_ne_u16_sdwa s[8:9], v14, v20 src0_sel:BYTE_3 src1_sel:DWORD
	s_andn2_b64 s[4:5], s[4:5], exec
	s_and_b64 s[8:9], s[8:9], exec
	s_or_b64 s[4:5], s[4:5], s[8:9]
	s_or_b64 exec, exec, s[6:7]
	s_and_saveexec_b64 s[6:7], s[4:5]
	s_cbranch_execnz .LBB38_539
	s_branch .LBB38_540
.LBB38_2589:
	s_movk_i32 s4, 0x80
	v_cmp_eq_u16_sdwa s[12:13], v10, s4 src0_sel:BYTE_3 src1_sel:DWORD
	s_mov_b64 s[4:5], -1
                                        ; implicit-def: $sgpr10
	s_and_saveexec_b64 s[8:9], s[12:13]
; %bb.2590:
	s_mov_b32 s10, 0x7f800001
	s_xor_b64 s[4:5], exec, -1
; %bb.2591:
	s_or_b64 exec, exec, s[8:9]
	s_and_b64 s[4:5], s[4:5], exec
	s_or_saveexec_b64 s[6:7], s[6:7]
	v_mov_b32_e32 v14, s10
	s_xor_b64 exec, exec, s[6:7]
	s_cbranch_execz .LBB38_542
.LBB38_2592:
	v_mov_b32_e32 v14, 0
	v_cmp_ne_u16_sdwa s[8:9], v10, v14 src0_sel:BYTE_3 src1_sel:DWORD
	s_andn2_b64 s[4:5], s[4:5], exec
	s_and_b64 s[8:9], s[8:9], exec
	s_or_b64 s[4:5], s[4:5], s[8:9]
	s_or_b64 exec, exec, s[6:7]
	s_and_saveexec_b64 s[6:7], s[4:5]
	s_cbranch_execnz .LBB38_543
	s_branch .LBB38_544
.LBB38_2593:
	s_movk_i32 s4, 0x80
	v_cmp_eq_u16_sdwa s[12:13], v15, s4 src0_sel:BYTE_0 src1_sel:DWORD
	s_mov_b64 s[4:5], -1
                                        ; implicit-def: $sgpr10
	s_and_saveexec_b64 s[8:9], s[12:13]
; %bb.2594:
	s_mov_b32 s10, 0x7f800001
	s_xor_b64 s[4:5], exec, -1
; %bb.2595:
	s_or_b64 exec, exec, s[8:9]
	s_and_b64 s[4:5], s[4:5], exec
	s_or_saveexec_b64 s[6:7], s[6:7]
	v_mov_b32_e32 v10, s10
	s_xor_b64 exec, exec, s[6:7]
	s_cbranch_execz .LBB38_546
.LBB38_2596:
	v_mov_b32_e32 v10, 0
	v_cmp_ne_u16_sdwa s[8:9], v15, v10 src0_sel:BYTE_0 src1_sel:DWORD
	s_andn2_b64 s[4:5], s[4:5], exec
	s_and_b64 s[8:9], s[8:9], exec
	s_or_b64 s[4:5], s[4:5], s[8:9]
	s_or_b64 exec, exec, s[6:7]
	s_and_saveexec_b64 s[6:7], s[4:5]
	s_cbranch_execnz .LBB38_547
	s_branch .LBB38_548
.LBB38_2597:
	s_movk_i32 s4, 0x80
	v_cmp_eq_u16_sdwa s[12:13], v11, s4 src0_sel:BYTE_0 src1_sel:DWORD
	s_mov_b64 s[4:5], -1
                                        ; implicit-def: $sgpr10
	s_and_saveexec_b64 s[8:9], s[12:13]
; %bb.2598:
	s_mov_b32 s10, 0x7f800001
	s_xor_b64 s[4:5], exec, -1
; %bb.2599:
	s_or_b64 exec, exec, s[8:9]
	s_and_b64 s[4:5], s[4:5], exec
	s_or_saveexec_b64 s[6:7], s[6:7]
	v_mov_b32_e32 v14, s10
	s_xor_b64 exec, exec, s[6:7]
	s_cbranch_execz .LBB38_550
.LBB38_2600:
	v_mov_b32_e32 v14, 0
	v_cmp_ne_u16_sdwa s[8:9], v11, v14 src0_sel:BYTE_0 src1_sel:DWORD
	s_andn2_b64 s[4:5], s[4:5], exec
	s_and_b64 s[8:9], s[8:9], exec
	s_or_b64 s[4:5], s[4:5], s[8:9]
	s_or_b64 exec, exec, s[6:7]
	s_and_saveexec_b64 s[6:7], s[4:5]
	s_cbranch_execnz .LBB38_551
	s_branch .LBB38_552
.LBB38_2601:
	s_movk_i32 s4, 0x80
	v_cmp_eq_u16_sdwa s[12:13], v14, s4 src0_sel:BYTE_0 src1_sel:DWORD
	s_mov_b64 s[4:5], -1
                                        ; implicit-def: $sgpr10
	s_and_saveexec_b64 s[8:9], s[12:13]
; %bb.2602:
	s_mov_b32 s10, 0x7f800001
	s_xor_b64 s[4:5], exec, -1
; %bb.2603:
	s_or_b64 exec, exec, s[8:9]
	s_and_b64 s[4:5], s[4:5], exec
	s_or_saveexec_b64 s[6:7], s[6:7]
	v_mov_b32_e32 v10, s10
	s_xor_b64 exec, exec, s[6:7]
	s_cbranch_execz .LBB38_554
.LBB38_2604:
	v_mov_b32_e32 v10, 0
	v_cmp_ne_u16_sdwa s[8:9], v14, v10 src0_sel:BYTE_0 src1_sel:DWORD
	s_andn2_b64 s[4:5], s[4:5], exec
	s_and_b64 s[8:9], s[8:9], exec
	s_or_b64 s[4:5], s[4:5], s[8:9]
	s_or_b64 exec, exec, s[6:7]
	s_and_saveexec_b64 s[6:7], s[4:5]
	s_cbranch_execnz .LBB38_555
	s_branch .LBB38_556
.LBB38_2605:
	s_movk_i32 s4, 0x80
	v_cmp_eq_u16_sdwa s[12:13], v14, s4 src0_sel:BYTE_0 src1_sel:DWORD
	s_mov_b64 s[4:5], -1
                                        ; implicit-def: $sgpr10
	s_and_saveexec_b64 s[8:9], s[12:13]
; %bb.2606:
	s_mov_b32 s10, 0x7f800001
	s_xor_b64 s[4:5], exec, -1
; %bb.2607:
	s_or_b64 exec, exec, s[8:9]
	s_and_b64 s[4:5], s[4:5], exec
	s_or_saveexec_b64 s[6:7], s[6:7]
	v_mov_b32_e32 v20, s10
	s_xor_b64 exec, exec, s[6:7]
	s_cbranch_execz .LBB38_558
.LBB38_2608:
	v_mov_b32_e32 v20, 0
	v_cmp_ne_u16_sdwa s[8:9], v14, v20 src0_sel:BYTE_0 src1_sel:DWORD
	s_andn2_b64 s[4:5], s[4:5], exec
	s_and_b64 s[8:9], s[8:9], exec
	s_or_b64 s[4:5], s[4:5], s[8:9]
	s_or_b64 exec, exec, s[6:7]
	s_and_saveexec_b64 s[6:7], s[4:5]
	s_cbranch_execnz .LBB38_559
	s_branch .LBB38_560
.LBB38_2609:
	s_movk_i32 s4, 0x80
	v_cmp_eq_u16_e32 vcc, s4, v14
	s_mov_b64 s[4:5], -1
                                        ; implicit-def: $sgpr10
	s_and_saveexec_b64 s[8:9], vcc
; %bb.2610:
	s_mov_b32 s10, 0x7f800001
	s_xor_b64 s[4:5], exec, -1
; %bb.2611:
	s_or_b64 exec, exec, s[8:9]
	s_and_b64 s[4:5], s[4:5], exec
                                        ; implicit-def: $vgpr14
	s_or_saveexec_b64 s[6:7], s[6:7]
	v_mov_b32_e32 v10, s10
	s_xor_b64 exec, exec, s[6:7]
	s_cbranch_execz .LBB38_562
.LBB38_2612:
	v_cmp_ne_u16_e32 vcc, 0, v14
	s_andn2_b64 s[4:5], s[4:5], exec
	s_and_b64 s[8:9], vcc, exec
	v_mov_b32_e32 v10, 0
	s_or_b64 s[4:5], s[4:5], s[8:9]
	s_or_b64 exec, exec, s[6:7]
	s_and_saveexec_b64 s[6:7], s[4:5]
	s_cbranch_execnz .LBB38_563
	s_branch .LBB38_564
.LBB38_2613:
	s_movk_i32 s4, 0x80
	v_cmp_eq_u16_e32 vcc, s4, v14
	s_mov_b64 s[4:5], -1
                                        ; implicit-def: $sgpr10
	s_and_saveexec_b64 s[8:9], vcc
; %bb.2614:
	s_mov_b32 s10, 0x7f800001
	s_xor_b64 s[4:5], exec, -1
; %bb.2615:
	s_or_b64 exec, exec, s[8:9]
	s_and_b64 s[4:5], s[4:5], exec
                                        ; implicit-def: $vgpr14
	s_or_saveexec_b64 s[6:7], s[6:7]
	v_mov_b32_e32 v20, s10
	s_xor_b64 exec, exec, s[6:7]
	s_cbranch_execz .LBB38_566
.LBB38_2616:
	v_cmp_ne_u16_e32 vcc, 0, v14
	s_andn2_b64 s[4:5], s[4:5], exec
	s_and_b64 s[8:9], vcc, exec
	v_mov_b32_e32 v20, 0
	s_or_b64 s[4:5], s[4:5], s[8:9]
	s_or_b64 exec, exec, s[6:7]
	s_and_saveexec_b64 s[6:7], s[4:5]
	s_cbranch_execnz .LBB38_567
	s_branch .LBB38_568
.LBB38_2617:
	s_movk_i32 s4, 0x80
	v_cmp_eq_u16_sdwa s[12:13], v15, s4 src0_sel:BYTE_3 src1_sel:DWORD
	s_mov_b64 s[4:5], -1
                                        ; implicit-def: $sgpr10
	s_and_saveexec_b64 s[8:9], s[12:13]
; %bb.2618:
	s_mov_b32 s10, 0x7f800001
	s_xor_b64 s[4:5], exec, -1
; %bb.2619:
	s_or_b64 exec, exec, s[8:9]
	s_and_b64 s[4:5], s[4:5], exec
	s_or_saveexec_b64 s[6:7], s[6:7]
	v_mov_b32_e32 v10, s10
	s_xor_b64 exec, exec, s[6:7]
	s_cbranch_execz .LBB38_570
.LBB38_2620:
	v_mov_b32_e32 v10, 0
	v_cmp_ne_u16_sdwa s[8:9], v15, v10 src0_sel:BYTE_3 src1_sel:DWORD
	s_andn2_b64 s[4:5], s[4:5], exec
	s_and_b64 s[8:9], s[8:9], exec
	s_or_b64 s[4:5], s[4:5], s[8:9]
	s_or_b64 exec, exec, s[6:7]
	s_and_saveexec_b64 s[6:7], s[4:5]
	s_cbranch_execnz .LBB38_571
	s_branch .LBB38_572
.LBB38_2621:
	s_movk_i32 s4, 0x80
	v_cmp_eq_u16_sdwa s[12:13], v11, s4 src0_sel:BYTE_3 src1_sel:DWORD
	s_mov_b64 s[4:5], -1
                                        ; implicit-def: $sgpr10
	s_and_saveexec_b64 s[8:9], s[12:13]
; %bb.2622:
	s_mov_b32 s10, 0x7f800001
	s_xor_b64 s[4:5], exec, -1
; %bb.2623:
	s_or_b64 exec, exec, s[8:9]
	s_and_b64 s[4:5], s[4:5], exec
	s_or_saveexec_b64 s[6:7], s[6:7]
	v_mov_b32_e32 v14, s10
	s_xor_b64 exec, exec, s[6:7]
	s_cbranch_execz .LBB38_574
.LBB38_2624:
	v_mov_b32_e32 v14, 0
	v_cmp_ne_u16_sdwa s[8:9], v11, v14 src0_sel:BYTE_3 src1_sel:DWORD
	s_andn2_b64 s[4:5], s[4:5], exec
	s_and_b64 s[8:9], s[8:9], exec
	s_or_b64 s[4:5], s[4:5], s[8:9]
	s_or_b64 exec, exec, s[6:7]
	s_and_saveexec_b64 s[6:7], s[4:5]
	s_cbranch_execnz .LBB38_575
	s_branch .LBB38_576
.LBB38_2625:
	s_movk_i32 s4, 0x80
	v_cmp_eq_u16_sdwa s[12:13], v16, s4 src0_sel:BYTE_0 src1_sel:DWORD
	s_mov_b64 s[4:5], -1
                                        ; implicit-def: $sgpr10
	s_and_saveexec_b64 s[8:9], s[12:13]
; %bb.2626:
	s_mov_b32 s10, 0x7f800001
	s_xor_b64 s[4:5], exec, -1
; %bb.2627:
	s_or_b64 exec, exec, s[8:9]
	s_and_b64 s[4:5], s[4:5], exec
	s_or_saveexec_b64 s[6:7], s[6:7]
	v_mov_b32_e32 v10, s10
	s_xor_b64 exec, exec, s[6:7]
	s_cbranch_execz .LBB38_578
.LBB38_2628:
	v_mov_b32_e32 v10, 0
	v_cmp_ne_u16_sdwa s[8:9], v16, v10 src0_sel:BYTE_0 src1_sel:DWORD
	s_andn2_b64 s[4:5], s[4:5], exec
	s_and_b64 s[8:9], s[8:9], exec
	s_or_b64 s[4:5], s[4:5], s[8:9]
	s_or_b64 exec, exec, s[6:7]
	s_and_saveexec_b64 s[6:7], s[4:5]
	s_cbranch_execnz .LBB38_579
	s_branch .LBB38_580
.LBB38_2629:
	s_movk_i32 s4, 0x80
	v_cmp_eq_u16_sdwa s[12:13], v12, s4 src0_sel:BYTE_0 src1_sel:DWORD
	s_mov_b64 s[4:5], -1
                                        ; implicit-def: $sgpr10
	s_and_saveexec_b64 s[8:9], s[12:13]
; %bb.2630:
	s_mov_b32 s10, 0x7f800001
	s_xor_b64 s[4:5], exec, -1
; %bb.2631:
	s_or_b64 exec, exec, s[8:9]
	s_and_b64 s[4:5], s[4:5], exec
	s_or_saveexec_b64 s[6:7], s[6:7]
	v_mov_b32_e32 v11, s10
	s_xor_b64 exec, exec, s[6:7]
	s_cbranch_execz .LBB38_582
.LBB38_2632:
	v_mov_b32_e32 v11, 0
	v_cmp_ne_u16_sdwa s[8:9], v12, v11 src0_sel:BYTE_0 src1_sel:DWORD
	s_andn2_b64 s[4:5], s[4:5], exec
	s_and_b64 s[8:9], s[8:9], exec
	s_or_b64 s[4:5], s[4:5], s[8:9]
	s_or_b64 exec, exec, s[6:7]
	s_and_saveexec_b64 s[6:7], s[4:5]
	s_cbranch_execnz .LBB38_583
	s_branch .LBB38_584
.LBB38_2633:
	s_movk_i32 s4, 0x80
	v_cmp_eq_u16_sdwa s[12:13], v11, s4 src0_sel:BYTE_0 src1_sel:DWORD
	s_mov_b64 s[4:5], -1
                                        ; implicit-def: $sgpr10
	s_and_saveexec_b64 s[8:9], s[12:13]
; %bb.2634:
	s_mov_b32 s10, 0x7f800001
	s_xor_b64 s[4:5], exec, -1
; %bb.2635:
	s_or_b64 exec, exec, s[8:9]
	s_and_b64 s[4:5], s[4:5], exec
	s_or_saveexec_b64 s[6:7], s[6:7]
	v_mov_b32_e32 v10, s10
	s_xor_b64 exec, exec, s[6:7]
	s_cbranch_execz .LBB38_586
.LBB38_2636:
	v_mov_b32_e32 v10, 0
	v_cmp_ne_u16_sdwa s[8:9], v11, v10 src0_sel:BYTE_0 src1_sel:DWORD
	s_andn2_b64 s[4:5], s[4:5], exec
	s_and_b64 s[8:9], s[8:9], exec
	s_or_b64 s[4:5], s[4:5], s[8:9]
	s_or_b64 exec, exec, s[6:7]
	s_and_saveexec_b64 s[6:7], s[4:5]
	s_cbranch_execnz .LBB38_587
	s_branch .LBB38_588
.LBB38_2637:
	s_movk_i32 s4, 0x80
	v_cmp_eq_u16_sdwa s[12:13], v11, s4 src0_sel:BYTE_0 src1_sel:DWORD
	s_mov_b64 s[4:5], -1
                                        ; implicit-def: $sgpr10
	s_and_saveexec_b64 s[8:9], s[12:13]
; %bb.2638:
	s_mov_b32 s10, 0x7f800001
	s_xor_b64 s[4:5], exec, -1
; %bb.2639:
	s_or_b64 exec, exec, s[8:9]
	s_and_b64 s[4:5], s[4:5], exec
	s_or_saveexec_b64 s[6:7], s[6:7]
	v_mov_b32_e32 v14, s10
	s_xor_b64 exec, exec, s[6:7]
	s_cbranch_execz .LBB38_590
.LBB38_2640:
	v_mov_b32_e32 v14, 0
	v_cmp_ne_u16_sdwa s[8:9], v11, v14 src0_sel:BYTE_0 src1_sel:DWORD
	s_andn2_b64 s[4:5], s[4:5], exec
	s_and_b64 s[8:9], s[8:9], exec
	s_or_b64 s[4:5], s[4:5], s[8:9]
	s_or_b64 exec, exec, s[6:7]
	s_and_saveexec_b64 s[6:7], s[4:5]
	s_cbranch_execnz .LBB38_591
	s_branch .LBB38_592
.LBB38_2641:
	s_movk_i32 s4, 0x80
	v_cmp_eq_u16_e32 vcc, s4, v11
	s_mov_b64 s[4:5], -1
                                        ; implicit-def: $sgpr10
	s_and_saveexec_b64 s[8:9], vcc
; %bb.2642:
	s_mov_b32 s10, 0x7f800001
	s_xor_b64 s[4:5], exec, -1
; %bb.2643:
	s_or_b64 exec, exec, s[8:9]
	s_and_b64 s[4:5], s[4:5], exec
                                        ; implicit-def: $vgpr11
	s_or_saveexec_b64 s[6:7], s[6:7]
	v_mov_b32_e32 v10, s10
	s_xor_b64 exec, exec, s[6:7]
	s_cbranch_execz .LBB38_594
.LBB38_2644:
	v_cmp_ne_u16_e32 vcc, 0, v11
	s_andn2_b64 s[4:5], s[4:5], exec
	s_and_b64 s[8:9], vcc, exec
	v_mov_b32_e32 v10, 0
	s_or_b64 s[4:5], s[4:5], s[8:9]
	s_or_b64 exec, exec, s[6:7]
	s_and_saveexec_b64 s[6:7], s[4:5]
	s_cbranch_execnz .LBB38_595
	s_branch .LBB38_596
.LBB38_2645:
	s_movk_i32 s4, 0x80
	v_cmp_eq_u16_e32 vcc, s4, v11
	s_mov_b64 s[4:5], -1
                                        ; implicit-def: $sgpr10
	s_and_saveexec_b64 s[8:9], vcc
; %bb.2646:
	s_mov_b32 s10, 0x7f800001
	s_xor_b64 s[4:5], exec, -1
; %bb.2647:
	s_or_b64 exec, exec, s[8:9]
	s_and_b64 s[4:5], s[4:5], exec
                                        ; implicit-def: $vgpr11
	s_or_saveexec_b64 s[6:7], s[6:7]
	v_mov_b32_e32 v14, s10
	s_xor_b64 exec, exec, s[6:7]
	s_cbranch_execz .LBB38_598
.LBB38_2648:
	v_cmp_ne_u16_e32 vcc, 0, v11
	s_andn2_b64 s[4:5], s[4:5], exec
	s_and_b64 s[8:9], vcc, exec
	v_mov_b32_e32 v14, 0
	s_or_b64 s[4:5], s[4:5], s[8:9]
	s_or_b64 exec, exec, s[6:7]
	s_and_saveexec_b64 s[6:7], s[4:5]
	s_cbranch_execnz .LBB38_599
	s_branch .LBB38_600
.LBB38_2649:
	s_movk_i32 s4, 0x80
	v_cmp_eq_u16_sdwa s[12:13], v16, s4 src0_sel:BYTE_3 src1_sel:DWORD
	s_mov_b64 s[4:5], -1
                                        ; implicit-def: $sgpr10
	s_and_saveexec_b64 s[8:9], s[12:13]
; %bb.2650:
	s_mov_b32 s10, 0x7f800001
	s_xor_b64 s[4:5], exec, -1
; %bb.2651:
	s_or_b64 exec, exec, s[8:9]
	s_and_b64 s[4:5], s[4:5], exec
	s_or_saveexec_b64 s[6:7], s[6:7]
	v_mov_b32_e32 v10, s10
	s_xor_b64 exec, exec, s[6:7]
	s_cbranch_execz .LBB38_602
.LBB38_2652:
	v_mov_b32_e32 v10, 0
	v_cmp_ne_u16_sdwa s[8:9], v16, v10 src0_sel:BYTE_3 src1_sel:DWORD
	s_andn2_b64 s[4:5], s[4:5], exec
	s_and_b64 s[8:9], s[8:9], exec
	s_or_b64 s[4:5], s[4:5], s[8:9]
	s_or_b64 exec, exec, s[6:7]
	s_and_saveexec_b64 s[6:7], s[4:5]
	s_cbranch_execnz .LBB38_603
	s_branch .LBB38_604
.LBB38_2653:
	s_movk_i32 s4, 0x80
	v_cmp_eq_u16_sdwa s[12:13], v12, s4 src0_sel:BYTE_3 src1_sel:DWORD
	s_mov_b64 s[4:5], -1
                                        ; implicit-def: $sgpr10
	s_and_saveexec_b64 s[8:9], s[12:13]
; %bb.2654:
	s_mov_b32 s10, 0x7f800001
	s_xor_b64 s[4:5], exec, -1
; %bb.2655:
	s_or_b64 exec, exec, s[8:9]
	s_and_b64 s[4:5], s[4:5], exec
	s_or_saveexec_b64 s[6:7], s[6:7]
	v_mov_b32_e32 v11, s10
	s_xor_b64 exec, exec, s[6:7]
	s_cbranch_execz .LBB38_606
.LBB38_2656:
	v_mov_b32_e32 v11, 0
	v_cmp_ne_u16_sdwa s[8:9], v12, v11 src0_sel:BYTE_3 src1_sel:DWORD
	s_andn2_b64 s[4:5], s[4:5], exec
	s_and_b64 s[8:9], s[8:9], exec
	s_or_b64 s[4:5], s[4:5], s[8:9]
	s_or_b64 exec, exec, s[6:7]
	s_and_saveexec_b64 s[6:7], s[4:5]
	s_cbranch_execnz .LBB38_607
	s_branch .LBB38_608
.LBB38_2657:
	s_movk_i32 s4, 0x80
	v_cmp_eq_u16_sdwa s[12:13], v17, s4 src0_sel:BYTE_0 src1_sel:DWORD
	s_mov_b64 s[4:5], -1
                                        ; implicit-def: $sgpr10
	s_and_saveexec_b64 s[8:9], s[12:13]
; %bb.2658:
	s_mov_b32 s10, 0x7f800001
	s_xor_b64 s[4:5], exec, -1
; %bb.2659:
	s_or_b64 exec, exec, s[8:9]
	s_and_b64 s[4:5], s[4:5], exec
	s_or_saveexec_b64 s[6:7], s[6:7]
	v_mov_b32_e32 v10, s10
	s_xor_b64 exec, exec, s[6:7]
	s_cbranch_execz .LBB38_610
.LBB38_2660:
	v_mov_b32_e32 v10, 0
	v_cmp_ne_u16_sdwa s[8:9], v17, v10 src0_sel:BYTE_0 src1_sel:DWORD
	s_andn2_b64 s[4:5], s[4:5], exec
	s_and_b64 s[8:9], s[8:9], exec
	s_or_b64 s[4:5], s[4:5], s[8:9]
	s_or_b64 exec, exec, s[6:7]
	s_and_saveexec_b64 s[6:7], s[4:5]
	s_cbranch_execnz .LBB38_611
	s_branch .LBB38_612
.LBB38_2661:
	s_movk_i32 s4, 0x80
	v_cmp_eq_u16_sdwa s[12:13], v13, s4 src0_sel:BYTE_0 src1_sel:DWORD
	s_mov_b64 s[4:5], -1
                                        ; implicit-def: $sgpr10
	s_and_saveexec_b64 s[8:9], s[12:13]
; %bb.2662:
	s_mov_b32 s10, 0x7f800001
	s_xor_b64 s[4:5], exec, -1
; %bb.2663:
	s_or_b64 exec, exec, s[8:9]
	s_and_b64 s[4:5], s[4:5], exec
	s_or_saveexec_b64 s[6:7], s[6:7]
	v_mov_b32_e32 v11, s10
	s_xor_b64 exec, exec, s[6:7]
	s_cbranch_execz .LBB38_614
.LBB38_2664:
	v_mov_b32_e32 v11, 0
	v_cmp_ne_u16_sdwa s[8:9], v13, v11 src0_sel:BYTE_0 src1_sel:DWORD
	s_andn2_b64 s[4:5], s[4:5], exec
	s_and_b64 s[8:9], s[8:9], exec
	s_or_b64 s[4:5], s[4:5], s[8:9]
	s_or_b64 exec, exec, s[6:7]
	s_and_saveexec_b64 s[6:7], s[4:5]
	s_cbranch_execnz .LBB38_615
	s_branch .LBB38_616
.LBB38_2665:
	s_movk_i32 s4, 0x80
	v_cmp_eq_u16_sdwa s[12:13], v11, s4 src0_sel:BYTE_0 src1_sel:DWORD
	s_mov_b64 s[4:5], -1
                                        ; implicit-def: $sgpr10
	s_and_saveexec_b64 s[8:9], s[12:13]
; %bb.2666:
	s_mov_b32 s10, 0x7f800001
	s_xor_b64 s[4:5], exec, -1
; %bb.2667:
	s_or_b64 exec, exec, s[8:9]
	s_and_b64 s[4:5], s[4:5], exec
	s_or_saveexec_b64 s[6:7], s[6:7]
	v_mov_b32_e32 v10, s10
	s_xor_b64 exec, exec, s[6:7]
	s_cbranch_execz .LBB38_618
.LBB38_2668:
	v_mov_b32_e32 v10, 0
	v_cmp_ne_u16_sdwa s[8:9], v11, v10 src0_sel:BYTE_0 src1_sel:DWORD
	s_andn2_b64 s[4:5], s[4:5], exec
	s_and_b64 s[8:9], s[8:9], exec
	s_or_b64 s[4:5], s[4:5], s[8:9]
	s_or_b64 exec, exec, s[6:7]
	s_and_saveexec_b64 s[6:7], s[4:5]
	s_cbranch_execnz .LBB38_619
	s_branch .LBB38_620
.LBB38_2669:
	s_movk_i32 s4, 0x80
	v_cmp_eq_u16_sdwa s[12:13], v11, s4 src0_sel:BYTE_0 src1_sel:DWORD
	s_mov_b64 s[4:5], -1
                                        ; implicit-def: $sgpr10
	s_and_saveexec_b64 s[8:9], s[12:13]
; %bb.2670:
	s_mov_b32 s10, 0x7f800001
	s_xor_b64 s[4:5], exec, -1
; %bb.2671:
	s_or_b64 exec, exec, s[8:9]
	s_and_b64 s[4:5], s[4:5], exec
	s_or_saveexec_b64 s[6:7], s[6:7]
	v_mov_b32_e32 v12, s10
	s_xor_b64 exec, exec, s[6:7]
	s_cbranch_execz .LBB38_622
.LBB38_2672:
	v_mov_b32_e32 v12, 0
	v_cmp_ne_u16_sdwa s[8:9], v11, v12 src0_sel:BYTE_0 src1_sel:DWORD
	s_andn2_b64 s[4:5], s[4:5], exec
	s_and_b64 s[8:9], s[8:9], exec
	s_or_b64 s[4:5], s[4:5], s[8:9]
	s_or_b64 exec, exec, s[6:7]
	s_and_saveexec_b64 s[6:7], s[4:5]
	s_cbranch_execnz .LBB38_623
	s_branch .LBB38_624
.LBB38_2673:
	s_movk_i32 s4, 0x80
	v_cmp_eq_u16_e32 vcc, s4, v11
	s_mov_b64 s[4:5], -1
                                        ; implicit-def: $sgpr10
	s_and_saveexec_b64 s[8:9], vcc
; %bb.2674:
	s_mov_b32 s10, 0x7f800001
	s_xor_b64 s[4:5], exec, -1
; %bb.2675:
	s_or_b64 exec, exec, s[8:9]
	s_and_b64 s[4:5], s[4:5], exec
                                        ; implicit-def: $vgpr11
	s_or_saveexec_b64 s[6:7], s[6:7]
	v_mov_b32_e32 v10, s10
	s_xor_b64 exec, exec, s[6:7]
	s_cbranch_execz .LBB38_626
.LBB38_2676:
	v_cmp_ne_u16_e32 vcc, 0, v11
	s_andn2_b64 s[4:5], s[4:5], exec
	s_and_b64 s[8:9], vcc, exec
	v_mov_b32_e32 v10, 0
	s_or_b64 s[4:5], s[4:5], s[8:9]
	s_or_b64 exec, exec, s[6:7]
	s_and_saveexec_b64 s[6:7], s[4:5]
	s_cbranch_execnz .LBB38_627
	s_branch .LBB38_628
.LBB38_2677:
	s_movk_i32 s4, 0x80
	v_cmp_eq_u16_e32 vcc, s4, v11
	s_mov_b64 s[4:5], -1
                                        ; implicit-def: $sgpr10
	s_and_saveexec_b64 s[8:9], vcc
; %bb.2678:
	s_mov_b32 s10, 0x7f800001
	s_xor_b64 s[4:5], exec, -1
; %bb.2679:
	s_or_b64 exec, exec, s[8:9]
	s_and_b64 s[4:5], s[4:5], exec
                                        ; implicit-def: $vgpr11
	s_or_saveexec_b64 s[6:7], s[6:7]
	v_mov_b32_e32 v12, s10
	s_xor_b64 exec, exec, s[6:7]
	s_cbranch_execz .LBB38_630
.LBB38_2680:
	v_cmp_ne_u16_e32 vcc, 0, v11
	s_andn2_b64 s[4:5], s[4:5], exec
	s_and_b64 s[8:9], vcc, exec
	v_mov_b32_e32 v12, 0
	s_or_b64 s[4:5], s[4:5], s[8:9]
	s_or_b64 exec, exec, s[6:7]
	s_and_saveexec_b64 s[6:7], s[4:5]
	s_cbranch_execnz .LBB38_631
	s_branch .LBB38_632
.LBB38_2681:
	s_movk_i32 s4, 0x80
	v_cmp_eq_u16_sdwa s[12:13], v17, s4 src0_sel:BYTE_3 src1_sel:DWORD
	s_mov_b64 s[4:5], -1
                                        ; implicit-def: $sgpr10
	s_and_saveexec_b64 s[8:9], s[12:13]
; %bb.2682:
	s_mov_b32 s10, 0x7f800001
	s_xor_b64 s[4:5], exec, -1
; %bb.2683:
	s_or_b64 exec, exec, s[8:9]
	s_and_b64 s[4:5], s[4:5], exec
	s_or_saveexec_b64 s[6:7], s[6:7]
	v_mov_b32_e32 v10, s10
	s_xor_b64 exec, exec, s[6:7]
	s_cbranch_execz .LBB38_634
.LBB38_2684:
	v_mov_b32_e32 v10, 0
	v_cmp_ne_u16_sdwa s[8:9], v17, v10 src0_sel:BYTE_3 src1_sel:DWORD
	s_andn2_b64 s[4:5], s[4:5], exec
	s_and_b64 s[8:9], s[8:9], exec
	s_or_b64 s[4:5], s[4:5], s[8:9]
	s_or_b64 exec, exec, s[6:7]
	s_and_saveexec_b64 s[6:7], s[4:5]
	s_cbranch_execnz .LBB38_635
	s_branch .LBB38_636
.LBB38_2685:
	s_movk_i32 s4, 0x80
	v_cmp_eq_u16_sdwa s[12:13], v13, s4 src0_sel:BYTE_3 src1_sel:DWORD
	s_mov_b64 s[4:5], -1
                                        ; implicit-def: $sgpr10
	s_and_saveexec_b64 s[8:9], s[12:13]
; %bb.2686:
	s_mov_b32 s10, 0x7f800001
	s_xor_b64 s[4:5], exec, -1
; %bb.2687:
	s_or_b64 exec, exec, s[8:9]
	s_and_b64 s[4:5], s[4:5], exec
	s_or_saveexec_b64 s[6:7], s[6:7]
	v_mov_b32_e32 v11, s10
	s_xor_b64 exec, exec, s[6:7]
	s_cbranch_execz .LBB38_638
.LBB38_2688:
	v_mov_b32_e32 v11, 0
	v_cmp_ne_u16_sdwa s[8:9], v13, v11 src0_sel:BYTE_3 src1_sel:DWORD
	s_andn2_b64 s[4:5], s[4:5], exec
	s_and_b64 s[8:9], s[8:9], exec
	s_or_b64 s[4:5], s[4:5], s[8:9]
	s_or_b64 exec, exec, s[6:7]
	s_and_saveexec_b64 s[6:7], s[4:5]
	s_cbranch_execnz .LBB38_639
	s_branch .LBB38_640
.LBB38_2689:
	s_movk_i32 s4, 0x80
	v_cmp_eq_u16_sdwa s[12:13], v6, s4 src0_sel:BYTE_0 src1_sel:DWORD
	s_mov_b64 s[4:5], -1
                                        ; implicit-def: $sgpr10
	s_and_saveexec_b64 s[8:9], s[12:13]
; %bb.2690:
	s_mov_b32 s10, 0x7f800001
	s_xor_b64 s[4:5], exec, -1
; %bb.2691:
	s_or_b64 exec, exec, s[8:9]
	s_and_b64 s[4:5], s[4:5], exec
	s_or_saveexec_b64 s[6:7], s[6:7]
	v_mov_b32_e32 v10, s10
	s_xor_b64 exec, exec, s[6:7]
	s_cbranch_execz .LBB38_642
.LBB38_2692:
	v_mov_b32_e32 v10, 0
	v_cmp_ne_u16_sdwa s[8:9], v6, v10 src0_sel:BYTE_0 src1_sel:DWORD
	s_andn2_b64 s[4:5], s[4:5], exec
	s_and_b64 s[8:9], s[8:9], exec
	s_or_b64 s[4:5], s[4:5], s[8:9]
	s_or_b64 exec, exec, s[6:7]
	s_and_saveexec_b64 s[6:7], s[4:5]
	s_cbranch_execnz .LBB38_643
	s_branch .LBB38_644
.LBB38_2693:
	s_movk_i32 s4, 0x80
	v_cmp_eq_u16_sdwa s[12:13], v2, s4 src0_sel:BYTE_0 src1_sel:DWORD
	s_mov_b64 s[4:5], -1
                                        ; implicit-def: $sgpr10
	s_and_saveexec_b64 s[8:9], s[12:13]
; %bb.2694:
	s_mov_b32 s10, 0x7f800001
	s_xor_b64 s[4:5], exec, -1
; %bb.2695:
	s_or_b64 exec, exec, s[8:9]
	s_and_b64 s[4:5], s[4:5], exec
	s_or_saveexec_b64 s[6:7], s[6:7]
	v_mov_b32_e32 v11, s10
	s_xor_b64 exec, exec, s[6:7]
	s_cbranch_execz .LBB38_646
.LBB38_2696:
	v_mov_b32_e32 v11, 0
	v_cmp_ne_u16_sdwa s[8:9], v2, v11 src0_sel:BYTE_0 src1_sel:DWORD
	s_andn2_b64 s[4:5], s[4:5], exec
	s_and_b64 s[8:9], s[8:9], exec
	s_or_b64 s[4:5], s[4:5], s[8:9]
	s_or_b64 exec, exec, s[6:7]
	s_and_saveexec_b64 s[6:7], s[4:5]
	s_cbranch_execnz .LBB38_647
	s_branch .LBB38_648
.LBB38_2697:
	s_movk_i32 s4, 0x80
	v_cmp_eq_u16_sdwa s[12:13], v11, s4 src0_sel:BYTE_0 src1_sel:DWORD
	s_mov_b64 s[4:5], -1
                                        ; implicit-def: $sgpr10
	s_and_saveexec_b64 s[8:9], s[12:13]
; %bb.2698:
	s_mov_b32 s10, 0x7f800001
	s_xor_b64 s[4:5], exec, -1
; %bb.2699:
	s_or_b64 exec, exec, s[8:9]
	s_and_b64 s[4:5], s[4:5], exec
	s_or_saveexec_b64 s[6:7], s[6:7]
	v_mov_b32_e32 v10, s10
	s_xor_b64 exec, exec, s[6:7]
	s_cbranch_execz .LBB38_650
.LBB38_2700:
	v_mov_b32_e32 v10, 0
	v_cmp_ne_u16_sdwa s[8:9], v11, v10 src0_sel:BYTE_0 src1_sel:DWORD
	s_andn2_b64 s[4:5], s[4:5], exec
	s_and_b64 s[8:9], s[8:9], exec
	s_or_b64 s[4:5], s[4:5], s[8:9]
	s_or_b64 exec, exec, s[6:7]
	s_and_saveexec_b64 s[6:7], s[4:5]
	s_cbranch_execnz .LBB38_651
	s_branch .LBB38_652
.LBB38_2701:
	s_movk_i32 s4, 0x80
	v_cmp_eq_u16_sdwa s[12:13], v11, s4 src0_sel:BYTE_0 src1_sel:DWORD
	s_mov_b64 s[4:5], -1
                                        ; implicit-def: $sgpr10
	s_and_saveexec_b64 s[8:9], s[12:13]
; %bb.2702:
	s_mov_b32 s10, 0x7f800001
	s_xor_b64 s[4:5], exec, -1
; %bb.2703:
	s_or_b64 exec, exec, s[8:9]
	s_and_b64 s[4:5], s[4:5], exec
	s_or_saveexec_b64 s[6:7], s[6:7]
	v_mov_b32_e32 v12, s10
	s_xor_b64 exec, exec, s[6:7]
	s_cbranch_execz .LBB38_654
.LBB38_2704:
	v_mov_b32_e32 v12, 0
	v_cmp_ne_u16_sdwa s[8:9], v11, v12 src0_sel:BYTE_0 src1_sel:DWORD
	s_andn2_b64 s[4:5], s[4:5], exec
	s_and_b64 s[8:9], s[8:9], exec
	s_or_b64 s[4:5], s[4:5], s[8:9]
	s_or_b64 exec, exec, s[6:7]
	s_and_saveexec_b64 s[6:7], s[4:5]
	s_cbranch_execnz .LBB38_655
	s_branch .LBB38_656
.LBB38_2705:
	s_movk_i32 s4, 0x80
	v_cmp_eq_u16_e32 vcc, s4, v11
	s_mov_b64 s[4:5], -1
                                        ; implicit-def: $sgpr10
	s_and_saveexec_b64 s[8:9], vcc
; %bb.2706:
	s_mov_b32 s10, 0x7f800001
	s_xor_b64 s[4:5], exec, -1
; %bb.2707:
	s_or_b64 exec, exec, s[8:9]
	s_and_b64 s[4:5], s[4:5], exec
                                        ; implicit-def: $vgpr11
	s_or_saveexec_b64 s[6:7], s[6:7]
	v_mov_b32_e32 v10, s10
	s_xor_b64 exec, exec, s[6:7]
	s_cbranch_execz .LBB38_658
.LBB38_2708:
	v_cmp_ne_u16_e32 vcc, 0, v11
	s_andn2_b64 s[4:5], s[4:5], exec
	s_and_b64 s[8:9], vcc, exec
	v_mov_b32_e32 v10, 0
	s_or_b64 s[4:5], s[4:5], s[8:9]
	s_or_b64 exec, exec, s[6:7]
	s_and_saveexec_b64 s[6:7], s[4:5]
	s_cbranch_execnz .LBB38_659
	s_branch .LBB38_660
.LBB38_2709:
	s_movk_i32 s4, 0x80
	v_cmp_eq_u16_e32 vcc, s4, v11
	s_mov_b64 s[4:5], -1
                                        ; implicit-def: $sgpr10
	s_and_saveexec_b64 s[8:9], vcc
; %bb.2710:
	s_mov_b32 s10, 0x7f800001
	s_xor_b64 s[4:5], exec, -1
; %bb.2711:
	s_or_b64 exec, exec, s[8:9]
	s_and_b64 s[4:5], s[4:5], exec
                                        ; implicit-def: $vgpr11
	s_or_saveexec_b64 s[6:7], s[6:7]
	v_mov_b32_e32 v12, s10
	s_xor_b64 exec, exec, s[6:7]
	s_cbranch_execz .LBB38_662
.LBB38_2712:
	v_cmp_ne_u16_e32 vcc, 0, v11
	s_andn2_b64 s[4:5], s[4:5], exec
	s_and_b64 s[8:9], vcc, exec
	v_mov_b32_e32 v12, 0
	s_or_b64 s[4:5], s[4:5], s[8:9]
	s_or_b64 exec, exec, s[6:7]
	s_and_saveexec_b64 s[6:7], s[4:5]
	s_cbranch_execnz .LBB38_663
	s_branch .LBB38_664
.LBB38_2713:
	s_movk_i32 s4, 0x80
	v_cmp_eq_u16_sdwa s[12:13], v6, s4 src0_sel:BYTE_3 src1_sel:DWORD
	s_mov_b64 s[4:5], -1
                                        ; implicit-def: $sgpr10
	s_and_saveexec_b64 s[8:9], s[12:13]
; %bb.2714:
	s_mov_b32 s10, 0x7f800001
	s_xor_b64 s[4:5], exec, -1
; %bb.2715:
	s_or_b64 exec, exec, s[8:9]
	s_and_b64 s[4:5], s[4:5], exec
	s_or_saveexec_b64 s[6:7], s[6:7]
	v_mov_b32_e32 v10, s10
	s_xor_b64 exec, exec, s[6:7]
	s_cbranch_execz .LBB38_666
.LBB38_2716:
	v_mov_b32_e32 v10, 0
	v_cmp_ne_u16_sdwa s[8:9], v6, v10 src0_sel:BYTE_3 src1_sel:DWORD
	s_andn2_b64 s[4:5], s[4:5], exec
	s_and_b64 s[8:9], s[8:9], exec
	s_or_b64 s[4:5], s[4:5], s[8:9]
	s_or_b64 exec, exec, s[6:7]
	s_and_saveexec_b64 s[6:7], s[4:5]
	s_cbranch_execnz .LBB38_667
	s_branch .LBB38_668
.LBB38_2717:
	s_movk_i32 s4, 0x80
	v_cmp_eq_u16_sdwa s[12:13], v2, s4 src0_sel:BYTE_3 src1_sel:DWORD
	s_mov_b64 s[4:5], -1
                                        ; implicit-def: $sgpr10
	s_and_saveexec_b64 s[8:9], s[12:13]
; %bb.2718:
	s_mov_b32 s10, 0x7f800001
	s_xor_b64 s[4:5], exec, -1
; %bb.2719:
	s_or_b64 exec, exec, s[8:9]
	s_and_b64 s[4:5], s[4:5], exec
	s_or_saveexec_b64 s[6:7], s[6:7]
	v_mov_b32_e32 v6, s10
	s_xor_b64 exec, exec, s[6:7]
	s_cbranch_execz .LBB38_670
.LBB38_2720:
	v_mov_b32_e32 v6, 0
	v_cmp_ne_u16_sdwa s[8:9], v2, v6 src0_sel:BYTE_3 src1_sel:DWORD
	s_andn2_b64 s[4:5], s[4:5], exec
	s_and_b64 s[8:9], s[8:9], exec
	s_or_b64 s[4:5], s[4:5], s[8:9]
	s_or_b64 exec, exec, s[6:7]
	s_and_saveexec_b64 s[6:7], s[4:5]
	s_cbranch_execnz .LBB38_671
	s_branch .LBB38_672
.LBB38_2721:
	s_movk_i32 s4, 0x80
	v_cmp_eq_u16_sdwa s[12:13], v7, s4 src0_sel:BYTE_0 src1_sel:DWORD
	s_mov_b64 s[4:5], -1
                                        ; implicit-def: $sgpr10
	s_and_saveexec_b64 s[8:9], s[12:13]
; %bb.2722:
	s_mov_b32 s10, 0x7f800001
	s_xor_b64 s[4:5], exec, -1
; %bb.2723:
	s_or_b64 exec, exec, s[8:9]
	s_and_b64 s[4:5], s[4:5], exec
	s_or_saveexec_b64 s[6:7], s[6:7]
	v_mov_b32_e32 v2, s10
	s_xor_b64 exec, exec, s[6:7]
	s_cbranch_execz .LBB38_674
.LBB38_2724:
	v_mov_b32_e32 v2, 0
	v_cmp_ne_u16_sdwa s[8:9], v7, v2 src0_sel:BYTE_0 src1_sel:DWORD
	s_andn2_b64 s[4:5], s[4:5], exec
	s_and_b64 s[8:9], s[8:9], exec
	s_or_b64 s[4:5], s[4:5], s[8:9]
	s_or_b64 exec, exec, s[6:7]
	s_and_saveexec_b64 s[6:7], s[4:5]
	s_cbranch_execnz .LBB38_675
	s_branch .LBB38_676
.LBB38_2725:
	s_movk_i32 s4, 0x80
	v_cmp_eq_u16_sdwa s[12:13], v3, s4 src0_sel:BYTE_0 src1_sel:DWORD
	s_mov_b64 s[4:5], -1
                                        ; implicit-def: $sgpr10
	s_and_saveexec_b64 s[8:9], s[12:13]
; %bb.2726:
	s_mov_b32 s10, 0x7f800001
	s_xor_b64 s[4:5], exec, -1
; %bb.2727:
	s_or_b64 exec, exec, s[8:9]
	s_and_b64 s[4:5], s[4:5], exec
	s_or_saveexec_b64 s[6:7], s[6:7]
	v_mov_b32_e32 v6, s10
	s_xor_b64 exec, exec, s[6:7]
	s_cbranch_execz .LBB38_678
.LBB38_2728:
	v_mov_b32_e32 v6, 0
	v_cmp_ne_u16_sdwa s[8:9], v3, v6 src0_sel:BYTE_0 src1_sel:DWORD
	s_andn2_b64 s[4:5], s[4:5], exec
	s_and_b64 s[8:9], s[8:9], exec
	s_or_b64 s[4:5], s[4:5], s[8:9]
	s_or_b64 exec, exec, s[6:7]
	s_and_saveexec_b64 s[6:7], s[4:5]
	s_cbranch_execnz .LBB38_679
	s_branch .LBB38_680
.LBB38_2729:
	s_movk_i32 s4, 0x80
	v_cmp_eq_u16_sdwa s[12:13], v6, s4 src0_sel:BYTE_0 src1_sel:DWORD
	s_mov_b64 s[4:5], -1
                                        ; implicit-def: $sgpr10
	s_and_saveexec_b64 s[8:9], s[12:13]
; %bb.2730:
	s_mov_b32 s10, 0x7f800001
	s_xor_b64 s[4:5], exec, -1
; %bb.2731:
	s_or_b64 exec, exec, s[8:9]
	s_and_b64 s[4:5], s[4:5], exec
	s_or_saveexec_b64 s[6:7], s[6:7]
	v_mov_b32_e32 v2, s10
	s_xor_b64 exec, exec, s[6:7]
	s_cbranch_execz .LBB38_682
.LBB38_2732:
	v_mov_b32_e32 v2, 0
	v_cmp_ne_u16_sdwa s[8:9], v6, v2 src0_sel:BYTE_0 src1_sel:DWORD
	s_andn2_b64 s[4:5], s[4:5], exec
	s_and_b64 s[8:9], s[8:9], exec
	s_or_b64 s[4:5], s[4:5], s[8:9]
	s_or_b64 exec, exec, s[6:7]
	s_and_saveexec_b64 s[6:7], s[4:5]
	s_cbranch_execnz .LBB38_683
	s_branch .LBB38_684
.LBB38_2733:
	s_movk_i32 s4, 0x80
	v_cmp_eq_u16_sdwa s[12:13], v6, s4 src0_sel:BYTE_0 src1_sel:DWORD
	s_mov_b64 s[4:5], -1
                                        ; implicit-def: $sgpr10
	s_and_saveexec_b64 s[8:9], s[12:13]
; %bb.2734:
	s_mov_b32 s10, 0x7f800001
	s_xor_b64 s[4:5], exec, -1
; %bb.2735:
	s_or_b64 exec, exec, s[8:9]
	s_and_b64 s[4:5], s[4:5], exec
	s_or_saveexec_b64 s[6:7], s[6:7]
	v_mov_b32_e32 v10, s10
	s_xor_b64 exec, exec, s[6:7]
	s_cbranch_execz .LBB38_686
.LBB38_2736:
	v_mov_b32_e32 v10, 0
	v_cmp_ne_u16_sdwa s[8:9], v6, v10 src0_sel:BYTE_0 src1_sel:DWORD
	s_andn2_b64 s[4:5], s[4:5], exec
	s_and_b64 s[8:9], s[8:9], exec
	s_or_b64 s[4:5], s[4:5], s[8:9]
	s_or_b64 exec, exec, s[6:7]
	s_and_saveexec_b64 s[6:7], s[4:5]
	s_cbranch_execnz .LBB38_687
	s_branch .LBB38_688
.LBB38_2737:
	s_movk_i32 s4, 0x80
	v_cmp_eq_u16_e32 vcc, s4, v6
	s_mov_b64 s[4:5], -1
                                        ; implicit-def: $sgpr10
	s_and_saveexec_b64 s[8:9], vcc
; %bb.2738:
	s_mov_b32 s10, 0x7f800001
	s_xor_b64 s[4:5], exec, -1
; %bb.2739:
	s_or_b64 exec, exec, s[8:9]
	s_and_b64 s[4:5], s[4:5], exec
                                        ; implicit-def: $vgpr6
	s_or_saveexec_b64 s[6:7], s[6:7]
	v_mov_b32_e32 v2, s10
	s_xor_b64 exec, exec, s[6:7]
	s_cbranch_execz .LBB38_690
.LBB38_2740:
	v_cmp_ne_u16_e32 vcc, 0, v6
	s_andn2_b64 s[4:5], s[4:5], exec
	s_and_b64 s[8:9], vcc, exec
	v_mov_b32_e32 v2, 0
	s_or_b64 s[4:5], s[4:5], s[8:9]
	s_or_b64 exec, exec, s[6:7]
	s_and_saveexec_b64 s[6:7], s[4:5]
	s_cbranch_execnz .LBB38_691
	s_branch .LBB38_692
.LBB38_2741:
	s_movk_i32 s4, 0x80
	v_cmp_eq_u16_e32 vcc, s4, v6
	s_mov_b64 s[4:5], -1
                                        ; implicit-def: $sgpr10
	s_and_saveexec_b64 s[8:9], vcc
; %bb.2742:
	s_mov_b32 s10, 0x7f800001
	s_xor_b64 s[4:5], exec, -1
; %bb.2743:
	s_or_b64 exec, exec, s[8:9]
	s_and_b64 s[4:5], s[4:5], exec
                                        ; implicit-def: $vgpr6
	s_or_saveexec_b64 s[6:7], s[6:7]
	v_mov_b32_e32 v10, s10
	s_xor_b64 exec, exec, s[6:7]
	s_cbranch_execz .LBB38_694
.LBB38_2744:
	v_cmp_ne_u16_e32 vcc, 0, v6
	s_andn2_b64 s[4:5], s[4:5], exec
	s_and_b64 s[8:9], vcc, exec
	v_mov_b32_e32 v10, 0
	s_or_b64 s[4:5], s[4:5], s[8:9]
	s_or_b64 exec, exec, s[6:7]
	s_and_saveexec_b64 s[6:7], s[4:5]
	s_cbranch_execnz .LBB38_695
	s_branch .LBB38_696
.LBB38_2745:
	s_movk_i32 s4, 0x80
	v_cmp_eq_u16_sdwa s[12:13], v7, s4 src0_sel:BYTE_3 src1_sel:DWORD
	s_mov_b64 s[4:5], -1
                                        ; implicit-def: $sgpr10
	s_and_saveexec_b64 s[8:9], s[12:13]
; %bb.2746:
	s_mov_b32 s10, 0x7f800001
	s_xor_b64 s[4:5], exec, -1
; %bb.2747:
	s_or_b64 exec, exec, s[8:9]
	s_and_b64 s[4:5], s[4:5], exec
	s_or_saveexec_b64 s[6:7], s[6:7]
	v_mov_b32_e32 v2, s10
	s_xor_b64 exec, exec, s[6:7]
	s_cbranch_execz .LBB38_698
.LBB38_2748:
	v_mov_b32_e32 v2, 0
	v_cmp_ne_u16_sdwa s[8:9], v7, v2 src0_sel:BYTE_3 src1_sel:DWORD
	s_andn2_b64 s[4:5], s[4:5], exec
	s_and_b64 s[8:9], s[8:9], exec
	s_or_b64 s[4:5], s[4:5], s[8:9]
	s_or_b64 exec, exec, s[6:7]
	s_and_saveexec_b64 s[6:7], s[4:5]
	s_cbranch_execnz .LBB38_699
	s_branch .LBB38_700
.LBB38_2749:
	s_movk_i32 s4, 0x80
	v_cmp_eq_u16_sdwa s[12:13], v3, s4 src0_sel:BYTE_3 src1_sel:DWORD
	s_mov_b64 s[4:5], -1
                                        ; implicit-def: $sgpr10
	s_and_saveexec_b64 s[8:9], s[12:13]
; %bb.2750:
	s_mov_b32 s10, 0x7f800001
	s_xor_b64 s[4:5], exec, -1
; %bb.2751:
	s_or_b64 exec, exec, s[8:9]
	s_and_b64 s[4:5], s[4:5], exec
	s_or_saveexec_b64 s[6:7], s[6:7]
	v_mov_b32_e32 v6, s10
	s_xor_b64 exec, exec, s[6:7]
	s_cbranch_execz .LBB38_702
.LBB38_2752:
	v_mov_b32_e32 v6, 0
	v_cmp_ne_u16_sdwa s[8:9], v3, v6 src0_sel:BYTE_3 src1_sel:DWORD
	s_andn2_b64 s[4:5], s[4:5], exec
	s_and_b64 s[8:9], s[8:9], exec
	s_or_b64 s[4:5], s[4:5], s[8:9]
	s_or_b64 exec, exec, s[6:7]
	s_and_saveexec_b64 s[6:7], s[4:5]
	s_cbranch_execnz .LBB38_703
	s_branch .LBB38_704
.LBB38_2753:
	s_movk_i32 s4, 0x80
	v_cmp_eq_u16_sdwa s[12:13], v8, s4 src0_sel:BYTE_0 src1_sel:DWORD
	s_mov_b64 s[4:5], -1
                                        ; implicit-def: $sgpr10
	s_and_saveexec_b64 s[8:9], s[12:13]
; %bb.2754:
	s_mov_b32 s10, 0x7f800001
	s_xor_b64 s[4:5], exec, -1
; %bb.2755:
	s_or_b64 exec, exec, s[8:9]
	s_and_b64 s[4:5], s[4:5], exec
	s_or_saveexec_b64 s[6:7], s[6:7]
	v_mov_b32_e32 v2, s10
	s_xor_b64 exec, exec, s[6:7]
	s_cbranch_execz .LBB38_706
.LBB38_2756:
	v_mov_b32_e32 v2, 0
	v_cmp_ne_u16_sdwa s[8:9], v8, v2 src0_sel:BYTE_0 src1_sel:DWORD
	s_andn2_b64 s[4:5], s[4:5], exec
	s_and_b64 s[8:9], s[8:9], exec
	s_or_b64 s[4:5], s[4:5], s[8:9]
	s_or_b64 exec, exec, s[6:7]
	s_and_saveexec_b64 s[6:7], s[4:5]
	s_cbranch_execnz .LBB38_707
	s_branch .LBB38_708
.LBB38_2757:
	s_movk_i32 s4, 0x80
	v_cmp_eq_u16_sdwa s[12:13], v4, s4 src0_sel:BYTE_0 src1_sel:DWORD
	s_mov_b64 s[4:5], -1
                                        ; implicit-def: $sgpr10
	s_and_saveexec_b64 s[8:9], s[12:13]
; %bb.2758:
	s_mov_b32 s10, 0x7f800001
	s_xor_b64 s[4:5], exec, -1
; %bb.2759:
	s_or_b64 exec, exec, s[8:9]
	s_and_b64 s[4:5], s[4:5], exec
	s_or_saveexec_b64 s[6:7], s[6:7]
	v_mov_b32_e32 v3, s10
	s_xor_b64 exec, exec, s[6:7]
	s_cbranch_execz .LBB38_710
.LBB38_2760:
	v_mov_b32_e32 v3, 0
	v_cmp_ne_u16_sdwa s[8:9], v4, v3 src0_sel:BYTE_0 src1_sel:DWORD
	s_andn2_b64 s[4:5], s[4:5], exec
	s_and_b64 s[8:9], s[8:9], exec
	s_or_b64 s[4:5], s[4:5], s[8:9]
	s_or_b64 exec, exec, s[6:7]
	s_and_saveexec_b64 s[6:7], s[4:5]
	s_cbranch_execnz .LBB38_711
	s_branch .LBB38_712
.LBB38_2761:
	s_movk_i32 s4, 0x80
	v_cmp_eq_u16_sdwa s[12:13], v3, s4 src0_sel:BYTE_0 src1_sel:DWORD
	s_mov_b64 s[4:5], -1
                                        ; implicit-def: $sgpr10
	s_and_saveexec_b64 s[8:9], s[12:13]
; %bb.2762:
	s_mov_b32 s10, 0x7f800001
	s_xor_b64 s[4:5], exec, -1
; %bb.2763:
	s_or_b64 exec, exec, s[8:9]
	s_and_b64 s[4:5], s[4:5], exec
	s_or_saveexec_b64 s[6:7], s[6:7]
	v_mov_b32_e32 v2, s10
	s_xor_b64 exec, exec, s[6:7]
	s_cbranch_execz .LBB38_714
.LBB38_2764:
	v_mov_b32_e32 v2, 0
	v_cmp_ne_u16_sdwa s[8:9], v3, v2 src0_sel:BYTE_0 src1_sel:DWORD
	s_andn2_b64 s[4:5], s[4:5], exec
	s_and_b64 s[8:9], s[8:9], exec
	s_or_b64 s[4:5], s[4:5], s[8:9]
	s_or_b64 exec, exec, s[6:7]
	s_and_saveexec_b64 s[6:7], s[4:5]
	s_cbranch_execnz .LBB38_715
	s_branch .LBB38_716
.LBB38_2765:
	s_movk_i32 s4, 0x80
	v_cmp_eq_u16_sdwa s[12:13], v3, s4 src0_sel:BYTE_0 src1_sel:DWORD
	s_mov_b64 s[4:5], -1
                                        ; implicit-def: $sgpr10
	s_and_saveexec_b64 s[8:9], s[12:13]
; %bb.2766:
	s_mov_b32 s10, 0x7f800001
	s_xor_b64 s[4:5], exec, -1
; %bb.2767:
	s_or_b64 exec, exec, s[8:9]
	s_and_b64 s[4:5], s[4:5], exec
	s_or_saveexec_b64 s[6:7], s[6:7]
	v_mov_b32_e32 v6, s10
	s_xor_b64 exec, exec, s[6:7]
	s_cbranch_execz .LBB38_718
.LBB38_2768:
	v_mov_b32_e32 v6, 0
	v_cmp_ne_u16_sdwa s[8:9], v3, v6 src0_sel:BYTE_0 src1_sel:DWORD
	s_andn2_b64 s[4:5], s[4:5], exec
	s_and_b64 s[8:9], s[8:9], exec
	s_or_b64 s[4:5], s[4:5], s[8:9]
	s_or_b64 exec, exec, s[6:7]
	s_and_saveexec_b64 s[6:7], s[4:5]
	s_cbranch_execnz .LBB38_719
	s_branch .LBB38_720
.LBB38_2769:
	s_movk_i32 s4, 0x80
	v_cmp_eq_u16_e32 vcc, s4, v3
	s_mov_b64 s[4:5], -1
                                        ; implicit-def: $sgpr10
	s_and_saveexec_b64 s[8:9], vcc
; %bb.2770:
	s_mov_b32 s10, 0x7f800001
	s_xor_b64 s[4:5], exec, -1
; %bb.2771:
	s_or_b64 exec, exec, s[8:9]
	s_and_b64 s[4:5], s[4:5], exec
                                        ; implicit-def: $vgpr3
	s_or_saveexec_b64 s[6:7], s[6:7]
	v_mov_b32_e32 v2, s10
	s_xor_b64 exec, exec, s[6:7]
	s_cbranch_execz .LBB38_722
.LBB38_2772:
	v_cmp_ne_u16_e32 vcc, 0, v3
	s_andn2_b64 s[4:5], s[4:5], exec
	s_and_b64 s[8:9], vcc, exec
	v_mov_b32_e32 v2, 0
	s_or_b64 s[4:5], s[4:5], s[8:9]
	s_or_b64 exec, exec, s[6:7]
	s_and_saveexec_b64 s[6:7], s[4:5]
	s_cbranch_execnz .LBB38_723
	s_branch .LBB38_724
.LBB38_2773:
	s_movk_i32 s4, 0x80
	v_cmp_eq_u16_e32 vcc, s4, v3
	s_mov_b64 s[4:5], -1
                                        ; implicit-def: $sgpr10
	s_and_saveexec_b64 s[8:9], vcc
; %bb.2774:
	s_mov_b32 s10, 0x7f800001
	s_xor_b64 s[4:5], exec, -1
; %bb.2775:
	s_or_b64 exec, exec, s[8:9]
	s_and_b64 s[4:5], s[4:5], exec
                                        ; implicit-def: $vgpr3
	s_or_saveexec_b64 s[6:7], s[6:7]
	v_mov_b32_e32 v6, s10
	s_xor_b64 exec, exec, s[6:7]
	s_cbranch_execz .LBB38_726
.LBB38_2776:
	v_cmp_ne_u16_e32 vcc, 0, v3
	s_andn2_b64 s[4:5], s[4:5], exec
	s_and_b64 s[8:9], vcc, exec
	v_mov_b32_e32 v6, 0
	s_or_b64 s[4:5], s[4:5], s[8:9]
	s_or_b64 exec, exec, s[6:7]
	s_and_saveexec_b64 s[6:7], s[4:5]
	s_cbranch_execnz .LBB38_727
	s_branch .LBB38_728
.LBB38_2777:
	s_movk_i32 s4, 0x80
	v_cmp_eq_u16_sdwa s[12:13], v8, s4 src0_sel:BYTE_3 src1_sel:DWORD
	s_mov_b64 s[4:5], -1
                                        ; implicit-def: $sgpr10
	s_and_saveexec_b64 s[8:9], s[12:13]
; %bb.2778:
	s_mov_b32 s10, 0x7f800001
	s_xor_b64 s[4:5], exec, -1
; %bb.2779:
	s_or_b64 exec, exec, s[8:9]
	s_and_b64 s[4:5], s[4:5], exec
	s_or_saveexec_b64 s[6:7], s[6:7]
	v_mov_b32_e32 v2, s10
	s_xor_b64 exec, exec, s[6:7]
	s_cbranch_execz .LBB38_730
.LBB38_2780:
	v_mov_b32_e32 v2, 0
	v_cmp_ne_u16_sdwa s[8:9], v8, v2 src0_sel:BYTE_3 src1_sel:DWORD
	s_andn2_b64 s[4:5], s[4:5], exec
	s_and_b64 s[8:9], s[8:9], exec
	s_or_b64 s[4:5], s[4:5], s[8:9]
	s_or_b64 exec, exec, s[6:7]
	s_and_saveexec_b64 s[6:7], s[4:5]
	s_cbranch_execnz .LBB38_731
	s_branch .LBB38_732
.LBB38_2781:
	s_movk_i32 s4, 0x80
	v_cmp_eq_u16_sdwa s[12:13], v4, s4 src0_sel:BYTE_3 src1_sel:DWORD
	s_mov_b64 s[4:5], -1
                                        ; implicit-def: $sgpr10
	s_and_saveexec_b64 s[8:9], s[12:13]
; %bb.2782:
	s_mov_b32 s10, 0x7f800001
	s_xor_b64 s[4:5], exec, -1
; %bb.2783:
	s_or_b64 exec, exec, s[8:9]
	s_and_b64 s[4:5], s[4:5], exec
	s_or_saveexec_b64 s[6:7], s[6:7]
	v_mov_b32_e32 v3, s10
	s_xor_b64 exec, exec, s[6:7]
	s_cbranch_execz .LBB38_734
.LBB38_2784:
	v_mov_b32_e32 v3, 0
	v_cmp_ne_u16_sdwa s[8:9], v4, v3 src0_sel:BYTE_3 src1_sel:DWORD
	s_andn2_b64 s[4:5], s[4:5], exec
	s_and_b64 s[8:9], s[8:9], exec
	s_or_b64 s[4:5], s[4:5], s[8:9]
	s_or_b64 exec, exec, s[6:7]
	s_and_saveexec_b64 s[6:7], s[4:5]
	s_cbranch_execnz .LBB38_735
	s_branch .LBB38_736
.LBB38_2785:
	s_movk_i32 s4, 0x80
	v_cmp_eq_u16_sdwa s[12:13], v9, s4 src0_sel:BYTE_0 src1_sel:DWORD
	s_mov_b64 s[4:5], -1
                                        ; implicit-def: $sgpr10
	s_and_saveexec_b64 s[8:9], s[12:13]
; %bb.2786:
	s_mov_b32 s10, 0x7f800001
	s_xor_b64 s[4:5], exec, -1
; %bb.2787:
	s_or_b64 exec, exec, s[8:9]
	s_and_b64 s[4:5], s[4:5], exec
	s_or_saveexec_b64 s[6:7], s[6:7]
	v_mov_b32_e32 v2, s10
	s_xor_b64 exec, exec, s[6:7]
	s_cbranch_execz .LBB38_738
.LBB38_2788:
	v_mov_b32_e32 v2, 0
	v_cmp_ne_u16_sdwa s[8:9], v9, v2 src0_sel:BYTE_0 src1_sel:DWORD
	s_andn2_b64 s[4:5], s[4:5], exec
	s_and_b64 s[8:9], s[8:9], exec
	s_or_b64 s[4:5], s[4:5], s[8:9]
	s_or_b64 exec, exec, s[6:7]
	s_and_saveexec_b64 s[6:7], s[4:5]
	s_cbranch_execnz .LBB38_739
	s_branch .LBB38_740
.LBB38_2789:
	s_movk_i32 s4, 0x80
	v_cmp_eq_u16_sdwa s[12:13], v5, s4 src0_sel:BYTE_0 src1_sel:DWORD
	s_mov_b64 s[4:5], -1
                                        ; implicit-def: $sgpr10
	s_and_saveexec_b64 s[8:9], s[12:13]
; %bb.2790:
	s_mov_b32 s10, 0x7f800001
	s_xor_b64 s[4:5], exec, -1
; %bb.2791:
	s_or_b64 exec, exec, s[8:9]
	s_and_b64 s[4:5], s[4:5], exec
	s_or_saveexec_b64 s[6:7], s[6:7]
	v_mov_b32_e32 v3, s10
	s_xor_b64 exec, exec, s[6:7]
	s_cbranch_execz .LBB38_742
.LBB38_2792:
	v_mov_b32_e32 v3, 0
	v_cmp_ne_u16_sdwa s[8:9], v5, v3 src0_sel:BYTE_0 src1_sel:DWORD
	s_andn2_b64 s[4:5], s[4:5], exec
	s_and_b64 s[8:9], s[8:9], exec
	s_or_b64 s[4:5], s[4:5], s[8:9]
	s_or_b64 exec, exec, s[6:7]
	s_and_saveexec_b64 s[6:7], s[4:5]
	s_cbranch_execnz .LBB38_743
	s_branch .LBB38_744
.LBB38_2793:
	s_movk_i32 s4, 0x80
	v_cmp_eq_u16_sdwa s[12:13], v3, s4 src0_sel:BYTE_0 src1_sel:DWORD
	s_mov_b64 s[4:5], -1
                                        ; implicit-def: $sgpr10
	s_and_saveexec_b64 s[8:9], s[12:13]
; %bb.2794:
	s_mov_b32 s10, 0x7f800001
	s_xor_b64 s[4:5], exec, -1
; %bb.2795:
	s_or_b64 exec, exec, s[8:9]
	s_and_b64 s[4:5], s[4:5], exec
	s_or_saveexec_b64 s[6:7], s[6:7]
	v_mov_b32_e32 v2, s10
	s_xor_b64 exec, exec, s[6:7]
	s_cbranch_execz .LBB38_746
.LBB38_2796:
	v_mov_b32_e32 v2, 0
	v_cmp_ne_u16_sdwa s[8:9], v3, v2 src0_sel:BYTE_0 src1_sel:DWORD
	s_andn2_b64 s[4:5], s[4:5], exec
	s_and_b64 s[8:9], s[8:9], exec
	s_or_b64 s[4:5], s[4:5], s[8:9]
	s_or_b64 exec, exec, s[6:7]
	s_and_saveexec_b64 s[6:7], s[4:5]
	s_cbranch_execnz .LBB38_747
	s_branch .LBB38_748
.LBB38_2797:
	s_movk_i32 s4, 0x80
	v_cmp_eq_u16_sdwa s[12:13], v3, s4 src0_sel:BYTE_0 src1_sel:DWORD
	s_mov_b64 s[4:5], -1
                                        ; implicit-def: $sgpr10
	s_and_saveexec_b64 s[8:9], s[12:13]
; %bb.2798:
	s_mov_b32 s10, 0x7f800001
	s_xor_b64 s[4:5], exec, -1
; %bb.2799:
	s_or_b64 exec, exec, s[8:9]
	s_and_b64 s[4:5], s[4:5], exec
	s_or_saveexec_b64 s[6:7], s[6:7]
	v_mov_b32_e32 v4, s10
	s_xor_b64 exec, exec, s[6:7]
	s_cbranch_execz .LBB38_750
.LBB38_2800:
	v_mov_b32_e32 v4, 0
	v_cmp_ne_u16_sdwa s[8:9], v3, v4 src0_sel:BYTE_0 src1_sel:DWORD
	s_andn2_b64 s[4:5], s[4:5], exec
	s_and_b64 s[8:9], s[8:9], exec
	s_or_b64 s[4:5], s[4:5], s[8:9]
	s_or_b64 exec, exec, s[6:7]
	s_and_saveexec_b64 s[6:7], s[4:5]
	s_cbranch_execnz .LBB38_751
	s_branch .LBB38_752
.LBB38_2801:
	s_movk_i32 s4, 0x80
	v_cmp_eq_u16_e32 vcc, s4, v3
	s_mov_b64 s[4:5], -1
                                        ; implicit-def: $sgpr10
	s_and_saveexec_b64 s[8:9], vcc
; %bb.2802:
	s_mov_b32 s10, 0x7f800001
	s_xor_b64 s[4:5], exec, -1
; %bb.2803:
	s_or_b64 exec, exec, s[8:9]
	s_and_b64 s[4:5], s[4:5], exec
                                        ; implicit-def: $vgpr3
	s_or_saveexec_b64 s[6:7], s[6:7]
	v_mov_b32_e32 v2, s10
	s_xor_b64 exec, exec, s[6:7]
	s_cbranch_execz .LBB38_754
.LBB38_2804:
	v_cmp_ne_u16_e32 vcc, 0, v3
	s_andn2_b64 s[4:5], s[4:5], exec
	s_and_b64 s[8:9], vcc, exec
	v_mov_b32_e32 v2, 0
	s_or_b64 s[4:5], s[4:5], s[8:9]
	s_or_b64 exec, exec, s[6:7]
	s_and_saveexec_b64 s[6:7], s[4:5]
	s_cbranch_execnz .LBB38_755
	s_branch .LBB38_756
.LBB38_2805:
	s_movk_i32 s4, 0x80
	v_cmp_eq_u16_e32 vcc, s4, v3
	s_mov_b64 s[4:5], -1
                                        ; implicit-def: $sgpr10
	s_and_saveexec_b64 s[8:9], vcc
; %bb.2806:
	s_mov_b32 s10, 0x7f800001
	s_xor_b64 s[4:5], exec, -1
; %bb.2807:
	s_or_b64 exec, exec, s[8:9]
	s_and_b64 s[4:5], s[4:5], exec
                                        ; implicit-def: $vgpr3
	s_or_saveexec_b64 s[6:7], s[6:7]
	v_mov_b32_e32 v4, s10
	s_xor_b64 exec, exec, s[6:7]
	s_cbranch_execz .LBB38_758
.LBB38_2808:
	v_cmp_ne_u16_e32 vcc, 0, v3
	s_andn2_b64 s[4:5], s[4:5], exec
	s_and_b64 s[8:9], vcc, exec
	v_mov_b32_e32 v4, 0
	s_or_b64 s[4:5], s[4:5], s[8:9]
	s_or_b64 exec, exec, s[6:7]
	s_and_saveexec_b64 s[6:7], s[4:5]
	s_cbranch_execnz .LBB38_759
	s_branch .LBB38_760
.LBB38_2809:
	s_movk_i32 s4, 0x80
	v_cmp_eq_u16_sdwa s[12:13], v9, s4 src0_sel:BYTE_3 src1_sel:DWORD
	s_mov_b64 s[4:5], -1
                                        ; implicit-def: $sgpr10
	s_and_saveexec_b64 s[8:9], s[12:13]
; %bb.2810:
	s_mov_b32 s10, 0x7f800001
	s_xor_b64 s[4:5], exec, -1
; %bb.2811:
	s_or_b64 exec, exec, s[8:9]
	s_and_b64 s[4:5], s[4:5], exec
	s_or_saveexec_b64 s[6:7], s[6:7]
	v_mov_b32_e32 v2, s10
	s_xor_b64 exec, exec, s[6:7]
	s_cbranch_execz .LBB38_762
.LBB38_2812:
	v_mov_b32_e32 v2, 0
	v_cmp_ne_u16_sdwa s[8:9], v9, v2 src0_sel:BYTE_3 src1_sel:DWORD
	s_andn2_b64 s[4:5], s[4:5], exec
	s_and_b64 s[8:9], s[8:9], exec
	s_or_b64 s[4:5], s[4:5], s[8:9]
	s_or_b64 exec, exec, s[6:7]
	s_and_saveexec_b64 s[6:7], s[4:5]
	s_cbranch_execnz .LBB38_763
	s_branch .LBB38_764
.LBB38_2813:
	s_movk_i32 s4, 0x80
	v_cmp_eq_u16_sdwa s[12:13], v5, s4 src0_sel:BYTE_3 src1_sel:DWORD
	s_mov_b64 s[4:5], -1
                                        ; implicit-def: $sgpr10
	s_and_saveexec_b64 s[8:9], s[12:13]
; %bb.2814:
	s_mov_b32 s10, 0x7f800001
	s_xor_b64 s[4:5], exec, -1
; %bb.2815:
	s_or_b64 exec, exec, s[8:9]
	s_and_b64 s[4:5], s[4:5], exec
	s_or_saveexec_b64 s[6:7], s[6:7]
	v_mov_b32_e32 v3, s10
	s_xor_b64 exec, exec, s[6:7]
	s_cbranch_execz .LBB38_766
.LBB38_2816:
	v_mov_b32_e32 v3, 0
	v_cmp_ne_u16_sdwa s[8:9], v5, v3 src0_sel:BYTE_3 src1_sel:DWORD
	s_andn2_b64 s[4:5], s[4:5], exec
	s_and_b64 s[8:9], s[8:9], exec
	s_or_b64 s[4:5], s[4:5], s[8:9]
	s_or_b64 exec, exec, s[6:7]
	s_and_saveexec_b64 s[6:7], s[4:5]
	s_cbranch_execnz .LBB38_767
	s_branch .LBB38_768
.LBB38_2817:
	s_movk_i32 s4, 0x80
	v_cmp_eq_u16_sdwa s[12:13], v14, s4 src0_sel:BYTE_0 src1_sel:DWORD
	s_mov_b64 s[4:5], -1
                                        ; implicit-def: $sgpr10
	s_and_saveexec_b64 s[8:9], s[12:13]
; %bb.2818:
	s_mov_b32 s10, 0x7f800001
	s_xor_b64 s[4:5], exec, -1
; %bb.2819:
	s_or_b64 exec, exec, s[8:9]
	s_and_b64 s[4:5], s[4:5], exec
	s_or_saveexec_b64 s[6:7], s[6:7]
	v_mov_b32_e32 v20, s10
	s_xor_b64 exec, exec, s[6:7]
	s_cbranch_execz .LBB38_770
.LBB38_2820:
	v_mov_b32_e32 v20, 0
	v_cmp_ne_u16_sdwa s[8:9], v14, v20 src0_sel:BYTE_0 src1_sel:DWORD
	s_andn2_b64 s[4:5], s[4:5], exec
	s_and_b64 s[8:9], s[8:9], exec
	s_or_b64 s[4:5], s[4:5], s[8:9]
	s_or_b64 exec, exec, s[6:7]
	s_and_saveexec_b64 s[6:7], s[4:5]
	s_cbranch_execnz .LBB38_771
	s_branch .LBB38_772
.LBB38_2821:
	s_movk_i32 s4, 0x80
	v_cmp_eq_u16_sdwa s[12:13], v10, s4 src0_sel:BYTE_0 src1_sel:DWORD
	s_mov_b64 s[4:5], -1
                                        ; implicit-def: $sgpr10
	s_and_saveexec_b64 s[8:9], s[12:13]
; %bb.2822:
	s_mov_b32 s10, 0x7f800001
	s_xor_b64 s[4:5], exec, -1
; %bb.2823:
	s_or_b64 exec, exec, s[8:9]
	s_and_b64 s[4:5], s[4:5], exec
	s_or_saveexec_b64 s[6:7], s[6:7]
	v_mov_b32_e32 v21, s10
	s_xor_b64 exec, exec, s[6:7]
	s_cbranch_execz .LBB38_774
.LBB38_2824:
	v_mov_b32_e32 v21, 0
	v_cmp_ne_u16_sdwa s[8:9], v10, v21 src0_sel:BYTE_0 src1_sel:DWORD
	s_andn2_b64 s[4:5], s[4:5], exec
	s_and_b64 s[8:9], s[8:9], exec
	s_or_b64 s[4:5], s[4:5], s[8:9]
	s_or_b64 exec, exec, s[6:7]
	s_and_saveexec_b64 s[6:7], s[4:5]
	s_cbranch_execnz .LBB38_775
	s_branch .LBB38_776
.LBB38_2825:
	s_movk_i32 s4, 0x80
	v_cmp_eq_u16_sdwa s[12:13], v21, s4 src0_sel:BYTE_0 src1_sel:DWORD
	s_mov_b64 s[4:5], -1
                                        ; implicit-def: $sgpr10
	s_and_saveexec_b64 s[8:9], s[12:13]
; %bb.2826:
	s_mov_b32 s10, 0x7f800001
	s_xor_b64 s[4:5], exec, -1
; %bb.2827:
	s_or_b64 exec, exec, s[8:9]
	s_and_b64 s[4:5], s[4:5], exec
	s_or_saveexec_b64 s[6:7], s[6:7]
	v_mov_b32_e32 v20, s10
	s_xor_b64 exec, exec, s[6:7]
	s_cbranch_execz .LBB38_778
.LBB38_2828:
	v_mov_b32_e32 v20, 0
	v_cmp_ne_u16_sdwa s[8:9], v21, v20 src0_sel:BYTE_0 src1_sel:DWORD
	s_andn2_b64 s[4:5], s[4:5], exec
	s_and_b64 s[8:9], s[8:9], exec
	s_or_b64 s[4:5], s[4:5], s[8:9]
	s_or_b64 exec, exec, s[6:7]
	s_and_saveexec_b64 s[6:7], s[4:5]
	s_cbranch_execnz .LBB38_779
	s_branch .LBB38_780
.LBB38_2829:
	s_movk_i32 s4, 0x80
	v_cmp_eq_u16_sdwa s[12:13], v21, s4 src0_sel:BYTE_0 src1_sel:DWORD
	s_mov_b64 s[4:5], -1
                                        ; implicit-def: $sgpr10
	s_and_saveexec_b64 s[8:9], s[12:13]
; %bb.2830:
	s_mov_b32 s10, 0x7f800001
	s_xor_b64 s[4:5], exec, -1
; %bb.2831:
	s_or_b64 exec, exec, s[8:9]
	s_and_b64 s[4:5], s[4:5], exec
	s_or_saveexec_b64 s[6:7], s[6:7]
	v_mov_b32_e32 v22, s10
	s_xor_b64 exec, exec, s[6:7]
	s_cbranch_execz .LBB38_782
.LBB38_2832:
	v_mov_b32_e32 v22, 0
	v_cmp_ne_u16_sdwa s[8:9], v21, v22 src0_sel:BYTE_0 src1_sel:DWORD
	s_andn2_b64 s[4:5], s[4:5], exec
	s_and_b64 s[8:9], s[8:9], exec
	s_or_b64 s[4:5], s[4:5], s[8:9]
	s_or_b64 exec, exec, s[6:7]
	s_and_saveexec_b64 s[6:7], s[4:5]
	s_cbranch_execnz .LBB38_783
	s_branch .LBB38_784
.LBB38_2833:
	s_movk_i32 s4, 0x80
	v_cmp_eq_u16_e32 vcc, s4, v21
	s_mov_b64 s[4:5], -1
                                        ; implicit-def: $sgpr10
	s_and_saveexec_b64 s[8:9], vcc
; %bb.2834:
	s_mov_b32 s10, 0x7f800001
	s_xor_b64 s[4:5], exec, -1
; %bb.2835:
	s_or_b64 exec, exec, s[8:9]
	s_and_b64 s[4:5], s[4:5], exec
                                        ; implicit-def: $vgpr21
	s_or_saveexec_b64 s[6:7], s[6:7]
	v_mov_b32_e32 v20, s10
	s_xor_b64 exec, exec, s[6:7]
	s_cbranch_execz .LBB38_786
.LBB38_2836:
	v_cmp_ne_u16_e32 vcc, 0, v21
	s_andn2_b64 s[4:5], s[4:5], exec
	s_and_b64 s[8:9], vcc, exec
	v_mov_b32_e32 v20, 0
	s_or_b64 s[4:5], s[4:5], s[8:9]
	s_or_b64 exec, exec, s[6:7]
	s_and_saveexec_b64 s[6:7], s[4:5]
	s_cbranch_execnz .LBB38_787
	s_branch .LBB38_788
.LBB38_2837:
	s_movk_i32 s4, 0x80
	v_cmp_eq_u16_e32 vcc, s4, v21
	s_mov_b64 s[4:5], -1
                                        ; implicit-def: $sgpr10
	s_and_saveexec_b64 s[8:9], vcc
; %bb.2838:
	s_mov_b32 s10, 0x7f800001
	s_xor_b64 s[4:5], exec, -1
; %bb.2839:
	s_or_b64 exec, exec, s[8:9]
	s_and_b64 s[4:5], s[4:5], exec
                                        ; implicit-def: $vgpr21
	s_or_saveexec_b64 s[6:7], s[6:7]
	v_mov_b32_e32 v22, s10
	s_xor_b64 exec, exec, s[6:7]
	s_cbranch_execz .LBB38_790
.LBB38_2840:
	v_cmp_ne_u16_e32 vcc, 0, v21
	s_andn2_b64 s[4:5], s[4:5], exec
	s_and_b64 s[8:9], vcc, exec
	v_mov_b32_e32 v22, 0
	s_or_b64 s[4:5], s[4:5], s[8:9]
	s_or_b64 exec, exec, s[6:7]
	s_and_saveexec_b64 s[6:7], s[4:5]
	s_cbranch_execnz .LBB38_791
	s_branch .LBB38_792
.LBB38_2841:
	s_movk_i32 s4, 0x80
	v_cmp_eq_u16_sdwa s[12:13], v14, s4 src0_sel:BYTE_3 src1_sel:DWORD
	s_mov_b64 s[4:5], -1
                                        ; implicit-def: $sgpr10
	s_and_saveexec_b64 s[8:9], s[12:13]
; %bb.2842:
	s_mov_b32 s10, 0x7f800001
	s_xor_b64 s[4:5], exec, -1
; %bb.2843:
	s_or_b64 exec, exec, s[8:9]
	s_and_b64 s[4:5], s[4:5], exec
	s_or_saveexec_b64 s[6:7], s[6:7]
	v_mov_b32_e32 v20, s10
	s_xor_b64 exec, exec, s[6:7]
	s_cbranch_execz .LBB38_794
.LBB38_2844:
	v_mov_b32_e32 v20, 0
	v_cmp_ne_u16_sdwa s[8:9], v14, v20 src0_sel:BYTE_3 src1_sel:DWORD
	s_andn2_b64 s[4:5], s[4:5], exec
	s_and_b64 s[8:9], s[8:9], exec
	s_or_b64 s[4:5], s[4:5], s[8:9]
	s_or_b64 exec, exec, s[6:7]
	s_and_saveexec_b64 s[6:7], s[4:5]
	s_cbranch_execnz .LBB38_795
	s_branch .LBB38_796
.LBB38_2845:
	s_movk_i32 s4, 0x80
	v_cmp_eq_u16_sdwa s[12:13], v10, s4 src0_sel:BYTE_3 src1_sel:DWORD
	s_mov_b64 s[4:5], -1
                                        ; implicit-def: $sgpr10
	s_and_saveexec_b64 s[8:9], s[12:13]
; %bb.2846:
	s_mov_b32 s10, 0x7f800001
	s_xor_b64 s[4:5], exec, -1
; %bb.2847:
	s_or_b64 exec, exec, s[8:9]
	s_and_b64 s[4:5], s[4:5], exec
	s_or_saveexec_b64 s[6:7], s[6:7]
	v_mov_b32_e32 v14, s10
	s_xor_b64 exec, exec, s[6:7]
	s_cbranch_execz .LBB38_798
.LBB38_2848:
	v_mov_b32_e32 v14, 0
	v_cmp_ne_u16_sdwa s[8:9], v10, v14 src0_sel:BYTE_3 src1_sel:DWORD
	s_andn2_b64 s[4:5], s[4:5], exec
	s_and_b64 s[8:9], s[8:9], exec
	s_or_b64 s[4:5], s[4:5], s[8:9]
	s_or_b64 exec, exec, s[6:7]
	s_and_saveexec_b64 s[6:7], s[4:5]
	s_cbranch_execnz .LBB38_799
	s_branch .LBB38_800
.LBB38_2849:
	s_movk_i32 s4, 0x80
	v_cmp_eq_u16_sdwa s[12:13], v15, s4 src0_sel:BYTE_0 src1_sel:DWORD
	s_mov_b64 s[4:5], -1
                                        ; implicit-def: $sgpr10
	s_and_saveexec_b64 s[8:9], s[12:13]
; %bb.2850:
	s_mov_b32 s10, 0x7f800001
	s_xor_b64 s[4:5], exec, -1
; %bb.2851:
	s_or_b64 exec, exec, s[8:9]
	s_and_b64 s[4:5], s[4:5], exec
	s_or_saveexec_b64 s[6:7], s[6:7]
	v_mov_b32_e32 v10, s10
	s_xor_b64 exec, exec, s[6:7]
	s_cbranch_execz .LBB38_802
.LBB38_2852:
	v_mov_b32_e32 v10, 0
	v_cmp_ne_u16_sdwa s[8:9], v15, v10 src0_sel:BYTE_0 src1_sel:DWORD
	s_andn2_b64 s[4:5], s[4:5], exec
	s_and_b64 s[8:9], s[8:9], exec
	s_or_b64 s[4:5], s[4:5], s[8:9]
	s_or_b64 exec, exec, s[6:7]
	s_and_saveexec_b64 s[6:7], s[4:5]
	s_cbranch_execnz .LBB38_803
	s_branch .LBB38_804
.LBB38_2853:
	s_movk_i32 s4, 0x80
	v_cmp_eq_u16_sdwa s[12:13], v11, s4 src0_sel:BYTE_0 src1_sel:DWORD
	s_mov_b64 s[4:5], -1
                                        ; implicit-def: $sgpr10
	s_and_saveexec_b64 s[8:9], s[12:13]
; %bb.2854:
	s_mov_b32 s10, 0x7f800001
	s_xor_b64 s[4:5], exec, -1
; %bb.2855:
	s_or_b64 exec, exec, s[8:9]
	s_and_b64 s[4:5], s[4:5], exec
	s_or_saveexec_b64 s[6:7], s[6:7]
	v_mov_b32_e32 v14, s10
	s_xor_b64 exec, exec, s[6:7]
	s_cbranch_execz .LBB38_806
.LBB38_2856:
	v_mov_b32_e32 v14, 0
	v_cmp_ne_u16_sdwa s[8:9], v11, v14 src0_sel:BYTE_0 src1_sel:DWORD
	s_andn2_b64 s[4:5], s[4:5], exec
	s_and_b64 s[8:9], s[8:9], exec
	s_or_b64 s[4:5], s[4:5], s[8:9]
	s_or_b64 exec, exec, s[6:7]
	s_and_saveexec_b64 s[6:7], s[4:5]
	s_cbranch_execnz .LBB38_807
	s_branch .LBB38_808
.LBB38_2857:
	s_movk_i32 s4, 0x80
	v_cmp_eq_u16_sdwa s[12:13], v14, s4 src0_sel:BYTE_0 src1_sel:DWORD
	s_mov_b64 s[4:5], -1
                                        ; implicit-def: $sgpr10
	s_and_saveexec_b64 s[8:9], s[12:13]
; %bb.2858:
	s_mov_b32 s10, 0x7f800001
	s_xor_b64 s[4:5], exec, -1
; %bb.2859:
	s_or_b64 exec, exec, s[8:9]
	s_and_b64 s[4:5], s[4:5], exec
	s_or_saveexec_b64 s[6:7], s[6:7]
	v_mov_b32_e32 v10, s10
	s_xor_b64 exec, exec, s[6:7]
	s_cbranch_execz .LBB38_810
.LBB38_2860:
	v_mov_b32_e32 v10, 0
	v_cmp_ne_u16_sdwa s[8:9], v14, v10 src0_sel:BYTE_0 src1_sel:DWORD
	s_andn2_b64 s[4:5], s[4:5], exec
	s_and_b64 s[8:9], s[8:9], exec
	s_or_b64 s[4:5], s[4:5], s[8:9]
	s_or_b64 exec, exec, s[6:7]
	s_and_saveexec_b64 s[6:7], s[4:5]
	s_cbranch_execnz .LBB38_811
	s_branch .LBB38_812
.LBB38_2861:
	s_movk_i32 s4, 0x80
	v_cmp_eq_u16_sdwa s[12:13], v14, s4 src0_sel:BYTE_0 src1_sel:DWORD
	s_mov_b64 s[4:5], -1
                                        ; implicit-def: $sgpr10
	s_and_saveexec_b64 s[8:9], s[12:13]
; %bb.2862:
	s_mov_b32 s10, 0x7f800001
	s_xor_b64 s[4:5], exec, -1
; %bb.2863:
	s_or_b64 exec, exec, s[8:9]
	s_and_b64 s[4:5], s[4:5], exec
	s_or_saveexec_b64 s[6:7], s[6:7]
	v_mov_b32_e32 v20, s10
	s_xor_b64 exec, exec, s[6:7]
	s_cbranch_execz .LBB38_814
.LBB38_2864:
	v_mov_b32_e32 v20, 0
	v_cmp_ne_u16_sdwa s[8:9], v14, v20 src0_sel:BYTE_0 src1_sel:DWORD
	s_andn2_b64 s[4:5], s[4:5], exec
	s_and_b64 s[8:9], s[8:9], exec
	s_or_b64 s[4:5], s[4:5], s[8:9]
	s_or_b64 exec, exec, s[6:7]
	s_and_saveexec_b64 s[6:7], s[4:5]
	s_cbranch_execnz .LBB38_815
	s_branch .LBB38_816
.LBB38_2865:
	s_movk_i32 s4, 0x80
	v_cmp_eq_u16_e32 vcc, s4, v14
	s_mov_b64 s[4:5], -1
                                        ; implicit-def: $sgpr10
	s_and_saveexec_b64 s[8:9], vcc
; %bb.2866:
	s_mov_b32 s10, 0x7f800001
	s_xor_b64 s[4:5], exec, -1
; %bb.2867:
	s_or_b64 exec, exec, s[8:9]
	s_and_b64 s[4:5], s[4:5], exec
                                        ; implicit-def: $vgpr14
	s_or_saveexec_b64 s[6:7], s[6:7]
	v_mov_b32_e32 v10, s10
	s_xor_b64 exec, exec, s[6:7]
	s_cbranch_execz .LBB38_818
.LBB38_2868:
	v_cmp_ne_u16_e32 vcc, 0, v14
	s_andn2_b64 s[4:5], s[4:5], exec
	s_and_b64 s[8:9], vcc, exec
	v_mov_b32_e32 v10, 0
	s_or_b64 s[4:5], s[4:5], s[8:9]
	s_or_b64 exec, exec, s[6:7]
	s_and_saveexec_b64 s[6:7], s[4:5]
	s_cbranch_execnz .LBB38_819
	s_branch .LBB38_820
.LBB38_2869:
	s_movk_i32 s4, 0x80
	v_cmp_eq_u16_e32 vcc, s4, v14
	s_mov_b64 s[4:5], -1
                                        ; implicit-def: $sgpr10
	s_and_saveexec_b64 s[8:9], vcc
; %bb.2870:
	s_mov_b32 s10, 0x7f800001
	s_xor_b64 s[4:5], exec, -1
; %bb.2871:
	s_or_b64 exec, exec, s[8:9]
	s_and_b64 s[4:5], s[4:5], exec
                                        ; implicit-def: $vgpr14
	s_or_saveexec_b64 s[6:7], s[6:7]
	v_mov_b32_e32 v20, s10
	s_xor_b64 exec, exec, s[6:7]
	s_cbranch_execz .LBB38_822
.LBB38_2872:
	v_cmp_ne_u16_e32 vcc, 0, v14
	s_andn2_b64 s[4:5], s[4:5], exec
	s_and_b64 s[8:9], vcc, exec
	v_mov_b32_e32 v20, 0
	s_or_b64 s[4:5], s[4:5], s[8:9]
	s_or_b64 exec, exec, s[6:7]
	s_and_saveexec_b64 s[6:7], s[4:5]
	s_cbranch_execnz .LBB38_823
	s_branch .LBB38_824
.LBB38_2873:
	s_movk_i32 s4, 0x80
	v_cmp_eq_u16_sdwa s[12:13], v15, s4 src0_sel:BYTE_3 src1_sel:DWORD
	s_mov_b64 s[4:5], -1
                                        ; implicit-def: $sgpr10
	s_and_saveexec_b64 s[8:9], s[12:13]
; %bb.2874:
	s_mov_b32 s10, 0x7f800001
	s_xor_b64 s[4:5], exec, -1
; %bb.2875:
	s_or_b64 exec, exec, s[8:9]
	s_and_b64 s[4:5], s[4:5], exec
	s_or_saveexec_b64 s[6:7], s[6:7]
	v_mov_b32_e32 v10, s10
	s_xor_b64 exec, exec, s[6:7]
	s_cbranch_execz .LBB38_826
.LBB38_2876:
	v_mov_b32_e32 v10, 0
	v_cmp_ne_u16_sdwa s[8:9], v15, v10 src0_sel:BYTE_3 src1_sel:DWORD
	s_andn2_b64 s[4:5], s[4:5], exec
	s_and_b64 s[8:9], s[8:9], exec
	s_or_b64 s[4:5], s[4:5], s[8:9]
	s_or_b64 exec, exec, s[6:7]
	s_and_saveexec_b64 s[6:7], s[4:5]
	s_cbranch_execnz .LBB38_827
	s_branch .LBB38_828
.LBB38_2877:
	s_movk_i32 s4, 0x80
	v_cmp_eq_u16_sdwa s[12:13], v11, s4 src0_sel:BYTE_3 src1_sel:DWORD
	s_mov_b64 s[4:5], -1
                                        ; implicit-def: $sgpr10
	s_and_saveexec_b64 s[8:9], s[12:13]
; %bb.2878:
	s_mov_b32 s10, 0x7f800001
	s_xor_b64 s[4:5], exec, -1
; %bb.2879:
	s_or_b64 exec, exec, s[8:9]
	s_and_b64 s[4:5], s[4:5], exec
	s_or_saveexec_b64 s[6:7], s[6:7]
	v_mov_b32_e32 v14, s10
	s_xor_b64 exec, exec, s[6:7]
	s_cbranch_execz .LBB38_830
.LBB38_2880:
	v_mov_b32_e32 v14, 0
	v_cmp_ne_u16_sdwa s[8:9], v11, v14 src0_sel:BYTE_3 src1_sel:DWORD
	s_andn2_b64 s[4:5], s[4:5], exec
	s_and_b64 s[8:9], s[8:9], exec
	s_or_b64 s[4:5], s[4:5], s[8:9]
	s_or_b64 exec, exec, s[6:7]
	s_and_saveexec_b64 s[6:7], s[4:5]
	s_cbranch_execnz .LBB38_831
	s_branch .LBB38_832
.LBB38_2881:
	s_movk_i32 s4, 0x80
	v_cmp_eq_u16_sdwa s[12:13], v16, s4 src0_sel:BYTE_0 src1_sel:DWORD
	s_mov_b64 s[4:5], -1
                                        ; implicit-def: $sgpr10
	s_and_saveexec_b64 s[8:9], s[12:13]
; %bb.2882:
	s_mov_b32 s10, 0x7f800001
	s_xor_b64 s[4:5], exec, -1
; %bb.2883:
	s_or_b64 exec, exec, s[8:9]
	s_and_b64 s[4:5], s[4:5], exec
	s_or_saveexec_b64 s[6:7], s[6:7]
	v_mov_b32_e32 v10, s10
	s_xor_b64 exec, exec, s[6:7]
	s_cbranch_execz .LBB38_834
.LBB38_2884:
	v_mov_b32_e32 v10, 0
	v_cmp_ne_u16_sdwa s[8:9], v16, v10 src0_sel:BYTE_0 src1_sel:DWORD
	s_andn2_b64 s[4:5], s[4:5], exec
	s_and_b64 s[8:9], s[8:9], exec
	s_or_b64 s[4:5], s[4:5], s[8:9]
	s_or_b64 exec, exec, s[6:7]
	s_and_saveexec_b64 s[6:7], s[4:5]
	s_cbranch_execnz .LBB38_835
	s_branch .LBB38_836
.LBB38_2885:
	s_movk_i32 s4, 0x80
	v_cmp_eq_u16_sdwa s[12:13], v12, s4 src0_sel:BYTE_0 src1_sel:DWORD
	s_mov_b64 s[4:5], -1
                                        ; implicit-def: $sgpr10
	s_and_saveexec_b64 s[8:9], s[12:13]
; %bb.2886:
	s_mov_b32 s10, 0x7f800001
	s_xor_b64 s[4:5], exec, -1
; %bb.2887:
	s_or_b64 exec, exec, s[8:9]
	s_and_b64 s[4:5], s[4:5], exec
	s_or_saveexec_b64 s[6:7], s[6:7]
	v_mov_b32_e32 v11, s10
	s_xor_b64 exec, exec, s[6:7]
	s_cbranch_execz .LBB38_838
.LBB38_2888:
	v_mov_b32_e32 v11, 0
	v_cmp_ne_u16_sdwa s[8:9], v12, v11 src0_sel:BYTE_0 src1_sel:DWORD
	s_andn2_b64 s[4:5], s[4:5], exec
	s_and_b64 s[8:9], s[8:9], exec
	s_or_b64 s[4:5], s[4:5], s[8:9]
	s_or_b64 exec, exec, s[6:7]
	s_and_saveexec_b64 s[6:7], s[4:5]
	s_cbranch_execnz .LBB38_839
	s_branch .LBB38_840
.LBB38_2889:
	s_movk_i32 s4, 0x80
	v_cmp_eq_u16_sdwa s[12:13], v11, s4 src0_sel:BYTE_0 src1_sel:DWORD
	s_mov_b64 s[4:5], -1
                                        ; implicit-def: $sgpr10
	s_and_saveexec_b64 s[8:9], s[12:13]
; %bb.2890:
	s_mov_b32 s10, 0x7f800001
	s_xor_b64 s[4:5], exec, -1
; %bb.2891:
	s_or_b64 exec, exec, s[8:9]
	s_and_b64 s[4:5], s[4:5], exec
	s_or_saveexec_b64 s[6:7], s[6:7]
	v_mov_b32_e32 v10, s10
	s_xor_b64 exec, exec, s[6:7]
	s_cbranch_execz .LBB38_842
.LBB38_2892:
	v_mov_b32_e32 v10, 0
	v_cmp_ne_u16_sdwa s[8:9], v11, v10 src0_sel:BYTE_0 src1_sel:DWORD
	s_andn2_b64 s[4:5], s[4:5], exec
	s_and_b64 s[8:9], s[8:9], exec
	s_or_b64 s[4:5], s[4:5], s[8:9]
	s_or_b64 exec, exec, s[6:7]
	s_and_saveexec_b64 s[6:7], s[4:5]
	s_cbranch_execnz .LBB38_843
	s_branch .LBB38_844
.LBB38_2893:
	s_movk_i32 s4, 0x80
	v_cmp_eq_u16_sdwa s[12:13], v11, s4 src0_sel:BYTE_0 src1_sel:DWORD
	s_mov_b64 s[4:5], -1
                                        ; implicit-def: $sgpr10
	s_and_saveexec_b64 s[8:9], s[12:13]
; %bb.2894:
	s_mov_b32 s10, 0x7f800001
	s_xor_b64 s[4:5], exec, -1
; %bb.2895:
	s_or_b64 exec, exec, s[8:9]
	s_and_b64 s[4:5], s[4:5], exec
	s_or_saveexec_b64 s[6:7], s[6:7]
	v_mov_b32_e32 v14, s10
	s_xor_b64 exec, exec, s[6:7]
	s_cbranch_execz .LBB38_846
.LBB38_2896:
	v_mov_b32_e32 v14, 0
	v_cmp_ne_u16_sdwa s[8:9], v11, v14 src0_sel:BYTE_0 src1_sel:DWORD
	s_andn2_b64 s[4:5], s[4:5], exec
	s_and_b64 s[8:9], s[8:9], exec
	s_or_b64 s[4:5], s[4:5], s[8:9]
	s_or_b64 exec, exec, s[6:7]
	s_and_saveexec_b64 s[6:7], s[4:5]
	s_cbranch_execnz .LBB38_847
	s_branch .LBB38_848
.LBB38_2897:
	s_movk_i32 s4, 0x80
	v_cmp_eq_u16_e32 vcc, s4, v11
	s_mov_b64 s[4:5], -1
                                        ; implicit-def: $sgpr10
	s_and_saveexec_b64 s[8:9], vcc
; %bb.2898:
	s_mov_b32 s10, 0x7f800001
	s_xor_b64 s[4:5], exec, -1
; %bb.2899:
	s_or_b64 exec, exec, s[8:9]
	s_and_b64 s[4:5], s[4:5], exec
                                        ; implicit-def: $vgpr11
	s_or_saveexec_b64 s[6:7], s[6:7]
	v_mov_b32_e32 v10, s10
	s_xor_b64 exec, exec, s[6:7]
	s_cbranch_execz .LBB38_850
.LBB38_2900:
	v_cmp_ne_u16_e32 vcc, 0, v11
	s_andn2_b64 s[4:5], s[4:5], exec
	s_and_b64 s[8:9], vcc, exec
	v_mov_b32_e32 v10, 0
	s_or_b64 s[4:5], s[4:5], s[8:9]
	s_or_b64 exec, exec, s[6:7]
	s_and_saveexec_b64 s[6:7], s[4:5]
	s_cbranch_execnz .LBB38_851
	s_branch .LBB38_852
.LBB38_2901:
	s_movk_i32 s4, 0x80
	v_cmp_eq_u16_e32 vcc, s4, v11
	s_mov_b64 s[4:5], -1
                                        ; implicit-def: $sgpr10
	s_and_saveexec_b64 s[8:9], vcc
; %bb.2902:
	s_mov_b32 s10, 0x7f800001
	s_xor_b64 s[4:5], exec, -1
; %bb.2903:
	s_or_b64 exec, exec, s[8:9]
	s_and_b64 s[4:5], s[4:5], exec
                                        ; implicit-def: $vgpr11
	s_or_saveexec_b64 s[6:7], s[6:7]
	v_mov_b32_e32 v14, s10
	s_xor_b64 exec, exec, s[6:7]
	s_cbranch_execz .LBB38_854
.LBB38_2904:
	v_cmp_ne_u16_e32 vcc, 0, v11
	s_andn2_b64 s[4:5], s[4:5], exec
	s_and_b64 s[8:9], vcc, exec
	v_mov_b32_e32 v14, 0
	s_or_b64 s[4:5], s[4:5], s[8:9]
	s_or_b64 exec, exec, s[6:7]
	s_and_saveexec_b64 s[6:7], s[4:5]
	s_cbranch_execnz .LBB38_855
	s_branch .LBB38_856
.LBB38_2905:
	s_movk_i32 s4, 0x80
	v_cmp_eq_u16_sdwa s[12:13], v16, s4 src0_sel:BYTE_3 src1_sel:DWORD
	s_mov_b64 s[4:5], -1
                                        ; implicit-def: $sgpr10
	s_and_saveexec_b64 s[8:9], s[12:13]
; %bb.2906:
	s_mov_b32 s10, 0x7f800001
	s_xor_b64 s[4:5], exec, -1
; %bb.2907:
	s_or_b64 exec, exec, s[8:9]
	s_and_b64 s[4:5], s[4:5], exec
	s_or_saveexec_b64 s[6:7], s[6:7]
	v_mov_b32_e32 v10, s10
	s_xor_b64 exec, exec, s[6:7]
	s_cbranch_execz .LBB38_858
.LBB38_2908:
	v_mov_b32_e32 v10, 0
	v_cmp_ne_u16_sdwa s[8:9], v16, v10 src0_sel:BYTE_3 src1_sel:DWORD
	s_andn2_b64 s[4:5], s[4:5], exec
	s_and_b64 s[8:9], s[8:9], exec
	s_or_b64 s[4:5], s[4:5], s[8:9]
	s_or_b64 exec, exec, s[6:7]
	s_and_saveexec_b64 s[6:7], s[4:5]
	s_cbranch_execnz .LBB38_859
	s_branch .LBB38_860
.LBB38_2909:
	s_movk_i32 s4, 0x80
	v_cmp_eq_u16_sdwa s[12:13], v12, s4 src0_sel:BYTE_3 src1_sel:DWORD
	s_mov_b64 s[4:5], -1
                                        ; implicit-def: $sgpr10
	s_and_saveexec_b64 s[8:9], s[12:13]
; %bb.2910:
	s_mov_b32 s10, 0x7f800001
	s_xor_b64 s[4:5], exec, -1
; %bb.2911:
	s_or_b64 exec, exec, s[8:9]
	s_and_b64 s[4:5], s[4:5], exec
	s_or_saveexec_b64 s[6:7], s[6:7]
	v_mov_b32_e32 v11, s10
	s_xor_b64 exec, exec, s[6:7]
	s_cbranch_execz .LBB38_862
.LBB38_2912:
	v_mov_b32_e32 v11, 0
	v_cmp_ne_u16_sdwa s[8:9], v12, v11 src0_sel:BYTE_3 src1_sel:DWORD
	s_andn2_b64 s[4:5], s[4:5], exec
	s_and_b64 s[8:9], s[8:9], exec
	s_or_b64 s[4:5], s[4:5], s[8:9]
	s_or_b64 exec, exec, s[6:7]
	s_and_saveexec_b64 s[6:7], s[4:5]
	s_cbranch_execnz .LBB38_863
	s_branch .LBB38_864
.LBB38_2913:
	s_movk_i32 s4, 0x80
	v_cmp_eq_u16_sdwa s[12:13], v17, s4 src0_sel:BYTE_0 src1_sel:DWORD
	s_mov_b64 s[4:5], -1
                                        ; implicit-def: $sgpr10
	s_and_saveexec_b64 s[8:9], s[12:13]
; %bb.2914:
	s_mov_b32 s10, 0x7f800001
	s_xor_b64 s[4:5], exec, -1
; %bb.2915:
	s_or_b64 exec, exec, s[8:9]
	s_and_b64 s[4:5], s[4:5], exec
	s_or_saveexec_b64 s[6:7], s[6:7]
	v_mov_b32_e32 v10, s10
	s_xor_b64 exec, exec, s[6:7]
	s_cbranch_execz .LBB38_866
.LBB38_2916:
	v_mov_b32_e32 v10, 0
	v_cmp_ne_u16_sdwa s[8:9], v17, v10 src0_sel:BYTE_0 src1_sel:DWORD
	s_andn2_b64 s[4:5], s[4:5], exec
	s_and_b64 s[8:9], s[8:9], exec
	s_or_b64 s[4:5], s[4:5], s[8:9]
	s_or_b64 exec, exec, s[6:7]
	s_and_saveexec_b64 s[6:7], s[4:5]
	s_cbranch_execnz .LBB38_867
	s_branch .LBB38_868
.LBB38_2917:
	s_movk_i32 s4, 0x80
	v_cmp_eq_u16_sdwa s[12:13], v13, s4 src0_sel:BYTE_0 src1_sel:DWORD
	s_mov_b64 s[4:5], -1
                                        ; implicit-def: $sgpr10
	s_and_saveexec_b64 s[8:9], s[12:13]
; %bb.2918:
	s_mov_b32 s10, 0x7f800001
	s_xor_b64 s[4:5], exec, -1
; %bb.2919:
	s_or_b64 exec, exec, s[8:9]
	s_and_b64 s[4:5], s[4:5], exec
	s_or_saveexec_b64 s[6:7], s[6:7]
	v_mov_b32_e32 v11, s10
	s_xor_b64 exec, exec, s[6:7]
	s_cbranch_execz .LBB38_870
.LBB38_2920:
	v_mov_b32_e32 v11, 0
	v_cmp_ne_u16_sdwa s[8:9], v13, v11 src0_sel:BYTE_0 src1_sel:DWORD
	s_andn2_b64 s[4:5], s[4:5], exec
	s_and_b64 s[8:9], s[8:9], exec
	s_or_b64 s[4:5], s[4:5], s[8:9]
	s_or_b64 exec, exec, s[6:7]
	s_and_saveexec_b64 s[6:7], s[4:5]
	s_cbranch_execnz .LBB38_871
	s_branch .LBB38_872
.LBB38_2921:
	s_movk_i32 s4, 0x80
	v_cmp_eq_u16_sdwa s[12:13], v11, s4 src0_sel:BYTE_0 src1_sel:DWORD
	s_mov_b64 s[4:5], -1
                                        ; implicit-def: $sgpr10
	s_and_saveexec_b64 s[8:9], s[12:13]
; %bb.2922:
	s_mov_b32 s10, 0x7f800001
	s_xor_b64 s[4:5], exec, -1
; %bb.2923:
	s_or_b64 exec, exec, s[8:9]
	s_and_b64 s[4:5], s[4:5], exec
	s_or_saveexec_b64 s[6:7], s[6:7]
	v_mov_b32_e32 v10, s10
	s_xor_b64 exec, exec, s[6:7]
	s_cbranch_execz .LBB38_874
.LBB38_2924:
	v_mov_b32_e32 v10, 0
	v_cmp_ne_u16_sdwa s[8:9], v11, v10 src0_sel:BYTE_0 src1_sel:DWORD
	s_andn2_b64 s[4:5], s[4:5], exec
	s_and_b64 s[8:9], s[8:9], exec
	s_or_b64 s[4:5], s[4:5], s[8:9]
	s_or_b64 exec, exec, s[6:7]
	s_and_saveexec_b64 s[6:7], s[4:5]
	s_cbranch_execnz .LBB38_875
	s_branch .LBB38_876
.LBB38_2925:
	s_movk_i32 s4, 0x80
	v_cmp_eq_u16_sdwa s[12:13], v11, s4 src0_sel:BYTE_0 src1_sel:DWORD
	s_mov_b64 s[4:5], -1
                                        ; implicit-def: $sgpr10
	s_and_saveexec_b64 s[8:9], s[12:13]
; %bb.2926:
	s_mov_b32 s10, 0x7f800001
	s_xor_b64 s[4:5], exec, -1
; %bb.2927:
	s_or_b64 exec, exec, s[8:9]
	s_and_b64 s[4:5], s[4:5], exec
	s_or_saveexec_b64 s[6:7], s[6:7]
	v_mov_b32_e32 v12, s10
	s_xor_b64 exec, exec, s[6:7]
	s_cbranch_execz .LBB38_878
.LBB38_2928:
	v_mov_b32_e32 v12, 0
	v_cmp_ne_u16_sdwa s[8:9], v11, v12 src0_sel:BYTE_0 src1_sel:DWORD
	s_andn2_b64 s[4:5], s[4:5], exec
	s_and_b64 s[8:9], s[8:9], exec
	s_or_b64 s[4:5], s[4:5], s[8:9]
	s_or_b64 exec, exec, s[6:7]
	s_and_saveexec_b64 s[6:7], s[4:5]
	s_cbranch_execnz .LBB38_879
	s_branch .LBB38_880
.LBB38_2929:
	s_movk_i32 s4, 0x80
	v_cmp_eq_u16_e32 vcc, s4, v11
	s_mov_b64 s[4:5], -1
                                        ; implicit-def: $sgpr10
	s_and_saveexec_b64 s[8:9], vcc
; %bb.2930:
	s_mov_b32 s10, 0x7f800001
	s_xor_b64 s[4:5], exec, -1
; %bb.2931:
	s_or_b64 exec, exec, s[8:9]
	s_and_b64 s[4:5], s[4:5], exec
                                        ; implicit-def: $vgpr11
	s_or_saveexec_b64 s[6:7], s[6:7]
	v_mov_b32_e32 v10, s10
	s_xor_b64 exec, exec, s[6:7]
	s_cbranch_execz .LBB38_882
.LBB38_2932:
	v_cmp_ne_u16_e32 vcc, 0, v11
	s_andn2_b64 s[4:5], s[4:5], exec
	s_and_b64 s[8:9], vcc, exec
	v_mov_b32_e32 v10, 0
	s_or_b64 s[4:5], s[4:5], s[8:9]
	s_or_b64 exec, exec, s[6:7]
	s_and_saveexec_b64 s[6:7], s[4:5]
	s_cbranch_execnz .LBB38_883
	s_branch .LBB38_884
.LBB38_2933:
	s_movk_i32 s4, 0x80
	v_cmp_eq_u16_e32 vcc, s4, v11
	s_mov_b64 s[4:5], -1
                                        ; implicit-def: $sgpr10
	s_and_saveexec_b64 s[8:9], vcc
; %bb.2934:
	s_mov_b32 s10, 0x7f800001
	s_xor_b64 s[4:5], exec, -1
; %bb.2935:
	s_or_b64 exec, exec, s[8:9]
	s_and_b64 s[4:5], s[4:5], exec
                                        ; implicit-def: $vgpr11
	s_or_saveexec_b64 s[6:7], s[6:7]
	v_mov_b32_e32 v12, s10
	s_xor_b64 exec, exec, s[6:7]
	s_cbranch_execz .LBB38_886
.LBB38_2936:
	v_cmp_ne_u16_e32 vcc, 0, v11
	s_andn2_b64 s[4:5], s[4:5], exec
	s_and_b64 s[8:9], vcc, exec
	v_mov_b32_e32 v12, 0
	s_or_b64 s[4:5], s[4:5], s[8:9]
	s_or_b64 exec, exec, s[6:7]
	s_and_saveexec_b64 s[6:7], s[4:5]
	s_cbranch_execnz .LBB38_887
	s_branch .LBB38_888
.LBB38_2937:
	s_movk_i32 s4, 0x80
	v_cmp_eq_u16_sdwa s[12:13], v17, s4 src0_sel:BYTE_3 src1_sel:DWORD
	s_mov_b64 s[4:5], -1
                                        ; implicit-def: $sgpr10
	s_and_saveexec_b64 s[8:9], s[12:13]
; %bb.2938:
	s_mov_b32 s10, 0x7f800001
	s_xor_b64 s[4:5], exec, -1
; %bb.2939:
	s_or_b64 exec, exec, s[8:9]
	s_and_b64 s[4:5], s[4:5], exec
	s_or_saveexec_b64 s[6:7], s[6:7]
	v_mov_b32_e32 v10, s10
	s_xor_b64 exec, exec, s[6:7]
	s_cbranch_execz .LBB38_890
.LBB38_2940:
	v_mov_b32_e32 v10, 0
	v_cmp_ne_u16_sdwa s[8:9], v17, v10 src0_sel:BYTE_3 src1_sel:DWORD
	s_andn2_b64 s[4:5], s[4:5], exec
	s_and_b64 s[8:9], s[8:9], exec
	s_or_b64 s[4:5], s[4:5], s[8:9]
	s_or_b64 exec, exec, s[6:7]
	s_and_saveexec_b64 s[6:7], s[4:5]
	s_cbranch_execnz .LBB38_891
	s_branch .LBB38_892
.LBB38_2941:
	s_movk_i32 s4, 0x80
	v_cmp_eq_u16_sdwa s[12:13], v13, s4 src0_sel:BYTE_3 src1_sel:DWORD
	s_mov_b64 s[4:5], -1
                                        ; implicit-def: $sgpr10
	s_and_saveexec_b64 s[8:9], s[12:13]
; %bb.2942:
	s_mov_b32 s10, 0x7f800001
	s_xor_b64 s[4:5], exec, -1
; %bb.2943:
	s_or_b64 exec, exec, s[8:9]
	s_and_b64 s[4:5], s[4:5], exec
	s_or_saveexec_b64 s[6:7], s[6:7]
	v_mov_b32_e32 v11, s10
	s_xor_b64 exec, exec, s[6:7]
	s_cbranch_execz .LBB38_894
.LBB38_2944:
	v_mov_b32_e32 v11, 0
	v_cmp_ne_u16_sdwa s[8:9], v13, v11 src0_sel:BYTE_3 src1_sel:DWORD
	s_andn2_b64 s[4:5], s[4:5], exec
	s_and_b64 s[8:9], s[8:9], exec
	s_or_b64 s[4:5], s[4:5], s[8:9]
	s_or_b64 exec, exec, s[6:7]
	s_and_saveexec_b64 s[6:7], s[4:5]
	s_cbranch_execnz .LBB38_895
	s_branch .LBB38_896
.LBB38_2945:
	s_movk_i32 s4, 0x80
	v_cmp_eq_u16_sdwa s[12:13], v6, s4 src0_sel:BYTE_0 src1_sel:DWORD
	s_mov_b64 s[4:5], -1
                                        ; implicit-def: $sgpr10
	s_and_saveexec_b64 s[8:9], s[12:13]
; %bb.2946:
	s_mov_b32 s10, 0x7f800001
	s_xor_b64 s[4:5], exec, -1
; %bb.2947:
	s_or_b64 exec, exec, s[8:9]
	s_and_b64 s[4:5], s[4:5], exec
	s_or_saveexec_b64 s[6:7], s[6:7]
	v_mov_b32_e32 v10, s10
	s_xor_b64 exec, exec, s[6:7]
	s_cbranch_execz .LBB38_898
.LBB38_2948:
	v_mov_b32_e32 v10, 0
	v_cmp_ne_u16_sdwa s[8:9], v6, v10 src0_sel:BYTE_0 src1_sel:DWORD
	s_andn2_b64 s[4:5], s[4:5], exec
	s_and_b64 s[8:9], s[8:9], exec
	s_or_b64 s[4:5], s[4:5], s[8:9]
	s_or_b64 exec, exec, s[6:7]
	s_and_saveexec_b64 s[6:7], s[4:5]
	s_cbranch_execnz .LBB38_899
	s_branch .LBB38_900
.LBB38_2949:
	s_movk_i32 s4, 0x80
	v_cmp_eq_u16_sdwa s[12:13], v2, s4 src0_sel:BYTE_0 src1_sel:DWORD
	s_mov_b64 s[4:5], -1
                                        ; implicit-def: $sgpr10
	s_and_saveexec_b64 s[8:9], s[12:13]
; %bb.2950:
	s_mov_b32 s10, 0x7f800001
	s_xor_b64 s[4:5], exec, -1
; %bb.2951:
	s_or_b64 exec, exec, s[8:9]
	s_and_b64 s[4:5], s[4:5], exec
	s_or_saveexec_b64 s[6:7], s[6:7]
	v_mov_b32_e32 v11, s10
	s_xor_b64 exec, exec, s[6:7]
	s_cbranch_execz .LBB38_902
.LBB38_2952:
	v_mov_b32_e32 v11, 0
	v_cmp_ne_u16_sdwa s[8:9], v2, v11 src0_sel:BYTE_0 src1_sel:DWORD
	s_andn2_b64 s[4:5], s[4:5], exec
	s_and_b64 s[8:9], s[8:9], exec
	s_or_b64 s[4:5], s[4:5], s[8:9]
	s_or_b64 exec, exec, s[6:7]
	s_and_saveexec_b64 s[6:7], s[4:5]
	s_cbranch_execnz .LBB38_903
	s_branch .LBB38_904
.LBB38_2953:
	s_movk_i32 s4, 0x80
	v_cmp_eq_u16_sdwa s[12:13], v11, s4 src0_sel:BYTE_0 src1_sel:DWORD
	s_mov_b64 s[4:5], -1
                                        ; implicit-def: $sgpr10
	s_and_saveexec_b64 s[8:9], s[12:13]
; %bb.2954:
	s_mov_b32 s10, 0x7f800001
	s_xor_b64 s[4:5], exec, -1
; %bb.2955:
	s_or_b64 exec, exec, s[8:9]
	s_and_b64 s[4:5], s[4:5], exec
	s_or_saveexec_b64 s[6:7], s[6:7]
	v_mov_b32_e32 v10, s10
	s_xor_b64 exec, exec, s[6:7]
	s_cbranch_execz .LBB38_906
.LBB38_2956:
	v_mov_b32_e32 v10, 0
	v_cmp_ne_u16_sdwa s[8:9], v11, v10 src0_sel:BYTE_0 src1_sel:DWORD
	s_andn2_b64 s[4:5], s[4:5], exec
	s_and_b64 s[8:9], s[8:9], exec
	s_or_b64 s[4:5], s[4:5], s[8:9]
	s_or_b64 exec, exec, s[6:7]
	s_and_saveexec_b64 s[6:7], s[4:5]
	s_cbranch_execnz .LBB38_907
	s_branch .LBB38_908
.LBB38_2957:
	s_movk_i32 s4, 0x80
	v_cmp_eq_u16_sdwa s[12:13], v11, s4 src0_sel:BYTE_0 src1_sel:DWORD
	s_mov_b64 s[4:5], -1
                                        ; implicit-def: $sgpr10
	s_and_saveexec_b64 s[8:9], s[12:13]
; %bb.2958:
	s_mov_b32 s10, 0x7f800001
	s_xor_b64 s[4:5], exec, -1
; %bb.2959:
	s_or_b64 exec, exec, s[8:9]
	s_and_b64 s[4:5], s[4:5], exec
	s_or_saveexec_b64 s[6:7], s[6:7]
	v_mov_b32_e32 v12, s10
	s_xor_b64 exec, exec, s[6:7]
	s_cbranch_execz .LBB38_910
.LBB38_2960:
	v_mov_b32_e32 v12, 0
	v_cmp_ne_u16_sdwa s[8:9], v11, v12 src0_sel:BYTE_0 src1_sel:DWORD
	s_andn2_b64 s[4:5], s[4:5], exec
	s_and_b64 s[8:9], s[8:9], exec
	s_or_b64 s[4:5], s[4:5], s[8:9]
	s_or_b64 exec, exec, s[6:7]
	s_and_saveexec_b64 s[6:7], s[4:5]
	s_cbranch_execnz .LBB38_911
	s_branch .LBB38_912
.LBB38_2961:
	s_movk_i32 s4, 0x80
	v_cmp_eq_u16_e32 vcc, s4, v11
	s_mov_b64 s[4:5], -1
                                        ; implicit-def: $sgpr10
	s_and_saveexec_b64 s[8:9], vcc
; %bb.2962:
	s_mov_b32 s10, 0x7f800001
	s_xor_b64 s[4:5], exec, -1
; %bb.2963:
	s_or_b64 exec, exec, s[8:9]
	s_and_b64 s[4:5], s[4:5], exec
                                        ; implicit-def: $vgpr11
	s_or_saveexec_b64 s[6:7], s[6:7]
	v_mov_b32_e32 v10, s10
	s_xor_b64 exec, exec, s[6:7]
	s_cbranch_execz .LBB38_914
.LBB38_2964:
	v_cmp_ne_u16_e32 vcc, 0, v11
	s_andn2_b64 s[4:5], s[4:5], exec
	s_and_b64 s[8:9], vcc, exec
	v_mov_b32_e32 v10, 0
	s_or_b64 s[4:5], s[4:5], s[8:9]
	s_or_b64 exec, exec, s[6:7]
	s_and_saveexec_b64 s[6:7], s[4:5]
	s_cbranch_execnz .LBB38_915
	s_branch .LBB38_916
.LBB38_2965:
	s_movk_i32 s4, 0x80
	v_cmp_eq_u16_e32 vcc, s4, v11
	s_mov_b64 s[4:5], -1
                                        ; implicit-def: $sgpr10
	s_and_saveexec_b64 s[8:9], vcc
; %bb.2966:
	s_mov_b32 s10, 0x7f800001
	s_xor_b64 s[4:5], exec, -1
; %bb.2967:
	s_or_b64 exec, exec, s[8:9]
	s_and_b64 s[4:5], s[4:5], exec
                                        ; implicit-def: $vgpr11
	s_or_saveexec_b64 s[6:7], s[6:7]
	v_mov_b32_e32 v12, s10
	s_xor_b64 exec, exec, s[6:7]
	s_cbranch_execz .LBB38_918
.LBB38_2968:
	v_cmp_ne_u16_e32 vcc, 0, v11
	s_andn2_b64 s[4:5], s[4:5], exec
	s_and_b64 s[8:9], vcc, exec
	v_mov_b32_e32 v12, 0
	s_or_b64 s[4:5], s[4:5], s[8:9]
	s_or_b64 exec, exec, s[6:7]
	s_and_saveexec_b64 s[6:7], s[4:5]
	s_cbranch_execnz .LBB38_919
	s_branch .LBB38_920
.LBB38_2969:
	s_movk_i32 s4, 0x80
	v_cmp_eq_u16_sdwa s[12:13], v6, s4 src0_sel:BYTE_3 src1_sel:DWORD
	s_mov_b64 s[4:5], -1
                                        ; implicit-def: $sgpr10
	s_and_saveexec_b64 s[8:9], s[12:13]
; %bb.2970:
	s_mov_b32 s10, 0x7f800001
	s_xor_b64 s[4:5], exec, -1
; %bb.2971:
	s_or_b64 exec, exec, s[8:9]
	s_and_b64 s[4:5], s[4:5], exec
	s_or_saveexec_b64 s[6:7], s[6:7]
	v_mov_b32_e32 v10, s10
	s_xor_b64 exec, exec, s[6:7]
	s_cbranch_execz .LBB38_922
.LBB38_2972:
	v_mov_b32_e32 v10, 0
	v_cmp_ne_u16_sdwa s[8:9], v6, v10 src0_sel:BYTE_3 src1_sel:DWORD
	s_andn2_b64 s[4:5], s[4:5], exec
	s_and_b64 s[8:9], s[8:9], exec
	s_or_b64 s[4:5], s[4:5], s[8:9]
	s_or_b64 exec, exec, s[6:7]
	s_and_saveexec_b64 s[6:7], s[4:5]
	s_cbranch_execnz .LBB38_923
	s_branch .LBB38_924
.LBB38_2973:
	s_movk_i32 s4, 0x80
	v_cmp_eq_u16_sdwa s[12:13], v2, s4 src0_sel:BYTE_3 src1_sel:DWORD
	s_mov_b64 s[4:5], -1
                                        ; implicit-def: $sgpr10
	s_and_saveexec_b64 s[8:9], s[12:13]
; %bb.2974:
	s_mov_b32 s10, 0x7f800001
	s_xor_b64 s[4:5], exec, -1
; %bb.2975:
	s_or_b64 exec, exec, s[8:9]
	s_and_b64 s[4:5], s[4:5], exec
	s_or_saveexec_b64 s[6:7], s[6:7]
	v_mov_b32_e32 v6, s10
	s_xor_b64 exec, exec, s[6:7]
	s_cbranch_execz .LBB38_926
.LBB38_2976:
	v_mov_b32_e32 v6, 0
	v_cmp_ne_u16_sdwa s[8:9], v2, v6 src0_sel:BYTE_3 src1_sel:DWORD
	s_andn2_b64 s[4:5], s[4:5], exec
	s_and_b64 s[8:9], s[8:9], exec
	s_or_b64 s[4:5], s[4:5], s[8:9]
	s_or_b64 exec, exec, s[6:7]
	s_and_saveexec_b64 s[6:7], s[4:5]
	s_cbranch_execnz .LBB38_927
	s_branch .LBB38_928
.LBB38_2977:
	s_movk_i32 s4, 0x80
	v_cmp_eq_u16_sdwa s[12:13], v7, s4 src0_sel:BYTE_0 src1_sel:DWORD
	s_mov_b64 s[4:5], -1
                                        ; implicit-def: $sgpr10
	s_and_saveexec_b64 s[8:9], s[12:13]
; %bb.2978:
	s_mov_b32 s10, 0x7f800001
	s_xor_b64 s[4:5], exec, -1
; %bb.2979:
	s_or_b64 exec, exec, s[8:9]
	s_and_b64 s[4:5], s[4:5], exec
	s_or_saveexec_b64 s[6:7], s[6:7]
	v_mov_b32_e32 v2, s10
	s_xor_b64 exec, exec, s[6:7]
	s_cbranch_execz .LBB38_930
.LBB38_2980:
	v_mov_b32_e32 v2, 0
	v_cmp_ne_u16_sdwa s[8:9], v7, v2 src0_sel:BYTE_0 src1_sel:DWORD
	s_andn2_b64 s[4:5], s[4:5], exec
	s_and_b64 s[8:9], s[8:9], exec
	s_or_b64 s[4:5], s[4:5], s[8:9]
	s_or_b64 exec, exec, s[6:7]
	s_and_saveexec_b64 s[6:7], s[4:5]
	s_cbranch_execnz .LBB38_931
	s_branch .LBB38_932
.LBB38_2981:
	s_movk_i32 s4, 0x80
	v_cmp_eq_u16_sdwa s[12:13], v3, s4 src0_sel:BYTE_0 src1_sel:DWORD
	s_mov_b64 s[4:5], -1
                                        ; implicit-def: $sgpr10
	s_and_saveexec_b64 s[8:9], s[12:13]
; %bb.2982:
	s_mov_b32 s10, 0x7f800001
	s_xor_b64 s[4:5], exec, -1
; %bb.2983:
	s_or_b64 exec, exec, s[8:9]
	s_and_b64 s[4:5], s[4:5], exec
	s_or_saveexec_b64 s[6:7], s[6:7]
	v_mov_b32_e32 v6, s10
	s_xor_b64 exec, exec, s[6:7]
	s_cbranch_execz .LBB38_934
.LBB38_2984:
	v_mov_b32_e32 v6, 0
	v_cmp_ne_u16_sdwa s[8:9], v3, v6 src0_sel:BYTE_0 src1_sel:DWORD
	s_andn2_b64 s[4:5], s[4:5], exec
	s_and_b64 s[8:9], s[8:9], exec
	s_or_b64 s[4:5], s[4:5], s[8:9]
	s_or_b64 exec, exec, s[6:7]
	s_and_saveexec_b64 s[6:7], s[4:5]
	s_cbranch_execnz .LBB38_935
	s_branch .LBB38_936
.LBB38_2985:
	s_movk_i32 s4, 0x80
	v_cmp_eq_u16_sdwa s[12:13], v6, s4 src0_sel:BYTE_0 src1_sel:DWORD
	s_mov_b64 s[4:5], -1
                                        ; implicit-def: $sgpr10
	s_and_saveexec_b64 s[8:9], s[12:13]
; %bb.2986:
	s_mov_b32 s10, 0x7f800001
	s_xor_b64 s[4:5], exec, -1
; %bb.2987:
	s_or_b64 exec, exec, s[8:9]
	s_and_b64 s[4:5], s[4:5], exec
	s_or_saveexec_b64 s[6:7], s[6:7]
	v_mov_b32_e32 v2, s10
	s_xor_b64 exec, exec, s[6:7]
	s_cbranch_execz .LBB38_938
.LBB38_2988:
	v_mov_b32_e32 v2, 0
	v_cmp_ne_u16_sdwa s[8:9], v6, v2 src0_sel:BYTE_0 src1_sel:DWORD
	s_andn2_b64 s[4:5], s[4:5], exec
	s_and_b64 s[8:9], s[8:9], exec
	s_or_b64 s[4:5], s[4:5], s[8:9]
	s_or_b64 exec, exec, s[6:7]
	s_and_saveexec_b64 s[6:7], s[4:5]
	s_cbranch_execnz .LBB38_939
	s_branch .LBB38_940
.LBB38_2989:
	s_movk_i32 s4, 0x80
	v_cmp_eq_u16_sdwa s[12:13], v6, s4 src0_sel:BYTE_0 src1_sel:DWORD
	s_mov_b64 s[4:5], -1
                                        ; implicit-def: $sgpr10
	s_and_saveexec_b64 s[8:9], s[12:13]
; %bb.2990:
	s_mov_b32 s10, 0x7f800001
	s_xor_b64 s[4:5], exec, -1
; %bb.2991:
	s_or_b64 exec, exec, s[8:9]
	s_and_b64 s[4:5], s[4:5], exec
	s_or_saveexec_b64 s[6:7], s[6:7]
	v_mov_b32_e32 v10, s10
	s_xor_b64 exec, exec, s[6:7]
	s_cbranch_execz .LBB38_942
.LBB38_2992:
	v_mov_b32_e32 v10, 0
	v_cmp_ne_u16_sdwa s[8:9], v6, v10 src0_sel:BYTE_0 src1_sel:DWORD
	s_andn2_b64 s[4:5], s[4:5], exec
	s_and_b64 s[8:9], s[8:9], exec
	s_or_b64 s[4:5], s[4:5], s[8:9]
	s_or_b64 exec, exec, s[6:7]
	s_and_saveexec_b64 s[6:7], s[4:5]
	s_cbranch_execnz .LBB38_943
	s_branch .LBB38_944
.LBB38_2993:
	s_movk_i32 s4, 0x80
	v_cmp_eq_u16_e32 vcc, s4, v6
	s_mov_b64 s[4:5], -1
                                        ; implicit-def: $sgpr10
	s_and_saveexec_b64 s[8:9], vcc
; %bb.2994:
	s_mov_b32 s10, 0x7f800001
	s_xor_b64 s[4:5], exec, -1
; %bb.2995:
	s_or_b64 exec, exec, s[8:9]
	s_and_b64 s[4:5], s[4:5], exec
                                        ; implicit-def: $vgpr6
	s_or_saveexec_b64 s[6:7], s[6:7]
	v_mov_b32_e32 v2, s10
	s_xor_b64 exec, exec, s[6:7]
	s_cbranch_execz .LBB38_946
.LBB38_2996:
	v_cmp_ne_u16_e32 vcc, 0, v6
	s_andn2_b64 s[4:5], s[4:5], exec
	s_and_b64 s[8:9], vcc, exec
	v_mov_b32_e32 v2, 0
	s_or_b64 s[4:5], s[4:5], s[8:9]
	s_or_b64 exec, exec, s[6:7]
	s_and_saveexec_b64 s[6:7], s[4:5]
	s_cbranch_execnz .LBB38_947
	s_branch .LBB38_948
.LBB38_2997:
	s_movk_i32 s4, 0x80
	v_cmp_eq_u16_e32 vcc, s4, v6
	s_mov_b64 s[4:5], -1
                                        ; implicit-def: $sgpr10
	s_and_saveexec_b64 s[8:9], vcc
; %bb.2998:
	s_mov_b32 s10, 0x7f800001
	s_xor_b64 s[4:5], exec, -1
; %bb.2999:
	s_or_b64 exec, exec, s[8:9]
	s_and_b64 s[4:5], s[4:5], exec
                                        ; implicit-def: $vgpr6
	s_or_saveexec_b64 s[6:7], s[6:7]
	v_mov_b32_e32 v10, s10
	s_xor_b64 exec, exec, s[6:7]
	s_cbranch_execz .LBB38_950
.LBB38_3000:
	v_cmp_ne_u16_e32 vcc, 0, v6
	s_andn2_b64 s[4:5], s[4:5], exec
	s_and_b64 s[8:9], vcc, exec
	v_mov_b32_e32 v10, 0
	s_or_b64 s[4:5], s[4:5], s[8:9]
	s_or_b64 exec, exec, s[6:7]
	s_and_saveexec_b64 s[6:7], s[4:5]
	s_cbranch_execnz .LBB38_951
	s_branch .LBB38_952
.LBB38_3001:
	s_movk_i32 s4, 0x80
	v_cmp_eq_u16_sdwa s[12:13], v7, s4 src0_sel:BYTE_3 src1_sel:DWORD
	s_mov_b64 s[4:5], -1
                                        ; implicit-def: $sgpr10
	s_and_saveexec_b64 s[8:9], s[12:13]
; %bb.3002:
	s_mov_b32 s10, 0x7f800001
	s_xor_b64 s[4:5], exec, -1
; %bb.3003:
	s_or_b64 exec, exec, s[8:9]
	s_and_b64 s[4:5], s[4:5], exec
	s_or_saveexec_b64 s[6:7], s[6:7]
	v_mov_b32_e32 v2, s10
	s_xor_b64 exec, exec, s[6:7]
	s_cbranch_execz .LBB38_954
.LBB38_3004:
	v_mov_b32_e32 v2, 0
	v_cmp_ne_u16_sdwa s[8:9], v7, v2 src0_sel:BYTE_3 src1_sel:DWORD
	s_andn2_b64 s[4:5], s[4:5], exec
	s_and_b64 s[8:9], s[8:9], exec
	s_or_b64 s[4:5], s[4:5], s[8:9]
	s_or_b64 exec, exec, s[6:7]
	s_and_saveexec_b64 s[6:7], s[4:5]
	s_cbranch_execnz .LBB38_955
	s_branch .LBB38_956
.LBB38_3005:
	s_movk_i32 s4, 0x80
	v_cmp_eq_u16_sdwa s[12:13], v3, s4 src0_sel:BYTE_3 src1_sel:DWORD
	s_mov_b64 s[4:5], -1
                                        ; implicit-def: $sgpr10
	s_and_saveexec_b64 s[8:9], s[12:13]
; %bb.3006:
	s_mov_b32 s10, 0x7f800001
	s_xor_b64 s[4:5], exec, -1
; %bb.3007:
	s_or_b64 exec, exec, s[8:9]
	s_and_b64 s[4:5], s[4:5], exec
	s_or_saveexec_b64 s[6:7], s[6:7]
	v_mov_b32_e32 v6, s10
	s_xor_b64 exec, exec, s[6:7]
	s_cbranch_execz .LBB38_958
.LBB38_3008:
	v_mov_b32_e32 v6, 0
	v_cmp_ne_u16_sdwa s[8:9], v3, v6 src0_sel:BYTE_3 src1_sel:DWORD
	s_andn2_b64 s[4:5], s[4:5], exec
	s_and_b64 s[8:9], s[8:9], exec
	s_or_b64 s[4:5], s[4:5], s[8:9]
	s_or_b64 exec, exec, s[6:7]
	s_and_saveexec_b64 s[6:7], s[4:5]
	s_cbranch_execnz .LBB38_959
	s_branch .LBB38_960
.LBB38_3009:
	s_movk_i32 s4, 0x80
	v_cmp_eq_u16_sdwa s[12:13], v8, s4 src0_sel:BYTE_0 src1_sel:DWORD
	s_mov_b64 s[4:5], -1
                                        ; implicit-def: $sgpr10
	s_and_saveexec_b64 s[8:9], s[12:13]
; %bb.3010:
	s_mov_b32 s10, 0x7f800001
	s_xor_b64 s[4:5], exec, -1
; %bb.3011:
	s_or_b64 exec, exec, s[8:9]
	s_and_b64 s[4:5], s[4:5], exec
	s_or_saveexec_b64 s[6:7], s[6:7]
	v_mov_b32_e32 v2, s10
	s_xor_b64 exec, exec, s[6:7]
	s_cbranch_execz .LBB38_962
.LBB38_3012:
	v_mov_b32_e32 v2, 0
	v_cmp_ne_u16_sdwa s[8:9], v8, v2 src0_sel:BYTE_0 src1_sel:DWORD
	s_andn2_b64 s[4:5], s[4:5], exec
	s_and_b64 s[8:9], s[8:9], exec
	s_or_b64 s[4:5], s[4:5], s[8:9]
	s_or_b64 exec, exec, s[6:7]
	s_and_saveexec_b64 s[6:7], s[4:5]
	s_cbranch_execnz .LBB38_963
	s_branch .LBB38_964
.LBB38_3013:
	s_movk_i32 s4, 0x80
	v_cmp_eq_u16_sdwa s[12:13], v4, s4 src0_sel:BYTE_0 src1_sel:DWORD
	s_mov_b64 s[4:5], -1
                                        ; implicit-def: $sgpr10
	s_and_saveexec_b64 s[8:9], s[12:13]
; %bb.3014:
	s_mov_b32 s10, 0x7f800001
	s_xor_b64 s[4:5], exec, -1
; %bb.3015:
	s_or_b64 exec, exec, s[8:9]
	s_and_b64 s[4:5], s[4:5], exec
	s_or_saveexec_b64 s[6:7], s[6:7]
	v_mov_b32_e32 v3, s10
	s_xor_b64 exec, exec, s[6:7]
	s_cbranch_execz .LBB38_966
.LBB38_3016:
	v_mov_b32_e32 v3, 0
	v_cmp_ne_u16_sdwa s[8:9], v4, v3 src0_sel:BYTE_0 src1_sel:DWORD
	s_andn2_b64 s[4:5], s[4:5], exec
	s_and_b64 s[8:9], s[8:9], exec
	s_or_b64 s[4:5], s[4:5], s[8:9]
	s_or_b64 exec, exec, s[6:7]
	s_and_saveexec_b64 s[6:7], s[4:5]
	s_cbranch_execnz .LBB38_967
	s_branch .LBB38_968
.LBB38_3017:
	s_movk_i32 s4, 0x80
	v_cmp_eq_u16_sdwa s[12:13], v3, s4 src0_sel:BYTE_0 src1_sel:DWORD
	s_mov_b64 s[4:5], -1
                                        ; implicit-def: $sgpr10
	s_and_saveexec_b64 s[8:9], s[12:13]
; %bb.3018:
	s_mov_b32 s10, 0x7f800001
	s_xor_b64 s[4:5], exec, -1
; %bb.3019:
	s_or_b64 exec, exec, s[8:9]
	s_and_b64 s[4:5], s[4:5], exec
	s_or_saveexec_b64 s[6:7], s[6:7]
	v_mov_b32_e32 v2, s10
	s_xor_b64 exec, exec, s[6:7]
	s_cbranch_execz .LBB38_970
.LBB38_3020:
	v_mov_b32_e32 v2, 0
	v_cmp_ne_u16_sdwa s[8:9], v3, v2 src0_sel:BYTE_0 src1_sel:DWORD
	s_andn2_b64 s[4:5], s[4:5], exec
	s_and_b64 s[8:9], s[8:9], exec
	s_or_b64 s[4:5], s[4:5], s[8:9]
	s_or_b64 exec, exec, s[6:7]
	s_and_saveexec_b64 s[6:7], s[4:5]
	s_cbranch_execnz .LBB38_971
	s_branch .LBB38_972
.LBB38_3021:
	s_movk_i32 s4, 0x80
	v_cmp_eq_u16_sdwa s[12:13], v3, s4 src0_sel:BYTE_0 src1_sel:DWORD
	s_mov_b64 s[4:5], -1
                                        ; implicit-def: $sgpr10
	s_and_saveexec_b64 s[8:9], s[12:13]
; %bb.3022:
	s_mov_b32 s10, 0x7f800001
	s_xor_b64 s[4:5], exec, -1
; %bb.3023:
	s_or_b64 exec, exec, s[8:9]
	s_and_b64 s[4:5], s[4:5], exec
	s_or_saveexec_b64 s[6:7], s[6:7]
	v_mov_b32_e32 v6, s10
	s_xor_b64 exec, exec, s[6:7]
	s_cbranch_execz .LBB38_974
.LBB38_3024:
	v_mov_b32_e32 v6, 0
	v_cmp_ne_u16_sdwa s[8:9], v3, v6 src0_sel:BYTE_0 src1_sel:DWORD
	s_andn2_b64 s[4:5], s[4:5], exec
	s_and_b64 s[8:9], s[8:9], exec
	s_or_b64 s[4:5], s[4:5], s[8:9]
	s_or_b64 exec, exec, s[6:7]
	s_and_saveexec_b64 s[6:7], s[4:5]
	s_cbranch_execnz .LBB38_975
	s_branch .LBB38_976
.LBB38_3025:
	s_movk_i32 s4, 0x80
	v_cmp_eq_u16_e32 vcc, s4, v3
	s_mov_b64 s[4:5], -1
                                        ; implicit-def: $sgpr10
	s_and_saveexec_b64 s[8:9], vcc
; %bb.3026:
	s_mov_b32 s10, 0x7f800001
	s_xor_b64 s[4:5], exec, -1
; %bb.3027:
	s_or_b64 exec, exec, s[8:9]
	s_and_b64 s[4:5], s[4:5], exec
                                        ; implicit-def: $vgpr3
	s_or_saveexec_b64 s[6:7], s[6:7]
	v_mov_b32_e32 v2, s10
	s_xor_b64 exec, exec, s[6:7]
	s_cbranch_execz .LBB38_978
.LBB38_3028:
	v_cmp_ne_u16_e32 vcc, 0, v3
	s_andn2_b64 s[4:5], s[4:5], exec
	s_and_b64 s[8:9], vcc, exec
	v_mov_b32_e32 v2, 0
	s_or_b64 s[4:5], s[4:5], s[8:9]
	s_or_b64 exec, exec, s[6:7]
	s_and_saveexec_b64 s[6:7], s[4:5]
	s_cbranch_execnz .LBB38_979
	s_branch .LBB38_980
.LBB38_3029:
	s_movk_i32 s4, 0x80
	v_cmp_eq_u16_e32 vcc, s4, v3
	s_mov_b64 s[4:5], -1
                                        ; implicit-def: $sgpr10
	s_and_saveexec_b64 s[8:9], vcc
; %bb.3030:
	s_mov_b32 s10, 0x7f800001
	s_xor_b64 s[4:5], exec, -1
; %bb.3031:
	s_or_b64 exec, exec, s[8:9]
	s_and_b64 s[4:5], s[4:5], exec
                                        ; implicit-def: $vgpr3
	s_or_saveexec_b64 s[6:7], s[6:7]
	v_mov_b32_e32 v6, s10
	s_xor_b64 exec, exec, s[6:7]
	s_cbranch_execz .LBB38_982
.LBB38_3032:
	v_cmp_ne_u16_e32 vcc, 0, v3
	s_andn2_b64 s[4:5], s[4:5], exec
	s_and_b64 s[8:9], vcc, exec
	v_mov_b32_e32 v6, 0
	s_or_b64 s[4:5], s[4:5], s[8:9]
	s_or_b64 exec, exec, s[6:7]
	s_and_saveexec_b64 s[6:7], s[4:5]
	s_cbranch_execnz .LBB38_983
	s_branch .LBB38_984
.LBB38_3033:
	s_movk_i32 s4, 0x80
	v_cmp_eq_u16_sdwa s[12:13], v8, s4 src0_sel:BYTE_3 src1_sel:DWORD
	s_mov_b64 s[4:5], -1
                                        ; implicit-def: $sgpr10
	s_and_saveexec_b64 s[8:9], s[12:13]
; %bb.3034:
	s_mov_b32 s10, 0x7f800001
	s_xor_b64 s[4:5], exec, -1
; %bb.3035:
	s_or_b64 exec, exec, s[8:9]
	s_and_b64 s[4:5], s[4:5], exec
	s_or_saveexec_b64 s[6:7], s[6:7]
	v_mov_b32_e32 v2, s10
	s_xor_b64 exec, exec, s[6:7]
	s_cbranch_execz .LBB38_986
.LBB38_3036:
	v_mov_b32_e32 v2, 0
	v_cmp_ne_u16_sdwa s[8:9], v8, v2 src0_sel:BYTE_3 src1_sel:DWORD
	s_andn2_b64 s[4:5], s[4:5], exec
	s_and_b64 s[8:9], s[8:9], exec
	s_or_b64 s[4:5], s[4:5], s[8:9]
	s_or_b64 exec, exec, s[6:7]
	s_and_saveexec_b64 s[6:7], s[4:5]
	s_cbranch_execnz .LBB38_987
	s_branch .LBB38_988
.LBB38_3037:
	s_movk_i32 s4, 0x80
	v_cmp_eq_u16_sdwa s[12:13], v4, s4 src0_sel:BYTE_3 src1_sel:DWORD
	s_mov_b64 s[4:5], -1
                                        ; implicit-def: $sgpr10
	s_and_saveexec_b64 s[8:9], s[12:13]
; %bb.3038:
	s_mov_b32 s10, 0x7f800001
	s_xor_b64 s[4:5], exec, -1
; %bb.3039:
	s_or_b64 exec, exec, s[8:9]
	s_and_b64 s[4:5], s[4:5], exec
	s_or_saveexec_b64 s[6:7], s[6:7]
	v_mov_b32_e32 v3, s10
	s_xor_b64 exec, exec, s[6:7]
	s_cbranch_execz .LBB38_990
.LBB38_3040:
	v_mov_b32_e32 v3, 0
	v_cmp_ne_u16_sdwa s[8:9], v4, v3 src0_sel:BYTE_3 src1_sel:DWORD
	s_andn2_b64 s[4:5], s[4:5], exec
	s_and_b64 s[8:9], s[8:9], exec
	s_or_b64 s[4:5], s[4:5], s[8:9]
	s_or_b64 exec, exec, s[6:7]
	s_and_saveexec_b64 s[6:7], s[4:5]
	s_cbranch_execnz .LBB38_991
	s_branch .LBB38_992
.LBB38_3041:
	s_movk_i32 s4, 0x80
	v_cmp_eq_u16_sdwa s[12:13], v9, s4 src0_sel:BYTE_0 src1_sel:DWORD
	s_mov_b64 s[4:5], -1
                                        ; implicit-def: $sgpr10
	s_and_saveexec_b64 s[8:9], s[12:13]
; %bb.3042:
	s_mov_b32 s10, 0x7f800001
	s_xor_b64 s[4:5], exec, -1
; %bb.3043:
	s_or_b64 exec, exec, s[8:9]
	s_and_b64 s[4:5], s[4:5], exec
	s_or_saveexec_b64 s[6:7], s[6:7]
	v_mov_b32_e32 v2, s10
	s_xor_b64 exec, exec, s[6:7]
	s_cbranch_execz .LBB38_994
.LBB38_3044:
	v_mov_b32_e32 v2, 0
	v_cmp_ne_u16_sdwa s[8:9], v9, v2 src0_sel:BYTE_0 src1_sel:DWORD
	s_andn2_b64 s[4:5], s[4:5], exec
	s_and_b64 s[8:9], s[8:9], exec
	s_or_b64 s[4:5], s[4:5], s[8:9]
	s_or_b64 exec, exec, s[6:7]
	s_and_saveexec_b64 s[6:7], s[4:5]
	s_cbranch_execnz .LBB38_995
	s_branch .LBB38_996
.LBB38_3045:
	s_movk_i32 s4, 0x80
	v_cmp_eq_u16_sdwa s[12:13], v5, s4 src0_sel:BYTE_0 src1_sel:DWORD
	s_mov_b64 s[4:5], -1
                                        ; implicit-def: $sgpr10
	s_and_saveexec_b64 s[8:9], s[12:13]
; %bb.3046:
	s_mov_b32 s10, 0x7f800001
	s_xor_b64 s[4:5], exec, -1
; %bb.3047:
	s_or_b64 exec, exec, s[8:9]
	s_and_b64 s[4:5], s[4:5], exec
	s_or_saveexec_b64 s[6:7], s[6:7]
	v_mov_b32_e32 v3, s10
	s_xor_b64 exec, exec, s[6:7]
	s_cbranch_execz .LBB38_998
.LBB38_3048:
	v_mov_b32_e32 v3, 0
	v_cmp_ne_u16_sdwa s[8:9], v5, v3 src0_sel:BYTE_0 src1_sel:DWORD
	s_andn2_b64 s[4:5], s[4:5], exec
	s_and_b64 s[8:9], s[8:9], exec
	s_or_b64 s[4:5], s[4:5], s[8:9]
	s_or_b64 exec, exec, s[6:7]
	s_and_saveexec_b64 s[6:7], s[4:5]
	s_cbranch_execnz .LBB38_999
	s_branch .LBB38_1000
.LBB38_3049:
	s_movk_i32 s4, 0x80
	v_cmp_eq_u16_sdwa s[12:13], v3, s4 src0_sel:BYTE_0 src1_sel:DWORD
	s_mov_b64 s[4:5], -1
                                        ; implicit-def: $sgpr10
	s_and_saveexec_b64 s[8:9], s[12:13]
; %bb.3050:
	s_mov_b32 s10, 0x7f800001
	s_xor_b64 s[4:5], exec, -1
; %bb.3051:
	s_or_b64 exec, exec, s[8:9]
	s_and_b64 s[4:5], s[4:5], exec
	s_or_saveexec_b64 s[6:7], s[6:7]
	v_mov_b32_e32 v2, s10
	s_xor_b64 exec, exec, s[6:7]
	s_cbranch_execz .LBB38_1002
.LBB38_3052:
	v_mov_b32_e32 v2, 0
	v_cmp_ne_u16_sdwa s[8:9], v3, v2 src0_sel:BYTE_0 src1_sel:DWORD
	s_andn2_b64 s[4:5], s[4:5], exec
	s_and_b64 s[8:9], s[8:9], exec
	s_or_b64 s[4:5], s[4:5], s[8:9]
	s_or_b64 exec, exec, s[6:7]
	s_and_saveexec_b64 s[6:7], s[4:5]
	s_cbranch_execnz .LBB38_1003
	s_branch .LBB38_1004
.LBB38_3053:
	s_movk_i32 s4, 0x80
	v_cmp_eq_u16_sdwa s[12:13], v3, s4 src0_sel:BYTE_0 src1_sel:DWORD
	s_mov_b64 s[4:5], -1
                                        ; implicit-def: $sgpr10
	s_and_saveexec_b64 s[8:9], s[12:13]
; %bb.3054:
	s_mov_b32 s10, 0x7f800001
	s_xor_b64 s[4:5], exec, -1
; %bb.3055:
	s_or_b64 exec, exec, s[8:9]
	s_and_b64 s[4:5], s[4:5], exec
	s_or_saveexec_b64 s[6:7], s[6:7]
	v_mov_b32_e32 v4, s10
	s_xor_b64 exec, exec, s[6:7]
	s_cbranch_execz .LBB38_1006
.LBB38_3056:
	v_mov_b32_e32 v4, 0
	v_cmp_ne_u16_sdwa s[8:9], v3, v4 src0_sel:BYTE_0 src1_sel:DWORD
	s_andn2_b64 s[4:5], s[4:5], exec
	s_and_b64 s[8:9], s[8:9], exec
	s_or_b64 s[4:5], s[4:5], s[8:9]
	s_or_b64 exec, exec, s[6:7]
	s_and_saveexec_b64 s[6:7], s[4:5]
	s_cbranch_execnz .LBB38_1007
	s_branch .LBB38_1008
.LBB38_3057:
	s_movk_i32 s4, 0x80
	v_cmp_eq_u16_e32 vcc, s4, v3
	s_mov_b64 s[4:5], -1
                                        ; implicit-def: $sgpr10
	s_and_saveexec_b64 s[8:9], vcc
; %bb.3058:
	s_mov_b32 s10, 0x7f800001
	s_xor_b64 s[4:5], exec, -1
; %bb.3059:
	s_or_b64 exec, exec, s[8:9]
	s_and_b64 s[4:5], s[4:5], exec
                                        ; implicit-def: $vgpr3
	s_or_saveexec_b64 s[6:7], s[6:7]
	v_mov_b32_e32 v2, s10
	s_xor_b64 exec, exec, s[6:7]
	s_cbranch_execz .LBB38_1010
.LBB38_3060:
	v_cmp_ne_u16_e32 vcc, 0, v3
	s_andn2_b64 s[4:5], s[4:5], exec
	s_and_b64 s[8:9], vcc, exec
	v_mov_b32_e32 v2, 0
	s_or_b64 s[4:5], s[4:5], s[8:9]
	s_or_b64 exec, exec, s[6:7]
	s_and_saveexec_b64 s[6:7], s[4:5]
	s_cbranch_execnz .LBB38_1011
	s_branch .LBB38_1012
.LBB38_3061:
	s_movk_i32 s4, 0x80
	v_cmp_eq_u16_e32 vcc, s4, v3
	s_mov_b64 s[4:5], -1
                                        ; implicit-def: $sgpr10
	s_and_saveexec_b64 s[8:9], vcc
; %bb.3062:
	s_mov_b32 s10, 0x7f800001
	s_xor_b64 s[4:5], exec, -1
; %bb.3063:
	s_or_b64 exec, exec, s[8:9]
	s_and_b64 s[4:5], s[4:5], exec
                                        ; implicit-def: $vgpr3
	s_or_saveexec_b64 s[6:7], s[6:7]
	v_mov_b32_e32 v4, s10
	s_xor_b64 exec, exec, s[6:7]
	s_cbranch_execz .LBB38_1014
.LBB38_3064:
	v_cmp_ne_u16_e32 vcc, 0, v3
	s_andn2_b64 s[4:5], s[4:5], exec
	s_and_b64 s[8:9], vcc, exec
	v_mov_b32_e32 v4, 0
	s_or_b64 s[4:5], s[4:5], s[8:9]
	s_or_b64 exec, exec, s[6:7]
	s_and_saveexec_b64 s[6:7], s[4:5]
	s_cbranch_execnz .LBB38_1015
	s_branch .LBB38_1016
.LBB38_3065:
	s_movk_i32 s4, 0x80
	v_cmp_eq_u16_sdwa s[12:13], v9, s4 src0_sel:BYTE_3 src1_sel:DWORD
	s_mov_b64 s[4:5], -1
                                        ; implicit-def: $sgpr10
	s_and_saveexec_b64 s[8:9], s[12:13]
; %bb.3066:
	s_mov_b32 s10, 0x7f800001
	s_xor_b64 s[4:5], exec, -1
; %bb.3067:
	s_or_b64 exec, exec, s[8:9]
	s_and_b64 s[4:5], s[4:5], exec
	s_or_saveexec_b64 s[6:7], s[6:7]
	v_mov_b32_e32 v2, s10
	s_xor_b64 exec, exec, s[6:7]
	s_cbranch_execz .LBB38_1018
.LBB38_3068:
	v_mov_b32_e32 v2, 0
	v_cmp_ne_u16_sdwa s[8:9], v9, v2 src0_sel:BYTE_3 src1_sel:DWORD
	s_andn2_b64 s[4:5], s[4:5], exec
	s_and_b64 s[8:9], s[8:9], exec
	s_or_b64 s[4:5], s[4:5], s[8:9]
	s_or_b64 exec, exec, s[6:7]
	s_and_saveexec_b64 s[6:7], s[4:5]
	s_cbranch_execnz .LBB38_1019
	s_branch .LBB38_1020
.LBB38_3069:
	s_movk_i32 s4, 0x80
	v_cmp_eq_u16_sdwa s[12:13], v5, s4 src0_sel:BYTE_3 src1_sel:DWORD
	s_mov_b64 s[4:5], -1
                                        ; implicit-def: $sgpr10
	s_and_saveexec_b64 s[8:9], s[12:13]
; %bb.3070:
	s_mov_b32 s10, 0x7f800001
	s_xor_b64 s[4:5], exec, -1
; %bb.3071:
	s_or_b64 exec, exec, s[8:9]
	s_and_b64 s[4:5], s[4:5], exec
	s_or_saveexec_b64 s[6:7], s[6:7]
	v_mov_b32_e32 v3, s10
	s_xor_b64 exec, exec, s[6:7]
	s_cbranch_execz .LBB38_1022
.LBB38_3072:
	v_mov_b32_e32 v3, 0
	v_cmp_ne_u16_sdwa s[8:9], v5, v3 src0_sel:BYTE_3 src1_sel:DWORD
	s_andn2_b64 s[4:5], s[4:5], exec
	s_and_b64 s[8:9], s[8:9], exec
	s_or_b64 s[4:5], s[4:5], s[8:9]
	s_or_b64 exec, exec, s[6:7]
	s_and_saveexec_b64 s[6:7], s[4:5]
	s_cbranch_execnz .LBB38_1023
	s_branch .LBB38_1024
.LBB38_3073:
	s_movk_i32 s4, 0x80
	v_cmp_eq_u16_sdwa s[12:13], v14, s4 src0_sel:BYTE_0 src1_sel:DWORD
	s_mov_b64 s[4:5], -1
                                        ; implicit-def: $sgpr10
	s_and_saveexec_b64 s[8:9], s[12:13]
; %bb.3074:
	s_mov_b32 s10, 0x7f800001
	s_xor_b64 s[4:5], exec, -1
; %bb.3075:
	s_or_b64 exec, exec, s[8:9]
	s_and_b64 s[4:5], s[4:5], exec
	s_or_saveexec_b64 s[6:7], s[6:7]
	v_mov_b32_e32 v20, s10
	s_xor_b64 exec, exec, s[6:7]
	s_cbranch_execz .LBB38_1026
.LBB38_3076:
	v_mov_b32_e32 v20, 0
	v_cmp_ne_u16_sdwa s[8:9], v14, v20 src0_sel:BYTE_0 src1_sel:DWORD
	s_andn2_b64 s[4:5], s[4:5], exec
	s_and_b64 s[8:9], s[8:9], exec
	s_or_b64 s[4:5], s[4:5], s[8:9]
	s_or_b64 exec, exec, s[6:7]
	s_and_saveexec_b64 s[6:7], s[4:5]
	s_cbranch_execnz .LBB38_1027
	s_branch .LBB38_1028
.LBB38_3077:
	s_movk_i32 s4, 0x80
	v_cmp_eq_u16_sdwa s[12:13], v10, s4 src0_sel:BYTE_0 src1_sel:DWORD
	s_mov_b64 s[4:5], -1
                                        ; implicit-def: $sgpr10
	s_and_saveexec_b64 s[8:9], s[12:13]
; %bb.3078:
	s_mov_b32 s10, 0x7f800001
	s_xor_b64 s[4:5], exec, -1
; %bb.3079:
	s_or_b64 exec, exec, s[8:9]
	s_and_b64 s[4:5], s[4:5], exec
	s_or_saveexec_b64 s[6:7], s[6:7]
	v_mov_b32_e32 v21, s10
	s_xor_b64 exec, exec, s[6:7]
	s_cbranch_execz .LBB38_1030
.LBB38_3080:
	v_mov_b32_e32 v21, 0
	v_cmp_ne_u16_sdwa s[8:9], v10, v21 src0_sel:BYTE_0 src1_sel:DWORD
	s_andn2_b64 s[4:5], s[4:5], exec
	s_and_b64 s[8:9], s[8:9], exec
	s_or_b64 s[4:5], s[4:5], s[8:9]
	s_or_b64 exec, exec, s[6:7]
	s_and_saveexec_b64 s[6:7], s[4:5]
	s_cbranch_execnz .LBB38_1031
	s_branch .LBB38_1032
.LBB38_3081:
	s_movk_i32 s4, 0x80
	v_cmp_eq_u16_sdwa s[12:13], v21, s4 src0_sel:BYTE_0 src1_sel:DWORD
	s_mov_b64 s[4:5], -1
                                        ; implicit-def: $sgpr10
	s_and_saveexec_b64 s[8:9], s[12:13]
; %bb.3082:
	s_mov_b32 s10, 0x7f800001
	s_xor_b64 s[4:5], exec, -1
; %bb.3083:
	s_or_b64 exec, exec, s[8:9]
	s_and_b64 s[4:5], s[4:5], exec
	s_or_saveexec_b64 s[6:7], s[6:7]
	v_mov_b32_e32 v20, s10
	s_xor_b64 exec, exec, s[6:7]
	s_cbranch_execz .LBB38_1034
.LBB38_3084:
	v_mov_b32_e32 v20, 0
	v_cmp_ne_u16_sdwa s[8:9], v21, v20 src0_sel:BYTE_0 src1_sel:DWORD
	s_andn2_b64 s[4:5], s[4:5], exec
	s_and_b64 s[8:9], s[8:9], exec
	s_or_b64 s[4:5], s[4:5], s[8:9]
	s_or_b64 exec, exec, s[6:7]
	s_and_saveexec_b64 s[6:7], s[4:5]
	s_cbranch_execnz .LBB38_1035
	s_branch .LBB38_1036
.LBB38_3085:
	s_movk_i32 s4, 0x80
	v_cmp_eq_u16_sdwa s[12:13], v21, s4 src0_sel:BYTE_0 src1_sel:DWORD
	s_mov_b64 s[4:5], -1
                                        ; implicit-def: $sgpr10
	s_and_saveexec_b64 s[8:9], s[12:13]
; %bb.3086:
	s_mov_b32 s10, 0x7f800001
	s_xor_b64 s[4:5], exec, -1
; %bb.3087:
	s_or_b64 exec, exec, s[8:9]
	s_and_b64 s[4:5], s[4:5], exec
	s_or_saveexec_b64 s[6:7], s[6:7]
	v_mov_b32_e32 v22, s10
	s_xor_b64 exec, exec, s[6:7]
	s_cbranch_execz .LBB38_1038
.LBB38_3088:
	v_mov_b32_e32 v22, 0
	v_cmp_ne_u16_sdwa s[8:9], v21, v22 src0_sel:BYTE_0 src1_sel:DWORD
	s_andn2_b64 s[4:5], s[4:5], exec
	s_and_b64 s[8:9], s[8:9], exec
	s_or_b64 s[4:5], s[4:5], s[8:9]
	s_or_b64 exec, exec, s[6:7]
	s_and_saveexec_b64 s[6:7], s[4:5]
	s_cbranch_execnz .LBB38_1039
	s_branch .LBB38_1040
.LBB38_3089:
	s_movk_i32 s4, 0x80
	v_cmp_eq_u16_e32 vcc, s4, v21
	s_mov_b64 s[4:5], -1
                                        ; implicit-def: $sgpr10
	s_and_saveexec_b64 s[8:9], vcc
; %bb.3090:
	s_mov_b32 s10, 0x7f800001
	s_xor_b64 s[4:5], exec, -1
; %bb.3091:
	s_or_b64 exec, exec, s[8:9]
	s_and_b64 s[4:5], s[4:5], exec
                                        ; implicit-def: $vgpr21
	s_or_saveexec_b64 s[6:7], s[6:7]
	v_mov_b32_e32 v20, s10
	s_xor_b64 exec, exec, s[6:7]
	s_cbranch_execz .LBB38_1042
.LBB38_3092:
	v_cmp_ne_u16_e32 vcc, 0, v21
	s_andn2_b64 s[4:5], s[4:5], exec
	s_and_b64 s[8:9], vcc, exec
	v_mov_b32_e32 v20, 0
	s_or_b64 s[4:5], s[4:5], s[8:9]
	s_or_b64 exec, exec, s[6:7]
	s_and_saveexec_b64 s[6:7], s[4:5]
	s_cbranch_execnz .LBB38_1043
	s_branch .LBB38_1044
.LBB38_3093:
	s_movk_i32 s4, 0x80
	v_cmp_eq_u16_e32 vcc, s4, v21
	s_mov_b64 s[4:5], -1
                                        ; implicit-def: $sgpr10
	s_and_saveexec_b64 s[8:9], vcc
; %bb.3094:
	s_mov_b32 s10, 0x7f800001
	s_xor_b64 s[4:5], exec, -1
; %bb.3095:
	s_or_b64 exec, exec, s[8:9]
	s_and_b64 s[4:5], s[4:5], exec
                                        ; implicit-def: $vgpr21
	s_or_saveexec_b64 s[6:7], s[6:7]
	v_mov_b32_e32 v22, s10
	s_xor_b64 exec, exec, s[6:7]
	s_cbranch_execz .LBB38_1046
.LBB38_3096:
	v_cmp_ne_u16_e32 vcc, 0, v21
	s_andn2_b64 s[4:5], s[4:5], exec
	s_and_b64 s[8:9], vcc, exec
	v_mov_b32_e32 v22, 0
	s_or_b64 s[4:5], s[4:5], s[8:9]
	s_or_b64 exec, exec, s[6:7]
	s_and_saveexec_b64 s[6:7], s[4:5]
	s_cbranch_execnz .LBB38_1047
	s_branch .LBB38_1048
.LBB38_3097:
	s_movk_i32 s4, 0x80
	v_cmp_eq_u16_sdwa s[12:13], v14, s4 src0_sel:BYTE_3 src1_sel:DWORD
	s_mov_b64 s[4:5], -1
                                        ; implicit-def: $sgpr10
	s_and_saveexec_b64 s[8:9], s[12:13]
; %bb.3098:
	s_mov_b32 s10, 0x7f800001
	s_xor_b64 s[4:5], exec, -1
; %bb.3099:
	s_or_b64 exec, exec, s[8:9]
	s_and_b64 s[4:5], s[4:5], exec
	s_or_saveexec_b64 s[6:7], s[6:7]
	v_mov_b32_e32 v20, s10
	s_xor_b64 exec, exec, s[6:7]
	s_cbranch_execz .LBB38_1050
.LBB38_3100:
	v_mov_b32_e32 v20, 0
	v_cmp_ne_u16_sdwa s[8:9], v14, v20 src0_sel:BYTE_3 src1_sel:DWORD
	s_andn2_b64 s[4:5], s[4:5], exec
	s_and_b64 s[8:9], s[8:9], exec
	s_or_b64 s[4:5], s[4:5], s[8:9]
	s_or_b64 exec, exec, s[6:7]
	s_and_saveexec_b64 s[6:7], s[4:5]
	s_cbranch_execnz .LBB38_1051
	s_branch .LBB38_1052
.LBB38_3101:
	s_movk_i32 s4, 0x80
	v_cmp_eq_u16_sdwa s[12:13], v10, s4 src0_sel:BYTE_3 src1_sel:DWORD
	s_mov_b64 s[4:5], -1
                                        ; implicit-def: $sgpr10
	s_and_saveexec_b64 s[8:9], s[12:13]
; %bb.3102:
	s_mov_b32 s10, 0x7f800001
	s_xor_b64 s[4:5], exec, -1
; %bb.3103:
	s_or_b64 exec, exec, s[8:9]
	s_and_b64 s[4:5], s[4:5], exec
	s_or_saveexec_b64 s[6:7], s[6:7]
	v_mov_b32_e32 v14, s10
	s_xor_b64 exec, exec, s[6:7]
	s_cbranch_execz .LBB38_1054
.LBB38_3104:
	v_mov_b32_e32 v14, 0
	v_cmp_ne_u16_sdwa s[8:9], v10, v14 src0_sel:BYTE_3 src1_sel:DWORD
	s_andn2_b64 s[4:5], s[4:5], exec
	s_and_b64 s[8:9], s[8:9], exec
	s_or_b64 s[4:5], s[4:5], s[8:9]
	s_or_b64 exec, exec, s[6:7]
	s_and_saveexec_b64 s[6:7], s[4:5]
	s_cbranch_execnz .LBB38_1055
	s_branch .LBB38_1056
.LBB38_3105:
	s_movk_i32 s4, 0x80
	v_cmp_eq_u16_sdwa s[12:13], v15, s4 src0_sel:BYTE_0 src1_sel:DWORD
	s_mov_b64 s[4:5], -1
                                        ; implicit-def: $sgpr10
	s_and_saveexec_b64 s[8:9], s[12:13]
; %bb.3106:
	s_mov_b32 s10, 0x7f800001
	s_xor_b64 s[4:5], exec, -1
; %bb.3107:
	s_or_b64 exec, exec, s[8:9]
	s_and_b64 s[4:5], s[4:5], exec
	s_or_saveexec_b64 s[6:7], s[6:7]
	v_mov_b32_e32 v10, s10
	s_xor_b64 exec, exec, s[6:7]
	s_cbranch_execz .LBB38_1058
.LBB38_3108:
	v_mov_b32_e32 v10, 0
	v_cmp_ne_u16_sdwa s[8:9], v15, v10 src0_sel:BYTE_0 src1_sel:DWORD
	s_andn2_b64 s[4:5], s[4:5], exec
	s_and_b64 s[8:9], s[8:9], exec
	s_or_b64 s[4:5], s[4:5], s[8:9]
	s_or_b64 exec, exec, s[6:7]
	s_and_saveexec_b64 s[6:7], s[4:5]
	s_cbranch_execnz .LBB38_1059
	s_branch .LBB38_1060
.LBB38_3109:
	s_movk_i32 s4, 0x80
	v_cmp_eq_u16_sdwa s[12:13], v11, s4 src0_sel:BYTE_0 src1_sel:DWORD
	s_mov_b64 s[4:5], -1
                                        ; implicit-def: $sgpr10
	s_and_saveexec_b64 s[8:9], s[12:13]
; %bb.3110:
	s_mov_b32 s10, 0x7f800001
	s_xor_b64 s[4:5], exec, -1
; %bb.3111:
	s_or_b64 exec, exec, s[8:9]
	s_and_b64 s[4:5], s[4:5], exec
	s_or_saveexec_b64 s[6:7], s[6:7]
	v_mov_b32_e32 v14, s10
	s_xor_b64 exec, exec, s[6:7]
	s_cbranch_execz .LBB38_1062
.LBB38_3112:
	v_mov_b32_e32 v14, 0
	v_cmp_ne_u16_sdwa s[8:9], v11, v14 src0_sel:BYTE_0 src1_sel:DWORD
	s_andn2_b64 s[4:5], s[4:5], exec
	s_and_b64 s[8:9], s[8:9], exec
	s_or_b64 s[4:5], s[4:5], s[8:9]
	s_or_b64 exec, exec, s[6:7]
	s_and_saveexec_b64 s[6:7], s[4:5]
	s_cbranch_execnz .LBB38_1063
	s_branch .LBB38_1064
.LBB38_3113:
	s_movk_i32 s4, 0x80
	v_cmp_eq_u16_sdwa s[12:13], v14, s4 src0_sel:BYTE_0 src1_sel:DWORD
	s_mov_b64 s[4:5], -1
                                        ; implicit-def: $sgpr10
	s_and_saveexec_b64 s[8:9], s[12:13]
; %bb.3114:
	s_mov_b32 s10, 0x7f800001
	s_xor_b64 s[4:5], exec, -1
; %bb.3115:
	s_or_b64 exec, exec, s[8:9]
	s_and_b64 s[4:5], s[4:5], exec
	s_or_saveexec_b64 s[6:7], s[6:7]
	v_mov_b32_e32 v10, s10
	s_xor_b64 exec, exec, s[6:7]
	s_cbranch_execz .LBB38_1066
.LBB38_3116:
	v_mov_b32_e32 v10, 0
	v_cmp_ne_u16_sdwa s[8:9], v14, v10 src0_sel:BYTE_0 src1_sel:DWORD
	s_andn2_b64 s[4:5], s[4:5], exec
	s_and_b64 s[8:9], s[8:9], exec
	s_or_b64 s[4:5], s[4:5], s[8:9]
	s_or_b64 exec, exec, s[6:7]
	s_and_saveexec_b64 s[6:7], s[4:5]
	s_cbranch_execnz .LBB38_1067
	s_branch .LBB38_1068
.LBB38_3117:
	s_movk_i32 s4, 0x80
	v_cmp_eq_u16_sdwa s[12:13], v14, s4 src0_sel:BYTE_0 src1_sel:DWORD
	s_mov_b64 s[4:5], -1
                                        ; implicit-def: $sgpr10
	s_and_saveexec_b64 s[8:9], s[12:13]
; %bb.3118:
	s_mov_b32 s10, 0x7f800001
	s_xor_b64 s[4:5], exec, -1
; %bb.3119:
	s_or_b64 exec, exec, s[8:9]
	s_and_b64 s[4:5], s[4:5], exec
	s_or_saveexec_b64 s[6:7], s[6:7]
	v_mov_b32_e32 v20, s10
	s_xor_b64 exec, exec, s[6:7]
	s_cbranch_execz .LBB38_1070
.LBB38_3120:
	v_mov_b32_e32 v20, 0
	v_cmp_ne_u16_sdwa s[8:9], v14, v20 src0_sel:BYTE_0 src1_sel:DWORD
	s_andn2_b64 s[4:5], s[4:5], exec
	s_and_b64 s[8:9], s[8:9], exec
	s_or_b64 s[4:5], s[4:5], s[8:9]
	s_or_b64 exec, exec, s[6:7]
	s_and_saveexec_b64 s[6:7], s[4:5]
	s_cbranch_execnz .LBB38_1071
	s_branch .LBB38_1072
.LBB38_3121:
	s_movk_i32 s4, 0x80
	v_cmp_eq_u16_e32 vcc, s4, v14
	s_mov_b64 s[4:5], -1
                                        ; implicit-def: $sgpr10
	s_and_saveexec_b64 s[8:9], vcc
; %bb.3122:
	s_mov_b32 s10, 0x7f800001
	s_xor_b64 s[4:5], exec, -1
; %bb.3123:
	s_or_b64 exec, exec, s[8:9]
	s_and_b64 s[4:5], s[4:5], exec
                                        ; implicit-def: $vgpr14
	s_or_saveexec_b64 s[6:7], s[6:7]
	v_mov_b32_e32 v10, s10
	s_xor_b64 exec, exec, s[6:7]
	s_cbranch_execz .LBB38_1074
.LBB38_3124:
	v_cmp_ne_u16_e32 vcc, 0, v14
	s_andn2_b64 s[4:5], s[4:5], exec
	s_and_b64 s[8:9], vcc, exec
	v_mov_b32_e32 v10, 0
	s_or_b64 s[4:5], s[4:5], s[8:9]
	s_or_b64 exec, exec, s[6:7]
	s_and_saveexec_b64 s[6:7], s[4:5]
	s_cbranch_execnz .LBB38_1075
	s_branch .LBB38_1076
.LBB38_3125:
	s_movk_i32 s4, 0x80
	v_cmp_eq_u16_e32 vcc, s4, v14
	s_mov_b64 s[4:5], -1
                                        ; implicit-def: $sgpr10
	s_and_saveexec_b64 s[8:9], vcc
; %bb.3126:
	s_mov_b32 s10, 0x7f800001
	s_xor_b64 s[4:5], exec, -1
; %bb.3127:
	s_or_b64 exec, exec, s[8:9]
	s_and_b64 s[4:5], s[4:5], exec
                                        ; implicit-def: $vgpr14
	s_or_saveexec_b64 s[6:7], s[6:7]
	v_mov_b32_e32 v20, s10
	s_xor_b64 exec, exec, s[6:7]
	s_cbranch_execz .LBB38_1078
.LBB38_3128:
	v_cmp_ne_u16_e32 vcc, 0, v14
	s_andn2_b64 s[4:5], s[4:5], exec
	s_and_b64 s[8:9], vcc, exec
	v_mov_b32_e32 v20, 0
	s_or_b64 s[4:5], s[4:5], s[8:9]
	s_or_b64 exec, exec, s[6:7]
	s_and_saveexec_b64 s[6:7], s[4:5]
	s_cbranch_execnz .LBB38_1079
	s_branch .LBB38_1080
.LBB38_3129:
	s_movk_i32 s4, 0x80
	v_cmp_eq_u16_sdwa s[12:13], v15, s4 src0_sel:BYTE_3 src1_sel:DWORD
	s_mov_b64 s[4:5], -1
                                        ; implicit-def: $sgpr10
	s_and_saveexec_b64 s[8:9], s[12:13]
; %bb.3130:
	s_mov_b32 s10, 0x7f800001
	s_xor_b64 s[4:5], exec, -1
; %bb.3131:
	s_or_b64 exec, exec, s[8:9]
	s_and_b64 s[4:5], s[4:5], exec
	s_or_saveexec_b64 s[6:7], s[6:7]
	v_mov_b32_e32 v10, s10
	s_xor_b64 exec, exec, s[6:7]
	s_cbranch_execz .LBB38_1082
.LBB38_3132:
	v_mov_b32_e32 v10, 0
	v_cmp_ne_u16_sdwa s[8:9], v15, v10 src0_sel:BYTE_3 src1_sel:DWORD
	s_andn2_b64 s[4:5], s[4:5], exec
	s_and_b64 s[8:9], s[8:9], exec
	s_or_b64 s[4:5], s[4:5], s[8:9]
	s_or_b64 exec, exec, s[6:7]
	s_and_saveexec_b64 s[6:7], s[4:5]
	s_cbranch_execnz .LBB38_1083
	s_branch .LBB38_1084
.LBB38_3133:
	s_movk_i32 s4, 0x80
	v_cmp_eq_u16_sdwa s[12:13], v11, s4 src0_sel:BYTE_3 src1_sel:DWORD
	s_mov_b64 s[4:5], -1
                                        ; implicit-def: $sgpr10
	s_and_saveexec_b64 s[8:9], s[12:13]
; %bb.3134:
	s_mov_b32 s10, 0x7f800001
	s_xor_b64 s[4:5], exec, -1
; %bb.3135:
	s_or_b64 exec, exec, s[8:9]
	s_and_b64 s[4:5], s[4:5], exec
	s_or_saveexec_b64 s[6:7], s[6:7]
	v_mov_b32_e32 v14, s10
	s_xor_b64 exec, exec, s[6:7]
	s_cbranch_execz .LBB38_1086
.LBB38_3136:
	v_mov_b32_e32 v14, 0
	v_cmp_ne_u16_sdwa s[8:9], v11, v14 src0_sel:BYTE_3 src1_sel:DWORD
	s_andn2_b64 s[4:5], s[4:5], exec
	s_and_b64 s[8:9], s[8:9], exec
	s_or_b64 s[4:5], s[4:5], s[8:9]
	s_or_b64 exec, exec, s[6:7]
	s_and_saveexec_b64 s[6:7], s[4:5]
	s_cbranch_execnz .LBB38_1087
	s_branch .LBB38_1088
.LBB38_3137:
	s_movk_i32 s4, 0x80
	v_cmp_eq_u16_sdwa s[12:13], v16, s4 src0_sel:BYTE_0 src1_sel:DWORD
	s_mov_b64 s[4:5], -1
                                        ; implicit-def: $sgpr10
	s_and_saveexec_b64 s[8:9], s[12:13]
; %bb.3138:
	s_mov_b32 s10, 0x7f800001
	s_xor_b64 s[4:5], exec, -1
; %bb.3139:
	s_or_b64 exec, exec, s[8:9]
	s_and_b64 s[4:5], s[4:5], exec
	s_or_saveexec_b64 s[6:7], s[6:7]
	v_mov_b32_e32 v10, s10
	s_xor_b64 exec, exec, s[6:7]
	s_cbranch_execz .LBB38_1090
.LBB38_3140:
	v_mov_b32_e32 v10, 0
	v_cmp_ne_u16_sdwa s[8:9], v16, v10 src0_sel:BYTE_0 src1_sel:DWORD
	s_andn2_b64 s[4:5], s[4:5], exec
	s_and_b64 s[8:9], s[8:9], exec
	s_or_b64 s[4:5], s[4:5], s[8:9]
	s_or_b64 exec, exec, s[6:7]
	s_and_saveexec_b64 s[6:7], s[4:5]
	s_cbranch_execnz .LBB38_1091
	s_branch .LBB38_1092
.LBB38_3141:
	s_movk_i32 s4, 0x80
	v_cmp_eq_u16_sdwa s[12:13], v12, s4 src0_sel:BYTE_0 src1_sel:DWORD
	s_mov_b64 s[4:5], -1
                                        ; implicit-def: $sgpr10
	s_and_saveexec_b64 s[8:9], s[12:13]
; %bb.3142:
	s_mov_b32 s10, 0x7f800001
	s_xor_b64 s[4:5], exec, -1
; %bb.3143:
	s_or_b64 exec, exec, s[8:9]
	s_and_b64 s[4:5], s[4:5], exec
	s_or_saveexec_b64 s[6:7], s[6:7]
	v_mov_b32_e32 v11, s10
	s_xor_b64 exec, exec, s[6:7]
	s_cbranch_execz .LBB38_1094
.LBB38_3144:
	v_mov_b32_e32 v11, 0
	v_cmp_ne_u16_sdwa s[8:9], v12, v11 src0_sel:BYTE_0 src1_sel:DWORD
	s_andn2_b64 s[4:5], s[4:5], exec
	s_and_b64 s[8:9], s[8:9], exec
	s_or_b64 s[4:5], s[4:5], s[8:9]
	s_or_b64 exec, exec, s[6:7]
	s_and_saveexec_b64 s[6:7], s[4:5]
	s_cbranch_execnz .LBB38_1095
	s_branch .LBB38_1096
.LBB38_3145:
	s_movk_i32 s4, 0x80
	v_cmp_eq_u16_sdwa s[12:13], v11, s4 src0_sel:BYTE_0 src1_sel:DWORD
	s_mov_b64 s[4:5], -1
                                        ; implicit-def: $sgpr10
	s_and_saveexec_b64 s[8:9], s[12:13]
; %bb.3146:
	s_mov_b32 s10, 0x7f800001
	s_xor_b64 s[4:5], exec, -1
; %bb.3147:
	s_or_b64 exec, exec, s[8:9]
	s_and_b64 s[4:5], s[4:5], exec
	s_or_saveexec_b64 s[6:7], s[6:7]
	v_mov_b32_e32 v10, s10
	s_xor_b64 exec, exec, s[6:7]
	s_cbranch_execz .LBB38_1098
.LBB38_3148:
	v_mov_b32_e32 v10, 0
	v_cmp_ne_u16_sdwa s[8:9], v11, v10 src0_sel:BYTE_0 src1_sel:DWORD
	s_andn2_b64 s[4:5], s[4:5], exec
	s_and_b64 s[8:9], s[8:9], exec
	s_or_b64 s[4:5], s[4:5], s[8:9]
	s_or_b64 exec, exec, s[6:7]
	s_and_saveexec_b64 s[6:7], s[4:5]
	s_cbranch_execnz .LBB38_1099
	s_branch .LBB38_1100
.LBB38_3149:
	s_movk_i32 s4, 0x80
	v_cmp_eq_u16_sdwa s[12:13], v11, s4 src0_sel:BYTE_0 src1_sel:DWORD
	s_mov_b64 s[4:5], -1
                                        ; implicit-def: $sgpr10
	s_and_saveexec_b64 s[8:9], s[12:13]
; %bb.3150:
	s_mov_b32 s10, 0x7f800001
	s_xor_b64 s[4:5], exec, -1
; %bb.3151:
	s_or_b64 exec, exec, s[8:9]
	s_and_b64 s[4:5], s[4:5], exec
	s_or_saveexec_b64 s[6:7], s[6:7]
	v_mov_b32_e32 v14, s10
	s_xor_b64 exec, exec, s[6:7]
	s_cbranch_execz .LBB38_1102
.LBB38_3152:
	v_mov_b32_e32 v14, 0
	v_cmp_ne_u16_sdwa s[8:9], v11, v14 src0_sel:BYTE_0 src1_sel:DWORD
	s_andn2_b64 s[4:5], s[4:5], exec
	s_and_b64 s[8:9], s[8:9], exec
	s_or_b64 s[4:5], s[4:5], s[8:9]
	s_or_b64 exec, exec, s[6:7]
	s_and_saveexec_b64 s[6:7], s[4:5]
	s_cbranch_execnz .LBB38_1103
	s_branch .LBB38_1104
.LBB38_3153:
	s_movk_i32 s4, 0x80
	v_cmp_eq_u16_e32 vcc, s4, v11
	s_mov_b64 s[4:5], -1
                                        ; implicit-def: $sgpr10
	s_and_saveexec_b64 s[8:9], vcc
; %bb.3154:
	s_mov_b32 s10, 0x7f800001
	s_xor_b64 s[4:5], exec, -1
; %bb.3155:
	s_or_b64 exec, exec, s[8:9]
	s_and_b64 s[4:5], s[4:5], exec
                                        ; implicit-def: $vgpr11
	s_or_saveexec_b64 s[6:7], s[6:7]
	v_mov_b32_e32 v10, s10
	s_xor_b64 exec, exec, s[6:7]
	s_cbranch_execz .LBB38_1106
.LBB38_3156:
	v_cmp_ne_u16_e32 vcc, 0, v11
	s_andn2_b64 s[4:5], s[4:5], exec
	s_and_b64 s[8:9], vcc, exec
	v_mov_b32_e32 v10, 0
	s_or_b64 s[4:5], s[4:5], s[8:9]
	s_or_b64 exec, exec, s[6:7]
	s_and_saveexec_b64 s[6:7], s[4:5]
	s_cbranch_execnz .LBB38_1107
	s_branch .LBB38_1108
.LBB38_3157:
	s_movk_i32 s4, 0x80
	v_cmp_eq_u16_e32 vcc, s4, v11
	s_mov_b64 s[4:5], -1
                                        ; implicit-def: $sgpr10
	s_and_saveexec_b64 s[8:9], vcc
; %bb.3158:
	s_mov_b32 s10, 0x7f800001
	s_xor_b64 s[4:5], exec, -1
; %bb.3159:
	s_or_b64 exec, exec, s[8:9]
	s_and_b64 s[4:5], s[4:5], exec
                                        ; implicit-def: $vgpr11
	s_or_saveexec_b64 s[6:7], s[6:7]
	v_mov_b32_e32 v14, s10
	s_xor_b64 exec, exec, s[6:7]
	s_cbranch_execz .LBB38_1110
.LBB38_3160:
	v_cmp_ne_u16_e32 vcc, 0, v11
	s_andn2_b64 s[4:5], s[4:5], exec
	s_and_b64 s[8:9], vcc, exec
	v_mov_b32_e32 v14, 0
	s_or_b64 s[4:5], s[4:5], s[8:9]
	s_or_b64 exec, exec, s[6:7]
	s_and_saveexec_b64 s[6:7], s[4:5]
	s_cbranch_execnz .LBB38_1111
	s_branch .LBB38_1112
.LBB38_3161:
	s_movk_i32 s4, 0x80
	v_cmp_eq_u16_sdwa s[12:13], v16, s4 src0_sel:BYTE_3 src1_sel:DWORD
	s_mov_b64 s[4:5], -1
                                        ; implicit-def: $sgpr10
	s_and_saveexec_b64 s[8:9], s[12:13]
; %bb.3162:
	s_mov_b32 s10, 0x7f800001
	s_xor_b64 s[4:5], exec, -1
; %bb.3163:
	s_or_b64 exec, exec, s[8:9]
	s_and_b64 s[4:5], s[4:5], exec
	s_or_saveexec_b64 s[6:7], s[6:7]
	v_mov_b32_e32 v10, s10
	s_xor_b64 exec, exec, s[6:7]
	s_cbranch_execz .LBB38_1114
.LBB38_3164:
	v_mov_b32_e32 v10, 0
	v_cmp_ne_u16_sdwa s[8:9], v16, v10 src0_sel:BYTE_3 src1_sel:DWORD
	s_andn2_b64 s[4:5], s[4:5], exec
	s_and_b64 s[8:9], s[8:9], exec
	s_or_b64 s[4:5], s[4:5], s[8:9]
	s_or_b64 exec, exec, s[6:7]
	s_and_saveexec_b64 s[6:7], s[4:5]
	s_cbranch_execnz .LBB38_1115
	s_branch .LBB38_1116
.LBB38_3165:
	s_movk_i32 s4, 0x80
	v_cmp_eq_u16_sdwa s[12:13], v12, s4 src0_sel:BYTE_3 src1_sel:DWORD
	s_mov_b64 s[4:5], -1
                                        ; implicit-def: $sgpr10
	s_and_saveexec_b64 s[8:9], s[12:13]
; %bb.3166:
	s_mov_b32 s10, 0x7f800001
	s_xor_b64 s[4:5], exec, -1
; %bb.3167:
	s_or_b64 exec, exec, s[8:9]
	s_and_b64 s[4:5], s[4:5], exec
	s_or_saveexec_b64 s[6:7], s[6:7]
	v_mov_b32_e32 v11, s10
	s_xor_b64 exec, exec, s[6:7]
	s_cbranch_execz .LBB38_1118
.LBB38_3168:
	v_mov_b32_e32 v11, 0
	v_cmp_ne_u16_sdwa s[8:9], v12, v11 src0_sel:BYTE_3 src1_sel:DWORD
	s_andn2_b64 s[4:5], s[4:5], exec
	s_and_b64 s[8:9], s[8:9], exec
	s_or_b64 s[4:5], s[4:5], s[8:9]
	s_or_b64 exec, exec, s[6:7]
	s_and_saveexec_b64 s[6:7], s[4:5]
	s_cbranch_execnz .LBB38_1119
	s_branch .LBB38_1120
.LBB38_3169:
	s_movk_i32 s4, 0x80
	v_cmp_eq_u16_sdwa s[12:13], v17, s4 src0_sel:BYTE_0 src1_sel:DWORD
	s_mov_b64 s[4:5], -1
                                        ; implicit-def: $sgpr10
	s_and_saveexec_b64 s[8:9], s[12:13]
; %bb.3170:
	s_mov_b32 s10, 0x7f800001
	s_xor_b64 s[4:5], exec, -1
; %bb.3171:
	s_or_b64 exec, exec, s[8:9]
	s_and_b64 s[4:5], s[4:5], exec
	s_or_saveexec_b64 s[6:7], s[6:7]
	v_mov_b32_e32 v10, s10
	s_xor_b64 exec, exec, s[6:7]
	s_cbranch_execz .LBB38_1122
.LBB38_3172:
	v_mov_b32_e32 v10, 0
	v_cmp_ne_u16_sdwa s[8:9], v17, v10 src0_sel:BYTE_0 src1_sel:DWORD
	s_andn2_b64 s[4:5], s[4:5], exec
	s_and_b64 s[8:9], s[8:9], exec
	s_or_b64 s[4:5], s[4:5], s[8:9]
	s_or_b64 exec, exec, s[6:7]
	s_and_saveexec_b64 s[6:7], s[4:5]
	s_cbranch_execnz .LBB38_1123
	s_branch .LBB38_1124
.LBB38_3173:
	s_movk_i32 s4, 0x80
	v_cmp_eq_u16_sdwa s[12:13], v13, s4 src0_sel:BYTE_0 src1_sel:DWORD
	s_mov_b64 s[4:5], -1
                                        ; implicit-def: $sgpr10
	s_and_saveexec_b64 s[8:9], s[12:13]
; %bb.3174:
	s_mov_b32 s10, 0x7f800001
	s_xor_b64 s[4:5], exec, -1
; %bb.3175:
	s_or_b64 exec, exec, s[8:9]
	s_and_b64 s[4:5], s[4:5], exec
	s_or_saveexec_b64 s[6:7], s[6:7]
	v_mov_b32_e32 v11, s10
	s_xor_b64 exec, exec, s[6:7]
	s_cbranch_execz .LBB38_1126
.LBB38_3176:
	v_mov_b32_e32 v11, 0
	v_cmp_ne_u16_sdwa s[8:9], v13, v11 src0_sel:BYTE_0 src1_sel:DWORD
	s_andn2_b64 s[4:5], s[4:5], exec
	s_and_b64 s[8:9], s[8:9], exec
	s_or_b64 s[4:5], s[4:5], s[8:9]
	s_or_b64 exec, exec, s[6:7]
	s_and_saveexec_b64 s[6:7], s[4:5]
	s_cbranch_execnz .LBB38_1127
	s_branch .LBB38_1128
.LBB38_3177:
	s_movk_i32 s4, 0x80
	v_cmp_eq_u16_sdwa s[12:13], v11, s4 src0_sel:BYTE_0 src1_sel:DWORD
	s_mov_b64 s[4:5], -1
                                        ; implicit-def: $sgpr10
	s_and_saveexec_b64 s[8:9], s[12:13]
; %bb.3178:
	s_mov_b32 s10, 0x7f800001
	s_xor_b64 s[4:5], exec, -1
; %bb.3179:
	s_or_b64 exec, exec, s[8:9]
	s_and_b64 s[4:5], s[4:5], exec
	s_or_saveexec_b64 s[6:7], s[6:7]
	v_mov_b32_e32 v10, s10
	s_xor_b64 exec, exec, s[6:7]
	s_cbranch_execz .LBB38_1130
.LBB38_3180:
	v_mov_b32_e32 v10, 0
	v_cmp_ne_u16_sdwa s[8:9], v11, v10 src0_sel:BYTE_0 src1_sel:DWORD
	s_andn2_b64 s[4:5], s[4:5], exec
	s_and_b64 s[8:9], s[8:9], exec
	s_or_b64 s[4:5], s[4:5], s[8:9]
	s_or_b64 exec, exec, s[6:7]
	s_and_saveexec_b64 s[6:7], s[4:5]
	s_cbranch_execnz .LBB38_1131
	s_branch .LBB38_1132
.LBB38_3181:
	s_movk_i32 s4, 0x80
	v_cmp_eq_u16_sdwa s[12:13], v11, s4 src0_sel:BYTE_0 src1_sel:DWORD
	s_mov_b64 s[4:5], -1
                                        ; implicit-def: $sgpr10
	s_and_saveexec_b64 s[8:9], s[12:13]
; %bb.3182:
	s_mov_b32 s10, 0x7f800001
	s_xor_b64 s[4:5], exec, -1
; %bb.3183:
	s_or_b64 exec, exec, s[8:9]
	s_and_b64 s[4:5], s[4:5], exec
	s_or_saveexec_b64 s[6:7], s[6:7]
	v_mov_b32_e32 v12, s10
	s_xor_b64 exec, exec, s[6:7]
	s_cbranch_execz .LBB38_1134
.LBB38_3184:
	v_mov_b32_e32 v12, 0
	v_cmp_ne_u16_sdwa s[8:9], v11, v12 src0_sel:BYTE_0 src1_sel:DWORD
	s_andn2_b64 s[4:5], s[4:5], exec
	s_and_b64 s[8:9], s[8:9], exec
	s_or_b64 s[4:5], s[4:5], s[8:9]
	s_or_b64 exec, exec, s[6:7]
	s_and_saveexec_b64 s[6:7], s[4:5]
	s_cbranch_execnz .LBB38_1135
	s_branch .LBB38_1136
.LBB38_3185:
	s_movk_i32 s4, 0x80
	v_cmp_eq_u16_e32 vcc, s4, v11
	s_mov_b64 s[4:5], -1
                                        ; implicit-def: $sgpr10
	s_and_saveexec_b64 s[8:9], vcc
; %bb.3186:
	s_mov_b32 s10, 0x7f800001
	s_xor_b64 s[4:5], exec, -1
; %bb.3187:
	s_or_b64 exec, exec, s[8:9]
	s_and_b64 s[4:5], s[4:5], exec
                                        ; implicit-def: $vgpr11
	s_or_saveexec_b64 s[6:7], s[6:7]
	v_mov_b32_e32 v10, s10
	s_xor_b64 exec, exec, s[6:7]
	s_cbranch_execz .LBB38_1138
.LBB38_3188:
	v_cmp_ne_u16_e32 vcc, 0, v11
	s_andn2_b64 s[4:5], s[4:5], exec
	s_and_b64 s[8:9], vcc, exec
	v_mov_b32_e32 v10, 0
	s_or_b64 s[4:5], s[4:5], s[8:9]
	s_or_b64 exec, exec, s[6:7]
	s_and_saveexec_b64 s[6:7], s[4:5]
	s_cbranch_execnz .LBB38_1139
	s_branch .LBB38_1140
.LBB38_3189:
	s_movk_i32 s4, 0x80
	v_cmp_eq_u16_e32 vcc, s4, v11
	s_mov_b64 s[4:5], -1
                                        ; implicit-def: $sgpr10
	s_and_saveexec_b64 s[8:9], vcc
; %bb.3190:
	s_mov_b32 s10, 0x7f800001
	s_xor_b64 s[4:5], exec, -1
; %bb.3191:
	s_or_b64 exec, exec, s[8:9]
	s_and_b64 s[4:5], s[4:5], exec
                                        ; implicit-def: $vgpr11
	s_or_saveexec_b64 s[6:7], s[6:7]
	v_mov_b32_e32 v12, s10
	s_xor_b64 exec, exec, s[6:7]
	s_cbranch_execz .LBB38_1142
.LBB38_3192:
	v_cmp_ne_u16_e32 vcc, 0, v11
	s_andn2_b64 s[4:5], s[4:5], exec
	s_and_b64 s[8:9], vcc, exec
	v_mov_b32_e32 v12, 0
	s_or_b64 s[4:5], s[4:5], s[8:9]
	s_or_b64 exec, exec, s[6:7]
	s_and_saveexec_b64 s[6:7], s[4:5]
	s_cbranch_execnz .LBB38_1143
	s_branch .LBB38_1144
.LBB38_3193:
	s_movk_i32 s4, 0x80
	v_cmp_eq_u16_sdwa s[12:13], v17, s4 src0_sel:BYTE_3 src1_sel:DWORD
	s_mov_b64 s[4:5], -1
                                        ; implicit-def: $sgpr10
	s_and_saveexec_b64 s[8:9], s[12:13]
; %bb.3194:
	s_mov_b32 s10, 0x7f800001
	s_xor_b64 s[4:5], exec, -1
; %bb.3195:
	s_or_b64 exec, exec, s[8:9]
	s_and_b64 s[4:5], s[4:5], exec
	s_or_saveexec_b64 s[6:7], s[6:7]
	v_mov_b32_e32 v10, s10
	s_xor_b64 exec, exec, s[6:7]
	s_cbranch_execz .LBB38_1146
.LBB38_3196:
	v_mov_b32_e32 v10, 0
	v_cmp_ne_u16_sdwa s[8:9], v17, v10 src0_sel:BYTE_3 src1_sel:DWORD
	s_andn2_b64 s[4:5], s[4:5], exec
	s_and_b64 s[8:9], s[8:9], exec
	s_or_b64 s[4:5], s[4:5], s[8:9]
	s_or_b64 exec, exec, s[6:7]
	s_and_saveexec_b64 s[6:7], s[4:5]
	s_cbranch_execnz .LBB38_1147
	s_branch .LBB38_1148
.LBB38_3197:
	s_movk_i32 s4, 0x80
	v_cmp_eq_u16_sdwa s[12:13], v13, s4 src0_sel:BYTE_3 src1_sel:DWORD
	s_mov_b64 s[4:5], -1
                                        ; implicit-def: $sgpr10
	s_and_saveexec_b64 s[8:9], s[12:13]
; %bb.3198:
	s_mov_b32 s10, 0x7f800001
	s_xor_b64 s[4:5], exec, -1
; %bb.3199:
	s_or_b64 exec, exec, s[8:9]
	s_and_b64 s[4:5], s[4:5], exec
	s_or_saveexec_b64 s[6:7], s[6:7]
	v_mov_b32_e32 v11, s10
	s_xor_b64 exec, exec, s[6:7]
	s_cbranch_execz .LBB38_1150
.LBB38_3200:
	v_mov_b32_e32 v11, 0
	v_cmp_ne_u16_sdwa s[8:9], v13, v11 src0_sel:BYTE_3 src1_sel:DWORD
	s_andn2_b64 s[4:5], s[4:5], exec
	s_and_b64 s[8:9], s[8:9], exec
	s_or_b64 s[4:5], s[4:5], s[8:9]
	s_or_b64 exec, exec, s[6:7]
	s_and_saveexec_b64 s[6:7], s[4:5]
	s_cbranch_execnz .LBB38_1151
	s_branch .LBB38_1152
.LBB38_3201:
	s_movk_i32 s4, 0x80
	v_cmp_eq_u16_sdwa s[12:13], v6, s4 src0_sel:BYTE_0 src1_sel:DWORD
	s_mov_b64 s[4:5], -1
                                        ; implicit-def: $sgpr10
	s_and_saveexec_b64 s[8:9], s[12:13]
; %bb.3202:
	s_mov_b32 s10, 0x7f800001
	s_xor_b64 s[4:5], exec, -1
; %bb.3203:
	s_or_b64 exec, exec, s[8:9]
	s_and_b64 s[4:5], s[4:5], exec
	s_or_saveexec_b64 s[6:7], s[6:7]
	v_mov_b32_e32 v10, s10
	s_xor_b64 exec, exec, s[6:7]
	s_cbranch_execz .LBB38_1154
.LBB38_3204:
	v_mov_b32_e32 v10, 0
	v_cmp_ne_u16_sdwa s[8:9], v6, v10 src0_sel:BYTE_0 src1_sel:DWORD
	s_andn2_b64 s[4:5], s[4:5], exec
	s_and_b64 s[8:9], s[8:9], exec
	s_or_b64 s[4:5], s[4:5], s[8:9]
	s_or_b64 exec, exec, s[6:7]
	s_and_saveexec_b64 s[6:7], s[4:5]
	s_cbranch_execnz .LBB38_1155
	s_branch .LBB38_1156
.LBB38_3205:
	s_movk_i32 s4, 0x80
	v_cmp_eq_u16_sdwa s[12:13], v2, s4 src0_sel:BYTE_0 src1_sel:DWORD
	s_mov_b64 s[4:5], -1
                                        ; implicit-def: $sgpr10
	s_and_saveexec_b64 s[8:9], s[12:13]
; %bb.3206:
	s_mov_b32 s10, 0x7f800001
	s_xor_b64 s[4:5], exec, -1
; %bb.3207:
	s_or_b64 exec, exec, s[8:9]
	s_and_b64 s[4:5], s[4:5], exec
	s_or_saveexec_b64 s[6:7], s[6:7]
	v_mov_b32_e32 v11, s10
	s_xor_b64 exec, exec, s[6:7]
	s_cbranch_execz .LBB38_1158
.LBB38_3208:
	v_mov_b32_e32 v11, 0
	v_cmp_ne_u16_sdwa s[8:9], v2, v11 src0_sel:BYTE_0 src1_sel:DWORD
	s_andn2_b64 s[4:5], s[4:5], exec
	s_and_b64 s[8:9], s[8:9], exec
	s_or_b64 s[4:5], s[4:5], s[8:9]
	s_or_b64 exec, exec, s[6:7]
	s_and_saveexec_b64 s[6:7], s[4:5]
	s_cbranch_execnz .LBB38_1159
	s_branch .LBB38_1160
.LBB38_3209:
	s_movk_i32 s4, 0x80
	v_cmp_eq_u16_sdwa s[12:13], v11, s4 src0_sel:BYTE_0 src1_sel:DWORD
	s_mov_b64 s[4:5], -1
                                        ; implicit-def: $sgpr10
	s_and_saveexec_b64 s[8:9], s[12:13]
; %bb.3210:
	s_mov_b32 s10, 0x7f800001
	s_xor_b64 s[4:5], exec, -1
; %bb.3211:
	s_or_b64 exec, exec, s[8:9]
	s_and_b64 s[4:5], s[4:5], exec
	s_or_saveexec_b64 s[6:7], s[6:7]
	v_mov_b32_e32 v10, s10
	s_xor_b64 exec, exec, s[6:7]
	s_cbranch_execz .LBB38_1162
.LBB38_3212:
	v_mov_b32_e32 v10, 0
	v_cmp_ne_u16_sdwa s[8:9], v11, v10 src0_sel:BYTE_0 src1_sel:DWORD
	s_andn2_b64 s[4:5], s[4:5], exec
	s_and_b64 s[8:9], s[8:9], exec
	s_or_b64 s[4:5], s[4:5], s[8:9]
	s_or_b64 exec, exec, s[6:7]
	s_and_saveexec_b64 s[6:7], s[4:5]
	s_cbranch_execnz .LBB38_1163
	s_branch .LBB38_1164
.LBB38_3213:
	s_movk_i32 s4, 0x80
	v_cmp_eq_u16_sdwa s[12:13], v11, s4 src0_sel:BYTE_0 src1_sel:DWORD
	s_mov_b64 s[4:5], -1
                                        ; implicit-def: $sgpr10
	s_and_saveexec_b64 s[8:9], s[12:13]
; %bb.3214:
	s_mov_b32 s10, 0x7f800001
	s_xor_b64 s[4:5], exec, -1
; %bb.3215:
	s_or_b64 exec, exec, s[8:9]
	s_and_b64 s[4:5], s[4:5], exec
	s_or_saveexec_b64 s[6:7], s[6:7]
	v_mov_b32_e32 v12, s10
	s_xor_b64 exec, exec, s[6:7]
	s_cbranch_execz .LBB38_1166
.LBB38_3216:
	v_mov_b32_e32 v12, 0
	v_cmp_ne_u16_sdwa s[8:9], v11, v12 src0_sel:BYTE_0 src1_sel:DWORD
	s_andn2_b64 s[4:5], s[4:5], exec
	s_and_b64 s[8:9], s[8:9], exec
	s_or_b64 s[4:5], s[4:5], s[8:9]
	s_or_b64 exec, exec, s[6:7]
	s_and_saveexec_b64 s[6:7], s[4:5]
	s_cbranch_execnz .LBB38_1167
	s_branch .LBB38_1168
.LBB38_3217:
	s_movk_i32 s4, 0x80
	v_cmp_eq_u16_e32 vcc, s4, v11
	s_mov_b64 s[4:5], -1
                                        ; implicit-def: $sgpr10
	s_and_saveexec_b64 s[8:9], vcc
; %bb.3218:
	s_mov_b32 s10, 0x7f800001
	s_xor_b64 s[4:5], exec, -1
; %bb.3219:
	s_or_b64 exec, exec, s[8:9]
	s_and_b64 s[4:5], s[4:5], exec
                                        ; implicit-def: $vgpr11
	s_or_saveexec_b64 s[6:7], s[6:7]
	v_mov_b32_e32 v10, s10
	s_xor_b64 exec, exec, s[6:7]
	s_cbranch_execz .LBB38_1170
.LBB38_3220:
	v_cmp_ne_u16_e32 vcc, 0, v11
	s_andn2_b64 s[4:5], s[4:5], exec
	s_and_b64 s[8:9], vcc, exec
	v_mov_b32_e32 v10, 0
	s_or_b64 s[4:5], s[4:5], s[8:9]
	s_or_b64 exec, exec, s[6:7]
	s_and_saveexec_b64 s[6:7], s[4:5]
	s_cbranch_execnz .LBB38_1171
	s_branch .LBB38_1172
.LBB38_3221:
	s_movk_i32 s4, 0x80
	v_cmp_eq_u16_e32 vcc, s4, v11
	s_mov_b64 s[4:5], -1
                                        ; implicit-def: $sgpr10
	s_and_saveexec_b64 s[8:9], vcc
; %bb.3222:
	s_mov_b32 s10, 0x7f800001
	s_xor_b64 s[4:5], exec, -1
; %bb.3223:
	s_or_b64 exec, exec, s[8:9]
	s_and_b64 s[4:5], s[4:5], exec
                                        ; implicit-def: $vgpr11
	s_or_saveexec_b64 s[6:7], s[6:7]
	v_mov_b32_e32 v12, s10
	s_xor_b64 exec, exec, s[6:7]
	s_cbranch_execz .LBB38_1174
.LBB38_3224:
	v_cmp_ne_u16_e32 vcc, 0, v11
	s_andn2_b64 s[4:5], s[4:5], exec
	s_and_b64 s[8:9], vcc, exec
	v_mov_b32_e32 v12, 0
	s_or_b64 s[4:5], s[4:5], s[8:9]
	s_or_b64 exec, exec, s[6:7]
	s_and_saveexec_b64 s[6:7], s[4:5]
	s_cbranch_execnz .LBB38_1175
	s_branch .LBB38_1176
.LBB38_3225:
	s_movk_i32 s4, 0x80
	v_cmp_eq_u16_sdwa s[12:13], v6, s4 src0_sel:BYTE_3 src1_sel:DWORD
	s_mov_b64 s[4:5], -1
                                        ; implicit-def: $sgpr10
	s_and_saveexec_b64 s[8:9], s[12:13]
; %bb.3226:
	s_mov_b32 s10, 0x7f800001
	s_xor_b64 s[4:5], exec, -1
; %bb.3227:
	s_or_b64 exec, exec, s[8:9]
	s_and_b64 s[4:5], s[4:5], exec
	s_or_saveexec_b64 s[6:7], s[6:7]
	v_mov_b32_e32 v10, s10
	s_xor_b64 exec, exec, s[6:7]
	s_cbranch_execz .LBB38_1178
.LBB38_3228:
	v_mov_b32_e32 v10, 0
	v_cmp_ne_u16_sdwa s[8:9], v6, v10 src0_sel:BYTE_3 src1_sel:DWORD
	s_andn2_b64 s[4:5], s[4:5], exec
	s_and_b64 s[8:9], s[8:9], exec
	s_or_b64 s[4:5], s[4:5], s[8:9]
	s_or_b64 exec, exec, s[6:7]
	s_and_saveexec_b64 s[6:7], s[4:5]
	s_cbranch_execnz .LBB38_1179
	s_branch .LBB38_1180
.LBB38_3229:
	s_movk_i32 s4, 0x80
	v_cmp_eq_u16_sdwa s[12:13], v2, s4 src0_sel:BYTE_3 src1_sel:DWORD
	s_mov_b64 s[4:5], -1
                                        ; implicit-def: $sgpr10
	s_and_saveexec_b64 s[8:9], s[12:13]
; %bb.3230:
	s_mov_b32 s10, 0x7f800001
	s_xor_b64 s[4:5], exec, -1
; %bb.3231:
	s_or_b64 exec, exec, s[8:9]
	s_and_b64 s[4:5], s[4:5], exec
	s_or_saveexec_b64 s[6:7], s[6:7]
	v_mov_b32_e32 v6, s10
	s_xor_b64 exec, exec, s[6:7]
	s_cbranch_execz .LBB38_1182
.LBB38_3232:
	v_mov_b32_e32 v6, 0
	v_cmp_ne_u16_sdwa s[8:9], v2, v6 src0_sel:BYTE_3 src1_sel:DWORD
	s_andn2_b64 s[4:5], s[4:5], exec
	s_and_b64 s[8:9], s[8:9], exec
	s_or_b64 s[4:5], s[4:5], s[8:9]
	s_or_b64 exec, exec, s[6:7]
	s_and_saveexec_b64 s[6:7], s[4:5]
	s_cbranch_execnz .LBB38_1183
	s_branch .LBB38_1184
.LBB38_3233:
	s_movk_i32 s4, 0x80
	v_cmp_eq_u16_sdwa s[12:13], v7, s4 src0_sel:BYTE_0 src1_sel:DWORD
	s_mov_b64 s[4:5], -1
                                        ; implicit-def: $sgpr10
	s_and_saveexec_b64 s[8:9], s[12:13]
; %bb.3234:
	s_mov_b32 s10, 0x7f800001
	s_xor_b64 s[4:5], exec, -1
; %bb.3235:
	s_or_b64 exec, exec, s[8:9]
	s_and_b64 s[4:5], s[4:5], exec
	s_or_saveexec_b64 s[6:7], s[6:7]
	v_mov_b32_e32 v2, s10
	s_xor_b64 exec, exec, s[6:7]
	s_cbranch_execz .LBB38_1186
.LBB38_3236:
	v_mov_b32_e32 v2, 0
	v_cmp_ne_u16_sdwa s[8:9], v7, v2 src0_sel:BYTE_0 src1_sel:DWORD
	s_andn2_b64 s[4:5], s[4:5], exec
	s_and_b64 s[8:9], s[8:9], exec
	s_or_b64 s[4:5], s[4:5], s[8:9]
	s_or_b64 exec, exec, s[6:7]
	s_and_saveexec_b64 s[6:7], s[4:5]
	s_cbranch_execnz .LBB38_1187
	s_branch .LBB38_1188
.LBB38_3237:
	s_movk_i32 s4, 0x80
	v_cmp_eq_u16_sdwa s[12:13], v3, s4 src0_sel:BYTE_0 src1_sel:DWORD
	s_mov_b64 s[4:5], -1
                                        ; implicit-def: $sgpr10
	s_and_saveexec_b64 s[8:9], s[12:13]
; %bb.3238:
	s_mov_b32 s10, 0x7f800001
	s_xor_b64 s[4:5], exec, -1
; %bb.3239:
	s_or_b64 exec, exec, s[8:9]
	s_and_b64 s[4:5], s[4:5], exec
	s_or_saveexec_b64 s[6:7], s[6:7]
	v_mov_b32_e32 v6, s10
	s_xor_b64 exec, exec, s[6:7]
	s_cbranch_execz .LBB38_1190
.LBB38_3240:
	v_mov_b32_e32 v6, 0
	v_cmp_ne_u16_sdwa s[8:9], v3, v6 src0_sel:BYTE_0 src1_sel:DWORD
	s_andn2_b64 s[4:5], s[4:5], exec
	s_and_b64 s[8:9], s[8:9], exec
	s_or_b64 s[4:5], s[4:5], s[8:9]
	s_or_b64 exec, exec, s[6:7]
	s_and_saveexec_b64 s[6:7], s[4:5]
	s_cbranch_execnz .LBB38_1191
	s_branch .LBB38_1192
.LBB38_3241:
	s_movk_i32 s4, 0x80
	v_cmp_eq_u16_sdwa s[12:13], v6, s4 src0_sel:BYTE_0 src1_sel:DWORD
	s_mov_b64 s[4:5], -1
                                        ; implicit-def: $sgpr10
	s_and_saveexec_b64 s[8:9], s[12:13]
; %bb.3242:
	s_mov_b32 s10, 0x7f800001
	s_xor_b64 s[4:5], exec, -1
; %bb.3243:
	s_or_b64 exec, exec, s[8:9]
	s_and_b64 s[4:5], s[4:5], exec
	s_or_saveexec_b64 s[6:7], s[6:7]
	v_mov_b32_e32 v2, s10
	s_xor_b64 exec, exec, s[6:7]
	s_cbranch_execz .LBB38_1194
.LBB38_3244:
	v_mov_b32_e32 v2, 0
	v_cmp_ne_u16_sdwa s[8:9], v6, v2 src0_sel:BYTE_0 src1_sel:DWORD
	s_andn2_b64 s[4:5], s[4:5], exec
	s_and_b64 s[8:9], s[8:9], exec
	s_or_b64 s[4:5], s[4:5], s[8:9]
	s_or_b64 exec, exec, s[6:7]
	s_and_saveexec_b64 s[6:7], s[4:5]
	s_cbranch_execnz .LBB38_1195
	s_branch .LBB38_1196
.LBB38_3245:
	s_movk_i32 s4, 0x80
	v_cmp_eq_u16_sdwa s[12:13], v6, s4 src0_sel:BYTE_0 src1_sel:DWORD
	s_mov_b64 s[4:5], -1
                                        ; implicit-def: $sgpr10
	s_and_saveexec_b64 s[8:9], s[12:13]
; %bb.3246:
	s_mov_b32 s10, 0x7f800001
	s_xor_b64 s[4:5], exec, -1
; %bb.3247:
	s_or_b64 exec, exec, s[8:9]
	s_and_b64 s[4:5], s[4:5], exec
	s_or_saveexec_b64 s[6:7], s[6:7]
	v_mov_b32_e32 v10, s10
	s_xor_b64 exec, exec, s[6:7]
	s_cbranch_execz .LBB38_1198
.LBB38_3248:
	v_mov_b32_e32 v10, 0
	v_cmp_ne_u16_sdwa s[8:9], v6, v10 src0_sel:BYTE_0 src1_sel:DWORD
	s_andn2_b64 s[4:5], s[4:5], exec
	s_and_b64 s[8:9], s[8:9], exec
	s_or_b64 s[4:5], s[4:5], s[8:9]
	s_or_b64 exec, exec, s[6:7]
	s_and_saveexec_b64 s[6:7], s[4:5]
	s_cbranch_execnz .LBB38_1199
	s_branch .LBB38_1200
.LBB38_3249:
	s_movk_i32 s4, 0x80
	v_cmp_eq_u16_e32 vcc, s4, v6
	s_mov_b64 s[4:5], -1
                                        ; implicit-def: $sgpr10
	s_and_saveexec_b64 s[8:9], vcc
; %bb.3250:
	s_mov_b32 s10, 0x7f800001
	s_xor_b64 s[4:5], exec, -1
; %bb.3251:
	s_or_b64 exec, exec, s[8:9]
	s_and_b64 s[4:5], s[4:5], exec
                                        ; implicit-def: $vgpr6
	s_or_saveexec_b64 s[6:7], s[6:7]
	v_mov_b32_e32 v2, s10
	s_xor_b64 exec, exec, s[6:7]
	s_cbranch_execz .LBB38_1202
.LBB38_3252:
	v_cmp_ne_u16_e32 vcc, 0, v6
	s_andn2_b64 s[4:5], s[4:5], exec
	s_and_b64 s[8:9], vcc, exec
	v_mov_b32_e32 v2, 0
	s_or_b64 s[4:5], s[4:5], s[8:9]
	s_or_b64 exec, exec, s[6:7]
	s_and_saveexec_b64 s[6:7], s[4:5]
	s_cbranch_execnz .LBB38_1203
	s_branch .LBB38_1204
.LBB38_3253:
	s_movk_i32 s4, 0x80
	v_cmp_eq_u16_e32 vcc, s4, v6
	s_mov_b64 s[4:5], -1
                                        ; implicit-def: $sgpr10
	s_and_saveexec_b64 s[8:9], vcc
; %bb.3254:
	s_mov_b32 s10, 0x7f800001
	s_xor_b64 s[4:5], exec, -1
; %bb.3255:
	s_or_b64 exec, exec, s[8:9]
	s_and_b64 s[4:5], s[4:5], exec
                                        ; implicit-def: $vgpr6
	s_or_saveexec_b64 s[6:7], s[6:7]
	v_mov_b32_e32 v10, s10
	s_xor_b64 exec, exec, s[6:7]
	s_cbranch_execz .LBB38_1206
.LBB38_3256:
	v_cmp_ne_u16_e32 vcc, 0, v6
	s_andn2_b64 s[4:5], s[4:5], exec
	s_and_b64 s[8:9], vcc, exec
	v_mov_b32_e32 v10, 0
	s_or_b64 s[4:5], s[4:5], s[8:9]
	s_or_b64 exec, exec, s[6:7]
	s_and_saveexec_b64 s[6:7], s[4:5]
	s_cbranch_execnz .LBB38_1207
	s_branch .LBB38_1208
.LBB38_3257:
	s_movk_i32 s4, 0x80
	v_cmp_eq_u16_sdwa s[12:13], v7, s4 src0_sel:BYTE_3 src1_sel:DWORD
	s_mov_b64 s[4:5], -1
                                        ; implicit-def: $sgpr10
	s_and_saveexec_b64 s[8:9], s[12:13]
; %bb.3258:
	s_mov_b32 s10, 0x7f800001
	s_xor_b64 s[4:5], exec, -1
; %bb.3259:
	s_or_b64 exec, exec, s[8:9]
	s_and_b64 s[4:5], s[4:5], exec
	s_or_saveexec_b64 s[6:7], s[6:7]
	v_mov_b32_e32 v2, s10
	s_xor_b64 exec, exec, s[6:7]
	s_cbranch_execz .LBB38_1210
.LBB38_3260:
	v_mov_b32_e32 v2, 0
	v_cmp_ne_u16_sdwa s[8:9], v7, v2 src0_sel:BYTE_3 src1_sel:DWORD
	s_andn2_b64 s[4:5], s[4:5], exec
	s_and_b64 s[8:9], s[8:9], exec
	s_or_b64 s[4:5], s[4:5], s[8:9]
	s_or_b64 exec, exec, s[6:7]
	s_and_saveexec_b64 s[6:7], s[4:5]
	s_cbranch_execnz .LBB38_1211
	s_branch .LBB38_1212
.LBB38_3261:
	s_movk_i32 s4, 0x80
	v_cmp_eq_u16_sdwa s[12:13], v3, s4 src0_sel:BYTE_3 src1_sel:DWORD
	s_mov_b64 s[4:5], -1
                                        ; implicit-def: $sgpr10
	s_and_saveexec_b64 s[8:9], s[12:13]
; %bb.3262:
	s_mov_b32 s10, 0x7f800001
	s_xor_b64 s[4:5], exec, -1
; %bb.3263:
	s_or_b64 exec, exec, s[8:9]
	s_and_b64 s[4:5], s[4:5], exec
	s_or_saveexec_b64 s[6:7], s[6:7]
	v_mov_b32_e32 v6, s10
	s_xor_b64 exec, exec, s[6:7]
	s_cbranch_execz .LBB38_1214
.LBB38_3264:
	v_mov_b32_e32 v6, 0
	v_cmp_ne_u16_sdwa s[8:9], v3, v6 src0_sel:BYTE_3 src1_sel:DWORD
	s_andn2_b64 s[4:5], s[4:5], exec
	s_and_b64 s[8:9], s[8:9], exec
	s_or_b64 s[4:5], s[4:5], s[8:9]
	s_or_b64 exec, exec, s[6:7]
	s_and_saveexec_b64 s[6:7], s[4:5]
	s_cbranch_execnz .LBB38_1215
	s_branch .LBB38_1216
.LBB38_3265:
	s_movk_i32 s4, 0x80
	v_cmp_eq_u16_sdwa s[12:13], v8, s4 src0_sel:BYTE_0 src1_sel:DWORD
	s_mov_b64 s[4:5], -1
                                        ; implicit-def: $sgpr10
	s_and_saveexec_b64 s[8:9], s[12:13]
; %bb.3266:
	s_mov_b32 s10, 0x7f800001
	s_xor_b64 s[4:5], exec, -1
; %bb.3267:
	s_or_b64 exec, exec, s[8:9]
	s_and_b64 s[4:5], s[4:5], exec
	s_or_saveexec_b64 s[6:7], s[6:7]
	v_mov_b32_e32 v2, s10
	s_xor_b64 exec, exec, s[6:7]
	s_cbranch_execz .LBB38_1218
.LBB38_3268:
	v_mov_b32_e32 v2, 0
	v_cmp_ne_u16_sdwa s[8:9], v8, v2 src0_sel:BYTE_0 src1_sel:DWORD
	s_andn2_b64 s[4:5], s[4:5], exec
	s_and_b64 s[8:9], s[8:9], exec
	s_or_b64 s[4:5], s[4:5], s[8:9]
	s_or_b64 exec, exec, s[6:7]
	s_and_saveexec_b64 s[6:7], s[4:5]
	s_cbranch_execnz .LBB38_1219
	s_branch .LBB38_1220
.LBB38_3269:
	s_movk_i32 s4, 0x80
	v_cmp_eq_u16_sdwa s[12:13], v4, s4 src0_sel:BYTE_0 src1_sel:DWORD
	s_mov_b64 s[4:5], -1
                                        ; implicit-def: $sgpr10
	s_and_saveexec_b64 s[8:9], s[12:13]
; %bb.3270:
	s_mov_b32 s10, 0x7f800001
	s_xor_b64 s[4:5], exec, -1
; %bb.3271:
	s_or_b64 exec, exec, s[8:9]
	s_and_b64 s[4:5], s[4:5], exec
	s_or_saveexec_b64 s[6:7], s[6:7]
	v_mov_b32_e32 v3, s10
	s_xor_b64 exec, exec, s[6:7]
	s_cbranch_execz .LBB38_1222
.LBB38_3272:
	v_mov_b32_e32 v3, 0
	v_cmp_ne_u16_sdwa s[8:9], v4, v3 src0_sel:BYTE_0 src1_sel:DWORD
	s_andn2_b64 s[4:5], s[4:5], exec
	s_and_b64 s[8:9], s[8:9], exec
	s_or_b64 s[4:5], s[4:5], s[8:9]
	s_or_b64 exec, exec, s[6:7]
	s_and_saveexec_b64 s[6:7], s[4:5]
	s_cbranch_execnz .LBB38_1223
	s_branch .LBB38_1224
.LBB38_3273:
	s_movk_i32 s4, 0x80
	v_cmp_eq_u16_sdwa s[12:13], v3, s4 src0_sel:BYTE_0 src1_sel:DWORD
	s_mov_b64 s[4:5], -1
                                        ; implicit-def: $sgpr10
	s_and_saveexec_b64 s[8:9], s[12:13]
; %bb.3274:
	s_mov_b32 s10, 0x7f800001
	s_xor_b64 s[4:5], exec, -1
; %bb.3275:
	s_or_b64 exec, exec, s[8:9]
	s_and_b64 s[4:5], s[4:5], exec
	s_or_saveexec_b64 s[6:7], s[6:7]
	v_mov_b32_e32 v2, s10
	s_xor_b64 exec, exec, s[6:7]
	s_cbranch_execz .LBB38_1226
.LBB38_3276:
	v_mov_b32_e32 v2, 0
	v_cmp_ne_u16_sdwa s[8:9], v3, v2 src0_sel:BYTE_0 src1_sel:DWORD
	s_andn2_b64 s[4:5], s[4:5], exec
	s_and_b64 s[8:9], s[8:9], exec
	s_or_b64 s[4:5], s[4:5], s[8:9]
	s_or_b64 exec, exec, s[6:7]
	s_and_saveexec_b64 s[6:7], s[4:5]
	s_cbranch_execnz .LBB38_1227
	s_branch .LBB38_1228
.LBB38_3277:
	s_movk_i32 s4, 0x80
	v_cmp_eq_u16_sdwa s[12:13], v3, s4 src0_sel:BYTE_0 src1_sel:DWORD
	s_mov_b64 s[4:5], -1
                                        ; implicit-def: $sgpr10
	s_and_saveexec_b64 s[8:9], s[12:13]
; %bb.3278:
	s_mov_b32 s10, 0x7f800001
	s_xor_b64 s[4:5], exec, -1
; %bb.3279:
	s_or_b64 exec, exec, s[8:9]
	s_and_b64 s[4:5], s[4:5], exec
	s_or_saveexec_b64 s[6:7], s[6:7]
	v_mov_b32_e32 v6, s10
	s_xor_b64 exec, exec, s[6:7]
	s_cbranch_execz .LBB38_1230
.LBB38_3280:
	v_mov_b32_e32 v6, 0
	v_cmp_ne_u16_sdwa s[8:9], v3, v6 src0_sel:BYTE_0 src1_sel:DWORD
	s_andn2_b64 s[4:5], s[4:5], exec
	s_and_b64 s[8:9], s[8:9], exec
	s_or_b64 s[4:5], s[4:5], s[8:9]
	s_or_b64 exec, exec, s[6:7]
	s_and_saveexec_b64 s[6:7], s[4:5]
	s_cbranch_execnz .LBB38_1231
	s_branch .LBB38_1232
.LBB38_3281:
	s_movk_i32 s4, 0x80
	v_cmp_eq_u16_e32 vcc, s4, v3
	s_mov_b64 s[4:5], -1
                                        ; implicit-def: $sgpr10
	s_and_saveexec_b64 s[8:9], vcc
; %bb.3282:
	s_mov_b32 s10, 0x7f800001
	s_xor_b64 s[4:5], exec, -1
; %bb.3283:
	s_or_b64 exec, exec, s[8:9]
	s_and_b64 s[4:5], s[4:5], exec
                                        ; implicit-def: $vgpr3
	s_or_saveexec_b64 s[6:7], s[6:7]
	v_mov_b32_e32 v2, s10
	s_xor_b64 exec, exec, s[6:7]
	s_cbranch_execz .LBB38_1234
.LBB38_3284:
	v_cmp_ne_u16_e32 vcc, 0, v3
	s_andn2_b64 s[4:5], s[4:5], exec
	s_and_b64 s[8:9], vcc, exec
	v_mov_b32_e32 v2, 0
	s_or_b64 s[4:5], s[4:5], s[8:9]
	s_or_b64 exec, exec, s[6:7]
	s_and_saveexec_b64 s[6:7], s[4:5]
	s_cbranch_execnz .LBB38_1235
	s_branch .LBB38_1236
.LBB38_3285:
	s_movk_i32 s4, 0x80
	v_cmp_eq_u16_e32 vcc, s4, v3
	s_mov_b64 s[4:5], -1
                                        ; implicit-def: $sgpr10
	s_and_saveexec_b64 s[8:9], vcc
; %bb.3286:
	s_mov_b32 s10, 0x7f800001
	s_xor_b64 s[4:5], exec, -1
; %bb.3287:
	s_or_b64 exec, exec, s[8:9]
	s_and_b64 s[4:5], s[4:5], exec
                                        ; implicit-def: $vgpr3
	s_or_saveexec_b64 s[6:7], s[6:7]
	v_mov_b32_e32 v6, s10
	s_xor_b64 exec, exec, s[6:7]
	s_cbranch_execz .LBB38_1238
.LBB38_3288:
	v_cmp_ne_u16_e32 vcc, 0, v3
	s_andn2_b64 s[4:5], s[4:5], exec
	s_and_b64 s[8:9], vcc, exec
	v_mov_b32_e32 v6, 0
	s_or_b64 s[4:5], s[4:5], s[8:9]
	s_or_b64 exec, exec, s[6:7]
	s_and_saveexec_b64 s[6:7], s[4:5]
	s_cbranch_execnz .LBB38_1239
	s_branch .LBB38_1240
.LBB38_3289:
	s_movk_i32 s4, 0x80
	v_cmp_eq_u16_sdwa s[12:13], v8, s4 src0_sel:BYTE_3 src1_sel:DWORD
	s_mov_b64 s[4:5], -1
                                        ; implicit-def: $sgpr10
	s_and_saveexec_b64 s[8:9], s[12:13]
; %bb.3290:
	s_mov_b32 s10, 0x7f800001
	s_xor_b64 s[4:5], exec, -1
; %bb.3291:
	s_or_b64 exec, exec, s[8:9]
	s_and_b64 s[4:5], s[4:5], exec
	s_or_saveexec_b64 s[6:7], s[6:7]
	v_mov_b32_e32 v2, s10
	s_xor_b64 exec, exec, s[6:7]
	s_cbranch_execz .LBB38_1242
.LBB38_3292:
	v_mov_b32_e32 v2, 0
	v_cmp_ne_u16_sdwa s[8:9], v8, v2 src0_sel:BYTE_3 src1_sel:DWORD
	s_andn2_b64 s[4:5], s[4:5], exec
	s_and_b64 s[8:9], s[8:9], exec
	s_or_b64 s[4:5], s[4:5], s[8:9]
	s_or_b64 exec, exec, s[6:7]
	s_and_saveexec_b64 s[6:7], s[4:5]
	s_cbranch_execnz .LBB38_1243
	s_branch .LBB38_1244
.LBB38_3293:
	s_movk_i32 s4, 0x80
	v_cmp_eq_u16_sdwa s[12:13], v4, s4 src0_sel:BYTE_3 src1_sel:DWORD
	s_mov_b64 s[4:5], -1
                                        ; implicit-def: $sgpr10
	s_and_saveexec_b64 s[8:9], s[12:13]
; %bb.3294:
	s_mov_b32 s10, 0x7f800001
	s_xor_b64 s[4:5], exec, -1
; %bb.3295:
	s_or_b64 exec, exec, s[8:9]
	s_and_b64 s[4:5], s[4:5], exec
	s_or_saveexec_b64 s[6:7], s[6:7]
	v_mov_b32_e32 v3, s10
	s_xor_b64 exec, exec, s[6:7]
	s_cbranch_execz .LBB38_1246
.LBB38_3296:
	v_mov_b32_e32 v3, 0
	v_cmp_ne_u16_sdwa s[8:9], v4, v3 src0_sel:BYTE_3 src1_sel:DWORD
	s_andn2_b64 s[4:5], s[4:5], exec
	s_and_b64 s[8:9], s[8:9], exec
	s_or_b64 s[4:5], s[4:5], s[8:9]
	s_or_b64 exec, exec, s[6:7]
	s_and_saveexec_b64 s[6:7], s[4:5]
	s_cbranch_execnz .LBB38_1247
	s_branch .LBB38_1248
.LBB38_3297:
	s_movk_i32 s4, 0x80
	v_cmp_eq_u16_sdwa s[12:13], v9, s4 src0_sel:BYTE_0 src1_sel:DWORD
	s_mov_b64 s[4:5], -1
                                        ; implicit-def: $sgpr10
	s_and_saveexec_b64 s[8:9], s[12:13]
; %bb.3298:
	s_mov_b32 s10, 0x7f800001
	s_xor_b64 s[4:5], exec, -1
; %bb.3299:
	s_or_b64 exec, exec, s[8:9]
	s_and_b64 s[4:5], s[4:5], exec
	s_or_saveexec_b64 s[6:7], s[6:7]
	v_mov_b32_e32 v2, s10
	s_xor_b64 exec, exec, s[6:7]
	s_cbranch_execz .LBB38_1250
.LBB38_3300:
	v_mov_b32_e32 v2, 0
	v_cmp_ne_u16_sdwa s[8:9], v9, v2 src0_sel:BYTE_0 src1_sel:DWORD
	s_andn2_b64 s[4:5], s[4:5], exec
	s_and_b64 s[8:9], s[8:9], exec
	s_or_b64 s[4:5], s[4:5], s[8:9]
	s_or_b64 exec, exec, s[6:7]
	s_and_saveexec_b64 s[6:7], s[4:5]
	s_cbranch_execnz .LBB38_1251
	s_branch .LBB38_1252
.LBB38_3301:
	s_movk_i32 s4, 0x80
	v_cmp_eq_u16_sdwa s[12:13], v5, s4 src0_sel:BYTE_0 src1_sel:DWORD
	s_mov_b64 s[4:5], -1
                                        ; implicit-def: $sgpr10
	s_and_saveexec_b64 s[8:9], s[12:13]
; %bb.3302:
	s_mov_b32 s10, 0x7f800001
	s_xor_b64 s[4:5], exec, -1
; %bb.3303:
	s_or_b64 exec, exec, s[8:9]
	s_and_b64 s[4:5], s[4:5], exec
	s_or_saveexec_b64 s[6:7], s[6:7]
	v_mov_b32_e32 v3, s10
	s_xor_b64 exec, exec, s[6:7]
	s_cbranch_execz .LBB38_1254
.LBB38_3304:
	v_mov_b32_e32 v3, 0
	v_cmp_ne_u16_sdwa s[8:9], v5, v3 src0_sel:BYTE_0 src1_sel:DWORD
	s_andn2_b64 s[4:5], s[4:5], exec
	s_and_b64 s[8:9], s[8:9], exec
	s_or_b64 s[4:5], s[4:5], s[8:9]
	s_or_b64 exec, exec, s[6:7]
	s_and_saveexec_b64 s[6:7], s[4:5]
	s_cbranch_execnz .LBB38_1255
	s_branch .LBB38_1256
.LBB38_3305:
	s_movk_i32 s4, 0x80
	v_cmp_eq_u16_sdwa s[12:13], v3, s4 src0_sel:BYTE_0 src1_sel:DWORD
	s_mov_b64 s[4:5], -1
                                        ; implicit-def: $sgpr10
	s_and_saveexec_b64 s[8:9], s[12:13]
; %bb.3306:
	s_mov_b32 s10, 0x7f800001
	s_xor_b64 s[4:5], exec, -1
; %bb.3307:
	s_or_b64 exec, exec, s[8:9]
	s_and_b64 s[4:5], s[4:5], exec
	s_or_saveexec_b64 s[6:7], s[6:7]
	v_mov_b32_e32 v2, s10
	s_xor_b64 exec, exec, s[6:7]
	s_cbranch_execz .LBB38_1258
.LBB38_3308:
	v_mov_b32_e32 v2, 0
	v_cmp_ne_u16_sdwa s[8:9], v3, v2 src0_sel:BYTE_0 src1_sel:DWORD
	s_andn2_b64 s[4:5], s[4:5], exec
	s_and_b64 s[8:9], s[8:9], exec
	s_or_b64 s[4:5], s[4:5], s[8:9]
	s_or_b64 exec, exec, s[6:7]
	s_and_saveexec_b64 s[6:7], s[4:5]
	s_cbranch_execnz .LBB38_1259
	s_branch .LBB38_1260
.LBB38_3309:
	s_movk_i32 s4, 0x80
	v_cmp_eq_u16_sdwa s[12:13], v3, s4 src0_sel:BYTE_0 src1_sel:DWORD
	s_mov_b64 s[4:5], -1
                                        ; implicit-def: $sgpr10
	s_and_saveexec_b64 s[8:9], s[12:13]
; %bb.3310:
	s_mov_b32 s10, 0x7f800001
	s_xor_b64 s[4:5], exec, -1
; %bb.3311:
	s_or_b64 exec, exec, s[8:9]
	s_and_b64 s[4:5], s[4:5], exec
	s_or_saveexec_b64 s[6:7], s[6:7]
	v_mov_b32_e32 v4, s10
	s_xor_b64 exec, exec, s[6:7]
	s_cbranch_execz .LBB38_1262
.LBB38_3312:
	v_mov_b32_e32 v4, 0
	v_cmp_ne_u16_sdwa s[8:9], v3, v4 src0_sel:BYTE_0 src1_sel:DWORD
	s_andn2_b64 s[4:5], s[4:5], exec
	s_and_b64 s[8:9], s[8:9], exec
	s_or_b64 s[4:5], s[4:5], s[8:9]
	s_or_b64 exec, exec, s[6:7]
	s_and_saveexec_b64 s[6:7], s[4:5]
	s_cbranch_execnz .LBB38_1263
	s_branch .LBB38_1264
.LBB38_3313:
	s_movk_i32 s4, 0x80
	v_cmp_eq_u16_e32 vcc, s4, v3
	s_mov_b64 s[4:5], -1
                                        ; implicit-def: $sgpr10
	s_and_saveexec_b64 s[8:9], vcc
; %bb.3314:
	s_mov_b32 s10, 0x7f800001
	s_xor_b64 s[4:5], exec, -1
; %bb.3315:
	s_or_b64 exec, exec, s[8:9]
	s_and_b64 s[4:5], s[4:5], exec
                                        ; implicit-def: $vgpr3
	s_or_saveexec_b64 s[6:7], s[6:7]
	v_mov_b32_e32 v2, s10
	s_xor_b64 exec, exec, s[6:7]
	s_cbranch_execz .LBB38_1266
.LBB38_3316:
	v_cmp_ne_u16_e32 vcc, 0, v3
	s_andn2_b64 s[4:5], s[4:5], exec
	s_and_b64 s[8:9], vcc, exec
	v_mov_b32_e32 v2, 0
	s_or_b64 s[4:5], s[4:5], s[8:9]
	s_or_b64 exec, exec, s[6:7]
	s_and_saveexec_b64 s[6:7], s[4:5]
	s_cbranch_execnz .LBB38_1267
	s_branch .LBB38_1268
.LBB38_3317:
	s_movk_i32 s4, 0x80
	v_cmp_eq_u16_e32 vcc, s4, v3
	s_mov_b64 s[4:5], -1
                                        ; implicit-def: $sgpr10
	s_and_saveexec_b64 s[8:9], vcc
; %bb.3318:
	s_mov_b32 s10, 0x7f800001
	s_xor_b64 s[4:5], exec, -1
; %bb.3319:
	s_or_b64 exec, exec, s[8:9]
	s_and_b64 s[4:5], s[4:5], exec
                                        ; implicit-def: $vgpr3
	s_or_saveexec_b64 s[6:7], s[6:7]
	v_mov_b32_e32 v4, s10
	s_xor_b64 exec, exec, s[6:7]
	s_cbranch_execz .LBB38_1270
.LBB38_3320:
	v_cmp_ne_u16_e32 vcc, 0, v3
	s_andn2_b64 s[4:5], s[4:5], exec
	s_and_b64 s[8:9], vcc, exec
	v_mov_b32_e32 v4, 0
	s_or_b64 s[4:5], s[4:5], s[8:9]
	s_or_b64 exec, exec, s[6:7]
	s_and_saveexec_b64 s[6:7], s[4:5]
	s_cbranch_execnz .LBB38_1271
	s_branch .LBB38_1272
.LBB38_3321:
	s_movk_i32 s4, 0x80
	v_cmp_eq_u16_sdwa s[12:13], v9, s4 src0_sel:BYTE_3 src1_sel:DWORD
	s_mov_b64 s[4:5], -1
                                        ; implicit-def: $sgpr10
	s_and_saveexec_b64 s[8:9], s[12:13]
; %bb.3322:
	s_mov_b32 s10, 0x7f800001
	s_xor_b64 s[4:5], exec, -1
; %bb.3323:
	s_or_b64 exec, exec, s[8:9]
	s_and_b64 s[4:5], s[4:5], exec
	s_or_saveexec_b64 s[6:7], s[6:7]
	v_mov_b32_e32 v2, s10
	s_xor_b64 exec, exec, s[6:7]
	s_cbranch_execz .LBB38_1274
.LBB38_3324:
	v_mov_b32_e32 v2, 0
	v_cmp_ne_u16_sdwa s[8:9], v9, v2 src0_sel:BYTE_3 src1_sel:DWORD
	s_andn2_b64 s[4:5], s[4:5], exec
	s_and_b64 s[8:9], s[8:9], exec
	s_or_b64 s[4:5], s[4:5], s[8:9]
	s_or_b64 exec, exec, s[6:7]
	s_and_saveexec_b64 s[6:7], s[4:5]
	s_cbranch_execnz .LBB38_1275
	s_branch .LBB38_1276
.LBB38_3325:
	s_movk_i32 s4, 0x80
	v_cmp_eq_u16_sdwa s[12:13], v5, s4 src0_sel:BYTE_3 src1_sel:DWORD
	s_mov_b64 s[4:5], -1
                                        ; implicit-def: $sgpr10
	s_and_saveexec_b64 s[8:9], s[12:13]
; %bb.3326:
	s_mov_b32 s10, 0x7f800001
	s_xor_b64 s[4:5], exec, -1
; %bb.3327:
	s_or_b64 exec, exec, s[8:9]
	s_and_b64 s[4:5], s[4:5], exec
	s_or_saveexec_b64 s[6:7], s[6:7]
	v_mov_b32_e32 v3, s10
	s_xor_b64 exec, exec, s[6:7]
	s_cbranch_execz .LBB38_1278
.LBB38_3328:
	v_mov_b32_e32 v3, 0
	v_cmp_ne_u16_sdwa s[8:9], v5, v3 src0_sel:BYTE_3 src1_sel:DWORD
	s_andn2_b64 s[4:5], s[4:5], exec
	s_and_b64 s[8:9], s[8:9], exec
	s_or_b64 s[4:5], s[4:5], s[8:9]
	s_or_b64 exec, exec, s[6:7]
	s_and_saveexec_b64 s[6:7], s[4:5]
	s_cbranch_execnz .LBB38_1279
	s_branch .LBB38_1280
.LBB38_3329:
	s_movk_i32 s4, 0x80
	v_cmp_eq_u16_sdwa s[12:13], v14, s4 src0_sel:BYTE_0 src1_sel:DWORD
	s_mov_b64 s[4:5], -1
                                        ; implicit-def: $sgpr10
	s_and_saveexec_b64 s[8:9], s[12:13]
; %bb.3330:
	s_mov_b32 s10, 0x7f800001
	s_xor_b64 s[4:5], exec, -1
; %bb.3331:
	s_or_b64 exec, exec, s[8:9]
	s_and_b64 s[4:5], s[4:5], exec
	s_or_saveexec_b64 s[6:7], s[6:7]
	v_mov_b32_e32 v20, s10
	s_xor_b64 exec, exec, s[6:7]
	s_cbranch_execz .LBB38_1282
.LBB38_3332:
	v_mov_b32_e32 v20, 0
	v_cmp_ne_u16_sdwa s[8:9], v14, v20 src0_sel:BYTE_0 src1_sel:DWORD
	s_andn2_b64 s[4:5], s[4:5], exec
	s_and_b64 s[8:9], s[8:9], exec
	s_or_b64 s[4:5], s[4:5], s[8:9]
	s_or_b64 exec, exec, s[6:7]
	s_and_saveexec_b64 s[6:7], s[4:5]
	s_cbranch_execnz .LBB38_1283
	s_branch .LBB38_1284
.LBB38_3333:
	s_movk_i32 s4, 0x80
	v_cmp_eq_u16_sdwa s[12:13], v10, s4 src0_sel:BYTE_0 src1_sel:DWORD
	s_mov_b64 s[4:5], -1
                                        ; implicit-def: $sgpr10
	s_and_saveexec_b64 s[8:9], s[12:13]
; %bb.3334:
	s_mov_b32 s10, 0x7f800001
	s_xor_b64 s[4:5], exec, -1
; %bb.3335:
	s_or_b64 exec, exec, s[8:9]
	s_and_b64 s[4:5], s[4:5], exec
	s_or_saveexec_b64 s[6:7], s[6:7]
	v_mov_b32_e32 v21, s10
	s_xor_b64 exec, exec, s[6:7]
	s_cbranch_execz .LBB38_1286
.LBB38_3336:
	v_mov_b32_e32 v21, 0
	v_cmp_ne_u16_sdwa s[8:9], v10, v21 src0_sel:BYTE_0 src1_sel:DWORD
	s_andn2_b64 s[4:5], s[4:5], exec
	s_and_b64 s[8:9], s[8:9], exec
	s_or_b64 s[4:5], s[4:5], s[8:9]
	s_or_b64 exec, exec, s[6:7]
	s_and_saveexec_b64 s[6:7], s[4:5]
	s_cbranch_execnz .LBB38_1287
	s_branch .LBB38_1288
.LBB38_3337:
	s_movk_i32 s4, 0x80
	v_cmp_eq_u16_sdwa s[12:13], v21, s4 src0_sel:BYTE_0 src1_sel:DWORD
	s_mov_b64 s[4:5], -1
                                        ; implicit-def: $sgpr10
	s_and_saveexec_b64 s[8:9], s[12:13]
; %bb.3338:
	s_mov_b32 s10, 0x7f800001
	s_xor_b64 s[4:5], exec, -1
; %bb.3339:
	s_or_b64 exec, exec, s[8:9]
	s_and_b64 s[4:5], s[4:5], exec
	s_or_saveexec_b64 s[6:7], s[6:7]
	v_mov_b32_e32 v20, s10
	s_xor_b64 exec, exec, s[6:7]
	s_cbranch_execz .LBB38_1290
.LBB38_3340:
	v_mov_b32_e32 v20, 0
	v_cmp_ne_u16_sdwa s[8:9], v21, v20 src0_sel:BYTE_0 src1_sel:DWORD
	s_andn2_b64 s[4:5], s[4:5], exec
	s_and_b64 s[8:9], s[8:9], exec
	s_or_b64 s[4:5], s[4:5], s[8:9]
	s_or_b64 exec, exec, s[6:7]
	s_and_saveexec_b64 s[6:7], s[4:5]
	s_cbranch_execnz .LBB38_1291
	s_branch .LBB38_1292
.LBB38_3341:
	s_movk_i32 s4, 0x80
	v_cmp_eq_u16_sdwa s[12:13], v21, s4 src0_sel:BYTE_0 src1_sel:DWORD
	s_mov_b64 s[4:5], -1
                                        ; implicit-def: $sgpr10
	s_and_saveexec_b64 s[8:9], s[12:13]
; %bb.3342:
	s_mov_b32 s10, 0x7f800001
	s_xor_b64 s[4:5], exec, -1
; %bb.3343:
	s_or_b64 exec, exec, s[8:9]
	s_and_b64 s[4:5], s[4:5], exec
	s_or_saveexec_b64 s[6:7], s[6:7]
	v_mov_b32_e32 v22, s10
	s_xor_b64 exec, exec, s[6:7]
	s_cbranch_execz .LBB38_1294
.LBB38_3344:
	v_mov_b32_e32 v22, 0
	v_cmp_ne_u16_sdwa s[8:9], v21, v22 src0_sel:BYTE_0 src1_sel:DWORD
	s_andn2_b64 s[4:5], s[4:5], exec
	s_and_b64 s[8:9], s[8:9], exec
	s_or_b64 s[4:5], s[4:5], s[8:9]
	s_or_b64 exec, exec, s[6:7]
	s_and_saveexec_b64 s[6:7], s[4:5]
	s_cbranch_execnz .LBB38_1295
	s_branch .LBB38_1296
.LBB38_3345:
	s_movk_i32 s4, 0x80
	v_cmp_eq_u16_e32 vcc, s4, v21
	s_mov_b64 s[4:5], -1
                                        ; implicit-def: $sgpr10
	s_and_saveexec_b64 s[8:9], vcc
; %bb.3346:
	s_mov_b32 s10, 0x7f800001
	s_xor_b64 s[4:5], exec, -1
; %bb.3347:
	s_or_b64 exec, exec, s[8:9]
	s_and_b64 s[4:5], s[4:5], exec
                                        ; implicit-def: $vgpr21
	s_or_saveexec_b64 s[6:7], s[6:7]
	v_mov_b32_e32 v20, s10
	s_xor_b64 exec, exec, s[6:7]
	s_cbranch_execz .LBB38_1298
.LBB38_3348:
	v_cmp_ne_u16_e32 vcc, 0, v21
	s_andn2_b64 s[4:5], s[4:5], exec
	s_and_b64 s[8:9], vcc, exec
	v_mov_b32_e32 v20, 0
	s_or_b64 s[4:5], s[4:5], s[8:9]
	s_or_b64 exec, exec, s[6:7]
	s_and_saveexec_b64 s[6:7], s[4:5]
	s_cbranch_execnz .LBB38_1299
	s_branch .LBB38_1300
.LBB38_3349:
	s_movk_i32 s4, 0x80
	v_cmp_eq_u16_e32 vcc, s4, v21
	s_mov_b64 s[4:5], -1
                                        ; implicit-def: $sgpr10
	s_and_saveexec_b64 s[8:9], vcc
; %bb.3350:
	s_mov_b32 s10, 0x7f800001
	s_xor_b64 s[4:5], exec, -1
; %bb.3351:
	s_or_b64 exec, exec, s[8:9]
	s_and_b64 s[4:5], s[4:5], exec
                                        ; implicit-def: $vgpr21
	s_or_saveexec_b64 s[6:7], s[6:7]
	v_mov_b32_e32 v22, s10
	s_xor_b64 exec, exec, s[6:7]
	s_cbranch_execz .LBB38_1302
.LBB38_3352:
	v_cmp_ne_u16_e32 vcc, 0, v21
	s_andn2_b64 s[4:5], s[4:5], exec
	s_and_b64 s[8:9], vcc, exec
	v_mov_b32_e32 v22, 0
	s_or_b64 s[4:5], s[4:5], s[8:9]
	s_or_b64 exec, exec, s[6:7]
	s_and_saveexec_b64 s[6:7], s[4:5]
	s_cbranch_execnz .LBB38_1303
	s_branch .LBB38_1304
.LBB38_3353:
	s_movk_i32 s4, 0x80
	v_cmp_eq_u16_sdwa s[12:13], v14, s4 src0_sel:BYTE_3 src1_sel:DWORD
	s_mov_b64 s[4:5], -1
                                        ; implicit-def: $sgpr10
	s_and_saveexec_b64 s[8:9], s[12:13]
; %bb.3354:
	s_mov_b32 s10, 0x7f800001
	s_xor_b64 s[4:5], exec, -1
; %bb.3355:
	s_or_b64 exec, exec, s[8:9]
	s_and_b64 s[4:5], s[4:5], exec
	s_or_saveexec_b64 s[6:7], s[6:7]
	v_mov_b32_e32 v20, s10
	s_xor_b64 exec, exec, s[6:7]
	s_cbranch_execz .LBB38_1306
.LBB38_3356:
	v_mov_b32_e32 v20, 0
	v_cmp_ne_u16_sdwa s[8:9], v14, v20 src0_sel:BYTE_3 src1_sel:DWORD
	s_andn2_b64 s[4:5], s[4:5], exec
	s_and_b64 s[8:9], s[8:9], exec
	s_or_b64 s[4:5], s[4:5], s[8:9]
	s_or_b64 exec, exec, s[6:7]
	s_and_saveexec_b64 s[6:7], s[4:5]
	s_cbranch_execnz .LBB38_1307
	s_branch .LBB38_1308
.LBB38_3357:
	s_movk_i32 s4, 0x80
	v_cmp_eq_u16_sdwa s[12:13], v10, s4 src0_sel:BYTE_3 src1_sel:DWORD
	s_mov_b64 s[4:5], -1
                                        ; implicit-def: $sgpr10
	s_and_saveexec_b64 s[8:9], s[12:13]
; %bb.3358:
	s_mov_b32 s10, 0x7f800001
	s_xor_b64 s[4:5], exec, -1
; %bb.3359:
	s_or_b64 exec, exec, s[8:9]
	s_and_b64 s[4:5], s[4:5], exec
	s_or_saveexec_b64 s[6:7], s[6:7]
	v_mov_b32_e32 v14, s10
	s_xor_b64 exec, exec, s[6:7]
	s_cbranch_execz .LBB38_1310
.LBB38_3360:
	v_mov_b32_e32 v14, 0
	v_cmp_ne_u16_sdwa s[8:9], v10, v14 src0_sel:BYTE_3 src1_sel:DWORD
	s_andn2_b64 s[4:5], s[4:5], exec
	s_and_b64 s[8:9], s[8:9], exec
	s_or_b64 s[4:5], s[4:5], s[8:9]
	s_or_b64 exec, exec, s[6:7]
	s_and_saveexec_b64 s[6:7], s[4:5]
	s_cbranch_execnz .LBB38_1311
	s_branch .LBB38_1312
.LBB38_3361:
	s_movk_i32 s4, 0x80
	v_cmp_eq_u16_sdwa s[12:13], v15, s4 src0_sel:BYTE_0 src1_sel:DWORD
	s_mov_b64 s[4:5], -1
                                        ; implicit-def: $sgpr10
	s_and_saveexec_b64 s[8:9], s[12:13]
; %bb.3362:
	s_mov_b32 s10, 0x7f800001
	s_xor_b64 s[4:5], exec, -1
; %bb.3363:
	s_or_b64 exec, exec, s[8:9]
	s_and_b64 s[4:5], s[4:5], exec
	s_or_saveexec_b64 s[6:7], s[6:7]
	v_mov_b32_e32 v10, s10
	s_xor_b64 exec, exec, s[6:7]
	s_cbranch_execz .LBB38_1314
.LBB38_3364:
	v_mov_b32_e32 v10, 0
	v_cmp_ne_u16_sdwa s[8:9], v15, v10 src0_sel:BYTE_0 src1_sel:DWORD
	s_andn2_b64 s[4:5], s[4:5], exec
	s_and_b64 s[8:9], s[8:9], exec
	s_or_b64 s[4:5], s[4:5], s[8:9]
	s_or_b64 exec, exec, s[6:7]
	s_and_saveexec_b64 s[6:7], s[4:5]
	s_cbranch_execnz .LBB38_1315
	s_branch .LBB38_1316
.LBB38_3365:
	s_movk_i32 s4, 0x80
	v_cmp_eq_u16_sdwa s[12:13], v11, s4 src0_sel:BYTE_0 src1_sel:DWORD
	s_mov_b64 s[4:5], -1
                                        ; implicit-def: $sgpr10
	s_and_saveexec_b64 s[8:9], s[12:13]
; %bb.3366:
	s_mov_b32 s10, 0x7f800001
	s_xor_b64 s[4:5], exec, -1
; %bb.3367:
	s_or_b64 exec, exec, s[8:9]
	s_and_b64 s[4:5], s[4:5], exec
	s_or_saveexec_b64 s[6:7], s[6:7]
	v_mov_b32_e32 v14, s10
	s_xor_b64 exec, exec, s[6:7]
	s_cbranch_execz .LBB38_1318
.LBB38_3368:
	v_mov_b32_e32 v14, 0
	v_cmp_ne_u16_sdwa s[8:9], v11, v14 src0_sel:BYTE_0 src1_sel:DWORD
	s_andn2_b64 s[4:5], s[4:5], exec
	s_and_b64 s[8:9], s[8:9], exec
	s_or_b64 s[4:5], s[4:5], s[8:9]
	s_or_b64 exec, exec, s[6:7]
	s_and_saveexec_b64 s[6:7], s[4:5]
	s_cbranch_execnz .LBB38_1319
	s_branch .LBB38_1320
.LBB38_3369:
	s_movk_i32 s4, 0x80
	v_cmp_eq_u16_sdwa s[12:13], v14, s4 src0_sel:BYTE_0 src1_sel:DWORD
	s_mov_b64 s[4:5], -1
                                        ; implicit-def: $sgpr10
	s_and_saveexec_b64 s[8:9], s[12:13]
; %bb.3370:
	s_mov_b32 s10, 0x7f800001
	s_xor_b64 s[4:5], exec, -1
; %bb.3371:
	s_or_b64 exec, exec, s[8:9]
	s_and_b64 s[4:5], s[4:5], exec
	s_or_saveexec_b64 s[6:7], s[6:7]
	v_mov_b32_e32 v10, s10
	s_xor_b64 exec, exec, s[6:7]
	s_cbranch_execz .LBB38_1322
.LBB38_3372:
	v_mov_b32_e32 v10, 0
	v_cmp_ne_u16_sdwa s[8:9], v14, v10 src0_sel:BYTE_0 src1_sel:DWORD
	s_andn2_b64 s[4:5], s[4:5], exec
	s_and_b64 s[8:9], s[8:9], exec
	s_or_b64 s[4:5], s[4:5], s[8:9]
	s_or_b64 exec, exec, s[6:7]
	s_and_saveexec_b64 s[6:7], s[4:5]
	s_cbranch_execnz .LBB38_1323
	s_branch .LBB38_1324
.LBB38_3373:
	s_movk_i32 s4, 0x80
	v_cmp_eq_u16_sdwa s[12:13], v14, s4 src0_sel:BYTE_0 src1_sel:DWORD
	s_mov_b64 s[4:5], -1
                                        ; implicit-def: $sgpr10
	s_and_saveexec_b64 s[8:9], s[12:13]
; %bb.3374:
	s_mov_b32 s10, 0x7f800001
	s_xor_b64 s[4:5], exec, -1
; %bb.3375:
	s_or_b64 exec, exec, s[8:9]
	s_and_b64 s[4:5], s[4:5], exec
	s_or_saveexec_b64 s[6:7], s[6:7]
	v_mov_b32_e32 v20, s10
	s_xor_b64 exec, exec, s[6:7]
	s_cbranch_execz .LBB38_1326
.LBB38_3376:
	v_mov_b32_e32 v20, 0
	v_cmp_ne_u16_sdwa s[8:9], v14, v20 src0_sel:BYTE_0 src1_sel:DWORD
	s_andn2_b64 s[4:5], s[4:5], exec
	s_and_b64 s[8:9], s[8:9], exec
	s_or_b64 s[4:5], s[4:5], s[8:9]
	s_or_b64 exec, exec, s[6:7]
	s_and_saveexec_b64 s[6:7], s[4:5]
	s_cbranch_execnz .LBB38_1327
	s_branch .LBB38_1328
.LBB38_3377:
	s_movk_i32 s4, 0x80
	v_cmp_eq_u16_e32 vcc, s4, v14
	s_mov_b64 s[4:5], -1
                                        ; implicit-def: $sgpr10
	s_and_saveexec_b64 s[8:9], vcc
; %bb.3378:
	s_mov_b32 s10, 0x7f800001
	s_xor_b64 s[4:5], exec, -1
; %bb.3379:
	s_or_b64 exec, exec, s[8:9]
	s_and_b64 s[4:5], s[4:5], exec
                                        ; implicit-def: $vgpr14
	s_or_saveexec_b64 s[6:7], s[6:7]
	v_mov_b32_e32 v10, s10
	s_xor_b64 exec, exec, s[6:7]
	s_cbranch_execz .LBB38_1330
.LBB38_3380:
	v_cmp_ne_u16_e32 vcc, 0, v14
	s_andn2_b64 s[4:5], s[4:5], exec
	s_and_b64 s[8:9], vcc, exec
	v_mov_b32_e32 v10, 0
	s_or_b64 s[4:5], s[4:5], s[8:9]
	s_or_b64 exec, exec, s[6:7]
	s_and_saveexec_b64 s[6:7], s[4:5]
	s_cbranch_execnz .LBB38_1331
	s_branch .LBB38_1332
.LBB38_3381:
	s_movk_i32 s4, 0x80
	v_cmp_eq_u16_e32 vcc, s4, v14
	s_mov_b64 s[4:5], -1
                                        ; implicit-def: $sgpr10
	s_and_saveexec_b64 s[8:9], vcc
; %bb.3382:
	s_mov_b32 s10, 0x7f800001
	s_xor_b64 s[4:5], exec, -1
; %bb.3383:
	s_or_b64 exec, exec, s[8:9]
	s_and_b64 s[4:5], s[4:5], exec
                                        ; implicit-def: $vgpr14
	s_or_saveexec_b64 s[6:7], s[6:7]
	v_mov_b32_e32 v20, s10
	s_xor_b64 exec, exec, s[6:7]
	s_cbranch_execz .LBB38_1334
.LBB38_3384:
	v_cmp_ne_u16_e32 vcc, 0, v14
	s_andn2_b64 s[4:5], s[4:5], exec
	s_and_b64 s[8:9], vcc, exec
	v_mov_b32_e32 v20, 0
	s_or_b64 s[4:5], s[4:5], s[8:9]
	s_or_b64 exec, exec, s[6:7]
	s_and_saveexec_b64 s[6:7], s[4:5]
	s_cbranch_execnz .LBB38_1335
	s_branch .LBB38_1336
.LBB38_3385:
	s_movk_i32 s4, 0x80
	v_cmp_eq_u16_sdwa s[12:13], v15, s4 src0_sel:BYTE_3 src1_sel:DWORD
	s_mov_b64 s[4:5], -1
                                        ; implicit-def: $sgpr10
	s_and_saveexec_b64 s[8:9], s[12:13]
; %bb.3386:
	s_mov_b32 s10, 0x7f800001
	s_xor_b64 s[4:5], exec, -1
; %bb.3387:
	s_or_b64 exec, exec, s[8:9]
	s_and_b64 s[4:5], s[4:5], exec
	s_or_saveexec_b64 s[6:7], s[6:7]
	v_mov_b32_e32 v10, s10
	s_xor_b64 exec, exec, s[6:7]
	s_cbranch_execz .LBB38_1338
.LBB38_3388:
	v_mov_b32_e32 v10, 0
	v_cmp_ne_u16_sdwa s[8:9], v15, v10 src0_sel:BYTE_3 src1_sel:DWORD
	s_andn2_b64 s[4:5], s[4:5], exec
	s_and_b64 s[8:9], s[8:9], exec
	s_or_b64 s[4:5], s[4:5], s[8:9]
	s_or_b64 exec, exec, s[6:7]
	s_and_saveexec_b64 s[6:7], s[4:5]
	s_cbranch_execnz .LBB38_1339
	s_branch .LBB38_1340
.LBB38_3389:
	s_movk_i32 s4, 0x80
	v_cmp_eq_u16_sdwa s[12:13], v11, s4 src0_sel:BYTE_3 src1_sel:DWORD
	s_mov_b64 s[4:5], -1
                                        ; implicit-def: $sgpr10
	s_and_saveexec_b64 s[8:9], s[12:13]
; %bb.3390:
	s_mov_b32 s10, 0x7f800001
	s_xor_b64 s[4:5], exec, -1
; %bb.3391:
	s_or_b64 exec, exec, s[8:9]
	s_and_b64 s[4:5], s[4:5], exec
	s_or_saveexec_b64 s[6:7], s[6:7]
	v_mov_b32_e32 v14, s10
	s_xor_b64 exec, exec, s[6:7]
	s_cbranch_execz .LBB38_1342
.LBB38_3392:
	v_mov_b32_e32 v14, 0
	v_cmp_ne_u16_sdwa s[8:9], v11, v14 src0_sel:BYTE_3 src1_sel:DWORD
	s_andn2_b64 s[4:5], s[4:5], exec
	s_and_b64 s[8:9], s[8:9], exec
	s_or_b64 s[4:5], s[4:5], s[8:9]
	s_or_b64 exec, exec, s[6:7]
	s_and_saveexec_b64 s[6:7], s[4:5]
	s_cbranch_execnz .LBB38_1343
	s_branch .LBB38_1344
.LBB38_3393:
	s_movk_i32 s4, 0x80
	v_cmp_eq_u16_sdwa s[12:13], v16, s4 src0_sel:BYTE_0 src1_sel:DWORD
	s_mov_b64 s[4:5], -1
                                        ; implicit-def: $sgpr10
	s_and_saveexec_b64 s[8:9], s[12:13]
; %bb.3394:
	s_mov_b32 s10, 0x7f800001
	s_xor_b64 s[4:5], exec, -1
; %bb.3395:
	s_or_b64 exec, exec, s[8:9]
	s_and_b64 s[4:5], s[4:5], exec
	s_or_saveexec_b64 s[6:7], s[6:7]
	v_mov_b32_e32 v10, s10
	s_xor_b64 exec, exec, s[6:7]
	s_cbranch_execz .LBB38_1346
.LBB38_3396:
	v_mov_b32_e32 v10, 0
	v_cmp_ne_u16_sdwa s[8:9], v16, v10 src0_sel:BYTE_0 src1_sel:DWORD
	s_andn2_b64 s[4:5], s[4:5], exec
	s_and_b64 s[8:9], s[8:9], exec
	s_or_b64 s[4:5], s[4:5], s[8:9]
	s_or_b64 exec, exec, s[6:7]
	s_and_saveexec_b64 s[6:7], s[4:5]
	s_cbranch_execnz .LBB38_1347
	s_branch .LBB38_1348
.LBB38_3397:
	s_movk_i32 s4, 0x80
	v_cmp_eq_u16_sdwa s[12:13], v12, s4 src0_sel:BYTE_0 src1_sel:DWORD
	s_mov_b64 s[4:5], -1
                                        ; implicit-def: $sgpr10
	s_and_saveexec_b64 s[8:9], s[12:13]
; %bb.3398:
	s_mov_b32 s10, 0x7f800001
	s_xor_b64 s[4:5], exec, -1
; %bb.3399:
	s_or_b64 exec, exec, s[8:9]
	s_and_b64 s[4:5], s[4:5], exec
	s_or_saveexec_b64 s[6:7], s[6:7]
	v_mov_b32_e32 v11, s10
	s_xor_b64 exec, exec, s[6:7]
	s_cbranch_execz .LBB38_1350
.LBB38_3400:
	v_mov_b32_e32 v11, 0
	v_cmp_ne_u16_sdwa s[8:9], v12, v11 src0_sel:BYTE_0 src1_sel:DWORD
	s_andn2_b64 s[4:5], s[4:5], exec
	s_and_b64 s[8:9], s[8:9], exec
	s_or_b64 s[4:5], s[4:5], s[8:9]
	s_or_b64 exec, exec, s[6:7]
	s_and_saveexec_b64 s[6:7], s[4:5]
	s_cbranch_execnz .LBB38_1351
	s_branch .LBB38_1352
.LBB38_3401:
	s_movk_i32 s4, 0x80
	v_cmp_eq_u16_sdwa s[12:13], v11, s4 src0_sel:BYTE_0 src1_sel:DWORD
	s_mov_b64 s[4:5], -1
                                        ; implicit-def: $sgpr10
	s_and_saveexec_b64 s[8:9], s[12:13]
; %bb.3402:
	s_mov_b32 s10, 0x7f800001
	s_xor_b64 s[4:5], exec, -1
; %bb.3403:
	s_or_b64 exec, exec, s[8:9]
	s_and_b64 s[4:5], s[4:5], exec
	s_or_saveexec_b64 s[6:7], s[6:7]
	v_mov_b32_e32 v10, s10
	s_xor_b64 exec, exec, s[6:7]
	s_cbranch_execz .LBB38_1354
.LBB38_3404:
	v_mov_b32_e32 v10, 0
	v_cmp_ne_u16_sdwa s[8:9], v11, v10 src0_sel:BYTE_0 src1_sel:DWORD
	s_andn2_b64 s[4:5], s[4:5], exec
	s_and_b64 s[8:9], s[8:9], exec
	s_or_b64 s[4:5], s[4:5], s[8:9]
	s_or_b64 exec, exec, s[6:7]
	s_and_saveexec_b64 s[6:7], s[4:5]
	s_cbranch_execnz .LBB38_1355
	s_branch .LBB38_1356
.LBB38_3405:
	s_movk_i32 s4, 0x80
	v_cmp_eq_u16_sdwa s[12:13], v11, s4 src0_sel:BYTE_0 src1_sel:DWORD
	s_mov_b64 s[4:5], -1
                                        ; implicit-def: $sgpr10
	s_and_saveexec_b64 s[8:9], s[12:13]
; %bb.3406:
	s_mov_b32 s10, 0x7f800001
	s_xor_b64 s[4:5], exec, -1
; %bb.3407:
	s_or_b64 exec, exec, s[8:9]
	s_and_b64 s[4:5], s[4:5], exec
	s_or_saveexec_b64 s[6:7], s[6:7]
	v_mov_b32_e32 v14, s10
	s_xor_b64 exec, exec, s[6:7]
	s_cbranch_execz .LBB38_1358
.LBB38_3408:
	v_mov_b32_e32 v14, 0
	v_cmp_ne_u16_sdwa s[8:9], v11, v14 src0_sel:BYTE_0 src1_sel:DWORD
	s_andn2_b64 s[4:5], s[4:5], exec
	s_and_b64 s[8:9], s[8:9], exec
	s_or_b64 s[4:5], s[4:5], s[8:9]
	s_or_b64 exec, exec, s[6:7]
	s_and_saveexec_b64 s[6:7], s[4:5]
	s_cbranch_execnz .LBB38_1359
	s_branch .LBB38_1360
.LBB38_3409:
	s_movk_i32 s4, 0x80
	v_cmp_eq_u16_e32 vcc, s4, v11
	s_mov_b64 s[4:5], -1
                                        ; implicit-def: $sgpr10
	s_and_saveexec_b64 s[8:9], vcc
; %bb.3410:
	s_mov_b32 s10, 0x7f800001
	s_xor_b64 s[4:5], exec, -1
; %bb.3411:
	s_or_b64 exec, exec, s[8:9]
	s_and_b64 s[4:5], s[4:5], exec
                                        ; implicit-def: $vgpr11
	s_or_saveexec_b64 s[6:7], s[6:7]
	v_mov_b32_e32 v10, s10
	s_xor_b64 exec, exec, s[6:7]
	s_cbranch_execz .LBB38_1362
.LBB38_3412:
	v_cmp_ne_u16_e32 vcc, 0, v11
	s_andn2_b64 s[4:5], s[4:5], exec
	s_and_b64 s[8:9], vcc, exec
	v_mov_b32_e32 v10, 0
	s_or_b64 s[4:5], s[4:5], s[8:9]
	s_or_b64 exec, exec, s[6:7]
	s_and_saveexec_b64 s[6:7], s[4:5]
	s_cbranch_execnz .LBB38_1363
	s_branch .LBB38_1364
.LBB38_3413:
	s_movk_i32 s4, 0x80
	v_cmp_eq_u16_e32 vcc, s4, v11
	s_mov_b64 s[4:5], -1
                                        ; implicit-def: $sgpr10
	s_and_saveexec_b64 s[8:9], vcc
; %bb.3414:
	s_mov_b32 s10, 0x7f800001
	s_xor_b64 s[4:5], exec, -1
; %bb.3415:
	s_or_b64 exec, exec, s[8:9]
	s_and_b64 s[4:5], s[4:5], exec
                                        ; implicit-def: $vgpr11
	s_or_saveexec_b64 s[6:7], s[6:7]
	v_mov_b32_e32 v14, s10
	s_xor_b64 exec, exec, s[6:7]
	s_cbranch_execz .LBB38_1366
.LBB38_3416:
	v_cmp_ne_u16_e32 vcc, 0, v11
	s_andn2_b64 s[4:5], s[4:5], exec
	s_and_b64 s[8:9], vcc, exec
	v_mov_b32_e32 v14, 0
	s_or_b64 s[4:5], s[4:5], s[8:9]
	s_or_b64 exec, exec, s[6:7]
	s_and_saveexec_b64 s[6:7], s[4:5]
	s_cbranch_execnz .LBB38_1367
	s_branch .LBB38_1368
.LBB38_3417:
	s_movk_i32 s4, 0x80
	v_cmp_eq_u16_sdwa s[12:13], v16, s4 src0_sel:BYTE_3 src1_sel:DWORD
	s_mov_b64 s[4:5], -1
                                        ; implicit-def: $sgpr10
	s_and_saveexec_b64 s[8:9], s[12:13]
; %bb.3418:
	s_mov_b32 s10, 0x7f800001
	s_xor_b64 s[4:5], exec, -1
; %bb.3419:
	s_or_b64 exec, exec, s[8:9]
	s_and_b64 s[4:5], s[4:5], exec
	s_or_saveexec_b64 s[6:7], s[6:7]
	v_mov_b32_e32 v10, s10
	s_xor_b64 exec, exec, s[6:7]
	s_cbranch_execz .LBB38_1370
.LBB38_3420:
	v_mov_b32_e32 v10, 0
	v_cmp_ne_u16_sdwa s[8:9], v16, v10 src0_sel:BYTE_3 src1_sel:DWORD
	s_andn2_b64 s[4:5], s[4:5], exec
	s_and_b64 s[8:9], s[8:9], exec
	s_or_b64 s[4:5], s[4:5], s[8:9]
	s_or_b64 exec, exec, s[6:7]
	s_and_saveexec_b64 s[6:7], s[4:5]
	s_cbranch_execnz .LBB38_1371
	s_branch .LBB38_1372
.LBB38_3421:
	s_movk_i32 s4, 0x80
	v_cmp_eq_u16_sdwa s[12:13], v12, s4 src0_sel:BYTE_3 src1_sel:DWORD
	s_mov_b64 s[4:5], -1
                                        ; implicit-def: $sgpr10
	s_and_saveexec_b64 s[8:9], s[12:13]
; %bb.3422:
	s_mov_b32 s10, 0x7f800001
	s_xor_b64 s[4:5], exec, -1
; %bb.3423:
	s_or_b64 exec, exec, s[8:9]
	s_and_b64 s[4:5], s[4:5], exec
	s_or_saveexec_b64 s[6:7], s[6:7]
	v_mov_b32_e32 v11, s10
	s_xor_b64 exec, exec, s[6:7]
	s_cbranch_execz .LBB38_1374
.LBB38_3424:
	v_mov_b32_e32 v11, 0
	v_cmp_ne_u16_sdwa s[8:9], v12, v11 src0_sel:BYTE_3 src1_sel:DWORD
	s_andn2_b64 s[4:5], s[4:5], exec
	s_and_b64 s[8:9], s[8:9], exec
	s_or_b64 s[4:5], s[4:5], s[8:9]
	s_or_b64 exec, exec, s[6:7]
	s_and_saveexec_b64 s[6:7], s[4:5]
	s_cbranch_execnz .LBB38_1375
	s_branch .LBB38_1376
.LBB38_3425:
	s_movk_i32 s4, 0x80
	v_cmp_eq_u16_sdwa s[12:13], v17, s4 src0_sel:BYTE_0 src1_sel:DWORD
	s_mov_b64 s[4:5], -1
                                        ; implicit-def: $sgpr10
	s_and_saveexec_b64 s[8:9], s[12:13]
; %bb.3426:
	s_mov_b32 s10, 0x7f800001
	s_xor_b64 s[4:5], exec, -1
; %bb.3427:
	s_or_b64 exec, exec, s[8:9]
	s_and_b64 s[4:5], s[4:5], exec
	s_or_saveexec_b64 s[6:7], s[6:7]
	v_mov_b32_e32 v10, s10
	s_xor_b64 exec, exec, s[6:7]
	s_cbranch_execz .LBB38_1378
.LBB38_3428:
	v_mov_b32_e32 v10, 0
	v_cmp_ne_u16_sdwa s[8:9], v17, v10 src0_sel:BYTE_0 src1_sel:DWORD
	s_andn2_b64 s[4:5], s[4:5], exec
	s_and_b64 s[8:9], s[8:9], exec
	s_or_b64 s[4:5], s[4:5], s[8:9]
	s_or_b64 exec, exec, s[6:7]
	s_and_saveexec_b64 s[6:7], s[4:5]
	s_cbranch_execnz .LBB38_1379
	s_branch .LBB38_1380
.LBB38_3429:
	s_movk_i32 s4, 0x80
	v_cmp_eq_u16_sdwa s[12:13], v13, s4 src0_sel:BYTE_0 src1_sel:DWORD
	s_mov_b64 s[4:5], -1
                                        ; implicit-def: $sgpr10
	s_and_saveexec_b64 s[8:9], s[12:13]
; %bb.3430:
	s_mov_b32 s10, 0x7f800001
	s_xor_b64 s[4:5], exec, -1
; %bb.3431:
	s_or_b64 exec, exec, s[8:9]
	s_and_b64 s[4:5], s[4:5], exec
	s_or_saveexec_b64 s[6:7], s[6:7]
	v_mov_b32_e32 v11, s10
	s_xor_b64 exec, exec, s[6:7]
	s_cbranch_execz .LBB38_1382
.LBB38_3432:
	v_mov_b32_e32 v11, 0
	v_cmp_ne_u16_sdwa s[8:9], v13, v11 src0_sel:BYTE_0 src1_sel:DWORD
	s_andn2_b64 s[4:5], s[4:5], exec
	s_and_b64 s[8:9], s[8:9], exec
	s_or_b64 s[4:5], s[4:5], s[8:9]
	s_or_b64 exec, exec, s[6:7]
	s_and_saveexec_b64 s[6:7], s[4:5]
	s_cbranch_execnz .LBB38_1383
	s_branch .LBB38_1384
.LBB38_3433:
	s_movk_i32 s4, 0x80
	v_cmp_eq_u16_sdwa s[12:13], v11, s4 src0_sel:BYTE_0 src1_sel:DWORD
	s_mov_b64 s[4:5], -1
                                        ; implicit-def: $sgpr10
	s_and_saveexec_b64 s[8:9], s[12:13]
; %bb.3434:
	s_mov_b32 s10, 0x7f800001
	s_xor_b64 s[4:5], exec, -1
; %bb.3435:
	s_or_b64 exec, exec, s[8:9]
	s_and_b64 s[4:5], s[4:5], exec
	s_or_saveexec_b64 s[6:7], s[6:7]
	v_mov_b32_e32 v10, s10
	s_xor_b64 exec, exec, s[6:7]
	s_cbranch_execz .LBB38_1386
.LBB38_3436:
	v_mov_b32_e32 v10, 0
	v_cmp_ne_u16_sdwa s[8:9], v11, v10 src0_sel:BYTE_0 src1_sel:DWORD
	s_andn2_b64 s[4:5], s[4:5], exec
	s_and_b64 s[8:9], s[8:9], exec
	s_or_b64 s[4:5], s[4:5], s[8:9]
	s_or_b64 exec, exec, s[6:7]
	s_and_saveexec_b64 s[6:7], s[4:5]
	s_cbranch_execnz .LBB38_1387
	s_branch .LBB38_1388
.LBB38_3437:
	s_movk_i32 s4, 0x80
	v_cmp_eq_u16_sdwa s[12:13], v11, s4 src0_sel:BYTE_0 src1_sel:DWORD
	s_mov_b64 s[4:5], -1
                                        ; implicit-def: $sgpr10
	s_and_saveexec_b64 s[8:9], s[12:13]
; %bb.3438:
	s_mov_b32 s10, 0x7f800001
	s_xor_b64 s[4:5], exec, -1
; %bb.3439:
	s_or_b64 exec, exec, s[8:9]
	s_and_b64 s[4:5], s[4:5], exec
	s_or_saveexec_b64 s[6:7], s[6:7]
	v_mov_b32_e32 v12, s10
	s_xor_b64 exec, exec, s[6:7]
	s_cbranch_execz .LBB38_1390
.LBB38_3440:
	v_mov_b32_e32 v12, 0
	v_cmp_ne_u16_sdwa s[8:9], v11, v12 src0_sel:BYTE_0 src1_sel:DWORD
	s_andn2_b64 s[4:5], s[4:5], exec
	s_and_b64 s[8:9], s[8:9], exec
	s_or_b64 s[4:5], s[4:5], s[8:9]
	s_or_b64 exec, exec, s[6:7]
	s_and_saveexec_b64 s[6:7], s[4:5]
	s_cbranch_execnz .LBB38_1391
	s_branch .LBB38_1392
.LBB38_3441:
	s_movk_i32 s4, 0x80
	v_cmp_eq_u16_e32 vcc, s4, v11
	s_mov_b64 s[4:5], -1
                                        ; implicit-def: $sgpr10
	s_and_saveexec_b64 s[8:9], vcc
; %bb.3442:
	s_mov_b32 s10, 0x7f800001
	s_xor_b64 s[4:5], exec, -1
; %bb.3443:
	s_or_b64 exec, exec, s[8:9]
	s_and_b64 s[4:5], s[4:5], exec
                                        ; implicit-def: $vgpr11
	s_or_saveexec_b64 s[6:7], s[6:7]
	v_mov_b32_e32 v10, s10
	s_xor_b64 exec, exec, s[6:7]
	s_cbranch_execz .LBB38_1394
.LBB38_3444:
	v_cmp_ne_u16_e32 vcc, 0, v11
	s_andn2_b64 s[4:5], s[4:5], exec
	s_and_b64 s[8:9], vcc, exec
	v_mov_b32_e32 v10, 0
	s_or_b64 s[4:5], s[4:5], s[8:9]
	s_or_b64 exec, exec, s[6:7]
	s_and_saveexec_b64 s[6:7], s[4:5]
	s_cbranch_execnz .LBB38_1395
	s_branch .LBB38_1396
.LBB38_3445:
	s_movk_i32 s4, 0x80
	v_cmp_eq_u16_e32 vcc, s4, v11
	s_mov_b64 s[4:5], -1
                                        ; implicit-def: $sgpr10
	s_and_saveexec_b64 s[8:9], vcc
; %bb.3446:
	s_mov_b32 s10, 0x7f800001
	s_xor_b64 s[4:5], exec, -1
; %bb.3447:
	s_or_b64 exec, exec, s[8:9]
	s_and_b64 s[4:5], s[4:5], exec
                                        ; implicit-def: $vgpr11
	s_or_saveexec_b64 s[6:7], s[6:7]
	v_mov_b32_e32 v12, s10
	s_xor_b64 exec, exec, s[6:7]
	s_cbranch_execz .LBB38_1398
.LBB38_3448:
	v_cmp_ne_u16_e32 vcc, 0, v11
	s_andn2_b64 s[4:5], s[4:5], exec
	s_and_b64 s[8:9], vcc, exec
	v_mov_b32_e32 v12, 0
	s_or_b64 s[4:5], s[4:5], s[8:9]
	s_or_b64 exec, exec, s[6:7]
	s_and_saveexec_b64 s[6:7], s[4:5]
	s_cbranch_execnz .LBB38_1399
	s_branch .LBB38_1400
.LBB38_3449:
	s_movk_i32 s4, 0x80
	v_cmp_eq_u16_sdwa s[12:13], v17, s4 src0_sel:BYTE_3 src1_sel:DWORD
	s_mov_b64 s[4:5], -1
                                        ; implicit-def: $sgpr10
	s_and_saveexec_b64 s[8:9], s[12:13]
; %bb.3450:
	s_mov_b32 s10, 0x7f800001
	s_xor_b64 s[4:5], exec, -1
; %bb.3451:
	s_or_b64 exec, exec, s[8:9]
	s_and_b64 s[4:5], s[4:5], exec
	s_or_saveexec_b64 s[6:7], s[6:7]
	v_mov_b32_e32 v10, s10
	s_xor_b64 exec, exec, s[6:7]
	s_cbranch_execz .LBB38_1402
.LBB38_3452:
	v_mov_b32_e32 v10, 0
	v_cmp_ne_u16_sdwa s[8:9], v17, v10 src0_sel:BYTE_3 src1_sel:DWORD
	s_andn2_b64 s[4:5], s[4:5], exec
	s_and_b64 s[8:9], s[8:9], exec
	s_or_b64 s[4:5], s[4:5], s[8:9]
	s_or_b64 exec, exec, s[6:7]
	s_and_saveexec_b64 s[6:7], s[4:5]
	s_cbranch_execnz .LBB38_1403
	s_branch .LBB38_1404
.LBB38_3453:
	s_movk_i32 s4, 0x80
	v_cmp_eq_u16_sdwa s[12:13], v13, s4 src0_sel:BYTE_3 src1_sel:DWORD
	s_mov_b64 s[4:5], -1
                                        ; implicit-def: $sgpr10
	s_and_saveexec_b64 s[8:9], s[12:13]
; %bb.3454:
	s_mov_b32 s10, 0x7f800001
	s_xor_b64 s[4:5], exec, -1
; %bb.3455:
	s_or_b64 exec, exec, s[8:9]
	s_and_b64 s[4:5], s[4:5], exec
	s_or_saveexec_b64 s[6:7], s[6:7]
	v_mov_b32_e32 v11, s10
	s_xor_b64 exec, exec, s[6:7]
	s_cbranch_execz .LBB38_1406
.LBB38_3456:
	v_mov_b32_e32 v11, 0
	v_cmp_ne_u16_sdwa s[8:9], v13, v11 src0_sel:BYTE_3 src1_sel:DWORD
	s_andn2_b64 s[4:5], s[4:5], exec
	s_and_b64 s[8:9], s[8:9], exec
	s_or_b64 s[4:5], s[4:5], s[8:9]
	s_or_b64 exec, exec, s[6:7]
	s_and_saveexec_b64 s[6:7], s[4:5]
	s_cbranch_execnz .LBB38_1407
	s_branch .LBB38_1408
.LBB38_3457:
	s_movk_i32 s4, 0x80
	v_cmp_eq_u16_sdwa s[12:13], v6, s4 src0_sel:BYTE_0 src1_sel:DWORD
	s_mov_b64 s[4:5], -1
                                        ; implicit-def: $sgpr10
	s_and_saveexec_b64 s[8:9], s[12:13]
; %bb.3458:
	s_mov_b32 s10, 0x7f800001
	s_xor_b64 s[4:5], exec, -1
; %bb.3459:
	s_or_b64 exec, exec, s[8:9]
	s_and_b64 s[4:5], s[4:5], exec
	s_or_saveexec_b64 s[6:7], s[6:7]
	v_mov_b32_e32 v10, s10
	s_xor_b64 exec, exec, s[6:7]
	s_cbranch_execz .LBB38_1410
.LBB38_3460:
	v_mov_b32_e32 v10, 0
	v_cmp_ne_u16_sdwa s[8:9], v6, v10 src0_sel:BYTE_0 src1_sel:DWORD
	s_andn2_b64 s[4:5], s[4:5], exec
	s_and_b64 s[8:9], s[8:9], exec
	s_or_b64 s[4:5], s[4:5], s[8:9]
	s_or_b64 exec, exec, s[6:7]
	s_and_saveexec_b64 s[6:7], s[4:5]
	s_cbranch_execnz .LBB38_1411
	s_branch .LBB38_1412
.LBB38_3461:
	s_movk_i32 s4, 0x80
	v_cmp_eq_u16_sdwa s[12:13], v2, s4 src0_sel:BYTE_0 src1_sel:DWORD
	s_mov_b64 s[4:5], -1
                                        ; implicit-def: $sgpr10
	s_and_saveexec_b64 s[8:9], s[12:13]
; %bb.3462:
	s_mov_b32 s10, 0x7f800001
	s_xor_b64 s[4:5], exec, -1
; %bb.3463:
	s_or_b64 exec, exec, s[8:9]
	s_and_b64 s[4:5], s[4:5], exec
	s_or_saveexec_b64 s[6:7], s[6:7]
	v_mov_b32_e32 v11, s10
	s_xor_b64 exec, exec, s[6:7]
	s_cbranch_execz .LBB38_1414
.LBB38_3464:
	v_mov_b32_e32 v11, 0
	v_cmp_ne_u16_sdwa s[8:9], v2, v11 src0_sel:BYTE_0 src1_sel:DWORD
	s_andn2_b64 s[4:5], s[4:5], exec
	s_and_b64 s[8:9], s[8:9], exec
	s_or_b64 s[4:5], s[4:5], s[8:9]
	s_or_b64 exec, exec, s[6:7]
	s_and_saveexec_b64 s[6:7], s[4:5]
	s_cbranch_execnz .LBB38_1415
	s_branch .LBB38_1416
.LBB38_3465:
	s_movk_i32 s4, 0x80
	v_cmp_eq_u16_sdwa s[12:13], v11, s4 src0_sel:BYTE_0 src1_sel:DWORD
	s_mov_b64 s[4:5], -1
                                        ; implicit-def: $sgpr10
	s_and_saveexec_b64 s[8:9], s[12:13]
; %bb.3466:
	s_mov_b32 s10, 0x7f800001
	s_xor_b64 s[4:5], exec, -1
; %bb.3467:
	s_or_b64 exec, exec, s[8:9]
	s_and_b64 s[4:5], s[4:5], exec
	s_or_saveexec_b64 s[6:7], s[6:7]
	v_mov_b32_e32 v10, s10
	s_xor_b64 exec, exec, s[6:7]
	s_cbranch_execz .LBB38_1418
.LBB38_3468:
	v_mov_b32_e32 v10, 0
	v_cmp_ne_u16_sdwa s[8:9], v11, v10 src0_sel:BYTE_0 src1_sel:DWORD
	s_andn2_b64 s[4:5], s[4:5], exec
	s_and_b64 s[8:9], s[8:9], exec
	s_or_b64 s[4:5], s[4:5], s[8:9]
	s_or_b64 exec, exec, s[6:7]
	s_and_saveexec_b64 s[6:7], s[4:5]
	s_cbranch_execnz .LBB38_1419
	s_branch .LBB38_1420
.LBB38_3469:
	s_movk_i32 s4, 0x80
	v_cmp_eq_u16_sdwa s[12:13], v11, s4 src0_sel:BYTE_0 src1_sel:DWORD
	s_mov_b64 s[4:5], -1
                                        ; implicit-def: $sgpr10
	s_and_saveexec_b64 s[8:9], s[12:13]
; %bb.3470:
	s_mov_b32 s10, 0x7f800001
	s_xor_b64 s[4:5], exec, -1
; %bb.3471:
	s_or_b64 exec, exec, s[8:9]
	s_and_b64 s[4:5], s[4:5], exec
	s_or_saveexec_b64 s[6:7], s[6:7]
	v_mov_b32_e32 v12, s10
	s_xor_b64 exec, exec, s[6:7]
	s_cbranch_execz .LBB38_1422
.LBB38_3472:
	v_mov_b32_e32 v12, 0
	v_cmp_ne_u16_sdwa s[8:9], v11, v12 src0_sel:BYTE_0 src1_sel:DWORD
	s_andn2_b64 s[4:5], s[4:5], exec
	s_and_b64 s[8:9], s[8:9], exec
	s_or_b64 s[4:5], s[4:5], s[8:9]
	s_or_b64 exec, exec, s[6:7]
	s_and_saveexec_b64 s[6:7], s[4:5]
	s_cbranch_execnz .LBB38_1423
	s_branch .LBB38_1424
.LBB38_3473:
	s_movk_i32 s4, 0x80
	v_cmp_eq_u16_e32 vcc, s4, v11
	s_mov_b64 s[4:5], -1
                                        ; implicit-def: $sgpr10
	s_and_saveexec_b64 s[8:9], vcc
; %bb.3474:
	s_mov_b32 s10, 0x7f800001
	s_xor_b64 s[4:5], exec, -1
; %bb.3475:
	s_or_b64 exec, exec, s[8:9]
	s_and_b64 s[4:5], s[4:5], exec
                                        ; implicit-def: $vgpr11
	s_or_saveexec_b64 s[6:7], s[6:7]
	v_mov_b32_e32 v10, s10
	s_xor_b64 exec, exec, s[6:7]
	s_cbranch_execz .LBB38_1426
.LBB38_3476:
	v_cmp_ne_u16_e32 vcc, 0, v11
	s_andn2_b64 s[4:5], s[4:5], exec
	s_and_b64 s[8:9], vcc, exec
	v_mov_b32_e32 v10, 0
	s_or_b64 s[4:5], s[4:5], s[8:9]
	s_or_b64 exec, exec, s[6:7]
	s_and_saveexec_b64 s[6:7], s[4:5]
	s_cbranch_execnz .LBB38_1427
	s_branch .LBB38_1428
.LBB38_3477:
	s_movk_i32 s4, 0x80
	v_cmp_eq_u16_e32 vcc, s4, v11
	s_mov_b64 s[4:5], -1
                                        ; implicit-def: $sgpr10
	s_and_saveexec_b64 s[8:9], vcc
; %bb.3478:
	s_mov_b32 s10, 0x7f800001
	s_xor_b64 s[4:5], exec, -1
; %bb.3479:
	s_or_b64 exec, exec, s[8:9]
	s_and_b64 s[4:5], s[4:5], exec
                                        ; implicit-def: $vgpr11
	s_or_saveexec_b64 s[6:7], s[6:7]
	v_mov_b32_e32 v12, s10
	s_xor_b64 exec, exec, s[6:7]
	s_cbranch_execz .LBB38_1430
.LBB38_3480:
	v_cmp_ne_u16_e32 vcc, 0, v11
	s_andn2_b64 s[4:5], s[4:5], exec
	s_and_b64 s[8:9], vcc, exec
	v_mov_b32_e32 v12, 0
	s_or_b64 s[4:5], s[4:5], s[8:9]
	s_or_b64 exec, exec, s[6:7]
	s_and_saveexec_b64 s[6:7], s[4:5]
	s_cbranch_execnz .LBB38_1431
	s_branch .LBB38_1432
.LBB38_3481:
	s_movk_i32 s4, 0x80
	v_cmp_eq_u16_sdwa s[12:13], v6, s4 src0_sel:BYTE_3 src1_sel:DWORD
	s_mov_b64 s[4:5], -1
                                        ; implicit-def: $sgpr10
	s_and_saveexec_b64 s[8:9], s[12:13]
; %bb.3482:
	s_mov_b32 s10, 0x7f800001
	s_xor_b64 s[4:5], exec, -1
; %bb.3483:
	s_or_b64 exec, exec, s[8:9]
	s_and_b64 s[4:5], s[4:5], exec
	s_or_saveexec_b64 s[6:7], s[6:7]
	v_mov_b32_e32 v10, s10
	s_xor_b64 exec, exec, s[6:7]
	s_cbranch_execz .LBB38_1434
.LBB38_3484:
	v_mov_b32_e32 v10, 0
	v_cmp_ne_u16_sdwa s[8:9], v6, v10 src0_sel:BYTE_3 src1_sel:DWORD
	s_andn2_b64 s[4:5], s[4:5], exec
	s_and_b64 s[8:9], s[8:9], exec
	s_or_b64 s[4:5], s[4:5], s[8:9]
	s_or_b64 exec, exec, s[6:7]
	s_and_saveexec_b64 s[6:7], s[4:5]
	s_cbranch_execnz .LBB38_1435
	s_branch .LBB38_1436
.LBB38_3485:
	s_movk_i32 s4, 0x80
	v_cmp_eq_u16_sdwa s[12:13], v2, s4 src0_sel:BYTE_3 src1_sel:DWORD
	s_mov_b64 s[4:5], -1
                                        ; implicit-def: $sgpr10
	s_and_saveexec_b64 s[8:9], s[12:13]
; %bb.3486:
	s_mov_b32 s10, 0x7f800001
	s_xor_b64 s[4:5], exec, -1
; %bb.3487:
	s_or_b64 exec, exec, s[8:9]
	s_and_b64 s[4:5], s[4:5], exec
	s_or_saveexec_b64 s[6:7], s[6:7]
	v_mov_b32_e32 v6, s10
	s_xor_b64 exec, exec, s[6:7]
	s_cbranch_execz .LBB38_1438
.LBB38_3488:
	v_mov_b32_e32 v6, 0
	v_cmp_ne_u16_sdwa s[8:9], v2, v6 src0_sel:BYTE_3 src1_sel:DWORD
	s_andn2_b64 s[4:5], s[4:5], exec
	s_and_b64 s[8:9], s[8:9], exec
	s_or_b64 s[4:5], s[4:5], s[8:9]
	s_or_b64 exec, exec, s[6:7]
	s_and_saveexec_b64 s[6:7], s[4:5]
	s_cbranch_execnz .LBB38_1439
	s_branch .LBB38_1440
.LBB38_3489:
	s_movk_i32 s4, 0x80
	v_cmp_eq_u16_sdwa s[12:13], v7, s4 src0_sel:BYTE_0 src1_sel:DWORD
	s_mov_b64 s[4:5], -1
                                        ; implicit-def: $sgpr10
	s_and_saveexec_b64 s[8:9], s[12:13]
; %bb.3490:
	s_mov_b32 s10, 0x7f800001
	s_xor_b64 s[4:5], exec, -1
; %bb.3491:
	s_or_b64 exec, exec, s[8:9]
	s_and_b64 s[4:5], s[4:5], exec
	s_or_saveexec_b64 s[6:7], s[6:7]
	v_mov_b32_e32 v2, s10
	s_xor_b64 exec, exec, s[6:7]
	s_cbranch_execz .LBB38_1442
.LBB38_3492:
	v_mov_b32_e32 v2, 0
	v_cmp_ne_u16_sdwa s[8:9], v7, v2 src0_sel:BYTE_0 src1_sel:DWORD
	s_andn2_b64 s[4:5], s[4:5], exec
	s_and_b64 s[8:9], s[8:9], exec
	s_or_b64 s[4:5], s[4:5], s[8:9]
	s_or_b64 exec, exec, s[6:7]
	s_and_saveexec_b64 s[6:7], s[4:5]
	s_cbranch_execnz .LBB38_1443
	s_branch .LBB38_1444
.LBB38_3493:
	s_movk_i32 s4, 0x80
	v_cmp_eq_u16_sdwa s[12:13], v3, s4 src0_sel:BYTE_0 src1_sel:DWORD
	s_mov_b64 s[4:5], -1
                                        ; implicit-def: $sgpr10
	s_and_saveexec_b64 s[8:9], s[12:13]
; %bb.3494:
	s_mov_b32 s10, 0x7f800001
	s_xor_b64 s[4:5], exec, -1
; %bb.3495:
	s_or_b64 exec, exec, s[8:9]
	s_and_b64 s[4:5], s[4:5], exec
	s_or_saveexec_b64 s[6:7], s[6:7]
	v_mov_b32_e32 v6, s10
	s_xor_b64 exec, exec, s[6:7]
	s_cbranch_execz .LBB38_1446
.LBB38_3496:
	v_mov_b32_e32 v6, 0
	v_cmp_ne_u16_sdwa s[8:9], v3, v6 src0_sel:BYTE_0 src1_sel:DWORD
	s_andn2_b64 s[4:5], s[4:5], exec
	s_and_b64 s[8:9], s[8:9], exec
	s_or_b64 s[4:5], s[4:5], s[8:9]
	s_or_b64 exec, exec, s[6:7]
	s_and_saveexec_b64 s[6:7], s[4:5]
	s_cbranch_execnz .LBB38_1447
	s_branch .LBB38_1448
.LBB38_3497:
	s_movk_i32 s4, 0x80
	v_cmp_eq_u16_sdwa s[12:13], v6, s4 src0_sel:BYTE_0 src1_sel:DWORD
	s_mov_b64 s[4:5], -1
                                        ; implicit-def: $sgpr10
	s_and_saveexec_b64 s[8:9], s[12:13]
; %bb.3498:
	s_mov_b32 s10, 0x7f800001
	s_xor_b64 s[4:5], exec, -1
; %bb.3499:
	s_or_b64 exec, exec, s[8:9]
	s_and_b64 s[4:5], s[4:5], exec
	s_or_saveexec_b64 s[6:7], s[6:7]
	v_mov_b32_e32 v2, s10
	s_xor_b64 exec, exec, s[6:7]
	s_cbranch_execz .LBB38_1450
.LBB38_3500:
	v_mov_b32_e32 v2, 0
	v_cmp_ne_u16_sdwa s[8:9], v6, v2 src0_sel:BYTE_0 src1_sel:DWORD
	s_andn2_b64 s[4:5], s[4:5], exec
	s_and_b64 s[8:9], s[8:9], exec
	s_or_b64 s[4:5], s[4:5], s[8:9]
	s_or_b64 exec, exec, s[6:7]
	s_and_saveexec_b64 s[6:7], s[4:5]
	s_cbranch_execnz .LBB38_1451
	s_branch .LBB38_1452
.LBB38_3501:
	s_movk_i32 s4, 0x80
	v_cmp_eq_u16_sdwa s[12:13], v6, s4 src0_sel:BYTE_0 src1_sel:DWORD
	s_mov_b64 s[4:5], -1
                                        ; implicit-def: $sgpr10
	s_and_saveexec_b64 s[8:9], s[12:13]
; %bb.3502:
	s_mov_b32 s10, 0x7f800001
	s_xor_b64 s[4:5], exec, -1
; %bb.3503:
	s_or_b64 exec, exec, s[8:9]
	s_and_b64 s[4:5], s[4:5], exec
	s_or_saveexec_b64 s[6:7], s[6:7]
	v_mov_b32_e32 v10, s10
	s_xor_b64 exec, exec, s[6:7]
	s_cbranch_execz .LBB38_1454
.LBB38_3504:
	v_mov_b32_e32 v10, 0
	v_cmp_ne_u16_sdwa s[8:9], v6, v10 src0_sel:BYTE_0 src1_sel:DWORD
	s_andn2_b64 s[4:5], s[4:5], exec
	s_and_b64 s[8:9], s[8:9], exec
	s_or_b64 s[4:5], s[4:5], s[8:9]
	s_or_b64 exec, exec, s[6:7]
	s_and_saveexec_b64 s[6:7], s[4:5]
	s_cbranch_execnz .LBB38_1455
	s_branch .LBB38_1456
.LBB38_3505:
	s_movk_i32 s4, 0x80
	v_cmp_eq_u16_e32 vcc, s4, v6
	s_mov_b64 s[4:5], -1
                                        ; implicit-def: $sgpr10
	s_and_saveexec_b64 s[8:9], vcc
; %bb.3506:
	s_mov_b32 s10, 0x7f800001
	s_xor_b64 s[4:5], exec, -1
; %bb.3507:
	s_or_b64 exec, exec, s[8:9]
	s_and_b64 s[4:5], s[4:5], exec
                                        ; implicit-def: $vgpr6
	s_or_saveexec_b64 s[6:7], s[6:7]
	v_mov_b32_e32 v2, s10
	s_xor_b64 exec, exec, s[6:7]
	s_cbranch_execz .LBB38_1458
.LBB38_3508:
	v_cmp_ne_u16_e32 vcc, 0, v6
	s_andn2_b64 s[4:5], s[4:5], exec
	s_and_b64 s[8:9], vcc, exec
	v_mov_b32_e32 v2, 0
	s_or_b64 s[4:5], s[4:5], s[8:9]
	s_or_b64 exec, exec, s[6:7]
	s_and_saveexec_b64 s[6:7], s[4:5]
	s_cbranch_execnz .LBB38_1459
	s_branch .LBB38_1460
.LBB38_3509:
	s_movk_i32 s4, 0x80
	v_cmp_eq_u16_e32 vcc, s4, v6
	s_mov_b64 s[4:5], -1
                                        ; implicit-def: $sgpr10
	s_and_saveexec_b64 s[8:9], vcc
; %bb.3510:
	s_mov_b32 s10, 0x7f800001
	s_xor_b64 s[4:5], exec, -1
; %bb.3511:
	s_or_b64 exec, exec, s[8:9]
	s_and_b64 s[4:5], s[4:5], exec
                                        ; implicit-def: $vgpr6
	s_or_saveexec_b64 s[6:7], s[6:7]
	v_mov_b32_e32 v10, s10
	s_xor_b64 exec, exec, s[6:7]
	s_cbranch_execz .LBB38_1462
.LBB38_3512:
	v_cmp_ne_u16_e32 vcc, 0, v6
	s_andn2_b64 s[4:5], s[4:5], exec
	s_and_b64 s[8:9], vcc, exec
	v_mov_b32_e32 v10, 0
	s_or_b64 s[4:5], s[4:5], s[8:9]
	s_or_b64 exec, exec, s[6:7]
	s_and_saveexec_b64 s[6:7], s[4:5]
	s_cbranch_execnz .LBB38_1463
	s_branch .LBB38_1464
.LBB38_3513:
	s_movk_i32 s4, 0x80
	v_cmp_eq_u16_sdwa s[12:13], v7, s4 src0_sel:BYTE_3 src1_sel:DWORD
	s_mov_b64 s[4:5], -1
                                        ; implicit-def: $sgpr10
	s_and_saveexec_b64 s[8:9], s[12:13]
; %bb.3514:
	s_mov_b32 s10, 0x7f800001
	s_xor_b64 s[4:5], exec, -1
; %bb.3515:
	s_or_b64 exec, exec, s[8:9]
	s_and_b64 s[4:5], s[4:5], exec
	s_or_saveexec_b64 s[6:7], s[6:7]
	v_mov_b32_e32 v2, s10
	s_xor_b64 exec, exec, s[6:7]
	s_cbranch_execz .LBB38_1466
.LBB38_3516:
	v_mov_b32_e32 v2, 0
	v_cmp_ne_u16_sdwa s[8:9], v7, v2 src0_sel:BYTE_3 src1_sel:DWORD
	s_andn2_b64 s[4:5], s[4:5], exec
	s_and_b64 s[8:9], s[8:9], exec
	s_or_b64 s[4:5], s[4:5], s[8:9]
	s_or_b64 exec, exec, s[6:7]
	s_and_saveexec_b64 s[6:7], s[4:5]
	s_cbranch_execnz .LBB38_1467
	s_branch .LBB38_1468
.LBB38_3517:
	s_movk_i32 s4, 0x80
	v_cmp_eq_u16_sdwa s[12:13], v3, s4 src0_sel:BYTE_3 src1_sel:DWORD
	s_mov_b64 s[4:5], -1
                                        ; implicit-def: $sgpr10
	s_and_saveexec_b64 s[8:9], s[12:13]
; %bb.3518:
	s_mov_b32 s10, 0x7f800001
	s_xor_b64 s[4:5], exec, -1
; %bb.3519:
	s_or_b64 exec, exec, s[8:9]
	s_and_b64 s[4:5], s[4:5], exec
	s_or_saveexec_b64 s[6:7], s[6:7]
	v_mov_b32_e32 v6, s10
	s_xor_b64 exec, exec, s[6:7]
	s_cbranch_execz .LBB38_1470
.LBB38_3520:
	v_mov_b32_e32 v6, 0
	v_cmp_ne_u16_sdwa s[8:9], v3, v6 src0_sel:BYTE_3 src1_sel:DWORD
	s_andn2_b64 s[4:5], s[4:5], exec
	s_and_b64 s[8:9], s[8:9], exec
	s_or_b64 s[4:5], s[4:5], s[8:9]
	s_or_b64 exec, exec, s[6:7]
	s_and_saveexec_b64 s[6:7], s[4:5]
	s_cbranch_execnz .LBB38_1471
	s_branch .LBB38_1472
.LBB38_3521:
	s_movk_i32 s4, 0x80
	v_cmp_eq_u16_sdwa s[12:13], v8, s4 src0_sel:BYTE_0 src1_sel:DWORD
	s_mov_b64 s[4:5], -1
                                        ; implicit-def: $sgpr10
	s_and_saveexec_b64 s[8:9], s[12:13]
; %bb.3522:
	s_mov_b32 s10, 0x7f800001
	s_xor_b64 s[4:5], exec, -1
; %bb.3523:
	s_or_b64 exec, exec, s[8:9]
	s_and_b64 s[4:5], s[4:5], exec
	s_or_saveexec_b64 s[6:7], s[6:7]
	v_mov_b32_e32 v2, s10
	s_xor_b64 exec, exec, s[6:7]
	s_cbranch_execz .LBB38_1474
.LBB38_3524:
	v_mov_b32_e32 v2, 0
	v_cmp_ne_u16_sdwa s[8:9], v8, v2 src0_sel:BYTE_0 src1_sel:DWORD
	s_andn2_b64 s[4:5], s[4:5], exec
	s_and_b64 s[8:9], s[8:9], exec
	s_or_b64 s[4:5], s[4:5], s[8:9]
	s_or_b64 exec, exec, s[6:7]
	s_and_saveexec_b64 s[6:7], s[4:5]
	s_cbranch_execnz .LBB38_1475
	s_branch .LBB38_1476
.LBB38_3525:
	s_movk_i32 s4, 0x80
	v_cmp_eq_u16_sdwa s[12:13], v4, s4 src0_sel:BYTE_0 src1_sel:DWORD
	s_mov_b64 s[4:5], -1
                                        ; implicit-def: $sgpr10
	s_and_saveexec_b64 s[8:9], s[12:13]
; %bb.3526:
	s_mov_b32 s10, 0x7f800001
	s_xor_b64 s[4:5], exec, -1
; %bb.3527:
	s_or_b64 exec, exec, s[8:9]
	s_and_b64 s[4:5], s[4:5], exec
	s_or_saveexec_b64 s[6:7], s[6:7]
	v_mov_b32_e32 v3, s10
	s_xor_b64 exec, exec, s[6:7]
	s_cbranch_execz .LBB38_1478
.LBB38_3528:
	v_mov_b32_e32 v3, 0
	v_cmp_ne_u16_sdwa s[8:9], v4, v3 src0_sel:BYTE_0 src1_sel:DWORD
	s_andn2_b64 s[4:5], s[4:5], exec
	s_and_b64 s[8:9], s[8:9], exec
	s_or_b64 s[4:5], s[4:5], s[8:9]
	s_or_b64 exec, exec, s[6:7]
	s_and_saveexec_b64 s[6:7], s[4:5]
	s_cbranch_execnz .LBB38_1479
	s_branch .LBB38_1480
.LBB38_3529:
	s_movk_i32 s4, 0x80
	v_cmp_eq_u16_sdwa s[12:13], v3, s4 src0_sel:BYTE_0 src1_sel:DWORD
	s_mov_b64 s[4:5], -1
                                        ; implicit-def: $sgpr10
	s_and_saveexec_b64 s[8:9], s[12:13]
; %bb.3530:
	s_mov_b32 s10, 0x7f800001
	s_xor_b64 s[4:5], exec, -1
; %bb.3531:
	s_or_b64 exec, exec, s[8:9]
	s_and_b64 s[4:5], s[4:5], exec
	s_or_saveexec_b64 s[6:7], s[6:7]
	v_mov_b32_e32 v2, s10
	s_xor_b64 exec, exec, s[6:7]
	s_cbranch_execz .LBB38_1482
.LBB38_3532:
	v_mov_b32_e32 v2, 0
	v_cmp_ne_u16_sdwa s[8:9], v3, v2 src0_sel:BYTE_0 src1_sel:DWORD
	s_andn2_b64 s[4:5], s[4:5], exec
	s_and_b64 s[8:9], s[8:9], exec
	s_or_b64 s[4:5], s[4:5], s[8:9]
	s_or_b64 exec, exec, s[6:7]
	s_and_saveexec_b64 s[6:7], s[4:5]
	s_cbranch_execnz .LBB38_1483
	s_branch .LBB38_1484
.LBB38_3533:
	s_movk_i32 s4, 0x80
	v_cmp_eq_u16_sdwa s[12:13], v3, s4 src0_sel:BYTE_0 src1_sel:DWORD
	s_mov_b64 s[4:5], -1
                                        ; implicit-def: $sgpr10
	s_and_saveexec_b64 s[8:9], s[12:13]
; %bb.3534:
	s_mov_b32 s10, 0x7f800001
	s_xor_b64 s[4:5], exec, -1
; %bb.3535:
	s_or_b64 exec, exec, s[8:9]
	s_and_b64 s[4:5], s[4:5], exec
	s_or_saveexec_b64 s[6:7], s[6:7]
	v_mov_b32_e32 v6, s10
	s_xor_b64 exec, exec, s[6:7]
	s_cbranch_execz .LBB38_1486
.LBB38_3536:
	v_mov_b32_e32 v6, 0
	v_cmp_ne_u16_sdwa s[8:9], v3, v6 src0_sel:BYTE_0 src1_sel:DWORD
	s_andn2_b64 s[4:5], s[4:5], exec
	s_and_b64 s[8:9], s[8:9], exec
	s_or_b64 s[4:5], s[4:5], s[8:9]
	s_or_b64 exec, exec, s[6:7]
	s_and_saveexec_b64 s[6:7], s[4:5]
	s_cbranch_execnz .LBB38_1487
	s_branch .LBB38_1488
.LBB38_3537:
	s_movk_i32 s4, 0x80
	v_cmp_eq_u16_e32 vcc, s4, v3
	s_mov_b64 s[4:5], -1
                                        ; implicit-def: $sgpr10
	s_and_saveexec_b64 s[8:9], vcc
; %bb.3538:
	s_mov_b32 s10, 0x7f800001
	s_xor_b64 s[4:5], exec, -1
; %bb.3539:
	s_or_b64 exec, exec, s[8:9]
	s_and_b64 s[4:5], s[4:5], exec
                                        ; implicit-def: $vgpr3
	s_or_saveexec_b64 s[6:7], s[6:7]
	v_mov_b32_e32 v2, s10
	s_xor_b64 exec, exec, s[6:7]
	s_cbranch_execz .LBB38_1490
.LBB38_3540:
	v_cmp_ne_u16_e32 vcc, 0, v3
	s_andn2_b64 s[4:5], s[4:5], exec
	s_and_b64 s[8:9], vcc, exec
	v_mov_b32_e32 v2, 0
	s_or_b64 s[4:5], s[4:5], s[8:9]
	s_or_b64 exec, exec, s[6:7]
	s_and_saveexec_b64 s[6:7], s[4:5]
	s_cbranch_execnz .LBB38_1491
	s_branch .LBB38_1492
.LBB38_3541:
	s_movk_i32 s4, 0x80
	v_cmp_eq_u16_e32 vcc, s4, v3
	s_mov_b64 s[4:5], -1
                                        ; implicit-def: $sgpr10
	s_and_saveexec_b64 s[8:9], vcc
; %bb.3542:
	s_mov_b32 s10, 0x7f800001
	s_xor_b64 s[4:5], exec, -1
; %bb.3543:
	s_or_b64 exec, exec, s[8:9]
	s_and_b64 s[4:5], s[4:5], exec
                                        ; implicit-def: $vgpr3
	s_or_saveexec_b64 s[6:7], s[6:7]
	v_mov_b32_e32 v6, s10
	s_xor_b64 exec, exec, s[6:7]
	s_cbranch_execz .LBB38_1494
.LBB38_3544:
	v_cmp_ne_u16_e32 vcc, 0, v3
	s_andn2_b64 s[4:5], s[4:5], exec
	s_and_b64 s[8:9], vcc, exec
	v_mov_b32_e32 v6, 0
	s_or_b64 s[4:5], s[4:5], s[8:9]
	s_or_b64 exec, exec, s[6:7]
	s_and_saveexec_b64 s[6:7], s[4:5]
	s_cbranch_execnz .LBB38_1495
	s_branch .LBB38_1496
.LBB38_3545:
	s_movk_i32 s4, 0x80
	v_cmp_eq_u16_sdwa s[12:13], v8, s4 src0_sel:BYTE_3 src1_sel:DWORD
	s_mov_b64 s[4:5], -1
                                        ; implicit-def: $sgpr10
	s_and_saveexec_b64 s[8:9], s[12:13]
; %bb.3546:
	s_mov_b32 s10, 0x7f800001
	s_xor_b64 s[4:5], exec, -1
; %bb.3547:
	s_or_b64 exec, exec, s[8:9]
	s_and_b64 s[4:5], s[4:5], exec
	s_or_saveexec_b64 s[6:7], s[6:7]
	v_mov_b32_e32 v2, s10
	s_xor_b64 exec, exec, s[6:7]
	s_cbranch_execz .LBB38_1498
.LBB38_3548:
	v_mov_b32_e32 v2, 0
	v_cmp_ne_u16_sdwa s[8:9], v8, v2 src0_sel:BYTE_3 src1_sel:DWORD
	s_andn2_b64 s[4:5], s[4:5], exec
	s_and_b64 s[8:9], s[8:9], exec
	s_or_b64 s[4:5], s[4:5], s[8:9]
	s_or_b64 exec, exec, s[6:7]
	s_and_saveexec_b64 s[6:7], s[4:5]
	s_cbranch_execnz .LBB38_1499
	s_branch .LBB38_1500
.LBB38_3549:
	s_movk_i32 s4, 0x80
	v_cmp_eq_u16_sdwa s[12:13], v4, s4 src0_sel:BYTE_3 src1_sel:DWORD
	s_mov_b64 s[4:5], -1
                                        ; implicit-def: $sgpr10
	s_and_saveexec_b64 s[8:9], s[12:13]
; %bb.3550:
	s_mov_b32 s10, 0x7f800001
	s_xor_b64 s[4:5], exec, -1
; %bb.3551:
	s_or_b64 exec, exec, s[8:9]
	s_and_b64 s[4:5], s[4:5], exec
	s_or_saveexec_b64 s[6:7], s[6:7]
	v_mov_b32_e32 v3, s10
	s_xor_b64 exec, exec, s[6:7]
	s_cbranch_execz .LBB38_1502
.LBB38_3552:
	v_mov_b32_e32 v3, 0
	v_cmp_ne_u16_sdwa s[8:9], v4, v3 src0_sel:BYTE_3 src1_sel:DWORD
	s_andn2_b64 s[4:5], s[4:5], exec
	s_and_b64 s[8:9], s[8:9], exec
	s_or_b64 s[4:5], s[4:5], s[8:9]
	s_or_b64 exec, exec, s[6:7]
	s_and_saveexec_b64 s[6:7], s[4:5]
	s_cbranch_execnz .LBB38_1503
	s_branch .LBB38_1504
.LBB38_3553:
	s_movk_i32 s4, 0x80
	v_cmp_eq_u16_sdwa s[12:13], v9, s4 src0_sel:BYTE_0 src1_sel:DWORD
	s_mov_b64 s[4:5], -1
                                        ; implicit-def: $sgpr10
	s_and_saveexec_b64 s[8:9], s[12:13]
; %bb.3554:
	s_mov_b32 s10, 0x7f800001
	s_xor_b64 s[4:5], exec, -1
; %bb.3555:
	s_or_b64 exec, exec, s[8:9]
	s_and_b64 s[4:5], s[4:5], exec
	s_or_saveexec_b64 s[6:7], s[6:7]
	v_mov_b32_e32 v2, s10
	s_xor_b64 exec, exec, s[6:7]
	s_cbranch_execz .LBB38_1506
.LBB38_3556:
	v_mov_b32_e32 v2, 0
	v_cmp_ne_u16_sdwa s[8:9], v9, v2 src0_sel:BYTE_0 src1_sel:DWORD
	s_andn2_b64 s[4:5], s[4:5], exec
	s_and_b64 s[8:9], s[8:9], exec
	s_or_b64 s[4:5], s[4:5], s[8:9]
	s_or_b64 exec, exec, s[6:7]
	s_and_saveexec_b64 s[6:7], s[4:5]
	s_cbranch_execnz .LBB38_1507
	s_branch .LBB38_1508
.LBB38_3557:
	s_movk_i32 s4, 0x80
	v_cmp_eq_u16_sdwa s[12:13], v5, s4 src0_sel:BYTE_0 src1_sel:DWORD
	s_mov_b64 s[4:5], -1
                                        ; implicit-def: $sgpr10
	s_and_saveexec_b64 s[8:9], s[12:13]
; %bb.3558:
	s_mov_b32 s10, 0x7f800001
	s_xor_b64 s[4:5], exec, -1
; %bb.3559:
	s_or_b64 exec, exec, s[8:9]
	s_and_b64 s[4:5], s[4:5], exec
	s_or_saveexec_b64 s[6:7], s[6:7]
	v_mov_b32_e32 v3, s10
	s_xor_b64 exec, exec, s[6:7]
	s_cbranch_execz .LBB38_1510
.LBB38_3560:
	v_mov_b32_e32 v3, 0
	v_cmp_ne_u16_sdwa s[8:9], v5, v3 src0_sel:BYTE_0 src1_sel:DWORD
	s_andn2_b64 s[4:5], s[4:5], exec
	s_and_b64 s[8:9], s[8:9], exec
	s_or_b64 s[4:5], s[4:5], s[8:9]
	s_or_b64 exec, exec, s[6:7]
	s_and_saveexec_b64 s[6:7], s[4:5]
	s_cbranch_execnz .LBB38_1511
	s_branch .LBB38_1512
.LBB38_3561:
	s_movk_i32 s4, 0x80
	v_cmp_eq_u16_sdwa s[12:13], v3, s4 src0_sel:BYTE_0 src1_sel:DWORD
	s_mov_b64 s[4:5], -1
                                        ; implicit-def: $sgpr10
	s_and_saveexec_b64 s[8:9], s[12:13]
; %bb.3562:
	s_mov_b32 s10, 0x7f800001
	s_xor_b64 s[4:5], exec, -1
; %bb.3563:
	s_or_b64 exec, exec, s[8:9]
	s_and_b64 s[4:5], s[4:5], exec
	s_or_saveexec_b64 s[6:7], s[6:7]
	v_mov_b32_e32 v2, s10
	s_xor_b64 exec, exec, s[6:7]
	s_cbranch_execz .LBB38_1514
.LBB38_3564:
	v_mov_b32_e32 v2, 0
	v_cmp_ne_u16_sdwa s[8:9], v3, v2 src0_sel:BYTE_0 src1_sel:DWORD
	s_andn2_b64 s[4:5], s[4:5], exec
	s_and_b64 s[8:9], s[8:9], exec
	s_or_b64 s[4:5], s[4:5], s[8:9]
	s_or_b64 exec, exec, s[6:7]
	s_and_saveexec_b64 s[6:7], s[4:5]
	s_cbranch_execnz .LBB38_1515
	s_branch .LBB38_1516
.LBB38_3565:
	s_movk_i32 s4, 0x80
	v_cmp_eq_u16_sdwa s[12:13], v3, s4 src0_sel:BYTE_0 src1_sel:DWORD
	s_mov_b64 s[4:5], -1
                                        ; implicit-def: $sgpr10
	s_and_saveexec_b64 s[8:9], s[12:13]
; %bb.3566:
	s_mov_b32 s10, 0x7f800001
	s_xor_b64 s[4:5], exec, -1
; %bb.3567:
	s_or_b64 exec, exec, s[8:9]
	s_and_b64 s[4:5], s[4:5], exec
	s_or_saveexec_b64 s[6:7], s[6:7]
	v_mov_b32_e32 v4, s10
	s_xor_b64 exec, exec, s[6:7]
	s_cbranch_execz .LBB38_1518
.LBB38_3568:
	v_mov_b32_e32 v4, 0
	v_cmp_ne_u16_sdwa s[8:9], v3, v4 src0_sel:BYTE_0 src1_sel:DWORD
	s_andn2_b64 s[4:5], s[4:5], exec
	s_and_b64 s[8:9], s[8:9], exec
	s_or_b64 s[4:5], s[4:5], s[8:9]
	s_or_b64 exec, exec, s[6:7]
	s_and_saveexec_b64 s[6:7], s[4:5]
	s_cbranch_execnz .LBB38_1519
	s_branch .LBB38_1520
.LBB38_3569:
	s_movk_i32 s4, 0x80
	v_cmp_eq_u16_e32 vcc, s4, v3
	s_mov_b64 s[4:5], -1
                                        ; implicit-def: $sgpr10
	s_and_saveexec_b64 s[8:9], vcc
; %bb.3570:
	s_mov_b32 s10, 0x7f800001
	s_xor_b64 s[4:5], exec, -1
; %bb.3571:
	s_or_b64 exec, exec, s[8:9]
	s_and_b64 s[4:5], s[4:5], exec
                                        ; implicit-def: $vgpr3
	s_or_saveexec_b64 s[6:7], s[6:7]
	v_mov_b32_e32 v2, s10
	s_xor_b64 exec, exec, s[6:7]
	s_cbranch_execz .LBB38_1522
.LBB38_3572:
	v_cmp_ne_u16_e32 vcc, 0, v3
	s_andn2_b64 s[4:5], s[4:5], exec
	s_and_b64 s[8:9], vcc, exec
	v_mov_b32_e32 v2, 0
	s_or_b64 s[4:5], s[4:5], s[8:9]
	s_or_b64 exec, exec, s[6:7]
	s_and_saveexec_b64 s[6:7], s[4:5]
	s_cbranch_execnz .LBB38_1523
	s_branch .LBB38_1524
.LBB38_3573:
	s_movk_i32 s4, 0x80
	v_cmp_eq_u16_e32 vcc, s4, v3
	s_mov_b64 s[4:5], -1
                                        ; implicit-def: $sgpr10
	s_and_saveexec_b64 s[8:9], vcc
; %bb.3574:
	s_mov_b32 s10, 0x7f800001
	s_xor_b64 s[4:5], exec, -1
; %bb.3575:
	s_or_b64 exec, exec, s[8:9]
	s_and_b64 s[4:5], s[4:5], exec
                                        ; implicit-def: $vgpr3
	s_or_saveexec_b64 s[6:7], s[6:7]
	v_mov_b32_e32 v4, s10
	s_xor_b64 exec, exec, s[6:7]
	s_cbranch_execz .LBB38_1526
.LBB38_3576:
	v_cmp_ne_u16_e32 vcc, 0, v3
	s_andn2_b64 s[4:5], s[4:5], exec
	s_and_b64 s[8:9], vcc, exec
	v_mov_b32_e32 v4, 0
	s_or_b64 s[4:5], s[4:5], s[8:9]
	s_or_b64 exec, exec, s[6:7]
	s_and_saveexec_b64 s[6:7], s[4:5]
	s_cbranch_execnz .LBB38_1527
	s_branch .LBB38_1528
.LBB38_3577:
	s_movk_i32 s4, 0x80
	v_cmp_eq_u16_sdwa s[12:13], v9, s4 src0_sel:BYTE_3 src1_sel:DWORD
	s_mov_b64 s[4:5], -1
                                        ; implicit-def: $sgpr10
	s_and_saveexec_b64 s[8:9], s[12:13]
; %bb.3578:
	s_mov_b32 s10, 0x7f800001
	s_xor_b64 s[4:5], exec, -1
; %bb.3579:
	s_or_b64 exec, exec, s[8:9]
	s_and_b64 s[4:5], s[4:5], exec
	s_or_saveexec_b64 s[6:7], s[6:7]
	v_mov_b32_e32 v2, s10
	s_xor_b64 exec, exec, s[6:7]
	s_cbranch_execz .LBB38_1530
.LBB38_3580:
	v_mov_b32_e32 v2, 0
	v_cmp_ne_u16_sdwa s[8:9], v9, v2 src0_sel:BYTE_3 src1_sel:DWORD
	s_andn2_b64 s[4:5], s[4:5], exec
	s_and_b64 s[8:9], s[8:9], exec
	s_or_b64 s[4:5], s[4:5], s[8:9]
	s_or_b64 exec, exec, s[6:7]
	s_and_saveexec_b64 s[6:7], s[4:5]
	s_cbranch_execnz .LBB38_1531
	s_branch .LBB38_1532
.LBB38_3581:
	s_movk_i32 s4, 0x80
	v_cmp_eq_u16_sdwa s[12:13], v5, s4 src0_sel:BYTE_3 src1_sel:DWORD
	s_mov_b64 s[4:5], -1
                                        ; implicit-def: $sgpr10
	s_and_saveexec_b64 s[8:9], s[12:13]
; %bb.3582:
	s_mov_b32 s10, 0x7f800001
	s_xor_b64 s[4:5], exec, -1
; %bb.3583:
	s_or_b64 exec, exec, s[8:9]
	s_and_b64 s[4:5], s[4:5], exec
	s_or_saveexec_b64 s[6:7], s[6:7]
	v_mov_b32_e32 v3, s10
	s_xor_b64 exec, exec, s[6:7]
	s_cbranch_execz .LBB38_1534
.LBB38_3584:
	v_mov_b32_e32 v3, 0
	v_cmp_ne_u16_sdwa s[8:9], v5, v3 src0_sel:BYTE_3 src1_sel:DWORD
	s_andn2_b64 s[4:5], s[4:5], exec
	s_and_b64 s[8:9], s[8:9], exec
	s_or_b64 s[4:5], s[4:5], s[8:9]
	s_or_b64 exec, exec, s[6:7]
	s_and_saveexec_b64 s[6:7], s[4:5]
	s_cbranch_execnz .LBB38_1535
	s_branch .LBB38_1536
.LBB38_3585:
	s_movk_i32 s4, 0x80
	v_cmp_eq_u16_sdwa s[12:13], v14, s4 src0_sel:BYTE_0 src1_sel:DWORD
	s_mov_b64 s[4:5], -1
                                        ; implicit-def: $sgpr10
	s_and_saveexec_b64 s[8:9], s[12:13]
; %bb.3586:
	s_mov_b32 s10, 0x7f800001
	s_xor_b64 s[4:5], exec, -1
; %bb.3587:
	s_or_b64 exec, exec, s[8:9]
	s_and_b64 s[4:5], s[4:5], exec
	s_or_saveexec_b64 s[6:7], s[6:7]
	v_mov_b32_e32 v20, s10
	s_xor_b64 exec, exec, s[6:7]
	s_cbranch_execz .LBB38_1538
.LBB38_3588:
	v_mov_b32_e32 v20, 0
	v_cmp_ne_u16_sdwa s[8:9], v14, v20 src0_sel:BYTE_0 src1_sel:DWORD
	s_andn2_b64 s[4:5], s[4:5], exec
	s_and_b64 s[8:9], s[8:9], exec
	s_or_b64 s[4:5], s[4:5], s[8:9]
	s_or_b64 exec, exec, s[6:7]
	s_and_saveexec_b64 s[6:7], s[4:5]
	s_cbranch_execnz .LBB38_1539
	s_branch .LBB38_1540
.LBB38_3589:
	s_movk_i32 s4, 0x80
	v_cmp_eq_u16_sdwa s[12:13], v10, s4 src0_sel:BYTE_0 src1_sel:DWORD
	s_mov_b64 s[4:5], -1
                                        ; implicit-def: $sgpr10
	s_and_saveexec_b64 s[8:9], s[12:13]
; %bb.3590:
	s_mov_b32 s10, 0x7f800001
	s_xor_b64 s[4:5], exec, -1
; %bb.3591:
	s_or_b64 exec, exec, s[8:9]
	s_and_b64 s[4:5], s[4:5], exec
	s_or_saveexec_b64 s[6:7], s[6:7]
	v_mov_b32_e32 v21, s10
	s_xor_b64 exec, exec, s[6:7]
	s_cbranch_execz .LBB38_1542
.LBB38_3592:
	v_mov_b32_e32 v21, 0
	v_cmp_ne_u16_sdwa s[8:9], v10, v21 src0_sel:BYTE_0 src1_sel:DWORD
	s_andn2_b64 s[4:5], s[4:5], exec
	s_and_b64 s[8:9], s[8:9], exec
	s_or_b64 s[4:5], s[4:5], s[8:9]
	s_or_b64 exec, exec, s[6:7]
	s_and_saveexec_b64 s[6:7], s[4:5]
	s_cbranch_execnz .LBB38_1543
	s_branch .LBB38_1544
.LBB38_3593:
	s_movk_i32 s4, 0x80
	v_cmp_eq_u16_sdwa s[12:13], v21, s4 src0_sel:BYTE_0 src1_sel:DWORD
	s_mov_b64 s[4:5], -1
                                        ; implicit-def: $sgpr10
	s_and_saveexec_b64 s[8:9], s[12:13]
; %bb.3594:
	s_mov_b32 s10, 0x7f800001
	s_xor_b64 s[4:5], exec, -1
; %bb.3595:
	s_or_b64 exec, exec, s[8:9]
	s_and_b64 s[4:5], s[4:5], exec
	s_or_saveexec_b64 s[6:7], s[6:7]
	v_mov_b32_e32 v20, s10
	s_xor_b64 exec, exec, s[6:7]
	s_cbranch_execz .LBB38_1546
.LBB38_3596:
	v_mov_b32_e32 v20, 0
	v_cmp_ne_u16_sdwa s[8:9], v21, v20 src0_sel:BYTE_0 src1_sel:DWORD
	s_andn2_b64 s[4:5], s[4:5], exec
	s_and_b64 s[8:9], s[8:9], exec
	s_or_b64 s[4:5], s[4:5], s[8:9]
	s_or_b64 exec, exec, s[6:7]
	s_and_saveexec_b64 s[6:7], s[4:5]
	s_cbranch_execnz .LBB38_1547
	s_branch .LBB38_1548
.LBB38_3597:
	s_movk_i32 s4, 0x80
	v_cmp_eq_u16_sdwa s[12:13], v21, s4 src0_sel:BYTE_0 src1_sel:DWORD
	s_mov_b64 s[4:5], -1
                                        ; implicit-def: $sgpr10
	s_and_saveexec_b64 s[8:9], s[12:13]
; %bb.3598:
	s_mov_b32 s10, 0x7f800001
	s_xor_b64 s[4:5], exec, -1
; %bb.3599:
	s_or_b64 exec, exec, s[8:9]
	s_and_b64 s[4:5], s[4:5], exec
	s_or_saveexec_b64 s[6:7], s[6:7]
	v_mov_b32_e32 v22, s10
	s_xor_b64 exec, exec, s[6:7]
	s_cbranch_execz .LBB38_1550
.LBB38_3600:
	v_mov_b32_e32 v22, 0
	v_cmp_ne_u16_sdwa s[8:9], v21, v22 src0_sel:BYTE_0 src1_sel:DWORD
	s_andn2_b64 s[4:5], s[4:5], exec
	s_and_b64 s[8:9], s[8:9], exec
	s_or_b64 s[4:5], s[4:5], s[8:9]
	s_or_b64 exec, exec, s[6:7]
	s_and_saveexec_b64 s[6:7], s[4:5]
	s_cbranch_execnz .LBB38_1551
	s_branch .LBB38_1552
.LBB38_3601:
	s_movk_i32 s4, 0x80
	v_cmp_eq_u16_e32 vcc, s4, v21
	s_mov_b64 s[4:5], -1
                                        ; implicit-def: $sgpr10
	s_and_saveexec_b64 s[8:9], vcc
; %bb.3602:
	s_mov_b32 s10, 0x7f800001
	s_xor_b64 s[4:5], exec, -1
; %bb.3603:
	s_or_b64 exec, exec, s[8:9]
	s_and_b64 s[4:5], s[4:5], exec
                                        ; implicit-def: $vgpr21
	s_or_saveexec_b64 s[6:7], s[6:7]
	v_mov_b32_e32 v20, s10
	s_xor_b64 exec, exec, s[6:7]
	s_cbranch_execz .LBB38_1554
.LBB38_3604:
	v_cmp_ne_u16_e32 vcc, 0, v21
	s_andn2_b64 s[4:5], s[4:5], exec
	s_and_b64 s[8:9], vcc, exec
	v_mov_b32_e32 v20, 0
	s_or_b64 s[4:5], s[4:5], s[8:9]
	s_or_b64 exec, exec, s[6:7]
	s_and_saveexec_b64 s[6:7], s[4:5]
	s_cbranch_execnz .LBB38_1555
	s_branch .LBB38_1556
.LBB38_3605:
	s_movk_i32 s4, 0x80
	v_cmp_eq_u16_e32 vcc, s4, v21
	s_mov_b64 s[4:5], -1
                                        ; implicit-def: $sgpr10
	s_and_saveexec_b64 s[8:9], vcc
; %bb.3606:
	s_mov_b32 s10, 0x7f800001
	s_xor_b64 s[4:5], exec, -1
; %bb.3607:
	s_or_b64 exec, exec, s[8:9]
	s_and_b64 s[4:5], s[4:5], exec
                                        ; implicit-def: $vgpr21
	s_or_saveexec_b64 s[6:7], s[6:7]
	v_mov_b32_e32 v22, s10
	s_xor_b64 exec, exec, s[6:7]
	s_cbranch_execz .LBB38_1558
.LBB38_3608:
	v_cmp_ne_u16_e32 vcc, 0, v21
	s_andn2_b64 s[4:5], s[4:5], exec
	s_and_b64 s[8:9], vcc, exec
	v_mov_b32_e32 v22, 0
	s_or_b64 s[4:5], s[4:5], s[8:9]
	s_or_b64 exec, exec, s[6:7]
	s_and_saveexec_b64 s[6:7], s[4:5]
	s_cbranch_execnz .LBB38_1559
	s_branch .LBB38_1560
.LBB38_3609:
	s_movk_i32 s4, 0x80
	v_cmp_eq_u16_sdwa s[12:13], v14, s4 src0_sel:BYTE_3 src1_sel:DWORD
	s_mov_b64 s[4:5], -1
                                        ; implicit-def: $sgpr10
	s_and_saveexec_b64 s[8:9], s[12:13]
; %bb.3610:
	s_mov_b32 s10, 0x7f800001
	s_xor_b64 s[4:5], exec, -1
; %bb.3611:
	s_or_b64 exec, exec, s[8:9]
	s_and_b64 s[4:5], s[4:5], exec
	s_or_saveexec_b64 s[6:7], s[6:7]
	v_mov_b32_e32 v20, s10
	s_xor_b64 exec, exec, s[6:7]
	s_cbranch_execz .LBB38_1562
.LBB38_3612:
	v_mov_b32_e32 v20, 0
	v_cmp_ne_u16_sdwa s[8:9], v14, v20 src0_sel:BYTE_3 src1_sel:DWORD
	s_andn2_b64 s[4:5], s[4:5], exec
	s_and_b64 s[8:9], s[8:9], exec
	s_or_b64 s[4:5], s[4:5], s[8:9]
	s_or_b64 exec, exec, s[6:7]
	s_and_saveexec_b64 s[6:7], s[4:5]
	s_cbranch_execnz .LBB38_1563
	s_branch .LBB38_1564
.LBB38_3613:
	s_movk_i32 s4, 0x80
	v_cmp_eq_u16_sdwa s[12:13], v10, s4 src0_sel:BYTE_3 src1_sel:DWORD
	s_mov_b64 s[4:5], -1
                                        ; implicit-def: $sgpr10
	s_and_saveexec_b64 s[8:9], s[12:13]
; %bb.3614:
	s_mov_b32 s10, 0x7f800001
	s_xor_b64 s[4:5], exec, -1
; %bb.3615:
	s_or_b64 exec, exec, s[8:9]
	s_and_b64 s[4:5], s[4:5], exec
	s_or_saveexec_b64 s[6:7], s[6:7]
	v_mov_b32_e32 v14, s10
	s_xor_b64 exec, exec, s[6:7]
	s_cbranch_execz .LBB38_1566
.LBB38_3616:
	v_mov_b32_e32 v14, 0
	v_cmp_ne_u16_sdwa s[8:9], v10, v14 src0_sel:BYTE_3 src1_sel:DWORD
	s_andn2_b64 s[4:5], s[4:5], exec
	s_and_b64 s[8:9], s[8:9], exec
	s_or_b64 s[4:5], s[4:5], s[8:9]
	s_or_b64 exec, exec, s[6:7]
	s_and_saveexec_b64 s[6:7], s[4:5]
	s_cbranch_execnz .LBB38_1567
	s_branch .LBB38_1568
.LBB38_3617:
	s_movk_i32 s4, 0x80
	v_cmp_eq_u16_sdwa s[12:13], v15, s4 src0_sel:BYTE_0 src1_sel:DWORD
	s_mov_b64 s[4:5], -1
                                        ; implicit-def: $sgpr10
	s_and_saveexec_b64 s[8:9], s[12:13]
; %bb.3618:
	s_mov_b32 s10, 0x7f800001
	s_xor_b64 s[4:5], exec, -1
; %bb.3619:
	s_or_b64 exec, exec, s[8:9]
	s_and_b64 s[4:5], s[4:5], exec
	s_or_saveexec_b64 s[6:7], s[6:7]
	v_mov_b32_e32 v10, s10
	s_xor_b64 exec, exec, s[6:7]
	s_cbranch_execz .LBB38_1570
.LBB38_3620:
	v_mov_b32_e32 v10, 0
	v_cmp_ne_u16_sdwa s[8:9], v15, v10 src0_sel:BYTE_0 src1_sel:DWORD
	s_andn2_b64 s[4:5], s[4:5], exec
	s_and_b64 s[8:9], s[8:9], exec
	s_or_b64 s[4:5], s[4:5], s[8:9]
	s_or_b64 exec, exec, s[6:7]
	s_and_saveexec_b64 s[6:7], s[4:5]
	s_cbranch_execnz .LBB38_1571
	s_branch .LBB38_1572
.LBB38_3621:
	s_movk_i32 s4, 0x80
	v_cmp_eq_u16_sdwa s[12:13], v11, s4 src0_sel:BYTE_0 src1_sel:DWORD
	s_mov_b64 s[4:5], -1
                                        ; implicit-def: $sgpr10
	s_and_saveexec_b64 s[8:9], s[12:13]
; %bb.3622:
	s_mov_b32 s10, 0x7f800001
	s_xor_b64 s[4:5], exec, -1
; %bb.3623:
	s_or_b64 exec, exec, s[8:9]
	s_and_b64 s[4:5], s[4:5], exec
	s_or_saveexec_b64 s[6:7], s[6:7]
	v_mov_b32_e32 v14, s10
	s_xor_b64 exec, exec, s[6:7]
	s_cbranch_execz .LBB38_1574
.LBB38_3624:
	v_mov_b32_e32 v14, 0
	v_cmp_ne_u16_sdwa s[8:9], v11, v14 src0_sel:BYTE_0 src1_sel:DWORD
	s_andn2_b64 s[4:5], s[4:5], exec
	s_and_b64 s[8:9], s[8:9], exec
	s_or_b64 s[4:5], s[4:5], s[8:9]
	s_or_b64 exec, exec, s[6:7]
	s_and_saveexec_b64 s[6:7], s[4:5]
	s_cbranch_execnz .LBB38_1575
	s_branch .LBB38_1576
.LBB38_3625:
	s_movk_i32 s4, 0x80
	v_cmp_eq_u16_sdwa s[12:13], v14, s4 src0_sel:BYTE_0 src1_sel:DWORD
	s_mov_b64 s[4:5], -1
                                        ; implicit-def: $sgpr10
	s_and_saveexec_b64 s[8:9], s[12:13]
; %bb.3626:
	s_mov_b32 s10, 0x7f800001
	s_xor_b64 s[4:5], exec, -1
; %bb.3627:
	s_or_b64 exec, exec, s[8:9]
	s_and_b64 s[4:5], s[4:5], exec
	s_or_saveexec_b64 s[6:7], s[6:7]
	v_mov_b32_e32 v10, s10
	s_xor_b64 exec, exec, s[6:7]
	s_cbranch_execz .LBB38_1578
.LBB38_3628:
	v_mov_b32_e32 v10, 0
	v_cmp_ne_u16_sdwa s[8:9], v14, v10 src0_sel:BYTE_0 src1_sel:DWORD
	s_andn2_b64 s[4:5], s[4:5], exec
	s_and_b64 s[8:9], s[8:9], exec
	s_or_b64 s[4:5], s[4:5], s[8:9]
	s_or_b64 exec, exec, s[6:7]
	s_and_saveexec_b64 s[6:7], s[4:5]
	s_cbranch_execnz .LBB38_1579
	s_branch .LBB38_1580
.LBB38_3629:
	s_movk_i32 s4, 0x80
	v_cmp_eq_u16_sdwa s[12:13], v14, s4 src0_sel:BYTE_0 src1_sel:DWORD
	s_mov_b64 s[4:5], -1
                                        ; implicit-def: $sgpr10
	s_and_saveexec_b64 s[8:9], s[12:13]
; %bb.3630:
	s_mov_b32 s10, 0x7f800001
	s_xor_b64 s[4:5], exec, -1
; %bb.3631:
	s_or_b64 exec, exec, s[8:9]
	s_and_b64 s[4:5], s[4:5], exec
	s_or_saveexec_b64 s[6:7], s[6:7]
	v_mov_b32_e32 v20, s10
	s_xor_b64 exec, exec, s[6:7]
	s_cbranch_execz .LBB38_1582
.LBB38_3632:
	v_mov_b32_e32 v20, 0
	v_cmp_ne_u16_sdwa s[8:9], v14, v20 src0_sel:BYTE_0 src1_sel:DWORD
	s_andn2_b64 s[4:5], s[4:5], exec
	s_and_b64 s[8:9], s[8:9], exec
	s_or_b64 s[4:5], s[4:5], s[8:9]
	s_or_b64 exec, exec, s[6:7]
	s_and_saveexec_b64 s[6:7], s[4:5]
	s_cbranch_execnz .LBB38_1583
	s_branch .LBB38_1584
.LBB38_3633:
	s_movk_i32 s4, 0x80
	v_cmp_eq_u16_e32 vcc, s4, v14
	s_mov_b64 s[4:5], -1
                                        ; implicit-def: $sgpr10
	s_and_saveexec_b64 s[8:9], vcc
; %bb.3634:
	s_mov_b32 s10, 0x7f800001
	s_xor_b64 s[4:5], exec, -1
; %bb.3635:
	s_or_b64 exec, exec, s[8:9]
	s_and_b64 s[4:5], s[4:5], exec
                                        ; implicit-def: $vgpr14
	s_or_saveexec_b64 s[6:7], s[6:7]
	v_mov_b32_e32 v10, s10
	s_xor_b64 exec, exec, s[6:7]
	s_cbranch_execz .LBB38_1586
.LBB38_3636:
	v_cmp_ne_u16_e32 vcc, 0, v14
	s_andn2_b64 s[4:5], s[4:5], exec
	s_and_b64 s[8:9], vcc, exec
	v_mov_b32_e32 v10, 0
	s_or_b64 s[4:5], s[4:5], s[8:9]
	s_or_b64 exec, exec, s[6:7]
	s_and_saveexec_b64 s[6:7], s[4:5]
	s_cbranch_execnz .LBB38_1587
	s_branch .LBB38_1588
.LBB38_3637:
	s_movk_i32 s4, 0x80
	v_cmp_eq_u16_e32 vcc, s4, v14
	s_mov_b64 s[4:5], -1
                                        ; implicit-def: $sgpr10
	s_and_saveexec_b64 s[8:9], vcc
; %bb.3638:
	s_mov_b32 s10, 0x7f800001
	s_xor_b64 s[4:5], exec, -1
; %bb.3639:
	s_or_b64 exec, exec, s[8:9]
	s_and_b64 s[4:5], s[4:5], exec
                                        ; implicit-def: $vgpr14
	s_or_saveexec_b64 s[6:7], s[6:7]
	v_mov_b32_e32 v20, s10
	s_xor_b64 exec, exec, s[6:7]
	s_cbranch_execz .LBB38_1590
.LBB38_3640:
	v_cmp_ne_u16_e32 vcc, 0, v14
	s_andn2_b64 s[4:5], s[4:5], exec
	s_and_b64 s[8:9], vcc, exec
	v_mov_b32_e32 v20, 0
	s_or_b64 s[4:5], s[4:5], s[8:9]
	s_or_b64 exec, exec, s[6:7]
	s_and_saveexec_b64 s[6:7], s[4:5]
	s_cbranch_execnz .LBB38_1591
	s_branch .LBB38_1592
.LBB38_3641:
	s_movk_i32 s4, 0x80
	v_cmp_eq_u16_sdwa s[12:13], v15, s4 src0_sel:BYTE_3 src1_sel:DWORD
	s_mov_b64 s[4:5], -1
                                        ; implicit-def: $sgpr10
	s_and_saveexec_b64 s[8:9], s[12:13]
; %bb.3642:
	s_mov_b32 s10, 0x7f800001
	s_xor_b64 s[4:5], exec, -1
; %bb.3643:
	s_or_b64 exec, exec, s[8:9]
	s_and_b64 s[4:5], s[4:5], exec
	s_or_saveexec_b64 s[6:7], s[6:7]
	v_mov_b32_e32 v10, s10
	s_xor_b64 exec, exec, s[6:7]
	s_cbranch_execz .LBB38_1594
.LBB38_3644:
	v_mov_b32_e32 v10, 0
	v_cmp_ne_u16_sdwa s[8:9], v15, v10 src0_sel:BYTE_3 src1_sel:DWORD
	s_andn2_b64 s[4:5], s[4:5], exec
	s_and_b64 s[8:9], s[8:9], exec
	s_or_b64 s[4:5], s[4:5], s[8:9]
	s_or_b64 exec, exec, s[6:7]
	s_and_saveexec_b64 s[6:7], s[4:5]
	s_cbranch_execnz .LBB38_1595
	s_branch .LBB38_1596
.LBB38_3645:
	s_movk_i32 s4, 0x80
	v_cmp_eq_u16_sdwa s[12:13], v11, s4 src0_sel:BYTE_3 src1_sel:DWORD
	s_mov_b64 s[4:5], -1
                                        ; implicit-def: $sgpr10
	s_and_saveexec_b64 s[8:9], s[12:13]
; %bb.3646:
	s_mov_b32 s10, 0x7f800001
	s_xor_b64 s[4:5], exec, -1
; %bb.3647:
	s_or_b64 exec, exec, s[8:9]
	s_and_b64 s[4:5], s[4:5], exec
	s_or_saveexec_b64 s[6:7], s[6:7]
	v_mov_b32_e32 v14, s10
	s_xor_b64 exec, exec, s[6:7]
	s_cbranch_execz .LBB38_1598
.LBB38_3648:
	v_mov_b32_e32 v14, 0
	v_cmp_ne_u16_sdwa s[8:9], v11, v14 src0_sel:BYTE_3 src1_sel:DWORD
	s_andn2_b64 s[4:5], s[4:5], exec
	s_and_b64 s[8:9], s[8:9], exec
	s_or_b64 s[4:5], s[4:5], s[8:9]
	s_or_b64 exec, exec, s[6:7]
	s_and_saveexec_b64 s[6:7], s[4:5]
	s_cbranch_execnz .LBB38_1599
	s_branch .LBB38_1600
.LBB38_3649:
	s_movk_i32 s4, 0x80
	v_cmp_eq_u16_sdwa s[12:13], v16, s4 src0_sel:BYTE_0 src1_sel:DWORD
	s_mov_b64 s[4:5], -1
                                        ; implicit-def: $sgpr10
	s_and_saveexec_b64 s[8:9], s[12:13]
; %bb.3650:
	s_mov_b32 s10, 0x7f800001
	s_xor_b64 s[4:5], exec, -1
; %bb.3651:
	s_or_b64 exec, exec, s[8:9]
	s_and_b64 s[4:5], s[4:5], exec
	s_or_saveexec_b64 s[6:7], s[6:7]
	v_mov_b32_e32 v10, s10
	s_xor_b64 exec, exec, s[6:7]
	s_cbranch_execz .LBB38_1602
.LBB38_3652:
	v_mov_b32_e32 v10, 0
	v_cmp_ne_u16_sdwa s[8:9], v16, v10 src0_sel:BYTE_0 src1_sel:DWORD
	s_andn2_b64 s[4:5], s[4:5], exec
	s_and_b64 s[8:9], s[8:9], exec
	s_or_b64 s[4:5], s[4:5], s[8:9]
	s_or_b64 exec, exec, s[6:7]
	s_and_saveexec_b64 s[6:7], s[4:5]
	s_cbranch_execnz .LBB38_1603
	s_branch .LBB38_1604
.LBB38_3653:
	s_movk_i32 s4, 0x80
	v_cmp_eq_u16_sdwa s[12:13], v12, s4 src0_sel:BYTE_0 src1_sel:DWORD
	s_mov_b64 s[4:5], -1
                                        ; implicit-def: $sgpr10
	s_and_saveexec_b64 s[8:9], s[12:13]
; %bb.3654:
	s_mov_b32 s10, 0x7f800001
	s_xor_b64 s[4:5], exec, -1
; %bb.3655:
	s_or_b64 exec, exec, s[8:9]
	s_and_b64 s[4:5], s[4:5], exec
	s_or_saveexec_b64 s[6:7], s[6:7]
	v_mov_b32_e32 v11, s10
	s_xor_b64 exec, exec, s[6:7]
	s_cbranch_execz .LBB38_1606
.LBB38_3656:
	v_mov_b32_e32 v11, 0
	v_cmp_ne_u16_sdwa s[8:9], v12, v11 src0_sel:BYTE_0 src1_sel:DWORD
	s_andn2_b64 s[4:5], s[4:5], exec
	s_and_b64 s[8:9], s[8:9], exec
	s_or_b64 s[4:5], s[4:5], s[8:9]
	s_or_b64 exec, exec, s[6:7]
	s_and_saveexec_b64 s[6:7], s[4:5]
	s_cbranch_execnz .LBB38_1607
	s_branch .LBB38_1608
.LBB38_3657:
	s_movk_i32 s4, 0x80
	v_cmp_eq_u16_sdwa s[12:13], v11, s4 src0_sel:BYTE_0 src1_sel:DWORD
	s_mov_b64 s[4:5], -1
                                        ; implicit-def: $sgpr10
	s_and_saveexec_b64 s[8:9], s[12:13]
; %bb.3658:
	s_mov_b32 s10, 0x7f800001
	s_xor_b64 s[4:5], exec, -1
; %bb.3659:
	s_or_b64 exec, exec, s[8:9]
	s_and_b64 s[4:5], s[4:5], exec
	s_or_saveexec_b64 s[6:7], s[6:7]
	v_mov_b32_e32 v10, s10
	s_xor_b64 exec, exec, s[6:7]
	s_cbranch_execz .LBB38_1610
.LBB38_3660:
	v_mov_b32_e32 v10, 0
	v_cmp_ne_u16_sdwa s[8:9], v11, v10 src0_sel:BYTE_0 src1_sel:DWORD
	s_andn2_b64 s[4:5], s[4:5], exec
	s_and_b64 s[8:9], s[8:9], exec
	s_or_b64 s[4:5], s[4:5], s[8:9]
	s_or_b64 exec, exec, s[6:7]
	s_and_saveexec_b64 s[6:7], s[4:5]
	s_cbranch_execnz .LBB38_1611
	s_branch .LBB38_1612
.LBB38_3661:
	s_movk_i32 s4, 0x80
	v_cmp_eq_u16_sdwa s[12:13], v11, s4 src0_sel:BYTE_0 src1_sel:DWORD
	s_mov_b64 s[4:5], -1
                                        ; implicit-def: $sgpr10
	s_and_saveexec_b64 s[8:9], s[12:13]
; %bb.3662:
	s_mov_b32 s10, 0x7f800001
	s_xor_b64 s[4:5], exec, -1
; %bb.3663:
	s_or_b64 exec, exec, s[8:9]
	s_and_b64 s[4:5], s[4:5], exec
	s_or_saveexec_b64 s[6:7], s[6:7]
	v_mov_b32_e32 v14, s10
	s_xor_b64 exec, exec, s[6:7]
	s_cbranch_execz .LBB38_1614
.LBB38_3664:
	v_mov_b32_e32 v14, 0
	v_cmp_ne_u16_sdwa s[8:9], v11, v14 src0_sel:BYTE_0 src1_sel:DWORD
	s_andn2_b64 s[4:5], s[4:5], exec
	s_and_b64 s[8:9], s[8:9], exec
	s_or_b64 s[4:5], s[4:5], s[8:9]
	s_or_b64 exec, exec, s[6:7]
	s_and_saveexec_b64 s[6:7], s[4:5]
	s_cbranch_execnz .LBB38_1615
	s_branch .LBB38_1616
.LBB38_3665:
	s_movk_i32 s4, 0x80
	v_cmp_eq_u16_e32 vcc, s4, v11
	s_mov_b64 s[4:5], -1
                                        ; implicit-def: $sgpr10
	s_and_saveexec_b64 s[8:9], vcc
; %bb.3666:
	s_mov_b32 s10, 0x7f800001
	s_xor_b64 s[4:5], exec, -1
; %bb.3667:
	s_or_b64 exec, exec, s[8:9]
	s_and_b64 s[4:5], s[4:5], exec
                                        ; implicit-def: $vgpr11
	s_or_saveexec_b64 s[6:7], s[6:7]
	v_mov_b32_e32 v10, s10
	s_xor_b64 exec, exec, s[6:7]
	s_cbranch_execz .LBB38_1618
.LBB38_3668:
	v_cmp_ne_u16_e32 vcc, 0, v11
	s_andn2_b64 s[4:5], s[4:5], exec
	s_and_b64 s[8:9], vcc, exec
	v_mov_b32_e32 v10, 0
	s_or_b64 s[4:5], s[4:5], s[8:9]
	s_or_b64 exec, exec, s[6:7]
	s_and_saveexec_b64 s[6:7], s[4:5]
	s_cbranch_execnz .LBB38_1619
	s_branch .LBB38_1620
.LBB38_3669:
	s_movk_i32 s4, 0x80
	v_cmp_eq_u16_e32 vcc, s4, v11
	s_mov_b64 s[4:5], -1
                                        ; implicit-def: $sgpr10
	s_and_saveexec_b64 s[8:9], vcc
; %bb.3670:
	s_mov_b32 s10, 0x7f800001
	s_xor_b64 s[4:5], exec, -1
; %bb.3671:
	s_or_b64 exec, exec, s[8:9]
	s_and_b64 s[4:5], s[4:5], exec
                                        ; implicit-def: $vgpr11
	s_or_saveexec_b64 s[6:7], s[6:7]
	v_mov_b32_e32 v14, s10
	s_xor_b64 exec, exec, s[6:7]
	s_cbranch_execz .LBB38_1622
.LBB38_3672:
	v_cmp_ne_u16_e32 vcc, 0, v11
	s_andn2_b64 s[4:5], s[4:5], exec
	s_and_b64 s[8:9], vcc, exec
	v_mov_b32_e32 v14, 0
	s_or_b64 s[4:5], s[4:5], s[8:9]
	s_or_b64 exec, exec, s[6:7]
	s_and_saveexec_b64 s[6:7], s[4:5]
	s_cbranch_execnz .LBB38_1623
	s_branch .LBB38_1624
.LBB38_3673:
	s_movk_i32 s4, 0x80
	v_cmp_eq_u16_sdwa s[12:13], v16, s4 src0_sel:BYTE_3 src1_sel:DWORD
	s_mov_b64 s[4:5], -1
                                        ; implicit-def: $sgpr10
	s_and_saveexec_b64 s[8:9], s[12:13]
; %bb.3674:
	s_mov_b32 s10, 0x7f800001
	s_xor_b64 s[4:5], exec, -1
; %bb.3675:
	s_or_b64 exec, exec, s[8:9]
	s_and_b64 s[4:5], s[4:5], exec
	s_or_saveexec_b64 s[6:7], s[6:7]
	v_mov_b32_e32 v10, s10
	s_xor_b64 exec, exec, s[6:7]
	s_cbranch_execz .LBB38_1626
.LBB38_3676:
	v_mov_b32_e32 v10, 0
	v_cmp_ne_u16_sdwa s[8:9], v16, v10 src0_sel:BYTE_3 src1_sel:DWORD
	s_andn2_b64 s[4:5], s[4:5], exec
	s_and_b64 s[8:9], s[8:9], exec
	s_or_b64 s[4:5], s[4:5], s[8:9]
	s_or_b64 exec, exec, s[6:7]
	s_and_saveexec_b64 s[6:7], s[4:5]
	s_cbranch_execnz .LBB38_1627
	s_branch .LBB38_1628
.LBB38_3677:
	s_movk_i32 s4, 0x80
	v_cmp_eq_u16_sdwa s[12:13], v12, s4 src0_sel:BYTE_3 src1_sel:DWORD
	s_mov_b64 s[4:5], -1
                                        ; implicit-def: $sgpr10
	s_and_saveexec_b64 s[8:9], s[12:13]
; %bb.3678:
	s_mov_b32 s10, 0x7f800001
	s_xor_b64 s[4:5], exec, -1
; %bb.3679:
	s_or_b64 exec, exec, s[8:9]
	s_and_b64 s[4:5], s[4:5], exec
	s_or_saveexec_b64 s[6:7], s[6:7]
	v_mov_b32_e32 v11, s10
	s_xor_b64 exec, exec, s[6:7]
	s_cbranch_execz .LBB38_1630
.LBB38_3680:
	v_mov_b32_e32 v11, 0
	v_cmp_ne_u16_sdwa s[8:9], v12, v11 src0_sel:BYTE_3 src1_sel:DWORD
	s_andn2_b64 s[4:5], s[4:5], exec
	s_and_b64 s[8:9], s[8:9], exec
	s_or_b64 s[4:5], s[4:5], s[8:9]
	s_or_b64 exec, exec, s[6:7]
	s_and_saveexec_b64 s[6:7], s[4:5]
	s_cbranch_execnz .LBB38_1631
	s_branch .LBB38_1632
.LBB38_3681:
	s_movk_i32 s4, 0x80
	v_cmp_eq_u16_sdwa s[12:13], v17, s4 src0_sel:BYTE_0 src1_sel:DWORD
	s_mov_b64 s[4:5], -1
                                        ; implicit-def: $sgpr10
	s_and_saveexec_b64 s[8:9], s[12:13]
; %bb.3682:
	s_mov_b32 s10, 0x7f800001
	s_xor_b64 s[4:5], exec, -1
; %bb.3683:
	s_or_b64 exec, exec, s[8:9]
	s_and_b64 s[4:5], s[4:5], exec
	s_or_saveexec_b64 s[6:7], s[6:7]
	v_mov_b32_e32 v10, s10
	s_xor_b64 exec, exec, s[6:7]
	s_cbranch_execz .LBB38_1634
.LBB38_3684:
	v_mov_b32_e32 v10, 0
	v_cmp_ne_u16_sdwa s[8:9], v17, v10 src0_sel:BYTE_0 src1_sel:DWORD
	s_andn2_b64 s[4:5], s[4:5], exec
	s_and_b64 s[8:9], s[8:9], exec
	s_or_b64 s[4:5], s[4:5], s[8:9]
	s_or_b64 exec, exec, s[6:7]
	s_and_saveexec_b64 s[6:7], s[4:5]
	s_cbranch_execnz .LBB38_1635
	s_branch .LBB38_1636
.LBB38_3685:
	s_movk_i32 s4, 0x80
	v_cmp_eq_u16_sdwa s[12:13], v13, s4 src0_sel:BYTE_0 src1_sel:DWORD
	s_mov_b64 s[4:5], -1
                                        ; implicit-def: $sgpr10
	s_and_saveexec_b64 s[8:9], s[12:13]
; %bb.3686:
	s_mov_b32 s10, 0x7f800001
	s_xor_b64 s[4:5], exec, -1
; %bb.3687:
	s_or_b64 exec, exec, s[8:9]
	s_and_b64 s[4:5], s[4:5], exec
	s_or_saveexec_b64 s[6:7], s[6:7]
	v_mov_b32_e32 v11, s10
	s_xor_b64 exec, exec, s[6:7]
	s_cbranch_execz .LBB38_1638
.LBB38_3688:
	v_mov_b32_e32 v11, 0
	v_cmp_ne_u16_sdwa s[8:9], v13, v11 src0_sel:BYTE_0 src1_sel:DWORD
	s_andn2_b64 s[4:5], s[4:5], exec
	s_and_b64 s[8:9], s[8:9], exec
	s_or_b64 s[4:5], s[4:5], s[8:9]
	s_or_b64 exec, exec, s[6:7]
	s_and_saveexec_b64 s[6:7], s[4:5]
	s_cbranch_execnz .LBB38_1639
	s_branch .LBB38_1640
.LBB38_3689:
	s_movk_i32 s4, 0x80
	v_cmp_eq_u16_sdwa s[12:13], v11, s4 src0_sel:BYTE_0 src1_sel:DWORD
	s_mov_b64 s[4:5], -1
                                        ; implicit-def: $sgpr10
	s_and_saveexec_b64 s[8:9], s[12:13]
; %bb.3690:
	s_mov_b32 s10, 0x7f800001
	s_xor_b64 s[4:5], exec, -1
; %bb.3691:
	s_or_b64 exec, exec, s[8:9]
	s_and_b64 s[4:5], s[4:5], exec
	s_or_saveexec_b64 s[6:7], s[6:7]
	v_mov_b32_e32 v10, s10
	s_xor_b64 exec, exec, s[6:7]
	s_cbranch_execz .LBB38_1642
.LBB38_3692:
	v_mov_b32_e32 v10, 0
	v_cmp_ne_u16_sdwa s[8:9], v11, v10 src0_sel:BYTE_0 src1_sel:DWORD
	s_andn2_b64 s[4:5], s[4:5], exec
	s_and_b64 s[8:9], s[8:9], exec
	s_or_b64 s[4:5], s[4:5], s[8:9]
	s_or_b64 exec, exec, s[6:7]
	s_and_saveexec_b64 s[6:7], s[4:5]
	s_cbranch_execnz .LBB38_1643
	s_branch .LBB38_1644
.LBB38_3693:
	s_movk_i32 s4, 0x80
	v_cmp_eq_u16_sdwa s[12:13], v11, s4 src0_sel:BYTE_0 src1_sel:DWORD
	s_mov_b64 s[4:5], -1
                                        ; implicit-def: $sgpr10
	s_and_saveexec_b64 s[8:9], s[12:13]
; %bb.3694:
	s_mov_b32 s10, 0x7f800001
	s_xor_b64 s[4:5], exec, -1
; %bb.3695:
	s_or_b64 exec, exec, s[8:9]
	s_and_b64 s[4:5], s[4:5], exec
	s_or_saveexec_b64 s[6:7], s[6:7]
	v_mov_b32_e32 v12, s10
	s_xor_b64 exec, exec, s[6:7]
	s_cbranch_execz .LBB38_1646
.LBB38_3696:
	v_mov_b32_e32 v12, 0
	v_cmp_ne_u16_sdwa s[8:9], v11, v12 src0_sel:BYTE_0 src1_sel:DWORD
	s_andn2_b64 s[4:5], s[4:5], exec
	s_and_b64 s[8:9], s[8:9], exec
	s_or_b64 s[4:5], s[4:5], s[8:9]
	s_or_b64 exec, exec, s[6:7]
	s_and_saveexec_b64 s[6:7], s[4:5]
	s_cbranch_execnz .LBB38_1647
	s_branch .LBB38_1648
.LBB38_3697:
	s_movk_i32 s4, 0x80
	v_cmp_eq_u16_e32 vcc, s4, v11
	s_mov_b64 s[4:5], -1
                                        ; implicit-def: $sgpr10
	s_and_saveexec_b64 s[8:9], vcc
; %bb.3698:
	s_mov_b32 s10, 0x7f800001
	s_xor_b64 s[4:5], exec, -1
; %bb.3699:
	s_or_b64 exec, exec, s[8:9]
	s_and_b64 s[4:5], s[4:5], exec
                                        ; implicit-def: $vgpr11
	s_or_saveexec_b64 s[6:7], s[6:7]
	v_mov_b32_e32 v10, s10
	s_xor_b64 exec, exec, s[6:7]
	s_cbranch_execz .LBB38_1650
.LBB38_3700:
	v_cmp_ne_u16_e32 vcc, 0, v11
	s_andn2_b64 s[4:5], s[4:5], exec
	s_and_b64 s[8:9], vcc, exec
	v_mov_b32_e32 v10, 0
	s_or_b64 s[4:5], s[4:5], s[8:9]
	s_or_b64 exec, exec, s[6:7]
	s_and_saveexec_b64 s[6:7], s[4:5]
	s_cbranch_execnz .LBB38_1651
	s_branch .LBB38_1652
.LBB38_3701:
	s_movk_i32 s4, 0x80
	v_cmp_eq_u16_e32 vcc, s4, v11
	s_mov_b64 s[4:5], -1
                                        ; implicit-def: $sgpr10
	s_and_saveexec_b64 s[8:9], vcc
; %bb.3702:
	s_mov_b32 s10, 0x7f800001
	s_xor_b64 s[4:5], exec, -1
; %bb.3703:
	s_or_b64 exec, exec, s[8:9]
	s_and_b64 s[4:5], s[4:5], exec
                                        ; implicit-def: $vgpr11
	s_or_saveexec_b64 s[6:7], s[6:7]
	v_mov_b32_e32 v12, s10
	s_xor_b64 exec, exec, s[6:7]
	s_cbranch_execz .LBB38_1654
.LBB38_3704:
	v_cmp_ne_u16_e32 vcc, 0, v11
	s_andn2_b64 s[4:5], s[4:5], exec
	s_and_b64 s[8:9], vcc, exec
	v_mov_b32_e32 v12, 0
	s_or_b64 s[4:5], s[4:5], s[8:9]
	s_or_b64 exec, exec, s[6:7]
	s_and_saveexec_b64 s[6:7], s[4:5]
	s_cbranch_execnz .LBB38_1655
	s_branch .LBB38_1656
.LBB38_3705:
	s_movk_i32 s4, 0x80
	v_cmp_eq_u16_sdwa s[12:13], v17, s4 src0_sel:BYTE_3 src1_sel:DWORD
	s_mov_b64 s[4:5], -1
                                        ; implicit-def: $sgpr10
	s_and_saveexec_b64 s[8:9], s[12:13]
; %bb.3706:
	s_mov_b32 s10, 0x7f800001
	s_xor_b64 s[4:5], exec, -1
; %bb.3707:
	s_or_b64 exec, exec, s[8:9]
	s_and_b64 s[4:5], s[4:5], exec
	s_or_saveexec_b64 s[6:7], s[6:7]
	v_mov_b32_e32 v10, s10
	s_xor_b64 exec, exec, s[6:7]
	s_cbranch_execz .LBB38_1658
.LBB38_3708:
	v_mov_b32_e32 v10, 0
	v_cmp_ne_u16_sdwa s[8:9], v17, v10 src0_sel:BYTE_3 src1_sel:DWORD
	s_andn2_b64 s[4:5], s[4:5], exec
	s_and_b64 s[8:9], s[8:9], exec
	s_or_b64 s[4:5], s[4:5], s[8:9]
	s_or_b64 exec, exec, s[6:7]
	s_and_saveexec_b64 s[6:7], s[4:5]
	s_cbranch_execnz .LBB38_1659
	s_branch .LBB38_1660
.LBB38_3709:
	s_movk_i32 s4, 0x80
	v_cmp_eq_u16_sdwa s[12:13], v13, s4 src0_sel:BYTE_3 src1_sel:DWORD
	s_mov_b64 s[4:5], -1
                                        ; implicit-def: $sgpr10
	s_and_saveexec_b64 s[8:9], s[12:13]
; %bb.3710:
	s_mov_b32 s10, 0x7f800001
	s_xor_b64 s[4:5], exec, -1
; %bb.3711:
	s_or_b64 exec, exec, s[8:9]
	s_and_b64 s[4:5], s[4:5], exec
	s_or_saveexec_b64 s[6:7], s[6:7]
	v_mov_b32_e32 v11, s10
	s_xor_b64 exec, exec, s[6:7]
	s_cbranch_execz .LBB38_1662
.LBB38_3712:
	v_mov_b32_e32 v11, 0
	v_cmp_ne_u16_sdwa s[8:9], v13, v11 src0_sel:BYTE_3 src1_sel:DWORD
	s_andn2_b64 s[4:5], s[4:5], exec
	s_and_b64 s[8:9], s[8:9], exec
	s_or_b64 s[4:5], s[4:5], s[8:9]
	s_or_b64 exec, exec, s[6:7]
	s_and_saveexec_b64 s[6:7], s[4:5]
	s_cbranch_execnz .LBB38_1663
	s_branch .LBB38_1664
.LBB38_3713:
	s_movk_i32 s4, 0x80
	v_cmp_eq_u16_sdwa s[12:13], v6, s4 src0_sel:BYTE_0 src1_sel:DWORD
	s_mov_b64 s[4:5], -1
                                        ; implicit-def: $sgpr10
	s_and_saveexec_b64 s[8:9], s[12:13]
; %bb.3714:
	s_mov_b32 s10, 0x7f800001
	s_xor_b64 s[4:5], exec, -1
; %bb.3715:
	s_or_b64 exec, exec, s[8:9]
	s_and_b64 s[4:5], s[4:5], exec
	s_or_saveexec_b64 s[6:7], s[6:7]
	v_mov_b32_e32 v10, s10
	s_xor_b64 exec, exec, s[6:7]
	s_cbranch_execz .LBB38_1666
.LBB38_3716:
	v_mov_b32_e32 v10, 0
	v_cmp_ne_u16_sdwa s[8:9], v6, v10 src0_sel:BYTE_0 src1_sel:DWORD
	s_andn2_b64 s[4:5], s[4:5], exec
	s_and_b64 s[8:9], s[8:9], exec
	s_or_b64 s[4:5], s[4:5], s[8:9]
	s_or_b64 exec, exec, s[6:7]
	s_and_saveexec_b64 s[6:7], s[4:5]
	s_cbranch_execnz .LBB38_1667
	s_branch .LBB38_1668
.LBB38_3717:
	s_movk_i32 s4, 0x80
	v_cmp_eq_u16_sdwa s[12:13], v2, s4 src0_sel:BYTE_0 src1_sel:DWORD
	s_mov_b64 s[4:5], -1
                                        ; implicit-def: $sgpr10
	s_and_saveexec_b64 s[8:9], s[12:13]
; %bb.3718:
	s_mov_b32 s10, 0x7f800001
	s_xor_b64 s[4:5], exec, -1
; %bb.3719:
	s_or_b64 exec, exec, s[8:9]
	s_and_b64 s[4:5], s[4:5], exec
	s_or_saveexec_b64 s[6:7], s[6:7]
	v_mov_b32_e32 v11, s10
	s_xor_b64 exec, exec, s[6:7]
	s_cbranch_execz .LBB38_1670
.LBB38_3720:
	v_mov_b32_e32 v11, 0
	v_cmp_ne_u16_sdwa s[8:9], v2, v11 src0_sel:BYTE_0 src1_sel:DWORD
	s_andn2_b64 s[4:5], s[4:5], exec
	s_and_b64 s[8:9], s[8:9], exec
	s_or_b64 s[4:5], s[4:5], s[8:9]
	s_or_b64 exec, exec, s[6:7]
	s_and_saveexec_b64 s[6:7], s[4:5]
	s_cbranch_execnz .LBB38_1671
	s_branch .LBB38_1672
.LBB38_3721:
	s_movk_i32 s4, 0x80
	v_cmp_eq_u16_sdwa s[12:13], v11, s4 src0_sel:BYTE_0 src1_sel:DWORD
	s_mov_b64 s[4:5], -1
                                        ; implicit-def: $sgpr10
	s_and_saveexec_b64 s[8:9], s[12:13]
; %bb.3722:
	s_mov_b32 s10, 0x7f800001
	s_xor_b64 s[4:5], exec, -1
; %bb.3723:
	s_or_b64 exec, exec, s[8:9]
	s_and_b64 s[4:5], s[4:5], exec
	s_or_saveexec_b64 s[6:7], s[6:7]
	v_mov_b32_e32 v10, s10
	s_xor_b64 exec, exec, s[6:7]
	s_cbranch_execz .LBB38_1674
.LBB38_3724:
	v_mov_b32_e32 v10, 0
	v_cmp_ne_u16_sdwa s[8:9], v11, v10 src0_sel:BYTE_0 src1_sel:DWORD
	s_andn2_b64 s[4:5], s[4:5], exec
	s_and_b64 s[8:9], s[8:9], exec
	s_or_b64 s[4:5], s[4:5], s[8:9]
	s_or_b64 exec, exec, s[6:7]
	s_and_saveexec_b64 s[6:7], s[4:5]
	s_cbranch_execnz .LBB38_1675
	s_branch .LBB38_1676
.LBB38_3725:
	s_movk_i32 s4, 0x80
	v_cmp_eq_u16_sdwa s[12:13], v11, s4 src0_sel:BYTE_0 src1_sel:DWORD
	s_mov_b64 s[4:5], -1
                                        ; implicit-def: $sgpr10
	s_and_saveexec_b64 s[8:9], s[12:13]
; %bb.3726:
	s_mov_b32 s10, 0x7f800001
	s_xor_b64 s[4:5], exec, -1
; %bb.3727:
	s_or_b64 exec, exec, s[8:9]
	s_and_b64 s[4:5], s[4:5], exec
	s_or_saveexec_b64 s[6:7], s[6:7]
	v_mov_b32_e32 v12, s10
	s_xor_b64 exec, exec, s[6:7]
	s_cbranch_execz .LBB38_1678
.LBB38_3728:
	v_mov_b32_e32 v12, 0
	v_cmp_ne_u16_sdwa s[8:9], v11, v12 src0_sel:BYTE_0 src1_sel:DWORD
	s_andn2_b64 s[4:5], s[4:5], exec
	s_and_b64 s[8:9], s[8:9], exec
	s_or_b64 s[4:5], s[4:5], s[8:9]
	s_or_b64 exec, exec, s[6:7]
	s_and_saveexec_b64 s[6:7], s[4:5]
	s_cbranch_execnz .LBB38_1679
	s_branch .LBB38_1680
.LBB38_3729:
	s_movk_i32 s4, 0x80
	v_cmp_eq_u16_e32 vcc, s4, v11
	s_mov_b64 s[4:5], -1
                                        ; implicit-def: $sgpr10
	s_and_saveexec_b64 s[8:9], vcc
; %bb.3730:
	s_mov_b32 s10, 0x7f800001
	s_xor_b64 s[4:5], exec, -1
; %bb.3731:
	s_or_b64 exec, exec, s[8:9]
	s_and_b64 s[4:5], s[4:5], exec
                                        ; implicit-def: $vgpr11
	s_or_saveexec_b64 s[6:7], s[6:7]
	v_mov_b32_e32 v10, s10
	s_xor_b64 exec, exec, s[6:7]
	s_cbranch_execz .LBB38_1682
.LBB38_3732:
	v_cmp_ne_u16_e32 vcc, 0, v11
	s_andn2_b64 s[4:5], s[4:5], exec
	s_and_b64 s[8:9], vcc, exec
	v_mov_b32_e32 v10, 0
	s_or_b64 s[4:5], s[4:5], s[8:9]
	s_or_b64 exec, exec, s[6:7]
	s_and_saveexec_b64 s[6:7], s[4:5]
	s_cbranch_execnz .LBB38_1683
	s_branch .LBB38_1684
.LBB38_3733:
	s_movk_i32 s4, 0x80
	v_cmp_eq_u16_e32 vcc, s4, v11
	s_mov_b64 s[4:5], -1
                                        ; implicit-def: $sgpr10
	s_and_saveexec_b64 s[8:9], vcc
; %bb.3734:
	s_mov_b32 s10, 0x7f800001
	s_xor_b64 s[4:5], exec, -1
; %bb.3735:
	s_or_b64 exec, exec, s[8:9]
	s_and_b64 s[4:5], s[4:5], exec
                                        ; implicit-def: $vgpr11
	s_or_saveexec_b64 s[6:7], s[6:7]
	v_mov_b32_e32 v12, s10
	s_xor_b64 exec, exec, s[6:7]
	s_cbranch_execz .LBB38_1686
.LBB38_3736:
	v_cmp_ne_u16_e32 vcc, 0, v11
	s_andn2_b64 s[4:5], s[4:5], exec
	s_and_b64 s[8:9], vcc, exec
	v_mov_b32_e32 v12, 0
	s_or_b64 s[4:5], s[4:5], s[8:9]
	s_or_b64 exec, exec, s[6:7]
	s_and_saveexec_b64 s[6:7], s[4:5]
	s_cbranch_execnz .LBB38_1687
	s_branch .LBB38_1688
.LBB38_3737:
	s_movk_i32 s4, 0x80
	v_cmp_eq_u16_sdwa s[12:13], v6, s4 src0_sel:BYTE_3 src1_sel:DWORD
	s_mov_b64 s[4:5], -1
                                        ; implicit-def: $sgpr10
	s_and_saveexec_b64 s[8:9], s[12:13]
; %bb.3738:
	s_mov_b32 s10, 0x7f800001
	s_xor_b64 s[4:5], exec, -1
; %bb.3739:
	s_or_b64 exec, exec, s[8:9]
	s_and_b64 s[4:5], s[4:5], exec
	s_or_saveexec_b64 s[6:7], s[6:7]
	v_mov_b32_e32 v10, s10
	s_xor_b64 exec, exec, s[6:7]
	s_cbranch_execz .LBB38_1690
.LBB38_3740:
	v_mov_b32_e32 v10, 0
	v_cmp_ne_u16_sdwa s[8:9], v6, v10 src0_sel:BYTE_3 src1_sel:DWORD
	s_andn2_b64 s[4:5], s[4:5], exec
	s_and_b64 s[8:9], s[8:9], exec
	s_or_b64 s[4:5], s[4:5], s[8:9]
	s_or_b64 exec, exec, s[6:7]
	s_and_saveexec_b64 s[6:7], s[4:5]
	s_cbranch_execnz .LBB38_1691
	s_branch .LBB38_1692
.LBB38_3741:
	s_movk_i32 s4, 0x80
	v_cmp_eq_u16_sdwa s[12:13], v2, s4 src0_sel:BYTE_3 src1_sel:DWORD
	s_mov_b64 s[4:5], -1
                                        ; implicit-def: $sgpr10
	s_and_saveexec_b64 s[8:9], s[12:13]
; %bb.3742:
	s_mov_b32 s10, 0x7f800001
	s_xor_b64 s[4:5], exec, -1
; %bb.3743:
	s_or_b64 exec, exec, s[8:9]
	s_and_b64 s[4:5], s[4:5], exec
	s_or_saveexec_b64 s[6:7], s[6:7]
	v_mov_b32_e32 v6, s10
	s_xor_b64 exec, exec, s[6:7]
	s_cbranch_execz .LBB38_1694
.LBB38_3744:
	v_mov_b32_e32 v6, 0
	v_cmp_ne_u16_sdwa s[8:9], v2, v6 src0_sel:BYTE_3 src1_sel:DWORD
	s_andn2_b64 s[4:5], s[4:5], exec
	s_and_b64 s[8:9], s[8:9], exec
	s_or_b64 s[4:5], s[4:5], s[8:9]
	s_or_b64 exec, exec, s[6:7]
	s_and_saveexec_b64 s[6:7], s[4:5]
	s_cbranch_execnz .LBB38_1695
	s_branch .LBB38_1696
.LBB38_3745:
	s_movk_i32 s4, 0x80
	v_cmp_eq_u16_sdwa s[12:13], v7, s4 src0_sel:BYTE_0 src1_sel:DWORD
	s_mov_b64 s[4:5], -1
                                        ; implicit-def: $sgpr10
	s_and_saveexec_b64 s[8:9], s[12:13]
; %bb.3746:
	s_mov_b32 s10, 0x7f800001
	s_xor_b64 s[4:5], exec, -1
; %bb.3747:
	s_or_b64 exec, exec, s[8:9]
	s_and_b64 s[4:5], s[4:5], exec
	s_or_saveexec_b64 s[6:7], s[6:7]
	v_mov_b32_e32 v2, s10
	s_xor_b64 exec, exec, s[6:7]
	s_cbranch_execz .LBB38_1698
.LBB38_3748:
	v_mov_b32_e32 v2, 0
	v_cmp_ne_u16_sdwa s[8:9], v7, v2 src0_sel:BYTE_0 src1_sel:DWORD
	s_andn2_b64 s[4:5], s[4:5], exec
	s_and_b64 s[8:9], s[8:9], exec
	s_or_b64 s[4:5], s[4:5], s[8:9]
	s_or_b64 exec, exec, s[6:7]
	s_and_saveexec_b64 s[6:7], s[4:5]
	s_cbranch_execnz .LBB38_1699
	s_branch .LBB38_1700
.LBB38_3749:
	s_movk_i32 s4, 0x80
	v_cmp_eq_u16_sdwa s[12:13], v3, s4 src0_sel:BYTE_0 src1_sel:DWORD
	s_mov_b64 s[4:5], -1
                                        ; implicit-def: $sgpr10
	s_and_saveexec_b64 s[8:9], s[12:13]
; %bb.3750:
	s_mov_b32 s10, 0x7f800001
	s_xor_b64 s[4:5], exec, -1
; %bb.3751:
	s_or_b64 exec, exec, s[8:9]
	s_and_b64 s[4:5], s[4:5], exec
	s_or_saveexec_b64 s[6:7], s[6:7]
	v_mov_b32_e32 v6, s10
	s_xor_b64 exec, exec, s[6:7]
	s_cbranch_execz .LBB38_1702
.LBB38_3752:
	v_mov_b32_e32 v6, 0
	v_cmp_ne_u16_sdwa s[8:9], v3, v6 src0_sel:BYTE_0 src1_sel:DWORD
	s_andn2_b64 s[4:5], s[4:5], exec
	s_and_b64 s[8:9], s[8:9], exec
	s_or_b64 s[4:5], s[4:5], s[8:9]
	s_or_b64 exec, exec, s[6:7]
	s_and_saveexec_b64 s[6:7], s[4:5]
	s_cbranch_execnz .LBB38_1703
	s_branch .LBB38_1704
.LBB38_3753:
	s_movk_i32 s4, 0x80
	v_cmp_eq_u16_sdwa s[12:13], v6, s4 src0_sel:BYTE_0 src1_sel:DWORD
	s_mov_b64 s[4:5], -1
                                        ; implicit-def: $sgpr10
	s_and_saveexec_b64 s[8:9], s[12:13]
; %bb.3754:
	s_mov_b32 s10, 0x7f800001
	s_xor_b64 s[4:5], exec, -1
; %bb.3755:
	s_or_b64 exec, exec, s[8:9]
	s_and_b64 s[4:5], s[4:5], exec
	s_or_saveexec_b64 s[6:7], s[6:7]
	v_mov_b32_e32 v2, s10
	s_xor_b64 exec, exec, s[6:7]
	s_cbranch_execz .LBB38_1706
.LBB38_3756:
	v_mov_b32_e32 v2, 0
	v_cmp_ne_u16_sdwa s[8:9], v6, v2 src0_sel:BYTE_0 src1_sel:DWORD
	s_andn2_b64 s[4:5], s[4:5], exec
	s_and_b64 s[8:9], s[8:9], exec
	s_or_b64 s[4:5], s[4:5], s[8:9]
	s_or_b64 exec, exec, s[6:7]
	s_and_saveexec_b64 s[6:7], s[4:5]
	s_cbranch_execnz .LBB38_1707
	s_branch .LBB38_1708
.LBB38_3757:
	s_movk_i32 s4, 0x80
	v_cmp_eq_u16_sdwa s[12:13], v6, s4 src0_sel:BYTE_0 src1_sel:DWORD
	s_mov_b64 s[4:5], -1
                                        ; implicit-def: $sgpr10
	s_and_saveexec_b64 s[8:9], s[12:13]
; %bb.3758:
	s_mov_b32 s10, 0x7f800001
	s_xor_b64 s[4:5], exec, -1
; %bb.3759:
	s_or_b64 exec, exec, s[8:9]
	s_and_b64 s[4:5], s[4:5], exec
	s_or_saveexec_b64 s[6:7], s[6:7]
	v_mov_b32_e32 v10, s10
	s_xor_b64 exec, exec, s[6:7]
	s_cbranch_execz .LBB38_1710
.LBB38_3760:
	v_mov_b32_e32 v10, 0
	v_cmp_ne_u16_sdwa s[8:9], v6, v10 src0_sel:BYTE_0 src1_sel:DWORD
	s_andn2_b64 s[4:5], s[4:5], exec
	s_and_b64 s[8:9], s[8:9], exec
	s_or_b64 s[4:5], s[4:5], s[8:9]
	s_or_b64 exec, exec, s[6:7]
	s_and_saveexec_b64 s[6:7], s[4:5]
	s_cbranch_execnz .LBB38_1711
	s_branch .LBB38_1712
.LBB38_3761:
	s_movk_i32 s4, 0x80
	v_cmp_eq_u16_e32 vcc, s4, v6
	s_mov_b64 s[4:5], -1
                                        ; implicit-def: $sgpr10
	s_and_saveexec_b64 s[8:9], vcc
; %bb.3762:
	s_mov_b32 s10, 0x7f800001
	s_xor_b64 s[4:5], exec, -1
; %bb.3763:
	s_or_b64 exec, exec, s[8:9]
	s_and_b64 s[4:5], s[4:5], exec
                                        ; implicit-def: $vgpr6
	s_or_saveexec_b64 s[6:7], s[6:7]
	v_mov_b32_e32 v2, s10
	s_xor_b64 exec, exec, s[6:7]
	s_cbranch_execz .LBB38_1714
.LBB38_3764:
	v_cmp_ne_u16_e32 vcc, 0, v6
	s_andn2_b64 s[4:5], s[4:5], exec
	s_and_b64 s[8:9], vcc, exec
	v_mov_b32_e32 v2, 0
	s_or_b64 s[4:5], s[4:5], s[8:9]
	s_or_b64 exec, exec, s[6:7]
	s_and_saveexec_b64 s[6:7], s[4:5]
	s_cbranch_execnz .LBB38_1715
	s_branch .LBB38_1716
.LBB38_3765:
	s_movk_i32 s4, 0x80
	v_cmp_eq_u16_e32 vcc, s4, v6
	s_mov_b64 s[4:5], -1
                                        ; implicit-def: $sgpr10
	s_and_saveexec_b64 s[8:9], vcc
; %bb.3766:
	s_mov_b32 s10, 0x7f800001
	s_xor_b64 s[4:5], exec, -1
; %bb.3767:
	s_or_b64 exec, exec, s[8:9]
	s_and_b64 s[4:5], s[4:5], exec
                                        ; implicit-def: $vgpr6
	s_or_saveexec_b64 s[6:7], s[6:7]
	v_mov_b32_e32 v10, s10
	s_xor_b64 exec, exec, s[6:7]
	s_cbranch_execz .LBB38_1718
.LBB38_3768:
	v_cmp_ne_u16_e32 vcc, 0, v6
	s_andn2_b64 s[4:5], s[4:5], exec
	s_and_b64 s[8:9], vcc, exec
	v_mov_b32_e32 v10, 0
	s_or_b64 s[4:5], s[4:5], s[8:9]
	s_or_b64 exec, exec, s[6:7]
	s_and_saveexec_b64 s[6:7], s[4:5]
	s_cbranch_execnz .LBB38_1719
	s_branch .LBB38_1720
.LBB38_3769:
	s_movk_i32 s4, 0x80
	v_cmp_eq_u16_sdwa s[12:13], v7, s4 src0_sel:BYTE_3 src1_sel:DWORD
	s_mov_b64 s[4:5], -1
                                        ; implicit-def: $sgpr10
	s_and_saveexec_b64 s[8:9], s[12:13]
; %bb.3770:
	s_mov_b32 s10, 0x7f800001
	s_xor_b64 s[4:5], exec, -1
; %bb.3771:
	s_or_b64 exec, exec, s[8:9]
	s_and_b64 s[4:5], s[4:5], exec
	s_or_saveexec_b64 s[6:7], s[6:7]
	v_mov_b32_e32 v2, s10
	s_xor_b64 exec, exec, s[6:7]
	s_cbranch_execz .LBB38_1722
.LBB38_3772:
	v_mov_b32_e32 v2, 0
	v_cmp_ne_u16_sdwa s[8:9], v7, v2 src0_sel:BYTE_3 src1_sel:DWORD
	s_andn2_b64 s[4:5], s[4:5], exec
	s_and_b64 s[8:9], s[8:9], exec
	s_or_b64 s[4:5], s[4:5], s[8:9]
	s_or_b64 exec, exec, s[6:7]
	s_and_saveexec_b64 s[6:7], s[4:5]
	s_cbranch_execnz .LBB38_1723
	s_branch .LBB38_1724
.LBB38_3773:
	s_movk_i32 s4, 0x80
	v_cmp_eq_u16_sdwa s[12:13], v3, s4 src0_sel:BYTE_3 src1_sel:DWORD
	s_mov_b64 s[4:5], -1
                                        ; implicit-def: $sgpr10
	s_and_saveexec_b64 s[8:9], s[12:13]
; %bb.3774:
	s_mov_b32 s10, 0x7f800001
	s_xor_b64 s[4:5], exec, -1
; %bb.3775:
	s_or_b64 exec, exec, s[8:9]
	s_and_b64 s[4:5], s[4:5], exec
	s_or_saveexec_b64 s[6:7], s[6:7]
	v_mov_b32_e32 v6, s10
	s_xor_b64 exec, exec, s[6:7]
	s_cbranch_execz .LBB38_1726
.LBB38_3776:
	v_mov_b32_e32 v6, 0
	v_cmp_ne_u16_sdwa s[8:9], v3, v6 src0_sel:BYTE_3 src1_sel:DWORD
	s_andn2_b64 s[4:5], s[4:5], exec
	s_and_b64 s[8:9], s[8:9], exec
	s_or_b64 s[4:5], s[4:5], s[8:9]
	s_or_b64 exec, exec, s[6:7]
	s_and_saveexec_b64 s[6:7], s[4:5]
	s_cbranch_execnz .LBB38_1727
	s_branch .LBB38_1728
.LBB38_3777:
	s_movk_i32 s4, 0x80
	v_cmp_eq_u16_sdwa s[12:13], v8, s4 src0_sel:BYTE_0 src1_sel:DWORD
	s_mov_b64 s[4:5], -1
                                        ; implicit-def: $sgpr10
	s_and_saveexec_b64 s[8:9], s[12:13]
; %bb.3778:
	s_mov_b32 s10, 0x7f800001
	s_xor_b64 s[4:5], exec, -1
; %bb.3779:
	s_or_b64 exec, exec, s[8:9]
	s_and_b64 s[4:5], s[4:5], exec
	s_or_saveexec_b64 s[6:7], s[6:7]
	v_mov_b32_e32 v2, s10
	s_xor_b64 exec, exec, s[6:7]
	s_cbranch_execz .LBB38_1730
.LBB38_3780:
	v_mov_b32_e32 v2, 0
	v_cmp_ne_u16_sdwa s[8:9], v8, v2 src0_sel:BYTE_0 src1_sel:DWORD
	s_andn2_b64 s[4:5], s[4:5], exec
	s_and_b64 s[8:9], s[8:9], exec
	s_or_b64 s[4:5], s[4:5], s[8:9]
	s_or_b64 exec, exec, s[6:7]
	s_and_saveexec_b64 s[6:7], s[4:5]
	s_cbranch_execnz .LBB38_1731
	s_branch .LBB38_1732
.LBB38_3781:
	s_movk_i32 s4, 0x80
	v_cmp_eq_u16_sdwa s[12:13], v4, s4 src0_sel:BYTE_0 src1_sel:DWORD
	s_mov_b64 s[4:5], -1
                                        ; implicit-def: $sgpr10
	s_and_saveexec_b64 s[8:9], s[12:13]
; %bb.3782:
	s_mov_b32 s10, 0x7f800001
	s_xor_b64 s[4:5], exec, -1
; %bb.3783:
	s_or_b64 exec, exec, s[8:9]
	s_and_b64 s[4:5], s[4:5], exec
	s_or_saveexec_b64 s[6:7], s[6:7]
	v_mov_b32_e32 v3, s10
	s_xor_b64 exec, exec, s[6:7]
	s_cbranch_execz .LBB38_1734
.LBB38_3784:
	v_mov_b32_e32 v3, 0
	v_cmp_ne_u16_sdwa s[8:9], v4, v3 src0_sel:BYTE_0 src1_sel:DWORD
	s_andn2_b64 s[4:5], s[4:5], exec
	s_and_b64 s[8:9], s[8:9], exec
	s_or_b64 s[4:5], s[4:5], s[8:9]
	s_or_b64 exec, exec, s[6:7]
	s_and_saveexec_b64 s[6:7], s[4:5]
	s_cbranch_execnz .LBB38_1735
	s_branch .LBB38_1736
.LBB38_3785:
	s_movk_i32 s4, 0x80
	v_cmp_eq_u16_sdwa s[12:13], v3, s4 src0_sel:BYTE_0 src1_sel:DWORD
	s_mov_b64 s[4:5], -1
                                        ; implicit-def: $sgpr10
	s_and_saveexec_b64 s[8:9], s[12:13]
; %bb.3786:
	s_mov_b32 s10, 0x7f800001
	s_xor_b64 s[4:5], exec, -1
; %bb.3787:
	s_or_b64 exec, exec, s[8:9]
	s_and_b64 s[4:5], s[4:5], exec
	s_or_saveexec_b64 s[6:7], s[6:7]
	v_mov_b32_e32 v2, s10
	s_xor_b64 exec, exec, s[6:7]
	s_cbranch_execz .LBB38_1738
.LBB38_3788:
	v_mov_b32_e32 v2, 0
	v_cmp_ne_u16_sdwa s[8:9], v3, v2 src0_sel:BYTE_0 src1_sel:DWORD
	s_andn2_b64 s[4:5], s[4:5], exec
	s_and_b64 s[8:9], s[8:9], exec
	s_or_b64 s[4:5], s[4:5], s[8:9]
	s_or_b64 exec, exec, s[6:7]
	s_and_saveexec_b64 s[6:7], s[4:5]
	s_cbranch_execnz .LBB38_1739
	s_branch .LBB38_1740
.LBB38_3789:
	s_movk_i32 s4, 0x80
	v_cmp_eq_u16_sdwa s[12:13], v3, s4 src0_sel:BYTE_0 src1_sel:DWORD
	s_mov_b64 s[4:5], -1
                                        ; implicit-def: $sgpr10
	s_and_saveexec_b64 s[8:9], s[12:13]
; %bb.3790:
	s_mov_b32 s10, 0x7f800001
	s_xor_b64 s[4:5], exec, -1
; %bb.3791:
	s_or_b64 exec, exec, s[8:9]
	s_and_b64 s[4:5], s[4:5], exec
	s_or_saveexec_b64 s[6:7], s[6:7]
	v_mov_b32_e32 v6, s10
	s_xor_b64 exec, exec, s[6:7]
	s_cbranch_execz .LBB38_1742
.LBB38_3792:
	v_mov_b32_e32 v6, 0
	v_cmp_ne_u16_sdwa s[8:9], v3, v6 src0_sel:BYTE_0 src1_sel:DWORD
	s_andn2_b64 s[4:5], s[4:5], exec
	s_and_b64 s[8:9], s[8:9], exec
	s_or_b64 s[4:5], s[4:5], s[8:9]
	s_or_b64 exec, exec, s[6:7]
	s_and_saveexec_b64 s[6:7], s[4:5]
	s_cbranch_execnz .LBB38_1743
	s_branch .LBB38_1744
.LBB38_3793:
	s_movk_i32 s4, 0x80
	v_cmp_eq_u16_e32 vcc, s4, v3
	s_mov_b64 s[4:5], -1
                                        ; implicit-def: $sgpr10
	s_and_saveexec_b64 s[8:9], vcc
; %bb.3794:
	s_mov_b32 s10, 0x7f800001
	s_xor_b64 s[4:5], exec, -1
; %bb.3795:
	s_or_b64 exec, exec, s[8:9]
	s_and_b64 s[4:5], s[4:5], exec
                                        ; implicit-def: $vgpr3
	s_or_saveexec_b64 s[6:7], s[6:7]
	v_mov_b32_e32 v2, s10
	s_xor_b64 exec, exec, s[6:7]
	s_cbranch_execz .LBB38_1746
.LBB38_3796:
	v_cmp_ne_u16_e32 vcc, 0, v3
	s_andn2_b64 s[4:5], s[4:5], exec
	s_and_b64 s[8:9], vcc, exec
	v_mov_b32_e32 v2, 0
	s_or_b64 s[4:5], s[4:5], s[8:9]
	s_or_b64 exec, exec, s[6:7]
	s_and_saveexec_b64 s[6:7], s[4:5]
	s_cbranch_execnz .LBB38_1747
	s_branch .LBB38_1748
.LBB38_3797:
	s_movk_i32 s4, 0x80
	v_cmp_eq_u16_e32 vcc, s4, v3
	s_mov_b64 s[4:5], -1
                                        ; implicit-def: $sgpr10
	s_and_saveexec_b64 s[8:9], vcc
; %bb.3798:
	s_mov_b32 s10, 0x7f800001
	s_xor_b64 s[4:5], exec, -1
; %bb.3799:
	s_or_b64 exec, exec, s[8:9]
	s_and_b64 s[4:5], s[4:5], exec
                                        ; implicit-def: $vgpr3
	s_or_saveexec_b64 s[6:7], s[6:7]
	v_mov_b32_e32 v6, s10
	s_xor_b64 exec, exec, s[6:7]
	s_cbranch_execz .LBB38_1750
.LBB38_3800:
	v_cmp_ne_u16_e32 vcc, 0, v3
	s_andn2_b64 s[4:5], s[4:5], exec
	s_and_b64 s[8:9], vcc, exec
	v_mov_b32_e32 v6, 0
	s_or_b64 s[4:5], s[4:5], s[8:9]
	s_or_b64 exec, exec, s[6:7]
	s_and_saveexec_b64 s[6:7], s[4:5]
	s_cbranch_execnz .LBB38_1751
	s_branch .LBB38_1752
.LBB38_3801:
	s_movk_i32 s4, 0x80
	v_cmp_eq_u16_sdwa s[12:13], v8, s4 src0_sel:BYTE_3 src1_sel:DWORD
	s_mov_b64 s[4:5], -1
                                        ; implicit-def: $sgpr10
	s_and_saveexec_b64 s[8:9], s[12:13]
; %bb.3802:
	s_mov_b32 s10, 0x7f800001
	s_xor_b64 s[4:5], exec, -1
; %bb.3803:
	s_or_b64 exec, exec, s[8:9]
	s_and_b64 s[4:5], s[4:5], exec
	s_or_saveexec_b64 s[6:7], s[6:7]
	v_mov_b32_e32 v2, s10
	s_xor_b64 exec, exec, s[6:7]
	s_cbranch_execz .LBB38_1754
.LBB38_3804:
	v_mov_b32_e32 v2, 0
	v_cmp_ne_u16_sdwa s[8:9], v8, v2 src0_sel:BYTE_3 src1_sel:DWORD
	s_andn2_b64 s[4:5], s[4:5], exec
	s_and_b64 s[8:9], s[8:9], exec
	s_or_b64 s[4:5], s[4:5], s[8:9]
	s_or_b64 exec, exec, s[6:7]
	s_and_saveexec_b64 s[6:7], s[4:5]
	s_cbranch_execnz .LBB38_1755
	s_branch .LBB38_1756
.LBB38_3805:
	s_movk_i32 s4, 0x80
	v_cmp_eq_u16_sdwa s[12:13], v4, s4 src0_sel:BYTE_3 src1_sel:DWORD
	s_mov_b64 s[4:5], -1
                                        ; implicit-def: $sgpr10
	s_and_saveexec_b64 s[8:9], s[12:13]
; %bb.3806:
	s_mov_b32 s10, 0x7f800001
	s_xor_b64 s[4:5], exec, -1
; %bb.3807:
	s_or_b64 exec, exec, s[8:9]
	s_and_b64 s[4:5], s[4:5], exec
	s_or_saveexec_b64 s[6:7], s[6:7]
	v_mov_b32_e32 v3, s10
	s_xor_b64 exec, exec, s[6:7]
	s_cbranch_execz .LBB38_1758
.LBB38_3808:
	v_mov_b32_e32 v3, 0
	v_cmp_ne_u16_sdwa s[8:9], v4, v3 src0_sel:BYTE_3 src1_sel:DWORD
	s_andn2_b64 s[4:5], s[4:5], exec
	s_and_b64 s[8:9], s[8:9], exec
	s_or_b64 s[4:5], s[4:5], s[8:9]
	s_or_b64 exec, exec, s[6:7]
	s_and_saveexec_b64 s[6:7], s[4:5]
	s_cbranch_execnz .LBB38_1759
	s_branch .LBB38_1760
.LBB38_3809:
	s_movk_i32 s4, 0x80
	v_cmp_eq_u16_sdwa s[12:13], v9, s4 src0_sel:BYTE_0 src1_sel:DWORD
	s_mov_b64 s[4:5], -1
                                        ; implicit-def: $sgpr10
	s_and_saveexec_b64 s[8:9], s[12:13]
; %bb.3810:
	s_mov_b32 s10, 0x7f800001
	s_xor_b64 s[4:5], exec, -1
; %bb.3811:
	s_or_b64 exec, exec, s[8:9]
	s_and_b64 s[4:5], s[4:5], exec
	s_or_saveexec_b64 s[6:7], s[6:7]
	v_mov_b32_e32 v2, s10
	s_xor_b64 exec, exec, s[6:7]
	s_cbranch_execz .LBB38_1762
.LBB38_3812:
	v_mov_b32_e32 v2, 0
	v_cmp_ne_u16_sdwa s[8:9], v9, v2 src0_sel:BYTE_0 src1_sel:DWORD
	s_andn2_b64 s[4:5], s[4:5], exec
	s_and_b64 s[8:9], s[8:9], exec
	s_or_b64 s[4:5], s[4:5], s[8:9]
	s_or_b64 exec, exec, s[6:7]
	s_and_saveexec_b64 s[6:7], s[4:5]
	s_cbranch_execnz .LBB38_1763
	s_branch .LBB38_1764
.LBB38_3813:
	s_movk_i32 s4, 0x80
	v_cmp_eq_u16_sdwa s[12:13], v5, s4 src0_sel:BYTE_0 src1_sel:DWORD
	s_mov_b64 s[4:5], -1
                                        ; implicit-def: $sgpr10
	s_and_saveexec_b64 s[8:9], s[12:13]
; %bb.3814:
	s_mov_b32 s10, 0x7f800001
	s_xor_b64 s[4:5], exec, -1
; %bb.3815:
	s_or_b64 exec, exec, s[8:9]
	s_and_b64 s[4:5], s[4:5], exec
	s_or_saveexec_b64 s[6:7], s[6:7]
	v_mov_b32_e32 v3, s10
	s_xor_b64 exec, exec, s[6:7]
	s_cbranch_execz .LBB38_1766
.LBB38_3816:
	v_mov_b32_e32 v3, 0
	v_cmp_ne_u16_sdwa s[8:9], v5, v3 src0_sel:BYTE_0 src1_sel:DWORD
	s_andn2_b64 s[4:5], s[4:5], exec
	s_and_b64 s[8:9], s[8:9], exec
	s_or_b64 s[4:5], s[4:5], s[8:9]
	s_or_b64 exec, exec, s[6:7]
	s_and_saveexec_b64 s[6:7], s[4:5]
	s_cbranch_execnz .LBB38_1767
	s_branch .LBB38_1768
.LBB38_3817:
	s_movk_i32 s4, 0x80
	v_cmp_eq_u16_sdwa s[12:13], v3, s4 src0_sel:BYTE_0 src1_sel:DWORD
	s_mov_b64 s[4:5], -1
                                        ; implicit-def: $sgpr10
	s_and_saveexec_b64 s[8:9], s[12:13]
; %bb.3818:
	s_mov_b32 s10, 0x7f800001
	s_xor_b64 s[4:5], exec, -1
; %bb.3819:
	s_or_b64 exec, exec, s[8:9]
	s_and_b64 s[4:5], s[4:5], exec
	s_or_saveexec_b64 s[6:7], s[6:7]
	v_mov_b32_e32 v2, s10
	s_xor_b64 exec, exec, s[6:7]
	s_cbranch_execz .LBB38_1770
.LBB38_3820:
	v_mov_b32_e32 v2, 0
	v_cmp_ne_u16_sdwa s[8:9], v3, v2 src0_sel:BYTE_0 src1_sel:DWORD
	s_andn2_b64 s[4:5], s[4:5], exec
	s_and_b64 s[8:9], s[8:9], exec
	s_or_b64 s[4:5], s[4:5], s[8:9]
	s_or_b64 exec, exec, s[6:7]
	s_and_saveexec_b64 s[6:7], s[4:5]
	s_cbranch_execnz .LBB38_1771
	s_branch .LBB38_1772
.LBB38_3821:
	s_movk_i32 s4, 0x80
	v_cmp_eq_u16_sdwa s[12:13], v3, s4 src0_sel:BYTE_0 src1_sel:DWORD
	s_mov_b64 s[4:5], -1
                                        ; implicit-def: $sgpr10
	s_and_saveexec_b64 s[8:9], s[12:13]
; %bb.3822:
	s_mov_b32 s10, 0x7f800001
	s_xor_b64 s[4:5], exec, -1
; %bb.3823:
	s_or_b64 exec, exec, s[8:9]
	s_and_b64 s[4:5], s[4:5], exec
	s_or_saveexec_b64 s[6:7], s[6:7]
	v_mov_b32_e32 v4, s10
	s_xor_b64 exec, exec, s[6:7]
	s_cbranch_execz .LBB38_1774
.LBB38_3824:
	v_mov_b32_e32 v4, 0
	v_cmp_ne_u16_sdwa s[8:9], v3, v4 src0_sel:BYTE_0 src1_sel:DWORD
	s_andn2_b64 s[4:5], s[4:5], exec
	s_and_b64 s[8:9], s[8:9], exec
	s_or_b64 s[4:5], s[4:5], s[8:9]
	s_or_b64 exec, exec, s[6:7]
	s_and_saveexec_b64 s[6:7], s[4:5]
	s_cbranch_execnz .LBB38_1775
	s_branch .LBB38_1776
.LBB38_3825:
	s_movk_i32 s4, 0x80
	v_cmp_eq_u16_e32 vcc, s4, v3
	s_mov_b64 s[4:5], -1
                                        ; implicit-def: $sgpr10
	s_and_saveexec_b64 s[8:9], vcc
; %bb.3826:
	s_mov_b32 s10, 0x7f800001
	s_xor_b64 s[4:5], exec, -1
; %bb.3827:
	s_or_b64 exec, exec, s[8:9]
	s_and_b64 s[4:5], s[4:5], exec
                                        ; implicit-def: $vgpr3
	s_or_saveexec_b64 s[6:7], s[6:7]
	v_mov_b32_e32 v2, s10
	s_xor_b64 exec, exec, s[6:7]
	s_cbranch_execz .LBB38_1778
.LBB38_3828:
	v_cmp_ne_u16_e32 vcc, 0, v3
	s_andn2_b64 s[4:5], s[4:5], exec
	s_and_b64 s[8:9], vcc, exec
	v_mov_b32_e32 v2, 0
	s_or_b64 s[4:5], s[4:5], s[8:9]
	s_or_b64 exec, exec, s[6:7]
	s_and_saveexec_b64 s[6:7], s[4:5]
	s_cbranch_execnz .LBB38_1779
	s_branch .LBB38_1780
.LBB38_3829:
	s_movk_i32 s4, 0x80
	v_cmp_eq_u16_e32 vcc, s4, v3
	s_mov_b64 s[4:5], -1
                                        ; implicit-def: $sgpr10
	s_and_saveexec_b64 s[8:9], vcc
; %bb.3830:
	s_mov_b32 s10, 0x7f800001
	s_xor_b64 s[4:5], exec, -1
; %bb.3831:
	s_or_b64 exec, exec, s[8:9]
	s_and_b64 s[4:5], s[4:5], exec
                                        ; implicit-def: $vgpr3
	s_or_saveexec_b64 s[6:7], s[6:7]
	v_mov_b32_e32 v4, s10
	s_xor_b64 exec, exec, s[6:7]
	s_cbranch_execz .LBB38_1782
.LBB38_3832:
	v_cmp_ne_u16_e32 vcc, 0, v3
	s_andn2_b64 s[4:5], s[4:5], exec
	s_and_b64 s[8:9], vcc, exec
	v_mov_b32_e32 v4, 0
	s_or_b64 s[4:5], s[4:5], s[8:9]
	s_or_b64 exec, exec, s[6:7]
	s_and_saveexec_b64 s[6:7], s[4:5]
	s_cbranch_execnz .LBB38_1783
	s_branch .LBB38_1784
.LBB38_3833:
	s_movk_i32 s4, 0x80
	v_cmp_eq_u16_sdwa s[12:13], v9, s4 src0_sel:BYTE_3 src1_sel:DWORD
	s_mov_b64 s[4:5], -1
                                        ; implicit-def: $sgpr10
	s_and_saveexec_b64 s[8:9], s[12:13]
; %bb.3834:
	s_mov_b32 s10, 0x7f800001
	s_xor_b64 s[4:5], exec, -1
; %bb.3835:
	s_or_b64 exec, exec, s[8:9]
	s_and_b64 s[4:5], s[4:5], exec
	s_or_saveexec_b64 s[6:7], s[6:7]
	v_mov_b32_e32 v2, s10
	s_xor_b64 exec, exec, s[6:7]
	s_cbranch_execz .LBB38_1786
.LBB38_3836:
	v_mov_b32_e32 v2, 0
	v_cmp_ne_u16_sdwa s[8:9], v9, v2 src0_sel:BYTE_3 src1_sel:DWORD
	s_andn2_b64 s[4:5], s[4:5], exec
	s_and_b64 s[8:9], s[8:9], exec
	s_or_b64 s[4:5], s[4:5], s[8:9]
	s_or_b64 exec, exec, s[6:7]
	s_and_saveexec_b64 s[6:7], s[4:5]
	s_cbranch_execnz .LBB38_1787
	s_branch .LBB38_1788
.LBB38_3837:
	s_movk_i32 s4, 0x80
	v_cmp_eq_u16_sdwa s[12:13], v5, s4 src0_sel:BYTE_3 src1_sel:DWORD
	s_mov_b64 s[4:5], -1
                                        ; implicit-def: $sgpr10
	s_and_saveexec_b64 s[8:9], s[12:13]
; %bb.3838:
	s_mov_b32 s10, 0x7f800001
	s_xor_b64 s[4:5], exec, -1
; %bb.3839:
	s_or_b64 exec, exec, s[8:9]
	s_and_b64 s[4:5], s[4:5], exec
	s_or_saveexec_b64 s[6:7], s[6:7]
	v_mov_b32_e32 v3, s10
	s_xor_b64 exec, exec, s[6:7]
	s_cbranch_execz .LBB38_1790
.LBB38_3840:
	v_mov_b32_e32 v3, 0
	v_cmp_ne_u16_sdwa s[8:9], v5, v3 src0_sel:BYTE_3 src1_sel:DWORD
	s_andn2_b64 s[4:5], s[4:5], exec
	s_and_b64 s[8:9], s[8:9], exec
	s_or_b64 s[4:5], s[4:5], s[8:9]
	s_or_b64 exec, exec, s[6:7]
	s_and_saveexec_b64 s[6:7], s[4:5]
	s_cbranch_execnz .LBB38_1791
	s_branch .LBB38_1792
.LBB38_3841:
	s_movk_i32 s4, 0x80
	v_cmp_eq_u16_sdwa s[12:13], v12, s4 src0_sel:BYTE_0 src1_sel:DWORD
	s_mov_b64 s[4:5], -1
                                        ; implicit-def: $sgpr10
	s_and_saveexec_b64 s[8:9], s[12:13]
; %bb.3842:
	s_mov_b32 s10, 0x7f800001
	s_xor_b64 s[4:5], exec, -1
; %bb.3843:
	s_or_b64 exec, exec, s[8:9]
	s_and_b64 s[4:5], s[4:5], exec
	s_or_saveexec_b64 s[6:7], s[6:7]
	v_mov_b32_e32 v18, s10
	s_xor_b64 exec, exec, s[6:7]
	s_cbranch_execz .LBB38_1794
.LBB38_3844:
	v_mov_b32_e32 v18, 0
	v_cmp_ne_u16_sdwa s[8:9], v12, v18 src0_sel:BYTE_0 src1_sel:DWORD
	s_andn2_b64 s[4:5], s[4:5], exec
	s_and_b64 s[8:9], s[8:9], exec
	s_or_b64 s[4:5], s[4:5], s[8:9]
	s_or_b64 exec, exec, s[6:7]
	s_and_saveexec_b64 s[6:7], s[4:5]
	s_cbranch_execnz .LBB38_1795
	s_branch .LBB38_1796
.LBB38_3845:
	s_movk_i32 s4, 0x80
	v_cmp_eq_u16_sdwa s[12:13], v8, s4 src0_sel:BYTE_0 src1_sel:DWORD
	s_mov_b64 s[4:5], -1
                                        ; implicit-def: $sgpr10
	s_and_saveexec_b64 s[8:9], s[12:13]
; %bb.3846:
	s_mov_b32 s10, 0x7f800001
	s_xor_b64 s[4:5], exec, -1
; %bb.3847:
	s_or_b64 exec, exec, s[8:9]
	s_and_b64 s[4:5], s[4:5], exec
	s_or_saveexec_b64 s[6:7], s[6:7]
	v_mov_b32_e32 v19, s10
	s_xor_b64 exec, exec, s[6:7]
	s_cbranch_execz .LBB38_1798
.LBB38_3848:
	v_mov_b32_e32 v19, 0
	v_cmp_ne_u16_sdwa s[8:9], v8, v19 src0_sel:BYTE_0 src1_sel:DWORD
	s_andn2_b64 s[4:5], s[4:5], exec
	s_and_b64 s[8:9], s[8:9], exec
	s_or_b64 s[4:5], s[4:5], s[8:9]
	s_or_b64 exec, exec, s[6:7]
	s_and_saveexec_b64 s[6:7], s[4:5]
	s_cbranch_execnz .LBB38_1799
	s_branch .LBB38_1800
.LBB38_3849:
	s_movk_i32 s4, 0x80
	v_cmp_eq_u16_sdwa s[12:13], v19, s4 src0_sel:BYTE_0 src1_sel:DWORD
	s_mov_b64 s[4:5], -1
                                        ; implicit-def: $sgpr10
	s_and_saveexec_b64 s[8:9], s[12:13]
; %bb.3850:
	s_mov_b32 s10, 0x7f800001
	s_xor_b64 s[4:5], exec, -1
; %bb.3851:
	s_or_b64 exec, exec, s[8:9]
	s_and_b64 s[4:5], s[4:5], exec
	s_or_saveexec_b64 s[6:7], s[6:7]
	v_mov_b32_e32 v18, s10
	s_xor_b64 exec, exec, s[6:7]
	s_cbranch_execz .LBB38_1802
.LBB38_3852:
	v_mov_b32_e32 v18, 0
	v_cmp_ne_u16_sdwa s[8:9], v19, v18 src0_sel:BYTE_0 src1_sel:DWORD
	s_andn2_b64 s[4:5], s[4:5], exec
	s_and_b64 s[8:9], s[8:9], exec
	s_or_b64 s[4:5], s[4:5], s[8:9]
	s_or_b64 exec, exec, s[6:7]
	s_and_saveexec_b64 s[6:7], s[4:5]
	s_cbranch_execnz .LBB38_1803
	s_branch .LBB38_1804
.LBB38_3853:
	s_movk_i32 s4, 0x80
	v_cmp_eq_u16_sdwa s[12:13], v19, s4 src0_sel:BYTE_0 src1_sel:DWORD
	s_mov_b64 s[4:5], -1
                                        ; implicit-def: $sgpr10
	s_and_saveexec_b64 s[8:9], s[12:13]
; %bb.3854:
	s_mov_b32 s10, 0x7f800001
	s_xor_b64 s[4:5], exec, -1
; %bb.3855:
	s_or_b64 exec, exec, s[8:9]
	s_and_b64 s[4:5], s[4:5], exec
	s_or_saveexec_b64 s[6:7], s[6:7]
	v_mov_b32_e32 v20, s10
	s_xor_b64 exec, exec, s[6:7]
	s_cbranch_execz .LBB38_1806
.LBB38_3856:
	v_mov_b32_e32 v20, 0
	v_cmp_ne_u16_sdwa s[8:9], v19, v20 src0_sel:BYTE_0 src1_sel:DWORD
	s_andn2_b64 s[4:5], s[4:5], exec
	s_and_b64 s[8:9], s[8:9], exec
	s_or_b64 s[4:5], s[4:5], s[8:9]
	s_or_b64 exec, exec, s[6:7]
	s_and_saveexec_b64 s[6:7], s[4:5]
	s_cbranch_execnz .LBB38_1807
	s_branch .LBB38_1808
.LBB38_3857:
	s_movk_i32 s4, 0x80
	v_cmp_eq_u16_e32 vcc, s4, v19
	s_mov_b64 s[4:5], -1
                                        ; implicit-def: $sgpr10
	s_and_saveexec_b64 s[8:9], vcc
; %bb.3858:
	s_mov_b32 s10, 0x7f800001
	s_xor_b64 s[4:5], exec, -1
; %bb.3859:
	s_or_b64 exec, exec, s[8:9]
	s_and_b64 s[4:5], s[4:5], exec
                                        ; implicit-def: $vgpr19
	s_or_saveexec_b64 s[6:7], s[6:7]
	v_mov_b32_e32 v18, s10
	s_xor_b64 exec, exec, s[6:7]
	s_cbranch_execz .LBB38_1810
.LBB38_3860:
	v_cmp_ne_u16_e32 vcc, 0, v19
	s_andn2_b64 s[4:5], s[4:5], exec
	s_and_b64 s[8:9], vcc, exec
	v_mov_b32_e32 v18, 0
	s_or_b64 s[4:5], s[4:5], s[8:9]
	s_or_b64 exec, exec, s[6:7]
	s_and_saveexec_b64 s[6:7], s[4:5]
	s_cbranch_execnz .LBB38_1811
	s_branch .LBB38_1812
.LBB38_3861:
	s_movk_i32 s4, 0x80
	v_cmp_eq_u16_e32 vcc, s4, v19
	s_mov_b64 s[4:5], -1
                                        ; implicit-def: $sgpr10
	s_and_saveexec_b64 s[8:9], vcc
; %bb.3862:
	s_mov_b32 s10, 0x7f800001
	s_xor_b64 s[4:5], exec, -1
; %bb.3863:
	s_or_b64 exec, exec, s[8:9]
	s_and_b64 s[4:5], s[4:5], exec
                                        ; implicit-def: $vgpr19
	s_or_saveexec_b64 s[6:7], s[6:7]
	v_mov_b32_e32 v20, s10
	s_xor_b64 exec, exec, s[6:7]
	s_cbranch_execz .LBB38_1814
.LBB38_3864:
	v_cmp_ne_u16_e32 vcc, 0, v19
	s_andn2_b64 s[4:5], s[4:5], exec
	s_and_b64 s[8:9], vcc, exec
	v_mov_b32_e32 v20, 0
	s_or_b64 s[4:5], s[4:5], s[8:9]
	s_or_b64 exec, exec, s[6:7]
	s_and_saveexec_b64 s[6:7], s[4:5]
	s_cbranch_execnz .LBB38_1815
	s_branch .LBB38_1816
.LBB38_3865:
	s_movk_i32 s4, 0x80
	v_cmp_eq_u16_sdwa s[12:13], v12, s4 src0_sel:BYTE_3 src1_sel:DWORD
	s_mov_b64 s[4:5], -1
                                        ; implicit-def: $sgpr10
	s_and_saveexec_b64 s[8:9], s[12:13]
; %bb.3866:
	s_mov_b32 s10, 0x7f800001
	s_xor_b64 s[4:5], exec, -1
; %bb.3867:
	s_or_b64 exec, exec, s[8:9]
	s_and_b64 s[4:5], s[4:5], exec
	s_or_saveexec_b64 s[6:7], s[6:7]
	v_mov_b32_e32 v18, s10
	s_xor_b64 exec, exec, s[6:7]
	s_cbranch_execz .LBB38_1818
.LBB38_3868:
	v_mov_b32_e32 v18, 0
	v_cmp_ne_u16_sdwa s[8:9], v12, v18 src0_sel:BYTE_3 src1_sel:DWORD
	s_andn2_b64 s[4:5], s[4:5], exec
	s_and_b64 s[8:9], s[8:9], exec
	s_or_b64 s[4:5], s[4:5], s[8:9]
	s_or_b64 exec, exec, s[6:7]
	s_and_saveexec_b64 s[6:7], s[4:5]
	s_cbranch_execnz .LBB38_1819
	s_branch .LBB38_1820
.LBB38_3869:
	s_movk_i32 s4, 0x80
	v_cmp_eq_u16_sdwa s[12:13], v8, s4 src0_sel:BYTE_3 src1_sel:DWORD
	s_mov_b64 s[4:5], -1
                                        ; implicit-def: $sgpr10
	s_and_saveexec_b64 s[8:9], s[12:13]
; %bb.3870:
	s_mov_b32 s10, 0x7f800001
	s_xor_b64 s[4:5], exec, -1
; %bb.3871:
	s_or_b64 exec, exec, s[8:9]
	s_and_b64 s[4:5], s[4:5], exec
	s_or_saveexec_b64 s[6:7], s[6:7]
	v_mov_b32_e32 v12, s10
	s_xor_b64 exec, exec, s[6:7]
	s_cbranch_execz .LBB38_1822
.LBB38_3872:
	v_mov_b32_e32 v12, 0
	v_cmp_ne_u16_sdwa s[8:9], v8, v12 src0_sel:BYTE_3 src1_sel:DWORD
	s_andn2_b64 s[4:5], s[4:5], exec
	s_and_b64 s[8:9], s[8:9], exec
	s_or_b64 s[4:5], s[4:5], s[8:9]
	s_or_b64 exec, exec, s[6:7]
	s_and_saveexec_b64 s[6:7], s[4:5]
	s_cbranch_execnz .LBB38_1823
	s_branch .LBB38_1824
.LBB38_3873:
	s_movk_i32 s4, 0x80
	v_cmp_eq_u16_sdwa s[12:13], v13, s4 src0_sel:BYTE_0 src1_sel:DWORD
	s_mov_b64 s[4:5], -1
                                        ; implicit-def: $sgpr10
	s_and_saveexec_b64 s[8:9], s[12:13]
; %bb.3874:
	s_mov_b32 s10, 0x7f800001
	s_xor_b64 s[4:5], exec, -1
; %bb.3875:
	s_or_b64 exec, exec, s[8:9]
	s_and_b64 s[4:5], s[4:5], exec
	s_or_saveexec_b64 s[6:7], s[6:7]
	v_mov_b32_e32 v8, s10
	s_xor_b64 exec, exec, s[6:7]
	s_cbranch_execz .LBB38_1826
.LBB38_3876:
	v_mov_b32_e32 v8, 0
	v_cmp_ne_u16_sdwa s[8:9], v13, v8 src0_sel:BYTE_0 src1_sel:DWORD
	s_andn2_b64 s[4:5], s[4:5], exec
	s_and_b64 s[8:9], s[8:9], exec
	s_or_b64 s[4:5], s[4:5], s[8:9]
	s_or_b64 exec, exec, s[6:7]
	s_and_saveexec_b64 s[6:7], s[4:5]
	s_cbranch_execnz .LBB38_1827
	s_branch .LBB38_1828
.LBB38_3877:
	s_movk_i32 s4, 0x80
	v_cmp_eq_u16_sdwa s[12:13], v9, s4 src0_sel:BYTE_0 src1_sel:DWORD
	s_mov_b64 s[4:5], -1
                                        ; implicit-def: $sgpr10
	s_and_saveexec_b64 s[8:9], s[12:13]
; %bb.3878:
	s_mov_b32 s10, 0x7f800001
	s_xor_b64 s[4:5], exec, -1
; %bb.3879:
	s_or_b64 exec, exec, s[8:9]
	s_and_b64 s[4:5], s[4:5], exec
	s_or_saveexec_b64 s[6:7], s[6:7]
	v_mov_b32_e32 v12, s10
	s_xor_b64 exec, exec, s[6:7]
	s_cbranch_execz .LBB38_1830
.LBB38_3880:
	v_mov_b32_e32 v12, 0
	v_cmp_ne_u16_sdwa s[8:9], v9, v12 src0_sel:BYTE_0 src1_sel:DWORD
	s_andn2_b64 s[4:5], s[4:5], exec
	s_and_b64 s[8:9], s[8:9], exec
	s_or_b64 s[4:5], s[4:5], s[8:9]
	s_or_b64 exec, exec, s[6:7]
	s_and_saveexec_b64 s[6:7], s[4:5]
	s_cbranch_execnz .LBB38_1831
	s_branch .LBB38_1832
.LBB38_3881:
	s_movk_i32 s4, 0x80
	v_cmp_eq_u16_sdwa s[12:13], v12, s4 src0_sel:BYTE_0 src1_sel:DWORD
	s_mov_b64 s[4:5], -1
                                        ; implicit-def: $sgpr10
	s_and_saveexec_b64 s[8:9], s[12:13]
; %bb.3882:
	s_mov_b32 s10, 0x7f800001
	s_xor_b64 s[4:5], exec, -1
; %bb.3883:
	s_or_b64 exec, exec, s[8:9]
	s_and_b64 s[4:5], s[4:5], exec
	s_or_saveexec_b64 s[6:7], s[6:7]
	v_mov_b32_e32 v8, s10
	s_xor_b64 exec, exec, s[6:7]
	s_cbranch_execz .LBB38_1834
.LBB38_3884:
	v_mov_b32_e32 v8, 0
	v_cmp_ne_u16_sdwa s[8:9], v12, v8 src0_sel:BYTE_0 src1_sel:DWORD
	s_andn2_b64 s[4:5], s[4:5], exec
	s_and_b64 s[8:9], s[8:9], exec
	s_or_b64 s[4:5], s[4:5], s[8:9]
	s_or_b64 exec, exec, s[6:7]
	s_and_saveexec_b64 s[6:7], s[4:5]
	s_cbranch_execnz .LBB38_1835
	s_branch .LBB38_1836
.LBB38_3885:
	s_movk_i32 s4, 0x80
	v_cmp_eq_u16_sdwa s[12:13], v12, s4 src0_sel:BYTE_0 src1_sel:DWORD
	s_mov_b64 s[4:5], -1
                                        ; implicit-def: $sgpr10
	s_and_saveexec_b64 s[8:9], s[12:13]
; %bb.3886:
	s_mov_b32 s10, 0x7f800001
	s_xor_b64 s[4:5], exec, -1
; %bb.3887:
	s_or_b64 exec, exec, s[8:9]
	s_and_b64 s[4:5], s[4:5], exec
	s_or_saveexec_b64 s[6:7], s[6:7]
	v_mov_b32_e32 v18, s10
	s_xor_b64 exec, exec, s[6:7]
	s_cbranch_execz .LBB38_1838
.LBB38_3888:
	v_mov_b32_e32 v18, 0
	v_cmp_ne_u16_sdwa s[8:9], v12, v18 src0_sel:BYTE_0 src1_sel:DWORD
	s_andn2_b64 s[4:5], s[4:5], exec
	s_and_b64 s[8:9], s[8:9], exec
	s_or_b64 s[4:5], s[4:5], s[8:9]
	s_or_b64 exec, exec, s[6:7]
	s_and_saveexec_b64 s[6:7], s[4:5]
	s_cbranch_execnz .LBB38_1839
	s_branch .LBB38_1840
.LBB38_3889:
	s_movk_i32 s4, 0x80
	v_cmp_eq_u16_e32 vcc, s4, v12
	s_mov_b64 s[4:5], -1
                                        ; implicit-def: $sgpr10
	s_and_saveexec_b64 s[8:9], vcc
; %bb.3890:
	s_mov_b32 s10, 0x7f800001
	s_xor_b64 s[4:5], exec, -1
; %bb.3891:
	s_or_b64 exec, exec, s[8:9]
	s_and_b64 s[4:5], s[4:5], exec
                                        ; implicit-def: $vgpr12
	s_or_saveexec_b64 s[6:7], s[6:7]
	v_mov_b32_e32 v8, s10
	s_xor_b64 exec, exec, s[6:7]
	s_cbranch_execz .LBB38_1842
.LBB38_3892:
	v_cmp_ne_u16_e32 vcc, 0, v12
	s_andn2_b64 s[4:5], s[4:5], exec
	s_and_b64 s[8:9], vcc, exec
	v_mov_b32_e32 v8, 0
	s_or_b64 s[4:5], s[4:5], s[8:9]
	s_or_b64 exec, exec, s[6:7]
	s_and_saveexec_b64 s[6:7], s[4:5]
	s_cbranch_execnz .LBB38_1843
	s_branch .LBB38_1844
.LBB38_3893:
	s_movk_i32 s4, 0x80
	v_cmp_eq_u16_e32 vcc, s4, v12
	s_mov_b64 s[4:5], -1
                                        ; implicit-def: $sgpr10
	s_and_saveexec_b64 s[8:9], vcc
; %bb.3894:
	s_mov_b32 s10, 0x7f800001
	s_xor_b64 s[4:5], exec, -1
; %bb.3895:
	s_or_b64 exec, exec, s[8:9]
	s_and_b64 s[4:5], s[4:5], exec
                                        ; implicit-def: $vgpr12
	s_or_saveexec_b64 s[6:7], s[6:7]
	v_mov_b32_e32 v18, s10
	s_xor_b64 exec, exec, s[6:7]
	s_cbranch_execz .LBB38_1846
.LBB38_3896:
	v_cmp_ne_u16_e32 vcc, 0, v12
	s_andn2_b64 s[4:5], s[4:5], exec
	s_and_b64 s[8:9], vcc, exec
	v_mov_b32_e32 v18, 0
	s_or_b64 s[4:5], s[4:5], s[8:9]
	s_or_b64 exec, exec, s[6:7]
	s_and_saveexec_b64 s[6:7], s[4:5]
	s_cbranch_execnz .LBB38_1847
	s_branch .LBB38_1848
.LBB38_3897:
	s_movk_i32 s4, 0x80
	v_cmp_eq_u16_sdwa s[12:13], v13, s4 src0_sel:BYTE_3 src1_sel:DWORD
	s_mov_b64 s[4:5], -1
                                        ; implicit-def: $sgpr10
	s_and_saveexec_b64 s[8:9], s[12:13]
; %bb.3898:
	s_mov_b32 s10, 0x7f800001
	s_xor_b64 s[4:5], exec, -1
; %bb.3899:
	s_or_b64 exec, exec, s[8:9]
	s_and_b64 s[4:5], s[4:5], exec
	s_or_saveexec_b64 s[6:7], s[6:7]
	v_mov_b32_e32 v8, s10
	s_xor_b64 exec, exec, s[6:7]
	s_cbranch_execz .LBB38_1850
.LBB38_3900:
	v_mov_b32_e32 v8, 0
	v_cmp_ne_u16_sdwa s[8:9], v13, v8 src0_sel:BYTE_3 src1_sel:DWORD
	s_andn2_b64 s[4:5], s[4:5], exec
	s_and_b64 s[8:9], s[8:9], exec
	s_or_b64 s[4:5], s[4:5], s[8:9]
	s_or_b64 exec, exec, s[6:7]
	s_and_saveexec_b64 s[6:7], s[4:5]
	s_cbranch_execnz .LBB38_1851
	s_branch .LBB38_1852
.LBB38_3901:
	s_movk_i32 s4, 0x80
	v_cmp_eq_u16_sdwa s[12:13], v9, s4 src0_sel:BYTE_3 src1_sel:DWORD
	s_mov_b64 s[4:5], -1
                                        ; implicit-def: $sgpr10
	s_and_saveexec_b64 s[8:9], s[12:13]
; %bb.3902:
	s_mov_b32 s10, 0x7f800001
	s_xor_b64 s[4:5], exec, -1
; %bb.3903:
	s_or_b64 exec, exec, s[8:9]
	s_and_b64 s[4:5], s[4:5], exec
	s_or_saveexec_b64 s[6:7], s[6:7]
	v_mov_b32_e32 v12, s10
	s_xor_b64 exec, exec, s[6:7]
	s_cbranch_execz .LBB38_1854
.LBB38_3904:
	v_mov_b32_e32 v12, 0
	v_cmp_ne_u16_sdwa s[8:9], v9, v12 src0_sel:BYTE_3 src1_sel:DWORD
	s_andn2_b64 s[4:5], s[4:5], exec
	s_and_b64 s[8:9], s[8:9], exec
	s_or_b64 s[4:5], s[4:5], s[8:9]
	s_or_b64 exec, exec, s[6:7]
	s_and_saveexec_b64 s[6:7], s[4:5]
	s_cbranch_execnz .LBB38_1855
	s_branch .LBB38_1856
.LBB38_3905:
	s_movk_i32 s4, 0x80
	v_cmp_eq_u16_sdwa s[12:13], v14, s4 src0_sel:BYTE_0 src1_sel:DWORD
	s_mov_b64 s[4:5], -1
                                        ; implicit-def: $sgpr10
	s_and_saveexec_b64 s[8:9], s[12:13]
; %bb.3906:
	s_mov_b32 s10, 0x7f800001
	s_xor_b64 s[4:5], exec, -1
; %bb.3907:
	s_or_b64 exec, exec, s[8:9]
	s_and_b64 s[4:5], s[4:5], exec
	s_or_saveexec_b64 s[6:7], s[6:7]
	v_mov_b32_e32 v8, s10
	s_xor_b64 exec, exec, s[6:7]
	s_cbranch_execz .LBB38_1858
.LBB38_3908:
	v_mov_b32_e32 v8, 0
	v_cmp_ne_u16_sdwa s[8:9], v14, v8 src0_sel:BYTE_0 src1_sel:DWORD
	s_andn2_b64 s[4:5], s[4:5], exec
	s_and_b64 s[8:9], s[8:9], exec
	s_or_b64 s[4:5], s[4:5], s[8:9]
	s_or_b64 exec, exec, s[6:7]
	s_and_saveexec_b64 s[6:7], s[4:5]
	s_cbranch_execnz .LBB38_1859
	s_branch .LBB38_1860
.LBB38_3909:
	s_movk_i32 s4, 0x80
	v_cmp_eq_u16_sdwa s[12:13], v10, s4 src0_sel:BYTE_0 src1_sel:DWORD
	s_mov_b64 s[4:5], -1
                                        ; implicit-def: $sgpr10
	s_and_saveexec_b64 s[8:9], s[12:13]
; %bb.3910:
	s_mov_b32 s10, 0x7f800001
	s_xor_b64 s[4:5], exec, -1
; %bb.3911:
	s_or_b64 exec, exec, s[8:9]
	s_and_b64 s[4:5], s[4:5], exec
	s_or_saveexec_b64 s[6:7], s[6:7]
	v_mov_b32_e32 v9, s10
	s_xor_b64 exec, exec, s[6:7]
	s_cbranch_execz .LBB38_1862
.LBB38_3912:
	v_mov_b32_e32 v9, 0
	v_cmp_ne_u16_sdwa s[8:9], v10, v9 src0_sel:BYTE_0 src1_sel:DWORD
	s_andn2_b64 s[4:5], s[4:5], exec
	s_and_b64 s[8:9], s[8:9], exec
	s_or_b64 s[4:5], s[4:5], s[8:9]
	s_or_b64 exec, exec, s[6:7]
	s_and_saveexec_b64 s[6:7], s[4:5]
	s_cbranch_execnz .LBB38_1863
	s_branch .LBB38_1864
.LBB38_3913:
	s_movk_i32 s4, 0x80
	v_cmp_eq_u16_sdwa s[12:13], v9, s4 src0_sel:BYTE_0 src1_sel:DWORD
	s_mov_b64 s[4:5], -1
                                        ; implicit-def: $sgpr10
	s_and_saveexec_b64 s[8:9], s[12:13]
; %bb.3914:
	s_mov_b32 s10, 0x7f800001
	s_xor_b64 s[4:5], exec, -1
; %bb.3915:
	s_or_b64 exec, exec, s[8:9]
	s_and_b64 s[4:5], s[4:5], exec
	s_or_saveexec_b64 s[6:7], s[6:7]
	v_mov_b32_e32 v8, s10
	s_xor_b64 exec, exec, s[6:7]
	s_cbranch_execz .LBB38_1866
.LBB38_3916:
	v_mov_b32_e32 v8, 0
	v_cmp_ne_u16_sdwa s[8:9], v9, v8 src0_sel:BYTE_0 src1_sel:DWORD
	s_andn2_b64 s[4:5], s[4:5], exec
	s_and_b64 s[8:9], s[8:9], exec
	s_or_b64 s[4:5], s[4:5], s[8:9]
	s_or_b64 exec, exec, s[6:7]
	s_and_saveexec_b64 s[6:7], s[4:5]
	s_cbranch_execnz .LBB38_1867
	s_branch .LBB38_1868
.LBB38_3917:
	s_movk_i32 s4, 0x80
	v_cmp_eq_u16_sdwa s[12:13], v9, s4 src0_sel:BYTE_0 src1_sel:DWORD
	s_mov_b64 s[4:5], -1
                                        ; implicit-def: $sgpr10
	s_and_saveexec_b64 s[8:9], s[12:13]
; %bb.3918:
	s_mov_b32 s10, 0x7f800001
	s_xor_b64 s[4:5], exec, -1
; %bb.3919:
	s_or_b64 exec, exec, s[8:9]
	s_and_b64 s[4:5], s[4:5], exec
	s_or_saveexec_b64 s[6:7], s[6:7]
	v_mov_b32_e32 v12, s10
	s_xor_b64 exec, exec, s[6:7]
	s_cbranch_execz .LBB38_1870
.LBB38_3920:
	v_mov_b32_e32 v12, 0
	v_cmp_ne_u16_sdwa s[8:9], v9, v12 src0_sel:BYTE_0 src1_sel:DWORD
	s_andn2_b64 s[4:5], s[4:5], exec
	s_and_b64 s[8:9], s[8:9], exec
	s_or_b64 s[4:5], s[4:5], s[8:9]
	s_or_b64 exec, exec, s[6:7]
	s_and_saveexec_b64 s[6:7], s[4:5]
	s_cbranch_execnz .LBB38_1871
	s_branch .LBB38_1872
.LBB38_3921:
	s_movk_i32 s4, 0x80
	v_cmp_eq_u16_e32 vcc, s4, v9
	s_mov_b64 s[4:5], -1
                                        ; implicit-def: $sgpr10
	s_and_saveexec_b64 s[8:9], vcc
; %bb.3922:
	s_mov_b32 s10, 0x7f800001
	s_xor_b64 s[4:5], exec, -1
; %bb.3923:
	s_or_b64 exec, exec, s[8:9]
	s_and_b64 s[4:5], s[4:5], exec
                                        ; implicit-def: $vgpr9
	s_or_saveexec_b64 s[6:7], s[6:7]
	v_mov_b32_e32 v8, s10
	s_xor_b64 exec, exec, s[6:7]
	s_cbranch_execz .LBB38_1874
.LBB38_3924:
	v_cmp_ne_u16_e32 vcc, 0, v9
	s_andn2_b64 s[4:5], s[4:5], exec
	s_and_b64 s[8:9], vcc, exec
	v_mov_b32_e32 v8, 0
	s_or_b64 s[4:5], s[4:5], s[8:9]
	s_or_b64 exec, exec, s[6:7]
	s_and_saveexec_b64 s[6:7], s[4:5]
	s_cbranch_execnz .LBB38_1875
	s_branch .LBB38_1876
.LBB38_3925:
	s_movk_i32 s4, 0x80
	v_cmp_eq_u16_e32 vcc, s4, v9
	s_mov_b64 s[4:5], -1
                                        ; implicit-def: $sgpr10
	s_and_saveexec_b64 s[8:9], vcc
; %bb.3926:
	s_mov_b32 s10, 0x7f800001
	s_xor_b64 s[4:5], exec, -1
; %bb.3927:
	s_or_b64 exec, exec, s[8:9]
	s_and_b64 s[4:5], s[4:5], exec
                                        ; implicit-def: $vgpr9
	s_or_saveexec_b64 s[6:7], s[6:7]
	v_mov_b32_e32 v12, s10
	s_xor_b64 exec, exec, s[6:7]
	s_cbranch_execz .LBB38_1878
.LBB38_3928:
	v_cmp_ne_u16_e32 vcc, 0, v9
	s_andn2_b64 s[4:5], s[4:5], exec
	s_and_b64 s[8:9], vcc, exec
	v_mov_b32_e32 v12, 0
	s_or_b64 s[4:5], s[4:5], s[8:9]
	s_or_b64 exec, exec, s[6:7]
	s_and_saveexec_b64 s[6:7], s[4:5]
	s_cbranch_execnz .LBB38_1879
	s_branch .LBB38_1880
.LBB38_3929:
	s_movk_i32 s4, 0x80
	v_cmp_eq_u16_sdwa s[12:13], v14, s4 src0_sel:BYTE_3 src1_sel:DWORD
	s_mov_b64 s[4:5], -1
                                        ; implicit-def: $sgpr10
	s_and_saveexec_b64 s[8:9], s[12:13]
; %bb.3930:
	s_mov_b32 s10, 0x7f800001
	s_xor_b64 s[4:5], exec, -1
; %bb.3931:
	s_or_b64 exec, exec, s[8:9]
	s_and_b64 s[4:5], s[4:5], exec
	s_or_saveexec_b64 s[6:7], s[6:7]
	v_mov_b32_e32 v8, s10
	s_xor_b64 exec, exec, s[6:7]
	s_cbranch_execz .LBB38_1882
.LBB38_3932:
	v_mov_b32_e32 v8, 0
	v_cmp_ne_u16_sdwa s[8:9], v14, v8 src0_sel:BYTE_3 src1_sel:DWORD
	s_andn2_b64 s[4:5], s[4:5], exec
	s_and_b64 s[8:9], s[8:9], exec
	s_or_b64 s[4:5], s[4:5], s[8:9]
	s_or_b64 exec, exec, s[6:7]
	s_and_saveexec_b64 s[6:7], s[4:5]
	s_cbranch_execnz .LBB38_1883
	s_branch .LBB38_1884
.LBB38_3933:
	s_movk_i32 s4, 0x80
	v_cmp_eq_u16_sdwa s[12:13], v10, s4 src0_sel:BYTE_3 src1_sel:DWORD
	s_mov_b64 s[4:5], -1
                                        ; implicit-def: $sgpr10
	s_and_saveexec_b64 s[8:9], s[12:13]
; %bb.3934:
	s_mov_b32 s10, 0x7f800001
	s_xor_b64 s[4:5], exec, -1
; %bb.3935:
	s_or_b64 exec, exec, s[8:9]
	s_and_b64 s[4:5], s[4:5], exec
	s_or_saveexec_b64 s[6:7], s[6:7]
	v_mov_b32_e32 v9, s10
	s_xor_b64 exec, exec, s[6:7]
	s_cbranch_execz .LBB38_1886
.LBB38_3936:
	v_mov_b32_e32 v9, 0
	v_cmp_ne_u16_sdwa s[8:9], v10, v9 src0_sel:BYTE_3 src1_sel:DWORD
	s_andn2_b64 s[4:5], s[4:5], exec
	s_and_b64 s[8:9], s[8:9], exec
	s_or_b64 s[4:5], s[4:5], s[8:9]
	s_or_b64 exec, exec, s[6:7]
	s_and_saveexec_b64 s[6:7], s[4:5]
	s_cbranch_execnz .LBB38_1887
	s_branch .LBB38_1888
.LBB38_3937:
	s_movk_i32 s4, 0x80
	v_cmp_eq_u16_sdwa s[12:13], v15, s4 src0_sel:BYTE_0 src1_sel:DWORD
	s_mov_b64 s[4:5], -1
                                        ; implicit-def: $sgpr10
	s_and_saveexec_b64 s[8:9], s[12:13]
; %bb.3938:
	s_mov_b32 s10, 0x7f800001
	s_xor_b64 s[4:5], exec, -1
; %bb.3939:
	s_or_b64 exec, exec, s[8:9]
	s_and_b64 s[4:5], s[4:5], exec
	s_or_saveexec_b64 s[6:7], s[6:7]
	v_mov_b32_e32 v8, s10
	s_xor_b64 exec, exec, s[6:7]
	s_cbranch_execz .LBB38_1890
.LBB38_3940:
	v_mov_b32_e32 v8, 0
	v_cmp_ne_u16_sdwa s[8:9], v15, v8 src0_sel:BYTE_0 src1_sel:DWORD
	s_andn2_b64 s[4:5], s[4:5], exec
	s_and_b64 s[8:9], s[8:9], exec
	s_or_b64 s[4:5], s[4:5], s[8:9]
	s_or_b64 exec, exec, s[6:7]
	s_and_saveexec_b64 s[6:7], s[4:5]
	s_cbranch_execnz .LBB38_1891
	s_branch .LBB38_1892
.LBB38_3941:
	s_movk_i32 s4, 0x80
	v_cmp_eq_u16_sdwa s[12:13], v11, s4 src0_sel:BYTE_0 src1_sel:DWORD
	s_mov_b64 s[4:5], -1
                                        ; implicit-def: $sgpr10
	s_and_saveexec_b64 s[8:9], s[12:13]
; %bb.3942:
	s_mov_b32 s10, 0x7f800001
	s_xor_b64 s[4:5], exec, -1
; %bb.3943:
	s_or_b64 exec, exec, s[8:9]
	s_and_b64 s[4:5], s[4:5], exec
	s_or_saveexec_b64 s[6:7], s[6:7]
	v_mov_b32_e32 v9, s10
	s_xor_b64 exec, exec, s[6:7]
	s_cbranch_execz .LBB38_1894
.LBB38_3944:
	v_mov_b32_e32 v9, 0
	v_cmp_ne_u16_sdwa s[8:9], v11, v9 src0_sel:BYTE_0 src1_sel:DWORD
	s_andn2_b64 s[4:5], s[4:5], exec
	s_and_b64 s[8:9], s[8:9], exec
	s_or_b64 s[4:5], s[4:5], s[8:9]
	s_or_b64 exec, exec, s[6:7]
	s_and_saveexec_b64 s[6:7], s[4:5]
	s_cbranch_execnz .LBB38_1895
	s_branch .LBB38_1896
.LBB38_3945:
	s_movk_i32 s4, 0x80
	v_cmp_eq_u16_sdwa s[12:13], v9, s4 src0_sel:BYTE_0 src1_sel:DWORD
	s_mov_b64 s[4:5], -1
                                        ; implicit-def: $sgpr10
	s_and_saveexec_b64 s[8:9], s[12:13]
; %bb.3946:
	s_mov_b32 s10, 0x7f800001
	s_xor_b64 s[4:5], exec, -1
; %bb.3947:
	s_or_b64 exec, exec, s[8:9]
	s_and_b64 s[4:5], s[4:5], exec
	s_or_saveexec_b64 s[6:7], s[6:7]
	v_mov_b32_e32 v8, s10
	s_xor_b64 exec, exec, s[6:7]
	s_cbranch_execz .LBB38_1898
.LBB38_3948:
	v_mov_b32_e32 v8, 0
	v_cmp_ne_u16_sdwa s[8:9], v9, v8 src0_sel:BYTE_0 src1_sel:DWORD
	s_andn2_b64 s[4:5], s[4:5], exec
	s_and_b64 s[8:9], s[8:9], exec
	s_or_b64 s[4:5], s[4:5], s[8:9]
	s_or_b64 exec, exec, s[6:7]
	s_and_saveexec_b64 s[6:7], s[4:5]
	s_cbranch_execnz .LBB38_1899
	s_branch .LBB38_1900
.LBB38_3949:
	s_movk_i32 s4, 0x80
	v_cmp_eq_u16_sdwa s[12:13], v9, s4 src0_sel:BYTE_0 src1_sel:DWORD
	s_mov_b64 s[4:5], -1
                                        ; implicit-def: $sgpr10
	s_and_saveexec_b64 s[8:9], s[12:13]
; %bb.3950:
	s_mov_b32 s10, 0x7f800001
	s_xor_b64 s[4:5], exec, -1
; %bb.3951:
	s_or_b64 exec, exec, s[8:9]
	s_and_b64 s[4:5], s[4:5], exec
	s_or_saveexec_b64 s[6:7], s[6:7]
	v_mov_b32_e32 v10, s10
	s_xor_b64 exec, exec, s[6:7]
	s_cbranch_execz .LBB38_1902
.LBB38_3952:
	v_mov_b32_e32 v10, 0
	v_cmp_ne_u16_sdwa s[8:9], v9, v10 src0_sel:BYTE_0 src1_sel:DWORD
	s_andn2_b64 s[4:5], s[4:5], exec
	s_and_b64 s[8:9], s[8:9], exec
	s_or_b64 s[4:5], s[4:5], s[8:9]
	s_or_b64 exec, exec, s[6:7]
	s_and_saveexec_b64 s[6:7], s[4:5]
	s_cbranch_execnz .LBB38_1903
	s_branch .LBB38_1904
.LBB38_3953:
	s_movk_i32 s4, 0x80
	v_cmp_eq_u16_e32 vcc, s4, v9
	s_mov_b64 s[4:5], -1
                                        ; implicit-def: $sgpr10
	s_and_saveexec_b64 s[8:9], vcc
; %bb.3954:
	s_mov_b32 s10, 0x7f800001
	s_xor_b64 s[4:5], exec, -1
; %bb.3955:
	s_or_b64 exec, exec, s[8:9]
	s_and_b64 s[4:5], s[4:5], exec
                                        ; implicit-def: $vgpr9
	s_or_saveexec_b64 s[6:7], s[6:7]
	v_mov_b32_e32 v8, s10
	s_xor_b64 exec, exec, s[6:7]
	s_cbranch_execz .LBB38_1906
.LBB38_3956:
	v_cmp_ne_u16_e32 vcc, 0, v9
	s_andn2_b64 s[4:5], s[4:5], exec
	s_and_b64 s[8:9], vcc, exec
	v_mov_b32_e32 v8, 0
	s_or_b64 s[4:5], s[4:5], s[8:9]
	s_or_b64 exec, exec, s[6:7]
	s_and_saveexec_b64 s[6:7], s[4:5]
	s_cbranch_execnz .LBB38_1907
	s_branch .LBB38_1908
.LBB38_3957:
	s_movk_i32 s4, 0x80
	v_cmp_eq_u16_e32 vcc, s4, v9
	s_mov_b64 s[4:5], -1
                                        ; implicit-def: $sgpr10
	s_and_saveexec_b64 s[8:9], vcc
; %bb.3958:
	s_mov_b32 s10, 0x7f800001
	s_xor_b64 s[4:5], exec, -1
; %bb.3959:
	s_or_b64 exec, exec, s[8:9]
	s_and_b64 s[4:5], s[4:5], exec
                                        ; implicit-def: $vgpr9
	s_or_saveexec_b64 s[6:7], s[6:7]
	v_mov_b32_e32 v10, s10
	s_xor_b64 exec, exec, s[6:7]
	s_cbranch_execz .LBB38_1910
.LBB38_3960:
	v_cmp_ne_u16_e32 vcc, 0, v9
	s_andn2_b64 s[4:5], s[4:5], exec
	s_and_b64 s[8:9], vcc, exec
	v_mov_b32_e32 v10, 0
	s_or_b64 s[4:5], s[4:5], s[8:9]
	s_or_b64 exec, exec, s[6:7]
	s_and_saveexec_b64 s[6:7], s[4:5]
	s_cbranch_execnz .LBB38_1911
	s_branch .LBB38_1912
.LBB38_3961:
	s_movk_i32 s4, 0x80
	v_cmp_eq_u16_sdwa s[12:13], v15, s4 src0_sel:BYTE_3 src1_sel:DWORD
	s_mov_b64 s[4:5], -1
                                        ; implicit-def: $sgpr10
	s_and_saveexec_b64 s[8:9], s[12:13]
; %bb.3962:
	s_mov_b32 s10, 0x7f800001
	s_xor_b64 s[4:5], exec, -1
; %bb.3963:
	s_or_b64 exec, exec, s[8:9]
	s_and_b64 s[4:5], s[4:5], exec
	s_or_saveexec_b64 s[6:7], s[6:7]
	v_mov_b32_e32 v8, s10
	s_xor_b64 exec, exec, s[6:7]
	s_cbranch_execz .LBB38_1914
.LBB38_3964:
	v_mov_b32_e32 v8, 0
	v_cmp_ne_u16_sdwa s[8:9], v15, v8 src0_sel:BYTE_3 src1_sel:DWORD
	s_andn2_b64 s[4:5], s[4:5], exec
	s_and_b64 s[8:9], s[8:9], exec
	s_or_b64 s[4:5], s[4:5], s[8:9]
	s_or_b64 exec, exec, s[6:7]
	s_and_saveexec_b64 s[6:7], s[4:5]
	s_cbranch_execnz .LBB38_1915
	s_branch .LBB38_1916
.LBB38_3965:
	s_movk_i32 s4, 0x80
	v_cmp_eq_u16_sdwa s[12:13], v11, s4 src0_sel:BYTE_3 src1_sel:DWORD
	s_mov_b64 s[4:5], -1
                                        ; implicit-def: $sgpr10
	s_and_saveexec_b64 s[8:9], s[12:13]
; %bb.3966:
	s_mov_b32 s10, 0x7f800001
	s_xor_b64 s[4:5], exec, -1
; %bb.3967:
	s_or_b64 exec, exec, s[8:9]
	s_and_b64 s[4:5], s[4:5], exec
	s_or_saveexec_b64 s[6:7], s[6:7]
	v_mov_b32_e32 v9, s10
	s_xor_b64 exec, exec, s[6:7]
	s_cbranch_execz .LBB38_1918
.LBB38_3968:
	v_mov_b32_e32 v9, 0
	v_cmp_ne_u16_sdwa s[8:9], v11, v9 src0_sel:BYTE_3 src1_sel:DWORD
	s_andn2_b64 s[4:5], s[4:5], exec
	s_and_b64 s[8:9], s[8:9], exec
	s_or_b64 s[4:5], s[4:5], s[8:9]
	s_or_b64 exec, exec, s[6:7]
	s_and_saveexec_b64 s[6:7], s[4:5]
	s_cbranch_execnz .LBB38_1919
	s_branch .LBB38_1920
.LBB38_3969:
	s_movk_i32 s4, 0x80
	v_cmp_eq_u16_sdwa s[12:13], v4, s4 src0_sel:BYTE_0 src1_sel:DWORD
	s_mov_b64 s[4:5], -1
                                        ; implicit-def: $sgpr10
	s_and_saveexec_b64 s[8:9], s[12:13]
; %bb.3970:
	s_mov_b32 s10, 0x7f800001
	s_xor_b64 s[4:5], exec, -1
; %bb.3971:
	s_or_b64 exec, exec, s[8:9]
	s_and_b64 s[4:5], s[4:5], exec
	s_or_saveexec_b64 s[6:7], s[6:7]
	v_mov_b32_e32 v8, s10
	s_xor_b64 exec, exec, s[6:7]
	s_cbranch_execz .LBB38_1922
.LBB38_3972:
	v_mov_b32_e32 v8, 0
	v_cmp_ne_u16_sdwa s[8:9], v4, v8 src0_sel:BYTE_0 src1_sel:DWORD
	s_andn2_b64 s[4:5], s[4:5], exec
	s_and_b64 s[8:9], s[8:9], exec
	s_or_b64 s[4:5], s[4:5], s[8:9]
	s_or_b64 exec, exec, s[6:7]
	s_and_saveexec_b64 s[6:7], s[4:5]
	s_cbranch_execnz .LBB38_1923
	s_branch .LBB38_1924
.LBB38_3973:
	s_movk_i32 s4, 0x80
	v_cmp_eq_u16_sdwa s[12:13], v0, s4 src0_sel:BYTE_0 src1_sel:DWORD
	s_mov_b64 s[4:5], -1
                                        ; implicit-def: $sgpr10
	s_and_saveexec_b64 s[8:9], s[12:13]
; %bb.3974:
	s_mov_b32 s10, 0x7f800001
	s_xor_b64 s[4:5], exec, -1
; %bb.3975:
	s_or_b64 exec, exec, s[8:9]
	s_and_b64 s[4:5], s[4:5], exec
	s_or_saveexec_b64 s[6:7], s[6:7]
	v_mov_b32_e32 v9, s10
	s_xor_b64 exec, exec, s[6:7]
	s_cbranch_execz .LBB38_1926
.LBB38_3976:
	v_mov_b32_e32 v9, 0
	v_cmp_ne_u16_sdwa s[8:9], v0, v9 src0_sel:BYTE_0 src1_sel:DWORD
	s_andn2_b64 s[4:5], s[4:5], exec
	s_and_b64 s[8:9], s[8:9], exec
	s_or_b64 s[4:5], s[4:5], s[8:9]
	s_or_b64 exec, exec, s[6:7]
	s_and_saveexec_b64 s[6:7], s[4:5]
	s_cbranch_execnz .LBB38_1927
	s_branch .LBB38_1928
.LBB38_3977:
	s_movk_i32 s4, 0x80
	v_cmp_eq_u16_sdwa s[12:13], v9, s4 src0_sel:BYTE_0 src1_sel:DWORD
	s_mov_b64 s[4:5], -1
                                        ; implicit-def: $sgpr10
	s_and_saveexec_b64 s[8:9], s[12:13]
; %bb.3978:
	s_mov_b32 s10, 0x7f800001
	s_xor_b64 s[4:5], exec, -1
; %bb.3979:
	s_or_b64 exec, exec, s[8:9]
	s_and_b64 s[4:5], s[4:5], exec
	s_or_saveexec_b64 s[6:7], s[6:7]
	v_mov_b32_e32 v8, s10
	s_xor_b64 exec, exec, s[6:7]
	s_cbranch_execz .LBB38_1930
.LBB38_3980:
	v_mov_b32_e32 v8, 0
	v_cmp_ne_u16_sdwa s[8:9], v9, v8 src0_sel:BYTE_0 src1_sel:DWORD
	s_andn2_b64 s[4:5], s[4:5], exec
	s_and_b64 s[8:9], s[8:9], exec
	s_or_b64 s[4:5], s[4:5], s[8:9]
	s_or_b64 exec, exec, s[6:7]
	s_and_saveexec_b64 s[6:7], s[4:5]
	s_cbranch_execnz .LBB38_1931
	s_branch .LBB38_1932
.LBB38_3981:
	s_movk_i32 s4, 0x80
	v_cmp_eq_u16_sdwa s[12:13], v9, s4 src0_sel:BYTE_0 src1_sel:DWORD
	s_mov_b64 s[4:5], -1
                                        ; implicit-def: $sgpr10
	s_and_saveexec_b64 s[8:9], s[12:13]
; %bb.3982:
	s_mov_b32 s10, 0x7f800001
	s_xor_b64 s[4:5], exec, -1
; %bb.3983:
	s_or_b64 exec, exec, s[8:9]
	s_and_b64 s[4:5], s[4:5], exec
	s_or_saveexec_b64 s[6:7], s[6:7]
	v_mov_b32_e32 v10, s10
	s_xor_b64 exec, exec, s[6:7]
	s_cbranch_execz .LBB38_1934
.LBB38_3984:
	v_mov_b32_e32 v10, 0
	v_cmp_ne_u16_sdwa s[8:9], v9, v10 src0_sel:BYTE_0 src1_sel:DWORD
	s_andn2_b64 s[4:5], s[4:5], exec
	s_and_b64 s[8:9], s[8:9], exec
	s_or_b64 s[4:5], s[4:5], s[8:9]
	s_or_b64 exec, exec, s[6:7]
	s_and_saveexec_b64 s[6:7], s[4:5]
	s_cbranch_execnz .LBB38_1935
	s_branch .LBB38_1936
.LBB38_3985:
	s_movk_i32 s4, 0x80
	v_cmp_eq_u16_e32 vcc, s4, v9
	s_mov_b64 s[4:5], -1
                                        ; implicit-def: $sgpr10
	s_and_saveexec_b64 s[8:9], vcc
; %bb.3986:
	s_mov_b32 s10, 0x7f800001
	s_xor_b64 s[4:5], exec, -1
; %bb.3987:
	s_or_b64 exec, exec, s[8:9]
	s_and_b64 s[4:5], s[4:5], exec
                                        ; implicit-def: $vgpr9
	s_or_saveexec_b64 s[6:7], s[6:7]
	v_mov_b32_e32 v8, s10
	s_xor_b64 exec, exec, s[6:7]
	s_cbranch_execz .LBB38_1938
.LBB38_3988:
	v_cmp_ne_u16_e32 vcc, 0, v9
	s_andn2_b64 s[4:5], s[4:5], exec
	s_and_b64 s[8:9], vcc, exec
	v_mov_b32_e32 v8, 0
	s_or_b64 s[4:5], s[4:5], s[8:9]
	s_or_b64 exec, exec, s[6:7]
	s_and_saveexec_b64 s[6:7], s[4:5]
	s_cbranch_execnz .LBB38_1939
	s_branch .LBB38_1940
.LBB38_3989:
	s_movk_i32 s4, 0x80
	v_cmp_eq_u16_e32 vcc, s4, v9
	s_mov_b64 s[4:5], -1
                                        ; implicit-def: $sgpr10
	s_and_saveexec_b64 s[8:9], vcc
; %bb.3990:
	s_mov_b32 s10, 0x7f800001
	s_xor_b64 s[4:5], exec, -1
; %bb.3991:
	s_or_b64 exec, exec, s[8:9]
	s_and_b64 s[4:5], s[4:5], exec
                                        ; implicit-def: $vgpr9
	s_or_saveexec_b64 s[6:7], s[6:7]
	v_mov_b32_e32 v10, s10
	s_xor_b64 exec, exec, s[6:7]
	s_cbranch_execz .LBB38_1942
.LBB38_3992:
	v_cmp_ne_u16_e32 vcc, 0, v9
	s_andn2_b64 s[4:5], s[4:5], exec
	s_and_b64 s[8:9], vcc, exec
	v_mov_b32_e32 v10, 0
	s_or_b64 s[4:5], s[4:5], s[8:9]
	s_or_b64 exec, exec, s[6:7]
	s_and_saveexec_b64 s[6:7], s[4:5]
	s_cbranch_execnz .LBB38_1943
	s_branch .LBB38_1944
.LBB38_3993:
	s_movk_i32 s4, 0x80
	v_cmp_eq_u16_sdwa s[12:13], v4, s4 src0_sel:BYTE_3 src1_sel:DWORD
	s_mov_b64 s[4:5], -1
                                        ; implicit-def: $sgpr10
	s_and_saveexec_b64 s[8:9], s[12:13]
; %bb.3994:
	s_mov_b32 s10, 0x7f800001
	s_xor_b64 s[4:5], exec, -1
; %bb.3995:
	s_or_b64 exec, exec, s[8:9]
	s_and_b64 s[4:5], s[4:5], exec
	s_or_saveexec_b64 s[6:7], s[6:7]
	v_mov_b32_e32 v8, s10
	s_xor_b64 exec, exec, s[6:7]
	s_cbranch_execz .LBB38_1946
.LBB38_3996:
	v_mov_b32_e32 v8, 0
	v_cmp_ne_u16_sdwa s[8:9], v4, v8 src0_sel:BYTE_3 src1_sel:DWORD
	s_andn2_b64 s[4:5], s[4:5], exec
	s_and_b64 s[8:9], s[8:9], exec
	s_or_b64 s[4:5], s[4:5], s[8:9]
	s_or_b64 exec, exec, s[6:7]
	s_and_saveexec_b64 s[6:7], s[4:5]
	s_cbranch_execnz .LBB38_1947
	s_branch .LBB38_1948
.LBB38_3997:
	s_movk_i32 s4, 0x80
	v_cmp_eq_u16_sdwa s[12:13], v0, s4 src0_sel:BYTE_3 src1_sel:DWORD
	s_mov_b64 s[4:5], -1
                                        ; implicit-def: $sgpr10
	s_and_saveexec_b64 s[8:9], s[12:13]
; %bb.3998:
	s_mov_b32 s10, 0x7f800001
	s_xor_b64 s[4:5], exec, -1
; %bb.3999:
	s_or_b64 exec, exec, s[8:9]
	s_and_b64 s[4:5], s[4:5], exec
	s_or_saveexec_b64 s[6:7], s[6:7]
	v_mov_b32_e32 v4, s10
	s_xor_b64 exec, exec, s[6:7]
	s_cbranch_execz .LBB38_1950
.LBB38_4000:
	v_mov_b32_e32 v4, 0
	v_cmp_ne_u16_sdwa s[8:9], v0, v4 src0_sel:BYTE_3 src1_sel:DWORD
	s_andn2_b64 s[4:5], s[4:5], exec
	s_and_b64 s[8:9], s[8:9], exec
	s_or_b64 s[4:5], s[4:5], s[8:9]
	s_or_b64 exec, exec, s[6:7]
	s_and_saveexec_b64 s[6:7], s[4:5]
	s_cbranch_execnz .LBB38_1951
	s_branch .LBB38_1952
.LBB38_4001:
	s_movk_i32 s4, 0x80
	v_cmp_eq_u16_sdwa s[12:13], v5, s4 src0_sel:BYTE_0 src1_sel:DWORD
	s_mov_b64 s[4:5], -1
                                        ; implicit-def: $sgpr10
	s_and_saveexec_b64 s[8:9], s[12:13]
; %bb.4002:
	s_mov_b32 s10, 0x7f800001
	s_xor_b64 s[4:5], exec, -1
; %bb.4003:
	s_or_b64 exec, exec, s[8:9]
	s_and_b64 s[4:5], s[4:5], exec
	s_or_saveexec_b64 s[6:7], s[6:7]
	v_mov_b32_e32 v0, s10
	s_xor_b64 exec, exec, s[6:7]
	s_cbranch_execz .LBB38_1954
.LBB38_4004:
	v_mov_b32_e32 v0, 0
	v_cmp_ne_u16_sdwa s[8:9], v5, v0 src0_sel:BYTE_0 src1_sel:DWORD
	s_andn2_b64 s[4:5], s[4:5], exec
	s_and_b64 s[8:9], s[8:9], exec
	s_or_b64 s[4:5], s[4:5], s[8:9]
	s_or_b64 exec, exec, s[6:7]
	s_and_saveexec_b64 s[6:7], s[4:5]
	s_cbranch_execnz .LBB38_1955
	s_branch .LBB38_1956
.LBB38_4005:
	s_movk_i32 s4, 0x80
	v_cmp_eq_u16_sdwa s[12:13], v1, s4 src0_sel:BYTE_0 src1_sel:DWORD
	s_mov_b64 s[4:5], -1
                                        ; implicit-def: $sgpr10
	s_and_saveexec_b64 s[8:9], s[12:13]
; %bb.4006:
	s_mov_b32 s10, 0x7f800001
	s_xor_b64 s[4:5], exec, -1
; %bb.4007:
	s_or_b64 exec, exec, s[8:9]
	s_and_b64 s[4:5], s[4:5], exec
	s_or_saveexec_b64 s[6:7], s[6:7]
	v_mov_b32_e32 v4, s10
	s_xor_b64 exec, exec, s[6:7]
	s_cbranch_execz .LBB38_1958
.LBB38_4008:
	v_mov_b32_e32 v4, 0
	v_cmp_ne_u16_sdwa s[8:9], v1, v4 src0_sel:BYTE_0 src1_sel:DWORD
	s_andn2_b64 s[4:5], s[4:5], exec
	s_and_b64 s[8:9], s[8:9], exec
	s_or_b64 s[4:5], s[4:5], s[8:9]
	s_or_b64 exec, exec, s[6:7]
	s_and_saveexec_b64 s[6:7], s[4:5]
	s_cbranch_execnz .LBB38_1959
	s_branch .LBB38_1960
.LBB38_4009:
	s_movk_i32 s4, 0x80
	v_cmp_eq_u16_sdwa s[12:13], v4, s4 src0_sel:BYTE_0 src1_sel:DWORD
	s_mov_b64 s[4:5], -1
                                        ; implicit-def: $sgpr10
	s_and_saveexec_b64 s[8:9], s[12:13]
; %bb.4010:
	s_mov_b32 s10, 0x7f800001
	s_xor_b64 s[4:5], exec, -1
; %bb.4011:
	s_or_b64 exec, exec, s[8:9]
	s_and_b64 s[4:5], s[4:5], exec
	s_or_saveexec_b64 s[6:7], s[6:7]
	v_mov_b32_e32 v0, s10
	s_xor_b64 exec, exec, s[6:7]
	s_cbranch_execz .LBB38_1962
.LBB38_4012:
	v_mov_b32_e32 v0, 0
	v_cmp_ne_u16_sdwa s[8:9], v4, v0 src0_sel:BYTE_0 src1_sel:DWORD
	s_andn2_b64 s[4:5], s[4:5], exec
	s_and_b64 s[8:9], s[8:9], exec
	s_or_b64 s[4:5], s[4:5], s[8:9]
	s_or_b64 exec, exec, s[6:7]
	s_and_saveexec_b64 s[6:7], s[4:5]
	s_cbranch_execnz .LBB38_1963
	s_branch .LBB38_1964
.LBB38_4013:
	s_movk_i32 s4, 0x80
	v_cmp_eq_u16_sdwa s[12:13], v4, s4 src0_sel:BYTE_0 src1_sel:DWORD
	s_mov_b64 s[4:5], -1
                                        ; implicit-def: $sgpr10
	s_and_saveexec_b64 s[8:9], s[12:13]
; %bb.4014:
	s_mov_b32 s10, 0x7f800001
	s_xor_b64 s[4:5], exec, -1
; %bb.4015:
	s_or_b64 exec, exec, s[8:9]
	s_and_b64 s[4:5], s[4:5], exec
	s_or_saveexec_b64 s[6:7], s[6:7]
	v_mov_b32_e32 v8, s10
	s_xor_b64 exec, exec, s[6:7]
	s_cbranch_execz .LBB38_1966
.LBB38_4016:
	v_mov_b32_e32 v8, 0
	v_cmp_ne_u16_sdwa s[8:9], v4, v8 src0_sel:BYTE_0 src1_sel:DWORD
	s_andn2_b64 s[4:5], s[4:5], exec
	s_and_b64 s[8:9], s[8:9], exec
	s_or_b64 s[4:5], s[4:5], s[8:9]
	s_or_b64 exec, exec, s[6:7]
	s_and_saveexec_b64 s[6:7], s[4:5]
	s_cbranch_execnz .LBB38_1967
	s_branch .LBB38_1968
.LBB38_4017:
	s_movk_i32 s4, 0x80
	v_cmp_eq_u16_e32 vcc, s4, v4
	s_mov_b64 s[4:5], -1
                                        ; implicit-def: $sgpr10
	s_and_saveexec_b64 s[8:9], vcc
; %bb.4018:
	s_mov_b32 s10, 0x7f800001
	s_xor_b64 s[4:5], exec, -1
; %bb.4019:
	s_or_b64 exec, exec, s[8:9]
	s_and_b64 s[4:5], s[4:5], exec
                                        ; implicit-def: $vgpr4
	s_or_saveexec_b64 s[6:7], s[6:7]
	v_mov_b32_e32 v0, s10
	s_xor_b64 exec, exec, s[6:7]
	s_cbranch_execz .LBB38_1970
.LBB38_4020:
	v_cmp_ne_u16_e32 vcc, 0, v4
	s_andn2_b64 s[4:5], s[4:5], exec
	s_and_b64 s[8:9], vcc, exec
	v_mov_b32_e32 v0, 0
	s_or_b64 s[4:5], s[4:5], s[8:9]
	s_or_b64 exec, exec, s[6:7]
	s_and_saveexec_b64 s[6:7], s[4:5]
	s_cbranch_execnz .LBB38_1971
	s_branch .LBB38_1972
.LBB38_4021:
	s_movk_i32 s4, 0x80
	v_cmp_eq_u16_e32 vcc, s4, v4
	s_mov_b64 s[4:5], -1
                                        ; implicit-def: $sgpr10
	s_and_saveexec_b64 s[8:9], vcc
; %bb.4022:
	s_mov_b32 s10, 0x7f800001
	s_xor_b64 s[4:5], exec, -1
; %bb.4023:
	s_or_b64 exec, exec, s[8:9]
	s_and_b64 s[4:5], s[4:5], exec
                                        ; implicit-def: $vgpr4
	s_or_saveexec_b64 s[6:7], s[6:7]
	v_mov_b32_e32 v8, s10
	s_xor_b64 exec, exec, s[6:7]
	s_cbranch_execz .LBB38_1974
.LBB38_4024:
	v_cmp_ne_u16_e32 vcc, 0, v4
	s_andn2_b64 s[4:5], s[4:5], exec
	s_and_b64 s[8:9], vcc, exec
	v_mov_b32_e32 v8, 0
	s_or_b64 s[4:5], s[4:5], s[8:9]
	s_or_b64 exec, exec, s[6:7]
	s_and_saveexec_b64 s[6:7], s[4:5]
	s_cbranch_execnz .LBB38_1975
	s_branch .LBB38_1976
.LBB38_4025:
	s_movk_i32 s4, 0x80
	v_cmp_eq_u16_sdwa s[12:13], v5, s4 src0_sel:BYTE_3 src1_sel:DWORD
	s_mov_b64 s[4:5], -1
                                        ; implicit-def: $sgpr10
	s_and_saveexec_b64 s[8:9], s[12:13]
; %bb.4026:
	s_mov_b32 s10, 0x7f800001
	s_xor_b64 s[4:5], exec, -1
; %bb.4027:
	s_or_b64 exec, exec, s[8:9]
	s_and_b64 s[4:5], s[4:5], exec
	s_or_saveexec_b64 s[6:7], s[6:7]
	v_mov_b32_e32 v0, s10
	s_xor_b64 exec, exec, s[6:7]
	s_cbranch_execz .LBB38_1978
.LBB38_4028:
	v_mov_b32_e32 v0, 0
	v_cmp_ne_u16_sdwa s[8:9], v5, v0 src0_sel:BYTE_3 src1_sel:DWORD
	s_andn2_b64 s[4:5], s[4:5], exec
	s_and_b64 s[8:9], s[8:9], exec
	s_or_b64 s[4:5], s[4:5], s[8:9]
	s_or_b64 exec, exec, s[6:7]
	s_and_saveexec_b64 s[6:7], s[4:5]
	s_cbranch_execnz .LBB38_1979
	s_branch .LBB38_1980
.LBB38_4029:
	s_movk_i32 s4, 0x80
	v_cmp_eq_u16_sdwa s[12:13], v1, s4 src0_sel:BYTE_3 src1_sel:DWORD
	s_mov_b64 s[4:5], -1
                                        ; implicit-def: $sgpr10
	s_and_saveexec_b64 s[8:9], s[12:13]
; %bb.4030:
	s_mov_b32 s10, 0x7f800001
	s_xor_b64 s[4:5], exec, -1
; %bb.4031:
	s_or_b64 exec, exec, s[8:9]
	s_and_b64 s[4:5], s[4:5], exec
	s_or_saveexec_b64 s[6:7], s[6:7]
	v_mov_b32_e32 v4, s10
	s_xor_b64 exec, exec, s[6:7]
	s_cbranch_execz .LBB38_1982
.LBB38_4032:
	v_mov_b32_e32 v4, 0
	v_cmp_ne_u16_sdwa s[8:9], v1, v4 src0_sel:BYTE_3 src1_sel:DWORD
	s_andn2_b64 s[4:5], s[4:5], exec
	s_and_b64 s[8:9], s[8:9], exec
	s_or_b64 s[4:5], s[4:5], s[8:9]
	s_or_b64 exec, exec, s[6:7]
	s_and_saveexec_b64 s[6:7], s[4:5]
	s_cbranch_execnz .LBB38_1983
	s_branch .LBB38_1984
.LBB38_4033:
	s_movk_i32 s4, 0x80
	v_cmp_eq_u16_sdwa s[12:13], v6, s4 src0_sel:BYTE_0 src1_sel:DWORD
	s_mov_b64 s[4:5], -1
                                        ; implicit-def: $sgpr10
	s_and_saveexec_b64 s[8:9], s[12:13]
; %bb.4034:
	s_mov_b32 s10, 0x7f800001
	s_xor_b64 s[4:5], exec, -1
; %bb.4035:
	s_or_b64 exec, exec, s[8:9]
	s_and_b64 s[4:5], s[4:5], exec
	s_or_saveexec_b64 s[6:7], s[6:7]
	v_mov_b32_e32 v0, s10
	s_xor_b64 exec, exec, s[6:7]
	s_cbranch_execz .LBB38_1986
.LBB38_4036:
	v_mov_b32_e32 v0, 0
	v_cmp_ne_u16_sdwa s[8:9], v6, v0 src0_sel:BYTE_0 src1_sel:DWORD
	s_andn2_b64 s[4:5], s[4:5], exec
	s_and_b64 s[8:9], s[8:9], exec
	s_or_b64 s[4:5], s[4:5], s[8:9]
	s_or_b64 exec, exec, s[6:7]
	s_and_saveexec_b64 s[6:7], s[4:5]
	s_cbranch_execnz .LBB38_1987
	s_branch .LBB38_1988
.LBB38_4037:
	s_movk_i32 s4, 0x80
	v_cmp_eq_u16_sdwa s[12:13], v2, s4 src0_sel:BYTE_0 src1_sel:DWORD
	s_mov_b64 s[4:5], -1
                                        ; implicit-def: $sgpr10
	s_and_saveexec_b64 s[8:9], s[12:13]
; %bb.4038:
	s_mov_b32 s10, 0x7f800001
	s_xor_b64 s[4:5], exec, -1
; %bb.4039:
	s_or_b64 exec, exec, s[8:9]
	s_and_b64 s[4:5], s[4:5], exec
	s_or_saveexec_b64 s[6:7], s[6:7]
	v_mov_b32_e32 v1, s10
	s_xor_b64 exec, exec, s[6:7]
	s_cbranch_execz .LBB38_1990
.LBB38_4040:
	v_mov_b32_e32 v1, 0
	v_cmp_ne_u16_sdwa s[8:9], v2, v1 src0_sel:BYTE_0 src1_sel:DWORD
	s_andn2_b64 s[4:5], s[4:5], exec
	s_and_b64 s[8:9], s[8:9], exec
	s_or_b64 s[4:5], s[4:5], s[8:9]
	s_or_b64 exec, exec, s[6:7]
	s_and_saveexec_b64 s[6:7], s[4:5]
	s_cbranch_execnz .LBB38_1991
	s_branch .LBB38_1992
.LBB38_4041:
	s_movk_i32 s4, 0x80
	v_cmp_eq_u16_sdwa s[12:13], v1, s4 src0_sel:BYTE_0 src1_sel:DWORD
	s_mov_b64 s[4:5], -1
                                        ; implicit-def: $sgpr10
	s_and_saveexec_b64 s[8:9], s[12:13]
; %bb.4042:
	s_mov_b32 s10, 0x7f800001
	s_xor_b64 s[4:5], exec, -1
; %bb.4043:
	s_or_b64 exec, exec, s[8:9]
	s_and_b64 s[4:5], s[4:5], exec
	s_or_saveexec_b64 s[6:7], s[6:7]
	v_mov_b32_e32 v0, s10
	s_xor_b64 exec, exec, s[6:7]
	s_cbranch_execz .LBB38_1994
.LBB38_4044:
	v_mov_b32_e32 v0, 0
	v_cmp_ne_u16_sdwa s[8:9], v1, v0 src0_sel:BYTE_0 src1_sel:DWORD
	s_andn2_b64 s[4:5], s[4:5], exec
	s_and_b64 s[8:9], s[8:9], exec
	s_or_b64 s[4:5], s[4:5], s[8:9]
	s_or_b64 exec, exec, s[6:7]
	s_and_saveexec_b64 s[6:7], s[4:5]
	s_cbranch_execnz .LBB38_1995
	s_branch .LBB38_1996
.LBB38_4045:
	s_movk_i32 s4, 0x80
	v_cmp_eq_u16_sdwa s[12:13], v1, s4 src0_sel:BYTE_0 src1_sel:DWORD
	s_mov_b64 s[4:5], -1
                                        ; implicit-def: $sgpr10
	s_and_saveexec_b64 s[8:9], s[12:13]
; %bb.4046:
	s_mov_b32 s10, 0x7f800001
	s_xor_b64 s[4:5], exec, -1
; %bb.4047:
	s_or_b64 exec, exec, s[8:9]
	s_and_b64 s[4:5], s[4:5], exec
	s_or_saveexec_b64 s[6:7], s[6:7]
	v_mov_b32_e32 v4, s10
	s_xor_b64 exec, exec, s[6:7]
	s_cbranch_execz .LBB38_1998
.LBB38_4048:
	v_mov_b32_e32 v4, 0
	v_cmp_ne_u16_sdwa s[8:9], v1, v4 src0_sel:BYTE_0 src1_sel:DWORD
	s_andn2_b64 s[4:5], s[4:5], exec
	s_and_b64 s[8:9], s[8:9], exec
	s_or_b64 s[4:5], s[4:5], s[8:9]
	s_or_b64 exec, exec, s[6:7]
	s_and_saveexec_b64 s[6:7], s[4:5]
	s_cbranch_execnz .LBB38_1999
	s_branch .LBB38_2000
.LBB38_4049:
	s_movk_i32 s4, 0x80
	v_cmp_eq_u16_e32 vcc, s4, v1
	s_mov_b64 s[4:5], -1
                                        ; implicit-def: $sgpr10
	s_and_saveexec_b64 s[8:9], vcc
; %bb.4050:
	s_mov_b32 s10, 0x7f800001
	s_xor_b64 s[4:5], exec, -1
; %bb.4051:
	s_or_b64 exec, exec, s[8:9]
	s_and_b64 s[4:5], s[4:5], exec
                                        ; implicit-def: $vgpr1
	s_or_saveexec_b64 s[6:7], s[6:7]
	v_mov_b32_e32 v0, s10
	s_xor_b64 exec, exec, s[6:7]
	s_cbranch_execz .LBB38_2002
.LBB38_4052:
	v_cmp_ne_u16_e32 vcc, 0, v1
	s_andn2_b64 s[4:5], s[4:5], exec
	s_and_b64 s[8:9], vcc, exec
	v_mov_b32_e32 v0, 0
	s_or_b64 s[4:5], s[4:5], s[8:9]
	s_or_b64 exec, exec, s[6:7]
	s_and_saveexec_b64 s[6:7], s[4:5]
	s_cbranch_execnz .LBB38_2003
	s_branch .LBB38_2004
.LBB38_4053:
	s_movk_i32 s4, 0x80
	v_cmp_eq_u16_e32 vcc, s4, v1
	s_mov_b64 s[4:5], -1
                                        ; implicit-def: $sgpr10
	s_and_saveexec_b64 s[8:9], vcc
; %bb.4054:
	s_mov_b32 s10, 0x7f800001
	s_xor_b64 s[4:5], exec, -1
; %bb.4055:
	s_or_b64 exec, exec, s[8:9]
	s_and_b64 s[4:5], s[4:5], exec
                                        ; implicit-def: $vgpr1
	s_or_saveexec_b64 s[6:7], s[6:7]
	v_mov_b32_e32 v4, s10
	s_xor_b64 exec, exec, s[6:7]
	s_cbranch_execz .LBB38_2006
.LBB38_4056:
	v_cmp_ne_u16_e32 vcc, 0, v1
	s_andn2_b64 s[4:5], s[4:5], exec
	s_and_b64 s[8:9], vcc, exec
	v_mov_b32_e32 v4, 0
	s_or_b64 s[4:5], s[4:5], s[8:9]
	s_or_b64 exec, exec, s[6:7]
	s_and_saveexec_b64 s[6:7], s[4:5]
	s_cbranch_execnz .LBB38_2007
	s_branch .LBB38_2008
.LBB38_4057:
	s_movk_i32 s4, 0x80
	v_cmp_eq_u16_sdwa s[12:13], v6, s4 src0_sel:BYTE_3 src1_sel:DWORD
	s_mov_b64 s[4:5], -1
                                        ; implicit-def: $sgpr10
	s_and_saveexec_b64 s[8:9], s[12:13]
; %bb.4058:
	s_mov_b32 s10, 0x7f800001
	s_xor_b64 s[4:5], exec, -1
; %bb.4059:
	s_or_b64 exec, exec, s[8:9]
	s_and_b64 s[4:5], s[4:5], exec
	s_or_saveexec_b64 s[6:7], s[6:7]
	v_mov_b32_e32 v0, s10
	s_xor_b64 exec, exec, s[6:7]
	s_cbranch_execz .LBB38_2010
.LBB38_4060:
	v_mov_b32_e32 v0, 0
	v_cmp_ne_u16_sdwa s[8:9], v6, v0 src0_sel:BYTE_3 src1_sel:DWORD
	s_andn2_b64 s[4:5], s[4:5], exec
	s_and_b64 s[8:9], s[8:9], exec
	s_or_b64 s[4:5], s[4:5], s[8:9]
	s_or_b64 exec, exec, s[6:7]
	s_and_saveexec_b64 s[6:7], s[4:5]
	s_cbranch_execnz .LBB38_2011
	s_branch .LBB38_2012
.LBB38_4061:
	s_movk_i32 s4, 0x80
	v_cmp_eq_u16_sdwa s[12:13], v2, s4 src0_sel:BYTE_3 src1_sel:DWORD
	s_mov_b64 s[4:5], -1
                                        ; implicit-def: $sgpr10
	s_and_saveexec_b64 s[8:9], s[12:13]
; %bb.4062:
	s_mov_b32 s10, 0x7f800001
	s_xor_b64 s[4:5], exec, -1
; %bb.4063:
	s_or_b64 exec, exec, s[8:9]
	s_and_b64 s[4:5], s[4:5], exec
	s_or_saveexec_b64 s[6:7], s[6:7]
	v_mov_b32_e32 v1, s10
	s_xor_b64 exec, exec, s[6:7]
	s_cbranch_execz .LBB38_2014
.LBB38_4064:
	v_mov_b32_e32 v1, 0
	v_cmp_ne_u16_sdwa s[8:9], v2, v1 src0_sel:BYTE_3 src1_sel:DWORD
	s_andn2_b64 s[4:5], s[4:5], exec
	s_and_b64 s[8:9], s[8:9], exec
	s_or_b64 s[4:5], s[4:5], s[8:9]
	s_or_b64 exec, exec, s[6:7]
	s_and_saveexec_b64 s[6:7], s[4:5]
	s_cbranch_execnz .LBB38_2015
	s_branch .LBB38_2016
.LBB38_4065:
	s_movk_i32 s4, 0x80
	v_cmp_eq_u16_sdwa s[12:13], v7, s4 src0_sel:BYTE_0 src1_sel:DWORD
	s_mov_b64 s[4:5], -1
                                        ; implicit-def: $sgpr10
	s_and_saveexec_b64 s[8:9], s[12:13]
; %bb.4066:
	s_mov_b32 s10, 0x7f800001
	s_xor_b64 s[4:5], exec, -1
; %bb.4067:
	s_or_b64 exec, exec, s[8:9]
	s_and_b64 s[4:5], s[4:5], exec
	s_or_saveexec_b64 s[6:7], s[6:7]
	v_mov_b32_e32 v0, s10
	s_xor_b64 exec, exec, s[6:7]
	s_cbranch_execz .LBB38_2018
.LBB38_4068:
	v_mov_b32_e32 v0, 0
	v_cmp_ne_u16_sdwa s[8:9], v7, v0 src0_sel:BYTE_0 src1_sel:DWORD
	s_andn2_b64 s[4:5], s[4:5], exec
	s_and_b64 s[8:9], s[8:9], exec
	s_or_b64 s[4:5], s[4:5], s[8:9]
	s_or_b64 exec, exec, s[6:7]
	s_and_saveexec_b64 s[6:7], s[4:5]
	s_cbranch_execnz .LBB38_2019
	s_branch .LBB38_2020
.LBB38_4069:
	s_movk_i32 s4, 0x80
	v_cmp_eq_u16_sdwa s[12:13], v3, s4 src0_sel:BYTE_0 src1_sel:DWORD
	s_mov_b64 s[4:5], -1
                                        ; implicit-def: $sgpr10
	s_and_saveexec_b64 s[8:9], s[12:13]
; %bb.4070:
	s_mov_b32 s10, 0x7f800001
	s_xor_b64 s[4:5], exec, -1
; %bb.4071:
	s_or_b64 exec, exec, s[8:9]
	s_and_b64 s[4:5], s[4:5], exec
	s_or_saveexec_b64 s[6:7], s[6:7]
	v_mov_b32_e32 v1, s10
	s_xor_b64 exec, exec, s[6:7]
	s_cbranch_execz .LBB38_2022
.LBB38_4072:
	v_mov_b32_e32 v1, 0
	v_cmp_ne_u16_sdwa s[8:9], v3, v1 src0_sel:BYTE_0 src1_sel:DWORD
	s_andn2_b64 s[4:5], s[4:5], exec
	s_and_b64 s[8:9], s[8:9], exec
	s_or_b64 s[4:5], s[4:5], s[8:9]
	s_or_b64 exec, exec, s[6:7]
	s_and_saveexec_b64 s[6:7], s[4:5]
	s_cbranch_execnz .LBB38_2023
	s_branch .LBB38_2024
.LBB38_4073:
	s_movk_i32 s4, 0x80
	v_cmp_eq_u16_sdwa s[12:13], v1, s4 src0_sel:BYTE_0 src1_sel:DWORD
	s_mov_b64 s[4:5], -1
                                        ; implicit-def: $sgpr10
	s_and_saveexec_b64 s[8:9], s[12:13]
; %bb.4074:
	s_mov_b32 s10, 0x7f800001
	s_xor_b64 s[4:5], exec, -1
; %bb.4075:
	s_or_b64 exec, exec, s[8:9]
	s_and_b64 s[4:5], s[4:5], exec
	s_or_saveexec_b64 s[6:7], s[6:7]
	v_mov_b32_e32 v0, s10
	s_xor_b64 exec, exec, s[6:7]
	s_cbranch_execz .LBB38_2026
.LBB38_4076:
	v_mov_b32_e32 v0, 0
	v_cmp_ne_u16_sdwa s[8:9], v1, v0 src0_sel:BYTE_0 src1_sel:DWORD
	s_andn2_b64 s[4:5], s[4:5], exec
	s_and_b64 s[8:9], s[8:9], exec
	s_or_b64 s[4:5], s[4:5], s[8:9]
	s_or_b64 exec, exec, s[6:7]
	s_and_saveexec_b64 s[6:7], s[4:5]
	s_cbranch_execnz .LBB38_2027
	s_branch .LBB38_2028
.LBB38_4077:
	s_movk_i32 s4, 0x80
	v_cmp_eq_u16_sdwa s[12:13], v1, s4 src0_sel:BYTE_0 src1_sel:DWORD
	s_mov_b64 s[4:5], -1
                                        ; implicit-def: $sgpr10
	s_and_saveexec_b64 s[8:9], s[12:13]
; %bb.4078:
	s_mov_b32 s10, 0x7f800001
	s_xor_b64 s[4:5], exec, -1
; %bb.4079:
	s_or_b64 exec, exec, s[8:9]
	s_and_b64 s[4:5], s[4:5], exec
	s_or_saveexec_b64 s[6:7], s[6:7]
	v_mov_b32_e32 v2, s10
	s_xor_b64 exec, exec, s[6:7]
	s_cbranch_execz .LBB38_2030
.LBB38_4080:
	v_mov_b32_e32 v2, 0
	v_cmp_ne_u16_sdwa s[8:9], v1, v2 src0_sel:BYTE_0 src1_sel:DWORD
	s_andn2_b64 s[4:5], s[4:5], exec
	s_and_b64 s[8:9], s[8:9], exec
	s_or_b64 s[4:5], s[4:5], s[8:9]
	s_or_b64 exec, exec, s[6:7]
	s_and_saveexec_b64 s[6:7], s[4:5]
	s_cbranch_execnz .LBB38_2031
	s_branch .LBB38_2032
.LBB38_4081:
	s_movk_i32 s4, 0x80
	v_cmp_eq_u16_e32 vcc, s4, v1
	s_mov_b64 s[4:5], -1
                                        ; implicit-def: $sgpr10
	s_and_saveexec_b64 s[8:9], vcc
; %bb.4082:
	s_mov_b32 s10, 0x7f800001
	s_xor_b64 s[4:5], exec, -1
; %bb.4083:
	s_or_b64 exec, exec, s[8:9]
	s_and_b64 s[4:5], s[4:5], exec
                                        ; implicit-def: $vgpr1
	s_or_saveexec_b64 s[6:7], s[6:7]
	v_mov_b32_e32 v0, s10
	s_xor_b64 exec, exec, s[6:7]
	s_cbranch_execz .LBB38_2034
.LBB38_4084:
	v_cmp_ne_u16_e32 vcc, 0, v1
	s_andn2_b64 s[4:5], s[4:5], exec
	s_and_b64 s[8:9], vcc, exec
	v_mov_b32_e32 v0, 0
	s_or_b64 s[4:5], s[4:5], s[8:9]
	s_or_b64 exec, exec, s[6:7]
	s_and_saveexec_b64 s[6:7], s[4:5]
	s_cbranch_execnz .LBB38_2035
	s_branch .LBB38_2036
.LBB38_4085:
	s_movk_i32 s4, 0x80
	v_cmp_eq_u16_e32 vcc, s4, v1
	s_mov_b64 s[4:5], -1
                                        ; implicit-def: $sgpr10
	s_and_saveexec_b64 s[8:9], vcc
; %bb.4086:
	s_mov_b32 s10, 0x7f800001
	s_xor_b64 s[4:5], exec, -1
; %bb.4087:
	s_or_b64 exec, exec, s[8:9]
	s_and_b64 s[4:5], s[4:5], exec
                                        ; implicit-def: $vgpr1
	s_or_saveexec_b64 s[6:7], s[6:7]
	v_mov_b32_e32 v2, s10
	s_xor_b64 exec, exec, s[6:7]
	s_cbranch_execz .LBB38_2038
.LBB38_4088:
	v_cmp_ne_u16_e32 vcc, 0, v1
	s_andn2_b64 s[4:5], s[4:5], exec
	s_and_b64 s[8:9], vcc, exec
	v_mov_b32_e32 v2, 0
	s_or_b64 s[4:5], s[4:5], s[8:9]
	s_or_b64 exec, exec, s[6:7]
	s_and_saveexec_b64 s[6:7], s[4:5]
	s_cbranch_execnz .LBB38_2039
	s_branch .LBB38_2040
.LBB38_4089:
	s_movk_i32 s4, 0x80
	v_cmp_eq_u16_sdwa s[12:13], v7, s4 src0_sel:BYTE_3 src1_sel:DWORD
	s_mov_b64 s[4:5], -1
                                        ; implicit-def: $sgpr10
	s_and_saveexec_b64 s[8:9], s[12:13]
; %bb.4090:
	s_mov_b32 s10, 0x7f800001
	s_xor_b64 s[4:5], exec, -1
; %bb.4091:
	s_or_b64 exec, exec, s[8:9]
	s_and_b64 s[4:5], s[4:5], exec
	s_or_saveexec_b64 s[6:7], s[6:7]
	v_mov_b32_e32 v0, s10
	s_xor_b64 exec, exec, s[6:7]
	s_cbranch_execz .LBB38_2042
.LBB38_4092:
	v_mov_b32_e32 v0, 0
	v_cmp_ne_u16_sdwa s[8:9], v7, v0 src0_sel:BYTE_3 src1_sel:DWORD
	s_andn2_b64 s[4:5], s[4:5], exec
	s_and_b64 s[8:9], s[8:9], exec
	s_or_b64 s[4:5], s[4:5], s[8:9]
	s_or_b64 exec, exec, s[6:7]
	s_and_saveexec_b64 s[6:7], s[4:5]
	s_cbranch_execnz .LBB38_2043
	s_branch .LBB38_2044
.LBB38_4093:
	s_movk_i32 s4, 0x80
	v_cmp_eq_u16_sdwa s[12:13], v3, s4 src0_sel:BYTE_3 src1_sel:DWORD
	s_mov_b64 s[4:5], -1
                                        ; implicit-def: $sgpr10
	s_and_saveexec_b64 s[8:9], s[12:13]
; %bb.4094:
	s_mov_b32 s10, 0x7f800001
	s_xor_b64 s[4:5], exec, -1
; %bb.4095:
	s_or_b64 exec, exec, s[8:9]
	s_and_b64 s[4:5], s[4:5], exec
	s_or_saveexec_b64 s[6:7], s[6:7]
	v_mov_b32_e32 v1, s10
	s_xor_b64 exec, exec, s[6:7]
	s_cbranch_execz .LBB38_2046
.LBB38_4096:
	v_mov_b32_e32 v1, 0
	v_cmp_ne_u16_sdwa s[8:9], v3, v1 src0_sel:BYTE_3 src1_sel:DWORD
	s_andn2_b64 s[4:5], s[4:5], exec
	s_and_b64 s[8:9], s[8:9], exec
	s_or_b64 s[4:5], s[4:5], s[8:9]
	s_or_b64 exec, exec, s[6:7]
	s_and_saveexec_b64 s[6:7], s[4:5]
	s_cbranch_execnz .LBB38_2047
	s_branch .LBB38_2048
.Lfunc_end38:
	.size	_ZNK2ck6detail7applierIiJLi0ELi1ELi2ELi3ELi4ELi5ELi6ELi7EEEclIZNKS_11static_fordINS_8SequenceIJLi1ELi8EEEENS5_IJLi0ELi1EEEEEclIZZZNKS_52BlockwiseGemmXdlops_pipeline_bpreshuffle_bdequant_v3ILNS_26BlockGemmPipelineSchedulerE0ELi256ENS_9f8_fnuz_tENS_7pk_i4_tESC_fNS_16TensorDescriptorINS_5TupleIJNS_5EmbedINSF_IJNS_17integral_constantIiLi8EEENSH_IiLi256EEENSH_IiLi16EEEEEENSF_IJSK_NSH_IiLi128EEENSH_IiLi1EEEEEELb0EEENS_3XorINSF_IJSJ_SI_EEELb1EEENS_11PassThroughISK_EENS_7UnMergeINSF_IJSI_SN_EEELb0EEENST_ISJ_EESU_NST_ISI_EENS_21Merge_v3_division_modINSF_IJSJ_SN_EEEEESU_EEENSF_IJNS5_IJLi0EEEENS5_IJLi2ELi1EEEENS5_IJLi3EEEENS5_IJLi5EEEENS5_IJLi4EEEENS5_IJLi6EEEENS5_IJLi7EEEENS5_IJLi9ELi8EEEENS5_IJLi10EEEEEEENSF_IJNS5_IJLi1ELi2ELi3EEEENS5_IJLi4ELi5EEEES19_NS5_IJLi7ELi8EEEENS5_IJLi9EEEES1C_NS5_IJLi11EEEENS5_IJLi12EEEENS5_IJLi13EEEEEEENS5_IJLi11ELi12ELi13EEEENSH_IlLl32768EEEEENSE_INSF_IJNSV_INSF_IJSI_SN_SN_NSH_IiLi32EEEEEELb0EEEEEENSF_IJS14_EEENSF_IJNS5_IJLi1ELi2ELi3ELi4EEEEEEES1U_NSH_IlLl256EEEEENSE_INSF_IJSP_SS_SU_SX_SY_SU_SZ_S12_SU_NS10_INSF_IJSI_SK_EEEEENSV_INSF_IJSI_NSH_IiLi2EEESK_EEELb0EEEEEENSF_IJS14_S15_S16_S17_S18_S19_S1A_S1B_S1C_NS5_IJLi11ELi13EEEES1J_EEENSF_IJS1E_S1F_S19_S1G_S1H_S1C_S1I_S1J_S1K_NS5_IJLi14EEEENS5_IJLi15ELi16ELi17EEEEEEENS5_IJLi15ELi16ELi17ELi14EEEES1N_EENSE_INSF_IJS1R_NS10_ISW_EES22_EEENSF_IJS14_NS5_IJLi1ELi3EEEENS5_IJLi2EEEEEEENSF_IJS1U_S17_NS5_IJLi6ELi7ELi8EEEEEEENS5_IJLi6ELi7ELi8ELi5EEEES1W_EELi16ELi32ELi256ELi256ELi128ELi16ELi16ELi8ELi8ELi32ELb0EE3RunILb1ELNS_10TailNumberE1ENSE_INSF_IJNSG_INSF_IJiiEEENSF_IJiSN_EEELb0EEENSV_IS2N_Lb0EEENST_IiEEEEENSF_IJS14_S2E_NS5_IJLi1EEEEEEENSF_IJNS5_IJLi1ELi2EEEENS5_IJLi3ELi4EEEES17_EEENS5_IJLi3ELi5ELi4EEEElEES1O_NS_35ThreadGroupTensorSliceTransfer_v4r1INS_15ThisThreadBlockILi256EEENS_16tensor_operation12element_wise11PassThroughES35_LNS_25InMemoryDataOperationEnumE0ENS5_IJLi8ELi256ELi16EEEENS5_IJLi8ELi32ELi1EEEENS5_IJLi1ELi0ELi2EEEESC_SC_RKS2Z_KS1O_S39_NS5_IJLi0ELi1ELi2EEEELi2ELi2ELi16ELi16ELi1ELi1ELb0ELb1ELi2EiEENS_13DynamicBufferILNS_16AddressSpaceEnumE1EKSC_lLb1ELNS_22AmdBufferCoherenceEnumE0EiEENSF_IJNS3F_ILS3G_2ESC_S1N_Lb1ELS3I_0EiEES3K_EEENSF_IJiiiEEENSE_INSF_IJNSG_INSF_IJiiiiEEENSF_IJiiiSN_EEELb0EEEEEES1T_S1V_S1U_lEENS_32ThreadwiseTensorSliceTransfer_v2ISD_SD_RKS3R_KS1X_NS5_IJLi8ELi1ELi1ELi32EEEENS5_IJLi1ELi2ELi0ELi3EEEELi3ELi32ELi0ELb1ELb0ELb0EEENS3F_ILS3G_1EKSD_lLb1ELS3I_0EiEENSF_IJNS_12StaticBufferILS3G_4ESD_Li256ELb1EEES42_EEES3N_NS_25StaticBufferTupleOfVectorILS3G_4EfLi64ELi4ELb1ELb0EEEEEvRKT1_RKT2_RT3_RKT4_RT5_RKT6_RKT7_RT8_RKT9_RT10_RKT11_RT12_iENKUlT_T0_E_clISN_NSH_IiLi0EEEEEDaS51_S52_ENKUlS51_E_clIS20_EEDaS51_EUlS51_E_EEvS51_EUlS51_E_EEvS51_, .Lfunc_end38-_ZNK2ck6detail7applierIiJLi0ELi1ELi2ELi3ELi4ELi5ELi6ELi7EEEclIZNKS_11static_fordINS_8SequenceIJLi1ELi8EEEENS5_IJLi0ELi1EEEEEclIZZZNKS_52BlockwiseGemmXdlops_pipeline_bpreshuffle_bdequant_v3ILNS_26BlockGemmPipelineSchedulerE0ELi256ENS_9f8_fnuz_tENS_7pk_i4_tESC_fNS_16TensorDescriptorINS_5TupleIJNS_5EmbedINSF_IJNS_17integral_constantIiLi8EEENSH_IiLi256EEENSH_IiLi16EEEEEENSF_IJSK_NSH_IiLi128EEENSH_IiLi1EEEEEELb0EEENS_3XorINSF_IJSJ_SI_EEELb1EEENS_11PassThroughISK_EENS_7UnMergeINSF_IJSI_SN_EEELb0EEENST_ISJ_EESU_NST_ISI_EENS_21Merge_v3_division_modINSF_IJSJ_SN_EEEEESU_EEENSF_IJNS5_IJLi0EEEENS5_IJLi2ELi1EEEENS5_IJLi3EEEENS5_IJLi5EEEENS5_IJLi4EEEENS5_IJLi6EEEENS5_IJLi7EEEENS5_IJLi9ELi8EEEENS5_IJLi10EEEEEEENSF_IJNS5_IJLi1ELi2ELi3EEEENS5_IJLi4ELi5EEEES19_NS5_IJLi7ELi8EEEENS5_IJLi9EEEES1C_NS5_IJLi11EEEENS5_IJLi12EEEENS5_IJLi13EEEEEEENS5_IJLi11ELi12ELi13EEEENSH_IlLl32768EEEEENSE_INSF_IJNSV_INSF_IJSI_SN_SN_NSH_IiLi32EEEEEELb0EEEEEENSF_IJS14_EEENSF_IJNS5_IJLi1ELi2ELi3ELi4EEEEEEES1U_NSH_IlLl256EEEEENSE_INSF_IJSP_SS_SU_SX_SY_SU_SZ_S12_SU_NS10_INSF_IJSI_SK_EEEEENSV_INSF_IJSI_NSH_IiLi2EEESK_EEELb0EEEEEENSF_IJS14_S15_S16_S17_S18_S19_S1A_S1B_S1C_NS5_IJLi11ELi13EEEES1J_EEENSF_IJS1E_S1F_S19_S1G_S1H_S1C_S1I_S1J_S1K_NS5_IJLi14EEEENS5_IJLi15ELi16ELi17EEEEEEENS5_IJLi15ELi16ELi17ELi14EEEES1N_EENSE_INSF_IJS1R_NS10_ISW_EES22_EEENSF_IJS14_NS5_IJLi1ELi3EEEENS5_IJLi2EEEEEEENSF_IJS1U_S17_NS5_IJLi6ELi7ELi8EEEEEEENS5_IJLi6ELi7ELi8ELi5EEEES1W_EELi16ELi32ELi256ELi256ELi128ELi16ELi16ELi8ELi8ELi32ELb0EE3RunILb1ELNS_10TailNumberE1ENSE_INSF_IJNSG_INSF_IJiiEEENSF_IJiSN_EEELb0EEENSV_IS2N_Lb0EEENST_IiEEEEENSF_IJS14_S2E_NS5_IJLi1EEEEEEENSF_IJNS5_IJLi1ELi2EEEENS5_IJLi3ELi4EEEES17_EEENS5_IJLi3ELi5ELi4EEEElEES1O_NS_35ThreadGroupTensorSliceTransfer_v4r1INS_15ThisThreadBlockILi256EEENS_16tensor_operation12element_wise11PassThroughES35_LNS_25InMemoryDataOperationEnumE0ENS5_IJLi8ELi256ELi16EEEENS5_IJLi8ELi32ELi1EEEENS5_IJLi1ELi0ELi2EEEESC_SC_RKS2Z_KS1O_S39_NS5_IJLi0ELi1ELi2EEEELi2ELi2ELi16ELi16ELi1ELi1ELb0ELb1ELi2EiEENS_13DynamicBufferILNS_16AddressSpaceEnumE1EKSC_lLb1ELNS_22AmdBufferCoherenceEnumE0EiEENSF_IJNS3F_ILS3G_2ESC_S1N_Lb1ELS3I_0EiEES3K_EEENSF_IJiiiEEENSE_INSF_IJNSG_INSF_IJiiiiEEENSF_IJiiiSN_EEELb0EEEEEES1T_S1V_S1U_lEENS_32ThreadwiseTensorSliceTransfer_v2ISD_SD_RKS3R_KS1X_NS5_IJLi8ELi1ELi1ELi32EEEENS5_IJLi1ELi2ELi0ELi3EEEELi3ELi32ELi0ELb1ELb0ELb0EEENS3F_ILS3G_1EKSD_lLb1ELS3I_0EiEENSF_IJNS_12StaticBufferILS3G_4ESD_Li256ELb1EEES42_EEES3N_NS_25StaticBufferTupleOfVectorILS3G_4EfLi64ELi4ELb1ELb0EEEEEvRKT1_RKT2_RT3_RKT4_RT5_RKT6_RKT7_RT8_RKT9_RT10_RKT11_RT12_iENKUlT_T0_E_clISN_NSH_IiLi0EEEEEDaS51_S52_ENKUlS51_E_clIS20_EEDaS51_EUlS51_E_EEvS51_EUlS51_E_EEvS51_
                                        ; -- End function
	.section	.AMDGPU.csdata,"",@progbits
; Function info:
; codeLenInByte = 133608
; NumSgprs: 36
; NumVgprs: 26
; NumAgprs: 4
; TotalNumVgprs: 32
; ScratchSize: 0
; MemoryBound: 1
	.text
	.p2align	2                               ; -- Begin function _ZNK2ck6detail7applierIiJLi0ELi1ELi2ELi3ELi4ELi5ELi6ELi7EEEclIZNKS_11static_fordINS_8SequenceIJLi1ELi8EEEENS5_IJLi0ELi1EEEEEclIZZZNKS_52BlockwiseGemmXdlops_pipeline_bpreshuffle_bdequant_v3ILNS_26BlockGemmPipelineSchedulerE0ELi256ENS_9f8_fnuz_tENS_7pk_i4_tESC_fNS_16TensorDescriptorINS_5TupleIJNS_5EmbedINSF_IJNS_17integral_constantIiLi8EEENSH_IiLi256EEENSH_IiLi16EEEEEENSF_IJSK_NSH_IiLi128EEENSH_IiLi1EEEEEELb0EEENS_3XorINSF_IJSJ_SI_EEELb1EEENS_11PassThroughISK_EENS_7UnMergeINSF_IJSI_SN_EEELb0EEENST_ISJ_EESU_NST_ISI_EENS_21Merge_v3_division_modINSF_IJSJ_SN_EEEEESU_EEENSF_IJNS5_IJLi0EEEENS5_IJLi2ELi1EEEENS5_IJLi3EEEENS5_IJLi5EEEENS5_IJLi4EEEENS5_IJLi6EEEENS5_IJLi7EEEENS5_IJLi9ELi8EEEENS5_IJLi10EEEEEEENSF_IJNS5_IJLi1ELi2ELi3EEEENS5_IJLi4ELi5EEEES19_NS5_IJLi7ELi8EEEENS5_IJLi9EEEES1C_NS5_IJLi11EEEENS5_IJLi12EEEENS5_IJLi13EEEEEEENS5_IJLi11ELi12ELi13EEEENSH_IlLl32768EEEEENSE_INSF_IJNSV_INSF_IJSI_SN_SN_NSH_IiLi32EEEEEELb0EEEEEENSF_IJS14_EEENSF_IJNS5_IJLi1ELi2ELi3ELi4EEEEEEES1U_NSH_IlLl256EEEEENSE_INSF_IJSP_SS_SU_SX_SY_SU_SZ_S12_SU_NS10_INSF_IJSI_SK_EEEEENSV_INSF_IJSI_NSH_IiLi2EEESK_EEELb0EEEEEENSF_IJS14_S15_S16_S17_S18_S19_S1A_S1B_S1C_NS5_IJLi11ELi13EEEES1J_EEENSF_IJS1E_S1F_S19_S1G_S1H_S1C_S1I_S1J_S1K_NS5_IJLi14EEEENS5_IJLi15ELi16ELi17EEEEEEENS5_IJLi15ELi16ELi17ELi14EEEES1N_EENSE_INSF_IJS1R_NS10_ISW_EES22_EEENSF_IJS14_NS5_IJLi1ELi3EEEENS5_IJLi2EEEEEEENSF_IJS1U_S17_NS5_IJLi6ELi7ELi8EEEEEEENS5_IJLi6ELi7ELi8ELi5EEEES1W_EELi16ELi32ELi256ELi256ELi128ELi16ELi16ELi8ELi8ELi32ELb0EE3RunILb1ELNS_10TailNumberE1ENSE_INSF_IJNSG_INSF_IJiiEEENSF_IJiSN_EEELb0EEENSV_IS2N_Lb0EEENST_IiEEEEENSF_IJS14_S2E_NS5_IJLi1EEEEEEENSF_IJNS5_IJLi1ELi2EEEENS5_IJLi3ELi4EEEES17_EEENS5_IJLi3ELi5ELi4EEEElEES1O_NS_35ThreadGroupTensorSliceTransfer_v4r1INS_15ThisThreadBlockILi256EEENS_16tensor_operation12element_wise11PassThroughES35_LNS_25InMemoryDataOperationEnumE0ENS5_IJLi8ELi256ELi16EEEENS5_IJLi8ELi32ELi1EEEENS5_IJLi1ELi0ELi2EEEESC_SC_RKS2Z_KS1O_S39_NS5_IJLi0ELi1ELi2EEEELi2ELi2ELi16ELi16ELi1ELi1ELb0ELb1ELi2EiEENS_13DynamicBufferILNS_16AddressSpaceEnumE1EKSC_lLb1ELNS_22AmdBufferCoherenceEnumE0EiEENSF_IJNS3F_ILS3G_2ESC_S1N_Lb1ELS3I_0EiEES3K_EEENSF_IJiiiEEENSE_INSF_IJNSG_INSF_IJiiiiEEENSF_IJiiiSN_EEELb0EEEEEES1T_S1V_S1U_lEENS_32ThreadwiseTensorSliceTransfer_v2ISD_SD_RKS3R_KS1X_NS5_IJLi8ELi1ELi1ELi32EEEENS5_IJLi1ELi2ELi0ELi3EEEELi3ELi32ELi0ELb1ELb0ELb0EEENS3F_ILS3G_1EKSD_lLb1ELS3I_0EiEENSF_IJNS_12StaticBufferILS3G_4ESD_Li256ELb1EEES42_EEES3N_NS_25StaticBufferTupleOfVectorILS3G_4EfLi64ELi4ELb1ELb0EEEEEvRKT1_RKT2_RT3_RKT4_RT5_RKT6_RKT7_RT8_RKT9_RT10_RKT11_RT12_iENKUlT_T0_E_clISN_NSH_IiLi0EEEEEDaS51_S52_ENKUlS51_E_clINSH_IiLi3EEEEEDaS51_EUlS51_E_EEvS51_EUlS51_E_EEvS51_
	.type	_ZNK2ck6detail7applierIiJLi0ELi1ELi2ELi3ELi4ELi5ELi6ELi7EEEclIZNKS_11static_fordINS_8SequenceIJLi1ELi8EEEENS5_IJLi0ELi1EEEEEclIZZZNKS_52BlockwiseGemmXdlops_pipeline_bpreshuffle_bdequant_v3ILNS_26BlockGemmPipelineSchedulerE0ELi256ENS_9f8_fnuz_tENS_7pk_i4_tESC_fNS_16TensorDescriptorINS_5TupleIJNS_5EmbedINSF_IJNS_17integral_constantIiLi8EEENSH_IiLi256EEENSH_IiLi16EEEEEENSF_IJSK_NSH_IiLi128EEENSH_IiLi1EEEEEELb0EEENS_3XorINSF_IJSJ_SI_EEELb1EEENS_11PassThroughISK_EENS_7UnMergeINSF_IJSI_SN_EEELb0EEENST_ISJ_EESU_NST_ISI_EENS_21Merge_v3_division_modINSF_IJSJ_SN_EEEEESU_EEENSF_IJNS5_IJLi0EEEENS5_IJLi2ELi1EEEENS5_IJLi3EEEENS5_IJLi5EEEENS5_IJLi4EEEENS5_IJLi6EEEENS5_IJLi7EEEENS5_IJLi9ELi8EEEENS5_IJLi10EEEEEEENSF_IJNS5_IJLi1ELi2ELi3EEEENS5_IJLi4ELi5EEEES19_NS5_IJLi7ELi8EEEENS5_IJLi9EEEES1C_NS5_IJLi11EEEENS5_IJLi12EEEENS5_IJLi13EEEEEEENS5_IJLi11ELi12ELi13EEEENSH_IlLl32768EEEEENSE_INSF_IJNSV_INSF_IJSI_SN_SN_NSH_IiLi32EEEEEELb0EEEEEENSF_IJS14_EEENSF_IJNS5_IJLi1ELi2ELi3ELi4EEEEEEES1U_NSH_IlLl256EEEEENSE_INSF_IJSP_SS_SU_SX_SY_SU_SZ_S12_SU_NS10_INSF_IJSI_SK_EEEEENSV_INSF_IJSI_NSH_IiLi2EEESK_EEELb0EEEEEENSF_IJS14_S15_S16_S17_S18_S19_S1A_S1B_S1C_NS5_IJLi11ELi13EEEES1J_EEENSF_IJS1E_S1F_S19_S1G_S1H_S1C_S1I_S1J_S1K_NS5_IJLi14EEEENS5_IJLi15ELi16ELi17EEEEEEENS5_IJLi15ELi16ELi17ELi14EEEES1N_EENSE_INSF_IJS1R_NS10_ISW_EES22_EEENSF_IJS14_NS5_IJLi1ELi3EEEENS5_IJLi2EEEEEEENSF_IJS1U_S17_NS5_IJLi6ELi7ELi8EEEEEEENS5_IJLi6ELi7ELi8ELi5EEEES1W_EELi16ELi32ELi256ELi256ELi128ELi16ELi16ELi8ELi8ELi32ELb0EE3RunILb1ELNS_10TailNumberE1ENSE_INSF_IJNSG_INSF_IJiiEEENSF_IJiSN_EEELb0EEENSV_IS2N_Lb0EEENST_IiEEEEENSF_IJS14_S2E_NS5_IJLi1EEEEEEENSF_IJNS5_IJLi1ELi2EEEENS5_IJLi3ELi4EEEES17_EEENS5_IJLi3ELi5ELi4EEEElEES1O_NS_35ThreadGroupTensorSliceTransfer_v4r1INS_15ThisThreadBlockILi256EEENS_16tensor_operation12element_wise11PassThroughES35_LNS_25InMemoryDataOperationEnumE0ENS5_IJLi8ELi256ELi16EEEENS5_IJLi8ELi32ELi1EEEENS5_IJLi1ELi0ELi2EEEESC_SC_RKS2Z_KS1O_S39_NS5_IJLi0ELi1ELi2EEEELi2ELi2ELi16ELi16ELi1ELi1ELb0ELb1ELi2EiEENS_13DynamicBufferILNS_16AddressSpaceEnumE1EKSC_lLb1ELNS_22AmdBufferCoherenceEnumE0EiEENSF_IJNS3F_ILS3G_2ESC_S1N_Lb1ELS3I_0EiEES3K_EEENSF_IJiiiEEENSE_INSF_IJNSG_INSF_IJiiiiEEENSF_IJiiiSN_EEELb0EEEEEES1T_S1V_S1U_lEENS_32ThreadwiseTensorSliceTransfer_v2ISD_SD_RKS3R_KS1X_NS5_IJLi8ELi1ELi1ELi32EEEENS5_IJLi1ELi2ELi0ELi3EEEELi3ELi32ELi0ELb1ELb0ELb0EEENS3F_ILS3G_1EKSD_lLb1ELS3I_0EiEENSF_IJNS_12StaticBufferILS3G_4ESD_Li256ELb1EEES42_EEES3N_NS_25StaticBufferTupleOfVectorILS3G_4EfLi64ELi4ELb1ELb0EEEEEvRKT1_RKT2_RT3_RKT4_RT5_RKT6_RKT7_RT8_RKT9_RT10_RKT11_RT12_iENKUlT_T0_E_clISN_NSH_IiLi0EEEEEDaS51_S52_ENKUlS51_E_clINSH_IiLi3EEEEEDaS51_EUlS51_E_EEvS51_EUlS51_E_EEvS51_,@function
_ZNK2ck6detail7applierIiJLi0ELi1ELi2ELi3ELi4ELi5ELi6ELi7EEEclIZNKS_11static_fordINS_8SequenceIJLi1ELi8EEEENS5_IJLi0ELi1EEEEEclIZZZNKS_52BlockwiseGemmXdlops_pipeline_bpreshuffle_bdequant_v3ILNS_26BlockGemmPipelineSchedulerE0ELi256ENS_9f8_fnuz_tENS_7pk_i4_tESC_fNS_16TensorDescriptorINS_5TupleIJNS_5EmbedINSF_IJNS_17integral_constantIiLi8EEENSH_IiLi256EEENSH_IiLi16EEEEEENSF_IJSK_NSH_IiLi128EEENSH_IiLi1EEEEEELb0EEENS_3XorINSF_IJSJ_SI_EEELb1EEENS_11PassThroughISK_EENS_7UnMergeINSF_IJSI_SN_EEELb0EEENST_ISJ_EESU_NST_ISI_EENS_21Merge_v3_division_modINSF_IJSJ_SN_EEEEESU_EEENSF_IJNS5_IJLi0EEEENS5_IJLi2ELi1EEEENS5_IJLi3EEEENS5_IJLi5EEEENS5_IJLi4EEEENS5_IJLi6EEEENS5_IJLi7EEEENS5_IJLi9ELi8EEEENS5_IJLi10EEEEEEENSF_IJNS5_IJLi1ELi2ELi3EEEENS5_IJLi4ELi5EEEES19_NS5_IJLi7ELi8EEEENS5_IJLi9EEEES1C_NS5_IJLi11EEEENS5_IJLi12EEEENS5_IJLi13EEEEEEENS5_IJLi11ELi12ELi13EEEENSH_IlLl32768EEEEENSE_INSF_IJNSV_INSF_IJSI_SN_SN_NSH_IiLi32EEEEEELb0EEEEEENSF_IJS14_EEENSF_IJNS5_IJLi1ELi2ELi3ELi4EEEEEEES1U_NSH_IlLl256EEEEENSE_INSF_IJSP_SS_SU_SX_SY_SU_SZ_S12_SU_NS10_INSF_IJSI_SK_EEEEENSV_INSF_IJSI_NSH_IiLi2EEESK_EEELb0EEEEEENSF_IJS14_S15_S16_S17_S18_S19_S1A_S1B_S1C_NS5_IJLi11ELi13EEEES1J_EEENSF_IJS1E_S1F_S19_S1G_S1H_S1C_S1I_S1J_S1K_NS5_IJLi14EEEENS5_IJLi15ELi16ELi17EEEEEEENS5_IJLi15ELi16ELi17ELi14EEEES1N_EENSE_INSF_IJS1R_NS10_ISW_EES22_EEENSF_IJS14_NS5_IJLi1ELi3EEEENS5_IJLi2EEEEEEENSF_IJS1U_S17_NS5_IJLi6ELi7ELi8EEEEEEENS5_IJLi6ELi7ELi8ELi5EEEES1W_EELi16ELi32ELi256ELi256ELi128ELi16ELi16ELi8ELi8ELi32ELb0EE3RunILb1ELNS_10TailNumberE1ENSE_INSF_IJNSG_INSF_IJiiEEENSF_IJiSN_EEELb0EEENSV_IS2N_Lb0EEENST_IiEEEEENSF_IJS14_S2E_NS5_IJLi1EEEEEEENSF_IJNS5_IJLi1ELi2EEEENS5_IJLi3ELi4EEEES17_EEENS5_IJLi3ELi5ELi4EEEElEES1O_NS_35ThreadGroupTensorSliceTransfer_v4r1INS_15ThisThreadBlockILi256EEENS_16tensor_operation12element_wise11PassThroughES35_LNS_25InMemoryDataOperationEnumE0ENS5_IJLi8ELi256ELi16EEEENS5_IJLi8ELi32ELi1EEEENS5_IJLi1ELi0ELi2EEEESC_SC_RKS2Z_KS1O_S39_NS5_IJLi0ELi1ELi2EEEELi2ELi2ELi16ELi16ELi1ELi1ELb0ELb1ELi2EiEENS_13DynamicBufferILNS_16AddressSpaceEnumE1EKSC_lLb1ELNS_22AmdBufferCoherenceEnumE0EiEENSF_IJNS3F_ILS3G_2ESC_S1N_Lb1ELS3I_0EiEES3K_EEENSF_IJiiiEEENSE_INSF_IJNSG_INSF_IJiiiiEEENSF_IJiiiSN_EEELb0EEEEEES1T_S1V_S1U_lEENS_32ThreadwiseTensorSliceTransfer_v2ISD_SD_RKS3R_KS1X_NS5_IJLi8ELi1ELi1ELi32EEEENS5_IJLi1ELi2ELi0ELi3EEEELi3ELi32ELi0ELb1ELb0ELb0EEENS3F_ILS3G_1EKSD_lLb1ELS3I_0EiEENSF_IJNS_12StaticBufferILS3G_4ESD_Li256ELb1EEES42_EEES3N_NS_25StaticBufferTupleOfVectorILS3G_4EfLi64ELi4ELb1ELb0EEEEEvRKT1_RKT2_RT3_RKT4_RT5_RKT6_RKT7_RT8_RKT9_RT10_RKT11_RT12_iENKUlT_T0_E_clISN_NSH_IiLi0EEEEEDaS51_S52_ENKUlS51_E_clINSH_IiLi3EEEEEDaS51_EUlS51_E_EEvS51_EUlS51_E_EEvS51_: ; @_ZNK2ck6detail7applierIiJLi0ELi1ELi2ELi3ELi4ELi5ELi6ELi7EEEclIZNKS_11static_fordINS_8SequenceIJLi1ELi8EEEENS5_IJLi0ELi1EEEEEclIZZZNKS_52BlockwiseGemmXdlops_pipeline_bpreshuffle_bdequant_v3ILNS_26BlockGemmPipelineSchedulerE0ELi256ENS_9f8_fnuz_tENS_7pk_i4_tESC_fNS_16TensorDescriptorINS_5TupleIJNS_5EmbedINSF_IJNS_17integral_constantIiLi8EEENSH_IiLi256EEENSH_IiLi16EEEEEENSF_IJSK_NSH_IiLi128EEENSH_IiLi1EEEEEELb0EEENS_3XorINSF_IJSJ_SI_EEELb1EEENS_11PassThroughISK_EENS_7UnMergeINSF_IJSI_SN_EEELb0EEENST_ISJ_EESU_NST_ISI_EENS_21Merge_v3_division_modINSF_IJSJ_SN_EEEEESU_EEENSF_IJNS5_IJLi0EEEENS5_IJLi2ELi1EEEENS5_IJLi3EEEENS5_IJLi5EEEENS5_IJLi4EEEENS5_IJLi6EEEENS5_IJLi7EEEENS5_IJLi9ELi8EEEENS5_IJLi10EEEEEEENSF_IJNS5_IJLi1ELi2ELi3EEEENS5_IJLi4ELi5EEEES19_NS5_IJLi7ELi8EEEENS5_IJLi9EEEES1C_NS5_IJLi11EEEENS5_IJLi12EEEENS5_IJLi13EEEEEEENS5_IJLi11ELi12ELi13EEEENSH_IlLl32768EEEEENSE_INSF_IJNSV_INSF_IJSI_SN_SN_NSH_IiLi32EEEEEELb0EEEEEENSF_IJS14_EEENSF_IJNS5_IJLi1ELi2ELi3ELi4EEEEEEES1U_NSH_IlLl256EEEEENSE_INSF_IJSP_SS_SU_SX_SY_SU_SZ_S12_SU_NS10_INSF_IJSI_SK_EEEEENSV_INSF_IJSI_NSH_IiLi2EEESK_EEELb0EEEEEENSF_IJS14_S15_S16_S17_S18_S19_S1A_S1B_S1C_NS5_IJLi11ELi13EEEES1J_EEENSF_IJS1E_S1F_S19_S1G_S1H_S1C_S1I_S1J_S1K_NS5_IJLi14EEEENS5_IJLi15ELi16ELi17EEEEEEENS5_IJLi15ELi16ELi17ELi14EEEES1N_EENSE_INSF_IJS1R_NS10_ISW_EES22_EEENSF_IJS14_NS5_IJLi1ELi3EEEENS5_IJLi2EEEEEEENSF_IJS1U_S17_NS5_IJLi6ELi7ELi8EEEEEEENS5_IJLi6ELi7ELi8ELi5EEEES1W_EELi16ELi32ELi256ELi256ELi128ELi16ELi16ELi8ELi8ELi32ELb0EE3RunILb1ELNS_10TailNumberE1ENSE_INSF_IJNSG_INSF_IJiiEEENSF_IJiSN_EEELb0EEENSV_IS2N_Lb0EEENST_IiEEEEENSF_IJS14_S2E_NS5_IJLi1EEEEEEENSF_IJNS5_IJLi1ELi2EEEENS5_IJLi3ELi4EEEES17_EEENS5_IJLi3ELi5ELi4EEEElEES1O_NS_35ThreadGroupTensorSliceTransfer_v4r1INS_15ThisThreadBlockILi256EEENS_16tensor_operation12element_wise11PassThroughES35_LNS_25InMemoryDataOperationEnumE0ENS5_IJLi8ELi256ELi16EEEENS5_IJLi8ELi32ELi1EEEENS5_IJLi1ELi0ELi2EEEESC_SC_RKS2Z_KS1O_S39_NS5_IJLi0ELi1ELi2EEEELi2ELi2ELi16ELi16ELi1ELi1ELb0ELb1ELi2EiEENS_13DynamicBufferILNS_16AddressSpaceEnumE1EKSC_lLb1ELNS_22AmdBufferCoherenceEnumE0EiEENSF_IJNS3F_ILS3G_2ESC_S1N_Lb1ELS3I_0EiEES3K_EEENSF_IJiiiEEENSE_INSF_IJNSG_INSF_IJiiiiEEENSF_IJiiiSN_EEELb0EEEEEES1T_S1V_S1U_lEENS_32ThreadwiseTensorSliceTransfer_v2ISD_SD_RKS3R_KS1X_NS5_IJLi8ELi1ELi1ELi32EEEENS5_IJLi1ELi2ELi0ELi3EEEELi3ELi32ELi0ELb1ELb0ELb0EEENS3F_ILS3G_1EKSD_lLb1ELS3I_0EiEENSF_IJNS_12StaticBufferILS3G_4ESD_Li256ELb1EEES42_EEES3N_NS_25StaticBufferTupleOfVectorILS3G_4EfLi64ELi4ELb1ELb0EEEEEvRKT1_RKT2_RT3_RKT4_RT5_RKT6_RKT7_RT8_RKT9_RT10_RKT11_RT12_iENKUlT_T0_E_clISN_NSH_IiLi0EEEEEDaS51_S52_ENKUlS51_E_clINSH_IiLi3EEEEEDaS51_EUlS51_E_EEvS51_EUlS51_E_EEvS51_
; %bb.0:
	s_waitcnt vmcnt(0) expcnt(0) lgkmcnt(0)
	flat_load_dwordx4 v[20:23], v[0:1] offset:16
	flat_load_dwordx2 v[18:19], v[0:1] offset:32
	s_movk_i32 s4, 0x7f
                                        ; implicit-def: $sgpr10
	s_waitcnt vmcnt(0) lgkmcnt(0)
	flat_load_dwordx4 v[14:17], v[20:21] offset:32
	flat_load_dwordx4 v[6:9], v[20:21] offset:48
	;; [unrolled: 1-line block ×4, first 2 shown]
	s_waitcnt vmcnt(0) lgkmcnt(0)
	v_cmp_gt_i16_sdwa s[6:7], v14, s4 src0_sel:BYTE_0 src1_sel:DWORD
	s_mov_b64 s[4:5], 0
	s_and_saveexec_b64 s[8:9], s[6:7]
	s_xor_b64 s[6:7], exec, s[8:9]
	s_cbranch_execnz .LBB39_2049
; %bb.1:
	s_or_saveexec_b64 s[6:7], s[6:7]
	v_mov_b32_e32 v20, s10
	s_xor_b64 exec, exec, s[6:7]
	s_cbranch_execnz .LBB39_2052
.LBB39_2:
	s_or_b64 exec, exec, s[6:7]
	s_and_saveexec_b64 s[6:7], s[4:5]
	s_cbranch_execz .LBB39_4
.LBB39_3:
	v_and_b32_e32 v20, 7, v14
	v_ffbh_u32_e32 v22, v20
	v_min_u32_e32 v22, 32, v22
	v_lshrrev_b16_e32 v21, 3, v14
	v_subrev_u32_e32 v23, 28, v22
	v_and_b32_e32 v21, 15, v21
	v_lshlrev_b32_e32 v23, v23, v14
	v_sub_u32_e32 v22, 29, v22
	v_and_b32_e32 v23, 7, v23
	v_cmp_eq_u16_e32 vcc, 0, v21
	v_cndmask_b32_e32 v20, v20, v23, vcc
	v_cndmask_b32_e32 v21, v21, v22, vcc
	v_lshlrev_b32_e32 v22, 24, v14
	v_mov_b32_e32 v23, 0x3b800000
	v_lshlrev_b32_e32 v20, 20, v20
	v_and_b32_e32 v22, 0x80000000, v22
	v_lshl_add_u32 v21, v21, 23, v23
	v_or3_b32 v20, v22, v21, v20
.LBB39_4:
	s_or_b64 exec, exec, s[6:7]
	s_movk_i32 s4, 0x7f
	v_cmp_gt_i16_sdwa s[6:7], v10, s4 src0_sel:BYTE_0 src1_sel:DWORD
	s_mov_b64 s[4:5], 0
                                        ; implicit-def: $sgpr10
	s_and_saveexec_b64 s[8:9], s[6:7]
	s_xor_b64 s[6:7], exec, s[8:9]
	s_cbranch_execnz .LBB39_2053
; %bb.5:
	s_or_saveexec_b64 s[6:7], s[6:7]
	v_mov_b32_e32 v21, s10
	s_xor_b64 exec, exec, s[6:7]
	s_cbranch_execnz .LBB39_2056
.LBB39_6:
	s_or_b64 exec, exec, s[6:7]
	s_and_saveexec_b64 s[6:7], s[4:5]
	s_cbranch_execz .LBB39_8
.LBB39_7:
	v_and_b32_e32 v21, 7, v10
	v_ffbh_u32_e32 v23, v21
	v_min_u32_e32 v23, 32, v23
	v_lshrrev_b16_e32 v22, 3, v10
	v_subrev_u32_e32 v24, 28, v23
	v_and_b32_e32 v22, 15, v22
	v_lshlrev_b32_e32 v24, v24, v10
	v_sub_u32_e32 v23, 29, v23
	v_and_b32_e32 v24, 7, v24
	v_cmp_eq_u16_e32 vcc, 0, v22
	v_cndmask_b32_e32 v21, v21, v24, vcc
	v_cndmask_b32_e32 v22, v22, v23, vcc
	v_lshlrev_b32_e32 v23, 24, v10
	v_mov_b32_e32 v24, 0x3b800000
	v_lshlrev_b32_e32 v21, 20, v21
	v_and_b32_e32 v23, 0x80000000, v23
	v_lshl_add_u32 v22, v22, 23, v24
	v_or3_b32 v21, v23, v22, v21
.LBB39_8:
	s_or_b64 exec, exec, s[6:7]
	flat_load_dwordx4 a[0:3], v[18:19] offset:384
	s_movk_i32 s4, 0x7f
                                        ; implicit-def: $sgpr10
	s_waitcnt vmcnt(0) lgkmcnt(0)
	v_mfma_f32_16x16x4f32 a[0:3], v20, v21, a[0:3]
	v_lshrrev_b32_e32 v21, 8, v14
	v_cmp_gt_i16_sdwa s[6:7], v21, s4 src0_sel:BYTE_0 src1_sel:DWORD
	s_mov_b64 s[4:5], 0
	s_and_saveexec_b64 s[8:9], s[6:7]
	s_xor_b64 s[6:7], exec, s[8:9]
	s_cbranch_execnz .LBB39_2057
; %bb.9:
	s_or_saveexec_b64 s[6:7], s[6:7]
	v_mov_b32_e32 v20, s10
	s_xor_b64 exec, exec, s[6:7]
	s_cbranch_execnz .LBB39_2060
.LBB39_10:
	s_or_b64 exec, exec, s[6:7]
	s_and_saveexec_b64 s[6:7], s[4:5]
	s_cbranch_execz .LBB39_12
.LBB39_11:
	v_bfe_u32 v20, v14, 8, 3
	v_ffbh_u32_e32 v23, v20
	v_min_u32_e32 v23, 32, v23
	v_lshrrev_b16_e32 v22, 3, v21
	v_subrev_u32_e32 v24, 28, v23
	v_and_b32_e32 v22, 15, v22
	v_lshlrev_b32_e32 v21, v24, v21
	v_sub_u32_e32 v23, 29, v23
	v_and_b32_e32 v21, 7, v21
	v_cmp_eq_u16_e32 vcc, 0, v22
	v_cndmask_b32_e32 v20, v20, v21, vcc
	v_cndmask_b32_e32 v21, v22, v23, vcc
	v_lshlrev_b32_e32 v22, 16, v14
	v_mov_b32_e32 v23, 0x3b800000
	v_lshlrev_b32_e32 v20, 20, v20
	v_and_b32_e32 v22, 0x80000000, v22
	v_lshl_add_u32 v21, v21, 23, v23
	v_or3_b32 v20, v22, v21, v20
.LBB39_12:
	s_or_b64 exec, exec, s[6:7]
	v_lshrrev_b32_e32 v21, 8, v10
	s_movk_i32 s4, 0x7f
	v_cmp_gt_i16_sdwa s[6:7], v21, s4 src0_sel:BYTE_0 src1_sel:DWORD
	s_mov_b64 s[4:5], 0
                                        ; implicit-def: $sgpr10
	s_and_saveexec_b64 s[8:9], s[6:7]
	s_xor_b64 s[6:7], exec, s[8:9]
	s_cbranch_execnz .LBB39_2061
; %bb.13:
	s_or_saveexec_b64 s[6:7], s[6:7]
	v_mov_b32_e32 v22, s10
	s_xor_b64 exec, exec, s[6:7]
	s_cbranch_execnz .LBB39_2064
.LBB39_14:
	s_or_b64 exec, exec, s[6:7]
	s_and_saveexec_b64 s[6:7], s[4:5]
	s_cbranch_execz .LBB39_16
.LBB39_15:
	v_bfe_u32 v22, v10, 8, 3
	v_ffbh_u32_e32 v24, v22
	v_min_u32_e32 v24, 32, v24
	v_lshrrev_b16_e32 v23, 3, v21
	v_subrev_u32_e32 v25, 28, v24
	v_and_b32_e32 v23, 15, v23
	v_lshlrev_b32_e32 v21, v25, v21
	v_sub_u32_e32 v24, 29, v24
	v_and_b32_e32 v21, 7, v21
	v_cmp_eq_u16_e32 vcc, 0, v23
	v_cndmask_b32_e32 v21, v22, v21, vcc
	v_cndmask_b32_e32 v22, v23, v24, vcc
	v_lshlrev_b32_e32 v23, 16, v10
	v_mov_b32_e32 v24, 0x3b800000
	v_lshlrev_b32_e32 v21, 20, v21
	v_and_b32_e32 v23, 0x80000000, v23
	v_lshl_add_u32 v22, v22, 23, v24
	v_or3_b32 v22, v23, v22, v21
.LBB39_16:
	s_or_b64 exec, exec, s[6:7]
	s_nop 0
	v_mfma_f32_16x16x4f32 a[0:3], v20, v22, a[0:3]
	s_movk_i32 s4, 0xff
	v_and_b32_sdwa v21, v14, s4 dst_sel:DWORD dst_unused:UNUSED_PAD src0_sel:WORD_1 src1_sel:DWORD
	s_movk_i32 s4, 0x7f
	v_cmp_lt_i16_e32 vcc, s4, v21
	s_mov_b64 s[4:5], 0
                                        ; implicit-def: $sgpr10
	s_and_saveexec_b64 s[6:7], vcc
	s_xor_b64 s[6:7], exec, s[6:7]
	s_cbranch_execnz .LBB39_2065
; %bb.17:
	s_or_saveexec_b64 s[6:7], s[6:7]
	v_mov_b32_e32 v20, s10
	s_xor_b64 exec, exec, s[6:7]
	s_cbranch_execnz .LBB39_2068
.LBB39_18:
	s_or_b64 exec, exec, s[6:7]
	s_and_saveexec_b64 s[6:7], s[4:5]
	s_cbranch_execz .LBB39_20
.LBB39_19:
	v_bfe_u32 v20, v14, 16, 3
	v_ffbh_u32_e32 v23, v20
	v_min_u32_e32 v23, 32, v23
	v_lshrrev_b32_e32 v21, 19, v14
	v_subrev_u32_e32 v24, 28, v23
	v_and_b32_e32 v21, 15, v21
	v_lshlrev_b32_sdwa v24, v24, v14 dst_sel:DWORD dst_unused:UNUSED_PAD src0_sel:DWORD src1_sel:WORD_1
	v_bfe_u32 v22, v14, 19, 4
	v_sub_u32_e32 v23, 29, v23
	v_and_b32_e32 v24, 7, v24
	v_cmp_eq_u16_e32 vcc, 0, v21
	v_cndmask_b32_e32 v20, v20, v24, vcc
	v_cndmask_b32_e32 v21, v22, v23, vcc
	v_lshlrev_b32_e32 v22, 8, v14
	v_mov_b32_e32 v23, 0x3b800000
	v_lshlrev_b32_e32 v20, 20, v20
	v_and_b32_e32 v22, 0x80000000, v22
	v_lshl_add_u32 v21, v21, 23, v23
	v_or3_b32 v20, v22, v21, v20
.LBB39_20:
	s_or_b64 exec, exec, s[6:7]
	s_movk_i32 s4, 0xff
	v_and_b32_sdwa v21, v10, s4 dst_sel:DWORD dst_unused:UNUSED_PAD src0_sel:WORD_1 src1_sel:DWORD
	s_movk_i32 s4, 0x7f
	v_cmp_lt_i16_e32 vcc, s4, v21
	s_mov_b64 s[4:5], 0
                                        ; implicit-def: $sgpr10
	s_and_saveexec_b64 s[6:7], vcc
	s_xor_b64 s[6:7], exec, s[6:7]
	s_cbranch_execnz .LBB39_2069
; %bb.21:
	s_or_saveexec_b64 s[6:7], s[6:7]
	v_mov_b32_e32 v22, s10
	s_xor_b64 exec, exec, s[6:7]
	s_cbranch_execnz .LBB39_2072
.LBB39_22:
	s_or_b64 exec, exec, s[6:7]
	s_and_saveexec_b64 s[6:7], s[4:5]
	s_cbranch_execz .LBB39_24
.LBB39_23:
	v_bfe_u32 v21, v10, 16, 3
	v_ffbh_u32_e32 v24, v21
	v_min_u32_e32 v24, 32, v24
	v_lshrrev_b32_e32 v22, 19, v10
	v_subrev_u32_e32 v25, 28, v24
	v_and_b32_e32 v22, 15, v22
	v_lshlrev_b32_sdwa v25, v25, v10 dst_sel:DWORD dst_unused:UNUSED_PAD src0_sel:DWORD src1_sel:WORD_1
	v_bfe_u32 v23, v10, 19, 4
	v_sub_u32_e32 v24, 29, v24
	v_and_b32_e32 v25, 7, v25
	v_cmp_eq_u16_e32 vcc, 0, v22
	v_cndmask_b32_e32 v21, v21, v25, vcc
	v_cndmask_b32_e32 v22, v23, v24, vcc
	v_lshlrev_b32_e32 v23, 8, v10
	v_mov_b32_e32 v24, 0x3b800000
	v_lshlrev_b32_e32 v21, 20, v21
	v_and_b32_e32 v23, 0x80000000, v23
	v_lshl_add_u32 v22, v22, 23, v24
	v_or3_b32 v22, v23, v22, v21
.LBB39_24:
	s_or_b64 exec, exec, s[6:7]
	s_nop 0
	v_mfma_f32_16x16x4f32 a[0:3], v20, v22, a[0:3]
	s_movk_i32 s4, 0x7f
	v_cmp_gt_i16_sdwa s[6:7], v14, s4 src0_sel:BYTE_3 src1_sel:DWORD
	s_mov_b64 s[4:5], 0
                                        ; implicit-def: $sgpr10
	s_and_saveexec_b64 s[8:9], s[6:7]
	s_xor_b64 s[6:7], exec, s[8:9]
	s_cbranch_execnz .LBB39_2073
; %bb.25:
	s_or_saveexec_b64 s[6:7], s[6:7]
	v_mov_b32_e32 v20, s10
	s_xor_b64 exec, exec, s[6:7]
	s_cbranch_execnz .LBB39_2076
.LBB39_26:
	s_or_b64 exec, exec, s[6:7]
	s_and_saveexec_b64 s[6:7], s[4:5]
	s_cbranch_execz .LBB39_28
.LBB39_27:
	v_bfe_u32 v20, v14, 24, 3
	v_ffbh_u32_e32 v24, v20
	v_min_u32_e32 v24, 32, v24
	v_lshrrev_b32_e32 v22, 27, v14
	v_subrev_u32_e32 v25, 28, v24
	v_and_b32_e32 v21, 0x80000000, v14
	v_and_b32_e32 v22, 15, v22
	v_bfe_u32 v23, v14, 27, 4
	v_lshlrev_b32_sdwa v14, v25, v14 dst_sel:DWORD dst_unused:UNUSED_PAD src0_sel:DWORD src1_sel:BYTE_3
	v_sub_u32_e32 v24, 29, v24
	v_and_b32_e32 v14, 7, v14
	v_cmp_eq_u16_e32 vcc, 0, v22
	v_cndmask_b32_e32 v14, v20, v14, vcc
	v_cndmask_b32_e32 v20, v23, v24, vcc
	v_mov_b32_e32 v22, 0x3b800000
	v_lshlrev_b32_e32 v14, 20, v14
	v_lshl_add_u32 v20, v20, 23, v22
	v_or3_b32 v20, v21, v20, v14
.LBB39_28:
	s_or_b64 exec, exec, s[6:7]
	s_movk_i32 s4, 0x7f
	v_cmp_gt_i16_sdwa s[6:7], v10, s4 src0_sel:BYTE_3 src1_sel:DWORD
	s_mov_b64 s[4:5], 0
                                        ; implicit-def: $sgpr10
	s_and_saveexec_b64 s[8:9], s[6:7]
	s_xor_b64 s[6:7], exec, s[8:9]
	s_cbranch_execnz .LBB39_2077
; %bb.29:
	s_or_saveexec_b64 s[6:7], s[6:7]
	v_mov_b32_e32 v14, s10
	s_xor_b64 exec, exec, s[6:7]
	s_cbranch_execnz .LBB39_2080
.LBB39_30:
	s_or_b64 exec, exec, s[6:7]
	s_and_saveexec_b64 s[6:7], s[4:5]
	s_cbranch_execz .LBB39_32
.LBB39_31:
	v_bfe_u32 v14, v10, 24, 3
	v_ffbh_u32_e32 v24, v14
	v_min_u32_e32 v24, 32, v24
	v_lshrrev_b32_e32 v22, 27, v10
	v_subrev_u32_e32 v25, 28, v24
	v_and_b32_e32 v21, 0x80000000, v10
	v_and_b32_e32 v22, 15, v22
	v_bfe_u32 v23, v10, 27, 4
	v_lshlrev_b32_sdwa v10, v25, v10 dst_sel:DWORD dst_unused:UNUSED_PAD src0_sel:DWORD src1_sel:BYTE_3
	v_sub_u32_e32 v24, 29, v24
	v_and_b32_e32 v10, 7, v10
	v_cmp_eq_u16_e32 vcc, 0, v22
	v_cndmask_b32_e32 v10, v14, v10, vcc
	v_cndmask_b32_e32 v14, v23, v24, vcc
	v_mov_b32_e32 v22, 0x3b800000
	v_lshlrev_b32_e32 v10, 20, v10
	v_lshl_add_u32 v14, v14, 23, v22
	v_or3_b32 v14, v21, v14, v10
.LBB39_32:
	s_or_b64 exec, exec, s[6:7]
	s_nop 0
	v_mfma_f32_16x16x4f32 a[0:3], v20, v14, a[0:3]
	s_movk_i32 s4, 0x7f
	v_cmp_gt_i16_sdwa s[6:7], v15, s4 src0_sel:BYTE_0 src1_sel:DWORD
	s_mov_b64 s[4:5], 0
                                        ; implicit-def: $sgpr10
	s_and_saveexec_b64 s[8:9], s[6:7]
	s_xor_b64 s[6:7], exec, s[8:9]
	s_cbranch_execnz .LBB39_2081
; %bb.33:
	s_or_saveexec_b64 s[6:7], s[6:7]
	v_mov_b32_e32 v10, s10
	s_xor_b64 exec, exec, s[6:7]
	s_cbranch_execnz .LBB39_2084
.LBB39_34:
	s_or_b64 exec, exec, s[6:7]
	s_and_saveexec_b64 s[6:7], s[4:5]
	s_cbranch_execz .LBB39_36
.LBB39_35:
	v_and_b32_e32 v10, 7, v15
	v_ffbh_u32_e32 v20, v10
	v_min_u32_e32 v20, 32, v20
	v_lshrrev_b16_e32 v14, 3, v15
	v_subrev_u32_e32 v21, 28, v20
	v_and_b32_e32 v14, 15, v14
	v_lshlrev_b32_e32 v21, v21, v15
	v_sub_u32_e32 v20, 29, v20
	v_and_b32_e32 v21, 7, v21
	v_cmp_eq_u16_e32 vcc, 0, v14
	v_cndmask_b32_e32 v10, v10, v21, vcc
	v_cndmask_b32_e32 v14, v14, v20, vcc
	v_lshlrev_b32_e32 v20, 24, v15
	v_mov_b32_e32 v21, 0x3b800000
	v_lshlrev_b32_e32 v10, 20, v10
	v_and_b32_e32 v20, 0x80000000, v20
	v_lshl_add_u32 v14, v14, 23, v21
	v_or3_b32 v10, v20, v14, v10
.LBB39_36:
	s_or_b64 exec, exec, s[6:7]
	s_movk_i32 s4, 0x7f
	v_cmp_gt_i16_sdwa s[6:7], v11, s4 src0_sel:BYTE_0 src1_sel:DWORD
	s_mov_b64 s[4:5], 0
                                        ; implicit-def: $sgpr10
	s_and_saveexec_b64 s[8:9], s[6:7]
	s_xor_b64 s[6:7], exec, s[8:9]
	s_cbranch_execnz .LBB39_2085
; %bb.37:
	s_or_saveexec_b64 s[6:7], s[6:7]
	v_mov_b32_e32 v14, s10
	s_xor_b64 exec, exec, s[6:7]
	s_cbranch_execnz .LBB39_2088
.LBB39_38:
	s_or_b64 exec, exec, s[6:7]
	s_and_saveexec_b64 s[6:7], s[4:5]
	s_cbranch_execz .LBB39_40
.LBB39_39:
	v_and_b32_e32 v14, 7, v11
	v_ffbh_u32_e32 v21, v14
	v_min_u32_e32 v21, 32, v21
	v_lshrrev_b16_e32 v20, 3, v11
	v_subrev_u32_e32 v22, 28, v21
	v_and_b32_e32 v20, 15, v20
	v_lshlrev_b32_e32 v22, v22, v11
	v_sub_u32_e32 v21, 29, v21
	v_and_b32_e32 v22, 7, v22
	v_cmp_eq_u16_e32 vcc, 0, v20
	v_cndmask_b32_e32 v14, v14, v22, vcc
	v_cndmask_b32_e32 v20, v20, v21, vcc
	v_lshlrev_b32_e32 v21, 24, v11
	v_mov_b32_e32 v22, 0x3b800000
	v_lshlrev_b32_e32 v14, 20, v14
	v_and_b32_e32 v21, 0x80000000, v21
	v_lshl_add_u32 v20, v20, 23, v22
	v_or3_b32 v14, v21, v20, v14
.LBB39_40:
	s_or_b64 exec, exec, s[6:7]
	s_nop 0
	v_mfma_f32_16x16x4f32 a[0:3], v10, v14, a[0:3]
	v_lshrrev_b32_e32 v14, 8, v15
	s_movk_i32 s4, 0x7f
	v_cmp_gt_i16_sdwa s[6:7], v14, s4 src0_sel:BYTE_0 src1_sel:DWORD
	s_mov_b64 s[4:5], 0
                                        ; implicit-def: $sgpr10
	s_and_saveexec_b64 s[8:9], s[6:7]
	s_xor_b64 s[6:7], exec, s[8:9]
	s_cbranch_execnz .LBB39_2089
; %bb.41:
	s_or_saveexec_b64 s[6:7], s[6:7]
	v_mov_b32_e32 v10, s10
	s_xor_b64 exec, exec, s[6:7]
	s_cbranch_execnz .LBB39_2092
.LBB39_42:
	s_or_b64 exec, exec, s[6:7]
	s_and_saveexec_b64 s[6:7], s[4:5]
	s_cbranch_execz .LBB39_44
.LBB39_43:
	v_bfe_u32 v10, v15, 8, 3
	v_ffbh_u32_e32 v21, v10
	v_min_u32_e32 v21, 32, v21
	v_lshrrev_b16_e32 v20, 3, v14
	v_subrev_u32_e32 v22, 28, v21
	v_and_b32_e32 v20, 15, v20
	v_lshlrev_b32_e32 v14, v22, v14
	v_sub_u32_e32 v21, 29, v21
	v_and_b32_e32 v14, 7, v14
	v_cmp_eq_u16_e32 vcc, 0, v20
	v_cndmask_b32_e32 v10, v10, v14, vcc
	v_cndmask_b32_e32 v14, v20, v21, vcc
	v_lshlrev_b32_e32 v20, 16, v15
	v_mov_b32_e32 v21, 0x3b800000
	v_lshlrev_b32_e32 v10, 20, v10
	v_and_b32_e32 v20, 0x80000000, v20
	v_lshl_add_u32 v14, v14, 23, v21
	v_or3_b32 v10, v20, v14, v10
.LBB39_44:
	s_or_b64 exec, exec, s[6:7]
	v_lshrrev_b32_e32 v14, 8, v11
	s_movk_i32 s4, 0x7f
	v_cmp_gt_i16_sdwa s[6:7], v14, s4 src0_sel:BYTE_0 src1_sel:DWORD
	s_mov_b64 s[4:5], 0
                                        ; implicit-def: $sgpr10
	s_and_saveexec_b64 s[8:9], s[6:7]
	s_xor_b64 s[6:7], exec, s[8:9]
	s_cbranch_execnz .LBB39_2093
; %bb.45:
	s_or_saveexec_b64 s[6:7], s[6:7]
	v_mov_b32_e32 v20, s10
	s_xor_b64 exec, exec, s[6:7]
	s_cbranch_execnz .LBB39_2096
.LBB39_46:
	s_or_b64 exec, exec, s[6:7]
	s_and_saveexec_b64 s[6:7], s[4:5]
	s_cbranch_execz .LBB39_48
.LBB39_47:
	v_bfe_u32 v20, v11, 8, 3
	v_ffbh_u32_e32 v22, v20
	v_min_u32_e32 v22, 32, v22
	v_lshrrev_b16_e32 v21, 3, v14
	v_subrev_u32_e32 v23, 28, v22
	v_and_b32_e32 v21, 15, v21
	v_lshlrev_b32_e32 v14, v23, v14
	v_sub_u32_e32 v22, 29, v22
	v_and_b32_e32 v14, 7, v14
	v_cmp_eq_u16_e32 vcc, 0, v21
	v_cndmask_b32_e32 v14, v20, v14, vcc
	v_cndmask_b32_e32 v20, v21, v22, vcc
	v_lshlrev_b32_e32 v21, 16, v11
	v_mov_b32_e32 v22, 0x3b800000
	v_lshlrev_b32_e32 v14, 20, v14
	v_and_b32_e32 v21, 0x80000000, v21
	v_lshl_add_u32 v20, v20, 23, v22
	v_or3_b32 v20, v21, v20, v14
.LBB39_48:
	s_or_b64 exec, exec, s[6:7]
	s_nop 0
	v_mfma_f32_16x16x4f32 a[0:3], v10, v20, a[0:3]
	s_movk_i32 s4, 0xff
	v_and_b32_sdwa v14, v15, s4 dst_sel:DWORD dst_unused:UNUSED_PAD src0_sel:WORD_1 src1_sel:DWORD
	s_movk_i32 s4, 0x7f
	v_cmp_lt_i16_e32 vcc, s4, v14
	s_mov_b64 s[4:5], 0
                                        ; implicit-def: $sgpr10
	s_and_saveexec_b64 s[6:7], vcc
	s_xor_b64 s[6:7], exec, s[6:7]
	s_cbranch_execnz .LBB39_2097
; %bb.49:
	s_or_saveexec_b64 s[6:7], s[6:7]
	v_mov_b32_e32 v10, s10
	s_xor_b64 exec, exec, s[6:7]
	s_cbranch_execnz .LBB39_2100
.LBB39_50:
	s_or_b64 exec, exec, s[6:7]
	s_and_saveexec_b64 s[6:7], s[4:5]
	s_cbranch_execz .LBB39_52
.LBB39_51:
	v_bfe_u32 v10, v15, 16, 3
	v_ffbh_u32_e32 v21, v10
	v_min_u32_e32 v21, 32, v21
	v_lshrrev_b32_e32 v14, 19, v15
	v_subrev_u32_e32 v22, 28, v21
	v_and_b32_e32 v14, 15, v14
	v_lshlrev_b32_sdwa v22, v22, v15 dst_sel:DWORD dst_unused:UNUSED_PAD src0_sel:DWORD src1_sel:WORD_1
	v_bfe_u32 v20, v15, 19, 4
	v_sub_u32_e32 v21, 29, v21
	v_and_b32_e32 v22, 7, v22
	v_cmp_eq_u16_e32 vcc, 0, v14
	v_cndmask_b32_e32 v10, v10, v22, vcc
	v_cndmask_b32_e32 v14, v20, v21, vcc
	v_lshlrev_b32_e32 v20, 8, v15
	v_mov_b32_e32 v21, 0x3b800000
	v_lshlrev_b32_e32 v10, 20, v10
	v_and_b32_e32 v20, 0x80000000, v20
	v_lshl_add_u32 v14, v14, 23, v21
	v_or3_b32 v10, v20, v14, v10
.LBB39_52:
	s_or_b64 exec, exec, s[6:7]
	s_movk_i32 s4, 0xff
	v_and_b32_sdwa v14, v11, s4 dst_sel:DWORD dst_unused:UNUSED_PAD src0_sel:WORD_1 src1_sel:DWORD
	s_movk_i32 s4, 0x7f
	v_cmp_lt_i16_e32 vcc, s4, v14
	s_mov_b64 s[4:5], 0
                                        ; implicit-def: $sgpr10
	s_and_saveexec_b64 s[6:7], vcc
	s_xor_b64 s[6:7], exec, s[6:7]
	s_cbranch_execnz .LBB39_2101
; %bb.53:
	s_or_saveexec_b64 s[6:7], s[6:7]
	v_mov_b32_e32 v20, s10
	s_xor_b64 exec, exec, s[6:7]
	s_cbranch_execnz .LBB39_2104
.LBB39_54:
	s_or_b64 exec, exec, s[6:7]
	s_and_saveexec_b64 s[6:7], s[4:5]
	s_cbranch_execz .LBB39_56
.LBB39_55:
	v_bfe_u32 v14, v11, 16, 3
	v_ffbh_u32_e32 v22, v14
	v_min_u32_e32 v22, 32, v22
	v_lshrrev_b32_e32 v20, 19, v11
	v_subrev_u32_e32 v23, 28, v22
	v_and_b32_e32 v20, 15, v20
	v_lshlrev_b32_sdwa v23, v23, v11 dst_sel:DWORD dst_unused:UNUSED_PAD src0_sel:DWORD src1_sel:WORD_1
	v_bfe_u32 v21, v11, 19, 4
	v_sub_u32_e32 v22, 29, v22
	v_and_b32_e32 v23, 7, v23
	v_cmp_eq_u16_e32 vcc, 0, v20
	v_cndmask_b32_e32 v14, v14, v23, vcc
	v_cndmask_b32_e32 v20, v21, v22, vcc
	v_lshlrev_b32_e32 v21, 8, v11
	v_mov_b32_e32 v22, 0x3b800000
	v_lshlrev_b32_e32 v14, 20, v14
	v_and_b32_e32 v21, 0x80000000, v21
	v_lshl_add_u32 v20, v20, 23, v22
	v_or3_b32 v20, v21, v20, v14
.LBB39_56:
	s_or_b64 exec, exec, s[6:7]
	s_nop 0
	v_mfma_f32_16x16x4f32 a[0:3], v10, v20, a[0:3]
	s_movk_i32 s4, 0x7f
	v_cmp_gt_i16_sdwa s[6:7], v15, s4 src0_sel:BYTE_3 src1_sel:DWORD
	s_mov_b64 s[4:5], 0
                                        ; implicit-def: $sgpr10
	s_and_saveexec_b64 s[8:9], s[6:7]
	s_xor_b64 s[6:7], exec, s[8:9]
	s_cbranch_execnz .LBB39_2105
; %bb.57:
	s_or_saveexec_b64 s[6:7], s[6:7]
	v_mov_b32_e32 v10, s10
	s_xor_b64 exec, exec, s[6:7]
	s_cbranch_execnz .LBB39_2108
.LBB39_58:
	s_or_b64 exec, exec, s[6:7]
	s_and_saveexec_b64 s[6:7], s[4:5]
	s_cbranch_execz .LBB39_60
.LBB39_59:
	v_bfe_u32 v10, v15, 24, 3
	v_ffbh_u32_e32 v22, v10
	v_min_u32_e32 v22, 32, v22
	v_lshrrev_b32_e32 v20, 27, v15
	v_subrev_u32_e32 v23, 28, v22
	v_and_b32_e32 v14, 0x80000000, v15
	v_and_b32_e32 v20, 15, v20
	v_bfe_u32 v21, v15, 27, 4
	v_lshlrev_b32_sdwa v15, v23, v15 dst_sel:DWORD dst_unused:UNUSED_PAD src0_sel:DWORD src1_sel:BYTE_3
	v_sub_u32_e32 v22, 29, v22
	v_and_b32_e32 v15, 7, v15
	v_cmp_eq_u16_e32 vcc, 0, v20
	v_cndmask_b32_e32 v10, v10, v15, vcc
	v_cndmask_b32_e32 v15, v21, v22, vcc
	v_mov_b32_e32 v20, 0x3b800000
	v_lshlrev_b32_e32 v10, 20, v10
	v_lshl_add_u32 v15, v15, 23, v20
	v_or3_b32 v10, v14, v15, v10
.LBB39_60:
	s_or_b64 exec, exec, s[6:7]
	s_movk_i32 s4, 0x7f
	v_cmp_gt_i16_sdwa s[6:7], v11, s4 src0_sel:BYTE_3 src1_sel:DWORD
	s_mov_b64 s[4:5], 0
                                        ; implicit-def: $sgpr10
	s_and_saveexec_b64 s[8:9], s[6:7]
	s_xor_b64 s[6:7], exec, s[8:9]
	s_cbranch_execnz .LBB39_2109
; %bb.61:
	s_or_saveexec_b64 s[6:7], s[6:7]
	v_mov_b32_e32 v14, s10
	s_xor_b64 exec, exec, s[6:7]
	s_cbranch_execnz .LBB39_2112
.LBB39_62:
	s_or_b64 exec, exec, s[6:7]
	s_and_saveexec_b64 s[6:7], s[4:5]
	s_cbranch_execz .LBB39_64
.LBB39_63:
	v_bfe_u32 v14, v11, 24, 3
	v_ffbh_u32_e32 v22, v14
	v_min_u32_e32 v22, 32, v22
	v_lshrrev_b32_e32 v20, 27, v11
	v_subrev_u32_e32 v23, 28, v22
	v_and_b32_e32 v15, 0x80000000, v11
	v_and_b32_e32 v20, 15, v20
	v_bfe_u32 v21, v11, 27, 4
	v_lshlrev_b32_sdwa v11, v23, v11 dst_sel:DWORD dst_unused:UNUSED_PAD src0_sel:DWORD src1_sel:BYTE_3
	v_sub_u32_e32 v22, 29, v22
	v_and_b32_e32 v11, 7, v11
	v_cmp_eq_u16_e32 vcc, 0, v20
	v_cndmask_b32_e32 v11, v14, v11, vcc
	v_cndmask_b32_e32 v14, v21, v22, vcc
	v_mov_b32_e32 v20, 0x3b800000
	v_lshlrev_b32_e32 v11, 20, v11
	v_lshl_add_u32 v14, v14, 23, v20
	v_or3_b32 v14, v15, v14, v11
.LBB39_64:
	s_or_b64 exec, exec, s[6:7]
	s_nop 0
	v_mfma_f32_16x16x4f32 a[0:3], v10, v14, a[0:3]
	s_movk_i32 s4, 0x7f
	v_cmp_gt_i16_sdwa s[6:7], v16, s4 src0_sel:BYTE_0 src1_sel:DWORD
	s_mov_b64 s[4:5], 0
                                        ; implicit-def: $sgpr10
	s_and_saveexec_b64 s[8:9], s[6:7]
	s_xor_b64 s[6:7], exec, s[8:9]
	s_cbranch_execnz .LBB39_2113
; %bb.65:
	s_or_saveexec_b64 s[6:7], s[6:7]
	v_mov_b32_e32 v10, s10
	s_xor_b64 exec, exec, s[6:7]
	s_cbranch_execnz .LBB39_2116
.LBB39_66:
	s_or_b64 exec, exec, s[6:7]
	s_and_saveexec_b64 s[6:7], s[4:5]
	s_cbranch_execz .LBB39_68
.LBB39_67:
	v_and_b32_e32 v10, 7, v16
	v_ffbh_u32_e32 v14, v10
	v_min_u32_e32 v14, 32, v14
	v_lshrrev_b16_e32 v11, 3, v16
	v_subrev_u32_e32 v15, 28, v14
	v_and_b32_e32 v11, 15, v11
	v_lshlrev_b32_e32 v15, v15, v16
	v_sub_u32_e32 v14, 29, v14
	v_and_b32_e32 v15, 7, v15
	v_cmp_eq_u16_e32 vcc, 0, v11
	v_cndmask_b32_e32 v10, v10, v15, vcc
	v_cndmask_b32_e32 v11, v11, v14, vcc
	v_lshlrev_b32_e32 v14, 24, v16
	v_mov_b32_e32 v15, 0x3b800000
	v_lshlrev_b32_e32 v10, 20, v10
	v_and_b32_e32 v14, 0x80000000, v14
	v_lshl_add_u32 v11, v11, 23, v15
	v_or3_b32 v10, v14, v11, v10
.LBB39_68:
	s_or_b64 exec, exec, s[6:7]
	s_movk_i32 s4, 0x7f
	v_cmp_gt_i16_sdwa s[6:7], v12, s4 src0_sel:BYTE_0 src1_sel:DWORD
	s_mov_b64 s[4:5], 0
                                        ; implicit-def: $sgpr10
	s_and_saveexec_b64 s[8:9], s[6:7]
	s_xor_b64 s[6:7], exec, s[8:9]
	s_cbranch_execnz .LBB39_2117
; %bb.69:
	s_or_saveexec_b64 s[6:7], s[6:7]
	v_mov_b32_e32 v11, s10
	s_xor_b64 exec, exec, s[6:7]
	s_cbranch_execnz .LBB39_2120
.LBB39_70:
	s_or_b64 exec, exec, s[6:7]
	s_and_saveexec_b64 s[6:7], s[4:5]
	s_cbranch_execz .LBB39_72
.LBB39_71:
	v_and_b32_e32 v11, 7, v12
	v_ffbh_u32_e32 v15, v11
	v_min_u32_e32 v15, 32, v15
	v_lshrrev_b16_e32 v14, 3, v12
	v_subrev_u32_e32 v20, 28, v15
	v_and_b32_e32 v14, 15, v14
	v_lshlrev_b32_e32 v20, v20, v12
	v_sub_u32_e32 v15, 29, v15
	v_and_b32_e32 v20, 7, v20
	v_cmp_eq_u16_e32 vcc, 0, v14
	v_cndmask_b32_e32 v11, v11, v20, vcc
	v_cndmask_b32_e32 v14, v14, v15, vcc
	v_lshlrev_b32_e32 v15, 24, v12
	v_mov_b32_e32 v20, 0x3b800000
	v_lshlrev_b32_e32 v11, 20, v11
	v_and_b32_e32 v15, 0x80000000, v15
	v_lshl_add_u32 v14, v14, 23, v20
	v_or3_b32 v11, v15, v14, v11
.LBB39_72:
	s_or_b64 exec, exec, s[6:7]
	s_nop 0
	v_mfma_f32_16x16x4f32 a[0:3], v10, v11, a[0:3]
	v_lshrrev_b32_e32 v11, 8, v16
	s_movk_i32 s4, 0x7f
	v_cmp_gt_i16_sdwa s[6:7], v11, s4 src0_sel:BYTE_0 src1_sel:DWORD
	s_mov_b64 s[4:5], 0
                                        ; implicit-def: $sgpr10
	s_and_saveexec_b64 s[8:9], s[6:7]
	s_xor_b64 s[6:7], exec, s[8:9]
	s_cbranch_execnz .LBB39_2121
; %bb.73:
	s_or_saveexec_b64 s[6:7], s[6:7]
	v_mov_b32_e32 v10, s10
	s_xor_b64 exec, exec, s[6:7]
	s_cbranch_execnz .LBB39_2124
.LBB39_74:
	s_or_b64 exec, exec, s[6:7]
	s_and_saveexec_b64 s[6:7], s[4:5]
	s_cbranch_execz .LBB39_76
.LBB39_75:
	v_bfe_u32 v10, v16, 8, 3
	v_ffbh_u32_e32 v15, v10
	v_min_u32_e32 v15, 32, v15
	v_lshrrev_b16_e32 v14, 3, v11
	v_subrev_u32_e32 v20, 28, v15
	v_and_b32_e32 v14, 15, v14
	v_lshlrev_b32_e32 v11, v20, v11
	v_sub_u32_e32 v15, 29, v15
	v_and_b32_e32 v11, 7, v11
	v_cmp_eq_u16_e32 vcc, 0, v14
	v_cndmask_b32_e32 v10, v10, v11, vcc
	v_cndmask_b32_e32 v11, v14, v15, vcc
	v_lshlrev_b32_e32 v14, 16, v16
	v_mov_b32_e32 v15, 0x3b800000
	v_lshlrev_b32_e32 v10, 20, v10
	v_and_b32_e32 v14, 0x80000000, v14
	v_lshl_add_u32 v11, v11, 23, v15
	v_or3_b32 v10, v14, v11, v10
.LBB39_76:
	s_or_b64 exec, exec, s[6:7]
	v_lshrrev_b32_e32 v11, 8, v12
	s_movk_i32 s4, 0x7f
	v_cmp_gt_i16_sdwa s[6:7], v11, s4 src0_sel:BYTE_0 src1_sel:DWORD
	s_mov_b64 s[4:5], 0
                                        ; implicit-def: $sgpr10
	s_and_saveexec_b64 s[8:9], s[6:7]
	s_xor_b64 s[6:7], exec, s[8:9]
	s_cbranch_execnz .LBB39_2125
; %bb.77:
	s_or_saveexec_b64 s[6:7], s[6:7]
	v_mov_b32_e32 v14, s10
	s_xor_b64 exec, exec, s[6:7]
	s_cbranch_execnz .LBB39_2128
.LBB39_78:
	s_or_b64 exec, exec, s[6:7]
	s_and_saveexec_b64 s[6:7], s[4:5]
	s_cbranch_execz .LBB39_80
.LBB39_79:
	v_bfe_u32 v14, v12, 8, 3
	v_ffbh_u32_e32 v20, v14
	v_min_u32_e32 v20, 32, v20
	v_lshrrev_b16_e32 v15, 3, v11
	v_subrev_u32_e32 v21, 28, v20
	v_and_b32_e32 v15, 15, v15
	v_lshlrev_b32_e32 v11, v21, v11
	v_sub_u32_e32 v20, 29, v20
	v_and_b32_e32 v11, 7, v11
	v_cmp_eq_u16_e32 vcc, 0, v15
	v_cndmask_b32_e32 v11, v14, v11, vcc
	v_cndmask_b32_e32 v14, v15, v20, vcc
	v_lshlrev_b32_e32 v15, 16, v12
	v_mov_b32_e32 v20, 0x3b800000
	v_lshlrev_b32_e32 v11, 20, v11
	v_and_b32_e32 v15, 0x80000000, v15
	v_lshl_add_u32 v14, v14, 23, v20
	v_or3_b32 v14, v15, v14, v11
.LBB39_80:
	s_or_b64 exec, exec, s[6:7]
	s_nop 0
	v_mfma_f32_16x16x4f32 a[0:3], v10, v14, a[0:3]
	s_movk_i32 s4, 0xff
	v_and_b32_sdwa v11, v16, s4 dst_sel:DWORD dst_unused:UNUSED_PAD src0_sel:WORD_1 src1_sel:DWORD
	s_movk_i32 s4, 0x7f
	v_cmp_lt_i16_e32 vcc, s4, v11
	s_mov_b64 s[4:5], 0
                                        ; implicit-def: $sgpr10
	s_and_saveexec_b64 s[6:7], vcc
	s_xor_b64 s[6:7], exec, s[6:7]
	s_cbranch_execnz .LBB39_2129
; %bb.81:
	s_or_saveexec_b64 s[6:7], s[6:7]
	v_mov_b32_e32 v10, s10
	s_xor_b64 exec, exec, s[6:7]
	s_cbranch_execnz .LBB39_2132
.LBB39_82:
	s_or_b64 exec, exec, s[6:7]
	s_and_saveexec_b64 s[6:7], s[4:5]
	s_cbranch_execz .LBB39_84
.LBB39_83:
	v_bfe_u32 v10, v16, 16, 3
	v_ffbh_u32_e32 v15, v10
	v_min_u32_e32 v15, 32, v15
	v_lshrrev_b32_e32 v11, 19, v16
	v_subrev_u32_e32 v20, 28, v15
	v_and_b32_e32 v11, 15, v11
	v_lshlrev_b32_sdwa v20, v20, v16 dst_sel:DWORD dst_unused:UNUSED_PAD src0_sel:DWORD src1_sel:WORD_1
	v_bfe_u32 v14, v16, 19, 4
	v_sub_u32_e32 v15, 29, v15
	v_and_b32_e32 v20, 7, v20
	v_cmp_eq_u16_e32 vcc, 0, v11
	v_cndmask_b32_e32 v10, v10, v20, vcc
	v_cndmask_b32_e32 v11, v14, v15, vcc
	v_lshlrev_b32_e32 v14, 8, v16
	v_mov_b32_e32 v15, 0x3b800000
	v_lshlrev_b32_e32 v10, 20, v10
	v_and_b32_e32 v14, 0x80000000, v14
	v_lshl_add_u32 v11, v11, 23, v15
	v_or3_b32 v10, v14, v11, v10
.LBB39_84:
	s_or_b64 exec, exec, s[6:7]
	s_movk_i32 s4, 0xff
	v_and_b32_sdwa v11, v12, s4 dst_sel:DWORD dst_unused:UNUSED_PAD src0_sel:WORD_1 src1_sel:DWORD
	s_movk_i32 s4, 0x7f
	v_cmp_lt_i16_e32 vcc, s4, v11
	s_mov_b64 s[4:5], 0
                                        ; implicit-def: $sgpr10
	s_and_saveexec_b64 s[6:7], vcc
	s_xor_b64 s[6:7], exec, s[6:7]
	s_cbranch_execnz .LBB39_2133
; %bb.85:
	s_or_saveexec_b64 s[6:7], s[6:7]
	v_mov_b32_e32 v14, s10
	s_xor_b64 exec, exec, s[6:7]
	s_cbranch_execnz .LBB39_2136
.LBB39_86:
	s_or_b64 exec, exec, s[6:7]
	s_and_saveexec_b64 s[6:7], s[4:5]
	s_cbranch_execz .LBB39_88
.LBB39_87:
	v_bfe_u32 v11, v12, 16, 3
	v_ffbh_u32_e32 v20, v11
	v_min_u32_e32 v20, 32, v20
	v_lshrrev_b32_e32 v14, 19, v12
	v_subrev_u32_e32 v21, 28, v20
	v_and_b32_e32 v14, 15, v14
	v_lshlrev_b32_sdwa v21, v21, v12 dst_sel:DWORD dst_unused:UNUSED_PAD src0_sel:DWORD src1_sel:WORD_1
	v_bfe_u32 v15, v12, 19, 4
	v_sub_u32_e32 v20, 29, v20
	v_and_b32_e32 v21, 7, v21
	v_cmp_eq_u16_e32 vcc, 0, v14
	v_cndmask_b32_e32 v11, v11, v21, vcc
	v_cndmask_b32_e32 v14, v15, v20, vcc
	v_lshlrev_b32_e32 v15, 8, v12
	v_mov_b32_e32 v20, 0x3b800000
	v_lshlrev_b32_e32 v11, 20, v11
	v_and_b32_e32 v15, 0x80000000, v15
	v_lshl_add_u32 v14, v14, 23, v20
	v_or3_b32 v14, v15, v14, v11
.LBB39_88:
	s_or_b64 exec, exec, s[6:7]
	s_nop 0
	v_mfma_f32_16x16x4f32 a[0:3], v10, v14, a[0:3]
	s_movk_i32 s4, 0x7f
	v_cmp_gt_i16_sdwa s[6:7], v16, s4 src0_sel:BYTE_3 src1_sel:DWORD
	s_mov_b64 s[4:5], 0
                                        ; implicit-def: $sgpr10
	s_and_saveexec_b64 s[8:9], s[6:7]
	s_xor_b64 s[6:7], exec, s[8:9]
	s_cbranch_execnz .LBB39_2137
; %bb.89:
	s_or_saveexec_b64 s[6:7], s[6:7]
	v_mov_b32_e32 v10, s10
	s_xor_b64 exec, exec, s[6:7]
	s_cbranch_execnz .LBB39_2140
.LBB39_90:
	s_or_b64 exec, exec, s[6:7]
	s_and_saveexec_b64 s[6:7], s[4:5]
	s_cbranch_execz .LBB39_92
.LBB39_91:
	v_bfe_u32 v10, v16, 24, 3
	v_ffbh_u32_e32 v20, v10
	v_min_u32_e32 v20, 32, v20
	v_lshrrev_b32_e32 v14, 27, v16
	v_subrev_u32_e32 v21, 28, v20
	v_and_b32_e32 v11, 0x80000000, v16
	v_and_b32_e32 v14, 15, v14
	v_bfe_u32 v15, v16, 27, 4
	v_lshlrev_b32_sdwa v16, v21, v16 dst_sel:DWORD dst_unused:UNUSED_PAD src0_sel:DWORD src1_sel:BYTE_3
	v_sub_u32_e32 v20, 29, v20
	v_and_b32_e32 v16, 7, v16
	v_cmp_eq_u16_e32 vcc, 0, v14
	v_cndmask_b32_e32 v10, v10, v16, vcc
	v_cndmask_b32_e32 v14, v15, v20, vcc
	v_mov_b32_e32 v15, 0x3b800000
	v_lshlrev_b32_e32 v10, 20, v10
	v_lshl_add_u32 v14, v14, 23, v15
	v_or3_b32 v10, v11, v14, v10
.LBB39_92:
	s_or_b64 exec, exec, s[6:7]
	s_movk_i32 s4, 0x7f
	v_cmp_gt_i16_sdwa s[6:7], v12, s4 src0_sel:BYTE_3 src1_sel:DWORD
	s_mov_b64 s[4:5], 0
                                        ; implicit-def: $sgpr10
	s_and_saveexec_b64 s[8:9], s[6:7]
	s_xor_b64 s[6:7], exec, s[8:9]
	s_cbranch_execnz .LBB39_2141
; %bb.93:
	s_or_saveexec_b64 s[6:7], s[6:7]
	v_mov_b32_e32 v11, s10
	s_xor_b64 exec, exec, s[6:7]
	s_cbranch_execnz .LBB39_2144
.LBB39_94:
	s_or_b64 exec, exec, s[6:7]
	s_and_saveexec_b64 s[6:7], s[4:5]
	s_cbranch_execz .LBB39_96
.LBB39_95:
	v_bfe_u32 v11, v12, 24, 3
	v_ffbh_u32_e32 v20, v11
	v_min_u32_e32 v20, 32, v20
	v_lshrrev_b32_e32 v15, 27, v12
	v_subrev_u32_e32 v21, 28, v20
	v_and_b32_e32 v14, 0x80000000, v12
	v_and_b32_e32 v15, 15, v15
	v_bfe_u32 v16, v12, 27, 4
	v_lshlrev_b32_sdwa v12, v21, v12 dst_sel:DWORD dst_unused:UNUSED_PAD src0_sel:DWORD src1_sel:BYTE_3
	v_sub_u32_e32 v20, 29, v20
	v_and_b32_e32 v12, 7, v12
	v_cmp_eq_u16_e32 vcc, 0, v15
	v_cndmask_b32_e32 v11, v11, v12, vcc
	v_cndmask_b32_e32 v12, v16, v20, vcc
	v_mov_b32_e32 v15, 0x3b800000
	v_lshlrev_b32_e32 v11, 20, v11
	v_lshl_add_u32 v12, v12, 23, v15
	v_or3_b32 v11, v14, v12, v11
.LBB39_96:
	s_or_b64 exec, exec, s[6:7]
	s_nop 0
	v_mfma_f32_16x16x4f32 a[0:3], v10, v11, a[0:3]
	s_movk_i32 s4, 0x7f
	v_cmp_gt_i16_sdwa s[6:7], v17, s4 src0_sel:BYTE_0 src1_sel:DWORD
	s_mov_b64 s[4:5], 0
                                        ; implicit-def: $sgpr10
	s_and_saveexec_b64 s[8:9], s[6:7]
	s_xor_b64 s[6:7], exec, s[8:9]
	s_cbranch_execnz .LBB39_2145
; %bb.97:
	s_or_saveexec_b64 s[6:7], s[6:7]
	v_mov_b32_e32 v10, s10
	s_xor_b64 exec, exec, s[6:7]
	s_cbranch_execnz .LBB39_2148
.LBB39_98:
	s_or_b64 exec, exec, s[6:7]
	s_and_saveexec_b64 s[6:7], s[4:5]
	s_cbranch_execz .LBB39_100
.LBB39_99:
	v_and_b32_e32 v10, 7, v17
	v_ffbh_u32_e32 v12, v10
	v_min_u32_e32 v12, 32, v12
	v_lshrrev_b16_e32 v11, 3, v17
	v_subrev_u32_e32 v14, 28, v12
	v_and_b32_e32 v11, 15, v11
	v_lshlrev_b32_e32 v14, v14, v17
	v_sub_u32_e32 v12, 29, v12
	v_and_b32_e32 v14, 7, v14
	v_cmp_eq_u16_e32 vcc, 0, v11
	v_cndmask_b32_e32 v10, v10, v14, vcc
	v_cndmask_b32_e32 v11, v11, v12, vcc
	v_lshlrev_b32_e32 v12, 24, v17
	v_mov_b32_e32 v14, 0x3b800000
	v_lshlrev_b32_e32 v10, 20, v10
	v_and_b32_e32 v12, 0x80000000, v12
	v_lshl_add_u32 v11, v11, 23, v14
	v_or3_b32 v10, v12, v11, v10
.LBB39_100:
	s_or_b64 exec, exec, s[6:7]
	s_movk_i32 s4, 0x7f
	v_cmp_gt_i16_sdwa s[6:7], v13, s4 src0_sel:BYTE_0 src1_sel:DWORD
	s_mov_b64 s[4:5], 0
                                        ; implicit-def: $sgpr10
	s_and_saveexec_b64 s[8:9], s[6:7]
	s_xor_b64 s[6:7], exec, s[8:9]
	s_cbranch_execnz .LBB39_2149
; %bb.101:
	s_or_saveexec_b64 s[6:7], s[6:7]
	v_mov_b32_e32 v11, s10
	s_xor_b64 exec, exec, s[6:7]
	s_cbranch_execnz .LBB39_2152
.LBB39_102:
	s_or_b64 exec, exec, s[6:7]
	s_and_saveexec_b64 s[6:7], s[4:5]
	s_cbranch_execz .LBB39_104
.LBB39_103:
	v_and_b32_e32 v11, 7, v13
	v_ffbh_u32_e32 v14, v11
	v_min_u32_e32 v14, 32, v14
	v_lshrrev_b16_e32 v12, 3, v13
	v_subrev_u32_e32 v15, 28, v14
	v_and_b32_e32 v12, 15, v12
	v_lshlrev_b32_e32 v15, v15, v13
	v_sub_u32_e32 v14, 29, v14
	v_and_b32_e32 v15, 7, v15
	v_cmp_eq_u16_e32 vcc, 0, v12
	v_cndmask_b32_e32 v11, v11, v15, vcc
	v_cndmask_b32_e32 v12, v12, v14, vcc
	v_lshlrev_b32_e32 v14, 24, v13
	v_mov_b32_e32 v15, 0x3b800000
	v_lshlrev_b32_e32 v11, 20, v11
	v_and_b32_e32 v14, 0x80000000, v14
	v_lshl_add_u32 v12, v12, 23, v15
	v_or3_b32 v11, v14, v12, v11
.LBB39_104:
	s_or_b64 exec, exec, s[6:7]
	s_nop 0
	v_mfma_f32_16x16x4f32 a[0:3], v10, v11, a[0:3]
	v_lshrrev_b32_e32 v11, 8, v17
	s_movk_i32 s4, 0x7f
	v_cmp_gt_i16_sdwa s[6:7], v11, s4 src0_sel:BYTE_0 src1_sel:DWORD
	s_mov_b64 s[4:5], 0
                                        ; implicit-def: $sgpr10
	s_and_saveexec_b64 s[8:9], s[6:7]
	s_xor_b64 s[6:7], exec, s[8:9]
	s_cbranch_execnz .LBB39_2153
; %bb.105:
	s_or_saveexec_b64 s[6:7], s[6:7]
	v_mov_b32_e32 v10, s10
	s_xor_b64 exec, exec, s[6:7]
	s_cbranch_execnz .LBB39_2156
.LBB39_106:
	s_or_b64 exec, exec, s[6:7]
	s_and_saveexec_b64 s[6:7], s[4:5]
	s_cbranch_execz .LBB39_108
.LBB39_107:
	v_bfe_u32 v10, v17, 8, 3
	v_ffbh_u32_e32 v14, v10
	v_min_u32_e32 v14, 32, v14
	v_lshrrev_b16_e32 v12, 3, v11
	v_subrev_u32_e32 v15, 28, v14
	v_and_b32_e32 v12, 15, v12
	v_lshlrev_b32_e32 v11, v15, v11
	v_sub_u32_e32 v14, 29, v14
	v_and_b32_e32 v11, 7, v11
	v_cmp_eq_u16_e32 vcc, 0, v12
	v_cndmask_b32_e32 v10, v10, v11, vcc
	v_cndmask_b32_e32 v11, v12, v14, vcc
	v_lshlrev_b32_e32 v12, 16, v17
	v_mov_b32_e32 v14, 0x3b800000
	v_lshlrev_b32_e32 v10, 20, v10
	v_and_b32_e32 v12, 0x80000000, v12
	v_lshl_add_u32 v11, v11, 23, v14
	v_or3_b32 v10, v12, v11, v10
.LBB39_108:
	s_or_b64 exec, exec, s[6:7]
	v_lshrrev_b32_e32 v11, 8, v13
	s_movk_i32 s4, 0x7f
	v_cmp_gt_i16_sdwa s[6:7], v11, s4 src0_sel:BYTE_0 src1_sel:DWORD
	s_mov_b64 s[4:5], 0
                                        ; implicit-def: $sgpr10
	s_and_saveexec_b64 s[8:9], s[6:7]
	s_xor_b64 s[6:7], exec, s[8:9]
	s_cbranch_execnz .LBB39_2157
; %bb.109:
	s_or_saveexec_b64 s[6:7], s[6:7]
	v_mov_b32_e32 v12, s10
	s_xor_b64 exec, exec, s[6:7]
	s_cbranch_execnz .LBB39_2160
.LBB39_110:
	s_or_b64 exec, exec, s[6:7]
	s_and_saveexec_b64 s[6:7], s[4:5]
	s_cbranch_execz .LBB39_112
.LBB39_111:
	v_bfe_u32 v12, v13, 8, 3
	v_ffbh_u32_e32 v15, v12
	v_min_u32_e32 v15, 32, v15
	v_lshrrev_b16_e32 v14, 3, v11
	v_subrev_u32_e32 v16, 28, v15
	v_and_b32_e32 v14, 15, v14
	v_lshlrev_b32_e32 v11, v16, v11
	v_sub_u32_e32 v15, 29, v15
	v_and_b32_e32 v11, 7, v11
	v_cmp_eq_u16_e32 vcc, 0, v14
	v_cndmask_b32_e32 v11, v12, v11, vcc
	v_cndmask_b32_e32 v12, v14, v15, vcc
	v_lshlrev_b32_e32 v14, 16, v13
	v_mov_b32_e32 v15, 0x3b800000
	v_lshlrev_b32_e32 v11, 20, v11
	v_and_b32_e32 v14, 0x80000000, v14
	v_lshl_add_u32 v12, v12, 23, v15
	v_or3_b32 v12, v14, v12, v11
.LBB39_112:
	s_or_b64 exec, exec, s[6:7]
	s_nop 0
	v_mfma_f32_16x16x4f32 a[0:3], v10, v12, a[0:3]
	s_movk_i32 s4, 0xff
	v_and_b32_sdwa v11, v17, s4 dst_sel:DWORD dst_unused:UNUSED_PAD src0_sel:WORD_1 src1_sel:DWORD
	s_movk_i32 s4, 0x7f
	v_cmp_lt_i16_e32 vcc, s4, v11
	s_mov_b64 s[4:5], 0
                                        ; implicit-def: $sgpr10
	s_and_saveexec_b64 s[6:7], vcc
	s_xor_b64 s[6:7], exec, s[6:7]
	s_cbranch_execnz .LBB39_2161
; %bb.113:
	s_or_saveexec_b64 s[6:7], s[6:7]
	v_mov_b32_e32 v10, s10
	s_xor_b64 exec, exec, s[6:7]
	s_cbranch_execnz .LBB39_2164
.LBB39_114:
	s_or_b64 exec, exec, s[6:7]
	s_and_saveexec_b64 s[6:7], s[4:5]
	s_cbranch_execz .LBB39_116
.LBB39_115:
	v_bfe_u32 v10, v17, 16, 3
	v_ffbh_u32_e32 v14, v10
	v_min_u32_e32 v14, 32, v14
	v_lshrrev_b32_e32 v11, 19, v17
	v_subrev_u32_e32 v15, 28, v14
	v_and_b32_e32 v11, 15, v11
	v_lshlrev_b32_sdwa v15, v15, v17 dst_sel:DWORD dst_unused:UNUSED_PAD src0_sel:DWORD src1_sel:WORD_1
	v_bfe_u32 v12, v17, 19, 4
	v_sub_u32_e32 v14, 29, v14
	v_and_b32_e32 v15, 7, v15
	v_cmp_eq_u16_e32 vcc, 0, v11
	v_cndmask_b32_e32 v10, v10, v15, vcc
	v_cndmask_b32_e32 v11, v12, v14, vcc
	v_lshlrev_b32_e32 v12, 8, v17
	v_mov_b32_e32 v14, 0x3b800000
	v_lshlrev_b32_e32 v10, 20, v10
	v_and_b32_e32 v12, 0x80000000, v12
	v_lshl_add_u32 v11, v11, 23, v14
	v_or3_b32 v10, v12, v11, v10
.LBB39_116:
	s_or_b64 exec, exec, s[6:7]
	s_movk_i32 s4, 0xff
	v_and_b32_sdwa v11, v13, s4 dst_sel:DWORD dst_unused:UNUSED_PAD src0_sel:WORD_1 src1_sel:DWORD
	s_movk_i32 s4, 0x7f
	v_cmp_lt_i16_e32 vcc, s4, v11
	s_mov_b64 s[4:5], 0
                                        ; implicit-def: $sgpr10
	s_and_saveexec_b64 s[6:7], vcc
	s_xor_b64 s[6:7], exec, s[6:7]
	s_cbranch_execnz .LBB39_2165
; %bb.117:
	s_or_saveexec_b64 s[6:7], s[6:7]
	v_mov_b32_e32 v12, s10
	s_xor_b64 exec, exec, s[6:7]
	s_cbranch_execnz .LBB39_2168
.LBB39_118:
	s_or_b64 exec, exec, s[6:7]
	s_and_saveexec_b64 s[6:7], s[4:5]
	s_cbranch_execz .LBB39_120
.LBB39_119:
	v_bfe_u32 v11, v13, 16, 3
	v_ffbh_u32_e32 v15, v11
	v_min_u32_e32 v15, 32, v15
	v_lshrrev_b32_e32 v12, 19, v13
	v_subrev_u32_e32 v16, 28, v15
	v_and_b32_e32 v12, 15, v12
	v_lshlrev_b32_sdwa v16, v16, v13 dst_sel:DWORD dst_unused:UNUSED_PAD src0_sel:DWORD src1_sel:WORD_1
	v_bfe_u32 v14, v13, 19, 4
	v_sub_u32_e32 v15, 29, v15
	v_and_b32_e32 v16, 7, v16
	v_cmp_eq_u16_e32 vcc, 0, v12
	v_cndmask_b32_e32 v11, v11, v16, vcc
	v_cndmask_b32_e32 v12, v14, v15, vcc
	v_lshlrev_b32_e32 v14, 8, v13
	v_mov_b32_e32 v15, 0x3b800000
	v_lshlrev_b32_e32 v11, 20, v11
	v_and_b32_e32 v14, 0x80000000, v14
	v_lshl_add_u32 v12, v12, 23, v15
	v_or3_b32 v12, v14, v12, v11
.LBB39_120:
	s_or_b64 exec, exec, s[6:7]
	s_nop 0
	v_mfma_f32_16x16x4f32 a[0:3], v10, v12, a[0:3]
	s_movk_i32 s4, 0x7f
	v_cmp_gt_i16_sdwa s[6:7], v17, s4 src0_sel:BYTE_3 src1_sel:DWORD
	s_mov_b64 s[4:5], 0
                                        ; implicit-def: $sgpr10
	s_and_saveexec_b64 s[8:9], s[6:7]
	s_xor_b64 s[6:7], exec, s[8:9]
	s_cbranch_execnz .LBB39_2169
; %bb.121:
	s_or_saveexec_b64 s[6:7], s[6:7]
	v_mov_b32_e32 v10, s10
	s_xor_b64 exec, exec, s[6:7]
	s_cbranch_execnz .LBB39_2172
.LBB39_122:
	s_or_b64 exec, exec, s[6:7]
	s_and_saveexec_b64 s[6:7], s[4:5]
	s_cbranch_execz .LBB39_124
.LBB39_123:
	v_bfe_u32 v10, v17, 24, 3
	v_ffbh_u32_e32 v15, v10
	v_min_u32_e32 v15, 32, v15
	v_lshrrev_b32_e32 v12, 27, v17
	v_subrev_u32_e32 v16, 28, v15
	v_and_b32_e32 v12, 15, v12
	v_lshlrev_b32_sdwa v16, v16, v17 dst_sel:DWORD dst_unused:UNUSED_PAD src0_sel:DWORD src1_sel:BYTE_3
	v_bfe_u32 v14, v17, 27, 4
	v_sub_u32_e32 v15, 29, v15
	v_and_b32_e32 v16, 7, v16
	v_cmp_eq_u16_e32 vcc, 0, v12
	v_cndmask_b32_e32 v10, v10, v16, vcc
	v_cndmask_b32_e32 v12, v14, v15, vcc
	v_mov_b32_e32 v14, 0x3b800000
	v_and_b32_e32 v11, 0x80000000, v17
	v_lshlrev_b32_e32 v10, 20, v10
	v_lshl_add_u32 v12, v12, 23, v14
	v_or3_b32 v10, v11, v12, v10
.LBB39_124:
	s_or_b64 exec, exec, s[6:7]
	s_movk_i32 s4, 0x7f
	v_cmp_gt_i16_sdwa s[6:7], v13, s4 src0_sel:BYTE_3 src1_sel:DWORD
	s_mov_b64 s[4:5], 0
                                        ; implicit-def: $sgpr10
	s_and_saveexec_b64 s[8:9], s[6:7]
	s_xor_b64 s[6:7], exec, s[8:9]
	s_cbranch_execnz .LBB39_2173
; %bb.125:
	s_or_saveexec_b64 s[6:7], s[6:7]
	v_mov_b32_e32 v11, s10
	s_xor_b64 exec, exec, s[6:7]
	s_cbranch_execnz .LBB39_2176
.LBB39_126:
	s_or_b64 exec, exec, s[6:7]
	s_and_saveexec_b64 s[6:7], s[4:5]
	s_cbranch_execz .LBB39_128
.LBB39_127:
	v_bfe_u32 v11, v13, 24, 3
	v_ffbh_u32_e32 v16, v11
	v_min_u32_e32 v16, 32, v16
	v_lshrrev_b32_e32 v14, 27, v13
	v_subrev_u32_e32 v17, 28, v16
	v_and_b32_e32 v12, 0x80000000, v13
	v_and_b32_e32 v14, 15, v14
	v_bfe_u32 v15, v13, 27, 4
	v_lshlrev_b32_sdwa v13, v17, v13 dst_sel:DWORD dst_unused:UNUSED_PAD src0_sel:DWORD src1_sel:BYTE_3
	v_sub_u32_e32 v16, 29, v16
	v_and_b32_e32 v13, 7, v13
	v_cmp_eq_u16_e32 vcc, 0, v14
	v_cndmask_b32_e32 v11, v11, v13, vcc
	v_cndmask_b32_e32 v13, v15, v16, vcc
	v_mov_b32_e32 v14, 0x3b800000
	v_lshlrev_b32_e32 v11, 20, v11
	v_lshl_add_u32 v13, v13, 23, v14
	v_or3_b32 v11, v12, v13, v11
.LBB39_128:
	s_or_b64 exec, exec, s[6:7]
	s_nop 0
	v_mfma_f32_16x16x4f32 a[0:3], v10, v11, a[0:3]
	s_movk_i32 s4, 0x7f
	v_cmp_gt_i16_sdwa s[6:7], v6, s4 src0_sel:BYTE_0 src1_sel:DWORD
	s_mov_b64 s[4:5], 0
                                        ; implicit-def: $sgpr10
	s_and_saveexec_b64 s[8:9], s[6:7]
	s_xor_b64 s[6:7], exec, s[8:9]
	s_cbranch_execnz .LBB39_2177
; %bb.129:
	s_or_saveexec_b64 s[6:7], s[6:7]
	v_mov_b32_e32 v10, s10
	s_xor_b64 exec, exec, s[6:7]
	s_cbranch_execnz .LBB39_2180
.LBB39_130:
	s_or_b64 exec, exec, s[6:7]
	s_and_saveexec_b64 s[6:7], s[4:5]
	s_cbranch_execz .LBB39_132
.LBB39_131:
	v_and_b32_e32 v10, 7, v6
	v_ffbh_u32_e32 v12, v10
	v_min_u32_e32 v12, 32, v12
	v_lshrrev_b16_e32 v11, 3, v6
	v_subrev_u32_e32 v13, 28, v12
	v_and_b32_e32 v11, 15, v11
	v_lshlrev_b32_e32 v13, v13, v6
	v_sub_u32_e32 v12, 29, v12
	v_and_b32_e32 v13, 7, v13
	v_cmp_eq_u16_e32 vcc, 0, v11
	v_cndmask_b32_e32 v10, v10, v13, vcc
	v_cndmask_b32_e32 v11, v11, v12, vcc
	v_lshlrev_b32_e32 v12, 24, v6
	v_mov_b32_e32 v13, 0x3b800000
	v_lshlrev_b32_e32 v10, 20, v10
	v_and_b32_e32 v12, 0x80000000, v12
	v_lshl_add_u32 v11, v11, 23, v13
	v_or3_b32 v10, v12, v11, v10
.LBB39_132:
	s_or_b64 exec, exec, s[6:7]
	s_movk_i32 s4, 0x7f
	v_cmp_gt_i16_sdwa s[6:7], v2, s4 src0_sel:BYTE_0 src1_sel:DWORD
	s_mov_b64 s[4:5], 0
                                        ; implicit-def: $sgpr10
	s_and_saveexec_b64 s[8:9], s[6:7]
	s_xor_b64 s[6:7], exec, s[8:9]
	s_cbranch_execnz .LBB39_2181
; %bb.133:
	s_or_saveexec_b64 s[6:7], s[6:7]
	v_mov_b32_e32 v11, s10
	s_xor_b64 exec, exec, s[6:7]
	s_cbranch_execnz .LBB39_2184
.LBB39_134:
	s_or_b64 exec, exec, s[6:7]
	s_and_saveexec_b64 s[6:7], s[4:5]
	s_cbranch_execz .LBB39_136
.LBB39_135:
	v_and_b32_e32 v11, 7, v2
	v_ffbh_u32_e32 v13, v11
	v_min_u32_e32 v13, 32, v13
	v_lshrrev_b16_e32 v12, 3, v2
	v_subrev_u32_e32 v14, 28, v13
	v_and_b32_e32 v12, 15, v12
	v_lshlrev_b32_e32 v14, v14, v2
	v_sub_u32_e32 v13, 29, v13
	v_and_b32_e32 v14, 7, v14
	v_cmp_eq_u16_e32 vcc, 0, v12
	v_cndmask_b32_e32 v11, v11, v14, vcc
	v_cndmask_b32_e32 v12, v12, v13, vcc
	v_lshlrev_b32_e32 v13, 24, v2
	v_mov_b32_e32 v14, 0x3b800000
	v_lshlrev_b32_e32 v11, 20, v11
	v_and_b32_e32 v13, 0x80000000, v13
	v_lshl_add_u32 v12, v12, 23, v14
	v_or3_b32 v11, v13, v12, v11
.LBB39_136:
	s_or_b64 exec, exec, s[6:7]
	s_nop 0
	v_mfma_f32_16x16x4f32 a[0:3], v10, v11, a[0:3]
	v_lshrrev_b32_e32 v11, 8, v6
	s_movk_i32 s4, 0x7f
	v_cmp_gt_i16_sdwa s[6:7], v11, s4 src0_sel:BYTE_0 src1_sel:DWORD
	s_mov_b64 s[4:5], 0
                                        ; implicit-def: $sgpr10
	s_and_saveexec_b64 s[8:9], s[6:7]
	s_xor_b64 s[6:7], exec, s[8:9]
	s_cbranch_execnz .LBB39_2185
; %bb.137:
	s_or_saveexec_b64 s[6:7], s[6:7]
	v_mov_b32_e32 v10, s10
	s_xor_b64 exec, exec, s[6:7]
	s_cbranch_execnz .LBB39_2188
.LBB39_138:
	s_or_b64 exec, exec, s[6:7]
	s_and_saveexec_b64 s[6:7], s[4:5]
	s_cbranch_execz .LBB39_140
.LBB39_139:
	v_bfe_u32 v10, v6, 8, 3
	v_ffbh_u32_e32 v13, v10
	v_min_u32_e32 v13, 32, v13
	v_lshrrev_b16_e32 v12, 3, v11
	v_subrev_u32_e32 v14, 28, v13
	v_and_b32_e32 v12, 15, v12
	v_lshlrev_b32_e32 v11, v14, v11
	v_sub_u32_e32 v13, 29, v13
	v_and_b32_e32 v11, 7, v11
	v_cmp_eq_u16_e32 vcc, 0, v12
	v_cndmask_b32_e32 v10, v10, v11, vcc
	v_cndmask_b32_e32 v11, v12, v13, vcc
	v_lshlrev_b32_e32 v12, 16, v6
	v_mov_b32_e32 v13, 0x3b800000
	v_lshlrev_b32_e32 v10, 20, v10
	v_and_b32_e32 v12, 0x80000000, v12
	v_lshl_add_u32 v11, v11, 23, v13
	v_or3_b32 v10, v12, v11, v10
.LBB39_140:
	s_or_b64 exec, exec, s[6:7]
	v_lshrrev_b32_e32 v11, 8, v2
	s_movk_i32 s4, 0x7f
	v_cmp_gt_i16_sdwa s[6:7], v11, s4 src0_sel:BYTE_0 src1_sel:DWORD
	s_mov_b64 s[4:5], 0
                                        ; implicit-def: $sgpr10
	s_and_saveexec_b64 s[8:9], s[6:7]
	s_xor_b64 s[6:7], exec, s[8:9]
	s_cbranch_execnz .LBB39_2189
; %bb.141:
	s_or_saveexec_b64 s[6:7], s[6:7]
	v_mov_b32_e32 v12, s10
	s_xor_b64 exec, exec, s[6:7]
	s_cbranch_execnz .LBB39_2192
.LBB39_142:
	s_or_b64 exec, exec, s[6:7]
	s_and_saveexec_b64 s[6:7], s[4:5]
	s_cbranch_execz .LBB39_144
.LBB39_143:
	v_bfe_u32 v12, v2, 8, 3
	v_ffbh_u32_e32 v14, v12
	v_min_u32_e32 v14, 32, v14
	v_lshrrev_b16_e32 v13, 3, v11
	v_subrev_u32_e32 v15, 28, v14
	v_and_b32_e32 v13, 15, v13
	v_lshlrev_b32_e32 v11, v15, v11
	v_sub_u32_e32 v14, 29, v14
	v_and_b32_e32 v11, 7, v11
	v_cmp_eq_u16_e32 vcc, 0, v13
	v_cndmask_b32_e32 v11, v12, v11, vcc
	v_cndmask_b32_e32 v12, v13, v14, vcc
	v_lshlrev_b32_e32 v13, 16, v2
	v_mov_b32_e32 v14, 0x3b800000
	v_lshlrev_b32_e32 v11, 20, v11
	v_and_b32_e32 v13, 0x80000000, v13
	v_lshl_add_u32 v12, v12, 23, v14
	v_or3_b32 v12, v13, v12, v11
.LBB39_144:
	s_or_b64 exec, exec, s[6:7]
	s_nop 0
	v_mfma_f32_16x16x4f32 a[0:3], v10, v12, a[0:3]
	s_movk_i32 s4, 0xff
	v_and_b32_sdwa v11, v6, s4 dst_sel:DWORD dst_unused:UNUSED_PAD src0_sel:WORD_1 src1_sel:DWORD
	s_movk_i32 s4, 0x7f
	v_cmp_lt_i16_e32 vcc, s4, v11
	s_mov_b64 s[4:5], 0
                                        ; implicit-def: $sgpr10
	s_and_saveexec_b64 s[6:7], vcc
	s_xor_b64 s[6:7], exec, s[6:7]
	s_cbranch_execnz .LBB39_2193
; %bb.145:
	s_or_saveexec_b64 s[6:7], s[6:7]
	v_mov_b32_e32 v10, s10
	s_xor_b64 exec, exec, s[6:7]
	s_cbranch_execnz .LBB39_2196
.LBB39_146:
	s_or_b64 exec, exec, s[6:7]
	s_and_saveexec_b64 s[6:7], s[4:5]
	s_cbranch_execz .LBB39_148
.LBB39_147:
	v_bfe_u32 v10, v6, 16, 3
	v_ffbh_u32_e32 v13, v10
	v_min_u32_e32 v13, 32, v13
	v_lshrrev_b32_e32 v11, 19, v6
	v_subrev_u32_e32 v14, 28, v13
	v_and_b32_e32 v11, 15, v11
	v_lshlrev_b32_sdwa v14, v14, v6 dst_sel:DWORD dst_unused:UNUSED_PAD src0_sel:DWORD src1_sel:WORD_1
	v_bfe_u32 v12, v6, 19, 4
	v_sub_u32_e32 v13, 29, v13
	v_and_b32_e32 v14, 7, v14
	v_cmp_eq_u16_e32 vcc, 0, v11
	v_cndmask_b32_e32 v10, v10, v14, vcc
	v_cndmask_b32_e32 v11, v12, v13, vcc
	v_lshlrev_b32_e32 v12, 8, v6
	v_mov_b32_e32 v13, 0x3b800000
	v_lshlrev_b32_e32 v10, 20, v10
	v_and_b32_e32 v12, 0x80000000, v12
	v_lshl_add_u32 v11, v11, 23, v13
	v_or3_b32 v10, v12, v11, v10
.LBB39_148:
	s_or_b64 exec, exec, s[6:7]
	s_movk_i32 s4, 0xff
	v_and_b32_sdwa v11, v2, s4 dst_sel:DWORD dst_unused:UNUSED_PAD src0_sel:WORD_1 src1_sel:DWORD
	s_movk_i32 s4, 0x7f
	v_cmp_lt_i16_e32 vcc, s4, v11
	s_mov_b64 s[4:5], 0
                                        ; implicit-def: $sgpr10
	s_and_saveexec_b64 s[6:7], vcc
	s_xor_b64 s[6:7], exec, s[6:7]
	s_cbranch_execnz .LBB39_2197
; %bb.149:
	s_or_saveexec_b64 s[6:7], s[6:7]
	v_mov_b32_e32 v12, s10
	s_xor_b64 exec, exec, s[6:7]
	s_cbranch_execnz .LBB39_2200
.LBB39_150:
	s_or_b64 exec, exec, s[6:7]
	s_and_saveexec_b64 s[6:7], s[4:5]
	s_cbranch_execz .LBB39_152
.LBB39_151:
	v_bfe_u32 v11, v2, 16, 3
	v_ffbh_u32_e32 v14, v11
	v_min_u32_e32 v14, 32, v14
	v_lshrrev_b32_e32 v12, 19, v2
	v_subrev_u32_e32 v15, 28, v14
	v_and_b32_e32 v12, 15, v12
	v_lshlrev_b32_sdwa v15, v15, v2 dst_sel:DWORD dst_unused:UNUSED_PAD src0_sel:DWORD src1_sel:WORD_1
	v_bfe_u32 v13, v2, 19, 4
	v_sub_u32_e32 v14, 29, v14
	v_and_b32_e32 v15, 7, v15
	v_cmp_eq_u16_e32 vcc, 0, v12
	v_cndmask_b32_e32 v11, v11, v15, vcc
	v_cndmask_b32_e32 v12, v13, v14, vcc
	v_lshlrev_b32_e32 v13, 8, v2
	v_mov_b32_e32 v14, 0x3b800000
	v_lshlrev_b32_e32 v11, 20, v11
	v_and_b32_e32 v13, 0x80000000, v13
	v_lshl_add_u32 v12, v12, 23, v14
	v_or3_b32 v12, v13, v12, v11
.LBB39_152:
	s_or_b64 exec, exec, s[6:7]
	s_nop 0
	v_mfma_f32_16x16x4f32 a[0:3], v10, v12, a[0:3]
	s_movk_i32 s4, 0x7f
	v_cmp_gt_i16_sdwa s[6:7], v6, s4 src0_sel:BYTE_3 src1_sel:DWORD
	s_mov_b64 s[4:5], 0
                                        ; implicit-def: $sgpr10
	s_and_saveexec_b64 s[8:9], s[6:7]
	s_xor_b64 s[6:7], exec, s[8:9]
	s_cbranch_execnz .LBB39_2201
; %bb.153:
	s_or_saveexec_b64 s[6:7], s[6:7]
	v_mov_b32_e32 v10, s10
	s_xor_b64 exec, exec, s[6:7]
	s_cbranch_execnz .LBB39_2204
.LBB39_154:
	s_or_b64 exec, exec, s[6:7]
	s_and_saveexec_b64 s[6:7], s[4:5]
	s_cbranch_execz .LBB39_156
.LBB39_155:
	v_bfe_u32 v10, v6, 24, 3
	v_ffbh_u32_e32 v14, v10
	v_min_u32_e32 v14, 32, v14
	v_lshrrev_b32_e32 v12, 27, v6
	v_subrev_u32_e32 v15, 28, v14
	v_and_b32_e32 v11, 0x80000000, v6
	v_and_b32_e32 v12, 15, v12
	v_bfe_u32 v13, v6, 27, 4
	v_lshlrev_b32_sdwa v6, v15, v6 dst_sel:DWORD dst_unused:UNUSED_PAD src0_sel:DWORD src1_sel:BYTE_3
	v_sub_u32_e32 v14, 29, v14
	v_and_b32_e32 v6, 7, v6
	v_cmp_eq_u16_e32 vcc, 0, v12
	v_cndmask_b32_e32 v6, v10, v6, vcc
	v_cndmask_b32_e32 v10, v13, v14, vcc
	v_mov_b32_e32 v12, 0x3b800000
	v_lshlrev_b32_e32 v6, 20, v6
	v_lshl_add_u32 v10, v10, 23, v12
	v_or3_b32 v10, v11, v10, v6
.LBB39_156:
	s_or_b64 exec, exec, s[6:7]
	s_movk_i32 s4, 0x7f
	v_cmp_gt_i16_sdwa s[6:7], v2, s4 src0_sel:BYTE_3 src1_sel:DWORD
	s_mov_b64 s[4:5], 0
                                        ; implicit-def: $sgpr10
	s_and_saveexec_b64 s[8:9], s[6:7]
	s_xor_b64 s[6:7], exec, s[8:9]
	s_cbranch_execnz .LBB39_2205
; %bb.157:
	s_or_saveexec_b64 s[6:7], s[6:7]
	v_mov_b32_e32 v6, s10
	s_xor_b64 exec, exec, s[6:7]
	s_cbranch_execnz .LBB39_2208
.LBB39_158:
	s_or_b64 exec, exec, s[6:7]
	s_and_saveexec_b64 s[6:7], s[4:5]
	s_cbranch_execz .LBB39_160
.LBB39_159:
	v_bfe_u32 v6, v2, 24, 3
	v_ffbh_u32_e32 v14, v6
	v_min_u32_e32 v14, 32, v14
	v_lshrrev_b32_e32 v12, 27, v2
	v_subrev_u32_e32 v15, 28, v14
	v_and_b32_e32 v11, 0x80000000, v2
	v_and_b32_e32 v12, 15, v12
	v_bfe_u32 v13, v2, 27, 4
	v_lshlrev_b32_sdwa v2, v15, v2 dst_sel:DWORD dst_unused:UNUSED_PAD src0_sel:DWORD src1_sel:BYTE_3
	v_sub_u32_e32 v14, 29, v14
	v_and_b32_e32 v2, 7, v2
	v_cmp_eq_u16_e32 vcc, 0, v12
	v_cndmask_b32_e32 v2, v6, v2, vcc
	v_cndmask_b32_e32 v6, v13, v14, vcc
	v_mov_b32_e32 v12, 0x3b800000
	v_lshlrev_b32_e32 v2, 20, v2
	v_lshl_add_u32 v6, v6, 23, v12
	v_or3_b32 v6, v11, v6, v2
.LBB39_160:
	s_or_b64 exec, exec, s[6:7]
	s_nop 0
	v_mfma_f32_16x16x4f32 a[0:3], v10, v6, a[0:3]
	s_movk_i32 s4, 0x7f
	v_cmp_gt_i16_sdwa s[6:7], v7, s4 src0_sel:BYTE_0 src1_sel:DWORD
	s_mov_b64 s[4:5], 0
                                        ; implicit-def: $sgpr10
	s_and_saveexec_b64 s[8:9], s[6:7]
	s_xor_b64 s[6:7], exec, s[8:9]
	s_cbranch_execnz .LBB39_2209
; %bb.161:
	s_or_saveexec_b64 s[6:7], s[6:7]
	v_mov_b32_e32 v2, s10
	s_xor_b64 exec, exec, s[6:7]
	s_cbranch_execnz .LBB39_2212
.LBB39_162:
	s_or_b64 exec, exec, s[6:7]
	s_and_saveexec_b64 s[6:7], s[4:5]
	s_cbranch_execz .LBB39_164
.LBB39_163:
	v_and_b32_e32 v2, 7, v7
	v_ffbh_u32_e32 v10, v2
	v_min_u32_e32 v10, 32, v10
	v_lshrrev_b16_e32 v6, 3, v7
	v_subrev_u32_e32 v11, 28, v10
	v_and_b32_e32 v6, 15, v6
	v_lshlrev_b32_e32 v11, v11, v7
	v_sub_u32_e32 v10, 29, v10
	v_and_b32_e32 v11, 7, v11
	v_cmp_eq_u16_e32 vcc, 0, v6
	v_cndmask_b32_e32 v2, v2, v11, vcc
	v_cndmask_b32_e32 v6, v6, v10, vcc
	v_lshlrev_b32_e32 v10, 24, v7
	v_mov_b32_e32 v11, 0x3b800000
	v_lshlrev_b32_e32 v2, 20, v2
	v_and_b32_e32 v10, 0x80000000, v10
	v_lshl_add_u32 v6, v6, 23, v11
	v_or3_b32 v2, v10, v6, v2
.LBB39_164:
	s_or_b64 exec, exec, s[6:7]
	s_movk_i32 s4, 0x7f
	v_cmp_gt_i16_sdwa s[6:7], v3, s4 src0_sel:BYTE_0 src1_sel:DWORD
	s_mov_b64 s[4:5], 0
                                        ; implicit-def: $sgpr10
	s_and_saveexec_b64 s[8:9], s[6:7]
	s_xor_b64 s[6:7], exec, s[8:9]
	s_cbranch_execnz .LBB39_2213
; %bb.165:
	s_or_saveexec_b64 s[6:7], s[6:7]
	v_mov_b32_e32 v6, s10
	s_xor_b64 exec, exec, s[6:7]
	s_cbranch_execnz .LBB39_2216
.LBB39_166:
	s_or_b64 exec, exec, s[6:7]
	s_and_saveexec_b64 s[6:7], s[4:5]
	s_cbranch_execz .LBB39_168
.LBB39_167:
	v_and_b32_e32 v6, 7, v3
	v_ffbh_u32_e32 v11, v6
	v_min_u32_e32 v11, 32, v11
	v_lshrrev_b16_e32 v10, 3, v3
	v_subrev_u32_e32 v12, 28, v11
	v_and_b32_e32 v10, 15, v10
	v_lshlrev_b32_e32 v12, v12, v3
	v_sub_u32_e32 v11, 29, v11
	v_and_b32_e32 v12, 7, v12
	v_cmp_eq_u16_e32 vcc, 0, v10
	v_cndmask_b32_e32 v6, v6, v12, vcc
	v_cndmask_b32_e32 v10, v10, v11, vcc
	v_lshlrev_b32_e32 v11, 24, v3
	v_mov_b32_e32 v12, 0x3b800000
	v_lshlrev_b32_e32 v6, 20, v6
	v_and_b32_e32 v11, 0x80000000, v11
	v_lshl_add_u32 v10, v10, 23, v12
	v_or3_b32 v6, v11, v10, v6
.LBB39_168:
	s_or_b64 exec, exec, s[6:7]
	s_nop 0
	v_mfma_f32_16x16x4f32 a[0:3], v2, v6, a[0:3]
	v_lshrrev_b32_e32 v6, 8, v7
	s_movk_i32 s4, 0x7f
	v_cmp_gt_i16_sdwa s[6:7], v6, s4 src0_sel:BYTE_0 src1_sel:DWORD
	s_mov_b64 s[4:5], 0
                                        ; implicit-def: $sgpr10
	s_and_saveexec_b64 s[8:9], s[6:7]
	s_xor_b64 s[6:7], exec, s[8:9]
	s_cbranch_execnz .LBB39_2217
; %bb.169:
	s_or_saveexec_b64 s[6:7], s[6:7]
	v_mov_b32_e32 v2, s10
	s_xor_b64 exec, exec, s[6:7]
	s_cbranch_execnz .LBB39_2220
.LBB39_170:
	s_or_b64 exec, exec, s[6:7]
	s_and_saveexec_b64 s[6:7], s[4:5]
	s_cbranch_execz .LBB39_172
.LBB39_171:
	v_bfe_u32 v2, v7, 8, 3
	v_ffbh_u32_e32 v11, v2
	v_min_u32_e32 v11, 32, v11
	v_lshrrev_b16_e32 v10, 3, v6
	v_subrev_u32_e32 v12, 28, v11
	v_and_b32_e32 v10, 15, v10
	v_lshlrev_b32_e32 v6, v12, v6
	v_sub_u32_e32 v11, 29, v11
	v_and_b32_e32 v6, 7, v6
	v_cmp_eq_u16_e32 vcc, 0, v10
	v_cndmask_b32_e32 v2, v2, v6, vcc
	v_cndmask_b32_e32 v6, v10, v11, vcc
	v_lshlrev_b32_e32 v10, 16, v7
	v_mov_b32_e32 v11, 0x3b800000
	v_lshlrev_b32_e32 v2, 20, v2
	v_and_b32_e32 v10, 0x80000000, v10
	v_lshl_add_u32 v6, v6, 23, v11
	v_or3_b32 v2, v10, v6, v2
.LBB39_172:
	s_or_b64 exec, exec, s[6:7]
	v_lshrrev_b32_e32 v6, 8, v3
	s_movk_i32 s4, 0x7f
	v_cmp_gt_i16_sdwa s[6:7], v6, s4 src0_sel:BYTE_0 src1_sel:DWORD
	s_mov_b64 s[4:5], 0
                                        ; implicit-def: $sgpr10
	s_and_saveexec_b64 s[8:9], s[6:7]
	s_xor_b64 s[6:7], exec, s[8:9]
	s_cbranch_execnz .LBB39_2221
; %bb.173:
	s_or_saveexec_b64 s[6:7], s[6:7]
	v_mov_b32_e32 v10, s10
	s_xor_b64 exec, exec, s[6:7]
	s_cbranch_execnz .LBB39_2224
.LBB39_174:
	s_or_b64 exec, exec, s[6:7]
	s_and_saveexec_b64 s[6:7], s[4:5]
	s_cbranch_execz .LBB39_176
.LBB39_175:
	v_bfe_u32 v10, v3, 8, 3
	v_ffbh_u32_e32 v12, v10
	v_min_u32_e32 v12, 32, v12
	v_lshrrev_b16_e32 v11, 3, v6
	v_subrev_u32_e32 v13, 28, v12
	v_and_b32_e32 v11, 15, v11
	v_lshlrev_b32_e32 v6, v13, v6
	v_sub_u32_e32 v12, 29, v12
	v_and_b32_e32 v6, 7, v6
	v_cmp_eq_u16_e32 vcc, 0, v11
	v_cndmask_b32_e32 v6, v10, v6, vcc
	v_cndmask_b32_e32 v10, v11, v12, vcc
	v_lshlrev_b32_e32 v11, 16, v3
	v_mov_b32_e32 v12, 0x3b800000
	v_lshlrev_b32_e32 v6, 20, v6
	v_and_b32_e32 v11, 0x80000000, v11
	v_lshl_add_u32 v10, v10, 23, v12
	v_or3_b32 v10, v11, v10, v6
.LBB39_176:
	s_or_b64 exec, exec, s[6:7]
	s_nop 0
	v_mfma_f32_16x16x4f32 a[0:3], v2, v10, a[0:3]
	s_movk_i32 s4, 0xff
	v_and_b32_sdwa v6, v7, s4 dst_sel:DWORD dst_unused:UNUSED_PAD src0_sel:WORD_1 src1_sel:DWORD
	s_movk_i32 s4, 0x7f
	v_cmp_lt_i16_e32 vcc, s4, v6
	s_mov_b64 s[4:5], 0
                                        ; implicit-def: $sgpr10
	s_and_saveexec_b64 s[6:7], vcc
	s_xor_b64 s[6:7], exec, s[6:7]
	s_cbranch_execnz .LBB39_2225
; %bb.177:
	s_or_saveexec_b64 s[6:7], s[6:7]
	v_mov_b32_e32 v2, s10
	s_xor_b64 exec, exec, s[6:7]
	s_cbranch_execnz .LBB39_2228
.LBB39_178:
	s_or_b64 exec, exec, s[6:7]
	s_and_saveexec_b64 s[6:7], s[4:5]
	s_cbranch_execz .LBB39_180
.LBB39_179:
	v_bfe_u32 v2, v7, 16, 3
	v_ffbh_u32_e32 v11, v2
	v_min_u32_e32 v11, 32, v11
	v_lshrrev_b32_e32 v6, 19, v7
	v_subrev_u32_e32 v12, 28, v11
	v_and_b32_e32 v6, 15, v6
	v_lshlrev_b32_sdwa v12, v12, v7 dst_sel:DWORD dst_unused:UNUSED_PAD src0_sel:DWORD src1_sel:WORD_1
	v_bfe_u32 v10, v7, 19, 4
	v_sub_u32_e32 v11, 29, v11
	v_and_b32_e32 v12, 7, v12
	v_cmp_eq_u16_e32 vcc, 0, v6
	v_cndmask_b32_e32 v2, v2, v12, vcc
	v_cndmask_b32_e32 v6, v10, v11, vcc
	v_lshlrev_b32_e32 v10, 8, v7
	v_mov_b32_e32 v11, 0x3b800000
	v_lshlrev_b32_e32 v2, 20, v2
	v_and_b32_e32 v10, 0x80000000, v10
	v_lshl_add_u32 v6, v6, 23, v11
	v_or3_b32 v2, v10, v6, v2
.LBB39_180:
	s_or_b64 exec, exec, s[6:7]
	s_movk_i32 s4, 0xff
	v_and_b32_sdwa v6, v3, s4 dst_sel:DWORD dst_unused:UNUSED_PAD src0_sel:WORD_1 src1_sel:DWORD
	s_movk_i32 s4, 0x7f
	v_cmp_lt_i16_e32 vcc, s4, v6
	s_mov_b64 s[4:5], 0
                                        ; implicit-def: $sgpr10
	s_and_saveexec_b64 s[6:7], vcc
	s_xor_b64 s[6:7], exec, s[6:7]
	s_cbranch_execnz .LBB39_2229
; %bb.181:
	s_or_saveexec_b64 s[6:7], s[6:7]
	v_mov_b32_e32 v10, s10
	s_xor_b64 exec, exec, s[6:7]
	s_cbranch_execnz .LBB39_2232
.LBB39_182:
	s_or_b64 exec, exec, s[6:7]
	s_and_saveexec_b64 s[6:7], s[4:5]
	s_cbranch_execz .LBB39_184
.LBB39_183:
	v_bfe_u32 v6, v3, 16, 3
	v_ffbh_u32_e32 v12, v6
	v_min_u32_e32 v12, 32, v12
	v_lshrrev_b32_e32 v10, 19, v3
	v_subrev_u32_e32 v13, 28, v12
	v_and_b32_e32 v10, 15, v10
	v_lshlrev_b32_sdwa v13, v13, v3 dst_sel:DWORD dst_unused:UNUSED_PAD src0_sel:DWORD src1_sel:WORD_1
	v_bfe_u32 v11, v3, 19, 4
	v_sub_u32_e32 v12, 29, v12
	v_and_b32_e32 v13, 7, v13
	v_cmp_eq_u16_e32 vcc, 0, v10
	v_cndmask_b32_e32 v6, v6, v13, vcc
	v_cndmask_b32_e32 v10, v11, v12, vcc
	v_lshlrev_b32_e32 v11, 8, v3
	v_mov_b32_e32 v12, 0x3b800000
	v_lshlrev_b32_e32 v6, 20, v6
	v_and_b32_e32 v11, 0x80000000, v11
	v_lshl_add_u32 v10, v10, 23, v12
	v_or3_b32 v10, v11, v10, v6
.LBB39_184:
	s_or_b64 exec, exec, s[6:7]
	s_nop 0
	v_mfma_f32_16x16x4f32 a[0:3], v2, v10, a[0:3]
	s_movk_i32 s4, 0x7f
	v_cmp_gt_i16_sdwa s[6:7], v7, s4 src0_sel:BYTE_3 src1_sel:DWORD
	s_mov_b64 s[4:5], 0
                                        ; implicit-def: $sgpr10
	s_and_saveexec_b64 s[8:9], s[6:7]
	s_xor_b64 s[6:7], exec, s[8:9]
	s_cbranch_execnz .LBB39_2233
; %bb.185:
	s_or_saveexec_b64 s[6:7], s[6:7]
	v_mov_b32_e32 v2, s10
	s_xor_b64 exec, exec, s[6:7]
	s_cbranch_execnz .LBB39_2236
.LBB39_186:
	s_or_b64 exec, exec, s[6:7]
	s_and_saveexec_b64 s[6:7], s[4:5]
	s_cbranch_execz .LBB39_188
.LBB39_187:
	v_bfe_u32 v2, v7, 24, 3
	v_ffbh_u32_e32 v12, v2
	v_min_u32_e32 v12, 32, v12
	v_lshrrev_b32_e32 v10, 27, v7
	v_subrev_u32_e32 v13, 28, v12
	v_and_b32_e32 v6, 0x80000000, v7
	v_and_b32_e32 v10, 15, v10
	v_bfe_u32 v11, v7, 27, 4
	v_lshlrev_b32_sdwa v7, v13, v7 dst_sel:DWORD dst_unused:UNUSED_PAD src0_sel:DWORD src1_sel:BYTE_3
	v_sub_u32_e32 v12, 29, v12
	v_and_b32_e32 v7, 7, v7
	v_cmp_eq_u16_e32 vcc, 0, v10
	v_cndmask_b32_e32 v2, v2, v7, vcc
	v_cndmask_b32_e32 v7, v11, v12, vcc
	v_mov_b32_e32 v10, 0x3b800000
	v_lshlrev_b32_e32 v2, 20, v2
	v_lshl_add_u32 v7, v7, 23, v10
	v_or3_b32 v2, v6, v7, v2
.LBB39_188:
	s_or_b64 exec, exec, s[6:7]
	s_movk_i32 s4, 0x7f
	v_cmp_gt_i16_sdwa s[6:7], v3, s4 src0_sel:BYTE_3 src1_sel:DWORD
	s_mov_b64 s[4:5], 0
                                        ; implicit-def: $sgpr10
	s_and_saveexec_b64 s[8:9], s[6:7]
	s_xor_b64 s[6:7], exec, s[8:9]
	s_cbranch_execnz .LBB39_2237
; %bb.189:
	s_or_saveexec_b64 s[6:7], s[6:7]
	v_mov_b32_e32 v6, s10
	s_xor_b64 exec, exec, s[6:7]
	s_cbranch_execnz .LBB39_2240
.LBB39_190:
	s_or_b64 exec, exec, s[6:7]
	s_and_saveexec_b64 s[6:7], s[4:5]
	s_cbranch_execz .LBB39_192
.LBB39_191:
	v_bfe_u32 v6, v3, 24, 3
	v_ffbh_u32_e32 v12, v6
	v_min_u32_e32 v12, 32, v12
	v_lshrrev_b32_e32 v10, 27, v3
	v_subrev_u32_e32 v13, 28, v12
	v_and_b32_e32 v7, 0x80000000, v3
	v_and_b32_e32 v10, 15, v10
	v_bfe_u32 v11, v3, 27, 4
	v_lshlrev_b32_sdwa v3, v13, v3 dst_sel:DWORD dst_unused:UNUSED_PAD src0_sel:DWORD src1_sel:BYTE_3
	v_sub_u32_e32 v12, 29, v12
	v_and_b32_e32 v3, 7, v3
	v_cmp_eq_u16_e32 vcc, 0, v10
	v_cndmask_b32_e32 v3, v6, v3, vcc
	v_cndmask_b32_e32 v6, v11, v12, vcc
	v_mov_b32_e32 v10, 0x3b800000
	v_lshlrev_b32_e32 v3, 20, v3
	v_lshl_add_u32 v6, v6, 23, v10
	v_or3_b32 v6, v7, v6, v3
.LBB39_192:
	s_or_b64 exec, exec, s[6:7]
	s_nop 0
	v_mfma_f32_16x16x4f32 a[0:3], v2, v6, a[0:3]
	s_movk_i32 s4, 0x7f
	v_cmp_gt_i16_sdwa s[6:7], v8, s4 src0_sel:BYTE_0 src1_sel:DWORD
	s_mov_b64 s[4:5], 0
                                        ; implicit-def: $sgpr10
	s_and_saveexec_b64 s[8:9], s[6:7]
	s_xor_b64 s[6:7], exec, s[8:9]
	s_cbranch_execnz .LBB39_2241
; %bb.193:
	s_or_saveexec_b64 s[6:7], s[6:7]
	v_mov_b32_e32 v2, s10
	s_xor_b64 exec, exec, s[6:7]
	s_cbranch_execnz .LBB39_2244
.LBB39_194:
	s_or_b64 exec, exec, s[6:7]
	s_and_saveexec_b64 s[6:7], s[4:5]
	s_cbranch_execz .LBB39_196
.LBB39_195:
	v_and_b32_e32 v2, 7, v8
	v_ffbh_u32_e32 v6, v2
	v_min_u32_e32 v6, 32, v6
	v_lshrrev_b16_e32 v3, 3, v8
	v_subrev_u32_e32 v7, 28, v6
	v_and_b32_e32 v3, 15, v3
	v_lshlrev_b32_e32 v7, v7, v8
	v_sub_u32_e32 v6, 29, v6
	v_and_b32_e32 v7, 7, v7
	v_cmp_eq_u16_e32 vcc, 0, v3
	v_cndmask_b32_e32 v2, v2, v7, vcc
	v_cndmask_b32_e32 v3, v3, v6, vcc
	v_lshlrev_b32_e32 v6, 24, v8
	v_mov_b32_e32 v7, 0x3b800000
	v_lshlrev_b32_e32 v2, 20, v2
	v_and_b32_e32 v6, 0x80000000, v6
	v_lshl_add_u32 v3, v3, 23, v7
	v_or3_b32 v2, v6, v3, v2
.LBB39_196:
	s_or_b64 exec, exec, s[6:7]
	s_movk_i32 s4, 0x7f
	v_cmp_gt_i16_sdwa s[6:7], v4, s4 src0_sel:BYTE_0 src1_sel:DWORD
	s_mov_b64 s[4:5], 0
                                        ; implicit-def: $sgpr10
	s_and_saveexec_b64 s[8:9], s[6:7]
	s_xor_b64 s[6:7], exec, s[8:9]
	s_cbranch_execnz .LBB39_2245
; %bb.197:
	s_or_saveexec_b64 s[6:7], s[6:7]
	v_mov_b32_e32 v3, s10
	s_xor_b64 exec, exec, s[6:7]
	s_cbranch_execnz .LBB39_2248
.LBB39_198:
	s_or_b64 exec, exec, s[6:7]
	s_and_saveexec_b64 s[6:7], s[4:5]
	s_cbranch_execz .LBB39_200
.LBB39_199:
	v_and_b32_e32 v3, 7, v4
	v_ffbh_u32_e32 v7, v3
	v_min_u32_e32 v7, 32, v7
	v_lshrrev_b16_e32 v6, 3, v4
	v_subrev_u32_e32 v10, 28, v7
	v_and_b32_e32 v6, 15, v6
	v_lshlrev_b32_e32 v10, v10, v4
	v_sub_u32_e32 v7, 29, v7
	v_and_b32_e32 v10, 7, v10
	v_cmp_eq_u16_e32 vcc, 0, v6
	v_cndmask_b32_e32 v3, v3, v10, vcc
	v_cndmask_b32_e32 v6, v6, v7, vcc
	v_lshlrev_b32_e32 v7, 24, v4
	v_mov_b32_e32 v10, 0x3b800000
	v_lshlrev_b32_e32 v3, 20, v3
	v_and_b32_e32 v7, 0x80000000, v7
	v_lshl_add_u32 v6, v6, 23, v10
	v_or3_b32 v3, v7, v6, v3
.LBB39_200:
	s_or_b64 exec, exec, s[6:7]
	s_nop 0
	v_mfma_f32_16x16x4f32 a[0:3], v2, v3, a[0:3]
	v_lshrrev_b32_e32 v3, 8, v8
	s_movk_i32 s4, 0x7f
	v_cmp_gt_i16_sdwa s[6:7], v3, s4 src0_sel:BYTE_0 src1_sel:DWORD
	s_mov_b64 s[4:5], 0
                                        ; implicit-def: $sgpr10
	s_and_saveexec_b64 s[8:9], s[6:7]
	s_xor_b64 s[6:7], exec, s[8:9]
	s_cbranch_execnz .LBB39_2249
; %bb.201:
	s_or_saveexec_b64 s[6:7], s[6:7]
	v_mov_b32_e32 v2, s10
	s_xor_b64 exec, exec, s[6:7]
	s_cbranch_execnz .LBB39_2252
.LBB39_202:
	s_or_b64 exec, exec, s[6:7]
	s_and_saveexec_b64 s[6:7], s[4:5]
	s_cbranch_execz .LBB39_204
.LBB39_203:
	v_bfe_u32 v2, v8, 8, 3
	v_ffbh_u32_e32 v7, v2
	v_min_u32_e32 v7, 32, v7
	v_lshrrev_b16_e32 v6, 3, v3
	v_subrev_u32_e32 v10, 28, v7
	v_and_b32_e32 v6, 15, v6
	v_lshlrev_b32_e32 v3, v10, v3
	v_sub_u32_e32 v7, 29, v7
	v_and_b32_e32 v3, 7, v3
	v_cmp_eq_u16_e32 vcc, 0, v6
	v_cndmask_b32_e32 v2, v2, v3, vcc
	v_cndmask_b32_e32 v3, v6, v7, vcc
	v_lshlrev_b32_e32 v6, 16, v8
	v_mov_b32_e32 v7, 0x3b800000
	v_lshlrev_b32_e32 v2, 20, v2
	v_and_b32_e32 v6, 0x80000000, v6
	v_lshl_add_u32 v3, v3, 23, v7
	v_or3_b32 v2, v6, v3, v2
.LBB39_204:
	s_or_b64 exec, exec, s[6:7]
	v_lshrrev_b32_e32 v3, 8, v4
	s_movk_i32 s4, 0x7f
	v_cmp_gt_i16_sdwa s[6:7], v3, s4 src0_sel:BYTE_0 src1_sel:DWORD
	s_mov_b64 s[4:5], 0
                                        ; implicit-def: $sgpr10
	s_and_saveexec_b64 s[8:9], s[6:7]
	s_xor_b64 s[6:7], exec, s[8:9]
	s_cbranch_execnz .LBB39_2253
; %bb.205:
	s_or_saveexec_b64 s[6:7], s[6:7]
	v_mov_b32_e32 v6, s10
	s_xor_b64 exec, exec, s[6:7]
	s_cbranch_execnz .LBB39_2256
.LBB39_206:
	s_or_b64 exec, exec, s[6:7]
	s_and_saveexec_b64 s[6:7], s[4:5]
	s_cbranch_execz .LBB39_208
.LBB39_207:
	v_bfe_u32 v6, v4, 8, 3
	v_ffbh_u32_e32 v10, v6
	v_min_u32_e32 v10, 32, v10
	v_lshrrev_b16_e32 v7, 3, v3
	v_subrev_u32_e32 v11, 28, v10
	v_and_b32_e32 v7, 15, v7
	v_lshlrev_b32_e32 v3, v11, v3
	v_sub_u32_e32 v10, 29, v10
	v_and_b32_e32 v3, 7, v3
	v_cmp_eq_u16_e32 vcc, 0, v7
	v_cndmask_b32_e32 v3, v6, v3, vcc
	v_cndmask_b32_e32 v6, v7, v10, vcc
	v_lshlrev_b32_e32 v7, 16, v4
	v_mov_b32_e32 v10, 0x3b800000
	v_lshlrev_b32_e32 v3, 20, v3
	v_and_b32_e32 v7, 0x80000000, v7
	v_lshl_add_u32 v6, v6, 23, v10
	v_or3_b32 v6, v7, v6, v3
.LBB39_208:
	s_or_b64 exec, exec, s[6:7]
	s_nop 0
	v_mfma_f32_16x16x4f32 a[0:3], v2, v6, a[0:3]
	s_movk_i32 s4, 0xff
	v_and_b32_sdwa v3, v8, s4 dst_sel:DWORD dst_unused:UNUSED_PAD src0_sel:WORD_1 src1_sel:DWORD
	s_movk_i32 s4, 0x7f
	v_cmp_lt_i16_e32 vcc, s4, v3
	s_mov_b64 s[4:5], 0
                                        ; implicit-def: $sgpr10
	s_and_saveexec_b64 s[6:7], vcc
	s_xor_b64 s[6:7], exec, s[6:7]
	s_cbranch_execnz .LBB39_2257
; %bb.209:
	s_or_saveexec_b64 s[6:7], s[6:7]
	v_mov_b32_e32 v2, s10
	s_xor_b64 exec, exec, s[6:7]
	s_cbranch_execnz .LBB39_2260
.LBB39_210:
	s_or_b64 exec, exec, s[6:7]
	s_and_saveexec_b64 s[6:7], s[4:5]
	s_cbranch_execz .LBB39_212
.LBB39_211:
	v_bfe_u32 v2, v8, 16, 3
	v_ffbh_u32_e32 v7, v2
	v_min_u32_e32 v7, 32, v7
	v_lshrrev_b32_e32 v3, 19, v8
	v_subrev_u32_e32 v10, 28, v7
	v_and_b32_e32 v3, 15, v3
	v_lshlrev_b32_sdwa v10, v10, v8 dst_sel:DWORD dst_unused:UNUSED_PAD src0_sel:DWORD src1_sel:WORD_1
	v_bfe_u32 v6, v8, 19, 4
	v_sub_u32_e32 v7, 29, v7
	v_and_b32_e32 v10, 7, v10
	v_cmp_eq_u16_e32 vcc, 0, v3
	v_cndmask_b32_e32 v2, v2, v10, vcc
	v_cndmask_b32_e32 v3, v6, v7, vcc
	v_lshlrev_b32_e32 v6, 8, v8
	v_mov_b32_e32 v7, 0x3b800000
	v_lshlrev_b32_e32 v2, 20, v2
	v_and_b32_e32 v6, 0x80000000, v6
	v_lshl_add_u32 v3, v3, 23, v7
	v_or3_b32 v2, v6, v3, v2
.LBB39_212:
	s_or_b64 exec, exec, s[6:7]
	s_movk_i32 s4, 0xff
	v_and_b32_sdwa v3, v4, s4 dst_sel:DWORD dst_unused:UNUSED_PAD src0_sel:WORD_1 src1_sel:DWORD
	s_movk_i32 s4, 0x7f
	v_cmp_lt_i16_e32 vcc, s4, v3
	s_mov_b64 s[4:5], 0
                                        ; implicit-def: $sgpr10
	s_and_saveexec_b64 s[6:7], vcc
	s_xor_b64 s[6:7], exec, s[6:7]
	s_cbranch_execnz .LBB39_2261
; %bb.213:
	s_or_saveexec_b64 s[6:7], s[6:7]
	v_mov_b32_e32 v6, s10
	s_xor_b64 exec, exec, s[6:7]
	s_cbranch_execnz .LBB39_2264
.LBB39_214:
	s_or_b64 exec, exec, s[6:7]
	s_and_saveexec_b64 s[6:7], s[4:5]
	s_cbranch_execz .LBB39_216
.LBB39_215:
	v_bfe_u32 v3, v4, 16, 3
	v_ffbh_u32_e32 v10, v3
	v_min_u32_e32 v10, 32, v10
	v_lshrrev_b32_e32 v6, 19, v4
	v_subrev_u32_e32 v11, 28, v10
	v_and_b32_e32 v6, 15, v6
	v_lshlrev_b32_sdwa v11, v11, v4 dst_sel:DWORD dst_unused:UNUSED_PAD src0_sel:DWORD src1_sel:WORD_1
	v_bfe_u32 v7, v4, 19, 4
	v_sub_u32_e32 v10, 29, v10
	v_and_b32_e32 v11, 7, v11
	v_cmp_eq_u16_e32 vcc, 0, v6
	v_cndmask_b32_e32 v3, v3, v11, vcc
	v_cndmask_b32_e32 v6, v7, v10, vcc
	v_lshlrev_b32_e32 v7, 8, v4
	v_mov_b32_e32 v10, 0x3b800000
	v_lshlrev_b32_e32 v3, 20, v3
	v_and_b32_e32 v7, 0x80000000, v7
	v_lshl_add_u32 v6, v6, 23, v10
	v_or3_b32 v6, v7, v6, v3
.LBB39_216:
	s_or_b64 exec, exec, s[6:7]
	s_nop 0
	v_mfma_f32_16x16x4f32 a[0:3], v2, v6, a[0:3]
	s_movk_i32 s4, 0x7f
	v_cmp_gt_i16_sdwa s[6:7], v8, s4 src0_sel:BYTE_3 src1_sel:DWORD
	s_mov_b64 s[4:5], 0
                                        ; implicit-def: $sgpr10
	s_and_saveexec_b64 s[8:9], s[6:7]
	s_xor_b64 s[6:7], exec, s[8:9]
	s_cbranch_execnz .LBB39_2265
; %bb.217:
	s_or_saveexec_b64 s[6:7], s[6:7]
	v_mov_b32_e32 v2, s10
	s_xor_b64 exec, exec, s[6:7]
	s_cbranch_execnz .LBB39_2268
.LBB39_218:
	s_or_b64 exec, exec, s[6:7]
	s_and_saveexec_b64 s[6:7], s[4:5]
	s_cbranch_execz .LBB39_220
.LBB39_219:
	v_bfe_u32 v2, v8, 24, 3
	v_ffbh_u32_e32 v10, v2
	v_min_u32_e32 v10, 32, v10
	v_lshrrev_b32_e32 v6, 27, v8
	v_subrev_u32_e32 v11, 28, v10
	v_and_b32_e32 v3, 0x80000000, v8
	v_and_b32_e32 v6, 15, v6
	v_bfe_u32 v7, v8, 27, 4
	v_lshlrev_b32_sdwa v8, v11, v8 dst_sel:DWORD dst_unused:UNUSED_PAD src0_sel:DWORD src1_sel:BYTE_3
	v_sub_u32_e32 v10, 29, v10
	v_and_b32_e32 v8, 7, v8
	v_cmp_eq_u16_e32 vcc, 0, v6
	v_cndmask_b32_e32 v2, v2, v8, vcc
	v_cndmask_b32_e32 v6, v7, v10, vcc
	v_mov_b32_e32 v7, 0x3b800000
	v_lshlrev_b32_e32 v2, 20, v2
	v_lshl_add_u32 v6, v6, 23, v7
	v_or3_b32 v2, v3, v6, v2
.LBB39_220:
	s_or_b64 exec, exec, s[6:7]
	s_movk_i32 s4, 0x7f
	v_cmp_gt_i16_sdwa s[6:7], v4, s4 src0_sel:BYTE_3 src1_sel:DWORD
	s_mov_b64 s[4:5], 0
                                        ; implicit-def: $sgpr10
	s_and_saveexec_b64 s[8:9], s[6:7]
	s_xor_b64 s[6:7], exec, s[8:9]
	s_cbranch_execnz .LBB39_2269
; %bb.221:
	s_or_saveexec_b64 s[6:7], s[6:7]
	v_mov_b32_e32 v3, s10
	s_xor_b64 exec, exec, s[6:7]
	s_cbranch_execnz .LBB39_2272
.LBB39_222:
	s_or_b64 exec, exec, s[6:7]
	s_and_saveexec_b64 s[6:7], s[4:5]
	s_cbranch_execz .LBB39_224
.LBB39_223:
	v_bfe_u32 v3, v4, 24, 3
	v_ffbh_u32_e32 v10, v3
	v_min_u32_e32 v10, 32, v10
	v_lshrrev_b32_e32 v7, 27, v4
	v_subrev_u32_e32 v11, 28, v10
	v_and_b32_e32 v6, 0x80000000, v4
	v_and_b32_e32 v7, 15, v7
	v_bfe_u32 v8, v4, 27, 4
	v_lshlrev_b32_sdwa v4, v11, v4 dst_sel:DWORD dst_unused:UNUSED_PAD src0_sel:DWORD src1_sel:BYTE_3
	v_sub_u32_e32 v10, 29, v10
	v_and_b32_e32 v4, 7, v4
	v_cmp_eq_u16_e32 vcc, 0, v7
	v_cndmask_b32_e32 v3, v3, v4, vcc
	v_cndmask_b32_e32 v4, v8, v10, vcc
	v_mov_b32_e32 v7, 0x3b800000
	v_lshlrev_b32_e32 v3, 20, v3
	v_lshl_add_u32 v4, v4, 23, v7
	v_or3_b32 v3, v6, v4, v3
.LBB39_224:
	s_or_b64 exec, exec, s[6:7]
	s_nop 0
	v_mfma_f32_16x16x4f32 a[0:3], v2, v3, a[0:3]
	s_movk_i32 s4, 0x7f
	v_cmp_gt_i16_sdwa s[6:7], v9, s4 src0_sel:BYTE_0 src1_sel:DWORD
	s_mov_b64 s[4:5], 0
                                        ; implicit-def: $sgpr10
	s_and_saveexec_b64 s[8:9], s[6:7]
	s_xor_b64 s[6:7], exec, s[8:9]
	s_cbranch_execnz .LBB39_2273
; %bb.225:
	s_or_saveexec_b64 s[6:7], s[6:7]
	v_mov_b32_e32 v2, s10
	s_xor_b64 exec, exec, s[6:7]
	s_cbranch_execnz .LBB39_2276
.LBB39_226:
	s_or_b64 exec, exec, s[6:7]
	s_and_saveexec_b64 s[6:7], s[4:5]
	s_cbranch_execz .LBB39_228
.LBB39_227:
	v_mov_b32_e32 v2, 8
	v_and_b32_e32 v3, 7, v9
	v_lshrrev_b32_sdwa v2, v2, v9 dst_sel:BYTE_1 dst_unused:UNUSED_PAD src0_sel:DWORD src1_sel:DWORD
	v_ffbh_u32_e32 v4, v3
	v_or_b32_sdwa v2, v9, v2 dst_sel:DWORD dst_unused:UNUSED_PAD src0_sel:BYTE_0 src1_sel:DWORD
	v_min_u32_e32 v4, 32, v4
	v_lshrrev_b16_e32 v2, 3, v2
	v_subrev_u32_e32 v6, 28, v4
	v_and_b32_e32 v2, 15, v2
	v_lshlrev_b32_e32 v6, v6, v9
	v_sub_u32_e32 v4, 29, v4
	v_and_b32_e32 v6, 7, v6
	v_cmp_eq_u16_e32 vcc, 0, v2
	v_cndmask_b32_e32 v3, v3, v6, vcc
	v_cndmask_b32_e32 v2, v2, v4, vcc
	v_lshlrev_b32_e32 v4, 24, v9
	v_mov_b32_e32 v6, 0x3b800000
	v_lshlrev_b32_e32 v3, 20, v3
	v_and_b32_e32 v4, 0x80000000, v4
	v_lshl_add_u32 v2, v2, 23, v6
	v_or3_b32 v2, v4, v2, v3
.LBB39_228:
	s_or_b64 exec, exec, s[6:7]
	s_movk_i32 s4, 0x7f
	v_cmp_gt_i16_sdwa s[6:7], v5, s4 src0_sel:BYTE_0 src1_sel:DWORD
	s_mov_b64 s[4:5], 0
                                        ; implicit-def: $sgpr10
	s_and_saveexec_b64 s[8:9], s[6:7]
	s_xor_b64 s[6:7], exec, s[8:9]
	s_cbranch_execnz .LBB39_2277
; %bb.229:
	s_or_saveexec_b64 s[6:7], s[6:7]
	v_mov_b32_e32 v3, s10
	s_xor_b64 exec, exec, s[6:7]
	s_cbranch_execnz .LBB39_2280
.LBB39_230:
	s_or_b64 exec, exec, s[6:7]
	s_and_saveexec_b64 s[6:7], s[4:5]
	s_cbranch_execz .LBB39_232
.LBB39_231:
	v_mov_b32_e32 v3, 8
	v_and_b32_e32 v4, 7, v5
	v_lshrrev_b32_sdwa v3, v3, v5 dst_sel:BYTE_1 dst_unused:UNUSED_PAD src0_sel:DWORD src1_sel:DWORD
	v_ffbh_u32_e32 v6, v4
	v_or_b32_sdwa v3, v5, v3 dst_sel:DWORD dst_unused:UNUSED_PAD src0_sel:BYTE_0 src1_sel:DWORD
	v_min_u32_e32 v6, 32, v6
	v_lshrrev_b16_e32 v3, 3, v3
	v_subrev_u32_e32 v7, 28, v6
	v_and_b32_e32 v3, 15, v3
	v_lshlrev_b32_e32 v7, v7, v5
	v_sub_u32_e32 v6, 29, v6
	v_and_b32_e32 v7, 7, v7
	v_cmp_eq_u16_e32 vcc, 0, v3
	v_cndmask_b32_e32 v4, v4, v7, vcc
	v_cndmask_b32_e32 v3, v3, v6, vcc
	v_lshlrev_b32_e32 v6, 24, v5
	v_mov_b32_e32 v7, 0x3b800000
	v_lshlrev_b32_e32 v4, 20, v4
	v_and_b32_e32 v6, 0x80000000, v6
	v_lshl_add_u32 v3, v3, 23, v7
	v_or3_b32 v3, v6, v3, v4
.LBB39_232:
	s_or_b64 exec, exec, s[6:7]
	s_nop 0
	v_mfma_f32_16x16x4f32 a[0:3], v2, v3, a[0:3]
	v_lshrrev_b32_e32 v3, 8, v9
	s_movk_i32 s4, 0x7f
	v_cmp_gt_i16_sdwa s[6:7], v3, s4 src0_sel:BYTE_0 src1_sel:DWORD
	s_mov_b64 s[4:5], 0
                                        ; implicit-def: $sgpr10
	s_and_saveexec_b64 s[8:9], s[6:7]
	s_xor_b64 s[6:7], exec, s[8:9]
	s_cbranch_execnz .LBB39_2281
; %bb.233:
	s_or_saveexec_b64 s[6:7], s[6:7]
	v_mov_b32_e32 v2, s10
	s_xor_b64 exec, exec, s[6:7]
	s_cbranch_execnz .LBB39_2284
.LBB39_234:
	s_or_b64 exec, exec, s[6:7]
	s_and_saveexec_b64 s[6:7], s[4:5]
	s_cbranch_execz .LBB39_236
.LBB39_235:
	v_bfe_u32 v2, v9, 8, 3
	v_ffbh_u32_e32 v6, v2
	v_min_u32_e32 v6, 32, v6
	v_lshrrev_b16_e32 v4, 3, v3
	v_subrev_u32_e32 v7, 28, v6
	v_and_b32_e32 v4, 15, v4
	v_lshlrev_b32_e32 v3, v7, v3
	v_sub_u32_e32 v6, 29, v6
	v_and_b32_e32 v3, 7, v3
	v_cmp_eq_u16_e32 vcc, 0, v4
	v_cndmask_b32_e32 v2, v2, v3, vcc
	v_cndmask_b32_e32 v3, v4, v6, vcc
	v_lshlrev_b32_e32 v4, 16, v9
	v_mov_b32_e32 v6, 0x3b800000
	v_lshlrev_b32_e32 v2, 20, v2
	v_and_b32_e32 v4, 0x80000000, v4
	v_lshl_add_u32 v3, v3, 23, v6
	v_or3_b32 v2, v4, v3, v2
.LBB39_236:
	s_or_b64 exec, exec, s[6:7]
	v_lshrrev_b32_e32 v3, 8, v5
	s_movk_i32 s4, 0x7f
	v_cmp_gt_i16_sdwa s[6:7], v3, s4 src0_sel:BYTE_0 src1_sel:DWORD
	s_mov_b64 s[4:5], 0
                                        ; implicit-def: $sgpr10
	s_and_saveexec_b64 s[8:9], s[6:7]
	s_xor_b64 s[6:7], exec, s[8:9]
	s_cbranch_execnz .LBB39_2285
; %bb.237:
	s_or_saveexec_b64 s[6:7], s[6:7]
	v_mov_b32_e32 v4, s10
	s_xor_b64 exec, exec, s[6:7]
	s_cbranch_execnz .LBB39_2288
.LBB39_238:
	s_or_b64 exec, exec, s[6:7]
	s_and_saveexec_b64 s[6:7], s[4:5]
	s_cbranch_execz .LBB39_240
.LBB39_239:
	v_bfe_u32 v4, v5, 8, 3
	v_ffbh_u32_e32 v7, v4
	v_min_u32_e32 v7, 32, v7
	v_lshrrev_b16_e32 v6, 3, v3
	v_subrev_u32_e32 v8, 28, v7
	v_and_b32_e32 v6, 15, v6
	v_lshlrev_b32_e32 v3, v8, v3
	v_sub_u32_e32 v7, 29, v7
	v_and_b32_e32 v3, 7, v3
	v_cmp_eq_u16_e32 vcc, 0, v6
	v_cndmask_b32_e32 v3, v4, v3, vcc
	v_cndmask_b32_e32 v4, v6, v7, vcc
	v_lshlrev_b32_e32 v6, 16, v5
	v_mov_b32_e32 v7, 0x3b800000
	v_lshlrev_b32_e32 v3, 20, v3
	v_and_b32_e32 v6, 0x80000000, v6
	v_lshl_add_u32 v4, v4, 23, v7
	v_or3_b32 v4, v6, v4, v3
.LBB39_240:
	s_or_b64 exec, exec, s[6:7]
	s_nop 0
	v_mfma_f32_16x16x4f32 a[0:3], v2, v4, a[0:3]
	s_movk_i32 s4, 0xff
	v_and_b32_sdwa v3, v9, s4 dst_sel:DWORD dst_unused:UNUSED_PAD src0_sel:WORD_1 src1_sel:DWORD
	s_movk_i32 s4, 0x7f
	v_cmp_lt_i16_e32 vcc, s4, v3
	s_mov_b64 s[4:5], 0
                                        ; implicit-def: $sgpr10
	s_and_saveexec_b64 s[6:7], vcc
	s_xor_b64 s[6:7], exec, s[6:7]
	s_cbranch_execnz .LBB39_2289
; %bb.241:
	s_or_saveexec_b64 s[6:7], s[6:7]
	v_mov_b32_e32 v2, s10
	s_xor_b64 exec, exec, s[6:7]
	s_cbranch_execnz .LBB39_2292
.LBB39_242:
	s_or_b64 exec, exec, s[6:7]
	s_and_saveexec_b64 s[6:7], s[4:5]
	s_cbranch_execz .LBB39_244
.LBB39_243:
	v_bfe_u32 v2, v9, 16, 3
	v_ffbh_u32_e32 v6, v2
	v_min_u32_e32 v6, 32, v6
	v_lshrrev_b32_e32 v3, 19, v9
	v_subrev_u32_e32 v7, 28, v6
	v_and_b32_e32 v3, 15, v3
	v_lshlrev_b32_sdwa v7, v7, v9 dst_sel:DWORD dst_unused:UNUSED_PAD src0_sel:DWORD src1_sel:WORD_1
	v_bfe_u32 v4, v9, 19, 4
	v_sub_u32_e32 v6, 29, v6
	v_and_b32_e32 v7, 7, v7
	v_cmp_eq_u16_e32 vcc, 0, v3
	v_cndmask_b32_e32 v2, v2, v7, vcc
	v_cndmask_b32_e32 v3, v4, v6, vcc
	v_lshlrev_b32_e32 v4, 8, v9
	v_mov_b32_e32 v6, 0x3b800000
	v_lshlrev_b32_e32 v2, 20, v2
	v_and_b32_e32 v4, 0x80000000, v4
	v_lshl_add_u32 v3, v3, 23, v6
	v_or3_b32 v2, v4, v3, v2
.LBB39_244:
	s_or_b64 exec, exec, s[6:7]
	s_movk_i32 s4, 0xff
	v_and_b32_sdwa v3, v5, s4 dst_sel:DWORD dst_unused:UNUSED_PAD src0_sel:WORD_1 src1_sel:DWORD
	s_movk_i32 s4, 0x7f
	v_cmp_lt_i16_e32 vcc, s4, v3
	s_mov_b64 s[4:5], 0
                                        ; implicit-def: $sgpr10
	s_and_saveexec_b64 s[6:7], vcc
	s_xor_b64 s[6:7], exec, s[6:7]
	s_cbranch_execnz .LBB39_2293
; %bb.245:
	s_or_saveexec_b64 s[6:7], s[6:7]
	v_mov_b32_e32 v4, s10
	s_xor_b64 exec, exec, s[6:7]
	s_cbranch_execnz .LBB39_2296
.LBB39_246:
	s_or_b64 exec, exec, s[6:7]
	s_and_saveexec_b64 s[6:7], s[4:5]
	s_cbranch_execz .LBB39_248
.LBB39_247:
	v_bfe_u32 v3, v5, 16, 3
	v_ffbh_u32_e32 v7, v3
	v_min_u32_e32 v7, 32, v7
	v_lshrrev_b32_e32 v4, 19, v5
	v_subrev_u32_e32 v8, 28, v7
	v_and_b32_e32 v4, 15, v4
	v_lshlrev_b32_sdwa v8, v8, v5 dst_sel:DWORD dst_unused:UNUSED_PAD src0_sel:DWORD src1_sel:WORD_1
	v_bfe_u32 v6, v5, 19, 4
	v_sub_u32_e32 v7, 29, v7
	v_and_b32_e32 v8, 7, v8
	v_cmp_eq_u16_e32 vcc, 0, v4
	v_cndmask_b32_e32 v3, v3, v8, vcc
	v_cndmask_b32_e32 v4, v6, v7, vcc
	v_lshlrev_b32_e32 v6, 8, v5
	v_mov_b32_e32 v7, 0x3b800000
	v_lshlrev_b32_e32 v3, 20, v3
	v_and_b32_e32 v6, 0x80000000, v6
	v_lshl_add_u32 v4, v4, 23, v7
	v_or3_b32 v4, v6, v4, v3
.LBB39_248:
	s_or_b64 exec, exec, s[6:7]
	s_nop 0
	v_mfma_f32_16x16x4f32 a[0:3], v2, v4, a[0:3]
	s_movk_i32 s4, 0x7f
	v_cmp_gt_i16_sdwa s[6:7], v9, s4 src0_sel:BYTE_3 src1_sel:DWORD
	s_mov_b64 s[4:5], 0
                                        ; implicit-def: $sgpr10
	s_and_saveexec_b64 s[8:9], s[6:7]
	s_xor_b64 s[6:7], exec, s[8:9]
	s_cbranch_execnz .LBB39_2297
; %bb.249:
	s_or_saveexec_b64 s[6:7], s[6:7]
	v_mov_b32_e32 v2, s10
	s_xor_b64 exec, exec, s[6:7]
	s_cbranch_execnz .LBB39_2300
.LBB39_250:
	s_or_b64 exec, exec, s[6:7]
	s_and_saveexec_b64 s[6:7], s[4:5]
	s_cbranch_execz .LBB39_252
.LBB39_251:
	v_bfe_u32 v2, v9, 24, 3
	v_ffbh_u32_e32 v7, v2
	v_min_u32_e32 v7, 32, v7
	v_lshrrev_b32_e32 v4, 27, v9
	v_subrev_u32_e32 v8, 28, v7
	v_and_b32_e32 v4, 15, v4
	v_lshlrev_b32_sdwa v8, v8, v9 dst_sel:DWORD dst_unused:UNUSED_PAD src0_sel:DWORD src1_sel:BYTE_3
	v_bfe_u32 v6, v9, 27, 4
	v_sub_u32_e32 v7, 29, v7
	v_and_b32_e32 v8, 7, v8
	v_cmp_eq_u16_e32 vcc, 0, v4
	v_cndmask_b32_e32 v2, v2, v8, vcc
	v_cndmask_b32_e32 v4, v6, v7, vcc
	v_mov_b32_e32 v6, 0x3b800000
	v_and_b32_e32 v3, 0x80000000, v9
	v_lshlrev_b32_e32 v2, 20, v2
	v_lshl_add_u32 v4, v4, 23, v6
	v_or3_b32 v2, v3, v4, v2
.LBB39_252:
	s_or_b64 exec, exec, s[6:7]
	s_movk_i32 s4, 0x7f
	v_cmp_gt_i16_sdwa s[6:7], v5, s4 src0_sel:BYTE_3 src1_sel:DWORD
	s_mov_b64 s[4:5], 0
                                        ; implicit-def: $sgpr10
	s_and_saveexec_b64 s[8:9], s[6:7]
	s_xor_b64 s[6:7], exec, s[8:9]
	s_cbranch_execnz .LBB39_2301
; %bb.253:
	s_or_saveexec_b64 s[6:7], s[6:7]
	v_mov_b32_e32 v3, s10
	s_xor_b64 exec, exec, s[6:7]
	s_cbranch_execnz .LBB39_2304
.LBB39_254:
	s_or_b64 exec, exec, s[6:7]
	s_and_saveexec_b64 s[6:7], s[4:5]
	s_cbranch_execz .LBB39_256
.LBB39_255:
	v_bfe_u32 v3, v5, 24, 3
	v_ffbh_u32_e32 v8, v3
	v_min_u32_e32 v8, 32, v8
	v_lshrrev_b32_e32 v6, 27, v5
	v_subrev_u32_e32 v9, 28, v8
	v_and_b32_e32 v4, 0x80000000, v5
	v_and_b32_e32 v6, 15, v6
	v_bfe_u32 v7, v5, 27, 4
	v_lshlrev_b32_sdwa v5, v9, v5 dst_sel:DWORD dst_unused:UNUSED_PAD src0_sel:DWORD src1_sel:BYTE_3
	v_sub_u32_e32 v8, 29, v8
	v_and_b32_e32 v5, 7, v5
	v_cmp_eq_u16_e32 vcc, 0, v6
	v_cndmask_b32_e32 v3, v3, v5, vcc
	v_cndmask_b32_e32 v5, v7, v8, vcc
	v_mov_b32_e32 v6, 0x3b800000
	v_lshlrev_b32_e32 v3, 20, v3
	v_lshl_add_u32 v5, v5, 23, v6
	v_or3_b32 v3, v4, v5, v3
.LBB39_256:
	s_or_b64 exec, exec, s[6:7]
	s_nop 0
	v_mfma_f32_16x16x4f32 a[0:3], v2, v3, a[0:3]
	s_movk_i32 s4, 0x7f
                                        ; implicit-def: $sgpr10
	s_nop 7
	s_nop 1
	flat_store_dwordx4 v[18:19], a[0:3] offset:384
	flat_load_dwordx4 v[20:23], v[0:1] offset:16
	s_nop 0
	flat_load_dwordx2 v[18:19], v[0:1] offset:32
	s_waitcnt vmcnt(0) lgkmcnt(0)
	flat_load_dwordx4 v[14:17], v[20:21] offset:32
	flat_load_dwordx4 v[6:9], v[20:21] offset:48
	;; [unrolled: 1-line block ×4, first 2 shown]
	s_waitcnt vmcnt(0) lgkmcnt(0)
	v_cmp_gt_i16_sdwa s[6:7], v14, s4 src0_sel:BYTE_0 src1_sel:DWORD
	s_mov_b64 s[4:5], 0
	s_and_saveexec_b64 s[8:9], s[6:7]
	s_xor_b64 s[6:7], exec, s[8:9]
	s_cbranch_execnz .LBB39_2305
; %bb.257:
	s_or_saveexec_b64 s[6:7], s[6:7]
	v_mov_b32_e32 v20, s10
	s_xor_b64 exec, exec, s[6:7]
	s_cbranch_execnz .LBB39_2308
.LBB39_258:
	s_or_b64 exec, exec, s[6:7]
	s_and_saveexec_b64 s[6:7], s[4:5]
	s_cbranch_execz .LBB39_260
.LBB39_259:
	v_and_b32_e32 v20, 7, v14
	v_ffbh_u32_e32 v22, v20
	v_min_u32_e32 v22, 32, v22
	v_lshrrev_b16_e32 v21, 3, v14
	v_subrev_u32_e32 v23, 28, v22
	v_and_b32_e32 v21, 15, v21
	v_lshlrev_b32_e32 v23, v23, v14
	v_sub_u32_e32 v22, 29, v22
	v_and_b32_e32 v23, 7, v23
	v_cmp_eq_u16_e32 vcc, 0, v21
	v_cndmask_b32_e32 v20, v20, v23, vcc
	v_cndmask_b32_e32 v21, v21, v22, vcc
	v_lshlrev_b32_e32 v22, 24, v14
	v_mov_b32_e32 v23, 0x3b800000
	v_lshlrev_b32_e32 v20, 20, v20
	v_and_b32_e32 v22, 0x80000000, v22
	v_lshl_add_u32 v21, v21, 23, v23
	v_or3_b32 v20, v22, v21, v20
.LBB39_260:
	s_or_b64 exec, exec, s[6:7]
	s_movk_i32 s4, 0x7f
	v_cmp_gt_i16_sdwa s[6:7], v10, s4 src0_sel:BYTE_0 src1_sel:DWORD
	s_mov_b64 s[4:5], 0
                                        ; implicit-def: $sgpr10
	s_and_saveexec_b64 s[8:9], s[6:7]
	s_xor_b64 s[6:7], exec, s[8:9]
	s_cbranch_execnz .LBB39_2309
; %bb.261:
	s_or_saveexec_b64 s[6:7], s[6:7]
	v_mov_b32_e32 v21, s10
	s_xor_b64 exec, exec, s[6:7]
	s_cbranch_execnz .LBB39_2312
.LBB39_262:
	s_or_b64 exec, exec, s[6:7]
	s_and_saveexec_b64 s[6:7], s[4:5]
	s_cbranch_execz .LBB39_264
.LBB39_263:
	v_and_b32_e32 v21, 7, v10
	v_ffbh_u32_e32 v23, v21
	v_min_u32_e32 v23, 32, v23
	v_lshrrev_b16_e32 v22, 3, v10
	v_subrev_u32_e32 v24, 28, v23
	v_and_b32_e32 v22, 15, v22
	v_lshlrev_b32_e32 v24, v24, v10
	v_sub_u32_e32 v23, 29, v23
	v_and_b32_e32 v24, 7, v24
	v_cmp_eq_u16_e32 vcc, 0, v22
	v_cndmask_b32_e32 v21, v21, v24, vcc
	v_cndmask_b32_e32 v22, v22, v23, vcc
	v_lshlrev_b32_e32 v23, 24, v10
	v_mov_b32_e32 v24, 0x3b800000
	v_lshlrev_b32_e32 v21, 20, v21
	v_and_b32_e32 v23, 0x80000000, v23
	v_lshl_add_u32 v22, v22, 23, v24
	v_or3_b32 v21, v23, v22, v21
.LBB39_264:
	s_or_b64 exec, exec, s[6:7]
	flat_load_dwordx4 a[0:3], v[18:19] offset:400
	s_movk_i32 s4, 0x7f
                                        ; implicit-def: $sgpr10
	s_waitcnt vmcnt(0) lgkmcnt(0)
	v_mfma_f32_16x16x4f32 a[0:3], v20, v21, a[0:3]
	v_lshrrev_b32_e32 v21, 8, v14
	v_cmp_gt_i16_sdwa s[6:7], v21, s4 src0_sel:BYTE_0 src1_sel:DWORD
	s_mov_b64 s[4:5], 0
	s_and_saveexec_b64 s[8:9], s[6:7]
	s_xor_b64 s[6:7], exec, s[8:9]
	s_cbranch_execnz .LBB39_2313
; %bb.265:
	s_or_saveexec_b64 s[6:7], s[6:7]
	v_mov_b32_e32 v20, s10
	s_xor_b64 exec, exec, s[6:7]
	s_cbranch_execnz .LBB39_2316
.LBB39_266:
	s_or_b64 exec, exec, s[6:7]
	s_and_saveexec_b64 s[6:7], s[4:5]
	s_cbranch_execz .LBB39_268
.LBB39_267:
	v_bfe_u32 v20, v14, 8, 3
	v_ffbh_u32_e32 v23, v20
	v_min_u32_e32 v23, 32, v23
	v_lshrrev_b16_e32 v22, 3, v21
	v_subrev_u32_e32 v24, 28, v23
	v_and_b32_e32 v22, 15, v22
	v_lshlrev_b32_e32 v21, v24, v21
	v_sub_u32_e32 v23, 29, v23
	v_and_b32_e32 v21, 7, v21
	v_cmp_eq_u16_e32 vcc, 0, v22
	v_cndmask_b32_e32 v20, v20, v21, vcc
	v_cndmask_b32_e32 v21, v22, v23, vcc
	v_lshlrev_b32_e32 v22, 16, v14
	v_mov_b32_e32 v23, 0x3b800000
	v_lshlrev_b32_e32 v20, 20, v20
	v_and_b32_e32 v22, 0x80000000, v22
	v_lshl_add_u32 v21, v21, 23, v23
	v_or3_b32 v20, v22, v21, v20
.LBB39_268:
	s_or_b64 exec, exec, s[6:7]
	v_lshrrev_b32_e32 v21, 8, v10
	s_movk_i32 s4, 0x7f
	v_cmp_gt_i16_sdwa s[6:7], v21, s4 src0_sel:BYTE_0 src1_sel:DWORD
	s_mov_b64 s[4:5], 0
                                        ; implicit-def: $sgpr10
	s_and_saveexec_b64 s[8:9], s[6:7]
	s_xor_b64 s[6:7], exec, s[8:9]
	s_cbranch_execnz .LBB39_2317
; %bb.269:
	s_or_saveexec_b64 s[6:7], s[6:7]
	v_mov_b32_e32 v22, s10
	s_xor_b64 exec, exec, s[6:7]
	s_cbranch_execnz .LBB39_2320
.LBB39_270:
	s_or_b64 exec, exec, s[6:7]
	s_and_saveexec_b64 s[6:7], s[4:5]
	s_cbranch_execz .LBB39_272
.LBB39_271:
	v_bfe_u32 v22, v10, 8, 3
	v_ffbh_u32_e32 v24, v22
	v_min_u32_e32 v24, 32, v24
	v_lshrrev_b16_e32 v23, 3, v21
	v_subrev_u32_e32 v25, 28, v24
	v_and_b32_e32 v23, 15, v23
	v_lshlrev_b32_e32 v21, v25, v21
	v_sub_u32_e32 v24, 29, v24
	v_and_b32_e32 v21, 7, v21
	v_cmp_eq_u16_e32 vcc, 0, v23
	v_cndmask_b32_e32 v21, v22, v21, vcc
	v_cndmask_b32_e32 v22, v23, v24, vcc
	v_lshlrev_b32_e32 v23, 16, v10
	v_mov_b32_e32 v24, 0x3b800000
	v_lshlrev_b32_e32 v21, 20, v21
	v_and_b32_e32 v23, 0x80000000, v23
	v_lshl_add_u32 v22, v22, 23, v24
	v_or3_b32 v22, v23, v22, v21
.LBB39_272:
	s_or_b64 exec, exec, s[6:7]
	s_nop 0
	v_mfma_f32_16x16x4f32 a[0:3], v20, v22, a[0:3]
	s_movk_i32 s4, 0xff
	v_and_b32_sdwa v21, v14, s4 dst_sel:DWORD dst_unused:UNUSED_PAD src0_sel:WORD_1 src1_sel:DWORD
	s_movk_i32 s4, 0x7f
	v_cmp_lt_i16_e32 vcc, s4, v21
	s_mov_b64 s[4:5], 0
                                        ; implicit-def: $sgpr10
	s_and_saveexec_b64 s[6:7], vcc
	s_xor_b64 s[6:7], exec, s[6:7]
	s_cbranch_execnz .LBB39_2321
; %bb.273:
	s_or_saveexec_b64 s[6:7], s[6:7]
	v_mov_b32_e32 v20, s10
	s_xor_b64 exec, exec, s[6:7]
	s_cbranch_execnz .LBB39_2324
.LBB39_274:
	s_or_b64 exec, exec, s[6:7]
	s_and_saveexec_b64 s[6:7], s[4:5]
	s_cbranch_execz .LBB39_276
.LBB39_275:
	v_bfe_u32 v20, v14, 16, 3
	v_ffbh_u32_e32 v23, v20
	v_min_u32_e32 v23, 32, v23
	v_lshrrev_b32_e32 v21, 19, v14
	v_subrev_u32_e32 v24, 28, v23
	v_and_b32_e32 v21, 15, v21
	v_lshlrev_b32_sdwa v24, v24, v14 dst_sel:DWORD dst_unused:UNUSED_PAD src0_sel:DWORD src1_sel:WORD_1
	v_bfe_u32 v22, v14, 19, 4
	v_sub_u32_e32 v23, 29, v23
	v_and_b32_e32 v24, 7, v24
	v_cmp_eq_u16_e32 vcc, 0, v21
	v_cndmask_b32_e32 v20, v20, v24, vcc
	v_cndmask_b32_e32 v21, v22, v23, vcc
	v_lshlrev_b32_e32 v22, 8, v14
	v_mov_b32_e32 v23, 0x3b800000
	v_lshlrev_b32_e32 v20, 20, v20
	v_and_b32_e32 v22, 0x80000000, v22
	v_lshl_add_u32 v21, v21, 23, v23
	v_or3_b32 v20, v22, v21, v20
.LBB39_276:
	s_or_b64 exec, exec, s[6:7]
	s_movk_i32 s4, 0xff
	v_and_b32_sdwa v21, v10, s4 dst_sel:DWORD dst_unused:UNUSED_PAD src0_sel:WORD_1 src1_sel:DWORD
	s_movk_i32 s4, 0x7f
	v_cmp_lt_i16_e32 vcc, s4, v21
	s_mov_b64 s[4:5], 0
                                        ; implicit-def: $sgpr10
	s_and_saveexec_b64 s[6:7], vcc
	s_xor_b64 s[6:7], exec, s[6:7]
	s_cbranch_execnz .LBB39_2325
; %bb.277:
	s_or_saveexec_b64 s[6:7], s[6:7]
	v_mov_b32_e32 v22, s10
	s_xor_b64 exec, exec, s[6:7]
	s_cbranch_execnz .LBB39_2328
.LBB39_278:
	s_or_b64 exec, exec, s[6:7]
	s_and_saveexec_b64 s[6:7], s[4:5]
	s_cbranch_execz .LBB39_280
.LBB39_279:
	v_bfe_u32 v21, v10, 16, 3
	v_ffbh_u32_e32 v24, v21
	v_min_u32_e32 v24, 32, v24
	v_lshrrev_b32_e32 v22, 19, v10
	v_subrev_u32_e32 v25, 28, v24
	v_and_b32_e32 v22, 15, v22
	v_lshlrev_b32_sdwa v25, v25, v10 dst_sel:DWORD dst_unused:UNUSED_PAD src0_sel:DWORD src1_sel:WORD_1
	v_bfe_u32 v23, v10, 19, 4
	v_sub_u32_e32 v24, 29, v24
	v_and_b32_e32 v25, 7, v25
	v_cmp_eq_u16_e32 vcc, 0, v22
	v_cndmask_b32_e32 v21, v21, v25, vcc
	v_cndmask_b32_e32 v22, v23, v24, vcc
	v_lshlrev_b32_e32 v23, 8, v10
	v_mov_b32_e32 v24, 0x3b800000
	v_lshlrev_b32_e32 v21, 20, v21
	v_and_b32_e32 v23, 0x80000000, v23
	v_lshl_add_u32 v22, v22, 23, v24
	v_or3_b32 v22, v23, v22, v21
.LBB39_280:
	s_or_b64 exec, exec, s[6:7]
	s_nop 0
	v_mfma_f32_16x16x4f32 a[0:3], v20, v22, a[0:3]
	s_movk_i32 s4, 0x7f
	v_cmp_gt_i16_sdwa s[6:7], v14, s4 src0_sel:BYTE_3 src1_sel:DWORD
	s_mov_b64 s[4:5], 0
                                        ; implicit-def: $sgpr10
	s_and_saveexec_b64 s[8:9], s[6:7]
	s_xor_b64 s[6:7], exec, s[8:9]
	s_cbranch_execnz .LBB39_2329
; %bb.281:
	s_or_saveexec_b64 s[6:7], s[6:7]
	v_mov_b32_e32 v20, s10
	s_xor_b64 exec, exec, s[6:7]
	s_cbranch_execnz .LBB39_2332
.LBB39_282:
	s_or_b64 exec, exec, s[6:7]
	s_and_saveexec_b64 s[6:7], s[4:5]
	s_cbranch_execz .LBB39_284
.LBB39_283:
	v_bfe_u32 v20, v14, 24, 3
	v_ffbh_u32_e32 v24, v20
	v_min_u32_e32 v24, 32, v24
	v_lshrrev_b32_e32 v22, 27, v14
	v_subrev_u32_e32 v25, 28, v24
	v_and_b32_e32 v21, 0x80000000, v14
	v_and_b32_e32 v22, 15, v22
	v_bfe_u32 v23, v14, 27, 4
	v_lshlrev_b32_sdwa v14, v25, v14 dst_sel:DWORD dst_unused:UNUSED_PAD src0_sel:DWORD src1_sel:BYTE_3
	v_sub_u32_e32 v24, 29, v24
	v_and_b32_e32 v14, 7, v14
	v_cmp_eq_u16_e32 vcc, 0, v22
	v_cndmask_b32_e32 v14, v20, v14, vcc
	v_cndmask_b32_e32 v20, v23, v24, vcc
	v_mov_b32_e32 v22, 0x3b800000
	v_lshlrev_b32_e32 v14, 20, v14
	v_lshl_add_u32 v20, v20, 23, v22
	v_or3_b32 v20, v21, v20, v14
.LBB39_284:
	s_or_b64 exec, exec, s[6:7]
	s_movk_i32 s4, 0x7f
	v_cmp_gt_i16_sdwa s[6:7], v10, s4 src0_sel:BYTE_3 src1_sel:DWORD
	s_mov_b64 s[4:5], 0
                                        ; implicit-def: $sgpr10
	s_and_saveexec_b64 s[8:9], s[6:7]
	s_xor_b64 s[6:7], exec, s[8:9]
	s_cbranch_execnz .LBB39_2333
; %bb.285:
	s_or_saveexec_b64 s[6:7], s[6:7]
	v_mov_b32_e32 v14, s10
	s_xor_b64 exec, exec, s[6:7]
	s_cbranch_execnz .LBB39_2336
.LBB39_286:
	s_or_b64 exec, exec, s[6:7]
	s_and_saveexec_b64 s[6:7], s[4:5]
	s_cbranch_execz .LBB39_288
.LBB39_287:
	v_bfe_u32 v14, v10, 24, 3
	v_ffbh_u32_e32 v24, v14
	v_min_u32_e32 v24, 32, v24
	v_lshrrev_b32_e32 v22, 27, v10
	v_subrev_u32_e32 v25, 28, v24
	v_and_b32_e32 v21, 0x80000000, v10
	v_and_b32_e32 v22, 15, v22
	v_bfe_u32 v23, v10, 27, 4
	v_lshlrev_b32_sdwa v10, v25, v10 dst_sel:DWORD dst_unused:UNUSED_PAD src0_sel:DWORD src1_sel:BYTE_3
	v_sub_u32_e32 v24, 29, v24
	v_and_b32_e32 v10, 7, v10
	v_cmp_eq_u16_e32 vcc, 0, v22
	v_cndmask_b32_e32 v10, v14, v10, vcc
	v_cndmask_b32_e32 v14, v23, v24, vcc
	v_mov_b32_e32 v22, 0x3b800000
	v_lshlrev_b32_e32 v10, 20, v10
	v_lshl_add_u32 v14, v14, 23, v22
	v_or3_b32 v14, v21, v14, v10
.LBB39_288:
	s_or_b64 exec, exec, s[6:7]
	s_nop 0
	v_mfma_f32_16x16x4f32 a[0:3], v20, v14, a[0:3]
	s_movk_i32 s4, 0x7f
	v_cmp_gt_i16_sdwa s[6:7], v15, s4 src0_sel:BYTE_0 src1_sel:DWORD
	s_mov_b64 s[4:5], 0
                                        ; implicit-def: $sgpr10
	s_and_saveexec_b64 s[8:9], s[6:7]
	s_xor_b64 s[6:7], exec, s[8:9]
	s_cbranch_execnz .LBB39_2337
; %bb.289:
	s_or_saveexec_b64 s[6:7], s[6:7]
	v_mov_b32_e32 v10, s10
	s_xor_b64 exec, exec, s[6:7]
	s_cbranch_execnz .LBB39_2340
.LBB39_290:
	s_or_b64 exec, exec, s[6:7]
	s_and_saveexec_b64 s[6:7], s[4:5]
	s_cbranch_execz .LBB39_292
.LBB39_291:
	v_and_b32_e32 v10, 7, v15
	v_ffbh_u32_e32 v20, v10
	v_min_u32_e32 v20, 32, v20
	v_lshrrev_b16_e32 v14, 3, v15
	v_subrev_u32_e32 v21, 28, v20
	v_and_b32_e32 v14, 15, v14
	v_lshlrev_b32_e32 v21, v21, v15
	v_sub_u32_e32 v20, 29, v20
	v_and_b32_e32 v21, 7, v21
	v_cmp_eq_u16_e32 vcc, 0, v14
	v_cndmask_b32_e32 v10, v10, v21, vcc
	v_cndmask_b32_e32 v14, v14, v20, vcc
	v_lshlrev_b32_e32 v20, 24, v15
	v_mov_b32_e32 v21, 0x3b800000
	v_lshlrev_b32_e32 v10, 20, v10
	v_and_b32_e32 v20, 0x80000000, v20
	v_lshl_add_u32 v14, v14, 23, v21
	v_or3_b32 v10, v20, v14, v10
.LBB39_292:
	s_or_b64 exec, exec, s[6:7]
	s_movk_i32 s4, 0x7f
	v_cmp_gt_i16_sdwa s[6:7], v11, s4 src0_sel:BYTE_0 src1_sel:DWORD
	s_mov_b64 s[4:5], 0
                                        ; implicit-def: $sgpr10
	s_and_saveexec_b64 s[8:9], s[6:7]
	s_xor_b64 s[6:7], exec, s[8:9]
	s_cbranch_execnz .LBB39_2341
; %bb.293:
	s_or_saveexec_b64 s[6:7], s[6:7]
	v_mov_b32_e32 v14, s10
	s_xor_b64 exec, exec, s[6:7]
	s_cbranch_execnz .LBB39_2344
.LBB39_294:
	s_or_b64 exec, exec, s[6:7]
	s_and_saveexec_b64 s[6:7], s[4:5]
	s_cbranch_execz .LBB39_296
.LBB39_295:
	v_and_b32_e32 v14, 7, v11
	v_ffbh_u32_e32 v21, v14
	v_min_u32_e32 v21, 32, v21
	v_lshrrev_b16_e32 v20, 3, v11
	v_subrev_u32_e32 v22, 28, v21
	v_and_b32_e32 v20, 15, v20
	v_lshlrev_b32_e32 v22, v22, v11
	v_sub_u32_e32 v21, 29, v21
	v_and_b32_e32 v22, 7, v22
	v_cmp_eq_u16_e32 vcc, 0, v20
	v_cndmask_b32_e32 v14, v14, v22, vcc
	v_cndmask_b32_e32 v20, v20, v21, vcc
	v_lshlrev_b32_e32 v21, 24, v11
	v_mov_b32_e32 v22, 0x3b800000
	v_lshlrev_b32_e32 v14, 20, v14
	v_and_b32_e32 v21, 0x80000000, v21
	v_lshl_add_u32 v20, v20, 23, v22
	v_or3_b32 v14, v21, v20, v14
.LBB39_296:
	s_or_b64 exec, exec, s[6:7]
	s_nop 0
	v_mfma_f32_16x16x4f32 a[0:3], v10, v14, a[0:3]
	v_lshrrev_b32_e32 v14, 8, v15
	s_movk_i32 s4, 0x7f
	v_cmp_gt_i16_sdwa s[6:7], v14, s4 src0_sel:BYTE_0 src1_sel:DWORD
	s_mov_b64 s[4:5], 0
                                        ; implicit-def: $sgpr10
	s_and_saveexec_b64 s[8:9], s[6:7]
	s_xor_b64 s[6:7], exec, s[8:9]
	s_cbranch_execnz .LBB39_2345
; %bb.297:
	s_or_saveexec_b64 s[6:7], s[6:7]
	v_mov_b32_e32 v10, s10
	s_xor_b64 exec, exec, s[6:7]
	s_cbranch_execnz .LBB39_2348
.LBB39_298:
	s_or_b64 exec, exec, s[6:7]
	s_and_saveexec_b64 s[6:7], s[4:5]
	s_cbranch_execz .LBB39_300
.LBB39_299:
	v_bfe_u32 v10, v15, 8, 3
	v_ffbh_u32_e32 v21, v10
	v_min_u32_e32 v21, 32, v21
	v_lshrrev_b16_e32 v20, 3, v14
	v_subrev_u32_e32 v22, 28, v21
	v_and_b32_e32 v20, 15, v20
	v_lshlrev_b32_e32 v14, v22, v14
	v_sub_u32_e32 v21, 29, v21
	v_and_b32_e32 v14, 7, v14
	v_cmp_eq_u16_e32 vcc, 0, v20
	v_cndmask_b32_e32 v10, v10, v14, vcc
	v_cndmask_b32_e32 v14, v20, v21, vcc
	v_lshlrev_b32_e32 v20, 16, v15
	v_mov_b32_e32 v21, 0x3b800000
	v_lshlrev_b32_e32 v10, 20, v10
	v_and_b32_e32 v20, 0x80000000, v20
	v_lshl_add_u32 v14, v14, 23, v21
	v_or3_b32 v10, v20, v14, v10
.LBB39_300:
	s_or_b64 exec, exec, s[6:7]
	v_lshrrev_b32_e32 v14, 8, v11
	s_movk_i32 s4, 0x7f
	v_cmp_gt_i16_sdwa s[6:7], v14, s4 src0_sel:BYTE_0 src1_sel:DWORD
	s_mov_b64 s[4:5], 0
                                        ; implicit-def: $sgpr10
	s_and_saveexec_b64 s[8:9], s[6:7]
	s_xor_b64 s[6:7], exec, s[8:9]
	s_cbranch_execnz .LBB39_2349
; %bb.301:
	s_or_saveexec_b64 s[6:7], s[6:7]
	v_mov_b32_e32 v20, s10
	s_xor_b64 exec, exec, s[6:7]
	s_cbranch_execnz .LBB39_2352
.LBB39_302:
	s_or_b64 exec, exec, s[6:7]
	s_and_saveexec_b64 s[6:7], s[4:5]
	s_cbranch_execz .LBB39_304
.LBB39_303:
	v_bfe_u32 v20, v11, 8, 3
	v_ffbh_u32_e32 v22, v20
	v_min_u32_e32 v22, 32, v22
	v_lshrrev_b16_e32 v21, 3, v14
	v_subrev_u32_e32 v23, 28, v22
	v_and_b32_e32 v21, 15, v21
	v_lshlrev_b32_e32 v14, v23, v14
	v_sub_u32_e32 v22, 29, v22
	v_and_b32_e32 v14, 7, v14
	v_cmp_eq_u16_e32 vcc, 0, v21
	v_cndmask_b32_e32 v14, v20, v14, vcc
	v_cndmask_b32_e32 v20, v21, v22, vcc
	v_lshlrev_b32_e32 v21, 16, v11
	v_mov_b32_e32 v22, 0x3b800000
	v_lshlrev_b32_e32 v14, 20, v14
	v_and_b32_e32 v21, 0x80000000, v21
	v_lshl_add_u32 v20, v20, 23, v22
	v_or3_b32 v20, v21, v20, v14
.LBB39_304:
	s_or_b64 exec, exec, s[6:7]
	s_nop 0
	v_mfma_f32_16x16x4f32 a[0:3], v10, v20, a[0:3]
	s_movk_i32 s4, 0xff
	v_and_b32_sdwa v14, v15, s4 dst_sel:DWORD dst_unused:UNUSED_PAD src0_sel:WORD_1 src1_sel:DWORD
	s_movk_i32 s4, 0x7f
	v_cmp_lt_i16_e32 vcc, s4, v14
	s_mov_b64 s[4:5], 0
                                        ; implicit-def: $sgpr10
	s_and_saveexec_b64 s[6:7], vcc
	s_xor_b64 s[6:7], exec, s[6:7]
	s_cbranch_execnz .LBB39_2353
; %bb.305:
	s_or_saveexec_b64 s[6:7], s[6:7]
	v_mov_b32_e32 v10, s10
	s_xor_b64 exec, exec, s[6:7]
	s_cbranch_execnz .LBB39_2356
.LBB39_306:
	s_or_b64 exec, exec, s[6:7]
	s_and_saveexec_b64 s[6:7], s[4:5]
	s_cbranch_execz .LBB39_308
.LBB39_307:
	v_bfe_u32 v10, v15, 16, 3
	v_ffbh_u32_e32 v21, v10
	v_min_u32_e32 v21, 32, v21
	v_lshrrev_b32_e32 v14, 19, v15
	v_subrev_u32_e32 v22, 28, v21
	v_and_b32_e32 v14, 15, v14
	v_lshlrev_b32_sdwa v22, v22, v15 dst_sel:DWORD dst_unused:UNUSED_PAD src0_sel:DWORD src1_sel:WORD_1
	v_bfe_u32 v20, v15, 19, 4
	v_sub_u32_e32 v21, 29, v21
	v_and_b32_e32 v22, 7, v22
	v_cmp_eq_u16_e32 vcc, 0, v14
	v_cndmask_b32_e32 v10, v10, v22, vcc
	v_cndmask_b32_e32 v14, v20, v21, vcc
	v_lshlrev_b32_e32 v20, 8, v15
	v_mov_b32_e32 v21, 0x3b800000
	v_lshlrev_b32_e32 v10, 20, v10
	v_and_b32_e32 v20, 0x80000000, v20
	v_lshl_add_u32 v14, v14, 23, v21
	v_or3_b32 v10, v20, v14, v10
.LBB39_308:
	s_or_b64 exec, exec, s[6:7]
	s_movk_i32 s4, 0xff
	v_and_b32_sdwa v14, v11, s4 dst_sel:DWORD dst_unused:UNUSED_PAD src0_sel:WORD_1 src1_sel:DWORD
	s_movk_i32 s4, 0x7f
	v_cmp_lt_i16_e32 vcc, s4, v14
	s_mov_b64 s[4:5], 0
                                        ; implicit-def: $sgpr10
	s_and_saveexec_b64 s[6:7], vcc
	s_xor_b64 s[6:7], exec, s[6:7]
	s_cbranch_execnz .LBB39_2357
; %bb.309:
	s_or_saveexec_b64 s[6:7], s[6:7]
	v_mov_b32_e32 v20, s10
	s_xor_b64 exec, exec, s[6:7]
	s_cbranch_execnz .LBB39_2360
.LBB39_310:
	s_or_b64 exec, exec, s[6:7]
	s_and_saveexec_b64 s[6:7], s[4:5]
	s_cbranch_execz .LBB39_312
.LBB39_311:
	v_bfe_u32 v14, v11, 16, 3
	v_ffbh_u32_e32 v22, v14
	v_min_u32_e32 v22, 32, v22
	v_lshrrev_b32_e32 v20, 19, v11
	v_subrev_u32_e32 v23, 28, v22
	v_and_b32_e32 v20, 15, v20
	v_lshlrev_b32_sdwa v23, v23, v11 dst_sel:DWORD dst_unused:UNUSED_PAD src0_sel:DWORD src1_sel:WORD_1
	v_bfe_u32 v21, v11, 19, 4
	v_sub_u32_e32 v22, 29, v22
	v_and_b32_e32 v23, 7, v23
	v_cmp_eq_u16_e32 vcc, 0, v20
	v_cndmask_b32_e32 v14, v14, v23, vcc
	v_cndmask_b32_e32 v20, v21, v22, vcc
	v_lshlrev_b32_e32 v21, 8, v11
	v_mov_b32_e32 v22, 0x3b800000
	v_lshlrev_b32_e32 v14, 20, v14
	v_and_b32_e32 v21, 0x80000000, v21
	v_lshl_add_u32 v20, v20, 23, v22
	v_or3_b32 v20, v21, v20, v14
.LBB39_312:
	s_or_b64 exec, exec, s[6:7]
	s_nop 0
	v_mfma_f32_16x16x4f32 a[0:3], v10, v20, a[0:3]
	s_movk_i32 s4, 0x7f
	v_cmp_gt_i16_sdwa s[6:7], v15, s4 src0_sel:BYTE_3 src1_sel:DWORD
	s_mov_b64 s[4:5], 0
                                        ; implicit-def: $sgpr10
	s_and_saveexec_b64 s[8:9], s[6:7]
	s_xor_b64 s[6:7], exec, s[8:9]
	s_cbranch_execnz .LBB39_2361
; %bb.313:
	s_or_saveexec_b64 s[6:7], s[6:7]
	v_mov_b32_e32 v10, s10
	s_xor_b64 exec, exec, s[6:7]
	s_cbranch_execnz .LBB39_2364
.LBB39_314:
	s_or_b64 exec, exec, s[6:7]
	s_and_saveexec_b64 s[6:7], s[4:5]
	s_cbranch_execz .LBB39_316
.LBB39_315:
	v_bfe_u32 v10, v15, 24, 3
	v_ffbh_u32_e32 v22, v10
	v_min_u32_e32 v22, 32, v22
	v_lshrrev_b32_e32 v20, 27, v15
	v_subrev_u32_e32 v23, 28, v22
	v_and_b32_e32 v14, 0x80000000, v15
	v_and_b32_e32 v20, 15, v20
	v_bfe_u32 v21, v15, 27, 4
	v_lshlrev_b32_sdwa v15, v23, v15 dst_sel:DWORD dst_unused:UNUSED_PAD src0_sel:DWORD src1_sel:BYTE_3
	v_sub_u32_e32 v22, 29, v22
	v_and_b32_e32 v15, 7, v15
	v_cmp_eq_u16_e32 vcc, 0, v20
	v_cndmask_b32_e32 v10, v10, v15, vcc
	v_cndmask_b32_e32 v15, v21, v22, vcc
	v_mov_b32_e32 v20, 0x3b800000
	v_lshlrev_b32_e32 v10, 20, v10
	v_lshl_add_u32 v15, v15, 23, v20
	v_or3_b32 v10, v14, v15, v10
.LBB39_316:
	s_or_b64 exec, exec, s[6:7]
	s_movk_i32 s4, 0x7f
	v_cmp_gt_i16_sdwa s[6:7], v11, s4 src0_sel:BYTE_3 src1_sel:DWORD
	s_mov_b64 s[4:5], 0
                                        ; implicit-def: $sgpr10
	s_and_saveexec_b64 s[8:9], s[6:7]
	s_xor_b64 s[6:7], exec, s[8:9]
	s_cbranch_execnz .LBB39_2365
; %bb.317:
	s_or_saveexec_b64 s[6:7], s[6:7]
	v_mov_b32_e32 v14, s10
	s_xor_b64 exec, exec, s[6:7]
	s_cbranch_execnz .LBB39_2368
.LBB39_318:
	s_or_b64 exec, exec, s[6:7]
	s_and_saveexec_b64 s[6:7], s[4:5]
	s_cbranch_execz .LBB39_320
.LBB39_319:
	v_bfe_u32 v14, v11, 24, 3
	v_ffbh_u32_e32 v22, v14
	v_min_u32_e32 v22, 32, v22
	v_lshrrev_b32_e32 v20, 27, v11
	v_subrev_u32_e32 v23, 28, v22
	v_and_b32_e32 v15, 0x80000000, v11
	v_and_b32_e32 v20, 15, v20
	v_bfe_u32 v21, v11, 27, 4
	v_lshlrev_b32_sdwa v11, v23, v11 dst_sel:DWORD dst_unused:UNUSED_PAD src0_sel:DWORD src1_sel:BYTE_3
	v_sub_u32_e32 v22, 29, v22
	v_and_b32_e32 v11, 7, v11
	v_cmp_eq_u16_e32 vcc, 0, v20
	v_cndmask_b32_e32 v11, v14, v11, vcc
	v_cndmask_b32_e32 v14, v21, v22, vcc
	v_mov_b32_e32 v20, 0x3b800000
	v_lshlrev_b32_e32 v11, 20, v11
	v_lshl_add_u32 v14, v14, 23, v20
	v_or3_b32 v14, v15, v14, v11
.LBB39_320:
	s_or_b64 exec, exec, s[6:7]
	s_nop 0
	v_mfma_f32_16x16x4f32 a[0:3], v10, v14, a[0:3]
	s_movk_i32 s4, 0x7f
	v_cmp_gt_i16_sdwa s[6:7], v16, s4 src0_sel:BYTE_0 src1_sel:DWORD
	s_mov_b64 s[4:5], 0
                                        ; implicit-def: $sgpr10
	s_and_saveexec_b64 s[8:9], s[6:7]
	s_xor_b64 s[6:7], exec, s[8:9]
	s_cbranch_execnz .LBB39_2369
; %bb.321:
	s_or_saveexec_b64 s[6:7], s[6:7]
	v_mov_b32_e32 v10, s10
	s_xor_b64 exec, exec, s[6:7]
	s_cbranch_execnz .LBB39_2372
.LBB39_322:
	s_or_b64 exec, exec, s[6:7]
	s_and_saveexec_b64 s[6:7], s[4:5]
	s_cbranch_execz .LBB39_324
.LBB39_323:
	v_and_b32_e32 v10, 7, v16
	v_ffbh_u32_e32 v14, v10
	v_min_u32_e32 v14, 32, v14
	v_lshrrev_b16_e32 v11, 3, v16
	v_subrev_u32_e32 v15, 28, v14
	v_and_b32_e32 v11, 15, v11
	v_lshlrev_b32_e32 v15, v15, v16
	v_sub_u32_e32 v14, 29, v14
	v_and_b32_e32 v15, 7, v15
	v_cmp_eq_u16_e32 vcc, 0, v11
	v_cndmask_b32_e32 v10, v10, v15, vcc
	v_cndmask_b32_e32 v11, v11, v14, vcc
	v_lshlrev_b32_e32 v14, 24, v16
	v_mov_b32_e32 v15, 0x3b800000
	v_lshlrev_b32_e32 v10, 20, v10
	v_and_b32_e32 v14, 0x80000000, v14
	v_lshl_add_u32 v11, v11, 23, v15
	v_or3_b32 v10, v14, v11, v10
.LBB39_324:
	s_or_b64 exec, exec, s[6:7]
	s_movk_i32 s4, 0x7f
	v_cmp_gt_i16_sdwa s[6:7], v12, s4 src0_sel:BYTE_0 src1_sel:DWORD
	s_mov_b64 s[4:5], 0
                                        ; implicit-def: $sgpr10
	s_and_saveexec_b64 s[8:9], s[6:7]
	s_xor_b64 s[6:7], exec, s[8:9]
	s_cbranch_execnz .LBB39_2373
; %bb.325:
	s_or_saveexec_b64 s[6:7], s[6:7]
	v_mov_b32_e32 v11, s10
	s_xor_b64 exec, exec, s[6:7]
	s_cbranch_execnz .LBB39_2376
.LBB39_326:
	s_or_b64 exec, exec, s[6:7]
	s_and_saveexec_b64 s[6:7], s[4:5]
	s_cbranch_execz .LBB39_328
.LBB39_327:
	v_and_b32_e32 v11, 7, v12
	v_ffbh_u32_e32 v15, v11
	v_min_u32_e32 v15, 32, v15
	v_lshrrev_b16_e32 v14, 3, v12
	v_subrev_u32_e32 v20, 28, v15
	v_and_b32_e32 v14, 15, v14
	v_lshlrev_b32_e32 v20, v20, v12
	v_sub_u32_e32 v15, 29, v15
	v_and_b32_e32 v20, 7, v20
	v_cmp_eq_u16_e32 vcc, 0, v14
	v_cndmask_b32_e32 v11, v11, v20, vcc
	v_cndmask_b32_e32 v14, v14, v15, vcc
	v_lshlrev_b32_e32 v15, 24, v12
	v_mov_b32_e32 v20, 0x3b800000
	v_lshlrev_b32_e32 v11, 20, v11
	v_and_b32_e32 v15, 0x80000000, v15
	v_lshl_add_u32 v14, v14, 23, v20
	v_or3_b32 v11, v15, v14, v11
.LBB39_328:
	s_or_b64 exec, exec, s[6:7]
	s_nop 0
	v_mfma_f32_16x16x4f32 a[0:3], v10, v11, a[0:3]
	v_lshrrev_b32_e32 v11, 8, v16
	s_movk_i32 s4, 0x7f
	v_cmp_gt_i16_sdwa s[6:7], v11, s4 src0_sel:BYTE_0 src1_sel:DWORD
	s_mov_b64 s[4:5], 0
                                        ; implicit-def: $sgpr10
	s_and_saveexec_b64 s[8:9], s[6:7]
	s_xor_b64 s[6:7], exec, s[8:9]
	s_cbranch_execnz .LBB39_2377
; %bb.329:
	s_or_saveexec_b64 s[6:7], s[6:7]
	v_mov_b32_e32 v10, s10
	s_xor_b64 exec, exec, s[6:7]
	s_cbranch_execnz .LBB39_2380
.LBB39_330:
	s_or_b64 exec, exec, s[6:7]
	s_and_saveexec_b64 s[6:7], s[4:5]
	s_cbranch_execz .LBB39_332
.LBB39_331:
	v_bfe_u32 v10, v16, 8, 3
	v_ffbh_u32_e32 v15, v10
	v_min_u32_e32 v15, 32, v15
	v_lshrrev_b16_e32 v14, 3, v11
	v_subrev_u32_e32 v20, 28, v15
	v_and_b32_e32 v14, 15, v14
	v_lshlrev_b32_e32 v11, v20, v11
	v_sub_u32_e32 v15, 29, v15
	v_and_b32_e32 v11, 7, v11
	v_cmp_eq_u16_e32 vcc, 0, v14
	v_cndmask_b32_e32 v10, v10, v11, vcc
	v_cndmask_b32_e32 v11, v14, v15, vcc
	v_lshlrev_b32_e32 v14, 16, v16
	v_mov_b32_e32 v15, 0x3b800000
	v_lshlrev_b32_e32 v10, 20, v10
	v_and_b32_e32 v14, 0x80000000, v14
	v_lshl_add_u32 v11, v11, 23, v15
	v_or3_b32 v10, v14, v11, v10
.LBB39_332:
	s_or_b64 exec, exec, s[6:7]
	v_lshrrev_b32_e32 v11, 8, v12
	s_movk_i32 s4, 0x7f
	v_cmp_gt_i16_sdwa s[6:7], v11, s4 src0_sel:BYTE_0 src1_sel:DWORD
	s_mov_b64 s[4:5], 0
                                        ; implicit-def: $sgpr10
	s_and_saveexec_b64 s[8:9], s[6:7]
	s_xor_b64 s[6:7], exec, s[8:9]
	s_cbranch_execnz .LBB39_2381
; %bb.333:
	s_or_saveexec_b64 s[6:7], s[6:7]
	v_mov_b32_e32 v14, s10
	s_xor_b64 exec, exec, s[6:7]
	s_cbranch_execnz .LBB39_2384
.LBB39_334:
	s_or_b64 exec, exec, s[6:7]
	s_and_saveexec_b64 s[6:7], s[4:5]
	s_cbranch_execz .LBB39_336
.LBB39_335:
	v_bfe_u32 v14, v12, 8, 3
	v_ffbh_u32_e32 v20, v14
	v_min_u32_e32 v20, 32, v20
	v_lshrrev_b16_e32 v15, 3, v11
	v_subrev_u32_e32 v21, 28, v20
	v_and_b32_e32 v15, 15, v15
	v_lshlrev_b32_e32 v11, v21, v11
	v_sub_u32_e32 v20, 29, v20
	v_and_b32_e32 v11, 7, v11
	v_cmp_eq_u16_e32 vcc, 0, v15
	v_cndmask_b32_e32 v11, v14, v11, vcc
	v_cndmask_b32_e32 v14, v15, v20, vcc
	v_lshlrev_b32_e32 v15, 16, v12
	v_mov_b32_e32 v20, 0x3b800000
	v_lshlrev_b32_e32 v11, 20, v11
	v_and_b32_e32 v15, 0x80000000, v15
	v_lshl_add_u32 v14, v14, 23, v20
	v_or3_b32 v14, v15, v14, v11
.LBB39_336:
	s_or_b64 exec, exec, s[6:7]
	s_nop 0
	v_mfma_f32_16x16x4f32 a[0:3], v10, v14, a[0:3]
	s_movk_i32 s4, 0xff
	v_and_b32_sdwa v11, v16, s4 dst_sel:DWORD dst_unused:UNUSED_PAD src0_sel:WORD_1 src1_sel:DWORD
	s_movk_i32 s4, 0x7f
	v_cmp_lt_i16_e32 vcc, s4, v11
	s_mov_b64 s[4:5], 0
                                        ; implicit-def: $sgpr10
	s_and_saveexec_b64 s[6:7], vcc
	s_xor_b64 s[6:7], exec, s[6:7]
	s_cbranch_execnz .LBB39_2385
; %bb.337:
	s_or_saveexec_b64 s[6:7], s[6:7]
	v_mov_b32_e32 v10, s10
	s_xor_b64 exec, exec, s[6:7]
	s_cbranch_execnz .LBB39_2388
.LBB39_338:
	s_or_b64 exec, exec, s[6:7]
	s_and_saveexec_b64 s[6:7], s[4:5]
	s_cbranch_execz .LBB39_340
.LBB39_339:
	v_bfe_u32 v10, v16, 16, 3
	v_ffbh_u32_e32 v15, v10
	v_min_u32_e32 v15, 32, v15
	v_lshrrev_b32_e32 v11, 19, v16
	v_subrev_u32_e32 v20, 28, v15
	v_and_b32_e32 v11, 15, v11
	v_lshlrev_b32_sdwa v20, v20, v16 dst_sel:DWORD dst_unused:UNUSED_PAD src0_sel:DWORD src1_sel:WORD_1
	v_bfe_u32 v14, v16, 19, 4
	v_sub_u32_e32 v15, 29, v15
	v_and_b32_e32 v20, 7, v20
	v_cmp_eq_u16_e32 vcc, 0, v11
	v_cndmask_b32_e32 v10, v10, v20, vcc
	v_cndmask_b32_e32 v11, v14, v15, vcc
	v_lshlrev_b32_e32 v14, 8, v16
	v_mov_b32_e32 v15, 0x3b800000
	v_lshlrev_b32_e32 v10, 20, v10
	v_and_b32_e32 v14, 0x80000000, v14
	v_lshl_add_u32 v11, v11, 23, v15
	v_or3_b32 v10, v14, v11, v10
.LBB39_340:
	s_or_b64 exec, exec, s[6:7]
	s_movk_i32 s4, 0xff
	v_and_b32_sdwa v11, v12, s4 dst_sel:DWORD dst_unused:UNUSED_PAD src0_sel:WORD_1 src1_sel:DWORD
	s_movk_i32 s4, 0x7f
	v_cmp_lt_i16_e32 vcc, s4, v11
	s_mov_b64 s[4:5], 0
                                        ; implicit-def: $sgpr10
	s_and_saveexec_b64 s[6:7], vcc
	s_xor_b64 s[6:7], exec, s[6:7]
	s_cbranch_execnz .LBB39_2389
; %bb.341:
	s_or_saveexec_b64 s[6:7], s[6:7]
	v_mov_b32_e32 v14, s10
	s_xor_b64 exec, exec, s[6:7]
	s_cbranch_execnz .LBB39_2392
.LBB39_342:
	s_or_b64 exec, exec, s[6:7]
	s_and_saveexec_b64 s[6:7], s[4:5]
	s_cbranch_execz .LBB39_344
.LBB39_343:
	v_bfe_u32 v11, v12, 16, 3
	v_ffbh_u32_e32 v20, v11
	v_min_u32_e32 v20, 32, v20
	v_lshrrev_b32_e32 v14, 19, v12
	v_subrev_u32_e32 v21, 28, v20
	v_and_b32_e32 v14, 15, v14
	v_lshlrev_b32_sdwa v21, v21, v12 dst_sel:DWORD dst_unused:UNUSED_PAD src0_sel:DWORD src1_sel:WORD_1
	v_bfe_u32 v15, v12, 19, 4
	v_sub_u32_e32 v20, 29, v20
	v_and_b32_e32 v21, 7, v21
	v_cmp_eq_u16_e32 vcc, 0, v14
	v_cndmask_b32_e32 v11, v11, v21, vcc
	v_cndmask_b32_e32 v14, v15, v20, vcc
	v_lshlrev_b32_e32 v15, 8, v12
	v_mov_b32_e32 v20, 0x3b800000
	v_lshlrev_b32_e32 v11, 20, v11
	v_and_b32_e32 v15, 0x80000000, v15
	v_lshl_add_u32 v14, v14, 23, v20
	v_or3_b32 v14, v15, v14, v11
.LBB39_344:
	s_or_b64 exec, exec, s[6:7]
	s_nop 0
	v_mfma_f32_16x16x4f32 a[0:3], v10, v14, a[0:3]
	s_movk_i32 s4, 0x7f
	v_cmp_gt_i16_sdwa s[6:7], v16, s4 src0_sel:BYTE_3 src1_sel:DWORD
	s_mov_b64 s[4:5], 0
                                        ; implicit-def: $sgpr10
	s_and_saveexec_b64 s[8:9], s[6:7]
	s_xor_b64 s[6:7], exec, s[8:9]
	s_cbranch_execnz .LBB39_2393
; %bb.345:
	s_or_saveexec_b64 s[6:7], s[6:7]
	v_mov_b32_e32 v10, s10
	s_xor_b64 exec, exec, s[6:7]
	s_cbranch_execnz .LBB39_2396
.LBB39_346:
	s_or_b64 exec, exec, s[6:7]
	s_and_saveexec_b64 s[6:7], s[4:5]
	s_cbranch_execz .LBB39_348
.LBB39_347:
	v_bfe_u32 v10, v16, 24, 3
	v_ffbh_u32_e32 v20, v10
	v_min_u32_e32 v20, 32, v20
	v_lshrrev_b32_e32 v14, 27, v16
	v_subrev_u32_e32 v21, 28, v20
	v_and_b32_e32 v11, 0x80000000, v16
	v_and_b32_e32 v14, 15, v14
	v_bfe_u32 v15, v16, 27, 4
	v_lshlrev_b32_sdwa v16, v21, v16 dst_sel:DWORD dst_unused:UNUSED_PAD src0_sel:DWORD src1_sel:BYTE_3
	v_sub_u32_e32 v20, 29, v20
	v_and_b32_e32 v16, 7, v16
	v_cmp_eq_u16_e32 vcc, 0, v14
	v_cndmask_b32_e32 v10, v10, v16, vcc
	v_cndmask_b32_e32 v14, v15, v20, vcc
	v_mov_b32_e32 v15, 0x3b800000
	v_lshlrev_b32_e32 v10, 20, v10
	v_lshl_add_u32 v14, v14, 23, v15
	v_or3_b32 v10, v11, v14, v10
.LBB39_348:
	s_or_b64 exec, exec, s[6:7]
	s_movk_i32 s4, 0x7f
	v_cmp_gt_i16_sdwa s[6:7], v12, s4 src0_sel:BYTE_3 src1_sel:DWORD
	s_mov_b64 s[4:5], 0
                                        ; implicit-def: $sgpr10
	s_and_saveexec_b64 s[8:9], s[6:7]
	s_xor_b64 s[6:7], exec, s[8:9]
	s_cbranch_execnz .LBB39_2397
; %bb.349:
	s_or_saveexec_b64 s[6:7], s[6:7]
	v_mov_b32_e32 v11, s10
	s_xor_b64 exec, exec, s[6:7]
	s_cbranch_execnz .LBB39_2400
.LBB39_350:
	s_or_b64 exec, exec, s[6:7]
	s_and_saveexec_b64 s[6:7], s[4:5]
	s_cbranch_execz .LBB39_352
.LBB39_351:
	v_bfe_u32 v11, v12, 24, 3
	v_ffbh_u32_e32 v20, v11
	v_min_u32_e32 v20, 32, v20
	v_lshrrev_b32_e32 v15, 27, v12
	v_subrev_u32_e32 v21, 28, v20
	v_and_b32_e32 v14, 0x80000000, v12
	v_and_b32_e32 v15, 15, v15
	v_bfe_u32 v16, v12, 27, 4
	v_lshlrev_b32_sdwa v12, v21, v12 dst_sel:DWORD dst_unused:UNUSED_PAD src0_sel:DWORD src1_sel:BYTE_3
	v_sub_u32_e32 v20, 29, v20
	v_and_b32_e32 v12, 7, v12
	v_cmp_eq_u16_e32 vcc, 0, v15
	v_cndmask_b32_e32 v11, v11, v12, vcc
	v_cndmask_b32_e32 v12, v16, v20, vcc
	v_mov_b32_e32 v15, 0x3b800000
	v_lshlrev_b32_e32 v11, 20, v11
	v_lshl_add_u32 v12, v12, 23, v15
	v_or3_b32 v11, v14, v12, v11
.LBB39_352:
	s_or_b64 exec, exec, s[6:7]
	s_nop 0
	v_mfma_f32_16x16x4f32 a[0:3], v10, v11, a[0:3]
	s_movk_i32 s4, 0x7f
	v_cmp_gt_i16_sdwa s[6:7], v17, s4 src0_sel:BYTE_0 src1_sel:DWORD
	s_mov_b64 s[4:5], 0
                                        ; implicit-def: $sgpr10
	s_and_saveexec_b64 s[8:9], s[6:7]
	s_xor_b64 s[6:7], exec, s[8:9]
	s_cbranch_execnz .LBB39_2401
; %bb.353:
	s_or_saveexec_b64 s[6:7], s[6:7]
	v_mov_b32_e32 v10, s10
	s_xor_b64 exec, exec, s[6:7]
	s_cbranch_execnz .LBB39_2404
.LBB39_354:
	s_or_b64 exec, exec, s[6:7]
	s_and_saveexec_b64 s[6:7], s[4:5]
	s_cbranch_execz .LBB39_356
.LBB39_355:
	v_and_b32_e32 v10, 7, v17
	v_ffbh_u32_e32 v12, v10
	v_min_u32_e32 v12, 32, v12
	v_lshrrev_b16_e32 v11, 3, v17
	v_subrev_u32_e32 v14, 28, v12
	v_and_b32_e32 v11, 15, v11
	v_lshlrev_b32_e32 v14, v14, v17
	v_sub_u32_e32 v12, 29, v12
	v_and_b32_e32 v14, 7, v14
	v_cmp_eq_u16_e32 vcc, 0, v11
	v_cndmask_b32_e32 v10, v10, v14, vcc
	v_cndmask_b32_e32 v11, v11, v12, vcc
	v_lshlrev_b32_e32 v12, 24, v17
	v_mov_b32_e32 v14, 0x3b800000
	v_lshlrev_b32_e32 v10, 20, v10
	v_and_b32_e32 v12, 0x80000000, v12
	v_lshl_add_u32 v11, v11, 23, v14
	v_or3_b32 v10, v12, v11, v10
.LBB39_356:
	s_or_b64 exec, exec, s[6:7]
	s_movk_i32 s4, 0x7f
	v_cmp_gt_i16_sdwa s[6:7], v13, s4 src0_sel:BYTE_0 src1_sel:DWORD
	s_mov_b64 s[4:5], 0
                                        ; implicit-def: $sgpr10
	s_and_saveexec_b64 s[8:9], s[6:7]
	s_xor_b64 s[6:7], exec, s[8:9]
	s_cbranch_execnz .LBB39_2405
; %bb.357:
	s_or_saveexec_b64 s[6:7], s[6:7]
	v_mov_b32_e32 v11, s10
	s_xor_b64 exec, exec, s[6:7]
	s_cbranch_execnz .LBB39_2408
.LBB39_358:
	s_or_b64 exec, exec, s[6:7]
	s_and_saveexec_b64 s[6:7], s[4:5]
	s_cbranch_execz .LBB39_360
.LBB39_359:
	v_and_b32_e32 v11, 7, v13
	v_ffbh_u32_e32 v14, v11
	v_min_u32_e32 v14, 32, v14
	v_lshrrev_b16_e32 v12, 3, v13
	v_subrev_u32_e32 v15, 28, v14
	v_and_b32_e32 v12, 15, v12
	v_lshlrev_b32_e32 v15, v15, v13
	v_sub_u32_e32 v14, 29, v14
	v_and_b32_e32 v15, 7, v15
	v_cmp_eq_u16_e32 vcc, 0, v12
	v_cndmask_b32_e32 v11, v11, v15, vcc
	v_cndmask_b32_e32 v12, v12, v14, vcc
	v_lshlrev_b32_e32 v14, 24, v13
	v_mov_b32_e32 v15, 0x3b800000
	v_lshlrev_b32_e32 v11, 20, v11
	v_and_b32_e32 v14, 0x80000000, v14
	v_lshl_add_u32 v12, v12, 23, v15
	v_or3_b32 v11, v14, v12, v11
.LBB39_360:
	s_or_b64 exec, exec, s[6:7]
	s_nop 0
	v_mfma_f32_16x16x4f32 a[0:3], v10, v11, a[0:3]
	v_lshrrev_b32_e32 v11, 8, v17
	s_movk_i32 s4, 0x7f
	v_cmp_gt_i16_sdwa s[6:7], v11, s4 src0_sel:BYTE_0 src1_sel:DWORD
	s_mov_b64 s[4:5], 0
                                        ; implicit-def: $sgpr10
	s_and_saveexec_b64 s[8:9], s[6:7]
	s_xor_b64 s[6:7], exec, s[8:9]
	s_cbranch_execnz .LBB39_2409
; %bb.361:
	s_or_saveexec_b64 s[6:7], s[6:7]
	v_mov_b32_e32 v10, s10
	s_xor_b64 exec, exec, s[6:7]
	s_cbranch_execnz .LBB39_2412
.LBB39_362:
	s_or_b64 exec, exec, s[6:7]
	s_and_saveexec_b64 s[6:7], s[4:5]
	s_cbranch_execz .LBB39_364
.LBB39_363:
	v_bfe_u32 v10, v17, 8, 3
	v_ffbh_u32_e32 v14, v10
	v_min_u32_e32 v14, 32, v14
	v_lshrrev_b16_e32 v12, 3, v11
	v_subrev_u32_e32 v15, 28, v14
	v_and_b32_e32 v12, 15, v12
	v_lshlrev_b32_e32 v11, v15, v11
	v_sub_u32_e32 v14, 29, v14
	v_and_b32_e32 v11, 7, v11
	v_cmp_eq_u16_e32 vcc, 0, v12
	v_cndmask_b32_e32 v10, v10, v11, vcc
	v_cndmask_b32_e32 v11, v12, v14, vcc
	v_lshlrev_b32_e32 v12, 16, v17
	v_mov_b32_e32 v14, 0x3b800000
	v_lshlrev_b32_e32 v10, 20, v10
	v_and_b32_e32 v12, 0x80000000, v12
	v_lshl_add_u32 v11, v11, 23, v14
	v_or3_b32 v10, v12, v11, v10
.LBB39_364:
	s_or_b64 exec, exec, s[6:7]
	v_lshrrev_b32_e32 v11, 8, v13
	s_movk_i32 s4, 0x7f
	v_cmp_gt_i16_sdwa s[6:7], v11, s4 src0_sel:BYTE_0 src1_sel:DWORD
	s_mov_b64 s[4:5], 0
                                        ; implicit-def: $sgpr10
	s_and_saveexec_b64 s[8:9], s[6:7]
	s_xor_b64 s[6:7], exec, s[8:9]
	s_cbranch_execnz .LBB39_2413
; %bb.365:
	s_or_saveexec_b64 s[6:7], s[6:7]
	v_mov_b32_e32 v12, s10
	s_xor_b64 exec, exec, s[6:7]
	s_cbranch_execnz .LBB39_2416
.LBB39_366:
	s_or_b64 exec, exec, s[6:7]
	s_and_saveexec_b64 s[6:7], s[4:5]
	s_cbranch_execz .LBB39_368
.LBB39_367:
	v_bfe_u32 v12, v13, 8, 3
	v_ffbh_u32_e32 v15, v12
	v_min_u32_e32 v15, 32, v15
	v_lshrrev_b16_e32 v14, 3, v11
	v_subrev_u32_e32 v16, 28, v15
	v_and_b32_e32 v14, 15, v14
	v_lshlrev_b32_e32 v11, v16, v11
	v_sub_u32_e32 v15, 29, v15
	v_and_b32_e32 v11, 7, v11
	v_cmp_eq_u16_e32 vcc, 0, v14
	v_cndmask_b32_e32 v11, v12, v11, vcc
	v_cndmask_b32_e32 v12, v14, v15, vcc
	v_lshlrev_b32_e32 v14, 16, v13
	v_mov_b32_e32 v15, 0x3b800000
	v_lshlrev_b32_e32 v11, 20, v11
	v_and_b32_e32 v14, 0x80000000, v14
	v_lshl_add_u32 v12, v12, 23, v15
	v_or3_b32 v12, v14, v12, v11
.LBB39_368:
	s_or_b64 exec, exec, s[6:7]
	s_nop 0
	v_mfma_f32_16x16x4f32 a[0:3], v10, v12, a[0:3]
	s_movk_i32 s4, 0xff
	v_and_b32_sdwa v11, v17, s4 dst_sel:DWORD dst_unused:UNUSED_PAD src0_sel:WORD_1 src1_sel:DWORD
	s_movk_i32 s4, 0x7f
	v_cmp_lt_i16_e32 vcc, s4, v11
	s_mov_b64 s[4:5], 0
                                        ; implicit-def: $sgpr10
	s_and_saveexec_b64 s[6:7], vcc
	s_xor_b64 s[6:7], exec, s[6:7]
	s_cbranch_execnz .LBB39_2417
; %bb.369:
	s_or_saveexec_b64 s[6:7], s[6:7]
	v_mov_b32_e32 v10, s10
	s_xor_b64 exec, exec, s[6:7]
	s_cbranch_execnz .LBB39_2420
.LBB39_370:
	s_or_b64 exec, exec, s[6:7]
	s_and_saveexec_b64 s[6:7], s[4:5]
	s_cbranch_execz .LBB39_372
.LBB39_371:
	v_bfe_u32 v10, v17, 16, 3
	v_ffbh_u32_e32 v14, v10
	v_min_u32_e32 v14, 32, v14
	v_lshrrev_b32_e32 v11, 19, v17
	v_subrev_u32_e32 v15, 28, v14
	v_and_b32_e32 v11, 15, v11
	v_lshlrev_b32_sdwa v15, v15, v17 dst_sel:DWORD dst_unused:UNUSED_PAD src0_sel:DWORD src1_sel:WORD_1
	v_bfe_u32 v12, v17, 19, 4
	v_sub_u32_e32 v14, 29, v14
	v_and_b32_e32 v15, 7, v15
	v_cmp_eq_u16_e32 vcc, 0, v11
	v_cndmask_b32_e32 v10, v10, v15, vcc
	v_cndmask_b32_e32 v11, v12, v14, vcc
	v_lshlrev_b32_e32 v12, 8, v17
	v_mov_b32_e32 v14, 0x3b800000
	v_lshlrev_b32_e32 v10, 20, v10
	v_and_b32_e32 v12, 0x80000000, v12
	v_lshl_add_u32 v11, v11, 23, v14
	v_or3_b32 v10, v12, v11, v10
.LBB39_372:
	s_or_b64 exec, exec, s[6:7]
	s_movk_i32 s4, 0xff
	v_and_b32_sdwa v11, v13, s4 dst_sel:DWORD dst_unused:UNUSED_PAD src0_sel:WORD_1 src1_sel:DWORD
	s_movk_i32 s4, 0x7f
	v_cmp_lt_i16_e32 vcc, s4, v11
	s_mov_b64 s[4:5], 0
                                        ; implicit-def: $sgpr10
	s_and_saveexec_b64 s[6:7], vcc
	s_xor_b64 s[6:7], exec, s[6:7]
	s_cbranch_execnz .LBB39_2421
; %bb.373:
	s_or_saveexec_b64 s[6:7], s[6:7]
	v_mov_b32_e32 v12, s10
	s_xor_b64 exec, exec, s[6:7]
	s_cbranch_execnz .LBB39_2424
.LBB39_374:
	s_or_b64 exec, exec, s[6:7]
	s_and_saveexec_b64 s[6:7], s[4:5]
	s_cbranch_execz .LBB39_376
.LBB39_375:
	v_bfe_u32 v11, v13, 16, 3
	v_ffbh_u32_e32 v15, v11
	v_min_u32_e32 v15, 32, v15
	v_lshrrev_b32_e32 v12, 19, v13
	v_subrev_u32_e32 v16, 28, v15
	v_and_b32_e32 v12, 15, v12
	v_lshlrev_b32_sdwa v16, v16, v13 dst_sel:DWORD dst_unused:UNUSED_PAD src0_sel:DWORD src1_sel:WORD_1
	v_bfe_u32 v14, v13, 19, 4
	v_sub_u32_e32 v15, 29, v15
	v_and_b32_e32 v16, 7, v16
	v_cmp_eq_u16_e32 vcc, 0, v12
	v_cndmask_b32_e32 v11, v11, v16, vcc
	v_cndmask_b32_e32 v12, v14, v15, vcc
	v_lshlrev_b32_e32 v14, 8, v13
	v_mov_b32_e32 v15, 0x3b800000
	v_lshlrev_b32_e32 v11, 20, v11
	v_and_b32_e32 v14, 0x80000000, v14
	v_lshl_add_u32 v12, v12, 23, v15
	v_or3_b32 v12, v14, v12, v11
.LBB39_376:
	s_or_b64 exec, exec, s[6:7]
	s_nop 0
	v_mfma_f32_16x16x4f32 a[0:3], v10, v12, a[0:3]
	s_movk_i32 s4, 0x7f
	v_cmp_gt_i16_sdwa s[6:7], v17, s4 src0_sel:BYTE_3 src1_sel:DWORD
	s_mov_b64 s[4:5], 0
                                        ; implicit-def: $sgpr10
	s_and_saveexec_b64 s[8:9], s[6:7]
	s_xor_b64 s[6:7], exec, s[8:9]
	s_cbranch_execnz .LBB39_2425
; %bb.377:
	s_or_saveexec_b64 s[6:7], s[6:7]
	v_mov_b32_e32 v10, s10
	s_xor_b64 exec, exec, s[6:7]
	s_cbranch_execnz .LBB39_2428
.LBB39_378:
	s_or_b64 exec, exec, s[6:7]
	s_and_saveexec_b64 s[6:7], s[4:5]
	s_cbranch_execz .LBB39_380
.LBB39_379:
	v_bfe_u32 v10, v17, 24, 3
	v_ffbh_u32_e32 v15, v10
	v_min_u32_e32 v15, 32, v15
	v_lshrrev_b32_e32 v12, 27, v17
	v_subrev_u32_e32 v16, 28, v15
	v_and_b32_e32 v12, 15, v12
	v_lshlrev_b32_sdwa v16, v16, v17 dst_sel:DWORD dst_unused:UNUSED_PAD src0_sel:DWORD src1_sel:BYTE_3
	v_bfe_u32 v14, v17, 27, 4
	v_sub_u32_e32 v15, 29, v15
	v_and_b32_e32 v16, 7, v16
	v_cmp_eq_u16_e32 vcc, 0, v12
	v_cndmask_b32_e32 v10, v10, v16, vcc
	v_cndmask_b32_e32 v12, v14, v15, vcc
	v_mov_b32_e32 v14, 0x3b800000
	v_and_b32_e32 v11, 0x80000000, v17
	v_lshlrev_b32_e32 v10, 20, v10
	v_lshl_add_u32 v12, v12, 23, v14
	v_or3_b32 v10, v11, v12, v10
.LBB39_380:
	s_or_b64 exec, exec, s[6:7]
	s_movk_i32 s4, 0x7f
	v_cmp_gt_i16_sdwa s[6:7], v13, s4 src0_sel:BYTE_3 src1_sel:DWORD
	s_mov_b64 s[4:5], 0
                                        ; implicit-def: $sgpr10
	s_and_saveexec_b64 s[8:9], s[6:7]
	s_xor_b64 s[6:7], exec, s[8:9]
	s_cbranch_execnz .LBB39_2429
; %bb.381:
	s_or_saveexec_b64 s[6:7], s[6:7]
	v_mov_b32_e32 v11, s10
	s_xor_b64 exec, exec, s[6:7]
	s_cbranch_execnz .LBB39_2432
.LBB39_382:
	s_or_b64 exec, exec, s[6:7]
	s_and_saveexec_b64 s[6:7], s[4:5]
	s_cbranch_execz .LBB39_384
.LBB39_383:
	v_bfe_u32 v11, v13, 24, 3
	v_ffbh_u32_e32 v16, v11
	v_min_u32_e32 v16, 32, v16
	v_lshrrev_b32_e32 v14, 27, v13
	v_subrev_u32_e32 v17, 28, v16
	v_and_b32_e32 v12, 0x80000000, v13
	v_and_b32_e32 v14, 15, v14
	v_bfe_u32 v15, v13, 27, 4
	v_lshlrev_b32_sdwa v13, v17, v13 dst_sel:DWORD dst_unused:UNUSED_PAD src0_sel:DWORD src1_sel:BYTE_3
	v_sub_u32_e32 v16, 29, v16
	v_and_b32_e32 v13, 7, v13
	v_cmp_eq_u16_e32 vcc, 0, v14
	v_cndmask_b32_e32 v11, v11, v13, vcc
	v_cndmask_b32_e32 v13, v15, v16, vcc
	v_mov_b32_e32 v14, 0x3b800000
	v_lshlrev_b32_e32 v11, 20, v11
	v_lshl_add_u32 v13, v13, 23, v14
	v_or3_b32 v11, v12, v13, v11
.LBB39_384:
	s_or_b64 exec, exec, s[6:7]
	s_nop 0
	v_mfma_f32_16x16x4f32 a[0:3], v10, v11, a[0:3]
	s_movk_i32 s4, 0x7f
	v_cmp_gt_i16_sdwa s[6:7], v6, s4 src0_sel:BYTE_0 src1_sel:DWORD
	s_mov_b64 s[4:5], 0
                                        ; implicit-def: $sgpr10
	s_and_saveexec_b64 s[8:9], s[6:7]
	s_xor_b64 s[6:7], exec, s[8:9]
	s_cbranch_execnz .LBB39_2433
; %bb.385:
	s_or_saveexec_b64 s[6:7], s[6:7]
	v_mov_b32_e32 v10, s10
	s_xor_b64 exec, exec, s[6:7]
	s_cbranch_execnz .LBB39_2436
.LBB39_386:
	s_or_b64 exec, exec, s[6:7]
	s_and_saveexec_b64 s[6:7], s[4:5]
	s_cbranch_execz .LBB39_388
.LBB39_387:
	v_and_b32_e32 v10, 7, v6
	v_ffbh_u32_e32 v12, v10
	v_min_u32_e32 v12, 32, v12
	v_lshrrev_b16_e32 v11, 3, v6
	v_subrev_u32_e32 v13, 28, v12
	v_and_b32_e32 v11, 15, v11
	v_lshlrev_b32_e32 v13, v13, v6
	v_sub_u32_e32 v12, 29, v12
	v_and_b32_e32 v13, 7, v13
	v_cmp_eq_u16_e32 vcc, 0, v11
	v_cndmask_b32_e32 v10, v10, v13, vcc
	v_cndmask_b32_e32 v11, v11, v12, vcc
	v_lshlrev_b32_e32 v12, 24, v6
	v_mov_b32_e32 v13, 0x3b800000
	v_lshlrev_b32_e32 v10, 20, v10
	v_and_b32_e32 v12, 0x80000000, v12
	v_lshl_add_u32 v11, v11, 23, v13
	v_or3_b32 v10, v12, v11, v10
.LBB39_388:
	s_or_b64 exec, exec, s[6:7]
	s_movk_i32 s4, 0x7f
	v_cmp_gt_i16_sdwa s[6:7], v2, s4 src0_sel:BYTE_0 src1_sel:DWORD
	s_mov_b64 s[4:5], 0
                                        ; implicit-def: $sgpr10
	s_and_saveexec_b64 s[8:9], s[6:7]
	s_xor_b64 s[6:7], exec, s[8:9]
	s_cbranch_execnz .LBB39_2437
; %bb.389:
	s_or_saveexec_b64 s[6:7], s[6:7]
	v_mov_b32_e32 v11, s10
	s_xor_b64 exec, exec, s[6:7]
	s_cbranch_execnz .LBB39_2440
.LBB39_390:
	s_or_b64 exec, exec, s[6:7]
	s_and_saveexec_b64 s[6:7], s[4:5]
	s_cbranch_execz .LBB39_392
.LBB39_391:
	v_and_b32_e32 v11, 7, v2
	v_ffbh_u32_e32 v13, v11
	v_min_u32_e32 v13, 32, v13
	v_lshrrev_b16_e32 v12, 3, v2
	v_subrev_u32_e32 v14, 28, v13
	v_and_b32_e32 v12, 15, v12
	v_lshlrev_b32_e32 v14, v14, v2
	v_sub_u32_e32 v13, 29, v13
	v_and_b32_e32 v14, 7, v14
	v_cmp_eq_u16_e32 vcc, 0, v12
	v_cndmask_b32_e32 v11, v11, v14, vcc
	v_cndmask_b32_e32 v12, v12, v13, vcc
	v_lshlrev_b32_e32 v13, 24, v2
	v_mov_b32_e32 v14, 0x3b800000
	v_lshlrev_b32_e32 v11, 20, v11
	v_and_b32_e32 v13, 0x80000000, v13
	v_lshl_add_u32 v12, v12, 23, v14
	v_or3_b32 v11, v13, v12, v11
.LBB39_392:
	s_or_b64 exec, exec, s[6:7]
	s_nop 0
	v_mfma_f32_16x16x4f32 a[0:3], v10, v11, a[0:3]
	v_lshrrev_b32_e32 v11, 8, v6
	s_movk_i32 s4, 0x7f
	v_cmp_gt_i16_sdwa s[6:7], v11, s4 src0_sel:BYTE_0 src1_sel:DWORD
	s_mov_b64 s[4:5], 0
                                        ; implicit-def: $sgpr10
	s_and_saveexec_b64 s[8:9], s[6:7]
	s_xor_b64 s[6:7], exec, s[8:9]
	s_cbranch_execnz .LBB39_2441
; %bb.393:
	s_or_saveexec_b64 s[6:7], s[6:7]
	v_mov_b32_e32 v10, s10
	s_xor_b64 exec, exec, s[6:7]
	s_cbranch_execnz .LBB39_2444
.LBB39_394:
	s_or_b64 exec, exec, s[6:7]
	s_and_saveexec_b64 s[6:7], s[4:5]
	s_cbranch_execz .LBB39_396
.LBB39_395:
	v_bfe_u32 v10, v6, 8, 3
	v_ffbh_u32_e32 v13, v10
	v_min_u32_e32 v13, 32, v13
	v_lshrrev_b16_e32 v12, 3, v11
	v_subrev_u32_e32 v14, 28, v13
	v_and_b32_e32 v12, 15, v12
	v_lshlrev_b32_e32 v11, v14, v11
	v_sub_u32_e32 v13, 29, v13
	v_and_b32_e32 v11, 7, v11
	v_cmp_eq_u16_e32 vcc, 0, v12
	v_cndmask_b32_e32 v10, v10, v11, vcc
	v_cndmask_b32_e32 v11, v12, v13, vcc
	v_lshlrev_b32_e32 v12, 16, v6
	v_mov_b32_e32 v13, 0x3b800000
	v_lshlrev_b32_e32 v10, 20, v10
	v_and_b32_e32 v12, 0x80000000, v12
	v_lshl_add_u32 v11, v11, 23, v13
	v_or3_b32 v10, v12, v11, v10
.LBB39_396:
	s_or_b64 exec, exec, s[6:7]
	v_lshrrev_b32_e32 v11, 8, v2
	s_movk_i32 s4, 0x7f
	v_cmp_gt_i16_sdwa s[6:7], v11, s4 src0_sel:BYTE_0 src1_sel:DWORD
	s_mov_b64 s[4:5], 0
                                        ; implicit-def: $sgpr10
	s_and_saveexec_b64 s[8:9], s[6:7]
	s_xor_b64 s[6:7], exec, s[8:9]
	s_cbranch_execnz .LBB39_2445
; %bb.397:
	s_or_saveexec_b64 s[6:7], s[6:7]
	v_mov_b32_e32 v12, s10
	s_xor_b64 exec, exec, s[6:7]
	s_cbranch_execnz .LBB39_2448
.LBB39_398:
	s_or_b64 exec, exec, s[6:7]
	s_and_saveexec_b64 s[6:7], s[4:5]
	s_cbranch_execz .LBB39_400
.LBB39_399:
	v_bfe_u32 v12, v2, 8, 3
	v_ffbh_u32_e32 v14, v12
	v_min_u32_e32 v14, 32, v14
	v_lshrrev_b16_e32 v13, 3, v11
	v_subrev_u32_e32 v15, 28, v14
	v_and_b32_e32 v13, 15, v13
	v_lshlrev_b32_e32 v11, v15, v11
	v_sub_u32_e32 v14, 29, v14
	v_and_b32_e32 v11, 7, v11
	v_cmp_eq_u16_e32 vcc, 0, v13
	v_cndmask_b32_e32 v11, v12, v11, vcc
	v_cndmask_b32_e32 v12, v13, v14, vcc
	v_lshlrev_b32_e32 v13, 16, v2
	v_mov_b32_e32 v14, 0x3b800000
	v_lshlrev_b32_e32 v11, 20, v11
	v_and_b32_e32 v13, 0x80000000, v13
	v_lshl_add_u32 v12, v12, 23, v14
	v_or3_b32 v12, v13, v12, v11
.LBB39_400:
	s_or_b64 exec, exec, s[6:7]
	s_nop 0
	v_mfma_f32_16x16x4f32 a[0:3], v10, v12, a[0:3]
	s_movk_i32 s4, 0xff
	v_and_b32_sdwa v11, v6, s4 dst_sel:DWORD dst_unused:UNUSED_PAD src0_sel:WORD_1 src1_sel:DWORD
	s_movk_i32 s4, 0x7f
	v_cmp_lt_i16_e32 vcc, s4, v11
	s_mov_b64 s[4:5], 0
                                        ; implicit-def: $sgpr10
	s_and_saveexec_b64 s[6:7], vcc
	s_xor_b64 s[6:7], exec, s[6:7]
	s_cbranch_execnz .LBB39_2449
; %bb.401:
	s_or_saveexec_b64 s[6:7], s[6:7]
	v_mov_b32_e32 v10, s10
	s_xor_b64 exec, exec, s[6:7]
	s_cbranch_execnz .LBB39_2452
.LBB39_402:
	s_or_b64 exec, exec, s[6:7]
	s_and_saveexec_b64 s[6:7], s[4:5]
	s_cbranch_execz .LBB39_404
.LBB39_403:
	v_bfe_u32 v10, v6, 16, 3
	v_ffbh_u32_e32 v13, v10
	v_min_u32_e32 v13, 32, v13
	v_lshrrev_b32_e32 v11, 19, v6
	v_subrev_u32_e32 v14, 28, v13
	v_and_b32_e32 v11, 15, v11
	v_lshlrev_b32_sdwa v14, v14, v6 dst_sel:DWORD dst_unused:UNUSED_PAD src0_sel:DWORD src1_sel:WORD_1
	v_bfe_u32 v12, v6, 19, 4
	v_sub_u32_e32 v13, 29, v13
	v_and_b32_e32 v14, 7, v14
	v_cmp_eq_u16_e32 vcc, 0, v11
	v_cndmask_b32_e32 v10, v10, v14, vcc
	v_cndmask_b32_e32 v11, v12, v13, vcc
	v_lshlrev_b32_e32 v12, 8, v6
	v_mov_b32_e32 v13, 0x3b800000
	v_lshlrev_b32_e32 v10, 20, v10
	v_and_b32_e32 v12, 0x80000000, v12
	v_lshl_add_u32 v11, v11, 23, v13
	v_or3_b32 v10, v12, v11, v10
.LBB39_404:
	s_or_b64 exec, exec, s[6:7]
	s_movk_i32 s4, 0xff
	v_and_b32_sdwa v11, v2, s4 dst_sel:DWORD dst_unused:UNUSED_PAD src0_sel:WORD_1 src1_sel:DWORD
	s_movk_i32 s4, 0x7f
	v_cmp_lt_i16_e32 vcc, s4, v11
	s_mov_b64 s[4:5], 0
                                        ; implicit-def: $sgpr10
	s_and_saveexec_b64 s[6:7], vcc
	s_xor_b64 s[6:7], exec, s[6:7]
	s_cbranch_execnz .LBB39_2453
; %bb.405:
	s_or_saveexec_b64 s[6:7], s[6:7]
	v_mov_b32_e32 v12, s10
	s_xor_b64 exec, exec, s[6:7]
	s_cbranch_execnz .LBB39_2456
.LBB39_406:
	s_or_b64 exec, exec, s[6:7]
	s_and_saveexec_b64 s[6:7], s[4:5]
	s_cbranch_execz .LBB39_408
.LBB39_407:
	v_bfe_u32 v11, v2, 16, 3
	v_ffbh_u32_e32 v14, v11
	v_min_u32_e32 v14, 32, v14
	v_lshrrev_b32_e32 v12, 19, v2
	v_subrev_u32_e32 v15, 28, v14
	v_and_b32_e32 v12, 15, v12
	v_lshlrev_b32_sdwa v15, v15, v2 dst_sel:DWORD dst_unused:UNUSED_PAD src0_sel:DWORD src1_sel:WORD_1
	v_bfe_u32 v13, v2, 19, 4
	v_sub_u32_e32 v14, 29, v14
	v_and_b32_e32 v15, 7, v15
	v_cmp_eq_u16_e32 vcc, 0, v12
	v_cndmask_b32_e32 v11, v11, v15, vcc
	v_cndmask_b32_e32 v12, v13, v14, vcc
	v_lshlrev_b32_e32 v13, 8, v2
	v_mov_b32_e32 v14, 0x3b800000
	v_lshlrev_b32_e32 v11, 20, v11
	v_and_b32_e32 v13, 0x80000000, v13
	v_lshl_add_u32 v12, v12, 23, v14
	v_or3_b32 v12, v13, v12, v11
.LBB39_408:
	s_or_b64 exec, exec, s[6:7]
	s_nop 0
	v_mfma_f32_16x16x4f32 a[0:3], v10, v12, a[0:3]
	s_movk_i32 s4, 0x7f
	v_cmp_gt_i16_sdwa s[6:7], v6, s4 src0_sel:BYTE_3 src1_sel:DWORD
	s_mov_b64 s[4:5], 0
                                        ; implicit-def: $sgpr10
	s_and_saveexec_b64 s[8:9], s[6:7]
	s_xor_b64 s[6:7], exec, s[8:9]
	s_cbranch_execnz .LBB39_2457
; %bb.409:
	s_or_saveexec_b64 s[6:7], s[6:7]
	v_mov_b32_e32 v10, s10
	s_xor_b64 exec, exec, s[6:7]
	s_cbranch_execnz .LBB39_2460
.LBB39_410:
	s_or_b64 exec, exec, s[6:7]
	s_and_saveexec_b64 s[6:7], s[4:5]
	s_cbranch_execz .LBB39_412
.LBB39_411:
	v_bfe_u32 v10, v6, 24, 3
	v_ffbh_u32_e32 v14, v10
	v_min_u32_e32 v14, 32, v14
	v_lshrrev_b32_e32 v12, 27, v6
	v_subrev_u32_e32 v15, 28, v14
	v_and_b32_e32 v11, 0x80000000, v6
	v_and_b32_e32 v12, 15, v12
	v_bfe_u32 v13, v6, 27, 4
	v_lshlrev_b32_sdwa v6, v15, v6 dst_sel:DWORD dst_unused:UNUSED_PAD src0_sel:DWORD src1_sel:BYTE_3
	v_sub_u32_e32 v14, 29, v14
	v_and_b32_e32 v6, 7, v6
	v_cmp_eq_u16_e32 vcc, 0, v12
	v_cndmask_b32_e32 v6, v10, v6, vcc
	v_cndmask_b32_e32 v10, v13, v14, vcc
	v_mov_b32_e32 v12, 0x3b800000
	v_lshlrev_b32_e32 v6, 20, v6
	v_lshl_add_u32 v10, v10, 23, v12
	v_or3_b32 v10, v11, v10, v6
.LBB39_412:
	s_or_b64 exec, exec, s[6:7]
	s_movk_i32 s4, 0x7f
	v_cmp_gt_i16_sdwa s[6:7], v2, s4 src0_sel:BYTE_3 src1_sel:DWORD
	s_mov_b64 s[4:5], 0
                                        ; implicit-def: $sgpr10
	s_and_saveexec_b64 s[8:9], s[6:7]
	s_xor_b64 s[6:7], exec, s[8:9]
	s_cbranch_execnz .LBB39_2461
; %bb.413:
	s_or_saveexec_b64 s[6:7], s[6:7]
	v_mov_b32_e32 v6, s10
	s_xor_b64 exec, exec, s[6:7]
	s_cbranch_execnz .LBB39_2464
.LBB39_414:
	s_or_b64 exec, exec, s[6:7]
	s_and_saveexec_b64 s[6:7], s[4:5]
	s_cbranch_execz .LBB39_416
.LBB39_415:
	v_bfe_u32 v6, v2, 24, 3
	v_ffbh_u32_e32 v14, v6
	v_min_u32_e32 v14, 32, v14
	v_lshrrev_b32_e32 v12, 27, v2
	v_subrev_u32_e32 v15, 28, v14
	v_and_b32_e32 v11, 0x80000000, v2
	v_and_b32_e32 v12, 15, v12
	v_bfe_u32 v13, v2, 27, 4
	v_lshlrev_b32_sdwa v2, v15, v2 dst_sel:DWORD dst_unused:UNUSED_PAD src0_sel:DWORD src1_sel:BYTE_3
	v_sub_u32_e32 v14, 29, v14
	v_and_b32_e32 v2, 7, v2
	v_cmp_eq_u16_e32 vcc, 0, v12
	v_cndmask_b32_e32 v2, v6, v2, vcc
	v_cndmask_b32_e32 v6, v13, v14, vcc
	v_mov_b32_e32 v12, 0x3b800000
	v_lshlrev_b32_e32 v2, 20, v2
	v_lshl_add_u32 v6, v6, 23, v12
	v_or3_b32 v6, v11, v6, v2
.LBB39_416:
	s_or_b64 exec, exec, s[6:7]
	s_nop 0
	v_mfma_f32_16x16x4f32 a[0:3], v10, v6, a[0:3]
	s_movk_i32 s4, 0x7f
	v_cmp_gt_i16_sdwa s[6:7], v7, s4 src0_sel:BYTE_0 src1_sel:DWORD
	s_mov_b64 s[4:5], 0
                                        ; implicit-def: $sgpr10
	s_and_saveexec_b64 s[8:9], s[6:7]
	s_xor_b64 s[6:7], exec, s[8:9]
	s_cbranch_execnz .LBB39_2465
; %bb.417:
	s_or_saveexec_b64 s[6:7], s[6:7]
	v_mov_b32_e32 v2, s10
	s_xor_b64 exec, exec, s[6:7]
	s_cbranch_execnz .LBB39_2468
.LBB39_418:
	s_or_b64 exec, exec, s[6:7]
	s_and_saveexec_b64 s[6:7], s[4:5]
	s_cbranch_execz .LBB39_420
.LBB39_419:
	v_and_b32_e32 v2, 7, v7
	v_ffbh_u32_e32 v10, v2
	v_min_u32_e32 v10, 32, v10
	v_lshrrev_b16_e32 v6, 3, v7
	v_subrev_u32_e32 v11, 28, v10
	v_and_b32_e32 v6, 15, v6
	v_lshlrev_b32_e32 v11, v11, v7
	v_sub_u32_e32 v10, 29, v10
	v_and_b32_e32 v11, 7, v11
	v_cmp_eq_u16_e32 vcc, 0, v6
	v_cndmask_b32_e32 v2, v2, v11, vcc
	v_cndmask_b32_e32 v6, v6, v10, vcc
	v_lshlrev_b32_e32 v10, 24, v7
	v_mov_b32_e32 v11, 0x3b800000
	v_lshlrev_b32_e32 v2, 20, v2
	v_and_b32_e32 v10, 0x80000000, v10
	v_lshl_add_u32 v6, v6, 23, v11
	v_or3_b32 v2, v10, v6, v2
.LBB39_420:
	s_or_b64 exec, exec, s[6:7]
	s_movk_i32 s4, 0x7f
	v_cmp_gt_i16_sdwa s[6:7], v3, s4 src0_sel:BYTE_0 src1_sel:DWORD
	s_mov_b64 s[4:5], 0
                                        ; implicit-def: $sgpr10
	s_and_saveexec_b64 s[8:9], s[6:7]
	s_xor_b64 s[6:7], exec, s[8:9]
	s_cbranch_execnz .LBB39_2469
; %bb.421:
	s_or_saveexec_b64 s[6:7], s[6:7]
	v_mov_b32_e32 v6, s10
	s_xor_b64 exec, exec, s[6:7]
	s_cbranch_execnz .LBB39_2472
.LBB39_422:
	s_or_b64 exec, exec, s[6:7]
	s_and_saveexec_b64 s[6:7], s[4:5]
	s_cbranch_execz .LBB39_424
.LBB39_423:
	v_and_b32_e32 v6, 7, v3
	v_ffbh_u32_e32 v11, v6
	v_min_u32_e32 v11, 32, v11
	v_lshrrev_b16_e32 v10, 3, v3
	v_subrev_u32_e32 v12, 28, v11
	v_and_b32_e32 v10, 15, v10
	v_lshlrev_b32_e32 v12, v12, v3
	v_sub_u32_e32 v11, 29, v11
	v_and_b32_e32 v12, 7, v12
	v_cmp_eq_u16_e32 vcc, 0, v10
	v_cndmask_b32_e32 v6, v6, v12, vcc
	v_cndmask_b32_e32 v10, v10, v11, vcc
	v_lshlrev_b32_e32 v11, 24, v3
	v_mov_b32_e32 v12, 0x3b800000
	v_lshlrev_b32_e32 v6, 20, v6
	v_and_b32_e32 v11, 0x80000000, v11
	v_lshl_add_u32 v10, v10, 23, v12
	v_or3_b32 v6, v11, v10, v6
.LBB39_424:
	s_or_b64 exec, exec, s[6:7]
	s_nop 0
	v_mfma_f32_16x16x4f32 a[0:3], v2, v6, a[0:3]
	v_lshrrev_b32_e32 v6, 8, v7
	s_movk_i32 s4, 0x7f
	v_cmp_gt_i16_sdwa s[6:7], v6, s4 src0_sel:BYTE_0 src1_sel:DWORD
	s_mov_b64 s[4:5], 0
                                        ; implicit-def: $sgpr10
	s_and_saveexec_b64 s[8:9], s[6:7]
	s_xor_b64 s[6:7], exec, s[8:9]
	s_cbranch_execnz .LBB39_2473
; %bb.425:
	s_or_saveexec_b64 s[6:7], s[6:7]
	v_mov_b32_e32 v2, s10
	s_xor_b64 exec, exec, s[6:7]
	s_cbranch_execnz .LBB39_2476
.LBB39_426:
	s_or_b64 exec, exec, s[6:7]
	s_and_saveexec_b64 s[6:7], s[4:5]
	s_cbranch_execz .LBB39_428
.LBB39_427:
	v_bfe_u32 v2, v7, 8, 3
	v_ffbh_u32_e32 v11, v2
	v_min_u32_e32 v11, 32, v11
	v_lshrrev_b16_e32 v10, 3, v6
	v_subrev_u32_e32 v12, 28, v11
	v_and_b32_e32 v10, 15, v10
	v_lshlrev_b32_e32 v6, v12, v6
	v_sub_u32_e32 v11, 29, v11
	v_and_b32_e32 v6, 7, v6
	v_cmp_eq_u16_e32 vcc, 0, v10
	v_cndmask_b32_e32 v2, v2, v6, vcc
	v_cndmask_b32_e32 v6, v10, v11, vcc
	v_lshlrev_b32_e32 v10, 16, v7
	v_mov_b32_e32 v11, 0x3b800000
	v_lshlrev_b32_e32 v2, 20, v2
	v_and_b32_e32 v10, 0x80000000, v10
	v_lshl_add_u32 v6, v6, 23, v11
	v_or3_b32 v2, v10, v6, v2
.LBB39_428:
	s_or_b64 exec, exec, s[6:7]
	v_lshrrev_b32_e32 v6, 8, v3
	s_movk_i32 s4, 0x7f
	v_cmp_gt_i16_sdwa s[6:7], v6, s4 src0_sel:BYTE_0 src1_sel:DWORD
	s_mov_b64 s[4:5], 0
                                        ; implicit-def: $sgpr10
	s_and_saveexec_b64 s[8:9], s[6:7]
	s_xor_b64 s[6:7], exec, s[8:9]
	s_cbranch_execnz .LBB39_2477
; %bb.429:
	s_or_saveexec_b64 s[6:7], s[6:7]
	v_mov_b32_e32 v10, s10
	s_xor_b64 exec, exec, s[6:7]
	s_cbranch_execnz .LBB39_2480
.LBB39_430:
	s_or_b64 exec, exec, s[6:7]
	s_and_saveexec_b64 s[6:7], s[4:5]
	s_cbranch_execz .LBB39_432
.LBB39_431:
	v_bfe_u32 v10, v3, 8, 3
	v_ffbh_u32_e32 v12, v10
	v_min_u32_e32 v12, 32, v12
	v_lshrrev_b16_e32 v11, 3, v6
	v_subrev_u32_e32 v13, 28, v12
	v_and_b32_e32 v11, 15, v11
	v_lshlrev_b32_e32 v6, v13, v6
	v_sub_u32_e32 v12, 29, v12
	v_and_b32_e32 v6, 7, v6
	v_cmp_eq_u16_e32 vcc, 0, v11
	v_cndmask_b32_e32 v6, v10, v6, vcc
	v_cndmask_b32_e32 v10, v11, v12, vcc
	v_lshlrev_b32_e32 v11, 16, v3
	v_mov_b32_e32 v12, 0x3b800000
	v_lshlrev_b32_e32 v6, 20, v6
	v_and_b32_e32 v11, 0x80000000, v11
	v_lshl_add_u32 v10, v10, 23, v12
	v_or3_b32 v10, v11, v10, v6
.LBB39_432:
	s_or_b64 exec, exec, s[6:7]
	s_nop 0
	v_mfma_f32_16x16x4f32 a[0:3], v2, v10, a[0:3]
	s_movk_i32 s4, 0xff
	v_and_b32_sdwa v6, v7, s4 dst_sel:DWORD dst_unused:UNUSED_PAD src0_sel:WORD_1 src1_sel:DWORD
	s_movk_i32 s4, 0x7f
	v_cmp_lt_i16_e32 vcc, s4, v6
	s_mov_b64 s[4:5], 0
                                        ; implicit-def: $sgpr10
	s_and_saveexec_b64 s[6:7], vcc
	s_xor_b64 s[6:7], exec, s[6:7]
	s_cbranch_execnz .LBB39_2481
; %bb.433:
	s_or_saveexec_b64 s[6:7], s[6:7]
	v_mov_b32_e32 v2, s10
	s_xor_b64 exec, exec, s[6:7]
	s_cbranch_execnz .LBB39_2484
.LBB39_434:
	s_or_b64 exec, exec, s[6:7]
	s_and_saveexec_b64 s[6:7], s[4:5]
	s_cbranch_execz .LBB39_436
.LBB39_435:
	v_bfe_u32 v2, v7, 16, 3
	v_ffbh_u32_e32 v11, v2
	v_min_u32_e32 v11, 32, v11
	v_lshrrev_b32_e32 v6, 19, v7
	v_subrev_u32_e32 v12, 28, v11
	v_and_b32_e32 v6, 15, v6
	v_lshlrev_b32_sdwa v12, v12, v7 dst_sel:DWORD dst_unused:UNUSED_PAD src0_sel:DWORD src1_sel:WORD_1
	v_bfe_u32 v10, v7, 19, 4
	v_sub_u32_e32 v11, 29, v11
	v_and_b32_e32 v12, 7, v12
	v_cmp_eq_u16_e32 vcc, 0, v6
	v_cndmask_b32_e32 v2, v2, v12, vcc
	v_cndmask_b32_e32 v6, v10, v11, vcc
	v_lshlrev_b32_e32 v10, 8, v7
	v_mov_b32_e32 v11, 0x3b800000
	v_lshlrev_b32_e32 v2, 20, v2
	v_and_b32_e32 v10, 0x80000000, v10
	v_lshl_add_u32 v6, v6, 23, v11
	v_or3_b32 v2, v10, v6, v2
.LBB39_436:
	s_or_b64 exec, exec, s[6:7]
	s_movk_i32 s4, 0xff
	v_and_b32_sdwa v6, v3, s4 dst_sel:DWORD dst_unused:UNUSED_PAD src0_sel:WORD_1 src1_sel:DWORD
	s_movk_i32 s4, 0x7f
	v_cmp_lt_i16_e32 vcc, s4, v6
	s_mov_b64 s[4:5], 0
                                        ; implicit-def: $sgpr10
	s_and_saveexec_b64 s[6:7], vcc
	s_xor_b64 s[6:7], exec, s[6:7]
	s_cbranch_execnz .LBB39_2485
; %bb.437:
	s_or_saveexec_b64 s[6:7], s[6:7]
	v_mov_b32_e32 v10, s10
	s_xor_b64 exec, exec, s[6:7]
	s_cbranch_execnz .LBB39_2488
.LBB39_438:
	s_or_b64 exec, exec, s[6:7]
	s_and_saveexec_b64 s[6:7], s[4:5]
	s_cbranch_execz .LBB39_440
.LBB39_439:
	v_bfe_u32 v6, v3, 16, 3
	v_ffbh_u32_e32 v12, v6
	v_min_u32_e32 v12, 32, v12
	v_lshrrev_b32_e32 v10, 19, v3
	v_subrev_u32_e32 v13, 28, v12
	v_and_b32_e32 v10, 15, v10
	v_lshlrev_b32_sdwa v13, v13, v3 dst_sel:DWORD dst_unused:UNUSED_PAD src0_sel:DWORD src1_sel:WORD_1
	v_bfe_u32 v11, v3, 19, 4
	v_sub_u32_e32 v12, 29, v12
	v_and_b32_e32 v13, 7, v13
	v_cmp_eq_u16_e32 vcc, 0, v10
	v_cndmask_b32_e32 v6, v6, v13, vcc
	v_cndmask_b32_e32 v10, v11, v12, vcc
	v_lshlrev_b32_e32 v11, 8, v3
	v_mov_b32_e32 v12, 0x3b800000
	v_lshlrev_b32_e32 v6, 20, v6
	v_and_b32_e32 v11, 0x80000000, v11
	v_lshl_add_u32 v10, v10, 23, v12
	v_or3_b32 v10, v11, v10, v6
.LBB39_440:
	s_or_b64 exec, exec, s[6:7]
	s_nop 0
	v_mfma_f32_16x16x4f32 a[0:3], v2, v10, a[0:3]
	s_movk_i32 s4, 0x7f
	v_cmp_gt_i16_sdwa s[6:7], v7, s4 src0_sel:BYTE_3 src1_sel:DWORD
	s_mov_b64 s[4:5], 0
                                        ; implicit-def: $sgpr10
	s_and_saveexec_b64 s[8:9], s[6:7]
	s_xor_b64 s[6:7], exec, s[8:9]
	s_cbranch_execnz .LBB39_2489
; %bb.441:
	s_or_saveexec_b64 s[6:7], s[6:7]
	v_mov_b32_e32 v2, s10
	s_xor_b64 exec, exec, s[6:7]
	s_cbranch_execnz .LBB39_2492
.LBB39_442:
	s_or_b64 exec, exec, s[6:7]
	s_and_saveexec_b64 s[6:7], s[4:5]
	s_cbranch_execz .LBB39_444
.LBB39_443:
	v_bfe_u32 v2, v7, 24, 3
	v_ffbh_u32_e32 v12, v2
	v_min_u32_e32 v12, 32, v12
	v_lshrrev_b32_e32 v10, 27, v7
	v_subrev_u32_e32 v13, 28, v12
	v_and_b32_e32 v6, 0x80000000, v7
	v_and_b32_e32 v10, 15, v10
	v_bfe_u32 v11, v7, 27, 4
	v_lshlrev_b32_sdwa v7, v13, v7 dst_sel:DWORD dst_unused:UNUSED_PAD src0_sel:DWORD src1_sel:BYTE_3
	v_sub_u32_e32 v12, 29, v12
	v_and_b32_e32 v7, 7, v7
	v_cmp_eq_u16_e32 vcc, 0, v10
	v_cndmask_b32_e32 v2, v2, v7, vcc
	v_cndmask_b32_e32 v7, v11, v12, vcc
	v_mov_b32_e32 v10, 0x3b800000
	v_lshlrev_b32_e32 v2, 20, v2
	v_lshl_add_u32 v7, v7, 23, v10
	v_or3_b32 v2, v6, v7, v2
.LBB39_444:
	s_or_b64 exec, exec, s[6:7]
	s_movk_i32 s4, 0x7f
	v_cmp_gt_i16_sdwa s[6:7], v3, s4 src0_sel:BYTE_3 src1_sel:DWORD
	s_mov_b64 s[4:5], 0
                                        ; implicit-def: $sgpr10
	s_and_saveexec_b64 s[8:9], s[6:7]
	s_xor_b64 s[6:7], exec, s[8:9]
	s_cbranch_execnz .LBB39_2493
; %bb.445:
	s_or_saveexec_b64 s[6:7], s[6:7]
	v_mov_b32_e32 v6, s10
	s_xor_b64 exec, exec, s[6:7]
	s_cbranch_execnz .LBB39_2496
.LBB39_446:
	s_or_b64 exec, exec, s[6:7]
	s_and_saveexec_b64 s[6:7], s[4:5]
	s_cbranch_execz .LBB39_448
.LBB39_447:
	v_bfe_u32 v6, v3, 24, 3
	v_ffbh_u32_e32 v12, v6
	v_min_u32_e32 v12, 32, v12
	v_lshrrev_b32_e32 v10, 27, v3
	v_subrev_u32_e32 v13, 28, v12
	v_and_b32_e32 v7, 0x80000000, v3
	v_and_b32_e32 v10, 15, v10
	v_bfe_u32 v11, v3, 27, 4
	v_lshlrev_b32_sdwa v3, v13, v3 dst_sel:DWORD dst_unused:UNUSED_PAD src0_sel:DWORD src1_sel:BYTE_3
	v_sub_u32_e32 v12, 29, v12
	v_and_b32_e32 v3, 7, v3
	v_cmp_eq_u16_e32 vcc, 0, v10
	v_cndmask_b32_e32 v3, v6, v3, vcc
	v_cndmask_b32_e32 v6, v11, v12, vcc
	v_mov_b32_e32 v10, 0x3b800000
	v_lshlrev_b32_e32 v3, 20, v3
	v_lshl_add_u32 v6, v6, 23, v10
	v_or3_b32 v6, v7, v6, v3
.LBB39_448:
	s_or_b64 exec, exec, s[6:7]
	s_nop 0
	v_mfma_f32_16x16x4f32 a[0:3], v2, v6, a[0:3]
	s_movk_i32 s4, 0x7f
	v_cmp_gt_i16_sdwa s[6:7], v8, s4 src0_sel:BYTE_0 src1_sel:DWORD
	s_mov_b64 s[4:5], 0
                                        ; implicit-def: $sgpr10
	s_and_saveexec_b64 s[8:9], s[6:7]
	s_xor_b64 s[6:7], exec, s[8:9]
	s_cbranch_execnz .LBB39_2497
; %bb.449:
	s_or_saveexec_b64 s[6:7], s[6:7]
	v_mov_b32_e32 v2, s10
	s_xor_b64 exec, exec, s[6:7]
	s_cbranch_execnz .LBB39_2500
.LBB39_450:
	s_or_b64 exec, exec, s[6:7]
	s_and_saveexec_b64 s[6:7], s[4:5]
	s_cbranch_execz .LBB39_452
.LBB39_451:
	v_and_b32_e32 v2, 7, v8
	v_ffbh_u32_e32 v6, v2
	v_min_u32_e32 v6, 32, v6
	v_lshrrev_b16_e32 v3, 3, v8
	v_subrev_u32_e32 v7, 28, v6
	v_and_b32_e32 v3, 15, v3
	v_lshlrev_b32_e32 v7, v7, v8
	v_sub_u32_e32 v6, 29, v6
	v_and_b32_e32 v7, 7, v7
	v_cmp_eq_u16_e32 vcc, 0, v3
	v_cndmask_b32_e32 v2, v2, v7, vcc
	v_cndmask_b32_e32 v3, v3, v6, vcc
	v_lshlrev_b32_e32 v6, 24, v8
	v_mov_b32_e32 v7, 0x3b800000
	v_lshlrev_b32_e32 v2, 20, v2
	v_and_b32_e32 v6, 0x80000000, v6
	v_lshl_add_u32 v3, v3, 23, v7
	v_or3_b32 v2, v6, v3, v2
.LBB39_452:
	s_or_b64 exec, exec, s[6:7]
	s_movk_i32 s4, 0x7f
	v_cmp_gt_i16_sdwa s[6:7], v4, s4 src0_sel:BYTE_0 src1_sel:DWORD
	s_mov_b64 s[4:5], 0
                                        ; implicit-def: $sgpr10
	s_and_saveexec_b64 s[8:9], s[6:7]
	s_xor_b64 s[6:7], exec, s[8:9]
	s_cbranch_execnz .LBB39_2501
; %bb.453:
	s_or_saveexec_b64 s[6:7], s[6:7]
	v_mov_b32_e32 v3, s10
	s_xor_b64 exec, exec, s[6:7]
	s_cbranch_execnz .LBB39_2504
.LBB39_454:
	s_or_b64 exec, exec, s[6:7]
	s_and_saveexec_b64 s[6:7], s[4:5]
	s_cbranch_execz .LBB39_456
.LBB39_455:
	v_and_b32_e32 v3, 7, v4
	v_ffbh_u32_e32 v7, v3
	v_min_u32_e32 v7, 32, v7
	v_lshrrev_b16_e32 v6, 3, v4
	v_subrev_u32_e32 v10, 28, v7
	v_and_b32_e32 v6, 15, v6
	v_lshlrev_b32_e32 v10, v10, v4
	v_sub_u32_e32 v7, 29, v7
	v_and_b32_e32 v10, 7, v10
	v_cmp_eq_u16_e32 vcc, 0, v6
	v_cndmask_b32_e32 v3, v3, v10, vcc
	v_cndmask_b32_e32 v6, v6, v7, vcc
	v_lshlrev_b32_e32 v7, 24, v4
	v_mov_b32_e32 v10, 0x3b800000
	v_lshlrev_b32_e32 v3, 20, v3
	v_and_b32_e32 v7, 0x80000000, v7
	v_lshl_add_u32 v6, v6, 23, v10
	v_or3_b32 v3, v7, v6, v3
.LBB39_456:
	s_or_b64 exec, exec, s[6:7]
	s_nop 0
	v_mfma_f32_16x16x4f32 a[0:3], v2, v3, a[0:3]
	v_lshrrev_b32_e32 v3, 8, v8
	s_movk_i32 s4, 0x7f
	v_cmp_gt_i16_sdwa s[6:7], v3, s4 src0_sel:BYTE_0 src1_sel:DWORD
	s_mov_b64 s[4:5], 0
                                        ; implicit-def: $sgpr10
	s_and_saveexec_b64 s[8:9], s[6:7]
	s_xor_b64 s[6:7], exec, s[8:9]
	s_cbranch_execnz .LBB39_2505
; %bb.457:
	s_or_saveexec_b64 s[6:7], s[6:7]
	v_mov_b32_e32 v2, s10
	s_xor_b64 exec, exec, s[6:7]
	s_cbranch_execnz .LBB39_2508
.LBB39_458:
	s_or_b64 exec, exec, s[6:7]
	s_and_saveexec_b64 s[6:7], s[4:5]
	s_cbranch_execz .LBB39_460
.LBB39_459:
	v_bfe_u32 v2, v8, 8, 3
	v_ffbh_u32_e32 v7, v2
	v_min_u32_e32 v7, 32, v7
	v_lshrrev_b16_e32 v6, 3, v3
	v_subrev_u32_e32 v10, 28, v7
	v_and_b32_e32 v6, 15, v6
	v_lshlrev_b32_e32 v3, v10, v3
	v_sub_u32_e32 v7, 29, v7
	v_and_b32_e32 v3, 7, v3
	v_cmp_eq_u16_e32 vcc, 0, v6
	v_cndmask_b32_e32 v2, v2, v3, vcc
	v_cndmask_b32_e32 v3, v6, v7, vcc
	v_lshlrev_b32_e32 v6, 16, v8
	v_mov_b32_e32 v7, 0x3b800000
	v_lshlrev_b32_e32 v2, 20, v2
	v_and_b32_e32 v6, 0x80000000, v6
	v_lshl_add_u32 v3, v3, 23, v7
	v_or3_b32 v2, v6, v3, v2
.LBB39_460:
	s_or_b64 exec, exec, s[6:7]
	v_lshrrev_b32_e32 v3, 8, v4
	s_movk_i32 s4, 0x7f
	v_cmp_gt_i16_sdwa s[6:7], v3, s4 src0_sel:BYTE_0 src1_sel:DWORD
	s_mov_b64 s[4:5], 0
                                        ; implicit-def: $sgpr10
	s_and_saveexec_b64 s[8:9], s[6:7]
	s_xor_b64 s[6:7], exec, s[8:9]
	s_cbranch_execnz .LBB39_2509
; %bb.461:
	s_or_saveexec_b64 s[6:7], s[6:7]
	v_mov_b32_e32 v6, s10
	s_xor_b64 exec, exec, s[6:7]
	s_cbranch_execnz .LBB39_2512
.LBB39_462:
	s_or_b64 exec, exec, s[6:7]
	s_and_saveexec_b64 s[6:7], s[4:5]
	s_cbranch_execz .LBB39_464
.LBB39_463:
	v_bfe_u32 v6, v4, 8, 3
	v_ffbh_u32_e32 v10, v6
	v_min_u32_e32 v10, 32, v10
	v_lshrrev_b16_e32 v7, 3, v3
	v_subrev_u32_e32 v11, 28, v10
	v_and_b32_e32 v7, 15, v7
	v_lshlrev_b32_e32 v3, v11, v3
	v_sub_u32_e32 v10, 29, v10
	v_and_b32_e32 v3, 7, v3
	v_cmp_eq_u16_e32 vcc, 0, v7
	v_cndmask_b32_e32 v3, v6, v3, vcc
	v_cndmask_b32_e32 v6, v7, v10, vcc
	v_lshlrev_b32_e32 v7, 16, v4
	v_mov_b32_e32 v10, 0x3b800000
	v_lshlrev_b32_e32 v3, 20, v3
	v_and_b32_e32 v7, 0x80000000, v7
	v_lshl_add_u32 v6, v6, 23, v10
	v_or3_b32 v6, v7, v6, v3
.LBB39_464:
	s_or_b64 exec, exec, s[6:7]
	s_nop 0
	v_mfma_f32_16x16x4f32 a[0:3], v2, v6, a[0:3]
	s_movk_i32 s4, 0xff
	v_and_b32_sdwa v3, v8, s4 dst_sel:DWORD dst_unused:UNUSED_PAD src0_sel:WORD_1 src1_sel:DWORD
	s_movk_i32 s4, 0x7f
	v_cmp_lt_i16_e32 vcc, s4, v3
	s_mov_b64 s[4:5], 0
                                        ; implicit-def: $sgpr10
	s_and_saveexec_b64 s[6:7], vcc
	s_xor_b64 s[6:7], exec, s[6:7]
	s_cbranch_execnz .LBB39_2513
; %bb.465:
	s_or_saveexec_b64 s[6:7], s[6:7]
	v_mov_b32_e32 v2, s10
	s_xor_b64 exec, exec, s[6:7]
	s_cbranch_execnz .LBB39_2516
.LBB39_466:
	s_or_b64 exec, exec, s[6:7]
	s_and_saveexec_b64 s[6:7], s[4:5]
	s_cbranch_execz .LBB39_468
.LBB39_467:
	v_bfe_u32 v2, v8, 16, 3
	v_ffbh_u32_e32 v7, v2
	v_min_u32_e32 v7, 32, v7
	v_lshrrev_b32_e32 v3, 19, v8
	v_subrev_u32_e32 v10, 28, v7
	v_and_b32_e32 v3, 15, v3
	v_lshlrev_b32_sdwa v10, v10, v8 dst_sel:DWORD dst_unused:UNUSED_PAD src0_sel:DWORD src1_sel:WORD_1
	v_bfe_u32 v6, v8, 19, 4
	v_sub_u32_e32 v7, 29, v7
	v_and_b32_e32 v10, 7, v10
	v_cmp_eq_u16_e32 vcc, 0, v3
	v_cndmask_b32_e32 v2, v2, v10, vcc
	v_cndmask_b32_e32 v3, v6, v7, vcc
	v_lshlrev_b32_e32 v6, 8, v8
	v_mov_b32_e32 v7, 0x3b800000
	v_lshlrev_b32_e32 v2, 20, v2
	v_and_b32_e32 v6, 0x80000000, v6
	v_lshl_add_u32 v3, v3, 23, v7
	v_or3_b32 v2, v6, v3, v2
.LBB39_468:
	s_or_b64 exec, exec, s[6:7]
	s_movk_i32 s4, 0xff
	v_and_b32_sdwa v3, v4, s4 dst_sel:DWORD dst_unused:UNUSED_PAD src0_sel:WORD_1 src1_sel:DWORD
	s_movk_i32 s4, 0x7f
	v_cmp_lt_i16_e32 vcc, s4, v3
	s_mov_b64 s[4:5], 0
                                        ; implicit-def: $sgpr10
	s_and_saveexec_b64 s[6:7], vcc
	s_xor_b64 s[6:7], exec, s[6:7]
	s_cbranch_execnz .LBB39_2517
; %bb.469:
	s_or_saveexec_b64 s[6:7], s[6:7]
	v_mov_b32_e32 v6, s10
	s_xor_b64 exec, exec, s[6:7]
	s_cbranch_execnz .LBB39_2520
.LBB39_470:
	s_or_b64 exec, exec, s[6:7]
	s_and_saveexec_b64 s[6:7], s[4:5]
	s_cbranch_execz .LBB39_472
.LBB39_471:
	v_bfe_u32 v3, v4, 16, 3
	v_ffbh_u32_e32 v10, v3
	v_min_u32_e32 v10, 32, v10
	v_lshrrev_b32_e32 v6, 19, v4
	v_subrev_u32_e32 v11, 28, v10
	v_and_b32_e32 v6, 15, v6
	v_lshlrev_b32_sdwa v11, v11, v4 dst_sel:DWORD dst_unused:UNUSED_PAD src0_sel:DWORD src1_sel:WORD_1
	v_bfe_u32 v7, v4, 19, 4
	v_sub_u32_e32 v10, 29, v10
	v_and_b32_e32 v11, 7, v11
	v_cmp_eq_u16_e32 vcc, 0, v6
	v_cndmask_b32_e32 v3, v3, v11, vcc
	v_cndmask_b32_e32 v6, v7, v10, vcc
	v_lshlrev_b32_e32 v7, 8, v4
	v_mov_b32_e32 v10, 0x3b800000
	v_lshlrev_b32_e32 v3, 20, v3
	v_and_b32_e32 v7, 0x80000000, v7
	v_lshl_add_u32 v6, v6, 23, v10
	v_or3_b32 v6, v7, v6, v3
.LBB39_472:
	s_or_b64 exec, exec, s[6:7]
	s_nop 0
	v_mfma_f32_16x16x4f32 a[0:3], v2, v6, a[0:3]
	s_movk_i32 s4, 0x7f
	v_cmp_gt_i16_sdwa s[6:7], v8, s4 src0_sel:BYTE_3 src1_sel:DWORD
	s_mov_b64 s[4:5], 0
                                        ; implicit-def: $sgpr10
	s_and_saveexec_b64 s[8:9], s[6:7]
	s_xor_b64 s[6:7], exec, s[8:9]
	s_cbranch_execnz .LBB39_2521
; %bb.473:
	s_or_saveexec_b64 s[6:7], s[6:7]
	v_mov_b32_e32 v2, s10
	s_xor_b64 exec, exec, s[6:7]
	s_cbranch_execnz .LBB39_2524
.LBB39_474:
	s_or_b64 exec, exec, s[6:7]
	s_and_saveexec_b64 s[6:7], s[4:5]
	s_cbranch_execz .LBB39_476
.LBB39_475:
	v_bfe_u32 v2, v8, 24, 3
	v_ffbh_u32_e32 v10, v2
	v_min_u32_e32 v10, 32, v10
	v_lshrrev_b32_e32 v6, 27, v8
	v_subrev_u32_e32 v11, 28, v10
	v_and_b32_e32 v3, 0x80000000, v8
	v_and_b32_e32 v6, 15, v6
	v_bfe_u32 v7, v8, 27, 4
	v_lshlrev_b32_sdwa v8, v11, v8 dst_sel:DWORD dst_unused:UNUSED_PAD src0_sel:DWORD src1_sel:BYTE_3
	v_sub_u32_e32 v10, 29, v10
	v_and_b32_e32 v8, 7, v8
	v_cmp_eq_u16_e32 vcc, 0, v6
	v_cndmask_b32_e32 v2, v2, v8, vcc
	v_cndmask_b32_e32 v6, v7, v10, vcc
	v_mov_b32_e32 v7, 0x3b800000
	v_lshlrev_b32_e32 v2, 20, v2
	v_lshl_add_u32 v6, v6, 23, v7
	v_or3_b32 v2, v3, v6, v2
.LBB39_476:
	s_or_b64 exec, exec, s[6:7]
	s_movk_i32 s4, 0x7f
	v_cmp_gt_i16_sdwa s[6:7], v4, s4 src0_sel:BYTE_3 src1_sel:DWORD
	s_mov_b64 s[4:5], 0
                                        ; implicit-def: $sgpr10
	s_and_saveexec_b64 s[8:9], s[6:7]
	s_xor_b64 s[6:7], exec, s[8:9]
	s_cbranch_execnz .LBB39_2525
; %bb.477:
	s_or_saveexec_b64 s[6:7], s[6:7]
	v_mov_b32_e32 v3, s10
	s_xor_b64 exec, exec, s[6:7]
	s_cbranch_execnz .LBB39_2528
.LBB39_478:
	s_or_b64 exec, exec, s[6:7]
	s_and_saveexec_b64 s[6:7], s[4:5]
	s_cbranch_execz .LBB39_480
.LBB39_479:
	v_bfe_u32 v3, v4, 24, 3
	v_ffbh_u32_e32 v10, v3
	v_min_u32_e32 v10, 32, v10
	v_lshrrev_b32_e32 v7, 27, v4
	v_subrev_u32_e32 v11, 28, v10
	v_and_b32_e32 v6, 0x80000000, v4
	v_and_b32_e32 v7, 15, v7
	v_bfe_u32 v8, v4, 27, 4
	v_lshlrev_b32_sdwa v4, v11, v4 dst_sel:DWORD dst_unused:UNUSED_PAD src0_sel:DWORD src1_sel:BYTE_3
	v_sub_u32_e32 v10, 29, v10
	v_and_b32_e32 v4, 7, v4
	v_cmp_eq_u16_e32 vcc, 0, v7
	v_cndmask_b32_e32 v3, v3, v4, vcc
	v_cndmask_b32_e32 v4, v8, v10, vcc
	v_mov_b32_e32 v7, 0x3b800000
	v_lshlrev_b32_e32 v3, 20, v3
	v_lshl_add_u32 v4, v4, 23, v7
	v_or3_b32 v3, v6, v4, v3
.LBB39_480:
	s_or_b64 exec, exec, s[6:7]
	s_nop 0
	v_mfma_f32_16x16x4f32 a[0:3], v2, v3, a[0:3]
	s_movk_i32 s4, 0x7f
	v_cmp_gt_i16_sdwa s[6:7], v9, s4 src0_sel:BYTE_0 src1_sel:DWORD
	s_mov_b64 s[4:5], 0
                                        ; implicit-def: $sgpr10
	s_and_saveexec_b64 s[8:9], s[6:7]
	s_xor_b64 s[6:7], exec, s[8:9]
	s_cbranch_execnz .LBB39_2529
; %bb.481:
	s_or_saveexec_b64 s[6:7], s[6:7]
	v_mov_b32_e32 v2, s10
	s_xor_b64 exec, exec, s[6:7]
	s_cbranch_execnz .LBB39_2532
.LBB39_482:
	s_or_b64 exec, exec, s[6:7]
	s_and_saveexec_b64 s[6:7], s[4:5]
	s_cbranch_execz .LBB39_484
.LBB39_483:
	v_mov_b32_e32 v2, 8
	v_and_b32_e32 v3, 7, v9
	v_lshrrev_b32_sdwa v2, v2, v9 dst_sel:BYTE_1 dst_unused:UNUSED_PAD src0_sel:DWORD src1_sel:DWORD
	v_ffbh_u32_e32 v4, v3
	v_or_b32_sdwa v2, v9, v2 dst_sel:DWORD dst_unused:UNUSED_PAD src0_sel:BYTE_0 src1_sel:DWORD
	v_min_u32_e32 v4, 32, v4
	v_lshrrev_b16_e32 v2, 3, v2
	v_subrev_u32_e32 v6, 28, v4
	v_and_b32_e32 v2, 15, v2
	v_lshlrev_b32_e32 v6, v6, v9
	v_sub_u32_e32 v4, 29, v4
	v_and_b32_e32 v6, 7, v6
	v_cmp_eq_u16_e32 vcc, 0, v2
	v_cndmask_b32_e32 v3, v3, v6, vcc
	v_cndmask_b32_e32 v2, v2, v4, vcc
	v_lshlrev_b32_e32 v4, 24, v9
	v_mov_b32_e32 v6, 0x3b800000
	v_lshlrev_b32_e32 v3, 20, v3
	v_and_b32_e32 v4, 0x80000000, v4
	v_lshl_add_u32 v2, v2, 23, v6
	v_or3_b32 v2, v4, v2, v3
.LBB39_484:
	s_or_b64 exec, exec, s[6:7]
	s_movk_i32 s4, 0x7f
	v_cmp_gt_i16_sdwa s[6:7], v5, s4 src0_sel:BYTE_0 src1_sel:DWORD
	s_mov_b64 s[4:5], 0
                                        ; implicit-def: $sgpr10
	s_and_saveexec_b64 s[8:9], s[6:7]
	s_xor_b64 s[6:7], exec, s[8:9]
	s_cbranch_execnz .LBB39_2533
; %bb.485:
	s_or_saveexec_b64 s[6:7], s[6:7]
	v_mov_b32_e32 v3, s10
	s_xor_b64 exec, exec, s[6:7]
	s_cbranch_execnz .LBB39_2536
.LBB39_486:
	s_or_b64 exec, exec, s[6:7]
	s_and_saveexec_b64 s[6:7], s[4:5]
	s_cbranch_execz .LBB39_488
.LBB39_487:
	v_mov_b32_e32 v3, 8
	v_and_b32_e32 v4, 7, v5
	v_lshrrev_b32_sdwa v3, v3, v5 dst_sel:BYTE_1 dst_unused:UNUSED_PAD src0_sel:DWORD src1_sel:DWORD
	v_ffbh_u32_e32 v6, v4
	v_or_b32_sdwa v3, v5, v3 dst_sel:DWORD dst_unused:UNUSED_PAD src0_sel:BYTE_0 src1_sel:DWORD
	v_min_u32_e32 v6, 32, v6
	v_lshrrev_b16_e32 v3, 3, v3
	v_subrev_u32_e32 v7, 28, v6
	v_and_b32_e32 v3, 15, v3
	v_lshlrev_b32_e32 v7, v7, v5
	v_sub_u32_e32 v6, 29, v6
	v_and_b32_e32 v7, 7, v7
	v_cmp_eq_u16_e32 vcc, 0, v3
	v_cndmask_b32_e32 v4, v4, v7, vcc
	v_cndmask_b32_e32 v3, v3, v6, vcc
	v_lshlrev_b32_e32 v6, 24, v5
	v_mov_b32_e32 v7, 0x3b800000
	v_lshlrev_b32_e32 v4, 20, v4
	v_and_b32_e32 v6, 0x80000000, v6
	v_lshl_add_u32 v3, v3, 23, v7
	v_or3_b32 v3, v6, v3, v4
.LBB39_488:
	s_or_b64 exec, exec, s[6:7]
	s_nop 0
	v_mfma_f32_16x16x4f32 a[0:3], v2, v3, a[0:3]
	v_lshrrev_b32_e32 v3, 8, v9
	s_movk_i32 s4, 0x7f
	v_cmp_gt_i16_sdwa s[6:7], v3, s4 src0_sel:BYTE_0 src1_sel:DWORD
	s_mov_b64 s[4:5], 0
                                        ; implicit-def: $sgpr10
	s_and_saveexec_b64 s[8:9], s[6:7]
	s_xor_b64 s[6:7], exec, s[8:9]
	s_cbranch_execnz .LBB39_2537
; %bb.489:
	s_or_saveexec_b64 s[6:7], s[6:7]
	v_mov_b32_e32 v2, s10
	s_xor_b64 exec, exec, s[6:7]
	s_cbranch_execnz .LBB39_2540
.LBB39_490:
	s_or_b64 exec, exec, s[6:7]
	s_and_saveexec_b64 s[6:7], s[4:5]
	s_cbranch_execz .LBB39_492
.LBB39_491:
	v_bfe_u32 v2, v9, 8, 3
	v_ffbh_u32_e32 v6, v2
	v_min_u32_e32 v6, 32, v6
	v_lshrrev_b16_e32 v4, 3, v3
	v_subrev_u32_e32 v7, 28, v6
	v_and_b32_e32 v4, 15, v4
	v_lshlrev_b32_e32 v3, v7, v3
	v_sub_u32_e32 v6, 29, v6
	v_and_b32_e32 v3, 7, v3
	v_cmp_eq_u16_e32 vcc, 0, v4
	v_cndmask_b32_e32 v2, v2, v3, vcc
	v_cndmask_b32_e32 v3, v4, v6, vcc
	v_lshlrev_b32_e32 v4, 16, v9
	v_mov_b32_e32 v6, 0x3b800000
	v_lshlrev_b32_e32 v2, 20, v2
	v_and_b32_e32 v4, 0x80000000, v4
	v_lshl_add_u32 v3, v3, 23, v6
	v_or3_b32 v2, v4, v3, v2
.LBB39_492:
	s_or_b64 exec, exec, s[6:7]
	v_lshrrev_b32_e32 v3, 8, v5
	s_movk_i32 s4, 0x7f
	v_cmp_gt_i16_sdwa s[6:7], v3, s4 src0_sel:BYTE_0 src1_sel:DWORD
	s_mov_b64 s[4:5], 0
                                        ; implicit-def: $sgpr10
	s_and_saveexec_b64 s[8:9], s[6:7]
	s_xor_b64 s[6:7], exec, s[8:9]
	s_cbranch_execnz .LBB39_2541
; %bb.493:
	s_or_saveexec_b64 s[6:7], s[6:7]
	v_mov_b32_e32 v4, s10
	s_xor_b64 exec, exec, s[6:7]
	s_cbranch_execnz .LBB39_2544
.LBB39_494:
	s_or_b64 exec, exec, s[6:7]
	s_and_saveexec_b64 s[6:7], s[4:5]
	s_cbranch_execz .LBB39_496
.LBB39_495:
	v_bfe_u32 v4, v5, 8, 3
	v_ffbh_u32_e32 v7, v4
	v_min_u32_e32 v7, 32, v7
	v_lshrrev_b16_e32 v6, 3, v3
	v_subrev_u32_e32 v8, 28, v7
	v_and_b32_e32 v6, 15, v6
	v_lshlrev_b32_e32 v3, v8, v3
	v_sub_u32_e32 v7, 29, v7
	v_and_b32_e32 v3, 7, v3
	v_cmp_eq_u16_e32 vcc, 0, v6
	v_cndmask_b32_e32 v3, v4, v3, vcc
	v_cndmask_b32_e32 v4, v6, v7, vcc
	v_lshlrev_b32_e32 v6, 16, v5
	v_mov_b32_e32 v7, 0x3b800000
	v_lshlrev_b32_e32 v3, 20, v3
	v_and_b32_e32 v6, 0x80000000, v6
	v_lshl_add_u32 v4, v4, 23, v7
	v_or3_b32 v4, v6, v4, v3
.LBB39_496:
	s_or_b64 exec, exec, s[6:7]
	s_nop 0
	v_mfma_f32_16x16x4f32 a[0:3], v2, v4, a[0:3]
	s_movk_i32 s4, 0xff
	v_and_b32_sdwa v3, v9, s4 dst_sel:DWORD dst_unused:UNUSED_PAD src0_sel:WORD_1 src1_sel:DWORD
	s_movk_i32 s4, 0x7f
	v_cmp_lt_i16_e32 vcc, s4, v3
	s_mov_b64 s[4:5], 0
                                        ; implicit-def: $sgpr10
	s_and_saveexec_b64 s[6:7], vcc
	s_xor_b64 s[6:7], exec, s[6:7]
	s_cbranch_execnz .LBB39_2545
; %bb.497:
	s_or_saveexec_b64 s[6:7], s[6:7]
	v_mov_b32_e32 v2, s10
	s_xor_b64 exec, exec, s[6:7]
	s_cbranch_execnz .LBB39_2548
.LBB39_498:
	s_or_b64 exec, exec, s[6:7]
	s_and_saveexec_b64 s[6:7], s[4:5]
	s_cbranch_execz .LBB39_500
.LBB39_499:
	v_bfe_u32 v2, v9, 16, 3
	v_ffbh_u32_e32 v6, v2
	v_min_u32_e32 v6, 32, v6
	v_lshrrev_b32_e32 v3, 19, v9
	v_subrev_u32_e32 v7, 28, v6
	v_and_b32_e32 v3, 15, v3
	v_lshlrev_b32_sdwa v7, v7, v9 dst_sel:DWORD dst_unused:UNUSED_PAD src0_sel:DWORD src1_sel:WORD_1
	v_bfe_u32 v4, v9, 19, 4
	v_sub_u32_e32 v6, 29, v6
	v_and_b32_e32 v7, 7, v7
	v_cmp_eq_u16_e32 vcc, 0, v3
	v_cndmask_b32_e32 v2, v2, v7, vcc
	v_cndmask_b32_e32 v3, v4, v6, vcc
	v_lshlrev_b32_e32 v4, 8, v9
	v_mov_b32_e32 v6, 0x3b800000
	v_lshlrev_b32_e32 v2, 20, v2
	v_and_b32_e32 v4, 0x80000000, v4
	v_lshl_add_u32 v3, v3, 23, v6
	v_or3_b32 v2, v4, v3, v2
.LBB39_500:
	s_or_b64 exec, exec, s[6:7]
	s_movk_i32 s4, 0xff
	v_and_b32_sdwa v3, v5, s4 dst_sel:DWORD dst_unused:UNUSED_PAD src0_sel:WORD_1 src1_sel:DWORD
	s_movk_i32 s4, 0x7f
	v_cmp_lt_i16_e32 vcc, s4, v3
	s_mov_b64 s[4:5], 0
                                        ; implicit-def: $sgpr10
	s_and_saveexec_b64 s[6:7], vcc
	s_xor_b64 s[6:7], exec, s[6:7]
	s_cbranch_execnz .LBB39_2549
; %bb.501:
	s_or_saveexec_b64 s[6:7], s[6:7]
	v_mov_b32_e32 v4, s10
	s_xor_b64 exec, exec, s[6:7]
	s_cbranch_execnz .LBB39_2552
.LBB39_502:
	s_or_b64 exec, exec, s[6:7]
	s_and_saveexec_b64 s[6:7], s[4:5]
	s_cbranch_execz .LBB39_504
.LBB39_503:
	v_bfe_u32 v3, v5, 16, 3
	v_ffbh_u32_e32 v7, v3
	v_min_u32_e32 v7, 32, v7
	v_lshrrev_b32_e32 v4, 19, v5
	v_subrev_u32_e32 v8, 28, v7
	v_and_b32_e32 v4, 15, v4
	v_lshlrev_b32_sdwa v8, v8, v5 dst_sel:DWORD dst_unused:UNUSED_PAD src0_sel:DWORD src1_sel:WORD_1
	v_bfe_u32 v6, v5, 19, 4
	v_sub_u32_e32 v7, 29, v7
	v_and_b32_e32 v8, 7, v8
	v_cmp_eq_u16_e32 vcc, 0, v4
	v_cndmask_b32_e32 v3, v3, v8, vcc
	v_cndmask_b32_e32 v4, v6, v7, vcc
	v_lshlrev_b32_e32 v6, 8, v5
	v_mov_b32_e32 v7, 0x3b800000
	v_lshlrev_b32_e32 v3, 20, v3
	v_and_b32_e32 v6, 0x80000000, v6
	v_lshl_add_u32 v4, v4, 23, v7
	v_or3_b32 v4, v6, v4, v3
.LBB39_504:
	s_or_b64 exec, exec, s[6:7]
	s_nop 0
	v_mfma_f32_16x16x4f32 a[0:3], v2, v4, a[0:3]
	s_movk_i32 s4, 0x7f
	v_cmp_gt_i16_sdwa s[6:7], v9, s4 src0_sel:BYTE_3 src1_sel:DWORD
	s_mov_b64 s[4:5], 0
                                        ; implicit-def: $sgpr10
	s_and_saveexec_b64 s[8:9], s[6:7]
	s_xor_b64 s[6:7], exec, s[8:9]
	s_cbranch_execnz .LBB39_2553
; %bb.505:
	s_or_saveexec_b64 s[6:7], s[6:7]
	v_mov_b32_e32 v2, s10
	s_xor_b64 exec, exec, s[6:7]
	s_cbranch_execnz .LBB39_2556
.LBB39_506:
	s_or_b64 exec, exec, s[6:7]
	s_and_saveexec_b64 s[6:7], s[4:5]
	s_cbranch_execz .LBB39_508
.LBB39_507:
	v_bfe_u32 v2, v9, 24, 3
	v_ffbh_u32_e32 v7, v2
	v_min_u32_e32 v7, 32, v7
	v_lshrrev_b32_e32 v4, 27, v9
	v_subrev_u32_e32 v8, 28, v7
	v_and_b32_e32 v4, 15, v4
	v_lshlrev_b32_sdwa v8, v8, v9 dst_sel:DWORD dst_unused:UNUSED_PAD src0_sel:DWORD src1_sel:BYTE_3
	v_bfe_u32 v6, v9, 27, 4
	v_sub_u32_e32 v7, 29, v7
	v_and_b32_e32 v8, 7, v8
	v_cmp_eq_u16_e32 vcc, 0, v4
	v_cndmask_b32_e32 v2, v2, v8, vcc
	v_cndmask_b32_e32 v4, v6, v7, vcc
	v_mov_b32_e32 v6, 0x3b800000
	v_and_b32_e32 v3, 0x80000000, v9
	v_lshlrev_b32_e32 v2, 20, v2
	v_lshl_add_u32 v4, v4, 23, v6
	v_or3_b32 v2, v3, v4, v2
.LBB39_508:
	s_or_b64 exec, exec, s[6:7]
	s_movk_i32 s4, 0x7f
	v_cmp_gt_i16_sdwa s[6:7], v5, s4 src0_sel:BYTE_3 src1_sel:DWORD
	s_mov_b64 s[4:5], 0
                                        ; implicit-def: $sgpr10
	s_and_saveexec_b64 s[8:9], s[6:7]
	s_xor_b64 s[6:7], exec, s[8:9]
	s_cbranch_execnz .LBB39_2557
; %bb.509:
	s_or_saveexec_b64 s[6:7], s[6:7]
	v_mov_b32_e32 v3, s10
	s_xor_b64 exec, exec, s[6:7]
	s_cbranch_execnz .LBB39_2560
.LBB39_510:
	s_or_b64 exec, exec, s[6:7]
	s_and_saveexec_b64 s[6:7], s[4:5]
	s_cbranch_execz .LBB39_512
.LBB39_511:
	v_bfe_u32 v3, v5, 24, 3
	v_ffbh_u32_e32 v8, v3
	v_min_u32_e32 v8, 32, v8
	v_lshrrev_b32_e32 v6, 27, v5
	v_subrev_u32_e32 v9, 28, v8
	v_and_b32_e32 v4, 0x80000000, v5
	v_and_b32_e32 v6, 15, v6
	v_bfe_u32 v7, v5, 27, 4
	v_lshlrev_b32_sdwa v5, v9, v5 dst_sel:DWORD dst_unused:UNUSED_PAD src0_sel:DWORD src1_sel:BYTE_3
	v_sub_u32_e32 v8, 29, v8
	v_and_b32_e32 v5, 7, v5
	v_cmp_eq_u16_e32 vcc, 0, v6
	v_cndmask_b32_e32 v3, v3, v5, vcc
	v_cndmask_b32_e32 v5, v7, v8, vcc
	v_mov_b32_e32 v6, 0x3b800000
	v_lshlrev_b32_e32 v3, 20, v3
	v_lshl_add_u32 v5, v5, 23, v6
	v_or3_b32 v3, v4, v5, v3
.LBB39_512:
	s_or_b64 exec, exec, s[6:7]
	s_nop 0
	v_mfma_f32_16x16x4f32 a[0:3], v2, v3, a[0:3]
	s_movk_i32 s4, 0x7f
                                        ; implicit-def: $sgpr10
	s_nop 7
	s_nop 1
	flat_store_dwordx4 v[18:19], a[0:3] offset:400
	flat_load_dwordx4 v[20:23], v[0:1] offset:16
	s_nop 0
	flat_load_dwordx2 v[18:19], v[0:1] offset:32
	s_waitcnt vmcnt(0) lgkmcnt(0)
	flat_load_dwordx4 v[14:17], v[20:21] offset:32
	flat_load_dwordx4 v[6:9], v[20:21] offset:48
	;; [unrolled: 1-line block ×4, first 2 shown]
	s_waitcnt vmcnt(0) lgkmcnt(0)
	v_cmp_gt_i16_sdwa s[6:7], v14, s4 src0_sel:BYTE_0 src1_sel:DWORD
	s_mov_b64 s[4:5], 0
	s_and_saveexec_b64 s[8:9], s[6:7]
	s_xor_b64 s[6:7], exec, s[8:9]
	s_cbranch_execnz .LBB39_2561
; %bb.513:
	s_or_saveexec_b64 s[6:7], s[6:7]
	v_mov_b32_e32 v20, s10
	s_xor_b64 exec, exec, s[6:7]
	s_cbranch_execnz .LBB39_2564
.LBB39_514:
	s_or_b64 exec, exec, s[6:7]
	s_and_saveexec_b64 s[6:7], s[4:5]
	s_cbranch_execz .LBB39_516
.LBB39_515:
	v_and_b32_e32 v20, 7, v14
	v_ffbh_u32_e32 v22, v20
	v_min_u32_e32 v22, 32, v22
	v_lshrrev_b16_e32 v21, 3, v14
	v_subrev_u32_e32 v23, 28, v22
	v_and_b32_e32 v21, 15, v21
	v_lshlrev_b32_e32 v23, v23, v14
	v_sub_u32_e32 v22, 29, v22
	v_and_b32_e32 v23, 7, v23
	v_cmp_eq_u16_e32 vcc, 0, v21
	v_cndmask_b32_e32 v20, v20, v23, vcc
	v_cndmask_b32_e32 v21, v21, v22, vcc
	v_lshlrev_b32_e32 v22, 24, v14
	v_mov_b32_e32 v23, 0x3b800000
	v_lshlrev_b32_e32 v20, 20, v20
	v_and_b32_e32 v22, 0x80000000, v22
	v_lshl_add_u32 v21, v21, 23, v23
	v_or3_b32 v20, v22, v21, v20
.LBB39_516:
	s_or_b64 exec, exec, s[6:7]
	s_movk_i32 s4, 0x7f
	v_cmp_gt_i16_sdwa s[6:7], v10, s4 src0_sel:BYTE_0 src1_sel:DWORD
	s_mov_b64 s[4:5], 0
                                        ; implicit-def: $sgpr10
	s_and_saveexec_b64 s[8:9], s[6:7]
	s_xor_b64 s[6:7], exec, s[8:9]
	s_cbranch_execnz .LBB39_2565
; %bb.517:
	s_or_saveexec_b64 s[6:7], s[6:7]
	v_mov_b32_e32 v21, s10
	s_xor_b64 exec, exec, s[6:7]
	s_cbranch_execnz .LBB39_2568
.LBB39_518:
	s_or_b64 exec, exec, s[6:7]
	s_and_saveexec_b64 s[6:7], s[4:5]
	s_cbranch_execz .LBB39_520
.LBB39_519:
	v_and_b32_e32 v21, 7, v10
	v_ffbh_u32_e32 v23, v21
	v_min_u32_e32 v23, 32, v23
	v_lshrrev_b16_e32 v22, 3, v10
	v_subrev_u32_e32 v24, 28, v23
	v_and_b32_e32 v22, 15, v22
	v_lshlrev_b32_e32 v24, v24, v10
	v_sub_u32_e32 v23, 29, v23
	v_and_b32_e32 v24, 7, v24
	v_cmp_eq_u16_e32 vcc, 0, v22
	v_cndmask_b32_e32 v21, v21, v24, vcc
	v_cndmask_b32_e32 v22, v22, v23, vcc
	v_lshlrev_b32_e32 v23, 24, v10
	v_mov_b32_e32 v24, 0x3b800000
	v_lshlrev_b32_e32 v21, 20, v21
	v_and_b32_e32 v23, 0x80000000, v23
	v_lshl_add_u32 v22, v22, 23, v24
	v_or3_b32 v21, v23, v22, v21
.LBB39_520:
	s_or_b64 exec, exec, s[6:7]
	flat_load_dwordx4 a[0:3], v[18:19] offset:416
	s_movk_i32 s4, 0x7f
                                        ; implicit-def: $sgpr10
	s_waitcnt vmcnt(0) lgkmcnt(0)
	v_mfma_f32_16x16x4f32 a[0:3], v20, v21, a[0:3]
	v_lshrrev_b32_e32 v21, 8, v14
	v_cmp_gt_i16_sdwa s[6:7], v21, s4 src0_sel:BYTE_0 src1_sel:DWORD
	s_mov_b64 s[4:5], 0
	s_and_saveexec_b64 s[8:9], s[6:7]
	s_xor_b64 s[6:7], exec, s[8:9]
	s_cbranch_execnz .LBB39_2569
; %bb.521:
	s_or_saveexec_b64 s[6:7], s[6:7]
	v_mov_b32_e32 v20, s10
	s_xor_b64 exec, exec, s[6:7]
	s_cbranch_execnz .LBB39_2572
.LBB39_522:
	s_or_b64 exec, exec, s[6:7]
	s_and_saveexec_b64 s[6:7], s[4:5]
	s_cbranch_execz .LBB39_524
.LBB39_523:
	v_bfe_u32 v20, v14, 8, 3
	v_ffbh_u32_e32 v23, v20
	v_min_u32_e32 v23, 32, v23
	v_lshrrev_b16_e32 v22, 3, v21
	v_subrev_u32_e32 v24, 28, v23
	v_and_b32_e32 v22, 15, v22
	v_lshlrev_b32_e32 v21, v24, v21
	v_sub_u32_e32 v23, 29, v23
	v_and_b32_e32 v21, 7, v21
	v_cmp_eq_u16_e32 vcc, 0, v22
	v_cndmask_b32_e32 v20, v20, v21, vcc
	v_cndmask_b32_e32 v21, v22, v23, vcc
	v_lshlrev_b32_e32 v22, 16, v14
	v_mov_b32_e32 v23, 0x3b800000
	v_lshlrev_b32_e32 v20, 20, v20
	v_and_b32_e32 v22, 0x80000000, v22
	v_lshl_add_u32 v21, v21, 23, v23
	v_or3_b32 v20, v22, v21, v20
.LBB39_524:
	s_or_b64 exec, exec, s[6:7]
	v_lshrrev_b32_e32 v21, 8, v10
	s_movk_i32 s4, 0x7f
	v_cmp_gt_i16_sdwa s[6:7], v21, s4 src0_sel:BYTE_0 src1_sel:DWORD
	s_mov_b64 s[4:5], 0
                                        ; implicit-def: $sgpr10
	s_and_saveexec_b64 s[8:9], s[6:7]
	s_xor_b64 s[6:7], exec, s[8:9]
	s_cbranch_execnz .LBB39_2573
; %bb.525:
	s_or_saveexec_b64 s[6:7], s[6:7]
	v_mov_b32_e32 v22, s10
	s_xor_b64 exec, exec, s[6:7]
	s_cbranch_execnz .LBB39_2576
.LBB39_526:
	s_or_b64 exec, exec, s[6:7]
	s_and_saveexec_b64 s[6:7], s[4:5]
	s_cbranch_execz .LBB39_528
.LBB39_527:
	v_bfe_u32 v22, v10, 8, 3
	v_ffbh_u32_e32 v24, v22
	v_min_u32_e32 v24, 32, v24
	v_lshrrev_b16_e32 v23, 3, v21
	v_subrev_u32_e32 v25, 28, v24
	v_and_b32_e32 v23, 15, v23
	v_lshlrev_b32_e32 v21, v25, v21
	v_sub_u32_e32 v24, 29, v24
	v_and_b32_e32 v21, 7, v21
	v_cmp_eq_u16_e32 vcc, 0, v23
	v_cndmask_b32_e32 v21, v22, v21, vcc
	v_cndmask_b32_e32 v22, v23, v24, vcc
	v_lshlrev_b32_e32 v23, 16, v10
	v_mov_b32_e32 v24, 0x3b800000
	v_lshlrev_b32_e32 v21, 20, v21
	v_and_b32_e32 v23, 0x80000000, v23
	v_lshl_add_u32 v22, v22, 23, v24
	v_or3_b32 v22, v23, v22, v21
.LBB39_528:
	s_or_b64 exec, exec, s[6:7]
	s_nop 0
	v_mfma_f32_16x16x4f32 a[0:3], v20, v22, a[0:3]
	s_movk_i32 s4, 0xff
	v_and_b32_sdwa v21, v14, s4 dst_sel:DWORD dst_unused:UNUSED_PAD src0_sel:WORD_1 src1_sel:DWORD
	s_movk_i32 s4, 0x7f
	v_cmp_lt_i16_e32 vcc, s4, v21
	s_mov_b64 s[4:5], 0
                                        ; implicit-def: $sgpr10
	s_and_saveexec_b64 s[6:7], vcc
	s_xor_b64 s[6:7], exec, s[6:7]
	s_cbranch_execnz .LBB39_2577
; %bb.529:
	s_or_saveexec_b64 s[6:7], s[6:7]
	v_mov_b32_e32 v20, s10
	s_xor_b64 exec, exec, s[6:7]
	s_cbranch_execnz .LBB39_2580
.LBB39_530:
	s_or_b64 exec, exec, s[6:7]
	s_and_saveexec_b64 s[6:7], s[4:5]
	s_cbranch_execz .LBB39_532
.LBB39_531:
	v_bfe_u32 v20, v14, 16, 3
	v_ffbh_u32_e32 v23, v20
	v_min_u32_e32 v23, 32, v23
	v_lshrrev_b32_e32 v21, 19, v14
	v_subrev_u32_e32 v24, 28, v23
	v_and_b32_e32 v21, 15, v21
	v_lshlrev_b32_sdwa v24, v24, v14 dst_sel:DWORD dst_unused:UNUSED_PAD src0_sel:DWORD src1_sel:WORD_1
	v_bfe_u32 v22, v14, 19, 4
	v_sub_u32_e32 v23, 29, v23
	v_and_b32_e32 v24, 7, v24
	v_cmp_eq_u16_e32 vcc, 0, v21
	v_cndmask_b32_e32 v20, v20, v24, vcc
	v_cndmask_b32_e32 v21, v22, v23, vcc
	v_lshlrev_b32_e32 v22, 8, v14
	v_mov_b32_e32 v23, 0x3b800000
	v_lshlrev_b32_e32 v20, 20, v20
	v_and_b32_e32 v22, 0x80000000, v22
	v_lshl_add_u32 v21, v21, 23, v23
	v_or3_b32 v20, v22, v21, v20
.LBB39_532:
	s_or_b64 exec, exec, s[6:7]
	s_movk_i32 s4, 0xff
	v_and_b32_sdwa v21, v10, s4 dst_sel:DWORD dst_unused:UNUSED_PAD src0_sel:WORD_1 src1_sel:DWORD
	s_movk_i32 s4, 0x7f
	v_cmp_lt_i16_e32 vcc, s4, v21
	s_mov_b64 s[4:5], 0
                                        ; implicit-def: $sgpr10
	s_and_saveexec_b64 s[6:7], vcc
	s_xor_b64 s[6:7], exec, s[6:7]
	s_cbranch_execnz .LBB39_2581
; %bb.533:
	s_or_saveexec_b64 s[6:7], s[6:7]
	v_mov_b32_e32 v22, s10
	s_xor_b64 exec, exec, s[6:7]
	s_cbranch_execnz .LBB39_2584
.LBB39_534:
	s_or_b64 exec, exec, s[6:7]
	s_and_saveexec_b64 s[6:7], s[4:5]
	s_cbranch_execz .LBB39_536
.LBB39_535:
	v_bfe_u32 v21, v10, 16, 3
	v_ffbh_u32_e32 v24, v21
	v_min_u32_e32 v24, 32, v24
	v_lshrrev_b32_e32 v22, 19, v10
	v_subrev_u32_e32 v25, 28, v24
	v_and_b32_e32 v22, 15, v22
	v_lshlrev_b32_sdwa v25, v25, v10 dst_sel:DWORD dst_unused:UNUSED_PAD src0_sel:DWORD src1_sel:WORD_1
	v_bfe_u32 v23, v10, 19, 4
	v_sub_u32_e32 v24, 29, v24
	v_and_b32_e32 v25, 7, v25
	v_cmp_eq_u16_e32 vcc, 0, v22
	v_cndmask_b32_e32 v21, v21, v25, vcc
	v_cndmask_b32_e32 v22, v23, v24, vcc
	v_lshlrev_b32_e32 v23, 8, v10
	v_mov_b32_e32 v24, 0x3b800000
	v_lshlrev_b32_e32 v21, 20, v21
	v_and_b32_e32 v23, 0x80000000, v23
	v_lshl_add_u32 v22, v22, 23, v24
	v_or3_b32 v22, v23, v22, v21
.LBB39_536:
	s_or_b64 exec, exec, s[6:7]
	s_nop 0
	v_mfma_f32_16x16x4f32 a[0:3], v20, v22, a[0:3]
	s_movk_i32 s4, 0x7f
	v_cmp_gt_i16_sdwa s[6:7], v14, s4 src0_sel:BYTE_3 src1_sel:DWORD
	s_mov_b64 s[4:5], 0
                                        ; implicit-def: $sgpr10
	s_and_saveexec_b64 s[8:9], s[6:7]
	s_xor_b64 s[6:7], exec, s[8:9]
	s_cbranch_execnz .LBB39_2585
; %bb.537:
	s_or_saveexec_b64 s[6:7], s[6:7]
	v_mov_b32_e32 v20, s10
	s_xor_b64 exec, exec, s[6:7]
	s_cbranch_execnz .LBB39_2588
.LBB39_538:
	s_or_b64 exec, exec, s[6:7]
	s_and_saveexec_b64 s[6:7], s[4:5]
	s_cbranch_execz .LBB39_540
.LBB39_539:
	v_bfe_u32 v20, v14, 24, 3
	v_ffbh_u32_e32 v24, v20
	v_min_u32_e32 v24, 32, v24
	v_lshrrev_b32_e32 v22, 27, v14
	v_subrev_u32_e32 v25, 28, v24
	v_and_b32_e32 v21, 0x80000000, v14
	v_and_b32_e32 v22, 15, v22
	v_bfe_u32 v23, v14, 27, 4
	v_lshlrev_b32_sdwa v14, v25, v14 dst_sel:DWORD dst_unused:UNUSED_PAD src0_sel:DWORD src1_sel:BYTE_3
	v_sub_u32_e32 v24, 29, v24
	v_and_b32_e32 v14, 7, v14
	v_cmp_eq_u16_e32 vcc, 0, v22
	v_cndmask_b32_e32 v14, v20, v14, vcc
	v_cndmask_b32_e32 v20, v23, v24, vcc
	v_mov_b32_e32 v22, 0x3b800000
	v_lshlrev_b32_e32 v14, 20, v14
	v_lshl_add_u32 v20, v20, 23, v22
	v_or3_b32 v20, v21, v20, v14
.LBB39_540:
	s_or_b64 exec, exec, s[6:7]
	s_movk_i32 s4, 0x7f
	v_cmp_gt_i16_sdwa s[6:7], v10, s4 src0_sel:BYTE_3 src1_sel:DWORD
	s_mov_b64 s[4:5], 0
                                        ; implicit-def: $sgpr10
	s_and_saveexec_b64 s[8:9], s[6:7]
	s_xor_b64 s[6:7], exec, s[8:9]
	s_cbranch_execnz .LBB39_2589
; %bb.541:
	s_or_saveexec_b64 s[6:7], s[6:7]
	v_mov_b32_e32 v14, s10
	s_xor_b64 exec, exec, s[6:7]
	s_cbranch_execnz .LBB39_2592
.LBB39_542:
	s_or_b64 exec, exec, s[6:7]
	s_and_saveexec_b64 s[6:7], s[4:5]
	s_cbranch_execz .LBB39_544
.LBB39_543:
	v_bfe_u32 v14, v10, 24, 3
	v_ffbh_u32_e32 v24, v14
	v_min_u32_e32 v24, 32, v24
	v_lshrrev_b32_e32 v22, 27, v10
	v_subrev_u32_e32 v25, 28, v24
	v_and_b32_e32 v21, 0x80000000, v10
	v_and_b32_e32 v22, 15, v22
	v_bfe_u32 v23, v10, 27, 4
	v_lshlrev_b32_sdwa v10, v25, v10 dst_sel:DWORD dst_unused:UNUSED_PAD src0_sel:DWORD src1_sel:BYTE_3
	v_sub_u32_e32 v24, 29, v24
	v_and_b32_e32 v10, 7, v10
	v_cmp_eq_u16_e32 vcc, 0, v22
	v_cndmask_b32_e32 v10, v14, v10, vcc
	v_cndmask_b32_e32 v14, v23, v24, vcc
	v_mov_b32_e32 v22, 0x3b800000
	v_lshlrev_b32_e32 v10, 20, v10
	v_lshl_add_u32 v14, v14, 23, v22
	v_or3_b32 v14, v21, v14, v10
.LBB39_544:
	s_or_b64 exec, exec, s[6:7]
	s_nop 0
	v_mfma_f32_16x16x4f32 a[0:3], v20, v14, a[0:3]
	s_movk_i32 s4, 0x7f
	v_cmp_gt_i16_sdwa s[6:7], v15, s4 src0_sel:BYTE_0 src1_sel:DWORD
	s_mov_b64 s[4:5], 0
                                        ; implicit-def: $sgpr10
	s_and_saveexec_b64 s[8:9], s[6:7]
	s_xor_b64 s[6:7], exec, s[8:9]
	s_cbranch_execnz .LBB39_2593
; %bb.545:
	s_or_saveexec_b64 s[6:7], s[6:7]
	v_mov_b32_e32 v10, s10
	s_xor_b64 exec, exec, s[6:7]
	s_cbranch_execnz .LBB39_2596
.LBB39_546:
	s_or_b64 exec, exec, s[6:7]
	s_and_saveexec_b64 s[6:7], s[4:5]
	s_cbranch_execz .LBB39_548
.LBB39_547:
	v_and_b32_e32 v10, 7, v15
	v_ffbh_u32_e32 v20, v10
	v_min_u32_e32 v20, 32, v20
	v_lshrrev_b16_e32 v14, 3, v15
	v_subrev_u32_e32 v21, 28, v20
	v_and_b32_e32 v14, 15, v14
	v_lshlrev_b32_e32 v21, v21, v15
	v_sub_u32_e32 v20, 29, v20
	v_and_b32_e32 v21, 7, v21
	v_cmp_eq_u16_e32 vcc, 0, v14
	v_cndmask_b32_e32 v10, v10, v21, vcc
	v_cndmask_b32_e32 v14, v14, v20, vcc
	v_lshlrev_b32_e32 v20, 24, v15
	v_mov_b32_e32 v21, 0x3b800000
	v_lshlrev_b32_e32 v10, 20, v10
	v_and_b32_e32 v20, 0x80000000, v20
	v_lshl_add_u32 v14, v14, 23, v21
	v_or3_b32 v10, v20, v14, v10
.LBB39_548:
	s_or_b64 exec, exec, s[6:7]
	s_movk_i32 s4, 0x7f
	v_cmp_gt_i16_sdwa s[6:7], v11, s4 src0_sel:BYTE_0 src1_sel:DWORD
	s_mov_b64 s[4:5], 0
                                        ; implicit-def: $sgpr10
	s_and_saveexec_b64 s[8:9], s[6:7]
	s_xor_b64 s[6:7], exec, s[8:9]
	s_cbranch_execnz .LBB39_2597
; %bb.549:
	s_or_saveexec_b64 s[6:7], s[6:7]
	v_mov_b32_e32 v14, s10
	s_xor_b64 exec, exec, s[6:7]
	s_cbranch_execnz .LBB39_2600
.LBB39_550:
	s_or_b64 exec, exec, s[6:7]
	s_and_saveexec_b64 s[6:7], s[4:5]
	s_cbranch_execz .LBB39_552
.LBB39_551:
	v_and_b32_e32 v14, 7, v11
	v_ffbh_u32_e32 v21, v14
	v_min_u32_e32 v21, 32, v21
	v_lshrrev_b16_e32 v20, 3, v11
	v_subrev_u32_e32 v22, 28, v21
	v_and_b32_e32 v20, 15, v20
	v_lshlrev_b32_e32 v22, v22, v11
	v_sub_u32_e32 v21, 29, v21
	v_and_b32_e32 v22, 7, v22
	v_cmp_eq_u16_e32 vcc, 0, v20
	v_cndmask_b32_e32 v14, v14, v22, vcc
	v_cndmask_b32_e32 v20, v20, v21, vcc
	v_lshlrev_b32_e32 v21, 24, v11
	v_mov_b32_e32 v22, 0x3b800000
	v_lshlrev_b32_e32 v14, 20, v14
	v_and_b32_e32 v21, 0x80000000, v21
	v_lshl_add_u32 v20, v20, 23, v22
	v_or3_b32 v14, v21, v20, v14
.LBB39_552:
	s_or_b64 exec, exec, s[6:7]
	s_nop 0
	v_mfma_f32_16x16x4f32 a[0:3], v10, v14, a[0:3]
	v_lshrrev_b32_e32 v14, 8, v15
	s_movk_i32 s4, 0x7f
	v_cmp_gt_i16_sdwa s[6:7], v14, s4 src0_sel:BYTE_0 src1_sel:DWORD
	s_mov_b64 s[4:5], 0
                                        ; implicit-def: $sgpr10
	s_and_saveexec_b64 s[8:9], s[6:7]
	s_xor_b64 s[6:7], exec, s[8:9]
	s_cbranch_execnz .LBB39_2601
; %bb.553:
	s_or_saveexec_b64 s[6:7], s[6:7]
	v_mov_b32_e32 v10, s10
	s_xor_b64 exec, exec, s[6:7]
	s_cbranch_execnz .LBB39_2604
.LBB39_554:
	s_or_b64 exec, exec, s[6:7]
	s_and_saveexec_b64 s[6:7], s[4:5]
	s_cbranch_execz .LBB39_556
.LBB39_555:
	v_bfe_u32 v10, v15, 8, 3
	v_ffbh_u32_e32 v21, v10
	v_min_u32_e32 v21, 32, v21
	v_lshrrev_b16_e32 v20, 3, v14
	v_subrev_u32_e32 v22, 28, v21
	v_and_b32_e32 v20, 15, v20
	v_lshlrev_b32_e32 v14, v22, v14
	v_sub_u32_e32 v21, 29, v21
	v_and_b32_e32 v14, 7, v14
	v_cmp_eq_u16_e32 vcc, 0, v20
	v_cndmask_b32_e32 v10, v10, v14, vcc
	v_cndmask_b32_e32 v14, v20, v21, vcc
	v_lshlrev_b32_e32 v20, 16, v15
	v_mov_b32_e32 v21, 0x3b800000
	v_lshlrev_b32_e32 v10, 20, v10
	v_and_b32_e32 v20, 0x80000000, v20
	v_lshl_add_u32 v14, v14, 23, v21
	v_or3_b32 v10, v20, v14, v10
.LBB39_556:
	s_or_b64 exec, exec, s[6:7]
	v_lshrrev_b32_e32 v14, 8, v11
	s_movk_i32 s4, 0x7f
	v_cmp_gt_i16_sdwa s[6:7], v14, s4 src0_sel:BYTE_0 src1_sel:DWORD
	s_mov_b64 s[4:5], 0
                                        ; implicit-def: $sgpr10
	s_and_saveexec_b64 s[8:9], s[6:7]
	s_xor_b64 s[6:7], exec, s[8:9]
	s_cbranch_execnz .LBB39_2605
; %bb.557:
	s_or_saveexec_b64 s[6:7], s[6:7]
	v_mov_b32_e32 v20, s10
	s_xor_b64 exec, exec, s[6:7]
	s_cbranch_execnz .LBB39_2608
.LBB39_558:
	s_or_b64 exec, exec, s[6:7]
	s_and_saveexec_b64 s[6:7], s[4:5]
	s_cbranch_execz .LBB39_560
.LBB39_559:
	v_bfe_u32 v20, v11, 8, 3
	v_ffbh_u32_e32 v22, v20
	v_min_u32_e32 v22, 32, v22
	v_lshrrev_b16_e32 v21, 3, v14
	v_subrev_u32_e32 v23, 28, v22
	v_and_b32_e32 v21, 15, v21
	v_lshlrev_b32_e32 v14, v23, v14
	v_sub_u32_e32 v22, 29, v22
	v_and_b32_e32 v14, 7, v14
	v_cmp_eq_u16_e32 vcc, 0, v21
	v_cndmask_b32_e32 v14, v20, v14, vcc
	v_cndmask_b32_e32 v20, v21, v22, vcc
	v_lshlrev_b32_e32 v21, 16, v11
	v_mov_b32_e32 v22, 0x3b800000
	v_lshlrev_b32_e32 v14, 20, v14
	v_and_b32_e32 v21, 0x80000000, v21
	v_lshl_add_u32 v20, v20, 23, v22
	v_or3_b32 v20, v21, v20, v14
.LBB39_560:
	s_or_b64 exec, exec, s[6:7]
	s_nop 0
	v_mfma_f32_16x16x4f32 a[0:3], v10, v20, a[0:3]
	s_movk_i32 s4, 0xff
	v_and_b32_sdwa v14, v15, s4 dst_sel:DWORD dst_unused:UNUSED_PAD src0_sel:WORD_1 src1_sel:DWORD
	s_movk_i32 s4, 0x7f
	v_cmp_lt_i16_e32 vcc, s4, v14
	s_mov_b64 s[4:5], 0
                                        ; implicit-def: $sgpr10
	s_and_saveexec_b64 s[6:7], vcc
	s_xor_b64 s[6:7], exec, s[6:7]
	s_cbranch_execnz .LBB39_2609
; %bb.561:
	s_or_saveexec_b64 s[6:7], s[6:7]
	v_mov_b32_e32 v10, s10
	s_xor_b64 exec, exec, s[6:7]
	s_cbranch_execnz .LBB39_2612
.LBB39_562:
	s_or_b64 exec, exec, s[6:7]
	s_and_saveexec_b64 s[6:7], s[4:5]
	s_cbranch_execz .LBB39_564
.LBB39_563:
	v_bfe_u32 v10, v15, 16, 3
	v_ffbh_u32_e32 v21, v10
	v_min_u32_e32 v21, 32, v21
	v_lshrrev_b32_e32 v14, 19, v15
	v_subrev_u32_e32 v22, 28, v21
	v_and_b32_e32 v14, 15, v14
	v_lshlrev_b32_sdwa v22, v22, v15 dst_sel:DWORD dst_unused:UNUSED_PAD src0_sel:DWORD src1_sel:WORD_1
	v_bfe_u32 v20, v15, 19, 4
	v_sub_u32_e32 v21, 29, v21
	v_and_b32_e32 v22, 7, v22
	v_cmp_eq_u16_e32 vcc, 0, v14
	v_cndmask_b32_e32 v10, v10, v22, vcc
	v_cndmask_b32_e32 v14, v20, v21, vcc
	v_lshlrev_b32_e32 v20, 8, v15
	v_mov_b32_e32 v21, 0x3b800000
	v_lshlrev_b32_e32 v10, 20, v10
	v_and_b32_e32 v20, 0x80000000, v20
	v_lshl_add_u32 v14, v14, 23, v21
	v_or3_b32 v10, v20, v14, v10
.LBB39_564:
	s_or_b64 exec, exec, s[6:7]
	s_movk_i32 s4, 0xff
	v_and_b32_sdwa v14, v11, s4 dst_sel:DWORD dst_unused:UNUSED_PAD src0_sel:WORD_1 src1_sel:DWORD
	s_movk_i32 s4, 0x7f
	v_cmp_lt_i16_e32 vcc, s4, v14
	s_mov_b64 s[4:5], 0
                                        ; implicit-def: $sgpr10
	s_and_saveexec_b64 s[6:7], vcc
	s_xor_b64 s[6:7], exec, s[6:7]
	s_cbranch_execnz .LBB39_2613
; %bb.565:
	s_or_saveexec_b64 s[6:7], s[6:7]
	v_mov_b32_e32 v20, s10
	s_xor_b64 exec, exec, s[6:7]
	s_cbranch_execnz .LBB39_2616
.LBB39_566:
	s_or_b64 exec, exec, s[6:7]
	s_and_saveexec_b64 s[6:7], s[4:5]
	s_cbranch_execz .LBB39_568
.LBB39_567:
	v_bfe_u32 v14, v11, 16, 3
	v_ffbh_u32_e32 v22, v14
	v_min_u32_e32 v22, 32, v22
	v_lshrrev_b32_e32 v20, 19, v11
	v_subrev_u32_e32 v23, 28, v22
	v_and_b32_e32 v20, 15, v20
	v_lshlrev_b32_sdwa v23, v23, v11 dst_sel:DWORD dst_unused:UNUSED_PAD src0_sel:DWORD src1_sel:WORD_1
	v_bfe_u32 v21, v11, 19, 4
	v_sub_u32_e32 v22, 29, v22
	v_and_b32_e32 v23, 7, v23
	v_cmp_eq_u16_e32 vcc, 0, v20
	v_cndmask_b32_e32 v14, v14, v23, vcc
	v_cndmask_b32_e32 v20, v21, v22, vcc
	v_lshlrev_b32_e32 v21, 8, v11
	v_mov_b32_e32 v22, 0x3b800000
	v_lshlrev_b32_e32 v14, 20, v14
	v_and_b32_e32 v21, 0x80000000, v21
	v_lshl_add_u32 v20, v20, 23, v22
	v_or3_b32 v20, v21, v20, v14
.LBB39_568:
	s_or_b64 exec, exec, s[6:7]
	s_nop 0
	v_mfma_f32_16x16x4f32 a[0:3], v10, v20, a[0:3]
	s_movk_i32 s4, 0x7f
	v_cmp_gt_i16_sdwa s[6:7], v15, s4 src0_sel:BYTE_3 src1_sel:DWORD
	s_mov_b64 s[4:5], 0
                                        ; implicit-def: $sgpr10
	s_and_saveexec_b64 s[8:9], s[6:7]
	s_xor_b64 s[6:7], exec, s[8:9]
	s_cbranch_execnz .LBB39_2617
; %bb.569:
	s_or_saveexec_b64 s[6:7], s[6:7]
	v_mov_b32_e32 v10, s10
	s_xor_b64 exec, exec, s[6:7]
	s_cbranch_execnz .LBB39_2620
.LBB39_570:
	s_or_b64 exec, exec, s[6:7]
	s_and_saveexec_b64 s[6:7], s[4:5]
	s_cbranch_execz .LBB39_572
.LBB39_571:
	v_bfe_u32 v10, v15, 24, 3
	v_ffbh_u32_e32 v22, v10
	v_min_u32_e32 v22, 32, v22
	v_lshrrev_b32_e32 v20, 27, v15
	v_subrev_u32_e32 v23, 28, v22
	v_and_b32_e32 v14, 0x80000000, v15
	v_and_b32_e32 v20, 15, v20
	v_bfe_u32 v21, v15, 27, 4
	v_lshlrev_b32_sdwa v15, v23, v15 dst_sel:DWORD dst_unused:UNUSED_PAD src0_sel:DWORD src1_sel:BYTE_3
	v_sub_u32_e32 v22, 29, v22
	v_and_b32_e32 v15, 7, v15
	v_cmp_eq_u16_e32 vcc, 0, v20
	v_cndmask_b32_e32 v10, v10, v15, vcc
	v_cndmask_b32_e32 v15, v21, v22, vcc
	v_mov_b32_e32 v20, 0x3b800000
	v_lshlrev_b32_e32 v10, 20, v10
	v_lshl_add_u32 v15, v15, 23, v20
	v_or3_b32 v10, v14, v15, v10
.LBB39_572:
	s_or_b64 exec, exec, s[6:7]
	s_movk_i32 s4, 0x7f
	v_cmp_gt_i16_sdwa s[6:7], v11, s4 src0_sel:BYTE_3 src1_sel:DWORD
	s_mov_b64 s[4:5], 0
                                        ; implicit-def: $sgpr10
	s_and_saveexec_b64 s[8:9], s[6:7]
	s_xor_b64 s[6:7], exec, s[8:9]
	s_cbranch_execnz .LBB39_2621
; %bb.573:
	s_or_saveexec_b64 s[6:7], s[6:7]
	v_mov_b32_e32 v14, s10
	s_xor_b64 exec, exec, s[6:7]
	s_cbranch_execnz .LBB39_2624
.LBB39_574:
	s_or_b64 exec, exec, s[6:7]
	s_and_saveexec_b64 s[6:7], s[4:5]
	s_cbranch_execz .LBB39_576
.LBB39_575:
	v_bfe_u32 v14, v11, 24, 3
	v_ffbh_u32_e32 v22, v14
	v_min_u32_e32 v22, 32, v22
	v_lshrrev_b32_e32 v20, 27, v11
	v_subrev_u32_e32 v23, 28, v22
	v_and_b32_e32 v15, 0x80000000, v11
	v_and_b32_e32 v20, 15, v20
	v_bfe_u32 v21, v11, 27, 4
	v_lshlrev_b32_sdwa v11, v23, v11 dst_sel:DWORD dst_unused:UNUSED_PAD src0_sel:DWORD src1_sel:BYTE_3
	v_sub_u32_e32 v22, 29, v22
	v_and_b32_e32 v11, 7, v11
	v_cmp_eq_u16_e32 vcc, 0, v20
	v_cndmask_b32_e32 v11, v14, v11, vcc
	v_cndmask_b32_e32 v14, v21, v22, vcc
	v_mov_b32_e32 v20, 0x3b800000
	v_lshlrev_b32_e32 v11, 20, v11
	v_lshl_add_u32 v14, v14, 23, v20
	v_or3_b32 v14, v15, v14, v11
.LBB39_576:
	s_or_b64 exec, exec, s[6:7]
	s_nop 0
	v_mfma_f32_16x16x4f32 a[0:3], v10, v14, a[0:3]
	s_movk_i32 s4, 0x7f
	v_cmp_gt_i16_sdwa s[6:7], v16, s4 src0_sel:BYTE_0 src1_sel:DWORD
	s_mov_b64 s[4:5], 0
                                        ; implicit-def: $sgpr10
	s_and_saveexec_b64 s[8:9], s[6:7]
	s_xor_b64 s[6:7], exec, s[8:9]
	s_cbranch_execnz .LBB39_2625
; %bb.577:
	s_or_saveexec_b64 s[6:7], s[6:7]
	v_mov_b32_e32 v10, s10
	s_xor_b64 exec, exec, s[6:7]
	s_cbranch_execnz .LBB39_2628
.LBB39_578:
	s_or_b64 exec, exec, s[6:7]
	s_and_saveexec_b64 s[6:7], s[4:5]
	s_cbranch_execz .LBB39_580
.LBB39_579:
	v_and_b32_e32 v10, 7, v16
	v_ffbh_u32_e32 v14, v10
	v_min_u32_e32 v14, 32, v14
	v_lshrrev_b16_e32 v11, 3, v16
	v_subrev_u32_e32 v15, 28, v14
	v_and_b32_e32 v11, 15, v11
	v_lshlrev_b32_e32 v15, v15, v16
	v_sub_u32_e32 v14, 29, v14
	v_and_b32_e32 v15, 7, v15
	v_cmp_eq_u16_e32 vcc, 0, v11
	v_cndmask_b32_e32 v10, v10, v15, vcc
	v_cndmask_b32_e32 v11, v11, v14, vcc
	v_lshlrev_b32_e32 v14, 24, v16
	v_mov_b32_e32 v15, 0x3b800000
	v_lshlrev_b32_e32 v10, 20, v10
	v_and_b32_e32 v14, 0x80000000, v14
	v_lshl_add_u32 v11, v11, 23, v15
	v_or3_b32 v10, v14, v11, v10
.LBB39_580:
	s_or_b64 exec, exec, s[6:7]
	s_movk_i32 s4, 0x7f
	v_cmp_gt_i16_sdwa s[6:7], v12, s4 src0_sel:BYTE_0 src1_sel:DWORD
	s_mov_b64 s[4:5], 0
                                        ; implicit-def: $sgpr10
	s_and_saveexec_b64 s[8:9], s[6:7]
	s_xor_b64 s[6:7], exec, s[8:9]
	s_cbranch_execnz .LBB39_2629
; %bb.581:
	s_or_saveexec_b64 s[6:7], s[6:7]
	v_mov_b32_e32 v11, s10
	s_xor_b64 exec, exec, s[6:7]
	s_cbranch_execnz .LBB39_2632
.LBB39_582:
	s_or_b64 exec, exec, s[6:7]
	s_and_saveexec_b64 s[6:7], s[4:5]
	s_cbranch_execz .LBB39_584
.LBB39_583:
	v_and_b32_e32 v11, 7, v12
	v_ffbh_u32_e32 v15, v11
	v_min_u32_e32 v15, 32, v15
	v_lshrrev_b16_e32 v14, 3, v12
	v_subrev_u32_e32 v20, 28, v15
	v_and_b32_e32 v14, 15, v14
	v_lshlrev_b32_e32 v20, v20, v12
	v_sub_u32_e32 v15, 29, v15
	v_and_b32_e32 v20, 7, v20
	v_cmp_eq_u16_e32 vcc, 0, v14
	v_cndmask_b32_e32 v11, v11, v20, vcc
	v_cndmask_b32_e32 v14, v14, v15, vcc
	v_lshlrev_b32_e32 v15, 24, v12
	v_mov_b32_e32 v20, 0x3b800000
	v_lshlrev_b32_e32 v11, 20, v11
	v_and_b32_e32 v15, 0x80000000, v15
	v_lshl_add_u32 v14, v14, 23, v20
	v_or3_b32 v11, v15, v14, v11
.LBB39_584:
	s_or_b64 exec, exec, s[6:7]
	s_nop 0
	v_mfma_f32_16x16x4f32 a[0:3], v10, v11, a[0:3]
	v_lshrrev_b32_e32 v11, 8, v16
	s_movk_i32 s4, 0x7f
	v_cmp_gt_i16_sdwa s[6:7], v11, s4 src0_sel:BYTE_0 src1_sel:DWORD
	s_mov_b64 s[4:5], 0
                                        ; implicit-def: $sgpr10
	s_and_saveexec_b64 s[8:9], s[6:7]
	s_xor_b64 s[6:7], exec, s[8:9]
	s_cbranch_execnz .LBB39_2633
; %bb.585:
	s_or_saveexec_b64 s[6:7], s[6:7]
	v_mov_b32_e32 v10, s10
	s_xor_b64 exec, exec, s[6:7]
	s_cbranch_execnz .LBB39_2636
.LBB39_586:
	s_or_b64 exec, exec, s[6:7]
	s_and_saveexec_b64 s[6:7], s[4:5]
	s_cbranch_execz .LBB39_588
.LBB39_587:
	v_bfe_u32 v10, v16, 8, 3
	v_ffbh_u32_e32 v15, v10
	v_min_u32_e32 v15, 32, v15
	v_lshrrev_b16_e32 v14, 3, v11
	v_subrev_u32_e32 v20, 28, v15
	v_and_b32_e32 v14, 15, v14
	v_lshlrev_b32_e32 v11, v20, v11
	v_sub_u32_e32 v15, 29, v15
	v_and_b32_e32 v11, 7, v11
	v_cmp_eq_u16_e32 vcc, 0, v14
	v_cndmask_b32_e32 v10, v10, v11, vcc
	v_cndmask_b32_e32 v11, v14, v15, vcc
	v_lshlrev_b32_e32 v14, 16, v16
	v_mov_b32_e32 v15, 0x3b800000
	v_lshlrev_b32_e32 v10, 20, v10
	v_and_b32_e32 v14, 0x80000000, v14
	v_lshl_add_u32 v11, v11, 23, v15
	v_or3_b32 v10, v14, v11, v10
.LBB39_588:
	s_or_b64 exec, exec, s[6:7]
	v_lshrrev_b32_e32 v11, 8, v12
	s_movk_i32 s4, 0x7f
	v_cmp_gt_i16_sdwa s[6:7], v11, s4 src0_sel:BYTE_0 src1_sel:DWORD
	s_mov_b64 s[4:5], 0
                                        ; implicit-def: $sgpr10
	s_and_saveexec_b64 s[8:9], s[6:7]
	s_xor_b64 s[6:7], exec, s[8:9]
	s_cbranch_execnz .LBB39_2637
; %bb.589:
	s_or_saveexec_b64 s[6:7], s[6:7]
	v_mov_b32_e32 v14, s10
	s_xor_b64 exec, exec, s[6:7]
	s_cbranch_execnz .LBB39_2640
.LBB39_590:
	s_or_b64 exec, exec, s[6:7]
	s_and_saveexec_b64 s[6:7], s[4:5]
	s_cbranch_execz .LBB39_592
.LBB39_591:
	v_bfe_u32 v14, v12, 8, 3
	v_ffbh_u32_e32 v20, v14
	v_min_u32_e32 v20, 32, v20
	v_lshrrev_b16_e32 v15, 3, v11
	v_subrev_u32_e32 v21, 28, v20
	v_and_b32_e32 v15, 15, v15
	v_lshlrev_b32_e32 v11, v21, v11
	v_sub_u32_e32 v20, 29, v20
	v_and_b32_e32 v11, 7, v11
	v_cmp_eq_u16_e32 vcc, 0, v15
	v_cndmask_b32_e32 v11, v14, v11, vcc
	v_cndmask_b32_e32 v14, v15, v20, vcc
	v_lshlrev_b32_e32 v15, 16, v12
	v_mov_b32_e32 v20, 0x3b800000
	v_lshlrev_b32_e32 v11, 20, v11
	v_and_b32_e32 v15, 0x80000000, v15
	v_lshl_add_u32 v14, v14, 23, v20
	v_or3_b32 v14, v15, v14, v11
.LBB39_592:
	s_or_b64 exec, exec, s[6:7]
	s_nop 0
	v_mfma_f32_16x16x4f32 a[0:3], v10, v14, a[0:3]
	s_movk_i32 s4, 0xff
	v_and_b32_sdwa v11, v16, s4 dst_sel:DWORD dst_unused:UNUSED_PAD src0_sel:WORD_1 src1_sel:DWORD
	s_movk_i32 s4, 0x7f
	v_cmp_lt_i16_e32 vcc, s4, v11
	s_mov_b64 s[4:5], 0
                                        ; implicit-def: $sgpr10
	s_and_saveexec_b64 s[6:7], vcc
	s_xor_b64 s[6:7], exec, s[6:7]
	s_cbranch_execnz .LBB39_2641
; %bb.593:
	s_or_saveexec_b64 s[6:7], s[6:7]
	v_mov_b32_e32 v10, s10
	s_xor_b64 exec, exec, s[6:7]
	s_cbranch_execnz .LBB39_2644
.LBB39_594:
	s_or_b64 exec, exec, s[6:7]
	s_and_saveexec_b64 s[6:7], s[4:5]
	s_cbranch_execz .LBB39_596
.LBB39_595:
	v_bfe_u32 v10, v16, 16, 3
	v_ffbh_u32_e32 v15, v10
	v_min_u32_e32 v15, 32, v15
	v_lshrrev_b32_e32 v11, 19, v16
	v_subrev_u32_e32 v20, 28, v15
	v_and_b32_e32 v11, 15, v11
	v_lshlrev_b32_sdwa v20, v20, v16 dst_sel:DWORD dst_unused:UNUSED_PAD src0_sel:DWORD src1_sel:WORD_1
	v_bfe_u32 v14, v16, 19, 4
	v_sub_u32_e32 v15, 29, v15
	v_and_b32_e32 v20, 7, v20
	v_cmp_eq_u16_e32 vcc, 0, v11
	v_cndmask_b32_e32 v10, v10, v20, vcc
	v_cndmask_b32_e32 v11, v14, v15, vcc
	v_lshlrev_b32_e32 v14, 8, v16
	v_mov_b32_e32 v15, 0x3b800000
	v_lshlrev_b32_e32 v10, 20, v10
	v_and_b32_e32 v14, 0x80000000, v14
	v_lshl_add_u32 v11, v11, 23, v15
	v_or3_b32 v10, v14, v11, v10
.LBB39_596:
	s_or_b64 exec, exec, s[6:7]
	s_movk_i32 s4, 0xff
	v_and_b32_sdwa v11, v12, s4 dst_sel:DWORD dst_unused:UNUSED_PAD src0_sel:WORD_1 src1_sel:DWORD
	s_movk_i32 s4, 0x7f
	v_cmp_lt_i16_e32 vcc, s4, v11
	s_mov_b64 s[4:5], 0
                                        ; implicit-def: $sgpr10
	s_and_saveexec_b64 s[6:7], vcc
	s_xor_b64 s[6:7], exec, s[6:7]
	s_cbranch_execnz .LBB39_2645
; %bb.597:
	s_or_saveexec_b64 s[6:7], s[6:7]
	v_mov_b32_e32 v14, s10
	s_xor_b64 exec, exec, s[6:7]
	s_cbranch_execnz .LBB39_2648
.LBB39_598:
	s_or_b64 exec, exec, s[6:7]
	s_and_saveexec_b64 s[6:7], s[4:5]
	s_cbranch_execz .LBB39_600
.LBB39_599:
	v_bfe_u32 v11, v12, 16, 3
	v_ffbh_u32_e32 v20, v11
	v_min_u32_e32 v20, 32, v20
	v_lshrrev_b32_e32 v14, 19, v12
	v_subrev_u32_e32 v21, 28, v20
	v_and_b32_e32 v14, 15, v14
	v_lshlrev_b32_sdwa v21, v21, v12 dst_sel:DWORD dst_unused:UNUSED_PAD src0_sel:DWORD src1_sel:WORD_1
	v_bfe_u32 v15, v12, 19, 4
	v_sub_u32_e32 v20, 29, v20
	v_and_b32_e32 v21, 7, v21
	v_cmp_eq_u16_e32 vcc, 0, v14
	v_cndmask_b32_e32 v11, v11, v21, vcc
	v_cndmask_b32_e32 v14, v15, v20, vcc
	v_lshlrev_b32_e32 v15, 8, v12
	v_mov_b32_e32 v20, 0x3b800000
	v_lshlrev_b32_e32 v11, 20, v11
	v_and_b32_e32 v15, 0x80000000, v15
	v_lshl_add_u32 v14, v14, 23, v20
	v_or3_b32 v14, v15, v14, v11
.LBB39_600:
	s_or_b64 exec, exec, s[6:7]
	s_nop 0
	v_mfma_f32_16x16x4f32 a[0:3], v10, v14, a[0:3]
	s_movk_i32 s4, 0x7f
	v_cmp_gt_i16_sdwa s[6:7], v16, s4 src0_sel:BYTE_3 src1_sel:DWORD
	s_mov_b64 s[4:5], 0
                                        ; implicit-def: $sgpr10
	s_and_saveexec_b64 s[8:9], s[6:7]
	s_xor_b64 s[6:7], exec, s[8:9]
	s_cbranch_execnz .LBB39_2649
; %bb.601:
	s_or_saveexec_b64 s[6:7], s[6:7]
	v_mov_b32_e32 v10, s10
	s_xor_b64 exec, exec, s[6:7]
	s_cbranch_execnz .LBB39_2652
.LBB39_602:
	s_or_b64 exec, exec, s[6:7]
	s_and_saveexec_b64 s[6:7], s[4:5]
	s_cbranch_execz .LBB39_604
.LBB39_603:
	v_bfe_u32 v10, v16, 24, 3
	v_ffbh_u32_e32 v20, v10
	v_min_u32_e32 v20, 32, v20
	v_lshrrev_b32_e32 v14, 27, v16
	v_subrev_u32_e32 v21, 28, v20
	v_and_b32_e32 v11, 0x80000000, v16
	v_and_b32_e32 v14, 15, v14
	v_bfe_u32 v15, v16, 27, 4
	v_lshlrev_b32_sdwa v16, v21, v16 dst_sel:DWORD dst_unused:UNUSED_PAD src0_sel:DWORD src1_sel:BYTE_3
	v_sub_u32_e32 v20, 29, v20
	v_and_b32_e32 v16, 7, v16
	v_cmp_eq_u16_e32 vcc, 0, v14
	v_cndmask_b32_e32 v10, v10, v16, vcc
	v_cndmask_b32_e32 v14, v15, v20, vcc
	v_mov_b32_e32 v15, 0x3b800000
	v_lshlrev_b32_e32 v10, 20, v10
	v_lshl_add_u32 v14, v14, 23, v15
	v_or3_b32 v10, v11, v14, v10
.LBB39_604:
	s_or_b64 exec, exec, s[6:7]
	s_movk_i32 s4, 0x7f
	v_cmp_gt_i16_sdwa s[6:7], v12, s4 src0_sel:BYTE_3 src1_sel:DWORD
	s_mov_b64 s[4:5], 0
                                        ; implicit-def: $sgpr10
	s_and_saveexec_b64 s[8:9], s[6:7]
	s_xor_b64 s[6:7], exec, s[8:9]
	s_cbranch_execnz .LBB39_2653
; %bb.605:
	s_or_saveexec_b64 s[6:7], s[6:7]
	v_mov_b32_e32 v11, s10
	s_xor_b64 exec, exec, s[6:7]
	s_cbranch_execnz .LBB39_2656
.LBB39_606:
	s_or_b64 exec, exec, s[6:7]
	s_and_saveexec_b64 s[6:7], s[4:5]
	s_cbranch_execz .LBB39_608
.LBB39_607:
	v_bfe_u32 v11, v12, 24, 3
	v_ffbh_u32_e32 v20, v11
	v_min_u32_e32 v20, 32, v20
	v_lshrrev_b32_e32 v15, 27, v12
	v_subrev_u32_e32 v21, 28, v20
	v_and_b32_e32 v14, 0x80000000, v12
	v_and_b32_e32 v15, 15, v15
	v_bfe_u32 v16, v12, 27, 4
	v_lshlrev_b32_sdwa v12, v21, v12 dst_sel:DWORD dst_unused:UNUSED_PAD src0_sel:DWORD src1_sel:BYTE_3
	v_sub_u32_e32 v20, 29, v20
	v_and_b32_e32 v12, 7, v12
	v_cmp_eq_u16_e32 vcc, 0, v15
	v_cndmask_b32_e32 v11, v11, v12, vcc
	v_cndmask_b32_e32 v12, v16, v20, vcc
	v_mov_b32_e32 v15, 0x3b800000
	v_lshlrev_b32_e32 v11, 20, v11
	v_lshl_add_u32 v12, v12, 23, v15
	v_or3_b32 v11, v14, v12, v11
.LBB39_608:
	s_or_b64 exec, exec, s[6:7]
	s_nop 0
	v_mfma_f32_16x16x4f32 a[0:3], v10, v11, a[0:3]
	s_movk_i32 s4, 0x7f
	v_cmp_gt_i16_sdwa s[6:7], v17, s4 src0_sel:BYTE_0 src1_sel:DWORD
	s_mov_b64 s[4:5], 0
                                        ; implicit-def: $sgpr10
	s_and_saveexec_b64 s[8:9], s[6:7]
	s_xor_b64 s[6:7], exec, s[8:9]
	s_cbranch_execnz .LBB39_2657
; %bb.609:
	s_or_saveexec_b64 s[6:7], s[6:7]
	v_mov_b32_e32 v10, s10
	s_xor_b64 exec, exec, s[6:7]
	s_cbranch_execnz .LBB39_2660
.LBB39_610:
	s_or_b64 exec, exec, s[6:7]
	s_and_saveexec_b64 s[6:7], s[4:5]
	s_cbranch_execz .LBB39_612
.LBB39_611:
	v_and_b32_e32 v10, 7, v17
	v_ffbh_u32_e32 v12, v10
	v_min_u32_e32 v12, 32, v12
	v_lshrrev_b16_e32 v11, 3, v17
	v_subrev_u32_e32 v14, 28, v12
	v_and_b32_e32 v11, 15, v11
	v_lshlrev_b32_e32 v14, v14, v17
	v_sub_u32_e32 v12, 29, v12
	v_and_b32_e32 v14, 7, v14
	v_cmp_eq_u16_e32 vcc, 0, v11
	v_cndmask_b32_e32 v10, v10, v14, vcc
	v_cndmask_b32_e32 v11, v11, v12, vcc
	v_lshlrev_b32_e32 v12, 24, v17
	v_mov_b32_e32 v14, 0x3b800000
	v_lshlrev_b32_e32 v10, 20, v10
	v_and_b32_e32 v12, 0x80000000, v12
	v_lshl_add_u32 v11, v11, 23, v14
	v_or3_b32 v10, v12, v11, v10
.LBB39_612:
	s_or_b64 exec, exec, s[6:7]
	s_movk_i32 s4, 0x7f
	v_cmp_gt_i16_sdwa s[6:7], v13, s4 src0_sel:BYTE_0 src1_sel:DWORD
	s_mov_b64 s[4:5], 0
                                        ; implicit-def: $sgpr10
	s_and_saveexec_b64 s[8:9], s[6:7]
	s_xor_b64 s[6:7], exec, s[8:9]
	s_cbranch_execnz .LBB39_2661
; %bb.613:
	s_or_saveexec_b64 s[6:7], s[6:7]
	v_mov_b32_e32 v11, s10
	s_xor_b64 exec, exec, s[6:7]
	s_cbranch_execnz .LBB39_2664
.LBB39_614:
	s_or_b64 exec, exec, s[6:7]
	s_and_saveexec_b64 s[6:7], s[4:5]
	s_cbranch_execz .LBB39_616
.LBB39_615:
	v_and_b32_e32 v11, 7, v13
	v_ffbh_u32_e32 v14, v11
	v_min_u32_e32 v14, 32, v14
	v_lshrrev_b16_e32 v12, 3, v13
	v_subrev_u32_e32 v15, 28, v14
	v_and_b32_e32 v12, 15, v12
	v_lshlrev_b32_e32 v15, v15, v13
	v_sub_u32_e32 v14, 29, v14
	v_and_b32_e32 v15, 7, v15
	v_cmp_eq_u16_e32 vcc, 0, v12
	v_cndmask_b32_e32 v11, v11, v15, vcc
	v_cndmask_b32_e32 v12, v12, v14, vcc
	v_lshlrev_b32_e32 v14, 24, v13
	v_mov_b32_e32 v15, 0x3b800000
	v_lshlrev_b32_e32 v11, 20, v11
	v_and_b32_e32 v14, 0x80000000, v14
	v_lshl_add_u32 v12, v12, 23, v15
	v_or3_b32 v11, v14, v12, v11
.LBB39_616:
	s_or_b64 exec, exec, s[6:7]
	s_nop 0
	v_mfma_f32_16x16x4f32 a[0:3], v10, v11, a[0:3]
	v_lshrrev_b32_e32 v11, 8, v17
	s_movk_i32 s4, 0x7f
	v_cmp_gt_i16_sdwa s[6:7], v11, s4 src0_sel:BYTE_0 src1_sel:DWORD
	s_mov_b64 s[4:5], 0
                                        ; implicit-def: $sgpr10
	s_and_saveexec_b64 s[8:9], s[6:7]
	s_xor_b64 s[6:7], exec, s[8:9]
	s_cbranch_execnz .LBB39_2665
; %bb.617:
	s_or_saveexec_b64 s[6:7], s[6:7]
	v_mov_b32_e32 v10, s10
	s_xor_b64 exec, exec, s[6:7]
	s_cbranch_execnz .LBB39_2668
.LBB39_618:
	s_or_b64 exec, exec, s[6:7]
	s_and_saveexec_b64 s[6:7], s[4:5]
	s_cbranch_execz .LBB39_620
.LBB39_619:
	v_bfe_u32 v10, v17, 8, 3
	v_ffbh_u32_e32 v14, v10
	v_min_u32_e32 v14, 32, v14
	v_lshrrev_b16_e32 v12, 3, v11
	v_subrev_u32_e32 v15, 28, v14
	v_and_b32_e32 v12, 15, v12
	v_lshlrev_b32_e32 v11, v15, v11
	v_sub_u32_e32 v14, 29, v14
	v_and_b32_e32 v11, 7, v11
	v_cmp_eq_u16_e32 vcc, 0, v12
	v_cndmask_b32_e32 v10, v10, v11, vcc
	v_cndmask_b32_e32 v11, v12, v14, vcc
	v_lshlrev_b32_e32 v12, 16, v17
	v_mov_b32_e32 v14, 0x3b800000
	v_lshlrev_b32_e32 v10, 20, v10
	v_and_b32_e32 v12, 0x80000000, v12
	v_lshl_add_u32 v11, v11, 23, v14
	v_or3_b32 v10, v12, v11, v10
.LBB39_620:
	s_or_b64 exec, exec, s[6:7]
	v_lshrrev_b32_e32 v11, 8, v13
	s_movk_i32 s4, 0x7f
	v_cmp_gt_i16_sdwa s[6:7], v11, s4 src0_sel:BYTE_0 src1_sel:DWORD
	s_mov_b64 s[4:5], 0
                                        ; implicit-def: $sgpr10
	s_and_saveexec_b64 s[8:9], s[6:7]
	s_xor_b64 s[6:7], exec, s[8:9]
	s_cbranch_execnz .LBB39_2669
; %bb.621:
	s_or_saveexec_b64 s[6:7], s[6:7]
	v_mov_b32_e32 v12, s10
	s_xor_b64 exec, exec, s[6:7]
	s_cbranch_execnz .LBB39_2672
.LBB39_622:
	s_or_b64 exec, exec, s[6:7]
	s_and_saveexec_b64 s[6:7], s[4:5]
	s_cbranch_execz .LBB39_624
.LBB39_623:
	v_bfe_u32 v12, v13, 8, 3
	v_ffbh_u32_e32 v15, v12
	v_min_u32_e32 v15, 32, v15
	v_lshrrev_b16_e32 v14, 3, v11
	v_subrev_u32_e32 v16, 28, v15
	v_and_b32_e32 v14, 15, v14
	v_lshlrev_b32_e32 v11, v16, v11
	v_sub_u32_e32 v15, 29, v15
	v_and_b32_e32 v11, 7, v11
	v_cmp_eq_u16_e32 vcc, 0, v14
	v_cndmask_b32_e32 v11, v12, v11, vcc
	v_cndmask_b32_e32 v12, v14, v15, vcc
	v_lshlrev_b32_e32 v14, 16, v13
	v_mov_b32_e32 v15, 0x3b800000
	v_lshlrev_b32_e32 v11, 20, v11
	v_and_b32_e32 v14, 0x80000000, v14
	v_lshl_add_u32 v12, v12, 23, v15
	v_or3_b32 v12, v14, v12, v11
.LBB39_624:
	s_or_b64 exec, exec, s[6:7]
	s_nop 0
	v_mfma_f32_16x16x4f32 a[0:3], v10, v12, a[0:3]
	s_movk_i32 s4, 0xff
	v_and_b32_sdwa v11, v17, s4 dst_sel:DWORD dst_unused:UNUSED_PAD src0_sel:WORD_1 src1_sel:DWORD
	s_movk_i32 s4, 0x7f
	v_cmp_lt_i16_e32 vcc, s4, v11
	s_mov_b64 s[4:5], 0
                                        ; implicit-def: $sgpr10
	s_and_saveexec_b64 s[6:7], vcc
	s_xor_b64 s[6:7], exec, s[6:7]
	s_cbranch_execnz .LBB39_2673
; %bb.625:
	s_or_saveexec_b64 s[6:7], s[6:7]
	v_mov_b32_e32 v10, s10
	s_xor_b64 exec, exec, s[6:7]
	s_cbranch_execnz .LBB39_2676
.LBB39_626:
	s_or_b64 exec, exec, s[6:7]
	s_and_saveexec_b64 s[6:7], s[4:5]
	s_cbranch_execz .LBB39_628
.LBB39_627:
	v_bfe_u32 v10, v17, 16, 3
	v_ffbh_u32_e32 v14, v10
	v_min_u32_e32 v14, 32, v14
	v_lshrrev_b32_e32 v11, 19, v17
	v_subrev_u32_e32 v15, 28, v14
	v_and_b32_e32 v11, 15, v11
	v_lshlrev_b32_sdwa v15, v15, v17 dst_sel:DWORD dst_unused:UNUSED_PAD src0_sel:DWORD src1_sel:WORD_1
	v_bfe_u32 v12, v17, 19, 4
	v_sub_u32_e32 v14, 29, v14
	v_and_b32_e32 v15, 7, v15
	v_cmp_eq_u16_e32 vcc, 0, v11
	v_cndmask_b32_e32 v10, v10, v15, vcc
	v_cndmask_b32_e32 v11, v12, v14, vcc
	v_lshlrev_b32_e32 v12, 8, v17
	v_mov_b32_e32 v14, 0x3b800000
	v_lshlrev_b32_e32 v10, 20, v10
	v_and_b32_e32 v12, 0x80000000, v12
	v_lshl_add_u32 v11, v11, 23, v14
	v_or3_b32 v10, v12, v11, v10
.LBB39_628:
	s_or_b64 exec, exec, s[6:7]
	s_movk_i32 s4, 0xff
	v_and_b32_sdwa v11, v13, s4 dst_sel:DWORD dst_unused:UNUSED_PAD src0_sel:WORD_1 src1_sel:DWORD
	s_movk_i32 s4, 0x7f
	v_cmp_lt_i16_e32 vcc, s4, v11
	s_mov_b64 s[4:5], 0
                                        ; implicit-def: $sgpr10
	s_and_saveexec_b64 s[6:7], vcc
	s_xor_b64 s[6:7], exec, s[6:7]
	s_cbranch_execnz .LBB39_2677
; %bb.629:
	s_or_saveexec_b64 s[6:7], s[6:7]
	v_mov_b32_e32 v12, s10
	s_xor_b64 exec, exec, s[6:7]
	s_cbranch_execnz .LBB39_2680
.LBB39_630:
	s_or_b64 exec, exec, s[6:7]
	s_and_saveexec_b64 s[6:7], s[4:5]
	s_cbranch_execz .LBB39_632
.LBB39_631:
	v_bfe_u32 v11, v13, 16, 3
	v_ffbh_u32_e32 v15, v11
	v_min_u32_e32 v15, 32, v15
	v_lshrrev_b32_e32 v12, 19, v13
	v_subrev_u32_e32 v16, 28, v15
	v_and_b32_e32 v12, 15, v12
	v_lshlrev_b32_sdwa v16, v16, v13 dst_sel:DWORD dst_unused:UNUSED_PAD src0_sel:DWORD src1_sel:WORD_1
	v_bfe_u32 v14, v13, 19, 4
	v_sub_u32_e32 v15, 29, v15
	v_and_b32_e32 v16, 7, v16
	v_cmp_eq_u16_e32 vcc, 0, v12
	v_cndmask_b32_e32 v11, v11, v16, vcc
	v_cndmask_b32_e32 v12, v14, v15, vcc
	v_lshlrev_b32_e32 v14, 8, v13
	v_mov_b32_e32 v15, 0x3b800000
	v_lshlrev_b32_e32 v11, 20, v11
	v_and_b32_e32 v14, 0x80000000, v14
	v_lshl_add_u32 v12, v12, 23, v15
	v_or3_b32 v12, v14, v12, v11
.LBB39_632:
	s_or_b64 exec, exec, s[6:7]
	s_nop 0
	v_mfma_f32_16x16x4f32 a[0:3], v10, v12, a[0:3]
	s_movk_i32 s4, 0x7f
	v_cmp_gt_i16_sdwa s[6:7], v17, s4 src0_sel:BYTE_3 src1_sel:DWORD
	s_mov_b64 s[4:5], 0
                                        ; implicit-def: $sgpr10
	s_and_saveexec_b64 s[8:9], s[6:7]
	s_xor_b64 s[6:7], exec, s[8:9]
	s_cbranch_execnz .LBB39_2681
; %bb.633:
	s_or_saveexec_b64 s[6:7], s[6:7]
	v_mov_b32_e32 v10, s10
	s_xor_b64 exec, exec, s[6:7]
	s_cbranch_execnz .LBB39_2684
.LBB39_634:
	s_or_b64 exec, exec, s[6:7]
	s_and_saveexec_b64 s[6:7], s[4:5]
	s_cbranch_execz .LBB39_636
.LBB39_635:
	v_bfe_u32 v10, v17, 24, 3
	v_ffbh_u32_e32 v15, v10
	v_min_u32_e32 v15, 32, v15
	v_lshrrev_b32_e32 v12, 27, v17
	v_subrev_u32_e32 v16, 28, v15
	v_and_b32_e32 v12, 15, v12
	v_lshlrev_b32_sdwa v16, v16, v17 dst_sel:DWORD dst_unused:UNUSED_PAD src0_sel:DWORD src1_sel:BYTE_3
	v_bfe_u32 v14, v17, 27, 4
	v_sub_u32_e32 v15, 29, v15
	v_and_b32_e32 v16, 7, v16
	v_cmp_eq_u16_e32 vcc, 0, v12
	v_cndmask_b32_e32 v10, v10, v16, vcc
	v_cndmask_b32_e32 v12, v14, v15, vcc
	v_mov_b32_e32 v14, 0x3b800000
	v_and_b32_e32 v11, 0x80000000, v17
	v_lshlrev_b32_e32 v10, 20, v10
	v_lshl_add_u32 v12, v12, 23, v14
	v_or3_b32 v10, v11, v12, v10
.LBB39_636:
	s_or_b64 exec, exec, s[6:7]
	s_movk_i32 s4, 0x7f
	v_cmp_gt_i16_sdwa s[6:7], v13, s4 src0_sel:BYTE_3 src1_sel:DWORD
	s_mov_b64 s[4:5], 0
                                        ; implicit-def: $sgpr10
	s_and_saveexec_b64 s[8:9], s[6:7]
	s_xor_b64 s[6:7], exec, s[8:9]
	s_cbranch_execnz .LBB39_2685
; %bb.637:
	s_or_saveexec_b64 s[6:7], s[6:7]
	v_mov_b32_e32 v11, s10
	s_xor_b64 exec, exec, s[6:7]
	s_cbranch_execnz .LBB39_2688
.LBB39_638:
	s_or_b64 exec, exec, s[6:7]
	s_and_saveexec_b64 s[6:7], s[4:5]
	s_cbranch_execz .LBB39_640
.LBB39_639:
	v_bfe_u32 v11, v13, 24, 3
	v_ffbh_u32_e32 v16, v11
	v_min_u32_e32 v16, 32, v16
	v_lshrrev_b32_e32 v14, 27, v13
	v_subrev_u32_e32 v17, 28, v16
	v_and_b32_e32 v12, 0x80000000, v13
	v_and_b32_e32 v14, 15, v14
	v_bfe_u32 v15, v13, 27, 4
	v_lshlrev_b32_sdwa v13, v17, v13 dst_sel:DWORD dst_unused:UNUSED_PAD src0_sel:DWORD src1_sel:BYTE_3
	v_sub_u32_e32 v16, 29, v16
	v_and_b32_e32 v13, 7, v13
	v_cmp_eq_u16_e32 vcc, 0, v14
	v_cndmask_b32_e32 v11, v11, v13, vcc
	v_cndmask_b32_e32 v13, v15, v16, vcc
	v_mov_b32_e32 v14, 0x3b800000
	v_lshlrev_b32_e32 v11, 20, v11
	v_lshl_add_u32 v13, v13, 23, v14
	v_or3_b32 v11, v12, v13, v11
.LBB39_640:
	s_or_b64 exec, exec, s[6:7]
	s_nop 0
	v_mfma_f32_16x16x4f32 a[0:3], v10, v11, a[0:3]
	s_movk_i32 s4, 0x7f
	v_cmp_gt_i16_sdwa s[6:7], v6, s4 src0_sel:BYTE_0 src1_sel:DWORD
	s_mov_b64 s[4:5], 0
                                        ; implicit-def: $sgpr10
	s_and_saveexec_b64 s[8:9], s[6:7]
	s_xor_b64 s[6:7], exec, s[8:9]
	s_cbranch_execnz .LBB39_2689
; %bb.641:
	s_or_saveexec_b64 s[6:7], s[6:7]
	v_mov_b32_e32 v10, s10
	s_xor_b64 exec, exec, s[6:7]
	s_cbranch_execnz .LBB39_2692
.LBB39_642:
	s_or_b64 exec, exec, s[6:7]
	s_and_saveexec_b64 s[6:7], s[4:5]
	s_cbranch_execz .LBB39_644
.LBB39_643:
	v_and_b32_e32 v10, 7, v6
	v_ffbh_u32_e32 v12, v10
	v_min_u32_e32 v12, 32, v12
	v_lshrrev_b16_e32 v11, 3, v6
	v_subrev_u32_e32 v13, 28, v12
	v_and_b32_e32 v11, 15, v11
	v_lshlrev_b32_e32 v13, v13, v6
	v_sub_u32_e32 v12, 29, v12
	v_and_b32_e32 v13, 7, v13
	v_cmp_eq_u16_e32 vcc, 0, v11
	v_cndmask_b32_e32 v10, v10, v13, vcc
	v_cndmask_b32_e32 v11, v11, v12, vcc
	v_lshlrev_b32_e32 v12, 24, v6
	v_mov_b32_e32 v13, 0x3b800000
	v_lshlrev_b32_e32 v10, 20, v10
	v_and_b32_e32 v12, 0x80000000, v12
	v_lshl_add_u32 v11, v11, 23, v13
	v_or3_b32 v10, v12, v11, v10
.LBB39_644:
	s_or_b64 exec, exec, s[6:7]
	s_movk_i32 s4, 0x7f
	v_cmp_gt_i16_sdwa s[6:7], v2, s4 src0_sel:BYTE_0 src1_sel:DWORD
	s_mov_b64 s[4:5], 0
                                        ; implicit-def: $sgpr10
	s_and_saveexec_b64 s[8:9], s[6:7]
	s_xor_b64 s[6:7], exec, s[8:9]
	s_cbranch_execnz .LBB39_2693
; %bb.645:
	s_or_saveexec_b64 s[6:7], s[6:7]
	v_mov_b32_e32 v11, s10
	s_xor_b64 exec, exec, s[6:7]
	s_cbranch_execnz .LBB39_2696
.LBB39_646:
	s_or_b64 exec, exec, s[6:7]
	s_and_saveexec_b64 s[6:7], s[4:5]
	s_cbranch_execz .LBB39_648
.LBB39_647:
	v_and_b32_e32 v11, 7, v2
	v_ffbh_u32_e32 v13, v11
	v_min_u32_e32 v13, 32, v13
	v_lshrrev_b16_e32 v12, 3, v2
	v_subrev_u32_e32 v14, 28, v13
	v_and_b32_e32 v12, 15, v12
	v_lshlrev_b32_e32 v14, v14, v2
	v_sub_u32_e32 v13, 29, v13
	v_and_b32_e32 v14, 7, v14
	v_cmp_eq_u16_e32 vcc, 0, v12
	v_cndmask_b32_e32 v11, v11, v14, vcc
	v_cndmask_b32_e32 v12, v12, v13, vcc
	v_lshlrev_b32_e32 v13, 24, v2
	v_mov_b32_e32 v14, 0x3b800000
	v_lshlrev_b32_e32 v11, 20, v11
	v_and_b32_e32 v13, 0x80000000, v13
	v_lshl_add_u32 v12, v12, 23, v14
	v_or3_b32 v11, v13, v12, v11
.LBB39_648:
	s_or_b64 exec, exec, s[6:7]
	s_nop 0
	v_mfma_f32_16x16x4f32 a[0:3], v10, v11, a[0:3]
	v_lshrrev_b32_e32 v11, 8, v6
	s_movk_i32 s4, 0x7f
	v_cmp_gt_i16_sdwa s[6:7], v11, s4 src0_sel:BYTE_0 src1_sel:DWORD
	s_mov_b64 s[4:5], 0
                                        ; implicit-def: $sgpr10
	s_and_saveexec_b64 s[8:9], s[6:7]
	s_xor_b64 s[6:7], exec, s[8:9]
	s_cbranch_execnz .LBB39_2697
; %bb.649:
	s_or_saveexec_b64 s[6:7], s[6:7]
	v_mov_b32_e32 v10, s10
	s_xor_b64 exec, exec, s[6:7]
	s_cbranch_execnz .LBB39_2700
.LBB39_650:
	s_or_b64 exec, exec, s[6:7]
	s_and_saveexec_b64 s[6:7], s[4:5]
	s_cbranch_execz .LBB39_652
.LBB39_651:
	v_bfe_u32 v10, v6, 8, 3
	v_ffbh_u32_e32 v13, v10
	v_min_u32_e32 v13, 32, v13
	v_lshrrev_b16_e32 v12, 3, v11
	v_subrev_u32_e32 v14, 28, v13
	v_and_b32_e32 v12, 15, v12
	v_lshlrev_b32_e32 v11, v14, v11
	v_sub_u32_e32 v13, 29, v13
	v_and_b32_e32 v11, 7, v11
	v_cmp_eq_u16_e32 vcc, 0, v12
	v_cndmask_b32_e32 v10, v10, v11, vcc
	v_cndmask_b32_e32 v11, v12, v13, vcc
	v_lshlrev_b32_e32 v12, 16, v6
	v_mov_b32_e32 v13, 0x3b800000
	v_lshlrev_b32_e32 v10, 20, v10
	v_and_b32_e32 v12, 0x80000000, v12
	v_lshl_add_u32 v11, v11, 23, v13
	v_or3_b32 v10, v12, v11, v10
.LBB39_652:
	s_or_b64 exec, exec, s[6:7]
	v_lshrrev_b32_e32 v11, 8, v2
	s_movk_i32 s4, 0x7f
	v_cmp_gt_i16_sdwa s[6:7], v11, s4 src0_sel:BYTE_0 src1_sel:DWORD
	s_mov_b64 s[4:5], 0
                                        ; implicit-def: $sgpr10
	s_and_saveexec_b64 s[8:9], s[6:7]
	s_xor_b64 s[6:7], exec, s[8:9]
	s_cbranch_execnz .LBB39_2701
; %bb.653:
	s_or_saveexec_b64 s[6:7], s[6:7]
	v_mov_b32_e32 v12, s10
	s_xor_b64 exec, exec, s[6:7]
	s_cbranch_execnz .LBB39_2704
.LBB39_654:
	s_or_b64 exec, exec, s[6:7]
	s_and_saveexec_b64 s[6:7], s[4:5]
	s_cbranch_execz .LBB39_656
.LBB39_655:
	v_bfe_u32 v12, v2, 8, 3
	v_ffbh_u32_e32 v14, v12
	v_min_u32_e32 v14, 32, v14
	v_lshrrev_b16_e32 v13, 3, v11
	v_subrev_u32_e32 v15, 28, v14
	v_and_b32_e32 v13, 15, v13
	v_lshlrev_b32_e32 v11, v15, v11
	v_sub_u32_e32 v14, 29, v14
	v_and_b32_e32 v11, 7, v11
	v_cmp_eq_u16_e32 vcc, 0, v13
	v_cndmask_b32_e32 v11, v12, v11, vcc
	v_cndmask_b32_e32 v12, v13, v14, vcc
	v_lshlrev_b32_e32 v13, 16, v2
	v_mov_b32_e32 v14, 0x3b800000
	v_lshlrev_b32_e32 v11, 20, v11
	v_and_b32_e32 v13, 0x80000000, v13
	v_lshl_add_u32 v12, v12, 23, v14
	v_or3_b32 v12, v13, v12, v11
.LBB39_656:
	s_or_b64 exec, exec, s[6:7]
	s_nop 0
	v_mfma_f32_16x16x4f32 a[0:3], v10, v12, a[0:3]
	s_movk_i32 s4, 0xff
	v_and_b32_sdwa v11, v6, s4 dst_sel:DWORD dst_unused:UNUSED_PAD src0_sel:WORD_1 src1_sel:DWORD
	s_movk_i32 s4, 0x7f
	v_cmp_lt_i16_e32 vcc, s4, v11
	s_mov_b64 s[4:5], 0
                                        ; implicit-def: $sgpr10
	s_and_saveexec_b64 s[6:7], vcc
	s_xor_b64 s[6:7], exec, s[6:7]
	s_cbranch_execnz .LBB39_2705
; %bb.657:
	s_or_saveexec_b64 s[6:7], s[6:7]
	v_mov_b32_e32 v10, s10
	s_xor_b64 exec, exec, s[6:7]
	s_cbranch_execnz .LBB39_2708
.LBB39_658:
	s_or_b64 exec, exec, s[6:7]
	s_and_saveexec_b64 s[6:7], s[4:5]
	s_cbranch_execz .LBB39_660
.LBB39_659:
	v_bfe_u32 v10, v6, 16, 3
	v_ffbh_u32_e32 v13, v10
	v_min_u32_e32 v13, 32, v13
	v_lshrrev_b32_e32 v11, 19, v6
	v_subrev_u32_e32 v14, 28, v13
	v_and_b32_e32 v11, 15, v11
	v_lshlrev_b32_sdwa v14, v14, v6 dst_sel:DWORD dst_unused:UNUSED_PAD src0_sel:DWORD src1_sel:WORD_1
	v_bfe_u32 v12, v6, 19, 4
	v_sub_u32_e32 v13, 29, v13
	v_and_b32_e32 v14, 7, v14
	v_cmp_eq_u16_e32 vcc, 0, v11
	v_cndmask_b32_e32 v10, v10, v14, vcc
	v_cndmask_b32_e32 v11, v12, v13, vcc
	v_lshlrev_b32_e32 v12, 8, v6
	v_mov_b32_e32 v13, 0x3b800000
	v_lshlrev_b32_e32 v10, 20, v10
	v_and_b32_e32 v12, 0x80000000, v12
	v_lshl_add_u32 v11, v11, 23, v13
	v_or3_b32 v10, v12, v11, v10
.LBB39_660:
	s_or_b64 exec, exec, s[6:7]
	s_movk_i32 s4, 0xff
	v_and_b32_sdwa v11, v2, s4 dst_sel:DWORD dst_unused:UNUSED_PAD src0_sel:WORD_1 src1_sel:DWORD
	s_movk_i32 s4, 0x7f
	v_cmp_lt_i16_e32 vcc, s4, v11
	s_mov_b64 s[4:5], 0
                                        ; implicit-def: $sgpr10
	s_and_saveexec_b64 s[6:7], vcc
	s_xor_b64 s[6:7], exec, s[6:7]
	s_cbranch_execnz .LBB39_2709
; %bb.661:
	s_or_saveexec_b64 s[6:7], s[6:7]
	v_mov_b32_e32 v12, s10
	s_xor_b64 exec, exec, s[6:7]
	s_cbranch_execnz .LBB39_2712
.LBB39_662:
	s_or_b64 exec, exec, s[6:7]
	s_and_saveexec_b64 s[6:7], s[4:5]
	s_cbranch_execz .LBB39_664
.LBB39_663:
	v_bfe_u32 v11, v2, 16, 3
	v_ffbh_u32_e32 v14, v11
	v_min_u32_e32 v14, 32, v14
	v_lshrrev_b32_e32 v12, 19, v2
	v_subrev_u32_e32 v15, 28, v14
	v_and_b32_e32 v12, 15, v12
	v_lshlrev_b32_sdwa v15, v15, v2 dst_sel:DWORD dst_unused:UNUSED_PAD src0_sel:DWORD src1_sel:WORD_1
	v_bfe_u32 v13, v2, 19, 4
	v_sub_u32_e32 v14, 29, v14
	v_and_b32_e32 v15, 7, v15
	v_cmp_eq_u16_e32 vcc, 0, v12
	v_cndmask_b32_e32 v11, v11, v15, vcc
	v_cndmask_b32_e32 v12, v13, v14, vcc
	v_lshlrev_b32_e32 v13, 8, v2
	v_mov_b32_e32 v14, 0x3b800000
	v_lshlrev_b32_e32 v11, 20, v11
	v_and_b32_e32 v13, 0x80000000, v13
	v_lshl_add_u32 v12, v12, 23, v14
	v_or3_b32 v12, v13, v12, v11
.LBB39_664:
	s_or_b64 exec, exec, s[6:7]
	s_nop 0
	v_mfma_f32_16x16x4f32 a[0:3], v10, v12, a[0:3]
	s_movk_i32 s4, 0x7f
	v_cmp_gt_i16_sdwa s[6:7], v6, s4 src0_sel:BYTE_3 src1_sel:DWORD
	s_mov_b64 s[4:5], 0
                                        ; implicit-def: $sgpr10
	s_and_saveexec_b64 s[8:9], s[6:7]
	s_xor_b64 s[6:7], exec, s[8:9]
	s_cbranch_execnz .LBB39_2713
; %bb.665:
	s_or_saveexec_b64 s[6:7], s[6:7]
	v_mov_b32_e32 v10, s10
	s_xor_b64 exec, exec, s[6:7]
	s_cbranch_execnz .LBB39_2716
.LBB39_666:
	s_or_b64 exec, exec, s[6:7]
	s_and_saveexec_b64 s[6:7], s[4:5]
	s_cbranch_execz .LBB39_668
.LBB39_667:
	v_bfe_u32 v10, v6, 24, 3
	v_ffbh_u32_e32 v14, v10
	v_min_u32_e32 v14, 32, v14
	v_lshrrev_b32_e32 v12, 27, v6
	v_subrev_u32_e32 v15, 28, v14
	v_and_b32_e32 v11, 0x80000000, v6
	v_and_b32_e32 v12, 15, v12
	v_bfe_u32 v13, v6, 27, 4
	v_lshlrev_b32_sdwa v6, v15, v6 dst_sel:DWORD dst_unused:UNUSED_PAD src0_sel:DWORD src1_sel:BYTE_3
	v_sub_u32_e32 v14, 29, v14
	v_and_b32_e32 v6, 7, v6
	v_cmp_eq_u16_e32 vcc, 0, v12
	v_cndmask_b32_e32 v6, v10, v6, vcc
	v_cndmask_b32_e32 v10, v13, v14, vcc
	v_mov_b32_e32 v12, 0x3b800000
	v_lshlrev_b32_e32 v6, 20, v6
	v_lshl_add_u32 v10, v10, 23, v12
	v_or3_b32 v10, v11, v10, v6
.LBB39_668:
	s_or_b64 exec, exec, s[6:7]
	s_movk_i32 s4, 0x7f
	v_cmp_gt_i16_sdwa s[6:7], v2, s4 src0_sel:BYTE_3 src1_sel:DWORD
	s_mov_b64 s[4:5], 0
                                        ; implicit-def: $sgpr10
	s_and_saveexec_b64 s[8:9], s[6:7]
	s_xor_b64 s[6:7], exec, s[8:9]
	s_cbranch_execnz .LBB39_2717
; %bb.669:
	s_or_saveexec_b64 s[6:7], s[6:7]
	v_mov_b32_e32 v6, s10
	s_xor_b64 exec, exec, s[6:7]
	s_cbranch_execnz .LBB39_2720
.LBB39_670:
	s_or_b64 exec, exec, s[6:7]
	s_and_saveexec_b64 s[6:7], s[4:5]
	s_cbranch_execz .LBB39_672
.LBB39_671:
	v_bfe_u32 v6, v2, 24, 3
	v_ffbh_u32_e32 v14, v6
	v_min_u32_e32 v14, 32, v14
	v_lshrrev_b32_e32 v12, 27, v2
	v_subrev_u32_e32 v15, 28, v14
	v_and_b32_e32 v11, 0x80000000, v2
	v_and_b32_e32 v12, 15, v12
	v_bfe_u32 v13, v2, 27, 4
	v_lshlrev_b32_sdwa v2, v15, v2 dst_sel:DWORD dst_unused:UNUSED_PAD src0_sel:DWORD src1_sel:BYTE_3
	v_sub_u32_e32 v14, 29, v14
	v_and_b32_e32 v2, 7, v2
	v_cmp_eq_u16_e32 vcc, 0, v12
	v_cndmask_b32_e32 v2, v6, v2, vcc
	v_cndmask_b32_e32 v6, v13, v14, vcc
	v_mov_b32_e32 v12, 0x3b800000
	v_lshlrev_b32_e32 v2, 20, v2
	v_lshl_add_u32 v6, v6, 23, v12
	v_or3_b32 v6, v11, v6, v2
.LBB39_672:
	s_or_b64 exec, exec, s[6:7]
	s_nop 0
	v_mfma_f32_16x16x4f32 a[0:3], v10, v6, a[0:3]
	s_movk_i32 s4, 0x7f
	v_cmp_gt_i16_sdwa s[6:7], v7, s4 src0_sel:BYTE_0 src1_sel:DWORD
	s_mov_b64 s[4:5], 0
                                        ; implicit-def: $sgpr10
	s_and_saveexec_b64 s[8:9], s[6:7]
	s_xor_b64 s[6:7], exec, s[8:9]
	s_cbranch_execnz .LBB39_2721
; %bb.673:
	s_or_saveexec_b64 s[6:7], s[6:7]
	v_mov_b32_e32 v2, s10
	s_xor_b64 exec, exec, s[6:7]
	s_cbranch_execnz .LBB39_2724
.LBB39_674:
	s_or_b64 exec, exec, s[6:7]
	s_and_saveexec_b64 s[6:7], s[4:5]
	s_cbranch_execz .LBB39_676
.LBB39_675:
	v_and_b32_e32 v2, 7, v7
	v_ffbh_u32_e32 v10, v2
	v_min_u32_e32 v10, 32, v10
	v_lshrrev_b16_e32 v6, 3, v7
	v_subrev_u32_e32 v11, 28, v10
	v_and_b32_e32 v6, 15, v6
	v_lshlrev_b32_e32 v11, v11, v7
	v_sub_u32_e32 v10, 29, v10
	v_and_b32_e32 v11, 7, v11
	v_cmp_eq_u16_e32 vcc, 0, v6
	v_cndmask_b32_e32 v2, v2, v11, vcc
	v_cndmask_b32_e32 v6, v6, v10, vcc
	v_lshlrev_b32_e32 v10, 24, v7
	v_mov_b32_e32 v11, 0x3b800000
	v_lshlrev_b32_e32 v2, 20, v2
	v_and_b32_e32 v10, 0x80000000, v10
	v_lshl_add_u32 v6, v6, 23, v11
	v_or3_b32 v2, v10, v6, v2
.LBB39_676:
	s_or_b64 exec, exec, s[6:7]
	s_movk_i32 s4, 0x7f
	v_cmp_gt_i16_sdwa s[6:7], v3, s4 src0_sel:BYTE_0 src1_sel:DWORD
	s_mov_b64 s[4:5], 0
                                        ; implicit-def: $sgpr10
	s_and_saveexec_b64 s[8:9], s[6:7]
	s_xor_b64 s[6:7], exec, s[8:9]
	s_cbranch_execnz .LBB39_2725
; %bb.677:
	s_or_saveexec_b64 s[6:7], s[6:7]
	v_mov_b32_e32 v6, s10
	s_xor_b64 exec, exec, s[6:7]
	s_cbranch_execnz .LBB39_2728
.LBB39_678:
	s_or_b64 exec, exec, s[6:7]
	s_and_saveexec_b64 s[6:7], s[4:5]
	s_cbranch_execz .LBB39_680
.LBB39_679:
	v_and_b32_e32 v6, 7, v3
	v_ffbh_u32_e32 v11, v6
	v_min_u32_e32 v11, 32, v11
	v_lshrrev_b16_e32 v10, 3, v3
	v_subrev_u32_e32 v12, 28, v11
	v_and_b32_e32 v10, 15, v10
	v_lshlrev_b32_e32 v12, v12, v3
	v_sub_u32_e32 v11, 29, v11
	v_and_b32_e32 v12, 7, v12
	v_cmp_eq_u16_e32 vcc, 0, v10
	v_cndmask_b32_e32 v6, v6, v12, vcc
	v_cndmask_b32_e32 v10, v10, v11, vcc
	v_lshlrev_b32_e32 v11, 24, v3
	v_mov_b32_e32 v12, 0x3b800000
	v_lshlrev_b32_e32 v6, 20, v6
	v_and_b32_e32 v11, 0x80000000, v11
	v_lshl_add_u32 v10, v10, 23, v12
	v_or3_b32 v6, v11, v10, v6
.LBB39_680:
	s_or_b64 exec, exec, s[6:7]
	s_nop 0
	v_mfma_f32_16x16x4f32 a[0:3], v2, v6, a[0:3]
	v_lshrrev_b32_e32 v6, 8, v7
	s_movk_i32 s4, 0x7f
	v_cmp_gt_i16_sdwa s[6:7], v6, s4 src0_sel:BYTE_0 src1_sel:DWORD
	s_mov_b64 s[4:5], 0
                                        ; implicit-def: $sgpr10
	s_and_saveexec_b64 s[8:9], s[6:7]
	s_xor_b64 s[6:7], exec, s[8:9]
	s_cbranch_execnz .LBB39_2729
; %bb.681:
	s_or_saveexec_b64 s[6:7], s[6:7]
	v_mov_b32_e32 v2, s10
	s_xor_b64 exec, exec, s[6:7]
	s_cbranch_execnz .LBB39_2732
.LBB39_682:
	s_or_b64 exec, exec, s[6:7]
	s_and_saveexec_b64 s[6:7], s[4:5]
	s_cbranch_execz .LBB39_684
.LBB39_683:
	v_bfe_u32 v2, v7, 8, 3
	v_ffbh_u32_e32 v11, v2
	v_min_u32_e32 v11, 32, v11
	v_lshrrev_b16_e32 v10, 3, v6
	v_subrev_u32_e32 v12, 28, v11
	v_and_b32_e32 v10, 15, v10
	v_lshlrev_b32_e32 v6, v12, v6
	v_sub_u32_e32 v11, 29, v11
	v_and_b32_e32 v6, 7, v6
	v_cmp_eq_u16_e32 vcc, 0, v10
	v_cndmask_b32_e32 v2, v2, v6, vcc
	v_cndmask_b32_e32 v6, v10, v11, vcc
	v_lshlrev_b32_e32 v10, 16, v7
	v_mov_b32_e32 v11, 0x3b800000
	v_lshlrev_b32_e32 v2, 20, v2
	v_and_b32_e32 v10, 0x80000000, v10
	v_lshl_add_u32 v6, v6, 23, v11
	v_or3_b32 v2, v10, v6, v2
.LBB39_684:
	s_or_b64 exec, exec, s[6:7]
	v_lshrrev_b32_e32 v6, 8, v3
	s_movk_i32 s4, 0x7f
	v_cmp_gt_i16_sdwa s[6:7], v6, s4 src0_sel:BYTE_0 src1_sel:DWORD
	s_mov_b64 s[4:5], 0
                                        ; implicit-def: $sgpr10
	s_and_saveexec_b64 s[8:9], s[6:7]
	s_xor_b64 s[6:7], exec, s[8:9]
	s_cbranch_execnz .LBB39_2733
; %bb.685:
	s_or_saveexec_b64 s[6:7], s[6:7]
	v_mov_b32_e32 v10, s10
	s_xor_b64 exec, exec, s[6:7]
	s_cbranch_execnz .LBB39_2736
.LBB39_686:
	s_or_b64 exec, exec, s[6:7]
	s_and_saveexec_b64 s[6:7], s[4:5]
	s_cbranch_execz .LBB39_688
.LBB39_687:
	v_bfe_u32 v10, v3, 8, 3
	v_ffbh_u32_e32 v12, v10
	v_min_u32_e32 v12, 32, v12
	v_lshrrev_b16_e32 v11, 3, v6
	v_subrev_u32_e32 v13, 28, v12
	v_and_b32_e32 v11, 15, v11
	v_lshlrev_b32_e32 v6, v13, v6
	v_sub_u32_e32 v12, 29, v12
	v_and_b32_e32 v6, 7, v6
	v_cmp_eq_u16_e32 vcc, 0, v11
	v_cndmask_b32_e32 v6, v10, v6, vcc
	v_cndmask_b32_e32 v10, v11, v12, vcc
	v_lshlrev_b32_e32 v11, 16, v3
	v_mov_b32_e32 v12, 0x3b800000
	v_lshlrev_b32_e32 v6, 20, v6
	v_and_b32_e32 v11, 0x80000000, v11
	v_lshl_add_u32 v10, v10, 23, v12
	v_or3_b32 v10, v11, v10, v6
.LBB39_688:
	s_or_b64 exec, exec, s[6:7]
	s_nop 0
	v_mfma_f32_16x16x4f32 a[0:3], v2, v10, a[0:3]
	s_movk_i32 s4, 0xff
	v_and_b32_sdwa v6, v7, s4 dst_sel:DWORD dst_unused:UNUSED_PAD src0_sel:WORD_1 src1_sel:DWORD
	s_movk_i32 s4, 0x7f
	v_cmp_lt_i16_e32 vcc, s4, v6
	s_mov_b64 s[4:5], 0
                                        ; implicit-def: $sgpr10
	s_and_saveexec_b64 s[6:7], vcc
	s_xor_b64 s[6:7], exec, s[6:7]
	s_cbranch_execnz .LBB39_2737
; %bb.689:
	s_or_saveexec_b64 s[6:7], s[6:7]
	v_mov_b32_e32 v2, s10
	s_xor_b64 exec, exec, s[6:7]
	s_cbranch_execnz .LBB39_2740
.LBB39_690:
	s_or_b64 exec, exec, s[6:7]
	s_and_saveexec_b64 s[6:7], s[4:5]
	s_cbranch_execz .LBB39_692
.LBB39_691:
	v_bfe_u32 v2, v7, 16, 3
	v_ffbh_u32_e32 v11, v2
	v_min_u32_e32 v11, 32, v11
	v_lshrrev_b32_e32 v6, 19, v7
	v_subrev_u32_e32 v12, 28, v11
	v_and_b32_e32 v6, 15, v6
	v_lshlrev_b32_sdwa v12, v12, v7 dst_sel:DWORD dst_unused:UNUSED_PAD src0_sel:DWORD src1_sel:WORD_1
	v_bfe_u32 v10, v7, 19, 4
	v_sub_u32_e32 v11, 29, v11
	v_and_b32_e32 v12, 7, v12
	v_cmp_eq_u16_e32 vcc, 0, v6
	v_cndmask_b32_e32 v2, v2, v12, vcc
	v_cndmask_b32_e32 v6, v10, v11, vcc
	v_lshlrev_b32_e32 v10, 8, v7
	v_mov_b32_e32 v11, 0x3b800000
	v_lshlrev_b32_e32 v2, 20, v2
	v_and_b32_e32 v10, 0x80000000, v10
	v_lshl_add_u32 v6, v6, 23, v11
	v_or3_b32 v2, v10, v6, v2
.LBB39_692:
	s_or_b64 exec, exec, s[6:7]
	s_movk_i32 s4, 0xff
	v_and_b32_sdwa v6, v3, s4 dst_sel:DWORD dst_unused:UNUSED_PAD src0_sel:WORD_1 src1_sel:DWORD
	s_movk_i32 s4, 0x7f
	v_cmp_lt_i16_e32 vcc, s4, v6
	s_mov_b64 s[4:5], 0
                                        ; implicit-def: $sgpr10
	s_and_saveexec_b64 s[6:7], vcc
	s_xor_b64 s[6:7], exec, s[6:7]
	s_cbranch_execnz .LBB39_2741
; %bb.693:
	s_or_saveexec_b64 s[6:7], s[6:7]
	v_mov_b32_e32 v10, s10
	s_xor_b64 exec, exec, s[6:7]
	s_cbranch_execnz .LBB39_2744
.LBB39_694:
	s_or_b64 exec, exec, s[6:7]
	s_and_saveexec_b64 s[6:7], s[4:5]
	s_cbranch_execz .LBB39_696
.LBB39_695:
	v_bfe_u32 v6, v3, 16, 3
	v_ffbh_u32_e32 v12, v6
	v_min_u32_e32 v12, 32, v12
	v_lshrrev_b32_e32 v10, 19, v3
	v_subrev_u32_e32 v13, 28, v12
	v_and_b32_e32 v10, 15, v10
	v_lshlrev_b32_sdwa v13, v13, v3 dst_sel:DWORD dst_unused:UNUSED_PAD src0_sel:DWORD src1_sel:WORD_1
	v_bfe_u32 v11, v3, 19, 4
	v_sub_u32_e32 v12, 29, v12
	v_and_b32_e32 v13, 7, v13
	v_cmp_eq_u16_e32 vcc, 0, v10
	v_cndmask_b32_e32 v6, v6, v13, vcc
	v_cndmask_b32_e32 v10, v11, v12, vcc
	v_lshlrev_b32_e32 v11, 8, v3
	v_mov_b32_e32 v12, 0x3b800000
	v_lshlrev_b32_e32 v6, 20, v6
	v_and_b32_e32 v11, 0x80000000, v11
	v_lshl_add_u32 v10, v10, 23, v12
	v_or3_b32 v10, v11, v10, v6
.LBB39_696:
	s_or_b64 exec, exec, s[6:7]
	s_nop 0
	v_mfma_f32_16x16x4f32 a[0:3], v2, v10, a[0:3]
	s_movk_i32 s4, 0x7f
	v_cmp_gt_i16_sdwa s[6:7], v7, s4 src0_sel:BYTE_3 src1_sel:DWORD
	s_mov_b64 s[4:5], 0
                                        ; implicit-def: $sgpr10
	s_and_saveexec_b64 s[8:9], s[6:7]
	s_xor_b64 s[6:7], exec, s[8:9]
	s_cbranch_execnz .LBB39_2745
; %bb.697:
	s_or_saveexec_b64 s[6:7], s[6:7]
	v_mov_b32_e32 v2, s10
	s_xor_b64 exec, exec, s[6:7]
	s_cbranch_execnz .LBB39_2748
.LBB39_698:
	s_or_b64 exec, exec, s[6:7]
	s_and_saveexec_b64 s[6:7], s[4:5]
	s_cbranch_execz .LBB39_700
.LBB39_699:
	v_bfe_u32 v2, v7, 24, 3
	v_ffbh_u32_e32 v12, v2
	v_min_u32_e32 v12, 32, v12
	v_lshrrev_b32_e32 v10, 27, v7
	v_subrev_u32_e32 v13, 28, v12
	v_and_b32_e32 v6, 0x80000000, v7
	v_and_b32_e32 v10, 15, v10
	v_bfe_u32 v11, v7, 27, 4
	v_lshlrev_b32_sdwa v7, v13, v7 dst_sel:DWORD dst_unused:UNUSED_PAD src0_sel:DWORD src1_sel:BYTE_3
	v_sub_u32_e32 v12, 29, v12
	v_and_b32_e32 v7, 7, v7
	v_cmp_eq_u16_e32 vcc, 0, v10
	v_cndmask_b32_e32 v2, v2, v7, vcc
	v_cndmask_b32_e32 v7, v11, v12, vcc
	v_mov_b32_e32 v10, 0x3b800000
	v_lshlrev_b32_e32 v2, 20, v2
	v_lshl_add_u32 v7, v7, 23, v10
	v_or3_b32 v2, v6, v7, v2
.LBB39_700:
	s_or_b64 exec, exec, s[6:7]
	s_movk_i32 s4, 0x7f
	v_cmp_gt_i16_sdwa s[6:7], v3, s4 src0_sel:BYTE_3 src1_sel:DWORD
	s_mov_b64 s[4:5], 0
                                        ; implicit-def: $sgpr10
	s_and_saveexec_b64 s[8:9], s[6:7]
	s_xor_b64 s[6:7], exec, s[8:9]
	s_cbranch_execnz .LBB39_2749
; %bb.701:
	s_or_saveexec_b64 s[6:7], s[6:7]
	v_mov_b32_e32 v6, s10
	s_xor_b64 exec, exec, s[6:7]
	s_cbranch_execnz .LBB39_2752
.LBB39_702:
	s_or_b64 exec, exec, s[6:7]
	s_and_saveexec_b64 s[6:7], s[4:5]
	s_cbranch_execz .LBB39_704
.LBB39_703:
	v_bfe_u32 v6, v3, 24, 3
	v_ffbh_u32_e32 v12, v6
	v_min_u32_e32 v12, 32, v12
	v_lshrrev_b32_e32 v10, 27, v3
	v_subrev_u32_e32 v13, 28, v12
	v_and_b32_e32 v7, 0x80000000, v3
	v_and_b32_e32 v10, 15, v10
	v_bfe_u32 v11, v3, 27, 4
	v_lshlrev_b32_sdwa v3, v13, v3 dst_sel:DWORD dst_unused:UNUSED_PAD src0_sel:DWORD src1_sel:BYTE_3
	v_sub_u32_e32 v12, 29, v12
	v_and_b32_e32 v3, 7, v3
	v_cmp_eq_u16_e32 vcc, 0, v10
	v_cndmask_b32_e32 v3, v6, v3, vcc
	v_cndmask_b32_e32 v6, v11, v12, vcc
	v_mov_b32_e32 v10, 0x3b800000
	v_lshlrev_b32_e32 v3, 20, v3
	v_lshl_add_u32 v6, v6, 23, v10
	v_or3_b32 v6, v7, v6, v3
.LBB39_704:
	s_or_b64 exec, exec, s[6:7]
	s_nop 0
	v_mfma_f32_16x16x4f32 a[0:3], v2, v6, a[0:3]
	s_movk_i32 s4, 0x7f
	v_cmp_gt_i16_sdwa s[6:7], v8, s4 src0_sel:BYTE_0 src1_sel:DWORD
	s_mov_b64 s[4:5], 0
                                        ; implicit-def: $sgpr10
	s_and_saveexec_b64 s[8:9], s[6:7]
	s_xor_b64 s[6:7], exec, s[8:9]
	s_cbranch_execnz .LBB39_2753
; %bb.705:
	s_or_saveexec_b64 s[6:7], s[6:7]
	v_mov_b32_e32 v2, s10
	s_xor_b64 exec, exec, s[6:7]
	s_cbranch_execnz .LBB39_2756
.LBB39_706:
	s_or_b64 exec, exec, s[6:7]
	s_and_saveexec_b64 s[6:7], s[4:5]
	s_cbranch_execz .LBB39_708
.LBB39_707:
	v_and_b32_e32 v2, 7, v8
	v_ffbh_u32_e32 v6, v2
	v_min_u32_e32 v6, 32, v6
	v_lshrrev_b16_e32 v3, 3, v8
	v_subrev_u32_e32 v7, 28, v6
	v_and_b32_e32 v3, 15, v3
	v_lshlrev_b32_e32 v7, v7, v8
	v_sub_u32_e32 v6, 29, v6
	v_and_b32_e32 v7, 7, v7
	v_cmp_eq_u16_e32 vcc, 0, v3
	v_cndmask_b32_e32 v2, v2, v7, vcc
	v_cndmask_b32_e32 v3, v3, v6, vcc
	v_lshlrev_b32_e32 v6, 24, v8
	v_mov_b32_e32 v7, 0x3b800000
	v_lshlrev_b32_e32 v2, 20, v2
	v_and_b32_e32 v6, 0x80000000, v6
	v_lshl_add_u32 v3, v3, 23, v7
	v_or3_b32 v2, v6, v3, v2
.LBB39_708:
	s_or_b64 exec, exec, s[6:7]
	s_movk_i32 s4, 0x7f
	v_cmp_gt_i16_sdwa s[6:7], v4, s4 src0_sel:BYTE_0 src1_sel:DWORD
	s_mov_b64 s[4:5], 0
                                        ; implicit-def: $sgpr10
	s_and_saveexec_b64 s[8:9], s[6:7]
	s_xor_b64 s[6:7], exec, s[8:9]
	s_cbranch_execnz .LBB39_2757
; %bb.709:
	s_or_saveexec_b64 s[6:7], s[6:7]
	v_mov_b32_e32 v3, s10
	s_xor_b64 exec, exec, s[6:7]
	s_cbranch_execnz .LBB39_2760
.LBB39_710:
	s_or_b64 exec, exec, s[6:7]
	s_and_saveexec_b64 s[6:7], s[4:5]
	s_cbranch_execz .LBB39_712
.LBB39_711:
	v_and_b32_e32 v3, 7, v4
	v_ffbh_u32_e32 v7, v3
	v_min_u32_e32 v7, 32, v7
	v_lshrrev_b16_e32 v6, 3, v4
	v_subrev_u32_e32 v10, 28, v7
	v_and_b32_e32 v6, 15, v6
	v_lshlrev_b32_e32 v10, v10, v4
	v_sub_u32_e32 v7, 29, v7
	v_and_b32_e32 v10, 7, v10
	v_cmp_eq_u16_e32 vcc, 0, v6
	v_cndmask_b32_e32 v3, v3, v10, vcc
	v_cndmask_b32_e32 v6, v6, v7, vcc
	v_lshlrev_b32_e32 v7, 24, v4
	v_mov_b32_e32 v10, 0x3b800000
	v_lshlrev_b32_e32 v3, 20, v3
	v_and_b32_e32 v7, 0x80000000, v7
	v_lshl_add_u32 v6, v6, 23, v10
	v_or3_b32 v3, v7, v6, v3
.LBB39_712:
	s_or_b64 exec, exec, s[6:7]
	s_nop 0
	v_mfma_f32_16x16x4f32 a[0:3], v2, v3, a[0:3]
	v_lshrrev_b32_e32 v3, 8, v8
	s_movk_i32 s4, 0x7f
	v_cmp_gt_i16_sdwa s[6:7], v3, s4 src0_sel:BYTE_0 src1_sel:DWORD
	s_mov_b64 s[4:5], 0
                                        ; implicit-def: $sgpr10
	s_and_saveexec_b64 s[8:9], s[6:7]
	s_xor_b64 s[6:7], exec, s[8:9]
	s_cbranch_execnz .LBB39_2761
; %bb.713:
	s_or_saveexec_b64 s[6:7], s[6:7]
	v_mov_b32_e32 v2, s10
	s_xor_b64 exec, exec, s[6:7]
	s_cbranch_execnz .LBB39_2764
.LBB39_714:
	s_or_b64 exec, exec, s[6:7]
	s_and_saveexec_b64 s[6:7], s[4:5]
	s_cbranch_execz .LBB39_716
.LBB39_715:
	v_bfe_u32 v2, v8, 8, 3
	v_ffbh_u32_e32 v7, v2
	v_min_u32_e32 v7, 32, v7
	v_lshrrev_b16_e32 v6, 3, v3
	v_subrev_u32_e32 v10, 28, v7
	v_and_b32_e32 v6, 15, v6
	v_lshlrev_b32_e32 v3, v10, v3
	v_sub_u32_e32 v7, 29, v7
	v_and_b32_e32 v3, 7, v3
	v_cmp_eq_u16_e32 vcc, 0, v6
	v_cndmask_b32_e32 v2, v2, v3, vcc
	v_cndmask_b32_e32 v3, v6, v7, vcc
	v_lshlrev_b32_e32 v6, 16, v8
	v_mov_b32_e32 v7, 0x3b800000
	v_lshlrev_b32_e32 v2, 20, v2
	v_and_b32_e32 v6, 0x80000000, v6
	v_lshl_add_u32 v3, v3, 23, v7
	v_or3_b32 v2, v6, v3, v2
.LBB39_716:
	s_or_b64 exec, exec, s[6:7]
	v_lshrrev_b32_e32 v3, 8, v4
	s_movk_i32 s4, 0x7f
	v_cmp_gt_i16_sdwa s[6:7], v3, s4 src0_sel:BYTE_0 src1_sel:DWORD
	s_mov_b64 s[4:5], 0
                                        ; implicit-def: $sgpr10
	s_and_saveexec_b64 s[8:9], s[6:7]
	s_xor_b64 s[6:7], exec, s[8:9]
	s_cbranch_execnz .LBB39_2765
; %bb.717:
	s_or_saveexec_b64 s[6:7], s[6:7]
	v_mov_b32_e32 v6, s10
	s_xor_b64 exec, exec, s[6:7]
	s_cbranch_execnz .LBB39_2768
.LBB39_718:
	s_or_b64 exec, exec, s[6:7]
	s_and_saveexec_b64 s[6:7], s[4:5]
	s_cbranch_execz .LBB39_720
.LBB39_719:
	v_bfe_u32 v6, v4, 8, 3
	v_ffbh_u32_e32 v10, v6
	v_min_u32_e32 v10, 32, v10
	v_lshrrev_b16_e32 v7, 3, v3
	v_subrev_u32_e32 v11, 28, v10
	v_and_b32_e32 v7, 15, v7
	v_lshlrev_b32_e32 v3, v11, v3
	v_sub_u32_e32 v10, 29, v10
	v_and_b32_e32 v3, 7, v3
	v_cmp_eq_u16_e32 vcc, 0, v7
	v_cndmask_b32_e32 v3, v6, v3, vcc
	v_cndmask_b32_e32 v6, v7, v10, vcc
	v_lshlrev_b32_e32 v7, 16, v4
	v_mov_b32_e32 v10, 0x3b800000
	v_lshlrev_b32_e32 v3, 20, v3
	v_and_b32_e32 v7, 0x80000000, v7
	v_lshl_add_u32 v6, v6, 23, v10
	v_or3_b32 v6, v7, v6, v3
.LBB39_720:
	s_or_b64 exec, exec, s[6:7]
	s_nop 0
	v_mfma_f32_16x16x4f32 a[0:3], v2, v6, a[0:3]
	s_movk_i32 s4, 0xff
	v_and_b32_sdwa v3, v8, s4 dst_sel:DWORD dst_unused:UNUSED_PAD src0_sel:WORD_1 src1_sel:DWORD
	s_movk_i32 s4, 0x7f
	v_cmp_lt_i16_e32 vcc, s4, v3
	s_mov_b64 s[4:5], 0
                                        ; implicit-def: $sgpr10
	s_and_saveexec_b64 s[6:7], vcc
	s_xor_b64 s[6:7], exec, s[6:7]
	s_cbranch_execnz .LBB39_2769
; %bb.721:
	s_or_saveexec_b64 s[6:7], s[6:7]
	v_mov_b32_e32 v2, s10
	s_xor_b64 exec, exec, s[6:7]
	s_cbranch_execnz .LBB39_2772
.LBB39_722:
	s_or_b64 exec, exec, s[6:7]
	s_and_saveexec_b64 s[6:7], s[4:5]
	s_cbranch_execz .LBB39_724
.LBB39_723:
	v_bfe_u32 v2, v8, 16, 3
	v_ffbh_u32_e32 v7, v2
	v_min_u32_e32 v7, 32, v7
	v_lshrrev_b32_e32 v3, 19, v8
	v_subrev_u32_e32 v10, 28, v7
	v_and_b32_e32 v3, 15, v3
	v_lshlrev_b32_sdwa v10, v10, v8 dst_sel:DWORD dst_unused:UNUSED_PAD src0_sel:DWORD src1_sel:WORD_1
	v_bfe_u32 v6, v8, 19, 4
	v_sub_u32_e32 v7, 29, v7
	v_and_b32_e32 v10, 7, v10
	v_cmp_eq_u16_e32 vcc, 0, v3
	v_cndmask_b32_e32 v2, v2, v10, vcc
	v_cndmask_b32_e32 v3, v6, v7, vcc
	v_lshlrev_b32_e32 v6, 8, v8
	v_mov_b32_e32 v7, 0x3b800000
	v_lshlrev_b32_e32 v2, 20, v2
	v_and_b32_e32 v6, 0x80000000, v6
	v_lshl_add_u32 v3, v3, 23, v7
	v_or3_b32 v2, v6, v3, v2
.LBB39_724:
	s_or_b64 exec, exec, s[6:7]
	s_movk_i32 s4, 0xff
	v_and_b32_sdwa v3, v4, s4 dst_sel:DWORD dst_unused:UNUSED_PAD src0_sel:WORD_1 src1_sel:DWORD
	s_movk_i32 s4, 0x7f
	v_cmp_lt_i16_e32 vcc, s4, v3
	s_mov_b64 s[4:5], 0
                                        ; implicit-def: $sgpr10
	s_and_saveexec_b64 s[6:7], vcc
	s_xor_b64 s[6:7], exec, s[6:7]
	s_cbranch_execnz .LBB39_2773
; %bb.725:
	s_or_saveexec_b64 s[6:7], s[6:7]
	v_mov_b32_e32 v6, s10
	s_xor_b64 exec, exec, s[6:7]
	s_cbranch_execnz .LBB39_2776
.LBB39_726:
	s_or_b64 exec, exec, s[6:7]
	s_and_saveexec_b64 s[6:7], s[4:5]
	s_cbranch_execz .LBB39_728
.LBB39_727:
	v_bfe_u32 v3, v4, 16, 3
	v_ffbh_u32_e32 v10, v3
	v_min_u32_e32 v10, 32, v10
	v_lshrrev_b32_e32 v6, 19, v4
	v_subrev_u32_e32 v11, 28, v10
	v_and_b32_e32 v6, 15, v6
	v_lshlrev_b32_sdwa v11, v11, v4 dst_sel:DWORD dst_unused:UNUSED_PAD src0_sel:DWORD src1_sel:WORD_1
	v_bfe_u32 v7, v4, 19, 4
	v_sub_u32_e32 v10, 29, v10
	v_and_b32_e32 v11, 7, v11
	v_cmp_eq_u16_e32 vcc, 0, v6
	v_cndmask_b32_e32 v3, v3, v11, vcc
	v_cndmask_b32_e32 v6, v7, v10, vcc
	v_lshlrev_b32_e32 v7, 8, v4
	v_mov_b32_e32 v10, 0x3b800000
	v_lshlrev_b32_e32 v3, 20, v3
	v_and_b32_e32 v7, 0x80000000, v7
	v_lshl_add_u32 v6, v6, 23, v10
	v_or3_b32 v6, v7, v6, v3
.LBB39_728:
	s_or_b64 exec, exec, s[6:7]
	s_nop 0
	v_mfma_f32_16x16x4f32 a[0:3], v2, v6, a[0:3]
	s_movk_i32 s4, 0x7f
	v_cmp_gt_i16_sdwa s[6:7], v8, s4 src0_sel:BYTE_3 src1_sel:DWORD
	s_mov_b64 s[4:5], 0
                                        ; implicit-def: $sgpr10
	s_and_saveexec_b64 s[8:9], s[6:7]
	s_xor_b64 s[6:7], exec, s[8:9]
	s_cbranch_execnz .LBB39_2777
; %bb.729:
	s_or_saveexec_b64 s[6:7], s[6:7]
	v_mov_b32_e32 v2, s10
	s_xor_b64 exec, exec, s[6:7]
	s_cbranch_execnz .LBB39_2780
.LBB39_730:
	s_or_b64 exec, exec, s[6:7]
	s_and_saveexec_b64 s[6:7], s[4:5]
	s_cbranch_execz .LBB39_732
.LBB39_731:
	v_bfe_u32 v2, v8, 24, 3
	v_ffbh_u32_e32 v10, v2
	v_min_u32_e32 v10, 32, v10
	v_lshrrev_b32_e32 v6, 27, v8
	v_subrev_u32_e32 v11, 28, v10
	v_and_b32_e32 v3, 0x80000000, v8
	v_and_b32_e32 v6, 15, v6
	v_bfe_u32 v7, v8, 27, 4
	v_lshlrev_b32_sdwa v8, v11, v8 dst_sel:DWORD dst_unused:UNUSED_PAD src0_sel:DWORD src1_sel:BYTE_3
	v_sub_u32_e32 v10, 29, v10
	v_and_b32_e32 v8, 7, v8
	v_cmp_eq_u16_e32 vcc, 0, v6
	v_cndmask_b32_e32 v2, v2, v8, vcc
	v_cndmask_b32_e32 v6, v7, v10, vcc
	v_mov_b32_e32 v7, 0x3b800000
	v_lshlrev_b32_e32 v2, 20, v2
	v_lshl_add_u32 v6, v6, 23, v7
	v_or3_b32 v2, v3, v6, v2
.LBB39_732:
	s_or_b64 exec, exec, s[6:7]
	s_movk_i32 s4, 0x7f
	v_cmp_gt_i16_sdwa s[6:7], v4, s4 src0_sel:BYTE_3 src1_sel:DWORD
	s_mov_b64 s[4:5], 0
                                        ; implicit-def: $sgpr10
	s_and_saveexec_b64 s[8:9], s[6:7]
	s_xor_b64 s[6:7], exec, s[8:9]
	s_cbranch_execnz .LBB39_2781
; %bb.733:
	s_or_saveexec_b64 s[6:7], s[6:7]
	v_mov_b32_e32 v3, s10
	s_xor_b64 exec, exec, s[6:7]
	s_cbranch_execnz .LBB39_2784
.LBB39_734:
	s_or_b64 exec, exec, s[6:7]
	s_and_saveexec_b64 s[6:7], s[4:5]
	s_cbranch_execz .LBB39_736
.LBB39_735:
	v_bfe_u32 v3, v4, 24, 3
	v_ffbh_u32_e32 v10, v3
	v_min_u32_e32 v10, 32, v10
	v_lshrrev_b32_e32 v7, 27, v4
	v_subrev_u32_e32 v11, 28, v10
	v_and_b32_e32 v6, 0x80000000, v4
	v_and_b32_e32 v7, 15, v7
	v_bfe_u32 v8, v4, 27, 4
	v_lshlrev_b32_sdwa v4, v11, v4 dst_sel:DWORD dst_unused:UNUSED_PAD src0_sel:DWORD src1_sel:BYTE_3
	v_sub_u32_e32 v10, 29, v10
	v_and_b32_e32 v4, 7, v4
	v_cmp_eq_u16_e32 vcc, 0, v7
	v_cndmask_b32_e32 v3, v3, v4, vcc
	v_cndmask_b32_e32 v4, v8, v10, vcc
	v_mov_b32_e32 v7, 0x3b800000
	v_lshlrev_b32_e32 v3, 20, v3
	v_lshl_add_u32 v4, v4, 23, v7
	v_or3_b32 v3, v6, v4, v3
.LBB39_736:
	s_or_b64 exec, exec, s[6:7]
	s_nop 0
	v_mfma_f32_16x16x4f32 a[0:3], v2, v3, a[0:3]
	s_movk_i32 s4, 0x7f
	v_cmp_gt_i16_sdwa s[6:7], v9, s4 src0_sel:BYTE_0 src1_sel:DWORD
	s_mov_b64 s[4:5], 0
                                        ; implicit-def: $sgpr10
	s_and_saveexec_b64 s[8:9], s[6:7]
	s_xor_b64 s[6:7], exec, s[8:9]
	s_cbranch_execnz .LBB39_2785
; %bb.737:
	s_or_saveexec_b64 s[6:7], s[6:7]
	v_mov_b32_e32 v2, s10
	s_xor_b64 exec, exec, s[6:7]
	s_cbranch_execnz .LBB39_2788
.LBB39_738:
	s_or_b64 exec, exec, s[6:7]
	s_and_saveexec_b64 s[6:7], s[4:5]
	s_cbranch_execz .LBB39_740
.LBB39_739:
	v_mov_b32_e32 v2, 8
	v_and_b32_e32 v3, 7, v9
	v_lshrrev_b32_sdwa v2, v2, v9 dst_sel:BYTE_1 dst_unused:UNUSED_PAD src0_sel:DWORD src1_sel:DWORD
	v_ffbh_u32_e32 v4, v3
	v_or_b32_sdwa v2, v9, v2 dst_sel:DWORD dst_unused:UNUSED_PAD src0_sel:BYTE_0 src1_sel:DWORD
	v_min_u32_e32 v4, 32, v4
	v_lshrrev_b16_e32 v2, 3, v2
	v_subrev_u32_e32 v6, 28, v4
	v_and_b32_e32 v2, 15, v2
	v_lshlrev_b32_e32 v6, v6, v9
	v_sub_u32_e32 v4, 29, v4
	v_and_b32_e32 v6, 7, v6
	v_cmp_eq_u16_e32 vcc, 0, v2
	v_cndmask_b32_e32 v3, v3, v6, vcc
	v_cndmask_b32_e32 v2, v2, v4, vcc
	v_lshlrev_b32_e32 v4, 24, v9
	v_mov_b32_e32 v6, 0x3b800000
	v_lshlrev_b32_e32 v3, 20, v3
	v_and_b32_e32 v4, 0x80000000, v4
	v_lshl_add_u32 v2, v2, 23, v6
	v_or3_b32 v2, v4, v2, v3
.LBB39_740:
	s_or_b64 exec, exec, s[6:7]
	s_movk_i32 s4, 0x7f
	v_cmp_gt_i16_sdwa s[6:7], v5, s4 src0_sel:BYTE_0 src1_sel:DWORD
	s_mov_b64 s[4:5], 0
                                        ; implicit-def: $sgpr10
	s_and_saveexec_b64 s[8:9], s[6:7]
	s_xor_b64 s[6:7], exec, s[8:9]
	s_cbranch_execnz .LBB39_2789
; %bb.741:
	s_or_saveexec_b64 s[6:7], s[6:7]
	v_mov_b32_e32 v3, s10
	s_xor_b64 exec, exec, s[6:7]
	s_cbranch_execnz .LBB39_2792
.LBB39_742:
	s_or_b64 exec, exec, s[6:7]
	s_and_saveexec_b64 s[6:7], s[4:5]
	s_cbranch_execz .LBB39_744
.LBB39_743:
	v_mov_b32_e32 v3, 8
	v_and_b32_e32 v4, 7, v5
	v_lshrrev_b32_sdwa v3, v3, v5 dst_sel:BYTE_1 dst_unused:UNUSED_PAD src0_sel:DWORD src1_sel:DWORD
	v_ffbh_u32_e32 v6, v4
	v_or_b32_sdwa v3, v5, v3 dst_sel:DWORD dst_unused:UNUSED_PAD src0_sel:BYTE_0 src1_sel:DWORD
	v_min_u32_e32 v6, 32, v6
	v_lshrrev_b16_e32 v3, 3, v3
	v_subrev_u32_e32 v7, 28, v6
	v_and_b32_e32 v3, 15, v3
	v_lshlrev_b32_e32 v7, v7, v5
	v_sub_u32_e32 v6, 29, v6
	v_and_b32_e32 v7, 7, v7
	v_cmp_eq_u16_e32 vcc, 0, v3
	v_cndmask_b32_e32 v4, v4, v7, vcc
	v_cndmask_b32_e32 v3, v3, v6, vcc
	v_lshlrev_b32_e32 v6, 24, v5
	v_mov_b32_e32 v7, 0x3b800000
	v_lshlrev_b32_e32 v4, 20, v4
	v_and_b32_e32 v6, 0x80000000, v6
	v_lshl_add_u32 v3, v3, 23, v7
	v_or3_b32 v3, v6, v3, v4
.LBB39_744:
	s_or_b64 exec, exec, s[6:7]
	s_nop 0
	v_mfma_f32_16x16x4f32 a[0:3], v2, v3, a[0:3]
	v_lshrrev_b32_e32 v3, 8, v9
	s_movk_i32 s4, 0x7f
	v_cmp_gt_i16_sdwa s[6:7], v3, s4 src0_sel:BYTE_0 src1_sel:DWORD
	s_mov_b64 s[4:5], 0
                                        ; implicit-def: $sgpr10
	s_and_saveexec_b64 s[8:9], s[6:7]
	s_xor_b64 s[6:7], exec, s[8:9]
	s_cbranch_execnz .LBB39_2793
; %bb.745:
	s_or_saveexec_b64 s[6:7], s[6:7]
	v_mov_b32_e32 v2, s10
	s_xor_b64 exec, exec, s[6:7]
	s_cbranch_execnz .LBB39_2796
.LBB39_746:
	s_or_b64 exec, exec, s[6:7]
	s_and_saveexec_b64 s[6:7], s[4:5]
	s_cbranch_execz .LBB39_748
.LBB39_747:
	v_bfe_u32 v2, v9, 8, 3
	v_ffbh_u32_e32 v6, v2
	v_min_u32_e32 v6, 32, v6
	v_lshrrev_b16_e32 v4, 3, v3
	v_subrev_u32_e32 v7, 28, v6
	v_and_b32_e32 v4, 15, v4
	v_lshlrev_b32_e32 v3, v7, v3
	v_sub_u32_e32 v6, 29, v6
	v_and_b32_e32 v3, 7, v3
	v_cmp_eq_u16_e32 vcc, 0, v4
	v_cndmask_b32_e32 v2, v2, v3, vcc
	v_cndmask_b32_e32 v3, v4, v6, vcc
	v_lshlrev_b32_e32 v4, 16, v9
	v_mov_b32_e32 v6, 0x3b800000
	v_lshlrev_b32_e32 v2, 20, v2
	v_and_b32_e32 v4, 0x80000000, v4
	v_lshl_add_u32 v3, v3, 23, v6
	v_or3_b32 v2, v4, v3, v2
.LBB39_748:
	s_or_b64 exec, exec, s[6:7]
	v_lshrrev_b32_e32 v3, 8, v5
	s_movk_i32 s4, 0x7f
	v_cmp_gt_i16_sdwa s[6:7], v3, s4 src0_sel:BYTE_0 src1_sel:DWORD
	s_mov_b64 s[4:5], 0
                                        ; implicit-def: $sgpr10
	s_and_saveexec_b64 s[8:9], s[6:7]
	s_xor_b64 s[6:7], exec, s[8:9]
	s_cbranch_execnz .LBB39_2797
; %bb.749:
	s_or_saveexec_b64 s[6:7], s[6:7]
	v_mov_b32_e32 v4, s10
	s_xor_b64 exec, exec, s[6:7]
	s_cbranch_execnz .LBB39_2800
.LBB39_750:
	s_or_b64 exec, exec, s[6:7]
	s_and_saveexec_b64 s[6:7], s[4:5]
	s_cbranch_execz .LBB39_752
.LBB39_751:
	v_bfe_u32 v4, v5, 8, 3
	v_ffbh_u32_e32 v7, v4
	v_min_u32_e32 v7, 32, v7
	v_lshrrev_b16_e32 v6, 3, v3
	v_subrev_u32_e32 v8, 28, v7
	v_and_b32_e32 v6, 15, v6
	v_lshlrev_b32_e32 v3, v8, v3
	v_sub_u32_e32 v7, 29, v7
	v_and_b32_e32 v3, 7, v3
	v_cmp_eq_u16_e32 vcc, 0, v6
	v_cndmask_b32_e32 v3, v4, v3, vcc
	v_cndmask_b32_e32 v4, v6, v7, vcc
	v_lshlrev_b32_e32 v6, 16, v5
	v_mov_b32_e32 v7, 0x3b800000
	v_lshlrev_b32_e32 v3, 20, v3
	v_and_b32_e32 v6, 0x80000000, v6
	v_lshl_add_u32 v4, v4, 23, v7
	v_or3_b32 v4, v6, v4, v3
.LBB39_752:
	s_or_b64 exec, exec, s[6:7]
	s_nop 0
	v_mfma_f32_16x16x4f32 a[0:3], v2, v4, a[0:3]
	s_movk_i32 s4, 0xff
	v_and_b32_sdwa v3, v9, s4 dst_sel:DWORD dst_unused:UNUSED_PAD src0_sel:WORD_1 src1_sel:DWORD
	s_movk_i32 s4, 0x7f
	v_cmp_lt_i16_e32 vcc, s4, v3
	s_mov_b64 s[4:5], 0
                                        ; implicit-def: $sgpr10
	s_and_saveexec_b64 s[6:7], vcc
	s_xor_b64 s[6:7], exec, s[6:7]
	s_cbranch_execnz .LBB39_2801
; %bb.753:
	s_or_saveexec_b64 s[6:7], s[6:7]
	v_mov_b32_e32 v2, s10
	s_xor_b64 exec, exec, s[6:7]
	s_cbranch_execnz .LBB39_2804
.LBB39_754:
	s_or_b64 exec, exec, s[6:7]
	s_and_saveexec_b64 s[6:7], s[4:5]
	s_cbranch_execz .LBB39_756
.LBB39_755:
	v_bfe_u32 v2, v9, 16, 3
	v_ffbh_u32_e32 v6, v2
	v_min_u32_e32 v6, 32, v6
	v_lshrrev_b32_e32 v3, 19, v9
	v_subrev_u32_e32 v7, 28, v6
	v_and_b32_e32 v3, 15, v3
	v_lshlrev_b32_sdwa v7, v7, v9 dst_sel:DWORD dst_unused:UNUSED_PAD src0_sel:DWORD src1_sel:WORD_1
	v_bfe_u32 v4, v9, 19, 4
	v_sub_u32_e32 v6, 29, v6
	v_and_b32_e32 v7, 7, v7
	v_cmp_eq_u16_e32 vcc, 0, v3
	v_cndmask_b32_e32 v2, v2, v7, vcc
	v_cndmask_b32_e32 v3, v4, v6, vcc
	v_lshlrev_b32_e32 v4, 8, v9
	v_mov_b32_e32 v6, 0x3b800000
	v_lshlrev_b32_e32 v2, 20, v2
	v_and_b32_e32 v4, 0x80000000, v4
	v_lshl_add_u32 v3, v3, 23, v6
	v_or3_b32 v2, v4, v3, v2
.LBB39_756:
	s_or_b64 exec, exec, s[6:7]
	s_movk_i32 s4, 0xff
	v_and_b32_sdwa v3, v5, s4 dst_sel:DWORD dst_unused:UNUSED_PAD src0_sel:WORD_1 src1_sel:DWORD
	s_movk_i32 s4, 0x7f
	v_cmp_lt_i16_e32 vcc, s4, v3
	s_mov_b64 s[4:5], 0
                                        ; implicit-def: $sgpr10
	s_and_saveexec_b64 s[6:7], vcc
	s_xor_b64 s[6:7], exec, s[6:7]
	s_cbranch_execnz .LBB39_2805
; %bb.757:
	s_or_saveexec_b64 s[6:7], s[6:7]
	v_mov_b32_e32 v4, s10
	s_xor_b64 exec, exec, s[6:7]
	s_cbranch_execnz .LBB39_2808
.LBB39_758:
	s_or_b64 exec, exec, s[6:7]
	s_and_saveexec_b64 s[6:7], s[4:5]
	s_cbranch_execz .LBB39_760
.LBB39_759:
	v_bfe_u32 v3, v5, 16, 3
	v_ffbh_u32_e32 v7, v3
	v_min_u32_e32 v7, 32, v7
	v_lshrrev_b32_e32 v4, 19, v5
	v_subrev_u32_e32 v8, 28, v7
	v_and_b32_e32 v4, 15, v4
	v_lshlrev_b32_sdwa v8, v8, v5 dst_sel:DWORD dst_unused:UNUSED_PAD src0_sel:DWORD src1_sel:WORD_1
	v_bfe_u32 v6, v5, 19, 4
	v_sub_u32_e32 v7, 29, v7
	v_and_b32_e32 v8, 7, v8
	v_cmp_eq_u16_e32 vcc, 0, v4
	v_cndmask_b32_e32 v3, v3, v8, vcc
	v_cndmask_b32_e32 v4, v6, v7, vcc
	v_lshlrev_b32_e32 v6, 8, v5
	v_mov_b32_e32 v7, 0x3b800000
	v_lshlrev_b32_e32 v3, 20, v3
	v_and_b32_e32 v6, 0x80000000, v6
	v_lshl_add_u32 v4, v4, 23, v7
	v_or3_b32 v4, v6, v4, v3
.LBB39_760:
	s_or_b64 exec, exec, s[6:7]
	s_nop 0
	v_mfma_f32_16x16x4f32 a[0:3], v2, v4, a[0:3]
	s_movk_i32 s4, 0x7f
	v_cmp_gt_i16_sdwa s[6:7], v9, s4 src0_sel:BYTE_3 src1_sel:DWORD
	s_mov_b64 s[4:5], 0
                                        ; implicit-def: $sgpr10
	s_and_saveexec_b64 s[8:9], s[6:7]
	s_xor_b64 s[6:7], exec, s[8:9]
	s_cbranch_execnz .LBB39_2809
; %bb.761:
	s_or_saveexec_b64 s[6:7], s[6:7]
	v_mov_b32_e32 v2, s10
	s_xor_b64 exec, exec, s[6:7]
	s_cbranch_execnz .LBB39_2812
.LBB39_762:
	s_or_b64 exec, exec, s[6:7]
	s_and_saveexec_b64 s[6:7], s[4:5]
	s_cbranch_execz .LBB39_764
.LBB39_763:
	v_bfe_u32 v2, v9, 24, 3
	v_ffbh_u32_e32 v7, v2
	v_min_u32_e32 v7, 32, v7
	v_lshrrev_b32_e32 v4, 27, v9
	v_subrev_u32_e32 v8, 28, v7
	v_and_b32_e32 v4, 15, v4
	v_lshlrev_b32_sdwa v8, v8, v9 dst_sel:DWORD dst_unused:UNUSED_PAD src0_sel:DWORD src1_sel:BYTE_3
	v_bfe_u32 v6, v9, 27, 4
	v_sub_u32_e32 v7, 29, v7
	v_and_b32_e32 v8, 7, v8
	v_cmp_eq_u16_e32 vcc, 0, v4
	v_cndmask_b32_e32 v2, v2, v8, vcc
	v_cndmask_b32_e32 v4, v6, v7, vcc
	v_mov_b32_e32 v6, 0x3b800000
	v_and_b32_e32 v3, 0x80000000, v9
	v_lshlrev_b32_e32 v2, 20, v2
	v_lshl_add_u32 v4, v4, 23, v6
	v_or3_b32 v2, v3, v4, v2
.LBB39_764:
	s_or_b64 exec, exec, s[6:7]
	s_movk_i32 s4, 0x7f
	v_cmp_gt_i16_sdwa s[6:7], v5, s4 src0_sel:BYTE_3 src1_sel:DWORD
	s_mov_b64 s[4:5], 0
                                        ; implicit-def: $sgpr10
	s_and_saveexec_b64 s[8:9], s[6:7]
	s_xor_b64 s[6:7], exec, s[8:9]
	s_cbranch_execnz .LBB39_2813
; %bb.765:
	s_or_saveexec_b64 s[6:7], s[6:7]
	v_mov_b32_e32 v3, s10
	s_xor_b64 exec, exec, s[6:7]
	s_cbranch_execnz .LBB39_2816
.LBB39_766:
	s_or_b64 exec, exec, s[6:7]
	s_and_saveexec_b64 s[6:7], s[4:5]
	s_cbranch_execz .LBB39_768
.LBB39_767:
	v_bfe_u32 v3, v5, 24, 3
	v_ffbh_u32_e32 v8, v3
	v_min_u32_e32 v8, 32, v8
	v_lshrrev_b32_e32 v6, 27, v5
	v_subrev_u32_e32 v9, 28, v8
	v_and_b32_e32 v4, 0x80000000, v5
	v_and_b32_e32 v6, 15, v6
	v_bfe_u32 v7, v5, 27, 4
	v_lshlrev_b32_sdwa v5, v9, v5 dst_sel:DWORD dst_unused:UNUSED_PAD src0_sel:DWORD src1_sel:BYTE_3
	v_sub_u32_e32 v8, 29, v8
	v_and_b32_e32 v5, 7, v5
	v_cmp_eq_u16_e32 vcc, 0, v6
	v_cndmask_b32_e32 v3, v3, v5, vcc
	v_cndmask_b32_e32 v5, v7, v8, vcc
	v_mov_b32_e32 v6, 0x3b800000
	v_lshlrev_b32_e32 v3, 20, v3
	v_lshl_add_u32 v5, v5, 23, v6
	v_or3_b32 v3, v4, v5, v3
.LBB39_768:
	s_or_b64 exec, exec, s[6:7]
	s_nop 0
	v_mfma_f32_16x16x4f32 a[0:3], v2, v3, a[0:3]
	s_movk_i32 s4, 0x7f
                                        ; implicit-def: $sgpr10
	s_nop 7
	s_nop 1
	flat_store_dwordx4 v[18:19], a[0:3] offset:416
	flat_load_dwordx4 v[20:23], v[0:1] offset:16
	s_nop 0
	flat_load_dwordx2 v[18:19], v[0:1] offset:32
	s_waitcnt vmcnt(0) lgkmcnt(0)
	flat_load_dwordx4 v[14:17], v[20:21] offset:32
	flat_load_dwordx4 v[6:9], v[20:21] offset:48
	;; [unrolled: 1-line block ×4, first 2 shown]
	s_waitcnt vmcnt(0) lgkmcnt(0)
	v_cmp_gt_i16_sdwa s[6:7], v14, s4 src0_sel:BYTE_0 src1_sel:DWORD
	s_mov_b64 s[4:5], 0
	s_and_saveexec_b64 s[8:9], s[6:7]
	s_xor_b64 s[6:7], exec, s[8:9]
	s_cbranch_execnz .LBB39_2817
; %bb.769:
	s_or_saveexec_b64 s[6:7], s[6:7]
	v_mov_b32_e32 v20, s10
	s_xor_b64 exec, exec, s[6:7]
	s_cbranch_execnz .LBB39_2820
.LBB39_770:
	s_or_b64 exec, exec, s[6:7]
	s_and_saveexec_b64 s[6:7], s[4:5]
	s_cbranch_execz .LBB39_772
.LBB39_771:
	v_and_b32_e32 v20, 7, v14
	v_ffbh_u32_e32 v22, v20
	v_min_u32_e32 v22, 32, v22
	v_lshrrev_b16_e32 v21, 3, v14
	v_subrev_u32_e32 v23, 28, v22
	v_and_b32_e32 v21, 15, v21
	v_lshlrev_b32_e32 v23, v23, v14
	v_sub_u32_e32 v22, 29, v22
	v_and_b32_e32 v23, 7, v23
	v_cmp_eq_u16_e32 vcc, 0, v21
	v_cndmask_b32_e32 v20, v20, v23, vcc
	v_cndmask_b32_e32 v21, v21, v22, vcc
	v_lshlrev_b32_e32 v22, 24, v14
	v_mov_b32_e32 v23, 0x3b800000
	v_lshlrev_b32_e32 v20, 20, v20
	v_and_b32_e32 v22, 0x80000000, v22
	v_lshl_add_u32 v21, v21, 23, v23
	v_or3_b32 v20, v22, v21, v20
.LBB39_772:
	s_or_b64 exec, exec, s[6:7]
	s_movk_i32 s4, 0x7f
	v_cmp_gt_i16_sdwa s[6:7], v10, s4 src0_sel:BYTE_0 src1_sel:DWORD
	s_mov_b64 s[4:5], 0
                                        ; implicit-def: $sgpr10
	s_and_saveexec_b64 s[8:9], s[6:7]
	s_xor_b64 s[6:7], exec, s[8:9]
	s_cbranch_execnz .LBB39_2821
; %bb.773:
	s_or_saveexec_b64 s[6:7], s[6:7]
	v_mov_b32_e32 v21, s10
	s_xor_b64 exec, exec, s[6:7]
	s_cbranch_execnz .LBB39_2824
.LBB39_774:
	s_or_b64 exec, exec, s[6:7]
	s_and_saveexec_b64 s[6:7], s[4:5]
	s_cbranch_execz .LBB39_776
.LBB39_775:
	v_and_b32_e32 v21, 7, v10
	v_ffbh_u32_e32 v23, v21
	v_min_u32_e32 v23, 32, v23
	v_lshrrev_b16_e32 v22, 3, v10
	v_subrev_u32_e32 v24, 28, v23
	v_and_b32_e32 v22, 15, v22
	v_lshlrev_b32_e32 v24, v24, v10
	v_sub_u32_e32 v23, 29, v23
	v_and_b32_e32 v24, 7, v24
	v_cmp_eq_u16_e32 vcc, 0, v22
	v_cndmask_b32_e32 v21, v21, v24, vcc
	v_cndmask_b32_e32 v22, v22, v23, vcc
	v_lshlrev_b32_e32 v23, 24, v10
	v_mov_b32_e32 v24, 0x3b800000
	v_lshlrev_b32_e32 v21, 20, v21
	v_and_b32_e32 v23, 0x80000000, v23
	v_lshl_add_u32 v22, v22, 23, v24
	v_or3_b32 v21, v23, v22, v21
.LBB39_776:
	s_or_b64 exec, exec, s[6:7]
	flat_load_dwordx4 a[0:3], v[18:19] offset:432
	s_movk_i32 s4, 0x7f
                                        ; implicit-def: $sgpr10
	s_waitcnt vmcnt(0) lgkmcnt(0)
	v_mfma_f32_16x16x4f32 a[0:3], v20, v21, a[0:3]
	v_lshrrev_b32_e32 v21, 8, v14
	v_cmp_gt_i16_sdwa s[6:7], v21, s4 src0_sel:BYTE_0 src1_sel:DWORD
	s_mov_b64 s[4:5], 0
	s_and_saveexec_b64 s[8:9], s[6:7]
	s_xor_b64 s[6:7], exec, s[8:9]
	s_cbranch_execnz .LBB39_2825
; %bb.777:
	s_or_saveexec_b64 s[6:7], s[6:7]
	v_mov_b32_e32 v20, s10
	s_xor_b64 exec, exec, s[6:7]
	s_cbranch_execnz .LBB39_2828
.LBB39_778:
	s_or_b64 exec, exec, s[6:7]
	s_and_saveexec_b64 s[6:7], s[4:5]
	s_cbranch_execz .LBB39_780
.LBB39_779:
	v_bfe_u32 v20, v14, 8, 3
	v_ffbh_u32_e32 v23, v20
	v_min_u32_e32 v23, 32, v23
	v_lshrrev_b16_e32 v22, 3, v21
	v_subrev_u32_e32 v24, 28, v23
	v_and_b32_e32 v22, 15, v22
	v_lshlrev_b32_e32 v21, v24, v21
	v_sub_u32_e32 v23, 29, v23
	v_and_b32_e32 v21, 7, v21
	v_cmp_eq_u16_e32 vcc, 0, v22
	v_cndmask_b32_e32 v20, v20, v21, vcc
	v_cndmask_b32_e32 v21, v22, v23, vcc
	v_lshlrev_b32_e32 v22, 16, v14
	v_mov_b32_e32 v23, 0x3b800000
	v_lshlrev_b32_e32 v20, 20, v20
	v_and_b32_e32 v22, 0x80000000, v22
	v_lshl_add_u32 v21, v21, 23, v23
	v_or3_b32 v20, v22, v21, v20
.LBB39_780:
	s_or_b64 exec, exec, s[6:7]
	v_lshrrev_b32_e32 v21, 8, v10
	s_movk_i32 s4, 0x7f
	v_cmp_gt_i16_sdwa s[6:7], v21, s4 src0_sel:BYTE_0 src1_sel:DWORD
	s_mov_b64 s[4:5], 0
                                        ; implicit-def: $sgpr10
	s_and_saveexec_b64 s[8:9], s[6:7]
	s_xor_b64 s[6:7], exec, s[8:9]
	s_cbranch_execnz .LBB39_2829
; %bb.781:
	s_or_saveexec_b64 s[6:7], s[6:7]
	v_mov_b32_e32 v22, s10
	s_xor_b64 exec, exec, s[6:7]
	s_cbranch_execnz .LBB39_2832
.LBB39_782:
	s_or_b64 exec, exec, s[6:7]
	s_and_saveexec_b64 s[6:7], s[4:5]
	s_cbranch_execz .LBB39_784
.LBB39_783:
	v_bfe_u32 v22, v10, 8, 3
	v_ffbh_u32_e32 v24, v22
	v_min_u32_e32 v24, 32, v24
	v_lshrrev_b16_e32 v23, 3, v21
	v_subrev_u32_e32 v25, 28, v24
	v_and_b32_e32 v23, 15, v23
	v_lshlrev_b32_e32 v21, v25, v21
	v_sub_u32_e32 v24, 29, v24
	v_and_b32_e32 v21, 7, v21
	v_cmp_eq_u16_e32 vcc, 0, v23
	v_cndmask_b32_e32 v21, v22, v21, vcc
	v_cndmask_b32_e32 v22, v23, v24, vcc
	v_lshlrev_b32_e32 v23, 16, v10
	v_mov_b32_e32 v24, 0x3b800000
	v_lshlrev_b32_e32 v21, 20, v21
	v_and_b32_e32 v23, 0x80000000, v23
	v_lshl_add_u32 v22, v22, 23, v24
	v_or3_b32 v22, v23, v22, v21
.LBB39_784:
	s_or_b64 exec, exec, s[6:7]
	s_nop 0
	v_mfma_f32_16x16x4f32 a[0:3], v20, v22, a[0:3]
	s_movk_i32 s4, 0xff
	v_and_b32_sdwa v21, v14, s4 dst_sel:DWORD dst_unused:UNUSED_PAD src0_sel:WORD_1 src1_sel:DWORD
	s_movk_i32 s4, 0x7f
	v_cmp_lt_i16_e32 vcc, s4, v21
	s_mov_b64 s[4:5], 0
                                        ; implicit-def: $sgpr10
	s_and_saveexec_b64 s[6:7], vcc
	s_xor_b64 s[6:7], exec, s[6:7]
	s_cbranch_execnz .LBB39_2833
; %bb.785:
	s_or_saveexec_b64 s[6:7], s[6:7]
	v_mov_b32_e32 v20, s10
	s_xor_b64 exec, exec, s[6:7]
	s_cbranch_execnz .LBB39_2836
.LBB39_786:
	s_or_b64 exec, exec, s[6:7]
	s_and_saveexec_b64 s[6:7], s[4:5]
	s_cbranch_execz .LBB39_788
.LBB39_787:
	v_bfe_u32 v20, v14, 16, 3
	v_ffbh_u32_e32 v23, v20
	v_min_u32_e32 v23, 32, v23
	v_lshrrev_b32_e32 v21, 19, v14
	v_subrev_u32_e32 v24, 28, v23
	v_and_b32_e32 v21, 15, v21
	v_lshlrev_b32_sdwa v24, v24, v14 dst_sel:DWORD dst_unused:UNUSED_PAD src0_sel:DWORD src1_sel:WORD_1
	v_bfe_u32 v22, v14, 19, 4
	v_sub_u32_e32 v23, 29, v23
	v_and_b32_e32 v24, 7, v24
	v_cmp_eq_u16_e32 vcc, 0, v21
	v_cndmask_b32_e32 v20, v20, v24, vcc
	v_cndmask_b32_e32 v21, v22, v23, vcc
	v_lshlrev_b32_e32 v22, 8, v14
	v_mov_b32_e32 v23, 0x3b800000
	v_lshlrev_b32_e32 v20, 20, v20
	v_and_b32_e32 v22, 0x80000000, v22
	v_lshl_add_u32 v21, v21, 23, v23
	v_or3_b32 v20, v22, v21, v20
.LBB39_788:
	s_or_b64 exec, exec, s[6:7]
	s_movk_i32 s4, 0xff
	v_and_b32_sdwa v21, v10, s4 dst_sel:DWORD dst_unused:UNUSED_PAD src0_sel:WORD_1 src1_sel:DWORD
	s_movk_i32 s4, 0x7f
	v_cmp_lt_i16_e32 vcc, s4, v21
	s_mov_b64 s[4:5], 0
                                        ; implicit-def: $sgpr10
	s_and_saveexec_b64 s[6:7], vcc
	s_xor_b64 s[6:7], exec, s[6:7]
	s_cbranch_execnz .LBB39_2837
; %bb.789:
	s_or_saveexec_b64 s[6:7], s[6:7]
	v_mov_b32_e32 v22, s10
	s_xor_b64 exec, exec, s[6:7]
	s_cbranch_execnz .LBB39_2840
.LBB39_790:
	s_or_b64 exec, exec, s[6:7]
	s_and_saveexec_b64 s[6:7], s[4:5]
	s_cbranch_execz .LBB39_792
.LBB39_791:
	v_bfe_u32 v21, v10, 16, 3
	v_ffbh_u32_e32 v24, v21
	v_min_u32_e32 v24, 32, v24
	v_lshrrev_b32_e32 v22, 19, v10
	v_subrev_u32_e32 v25, 28, v24
	v_and_b32_e32 v22, 15, v22
	v_lshlrev_b32_sdwa v25, v25, v10 dst_sel:DWORD dst_unused:UNUSED_PAD src0_sel:DWORD src1_sel:WORD_1
	v_bfe_u32 v23, v10, 19, 4
	v_sub_u32_e32 v24, 29, v24
	v_and_b32_e32 v25, 7, v25
	v_cmp_eq_u16_e32 vcc, 0, v22
	v_cndmask_b32_e32 v21, v21, v25, vcc
	v_cndmask_b32_e32 v22, v23, v24, vcc
	v_lshlrev_b32_e32 v23, 8, v10
	v_mov_b32_e32 v24, 0x3b800000
	v_lshlrev_b32_e32 v21, 20, v21
	v_and_b32_e32 v23, 0x80000000, v23
	v_lshl_add_u32 v22, v22, 23, v24
	v_or3_b32 v22, v23, v22, v21
.LBB39_792:
	s_or_b64 exec, exec, s[6:7]
	s_nop 0
	v_mfma_f32_16x16x4f32 a[0:3], v20, v22, a[0:3]
	s_movk_i32 s4, 0x7f
	v_cmp_gt_i16_sdwa s[6:7], v14, s4 src0_sel:BYTE_3 src1_sel:DWORD
	s_mov_b64 s[4:5], 0
                                        ; implicit-def: $sgpr10
	s_and_saveexec_b64 s[8:9], s[6:7]
	s_xor_b64 s[6:7], exec, s[8:9]
	s_cbranch_execnz .LBB39_2841
; %bb.793:
	s_or_saveexec_b64 s[6:7], s[6:7]
	v_mov_b32_e32 v20, s10
	s_xor_b64 exec, exec, s[6:7]
	s_cbranch_execnz .LBB39_2844
.LBB39_794:
	s_or_b64 exec, exec, s[6:7]
	s_and_saveexec_b64 s[6:7], s[4:5]
	s_cbranch_execz .LBB39_796
.LBB39_795:
	v_bfe_u32 v20, v14, 24, 3
	v_ffbh_u32_e32 v24, v20
	v_min_u32_e32 v24, 32, v24
	v_lshrrev_b32_e32 v22, 27, v14
	v_subrev_u32_e32 v25, 28, v24
	v_and_b32_e32 v21, 0x80000000, v14
	v_and_b32_e32 v22, 15, v22
	v_bfe_u32 v23, v14, 27, 4
	v_lshlrev_b32_sdwa v14, v25, v14 dst_sel:DWORD dst_unused:UNUSED_PAD src0_sel:DWORD src1_sel:BYTE_3
	v_sub_u32_e32 v24, 29, v24
	v_and_b32_e32 v14, 7, v14
	v_cmp_eq_u16_e32 vcc, 0, v22
	v_cndmask_b32_e32 v14, v20, v14, vcc
	v_cndmask_b32_e32 v20, v23, v24, vcc
	v_mov_b32_e32 v22, 0x3b800000
	v_lshlrev_b32_e32 v14, 20, v14
	v_lshl_add_u32 v20, v20, 23, v22
	v_or3_b32 v20, v21, v20, v14
.LBB39_796:
	s_or_b64 exec, exec, s[6:7]
	s_movk_i32 s4, 0x7f
	v_cmp_gt_i16_sdwa s[6:7], v10, s4 src0_sel:BYTE_3 src1_sel:DWORD
	s_mov_b64 s[4:5], 0
                                        ; implicit-def: $sgpr10
	s_and_saveexec_b64 s[8:9], s[6:7]
	s_xor_b64 s[6:7], exec, s[8:9]
	s_cbranch_execnz .LBB39_2845
; %bb.797:
	s_or_saveexec_b64 s[6:7], s[6:7]
	v_mov_b32_e32 v14, s10
	s_xor_b64 exec, exec, s[6:7]
	s_cbranch_execnz .LBB39_2848
.LBB39_798:
	s_or_b64 exec, exec, s[6:7]
	s_and_saveexec_b64 s[6:7], s[4:5]
	s_cbranch_execz .LBB39_800
.LBB39_799:
	v_bfe_u32 v14, v10, 24, 3
	v_ffbh_u32_e32 v24, v14
	v_min_u32_e32 v24, 32, v24
	v_lshrrev_b32_e32 v22, 27, v10
	v_subrev_u32_e32 v25, 28, v24
	v_and_b32_e32 v21, 0x80000000, v10
	v_and_b32_e32 v22, 15, v22
	v_bfe_u32 v23, v10, 27, 4
	v_lshlrev_b32_sdwa v10, v25, v10 dst_sel:DWORD dst_unused:UNUSED_PAD src0_sel:DWORD src1_sel:BYTE_3
	v_sub_u32_e32 v24, 29, v24
	v_and_b32_e32 v10, 7, v10
	v_cmp_eq_u16_e32 vcc, 0, v22
	v_cndmask_b32_e32 v10, v14, v10, vcc
	v_cndmask_b32_e32 v14, v23, v24, vcc
	v_mov_b32_e32 v22, 0x3b800000
	v_lshlrev_b32_e32 v10, 20, v10
	v_lshl_add_u32 v14, v14, 23, v22
	v_or3_b32 v14, v21, v14, v10
.LBB39_800:
	s_or_b64 exec, exec, s[6:7]
	s_nop 0
	v_mfma_f32_16x16x4f32 a[0:3], v20, v14, a[0:3]
	s_movk_i32 s4, 0x7f
	v_cmp_gt_i16_sdwa s[6:7], v15, s4 src0_sel:BYTE_0 src1_sel:DWORD
	s_mov_b64 s[4:5], 0
                                        ; implicit-def: $sgpr10
	s_and_saveexec_b64 s[8:9], s[6:7]
	s_xor_b64 s[6:7], exec, s[8:9]
	s_cbranch_execnz .LBB39_2849
; %bb.801:
	s_or_saveexec_b64 s[6:7], s[6:7]
	v_mov_b32_e32 v10, s10
	s_xor_b64 exec, exec, s[6:7]
	s_cbranch_execnz .LBB39_2852
.LBB39_802:
	s_or_b64 exec, exec, s[6:7]
	s_and_saveexec_b64 s[6:7], s[4:5]
	s_cbranch_execz .LBB39_804
.LBB39_803:
	v_and_b32_e32 v10, 7, v15
	v_ffbh_u32_e32 v20, v10
	v_min_u32_e32 v20, 32, v20
	v_lshrrev_b16_e32 v14, 3, v15
	v_subrev_u32_e32 v21, 28, v20
	v_and_b32_e32 v14, 15, v14
	v_lshlrev_b32_e32 v21, v21, v15
	v_sub_u32_e32 v20, 29, v20
	v_and_b32_e32 v21, 7, v21
	v_cmp_eq_u16_e32 vcc, 0, v14
	v_cndmask_b32_e32 v10, v10, v21, vcc
	v_cndmask_b32_e32 v14, v14, v20, vcc
	v_lshlrev_b32_e32 v20, 24, v15
	v_mov_b32_e32 v21, 0x3b800000
	v_lshlrev_b32_e32 v10, 20, v10
	v_and_b32_e32 v20, 0x80000000, v20
	v_lshl_add_u32 v14, v14, 23, v21
	v_or3_b32 v10, v20, v14, v10
.LBB39_804:
	s_or_b64 exec, exec, s[6:7]
	s_movk_i32 s4, 0x7f
	v_cmp_gt_i16_sdwa s[6:7], v11, s4 src0_sel:BYTE_0 src1_sel:DWORD
	s_mov_b64 s[4:5], 0
                                        ; implicit-def: $sgpr10
	s_and_saveexec_b64 s[8:9], s[6:7]
	s_xor_b64 s[6:7], exec, s[8:9]
	s_cbranch_execnz .LBB39_2853
; %bb.805:
	s_or_saveexec_b64 s[6:7], s[6:7]
	v_mov_b32_e32 v14, s10
	s_xor_b64 exec, exec, s[6:7]
	s_cbranch_execnz .LBB39_2856
.LBB39_806:
	s_or_b64 exec, exec, s[6:7]
	s_and_saveexec_b64 s[6:7], s[4:5]
	s_cbranch_execz .LBB39_808
.LBB39_807:
	v_and_b32_e32 v14, 7, v11
	v_ffbh_u32_e32 v21, v14
	v_min_u32_e32 v21, 32, v21
	v_lshrrev_b16_e32 v20, 3, v11
	v_subrev_u32_e32 v22, 28, v21
	v_and_b32_e32 v20, 15, v20
	v_lshlrev_b32_e32 v22, v22, v11
	v_sub_u32_e32 v21, 29, v21
	v_and_b32_e32 v22, 7, v22
	v_cmp_eq_u16_e32 vcc, 0, v20
	v_cndmask_b32_e32 v14, v14, v22, vcc
	v_cndmask_b32_e32 v20, v20, v21, vcc
	v_lshlrev_b32_e32 v21, 24, v11
	v_mov_b32_e32 v22, 0x3b800000
	v_lshlrev_b32_e32 v14, 20, v14
	v_and_b32_e32 v21, 0x80000000, v21
	v_lshl_add_u32 v20, v20, 23, v22
	v_or3_b32 v14, v21, v20, v14
.LBB39_808:
	s_or_b64 exec, exec, s[6:7]
	s_nop 0
	v_mfma_f32_16x16x4f32 a[0:3], v10, v14, a[0:3]
	v_lshrrev_b32_e32 v14, 8, v15
	s_movk_i32 s4, 0x7f
	v_cmp_gt_i16_sdwa s[6:7], v14, s4 src0_sel:BYTE_0 src1_sel:DWORD
	s_mov_b64 s[4:5], 0
                                        ; implicit-def: $sgpr10
	s_and_saveexec_b64 s[8:9], s[6:7]
	s_xor_b64 s[6:7], exec, s[8:9]
	s_cbranch_execnz .LBB39_2857
; %bb.809:
	s_or_saveexec_b64 s[6:7], s[6:7]
	v_mov_b32_e32 v10, s10
	s_xor_b64 exec, exec, s[6:7]
	s_cbranch_execnz .LBB39_2860
.LBB39_810:
	s_or_b64 exec, exec, s[6:7]
	s_and_saveexec_b64 s[6:7], s[4:5]
	s_cbranch_execz .LBB39_812
.LBB39_811:
	v_bfe_u32 v10, v15, 8, 3
	v_ffbh_u32_e32 v21, v10
	v_min_u32_e32 v21, 32, v21
	v_lshrrev_b16_e32 v20, 3, v14
	v_subrev_u32_e32 v22, 28, v21
	v_and_b32_e32 v20, 15, v20
	v_lshlrev_b32_e32 v14, v22, v14
	v_sub_u32_e32 v21, 29, v21
	v_and_b32_e32 v14, 7, v14
	v_cmp_eq_u16_e32 vcc, 0, v20
	v_cndmask_b32_e32 v10, v10, v14, vcc
	v_cndmask_b32_e32 v14, v20, v21, vcc
	v_lshlrev_b32_e32 v20, 16, v15
	v_mov_b32_e32 v21, 0x3b800000
	v_lshlrev_b32_e32 v10, 20, v10
	v_and_b32_e32 v20, 0x80000000, v20
	v_lshl_add_u32 v14, v14, 23, v21
	v_or3_b32 v10, v20, v14, v10
.LBB39_812:
	s_or_b64 exec, exec, s[6:7]
	v_lshrrev_b32_e32 v14, 8, v11
	s_movk_i32 s4, 0x7f
	v_cmp_gt_i16_sdwa s[6:7], v14, s4 src0_sel:BYTE_0 src1_sel:DWORD
	s_mov_b64 s[4:5], 0
                                        ; implicit-def: $sgpr10
	s_and_saveexec_b64 s[8:9], s[6:7]
	s_xor_b64 s[6:7], exec, s[8:9]
	s_cbranch_execnz .LBB39_2861
; %bb.813:
	s_or_saveexec_b64 s[6:7], s[6:7]
	v_mov_b32_e32 v20, s10
	s_xor_b64 exec, exec, s[6:7]
	s_cbranch_execnz .LBB39_2864
.LBB39_814:
	s_or_b64 exec, exec, s[6:7]
	s_and_saveexec_b64 s[6:7], s[4:5]
	s_cbranch_execz .LBB39_816
.LBB39_815:
	v_bfe_u32 v20, v11, 8, 3
	v_ffbh_u32_e32 v22, v20
	v_min_u32_e32 v22, 32, v22
	v_lshrrev_b16_e32 v21, 3, v14
	v_subrev_u32_e32 v23, 28, v22
	v_and_b32_e32 v21, 15, v21
	v_lshlrev_b32_e32 v14, v23, v14
	v_sub_u32_e32 v22, 29, v22
	v_and_b32_e32 v14, 7, v14
	v_cmp_eq_u16_e32 vcc, 0, v21
	v_cndmask_b32_e32 v14, v20, v14, vcc
	v_cndmask_b32_e32 v20, v21, v22, vcc
	v_lshlrev_b32_e32 v21, 16, v11
	v_mov_b32_e32 v22, 0x3b800000
	v_lshlrev_b32_e32 v14, 20, v14
	v_and_b32_e32 v21, 0x80000000, v21
	v_lshl_add_u32 v20, v20, 23, v22
	v_or3_b32 v20, v21, v20, v14
.LBB39_816:
	s_or_b64 exec, exec, s[6:7]
	s_nop 0
	v_mfma_f32_16x16x4f32 a[0:3], v10, v20, a[0:3]
	s_movk_i32 s4, 0xff
	v_and_b32_sdwa v14, v15, s4 dst_sel:DWORD dst_unused:UNUSED_PAD src0_sel:WORD_1 src1_sel:DWORD
	s_movk_i32 s4, 0x7f
	v_cmp_lt_i16_e32 vcc, s4, v14
	s_mov_b64 s[4:5], 0
                                        ; implicit-def: $sgpr10
	s_and_saveexec_b64 s[6:7], vcc
	s_xor_b64 s[6:7], exec, s[6:7]
	s_cbranch_execnz .LBB39_2865
; %bb.817:
	s_or_saveexec_b64 s[6:7], s[6:7]
	v_mov_b32_e32 v10, s10
	s_xor_b64 exec, exec, s[6:7]
	s_cbranch_execnz .LBB39_2868
.LBB39_818:
	s_or_b64 exec, exec, s[6:7]
	s_and_saveexec_b64 s[6:7], s[4:5]
	s_cbranch_execz .LBB39_820
.LBB39_819:
	v_bfe_u32 v10, v15, 16, 3
	v_ffbh_u32_e32 v21, v10
	v_min_u32_e32 v21, 32, v21
	v_lshrrev_b32_e32 v14, 19, v15
	v_subrev_u32_e32 v22, 28, v21
	v_and_b32_e32 v14, 15, v14
	v_lshlrev_b32_sdwa v22, v22, v15 dst_sel:DWORD dst_unused:UNUSED_PAD src0_sel:DWORD src1_sel:WORD_1
	v_bfe_u32 v20, v15, 19, 4
	v_sub_u32_e32 v21, 29, v21
	v_and_b32_e32 v22, 7, v22
	v_cmp_eq_u16_e32 vcc, 0, v14
	v_cndmask_b32_e32 v10, v10, v22, vcc
	v_cndmask_b32_e32 v14, v20, v21, vcc
	v_lshlrev_b32_e32 v20, 8, v15
	v_mov_b32_e32 v21, 0x3b800000
	v_lshlrev_b32_e32 v10, 20, v10
	v_and_b32_e32 v20, 0x80000000, v20
	v_lshl_add_u32 v14, v14, 23, v21
	v_or3_b32 v10, v20, v14, v10
.LBB39_820:
	s_or_b64 exec, exec, s[6:7]
	s_movk_i32 s4, 0xff
	v_and_b32_sdwa v14, v11, s4 dst_sel:DWORD dst_unused:UNUSED_PAD src0_sel:WORD_1 src1_sel:DWORD
	s_movk_i32 s4, 0x7f
	v_cmp_lt_i16_e32 vcc, s4, v14
	s_mov_b64 s[4:5], 0
                                        ; implicit-def: $sgpr10
	s_and_saveexec_b64 s[6:7], vcc
	s_xor_b64 s[6:7], exec, s[6:7]
	s_cbranch_execnz .LBB39_2869
; %bb.821:
	s_or_saveexec_b64 s[6:7], s[6:7]
	v_mov_b32_e32 v20, s10
	s_xor_b64 exec, exec, s[6:7]
	s_cbranch_execnz .LBB39_2872
.LBB39_822:
	s_or_b64 exec, exec, s[6:7]
	s_and_saveexec_b64 s[6:7], s[4:5]
	s_cbranch_execz .LBB39_824
.LBB39_823:
	v_bfe_u32 v14, v11, 16, 3
	v_ffbh_u32_e32 v22, v14
	v_min_u32_e32 v22, 32, v22
	v_lshrrev_b32_e32 v20, 19, v11
	v_subrev_u32_e32 v23, 28, v22
	v_and_b32_e32 v20, 15, v20
	v_lshlrev_b32_sdwa v23, v23, v11 dst_sel:DWORD dst_unused:UNUSED_PAD src0_sel:DWORD src1_sel:WORD_1
	v_bfe_u32 v21, v11, 19, 4
	v_sub_u32_e32 v22, 29, v22
	v_and_b32_e32 v23, 7, v23
	v_cmp_eq_u16_e32 vcc, 0, v20
	v_cndmask_b32_e32 v14, v14, v23, vcc
	v_cndmask_b32_e32 v20, v21, v22, vcc
	v_lshlrev_b32_e32 v21, 8, v11
	v_mov_b32_e32 v22, 0x3b800000
	v_lshlrev_b32_e32 v14, 20, v14
	v_and_b32_e32 v21, 0x80000000, v21
	v_lshl_add_u32 v20, v20, 23, v22
	v_or3_b32 v20, v21, v20, v14
.LBB39_824:
	s_or_b64 exec, exec, s[6:7]
	s_nop 0
	v_mfma_f32_16x16x4f32 a[0:3], v10, v20, a[0:3]
	s_movk_i32 s4, 0x7f
	v_cmp_gt_i16_sdwa s[6:7], v15, s4 src0_sel:BYTE_3 src1_sel:DWORD
	s_mov_b64 s[4:5], 0
                                        ; implicit-def: $sgpr10
	s_and_saveexec_b64 s[8:9], s[6:7]
	s_xor_b64 s[6:7], exec, s[8:9]
	s_cbranch_execnz .LBB39_2873
; %bb.825:
	s_or_saveexec_b64 s[6:7], s[6:7]
	v_mov_b32_e32 v10, s10
	s_xor_b64 exec, exec, s[6:7]
	s_cbranch_execnz .LBB39_2876
.LBB39_826:
	s_or_b64 exec, exec, s[6:7]
	s_and_saveexec_b64 s[6:7], s[4:5]
	s_cbranch_execz .LBB39_828
.LBB39_827:
	v_bfe_u32 v10, v15, 24, 3
	v_ffbh_u32_e32 v22, v10
	v_min_u32_e32 v22, 32, v22
	v_lshrrev_b32_e32 v20, 27, v15
	v_subrev_u32_e32 v23, 28, v22
	v_and_b32_e32 v14, 0x80000000, v15
	v_and_b32_e32 v20, 15, v20
	v_bfe_u32 v21, v15, 27, 4
	v_lshlrev_b32_sdwa v15, v23, v15 dst_sel:DWORD dst_unused:UNUSED_PAD src0_sel:DWORD src1_sel:BYTE_3
	v_sub_u32_e32 v22, 29, v22
	v_and_b32_e32 v15, 7, v15
	v_cmp_eq_u16_e32 vcc, 0, v20
	v_cndmask_b32_e32 v10, v10, v15, vcc
	v_cndmask_b32_e32 v15, v21, v22, vcc
	v_mov_b32_e32 v20, 0x3b800000
	v_lshlrev_b32_e32 v10, 20, v10
	v_lshl_add_u32 v15, v15, 23, v20
	v_or3_b32 v10, v14, v15, v10
.LBB39_828:
	s_or_b64 exec, exec, s[6:7]
	s_movk_i32 s4, 0x7f
	v_cmp_gt_i16_sdwa s[6:7], v11, s4 src0_sel:BYTE_3 src1_sel:DWORD
	s_mov_b64 s[4:5], 0
                                        ; implicit-def: $sgpr10
	s_and_saveexec_b64 s[8:9], s[6:7]
	s_xor_b64 s[6:7], exec, s[8:9]
	s_cbranch_execnz .LBB39_2877
; %bb.829:
	s_or_saveexec_b64 s[6:7], s[6:7]
	v_mov_b32_e32 v14, s10
	s_xor_b64 exec, exec, s[6:7]
	s_cbranch_execnz .LBB39_2880
.LBB39_830:
	s_or_b64 exec, exec, s[6:7]
	s_and_saveexec_b64 s[6:7], s[4:5]
	s_cbranch_execz .LBB39_832
.LBB39_831:
	v_bfe_u32 v14, v11, 24, 3
	v_ffbh_u32_e32 v22, v14
	v_min_u32_e32 v22, 32, v22
	v_lshrrev_b32_e32 v20, 27, v11
	v_subrev_u32_e32 v23, 28, v22
	v_and_b32_e32 v15, 0x80000000, v11
	v_and_b32_e32 v20, 15, v20
	v_bfe_u32 v21, v11, 27, 4
	v_lshlrev_b32_sdwa v11, v23, v11 dst_sel:DWORD dst_unused:UNUSED_PAD src0_sel:DWORD src1_sel:BYTE_3
	v_sub_u32_e32 v22, 29, v22
	v_and_b32_e32 v11, 7, v11
	v_cmp_eq_u16_e32 vcc, 0, v20
	v_cndmask_b32_e32 v11, v14, v11, vcc
	v_cndmask_b32_e32 v14, v21, v22, vcc
	v_mov_b32_e32 v20, 0x3b800000
	v_lshlrev_b32_e32 v11, 20, v11
	v_lshl_add_u32 v14, v14, 23, v20
	v_or3_b32 v14, v15, v14, v11
.LBB39_832:
	s_or_b64 exec, exec, s[6:7]
	s_nop 0
	v_mfma_f32_16x16x4f32 a[0:3], v10, v14, a[0:3]
	s_movk_i32 s4, 0x7f
	v_cmp_gt_i16_sdwa s[6:7], v16, s4 src0_sel:BYTE_0 src1_sel:DWORD
	s_mov_b64 s[4:5], 0
                                        ; implicit-def: $sgpr10
	s_and_saveexec_b64 s[8:9], s[6:7]
	s_xor_b64 s[6:7], exec, s[8:9]
	s_cbranch_execnz .LBB39_2881
; %bb.833:
	s_or_saveexec_b64 s[6:7], s[6:7]
	v_mov_b32_e32 v10, s10
	s_xor_b64 exec, exec, s[6:7]
	s_cbranch_execnz .LBB39_2884
.LBB39_834:
	s_or_b64 exec, exec, s[6:7]
	s_and_saveexec_b64 s[6:7], s[4:5]
	s_cbranch_execz .LBB39_836
.LBB39_835:
	v_and_b32_e32 v10, 7, v16
	v_ffbh_u32_e32 v14, v10
	v_min_u32_e32 v14, 32, v14
	v_lshrrev_b16_e32 v11, 3, v16
	v_subrev_u32_e32 v15, 28, v14
	v_and_b32_e32 v11, 15, v11
	v_lshlrev_b32_e32 v15, v15, v16
	v_sub_u32_e32 v14, 29, v14
	v_and_b32_e32 v15, 7, v15
	v_cmp_eq_u16_e32 vcc, 0, v11
	v_cndmask_b32_e32 v10, v10, v15, vcc
	v_cndmask_b32_e32 v11, v11, v14, vcc
	v_lshlrev_b32_e32 v14, 24, v16
	v_mov_b32_e32 v15, 0x3b800000
	v_lshlrev_b32_e32 v10, 20, v10
	v_and_b32_e32 v14, 0x80000000, v14
	v_lshl_add_u32 v11, v11, 23, v15
	v_or3_b32 v10, v14, v11, v10
.LBB39_836:
	s_or_b64 exec, exec, s[6:7]
	s_movk_i32 s4, 0x7f
	v_cmp_gt_i16_sdwa s[6:7], v12, s4 src0_sel:BYTE_0 src1_sel:DWORD
	s_mov_b64 s[4:5], 0
                                        ; implicit-def: $sgpr10
	s_and_saveexec_b64 s[8:9], s[6:7]
	s_xor_b64 s[6:7], exec, s[8:9]
	s_cbranch_execnz .LBB39_2885
; %bb.837:
	s_or_saveexec_b64 s[6:7], s[6:7]
	v_mov_b32_e32 v11, s10
	s_xor_b64 exec, exec, s[6:7]
	s_cbranch_execnz .LBB39_2888
.LBB39_838:
	s_or_b64 exec, exec, s[6:7]
	s_and_saveexec_b64 s[6:7], s[4:5]
	s_cbranch_execz .LBB39_840
.LBB39_839:
	v_and_b32_e32 v11, 7, v12
	v_ffbh_u32_e32 v15, v11
	v_min_u32_e32 v15, 32, v15
	v_lshrrev_b16_e32 v14, 3, v12
	v_subrev_u32_e32 v20, 28, v15
	v_and_b32_e32 v14, 15, v14
	v_lshlrev_b32_e32 v20, v20, v12
	v_sub_u32_e32 v15, 29, v15
	v_and_b32_e32 v20, 7, v20
	v_cmp_eq_u16_e32 vcc, 0, v14
	v_cndmask_b32_e32 v11, v11, v20, vcc
	v_cndmask_b32_e32 v14, v14, v15, vcc
	v_lshlrev_b32_e32 v15, 24, v12
	v_mov_b32_e32 v20, 0x3b800000
	v_lshlrev_b32_e32 v11, 20, v11
	v_and_b32_e32 v15, 0x80000000, v15
	v_lshl_add_u32 v14, v14, 23, v20
	v_or3_b32 v11, v15, v14, v11
.LBB39_840:
	s_or_b64 exec, exec, s[6:7]
	s_nop 0
	v_mfma_f32_16x16x4f32 a[0:3], v10, v11, a[0:3]
	v_lshrrev_b32_e32 v11, 8, v16
	s_movk_i32 s4, 0x7f
	v_cmp_gt_i16_sdwa s[6:7], v11, s4 src0_sel:BYTE_0 src1_sel:DWORD
	s_mov_b64 s[4:5], 0
                                        ; implicit-def: $sgpr10
	s_and_saveexec_b64 s[8:9], s[6:7]
	s_xor_b64 s[6:7], exec, s[8:9]
	s_cbranch_execnz .LBB39_2889
; %bb.841:
	s_or_saveexec_b64 s[6:7], s[6:7]
	v_mov_b32_e32 v10, s10
	s_xor_b64 exec, exec, s[6:7]
	s_cbranch_execnz .LBB39_2892
.LBB39_842:
	s_or_b64 exec, exec, s[6:7]
	s_and_saveexec_b64 s[6:7], s[4:5]
	s_cbranch_execz .LBB39_844
.LBB39_843:
	v_bfe_u32 v10, v16, 8, 3
	v_ffbh_u32_e32 v15, v10
	v_min_u32_e32 v15, 32, v15
	v_lshrrev_b16_e32 v14, 3, v11
	v_subrev_u32_e32 v20, 28, v15
	v_and_b32_e32 v14, 15, v14
	v_lshlrev_b32_e32 v11, v20, v11
	v_sub_u32_e32 v15, 29, v15
	v_and_b32_e32 v11, 7, v11
	v_cmp_eq_u16_e32 vcc, 0, v14
	v_cndmask_b32_e32 v10, v10, v11, vcc
	v_cndmask_b32_e32 v11, v14, v15, vcc
	v_lshlrev_b32_e32 v14, 16, v16
	v_mov_b32_e32 v15, 0x3b800000
	v_lshlrev_b32_e32 v10, 20, v10
	v_and_b32_e32 v14, 0x80000000, v14
	v_lshl_add_u32 v11, v11, 23, v15
	v_or3_b32 v10, v14, v11, v10
.LBB39_844:
	s_or_b64 exec, exec, s[6:7]
	v_lshrrev_b32_e32 v11, 8, v12
	s_movk_i32 s4, 0x7f
	v_cmp_gt_i16_sdwa s[6:7], v11, s4 src0_sel:BYTE_0 src1_sel:DWORD
	s_mov_b64 s[4:5], 0
                                        ; implicit-def: $sgpr10
	s_and_saveexec_b64 s[8:9], s[6:7]
	s_xor_b64 s[6:7], exec, s[8:9]
	s_cbranch_execnz .LBB39_2893
; %bb.845:
	s_or_saveexec_b64 s[6:7], s[6:7]
	v_mov_b32_e32 v14, s10
	s_xor_b64 exec, exec, s[6:7]
	s_cbranch_execnz .LBB39_2896
.LBB39_846:
	s_or_b64 exec, exec, s[6:7]
	s_and_saveexec_b64 s[6:7], s[4:5]
	s_cbranch_execz .LBB39_848
.LBB39_847:
	v_bfe_u32 v14, v12, 8, 3
	v_ffbh_u32_e32 v20, v14
	v_min_u32_e32 v20, 32, v20
	v_lshrrev_b16_e32 v15, 3, v11
	v_subrev_u32_e32 v21, 28, v20
	v_and_b32_e32 v15, 15, v15
	v_lshlrev_b32_e32 v11, v21, v11
	v_sub_u32_e32 v20, 29, v20
	v_and_b32_e32 v11, 7, v11
	v_cmp_eq_u16_e32 vcc, 0, v15
	v_cndmask_b32_e32 v11, v14, v11, vcc
	v_cndmask_b32_e32 v14, v15, v20, vcc
	v_lshlrev_b32_e32 v15, 16, v12
	v_mov_b32_e32 v20, 0x3b800000
	v_lshlrev_b32_e32 v11, 20, v11
	v_and_b32_e32 v15, 0x80000000, v15
	v_lshl_add_u32 v14, v14, 23, v20
	v_or3_b32 v14, v15, v14, v11
.LBB39_848:
	s_or_b64 exec, exec, s[6:7]
	s_nop 0
	v_mfma_f32_16x16x4f32 a[0:3], v10, v14, a[0:3]
	s_movk_i32 s4, 0xff
	v_and_b32_sdwa v11, v16, s4 dst_sel:DWORD dst_unused:UNUSED_PAD src0_sel:WORD_1 src1_sel:DWORD
	s_movk_i32 s4, 0x7f
	v_cmp_lt_i16_e32 vcc, s4, v11
	s_mov_b64 s[4:5], 0
                                        ; implicit-def: $sgpr10
	s_and_saveexec_b64 s[6:7], vcc
	s_xor_b64 s[6:7], exec, s[6:7]
	s_cbranch_execnz .LBB39_2897
; %bb.849:
	s_or_saveexec_b64 s[6:7], s[6:7]
	v_mov_b32_e32 v10, s10
	s_xor_b64 exec, exec, s[6:7]
	s_cbranch_execnz .LBB39_2900
.LBB39_850:
	s_or_b64 exec, exec, s[6:7]
	s_and_saveexec_b64 s[6:7], s[4:5]
	s_cbranch_execz .LBB39_852
.LBB39_851:
	v_bfe_u32 v10, v16, 16, 3
	v_ffbh_u32_e32 v15, v10
	v_min_u32_e32 v15, 32, v15
	v_lshrrev_b32_e32 v11, 19, v16
	v_subrev_u32_e32 v20, 28, v15
	v_and_b32_e32 v11, 15, v11
	v_lshlrev_b32_sdwa v20, v20, v16 dst_sel:DWORD dst_unused:UNUSED_PAD src0_sel:DWORD src1_sel:WORD_1
	v_bfe_u32 v14, v16, 19, 4
	v_sub_u32_e32 v15, 29, v15
	v_and_b32_e32 v20, 7, v20
	v_cmp_eq_u16_e32 vcc, 0, v11
	v_cndmask_b32_e32 v10, v10, v20, vcc
	v_cndmask_b32_e32 v11, v14, v15, vcc
	v_lshlrev_b32_e32 v14, 8, v16
	v_mov_b32_e32 v15, 0x3b800000
	v_lshlrev_b32_e32 v10, 20, v10
	v_and_b32_e32 v14, 0x80000000, v14
	v_lshl_add_u32 v11, v11, 23, v15
	v_or3_b32 v10, v14, v11, v10
.LBB39_852:
	s_or_b64 exec, exec, s[6:7]
	s_movk_i32 s4, 0xff
	v_and_b32_sdwa v11, v12, s4 dst_sel:DWORD dst_unused:UNUSED_PAD src0_sel:WORD_1 src1_sel:DWORD
	s_movk_i32 s4, 0x7f
	v_cmp_lt_i16_e32 vcc, s4, v11
	s_mov_b64 s[4:5], 0
                                        ; implicit-def: $sgpr10
	s_and_saveexec_b64 s[6:7], vcc
	s_xor_b64 s[6:7], exec, s[6:7]
	s_cbranch_execnz .LBB39_2901
; %bb.853:
	s_or_saveexec_b64 s[6:7], s[6:7]
	v_mov_b32_e32 v14, s10
	s_xor_b64 exec, exec, s[6:7]
	s_cbranch_execnz .LBB39_2904
.LBB39_854:
	s_or_b64 exec, exec, s[6:7]
	s_and_saveexec_b64 s[6:7], s[4:5]
	s_cbranch_execz .LBB39_856
.LBB39_855:
	v_bfe_u32 v11, v12, 16, 3
	v_ffbh_u32_e32 v20, v11
	v_min_u32_e32 v20, 32, v20
	v_lshrrev_b32_e32 v14, 19, v12
	v_subrev_u32_e32 v21, 28, v20
	v_and_b32_e32 v14, 15, v14
	v_lshlrev_b32_sdwa v21, v21, v12 dst_sel:DWORD dst_unused:UNUSED_PAD src0_sel:DWORD src1_sel:WORD_1
	v_bfe_u32 v15, v12, 19, 4
	v_sub_u32_e32 v20, 29, v20
	v_and_b32_e32 v21, 7, v21
	v_cmp_eq_u16_e32 vcc, 0, v14
	v_cndmask_b32_e32 v11, v11, v21, vcc
	v_cndmask_b32_e32 v14, v15, v20, vcc
	v_lshlrev_b32_e32 v15, 8, v12
	v_mov_b32_e32 v20, 0x3b800000
	v_lshlrev_b32_e32 v11, 20, v11
	v_and_b32_e32 v15, 0x80000000, v15
	v_lshl_add_u32 v14, v14, 23, v20
	v_or3_b32 v14, v15, v14, v11
.LBB39_856:
	s_or_b64 exec, exec, s[6:7]
	s_nop 0
	v_mfma_f32_16x16x4f32 a[0:3], v10, v14, a[0:3]
	s_movk_i32 s4, 0x7f
	v_cmp_gt_i16_sdwa s[6:7], v16, s4 src0_sel:BYTE_3 src1_sel:DWORD
	s_mov_b64 s[4:5], 0
                                        ; implicit-def: $sgpr10
	s_and_saveexec_b64 s[8:9], s[6:7]
	s_xor_b64 s[6:7], exec, s[8:9]
	s_cbranch_execnz .LBB39_2905
; %bb.857:
	s_or_saveexec_b64 s[6:7], s[6:7]
	v_mov_b32_e32 v10, s10
	s_xor_b64 exec, exec, s[6:7]
	s_cbranch_execnz .LBB39_2908
.LBB39_858:
	s_or_b64 exec, exec, s[6:7]
	s_and_saveexec_b64 s[6:7], s[4:5]
	s_cbranch_execz .LBB39_860
.LBB39_859:
	v_bfe_u32 v10, v16, 24, 3
	v_ffbh_u32_e32 v20, v10
	v_min_u32_e32 v20, 32, v20
	v_lshrrev_b32_e32 v14, 27, v16
	v_subrev_u32_e32 v21, 28, v20
	v_and_b32_e32 v11, 0x80000000, v16
	v_and_b32_e32 v14, 15, v14
	v_bfe_u32 v15, v16, 27, 4
	v_lshlrev_b32_sdwa v16, v21, v16 dst_sel:DWORD dst_unused:UNUSED_PAD src0_sel:DWORD src1_sel:BYTE_3
	v_sub_u32_e32 v20, 29, v20
	v_and_b32_e32 v16, 7, v16
	v_cmp_eq_u16_e32 vcc, 0, v14
	v_cndmask_b32_e32 v10, v10, v16, vcc
	v_cndmask_b32_e32 v14, v15, v20, vcc
	v_mov_b32_e32 v15, 0x3b800000
	v_lshlrev_b32_e32 v10, 20, v10
	v_lshl_add_u32 v14, v14, 23, v15
	v_or3_b32 v10, v11, v14, v10
.LBB39_860:
	s_or_b64 exec, exec, s[6:7]
	s_movk_i32 s4, 0x7f
	v_cmp_gt_i16_sdwa s[6:7], v12, s4 src0_sel:BYTE_3 src1_sel:DWORD
	s_mov_b64 s[4:5], 0
                                        ; implicit-def: $sgpr10
	s_and_saveexec_b64 s[8:9], s[6:7]
	s_xor_b64 s[6:7], exec, s[8:9]
	s_cbranch_execnz .LBB39_2909
; %bb.861:
	s_or_saveexec_b64 s[6:7], s[6:7]
	v_mov_b32_e32 v11, s10
	s_xor_b64 exec, exec, s[6:7]
	s_cbranch_execnz .LBB39_2912
.LBB39_862:
	s_or_b64 exec, exec, s[6:7]
	s_and_saveexec_b64 s[6:7], s[4:5]
	s_cbranch_execz .LBB39_864
.LBB39_863:
	v_bfe_u32 v11, v12, 24, 3
	v_ffbh_u32_e32 v20, v11
	v_min_u32_e32 v20, 32, v20
	v_lshrrev_b32_e32 v15, 27, v12
	v_subrev_u32_e32 v21, 28, v20
	v_and_b32_e32 v14, 0x80000000, v12
	v_and_b32_e32 v15, 15, v15
	v_bfe_u32 v16, v12, 27, 4
	v_lshlrev_b32_sdwa v12, v21, v12 dst_sel:DWORD dst_unused:UNUSED_PAD src0_sel:DWORD src1_sel:BYTE_3
	v_sub_u32_e32 v20, 29, v20
	v_and_b32_e32 v12, 7, v12
	v_cmp_eq_u16_e32 vcc, 0, v15
	v_cndmask_b32_e32 v11, v11, v12, vcc
	v_cndmask_b32_e32 v12, v16, v20, vcc
	v_mov_b32_e32 v15, 0x3b800000
	v_lshlrev_b32_e32 v11, 20, v11
	v_lshl_add_u32 v12, v12, 23, v15
	v_or3_b32 v11, v14, v12, v11
.LBB39_864:
	s_or_b64 exec, exec, s[6:7]
	s_nop 0
	v_mfma_f32_16x16x4f32 a[0:3], v10, v11, a[0:3]
	s_movk_i32 s4, 0x7f
	v_cmp_gt_i16_sdwa s[6:7], v17, s4 src0_sel:BYTE_0 src1_sel:DWORD
	s_mov_b64 s[4:5], 0
                                        ; implicit-def: $sgpr10
	s_and_saveexec_b64 s[8:9], s[6:7]
	s_xor_b64 s[6:7], exec, s[8:9]
	s_cbranch_execnz .LBB39_2913
; %bb.865:
	s_or_saveexec_b64 s[6:7], s[6:7]
	v_mov_b32_e32 v10, s10
	s_xor_b64 exec, exec, s[6:7]
	s_cbranch_execnz .LBB39_2916
.LBB39_866:
	s_or_b64 exec, exec, s[6:7]
	s_and_saveexec_b64 s[6:7], s[4:5]
	s_cbranch_execz .LBB39_868
.LBB39_867:
	v_and_b32_e32 v10, 7, v17
	v_ffbh_u32_e32 v12, v10
	v_min_u32_e32 v12, 32, v12
	v_lshrrev_b16_e32 v11, 3, v17
	v_subrev_u32_e32 v14, 28, v12
	v_and_b32_e32 v11, 15, v11
	v_lshlrev_b32_e32 v14, v14, v17
	v_sub_u32_e32 v12, 29, v12
	v_and_b32_e32 v14, 7, v14
	v_cmp_eq_u16_e32 vcc, 0, v11
	v_cndmask_b32_e32 v10, v10, v14, vcc
	v_cndmask_b32_e32 v11, v11, v12, vcc
	v_lshlrev_b32_e32 v12, 24, v17
	v_mov_b32_e32 v14, 0x3b800000
	v_lshlrev_b32_e32 v10, 20, v10
	v_and_b32_e32 v12, 0x80000000, v12
	v_lshl_add_u32 v11, v11, 23, v14
	v_or3_b32 v10, v12, v11, v10
.LBB39_868:
	s_or_b64 exec, exec, s[6:7]
	s_movk_i32 s4, 0x7f
	v_cmp_gt_i16_sdwa s[6:7], v13, s4 src0_sel:BYTE_0 src1_sel:DWORD
	s_mov_b64 s[4:5], 0
                                        ; implicit-def: $sgpr10
	s_and_saveexec_b64 s[8:9], s[6:7]
	s_xor_b64 s[6:7], exec, s[8:9]
	s_cbranch_execnz .LBB39_2917
; %bb.869:
	s_or_saveexec_b64 s[6:7], s[6:7]
	v_mov_b32_e32 v11, s10
	s_xor_b64 exec, exec, s[6:7]
	s_cbranch_execnz .LBB39_2920
.LBB39_870:
	s_or_b64 exec, exec, s[6:7]
	s_and_saveexec_b64 s[6:7], s[4:5]
	s_cbranch_execz .LBB39_872
.LBB39_871:
	v_and_b32_e32 v11, 7, v13
	v_ffbh_u32_e32 v14, v11
	v_min_u32_e32 v14, 32, v14
	v_lshrrev_b16_e32 v12, 3, v13
	v_subrev_u32_e32 v15, 28, v14
	v_and_b32_e32 v12, 15, v12
	v_lshlrev_b32_e32 v15, v15, v13
	v_sub_u32_e32 v14, 29, v14
	v_and_b32_e32 v15, 7, v15
	v_cmp_eq_u16_e32 vcc, 0, v12
	v_cndmask_b32_e32 v11, v11, v15, vcc
	v_cndmask_b32_e32 v12, v12, v14, vcc
	v_lshlrev_b32_e32 v14, 24, v13
	v_mov_b32_e32 v15, 0x3b800000
	v_lshlrev_b32_e32 v11, 20, v11
	v_and_b32_e32 v14, 0x80000000, v14
	v_lshl_add_u32 v12, v12, 23, v15
	v_or3_b32 v11, v14, v12, v11
.LBB39_872:
	s_or_b64 exec, exec, s[6:7]
	s_nop 0
	v_mfma_f32_16x16x4f32 a[0:3], v10, v11, a[0:3]
	v_lshrrev_b32_e32 v11, 8, v17
	s_movk_i32 s4, 0x7f
	v_cmp_gt_i16_sdwa s[6:7], v11, s4 src0_sel:BYTE_0 src1_sel:DWORD
	s_mov_b64 s[4:5], 0
                                        ; implicit-def: $sgpr10
	s_and_saveexec_b64 s[8:9], s[6:7]
	s_xor_b64 s[6:7], exec, s[8:9]
	s_cbranch_execnz .LBB39_2921
; %bb.873:
	s_or_saveexec_b64 s[6:7], s[6:7]
	v_mov_b32_e32 v10, s10
	s_xor_b64 exec, exec, s[6:7]
	s_cbranch_execnz .LBB39_2924
.LBB39_874:
	s_or_b64 exec, exec, s[6:7]
	s_and_saveexec_b64 s[6:7], s[4:5]
	s_cbranch_execz .LBB39_876
.LBB39_875:
	v_bfe_u32 v10, v17, 8, 3
	v_ffbh_u32_e32 v14, v10
	v_min_u32_e32 v14, 32, v14
	v_lshrrev_b16_e32 v12, 3, v11
	v_subrev_u32_e32 v15, 28, v14
	v_and_b32_e32 v12, 15, v12
	v_lshlrev_b32_e32 v11, v15, v11
	v_sub_u32_e32 v14, 29, v14
	v_and_b32_e32 v11, 7, v11
	v_cmp_eq_u16_e32 vcc, 0, v12
	v_cndmask_b32_e32 v10, v10, v11, vcc
	v_cndmask_b32_e32 v11, v12, v14, vcc
	v_lshlrev_b32_e32 v12, 16, v17
	v_mov_b32_e32 v14, 0x3b800000
	v_lshlrev_b32_e32 v10, 20, v10
	v_and_b32_e32 v12, 0x80000000, v12
	v_lshl_add_u32 v11, v11, 23, v14
	v_or3_b32 v10, v12, v11, v10
.LBB39_876:
	s_or_b64 exec, exec, s[6:7]
	v_lshrrev_b32_e32 v11, 8, v13
	s_movk_i32 s4, 0x7f
	v_cmp_gt_i16_sdwa s[6:7], v11, s4 src0_sel:BYTE_0 src1_sel:DWORD
	s_mov_b64 s[4:5], 0
                                        ; implicit-def: $sgpr10
	s_and_saveexec_b64 s[8:9], s[6:7]
	s_xor_b64 s[6:7], exec, s[8:9]
	s_cbranch_execnz .LBB39_2925
; %bb.877:
	s_or_saveexec_b64 s[6:7], s[6:7]
	v_mov_b32_e32 v12, s10
	s_xor_b64 exec, exec, s[6:7]
	s_cbranch_execnz .LBB39_2928
.LBB39_878:
	s_or_b64 exec, exec, s[6:7]
	s_and_saveexec_b64 s[6:7], s[4:5]
	s_cbranch_execz .LBB39_880
.LBB39_879:
	v_bfe_u32 v12, v13, 8, 3
	v_ffbh_u32_e32 v15, v12
	v_min_u32_e32 v15, 32, v15
	v_lshrrev_b16_e32 v14, 3, v11
	v_subrev_u32_e32 v16, 28, v15
	v_and_b32_e32 v14, 15, v14
	v_lshlrev_b32_e32 v11, v16, v11
	v_sub_u32_e32 v15, 29, v15
	v_and_b32_e32 v11, 7, v11
	v_cmp_eq_u16_e32 vcc, 0, v14
	v_cndmask_b32_e32 v11, v12, v11, vcc
	v_cndmask_b32_e32 v12, v14, v15, vcc
	v_lshlrev_b32_e32 v14, 16, v13
	v_mov_b32_e32 v15, 0x3b800000
	v_lshlrev_b32_e32 v11, 20, v11
	v_and_b32_e32 v14, 0x80000000, v14
	v_lshl_add_u32 v12, v12, 23, v15
	v_or3_b32 v12, v14, v12, v11
.LBB39_880:
	s_or_b64 exec, exec, s[6:7]
	s_nop 0
	v_mfma_f32_16x16x4f32 a[0:3], v10, v12, a[0:3]
	s_movk_i32 s4, 0xff
	v_and_b32_sdwa v11, v17, s4 dst_sel:DWORD dst_unused:UNUSED_PAD src0_sel:WORD_1 src1_sel:DWORD
	s_movk_i32 s4, 0x7f
	v_cmp_lt_i16_e32 vcc, s4, v11
	s_mov_b64 s[4:5], 0
                                        ; implicit-def: $sgpr10
	s_and_saveexec_b64 s[6:7], vcc
	s_xor_b64 s[6:7], exec, s[6:7]
	s_cbranch_execnz .LBB39_2929
; %bb.881:
	s_or_saveexec_b64 s[6:7], s[6:7]
	v_mov_b32_e32 v10, s10
	s_xor_b64 exec, exec, s[6:7]
	s_cbranch_execnz .LBB39_2932
.LBB39_882:
	s_or_b64 exec, exec, s[6:7]
	s_and_saveexec_b64 s[6:7], s[4:5]
	s_cbranch_execz .LBB39_884
.LBB39_883:
	v_bfe_u32 v10, v17, 16, 3
	v_ffbh_u32_e32 v14, v10
	v_min_u32_e32 v14, 32, v14
	v_lshrrev_b32_e32 v11, 19, v17
	v_subrev_u32_e32 v15, 28, v14
	v_and_b32_e32 v11, 15, v11
	v_lshlrev_b32_sdwa v15, v15, v17 dst_sel:DWORD dst_unused:UNUSED_PAD src0_sel:DWORD src1_sel:WORD_1
	v_bfe_u32 v12, v17, 19, 4
	v_sub_u32_e32 v14, 29, v14
	v_and_b32_e32 v15, 7, v15
	v_cmp_eq_u16_e32 vcc, 0, v11
	v_cndmask_b32_e32 v10, v10, v15, vcc
	v_cndmask_b32_e32 v11, v12, v14, vcc
	v_lshlrev_b32_e32 v12, 8, v17
	v_mov_b32_e32 v14, 0x3b800000
	v_lshlrev_b32_e32 v10, 20, v10
	v_and_b32_e32 v12, 0x80000000, v12
	v_lshl_add_u32 v11, v11, 23, v14
	v_or3_b32 v10, v12, v11, v10
.LBB39_884:
	s_or_b64 exec, exec, s[6:7]
	s_movk_i32 s4, 0xff
	v_and_b32_sdwa v11, v13, s4 dst_sel:DWORD dst_unused:UNUSED_PAD src0_sel:WORD_1 src1_sel:DWORD
	s_movk_i32 s4, 0x7f
	v_cmp_lt_i16_e32 vcc, s4, v11
	s_mov_b64 s[4:5], 0
                                        ; implicit-def: $sgpr10
	s_and_saveexec_b64 s[6:7], vcc
	s_xor_b64 s[6:7], exec, s[6:7]
	s_cbranch_execnz .LBB39_2933
; %bb.885:
	s_or_saveexec_b64 s[6:7], s[6:7]
	v_mov_b32_e32 v12, s10
	s_xor_b64 exec, exec, s[6:7]
	s_cbranch_execnz .LBB39_2936
.LBB39_886:
	s_or_b64 exec, exec, s[6:7]
	s_and_saveexec_b64 s[6:7], s[4:5]
	s_cbranch_execz .LBB39_888
.LBB39_887:
	v_bfe_u32 v11, v13, 16, 3
	v_ffbh_u32_e32 v15, v11
	v_min_u32_e32 v15, 32, v15
	v_lshrrev_b32_e32 v12, 19, v13
	v_subrev_u32_e32 v16, 28, v15
	v_and_b32_e32 v12, 15, v12
	v_lshlrev_b32_sdwa v16, v16, v13 dst_sel:DWORD dst_unused:UNUSED_PAD src0_sel:DWORD src1_sel:WORD_1
	v_bfe_u32 v14, v13, 19, 4
	v_sub_u32_e32 v15, 29, v15
	v_and_b32_e32 v16, 7, v16
	v_cmp_eq_u16_e32 vcc, 0, v12
	v_cndmask_b32_e32 v11, v11, v16, vcc
	v_cndmask_b32_e32 v12, v14, v15, vcc
	v_lshlrev_b32_e32 v14, 8, v13
	v_mov_b32_e32 v15, 0x3b800000
	v_lshlrev_b32_e32 v11, 20, v11
	v_and_b32_e32 v14, 0x80000000, v14
	v_lshl_add_u32 v12, v12, 23, v15
	v_or3_b32 v12, v14, v12, v11
.LBB39_888:
	s_or_b64 exec, exec, s[6:7]
	s_nop 0
	v_mfma_f32_16x16x4f32 a[0:3], v10, v12, a[0:3]
	s_movk_i32 s4, 0x7f
	v_cmp_gt_i16_sdwa s[6:7], v17, s4 src0_sel:BYTE_3 src1_sel:DWORD
	s_mov_b64 s[4:5], 0
                                        ; implicit-def: $sgpr10
	s_and_saveexec_b64 s[8:9], s[6:7]
	s_xor_b64 s[6:7], exec, s[8:9]
	s_cbranch_execnz .LBB39_2937
; %bb.889:
	s_or_saveexec_b64 s[6:7], s[6:7]
	v_mov_b32_e32 v10, s10
	s_xor_b64 exec, exec, s[6:7]
	s_cbranch_execnz .LBB39_2940
.LBB39_890:
	s_or_b64 exec, exec, s[6:7]
	s_and_saveexec_b64 s[6:7], s[4:5]
	s_cbranch_execz .LBB39_892
.LBB39_891:
	v_bfe_u32 v10, v17, 24, 3
	v_ffbh_u32_e32 v15, v10
	v_min_u32_e32 v15, 32, v15
	v_lshrrev_b32_e32 v12, 27, v17
	v_subrev_u32_e32 v16, 28, v15
	v_and_b32_e32 v12, 15, v12
	v_lshlrev_b32_sdwa v16, v16, v17 dst_sel:DWORD dst_unused:UNUSED_PAD src0_sel:DWORD src1_sel:BYTE_3
	v_bfe_u32 v14, v17, 27, 4
	v_sub_u32_e32 v15, 29, v15
	v_and_b32_e32 v16, 7, v16
	v_cmp_eq_u16_e32 vcc, 0, v12
	v_cndmask_b32_e32 v10, v10, v16, vcc
	v_cndmask_b32_e32 v12, v14, v15, vcc
	v_mov_b32_e32 v14, 0x3b800000
	v_and_b32_e32 v11, 0x80000000, v17
	v_lshlrev_b32_e32 v10, 20, v10
	v_lshl_add_u32 v12, v12, 23, v14
	v_or3_b32 v10, v11, v12, v10
.LBB39_892:
	s_or_b64 exec, exec, s[6:7]
	s_movk_i32 s4, 0x7f
	v_cmp_gt_i16_sdwa s[6:7], v13, s4 src0_sel:BYTE_3 src1_sel:DWORD
	s_mov_b64 s[4:5], 0
                                        ; implicit-def: $sgpr10
	s_and_saveexec_b64 s[8:9], s[6:7]
	s_xor_b64 s[6:7], exec, s[8:9]
	s_cbranch_execnz .LBB39_2941
; %bb.893:
	s_or_saveexec_b64 s[6:7], s[6:7]
	v_mov_b32_e32 v11, s10
	s_xor_b64 exec, exec, s[6:7]
	s_cbranch_execnz .LBB39_2944
.LBB39_894:
	s_or_b64 exec, exec, s[6:7]
	s_and_saveexec_b64 s[6:7], s[4:5]
	s_cbranch_execz .LBB39_896
.LBB39_895:
	v_bfe_u32 v11, v13, 24, 3
	v_ffbh_u32_e32 v16, v11
	v_min_u32_e32 v16, 32, v16
	v_lshrrev_b32_e32 v14, 27, v13
	v_subrev_u32_e32 v17, 28, v16
	v_and_b32_e32 v12, 0x80000000, v13
	v_and_b32_e32 v14, 15, v14
	v_bfe_u32 v15, v13, 27, 4
	v_lshlrev_b32_sdwa v13, v17, v13 dst_sel:DWORD dst_unused:UNUSED_PAD src0_sel:DWORD src1_sel:BYTE_3
	v_sub_u32_e32 v16, 29, v16
	v_and_b32_e32 v13, 7, v13
	v_cmp_eq_u16_e32 vcc, 0, v14
	v_cndmask_b32_e32 v11, v11, v13, vcc
	v_cndmask_b32_e32 v13, v15, v16, vcc
	v_mov_b32_e32 v14, 0x3b800000
	v_lshlrev_b32_e32 v11, 20, v11
	v_lshl_add_u32 v13, v13, 23, v14
	v_or3_b32 v11, v12, v13, v11
.LBB39_896:
	s_or_b64 exec, exec, s[6:7]
	s_nop 0
	v_mfma_f32_16x16x4f32 a[0:3], v10, v11, a[0:3]
	s_movk_i32 s4, 0x7f
	v_cmp_gt_i16_sdwa s[6:7], v6, s4 src0_sel:BYTE_0 src1_sel:DWORD
	s_mov_b64 s[4:5], 0
                                        ; implicit-def: $sgpr10
	s_and_saveexec_b64 s[8:9], s[6:7]
	s_xor_b64 s[6:7], exec, s[8:9]
	s_cbranch_execnz .LBB39_2945
; %bb.897:
	s_or_saveexec_b64 s[6:7], s[6:7]
	v_mov_b32_e32 v10, s10
	s_xor_b64 exec, exec, s[6:7]
	s_cbranch_execnz .LBB39_2948
.LBB39_898:
	s_or_b64 exec, exec, s[6:7]
	s_and_saveexec_b64 s[6:7], s[4:5]
	s_cbranch_execz .LBB39_900
.LBB39_899:
	v_and_b32_e32 v10, 7, v6
	v_ffbh_u32_e32 v12, v10
	v_min_u32_e32 v12, 32, v12
	v_lshrrev_b16_e32 v11, 3, v6
	v_subrev_u32_e32 v13, 28, v12
	v_and_b32_e32 v11, 15, v11
	v_lshlrev_b32_e32 v13, v13, v6
	v_sub_u32_e32 v12, 29, v12
	v_and_b32_e32 v13, 7, v13
	v_cmp_eq_u16_e32 vcc, 0, v11
	v_cndmask_b32_e32 v10, v10, v13, vcc
	v_cndmask_b32_e32 v11, v11, v12, vcc
	v_lshlrev_b32_e32 v12, 24, v6
	v_mov_b32_e32 v13, 0x3b800000
	v_lshlrev_b32_e32 v10, 20, v10
	v_and_b32_e32 v12, 0x80000000, v12
	v_lshl_add_u32 v11, v11, 23, v13
	v_or3_b32 v10, v12, v11, v10
.LBB39_900:
	s_or_b64 exec, exec, s[6:7]
	s_movk_i32 s4, 0x7f
	v_cmp_gt_i16_sdwa s[6:7], v2, s4 src0_sel:BYTE_0 src1_sel:DWORD
	s_mov_b64 s[4:5], 0
                                        ; implicit-def: $sgpr10
	s_and_saveexec_b64 s[8:9], s[6:7]
	s_xor_b64 s[6:7], exec, s[8:9]
	s_cbranch_execnz .LBB39_2949
; %bb.901:
	s_or_saveexec_b64 s[6:7], s[6:7]
	v_mov_b32_e32 v11, s10
	s_xor_b64 exec, exec, s[6:7]
	s_cbranch_execnz .LBB39_2952
.LBB39_902:
	s_or_b64 exec, exec, s[6:7]
	s_and_saveexec_b64 s[6:7], s[4:5]
	s_cbranch_execz .LBB39_904
.LBB39_903:
	v_and_b32_e32 v11, 7, v2
	v_ffbh_u32_e32 v13, v11
	v_min_u32_e32 v13, 32, v13
	v_lshrrev_b16_e32 v12, 3, v2
	v_subrev_u32_e32 v14, 28, v13
	v_and_b32_e32 v12, 15, v12
	v_lshlrev_b32_e32 v14, v14, v2
	v_sub_u32_e32 v13, 29, v13
	v_and_b32_e32 v14, 7, v14
	v_cmp_eq_u16_e32 vcc, 0, v12
	v_cndmask_b32_e32 v11, v11, v14, vcc
	v_cndmask_b32_e32 v12, v12, v13, vcc
	v_lshlrev_b32_e32 v13, 24, v2
	v_mov_b32_e32 v14, 0x3b800000
	v_lshlrev_b32_e32 v11, 20, v11
	v_and_b32_e32 v13, 0x80000000, v13
	v_lshl_add_u32 v12, v12, 23, v14
	v_or3_b32 v11, v13, v12, v11
.LBB39_904:
	s_or_b64 exec, exec, s[6:7]
	s_nop 0
	v_mfma_f32_16x16x4f32 a[0:3], v10, v11, a[0:3]
	v_lshrrev_b32_e32 v11, 8, v6
	s_movk_i32 s4, 0x7f
	v_cmp_gt_i16_sdwa s[6:7], v11, s4 src0_sel:BYTE_0 src1_sel:DWORD
	s_mov_b64 s[4:5], 0
                                        ; implicit-def: $sgpr10
	s_and_saveexec_b64 s[8:9], s[6:7]
	s_xor_b64 s[6:7], exec, s[8:9]
	s_cbranch_execnz .LBB39_2953
; %bb.905:
	s_or_saveexec_b64 s[6:7], s[6:7]
	v_mov_b32_e32 v10, s10
	s_xor_b64 exec, exec, s[6:7]
	s_cbranch_execnz .LBB39_2956
.LBB39_906:
	s_or_b64 exec, exec, s[6:7]
	s_and_saveexec_b64 s[6:7], s[4:5]
	s_cbranch_execz .LBB39_908
.LBB39_907:
	v_bfe_u32 v10, v6, 8, 3
	v_ffbh_u32_e32 v13, v10
	v_min_u32_e32 v13, 32, v13
	v_lshrrev_b16_e32 v12, 3, v11
	v_subrev_u32_e32 v14, 28, v13
	v_and_b32_e32 v12, 15, v12
	v_lshlrev_b32_e32 v11, v14, v11
	v_sub_u32_e32 v13, 29, v13
	v_and_b32_e32 v11, 7, v11
	v_cmp_eq_u16_e32 vcc, 0, v12
	v_cndmask_b32_e32 v10, v10, v11, vcc
	v_cndmask_b32_e32 v11, v12, v13, vcc
	v_lshlrev_b32_e32 v12, 16, v6
	v_mov_b32_e32 v13, 0x3b800000
	v_lshlrev_b32_e32 v10, 20, v10
	v_and_b32_e32 v12, 0x80000000, v12
	v_lshl_add_u32 v11, v11, 23, v13
	v_or3_b32 v10, v12, v11, v10
.LBB39_908:
	s_or_b64 exec, exec, s[6:7]
	v_lshrrev_b32_e32 v11, 8, v2
	s_movk_i32 s4, 0x7f
	v_cmp_gt_i16_sdwa s[6:7], v11, s4 src0_sel:BYTE_0 src1_sel:DWORD
	s_mov_b64 s[4:5], 0
                                        ; implicit-def: $sgpr10
	s_and_saveexec_b64 s[8:9], s[6:7]
	s_xor_b64 s[6:7], exec, s[8:9]
	s_cbranch_execnz .LBB39_2957
; %bb.909:
	s_or_saveexec_b64 s[6:7], s[6:7]
	v_mov_b32_e32 v12, s10
	s_xor_b64 exec, exec, s[6:7]
	s_cbranch_execnz .LBB39_2960
.LBB39_910:
	s_or_b64 exec, exec, s[6:7]
	s_and_saveexec_b64 s[6:7], s[4:5]
	s_cbranch_execz .LBB39_912
.LBB39_911:
	v_bfe_u32 v12, v2, 8, 3
	v_ffbh_u32_e32 v14, v12
	v_min_u32_e32 v14, 32, v14
	v_lshrrev_b16_e32 v13, 3, v11
	v_subrev_u32_e32 v15, 28, v14
	v_and_b32_e32 v13, 15, v13
	v_lshlrev_b32_e32 v11, v15, v11
	v_sub_u32_e32 v14, 29, v14
	v_and_b32_e32 v11, 7, v11
	v_cmp_eq_u16_e32 vcc, 0, v13
	v_cndmask_b32_e32 v11, v12, v11, vcc
	v_cndmask_b32_e32 v12, v13, v14, vcc
	v_lshlrev_b32_e32 v13, 16, v2
	v_mov_b32_e32 v14, 0x3b800000
	v_lshlrev_b32_e32 v11, 20, v11
	v_and_b32_e32 v13, 0x80000000, v13
	v_lshl_add_u32 v12, v12, 23, v14
	v_or3_b32 v12, v13, v12, v11
.LBB39_912:
	s_or_b64 exec, exec, s[6:7]
	s_nop 0
	v_mfma_f32_16x16x4f32 a[0:3], v10, v12, a[0:3]
	s_movk_i32 s4, 0xff
	v_and_b32_sdwa v11, v6, s4 dst_sel:DWORD dst_unused:UNUSED_PAD src0_sel:WORD_1 src1_sel:DWORD
	s_movk_i32 s4, 0x7f
	v_cmp_lt_i16_e32 vcc, s4, v11
	s_mov_b64 s[4:5], 0
                                        ; implicit-def: $sgpr10
	s_and_saveexec_b64 s[6:7], vcc
	s_xor_b64 s[6:7], exec, s[6:7]
	s_cbranch_execnz .LBB39_2961
; %bb.913:
	s_or_saveexec_b64 s[6:7], s[6:7]
	v_mov_b32_e32 v10, s10
	s_xor_b64 exec, exec, s[6:7]
	s_cbranch_execnz .LBB39_2964
.LBB39_914:
	s_or_b64 exec, exec, s[6:7]
	s_and_saveexec_b64 s[6:7], s[4:5]
	s_cbranch_execz .LBB39_916
.LBB39_915:
	v_bfe_u32 v10, v6, 16, 3
	v_ffbh_u32_e32 v13, v10
	v_min_u32_e32 v13, 32, v13
	v_lshrrev_b32_e32 v11, 19, v6
	v_subrev_u32_e32 v14, 28, v13
	v_and_b32_e32 v11, 15, v11
	v_lshlrev_b32_sdwa v14, v14, v6 dst_sel:DWORD dst_unused:UNUSED_PAD src0_sel:DWORD src1_sel:WORD_1
	v_bfe_u32 v12, v6, 19, 4
	v_sub_u32_e32 v13, 29, v13
	v_and_b32_e32 v14, 7, v14
	v_cmp_eq_u16_e32 vcc, 0, v11
	v_cndmask_b32_e32 v10, v10, v14, vcc
	v_cndmask_b32_e32 v11, v12, v13, vcc
	v_lshlrev_b32_e32 v12, 8, v6
	v_mov_b32_e32 v13, 0x3b800000
	v_lshlrev_b32_e32 v10, 20, v10
	v_and_b32_e32 v12, 0x80000000, v12
	v_lshl_add_u32 v11, v11, 23, v13
	v_or3_b32 v10, v12, v11, v10
.LBB39_916:
	s_or_b64 exec, exec, s[6:7]
	s_movk_i32 s4, 0xff
	v_and_b32_sdwa v11, v2, s4 dst_sel:DWORD dst_unused:UNUSED_PAD src0_sel:WORD_1 src1_sel:DWORD
	s_movk_i32 s4, 0x7f
	v_cmp_lt_i16_e32 vcc, s4, v11
	s_mov_b64 s[4:5], 0
                                        ; implicit-def: $sgpr10
	s_and_saveexec_b64 s[6:7], vcc
	s_xor_b64 s[6:7], exec, s[6:7]
	s_cbranch_execnz .LBB39_2965
; %bb.917:
	s_or_saveexec_b64 s[6:7], s[6:7]
	v_mov_b32_e32 v12, s10
	s_xor_b64 exec, exec, s[6:7]
	s_cbranch_execnz .LBB39_2968
.LBB39_918:
	s_or_b64 exec, exec, s[6:7]
	s_and_saveexec_b64 s[6:7], s[4:5]
	s_cbranch_execz .LBB39_920
.LBB39_919:
	v_bfe_u32 v11, v2, 16, 3
	v_ffbh_u32_e32 v14, v11
	v_min_u32_e32 v14, 32, v14
	v_lshrrev_b32_e32 v12, 19, v2
	v_subrev_u32_e32 v15, 28, v14
	v_and_b32_e32 v12, 15, v12
	v_lshlrev_b32_sdwa v15, v15, v2 dst_sel:DWORD dst_unused:UNUSED_PAD src0_sel:DWORD src1_sel:WORD_1
	v_bfe_u32 v13, v2, 19, 4
	v_sub_u32_e32 v14, 29, v14
	v_and_b32_e32 v15, 7, v15
	v_cmp_eq_u16_e32 vcc, 0, v12
	v_cndmask_b32_e32 v11, v11, v15, vcc
	v_cndmask_b32_e32 v12, v13, v14, vcc
	v_lshlrev_b32_e32 v13, 8, v2
	v_mov_b32_e32 v14, 0x3b800000
	v_lshlrev_b32_e32 v11, 20, v11
	v_and_b32_e32 v13, 0x80000000, v13
	v_lshl_add_u32 v12, v12, 23, v14
	v_or3_b32 v12, v13, v12, v11
.LBB39_920:
	s_or_b64 exec, exec, s[6:7]
	s_nop 0
	v_mfma_f32_16x16x4f32 a[0:3], v10, v12, a[0:3]
	s_movk_i32 s4, 0x7f
	v_cmp_gt_i16_sdwa s[6:7], v6, s4 src0_sel:BYTE_3 src1_sel:DWORD
	s_mov_b64 s[4:5], 0
                                        ; implicit-def: $sgpr10
	s_and_saveexec_b64 s[8:9], s[6:7]
	s_xor_b64 s[6:7], exec, s[8:9]
	s_cbranch_execnz .LBB39_2969
; %bb.921:
	s_or_saveexec_b64 s[6:7], s[6:7]
	v_mov_b32_e32 v10, s10
	s_xor_b64 exec, exec, s[6:7]
	s_cbranch_execnz .LBB39_2972
.LBB39_922:
	s_or_b64 exec, exec, s[6:7]
	s_and_saveexec_b64 s[6:7], s[4:5]
	s_cbranch_execz .LBB39_924
.LBB39_923:
	v_bfe_u32 v10, v6, 24, 3
	v_ffbh_u32_e32 v14, v10
	v_min_u32_e32 v14, 32, v14
	v_lshrrev_b32_e32 v12, 27, v6
	v_subrev_u32_e32 v15, 28, v14
	v_and_b32_e32 v11, 0x80000000, v6
	v_and_b32_e32 v12, 15, v12
	v_bfe_u32 v13, v6, 27, 4
	v_lshlrev_b32_sdwa v6, v15, v6 dst_sel:DWORD dst_unused:UNUSED_PAD src0_sel:DWORD src1_sel:BYTE_3
	v_sub_u32_e32 v14, 29, v14
	v_and_b32_e32 v6, 7, v6
	v_cmp_eq_u16_e32 vcc, 0, v12
	v_cndmask_b32_e32 v6, v10, v6, vcc
	v_cndmask_b32_e32 v10, v13, v14, vcc
	v_mov_b32_e32 v12, 0x3b800000
	v_lshlrev_b32_e32 v6, 20, v6
	v_lshl_add_u32 v10, v10, 23, v12
	v_or3_b32 v10, v11, v10, v6
.LBB39_924:
	s_or_b64 exec, exec, s[6:7]
	s_movk_i32 s4, 0x7f
	v_cmp_gt_i16_sdwa s[6:7], v2, s4 src0_sel:BYTE_3 src1_sel:DWORD
	s_mov_b64 s[4:5], 0
                                        ; implicit-def: $sgpr10
	s_and_saveexec_b64 s[8:9], s[6:7]
	s_xor_b64 s[6:7], exec, s[8:9]
	s_cbranch_execnz .LBB39_2973
; %bb.925:
	s_or_saveexec_b64 s[6:7], s[6:7]
	v_mov_b32_e32 v6, s10
	s_xor_b64 exec, exec, s[6:7]
	s_cbranch_execnz .LBB39_2976
.LBB39_926:
	s_or_b64 exec, exec, s[6:7]
	s_and_saveexec_b64 s[6:7], s[4:5]
	s_cbranch_execz .LBB39_928
.LBB39_927:
	v_bfe_u32 v6, v2, 24, 3
	v_ffbh_u32_e32 v14, v6
	v_min_u32_e32 v14, 32, v14
	v_lshrrev_b32_e32 v12, 27, v2
	v_subrev_u32_e32 v15, 28, v14
	v_and_b32_e32 v11, 0x80000000, v2
	v_and_b32_e32 v12, 15, v12
	v_bfe_u32 v13, v2, 27, 4
	v_lshlrev_b32_sdwa v2, v15, v2 dst_sel:DWORD dst_unused:UNUSED_PAD src0_sel:DWORD src1_sel:BYTE_3
	v_sub_u32_e32 v14, 29, v14
	v_and_b32_e32 v2, 7, v2
	v_cmp_eq_u16_e32 vcc, 0, v12
	v_cndmask_b32_e32 v2, v6, v2, vcc
	v_cndmask_b32_e32 v6, v13, v14, vcc
	v_mov_b32_e32 v12, 0x3b800000
	v_lshlrev_b32_e32 v2, 20, v2
	v_lshl_add_u32 v6, v6, 23, v12
	v_or3_b32 v6, v11, v6, v2
.LBB39_928:
	s_or_b64 exec, exec, s[6:7]
	s_nop 0
	v_mfma_f32_16x16x4f32 a[0:3], v10, v6, a[0:3]
	s_movk_i32 s4, 0x7f
	v_cmp_gt_i16_sdwa s[6:7], v7, s4 src0_sel:BYTE_0 src1_sel:DWORD
	s_mov_b64 s[4:5], 0
                                        ; implicit-def: $sgpr10
	s_and_saveexec_b64 s[8:9], s[6:7]
	s_xor_b64 s[6:7], exec, s[8:9]
	s_cbranch_execnz .LBB39_2977
; %bb.929:
	s_or_saveexec_b64 s[6:7], s[6:7]
	v_mov_b32_e32 v2, s10
	s_xor_b64 exec, exec, s[6:7]
	s_cbranch_execnz .LBB39_2980
.LBB39_930:
	s_or_b64 exec, exec, s[6:7]
	s_and_saveexec_b64 s[6:7], s[4:5]
	s_cbranch_execz .LBB39_932
.LBB39_931:
	v_and_b32_e32 v2, 7, v7
	v_ffbh_u32_e32 v10, v2
	v_min_u32_e32 v10, 32, v10
	v_lshrrev_b16_e32 v6, 3, v7
	v_subrev_u32_e32 v11, 28, v10
	v_and_b32_e32 v6, 15, v6
	v_lshlrev_b32_e32 v11, v11, v7
	v_sub_u32_e32 v10, 29, v10
	v_and_b32_e32 v11, 7, v11
	v_cmp_eq_u16_e32 vcc, 0, v6
	v_cndmask_b32_e32 v2, v2, v11, vcc
	v_cndmask_b32_e32 v6, v6, v10, vcc
	v_lshlrev_b32_e32 v10, 24, v7
	v_mov_b32_e32 v11, 0x3b800000
	v_lshlrev_b32_e32 v2, 20, v2
	v_and_b32_e32 v10, 0x80000000, v10
	v_lshl_add_u32 v6, v6, 23, v11
	v_or3_b32 v2, v10, v6, v2
.LBB39_932:
	s_or_b64 exec, exec, s[6:7]
	s_movk_i32 s4, 0x7f
	v_cmp_gt_i16_sdwa s[6:7], v3, s4 src0_sel:BYTE_0 src1_sel:DWORD
	s_mov_b64 s[4:5], 0
                                        ; implicit-def: $sgpr10
	s_and_saveexec_b64 s[8:9], s[6:7]
	s_xor_b64 s[6:7], exec, s[8:9]
	s_cbranch_execnz .LBB39_2981
; %bb.933:
	s_or_saveexec_b64 s[6:7], s[6:7]
	v_mov_b32_e32 v6, s10
	s_xor_b64 exec, exec, s[6:7]
	s_cbranch_execnz .LBB39_2984
.LBB39_934:
	s_or_b64 exec, exec, s[6:7]
	s_and_saveexec_b64 s[6:7], s[4:5]
	s_cbranch_execz .LBB39_936
.LBB39_935:
	v_and_b32_e32 v6, 7, v3
	v_ffbh_u32_e32 v11, v6
	v_min_u32_e32 v11, 32, v11
	v_lshrrev_b16_e32 v10, 3, v3
	v_subrev_u32_e32 v12, 28, v11
	v_and_b32_e32 v10, 15, v10
	v_lshlrev_b32_e32 v12, v12, v3
	v_sub_u32_e32 v11, 29, v11
	v_and_b32_e32 v12, 7, v12
	v_cmp_eq_u16_e32 vcc, 0, v10
	v_cndmask_b32_e32 v6, v6, v12, vcc
	v_cndmask_b32_e32 v10, v10, v11, vcc
	v_lshlrev_b32_e32 v11, 24, v3
	v_mov_b32_e32 v12, 0x3b800000
	v_lshlrev_b32_e32 v6, 20, v6
	v_and_b32_e32 v11, 0x80000000, v11
	v_lshl_add_u32 v10, v10, 23, v12
	v_or3_b32 v6, v11, v10, v6
.LBB39_936:
	s_or_b64 exec, exec, s[6:7]
	s_nop 0
	v_mfma_f32_16x16x4f32 a[0:3], v2, v6, a[0:3]
	v_lshrrev_b32_e32 v6, 8, v7
	s_movk_i32 s4, 0x7f
	v_cmp_gt_i16_sdwa s[6:7], v6, s4 src0_sel:BYTE_0 src1_sel:DWORD
	s_mov_b64 s[4:5], 0
                                        ; implicit-def: $sgpr10
	s_and_saveexec_b64 s[8:9], s[6:7]
	s_xor_b64 s[6:7], exec, s[8:9]
	s_cbranch_execnz .LBB39_2985
; %bb.937:
	s_or_saveexec_b64 s[6:7], s[6:7]
	v_mov_b32_e32 v2, s10
	s_xor_b64 exec, exec, s[6:7]
	s_cbranch_execnz .LBB39_2988
.LBB39_938:
	s_or_b64 exec, exec, s[6:7]
	s_and_saveexec_b64 s[6:7], s[4:5]
	s_cbranch_execz .LBB39_940
.LBB39_939:
	v_bfe_u32 v2, v7, 8, 3
	v_ffbh_u32_e32 v11, v2
	v_min_u32_e32 v11, 32, v11
	v_lshrrev_b16_e32 v10, 3, v6
	v_subrev_u32_e32 v12, 28, v11
	v_and_b32_e32 v10, 15, v10
	v_lshlrev_b32_e32 v6, v12, v6
	v_sub_u32_e32 v11, 29, v11
	v_and_b32_e32 v6, 7, v6
	v_cmp_eq_u16_e32 vcc, 0, v10
	v_cndmask_b32_e32 v2, v2, v6, vcc
	v_cndmask_b32_e32 v6, v10, v11, vcc
	v_lshlrev_b32_e32 v10, 16, v7
	v_mov_b32_e32 v11, 0x3b800000
	v_lshlrev_b32_e32 v2, 20, v2
	v_and_b32_e32 v10, 0x80000000, v10
	v_lshl_add_u32 v6, v6, 23, v11
	v_or3_b32 v2, v10, v6, v2
.LBB39_940:
	s_or_b64 exec, exec, s[6:7]
	v_lshrrev_b32_e32 v6, 8, v3
	s_movk_i32 s4, 0x7f
	v_cmp_gt_i16_sdwa s[6:7], v6, s4 src0_sel:BYTE_0 src1_sel:DWORD
	s_mov_b64 s[4:5], 0
                                        ; implicit-def: $sgpr10
	s_and_saveexec_b64 s[8:9], s[6:7]
	s_xor_b64 s[6:7], exec, s[8:9]
	s_cbranch_execnz .LBB39_2989
; %bb.941:
	s_or_saveexec_b64 s[6:7], s[6:7]
	v_mov_b32_e32 v10, s10
	s_xor_b64 exec, exec, s[6:7]
	s_cbranch_execnz .LBB39_2992
.LBB39_942:
	s_or_b64 exec, exec, s[6:7]
	s_and_saveexec_b64 s[6:7], s[4:5]
	s_cbranch_execz .LBB39_944
.LBB39_943:
	v_bfe_u32 v10, v3, 8, 3
	v_ffbh_u32_e32 v12, v10
	v_min_u32_e32 v12, 32, v12
	v_lshrrev_b16_e32 v11, 3, v6
	v_subrev_u32_e32 v13, 28, v12
	v_and_b32_e32 v11, 15, v11
	v_lshlrev_b32_e32 v6, v13, v6
	v_sub_u32_e32 v12, 29, v12
	v_and_b32_e32 v6, 7, v6
	v_cmp_eq_u16_e32 vcc, 0, v11
	v_cndmask_b32_e32 v6, v10, v6, vcc
	v_cndmask_b32_e32 v10, v11, v12, vcc
	v_lshlrev_b32_e32 v11, 16, v3
	v_mov_b32_e32 v12, 0x3b800000
	v_lshlrev_b32_e32 v6, 20, v6
	v_and_b32_e32 v11, 0x80000000, v11
	v_lshl_add_u32 v10, v10, 23, v12
	v_or3_b32 v10, v11, v10, v6
.LBB39_944:
	s_or_b64 exec, exec, s[6:7]
	s_nop 0
	v_mfma_f32_16x16x4f32 a[0:3], v2, v10, a[0:3]
	s_movk_i32 s4, 0xff
	v_and_b32_sdwa v6, v7, s4 dst_sel:DWORD dst_unused:UNUSED_PAD src0_sel:WORD_1 src1_sel:DWORD
	s_movk_i32 s4, 0x7f
	v_cmp_lt_i16_e32 vcc, s4, v6
	s_mov_b64 s[4:5], 0
                                        ; implicit-def: $sgpr10
	s_and_saveexec_b64 s[6:7], vcc
	s_xor_b64 s[6:7], exec, s[6:7]
	s_cbranch_execnz .LBB39_2993
; %bb.945:
	s_or_saveexec_b64 s[6:7], s[6:7]
	v_mov_b32_e32 v2, s10
	s_xor_b64 exec, exec, s[6:7]
	s_cbranch_execnz .LBB39_2996
.LBB39_946:
	s_or_b64 exec, exec, s[6:7]
	s_and_saveexec_b64 s[6:7], s[4:5]
	s_cbranch_execz .LBB39_948
.LBB39_947:
	v_bfe_u32 v2, v7, 16, 3
	v_ffbh_u32_e32 v11, v2
	v_min_u32_e32 v11, 32, v11
	v_lshrrev_b32_e32 v6, 19, v7
	v_subrev_u32_e32 v12, 28, v11
	v_and_b32_e32 v6, 15, v6
	v_lshlrev_b32_sdwa v12, v12, v7 dst_sel:DWORD dst_unused:UNUSED_PAD src0_sel:DWORD src1_sel:WORD_1
	v_bfe_u32 v10, v7, 19, 4
	v_sub_u32_e32 v11, 29, v11
	v_and_b32_e32 v12, 7, v12
	v_cmp_eq_u16_e32 vcc, 0, v6
	v_cndmask_b32_e32 v2, v2, v12, vcc
	v_cndmask_b32_e32 v6, v10, v11, vcc
	v_lshlrev_b32_e32 v10, 8, v7
	v_mov_b32_e32 v11, 0x3b800000
	v_lshlrev_b32_e32 v2, 20, v2
	v_and_b32_e32 v10, 0x80000000, v10
	v_lshl_add_u32 v6, v6, 23, v11
	v_or3_b32 v2, v10, v6, v2
.LBB39_948:
	s_or_b64 exec, exec, s[6:7]
	s_movk_i32 s4, 0xff
	v_and_b32_sdwa v6, v3, s4 dst_sel:DWORD dst_unused:UNUSED_PAD src0_sel:WORD_1 src1_sel:DWORD
	s_movk_i32 s4, 0x7f
	v_cmp_lt_i16_e32 vcc, s4, v6
	s_mov_b64 s[4:5], 0
                                        ; implicit-def: $sgpr10
	s_and_saveexec_b64 s[6:7], vcc
	s_xor_b64 s[6:7], exec, s[6:7]
	s_cbranch_execnz .LBB39_2997
; %bb.949:
	s_or_saveexec_b64 s[6:7], s[6:7]
	v_mov_b32_e32 v10, s10
	s_xor_b64 exec, exec, s[6:7]
	s_cbranch_execnz .LBB39_3000
.LBB39_950:
	s_or_b64 exec, exec, s[6:7]
	s_and_saveexec_b64 s[6:7], s[4:5]
	s_cbranch_execz .LBB39_952
.LBB39_951:
	v_bfe_u32 v6, v3, 16, 3
	v_ffbh_u32_e32 v12, v6
	v_min_u32_e32 v12, 32, v12
	v_lshrrev_b32_e32 v10, 19, v3
	v_subrev_u32_e32 v13, 28, v12
	v_and_b32_e32 v10, 15, v10
	v_lshlrev_b32_sdwa v13, v13, v3 dst_sel:DWORD dst_unused:UNUSED_PAD src0_sel:DWORD src1_sel:WORD_1
	v_bfe_u32 v11, v3, 19, 4
	v_sub_u32_e32 v12, 29, v12
	v_and_b32_e32 v13, 7, v13
	v_cmp_eq_u16_e32 vcc, 0, v10
	v_cndmask_b32_e32 v6, v6, v13, vcc
	v_cndmask_b32_e32 v10, v11, v12, vcc
	v_lshlrev_b32_e32 v11, 8, v3
	v_mov_b32_e32 v12, 0x3b800000
	v_lshlrev_b32_e32 v6, 20, v6
	v_and_b32_e32 v11, 0x80000000, v11
	v_lshl_add_u32 v10, v10, 23, v12
	v_or3_b32 v10, v11, v10, v6
.LBB39_952:
	s_or_b64 exec, exec, s[6:7]
	s_nop 0
	v_mfma_f32_16x16x4f32 a[0:3], v2, v10, a[0:3]
	s_movk_i32 s4, 0x7f
	v_cmp_gt_i16_sdwa s[6:7], v7, s4 src0_sel:BYTE_3 src1_sel:DWORD
	s_mov_b64 s[4:5], 0
                                        ; implicit-def: $sgpr10
	s_and_saveexec_b64 s[8:9], s[6:7]
	s_xor_b64 s[6:7], exec, s[8:9]
	s_cbranch_execnz .LBB39_3001
; %bb.953:
	s_or_saveexec_b64 s[6:7], s[6:7]
	v_mov_b32_e32 v2, s10
	s_xor_b64 exec, exec, s[6:7]
	s_cbranch_execnz .LBB39_3004
.LBB39_954:
	s_or_b64 exec, exec, s[6:7]
	s_and_saveexec_b64 s[6:7], s[4:5]
	s_cbranch_execz .LBB39_956
.LBB39_955:
	v_bfe_u32 v2, v7, 24, 3
	v_ffbh_u32_e32 v12, v2
	v_min_u32_e32 v12, 32, v12
	v_lshrrev_b32_e32 v10, 27, v7
	v_subrev_u32_e32 v13, 28, v12
	v_and_b32_e32 v6, 0x80000000, v7
	v_and_b32_e32 v10, 15, v10
	v_bfe_u32 v11, v7, 27, 4
	v_lshlrev_b32_sdwa v7, v13, v7 dst_sel:DWORD dst_unused:UNUSED_PAD src0_sel:DWORD src1_sel:BYTE_3
	v_sub_u32_e32 v12, 29, v12
	v_and_b32_e32 v7, 7, v7
	v_cmp_eq_u16_e32 vcc, 0, v10
	v_cndmask_b32_e32 v2, v2, v7, vcc
	v_cndmask_b32_e32 v7, v11, v12, vcc
	v_mov_b32_e32 v10, 0x3b800000
	v_lshlrev_b32_e32 v2, 20, v2
	v_lshl_add_u32 v7, v7, 23, v10
	v_or3_b32 v2, v6, v7, v2
.LBB39_956:
	s_or_b64 exec, exec, s[6:7]
	s_movk_i32 s4, 0x7f
	v_cmp_gt_i16_sdwa s[6:7], v3, s4 src0_sel:BYTE_3 src1_sel:DWORD
	s_mov_b64 s[4:5], 0
                                        ; implicit-def: $sgpr10
	s_and_saveexec_b64 s[8:9], s[6:7]
	s_xor_b64 s[6:7], exec, s[8:9]
	s_cbranch_execnz .LBB39_3005
; %bb.957:
	s_or_saveexec_b64 s[6:7], s[6:7]
	v_mov_b32_e32 v6, s10
	s_xor_b64 exec, exec, s[6:7]
	s_cbranch_execnz .LBB39_3008
.LBB39_958:
	s_or_b64 exec, exec, s[6:7]
	s_and_saveexec_b64 s[6:7], s[4:5]
	s_cbranch_execz .LBB39_960
.LBB39_959:
	v_bfe_u32 v6, v3, 24, 3
	v_ffbh_u32_e32 v12, v6
	v_min_u32_e32 v12, 32, v12
	v_lshrrev_b32_e32 v10, 27, v3
	v_subrev_u32_e32 v13, 28, v12
	v_and_b32_e32 v7, 0x80000000, v3
	v_and_b32_e32 v10, 15, v10
	v_bfe_u32 v11, v3, 27, 4
	v_lshlrev_b32_sdwa v3, v13, v3 dst_sel:DWORD dst_unused:UNUSED_PAD src0_sel:DWORD src1_sel:BYTE_3
	v_sub_u32_e32 v12, 29, v12
	v_and_b32_e32 v3, 7, v3
	v_cmp_eq_u16_e32 vcc, 0, v10
	v_cndmask_b32_e32 v3, v6, v3, vcc
	v_cndmask_b32_e32 v6, v11, v12, vcc
	v_mov_b32_e32 v10, 0x3b800000
	v_lshlrev_b32_e32 v3, 20, v3
	v_lshl_add_u32 v6, v6, 23, v10
	v_or3_b32 v6, v7, v6, v3
.LBB39_960:
	s_or_b64 exec, exec, s[6:7]
	s_nop 0
	v_mfma_f32_16x16x4f32 a[0:3], v2, v6, a[0:3]
	s_movk_i32 s4, 0x7f
	v_cmp_gt_i16_sdwa s[6:7], v8, s4 src0_sel:BYTE_0 src1_sel:DWORD
	s_mov_b64 s[4:5], 0
                                        ; implicit-def: $sgpr10
	s_and_saveexec_b64 s[8:9], s[6:7]
	s_xor_b64 s[6:7], exec, s[8:9]
	s_cbranch_execnz .LBB39_3009
; %bb.961:
	s_or_saveexec_b64 s[6:7], s[6:7]
	v_mov_b32_e32 v2, s10
	s_xor_b64 exec, exec, s[6:7]
	s_cbranch_execnz .LBB39_3012
.LBB39_962:
	s_or_b64 exec, exec, s[6:7]
	s_and_saveexec_b64 s[6:7], s[4:5]
	s_cbranch_execz .LBB39_964
.LBB39_963:
	v_and_b32_e32 v2, 7, v8
	v_ffbh_u32_e32 v6, v2
	v_min_u32_e32 v6, 32, v6
	v_lshrrev_b16_e32 v3, 3, v8
	v_subrev_u32_e32 v7, 28, v6
	v_and_b32_e32 v3, 15, v3
	v_lshlrev_b32_e32 v7, v7, v8
	v_sub_u32_e32 v6, 29, v6
	v_and_b32_e32 v7, 7, v7
	v_cmp_eq_u16_e32 vcc, 0, v3
	v_cndmask_b32_e32 v2, v2, v7, vcc
	v_cndmask_b32_e32 v3, v3, v6, vcc
	v_lshlrev_b32_e32 v6, 24, v8
	v_mov_b32_e32 v7, 0x3b800000
	v_lshlrev_b32_e32 v2, 20, v2
	v_and_b32_e32 v6, 0x80000000, v6
	v_lshl_add_u32 v3, v3, 23, v7
	v_or3_b32 v2, v6, v3, v2
.LBB39_964:
	s_or_b64 exec, exec, s[6:7]
	s_movk_i32 s4, 0x7f
	v_cmp_gt_i16_sdwa s[6:7], v4, s4 src0_sel:BYTE_0 src1_sel:DWORD
	s_mov_b64 s[4:5], 0
                                        ; implicit-def: $sgpr10
	s_and_saveexec_b64 s[8:9], s[6:7]
	s_xor_b64 s[6:7], exec, s[8:9]
	s_cbranch_execnz .LBB39_3013
; %bb.965:
	s_or_saveexec_b64 s[6:7], s[6:7]
	v_mov_b32_e32 v3, s10
	s_xor_b64 exec, exec, s[6:7]
	s_cbranch_execnz .LBB39_3016
.LBB39_966:
	s_or_b64 exec, exec, s[6:7]
	s_and_saveexec_b64 s[6:7], s[4:5]
	s_cbranch_execz .LBB39_968
.LBB39_967:
	v_and_b32_e32 v3, 7, v4
	v_ffbh_u32_e32 v7, v3
	v_min_u32_e32 v7, 32, v7
	v_lshrrev_b16_e32 v6, 3, v4
	v_subrev_u32_e32 v10, 28, v7
	v_and_b32_e32 v6, 15, v6
	v_lshlrev_b32_e32 v10, v10, v4
	v_sub_u32_e32 v7, 29, v7
	v_and_b32_e32 v10, 7, v10
	v_cmp_eq_u16_e32 vcc, 0, v6
	v_cndmask_b32_e32 v3, v3, v10, vcc
	v_cndmask_b32_e32 v6, v6, v7, vcc
	v_lshlrev_b32_e32 v7, 24, v4
	v_mov_b32_e32 v10, 0x3b800000
	v_lshlrev_b32_e32 v3, 20, v3
	v_and_b32_e32 v7, 0x80000000, v7
	v_lshl_add_u32 v6, v6, 23, v10
	v_or3_b32 v3, v7, v6, v3
.LBB39_968:
	s_or_b64 exec, exec, s[6:7]
	s_nop 0
	v_mfma_f32_16x16x4f32 a[0:3], v2, v3, a[0:3]
	v_lshrrev_b32_e32 v3, 8, v8
	s_movk_i32 s4, 0x7f
	v_cmp_gt_i16_sdwa s[6:7], v3, s4 src0_sel:BYTE_0 src1_sel:DWORD
	s_mov_b64 s[4:5], 0
                                        ; implicit-def: $sgpr10
	s_and_saveexec_b64 s[8:9], s[6:7]
	s_xor_b64 s[6:7], exec, s[8:9]
	s_cbranch_execnz .LBB39_3017
; %bb.969:
	s_or_saveexec_b64 s[6:7], s[6:7]
	v_mov_b32_e32 v2, s10
	s_xor_b64 exec, exec, s[6:7]
	s_cbranch_execnz .LBB39_3020
.LBB39_970:
	s_or_b64 exec, exec, s[6:7]
	s_and_saveexec_b64 s[6:7], s[4:5]
	s_cbranch_execz .LBB39_972
.LBB39_971:
	v_bfe_u32 v2, v8, 8, 3
	v_ffbh_u32_e32 v7, v2
	v_min_u32_e32 v7, 32, v7
	v_lshrrev_b16_e32 v6, 3, v3
	v_subrev_u32_e32 v10, 28, v7
	v_and_b32_e32 v6, 15, v6
	v_lshlrev_b32_e32 v3, v10, v3
	v_sub_u32_e32 v7, 29, v7
	v_and_b32_e32 v3, 7, v3
	v_cmp_eq_u16_e32 vcc, 0, v6
	v_cndmask_b32_e32 v2, v2, v3, vcc
	v_cndmask_b32_e32 v3, v6, v7, vcc
	v_lshlrev_b32_e32 v6, 16, v8
	v_mov_b32_e32 v7, 0x3b800000
	v_lshlrev_b32_e32 v2, 20, v2
	v_and_b32_e32 v6, 0x80000000, v6
	v_lshl_add_u32 v3, v3, 23, v7
	v_or3_b32 v2, v6, v3, v2
.LBB39_972:
	s_or_b64 exec, exec, s[6:7]
	v_lshrrev_b32_e32 v3, 8, v4
	s_movk_i32 s4, 0x7f
	v_cmp_gt_i16_sdwa s[6:7], v3, s4 src0_sel:BYTE_0 src1_sel:DWORD
	s_mov_b64 s[4:5], 0
                                        ; implicit-def: $sgpr10
	s_and_saveexec_b64 s[8:9], s[6:7]
	s_xor_b64 s[6:7], exec, s[8:9]
	s_cbranch_execnz .LBB39_3021
; %bb.973:
	s_or_saveexec_b64 s[6:7], s[6:7]
	v_mov_b32_e32 v6, s10
	s_xor_b64 exec, exec, s[6:7]
	s_cbranch_execnz .LBB39_3024
.LBB39_974:
	s_or_b64 exec, exec, s[6:7]
	s_and_saveexec_b64 s[6:7], s[4:5]
	s_cbranch_execz .LBB39_976
.LBB39_975:
	v_bfe_u32 v6, v4, 8, 3
	v_ffbh_u32_e32 v10, v6
	v_min_u32_e32 v10, 32, v10
	v_lshrrev_b16_e32 v7, 3, v3
	v_subrev_u32_e32 v11, 28, v10
	v_and_b32_e32 v7, 15, v7
	v_lshlrev_b32_e32 v3, v11, v3
	v_sub_u32_e32 v10, 29, v10
	v_and_b32_e32 v3, 7, v3
	v_cmp_eq_u16_e32 vcc, 0, v7
	v_cndmask_b32_e32 v3, v6, v3, vcc
	v_cndmask_b32_e32 v6, v7, v10, vcc
	v_lshlrev_b32_e32 v7, 16, v4
	v_mov_b32_e32 v10, 0x3b800000
	v_lshlrev_b32_e32 v3, 20, v3
	v_and_b32_e32 v7, 0x80000000, v7
	v_lshl_add_u32 v6, v6, 23, v10
	v_or3_b32 v6, v7, v6, v3
.LBB39_976:
	s_or_b64 exec, exec, s[6:7]
	s_nop 0
	v_mfma_f32_16x16x4f32 a[0:3], v2, v6, a[0:3]
	s_movk_i32 s4, 0xff
	v_and_b32_sdwa v3, v8, s4 dst_sel:DWORD dst_unused:UNUSED_PAD src0_sel:WORD_1 src1_sel:DWORD
	s_movk_i32 s4, 0x7f
	v_cmp_lt_i16_e32 vcc, s4, v3
	s_mov_b64 s[4:5], 0
                                        ; implicit-def: $sgpr10
	s_and_saveexec_b64 s[6:7], vcc
	s_xor_b64 s[6:7], exec, s[6:7]
	s_cbranch_execnz .LBB39_3025
; %bb.977:
	s_or_saveexec_b64 s[6:7], s[6:7]
	v_mov_b32_e32 v2, s10
	s_xor_b64 exec, exec, s[6:7]
	s_cbranch_execnz .LBB39_3028
.LBB39_978:
	s_or_b64 exec, exec, s[6:7]
	s_and_saveexec_b64 s[6:7], s[4:5]
	s_cbranch_execz .LBB39_980
.LBB39_979:
	v_bfe_u32 v2, v8, 16, 3
	v_ffbh_u32_e32 v7, v2
	v_min_u32_e32 v7, 32, v7
	v_lshrrev_b32_e32 v3, 19, v8
	v_subrev_u32_e32 v10, 28, v7
	v_and_b32_e32 v3, 15, v3
	v_lshlrev_b32_sdwa v10, v10, v8 dst_sel:DWORD dst_unused:UNUSED_PAD src0_sel:DWORD src1_sel:WORD_1
	v_bfe_u32 v6, v8, 19, 4
	v_sub_u32_e32 v7, 29, v7
	v_and_b32_e32 v10, 7, v10
	v_cmp_eq_u16_e32 vcc, 0, v3
	v_cndmask_b32_e32 v2, v2, v10, vcc
	v_cndmask_b32_e32 v3, v6, v7, vcc
	v_lshlrev_b32_e32 v6, 8, v8
	v_mov_b32_e32 v7, 0x3b800000
	v_lshlrev_b32_e32 v2, 20, v2
	v_and_b32_e32 v6, 0x80000000, v6
	v_lshl_add_u32 v3, v3, 23, v7
	v_or3_b32 v2, v6, v3, v2
.LBB39_980:
	s_or_b64 exec, exec, s[6:7]
	s_movk_i32 s4, 0xff
	v_and_b32_sdwa v3, v4, s4 dst_sel:DWORD dst_unused:UNUSED_PAD src0_sel:WORD_1 src1_sel:DWORD
	s_movk_i32 s4, 0x7f
	v_cmp_lt_i16_e32 vcc, s4, v3
	s_mov_b64 s[4:5], 0
                                        ; implicit-def: $sgpr10
	s_and_saveexec_b64 s[6:7], vcc
	s_xor_b64 s[6:7], exec, s[6:7]
	s_cbranch_execnz .LBB39_3029
; %bb.981:
	s_or_saveexec_b64 s[6:7], s[6:7]
	v_mov_b32_e32 v6, s10
	s_xor_b64 exec, exec, s[6:7]
	s_cbranch_execnz .LBB39_3032
.LBB39_982:
	s_or_b64 exec, exec, s[6:7]
	s_and_saveexec_b64 s[6:7], s[4:5]
	s_cbranch_execz .LBB39_984
.LBB39_983:
	v_bfe_u32 v3, v4, 16, 3
	v_ffbh_u32_e32 v10, v3
	v_min_u32_e32 v10, 32, v10
	v_lshrrev_b32_e32 v6, 19, v4
	v_subrev_u32_e32 v11, 28, v10
	v_and_b32_e32 v6, 15, v6
	v_lshlrev_b32_sdwa v11, v11, v4 dst_sel:DWORD dst_unused:UNUSED_PAD src0_sel:DWORD src1_sel:WORD_1
	v_bfe_u32 v7, v4, 19, 4
	v_sub_u32_e32 v10, 29, v10
	v_and_b32_e32 v11, 7, v11
	v_cmp_eq_u16_e32 vcc, 0, v6
	v_cndmask_b32_e32 v3, v3, v11, vcc
	v_cndmask_b32_e32 v6, v7, v10, vcc
	v_lshlrev_b32_e32 v7, 8, v4
	v_mov_b32_e32 v10, 0x3b800000
	v_lshlrev_b32_e32 v3, 20, v3
	v_and_b32_e32 v7, 0x80000000, v7
	v_lshl_add_u32 v6, v6, 23, v10
	v_or3_b32 v6, v7, v6, v3
.LBB39_984:
	s_or_b64 exec, exec, s[6:7]
	s_nop 0
	v_mfma_f32_16x16x4f32 a[0:3], v2, v6, a[0:3]
	s_movk_i32 s4, 0x7f
	v_cmp_gt_i16_sdwa s[6:7], v8, s4 src0_sel:BYTE_3 src1_sel:DWORD
	s_mov_b64 s[4:5], 0
                                        ; implicit-def: $sgpr10
	s_and_saveexec_b64 s[8:9], s[6:7]
	s_xor_b64 s[6:7], exec, s[8:9]
	s_cbranch_execnz .LBB39_3033
; %bb.985:
	s_or_saveexec_b64 s[6:7], s[6:7]
	v_mov_b32_e32 v2, s10
	s_xor_b64 exec, exec, s[6:7]
	s_cbranch_execnz .LBB39_3036
.LBB39_986:
	s_or_b64 exec, exec, s[6:7]
	s_and_saveexec_b64 s[6:7], s[4:5]
	s_cbranch_execz .LBB39_988
.LBB39_987:
	v_bfe_u32 v2, v8, 24, 3
	v_ffbh_u32_e32 v10, v2
	v_min_u32_e32 v10, 32, v10
	v_lshrrev_b32_e32 v6, 27, v8
	v_subrev_u32_e32 v11, 28, v10
	v_and_b32_e32 v3, 0x80000000, v8
	v_and_b32_e32 v6, 15, v6
	v_bfe_u32 v7, v8, 27, 4
	v_lshlrev_b32_sdwa v8, v11, v8 dst_sel:DWORD dst_unused:UNUSED_PAD src0_sel:DWORD src1_sel:BYTE_3
	v_sub_u32_e32 v10, 29, v10
	v_and_b32_e32 v8, 7, v8
	v_cmp_eq_u16_e32 vcc, 0, v6
	v_cndmask_b32_e32 v2, v2, v8, vcc
	v_cndmask_b32_e32 v6, v7, v10, vcc
	v_mov_b32_e32 v7, 0x3b800000
	v_lshlrev_b32_e32 v2, 20, v2
	v_lshl_add_u32 v6, v6, 23, v7
	v_or3_b32 v2, v3, v6, v2
.LBB39_988:
	s_or_b64 exec, exec, s[6:7]
	s_movk_i32 s4, 0x7f
	v_cmp_gt_i16_sdwa s[6:7], v4, s4 src0_sel:BYTE_3 src1_sel:DWORD
	s_mov_b64 s[4:5], 0
                                        ; implicit-def: $sgpr10
	s_and_saveexec_b64 s[8:9], s[6:7]
	s_xor_b64 s[6:7], exec, s[8:9]
	s_cbranch_execnz .LBB39_3037
; %bb.989:
	s_or_saveexec_b64 s[6:7], s[6:7]
	v_mov_b32_e32 v3, s10
	s_xor_b64 exec, exec, s[6:7]
	s_cbranch_execnz .LBB39_3040
.LBB39_990:
	s_or_b64 exec, exec, s[6:7]
	s_and_saveexec_b64 s[6:7], s[4:5]
	s_cbranch_execz .LBB39_992
.LBB39_991:
	v_bfe_u32 v3, v4, 24, 3
	v_ffbh_u32_e32 v10, v3
	v_min_u32_e32 v10, 32, v10
	v_lshrrev_b32_e32 v7, 27, v4
	v_subrev_u32_e32 v11, 28, v10
	v_and_b32_e32 v6, 0x80000000, v4
	v_and_b32_e32 v7, 15, v7
	v_bfe_u32 v8, v4, 27, 4
	v_lshlrev_b32_sdwa v4, v11, v4 dst_sel:DWORD dst_unused:UNUSED_PAD src0_sel:DWORD src1_sel:BYTE_3
	v_sub_u32_e32 v10, 29, v10
	v_and_b32_e32 v4, 7, v4
	v_cmp_eq_u16_e32 vcc, 0, v7
	v_cndmask_b32_e32 v3, v3, v4, vcc
	v_cndmask_b32_e32 v4, v8, v10, vcc
	v_mov_b32_e32 v7, 0x3b800000
	v_lshlrev_b32_e32 v3, 20, v3
	v_lshl_add_u32 v4, v4, 23, v7
	v_or3_b32 v3, v6, v4, v3
.LBB39_992:
	s_or_b64 exec, exec, s[6:7]
	s_nop 0
	v_mfma_f32_16x16x4f32 a[0:3], v2, v3, a[0:3]
	s_movk_i32 s4, 0x7f
	v_cmp_gt_i16_sdwa s[6:7], v9, s4 src0_sel:BYTE_0 src1_sel:DWORD
	s_mov_b64 s[4:5], 0
                                        ; implicit-def: $sgpr10
	s_and_saveexec_b64 s[8:9], s[6:7]
	s_xor_b64 s[6:7], exec, s[8:9]
	s_cbranch_execnz .LBB39_3041
; %bb.993:
	s_or_saveexec_b64 s[6:7], s[6:7]
	v_mov_b32_e32 v2, s10
	s_xor_b64 exec, exec, s[6:7]
	s_cbranch_execnz .LBB39_3044
.LBB39_994:
	s_or_b64 exec, exec, s[6:7]
	s_and_saveexec_b64 s[6:7], s[4:5]
	s_cbranch_execz .LBB39_996
.LBB39_995:
	v_mov_b32_e32 v2, 8
	v_and_b32_e32 v3, 7, v9
	v_lshrrev_b32_sdwa v2, v2, v9 dst_sel:BYTE_1 dst_unused:UNUSED_PAD src0_sel:DWORD src1_sel:DWORD
	v_ffbh_u32_e32 v4, v3
	v_or_b32_sdwa v2, v9, v2 dst_sel:DWORD dst_unused:UNUSED_PAD src0_sel:BYTE_0 src1_sel:DWORD
	v_min_u32_e32 v4, 32, v4
	v_lshrrev_b16_e32 v2, 3, v2
	v_subrev_u32_e32 v6, 28, v4
	v_and_b32_e32 v2, 15, v2
	v_lshlrev_b32_e32 v6, v6, v9
	v_sub_u32_e32 v4, 29, v4
	v_and_b32_e32 v6, 7, v6
	v_cmp_eq_u16_e32 vcc, 0, v2
	v_cndmask_b32_e32 v3, v3, v6, vcc
	v_cndmask_b32_e32 v2, v2, v4, vcc
	v_lshlrev_b32_e32 v4, 24, v9
	v_mov_b32_e32 v6, 0x3b800000
	v_lshlrev_b32_e32 v3, 20, v3
	v_and_b32_e32 v4, 0x80000000, v4
	v_lshl_add_u32 v2, v2, 23, v6
	v_or3_b32 v2, v4, v2, v3
.LBB39_996:
	s_or_b64 exec, exec, s[6:7]
	s_movk_i32 s4, 0x7f
	v_cmp_gt_i16_sdwa s[6:7], v5, s4 src0_sel:BYTE_0 src1_sel:DWORD
	s_mov_b64 s[4:5], 0
                                        ; implicit-def: $sgpr10
	s_and_saveexec_b64 s[8:9], s[6:7]
	s_xor_b64 s[6:7], exec, s[8:9]
	s_cbranch_execnz .LBB39_3045
; %bb.997:
	s_or_saveexec_b64 s[6:7], s[6:7]
	v_mov_b32_e32 v3, s10
	s_xor_b64 exec, exec, s[6:7]
	s_cbranch_execnz .LBB39_3048
.LBB39_998:
	s_or_b64 exec, exec, s[6:7]
	s_and_saveexec_b64 s[6:7], s[4:5]
	s_cbranch_execz .LBB39_1000
.LBB39_999:
	v_mov_b32_e32 v3, 8
	v_and_b32_e32 v4, 7, v5
	v_lshrrev_b32_sdwa v3, v3, v5 dst_sel:BYTE_1 dst_unused:UNUSED_PAD src0_sel:DWORD src1_sel:DWORD
	v_ffbh_u32_e32 v6, v4
	v_or_b32_sdwa v3, v5, v3 dst_sel:DWORD dst_unused:UNUSED_PAD src0_sel:BYTE_0 src1_sel:DWORD
	v_min_u32_e32 v6, 32, v6
	v_lshrrev_b16_e32 v3, 3, v3
	v_subrev_u32_e32 v7, 28, v6
	v_and_b32_e32 v3, 15, v3
	v_lshlrev_b32_e32 v7, v7, v5
	v_sub_u32_e32 v6, 29, v6
	v_and_b32_e32 v7, 7, v7
	v_cmp_eq_u16_e32 vcc, 0, v3
	v_cndmask_b32_e32 v4, v4, v7, vcc
	v_cndmask_b32_e32 v3, v3, v6, vcc
	v_lshlrev_b32_e32 v6, 24, v5
	v_mov_b32_e32 v7, 0x3b800000
	v_lshlrev_b32_e32 v4, 20, v4
	v_and_b32_e32 v6, 0x80000000, v6
	v_lshl_add_u32 v3, v3, 23, v7
	v_or3_b32 v3, v6, v3, v4
.LBB39_1000:
	s_or_b64 exec, exec, s[6:7]
	s_nop 0
	v_mfma_f32_16x16x4f32 a[0:3], v2, v3, a[0:3]
	v_lshrrev_b32_e32 v3, 8, v9
	s_movk_i32 s4, 0x7f
	v_cmp_gt_i16_sdwa s[6:7], v3, s4 src0_sel:BYTE_0 src1_sel:DWORD
	s_mov_b64 s[4:5], 0
                                        ; implicit-def: $sgpr10
	s_and_saveexec_b64 s[8:9], s[6:7]
	s_xor_b64 s[6:7], exec, s[8:9]
	s_cbranch_execnz .LBB39_3049
; %bb.1001:
	s_or_saveexec_b64 s[6:7], s[6:7]
	v_mov_b32_e32 v2, s10
	s_xor_b64 exec, exec, s[6:7]
	s_cbranch_execnz .LBB39_3052
.LBB39_1002:
	s_or_b64 exec, exec, s[6:7]
	s_and_saveexec_b64 s[6:7], s[4:5]
	s_cbranch_execz .LBB39_1004
.LBB39_1003:
	v_bfe_u32 v2, v9, 8, 3
	v_ffbh_u32_e32 v6, v2
	v_min_u32_e32 v6, 32, v6
	v_lshrrev_b16_e32 v4, 3, v3
	v_subrev_u32_e32 v7, 28, v6
	v_and_b32_e32 v4, 15, v4
	v_lshlrev_b32_e32 v3, v7, v3
	v_sub_u32_e32 v6, 29, v6
	v_and_b32_e32 v3, 7, v3
	v_cmp_eq_u16_e32 vcc, 0, v4
	v_cndmask_b32_e32 v2, v2, v3, vcc
	v_cndmask_b32_e32 v3, v4, v6, vcc
	v_lshlrev_b32_e32 v4, 16, v9
	v_mov_b32_e32 v6, 0x3b800000
	v_lshlrev_b32_e32 v2, 20, v2
	v_and_b32_e32 v4, 0x80000000, v4
	v_lshl_add_u32 v3, v3, 23, v6
	v_or3_b32 v2, v4, v3, v2
.LBB39_1004:
	s_or_b64 exec, exec, s[6:7]
	v_lshrrev_b32_e32 v3, 8, v5
	s_movk_i32 s4, 0x7f
	v_cmp_gt_i16_sdwa s[6:7], v3, s4 src0_sel:BYTE_0 src1_sel:DWORD
	s_mov_b64 s[4:5], 0
                                        ; implicit-def: $sgpr10
	s_and_saveexec_b64 s[8:9], s[6:7]
	s_xor_b64 s[6:7], exec, s[8:9]
	s_cbranch_execnz .LBB39_3053
; %bb.1005:
	s_or_saveexec_b64 s[6:7], s[6:7]
	v_mov_b32_e32 v4, s10
	s_xor_b64 exec, exec, s[6:7]
	s_cbranch_execnz .LBB39_3056
.LBB39_1006:
	s_or_b64 exec, exec, s[6:7]
	s_and_saveexec_b64 s[6:7], s[4:5]
	s_cbranch_execz .LBB39_1008
.LBB39_1007:
	v_bfe_u32 v4, v5, 8, 3
	v_ffbh_u32_e32 v7, v4
	v_min_u32_e32 v7, 32, v7
	v_lshrrev_b16_e32 v6, 3, v3
	v_subrev_u32_e32 v8, 28, v7
	v_and_b32_e32 v6, 15, v6
	v_lshlrev_b32_e32 v3, v8, v3
	v_sub_u32_e32 v7, 29, v7
	v_and_b32_e32 v3, 7, v3
	v_cmp_eq_u16_e32 vcc, 0, v6
	v_cndmask_b32_e32 v3, v4, v3, vcc
	v_cndmask_b32_e32 v4, v6, v7, vcc
	v_lshlrev_b32_e32 v6, 16, v5
	v_mov_b32_e32 v7, 0x3b800000
	v_lshlrev_b32_e32 v3, 20, v3
	v_and_b32_e32 v6, 0x80000000, v6
	v_lshl_add_u32 v4, v4, 23, v7
	v_or3_b32 v4, v6, v4, v3
.LBB39_1008:
	s_or_b64 exec, exec, s[6:7]
	s_nop 0
	v_mfma_f32_16x16x4f32 a[0:3], v2, v4, a[0:3]
	s_movk_i32 s4, 0xff
	v_and_b32_sdwa v3, v9, s4 dst_sel:DWORD dst_unused:UNUSED_PAD src0_sel:WORD_1 src1_sel:DWORD
	s_movk_i32 s4, 0x7f
	v_cmp_lt_i16_e32 vcc, s4, v3
	s_mov_b64 s[4:5], 0
                                        ; implicit-def: $sgpr10
	s_and_saveexec_b64 s[6:7], vcc
	s_xor_b64 s[6:7], exec, s[6:7]
	s_cbranch_execnz .LBB39_3057
; %bb.1009:
	s_or_saveexec_b64 s[6:7], s[6:7]
	v_mov_b32_e32 v2, s10
	s_xor_b64 exec, exec, s[6:7]
	s_cbranch_execnz .LBB39_3060
.LBB39_1010:
	s_or_b64 exec, exec, s[6:7]
	s_and_saveexec_b64 s[6:7], s[4:5]
	s_cbranch_execz .LBB39_1012
.LBB39_1011:
	v_bfe_u32 v2, v9, 16, 3
	v_ffbh_u32_e32 v6, v2
	v_min_u32_e32 v6, 32, v6
	v_lshrrev_b32_e32 v3, 19, v9
	v_subrev_u32_e32 v7, 28, v6
	v_and_b32_e32 v3, 15, v3
	v_lshlrev_b32_sdwa v7, v7, v9 dst_sel:DWORD dst_unused:UNUSED_PAD src0_sel:DWORD src1_sel:WORD_1
	v_bfe_u32 v4, v9, 19, 4
	v_sub_u32_e32 v6, 29, v6
	v_and_b32_e32 v7, 7, v7
	v_cmp_eq_u16_e32 vcc, 0, v3
	v_cndmask_b32_e32 v2, v2, v7, vcc
	v_cndmask_b32_e32 v3, v4, v6, vcc
	v_lshlrev_b32_e32 v4, 8, v9
	v_mov_b32_e32 v6, 0x3b800000
	v_lshlrev_b32_e32 v2, 20, v2
	v_and_b32_e32 v4, 0x80000000, v4
	v_lshl_add_u32 v3, v3, 23, v6
	v_or3_b32 v2, v4, v3, v2
.LBB39_1012:
	s_or_b64 exec, exec, s[6:7]
	s_movk_i32 s4, 0xff
	v_and_b32_sdwa v3, v5, s4 dst_sel:DWORD dst_unused:UNUSED_PAD src0_sel:WORD_1 src1_sel:DWORD
	s_movk_i32 s4, 0x7f
	v_cmp_lt_i16_e32 vcc, s4, v3
	s_mov_b64 s[4:5], 0
                                        ; implicit-def: $sgpr10
	s_and_saveexec_b64 s[6:7], vcc
	s_xor_b64 s[6:7], exec, s[6:7]
	s_cbranch_execnz .LBB39_3061
; %bb.1013:
	s_or_saveexec_b64 s[6:7], s[6:7]
	v_mov_b32_e32 v4, s10
	s_xor_b64 exec, exec, s[6:7]
	s_cbranch_execnz .LBB39_3064
.LBB39_1014:
	s_or_b64 exec, exec, s[6:7]
	s_and_saveexec_b64 s[6:7], s[4:5]
	s_cbranch_execz .LBB39_1016
.LBB39_1015:
	v_bfe_u32 v3, v5, 16, 3
	v_ffbh_u32_e32 v7, v3
	v_min_u32_e32 v7, 32, v7
	v_lshrrev_b32_e32 v4, 19, v5
	v_subrev_u32_e32 v8, 28, v7
	v_and_b32_e32 v4, 15, v4
	v_lshlrev_b32_sdwa v8, v8, v5 dst_sel:DWORD dst_unused:UNUSED_PAD src0_sel:DWORD src1_sel:WORD_1
	v_bfe_u32 v6, v5, 19, 4
	v_sub_u32_e32 v7, 29, v7
	v_and_b32_e32 v8, 7, v8
	v_cmp_eq_u16_e32 vcc, 0, v4
	v_cndmask_b32_e32 v3, v3, v8, vcc
	v_cndmask_b32_e32 v4, v6, v7, vcc
	v_lshlrev_b32_e32 v6, 8, v5
	v_mov_b32_e32 v7, 0x3b800000
	v_lshlrev_b32_e32 v3, 20, v3
	v_and_b32_e32 v6, 0x80000000, v6
	v_lshl_add_u32 v4, v4, 23, v7
	v_or3_b32 v4, v6, v4, v3
.LBB39_1016:
	s_or_b64 exec, exec, s[6:7]
	s_nop 0
	v_mfma_f32_16x16x4f32 a[0:3], v2, v4, a[0:3]
	s_movk_i32 s4, 0x7f
	v_cmp_gt_i16_sdwa s[6:7], v9, s4 src0_sel:BYTE_3 src1_sel:DWORD
	s_mov_b64 s[4:5], 0
                                        ; implicit-def: $sgpr10
	s_and_saveexec_b64 s[8:9], s[6:7]
	s_xor_b64 s[6:7], exec, s[8:9]
	s_cbranch_execnz .LBB39_3065
; %bb.1017:
	s_or_saveexec_b64 s[6:7], s[6:7]
	v_mov_b32_e32 v2, s10
	s_xor_b64 exec, exec, s[6:7]
	s_cbranch_execnz .LBB39_3068
.LBB39_1018:
	s_or_b64 exec, exec, s[6:7]
	s_and_saveexec_b64 s[6:7], s[4:5]
	s_cbranch_execz .LBB39_1020
.LBB39_1019:
	v_bfe_u32 v2, v9, 24, 3
	v_ffbh_u32_e32 v7, v2
	v_min_u32_e32 v7, 32, v7
	v_lshrrev_b32_e32 v4, 27, v9
	v_subrev_u32_e32 v8, 28, v7
	v_and_b32_e32 v4, 15, v4
	v_lshlrev_b32_sdwa v8, v8, v9 dst_sel:DWORD dst_unused:UNUSED_PAD src0_sel:DWORD src1_sel:BYTE_3
	v_bfe_u32 v6, v9, 27, 4
	v_sub_u32_e32 v7, 29, v7
	v_and_b32_e32 v8, 7, v8
	v_cmp_eq_u16_e32 vcc, 0, v4
	v_cndmask_b32_e32 v2, v2, v8, vcc
	v_cndmask_b32_e32 v4, v6, v7, vcc
	v_mov_b32_e32 v6, 0x3b800000
	v_and_b32_e32 v3, 0x80000000, v9
	v_lshlrev_b32_e32 v2, 20, v2
	v_lshl_add_u32 v4, v4, 23, v6
	v_or3_b32 v2, v3, v4, v2
.LBB39_1020:
	s_or_b64 exec, exec, s[6:7]
	s_movk_i32 s4, 0x7f
	v_cmp_gt_i16_sdwa s[6:7], v5, s4 src0_sel:BYTE_3 src1_sel:DWORD
	s_mov_b64 s[4:5], 0
                                        ; implicit-def: $sgpr10
	s_and_saveexec_b64 s[8:9], s[6:7]
	s_xor_b64 s[6:7], exec, s[8:9]
	s_cbranch_execnz .LBB39_3069
; %bb.1021:
	s_or_saveexec_b64 s[6:7], s[6:7]
	v_mov_b32_e32 v3, s10
	s_xor_b64 exec, exec, s[6:7]
	s_cbranch_execnz .LBB39_3072
.LBB39_1022:
	s_or_b64 exec, exec, s[6:7]
	s_and_saveexec_b64 s[6:7], s[4:5]
	s_cbranch_execz .LBB39_1024
.LBB39_1023:
	v_bfe_u32 v3, v5, 24, 3
	v_ffbh_u32_e32 v8, v3
	v_min_u32_e32 v8, 32, v8
	v_lshrrev_b32_e32 v6, 27, v5
	v_subrev_u32_e32 v9, 28, v8
	v_and_b32_e32 v4, 0x80000000, v5
	v_and_b32_e32 v6, 15, v6
	v_bfe_u32 v7, v5, 27, 4
	v_lshlrev_b32_sdwa v5, v9, v5 dst_sel:DWORD dst_unused:UNUSED_PAD src0_sel:DWORD src1_sel:BYTE_3
	v_sub_u32_e32 v8, 29, v8
	v_and_b32_e32 v5, 7, v5
	v_cmp_eq_u16_e32 vcc, 0, v6
	v_cndmask_b32_e32 v3, v3, v5, vcc
	v_cndmask_b32_e32 v5, v7, v8, vcc
	v_mov_b32_e32 v6, 0x3b800000
	v_lshlrev_b32_e32 v3, 20, v3
	v_lshl_add_u32 v5, v5, 23, v6
	v_or3_b32 v3, v4, v5, v3
.LBB39_1024:
	s_or_b64 exec, exec, s[6:7]
	s_nop 0
	v_mfma_f32_16x16x4f32 a[0:3], v2, v3, a[0:3]
	s_movk_i32 s4, 0x7f
                                        ; implicit-def: $sgpr10
	s_nop 7
	s_nop 1
	flat_store_dwordx4 v[18:19], a[0:3] offset:432
	flat_load_dwordx4 v[20:23], v[0:1] offset:16
	s_nop 0
	flat_load_dwordx2 v[18:19], v[0:1] offset:32
	s_waitcnt vmcnt(0) lgkmcnt(0)
	flat_load_dwordx4 v[14:17], v[20:21] offset:32
	flat_load_dwordx4 v[6:9], v[20:21] offset:48
	;; [unrolled: 1-line block ×4, first 2 shown]
	s_waitcnt vmcnt(0) lgkmcnt(0)
	v_cmp_gt_i16_sdwa s[6:7], v14, s4 src0_sel:BYTE_0 src1_sel:DWORD
	s_mov_b64 s[4:5], 0
	s_and_saveexec_b64 s[8:9], s[6:7]
	s_xor_b64 s[6:7], exec, s[8:9]
	s_cbranch_execnz .LBB39_3073
; %bb.1025:
	s_or_saveexec_b64 s[6:7], s[6:7]
	v_mov_b32_e32 v20, s10
	s_xor_b64 exec, exec, s[6:7]
	s_cbranch_execnz .LBB39_3076
.LBB39_1026:
	s_or_b64 exec, exec, s[6:7]
	s_and_saveexec_b64 s[6:7], s[4:5]
	s_cbranch_execz .LBB39_1028
.LBB39_1027:
	v_and_b32_e32 v20, 7, v14
	v_ffbh_u32_e32 v22, v20
	v_min_u32_e32 v22, 32, v22
	v_lshrrev_b16_e32 v21, 3, v14
	v_subrev_u32_e32 v23, 28, v22
	v_and_b32_e32 v21, 15, v21
	v_lshlrev_b32_e32 v23, v23, v14
	v_sub_u32_e32 v22, 29, v22
	v_and_b32_e32 v23, 7, v23
	v_cmp_eq_u16_e32 vcc, 0, v21
	v_cndmask_b32_e32 v20, v20, v23, vcc
	v_cndmask_b32_e32 v21, v21, v22, vcc
	v_lshlrev_b32_e32 v22, 24, v14
	v_mov_b32_e32 v23, 0x3b800000
	v_lshlrev_b32_e32 v20, 20, v20
	v_and_b32_e32 v22, 0x80000000, v22
	v_lshl_add_u32 v21, v21, 23, v23
	v_or3_b32 v20, v22, v21, v20
.LBB39_1028:
	s_or_b64 exec, exec, s[6:7]
	s_movk_i32 s4, 0x7f
	v_cmp_gt_i16_sdwa s[6:7], v10, s4 src0_sel:BYTE_0 src1_sel:DWORD
	s_mov_b64 s[4:5], 0
                                        ; implicit-def: $sgpr10
	s_and_saveexec_b64 s[8:9], s[6:7]
	s_xor_b64 s[6:7], exec, s[8:9]
	s_cbranch_execnz .LBB39_3077
; %bb.1029:
	s_or_saveexec_b64 s[6:7], s[6:7]
	v_mov_b32_e32 v21, s10
	s_xor_b64 exec, exec, s[6:7]
	s_cbranch_execnz .LBB39_3080
.LBB39_1030:
	s_or_b64 exec, exec, s[6:7]
	s_and_saveexec_b64 s[6:7], s[4:5]
	s_cbranch_execz .LBB39_1032
.LBB39_1031:
	v_and_b32_e32 v21, 7, v10
	v_ffbh_u32_e32 v23, v21
	v_min_u32_e32 v23, 32, v23
	v_lshrrev_b16_e32 v22, 3, v10
	v_subrev_u32_e32 v24, 28, v23
	v_and_b32_e32 v22, 15, v22
	v_lshlrev_b32_e32 v24, v24, v10
	v_sub_u32_e32 v23, 29, v23
	v_and_b32_e32 v24, 7, v24
	v_cmp_eq_u16_e32 vcc, 0, v22
	v_cndmask_b32_e32 v21, v21, v24, vcc
	v_cndmask_b32_e32 v22, v22, v23, vcc
	v_lshlrev_b32_e32 v23, 24, v10
	v_mov_b32_e32 v24, 0x3b800000
	v_lshlrev_b32_e32 v21, 20, v21
	v_and_b32_e32 v23, 0x80000000, v23
	v_lshl_add_u32 v22, v22, 23, v24
	v_or3_b32 v21, v23, v22, v21
.LBB39_1032:
	s_or_b64 exec, exec, s[6:7]
	flat_load_dwordx4 a[0:3], v[18:19] offset:448
	s_movk_i32 s4, 0x7f
                                        ; implicit-def: $sgpr10
	s_waitcnt vmcnt(0) lgkmcnt(0)
	v_mfma_f32_16x16x4f32 a[0:3], v20, v21, a[0:3]
	v_lshrrev_b32_e32 v21, 8, v14
	v_cmp_gt_i16_sdwa s[6:7], v21, s4 src0_sel:BYTE_0 src1_sel:DWORD
	s_mov_b64 s[4:5], 0
	s_and_saveexec_b64 s[8:9], s[6:7]
	s_xor_b64 s[6:7], exec, s[8:9]
	s_cbranch_execnz .LBB39_3081
; %bb.1033:
	s_or_saveexec_b64 s[6:7], s[6:7]
	v_mov_b32_e32 v20, s10
	s_xor_b64 exec, exec, s[6:7]
	s_cbranch_execnz .LBB39_3084
.LBB39_1034:
	s_or_b64 exec, exec, s[6:7]
	s_and_saveexec_b64 s[6:7], s[4:5]
	s_cbranch_execz .LBB39_1036
.LBB39_1035:
	v_bfe_u32 v20, v14, 8, 3
	v_ffbh_u32_e32 v23, v20
	v_min_u32_e32 v23, 32, v23
	v_lshrrev_b16_e32 v22, 3, v21
	v_subrev_u32_e32 v24, 28, v23
	v_and_b32_e32 v22, 15, v22
	v_lshlrev_b32_e32 v21, v24, v21
	v_sub_u32_e32 v23, 29, v23
	v_and_b32_e32 v21, 7, v21
	v_cmp_eq_u16_e32 vcc, 0, v22
	v_cndmask_b32_e32 v20, v20, v21, vcc
	v_cndmask_b32_e32 v21, v22, v23, vcc
	v_lshlrev_b32_e32 v22, 16, v14
	v_mov_b32_e32 v23, 0x3b800000
	v_lshlrev_b32_e32 v20, 20, v20
	v_and_b32_e32 v22, 0x80000000, v22
	v_lshl_add_u32 v21, v21, 23, v23
	v_or3_b32 v20, v22, v21, v20
.LBB39_1036:
	s_or_b64 exec, exec, s[6:7]
	v_lshrrev_b32_e32 v21, 8, v10
	s_movk_i32 s4, 0x7f
	v_cmp_gt_i16_sdwa s[6:7], v21, s4 src0_sel:BYTE_0 src1_sel:DWORD
	s_mov_b64 s[4:5], 0
                                        ; implicit-def: $sgpr10
	s_and_saveexec_b64 s[8:9], s[6:7]
	s_xor_b64 s[6:7], exec, s[8:9]
	s_cbranch_execnz .LBB39_3085
; %bb.1037:
	s_or_saveexec_b64 s[6:7], s[6:7]
	v_mov_b32_e32 v22, s10
	s_xor_b64 exec, exec, s[6:7]
	s_cbranch_execnz .LBB39_3088
.LBB39_1038:
	s_or_b64 exec, exec, s[6:7]
	s_and_saveexec_b64 s[6:7], s[4:5]
	s_cbranch_execz .LBB39_1040
.LBB39_1039:
	v_bfe_u32 v22, v10, 8, 3
	v_ffbh_u32_e32 v24, v22
	v_min_u32_e32 v24, 32, v24
	v_lshrrev_b16_e32 v23, 3, v21
	v_subrev_u32_e32 v25, 28, v24
	v_and_b32_e32 v23, 15, v23
	v_lshlrev_b32_e32 v21, v25, v21
	v_sub_u32_e32 v24, 29, v24
	v_and_b32_e32 v21, 7, v21
	v_cmp_eq_u16_e32 vcc, 0, v23
	v_cndmask_b32_e32 v21, v22, v21, vcc
	v_cndmask_b32_e32 v22, v23, v24, vcc
	v_lshlrev_b32_e32 v23, 16, v10
	v_mov_b32_e32 v24, 0x3b800000
	v_lshlrev_b32_e32 v21, 20, v21
	v_and_b32_e32 v23, 0x80000000, v23
	v_lshl_add_u32 v22, v22, 23, v24
	v_or3_b32 v22, v23, v22, v21
.LBB39_1040:
	s_or_b64 exec, exec, s[6:7]
	s_nop 0
	v_mfma_f32_16x16x4f32 a[0:3], v20, v22, a[0:3]
	s_movk_i32 s4, 0xff
	v_and_b32_sdwa v21, v14, s4 dst_sel:DWORD dst_unused:UNUSED_PAD src0_sel:WORD_1 src1_sel:DWORD
	s_movk_i32 s4, 0x7f
	v_cmp_lt_i16_e32 vcc, s4, v21
	s_mov_b64 s[4:5], 0
                                        ; implicit-def: $sgpr10
	s_and_saveexec_b64 s[6:7], vcc
	s_xor_b64 s[6:7], exec, s[6:7]
	s_cbranch_execnz .LBB39_3089
; %bb.1041:
	s_or_saveexec_b64 s[6:7], s[6:7]
	v_mov_b32_e32 v20, s10
	s_xor_b64 exec, exec, s[6:7]
	s_cbranch_execnz .LBB39_3092
.LBB39_1042:
	s_or_b64 exec, exec, s[6:7]
	s_and_saveexec_b64 s[6:7], s[4:5]
	s_cbranch_execz .LBB39_1044
.LBB39_1043:
	v_bfe_u32 v20, v14, 16, 3
	v_ffbh_u32_e32 v23, v20
	v_min_u32_e32 v23, 32, v23
	v_lshrrev_b32_e32 v21, 19, v14
	v_subrev_u32_e32 v24, 28, v23
	v_and_b32_e32 v21, 15, v21
	v_lshlrev_b32_sdwa v24, v24, v14 dst_sel:DWORD dst_unused:UNUSED_PAD src0_sel:DWORD src1_sel:WORD_1
	v_bfe_u32 v22, v14, 19, 4
	v_sub_u32_e32 v23, 29, v23
	v_and_b32_e32 v24, 7, v24
	v_cmp_eq_u16_e32 vcc, 0, v21
	v_cndmask_b32_e32 v20, v20, v24, vcc
	v_cndmask_b32_e32 v21, v22, v23, vcc
	v_lshlrev_b32_e32 v22, 8, v14
	v_mov_b32_e32 v23, 0x3b800000
	v_lshlrev_b32_e32 v20, 20, v20
	v_and_b32_e32 v22, 0x80000000, v22
	v_lshl_add_u32 v21, v21, 23, v23
	v_or3_b32 v20, v22, v21, v20
.LBB39_1044:
	s_or_b64 exec, exec, s[6:7]
	s_movk_i32 s4, 0xff
	v_and_b32_sdwa v21, v10, s4 dst_sel:DWORD dst_unused:UNUSED_PAD src0_sel:WORD_1 src1_sel:DWORD
	s_movk_i32 s4, 0x7f
	v_cmp_lt_i16_e32 vcc, s4, v21
	s_mov_b64 s[4:5], 0
                                        ; implicit-def: $sgpr10
	s_and_saveexec_b64 s[6:7], vcc
	s_xor_b64 s[6:7], exec, s[6:7]
	s_cbranch_execnz .LBB39_3093
; %bb.1045:
	s_or_saveexec_b64 s[6:7], s[6:7]
	v_mov_b32_e32 v22, s10
	s_xor_b64 exec, exec, s[6:7]
	s_cbranch_execnz .LBB39_3096
.LBB39_1046:
	s_or_b64 exec, exec, s[6:7]
	s_and_saveexec_b64 s[6:7], s[4:5]
	s_cbranch_execz .LBB39_1048
.LBB39_1047:
	v_bfe_u32 v21, v10, 16, 3
	v_ffbh_u32_e32 v24, v21
	v_min_u32_e32 v24, 32, v24
	v_lshrrev_b32_e32 v22, 19, v10
	v_subrev_u32_e32 v25, 28, v24
	v_and_b32_e32 v22, 15, v22
	v_lshlrev_b32_sdwa v25, v25, v10 dst_sel:DWORD dst_unused:UNUSED_PAD src0_sel:DWORD src1_sel:WORD_1
	v_bfe_u32 v23, v10, 19, 4
	v_sub_u32_e32 v24, 29, v24
	v_and_b32_e32 v25, 7, v25
	v_cmp_eq_u16_e32 vcc, 0, v22
	v_cndmask_b32_e32 v21, v21, v25, vcc
	v_cndmask_b32_e32 v22, v23, v24, vcc
	v_lshlrev_b32_e32 v23, 8, v10
	v_mov_b32_e32 v24, 0x3b800000
	v_lshlrev_b32_e32 v21, 20, v21
	v_and_b32_e32 v23, 0x80000000, v23
	v_lshl_add_u32 v22, v22, 23, v24
	v_or3_b32 v22, v23, v22, v21
.LBB39_1048:
	s_or_b64 exec, exec, s[6:7]
	s_nop 0
	v_mfma_f32_16x16x4f32 a[0:3], v20, v22, a[0:3]
	s_movk_i32 s4, 0x7f
	v_cmp_gt_i16_sdwa s[6:7], v14, s4 src0_sel:BYTE_3 src1_sel:DWORD
	s_mov_b64 s[4:5], 0
                                        ; implicit-def: $sgpr10
	s_and_saveexec_b64 s[8:9], s[6:7]
	s_xor_b64 s[6:7], exec, s[8:9]
	s_cbranch_execnz .LBB39_3097
; %bb.1049:
	s_or_saveexec_b64 s[6:7], s[6:7]
	v_mov_b32_e32 v20, s10
	s_xor_b64 exec, exec, s[6:7]
	s_cbranch_execnz .LBB39_3100
.LBB39_1050:
	s_or_b64 exec, exec, s[6:7]
	s_and_saveexec_b64 s[6:7], s[4:5]
	s_cbranch_execz .LBB39_1052
.LBB39_1051:
	v_bfe_u32 v20, v14, 24, 3
	v_ffbh_u32_e32 v24, v20
	v_min_u32_e32 v24, 32, v24
	v_lshrrev_b32_e32 v22, 27, v14
	v_subrev_u32_e32 v25, 28, v24
	v_and_b32_e32 v21, 0x80000000, v14
	v_and_b32_e32 v22, 15, v22
	v_bfe_u32 v23, v14, 27, 4
	v_lshlrev_b32_sdwa v14, v25, v14 dst_sel:DWORD dst_unused:UNUSED_PAD src0_sel:DWORD src1_sel:BYTE_3
	v_sub_u32_e32 v24, 29, v24
	v_and_b32_e32 v14, 7, v14
	v_cmp_eq_u16_e32 vcc, 0, v22
	v_cndmask_b32_e32 v14, v20, v14, vcc
	v_cndmask_b32_e32 v20, v23, v24, vcc
	v_mov_b32_e32 v22, 0x3b800000
	v_lshlrev_b32_e32 v14, 20, v14
	v_lshl_add_u32 v20, v20, 23, v22
	v_or3_b32 v20, v21, v20, v14
.LBB39_1052:
	s_or_b64 exec, exec, s[6:7]
	s_movk_i32 s4, 0x7f
	v_cmp_gt_i16_sdwa s[6:7], v10, s4 src0_sel:BYTE_3 src1_sel:DWORD
	s_mov_b64 s[4:5], 0
                                        ; implicit-def: $sgpr10
	s_and_saveexec_b64 s[8:9], s[6:7]
	s_xor_b64 s[6:7], exec, s[8:9]
	s_cbranch_execnz .LBB39_3101
; %bb.1053:
	s_or_saveexec_b64 s[6:7], s[6:7]
	v_mov_b32_e32 v14, s10
	s_xor_b64 exec, exec, s[6:7]
	s_cbranch_execnz .LBB39_3104
.LBB39_1054:
	s_or_b64 exec, exec, s[6:7]
	s_and_saveexec_b64 s[6:7], s[4:5]
	s_cbranch_execz .LBB39_1056
.LBB39_1055:
	v_bfe_u32 v14, v10, 24, 3
	v_ffbh_u32_e32 v24, v14
	v_min_u32_e32 v24, 32, v24
	v_lshrrev_b32_e32 v22, 27, v10
	v_subrev_u32_e32 v25, 28, v24
	v_and_b32_e32 v21, 0x80000000, v10
	v_and_b32_e32 v22, 15, v22
	v_bfe_u32 v23, v10, 27, 4
	v_lshlrev_b32_sdwa v10, v25, v10 dst_sel:DWORD dst_unused:UNUSED_PAD src0_sel:DWORD src1_sel:BYTE_3
	v_sub_u32_e32 v24, 29, v24
	v_and_b32_e32 v10, 7, v10
	v_cmp_eq_u16_e32 vcc, 0, v22
	v_cndmask_b32_e32 v10, v14, v10, vcc
	v_cndmask_b32_e32 v14, v23, v24, vcc
	v_mov_b32_e32 v22, 0x3b800000
	v_lshlrev_b32_e32 v10, 20, v10
	v_lshl_add_u32 v14, v14, 23, v22
	v_or3_b32 v14, v21, v14, v10
.LBB39_1056:
	s_or_b64 exec, exec, s[6:7]
	s_nop 0
	v_mfma_f32_16x16x4f32 a[0:3], v20, v14, a[0:3]
	s_movk_i32 s4, 0x7f
	v_cmp_gt_i16_sdwa s[6:7], v15, s4 src0_sel:BYTE_0 src1_sel:DWORD
	s_mov_b64 s[4:5], 0
                                        ; implicit-def: $sgpr10
	s_and_saveexec_b64 s[8:9], s[6:7]
	s_xor_b64 s[6:7], exec, s[8:9]
	s_cbranch_execnz .LBB39_3105
; %bb.1057:
	s_or_saveexec_b64 s[6:7], s[6:7]
	v_mov_b32_e32 v10, s10
	s_xor_b64 exec, exec, s[6:7]
	s_cbranch_execnz .LBB39_3108
.LBB39_1058:
	s_or_b64 exec, exec, s[6:7]
	s_and_saveexec_b64 s[6:7], s[4:5]
	s_cbranch_execz .LBB39_1060
.LBB39_1059:
	v_and_b32_e32 v10, 7, v15
	v_ffbh_u32_e32 v20, v10
	v_min_u32_e32 v20, 32, v20
	v_lshrrev_b16_e32 v14, 3, v15
	v_subrev_u32_e32 v21, 28, v20
	v_and_b32_e32 v14, 15, v14
	v_lshlrev_b32_e32 v21, v21, v15
	v_sub_u32_e32 v20, 29, v20
	v_and_b32_e32 v21, 7, v21
	v_cmp_eq_u16_e32 vcc, 0, v14
	v_cndmask_b32_e32 v10, v10, v21, vcc
	v_cndmask_b32_e32 v14, v14, v20, vcc
	v_lshlrev_b32_e32 v20, 24, v15
	v_mov_b32_e32 v21, 0x3b800000
	v_lshlrev_b32_e32 v10, 20, v10
	v_and_b32_e32 v20, 0x80000000, v20
	v_lshl_add_u32 v14, v14, 23, v21
	v_or3_b32 v10, v20, v14, v10
.LBB39_1060:
	s_or_b64 exec, exec, s[6:7]
	s_movk_i32 s4, 0x7f
	v_cmp_gt_i16_sdwa s[6:7], v11, s4 src0_sel:BYTE_0 src1_sel:DWORD
	s_mov_b64 s[4:5], 0
                                        ; implicit-def: $sgpr10
	s_and_saveexec_b64 s[8:9], s[6:7]
	s_xor_b64 s[6:7], exec, s[8:9]
	s_cbranch_execnz .LBB39_3109
; %bb.1061:
	s_or_saveexec_b64 s[6:7], s[6:7]
	v_mov_b32_e32 v14, s10
	s_xor_b64 exec, exec, s[6:7]
	s_cbranch_execnz .LBB39_3112
.LBB39_1062:
	s_or_b64 exec, exec, s[6:7]
	s_and_saveexec_b64 s[6:7], s[4:5]
	s_cbranch_execz .LBB39_1064
.LBB39_1063:
	v_and_b32_e32 v14, 7, v11
	v_ffbh_u32_e32 v21, v14
	v_min_u32_e32 v21, 32, v21
	v_lshrrev_b16_e32 v20, 3, v11
	v_subrev_u32_e32 v22, 28, v21
	v_and_b32_e32 v20, 15, v20
	v_lshlrev_b32_e32 v22, v22, v11
	v_sub_u32_e32 v21, 29, v21
	v_and_b32_e32 v22, 7, v22
	v_cmp_eq_u16_e32 vcc, 0, v20
	v_cndmask_b32_e32 v14, v14, v22, vcc
	v_cndmask_b32_e32 v20, v20, v21, vcc
	v_lshlrev_b32_e32 v21, 24, v11
	v_mov_b32_e32 v22, 0x3b800000
	v_lshlrev_b32_e32 v14, 20, v14
	v_and_b32_e32 v21, 0x80000000, v21
	v_lshl_add_u32 v20, v20, 23, v22
	v_or3_b32 v14, v21, v20, v14
.LBB39_1064:
	s_or_b64 exec, exec, s[6:7]
	s_nop 0
	v_mfma_f32_16x16x4f32 a[0:3], v10, v14, a[0:3]
	v_lshrrev_b32_e32 v14, 8, v15
	s_movk_i32 s4, 0x7f
	v_cmp_gt_i16_sdwa s[6:7], v14, s4 src0_sel:BYTE_0 src1_sel:DWORD
	s_mov_b64 s[4:5], 0
                                        ; implicit-def: $sgpr10
	s_and_saveexec_b64 s[8:9], s[6:7]
	s_xor_b64 s[6:7], exec, s[8:9]
	s_cbranch_execnz .LBB39_3113
; %bb.1065:
	s_or_saveexec_b64 s[6:7], s[6:7]
	v_mov_b32_e32 v10, s10
	s_xor_b64 exec, exec, s[6:7]
	s_cbranch_execnz .LBB39_3116
.LBB39_1066:
	s_or_b64 exec, exec, s[6:7]
	s_and_saveexec_b64 s[6:7], s[4:5]
	s_cbranch_execz .LBB39_1068
.LBB39_1067:
	v_bfe_u32 v10, v15, 8, 3
	v_ffbh_u32_e32 v21, v10
	v_min_u32_e32 v21, 32, v21
	v_lshrrev_b16_e32 v20, 3, v14
	v_subrev_u32_e32 v22, 28, v21
	v_and_b32_e32 v20, 15, v20
	v_lshlrev_b32_e32 v14, v22, v14
	v_sub_u32_e32 v21, 29, v21
	v_and_b32_e32 v14, 7, v14
	v_cmp_eq_u16_e32 vcc, 0, v20
	v_cndmask_b32_e32 v10, v10, v14, vcc
	v_cndmask_b32_e32 v14, v20, v21, vcc
	v_lshlrev_b32_e32 v20, 16, v15
	v_mov_b32_e32 v21, 0x3b800000
	v_lshlrev_b32_e32 v10, 20, v10
	v_and_b32_e32 v20, 0x80000000, v20
	v_lshl_add_u32 v14, v14, 23, v21
	v_or3_b32 v10, v20, v14, v10
.LBB39_1068:
	s_or_b64 exec, exec, s[6:7]
	v_lshrrev_b32_e32 v14, 8, v11
	s_movk_i32 s4, 0x7f
	v_cmp_gt_i16_sdwa s[6:7], v14, s4 src0_sel:BYTE_0 src1_sel:DWORD
	s_mov_b64 s[4:5], 0
                                        ; implicit-def: $sgpr10
	s_and_saveexec_b64 s[8:9], s[6:7]
	s_xor_b64 s[6:7], exec, s[8:9]
	s_cbranch_execnz .LBB39_3117
; %bb.1069:
	s_or_saveexec_b64 s[6:7], s[6:7]
	v_mov_b32_e32 v20, s10
	s_xor_b64 exec, exec, s[6:7]
	s_cbranch_execnz .LBB39_3120
.LBB39_1070:
	s_or_b64 exec, exec, s[6:7]
	s_and_saveexec_b64 s[6:7], s[4:5]
	s_cbranch_execz .LBB39_1072
.LBB39_1071:
	v_bfe_u32 v20, v11, 8, 3
	v_ffbh_u32_e32 v22, v20
	v_min_u32_e32 v22, 32, v22
	v_lshrrev_b16_e32 v21, 3, v14
	v_subrev_u32_e32 v23, 28, v22
	v_and_b32_e32 v21, 15, v21
	v_lshlrev_b32_e32 v14, v23, v14
	v_sub_u32_e32 v22, 29, v22
	v_and_b32_e32 v14, 7, v14
	v_cmp_eq_u16_e32 vcc, 0, v21
	v_cndmask_b32_e32 v14, v20, v14, vcc
	v_cndmask_b32_e32 v20, v21, v22, vcc
	v_lshlrev_b32_e32 v21, 16, v11
	v_mov_b32_e32 v22, 0x3b800000
	v_lshlrev_b32_e32 v14, 20, v14
	v_and_b32_e32 v21, 0x80000000, v21
	v_lshl_add_u32 v20, v20, 23, v22
	v_or3_b32 v20, v21, v20, v14
.LBB39_1072:
	s_or_b64 exec, exec, s[6:7]
	s_nop 0
	v_mfma_f32_16x16x4f32 a[0:3], v10, v20, a[0:3]
	s_movk_i32 s4, 0xff
	v_and_b32_sdwa v14, v15, s4 dst_sel:DWORD dst_unused:UNUSED_PAD src0_sel:WORD_1 src1_sel:DWORD
	s_movk_i32 s4, 0x7f
	v_cmp_lt_i16_e32 vcc, s4, v14
	s_mov_b64 s[4:5], 0
                                        ; implicit-def: $sgpr10
	s_and_saveexec_b64 s[6:7], vcc
	s_xor_b64 s[6:7], exec, s[6:7]
	s_cbranch_execnz .LBB39_3121
; %bb.1073:
	s_or_saveexec_b64 s[6:7], s[6:7]
	v_mov_b32_e32 v10, s10
	s_xor_b64 exec, exec, s[6:7]
	s_cbranch_execnz .LBB39_3124
.LBB39_1074:
	s_or_b64 exec, exec, s[6:7]
	s_and_saveexec_b64 s[6:7], s[4:5]
	s_cbranch_execz .LBB39_1076
.LBB39_1075:
	v_bfe_u32 v10, v15, 16, 3
	v_ffbh_u32_e32 v21, v10
	v_min_u32_e32 v21, 32, v21
	v_lshrrev_b32_e32 v14, 19, v15
	v_subrev_u32_e32 v22, 28, v21
	v_and_b32_e32 v14, 15, v14
	v_lshlrev_b32_sdwa v22, v22, v15 dst_sel:DWORD dst_unused:UNUSED_PAD src0_sel:DWORD src1_sel:WORD_1
	v_bfe_u32 v20, v15, 19, 4
	v_sub_u32_e32 v21, 29, v21
	v_and_b32_e32 v22, 7, v22
	v_cmp_eq_u16_e32 vcc, 0, v14
	v_cndmask_b32_e32 v10, v10, v22, vcc
	v_cndmask_b32_e32 v14, v20, v21, vcc
	v_lshlrev_b32_e32 v20, 8, v15
	v_mov_b32_e32 v21, 0x3b800000
	v_lshlrev_b32_e32 v10, 20, v10
	v_and_b32_e32 v20, 0x80000000, v20
	v_lshl_add_u32 v14, v14, 23, v21
	v_or3_b32 v10, v20, v14, v10
.LBB39_1076:
	s_or_b64 exec, exec, s[6:7]
	s_movk_i32 s4, 0xff
	v_and_b32_sdwa v14, v11, s4 dst_sel:DWORD dst_unused:UNUSED_PAD src0_sel:WORD_1 src1_sel:DWORD
	s_movk_i32 s4, 0x7f
	v_cmp_lt_i16_e32 vcc, s4, v14
	s_mov_b64 s[4:5], 0
                                        ; implicit-def: $sgpr10
	s_and_saveexec_b64 s[6:7], vcc
	s_xor_b64 s[6:7], exec, s[6:7]
	s_cbranch_execnz .LBB39_3125
; %bb.1077:
	s_or_saveexec_b64 s[6:7], s[6:7]
	v_mov_b32_e32 v20, s10
	s_xor_b64 exec, exec, s[6:7]
	s_cbranch_execnz .LBB39_3128
.LBB39_1078:
	s_or_b64 exec, exec, s[6:7]
	s_and_saveexec_b64 s[6:7], s[4:5]
	s_cbranch_execz .LBB39_1080
.LBB39_1079:
	v_bfe_u32 v14, v11, 16, 3
	v_ffbh_u32_e32 v22, v14
	v_min_u32_e32 v22, 32, v22
	v_lshrrev_b32_e32 v20, 19, v11
	v_subrev_u32_e32 v23, 28, v22
	v_and_b32_e32 v20, 15, v20
	v_lshlrev_b32_sdwa v23, v23, v11 dst_sel:DWORD dst_unused:UNUSED_PAD src0_sel:DWORD src1_sel:WORD_1
	v_bfe_u32 v21, v11, 19, 4
	v_sub_u32_e32 v22, 29, v22
	v_and_b32_e32 v23, 7, v23
	v_cmp_eq_u16_e32 vcc, 0, v20
	v_cndmask_b32_e32 v14, v14, v23, vcc
	v_cndmask_b32_e32 v20, v21, v22, vcc
	v_lshlrev_b32_e32 v21, 8, v11
	v_mov_b32_e32 v22, 0x3b800000
	v_lshlrev_b32_e32 v14, 20, v14
	v_and_b32_e32 v21, 0x80000000, v21
	v_lshl_add_u32 v20, v20, 23, v22
	v_or3_b32 v20, v21, v20, v14
.LBB39_1080:
	s_or_b64 exec, exec, s[6:7]
	s_nop 0
	v_mfma_f32_16x16x4f32 a[0:3], v10, v20, a[0:3]
	s_movk_i32 s4, 0x7f
	v_cmp_gt_i16_sdwa s[6:7], v15, s4 src0_sel:BYTE_3 src1_sel:DWORD
	s_mov_b64 s[4:5], 0
                                        ; implicit-def: $sgpr10
	s_and_saveexec_b64 s[8:9], s[6:7]
	s_xor_b64 s[6:7], exec, s[8:9]
	s_cbranch_execnz .LBB39_3129
; %bb.1081:
	s_or_saveexec_b64 s[6:7], s[6:7]
	v_mov_b32_e32 v10, s10
	s_xor_b64 exec, exec, s[6:7]
	s_cbranch_execnz .LBB39_3132
.LBB39_1082:
	s_or_b64 exec, exec, s[6:7]
	s_and_saveexec_b64 s[6:7], s[4:5]
	s_cbranch_execz .LBB39_1084
.LBB39_1083:
	v_bfe_u32 v10, v15, 24, 3
	v_ffbh_u32_e32 v22, v10
	v_min_u32_e32 v22, 32, v22
	v_lshrrev_b32_e32 v20, 27, v15
	v_subrev_u32_e32 v23, 28, v22
	v_and_b32_e32 v14, 0x80000000, v15
	v_and_b32_e32 v20, 15, v20
	v_bfe_u32 v21, v15, 27, 4
	v_lshlrev_b32_sdwa v15, v23, v15 dst_sel:DWORD dst_unused:UNUSED_PAD src0_sel:DWORD src1_sel:BYTE_3
	v_sub_u32_e32 v22, 29, v22
	v_and_b32_e32 v15, 7, v15
	v_cmp_eq_u16_e32 vcc, 0, v20
	v_cndmask_b32_e32 v10, v10, v15, vcc
	v_cndmask_b32_e32 v15, v21, v22, vcc
	v_mov_b32_e32 v20, 0x3b800000
	v_lshlrev_b32_e32 v10, 20, v10
	v_lshl_add_u32 v15, v15, 23, v20
	v_or3_b32 v10, v14, v15, v10
.LBB39_1084:
	s_or_b64 exec, exec, s[6:7]
	s_movk_i32 s4, 0x7f
	v_cmp_gt_i16_sdwa s[6:7], v11, s4 src0_sel:BYTE_3 src1_sel:DWORD
	s_mov_b64 s[4:5], 0
                                        ; implicit-def: $sgpr10
	s_and_saveexec_b64 s[8:9], s[6:7]
	s_xor_b64 s[6:7], exec, s[8:9]
	s_cbranch_execnz .LBB39_3133
; %bb.1085:
	s_or_saveexec_b64 s[6:7], s[6:7]
	v_mov_b32_e32 v14, s10
	s_xor_b64 exec, exec, s[6:7]
	s_cbranch_execnz .LBB39_3136
.LBB39_1086:
	s_or_b64 exec, exec, s[6:7]
	s_and_saveexec_b64 s[6:7], s[4:5]
	s_cbranch_execz .LBB39_1088
.LBB39_1087:
	v_bfe_u32 v14, v11, 24, 3
	v_ffbh_u32_e32 v22, v14
	v_min_u32_e32 v22, 32, v22
	v_lshrrev_b32_e32 v20, 27, v11
	v_subrev_u32_e32 v23, 28, v22
	v_and_b32_e32 v15, 0x80000000, v11
	v_and_b32_e32 v20, 15, v20
	v_bfe_u32 v21, v11, 27, 4
	v_lshlrev_b32_sdwa v11, v23, v11 dst_sel:DWORD dst_unused:UNUSED_PAD src0_sel:DWORD src1_sel:BYTE_3
	v_sub_u32_e32 v22, 29, v22
	v_and_b32_e32 v11, 7, v11
	v_cmp_eq_u16_e32 vcc, 0, v20
	v_cndmask_b32_e32 v11, v14, v11, vcc
	v_cndmask_b32_e32 v14, v21, v22, vcc
	v_mov_b32_e32 v20, 0x3b800000
	v_lshlrev_b32_e32 v11, 20, v11
	v_lshl_add_u32 v14, v14, 23, v20
	v_or3_b32 v14, v15, v14, v11
.LBB39_1088:
	s_or_b64 exec, exec, s[6:7]
	s_nop 0
	v_mfma_f32_16x16x4f32 a[0:3], v10, v14, a[0:3]
	s_movk_i32 s4, 0x7f
	v_cmp_gt_i16_sdwa s[6:7], v16, s4 src0_sel:BYTE_0 src1_sel:DWORD
	s_mov_b64 s[4:5], 0
                                        ; implicit-def: $sgpr10
	s_and_saveexec_b64 s[8:9], s[6:7]
	s_xor_b64 s[6:7], exec, s[8:9]
	s_cbranch_execnz .LBB39_3137
; %bb.1089:
	s_or_saveexec_b64 s[6:7], s[6:7]
	v_mov_b32_e32 v10, s10
	s_xor_b64 exec, exec, s[6:7]
	s_cbranch_execnz .LBB39_3140
.LBB39_1090:
	s_or_b64 exec, exec, s[6:7]
	s_and_saveexec_b64 s[6:7], s[4:5]
	s_cbranch_execz .LBB39_1092
.LBB39_1091:
	v_and_b32_e32 v10, 7, v16
	v_ffbh_u32_e32 v14, v10
	v_min_u32_e32 v14, 32, v14
	v_lshrrev_b16_e32 v11, 3, v16
	v_subrev_u32_e32 v15, 28, v14
	v_and_b32_e32 v11, 15, v11
	v_lshlrev_b32_e32 v15, v15, v16
	v_sub_u32_e32 v14, 29, v14
	v_and_b32_e32 v15, 7, v15
	v_cmp_eq_u16_e32 vcc, 0, v11
	v_cndmask_b32_e32 v10, v10, v15, vcc
	v_cndmask_b32_e32 v11, v11, v14, vcc
	v_lshlrev_b32_e32 v14, 24, v16
	v_mov_b32_e32 v15, 0x3b800000
	v_lshlrev_b32_e32 v10, 20, v10
	v_and_b32_e32 v14, 0x80000000, v14
	v_lshl_add_u32 v11, v11, 23, v15
	v_or3_b32 v10, v14, v11, v10
.LBB39_1092:
	s_or_b64 exec, exec, s[6:7]
	s_movk_i32 s4, 0x7f
	v_cmp_gt_i16_sdwa s[6:7], v12, s4 src0_sel:BYTE_0 src1_sel:DWORD
	s_mov_b64 s[4:5], 0
                                        ; implicit-def: $sgpr10
	s_and_saveexec_b64 s[8:9], s[6:7]
	s_xor_b64 s[6:7], exec, s[8:9]
	s_cbranch_execnz .LBB39_3141
; %bb.1093:
	s_or_saveexec_b64 s[6:7], s[6:7]
	v_mov_b32_e32 v11, s10
	s_xor_b64 exec, exec, s[6:7]
	s_cbranch_execnz .LBB39_3144
.LBB39_1094:
	s_or_b64 exec, exec, s[6:7]
	s_and_saveexec_b64 s[6:7], s[4:5]
	s_cbranch_execz .LBB39_1096
.LBB39_1095:
	v_and_b32_e32 v11, 7, v12
	v_ffbh_u32_e32 v15, v11
	v_min_u32_e32 v15, 32, v15
	v_lshrrev_b16_e32 v14, 3, v12
	v_subrev_u32_e32 v20, 28, v15
	v_and_b32_e32 v14, 15, v14
	v_lshlrev_b32_e32 v20, v20, v12
	v_sub_u32_e32 v15, 29, v15
	v_and_b32_e32 v20, 7, v20
	v_cmp_eq_u16_e32 vcc, 0, v14
	v_cndmask_b32_e32 v11, v11, v20, vcc
	v_cndmask_b32_e32 v14, v14, v15, vcc
	v_lshlrev_b32_e32 v15, 24, v12
	v_mov_b32_e32 v20, 0x3b800000
	v_lshlrev_b32_e32 v11, 20, v11
	v_and_b32_e32 v15, 0x80000000, v15
	v_lshl_add_u32 v14, v14, 23, v20
	v_or3_b32 v11, v15, v14, v11
.LBB39_1096:
	s_or_b64 exec, exec, s[6:7]
	s_nop 0
	v_mfma_f32_16x16x4f32 a[0:3], v10, v11, a[0:3]
	v_lshrrev_b32_e32 v11, 8, v16
	s_movk_i32 s4, 0x7f
	v_cmp_gt_i16_sdwa s[6:7], v11, s4 src0_sel:BYTE_0 src1_sel:DWORD
	s_mov_b64 s[4:5], 0
                                        ; implicit-def: $sgpr10
	s_and_saveexec_b64 s[8:9], s[6:7]
	s_xor_b64 s[6:7], exec, s[8:9]
	s_cbranch_execnz .LBB39_3145
; %bb.1097:
	s_or_saveexec_b64 s[6:7], s[6:7]
	v_mov_b32_e32 v10, s10
	s_xor_b64 exec, exec, s[6:7]
	s_cbranch_execnz .LBB39_3148
.LBB39_1098:
	s_or_b64 exec, exec, s[6:7]
	s_and_saveexec_b64 s[6:7], s[4:5]
	s_cbranch_execz .LBB39_1100
.LBB39_1099:
	v_bfe_u32 v10, v16, 8, 3
	v_ffbh_u32_e32 v15, v10
	v_min_u32_e32 v15, 32, v15
	v_lshrrev_b16_e32 v14, 3, v11
	v_subrev_u32_e32 v20, 28, v15
	v_and_b32_e32 v14, 15, v14
	v_lshlrev_b32_e32 v11, v20, v11
	v_sub_u32_e32 v15, 29, v15
	v_and_b32_e32 v11, 7, v11
	v_cmp_eq_u16_e32 vcc, 0, v14
	v_cndmask_b32_e32 v10, v10, v11, vcc
	v_cndmask_b32_e32 v11, v14, v15, vcc
	v_lshlrev_b32_e32 v14, 16, v16
	v_mov_b32_e32 v15, 0x3b800000
	v_lshlrev_b32_e32 v10, 20, v10
	v_and_b32_e32 v14, 0x80000000, v14
	v_lshl_add_u32 v11, v11, 23, v15
	v_or3_b32 v10, v14, v11, v10
.LBB39_1100:
	s_or_b64 exec, exec, s[6:7]
	v_lshrrev_b32_e32 v11, 8, v12
	s_movk_i32 s4, 0x7f
	v_cmp_gt_i16_sdwa s[6:7], v11, s4 src0_sel:BYTE_0 src1_sel:DWORD
	s_mov_b64 s[4:5], 0
                                        ; implicit-def: $sgpr10
	s_and_saveexec_b64 s[8:9], s[6:7]
	s_xor_b64 s[6:7], exec, s[8:9]
	s_cbranch_execnz .LBB39_3149
; %bb.1101:
	s_or_saveexec_b64 s[6:7], s[6:7]
	v_mov_b32_e32 v14, s10
	s_xor_b64 exec, exec, s[6:7]
	s_cbranch_execnz .LBB39_3152
.LBB39_1102:
	s_or_b64 exec, exec, s[6:7]
	s_and_saveexec_b64 s[6:7], s[4:5]
	s_cbranch_execz .LBB39_1104
.LBB39_1103:
	v_bfe_u32 v14, v12, 8, 3
	v_ffbh_u32_e32 v20, v14
	v_min_u32_e32 v20, 32, v20
	v_lshrrev_b16_e32 v15, 3, v11
	v_subrev_u32_e32 v21, 28, v20
	v_and_b32_e32 v15, 15, v15
	v_lshlrev_b32_e32 v11, v21, v11
	v_sub_u32_e32 v20, 29, v20
	v_and_b32_e32 v11, 7, v11
	v_cmp_eq_u16_e32 vcc, 0, v15
	v_cndmask_b32_e32 v11, v14, v11, vcc
	v_cndmask_b32_e32 v14, v15, v20, vcc
	v_lshlrev_b32_e32 v15, 16, v12
	v_mov_b32_e32 v20, 0x3b800000
	v_lshlrev_b32_e32 v11, 20, v11
	v_and_b32_e32 v15, 0x80000000, v15
	v_lshl_add_u32 v14, v14, 23, v20
	v_or3_b32 v14, v15, v14, v11
.LBB39_1104:
	s_or_b64 exec, exec, s[6:7]
	s_nop 0
	v_mfma_f32_16x16x4f32 a[0:3], v10, v14, a[0:3]
	s_movk_i32 s4, 0xff
	v_and_b32_sdwa v11, v16, s4 dst_sel:DWORD dst_unused:UNUSED_PAD src0_sel:WORD_1 src1_sel:DWORD
	s_movk_i32 s4, 0x7f
	v_cmp_lt_i16_e32 vcc, s4, v11
	s_mov_b64 s[4:5], 0
                                        ; implicit-def: $sgpr10
	s_and_saveexec_b64 s[6:7], vcc
	s_xor_b64 s[6:7], exec, s[6:7]
	s_cbranch_execnz .LBB39_3153
; %bb.1105:
	s_or_saveexec_b64 s[6:7], s[6:7]
	v_mov_b32_e32 v10, s10
	s_xor_b64 exec, exec, s[6:7]
	s_cbranch_execnz .LBB39_3156
.LBB39_1106:
	s_or_b64 exec, exec, s[6:7]
	s_and_saveexec_b64 s[6:7], s[4:5]
	s_cbranch_execz .LBB39_1108
.LBB39_1107:
	v_bfe_u32 v10, v16, 16, 3
	v_ffbh_u32_e32 v15, v10
	v_min_u32_e32 v15, 32, v15
	v_lshrrev_b32_e32 v11, 19, v16
	v_subrev_u32_e32 v20, 28, v15
	v_and_b32_e32 v11, 15, v11
	v_lshlrev_b32_sdwa v20, v20, v16 dst_sel:DWORD dst_unused:UNUSED_PAD src0_sel:DWORD src1_sel:WORD_1
	v_bfe_u32 v14, v16, 19, 4
	v_sub_u32_e32 v15, 29, v15
	v_and_b32_e32 v20, 7, v20
	v_cmp_eq_u16_e32 vcc, 0, v11
	v_cndmask_b32_e32 v10, v10, v20, vcc
	v_cndmask_b32_e32 v11, v14, v15, vcc
	v_lshlrev_b32_e32 v14, 8, v16
	v_mov_b32_e32 v15, 0x3b800000
	v_lshlrev_b32_e32 v10, 20, v10
	v_and_b32_e32 v14, 0x80000000, v14
	v_lshl_add_u32 v11, v11, 23, v15
	v_or3_b32 v10, v14, v11, v10
.LBB39_1108:
	s_or_b64 exec, exec, s[6:7]
	s_movk_i32 s4, 0xff
	v_and_b32_sdwa v11, v12, s4 dst_sel:DWORD dst_unused:UNUSED_PAD src0_sel:WORD_1 src1_sel:DWORD
	s_movk_i32 s4, 0x7f
	v_cmp_lt_i16_e32 vcc, s4, v11
	s_mov_b64 s[4:5], 0
                                        ; implicit-def: $sgpr10
	s_and_saveexec_b64 s[6:7], vcc
	s_xor_b64 s[6:7], exec, s[6:7]
	s_cbranch_execnz .LBB39_3157
; %bb.1109:
	s_or_saveexec_b64 s[6:7], s[6:7]
	v_mov_b32_e32 v14, s10
	s_xor_b64 exec, exec, s[6:7]
	s_cbranch_execnz .LBB39_3160
.LBB39_1110:
	s_or_b64 exec, exec, s[6:7]
	s_and_saveexec_b64 s[6:7], s[4:5]
	s_cbranch_execz .LBB39_1112
.LBB39_1111:
	v_bfe_u32 v11, v12, 16, 3
	v_ffbh_u32_e32 v20, v11
	v_min_u32_e32 v20, 32, v20
	v_lshrrev_b32_e32 v14, 19, v12
	v_subrev_u32_e32 v21, 28, v20
	v_and_b32_e32 v14, 15, v14
	v_lshlrev_b32_sdwa v21, v21, v12 dst_sel:DWORD dst_unused:UNUSED_PAD src0_sel:DWORD src1_sel:WORD_1
	v_bfe_u32 v15, v12, 19, 4
	v_sub_u32_e32 v20, 29, v20
	v_and_b32_e32 v21, 7, v21
	v_cmp_eq_u16_e32 vcc, 0, v14
	v_cndmask_b32_e32 v11, v11, v21, vcc
	v_cndmask_b32_e32 v14, v15, v20, vcc
	v_lshlrev_b32_e32 v15, 8, v12
	v_mov_b32_e32 v20, 0x3b800000
	v_lshlrev_b32_e32 v11, 20, v11
	v_and_b32_e32 v15, 0x80000000, v15
	v_lshl_add_u32 v14, v14, 23, v20
	v_or3_b32 v14, v15, v14, v11
.LBB39_1112:
	s_or_b64 exec, exec, s[6:7]
	s_nop 0
	v_mfma_f32_16x16x4f32 a[0:3], v10, v14, a[0:3]
	s_movk_i32 s4, 0x7f
	v_cmp_gt_i16_sdwa s[6:7], v16, s4 src0_sel:BYTE_3 src1_sel:DWORD
	s_mov_b64 s[4:5], 0
                                        ; implicit-def: $sgpr10
	s_and_saveexec_b64 s[8:9], s[6:7]
	s_xor_b64 s[6:7], exec, s[8:9]
	s_cbranch_execnz .LBB39_3161
; %bb.1113:
	s_or_saveexec_b64 s[6:7], s[6:7]
	v_mov_b32_e32 v10, s10
	s_xor_b64 exec, exec, s[6:7]
	s_cbranch_execnz .LBB39_3164
.LBB39_1114:
	s_or_b64 exec, exec, s[6:7]
	s_and_saveexec_b64 s[6:7], s[4:5]
	s_cbranch_execz .LBB39_1116
.LBB39_1115:
	v_bfe_u32 v10, v16, 24, 3
	v_ffbh_u32_e32 v20, v10
	v_min_u32_e32 v20, 32, v20
	v_lshrrev_b32_e32 v14, 27, v16
	v_subrev_u32_e32 v21, 28, v20
	v_and_b32_e32 v11, 0x80000000, v16
	v_and_b32_e32 v14, 15, v14
	v_bfe_u32 v15, v16, 27, 4
	v_lshlrev_b32_sdwa v16, v21, v16 dst_sel:DWORD dst_unused:UNUSED_PAD src0_sel:DWORD src1_sel:BYTE_3
	v_sub_u32_e32 v20, 29, v20
	v_and_b32_e32 v16, 7, v16
	v_cmp_eq_u16_e32 vcc, 0, v14
	v_cndmask_b32_e32 v10, v10, v16, vcc
	v_cndmask_b32_e32 v14, v15, v20, vcc
	v_mov_b32_e32 v15, 0x3b800000
	v_lshlrev_b32_e32 v10, 20, v10
	v_lshl_add_u32 v14, v14, 23, v15
	v_or3_b32 v10, v11, v14, v10
.LBB39_1116:
	s_or_b64 exec, exec, s[6:7]
	s_movk_i32 s4, 0x7f
	v_cmp_gt_i16_sdwa s[6:7], v12, s4 src0_sel:BYTE_3 src1_sel:DWORD
	s_mov_b64 s[4:5], 0
                                        ; implicit-def: $sgpr10
	s_and_saveexec_b64 s[8:9], s[6:7]
	s_xor_b64 s[6:7], exec, s[8:9]
	s_cbranch_execnz .LBB39_3165
; %bb.1117:
	s_or_saveexec_b64 s[6:7], s[6:7]
	v_mov_b32_e32 v11, s10
	s_xor_b64 exec, exec, s[6:7]
	s_cbranch_execnz .LBB39_3168
.LBB39_1118:
	s_or_b64 exec, exec, s[6:7]
	s_and_saveexec_b64 s[6:7], s[4:5]
	s_cbranch_execz .LBB39_1120
.LBB39_1119:
	v_bfe_u32 v11, v12, 24, 3
	v_ffbh_u32_e32 v20, v11
	v_min_u32_e32 v20, 32, v20
	v_lshrrev_b32_e32 v15, 27, v12
	v_subrev_u32_e32 v21, 28, v20
	v_and_b32_e32 v14, 0x80000000, v12
	v_and_b32_e32 v15, 15, v15
	v_bfe_u32 v16, v12, 27, 4
	v_lshlrev_b32_sdwa v12, v21, v12 dst_sel:DWORD dst_unused:UNUSED_PAD src0_sel:DWORD src1_sel:BYTE_3
	v_sub_u32_e32 v20, 29, v20
	v_and_b32_e32 v12, 7, v12
	v_cmp_eq_u16_e32 vcc, 0, v15
	v_cndmask_b32_e32 v11, v11, v12, vcc
	v_cndmask_b32_e32 v12, v16, v20, vcc
	v_mov_b32_e32 v15, 0x3b800000
	v_lshlrev_b32_e32 v11, 20, v11
	v_lshl_add_u32 v12, v12, 23, v15
	v_or3_b32 v11, v14, v12, v11
.LBB39_1120:
	s_or_b64 exec, exec, s[6:7]
	s_nop 0
	v_mfma_f32_16x16x4f32 a[0:3], v10, v11, a[0:3]
	s_movk_i32 s4, 0x7f
	v_cmp_gt_i16_sdwa s[6:7], v17, s4 src0_sel:BYTE_0 src1_sel:DWORD
	s_mov_b64 s[4:5], 0
                                        ; implicit-def: $sgpr10
	s_and_saveexec_b64 s[8:9], s[6:7]
	s_xor_b64 s[6:7], exec, s[8:9]
	s_cbranch_execnz .LBB39_3169
; %bb.1121:
	s_or_saveexec_b64 s[6:7], s[6:7]
	v_mov_b32_e32 v10, s10
	s_xor_b64 exec, exec, s[6:7]
	s_cbranch_execnz .LBB39_3172
.LBB39_1122:
	s_or_b64 exec, exec, s[6:7]
	s_and_saveexec_b64 s[6:7], s[4:5]
	s_cbranch_execz .LBB39_1124
.LBB39_1123:
	v_and_b32_e32 v10, 7, v17
	v_ffbh_u32_e32 v12, v10
	v_min_u32_e32 v12, 32, v12
	v_lshrrev_b16_e32 v11, 3, v17
	v_subrev_u32_e32 v14, 28, v12
	v_and_b32_e32 v11, 15, v11
	v_lshlrev_b32_e32 v14, v14, v17
	v_sub_u32_e32 v12, 29, v12
	v_and_b32_e32 v14, 7, v14
	v_cmp_eq_u16_e32 vcc, 0, v11
	v_cndmask_b32_e32 v10, v10, v14, vcc
	v_cndmask_b32_e32 v11, v11, v12, vcc
	v_lshlrev_b32_e32 v12, 24, v17
	v_mov_b32_e32 v14, 0x3b800000
	v_lshlrev_b32_e32 v10, 20, v10
	v_and_b32_e32 v12, 0x80000000, v12
	v_lshl_add_u32 v11, v11, 23, v14
	v_or3_b32 v10, v12, v11, v10
.LBB39_1124:
	s_or_b64 exec, exec, s[6:7]
	s_movk_i32 s4, 0x7f
	v_cmp_gt_i16_sdwa s[6:7], v13, s4 src0_sel:BYTE_0 src1_sel:DWORD
	s_mov_b64 s[4:5], 0
                                        ; implicit-def: $sgpr10
	s_and_saveexec_b64 s[8:9], s[6:7]
	s_xor_b64 s[6:7], exec, s[8:9]
	s_cbranch_execnz .LBB39_3173
; %bb.1125:
	s_or_saveexec_b64 s[6:7], s[6:7]
	v_mov_b32_e32 v11, s10
	s_xor_b64 exec, exec, s[6:7]
	s_cbranch_execnz .LBB39_3176
.LBB39_1126:
	s_or_b64 exec, exec, s[6:7]
	s_and_saveexec_b64 s[6:7], s[4:5]
	s_cbranch_execz .LBB39_1128
.LBB39_1127:
	v_and_b32_e32 v11, 7, v13
	v_ffbh_u32_e32 v14, v11
	v_min_u32_e32 v14, 32, v14
	v_lshrrev_b16_e32 v12, 3, v13
	v_subrev_u32_e32 v15, 28, v14
	v_and_b32_e32 v12, 15, v12
	v_lshlrev_b32_e32 v15, v15, v13
	v_sub_u32_e32 v14, 29, v14
	v_and_b32_e32 v15, 7, v15
	v_cmp_eq_u16_e32 vcc, 0, v12
	v_cndmask_b32_e32 v11, v11, v15, vcc
	v_cndmask_b32_e32 v12, v12, v14, vcc
	v_lshlrev_b32_e32 v14, 24, v13
	v_mov_b32_e32 v15, 0x3b800000
	v_lshlrev_b32_e32 v11, 20, v11
	v_and_b32_e32 v14, 0x80000000, v14
	v_lshl_add_u32 v12, v12, 23, v15
	v_or3_b32 v11, v14, v12, v11
.LBB39_1128:
	s_or_b64 exec, exec, s[6:7]
	s_nop 0
	v_mfma_f32_16x16x4f32 a[0:3], v10, v11, a[0:3]
	v_lshrrev_b32_e32 v11, 8, v17
	s_movk_i32 s4, 0x7f
	v_cmp_gt_i16_sdwa s[6:7], v11, s4 src0_sel:BYTE_0 src1_sel:DWORD
	s_mov_b64 s[4:5], 0
                                        ; implicit-def: $sgpr10
	s_and_saveexec_b64 s[8:9], s[6:7]
	s_xor_b64 s[6:7], exec, s[8:9]
	s_cbranch_execnz .LBB39_3177
; %bb.1129:
	s_or_saveexec_b64 s[6:7], s[6:7]
	v_mov_b32_e32 v10, s10
	s_xor_b64 exec, exec, s[6:7]
	s_cbranch_execnz .LBB39_3180
.LBB39_1130:
	s_or_b64 exec, exec, s[6:7]
	s_and_saveexec_b64 s[6:7], s[4:5]
	s_cbranch_execz .LBB39_1132
.LBB39_1131:
	v_bfe_u32 v10, v17, 8, 3
	v_ffbh_u32_e32 v14, v10
	v_min_u32_e32 v14, 32, v14
	v_lshrrev_b16_e32 v12, 3, v11
	v_subrev_u32_e32 v15, 28, v14
	v_and_b32_e32 v12, 15, v12
	v_lshlrev_b32_e32 v11, v15, v11
	v_sub_u32_e32 v14, 29, v14
	v_and_b32_e32 v11, 7, v11
	v_cmp_eq_u16_e32 vcc, 0, v12
	v_cndmask_b32_e32 v10, v10, v11, vcc
	v_cndmask_b32_e32 v11, v12, v14, vcc
	v_lshlrev_b32_e32 v12, 16, v17
	v_mov_b32_e32 v14, 0x3b800000
	v_lshlrev_b32_e32 v10, 20, v10
	v_and_b32_e32 v12, 0x80000000, v12
	v_lshl_add_u32 v11, v11, 23, v14
	v_or3_b32 v10, v12, v11, v10
.LBB39_1132:
	s_or_b64 exec, exec, s[6:7]
	v_lshrrev_b32_e32 v11, 8, v13
	s_movk_i32 s4, 0x7f
	v_cmp_gt_i16_sdwa s[6:7], v11, s4 src0_sel:BYTE_0 src1_sel:DWORD
	s_mov_b64 s[4:5], 0
                                        ; implicit-def: $sgpr10
	s_and_saveexec_b64 s[8:9], s[6:7]
	s_xor_b64 s[6:7], exec, s[8:9]
	s_cbranch_execnz .LBB39_3181
; %bb.1133:
	s_or_saveexec_b64 s[6:7], s[6:7]
	v_mov_b32_e32 v12, s10
	s_xor_b64 exec, exec, s[6:7]
	s_cbranch_execnz .LBB39_3184
.LBB39_1134:
	s_or_b64 exec, exec, s[6:7]
	s_and_saveexec_b64 s[6:7], s[4:5]
	s_cbranch_execz .LBB39_1136
.LBB39_1135:
	v_bfe_u32 v12, v13, 8, 3
	v_ffbh_u32_e32 v15, v12
	v_min_u32_e32 v15, 32, v15
	v_lshrrev_b16_e32 v14, 3, v11
	v_subrev_u32_e32 v16, 28, v15
	v_and_b32_e32 v14, 15, v14
	v_lshlrev_b32_e32 v11, v16, v11
	v_sub_u32_e32 v15, 29, v15
	v_and_b32_e32 v11, 7, v11
	v_cmp_eq_u16_e32 vcc, 0, v14
	v_cndmask_b32_e32 v11, v12, v11, vcc
	v_cndmask_b32_e32 v12, v14, v15, vcc
	v_lshlrev_b32_e32 v14, 16, v13
	v_mov_b32_e32 v15, 0x3b800000
	v_lshlrev_b32_e32 v11, 20, v11
	v_and_b32_e32 v14, 0x80000000, v14
	v_lshl_add_u32 v12, v12, 23, v15
	v_or3_b32 v12, v14, v12, v11
.LBB39_1136:
	s_or_b64 exec, exec, s[6:7]
	s_nop 0
	v_mfma_f32_16x16x4f32 a[0:3], v10, v12, a[0:3]
	s_movk_i32 s4, 0xff
	v_and_b32_sdwa v11, v17, s4 dst_sel:DWORD dst_unused:UNUSED_PAD src0_sel:WORD_1 src1_sel:DWORD
	s_movk_i32 s4, 0x7f
	v_cmp_lt_i16_e32 vcc, s4, v11
	s_mov_b64 s[4:5], 0
                                        ; implicit-def: $sgpr10
	s_and_saveexec_b64 s[6:7], vcc
	s_xor_b64 s[6:7], exec, s[6:7]
	s_cbranch_execnz .LBB39_3185
; %bb.1137:
	s_or_saveexec_b64 s[6:7], s[6:7]
	v_mov_b32_e32 v10, s10
	s_xor_b64 exec, exec, s[6:7]
	s_cbranch_execnz .LBB39_3188
.LBB39_1138:
	s_or_b64 exec, exec, s[6:7]
	s_and_saveexec_b64 s[6:7], s[4:5]
	s_cbranch_execz .LBB39_1140
.LBB39_1139:
	v_bfe_u32 v10, v17, 16, 3
	v_ffbh_u32_e32 v14, v10
	v_min_u32_e32 v14, 32, v14
	v_lshrrev_b32_e32 v11, 19, v17
	v_subrev_u32_e32 v15, 28, v14
	v_and_b32_e32 v11, 15, v11
	v_lshlrev_b32_sdwa v15, v15, v17 dst_sel:DWORD dst_unused:UNUSED_PAD src0_sel:DWORD src1_sel:WORD_1
	v_bfe_u32 v12, v17, 19, 4
	v_sub_u32_e32 v14, 29, v14
	v_and_b32_e32 v15, 7, v15
	v_cmp_eq_u16_e32 vcc, 0, v11
	v_cndmask_b32_e32 v10, v10, v15, vcc
	v_cndmask_b32_e32 v11, v12, v14, vcc
	v_lshlrev_b32_e32 v12, 8, v17
	v_mov_b32_e32 v14, 0x3b800000
	v_lshlrev_b32_e32 v10, 20, v10
	v_and_b32_e32 v12, 0x80000000, v12
	v_lshl_add_u32 v11, v11, 23, v14
	v_or3_b32 v10, v12, v11, v10
.LBB39_1140:
	s_or_b64 exec, exec, s[6:7]
	s_movk_i32 s4, 0xff
	v_and_b32_sdwa v11, v13, s4 dst_sel:DWORD dst_unused:UNUSED_PAD src0_sel:WORD_1 src1_sel:DWORD
	s_movk_i32 s4, 0x7f
	v_cmp_lt_i16_e32 vcc, s4, v11
	s_mov_b64 s[4:5], 0
                                        ; implicit-def: $sgpr10
	s_and_saveexec_b64 s[6:7], vcc
	s_xor_b64 s[6:7], exec, s[6:7]
	s_cbranch_execnz .LBB39_3189
; %bb.1141:
	s_or_saveexec_b64 s[6:7], s[6:7]
	v_mov_b32_e32 v12, s10
	s_xor_b64 exec, exec, s[6:7]
	s_cbranch_execnz .LBB39_3192
.LBB39_1142:
	s_or_b64 exec, exec, s[6:7]
	s_and_saveexec_b64 s[6:7], s[4:5]
	s_cbranch_execz .LBB39_1144
.LBB39_1143:
	v_bfe_u32 v11, v13, 16, 3
	v_ffbh_u32_e32 v15, v11
	v_min_u32_e32 v15, 32, v15
	v_lshrrev_b32_e32 v12, 19, v13
	v_subrev_u32_e32 v16, 28, v15
	v_and_b32_e32 v12, 15, v12
	v_lshlrev_b32_sdwa v16, v16, v13 dst_sel:DWORD dst_unused:UNUSED_PAD src0_sel:DWORD src1_sel:WORD_1
	v_bfe_u32 v14, v13, 19, 4
	v_sub_u32_e32 v15, 29, v15
	v_and_b32_e32 v16, 7, v16
	v_cmp_eq_u16_e32 vcc, 0, v12
	v_cndmask_b32_e32 v11, v11, v16, vcc
	v_cndmask_b32_e32 v12, v14, v15, vcc
	v_lshlrev_b32_e32 v14, 8, v13
	v_mov_b32_e32 v15, 0x3b800000
	v_lshlrev_b32_e32 v11, 20, v11
	v_and_b32_e32 v14, 0x80000000, v14
	v_lshl_add_u32 v12, v12, 23, v15
	v_or3_b32 v12, v14, v12, v11
.LBB39_1144:
	s_or_b64 exec, exec, s[6:7]
	s_nop 0
	v_mfma_f32_16x16x4f32 a[0:3], v10, v12, a[0:3]
	s_movk_i32 s4, 0x7f
	v_cmp_gt_i16_sdwa s[6:7], v17, s4 src0_sel:BYTE_3 src1_sel:DWORD
	s_mov_b64 s[4:5], 0
                                        ; implicit-def: $sgpr10
	s_and_saveexec_b64 s[8:9], s[6:7]
	s_xor_b64 s[6:7], exec, s[8:9]
	s_cbranch_execnz .LBB39_3193
; %bb.1145:
	s_or_saveexec_b64 s[6:7], s[6:7]
	v_mov_b32_e32 v10, s10
	s_xor_b64 exec, exec, s[6:7]
	s_cbranch_execnz .LBB39_3196
.LBB39_1146:
	s_or_b64 exec, exec, s[6:7]
	s_and_saveexec_b64 s[6:7], s[4:5]
	s_cbranch_execz .LBB39_1148
.LBB39_1147:
	v_bfe_u32 v10, v17, 24, 3
	v_ffbh_u32_e32 v15, v10
	v_min_u32_e32 v15, 32, v15
	v_lshrrev_b32_e32 v12, 27, v17
	v_subrev_u32_e32 v16, 28, v15
	v_and_b32_e32 v12, 15, v12
	v_lshlrev_b32_sdwa v16, v16, v17 dst_sel:DWORD dst_unused:UNUSED_PAD src0_sel:DWORD src1_sel:BYTE_3
	v_bfe_u32 v14, v17, 27, 4
	v_sub_u32_e32 v15, 29, v15
	v_and_b32_e32 v16, 7, v16
	v_cmp_eq_u16_e32 vcc, 0, v12
	v_cndmask_b32_e32 v10, v10, v16, vcc
	v_cndmask_b32_e32 v12, v14, v15, vcc
	v_mov_b32_e32 v14, 0x3b800000
	v_and_b32_e32 v11, 0x80000000, v17
	v_lshlrev_b32_e32 v10, 20, v10
	v_lshl_add_u32 v12, v12, 23, v14
	v_or3_b32 v10, v11, v12, v10
.LBB39_1148:
	s_or_b64 exec, exec, s[6:7]
	s_movk_i32 s4, 0x7f
	v_cmp_gt_i16_sdwa s[6:7], v13, s4 src0_sel:BYTE_3 src1_sel:DWORD
	s_mov_b64 s[4:5], 0
                                        ; implicit-def: $sgpr10
	s_and_saveexec_b64 s[8:9], s[6:7]
	s_xor_b64 s[6:7], exec, s[8:9]
	s_cbranch_execnz .LBB39_3197
; %bb.1149:
	s_or_saveexec_b64 s[6:7], s[6:7]
	v_mov_b32_e32 v11, s10
	s_xor_b64 exec, exec, s[6:7]
	s_cbranch_execnz .LBB39_3200
.LBB39_1150:
	s_or_b64 exec, exec, s[6:7]
	s_and_saveexec_b64 s[6:7], s[4:5]
	s_cbranch_execz .LBB39_1152
.LBB39_1151:
	v_bfe_u32 v11, v13, 24, 3
	v_ffbh_u32_e32 v16, v11
	v_min_u32_e32 v16, 32, v16
	v_lshrrev_b32_e32 v14, 27, v13
	v_subrev_u32_e32 v17, 28, v16
	v_and_b32_e32 v12, 0x80000000, v13
	v_and_b32_e32 v14, 15, v14
	v_bfe_u32 v15, v13, 27, 4
	v_lshlrev_b32_sdwa v13, v17, v13 dst_sel:DWORD dst_unused:UNUSED_PAD src0_sel:DWORD src1_sel:BYTE_3
	v_sub_u32_e32 v16, 29, v16
	v_and_b32_e32 v13, 7, v13
	v_cmp_eq_u16_e32 vcc, 0, v14
	v_cndmask_b32_e32 v11, v11, v13, vcc
	v_cndmask_b32_e32 v13, v15, v16, vcc
	v_mov_b32_e32 v14, 0x3b800000
	v_lshlrev_b32_e32 v11, 20, v11
	v_lshl_add_u32 v13, v13, 23, v14
	v_or3_b32 v11, v12, v13, v11
.LBB39_1152:
	s_or_b64 exec, exec, s[6:7]
	s_nop 0
	v_mfma_f32_16x16x4f32 a[0:3], v10, v11, a[0:3]
	s_movk_i32 s4, 0x7f
	v_cmp_gt_i16_sdwa s[6:7], v6, s4 src0_sel:BYTE_0 src1_sel:DWORD
	s_mov_b64 s[4:5], 0
                                        ; implicit-def: $sgpr10
	s_and_saveexec_b64 s[8:9], s[6:7]
	s_xor_b64 s[6:7], exec, s[8:9]
	s_cbranch_execnz .LBB39_3201
; %bb.1153:
	s_or_saveexec_b64 s[6:7], s[6:7]
	v_mov_b32_e32 v10, s10
	s_xor_b64 exec, exec, s[6:7]
	s_cbranch_execnz .LBB39_3204
.LBB39_1154:
	s_or_b64 exec, exec, s[6:7]
	s_and_saveexec_b64 s[6:7], s[4:5]
	s_cbranch_execz .LBB39_1156
.LBB39_1155:
	v_and_b32_e32 v10, 7, v6
	v_ffbh_u32_e32 v12, v10
	v_min_u32_e32 v12, 32, v12
	v_lshrrev_b16_e32 v11, 3, v6
	v_subrev_u32_e32 v13, 28, v12
	v_and_b32_e32 v11, 15, v11
	v_lshlrev_b32_e32 v13, v13, v6
	v_sub_u32_e32 v12, 29, v12
	v_and_b32_e32 v13, 7, v13
	v_cmp_eq_u16_e32 vcc, 0, v11
	v_cndmask_b32_e32 v10, v10, v13, vcc
	v_cndmask_b32_e32 v11, v11, v12, vcc
	v_lshlrev_b32_e32 v12, 24, v6
	v_mov_b32_e32 v13, 0x3b800000
	v_lshlrev_b32_e32 v10, 20, v10
	v_and_b32_e32 v12, 0x80000000, v12
	v_lshl_add_u32 v11, v11, 23, v13
	v_or3_b32 v10, v12, v11, v10
.LBB39_1156:
	s_or_b64 exec, exec, s[6:7]
	s_movk_i32 s4, 0x7f
	v_cmp_gt_i16_sdwa s[6:7], v2, s4 src0_sel:BYTE_0 src1_sel:DWORD
	s_mov_b64 s[4:5], 0
                                        ; implicit-def: $sgpr10
	s_and_saveexec_b64 s[8:9], s[6:7]
	s_xor_b64 s[6:7], exec, s[8:9]
	s_cbranch_execnz .LBB39_3205
; %bb.1157:
	s_or_saveexec_b64 s[6:7], s[6:7]
	v_mov_b32_e32 v11, s10
	s_xor_b64 exec, exec, s[6:7]
	s_cbranch_execnz .LBB39_3208
.LBB39_1158:
	s_or_b64 exec, exec, s[6:7]
	s_and_saveexec_b64 s[6:7], s[4:5]
	s_cbranch_execz .LBB39_1160
.LBB39_1159:
	v_and_b32_e32 v11, 7, v2
	v_ffbh_u32_e32 v13, v11
	v_min_u32_e32 v13, 32, v13
	v_lshrrev_b16_e32 v12, 3, v2
	v_subrev_u32_e32 v14, 28, v13
	v_and_b32_e32 v12, 15, v12
	v_lshlrev_b32_e32 v14, v14, v2
	v_sub_u32_e32 v13, 29, v13
	v_and_b32_e32 v14, 7, v14
	v_cmp_eq_u16_e32 vcc, 0, v12
	v_cndmask_b32_e32 v11, v11, v14, vcc
	v_cndmask_b32_e32 v12, v12, v13, vcc
	v_lshlrev_b32_e32 v13, 24, v2
	v_mov_b32_e32 v14, 0x3b800000
	v_lshlrev_b32_e32 v11, 20, v11
	v_and_b32_e32 v13, 0x80000000, v13
	v_lshl_add_u32 v12, v12, 23, v14
	v_or3_b32 v11, v13, v12, v11
.LBB39_1160:
	s_or_b64 exec, exec, s[6:7]
	s_nop 0
	v_mfma_f32_16x16x4f32 a[0:3], v10, v11, a[0:3]
	v_lshrrev_b32_e32 v11, 8, v6
	s_movk_i32 s4, 0x7f
	v_cmp_gt_i16_sdwa s[6:7], v11, s4 src0_sel:BYTE_0 src1_sel:DWORD
	s_mov_b64 s[4:5], 0
                                        ; implicit-def: $sgpr10
	s_and_saveexec_b64 s[8:9], s[6:7]
	s_xor_b64 s[6:7], exec, s[8:9]
	s_cbranch_execnz .LBB39_3209
; %bb.1161:
	s_or_saveexec_b64 s[6:7], s[6:7]
	v_mov_b32_e32 v10, s10
	s_xor_b64 exec, exec, s[6:7]
	s_cbranch_execnz .LBB39_3212
.LBB39_1162:
	s_or_b64 exec, exec, s[6:7]
	s_and_saveexec_b64 s[6:7], s[4:5]
	s_cbranch_execz .LBB39_1164
.LBB39_1163:
	v_bfe_u32 v10, v6, 8, 3
	v_ffbh_u32_e32 v13, v10
	v_min_u32_e32 v13, 32, v13
	v_lshrrev_b16_e32 v12, 3, v11
	v_subrev_u32_e32 v14, 28, v13
	v_and_b32_e32 v12, 15, v12
	v_lshlrev_b32_e32 v11, v14, v11
	v_sub_u32_e32 v13, 29, v13
	v_and_b32_e32 v11, 7, v11
	v_cmp_eq_u16_e32 vcc, 0, v12
	v_cndmask_b32_e32 v10, v10, v11, vcc
	v_cndmask_b32_e32 v11, v12, v13, vcc
	v_lshlrev_b32_e32 v12, 16, v6
	v_mov_b32_e32 v13, 0x3b800000
	v_lshlrev_b32_e32 v10, 20, v10
	v_and_b32_e32 v12, 0x80000000, v12
	v_lshl_add_u32 v11, v11, 23, v13
	v_or3_b32 v10, v12, v11, v10
.LBB39_1164:
	s_or_b64 exec, exec, s[6:7]
	v_lshrrev_b32_e32 v11, 8, v2
	s_movk_i32 s4, 0x7f
	v_cmp_gt_i16_sdwa s[6:7], v11, s4 src0_sel:BYTE_0 src1_sel:DWORD
	s_mov_b64 s[4:5], 0
                                        ; implicit-def: $sgpr10
	s_and_saveexec_b64 s[8:9], s[6:7]
	s_xor_b64 s[6:7], exec, s[8:9]
	s_cbranch_execnz .LBB39_3213
; %bb.1165:
	s_or_saveexec_b64 s[6:7], s[6:7]
	v_mov_b32_e32 v12, s10
	s_xor_b64 exec, exec, s[6:7]
	s_cbranch_execnz .LBB39_3216
.LBB39_1166:
	s_or_b64 exec, exec, s[6:7]
	s_and_saveexec_b64 s[6:7], s[4:5]
	s_cbranch_execz .LBB39_1168
.LBB39_1167:
	v_bfe_u32 v12, v2, 8, 3
	v_ffbh_u32_e32 v14, v12
	v_min_u32_e32 v14, 32, v14
	v_lshrrev_b16_e32 v13, 3, v11
	v_subrev_u32_e32 v15, 28, v14
	v_and_b32_e32 v13, 15, v13
	v_lshlrev_b32_e32 v11, v15, v11
	v_sub_u32_e32 v14, 29, v14
	v_and_b32_e32 v11, 7, v11
	v_cmp_eq_u16_e32 vcc, 0, v13
	v_cndmask_b32_e32 v11, v12, v11, vcc
	v_cndmask_b32_e32 v12, v13, v14, vcc
	v_lshlrev_b32_e32 v13, 16, v2
	v_mov_b32_e32 v14, 0x3b800000
	v_lshlrev_b32_e32 v11, 20, v11
	v_and_b32_e32 v13, 0x80000000, v13
	v_lshl_add_u32 v12, v12, 23, v14
	v_or3_b32 v12, v13, v12, v11
.LBB39_1168:
	s_or_b64 exec, exec, s[6:7]
	s_nop 0
	v_mfma_f32_16x16x4f32 a[0:3], v10, v12, a[0:3]
	s_movk_i32 s4, 0xff
	v_and_b32_sdwa v11, v6, s4 dst_sel:DWORD dst_unused:UNUSED_PAD src0_sel:WORD_1 src1_sel:DWORD
	s_movk_i32 s4, 0x7f
	v_cmp_lt_i16_e32 vcc, s4, v11
	s_mov_b64 s[4:5], 0
                                        ; implicit-def: $sgpr10
	s_and_saveexec_b64 s[6:7], vcc
	s_xor_b64 s[6:7], exec, s[6:7]
	s_cbranch_execnz .LBB39_3217
; %bb.1169:
	s_or_saveexec_b64 s[6:7], s[6:7]
	v_mov_b32_e32 v10, s10
	s_xor_b64 exec, exec, s[6:7]
	s_cbranch_execnz .LBB39_3220
.LBB39_1170:
	s_or_b64 exec, exec, s[6:7]
	s_and_saveexec_b64 s[6:7], s[4:5]
	s_cbranch_execz .LBB39_1172
.LBB39_1171:
	v_bfe_u32 v10, v6, 16, 3
	v_ffbh_u32_e32 v13, v10
	v_min_u32_e32 v13, 32, v13
	v_lshrrev_b32_e32 v11, 19, v6
	v_subrev_u32_e32 v14, 28, v13
	v_and_b32_e32 v11, 15, v11
	v_lshlrev_b32_sdwa v14, v14, v6 dst_sel:DWORD dst_unused:UNUSED_PAD src0_sel:DWORD src1_sel:WORD_1
	v_bfe_u32 v12, v6, 19, 4
	v_sub_u32_e32 v13, 29, v13
	v_and_b32_e32 v14, 7, v14
	v_cmp_eq_u16_e32 vcc, 0, v11
	v_cndmask_b32_e32 v10, v10, v14, vcc
	v_cndmask_b32_e32 v11, v12, v13, vcc
	v_lshlrev_b32_e32 v12, 8, v6
	v_mov_b32_e32 v13, 0x3b800000
	v_lshlrev_b32_e32 v10, 20, v10
	v_and_b32_e32 v12, 0x80000000, v12
	v_lshl_add_u32 v11, v11, 23, v13
	v_or3_b32 v10, v12, v11, v10
.LBB39_1172:
	s_or_b64 exec, exec, s[6:7]
	s_movk_i32 s4, 0xff
	v_and_b32_sdwa v11, v2, s4 dst_sel:DWORD dst_unused:UNUSED_PAD src0_sel:WORD_1 src1_sel:DWORD
	s_movk_i32 s4, 0x7f
	v_cmp_lt_i16_e32 vcc, s4, v11
	s_mov_b64 s[4:5], 0
                                        ; implicit-def: $sgpr10
	s_and_saveexec_b64 s[6:7], vcc
	s_xor_b64 s[6:7], exec, s[6:7]
	s_cbranch_execnz .LBB39_3221
; %bb.1173:
	s_or_saveexec_b64 s[6:7], s[6:7]
	v_mov_b32_e32 v12, s10
	s_xor_b64 exec, exec, s[6:7]
	s_cbranch_execnz .LBB39_3224
.LBB39_1174:
	s_or_b64 exec, exec, s[6:7]
	s_and_saveexec_b64 s[6:7], s[4:5]
	s_cbranch_execz .LBB39_1176
.LBB39_1175:
	v_bfe_u32 v11, v2, 16, 3
	v_ffbh_u32_e32 v14, v11
	v_min_u32_e32 v14, 32, v14
	v_lshrrev_b32_e32 v12, 19, v2
	v_subrev_u32_e32 v15, 28, v14
	v_and_b32_e32 v12, 15, v12
	v_lshlrev_b32_sdwa v15, v15, v2 dst_sel:DWORD dst_unused:UNUSED_PAD src0_sel:DWORD src1_sel:WORD_1
	v_bfe_u32 v13, v2, 19, 4
	v_sub_u32_e32 v14, 29, v14
	v_and_b32_e32 v15, 7, v15
	v_cmp_eq_u16_e32 vcc, 0, v12
	v_cndmask_b32_e32 v11, v11, v15, vcc
	v_cndmask_b32_e32 v12, v13, v14, vcc
	v_lshlrev_b32_e32 v13, 8, v2
	v_mov_b32_e32 v14, 0x3b800000
	v_lshlrev_b32_e32 v11, 20, v11
	v_and_b32_e32 v13, 0x80000000, v13
	v_lshl_add_u32 v12, v12, 23, v14
	v_or3_b32 v12, v13, v12, v11
.LBB39_1176:
	s_or_b64 exec, exec, s[6:7]
	s_nop 0
	v_mfma_f32_16x16x4f32 a[0:3], v10, v12, a[0:3]
	s_movk_i32 s4, 0x7f
	v_cmp_gt_i16_sdwa s[6:7], v6, s4 src0_sel:BYTE_3 src1_sel:DWORD
	s_mov_b64 s[4:5], 0
                                        ; implicit-def: $sgpr10
	s_and_saveexec_b64 s[8:9], s[6:7]
	s_xor_b64 s[6:7], exec, s[8:9]
	s_cbranch_execnz .LBB39_3225
; %bb.1177:
	s_or_saveexec_b64 s[6:7], s[6:7]
	v_mov_b32_e32 v10, s10
	s_xor_b64 exec, exec, s[6:7]
	s_cbranch_execnz .LBB39_3228
.LBB39_1178:
	s_or_b64 exec, exec, s[6:7]
	s_and_saveexec_b64 s[6:7], s[4:5]
	s_cbranch_execz .LBB39_1180
.LBB39_1179:
	v_bfe_u32 v10, v6, 24, 3
	v_ffbh_u32_e32 v14, v10
	v_min_u32_e32 v14, 32, v14
	v_lshrrev_b32_e32 v12, 27, v6
	v_subrev_u32_e32 v15, 28, v14
	v_and_b32_e32 v11, 0x80000000, v6
	v_and_b32_e32 v12, 15, v12
	v_bfe_u32 v13, v6, 27, 4
	v_lshlrev_b32_sdwa v6, v15, v6 dst_sel:DWORD dst_unused:UNUSED_PAD src0_sel:DWORD src1_sel:BYTE_3
	v_sub_u32_e32 v14, 29, v14
	v_and_b32_e32 v6, 7, v6
	v_cmp_eq_u16_e32 vcc, 0, v12
	v_cndmask_b32_e32 v6, v10, v6, vcc
	v_cndmask_b32_e32 v10, v13, v14, vcc
	v_mov_b32_e32 v12, 0x3b800000
	v_lshlrev_b32_e32 v6, 20, v6
	v_lshl_add_u32 v10, v10, 23, v12
	v_or3_b32 v10, v11, v10, v6
.LBB39_1180:
	s_or_b64 exec, exec, s[6:7]
	s_movk_i32 s4, 0x7f
	v_cmp_gt_i16_sdwa s[6:7], v2, s4 src0_sel:BYTE_3 src1_sel:DWORD
	s_mov_b64 s[4:5], 0
                                        ; implicit-def: $sgpr10
	s_and_saveexec_b64 s[8:9], s[6:7]
	s_xor_b64 s[6:7], exec, s[8:9]
	s_cbranch_execnz .LBB39_3229
; %bb.1181:
	s_or_saveexec_b64 s[6:7], s[6:7]
	v_mov_b32_e32 v6, s10
	s_xor_b64 exec, exec, s[6:7]
	s_cbranch_execnz .LBB39_3232
.LBB39_1182:
	s_or_b64 exec, exec, s[6:7]
	s_and_saveexec_b64 s[6:7], s[4:5]
	s_cbranch_execz .LBB39_1184
.LBB39_1183:
	v_bfe_u32 v6, v2, 24, 3
	v_ffbh_u32_e32 v14, v6
	v_min_u32_e32 v14, 32, v14
	v_lshrrev_b32_e32 v12, 27, v2
	v_subrev_u32_e32 v15, 28, v14
	v_and_b32_e32 v11, 0x80000000, v2
	v_and_b32_e32 v12, 15, v12
	v_bfe_u32 v13, v2, 27, 4
	v_lshlrev_b32_sdwa v2, v15, v2 dst_sel:DWORD dst_unused:UNUSED_PAD src0_sel:DWORD src1_sel:BYTE_3
	v_sub_u32_e32 v14, 29, v14
	v_and_b32_e32 v2, 7, v2
	v_cmp_eq_u16_e32 vcc, 0, v12
	v_cndmask_b32_e32 v2, v6, v2, vcc
	v_cndmask_b32_e32 v6, v13, v14, vcc
	v_mov_b32_e32 v12, 0x3b800000
	v_lshlrev_b32_e32 v2, 20, v2
	v_lshl_add_u32 v6, v6, 23, v12
	v_or3_b32 v6, v11, v6, v2
.LBB39_1184:
	s_or_b64 exec, exec, s[6:7]
	s_nop 0
	v_mfma_f32_16x16x4f32 a[0:3], v10, v6, a[0:3]
	s_movk_i32 s4, 0x7f
	v_cmp_gt_i16_sdwa s[6:7], v7, s4 src0_sel:BYTE_0 src1_sel:DWORD
	s_mov_b64 s[4:5], 0
                                        ; implicit-def: $sgpr10
	s_and_saveexec_b64 s[8:9], s[6:7]
	s_xor_b64 s[6:7], exec, s[8:9]
	s_cbranch_execnz .LBB39_3233
; %bb.1185:
	s_or_saveexec_b64 s[6:7], s[6:7]
	v_mov_b32_e32 v2, s10
	s_xor_b64 exec, exec, s[6:7]
	s_cbranch_execnz .LBB39_3236
.LBB39_1186:
	s_or_b64 exec, exec, s[6:7]
	s_and_saveexec_b64 s[6:7], s[4:5]
	s_cbranch_execz .LBB39_1188
.LBB39_1187:
	v_and_b32_e32 v2, 7, v7
	v_ffbh_u32_e32 v10, v2
	v_min_u32_e32 v10, 32, v10
	v_lshrrev_b16_e32 v6, 3, v7
	v_subrev_u32_e32 v11, 28, v10
	v_and_b32_e32 v6, 15, v6
	v_lshlrev_b32_e32 v11, v11, v7
	v_sub_u32_e32 v10, 29, v10
	v_and_b32_e32 v11, 7, v11
	v_cmp_eq_u16_e32 vcc, 0, v6
	v_cndmask_b32_e32 v2, v2, v11, vcc
	v_cndmask_b32_e32 v6, v6, v10, vcc
	v_lshlrev_b32_e32 v10, 24, v7
	v_mov_b32_e32 v11, 0x3b800000
	v_lshlrev_b32_e32 v2, 20, v2
	v_and_b32_e32 v10, 0x80000000, v10
	v_lshl_add_u32 v6, v6, 23, v11
	v_or3_b32 v2, v10, v6, v2
.LBB39_1188:
	s_or_b64 exec, exec, s[6:7]
	s_movk_i32 s4, 0x7f
	v_cmp_gt_i16_sdwa s[6:7], v3, s4 src0_sel:BYTE_0 src1_sel:DWORD
	s_mov_b64 s[4:5], 0
                                        ; implicit-def: $sgpr10
	s_and_saveexec_b64 s[8:9], s[6:7]
	s_xor_b64 s[6:7], exec, s[8:9]
	s_cbranch_execnz .LBB39_3237
; %bb.1189:
	s_or_saveexec_b64 s[6:7], s[6:7]
	v_mov_b32_e32 v6, s10
	s_xor_b64 exec, exec, s[6:7]
	s_cbranch_execnz .LBB39_3240
.LBB39_1190:
	s_or_b64 exec, exec, s[6:7]
	s_and_saveexec_b64 s[6:7], s[4:5]
	s_cbranch_execz .LBB39_1192
.LBB39_1191:
	v_and_b32_e32 v6, 7, v3
	v_ffbh_u32_e32 v11, v6
	v_min_u32_e32 v11, 32, v11
	v_lshrrev_b16_e32 v10, 3, v3
	v_subrev_u32_e32 v12, 28, v11
	v_and_b32_e32 v10, 15, v10
	v_lshlrev_b32_e32 v12, v12, v3
	v_sub_u32_e32 v11, 29, v11
	v_and_b32_e32 v12, 7, v12
	v_cmp_eq_u16_e32 vcc, 0, v10
	v_cndmask_b32_e32 v6, v6, v12, vcc
	v_cndmask_b32_e32 v10, v10, v11, vcc
	v_lshlrev_b32_e32 v11, 24, v3
	v_mov_b32_e32 v12, 0x3b800000
	v_lshlrev_b32_e32 v6, 20, v6
	v_and_b32_e32 v11, 0x80000000, v11
	v_lshl_add_u32 v10, v10, 23, v12
	v_or3_b32 v6, v11, v10, v6
.LBB39_1192:
	s_or_b64 exec, exec, s[6:7]
	s_nop 0
	v_mfma_f32_16x16x4f32 a[0:3], v2, v6, a[0:3]
	v_lshrrev_b32_e32 v6, 8, v7
	s_movk_i32 s4, 0x7f
	v_cmp_gt_i16_sdwa s[6:7], v6, s4 src0_sel:BYTE_0 src1_sel:DWORD
	s_mov_b64 s[4:5], 0
                                        ; implicit-def: $sgpr10
	s_and_saveexec_b64 s[8:9], s[6:7]
	s_xor_b64 s[6:7], exec, s[8:9]
	s_cbranch_execnz .LBB39_3241
; %bb.1193:
	s_or_saveexec_b64 s[6:7], s[6:7]
	v_mov_b32_e32 v2, s10
	s_xor_b64 exec, exec, s[6:7]
	s_cbranch_execnz .LBB39_3244
.LBB39_1194:
	s_or_b64 exec, exec, s[6:7]
	s_and_saveexec_b64 s[6:7], s[4:5]
	s_cbranch_execz .LBB39_1196
.LBB39_1195:
	v_bfe_u32 v2, v7, 8, 3
	v_ffbh_u32_e32 v11, v2
	v_min_u32_e32 v11, 32, v11
	v_lshrrev_b16_e32 v10, 3, v6
	v_subrev_u32_e32 v12, 28, v11
	v_and_b32_e32 v10, 15, v10
	v_lshlrev_b32_e32 v6, v12, v6
	v_sub_u32_e32 v11, 29, v11
	v_and_b32_e32 v6, 7, v6
	v_cmp_eq_u16_e32 vcc, 0, v10
	v_cndmask_b32_e32 v2, v2, v6, vcc
	v_cndmask_b32_e32 v6, v10, v11, vcc
	v_lshlrev_b32_e32 v10, 16, v7
	v_mov_b32_e32 v11, 0x3b800000
	v_lshlrev_b32_e32 v2, 20, v2
	v_and_b32_e32 v10, 0x80000000, v10
	v_lshl_add_u32 v6, v6, 23, v11
	v_or3_b32 v2, v10, v6, v2
.LBB39_1196:
	s_or_b64 exec, exec, s[6:7]
	v_lshrrev_b32_e32 v6, 8, v3
	s_movk_i32 s4, 0x7f
	v_cmp_gt_i16_sdwa s[6:7], v6, s4 src0_sel:BYTE_0 src1_sel:DWORD
	s_mov_b64 s[4:5], 0
                                        ; implicit-def: $sgpr10
	s_and_saveexec_b64 s[8:9], s[6:7]
	s_xor_b64 s[6:7], exec, s[8:9]
	s_cbranch_execnz .LBB39_3245
; %bb.1197:
	s_or_saveexec_b64 s[6:7], s[6:7]
	v_mov_b32_e32 v10, s10
	s_xor_b64 exec, exec, s[6:7]
	s_cbranch_execnz .LBB39_3248
.LBB39_1198:
	s_or_b64 exec, exec, s[6:7]
	s_and_saveexec_b64 s[6:7], s[4:5]
	s_cbranch_execz .LBB39_1200
.LBB39_1199:
	v_bfe_u32 v10, v3, 8, 3
	v_ffbh_u32_e32 v12, v10
	v_min_u32_e32 v12, 32, v12
	v_lshrrev_b16_e32 v11, 3, v6
	v_subrev_u32_e32 v13, 28, v12
	v_and_b32_e32 v11, 15, v11
	v_lshlrev_b32_e32 v6, v13, v6
	v_sub_u32_e32 v12, 29, v12
	v_and_b32_e32 v6, 7, v6
	v_cmp_eq_u16_e32 vcc, 0, v11
	v_cndmask_b32_e32 v6, v10, v6, vcc
	v_cndmask_b32_e32 v10, v11, v12, vcc
	v_lshlrev_b32_e32 v11, 16, v3
	v_mov_b32_e32 v12, 0x3b800000
	v_lshlrev_b32_e32 v6, 20, v6
	v_and_b32_e32 v11, 0x80000000, v11
	v_lshl_add_u32 v10, v10, 23, v12
	v_or3_b32 v10, v11, v10, v6
.LBB39_1200:
	s_or_b64 exec, exec, s[6:7]
	s_nop 0
	v_mfma_f32_16x16x4f32 a[0:3], v2, v10, a[0:3]
	s_movk_i32 s4, 0xff
	v_and_b32_sdwa v6, v7, s4 dst_sel:DWORD dst_unused:UNUSED_PAD src0_sel:WORD_1 src1_sel:DWORD
	s_movk_i32 s4, 0x7f
	v_cmp_lt_i16_e32 vcc, s4, v6
	s_mov_b64 s[4:5], 0
                                        ; implicit-def: $sgpr10
	s_and_saveexec_b64 s[6:7], vcc
	s_xor_b64 s[6:7], exec, s[6:7]
	s_cbranch_execnz .LBB39_3249
; %bb.1201:
	s_or_saveexec_b64 s[6:7], s[6:7]
	v_mov_b32_e32 v2, s10
	s_xor_b64 exec, exec, s[6:7]
	s_cbranch_execnz .LBB39_3252
.LBB39_1202:
	s_or_b64 exec, exec, s[6:7]
	s_and_saveexec_b64 s[6:7], s[4:5]
	s_cbranch_execz .LBB39_1204
.LBB39_1203:
	v_bfe_u32 v2, v7, 16, 3
	v_ffbh_u32_e32 v11, v2
	v_min_u32_e32 v11, 32, v11
	v_lshrrev_b32_e32 v6, 19, v7
	v_subrev_u32_e32 v12, 28, v11
	v_and_b32_e32 v6, 15, v6
	v_lshlrev_b32_sdwa v12, v12, v7 dst_sel:DWORD dst_unused:UNUSED_PAD src0_sel:DWORD src1_sel:WORD_1
	v_bfe_u32 v10, v7, 19, 4
	v_sub_u32_e32 v11, 29, v11
	v_and_b32_e32 v12, 7, v12
	v_cmp_eq_u16_e32 vcc, 0, v6
	v_cndmask_b32_e32 v2, v2, v12, vcc
	v_cndmask_b32_e32 v6, v10, v11, vcc
	v_lshlrev_b32_e32 v10, 8, v7
	v_mov_b32_e32 v11, 0x3b800000
	v_lshlrev_b32_e32 v2, 20, v2
	v_and_b32_e32 v10, 0x80000000, v10
	v_lshl_add_u32 v6, v6, 23, v11
	v_or3_b32 v2, v10, v6, v2
.LBB39_1204:
	s_or_b64 exec, exec, s[6:7]
	s_movk_i32 s4, 0xff
	v_and_b32_sdwa v6, v3, s4 dst_sel:DWORD dst_unused:UNUSED_PAD src0_sel:WORD_1 src1_sel:DWORD
	s_movk_i32 s4, 0x7f
	v_cmp_lt_i16_e32 vcc, s4, v6
	s_mov_b64 s[4:5], 0
                                        ; implicit-def: $sgpr10
	s_and_saveexec_b64 s[6:7], vcc
	s_xor_b64 s[6:7], exec, s[6:7]
	s_cbranch_execnz .LBB39_3253
; %bb.1205:
	s_or_saveexec_b64 s[6:7], s[6:7]
	v_mov_b32_e32 v10, s10
	s_xor_b64 exec, exec, s[6:7]
	s_cbranch_execnz .LBB39_3256
.LBB39_1206:
	s_or_b64 exec, exec, s[6:7]
	s_and_saveexec_b64 s[6:7], s[4:5]
	s_cbranch_execz .LBB39_1208
.LBB39_1207:
	v_bfe_u32 v6, v3, 16, 3
	v_ffbh_u32_e32 v12, v6
	v_min_u32_e32 v12, 32, v12
	v_lshrrev_b32_e32 v10, 19, v3
	v_subrev_u32_e32 v13, 28, v12
	v_and_b32_e32 v10, 15, v10
	v_lshlrev_b32_sdwa v13, v13, v3 dst_sel:DWORD dst_unused:UNUSED_PAD src0_sel:DWORD src1_sel:WORD_1
	v_bfe_u32 v11, v3, 19, 4
	v_sub_u32_e32 v12, 29, v12
	v_and_b32_e32 v13, 7, v13
	v_cmp_eq_u16_e32 vcc, 0, v10
	v_cndmask_b32_e32 v6, v6, v13, vcc
	v_cndmask_b32_e32 v10, v11, v12, vcc
	v_lshlrev_b32_e32 v11, 8, v3
	v_mov_b32_e32 v12, 0x3b800000
	v_lshlrev_b32_e32 v6, 20, v6
	v_and_b32_e32 v11, 0x80000000, v11
	v_lshl_add_u32 v10, v10, 23, v12
	v_or3_b32 v10, v11, v10, v6
.LBB39_1208:
	s_or_b64 exec, exec, s[6:7]
	s_nop 0
	v_mfma_f32_16x16x4f32 a[0:3], v2, v10, a[0:3]
	s_movk_i32 s4, 0x7f
	v_cmp_gt_i16_sdwa s[6:7], v7, s4 src0_sel:BYTE_3 src1_sel:DWORD
	s_mov_b64 s[4:5], 0
                                        ; implicit-def: $sgpr10
	s_and_saveexec_b64 s[8:9], s[6:7]
	s_xor_b64 s[6:7], exec, s[8:9]
	s_cbranch_execnz .LBB39_3257
; %bb.1209:
	s_or_saveexec_b64 s[6:7], s[6:7]
	v_mov_b32_e32 v2, s10
	s_xor_b64 exec, exec, s[6:7]
	s_cbranch_execnz .LBB39_3260
.LBB39_1210:
	s_or_b64 exec, exec, s[6:7]
	s_and_saveexec_b64 s[6:7], s[4:5]
	s_cbranch_execz .LBB39_1212
.LBB39_1211:
	v_bfe_u32 v2, v7, 24, 3
	v_ffbh_u32_e32 v12, v2
	v_min_u32_e32 v12, 32, v12
	v_lshrrev_b32_e32 v10, 27, v7
	v_subrev_u32_e32 v13, 28, v12
	v_and_b32_e32 v6, 0x80000000, v7
	v_and_b32_e32 v10, 15, v10
	v_bfe_u32 v11, v7, 27, 4
	v_lshlrev_b32_sdwa v7, v13, v7 dst_sel:DWORD dst_unused:UNUSED_PAD src0_sel:DWORD src1_sel:BYTE_3
	v_sub_u32_e32 v12, 29, v12
	v_and_b32_e32 v7, 7, v7
	v_cmp_eq_u16_e32 vcc, 0, v10
	v_cndmask_b32_e32 v2, v2, v7, vcc
	v_cndmask_b32_e32 v7, v11, v12, vcc
	v_mov_b32_e32 v10, 0x3b800000
	v_lshlrev_b32_e32 v2, 20, v2
	v_lshl_add_u32 v7, v7, 23, v10
	v_or3_b32 v2, v6, v7, v2
.LBB39_1212:
	s_or_b64 exec, exec, s[6:7]
	s_movk_i32 s4, 0x7f
	v_cmp_gt_i16_sdwa s[6:7], v3, s4 src0_sel:BYTE_3 src1_sel:DWORD
	s_mov_b64 s[4:5], 0
                                        ; implicit-def: $sgpr10
	s_and_saveexec_b64 s[8:9], s[6:7]
	s_xor_b64 s[6:7], exec, s[8:9]
	s_cbranch_execnz .LBB39_3261
; %bb.1213:
	s_or_saveexec_b64 s[6:7], s[6:7]
	v_mov_b32_e32 v6, s10
	s_xor_b64 exec, exec, s[6:7]
	s_cbranch_execnz .LBB39_3264
.LBB39_1214:
	s_or_b64 exec, exec, s[6:7]
	s_and_saveexec_b64 s[6:7], s[4:5]
	s_cbranch_execz .LBB39_1216
.LBB39_1215:
	v_bfe_u32 v6, v3, 24, 3
	v_ffbh_u32_e32 v12, v6
	v_min_u32_e32 v12, 32, v12
	v_lshrrev_b32_e32 v10, 27, v3
	v_subrev_u32_e32 v13, 28, v12
	v_and_b32_e32 v7, 0x80000000, v3
	v_and_b32_e32 v10, 15, v10
	v_bfe_u32 v11, v3, 27, 4
	v_lshlrev_b32_sdwa v3, v13, v3 dst_sel:DWORD dst_unused:UNUSED_PAD src0_sel:DWORD src1_sel:BYTE_3
	v_sub_u32_e32 v12, 29, v12
	v_and_b32_e32 v3, 7, v3
	v_cmp_eq_u16_e32 vcc, 0, v10
	v_cndmask_b32_e32 v3, v6, v3, vcc
	v_cndmask_b32_e32 v6, v11, v12, vcc
	v_mov_b32_e32 v10, 0x3b800000
	v_lshlrev_b32_e32 v3, 20, v3
	v_lshl_add_u32 v6, v6, 23, v10
	v_or3_b32 v6, v7, v6, v3
.LBB39_1216:
	s_or_b64 exec, exec, s[6:7]
	s_nop 0
	v_mfma_f32_16x16x4f32 a[0:3], v2, v6, a[0:3]
	s_movk_i32 s4, 0x7f
	v_cmp_gt_i16_sdwa s[6:7], v8, s4 src0_sel:BYTE_0 src1_sel:DWORD
	s_mov_b64 s[4:5], 0
                                        ; implicit-def: $sgpr10
	s_and_saveexec_b64 s[8:9], s[6:7]
	s_xor_b64 s[6:7], exec, s[8:9]
	s_cbranch_execnz .LBB39_3265
; %bb.1217:
	s_or_saveexec_b64 s[6:7], s[6:7]
	v_mov_b32_e32 v2, s10
	s_xor_b64 exec, exec, s[6:7]
	s_cbranch_execnz .LBB39_3268
.LBB39_1218:
	s_or_b64 exec, exec, s[6:7]
	s_and_saveexec_b64 s[6:7], s[4:5]
	s_cbranch_execz .LBB39_1220
.LBB39_1219:
	v_and_b32_e32 v2, 7, v8
	v_ffbh_u32_e32 v6, v2
	v_min_u32_e32 v6, 32, v6
	v_lshrrev_b16_e32 v3, 3, v8
	v_subrev_u32_e32 v7, 28, v6
	v_and_b32_e32 v3, 15, v3
	v_lshlrev_b32_e32 v7, v7, v8
	v_sub_u32_e32 v6, 29, v6
	v_and_b32_e32 v7, 7, v7
	v_cmp_eq_u16_e32 vcc, 0, v3
	v_cndmask_b32_e32 v2, v2, v7, vcc
	v_cndmask_b32_e32 v3, v3, v6, vcc
	v_lshlrev_b32_e32 v6, 24, v8
	v_mov_b32_e32 v7, 0x3b800000
	v_lshlrev_b32_e32 v2, 20, v2
	v_and_b32_e32 v6, 0x80000000, v6
	v_lshl_add_u32 v3, v3, 23, v7
	v_or3_b32 v2, v6, v3, v2
.LBB39_1220:
	s_or_b64 exec, exec, s[6:7]
	s_movk_i32 s4, 0x7f
	v_cmp_gt_i16_sdwa s[6:7], v4, s4 src0_sel:BYTE_0 src1_sel:DWORD
	s_mov_b64 s[4:5], 0
                                        ; implicit-def: $sgpr10
	s_and_saveexec_b64 s[8:9], s[6:7]
	s_xor_b64 s[6:7], exec, s[8:9]
	s_cbranch_execnz .LBB39_3269
; %bb.1221:
	s_or_saveexec_b64 s[6:7], s[6:7]
	v_mov_b32_e32 v3, s10
	s_xor_b64 exec, exec, s[6:7]
	s_cbranch_execnz .LBB39_3272
.LBB39_1222:
	s_or_b64 exec, exec, s[6:7]
	s_and_saveexec_b64 s[6:7], s[4:5]
	s_cbranch_execz .LBB39_1224
.LBB39_1223:
	v_and_b32_e32 v3, 7, v4
	v_ffbh_u32_e32 v7, v3
	v_min_u32_e32 v7, 32, v7
	v_lshrrev_b16_e32 v6, 3, v4
	v_subrev_u32_e32 v10, 28, v7
	v_and_b32_e32 v6, 15, v6
	v_lshlrev_b32_e32 v10, v10, v4
	v_sub_u32_e32 v7, 29, v7
	v_and_b32_e32 v10, 7, v10
	v_cmp_eq_u16_e32 vcc, 0, v6
	v_cndmask_b32_e32 v3, v3, v10, vcc
	v_cndmask_b32_e32 v6, v6, v7, vcc
	v_lshlrev_b32_e32 v7, 24, v4
	v_mov_b32_e32 v10, 0x3b800000
	v_lshlrev_b32_e32 v3, 20, v3
	v_and_b32_e32 v7, 0x80000000, v7
	v_lshl_add_u32 v6, v6, 23, v10
	v_or3_b32 v3, v7, v6, v3
.LBB39_1224:
	s_or_b64 exec, exec, s[6:7]
	s_nop 0
	v_mfma_f32_16x16x4f32 a[0:3], v2, v3, a[0:3]
	v_lshrrev_b32_e32 v3, 8, v8
	s_movk_i32 s4, 0x7f
	v_cmp_gt_i16_sdwa s[6:7], v3, s4 src0_sel:BYTE_0 src1_sel:DWORD
	s_mov_b64 s[4:5], 0
                                        ; implicit-def: $sgpr10
	s_and_saveexec_b64 s[8:9], s[6:7]
	s_xor_b64 s[6:7], exec, s[8:9]
	s_cbranch_execnz .LBB39_3273
; %bb.1225:
	s_or_saveexec_b64 s[6:7], s[6:7]
	v_mov_b32_e32 v2, s10
	s_xor_b64 exec, exec, s[6:7]
	s_cbranch_execnz .LBB39_3276
.LBB39_1226:
	s_or_b64 exec, exec, s[6:7]
	s_and_saveexec_b64 s[6:7], s[4:5]
	s_cbranch_execz .LBB39_1228
.LBB39_1227:
	v_bfe_u32 v2, v8, 8, 3
	v_ffbh_u32_e32 v7, v2
	v_min_u32_e32 v7, 32, v7
	v_lshrrev_b16_e32 v6, 3, v3
	v_subrev_u32_e32 v10, 28, v7
	v_and_b32_e32 v6, 15, v6
	v_lshlrev_b32_e32 v3, v10, v3
	v_sub_u32_e32 v7, 29, v7
	v_and_b32_e32 v3, 7, v3
	v_cmp_eq_u16_e32 vcc, 0, v6
	v_cndmask_b32_e32 v2, v2, v3, vcc
	v_cndmask_b32_e32 v3, v6, v7, vcc
	v_lshlrev_b32_e32 v6, 16, v8
	v_mov_b32_e32 v7, 0x3b800000
	v_lshlrev_b32_e32 v2, 20, v2
	v_and_b32_e32 v6, 0x80000000, v6
	v_lshl_add_u32 v3, v3, 23, v7
	v_or3_b32 v2, v6, v3, v2
.LBB39_1228:
	s_or_b64 exec, exec, s[6:7]
	v_lshrrev_b32_e32 v3, 8, v4
	s_movk_i32 s4, 0x7f
	v_cmp_gt_i16_sdwa s[6:7], v3, s4 src0_sel:BYTE_0 src1_sel:DWORD
	s_mov_b64 s[4:5], 0
                                        ; implicit-def: $sgpr10
	s_and_saveexec_b64 s[8:9], s[6:7]
	s_xor_b64 s[6:7], exec, s[8:9]
	s_cbranch_execnz .LBB39_3277
; %bb.1229:
	s_or_saveexec_b64 s[6:7], s[6:7]
	v_mov_b32_e32 v6, s10
	s_xor_b64 exec, exec, s[6:7]
	s_cbranch_execnz .LBB39_3280
.LBB39_1230:
	s_or_b64 exec, exec, s[6:7]
	s_and_saveexec_b64 s[6:7], s[4:5]
	s_cbranch_execz .LBB39_1232
.LBB39_1231:
	v_bfe_u32 v6, v4, 8, 3
	v_ffbh_u32_e32 v10, v6
	v_min_u32_e32 v10, 32, v10
	v_lshrrev_b16_e32 v7, 3, v3
	v_subrev_u32_e32 v11, 28, v10
	v_and_b32_e32 v7, 15, v7
	v_lshlrev_b32_e32 v3, v11, v3
	v_sub_u32_e32 v10, 29, v10
	v_and_b32_e32 v3, 7, v3
	v_cmp_eq_u16_e32 vcc, 0, v7
	v_cndmask_b32_e32 v3, v6, v3, vcc
	v_cndmask_b32_e32 v6, v7, v10, vcc
	v_lshlrev_b32_e32 v7, 16, v4
	v_mov_b32_e32 v10, 0x3b800000
	v_lshlrev_b32_e32 v3, 20, v3
	v_and_b32_e32 v7, 0x80000000, v7
	v_lshl_add_u32 v6, v6, 23, v10
	v_or3_b32 v6, v7, v6, v3
.LBB39_1232:
	s_or_b64 exec, exec, s[6:7]
	s_nop 0
	v_mfma_f32_16x16x4f32 a[0:3], v2, v6, a[0:3]
	s_movk_i32 s4, 0xff
	v_and_b32_sdwa v3, v8, s4 dst_sel:DWORD dst_unused:UNUSED_PAD src0_sel:WORD_1 src1_sel:DWORD
	s_movk_i32 s4, 0x7f
	v_cmp_lt_i16_e32 vcc, s4, v3
	s_mov_b64 s[4:5], 0
                                        ; implicit-def: $sgpr10
	s_and_saveexec_b64 s[6:7], vcc
	s_xor_b64 s[6:7], exec, s[6:7]
	s_cbranch_execnz .LBB39_3281
; %bb.1233:
	s_or_saveexec_b64 s[6:7], s[6:7]
	v_mov_b32_e32 v2, s10
	s_xor_b64 exec, exec, s[6:7]
	s_cbranch_execnz .LBB39_3284
.LBB39_1234:
	s_or_b64 exec, exec, s[6:7]
	s_and_saveexec_b64 s[6:7], s[4:5]
	s_cbranch_execz .LBB39_1236
.LBB39_1235:
	v_bfe_u32 v2, v8, 16, 3
	v_ffbh_u32_e32 v7, v2
	v_min_u32_e32 v7, 32, v7
	v_lshrrev_b32_e32 v3, 19, v8
	v_subrev_u32_e32 v10, 28, v7
	v_and_b32_e32 v3, 15, v3
	v_lshlrev_b32_sdwa v10, v10, v8 dst_sel:DWORD dst_unused:UNUSED_PAD src0_sel:DWORD src1_sel:WORD_1
	v_bfe_u32 v6, v8, 19, 4
	v_sub_u32_e32 v7, 29, v7
	v_and_b32_e32 v10, 7, v10
	v_cmp_eq_u16_e32 vcc, 0, v3
	v_cndmask_b32_e32 v2, v2, v10, vcc
	v_cndmask_b32_e32 v3, v6, v7, vcc
	v_lshlrev_b32_e32 v6, 8, v8
	v_mov_b32_e32 v7, 0x3b800000
	v_lshlrev_b32_e32 v2, 20, v2
	v_and_b32_e32 v6, 0x80000000, v6
	v_lshl_add_u32 v3, v3, 23, v7
	v_or3_b32 v2, v6, v3, v2
.LBB39_1236:
	s_or_b64 exec, exec, s[6:7]
	s_movk_i32 s4, 0xff
	v_and_b32_sdwa v3, v4, s4 dst_sel:DWORD dst_unused:UNUSED_PAD src0_sel:WORD_1 src1_sel:DWORD
	s_movk_i32 s4, 0x7f
	v_cmp_lt_i16_e32 vcc, s4, v3
	s_mov_b64 s[4:5], 0
                                        ; implicit-def: $sgpr10
	s_and_saveexec_b64 s[6:7], vcc
	s_xor_b64 s[6:7], exec, s[6:7]
	s_cbranch_execnz .LBB39_3285
; %bb.1237:
	s_or_saveexec_b64 s[6:7], s[6:7]
	v_mov_b32_e32 v6, s10
	s_xor_b64 exec, exec, s[6:7]
	s_cbranch_execnz .LBB39_3288
.LBB39_1238:
	s_or_b64 exec, exec, s[6:7]
	s_and_saveexec_b64 s[6:7], s[4:5]
	s_cbranch_execz .LBB39_1240
.LBB39_1239:
	v_bfe_u32 v3, v4, 16, 3
	v_ffbh_u32_e32 v10, v3
	v_min_u32_e32 v10, 32, v10
	v_lshrrev_b32_e32 v6, 19, v4
	v_subrev_u32_e32 v11, 28, v10
	v_and_b32_e32 v6, 15, v6
	v_lshlrev_b32_sdwa v11, v11, v4 dst_sel:DWORD dst_unused:UNUSED_PAD src0_sel:DWORD src1_sel:WORD_1
	v_bfe_u32 v7, v4, 19, 4
	v_sub_u32_e32 v10, 29, v10
	v_and_b32_e32 v11, 7, v11
	v_cmp_eq_u16_e32 vcc, 0, v6
	v_cndmask_b32_e32 v3, v3, v11, vcc
	v_cndmask_b32_e32 v6, v7, v10, vcc
	v_lshlrev_b32_e32 v7, 8, v4
	v_mov_b32_e32 v10, 0x3b800000
	v_lshlrev_b32_e32 v3, 20, v3
	v_and_b32_e32 v7, 0x80000000, v7
	v_lshl_add_u32 v6, v6, 23, v10
	v_or3_b32 v6, v7, v6, v3
.LBB39_1240:
	s_or_b64 exec, exec, s[6:7]
	s_nop 0
	v_mfma_f32_16x16x4f32 a[0:3], v2, v6, a[0:3]
	s_movk_i32 s4, 0x7f
	v_cmp_gt_i16_sdwa s[6:7], v8, s4 src0_sel:BYTE_3 src1_sel:DWORD
	s_mov_b64 s[4:5], 0
                                        ; implicit-def: $sgpr10
	s_and_saveexec_b64 s[8:9], s[6:7]
	s_xor_b64 s[6:7], exec, s[8:9]
	s_cbranch_execnz .LBB39_3289
; %bb.1241:
	s_or_saveexec_b64 s[6:7], s[6:7]
	v_mov_b32_e32 v2, s10
	s_xor_b64 exec, exec, s[6:7]
	s_cbranch_execnz .LBB39_3292
.LBB39_1242:
	s_or_b64 exec, exec, s[6:7]
	s_and_saveexec_b64 s[6:7], s[4:5]
	s_cbranch_execz .LBB39_1244
.LBB39_1243:
	v_bfe_u32 v2, v8, 24, 3
	v_ffbh_u32_e32 v10, v2
	v_min_u32_e32 v10, 32, v10
	v_lshrrev_b32_e32 v6, 27, v8
	v_subrev_u32_e32 v11, 28, v10
	v_and_b32_e32 v3, 0x80000000, v8
	v_and_b32_e32 v6, 15, v6
	v_bfe_u32 v7, v8, 27, 4
	v_lshlrev_b32_sdwa v8, v11, v8 dst_sel:DWORD dst_unused:UNUSED_PAD src0_sel:DWORD src1_sel:BYTE_3
	v_sub_u32_e32 v10, 29, v10
	v_and_b32_e32 v8, 7, v8
	v_cmp_eq_u16_e32 vcc, 0, v6
	v_cndmask_b32_e32 v2, v2, v8, vcc
	v_cndmask_b32_e32 v6, v7, v10, vcc
	v_mov_b32_e32 v7, 0x3b800000
	v_lshlrev_b32_e32 v2, 20, v2
	v_lshl_add_u32 v6, v6, 23, v7
	v_or3_b32 v2, v3, v6, v2
.LBB39_1244:
	s_or_b64 exec, exec, s[6:7]
	s_movk_i32 s4, 0x7f
	v_cmp_gt_i16_sdwa s[6:7], v4, s4 src0_sel:BYTE_3 src1_sel:DWORD
	s_mov_b64 s[4:5], 0
                                        ; implicit-def: $sgpr10
	s_and_saveexec_b64 s[8:9], s[6:7]
	s_xor_b64 s[6:7], exec, s[8:9]
	s_cbranch_execnz .LBB39_3293
; %bb.1245:
	s_or_saveexec_b64 s[6:7], s[6:7]
	v_mov_b32_e32 v3, s10
	s_xor_b64 exec, exec, s[6:7]
	s_cbranch_execnz .LBB39_3296
.LBB39_1246:
	s_or_b64 exec, exec, s[6:7]
	s_and_saveexec_b64 s[6:7], s[4:5]
	s_cbranch_execz .LBB39_1248
.LBB39_1247:
	v_bfe_u32 v3, v4, 24, 3
	v_ffbh_u32_e32 v10, v3
	v_min_u32_e32 v10, 32, v10
	v_lshrrev_b32_e32 v7, 27, v4
	v_subrev_u32_e32 v11, 28, v10
	v_and_b32_e32 v6, 0x80000000, v4
	v_and_b32_e32 v7, 15, v7
	v_bfe_u32 v8, v4, 27, 4
	v_lshlrev_b32_sdwa v4, v11, v4 dst_sel:DWORD dst_unused:UNUSED_PAD src0_sel:DWORD src1_sel:BYTE_3
	v_sub_u32_e32 v10, 29, v10
	v_and_b32_e32 v4, 7, v4
	v_cmp_eq_u16_e32 vcc, 0, v7
	v_cndmask_b32_e32 v3, v3, v4, vcc
	v_cndmask_b32_e32 v4, v8, v10, vcc
	v_mov_b32_e32 v7, 0x3b800000
	v_lshlrev_b32_e32 v3, 20, v3
	v_lshl_add_u32 v4, v4, 23, v7
	v_or3_b32 v3, v6, v4, v3
.LBB39_1248:
	s_or_b64 exec, exec, s[6:7]
	s_nop 0
	v_mfma_f32_16x16x4f32 a[0:3], v2, v3, a[0:3]
	s_movk_i32 s4, 0x7f
	v_cmp_gt_i16_sdwa s[6:7], v9, s4 src0_sel:BYTE_0 src1_sel:DWORD
	s_mov_b64 s[4:5], 0
                                        ; implicit-def: $sgpr10
	s_and_saveexec_b64 s[8:9], s[6:7]
	s_xor_b64 s[6:7], exec, s[8:9]
	s_cbranch_execnz .LBB39_3297
; %bb.1249:
	s_or_saveexec_b64 s[6:7], s[6:7]
	v_mov_b32_e32 v2, s10
	s_xor_b64 exec, exec, s[6:7]
	s_cbranch_execnz .LBB39_3300
.LBB39_1250:
	s_or_b64 exec, exec, s[6:7]
	s_and_saveexec_b64 s[6:7], s[4:5]
	s_cbranch_execz .LBB39_1252
.LBB39_1251:
	v_mov_b32_e32 v2, 8
	v_and_b32_e32 v3, 7, v9
	v_lshrrev_b32_sdwa v2, v2, v9 dst_sel:BYTE_1 dst_unused:UNUSED_PAD src0_sel:DWORD src1_sel:DWORD
	v_ffbh_u32_e32 v4, v3
	v_or_b32_sdwa v2, v9, v2 dst_sel:DWORD dst_unused:UNUSED_PAD src0_sel:BYTE_0 src1_sel:DWORD
	v_min_u32_e32 v4, 32, v4
	v_lshrrev_b16_e32 v2, 3, v2
	v_subrev_u32_e32 v6, 28, v4
	v_and_b32_e32 v2, 15, v2
	v_lshlrev_b32_e32 v6, v6, v9
	v_sub_u32_e32 v4, 29, v4
	v_and_b32_e32 v6, 7, v6
	v_cmp_eq_u16_e32 vcc, 0, v2
	v_cndmask_b32_e32 v3, v3, v6, vcc
	v_cndmask_b32_e32 v2, v2, v4, vcc
	v_lshlrev_b32_e32 v4, 24, v9
	v_mov_b32_e32 v6, 0x3b800000
	v_lshlrev_b32_e32 v3, 20, v3
	v_and_b32_e32 v4, 0x80000000, v4
	v_lshl_add_u32 v2, v2, 23, v6
	v_or3_b32 v2, v4, v2, v3
.LBB39_1252:
	s_or_b64 exec, exec, s[6:7]
	s_movk_i32 s4, 0x7f
	v_cmp_gt_i16_sdwa s[6:7], v5, s4 src0_sel:BYTE_0 src1_sel:DWORD
	s_mov_b64 s[4:5], 0
                                        ; implicit-def: $sgpr10
	s_and_saveexec_b64 s[8:9], s[6:7]
	s_xor_b64 s[6:7], exec, s[8:9]
	s_cbranch_execnz .LBB39_3301
; %bb.1253:
	s_or_saveexec_b64 s[6:7], s[6:7]
	v_mov_b32_e32 v3, s10
	s_xor_b64 exec, exec, s[6:7]
	s_cbranch_execnz .LBB39_3304
.LBB39_1254:
	s_or_b64 exec, exec, s[6:7]
	s_and_saveexec_b64 s[6:7], s[4:5]
	s_cbranch_execz .LBB39_1256
.LBB39_1255:
	v_mov_b32_e32 v3, 8
	v_and_b32_e32 v4, 7, v5
	v_lshrrev_b32_sdwa v3, v3, v5 dst_sel:BYTE_1 dst_unused:UNUSED_PAD src0_sel:DWORD src1_sel:DWORD
	v_ffbh_u32_e32 v6, v4
	v_or_b32_sdwa v3, v5, v3 dst_sel:DWORD dst_unused:UNUSED_PAD src0_sel:BYTE_0 src1_sel:DWORD
	v_min_u32_e32 v6, 32, v6
	v_lshrrev_b16_e32 v3, 3, v3
	v_subrev_u32_e32 v7, 28, v6
	v_and_b32_e32 v3, 15, v3
	v_lshlrev_b32_e32 v7, v7, v5
	v_sub_u32_e32 v6, 29, v6
	v_and_b32_e32 v7, 7, v7
	v_cmp_eq_u16_e32 vcc, 0, v3
	v_cndmask_b32_e32 v4, v4, v7, vcc
	v_cndmask_b32_e32 v3, v3, v6, vcc
	v_lshlrev_b32_e32 v6, 24, v5
	v_mov_b32_e32 v7, 0x3b800000
	v_lshlrev_b32_e32 v4, 20, v4
	v_and_b32_e32 v6, 0x80000000, v6
	v_lshl_add_u32 v3, v3, 23, v7
	v_or3_b32 v3, v6, v3, v4
.LBB39_1256:
	s_or_b64 exec, exec, s[6:7]
	s_nop 0
	v_mfma_f32_16x16x4f32 a[0:3], v2, v3, a[0:3]
	v_lshrrev_b32_e32 v3, 8, v9
	s_movk_i32 s4, 0x7f
	v_cmp_gt_i16_sdwa s[6:7], v3, s4 src0_sel:BYTE_0 src1_sel:DWORD
	s_mov_b64 s[4:5], 0
                                        ; implicit-def: $sgpr10
	s_and_saveexec_b64 s[8:9], s[6:7]
	s_xor_b64 s[6:7], exec, s[8:9]
	s_cbranch_execnz .LBB39_3305
; %bb.1257:
	s_or_saveexec_b64 s[6:7], s[6:7]
	v_mov_b32_e32 v2, s10
	s_xor_b64 exec, exec, s[6:7]
	s_cbranch_execnz .LBB39_3308
.LBB39_1258:
	s_or_b64 exec, exec, s[6:7]
	s_and_saveexec_b64 s[6:7], s[4:5]
	s_cbranch_execz .LBB39_1260
.LBB39_1259:
	v_bfe_u32 v2, v9, 8, 3
	v_ffbh_u32_e32 v6, v2
	v_min_u32_e32 v6, 32, v6
	v_lshrrev_b16_e32 v4, 3, v3
	v_subrev_u32_e32 v7, 28, v6
	v_and_b32_e32 v4, 15, v4
	v_lshlrev_b32_e32 v3, v7, v3
	v_sub_u32_e32 v6, 29, v6
	v_and_b32_e32 v3, 7, v3
	v_cmp_eq_u16_e32 vcc, 0, v4
	v_cndmask_b32_e32 v2, v2, v3, vcc
	v_cndmask_b32_e32 v3, v4, v6, vcc
	v_lshlrev_b32_e32 v4, 16, v9
	v_mov_b32_e32 v6, 0x3b800000
	v_lshlrev_b32_e32 v2, 20, v2
	v_and_b32_e32 v4, 0x80000000, v4
	v_lshl_add_u32 v3, v3, 23, v6
	v_or3_b32 v2, v4, v3, v2
.LBB39_1260:
	s_or_b64 exec, exec, s[6:7]
	v_lshrrev_b32_e32 v3, 8, v5
	s_movk_i32 s4, 0x7f
	v_cmp_gt_i16_sdwa s[6:7], v3, s4 src0_sel:BYTE_0 src1_sel:DWORD
	s_mov_b64 s[4:5], 0
                                        ; implicit-def: $sgpr10
	s_and_saveexec_b64 s[8:9], s[6:7]
	s_xor_b64 s[6:7], exec, s[8:9]
	s_cbranch_execnz .LBB39_3309
; %bb.1261:
	s_or_saveexec_b64 s[6:7], s[6:7]
	v_mov_b32_e32 v4, s10
	s_xor_b64 exec, exec, s[6:7]
	s_cbranch_execnz .LBB39_3312
.LBB39_1262:
	s_or_b64 exec, exec, s[6:7]
	s_and_saveexec_b64 s[6:7], s[4:5]
	s_cbranch_execz .LBB39_1264
.LBB39_1263:
	v_bfe_u32 v4, v5, 8, 3
	v_ffbh_u32_e32 v7, v4
	v_min_u32_e32 v7, 32, v7
	v_lshrrev_b16_e32 v6, 3, v3
	v_subrev_u32_e32 v8, 28, v7
	v_and_b32_e32 v6, 15, v6
	v_lshlrev_b32_e32 v3, v8, v3
	v_sub_u32_e32 v7, 29, v7
	v_and_b32_e32 v3, 7, v3
	v_cmp_eq_u16_e32 vcc, 0, v6
	v_cndmask_b32_e32 v3, v4, v3, vcc
	v_cndmask_b32_e32 v4, v6, v7, vcc
	v_lshlrev_b32_e32 v6, 16, v5
	v_mov_b32_e32 v7, 0x3b800000
	v_lshlrev_b32_e32 v3, 20, v3
	v_and_b32_e32 v6, 0x80000000, v6
	v_lshl_add_u32 v4, v4, 23, v7
	v_or3_b32 v4, v6, v4, v3
.LBB39_1264:
	s_or_b64 exec, exec, s[6:7]
	s_nop 0
	v_mfma_f32_16x16x4f32 a[0:3], v2, v4, a[0:3]
	s_movk_i32 s4, 0xff
	v_and_b32_sdwa v3, v9, s4 dst_sel:DWORD dst_unused:UNUSED_PAD src0_sel:WORD_1 src1_sel:DWORD
	s_movk_i32 s4, 0x7f
	v_cmp_lt_i16_e32 vcc, s4, v3
	s_mov_b64 s[4:5], 0
                                        ; implicit-def: $sgpr10
	s_and_saveexec_b64 s[6:7], vcc
	s_xor_b64 s[6:7], exec, s[6:7]
	s_cbranch_execnz .LBB39_3313
; %bb.1265:
	s_or_saveexec_b64 s[6:7], s[6:7]
	v_mov_b32_e32 v2, s10
	s_xor_b64 exec, exec, s[6:7]
	s_cbranch_execnz .LBB39_3316
.LBB39_1266:
	s_or_b64 exec, exec, s[6:7]
	s_and_saveexec_b64 s[6:7], s[4:5]
	s_cbranch_execz .LBB39_1268
.LBB39_1267:
	v_bfe_u32 v2, v9, 16, 3
	v_ffbh_u32_e32 v6, v2
	v_min_u32_e32 v6, 32, v6
	v_lshrrev_b32_e32 v3, 19, v9
	v_subrev_u32_e32 v7, 28, v6
	v_and_b32_e32 v3, 15, v3
	v_lshlrev_b32_sdwa v7, v7, v9 dst_sel:DWORD dst_unused:UNUSED_PAD src0_sel:DWORD src1_sel:WORD_1
	v_bfe_u32 v4, v9, 19, 4
	v_sub_u32_e32 v6, 29, v6
	v_and_b32_e32 v7, 7, v7
	v_cmp_eq_u16_e32 vcc, 0, v3
	v_cndmask_b32_e32 v2, v2, v7, vcc
	v_cndmask_b32_e32 v3, v4, v6, vcc
	v_lshlrev_b32_e32 v4, 8, v9
	v_mov_b32_e32 v6, 0x3b800000
	v_lshlrev_b32_e32 v2, 20, v2
	v_and_b32_e32 v4, 0x80000000, v4
	v_lshl_add_u32 v3, v3, 23, v6
	v_or3_b32 v2, v4, v3, v2
.LBB39_1268:
	s_or_b64 exec, exec, s[6:7]
	s_movk_i32 s4, 0xff
	v_and_b32_sdwa v3, v5, s4 dst_sel:DWORD dst_unused:UNUSED_PAD src0_sel:WORD_1 src1_sel:DWORD
	s_movk_i32 s4, 0x7f
	v_cmp_lt_i16_e32 vcc, s4, v3
	s_mov_b64 s[4:5], 0
                                        ; implicit-def: $sgpr10
	s_and_saveexec_b64 s[6:7], vcc
	s_xor_b64 s[6:7], exec, s[6:7]
	s_cbranch_execnz .LBB39_3317
; %bb.1269:
	s_or_saveexec_b64 s[6:7], s[6:7]
	v_mov_b32_e32 v4, s10
	s_xor_b64 exec, exec, s[6:7]
	s_cbranch_execnz .LBB39_3320
.LBB39_1270:
	s_or_b64 exec, exec, s[6:7]
	s_and_saveexec_b64 s[6:7], s[4:5]
	s_cbranch_execz .LBB39_1272
.LBB39_1271:
	v_bfe_u32 v3, v5, 16, 3
	v_ffbh_u32_e32 v7, v3
	v_min_u32_e32 v7, 32, v7
	v_lshrrev_b32_e32 v4, 19, v5
	v_subrev_u32_e32 v8, 28, v7
	v_and_b32_e32 v4, 15, v4
	v_lshlrev_b32_sdwa v8, v8, v5 dst_sel:DWORD dst_unused:UNUSED_PAD src0_sel:DWORD src1_sel:WORD_1
	v_bfe_u32 v6, v5, 19, 4
	v_sub_u32_e32 v7, 29, v7
	v_and_b32_e32 v8, 7, v8
	v_cmp_eq_u16_e32 vcc, 0, v4
	v_cndmask_b32_e32 v3, v3, v8, vcc
	v_cndmask_b32_e32 v4, v6, v7, vcc
	v_lshlrev_b32_e32 v6, 8, v5
	v_mov_b32_e32 v7, 0x3b800000
	v_lshlrev_b32_e32 v3, 20, v3
	v_and_b32_e32 v6, 0x80000000, v6
	v_lshl_add_u32 v4, v4, 23, v7
	v_or3_b32 v4, v6, v4, v3
.LBB39_1272:
	s_or_b64 exec, exec, s[6:7]
	s_nop 0
	v_mfma_f32_16x16x4f32 a[0:3], v2, v4, a[0:3]
	s_movk_i32 s4, 0x7f
	v_cmp_gt_i16_sdwa s[6:7], v9, s4 src0_sel:BYTE_3 src1_sel:DWORD
	s_mov_b64 s[4:5], 0
                                        ; implicit-def: $sgpr10
	s_and_saveexec_b64 s[8:9], s[6:7]
	s_xor_b64 s[6:7], exec, s[8:9]
	s_cbranch_execnz .LBB39_3321
; %bb.1273:
	s_or_saveexec_b64 s[6:7], s[6:7]
	v_mov_b32_e32 v2, s10
	s_xor_b64 exec, exec, s[6:7]
	s_cbranch_execnz .LBB39_3324
.LBB39_1274:
	s_or_b64 exec, exec, s[6:7]
	s_and_saveexec_b64 s[6:7], s[4:5]
	s_cbranch_execz .LBB39_1276
.LBB39_1275:
	v_bfe_u32 v2, v9, 24, 3
	v_ffbh_u32_e32 v7, v2
	v_min_u32_e32 v7, 32, v7
	v_lshrrev_b32_e32 v4, 27, v9
	v_subrev_u32_e32 v8, 28, v7
	v_and_b32_e32 v4, 15, v4
	v_lshlrev_b32_sdwa v8, v8, v9 dst_sel:DWORD dst_unused:UNUSED_PAD src0_sel:DWORD src1_sel:BYTE_3
	v_bfe_u32 v6, v9, 27, 4
	v_sub_u32_e32 v7, 29, v7
	v_and_b32_e32 v8, 7, v8
	v_cmp_eq_u16_e32 vcc, 0, v4
	v_cndmask_b32_e32 v2, v2, v8, vcc
	v_cndmask_b32_e32 v4, v6, v7, vcc
	v_mov_b32_e32 v6, 0x3b800000
	v_and_b32_e32 v3, 0x80000000, v9
	v_lshlrev_b32_e32 v2, 20, v2
	v_lshl_add_u32 v4, v4, 23, v6
	v_or3_b32 v2, v3, v4, v2
.LBB39_1276:
	s_or_b64 exec, exec, s[6:7]
	s_movk_i32 s4, 0x7f
	v_cmp_gt_i16_sdwa s[6:7], v5, s4 src0_sel:BYTE_3 src1_sel:DWORD
	s_mov_b64 s[4:5], 0
                                        ; implicit-def: $sgpr10
	s_and_saveexec_b64 s[8:9], s[6:7]
	s_xor_b64 s[6:7], exec, s[8:9]
	s_cbranch_execnz .LBB39_3325
; %bb.1277:
	s_or_saveexec_b64 s[6:7], s[6:7]
	v_mov_b32_e32 v3, s10
	s_xor_b64 exec, exec, s[6:7]
	s_cbranch_execnz .LBB39_3328
.LBB39_1278:
	s_or_b64 exec, exec, s[6:7]
	s_and_saveexec_b64 s[6:7], s[4:5]
	s_cbranch_execz .LBB39_1280
.LBB39_1279:
	v_bfe_u32 v3, v5, 24, 3
	v_ffbh_u32_e32 v8, v3
	v_min_u32_e32 v8, 32, v8
	v_lshrrev_b32_e32 v6, 27, v5
	v_subrev_u32_e32 v9, 28, v8
	v_and_b32_e32 v4, 0x80000000, v5
	v_and_b32_e32 v6, 15, v6
	v_bfe_u32 v7, v5, 27, 4
	v_lshlrev_b32_sdwa v5, v9, v5 dst_sel:DWORD dst_unused:UNUSED_PAD src0_sel:DWORD src1_sel:BYTE_3
	v_sub_u32_e32 v8, 29, v8
	v_and_b32_e32 v5, 7, v5
	v_cmp_eq_u16_e32 vcc, 0, v6
	v_cndmask_b32_e32 v3, v3, v5, vcc
	v_cndmask_b32_e32 v5, v7, v8, vcc
	v_mov_b32_e32 v6, 0x3b800000
	v_lshlrev_b32_e32 v3, 20, v3
	v_lshl_add_u32 v5, v5, 23, v6
	v_or3_b32 v3, v4, v5, v3
.LBB39_1280:
	s_or_b64 exec, exec, s[6:7]
	s_nop 0
	v_mfma_f32_16x16x4f32 a[0:3], v2, v3, a[0:3]
	s_movk_i32 s4, 0x7f
                                        ; implicit-def: $sgpr10
	s_nop 7
	s_nop 1
	flat_store_dwordx4 v[18:19], a[0:3] offset:448
	flat_load_dwordx4 v[20:23], v[0:1] offset:16
	s_nop 0
	flat_load_dwordx2 v[18:19], v[0:1] offset:32
	s_waitcnt vmcnt(0) lgkmcnt(0)
	flat_load_dwordx4 v[14:17], v[20:21] offset:32
	flat_load_dwordx4 v[6:9], v[20:21] offset:48
	;; [unrolled: 1-line block ×4, first 2 shown]
	s_waitcnt vmcnt(0) lgkmcnt(0)
	v_cmp_gt_i16_sdwa s[6:7], v14, s4 src0_sel:BYTE_0 src1_sel:DWORD
	s_mov_b64 s[4:5], 0
	s_and_saveexec_b64 s[8:9], s[6:7]
	s_xor_b64 s[6:7], exec, s[8:9]
	s_cbranch_execnz .LBB39_3329
; %bb.1281:
	s_or_saveexec_b64 s[6:7], s[6:7]
	v_mov_b32_e32 v20, s10
	s_xor_b64 exec, exec, s[6:7]
	s_cbranch_execnz .LBB39_3332
.LBB39_1282:
	s_or_b64 exec, exec, s[6:7]
	s_and_saveexec_b64 s[6:7], s[4:5]
	s_cbranch_execz .LBB39_1284
.LBB39_1283:
	v_and_b32_e32 v20, 7, v14
	v_ffbh_u32_e32 v22, v20
	v_min_u32_e32 v22, 32, v22
	v_lshrrev_b16_e32 v21, 3, v14
	v_subrev_u32_e32 v23, 28, v22
	v_and_b32_e32 v21, 15, v21
	v_lshlrev_b32_e32 v23, v23, v14
	v_sub_u32_e32 v22, 29, v22
	v_and_b32_e32 v23, 7, v23
	v_cmp_eq_u16_e32 vcc, 0, v21
	v_cndmask_b32_e32 v20, v20, v23, vcc
	v_cndmask_b32_e32 v21, v21, v22, vcc
	v_lshlrev_b32_e32 v22, 24, v14
	v_mov_b32_e32 v23, 0x3b800000
	v_lshlrev_b32_e32 v20, 20, v20
	v_and_b32_e32 v22, 0x80000000, v22
	v_lshl_add_u32 v21, v21, 23, v23
	v_or3_b32 v20, v22, v21, v20
.LBB39_1284:
	s_or_b64 exec, exec, s[6:7]
	s_movk_i32 s4, 0x7f
	v_cmp_gt_i16_sdwa s[6:7], v10, s4 src0_sel:BYTE_0 src1_sel:DWORD
	s_mov_b64 s[4:5], 0
                                        ; implicit-def: $sgpr10
	s_and_saveexec_b64 s[8:9], s[6:7]
	s_xor_b64 s[6:7], exec, s[8:9]
	s_cbranch_execnz .LBB39_3333
; %bb.1285:
	s_or_saveexec_b64 s[6:7], s[6:7]
	v_mov_b32_e32 v21, s10
	s_xor_b64 exec, exec, s[6:7]
	s_cbranch_execnz .LBB39_3336
.LBB39_1286:
	s_or_b64 exec, exec, s[6:7]
	s_and_saveexec_b64 s[6:7], s[4:5]
	s_cbranch_execz .LBB39_1288
.LBB39_1287:
	v_and_b32_e32 v21, 7, v10
	v_ffbh_u32_e32 v23, v21
	v_min_u32_e32 v23, 32, v23
	v_lshrrev_b16_e32 v22, 3, v10
	v_subrev_u32_e32 v24, 28, v23
	v_and_b32_e32 v22, 15, v22
	v_lshlrev_b32_e32 v24, v24, v10
	v_sub_u32_e32 v23, 29, v23
	v_and_b32_e32 v24, 7, v24
	v_cmp_eq_u16_e32 vcc, 0, v22
	v_cndmask_b32_e32 v21, v21, v24, vcc
	v_cndmask_b32_e32 v22, v22, v23, vcc
	v_lshlrev_b32_e32 v23, 24, v10
	v_mov_b32_e32 v24, 0x3b800000
	v_lshlrev_b32_e32 v21, 20, v21
	v_and_b32_e32 v23, 0x80000000, v23
	v_lshl_add_u32 v22, v22, 23, v24
	v_or3_b32 v21, v23, v22, v21
.LBB39_1288:
	s_or_b64 exec, exec, s[6:7]
	flat_load_dwordx4 a[0:3], v[18:19] offset:464
	s_movk_i32 s4, 0x7f
                                        ; implicit-def: $sgpr10
	s_waitcnt vmcnt(0) lgkmcnt(0)
	v_mfma_f32_16x16x4f32 a[0:3], v20, v21, a[0:3]
	v_lshrrev_b32_e32 v21, 8, v14
	v_cmp_gt_i16_sdwa s[6:7], v21, s4 src0_sel:BYTE_0 src1_sel:DWORD
	s_mov_b64 s[4:5], 0
	s_and_saveexec_b64 s[8:9], s[6:7]
	s_xor_b64 s[6:7], exec, s[8:9]
	s_cbranch_execnz .LBB39_3337
; %bb.1289:
	s_or_saveexec_b64 s[6:7], s[6:7]
	v_mov_b32_e32 v20, s10
	s_xor_b64 exec, exec, s[6:7]
	s_cbranch_execnz .LBB39_3340
.LBB39_1290:
	s_or_b64 exec, exec, s[6:7]
	s_and_saveexec_b64 s[6:7], s[4:5]
	s_cbranch_execz .LBB39_1292
.LBB39_1291:
	v_bfe_u32 v20, v14, 8, 3
	v_ffbh_u32_e32 v23, v20
	v_min_u32_e32 v23, 32, v23
	v_lshrrev_b16_e32 v22, 3, v21
	v_subrev_u32_e32 v24, 28, v23
	v_and_b32_e32 v22, 15, v22
	v_lshlrev_b32_e32 v21, v24, v21
	v_sub_u32_e32 v23, 29, v23
	v_and_b32_e32 v21, 7, v21
	v_cmp_eq_u16_e32 vcc, 0, v22
	v_cndmask_b32_e32 v20, v20, v21, vcc
	v_cndmask_b32_e32 v21, v22, v23, vcc
	v_lshlrev_b32_e32 v22, 16, v14
	v_mov_b32_e32 v23, 0x3b800000
	v_lshlrev_b32_e32 v20, 20, v20
	v_and_b32_e32 v22, 0x80000000, v22
	v_lshl_add_u32 v21, v21, 23, v23
	v_or3_b32 v20, v22, v21, v20
.LBB39_1292:
	s_or_b64 exec, exec, s[6:7]
	v_lshrrev_b32_e32 v21, 8, v10
	s_movk_i32 s4, 0x7f
	v_cmp_gt_i16_sdwa s[6:7], v21, s4 src0_sel:BYTE_0 src1_sel:DWORD
	s_mov_b64 s[4:5], 0
                                        ; implicit-def: $sgpr10
	s_and_saveexec_b64 s[8:9], s[6:7]
	s_xor_b64 s[6:7], exec, s[8:9]
	s_cbranch_execnz .LBB39_3341
; %bb.1293:
	s_or_saveexec_b64 s[6:7], s[6:7]
	v_mov_b32_e32 v22, s10
	s_xor_b64 exec, exec, s[6:7]
	s_cbranch_execnz .LBB39_3344
.LBB39_1294:
	s_or_b64 exec, exec, s[6:7]
	s_and_saveexec_b64 s[6:7], s[4:5]
	s_cbranch_execz .LBB39_1296
.LBB39_1295:
	v_bfe_u32 v22, v10, 8, 3
	v_ffbh_u32_e32 v24, v22
	v_min_u32_e32 v24, 32, v24
	v_lshrrev_b16_e32 v23, 3, v21
	v_subrev_u32_e32 v25, 28, v24
	v_and_b32_e32 v23, 15, v23
	v_lshlrev_b32_e32 v21, v25, v21
	v_sub_u32_e32 v24, 29, v24
	v_and_b32_e32 v21, 7, v21
	v_cmp_eq_u16_e32 vcc, 0, v23
	v_cndmask_b32_e32 v21, v22, v21, vcc
	v_cndmask_b32_e32 v22, v23, v24, vcc
	v_lshlrev_b32_e32 v23, 16, v10
	v_mov_b32_e32 v24, 0x3b800000
	v_lshlrev_b32_e32 v21, 20, v21
	v_and_b32_e32 v23, 0x80000000, v23
	v_lshl_add_u32 v22, v22, 23, v24
	v_or3_b32 v22, v23, v22, v21
.LBB39_1296:
	s_or_b64 exec, exec, s[6:7]
	s_nop 0
	v_mfma_f32_16x16x4f32 a[0:3], v20, v22, a[0:3]
	s_movk_i32 s4, 0xff
	v_and_b32_sdwa v21, v14, s4 dst_sel:DWORD dst_unused:UNUSED_PAD src0_sel:WORD_1 src1_sel:DWORD
	s_movk_i32 s4, 0x7f
	v_cmp_lt_i16_e32 vcc, s4, v21
	s_mov_b64 s[4:5], 0
                                        ; implicit-def: $sgpr10
	s_and_saveexec_b64 s[6:7], vcc
	s_xor_b64 s[6:7], exec, s[6:7]
	s_cbranch_execnz .LBB39_3345
; %bb.1297:
	s_or_saveexec_b64 s[6:7], s[6:7]
	v_mov_b32_e32 v20, s10
	s_xor_b64 exec, exec, s[6:7]
	s_cbranch_execnz .LBB39_3348
.LBB39_1298:
	s_or_b64 exec, exec, s[6:7]
	s_and_saveexec_b64 s[6:7], s[4:5]
	s_cbranch_execz .LBB39_1300
.LBB39_1299:
	v_bfe_u32 v20, v14, 16, 3
	v_ffbh_u32_e32 v23, v20
	v_min_u32_e32 v23, 32, v23
	v_lshrrev_b32_e32 v21, 19, v14
	v_subrev_u32_e32 v24, 28, v23
	v_and_b32_e32 v21, 15, v21
	v_lshlrev_b32_sdwa v24, v24, v14 dst_sel:DWORD dst_unused:UNUSED_PAD src0_sel:DWORD src1_sel:WORD_1
	v_bfe_u32 v22, v14, 19, 4
	v_sub_u32_e32 v23, 29, v23
	v_and_b32_e32 v24, 7, v24
	v_cmp_eq_u16_e32 vcc, 0, v21
	v_cndmask_b32_e32 v20, v20, v24, vcc
	v_cndmask_b32_e32 v21, v22, v23, vcc
	v_lshlrev_b32_e32 v22, 8, v14
	v_mov_b32_e32 v23, 0x3b800000
	v_lshlrev_b32_e32 v20, 20, v20
	v_and_b32_e32 v22, 0x80000000, v22
	v_lshl_add_u32 v21, v21, 23, v23
	v_or3_b32 v20, v22, v21, v20
.LBB39_1300:
	s_or_b64 exec, exec, s[6:7]
	s_movk_i32 s4, 0xff
	v_and_b32_sdwa v21, v10, s4 dst_sel:DWORD dst_unused:UNUSED_PAD src0_sel:WORD_1 src1_sel:DWORD
	s_movk_i32 s4, 0x7f
	v_cmp_lt_i16_e32 vcc, s4, v21
	s_mov_b64 s[4:5], 0
                                        ; implicit-def: $sgpr10
	s_and_saveexec_b64 s[6:7], vcc
	s_xor_b64 s[6:7], exec, s[6:7]
	s_cbranch_execnz .LBB39_3349
; %bb.1301:
	s_or_saveexec_b64 s[6:7], s[6:7]
	v_mov_b32_e32 v22, s10
	s_xor_b64 exec, exec, s[6:7]
	s_cbranch_execnz .LBB39_3352
.LBB39_1302:
	s_or_b64 exec, exec, s[6:7]
	s_and_saveexec_b64 s[6:7], s[4:5]
	s_cbranch_execz .LBB39_1304
.LBB39_1303:
	v_bfe_u32 v21, v10, 16, 3
	v_ffbh_u32_e32 v24, v21
	v_min_u32_e32 v24, 32, v24
	v_lshrrev_b32_e32 v22, 19, v10
	v_subrev_u32_e32 v25, 28, v24
	v_and_b32_e32 v22, 15, v22
	v_lshlrev_b32_sdwa v25, v25, v10 dst_sel:DWORD dst_unused:UNUSED_PAD src0_sel:DWORD src1_sel:WORD_1
	v_bfe_u32 v23, v10, 19, 4
	v_sub_u32_e32 v24, 29, v24
	v_and_b32_e32 v25, 7, v25
	v_cmp_eq_u16_e32 vcc, 0, v22
	v_cndmask_b32_e32 v21, v21, v25, vcc
	v_cndmask_b32_e32 v22, v23, v24, vcc
	v_lshlrev_b32_e32 v23, 8, v10
	v_mov_b32_e32 v24, 0x3b800000
	v_lshlrev_b32_e32 v21, 20, v21
	v_and_b32_e32 v23, 0x80000000, v23
	v_lshl_add_u32 v22, v22, 23, v24
	v_or3_b32 v22, v23, v22, v21
.LBB39_1304:
	s_or_b64 exec, exec, s[6:7]
	s_nop 0
	v_mfma_f32_16x16x4f32 a[0:3], v20, v22, a[0:3]
	s_movk_i32 s4, 0x7f
	v_cmp_gt_i16_sdwa s[6:7], v14, s4 src0_sel:BYTE_3 src1_sel:DWORD
	s_mov_b64 s[4:5], 0
                                        ; implicit-def: $sgpr10
	s_and_saveexec_b64 s[8:9], s[6:7]
	s_xor_b64 s[6:7], exec, s[8:9]
	s_cbranch_execnz .LBB39_3353
; %bb.1305:
	s_or_saveexec_b64 s[6:7], s[6:7]
	v_mov_b32_e32 v20, s10
	s_xor_b64 exec, exec, s[6:7]
	s_cbranch_execnz .LBB39_3356
.LBB39_1306:
	s_or_b64 exec, exec, s[6:7]
	s_and_saveexec_b64 s[6:7], s[4:5]
	s_cbranch_execz .LBB39_1308
.LBB39_1307:
	v_bfe_u32 v20, v14, 24, 3
	v_ffbh_u32_e32 v24, v20
	v_min_u32_e32 v24, 32, v24
	v_lshrrev_b32_e32 v22, 27, v14
	v_subrev_u32_e32 v25, 28, v24
	v_and_b32_e32 v21, 0x80000000, v14
	v_and_b32_e32 v22, 15, v22
	v_bfe_u32 v23, v14, 27, 4
	v_lshlrev_b32_sdwa v14, v25, v14 dst_sel:DWORD dst_unused:UNUSED_PAD src0_sel:DWORD src1_sel:BYTE_3
	v_sub_u32_e32 v24, 29, v24
	v_and_b32_e32 v14, 7, v14
	v_cmp_eq_u16_e32 vcc, 0, v22
	v_cndmask_b32_e32 v14, v20, v14, vcc
	v_cndmask_b32_e32 v20, v23, v24, vcc
	v_mov_b32_e32 v22, 0x3b800000
	v_lshlrev_b32_e32 v14, 20, v14
	v_lshl_add_u32 v20, v20, 23, v22
	v_or3_b32 v20, v21, v20, v14
.LBB39_1308:
	s_or_b64 exec, exec, s[6:7]
	s_movk_i32 s4, 0x7f
	v_cmp_gt_i16_sdwa s[6:7], v10, s4 src0_sel:BYTE_3 src1_sel:DWORD
	s_mov_b64 s[4:5], 0
                                        ; implicit-def: $sgpr10
	s_and_saveexec_b64 s[8:9], s[6:7]
	s_xor_b64 s[6:7], exec, s[8:9]
	s_cbranch_execnz .LBB39_3357
; %bb.1309:
	s_or_saveexec_b64 s[6:7], s[6:7]
	v_mov_b32_e32 v14, s10
	s_xor_b64 exec, exec, s[6:7]
	s_cbranch_execnz .LBB39_3360
.LBB39_1310:
	s_or_b64 exec, exec, s[6:7]
	s_and_saveexec_b64 s[6:7], s[4:5]
	s_cbranch_execz .LBB39_1312
.LBB39_1311:
	v_bfe_u32 v14, v10, 24, 3
	v_ffbh_u32_e32 v24, v14
	v_min_u32_e32 v24, 32, v24
	v_lshrrev_b32_e32 v22, 27, v10
	v_subrev_u32_e32 v25, 28, v24
	v_and_b32_e32 v21, 0x80000000, v10
	v_and_b32_e32 v22, 15, v22
	v_bfe_u32 v23, v10, 27, 4
	v_lshlrev_b32_sdwa v10, v25, v10 dst_sel:DWORD dst_unused:UNUSED_PAD src0_sel:DWORD src1_sel:BYTE_3
	v_sub_u32_e32 v24, 29, v24
	v_and_b32_e32 v10, 7, v10
	v_cmp_eq_u16_e32 vcc, 0, v22
	v_cndmask_b32_e32 v10, v14, v10, vcc
	v_cndmask_b32_e32 v14, v23, v24, vcc
	v_mov_b32_e32 v22, 0x3b800000
	v_lshlrev_b32_e32 v10, 20, v10
	v_lshl_add_u32 v14, v14, 23, v22
	v_or3_b32 v14, v21, v14, v10
.LBB39_1312:
	s_or_b64 exec, exec, s[6:7]
	s_nop 0
	v_mfma_f32_16x16x4f32 a[0:3], v20, v14, a[0:3]
	s_movk_i32 s4, 0x7f
	v_cmp_gt_i16_sdwa s[6:7], v15, s4 src0_sel:BYTE_0 src1_sel:DWORD
	s_mov_b64 s[4:5], 0
                                        ; implicit-def: $sgpr10
	s_and_saveexec_b64 s[8:9], s[6:7]
	s_xor_b64 s[6:7], exec, s[8:9]
	s_cbranch_execnz .LBB39_3361
; %bb.1313:
	s_or_saveexec_b64 s[6:7], s[6:7]
	v_mov_b32_e32 v10, s10
	s_xor_b64 exec, exec, s[6:7]
	s_cbranch_execnz .LBB39_3364
.LBB39_1314:
	s_or_b64 exec, exec, s[6:7]
	s_and_saveexec_b64 s[6:7], s[4:5]
	s_cbranch_execz .LBB39_1316
.LBB39_1315:
	v_and_b32_e32 v10, 7, v15
	v_ffbh_u32_e32 v20, v10
	v_min_u32_e32 v20, 32, v20
	v_lshrrev_b16_e32 v14, 3, v15
	v_subrev_u32_e32 v21, 28, v20
	v_and_b32_e32 v14, 15, v14
	v_lshlrev_b32_e32 v21, v21, v15
	v_sub_u32_e32 v20, 29, v20
	v_and_b32_e32 v21, 7, v21
	v_cmp_eq_u16_e32 vcc, 0, v14
	v_cndmask_b32_e32 v10, v10, v21, vcc
	v_cndmask_b32_e32 v14, v14, v20, vcc
	v_lshlrev_b32_e32 v20, 24, v15
	v_mov_b32_e32 v21, 0x3b800000
	v_lshlrev_b32_e32 v10, 20, v10
	v_and_b32_e32 v20, 0x80000000, v20
	v_lshl_add_u32 v14, v14, 23, v21
	v_or3_b32 v10, v20, v14, v10
.LBB39_1316:
	s_or_b64 exec, exec, s[6:7]
	s_movk_i32 s4, 0x7f
	v_cmp_gt_i16_sdwa s[6:7], v11, s4 src0_sel:BYTE_0 src1_sel:DWORD
	s_mov_b64 s[4:5], 0
                                        ; implicit-def: $sgpr10
	s_and_saveexec_b64 s[8:9], s[6:7]
	s_xor_b64 s[6:7], exec, s[8:9]
	s_cbranch_execnz .LBB39_3365
; %bb.1317:
	s_or_saveexec_b64 s[6:7], s[6:7]
	v_mov_b32_e32 v14, s10
	s_xor_b64 exec, exec, s[6:7]
	s_cbranch_execnz .LBB39_3368
.LBB39_1318:
	s_or_b64 exec, exec, s[6:7]
	s_and_saveexec_b64 s[6:7], s[4:5]
	s_cbranch_execz .LBB39_1320
.LBB39_1319:
	v_and_b32_e32 v14, 7, v11
	v_ffbh_u32_e32 v21, v14
	v_min_u32_e32 v21, 32, v21
	v_lshrrev_b16_e32 v20, 3, v11
	v_subrev_u32_e32 v22, 28, v21
	v_and_b32_e32 v20, 15, v20
	v_lshlrev_b32_e32 v22, v22, v11
	v_sub_u32_e32 v21, 29, v21
	v_and_b32_e32 v22, 7, v22
	v_cmp_eq_u16_e32 vcc, 0, v20
	v_cndmask_b32_e32 v14, v14, v22, vcc
	v_cndmask_b32_e32 v20, v20, v21, vcc
	v_lshlrev_b32_e32 v21, 24, v11
	v_mov_b32_e32 v22, 0x3b800000
	v_lshlrev_b32_e32 v14, 20, v14
	v_and_b32_e32 v21, 0x80000000, v21
	v_lshl_add_u32 v20, v20, 23, v22
	v_or3_b32 v14, v21, v20, v14
.LBB39_1320:
	s_or_b64 exec, exec, s[6:7]
	s_nop 0
	v_mfma_f32_16x16x4f32 a[0:3], v10, v14, a[0:3]
	v_lshrrev_b32_e32 v14, 8, v15
	s_movk_i32 s4, 0x7f
	v_cmp_gt_i16_sdwa s[6:7], v14, s4 src0_sel:BYTE_0 src1_sel:DWORD
	s_mov_b64 s[4:5], 0
                                        ; implicit-def: $sgpr10
	s_and_saveexec_b64 s[8:9], s[6:7]
	s_xor_b64 s[6:7], exec, s[8:9]
	s_cbranch_execnz .LBB39_3369
; %bb.1321:
	s_or_saveexec_b64 s[6:7], s[6:7]
	v_mov_b32_e32 v10, s10
	s_xor_b64 exec, exec, s[6:7]
	s_cbranch_execnz .LBB39_3372
.LBB39_1322:
	s_or_b64 exec, exec, s[6:7]
	s_and_saveexec_b64 s[6:7], s[4:5]
	s_cbranch_execz .LBB39_1324
.LBB39_1323:
	v_bfe_u32 v10, v15, 8, 3
	v_ffbh_u32_e32 v21, v10
	v_min_u32_e32 v21, 32, v21
	v_lshrrev_b16_e32 v20, 3, v14
	v_subrev_u32_e32 v22, 28, v21
	v_and_b32_e32 v20, 15, v20
	v_lshlrev_b32_e32 v14, v22, v14
	v_sub_u32_e32 v21, 29, v21
	v_and_b32_e32 v14, 7, v14
	v_cmp_eq_u16_e32 vcc, 0, v20
	v_cndmask_b32_e32 v10, v10, v14, vcc
	v_cndmask_b32_e32 v14, v20, v21, vcc
	v_lshlrev_b32_e32 v20, 16, v15
	v_mov_b32_e32 v21, 0x3b800000
	v_lshlrev_b32_e32 v10, 20, v10
	v_and_b32_e32 v20, 0x80000000, v20
	v_lshl_add_u32 v14, v14, 23, v21
	v_or3_b32 v10, v20, v14, v10
.LBB39_1324:
	s_or_b64 exec, exec, s[6:7]
	v_lshrrev_b32_e32 v14, 8, v11
	s_movk_i32 s4, 0x7f
	v_cmp_gt_i16_sdwa s[6:7], v14, s4 src0_sel:BYTE_0 src1_sel:DWORD
	s_mov_b64 s[4:5], 0
                                        ; implicit-def: $sgpr10
	s_and_saveexec_b64 s[8:9], s[6:7]
	s_xor_b64 s[6:7], exec, s[8:9]
	s_cbranch_execnz .LBB39_3373
; %bb.1325:
	s_or_saveexec_b64 s[6:7], s[6:7]
	v_mov_b32_e32 v20, s10
	s_xor_b64 exec, exec, s[6:7]
	s_cbranch_execnz .LBB39_3376
.LBB39_1326:
	s_or_b64 exec, exec, s[6:7]
	s_and_saveexec_b64 s[6:7], s[4:5]
	s_cbranch_execz .LBB39_1328
.LBB39_1327:
	v_bfe_u32 v20, v11, 8, 3
	v_ffbh_u32_e32 v22, v20
	v_min_u32_e32 v22, 32, v22
	v_lshrrev_b16_e32 v21, 3, v14
	v_subrev_u32_e32 v23, 28, v22
	v_and_b32_e32 v21, 15, v21
	v_lshlrev_b32_e32 v14, v23, v14
	v_sub_u32_e32 v22, 29, v22
	v_and_b32_e32 v14, 7, v14
	v_cmp_eq_u16_e32 vcc, 0, v21
	v_cndmask_b32_e32 v14, v20, v14, vcc
	v_cndmask_b32_e32 v20, v21, v22, vcc
	v_lshlrev_b32_e32 v21, 16, v11
	v_mov_b32_e32 v22, 0x3b800000
	v_lshlrev_b32_e32 v14, 20, v14
	v_and_b32_e32 v21, 0x80000000, v21
	v_lshl_add_u32 v20, v20, 23, v22
	v_or3_b32 v20, v21, v20, v14
.LBB39_1328:
	s_or_b64 exec, exec, s[6:7]
	s_nop 0
	v_mfma_f32_16x16x4f32 a[0:3], v10, v20, a[0:3]
	s_movk_i32 s4, 0xff
	v_and_b32_sdwa v14, v15, s4 dst_sel:DWORD dst_unused:UNUSED_PAD src0_sel:WORD_1 src1_sel:DWORD
	s_movk_i32 s4, 0x7f
	v_cmp_lt_i16_e32 vcc, s4, v14
	s_mov_b64 s[4:5], 0
                                        ; implicit-def: $sgpr10
	s_and_saveexec_b64 s[6:7], vcc
	s_xor_b64 s[6:7], exec, s[6:7]
	s_cbranch_execnz .LBB39_3377
; %bb.1329:
	s_or_saveexec_b64 s[6:7], s[6:7]
	v_mov_b32_e32 v10, s10
	s_xor_b64 exec, exec, s[6:7]
	s_cbranch_execnz .LBB39_3380
.LBB39_1330:
	s_or_b64 exec, exec, s[6:7]
	s_and_saveexec_b64 s[6:7], s[4:5]
	s_cbranch_execz .LBB39_1332
.LBB39_1331:
	v_bfe_u32 v10, v15, 16, 3
	v_ffbh_u32_e32 v21, v10
	v_min_u32_e32 v21, 32, v21
	v_lshrrev_b32_e32 v14, 19, v15
	v_subrev_u32_e32 v22, 28, v21
	v_and_b32_e32 v14, 15, v14
	v_lshlrev_b32_sdwa v22, v22, v15 dst_sel:DWORD dst_unused:UNUSED_PAD src0_sel:DWORD src1_sel:WORD_1
	v_bfe_u32 v20, v15, 19, 4
	v_sub_u32_e32 v21, 29, v21
	v_and_b32_e32 v22, 7, v22
	v_cmp_eq_u16_e32 vcc, 0, v14
	v_cndmask_b32_e32 v10, v10, v22, vcc
	v_cndmask_b32_e32 v14, v20, v21, vcc
	v_lshlrev_b32_e32 v20, 8, v15
	v_mov_b32_e32 v21, 0x3b800000
	v_lshlrev_b32_e32 v10, 20, v10
	v_and_b32_e32 v20, 0x80000000, v20
	v_lshl_add_u32 v14, v14, 23, v21
	v_or3_b32 v10, v20, v14, v10
.LBB39_1332:
	s_or_b64 exec, exec, s[6:7]
	s_movk_i32 s4, 0xff
	v_and_b32_sdwa v14, v11, s4 dst_sel:DWORD dst_unused:UNUSED_PAD src0_sel:WORD_1 src1_sel:DWORD
	s_movk_i32 s4, 0x7f
	v_cmp_lt_i16_e32 vcc, s4, v14
	s_mov_b64 s[4:5], 0
                                        ; implicit-def: $sgpr10
	s_and_saveexec_b64 s[6:7], vcc
	s_xor_b64 s[6:7], exec, s[6:7]
	s_cbranch_execnz .LBB39_3381
; %bb.1333:
	s_or_saveexec_b64 s[6:7], s[6:7]
	v_mov_b32_e32 v20, s10
	s_xor_b64 exec, exec, s[6:7]
	s_cbranch_execnz .LBB39_3384
.LBB39_1334:
	s_or_b64 exec, exec, s[6:7]
	s_and_saveexec_b64 s[6:7], s[4:5]
	s_cbranch_execz .LBB39_1336
.LBB39_1335:
	v_bfe_u32 v14, v11, 16, 3
	v_ffbh_u32_e32 v22, v14
	v_min_u32_e32 v22, 32, v22
	v_lshrrev_b32_e32 v20, 19, v11
	v_subrev_u32_e32 v23, 28, v22
	v_and_b32_e32 v20, 15, v20
	v_lshlrev_b32_sdwa v23, v23, v11 dst_sel:DWORD dst_unused:UNUSED_PAD src0_sel:DWORD src1_sel:WORD_1
	v_bfe_u32 v21, v11, 19, 4
	v_sub_u32_e32 v22, 29, v22
	v_and_b32_e32 v23, 7, v23
	v_cmp_eq_u16_e32 vcc, 0, v20
	v_cndmask_b32_e32 v14, v14, v23, vcc
	v_cndmask_b32_e32 v20, v21, v22, vcc
	v_lshlrev_b32_e32 v21, 8, v11
	v_mov_b32_e32 v22, 0x3b800000
	v_lshlrev_b32_e32 v14, 20, v14
	v_and_b32_e32 v21, 0x80000000, v21
	v_lshl_add_u32 v20, v20, 23, v22
	v_or3_b32 v20, v21, v20, v14
.LBB39_1336:
	s_or_b64 exec, exec, s[6:7]
	s_nop 0
	v_mfma_f32_16x16x4f32 a[0:3], v10, v20, a[0:3]
	s_movk_i32 s4, 0x7f
	v_cmp_gt_i16_sdwa s[6:7], v15, s4 src0_sel:BYTE_3 src1_sel:DWORD
	s_mov_b64 s[4:5], 0
                                        ; implicit-def: $sgpr10
	s_and_saveexec_b64 s[8:9], s[6:7]
	s_xor_b64 s[6:7], exec, s[8:9]
	s_cbranch_execnz .LBB39_3385
; %bb.1337:
	s_or_saveexec_b64 s[6:7], s[6:7]
	v_mov_b32_e32 v10, s10
	s_xor_b64 exec, exec, s[6:7]
	s_cbranch_execnz .LBB39_3388
.LBB39_1338:
	s_or_b64 exec, exec, s[6:7]
	s_and_saveexec_b64 s[6:7], s[4:5]
	s_cbranch_execz .LBB39_1340
.LBB39_1339:
	v_bfe_u32 v10, v15, 24, 3
	v_ffbh_u32_e32 v22, v10
	v_min_u32_e32 v22, 32, v22
	v_lshrrev_b32_e32 v20, 27, v15
	v_subrev_u32_e32 v23, 28, v22
	v_and_b32_e32 v14, 0x80000000, v15
	v_and_b32_e32 v20, 15, v20
	v_bfe_u32 v21, v15, 27, 4
	v_lshlrev_b32_sdwa v15, v23, v15 dst_sel:DWORD dst_unused:UNUSED_PAD src0_sel:DWORD src1_sel:BYTE_3
	v_sub_u32_e32 v22, 29, v22
	v_and_b32_e32 v15, 7, v15
	v_cmp_eq_u16_e32 vcc, 0, v20
	v_cndmask_b32_e32 v10, v10, v15, vcc
	v_cndmask_b32_e32 v15, v21, v22, vcc
	v_mov_b32_e32 v20, 0x3b800000
	v_lshlrev_b32_e32 v10, 20, v10
	v_lshl_add_u32 v15, v15, 23, v20
	v_or3_b32 v10, v14, v15, v10
.LBB39_1340:
	s_or_b64 exec, exec, s[6:7]
	s_movk_i32 s4, 0x7f
	v_cmp_gt_i16_sdwa s[6:7], v11, s4 src0_sel:BYTE_3 src1_sel:DWORD
	s_mov_b64 s[4:5], 0
                                        ; implicit-def: $sgpr10
	s_and_saveexec_b64 s[8:9], s[6:7]
	s_xor_b64 s[6:7], exec, s[8:9]
	s_cbranch_execnz .LBB39_3389
; %bb.1341:
	s_or_saveexec_b64 s[6:7], s[6:7]
	v_mov_b32_e32 v14, s10
	s_xor_b64 exec, exec, s[6:7]
	s_cbranch_execnz .LBB39_3392
.LBB39_1342:
	s_or_b64 exec, exec, s[6:7]
	s_and_saveexec_b64 s[6:7], s[4:5]
	s_cbranch_execz .LBB39_1344
.LBB39_1343:
	v_bfe_u32 v14, v11, 24, 3
	v_ffbh_u32_e32 v22, v14
	v_min_u32_e32 v22, 32, v22
	v_lshrrev_b32_e32 v20, 27, v11
	v_subrev_u32_e32 v23, 28, v22
	v_and_b32_e32 v15, 0x80000000, v11
	v_and_b32_e32 v20, 15, v20
	v_bfe_u32 v21, v11, 27, 4
	v_lshlrev_b32_sdwa v11, v23, v11 dst_sel:DWORD dst_unused:UNUSED_PAD src0_sel:DWORD src1_sel:BYTE_3
	v_sub_u32_e32 v22, 29, v22
	v_and_b32_e32 v11, 7, v11
	v_cmp_eq_u16_e32 vcc, 0, v20
	v_cndmask_b32_e32 v11, v14, v11, vcc
	v_cndmask_b32_e32 v14, v21, v22, vcc
	v_mov_b32_e32 v20, 0x3b800000
	v_lshlrev_b32_e32 v11, 20, v11
	v_lshl_add_u32 v14, v14, 23, v20
	v_or3_b32 v14, v15, v14, v11
.LBB39_1344:
	s_or_b64 exec, exec, s[6:7]
	s_nop 0
	v_mfma_f32_16x16x4f32 a[0:3], v10, v14, a[0:3]
	s_movk_i32 s4, 0x7f
	v_cmp_gt_i16_sdwa s[6:7], v16, s4 src0_sel:BYTE_0 src1_sel:DWORD
	s_mov_b64 s[4:5], 0
                                        ; implicit-def: $sgpr10
	s_and_saveexec_b64 s[8:9], s[6:7]
	s_xor_b64 s[6:7], exec, s[8:9]
	s_cbranch_execnz .LBB39_3393
; %bb.1345:
	s_or_saveexec_b64 s[6:7], s[6:7]
	v_mov_b32_e32 v10, s10
	s_xor_b64 exec, exec, s[6:7]
	s_cbranch_execnz .LBB39_3396
.LBB39_1346:
	s_or_b64 exec, exec, s[6:7]
	s_and_saveexec_b64 s[6:7], s[4:5]
	s_cbranch_execz .LBB39_1348
.LBB39_1347:
	v_and_b32_e32 v10, 7, v16
	v_ffbh_u32_e32 v14, v10
	v_min_u32_e32 v14, 32, v14
	v_lshrrev_b16_e32 v11, 3, v16
	v_subrev_u32_e32 v15, 28, v14
	v_and_b32_e32 v11, 15, v11
	v_lshlrev_b32_e32 v15, v15, v16
	v_sub_u32_e32 v14, 29, v14
	v_and_b32_e32 v15, 7, v15
	v_cmp_eq_u16_e32 vcc, 0, v11
	v_cndmask_b32_e32 v10, v10, v15, vcc
	v_cndmask_b32_e32 v11, v11, v14, vcc
	v_lshlrev_b32_e32 v14, 24, v16
	v_mov_b32_e32 v15, 0x3b800000
	v_lshlrev_b32_e32 v10, 20, v10
	v_and_b32_e32 v14, 0x80000000, v14
	v_lshl_add_u32 v11, v11, 23, v15
	v_or3_b32 v10, v14, v11, v10
.LBB39_1348:
	s_or_b64 exec, exec, s[6:7]
	s_movk_i32 s4, 0x7f
	v_cmp_gt_i16_sdwa s[6:7], v12, s4 src0_sel:BYTE_0 src1_sel:DWORD
	s_mov_b64 s[4:5], 0
                                        ; implicit-def: $sgpr10
	s_and_saveexec_b64 s[8:9], s[6:7]
	s_xor_b64 s[6:7], exec, s[8:9]
	s_cbranch_execnz .LBB39_3397
; %bb.1349:
	s_or_saveexec_b64 s[6:7], s[6:7]
	v_mov_b32_e32 v11, s10
	s_xor_b64 exec, exec, s[6:7]
	s_cbranch_execnz .LBB39_3400
.LBB39_1350:
	s_or_b64 exec, exec, s[6:7]
	s_and_saveexec_b64 s[6:7], s[4:5]
	s_cbranch_execz .LBB39_1352
.LBB39_1351:
	v_and_b32_e32 v11, 7, v12
	v_ffbh_u32_e32 v15, v11
	v_min_u32_e32 v15, 32, v15
	v_lshrrev_b16_e32 v14, 3, v12
	v_subrev_u32_e32 v20, 28, v15
	v_and_b32_e32 v14, 15, v14
	v_lshlrev_b32_e32 v20, v20, v12
	v_sub_u32_e32 v15, 29, v15
	v_and_b32_e32 v20, 7, v20
	v_cmp_eq_u16_e32 vcc, 0, v14
	v_cndmask_b32_e32 v11, v11, v20, vcc
	v_cndmask_b32_e32 v14, v14, v15, vcc
	v_lshlrev_b32_e32 v15, 24, v12
	v_mov_b32_e32 v20, 0x3b800000
	v_lshlrev_b32_e32 v11, 20, v11
	v_and_b32_e32 v15, 0x80000000, v15
	v_lshl_add_u32 v14, v14, 23, v20
	v_or3_b32 v11, v15, v14, v11
.LBB39_1352:
	s_or_b64 exec, exec, s[6:7]
	s_nop 0
	v_mfma_f32_16x16x4f32 a[0:3], v10, v11, a[0:3]
	v_lshrrev_b32_e32 v11, 8, v16
	s_movk_i32 s4, 0x7f
	v_cmp_gt_i16_sdwa s[6:7], v11, s4 src0_sel:BYTE_0 src1_sel:DWORD
	s_mov_b64 s[4:5], 0
                                        ; implicit-def: $sgpr10
	s_and_saveexec_b64 s[8:9], s[6:7]
	s_xor_b64 s[6:7], exec, s[8:9]
	s_cbranch_execnz .LBB39_3401
; %bb.1353:
	s_or_saveexec_b64 s[6:7], s[6:7]
	v_mov_b32_e32 v10, s10
	s_xor_b64 exec, exec, s[6:7]
	s_cbranch_execnz .LBB39_3404
.LBB39_1354:
	s_or_b64 exec, exec, s[6:7]
	s_and_saveexec_b64 s[6:7], s[4:5]
	s_cbranch_execz .LBB39_1356
.LBB39_1355:
	v_bfe_u32 v10, v16, 8, 3
	v_ffbh_u32_e32 v15, v10
	v_min_u32_e32 v15, 32, v15
	v_lshrrev_b16_e32 v14, 3, v11
	v_subrev_u32_e32 v20, 28, v15
	v_and_b32_e32 v14, 15, v14
	v_lshlrev_b32_e32 v11, v20, v11
	v_sub_u32_e32 v15, 29, v15
	v_and_b32_e32 v11, 7, v11
	v_cmp_eq_u16_e32 vcc, 0, v14
	v_cndmask_b32_e32 v10, v10, v11, vcc
	v_cndmask_b32_e32 v11, v14, v15, vcc
	v_lshlrev_b32_e32 v14, 16, v16
	v_mov_b32_e32 v15, 0x3b800000
	v_lshlrev_b32_e32 v10, 20, v10
	v_and_b32_e32 v14, 0x80000000, v14
	v_lshl_add_u32 v11, v11, 23, v15
	v_or3_b32 v10, v14, v11, v10
.LBB39_1356:
	s_or_b64 exec, exec, s[6:7]
	v_lshrrev_b32_e32 v11, 8, v12
	s_movk_i32 s4, 0x7f
	v_cmp_gt_i16_sdwa s[6:7], v11, s4 src0_sel:BYTE_0 src1_sel:DWORD
	s_mov_b64 s[4:5], 0
                                        ; implicit-def: $sgpr10
	s_and_saveexec_b64 s[8:9], s[6:7]
	s_xor_b64 s[6:7], exec, s[8:9]
	s_cbranch_execnz .LBB39_3405
; %bb.1357:
	s_or_saveexec_b64 s[6:7], s[6:7]
	v_mov_b32_e32 v14, s10
	s_xor_b64 exec, exec, s[6:7]
	s_cbranch_execnz .LBB39_3408
.LBB39_1358:
	s_or_b64 exec, exec, s[6:7]
	s_and_saveexec_b64 s[6:7], s[4:5]
	s_cbranch_execz .LBB39_1360
.LBB39_1359:
	v_bfe_u32 v14, v12, 8, 3
	v_ffbh_u32_e32 v20, v14
	v_min_u32_e32 v20, 32, v20
	v_lshrrev_b16_e32 v15, 3, v11
	v_subrev_u32_e32 v21, 28, v20
	v_and_b32_e32 v15, 15, v15
	v_lshlrev_b32_e32 v11, v21, v11
	v_sub_u32_e32 v20, 29, v20
	v_and_b32_e32 v11, 7, v11
	v_cmp_eq_u16_e32 vcc, 0, v15
	v_cndmask_b32_e32 v11, v14, v11, vcc
	v_cndmask_b32_e32 v14, v15, v20, vcc
	v_lshlrev_b32_e32 v15, 16, v12
	v_mov_b32_e32 v20, 0x3b800000
	v_lshlrev_b32_e32 v11, 20, v11
	v_and_b32_e32 v15, 0x80000000, v15
	v_lshl_add_u32 v14, v14, 23, v20
	v_or3_b32 v14, v15, v14, v11
.LBB39_1360:
	s_or_b64 exec, exec, s[6:7]
	s_nop 0
	v_mfma_f32_16x16x4f32 a[0:3], v10, v14, a[0:3]
	s_movk_i32 s4, 0xff
	v_and_b32_sdwa v11, v16, s4 dst_sel:DWORD dst_unused:UNUSED_PAD src0_sel:WORD_1 src1_sel:DWORD
	s_movk_i32 s4, 0x7f
	v_cmp_lt_i16_e32 vcc, s4, v11
	s_mov_b64 s[4:5], 0
                                        ; implicit-def: $sgpr10
	s_and_saveexec_b64 s[6:7], vcc
	s_xor_b64 s[6:7], exec, s[6:7]
	s_cbranch_execnz .LBB39_3409
; %bb.1361:
	s_or_saveexec_b64 s[6:7], s[6:7]
	v_mov_b32_e32 v10, s10
	s_xor_b64 exec, exec, s[6:7]
	s_cbranch_execnz .LBB39_3412
.LBB39_1362:
	s_or_b64 exec, exec, s[6:7]
	s_and_saveexec_b64 s[6:7], s[4:5]
	s_cbranch_execz .LBB39_1364
.LBB39_1363:
	v_bfe_u32 v10, v16, 16, 3
	v_ffbh_u32_e32 v15, v10
	v_min_u32_e32 v15, 32, v15
	v_lshrrev_b32_e32 v11, 19, v16
	v_subrev_u32_e32 v20, 28, v15
	v_and_b32_e32 v11, 15, v11
	v_lshlrev_b32_sdwa v20, v20, v16 dst_sel:DWORD dst_unused:UNUSED_PAD src0_sel:DWORD src1_sel:WORD_1
	v_bfe_u32 v14, v16, 19, 4
	v_sub_u32_e32 v15, 29, v15
	v_and_b32_e32 v20, 7, v20
	v_cmp_eq_u16_e32 vcc, 0, v11
	v_cndmask_b32_e32 v10, v10, v20, vcc
	v_cndmask_b32_e32 v11, v14, v15, vcc
	v_lshlrev_b32_e32 v14, 8, v16
	v_mov_b32_e32 v15, 0x3b800000
	v_lshlrev_b32_e32 v10, 20, v10
	v_and_b32_e32 v14, 0x80000000, v14
	v_lshl_add_u32 v11, v11, 23, v15
	v_or3_b32 v10, v14, v11, v10
.LBB39_1364:
	s_or_b64 exec, exec, s[6:7]
	s_movk_i32 s4, 0xff
	v_and_b32_sdwa v11, v12, s4 dst_sel:DWORD dst_unused:UNUSED_PAD src0_sel:WORD_1 src1_sel:DWORD
	s_movk_i32 s4, 0x7f
	v_cmp_lt_i16_e32 vcc, s4, v11
	s_mov_b64 s[4:5], 0
                                        ; implicit-def: $sgpr10
	s_and_saveexec_b64 s[6:7], vcc
	s_xor_b64 s[6:7], exec, s[6:7]
	s_cbranch_execnz .LBB39_3413
; %bb.1365:
	s_or_saveexec_b64 s[6:7], s[6:7]
	v_mov_b32_e32 v14, s10
	s_xor_b64 exec, exec, s[6:7]
	s_cbranch_execnz .LBB39_3416
.LBB39_1366:
	s_or_b64 exec, exec, s[6:7]
	s_and_saveexec_b64 s[6:7], s[4:5]
	s_cbranch_execz .LBB39_1368
.LBB39_1367:
	v_bfe_u32 v11, v12, 16, 3
	v_ffbh_u32_e32 v20, v11
	v_min_u32_e32 v20, 32, v20
	v_lshrrev_b32_e32 v14, 19, v12
	v_subrev_u32_e32 v21, 28, v20
	v_and_b32_e32 v14, 15, v14
	v_lshlrev_b32_sdwa v21, v21, v12 dst_sel:DWORD dst_unused:UNUSED_PAD src0_sel:DWORD src1_sel:WORD_1
	v_bfe_u32 v15, v12, 19, 4
	v_sub_u32_e32 v20, 29, v20
	v_and_b32_e32 v21, 7, v21
	v_cmp_eq_u16_e32 vcc, 0, v14
	v_cndmask_b32_e32 v11, v11, v21, vcc
	v_cndmask_b32_e32 v14, v15, v20, vcc
	v_lshlrev_b32_e32 v15, 8, v12
	v_mov_b32_e32 v20, 0x3b800000
	v_lshlrev_b32_e32 v11, 20, v11
	v_and_b32_e32 v15, 0x80000000, v15
	v_lshl_add_u32 v14, v14, 23, v20
	v_or3_b32 v14, v15, v14, v11
.LBB39_1368:
	s_or_b64 exec, exec, s[6:7]
	s_nop 0
	v_mfma_f32_16x16x4f32 a[0:3], v10, v14, a[0:3]
	s_movk_i32 s4, 0x7f
	v_cmp_gt_i16_sdwa s[6:7], v16, s4 src0_sel:BYTE_3 src1_sel:DWORD
	s_mov_b64 s[4:5], 0
                                        ; implicit-def: $sgpr10
	s_and_saveexec_b64 s[8:9], s[6:7]
	s_xor_b64 s[6:7], exec, s[8:9]
	s_cbranch_execnz .LBB39_3417
; %bb.1369:
	s_or_saveexec_b64 s[6:7], s[6:7]
	v_mov_b32_e32 v10, s10
	s_xor_b64 exec, exec, s[6:7]
	s_cbranch_execnz .LBB39_3420
.LBB39_1370:
	s_or_b64 exec, exec, s[6:7]
	s_and_saveexec_b64 s[6:7], s[4:5]
	s_cbranch_execz .LBB39_1372
.LBB39_1371:
	v_bfe_u32 v10, v16, 24, 3
	v_ffbh_u32_e32 v20, v10
	v_min_u32_e32 v20, 32, v20
	v_lshrrev_b32_e32 v14, 27, v16
	v_subrev_u32_e32 v21, 28, v20
	v_and_b32_e32 v11, 0x80000000, v16
	v_and_b32_e32 v14, 15, v14
	v_bfe_u32 v15, v16, 27, 4
	v_lshlrev_b32_sdwa v16, v21, v16 dst_sel:DWORD dst_unused:UNUSED_PAD src0_sel:DWORD src1_sel:BYTE_3
	v_sub_u32_e32 v20, 29, v20
	v_and_b32_e32 v16, 7, v16
	v_cmp_eq_u16_e32 vcc, 0, v14
	v_cndmask_b32_e32 v10, v10, v16, vcc
	v_cndmask_b32_e32 v14, v15, v20, vcc
	v_mov_b32_e32 v15, 0x3b800000
	v_lshlrev_b32_e32 v10, 20, v10
	v_lshl_add_u32 v14, v14, 23, v15
	v_or3_b32 v10, v11, v14, v10
.LBB39_1372:
	s_or_b64 exec, exec, s[6:7]
	s_movk_i32 s4, 0x7f
	v_cmp_gt_i16_sdwa s[6:7], v12, s4 src0_sel:BYTE_3 src1_sel:DWORD
	s_mov_b64 s[4:5], 0
                                        ; implicit-def: $sgpr10
	s_and_saveexec_b64 s[8:9], s[6:7]
	s_xor_b64 s[6:7], exec, s[8:9]
	s_cbranch_execnz .LBB39_3421
; %bb.1373:
	s_or_saveexec_b64 s[6:7], s[6:7]
	v_mov_b32_e32 v11, s10
	s_xor_b64 exec, exec, s[6:7]
	s_cbranch_execnz .LBB39_3424
.LBB39_1374:
	s_or_b64 exec, exec, s[6:7]
	s_and_saveexec_b64 s[6:7], s[4:5]
	s_cbranch_execz .LBB39_1376
.LBB39_1375:
	v_bfe_u32 v11, v12, 24, 3
	v_ffbh_u32_e32 v20, v11
	v_min_u32_e32 v20, 32, v20
	v_lshrrev_b32_e32 v15, 27, v12
	v_subrev_u32_e32 v21, 28, v20
	v_and_b32_e32 v14, 0x80000000, v12
	v_and_b32_e32 v15, 15, v15
	v_bfe_u32 v16, v12, 27, 4
	v_lshlrev_b32_sdwa v12, v21, v12 dst_sel:DWORD dst_unused:UNUSED_PAD src0_sel:DWORD src1_sel:BYTE_3
	v_sub_u32_e32 v20, 29, v20
	v_and_b32_e32 v12, 7, v12
	v_cmp_eq_u16_e32 vcc, 0, v15
	v_cndmask_b32_e32 v11, v11, v12, vcc
	v_cndmask_b32_e32 v12, v16, v20, vcc
	v_mov_b32_e32 v15, 0x3b800000
	v_lshlrev_b32_e32 v11, 20, v11
	v_lshl_add_u32 v12, v12, 23, v15
	v_or3_b32 v11, v14, v12, v11
.LBB39_1376:
	s_or_b64 exec, exec, s[6:7]
	s_nop 0
	v_mfma_f32_16x16x4f32 a[0:3], v10, v11, a[0:3]
	s_movk_i32 s4, 0x7f
	v_cmp_gt_i16_sdwa s[6:7], v17, s4 src0_sel:BYTE_0 src1_sel:DWORD
	s_mov_b64 s[4:5], 0
                                        ; implicit-def: $sgpr10
	s_and_saveexec_b64 s[8:9], s[6:7]
	s_xor_b64 s[6:7], exec, s[8:9]
	s_cbranch_execnz .LBB39_3425
; %bb.1377:
	s_or_saveexec_b64 s[6:7], s[6:7]
	v_mov_b32_e32 v10, s10
	s_xor_b64 exec, exec, s[6:7]
	s_cbranch_execnz .LBB39_3428
.LBB39_1378:
	s_or_b64 exec, exec, s[6:7]
	s_and_saveexec_b64 s[6:7], s[4:5]
	s_cbranch_execz .LBB39_1380
.LBB39_1379:
	v_and_b32_e32 v10, 7, v17
	v_ffbh_u32_e32 v12, v10
	v_min_u32_e32 v12, 32, v12
	v_lshrrev_b16_e32 v11, 3, v17
	v_subrev_u32_e32 v14, 28, v12
	v_and_b32_e32 v11, 15, v11
	v_lshlrev_b32_e32 v14, v14, v17
	v_sub_u32_e32 v12, 29, v12
	v_and_b32_e32 v14, 7, v14
	v_cmp_eq_u16_e32 vcc, 0, v11
	v_cndmask_b32_e32 v10, v10, v14, vcc
	v_cndmask_b32_e32 v11, v11, v12, vcc
	v_lshlrev_b32_e32 v12, 24, v17
	v_mov_b32_e32 v14, 0x3b800000
	v_lshlrev_b32_e32 v10, 20, v10
	v_and_b32_e32 v12, 0x80000000, v12
	v_lshl_add_u32 v11, v11, 23, v14
	v_or3_b32 v10, v12, v11, v10
.LBB39_1380:
	s_or_b64 exec, exec, s[6:7]
	s_movk_i32 s4, 0x7f
	v_cmp_gt_i16_sdwa s[6:7], v13, s4 src0_sel:BYTE_0 src1_sel:DWORD
	s_mov_b64 s[4:5], 0
                                        ; implicit-def: $sgpr10
	s_and_saveexec_b64 s[8:9], s[6:7]
	s_xor_b64 s[6:7], exec, s[8:9]
	s_cbranch_execnz .LBB39_3429
; %bb.1381:
	s_or_saveexec_b64 s[6:7], s[6:7]
	v_mov_b32_e32 v11, s10
	s_xor_b64 exec, exec, s[6:7]
	s_cbranch_execnz .LBB39_3432
.LBB39_1382:
	s_or_b64 exec, exec, s[6:7]
	s_and_saveexec_b64 s[6:7], s[4:5]
	s_cbranch_execz .LBB39_1384
.LBB39_1383:
	v_and_b32_e32 v11, 7, v13
	v_ffbh_u32_e32 v14, v11
	v_min_u32_e32 v14, 32, v14
	v_lshrrev_b16_e32 v12, 3, v13
	v_subrev_u32_e32 v15, 28, v14
	v_and_b32_e32 v12, 15, v12
	v_lshlrev_b32_e32 v15, v15, v13
	v_sub_u32_e32 v14, 29, v14
	v_and_b32_e32 v15, 7, v15
	v_cmp_eq_u16_e32 vcc, 0, v12
	v_cndmask_b32_e32 v11, v11, v15, vcc
	v_cndmask_b32_e32 v12, v12, v14, vcc
	v_lshlrev_b32_e32 v14, 24, v13
	v_mov_b32_e32 v15, 0x3b800000
	v_lshlrev_b32_e32 v11, 20, v11
	v_and_b32_e32 v14, 0x80000000, v14
	v_lshl_add_u32 v12, v12, 23, v15
	v_or3_b32 v11, v14, v12, v11
.LBB39_1384:
	s_or_b64 exec, exec, s[6:7]
	s_nop 0
	v_mfma_f32_16x16x4f32 a[0:3], v10, v11, a[0:3]
	v_lshrrev_b32_e32 v11, 8, v17
	s_movk_i32 s4, 0x7f
	v_cmp_gt_i16_sdwa s[6:7], v11, s4 src0_sel:BYTE_0 src1_sel:DWORD
	s_mov_b64 s[4:5], 0
                                        ; implicit-def: $sgpr10
	s_and_saveexec_b64 s[8:9], s[6:7]
	s_xor_b64 s[6:7], exec, s[8:9]
	s_cbranch_execnz .LBB39_3433
; %bb.1385:
	s_or_saveexec_b64 s[6:7], s[6:7]
	v_mov_b32_e32 v10, s10
	s_xor_b64 exec, exec, s[6:7]
	s_cbranch_execnz .LBB39_3436
.LBB39_1386:
	s_or_b64 exec, exec, s[6:7]
	s_and_saveexec_b64 s[6:7], s[4:5]
	s_cbranch_execz .LBB39_1388
.LBB39_1387:
	v_bfe_u32 v10, v17, 8, 3
	v_ffbh_u32_e32 v14, v10
	v_min_u32_e32 v14, 32, v14
	v_lshrrev_b16_e32 v12, 3, v11
	v_subrev_u32_e32 v15, 28, v14
	v_and_b32_e32 v12, 15, v12
	v_lshlrev_b32_e32 v11, v15, v11
	v_sub_u32_e32 v14, 29, v14
	v_and_b32_e32 v11, 7, v11
	v_cmp_eq_u16_e32 vcc, 0, v12
	v_cndmask_b32_e32 v10, v10, v11, vcc
	v_cndmask_b32_e32 v11, v12, v14, vcc
	v_lshlrev_b32_e32 v12, 16, v17
	v_mov_b32_e32 v14, 0x3b800000
	v_lshlrev_b32_e32 v10, 20, v10
	v_and_b32_e32 v12, 0x80000000, v12
	v_lshl_add_u32 v11, v11, 23, v14
	v_or3_b32 v10, v12, v11, v10
.LBB39_1388:
	s_or_b64 exec, exec, s[6:7]
	v_lshrrev_b32_e32 v11, 8, v13
	s_movk_i32 s4, 0x7f
	v_cmp_gt_i16_sdwa s[6:7], v11, s4 src0_sel:BYTE_0 src1_sel:DWORD
	s_mov_b64 s[4:5], 0
                                        ; implicit-def: $sgpr10
	s_and_saveexec_b64 s[8:9], s[6:7]
	s_xor_b64 s[6:7], exec, s[8:9]
	s_cbranch_execnz .LBB39_3437
; %bb.1389:
	s_or_saveexec_b64 s[6:7], s[6:7]
	v_mov_b32_e32 v12, s10
	s_xor_b64 exec, exec, s[6:7]
	s_cbranch_execnz .LBB39_3440
.LBB39_1390:
	s_or_b64 exec, exec, s[6:7]
	s_and_saveexec_b64 s[6:7], s[4:5]
	s_cbranch_execz .LBB39_1392
.LBB39_1391:
	v_bfe_u32 v12, v13, 8, 3
	v_ffbh_u32_e32 v15, v12
	v_min_u32_e32 v15, 32, v15
	v_lshrrev_b16_e32 v14, 3, v11
	v_subrev_u32_e32 v16, 28, v15
	v_and_b32_e32 v14, 15, v14
	v_lshlrev_b32_e32 v11, v16, v11
	v_sub_u32_e32 v15, 29, v15
	v_and_b32_e32 v11, 7, v11
	v_cmp_eq_u16_e32 vcc, 0, v14
	v_cndmask_b32_e32 v11, v12, v11, vcc
	v_cndmask_b32_e32 v12, v14, v15, vcc
	v_lshlrev_b32_e32 v14, 16, v13
	v_mov_b32_e32 v15, 0x3b800000
	v_lshlrev_b32_e32 v11, 20, v11
	v_and_b32_e32 v14, 0x80000000, v14
	v_lshl_add_u32 v12, v12, 23, v15
	v_or3_b32 v12, v14, v12, v11
.LBB39_1392:
	s_or_b64 exec, exec, s[6:7]
	s_nop 0
	v_mfma_f32_16x16x4f32 a[0:3], v10, v12, a[0:3]
	s_movk_i32 s4, 0xff
	v_and_b32_sdwa v11, v17, s4 dst_sel:DWORD dst_unused:UNUSED_PAD src0_sel:WORD_1 src1_sel:DWORD
	s_movk_i32 s4, 0x7f
	v_cmp_lt_i16_e32 vcc, s4, v11
	s_mov_b64 s[4:5], 0
                                        ; implicit-def: $sgpr10
	s_and_saveexec_b64 s[6:7], vcc
	s_xor_b64 s[6:7], exec, s[6:7]
	s_cbranch_execnz .LBB39_3441
; %bb.1393:
	s_or_saveexec_b64 s[6:7], s[6:7]
	v_mov_b32_e32 v10, s10
	s_xor_b64 exec, exec, s[6:7]
	s_cbranch_execnz .LBB39_3444
.LBB39_1394:
	s_or_b64 exec, exec, s[6:7]
	s_and_saveexec_b64 s[6:7], s[4:5]
	s_cbranch_execz .LBB39_1396
.LBB39_1395:
	v_bfe_u32 v10, v17, 16, 3
	v_ffbh_u32_e32 v14, v10
	v_min_u32_e32 v14, 32, v14
	v_lshrrev_b32_e32 v11, 19, v17
	v_subrev_u32_e32 v15, 28, v14
	v_and_b32_e32 v11, 15, v11
	v_lshlrev_b32_sdwa v15, v15, v17 dst_sel:DWORD dst_unused:UNUSED_PAD src0_sel:DWORD src1_sel:WORD_1
	v_bfe_u32 v12, v17, 19, 4
	v_sub_u32_e32 v14, 29, v14
	v_and_b32_e32 v15, 7, v15
	v_cmp_eq_u16_e32 vcc, 0, v11
	v_cndmask_b32_e32 v10, v10, v15, vcc
	v_cndmask_b32_e32 v11, v12, v14, vcc
	v_lshlrev_b32_e32 v12, 8, v17
	v_mov_b32_e32 v14, 0x3b800000
	v_lshlrev_b32_e32 v10, 20, v10
	v_and_b32_e32 v12, 0x80000000, v12
	v_lshl_add_u32 v11, v11, 23, v14
	v_or3_b32 v10, v12, v11, v10
.LBB39_1396:
	s_or_b64 exec, exec, s[6:7]
	s_movk_i32 s4, 0xff
	v_and_b32_sdwa v11, v13, s4 dst_sel:DWORD dst_unused:UNUSED_PAD src0_sel:WORD_1 src1_sel:DWORD
	s_movk_i32 s4, 0x7f
	v_cmp_lt_i16_e32 vcc, s4, v11
	s_mov_b64 s[4:5], 0
                                        ; implicit-def: $sgpr10
	s_and_saveexec_b64 s[6:7], vcc
	s_xor_b64 s[6:7], exec, s[6:7]
	s_cbranch_execnz .LBB39_3445
; %bb.1397:
	s_or_saveexec_b64 s[6:7], s[6:7]
	v_mov_b32_e32 v12, s10
	s_xor_b64 exec, exec, s[6:7]
	s_cbranch_execnz .LBB39_3448
.LBB39_1398:
	s_or_b64 exec, exec, s[6:7]
	s_and_saveexec_b64 s[6:7], s[4:5]
	s_cbranch_execz .LBB39_1400
.LBB39_1399:
	v_bfe_u32 v11, v13, 16, 3
	v_ffbh_u32_e32 v15, v11
	v_min_u32_e32 v15, 32, v15
	v_lshrrev_b32_e32 v12, 19, v13
	v_subrev_u32_e32 v16, 28, v15
	v_and_b32_e32 v12, 15, v12
	v_lshlrev_b32_sdwa v16, v16, v13 dst_sel:DWORD dst_unused:UNUSED_PAD src0_sel:DWORD src1_sel:WORD_1
	v_bfe_u32 v14, v13, 19, 4
	v_sub_u32_e32 v15, 29, v15
	v_and_b32_e32 v16, 7, v16
	v_cmp_eq_u16_e32 vcc, 0, v12
	v_cndmask_b32_e32 v11, v11, v16, vcc
	v_cndmask_b32_e32 v12, v14, v15, vcc
	v_lshlrev_b32_e32 v14, 8, v13
	v_mov_b32_e32 v15, 0x3b800000
	v_lshlrev_b32_e32 v11, 20, v11
	v_and_b32_e32 v14, 0x80000000, v14
	v_lshl_add_u32 v12, v12, 23, v15
	v_or3_b32 v12, v14, v12, v11
.LBB39_1400:
	s_or_b64 exec, exec, s[6:7]
	s_nop 0
	v_mfma_f32_16x16x4f32 a[0:3], v10, v12, a[0:3]
	s_movk_i32 s4, 0x7f
	v_cmp_gt_i16_sdwa s[6:7], v17, s4 src0_sel:BYTE_3 src1_sel:DWORD
	s_mov_b64 s[4:5], 0
                                        ; implicit-def: $sgpr10
	s_and_saveexec_b64 s[8:9], s[6:7]
	s_xor_b64 s[6:7], exec, s[8:9]
	s_cbranch_execnz .LBB39_3449
; %bb.1401:
	s_or_saveexec_b64 s[6:7], s[6:7]
	v_mov_b32_e32 v10, s10
	s_xor_b64 exec, exec, s[6:7]
	s_cbranch_execnz .LBB39_3452
.LBB39_1402:
	s_or_b64 exec, exec, s[6:7]
	s_and_saveexec_b64 s[6:7], s[4:5]
	s_cbranch_execz .LBB39_1404
.LBB39_1403:
	v_bfe_u32 v10, v17, 24, 3
	v_ffbh_u32_e32 v15, v10
	v_min_u32_e32 v15, 32, v15
	v_lshrrev_b32_e32 v12, 27, v17
	v_subrev_u32_e32 v16, 28, v15
	v_and_b32_e32 v12, 15, v12
	v_lshlrev_b32_sdwa v16, v16, v17 dst_sel:DWORD dst_unused:UNUSED_PAD src0_sel:DWORD src1_sel:BYTE_3
	v_bfe_u32 v14, v17, 27, 4
	v_sub_u32_e32 v15, 29, v15
	v_and_b32_e32 v16, 7, v16
	v_cmp_eq_u16_e32 vcc, 0, v12
	v_cndmask_b32_e32 v10, v10, v16, vcc
	v_cndmask_b32_e32 v12, v14, v15, vcc
	v_mov_b32_e32 v14, 0x3b800000
	v_and_b32_e32 v11, 0x80000000, v17
	v_lshlrev_b32_e32 v10, 20, v10
	v_lshl_add_u32 v12, v12, 23, v14
	v_or3_b32 v10, v11, v12, v10
.LBB39_1404:
	s_or_b64 exec, exec, s[6:7]
	s_movk_i32 s4, 0x7f
	v_cmp_gt_i16_sdwa s[6:7], v13, s4 src0_sel:BYTE_3 src1_sel:DWORD
	s_mov_b64 s[4:5], 0
                                        ; implicit-def: $sgpr10
	s_and_saveexec_b64 s[8:9], s[6:7]
	s_xor_b64 s[6:7], exec, s[8:9]
	s_cbranch_execnz .LBB39_3453
; %bb.1405:
	s_or_saveexec_b64 s[6:7], s[6:7]
	v_mov_b32_e32 v11, s10
	s_xor_b64 exec, exec, s[6:7]
	s_cbranch_execnz .LBB39_3456
.LBB39_1406:
	s_or_b64 exec, exec, s[6:7]
	s_and_saveexec_b64 s[6:7], s[4:5]
	s_cbranch_execz .LBB39_1408
.LBB39_1407:
	v_bfe_u32 v11, v13, 24, 3
	v_ffbh_u32_e32 v16, v11
	v_min_u32_e32 v16, 32, v16
	v_lshrrev_b32_e32 v14, 27, v13
	v_subrev_u32_e32 v17, 28, v16
	v_and_b32_e32 v12, 0x80000000, v13
	v_and_b32_e32 v14, 15, v14
	v_bfe_u32 v15, v13, 27, 4
	v_lshlrev_b32_sdwa v13, v17, v13 dst_sel:DWORD dst_unused:UNUSED_PAD src0_sel:DWORD src1_sel:BYTE_3
	v_sub_u32_e32 v16, 29, v16
	v_and_b32_e32 v13, 7, v13
	v_cmp_eq_u16_e32 vcc, 0, v14
	v_cndmask_b32_e32 v11, v11, v13, vcc
	v_cndmask_b32_e32 v13, v15, v16, vcc
	v_mov_b32_e32 v14, 0x3b800000
	v_lshlrev_b32_e32 v11, 20, v11
	v_lshl_add_u32 v13, v13, 23, v14
	v_or3_b32 v11, v12, v13, v11
.LBB39_1408:
	s_or_b64 exec, exec, s[6:7]
	s_nop 0
	v_mfma_f32_16x16x4f32 a[0:3], v10, v11, a[0:3]
	s_movk_i32 s4, 0x7f
	v_cmp_gt_i16_sdwa s[6:7], v6, s4 src0_sel:BYTE_0 src1_sel:DWORD
	s_mov_b64 s[4:5], 0
                                        ; implicit-def: $sgpr10
	s_and_saveexec_b64 s[8:9], s[6:7]
	s_xor_b64 s[6:7], exec, s[8:9]
	s_cbranch_execnz .LBB39_3457
; %bb.1409:
	s_or_saveexec_b64 s[6:7], s[6:7]
	v_mov_b32_e32 v10, s10
	s_xor_b64 exec, exec, s[6:7]
	s_cbranch_execnz .LBB39_3460
.LBB39_1410:
	s_or_b64 exec, exec, s[6:7]
	s_and_saveexec_b64 s[6:7], s[4:5]
	s_cbranch_execz .LBB39_1412
.LBB39_1411:
	v_and_b32_e32 v10, 7, v6
	v_ffbh_u32_e32 v12, v10
	v_min_u32_e32 v12, 32, v12
	v_lshrrev_b16_e32 v11, 3, v6
	v_subrev_u32_e32 v13, 28, v12
	v_and_b32_e32 v11, 15, v11
	v_lshlrev_b32_e32 v13, v13, v6
	v_sub_u32_e32 v12, 29, v12
	v_and_b32_e32 v13, 7, v13
	v_cmp_eq_u16_e32 vcc, 0, v11
	v_cndmask_b32_e32 v10, v10, v13, vcc
	v_cndmask_b32_e32 v11, v11, v12, vcc
	v_lshlrev_b32_e32 v12, 24, v6
	v_mov_b32_e32 v13, 0x3b800000
	v_lshlrev_b32_e32 v10, 20, v10
	v_and_b32_e32 v12, 0x80000000, v12
	v_lshl_add_u32 v11, v11, 23, v13
	v_or3_b32 v10, v12, v11, v10
.LBB39_1412:
	s_or_b64 exec, exec, s[6:7]
	s_movk_i32 s4, 0x7f
	v_cmp_gt_i16_sdwa s[6:7], v2, s4 src0_sel:BYTE_0 src1_sel:DWORD
	s_mov_b64 s[4:5], 0
                                        ; implicit-def: $sgpr10
	s_and_saveexec_b64 s[8:9], s[6:7]
	s_xor_b64 s[6:7], exec, s[8:9]
	s_cbranch_execnz .LBB39_3461
; %bb.1413:
	s_or_saveexec_b64 s[6:7], s[6:7]
	v_mov_b32_e32 v11, s10
	s_xor_b64 exec, exec, s[6:7]
	s_cbranch_execnz .LBB39_3464
.LBB39_1414:
	s_or_b64 exec, exec, s[6:7]
	s_and_saveexec_b64 s[6:7], s[4:5]
	s_cbranch_execz .LBB39_1416
.LBB39_1415:
	v_and_b32_e32 v11, 7, v2
	v_ffbh_u32_e32 v13, v11
	v_min_u32_e32 v13, 32, v13
	v_lshrrev_b16_e32 v12, 3, v2
	v_subrev_u32_e32 v14, 28, v13
	v_and_b32_e32 v12, 15, v12
	v_lshlrev_b32_e32 v14, v14, v2
	v_sub_u32_e32 v13, 29, v13
	v_and_b32_e32 v14, 7, v14
	v_cmp_eq_u16_e32 vcc, 0, v12
	v_cndmask_b32_e32 v11, v11, v14, vcc
	v_cndmask_b32_e32 v12, v12, v13, vcc
	v_lshlrev_b32_e32 v13, 24, v2
	v_mov_b32_e32 v14, 0x3b800000
	v_lshlrev_b32_e32 v11, 20, v11
	v_and_b32_e32 v13, 0x80000000, v13
	v_lshl_add_u32 v12, v12, 23, v14
	v_or3_b32 v11, v13, v12, v11
.LBB39_1416:
	s_or_b64 exec, exec, s[6:7]
	s_nop 0
	v_mfma_f32_16x16x4f32 a[0:3], v10, v11, a[0:3]
	v_lshrrev_b32_e32 v11, 8, v6
	s_movk_i32 s4, 0x7f
	v_cmp_gt_i16_sdwa s[6:7], v11, s4 src0_sel:BYTE_0 src1_sel:DWORD
	s_mov_b64 s[4:5], 0
                                        ; implicit-def: $sgpr10
	s_and_saveexec_b64 s[8:9], s[6:7]
	s_xor_b64 s[6:7], exec, s[8:9]
	s_cbranch_execnz .LBB39_3465
; %bb.1417:
	s_or_saveexec_b64 s[6:7], s[6:7]
	v_mov_b32_e32 v10, s10
	s_xor_b64 exec, exec, s[6:7]
	s_cbranch_execnz .LBB39_3468
.LBB39_1418:
	s_or_b64 exec, exec, s[6:7]
	s_and_saveexec_b64 s[6:7], s[4:5]
	s_cbranch_execz .LBB39_1420
.LBB39_1419:
	v_bfe_u32 v10, v6, 8, 3
	v_ffbh_u32_e32 v13, v10
	v_min_u32_e32 v13, 32, v13
	v_lshrrev_b16_e32 v12, 3, v11
	v_subrev_u32_e32 v14, 28, v13
	v_and_b32_e32 v12, 15, v12
	v_lshlrev_b32_e32 v11, v14, v11
	v_sub_u32_e32 v13, 29, v13
	v_and_b32_e32 v11, 7, v11
	v_cmp_eq_u16_e32 vcc, 0, v12
	v_cndmask_b32_e32 v10, v10, v11, vcc
	v_cndmask_b32_e32 v11, v12, v13, vcc
	v_lshlrev_b32_e32 v12, 16, v6
	v_mov_b32_e32 v13, 0x3b800000
	v_lshlrev_b32_e32 v10, 20, v10
	v_and_b32_e32 v12, 0x80000000, v12
	v_lshl_add_u32 v11, v11, 23, v13
	v_or3_b32 v10, v12, v11, v10
.LBB39_1420:
	s_or_b64 exec, exec, s[6:7]
	v_lshrrev_b32_e32 v11, 8, v2
	s_movk_i32 s4, 0x7f
	v_cmp_gt_i16_sdwa s[6:7], v11, s4 src0_sel:BYTE_0 src1_sel:DWORD
	s_mov_b64 s[4:5], 0
                                        ; implicit-def: $sgpr10
	s_and_saveexec_b64 s[8:9], s[6:7]
	s_xor_b64 s[6:7], exec, s[8:9]
	s_cbranch_execnz .LBB39_3469
; %bb.1421:
	s_or_saveexec_b64 s[6:7], s[6:7]
	v_mov_b32_e32 v12, s10
	s_xor_b64 exec, exec, s[6:7]
	s_cbranch_execnz .LBB39_3472
.LBB39_1422:
	s_or_b64 exec, exec, s[6:7]
	s_and_saveexec_b64 s[6:7], s[4:5]
	s_cbranch_execz .LBB39_1424
.LBB39_1423:
	v_bfe_u32 v12, v2, 8, 3
	v_ffbh_u32_e32 v14, v12
	v_min_u32_e32 v14, 32, v14
	v_lshrrev_b16_e32 v13, 3, v11
	v_subrev_u32_e32 v15, 28, v14
	v_and_b32_e32 v13, 15, v13
	v_lshlrev_b32_e32 v11, v15, v11
	v_sub_u32_e32 v14, 29, v14
	v_and_b32_e32 v11, 7, v11
	v_cmp_eq_u16_e32 vcc, 0, v13
	v_cndmask_b32_e32 v11, v12, v11, vcc
	v_cndmask_b32_e32 v12, v13, v14, vcc
	v_lshlrev_b32_e32 v13, 16, v2
	v_mov_b32_e32 v14, 0x3b800000
	v_lshlrev_b32_e32 v11, 20, v11
	v_and_b32_e32 v13, 0x80000000, v13
	v_lshl_add_u32 v12, v12, 23, v14
	v_or3_b32 v12, v13, v12, v11
.LBB39_1424:
	s_or_b64 exec, exec, s[6:7]
	s_nop 0
	v_mfma_f32_16x16x4f32 a[0:3], v10, v12, a[0:3]
	s_movk_i32 s4, 0xff
	v_and_b32_sdwa v11, v6, s4 dst_sel:DWORD dst_unused:UNUSED_PAD src0_sel:WORD_1 src1_sel:DWORD
	s_movk_i32 s4, 0x7f
	v_cmp_lt_i16_e32 vcc, s4, v11
	s_mov_b64 s[4:5], 0
                                        ; implicit-def: $sgpr10
	s_and_saveexec_b64 s[6:7], vcc
	s_xor_b64 s[6:7], exec, s[6:7]
	s_cbranch_execnz .LBB39_3473
; %bb.1425:
	s_or_saveexec_b64 s[6:7], s[6:7]
	v_mov_b32_e32 v10, s10
	s_xor_b64 exec, exec, s[6:7]
	s_cbranch_execnz .LBB39_3476
.LBB39_1426:
	s_or_b64 exec, exec, s[6:7]
	s_and_saveexec_b64 s[6:7], s[4:5]
	s_cbranch_execz .LBB39_1428
.LBB39_1427:
	v_bfe_u32 v10, v6, 16, 3
	v_ffbh_u32_e32 v13, v10
	v_min_u32_e32 v13, 32, v13
	v_lshrrev_b32_e32 v11, 19, v6
	v_subrev_u32_e32 v14, 28, v13
	v_and_b32_e32 v11, 15, v11
	v_lshlrev_b32_sdwa v14, v14, v6 dst_sel:DWORD dst_unused:UNUSED_PAD src0_sel:DWORD src1_sel:WORD_1
	v_bfe_u32 v12, v6, 19, 4
	v_sub_u32_e32 v13, 29, v13
	v_and_b32_e32 v14, 7, v14
	v_cmp_eq_u16_e32 vcc, 0, v11
	v_cndmask_b32_e32 v10, v10, v14, vcc
	v_cndmask_b32_e32 v11, v12, v13, vcc
	v_lshlrev_b32_e32 v12, 8, v6
	v_mov_b32_e32 v13, 0x3b800000
	v_lshlrev_b32_e32 v10, 20, v10
	v_and_b32_e32 v12, 0x80000000, v12
	v_lshl_add_u32 v11, v11, 23, v13
	v_or3_b32 v10, v12, v11, v10
.LBB39_1428:
	s_or_b64 exec, exec, s[6:7]
	s_movk_i32 s4, 0xff
	v_and_b32_sdwa v11, v2, s4 dst_sel:DWORD dst_unused:UNUSED_PAD src0_sel:WORD_1 src1_sel:DWORD
	s_movk_i32 s4, 0x7f
	v_cmp_lt_i16_e32 vcc, s4, v11
	s_mov_b64 s[4:5], 0
                                        ; implicit-def: $sgpr10
	s_and_saveexec_b64 s[6:7], vcc
	s_xor_b64 s[6:7], exec, s[6:7]
	s_cbranch_execnz .LBB39_3477
; %bb.1429:
	s_or_saveexec_b64 s[6:7], s[6:7]
	v_mov_b32_e32 v12, s10
	s_xor_b64 exec, exec, s[6:7]
	s_cbranch_execnz .LBB39_3480
.LBB39_1430:
	s_or_b64 exec, exec, s[6:7]
	s_and_saveexec_b64 s[6:7], s[4:5]
	s_cbranch_execz .LBB39_1432
.LBB39_1431:
	v_bfe_u32 v11, v2, 16, 3
	v_ffbh_u32_e32 v14, v11
	v_min_u32_e32 v14, 32, v14
	v_lshrrev_b32_e32 v12, 19, v2
	v_subrev_u32_e32 v15, 28, v14
	v_and_b32_e32 v12, 15, v12
	v_lshlrev_b32_sdwa v15, v15, v2 dst_sel:DWORD dst_unused:UNUSED_PAD src0_sel:DWORD src1_sel:WORD_1
	v_bfe_u32 v13, v2, 19, 4
	v_sub_u32_e32 v14, 29, v14
	v_and_b32_e32 v15, 7, v15
	v_cmp_eq_u16_e32 vcc, 0, v12
	v_cndmask_b32_e32 v11, v11, v15, vcc
	v_cndmask_b32_e32 v12, v13, v14, vcc
	v_lshlrev_b32_e32 v13, 8, v2
	v_mov_b32_e32 v14, 0x3b800000
	v_lshlrev_b32_e32 v11, 20, v11
	v_and_b32_e32 v13, 0x80000000, v13
	v_lshl_add_u32 v12, v12, 23, v14
	v_or3_b32 v12, v13, v12, v11
.LBB39_1432:
	s_or_b64 exec, exec, s[6:7]
	s_nop 0
	v_mfma_f32_16x16x4f32 a[0:3], v10, v12, a[0:3]
	s_movk_i32 s4, 0x7f
	v_cmp_gt_i16_sdwa s[6:7], v6, s4 src0_sel:BYTE_3 src1_sel:DWORD
	s_mov_b64 s[4:5], 0
                                        ; implicit-def: $sgpr10
	s_and_saveexec_b64 s[8:9], s[6:7]
	s_xor_b64 s[6:7], exec, s[8:9]
	s_cbranch_execnz .LBB39_3481
; %bb.1433:
	s_or_saveexec_b64 s[6:7], s[6:7]
	v_mov_b32_e32 v10, s10
	s_xor_b64 exec, exec, s[6:7]
	s_cbranch_execnz .LBB39_3484
.LBB39_1434:
	s_or_b64 exec, exec, s[6:7]
	s_and_saveexec_b64 s[6:7], s[4:5]
	s_cbranch_execz .LBB39_1436
.LBB39_1435:
	v_bfe_u32 v10, v6, 24, 3
	v_ffbh_u32_e32 v14, v10
	v_min_u32_e32 v14, 32, v14
	v_lshrrev_b32_e32 v12, 27, v6
	v_subrev_u32_e32 v15, 28, v14
	v_and_b32_e32 v11, 0x80000000, v6
	v_and_b32_e32 v12, 15, v12
	v_bfe_u32 v13, v6, 27, 4
	v_lshlrev_b32_sdwa v6, v15, v6 dst_sel:DWORD dst_unused:UNUSED_PAD src0_sel:DWORD src1_sel:BYTE_3
	v_sub_u32_e32 v14, 29, v14
	v_and_b32_e32 v6, 7, v6
	v_cmp_eq_u16_e32 vcc, 0, v12
	v_cndmask_b32_e32 v6, v10, v6, vcc
	v_cndmask_b32_e32 v10, v13, v14, vcc
	v_mov_b32_e32 v12, 0x3b800000
	v_lshlrev_b32_e32 v6, 20, v6
	v_lshl_add_u32 v10, v10, 23, v12
	v_or3_b32 v10, v11, v10, v6
.LBB39_1436:
	s_or_b64 exec, exec, s[6:7]
	s_movk_i32 s4, 0x7f
	v_cmp_gt_i16_sdwa s[6:7], v2, s4 src0_sel:BYTE_3 src1_sel:DWORD
	s_mov_b64 s[4:5], 0
                                        ; implicit-def: $sgpr10
	s_and_saveexec_b64 s[8:9], s[6:7]
	s_xor_b64 s[6:7], exec, s[8:9]
	s_cbranch_execnz .LBB39_3485
; %bb.1437:
	s_or_saveexec_b64 s[6:7], s[6:7]
	v_mov_b32_e32 v6, s10
	s_xor_b64 exec, exec, s[6:7]
	s_cbranch_execnz .LBB39_3488
.LBB39_1438:
	s_or_b64 exec, exec, s[6:7]
	s_and_saveexec_b64 s[6:7], s[4:5]
	s_cbranch_execz .LBB39_1440
.LBB39_1439:
	v_bfe_u32 v6, v2, 24, 3
	v_ffbh_u32_e32 v14, v6
	v_min_u32_e32 v14, 32, v14
	v_lshrrev_b32_e32 v12, 27, v2
	v_subrev_u32_e32 v15, 28, v14
	v_and_b32_e32 v11, 0x80000000, v2
	v_and_b32_e32 v12, 15, v12
	v_bfe_u32 v13, v2, 27, 4
	v_lshlrev_b32_sdwa v2, v15, v2 dst_sel:DWORD dst_unused:UNUSED_PAD src0_sel:DWORD src1_sel:BYTE_3
	v_sub_u32_e32 v14, 29, v14
	v_and_b32_e32 v2, 7, v2
	v_cmp_eq_u16_e32 vcc, 0, v12
	v_cndmask_b32_e32 v2, v6, v2, vcc
	v_cndmask_b32_e32 v6, v13, v14, vcc
	v_mov_b32_e32 v12, 0x3b800000
	v_lshlrev_b32_e32 v2, 20, v2
	v_lshl_add_u32 v6, v6, 23, v12
	v_or3_b32 v6, v11, v6, v2
.LBB39_1440:
	s_or_b64 exec, exec, s[6:7]
	s_nop 0
	v_mfma_f32_16x16x4f32 a[0:3], v10, v6, a[0:3]
	s_movk_i32 s4, 0x7f
	v_cmp_gt_i16_sdwa s[6:7], v7, s4 src0_sel:BYTE_0 src1_sel:DWORD
	s_mov_b64 s[4:5], 0
                                        ; implicit-def: $sgpr10
	s_and_saveexec_b64 s[8:9], s[6:7]
	s_xor_b64 s[6:7], exec, s[8:9]
	s_cbranch_execnz .LBB39_3489
; %bb.1441:
	s_or_saveexec_b64 s[6:7], s[6:7]
	v_mov_b32_e32 v2, s10
	s_xor_b64 exec, exec, s[6:7]
	s_cbranch_execnz .LBB39_3492
.LBB39_1442:
	s_or_b64 exec, exec, s[6:7]
	s_and_saveexec_b64 s[6:7], s[4:5]
	s_cbranch_execz .LBB39_1444
.LBB39_1443:
	v_and_b32_e32 v2, 7, v7
	v_ffbh_u32_e32 v10, v2
	v_min_u32_e32 v10, 32, v10
	v_lshrrev_b16_e32 v6, 3, v7
	v_subrev_u32_e32 v11, 28, v10
	v_and_b32_e32 v6, 15, v6
	v_lshlrev_b32_e32 v11, v11, v7
	v_sub_u32_e32 v10, 29, v10
	v_and_b32_e32 v11, 7, v11
	v_cmp_eq_u16_e32 vcc, 0, v6
	v_cndmask_b32_e32 v2, v2, v11, vcc
	v_cndmask_b32_e32 v6, v6, v10, vcc
	v_lshlrev_b32_e32 v10, 24, v7
	v_mov_b32_e32 v11, 0x3b800000
	v_lshlrev_b32_e32 v2, 20, v2
	v_and_b32_e32 v10, 0x80000000, v10
	v_lshl_add_u32 v6, v6, 23, v11
	v_or3_b32 v2, v10, v6, v2
.LBB39_1444:
	s_or_b64 exec, exec, s[6:7]
	s_movk_i32 s4, 0x7f
	v_cmp_gt_i16_sdwa s[6:7], v3, s4 src0_sel:BYTE_0 src1_sel:DWORD
	s_mov_b64 s[4:5], 0
                                        ; implicit-def: $sgpr10
	s_and_saveexec_b64 s[8:9], s[6:7]
	s_xor_b64 s[6:7], exec, s[8:9]
	s_cbranch_execnz .LBB39_3493
; %bb.1445:
	s_or_saveexec_b64 s[6:7], s[6:7]
	v_mov_b32_e32 v6, s10
	s_xor_b64 exec, exec, s[6:7]
	s_cbranch_execnz .LBB39_3496
.LBB39_1446:
	s_or_b64 exec, exec, s[6:7]
	s_and_saveexec_b64 s[6:7], s[4:5]
	s_cbranch_execz .LBB39_1448
.LBB39_1447:
	v_and_b32_e32 v6, 7, v3
	v_ffbh_u32_e32 v11, v6
	v_min_u32_e32 v11, 32, v11
	v_lshrrev_b16_e32 v10, 3, v3
	v_subrev_u32_e32 v12, 28, v11
	v_and_b32_e32 v10, 15, v10
	v_lshlrev_b32_e32 v12, v12, v3
	v_sub_u32_e32 v11, 29, v11
	v_and_b32_e32 v12, 7, v12
	v_cmp_eq_u16_e32 vcc, 0, v10
	v_cndmask_b32_e32 v6, v6, v12, vcc
	v_cndmask_b32_e32 v10, v10, v11, vcc
	v_lshlrev_b32_e32 v11, 24, v3
	v_mov_b32_e32 v12, 0x3b800000
	v_lshlrev_b32_e32 v6, 20, v6
	v_and_b32_e32 v11, 0x80000000, v11
	v_lshl_add_u32 v10, v10, 23, v12
	v_or3_b32 v6, v11, v10, v6
.LBB39_1448:
	s_or_b64 exec, exec, s[6:7]
	s_nop 0
	v_mfma_f32_16x16x4f32 a[0:3], v2, v6, a[0:3]
	v_lshrrev_b32_e32 v6, 8, v7
	s_movk_i32 s4, 0x7f
	v_cmp_gt_i16_sdwa s[6:7], v6, s4 src0_sel:BYTE_0 src1_sel:DWORD
	s_mov_b64 s[4:5], 0
                                        ; implicit-def: $sgpr10
	s_and_saveexec_b64 s[8:9], s[6:7]
	s_xor_b64 s[6:7], exec, s[8:9]
	s_cbranch_execnz .LBB39_3497
; %bb.1449:
	s_or_saveexec_b64 s[6:7], s[6:7]
	v_mov_b32_e32 v2, s10
	s_xor_b64 exec, exec, s[6:7]
	s_cbranch_execnz .LBB39_3500
.LBB39_1450:
	s_or_b64 exec, exec, s[6:7]
	s_and_saveexec_b64 s[6:7], s[4:5]
	s_cbranch_execz .LBB39_1452
.LBB39_1451:
	v_bfe_u32 v2, v7, 8, 3
	v_ffbh_u32_e32 v11, v2
	v_min_u32_e32 v11, 32, v11
	v_lshrrev_b16_e32 v10, 3, v6
	v_subrev_u32_e32 v12, 28, v11
	v_and_b32_e32 v10, 15, v10
	v_lshlrev_b32_e32 v6, v12, v6
	v_sub_u32_e32 v11, 29, v11
	v_and_b32_e32 v6, 7, v6
	v_cmp_eq_u16_e32 vcc, 0, v10
	v_cndmask_b32_e32 v2, v2, v6, vcc
	v_cndmask_b32_e32 v6, v10, v11, vcc
	v_lshlrev_b32_e32 v10, 16, v7
	v_mov_b32_e32 v11, 0x3b800000
	v_lshlrev_b32_e32 v2, 20, v2
	v_and_b32_e32 v10, 0x80000000, v10
	v_lshl_add_u32 v6, v6, 23, v11
	v_or3_b32 v2, v10, v6, v2
.LBB39_1452:
	s_or_b64 exec, exec, s[6:7]
	v_lshrrev_b32_e32 v6, 8, v3
	s_movk_i32 s4, 0x7f
	v_cmp_gt_i16_sdwa s[6:7], v6, s4 src0_sel:BYTE_0 src1_sel:DWORD
	s_mov_b64 s[4:5], 0
                                        ; implicit-def: $sgpr10
	s_and_saveexec_b64 s[8:9], s[6:7]
	s_xor_b64 s[6:7], exec, s[8:9]
	s_cbranch_execnz .LBB39_3501
; %bb.1453:
	s_or_saveexec_b64 s[6:7], s[6:7]
	v_mov_b32_e32 v10, s10
	s_xor_b64 exec, exec, s[6:7]
	s_cbranch_execnz .LBB39_3504
.LBB39_1454:
	s_or_b64 exec, exec, s[6:7]
	s_and_saveexec_b64 s[6:7], s[4:5]
	s_cbranch_execz .LBB39_1456
.LBB39_1455:
	v_bfe_u32 v10, v3, 8, 3
	v_ffbh_u32_e32 v12, v10
	v_min_u32_e32 v12, 32, v12
	v_lshrrev_b16_e32 v11, 3, v6
	v_subrev_u32_e32 v13, 28, v12
	v_and_b32_e32 v11, 15, v11
	v_lshlrev_b32_e32 v6, v13, v6
	v_sub_u32_e32 v12, 29, v12
	v_and_b32_e32 v6, 7, v6
	v_cmp_eq_u16_e32 vcc, 0, v11
	v_cndmask_b32_e32 v6, v10, v6, vcc
	v_cndmask_b32_e32 v10, v11, v12, vcc
	v_lshlrev_b32_e32 v11, 16, v3
	v_mov_b32_e32 v12, 0x3b800000
	v_lshlrev_b32_e32 v6, 20, v6
	v_and_b32_e32 v11, 0x80000000, v11
	v_lshl_add_u32 v10, v10, 23, v12
	v_or3_b32 v10, v11, v10, v6
.LBB39_1456:
	s_or_b64 exec, exec, s[6:7]
	s_nop 0
	v_mfma_f32_16x16x4f32 a[0:3], v2, v10, a[0:3]
	s_movk_i32 s4, 0xff
	v_and_b32_sdwa v6, v7, s4 dst_sel:DWORD dst_unused:UNUSED_PAD src0_sel:WORD_1 src1_sel:DWORD
	s_movk_i32 s4, 0x7f
	v_cmp_lt_i16_e32 vcc, s4, v6
	s_mov_b64 s[4:5], 0
                                        ; implicit-def: $sgpr10
	s_and_saveexec_b64 s[6:7], vcc
	s_xor_b64 s[6:7], exec, s[6:7]
	s_cbranch_execnz .LBB39_3505
; %bb.1457:
	s_or_saveexec_b64 s[6:7], s[6:7]
	v_mov_b32_e32 v2, s10
	s_xor_b64 exec, exec, s[6:7]
	s_cbranch_execnz .LBB39_3508
.LBB39_1458:
	s_or_b64 exec, exec, s[6:7]
	s_and_saveexec_b64 s[6:7], s[4:5]
	s_cbranch_execz .LBB39_1460
.LBB39_1459:
	v_bfe_u32 v2, v7, 16, 3
	v_ffbh_u32_e32 v11, v2
	v_min_u32_e32 v11, 32, v11
	v_lshrrev_b32_e32 v6, 19, v7
	v_subrev_u32_e32 v12, 28, v11
	v_and_b32_e32 v6, 15, v6
	v_lshlrev_b32_sdwa v12, v12, v7 dst_sel:DWORD dst_unused:UNUSED_PAD src0_sel:DWORD src1_sel:WORD_1
	v_bfe_u32 v10, v7, 19, 4
	v_sub_u32_e32 v11, 29, v11
	v_and_b32_e32 v12, 7, v12
	v_cmp_eq_u16_e32 vcc, 0, v6
	v_cndmask_b32_e32 v2, v2, v12, vcc
	v_cndmask_b32_e32 v6, v10, v11, vcc
	v_lshlrev_b32_e32 v10, 8, v7
	v_mov_b32_e32 v11, 0x3b800000
	v_lshlrev_b32_e32 v2, 20, v2
	v_and_b32_e32 v10, 0x80000000, v10
	v_lshl_add_u32 v6, v6, 23, v11
	v_or3_b32 v2, v10, v6, v2
.LBB39_1460:
	s_or_b64 exec, exec, s[6:7]
	s_movk_i32 s4, 0xff
	v_and_b32_sdwa v6, v3, s4 dst_sel:DWORD dst_unused:UNUSED_PAD src0_sel:WORD_1 src1_sel:DWORD
	s_movk_i32 s4, 0x7f
	v_cmp_lt_i16_e32 vcc, s4, v6
	s_mov_b64 s[4:5], 0
                                        ; implicit-def: $sgpr10
	s_and_saveexec_b64 s[6:7], vcc
	s_xor_b64 s[6:7], exec, s[6:7]
	s_cbranch_execnz .LBB39_3509
; %bb.1461:
	s_or_saveexec_b64 s[6:7], s[6:7]
	v_mov_b32_e32 v10, s10
	s_xor_b64 exec, exec, s[6:7]
	s_cbranch_execnz .LBB39_3512
.LBB39_1462:
	s_or_b64 exec, exec, s[6:7]
	s_and_saveexec_b64 s[6:7], s[4:5]
	s_cbranch_execz .LBB39_1464
.LBB39_1463:
	v_bfe_u32 v6, v3, 16, 3
	v_ffbh_u32_e32 v12, v6
	v_min_u32_e32 v12, 32, v12
	v_lshrrev_b32_e32 v10, 19, v3
	v_subrev_u32_e32 v13, 28, v12
	v_and_b32_e32 v10, 15, v10
	v_lshlrev_b32_sdwa v13, v13, v3 dst_sel:DWORD dst_unused:UNUSED_PAD src0_sel:DWORD src1_sel:WORD_1
	v_bfe_u32 v11, v3, 19, 4
	v_sub_u32_e32 v12, 29, v12
	v_and_b32_e32 v13, 7, v13
	v_cmp_eq_u16_e32 vcc, 0, v10
	v_cndmask_b32_e32 v6, v6, v13, vcc
	v_cndmask_b32_e32 v10, v11, v12, vcc
	v_lshlrev_b32_e32 v11, 8, v3
	v_mov_b32_e32 v12, 0x3b800000
	v_lshlrev_b32_e32 v6, 20, v6
	v_and_b32_e32 v11, 0x80000000, v11
	v_lshl_add_u32 v10, v10, 23, v12
	v_or3_b32 v10, v11, v10, v6
.LBB39_1464:
	s_or_b64 exec, exec, s[6:7]
	s_nop 0
	v_mfma_f32_16x16x4f32 a[0:3], v2, v10, a[0:3]
	s_movk_i32 s4, 0x7f
	v_cmp_gt_i16_sdwa s[6:7], v7, s4 src0_sel:BYTE_3 src1_sel:DWORD
	s_mov_b64 s[4:5], 0
                                        ; implicit-def: $sgpr10
	s_and_saveexec_b64 s[8:9], s[6:7]
	s_xor_b64 s[6:7], exec, s[8:9]
	s_cbranch_execnz .LBB39_3513
; %bb.1465:
	s_or_saveexec_b64 s[6:7], s[6:7]
	v_mov_b32_e32 v2, s10
	s_xor_b64 exec, exec, s[6:7]
	s_cbranch_execnz .LBB39_3516
.LBB39_1466:
	s_or_b64 exec, exec, s[6:7]
	s_and_saveexec_b64 s[6:7], s[4:5]
	s_cbranch_execz .LBB39_1468
.LBB39_1467:
	v_bfe_u32 v2, v7, 24, 3
	v_ffbh_u32_e32 v12, v2
	v_min_u32_e32 v12, 32, v12
	v_lshrrev_b32_e32 v10, 27, v7
	v_subrev_u32_e32 v13, 28, v12
	v_and_b32_e32 v6, 0x80000000, v7
	v_and_b32_e32 v10, 15, v10
	v_bfe_u32 v11, v7, 27, 4
	v_lshlrev_b32_sdwa v7, v13, v7 dst_sel:DWORD dst_unused:UNUSED_PAD src0_sel:DWORD src1_sel:BYTE_3
	v_sub_u32_e32 v12, 29, v12
	v_and_b32_e32 v7, 7, v7
	v_cmp_eq_u16_e32 vcc, 0, v10
	v_cndmask_b32_e32 v2, v2, v7, vcc
	v_cndmask_b32_e32 v7, v11, v12, vcc
	v_mov_b32_e32 v10, 0x3b800000
	v_lshlrev_b32_e32 v2, 20, v2
	v_lshl_add_u32 v7, v7, 23, v10
	v_or3_b32 v2, v6, v7, v2
.LBB39_1468:
	s_or_b64 exec, exec, s[6:7]
	s_movk_i32 s4, 0x7f
	v_cmp_gt_i16_sdwa s[6:7], v3, s4 src0_sel:BYTE_3 src1_sel:DWORD
	s_mov_b64 s[4:5], 0
                                        ; implicit-def: $sgpr10
	s_and_saveexec_b64 s[8:9], s[6:7]
	s_xor_b64 s[6:7], exec, s[8:9]
	s_cbranch_execnz .LBB39_3517
; %bb.1469:
	s_or_saveexec_b64 s[6:7], s[6:7]
	v_mov_b32_e32 v6, s10
	s_xor_b64 exec, exec, s[6:7]
	s_cbranch_execnz .LBB39_3520
.LBB39_1470:
	s_or_b64 exec, exec, s[6:7]
	s_and_saveexec_b64 s[6:7], s[4:5]
	s_cbranch_execz .LBB39_1472
.LBB39_1471:
	v_bfe_u32 v6, v3, 24, 3
	v_ffbh_u32_e32 v12, v6
	v_min_u32_e32 v12, 32, v12
	v_lshrrev_b32_e32 v10, 27, v3
	v_subrev_u32_e32 v13, 28, v12
	v_and_b32_e32 v7, 0x80000000, v3
	v_and_b32_e32 v10, 15, v10
	v_bfe_u32 v11, v3, 27, 4
	v_lshlrev_b32_sdwa v3, v13, v3 dst_sel:DWORD dst_unused:UNUSED_PAD src0_sel:DWORD src1_sel:BYTE_3
	v_sub_u32_e32 v12, 29, v12
	v_and_b32_e32 v3, 7, v3
	v_cmp_eq_u16_e32 vcc, 0, v10
	v_cndmask_b32_e32 v3, v6, v3, vcc
	v_cndmask_b32_e32 v6, v11, v12, vcc
	v_mov_b32_e32 v10, 0x3b800000
	v_lshlrev_b32_e32 v3, 20, v3
	v_lshl_add_u32 v6, v6, 23, v10
	v_or3_b32 v6, v7, v6, v3
.LBB39_1472:
	s_or_b64 exec, exec, s[6:7]
	s_nop 0
	v_mfma_f32_16x16x4f32 a[0:3], v2, v6, a[0:3]
	s_movk_i32 s4, 0x7f
	v_cmp_gt_i16_sdwa s[6:7], v8, s4 src0_sel:BYTE_0 src1_sel:DWORD
	s_mov_b64 s[4:5], 0
                                        ; implicit-def: $sgpr10
	s_and_saveexec_b64 s[8:9], s[6:7]
	s_xor_b64 s[6:7], exec, s[8:9]
	s_cbranch_execnz .LBB39_3521
; %bb.1473:
	s_or_saveexec_b64 s[6:7], s[6:7]
	v_mov_b32_e32 v2, s10
	s_xor_b64 exec, exec, s[6:7]
	s_cbranch_execnz .LBB39_3524
.LBB39_1474:
	s_or_b64 exec, exec, s[6:7]
	s_and_saveexec_b64 s[6:7], s[4:5]
	s_cbranch_execz .LBB39_1476
.LBB39_1475:
	v_and_b32_e32 v2, 7, v8
	v_ffbh_u32_e32 v6, v2
	v_min_u32_e32 v6, 32, v6
	v_lshrrev_b16_e32 v3, 3, v8
	v_subrev_u32_e32 v7, 28, v6
	v_and_b32_e32 v3, 15, v3
	v_lshlrev_b32_e32 v7, v7, v8
	v_sub_u32_e32 v6, 29, v6
	v_and_b32_e32 v7, 7, v7
	v_cmp_eq_u16_e32 vcc, 0, v3
	v_cndmask_b32_e32 v2, v2, v7, vcc
	v_cndmask_b32_e32 v3, v3, v6, vcc
	v_lshlrev_b32_e32 v6, 24, v8
	v_mov_b32_e32 v7, 0x3b800000
	v_lshlrev_b32_e32 v2, 20, v2
	v_and_b32_e32 v6, 0x80000000, v6
	v_lshl_add_u32 v3, v3, 23, v7
	v_or3_b32 v2, v6, v3, v2
.LBB39_1476:
	s_or_b64 exec, exec, s[6:7]
	s_movk_i32 s4, 0x7f
	v_cmp_gt_i16_sdwa s[6:7], v4, s4 src0_sel:BYTE_0 src1_sel:DWORD
	s_mov_b64 s[4:5], 0
                                        ; implicit-def: $sgpr10
	s_and_saveexec_b64 s[8:9], s[6:7]
	s_xor_b64 s[6:7], exec, s[8:9]
	s_cbranch_execnz .LBB39_3525
; %bb.1477:
	s_or_saveexec_b64 s[6:7], s[6:7]
	v_mov_b32_e32 v3, s10
	s_xor_b64 exec, exec, s[6:7]
	s_cbranch_execnz .LBB39_3528
.LBB39_1478:
	s_or_b64 exec, exec, s[6:7]
	s_and_saveexec_b64 s[6:7], s[4:5]
	s_cbranch_execz .LBB39_1480
.LBB39_1479:
	v_and_b32_e32 v3, 7, v4
	v_ffbh_u32_e32 v7, v3
	v_min_u32_e32 v7, 32, v7
	v_lshrrev_b16_e32 v6, 3, v4
	v_subrev_u32_e32 v10, 28, v7
	v_and_b32_e32 v6, 15, v6
	v_lshlrev_b32_e32 v10, v10, v4
	v_sub_u32_e32 v7, 29, v7
	v_and_b32_e32 v10, 7, v10
	v_cmp_eq_u16_e32 vcc, 0, v6
	v_cndmask_b32_e32 v3, v3, v10, vcc
	v_cndmask_b32_e32 v6, v6, v7, vcc
	v_lshlrev_b32_e32 v7, 24, v4
	v_mov_b32_e32 v10, 0x3b800000
	v_lshlrev_b32_e32 v3, 20, v3
	v_and_b32_e32 v7, 0x80000000, v7
	v_lshl_add_u32 v6, v6, 23, v10
	v_or3_b32 v3, v7, v6, v3
.LBB39_1480:
	s_or_b64 exec, exec, s[6:7]
	s_nop 0
	v_mfma_f32_16x16x4f32 a[0:3], v2, v3, a[0:3]
	v_lshrrev_b32_e32 v3, 8, v8
	s_movk_i32 s4, 0x7f
	v_cmp_gt_i16_sdwa s[6:7], v3, s4 src0_sel:BYTE_0 src1_sel:DWORD
	s_mov_b64 s[4:5], 0
                                        ; implicit-def: $sgpr10
	s_and_saveexec_b64 s[8:9], s[6:7]
	s_xor_b64 s[6:7], exec, s[8:9]
	s_cbranch_execnz .LBB39_3529
; %bb.1481:
	s_or_saveexec_b64 s[6:7], s[6:7]
	v_mov_b32_e32 v2, s10
	s_xor_b64 exec, exec, s[6:7]
	s_cbranch_execnz .LBB39_3532
.LBB39_1482:
	s_or_b64 exec, exec, s[6:7]
	s_and_saveexec_b64 s[6:7], s[4:5]
	s_cbranch_execz .LBB39_1484
.LBB39_1483:
	v_bfe_u32 v2, v8, 8, 3
	v_ffbh_u32_e32 v7, v2
	v_min_u32_e32 v7, 32, v7
	v_lshrrev_b16_e32 v6, 3, v3
	v_subrev_u32_e32 v10, 28, v7
	v_and_b32_e32 v6, 15, v6
	v_lshlrev_b32_e32 v3, v10, v3
	v_sub_u32_e32 v7, 29, v7
	v_and_b32_e32 v3, 7, v3
	v_cmp_eq_u16_e32 vcc, 0, v6
	v_cndmask_b32_e32 v2, v2, v3, vcc
	v_cndmask_b32_e32 v3, v6, v7, vcc
	v_lshlrev_b32_e32 v6, 16, v8
	v_mov_b32_e32 v7, 0x3b800000
	v_lshlrev_b32_e32 v2, 20, v2
	v_and_b32_e32 v6, 0x80000000, v6
	v_lshl_add_u32 v3, v3, 23, v7
	v_or3_b32 v2, v6, v3, v2
.LBB39_1484:
	s_or_b64 exec, exec, s[6:7]
	v_lshrrev_b32_e32 v3, 8, v4
	s_movk_i32 s4, 0x7f
	v_cmp_gt_i16_sdwa s[6:7], v3, s4 src0_sel:BYTE_0 src1_sel:DWORD
	s_mov_b64 s[4:5], 0
                                        ; implicit-def: $sgpr10
	s_and_saveexec_b64 s[8:9], s[6:7]
	s_xor_b64 s[6:7], exec, s[8:9]
	s_cbranch_execnz .LBB39_3533
; %bb.1485:
	s_or_saveexec_b64 s[6:7], s[6:7]
	v_mov_b32_e32 v6, s10
	s_xor_b64 exec, exec, s[6:7]
	s_cbranch_execnz .LBB39_3536
.LBB39_1486:
	s_or_b64 exec, exec, s[6:7]
	s_and_saveexec_b64 s[6:7], s[4:5]
	s_cbranch_execz .LBB39_1488
.LBB39_1487:
	v_bfe_u32 v6, v4, 8, 3
	v_ffbh_u32_e32 v10, v6
	v_min_u32_e32 v10, 32, v10
	v_lshrrev_b16_e32 v7, 3, v3
	v_subrev_u32_e32 v11, 28, v10
	v_and_b32_e32 v7, 15, v7
	v_lshlrev_b32_e32 v3, v11, v3
	v_sub_u32_e32 v10, 29, v10
	v_and_b32_e32 v3, 7, v3
	v_cmp_eq_u16_e32 vcc, 0, v7
	v_cndmask_b32_e32 v3, v6, v3, vcc
	v_cndmask_b32_e32 v6, v7, v10, vcc
	v_lshlrev_b32_e32 v7, 16, v4
	v_mov_b32_e32 v10, 0x3b800000
	v_lshlrev_b32_e32 v3, 20, v3
	v_and_b32_e32 v7, 0x80000000, v7
	v_lshl_add_u32 v6, v6, 23, v10
	v_or3_b32 v6, v7, v6, v3
.LBB39_1488:
	s_or_b64 exec, exec, s[6:7]
	s_nop 0
	v_mfma_f32_16x16x4f32 a[0:3], v2, v6, a[0:3]
	s_movk_i32 s4, 0xff
	v_and_b32_sdwa v3, v8, s4 dst_sel:DWORD dst_unused:UNUSED_PAD src0_sel:WORD_1 src1_sel:DWORD
	s_movk_i32 s4, 0x7f
	v_cmp_lt_i16_e32 vcc, s4, v3
	s_mov_b64 s[4:5], 0
                                        ; implicit-def: $sgpr10
	s_and_saveexec_b64 s[6:7], vcc
	s_xor_b64 s[6:7], exec, s[6:7]
	s_cbranch_execnz .LBB39_3537
; %bb.1489:
	s_or_saveexec_b64 s[6:7], s[6:7]
	v_mov_b32_e32 v2, s10
	s_xor_b64 exec, exec, s[6:7]
	s_cbranch_execnz .LBB39_3540
.LBB39_1490:
	s_or_b64 exec, exec, s[6:7]
	s_and_saveexec_b64 s[6:7], s[4:5]
	s_cbranch_execz .LBB39_1492
.LBB39_1491:
	v_bfe_u32 v2, v8, 16, 3
	v_ffbh_u32_e32 v7, v2
	v_min_u32_e32 v7, 32, v7
	v_lshrrev_b32_e32 v3, 19, v8
	v_subrev_u32_e32 v10, 28, v7
	v_and_b32_e32 v3, 15, v3
	v_lshlrev_b32_sdwa v10, v10, v8 dst_sel:DWORD dst_unused:UNUSED_PAD src0_sel:DWORD src1_sel:WORD_1
	v_bfe_u32 v6, v8, 19, 4
	v_sub_u32_e32 v7, 29, v7
	v_and_b32_e32 v10, 7, v10
	v_cmp_eq_u16_e32 vcc, 0, v3
	v_cndmask_b32_e32 v2, v2, v10, vcc
	v_cndmask_b32_e32 v3, v6, v7, vcc
	v_lshlrev_b32_e32 v6, 8, v8
	v_mov_b32_e32 v7, 0x3b800000
	v_lshlrev_b32_e32 v2, 20, v2
	v_and_b32_e32 v6, 0x80000000, v6
	v_lshl_add_u32 v3, v3, 23, v7
	v_or3_b32 v2, v6, v3, v2
.LBB39_1492:
	s_or_b64 exec, exec, s[6:7]
	s_movk_i32 s4, 0xff
	v_and_b32_sdwa v3, v4, s4 dst_sel:DWORD dst_unused:UNUSED_PAD src0_sel:WORD_1 src1_sel:DWORD
	s_movk_i32 s4, 0x7f
	v_cmp_lt_i16_e32 vcc, s4, v3
	s_mov_b64 s[4:5], 0
                                        ; implicit-def: $sgpr10
	s_and_saveexec_b64 s[6:7], vcc
	s_xor_b64 s[6:7], exec, s[6:7]
	s_cbranch_execnz .LBB39_3541
; %bb.1493:
	s_or_saveexec_b64 s[6:7], s[6:7]
	v_mov_b32_e32 v6, s10
	s_xor_b64 exec, exec, s[6:7]
	s_cbranch_execnz .LBB39_3544
.LBB39_1494:
	s_or_b64 exec, exec, s[6:7]
	s_and_saveexec_b64 s[6:7], s[4:5]
	s_cbranch_execz .LBB39_1496
.LBB39_1495:
	v_bfe_u32 v3, v4, 16, 3
	v_ffbh_u32_e32 v10, v3
	v_min_u32_e32 v10, 32, v10
	v_lshrrev_b32_e32 v6, 19, v4
	v_subrev_u32_e32 v11, 28, v10
	v_and_b32_e32 v6, 15, v6
	v_lshlrev_b32_sdwa v11, v11, v4 dst_sel:DWORD dst_unused:UNUSED_PAD src0_sel:DWORD src1_sel:WORD_1
	v_bfe_u32 v7, v4, 19, 4
	v_sub_u32_e32 v10, 29, v10
	v_and_b32_e32 v11, 7, v11
	v_cmp_eq_u16_e32 vcc, 0, v6
	v_cndmask_b32_e32 v3, v3, v11, vcc
	v_cndmask_b32_e32 v6, v7, v10, vcc
	v_lshlrev_b32_e32 v7, 8, v4
	v_mov_b32_e32 v10, 0x3b800000
	v_lshlrev_b32_e32 v3, 20, v3
	v_and_b32_e32 v7, 0x80000000, v7
	v_lshl_add_u32 v6, v6, 23, v10
	v_or3_b32 v6, v7, v6, v3
.LBB39_1496:
	s_or_b64 exec, exec, s[6:7]
	s_nop 0
	v_mfma_f32_16x16x4f32 a[0:3], v2, v6, a[0:3]
	s_movk_i32 s4, 0x7f
	v_cmp_gt_i16_sdwa s[6:7], v8, s4 src0_sel:BYTE_3 src1_sel:DWORD
	s_mov_b64 s[4:5], 0
                                        ; implicit-def: $sgpr10
	s_and_saveexec_b64 s[8:9], s[6:7]
	s_xor_b64 s[6:7], exec, s[8:9]
	s_cbranch_execnz .LBB39_3545
; %bb.1497:
	s_or_saveexec_b64 s[6:7], s[6:7]
	v_mov_b32_e32 v2, s10
	s_xor_b64 exec, exec, s[6:7]
	s_cbranch_execnz .LBB39_3548
.LBB39_1498:
	s_or_b64 exec, exec, s[6:7]
	s_and_saveexec_b64 s[6:7], s[4:5]
	s_cbranch_execz .LBB39_1500
.LBB39_1499:
	v_bfe_u32 v2, v8, 24, 3
	v_ffbh_u32_e32 v10, v2
	v_min_u32_e32 v10, 32, v10
	v_lshrrev_b32_e32 v6, 27, v8
	v_subrev_u32_e32 v11, 28, v10
	v_and_b32_e32 v3, 0x80000000, v8
	v_and_b32_e32 v6, 15, v6
	v_bfe_u32 v7, v8, 27, 4
	v_lshlrev_b32_sdwa v8, v11, v8 dst_sel:DWORD dst_unused:UNUSED_PAD src0_sel:DWORD src1_sel:BYTE_3
	v_sub_u32_e32 v10, 29, v10
	v_and_b32_e32 v8, 7, v8
	v_cmp_eq_u16_e32 vcc, 0, v6
	v_cndmask_b32_e32 v2, v2, v8, vcc
	v_cndmask_b32_e32 v6, v7, v10, vcc
	v_mov_b32_e32 v7, 0x3b800000
	v_lshlrev_b32_e32 v2, 20, v2
	v_lshl_add_u32 v6, v6, 23, v7
	v_or3_b32 v2, v3, v6, v2
.LBB39_1500:
	s_or_b64 exec, exec, s[6:7]
	s_movk_i32 s4, 0x7f
	v_cmp_gt_i16_sdwa s[6:7], v4, s4 src0_sel:BYTE_3 src1_sel:DWORD
	s_mov_b64 s[4:5], 0
                                        ; implicit-def: $sgpr10
	s_and_saveexec_b64 s[8:9], s[6:7]
	s_xor_b64 s[6:7], exec, s[8:9]
	s_cbranch_execnz .LBB39_3549
; %bb.1501:
	s_or_saveexec_b64 s[6:7], s[6:7]
	v_mov_b32_e32 v3, s10
	s_xor_b64 exec, exec, s[6:7]
	s_cbranch_execnz .LBB39_3552
.LBB39_1502:
	s_or_b64 exec, exec, s[6:7]
	s_and_saveexec_b64 s[6:7], s[4:5]
	s_cbranch_execz .LBB39_1504
.LBB39_1503:
	v_bfe_u32 v3, v4, 24, 3
	v_ffbh_u32_e32 v10, v3
	v_min_u32_e32 v10, 32, v10
	v_lshrrev_b32_e32 v7, 27, v4
	v_subrev_u32_e32 v11, 28, v10
	v_and_b32_e32 v6, 0x80000000, v4
	v_and_b32_e32 v7, 15, v7
	v_bfe_u32 v8, v4, 27, 4
	v_lshlrev_b32_sdwa v4, v11, v4 dst_sel:DWORD dst_unused:UNUSED_PAD src0_sel:DWORD src1_sel:BYTE_3
	v_sub_u32_e32 v10, 29, v10
	v_and_b32_e32 v4, 7, v4
	v_cmp_eq_u16_e32 vcc, 0, v7
	v_cndmask_b32_e32 v3, v3, v4, vcc
	v_cndmask_b32_e32 v4, v8, v10, vcc
	v_mov_b32_e32 v7, 0x3b800000
	v_lshlrev_b32_e32 v3, 20, v3
	v_lshl_add_u32 v4, v4, 23, v7
	v_or3_b32 v3, v6, v4, v3
.LBB39_1504:
	s_or_b64 exec, exec, s[6:7]
	s_nop 0
	v_mfma_f32_16x16x4f32 a[0:3], v2, v3, a[0:3]
	s_movk_i32 s4, 0x7f
	v_cmp_gt_i16_sdwa s[6:7], v9, s4 src0_sel:BYTE_0 src1_sel:DWORD
	s_mov_b64 s[4:5], 0
                                        ; implicit-def: $sgpr10
	s_and_saveexec_b64 s[8:9], s[6:7]
	s_xor_b64 s[6:7], exec, s[8:9]
	s_cbranch_execnz .LBB39_3553
; %bb.1505:
	s_or_saveexec_b64 s[6:7], s[6:7]
	v_mov_b32_e32 v2, s10
	s_xor_b64 exec, exec, s[6:7]
	s_cbranch_execnz .LBB39_3556
.LBB39_1506:
	s_or_b64 exec, exec, s[6:7]
	s_and_saveexec_b64 s[6:7], s[4:5]
	s_cbranch_execz .LBB39_1508
.LBB39_1507:
	v_mov_b32_e32 v2, 8
	v_and_b32_e32 v3, 7, v9
	v_lshrrev_b32_sdwa v2, v2, v9 dst_sel:BYTE_1 dst_unused:UNUSED_PAD src0_sel:DWORD src1_sel:DWORD
	v_ffbh_u32_e32 v4, v3
	v_or_b32_sdwa v2, v9, v2 dst_sel:DWORD dst_unused:UNUSED_PAD src0_sel:BYTE_0 src1_sel:DWORD
	v_min_u32_e32 v4, 32, v4
	v_lshrrev_b16_e32 v2, 3, v2
	v_subrev_u32_e32 v6, 28, v4
	v_and_b32_e32 v2, 15, v2
	v_lshlrev_b32_e32 v6, v6, v9
	v_sub_u32_e32 v4, 29, v4
	v_and_b32_e32 v6, 7, v6
	v_cmp_eq_u16_e32 vcc, 0, v2
	v_cndmask_b32_e32 v3, v3, v6, vcc
	v_cndmask_b32_e32 v2, v2, v4, vcc
	v_lshlrev_b32_e32 v4, 24, v9
	v_mov_b32_e32 v6, 0x3b800000
	v_lshlrev_b32_e32 v3, 20, v3
	v_and_b32_e32 v4, 0x80000000, v4
	v_lshl_add_u32 v2, v2, 23, v6
	v_or3_b32 v2, v4, v2, v3
.LBB39_1508:
	s_or_b64 exec, exec, s[6:7]
	s_movk_i32 s4, 0x7f
	v_cmp_gt_i16_sdwa s[6:7], v5, s4 src0_sel:BYTE_0 src1_sel:DWORD
	s_mov_b64 s[4:5], 0
                                        ; implicit-def: $sgpr10
	s_and_saveexec_b64 s[8:9], s[6:7]
	s_xor_b64 s[6:7], exec, s[8:9]
	s_cbranch_execnz .LBB39_3557
; %bb.1509:
	s_or_saveexec_b64 s[6:7], s[6:7]
	v_mov_b32_e32 v3, s10
	s_xor_b64 exec, exec, s[6:7]
	s_cbranch_execnz .LBB39_3560
.LBB39_1510:
	s_or_b64 exec, exec, s[6:7]
	s_and_saveexec_b64 s[6:7], s[4:5]
	s_cbranch_execz .LBB39_1512
.LBB39_1511:
	v_mov_b32_e32 v3, 8
	v_and_b32_e32 v4, 7, v5
	v_lshrrev_b32_sdwa v3, v3, v5 dst_sel:BYTE_1 dst_unused:UNUSED_PAD src0_sel:DWORD src1_sel:DWORD
	v_ffbh_u32_e32 v6, v4
	v_or_b32_sdwa v3, v5, v3 dst_sel:DWORD dst_unused:UNUSED_PAD src0_sel:BYTE_0 src1_sel:DWORD
	v_min_u32_e32 v6, 32, v6
	v_lshrrev_b16_e32 v3, 3, v3
	v_subrev_u32_e32 v7, 28, v6
	v_and_b32_e32 v3, 15, v3
	v_lshlrev_b32_e32 v7, v7, v5
	v_sub_u32_e32 v6, 29, v6
	v_and_b32_e32 v7, 7, v7
	v_cmp_eq_u16_e32 vcc, 0, v3
	v_cndmask_b32_e32 v4, v4, v7, vcc
	v_cndmask_b32_e32 v3, v3, v6, vcc
	v_lshlrev_b32_e32 v6, 24, v5
	v_mov_b32_e32 v7, 0x3b800000
	v_lshlrev_b32_e32 v4, 20, v4
	v_and_b32_e32 v6, 0x80000000, v6
	v_lshl_add_u32 v3, v3, 23, v7
	v_or3_b32 v3, v6, v3, v4
.LBB39_1512:
	s_or_b64 exec, exec, s[6:7]
	s_nop 0
	v_mfma_f32_16x16x4f32 a[0:3], v2, v3, a[0:3]
	v_lshrrev_b32_e32 v3, 8, v9
	s_movk_i32 s4, 0x7f
	v_cmp_gt_i16_sdwa s[6:7], v3, s4 src0_sel:BYTE_0 src1_sel:DWORD
	s_mov_b64 s[4:5], 0
                                        ; implicit-def: $sgpr10
	s_and_saveexec_b64 s[8:9], s[6:7]
	s_xor_b64 s[6:7], exec, s[8:9]
	s_cbranch_execnz .LBB39_3561
; %bb.1513:
	s_or_saveexec_b64 s[6:7], s[6:7]
	v_mov_b32_e32 v2, s10
	s_xor_b64 exec, exec, s[6:7]
	s_cbranch_execnz .LBB39_3564
.LBB39_1514:
	s_or_b64 exec, exec, s[6:7]
	s_and_saveexec_b64 s[6:7], s[4:5]
	s_cbranch_execz .LBB39_1516
.LBB39_1515:
	v_bfe_u32 v2, v9, 8, 3
	v_ffbh_u32_e32 v6, v2
	v_min_u32_e32 v6, 32, v6
	v_lshrrev_b16_e32 v4, 3, v3
	v_subrev_u32_e32 v7, 28, v6
	v_and_b32_e32 v4, 15, v4
	v_lshlrev_b32_e32 v3, v7, v3
	v_sub_u32_e32 v6, 29, v6
	v_and_b32_e32 v3, 7, v3
	v_cmp_eq_u16_e32 vcc, 0, v4
	v_cndmask_b32_e32 v2, v2, v3, vcc
	v_cndmask_b32_e32 v3, v4, v6, vcc
	v_lshlrev_b32_e32 v4, 16, v9
	v_mov_b32_e32 v6, 0x3b800000
	v_lshlrev_b32_e32 v2, 20, v2
	v_and_b32_e32 v4, 0x80000000, v4
	v_lshl_add_u32 v3, v3, 23, v6
	v_or3_b32 v2, v4, v3, v2
.LBB39_1516:
	s_or_b64 exec, exec, s[6:7]
	v_lshrrev_b32_e32 v3, 8, v5
	s_movk_i32 s4, 0x7f
	v_cmp_gt_i16_sdwa s[6:7], v3, s4 src0_sel:BYTE_0 src1_sel:DWORD
	s_mov_b64 s[4:5], 0
                                        ; implicit-def: $sgpr10
	s_and_saveexec_b64 s[8:9], s[6:7]
	s_xor_b64 s[6:7], exec, s[8:9]
	s_cbranch_execnz .LBB39_3565
; %bb.1517:
	s_or_saveexec_b64 s[6:7], s[6:7]
	v_mov_b32_e32 v4, s10
	s_xor_b64 exec, exec, s[6:7]
	s_cbranch_execnz .LBB39_3568
.LBB39_1518:
	s_or_b64 exec, exec, s[6:7]
	s_and_saveexec_b64 s[6:7], s[4:5]
	s_cbranch_execz .LBB39_1520
.LBB39_1519:
	v_bfe_u32 v4, v5, 8, 3
	v_ffbh_u32_e32 v7, v4
	v_min_u32_e32 v7, 32, v7
	v_lshrrev_b16_e32 v6, 3, v3
	v_subrev_u32_e32 v8, 28, v7
	v_and_b32_e32 v6, 15, v6
	v_lshlrev_b32_e32 v3, v8, v3
	v_sub_u32_e32 v7, 29, v7
	v_and_b32_e32 v3, 7, v3
	v_cmp_eq_u16_e32 vcc, 0, v6
	v_cndmask_b32_e32 v3, v4, v3, vcc
	v_cndmask_b32_e32 v4, v6, v7, vcc
	v_lshlrev_b32_e32 v6, 16, v5
	v_mov_b32_e32 v7, 0x3b800000
	v_lshlrev_b32_e32 v3, 20, v3
	v_and_b32_e32 v6, 0x80000000, v6
	v_lshl_add_u32 v4, v4, 23, v7
	v_or3_b32 v4, v6, v4, v3
.LBB39_1520:
	s_or_b64 exec, exec, s[6:7]
	s_nop 0
	v_mfma_f32_16x16x4f32 a[0:3], v2, v4, a[0:3]
	s_movk_i32 s4, 0xff
	v_and_b32_sdwa v3, v9, s4 dst_sel:DWORD dst_unused:UNUSED_PAD src0_sel:WORD_1 src1_sel:DWORD
	s_movk_i32 s4, 0x7f
	v_cmp_lt_i16_e32 vcc, s4, v3
	s_mov_b64 s[4:5], 0
                                        ; implicit-def: $sgpr10
	s_and_saveexec_b64 s[6:7], vcc
	s_xor_b64 s[6:7], exec, s[6:7]
	s_cbranch_execnz .LBB39_3569
; %bb.1521:
	s_or_saveexec_b64 s[6:7], s[6:7]
	v_mov_b32_e32 v2, s10
	s_xor_b64 exec, exec, s[6:7]
	s_cbranch_execnz .LBB39_3572
.LBB39_1522:
	s_or_b64 exec, exec, s[6:7]
	s_and_saveexec_b64 s[6:7], s[4:5]
	s_cbranch_execz .LBB39_1524
.LBB39_1523:
	v_bfe_u32 v2, v9, 16, 3
	v_ffbh_u32_e32 v6, v2
	v_min_u32_e32 v6, 32, v6
	v_lshrrev_b32_e32 v3, 19, v9
	v_subrev_u32_e32 v7, 28, v6
	v_and_b32_e32 v3, 15, v3
	v_lshlrev_b32_sdwa v7, v7, v9 dst_sel:DWORD dst_unused:UNUSED_PAD src0_sel:DWORD src1_sel:WORD_1
	v_bfe_u32 v4, v9, 19, 4
	v_sub_u32_e32 v6, 29, v6
	v_and_b32_e32 v7, 7, v7
	v_cmp_eq_u16_e32 vcc, 0, v3
	v_cndmask_b32_e32 v2, v2, v7, vcc
	v_cndmask_b32_e32 v3, v4, v6, vcc
	v_lshlrev_b32_e32 v4, 8, v9
	v_mov_b32_e32 v6, 0x3b800000
	v_lshlrev_b32_e32 v2, 20, v2
	v_and_b32_e32 v4, 0x80000000, v4
	v_lshl_add_u32 v3, v3, 23, v6
	v_or3_b32 v2, v4, v3, v2
.LBB39_1524:
	s_or_b64 exec, exec, s[6:7]
	s_movk_i32 s4, 0xff
	v_and_b32_sdwa v3, v5, s4 dst_sel:DWORD dst_unused:UNUSED_PAD src0_sel:WORD_1 src1_sel:DWORD
	s_movk_i32 s4, 0x7f
	v_cmp_lt_i16_e32 vcc, s4, v3
	s_mov_b64 s[4:5], 0
                                        ; implicit-def: $sgpr10
	s_and_saveexec_b64 s[6:7], vcc
	s_xor_b64 s[6:7], exec, s[6:7]
	s_cbranch_execnz .LBB39_3573
; %bb.1525:
	s_or_saveexec_b64 s[6:7], s[6:7]
	v_mov_b32_e32 v4, s10
	s_xor_b64 exec, exec, s[6:7]
	s_cbranch_execnz .LBB39_3576
.LBB39_1526:
	s_or_b64 exec, exec, s[6:7]
	s_and_saveexec_b64 s[6:7], s[4:5]
	s_cbranch_execz .LBB39_1528
.LBB39_1527:
	v_bfe_u32 v3, v5, 16, 3
	v_ffbh_u32_e32 v7, v3
	v_min_u32_e32 v7, 32, v7
	v_lshrrev_b32_e32 v4, 19, v5
	v_subrev_u32_e32 v8, 28, v7
	v_and_b32_e32 v4, 15, v4
	v_lshlrev_b32_sdwa v8, v8, v5 dst_sel:DWORD dst_unused:UNUSED_PAD src0_sel:DWORD src1_sel:WORD_1
	v_bfe_u32 v6, v5, 19, 4
	v_sub_u32_e32 v7, 29, v7
	v_and_b32_e32 v8, 7, v8
	v_cmp_eq_u16_e32 vcc, 0, v4
	v_cndmask_b32_e32 v3, v3, v8, vcc
	v_cndmask_b32_e32 v4, v6, v7, vcc
	v_lshlrev_b32_e32 v6, 8, v5
	v_mov_b32_e32 v7, 0x3b800000
	v_lshlrev_b32_e32 v3, 20, v3
	v_and_b32_e32 v6, 0x80000000, v6
	v_lshl_add_u32 v4, v4, 23, v7
	v_or3_b32 v4, v6, v4, v3
.LBB39_1528:
	s_or_b64 exec, exec, s[6:7]
	s_nop 0
	v_mfma_f32_16x16x4f32 a[0:3], v2, v4, a[0:3]
	s_movk_i32 s4, 0x7f
	v_cmp_gt_i16_sdwa s[6:7], v9, s4 src0_sel:BYTE_3 src1_sel:DWORD
	s_mov_b64 s[4:5], 0
                                        ; implicit-def: $sgpr10
	s_and_saveexec_b64 s[8:9], s[6:7]
	s_xor_b64 s[6:7], exec, s[8:9]
	s_cbranch_execnz .LBB39_3577
; %bb.1529:
	s_or_saveexec_b64 s[6:7], s[6:7]
	v_mov_b32_e32 v2, s10
	s_xor_b64 exec, exec, s[6:7]
	s_cbranch_execnz .LBB39_3580
.LBB39_1530:
	s_or_b64 exec, exec, s[6:7]
	s_and_saveexec_b64 s[6:7], s[4:5]
	s_cbranch_execz .LBB39_1532
.LBB39_1531:
	v_bfe_u32 v2, v9, 24, 3
	v_ffbh_u32_e32 v7, v2
	v_min_u32_e32 v7, 32, v7
	v_lshrrev_b32_e32 v4, 27, v9
	v_subrev_u32_e32 v8, 28, v7
	v_and_b32_e32 v4, 15, v4
	v_lshlrev_b32_sdwa v8, v8, v9 dst_sel:DWORD dst_unused:UNUSED_PAD src0_sel:DWORD src1_sel:BYTE_3
	v_bfe_u32 v6, v9, 27, 4
	v_sub_u32_e32 v7, 29, v7
	v_and_b32_e32 v8, 7, v8
	v_cmp_eq_u16_e32 vcc, 0, v4
	v_cndmask_b32_e32 v2, v2, v8, vcc
	v_cndmask_b32_e32 v4, v6, v7, vcc
	v_mov_b32_e32 v6, 0x3b800000
	v_and_b32_e32 v3, 0x80000000, v9
	v_lshlrev_b32_e32 v2, 20, v2
	v_lshl_add_u32 v4, v4, 23, v6
	v_or3_b32 v2, v3, v4, v2
.LBB39_1532:
	s_or_b64 exec, exec, s[6:7]
	s_movk_i32 s4, 0x7f
	v_cmp_gt_i16_sdwa s[6:7], v5, s4 src0_sel:BYTE_3 src1_sel:DWORD
	s_mov_b64 s[4:5], 0
                                        ; implicit-def: $sgpr10
	s_and_saveexec_b64 s[8:9], s[6:7]
	s_xor_b64 s[6:7], exec, s[8:9]
	s_cbranch_execnz .LBB39_3581
; %bb.1533:
	s_or_saveexec_b64 s[6:7], s[6:7]
	v_mov_b32_e32 v3, s10
	s_xor_b64 exec, exec, s[6:7]
	s_cbranch_execnz .LBB39_3584
.LBB39_1534:
	s_or_b64 exec, exec, s[6:7]
	s_and_saveexec_b64 s[6:7], s[4:5]
	s_cbranch_execz .LBB39_1536
.LBB39_1535:
	v_bfe_u32 v3, v5, 24, 3
	v_ffbh_u32_e32 v8, v3
	v_min_u32_e32 v8, 32, v8
	v_lshrrev_b32_e32 v6, 27, v5
	v_subrev_u32_e32 v9, 28, v8
	v_and_b32_e32 v4, 0x80000000, v5
	v_and_b32_e32 v6, 15, v6
	v_bfe_u32 v7, v5, 27, 4
	v_lshlrev_b32_sdwa v5, v9, v5 dst_sel:DWORD dst_unused:UNUSED_PAD src0_sel:DWORD src1_sel:BYTE_3
	v_sub_u32_e32 v8, 29, v8
	v_and_b32_e32 v5, 7, v5
	v_cmp_eq_u16_e32 vcc, 0, v6
	v_cndmask_b32_e32 v3, v3, v5, vcc
	v_cndmask_b32_e32 v5, v7, v8, vcc
	v_mov_b32_e32 v6, 0x3b800000
	v_lshlrev_b32_e32 v3, 20, v3
	v_lshl_add_u32 v5, v5, 23, v6
	v_or3_b32 v3, v4, v5, v3
.LBB39_1536:
	s_or_b64 exec, exec, s[6:7]
	s_nop 0
	v_mfma_f32_16x16x4f32 a[0:3], v2, v3, a[0:3]
	s_movk_i32 s4, 0x7f
                                        ; implicit-def: $sgpr10
	s_nop 7
	s_nop 1
	flat_store_dwordx4 v[18:19], a[0:3] offset:464
	flat_load_dwordx4 v[20:23], v[0:1] offset:16
	s_nop 0
	flat_load_dwordx2 v[18:19], v[0:1] offset:32
	s_waitcnt vmcnt(0) lgkmcnt(0)
	flat_load_dwordx4 v[14:17], v[20:21] offset:32
	flat_load_dwordx4 v[6:9], v[20:21] offset:48
	;; [unrolled: 1-line block ×4, first 2 shown]
	s_waitcnt vmcnt(0) lgkmcnt(0)
	v_cmp_gt_i16_sdwa s[6:7], v14, s4 src0_sel:BYTE_0 src1_sel:DWORD
	s_mov_b64 s[4:5], 0
	s_and_saveexec_b64 s[8:9], s[6:7]
	s_xor_b64 s[6:7], exec, s[8:9]
	s_cbranch_execnz .LBB39_3585
; %bb.1537:
	s_or_saveexec_b64 s[6:7], s[6:7]
	v_mov_b32_e32 v20, s10
	s_xor_b64 exec, exec, s[6:7]
	s_cbranch_execnz .LBB39_3588
.LBB39_1538:
	s_or_b64 exec, exec, s[6:7]
	s_and_saveexec_b64 s[6:7], s[4:5]
	s_cbranch_execz .LBB39_1540
.LBB39_1539:
	v_and_b32_e32 v20, 7, v14
	v_ffbh_u32_e32 v22, v20
	v_min_u32_e32 v22, 32, v22
	v_lshrrev_b16_e32 v21, 3, v14
	v_subrev_u32_e32 v23, 28, v22
	v_and_b32_e32 v21, 15, v21
	v_lshlrev_b32_e32 v23, v23, v14
	v_sub_u32_e32 v22, 29, v22
	v_and_b32_e32 v23, 7, v23
	v_cmp_eq_u16_e32 vcc, 0, v21
	v_cndmask_b32_e32 v20, v20, v23, vcc
	v_cndmask_b32_e32 v21, v21, v22, vcc
	v_lshlrev_b32_e32 v22, 24, v14
	v_mov_b32_e32 v23, 0x3b800000
	v_lshlrev_b32_e32 v20, 20, v20
	v_and_b32_e32 v22, 0x80000000, v22
	v_lshl_add_u32 v21, v21, 23, v23
	v_or3_b32 v20, v22, v21, v20
.LBB39_1540:
	s_or_b64 exec, exec, s[6:7]
	s_movk_i32 s4, 0x7f
	v_cmp_gt_i16_sdwa s[6:7], v10, s4 src0_sel:BYTE_0 src1_sel:DWORD
	s_mov_b64 s[4:5], 0
                                        ; implicit-def: $sgpr10
	s_and_saveexec_b64 s[8:9], s[6:7]
	s_xor_b64 s[6:7], exec, s[8:9]
	s_cbranch_execnz .LBB39_3589
; %bb.1541:
	s_or_saveexec_b64 s[6:7], s[6:7]
	v_mov_b32_e32 v21, s10
	s_xor_b64 exec, exec, s[6:7]
	s_cbranch_execnz .LBB39_3592
.LBB39_1542:
	s_or_b64 exec, exec, s[6:7]
	s_and_saveexec_b64 s[6:7], s[4:5]
	s_cbranch_execz .LBB39_1544
.LBB39_1543:
	v_and_b32_e32 v21, 7, v10
	v_ffbh_u32_e32 v23, v21
	v_min_u32_e32 v23, 32, v23
	v_lshrrev_b16_e32 v22, 3, v10
	v_subrev_u32_e32 v24, 28, v23
	v_and_b32_e32 v22, 15, v22
	v_lshlrev_b32_e32 v24, v24, v10
	v_sub_u32_e32 v23, 29, v23
	v_and_b32_e32 v24, 7, v24
	v_cmp_eq_u16_e32 vcc, 0, v22
	v_cndmask_b32_e32 v21, v21, v24, vcc
	v_cndmask_b32_e32 v22, v22, v23, vcc
	v_lshlrev_b32_e32 v23, 24, v10
	v_mov_b32_e32 v24, 0x3b800000
	v_lshlrev_b32_e32 v21, 20, v21
	v_and_b32_e32 v23, 0x80000000, v23
	v_lshl_add_u32 v22, v22, 23, v24
	v_or3_b32 v21, v23, v22, v21
.LBB39_1544:
	s_or_b64 exec, exec, s[6:7]
	flat_load_dwordx4 a[0:3], v[18:19] offset:480
	s_movk_i32 s4, 0x7f
                                        ; implicit-def: $sgpr10
	s_waitcnt vmcnt(0) lgkmcnt(0)
	v_mfma_f32_16x16x4f32 a[0:3], v20, v21, a[0:3]
	v_lshrrev_b32_e32 v21, 8, v14
	v_cmp_gt_i16_sdwa s[6:7], v21, s4 src0_sel:BYTE_0 src1_sel:DWORD
	s_mov_b64 s[4:5], 0
	s_and_saveexec_b64 s[8:9], s[6:7]
	s_xor_b64 s[6:7], exec, s[8:9]
	s_cbranch_execnz .LBB39_3593
; %bb.1545:
	s_or_saveexec_b64 s[6:7], s[6:7]
	v_mov_b32_e32 v20, s10
	s_xor_b64 exec, exec, s[6:7]
	s_cbranch_execnz .LBB39_3596
.LBB39_1546:
	s_or_b64 exec, exec, s[6:7]
	s_and_saveexec_b64 s[6:7], s[4:5]
	s_cbranch_execz .LBB39_1548
.LBB39_1547:
	v_bfe_u32 v20, v14, 8, 3
	v_ffbh_u32_e32 v23, v20
	v_min_u32_e32 v23, 32, v23
	v_lshrrev_b16_e32 v22, 3, v21
	v_subrev_u32_e32 v24, 28, v23
	v_and_b32_e32 v22, 15, v22
	v_lshlrev_b32_e32 v21, v24, v21
	v_sub_u32_e32 v23, 29, v23
	v_and_b32_e32 v21, 7, v21
	v_cmp_eq_u16_e32 vcc, 0, v22
	v_cndmask_b32_e32 v20, v20, v21, vcc
	v_cndmask_b32_e32 v21, v22, v23, vcc
	v_lshlrev_b32_e32 v22, 16, v14
	v_mov_b32_e32 v23, 0x3b800000
	v_lshlrev_b32_e32 v20, 20, v20
	v_and_b32_e32 v22, 0x80000000, v22
	v_lshl_add_u32 v21, v21, 23, v23
	v_or3_b32 v20, v22, v21, v20
.LBB39_1548:
	s_or_b64 exec, exec, s[6:7]
	v_lshrrev_b32_e32 v21, 8, v10
	s_movk_i32 s4, 0x7f
	v_cmp_gt_i16_sdwa s[6:7], v21, s4 src0_sel:BYTE_0 src1_sel:DWORD
	s_mov_b64 s[4:5], 0
                                        ; implicit-def: $sgpr10
	s_and_saveexec_b64 s[8:9], s[6:7]
	s_xor_b64 s[6:7], exec, s[8:9]
	s_cbranch_execnz .LBB39_3597
; %bb.1549:
	s_or_saveexec_b64 s[6:7], s[6:7]
	v_mov_b32_e32 v22, s10
	s_xor_b64 exec, exec, s[6:7]
	s_cbranch_execnz .LBB39_3600
.LBB39_1550:
	s_or_b64 exec, exec, s[6:7]
	s_and_saveexec_b64 s[6:7], s[4:5]
	s_cbranch_execz .LBB39_1552
.LBB39_1551:
	v_bfe_u32 v22, v10, 8, 3
	v_ffbh_u32_e32 v24, v22
	v_min_u32_e32 v24, 32, v24
	v_lshrrev_b16_e32 v23, 3, v21
	v_subrev_u32_e32 v25, 28, v24
	v_and_b32_e32 v23, 15, v23
	v_lshlrev_b32_e32 v21, v25, v21
	v_sub_u32_e32 v24, 29, v24
	v_and_b32_e32 v21, 7, v21
	v_cmp_eq_u16_e32 vcc, 0, v23
	v_cndmask_b32_e32 v21, v22, v21, vcc
	v_cndmask_b32_e32 v22, v23, v24, vcc
	v_lshlrev_b32_e32 v23, 16, v10
	v_mov_b32_e32 v24, 0x3b800000
	v_lshlrev_b32_e32 v21, 20, v21
	v_and_b32_e32 v23, 0x80000000, v23
	v_lshl_add_u32 v22, v22, 23, v24
	v_or3_b32 v22, v23, v22, v21
.LBB39_1552:
	s_or_b64 exec, exec, s[6:7]
	s_nop 0
	v_mfma_f32_16x16x4f32 a[0:3], v20, v22, a[0:3]
	s_movk_i32 s4, 0xff
	v_and_b32_sdwa v21, v14, s4 dst_sel:DWORD dst_unused:UNUSED_PAD src0_sel:WORD_1 src1_sel:DWORD
	s_movk_i32 s4, 0x7f
	v_cmp_lt_i16_e32 vcc, s4, v21
	s_mov_b64 s[4:5], 0
                                        ; implicit-def: $sgpr10
	s_and_saveexec_b64 s[6:7], vcc
	s_xor_b64 s[6:7], exec, s[6:7]
	s_cbranch_execnz .LBB39_3601
; %bb.1553:
	s_or_saveexec_b64 s[6:7], s[6:7]
	v_mov_b32_e32 v20, s10
	s_xor_b64 exec, exec, s[6:7]
	s_cbranch_execnz .LBB39_3604
.LBB39_1554:
	s_or_b64 exec, exec, s[6:7]
	s_and_saveexec_b64 s[6:7], s[4:5]
	s_cbranch_execz .LBB39_1556
.LBB39_1555:
	v_bfe_u32 v20, v14, 16, 3
	v_ffbh_u32_e32 v23, v20
	v_min_u32_e32 v23, 32, v23
	v_lshrrev_b32_e32 v21, 19, v14
	v_subrev_u32_e32 v24, 28, v23
	v_and_b32_e32 v21, 15, v21
	v_lshlrev_b32_sdwa v24, v24, v14 dst_sel:DWORD dst_unused:UNUSED_PAD src0_sel:DWORD src1_sel:WORD_1
	v_bfe_u32 v22, v14, 19, 4
	v_sub_u32_e32 v23, 29, v23
	v_and_b32_e32 v24, 7, v24
	v_cmp_eq_u16_e32 vcc, 0, v21
	v_cndmask_b32_e32 v20, v20, v24, vcc
	v_cndmask_b32_e32 v21, v22, v23, vcc
	v_lshlrev_b32_e32 v22, 8, v14
	v_mov_b32_e32 v23, 0x3b800000
	v_lshlrev_b32_e32 v20, 20, v20
	v_and_b32_e32 v22, 0x80000000, v22
	v_lshl_add_u32 v21, v21, 23, v23
	v_or3_b32 v20, v22, v21, v20
.LBB39_1556:
	s_or_b64 exec, exec, s[6:7]
	s_movk_i32 s4, 0xff
	v_and_b32_sdwa v21, v10, s4 dst_sel:DWORD dst_unused:UNUSED_PAD src0_sel:WORD_1 src1_sel:DWORD
	s_movk_i32 s4, 0x7f
	v_cmp_lt_i16_e32 vcc, s4, v21
	s_mov_b64 s[4:5], 0
                                        ; implicit-def: $sgpr10
	s_and_saveexec_b64 s[6:7], vcc
	s_xor_b64 s[6:7], exec, s[6:7]
	s_cbranch_execnz .LBB39_3605
; %bb.1557:
	s_or_saveexec_b64 s[6:7], s[6:7]
	v_mov_b32_e32 v22, s10
	s_xor_b64 exec, exec, s[6:7]
	s_cbranch_execnz .LBB39_3608
.LBB39_1558:
	s_or_b64 exec, exec, s[6:7]
	s_and_saveexec_b64 s[6:7], s[4:5]
	s_cbranch_execz .LBB39_1560
.LBB39_1559:
	v_bfe_u32 v21, v10, 16, 3
	v_ffbh_u32_e32 v24, v21
	v_min_u32_e32 v24, 32, v24
	v_lshrrev_b32_e32 v22, 19, v10
	v_subrev_u32_e32 v25, 28, v24
	v_and_b32_e32 v22, 15, v22
	v_lshlrev_b32_sdwa v25, v25, v10 dst_sel:DWORD dst_unused:UNUSED_PAD src0_sel:DWORD src1_sel:WORD_1
	v_bfe_u32 v23, v10, 19, 4
	v_sub_u32_e32 v24, 29, v24
	v_and_b32_e32 v25, 7, v25
	v_cmp_eq_u16_e32 vcc, 0, v22
	v_cndmask_b32_e32 v21, v21, v25, vcc
	v_cndmask_b32_e32 v22, v23, v24, vcc
	v_lshlrev_b32_e32 v23, 8, v10
	v_mov_b32_e32 v24, 0x3b800000
	v_lshlrev_b32_e32 v21, 20, v21
	v_and_b32_e32 v23, 0x80000000, v23
	v_lshl_add_u32 v22, v22, 23, v24
	v_or3_b32 v22, v23, v22, v21
.LBB39_1560:
	s_or_b64 exec, exec, s[6:7]
	s_nop 0
	v_mfma_f32_16x16x4f32 a[0:3], v20, v22, a[0:3]
	s_movk_i32 s4, 0x7f
	v_cmp_gt_i16_sdwa s[6:7], v14, s4 src0_sel:BYTE_3 src1_sel:DWORD
	s_mov_b64 s[4:5], 0
                                        ; implicit-def: $sgpr10
	s_and_saveexec_b64 s[8:9], s[6:7]
	s_xor_b64 s[6:7], exec, s[8:9]
	s_cbranch_execnz .LBB39_3609
; %bb.1561:
	s_or_saveexec_b64 s[6:7], s[6:7]
	v_mov_b32_e32 v20, s10
	s_xor_b64 exec, exec, s[6:7]
	s_cbranch_execnz .LBB39_3612
.LBB39_1562:
	s_or_b64 exec, exec, s[6:7]
	s_and_saveexec_b64 s[6:7], s[4:5]
	s_cbranch_execz .LBB39_1564
.LBB39_1563:
	v_bfe_u32 v20, v14, 24, 3
	v_ffbh_u32_e32 v24, v20
	v_min_u32_e32 v24, 32, v24
	v_lshrrev_b32_e32 v22, 27, v14
	v_subrev_u32_e32 v25, 28, v24
	v_and_b32_e32 v21, 0x80000000, v14
	v_and_b32_e32 v22, 15, v22
	v_bfe_u32 v23, v14, 27, 4
	v_lshlrev_b32_sdwa v14, v25, v14 dst_sel:DWORD dst_unused:UNUSED_PAD src0_sel:DWORD src1_sel:BYTE_3
	v_sub_u32_e32 v24, 29, v24
	v_and_b32_e32 v14, 7, v14
	v_cmp_eq_u16_e32 vcc, 0, v22
	v_cndmask_b32_e32 v14, v20, v14, vcc
	v_cndmask_b32_e32 v20, v23, v24, vcc
	v_mov_b32_e32 v22, 0x3b800000
	v_lshlrev_b32_e32 v14, 20, v14
	v_lshl_add_u32 v20, v20, 23, v22
	v_or3_b32 v20, v21, v20, v14
.LBB39_1564:
	s_or_b64 exec, exec, s[6:7]
	s_movk_i32 s4, 0x7f
	v_cmp_gt_i16_sdwa s[6:7], v10, s4 src0_sel:BYTE_3 src1_sel:DWORD
	s_mov_b64 s[4:5], 0
                                        ; implicit-def: $sgpr10
	s_and_saveexec_b64 s[8:9], s[6:7]
	s_xor_b64 s[6:7], exec, s[8:9]
	s_cbranch_execnz .LBB39_3613
; %bb.1565:
	s_or_saveexec_b64 s[6:7], s[6:7]
	v_mov_b32_e32 v14, s10
	s_xor_b64 exec, exec, s[6:7]
	s_cbranch_execnz .LBB39_3616
.LBB39_1566:
	s_or_b64 exec, exec, s[6:7]
	s_and_saveexec_b64 s[6:7], s[4:5]
	s_cbranch_execz .LBB39_1568
.LBB39_1567:
	v_bfe_u32 v14, v10, 24, 3
	v_ffbh_u32_e32 v24, v14
	v_min_u32_e32 v24, 32, v24
	v_lshrrev_b32_e32 v22, 27, v10
	v_subrev_u32_e32 v25, 28, v24
	v_and_b32_e32 v21, 0x80000000, v10
	v_and_b32_e32 v22, 15, v22
	v_bfe_u32 v23, v10, 27, 4
	v_lshlrev_b32_sdwa v10, v25, v10 dst_sel:DWORD dst_unused:UNUSED_PAD src0_sel:DWORD src1_sel:BYTE_3
	v_sub_u32_e32 v24, 29, v24
	v_and_b32_e32 v10, 7, v10
	v_cmp_eq_u16_e32 vcc, 0, v22
	v_cndmask_b32_e32 v10, v14, v10, vcc
	v_cndmask_b32_e32 v14, v23, v24, vcc
	v_mov_b32_e32 v22, 0x3b800000
	v_lshlrev_b32_e32 v10, 20, v10
	v_lshl_add_u32 v14, v14, 23, v22
	v_or3_b32 v14, v21, v14, v10
.LBB39_1568:
	s_or_b64 exec, exec, s[6:7]
	s_nop 0
	v_mfma_f32_16x16x4f32 a[0:3], v20, v14, a[0:3]
	s_movk_i32 s4, 0x7f
	v_cmp_gt_i16_sdwa s[6:7], v15, s4 src0_sel:BYTE_0 src1_sel:DWORD
	s_mov_b64 s[4:5], 0
                                        ; implicit-def: $sgpr10
	s_and_saveexec_b64 s[8:9], s[6:7]
	s_xor_b64 s[6:7], exec, s[8:9]
	s_cbranch_execnz .LBB39_3617
; %bb.1569:
	s_or_saveexec_b64 s[6:7], s[6:7]
	v_mov_b32_e32 v10, s10
	s_xor_b64 exec, exec, s[6:7]
	s_cbranch_execnz .LBB39_3620
.LBB39_1570:
	s_or_b64 exec, exec, s[6:7]
	s_and_saveexec_b64 s[6:7], s[4:5]
	s_cbranch_execz .LBB39_1572
.LBB39_1571:
	v_and_b32_e32 v10, 7, v15
	v_ffbh_u32_e32 v20, v10
	v_min_u32_e32 v20, 32, v20
	v_lshrrev_b16_e32 v14, 3, v15
	v_subrev_u32_e32 v21, 28, v20
	v_and_b32_e32 v14, 15, v14
	v_lshlrev_b32_e32 v21, v21, v15
	v_sub_u32_e32 v20, 29, v20
	v_and_b32_e32 v21, 7, v21
	v_cmp_eq_u16_e32 vcc, 0, v14
	v_cndmask_b32_e32 v10, v10, v21, vcc
	v_cndmask_b32_e32 v14, v14, v20, vcc
	v_lshlrev_b32_e32 v20, 24, v15
	v_mov_b32_e32 v21, 0x3b800000
	v_lshlrev_b32_e32 v10, 20, v10
	v_and_b32_e32 v20, 0x80000000, v20
	v_lshl_add_u32 v14, v14, 23, v21
	v_or3_b32 v10, v20, v14, v10
.LBB39_1572:
	s_or_b64 exec, exec, s[6:7]
	s_movk_i32 s4, 0x7f
	v_cmp_gt_i16_sdwa s[6:7], v11, s4 src0_sel:BYTE_0 src1_sel:DWORD
	s_mov_b64 s[4:5], 0
                                        ; implicit-def: $sgpr10
	s_and_saveexec_b64 s[8:9], s[6:7]
	s_xor_b64 s[6:7], exec, s[8:9]
	s_cbranch_execnz .LBB39_3621
; %bb.1573:
	s_or_saveexec_b64 s[6:7], s[6:7]
	v_mov_b32_e32 v14, s10
	s_xor_b64 exec, exec, s[6:7]
	s_cbranch_execnz .LBB39_3624
.LBB39_1574:
	s_or_b64 exec, exec, s[6:7]
	s_and_saveexec_b64 s[6:7], s[4:5]
	s_cbranch_execz .LBB39_1576
.LBB39_1575:
	v_and_b32_e32 v14, 7, v11
	v_ffbh_u32_e32 v21, v14
	v_min_u32_e32 v21, 32, v21
	v_lshrrev_b16_e32 v20, 3, v11
	v_subrev_u32_e32 v22, 28, v21
	v_and_b32_e32 v20, 15, v20
	v_lshlrev_b32_e32 v22, v22, v11
	v_sub_u32_e32 v21, 29, v21
	v_and_b32_e32 v22, 7, v22
	v_cmp_eq_u16_e32 vcc, 0, v20
	v_cndmask_b32_e32 v14, v14, v22, vcc
	v_cndmask_b32_e32 v20, v20, v21, vcc
	v_lshlrev_b32_e32 v21, 24, v11
	v_mov_b32_e32 v22, 0x3b800000
	v_lshlrev_b32_e32 v14, 20, v14
	v_and_b32_e32 v21, 0x80000000, v21
	v_lshl_add_u32 v20, v20, 23, v22
	v_or3_b32 v14, v21, v20, v14
.LBB39_1576:
	s_or_b64 exec, exec, s[6:7]
	s_nop 0
	v_mfma_f32_16x16x4f32 a[0:3], v10, v14, a[0:3]
	v_lshrrev_b32_e32 v14, 8, v15
	s_movk_i32 s4, 0x7f
	v_cmp_gt_i16_sdwa s[6:7], v14, s4 src0_sel:BYTE_0 src1_sel:DWORD
	s_mov_b64 s[4:5], 0
                                        ; implicit-def: $sgpr10
	s_and_saveexec_b64 s[8:9], s[6:7]
	s_xor_b64 s[6:7], exec, s[8:9]
	s_cbranch_execnz .LBB39_3625
; %bb.1577:
	s_or_saveexec_b64 s[6:7], s[6:7]
	v_mov_b32_e32 v10, s10
	s_xor_b64 exec, exec, s[6:7]
	s_cbranch_execnz .LBB39_3628
.LBB39_1578:
	s_or_b64 exec, exec, s[6:7]
	s_and_saveexec_b64 s[6:7], s[4:5]
	s_cbranch_execz .LBB39_1580
.LBB39_1579:
	v_bfe_u32 v10, v15, 8, 3
	v_ffbh_u32_e32 v21, v10
	v_min_u32_e32 v21, 32, v21
	v_lshrrev_b16_e32 v20, 3, v14
	v_subrev_u32_e32 v22, 28, v21
	v_and_b32_e32 v20, 15, v20
	v_lshlrev_b32_e32 v14, v22, v14
	v_sub_u32_e32 v21, 29, v21
	v_and_b32_e32 v14, 7, v14
	v_cmp_eq_u16_e32 vcc, 0, v20
	v_cndmask_b32_e32 v10, v10, v14, vcc
	v_cndmask_b32_e32 v14, v20, v21, vcc
	v_lshlrev_b32_e32 v20, 16, v15
	v_mov_b32_e32 v21, 0x3b800000
	v_lshlrev_b32_e32 v10, 20, v10
	v_and_b32_e32 v20, 0x80000000, v20
	v_lshl_add_u32 v14, v14, 23, v21
	v_or3_b32 v10, v20, v14, v10
.LBB39_1580:
	s_or_b64 exec, exec, s[6:7]
	v_lshrrev_b32_e32 v14, 8, v11
	s_movk_i32 s4, 0x7f
	v_cmp_gt_i16_sdwa s[6:7], v14, s4 src0_sel:BYTE_0 src1_sel:DWORD
	s_mov_b64 s[4:5], 0
                                        ; implicit-def: $sgpr10
	s_and_saveexec_b64 s[8:9], s[6:7]
	s_xor_b64 s[6:7], exec, s[8:9]
	s_cbranch_execnz .LBB39_3629
; %bb.1581:
	s_or_saveexec_b64 s[6:7], s[6:7]
	v_mov_b32_e32 v20, s10
	s_xor_b64 exec, exec, s[6:7]
	s_cbranch_execnz .LBB39_3632
.LBB39_1582:
	s_or_b64 exec, exec, s[6:7]
	s_and_saveexec_b64 s[6:7], s[4:5]
	s_cbranch_execz .LBB39_1584
.LBB39_1583:
	v_bfe_u32 v20, v11, 8, 3
	v_ffbh_u32_e32 v22, v20
	v_min_u32_e32 v22, 32, v22
	v_lshrrev_b16_e32 v21, 3, v14
	v_subrev_u32_e32 v23, 28, v22
	v_and_b32_e32 v21, 15, v21
	v_lshlrev_b32_e32 v14, v23, v14
	v_sub_u32_e32 v22, 29, v22
	v_and_b32_e32 v14, 7, v14
	v_cmp_eq_u16_e32 vcc, 0, v21
	v_cndmask_b32_e32 v14, v20, v14, vcc
	v_cndmask_b32_e32 v20, v21, v22, vcc
	v_lshlrev_b32_e32 v21, 16, v11
	v_mov_b32_e32 v22, 0x3b800000
	v_lshlrev_b32_e32 v14, 20, v14
	v_and_b32_e32 v21, 0x80000000, v21
	v_lshl_add_u32 v20, v20, 23, v22
	v_or3_b32 v20, v21, v20, v14
.LBB39_1584:
	s_or_b64 exec, exec, s[6:7]
	s_nop 0
	v_mfma_f32_16x16x4f32 a[0:3], v10, v20, a[0:3]
	s_movk_i32 s4, 0xff
	v_and_b32_sdwa v14, v15, s4 dst_sel:DWORD dst_unused:UNUSED_PAD src0_sel:WORD_1 src1_sel:DWORD
	s_movk_i32 s4, 0x7f
	v_cmp_lt_i16_e32 vcc, s4, v14
	s_mov_b64 s[4:5], 0
                                        ; implicit-def: $sgpr10
	s_and_saveexec_b64 s[6:7], vcc
	s_xor_b64 s[6:7], exec, s[6:7]
	s_cbranch_execnz .LBB39_3633
; %bb.1585:
	s_or_saveexec_b64 s[6:7], s[6:7]
	v_mov_b32_e32 v10, s10
	s_xor_b64 exec, exec, s[6:7]
	s_cbranch_execnz .LBB39_3636
.LBB39_1586:
	s_or_b64 exec, exec, s[6:7]
	s_and_saveexec_b64 s[6:7], s[4:5]
	s_cbranch_execz .LBB39_1588
.LBB39_1587:
	v_bfe_u32 v10, v15, 16, 3
	v_ffbh_u32_e32 v21, v10
	v_min_u32_e32 v21, 32, v21
	v_lshrrev_b32_e32 v14, 19, v15
	v_subrev_u32_e32 v22, 28, v21
	v_and_b32_e32 v14, 15, v14
	v_lshlrev_b32_sdwa v22, v22, v15 dst_sel:DWORD dst_unused:UNUSED_PAD src0_sel:DWORD src1_sel:WORD_1
	v_bfe_u32 v20, v15, 19, 4
	v_sub_u32_e32 v21, 29, v21
	v_and_b32_e32 v22, 7, v22
	v_cmp_eq_u16_e32 vcc, 0, v14
	v_cndmask_b32_e32 v10, v10, v22, vcc
	v_cndmask_b32_e32 v14, v20, v21, vcc
	v_lshlrev_b32_e32 v20, 8, v15
	v_mov_b32_e32 v21, 0x3b800000
	v_lshlrev_b32_e32 v10, 20, v10
	v_and_b32_e32 v20, 0x80000000, v20
	v_lshl_add_u32 v14, v14, 23, v21
	v_or3_b32 v10, v20, v14, v10
.LBB39_1588:
	s_or_b64 exec, exec, s[6:7]
	s_movk_i32 s4, 0xff
	v_and_b32_sdwa v14, v11, s4 dst_sel:DWORD dst_unused:UNUSED_PAD src0_sel:WORD_1 src1_sel:DWORD
	s_movk_i32 s4, 0x7f
	v_cmp_lt_i16_e32 vcc, s4, v14
	s_mov_b64 s[4:5], 0
                                        ; implicit-def: $sgpr10
	s_and_saveexec_b64 s[6:7], vcc
	s_xor_b64 s[6:7], exec, s[6:7]
	s_cbranch_execnz .LBB39_3637
; %bb.1589:
	s_or_saveexec_b64 s[6:7], s[6:7]
	v_mov_b32_e32 v20, s10
	s_xor_b64 exec, exec, s[6:7]
	s_cbranch_execnz .LBB39_3640
.LBB39_1590:
	s_or_b64 exec, exec, s[6:7]
	s_and_saveexec_b64 s[6:7], s[4:5]
	s_cbranch_execz .LBB39_1592
.LBB39_1591:
	v_bfe_u32 v14, v11, 16, 3
	v_ffbh_u32_e32 v22, v14
	v_min_u32_e32 v22, 32, v22
	v_lshrrev_b32_e32 v20, 19, v11
	v_subrev_u32_e32 v23, 28, v22
	v_and_b32_e32 v20, 15, v20
	v_lshlrev_b32_sdwa v23, v23, v11 dst_sel:DWORD dst_unused:UNUSED_PAD src0_sel:DWORD src1_sel:WORD_1
	v_bfe_u32 v21, v11, 19, 4
	v_sub_u32_e32 v22, 29, v22
	v_and_b32_e32 v23, 7, v23
	v_cmp_eq_u16_e32 vcc, 0, v20
	v_cndmask_b32_e32 v14, v14, v23, vcc
	v_cndmask_b32_e32 v20, v21, v22, vcc
	v_lshlrev_b32_e32 v21, 8, v11
	v_mov_b32_e32 v22, 0x3b800000
	v_lshlrev_b32_e32 v14, 20, v14
	v_and_b32_e32 v21, 0x80000000, v21
	v_lshl_add_u32 v20, v20, 23, v22
	v_or3_b32 v20, v21, v20, v14
.LBB39_1592:
	s_or_b64 exec, exec, s[6:7]
	s_nop 0
	v_mfma_f32_16x16x4f32 a[0:3], v10, v20, a[0:3]
	s_movk_i32 s4, 0x7f
	v_cmp_gt_i16_sdwa s[6:7], v15, s4 src0_sel:BYTE_3 src1_sel:DWORD
	s_mov_b64 s[4:5], 0
                                        ; implicit-def: $sgpr10
	s_and_saveexec_b64 s[8:9], s[6:7]
	s_xor_b64 s[6:7], exec, s[8:9]
	s_cbranch_execnz .LBB39_3641
; %bb.1593:
	s_or_saveexec_b64 s[6:7], s[6:7]
	v_mov_b32_e32 v10, s10
	s_xor_b64 exec, exec, s[6:7]
	s_cbranch_execnz .LBB39_3644
.LBB39_1594:
	s_or_b64 exec, exec, s[6:7]
	s_and_saveexec_b64 s[6:7], s[4:5]
	s_cbranch_execz .LBB39_1596
.LBB39_1595:
	v_bfe_u32 v10, v15, 24, 3
	v_ffbh_u32_e32 v22, v10
	v_min_u32_e32 v22, 32, v22
	v_lshrrev_b32_e32 v20, 27, v15
	v_subrev_u32_e32 v23, 28, v22
	v_and_b32_e32 v14, 0x80000000, v15
	v_and_b32_e32 v20, 15, v20
	v_bfe_u32 v21, v15, 27, 4
	v_lshlrev_b32_sdwa v15, v23, v15 dst_sel:DWORD dst_unused:UNUSED_PAD src0_sel:DWORD src1_sel:BYTE_3
	v_sub_u32_e32 v22, 29, v22
	v_and_b32_e32 v15, 7, v15
	v_cmp_eq_u16_e32 vcc, 0, v20
	v_cndmask_b32_e32 v10, v10, v15, vcc
	v_cndmask_b32_e32 v15, v21, v22, vcc
	v_mov_b32_e32 v20, 0x3b800000
	v_lshlrev_b32_e32 v10, 20, v10
	v_lshl_add_u32 v15, v15, 23, v20
	v_or3_b32 v10, v14, v15, v10
.LBB39_1596:
	s_or_b64 exec, exec, s[6:7]
	s_movk_i32 s4, 0x7f
	v_cmp_gt_i16_sdwa s[6:7], v11, s4 src0_sel:BYTE_3 src1_sel:DWORD
	s_mov_b64 s[4:5], 0
                                        ; implicit-def: $sgpr10
	s_and_saveexec_b64 s[8:9], s[6:7]
	s_xor_b64 s[6:7], exec, s[8:9]
	s_cbranch_execnz .LBB39_3645
; %bb.1597:
	s_or_saveexec_b64 s[6:7], s[6:7]
	v_mov_b32_e32 v14, s10
	s_xor_b64 exec, exec, s[6:7]
	s_cbranch_execnz .LBB39_3648
.LBB39_1598:
	s_or_b64 exec, exec, s[6:7]
	s_and_saveexec_b64 s[6:7], s[4:5]
	s_cbranch_execz .LBB39_1600
.LBB39_1599:
	v_bfe_u32 v14, v11, 24, 3
	v_ffbh_u32_e32 v22, v14
	v_min_u32_e32 v22, 32, v22
	v_lshrrev_b32_e32 v20, 27, v11
	v_subrev_u32_e32 v23, 28, v22
	v_and_b32_e32 v15, 0x80000000, v11
	v_and_b32_e32 v20, 15, v20
	v_bfe_u32 v21, v11, 27, 4
	v_lshlrev_b32_sdwa v11, v23, v11 dst_sel:DWORD dst_unused:UNUSED_PAD src0_sel:DWORD src1_sel:BYTE_3
	v_sub_u32_e32 v22, 29, v22
	v_and_b32_e32 v11, 7, v11
	v_cmp_eq_u16_e32 vcc, 0, v20
	v_cndmask_b32_e32 v11, v14, v11, vcc
	v_cndmask_b32_e32 v14, v21, v22, vcc
	v_mov_b32_e32 v20, 0x3b800000
	v_lshlrev_b32_e32 v11, 20, v11
	v_lshl_add_u32 v14, v14, 23, v20
	v_or3_b32 v14, v15, v14, v11
.LBB39_1600:
	s_or_b64 exec, exec, s[6:7]
	s_nop 0
	v_mfma_f32_16x16x4f32 a[0:3], v10, v14, a[0:3]
	s_movk_i32 s4, 0x7f
	v_cmp_gt_i16_sdwa s[6:7], v16, s4 src0_sel:BYTE_0 src1_sel:DWORD
	s_mov_b64 s[4:5], 0
                                        ; implicit-def: $sgpr10
	s_and_saveexec_b64 s[8:9], s[6:7]
	s_xor_b64 s[6:7], exec, s[8:9]
	s_cbranch_execnz .LBB39_3649
; %bb.1601:
	s_or_saveexec_b64 s[6:7], s[6:7]
	v_mov_b32_e32 v10, s10
	s_xor_b64 exec, exec, s[6:7]
	s_cbranch_execnz .LBB39_3652
.LBB39_1602:
	s_or_b64 exec, exec, s[6:7]
	s_and_saveexec_b64 s[6:7], s[4:5]
	s_cbranch_execz .LBB39_1604
.LBB39_1603:
	v_and_b32_e32 v10, 7, v16
	v_ffbh_u32_e32 v14, v10
	v_min_u32_e32 v14, 32, v14
	v_lshrrev_b16_e32 v11, 3, v16
	v_subrev_u32_e32 v15, 28, v14
	v_and_b32_e32 v11, 15, v11
	v_lshlrev_b32_e32 v15, v15, v16
	v_sub_u32_e32 v14, 29, v14
	v_and_b32_e32 v15, 7, v15
	v_cmp_eq_u16_e32 vcc, 0, v11
	v_cndmask_b32_e32 v10, v10, v15, vcc
	v_cndmask_b32_e32 v11, v11, v14, vcc
	v_lshlrev_b32_e32 v14, 24, v16
	v_mov_b32_e32 v15, 0x3b800000
	v_lshlrev_b32_e32 v10, 20, v10
	v_and_b32_e32 v14, 0x80000000, v14
	v_lshl_add_u32 v11, v11, 23, v15
	v_or3_b32 v10, v14, v11, v10
.LBB39_1604:
	s_or_b64 exec, exec, s[6:7]
	s_movk_i32 s4, 0x7f
	v_cmp_gt_i16_sdwa s[6:7], v12, s4 src0_sel:BYTE_0 src1_sel:DWORD
	s_mov_b64 s[4:5], 0
                                        ; implicit-def: $sgpr10
	s_and_saveexec_b64 s[8:9], s[6:7]
	s_xor_b64 s[6:7], exec, s[8:9]
	s_cbranch_execnz .LBB39_3653
; %bb.1605:
	s_or_saveexec_b64 s[6:7], s[6:7]
	v_mov_b32_e32 v11, s10
	s_xor_b64 exec, exec, s[6:7]
	s_cbranch_execnz .LBB39_3656
.LBB39_1606:
	s_or_b64 exec, exec, s[6:7]
	s_and_saveexec_b64 s[6:7], s[4:5]
	s_cbranch_execz .LBB39_1608
.LBB39_1607:
	v_and_b32_e32 v11, 7, v12
	v_ffbh_u32_e32 v15, v11
	v_min_u32_e32 v15, 32, v15
	v_lshrrev_b16_e32 v14, 3, v12
	v_subrev_u32_e32 v20, 28, v15
	v_and_b32_e32 v14, 15, v14
	v_lshlrev_b32_e32 v20, v20, v12
	v_sub_u32_e32 v15, 29, v15
	v_and_b32_e32 v20, 7, v20
	v_cmp_eq_u16_e32 vcc, 0, v14
	v_cndmask_b32_e32 v11, v11, v20, vcc
	v_cndmask_b32_e32 v14, v14, v15, vcc
	v_lshlrev_b32_e32 v15, 24, v12
	v_mov_b32_e32 v20, 0x3b800000
	v_lshlrev_b32_e32 v11, 20, v11
	v_and_b32_e32 v15, 0x80000000, v15
	v_lshl_add_u32 v14, v14, 23, v20
	v_or3_b32 v11, v15, v14, v11
.LBB39_1608:
	s_or_b64 exec, exec, s[6:7]
	s_nop 0
	v_mfma_f32_16x16x4f32 a[0:3], v10, v11, a[0:3]
	v_lshrrev_b32_e32 v11, 8, v16
	s_movk_i32 s4, 0x7f
	v_cmp_gt_i16_sdwa s[6:7], v11, s4 src0_sel:BYTE_0 src1_sel:DWORD
	s_mov_b64 s[4:5], 0
                                        ; implicit-def: $sgpr10
	s_and_saveexec_b64 s[8:9], s[6:7]
	s_xor_b64 s[6:7], exec, s[8:9]
	s_cbranch_execnz .LBB39_3657
; %bb.1609:
	s_or_saveexec_b64 s[6:7], s[6:7]
	v_mov_b32_e32 v10, s10
	s_xor_b64 exec, exec, s[6:7]
	s_cbranch_execnz .LBB39_3660
.LBB39_1610:
	s_or_b64 exec, exec, s[6:7]
	s_and_saveexec_b64 s[6:7], s[4:5]
	s_cbranch_execz .LBB39_1612
.LBB39_1611:
	v_bfe_u32 v10, v16, 8, 3
	v_ffbh_u32_e32 v15, v10
	v_min_u32_e32 v15, 32, v15
	v_lshrrev_b16_e32 v14, 3, v11
	v_subrev_u32_e32 v20, 28, v15
	v_and_b32_e32 v14, 15, v14
	v_lshlrev_b32_e32 v11, v20, v11
	v_sub_u32_e32 v15, 29, v15
	v_and_b32_e32 v11, 7, v11
	v_cmp_eq_u16_e32 vcc, 0, v14
	v_cndmask_b32_e32 v10, v10, v11, vcc
	v_cndmask_b32_e32 v11, v14, v15, vcc
	v_lshlrev_b32_e32 v14, 16, v16
	v_mov_b32_e32 v15, 0x3b800000
	v_lshlrev_b32_e32 v10, 20, v10
	v_and_b32_e32 v14, 0x80000000, v14
	v_lshl_add_u32 v11, v11, 23, v15
	v_or3_b32 v10, v14, v11, v10
.LBB39_1612:
	s_or_b64 exec, exec, s[6:7]
	v_lshrrev_b32_e32 v11, 8, v12
	s_movk_i32 s4, 0x7f
	v_cmp_gt_i16_sdwa s[6:7], v11, s4 src0_sel:BYTE_0 src1_sel:DWORD
	s_mov_b64 s[4:5], 0
                                        ; implicit-def: $sgpr10
	s_and_saveexec_b64 s[8:9], s[6:7]
	s_xor_b64 s[6:7], exec, s[8:9]
	s_cbranch_execnz .LBB39_3661
; %bb.1613:
	s_or_saveexec_b64 s[6:7], s[6:7]
	v_mov_b32_e32 v14, s10
	s_xor_b64 exec, exec, s[6:7]
	s_cbranch_execnz .LBB39_3664
.LBB39_1614:
	s_or_b64 exec, exec, s[6:7]
	s_and_saveexec_b64 s[6:7], s[4:5]
	s_cbranch_execz .LBB39_1616
.LBB39_1615:
	v_bfe_u32 v14, v12, 8, 3
	v_ffbh_u32_e32 v20, v14
	v_min_u32_e32 v20, 32, v20
	v_lshrrev_b16_e32 v15, 3, v11
	v_subrev_u32_e32 v21, 28, v20
	v_and_b32_e32 v15, 15, v15
	v_lshlrev_b32_e32 v11, v21, v11
	v_sub_u32_e32 v20, 29, v20
	v_and_b32_e32 v11, 7, v11
	v_cmp_eq_u16_e32 vcc, 0, v15
	v_cndmask_b32_e32 v11, v14, v11, vcc
	v_cndmask_b32_e32 v14, v15, v20, vcc
	v_lshlrev_b32_e32 v15, 16, v12
	v_mov_b32_e32 v20, 0x3b800000
	v_lshlrev_b32_e32 v11, 20, v11
	v_and_b32_e32 v15, 0x80000000, v15
	v_lshl_add_u32 v14, v14, 23, v20
	v_or3_b32 v14, v15, v14, v11
.LBB39_1616:
	s_or_b64 exec, exec, s[6:7]
	s_nop 0
	v_mfma_f32_16x16x4f32 a[0:3], v10, v14, a[0:3]
	s_movk_i32 s4, 0xff
	v_and_b32_sdwa v11, v16, s4 dst_sel:DWORD dst_unused:UNUSED_PAD src0_sel:WORD_1 src1_sel:DWORD
	s_movk_i32 s4, 0x7f
	v_cmp_lt_i16_e32 vcc, s4, v11
	s_mov_b64 s[4:5], 0
                                        ; implicit-def: $sgpr10
	s_and_saveexec_b64 s[6:7], vcc
	s_xor_b64 s[6:7], exec, s[6:7]
	s_cbranch_execnz .LBB39_3665
; %bb.1617:
	s_or_saveexec_b64 s[6:7], s[6:7]
	v_mov_b32_e32 v10, s10
	s_xor_b64 exec, exec, s[6:7]
	s_cbranch_execnz .LBB39_3668
.LBB39_1618:
	s_or_b64 exec, exec, s[6:7]
	s_and_saveexec_b64 s[6:7], s[4:5]
	s_cbranch_execz .LBB39_1620
.LBB39_1619:
	v_bfe_u32 v10, v16, 16, 3
	v_ffbh_u32_e32 v15, v10
	v_min_u32_e32 v15, 32, v15
	v_lshrrev_b32_e32 v11, 19, v16
	v_subrev_u32_e32 v20, 28, v15
	v_and_b32_e32 v11, 15, v11
	v_lshlrev_b32_sdwa v20, v20, v16 dst_sel:DWORD dst_unused:UNUSED_PAD src0_sel:DWORD src1_sel:WORD_1
	v_bfe_u32 v14, v16, 19, 4
	v_sub_u32_e32 v15, 29, v15
	v_and_b32_e32 v20, 7, v20
	v_cmp_eq_u16_e32 vcc, 0, v11
	v_cndmask_b32_e32 v10, v10, v20, vcc
	v_cndmask_b32_e32 v11, v14, v15, vcc
	v_lshlrev_b32_e32 v14, 8, v16
	v_mov_b32_e32 v15, 0x3b800000
	v_lshlrev_b32_e32 v10, 20, v10
	v_and_b32_e32 v14, 0x80000000, v14
	v_lshl_add_u32 v11, v11, 23, v15
	v_or3_b32 v10, v14, v11, v10
.LBB39_1620:
	s_or_b64 exec, exec, s[6:7]
	s_movk_i32 s4, 0xff
	v_and_b32_sdwa v11, v12, s4 dst_sel:DWORD dst_unused:UNUSED_PAD src0_sel:WORD_1 src1_sel:DWORD
	s_movk_i32 s4, 0x7f
	v_cmp_lt_i16_e32 vcc, s4, v11
	s_mov_b64 s[4:5], 0
                                        ; implicit-def: $sgpr10
	s_and_saveexec_b64 s[6:7], vcc
	s_xor_b64 s[6:7], exec, s[6:7]
	s_cbranch_execnz .LBB39_3669
; %bb.1621:
	s_or_saveexec_b64 s[6:7], s[6:7]
	v_mov_b32_e32 v14, s10
	s_xor_b64 exec, exec, s[6:7]
	s_cbranch_execnz .LBB39_3672
.LBB39_1622:
	s_or_b64 exec, exec, s[6:7]
	s_and_saveexec_b64 s[6:7], s[4:5]
	s_cbranch_execz .LBB39_1624
.LBB39_1623:
	v_bfe_u32 v11, v12, 16, 3
	v_ffbh_u32_e32 v20, v11
	v_min_u32_e32 v20, 32, v20
	v_lshrrev_b32_e32 v14, 19, v12
	v_subrev_u32_e32 v21, 28, v20
	v_and_b32_e32 v14, 15, v14
	v_lshlrev_b32_sdwa v21, v21, v12 dst_sel:DWORD dst_unused:UNUSED_PAD src0_sel:DWORD src1_sel:WORD_1
	v_bfe_u32 v15, v12, 19, 4
	v_sub_u32_e32 v20, 29, v20
	v_and_b32_e32 v21, 7, v21
	v_cmp_eq_u16_e32 vcc, 0, v14
	v_cndmask_b32_e32 v11, v11, v21, vcc
	v_cndmask_b32_e32 v14, v15, v20, vcc
	v_lshlrev_b32_e32 v15, 8, v12
	v_mov_b32_e32 v20, 0x3b800000
	v_lshlrev_b32_e32 v11, 20, v11
	v_and_b32_e32 v15, 0x80000000, v15
	v_lshl_add_u32 v14, v14, 23, v20
	v_or3_b32 v14, v15, v14, v11
.LBB39_1624:
	s_or_b64 exec, exec, s[6:7]
	s_nop 0
	v_mfma_f32_16x16x4f32 a[0:3], v10, v14, a[0:3]
	s_movk_i32 s4, 0x7f
	v_cmp_gt_i16_sdwa s[6:7], v16, s4 src0_sel:BYTE_3 src1_sel:DWORD
	s_mov_b64 s[4:5], 0
                                        ; implicit-def: $sgpr10
	s_and_saveexec_b64 s[8:9], s[6:7]
	s_xor_b64 s[6:7], exec, s[8:9]
	s_cbranch_execnz .LBB39_3673
; %bb.1625:
	s_or_saveexec_b64 s[6:7], s[6:7]
	v_mov_b32_e32 v10, s10
	s_xor_b64 exec, exec, s[6:7]
	s_cbranch_execnz .LBB39_3676
.LBB39_1626:
	s_or_b64 exec, exec, s[6:7]
	s_and_saveexec_b64 s[6:7], s[4:5]
	s_cbranch_execz .LBB39_1628
.LBB39_1627:
	v_bfe_u32 v10, v16, 24, 3
	v_ffbh_u32_e32 v20, v10
	v_min_u32_e32 v20, 32, v20
	v_lshrrev_b32_e32 v14, 27, v16
	v_subrev_u32_e32 v21, 28, v20
	v_and_b32_e32 v11, 0x80000000, v16
	v_and_b32_e32 v14, 15, v14
	v_bfe_u32 v15, v16, 27, 4
	v_lshlrev_b32_sdwa v16, v21, v16 dst_sel:DWORD dst_unused:UNUSED_PAD src0_sel:DWORD src1_sel:BYTE_3
	v_sub_u32_e32 v20, 29, v20
	v_and_b32_e32 v16, 7, v16
	v_cmp_eq_u16_e32 vcc, 0, v14
	v_cndmask_b32_e32 v10, v10, v16, vcc
	v_cndmask_b32_e32 v14, v15, v20, vcc
	v_mov_b32_e32 v15, 0x3b800000
	v_lshlrev_b32_e32 v10, 20, v10
	v_lshl_add_u32 v14, v14, 23, v15
	v_or3_b32 v10, v11, v14, v10
.LBB39_1628:
	s_or_b64 exec, exec, s[6:7]
	s_movk_i32 s4, 0x7f
	v_cmp_gt_i16_sdwa s[6:7], v12, s4 src0_sel:BYTE_3 src1_sel:DWORD
	s_mov_b64 s[4:5], 0
                                        ; implicit-def: $sgpr10
	s_and_saveexec_b64 s[8:9], s[6:7]
	s_xor_b64 s[6:7], exec, s[8:9]
	s_cbranch_execnz .LBB39_3677
; %bb.1629:
	s_or_saveexec_b64 s[6:7], s[6:7]
	v_mov_b32_e32 v11, s10
	s_xor_b64 exec, exec, s[6:7]
	s_cbranch_execnz .LBB39_3680
.LBB39_1630:
	s_or_b64 exec, exec, s[6:7]
	s_and_saveexec_b64 s[6:7], s[4:5]
	s_cbranch_execz .LBB39_1632
.LBB39_1631:
	v_bfe_u32 v11, v12, 24, 3
	v_ffbh_u32_e32 v20, v11
	v_min_u32_e32 v20, 32, v20
	v_lshrrev_b32_e32 v15, 27, v12
	v_subrev_u32_e32 v21, 28, v20
	v_and_b32_e32 v14, 0x80000000, v12
	v_and_b32_e32 v15, 15, v15
	v_bfe_u32 v16, v12, 27, 4
	v_lshlrev_b32_sdwa v12, v21, v12 dst_sel:DWORD dst_unused:UNUSED_PAD src0_sel:DWORD src1_sel:BYTE_3
	v_sub_u32_e32 v20, 29, v20
	v_and_b32_e32 v12, 7, v12
	v_cmp_eq_u16_e32 vcc, 0, v15
	v_cndmask_b32_e32 v11, v11, v12, vcc
	v_cndmask_b32_e32 v12, v16, v20, vcc
	v_mov_b32_e32 v15, 0x3b800000
	v_lshlrev_b32_e32 v11, 20, v11
	v_lshl_add_u32 v12, v12, 23, v15
	v_or3_b32 v11, v14, v12, v11
.LBB39_1632:
	s_or_b64 exec, exec, s[6:7]
	s_nop 0
	v_mfma_f32_16x16x4f32 a[0:3], v10, v11, a[0:3]
	s_movk_i32 s4, 0x7f
	v_cmp_gt_i16_sdwa s[6:7], v17, s4 src0_sel:BYTE_0 src1_sel:DWORD
	s_mov_b64 s[4:5], 0
                                        ; implicit-def: $sgpr10
	s_and_saveexec_b64 s[8:9], s[6:7]
	s_xor_b64 s[6:7], exec, s[8:9]
	s_cbranch_execnz .LBB39_3681
; %bb.1633:
	s_or_saveexec_b64 s[6:7], s[6:7]
	v_mov_b32_e32 v10, s10
	s_xor_b64 exec, exec, s[6:7]
	s_cbranch_execnz .LBB39_3684
.LBB39_1634:
	s_or_b64 exec, exec, s[6:7]
	s_and_saveexec_b64 s[6:7], s[4:5]
	s_cbranch_execz .LBB39_1636
.LBB39_1635:
	v_and_b32_e32 v10, 7, v17
	v_ffbh_u32_e32 v12, v10
	v_min_u32_e32 v12, 32, v12
	v_lshrrev_b16_e32 v11, 3, v17
	v_subrev_u32_e32 v14, 28, v12
	v_and_b32_e32 v11, 15, v11
	v_lshlrev_b32_e32 v14, v14, v17
	v_sub_u32_e32 v12, 29, v12
	v_and_b32_e32 v14, 7, v14
	v_cmp_eq_u16_e32 vcc, 0, v11
	v_cndmask_b32_e32 v10, v10, v14, vcc
	v_cndmask_b32_e32 v11, v11, v12, vcc
	v_lshlrev_b32_e32 v12, 24, v17
	v_mov_b32_e32 v14, 0x3b800000
	v_lshlrev_b32_e32 v10, 20, v10
	v_and_b32_e32 v12, 0x80000000, v12
	v_lshl_add_u32 v11, v11, 23, v14
	v_or3_b32 v10, v12, v11, v10
.LBB39_1636:
	s_or_b64 exec, exec, s[6:7]
	s_movk_i32 s4, 0x7f
	v_cmp_gt_i16_sdwa s[6:7], v13, s4 src0_sel:BYTE_0 src1_sel:DWORD
	s_mov_b64 s[4:5], 0
                                        ; implicit-def: $sgpr10
	s_and_saveexec_b64 s[8:9], s[6:7]
	s_xor_b64 s[6:7], exec, s[8:9]
	s_cbranch_execnz .LBB39_3685
; %bb.1637:
	s_or_saveexec_b64 s[6:7], s[6:7]
	v_mov_b32_e32 v11, s10
	s_xor_b64 exec, exec, s[6:7]
	s_cbranch_execnz .LBB39_3688
.LBB39_1638:
	s_or_b64 exec, exec, s[6:7]
	s_and_saveexec_b64 s[6:7], s[4:5]
	s_cbranch_execz .LBB39_1640
.LBB39_1639:
	v_and_b32_e32 v11, 7, v13
	v_ffbh_u32_e32 v14, v11
	v_min_u32_e32 v14, 32, v14
	v_lshrrev_b16_e32 v12, 3, v13
	v_subrev_u32_e32 v15, 28, v14
	v_and_b32_e32 v12, 15, v12
	v_lshlrev_b32_e32 v15, v15, v13
	v_sub_u32_e32 v14, 29, v14
	v_and_b32_e32 v15, 7, v15
	v_cmp_eq_u16_e32 vcc, 0, v12
	v_cndmask_b32_e32 v11, v11, v15, vcc
	v_cndmask_b32_e32 v12, v12, v14, vcc
	v_lshlrev_b32_e32 v14, 24, v13
	v_mov_b32_e32 v15, 0x3b800000
	v_lshlrev_b32_e32 v11, 20, v11
	v_and_b32_e32 v14, 0x80000000, v14
	v_lshl_add_u32 v12, v12, 23, v15
	v_or3_b32 v11, v14, v12, v11
.LBB39_1640:
	s_or_b64 exec, exec, s[6:7]
	s_nop 0
	v_mfma_f32_16x16x4f32 a[0:3], v10, v11, a[0:3]
	v_lshrrev_b32_e32 v11, 8, v17
	s_movk_i32 s4, 0x7f
	v_cmp_gt_i16_sdwa s[6:7], v11, s4 src0_sel:BYTE_0 src1_sel:DWORD
	s_mov_b64 s[4:5], 0
                                        ; implicit-def: $sgpr10
	s_and_saveexec_b64 s[8:9], s[6:7]
	s_xor_b64 s[6:7], exec, s[8:9]
	s_cbranch_execnz .LBB39_3689
; %bb.1641:
	s_or_saveexec_b64 s[6:7], s[6:7]
	v_mov_b32_e32 v10, s10
	s_xor_b64 exec, exec, s[6:7]
	s_cbranch_execnz .LBB39_3692
.LBB39_1642:
	s_or_b64 exec, exec, s[6:7]
	s_and_saveexec_b64 s[6:7], s[4:5]
	s_cbranch_execz .LBB39_1644
.LBB39_1643:
	v_bfe_u32 v10, v17, 8, 3
	v_ffbh_u32_e32 v14, v10
	v_min_u32_e32 v14, 32, v14
	v_lshrrev_b16_e32 v12, 3, v11
	v_subrev_u32_e32 v15, 28, v14
	v_and_b32_e32 v12, 15, v12
	v_lshlrev_b32_e32 v11, v15, v11
	v_sub_u32_e32 v14, 29, v14
	v_and_b32_e32 v11, 7, v11
	v_cmp_eq_u16_e32 vcc, 0, v12
	v_cndmask_b32_e32 v10, v10, v11, vcc
	v_cndmask_b32_e32 v11, v12, v14, vcc
	v_lshlrev_b32_e32 v12, 16, v17
	v_mov_b32_e32 v14, 0x3b800000
	v_lshlrev_b32_e32 v10, 20, v10
	v_and_b32_e32 v12, 0x80000000, v12
	v_lshl_add_u32 v11, v11, 23, v14
	v_or3_b32 v10, v12, v11, v10
.LBB39_1644:
	s_or_b64 exec, exec, s[6:7]
	v_lshrrev_b32_e32 v11, 8, v13
	s_movk_i32 s4, 0x7f
	v_cmp_gt_i16_sdwa s[6:7], v11, s4 src0_sel:BYTE_0 src1_sel:DWORD
	s_mov_b64 s[4:5], 0
                                        ; implicit-def: $sgpr10
	s_and_saveexec_b64 s[8:9], s[6:7]
	s_xor_b64 s[6:7], exec, s[8:9]
	s_cbranch_execnz .LBB39_3693
; %bb.1645:
	s_or_saveexec_b64 s[6:7], s[6:7]
	v_mov_b32_e32 v12, s10
	s_xor_b64 exec, exec, s[6:7]
	s_cbranch_execnz .LBB39_3696
.LBB39_1646:
	s_or_b64 exec, exec, s[6:7]
	s_and_saveexec_b64 s[6:7], s[4:5]
	s_cbranch_execz .LBB39_1648
.LBB39_1647:
	v_bfe_u32 v12, v13, 8, 3
	v_ffbh_u32_e32 v15, v12
	v_min_u32_e32 v15, 32, v15
	v_lshrrev_b16_e32 v14, 3, v11
	v_subrev_u32_e32 v16, 28, v15
	v_and_b32_e32 v14, 15, v14
	v_lshlrev_b32_e32 v11, v16, v11
	v_sub_u32_e32 v15, 29, v15
	v_and_b32_e32 v11, 7, v11
	v_cmp_eq_u16_e32 vcc, 0, v14
	v_cndmask_b32_e32 v11, v12, v11, vcc
	v_cndmask_b32_e32 v12, v14, v15, vcc
	v_lshlrev_b32_e32 v14, 16, v13
	v_mov_b32_e32 v15, 0x3b800000
	v_lshlrev_b32_e32 v11, 20, v11
	v_and_b32_e32 v14, 0x80000000, v14
	v_lshl_add_u32 v12, v12, 23, v15
	v_or3_b32 v12, v14, v12, v11
.LBB39_1648:
	s_or_b64 exec, exec, s[6:7]
	s_nop 0
	v_mfma_f32_16x16x4f32 a[0:3], v10, v12, a[0:3]
	s_movk_i32 s4, 0xff
	v_and_b32_sdwa v11, v17, s4 dst_sel:DWORD dst_unused:UNUSED_PAD src0_sel:WORD_1 src1_sel:DWORD
	s_movk_i32 s4, 0x7f
	v_cmp_lt_i16_e32 vcc, s4, v11
	s_mov_b64 s[4:5], 0
                                        ; implicit-def: $sgpr10
	s_and_saveexec_b64 s[6:7], vcc
	s_xor_b64 s[6:7], exec, s[6:7]
	s_cbranch_execnz .LBB39_3697
; %bb.1649:
	s_or_saveexec_b64 s[6:7], s[6:7]
	v_mov_b32_e32 v10, s10
	s_xor_b64 exec, exec, s[6:7]
	s_cbranch_execnz .LBB39_3700
.LBB39_1650:
	s_or_b64 exec, exec, s[6:7]
	s_and_saveexec_b64 s[6:7], s[4:5]
	s_cbranch_execz .LBB39_1652
.LBB39_1651:
	v_bfe_u32 v10, v17, 16, 3
	v_ffbh_u32_e32 v14, v10
	v_min_u32_e32 v14, 32, v14
	v_lshrrev_b32_e32 v11, 19, v17
	v_subrev_u32_e32 v15, 28, v14
	v_and_b32_e32 v11, 15, v11
	v_lshlrev_b32_sdwa v15, v15, v17 dst_sel:DWORD dst_unused:UNUSED_PAD src0_sel:DWORD src1_sel:WORD_1
	v_bfe_u32 v12, v17, 19, 4
	v_sub_u32_e32 v14, 29, v14
	v_and_b32_e32 v15, 7, v15
	v_cmp_eq_u16_e32 vcc, 0, v11
	v_cndmask_b32_e32 v10, v10, v15, vcc
	v_cndmask_b32_e32 v11, v12, v14, vcc
	v_lshlrev_b32_e32 v12, 8, v17
	v_mov_b32_e32 v14, 0x3b800000
	v_lshlrev_b32_e32 v10, 20, v10
	v_and_b32_e32 v12, 0x80000000, v12
	v_lshl_add_u32 v11, v11, 23, v14
	v_or3_b32 v10, v12, v11, v10
.LBB39_1652:
	s_or_b64 exec, exec, s[6:7]
	s_movk_i32 s4, 0xff
	v_and_b32_sdwa v11, v13, s4 dst_sel:DWORD dst_unused:UNUSED_PAD src0_sel:WORD_1 src1_sel:DWORD
	s_movk_i32 s4, 0x7f
	v_cmp_lt_i16_e32 vcc, s4, v11
	s_mov_b64 s[4:5], 0
                                        ; implicit-def: $sgpr10
	s_and_saveexec_b64 s[6:7], vcc
	s_xor_b64 s[6:7], exec, s[6:7]
	s_cbranch_execnz .LBB39_3701
; %bb.1653:
	s_or_saveexec_b64 s[6:7], s[6:7]
	v_mov_b32_e32 v12, s10
	s_xor_b64 exec, exec, s[6:7]
	s_cbranch_execnz .LBB39_3704
.LBB39_1654:
	s_or_b64 exec, exec, s[6:7]
	s_and_saveexec_b64 s[6:7], s[4:5]
	s_cbranch_execz .LBB39_1656
.LBB39_1655:
	v_bfe_u32 v11, v13, 16, 3
	v_ffbh_u32_e32 v15, v11
	v_min_u32_e32 v15, 32, v15
	v_lshrrev_b32_e32 v12, 19, v13
	v_subrev_u32_e32 v16, 28, v15
	v_and_b32_e32 v12, 15, v12
	v_lshlrev_b32_sdwa v16, v16, v13 dst_sel:DWORD dst_unused:UNUSED_PAD src0_sel:DWORD src1_sel:WORD_1
	v_bfe_u32 v14, v13, 19, 4
	v_sub_u32_e32 v15, 29, v15
	v_and_b32_e32 v16, 7, v16
	v_cmp_eq_u16_e32 vcc, 0, v12
	v_cndmask_b32_e32 v11, v11, v16, vcc
	v_cndmask_b32_e32 v12, v14, v15, vcc
	v_lshlrev_b32_e32 v14, 8, v13
	v_mov_b32_e32 v15, 0x3b800000
	v_lshlrev_b32_e32 v11, 20, v11
	v_and_b32_e32 v14, 0x80000000, v14
	v_lshl_add_u32 v12, v12, 23, v15
	v_or3_b32 v12, v14, v12, v11
.LBB39_1656:
	s_or_b64 exec, exec, s[6:7]
	s_nop 0
	v_mfma_f32_16x16x4f32 a[0:3], v10, v12, a[0:3]
	s_movk_i32 s4, 0x7f
	v_cmp_gt_i16_sdwa s[6:7], v17, s4 src0_sel:BYTE_3 src1_sel:DWORD
	s_mov_b64 s[4:5], 0
                                        ; implicit-def: $sgpr10
	s_and_saveexec_b64 s[8:9], s[6:7]
	s_xor_b64 s[6:7], exec, s[8:9]
	s_cbranch_execnz .LBB39_3705
; %bb.1657:
	s_or_saveexec_b64 s[6:7], s[6:7]
	v_mov_b32_e32 v10, s10
	s_xor_b64 exec, exec, s[6:7]
	s_cbranch_execnz .LBB39_3708
.LBB39_1658:
	s_or_b64 exec, exec, s[6:7]
	s_and_saveexec_b64 s[6:7], s[4:5]
	s_cbranch_execz .LBB39_1660
.LBB39_1659:
	v_bfe_u32 v10, v17, 24, 3
	v_ffbh_u32_e32 v15, v10
	v_min_u32_e32 v15, 32, v15
	v_lshrrev_b32_e32 v12, 27, v17
	v_subrev_u32_e32 v16, 28, v15
	v_and_b32_e32 v12, 15, v12
	v_lshlrev_b32_sdwa v16, v16, v17 dst_sel:DWORD dst_unused:UNUSED_PAD src0_sel:DWORD src1_sel:BYTE_3
	v_bfe_u32 v14, v17, 27, 4
	v_sub_u32_e32 v15, 29, v15
	v_and_b32_e32 v16, 7, v16
	v_cmp_eq_u16_e32 vcc, 0, v12
	v_cndmask_b32_e32 v10, v10, v16, vcc
	v_cndmask_b32_e32 v12, v14, v15, vcc
	v_mov_b32_e32 v14, 0x3b800000
	v_and_b32_e32 v11, 0x80000000, v17
	v_lshlrev_b32_e32 v10, 20, v10
	v_lshl_add_u32 v12, v12, 23, v14
	v_or3_b32 v10, v11, v12, v10
.LBB39_1660:
	s_or_b64 exec, exec, s[6:7]
	s_movk_i32 s4, 0x7f
	v_cmp_gt_i16_sdwa s[6:7], v13, s4 src0_sel:BYTE_3 src1_sel:DWORD
	s_mov_b64 s[4:5], 0
                                        ; implicit-def: $sgpr10
	s_and_saveexec_b64 s[8:9], s[6:7]
	s_xor_b64 s[6:7], exec, s[8:9]
	s_cbranch_execnz .LBB39_3709
; %bb.1661:
	s_or_saveexec_b64 s[6:7], s[6:7]
	v_mov_b32_e32 v11, s10
	s_xor_b64 exec, exec, s[6:7]
	s_cbranch_execnz .LBB39_3712
.LBB39_1662:
	s_or_b64 exec, exec, s[6:7]
	s_and_saveexec_b64 s[6:7], s[4:5]
	s_cbranch_execz .LBB39_1664
.LBB39_1663:
	v_bfe_u32 v11, v13, 24, 3
	v_ffbh_u32_e32 v16, v11
	v_min_u32_e32 v16, 32, v16
	v_lshrrev_b32_e32 v14, 27, v13
	v_subrev_u32_e32 v17, 28, v16
	v_and_b32_e32 v12, 0x80000000, v13
	v_and_b32_e32 v14, 15, v14
	v_bfe_u32 v15, v13, 27, 4
	v_lshlrev_b32_sdwa v13, v17, v13 dst_sel:DWORD dst_unused:UNUSED_PAD src0_sel:DWORD src1_sel:BYTE_3
	v_sub_u32_e32 v16, 29, v16
	v_and_b32_e32 v13, 7, v13
	v_cmp_eq_u16_e32 vcc, 0, v14
	v_cndmask_b32_e32 v11, v11, v13, vcc
	v_cndmask_b32_e32 v13, v15, v16, vcc
	v_mov_b32_e32 v14, 0x3b800000
	v_lshlrev_b32_e32 v11, 20, v11
	v_lshl_add_u32 v13, v13, 23, v14
	v_or3_b32 v11, v12, v13, v11
.LBB39_1664:
	s_or_b64 exec, exec, s[6:7]
	s_nop 0
	v_mfma_f32_16x16x4f32 a[0:3], v10, v11, a[0:3]
	s_movk_i32 s4, 0x7f
	v_cmp_gt_i16_sdwa s[6:7], v6, s4 src0_sel:BYTE_0 src1_sel:DWORD
	s_mov_b64 s[4:5], 0
                                        ; implicit-def: $sgpr10
	s_and_saveexec_b64 s[8:9], s[6:7]
	s_xor_b64 s[6:7], exec, s[8:9]
	s_cbranch_execnz .LBB39_3713
; %bb.1665:
	s_or_saveexec_b64 s[6:7], s[6:7]
	v_mov_b32_e32 v10, s10
	s_xor_b64 exec, exec, s[6:7]
	s_cbranch_execnz .LBB39_3716
.LBB39_1666:
	s_or_b64 exec, exec, s[6:7]
	s_and_saveexec_b64 s[6:7], s[4:5]
	s_cbranch_execz .LBB39_1668
.LBB39_1667:
	v_and_b32_e32 v10, 7, v6
	v_ffbh_u32_e32 v12, v10
	v_min_u32_e32 v12, 32, v12
	v_lshrrev_b16_e32 v11, 3, v6
	v_subrev_u32_e32 v13, 28, v12
	v_and_b32_e32 v11, 15, v11
	v_lshlrev_b32_e32 v13, v13, v6
	v_sub_u32_e32 v12, 29, v12
	v_and_b32_e32 v13, 7, v13
	v_cmp_eq_u16_e32 vcc, 0, v11
	v_cndmask_b32_e32 v10, v10, v13, vcc
	v_cndmask_b32_e32 v11, v11, v12, vcc
	v_lshlrev_b32_e32 v12, 24, v6
	v_mov_b32_e32 v13, 0x3b800000
	v_lshlrev_b32_e32 v10, 20, v10
	v_and_b32_e32 v12, 0x80000000, v12
	v_lshl_add_u32 v11, v11, 23, v13
	v_or3_b32 v10, v12, v11, v10
.LBB39_1668:
	s_or_b64 exec, exec, s[6:7]
	s_movk_i32 s4, 0x7f
	v_cmp_gt_i16_sdwa s[6:7], v2, s4 src0_sel:BYTE_0 src1_sel:DWORD
	s_mov_b64 s[4:5], 0
                                        ; implicit-def: $sgpr10
	s_and_saveexec_b64 s[8:9], s[6:7]
	s_xor_b64 s[6:7], exec, s[8:9]
	s_cbranch_execnz .LBB39_3717
; %bb.1669:
	s_or_saveexec_b64 s[6:7], s[6:7]
	v_mov_b32_e32 v11, s10
	s_xor_b64 exec, exec, s[6:7]
	s_cbranch_execnz .LBB39_3720
.LBB39_1670:
	s_or_b64 exec, exec, s[6:7]
	s_and_saveexec_b64 s[6:7], s[4:5]
	s_cbranch_execz .LBB39_1672
.LBB39_1671:
	v_and_b32_e32 v11, 7, v2
	v_ffbh_u32_e32 v13, v11
	v_min_u32_e32 v13, 32, v13
	v_lshrrev_b16_e32 v12, 3, v2
	v_subrev_u32_e32 v14, 28, v13
	v_and_b32_e32 v12, 15, v12
	v_lshlrev_b32_e32 v14, v14, v2
	v_sub_u32_e32 v13, 29, v13
	v_and_b32_e32 v14, 7, v14
	v_cmp_eq_u16_e32 vcc, 0, v12
	v_cndmask_b32_e32 v11, v11, v14, vcc
	v_cndmask_b32_e32 v12, v12, v13, vcc
	v_lshlrev_b32_e32 v13, 24, v2
	v_mov_b32_e32 v14, 0x3b800000
	v_lshlrev_b32_e32 v11, 20, v11
	v_and_b32_e32 v13, 0x80000000, v13
	v_lshl_add_u32 v12, v12, 23, v14
	v_or3_b32 v11, v13, v12, v11
.LBB39_1672:
	s_or_b64 exec, exec, s[6:7]
	s_nop 0
	v_mfma_f32_16x16x4f32 a[0:3], v10, v11, a[0:3]
	v_lshrrev_b32_e32 v11, 8, v6
	s_movk_i32 s4, 0x7f
	v_cmp_gt_i16_sdwa s[6:7], v11, s4 src0_sel:BYTE_0 src1_sel:DWORD
	s_mov_b64 s[4:5], 0
                                        ; implicit-def: $sgpr10
	s_and_saveexec_b64 s[8:9], s[6:7]
	s_xor_b64 s[6:7], exec, s[8:9]
	s_cbranch_execnz .LBB39_3721
; %bb.1673:
	s_or_saveexec_b64 s[6:7], s[6:7]
	v_mov_b32_e32 v10, s10
	s_xor_b64 exec, exec, s[6:7]
	s_cbranch_execnz .LBB39_3724
.LBB39_1674:
	s_or_b64 exec, exec, s[6:7]
	s_and_saveexec_b64 s[6:7], s[4:5]
	s_cbranch_execz .LBB39_1676
.LBB39_1675:
	v_bfe_u32 v10, v6, 8, 3
	v_ffbh_u32_e32 v13, v10
	v_min_u32_e32 v13, 32, v13
	v_lshrrev_b16_e32 v12, 3, v11
	v_subrev_u32_e32 v14, 28, v13
	v_and_b32_e32 v12, 15, v12
	v_lshlrev_b32_e32 v11, v14, v11
	v_sub_u32_e32 v13, 29, v13
	v_and_b32_e32 v11, 7, v11
	v_cmp_eq_u16_e32 vcc, 0, v12
	v_cndmask_b32_e32 v10, v10, v11, vcc
	v_cndmask_b32_e32 v11, v12, v13, vcc
	v_lshlrev_b32_e32 v12, 16, v6
	v_mov_b32_e32 v13, 0x3b800000
	v_lshlrev_b32_e32 v10, 20, v10
	v_and_b32_e32 v12, 0x80000000, v12
	v_lshl_add_u32 v11, v11, 23, v13
	v_or3_b32 v10, v12, v11, v10
.LBB39_1676:
	s_or_b64 exec, exec, s[6:7]
	v_lshrrev_b32_e32 v11, 8, v2
	s_movk_i32 s4, 0x7f
	v_cmp_gt_i16_sdwa s[6:7], v11, s4 src0_sel:BYTE_0 src1_sel:DWORD
	s_mov_b64 s[4:5], 0
                                        ; implicit-def: $sgpr10
	s_and_saveexec_b64 s[8:9], s[6:7]
	s_xor_b64 s[6:7], exec, s[8:9]
	s_cbranch_execnz .LBB39_3725
; %bb.1677:
	s_or_saveexec_b64 s[6:7], s[6:7]
	v_mov_b32_e32 v12, s10
	s_xor_b64 exec, exec, s[6:7]
	s_cbranch_execnz .LBB39_3728
.LBB39_1678:
	s_or_b64 exec, exec, s[6:7]
	s_and_saveexec_b64 s[6:7], s[4:5]
	s_cbranch_execz .LBB39_1680
.LBB39_1679:
	v_bfe_u32 v12, v2, 8, 3
	v_ffbh_u32_e32 v14, v12
	v_min_u32_e32 v14, 32, v14
	v_lshrrev_b16_e32 v13, 3, v11
	v_subrev_u32_e32 v15, 28, v14
	v_and_b32_e32 v13, 15, v13
	v_lshlrev_b32_e32 v11, v15, v11
	v_sub_u32_e32 v14, 29, v14
	v_and_b32_e32 v11, 7, v11
	v_cmp_eq_u16_e32 vcc, 0, v13
	v_cndmask_b32_e32 v11, v12, v11, vcc
	v_cndmask_b32_e32 v12, v13, v14, vcc
	v_lshlrev_b32_e32 v13, 16, v2
	v_mov_b32_e32 v14, 0x3b800000
	v_lshlrev_b32_e32 v11, 20, v11
	v_and_b32_e32 v13, 0x80000000, v13
	v_lshl_add_u32 v12, v12, 23, v14
	v_or3_b32 v12, v13, v12, v11
.LBB39_1680:
	s_or_b64 exec, exec, s[6:7]
	s_nop 0
	v_mfma_f32_16x16x4f32 a[0:3], v10, v12, a[0:3]
	s_movk_i32 s4, 0xff
	v_and_b32_sdwa v11, v6, s4 dst_sel:DWORD dst_unused:UNUSED_PAD src0_sel:WORD_1 src1_sel:DWORD
	s_movk_i32 s4, 0x7f
	v_cmp_lt_i16_e32 vcc, s4, v11
	s_mov_b64 s[4:5], 0
                                        ; implicit-def: $sgpr10
	s_and_saveexec_b64 s[6:7], vcc
	s_xor_b64 s[6:7], exec, s[6:7]
	s_cbranch_execnz .LBB39_3729
; %bb.1681:
	s_or_saveexec_b64 s[6:7], s[6:7]
	v_mov_b32_e32 v10, s10
	s_xor_b64 exec, exec, s[6:7]
	s_cbranch_execnz .LBB39_3732
.LBB39_1682:
	s_or_b64 exec, exec, s[6:7]
	s_and_saveexec_b64 s[6:7], s[4:5]
	s_cbranch_execz .LBB39_1684
.LBB39_1683:
	v_bfe_u32 v10, v6, 16, 3
	v_ffbh_u32_e32 v13, v10
	v_min_u32_e32 v13, 32, v13
	v_lshrrev_b32_e32 v11, 19, v6
	v_subrev_u32_e32 v14, 28, v13
	v_and_b32_e32 v11, 15, v11
	v_lshlrev_b32_sdwa v14, v14, v6 dst_sel:DWORD dst_unused:UNUSED_PAD src0_sel:DWORD src1_sel:WORD_1
	v_bfe_u32 v12, v6, 19, 4
	v_sub_u32_e32 v13, 29, v13
	v_and_b32_e32 v14, 7, v14
	v_cmp_eq_u16_e32 vcc, 0, v11
	v_cndmask_b32_e32 v10, v10, v14, vcc
	v_cndmask_b32_e32 v11, v12, v13, vcc
	v_lshlrev_b32_e32 v12, 8, v6
	v_mov_b32_e32 v13, 0x3b800000
	v_lshlrev_b32_e32 v10, 20, v10
	v_and_b32_e32 v12, 0x80000000, v12
	v_lshl_add_u32 v11, v11, 23, v13
	v_or3_b32 v10, v12, v11, v10
.LBB39_1684:
	s_or_b64 exec, exec, s[6:7]
	s_movk_i32 s4, 0xff
	v_and_b32_sdwa v11, v2, s4 dst_sel:DWORD dst_unused:UNUSED_PAD src0_sel:WORD_1 src1_sel:DWORD
	s_movk_i32 s4, 0x7f
	v_cmp_lt_i16_e32 vcc, s4, v11
	s_mov_b64 s[4:5], 0
                                        ; implicit-def: $sgpr10
	s_and_saveexec_b64 s[6:7], vcc
	s_xor_b64 s[6:7], exec, s[6:7]
	s_cbranch_execnz .LBB39_3733
; %bb.1685:
	s_or_saveexec_b64 s[6:7], s[6:7]
	v_mov_b32_e32 v12, s10
	s_xor_b64 exec, exec, s[6:7]
	s_cbranch_execnz .LBB39_3736
.LBB39_1686:
	s_or_b64 exec, exec, s[6:7]
	s_and_saveexec_b64 s[6:7], s[4:5]
	s_cbranch_execz .LBB39_1688
.LBB39_1687:
	v_bfe_u32 v11, v2, 16, 3
	v_ffbh_u32_e32 v14, v11
	v_min_u32_e32 v14, 32, v14
	v_lshrrev_b32_e32 v12, 19, v2
	v_subrev_u32_e32 v15, 28, v14
	v_and_b32_e32 v12, 15, v12
	v_lshlrev_b32_sdwa v15, v15, v2 dst_sel:DWORD dst_unused:UNUSED_PAD src0_sel:DWORD src1_sel:WORD_1
	v_bfe_u32 v13, v2, 19, 4
	v_sub_u32_e32 v14, 29, v14
	v_and_b32_e32 v15, 7, v15
	v_cmp_eq_u16_e32 vcc, 0, v12
	v_cndmask_b32_e32 v11, v11, v15, vcc
	v_cndmask_b32_e32 v12, v13, v14, vcc
	v_lshlrev_b32_e32 v13, 8, v2
	v_mov_b32_e32 v14, 0x3b800000
	v_lshlrev_b32_e32 v11, 20, v11
	v_and_b32_e32 v13, 0x80000000, v13
	v_lshl_add_u32 v12, v12, 23, v14
	v_or3_b32 v12, v13, v12, v11
.LBB39_1688:
	s_or_b64 exec, exec, s[6:7]
	s_nop 0
	v_mfma_f32_16x16x4f32 a[0:3], v10, v12, a[0:3]
	s_movk_i32 s4, 0x7f
	v_cmp_gt_i16_sdwa s[6:7], v6, s4 src0_sel:BYTE_3 src1_sel:DWORD
	s_mov_b64 s[4:5], 0
                                        ; implicit-def: $sgpr10
	s_and_saveexec_b64 s[8:9], s[6:7]
	s_xor_b64 s[6:7], exec, s[8:9]
	s_cbranch_execnz .LBB39_3737
; %bb.1689:
	s_or_saveexec_b64 s[6:7], s[6:7]
	v_mov_b32_e32 v10, s10
	s_xor_b64 exec, exec, s[6:7]
	s_cbranch_execnz .LBB39_3740
.LBB39_1690:
	s_or_b64 exec, exec, s[6:7]
	s_and_saveexec_b64 s[6:7], s[4:5]
	s_cbranch_execz .LBB39_1692
.LBB39_1691:
	v_bfe_u32 v10, v6, 24, 3
	v_ffbh_u32_e32 v14, v10
	v_min_u32_e32 v14, 32, v14
	v_lshrrev_b32_e32 v12, 27, v6
	v_subrev_u32_e32 v15, 28, v14
	v_and_b32_e32 v11, 0x80000000, v6
	v_and_b32_e32 v12, 15, v12
	v_bfe_u32 v13, v6, 27, 4
	v_lshlrev_b32_sdwa v6, v15, v6 dst_sel:DWORD dst_unused:UNUSED_PAD src0_sel:DWORD src1_sel:BYTE_3
	v_sub_u32_e32 v14, 29, v14
	v_and_b32_e32 v6, 7, v6
	v_cmp_eq_u16_e32 vcc, 0, v12
	v_cndmask_b32_e32 v6, v10, v6, vcc
	v_cndmask_b32_e32 v10, v13, v14, vcc
	v_mov_b32_e32 v12, 0x3b800000
	v_lshlrev_b32_e32 v6, 20, v6
	v_lshl_add_u32 v10, v10, 23, v12
	v_or3_b32 v10, v11, v10, v6
.LBB39_1692:
	s_or_b64 exec, exec, s[6:7]
	s_movk_i32 s4, 0x7f
	v_cmp_gt_i16_sdwa s[6:7], v2, s4 src0_sel:BYTE_3 src1_sel:DWORD
	s_mov_b64 s[4:5], 0
                                        ; implicit-def: $sgpr10
	s_and_saveexec_b64 s[8:9], s[6:7]
	s_xor_b64 s[6:7], exec, s[8:9]
	s_cbranch_execnz .LBB39_3741
; %bb.1693:
	s_or_saveexec_b64 s[6:7], s[6:7]
	v_mov_b32_e32 v6, s10
	s_xor_b64 exec, exec, s[6:7]
	s_cbranch_execnz .LBB39_3744
.LBB39_1694:
	s_or_b64 exec, exec, s[6:7]
	s_and_saveexec_b64 s[6:7], s[4:5]
	s_cbranch_execz .LBB39_1696
.LBB39_1695:
	v_bfe_u32 v6, v2, 24, 3
	v_ffbh_u32_e32 v14, v6
	v_min_u32_e32 v14, 32, v14
	v_lshrrev_b32_e32 v12, 27, v2
	v_subrev_u32_e32 v15, 28, v14
	v_and_b32_e32 v11, 0x80000000, v2
	v_and_b32_e32 v12, 15, v12
	v_bfe_u32 v13, v2, 27, 4
	v_lshlrev_b32_sdwa v2, v15, v2 dst_sel:DWORD dst_unused:UNUSED_PAD src0_sel:DWORD src1_sel:BYTE_3
	v_sub_u32_e32 v14, 29, v14
	v_and_b32_e32 v2, 7, v2
	v_cmp_eq_u16_e32 vcc, 0, v12
	v_cndmask_b32_e32 v2, v6, v2, vcc
	v_cndmask_b32_e32 v6, v13, v14, vcc
	v_mov_b32_e32 v12, 0x3b800000
	v_lshlrev_b32_e32 v2, 20, v2
	v_lshl_add_u32 v6, v6, 23, v12
	v_or3_b32 v6, v11, v6, v2
.LBB39_1696:
	s_or_b64 exec, exec, s[6:7]
	s_nop 0
	v_mfma_f32_16x16x4f32 a[0:3], v10, v6, a[0:3]
	s_movk_i32 s4, 0x7f
	v_cmp_gt_i16_sdwa s[6:7], v7, s4 src0_sel:BYTE_0 src1_sel:DWORD
	s_mov_b64 s[4:5], 0
                                        ; implicit-def: $sgpr10
	s_and_saveexec_b64 s[8:9], s[6:7]
	s_xor_b64 s[6:7], exec, s[8:9]
	s_cbranch_execnz .LBB39_3745
; %bb.1697:
	s_or_saveexec_b64 s[6:7], s[6:7]
	v_mov_b32_e32 v2, s10
	s_xor_b64 exec, exec, s[6:7]
	s_cbranch_execnz .LBB39_3748
.LBB39_1698:
	s_or_b64 exec, exec, s[6:7]
	s_and_saveexec_b64 s[6:7], s[4:5]
	s_cbranch_execz .LBB39_1700
.LBB39_1699:
	v_and_b32_e32 v2, 7, v7
	v_ffbh_u32_e32 v10, v2
	v_min_u32_e32 v10, 32, v10
	v_lshrrev_b16_e32 v6, 3, v7
	v_subrev_u32_e32 v11, 28, v10
	v_and_b32_e32 v6, 15, v6
	v_lshlrev_b32_e32 v11, v11, v7
	v_sub_u32_e32 v10, 29, v10
	v_and_b32_e32 v11, 7, v11
	v_cmp_eq_u16_e32 vcc, 0, v6
	v_cndmask_b32_e32 v2, v2, v11, vcc
	v_cndmask_b32_e32 v6, v6, v10, vcc
	v_lshlrev_b32_e32 v10, 24, v7
	v_mov_b32_e32 v11, 0x3b800000
	v_lshlrev_b32_e32 v2, 20, v2
	v_and_b32_e32 v10, 0x80000000, v10
	v_lshl_add_u32 v6, v6, 23, v11
	v_or3_b32 v2, v10, v6, v2
.LBB39_1700:
	s_or_b64 exec, exec, s[6:7]
	s_movk_i32 s4, 0x7f
	v_cmp_gt_i16_sdwa s[6:7], v3, s4 src0_sel:BYTE_0 src1_sel:DWORD
	s_mov_b64 s[4:5], 0
                                        ; implicit-def: $sgpr10
	s_and_saveexec_b64 s[8:9], s[6:7]
	s_xor_b64 s[6:7], exec, s[8:9]
	s_cbranch_execnz .LBB39_3749
; %bb.1701:
	s_or_saveexec_b64 s[6:7], s[6:7]
	v_mov_b32_e32 v6, s10
	s_xor_b64 exec, exec, s[6:7]
	s_cbranch_execnz .LBB39_3752
.LBB39_1702:
	s_or_b64 exec, exec, s[6:7]
	s_and_saveexec_b64 s[6:7], s[4:5]
	s_cbranch_execz .LBB39_1704
.LBB39_1703:
	v_and_b32_e32 v6, 7, v3
	v_ffbh_u32_e32 v11, v6
	v_min_u32_e32 v11, 32, v11
	v_lshrrev_b16_e32 v10, 3, v3
	v_subrev_u32_e32 v12, 28, v11
	v_and_b32_e32 v10, 15, v10
	v_lshlrev_b32_e32 v12, v12, v3
	v_sub_u32_e32 v11, 29, v11
	v_and_b32_e32 v12, 7, v12
	v_cmp_eq_u16_e32 vcc, 0, v10
	v_cndmask_b32_e32 v6, v6, v12, vcc
	v_cndmask_b32_e32 v10, v10, v11, vcc
	v_lshlrev_b32_e32 v11, 24, v3
	v_mov_b32_e32 v12, 0x3b800000
	v_lshlrev_b32_e32 v6, 20, v6
	v_and_b32_e32 v11, 0x80000000, v11
	v_lshl_add_u32 v10, v10, 23, v12
	v_or3_b32 v6, v11, v10, v6
.LBB39_1704:
	s_or_b64 exec, exec, s[6:7]
	s_nop 0
	v_mfma_f32_16x16x4f32 a[0:3], v2, v6, a[0:3]
	v_lshrrev_b32_e32 v6, 8, v7
	s_movk_i32 s4, 0x7f
	v_cmp_gt_i16_sdwa s[6:7], v6, s4 src0_sel:BYTE_0 src1_sel:DWORD
	s_mov_b64 s[4:5], 0
                                        ; implicit-def: $sgpr10
	s_and_saveexec_b64 s[8:9], s[6:7]
	s_xor_b64 s[6:7], exec, s[8:9]
	s_cbranch_execnz .LBB39_3753
; %bb.1705:
	s_or_saveexec_b64 s[6:7], s[6:7]
	v_mov_b32_e32 v2, s10
	s_xor_b64 exec, exec, s[6:7]
	s_cbranch_execnz .LBB39_3756
.LBB39_1706:
	s_or_b64 exec, exec, s[6:7]
	s_and_saveexec_b64 s[6:7], s[4:5]
	s_cbranch_execz .LBB39_1708
.LBB39_1707:
	v_bfe_u32 v2, v7, 8, 3
	v_ffbh_u32_e32 v11, v2
	v_min_u32_e32 v11, 32, v11
	v_lshrrev_b16_e32 v10, 3, v6
	v_subrev_u32_e32 v12, 28, v11
	v_and_b32_e32 v10, 15, v10
	v_lshlrev_b32_e32 v6, v12, v6
	v_sub_u32_e32 v11, 29, v11
	v_and_b32_e32 v6, 7, v6
	v_cmp_eq_u16_e32 vcc, 0, v10
	v_cndmask_b32_e32 v2, v2, v6, vcc
	v_cndmask_b32_e32 v6, v10, v11, vcc
	v_lshlrev_b32_e32 v10, 16, v7
	v_mov_b32_e32 v11, 0x3b800000
	v_lshlrev_b32_e32 v2, 20, v2
	v_and_b32_e32 v10, 0x80000000, v10
	v_lshl_add_u32 v6, v6, 23, v11
	v_or3_b32 v2, v10, v6, v2
.LBB39_1708:
	s_or_b64 exec, exec, s[6:7]
	v_lshrrev_b32_e32 v6, 8, v3
	s_movk_i32 s4, 0x7f
	v_cmp_gt_i16_sdwa s[6:7], v6, s4 src0_sel:BYTE_0 src1_sel:DWORD
	s_mov_b64 s[4:5], 0
                                        ; implicit-def: $sgpr10
	s_and_saveexec_b64 s[8:9], s[6:7]
	s_xor_b64 s[6:7], exec, s[8:9]
	s_cbranch_execnz .LBB39_3757
; %bb.1709:
	s_or_saveexec_b64 s[6:7], s[6:7]
	v_mov_b32_e32 v10, s10
	s_xor_b64 exec, exec, s[6:7]
	s_cbranch_execnz .LBB39_3760
.LBB39_1710:
	s_or_b64 exec, exec, s[6:7]
	s_and_saveexec_b64 s[6:7], s[4:5]
	s_cbranch_execz .LBB39_1712
.LBB39_1711:
	v_bfe_u32 v10, v3, 8, 3
	v_ffbh_u32_e32 v12, v10
	v_min_u32_e32 v12, 32, v12
	v_lshrrev_b16_e32 v11, 3, v6
	v_subrev_u32_e32 v13, 28, v12
	v_and_b32_e32 v11, 15, v11
	v_lshlrev_b32_e32 v6, v13, v6
	v_sub_u32_e32 v12, 29, v12
	v_and_b32_e32 v6, 7, v6
	v_cmp_eq_u16_e32 vcc, 0, v11
	v_cndmask_b32_e32 v6, v10, v6, vcc
	v_cndmask_b32_e32 v10, v11, v12, vcc
	v_lshlrev_b32_e32 v11, 16, v3
	v_mov_b32_e32 v12, 0x3b800000
	v_lshlrev_b32_e32 v6, 20, v6
	v_and_b32_e32 v11, 0x80000000, v11
	v_lshl_add_u32 v10, v10, 23, v12
	v_or3_b32 v10, v11, v10, v6
.LBB39_1712:
	s_or_b64 exec, exec, s[6:7]
	s_nop 0
	v_mfma_f32_16x16x4f32 a[0:3], v2, v10, a[0:3]
	s_movk_i32 s4, 0xff
	v_and_b32_sdwa v6, v7, s4 dst_sel:DWORD dst_unused:UNUSED_PAD src0_sel:WORD_1 src1_sel:DWORD
	s_movk_i32 s4, 0x7f
	v_cmp_lt_i16_e32 vcc, s4, v6
	s_mov_b64 s[4:5], 0
                                        ; implicit-def: $sgpr10
	s_and_saveexec_b64 s[6:7], vcc
	s_xor_b64 s[6:7], exec, s[6:7]
	s_cbranch_execnz .LBB39_3761
; %bb.1713:
	s_or_saveexec_b64 s[6:7], s[6:7]
	v_mov_b32_e32 v2, s10
	s_xor_b64 exec, exec, s[6:7]
	s_cbranch_execnz .LBB39_3764
.LBB39_1714:
	s_or_b64 exec, exec, s[6:7]
	s_and_saveexec_b64 s[6:7], s[4:5]
	s_cbranch_execz .LBB39_1716
.LBB39_1715:
	v_bfe_u32 v2, v7, 16, 3
	v_ffbh_u32_e32 v11, v2
	v_min_u32_e32 v11, 32, v11
	v_lshrrev_b32_e32 v6, 19, v7
	v_subrev_u32_e32 v12, 28, v11
	v_and_b32_e32 v6, 15, v6
	v_lshlrev_b32_sdwa v12, v12, v7 dst_sel:DWORD dst_unused:UNUSED_PAD src0_sel:DWORD src1_sel:WORD_1
	v_bfe_u32 v10, v7, 19, 4
	v_sub_u32_e32 v11, 29, v11
	v_and_b32_e32 v12, 7, v12
	v_cmp_eq_u16_e32 vcc, 0, v6
	v_cndmask_b32_e32 v2, v2, v12, vcc
	v_cndmask_b32_e32 v6, v10, v11, vcc
	v_lshlrev_b32_e32 v10, 8, v7
	v_mov_b32_e32 v11, 0x3b800000
	v_lshlrev_b32_e32 v2, 20, v2
	v_and_b32_e32 v10, 0x80000000, v10
	v_lshl_add_u32 v6, v6, 23, v11
	v_or3_b32 v2, v10, v6, v2
.LBB39_1716:
	s_or_b64 exec, exec, s[6:7]
	s_movk_i32 s4, 0xff
	v_and_b32_sdwa v6, v3, s4 dst_sel:DWORD dst_unused:UNUSED_PAD src0_sel:WORD_1 src1_sel:DWORD
	s_movk_i32 s4, 0x7f
	v_cmp_lt_i16_e32 vcc, s4, v6
	s_mov_b64 s[4:5], 0
                                        ; implicit-def: $sgpr10
	s_and_saveexec_b64 s[6:7], vcc
	s_xor_b64 s[6:7], exec, s[6:7]
	s_cbranch_execnz .LBB39_3765
; %bb.1717:
	s_or_saveexec_b64 s[6:7], s[6:7]
	v_mov_b32_e32 v10, s10
	s_xor_b64 exec, exec, s[6:7]
	s_cbranch_execnz .LBB39_3768
.LBB39_1718:
	s_or_b64 exec, exec, s[6:7]
	s_and_saveexec_b64 s[6:7], s[4:5]
	s_cbranch_execz .LBB39_1720
.LBB39_1719:
	v_bfe_u32 v6, v3, 16, 3
	v_ffbh_u32_e32 v12, v6
	v_min_u32_e32 v12, 32, v12
	v_lshrrev_b32_e32 v10, 19, v3
	v_subrev_u32_e32 v13, 28, v12
	v_and_b32_e32 v10, 15, v10
	v_lshlrev_b32_sdwa v13, v13, v3 dst_sel:DWORD dst_unused:UNUSED_PAD src0_sel:DWORD src1_sel:WORD_1
	v_bfe_u32 v11, v3, 19, 4
	v_sub_u32_e32 v12, 29, v12
	v_and_b32_e32 v13, 7, v13
	v_cmp_eq_u16_e32 vcc, 0, v10
	v_cndmask_b32_e32 v6, v6, v13, vcc
	v_cndmask_b32_e32 v10, v11, v12, vcc
	v_lshlrev_b32_e32 v11, 8, v3
	v_mov_b32_e32 v12, 0x3b800000
	v_lshlrev_b32_e32 v6, 20, v6
	v_and_b32_e32 v11, 0x80000000, v11
	v_lshl_add_u32 v10, v10, 23, v12
	v_or3_b32 v10, v11, v10, v6
.LBB39_1720:
	s_or_b64 exec, exec, s[6:7]
	s_nop 0
	v_mfma_f32_16x16x4f32 a[0:3], v2, v10, a[0:3]
	s_movk_i32 s4, 0x7f
	v_cmp_gt_i16_sdwa s[6:7], v7, s4 src0_sel:BYTE_3 src1_sel:DWORD
	s_mov_b64 s[4:5], 0
                                        ; implicit-def: $sgpr10
	s_and_saveexec_b64 s[8:9], s[6:7]
	s_xor_b64 s[6:7], exec, s[8:9]
	s_cbranch_execnz .LBB39_3769
; %bb.1721:
	s_or_saveexec_b64 s[6:7], s[6:7]
	v_mov_b32_e32 v2, s10
	s_xor_b64 exec, exec, s[6:7]
	s_cbranch_execnz .LBB39_3772
.LBB39_1722:
	s_or_b64 exec, exec, s[6:7]
	s_and_saveexec_b64 s[6:7], s[4:5]
	s_cbranch_execz .LBB39_1724
.LBB39_1723:
	v_bfe_u32 v2, v7, 24, 3
	v_ffbh_u32_e32 v12, v2
	v_min_u32_e32 v12, 32, v12
	v_lshrrev_b32_e32 v10, 27, v7
	v_subrev_u32_e32 v13, 28, v12
	v_and_b32_e32 v6, 0x80000000, v7
	v_and_b32_e32 v10, 15, v10
	v_bfe_u32 v11, v7, 27, 4
	v_lshlrev_b32_sdwa v7, v13, v7 dst_sel:DWORD dst_unused:UNUSED_PAD src0_sel:DWORD src1_sel:BYTE_3
	v_sub_u32_e32 v12, 29, v12
	v_and_b32_e32 v7, 7, v7
	v_cmp_eq_u16_e32 vcc, 0, v10
	v_cndmask_b32_e32 v2, v2, v7, vcc
	v_cndmask_b32_e32 v7, v11, v12, vcc
	v_mov_b32_e32 v10, 0x3b800000
	v_lshlrev_b32_e32 v2, 20, v2
	v_lshl_add_u32 v7, v7, 23, v10
	v_or3_b32 v2, v6, v7, v2
.LBB39_1724:
	s_or_b64 exec, exec, s[6:7]
	s_movk_i32 s4, 0x7f
	v_cmp_gt_i16_sdwa s[6:7], v3, s4 src0_sel:BYTE_3 src1_sel:DWORD
	s_mov_b64 s[4:5], 0
                                        ; implicit-def: $sgpr10
	s_and_saveexec_b64 s[8:9], s[6:7]
	s_xor_b64 s[6:7], exec, s[8:9]
	s_cbranch_execnz .LBB39_3773
; %bb.1725:
	s_or_saveexec_b64 s[6:7], s[6:7]
	v_mov_b32_e32 v6, s10
	s_xor_b64 exec, exec, s[6:7]
	s_cbranch_execnz .LBB39_3776
.LBB39_1726:
	s_or_b64 exec, exec, s[6:7]
	s_and_saveexec_b64 s[6:7], s[4:5]
	s_cbranch_execz .LBB39_1728
.LBB39_1727:
	v_bfe_u32 v6, v3, 24, 3
	v_ffbh_u32_e32 v12, v6
	v_min_u32_e32 v12, 32, v12
	v_lshrrev_b32_e32 v10, 27, v3
	v_subrev_u32_e32 v13, 28, v12
	v_and_b32_e32 v7, 0x80000000, v3
	v_and_b32_e32 v10, 15, v10
	v_bfe_u32 v11, v3, 27, 4
	v_lshlrev_b32_sdwa v3, v13, v3 dst_sel:DWORD dst_unused:UNUSED_PAD src0_sel:DWORD src1_sel:BYTE_3
	v_sub_u32_e32 v12, 29, v12
	v_and_b32_e32 v3, 7, v3
	v_cmp_eq_u16_e32 vcc, 0, v10
	v_cndmask_b32_e32 v3, v6, v3, vcc
	v_cndmask_b32_e32 v6, v11, v12, vcc
	v_mov_b32_e32 v10, 0x3b800000
	v_lshlrev_b32_e32 v3, 20, v3
	v_lshl_add_u32 v6, v6, 23, v10
	v_or3_b32 v6, v7, v6, v3
.LBB39_1728:
	s_or_b64 exec, exec, s[6:7]
	s_nop 0
	v_mfma_f32_16x16x4f32 a[0:3], v2, v6, a[0:3]
	s_movk_i32 s4, 0x7f
	v_cmp_gt_i16_sdwa s[6:7], v8, s4 src0_sel:BYTE_0 src1_sel:DWORD
	s_mov_b64 s[4:5], 0
                                        ; implicit-def: $sgpr10
	s_and_saveexec_b64 s[8:9], s[6:7]
	s_xor_b64 s[6:7], exec, s[8:9]
	s_cbranch_execnz .LBB39_3777
; %bb.1729:
	s_or_saveexec_b64 s[6:7], s[6:7]
	v_mov_b32_e32 v2, s10
	s_xor_b64 exec, exec, s[6:7]
	s_cbranch_execnz .LBB39_3780
.LBB39_1730:
	s_or_b64 exec, exec, s[6:7]
	s_and_saveexec_b64 s[6:7], s[4:5]
	s_cbranch_execz .LBB39_1732
.LBB39_1731:
	v_and_b32_e32 v2, 7, v8
	v_ffbh_u32_e32 v6, v2
	v_min_u32_e32 v6, 32, v6
	v_lshrrev_b16_e32 v3, 3, v8
	v_subrev_u32_e32 v7, 28, v6
	v_and_b32_e32 v3, 15, v3
	v_lshlrev_b32_e32 v7, v7, v8
	v_sub_u32_e32 v6, 29, v6
	v_and_b32_e32 v7, 7, v7
	v_cmp_eq_u16_e32 vcc, 0, v3
	v_cndmask_b32_e32 v2, v2, v7, vcc
	v_cndmask_b32_e32 v3, v3, v6, vcc
	v_lshlrev_b32_e32 v6, 24, v8
	v_mov_b32_e32 v7, 0x3b800000
	v_lshlrev_b32_e32 v2, 20, v2
	v_and_b32_e32 v6, 0x80000000, v6
	v_lshl_add_u32 v3, v3, 23, v7
	v_or3_b32 v2, v6, v3, v2
.LBB39_1732:
	s_or_b64 exec, exec, s[6:7]
	s_movk_i32 s4, 0x7f
	v_cmp_gt_i16_sdwa s[6:7], v4, s4 src0_sel:BYTE_0 src1_sel:DWORD
	s_mov_b64 s[4:5], 0
                                        ; implicit-def: $sgpr10
	s_and_saveexec_b64 s[8:9], s[6:7]
	s_xor_b64 s[6:7], exec, s[8:9]
	s_cbranch_execnz .LBB39_3781
; %bb.1733:
	s_or_saveexec_b64 s[6:7], s[6:7]
	v_mov_b32_e32 v3, s10
	s_xor_b64 exec, exec, s[6:7]
	s_cbranch_execnz .LBB39_3784
.LBB39_1734:
	s_or_b64 exec, exec, s[6:7]
	s_and_saveexec_b64 s[6:7], s[4:5]
	s_cbranch_execz .LBB39_1736
.LBB39_1735:
	v_and_b32_e32 v3, 7, v4
	v_ffbh_u32_e32 v7, v3
	v_min_u32_e32 v7, 32, v7
	v_lshrrev_b16_e32 v6, 3, v4
	v_subrev_u32_e32 v10, 28, v7
	v_and_b32_e32 v6, 15, v6
	v_lshlrev_b32_e32 v10, v10, v4
	v_sub_u32_e32 v7, 29, v7
	v_and_b32_e32 v10, 7, v10
	v_cmp_eq_u16_e32 vcc, 0, v6
	v_cndmask_b32_e32 v3, v3, v10, vcc
	v_cndmask_b32_e32 v6, v6, v7, vcc
	v_lshlrev_b32_e32 v7, 24, v4
	v_mov_b32_e32 v10, 0x3b800000
	v_lshlrev_b32_e32 v3, 20, v3
	v_and_b32_e32 v7, 0x80000000, v7
	v_lshl_add_u32 v6, v6, 23, v10
	v_or3_b32 v3, v7, v6, v3
.LBB39_1736:
	s_or_b64 exec, exec, s[6:7]
	s_nop 0
	v_mfma_f32_16x16x4f32 a[0:3], v2, v3, a[0:3]
	v_lshrrev_b32_e32 v3, 8, v8
	s_movk_i32 s4, 0x7f
	v_cmp_gt_i16_sdwa s[6:7], v3, s4 src0_sel:BYTE_0 src1_sel:DWORD
	s_mov_b64 s[4:5], 0
                                        ; implicit-def: $sgpr10
	s_and_saveexec_b64 s[8:9], s[6:7]
	s_xor_b64 s[6:7], exec, s[8:9]
	s_cbranch_execnz .LBB39_3785
; %bb.1737:
	s_or_saveexec_b64 s[6:7], s[6:7]
	v_mov_b32_e32 v2, s10
	s_xor_b64 exec, exec, s[6:7]
	s_cbranch_execnz .LBB39_3788
.LBB39_1738:
	s_or_b64 exec, exec, s[6:7]
	s_and_saveexec_b64 s[6:7], s[4:5]
	s_cbranch_execz .LBB39_1740
.LBB39_1739:
	v_bfe_u32 v2, v8, 8, 3
	v_ffbh_u32_e32 v7, v2
	v_min_u32_e32 v7, 32, v7
	v_lshrrev_b16_e32 v6, 3, v3
	v_subrev_u32_e32 v10, 28, v7
	v_and_b32_e32 v6, 15, v6
	v_lshlrev_b32_e32 v3, v10, v3
	v_sub_u32_e32 v7, 29, v7
	v_and_b32_e32 v3, 7, v3
	v_cmp_eq_u16_e32 vcc, 0, v6
	v_cndmask_b32_e32 v2, v2, v3, vcc
	v_cndmask_b32_e32 v3, v6, v7, vcc
	v_lshlrev_b32_e32 v6, 16, v8
	v_mov_b32_e32 v7, 0x3b800000
	v_lshlrev_b32_e32 v2, 20, v2
	v_and_b32_e32 v6, 0x80000000, v6
	v_lshl_add_u32 v3, v3, 23, v7
	v_or3_b32 v2, v6, v3, v2
.LBB39_1740:
	s_or_b64 exec, exec, s[6:7]
	v_lshrrev_b32_e32 v3, 8, v4
	s_movk_i32 s4, 0x7f
	v_cmp_gt_i16_sdwa s[6:7], v3, s4 src0_sel:BYTE_0 src1_sel:DWORD
	s_mov_b64 s[4:5], 0
                                        ; implicit-def: $sgpr10
	s_and_saveexec_b64 s[8:9], s[6:7]
	s_xor_b64 s[6:7], exec, s[8:9]
	s_cbranch_execnz .LBB39_3789
; %bb.1741:
	s_or_saveexec_b64 s[6:7], s[6:7]
	v_mov_b32_e32 v6, s10
	s_xor_b64 exec, exec, s[6:7]
	s_cbranch_execnz .LBB39_3792
.LBB39_1742:
	s_or_b64 exec, exec, s[6:7]
	s_and_saveexec_b64 s[6:7], s[4:5]
	s_cbranch_execz .LBB39_1744
.LBB39_1743:
	v_bfe_u32 v6, v4, 8, 3
	v_ffbh_u32_e32 v10, v6
	v_min_u32_e32 v10, 32, v10
	v_lshrrev_b16_e32 v7, 3, v3
	v_subrev_u32_e32 v11, 28, v10
	v_and_b32_e32 v7, 15, v7
	v_lshlrev_b32_e32 v3, v11, v3
	v_sub_u32_e32 v10, 29, v10
	v_and_b32_e32 v3, 7, v3
	v_cmp_eq_u16_e32 vcc, 0, v7
	v_cndmask_b32_e32 v3, v6, v3, vcc
	v_cndmask_b32_e32 v6, v7, v10, vcc
	v_lshlrev_b32_e32 v7, 16, v4
	v_mov_b32_e32 v10, 0x3b800000
	v_lshlrev_b32_e32 v3, 20, v3
	v_and_b32_e32 v7, 0x80000000, v7
	v_lshl_add_u32 v6, v6, 23, v10
	v_or3_b32 v6, v7, v6, v3
.LBB39_1744:
	s_or_b64 exec, exec, s[6:7]
	s_nop 0
	v_mfma_f32_16x16x4f32 a[0:3], v2, v6, a[0:3]
	s_movk_i32 s4, 0xff
	v_and_b32_sdwa v3, v8, s4 dst_sel:DWORD dst_unused:UNUSED_PAD src0_sel:WORD_1 src1_sel:DWORD
	s_movk_i32 s4, 0x7f
	v_cmp_lt_i16_e32 vcc, s4, v3
	s_mov_b64 s[4:5], 0
                                        ; implicit-def: $sgpr10
	s_and_saveexec_b64 s[6:7], vcc
	s_xor_b64 s[6:7], exec, s[6:7]
	s_cbranch_execnz .LBB39_3793
; %bb.1745:
	s_or_saveexec_b64 s[6:7], s[6:7]
	v_mov_b32_e32 v2, s10
	s_xor_b64 exec, exec, s[6:7]
	s_cbranch_execnz .LBB39_3796
.LBB39_1746:
	s_or_b64 exec, exec, s[6:7]
	s_and_saveexec_b64 s[6:7], s[4:5]
	s_cbranch_execz .LBB39_1748
.LBB39_1747:
	v_bfe_u32 v2, v8, 16, 3
	v_ffbh_u32_e32 v7, v2
	v_min_u32_e32 v7, 32, v7
	v_lshrrev_b32_e32 v3, 19, v8
	v_subrev_u32_e32 v10, 28, v7
	v_and_b32_e32 v3, 15, v3
	v_lshlrev_b32_sdwa v10, v10, v8 dst_sel:DWORD dst_unused:UNUSED_PAD src0_sel:DWORD src1_sel:WORD_1
	v_bfe_u32 v6, v8, 19, 4
	v_sub_u32_e32 v7, 29, v7
	v_and_b32_e32 v10, 7, v10
	v_cmp_eq_u16_e32 vcc, 0, v3
	v_cndmask_b32_e32 v2, v2, v10, vcc
	v_cndmask_b32_e32 v3, v6, v7, vcc
	v_lshlrev_b32_e32 v6, 8, v8
	v_mov_b32_e32 v7, 0x3b800000
	v_lshlrev_b32_e32 v2, 20, v2
	v_and_b32_e32 v6, 0x80000000, v6
	v_lshl_add_u32 v3, v3, 23, v7
	v_or3_b32 v2, v6, v3, v2
.LBB39_1748:
	s_or_b64 exec, exec, s[6:7]
	s_movk_i32 s4, 0xff
	v_and_b32_sdwa v3, v4, s4 dst_sel:DWORD dst_unused:UNUSED_PAD src0_sel:WORD_1 src1_sel:DWORD
	s_movk_i32 s4, 0x7f
	v_cmp_lt_i16_e32 vcc, s4, v3
	s_mov_b64 s[4:5], 0
                                        ; implicit-def: $sgpr10
	s_and_saveexec_b64 s[6:7], vcc
	s_xor_b64 s[6:7], exec, s[6:7]
	s_cbranch_execnz .LBB39_3797
; %bb.1749:
	s_or_saveexec_b64 s[6:7], s[6:7]
	v_mov_b32_e32 v6, s10
	s_xor_b64 exec, exec, s[6:7]
	s_cbranch_execnz .LBB39_3800
.LBB39_1750:
	s_or_b64 exec, exec, s[6:7]
	s_and_saveexec_b64 s[6:7], s[4:5]
	s_cbranch_execz .LBB39_1752
.LBB39_1751:
	v_bfe_u32 v3, v4, 16, 3
	v_ffbh_u32_e32 v10, v3
	v_min_u32_e32 v10, 32, v10
	v_lshrrev_b32_e32 v6, 19, v4
	v_subrev_u32_e32 v11, 28, v10
	v_and_b32_e32 v6, 15, v6
	v_lshlrev_b32_sdwa v11, v11, v4 dst_sel:DWORD dst_unused:UNUSED_PAD src0_sel:DWORD src1_sel:WORD_1
	v_bfe_u32 v7, v4, 19, 4
	v_sub_u32_e32 v10, 29, v10
	v_and_b32_e32 v11, 7, v11
	v_cmp_eq_u16_e32 vcc, 0, v6
	v_cndmask_b32_e32 v3, v3, v11, vcc
	v_cndmask_b32_e32 v6, v7, v10, vcc
	v_lshlrev_b32_e32 v7, 8, v4
	v_mov_b32_e32 v10, 0x3b800000
	v_lshlrev_b32_e32 v3, 20, v3
	v_and_b32_e32 v7, 0x80000000, v7
	v_lshl_add_u32 v6, v6, 23, v10
	v_or3_b32 v6, v7, v6, v3
.LBB39_1752:
	s_or_b64 exec, exec, s[6:7]
	s_nop 0
	v_mfma_f32_16x16x4f32 a[0:3], v2, v6, a[0:3]
	s_movk_i32 s4, 0x7f
	v_cmp_gt_i16_sdwa s[6:7], v8, s4 src0_sel:BYTE_3 src1_sel:DWORD
	s_mov_b64 s[4:5], 0
                                        ; implicit-def: $sgpr10
	s_and_saveexec_b64 s[8:9], s[6:7]
	s_xor_b64 s[6:7], exec, s[8:9]
	s_cbranch_execnz .LBB39_3801
; %bb.1753:
	s_or_saveexec_b64 s[6:7], s[6:7]
	v_mov_b32_e32 v2, s10
	s_xor_b64 exec, exec, s[6:7]
	s_cbranch_execnz .LBB39_3804
.LBB39_1754:
	s_or_b64 exec, exec, s[6:7]
	s_and_saveexec_b64 s[6:7], s[4:5]
	s_cbranch_execz .LBB39_1756
.LBB39_1755:
	v_bfe_u32 v2, v8, 24, 3
	v_ffbh_u32_e32 v10, v2
	v_min_u32_e32 v10, 32, v10
	v_lshrrev_b32_e32 v6, 27, v8
	v_subrev_u32_e32 v11, 28, v10
	v_and_b32_e32 v3, 0x80000000, v8
	v_and_b32_e32 v6, 15, v6
	v_bfe_u32 v7, v8, 27, 4
	v_lshlrev_b32_sdwa v8, v11, v8 dst_sel:DWORD dst_unused:UNUSED_PAD src0_sel:DWORD src1_sel:BYTE_3
	v_sub_u32_e32 v10, 29, v10
	v_and_b32_e32 v8, 7, v8
	v_cmp_eq_u16_e32 vcc, 0, v6
	v_cndmask_b32_e32 v2, v2, v8, vcc
	v_cndmask_b32_e32 v6, v7, v10, vcc
	v_mov_b32_e32 v7, 0x3b800000
	v_lshlrev_b32_e32 v2, 20, v2
	v_lshl_add_u32 v6, v6, 23, v7
	v_or3_b32 v2, v3, v6, v2
.LBB39_1756:
	s_or_b64 exec, exec, s[6:7]
	s_movk_i32 s4, 0x7f
	v_cmp_gt_i16_sdwa s[6:7], v4, s4 src0_sel:BYTE_3 src1_sel:DWORD
	s_mov_b64 s[4:5], 0
                                        ; implicit-def: $sgpr10
	s_and_saveexec_b64 s[8:9], s[6:7]
	s_xor_b64 s[6:7], exec, s[8:9]
	s_cbranch_execnz .LBB39_3805
; %bb.1757:
	s_or_saveexec_b64 s[6:7], s[6:7]
	v_mov_b32_e32 v3, s10
	s_xor_b64 exec, exec, s[6:7]
	s_cbranch_execnz .LBB39_3808
.LBB39_1758:
	s_or_b64 exec, exec, s[6:7]
	s_and_saveexec_b64 s[6:7], s[4:5]
	s_cbranch_execz .LBB39_1760
.LBB39_1759:
	v_bfe_u32 v3, v4, 24, 3
	v_ffbh_u32_e32 v10, v3
	v_min_u32_e32 v10, 32, v10
	v_lshrrev_b32_e32 v7, 27, v4
	v_subrev_u32_e32 v11, 28, v10
	v_and_b32_e32 v6, 0x80000000, v4
	v_and_b32_e32 v7, 15, v7
	v_bfe_u32 v8, v4, 27, 4
	v_lshlrev_b32_sdwa v4, v11, v4 dst_sel:DWORD dst_unused:UNUSED_PAD src0_sel:DWORD src1_sel:BYTE_3
	v_sub_u32_e32 v10, 29, v10
	v_and_b32_e32 v4, 7, v4
	v_cmp_eq_u16_e32 vcc, 0, v7
	v_cndmask_b32_e32 v3, v3, v4, vcc
	v_cndmask_b32_e32 v4, v8, v10, vcc
	v_mov_b32_e32 v7, 0x3b800000
	v_lshlrev_b32_e32 v3, 20, v3
	v_lshl_add_u32 v4, v4, 23, v7
	v_or3_b32 v3, v6, v4, v3
.LBB39_1760:
	s_or_b64 exec, exec, s[6:7]
	s_nop 0
	v_mfma_f32_16x16x4f32 a[0:3], v2, v3, a[0:3]
	s_movk_i32 s4, 0x7f
	v_cmp_gt_i16_sdwa s[6:7], v9, s4 src0_sel:BYTE_0 src1_sel:DWORD
	s_mov_b64 s[4:5], 0
                                        ; implicit-def: $sgpr10
	s_and_saveexec_b64 s[8:9], s[6:7]
	s_xor_b64 s[6:7], exec, s[8:9]
	s_cbranch_execnz .LBB39_3809
; %bb.1761:
	s_or_saveexec_b64 s[6:7], s[6:7]
	v_mov_b32_e32 v2, s10
	s_xor_b64 exec, exec, s[6:7]
	s_cbranch_execnz .LBB39_3812
.LBB39_1762:
	s_or_b64 exec, exec, s[6:7]
	s_and_saveexec_b64 s[6:7], s[4:5]
	s_cbranch_execz .LBB39_1764
.LBB39_1763:
	v_mov_b32_e32 v2, 8
	v_and_b32_e32 v3, 7, v9
	v_lshrrev_b32_sdwa v2, v2, v9 dst_sel:BYTE_1 dst_unused:UNUSED_PAD src0_sel:DWORD src1_sel:DWORD
	v_ffbh_u32_e32 v4, v3
	v_or_b32_sdwa v2, v9, v2 dst_sel:DWORD dst_unused:UNUSED_PAD src0_sel:BYTE_0 src1_sel:DWORD
	v_min_u32_e32 v4, 32, v4
	v_lshrrev_b16_e32 v2, 3, v2
	v_subrev_u32_e32 v6, 28, v4
	v_and_b32_e32 v2, 15, v2
	v_lshlrev_b32_e32 v6, v6, v9
	v_sub_u32_e32 v4, 29, v4
	v_and_b32_e32 v6, 7, v6
	v_cmp_eq_u16_e32 vcc, 0, v2
	v_cndmask_b32_e32 v3, v3, v6, vcc
	v_cndmask_b32_e32 v2, v2, v4, vcc
	v_lshlrev_b32_e32 v4, 24, v9
	v_mov_b32_e32 v6, 0x3b800000
	v_lshlrev_b32_e32 v3, 20, v3
	v_and_b32_e32 v4, 0x80000000, v4
	v_lshl_add_u32 v2, v2, 23, v6
	v_or3_b32 v2, v4, v2, v3
.LBB39_1764:
	s_or_b64 exec, exec, s[6:7]
	s_movk_i32 s4, 0x7f
	v_cmp_gt_i16_sdwa s[6:7], v5, s4 src0_sel:BYTE_0 src1_sel:DWORD
	s_mov_b64 s[4:5], 0
                                        ; implicit-def: $sgpr10
	s_and_saveexec_b64 s[8:9], s[6:7]
	s_xor_b64 s[6:7], exec, s[8:9]
	s_cbranch_execnz .LBB39_3813
; %bb.1765:
	s_or_saveexec_b64 s[6:7], s[6:7]
	v_mov_b32_e32 v3, s10
	s_xor_b64 exec, exec, s[6:7]
	s_cbranch_execnz .LBB39_3816
.LBB39_1766:
	s_or_b64 exec, exec, s[6:7]
	s_and_saveexec_b64 s[6:7], s[4:5]
	s_cbranch_execz .LBB39_1768
.LBB39_1767:
	v_mov_b32_e32 v3, 8
	v_and_b32_e32 v4, 7, v5
	v_lshrrev_b32_sdwa v3, v3, v5 dst_sel:BYTE_1 dst_unused:UNUSED_PAD src0_sel:DWORD src1_sel:DWORD
	v_ffbh_u32_e32 v6, v4
	v_or_b32_sdwa v3, v5, v3 dst_sel:DWORD dst_unused:UNUSED_PAD src0_sel:BYTE_0 src1_sel:DWORD
	v_min_u32_e32 v6, 32, v6
	v_lshrrev_b16_e32 v3, 3, v3
	v_subrev_u32_e32 v7, 28, v6
	v_and_b32_e32 v3, 15, v3
	v_lshlrev_b32_e32 v7, v7, v5
	v_sub_u32_e32 v6, 29, v6
	v_and_b32_e32 v7, 7, v7
	v_cmp_eq_u16_e32 vcc, 0, v3
	v_cndmask_b32_e32 v4, v4, v7, vcc
	v_cndmask_b32_e32 v3, v3, v6, vcc
	v_lshlrev_b32_e32 v6, 24, v5
	v_mov_b32_e32 v7, 0x3b800000
	v_lshlrev_b32_e32 v4, 20, v4
	v_and_b32_e32 v6, 0x80000000, v6
	v_lshl_add_u32 v3, v3, 23, v7
	v_or3_b32 v3, v6, v3, v4
.LBB39_1768:
	s_or_b64 exec, exec, s[6:7]
	s_nop 0
	v_mfma_f32_16x16x4f32 a[0:3], v2, v3, a[0:3]
	v_lshrrev_b32_e32 v3, 8, v9
	s_movk_i32 s4, 0x7f
	v_cmp_gt_i16_sdwa s[6:7], v3, s4 src0_sel:BYTE_0 src1_sel:DWORD
	s_mov_b64 s[4:5], 0
                                        ; implicit-def: $sgpr10
	s_and_saveexec_b64 s[8:9], s[6:7]
	s_xor_b64 s[6:7], exec, s[8:9]
	s_cbranch_execnz .LBB39_3817
; %bb.1769:
	s_or_saveexec_b64 s[6:7], s[6:7]
	v_mov_b32_e32 v2, s10
	s_xor_b64 exec, exec, s[6:7]
	s_cbranch_execnz .LBB39_3820
.LBB39_1770:
	s_or_b64 exec, exec, s[6:7]
	s_and_saveexec_b64 s[6:7], s[4:5]
	s_cbranch_execz .LBB39_1772
.LBB39_1771:
	v_bfe_u32 v2, v9, 8, 3
	v_ffbh_u32_e32 v6, v2
	v_min_u32_e32 v6, 32, v6
	v_lshrrev_b16_e32 v4, 3, v3
	v_subrev_u32_e32 v7, 28, v6
	v_and_b32_e32 v4, 15, v4
	v_lshlrev_b32_e32 v3, v7, v3
	v_sub_u32_e32 v6, 29, v6
	v_and_b32_e32 v3, 7, v3
	v_cmp_eq_u16_e32 vcc, 0, v4
	v_cndmask_b32_e32 v2, v2, v3, vcc
	v_cndmask_b32_e32 v3, v4, v6, vcc
	v_lshlrev_b32_e32 v4, 16, v9
	v_mov_b32_e32 v6, 0x3b800000
	v_lshlrev_b32_e32 v2, 20, v2
	v_and_b32_e32 v4, 0x80000000, v4
	v_lshl_add_u32 v3, v3, 23, v6
	v_or3_b32 v2, v4, v3, v2
.LBB39_1772:
	s_or_b64 exec, exec, s[6:7]
	v_lshrrev_b32_e32 v3, 8, v5
	s_movk_i32 s4, 0x7f
	v_cmp_gt_i16_sdwa s[6:7], v3, s4 src0_sel:BYTE_0 src1_sel:DWORD
	s_mov_b64 s[4:5], 0
                                        ; implicit-def: $sgpr10
	s_and_saveexec_b64 s[8:9], s[6:7]
	s_xor_b64 s[6:7], exec, s[8:9]
	s_cbranch_execnz .LBB39_3821
; %bb.1773:
	s_or_saveexec_b64 s[6:7], s[6:7]
	v_mov_b32_e32 v4, s10
	s_xor_b64 exec, exec, s[6:7]
	s_cbranch_execnz .LBB39_3824
.LBB39_1774:
	s_or_b64 exec, exec, s[6:7]
	s_and_saveexec_b64 s[6:7], s[4:5]
	s_cbranch_execz .LBB39_1776
.LBB39_1775:
	v_bfe_u32 v4, v5, 8, 3
	v_ffbh_u32_e32 v7, v4
	v_min_u32_e32 v7, 32, v7
	v_lshrrev_b16_e32 v6, 3, v3
	v_subrev_u32_e32 v8, 28, v7
	v_and_b32_e32 v6, 15, v6
	v_lshlrev_b32_e32 v3, v8, v3
	v_sub_u32_e32 v7, 29, v7
	v_and_b32_e32 v3, 7, v3
	v_cmp_eq_u16_e32 vcc, 0, v6
	v_cndmask_b32_e32 v3, v4, v3, vcc
	v_cndmask_b32_e32 v4, v6, v7, vcc
	v_lshlrev_b32_e32 v6, 16, v5
	v_mov_b32_e32 v7, 0x3b800000
	v_lshlrev_b32_e32 v3, 20, v3
	v_and_b32_e32 v6, 0x80000000, v6
	v_lshl_add_u32 v4, v4, 23, v7
	v_or3_b32 v4, v6, v4, v3
.LBB39_1776:
	s_or_b64 exec, exec, s[6:7]
	s_nop 0
	v_mfma_f32_16x16x4f32 a[0:3], v2, v4, a[0:3]
	s_movk_i32 s4, 0xff
	v_and_b32_sdwa v3, v9, s4 dst_sel:DWORD dst_unused:UNUSED_PAD src0_sel:WORD_1 src1_sel:DWORD
	s_movk_i32 s4, 0x7f
	v_cmp_lt_i16_e32 vcc, s4, v3
	s_mov_b64 s[4:5], 0
                                        ; implicit-def: $sgpr10
	s_and_saveexec_b64 s[6:7], vcc
	s_xor_b64 s[6:7], exec, s[6:7]
	s_cbranch_execnz .LBB39_3825
; %bb.1777:
	s_or_saveexec_b64 s[6:7], s[6:7]
	v_mov_b32_e32 v2, s10
	s_xor_b64 exec, exec, s[6:7]
	s_cbranch_execnz .LBB39_3828
.LBB39_1778:
	s_or_b64 exec, exec, s[6:7]
	s_and_saveexec_b64 s[6:7], s[4:5]
	s_cbranch_execz .LBB39_1780
.LBB39_1779:
	v_bfe_u32 v2, v9, 16, 3
	v_ffbh_u32_e32 v6, v2
	v_min_u32_e32 v6, 32, v6
	v_lshrrev_b32_e32 v3, 19, v9
	v_subrev_u32_e32 v7, 28, v6
	v_and_b32_e32 v3, 15, v3
	v_lshlrev_b32_sdwa v7, v7, v9 dst_sel:DWORD dst_unused:UNUSED_PAD src0_sel:DWORD src1_sel:WORD_1
	v_bfe_u32 v4, v9, 19, 4
	v_sub_u32_e32 v6, 29, v6
	v_and_b32_e32 v7, 7, v7
	v_cmp_eq_u16_e32 vcc, 0, v3
	v_cndmask_b32_e32 v2, v2, v7, vcc
	v_cndmask_b32_e32 v3, v4, v6, vcc
	v_lshlrev_b32_e32 v4, 8, v9
	v_mov_b32_e32 v6, 0x3b800000
	v_lshlrev_b32_e32 v2, 20, v2
	v_and_b32_e32 v4, 0x80000000, v4
	v_lshl_add_u32 v3, v3, 23, v6
	v_or3_b32 v2, v4, v3, v2
.LBB39_1780:
	s_or_b64 exec, exec, s[6:7]
	s_movk_i32 s4, 0xff
	v_and_b32_sdwa v3, v5, s4 dst_sel:DWORD dst_unused:UNUSED_PAD src0_sel:WORD_1 src1_sel:DWORD
	s_movk_i32 s4, 0x7f
	v_cmp_lt_i16_e32 vcc, s4, v3
	s_mov_b64 s[4:5], 0
                                        ; implicit-def: $sgpr10
	s_and_saveexec_b64 s[6:7], vcc
	s_xor_b64 s[6:7], exec, s[6:7]
	s_cbranch_execnz .LBB39_3829
; %bb.1781:
	s_or_saveexec_b64 s[6:7], s[6:7]
	v_mov_b32_e32 v4, s10
	s_xor_b64 exec, exec, s[6:7]
	s_cbranch_execnz .LBB39_3832
.LBB39_1782:
	s_or_b64 exec, exec, s[6:7]
	s_and_saveexec_b64 s[6:7], s[4:5]
	s_cbranch_execz .LBB39_1784
.LBB39_1783:
	v_bfe_u32 v3, v5, 16, 3
	v_ffbh_u32_e32 v7, v3
	v_min_u32_e32 v7, 32, v7
	v_lshrrev_b32_e32 v4, 19, v5
	v_subrev_u32_e32 v8, 28, v7
	v_and_b32_e32 v4, 15, v4
	v_lshlrev_b32_sdwa v8, v8, v5 dst_sel:DWORD dst_unused:UNUSED_PAD src0_sel:DWORD src1_sel:WORD_1
	v_bfe_u32 v6, v5, 19, 4
	v_sub_u32_e32 v7, 29, v7
	v_and_b32_e32 v8, 7, v8
	v_cmp_eq_u16_e32 vcc, 0, v4
	v_cndmask_b32_e32 v3, v3, v8, vcc
	v_cndmask_b32_e32 v4, v6, v7, vcc
	v_lshlrev_b32_e32 v6, 8, v5
	v_mov_b32_e32 v7, 0x3b800000
	v_lshlrev_b32_e32 v3, 20, v3
	v_and_b32_e32 v6, 0x80000000, v6
	v_lshl_add_u32 v4, v4, 23, v7
	v_or3_b32 v4, v6, v4, v3
.LBB39_1784:
	s_or_b64 exec, exec, s[6:7]
	s_nop 0
	v_mfma_f32_16x16x4f32 a[0:3], v2, v4, a[0:3]
	s_movk_i32 s4, 0x7f
	v_cmp_gt_i16_sdwa s[6:7], v9, s4 src0_sel:BYTE_3 src1_sel:DWORD
	s_mov_b64 s[4:5], 0
                                        ; implicit-def: $sgpr10
	s_and_saveexec_b64 s[8:9], s[6:7]
	s_xor_b64 s[6:7], exec, s[8:9]
	s_cbranch_execnz .LBB39_3833
; %bb.1785:
	s_or_saveexec_b64 s[6:7], s[6:7]
	v_mov_b32_e32 v2, s10
	s_xor_b64 exec, exec, s[6:7]
	s_cbranch_execnz .LBB39_3836
.LBB39_1786:
	s_or_b64 exec, exec, s[6:7]
	s_and_saveexec_b64 s[6:7], s[4:5]
	s_cbranch_execz .LBB39_1788
.LBB39_1787:
	v_bfe_u32 v2, v9, 24, 3
	v_ffbh_u32_e32 v7, v2
	v_min_u32_e32 v7, 32, v7
	v_lshrrev_b32_e32 v4, 27, v9
	v_subrev_u32_e32 v8, 28, v7
	v_and_b32_e32 v4, 15, v4
	v_lshlrev_b32_sdwa v8, v8, v9 dst_sel:DWORD dst_unused:UNUSED_PAD src0_sel:DWORD src1_sel:BYTE_3
	v_bfe_u32 v6, v9, 27, 4
	v_sub_u32_e32 v7, 29, v7
	v_and_b32_e32 v8, 7, v8
	v_cmp_eq_u16_e32 vcc, 0, v4
	v_cndmask_b32_e32 v2, v2, v8, vcc
	v_cndmask_b32_e32 v4, v6, v7, vcc
	v_mov_b32_e32 v6, 0x3b800000
	v_and_b32_e32 v3, 0x80000000, v9
	v_lshlrev_b32_e32 v2, 20, v2
	v_lshl_add_u32 v4, v4, 23, v6
	v_or3_b32 v2, v3, v4, v2
.LBB39_1788:
	s_or_b64 exec, exec, s[6:7]
	s_movk_i32 s4, 0x7f
	v_cmp_gt_i16_sdwa s[6:7], v5, s4 src0_sel:BYTE_3 src1_sel:DWORD
	s_mov_b64 s[4:5], 0
                                        ; implicit-def: $sgpr10
	s_and_saveexec_b64 s[8:9], s[6:7]
	s_xor_b64 s[6:7], exec, s[8:9]
	s_cbranch_execnz .LBB39_3837
; %bb.1789:
	s_or_saveexec_b64 s[6:7], s[6:7]
	v_mov_b32_e32 v3, s10
	s_xor_b64 exec, exec, s[6:7]
	s_cbranch_execnz .LBB39_3840
.LBB39_1790:
	s_or_b64 exec, exec, s[6:7]
	s_and_saveexec_b64 s[6:7], s[4:5]
	s_cbranch_execz .LBB39_1792
.LBB39_1791:
	v_bfe_u32 v3, v5, 24, 3
	v_ffbh_u32_e32 v8, v3
	v_min_u32_e32 v8, 32, v8
	v_lshrrev_b32_e32 v6, 27, v5
	v_subrev_u32_e32 v9, 28, v8
	v_and_b32_e32 v4, 0x80000000, v5
	v_and_b32_e32 v6, 15, v6
	v_bfe_u32 v7, v5, 27, 4
	v_lshlrev_b32_sdwa v5, v9, v5 dst_sel:DWORD dst_unused:UNUSED_PAD src0_sel:DWORD src1_sel:BYTE_3
	v_sub_u32_e32 v8, 29, v8
	v_and_b32_e32 v5, 7, v5
	v_cmp_eq_u16_e32 vcc, 0, v6
	v_cndmask_b32_e32 v3, v3, v5, vcc
	v_cndmask_b32_e32 v5, v7, v8, vcc
	v_mov_b32_e32 v6, 0x3b800000
	v_lshlrev_b32_e32 v3, 20, v3
	v_lshl_add_u32 v5, v5, 23, v6
	v_or3_b32 v3, v4, v5, v3
.LBB39_1792:
	s_or_b64 exec, exec, s[6:7]
	s_nop 0
	v_mfma_f32_16x16x4f32 a[0:3], v2, v3, a[0:3]
	s_movk_i32 s4, 0x7f
                                        ; implicit-def: $sgpr10
	s_nop 7
	s_nop 1
	flat_store_dwordx4 v[18:19], a[0:3] offset:480
	flat_load_dwordx4 v[18:21], v[0:1] offset:16
	s_nop 0
	flat_load_dwordx2 v[16:17], v[0:1] offset:32
	s_waitcnt vmcnt(0) lgkmcnt(0)
	flat_load_dwordx4 v[12:15], v[18:19] offset:32
	flat_load_dwordx4 v[4:7], v[18:19] offset:48
	;; [unrolled: 1-line block ×4, first 2 shown]
	s_waitcnt vmcnt(0) lgkmcnt(0)
	v_cmp_gt_i16_sdwa s[6:7], v12, s4 src0_sel:BYTE_0 src1_sel:DWORD
	s_mov_b64 s[4:5], 0
	s_and_saveexec_b64 s[8:9], s[6:7]
	s_xor_b64 s[6:7], exec, s[8:9]
	s_cbranch_execnz .LBB39_3841
; %bb.1793:
	s_or_saveexec_b64 s[6:7], s[6:7]
	v_mov_b32_e32 v18, s10
	s_xor_b64 exec, exec, s[6:7]
	s_cbranch_execnz .LBB39_3844
.LBB39_1794:
	s_or_b64 exec, exec, s[6:7]
	s_and_saveexec_b64 s[6:7], s[4:5]
	s_cbranch_execz .LBB39_1796
.LBB39_1795:
	v_and_b32_e32 v18, 7, v12
	v_ffbh_u32_e32 v20, v18
	v_min_u32_e32 v20, 32, v20
	v_lshrrev_b16_e32 v19, 3, v12
	v_subrev_u32_e32 v21, 28, v20
	v_and_b32_e32 v19, 15, v19
	v_lshlrev_b32_e32 v21, v21, v12
	v_sub_u32_e32 v20, 29, v20
	v_and_b32_e32 v21, 7, v21
	v_cmp_eq_u16_e32 vcc, 0, v19
	v_cndmask_b32_e32 v18, v18, v21, vcc
	v_cndmask_b32_e32 v19, v19, v20, vcc
	v_lshlrev_b32_e32 v20, 24, v12
	v_mov_b32_e32 v21, 0x3b800000
	v_lshlrev_b32_e32 v18, 20, v18
	v_and_b32_e32 v20, 0x80000000, v20
	v_lshl_add_u32 v19, v19, 23, v21
	v_or3_b32 v18, v20, v19, v18
.LBB39_1796:
	s_or_b64 exec, exec, s[6:7]
	s_movk_i32 s4, 0x7f
	v_cmp_gt_i16_sdwa s[6:7], v8, s4 src0_sel:BYTE_0 src1_sel:DWORD
	s_mov_b64 s[4:5], 0
                                        ; implicit-def: $sgpr10
	s_and_saveexec_b64 s[8:9], s[6:7]
	s_xor_b64 s[6:7], exec, s[8:9]
	s_cbranch_execnz .LBB39_3845
; %bb.1797:
	s_or_saveexec_b64 s[6:7], s[6:7]
	v_mov_b32_e32 v19, s10
	s_xor_b64 exec, exec, s[6:7]
	s_cbranch_execnz .LBB39_3848
.LBB39_1798:
	s_or_b64 exec, exec, s[6:7]
	s_and_saveexec_b64 s[6:7], s[4:5]
	s_cbranch_execz .LBB39_1800
.LBB39_1799:
	v_and_b32_e32 v19, 7, v8
	v_ffbh_u32_e32 v21, v19
	v_min_u32_e32 v21, 32, v21
	v_lshrrev_b16_e32 v20, 3, v8
	v_subrev_u32_e32 v22, 28, v21
	v_and_b32_e32 v20, 15, v20
	v_lshlrev_b32_e32 v22, v22, v8
	v_sub_u32_e32 v21, 29, v21
	v_and_b32_e32 v22, 7, v22
	v_cmp_eq_u16_e32 vcc, 0, v20
	v_cndmask_b32_e32 v19, v19, v22, vcc
	v_cndmask_b32_e32 v20, v20, v21, vcc
	v_lshlrev_b32_e32 v21, 24, v8
	v_mov_b32_e32 v22, 0x3b800000
	v_lshlrev_b32_e32 v19, 20, v19
	v_and_b32_e32 v21, 0x80000000, v21
	v_lshl_add_u32 v20, v20, 23, v22
	v_or3_b32 v19, v21, v20, v19
.LBB39_1800:
	s_or_b64 exec, exec, s[6:7]
	flat_load_dwordx4 a[0:3], v[16:17] offset:496
	s_movk_i32 s4, 0x7f
                                        ; implicit-def: $sgpr10
	s_waitcnt vmcnt(0) lgkmcnt(0)
	v_mfma_f32_16x16x4f32 a[0:3], v18, v19, a[0:3]
	v_lshrrev_b32_e32 v19, 8, v12
	v_cmp_gt_i16_sdwa s[6:7], v19, s4 src0_sel:BYTE_0 src1_sel:DWORD
	s_mov_b64 s[4:5], 0
	s_and_saveexec_b64 s[8:9], s[6:7]
	s_xor_b64 s[6:7], exec, s[8:9]
	s_cbranch_execnz .LBB39_3849
; %bb.1801:
	s_or_saveexec_b64 s[6:7], s[6:7]
	v_mov_b32_e32 v18, s10
	s_xor_b64 exec, exec, s[6:7]
	s_cbranch_execnz .LBB39_3852
.LBB39_1802:
	s_or_b64 exec, exec, s[6:7]
	s_and_saveexec_b64 s[6:7], s[4:5]
	s_cbranch_execz .LBB39_1804
.LBB39_1803:
	v_bfe_u32 v18, v12, 8, 3
	v_ffbh_u32_e32 v21, v18
	v_min_u32_e32 v21, 32, v21
	v_lshrrev_b16_e32 v20, 3, v19
	v_subrev_u32_e32 v22, 28, v21
	v_and_b32_e32 v20, 15, v20
	v_lshlrev_b32_e32 v19, v22, v19
	v_sub_u32_e32 v21, 29, v21
	v_and_b32_e32 v19, 7, v19
	v_cmp_eq_u16_e32 vcc, 0, v20
	v_cndmask_b32_e32 v18, v18, v19, vcc
	v_cndmask_b32_e32 v19, v20, v21, vcc
	v_lshlrev_b32_e32 v20, 16, v12
	v_mov_b32_e32 v21, 0x3b800000
	v_lshlrev_b32_e32 v18, 20, v18
	v_and_b32_e32 v20, 0x80000000, v20
	v_lshl_add_u32 v19, v19, 23, v21
	v_or3_b32 v18, v20, v19, v18
.LBB39_1804:
	s_or_b64 exec, exec, s[6:7]
	v_lshrrev_b32_e32 v19, 8, v8
	s_movk_i32 s4, 0x7f
	v_cmp_gt_i16_sdwa s[6:7], v19, s4 src0_sel:BYTE_0 src1_sel:DWORD
	s_mov_b64 s[4:5], 0
                                        ; implicit-def: $sgpr10
	s_and_saveexec_b64 s[8:9], s[6:7]
	s_xor_b64 s[6:7], exec, s[8:9]
	s_cbranch_execnz .LBB39_3853
; %bb.1805:
	s_or_saveexec_b64 s[6:7], s[6:7]
	v_mov_b32_e32 v20, s10
	s_xor_b64 exec, exec, s[6:7]
	s_cbranch_execnz .LBB39_3856
.LBB39_1806:
	s_or_b64 exec, exec, s[6:7]
	s_and_saveexec_b64 s[6:7], s[4:5]
	s_cbranch_execz .LBB39_1808
.LBB39_1807:
	v_bfe_u32 v20, v8, 8, 3
	v_ffbh_u32_e32 v22, v20
	v_min_u32_e32 v22, 32, v22
	v_lshrrev_b16_e32 v21, 3, v19
	v_subrev_u32_e32 v23, 28, v22
	v_and_b32_e32 v21, 15, v21
	v_lshlrev_b32_e32 v19, v23, v19
	v_sub_u32_e32 v22, 29, v22
	v_and_b32_e32 v19, 7, v19
	v_cmp_eq_u16_e32 vcc, 0, v21
	v_cndmask_b32_e32 v19, v20, v19, vcc
	v_cndmask_b32_e32 v20, v21, v22, vcc
	v_lshlrev_b32_e32 v21, 16, v8
	v_mov_b32_e32 v22, 0x3b800000
	v_lshlrev_b32_e32 v19, 20, v19
	v_and_b32_e32 v21, 0x80000000, v21
	v_lshl_add_u32 v20, v20, 23, v22
	v_or3_b32 v20, v21, v20, v19
.LBB39_1808:
	s_or_b64 exec, exec, s[6:7]
	s_nop 0
	v_mfma_f32_16x16x4f32 a[0:3], v18, v20, a[0:3]
	s_movk_i32 s4, 0xff
	v_and_b32_sdwa v19, v12, s4 dst_sel:DWORD dst_unused:UNUSED_PAD src0_sel:WORD_1 src1_sel:DWORD
	s_movk_i32 s4, 0x7f
	v_cmp_lt_i16_e32 vcc, s4, v19
	s_mov_b64 s[4:5], 0
                                        ; implicit-def: $sgpr10
	s_and_saveexec_b64 s[6:7], vcc
	s_xor_b64 s[6:7], exec, s[6:7]
	s_cbranch_execnz .LBB39_3857
; %bb.1809:
	s_or_saveexec_b64 s[6:7], s[6:7]
	v_mov_b32_e32 v18, s10
	s_xor_b64 exec, exec, s[6:7]
	s_cbranch_execnz .LBB39_3860
.LBB39_1810:
	s_or_b64 exec, exec, s[6:7]
	s_and_saveexec_b64 s[6:7], s[4:5]
	s_cbranch_execz .LBB39_1812
.LBB39_1811:
	v_bfe_u32 v18, v12, 16, 3
	v_ffbh_u32_e32 v21, v18
	v_min_u32_e32 v21, 32, v21
	v_lshrrev_b32_e32 v19, 19, v12
	v_subrev_u32_e32 v22, 28, v21
	v_and_b32_e32 v19, 15, v19
	v_lshlrev_b32_sdwa v22, v22, v12 dst_sel:DWORD dst_unused:UNUSED_PAD src0_sel:DWORD src1_sel:WORD_1
	v_bfe_u32 v20, v12, 19, 4
	v_sub_u32_e32 v21, 29, v21
	v_and_b32_e32 v22, 7, v22
	v_cmp_eq_u16_e32 vcc, 0, v19
	v_cndmask_b32_e32 v18, v18, v22, vcc
	v_cndmask_b32_e32 v19, v20, v21, vcc
	v_lshlrev_b32_e32 v20, 8, v12
	v_mov_b32_e32 v21, 0x3b800000
	v_lshlrev_b32_e32 v18, 20, v18
	v_and_b32_e32 v20, 0x80000000, v20
	v_lshl_add_u32 v19, v19, 23, v21
	v_or3_b32 v18, v20, v19, v18
.LBB39_1812:
	s_or_b64 exec, exec, s[6:7]
	s_movk_i32 s4, 0xff
	v_and_b32_sdwa v19, v8, s4 dst_sel:DWORD dst_unused:UNUSED_PAD src0_sel:WORD_1 src1_sel:DWORD
	s_movk_i32 s4, 0x7f
	v_cmp_lt_i16_e32 vcc, s4, v19
	s_mov_b64 s[4:5], 0
                                        ; implicit-def: $sgpr10
	s_and_saveexec_b64 s[6:7], vcc
	s_xor_b64 s[6:7], exec, s[6:7]
	s_cbranch_execnz .LBB39_3861
; %bb.1813:
	s_or_saveexec_b64 s[6:7], s[6:7]
	v_mov_b32_e32 v20, s10
	s_xor_b64 exec, exec, s[6:7]
	s_cbranch_execnz .LBB39_3864
.LBB39_1814:
	s_or_b64 exec, exec, s[6:7]
	s_and_saveexec_b64 s[6:7], s[4:5]
	s_cbranch_execz .LBB39_1816
.LBB39_1815:
	v_bfe_u32 v19, v8, 16, 3
	v_ffbh_u32_e32 v22, v19
	v_min_u32_e32 v22, 32, v22
	v_lshrrev_b32_e32 v20, 19, v8
	v_subrev_u32_e32 v23, 28, v22
	v_and_b32_e32 v20, 15, v20
	v_lshlrev_b32_sdwa v23, v23, v8 dst_sel:DWORD dst_unused:UNUSED_PAD src0_sel:DWORD src1_sel:WORD_1
	v_bfe_u32 v21, v8, 19, 4
	v_sub_u32_e32 v22, 29, v22
	v_and_b32_e32 v23, 7, v23
	v_cmp_eq_u16_e32 vcc, 0, v20
	v_cndmask_b32_e32 v19, v19, v23, vcc
	v_cndmask_b32_e32 v20, v21, v22, vcc
	v_lshlrev_b32_e32 v21, 8, v8
	v_mov_b32_e32 v22, 0x3b800000
	v_lshlrev_b32_e32 v19, 20, v19
	v_and_b32_e32 v21, 0x80000000, v21
	v_lshl_add_u32 v20, v20, 23, v22
	v_or3_b32 v20, v21, v20, v19
.LBB39_1816:
	s_or_b64 exec, exec, s[6:7]
	s_nop 0
	v_mfma_f32_16x16x4f32 a[0:3], v18, v20, a[0:3]
	s_movk_i32 s4, 0x7f
	v_cmp_gt_i16_sdwa s[6:7], v12, s4 src0_sel:BYTE_3 src1_sel:DWORD
	s_mov_b64 s[4:5], 0
                                        ; implicit-def: $sgpr10
	s_and_saveexec_b64 s[8:9], s[6:7]
	s_xor_b64 s[6:7], exec, s[8:9]
	s_cbranch_execnz .LBB39_3865
; %bb.1817:
	s_or_saveexec_b64 s[6:7], s[6:7]
	v_mov_b32_e32 v18, s10
	s_xor_b64 exec, exec, s[6:7]
	s_cbranch_execnz .LBB39_3868
.LBB39_1818:
	s_or_b64 exec, exec, s[6:7]
	s_and_saveexec_b64 s[6:7], s[4:5]
	s_cbranch_execz .LBB39_1820
.LBB39_1819:
	v_bfe_u32 v18, v12, 24, 3
	v_ffbh_u32_e32 v22, v18
	v_min_u32_e32 v22, 32, v22
	v_lshrrev_b32_e32 v20, 27, v12
	v_subrev_u32_e32 v23, 28, v22
	v_and_b32_e32 v19, 0x80000000, v12
	v_and_b32_e32 v20, 15, v20
	v_bfe_u32 v21, v12, 27, 4
	v_lshlrev_b32_sdwa v12, v23, v12 dst_sel:DWORD dst_unused:UNUSED_PAD src0_sel:DWORD src1_sel:BYTE_3
	v_sub_u32_e32 v22, 29, v22
	v_and_b32_e32 v12, 7, v12
	v_cmp_eq_u16_e32 vcc, 0, v20
	v_cndmask_b32_e32 v12, v18, v12, vcc
	v_cndmask_b32_e32 v18, v21, v22, vcc
	v_mov_b32_e32 v20, 0x3b800000
	v_lshlrev_b32_e32 v12, 20, v12
	v_lshl_add_u32 v18, v18, 23, v20
	v_or3_b32 v18, v19, v18, v12
.LBB39_1820:
	s_or_b64 exec, exec, s[6:7]
	s_movk_i32 s4, 0x7f
	v_cmp_gt_i16_sdwa s[6:7], v8, s4 src0_sel:BYTE_3 src1_sel:DWORD
	s_mov_b64 s[4:5], 0
                                        ; implicit-def: $sgpr10
	s_and_saveexec_b64 s[8:9], s[6:7]
	s_xor_b64 s[6:7], exec, s[8:9]
	s_cbranch_execnz .LBB39_3869
; %bb.1821:
	s_or_saveexec_b64 s[6:7], s[6:7]
	v_mov_b32_e32 v12, s10
	s_xor_b64 exec, exec, s[6:7]
	s_cbranch_execnz .LBB39_3872
.LBB39_1822:
	s_or_b64 exec, exec, s[6:7]
	s_and_saveexec_b64 s[6:7], s[4:5]
	s_cbranch_execz .LBB39_1824
.LBB39_1823:
	v_bfe_u32 v12, v8, 24, 3
	v_ffbh_u32_e32 v22, v12
	v_min_u32_e32 v22, 32, v22
	v_lshrrev_b32_e32 v20, 27, v8
	v_subrev_u32_e32 v23, 28, v22
	v_and_b32_e32 v19, 0x80000000, v8
	v_and_b32_e32 v20, 15, v20
	v_bfe_u32 v21, v8, 27, 4
	v_lshlrev_b32_sdwa v8, v23, v8 dst_sel:DWORD dst_unused:UNUSED_PAD src0_sel:DWORD src1_sel:BYTE_3
	v_sub_u32_e32 v22, 29, v22
	v_and_b32_e32 v8, 7, v8
	v_cmp_eq_u16_e32 vcc, 0, v20
	v_cndmask_b32_e32 v8, v12, v8, vcc
	v_cndmask_b32_e32 v12, v21, v22, vcc
	v_mov_b32_e32 v20, 0x3b800000
	v_lshlrev_b32_e32 v8, 20, v8
	v_lshl_add_u32 v12, v12, 23, v20
	v_or3_b32 v12, v19, v12, v8
.LBB39_1824:
	s_or_b64 exec, exec, s[6:7]
	s_nop 0
	v_mfma_f32_16x16x4f32 a[0:3], v18, v12, a[0:3]
	s_movk_i32 s4, 0x7f
	v_cmp_gt_i16_sdwa s[6:7], v13, s4 src0_sel:BYTE_0 src1_sel:DWORD
	s_mov_b64 s[4:5], 0
                                        ; implicit-def: $sgpr10
	s_and_saveexec_b64 s[8:9], s[6:7]
	s_xor_b64 s[6:7], exec, s[8:9]
	s_cbranch_execnz .LBB39_3873
; %bb.1825:
	s_or_saveexec_b64 s[6:7], s[6:7]
	v_mov_b32_e32 v8, s10
	s_xor_b64 exec, exec, s[6:7]
	s_cbranch_execnz .LBB39_3876
.LBB39_1826:
	s_or_b64 exec, exec, s[6:7]
	s_and_saveexec_b64 s[6:7], s[4:5]
	s_cbranch_execz .LBB39_1828
.LBB39_1827:
	v_and_b32_e32 v8, 7, v13
	v_ffbh_u32_e32 v18, v8
	v_min_u32_e32 v18, 32, v18
	v_lshrrev_b16_e32 v12, 3, v13
	v_subrev_u32_e32 v19, 28, v18
	v_and_b32_e32 v12, 15, v12
	v_lshlrev_b32_e32 v19, v19, v13
	v_sub_u32_e32 v18, 29, v18
	v_and_b32_e32 v19, 7, v19
	v_cmp_eq_u16_e32 vcc, 0, v12
	v_cndmask_b32_e32 v8, v8, v19, vcc
	v_cndmask_b32_e32 v12, v12, v18, vcc
	v_lshlrev_b32_e32 v18, 24, v13
	v_mov_b32_e32 v19, 0x3b800000
	v_lshlrev_b32_e32 v8, 20, v8
	v_and_b32_e32 v18, 0x80000000, v18
	v_lshl_add_u32 v12, v12, 23, v19
	v_or3_b32 v8, v18, v12, v8
.LBB39_1828:
	s_or_b64 exec, exec, s[6:7]
	s_movk_i32 s4, 0x7f
	v_cmp_gt_i16_sdwa s[6:7], v9, s4 src0_sel:BYTE_0 src1_sel:DWORD
	s_mov_b64 s[4:5], 0
                                        ; implicit-def: $sgpr10
	s_and_saveexec_b64 s[8:9], s[6:7]
	s_xor_b64 s[6:7], exec, s[8:9]
	s_cbranch_execnz .LBB39_3877
; %bb.1829:
	s_or_saveexec_b64 s[6:7], s[6:7]
	v_mov_b32_e32 v12, s10
	s_xor_b64 exec, exec, s[6:7]
	s_cbranch_execnz .LBB39_3880
.LBB39_1830:
	s_or_b64 exec, exec, s[6:7]
	s_and_saveexec_b64 s[6:7], s[4:5]
	s_cbranch_execz .LBB39_1832
.LBB39_1831:
	v_and_b32_e32 v12, 7, v9
	v_ffbh_u32_e32 v19, v12
	v_min_u32_e32 v19, 32, v19
	v_lshrrev_b16_e32 v18, 3, v9
	v_subrev_u32_e32 v20, 28, v19
	v_and_b32_e32 v18, 15, v18
	v_lshlrev_b32_e32 v20, v20, v9
	v_sub_u32_e32 v19, 29, v19
	v_and_b32_e32 v20, 7, v20
	v_cmp_eq_u16_e32 vcc, 0, v18
	v_cndmask_b32_e32 v12, v12, v20, vcc
	v_cndmask_b32_e32 v18, v18, v19, vcc
	v_lshlrev_b32_e32 v19, 24, v9
	v_mov_b32_e32 v20, 0x3b800000
	v_lshlrev_b32_e32 v12, 20, v12
	v_and_b32_e32 v19, 0x80000000, v19
	v_lshl_add_u32 v18, v18, 23, v20
	v_or3_b32 v12, v19, v18, v12
.LBB39_1832:
	s_or_b64 exec, exec, s[6:7]
	s_nop 0
	v_mfma_f32_16x16x4f32 a[0:3], v8, v12, a[0:3]
	v_lshrrev_b32_e32 v12, 8, v13
	s_movk_i32 s4, 0x7f
	v_cmp_gt_i16_sdwa s[6:7], v12, s4 src0_sel:BYTE_0 src1_sel:DWORD
	s_mov_b64 s[4:5], 0
                                        ; implicit-def: $sgpr10
	s_and_saveexec_b64 s[8:9], s[6:7]
	s_xor_b64 s[6:7], exec, s[8:9]
	s_cbranch_execnz .LBB39_3881
; %bb.1833:
	s_or_saveexec_b64 s[6:7], s[6:7]
	v_mov_b32_e32 v8, s10
	s_xor_b64 exec, exec, s[6:7]
	s_cbranch_execnz .LBB39_3884
.LBB39_1834:
	s_or_b64 exec, exec, s[6:7]
	s_and_saveexec_b64 s[6:7], s[4:5]
	s_cbranch_execz .LBB39_1836
.LBB39_1835:
	v_bfe_u32 v8, v13, 8, 3
	v_ffbh_u32_e32 v19, v8
	v_min_u32_e32 v19, 32, v19
	v_lshrrev_b16_e32 v18, 3, v12
	v_subrev_u32_e32 v20, 28, v19
	v_and_b32_e32 v18, 15, v18
	v_lshlrev_b32_e32 v12, v20, v12
	v_sub_u32_e32 v19, 29, v19
	v_and_b32_e32 v12, 7, v12
	v_cmp_eq_u16_e32 vcc, 0, v18
	v_cndmask_b32_e32 v8, v8, v12, vcc
	v_cndmask_b32_e32 v12, v18, v19, vcc
	v_lshlrev_b32_e32 v18, 16, v13
	v_mov_b32_e32 v19, 0x3b800000
	v_lshlrev_b32_e32 v8, 20, v8
	v_and_b32_e32 v18, 0x80000000, v18
	v_lshl_add_u32 v12, v12, 23, v19
	v_or3_b32 v8, v18, v12, v8
.LBB39_1836:
	s_or_b64 exec, exec, s[6:7]
	v_lshrrev_b32_e32 v12, 8, v9
	s_movk_i32 s4, 0x7f
	v_cmp_gt_i16_sdwa s[6:7], v12, s4 src0_sel:BYTE_0 src1_sel:DWORD
	s_mov_b64 s[4:5], 0
                                        ; implicit-def: $sgpr10
	s_and_saveexec_b64 s[8:9], s[6:7]
	s_xor_b64 s[6:7], exec, s[8:9]
	s_cbranch_execnz .LBB39_3885
; %bb.1837:
	s_or_saveexec_b64 s[6:7], s[6:7]
	v_mov_b32_e32 v18, s10
	s_xor_b64 exec, exec, s[6:7]
	s_cbranch_execnz .LBB39_3888
.LBB39_1838:
	s_or_b64 exec, exec, s[6:7]
	s_and_saveexec_b64 s[6:7], s[4:5]
	s_cbranch_execz .LBB39_1840
.LBB39_1839:
	v_bfe_u32 v18, v9, 8, 3
	v_ffbh_u32_e32 v20, v18
	v_min_u32_e32 v20, 32, v20
	v_lshrrev_b16_e32 v19, 3, v12
	v_subrev_u32_e32 v21, 28, v20
	v_and_b32_e32 v19, 15, v19
	v_lshlrev_b32_e32 v12, v21, v12
	v_sub_u32_e32 v20, 29, v20
	v_and_b32_e32 v12, 7, v12
	v_cmp_eq_u16_e32 vcc, 0, v19
	v_cndmask_b32_e32 v12, v18, v12, vcc
	v_cndmask_b32_e32 v18, v19, v20, vcc
	v_lshlrev_b32_e32 v19, 16, v9
	v_mov_b32_e32 v20, 0x3b800000
	v_lshlrev_b32_e32 v12, 20, v12
	v_and_b32_e32 v19, 0x80000000, v19
	v_lshl_add_u32 v18, v18, 23, v20
	v_or3_b32 v18, v19, v18, v12
.LBB39_1840:
	s_or_b64 exec, exec, s[6:7]
	s_nop 0
	v_mfma_f32_16x16x4f32 a[0:3], v8, v18, a[0:3]
	s_movk_i32 s4, 0xff
	v_and_b32_sdwa v12, v13, s4 dst_sel:DWORD dst_unused:UNUSED_PAD src0_sel:WORD_1 src1_sel:DWORD
	s_movk_i32 s4, 0x7f
	v_cmp_lt_i16_e32 vcc, s4, v12
	s_mov_b64 s[4:5], 0
                                        ; implicit-def: $sgpr10
	s_and_saveexec_b64 s[6:7], vcc
	s_xor_b64 s[6:7], exec, s[6:7]
	s_cbranch_execnz .LBB39_3889
; %bb.1841:
	s_or_saveexec_b64 s[6:7], s[6:7]
	v_mov_b32_e32 v8, s10
	s_xor_b64 exec, exec, s[6:7]
	s_cbranch_execnz .LBB39_3892
.LBB39_1842:
	s_or_b64 exec, exec, s[6:7]
	s_and_saveexec_b64 s[6:7], s[4:5]
	s_cbranch_execz .LBB39_1844
.LBB39_1843:
	v_bfe_u32 v8, v13, 16, 3
	v_ffbh_u32_e32 v19, v8
	v_min_u32_e32 v19, 32, v19
	v_lshrrev_b32_e32 v12, 19, v13
	v_subrev_u32_e32 v20, 28, v19
	v_and_b32_e32 v12, 15, v12
	v_lshlrev_b32_sdwa v20, v20, v13 dst_sel:DWORD dst_unused:UNUSED_PAD src0_sel:DWORD src1_sel:WORD_1
	v_bfe_u32 v18, v13, 19, 4
	v_sub_u32_e32 v19, 29, v19
	v_and_b32_e32 v20, 7, v20
	v_cmp_eq_u16_e32 vcc, 0, v12
	v_cndmask_b32_e32 v8, v8, v20, vcc
	v_cndmask_b32_e32 v12, v18, v19, vcc
	v_lshlrev_b32_e32 v18, 8, v13
	v_mov_b32_e32 v19, 0x3b800000
	v_lshlrev_b32_e32 v8, 20, v8
	v_and_b32_e32 v18, 0x80000000, v18
	v_lshl_add_u32 v12, v12, 23, v19
	v_or3_b32 v8, v18, v12, v8
.LBB39_1844:
	s_or_b64 exec, exec, s[6:7]
	s_movk_i32 s4, 0xff
	v_and_b32_sdwa v12, v9, s4 dst_sel:DWORD dst_unused:UNUSED_PAD src0_sel:WORD_1 src1_sel:DWORD
	s_movk_i32 s4, 0x7f
	v_cmp_lt_i16_e32 vcc, s4, v12
	s_mov_b64 s[4:5], 0
                                        ; implicit-def: $sgpr10
	s_and_saveexec_b64 s[6:7], vcc
	s_xor_b64 s[6:7], exec, s[6:7]
	s_cbranch_execnz .LBB39_3893
; %bb.1845:
	s_or_saveexec_b64 s[6:7], s[6:7]
	v_mov_b32_e32 v18, s10
	s_xor_b64 exec, exec, s[6:7]
	s_cbranch_execnz .LBB39_3896
.LBB39_1846:
	s_or_b64 exec, exec, s[6:7]
	s_and_saveexec_b64 s[6:7], s[4:5]
	s_cbranch_execz .LBB39_1848
.LBB39_1847:
	v_bfe_u32 v12, v9, 16, 3
	v_ffbh_u32_e32 v20, v12
	v_min_u32_e32 v20, 32, v20
	v_lshrrev_b32_e32 v18, 19, v9
	v_subrev_u32_e32 v21, 28, v20
	v_and_b32_e32 v18, 15, v18
	v_lshlrev_b32_sdwa v21, v21, v9 dst_sel:DWORD dst_unused:UNUSED_PAD src0_sel:DWORD src1_sel:WORD_1
	v_bfe_u32 v19, v9, 19, 4
	v_sub_u32_e32 v20, 29, v20
	v_and_b32_e32 v21, 7, v21
	v_cmp_eq_u16_e32 vcc, 0, v18
	v_cndmask_b32_e32 v12, v12, v21, vcc
	v_cndmask_b32_e32 v18, v19, v20, vcc
	v_lshlrev_b32_e32 v19, 8, v9
	v_mov_b32_e32 v20, 0x3b800000
	v_lshlrev_b32_e32 v12, 20, v12
	v_and_b32_e32 v19, 0x80000000, v19
	v_lshl_add_u32 v18, v18, 23, v20
	v_or3_b32 v18, v19, v18, v12
.LBB39_1848:
	s_or_b64 exec, exec, s[6:7]
	s_nop 0
	v_mfma_f32_16x16x4f32 a[0:3], v8, v18, a[0:3]
	s_movk_i32 s4, 0x7f
	v_cmp_gt_i16_sdwa s[6:7], v13, s4 src0_sel:BYTE_3 src1_sel:DWORD
	s_mov_b64 s[4:5], 0
                                        ; implicit-def: $sgpr10
	s_and_saveexec_b64 s[8:9], s[6:7]
	s_xor_b64 s[6:7], exec, s[8:9]
	s_cbranch_execnz .LBB39_3897
; %bb.1849:
	s_or_saveexec_b64 s[6:7], s[6:7]
	v_mov_b32_e32 v8, s10
	s_xor_b64 exec, exec, s[6:7]
	s_cbranch_execnz .LBB39_3900
.LBB39_1850:
	s_or_b64 exec, exec, s[6:7]
	s_and_saveexec_b64 s[6:7], s[4:5]
	s_cbranch_execz .LBB39_1852
.LBB39_1851:
	v_bfe_u32 v8, v13, 24, 3
	v_ffbh_u32_e32 v20, v8
	v_min_u32_e32 v20, 32, v20
	v_lshrrev_b32_e32 v18, 27, v13
	v_subrev_u32_e32 v21, 28, v20
	v_and_b32_e32 v12, 0x80000000, v13
	v_and_b32_e32 v18, 15, v18
	v_bfe_u32 v19, v13, 27, 4
	v_lshlrev_b32_sdwa v13, v21, v13 dst_sel:DWORD dst_unused:UNUSED_PAD src0_sel:DWORD src1_sel:BYTE_3
	v_sub_u32_e32 v20, 29, v20
	v_and_b32_e32 v13, 7, v13
	v_cmp_eq_u16_e32 vcc, 0, v18
	v_cndmask_b32_e32 v8, v8, v13, vcc
	v_cndmask_b32_e32 v13, v19, v20, vcc
	v_mov_b32_e32 v18, 0x3b800000
	v_lshlrev_b32_e32 v8, 20, v8
	v_lshl_add_u32 v13, v13, 23, v18
	v_or3_b32 v8, v12, v13, v8
.LBB39_1852:
	s_or_b64 exec, exec, s[6:7]
	s_movk_i32 s4, 0x7f
	v_cmp_gt_i16_sdwa s[6:7], v9, s4 src0_sel:BYTE_3 src1_sel:DWORD
	s_mov_b64 s[4:5], 0
                                        ; implicit-def: $sgpr10
	s_and_saveexec_b64 s[8:9], s[6:7]
	s_xor_b64 s[6:7], exec, s[8:9]
	s_cbranch_execnz .LBB39_3901
; %bb.1853:
	s_or_saveexec_b64 s[6:7], s[6:7]
	v_mov_b32_e32 v12, s10
	s_xor_b64 exec, exec, s[6:7]
	s_cbranch_execnz .LBB39_3904
.LBB39_1854:
	s_or_b64 exec, exec, s[6:7]
	s_and_saveexec_b64 s[6:7], s[4:5]
	s_cbranch_execz .LBB39_1856
.LBB39_1855:
	v_bfe_u32 v12, v9, 24, 3
	v_ffbh_u32_e32 v20, v12
	v_min_u32_e32 v20, 32, v20
	v_lshrrev_b32_e32 v18, 27, v9
	v_subrev_u32_e32 v21, 28, v20
	v_and_b32_e32 v13, 0x80000000, v9
	v_and_b32_e32 v18, 15, v18
	v_bfe_u32 v19, v9, 27, 4
	v_lshlrev_b32_sdwa v9, v21, v9 dst_sel:DWORD dst_unused:UNUSED_PAD src0_sel:DWORD src1_sel:BYTE_3
	v_sub_u32_e32 v20, 29, v20
	v_and_b32_e32 v9, 7, v9
	v_cmp_eq_u16_e32 vcc, 0, v18
	v_cndmask_b32_e32 v9, v12, v9, vcc
	v_cndmask_b32_e32 v12, v19, v20, vcc
	v_mov_b32_e32 v18, 0x3b800000
	v_lshlrev_b32_e32 v9, 20, v9
	v_lshl_add_u32 v12, v12, 23, v18
	v_or3_b32 v12, v13, v12, v9
.LBB39_1856:
	s_or_b64 exec, exec, s[6:7]
	s_nop 0
	v_mfma_f32_16x16x4f32 a[0:3], v8, v12, a[0:3]
	s_movk_i32 s4, 0x7f
	v_cmp_gt_i16_sdwa s[6:7], v14, s4 src0_sel:BYTE_0 src1_sel:DWORD
	s_mov_b64 s[4:5], 0
                                        ; implicit-def: $sgpr10
	s_and_saveexec_b64 s[8:9], s[6:7]
	s_xor_b64 s[6:7], exec, s[8:9]
	s_cbranch_execnz .LBB39_3905
; %bb.1857:
	s_or_saveexec_b64 s[6:7], s[6:7]
	v_mov_b32_e32 v8, s10
	s_xor_b64 exec, exec, s[6:7]
	s_cbranch_execnz .LBB39_3908
.LBB39_1858:
	s_or_b64 exec, exec, s[6:7]
	s_and_saveexec_b64 s[6:7], s[4:5]
	s_cbranch_execz .LBB39_1860
.LBB39_1859:
	v_and_b32_e32 v8, 7, v14
	v_ffbh_u32_e32 v12, v8
	v_min_u32_e32 v12, 32, v12
	v_lshrrev_b16_e32 v9, 3, v14
	v_subrev_u32_e32 v13, 28, v12
	v_and_b32_e32 v9, 15, v9
	v_lshlrev_b32_e32 v13, v13, v14
	v_sub_u32_e32 v12, 29, v12
	v_and_b32_e32 v13, 7, v13
	v_cmp_eq_u16_e32 vcc, 0, v9
	v_cndmask_b32_e32 v8, v8, v13, vcc
	v_cndmask_b32_e32 v9, v9, v12, vcc
	v_lshlrev_b32_e32 v12, 24, v14
	v_mov_b32_e32 v13, 0x3b800000
	v_lshlrev_b32_e32 v8, 20, v8
	v_and_b32_e32 v12, 0x80000000, v12
	v_lshl_add_u32 v9, v9, 23, v13
	v_or3_b32 v8, v12, v9, v8
.LBB39_1860:
	s_or_b64 exec, exec, s[6:7]
	s_movk_i32 s4, 0x7f
	v_cmp_gt_i16_sdwa s[6:7], v10, s4 src0_sel:BYTE_0 src1_sel:DWORD
	s_mov_b64 s[4:5], 0
                                        ; implicit-def: $sgpr10
	s_and_saveexec_b64 s[8:9], s[6:7]
	s_xor_b64 s[6:7], exec, s[8:9]
	s_cbranch_execnz .LBB39_3909
; %bb.1861:
	s_or_saveexec_b64 s[6:7], s[6:7]
	v_mov_b32_e32 v9, s10
	s_xor_b64 exec, exec, s[6:7]
	s_cbranch_execnz .LBB39_3912
.LBB39_1862:
	s_or_b64 exec, exec, s[6:7]
	s_and_saveexec_b64 s[6:7], s[4:5]
	s_cbranch_execz .LBB39_1864
.LBB39_1863:
	v_and_b32_e32 v9, 7, v10
	v_ffbh_u32_e32 v13, v9
	v_min_u32_e32 v13, 32, v13
	v_lshrrev_b16_e32 v12, 3, v10
	v_subrev_u32_e32 v18, 28, v13
	v_and_b32_e32 v12, 15, v12
	v_lshlrev_b32_e32 v18, v18, v10
	v_sub_u32_e32 v13, 29, v13
	v_and_b32_e32 v18, 7, v18
	v_cmp_eq_u16_e32 vcc, 0, v12
	v_cndmask_b32_e32 v9, v9, v18, vcc
	v_cndmask_b32_e32 v12, v12, v13, vcc
	v_lshlrev_b32_e32 v13, 24, v10
	v_mov_b32_e32 v18, 0x3b800000
	v_lshlrev_b32_e32 v9, 20, v9
	v_and_b32_e32 v13, 0x80000000, v13
	v_lshl_add_u32 v12, v12, 23, v18
	v_or3_b32 v9, v13, v12, v9
.LBB39_1864:
	s_or_b64 exec, exec, s[6:7]
	s_nop 0
	v_mfma_f32_16x16x4f32 a[0:3], v8, v9, a[0:3]
	v_lshrrev_b32_e32 v9, 8, v14
	s_movk_i32 s4, 0x7f
	v_cmp_gt_i16_sdwa s[6:7], v9, s4 src0_sel:BYTE_0 src1_sel:DWORD
	s_mov_b64 s[4:5], 0
                                        ; implicit-def: $sgpr10
	s_and_saveexec_b64 s[8:9], s[6:7]
	s_xor_b64 s[6:7], exec, s[8:9]
	s_cbranch_execnz .LBB39_3913
; %bb.1865:
	s_or_saveexec_b64 s[6:7], s[6:7]
	v_mov_b32_e32 v8, s10
	s_xor_b64 exec, exec, s[6:7]
	s_cbranch_execnz .LBB39_3916
.LBB39_1866:
	s_or_b64 exec, exec, s[6:7]
	s_and_saveexec_b64 s[6:7], s[4:5]
	s_cbranch_execz .LBB39_1868
.LBB39_1867:
	v_bfe_u32 v8, v14, 8, 3
	v_ffbh_u32_e32 v13, v8
	v_min_u32_e32 v13, 32, v13
	v_lshrrev_b16_e32 v12, 3, v9
	v_subrev_u32_e32 v18, 28, v13
	v_and_b32_e32 v12, 15, v12
	v_lshlrev_b32_e32 v9, v18, v9
	v_sub_u32_e32 v13, 29, v13
	v_and_b32_e32 v9, 7, v9
	v_cmp_eq_u16_e32 vcc, 0, v12
	v_cndmask_b32_e32 v8, v8, v9, vcc
	v_cndmask_b32_e32 v9, v12, v13, vcc
	v_lshlrev_b32_e32 v12, 16, v14
	v_mov_b32_e32 v13, 0x3b800000
	v_lshlrev_b32_e32 v8, 20, v8
	v_and_b32_e32 v12, 0x80000000, v12
	v_lshl_add_u32 v9, v9, 23, v13
	v_or3_b32 v8, v12, v9, v8
.LBB39_1868:
	s_or_b64 exec, exec, s[6:7]
	v_lshrrev_b32_e32 v9, 8, v10
	s_movk_i32 s4, 0x7f
	v_cmp_gt_i16_sdwa s[6:7], v9, s4 src0_sel:BYTE_0 src1_sel:DWORD
	s_mov_b64 s[4:5], 0
                                        ; implicit-def: $sgpr10
	s_and_saveexec_b64 s[8:9], s[6:7]
	s_xor_b64 s[6:7], exec, s[8:9]
	s_cbranch_execnz .LBB39_3917
; %bb.1869:
	s_or_saveexec_b64 s[6:7], s[6:7]
	v_mov_b32_e32 v12, s10
	s_xor_b64 exec, exec, s[6:7]
	s_cbranch_execnz .LBB39_3920
.LBB39_1870:
	s_or_b64 exec, exec, s[6:7]
	s_and_saveexec_b64 s[6:7], s[4:5]
	s_cbranch_execz .LBB39_1872
.LBB39_1871:
	v_bfe_u32 v12, v10, 8, 3
	v_ffbh_u32_e32 v18, v12
	v_min_u32_e32 v18, 32, v18
	v_lshrrev_b16_e32 v13, 3, v9
	v_subrev_u32_e32 v19, 28, v18
	v_and_b32_e32 v13, 15, v13
	v_lshlrev_b32_e32 v9, v19, v9
	v_sub_u32_e32 v18, 29, v18
	v_and_b32_e32 v9, 7, v9
	v_cmp_eq_u16_e32 vcc, 0, v13
	v_cndmask_b32_e32 v9, v12, v9, vcc
	v_cndmask_b32_e32 v12, v13, v18, vcc
	v_lshlrev_b32_e32 v13, 16, v10
	v_mov_b32_e32 v18, 0x3b800000
	v_lshlrev_b32_e32 v9, 20, v9
	v_and_b32_e32 v13, 0x80000000, v13
	v_lshl_add_u32 v12, v12, 23, v18
	v_or3_b32 v12, v13, v12, v9
.LBB39_1872:
	s_or_b64 exec, exec, s[6:7]
	s_nop 0
	v_mfma_f32_16x16x4f32 a[0:3], v8, v12, a[0:3]
	s_movk_i32 s4, 0xff
	v_and_b32_sdwa v9, v14, s4 dst_sel:DWORD dst_unused:UNUSED_PAD src0_sel:WORD_1 src1_sel:DWORD
	s_movk_i32 s4, 0x7f
	v_cmp_lt_i16_e32 vcc, s4, v9
	s_mov_b64 s[4:5], 0
                                        ; implicit-def: $sgpr10
	s_and_saveexec_b64 s[6:7], vcc
	s_xor_b64 s[6:7], exec, s[6:7]
	s_cbranch_execnz .LBB39_3921
; %bb.1873:
	s_or_saveexec_b64 s[6:7], s[6:7]
	v_mov_b32_e32 v8, s10
	s_xor_b64 exec, exec, s[6:7]
	s_cbranch_execnz .LBB39_3924
.LBB39_1874:
	s_or_b64 exec, exec, s[6:7]
	s_and_saveexec_b64 s[6:7], s[4:5]
	s_cbranch_execz .LBB39_1876
.LBB39_1875:
	v_bfe_u32 v8, v14, 16, 3
	v_ffbh_u32_e32 v13, v8
	v_min_u32_e32 v13, 32, v13
	v_lshrrev_b32_e32 v9, 19, v14
	v_subrev_u32_e32 v18, 28, v13
	v_and_b32_e32 v9, 15, v9
	v_lshlrev_b32_sdwa v18, v18, v14 dst_sel:DWORD dst_unused:UNUSED_PAD src0_sel:DWORD src1_sel:WORD_1
	v_bfe_u32 v12, v14, 19, 4
	v_sub_u32_e32 v13, 29, v13
	v_and_b32_e32 v18, 7, v18
	v_cmp_eq_u16_e32 vcc, 0, v9
	v_cndmask_b32_e32 v8, v8, v18, vcc
	v_cndmask_b32_e32 v9, v12, v13, vcc
	v_lshlrev_b32_e32 v12, 8, v14
	v_mov_b32_e32 v13, 0x3b800000
	v_lshlrev_b32_e32 v8, 20, v8
	v_and_b32_e32 v12, 0x80000000, v12
	v_lshl_add_u32 v9, v9, 23, v13
	v_or3_b32 v8, v12, v9, v8
.LBB39_1876:
	s_or_b64 exec, exec, s[6:7]
	s_movk_i32 s4, 0xff
	v_and_b32_sdwa v9, v10, s4 dst_sel:DWORD dst_unused:UNUSED_PAD src0_sel:WORD_1 src1_sel:DWORD
	s_movk_i32 s4, 0x7f
	v_cmp_lt_i16_e32 vcc, s4, v9
	s_mov_b64 s[4:5], 0
                                        ; implicit-def: $sgpr10
	s_and_saveexec_b64 s[6:7], vcc
	s_xor_b64 s[6:7], exec, s[6:7]
	s_cbranch_execnz .LBB39_3925
; %bb.1877:
	s_or_saveexec_b64 s[6:7], s[6:7]
	v_mov_b32_e32 v12, s10
	s_xor_b64 exec, exec, s[6:7]
	s_cbranch_execnz .LBB39_3928
.LBB39_1878:
	s_or_b64 exec, exec, s[6:7]
	s_and_saveexec_b64 s[6:7], s[4:5]
	s_cbranch_execz .LBB39_1880
.LBB39_1879:
	v_bfe_u32 v9, v10, 16, 3
	v_ffbh_u32_e32 v18, v9
	v_min_u32_e32 v18, 32, v18
	v_lshrrev_b32_e32 v12, 19, v10
	v_subrev_u32_e32 v19, 28, v18
	v_and_b32_e32 v12, 15, v12
	v_lshlrev_b32_sdwa v19, v19, v10 dst_sel:DWORD dst_unused:UNUSED_PAD src0_sel:DWORD src1_sel:WORD_1
	v_bfe_u32 v13, v10, 19, 4
	v_sub_u32_e32 v18, 29, v18
	v_and_b32_e32 v19, 7, v19
	v_cmp_eq_u16_e32 vcc, 0, v12
	v_cndmask_b32_e32 v9, v9, v19, vcc
	v_cndmask_b32_e32 v12, v13, v18, vcc
	v_lshlrev_b32_e32 v13, 8, v10
	v_mov_b32_e32 v18, 0x3b800000
	v_lshlrev_b32_e32 v9, 20, v9
	v_and_b32_e32 v13, 0x80000000, v13
	v_lshl_add_u32 v12, v12, 23, v18
	v_or3_b32 v12, v13, v12, v9
.LBB39_1880:
	s_or_b64 exec, exec, s[6:7]
	s_nop 0
	v_mfma_f32_16x16x4f32 a[0:3], v8, v12, a[0:3]
	s_movk_i32 s4, 0x7f
	v_cmp_gt_i16_sdwa s[6:7], v14, s4 src0_sel:BYTE_3 src1_sel:DWORD
	s_mov_b64 s[4:5], 0
                                        ; implicit-def: $sgpr10
	s_and_saveexec_b64 s[8:9], s[6:7]
	s_xor_b64 s[6:7], exec, s[8:9]
	s_cbranch_execnz .LBB39_3929
; %bb.1881:
	s_or_saveexec_b64 s[6:7], s[6:7]
	v_mov_b32_e32 v8, s10
	s_xor_b64 exec, exec, s[6:7]
	s_cbranch_execnz .LBB39_3932
.LBB39_1882:
	s_or_b64 exec, exec, s[6:7]
	s_and_saveexec_b64 s[6:7], s[4:5]
	s_cbranch_execz .LBB39_1884
.LBB39_1883:
	v_bfe_u32 v8, v14, 24, 3
	v_ffbh_u32_e32 v18, v8
	v_min_u32_e32 v18, 32, v18
	v_lshrrev_b32_e32 v12, 27, v14
	v_subrev_u32_e32 v19, 28, v18
	v_and_b32_e32 v9, 0x80000000, v14
	v_and_b32_e32 v12, 15, v12
	v_bfe_u32 v13, v14, 27, 4
	v_lshlrev_b32_sdwa v14, v19, v14 dst_sel:DWORD dst_unused:UNUSED_PAD src0_sel:DWORD src1_sel:BYTE_3
	v_sub_u32_e32 v18, 29, v18
	v_and_b32_e32 v14, 7, v14
	v_cmp_eq_u16_e32 vcc, 0, v12
	v_cndmask_b32_e32 v8, v8, v14, vcc
	v_cndmask_b32_e32 v12, v13, v18, vcc
	v_mov_b32_e32 v13, 0x3b800000
	v_lshlrev_b32_e32 v8, 20, v8
	v_lshl_add_u32 v12, v12, 23, v13
	v_or3_b32 v8, v9, v12, v8
.LBB39_1884:
	s_or_b64 exec, exec, s[6:7]
	s_movk_i32 s4, 0x7f
	v_cmp_gt_i16_sdwa s[6:7], v10, s4 src0_sel:BYTE_3 src1_sel:DWORD
	s_mov_b64 s[4:5], 0
                                        ; implicit-def: $sgpr10
	s_and_saveexec_b64 s[8:9], s[6:7]
	s_xor_b64 s[6:7], exec, s[8:9]
	s_cbranch_execnz .LBB39_3933
; %bb.1885:
	s_or_saveexec_b64 s[6:7], s[6:7]
	v_mov_b32_e32 v9, s10
	s_xor_b64 exec, exec, s[6:7]
	s_cbranch_execnz .LBB39_3936
.LBB39_1886:
	s_or_b64 exec, exec, s[6:7]
	s_and_saveexec_b64 s[6:7], s[4:5]
	s_cbranch_execz .LBB39_1888
.LBB39_1887:
	v_bfe_u32 v9, v10, 24, 3
	v_ffbh_u32_e32 v18, v9
	v_min_u32_e32 v18, 32, v18
	v_lshrrev_b32_e32 v13, 27, v10
	v_subrev_u32_e32 v19, 28, v18
	v_and_b32_e32 v12, 0x80000000, v10
	v_and_b32_e32 v13, 15, v13
	v_bfe_u32 v14, v10, 27, 4
	v_lshlrev_b32_sdwa v10, v19, v10 dst_sel:DWORD dst_unused:UNUSED_PAD src0_sel:DWORD src1_sel:BYTE_3
	v_sub_u32_e32 v18, 29, v18
	v_and_b32_e32 v10, 7, v10
	v_cmp_eq_u16_e32 vcc, 0, v13
	v_cndmask_b32_e32 v9, v9, v10, vcc
	v_cndmask_b32_e32 v10, v14, v18, vcc
	v_mov_b32_e32 v13, 0x3b800000
	v_lshlrev_b32_e32 v9, 20, v9
	v_lshl_add_u32 v10, v10, 23, v13
	v_or3_b32 v9, v12, v10, v9
.LBB39_1888:
	s_or_b64 exec, exec, s[6:7]
	s_nop 0
	v_mfma_f32_16x16x4f32 a[0:3], v8, v9, a[0:3]
	s_movk_i32 s4, 0x7f
	v_cmp_gt_i16_sdwa s[6:7], v15, s4 src0_sel:BYTE_0 src1_sel:DWORD
	s_mov_b64 s[4:5], 0
                                        ; implicit-def: $sgpr10
	s_and_saveexec_b64 s[8:9], s[6:7]
	s_xor_b64 s[6:7], exec, s[8:9]
	s_cbranch_execnz .LBB39_3937
; %bb.1889:
	s_or_saveexec_b64 s[6:7], s[6:7]
	v_mov_b32_e32 v8, s10
	s_xor_b64 exec, exec, s[6:7]
	s_cbranch_execnz .LBB39_3940
.LBB39_1890:
	s_or_b64 exec, exec, s[6:7]
	s_and_saveexec_b64 s[6:7], s[4:5]
	s_cbranch_execz .LBB39_1892
.LBB39_1891:
	v_and_b32_e32 v8, 7, v15
	v_ffbh_u32_e32 v10, v8
	v_min_u32_e32 v10, 32, v10
	v_lshrrev_b16_e32 v9, 3, v15
	v_subrev_u32_e32 v12, 28, v10
	v_and_b32_e32 v9, 15, v9
	v_lshlrev_b32_e32 v12, v12, v15
	v_sub_u32_e32 v10, 29, v10
	v_and_b32_e32 v12, 7, v12
	v_cmp_eq_u16_e32 vcc, 0, v9
	v_cndmask_b32_e32 v8, v8, v12, vcc
	v_cndmask_b32_e32 v9, v9, v10, vcc
	v_lshlrev_b32_e32 v10, 24, v15
	v_mov_b32_e32 v12, 0x3b800000
	v_lshlrev_b32_e32 v8, 20, v8
	v_and_b32_e32 v10, 0x80000000, v10
	v_lshl_add_u32 v9, v9, 23, v12
	v_or3_b32 v8, v10, v9, v8
.LBB39_1892:
	s_or_b64 exec, exec, s[6:7]
	s_movk_i32 s4, 0x7f
	v_cmp_gt_i16_sdwa s[6:7], v11, s4 src0_sel:BYTE_0 src1_sel:DWORD
	s_mov_b64 s[4:5], 0
                                        ; implicit-def: $sgpr10
	s_and_saveexec_b64 s[8:9], s[6:7]
	s_xor_b64 s[6:7], exec, s[8:9]
	s_cbranch_execnz .LBB39_3941
; %bb.1893:
	s_or_saveexec_b64 s[6:7], s[6:7]
	v_mov_b32_e32 v9, s10
	s_xor_b64 exec, exec, s[6:7]
	s_cbranch_execnz .LBB39_3944
.LBB39_1894:
	s_or_b64 exec, exec, s[6:7]
	s_and_saveexec_b64 s[6:7], s[4:5]
	s_cbranch_execz .LBB39_1896
.LBB39_1895:
	v_and_b32_e32 v9, 7, v11
	v_ffbh_u32_e32 v12, v9
	v_min_u32_e32 v12, 32, v12
	v_lshrrev_b16_e32 v10, 3, v11
	v_subrev_u32_e32 v13, 28, v12
	v_and_b32_e32 v10, 15, v10
	v_lshlrev_b32_e32 v13, v13, v11
	v_sub_u32_e32 v12, 29, v12
	v_and_b32_e32 v13, 7, v13
	v_cmp_eq_u16_e32 vcc, 0, v10
	v_cndmask_b32_e32 v9, v9, v13, vcc
	v_cndmask_b32_e32 v10, v10, v12, vcc
	v_lshlrev_b32_e32 v12, 24, v11
	v_mov_b32_e32 v13, 0x3b800000
	v_lshlrev_b32_e32 v9, 20, v9
	v_and_b32_e32 v12, 0x80000000, v12
	v_lshl_add_u32 v10, v10, 23, v13
	v_or3_b32 v9, v12, v10, v9
.LBB39_1896:
	s_or_b64 exec, exec, s[6:7]
	s_nop 0
	v_mfma_f32_16x16x4f32 a[0:3], v8, v9, a[0:3]
	v_lshrrev_b32_e32 v9, 8, v15
	s_movk_i32 s4, 0x7f
	v_cmp_gt_i16_sdwa s[6:7], v9, s4 src0_sel:BYTE_0 src1_sel:DWORD
	s_mov_b64 s[4:5], 0
                                        ; implicit-def: $sgpr10
	s_and_saveexec_b64 s[8:9], s[6:7]
	s_xor_b64 s[6:7], exec, s[8:9]
	s_cbranch_execnz .LBB39_3945
; %bb.1897:
	s_or_saveexec_b64 s[6:7], s[6:7]
	v_mov_b32_e32 v8, s10
	s_xor_b64 exec, exec, s[6:7]
	s_cbranch_execnz .LBB39_3948
.LBB39_1898:
	s_or_b64 exec, exec, s[6:7]
	s_and_saveexec_b64 s[6:7], s[4:5]
	s_cbranch_execz .LBB39_1900
.LBB39_1899:
	v_bfe_u32 v8, v15, 8, 3
	v_ffbh_u32_e32 v12, v8
	v_min_u32_e32 v12, 32, v12
	v_lshrrev_b16_e32 v10, 3, v9
	v_subrev_u32_e32 v13, 28, v12
	v_and_b32_e32 v10, 15, v10
	v_lshlrev_b32_e32 v9, v13, v9
	v_sub_u32_e32 v12, 29, v12
	v_and_b32_e32 v9, 7, v9
	v_cmp_eq_u16_e32 vcc, 0, v10
	v_cndmask_b32_e32 v8, v8, v9, vcc
	v_cndmask_b32_e32 v9, v10, v12, vcc
	v_lshlrev_b32_e32 v10, 16, v15
	v_mov_b32_e32 v12, 0x3b800000
	v_lshlrev_b32_e32 v8, 20, v8
	v_and_b32_e32 v10, 0x80000000, v10
	v_lshl_add_u32 v9, v9, 23, v12
	v_or3_b32 v8, v10, v9, v8
.LBB39_1900:
	s_or_b64 exec, exec, s[6:7]
	v_lshrrev_b32_e32 v9, 8, v11
	s_movk_i32 s4, 0x7f
	v_cmp_gt_i16_sdwa s[6:7], v9, s4 src0_sel:BYTE_0 src1_sel:DWORD
	s_mov_b64 s[4:5], 0
                                        ; implicit-def: $sgpr10
	s_and_saveexec_b64 s[8:9], s[6:7]
	s_xor_b64 s[6:7], exec, s[8:9]
	s_cbranch_execnz .LBB39_3949
; %bb.1901:
	s_or_saveexec_b64 s[6:7], s[6:7]
	v_mov_b32_e32 v10, s10
	s_xor_b64 exec, exec, s[6:7]
	s_cbranch_execnz .LBB39_3952
.LBB39_1902:
	s_or_b64 exec, exec, s[6:7]
	s_and_saveexec_b64 s[6:7], s[4:5]
	s_cbranch_execz .LBB39_1904
.LBB39_1903:
	v_bfe_u32 v10, v11, 8, 3
	v_ffbh_u32_e32 v13, v10
	v_min_u32_e32 v13, 32, v13
	v_lshrrev_b16_e32 v12, 3, v9
	v_subrev_u32_e32 v14, 28, v13
	v_and_b32_e32 v12, 15, v12
	v_lshlrev_b32_e32 v9, v14, v9
	v_sub_u32_e32 v13, 29, v13
	v_and_b32_e32 v9, 7, v9
	v_cmp_eq_u16_e32 vcc, 0, v12
	v_cndmask_b32_e32 v9, v10, v9, vcc
	v_cndmask_b32_e32 v10, v12, v13, vcc
	v_lshlrev_b32_e32 v12, 16, v11
	v_mov_b32_e32 v13, 0x3b800000
	v_lshlrev_b32_e32 v9, 20, v9
	v_and_b32_e32 v12, 0x80000000, v12
	v_lshl_add_u32 v10, v10, 23, v13
	v_or3_b32 v10, v12, v10, v9
.LBB39_1904:
	s_or_b64 exec, exec, s[6:7]
	s_nop 0
	v_mfma_f32_16x16x4f32 a[0:3], v8, v10, a[0:3]
	s_movk_i32 s4, 0xff
	v_and_b32_sdwa v9, v15, s4 dst_sel:DWORD dst_unused:UNUSED_PAD src0_sel:WORD_1 src1_sel:DWORD
	s_movk_i32 s4, 0x7f
	v_cmp_lt_i16_e32 vcc, s4, v9
	s_mov_b64 s[4:5], 0
                                        ; implicit-def: $sgpr10
	s_and_saveexec_b64 s[6:7], vcc
	s_xor_b64 s[6:7], exec, s[6:7]
	s_cbranch_execnz .LBB39_3953
; %bb.1905:
	s_or_saveexec_b64 s[6:7], s[6:7]
	v_mov_b32_e32 v8, s10
	s_xor_b64 exec, exec, s[6:7]
	s_cbranch_execnz .LBB39_3956
.LBB39_1906:
	s_or_b64 exec, exec, s[6:7]
	s_and_saveexec_b64 s[6:7], s[4:5]
	s_cbranch_execz .LBB39_1908
.LBB39_1907:
	v_bfe_u32 v8, v15, 16, 3
	v_ffbh_u32_e32 v12, v8
	v_min_u32_e32 v12, 32, v12
	v_lshrrev_b32_e32 v9, 19, v15
	v_subrev_u32_e32 v13, 28, v12
	v_and_b32_e32 v9, 15, v9
	v_lshlrev_b32_sdwa v13, v13, v15 dst_sel:DWORD dst_unused:UNUSED_PAD src0_sel:DWORD src1_sel:WORD_1
	v_bfe_u32 v10, v15, 19, 4
	v_sub_u32_e32 v12, 29, v12
	v_and_b32_e32 v13, 7, v13
	v_cmp_eq_u16_e32 vcc, 0, v9
	v_cndmask_b32_e32 v8, v8, v13, vcc
	v_cndmask_b32_e32 v9, v10, v12, vcc
	v_lshlrev_b32_e32 v10, 8, v15
	v_mov_b32_e32 v12, 0x3b800000
	v_lshlrev_b32_e32 v8, 20, v8
	v_and_b32_e32 v10, 0x80000000, v10
	v_lshl_add_u32 v9, v9, 23, v12
	v_or3_b32 v8, v10, v9, v8
.LBB39_1908:
	s_or_b64 exec, exec, s[6:7]
	s_movk_i32 s4, 0xff
	v_and_b32_sdwa v9, v11, s4 dst_sel:DWORD dst_unused:UNUSED_PAD src0_sel:WORD_1 src1_sel:DWORD
	s_movk_i32 s4, 0x7f
	v_cmp_lt_i16_e32 vcc, s4, v9
	s_mov_b64 s[4:5], 0
                                        ; implicit-def: $sgpr10
	s_and_saveexec_b64 s[6:7], vcc
	s_xor_b64 s[6:7], exec, s[6:7]
	s_cbranch_execnz .LBB39_3957
; %bb.1909:
	s_or_saveexec_b64 s[6:7], s[6:7]
	v_mov_b32_e32 v10, s10
	s_xor_b64 exec, exec, s[6:7]
	s_cbranch_execnz .LBB39_3960
.LBB39_1910:
	s_or_b64 exec, exec, s[6:7]
	s_and_saveexec_b64 s[6:7], s[4:5]
	s_cbranch_execz .LBB39_1912
.LBB39_1911:
	v_bfe_u32 v9, v11, 16, 3
	v_ffbh_u32_e32 v13, v9
	v_min_u32_e32 v13, 32, v13
	v_lshrrev_b32_e32 v10, 19, v11
	v_subrev_u32_e32 v14, 28, v13
	v_and_b32_e32 v10, 15, v10
	v_lshlrev_b32_sdwa v14, v14, v11 dst_sel:DWORD dst_unused:UNUSED_PAD src0_sel:DWORD src1_sel:WORD_1
	v_bfe_u32 v12, v11, 19, 4
	v_sub_u32_e32 v13, 29, v13
	v_and_b32_e32 v14, 7, v14
	v_cmp_eq_u16_e32 vcc, 0, v10
	v_cndmask_b32_e32 v9, v9, v14, vcc
	v_cndmask_b32_e32 v10, v12, v13, vcc
	v_lshlrev_b32_e32 v12, 8, v11
	v_mov_b32_e32 v13, 0x3b800000
	v_lshlrev_b32_e32 v9, 20, v9
	v_and_b32_e32 v12, 0x80000000, v12
	v_lshl_add_u32 v10, v10, 23, v13
	v_or3_b32 v10, v12, v10, v9
.LBB39_1912:
	s_or_b64 exec, exec, s[6:7]
	s_nop 0
	v_mfma_f32_16x16x4f32 a[0:3], v8, v10, a[0:3]
	s_movk_i32 s4, 0x7f
	v_cmp_gt_i16_sdwa s[6:7], v15, s4 src0_sel:BYTE_3 src1_sel:DWORD
	s_mov_b64 s[4:5], 0
                                        ; implicit-def: $sgpr10
	s_and_saveexec_b64 s[8:9], s[6:7]
	s_xor_b64 s[6:7], exec, s[8:9]
	s_cbranch_execnz .LBB39_3961
; %bb.1913:
	s_or_saveexec_b64 s[6:7], s[6:7]
	v_mov_b32_e32 v8, s10
	s_xor_b64 exec, exec, s[6:7]
	s_cbranch_execnz .LBB39_3964
.LBB39_1914:
	s_or_b64 exec, exec, s[6:7]
	s_and_saveexec_b64 s[6:7], s[4:5]
	s_cbranch_execz .LBB39_1916
.LBB39_1915:
	v_bfe_u32 v8, v15, 24, 3
	v_ffbh_u32_e32 v13, v8
	v_min_u32_e32 v13, 32, v13
	v_lshrrev_b32_e32 v10, 27, v15
	v_subrev_u32_e32 v14, 28, v13
	v_and_b32_e32 v10, 15, v10
	v_lshlrev_b32_sdwa v14, v14, v15 dst_sel:DWORD dst_unused:UNUSED_PAD src0_sel:DWORD src1_sel:BYTE_3
	v_bfe_u32 v12, v15, 27, 4
	v_sub_u32_e32 v13, 29, v13
	v_and_b32_e32 v14, 7, v14
	v_cmp_eq_u16_e32 vcc, 0, v10
	v_cndmask_b32_e32 v8, v8, v14, vcc
	v_cndmask_b32_e32 v10, v12, v13, vcc
	v_mov_b32_e32 v12, 0x3b800000
	v_and_b32_e32 v9, 0x80000000, v15
	v_lshlrev_b32_e32 v8, 20, v8
	v_lshl_add_u32 v10, v10, 23, v12
	v_or3_b32 v8, v9, v10, v8
.LBB39_1916:
	s_or_b64 exec, exec, s[6:7]
	s_movk_i32 s4, 0x7f
	v_cmp_gt_i16_sdwa s[6:7], v11, s4 src0_sel:BYTE_3 src1_sel:DWORD
	s_mov_b64 s[4:5], 0
                                        ; implicit-def: $sgpr10
	s_and_saveexec_b64 s[8:9], s[6:7]
	s_xor_b64 s[6:7], exec, s[8:9]
	s_cbranch_execnz .LBB39_3965
; %bb.1917:
	s_or_saveexec_b64 s[6:7], s[6:7]
	v_mov_b32_e32 v9, s10
	s_xor_b64 exec, exec, s[6:7]
	s_cbranch_execnz .LBB39_3968
.LBB39_1918:
	s_or_b64 exec, exec, s[6:7]
	s_and_saveexec_b64 s[6:7], s[4:5]
	s_cbranch_execz .LBB39_1920
.LBB39_1919:
	v_bfe_u32 v9, v11, 24, 3
	v_ffbh_u32_e32 v14, v9
	v_min_u32_e32 v14, 32, v14
	v_lshrrev_b32_e32 v12, 27, v11
	v_subrev_u32_e32 v15, 28, v14
	v_and_b32_e32 v10, 0x80000000, v11
	v_and_b32_e32 v12, 15, v12
	v_bfe_u32 v13, v11, 27, 4
	v_lshlrev_b32_sdwa v11, v15, v11 dst_sel:DWORD dst_unused:UNUSED_PAD src0_sel:DWORD src1_sel:BYTE_3
	v_sub_u32_e32 v14, 29, v14
	v_and_b32_e32 v11, 7, v11
	v_cmp_eq_u16_e32 vcc, 0, v12
	v_cndmask_b32_e32 v9, v9, v11, vcc
	v_cndmask_b32_e32 v11, v13, v14, vcc
	v_mov_b32_e32 v12, 0x3b800000
	v_lshlrev_b32_e32 v9, 20, v9
	v_lshl_add_u32 v11, v11, 23, v12
	v_or3_b32 v9, v10, v11, v9
.LBB39_1920:
	s_or_b64 exec, exec, s[6:7]
	s_nop 0
	v_mfma_f32_16x16x4f32 a[0:3], v8, v9, a[0:3]
	s_movk_i32 s4, 0x7f
	v_cmp_gt_i16_sdwa s[6:7], v4, s4 src0_sel:BYTE_0 src1_sel:DWORD
	s_mov_b64 s[4:5], 0
                                        ; implicit-def: $sgpr10
	s_and_saveexec_b64 s[8:9], s[6:7]
	s_xor_b64 s[6:7], exec, s[8:9]
	s_cbranch_execnz .LBB39_3969
; %bb.1921:
	s_or_saveexec_b64 s[6:7], s[6:7]
	v_mov_b32_e32 v8, s10
	s_xor_b64 exec, exec, s[6:7]
	s_cbranch_execnz .LBB39_3972
.LBB39_1922:
	s_or_b64 exec, exec, s[6:7]
	s_and_saveexec_b64 s[6:7], s[4:5]
	s_cbranch_execz .LBB39_1924
.LBB39_1923:
	v_and_b32_e32 v8, 7, v4
	v_ffbh_u32_e32 v10, v8
	v_min_u32_e32 v10, 32, v10
	v_lshrrev_b16_e32 v9, 3, v4
	v_subrev_u32_e32 v11, 28, v10
	v_and_b32_e32 v9, 15, v9
	v_lshlrev_b32_e32 v11, v11, v4
	v_sub_u32_e32 v10, 29, v10
	v_and_b32_e32 v11, 7, v11
	v_cmp_eq_u16_e32 vcc, 0, v9
	v_cndmask_b32_e32 v8, v8, v11, vcc
	v_cndmask_b32_e32 v9, v9, v10, vcc
	v_lshlrev_b32_e32 v10, 24, v4
	v_mov_b32_e32 v11, 0x3b800000
	v_lshlrev_b32_e32 v8, 20, v8
	v_and_b32_e32 v10, 0x80000000, v10
	v_lshl_add_u32 v9, v9, 23, v11
	v_or3_b32 v8, v10, v9, v8
.LBB39_1924:
	s_or_b64 exec, exec, s[6:7]
	s_movk_i32 s4, 0x7f
	v_cmp_gt_i16_sdwa s[6:7], v0, s4 src0_sel:BYTE_0 src1_sel:DWORD
	s_mov_b64 s[4:5], 0
                                        ; implicit-def: $sgpr10
	s_and_saveexec_b64 s[8:9], s[6:7]
	s_xor_b64 s[6:7], exec, s[8:9]
	s_cbranch_execnz .LBB39_3973
; %bb.1925:
	s_or_saveexec_b64 s[6:7], s[6:7]
	v_mov_b32_e32 v9, s10
	s_xor_b64 exec, exec, s[6:7]
	s_cbranch_execnz .LBB39_3976
.LBB39_1926:
	s_or_b64 exec, exec, s[6:7]
	s_and_saveexec_b64 s[6:7], s[4:5]
	s_cbranch_execz .LBB39_1928
.LBB39_1927:
	v_and_b32_e32 v9, 7, v0
	v_ffbh_u32_e32 v11, v9
	v_min_u32_e32 v11, 32, v11
	v_lshrrev_b16_e32 v10, 3, v0
	v_subrev_u32_e32 v12, 28, v11
	v_and_b32_e32 v10, 15, v10
	v_lshlrev_b32_e32 v12, v12, v0
	v_sub_u32_e32 v11, 29, v11
	v_and_b32_e32 v12, 7, v12
	v_cmp_eq_u16_e32 vcc, 0, v10
	v_cndmask_b32_e32 v9, v9, v12, vcc
	v_cndmask_b32_e32 v10, v10, v11, vcc
	v_lshlrev_b32_e32 v11, 24, v0
	v_mov_b32_e32 v12, 0x3b800000
	v_lshlrev_b32_e32 v9, 20, v9
	v_and_b32_e32 v11, 0x80000000, v11
	v_lshl_add_u32 v10, v10, 23, v12
	v_or3_b32 v9, v11, v10, v9
.LBB39_1928:
	s_or_b64 exec, exec, s[6:7]
	s_nop 0
	v_mfma_f32_16x16x4f32 a[0:3], v8, v9, a[0:3]
	v_lshrrev_b32_e32 v9, 8, v4
	s_movk_i32 s4, 0x7f
	v_cmp_gt_i16_sdwa s[6:7], v9, s4 src0_sel:BYTE_0 src1_sel:DWORD
	s_mov_b64 s[4:5], 0
                                        ; implicit-def: $sgpr10
	s_and_saveexec_b64 s[8:9], s[6:7]
	s_xor_b64 s[6:7], exec, s[8:9]
	s_cbranch_execnz .LBB39_3977
; %bb.1929:
	s_or_saveexec_b64 s[6:7], s[6:7]
	v_mov_b32_e32 v8, s10
	s_xor_b64 exec, exec, s[6:7]
	s_cbranch_execnz .LBB39_3980
.LBB39_1930:
	s_or_b64 exec, exec, s[6:7]
	s_and_saveexec_b64 s[6:7], s[4:5]
	s_cbranch_execz .LBB39_1932
.LBB39_1931:
	v_bfe_u32 v8, v4, 8, 3
	v_ffbh_u32_e32 v11, v8
	v_min_u32_e32 v11, 32, v11
	v_lshrrev_b16_e32 v10, 3, v9
	v_subrev_u32_e32 v12, 28, v11
	v_and_b32_e32 v10, 15, v10
	v_lshlrev_b32_e32 v9, v12, v9
	v_sub_u32_e32 v11, 29, v11
	v_and_b32_e32 v9, 7, v9
	v_cmp_eq_u16_e32 vcc, 0, v10
	v_cndmask_b32_e32 v8, v8, v9, vcc
	v_cndmask_b32_e32 v9, v10, v11, vcc
	v_lshlrev_b32_e32 v10, 16, v4
	v_mov_b32_e32 v11, 0x3b800000
	v_lshlrev_b32_e32 v8, 20, v8
	v_and_b32_e32 v10, 0x80000000, v10
	v_lshl_add_u32 v9, v9, 23, v11
	v_or3_b32 v8, v10, v9, v8
.LBB39_1932:
	s_or_b64 exec, exec, s[6:7]
	v_lshrrev_b32_e32 v9, 8, v0
	s_movk_i32 s4, 0x7f
	v_cmp_gt_i16_sdwa s[6:7], v9, s4 src0_sel:BYTE_0 src1_sel:DWORD
	s_mov_b64 s[4:5], 0
                                        ; implicit-def: $sgpr10
	s_and_saveexec_b64 s[8:9], s[6:7]
	s_xor_b64 s[6:7], exec, s[8:9]
	s_cbranch_execnz .LBB39_3981
; %bb.1933:
	s_or_saveexec_b64 s[6:7], s[6:7]
	v_mov_b32_e32 v10, s10
	s_xor_b64 exec, exec, s[6:7]
	s_cbranch_execnz .LBB39_3984
.LBB39_1934:
	s_or_b64 exec, exec, s[6:7]
	s_and_saveexec_b64 s[6:7], s[4:5]
	s_cbranch_execz .LBB39_1936
.LBB39_1935:
	v_bfe_u32 v10, v0, 8, 3
	v_ffbh_u32_e32 v12, v10
	v_min_u32_e32 v12, 32, v12
	v_lshrrev_b16_e32 v11, 3, v9
	v_subrev_u32_e32 v13, 28, v12
	v_and_b32_e32 v11, 15, v11
	v_lshlrev_b32_e32 v9, v13, v9
	v_sub_u32_e32 v12, 29, v12
	v_and_b32_e32 v9, 7, v9
	v_cmp_eq_u16_e32 vcc, 0, v11
	v_cndmask_b32_e32 v9, v10, v9, vcc
	v_cndmask_b32_e32 v10, v11, v12, vcc
	v_lshlrev_b32_e32 v11, 16, v0
	v_mov_b32_e32 v12, 0x3b800000
	v_lshlrev_b32_e32 v9, 20, v9
	v_and_b32_e32 v11, 0x80000000, v11
	v_lshl_add_u32 v10, v10, 23, v12
	v_or3_b32 v10, v11, v10, v9
.LBB39_1936:
	s_or_b64 exec, exec, s[6:7]
	s_nop 0
	v_mfma_f32_16x16x4f32 a[0:3], v8, v10, a[0:3]
	s_movk_i32 s4, 0xff
	v_and_b32_sdwa v9, v4, s4 dst_sel:DWORD dst_unused:UNUSED_PAD src0_sel:WORD_1 src1_sel:DWORD
	s_movk_i32 s4, 0x7f
	v_cmp_lt_i16_e32 vcc, s4, v9
	s_mov_b64 s[4:5], 0
                                        ; implicit-def: $sgpr10
	s_and_saveexec_b64 s[6:7], vcc
	s_xor_b64 s[6:7], exec, s[6:7]
	s_cbranch_execnz .LBB39_3985
; %bb.1937:
	s_or_saveexec_b64 s[6:7], s[6:7]
	v_mov_b32_e32 v8, s10
	s_xor_b64 exec, exec, s[6:7]
	s_cbranch_execnz .LBB39_3988
.LBB39_1938:
	s_or_b64 exec, exec, s[6:7]
	s_and_saveexec_b64 s[6:7], s[4:5]
	s_cbranch_execz .LBB39_1940
.LBB39_1939:
	v_bfe_u32 v8, v4, 16, 3
	v_ffbh_u32_e32 v11, v8
	v_min_u32_e32 v11, 32, v11
	v_lshrrev_b32_e32 v9, 19, v4
	v_subrev_u32_e32 v12, 28, v11
	v_and_b32_e32 v9, 15, v9
	v_lshlrev_b32_sdwa v12, v12, v4 dst_sel:DWORD dst_unused:UNUSED_PAD src0_sel:DWORD src1_sel:WORD_1
	v_bfe_u32 v10, v4, 19, 4
	v_sub_u32_e32 v11, 29, v11
	v_and_b32_e32 v12, 7, v12
	v_cmp_eq_u16_e32 vcc, 0, v9
	v_cndmask_b32_e32 v8, v8, v12, vcc
	v_cndmask_b32_e32 v9, v10, v11, vcc
	v_lshlrev_b32_e32 v10, 8, v4
	v_mov_b32_e32 v11, 0x3b800000
	v_lshlrev_b32_e32 v8, 20, v8
	v_and_b32_e32 v10, 0x80000000, v10
	v_lshl_add_u32 v9, v9, 23, v11
	v_or3_b32 v8, v10, v9, v8
.LBB39_1940:
	s_or_b64 exec, exec, s[6:7]
	s_movk_i32 s4, 0xff
	v_and_b32_sdwa v9, v0, s4 dst_sel:DWORD dst_unused:UNUSED_PAD src0_sel:WORD_1 src1_sel:DWORD
	s_movk_i32 s4, 0x7f
	v_cmp_lt_i16_e32 vcc, s4, v9
	s_mov_b64 s[4:5], 0
                                        ; implicit-def: $sgpr10
	s_and_saveexec_b64 s[6:7], vcc
	s_xor_b64 s[6:7], exec, s[6:7]
	s_cbranch_execnz .LBB39_3989
; %bb.1941:
	s_or_saveexec_b64 s[6:7], s[6:7]
	v_mov_b32_e32 v10, s10
	s_xor_b64 exec, exec, s[6:7]
	s_cbranch_execnz .LBB39_3992
.LBB39_1942:
	s_or_b64 exec, exec, s[6:7]
	s_and_saveexec_b64 s[6:7], s[4:5]
	s_cbranch_execz .LBB39_1944
.LBB39_1943:
	v_bfe_u32 v9, v0, 16, 3
	v_ffbh_u32_e32 v12, v9
	v_min_u32_e32 v12, 32, v12
	v_lshrrev_b32_e32 v10, 19, v0
	v_subrev_u32_e32 v13, 28, v12
	v_and_b32_e32 v10, 15, v10
	v_lshlrev_b32_sdwa v13, v13, v0 dst_sel:DWORD dst_unused:UNUSED_PAD src0_sel:DWORD src1_sel:WORD_1
	v_bfe_u32 v11, v0, 19, 4
	v_sub_u32_e32 v12, 29, v12
	v_and_b32_e32 v13, 7, v13
	v_cmp_eq_u16_e32 vcc, 0, v10
	v_cndmask_b32_e32 v9, v9, v13, vcc
	v_cndmask_b32_e32 v10, v11, v12, vcc
	v_lshlrev_b32_e32 v11, 8, v0
	v_mov_b32_e32 v12, 0x3b800000
	v_lshlrev_b32_e32 v9, 20, v9
	v_and_b32_e32 v11, 0x80000000, v11
	v_lshl_add_u32 v10, v10, 23, v12
	v_or3_b32 v10, v11, v10, v9
.LBB39_1944:
	s_or_b64 exec, exec, s[6:7]
	s_nop 0
	v_mfma_f32_16x16x4f32 a[0:3], v8, v10, a[0:3]
	s_movk_i32 s4, 0x7f
	v_cmp_gt_i16_sdwa s[6:7], v4, s4 src0_sel:BYTE_3 src1_sel:DWORD
	s_mov_b64 s[4:5], 0
                                        ; implicit-def: $sgpr10
	s_and_saveexec_b64 s[8:9], s[6:7]
	s_xor_b64 s[6:7], exec, s[8:9]
	s_cbranch_execnz .LBB39_3993
; %bb.1945:
	s_or_saveexec_b64 s[6:7], s[6:7]
	v_mov_b32_e32 v8, s10
	s_xor_b64 exec, exec, s[6:7]
	s_cbranch_execnz .LBB39_3996
.LBB39_1946:
	s_or_b64 exec, exec, s[6:7]
	s_and_saveexec_b64 s[6:7], s[4:5]
	s_cbranch_execz .LBB39_1948
.LBB39_1947:
	v_bfe_u32 v8, v4, 24, 3
	v_ffbh_u32_e32 v12, v8
	v_min_u32_e32 v12, 32, v12
	v_lshrrev_b32_e32 v10, 27, v4
	v_subrev_u32_e32 v13, 28, v12
	v_and_b32_e32 v9, 0x80000000, v4
	v_and_b32_e32 v10, 15, v10
	v_bfe_u32 v11, v4, 27, 4
	v_lshlrev_b32_sdwa v4, v13, v4 dst_sel:DWORD dst_unused:UNUSED_PAD src0_sel:DWORD src1_sel:BYTE_3
	v_sub_u32_e32 v12, 29, v12
	v_and_b32_e32 v4, 7, v4
	v_cmp_eq_u16_e32 vcc, 0, v10
	v_cndmask_b32_e32 v4, v8, v4, vcc
	v_cndmask_b32_e32 v8, v11, v12, vcc
	v_mov_b32_e32 v10, 0x3b800000
	v_lshlrev_b32_e32 v4, 20, v4
	v_lshl_add_u32 v8, v8, 23, v10
	v_or3_b32 v8, v9, v8, v4
.LBB39_1948:
	s_or_b64 exec, exec, s[6:7]
	s_movk_i32 s4, 0x7f
	v_cmp_gt_i16_sdwa s[6:7], v0, s4 src0_sel:BYTE_3 src1_sel:DWORD
	s_mov_b64 s[4:5], 0
                                        ; implicit-def: $sgpr10
	s_and_saveexec_b64 s[8:9], s[6:7]
	s_xor_b64 s[6:7], exec, s[8:9]
	s_cbranch_execnz .LBB39_3997
; %bb.1949:
	s_or_saveexec_b64 s[6:7], s[6:7]
	v_mov_b32_e32 v4, s10
	s_xor_b64 exec, exec, s[6:7]
	s_cbranch_execnz .LBB39_4000
.LBB39_1950:
	s_or_b64 exec, exec, s[6:7]
	s_and_saveexec_b64 s[6:7], s[4:5]
	s_cbranch_execz .LBB39_1952
.LBB39_1951:
	v_bfe_u32 v4, v0, 24, 3
	v_ffbh_u32_e32 v12, v4
	v_min_u32_e32 v12, 32, v12
	v_lshrrev_b32_e32 v10, 27, v0
	v_subrev_u32_e32 v13, 28, v12
	v_and_b32_e32 v9, 0x80000000, v0
	v_and_b32_e32 v10, 15, v10
	v_bfe_u32 v11, v0, 27, 4
	v_lshlrev_b32_sdwa v0, v13, v0 dst_sel:DWORD dst_unused:UNUSED_PAD src0_sel:DWORD src1_sel:BYTE_3
	v_sub_u32_e32 v12, 29, v12
	v_and_b32_e32 v0, 7, v0
	v_cmp_eq_u16_e32 vcc, 0, v10
	v_cndmask_b32_e32 v0, v4, v0, vcc
	v_cndmask_b32_e32 v4, v11, v12, vcc
	v_mov_b32_e32 v10, 0x3b800000
	v_lshlrev_b32_e32 v0, 20, v0
	v_lshl_add_u32 v4, v4, 23, v10
	v_or3_b32 v4, v9, v4, v0
.LBB39_1952:
	s_or_b64 exec, exec, s[6:7]
	s_nop 0
	v_mfma_f32_16x16x4f32 a[0:3], v8, v4, a[0:3]
	s_movk_i32 s4, 0x7f
	v_cmp_gt_i16_sdwa s[6:7], v5, s4 src0_sel:BYTE_0 src1_sel:DWORD
	s_mov_b64 s[4:5], 0
                                        ; implicit-def: $sgpr10
	s_and_saveexec_b64 s[8:9], s[6:7]
	s_xor_b64 s[6:7], exec, s[8:9]
	s_cbranch_execnz .LBB39_4001
; %bb.1953:
	s_or_saveexec_b64 s[6:7], s[6:7]
	v_mov_b32_e32 v0, s10
	s_xor_b64 exec, exec, s[6:7]
	s_cbranch_execnz .LBB39_4004
.LBB39_1954:
	s_or_b64 exec, exec, s[6:7]
	s_and_saveexec_b64 s[6:7], s[4:5]
	s_cbranch_execz .LBB39_1956
.LBB39_1955:
	v_and_b32_e32 v0, 7, v5
	v_ffbh_u32_e32 v8, v0
	v_min_u32_e32 v8, 32, v8
	v_lshrrev_b16_e32 v4, 3, v5
	v_subrev_u32_e32 v9, 28, v8
	v_and_b32_e32 v4, 15, v4
	v_lshlrev_b32_e32 v9, v9, v5
	v_sub_u32_e32 v8, 29, v8
	v_and_b32_e32 v9, 7, v9
	v_cmp_eq_u16_e32 vcc, 0, v4
	v_cndmask_b32_e32 v0, v0, v9, vcc
	v_cndmask_b32_e32 v4, v4, v8, vcc
	v_lshlrev_b32_e32 v8, 24, v5
	v_mov_b32_e32 v9, 0x3b800000
	v_lshlrev_b32_e32 v0, 20, v0
	v_and_b32_e32 v8, 0x80000000, v8
	v_lshl_add_u32 v4, v4, 23, v9
	v_or3_b32 v0, v8, v4, v0
.LBB39_1956:
	s_or_b64 exec, exec, s[6:7]
	s_movk_i32 s4, 0x7f
	v_cmp_gt_i16_sdwa s[6:7], v1, s4 src0_sel:BYTE_0 src1_sel:DWORD
	s_mov_b64 s[4:5], 0
                                        ; implicit-def: $sgpr10
	s_and_saveexec_b64 s[8:9], s[6:7]
	s_xor_b64 s[6:7], exec, s[8:9]
	s_cbranch_execnz .LBB39_4005
; %bb.1957:
	s_or_saveexec_b64 s[6:7], s[6:7]
	v_mov_b32_e32 v4, s10
	s_xor_b64 exec, exec, s[6:7]
	s_cbranch_execnz .LBB39_4008
.LBB39_1958:
	s_or_b64 exec, exec, s[6:7]
	s_and_saveexec_b64 s[6:7], s[4:5]
	s_cbranch_execz .LBB39_1960
.LBB39_1959:
	v_and_b32_e32 v4, 7, v1
	v_ffbh_u32_e32 v9, v4
	v_min_u32_e32 v9, 32, v9
	v_lshrrev_b16_e32 v8, 3, v1
	v_subrev_u32_e32 v10, 28, v9
	v_and_b32_e32 v8, 15, v8
	v_lshlrev_b32_e32 v10, v10, v1
	v_sub_u32_e32 v9, 29, v9
	v_and_b32_e32 v10, 7, v10
	v_cmp_eq_u16_e32 vcc, 0, v8
	v_cndmask_b32_e32 v4, v4, v10, vcc
	v_cndmask_b32_e32 v8, v8, v9, vcc
	v_lshlrev_b32_e32 v9, 24, v1
	v_mov_b32_e32 v10, 0x3b800000
	v_lshlrev_b32_e32 v4, 20, v4
	v_and_b32_e32 v9, 0x80000000, v9
	v_lshl_add_u32 v8, v8, 23, v10
	v_or3_b32 v4, v9, v8, v4
.LBB39_1960:
	s_or_b64 exec, exec, s[6:7]
	s_nop 0
	v_mfma_f32_16x16x4f32 a[0:3], v0, v4, a[0:3]
	v_lshrrev_b32_e32 v4, 8, v5
	s_movk_i32 s4, 0x7f
	v_cmp_gt_i16_sdwa s[6:7], v4, s4 src0_sel:BYTE_0 src1_sel:DWORD
	s_mov_b64 s[4:5], 0
                                        ; implicit-def: $sgpr10
	s_and_saveexec_b64 s[8:9], s[6:7]
	s_xor_b64 s[6:7], exec, s[8:9]
	s_cbranch_execnz .LBB39_4009
; %bb.1961:
	s_or_saveexec_b64 s[6:7], s[6:7]
	v_mov_b32_e32 v0, s10
	s_xor_b64 exec, exec, s[6:7]
	s_cbranch_execnz .LBB39_4012
.LBB39_1962:
	s_or_b64 exec, exec, s[6:7]
	s_and_saveexec_b64 s[6:7], s[4:5]
	s_cbranch_execz .LBB39_1964
.LBB39_1963:
	v_bfe_u32 v0, v5, 8, 3
	v_ffbh_u32_e32 v9, v0
	v_min_u32_e32 v9, 32, v9
	v_lshrrev_b16_e32 v8, 3, v4
	v_subrev_u32_e32 v10, 28, v9
	v_and_b32_e32 v8, 15, v8
	v_lshlrev_b32_e32 v4, v10, v4
	v_sub_u32_e32 v9, 29, v9
	v_and_b32_e32 v4, 7, v4
	v_cmp_eq_u16_e32 vcc, 0, v8
	v_cndmask_b32_e32 v0, v0, v4, vcc
	v_cndmask_b32_e32 v4, v8, v9, vcc
	v_lshlrev_b32_e32 v8, 16, v5
	v_mov_b32_e32 v9, 0x3b800000
	v_lshlrev_b32_e32 v0, 20, v0
	v_and_b32_e32 v8, 0x80000000, v8
	v_lshl_add_u32 v4, v4, 23, v9
	v_or3_b32 v0, v8, v4, v0
.LBB39_1964:
	s_or_b64 exec, exec, s[6:7]
	v_lshrrev_b32_e32 v4, 8, v1
	s_movk_i32 s4, 0x7f
	v_cmp_gt_i16_sdwa s[6:7], v4, s4 src0_sel:BYTE_0 src1_sel:DWORD
	s_mov_b64 s[4:5], 0
                                        ; implicit-def: $sgpr10
	s_and_saveexec_b64 s[8:9], s[6:7]
	s_xor_b64 s[6:7], exec, s[8:9]
	s_cbranch_execnz .LBB39_4013
; %bb.1965:
	s_or_saveexec_b64 s[6:7], s[6:7]
	v_mov_b32_e32 v8, s10
	s_xor_b64 exec, exec, s[6:7]
	s_cbranch_execnz .LBB39_4016
.LBB39_1966:
	s_or_b64 exec, exec, s[6:7]
	s_and_saveexec_b64 s[6:7], s[4:5]
	s_cbranch_execz .LBB39_1968
.LBB39_1967:
	v_bfe_u32 v8, v1, 8, 3
	v_ffbh_u32_e32 v10, v8
	v_min_u32_e32 v10, 32, v10
	v_lshrrev_b16_e32 v9, 3, v4
	v_subrev_u32_e32 v11, 28, v10
	v_and_b32_e32 v9, 15, v9
	v_lshlrev_b32_e32 v4, v11, v4
	v_sub_u32_e32 v10, 29, v10
	v_and_b32_e32 v4, 7, v4
	v_cmp_eq_u16_e32 vcc, 0, v9
	v_cndmask_b32_e32 v4, v8, v4, vcc
	v_cndmask_b32_e32 v8, v9, v10, vcc
	v_lshlrev_b32_e32 v9, 16, v1
	v_mov_b32_e32 v10, 0x3b800000
	v_lshlrev_b32_e32 v4, 20, v4
	v_and_b32_e32 v9, 0x80000000, v9
	v_lshl_add_u32 v8, v8, 23, v10
	v_or3_b32 v8, v9, v8, v4
.LBB39_1968:
	s_or_b64 exec, exec, s[6:7]
	s_nop 0
	v_mfma_f32_16x16x4f32 a[0:3], v0, v8, a[0:3]
	s_movk_i32 s4, 0xff
	v_and_b32_sdwa v4, v5, s4 dst_sel:DWORD dst_unused:UNUSED_PAD src0_sel:WORD_1 src1_sel:DWORD
	s_movk_i32 s4, 0x7f
	v_cmp_lt_i16_e32 vcc, s4, v4
	s_mov_b64 s[4:5], 0
                                        ; implicit-def: $sgpr10
	s_and_saveexec_b64 s[6:7], vcc
	s_xor_b64 s[6:7], exec, s[6:7]
	s_cbranch_execnz .LBB39_4017
; %bb.1969:
	s_or_saveexec_b64 s[6:7], s[6:7]
	v_mov_b32_e32 v0, s10
	s_xor_b64 exec, exec, s[6:7]
	s_cbranch_execnz .LBB39_4020
.LBB39_1970:
	s_or_b64 exec, exec, s[6:7]
	s_and_saveexec_b64 s[6:7], s[4:5]
	s_cbranch_execz .LBB39_1972
.LBB39_1971:
	v_bfe_u32 v0, v5, 16, 3
	v_ffbh_u32_e32 v9, v0
	v_min_u32_e32 v9, 32, v9
	v_lshrrev_b32_e32 v4, 19, v5
	v_subrev_u32_e32 v10, 28, v9
	v_and_b32_e32 v4, 15, v4
	v_lshlrev_b32_sdwa v10, v10, v5 dst_sel:DWORD dst_unused:UNUSED_PAD src0_sel:DWORD src1_sel:WORD_1
	v_bfe_u32 v8, v5, 19, 4
	v_sub_u32_e32 v9, 29, v9
	v_and_b32_e32 v10, 7, v10
	v_cmp_eq_u16_e32 vcc, 0, v4
	v_cndmask_b32_e32 v0, v0, v10, vcc
	v_cndmask_b32_e32 v4, v8, v9, vcc
	v_lshlrev_b32_e32 v8, 8, v5
	v_mov_b32_e32 v9, 0x3b800000
	v_lshlrev_b32_e32 v0, 20, v0
	v_and_b32_e32 v8, 0x80000000, v8
	v_lshl_add_u32 v4, v4, 23, v9
	v_or3_b32 v0, v8, v4, v0
.LBB39_1972:
	s_or_b64 exec, exec, s[6:7]
	s_movk_i32 s4, 0xff
	v_and_b32_sdwa v4, v1, s4 dst_sel:DWORD dst_unused:UNUSED_PAD src0_sel:WORD_1 src1_sel:DWORD
	s_movk_i32 s4, 0x7f
	v_cmp_lt_i16_e32 vcc, s4, v4
	s_mov_b64 s[4:5], 0
                                        ; implicit-def: $sgpr10
	s_and_saveexec_b64 s[6:7], vcc
	s_xor_b64 s[6:7], exec, s[6:7]
	s_cbranch_execnz .LBB39_4021
; %bb.1973:
	s_or_saveexec_b64 s[6:7], s[6:7]
	v_mov_b32_e32 v8, s10
	s_xor_b64 exec, exec, s[6:7]
	s_cbranch_execnz .LBB39_4024
.LBB39_1974:
	s_or_b64 exec, exec, s[6:7]
	s_and_saveexec_b64 s[6:7], s[4:5]
	s_cbranch_execz .LBB39_1976
.LBB39_1975:
	v_bfe_u32 v4, v1, 16, 3
	v_ffbh_u32_e32 v10, v4
	v_min_u32_e32 v10, 32, v10
	v_lshrrev_b32_e32 v8, 19, v1
	v_subrev_u32_e32 v11, 28, v10
	v_and_b32_e32 v8, 15, v8
	v_lshlrev_b32_sdwa v11, v11, v1 dst_sel:DWORD dst_unused:UNUSED_PAD src0_sel:DWORD src1_sel:WORD_1
	v_bfe_u32 v9, v1, 19, 4
	v_sub_u32_e32 v10, 29, v10
	v_and_b32_e32 v11, 7, v11
	v_cmp_eq_u16_e32 vcc, 0, v8
	v_cndmask_b32_e32 v4, v4, v11, vcc
	v_cndmask_b32_e32 v8, v9, v10, vcc
	v_lshlrev_b32_e32 v9, 8, v1
	v_mov_b32_e32 v10, 0x3b800000
	v_lshlrev_b32_e32 v4, 20, v4
	v_and_b32_e32 v9, 0x80000000, v9
	v_lshl_add_u32 v8, v8, 23, v10
	v_or3_b32 v8, v9, v8, v4
.LBB39_1976:
	s_or_b64 exec, exec, s[6:7]
	s_nop 0
	v_mfma_f32_16x16x4f32 a[0:3], v0, v8, a[0:3]
	s_movk_i32 s4, 0x7f
	v_cmp_gt_i16_sdwa s[6:7], v5, s4 src0_sel:BYTE_3 src1_sel:DWORD
	s_mov_b64 s[4:5], 0
                                        ; implicit-def: $sgpr10
	s_and_saveexec_b64 s[8:9], s[6:7]
	s_xor_b64 s[6:7], exec, s[8:9]
	s_cbranch_execnz .LBB39_4025
; %bb.1977:
	s_or_saveexec_b64 s[6:7], s[6:7]
	v_mov_b32_e32 v0, s10
	s_xor_b64 exec, exec, s[6:7]
	s_cbranch_execnz .LBB39_4028
.LBB39_1978:
	s_or_b64 exec, exec, s[6:7]
	s_and_saveexec_b64 s[6:7], s[4:5]
	s_cbranch_execz .LBB39_1980
.LBB39_1979:
	v_bfe_u32 v0, v5, 24, 3
	v_ffbh_u32_e32 v10, v0
	v_min_u32_e32 v10, 32, v10
	v_lshrrev_b32_e32 v8, 27, v5
	v_subrev_u32_e32 v11, 28, v10
	v_and_b32_e32 v4, 0x80000000, v5
	v_and_b32_e32 v8, 15, v8
	v_bfe_u32 v9, v5, 27, 4
	v_lshlrev_b32_sdwa v5, v11, v5 dst_sel:DWORD dst_unused:UNUSED_PAD src0_sel:DWORD src1_sel:BYTE_3
	v_sub_u32_e32 v10, 29, v10
	v_and_b32_e32 v5, 7, v5
	v_cmp_eq_u16_e32 vcc, 0, v8
	v_cndmask_b32_e32 v0, v0, v5, vcc
	v_cndmask_b32_e32 v5, v9, v10, vcc
	v_mov_b32_e32 v8, 0x3b800000
	v_lshlrev_b32_e32 v0, 20, v0
	v_lshl_add_u32 v5, v5, 23, v8
	v_or3_b32 v0, v4, v5, v0
.LBB39_1980:
	s_or_b64 exec, exec, s[6:7]
	s_movk_i32 s4, 0x7f
	v_cmp_gt_i16_sdwa s[6:7], v1, s4 src0_sel:BYTE_3 src1_sel:DWORD
	s_mov_b64 s[4:5], 0
                                        ; implicit-def: $sgpr10
	s_and_saveexec_b64 s[8:9], s[6:7]
	s_xor_b64 s[6:7], exec, s[8:9]
	s_cbranch_execnz .LBB39_4029
; %bb.1981:
	s_or_saveexec_b64 s[6:7], s[6:7]
	v_mov_b32_e32 v4, s10
	s_xor_b64 exec, exec, s[6:7]
	s_cbranch_execnz .LBB39_4032
.LBB39_1982:
	s_or_b64 exec, exec, s[6:7]
	s_and_saveexec_b64 s[6:7], s[4:5]
	s_cbranch_execz .LBB39_1984
.LBB39_1983:
	v_bfe_u32 v4, v1, 24, 3
	v_ffbh_u32_e32 v10, v4
	v_min_u32_e32 v10, 32, v10
	v_lshrrev_b32_e32 v8, 27, v1
	v_subrev_u32_e32 v11, 28, v10
	v_and_b32_e32 v5, 0x80000000, v1
	v_and_b32_e32 v8, 15, v8
	v_bfe_u32 v9, v1, 27, 4
	v_lshlrev_b32_sdwa v1, v11, v1 dst_sel:DWORD dst_unused:UNUSED_PAD src0_sel:DWORD src1_sel:BYTE_3
	v_sub_u32_e32 v10, 29, v10
	v_and_b32_e32 v1, 7, v1
	v_cmp_eq_u16_e32 vcc, 0, v8
	v_cndmask_b32_e32 v1, v4, v1, vcc
	v_cndmask_b32_e32 v4, v9, v10, vcc
	v_mov_b32_e32 v8, 0x3b800000
	v_lshlrev_b32_e32 v1, 20, v1
	v_lshl_add_u32 v4, v4, 23, v8
	v_or3_b32 v4, v5, v4, v1
.LBB39_1984:
	s_or_b64 exec, exec, s[6:7]
	s_nop 0
	v_mfma_f32_16x16x4f32 a[0:3], v0, v4, a[0:3]
	s_movk_i32 s4, 0x7f
	v_cmp_gt_i16_sdwa s[6:7], v6, s4 src0_sel:BYTE_0 src1_sel:DWORD
	s_mov_b64 s[4:5], 0
                                        ; implicit-def: $sgpr10
	s_and_saveexec_b64 s[8:9], s[6:7]
	s_xor_b64 s[6:7], exec, s[8:9]
	s_cbranch_execnz .LBB39_4033
; %bb.1985:
	s_or_saveexec_b64 s[6:7], s[6:7]
	v_mov_b32_e32 v0, s10
	s_xor_b64 exec, exec, s[6:7]
	s_cbranch_execnz .LBB39_4036
.LBB39_1986:
	s_or_b64 exec, exec, s[6:7]
	s_and_saveexec_b64 s[6:7], s[4:5]
	s_cbranch_execz .LBB39_1988
.LBB39_1987:
	v_and_b32_e32 v0, 7, v6
	v_ffbh_u32_e32 v4, v0
	v_min_u32_e32 v4, 32, v4
	v_lshrrev_b16_e32 v1, 3, v6
	v_subrev_u32_e32 v5, 28, v4
	v_and_b32_e32 v1, 15, v1
	v_lshlrev_b32_e32 v5, v5, v6
	v_sub_u32_e32 v4, 29, v4
	v_and_b32_e32 v5, 7, v5
	v_cmp_eq_u16_e32 vcc, 0, v1
	v_cndmask_b32_e32 v0, v0, v5, vcc
	v_cndmask_b32_e32 v1, v1, v4, vcc
	v_lshlrev_b32_e32 v4, 24, v6
	v_mov_b32_e32 v5, 0x3b800000
	v_lshlrev_b32_e32 v0, 20, v0
	v_and_b32_e32 v4, 0x80000000, v4
	v_lshl_add_u32 v1, v1, 23, v5
	v_or3_b32 v0, v4, v1, v0
.LBB39_1988:
	s_or_b64 exec, exec, s[6:7]
	s_movk_i32 s4, 0x7f
	v_cmp_gt_i16_sdwa s[6:7], v2, s4 src0_sel:BYTE_0 src1_sel:DWORD
	s_mov_b64 s[4:5], 0
                                        ; implicit-def: $sgpr10
	s_and_saveexec_b64 s[8:9], s[6:7]
	s_xor_b64 s[6:7], exec, s[8:9]
	s_cbranch_execnz .LBB39_4037
; %bb.1989:
	s_or_saveexec_b64 s[6:7], s[6:7]
	v_mov_b32_e32 v1, s10
	s_xor_b64 exec, exec, s[6:7]
	s_cbranch_execnz .LBB39_4040
.LBB39_1990:
	s_or_b64 exec, exec, s[6:7]
	s_and_saveexec_b64 s[6:7], s[4:5]
	s_cbranch_execz .LBB39_1992
.LBB39_1991:
	v_and_b32_e32 v1, 7, v2
	v_ffbh_u32_e32 v5, v1
	v_min_u32_e32 v5, 32, v5
	v_lshrrev_b16_e32 v4, 3, v2
	v_subrev_u32_e32 v8, 28, v5
	v_and_b32_e32 v4, 15, v4
	v_lshlrev_b32_e32 v8, v8, v2
	v_sub_u32_e32 v5, 29, v5
	v_and_b32_e32 v8, 7, v8
	v_cmp_eq_u16_e32 vcc, 0, v4
	v_cndmask_b32_e32 v1, v1, v8, vcc
	v_cndmask_b32_e32 v4, v4, v5, vcc
	v_lshlrev_b32_e32 v5, 24, v2
	v_mov_b32_e32 v8, 0x3b800000
	v_lshlrev_b32_e32 v1, 20, v1
	v_and_b32_e32 v5, 0x80000000, v5
	v_lshl_add_u32 v4, v4, 23, v8
	v_or3_b32 v1, v5, v4, v1
.LBB39_1992:
	s_or_b64 exec, exec, s[6:7]
	s_nop 0
	v_mfma_f32_16x16x4f32 a[0:3], v0, v1, a[0:3]
	v_lshrrev_b32_e32 v1, 8, v6
	s_movk_i32 s4, 0x7f
	v_cmp_gt_i16_sdwa s[6:7], v1, s4 src0_sel:BYTE_0 src1_sel:DWORD
	s_mov_b64 s[4:5], 0
                                        ; implicit-def: $sgpr10
	s_and_saveexec_b64 s[8:9], s[6:7]
	s_xor_b64 s[6:7], exec, s[8:9]
	s_cbranch_execnz .LBB39_4041
; %bb.1993:
	s_or_saveexec_b64 s[6:7], s[6:7]
	v_mov_b32_e32 v0, s10
	s_xor_b64 exec, exec, s[6:7]
	s_cbranch_execnz .LBB39_4044
.LBB39_1994:
	s_or_b64 exec, exec, s[6:7]
	s_and_saveexec_b64 s[6:7], s[4:5]
	s_cbranch_execz .LBB39_1996
.LBB39_1995:
	v_bfe_u32 v0, v6, 8, 3
	v_ffbh_u32_e32 v5, v0
	v_min_u32_e32 v5, 32, v5
	v_lshrrev_b16_e32 v4, 3, v1
	v_subrev_u32_e32 v8, 28, v5
	v_and_b32_e32 v4, 15, v4
	v_lshlrev_b32_e32 v1, v8, v1
	v_sub_u32_e32 v5, 29, v5
	v_and_b32_e32 v1, 7, v1
	v_cmp_eq_u16_e32 vcc, 0, v4
	v_cndmask_b32_e32 v0, v0, v1, vcc
	v_cndmask_b32_e32 v1, v4, v5, vcc
	v_lshlrev_b32_e32 v4, 16, v6
	v_mov_b32_e32 v5, 0x3b800000
	v_lshlrev_b32_e32 v0, 20, v0
	v_and_b32_e32 v4, 0x80000000, v4
	v_lshl_add_u32 v1, v1, 23, v5
	v_or3_b32 v0, v4, v1, v0
.LBB39_1996:
	s_or_b64 exec, exec, s[6:7]
	v_lshrrev_b32_e32 v1, 8, v2
	s_movk_i32 s4, 0x7f
	v_cmp_gt_i16_sdwa s[6:7], v1, s4 src0_sel:BYTE_0 src1_sel:DWORD
	s_mov_b64 s[4:5], 0
                                        ; implicit-def: $sgpr10
	s_and_saveexec_b64 s[8:9], s[6:7]
	s_xor_b64 s[6:7], exec, s[8:9]
	s_cbranch_execnz .LBB39_4045
; %bb.1997:
	s_or_saveexec_b64 s[6:7], s[6:7]
	v_mov_b32_e32 v4, s10
	s_xor_b64 exec, exec, s[6:7]
	s_cbranch_execnz .LBB39_4048
.LBB39_1998:
	s_or_b64 exec, exec, s[6:7]
	s_and_saveexec_b64 s[6:7], s[4:5]
	s_cbranch_execz .LBB39_2000
.LBB39_1999:
	v_bfe_u32 v4, v2, 8, 3
	v_ffbh_u32_e32 v8, v4
	v_min_u32_e32 v8, 32, v8
	v_lshrrev_b16_e32 v5, 3, v1
	v_subrev_u32_e32 v9, 28, v8
	v_and_b32_e32 v5, 15, v5
	v_lshlrev_b32_e32 v1, v9, v1
	v_sub_u32_e32 v8, 29, v8
	v_and_b32_e32 v1, 7, v1
	v_cmp_eq_u16_e32 vcc, 0, v5
	v_cndmask_b32_e32 v1, v4, v1, vcc
	v_cndmask_b32_e32 v4, v5, v8, vcc
	v_lshlrev_b32_e32 v5, 16, v2
	v_mov_b32_e32 v8, 0x3b800000
	v_lshlrev_b32_e32 v1, 20, v1
	v_and_b32_e32 v5, 0x80000000, v5
	v_lshl_add_u32 v4, v4, 23, v8
	v_or3_b32 v4, v5, v4, v1
.LBB39_2000:
	s_or_b64 exec, exec, s[6:7]
	s_nop 0
	v_mfma_f32_16x16x4f32 a[0:3], v0, v4, a[0:3]
	s_movk_i32 s4, 0xff
	v_and_b32_sdwa v1, v6, s4 dst_sel:DWORD dst_unused:UNUSED_PAD src0_sel:WORD_1 src1_sel:DWORD
	s_movk_i32 s4, 0x7f
	v_cmp_lt_i16_e32 vcc, s4, v1
	s_mov_b64 s[4:5], 0
                                        ; implicit-def: $sgpr10
	s_and_saveexec_b64 s[6:7], vcc
	s_xor_b64 s[6:7], exec, s[6:7]
	s_cbranch_execnz .LBB39_4049
; %bb.2001:
	s_or_saveexec_b64 s[6:7], s[6:7]
	v_mov_b32_e32 v0, s10
	s_xor_b64 exec, exec, s[6:7]
	s_cbranch_execnz .LBB39_4052
.LBB39_2002:
	s_or_b64 exec, exec, s[6:7]
	s_and_saveexec_b64 s[6:7], s[4:5]
	s_cbranch_execz .LBB39_2004
.LBB39_2003:
	v_bfe_u32 v0, v6, 16, 3
	v_ffbh_u32_e32 v5, v0
	v_min_u32_e32 v5, 32, v5
	v_lshrrev_b32_e32 v1, 19, v6
	v_subrev_u32_e32 v8, 28, v5
	v_and_b32_e32 v1, 15, v1
	v_lshlrev_b32_sdwa v8, v8, v6 dst_sel:DWORD dst_unused:UNUSED_PAD src0_sel:DWORD src1_sel:WORD_1
	v_bfe_u32 v4, v6, 19, 4
	v_sub_u32_e32 v5, 29, v5
	v_and_b32_e32 v8, 7, v8
	v_cmp_eq_u16_e32 vcc, 0, v1
	v_cndmask_b32_e32 v0, v0, v8, vcc
	v_cndmask_b32_e32 v1, v4, v5, vcc
	v_lshlrev_b32_e32 v4, 8, v6
	v_mov_b32_e32 v5, 0x3b800000
	v_lshlrev_b32_e32 v0, 20, v0
	v_and_b32_e32 v4, 0x80000000, v4
	v_lshl_add_u32 v1, v1, 23, v5
	v_or3_b32 v0, v4, v1, v0
.LBB39_2004:
	s_or_b64 exec, exec, s[6:7]
	s_movk_i32 s4, 0xff
	v_and_b32_sdwa v1, v2, s4 dst_sel:DWORD dst_unused:UNUSED_PAD src0_sel:WORD_1 src1_sel:DWORD
	s_movk_i32 s4, 0x7f
	v_cmp_lt_i16_e32 vcc, s4, v1
	s_mov_b64 s[4:5], 0
                                        ; implicit-def: $sgpr10
	s_and_saveexec_b64 s[6:7], vcc
	s_xor_b64 s[6:7], exec, s[6:7]
	s_cbranch_execnz .LBB39_4053
; %bb.2005:
	s_or_saveexec_b64 s[6:7], s[6:7]
	v_mov_b32_e32 v4, s10
	s_xor_b64 exec, exec, s[6:7]
	s_cbranch_execnz .LBB39_4056
.LBB39_2006:
	s_or_b64 exec, exec, s[6:7]
	s_and_saveexec_b64 s[6:7], s[4:5]
	s_cbranch_execz .LBB39_2008
.LBB39_2007:
	v_bfe_u32 v1, v2, 16, 3
	v_ffbh_u32_e32 v8, v1
	v_min_u32_e32 v8, 32, v8
	v_lshrrev_b32_e32 v4, 19, v2
	v_subrev_u32_e32 v9, 28, v8
	v_and_b32_e32 v4, 15, v4
	v_lshlrev_b32_sdwa v9, v9, v2 dst_sel:DWORD dst_unused:UNUSED_PAD src0_sel:DWORD src1_sel:WORD_1
	v_bfe_u32 v5, v2, 19, 4
	v_sub_u32_e32 v8, 29, v8
	v_and_b32_e32 v9, 7, v9
	v_cmp_eq_u16_e32 vcc, 0, v4
	v_cndmask_b32_e32 v1, v1, v9, vcc
	v_cndmask_b32_e32 v4, v5, v8, vcc
	v_lshlrev_b32_e32 v5, 8, v2
	v_mov_b32_e32 v8, 0x3b800000
	v_lshlrev_b32_e32 v1, 20, v1
	v_and_b32_e32 v5, 0x80000000, v5
	v_lshl_add_u32 v4, v4, 23, v8
	v_or3_b32 v4, v5, v4, v1
.LBB39_2008:
	s_or_b64 exec, exec, s[6:7]
	s_nop 0
	v_mfma_f32_16x16x4f32 a[0:3], v0, v4, a[0:3]
	s_movk_i32 s4, 0x7f
	v_cmp_gt_i16_sdwa s[6:7], v6, s4 src0_sel:BYTE_3 src1_sel:DWORD
	s_mov_b64 s[4:5], 0
                                        ; implicit-def: $sgpr10
	s_and_saveexec_b64 s[8:9], s[6:7]
	s_xor_b64 s[6:7], exec, s[8:9]
	s_cbranch_execnz .LBB39_4057
; %bb.2009:
	s_or_saveexec_b64 s[6:7], s[6:7]
	v_mov_b32_e32 v0, s10
	s_xor_b64 exec, exec, s[6:7]
	s_cbranch_execnz .LBB39_4060
.LBB39_2010:
	s_or_b64 exec, exec, s[6:7]
	s_and_saveexec_b64 s[6:7], s[4:5]
	s_cbranch_execz .LBB39_2012
.LBB39_2011:
	v_bfe_u32 v0, v6, 24, 3
	v_ffbh_u32_e32 v8, v0
	v_min_u32_e32 v8, 32, v8
	v_lshrrev_b32_e32 v4, 27, v6
	v_subrev_u32_e32 v9, 28, v8
	v_and_b32_e32 v1, 0x80000000, v6
	v_and_b32_e32 v4, 15, v4
	v_bfe_u32 v5, v6, 27, 4
	v_lshlrev_b32_sdwa v6, v9, v6 dst_sel:DWORD dst_unused:UNUSED_PAD src0_sel:DWORD src1_sel:BYTE_3
	v_sub_u32_e32 v8, 29, v8
	v_and_b32_e32 v6, 7, v6
	v_cmp_eq_u16_e32 vcc, 0, v4
	v_cndmask_b32_e32 v0, v0, v6, vcc
	v_cndmask_b32_e32 v4, v5, v8, vcc
	v_mov_b32_e32 v5, 0x3b800000
	v_lshlrev_b32_e32 v0, 20, v0
	v_lshl_add_u32 v4, v4, 23, v5
	v_or3_b32 v0, v1, v4, v0
.LBB39_2012:
	s_or_b64 exec, exec, s[6:7]
	s_movk_i32 s4, 0x7f
	v_cmp_gt_i16_sdwa s[6:7], v2, s4 src0_sel:BYTE_3 src1_sel:DWORD
	s_mov_b64 s[4:5], 0
                                        ; implicit-def: $sgpr10
	s_and_saveexec_b64 s[8:9], s[6:7]
	s_xor_b64 s[6:7], exec, s[8:9]
	s_cbranch_execnz .LBB39_4061
; %bb.2013:
	s_or_saveexec_b64 s[6:7], s[6:7]
	v_mov_b32_e32 v1, s10
	s_xor_b64 exec, exec, s[6:7]
	s_cbranch_execnz .LBB39_4064
.LBB39_2014:
	s_or_b64 exec, exec, s[6:7]
	s_and_saveexec_b64 s[6:7], s[4:5]
	s_cbranch_execz .LBB39_2016
.LBB39_2015:
	v_bfe_u32 v1, v2, 24, 3
	v_ffbh_u32_e32 v8, v1
	v_min_u32_e32 v8, 32, v8
	v_lshrrev_b32_e32 v5, 27, v2
	v_subrev_u32_e32 v9, 28, v8
	v_and_b32_e32 v4, 0x80000000, v2
	v_and_b32_e32 v5, 15, v5
	v_bfe_u32 v6, v2, 27, 4
	v_lshlrev_b32_sdwa v2, v9, v2 dst_sel:DWORD dst_unused:UNUSED_PAD src0_sel:DWORD src1_sel:BYTE_3
	v_sub_u32_e32 v8, 29, v8
	v_and_b32_e32 v2, 7, v2
	v_cmp_eq_u16_e32 vcc, 0, v5
	v_cndmask_b32_e32 v1, v1, v2, vcc
	v_cndmask_b32_e32 v2, v6, v8, vcc
	v_mov_b32_e32 v5, 0x3b800000
	v_lshlrev_b32_e32 v1, 20, v1
	v_lshl_add_u32 v2, v2, 23, v5
	v_or3_b32 v1, v4, v2, v1
.LBB39_2016:
	s_or_b64 exec, exec, s[6:7]
	s_nop 0
	v_mfma_f32_16x16x4f32 a[0:3], v0, v1, a[0:3]
	s_movk_i32 s4, 0x7f
	v_cmp_gt_i16_sdwa s[6:7], v7, s4 src0_sel:BYTE_0 src1_sel:DWORD
	s_mov_b64 s[4:5], 0
                                        ; implicit-def: $sgpr10
	s_and_saveexec_b64 s[8:9], s[6:7]
	s_xor_b64 s[6:7], exec, s[8:9]
	s_cbranch_execnz .LBB39_4065
; %bb.2017:
	s_or_saveexec_b64 s[6:7], s[6:7]
	v_mov_b32_e32 v0, s10
	s_xor_b64 exec, exec, s[6:7]
	s_cbranch_execnz .LBB39_4068
.LBB39_2018:
	s_or_b64 exec, exec, s[6:7]
	s_and_saveexec_b64 s[6:7], s[4:5]
	s_cbranch_execz .LBB39_2020
.LBB39_2019:
	v_mov_b32_e32 v0, 8
	v_and_b32_e32 v1, 7, v7
	v_lshrrev_b32_sdwa v0, v0, v7 dst_sel:BYTE_1 dst_unused:UNUSED_PAD src0_sel:DWORD src1_sel:DWORD
	v_ffbh_u32_e32 v2, v1
	v_or_b32_sdwa v0, v7, v0 dst_sel:DWORD dst_unused:UNUSED_PAD src0_sel:BYTE_0 src1_sel:DWORD
	v_min_u32_e32 v2, 32, v2
	v_lshrrev_b16_e32 v0, 3, v0
	v_subrev_u32_e32 v4, 28, v2
	v_and_b32_e32 v0, 15, v0
	v_lshlrev_b32_e32 v4, v4, v7
	v_sub_u32_e32 v2, 29, v2
	v_and_b32_e32 v4, 7, v4
	v_cmp_eq_u16_e32 vcc, 0, v0
	v_cndmask_b32_e32 v1, v1, v4, vcc
	v_cndmask_b32_e32 v0, v0, v2, vcc
	v_lshlrev_b32_e32 v2, 24, v7
	v_mov_b32_e32 v4, 0x3b800000
	v_lshlrev_b32_e32 v1, 20, v1
	v_and_b32_e32 v2, 0x80000000, v2
	v_lshl_add_u32 v0, v0, 23, v4
	v_or3_b32 v0, v2, v0, v1
.LBB39_2020:
	s_or_b64 exec, exec, s[6:7]
	s_movk_i32 s4, 0x7f
	v_cmp_gt_i16_sdwa s[6:7], v3, s4 src0_sel:BYTE_0 src1_sel:DWORD
	s_mov_b64 s[4:5], 0
                                        ; implicit-def: $sgpr10
	s_and_saveexec_b64 s[8:9], s[6:7]
	s_xor_b64 s[6:7], exec, s[8:9]
	s_cbranch_execnz .LBB39_4069
; %bb.2021:
	s_or_saveexec_b64 s[6:7], s[6:7]
	v_mov_b32_e32 v1, s10
	s_xor_b64 exec, exec, s[6:7]
	s_cbranch_execnz .LBB39_4072
.LBB39_2022:
	s_or_b64 exec, exec, s[6:7]
	s_and_saveexec_b64 s[6:7], s[4:5]
	s_cbranch_execz .LBB39_2024
.LBB39_2023:
	v_mov_b32_e32 v1, 8
	v_and_b32_e32 v2, 7, v3
	v_lshrrev_b32_sdwa v1, v1, v3 dst_sel:BYTE_1 dst_unused:UNUSED_PAD src0_sel:DWORD src1_sel:DWORD
	v_ffbh_u32_e32 v4, v2
	v_or_b32_sdwa v1, v3, v1 dst_sel:DWORD dst_unused:UNUSED_PAD src0_sel:BYTE_0 src1_sel:DWORD
	v_min_u32_e32 v4, 32, v4
	v_lshrrev_b16_e32 v1, 3, v1
	v_subrev_u32_e32 v5, 28, v4
	v_and_b32_e32 v1, 15, v1
	v_lshlrev_b32_e32 v5, v5, v3
	v_sub_u32_e32 v4, 29, v4
	v_and_b32_e32 v5, 7, v5
	v_cmp_eq_u16_e32 vcc, 0, v1
	v_cndmask_b32_e32 v2, v2, v5, vcc
	v_cndmask_b32_e32 v1, v1, v4, vcc
	v_lshlrev_b32_e32 v4, 24, v3
	v_mov_b32_e32 v5, 0x3b800000
	v_lshlrev_b32_e32 v2, 20, v2
	v_and_b32_e32 v4, 0x80000000, v4
	v_lshl_add_u32 v1, v1, 23, v5
	v_or3_b32 v1, v4, v1, v2
.LBB39_2024:
	s_or_b64 exec, exec, s[6:7]
	s_nop 0
	v_mfma_f32_16x16x4f32 a[0:3], v0, v1, a[0:3]
	v_lshrrev_b32_e32 v1, 8, v7
	s_movk_i32 s4, 0x7f
	v_cmp_gt_i16_sdwa s[6:7], v1, s4 src0_sel:BYTE_0 src1_sel:DWORD
	s_mov_b64 s[4:5], 0
                                        ; implicit-def: $sgpr10
	s_and_saveexec_b64 s[8:9], s[6:7]
	s_xor_b64 s[6:7], exec, s[8:9]
	s_cbranch_execnz .LBB39_4073
; %bb.2025:
	s_or_saveexec_b64 s[6:7], s[6:7]
	v_mov_b32_e32 v0, s10
	s_xor_b64 exec, exec, s[6:7]
	s_cbranch_execnz .LBB39_4076
.LBB39_2026:
	s_or_b64 exec, exec, s[6:7]
	s_and_saveexec_b64 s[6:7], s[4:5]
	s_cbranch_execz .LBB39_2028
.LBB39_2027:
	v_bfe_u32 v0, v7, 8, 3
	v_ffbh_u32_e32 v4, v0
	v_min_u32_e32 v4, 32, v4
	v_lshrrev_b16_e32 v2, 3, v1
	v_subrev_u32_e32 v5, 28, v4
	v_and_b32_e32 v2, 15, v2
	v_lshlrev_b32_e32 v1, v5, v1
	v_sub_u32_e32 v4, 29, v4
	v_and_b32_e32 v1, 7, v1
	v_cmp_eq_u16_e32 vcc, 0, v2
	v_cndmask_b32_e32 v0, v0, v1, vcc
	v_cndmask_b32_e32 v1, v2, v4, vcc
	v_lshlrev_b32_e32 v2, 16, v7
	v_mov_b32_e32 v4, 0x3b800000
	v_lshlrev_b32_e32 v0, 20, v0
	v_and_b32_e32 v2, 0x80000000, v2
	v_lshl_add_u32 v1, v1, 23, v4
	v_or3_b32 v0, v2, v1, v0
.LBB39_2028:
	s_or_b64 exec, exec, s[6:7]
	v_lshrrev_b32_e32 v1, 8, v3
	s_movk_i32 s4, 0x7f
	v_cmp_gt_i16_sdwa s[6:7], v1, s4 src0_sel:BYTE_0 src1_sel:DWORD
	s_mov_b64 s[4:5], 0
                                        ; implicit-def: $sgpr10
	s_and_saveexec_b64 s[8:9], s[6:7]
	s_xor_b64 s[6:7], exec, s[8:9]
	s_cbranch_execnz .LBB39_4077
; %bb.2029:
	s_or_saveexec_b64 s[6:7], s[6:7]
	v_mov_b32_e32 v2, s10
	s_xor_b64 exec, exec, s[6:7]
	s_cbranch_execnz .LBB39_4080
.LBB39_2030:
	s_or_b64 exec, exec, s[6:7]
	s_and_saveexec_b64 s[6:7], s[4:5]
	s_cbranch_execz .LBB39_2032
.LBB39_2031:
	v_bfe_u32 v2, v3, 8, 3
	v_ffbh_u32_e32 v5, v2
	v_min_u32_e32 v5, 32, v5
	v_lshrrev_b16_e32 v4, 3, v1
	v_subrev_u32_e32 v6, 28, v5
	v_and_b32_e32 v4, 15, v4
	v_lshlrev_b32_e32 v1, v6, v1
	v_sub_u32_e32 v5, 29, v5
	v_and_b32_e32 v1, 7, v1
	v_cmp_eq_u16_e32 vcc, 0, v4
	v_cndmask_b32_e32 v1, v2, v1, vcc
	v_cndmask_b32_e32 v2, v4, v5, vcc
	v_lshlrev_b32_e32 v4, 16, v3
	v_mov_b32_e32 v5, 0x3b800000
	v_lshlrev_b32_e32 v1, 20, v1
	v_and_b32_e32 v4, 0x80000000, v4
	v_lshl_add_u32 v2, v2, 23, v5
	v_or3_b32 v2, v4, v2, v1
.LBB39_2032:
	s_or_b64 exec, exec, s[6:7]
	s_nop 0
	v_mfma_f32_16x16x4f32 a[0:3], v0, v2, a[0:3]
	s_movk_i32 s4, 0xff
	v_and_b32_sdwa v1, v7, s4 dst_sel:DWORD dst_unused:UNUSED_PAD src0_sel:WORD_1 src1_sel:DWORD
	s_movk_i32 s4, 0x7f
	v_cmp_lt_i16_e32 vcc, s4, v1
	s_mov_b64 s[4:5], 0
                                        ; implicit-def: $sgpr10
	s_and_saveexec_b64 s[6:7], vcc
	s_xor_b64 s[6:7], exec, s[6:7]
	s_cbranch_execnz .LBB39_4081
; %bb.2033:
	s_or_saveexec_b64 s[6:7], s[6:7]
	v_mov_b32_e32 v0, s10
	s_xor_b64 exec, exec, s[6:7]
	s_cbranch_execnz .LBB39_4084
.LBB39_2034:
	s_or_b64 exec, exec, s[6:7]
	s_and_saveexec_b64 s[6:7], s[4:5]
	s_cbranch_execz .LBB39_2036
.LBB39_2035:
	v_bfe_u32 v0, v7, 16, 3
	v_ffbh_u32_e32 v4, v0
	v_min_u32_e32 v4, 32, v4
	v_lshrrev_b32_e32 v1, 19, v7
	v_subrev_u32_e32 v5, 28, v4
	v_and_b32_e32 v1, 15, v1
	v_lshlrev_b32_sdwa v5, v5, v7 dst_sel:DWORD dst_unused:UNUSED_PAD src0_sel:DWORD src1_sel:WORD_1
	v_bfe_u32 v2, v7, 19, 4
	v_sub_u32_e32 v4, 29, v4
	v_and_b32_e32 v5, 7, v5
	v_cmp_eq_u16_e32 vcc, 0, v1
	v_cndmask_b32_e32 v0, v0, v5, vcc
	v_cndmask_b32_e32 v1, v2, v4, vcc
	v_lshlrev_b32_e32 v2, 8, v7
	v_mov_b32_e32 v4, 0x3b800000
	v_lshlrev_b32_e32 v0, 20, v0
	v_and_b32_e32 v2, 0x80000000, v2
	v_lshl_add_u32 v1, v1, 23, v4
	v_or3_b32 v0, v2, v1, v0
.LBB39_2036:
	s_or_b64 exec, exec, s[6:7]
	s_movk_i32 s4, 0xff
	v_and_b32_sdwa v1, v3, s4 dst_sel:DWORD dst_unused:UNUSED_PAD src0_sel:WORD_1 src1_sel:DWORD
	s_movk_i32 s4, 0x7f
	v_cmp_lt_i16_e32 vcc, s4, v1
	s_mov_b64 s[4:5], 0
                                        ; implicit-def: $sgpr10
	s_and_saveexec_b64 s[6:7], vcc
	s_xor_b64 s[6:7], exec, s[6:7]
	s_cbranch_execnz .LBB39_4085
; %bb.2037:
	s_or_saveexec_b64 s[6:7], s[6:7]
	v_mov_b32_e32 v2, s10
	s_xor_b64 exec, exec, s[6:7]
	s_cbranch_execnz .LBB39_4088
.LBB39_2038:
	s_or_b64 exec, exec, s[6:7]
	s_and_saveexec_b64 s[6:7], s[4:5]
	s_cbranch_execz .LBB39_2040
.LBB39_2039:
	v_bfe_u32 v1, v3, 16, 3
	v_ffbh_u32_e32 v5, v1
	v_min_u32_e32 v5, 32, v5
	v_lshrrev_b32_e32 v2, 19, v3
	v_subrev_u32_e32 v6, 28, v5
	v_and_b32_e32 v2, 15, v2
	v_lshlrev_b32_sdwa v6, v6, v3 dst_sel:DWORD dst_unused:UNUSED_PAD src0_sel:DWORD src1_sel:WORD_1
	v_bfe_u32 v4, v3, 19, 4
	v_sub_u32_e32 v5, 29, v5
	v_and_b32_e32 v6, 7, v6
	v_cmp_eq_u16_e32 vcc, 0, v2
	v_cndmask_b32_e32 v1, v1, v6, vcc
	v_cndmask_b32_e32 v2, v4, v5, vcc
	v_lshlrev_b32_e32 v4, 8, v3
	v_mov_b32_e32 v5, 0x3b800000
	v_lshlrev_b32_e32 v1, 20, v1
	v_and_b32_e32 v4, 0x80000000, v4
	v_lshl_add_u32 v2, v2, 23, v5
	v_or3_b32 v2, v4, v2, v1
.LBB39_2040:
	s_or_b64 exec, exec, s[6:7]
	s_nop 0
	v_mfma_f32_16x16x4f32 a[0:3], v0, v2, a[0:3]
	s_movk_i32 s4, 0x7f
	v_cmp_gt_i16_sdwa s[6:7], v7, s4 src0_sel:BYTE_3 src1_sel:DWORD
	s_mov_b64 s[4:5], 0
                                        ; implicit-def: $sgpr10
	s_and_saveexec_b64 s[8:9], s[6:7]
	s_xor_b64 s[6:7], exec, s[8:9]
	s_cbranch_execnz .LBB39_4089
; %bb.2041:
	s_or_saveexec_b64 s[6:7], s[6:7]
	v_mov_b32_e32 v0, s10
	s_xor_b64 exec, exec, s[6:7]
	s_cbranch_execnz .LBB39_4092
.LBB39_2042:
	s_or_b64 exec, exec, s[6:7]
	s_and_saveexec_b64 s[6:7], s[4:5]
	s_cbranch_execz .LBB39_2044
.LBB39_2043:
	v_bfe_u32 v0, v7, 24, 3
	v_ffbh_u32_e32 v5, v0
	v_min_u32_e32 v5, 32, v5
	v_lshrrev_b32_e32 v2, 27, v7
	v_subrev_u32_e32 v6, 28, v5
	v_and_b32_e32 v2, 15, v2
	v_lshlrev_b32_sdwa v6, v6, v7 dst_sel:DWORD dst_unused:UNUSED_PAD src0_sel:DWORD src1_sel:BYTE_3
	v_bfe_u32 v4, v7, 27, 4
	v_sub_u32_e32 v5, 29, v5
	v_and_b32_e32 v6, 7, v6
	v_cmp_eq_u16_e32 vcc, 0, v2
	v_cndmask_b32_e32 v0, v0, v6, vcc
	v_cndmask_b32_e32 v2, v4, v5, vcc
	v_mov_b32_e32 v4, 0x3b800000
	v_and_b32_e32 v1, 0x80000000, v7
	v_lshlrev_b32_e32 v0, 20, v0
	v_lshl_add_u32 v2, v2, 23, v4
	v_or3_b32 v0, v1, v2, v0
.LBB39_2044:
	s_or_b64 exec, exec, s[6:7]
	s_movk_i32 s4, 0x7f
	v_cmp_gt_i16_sdwa s[6:7], v3, s4 src0_sel:BYTE_3 src1_sel:DWORD
	s_mov_b64 s[4:5], 0
                                        ; implicit-def: $sgpr10
	s_and_saveexec_b64 s[8:9], s[6:7]
	s_xor_b64 s[6:7], exec, s[8:9]
	s_cbranch_execnz .LBB39_4093
; %bb.2045:
	s_or_saveexec_b64 s[6:7], s[6:7]
	v_mov_b32_e32 v1, s10
	s_xor_b64 exec, exec, s[6:7]
	s_cbranch_execnz .LBB39_4096
.LBB39_2046:
	s_or_b64 exec, exec, s[6:7]
	s_and_saveexec_b64 s[6:7], s[4:5]
	s_cbranch_execz .LBB39_2048
.LBB39_2047:
	v_bfe_u32 v1, v3, 24, 3
	v_ffbh_u32_e32 v6, v1
	v_min_u32_e32 v6, 32, v6
	v_lshrrev_b32_e32 v4, 27, v3
	v_subrev_u32_e32 v7, 28, v6
	v_and_b32_e32 v2, 0x80000000, v3
	v_and_b32_e32 v4, 15, v4
	v_bfe_u32 v5, v3, 27, 4
	v_lshlrev_b32_sdwa v3, v7, v3 dst_sel:DWORD dst_unused:UNUSED_PAD src0_sel:DWORD src1_sel:BYTE_3
	v_sub_u32_e32 v6, 29, v6
	v_and_b32_e32 v3, 7, v3
	v_cmp_eq_u16_e32 vcc, 0, v4
	v_cndmask_b32_e32 v1, v1, v3, vcc
	v_cndmask_b32_e32 v3, v5, v6, vcc
	v_mov_b32_e32 v4, 0x3b800000
	v_lshlrev_b32_e32 v1, 20, v1
	v_lshl_add_u32 v3, v3, 23, v4
	v_or3_b32 v1, v2, v3, v1
.LBB39_2048:
	s_or_b64 exec, exec, s[6:7]
	s_nop 0
	v_mfma_f32_16x16x4f32 a[0:3], v0, v1, a[0:3]
	s_nop 7
	s_nop 2
	flat_store_dwordx4 v[16:17], a[0:3] offset:496
	s_waitcnt vmcnt(0) lgkmcnt(0)
	s_setpc_b64 s[30:31]
.LBB39_2049:
	s_movk_i32 s4, 0x80
	v_cmp_eq_u16_sdwa s[12:13], v14, s4 src0_sel:BYTE_0 src1_sel:DWORD
	s_mov_b64 s[4:5], -1
                                        ; implicit-def: $sgpr10
	s_and_saveexec_b64 s[8:9], s[12:13]
; %bb.2050:
	s_mov_b32 s10, 0x7f800001
	s_xor_b64 s[4:5], exec, -1
; %bb.2051:
	s_or_b64 exec, exec, s[8:9]
	s_and_b64 s[4:5], s[4:5], exec
	s_or_saveexec_b64 s[6:7], s[6:7]
	v_mov_b32_e32 v20, s10
	s_xor_b64 exec, exec, s[6:7]
	s_cbranch_execz .LBB39_2
.LBB39_2052:
	v_mov_b32_e32 v20, 0
	v_cmp_ne_u16_sdwa s[8:9], v14, v20 src0_sel:BYTE_0 src1_sel:DWORD
	s_andn2_b64 s[4:5], s[4:5], exec
	s_and_b64 s[8:9], s[8:9], exec
	s_or_b64 s[4:5], s[4:5], s[8:9]
	s_or_b64 exec, exec, s[6:7]
	s_and_saveexec_b64 s[6:7], s[4:5]
	s_cbranch_execnz .LBB39_3
	s_branch .LBB39_4
.LBB39_2053:
	s_movk_i32 s4, 0x80
	v_cmp_eq_u16_sdwa s[12:13], v10, s4 src0_sel:BYTE_0 src1_sel:DWORD
	s_mov_b64 s[4:5], -1
                                        ; implicit-def: $sgpr10
	s_and_saveexec_b64 s[8:9], s[12:13]
; %bb.2054:
	s_mov_b32 s10, 0x7f800001
	s_xor_b64 s[4:5], exec, -1
; %bb.2055:
	s_or_b64 exec, exec, s[8:9]
	s_and_b64 s[4:5], s[4:5], exec
	s_or_saveexec_b64 s[6:7], s[6:7]
	v_mov_b32_e32 v21, s10
	s_xor_b64 exec, exec, s[6:7]
	s_cbranch_execz .LBB39_6
.LBB39_2056:
	v_mov_b32_e32 v21, 0
	v_cmp_ne_u16_sdwa s[8:9], v10, v21 src0_sel:BYTE_0 src1_sel:DWORD
	s_andn2_b64 s[4:5], s[4:5], exec
	s_and_b64 s[8:9], s[8:9], exec
	s_or_b64 s[4:5], s[4:5], s[8:9]
	s_or_b64 exec, exec, s[6:7]
	s_and_saveexec_b64 s[6:7], s[4:5]
	s_cbranch_execnz .LBB39_7
	s_branch .LBB39_8
.LBB39_2057:
	s_movk_i32 s4, 0x80
	v_cmp_eq_u16_sdwa s[12:13], v21, s4 src0_sel:BYTE_0 src1_sel:DWORD
	s_mov_b64 s[4:5], -1
                                        ; implicit-def: $sgpr10
	s_and_saveexec_b64 s[8:9], s[12:13]
; %bb.2058:
	s_mov_b32 s10, 0x7f800001
	s_xor_b64 s[4:5], exec, -1
; %bb.2059:
	s_or_b64 exec, exec, s[8:9]
	s_and_b64 s[4:5], s[4:5], exec
	s_or_saveexec_b64 s[6:7], s[6:7]
	v_mov_b32_e32 v20, s10
	s_xor_b64 exec, exec, s[6:7]
	s_cbranch_execz .LBB39_10
.LBB39_2060:
	v_mov_b32_e32 v20, 0
	v_cmp_ne_u16_sdwa s[8:9], v21, v20 src0_sel:BYTE_0 src1_sel:DWORD
	s_andn2_b64 s[4:5], s[4:5], exec
	s_and_b64 s[8:9], s[8:9], exec
	s_or_b64 s[4:5], s[4:5], s[8:9]
	s_or_b64 exec, exec, s[6:7]
	s_and_saveexec_b64 s[6:7], s[4:5]
	s_cbranch_execnz .LBB39_11
	s_branch .LBB39_12
.LBB39_2061:
	s_movk_i32 s4, 0x80
	v_cmp_eq_u16_sdwa s[12:13], v21, s4 src0_sel:BYTE_0 src1_sel:DWORD
	s_mov_b64 s[4:5], -1
                                        ; implicit-def: $sgpr10
	s_and_saveexec_b64 s[8:9], s[12:13]
; %bb.2062:
	s_mov_b32 s10, 0x7f800001
	s_xor_b64 s[4:5], exec, -1
; %bb.2063:
	s_or_b64 exec, exec, s[8:9]
	s_and_b64 s[4:5], s[4:5], exec
	s_or_saveexec_b64 s[6:7], s[6:7]
	v_mov_b32_e32 v22, s10
	s_xor_b64 exec, exec, s[6:7]
	s_cbranch_execz .LBB39_14
.LBB39_2064:
	v_mov_b32_e32 v22, 0
	v_cmp_ne_u16_sdwa s[8:9], v21, v22 src0_sel:BYTE_0 src1_sel:DWORD
	s_andn2_b64 s[4:5], s[4:5], exec
	s_and_b64 s[8:9], s[8:9], exec
	s_or_b64 s[4:5], s[4:5], s[8:9]
	s_or_b64 exec, exec, s[6:7]
	s_and_saveexec_b64 s[6:7], s[4:5]
	s_cbranch_execnz .LBB39_15
	s_branch .LBB39_16
.LBB39_2065:
	s_movk_i32 s4, 0x80
	v_cmp_eq_u16_e32 vcc, s4, v21
	s_mov_b64 s[4:5], -1
                                        ; implicit-def: $sgpr10
	s_and_saveexec_b64 s[8:9], vcc
; %bb.2066:
	s_mov_b32 s10, 0x7f800001
	s_xor_b64 s[4:5], exec, -1
; %bb.2067:
	s_or_b64 exec, exec, s[8:9]
	s_and_b64 s[4:5], s[4:5], exec
                                        ; implicit-def: $vgpr21
	s_or_saveexec_b64 s[6:7], s[6:7]
	v_mov_b32_e32 v20, s10
	s_xor_b64 exec, exec, s[6:7]
	s_cbranch_execz .LBB39_18
.LBB39_2068:
	v_cmp_ne_u16_e32 vcc, 0, v21
	s_andn2_b64 s[4:5], s[4:5], exec
	s_and_b64 s[8:9], vcc, exec
	v_mov_b32_e32 v20, 0
	s_or_b64 s[4:5], s[4:5], s[8:9]
	s_or_b64 exec, exec, s[6:7]
	s_and_saveexec_b64 s[6:7], s[4:5]
	s_cbranch_execnz .LBB39_19
	s_branch .LBB39_20
.LBB39_2069:
	s_movk_i32 s4, 0x80
	v_cmp_eq_u16_e32 vcc, s4, v21
	s_mov_b64 s[4:5], -1
                                        ; implicit-def: $sgpr10
	s_and_saveexec_b64 s[8:9], vcc
; %bb.2070:
	s_mov_b32 s10, 0x7f800001
	s_xor_b64 s[4:5], exec, -1
; %bb.2071:
	s_or_b64 exec, exec, s[8:9]
	s_and_b64 s[4:5], s[4:5], exec
                                        ; implicit-def: $vgpr21
	s_or_saveexec_b64 s[6:7], s[6:7]
	v_mov_b32_e32 v22, s10
	s_xor_b64 exec, exec, s[6:7]
	s_cbranch_execz .LBB39_22
.LBB39_2072:
	v_cmp_ne_u16_e32 vcc, 0, v21
	s_andn2_b64 s[4:5], s[4:5], exec
	s_and_b64 s[8:9], vcc, exec
	v_mov_b32_e32 v22, 0
	s_or_b64 s[4:5], s[4:5], s[8:9]
	s_or_b64 exec, exec, s[6:7]
	s_and_saveexec_b64 s[6:7], s[4:5]
	s_cbranch_execnz .LBB39_23
	s_branch .LBB39_24
.LBB39_2073:
	s_movk_i32 s4, 0x80
	v_cmp_eq_u16_sdwa s[12:13], v14, s4 src0_sel:BYTE_3 src1_sel:DWORD
	s_mov_b64 s[4:5], -1
                                        ; implicit-def: $sgpr10
	s_and_saveexec_b64 s[8:9], s[12:13]
; %bb.2074:
	s_mov_b32 s10, 0x7f800001
	s_xor_b64 s[4:5], exec, -1
; %bb.2075:
	s_or_b64 exec, exec, s[8:9]
	s_and_b64 s[4:5], s[4:5], exec
	s_or_saveexec_b64 s[6:7], s[6:7]
	v_mov_b32_e32 v20, s10
	s_xor_b64 exec, exec, s[6:7]
	s_cbranch_execz .LBB39_26
.LBB39_2076:
	v_mov_b32_e32 v20, 0
	v_cmp_ne_u16_sdwa s[8:9], v14, v20 src0_sel:BYTE_3 src1_sel:DWORD
	s_andn2_b64 s[4:5], s[4:5], exec
	s_and_b64 s[8:9], s[8:9], exec
	s_or_b64 s[4:5], s[4:5], s[8:9]
	s_or_b64 exec, exec, s[6:7]
	s_and_saveexec_b64 s[6:7], s[4:5]
	s_cbranch_execnz .LBB39_27
	s_branch .LBB39_28
.LBB39_2077:
	s_movk_i32 s4, 0x80
	v_cmp_eq_u16_sdwa s[12:13], v10, s4 src0_sel:BYTE_3 src1_sel:DWORD
	s_mov_b64 s[4:5], -1
                                        ; implicit-def: $sgpr10
	s_and_saveexec_b64 s[8:9], s[12:13]
; %bb.2078:
	s_mov_b32 s10, 0x7f800001
	s_xor_b64 s[4:5], exec, -1
; %bb.2079:
	s_or_b64 exec, exec, s[8:9]
	s_and_b64 s[4:5], s[4:5], exec
	s_or_saveexec_b64 s[6:7], s[6:7]
	v_mov_b32_e32 v14, s10
	s_xor_b64 exec, exec, s[6:7]
	s_cbranch_execz .LBB39_30
.LBB39_2080:
	v_mov_b32_e32 v14, 0
	v_cmp_ne_u16_sdwa s[8:9], v10, v14 src0_sel:BYTE_3 src1_sel:DWORD
	s_andn2_b64 s[4:5], s[4:5], exec
	s_and_b64 s[8:9], s[8:9], exec
	s_or_b64 s[4:5], s[4:5], s[8:9]
	s_or_b64 exec, exec, s[6:7]
	s_and_saveexec_b64 s[6:7], s[4:5]
	s_cbranch_execnz .LBB39_31
	s_branch .LBB39_32
.LBB39_2081:
	s_movk_i32 s4, 0x80
	v_cmp_eq_u16_sdwa s[12:13], v15, s4 src0_sel:BYTE_0 src1_sel:DWORD
	s_mov_b64 s[4:5], -1
                                        ; implicit-def: $sgpr10
	s_and_saveexec_b64 s[8:9], s[12:13]
; %bb.2082:
	s_mov_b32 s10, 0x7f800001
	s_xor_b64 s[4:5], exec, -1
; %bb.2083:
	s_or_b64 exec, exec, s[8:9]
	s_and_b64 s[4:5], s[4:5], exec
	s_or_saveexec_b64 s[6:7], s[6:7]
	v_mov_b32_e32 v10, s10
	s_xor_b64 exec, exec, s[6:7]
	s_cbranch_execz .LBB39_34
.LBB39_2084:
	v_mov_b32_e32 v10, 0
	v_cmp_ne_u16_sdwa s[8:9], v15, v10 src0_sel:BYTE_0 src1_sel:DWORD
	s_andn2_b64 s[4:5], s[4:5], exec
	s_and_b64 s[8:9], s[8:9], exec
	s_or_b64 s[4:5], s[4:5], s[8:9]
	s_or_b64 exec, exec, s[6:7]
	s_and_saveexec_b64 s[6:7], s[4:5]
	s_cbranch_execnz .LBB39_35
	s_branch .LBB39_36
.LBB39_2085:
	s_movk_i32 s4, 0x80
	v_cmp_eq_u16_sdwa s[12:13], v11, s4 src0_sel:BYTE_0 src1_sel:DWORD
	s_mov_b64 s[4:5], -1
                                        ; implicit-def: $sgpr10
	s_and_saveexec_b64 s[8:9], s[12:13]
; %bb.2086:
	s_mov_b32 s10, 0x7f800001
	s_xor_b64 s[4:5], exec, -1
; %bb.2087:
	s_or_b64 exec, exec, s[8:9]
	s_and_b64 s[4:5], s[4:5], exec
	s_or_saveexec_b64 s[6:7], s[6:7]
	v_mov_b32_e32 v14, s10
	s_xor_b64 exec, exec, s[6:7]
	s_cbranch_execz .LBB39_38
.LBB39_2088:
	v_mov_b32_e32 v14, 0
	v_cmp_ne_u16_sdwa s[8:9], v11, v14 src0_sel:BYTE_0 src1_sel:DWORD
	s_andn2_b64 s[4:5], s[4:5], exec
	s_and_b64 s[8:9], s[8:9], exec
	s_or_b64 s[4:5], s[4:5], s[8:9]
	s_or_b64 exec, exec, s[6:7]
	s_and_saveexec_b64 s[6:7], s[4:5]
	s_cbranch_execnz .LBB39_39
	s_branch .LBB39_40
.LBB39_2089:
	s_movk_i32 s4, 0x80
	v_cmp_eq_u16_sdwa s[12:13], v14, s4 src0_sel:BYTE_0 src1_sel:DWORD
	s_mov_b64 s[4:5], -1
                                        ; implicit-def: $sgpr10
	s_and_saveexec_b64 s[8:9], s[12:13]
; %bb.2090:
	s_mov_b32 s10, 0x7f800001
	s_xor_b64 s[4:5], exec, -1
; %bb.2091:
	s_or_b64 exec, exec, s[8:9]
	s_and_b64 s[4:5], s[4:5], exec
	s_or_saveexec_b64 s[6:7], s[6:7]
	v_mov_b32_e32 v10, s10
	s_xor_b64 exec, exec, s[6:7]
	s_cbranch_execz .LBB39_42
.LBB39_2092:
	v_mov_b32_e32 v10, 0
	v_cmp_ne_u16_sdwa s[8:9], v14, v10 src0_sel:BYTE_0 src1_sel:DWORD
	s_andn2_b64 s[4:5], s[4:5], exec
	s_and_b64 s[8:9], s[8:9], exec
	s_or_b64 s[4:5], s[4:5], s[8:9]
	s_or_b64 exec, exec, s[6:7]
	s_and_saveexec_b64 s[6:7], s[4:5]
	s_cbranch_execnz .LBB39_43
	s_branch .LBB39_44
.LBB39_2093:
	s_movk_i32 s4, 0x80
	v_cmp_eq_u16_sdwa s[12:13], v14, s4 src0_sel:BYTE_0 src1_sel:DWORD
	s_mov_b64 s[4:5], -1
                                        ; implicit-def: $sgpr10
	s_and_saveexec_b64 s[8:9], s[12:13]
; %bb.2094:
	s_mov_b32 s10, 0x7f800001
	s_xor_b64 s[4:5], exec, -1
; %bb.2095:
	s_or_b64 exec, exec, s[8:9]
	s_and_b64 s[4:5], s[4:5], exec
	s_or_saveexec_b64 s[6:7], s[6:7]
	v_mov_b32_e32 v20, s10
	s_xor_b64 exec, exec, s[6:7]
	s_cbranch_execz .LBB39_46
.LBB39_2096:
	v_mov_b32_e32 v20, 0
	v_cmp_ne_u16_sdwa s[8:9], v14, v20 src0_sel:BYTE_0 src1_sel:DWORD
	s_andn2_b64 s[4:5], s[4:5], exec
	s_and_b64 s[8:9], s[8:9], exec
	s_or_b64 s[4:5], s[4:5], s[8:9]
	s_or_b64 exec, exec, s[6:7]
	s_and_saveexec_b64 s[6:7], s[4:5]
	s_cbranch_execnz .LBB39_47
	s_branch .LBB39_48
.LBB39_2097:
	s_movk_i32 s4, 0x80
	v_cmp_eq_u16_e32 vcc, s4, v14
	s_mov_b64 s[4:5], -1
                                        ; implicit-def: $sgpr10
	s_and_saveexec_b64 s[8:9], vcc
; %bb.2098:
	s_mov_b32 s10, 0x7f800001
	s_xor_b64 s[4:5], exec, -1
; %bb.2099:
	s_or_b64 exec, exec, s[8:9]
	s_and_b64 s[4:5], s[4:5], exec
                                        ; implicit-def: $vgpr14
	s_or_saveexec_b64 s[6:7], s[6:7]
	v_mov_b32_e32 v10, s10
	s_xor_b64 exec, exec, s[6:7]
	s_cbranch_execz .LBB39_50
.LBB39_2100:
	v_cmp_ne_u16_e32 vcc, 0, v14
	s_andn2_b64 s[4:5], s[4:5], exec
	s_and_b64 s[8:9], vcc, exec
	v_mov_b32_e32 v10, 0
	s_or_b64 s[4:5], s[4:5], s[8:9]
	s_or_b64 exec, exec, s[6:7]
	s_and_saveexec_b64 s[6:7], s[4:5]
	s_cbranch_execnz .LBB39_51
	s_branch .LBB39_52
.LBB39_2101:
	s_movk_i32 s4, 0x80
	v_cmp_eq_u16_e32 vcc, s4, v14
	s_mov_b64 s[4:5], -1
                                        ; implicit-def: $sgpr10
	s_and_saveexec_b64 s[8:9], vcc
; %bb.2102:
	s_mov_b32 s10, 0x7f800001
	s_xor_b64 s[4:5], exec, -1
; %bb.2103:
	s_or_b64 exec, exec, s[8:9]
	s_and_b64 s[4:5], s[4:5], exec
                                        ; implicit-def: $vgpr14
	s_or_saveexec_b64 s[6:7], s[6:7]
	v_mov_b32_e32 v20, s10
	s_xor_b64 exec, exec, s[6:7]
	s_cbranch_execz .LBB39_54
.LBB39_2104:
	v_cmp_ne_u16_e32 vcc, 0, v14
	s_andn2_b64 s[4:5], s[4:5], exec
	s_and_b64 s[8:9], vcc, exec
	v_mov_b32_e32 v20, 0
	s_or_b64 s[4:5], s[4:5], s[8:9]
	s_or_b64 exec, exec, s[6:7]
	s_and_saveexec_b64 s[6:7], s[4:5]
	s_cbranch_execnz .LBB39_55
	s_branch .LBB39_56
.LBB39_2105:
	s_movk_i32 s4, 0x80
	v_cmp_eq_u16_sdwa s[12:13], v15, s4 src0_sel:BYTE_3 src1_sel:DWORD
	s_mov_b64 s[4:5], -1
                                        ; implicit-def: $sgpr10
	s_and_saveexec_b64 s[8:9], s[12:13]
; %bb.2106:
	s_mov_b32 s10, 0x7f800001
	s_xor_b64 s[4:5], exec, -1
; %bb.2107:
	s_or_b64 exec, exec, s[8:9]
	s_and_b64 s[4:5], s[4:5], exec
	s_or_saveexec_b64 s[6:7], s[6:7]
	v_mov_b32_e32 v10, s10
	s_xor_b64 exec, exec, s[6:7]
	s_cbranch_execz .LBB39_58
.LBB39_2108:
	v_mov_b32_e32 v10, 0
	v_cmp_ne_u16_sdwa s[8:9], v15, v10 src0_sel:BYTE_3 src1_sel:DWORD
	s_andn2_b64 s[4:5], s[4:5], exec
	s_and_b64 s[8:9], s[8:9], exec
	s_or_b64 s[4:5], s[4:5], s[8:9]
	s_or_b64 exec, exec, s[6:7]
	s_and_saveexec_b64 s[6:7], s[4:5]
	s_cbranch_execnz .LBB39_59
	s_branch .LBB39_60
.LBB39_2109:
	s_movk_i32 s4, 0x80
	v_cmp_eq_u16_sdwa s[12:13], v11, s4 src0_sel:BYTE_3 src1_sel:DWORD
	s_mov_b64 s[4:5], -1
                                        ; implicit-def: $sgpr10
	s_and_saveexec_b64 s[8:9], s[12:13]
; %bb.2110:
	s_mov_b32 s10, 0x7f800001
	s_xor_b64 s[4:5], exec, -1
; %bb.2111:
	s_or_b64 exec, exec, s[8:9]
	s_and_b64 s[4:5], s[4:5], exec
	s_or_saveexec_b64 s[6:7], s[6:7]
	v_mov_b32_e32 v14, s10
	s_xor_b64 exec, exec, s[6:7]
	s_cbranch_execz .LBB39_62
.LBB39_2112:
	v_mov_b32_e32 v14, 0
	v_cmp_ne_u16_sdwa s[8:9], v11, v14 src0_sel:BYTE_3 src1_sel:DWORD
	s_andn2_b64 s[4:5], s[4:5], exec
	s_and_b64 s[8:9], s[8:9], exec
	s_or_b64 s[4:5], s[4:5], s[8:9]
	s_or_b64 exec, exec, s[6:7]
	s_and_saveexec_b64 s[6:7], s[4:5]
	s_cbranch_execnz .LBB39_63
	s_branch .LBB39_64
.LBB39_2113:
	s_movk_i32 s4, 0x80
	v_cmp_eq_u16_sdwa s[12:13], v16, s4 src0_sel:BYTE_0 src1_sel:DWORD
	s_mov_b64 s[4:5], -1
                                        ; implicit-def: $sgpr10
	s_and_saveexec_b64 s[8:9], s[12:13]
; %bb.2114:
	s_mov_b32 s10, 0x7f800001
	s_xor_b64 s[4:5], exec, -1
; %bb.2115:
	s_or_b64 exec, exec, s[8:9]
	s_and_b64 s[4:5], s[4:5], exec
	s_or_saveexec_b64 s[6:7], s[6:7]
	v_mov_b32_e32 v10, s10
	s_xor_b64 exec, exec, s[6:7]
	s_cbranch_execz .LBB39_66
.LBB39_2116:
	v_mov_b32_e32 v10, 0
	v_cmp_ne_u16_sdwa s[8:9], v16, v10 src0_sel:BYTE_0 src1_sel:DWORD
	s_andn2_b64 s[4:5], s[4:5], exec
	s_and_b64 s[8:9], s[8:9], exec
	s_or_b64 s[4:5], s[4:5], s[8:9]
	s_or_b64 exec, exec, s[6:7]
	s_and_saveexec_b64 s[6:7], s[4:5]
	s_cbranch_execnz .LBB39_67
	s_branch .LBB39_68
.LBB39_2117:
	s_movk_i32 s4, 0x80
	v_cmp_eq_u16_sdwa s[12:13], v12, s4 src0_sel:BYTE_0 src1_sel:DWORD
	s_mov_b64 s[4:5], -1
                                        ; implicit-def: $sgpr10
	s_and_saveexec_b64 s[8:9], s[12:13]
; %bb.2118:
	s_mov_b32 s10, 0x7f800001
	s_xor_b64 s[4:5], exec, -1
; %bb.2119:
	s_or_b64 exec, exec, s[8:9]
	s_and_b64 s[4:5], s[4:5], exec
	s_or_saveexec_b64 s[6:7], s[6:7]
	v_mov_b32_e32 v11, s10
	s_xor_b64 exec, exec, s[6:7]
	s_cbranch_execz .LBB39_70
.LBB39_2120:
	v_mov_b32_e32 v11, 0
	v_cmp_ne_u16_sdwa s[8:9], v12, v11 src0_sel:BYTE_0 src1_sel:DWORD
	s_andn2_b64 s[4:5], s[4:5], exec
	s_and_b64 s[8:9], s[8:9], exec
	s_or_b64 s[4:5], s[4:5], s[8:9]
	s_or_b64 exec, exec, s[6:7]
	s_and_saveexec_b64 s[6:7], s[4:5]
	s_cbranch_execnz .LBB39_71
	s_branch .LBB39_72
.LBB39_2121:
	s_movk_i32 s4, 0x80
	v_cmp_eq_u16_sdwa s[12:13], v11, s4 src0_sel:BYTE_0 src1_sel:DWORD
	s_mov_b64 s[4:5], -1
                                        ; implicit-def: $sgpr10
	s_and_saveexec_b64 s[8:9], s[12:13]
; %bb.2122:
	s_mov_b32 s10, 0x7f800001
	s_xor_b64 s[4:5], exec, -1
; %bb.2123:
	s_or_b64 exec, exec, s[8:9]
	s_and_b64 s[4:5], s[4:5], exec
	s_or_saveexec_b64 s[6:7], s[6:7]
	v_mov_b32_e32 v10, s10
	s_xor_b64 exec, exec, s[6:7]
	s_cbranch_execz .LBB39_74
.LBB39_2124:
	v_mov_b32_e32 v10, 0
	v_cmp_ne_u16_sdwa s[8:9], v11, v10 src0_sel:BYTE_0 src1_sel:DWORD
	s_andn2_b64 s[4:5], s[4:5], exec
	s_and_b64 s[8:9], s[8:9], exec
	s_or_b64 s[4:5], s[4:5], s[8:9]
	s_or_b64 exec, exec, s[6:7]
	s_and_saveexec_b64 s[6:7], s[4:5]
	s_cbranch_execnz .LBB39_75
	s_branch .LBB39_76
.LBB39_2125:
	s_movk_i32 s4, 0x80
	v_cmp_eq_u16_sdwa s[12:13], v11, s4 src0_sel:BYTE_0 src1_sel:DWORD
	s_mov_b64 s[4:5], -1
                                        ; implicit-def: $sgpr10
	s_and_saveexec_b64 s[8:9], s[12:13]
; %bb.2126:
	s_mov_b32 s10, 0x7f800001
	s_xor_b64 s[4:5], exec, -1
; %bb.2127:
	s_or_b64 exec, exec, s[8:9]
	s_and_b64 s[4:5], s[4:5], exec
	s_or_saveexec_b64 s[6:7], s[6:7]
	v_mov_b32_e32 v14, s10
	s_xor_b64 exec, exec, s[6:7]
	s_cbranch_execz .LBB39_78
.LBB39_2128:
	v_mov_b32_e32 v14, 0
	v_cmp_ne_u16_sdwa s[8:9], v11, v14 src0_sel:BYTE_0 src1_sel:DWORD
	s_andn2_b64 s[4:5], s[4:5], exec
	s_and_b64 s[8:9], s[8:9], exec
	s_or_b64 s[4:5], s[4:5], s[8:9]
	s_or_b64 exec, exec, s[6:7]
	s_and_saveexec_b64 s[6:7], s[4:5]
	s_cbranch_execnz .LBB39_79
	s_branch .LBB39_80
.LBB39_2129:
	s_movk_i32 s4, 0x80
	v_cmp_eq_u16_e32 vcc, s4, v11
	s_mov_b64 s[4:5], -1
                                        ; implicit-def: $sgpr10
	s_and_saveexec_b64 s[8:9], vcc
; %bb.2130:
	s_mov_b32 s10, 0x7f800001
	s_xor_b64 s[4:5], exec, -1
; %bb.2131:
	s_or_b64 exec, exec, s[8:9]
	s_and_b64 s[4:5], s[4:5], exec
                                        ; implicit-def: $vgpr11
	s_or_saveexec_b64 s[6:7], s[6:7]
	v_mov_b32_e32 v10, s10
	s_xor_b64 exec, exec, s[6:7]
	s_cbranch_execz .LBB39_82
.LBB39_2132:
	v_cmp_ne_u16_e32 vcc, 0, v11
	s_andn2_b64 s[4:5], s[4:5], exec
	s_and_b64 s[8:9], vcc, exec
	v_mov_b32_e32 v10, 0
	s_or_b64 s[4:5], s[4:5], s[8:9]
	s_or_b64 exec, exec, s[6:7]
	s_and_saveexec_b64 s[6:7], s[4:5]
	s_cbranch_execnz .LBB39_83
	s_branch .LBB39_84
.LBB39_2133:
	s_movk_i32 s4, 0x80
	v_cmp_eq_u16_e32 vcc, s4, v11
	s_mov_b64 s[4:5], -1
                                        ; implicit-def: $sgpr10
	s_and_saveexec_b64 s[8:9], vcc
; %bb.2134:
	s_mov_b32 s10, 0x7f800001
	s_xor_b64 s[4:5], exec, -1
; %bb.2135:
	s_or_b64 exec, exec, s[8:9]
	s_and_b64 s[4:5], s[4:5], exec
                                        ; implicit-def: $vgpr11
	s_or_saveexec_b64 s[6:7], s[6:7]
	v_mov_b32_e32 v14, s10
	s_xor_b64 exec, exec, s[6:7]
	s_cbranch_execz .LBB39_86
.LBB39_2136:
	v_cmp_ne_u16_e32 vcc, 0, v11
	s_andn2_b64 s[4:5], s[4:5], exec
	s_and_b64 s[8:9], vcc, exec
	v_mov_b32_e32 v14, 0
	s_or_b64 s[4:5], s[4:5], s[8:9]
	s_or_b64 exec, exec, s[6:7]
	s_and_saveexec_b64 s[6:7], s[4:5]
	s_cbranch_execnz .LBB39_87
	s_branch .LBB39_88
.LBB39_2137:
	s_movk_i32 s4, 0x80
	v_cmp_eq_u16_sdwa s[12:13], v16, s4 src0_sel:BYTE_3 src1_sel:DWORD
	s_mov_b64 s[4:5], -1
                                        ; implicit-def: $sgpr10
	s_and_saveexec_b64 s[8:9], s[12:13]
; %bb.2138:
	s_mov_b32 s10, 0x7f800001
	s_xor_b64 s[4:5], exec, -1
; %bb.2139:
	s_or_b64 exec, exec, s[8:9]
	s_and_b64 s[4:5], s[4:5], exec
	s_or_saveexec_b64 s[6:7], s[6:7]
	v_mov_b32_e32 v10, s10
	s_xor_b64 exec, exec, s[6:7]
	s_cbranch_execz .LBB39_90
.LBB39_2140:
	v_mov_b32_e32 v10, 0
	v_cmp_ne_u16_sdwa s[8:9], v16, v10 src0_sel:BYTE_3 src1_sel:DWORD
	s_andn2_b64 s[4:5], s[4:5], exec
	s_and_b64 s[8:9], s[8:9], exec
	s_or_b64 s[4:5], s[4:5], s[8:9]
	s_or_b64 exec, exec, s[6:7]
	s_and_saveexec_b64 s[6:7], s[4:5]
	s_cbranch_execnz .LBB39_91
	s_branch .LBB39_92
.LBB39_2141:
	s_movk_i32 s4, 0x80
	v_cmp_eq_u16_sdwa s[12:13], v12, s4 src0_sel:BYTE_3 src1_sel:DWORD
	s_mov_b64 s[4:5], -1
                                        ; implicit-def: $sgpr10
	s_and_saveexec_b64 s[8:9], s[12:13]
; %bb.2142:
	s_mov_b32 s10, 0x7f800001
	s_xor_b64 s[4:5], exec, -1
; %bb.2143:
	s_or_b64 exec, exec, s[8:9]
	s_and_b64 s[4:5], s[4:5], exec
	s_or_saveexec_b64 s[6:7], s[6:7]
	v_mov_b32_e32 v11, s10
	s_xor_b64 exec, exec, s[6:7]
	s_cbranch_execz .LBB39_94
.LBB39_2144:
	v_mov_b32_e32 v11, 0
	v_cmp_ne_u16_sdwa s[8:9], v12, v11 src0_sel:BYTE_3 src1_sel:DWORD
	s_andn2_b64 s[4:5], s[4:5], exec
	s_and_b64 s[8:9], s[8:9], exec
	s_or_b64 s[4:5], s[4:5], s[8:9]
	s_or_b64 exec, exec, s[6:7]
	s_and_saveexec_b64 s[6:7], s[4:5]
	s_cbranch_execnz .LBB39_95
	s_branch .LBB39_96
.LBB39_2145:
	s_movk_i32 s4, 0x80
	v_cmp_eq_u16_sdwa s[12:13], v17, s4 src0_sel:BYTE_0 src1_sel:DWORD
	s_mov_b64 s[4:5], -1
                                        ; implicit-def: $sgpr10
	s_and_saveexec_b64 s[8:9], s[12:13]
; %bb.2146:
	s_mov_b32 s10, 0x7f800001
	s_xor_b64 s[4:5], exec, -1
; %bb.2147:
	s_or_b64 exec, exec, s[8:9]
	s_and_b64 s[4:5], s[4:5], exec
	s_or_saveexec_b64 s[6:7], s[6:7]
	v_mov_b32_e32 v10, s10
	s_xor_b64 exec, exec, s[6:7]
	s_cbranch_execz .LBB39_98
.LBB39_2148:
	v_mov_b32_e32 v10, 0
	v_cmp_ne_u16_sdwa s[8:9], v17, v10 src0_sel:BYTE_0 src1_sel:DWORD
	s_andn2_b64 s[4:5], s[4:5], exec
	s_and_b64 s[8:9], s[8:9], exec
	s_or_b64 s[4:5], s[4:5], s[8:9]
	s_or_b64 exec, exec, s[6:7]
	s_and_saveexec_b64 s[6:7], s[4:5]
	s_cbranch_execnz .LBB39_99
	s_branch .LBB39_100
.LBB39_2149:
	s_movk_i32 s4, 0x80
	v_cmp_eq_u16_sdwa s[12:13], v13, s4 src0_sel:BYTE_0 src1_sel:DWORD
	s_mov_b64 s[4:5], -1
                                        ; implicit-def: $sgpr10
	s_and_saveexec_b64 s[8:9], s[12:13]
; %bb.2150:
	s_mov_b32 s10, 0x7f800001
	s_xor_b64 s[4:5], exec, -1
; %bb.2151:
	s_or_b64 exec, exec, s[8:9]
	s_and_b64 s[4:5], s[4:5], exec
	s_or_saveexec_b64 s[6:7], s[6:7]
	v_mov_b32_e32 v11, s10
	s_xor_b64 exec, exec, s[6:7]
	s_cbranch_execz .LBB39_102
.LBB39_2152:
	v_mov_b32_e32 v11, 0
	v_cmp_ne_u16_sdwa s[8:9], v13, v11 src0_sel:BYTE_0 src1_sel:DWORD
	s_andn2_b64 s[4:5], s[4:5], exec
	s_and_b64 s[8:9], s[8:9], exec
	s_or_b64 s[4:5], s[4:5], s[8:9]
	s_or_b64 exec, exec, s[6:7]
	s_and_saveexec_b64 s[6:7], s[4:5]
	s_cbranch_execnz .LBB39_103
	s_branch .LBB39_104
.LBB39_2153:
	s_movk_i32 s4, 0x80
	v_cmp_eq_u16_sdwa s[12:13], v11, s4 src0_sel:BYTE_0 src1_sel:DWORD
	s_mov_b64 s[4:5], -1
                                        ; implicit-def: $sgpr10
	s_and_saveexec_b64 s[8:9], s[12:13]
; %bb.2154:
	s_mov_b32 s10, 0x7f800001
	s_xor_b64 s[4:5], exec, -1
; %bb.2155:
	s_or_b64 exec, exec, s[8:9]
	s_and_b64 s[4:5], s[4:5], exec
	s_or_saveexec_b64 s[6:7], s[6:7]
	v_mov_b32_e32 v10, s10
	s_xor_b64 exec, exec, s[6:7]
	s_cbranch_execz .LBB39_106
.LBB39_2156:
	v_mov_b32_e32 v10, 0
	v_cmp_ne_u16_sdwa s[8:9], v11, v10 src0_sel:BYTE_0 src1_sel:DWORD
	s_andn2_b64 s[4:5], s[4:5], exec
	s_and_b64 s[8:9], s[8:9], exec
	s_or_b64 s[4:5], s[4:5], s[8:9]
	s_or_b64 exec, exec, s[6:7]
	s_and_saveexec_b64 s[6:7], s[4:5]
	s_cbranch_execnz .LBB39_107
	s_branch .LBB39_108
.LBB39_2157:
	s_movk_i32 s4, 0x80
	v_cmp_eq_u16_sdwa s[12:13], v11, s4 src0_sel:BYTE_0 src1_sel:DWORD
	s_mov_b64 s[4:5], -1
                                        ; implicit-def: $sgpr10
	s_and_saveexec_b64 s[8:9], s[12:13]
; %bb.2158:
	s_mov_b32 s10, 0x7f800001
	s_xor_b64 s[4:5], exec, -1
; %bb.2159:
	s_or_b64 exec, exec, s[8:9]
	s_and_b64 s[4:5], s[4:5], exec
	s_or_saveexec_b64 s[6:7], s[6:7]
	v_mov_b32_e32 v12, s10
	s_xor_b64 exec, exec, s[6:7]
	s_cbranch_execz .LBB39_110
.LBB39_2160:
	v_mov_b32_e32 v12, 0
	v_cmp_ne_u16_sdwa s[8:9], v11, v12 src0_sel:BYTE_0 src1_sel:DWORD
	s_andn2_b64 s[4:5], s[4:5], exec
	s_and_b64 s[8:9], s[8:9], exec
	s_or_b64 s[4:5], s[4:5], s[8:9]
	s_or_b64 exec, exec, s[6:7]
	s_and_saveexec_b64 s[6:7], s[4:5]
	s_cbranch_execnz .LBB39_111
	s_branch .LBB39_112
.LBB39_2161:
	s_movk_i32 s4, 0x80
	v_cmp_eq_u16_e32 vcc, s4, v11
	s_mov_b64 s[4:5], -1
                                        ; implicit-def: $sgpr10
	s_and_saveexec_b64 s[8:9], vcc
; %bb.2162:
	s_mov_b32 s10, 0x7f800001
	s_xor_b64 s[4:5], exec, -1
; %bb.2163:
	s_or_b64 exec, exec, s[8:9]
	s_and_b64 s[4:5], s[4:5], exec
                                        ; implicit-def: $vgpr11
	s_or_saveexec_b64 s[6:7], s[6:7]
	v_mov_b32_e32 v10, s10
	s_xor_b64 exec, exec, s[6:7]
	s_cbranch_execz .LBB39_114
.LBB39_2164:
	v_cmp_ne_u16_e32 vcc, 0, v11
	s_andn2_b64 s[4:5], s[4:5], exec
	s_and_b64 s[8:9], vcc, exec
	v_mov_b32_e32 v10, 0
	s_or_b64 s[4:5], s[4:5], s[8:9]
	s_or_b64 exec, exec, s[6:7]
	s_and_saveexec_b64 s[6:7], s[4:5]
	s_cbranch_execnz .LBB39_115
	s_branch .LBB39_116
.LBB39_2165:
	s_movk_i32 s4, 0x80
	v_cmp_eq_u16_e32 vcc, s4, v11
	s_mov_b64 s[4:5], -1
                                        ; implicit-def: $sgpr10
	s_and_saveexec_b64 s[8:9], vcc
; %bb.2166:
	s_mov_b32 s10, 0x7f800001
	s_xor_b64 s[4:5], exec, -1
; %bb.2167:
	s_or_b64 exec, exec, s[8:9]
	s_and_b64 s[4:5], s[4:5], exec
                                        ; implicit-def: $vgpr11
	s_or_saveexec_b64 s[6:7], s[6:7]
	v_mov_b32_e32 v12, s10
	s_xor_b64 exec, exec, s[6:7]
	s_cbranch_execz .LBB39_118
.LBB39_2168:
	v_cmp_ne_u16_e32 vcc, 0, v11
	s_andn2_b64 s[4:5], s[4:5], exec
	s_and_b64 s[8:9], vcc, exec
	v_mov_b32_e32 v12, 0
	s_or_b64 s[4:5], s[4:5], s[8:9]
	s_or_b64 exec, exec, s[6:7]
	s_and_saveexec_b64 s[6:7], s[4:5]
	s_cbranch_execnz .LBB39_119
	s_branch .LBB39_120
.LBB39_2169:
	s_movk_i32 s4, 0x80
	v_cmp_eq_u16_sdwa s[12:13], v17, s4 src0_sel:BYTE_3 src1_sel:DWORD
	s_mov_b64 s[4:5], -1
                                        ; implicit-def: $sgpr10
	s_and_saveexec_b64 s[8:9], s[12:13]
; %bb.2170:
	s_mov_b32 s10, 0x7f800001
	s_xor_b64 s[4:5], exec, -1
; %bb.2171:
	s_or_b64 exec, exec, s[8:9]
	s_and_b64 s[4:5], s[4:5], exec
	s_or_saveexec_b64 s[6:7], s[6:7]
	v_mov_b32_e32 v10, s10
	s_xor_b64 exec, exec, s[6:7]
	s_cbranch_execz .LBB39_122
.LBB39_2172:
	v_mov_b32_e32 v10, 0
	v_cmp_ne_u16_sdwa s[8:9], v17, v10 src0_sel:BYTE_3 src1_sel:DWORD
	s_andn2_b64 s[4:5], s[4:5], exec
	s_and_b64 s[8:9], s[8:9], exec
	s_or_b64 s[4:5], s[4:5], s[8:9]
	s_or_b64 exec, exec, s[6:7]
	s_and_saveexec_b64 s[6:7], s[4:5]
	s_cbranch_execnz .LBB39_123
	s_branch .LBB39_124
.LBB39_2173:
	s_movk_i32 s4, 0x80
	v_cmp_eq_u16_sdwa s[12:13], v13, s4 src0_sel:BYTE_3 src1_sel:DWORD
	s_mov_b64 s[4:5], -1
                                        ; implicit-def: $sgpr10
	s_and_saveexec_b64 s[8:9], s[12:13]
; %bb.2174:
	s_mov_b32 s10, 0x7f800001
	s_xor_b64 s[4:5], exec, -1
; %bb.2175:
	s_or_b64 exec, exec, s[8:9]
	s_and_b64 s[4:5], s[4:5], exec
	s_or_saveexec_b64 s[6:7], s[6:7]
	v_mov_b32_e32 v11, s10
	s_xor_b64 exec, exec, s[6:7]
	s_cbranch_execz .LBB39_126
.LBB39_2176:
	v_mov_b32_e32 v11, 0
	v_cmp_ne_u16_sdwa s[8:9], v13, v11 src0_sel:BYTE_3 src1_sel:DWORD
	s_andn2_b64 s[4:5], s[4:5], exec
	s_and_b64 s[8:9], s[8:9], exec
	s_or_b64 s[4:5], s[4:5], s[8:9]
	s_or_b64 exec, exec, s[6:7]
	s_and_saveexec_b64 s[6:7], s[4:5]
	s_cbranch_execnz .LBB39_127
	s_branch .LBB39_128
.LBB39_2177:
	s_movk_i32 s4, 0x80
	v_cmp_eq_u16_sdwa s[12:13], v6, s4 src0_sel:BYTE_0 src1_sel:DWORD
	s_mov_b64 s[4:5], -1
                                        ; implicit-def: $sgpr10
	s_and_saveexec_b64 s[8:9], s[12:13]
; %bb.2178:
	s_mov_b32 s10, 0x7f800001
	s_xor_b64 s[4:5], exec, -1
; %bb.2179:
	s_or_b64 exec, exec, s[8:9]
	s_and_b64 s[4:5], s[4:5], exec
	s_or_saveexec_b64 s[6:7], s[6:7]
	v_mov_b32_e32 v10, s10
	s_xor_b64 exec, exec, s[6:7]
	s_cbranch_execz .LBB39_130
.LBB39_2180:
	v_mov_b32_e32 v10, 0
	v_cmp_ne_u16_sdwa s[8:9], v6, v10 src0_sel:BYTE_0 src1_sel:DWORD
	s_andn2_b64 s[4:5], s[4:5], exec
	s_and_b64 s[8:9], s[8:9], exec
	s_or_b64 s[4:5], s[4:5], s[8:9]
	s_or_b64 exec, exec, s[6:7]
	s_and_saveexec_b64 s[6:7], s[4:5]
	s_cbranch_execnz .LBB39_131
	s_branch .LBB39_132
.LBB39_2181:
	s_movk_i32 s4, 0x80
	v_cmp_eq_u16_sdwa s[12:13], v2, s4 src0_sel:BYTE_0 src1_sel:DWORD
	s_mov_b64 s[4:5], -1
                                        ; implicit-def: $sgpr10
	s_and_saveexec_b64 s[8:9], s[12:13]
; %bb.2182:
	s_mov_b32 s10, 0x7f800001
	s_xor_b64 s[4:5], exec, -1
; %bb.2183:
	s_or_b64 exec, exec, s[8:9]
	s_and_b64 s[4:5], s[4:5], exec
	s_or_saveexec_b64 s[6:7], s[6:7]
	v_mov_b32_e32 v11, s10
	s_xor_b64 exec, exec, s[6:7]
	s_cbranch_execz .LBB39_134
.LBB39_2184:
	v_mov_b32_e32 v11, 0
	v_cmp_ne_u16_sdwa s[8:9], v2, v11 src0_sel:BYTE_0 src1_sel:DWORD
	s_andn2_b64 s[4:5], s[4:5], exec
	s_and_b64 s[8:9], s[8:9], exec
	s_or_b64 s[4:5], s[4:5], s[8:9]
	s_or_b64 exec, exec, s[6:7]
	s_and_saveexec_b64 s[6:7], s[4:5]
	s_cbranch_execnz .LBB39_135
	s_branch .LBB39_136
.LBB39_2185:
	s_movk_i32 s4, 0x80
	v_cmp_eq_u16_sdwa s[12:13], v11, s4 src0_sel:BYTE_0 src1_sel:DWORD
	s_mov_b64 s[4:5], -1
                                        ; implicit-def: $sgpr10
	s_and_saveexec_b64 s[8:9], s[12:13]
; %bb.2186:
	s_mov_b32 s10, 0x7f800001
	s_xor_b64 s[4:5], exec, -1
; %bb.2187:
	s_or_b64 exec, exec, s[8:9]
	s_and_b64 s[4:5], s[4:5], exec
	s_or_saveexec_b64 s[6:7], s[6:7]
	v_mov_b32_e32 v10, s10
	s_xor_b64 exec, exec, s[6:7]
	s_cbranch_execz .LBB39_138
.LBB39_2188:
	v_mov_b32_e32 v10, 0
	v_cmp_ne_u16_sdwa s[8:9], v11, v10 src0_sel:BYTE_0 src1_sel:DWORD
	s_andn2_b64 s[4:5], s[4:5], exec
	s_and_b64 s[8:9], s[8:9], exec
	s_or_b64 s[4:5], s[4:5], s[8:9]
	s_or_b64 exec, exec, s[6:7]
	s_and_saveexec_b64 s[6:7], s[4:5]
	s_cbranch_execnz .LBB39_139
	s_branch .LBB39_140
.LBB39_2189:
	s_movk_i32 s4, 0x80
	v_cmp_eq_u16_sdwa s[12:13], v11, s4 src0_sel:BYTE_0 src1_sel:DWORD
	s_mov_b64 s[4:5], -1
                                        ; implicit-def: $sgpr10
	s_and_saveexec_b64 s[8:9], s[12:13]
; %bb.2190:
	s_mov_b32 s10, 0x7f800001
	s_xor_b64 s[4:5], exec, -1
; %bb.2191:
	s_or_b64 exec, exec, s[8:9]
	s_and_b64 s[4:5], s[4:5], exec
	s_or_saveexec_b64 s[6:7], s[6:7]
	v_mov_b32_e32 v12, s10
	s_xor_b64 exec, exec, s[6:7]
	s_cbranch_execz .LBB39_142
.LBB39_2192:
	v_mov_b32_e32 v12, 0
	v_cmp_ne_u16_sdwa s[8:9], v11, v12 src0_sel:BYTE_0 src1_sel:DWORD
	s_andn2_b64 s[4:5], s[4:5], exec
	s_and_b64 s[8:9], s[8:9], exec
	s_or_b64 s[4:5], s[4:5], s[8:9]
	s_or_b64 exec, exec, s[6:7]
	s_and_saveexec_b64 s[6:7], s[4:5]
	s_cbranch_execnz .LBB39_143
	s_branch .LBB39_144
.LBB39_2193:
	s_movk_i32 s4, 0x80
	v_cmp_eq_u16_e32 vcc, s4, v11
	s_mov_b64 s[4:5], -1
                                        ; implicit-def: $sgpr10
	s_and_saveexec_b64 s[8:9], vcc
; %bb.2194:
	s_mov_b32 s10, 0x7f800001
	s_xor_b64 s[4:5], exec, -1
; %bb.2195:
	s_or_b64 exec, exec, s[8:9]
	s_and_b64 s[4:5], s[4:5], exec
                                        ; implicit-def: $vgpr11
	s_or_saveexec_b64 s[6:7], s[6:7]
	v_mov_b32_e32 v10, s10
	s_xor_b64 exec, exec, s[6:7]
	s_cbranch_execz .LBB39_146
.LBB39_2196:
	v_cmp_ne_u16_e32 vcc, 0, v11
	s_andn2_b64 s[4:5], s[4:5], exec
	s_and_b64 s[8:9], vcc, exec
	v_mov_b32_e32 v10, 0
	s_or_b64 s[4:5], s[4:5], s[8:9]
	s_or_b64 exec, exec, s[6:7]
	s_and_saveexec_b64 s[6:7], s[4:5]
	s_cbranch_execnz .LBB39_147
	s_branch .LBB39_148
.LBB39_2197:
	s_movk_i32 s4, 0x80
	v_cmp_eq_u16_e32 vcc, s4, v11
	s_mov_b64 s[4:5], -1
                                        ; implicit-def: $sgpr10
	s_and_saveexec_b64 s[8:9], vcc
; %bb.2198:
	s_mov_b32 s10, 0x7f800001
	s_xor_b64 s[4:5], exec, -1
; %bb.2199:
	s_or_b64 exec, exec, s[8:9]
	s_and_b64 s[4:5], s[4:5], exec
                                        ; implicit-def: $vgpr11
	s_or_saveexec_b64 s[6:7], s[6:7]
	v_mov_b32_e32 v12, s10
	s_xor_b64 exec, exec, s[6:7]
	s_cbranch_execz .LBB39_150
.LBB39_2200:
	v_cmp_ne_u16_e32 vcc, 0, v11
	s_andn2_b64 s[4:5], s[4:5], exec
	s_and_b64 s[8:9], vcc, exec
	v_mov_b32_e32 v12, 0
	s_or_b64 s[4:5], s[4:5], s[8:9]
	s_or_b64 exec, exec, s[6:7]
	s_and_saveexec_b64 s[6:7], s[4:5]
	s_cbranch_execnz .LBB39_151
	s_branch .LBB39_152
.LBB39_2201:
	s_movk_i32 s4, 0x80
	v_cmp_eq_u16_sdwa s[12:13], v6, s4 src0_sel:BYTE_3 src1_sel:DWORD
	s_mov_b64 s[4:5], -1
                                        ; implicit-def: $sgpr10
	s_and_saveexec_b64 s[8:9], s[12:13]
; %bb.2202:
	s_mov_b32 s10, 0x7f800001
	s_xor_b64 s[4:5], exec, -1
; %bb.2203:
	s_or_b64 exec, exec, s[8:9]
	s_and_b64 s[4:5], s[4:5], exec
	s_or_saveexec_b64 s[6:7], s[6:7]
	v_mov_b32_e32 v10, s10
	s_xor_b64 exec, exec, s[6:7]
	s_cbranch_execz .LBB39_154
.LBB39_2204:
	v_mov_b32_e32 v10, 0
	v_cmp_ne_u16_sdwa s[8:9], v6, v10 src0_sel:BYTE_3 src1_sel:DWORD
	s_andn2_b64 s[4:5], s[4:5], exec
	s_and_b64 s[8:9], s[8:9], exec
	s_or_b64 s[4:5], s[4:5], s[8:9]
	s_or_b64 exec, exec, s[6:7]
	s_and_saveexec_b64 s[6:7], s[4:5]
	s_cbranch_execnz .LBB39_155
	s_branch .LBB39_156
.LBB39_2205:
	s_movk_i32 s4, 0x80
	v_cmp_eq_u16_sdwa s[12:13], v2, s4 src0_sel:BYTE_3 src1_sel:DWORD
	s_mov_b64 s[4:5], -1
                                        ; implicit-def: $sgpr10
	s_and_saveexec_b64 s[8:9], s[12:13]
; %bb.2206:
	s_mov_b32 s10, 0x7f800001
	s_xor_b64 s[4:5], exec, -1
; %bb.2207:
	s_or_b64 exec, exec, s[8:9]
	s_and_b64 s[4:5], s[4:5], exec
	s_or_saveexec_b64 s[6:7], s[6:7]
	v_mov_b32_e32 v6, s10
	s_xor_b64 exec, exec, s[6:7]
	s_cbranch_execz .LBB39_158
.LBB39_2208:
	v_mov_b32_e32 v6, 0
	v_cmp_ne_u16_sdwa s[8:9], v2, v6 src0_sel:BYTE_3 src1_sel:DWORD
	s_andn2_b64 s[4:5], s[4:5], exec
	s_and_b64 s[8:9], s[8:9], exec
	s_or_b64 s[4:5], s[4:5], s[8:9]
	s_or_b64 exec, exec, s[6:7]
	s_and_saveexec_b64 s[6:7], s[4:5]
	s_cbranch_execnz .LBB39_159
	s_branch .LBB39_160
.LBB39_2209:
	s_movk_i32 s4, 0x80
	v_cmp_eq_u16_sdwa s[12:13], v7, s4 src0_sel:BYTE_0 src1_sel:DWORD
	s_mov_b64 s[4:5], -1
                                        ; implicit-def: $sgpr10
	s_and_saveexec_b64 s[8:9], s[12:13]
; %bb.2210:
	s_mov_b32 s10, 0x7f800001
	s_xor_b64 s[4:5], exec, -1
; %bb.2211:
	s_or_b64 exec, exec, s[8:9]
	s_and_b64 s[4:5], s[4:5], exec
	s_or_saveexec_b64 s[6:7], s[6:7]
	v_mov_b32_e32 v2, s10
	s_xor_b64 exec, exec, s[6:7]
	s_cbranch_execz .LBB39_162
.LBB39_2212:
	v_mov_b32_e32 v2, 0
	v_cmp_ne_u16_sdwa s[8:9], v7, v2 src0_sel:BYTE_0 src1_sel:DWORD
	s_andn2_b64 s[4:5], s[4:5], exec
	s_and_b64 s[8:9], s[8:9], exec
	s_or_b64 s[4:5], s[4:5], s[8:9]
	s_or_b64 exec, exec, s[6:7]
	s_and_saveexec_b64 s[6:7], s[4:5]
	s_cbranch_execnz .LBB39_163
	s_branch .LBB39_164
.LBB39_2213:
	s_movk_i32 s4, 0x80
	v_cmp_eq_u16_sdwa s[12:13], v3, s4 src0_sel:BYTE_0 src1_sel:DWORD
	s_mov_b64 s[4:5], -1
                                        ; implicit-def: $sgpr10
	s_and_saveexec_b64 s[8:9], s[12:13]
; %bb.2214:
	s_mov_b32 s10, 0x7f800001
	s_xor_b64 s[4:5], exec, -1
; %bb.2215:
	s_or_b64 exec, exec, s[8:9]
	s_and_b64 s[4:5], s[4:5], exec
	s_or_saveexec_b64 s[6:7], s[6:7]
	v_mov_b32_e32 v6, s10
	s_xor_b64 exec, exec, s[6:7]
	s_cbranch_execz .LBB39_166
.LBB39_2216:
	v_mov_b32_e32 v6, 0
	v_cmp_ne_u16_sdwa s[8:9], v3, v6 src0_sel:BYTE_0 src1_sel:DWORD
	s_andn2_b64 s[4:5], s[4:5], exec
	s_and_b64 s[8:9], s[8:9], exec
	s_or_b64 s[4:5], s[4:5], s[8:9]
	s_or_b64 exec, exec, s[6:7]
	s_and_saveexec_b64 s[6:7], s[4:5]
	s_cbranch_execnz .LBB39_167
	s_branch .LBB39_168
.LBB39_2217:
	s_movk_i32 s4, 0x80
	v_cmp_eq_u16_sdwa s[12:13], v6, s4 src0_sel:BYTE_0 src1_sel:DWORD
	s_mov_b64 s[4:5], -1
                                        ; implicit-def: $sgpr10
	s_and_saveexec_b64 s[8:9], s[12:13]
; %bb.2218:
	s_mov_b32 s10, 0x7f800001
	s_xor_b64 s[4:5], exec, -1
; %bb.2219:
	s_or_b64 exec, exec, s[8:9]
	s_and_b64 s[4:5], s[4:5], exec
	s_or_saveexec_b64 s[6:7], s[6:7]
	v_mov_b32_e32 v2, s10
	s_xor_b64 exec, exec, s[6:7]
	s_cbranch_execz .LBB39_170
.LBB39_2220:
	v_mov_b32_e32 v2, 0
	v_cmp_ne_u16_sdwa s[8:9], v6, v2 src0_sel:BYTE_0 src1_sel:DWORD
	s_andn2_b64 s[4:5], s[4:5], exec
	s_and_b64 s[8:9], s[8:9], exec
	s_or_b64 s[4:5], s[4:5], s[8:9]
	s_or_b64 exec, exec, s[6:7]
	s_and_saveexec_b64 s[6:7], s[4:5]
	s_cbranch_execnz .LBB39_171
	s_branch .LBB39_172
.LBB39_2221:
	s_movk_i32 s4, 0x80
	v_cmp_eq_u16_sdwa s[12:13], v6, s4 src0_sel:BYTE_0 src1_sel:DWORD
	s_mov_b64 s[4:5], -1
                                        ; implicit-def: $sgpr10
	s_and_saveexec_b64 s[8:9], s[12:13]
; %bb.2222:
	s_mov_b32 s10, 0x7f800001
	s_xor_b64 s[4:5], exec, -1
; %bb.2223:
	s_or_b64 exec, exec, s[8:9]
	s_and_b64 s[4:5], s[4:5], exec
	s_or_saveexec_b64 s[6:7], s[6:7]
	v_mov_b32_e32 v10, s10
	s_xor_b64 exec, exec, s[6:7]
	s_cbranch_execz .LBB39_174
.LBB39_2224:
	v_mov_b32_e32 v10, 0
	v_cmp_ne_u16_sdwa s[8:9], v6, v10 src0_sel:BYTE_0 src1_sel:DWORD
	s_andn2_b64 s[4:5], s[4:5], exec
	s_and_b64 s[8:9], s[8:9], exec
	s_or_b64 s[4:5], s[4:5], s[8:9]
	s_or_b64 exec, exec, s[6:7]
	s_and_saveexec_b64 s[6:7], s[4:5]
	s_cbranch_execnz .LBB39_175
	s_branch .LBB39_176
.LBB39_2225:
	s_movk_i32 s4, 0x80
	v_cmp_eq_u16_e32 vcc, s4, v6
	s_mov_b64 s[4:5], -1
                                        ; implicit-def: $sgpr10
	s_and_saveexec_b64 s[8:9], vcc
; %bb.2226:
	s_mov_b32 s10, 0x7f800001
	s_xor_b64 s[4:5], exec, -1
; %bb.2227:
	s_or_b64 exec, exec, s[8:9]
	s_and_b64 s[4:5], s[4:5], exec
                                        ; implicit-def: $vgpr6
	s_or_saveexec_b64 s[6:7], s[6:7]
	v_mov_b32_e32 v2, s10
	s_xor_b64 exec, exec, s[6:7]
	s_cbranch_execz .LBB39_178
.LBB39_2228:
	v_cmp_ne_u16_e32 vcc, 0, v6
	s_andn2_b64 s[4:5], s[4:5], exec
	s_and_b64 s[8:9], vcc, exec
	v_mov_b32_e32 v2, 0
	s_or_b64 s[4:5], s[4:5], s[8:9]
	s_or_b64 exec, exec, s[6:7]
	s_and_saveexec_b64 s[6:7], s[4:5]
	s_cbranch_execnz .LBB39_179
	s_branch .LBB39_180
.LBB39_2229:
	s_movk_i32 s4, 0x80
	v_cmp_eq_u16_e32 vcc, s4, v6
	s_mov_b64 s[4:5], -1
                                        ; implicit-def: $sgpr10
	s_and_saveexec_b64 s[8:9], vcc
; %bb.2230:
	s_mov_b32 s10, 0x7f800001
	s_xor_b64 s[4:5], exec, -1
; %bb.2231:
	s_or_b64 exec, exec, s[8:9]
	s_and_b64 s[4:5], s[4:5], exec
                                        ; implicit-def: $vgpr6
	s_or_saveexec_b64 s[6:7], s[6:7]
	v_mov_b32_e32 v10, s10
	s_xor_b64 exec, exec, s[6:7]
	s_cbranch_execz .LBB39_182
.LBB39_2232:
	v_cmp_ne_u16_e32 vcc, 0, v6
	s_andn2_b64 s[4:5], s[4:5], exec
	s_and_b64 s[8:9], vcc, exec
	v_mov_b32_e32 v10, 0
	s_or_b64 s[4:5], s[4:5], s[8:9]
	s_or_b64 exec, exec, s[6:7]
	s_and_saveexec_b64 s[6:7], s[4:5]
	s_cbranch_execnz .LBB39_183
	s_branch .LBB39_184
.LBB39_2233:
	s_movk_i32 s4, 0x80
	v_cmp_eq_u16_sdwa s[12:13], v7, s4 src0_sel:BYTE_3 src1_sel:DWORD
	s_mov_b64 s[4:5], -1
                                        ; implicit-def: $sgpr10
	s_and_saveexec_b64 s[8:9], s[12:13]
; %bb.2234:
	s_mov_b32 s10, 0x7f800001
	s_xor_b64 s[4:5], exec, -1
; %bb.2235:
	s_or_b64 exec, exec, s[8:9]
	s_and_b64 s[4:5], s[4:5], exec
	s_or_saveexec_b64 s[6:7], s[6:7]
	v_mov_b32_e32 v2, s10
	s_xor_b64 exec, exec, s[6:7]
	s_cbranch_execz .LBB39_186
.LBB39_2236:
	v_mov_b32_e32 v2, 0
	v_cmp_ne_u16_sdwa s[8:9], v7, v2 src0_sel:BYTE_3 src1_sel:DWORD
	s_andn2_b64 s[4:5], s[4:5], exec
	s_and_b64 s[8:9], s[8:9], exec
	s_or_b64 s[4:5], s[4:5], s[8:9]
	s_or_b64 exec, exec, s[6:7]
	s_and_saveexec_b64 s[6:7], s[4:5]
	s_cbranch_execnz .LBB39_187
	s_branch .LBB39_188
.LBB39_2237:
	s_movk_i32 s4, 0x80
	v_cmp_eq_u16_sdwa s[12:13], v3, s4 src0_sel:BYTE_3 src1_sel:DWORD
	s_mov_b64 s[4:5], -1
                                        ; implicit-def: $sgpr10
	s_and_saveexec_b64 s[8:9], s[12:13]
; %bb.2238:
	s_mov_b32 s10, 0x7f800001
	s_xor_b64 s[4:5], exec, -1
; %bb.2239:
	s_or_b64 exec, exec, s[8:9]
	s_and_b64 s[4:5], s[4:5], exec
	s_or_saveexec_b64 s[6:7], s[6:7]
	v_mov_b32_e32 v6, s10
	s_xor_b64 exec, exec, s[6:7]
	s_cbranch_execz .LBB39_190
.LBB39_2240:
	v_mov_b32_e32 v6, 0
	v_cmp_ne_u16_sdwa s[8:9], v3, v6 src0_sel:BYTE_3 src1_sel:DWORD
	s_andn2_b64 s[4:5], s[4:5], exec
	s_and_b64 s[8:9], s[8:9], exec
	s_or_b64 s[4:5], s[4:5], s[8:9]
	s_or_b64 exec, exec, s[6:7]
	s_and_saveexec_b64 s[6:7], s[4:5]
	s_cbranch_execnz .LBB39_191
	s_branch .LBB39_192
.LBB39_2241:
	s_movk_i32 s4, 0x80
	v_cmp_eq_u16_sdwa s[12:13], v8, s4 src0_sel:BYTE_0 src1_sel:DWORD
	s_mov_b64 s[4:5], -1
                                        ; implicit-def: $sgpr10
	s_and_saveexec_b64 s[8:9], s[12:13]
; %bb.2242:
	s_mov_b32 s10, 0x7f800001
	s_xor_b64 s[4:5], exec, -1
; %bb.2243:
	s_or_b64 exec, exec, s[8:9]
	s_and_b64 s[4:5], s[4:5], exec
	s_or_saveexec_b64 s[6:7], s[6:7]
	v_mov_b32_e32 v2, s10
	s_xor_b64 exec, exec, s[6:7]
	s_cbranch_execz .LBB39_194
.LBB39_2244:
	v_mov_b32_e32 v2, 0
	v_cmp_ne_u16_sdwa s[8:9], v8, v2 src0_sel:BYTE_0 src1_sel:DWORD
	s_andn2_b64 s[4:5], s[4:5], exec
	s_and_b64 s[8:9], s[8:9], exec
	s_or_b64 s[4:5], s[4:5], s[8:9]
	s_or_b64 exec, exec, s[6:7]
	s_and_saveexec_b64 s[6:7], s[4:5]
	s_cbranch_execnz .LBB39_195
	s_branch .LBB39_196
.LBB39_2245:
	s_movk_i32 s4, 0x80
	v_cmp_eq_u16_sdwa s[12:13], v4, s4 src0_sel:BYTE_0 src1_sel:DWORD
	s_mov_b64 s[4:5], -1
                                        ; implicit-def: $sgpr10
	s_and_saveexec_b64 s[8:9], s[12:13]
; %bb.2246:
	s_mov_b32 s10, 0x7f800001
	s_xor_b64 s[4:5], exec, -1
; %bb.2247:
	s_or_b64 exec, exec, s[8:9]
	s_and_b64 s[4:5], s[4:5], exec
	s_or_saveexec_b64 s[6:7], s[6:7]
	v_mov_b32_e32 v3, s10
	s_xor_b64 exec, exec, s[6:7]
	s_cbranch_execz .LBB39_198
.LBB39_2248:
	v_mov_b32_e32 v3, 0
	v_cmp_ne_u16_sdwa s[8:9], v4, v3 src0_sel:BYTE_0 src1_sel:DWORD
	s_andn2_b64 s[4:5], s[4:5], exec
	s_and_b64 s[8:9], s[8:9], exec
	s_or_b64 s[4:5], s[4:5], s[8:9]
	s_or_b64 exec, exec, s[6:7]
	s_and_saveexec_b64 s[6:7], s[4:5]
	s_cbranch_execnz .LBB39_199
	s_branch .LBB39_200
.LBB39_2249:
	s_movk_i32 s4, 0x80
	v_cmp_eq_u16_sdwa s[12:13], v3, s4 src0_sel:BYTE_0 src1_sel:DWORD
	s_mov_b64 s[4:5], -1
                                        ; implicit-def: $sgpr10
	s_and_saveexec_b64 s[8:9], s[12:13]
; %bb.2250:
	s_mov_b32 s10, 0x7f800001
	s_xor_b64 s[4:5], exec, -1
; %bb.2251:
	s_or_b64 exec, exec, s[8:9]
	s_and_b64 s[4:5], s[4:5], exec
	s_or_saveexec_b64 s[6:7], s[6:7]
	v_mov_b32_e32 v2, s10
	s_xor_b64 exec, exec, s[6:7]
	s_cbranch_execz .LBB39_202
.LBB39_2252:
	v_mov_b32_e32 v2, 0
	v_cmp_ne_u16_sdwa s[8:9], v3, v2 src0_sel:BYTE_0 src1_sel:DWORD
	s_andn2_b64 s[4:5], s[4:5], exec
	s_and_b64 s[8:9], s[8:9], exec
	s_or_b64 s[4:5], s[4:5], s[8:9]
	s_or_b64 exec, exec, s[6:7]
	s_and_saveexec_b64 s[6:7], s[4:5]
	s_cbranch_execnz .LBB39_203
	s_branch .LBB39_204
.LBB39_2253:
	s_movk_i32 s4, 0x80
	v_cmp_eq_u16_sdwa s[12:13], v3, s4 src0_sel:BYTE_0 src1_sel:DWORD
	s_mov_b64 s[4:5], -1
                                        ; implicit-def: $sgpr10
	s_and_saveexec_b64 s[8:9], s[12:13]
; %bb.2254:
	s_mov_b32 s10, 0x7f800001
	s_xor_b64 s[4:5], exec, -1
; %bb.2255:
	s_or_b64 exec, exec, s[8:9]
	s_and_b64 s[4:5], s[4:5], exec
	s_or_saveexec_b64 s[6:7], s[6:7]
	v_mov_b32_e32 v6, s10
	s_xor_b64 exec, exec, s[6:7]
	s_cbranch_execz .LBB39_206
.LBB39_2256:
	v_mov_b32_e32 v6, 0
	v_cmp_ne_u16_sdwa s[8:9], v3, v6 src0_sel:BYTE_0 src1_sel:DWORD
	s_andn2_b64 s[4:5], s[4:5], exec
	s_and_b64 s[8:9], s[8:9], exec
	s_or_b64 s[4:5], s[4:5], s[8:9]
	s_or_b64 exec, exec, s[6:7]
	s_and_saveexec_b64 s[6:7], s[4:5]
	s_cbranch_execnz .LBB39_207
	s_branch .LBB39_208
.LBB39_2257:
	s_movk_i32 s4, 0x80
	v_cmp_eq_u16_e32 vcc, s4, v3
	s_mov_b64 s[4:5], -1
                                        ; implicit-def: $sgpr10
	s_and_saveexec_b64 s[8:9], vcc
; %bb.2258:
	s_mov_b32 s10, 0x7f800001
	s_xor_b64 s[4:5], exec, -1
; %bb.2259:
	s_or_b64 exec, exec, s[8:9]
	s_and_b64 s[4:5], s[4:5], exec
                                        ; implicit-def: $vgpr3
	s_or_saveexec_b64 s[6:7], s[6:7]
	v_mov_b32_e32 v2, s10
	s_xor_b64 exec, exec, s[6:7]
	s_cbranch_execz .LBB39_210
.LBB39_2260:
	v_cmp_ne_u16_e32 vcc, 0, v3
	s_andn2_b64 s[4:5], s[4:5], exec
	s_and_b64 s[8:9], vcc, exec
	v_mov_b32_e32 v2, 0
	s_or_b64 s[4:5], s[4:5], s[8:9]
	s_or_b64 exec, exec, s[6:7]
	s_and_saveexec_b64 s[6:7], s[4:5]
	s_cbranch_execnz .LBB39_211
	s_branch .LBB39_212
.LBB39_2261:
	s_movk_i32 s4, 0x80
	v_cmp_eq_u16_e32 vcc, s4, v3
	s_mov_b64 s[4:5], -1
                                        ; implicit-def: $sgpr10
	s_and_saveexec_b64 s[8:9], vcc
; %bb.2262:
	s_mov_b32 s10, 0x7f800001
	s_xor_b64 s[4:5], exec, -1
; %bb.2263:
	s_or_b64 exec, exec, s[8:9]
	s_and_b64 s[4:5], s[4:5], exec
                                        ; implicit-def: $vgpr3
	s_or_saveexec_b64 s[6:7], s[6:7]
	v_mov_b32_e32 v6, s10
	s_xor_b64 exec, exec, s[6:7]
	s_cbranch_execz .LBB39_214
.LBB39_2264:
	v_cmp_ne_u16_e32 vcc, 0, v3
	s_andn2_b64 s[4:5], s[4:5], exec
	s_and_b64 s[8:9], vcc, exec
	v_mov_b32_e32 v6, 0
	s_or_b64 s[4:5], s[4:5], s[8:9]
	s_or_b64 exec, exec, s[6:7]
	s_and_saveexec_b64 s[6:7], s[4:5]
	s_cbranch_execnz .LBB39_215
	s_branch .LBB39_216
.LBB39_2265:
	s_movk_i32 s4, 0x80
	v_cmp_eq_u16_sdwa s[12:13], v8, s4 src0_sel:BYTE_3 src1_sel:DWORD
	s_mov_b64 s[4:5], -1
                                        ; implicit-def: $sgpr10
	s_and_saveexec_b64 s[8:9], s[12:13]
; %bb.2266:
	s_mov_b32 s10, 0x7f800001
	s_xor_b64 s[4:5], exec, -1
; %bb.2267:
	s_or_b64 exec, exec, s[8:9]
	s_and_b64 s[4:5], s[4:5], exec
	s_or_saveexec_b64 s[6:7], s[6:7]
	v_mov_b32_e32 v2, s10
	s_xor_b64 exec, exec, s[6:7]
	s_cbranch_execz .LBB39_218
.LBB39_2268:
	v_mov_b32_e32 v2, 0
	v_cmp_ne_u16_sdwa s[8:9], v8, v2 src0_sel:BYTE_3 src1_sel:DWORD
	s_andn2_b64 s[4:5], s[4:5], exec
	s_and_b64 s[8:9], s[8:9], exec
	s_or_b64 s[4:5], s[4:5], s[8:9]
	s_or_b64 exec, exec, s[6:7]
	s_and_saveexec_b64 s[6:7], s[4:5]
	s_cbranch_execnz .LBB39_219
	s_branch .LBB39_220
.LBB39_2269:
	s_movk_i32 s4, 0x80
	v_cmp_eq_u16_sdwa s[12:13], v4, s4 src0_sel:BYTE_3 src1_sel:DWORD
	s_mov_b64 s[4:5], -1
                                        ; implicit-def: $sgpr10
	s_and_saveexec_b64 s[8:9], s[12:13]
; %bb.2270:
	s_mov_b32 s10, 0x7f800001
	s_xor_b64 s[4:5], exec, -1
; %bb.2271:
	s_or_b64 exec, exec, s[8:9]
	s_and_b64 s[4:5], s[4:5], exec
	s_or_saveexec_b64 s[6:7], s[6:7]
	v_mov_b32_e32 v3, s10
	s_xor_b64 exec, exec, s[6:7]
	s_cbranch_execz .LBB39_222
.LBB39_2272:
	v_mov_b32_e32 v3, 0
	v_cmp_ne_u16_sdwa s[8:9], v4, v3 src0_sel:BYTE_3 src1_sel:DWORD
	s_andn2_b64 s[4:5], s[4:5], exec
	s_and_b64 s[8:9], s[8:9], exec
	s_or_b64 s[4:5], s[4:5], s[8:9]
	s_or_b64 exec, exec, s[6:7]
	s_and_saveexec_b64 s[6:7], s[4:5]
	s_cbranch_execnz .LBB39_223
	s_branch .LBB39_224
.LBB39_2273:
	s_movk_i32 s4, 0x80
	v_cmp_eq_u16_sdwa s[12:13], v9, s4 src0_sel:BYTE_0 src1_sel:DWORD
	s_mov_b64 s[4:5], -1
                                        ; implicit-def: $sgpr10
	s_and_saveexec_b64 s[8:9], s[12:13]
; %bb.2274:
	s_mov_b32 s10, 0x7f800001
	s_xor_b64 s[4:5], exec, -1
; %bb.2275:
	s_or_b64 exec, exec, s[8:9]
	s_and_b64 s[4:5], s[4:5], exec
	s_or_saveexec_b64 s[6:7], s[6:7]
	v_mov_b32_e32 v2, s10
	s_xor_b64 exec, exec, s[6:7]
	s_cbranch_execz .LBB39_226
.LBB39_2276:
	v_mov_b32_e32 v2, 0
	v_cmp_ne_u16_sdwa s[8:9], v9, v2 src0_sel:BYTE_0 src1_sel:DWORD
	s_andn2_b64 s[4:5], s[4:5], exec
	s_and_b64 s[8:9], s[8:9], exec
	s_or_b64 s[4:5], s[4:5], s[8:9]
	s_or_b64 exec, exec, s[6:7]
	s_and_saveexec_b64 s[6:7], s[4:5]
	s_cbranch_execnz .LBB39_227
	s_branch .LBB39_228
.LBB39_2277:
	s_movk_i32 s4, 0x80
	v_cmp_eq_u16_sdwa s[12:13], v5, s4 src0_sel:BYTE_0 src1_sel:DWORD
	s_mov_b64 s[4:5], -1
                                        ; implicit-def: $sgpr10
	s_and_saveexec_b64 s[8:9], s[12:13]
; %bb.2278:
	s_mov_b32 s10, 0x7f800001
	s_xor_b64 s[4:5], exec, -1
; %bb.2279:
	s_or_b64 exec, exec, s[8:9]
	s_and_b64 s[4:5], s[4:5], exec
	s_or_saveexec_b64 s[6:7], s[6:7]
	v_mov_b32_e32 v3, s10
	s_xor_b64 exec, exec, s[6:7]
	s_cbranch_execz .LBB39_230
.LBB39_2280:
	v_mov_b32_e32 v3, 0
	v_cmp_ne_u16_sdwa s[8:9], v5, v3 src0_sel:BYTE_0 src1_sel:DWORD
	s_andn2_b64 s[4:5], s[4:5], exec
	s_and_b64 s[8:9], s[8:9], exec
	s_or_b64 s[4:5], s[4:5], s[8:9]
	s_or_b64 exec, exec, s[6:7]
	s_and_saveexec_b64 s[6:7], s[4:5]
	s_cbranch_execnz .LBB39_231
	s_branch .LBB39_232
.LBB39_2281:
	s_movk_i32 s4, 0x80
	v_cmp_eq_u16_sdwa s[12:13], v3, s4 src0_sel:BYTE_0 src1_sel:DWORD
	s_mov_b64 s[4:5], -1
                                        ; implicit-def: $sgpr10
	s_and_saveexec_b64 s[8:9], s[12:13]
; %bb.2282:
	s_mov_b32 s10, 0x7f800001
	s_xor_b64 s[4:5], exec, -1
; %bb.2283:
	s_or_b64 exec, exec, s[8:9]
	s_and_b64 s[4:5], s[4:5], exec
	s_or_saveexec_b64 s[6:7], s[6:7]
	v_mov_b32_e32 v2, s10
	s_xor_b64 exec, exec, s[6:7]
	s_cbranch_execz .LBB39_234
.LBB39_2284:
	v_mov_b32_e32 v2, 0
	v_cmp_ne_u16_sdwa s[8:9], v3, v2 src0_sel:BYTE_0 src1_sel:DWORD
	s_andn2_b64 s[4:5], s[4:5], exec
	s_and_b64 s[8:9], s[8:9], exec
	s_or_b64 s[4:5], s[4:5], s[8:9]
	s_or_b64 exec, exec, s[6:7]
	s_and_saveexec_b64 s[6:7], s[4:5]
	s_cbranch_execnz .LBB39_235
	s_branch .LBB39_236
.LBB39_2285:
	s_movk_i32 s4, 0x80
	v_cmp_eq_u16_sdwa s[12:13], v3, s4 src0_sel:BYTE_0 src1_sel:DWORD
	s_mov_b64 s[4:5], -1
                                        ; implicit-def: $sgpr10
	s_and_saveexec_b64 s[8:9], s[12:13]
; %bb.2286:
	s_mov_b32 s10, 0x7f800001
	s_xor_b64 s[4:5], exec, -1
; %bb.2287:
	s_or_b64 exec, exec, s[8:9]
	s_and_b64 s[4:5], s[4:5], exec
	s_or_saveexec_b64 s[6:7], s[6:7]
	v_mov_b32_e32 v4, s10
	s_xor_b64 exec, exec, s[6:7]
	s_cbranch_execz .LBB39_238
.LBB39_2288:
	v_mov_b32_e32 v4, 0
	v_cmp_ne_u16_sdwa s[8:9], v3, v4 src0_sel:BYTE_0 src1_sel:DWORD
	s_andn2_b64 s[4:5], s[4:5], exec
	s_and_b64 s[8:9], s[8:9], exec
	s_or_b64 s[4:5], s[4:5], s[8:9]
	s_or_b64 exec, exec, s[6:7]
	s_and_saveexec_b64 s[6:7], s[4:5]
	s_cbranch_execnz .LBB39_239
	s_branch .LBB39_240
.LBB39_2289:
	s_movk_i32 s4, 0x80
	v_cmp_eq_u16_e32 vcc, s4, v3
	s_mov_b64 s[4:5], -1
                                        ; implicit-def: $sgpr10
	s_and_saveexec_b64 s[8:9], vcc
; %bb.2290:
	s_mov_b32 s10, 0x7f800001
	s_xor_b64 s[4:5], exec, -1
; %bb.2291:
	s_or_b64 exec, exec, s[8:9]
	s_and_b64 s[4:5], s[4:5], exec
                                        ; implicit-def: $vgpr3
	s_or_saveexec_b64 s[6:7], s[6:7]
	v_mov_b32_e32 v2, s10
	s_xor_b64 exec, exec, s[6:7]
	s_cbranch_execz .LBB39_242
.LBB39_2292:
	v_cmp_ne_u16_e32 vcc, 0, v3
	s_andn2_b64 s[4:5], s[4:5], exec
	s_and_b64 s[8:9], vcc, exec
	v_mov_b32_e32 v2, 0
	s_or_b64 s[4:5], s[4:5], s[8:9]
	s_or_b64 exec, exec, s[6:7]
	s_and_saveexec_b64 s[6:7], s[4:5]
	s_cbranch_execnz .LBB39_243
	s_branch .LBB39_244
.LBB39_2293:
	s_movk_i32 s4, 0x80
	v_cmp_eq_u16_e32 vcc, s4, v3
	s_mov_b64 s[4:5], -1
                                        ; implicit-def: $sgpr10
	s_and_saveexec_b64 s[8:9], vcc
; %bb.2294:
	s_mov_b32 s10, 0x7f800001
	s_xor_b64 s[4:5], exec, -1
; %bb.2295:
	s_or_b64 exec, exec, s[8:9]
	s_and_b64 s[4:5], s[4:5], exec
                                        ; implicit-def: $vgpr3
	s_or_saveexec_b64 s[6:7], s[6:7]
	v_mov_b32_e32 v4, s10
	s_xor_b64 exec, exec, s[6:7]
	s_cbranch_execz .LBB39_246
.LBB39_2296:
	v_cmp_ne_u16_e32 vcc, 0, v3
	s_andn2_b64 s[4:5], s[4:5], exec
	s_and_b64 s[8:9], vcc, exec
	v_mov_b32_e32 v4, 0
	s_or_b64 s[4:5], s[4:5], s[8:9]
	s_or_b64 exec, exec, s[6:7]
	s_and_saveexec_b64 s[6:7], s[4:5]
	s_cbranch_execnz .LBB39_247
	s_branch .LBB39_248
.LBB39_2297:
	s_movk_i32 s4, 0x80
	v_cmp_eq_u16_sdwa s[12:13], v9, s4 src0_sel:BYTE_3 src1_sel:DWORD
	s_mov_b64 s[4:5], -1
                                        ; implicit-def: $sgpr10
	s_and_saveexec_b64 s[8:9], s[12:13]
; %bb.2298:
	s_mov_b32 s10, 0x7f800001
	s_xor_b64 s[4:5], exec, -1
; %bb.2299:
	s_or_b64 exec, exec, s[8:9]
	s_and_b64 s[4:5], s[4:5], exec
	s_or_saveexec_b64 s[6:7], s[6:7]
	v_mov_b32_e32 v2, s10
	s_xor_b64 exec, exec, s[6:7]
	s_cbranch_execz .LBB39_250
.LBB39_2300:
	v_mov_b32_e32 v2, 0
	v_cmp_ne_u16_sdwa s[8:9], v9, v2 src0_sel:BYTE_3 src1_sel:DWORD
	s_andn2_b64 s[4:5], s[4:5], exec
	s_and_b64 s[8:9], s[8:9], exec
	s_or_b64 s[4:5], s[4:5], s[8:9]
	s_or_b64 exec, exec, s[6:7]
	s_and_saveexec_b64 s[6:7], s[4:5]
	s_cbranch_execnz .LBB39_251
	s_branch .LBB39_252
.LBB39_2301:
	s_movk_i32 s4, 0x80
	v_cmp_eq_u16_sdwa s[12:13], v5, s4 src0_sel:BYTE_3 src1_sel:DWORD
	s_mov_b64 s[4:5], -1
                                        ; implicit-def: $sgpr10
	s_and_saveexec_b64 s[8:9], s[12:13]
; %bb.2302:
	s_mov_b32 s10, 0x7f800001
	s_xor_b64 s[4:5], exec, -1
; %bb.2303:
	s_or_b64 exec, exec, s[8:9]
	s_and_b64 s[4:5], s[4:5], exec
	s_or_saveexec_b64 s[6:7], s[6:7]
	v_mov_b32_e32 v3, s10
	s_xor_b64 exec, exec, s[6:7]
	s_cbranch_execz .LBB39_254
.LBB39_2304:
	v_mov_b32_e32 v3, 0
	v_cmp_ne_u16_sdwa s[8:9], v5, v3 src0_sel:BYTE_3 src1_sel:DWORD
	s_andn2_b64 s[4:5], s[4:5], exec
	s_and_b64 s[8:9], s[8:9], exec
	s_or_b64 s[4:5], s[4:5], s[8:9]
	s_or_b64 exec, exec, s[6:7]
	s_and_saveexec_b64 s[6:7], s[4:5]
	s_cbranch_execnz .LBB39_255
	s_branch .LBB39_256
.LBB39_2305:
	s_movk_i32 s4, 0x80
	v_cmp_eq_u16_sdwa s[12:13], v14, s4 src0_sel:BYTE_0 src1_sel:DWORD
	s_mov_b64 s[4:5], -1
                                        ; implicit-def: $sgpr10
	s_and_saveexec_b64 s[8:9], s[12:13]
; %bb.2306:
	s_mov_b32 s10, 0x7f800001
	s_xor_b64 s[4:5], exec, -1
; %bb.2307:
	s_or_b64 exec, exec, s[8:9]
	s_and_b64 s[4:5], s[4:5], exec
	s_or_saveexec_b64 s[6:7], s[6:7]
	v_mov_b32_e32 v20, s10
	s_xor_b64 exec, exec, s[6:7]
	s_cbranch_execz .LBB39_258
.LBB39_2308:
	v_mov_b32_e32 v20, 0
	v_cmp_ne_u16_sdwa s[8:9], v14, v20 src0_sel:BYTE_0 src1_sel:DWORD
	s_andn2_b64 s[4:5], s[4:5], exec
	s_and_b64 s[8:9], s[8:9], exec
	s_or_b64 s[4:5], s[4:5], s[8:9]
	s_or_b64 exec, exec, s[6:7]
	s_and_saveexec_b64 s[6:7], s[4:5]
	s_cbranch_execnz .LBB39_259
	s_branch .LBB39_260
.LBB39_2309:
	s_movk_i32 s4, 0x80
	v_cmp_eq_u16_sdwa s[12:13], v10, s4 src0_sel:BYTE_0 src1_sel:DWORD
	s_mov_b64 s[4:5], -1
                                        ; implicit-def: $sgpr10
	s_and_saveexec_b64 s[8:9], s[12:13]
; %bb.2310:
	s_mov_b32 s10, 0x7f800001
	s_xor_b64 s[4:5], exec, -1
; %bb.2311:
	s_or_b64 exec, exec, s[8:9]
	s_and_b64 s[4:5], s[4:5], exec
	s_or_saveexec_b64 s[6:7], s[6:7]
	v_mov_b32_e32 v21, s10
	s_xor_b64 exec, exec, s[6:7]
	s_cbranch_execz .LBB39_262
.LBB39_2312:
	v_mov_b32_e32 v21, 0
	v_cmp_ne_u16_sdwa s[8:9], v10, v21 src0_sel:BYTE_0 src1_sel:DWORD
	s_andn2_b64 s[4:5], s[4:5], exec
	s_and_b64 s[8:9], s[8:9], exec
	s_or_b64 s[4:5], s[4:5], s[8:9]
	s_or_b64 exec, exec, s[6:7]
	s_and_saveexec_b64 s[6:7], s[4:5]
	s_cbranch_execnz .LBB39_263
	s_branch .LBB39_264
.LBB39_2313:
	s_movk_i32 s4, 0x80
	v_cmp_eq_u16_sdwa s[12:13], v21, s4 src0_sel:BYTE_0 src1_sel:DWORD
	s_mov_b64 s[4:5], -1
                                        ; implicit-def: $sgpr10
	s_and_saveexec_b64 s[8:9], s[12:13]
; %bb.2314:
	s_mov_b32 s10, 0x7f800001
	s_xor_b64 s[4:5], exec, -1
; %bb.2315:
	s_or_b64 exec, exec, s[8:9]
	s_and_b64 s[4:5], s[4:5], exec
	s_or_saveexec_b64 s[6:7], s[6:7]
	v_mov_b32_e32 v20, s10
	s_xor_b64 exec, exec, s[6:7]
	s_cbranch_execz .LBB39_266
.LBB39_2316:
	v_mov_b32_e32 v20, 0
	v_cmp_ne_u16_sdwa s[8:9], v21, v20 src0_sel:BYTE_0 src1_sel:DWORD
	s_andn2_b64 s[4:5], s[4:5], exec
	s_and_b64 s[8:9], s[8:9], exec
	s_or_b64 s[4:5], s[4:5], s[8:9]
	s_or_b64 exec, exec, s[6:7]
	s_and_saveexec_b64 s[6:7], s[4:5]
	s_cbranch_execnz .LBB39_267
	s_branch .LBB39_268
.LBB39_2317:
	s_movk_i32 s4, 0x80
	v_cmp_eq_u16_sdwa s[12:13], v21, s4 src0_sel:BYTE_0 src1_sel:DWORD
	s_mov_b64 s[4:5], -1
                                        ; implicit-def: $sgpr10
	s_and_saveexec_b64 s[8:9], s[12:13]
; %bb.2318:
	s_mov_b32 s10, 0x7f800001
	s_xor_b64 s[4:5], exec, -1
; %bb.2319:
	s_or_b64 exec, exec, s[8:9]
	s_and_b64 s[4:5], s[4:5], exec
	s_or_saveexec_b64 s[6:7], s[6:7]
	v_mov_b32_e32 v22, s10
	s_xor_b64 exec, exec, s[6:7]
	s_cbranch_execz .LBB39_270
.LBB39_2320:
	v_mov_b32_e32 v22, 0
	v_cmp_ne_u16_sdwa s[8:9], v21, v22 src0_sel:BYTE_0 src1_sel:DWORD
	s_andn2_b64 s[4:5], s[4:5], exec
	s_and_b64 s[8:9], s[8:9], exec
	s_or_b64 s[4:5], s[4:5], s[8:9]
	s_or_b64 exec, exec, s[6:7]
	s_and_saveexec_b64 s[6:7], s[4:5]
	s_cbranch_execnz .LBB39_271
	s_branch .LBB39_272
.LBB39_2321:
	s_movk_i32 s4, 0x80
	v_cmp_eq_u16_e32 vcc, s4, v21
	s_mov_b64 s[4:5], -1
                                        ; implicit-def: $sgpr10
	s_and_saveexec_b64 s[8:9], vcc
; %bb.2322:
	s_mov_b32 s10, 0x7f800001
	s_xor_b64 s[4:5], exec, -1
; %bb.2323:
	s_or_b64 exec, exec, s[8:9]
	s_and_b64 s[4:5], s[4:5], exec
                                        ; implicit-def: $vgpr21
	s_or_saveexec_b64 s[6:7], s[6:7]
	v_mov_b32_e32 v20, s10
	s_xor_b64 exec, exec, s[6:7]
	s_cbranch_execz .LBB39_274
.LBB39_2324:
	v_cmp_ne_u16_e32 vcc, 0, v21
	s_andn2_b64 s[4:5], s[4:5], exec
	s_and_b64 s[8:9], vcc, exec
	v_mov_b32_e32 v20, 0
	s_or_b64 s[4:5], s[4:5], s[8:9]
	s_or_b64 exec, exec, s[6:7]
	s_and_saveexec_b64 s[6:7], s[4:5]
	s_cbranch_execnz .LBB39_275
	s_branch .LBB39_276
.LBB39_2325:
	s_movk_i32 s4, 0x80
	v_cmp_eq_u16_e32 vcc, s4, v21
	s_mov_b64 s[4:5], -1
                                        ; implicit-def: $sgpr10
	s_and_saveexec_b64 s[8:9], vcc
; %bb.2326:
	s_mov_b32 s10, 0x7f800001
	s_xor_b64 s[4:5], exec, -1
; %bb.2327:
	s_or_b64 exec, exec, s[8:9]
	s_and_b64 s[4:5], s[4:5], exec
                                        ; implicit-def: $vgpr21
	s_or_saveexec_b64 s[6:7], s[6:7]
	v_mov_b32_e32 v22, s10
	s_xor_b64 exec, exec, s[6:7]
	s_cbranch_execz .LBB39_278
.LBB39_2328:
	v_cmp_ne_u16_e32 vcc, 0, v21
	s_andn2_b64 s[4:5], s[4:5], exec
	s_and_b64 s[8:9], vcc, exec
	v_mov_b32_e32 v22, 0
	s_or_b64 s[4:5], s[4:5], s[8:9]
	s_or_b64 exec, exec, s[6:7]
	s_and_saveexec_b64 s[6:7], s[4:5]
	s_cbranch_execnz .LBB39_279
	s_branch .LBB39_280
.LBB39_2329:
	s_movk_i32 s4, 0x80
	v_cmp_eq_u16_sdwa s[12:13], v14, s4 src0_sel:BYTE_3 src1_sel:DWORD
	s_mov_b64 s[4:5], -1
                                        ; implicit-def: $sgpr10
	s_and_saveexec_b64 s[8:9], s[12:13]
; %bb.2330:
	s_mov_b32 s10, 0x7f800001
	s_xor_b64 s[4:5], exec, -1
; %bb.2331:
	s_or_b64 exec, exec, s[8:9]
	s_and_b64 s[4:5], s[4:5], exec
	s_or_saveexec_b64 s[6:7], s[6:7]
	v_mov_b32_e32 v20, s10
	s_xor_b64 exec, exec, s[6:7]
	s_cbranch_execz .LBB39_282
.LBB39_2332:
	v_mov_b32_e32 v20, 0
	v_cmp_ne_u16_sdwa s[8:9], v14, v20 src0_sel:BYTE_3 src1_sel:DWORD
	s_andn2_b64 s[4:5], s[4:5], exec
	s_and_b64 s[8:9], s[8:9], exec
	s_or_b64 s[4:5], s[4:5], s[8:9]
	s_or_b64 exec, exec, s[6:7]
	s_and_saveexec_b64 s[6:7], s[4:5]
	s_cbranch_execnz .LBB39_283
	s_branch .LBB39_284
.LBB39_2333:
	s_movk_i32 s4, 0x80
	v_cmp_eq_u16_sdwa s[12:13], v10, s4 src0_sel:BYTE_3 src1_sel:DWORD
	s_mov_b64 s[4:5], -1
                                        ; implicit-def: $sgpr10
	s_and_saveexec_b64 s[8:9], s[12:13]
; %bb.2334:
	s_mov_b32 s10, 0x7f800001
	s_xor_b64 s[4:5], exec, -1
; %bb.2335:
	s_or_b64 exec, exec, s[8:9]
	s_and_b64 s[4:5], s[4:5], exec
	s_or_saveexec_b64 s[6:7], s[6:7]
	v_mov_b32_e32 v14, s10
	s_xor_b64 exec, exec, s[6:7]
	s_cbranch_execz .LBB39_286
.LBB39_2336:
	v_mov_b32_e32 v14, 0
	v_cmp_ne_u16_sdwa s[8:9], v10, v14 src0_sel:BYTE_3 src1_sel:DWORD
	s_andn2_b64 s[4:5], s[4:5], exec
	s_and_b64 s[8:9], s[8:9], exec
	s_or_b64 s[4:5], s[4:5], s[8:9]
	s_or_b64 exec, exec, s[6:7]
	s_and_saveexec_b64 s[6:7], s[4:5]
	s_cbranch_execnz .LBB39_287
	s_branch .LBB39_288
.LBB39_2337:
	s_movk_i32 s4, 0x80
	v_cmp_eq_u16_sdwa s[12:13], v15, s4 src0_sel:BYTE_0 src1_sel:DWORD
	s_mov_b64 s[4:5], -1
                                        ; implicit-def: $sgpr10
	s_and_saveexec_b64 s[8:9], s[12:13]
; %bb.2338:
	s_mov_b32 s10, 0x7f800001
	s_xor_b64 s[4:5], exec, -1
; %bb.2339:
	s_or_b64 exec, exec, s[8:9]
	s_and_b64 s[4:5], s[4:5], exec
	s_or_saveexec_b64 s[6:7], s[6:7]
	v_mov_b32_e32 v10, s10
	s_xor_b64 exec, exec, s[6:7]
	s_cbranch_execz .LBB39_290
.LBB39_2340:
	v_mov_b32_e32 v10, 0
	v_cmp_ne_u16_sdwa s[8:9], v15, v10 src0_sel:BYTE_0 src1_sel:DWORD
	s_andn2_b64 s[4:5], s[4:5], exec
	s_and_b64 s[8:9], s[8:9], exec
	s_or_b64 s[4:5], s[4:5], s[8:9]
	s_or_b64 exec, exec, s[6:7]
	s_and_saveexec_b64 s[6:7], s[4:5]
	s_cbranch_execnz .LBB39_291
	s_branch .LBB39_292
.LBB39_2341:
	s_movk_i32 s4, 0x80
	v_cmp_eq_u16_sdwa s[12:13], v11, s4 src0_sel:BYTE_0 src1_sel:DWORD
	s_mov_b64 s[4:5], -1
                                        ; implicit-def: $sgpr10
	s_and_saveexec_b64 s[8:9], s[12:13]
; %bb.2342:
	s_mov_b32 s10, 0x7f800001
	s_xor_b64 s[4:5], exec, -1
; %bb.2343:
	s_or_b64 exec, exec, s[8:9]
	s_and_b64 s[4:5], s[4:5], exec
	s_or_saveexec_b64 s[6:7], s[6:7]
	v_mov_b32_e32 v14, s10
	s_xor_b64 exec, exec, s[6:7]
	s_cbranch_execz .LBB39_294
.LBB39_2344:
	v_mov_b32_e32 v14, 0
	v_cmp_ne_u16_sdwa s[8:9], v11, v14 src0_sel:BYTE_0 src1_sel:DWORD
	s_andn2_b64 s[4:5], s[4:5], exec
	s_and_b64 s[8:9], s[8:9], exec
	s_or_b64 s[4:5], s[4:5], s[8:9]
	s_or_b64 exec, exec, s[6:7]
	s_and_saveexec_b64 s[6:7], s[4:5]
	s_cbranch_execnz .LBB39_295
	s_branch .LBB39_296
.LBB39_2345:
	s_movk_i32 s4, 0x80
	v_cmp_eq_u16_sdwa s[12:13], v14, s4 src0_sel:BYTE_0 src1_sel:DWORD
	s_mov_b64 s[4:5], -1
                                        ; implicit-def: $sgpr10
	s_and_saveexec_b64 s[8:9], s[12:13]
; %bb.2346:
	s_mov_b32 s10, 0x7f800001
	s_xor_b64 s[4:5], exec, -1
; %bb.2347:
	s_or_b64 exec, exec, s[8:9]
	s_and_b64 s[4:5], s[4:5], exec
	s_or_saveexec_b64 s[6:7], s[6:7]
	v_mov_b32_e32 v10, s10
	s_xor_b64 exec, exec, s[6:7]
	s_cbranch_execz .LBB39_298
.LBB39_2348:
	v_mov_b32_e32 v10, 0
	v_cmp_ne_u16_sdwa s[8:9], v14, v10 src0_sel:BYTE_0 src1_sel:DWORD
	s_andn2_b64 s[4:5], s[4:5], exec
	s_and_b64 s[8:9], s[8:9], exec
	s_or_b64 s[4:5], s[4:5], s[8:9]
	s_or_b64 exec, exec, s[6:7]
	s_and_saveexec_b64 s[6:7], s[4:5]
	s_cbranch_execnz .LBB39_299
	s_branch .LBB39_300
.LBB39_2349:
	s_movk_i32 s4, 0x80
	v_cmp_eq_u16_sdwa s[12:13], v14, s4 src0_sel:BYTE_0 src1_sel:DWORD
	s_mov_b64 s[4:5], -1
                                        ; implicit-def: $sgpr10
	s_and_saveexec_b64 s[8:9], s[12:13]
; %bb.2350:
	s_mov_b32 s10, 0x7f800001
	s_xor_b64 s[4:5], exec, -1
; %bb.2351:
	s_or_b64 exec, exec, s[8:9]
	s_and_b64 s[4:5], s[4:5], exec
	s_or_saveexec_b64 s[6:7], s[6:7]
	v_mov_b32_e32 v20, s10
	s_xor_b64 exec, exec, s[6:7]
	s_cbranch_execz .LBB39_302
.LBB39_2352:
	v_mov_b32_e32 v20, 0
	v_cmp_ne_u16_sdwa s[8:9], v14, v20 src0_sel:BYTE_0 src1_sel:DWORD
	s_andn2_b64 s[4:5], s[4:5], exec
	s_and_b64 s[8:9], s[8:9], exec
	s_or_b64 s[4:5], s[4:5], s[8:9]
	s_or_b64 exec, exec, s[6:7]
	s_and_saveexec_b64 s[6:7], s[4:5]
	s_cbranch_execnz .LBB39_303
	s_branch .LBB39_304
.LBB39_2353:
	s_movk_i32 s4, 0x80
	v_cmp_eq_u16_e32 vcc, s4, v14
	s_mov_b64 s[4:5], -1
                                        ; implicit-def: $sgpr10
	s_and_saveexec_b64 s[8:9], vcc
; %bb.2354:
	s_mov_b32 s10, 0x7f800001
	s_xor_b64 s[4:5], exec, -1
; %bb.2355:
	s_or_b64 exec, exec, s[8:9]
	s_and_b64 s[4:5], s[4:5], exec
                                        ; implicit-def: $vgpr14
	s_or_saveexec_b64 s[6:7], s[6:7]
	v_mov_b32_e32 v10, s10
	s_xor_b64 exec, exec, s[6:7]
	s_cbranch_execz .LBB39_306
.LBB39_2356:
	v_cmp_ne_u16_e32 vcc, 0, v14
	s_andn2_b64 s[4:5], s[4:5], exec
	s_and_b64 s[8:9], vcc, exec
	v_mov_b32_e32 v10, 0
	s_or_b64 s[4:5], s[4:5], s[8:9]
	s_or_b64 exec, exec, s[6:7]
	s_and_saveexec_b64 s[6:7], s[4:5]
	s_cbranch_execnz .LBB39_307
	s_branch .LBB39_308
.LBB39_2357:
	s_movk_i32 s4, 0x80
	v_cmp_eq_u16_e32 vcc, s4, v14
	s_mov_b64 s[4:5], -1
                                        ; implicit-def: $sgpr10
	s_and_saveexec_b64 s[8:9], vcc
; %bb.2358:
	s_mov_b32 s10, 0x7f800001
	s_xor_b64 s[4:5], exec, -1
; %bb.2359:
	s_or_b64 exec, exec, s[8:9]
	s_and_b64 s[4:5], s[4:5], exec
                                        ; implicit-def: $vgpr14
	s_or_saveexec_b64 s[6:7], s[6:7]
	v_mov_b32_e32 v20, s10
	s_xor_b64 exec, exec, s[6:7]
	s_cbranch_execz .LBB39_310
.LBB39_2360:
	v_cmp_ne_u16_e32 vcc, 0, v14
	s_andn2_b64 s[4:5], s[4:5], exec
	s_and_b64 s[8:9], vcc, exec
	v_mov_b32_e32 v20, 0
	s_or_b64 s[4:5], s[4:5], s[8:9]
	s_or_b64 exec, exec, s[6:7]
	s_and_saveexec_b64 s[6:7], s[4:5]
	s_cbranch_execnz .LBB39_311
	s_branch .LBB39_312
.LBB39_2361:
	s_movk_i32 s4, 0x80
	v_cmp_eq_u16_sdwa s[12:13], v15, s4 src0_sel:BYTE_3 src1_sel:DWORD
	s_mov_b64 s[4:5], -1
                                        ; implicit-def: $sgpr10
	s_and_saveexec_b64 s[8:9], s[12:13]
; %bb.2362:
	s_mov_b32 s10, 0x7f800001
	s_xor_b64 s[4:5], exec, -1
; %bb.2363:
	s_or_b64 exec, exec, s[8:9]
	s_and_b64 s[4:5], s[4:5], exec
	s_or_saveexec_b64 s[6:7], s[6:7]
	v_mov_b32_e32 v10, s10
	s_xor_b64 exec, exec, s[6:7]
	s_cbranch_execz .LBB39_314
.LBB39_2364:
	v_mov_b32_e32 v10, 0
	v_cmp_ne_u16_sdwa s[8:9], v15, v10 src0_sel:BYTE_3 src1_sel:DWORD
	s_andn2_b64 s[4:5], s[4:5], exec
	s_and_b64 s[8:9], s[8:9], exec
	s_or_b64 s[4:5], s[4:5], s[8:9]
	s_or_b64 exec, exec, s[6:7]
	s_and_saveexec_b64 s[6:7], s[4:5]
	s_cbranch_execnz .LBB39_315
	s_branch .LBB39_316
.LBB39_2365:
	s_movk_i32 s4, 0x80
	v_cmp_eq_u16_sdwa s[12:13], v11, s4 src0_sel:BYTE_3 src1_sel:DWORD
	s_mov_b64 s[4:5], -1
                                        ; implicit-def: $sgpr10
	s_and_saveexec_b64 s[8:9], s[12:13]
; %bb.2366:
	s_mov_b32 s10, 0x7f800001
	s_xor_b64 s[4:5], exec, -1
; %bb.2367:
	s_or_b64 exec, exec, s[8:9]
	s_and_b64 s[4:5], s[4:5], exec
	s_or_saveexec_b64 s[6:7], s[6:7]
	v_mov_b32_e32 v14, s10
	s_xor_b64 exec, exec, s[6:7]
	s_cbranch_execz .LBB39_318
.LBB39_2368:
	v_mov_b32_e32 v14, 0
	v_cmp_ne_u16_sdwa s[8:9], v11, v14 src0_sel:BYTE_3 src1_sel:DWORD
	s_andn2_b64 s[4:5], s[4:5], exec
	s_and_b64 s[8:9], s[8:9], exec
	s_or_b64 s[4:5], s[4:5], s[8:9]
	s_or_b64 exec, exec, s[6:7]
	s_and_saveexec_b64 s[6:7], s[4:5]
	s_cbranch_execnz .LBB39_319
	s_branch .LBB39_320
.LBB39_2369:
	s_movk_i32 s4, 0x80
	v_cmp_eq_u16_sdwa s[12:13], v16, s4 src0_sel:BYTE_0 src1_sel:DWORD
	s_mov_b64 s[4:5], -1
                                        ; implicit-def: $sgpr10
	s_and_saveexec_b64 s[8:9], s[12:13]
; %bb.2370:
	s_mov_b32 s10, 0x7f800001
	s_xor_b64 s[4:5], exec, -1
; %bb.2371:
	s_or_b64 exec, exec, s[8:9]
	s_and_b64 s[4:5], s[4:5], exec
	s_or_saveexec_b64 s[6:7], s[6:7]
	v_mov_b32_e32 v10, s10
	s_xor_b64 exec, exec, s[6:7]
	s_cbranch_execz .LBB39_322
.LBB39_2372:
	v_mov_b32_e32 v10, 0
	v_cmp_ne_u16_sdwa s[8:9], v16, v10 src0_sel:BYTE_0 src1_sel:DWORD
	s_andn2_b64 s[4:5], s[4:5], exec
	s_and_b64 s[8:9], s[8:9], exec
	s_or_b64 s[4:5], s[4:5], s[8:9]
	s_or_b64 exec, exec, s[6:7]
	s_and_saveexec_b64 s[6:7], s[4:5]
	s_cbranch_execnz .LBB39_323
	s_branch .LBB39_324
.LBB39_2373:
	s_movk_i32 s4, 0x80
	v_cmp_eq_u16_sdwa s[12:13], v12, s4 src0_sel:BYTE_0 src1_sel:DWORD
	s_mov_b64 s[4:5], -1
                                        ; implicit-def: $sgpr10
	s_and_saveexec_b64 s[8:9], s[12:13]
; %bb.2374:
	s_mov_b32 s10, 0x7f800001
	s_xor_b64 s[4:5], exec, -1
; %bb.2375:
	s_or_b64 exec, exec, s[8:9]
	s_and_b64 s[4:5], s[4:5], exec
	s_or_saveexec_b64 s[6:7], s[6:7]
	v_mov_b32_e32 v11, s10
	s_xor_b64 exec, exec, s[6:7]
	s_cbranch_execz .LBB39_326
.LBB39_2376:
	v_mov_b32_e32 v11, 0
	v_cmp_ne_u16_sdwa s[8:9], v12, v11 src0_sel:BYTE_0 src1_sel:DWORD
	s_andn2_b64 s[4:5], s[4:5], exec
	s_and_b64 s[8:9], s[8:9], exec
	s_or_b64 s[4:5], s[4:5], s[8:9]
	s_or_b64 exec, exec, s[6:7]
	s_and_saveexec_b64 s[6:7], s[4:5]
	s_cbranch_execnz .LBB39_327
	s_branch .LBB39_328
.LBB39_2377:
	s_movk_i32 s4, 0x80
	v_cmp_eq_u16_sdwa s[12:13], v11, s4 src0_sel:BYTE_0 src1_sel:DWORD
	s_mov_b64 s[4:5], -1
                                        ; implicit-def: $sgpr10
	s_and_saveexec_b64 s[8:9], s[12:13]
; %bb.2378:
	s_mov_b32 s10, 0x7f800001
	s_xor_b64 s[4:5], exec, -1
; %bb.2379:
	s_or_b64 exec, exec, s[8:9]
	s_and_b64 s[4:5], s[4:5], exec
	s_or_saveexec_b64 s[6:7], s[6:7]
	v_mov_b32_e32 v10, s10
	s_xor_b64 exec, exec, s[6:7]
	s_cbranch_execz .LBB39_330
.LBB39_2380:
	v_mov_b32_e32 v10, 0
	v_cmp_ne_u16_sdwa s[8:9], v11, v10 src0_sel:BYTE_0 src1_sel:DWORD
	s_andn2_b64 s[4:5], s[4:5], exec
	s_and_b64 s[8:9], s[8:9], exec
	s_or_b64 s[4:5], s[4:5], s[8:9]
	s_or_b64 exec, exec, s[6:7]
	s_and_saveexec_b64 s[6:7], s[4:5]
	s_cbranch_execnz .LBB39_331
	s_branch .LBB39_332
.LBB39_2381:
	s_movk_i32 s4, 0x80
	v_cmp_eq_u16_sdwa s[12:13], v11, s4 src0_sel:BYTE_0 src1_sel:DWORD
	s_mov_b64 s[4:5], -1
                                        ; implicit-def: $sgpr10
	s_and_saveexec_b64 s[8:9], s[12:13]
; %bb.2382:
	s_mov_b32 s10, 0x7f800001
	s_xor_b64 s[4:5], exec, -1
; %bb.2383:
	s_or_b64 exec, exec, s[8:9]
	s_and_b64 s[4:5], s[4:5], exec
	s_or_saveexec_b64 s[6:7], s[6:7]
	v_mov_b32_e32 v14, s10
	s_xor_b64 exec, exec, s[6:7]
	s_cbranch_execz .LBB39_334
.LBB39_2384:
	v_mov_b32_e32 v14, 0
	v_cmp_ne_u16_sdwa s[8:9], v11, v14 src0_sel:BYTE_0 src1_sel:DWORD
	s_andn2_b64 s[4:5], s[4:5], exec
	s_and_b64 s[8:9], s[8:9], exec
	s_or_b64 s[4:5], s[4:5], s[8:9]
	s_or_b64 exec, exec, s[6:7]
	s_and_saveexec_b64 s[6:7], s[4:5]
	s_cbranch_execnz .LBB39_335
	s_branch .LBB39_336
.LBB39_2385:
	s_movk_i32 s4, 0x80
	v_cmp_eq_u16_e32 vcc, s4, v11
	s_mov_b64 s[4:5], -1
                                        ; implicit-def: $sgpr10
	s_and_saveexec_b64 s[8:9], vcc
; %bb.2386:
	s_mov_b32 s10, 0x7f800001
	s_xor_b64 s[4:5], exec, -1
; %bb.2387:
	s_or_b64 exec, exec, s[8:9]
	s_and_b64 s[4:5], s[4:5], exec
                                        ; implicit-def: $vgpr11
	s_or_saveexec_b64 s[6:7], s[6:7]
	v_mov_b32_e32 v10, s10
	s_xor_b64 exec, exec, s[6:7]
	s_cbranch_execz .LBB39_338
.LBB39_2388:
	v_cmp_ne_u16_e32 vcc, 0, v11
	s_andn2_b64 s[4:5], s[4:5], exec
	s_and_b64 s[8:9], vcc, exec
	v_mov_b32_e32 v10, 0
	s_or_b64 s[4:5], s[4:5], s[8:9]
	s_or_b64 exec, exec, s[6:7]
	s_and_saveexec_b64 s[6:7], s[4:5]
	s_cbranch_execnz .LBB39_339
	s_branch .LBB39_340
.LBB39_2389:
	s_movk_i32 s4, 0x80
	v_cmp_eq_u16_e32 vcc, s4, v11
	s_mov_b64 s[4:5], -1
                                        ; implicit-def: $sgpr10
	s_and_saveexec_b64 s[8:9], vcc
; %bb.2390:
	s_mov_b32 s10, 0x7f800001
	s_xor_b64 s[4:5], exec, -1
; %bb.2391:
	s_or_b64 exec, exec, s[8:9]
	s_and_b64 s[4:5], s[4:5], exec
                                        ; implicit-def: $vgpr11
	s_or_saveexec_b64 s[6:7], s[6:7]
	v_mov_b32_e32 v14, s10
	s_xor_b64 exec, exec, s[6:7]
	s_cbranch_execz .LBB39_342
.LBB39_2392:
	v_cmp_ne_u16_e32 vcc, 0, v11
	s_andn2_b64 s[4:5], s[4:5], exec
	s_and_b64 s[8:9], vcc, exec
	v_mov_b32_e32 v14, 0
	s_or_b64 s[4:5], s[4:5], s[8:9]
	s_or_b64 exec, exec, s[6:7]
	s_and_saveexec_b64 s[6:7], s[4:5]
	s_cbranch_execnz .LBB39_343
	s_branch .LBB39_344
.LBB39_2393:
	s_movk_i32 s4, 0x80
	v_cmp_eq_u16_sdwa s[12:13], v16, s4 src0_sel:BYTE_3 src1_sel:DWORD
	s_mov_b64 s[4:5], -1
                                        ; implicit-def: $sgpr10
	s_and_saveexec_b64 s[8:9], s[12:13]
; %bb.2394:
	s_mov_b32 s10, 0x7f800001
	s_xor_b64 s[4:5], exec, -1
; %bb.2395:
	s_or_b64 exec, exec, s[8:9]
	s_and_b64 s[4:5], s[4:5], exec
	s_or_saveexec_b64 s[6:7], s[6:7]
	v_mov_b32_e32 v10, s10
	s_xor_b64 exec, exec, s[6:7]
	s_cbranch_execz .LBB39_346
.LBB39_2396:
	v_mov_b32_e32 v10, 0
	v_cmp_ne_u16_sdwa s[8:9], v16, v10 src0_sel:BYTE_3 src1_sel:DWORD
	s_andn2_b64 s[4:5], s[4:5], exec
	s_and_b64 s[8:9], s[8:9], exec
	s_or_b64 s[4:5], s[4:5], s[8:9]
	s_or_b64 exec, exec, s[6:7]
	s_and_saveexec_b64 s[6:7], s[4:5]
	s_cbranch_execnz .LBB39_347
	s_branch .LBB39_348
.LBB39_2397:
	s_movk_i32 s4, 0x80
	v_cmp_eq_u16_sdwa s[12:13], v12, s4 src0_sel:BYTE_3 src1_sel:DWORD
	s_mov_b64 s[4:5], -1
                                        ; implicit-def: $sgpr10
	s_and_saveexec_b64 s[8:9], s[12:13]
; %bb.2398:
	s_mov_b32 s10, 0x7f800001
	s_xor_b64 s[4:5], exec, -1
; %bb.2399:
	s_or_b64 exec, exec, s[8:9]
	s_and_b64 s[4:5], s[4:5], exec
	s_or_saveexec_b64 s[6:7], s[6:7]
	v_mov_b32_e32 v11, s10
	s_xor_b64 exec, exec, s[6:7]
	s_cbranch_execz .LBB39_350
.LBB39_2400:
	v_mov_b32_e32 v11, 0
	v_cmp_ne_u16_sdwa s[8:9], v12, v11 src0_sel:BYTE_3 src1_sel:DWORD
	s_andn2_b64 s[4:5], s[4:5], exec
	s_and_b64 s[8:9], s[8:9], exec
	s_or_b64 s[4:5], s[4:5], s[8:9]
	s_or_b64 exec, exec, s[6:7]
	s_and_saveexec_b64 s[6:7], s[4:5]
	s_cbranch_execnz .LBB39_351
	s_branch .LBB39_352
.LBB39_2401:
	s_movk_i32 s4, 0x80
	v_cmp_eq_u16_sdwa s[12:13], v17, s4 src0_sel:BYTE_0 src1_sel:DWORD
	s_mov_b64 s[4:5], -1
                                        ; implicit-def: $sgpr10
	s_and_saveexec_b64 s[8:9], s[12:13]
; %bb.2402:
	s_mov_b32 s10, 0x7f800001
	s_xor_b64 s[4:5], exec, -1
; %bb.2403:
	s_or_b64 exec, exec, s[8:9]
	s_and_b64 s[4:5], s[4:5], exec
	s_or_saveexec_b64 s[6:7], s[6:7]
	v_mov_b32_e32 v10, s10
	s_xor_b64 exec, exec, s[6:7]
	s_cbranch_execz .LBB39_354
.LBB39_2404:
	v_mov_b32_e32 v10, 0
	v_cmp_ne_u16_sdwa s[8:9], v17, v10 src0_sel:BYTE_0 src1_sel:DWORD
	s_andn2_b64 s[4:5], s[4:5], exec
	s_and_b64 s[8:9], s[8:9], exec
	s_or_b64 s[4:5], s[4:5], s[8:9]
	s_or_b64 exec, exec, s[6:7]
	s_and_saveexec_b64 s[6:7], s[4:5]
	s_cbranch_execnz .LBB39_355
	s_branch .LBB39_356
.LBB39_2405:
	s_movk_i32 s4, 0x80
	v_cmp_eq_u16_sdwa s[12:13], v13, s4 src0_sel:BYTE_0 src1_sel:DWORD
	s_mov_b64 s[4:5], -1
                                        ; implicit-def: $sgpr10
	s_and_saveexec_b64 s[8:9], s[12:13]
; %bb.2406:
	s_mov_b32 s10, 0x7f800001
	s_xor_b64 s[4:5], exec, -1
; %bb.2407:
	s_or_b64 exec, exec, s[8:9]
	s_and_b64 s[4:5], s[4:5], exec
	s_or_saveexec_b64 s[6:7], s[6:7]
	v_mov_b32_e32 v11, s10
	s_xor_b64 exec, exec, s[6:7]
	s_cbranch_execz .LBB39_358
.LBB39_2408:
	v_mov_b32_e32 v11, 0
	v_cmp_ne_u16_sdwa s[8:9], v13, v11 src0_sel:BYTE_0 src1_sel:DWORD
	s_andn2_b64 s[4:5], s[4:5], exec
	s_and_b64 s[8:9], s[8:9], exec
	s_or_b64 s[4:5], s[4:5], s[8:9]
	s_or_b64 exec, exec, s[6:7]
	s_and_saveexec_b64 s[6:7], s[4:5]
	s_cbranch_execnz .LBB39_359
	s_branch .LBB39_360
.LBB39_2409:
	s_movk_i32 s4, 0x80
	v_cmp_eq_u16_sdwa s[12:13], v11, s4 src0_sel:BYTE_0 src1_sel:DWORD
	s_mov_b64 s[4:5], -1
                                        ; implicit-def: $sgpr10
	s_and_saveexec_b64 s[8:9], s[12:13]
; %bb.2410:
	s_mov_b32 s10, 0x7f800001
	s_xor_b64 s[4:5], exec, -1
; %bb.2411:
	s_or_b64 exec, exec, s[8:9]
	s_and_b64 s[4:5], s[4:5], exec
	s_or_saveexec_b64 s[6:7], s[6:7]
	v_mov_b32_e32 v10, s10
	s_xor_b64 exec, exec, s[6:7]
	s_cbranch_execz .LBB39_362
.LBB39_2412:
	v_mov_b32_e32 v10, 0
	v_cmp_ne_u16_sdwa s[8:9], v11, v10 src0_sel:BYTE_0 src1_sel:DWORD
	s_andn2_b64 s[4:5], s[4:5], exec
	s_and_b64 s[8:9], s[8:9], exec
	s_or_b64 s[4:5], s[4:5], s[8:9]
	s_or_b64 exec, exec, s[6:7]
	s_and_saveexec_b64 s[6:7], s[4:5]
	s_cbranch_execnz .LBB39_363
	s_branch .LBB39_364
.LBB39_2413:
	s_movk_i32 s4, 0x80
	v_cmp_eq_u16_sdwa s[12:13], v11, s4 src0_sel:BYTE_0 src1_sel:DWORD
	s_mov_b64 s[4:5], -1
                                        ; implicit-def: $sgpr10
	s_and_saveexec_b64 s[8:9], s[12:13]
; %bb.2414:
	s_mov_b32 s10, 0x7f800001
	s_xor_b64 s[4:5], exec, -1
; %bb.2415:
	s_or_b64 exec, exec, s[8:9]
	s_and_b64 s[4:5], s[4:5], exec
	s_or_saveexec_b64 s[6:7], s[6:7]
	v_mov_b32_e32 v12, s10
	s_xor_b64 exec, exec, s[6:7]
	s_cbranch_execz .LBB39_366
.LBB39_2416:
	v_mov_b32_e32 v12, 0
	v_cmp_ne_u16_sdwa s[8:9], v11, v12 src0_sel:BYTE_0 src1_sel:DWORD
	s_andn2_b64 s[4:5], s[4:5], exec
	s_and_b64 s[8:9], s[8:9], exec
	s_or_b64 s[4:5], s[4:5], s[8:9]
	s_or_b64 exec, exec, s[6:7]
	s_and_saveexec_b64 s[6:7], s[4:5]
	s_cbranch_execnz .LBB39_367
	s_branch .LBB39_368
.LBB39_2417:
	s_movk_i32 s4, 0x80
	v_cmp_eq_u16_e32 vcc, s4, v11
	s_mov_b64 s[4:5], -1
                                        ; implicit-def: $sgpr10
	s_and_saveexec_b64 s[8:9], vcc
; %bb.2418:
	s_mov_b32 s10, 0x7f800001
	s_xor_b64 s[4:5], exec, -1
; %bb.2419:
	s_or_b64 exec, exec, s[8:9]
	s_and_b64 s[4:5], s[4:5], exec
                                        ; implicit-def: $vgpr11
	s_or_saveexec_b64 s[6:7], s[6:7]
	v_mov_b32_e32 v10, s10
	s_xor_b64 exec, exec, s[6:7]
	s_cbranch_execz .LBB39_370
.LBB39_2420:
	v_cmp_ne_u16_e32 vcc, 0, v11
	s_andn2_b64 s[4:5], s[4:5], exec
	s_and_b64 s[8:9], vcc, exec
	v_mov_b32_e32 v10, 0
	s_or_b64 s[4:5], s[4:5], s[8:9]
	s_or_b64 exec, exec, s[6:7]
	s_and_saveexec_b64 s[6:7], s[4:5]
	s_cbranch_execnz .LBB39_371
	s_branch .LBB39_372
.LBB39_2421:
	s_movk_i32 s4, 0x80
	v_cmp_eq_u16_e32 vcc, s4, v11
	s_mov_b64 s[4:5], -1
                                        ; implicit-def: $sgpr10
	s_and_saveexec_b64 s[8:9], vcc
; %bb.2422:
	s_mov_b32 s10, 0x7f800001
	s_xor_b64 s[4:5], exec, -1
; %bb.2423:
	s_or_b64 exec, exec, s[8:9]
	s_and_b64 s[4:5], s[4:5], exec
                                        ; implicit-def: $vgpr11
	s_or_saveexec_b64 s[6:7], s[6:7]
	v_mov_b32_e32 v12, s10
	s_xor_b64 exec, exec, s[6:7]
	s_cbranch_execz .LBB39_374
.LBB39_2424:
	v_cmp_ne_u16_e32 vcc, 0, v11
	s_andn2_b64 s[4:5], s[4:5], exec
	s_and_b64 s[8:9], vcc, exec
	v_mov_b32_e32 v12, 0
	s_or_b64 s[4:5], s[4:5], s[8:9]
	s_or_b64 exec, exec, s[6:7]
	s_and_saveexec_b64 s[6:7], s[4:5]
	s_cbranch_execnz .LBB39_375
	s_branch .LBB39_376
.LBB39_2425:
	s_movk_i32 s4, 0x80
	v_cmp_eq_u16_sdwa s[12:13], v17, s4 src0_sel:BYTE_3 src1_sel:DWORD
	s_mov_b64 s[4:5], -1
                                        ; implicit-def: $sgpr10
	s_and_saveexec_b64 s[8:9], s[12:13]
; %bb.2426:
	s_mov_b32 s10, 0x7f800001
	s_xor_b64 s[4:5], exec, -1
; %bb.2427:
	s_or_b64 exec, exec, s[8:9]
	s_and_b64 s[4:5], s[4:5], exec
	s_or_saveexec_b64 s[6:7], s[6:7]
	v_mov_b32_e32 v10, s10
	s_xor_b64 exec, exec, s[6:7]
	s_cbranch_execz .LBB39_378
.LBB39_2428:
	v_mov_b32_e32 v10, 0
	v_cmp_ne_u16_sdwa s[8:9], v17, v10 src0_sel:BYTE_3 src1_sel:DWORD
	s_andn2_b64 s[4:5], s[4:5], exec
	s_and_b64 s[8:9], s[8:9], exec
	s_or_b64 s[4:5], s[4:5], s[8:9]
	s_or_b64 exec, exec, s[6:7]
	s_and_saveexec_b64 s[6:7], s[4:5]
	s_cbranch_execnz .LBB39_379
	s_branch .LBB39_380
.LBB39_2429:
	s_movk_i32 s4, 0x80
	v_cmp_eq_u16_sdwa s[12:13], v13, s4 src0_sel:BYTE_3 src1_sel:DWORD
	s_mov_b64 s[4:5], -1
                                        ; implicit-def: $sgpr10
	s_and_saveexec_b64 s[8:9], s[12:13]
; %bb.2430:
	s_mov_b32 s10, 0x7f800001
	s_xor_b64 s[4:5], exec, -1
; %bb.2431:
	s_or_b64 exec, exec, s[8:9]
	s_and_b64 s[4:5], s[4:5], exec
	s_or_saveexec_b64 s[6:7], s[6:7]
	v_mov_b32_e32 v11, s10
	s_xor_b64 exec, exec, s[6:7]
	s_cbranch_execz .LBB39_382
.LBB39_2432:
	v_mov_b32_e32 v11, 0
	v_cmp_ne_u16_sdwa s[8:9], v13, v11 src0_sel:BYTE_3 src1_sel:DWORD
	s_andn2_b64 s[4:5], s[4:5], exec
	s_and_b64 s[8:9], s[8:9], exec
	s_or_b64 s[4:5], s[4:5], s[8:9]
	s_or_b64 exec, exec, s[6:7]
	s_and_saveexec_b64 s[6:7], s[4:5]
	s_cbranch_execnz .LBB39_383
	s_branch .LBB39_384
.LBB39_2433:
	s_movk_i32 s4, 0x80
	v_cmp_eq_u16_sdwa s[12:13], v6, s4 src0_sel:BYTE_0 src1_sel:DWORD
	s_mov_b64 s[4:5], -1
                                        ; implicit-def: $sgpr10
	s_and_saveexec_b64 s[8:9], s[12:13]
; %bb.2434:
	s_mov_b32 s10, 0x7f800001
	s_xor_b64 s[4:5], exec, -1
; %bb.2435:
	s_or_b64 exec, exec, s[8:9]
	s_and_b64 s[4:5], s[4:5], exec
	s_or_saveexec_b64 s[6:7], s[6:7]
	v_mov_b32_e32 v10, s10
	s_xor_b64 exec, exec, s[6:7]
	s_cbranch_execz .LBB39_386
.LBB39_2436:
	v_mov_b32_e32 v10, 0
	v_cmp_ne_u16_sdwa s[8:9], v6, v10 src0_sel:BYTE_0 src1_sel:DWORD
	s_andn2_b64 s[4:5], s[4:5], exec
	s_and_b64 s[8:9], s[8:9], exec
	s_or_b64 s[4:5], s[4:5], s[8:9]
	s_or_b64 exec, exec, s[6:7]
	s_and_saveexec_b64 s[6:7], s[4:5]
	s_cbranch_execnz .LBB39_387
	s_branch .LBB39_388
.LBB39_2437:
	s_movk_i32 s4, 0x80
	v_cmp_eq_u16_sdwa s[12:13], v2, s4 src0_sel:BYTE_0 src1_sel:DWORD
	s_mov_b64 s[4:5], -1
                                        ; implicit-def: $sgpr10
	s_and_saveexec_b64 s[8:9], s[12:13]
; %bb.2438:
	s_mov_b32 s10, 0x7f800001
	s_xor_b64 s[4:5], exec, -1
; %bb.2439:
	s_or_b64 exec, exec, s[8:9]
	s_and_b64 s[4:5], s[4:5], exec
	s_or_saveexec_b64 s[6:7], s[6:7]
	v_mov_b32_e32 v11, s10
	s_xor_b64 exec, exec, s[6:7]
	s_cbranch_execz .LBB39_390
.LBB39_2440:
	v_mov_b32_e32 v11, 0
	v_cmp_ne_u16_sdwa s[8:9], v2, v11 src0_sel:BYTE_0 src1_sel:DWORD
	s_andn2_b64 s[4:5], s[4:5], exec
	s_and_b64 s[8:9], s[8:9], exec
	s_or_b64 s[4:5], s[4:5], s[8:9]
	s_or_b64 exec, exec, s[6:7]
	s_and_saveexec_b64 s[6:7], s[4:5]
	s_cbranch_execnz .LBB39_391
	s_branch .LBB39_392
.LBB39_2441:
	s_movk_i32 s4, 0x80
	v_cmp_eq_u16_sdwa s[12:13], v11, s4 src0_sel:BYTE_0 src1_sel:DWORD
	s_mov_b64 s[4:5], -1
                                        ; implicit-def: $sgpr10
	s_and_saveexec_b64 s[8:9], s[12:13]
; %bb.2442:
	s_mov_b32 s10, 0x7f800001
	s_xor_b64 s[4:5], exec, -1
; %bb.2443:
	s_or_b64 exec, exec, s[8:9]
	s_and_b64 s[4:5], s[4:5], exec
	s_or_saveexec_b64 s[6:7], s[6:7]
	v_mov_b32_e32 v10, s10
	s_xor_b64 exec, exec, s[6:7]
	s_cbranch_execz .LBB39_394
.LBB39_2444:
	v_mov_b32_e32 v10, 0
	v_cmp_ne_u16_sdwa s[8:9], v11, v10 src0_sel:BYTE_0 src1_sel:DWORD
	s_andn2_b64 s[4:5], s[4:5], exec
	s_and_b64 s[8:9], s[8:9], exec
	s_or_b64 s[4:5], s[4:5], s[8:9]
	s_or_b64 exec, exec, s[6:7]
	s_and_saveexec_b64 s[6:7], s[4:5]
	s_cbranch_execnz .LBB39_395
	s_branch .LBB39_396
.LBB39_2445:
	s_movk_i32 s4, 0x80
	v_cmp_eq_u16_sdwa s[12:13], v11, s4 src0_sel:BYTE_0 src1_sel:DWORD
	s_mov_b64 s[4:5], -1
                                        ; implicit-def: $sgpr10
	s_and_saveexec_b64 s[8:9], s[12:13]
; %bb.2446:
	s_mov_b32 s10, 0x7f800001
	s_xor_b64 s[4:5], exec, -1
; %bb.2447:
	s_or_b64 exec, exec, s[8:9]
	s_and_b64 s[4:5], s[4:5], exec
	s_or_saveexec_b64 s[6:7], s[6:7]
	v_mov_b32_e32 v12, s10
	s_xor_b64 exec, exec, s[6:7]
	s_cbranch_execz .LBB39_398
.LBB39_2448:
	v_mov_b32_e32 v12, 0
	v_cmp_ne_u16_sdwa s[8:9], v11, v12 src0_sel:BYTE_0 src1_sel:DWORD
	s_andn2_b64 s[4:5], s[4:5], exec
	s_and_b64 s[8:9], s[8:9], exec
	s_or_b64 s[4:5], s[4:5], s[8:9]
	s_or_b64 exec, exec, s[6:7]
	s_and_saveexec_b64 s[6:7], s[4:5]
	s_cbranch_execnz .LBB39_399
	s_branch .LBB39_400
.LBB39_2449:
	s_movk_i32 s4, 0x80
	v_cmp_eq_u16_e32 vcc, s4, v11
	s_mov_b64 s[4:5], -1
                                        ; implicit-def: $sgpr10
	s_and_saveexec_b64 s[8:9], vcc
; %bb.2450:
	s_mov_b32 s10, 0x7f800001
	s_xor_b64 s[4:5], exec, -1
; %bb.2451:
	s_or_b64 exec, exec, s[8:9]
	s_and_b64 s[4:5], s[4:5], exec
                                        ; implicit-def: $vgpr11
	s_or_saveexec_b64 s[6:7], s[6:7]
	v_mov_b32_e32 v10, s10
	s_xor_b64 exec, exec, s[6:7]
	s_cbranch_execz .LBB39_402
.LBB39_2452:
	v_cmp_ne_u16_e32 vcc, 0, v11
	s_andn2_b64 s[4:5], s[4:5], exec
	s_and_b64 s[8:9], vcc, exec
	v_mov_b32_e32 v10, 0
	s_or_b64 s[4:5], s[4:5], s[8:9]
	s_or_b64 exec, exec, s[6:7]
	s_and_saveexec_b64 s[6:7], s[4:5]
	s_cbranch_execnz .LBB39_403
	s_branch .LBB39_404
.LBB39_2453:
	s_movk_i32 s4, 0x80
	v_cmp_eq_u16_e32 vcc, s4, v11
	s_mov_b64 s[4:5], -1
                                        ; implicit-def: $sgpr10
	s_and_saveexec_b64 s[8:9], vcc
; %bb.2454:
	s_mov_b32 s10, 0x7f800001
	s_xor_b64 s[4:5], exec, -1
; %bb.2455:
	s_or_b64 exec, exec, s[8:9]
	s_and_b64 s[4:5], s[4:5], exec
                                        ; implicit-def: $vgpr11
	s_or_saveexec_b64 s[6:7], s[6:7]
	v_mov_b32_e32 v12, s10
	s_xor_b64 exec, exec, s[6:7]
	s_cbranch_execz .LBB39_406
.LBB39_2456:
	v_cmp_ne_u16_e32 vcc, 0, v11
	s_andn2_b64 s[4:5], s[4:5], exec
	s_and_b64 s[8:9], vcc, exec
	v_mov_b32_e32 v12, 0
	s_or_b64 s[4:5], s[4:5], s[8:9]
	s_or_b64 exec, exec, s[6:7]
	s_and_saveexec_b64 s[6:7], s[4:5]
	s_cbranch_execnz .LBB39_407
	s_branch .LBB39_408
.LBB39_2457:
	s_movk_i32 s4, 0x80
	v_cmp_eq_u16_sdwa s[12:13], v6, s4 src0_sel:BYTE_3 src1_sel:DWORD
	s_mov_b64 s[4:5], -1
                                        ; implicit-def: $sgpr10
	s_and_saveexec_b64 s[8:9], s[12:13]
; %bb.2458:
	s_mov_b32 s10, 0x7f800001
	s_xor_b64 s[4:5], exec, -1
; %bb.2459:
	s_or_b64 exec, exec, s[8:9]
	s_and_b64 s[4:5], s[4:5], exec
	s_or_saveexec_b64 s[6:7], s[6:7]
	v_mov_b32_e32 v10, s10
	s_xor_b64 exec, exec, s[6:7]
	s_cbranch_execz .LBB39_410
.LBB39_2460:
	v_mov_b32_e32 v10, 0
	v_cmp_ne_u16_sdwa s[8:9], v6, v10 src0_sel:BYTE_3 src1_sel:DWORD
	s_andn2_b64 s[4:5], s[4:5], exec
	s_and_b64 s[8:9], s[8:9], exec
	s_or_b64 s[4:5], s[4:5], s[8:9]
	s_or_b64 exec, exec, s[6:7]
	s_and_saveexec_b64 s[6:7], s[4:5]
	s_cbranch_execnz .LBB39_411
	s_branch .LBB39_412
.LBB39_2461:
	s_movk_i32 s4, 0x80
	v_cmp_eq_u16_sdwa s[12:13], v2, s4 src0_sel:BYTE_3 src1_sel:DWORD
	s_mov_b64 s[4:5], -1
                                        ; implicit-def: $sgpr10
	s_and_saveexec_b64 s[8:9], s[12:13]
; %bb.2462:
	s_mov_b32 s10, 0x7f800001
	s_xor_b64 s[4:5], exec, -1
; %bb.2463:
	s_or_b64 exec, exec, s[8:9]
	s_and_b64 s[4:5], s[4:5], exec
	s_or_saveexec_b64 s[6:7], s[6:7]
	v_mov_b32_e32 v6, s10
	s_xor_b64 exec, exec, s[6:7]
	s_cbranch_execz .LBB39_414
.LBB39_2464:
	v_mov_b32_e32 v6, 0
	v_cmp_ne_u16_sdwa s[8:9], v2, v6 src0_sel:BYTE_3 src1_sel:DWORD
	s_andn2_b64 s[4:5], s[4:5], exec
	s_and_b64 s[8:9], s[8:9], exec
	s_or_b64 s[4:5], s[4:5], s[8:9]
	s_or_b64 exec, exec, s[6:7]
	s_and_saveexec_b64 s[6:7], s[4:5]
	s_cbranch_execnz .LBB39_415
	s_branch .LBB39_416
.LBB39_2465:
	s_movk_i32 s4, 0x80
	v_cmp_eq_u16_sdwa s[12:13], v7, s4 src0_sel:BYTE_0 src1_sel:DWORD
	s_mov_b64 s[4:5], -1
                                        ; implicit-def: $sgpr10
	s_and_saveexec_b64 s[8:9], s[12:13]
; %bb.2466:
	s_mov_b32 s10, 0x7f800001
	s_xor_b64 s[4:5], exec, -1
; %bb.2467:
	s_or_b64 exec, exec, s[8:9]
	s_and_b64 s[4:5], s[4:5], exec
	s_or_saveexec_b64 s[6:7], s[6:7]
	v_mov_b32_e32 v2, s10
	s_xor_b64 exec, exec, s[6:7]
	s_cbranch_execz .LBB39_418
.LBB39_2468:
	v_mov_b32_e32 v2, 0
	v_cmp_ne_u16_sdwa s[8:9], v7, v2 src0_sel:BYTE_0 src1_sel:DWORD
	s_andn2_b64 s[4:5], s[4:5], exec
	s_and_b64 s[8:9], s[8:9], exec
	s_or_b64 s[4:5], s[4:5], s[8:9]
	s_or_b64 exec, exec, s[6:7]
	s_and_saveexec_b64 s[6:7], s[4:5]
	s_cbranch_execnz .LBB39_419
	s_branch .LBB39_420
.LBB39_2469:
	s_movk_i32 s4, 0x80
	v_cmp_eq_u16_sdwa s[12:13], v3, s4 src0_sel:BYTE_0 src1_sel:DWORD
	s_mov_b64 s[4:5], -1
                                        ; implicit-def: $sgpr10
	s_and_saveexec_b64 s[8:9], s[12:13]
; %bb.2470:
	s_mov_b32 s10, 0x7f800001
	s_xor_b64 s[4:5], exec, -1
; %bb.2471:
	s_or_b64 exec, exec, s[8:9]
	s_and_b64 s[4:5], s[4:5], exec
	s_or_saveexec_b64 s[6:7], s[6:7]
	v_mov_b32_e32 v6, s10
	s_xor_b64 exec, exec, s[6:7]
	s_cbranch_execz .LBB39_422
.LBB39_2472:
	v_mov_b32_e32 v6, 0
	v_cmp_ne_u16_sdwa s[8:9], v3, v6 src0_sel:BYTE_0 src1_sel:DWORD
	s_andn2_b64 s[4:5], s[4:5], exec
	s_and_b64 s[8:9], s[8:9], exec
	s_or_b64 s[4:5], s[4:5], s[8:9]
	s_or_b64 exec, exec, s[6:7]
	s_and_saveexec_b64 s[6:7], s[4:5]
	s_cbranch_execnz .LBB39_423
	s_branch .LBB39_424
.LBB39_2473:
	s_movk_i32 s4, 0x80
	v_cmp_eq_u16_sdwa s[12:13], v6, s4 src0_sel:BYTE_0 src1_sel:DWORD
	s_mov_b64 s[4:5], -1
                                        ; implicit-def: $sgpr10
	s_and_saveexec_b64 s[8:9], s[12:13]
; %bb.2474:
	s_mov_b32 s10, 0x7f800001
	s_xor_b64 s[4:5], exec, -1
; %bb.2475:
	s_or_b64 exec, exec, s[8:9]
	s_and_b64 s[4:5], s[4:5], exec
	s_or_saveexec_b64 s[6:7], s[6:7]
	v_mov_b32_e32 v2, s10
	s_xor_b64 exec, exec, s[6:7]
	s_cbranch_execz .LBB39_426
.LBB39_2476:
	v_mov_b32_e32 v2, 0
	v_cmp_ne_u16_sdwa s[8:9], v6, v2 src0_sel:BYTE_0 src1_sel:DWORD
	s_andn2_b64 s[4:5], s[4:5], exec
	s_and_b64 s[8:9], s[8:9], exec
	s_or_b64 s[4:5], s[4:5], s[8:9]
	s_or_b64 exec, exec, s[6:7]
	s_and_saveexec_b64 s[6:7], s[4:5]
	s_cbranch_execnz .LBB39_427
	s_branch .LBB39_428
.LBB39_2477:
	s_movk_i32 s4, 0x80
	v_cmp_eq_u16_sdwa s[12:13], v6, s4 src0_sel:BYTE_0 src1_sel:DWORD
	s_mov_b64 s[4:5], -1
                                        ; implicit-def: $sgpr10
	s_and_saveexec_b64 s[8:9], s[12:13]
; %bb.2478:
	s_mov_b32 s10, 0x7f800001
	s_xor_b64 s[4:5], exec, -1
; %bb.2479:
	s_or_b64 exec, exec, s[8:9]
	s_and_b64 s[4:5], s[4:5], exec
	s_or_saveexec_b64 s[6:7], s[6:7]
	v_mov_b32_e32 v10, s10
	s_xor_b64 exec, exec, s[6:7]
	s_cbranch_execz .LBB39_430
.LBB39_2480:
	v_mov_b32_e32 v10, 0
	v_cmp_ne_u16_sdwa s[8:9], v6, v10 src0_sel:BYTE_0 src1_sel:DWORD
	s_andn2_b64 s[4:5], s[4:5], exec
	s_and_b64 s[8:9], s[8:9], exec
	s_or_b64 s[4:5], s[4:5], s[8:9]
	s_or_b64 exec, exec, s[6:7]
	s_and_saveexec_b64 s[6:7], s[4:5]
	s_cbranch_execnz .LBB39_431
	s_branch .LBB39_432
.LBB39_2481:
	s_movk_i32 s4, 0x80
	v_cmp_eq_u16_e32 vcc, s4, v6
	s_mov_b64 s[4:5], -1
                                        ; implicit-def: $sgpr10
	s_and_saveexec_b64 s[8:9], vcc
; %bb.2482:
	s_mov_b32 s10, 0x7f800001
	s_xor_b64 s[4:5], exec, -1
; %bb.2483:
	s_or_b64 exec, exec, s[8:9]
	s_and_b64 s[4:5], s[4:5], exec
                                        ; implicit-def: $vgpr6
	s_or_saveexec_b64 s[6:7], s[6:7]
	v_mov_b32_e32 v2, s10
	s_xor_b64 exec, exec, s[6:7]
	s_cbranch_execz .LBB39_434
.LBB39_2484:
	v_cmp_ne_u16_e32 vcc, 0, v6
	s_andn2_b64 s[4:5], s[4:5], exec
	s_and_b64 s[8:9], vcc, exec
	v_mov_b32_e32 v2, 0
	s_or_b64 s[4:5], s[4:5], s[8:9]
	s_or_b64 exec, exec, s[6:7]
	s_and_saveexec_b64 s[6:7], s[4:5]
	s_cbranch_execnz .LBB39_435
	s_branch .LBB39_436
.LBB39_2485:
	s_movk_i32 s4, 0x80
	v_cmp_eq_u16_e32 vcc, s4, v6
	s_mov_b64 s[4:5], -1
                                        ; implicit-def: $sgpr10
	s_and_saveexec_b64 s[8:9], vcc
; %bb.2486:
	s_mov_b32 s10, 0x7f800001
	s_xor_b64 s[4:5], exec, -1
; %bb.2487:
	s_or_b64 exec, exec, s[8:9]
	s_and_b64 s[4:5], s[4:5], exec
                                        ; implicit-def: $vgpr6
	s_or_saveexec_b64 s[6:7], s[6:7]
	v_mov_b32_e32 v10, s10
	s_xor_b64 exec, exec, s[6:7]
	s_cbranch_execz .LBB39_438
.LBB39_2488:
	v_cmp_ne_u16_e32 vcc, 0, v6
	s_andn2_b64 s[4:5], s[4:5], exec
	s_and_b64 s[8:9], vcc, exec
	v_mov_b32_e32 v10, 0
	s_or_b64 s[4:5], s[4:5], s[8:9]
	s_or_b64 exec, exec, s[6:7]
	s_and_saveexec_b64 s[6:7], s[4:5]
	s_cbranch_execnz .LBB39_439
	s_branch .LBB39_440
.LBB39_2489:
	s_movk_i32 s4, 0x80
	v_cmp_eq_u16_sdwa s[12:13], v7, s4 src0_sel:BYTE_3 src1_sel:DWORD
	s_mov_b64 s[4:5], -1
                                        ; implicit-def: $sgpr10
	s_and_saveexec_b64 s[8:9], s[12:13]
; %bb.2490:
	s_mov_b32 s10, 0x7f800001
	s_xor_b64 s[4:5], exec, -1
; %bb.2491:
	s_or_b64 exec, exec, s[8:9]
	s_and_b64 s[4:5], s[4:5], exec
	s_or_saveexec_b64 s[6:7], s[6:7]
	v_mov_b32_e32 v2, s10
	s_xor_b64 exec, exec, s[6:7]
	s_cbranch_execz .LBB39_442
.LBB39_2492:
	v_mov_b32_e32 v2, 0
	v_cmp_ne_u16_sdwa s[8:9], v7, v2 src0_sel:BYTE_3 src1_sel:DWORD
	s_andn2_b64 s[4:5], s[4:5], exec
	s_and_b64 s[8:9], s[8:9], exec
	s_or_b64 s[4:5], s[4:5], s[8:9]
	s_or_b64 exec, exec, s[6:7]
	s_and_saveexec_b64 s[6:7], s[4:5]
	s_cbranch_execnz .LBB39_443
	s_branch .LBB39_444
.LBB39_2493:
	s_movk_i32 s4, 0x80
	v_cmp_eq_u16_sdwa s[12:13], v3, s4 src0_sel:BYTE_3 src1_sel:DWORD
	s_mov_b64 s[4:5], -1
                                        ; implicit-def: $sgpr10
	s_and_saveexec_b64 s[8:9], s[12:13]
; %bb.2494:
	s_mov_b32 s10, 0x7f800001
	s_xor_b64 s[4:5], exec, -1
; %bb.2495:
	s_or_b64 exec, exec, s[8:9]
	s_and_b64 s[4:5], s[4:5], exec
	s_or_saveexec_b64 s[6:7], s[6:7]
	v_mov_b32_e32 v6, s10
	s_xor_b64 exec, exec, s[6:7]
	s_cbranch_execz .LBB39_446
.LBB39_2496:
	v_mov_b32_e32 v6, 0
	v_cmp_ne_u16_sdwa s[8:9], v3, v6 src0_sel:BYTE_3 src1_sel:DWORD
	s_andn2_b64 s[4:5], s[4:5], exec
	s_and_b64 s[8:9], s[8:9], exec
	s_or_b64 s[4:5], s[4:5], s[8:9]
	s_or_b64 exec, exec, s[6:7]
	s_and_saveexec_b64 s[6:7], s[4:5]
	s_cbranch_execnz .LBB39_447
	s_branch .LBB39_448
.LBB39_2497:
	s_movk_i32 s4, 0x80
	v_cmp_eq_u16_sdwa s[12:13], v8, s4 src0_sel:BYTE_0 src1_sel:DWORD
	s_mov_b64 s[4:5], -1
                                        ; implicit-def: $sgpr10
	s_and_saveexec_b64 s[8:9], s[12:13]
; %bb.2498:
	s_mov_b32 s10, 0x7f800001
	s_xor_b64 s[4:5], exec, -1
; %bb.2499:
	s_or_b64 exec, exec, s[8:9]
	s_and_b64 s[4:5], s[4:5], exec
	s_or_saveexec_b64 s[6:7], s[6:7]
	v_mov_b32_e32 v2, s10
	s_xor_b64 exec, exec, s[6:7]
	s_cbranch_execz .LBB39_450
.LBB39_2500:
	v_mov_b32_e32 v2, 0
	v_cmp_ne_u16_sdwa s[8:9], v8, v2 src0_sel:BYTE_0 src1_sel:DWORD
	s_andn2_b64 s[4:5], s[4:5], exec
	s_and_b64 s[8:9], s[8:9], exec
	s_or_b64 s[4:5], s[4:5], s[8:9]
	s_or_b64 exec, exec, s[6:7]
	s_and_saveexec_b64 s[6:7], s[4:5]
	s_cbranch_execnz .LBB39_451
	s_branch .LBB39_452
.LBB39_2501:
	s_movk_i32 s4, 0x80
	v_cmp_eq_u16_sdwa s[12:13], v4, s4 src0_sel:BYTE_0 src1_sel:DWORD
	s_mov_b64 s[4:5], -1
                                        ; implicit-def: $sgpr10
	s_and_saveexec_b64 s[8:9], s[12:13]
; %bb.2502:
	s_mov_b32 s10, 0x7f800001
	s_xor_b64 s[4:5], exec, -1
; %bb.2503:
	s_or_b64 exec, exec, s[8:9]
	s_and_b64 s[4:5], s[4:5], exec
	s_or_saveexec_b64 s[6:7], s[6:7]
	v_mov_b32_e32 v3, s10
	s_xor_b64 exec, exec, s[6:7]
	s_cbranch_execz .LBB39_454
.LBB39_2504:
	v_mov_b32_e32 v3, 0
	v_cmp_ne_u16_sdwa s[8:9], v4, v3 src0_sel:BYTE_0 src1_sel:DWORD
	s_andn2_b64 s[4:5], s[4:5], exec
	s_and_b64 s[8:9], s[8:9], exec
	s_or_b64 s[4:5], s[4:5], s[8:9]
	s_or_b64 exec, exec, s[6:7]
	s_and_saveexec_b64 s[6:7], s[4:5]
	s_cbranch_execnz .LBB39_455
	s_branch .LBB39_456
.LBB39_2505:
	s_movk_i32 s4, 0x80
	v_cmp_eq_u16_sdwa s[12:13], v3, s4 src0_sel:BYTE_0 src1_sel:DWORD
	s_mov_b64 s[4:5], -1
                                        ; implicit-def: $sgpr10
	s_and_saveexec_b64 s[8:9], s[12:13]
; %bb.2506:
	s_mov_b32 s10, 0x7f800001
	s_xor_b64 s[4:5], exec, -1
; %bb.2507:
	s_or_b64 exec, exec, s[8:9]
	s_and_b64 s[4:5], s[4:5], exec
	s_or_saveexec_b64 s[6:7], s[6:7]
	v_mov_b32_e32 v2, s10
	s_xor_b64 exec, exec, s[6:7]
	s_cbranch_execz .LBB39_458
.LBB39_2508:
	v_mov_b32_e32 v2, 0
	v_cmp_ne_u16_sdwa s[8:9], v3, v2 src0_sel:BYTE_0 src1_sel:DWORD
	s_andn2_b64 s[4:5], s[4:5], exec
	s_and_b64 s[8:9], s[8:9], exec
	s_or_b64 s[4:5], s[4:5], s[8:9]
	s_or_b64 exec, exec, s[6:7]
	s_and_saveexec_b64 s[6:7], s[4:5]
	s_cbranch_execnz .LBB39_459
	s_branch .LBB39_460
.LBB39_2509:
	s_movk_i32 s4, 0x80
	v_cmp_eq_u16_sdwa s[12:13], v3, s4 src0_sel:BYTE_0 src1_sel:DWORD
	s_mov_b64 s[4:5], -1
                                        ; implicit-def: $sgpr10
	s_and_saveexec_b64 s[8:9], s[12:13]
; %bb.2510:
	s_mov_b32 s10, 0x7f800001
	s_xor_b64 s[4:5], exec, -1
; %bb.2511:
	s_or_b64 exec, exec, s[8:9]
	s_and_b64 s[4:5], s[4:5], exec
	s_or_saveexec_b64 s[6:7], s[6:7]
	v_mov_b32_e32 v6, s10
	s_xor_b64 exec, exec, s[6:7]
	s_cbranch_execz .LBB39_462
.LBB39_2512:
	v_mov_b32_e32 v6, 0
	v_cmp_ne_u16_sdwa s[8:9], v3, v6 src0_sel:BYTE_0 src1_sel:DWORD
	s_andn2_b64 s[4:5], s[4:5], exec
	s_and_b64 s[8:9], s[8:9], exec
	s_or_b64 s[4:5], s[4:5], s[8:9]
	s_or_b64 exec, exec, s[6:7]
	s_and_saveexec_b64 s[6:7], s[4:5]
	s_cbranch_execnz .LBB39_463
	s_branch .LBB39_464
.LBB39_2513:
	s_movk_i32 s4, 0x80
	v_cmp_eq_u16_e32 vcc, s4, v3
	s_mov_b64 s[4:5], -1
                                        ; implicit-def: $sgpr10
	s_and_saveexec_b64 s[8:9], vcc
; %bb.2514:
	s_mov_b32 s10, 0x7f800001
	s_xor_b64 s[4:5], exec, -1
; %bb.2515:
	s_or_b64 exec, exec, s[8:9]
	s_and_b64 s[4:5], s[4:5], exec
                                        ; implicit-def: $vgpr3
	s_or_saveexec_b64 s[6:7], s[6:7]
	v_mov_b32_e32 v2, s10
	s_xor_b64 exec, exec, s[6:7]
	s_cbranch_execz .LBB39_466
.LBB39_2516:
	v_cmp_ne_u16_e32 vcc, 0, v3
	s_andn2_b64 s[4:5], s[4:5], exec
	s_and_b64 s[8:9], vcc, exec
	v_mov_b32_e32 v2, 0
	s_or_b64 s[4:5], s[4:5], s[8:9]
	s_or_b64 exec, exec, s[6:7]
	s_and_saveexec_b64 s[6:7], s[4:5]
	s_cbranch_execnz .LBB39_467
	s_branch .LBB39_468
.LBB39_2517:
	s_movk_i32 s4, 0x80
	v_cmp_eq_u16_e32 vcc, s4, v3
	s_mov_b64 s[4:5], -1
                                        ; implicit-def: $sgpr10
	s_and_saveexec_b64 s[8:9], vcc
; %bb.2518:
	s_mov_b32 s10, 0x7f800001
	s_xor_b64 s[4:5], exec, -1
; %bb.2519:
	s_or_b64 exec, exec, s[8:9]
	s_and_b64 s[4:5], s[4:5], exec
                                        ; implicit-def: $vgpr3
	s_or_saveexec_b64 s[6:7], s[6:7]
	v_mov_b32_e32 v6, s10
	s_xor_b64 exec, exec, s[6:7]
	s_cbranch_execz .LBB39_470
.LBB39_2520:
	v_cmp_ne_u16_e32 vcc, 0, v3
	s_andn2_b64 s[4:5], s[4:5], exec
	s_and_b64 s[8:9], vcc, exec
	v_mov_b32_e32 v6, 0
	s_or_b64 s[4:5], s[4:5], s[8:9]
	s_or_b64 exec, exec, s[6:7]
	s_and_saveexec_b64 s[6:7], s[4:5]
	s_cbranch_execnz .LBB39_471
	s_branch .LBB39_472
.LBB39_2521:
	s_movk_i32 s4, 0x80
	v_cmp_eq_u16_sdwa s[12:13], v8, s4 src0_sel:BYTE_3 src1_sel:DWORD
	s_mov_b64 s[4:5], -1
                                        ; implicit-def: $sgpr10
	s_and_saveexec_b64 s[8:9], s[12:13]
; %bb.2522:
	s_mov_b32 s10, 0x7f800001
	s_xor_b64 s[4:5], exec, -1
; %bb.2523:
	s_or_b64 exec, exec, s[8:9]
	s_and_b64 s[4:5], s[4:5], exec
	s_or_saveexec_b64 s[6:7], s[6:7]
	v_mov_b32_e32 v2, s10
	s_xor_b64 exec, exec, s[6:7]
	s_cbranch_execz .LBB39_474
.LBB39_2524:
	v_mov_b32_e32 v2, 0
	v_cmp_ne_u16_sdwa s[8:9], v8, v2 src0_sel:BYTE_3 src1_sel:DWORD
	s_andn2_b64 s[4:5], s[4:5], exec
	s_and_b64 s[8:9], s[8:9], exec
	s_or_b64 s[4:5], s[4:5], s[8:9]
	s_or_b64 exec, exec, s[6:7]
	s_and_saveexec_b64 s[6:7], s[4:5]
	s_cbranch_execnz .LBB39_475
	s_branch .LBB39_476
.LBB39_2525:
	s_movk_i32 s4, 0x80
	v_cmp_eq_u16_sdwa s[12:13], v4, s4 src0_sel:BYTE_3 src1_sel:DWORD
	s_mov_b64 s[4:5], -1
                                        ; implicit-def: $sgpr10
	s_and_saveexec_b64 s[8:9], s[12:13]
; %bb.2526:
	s_mov_b32 s10, 0x7f800001
	s_xor_b64 s[4:5], exec, -1
; %bb.2527:
	s_or_b64 exec, exec, s[8:9]
	s_and_b64 s[4:5], s[4:5], exec
	s_or_saveexec_b64 s[6:7], s[6:7]
	v_mov_b32_e32 v3, s10
	s_xor_b64 exec, exec, s[6:7]
	s_cbranch_execz .LBB39_478
.LBB39_2528:
	v_mov_b32_e32 v3, 0
	v_cmp_ne_u16_sdwa s[8:9], v4, v3 src0_sel:BYTE_3 src1_sel:DWORD
	s_andn2_b64 s[4:5], s[4:5], exec
	s_and_b64 s[8:9], s[8:9], exec
	s_or_b64 s[4:5], s[4:5], s[8:9]
	s_or_b64 exec, exec, s[6:7]
	s_and_saveexec_b64 s[6:7], s[4:5]
	s_cbranch_execnz .LBB39_479
	s_branch .LBB39_480
.LBB39_2529:
	s_movk_i32 s4, 0x80
	v_cmp_eq_u16_sdwa s[12:13], v9, s4 src0_sel:BYTE_0 src1_sel:DWORD
	s_mov_b64 s[4:5], -1
                                        ; implicit-def: $sgpr10
	s_and_saveexec_b64 s[8:9], s[12:13]
; %bb.2530:
	s_mov_b32 s10, 0x7f800001
	s_xor_b64 s[4:5], exec, -1
; %bb.2531:
	s_or_b64 exec, exec, s[8:9]
	s_and_b64 s[4:5], s[4:5], exec
	s_or_saveexec_b64 s[6:7], s[6:7]
	v_mov_b32_e32 v2, s10
	s_xor_b64 exec, exec, s[6:7]
	s_cbranch_execz .LBB39_482
.LBB39_2532:
	v_mov_b32_e32 v2, 0
	v_cmp_ne_u16_sdwa s[8:9], v9, v2 src0_sel:BYTE_0 src1_sel:DWORD
	s_andn2_b64 s[4:5], s[4:5], exec
	s_and_b64 s[8:9], s[8:9], exec
	s_or_b64 s[4:5], s[4:5], s[8:9]
	s_or_b64 exec, exec, s[6:7]
	s_and_saveexec_b64 s[6:7], s[4:5]
	s_cbranch_execnz .LBB39_483
	s_branch .LBB39_484
.LBB39_2533:
	s_movk_i32 s4, 0x80
	v_cmp_eq_u16_sdwa s[12:13], v5, s4 src0_sel:BYTE_0 src1_sel:DWORD
	s_mov_b64 s[4:5], -1
                                        ; implicit-def: $sgpr10
	s_and_saveexec_b64 s[8:9], s[12:13]
; %bb.2534:
	s_mov_b32 s10, 0x7f800001
	s_xor_b64 s[4:5], exec, -1
; %bb.2535:
	s_or_b64 exec, exec, s[8:9]
	s_and_b64 s[4:5], s[4:5], exec
	s_or_saveexec_b64 s[6:7], s[6:7]
	v_mov_b32_e32 v3, s10
	s_xor_b64 exec, exec, s[6:7]
	s_cbranch_execz .LBB39_486
.LBB39_2536:
	v_mov_b32_e32 v3, 0
	v_cmp_ne_u16_sdwa s[8:9], v5, v3 src0_sel:BYTE_0 src1_sel:DWORD
	s_andn2_b64 s[4:5], s[4:5], exec
	s_and_b64 s[8:9], s[8:9], exec
	s_or_b64 s[4:5], s[4:5], s[8:9]
	s_or_b64 exec, exec, s[6:7]
	s_and_saveexec_b64 s[6:7], s[4:5]
	s_cbranch_execnz .LBB39_487
	s_branch .LBB39_488
.LBB39_2537:
	s_movk_i32 s4, 0x80
	v_cmp_eq_u16_sdwa s[12:13], v3, s4 src0_sel:BYTE_0 src1_sel:DWORD
	s_mov_b64 s[4:5], -1
                                        ; implicit-def: $sgpr10
	s_and_saveexec_b64 s[8:9], s[12:13]
; %bb.2538:
	s_mov_b32 s10, 0x7f800001
	s_xor_b64 s[4:5], exec, -1
; %bb.2539:
	s_or_b64 exec, exec, s[8:9]
	s_and_b64 s[4:5], s[4:5], exec
	s_or_saveexec_b64 s[6:7], s[6:7]
	v_mov_b32_e32 v2, s10
	s_xor_b64 exec, exec, s[6:7]
	s_cbranch_execz .LBB39_490
.LBB39_2540:
	v_mov_b32_e32 v2, 0
	v_cmp_ne_u16_sdwa s[8:9], v3, v2 src0_sel:BYTE_0 src1_sel:DWORD
	s_andn2_b64 s[4:5], s[4:5], exec
	s_and_b64 s[8:9], s[8:9], exec
	s_or_b64 s[4:5], s[4:5], s[8:9]
	s_or_b64 exec, exec, s[6:7]
	s_and_saveexec_b64 s[6:7], s[4:5]
	s_cbranch_execnz .LBB39_491
	s_branch .LBB39_492
.LBB39_2541:
	s_movk_i32 s4, 0x80
	v_cmp_eq_u16_sdwa s[12:13], v3, s4 src0_sel:BYTE_0 src1_sel:DWORD
	s_mov_b64 s[4:5], -1
                                        ; implicit-def: $sgpr10
	s_and_saveexec_b64 s[8:9], s[12:13]
; %bb.2542:
	s_mov_b32 s10, 0x7f800001
	s_xor_b64 s[4:5], exec, -1
; %bb.2543:
	s_or_b64 exec, exec, s[8:9]
	s_and_b64 s[4:5], s[4:5], exec
	s_or_saveexec_b64 s[6:7], s[6:7]
	v_mov_b32_e32 v4, s10
	s_xor_b64 exec, exec, s[6:7]
	s_cbranch_execz .LBB39_494
.LBB39_2544:
	v_mov_b32_e32 v4, 0
	v_cmp_ne_u16_sdwa s[8:9], v3, v4 src0_sel:BYTE_0 src1_sel:DWORD
	s_andn2_b64 s[4:5], s[4:5], exec
	s_and_b64 s[8:9], s[8:9], exec
	s_or_b64 s[4:5], s[4:5], s[8:9]
	s_or_b64 exec, exec, s[6:7]
	s_and_saveexec_b64 s[6:7], s[4:5]
	s_cbranch_execnz .LBB39_495
	s_branch .LBB39_496
.LBB39_2545:
	s_movk_i32 s4, 0x80
	v_cmp_eq_u16_e32 vcc, s4, v3
	s_mov_b64 s[4:5], -1
                                        ; implicit-def: $sgpr10
	s_and_saveexec_b64 s[8:9], vcc
; %bb.2546:
	s_mov_b32 s10, 0x7f800001
	s_xor_b64 s[4:5], exec, -1
; %bb.2547:
	s_or_b64 exec, exec, s[8:9]
	s_and_b64 s[4:5], s[4:5], exec
                                        ; implicit-def: $vgpr3
	s_or_saveexec_b64 s[6:7], s[6:7]
	v_mov_b32_e32 v2, s10
	s_xor_b64 exec, exec, s[6:7]
	s_cbranch_execz .LBB39_498
.LBB39_2548:
	v_cmp_ne_u16_e32 vcc, 0, v3
	s_andn2_b64 s[4:5], s[4:5], exec
	s_and_b64 s[8:9], vcc, exec
	v_mov_b32_e32 v2, 0
	s_or_b64 s[4:5], s[4:5], s[8:9]
	s_or_b64 exec, exec, s[6:7]
	s_and_saveexec_b64 s[6:7], s[4:5]
	s_cbranch_execnz .LBB39_499
	s_branch .LBB39_500
.LBB39_2549:
	s_movk_i32 s4, 0x80
	v_cmp_eq_u16_e32 vcc, s4, v3
	s_mov_b64 s[4:5], -1
                                        ; implicit-def: $sgpr10
	s_and_saveexec_b64 s[8:9], vcc
; %bb.2550:
	s_mov_b32 s10, 0x7f800001
	s_xor_b64 s[4:5], exec, -1
; %bb.2551:
	s_or_b64 exec, exec, s[8:9]
	s_and_b64 s[4:5], s[4:5], exec
                                        ; implicit-def: $vgpr3
	s_or_saveexec_b64 s[6:7], s[6:7]
	v_mov_b32_e32 v4, s10
	s_xor_b64 exec, exec, s[6:7]
	s_cbranch_execz .LBB39_502
.LBB39_2552:
	v_cmp_ne_u16_e32 vcc, 0, v3
	s_andn2_b64 s[4:5], s[4:5], exec
	s_and_b64 s[8:9], vcc, exec
	v_mov_b32_e32 v4, 0
	s_or_b64 s[4:5], s[4:5], s[8:9]
	s_or_b64 exec, exec, s[6:7]
	s_and_saveexec_b64 s[6:7], s[4:5]
	s_cbranch_execnz .LBB39_503
	s_branch .LBB39_504
.LBB39_2553:
	s_movk_i32 s4, 0x80
	v_cmp_eq_u16_sdwa s[12:13], v9, s4 src0_sel:BYTE_3 src1_sel:DWORD
	s_mov_b64 s[4:5], -1
                                        ; implicit-def: $sgpr10
	s_and_saveexec_b64 s[8:9], s[12:13]
; %bb.2554:
	s_mov_b32 s10, 0x7f800001
	s_xor_b64 s[4:5], exec, -1
; %bb.2555:
	s_or_b64 exec, exec, s[8:9]
	s_and_b64 s[4:5], s[4:5], exec
	s_or_saveexec_b64 s[6:7], s[6:7]
	v_mov_b32_e32 v2, s10
	s_xor_b64 exec, exec, s[6:7]
	s_cbranch_execz .LBB39_506
.LBB39_2556:
	v_mov_b32_e32 v2, 0
	v_cmp_ne_u16_sdwa s[8:9], v9, v2 src0_sel:BYTE_3 src1_sel:DWORD
	s_andn2_b64 s[4:5], s[4:5], exec
	s_and_b64 s[8:9], s[8:9], exec
	s_or_b64 s[4:5], s[4:5], s[8:9]
	s_or_b64 exec, exec, s[6:7]
	s_and_saveexec_b64 s[6:7], s[4:5]
	s_cbranch_execnz .LBB39_507
	s_branch .LBB39_508
.LBB39_2557:
	s_movk_i32 s4, 0x80
	v_cmp_eq_u16_sdwa s[12:13], v5, s4 src0_sel:BYTE_3 src1_sel:DWORD
	s_mov_b64 s[4:5], -1
                                        ; implicit-def: $sgpr10
	s_and_saveexec_b64 s[8:9], s[12:13]
; %bb.2558:
	s_mov_b32 s10, 0x7f800001
	s_xor_b64 s[4:5], exec, -1
; %bb.2559:
	s_or_b64 exec, exec, s[8:9]
	s_and_b64 s[4:5], s[4:5], exec
	s_or_saveexec_b64 s[6:7], s[6:7]
	v_mov_b32_e32 v3, s10
	s_xor_b64 exec, exec, s[6:7]
	s_cbranch_execz .LBB39_510
.LBB39_2560:
	v_mov_b32_e32 v3, 0
	v_cmp_ne_u16_sdwa s[8:9], v5, v3 src0_sel:BYTE_3 src1_sel:DWORD
	s_andn2_b64 s[4:5], s[4:5], exec
	s_and_b64 s[8:9], s[8:9], exec
	s_or_b64 s[4:5], s[4:5], s[8:9]
	s_or_b64 exec, exec, s[6:7]
	s_and_saveexec_b64 s[6:7], s[4:5]
	s_cbranch_execnz .LBB39_511
	s_branch .LBB39_512
.LBB39_2561:
	s_movk_i32 s4, 0x80
	v_cmp_eq_u16_sdwa s[12:13], v14, s4 src0_sel:BYTE_0 src1_sel:DWORD
	s_mov_b64 s[4:5], -1
                                        ; implicit-def: $sgpr10
	s_and_saveexec_b64 s[8:9], s[12:13]
; %bb.2562:
	s_mov_b32 s10, 0x7f800001
	s_xor_b64 s[4:5], exec, -1
; %bb.2563:
	s_or_b64 exec, exec, s[8:9]
	s_and_b64 s[4:5], s[4:5], exec
	s_or_saveexec_b64 s[6:7], s[6:7]
	v_mov_b32_e32 v20, s10
	s_xor_b64 exec, exec, s[6:7]
	s_cbranch_execz .LBB39_514
.LBB39_2564:
	v_mov_b32_e32 v20, 0
	v_cmp_ne_u16_sdwa s[8:9], v14, v20 src0_sel:BYTE_0 src1_sel:DWORD
	s_andn2_b64 s[4:5], s[4:5], exec
	s_and_b64 s[8:9], s[8:9], exec
	s_or_b64 s[4:5], s[4:5], s[8:9]
	s_or_b64 exec, exec, s[6:7]
	s_and_saveexec_b64 s[6:7], s[4:5]
	s_cbranch_execnz .LBB39_515
	s_branch .LBB39_516
.LBB39_2565:
	s_movk_i32 s4, 0x80
	v_cmp_eq_u16_sdwa s[12:13], v10, s4 src0_sel:BYTE_0 src1_sel:DWORD
	s_mov_b64 s[4:5], -1
                                        ; implicit-def: $sgpr10
	s_and_saveexec_b64 s[8:9], s[12:13]
; %bb.2566:
	s_mov_b32 s10, 0x7f800001
	s_xor_b64 s[4:5], exec, -1
; %bb.2567:
	s_or_b64 exec, exec, s[8:9]
	s_and_b64 s[4:5], s[4:5], exec
	s_or_saveexec_b64 s[6:7], s[6:7]
	v_mov_b32_e32 v21, s10
	s_xor_b64 exec, exec, s[6:7]
	s_cbranch_execz .LBB39_518
.LBB39_2568:
	v_mov_b32_e32 v21, 0
	v_cmp_ne_u16_sdwa s[8:9], v10, v21 src0_sel:BYTE_0 src1_sel:DWORD
	s_andn2_b64 s[4:5], s[4:5], exec
	s_and_b64 s[8:9], s[8:9], exec
	s_or_b64 s[4:5], s[4:5], s[8:9]
	s_or_b64 exec, exec, s[6:7]
	s_and_saveexec_b64 s[6:7], s[4:5]
	s_cbranch_execnz .LBB39_519
	s_branch .LBB39_520
.LBB39_2569:
	s_movk_i32 s4, 0x80
	v_cmp_eq_u16_sdwa s[12:13], v21, s4 src0_sel:BYTE_0 src1_sel:DWORD
	s_mov_b64 s[4:5], -1
                                        ; implicit-def: $sgpr10
	s_and_saveexec_b64 s[8:9], s[12:13]
; %bb.2570:
	s_mov_b32 s10, 0x7f800001
	s_xor_b64 s[4:5], exec, -1
; %bb.2571:
	s_or_b64 exec, exec, s[8:9]
	s_and_b64 s[4:5], s[4:5], exec
	s_or_saveexec_b64 s[6:7], s[6:7]
	v_mov_b32_e32 v20, s10
	s_xor_b64 exec, exec, s[6:7]
	s_cbranch_execz .LBB39_522
.LBB39_2572:
	v_mov_b32_e32 v20, 0
	v_cmp_ne_u16_sdwa s[8:9], v21, v20 src0_sel:BYTE_0 src1_sel:DWORD
	s_andn2_b64 s[4:5], s[4:5], exec
	s_and_b64 s[8:9], s[8:9], exec
	s_or_b64 s[4:5], s[4:5], s[8:9]
	s_or_b64 exec, exec, s[6:7]
	s_and_saveexec_b64 s[6:7], s[4:5]
	s_cbranch_execnz .LBB39_523
	s_branch .LBB39_524
.LBB39_2573:
	s_movk_i32 s4, 0x80
	v_cmp_eq_u16_sdwa s[12:13], v21, s4 src0_sel:BYTE_0 src1_sel:DWORD
	s_mov_b64 s[4:5], -1
                                        ; implicit-def: $sgpr10
	s_and_saveexec_b64 s[8:9], s[12:13]
; %bb.2574:
	s_mov_b32 s10, 0x7f800001
	s_xor_b64 s[4:5], exec, -1
; %bb.2575:
	s_or_b64 exec, exec, s[8:9]
	s_and_b64 s[4:5], s[4:5], exec
	s_or_saveexec_b64 s[6:7], s[6:7]
	v_mov_b32_e32 v22, s10
	s_xor_b64 exec, exec, s[6:7]
	s_cbranch_execz .LBB39_526
.LBB39_2576:
	v_mov_b32_e32 v22, 0
	v_cmp_ne_u16_sdwa s[8:9], v21, v22 src0_sel:BYTE_0 src1_sel:DWORD
	s_andn2_b64 s[4:5], s[4:5], exec
	s_and_b64 s[8:9], s[8:9], exec
	s_or_b64 s[4:5], s[4:5], s[8:9]
	s_or_b64 exec, exec, s[6:7]
	s_and_saveexec_b64 s[6:7], s[4:5]
	s_cbranch_execnz .LBB39_527
	s_branch .LBB39_528
.LBB39_2577:
	s_movk_i32 s4, 0x80
	v_cmp_eq_u16_e32 vcc, s4, v21
	s_mov_b64 s[4:5], -1
                                        ; implicit-def: $sgpr10
	s_and_saveexec_b64 s[8:9], vcc
; %bb.2578:
	s_mov_b32 s10, 0x7f800001
	s_xor_b64 s[4:5], exec, -1
; %bb.2579:
	s_or_b64 exec, exec, s[8:9]
	s_and_b64 s[4:5], s[4:5], exec
                                        ; implicit-def: $vgpr21
	s_or_saveexec_b64 s[6:7], s[6:7]
	v_mov_b32_e32 v20, s10
	s_xor_b64 exec, exec, s[6:7]
	s_cbranch_execz .LBB39_530
.LBB39_2580:
	v_cmp_ne_u16_e32 vcc, 0, v21
	s_andn2_b64 s[4:5], s[4:5], exec
	s_and_b64 s[8:9], vcc, exec
	v_mov_b32_e32 v20, 0
	s_or_b64 s[4:5], s[4:5], s[8:9]
	s_or_b64 exec, exec, s[6:7]
	s_and_saveexec_b64 s[6:7], s[4:5]
	s_cbranch_execnz .LBB39_531
	s_branch .LBB39_532
.LBB39_2581:
	s_movk_i32 s4, 0x80
	v_cmp_eq_u16_e32 vcc, s4, v21
	s_mov_b64 s[4:5], -1
                                        ; implicit-def: $sgpr10
	s_and_saveexec_b64 s[8:9], vcc
; %bb.2582:
	s_mov_b32 s10, 0x7f800001
	s_xor_b64 s[4:5], exec, -1
; %bb.2583:
	s_or_b64 exec, exec, s[8:9]
	s_and_b64 s[4:5], s[4:5], exec
                                        ; implicit-def: $vgpr21
	s_or_saveexec_b64 s[6:7], s[6:7]
	v_mov_b32_e32 v22, s10
	s_xor_b64 exec, exec, s[6:7]
	s_cbranch_execz .LBB39_534
.LBB39_2584:
	v_cmp_ne_u16_e32 vcc, 0, v21
	s_andn2_b64 s[4:5], s[4:5], exec
	s_and_b64 s[8:9], vcc, exec
	v_mov_b32_e32 v22, 0
	s_or_b64 s[4:5], s[4:5], s[8:9]
	s_or_b64 exec, exec, s[6:7]
	s_and_saveexec_b64 s[6:7], s[4:5]
	s_cbranch_execnz .LBB39_535
	s_branch .LBB39_536
.LBB39_2585:
	s_movk_i32 s4, 0x80
	v_cmp_eq_u16_sdwa s[12:13], v14, s4 src0_sel:BYTE_3 src1_sel:DWORD
	s_mov_b64 s[4:5], -1
                                        ; implicit-def: $sgpr10
	s_and_saveexec_b64 s[8:9], s[12:13]
; %bb.2586:
	s_mov_b32 s10, 0x7f800001
	s_xor_b64 s[4:5], exec, -1
; %bb.2587:
	s_or_b64 exec, exec, s[8:9]
	s_and_b64 s[4:5], s[4:5], exec
	s_or_saveexec_b64 s[6:7], s[6:7]
	v_mov_b32_e32 v20, s10
	s_xor_b64 exec, exec, s[6:7]
	s_cbranch_execz .LBB39_538
.LBB39_2588:
	v_mov_b32_e32 v20, 0
	v_cmp_ne_u16_sdwa s[8:9], v14, v20 src0_sel:BYTE_3 src1_sel:DWORD
	s_andn2_b64 s[4:5], s[4:5], exec
	s_and_b64 s[8:9], s[8:9], exec
	s_or_b64 s[4:5], s[4:5], s[8:9]
	s_or_b64 exec, exec, s[6:7]
	s_and_saveexec_b64 s[6:7], s[4:5]
	s_cbranch_execnz .LBB39_539
	s_branch .LBB39_540
.LBB39_2589:
	s_movk_i32 s4, 0x80
	v_cmp_eq_u16_sdwa s[12:13], v10, s4 src0_sel:BYTE_3 src1_sel:DWORD
	s_mov_b64 s[4:5], -1
                                        ; implicit-def: $sgpr10
	s_and_saveexec_b64 s[8:9], s[12:13]
; %bb.2590:
	s_mov_b32 s10, 0x7f800001
	s_xor_b64 s[4:5], exec, -1
; %bb.2591:
	s_or_b64 exec, exec, s[8:9]
	s_and_b64 s[4:5], s[4:5], exec
	s_or_saveexec_b64 s[6:7], s[6:7]
	v_mov_b32_e32 v14, s10
	s_xor_b64 exec, exec, s[6:7]
	s_cbranch_execz .LBB39_542
.LBB39_2592:
	v_mov_b32_e32 v14, 0
	v_cmp_ne_u16_sdwa s[8:9], v10, v14 src0_sel:BYTE_3 src1_sel:DWORD
	s_andn2_b64 s[4:5], s[4:5], exec
	s_and_b64 s[8:9], s[8:9], exec
	s_or_b64 s[4:5], s[4:5], s[8:9]
	s_or_b64 exec, exec, s[6:7]
	s_and_saveexec_b64 s[6:7], s[4:5]
	s_cbranch_execnz .LBB39_543
	s_branch .LBB39_544
.LBB39_2593:
	s_movk_i32 s4, 0x80
	v_cmp_eq_u16_sdwa s[12:13], v15, s4 src0_sel:BYTE_0 src1_sel:DWORD
	s_mov_b64 s[4:5], -1
                                        ; implicit-def: $sgpr10
	s_and_saveexec_b64 s[8:9], s[12:13]
; %bb.2594:
	s_mov_b32 s10, 0x7f800001
	s_xor_b64 s[4:5], exec, -1
; %bb.2595:
	s_or_b64 exec, exec, s[8:9]
	s_and_b64 s[4:5], s[4:5], exec
	s_or_saveexec_b64 s[6:7], s[6:7]
	v_mov_b32_e32 v10, s10
	s_xor_b64 exec, exec, s[6:7]
	s_cbranch_execz .LBB39_546
.LBB39_2596:
	v_mov_b32_e32 v10, 0
	v_cmp_ne_u16_sdwa s[8:9], v15, v10 src0_sel:BYTE_0 src1_sel:DWORD
	s_andn2_b64 s[4:5], s[4:5], exec
	s_and_b64 s[8:9], s[8:9], exec
	s_or_b64 s[4:5], s[4:5], s[8:9]
	s_or_b64 exec, exec, s[6:7]
	s_and_saveexec_b64 s[6:7], s[4:5]
	s_cbranch_execnz .LBB39_547
	s_branch .LBB39_548
.LBB39_2597:
	s_movk_i32 s4, 0x80
	v_cmp_eq_u16_sdwa s[12:13], v11, s4 src0_sel:BYTE_0 src1_sel:DWORD
	s_mov_b64 s[4:5], -1
                                        ; implicit-def: $sgpr10
	s_and_saveexec_b64 s[8:9], s[12:13]
; %bb.2598:
	s_mov_b32 s10, 0x7f800001
	s_xor_b64 s[4:5], exec, -1
; %bb.2599:
	s_or_b64 exec, exec, s[8:9]
	s_and_b64 s[4:5], s[4:5], exec
	s_or_saveexec_b64 s[6:7], s[6:7]
	v_mov_b32_e32 v14, s10
	s_xor_b64 exec, exec, s[6:7]
	s_cbranch_execz .LBB39_550
.LBB39_2600:
	v_mov_b32_e32 v14, 0
	v_cmp_ne_u16_sdwa s[8:9], v11, v14 src0_sel:BYTE_0 src1_sel:DWORD
	s_andn2_b64 s[4:5], s[4:5], exec
	s_and_b64 s[8:9], s[8:9], exec
	s_or_b64 s[4:5], s[4:5], s[8:9]
	s_or_b64 exec, exec, s[6:7]
	s_and_saveexec_b64 s[6:7], s[4:5]
	s_cbranch_execnz .LBB39_551
	s_branch .LBB39_552
.LBB39_2601:
	s_movk_i32 s4, 0x80
	v_cmp_eq_u16_sdwa s[12:13], v14, s4 src0_sel:BYTE_0 src1_sel:DWORD
	s_mov_b64 s[4:5], -1
                                        ; implicit-def: $sgpr10
	s_and_saveexec_b64 s[8:9], s[12:13]
; %bb.2602:
	s_mov_b32 s10, 0x7f800001
	s_xor_b64 s[4:5], exec, -1
; %bb.2603:
	s_or_b64 exec, exec, s[8:9]
	s_and_b64 s[4:5], s[4:5], exec
	s_or_saveexec_b64 s[6:7], s[6:7]
	v_mov_b32_e32 v10, s10
	s_xor_b64 exec, exec, s[6:7]
	s_cbranch_execz .LBB39_554
.LBB39_2604:
	v_mov_b32_e32 v10, 0
	v_cmp_ne_u16_sdwa s[8:9], v14, v10 src0_sel:BYTE_0 src1_sel:DWORD
	s_andn2_b64 s[4:5], s[4:5], exec
	s_and_b64 s[8:9], s[8:9], exec
	s_or_b64 s[4:5], s[4:5], s[8:9]
	s_or_b64 exec, exec, s[6:7]
	s_and_saveexec_b64 s[6:7], s[4:5]
	s_cbranch_execnz .LBB39_555
	s_branch .LBB39_556
.LBB39_2605:
	s_movk_i32 s4, 0x80
	v_cmp_eq_u16_sdwa s[12:13], v14, s4 src0_sel:BYTE_0 src1_sel:DWORD
	s_mov_b64 s[4:5], -1
                                        ; implicit-def: $sgpr10
	s_and_saveexec_b64 s[8:9], s[12:13]
; %bb.2606:
	s_mov_b32 s10, 0x7f800001
	s_xor_b64 s[4:5], exec, -1
; %bb.2607:
	s_or_b64 exec, exec, s[8:9]
	s_and_b64 s[4:5], s[4:5], exec
	s_or_saveexec_b64 s[6:7], s[6:7]
	v_mov_b32_e32 v20, s10
	s_xor_b64 exec, exec, s[6:7]
	s_cbranch_execz .LBB39_558
.LBB39_2608:
	v_mov_b32_e32 v20, 0
	v_cmp_ne_u16_sdwa s[8:9], v14, v20 src0_sel:BYTE_0 src1_sel:DWORD
	s_andn2_b64 s[4:5], s[4:5], exec
	s_and_b64 s[8:9], s[8:9], exec
	s_or_b64 s[4:5], s[4:5], s[8:9]
	s_or_b64 exec, exec, s[6:7]
	s_and_saveexec_b64 s[6:7], s[4:5]
	s_cbranch_execnz .LBB39_559
	s_branch .LBB39_560
.LBB39_2609:
	s_movk_i32 s4, 0x80
	v_cmp_eq_u16_e32 vcc, s4, v14
	s_mov_b64 s[4:5], -1
                                        ; implicit-def: $sgpr10
	s_and_saveexec_b64 s[8:9], vcc
; %bb.2610:
	s_mov_b32 s10, 0x7f800001
	s_xor_b64 s[4:5], exec, -1
; %bb.2611:
	s_or_b64 exec, exec, s[8:9]
	s_and_b64 s[4:5], s[4:5], exec
                                        ; implicit-def: $vgpr14
	s_or_saveexec_b64 s[6:7], s[6:7]
	v_mov_b32_e32 v10, s10
	s_xor_b64 exec, exec, s[6:7]
	s_cbranch_execz .LBB39_562
.LBB39_2612:
	v_cmp_ne_u16_e32 vcc, 0, v14
	s_andn2_b64 s[4:5], s[4:5], exec
	s_and_b64 s[8:9], vcc, exec
	v_mov_b32_e32 v10, 0
	s_or_b64 s[4:5], s[4:5], s[8:9]
	s_or_b64 exec, exec, s[6:7]
	s_and_saveexec_b64 s[6:7], s[4:5]
	s_cbranch_execnz .LBB39_563
	s_branch .LBB39_564
.LBB39_2613:
	s_movk_i32 s4, 0x80
	v_cmp_eq_u16_e32 vcc, s4, v14
	s_mov_b64 s[4:5], -1
                                        ; implicit-def: $sgpr10
	s_and_saveexec_b64 s[8:9], vcc
; %bb.2614:
	s_mov_b32 s10, 0x7f800001
	s_xor_b64 s[4:5], exec, -1
; %bb.2615:
	s_or_b64 exec, exec, s[8:9]
	s_and_b64 s[4:5], s[4:5], exec
                                        ; implicit-def: $vgpr14
	s_or_saveexec_b64 s[6:7], s[6:7]
	v_mov_b32_e32 v20, s10
	s_xor_b64 exec, exec, s[6:7]
	s_cbranch_execz .LBB39_566
.LBB39_2616:
	v_cmp_ne_u16_e32 vcc, 0, v14
	s_andn2_b64 s[4:5], s[4:5], exec
	s_and_b64 s[8:9], vcc, exec
	v_mov_b32_e32 v20, 0
	s_or_b64 s[4:5], s[4:5], s[8:9]
	s_or_b64 exec, exec, s[6:7]
	s_and_saveexec_b64 s[6:7], s[4:5]
	s_cbranch_execnz .LBB39_567
	s_branch .LBB39_568
.LBB39_2617:
	s_movk_i32 s4, 0x80
	v_cmp_eq_u16_sdwa s[12:13], v15, s4 src0_sel:BYTE_3 src1_sel:DWORD
	s_mov_b64 s[4:5], -1
                                        ; implicit-def: $sgpr10
	s_and_saveexec_b64 s[8:9], s[12:13]
; %bb.2618:
	s_mov_b32 s10, 0x7f800001
	s_xor_b64 s[4:5], exec, -1
; %bb.2619:
	s_or_b64 exec, exec, s[8:9]
	s_and_b64 s[4:5], s[4:5], exec
	s_or_saveexec_b64 s[6:7], s[6:7]
	v_mov_b32_e32 v10, s10
	s_xor_b64 exec, exec, s[6:7]
	s_cbranch_execz .LBB39_570
.LBB39_2620:
	v_mov_b32_e32 v10, 0
	v_cmp_ne_u16_sdwa s[8:9], v15, v10 src0_sel:BYTE_3 src1_sel:DWORD
	s_andn2_b64 s[4:5], s[4:5], exec
	s_and_b64 s[8:9], s[8:9], exec
	s_or_b64 s[4:5], s[4:5], s[8:9]
	s_or_b64 exec, exec, s[6:7]
	s_and_saveexec_b64 s[6:7], s[4:5]
	s_cbranch_execnz .LBB39_571
	s_branch .LBB39_572
.LBB39_2621:
	s_movk_i32 s4, 0x80
	v_cmp_eq_u16_sdwa s[12:13], v11, s4 src0_sel:BYTE_3 src1_sel:DWORD
	s_mov_b64 s[4:5], -1
                                        ; implicit-def: $sgpr10
	s_and_saveexec_b64 s[8:9], s[12:13]
; %bb.2622:
	s_mov_b32 s10, 0x7f800001
	s_xor_b64 s[4:5], exec, -1
; %bb.2623:
	s_or_b64 exec, exec, s[8:9]
	s_and_b64 s[4:5], s[4:5], exec
	s_or_saveexec_b64 s[6:7], s[6:7]
	v_mov_b32_e32 v14, s10
	s_xor_b64 exec, exec, s[6:7]
	s_cbranch_execz .LBB39_574
.LBB39_2624:
	v_mov_b32_e32 v14, 0
	v_cmp_ne_u16_sdwa s[8:9], v11, v14 src0_sel:BYTE_3 src1_sel:DWORD
	s_andn2_b64 s[4:5], s[4:5], exec
	s_and_b64 s[8:9], s[8:9], exec
	s_or_b64 s[4:5], s[4:5], s[8:9]
	s_or_b64 exec, exec, s[6:7]
	s_and_saveexec_b64 s[6:7], s[4:5]
	s_cbranch_execnz .LBB39_575
	s_branch .LBB39_576
.LBB39_2625:
	s_movk_i32 s4, 0x80
	v_cmp_eq_u16_sdwa s[12:13], v16, s4 src0_sel:BYTE_0 src1_sel:DWORD
	s_mov_b64 s[4:5], -1
                                        ; implicit-def: $sgpr10
	s_and_saveexec_b64 s[8:9], s[12:13]
; %bb.2626:
	s_mov_b32 s10, 0x7f800001
	s_xor_b64 s[4:5], exec, -1
; %bb.2627:
	s_or_b64 exec, exec, s[8:9]
	s_and_b64 s[4:5], s[4:5], exec
	s_or_saveexec_b64 s[6:7], s[6:7]
	v_mov_b32_e32 v10, s10
	s_xor_b64 exec, exec, s[6:7]
	s_cbranch_execz .LBB39_578
.LBB39_2628:
	v_mov_b32_e32 v10, 0
	v_cmp_ne_u16_sdwa s[8:9], v16, v10 src0_sel:BYTE_0 src1_sel:DWORD
	s_andn2_b64 s[4:5], s[4:5], exec
	s_and_b64 s[8:9], s[8:9], exec
	s_or_b64 s[4:5], s[4:5], s[8:9]
	s_or_b64 exec, exec, s[6:7]
	s_and_saveexec_b64 s[6:7], s[4:5]
	s_cbranch_execnz .LBB39_579
	s_branch .LBB39_580
.LBB39_2629:
	s_movk_i32 s4, 0x80
	v_cmp_eq_u16_sdwa s[12:13], v12, s4 src0_sel:BYTE_0 src1_sel:DWORD
	s_mov_b64 s[4:5], -1
                                        ; implicit-def: $sgpr10
	s_and_saveexec_b64 s[8:9], s[12:13]
; %bb.2630:
	s_mov_b32 s10, 0x7f800001
	s_xor_b64 s[4:5], exec, -1
; %bb.2631:
	s_or_b64 exec, exec, s[8:9]
	s_and_b64 s[4:5], s[4:5], exec
	s_or_saveexec_b64 s[6:7], s[6:7]
	v_mov_b32_e32 v11, s10
	s_xor_b64 exec, exec, s[6:7]
	s_cbranch_execz .LBB39_582
.LBB39_2632:
	v_mov_b32_e32 v11, 0
	v_cmp_ne_u16_sdwa s[8:9], v12, v11 src0_sel:BYTE_0 src1_sel:DWORD
	s_andn2_b64 s[4:5], s[4:5], exec
	s_and_b64 s[8:9], s[8:9], exec
	s_or_b64 s[4:5], s[4:5], s[8:9]
	s_or_b64 exec, exec, s[6:7]
	s_and_saveexec_b64 s[6:7], s[4:5]
	s_cbranch_execnz .LBB39_583
	s_branch .LBB39_584
.LBB39_2633:
	s_movk_i32 s4, 0x80
	v_cmp_eq_u16_sdwa s[12:13], v11, s4 src0_sel:BYTE_0 src1_sel:DWORD
	s_mov_b64 s[4:5], -1
                                        ; implicit-def: $sgpr10
	s_and_saveexec_b64 s[8:9], s[12:13]
; %bb.2634:
	s_mov_b32 s10, 0x7f800001
	s_xor_b64 s[4:5], exec, -1
; %bb.2635:
	s_or_b64 exec, exec, s[8:9]
	s_and_b64 s[4:5], s[4:5], exec
	s_or_saveexec_b64 s[6:7], s[6:7]
	v_mov_b32_e32 v10, s10
	s_xor_b64 exec, exec, s[6:7]
	s_cbranch_execz .LBB39_586
.LBB39_2636:
	v_mov_b32_e32 v10, 0
	v_cmp_ne_u16_sdwa s[8:9], v11, v10 src0_sel:BYTE_0 src1_sel:DWORD
	s_andn2_b64 s[4:5], s[4:5], exec
	s_and_b64 s[8:9], s[8:9], exec
	s_or_b64 s[4:5], s[4:5], s[8:9]
	s_or_b64 exec, exec, s[6:7]
	s_and_saveexec_b64 s[6:7], s[4:5]
	s_cbranch_execnz .LBB39_587
	s_branch .LBB39_588
.LBB39_2637:
	s_movk_i32 s4, 0x80
	v_cmp_eq_u16_sdwa s[12:13], v11, s4 src0_sel:BYTE_0 src1_sel:DWORD
	s_mov_b64 s[4:5], -1
                                        ; implicit-def: $sgpr10
	s_and_saveexec_b64 s[8:9], s[12:13]
; %bb.2638:
	s_mov_b32 s10, 0x7f800001
	s_xor_b64 s[4:5], exec, -1
; %bb.2639:
	s_or_b64 exec, exec, s[8:9]
	s_and_b64 s[4:5], s[4:5], exec
	s_or_saveexec_b64 s[6:7], s[6:7]
	v_mov_b32_e32 v14, s10
	s_xor_b64 exec, exec, s[6:7]
	s_cbranch_execz .LBB39_590
.LBB39_2640:
	v_mov_b32_e32 v14, 0
	v_cmp_ne_u16_sdwa s[8:9], v11, v14 src0_sel:BYTE_0 src1_sel:DWORD
	s_andn2_b64 s[4:5], s[4:5], exec
	s_and_b64 s[8:9], s[8:9], exec
	s_or_b64 s[4:5], s[4:5], s[8:9]
	s_or_b64 exec, exec, s[6:7]
	s_and_saveexec_b64 s[6:7], s[4:5]
	s_cbranch_execnz .LBB39_591
	s_branch .LBB39_592
.LBB39_2641:
	s_movk_i32 s4, 0x80
	v_cmp_eq_u16_e32 vcc, s4, v11
	s_mov_b64 s[4:5], -1
                                        ; implicit-def: $sgpr10
	s_and_saveexec_b64 s[8:9], vcc
; %bb.2642:
	s_mov_b32 s10, 0x7f800001
	s_xor_b64 s[4:5], exec, -1
; %bb.2643:
	s_or_b64 exec, exec, s[8:9]
	s_and_b64 s[4:5], s[4:5], exec
                                        ; implicit-def: $vgpr11
	s_or_saveexec_b64 s[6:7], s[6:7]
	v_mov_b32_e32 v10, s10
	s_xor_b64 exec, exec, s[6:7]
	s_cbranch_execz .LBB39_594
.LBB39_2644:
	v_cmp_ne_u16_e32 vcc, 0, v11
	s_andn2_b64 s[4:5], s[4:5], exec
	s_and_b64 s[8:9], vcc, exec
	v_mov_b32_e32 v10, 0
	s_or_b64 s[4:5], s[4:5], s[8:9]
	s_or_b64 exec, exec, s[6:7]
	s_and_saveexec_b64 s[6:7], s[4:5]
	s_cbranch_execnz .LBB39_595
	s_branch .LBB39_596
.LBB39_2645:
	s_movk_i32 s4, 0x80
	v_cmp_eq_u16_e32 vcc, s4, v11
	s_mov_b64 s[4:5], -1
                                        ; implicit-def: $sgpr10
	s_and_saveexec_b64 s[8:9], vcc
; %bb.2646:
	s_mov_b32 s10, 0x7f800001
	s_xor_b64 s[4:5], exec, -1
; %bb.2647:
	s_or_b64 exec, exec, s[8:9]
	s_and_b64 s[4:5], s[4:5], exec
                                        ; implicit-def: $vgpr11
	s_or_saveexec_b64 s[6:7], s[6:7]
	v_mov_b32_e32 v14, s10
	s_xor_b64 exec, exec, s[6:7]
	s_cbranch_execz .LBB39_598
.LBB39_2648:
	v_cmp_ne_u16_e32 vcc, 0, v11
	s_andn2_b64 s[4:5], s[4:5], exec
	s_and_b64 s[8:9], vcc, exec
	v_mov_b32_e32 v14, 0
	s_or_b64 s[4:5], s[4:5], s[8:9]
	s_or_b64 exec, exec, s[6:7]
	s_and_saveexec_b64 s[6:7], s[4:5]
	s_cbranch_execnz .LBB39_599
	s_branch .LBB39_600
.LBB39_2649:
	s_movk_i32 s4, 0x80
	v_cmp_eq_u16_sdwa s[12:13], v16, s4 src0_sel:BYTE_3 src1_sel:DWORD
	s_mov_b64 s[4:5], -1
                                        ; implicit-def: $sgpr10
	s_and_saveexec_b64 s[8:9], s[12:13]
; %bb.2650:
	s_mov_b32 s10, 0x7f800001
	s_xor_b64 s[4:5], exec, -1
; %bb.2651:
	s_or_b64 exec, exec, s[8:9]
	s_and_b64 s[4:5], s[4:5], exec
	s_or_saveexec_b64 s[6:7], s[6:7]
	v_mov_b32_e32 v10, s10
	s_xor_b64 exec, exec, s[6:7]
	s_cbranch_execz .LBB39_602
.LBB39_2652:
	v_mov_b32_e32 v10, 0
	v_cmp_ne_u16_sdwa s[8:9], v16, v10 src0_sel:BYTE_3 src1_sel:DWORD
	s_andn2_b64 s[4:5], s[4:5], exec
	s_and_b64 s[8:9], s[8:9], exec
	s_or_b64 s[4:5], s[4:5], s[8:9]
	s_or_b64 exec, exec, s[6:7]
	s_and_saveexec_b64 s[6:7], s[4:5]
	s_cbranch_execnz .LBB39_603
	s_branch .LBB39_604
.LBB39_2653:
	s_movk_i32 s4, 0x80
	v_cmp_eq_u16_sdwa s[12:13], v12, s4 src0_sel:BYTE_3 src1_sel:DWORD
	s_mov_b64 s[4:5], -1
                                        ; implicit-def: $sgpr10
	s_and_saveexec_b64 s[8:9], s[12:13]
; %bb.2654:
	s_mov_b32 s10, 0x7f800001
	s_xor_b64 s[4:5], exec, -1
; %bb.2655:
	s_or_b64 exec, exec, s[8:9]
	s_and_b64 s[4:5], s[4:5], exec
	s_or_saveexec_b64 s[6:7], s[6:7]
	v_mov_b32_e32 v11, s10
	s_xor_b64 exec, exec, s[6:7]
	s_cbranch_execz .LBB39_606
.LBB39_2656:
	v_mov_b32_e32 v11, 0
	v_cmp_ne_u16_sdwa s[8:9], v12, v11 src0_sel:BYTE_3 src1_sel:DWORD
	s_andn2_b64 s[4:5], s[4:5], exec
	s_and_b64 s[8:9], s[8:9], exec
	s_or_b64 s[4:5], s[4:5], s[8:9]
	s_or_b64 exec, exec, s[6:7]
	s_and_saveexec_b64 s[6:7], s[4:5]
	s_cbranch_execnz .LBB39_607
	s_branch .LBB39_608
.LBB39_2657:
	s_movk_i32 s4, 0x80
	v_cmp_eq_u16_sdwa s[12:13], v17, s4 src0_sel:BYTE_0 src1_sel:DWORD
	s_mov_b64 s[4:5], -1
                                        ; implicit-def: $sgpr10
	s_and_saveexec_b64 s[8:9], s[12:13]
; %bb.2658:
	s_mov_b32 s10, 0x7f800001
	s_xor_b64 s[4:5], exec, -1
; %bb.2659:
	s_or_b64 exec, exec, s[8:9]
	s_and_b64 s[4:5], s[4:5], exec
	s_or_saveexec_b64 s[6:7], s[6:7]
	v_mov_b32_e32 v10, s10
	s_xor_b64 exec, exec, s[6:7]
	s_cbranch_execz .LBB39_610
.LBB39_2660:
	v_mov_b32_e32 v10, 0
	v_cmp_ne_u16_sdwa s[8:9], v17, v10 src0_sel:BYTE_0 src1_sel:DWORD
	s_andn2_b64 s[4:5], s[4:5], exec
	s_and_b64 s[8:9], s[8:9], exec
	s_or_b64 s[4:5], s[4:5], s[8:9]
	s_or_b64 exec, exec, s[6:7]
	s_and_saveexec_b64 s[6:7], s[4:5]
	s_cbranch_execnz .LBB39_611
	s_branch .LBB39_612
.LBB39_2661:
	s_movk_i32 s4, 0x80
	v_cmp_eq_u16_sdwa s[12:13], v13, s4 src0_sel:BYTE_0 src1_sel:DWORD
	s_mov_b64 s[4:5], -1
                                        ; implicit-def: $sgpr10
	s_and_saveexec_b64 s[8:9], s[12:13]
; %bb.2662:
	s_mov_b32 s10, 0x7f800001
	s_xor_b64 s[4:5], exec, -1
; %bb.2663:
	s_or_b64 exec, exec, s[8:9]
	s_and_b64 s[4:5], s[4:5], exec
	s_or_saveexec_b64 s[6:7], s[6:7]
	v_mov_b32_e32 v11, s10
	s_xor_b64 exec, exec, s[6:7]
	s_cbranch_execz .LBB39_614
.LBB39_2664:
	v_mov_b32_e32 v11, 0
	v_cmp_ne_u16_sdwa s[8:9], v13, v11 src0_sel:BYTE_0 src1_sel:DWORD
	s_andn2_b64 s[4:5], s[4:5], exec
	s_and_b64 s[8:9], s[8:9], exec
	s_or_b64 s[4:5], s[4:5], s[8:9]
	s_or_b64 exec, exec, s[6:7]
	s_and_saveexec_b64 s[6:7], s[4:5]
	s_cbranch_execnz .LBB39_615
	s_branch .LBB39_616
.LBB39_2665:
	s_movk_i32 s4, 0x80
	v_cmp_eq_u16_sdwa s[12:13], v11, s4 src0_sel:BYTE_0 src1_sel:DWORD
	s_mov_b64 s[4:5], -1
                                        ; implicit-def: $sgpr10
	s_and_saveexec_b64 s[8:9], s[12:13]
; %bb.2666:
	s_mov_b32 s10, 0x7f800001
	s_xor_b64 s[4:5], exec, -1
; %bb.2667:
	s_or_b64 exec, exec, s[8:9]
	s_and_b64 s[4:5], s[4:5], exec
	s_or_saveexec_b64 s[6:7], s[6:7]
	v_mov_b32_e32 v10, s10
	s_xor_b64 exec, exec, s[6:7]
	s_cbranch_execz .LBB39_618
.LBB39_2668:
	v_mov_b32_e32 v10, 0
	v_cmp_ne_u16_sdwa s[8:9], v11, v10 src0_sel:BYTE_0 src1_sel:DWORD
	s_andn2_b64 s[4:5], s[4:5], exec
	s_and_b64 s[8:9], s[8:9], exec
	s_or_b64 s[4:5], s[4:5], s[8:9]
	s_or_b64 exec, exec, s[6:7]
	s_and_saveexec_b64 s[6:7], s[4:5]
	s_cbranch_execnz .LBB39_619
	s_branch .LBB39_620
.LBB39_2669:
	s_movk_i32 s4, 0x80
	v_cmp_eq_u16_sdwa s[12:13], v11, s4 src0_sel:BYTE_0 src1_sel:DWORD
	s_mov_b64 s[4:5], -1
                                        ; implicit-def: $sgpr10
	s_and_saveexec_b64 s[8:9], s[12:13]
; %bb.2670:
	s_mov_b32 s10, 0x7f800001
	s_xor_b64 s[4:5], exec, -1
; %bb.2671:
	s_or_b64 exec, exec, s[8:9]
	s_and_b64 s[4:5], s[4:5], exec
	s_or_saveexec_b64 s[6:7], s[6:7]
	v_mov_b32_e32 v12, s10
	s_xor_b64 exec, exec, s[6:7]
	s_cbranch_execz .LBB39_622
.LBB39_2672:
	v_mov_b32_e32 v12, 0
	v_cmp_ne_u16_sdwa s[8:9], v11, v12 src0_sel:BYTE_0 src1_sel:DWORD
	s_andn2_b64 s[4:5], s[4:5], exec
	s_and_b64 s[8:9], s[8:9], exec
	s_or_b64 s[4:5], s[4:5], s[8:9]
	s_or_b64 exec, exec, s[6:7]
	s_and_saveexec_b64 s[6:7], s[4:5]
	s_cbranch_execnz .LBB39_623
	s_branch .LBB39_624
.LBB39_2673:
	s_movk_i32 s4, 0x80
	v_cmp_eq_u16_e32 vcc, s4, v11
	s_mov_b64 s[4:5], -1
                                        ; implicit-def: $sgpr10
	s_and_saveexec_b64 s[8:9], vcc
; %bb.2674:
	s_mov_b32 s10, 0x7f800001
	s_xor_b64 s[4:5], exec, -1
; %bb.2675:
	s_or_b64 exec, exec, s[8:9]
	s_and_b64 s[4:5], s[4:5], exec
                                        ; implicit-def: $vgpr11
	s_or_saveexec_b64 s[6:7], s[6:7]
	v_mov_b32_e32 v10, s10
	s_xor_b64 exec, exec, s[6:7]
	s_cbranch_execz .LBB39_626
.LBB39_2676:
	v_cmp_ne_u16_e32 vcc, 0, v11
	s_andn2_b64 s[4:5], s[4:5], exec
	s_and_b64 s[8:9], vcc, exec
	v_mov_b32_e32 v10, 0
	s_or_b64 s[4:5], s[4:5], s[8:9]
	s_or_b64 exec, exec, s[6:7]
	s_and_saveexec_b64 s[6:7], s[4:5]
	s_cbranch_execnz .LBB39_627
	s_branch .LBB39_628
.LBB39_2677:
	s_movk_i32 s4, 0x80
	v_cmp_eq_u16_e32 vcc, s4, v11
	s_mov_b64 s[4:5], -1
                                        ; implicit-def: $sgpr10
	s_and_saveexec_b64 s[8:9], vcc
; %bb.2678:
	s_mov_b32 s10, 0x7f800001
	s_xor_b64 s[4:5], exec, -1
; %bb.2679:
	s_or_b64 exec, exec, s[8:9]
	s_and_b64 s[4:5], s[4:5], exec
                                        ; implicit-def: $vgpr11
	s_or_saveexec_b64 s[6:7], s[6:7]
	v_mov_b32_e32 v12, s10
	s_xor_b64 exec, exec, s[6:7]
	s_cbranch_execz .LBB39_630
.LBB39_2680:
	v_cmp_ne_u16_e32 vcc, 0, v11
	s_andn2_b64 s[4:5], s[4:5], exec
	s_and_b64 s[8:9], vcc, exec
	v_mov_b32_e32 v12, 0
	s_or_b64 s[4:5], s[4:5], s[8:9]
	s_or_b64 exec, exec, s[6:7]
	s_and_saveexec_b64 s[6:7], s[4:5]
	s_cbranch_execnz .LBB39_631
	s_branch .LBB39_632
.LBB39_2681:
	s_movk_i32 s4, 0x80
	v_cmp_eq_u16_sdwa s[12:13], v17, s4 src0_sel:BYTE_3 src1_sel:DWORD
	s_mov_b64 s[4:5], -1
                                        ; implicit-def: $sgpr10
	s_and_saveexec_b64 s[8:9], s[12:13]
; %bb.2682:
	s_mov_b32 s10, 0x7f800001
	s_xor_b64 s[4:5], exec, -1
; %bb.2683:
	s_or_b64 exec, exec, s[8:9]
	s_and_b64 s[4:5], s[4:5], exec
	s_or_saveexec_b64 s[6:7], s[6:7]
	v_mov_b32_e32 v10, s10
	s_xor_b64 exec, exec, s[6:7]
	s_cbranch_execz .LBB39_634
.LBB39_2684:
	v_mov_b32_e32 v10, 0
	v_cmp_ne_u16_sdwa s[8:9], v17, v10 src0_sel:BYTE_3 src1_sel:DWORD
	s_andn2_b64 s[4:5], s[4:5], exec
	s_and_b64 s[8:9], s[8:9], exec
	s_or_b64 s[4:5], s[4:5], s[8:9]
	s_or_b64 exec, exec, s[6:7]
	s_and_saveexec_b64 s[6:7], s[4:5]
	s_cbranch_execnz .LBB39_635
	s_branch .LBB39_636
.LBB39_2685:
	s_movk_i32 s4, 0x80
	v_cmp_eq_u16_sdwa s[12:13], v13, s4 src0_sel:BYTE_3 src1_sel:DWORD
	s_mov_b64 s[4:5], -1
                                        ; implicit-def: $sgpr10
	s_and_saveexec_b64 s[8:9], s[12:13]
; %bb.2686:
	s_mov_b32 s10, 0x7f800001
	s_xor_b64 s[4:5], exec, -1
; %bb.2687:
	s_or_b64 exec, exec, s[8:9]
	s_and_b64 s[4:5], s[4:5], exec
	s_or_saveexec_b64 s[6:7], s[6:7]
	v_mov_b32_e32 v11, s10
	s_xor_b64 exec, exec, s[6:7]
	s_cbranch_execz .LBB39_638
.LBB39_2688:
	v_mov_b32_e32 v11, 0
	v_cmp_ne_u16_sdwa s[8:9], v13, v11 src0_sel:BYTE_3 src1_sel:DWORD
	s_andn2_b64 s[4:5], s[4:5], exec
	s_and_b64 s[8:9], s[8:9], exec
	s_or_b64 s[4:5], s[4:5], s[8:9]
	s_or_b64 exec, exec, s[6:7]
	s_and_saveexec_b64 s[6:7], s[4:5]
	s_cbranch_execnz .LBB39_639
	s_branch .LBB39_640
.LBB39_2689:
	s_movk_i32 s4, 0x80
	v_cmp_eq_u16_sdwa s[12:13], v6, s4 src0_sel:BYTE_0 src1_sel:DWORD
	s_mov_b64 s[4:5], -1
                                        ; implicit-def: $sgpr10
	s_and_saveexec_b64 s[8:9], s[12:13]
; %bb.2690:
	s_mov_b32 s10, 0x7f800001
	s_xor_b64 s[4:5], exec, -1
; %bb.2691:
	s_or_b64 exec, exec, s[8:9]
	s_and_b64 s[4:5], s[4:5], exec
	s_or_saveexec_b64 s[6:7], s[6:7]
	v_mov_b32_e32 v10, s10
	s_xor_b64 exec, exec, s[6:7]
	s_cbranch_execz .LBB39_642
.LBB39_2692:
	v_mov_b32_e32 v10, 0
	v_cmp_ne_u16_sdwa s[8:9], v6, v10 src0_sel:BYTE_0 src1_sel:DWORD
	s_andn2_b64 s[4:5], s[4:5], exec
	s_and_b64 s[8:9], s[8:9], exec
	s_or_b64 s[4:5], s[4:5], s[8:9]
	s_or_b64 exec, exec, s[6:7]
	s_and_saveexec_b64 s[6:7], s[4:5]
	s_cbranch_execnz .LBB39_643
	s_branch .LBB39_644
.LBB39_2693:
	s_movk_i32 s4, 0x80
	v_cmp_eq_u16_sdwa s[12:13], v2, s4 src0_sel:BYTE_0 src1_sel:DWORD
	s_mov_b64 s[4:5], -1
                                        ; implicit-def: $sgpr10
	s_and_saveexec_b64 s[8:9], s[12:13]
; %bb.2694:
	s_mov_b32 s10, 0x7f800001
	s_xor_b64 s[4:5], exec, -1
; %bb.2695:
	s_or_b64 exec, exec, s[8:9]
	s_and_b64 s[4:5], s[4:5], exec
	s_or_saveexec_b64 s[6:7], s[6:7]
	v_mov_b32_e32 v11, s10
	s_xor_b64 exec, exec, s[6:7]
	s_cbranch_execz .LBB39_646
.LBB39_2696:
	v_mov_b32_e32 v11, 0
	v_cmp_ne_u16_sdwa s[8:9], v2, v11 src0_sel:BYTE_0 src1_sel:DWORD
	s_andn2_b64 s[4:5], s[4:5], exec
	s_and_b64 s[8:9], s[8:9], exec
	s_or_b64 s[4:5], s[4:5], s[8:9]
	s_or_b64 exec, exec, s[6:7]
	s_and_saveexec_b64 s[6:7], s[4:5]
	s_cbranch_execnz .LBB39_647
	s_branch .LBB39_648
.LBB39_2697:
	s_movk_i32 s4, 0x80
	v_cmp_eq_u16_sdwa s[12:13], v11, s4 src0_sel:BYTE_0 src1_sel:DWORD
	s_mov_b64 s[4:5], -1
                                        ; implicit-def: $sgpr10
	s_and_saveexec_b64 s[8:9], s[12:13]
; %bb.2698:
	s_mov_b32 s10, 0x7f800001
	s_xor_b64 s[4:5], exec, -1
; %bb.2699:
	s_or_b64 exec, exec, s[8:9]
	s_and_b64 s[4:5], s[4:5], exec
	s_or_saveexec_b64 s[6:7], s[6:7]
	v_mov_b32_e32 v10, s10
	s_xor_b64 exec, exec, s[6:7]
	s_cbranch_execz .LBB39_650
.LBB39_2700:
	v_mov_b32_e32 v10, 0
	v_cmp_ne_u16_sdwa s[8:9], v11, v10 src0_sel:BYTE_0 src1_sel:DWORD
	s_andn2_b64 s[4:5], s[4:5], exec
	s_and_b64 s[8:9], s[8:9], exec
	s_or_b64 s[4:5], s[4:5], s[8:9]
	s_or_b64 exec, exec, s[6:7]
	s_and_saveexec_b64 s[6:7], s[4:5]
	s_cbranch_execnz .LBB39_651
	s_branch .LBB39_652
.LBB39_2701:
	s_movk_i32 s4, 0x80
	v_cmp_eq_u16_sdwa s[12:13], v11, s4 src0_sel:BYTE_0 src1_sel:DWORD
	s_mov_b64 s[4:5], -1
                                        ; implicit-def: $sgpr10
	s_and_saveexec_b64 s[8:9], s[12:13]
; %bb.2702:
	s_mov_b32 s10, 0x7f800001
	s_xor_b64 s[4:5], exec, -1
; %bb.2703:
	s_or_b64 exec, exec, s[8:9]
	s_and_b64 s[4:5], s[4:5], exec
	s_or_saveexec_b64 s[6:7], s[6:7]
	v_mov_b32_e32 v12, s10
	s_xor_b64 exec, exec, s[6:7]
	s_cbranch_execz .LBB39_654
.LBB39_2704:
	v_mov_b32_e32 v12, 0
	v_cmp_ne_u16_sdwa s[8:9], v11, v12 src0_sel:BYTE_0 src1_sel:DWORD
	s_andn2_b64 s[4:5], s[4:5], exec
	s_and_b64 s[8:9], s[8:9], exec
	s_or_b64 s[4:5], s[4:5], s[8:9]
	s_or_b64 exec, exec, s[6:7]
	s_and_saveexec_b64 s[6:7], s[4:5]
	s_cbranch_execnz .LBB39_655
	s_branch .LBB39_656
.LBB39_2705:
	s_movk_i32 s4, 0x80
	v_cmp_eq_u16_e32 vcc, s4, v11
	s_mov_b64 s[4:5], -1
                                        ; implicit-def: $sgpr10
	s_and_saveexec_b64 s[8:9], vcc
; %bb.2706:
	s_mov_b32 s10, 0x7f800001
	s_xor_b64 s[4:5], exec, -1
; %bb.2707:
	s_or_b64 exec, exec, s[8:9]
	s_and_b64 s[4:5], s[4:5], exec
                                        ; implicit-def: $vgpr11
	s_or_saveexec_b64 s[6:7], s[6:7]
	v_mov_b32_e32 v10, s10
	s_xor_b64 exec, exec, s[6:7]
	s_cbranch_execz .LBB39_658
.LBB39_2708:
	v_cmp_ne_u16_e32 vcc, 0, v11
	s_andn2_b64 s[4:5], s[4:5], exec
	s_and_b64 s[8:9], vcc, exec
	v_mov_b32_e32 v10, 0
	s_or_b64 s[4:5], s[4:5], s[8:9]
	s_or_b64 exec, exec, s[6:7]
	s_and_saveexec_b64 s[6:7], s[4:5]
	s_cbranch_execnz .LBB39_659
	s_branch .LBB39_660
.LBB39_2709:
	s_movk_i32 s4, 0x80
	v_cmp_eq_u16_e32 vcc, s4, v11
	s_mov_b64 s[4:5], -1
                                        ; implicit-def: $sgpr10
	s_and_saveexec_b64 s[8:9], vcc
; %bb.2710:
	s_mov_b32 s10, 0x7f800001
	s_xor_b64 s[4:5], exec, -1
; %bb.2711:
	s_or_b64 exec, exec, s[8:9]
	s_and_b64 s[4:5], s[4:5], exec
                                        ; implicit-def: $vgpr11
	s_or_saveexec_b64 s[6:7], s[6:7]
	v_mov_b32_e32 v12, s10
	s_xor_b64 exec, exec, s[6:7]
	s_cbranch_execz .LBB39_662
.LBB39_2712:
	v_cmp_ne_u16_e32 vcc, 0, v11
	s_andn2_b64 s[4:5], s[4:5], exec
	s_and_b64 s[8:9], vcc, exec
	v_mov_b32_e32 v12, 0
	s_or_b64 s[4:5], s[4:5], s[8:9]
	s_or_b64 exec, exec, s[6:7]
	s_and_saveexec_b64 s[6:7], s[4:5]
	s_cbranch_execnz .LBB39_663
	s_branch .LBB39_664
.LBB39_2713:
	s_movk_i32 s4, 0x80
	v_cmp_eq_u16_sdwa s[12:13], v6, s4 src0_sel:BYTE_3 src1_sel:DWORD
	s_mov_b64 s[4:5], -1
                                        ; implicit-def: $sgpr10
	s_and_saveexec_b64 s[8:9], s[12:13]
; %bb.2714:
	s_mov_b32 s10, 0x7f800001
	s_xor_b64 s[4:5], exec, -1
; %bb.2715:
	s_or_b64 exec, exec, s[8:9]
	s_and_b64 s[4:5], s[4:5], exec
	s_or_saveexec_b64 s[6:7], s[6:7]
	v_mov_b32_e32 v10, s10
	s_xor_b64 exec, exec, s[6:7]
	s_cbranch_execz .LBB39_666
.LBB39_2716:
	v_mov_b32_e32 v10, 0
	v_cmp_ne_u16_sdwa s[8:9], v6, v10 src0_sel:BYTE_3 src1_sel:DWORD
	s_andn2_b64 s[4:5], s[4:5], exec
	s_and_b64 s[8:9], s[8:9], exec
	s_or_b64 s[4:5], s[4:5], s[8:9]
	s_or_b64 exec, exec, s[6:7]
	s_and_saveexec_b64 s[6:7], s[4:5]
	s_cbranch_execnz .LBB39_667
	s_branch .LBB39_668
.LBB39_2717:
	s_movk_i32 s4, 0x80
	v_cmp_eq_u16_sdwa s[12:13], v2, s4 src0_sel:BYTE_3 src1_sel:DWORD
	s_mov_b64 s[4:5], -1
                                        ; implicit-def: $sgpr10
	s_and_saveexec_b64 s[8:9], s[12:13]
; %bb.2718:
	s_mov_b32 s10, 0x7f800001
	s_xor_b64 s[4:5], exec, -1
; %bb.2719:
	s_or_b64 exec, exec, s[8:9]
	s_and_b64 s[4:5], s[4:5], exec
	s_or_saveexec_b64 s[6:7], s[6:7]
	v_mov_b32_e32 v6, s10
	s_xor_b64 exec, exec, s[6:7]
	s_cbranch_execz .LBB39_670
.LBB39_2720:
	v_mov_b32_e32 v6, 0
	v_cmp_ne_u16_sdwa s[8:9], v2, v6 src0_sel:BYTE_3 src1_sel:DWORD
	s_andn2_b64 s[4:5], s[4:5], exec
	s_and_b64 s[8:9], s[8:9], exec
	s_or_b64 s[4:5], s[4:5], s[8:9]
	s_or_b64 exec, exec, s[6:7]
	s_and_saveexec_b64 s[6:7], s[4:5]
	s_cbranch_execnz .LBB39_671
	s_branch .LBB39_672
.LBB39_2721:
	s_movk_i32 s4, 0x80
	v_cmp_eq_u16_sdwa s[12:13], v7, s4 src0_sel:BYTE_0 src1_sel:DWORD
	s_mov_b64 s[4:5], -1
                                        ; implicit-def: $sgpr10
	s_and_saveexec_b64 s[8:9], s[12:13]
; %bb.2722:
	s_mov_b32 s10, 0x7f800001
	s_xor_b64 s[4:5], exec, -1
; %bb.2723:
	s_or_b64 exec, exec, s[8:9]
	s_and_b64 s[4:5], s[4:5], exec
	s_or_saveexec_b64 s[6:7], s[6:7]
	v_mov_b32_e32 v2, s10
	s_xor_b64 exec, exec, s[6:7]
	s_cbranch_execz .LBB39_674
.LBB39_2724:
	v_mov_b32_e32 v2, 0
	v_cmp_ne_u16_sdwa s[8:9], v7, v2 src0_sel:BYTE_0 src1_sel:DWORD
	s_andn2_b64 s[4:5], s[4:5], exec
	s_and_b64 s[8:9], s[8:9], exec
	s_or_b64 s[4:5], s[4:5], s[8:9]
	s_or_b64 exec, exec, s[6:7]
	s_and_saveexec_b64 s[6:7], s[4:5]
	s_cbranch_execnz .LBB39_675
	s_branch .LBB39_676
.LBB39_2725:
	s_movk_i32 s4, 0x80
	v_cmp_eq_u16_sdwa s[12:13], v3, s4 src0_sel:BYTE_0 src1_sel:DWORD
	s_mov_b64 s[4:5], -1
                                        ; implicit-def: $sgpr10
	s_and_saveexec_b64 s[8:9], s[12:13]
; %bb.2726:
	s_mov_b32 s10, 0x7f800001
	s_xor_b64 s[4:5], exec, -1
; %bb.2727:
	s_or_b64 exec, exec, s[8:9]
	s_and_b64 s[4:5], s[4:5], exec
	s_or_saveexec_b64 s[6:7], s[6:7]
	v_mov_b32_e32 v6, s10
	s_xor_b64 exec, exec, s[6:7]
	s_cbranch_execz .LBB39_678
.LBB39_2728:
	v_mov_b32_e32 v6, 0
	v_cmp_ne_u16_sdwa s[8:9], v3, v6 src0_sel:BYTE_0 src1_sel:DWORD
	s_andn2_b64 s[4:5], s[4:5], exec
	s_and_b64 s[8:9], s[8:9], exec
	s_or_b64 s[4:5], s[4:5], s[8:9]
	s_or_b64 exec, exec, s[6:7]
	s_and_saveexec_b64 s[6:7], s[4:5]
	s_cbranch_execnz .LBB39_679
	s_branch .LBB39_680
.LBB39_2729:
	s_movk_i32 s4, 0x80
	v_cmp_eq_u16_sdwa s[12:13], v6, s4 src0_sel:BYTE_0 src1_sel:DWORD
	s_mov_b64 s[4:5], -1
                                        ; implicit-def: $sgpr10
	s_and_saveexec_b64 s[8:9], s[12:13]
; %bb.2730:
	s_mov_b32 s10, 0x7f800001
	s_xor_b64 s[4:5], exec, -1
; %bb.2731:
	s_or_b64 exec, exec, s[8:9]
	s_and_b64 s[4:5], s[4:5], exec
	s_or_saveexec_b64 s[6:7], s[6:7]
	v_mov_b32_e32 v2, s10
	s_xor_b64 exec, exec, s[6:7]
	s_cbranch_execz .LBB39_682
.LBB39_2732:
	v_mov_b32_e32 v2, 0
	v_cmp_ne_u16_sdwa s[8:9], v6, v2 src0_sel:BYTE_0 src1_sel:DWORD
	s_andn2_b64 s[4:5], s[4:5], exec
	s_and_b64 s[8:9], s[8:9], exec
	s_or_b64 s[4:5], s[4:5], s[8:9]
	s_or_b64 exec, exec, s[6:7]
	s_and_saveexec_b64 s[6:7], s[4:5]
	s_cbranch_execnz .LBB39_683
	s_branch .LBB39_684
.LBB39_2733:
	s_movk_i32 s4, 0x80
	v_cmp_eq_u16_sdwa s[12:13], v6, s4 src0_sel:BYTE_0 src1_sel:DWORD
	s_mov_b64 s[4:5], -1
                                        ; implicit-def: $sgpr10
	s_and_saveexec_b64 s[8:9], s[12:13]
; %bb.2734:
	s_mov_b32 s10, 0x7f800001
	s_xor_b64 s[4:5], exec, -1
; %bb.2735:
	s_or_b64 exec, exec, s[8:9]
	s_and_b64 s[4:5], s[4:5], exec
	s_or_saveexec_b64 s[6:7], s[6:7]
	v_mov_b32_e32 v10, s10
	s_xor_b64 exec, exec, s[6:7]
	s_cbranch_execz .LBB39_686
.LBB39_2736:
	v_mov_b32_e32 v10, 0
	v_cmp_ne_u16_sdwa s[8:9], v6, v10 src0_sel:BYTE_0 src1_sel:DWORD
	s_andn2_b64 s[4:5], s[4:5], exec
	s_and_b64 s[8:9], s[8:9], exec
	s_or_b64 s[4:5], s[4:5], s[8:9]
	s_or_b64 exec, exec, s[6:7]
	s_and_saveexec_b64 s[6:7], s[4:5]
	s_cbranch_execnz .LBB39_687
	s_branch .LBB39_688
.LBB39_2737:
	s_movk_i32 s4, 0x80
	v_cmp_eq_u16_e32 vcc, s4, v6
	s_mov_b64 s[4:5], -1
                                        ; implicit-def: $sgpr10
	s_and_saveexec_b64 s[8:9], vcc
; %bb.2738:
	s_mov_b32 s10, 0x7f800001
	s_xor_b64 s[4:5], exec, -1
; %bb.2739:
	s_or_b64 exec, exec, s[8:9]
	s_and_b64 s[4:5], s[4:5], exec
                                        ; implicit-def: $vgpr6
	s_or_saveexec_b64 s[6:7], s[6:7]
	v_mov_b32_e32 v2, s10
	s_xor_b64 exec, exec, s[6:7]
	s_cbranch_execz .LBB39_690
.LBB39_2740:
	v_cmp_ne_u16_e32 vcc, 0, v6
	s_andn2_b64 s[4:5], s[4:5], exec
	s_and_b64 s[8:9], vcc, exec
	v_mov_b32_e32 v2, 0
	s_or_b64 s[4:5], s[4:5], s[8:9]
	s_or_b64 exec, exec, s[6:7]
	s_and_saveexec_b64 s[6:7], s[4:5]
	s_cbranch_execnz .LBB39_691
	s_branch .LBB39_692
.LBB39_2741:
	s_movk_i32 s4, 0x80
	v_cmp_eq_u16_e32 vcc, s4, v6
	s_mov_b64 s[4:5], -1
                                        ; implicit-def: $sgpr10
	s_and_saveexec_b64 s[8:9], vcc
; %bb.2742:
	s_mov_b32 s10, 0x7f800001
	s_xor_b64 s[4:5], exec, -1
; %bb.2743:
	s_or_b64 exec, exec, s[8:9]
	s_and_b64 s[4:5], s[4:5], exec
                                        ; implicit-def: $vgpr6
	s_or_saveexec_b64 s[6:7], s[6:7]
	v_mov_b32_e32 v10, s10
	s_xor_b64 exec, exec, s[6:7]
	s_cbranch_execz .LBB39_694
.LBB39_2744:
	v_cmp_ne_u16_e32 vcc, 0, v6
	s_andn2_b64 s[4:5], s[4:5], exec
	s_and_b64 s[8:9], vcc, exec
	v_mov_b32_e32 v10, 0
	s_or_b64 s[4:5], s[4:5], s[8:9]
	s_or_b64 exec, exec, s[6:7]
	s_and_saveexec_b64 s[6:7], s[4:5]
	s_cbranch_execnz .LBB39_695
	s_branch .LBB39_696
.LBB39_2745:
	s_movk_i32 s4, 0x80
	v_cmp_eq_u16_sdwa s[12:13], v7, s4 src0_sel:BYTE_3 src1_sel:DWORD
	s_mov_b64 s[4:5], -1
                                        ; implicit-def: $sgpr10
	s_and_saveexec_b64 s[8:9], s[12:13]
; %bb.2746:
	s_mov_b32 s10, 0x7f800001
	s_xor_b64 s[4:5], exec, -1
; %bb.2747:
	s_or_b64 exec, exec, s[8:9]
	s_and_b64 s[4:5], s[4:5], exec
	s_or_saveexec_b64 s[6:7], s[6:7]
	v_mov_b32_e32 v2, s10
	s_xor_b64 exec, exec, s[6:7]
	s_cbranch_execz .LBB39_698
.LBB39_2748:
	v_mov_b32_e32 v2, 0
	v_cmp_ne_u16_sdwa s[8:9], v7, v2 src0_sel:BYTE_3 src1_sel:DWORD
	s_andn2_b64 s[4:5], s[4:5], exec
	s_and_b64 s[8:9], s[8:9], exec
	s_or_b64 s[4:5], s[4:5], s[8:9]
	s_or_b64 exec, exec, s[6:7]
	s_and_saveexec_b64 s[6:7], s[4:5]
	s_cbranch_execnz .LBB39_699
	s_branch .LBB39_700
.LBB39_2749:
	s_movk_i32 s4, 0x80
	v_cmp_eq_u16_sdwa s[12:13], v3, s4 src0_sel:BYTE_3 src1_sel:DWORD
	s_mov_b64 s[4:5], -1
                                        ; implicit-def: $sgpr10
	s_and_saveexec_b64 s[8:9], s[12:13]
; %bb.2750:
	s_mov_b32 s10, 0x7f800001
	s_xor_b64 s[4:5], exec, -1
; %bb.2751:
	s_or_b64 exec, exec, s[8:9]
	s_and_b64 s[4:5], s[4:5], exec
	s_or_saveexec_b64 s[6:7], s[6:7]
	v_mov_b32_e32 v6, s10
	s_xor_b64 exec, exec, s[6:7]
	s_cbranch_execz .LBB39_702
.LBB39_2752:
	v_mov_b32_e32 v6, 0
	v_cmp_ne_u16_sdwa s[8:9], v3, v6 src0_sel:BYTE_3 src1_sel:DWORD
	s_andn2_b64 s[4:5], s[4:5], exec
	s_and_b64 s[8:9], s[8:9], exec
	s_or_b64 s[4:5], s[4:5], s[8:9]
	s_or_b64 exec, exec, s[6:7]
	s_and_saveexec_b64 s[6:7], s[4:5]
	s_cbranch_execnz .LBB39_703
	s_branch .LBB39_704
.LBB39_2753:
	s_movk_i32 s4, 0x80
	v_cmp_eq_u16_sdwa s[12:13], v8, s4 src0_sel:BYTE_0 src1_sel:DWORD
	s_mov_b64 s[4:5], -1
                                        ; implicit-def: $sgpr10
	s_and_saveexec_b64 s[8:9], s[12:13]
; %bb.2754:
	s_mov_b32 s10, 0x7f800001
	s_xor_b64 s[4:5], exec, -1
; %bb.2755:
	s_or_b64 exec, exec, s[8:9]
	s_and_b64 s[4:5], s[4:5], exec
	s_or_saveexec_b64 s[6:7], s[6:7]
	v_mov_b32_e32 v2, s10
	s_xor_b64 exec, exec, s[6:7]
	s_cbranch_execz .LBB39_706
.LBB39_2756:
	v_mov_b32_e32 v2, 0
	v_cmp_ne_u16_sdwa s[8:9], v8, v2 src0_sel:BYTE_0 src1_sel:DWORD
	s_andn2_b64 s[4:5], s[4:5], exec
	s_and_b64 s[8:9], s[8:9], exec
	s_or_b64 s[4:5], s[4:5], s[8:9]
	s_or_b64 exec, exec, s[6:7]
	s_and_saveexec_b64 s[6:7], s[4:5]
	s_cbranch_execnz .LBB39_707
	s_branch .LBB39_708
.LBB39_2757:
	s_movk_i32 s4, 0x80
	v_cmp_eq_u16_sdwa s[12:13], v4, s4 src0_sel:BYTE_0 src1_sel:DWORD
	s_mov_b64 s[4:5], -1
                                        ; implicit-def: $sgpr10
	s_and_saveexec_b64 s[8:9], s[12:13]
; %bb.2758:
	s_mov_b32 s10, 0x7f800001
	s_xor_b64 s[4:5], exec, -1
; %bb.2759:
	s_or_b64 exec, exec, s[8:9]
	s_and_b64 s[4:5], s[4:5], exec
	s_or_saveexec_b64 s[6:7], s[6:7]
	v_mov_b32_e32 v3, s10
	s_xor_b64 exec, exec, s[6:7]
	s_cbranch_execz .LBB39_710
.LBB39_2760:
	v_mov_b32_e32 v3, 0
	v_cmp_ne_u16_sdwa s[8:9], v4, v3 src0_sel:BYTE_0 src1_sel:DWORD
	s_andn2_b64 s[4:5], s[4:5], exec
	s_and_b64 s[8:9], s[8:9], exec
	s_or_b64 s[4:5], s[4:5], s[8:9]
	s_or_b64 exec, exec, s[6:7]
	s_and_saveexec_b64 s[6:7], s[4:5]
	s_cbranch_execnz .LBB39_711
	s_branch .LBB39_712
.LBB39_2761:
	s_movk_i32 s4, 0x80
	v_cmp_eq_u16_sdwa s[12:13], v3, s4 src0_sel:BYTE_0 src1_sel:DWORD
	s_mov_b64 s[4:5], -1
                                        ; implicit-def: $sgpr10
	s_and_saveexec_b64 s[8:9], s[12:13]
; %bb.2762:
	s_mov_b32 s10, 0x7f800001
	s_xor_b64 s[4:5], exec, -1
; %bb.2763:
	s_or_b64 exec, exec, s[8:9]
	s_and_b64 s[4:5], s[4:5], exec
	s_or_saveexec_b64 s[6:7], s[6:7]
	v_mov_b32_e32 v2, s10
	s_xor_b64 exec, exec, s[6:7]
	s_cbranch_execz .LBB39_714
.LBB39_2764:
	v_mov_b32_e32 v2, 0
	v_cmp_ne_u16_sdwa s[8:9], v3, v2 src0_sel:BYTE_0 src1_sel:DWORD
	s_andn2_b64 s[4:5], s[4:5], exec
	s_and_b64 s[8:9], s[8:9], exec
	s_or_b64 s[4:5], s[4:5], s[8:9]
	s_or_b64 exec, exec, s[6:7]
	s_and_saveexec_b64 s[6:7], s[4:5]
	s_cbranch_execnz .LBB39_715
	s_branch .LBB39_716
.LBB39_2765:
	s_movk_i32 s4, 0x80
	v_cmp_eq_u16_sdwa s[12:13], v3, s4 src0_sel:BYTE_0 src1_sel:DWORD
	s_mov_b64 s[4:5], -1
                                        ; implicit-def: $sgpr10
	s_and_saveexec_b64 s[8:9], s[12:13]
; %bb.2766:
	s_mov_b32 s10, 0x7f800001
	s_xor_b64 s[4:5], exec, -1
; %bb.2767:
	s_or_b64 exec, exec, s[8:9]
	s_and_b64 s[4:5], s[4:5], exec
	s_or_saveexec_b64 s[6:7], s[6:7]
	v_mov_b32_e32 v6, s10
	s_xor_b64 exec, exec, s[6:7]
	s_cbranch_execz .LBB39_718
.LBB39_2768:
	v_mov_b32_e32 v6, 0
	v_cmp_ne_u16_sdwa s[8:9], v3, v6 src0_sel:BYTE_0 src1_sel:DWORD
	s_andn2_b64 s[4:5], s[4:5], exec
	s_and_b64 s[8:9], s[8:9], exec
	s_or_b64 s[4:5], s[4:5], s[8:9]
	s_or_b64 exec, exec, s[6:7]
	s_and_saveexec_b64 s[6:7], s[4:5]
	s_cbranch_execnz .LBB39_719
	s_branch .LBB39_720
.LBB39_2769:
	s_movk_i32 s4, 0x80
	v_cmp_eq_u16_e32 vcc, s4, v3
	s_mov_b64 s[4:5], -1
                                        ; implicit-def: $sgpr10
	s_and_saveexec_b64 s[8:9], vcc
; %bb.2770:
	s_mov_b32 s10, 0x7f800001
	s_xor_b64 s[4:5], exec, -1
; %bb.2771:
	s_or_b64 exec, exec, s[8:9]
	s_and_b64 s[4:5], s[4:5], exec
                                        ; implicit-def: $vgpr3
	s_or_saveexec_b64 s[6:7], s[6:7]
	v_mov_b32_e32 v2, s10
	s_xor_b64 exec, exec, s[6:7]
	s_cbranch_execz .LBB39_722
.LBB39_2772:
	v_cmp_ne_u16_e32 vcc, 0, v3
	s_andn2_b64 s[4:5], s[4:5], exec
	s_and_b64 s[8:9], vcc, exec
	v_mov_b32_e32 v2, 0
	s_or_b64 s[4:5], s[4:5], s[8:9]
	s_or_b64 exec, exec, s[6:7]
	s_and_saveexec_b64 s[6:7], s[4:5]
	s_cbranch_execnz .LBB39_723
	s_branch .LBB39_724
.LBB39_2773:
	s_movk_i32 s4, 0x80
	v_cmp_eq_u16_e32 vcc, s4, v3
	s_mov_b64 s[4:5], -1
                                        ; implicit-def: $sgpr10
	s_and_saveexec_b64 s[8:9], vcc
; %bb.2774:
	s_mov_b32 s10, 0x7f800001
	s_xor_b64 s[4:5], exec, -1
; %bb.2775:
	s_or_b64 exec, exec, s[8:9]
	s_and_b64 s[4:5], s[4:5], exec
                                        ; implicit-def: $vgpr3
	s_or_saveexec_b64 s[6:7], s[6:7]
	v_mov_b32_e32 v6, s10
	s_xor_b64 exec, exec, s[6:7]
	s_cbranch_execz .LBB39_726
.LBB39_2776:
	v_cmp_ne_u16_e32 vcc, 0, v3
	s_andn2_b64 s[4:5], s[4:5], exec
	s_and_b64 s[8:9], vcc, exec
	v_mov_b32_e32 v6, 0
	s_or_b64 s[4:5], s[4:5], s[8:9]
	s_or_b64 exec, exec, s[6:7]
	s_and_saveexec_b64 s[6:7], s[4:5]
	s_cbranch_execnz .LBB39_727
	s_branch .LBB39_728
.LBB39_2777:
	s_movk_i32 s4, 0x80
	v_cmp_eq_u16_sdwa s[12:13], v8, s4 src0_sel:BYTE_3 src1_sel:DWORD
	s_mov_b64 s[4:5], -1
                                        ; implicit-def: $sgpr10
	s_and_saveexec_b64 s[8:9], s[12:13]
; %bb.2778:
	s_mov_b32 s10, 0x7f800001
	s_xor_b64 s[4:5], exec, -1
; %bb.2779:
	s_or_b64 exec, exec, s[8:9]
	s_and_b64 s[4:5], s[4:5], exec
	s_or_saveexec_b64 s[6:7], s[6:7]
	v_mov_b32_e32 v2, s10
	s_xor_b64 exec, exec, s[6:7]
	s_cbranch_execz .LBB39_730
.LBB39_2780:
	v_mov_b32_e32 v2, 0
	v_cmp_ne_u16_sdwa s[8:9], v8, v2 src0_sel:BYTE_3 src1_sel:DWORD
	s_andn2_b64 s[4:5], s[4:5], exec
	s_and_b64 s[8:9], s[8:9], exec
	s_or_b64 s[4:5], s[4:5], s[8:9]
	s_or_b64 exec, exec, s[6:7]
	s_and_saveexec_b64 s[6:7], s[4:5]
	s_cbranch_execnz .LBB39_731
	s_branch .LBB39_732
.LBB39_2781:
	s_movk_i32 s4, 0x80
	v_cmp_eq_u16_sdwa s[12:13], v4, s4 src0_sel:BYTE_3 src1_sel:DWORD
	s_mov_b64 s[4:5], -1
                                        ; implicit-def: $sgpr10
	s_and_saveexec_b64 s[8:9], s[12:13]
; %bb.2782:
	s_mov_b32 s10, 0x7f800001
	s_xor_b64 s[4:5], exec, -1
; %bb.2783:
	s_or_b64 exec, exec, s[8:9]
	s_and_b64 s[4:5], s[4:5], exec
	s_or_saveexec_b64 s[6:7], s[6:7]
	v_mov_b32_e32 v3, s10
	s_xor_b64 exec, exec, s[6:7]
	s_cbranch_execz .LBB39_734
.LBB39_2784:
	v_mov_b32_e32 v3, 0
	v_cmp_ne_u16_sdwa s[8:9], v4, v3 src0_sel:BYTE_3 src1_sel:DWORD
	s_andn2_b64 s[4:5], s[4:5], exec
	s_and_b64 s[8:9], s[8:9], exec
	s_or_b64 s[4:5], s[4:5], s[8:9]
	s_or_b64 exec, exec, s[6:7]
	s_and_saveexec_b64 s[6:7], s[4:5]
	s_cbranch_execnz .LBB39_735
	s_branch .LBB39_736
.LBB39_2785:
	s_movk_i32 s4, 0x80
	v_cmp_eq_u16_sdwa s[12:13], v9, s4 src0_sel:BYTE_0 src1_sel:DWORD
	s_mov_b64 s[4:5], -1
                                        ; implicit-def: $sgpr10
	s_and_saveexec_b64 s[8:9], s[12:13]
; %bb.2786:
	s_mov_b32 s10, 0x7f800001
	s_xor_b64 s[4:5], exec, -1
; %bb.2787:
	s_or_b64 exec, exec, s[8:9]
	s_and_b64 s[4:5], s[4:5], exec
	s_or_saveexec_b64 s[6:7], s[6:7]
	v_mov_b32_e32 v2, s10
	s_xor_b64 exec, exec, s[6:7]
	s_cbranch_execz .LBB39_738
.LBB39_2788:
	v_mov_b32_e32 v2, 0
	v_cmp_ne_u16_sdwa s[8:9], v9, v2 src0_sel:BYTE_0 src1_sel:DWORD
	s_andn2_b64 s[4:5], s[4:5], exec
	s_and_b64 s[8:9], s[8:9], exec
	s_or_b64 s[4:5], s[4:5], s[8:9]
	s_or_b64 exec, exec, s[6:7]
	s_and_saveexec_b64 s[6:7], s[4:5]
	s_cbranch_execnz .LBB39_739
	s_branch .LBB39_740
.LBB39_2789:
	s_movk_i32 s4, 0x80
	v_cmp_eq_u16_sdwa s[12:13], v5, s4 src0_sel:BYTE_0 src1_sel:DWORD
	s_mov_b64 s[4:5], -1
                                        ; implicit-def: $sgpr10
	s_and_saveexec_b64 s[8:9], s[12:13]
; %bb.2790:
	s_mov_b32 s10, 0x7f800001
	s_xor_b64 s[4:5], exec, -1
; %bb.2791:
	s_or_b64 exec, exec, s[8:9]
	s_and_b64 s[4:5], s[4:5], exec
	s_or_saveexec_b64 s[6:7], s[6:7]
	v_mov_b32_e32 v3, s10
	s_xor_b64 exec, exec, s[6:7]
	s_cbranch_execz .LBB39_742
.LBB39_2792:
	v_mov_b32_e32 v3, 0
	v_cmp_ne_u16_sdwa s[8:9], v5, v3 src0_sel:BYTE_0 src1_sel:DWORD
	s_andn2_b64 s[4:5], s[4:5], exec
	s_and_b64 s[8:9], s[8:9], exec
	s_or_b64 s[4:5], s[4:5], s[8:9]
	s_or_b64 exec, exec, s[6:7]
	s_and_saveexec_b64 s[6:7], s[4:5]
	s_cbranch_execnz .LBB39_743
	s_branch .LBB39_744
.LBB39_2793:
	s_movk_i32 s4, 0x80
	v_cmp_eq_u16_sdwa s[12:13], v3, s4 src0_sel:BYTE_0 src1_sel:DWORD
	s_mov_b64 s[4:5], -1
                                        ; implicit-def: $sgpr10
	s_and_saveexec_b64 s[8:9], s[12:13]
; %bb.2794:
	s_mov_b32 s10, 0x7f800001
	s_xor_b64 s[4:5], exec, -1
; %bb.2795:
	s_or_b64 exec, exec, s[8:9]
	s_and_b64 s[4:5], s[4:5], exec
	s_or_saveexec_b64 s[6:7], s[6:7]
	v_mov_b32_e32 v2, s10
	s_xor_b64 exec, exec, s[6:7]
	s_cbranch_execz .LBB39_746
.LBB39_2796:
	v_mov_b32_e32 v2, 0
	v_cmp_ne_u16_sdwa s[8:9], v3, v2 src0_sel:BYTE_0 src1_sel:DWORD
	s_andn2_b64 s[4:5], s[4:5], exec
	s_and_b64 s[8:9], s[8:9], exec
	s_or_b64 s[4:5], s[4:5], s[8:9]
	s_or_b64 exec, exec, s[6:7]
	s_and_saveexec_b64 s[6:7], s[4:5]
	s_cbranch_execnz .LBB39_747
	s_branch .LBB39_748
.LBB39_2797:
	s_movk_i32 s4, 0x80
	v_cmp_eq_u16_sdwa s[12:13], v3, s4 src0_sel:BYTE_0 src1_sel:DWORD
	s_mov_b64 s[4:5], -1
                                        ; implicit-def: $sgpr10
	s_and_saveexec_b64 s[8:9], s[12:13]
; %bb.2798:
	s_mov_b32 s10, 0x7f800001
	s_xor_b64 s[4:5], exec, -1
; %bb.2799:
	s_or_b64 exec, exec, s[8:9]
	s_and_b64 s[4:5], s[4:5], exec
	s_or_saveexec_b64 s[6:7], s[6:7]
	v_mov_b32_e32 v4, s10
	s_xor_b64 exec, exec, s[6:7]
	s_cbranch_execz .LBB39_750
.LBB39_2800:
	v_mov_b32_e32 v4, 0
	v_cmp_ne_u16_sdwa s[8:9], v3, v4 src0_sel:BYTE_0 src1_sel:DWORD
	s_andn2_b64 s[4:5], s[4:5], exec
	s_and_b64 s[8:9], s[8:9], exec
	s_or_b64 s[4:5], s[4:5], s[8:9]
	s_or_b64 exec, exec, s[6:7]
	s_and_saveexec_b64 s[6:7], s[4:5]
	s_cbranch_execnz .LBB39_751
	s_branch .LBB39_752
.LBB39_2801:
	s_movk_i32 s4, 0x80
	v_cmp_eq_u16_e32 vcc, s4, v3
	s_mov_b64 s[4:5], -1
                                        ; implicit-def: $sgpr10
	s_and_saveexec_b64 s[8:9], vcc
; %bb.2802:
	s_mov_b32 s10, 0x7f800001
	s_xor_b64 s[4:5], exec, -1
; %bb.2803:
	s_or_b64 exec, exec, s[8:9]
	s_and_b64 s[4:5], s[4:5], exec
                                        ; implicit-def: $vgpr3
	s_or_saveexec_b64 s[6:7], s[6:7]
	v_mov_b32_e32 v2, s10
	s_xor_b64 exec, exec, s[6:7]
	s_cbranch_execz .LBB39_754
.LBB39_2804:
	v_cmp_ne_u16_e32 vcc, 0, v3
	s_andn2_b64 s[4:5], s[4:5], exec
	s_and_b64 s[8:9], vcc, exec
	v_mov_b32_e32 v2, 0
	s_or_b64 s[4:5], s[4:5], s[8:9]
	s_or_b64 exec, exec, s[6:7]
	s_and_saveexec_b64 s[6:7], s[4:5]
	s_cbranch_execnz .LBB39_755
	s_branch .LBB39_756
.LBB39_2805:
	s_movk_i32 s4, 0x80
	v_cmp_eq_u16_e32 vcc, s4, v3
	s_mov_b64 s[4:5], -1
                                        ; implicit-def: $sgpr10
	s_and_saveexec_b64 s[8:9], vcc
; %bb.2806:
	s_mov_b32 s10, 0x7f800001
	s_xor_b64 s[4:5], exec, -1
; %bb.2807:
	s_or_b64 exec, exec, s[8:9]
	s_and_b64 s[4:5], s[4:5], exec
                                        ; implicit-def: $vgpr3
	s_or_saveexec_b64 s[6:7], s[6:7]
	v_mov_b32_e32 v4, s10
	s_xor_b64 exec, exec, s[6:7]
	s_cbranch_execz .LBB39_758
.LBB39_2808:
	v_cmp_ne_u16_e32 vcc, 0, v3
	s_andn2_b64 s[4:5], s[4:5], exec
	s_and_b64 s[8:9], vcc, exec
	v_mov_b32_e32 v4, 0
	s_or_b64 s[4:5], s[4:5], s[8:9]
	s_or_b64 exec, exec, s[6:7]
	s_and_saveexec_b64 s[6:7], s[4:5]
	s_cbranch_execnz .LBB39_759
	s_branch .LBB39_760
.LBB39_2809:
	s_movk_i32 s4, 0x80
	v_cmp_eq_u16_sdwa s[12:13], v9, s4 src0_sel:BYTE_3 src1_sel:DWORD
	s_mov_b64 s[4:5], -1
                                        ; implicit-def: $sgpr10
	s_and_saveexec_b64 s[8:9], s[12:13]
; %bb.2810:
	s_mov_b32 s10, 0x7f800001
	s_xor_b64 s[4:5], exec, -1
; %bb.2811:
	s_or_b64 exec, exec, s[8:9]
	s_and_b64 s[4:5], s[4:5], exec
	s_or_saveexec_b64 s[6:7], s[6:7]
	v_mov_b32_e32 v2, s10
	s_xor_b64 exec, exec, s[6:7]
	s_cbranch_execz .LBB39_762
.LBB39_2812:
	v_mov_b32_e32 v2, 0
	v_cmp_ne_u16_sdwa s[8:9], v9, v2 src0_sel:BYTE_3 src1_sel:DWORD
	s_andn2_b64 s[4:5], s[4:5], exec
	s_and_b64 s[8:9], s[8:9], exec
	s_or_b64 s[4:5], s[4:5], s[8:9]
	s_or_b64 exec, exec, s[6:7]
	s_and_saveexec_b64 s[6:7], s[4:5]
	s_cbranch_execnz .LBB39_763
	s_branch .LBB39_764
.LBB39_2813:
	s_movk_i32 s4, 0x80
	v_cmp_eq_u16_sdwa s[12:13], v5, s4 src0_sel:BYTE_3 src1_sel:DWORD
	s_mov_b64 s[4:5], -1
                                        ; implicit-def: $sgpr10
	s_and_saveexec_b64 s[8:9], s[12:13]
; %bb.2814:
	s_mov_b32 s10, 0x7f800001
	s_xor_b64 s[4:5], exec, -1
; %bb.2815:
	s_or_b64 exec, exec, s[8:9]
	s_and_b64 s[4:5], s[4:5], exec
	s_or_saveexec_b64 s[6:7], s[6:7]
	v_mov_b32_e32 v3, s10
	s_xor_b64 exec, exec, s[6:7]
	s_cbranch_execz .LBB39_766
.LBB39_2816:
	v_mov_b32_e32 v3, 0
	v_cmp_ne_u16_sdwa s[8:9], v5, v3 src0_sel:BYTE_3 src1_sel:DWORD
	s_andn2_b64 s[4:5], s[4:5], exec
	s_and_b64 s[8:9], s[8:9], exec
	s_or_b64 s[4:5], s[4:5], s[8:9]
	s_or_b64 exec, exec, s[6:7]
	s_and_saveexec_b64 s[6:7], s[4:5]
	s_cbranch_execnz .LBB39_767
	s_branch .LBB39_768
.LBB39_2817:
	s_movk_i32 s4, 0x80
	v_cmp_eq_u16_sdwa s[12:13], v14, s4 src0_sel:BYTE_0 src1_sel:DWORD
	s_mov_b64 s[4:5], -1
                                        ; implicit-def: $sgpr10
	s_and_saveexec_b64 s[8:9], s[12:13]
; %bb.2818:
	s_mov_b32 s10, 0x7f800001
	s_xor_b64 s[4:5], exec, -1
; %bb.2819:
	s_or_b64 exec, exec, s[8:9]
	s_and_b64 s[4:5], s[4:5], exec
	s_or_saveexec_b64 s[6:7], s[6:7]
	v_mov_b32_e32 v20, s10
	s_xor_b64 exec, exec, s[6:7]
	s_cbranch_execz .LBB39_770
.LBB39_2820:
	v_mov_b32_e32 v20, 0
	v_cmp_ne_u16_sdwa s[8:9], v14, v20 src0_sel:BYTE_0 src1_sel:DWORD
	s_andn2_b64 s[4:5], s[4:5], exec
	s_and_b64 s[8:9], s[8:9], exec
	s_or_b64 s[4:5], s[4:5], s[8:9]
	s_or_b64 exec, exec, s[6:7]
	s_and_saveexec_b64 s[6:7], s[4:5]
	s_cbranch_execnz .LBB39_771
	s_branch .LBB39_772
.LBB39_2821:
	s_movk_i32 s4, 0x80
	v_cmp_eq_u16_sdwa s[12:13], v10, s4 src0_sel:BYTE_0 src1_sel:DWORD
	s_mov_b64 s[4:5], -1
                                        ; implicit-def: $sgpr10
	s_and_saveexec_b64 s[8:9], s[12:13]
; %bb.2822:
	s_mov_b32 s10, 0x7f800001
	s_xor_b64 s[4:5], exec, -1
; %bb.2823:
	s_or_b64 exec, exec, s[8:9]
	s_and_b64 s[4:5], s[4:5], exec
	s_or_saveexec_b64 s[6:7], s[6:7]
	v_mov_b32_e32 v21, s10
	s_xor_b64 exec, exec, s[6:7]
	s_cbranch_execz .LBB39_774
.LBB39_2824:
	v_mov_b32_e32 v21, 0
	v_cmp_ne_u16_sdwa s[8:9], v10, v21 src0_sel:BYTE_0 src1_sel:DWORD
	s_andn2_b64 s[4:5], s[4:5], exec
	s_and_b64 s[8:9], s[8:9], exec
	s_or_b64 s[4:5], s[4:5], s[8:9]
	s_or_b64 exec, exec, s[6:7]
	s_and_saveexec_b64 s[6:7], s[4:5]
	s_cbranch_execnz .LBB39_775
	s_branch .LBB39_776
.LBB39_2825:
	s_movk_i32 s4, 0x80
	v_cmp_eq_u16_sdwa s[12:13], v21, s4 src0_sel:BYTE_0 src1_sel:DWORD
	s_mov_b64 s[4:5], -1
                                        ; implicit-def: $sgpr10
	s_and_saveexec_b64 s[8:9], s[12:13]
; %bb.2826:
	s_mov_b32 s10, 0x7f800001
	s_xor_b64 s[4:5], exec, -1
; %bb.2827:
	s_or_b64 exec, exec, s[8:9]
	s_and_b64 s[4:5], s[4:5], exec
	s_or_saveexec_b64 s[6:7], s[6:7]
	v_mov_b32_e32 v20, s10
	s_xor_b64 exec, exec, s[6:7]
	s_cbranch_execz .LBB39_778
.LBB39_2828:
	v_mov_b32_e32 v20, 0
	v_cmp_ne_u16_sdwa s[8:9], v21, v20 src0_sel:BYTE_0 src1_sel:DWORD
	s_andn2_b64 s[4:5], s[4:5], exec
	s_and_b64 s[8:9], s[8:9], exec
	s_or_b64 s[4:5], s[4:5], s[8:9]
	s_or_b64 exec, exec, s[6:7]
	s_and_saveexec_b64 s[6:7], s[4:5]
	s_cbranch_execnz .LBB39_779
	s_branch .LBB39_780
.LBB39_2829:
	s_movk_i32 s4, 0x80
	v_cmp_eq_u16_sdwa s[12:13], v21, s4 src0_sel:BYTE_0 src1_sel:DWORD
	s_mov_b64 s[4:5], -1
                                        ; implicit-def: $sgpr10
	s_and_saveexec_b64 s[8:9], s[12:13]
; %bb.2830:
	s_mov_b32 s10, 0x7f800001
	s_xor_b64 s[4:5], exec, -1
; %bb.2831:
	s_or_b64 exec, exec, s[8:9]
	s_and_b64 s[4:5], s[4:5], exec
	s_or_saveexec_b64 s[6:7], s[6:7]
	v_mov_b32_e32 v22, s10
	s_xor_b64 exec, exec, s[6:7]
	s_cbranch_execz .LBB39_782
.LBB39_2832:
	v_mov_b32_e32 v22, 0
	v_cmp_ne_u16_sdwa s[8:9], v21, v22 src0_sel:BYTE_0 src1_sel:DWORD
	s_andn2_b64 s[4:5], s[4:5], exec
	s_and_b64 s[8:9], s[8:9], exec
	s_or_b64 s[4:5], s[4:5], s[8:9]
	s_or_b64 exec, exec, s[6:7]
	s_and_saveexec_b64 s[6:7], s[4:5]
	s_cbranch_execnz .LBB39_783
	s_branch .LBB39_784
.LBB39_2833:
	s_movk_i32 s4, 0x80
	v_cmp_eq_u16_e32 vcc, s4, v21
	s_mov_b64 s[4:5], -1
                                        ; implicit-def: $sgpr10
	s_and_saveexec_b64 s[8:9], vcc
; %bb.2834:
	s_mov_b32 s10, 0x7f800001
	s_xor_b64 s[4:5], exec, -1
; %bb.2835:
	s_or_b64 exec, exec, s[8:9]
	s_and_b64 s[4:5], s[4:5], exec
                                        ; implicit-def: $vgpr21
	s_or_saveexec_b64 s[6:7], s[6:7]
	v_mov_b32_e32 v20, s10
	s_xor_b64 exec, exec, s[6:7]
	s_cbranch_execz .LBB39_786
.LBB39_2836:
	v_cmp_ne_u16_e32 vcc, 0, v21
	s_andn2_b64 s[4:5], s[4:5], exec
	s_and_b64 s[8:9], vcc, exec
	v_mov_b32_e32 v20, 0
	s_or_b64 s[4:5], s[4:5], s[8:9]
	s_or_b64 exec, exec, s[6:7]
	s_and_saveexec_b64 s[6:7], s[4:5]
	s_cbranch_execnz .LBB39_787
	s_branch .LBB39_788
.LBB39_2837:
	s_movk_i32 s4, 0x80
	v_cmp_eq_u16_e32 vcc, s4, v21
	s_mov_b64 s[4:5], -1
                                        ; implicit-def: $sgpr10
	s_and_saveexec_b64 s[8:9], vcc
; %bb.2838:
	s_mov_b32 s10, 0x7f800001
	s_xor_b64 s[4:5], exec, -1
; %bb.2839:
	s_or_b64 exec, exec, s[8:9]
	s_and_b64 s[4:5], s[4:5], exec
                                        ; implicit-def: $vgpr21
	s_or_saveexec_b64 s[6:7], s[6:7]
	v_mov_b32_e32 v22, s10
	s_xor_b64 exec, exec, s[6:7]
	s_cbranch_execz .LBB39_790
.LBB39_2840:
	v_cmp_ne_u16_e32 vcc, 0, v21
	s_andn2_b64 s[4:5], s[4:5], exec
	s_and_b64 s[8:9], vcc, exec
	v_mov_b32_e32 v22, 0
	s_or_b64 s[4:5], s[4:5], s[8:9]
	s_or_b64 exec, exec, s[6:7]
	s_and_saveexec_b64 s[6:7], s[4:5]
	s_cbranch_execnz .LBB39_791
	s_branch .LBB39_792
.LBB39_2841:
	s_movk_i32 s4, 0x80
	v_cmp_eq_u16_sdwa s[12:13], v14, s4 src0_sel:BYTE_3 src1_sel:DWORD
	s_mov_b64 s[4:5], -1
                                        ; implicit-def: $sgpr10
	s_and_saveexec_b64 s[8:9], s[12:13]
; %bb.2842:
	s_mov_b32 s10, 0x7f800001
	s_xor_b64 s[4:5], exec, -1
; %bb.2843:
	s_or_b64 exec, exec, s[8:9]
	s_and_b64 s[4:5], s[4:5], exec
	s_or_saveexec_b64 s[6:7], s[6:7]
	v_mov_b32_e32 v20, s10
	s_xor_b64 exec, exec, s[6:7]
	s_cbranch_execz .LBB39_794
.LBB39_2844:
	v_mov_b32_e32 v20, 0
	v_cmp_ne_u16_sdwa s[8:9], v14, v20 src0_sel:BYTE_3 src1_sel:DWORD
	s_andn2_b64 s[4:5], s[4:5], exec
	s_and_b64 s[8:9], s[8:9], exec
	s_or_b64 s[4:5], s[4:5], s[8:9]
	s_or_b64 exec, exec, s[6:7]
	s_and_saveexec_b64 s[6:7], s[4:5]
	s_cbranch_execnz .LBB39_795
	s_branch .LBB39_796
.LBB39_2845:
	s_movk_i32 s4, 0x80
	v_cmp_eq_u16_sdwa s[12:13], v10, s4 src0_sel:BYTE_3 src1_sel:DWORD
	s_mov_b64 s[4:5], -1
                                        ; implicit-def: $sgpr10
	s_and_saveexec_b64 s[8:9], s[12:13]
; %bb.2846:
	s_mov_b32 s10, 0x7f800001
	s_xor_b64 s[4:5], exec, -1
; %bb.2847:
	s_or_b64 exec, exec, s[8:9]
	s_and_b64 s[4:5], s[4:5], exec
	s_or_saveexec_b64 s[6:7], s[6:7]
	v_mov_b32_e32 v14, s10
	s_xor_b64 exec, exec, s[6:7]
	s_cbranch_execz .LBB39_798
.LBB39_2848:
	v_mov_b32_e32 v14, 0
	v_cmp_ne_u16_sdwa s[8:9], v10, v14 src0_sel:BYTE_3 src1_sel:DWORD
	s_andn2_b64 s[4:5], s[4:5], exec
	s_and_b64 s[8:9], s[8:9], exec
	s_or_b64 s[4:5], s[4:5], s[8:9]
	s_or_b64 exec, exec, s[6:7]
	s_and_saveexec_b64 s[6:7], s[4:5]
	s_cbranch_execnz .LBB39_799
	s_branch .LBB39_800
.LBB39_2849:
	s_movk_i32 s4, 0x80
	v_cmp_eq_u16_sdwa s[12:13], v15, s4 src0_sel:BYTE_0 src1_sel:DWORD
	s_mov_b64 s[4:5], -1
                                        ; implicit-def: $sgpr10
	s_and_saveexec_b64 s[8:9], s[12:13]
; %bb.2850:
	s_mov_b32 s10, 0x7f800001
	s_xor_b64 s[4:5], exec, -1
; %bb.2851:
	s_or_b64 exec, exec, s[8:9]
	s_and_b64 s[4:5], s[4:5], exec
	s_or_saveexec_b64 s[6:7], s[6:7]
	v_mov_b32_e32 v10, s10
	s_xor_b64 exec, exec, s[6:7]
	s_cbranch_execz .LBB39_802
.LBB39_2852:
	v_mov_b32_e32 v10, 0
	v_cmp_ne_u16_sdwa s[8:9], v15, v10 src0_sel:BYTE_0 src1_sel:DWORD
	s_andn2_b64 s[4:5], s[4:5], exec
	s_and_b64 s[8:9], s[8:9], exec
	s_or_b64 s[4:5], s[4:5], s[8:9]
	s_or_b64 exec, exec, s[6:7]
	s_and_saveexec_b64 s[6:7], s[4:5]
	s_cbranch_execnz .LBB39_803
	s_branch .LBB39_804
.LBB39_2853:
	s_movk_i32 s4, 0x80
	v_cmp_eq_u16_sdwa s[12:13], v11, s4 src0_sel:BYTE_0 src1_sel:DWORD
	s_mov_b64 s[4:5], -1
                                        ; implicit-def: $sgpr10
	s_and_saveexec_b64 s[8:9], s[12:13]
; %bb.2854:
	s_mov_b32 s10, 0x7f800001
	s_xor_b64 s[4:5], exec, -1
; %bb.2855:
	s_or_b64 exec, exec, s[8:9]
	s_and_b64 s[4:5], s[4:5], exec
	s_or_saveexec_b64 s[6:7], s[6:7]
	v_mov_b32_e32 v14, s10
	s_xor_b64 exec, exec, s[6:7]
	s_cbranch_execz .LBB39_806
.LBB39_2856:
	v_mov_b32_e32 v14, 0
	v_cmp_ne_u16_sdwa s[8:9], v11, v14 src0_sel:BYTE_0 src1_sel:DWORD
	s_andn2_b64 s[4:5], s[4:5], exec
	s_and_b64 s[8:9], s[8:9], exec
	s_or_b64 s[4:5], s[4:5], s[8:9]
	s_or_b64 exec, exec, s[6:7]
	s_and_saveexec_b64 s[6:7], s[4:5]
	s_cbranch_execnz .LBB39_807
	s_branch .LBB39_808
.LBB39_2857:
	s_movk_i32 s4, 0x80
	v_cmp_eq_u16_sdwa s[12:13], v14, s4 src0_sel:BYTE_0 src1_sel:DWORD
	s_mov_b64 s[4:5], -1
                                        ; implicit-def: $sgpr10
	s_and_saveexec_b64 s[8:9], s[12:13]
; %bb.2858:
	s_mov_b32 s10, 0x7f800001
	s_xor_b64 s[4:5], exec, -1
; %bb.2859:
	s_or_b64 exec, exec, s[8:9]
	s_and_b64 s[4:5], s[4:5], exec
	s_or_saveexec_b64 s[6:7], s[6:7]
	v_mov_b32_e32 v10, s10
	s_xor_b64 exec, exec, s[6:7]
	s_cbranch_execz .LBB39_810
.LBB39_2860:
	v_mov_b32_e32 v10, 0
	v_cmp_ne_u16_sdwa s[8:9], v14, v10 src0_sel:BYTE_0 src1_sel:DWORD
	s_andn2_b64 s[4:5], s[4:5], exec
	s_and_b64 s[8:9], s[8:9], exec
	s_or_b64 s[4:5], s[4:5], s[8:9]
	s_or_b64 exec, exec, s[6:7]
	s_and_saveexec_b64 s[6:7], s[4:5]
	s_cbranch_execnz .LBB39_811
	s_branch .LBB39_812
.LBB39_2861:
	s_movk_i32 s4, 0x80
	v_cmp_eq_u16_sdwa s[12:13], v14, s4 src0_sel:BYTE_0 src1_sel:DWORD
	s_mov_b64 s[4:5], -1
                                        ; implicit-def: $sgpr10
	s_and_saveexec_b64 s[8:9], s[12:13]
; %bb.2862:
	s_mov_b32 s10, 0x7f800001
	s_xor_b64 s[4:5], exec, -1
; %bb.2863:
	s_or_b64 exec, exec, s[8:9]
	s_and_b64 s[4:5], s[4:5], exec
	s_or_saveexec_b64 s[6:7], s[6:7]
	v_mov_b32_e32 v20, s10
	s_xor_b64 exec, exec, s[6:7]
	s_cbranch_execz .LBB39_814
.LBB39_2864:
	v_mov_b32_e32 v20, 0
	v_cmp_ne_u16_sdwa s[8:9], v14, v20 src0_sel:BYTE_0 src1_sel:DWORD
	s_andn2_b64 s[4:5], s[4:5], exec
	s_and_b64 s[8:9], s[8:9], exec
	s_or_b64 s[4:5], s[4:5], s[8:9]
	s_or_b64 exec, exec, s[6:7]
	s_and_saveexec_b64 s[6:7], s[4:5]
	s_cbranch_execnz .LBB39_815
	s_branch .LBB39_816
.LBB39_2865:
	s_movk_i32 s4, 0x80
	v_cmp_eq_u16_e32 vcc, s4, v14
	s_mov_b64 s[4:5], -1
                                        ; implicit-def: $sgpr10
	s_and_saveexec_b64 s[8:9], vcc
; %bb.2866:
	s_mov_b32 s10, 0x7f800001
	s_xor_b64 s[4:5], exec, -1
; %bb.2867:
	s_or_b64 exec, exec, s[8:9]
	s_and_b64 s[4:5], s[4:5], exec
                                        ; implicit-def: $vgpr14
	s_or_saveexec_b64 s[6:7], s[6:7]
	v_mov_b32_e32 v10, s10
	s_xor_b64 exec, exec, s[6:7]
	s_cbranch_execz .LBB39_818
.LBB39_2868:
	v_cmp_ne_u16_e32 vcc, 0, v14
	s_andn2_b64 s[4:5], s[4:5], exec
	s_and_b64 s[8:9], vcc, exec
	v_mov_b32_e32 v10, 0
	s_or_b64 s[4:5], s[4:5], s[8:9]
	s_or_b64 exec, exec, s[6:7]
	s_and_saveexec_b64 s[6:7], s[4:5]
	s_cbranch_execnz .LBB39_819
	s_branch .LBB39_820
.LBB39_2869:
	s_movk_i32 s4, 0x80
	v_cmp_eq_u16_e32 vcc, s4, v14
	s_mov_b64 s[4:5], -1
                                        ; implicit-def: $sgpr10
	s_and_saveexec_b64 s[8:9], vcc
; %bb.2870:
	s_mov_b32 s10, 0x7f800001
	s_xor_b64 s[4:5], exec, -1
; %bb.2871:
	s_or_b64 exec, exec, s[8:9]
	s_and_b64 s[4:5], s[4:5], exec
                                        ; implicit-def: $vgpr14
	s_or_saveexec_b64 s[6:7], s[6:7]
	v_mov_b32_e32 v20, s10
	s_xor_b64 exec, exec, s[6:7]
	s_cbranch_execz .LBB39_822
.LBB39_2872:
	v_cmp_ne_u16_e32 vcc, 0, v14
	s_andn2_b64 s[4:5], s[4:5], exec
	s_and_b64 s[8:9], vcc, exec
	v_mov_b32_e32 v20, 0
	s_or_b64 s[4:5], s[4:5], s[8:9]
	s_or_b64 exec, exec, s[6:7]
	s_and_saveexec_b64 s[6:7], s[4:5]
	s_cbranch_execnz .LBB39_823
	s_branch .LBB39_824
.LBB39_2873:
	s_movk_i32 s4, 0x80
	v_cmp_eq_u16_sdwa s[12:13], v15, s4 src0_sel:BYTE_3 src1_sel:DWORD
	s_mov_b64 s[4:5], -1
                                        ; implicit-def: $sgpr10
	s_and_saveexec_b64 s[8:9], s[12:13]
; %bb.2874:
	s_mov_b32 s10, 0x7f800001
	s_xor_b64 s[4:5], exec, -1
; %bb.2875:
	s_or_b64 exec, exec, s[8:9]
	s_and_b64 s[4:5], s[4:5], exec
	s_or_saveexec_b64 s[6:7], s[6:7]
	v_mov_b32_e32 v10, s10
	s_xor_b64 exec, exec, s[6:7]
	s_cbranch_execz .LBB39_826
.LBB39_2876:
	v_mov_b32_e32 v10, 0
	v_cmp_ne_u16_sdwa s[8:9], v15, v10 src0_sel:BYTE_3 src1_sel:DWORD
	s_andn2_b64 s[4:5], s[4:5], exec
	s_and_b64 s[8:9], s[8:9], exec
	s_or_b64 s[4:5], s[4:5], s[8:9]
	s_or_b64 exec, exec, s[6:7]
	s_and_saveexec_b64 s[6:7], s[4:5]
	s_cbranch_execnz .LBB39_827
	s_branch .LBB39_828
.LBB39_2877:
	s_movk_i32 s4, 0x80
	v_cmp_eq_u16_sdwa s[12:13], v11, s4 src0_sel:BYTE_3 src1_sel:DWORD
	s_mov_b64 s[4:5], -1
                                        ; implicit-def: $sgpr10
	s_and_saveexec_b64 s[8:9], s[12:13]
; %bb.2878:
	s_mov_b32 s10, 0x7f800001
	s_xor_b64 s[4:5], exec, -1
; %bb.2879:
	s_or_b64 exec, exec, s[8:9]
	s_and_b64 s[4:5], s[4:5], exec
	s_or_saveexec_b64 s[6:7], s[6:7]
	v_mov_b32_e32 v14, s10
	s_xor_b64 exec, exec, s[6:7]
	s_cbranch_execz .LBB39_830
.LBB39_2880:
	v_mov_b32_e32 v14, 0
	v_cmp_ne_u16_sdwa s[8:9], v11, v14 src0_sel:BYTE_3 src1_sel:DWORD
	s_andn2_b64 s[4:5], s[4:5], exec
	s_and_b64 s[8:9], s[8:9], exec
	s_or_b64 s[4:5], s[4:5], s[8:9]
	s_or_b64 exec, exec, s[6:7]
	s_and_saveexec_b64 s[6:7], s[4:5]
	s_cbranch_execnz .LBB39_831
	s_branch .LBB39_832
.LBB39_2881:
	s_movk_i32 s4, 0x80
	v_cmp_eq_u16_sdwa s[12:13], v16, s4 src0_sel:BYTE_0 src1_sel:DWORD
	s_mov_b64 s[4:5], -1
                                        ; implicit-def: $sgpr10
	s_and_saveexec_b64 s[8:9], s[12:13]
; %bb.2882:
	s_mov_b32 s10, 0x7f800001
	s_xor_b64 s[4:5], exec, -1
; %bb.2883:
	s_or_b64 exec, exec, s[8:9]
	s_and_b64 s[4:5], s[4:5], exec
	s_or_saveexec_b64 s[6:7], s[6:7]
	v_mov_b32_e32 v10, s10
	s_xor_b64 exec, exec, s[6:7]
	s_cbranch_execz .LBB39_834
.LBB39_2884:
	v_mov_b32_e32 v10, 0
	v_cmp_ne_u16_sdwa s[8:9], v16, v10 src0_sel:BYTE_0 src1_sel:DWORD
	s_andn2_b64 s[4:5], s[4:5], exec
	s_and_b64 s[8:9], s[8:9], exec
	s_or_b64 s[4:5], s[4:5], s[8:9]
	s_or_b64 exec, exec, s[6:7]
	s_and_saveexec_b64 s[6:7], s[4:5]
	s_cbranch_execnz .LBB39_835
	s_branch .LBB39_836
.LBB39_2885:
	s_movk_i32 s4, 0x80
	v_cmp_eq_u16_sdwa s[12:13], v12, s4 src0_sel:BYTE_0 src1_sel:DWORD
	s_mov_b64 s[4:5], -1
                                        ; implicit-def: $sgpr10
	s_and_saveexec_b64 s[8:9], s[12:13]
; %bb.2886:
	s_mov_b32 s10, 0x7f800001
	s_xor_b64 s[4:5], exec, -1
; %bb.2887:
	s_or_b64 exec, exec, s[8:9]
	s_and_b64 s[4:5], s[4:5], exec
	s_or_saveexec_b64 s[6:7], s[6:7]
	v_mov_b32_e32 v11, s10
	s_xor_b64 exec, exec, s[6:7]
	s_cbranch_execz .LBB39_838
.LBB39_2888:
	v_mov_b32_e32 v11, 0
	v_cmp_ne_u16_sdwa s[8:9], v12, v11 src0_sel:BYTE_0 src1_sel:DWORD
	s_andn2_b64 s[4:5], s[4:5], exec
	s_and_b64 s[8:9], s[8:9], exec
	s_or_b64 s[4:5], s[4:5], s[8:9]
	s_or_b64 exec, exec, s[6:7]
	s_and_saveexec_b64 s[6:7], s[4:5]
	s_cbranch_execnz .LBB39_839
	s_branch .LBB39_840
.LBB39_2889:
	s_movk_i32 s4, 0x80
	v_cmp_eq_u16_sdwa s[12:13], v11, s4 src0_sel:BYTE_0 src1_sel:DWORD
	s_mov_b64 s[4:5], -1
                                        ; implicit-def: $sgpr10
	s_and_saveexec_b64 s[8:9], s[12:13]
; %bb.2890:
	s_mov_b32 s10, 0x7f800001
	s_xor_b64 s[4:5], exec, -1
; %bb.2891:
	s_or_b64 exec, exec, s[8:9]
	s_and_b64 s[4:5], s[4:5], exec
	s_or_saveexec_b64 s[6:7], s[6:7]
	v_mov_b32_e32 v10, s10
	s_xor_b64 exec, exec, s[6:7]
	s_cbranch_execz .LBB39_842
.LBB39_2892:
	v_mov_b32_e32 v10, 0
	v_cmp_ne_u16_sdwa s[8:9], v11, v10 src0_sel:BYTE_0 src1_sel:DWORD
	s_andn2_b64 s[4:5], s[4:5], exec
	s_and_b64 s[8:9], s[8:9], exec
	s_or_b64 s[4:5], s[4:5], s[8:9]
	s_or_b64 exec, exec, s[6:7]
	s_and_saveexec_b64 s[6:7], s[4:5]
	s_cbranch_execnz .LBB39_843
	s_branch .LBB39_844
.LBB39_2893:
	s_movk_i32 s4, 0x80
	v_cmp_eq_u16_sdwa s[12:13], v11, s4 src0_sel:BYTE_0 src1_sel:DWORD
	s_mov_b64 s[4:5], -1
                                        ; implicit-def: $sgpr10
	s_and_saveexec_b64 s[8:9], s[12:13]
; %bb.2894:
	s_mov_b32 s10, 0x7f800001
	s_xor_b64 s[4:5], exec, -1
; %bb.2895:
	s_or_b64 exec, exec, s[8:9]
	s_and_b64 s[4:5], s[4:5], exec
	s_or_saveexec_b64 s[6:7], s[6:7]
	v_mov_b32_e32 v14, s10
	s_xor_b64 exec, exec, s[6:7]
	s_cbranch_execz .LBB39_846
.LBB39_2896:
	v_mov_b32_e32 v14, 0
	v_cmp_ne_u16_sdwa s[8:9], v11, v14 src0_sel:BYTE_0 src1_sel:DWORD
	s_andn2_b64 s[4:5], s[4:5], exec
	s_and_b64 s[8:9], s[8:9], exec
	s_or_b64 s[4:5], s[4:5], s[8:9]
	s_or_b64 exec, exec, s[6:7]
	s_and_saveexec_b64 s[6:7], s[4:5]
	s_cbranch_execnz .LBB39_847
	s_branch .LBB39_848
.LBB39_2897:
	s_movk_i32 s4, 0x80
	v_cmp_eq_u16_e32 vcc, s4, v11
	s_mov_b64 s[4:5], -1
                                        ; implicit-def: $sgpr10
	s_and_saveexec_b64 s[8:9], vcc
; %bb.2898:
	s_mov_b32 s10, 0x7f800001
	s_xor_b64 s[4:5], exec, -1
; %bb.2899:
	s_or_b64 exec, exec, s[8:9]
	s_and_b64 s[4:5], s[4:5], exec
                                        ; implicit-def: $vgpr11
	s_or_saveexec_b64 s[6:7], s[6:7]
	v_mov_b32_e32 v10, s10
	s_xor_b64 exec, exec, s[6:7]
	s_cbranch_execz .LBB39_850
.LBB39_2900:
	v_cmp_ne_u16_e32 vcc, 0, v11
	s_andn2_b64 s[4:5], s[4:5], exec
	s_and_b64 s[8:9], vcc, exec
	v_mov_b32_e32 v10, 0
	s_or_b64 s[4:5], s[4:5], s[8:9]
	s_or_b64 exec, exec, s[6:7]
	s_and_saveexec_b64 s[6:7], s[4:5]
	s_cbranch_execnz .LBB39_851
	s_branch .LBB39_852
.LBB39_2901:
	s_movk_i32 s4, 0x80
	v_cmp_eq_u16_e32 vcc, s4, v11
	s_mov_b64 s[4:5], -1
                                        ; implicit-def: $sgpr10
	s_and_saveexec_b64 s[8:9], vcc
; %bb.2902:
	s_mov_b32 s10, 0x7f800001
	s_xor_b64 s[4:5], exec, -1
; %bb.2903:
	s_or_b64 exec, exec, s[8:9]
	s_and_b64 s[4:5], s[4:5], exec
                                        ; implicit-def: $vgpr11
	s_or_saveexec_b64 s[6:7], s[6:7]
	v_mov_b32_e32 v14, s10
	s_xor_b64 exec, exec, s[6:7]
	s_cbranch_execz .LBB39_854
.LBB39_2904:
	v_cmp_ne_u16_e32 vcc, 0, v11
	s_andn2_b64 s[4:5], s[4:5], exec
	s_and_b64 s[8:9], vcc, exec
	v_mov_b32_e32 v14, 0
	s_or_b64 s[4:5], s[4:5], s[8:9]
	s_or_b64 exec, exec, s[6:7]
	s_and_saveexec_b64 s[6:7], s[4:5]
	s_cbranch_execnz .LBB39_855
	s_branch .LBB39_856
.LBB39_2905:
	s_movk_i32 s4, 0x80
	v_cmp_eq_u16_sdwa s[12:13], v16, s4 src0_sel:BYTE_3 src1_sel:DWORD
	s_mov_b64 s[4:5], -1
                                        ; implicit-def: $sgpr10
	s_and_saveexec_b64 s[8:9], s[12:13]
; %bb.2906:
	s_mov_b32 s10, 0x7f800001
	s_xor_b64 s[4:5], exec, -1
; %bb.2907:
	s_or_b64 exec, exec, s[8:9]
	s_and_b64 s[4:5], s[4:5], exec
	s_or_saveexec_b64 s[6:7], s[6:7]
	v_mov_b32_e32 v10, s10
	s_xor_b64 exec, exec, s[6:7]
	s_cbranch_execz .LBB39_858
.LBB39_2908:
	v_mov_b32_e32 v10, 0
	v_cmp_ne_u16_sdwa s[8:9], v16, v10 src0_sel:BYTE_3 src1_sel:DWORD
	s_andn2_b64 s[4:5], s[4:5], exec
	s_and_b64 s[8:9], s[8:9], exec
	s_or_b64 s[4:5], s[4:5], s[8:9]
	s_or_b64 exec, exec, s[6:7]
	s_and_saveexec_b64 s[6:7], s[4:5]
	s_cbranch_execnz .LBB39_859
	s_branch .LBB39_860
.LBB39_2909:
	s_movk_i32 s4, 0x80
	v_cmp_eq_u16_sdwa s[12:13], v12, s4 src0_sel:BYTE_3 src1_sel:DWORD
	s_mov_b64 s[4:5], -1
                                        ; implicit-def: $sgpr10
	s_and_saveexec_b64 s[8:9], s[12:13]
; %bb.2910:
	s_mov_b32 s10, 0x7f800001
	s_xor_b64 s[4:5], exec, -1
; %bb.2911:
	s_or_b64 exec, exec, s[8:9]
	s_and_b64 s[4:5], s[4:5], exec
	s_or_saveexec_b64 s[6:7], s[6:7]
	v_mov_b32_e32 v11, s10
	s_xor_b64 exec, exec, s[6:7]
	s_cbranch_execz .LBB39_862
.LBB39_2912:
	v_mov_b32_e32 v11, 0
	v_cmp_ne_u16_sdwa s[8:9], v12, v11 src0_sel:BYTE_3 src1_sel:DWORD
	s_andn2_b64 s[4:5], s[4:5], exec
	s_and_b64 s[8:9], s[8:9], exec
	s_or_b64 s[4:5], s[4:5], s[8:9]
	s_or_b64 exec, exec, s[6:7]
	s_and_saveexec_b64 s[6:7], s[4:5]
	s_cbranch_execnz .LBB39_863
	s_branch .LBB39_864
.LBB39_2913:
	s_movk_i32 s4, 0x80
	v_cmp_eq_u16_sdwa s[12:13], v17, s4 src0_sel:BYTE_0 src1_sel:DWORD
	s_mov_b64 s[4:5], -1
                                        ; implicit-def: $sgpr10
	s_and_saveexec_b64 s[8:9], s[12:13]
; %bb.2914:
	s_mov_b32 s10, 0x7f800001
	s_xor_b64 s[4:5], exec, -1
; %bb.2915:
	s_or_b64 exec, exec, s[8:9]
	s_and_b64 s[4:5], s[4:5], exec
	s_or_saveexec_b64 s[6:7], s[6:7]
	v_mov_b32_e32 v10, s10
	s_xor_b64 exec, exec, s[6:7]
	s_cbranch_execz .LBB39_866
.LBB39_2916:
	v_mov_b32_e32 v10, 0
	v_cmp_ne_u16_sdwa s[8:9], v17, v10 src0_sel:BYTE_0 src1_sel:DWORD
	s_andn2_b64 s[4:5], s[4:5], exec
	s_and_b64 s[8:9], s[8:9], exec
	s_or_b64 s[4:5], s[4:5], s[8:9]
	s_or_b64 exec, exec, s[6:7]
	s_and_saveexec_b64 s[6:7], s[4:5]
	s_cbranch_execnz .LBB39_867
	s_branch .LBB39_868
.LBB39_2917:
	s_movk_i32 s4, 0x80
	v_cmp_eq_u16_sdwa s[12:13], v13, s4 src0_sel:BYTE_0 src1_sel:DWORD
	s_mov_b64 s[4:5], -1
                                        ; implicit-def: $sgpr10
	s_and_saveexec_b64 s[8:9], s[12:13]
; %bb.2918:
	s_mov_b32 s10, 0x7f800001
	s_xor_b64 s[4:5], exec, -1
; %bb.2919:
	s_or_b64 exec, exec, s[8:9]
	s_and_b64 s[4:5], s[4:5], exec
	s_or_saveexec_b64 s[6:7], s[6:7]
	v_mov_b32_e32 v11, s10
	s_xor_b64 exec, exec, s[6:7]
	s_cbranch_execz .LBB39_870
.LBB39_2920:
	v_mov_b32_e32 v11, 0
	v_cmp_ne_u16_sdwa s[8:9], v13, v11 src0_sel:BYTE_0 src1_sel:DWORD
	s_andn2_b64 s[4:5], s[4:5], exec
	s_and_b64 s[8:9], s[8:9], exec
	s_or_b64 s[4:5], s[4:5], s[8:9]
	s_or_b64 exec, exec, s[6:7]
	s_and_saveexec_b64 s[6:7], s[4:5]
	s_cbranch_execnz .LBB39_871
	s_branch .LBB39_872
.LBB39_2921:
	s_movk_i32 s4, 0x80
	v_cmp_eq_u16_sdwa s[12:13], v11, s4 src0_sel:BYTE_0 src1_sel:DWORD
	s_mov_b64 s[4:5], -1
                                        ; implicit-def: $sgpr10
	s_and_saveexec_b64 s[8:9], s[12:13]
; %bb.2922:
	s_mov_b32 s10, 0x7f800001
	s_xor_b64 s[4:5], exec, -1
; %bb.2923:
	s_or_b64 exec, exec, s[8:9]
	s_and_b64 s[4:5], s[4:5], exec
	s_or_saveexec_b64 s[6:7], s[6:7]
	v_mov_b32_e32 v10, s10
	s_xor_b64 exec, exec, s[6:7]
	s_cbranch_execz .LBB39_874
.LBB39_2924:
	v_mov_b32_e32 v10, 0
	v_cmp_ne_u16_sdwa s[8:9], v11, v10 src0_sel:BYTE_0 src1_sel:DWORD
	s_andn2_b64 s[4:5], s[4:5], exec
	s_and_b64 s[8:9], s[8:9], exec
	s_or_b64 s[4:5], s[4:5], s[8:9]
	s_or_b64 exec, exec, s[6:7]
	s_and_saveexec_b64 s[6:7], s[4:5]
	s_cbranch_execnz .LBB39_875
	s_branch .LBB39_876
.LBB39_2925:
	s_movk_i32 s4, 0x80
	v_cmp_eq_u16_sdwa s[12:13], v11, s4 src0_sel:BYTE_0 src1_sel:DWORD
	s_mov_b64 s[4:5], -1
                                        ; implicit-def: $sgpr10
	s_and_saveexec_b64 s[8:9], s[12:13]
; %bb.2926:
	s_mov_b32 s10, 0x7f800001
	s_xor_b64 s[4:5], exec, -1
; %bb.2927:
	s_or_b64 exec, exec, s[8:9]
	s_and_b64 s[4:5], s[4:5], exec
	s_or_saveexec_b64 s[6:7], s[6:7]
	v_mov_b32_e32 v12, s10
	s_xor_b64 exec, exec, s[6:7]
	s_cbranch_execz .LBB39_878
.LBB39_2928:
	v_mov_b32_e32 v12, 0
	v_cmp_ne_u16_sdwa s[8:9], v11, v12 src0_sel:BYTE_0 src1_sel:DWORD
	s_andn2_b64 s[4:5], s[4:5], exec
	s_and_b64 s[8:9], s[8:9], exec
	s_or_b64 s[4:5], s[4:5], s[8:9]
	s_or_b64 exec, exec, s[6:7]
	s_and_saveexec_b64 s[6:7], s[4:5]
	s_cbranch_execnz .LBB39_879
	s_branch .LBB39_880
.LBB39_2929:
	s_movk_i32 s4, 0x80
	v_cmp_eq_u16_e32 vcc, s4, v11
	s_mov_b64 s[4:5], -1
                                        ; implicit-def: $sgpr10
	s_and_saveexec_b64 s[8:9], vcc
; %bb.2930:
	s_mov_b32 s10, 0x7f800001
	s_xor_b64 s[4:5], exec, -1
; %bb.2931:
	s_or_b64 exec, exec, s[8:9]
	s_and_b64 s[4:5], s[4:5], exec
                                        ; implicit-def: $vgpr11
	s_or_saveexec_b64 s[6:7], s[6:7]
	v_mov_b32_e32 v10, s10
	s_xor_b64 exec, exec, s[6:7]
	s_cbranch_execz .LBB39_882
.LBB39_2932:
	v_cmp_ne_u16_e32 vcc, 0, v11
	s_andn2_b64 s[4:5], s[4:5], exec
	s_and_b64 s[8:9], vcc, exec
	v_mov_b32_e32 v10, 0
	s_or_b64 s[4:5], s[4:5], s[8:9]
	s_or_b64 exec, exec, s[6:7]
	s_and_saveexec_b64 s[6:7], s[4:5]
	s_cbranch_execnz .LBB39_883
	s_branch .LBB39_884
.LBB39_2933:
	s_movk_i32 s4, 0x80
	v_cmp_eq_u16_e32 vcc, s4, v11
	s_mov_b64 s[4:5], -1
                                        ; implicit-def: $sgpr10
	s_and_saveexec_b64 s[8:9], vcc
; %bb.2934:
	s_mov_b32 s10, 0x7f800001
	s_xor_b64 s[4:5], exec, -1
; %bb.2935:
	s_or_b64 exec, exec, s[8:9]
	s_and_b64 s[4:5], s[4:5], exec
                                        ; implicit-def: $vgpr11
	s_or_saveexec_b64 s[6:7], s[6:7]
	v_mov_b32_e32 v12, s10
	s_xor_b64 exec, exec, s[6:7]
	s_cbranch_execz .LBB39_886
.LBB39_2936:
	v_cmp_ne_u16_e32 vcc, 0, v11
	s_andn2_b64 s[4:5], s[4:5], exec
	s_and_b64 s[8:9], vcc, exec
	v_mov_b32_e32 v12, 0
	s_or_b64 s[4:5], s[4:5], s[8:9]
	s_or_b64 exec, exec, s[6:7]
	s_and_saveexec_b64 s[6:7], s[4:5]
	s_cbranch_execnz .LBB39_887
	s_branch .LBB39_888
.LBB39_2937:
	s_movk_i32 s4, 0x80
	v_cmp_eq_u16_sdwa s[12:13], v17, s4 src0_sel:BYTE_3 src1_sel:DWORD
	s_mov_b64 s[4:5], -1
                                        ; implicit-def: $sgpr10
	s_and_saveexec_b64 s[8:9], s[12:13]
; %bb.2938:
	s_mov_b32 s10, 0x7f800001
	s_xor_b64 s[4:5], exec, -1
; %bb.2939:
	s_or_b64 exec, exec, s[8:9]
	s_and_b64 s[4:5], s[4:5], exec
	s_or_saveexec_b64 s[6:7], s[6:7]
	v_mov_b32_e32 v10, s10
	s_xor_b64 exec, exec, s[6:7]
	s_cbranch_execz .LBB39_890
.LBB39_2940:
	v_mov_b32_e32 v10, 0
	v_cmp_ne_u16_sdwa s[8:9], v17, v10 src0_sel:BYTE_3 src1_sel:DWORD
	s_andn2_b64 s[4:5], s[4:5], exec
	s_and_b64 s[8:9], s[8:9], exec
	s_or_b64 s[4:5], s[4:5], s[8:9]
	s_or_b64 exec, exec, s[6:7]
	s_and_saveexec_b64 s[6:7], s[4:5]
	s_cbranch_execnz .LBB39_891
	s_branch .LBB39_892
.LBB39_2941:
	s_movk_i32 s4, 0x80
	v_cmp_eq_u16_sdwa s[12:13], v13, s4 src0_sel:BYTE_3 src1_sel:DWORD
	s_mov_b64 s[4:5], -1
                                        ; implicit-def: $sgpr10
	s_and_saveexec_b64 s[8:9], s[12:13]
; %bb.2942:
	s_mov_b32 s10, 0x7f800001
	s_xor_b64 s[4:5], exec, -1
; %bb.2943:
	s_or_b64 exec, exec, s[8:9]
	s_and_b64 s[4:5], s[4:5], exec
	s_or_saveexec_b64 s[6:7], s[6:7]
	v_mov_b32_e32 v11, s10
	s_xor_b64 exec, exec, s[6:7]
	s_cbranch_execz .LBB39_894
.LBB39_2944:
	v_mov_b32_e32 v11, 0
	v_cmp_ne_u16_sdwa s[8:9], v13, v11 src0_sel:BYTE_3 src1_sel:DWORD
	s_andn2_b64 s[4:5], s[4:5], exec
	s_and_b64 s[8:9], s[8:9], exec
	s_or_b64 s[4:5], s[4:5], s[8:9]
	s_or_b64 exec, exec, s[6:7]
	s_and_saveexec_b64 s[6:7], s[4:5]
	s_cbranch_execnz .LBB39_895
	s_branch .LBB39_896
.LBB39_2945:
	s_movk_i32 s4, 0x80
	v_cmp_eq_u16_sdwa s[12:13], v6, s4 src0_sel:BYTE_0 src1_sel:DWORD
	s_mov_b64 s[4:5], -1
                                        ; implicit-def: $sgpr10
	s_and_saveexec_b64 s[8:9], s[12:13]
; %bb.2946:
	s_mov_b32 s10, 0x7f800001
	s_xor_b64 s[4:5], exec, -1
; %bb.2947:
	s_or_b64 exec, exec, s[8:9]
	s_and_b64 s[4:5], s[4:5], exec
	s_or_saveexec_b64 s[6:7], s[6:7]
	v_mov_b32_e32 v10, s10
	s_xor_b64 exec, exec, s[6:7]
	s_cbranch_execz .LBB39_898
.LBB39_2948:
	v_mov_b32_e32 v10, 0
	v_cmp_ne_u16_sdwa s[8:9], v6, v10 src0_sel:BYTE_0 src1_sel:DWORD
	s_andn2_b64 s[4:5], s[4:5], exec
	s_and_b64 s[8:9], s[8:9], exec
	s_or_b64 s[4:5], s[4:5], s[8:9]
	s_or_b64 exec, exec, s[6:7]
	s_and_saveexec_b64 s[6:7], s[4:5]
	s_cbranch_execnz .LBB39_899
	s_branch .LBB39_900
.LBB39_2949:
	s_movk_i32 s4, 0x80
	v_cmp_eq_u16_sdwa s[12:13], v2, s4 src0_sel:BYTE_0 src1_sel:DWORD
	s_mov_b64 s[4:5], -1
                                        ; implicit-def: $sgpr10
	s_and_saveexec_b64 s[8:9], s[12:13]
; %bb.2950:
	s_mov_b32 s10, 0x7f800001
	s_xor_b64 s[4:5], exec, -1
; %bb.2951:
	s_or_b64 exec, exec, s[8:9]
	s_and_b64 s[4:5], s[4:5], exec
	s_or_saveexec_b64 s[6:7], s[6:7]
	v_mov_b32_e32 v11, s10
	s_xor_b64 exec, exec, s[6:7]
	s_cbranch_execz .LBB39_902
.LBB39_2952:
	v_mov_b32_e32 v11, 0
	v_cmp_ne_u16_sdwa s[8:9], v2, v11 src0_sel:BYTE_0 src1_sel:DWORD
	s_andn2_b64 s[4:5], s[4:5], exec
	s_and_b64 s[8:9], s[8:9], exec
	s_or_b64 s[4:5], s[4:5], s[8:9]
	s_or_b64 exec, exec, s[6:7]
	s_and_saveexec_b64 s[6:7], s[4:5]
	s_cbranch_execnz .LBB39_903
	s_branch .LBB39_904
.LBB39_2953:
	s_movk_i32 s4, 0x80
	v_cmp_eq_u16_sdwa s[12:13], v11, s4 src0_sel:BYTE_0 src1_sel:DWORD
	s_mov_b64 s[4:5], -1
                                        ; implicit-def: $sgpr10
	s_and_saveexec_b64 s[8:9], s[12:13]
; %bb.2954:
	s_mov_b32 s10, 0x7f800001
	s_xor_b64 s[4:5], exec, -1
; %bb.2955:
	s_or_b64 exec, exec, s[8:9]
	s_and_b64 s[4:5], s[4:5], exec
	s_or_saveexec_b64 s[6:7], s[6:7]
	v_mov_b32_e32 v10, s10
	s_xor_b64 exec, exec, s[6:7]
	s_cbranch_execz .LBB39_906
.LBB39_2956:
	v_mov_b32_e32 v10, 0
	v_cmp_ne_u16_sdwa s[8:9], v11, v10 src0_sel:BYTE_0 src1_sel:DWORD
	s_andn2_b64 s[4:5], s[4:5], exec
	s_and_b64 s[8:9], s[8:9], exec
	s_or_b64 s[4:5], s[4:5], s[8:9]
	s_or_b64 exec, exec, s[6:7]
	s_and_saveexec_b64 s[6:7], s[4:5]
	s_cbranch_execnz .LBB39_907
	s_branch .LBB39_908
.LBB39_2957:
	s_movk_i32 s4, 0x80
	v_cmp_eq_u16_sdwa s[12:13], v11, s4 src0_sel:BYTE_0 src1_sel:DWORD
	s_mov_b64 s[4:5], -1
                                        ; implicit-def: $sgpr10
	s_and_saveexec_b64 s[8:9], s[12:13]
; %bb.2958:
	s_mov_b32 s10, 0x7f800001
	s_xor_b64 s[4:5], exec, -1
; %bb.2959:
	s_or_b64 exec, exec, s[8:9]
	s_and_b64 s[4:5], s[4:5], exec
	s_or_saveexec_b64 s[6:7], s[6:7]
	v_mov_b32_e32 v12, s10
	s_xor_b64 exec, exec, s[6:7]
	s_cbranch_execz .LBB39_910
.LBB39_2960:
	v_mov_b32_e32 v12, 0
	v_cmp_ne_u16_sdwa s[8:9], v11, v12 src0_sel:BYTE_0 src1_sel:DWORD
	s_andn2_b64 s[4:5], s[4:5], exec
	s_and_b64 s[8:9], s[8:9], exec
	s_or_b64 s[4:5], s[4:5], s[8:9]
	s_or_b64 exec, exec, s[6:7]
	s_and_saveexec_b64 s[6:7], s[4:5]
	s_cbranch_execnz .LBB39_911
	s_branch .LBB39_912
.LBB39_2961:
	s_movk_i32 s4, 0x80
	v_cmp_eq_u16_e32 vcc, s4, v11
	s_mov_b64 s[4:5], -1
                                        ; implicit-def: $sgpr10
	s_and_saveexec_b64 s[8:9], vcc
; %bb.2962:
	s_mov_b32 s10, 0x7f800001
	s_xor_b64 s[4:5], exec, -1
; %bb.2963:
	s_or_b64 exec, exec, s[8:9]
	s_and_b64 s[4:5], s[4:5], exec
                                        ; implicit-def: $vgpr11
	s_or_saveexec_b64 s[6:7], s[6:7]
	v_mov_b32_e32 v10, s10
	s_xor_b64 exec, exec, s[6:7]
	s_cbranch_execz .LBB39_914
.LBB39_2964:
	v_cmp_ne_u16_e32 vcc, 0, v11
	s_andn2_b64 s[4:5], s[4:5], exec
	s_and_b64 s[8:9], vcc, exec
	v_mov_b32_e32 v10, 0
	s_or_b64 s[4:5], s[4:5], s[8:9]
	s_or_b64 exec, exec, s[6:7]
	s_and_saveexec_b64 s[6:7], s[4:5]
	s_cbranch_execnz .LBB39_915
	s_branch .LBB39_916
.LBB39_2965:
	s_movk_i32 s4, 0x80
	v_cmp_eq_u16_e32 vcc, s4, v11
	s_mov_b64 s[4:5], -1
                                        ; implicit-def: $sgpr10
	s_and_saveexec_b64 s[8:9], vcc
; %bb.2966:
	s_mov_b32 s10, 0x7f800001
	s_xor_b64 s[4:5], exec, -1
; %bb.2967:
	s_or_b64 exec, exec, s[8:9]
	s_and_b64 s[4:5], s[4:5], exec
                                        ; implicit-def: $vgpr11
	s_or_saveexec_b64 s[6:7], s[6:7]
	v_mov_b32_e32 v12, s10
	s_xor_b64 exec, exec, s[6:7]
	s_cbranch_execz .LBB39_918
.LBB39_2968:
	v_cmp_ne_u16_e32 vcc, 0, v11
	s_andn2_b64 s[4:5], s[4:5], exec
	s_and_b64 s[8:9], vcc, exec
	v_mov_b32_e32 v12, 0
	s_or_b64 s[4:5], s[4:5], s[8:9]
	s_or_b64 exec, exec, s[6:7]
	s_and_saveexec_b64 s[6:7], s[4:5]
	s_cbranch_execnz .LBB39_919
	s_branch .LBB39_920
.LBB39_2969:
	s_movk_i32 s4, 0x80
	v_cmp_eq_u16_sdwa s[12:13], v6, s4 src0_sel:BYTE_3 src1_sel:DWORD
	s_mov_b64 s[4:5], -1
                                        ; implicit-def: $sgpr10
	s_and_saveexec_b64 s[8:9], s[12:13]
; %bb.2970:
	s_mov_b32 s10, 0x7f800001
	s_xor_b64 s[4:5], exec, -1
; %bb.2971:
	s_or_b64 exec, exec, s[8:9]
	s_and_b64 s[4:5], s[4:5], exec
	s_or_saveexec_b64 s[6:7], s[6:7]
	v_mov_b32_e32 v10, s10
	s_xor_b64 exec, exec, s[6:7]
	s_cbranch_execz .LBB39_922
.LBB39_2972:
	v_mov_b32_e32 v10, 0
	v_cmp_ne_u16_sdwa s[8:9], v6, v10 src0_sel:BYTE_3 src1_sel:DWORD
	s_andn2_b64 s[4:5], s[4:5], exec
	s_and_b64 s[8:9], s[8:9], exec
	s_or_b64 s[4:5], s[4:5], s[8:9]
	s_or_b64 exec, exec, s[6:7]
	s_and_saveexec_b64 s[6:7], s[4:5]
	s_cbranch_execnz .LBB39_923
	s_branch .LBB39_924
.LBB39_2973:
	s_movk_i32 s4, 0x80
	v_cmp_eq_u16_sdwa s[12:13], v2, s4 src0_sel:BYTE_3 src1_sel:DWORD
	s_mov_b64 s[4:5], -1
                                        ; implicit-def: $sgpr10
	s_and_saveexec_b64 s[8:9], s[12:13]
; %bb.2974:
	s_mov_b32 s10, 0x7f800001
	s_xor_b64 s[4:5], exec, -1
; %bb.2975:
	s_or_b64 exec, exec, s[8:9]
	s_and_b64 s[4:5], s[4:5], exec
	s_or_saveexec_b64 s[6:7], s[6:7]
	v_mov_b32_e32 v6, s10
	s_xor_b64 exec, exec, s[6:7]
	s_cbranch_execz .LBB39_926
.LBB39_2976:
	v_mov_b32_e32 v6, 0
	v_cmp_ne_u16_sdwa s[8:9], v2, v6 src0_sel:BYTE_3 src1_sel:DWORD
	s_andn2_b64 s[4:5], s[4:5], exec
	s_and_b64 s[8:9], s[8:9], exec
	s_or_b64 s[4:5], s[4:5], s[8:9]
	s_or_b64 exec, exec, s[6:7]
	s_and_saveexec_b64 s[6:7], s[4:5]
	s_cbranch_execnz .LBB39_927
	s_branch .LBB39_928
.LBB39_2977:
	s_movk_i32 s4, 0x80
	v_cmp_eq_u16_sdwa s[12:13], v7, s4 src0_sel:BYTE_0 src1_sel:DWORD
	s_mov_b64 s[4:5], -1
                                        ; implicit-def: $sgpr10
	s_and_saveexec_b64 s[8:9], s[12:13]
; %bb.2978:
	s_mov_b32 s10, 0x7f800001
	s_xor_b64 s[4:5], exec, -1
; %bb.2979:
	s_or_b64 exec, exec, s[8:9]
	s_and_b64 s[4:5], s[4:5], exec
	s_or_saveexec_b64 s[6:7], s[6:7]
	v_mov_b32_e32 v2, s10
	s_xor_b64 exec, exec, s[6:7]
	s_cbranch_execz .LBB39_930
.LBB39_2980:
	v_mov_b32_e32 v2, 0
	v_cmp_ne_u16_sdwa s[8:9], v7, v2 src0_sel:BYTE_0 src1_sel:DWORD
	s_andn2_b64 s[4:5], s[4:5], exec
	s_and_b64 s[8:9], s[8:9], exec
	s_or_b64 s[4:5], s[4:5], s[8:9]
	s_or_b64 exec, exec, s[6:7]
	s_and_saveexec_b64 s[6:7], s[4:5]
	s_cbranch_execnz .LBB39_931
	s_branch .LBB39_932
.LBB39_2981:
	s_movk_i32 s4, 0x80
	v_cmp_eq_u16_sdwa s[12:13], v3, s4 src0_sel:BYTE_0 src1_sel:DWORD
	s_mov_b64 s[4:5], -1
                                        ; implicit-def: $sgpr10
	s_and_saveexec_b64 s[8:9], s[12:13]
; %bb.2982:
	s_mov_b32 s10, 0x7f800001
	s_xor_b64 s[4:5], exec, -1
; %bb.2983:
	s_or_b64 exec, exec, s[8:9]
	s_and_b64 s[4:5], s[4:5], exec
	s_or_saveexec_b64 s[6:7], s[6:7]
	v_mov_b32_e32 v6, s10
	s_xor_b64 exec, exec, s[6:7]
	s_cbranch_execz .LBB39_934
.LBB39_2984:
	v_mov_b32_e32 v6, 0
	v_cmp_ne_u16_sdwa s[8:9], v3, v6 src0_sel:BYTE_0 src1_sel:DWORD
	s_andn2_b64 s[4:5], s[4:5], exec
	s_and_b64 s[8:9], s[8:9], exec
	s_or_b64 s[4:5], s[4:5], s[8:9]
	s_or_b64 exec, exec, s[6:7]
	s_and_saveexec_b64 s[6:7], s[4:5]
	s_cbranch_execnz .LBB39_935
	s_branch .LBB39_936
.LBB39_2985:
	s_movk_i32 s4, 0x80
	v_cmp_eq_u16_sdwa s[12:13], v6, s4 src0_sel:BYTE_0 src1_sel:DWORD
	s_mov_b64 s[4:5], -1
                                        ; implicit-def: $sgpr10
	s_and_saveexec_b64 s[8:9], s[12:13]
; %bb.2986:
	s_mov_b32 s10, 0x7f800001
	s_xor_b64 s[4:5], exec, -1
; %bb.2987:
	s_or_b64 exec, exec, s[8:9]
	s_and_b64 s[4:5], s[4:5], exec
	s_or_saveexec_b64 s[6:7], s[6:7]
	v_mov_b32_e32 v2, s10
	s_xor_b64 exec, exec, s[6:7]
	s_cbranch_execz .LBB39_938
.LBB39_2988:
	v_mov_b32_e32 v2, 0
	v_cmp_ne_u16_sdwa s[8:9], v6, v2 src0_sel:BYTE_0 src1_sel:DWORD
	s_andn2_b64 s[4:5], s[4:5], exec
	s_and_b64 s[8:9], s[8:9], exec
	s_or_b64 s[4:5], s[4:5], s[8:9]
	s_or_b64 exec, exec, s[6:7]
	s_and_saveexec_b64 s[6:7], s[4:5]
	s_cbranch_execnz .LBB39_939
	s_branch .LBB39_940
.LBB39_2989:
	s_movk_i32 s4, 0x80
	v_cmp_eq_u16_sdwa s[12:13], v6, s4 src0_sel:BYTE_0 src1_sel:DWORD
	s_mov_b64 s[4:5], -1
                                        ; implicit-def: $sgpr10
	s_and_saveexec_b64 s[8:9], s[12:13]
; %bb.2990:
	s_mov_b32 s10, 0x7f800001
	s_xor_b64 s[4:5], exec, -1
; %bb.2991:
	s_or_b64 exec, exec, s[8:9]
	s_and_b64 s[4:5], s[4:5], exec
	s_or_saveexec_b64 s[6:7], s[6:7]
	v_mov_b32_e32 v10, s10
	s_xor_b64 exec, exec, s[6:7]
	s_cbranch_execz .LBB39_942
.LBB39_2992:
	v_mov_b32_e32 v10, 0
	v_cmp_ne_u16_sdwa s[8:9], v6, v10 src0_sel:BYTE_0 src1_sel:DWORD
	s_andn2_b64 s[4:5], s[4:5], exec
	s_and_b64 s[8:9], s[8:9], exec
	s_or_b64 s[4:5], s[4:5], s[8:9]
	s_or_b64 exec, exec, s[6:7]
	s_and_saveexec_b64 s[6:7], s[4:5]
	s_cbranch_execnz .LBB39_943
	s_branch .LBB39_944
.LBB39_2993:
	s_movk_i32 s4, 0x80
	v_cmp_eq_u16_e32 vcc, s4, v6
	s_mov_b64 s[4:5], -1
                                        ; implicit-def: $sgpr10
	s_and_saveexec_b64 s[8:9], vcc
; %bb.2994:
	s_mov_b32 s10, 0x7f800001
	s_xor_b64 s[4:5], exec, -1
; %bb.2995:
	s_or_b64 exec, exec, s[8:9]
	s_and_b64 s[4:5], s[4:5], exec
                                        ; implicit-def: $vgpr6
	s_or_saveexec_b64 s[6:7], s[6:7]
	v_mov_b32_e32 v2, s10
	s_xor_b64 exec, exec, s[6:7]
	s_cbranch_execz .LBB39_946
.LBB39_2996:
	v_cmp_ne_u16_e32 vcc, 0, v6
	s_andn2_b64 s[4:5], s[4:5], exec
	s_and_b64 s[8:9], vcc, exec
	v_mov_b32_e32 v2, 0
	s_or_b64 s[4:5], s[4:5], s[8:9]
	s_or_b64 exec, exec, s[6:7]
	s_and_saveexec_b64 s[6:7], s[4:5]
	s_cbranch_execnz .LBB39_947
	s_branch .LBB39_948
.LBB39_2997:
	s_movk_i32 s4, 0x80
	v_cmp_eq_u16_e32 vcc, s4, v6
	s_mov_b64 s[4:5], -1
                                        ; implicit-def: $sgpr10
	s_and_saveexec_b64 s[8:9], vcc
; %bb.2998:
	s_mov_b32 s10, 0x7f800001
	s_xor_b64 s[4:5], exec, -1
; %bb.2999:
	s_or_b64 exec, exec, s[8:9]
	s_and_b64 s[4:5], s[4:5], exec
                                        ; implicit-def: $vgpr6
	s_or_saveexec_b64 s[6:7], s[6:7]
	v_mov_b32_e32 v10, s10
	s_xor_b64 exec, exec, s[6:7]
	s_cbranch_execz .LBB39_950
.LBB39_3000:
	v_cmp_ne_u16_e32 vcc, 0, v6
	s_andn2_b64 s[4:5], s[4:5], exec
	s_and_b64 s[8:9], vcc, exec
	v_mov_b32_e32 v10, 0
	s_or_b64 s[4:5], s[4:5], s[8:9]
	s_or_b64 exec, exec, s[6:7]
	s_and_saveexec_b64 s[6:7], s[4:5]
	s_cbranch_execnz .LBB39_951
	s_branch .LBB39_952
.LBB39_3001:
	s_movk_i32 s4, 0x80
	v_cmp_eq_u16_sdwa s[12:13], v7, s4 src0_sel:BYTE_3 src1_sel:DWORD
	s_mov_b64 s[4:5], -1
                                        ; implicit-def: $sgpr10
	s_and_saveexec_b64 s[8:9], s[12:13]
; %bb.3002:
	s_mov_b32 s10, 0x7f800001
	s_xor_b64 s[4:5], exec, -1
; %bb.3003:
	s_or_b64 exec, exec, s[8:9]
	s_and_b64 s[4:5], s[4:5], exec
	s_or_saveexec_b64 s[6:7], s[6:7]
	v_mov_b32_e32 v2, s10
	s_xor_b64 exec, exec, s[6:7]
	s_cbranch_execz .LBB39_954
.LBB39_3004:
	v_mov_b32_e32 v2, 0
	v_cmp_ne_u16_sdwa s[8:9], v7, v2 src0_sel:BYTE_3 src1_sel:DWORD
	s_andn2_b64 s[4:5], s[4:5], exec
	s_and_b64 s[8:9], s[8:9], exec
	s_or_b64 s[4:5], s[4:5], s[8:9]
	s_or_b64 exec, exec, s[6:7]
	s_and_saveexec_b64 s[6:7], s[4:5]
	s_cbranch_execnz .LBB39_955
	s_branch .LBB39_956
.LBB39_3005:
	s_movk_i32 s4, 0x80
	v_cmp_eq_u16_sdwa s[12:13], v3, s4 src0_sel:BYTE_3 src1_sel:DWORD
	s_mov_b64 s[4:5], -1
                                        ; implicit-def: $sgpr10
	s_and_saveexec_b64 s[8:9], s[12:13]
; %bb.3006:
	s_mov_b32 s10, 0x7f800001
	s_xor_b64 s[4:5], exec, -1
; %bb.3007:
	s_or_b64 exec, exec, s[8:9]
	s_and_b64 s[4:5], s[4:5], exec
	s_or_saveexec_b64 s[6:7], s[6:7]
	v_mov_b32_e32 v6, s10
	s_xor_b64 exec, exec, s[6:7]
	s_cbranch_execz .LBB39_958
.LBB39_3008:
	v_mov_b32_e32 v6, 0
	v_cmp_ne_u16_sdwa s[8:9], v3, v6 src0_sel:BYTE_3 src1_sel:DWORD
	s_andn2_b64 s[4:5], s[4:5], exec
	s_and_b64 s[8:9], s[8:9], exec
	s_or_b64 s[4:5], s[4:5], s[8:9]
	s_or_b64 exec, exec, s[6:7]
	s_and_saveexec_b64 s[6:7], s[4:5]
	s_cbranch_execnz .LBB39_959
	s_branch .LBB39_960
.LBB39_3009:
	s_movk_i32 s4, 0x80
	v_cmp_eq_u16_sdwa s[12:13], v8, s4 src0_sel:BYTE_0 src1_sel:DWORD
	s_mov_b64 s[4:5], -1
                                        ; implicit-def: $sgpr10
	s_and_saveexec_b64 s[8:9], s[12:13]
; %bb.3010:
	s_mov_b32 s10, 0x7f800001
	s_xor_b64 s[4:5], exec, -1
; %bb.3011:
	s_or_b64 exec, exec, s[8:9]
	s_and_b64 s[4:5], s[4:5], exec
	s_or_saveexec_b64 s[6:7], s[6:7]
	v_mov_b32_e32 v2, s10
	s_xor_b64 exec, exec, s[6:7]
	s_cbranch_execz .LBB39_962
.LBB39_3012:
	v_mov_b32_e32 v2, 0
	v_cmp_ne_u16_sdwa s[8:9], v8, v2 src0_sel:BYTE_0 src1_sel:DWORD
	s_andn2_b64 s[4:5], s[4:5], exec
	s_and_b64 s[8:9], s[8:9], exec
	s_or_b64 s[4:5], s[4:5], s[8:9]
	s_or_b64 exec, exec, s[6:7]
	s_and_saveexec_b64 s[6:7], s[4:5]
	s_cbranch_execnz .LBB39_963
	s_branch .LBB39_964
.LBB39_3013:
	s_movk_i32 s4, 0x80
	v_cmp_eq_u16_sdwa s[12:13], v4, s4 src0_sel:BYTE_0 src1_sel:DWORD
	s_mov_b64 s[4:5], -1
                                        ; implicit-def: $sgpr10
	s_and_saveexec_b64 s[8:9], s[12:13]
; %bb.3014:
	s_mov_b32 s10, 0x7f800001
	s_xor_b64 s[4:5], exec, -1
; %bb.3015:
	s_or_b64 exec, exec, s[8:9]
	s_and_b64 s[4:5], s[4:5], exec
	s_or_saveexec_b64 s[6:7], s[6:7]
	v_mov_b32_e32 v3, s10
	s_xor_b64 exec, exec, s[6:7]
	s_cbranch_execz .LBB39_966
.LBB39_3016:
	v_mov_b32_e32 v3, 0
	v_cmp_ne_u16_sdwa s[8:9], v4, v3 src0_sel:BYTE_0 src1_sel:DWORD
	s_andn2_b64 s[4:5], s[4:5], exec
	s_and_b64 s[8:9], s[8:9], exec
	s_or_b64 s[4:5], s[4:5], s[8:9]
	s_or_b64 exec, exec, s[6:7]
	s_and_saveexec_b64 s[6:7], s[4:5]
	s_cbranch_execnz .LBB39_967
	s_branch .LBB39_968
.LBB39_3017:
	s_movk_i32 s4, 0x80
	v_cmp_eq_u16_sdwa s[12:13], v3, s4 src0_sel:BYTE_0 src1_sel:DWORD
	s_mov_b64 s[4:5], -1
                                        ; implicit-def: $sgpr10
	s_and_saveexec_b64 s[8:9], s[12:13]
; %bb.3018:
	s_mov_b32 s10, 0x7f800001
	s_xor_b64 s[4:5], exec, -1
; %bb.3019:
	s_or_b64 exec, exec, s[8:9]
	s_and_b64 s[4:5], s[4:5], exec
	s_or_saveexec_b64 s[6:7], s[6:7]
	v_mov_b32_e32 v2, s10
	s_xor_b64 exec, exec, s[6:7]
	s_cbranch_execz .LBB39_970
.LBB39_3020:
	v_mov_b32_e32 v2, 0
	v_cmp_ne_u16_sdwa s[8:9], v3, v2 src0_sel:BYTE_0 src1_sel:DWORD
	s_andn2_b64 s[4:5], s[4:5], exec
	s_and_b64 s[8:9], s[8:9], exec
	s_or_b64 s[4:5], s[4:5], s[8:9]
	s_or_b64 exec, exec, s[6:7]
	s_and_saveexec_b64 s[6:7], s[4:5]
	s_cbranch_execnz .LBB39_971
	s_branch .LBB39_972
.LBB39_3021:
	s_movk_i32 s4, 0x80
	v_cmp_eq_u16_sdwa s[12:13], v3, s4 src0_sel:BYTE_0 src1_sel:DWORD
	s_mov_b64 s[4:5], -1
                                        ; implicit-def: $sgpr10
	s_and_saveexec_b64 s[8:9], s[12:13]
; %bb.3022:
	s_mov_b32 s10, 0x7f800001
	s_xor_b64 s[4:5], exec, -1
; %bb.3023:
	s_or_b64 exec, exec, s[8:9]
	s_and_b64 s[4:5], s[4:5], exec
	s_or_saveexec_b64 s[6:7], s[6:7]
	v_mov_b32_e32 v6, s10
	s_xor_b64 exec, exec, s[6:7]
	s_cbranch_execz .LBB39_974
.LBB39_3024:
	v_mov_b32_e32 v6, 0
	v_cmp_ne_u16_sdwa s[8:9], v3, v6 src0_sel:BYTE_0 src1_sel:DWORD
	s_andn2_b64 s[4:5], s[4:5], exec
	s_and_b64 s[8:9], s[8:9], exec
	s_or_b64 s[4:5], s[4:5], s[8:9]
	s_or_b64 exec, exec, s[6:7]
	s_and_saveexec_b64 s[6:7], s[4:5]
	s_cbranch_execnz .LBB39_975
	s_branch .LBB39_976
.LBB39_3025:
	s_movk_i32 s4, 0x80
	v_cmp_eq_u16_e32 vcc, s4, v3
	s_mov_b64 s[4:5], -1
                                        ; implicit-def: $sgpr10
	s_and_saveexec_b64 s[8:9], vcc
; %bb.3026:
	s_mov_b32 s10, 0x7f800001
	s_xor_b64 s[4:5], exec, -1
; %bb.3027:
	s_or_b64 exec, exec, s[8:9]
	s_and_b64 s[4:5], s[4:5], exec
                                        ; implicit-def: $vgpr3
	s_or_saveexec_b64 s[6:7], s[6:7]
	v_mov_b32_e32 v2, s10
	s_xor_b64 exec, exec, s[6:7]
	s_cbranch_execz .LBB39_978
.LBB39_3028:
	v_cmp_ne_u16_e32 vcc, 0, v3
	s_andn2_b64 s[4:5], s[4:5], exec
	s_and_b64 s[8:9], vcc, exec
	v_mov_b32_e32 v2, 0
	s_or_b64 s[4:5], s[4:5], s[8:9]
	s_or_b64 exec, exec, s[6:7]
	s_and_saveexec_b64 s[6:7], s[4:5]
	s_cbranch_execnz .LBB39_979
	s_branch .LBB39_980
.LBB39_3029:
	s_movk_i32 s4, 0x80
	v_cmp_eq_u16_e32 vcc, s4, v3
	s_mov_b64 s[4:5], -1
                                        ; implicit-def: $sgpr10
	s_and_saveexec_b64 s[8:9], vcc
; %bb.3030:
	s_mov_b32 s10, 0x7f800001
	s_xor_b64 s[4:5], exec, -1
; %bb.3031:
	s_or_b64 exec, exec, s[8:9]
	s_and_b64 s[4:5], s[4:5], exec
                                        ; implicit-def: $vgpr3
	s_or_saveexec_b64 s[6:7], s[6:7]
	v_mov_b32_e32 v6, s10
	s_xor_b64 exec, exec, s[6:7]
	s_cbranch_execz .LBB39_982
.LBB39_3032:
	v_cmp_ne_u16_e32 vcc, 0, v3
	s_andn2_b64 s[4:5], s[4:5], exec
	s_and_b64 s[8:9], vcc, exec
	v_mov_b32_e32 v6, 0
	s_or_b64 s[4:5], s[4:5], s[8:9]
	s_or_b64 exec, exec, s[6:7]
	s_and_saveexec_b64 s[6:7], s[4:5]
	s_cbranch_execnz .LBB39_983
	s_branch .LBB39_984
.LBB39_3033:
	s_movk_i32 s4, 0x80
	v_cmp_eq_u16_sdwa s[12:13], v8, s4 src0_sel:BYTE_3 src1_sel:DWORD
	s_mov_b64 s[4:5], -1
                                        ; implicit-def: $sgpr10
	s_and_saveexec_b64 s[8:9], s[12:13]
; %bb.3034:
	s_mov_b32 s10, 0x7f800001
	s_xor_b64 s[4:5], exec, -1
; %bb.3035:
	s_or_b64 exec, exec, s[8:9]
	s_and_b64 s[4:5], s[4:5], exec
	s_or_saveexec_b64 s[6:7], s[6:7]
	v_mov_b32_e32 v2, s10
	s_xor_b64 exec, exec, s[6:7]
	s_cbranch_execz .LBB39_986
.LBB39_3036:
	v_mov_b32_e32 v2, 0
	v_cmp_ne_u16_sdwa s[8:9], v8, v2 src0_sel:BYTE_3 src1_sel:DWORD
	s_andn2_b64 s[4:5], s[4:5], exec
	s_and_b64 s[8:9], s[8:9], exec
	s_or_b64 s[4:5], s[4:5], s[8:9]
	s_or_b64 exec, exec, s[6:7]
	s_and_saveexec_b64 s[6:7], s[4:5]
	s_cbranch_execnz .LBB39_987
	s_branch .LBB39_988
.LBB39_3037:
	s_movk_i32 s4, 0x80
	v_cmp_eq_u16_sdwa s[12:13], v4, s4 src0_sel:BYTE_3 src1_sel:DWORD
	s_mov_b64 s[4:5], -1
                                        ; implicit-def: $sgpr10
	s_and_saveexec_b64 s[8:9], s[12:13]
; %bb.3038:
	s_mov_b32 s10, 0x7f800001
	s_xor_b64 s[4:5], exec, -1
; %bb.3039:
	s_or_b64 exec, exec, s[8:9]
	s_and_b64 s[4:5], s[4:5], exec
	s_or_saveexec_b64 s[6:7], s[6:7]
	v_mov_b32_e32 v3, s10
	s_xor_b64 exec, exec, s[6:7]
	s_cbranch_execz .LBB39_990
.LBB39_3040:
	v_mov_b32_e32 v3, 0
	v_cmp_ne_u16_sdwa s[8:9], v4, v3 src0_sel:BYTE_3 src1_sel:DWORD
	s_andn2_b64 s[4:5], s[4:5], exec
	s_and_b64 s[8:9], s[8:9], exec
	s_or_b64 s[4:5], s[4:5], s[8:9]
	s_or_b64 exec, exec, s[6:7]
	s_and_saveexec_b64 s[6:7], s[4:5]
	s_cbranch_execnz .LBB39_991
	s_branch .LBB39_992
.LBB39_3041:
	s_movk_i32 s4, 0x80
	v_cmp_eq_u16_sdwa s[12:13], v9, s4 src0_sel:BYTE_0 src1_sel:DWORD
	s_mov_b64 s[4:5], -1
                                        ; implicit-def: $sgpr10
	s_and_saveexec_b64 s[8:9], s[12:13]
; %bb.3042:
	s_mov_b32 s10, 0x7f800001
	s_xor_b64 s[4:5], exec, -1
; %bb.3043:
	s_or_b64 exec, exec, s[8:9]
	s_and_b64 s[4:5], s[4:5], exec
	s_or_saveexec_b64 s[6:7], s[6:7]
	v_mov_b32_e32 v2, s10
	s_xor_b64 exec, exec, s[6:7]
	s_cbranch_execz .LBB39_994
.LBB39_3044:
	v_mov_b32_e32 v2, 0
	v_cmp_ne_u16_sdwa s[8:9], v9, v2 src0_sel:BYTE_0 src1_sel:DWORD
	s_andn2_b64 s[4:5], s[4:5], exec
	s_and_b64 s[8:9], s[8:9], exec
	s_or_b64 s[4:5], s[4:5], s[8:9]
	s_or_b64 exec, exec, s[6:7]
	s_and_saveexec_b64 s[6:7], s[4:5]
	s_cbranch_execnz .LBB39_995
	s_branch .LBB39_996
.LBB39_3045:
	s_movk_i32 s4, 0x80
	v_cmp_eq_u16_sdwa s[12:13], v5, s4 src0_sel:BYTE_0 src1_sel:DWORD
	s_mov_b64 s[4:5], -1
                                        ; implicit-def: $sgpr10
	s_and_saveexec_b64 s[8:9], s[12:13]
; %bb.3046:
	s_mov_b32 s10, 0x7f800001
	s_xor_b64 s[4:5], exec, -1
; %bb.3047:
	s_or_b64 exec, exec, s[8:9]
	s_and_b64 s[4:5], s[4:5], exec
	s_or_saveexec_b64 s[6:7], s[6:7]
	v_mov_b32_e32 v3, s10
	s_xor_b64 exec, exec, s[6:7]
	s_cbranch_execz .LBB39_998
.LBB39_3048:
	v_mov_b32_e32 v3, 0
	v_cmp_ne_u16_sdwa s[8:9], v5, v3 src0_sel:BYTE_0 src1_sel:DWORD
	s_andn2_b64 s[4:5], s[4:5], exec
	s_and_b64 s[8:9], s[8:9], exec
	s_or_b64 s[4:5], s[4:5], s[8:9]
	s_or_b64 exec, exec, s[6:7]
	s_and_saveexec_b64 s[6:7], s[4:5]
	s_cbranch_execnz .LBB39_999
	s_branch .LBB39_1000
.LBB39_3049:
	s_movk_i32 s4, 0x80
	v_cmp_eq_u16_sdwa s[12:13], v3, s4 src0_sel:BYTE_0 src1_sel:DWORD
	s_mov_b64 s[4:5], -1
                                        ; implicit-def: $sgpr10
	s_and_saveexec_b64 s[8:9], s[12:13]
; %bb.3050:
	s_mov_b32 s10, 0x7f800001
	s_xor_b64 s[4:5], exec, -1
; %bb.3051:
	s_or_b64 exec, exec, s[8:9]
	s_and_b64 s[4:5], s[4:5], exec
	s_or_saveexec_b64 s[6:7], s[6:7]
	v_mov_b32_e32 v2, s10
	s_xor_b64 exec, exec, s[6:7]
	s_cbranch_execz .LBB39_1002
.LBB39_3052:
	v_mov_b32_e32 v2, 0
	v_cmp_ne_u16_sdwa s[8:9], v3, v2 src0_sel:BYTE_0 src1_sel:DWORD
	s_andn2_b64 s[4:5], s[4:5], exec
	s_and_b64 s[8:9], s[8:9], exec
	s_or_b64 s[4:5], s[4:5], s[8:9]
	s_or_b64 exec, exec, s[6:7]
	s_and_saveexec_b64 s[6:7], s[4:5]
	s_cbranch_execnz .LBB39_1003
	s_branch .LBB39_1004
.LBB39_3053:
	s_movk_i32 s4, 0x80
	v_cmp_eq_u16_sdwa s[12:13], v3, s4 src0_sel:BYTE_0 src1_sel:DWORD
	s_mov_b64 s[4:5], -1
                                        ; implicit-def: $sgpr10
	s_and_saveexec_b64 s[8:9], s[12:13]
; %bb.3054:
	s_mov_b32 s10, 0x7f800001
	s_xor_b64 s[4:5], exec, -1
; %bb.3055:
	s_or_b64 exec, exec, s[8:9]
	s_and_b64 s[4:5], s[4:5], exec
	s_or_saveexec_b64 s[6:7], s[6:7]
	v_mov_b32_e32 v4, s10
	s_xor_b64 exec, exec, s[6:7]
	s_cbranch_execz .LBB39_1006
.LBB39_3056:
	v_mov_b32_e32 v4, 0
	v_cmp_ne_u16_sdwa s[8:9], v3, v4 src0_sel:BYTE_0 src1_sel:DWORD
	s_andn2_b64 s[4:5], s[4:5], exec
	s_and_b64 s[8:9], s[8:9], exec
	s_or_b64 s[4:5], s[4:5], s[8:9]
	s_or_b64 exec, exec, s[6:7]
	s_and_saveexec_b64 s[6:7], s[4:5]
	s_cbranch_execnz .LBB39_1007
	s_branch .LBB39_1008
.LBB39_3057:
	s_movk_i32 s4, 0x80
	v_cmp_eq_u16_e32 vcc, s4, v3
	s_mov_b64 s[4:5], -1
                                        ; implicit-def: $sgpr10
	s_and_saveexec_b64 s[8:9], vcc
; %bb.3058:
	s_mov_b32 s10, 0x7f800001
	s_xor_b64 s[4:5], exec, -1
; %bb.3059:
	s_or_b64 exec, exec, s[8:9]
	s_and_b64 s[4:5], s[4:5], exec
                                        ; implicit-def: $vgpr3
	s_or_saveexec_b64 s[6:7], s[6:7]
	v_mov_b32_e32 v2, s10
	s_xor_b64 exec, exec, s[6:7]
	s_cbranch_execz .LBB39_1010
.LBB39_3060:
	v_cmp_ne_u16_e32 vcc, 0, v3
	s_andn2_b64 s[4:5], s[4:5], exec
	s_and_b64 s[8:9], vcc, exec
	v_mov_b32_e32 v2, 0
	s_or_b64 s[4:5], s[4:5], s[8:9]
	s_or_b64 exec, exec, s[6:7]
	s_and_saveexec_b64 s[6:7], s[4:5]
	s_cbranch_execnz .LBB39_1011
	s_branch .LBB39_1012
.LBB39_3061:
	s_movk_i32 s4, 0x80
	v_cmp_eq_u16_e32 vcc, s4, v3
	s_mov_b64 s[4:5], -1
                                        ; implicit-def: $sgpr10
	s_and_saveexec_b64 s[8:9], vcc
; %bb.3062:
	s_mov_b32 s10, 0x7f800001
	s_xor_b64 s[4:5], exec, -1
; %bb.3063:
	s_or_b64 exec, exec, s[8:9]
	s_and_b64 s[4:5], s[4:5], exec
                                        ; implicit-def: $vgpr3
	s_or_saveexec_b64 s[6:7], s[6:7]
	v_mov_b32_e32 v4, s10
	s_xor_b64 exec, exec, s[6:7]
	s_cbranch_execz .LBB39_1014
.LBB39_3064:
	v_cmp_ne_u16_e32 vcc, 0, v3
	s_andn2_b64 s[4:5], s[4:5], exec
	s_and_b64 s[8:9], vcc, exec
	v_mov_b32_e32 v4, 0
	s_or_b64 s[4:5], s[4:5], s[8:9]
	s_or_b64 exec, exec, s[6:7]
	s_and_saveexec_b64 s[6:7], s[4:5]
	s_cbranch_execnz .LBB39_1015
	s_branch .LBB39_1016
.LBB39_3065:
	s_movk_i32 s4, 0x80
	v_cmp_eq_u16_sdwa s[12:13], v9, s4 src0_sel:BYTE_3 src1_sel:DWORD
	s_mov_b64 s[4:5], -1
                                        ; implicit-def: $sgpr10
	s_and_saveexec_b64 s[8:9], s[12:13]
; %bb.3066:
	s_mov_b32 s10, 0x7f800001
	s_xor_b64 s[4:5], exec, -1
; %bb.3067:
	s_or_b64 exec, exec, s[8:9]
	s_and_b64 s[4:5], s[4:5], exec
	s_or_saveexec_b64 s[6:7], s[6:7]
	v_mov_b32_e32 v2, s10
	s_xor_b64 exec, exec, s[6:7]
	s_cbranch_execz .LBB39_1018
.LBB39_3068:
	v_mov_b32_e32 v2, 0
	v_cmp_ne_u16_sdwa s[8:9], v9, v2 src0_sel:BYTE_3 src1_sel:DWORD
	s_andn2_b64 s[4:5], s[4:5], exec
	s_and_b64 s[8:9], s[8:9], exec
	s_or_b64 s[4:5], s[4:5], s[8:9]
	s_or_b64 exec, exec, s[6:7]
	s_and_saveexec_b64 s[6:7], s[4:5]
	s_cbranch_execnz .LBB39_1019
	s_branch .LBB39_1020
.LBB39_3069:
	s_movk_i32 s4, 0x80
	v_cmp_eq_u16_sdwa s[12:13], v5, s4 src0_sel:BYTE_3 src1_sel:DWORD
	s_mov_b64 s[4:5], -1
                                        ; implicit-def: $sgpr10
	s_and_saveexec_b64 s[8:9], s[12:13]
; %bb.3070:
	s_mov_b32 s10, 0x7f800001
	s_xor_b64 s[4:5], exec, -1
; %bb.3071:
	s_or_b64 exec, exec, s[8:9]
	s_and_b64 s[4:5], s[4:5], exec
	s_or_saveexec_b64 s[6:7], s[6:7]
	v_mov_b32_e32 v3, s10
	s_xor_b64 exec, exec, s[6:7]
	s_cbranch_execz .LBB39_1022
.LBB39_3072:
	v_mov_b32_e32 v3, 0
	v_cmp_ne_u16_sdwa s[8:9], v5, v3 src0_sel:BYTE_3 src1_sel:DWORD
	s_andn2_b64 s[4:5], s[4:5], exec
	s_and_b64 s[8:9], s[8:9], exec
	s_or_b64 s[4:5], s[4:5], s[8:9]
	s_or_b64 exec, exec, s[6:7]
	s_and_saveexec_b64 s[6:7], s[4:5]
	s_cbranch_execnz .LBB39_1023
	s_branch .LBB39_1024
.LBB39_3073:
	s_movk_i32 s4, 0x80
	v_cmp_eq_u16_sdwa s[12:13], v14, s4 src0_sel:BYTE_0 src1_sel:DWORD
	s_mov_b64 s[4:5], -1
                                        ; implicit-def: $sgpr10
	s_and_saveexec_b64 s[8:9], s[12:13]
; %bb.3074:
	s_mov_b32 s10, 0x7f800001
	s_xor_b64 s[4:5], exec, -1
; %bb.3075:
	s_or_b64 exec, exec, s[8:9]
	s_and_b64 s[4:5], s[4:5], exec
	s_or_saveexec_b64 s[6:7], s[6:7]
	v_mov_b32_e32 v20, s10
	s_xor_b64 exec, exec, s[6:7]
	s_cbranch_execz .LBB39_1026
.LBB39_3076:
	v_mov_b32_e32 v20, 0
	v_cmp_ne_u16_sdwa s[8:9], v14, v20 src0_sel:BYTE_0 src1_sel:DWORD
	s_andn2_b64 s[4:5], s[4:5], exec
	s_and_b64 s[8:9], s[8:9], exec
	s_or_b64 s[4:5], s[4:5], s[8:9]
	s_or_b64 exec, exec, s[6:7]
	s_and_saveexec_b64 s[6:7], s[4:5]
	s_cbranch_execnz .LBB39_1027
	s_branch .LBB39_1028
.LBB39_3077:
	s_movk_i32 s4, 0x80
	v_cmp_eq_u16_sdwa s[12:13], v10, s4 src0_sel:BYTE_0 src1_sel:DWORD
	s_mov_b64 s[4:5], -1
                                        ; implicit-def: $sgpr10
	s_and_saveexec_b64 s[8:9], s[12:13]
; %bb.3078:
	s_mov_b32 s10, 0x7f800001
	s_xor_b64 s[4:5], exec, -1
; %bb.3079:
	s_or_b64 exec, exec, s[8:9]
	s_and_b64 s[4:5], s[4:5], exec
	s_or_saveexec_b64 s[6:7], s[6:7]
	v_mov_b32_e32 v21, s10
	s_xor_b64 exec, exec, s[6:7]
	s_cbranch_execz .LBB39_1030
.LBB39_3080:
	v_mov_b32_e32 v21, 0
	v_cmp_ne_u16_sdwa s[8:9], v10, v21 src0_sel:BYTE_0 src1_sel:DWORD
	s_andn2_b64 s[4:5], s[4:5], exec
	s_and_b64 s[8:9], s[8:9], exec
	s_or_b64 s[4:5], s[4:5], s[8:9]
	s_or_b64 exec, exec, s[6:7]
	s_and_saveexec_b64 s[6:7], s[4:5]
	s_cbranch_execnz .LBB39_1031
	s_branch .LBB39_1032
.LBB39_3081:
	s_movk_i32 s4, 0x80
	v_cmp_eq_u16_sdwa s[12:13], v21, s4 src0_sel:BYTE_0 src1_sel:DWORD
	s_mov_b64 s[4:5], -1
                                        ; implicit-def: $sgpr10
	s_and_saveexec_b64 s[8:9], s[12:13]
; %bb.3082:
	s_mov_b32 s10, 0x7f800001
	s_xor_b64 s[4:5], exec, -1
; %bb.3083:
	s_or_b64 exec, exec, s[8:9]
	s_and_b64 s[4:5], s[4:5], exec
	s_or_saveexec_b64 s[6:7], s[6:7]
	v_mov_b32_e32 v20, s10
	s_xor_b64 exec, exec, s[6:7]
	s_cbranch_execz .LBB39_1034
.LBB39_3084:
	v_mov_b32_e32 v20, 0
	v_cmp_ne_u16_sdwa s[8:9], v21, v20 src0_sel:BYTE_0 src1_sel:DWORD
	s_andn2_b64 s[4:5], s[4:5], exec
	s_and_b64 s[8:9], s[8:9], exec
	s_or_b64 s[4:5], s[4:5], s[8:9]
	s_or_b64 exec, exec, s[6:7]
	s_and_saveexec_b64 s[6:7], s[4:5]
	s_cbranch_execnz .LBB39_1035
	s_branch .LBB39_1036
.LBB39_3085:
	s_movk_i32 s4, 0x80
	v_cmp_eq_u16_sdwa s[12:13], v21, s4 src0_sel:BYTE_0 src1_sel:DWORD
	s_mov_b64 s[4:5], -1
                                        ; implicit-def: $sgpr10
	s_and_saveexec_b64 s[8:9], s[12:13]
; %bb.3086:
	s_mov_b32 s10, 0x7f800001
	s_xor_b64 s[4:5], exec, -1
; %bb.3087:
	s_or_b64 exec, exec, s[8:9]
	s_and_b64 s[4:5], s[4:5], exec
	s_or_saveexec_b64 s[6:7], s[6:7]
	v_mov_b32_e32 v22, s10
	s_xor_b64 exec, exec, s[6:7]
	s_cbranch_execz .LBB39_1038
.LBB39_3088:
	v_mov_b32_e32 v22, 0
	v_cmp_ne_u16_sdwa s[8:9], v21, v22 src0_sel:BYTE_0 src1_sel:DWORD
	s_andn2_b64 s[4:5], s[4:5], exec
	s_and_b64 s[8:9], s[8:9], exec
	s_or_b64 s[4:5], s[4:5], s[8:9]
	s_or_b64 exec, exec, s[6:7]
	s_and_saveexec_b64 s[6:7], s[4:5]
	s_cbranch_execnz .LBB39_1039
	s_branch .LBB39_1040
.LBB39_3089:
	s_movk_i32 s4, 0x80
	v_cmp_eq_u16_e32 vcc, s4, v21
	s_mov_b64 s[4:5], -1
                                        ; implicit-def: $sgpr10
	s_and_saveexec_b64 s[8:9], vcc
; %bb.3090:
	s_mov_b32 s10, 0x7f800001
	s_xor_b64 s[4:5], exec, -1
; %bb.3091:
	s_or_b64 exec, exec, s[8:9]
	s_and_b64 s[4:5], s[4:5], exec
                                        ; implicit-def: $vgpr21
	s_or_saveexec_b64 s[6:7], s[6:7]
	v_mov_b32_e32 v20, s10
	s_xor_b64 exec, exec, s[6:7]
	s_cbranch_execz .LBB39_1042
.LBB39_3092:
	v_cmp_ne_u16_e32 vcc, 0, v21
	s_andn2_b64 s[4:5], s[4:5], exec
	s_and_b64 s[8:9], vcc, exec
	v_mov_b32_e32 v20, 0
	s_or_b64 s[4:5], s[4:5], s[8:9]
	s_or_b64 exec, exec, s[6:7]
	s_and_saveexec_b64 s[6:7], s[4:5]
	s_cbranch_execnz .LBB39_1043
	s_branch .LBB39_1044
.LBB39_3093:
	s_movk_i32 s4, 0x80
	v_cmp_eq_u16_e32 vcc, s4, v21
	s_mov_b64 s[4:5], -1
                                        ; implicit-def: $sgpr10
	s_and_saveexec_b64 s[8:9], vcc
; %bb.3094:
	s_mov_b32 s10, 0x7f800001
	s_xor_b64 s[4:5], exec, -1
; %bb.3095:
	s_or_b64 exec, exec, s[8:9]
	s_and_b64 s[4:5], s[4:5], exec
                                        ; implicit-def: $vgpr21
	s_or_saveexec_b64 s[6:7], s[6:7]
	v_mov_b32_e32 v22, s10
	s_xor_b64 exec, exec, s[6:7]
	s_cbranch_execz .LBB39_1046
.LBB39_3096:
	v_cmp_ne_u16_e32 vcc, 0, v21
	s_andn2_b64 s[4:5], s[4:5], exec
	s_and_b64 s[8:9], vcc, exec
	v_mov_b32_e32 v22, 0
	s_or_b64 s[4:5], s[4:5], s[8:9]
	s_or_b64 exec, exec, s[6:7]
	s_and_saveexec_b64 s[6:7], s[4:5]
	s_cbranch_execnz .LBB39_1047
	s_branch .LBB39_1048
.LBB39_3097:
	s_movk_i32 s4, 0x80
	v_cmp_eq_u16_sdwa s[12:13], v14, s4 src0_sel:BYTE_3 src1_sel:DWORD
	s_mov_b64 s[4:5], -1
                                        ; implicit-def: $sgpr10
	s_and_saveexec_b64 s[8:9], s[12:13]
; %bb.3098:
	s_mov_b32 s10, 0x7f800001
	s_xor_b64 s[4:5], exec, -1
; %bb.3099:
	s_or_b64 exec, exec, s[8:9]
	s_and_b64 s[4:5], s[4:5], exec
	s_or_saveexec_b64 s[6:7], s[6:7]
	v_mov_b32_e32 v20, s10
	s_xor_b64 exec, exec, s[6:7]
	s_cbranch_execz .LBB39_1050
.LBB39_3100:
	v_mov_b32_e32 v20, 0
	v_cmp_ne_u16_sdwa s[8:9], v14, v20 src0_sel:BYTE_3 src1_sel:DWORD
	s_andn2_b64 s[4:5], s[4:5], exec
	s_and_b64 s[8:9], s[8:9], exec
	s_or_b64 s[4:5], s[4:5], s[8:9]
	s_or_b64 exec, exec, s[6:7]
	s_and_saveexec_b64 s[6:7], s[4:5]
	s_cbranch_execnz .LBB39_1051
	s_branch .LBB39_1052
.LBB39_3101:
	s_movk_i32 s4, 0x80
	v_cmp_eq_u16_sdwa s[12:13], v10, s4 src0_sel:BYTE_3 src1_sel:DWORD
	s_mov_b64 s[4:5], -1
                                        ; implicit-def: $sgpr10
	s_and_saveexec_b64 s[8:9], s[12:13]
; %bb.3102:
	s_mov_b32 s10, 0x7f800001
	s_xor_b64 s[4:5], exec, -1
; %bb.3103:
	s_or_b64 exec, exec, s[8:9]
	s_and_b64 s[4:5], s[4:5], exec
	s_or_saveexec_b64 s[6:7], s[6:7]
	v_mov_b32_e32 v14, s10
	s_xor_b64 exec, exec, s[6:7]
	s_cbranch_execz .LBB39_1054
.LBB39_3104:
	v_mov_b32_e32 v14, 0
	v_cmp_ne_u16_sdwa s[8:9], v10, v14 src0_sel:BYTE_3 src1_sel:DWORD
	s_andn2_b64 s[4:5], s[4:5], exec
	s_and_b64 s[8:9], s[8:9], exec
	s_or_b64 s[4:5], s[4:5], s[8:9]
	s_or_b64 exec, exec, s[6:7]
	s_and_saveexec_b64 s[6:7], s[4:5]
	s_cbranch_execnz .LBB39_1055
	s_branch .LBB39_1056
.LBB39_3105:
	s_movk_i32 s4, 0x80
	v_cmp_eq_u16_sdwa s[12:13], v15, s4 src0_sel:BYTE_0 src1_sel:DWORD
	s_mov_b64 s[4:5], -1
                                        ; implicit-def: $sgpr10
	s_and_saveexec_b64 s[8:9], s[12:13]
; %bb.3106:
	s_mov_b32 s10, 0x7f800001
	s_xor_b64 s[4:5], exec, -1
; %bb.3107:
	s_or_b64 exec, exec, s[8:9]
	s_and_b64 s[4:5], s[4:5], exec
	s_or_saveexec_b64 s[6:7], s[6:7]
	v_mov_b32_e32 v10, s10
	s_xor_b64 exec, exec, s[6:7]
	s_cbranch_execz .LBB39_1058
.LBB39_3108:
	v_mov_b32_e32 v10, 0
	v_cmp_ne_u16_sdwa s[8:9], v15, v10 src0_sel:BYTE_0 src1_sel:DWORD
	s_andn2_b64 s[4:5], s[4:5], exec
	s_and_b64 s[8:9], s[8:9], exec
	s_or_b64 s[4:5], s[4:5], s[8:9]
	s_or_b64 exec, exec, s[6:7]
	s_and_saveexec_b64 s[6:7], s[4:5]
	s_cbranch_execnz .LBB39_1059
	s_branch .LBB39_1060
.LBB39_3109:
	s_movk_i32 s4, 0x80
	v_cmp_eq_u16_sdwa s[12:13], v11, s4 src0_sel:BYTE_0 src1_sel:DWORD
	s_mov_b64 s[4:5], -1
                                        ; implicit-def: $sgpr10
	s_and_saveexec_b64 s[8:9], s[12:13]
; %bb.3110:
	s_mov_b32 s10, 0x7f800001
	s_xor_b64 s[4:5], exec, -1
; %bb.3111:
	s_or_b64 exec, exec, s[8:9]
	s_and_b64 s[4:5], s[4:5], exec
	s_or_saveexec_b64 s[6:7], s[6:7]
	v_mov_b32_e32 v14, s10
	s_xor_b64 exec, exec, s[6:7]
	s_cbranch_execz .LBB39_1062
.LBB39_3112:
	v_mov_b32_e32 v14, 0
	v_cmp_ne_u16_sdwa s[8:9], v11, v14 src0_sel:BYTE_0 src1_sel:DWORD
	s_andn2_b64 s[4:5], s[4:5], exec
	s_and_b64 s[8:9], s[8:9], exec
	s_or_b64 s[4:5], s[4:5], s[8:9]
	s_or_b64 exec, exec, s[6:7]
	s_and_saveexec_b64 s[6:7], s[4:5]
	s_cbranch_execnz .LBB39_1063
	s_branch .LBB39_1064
.LBB39_3113:
	s_movk_i32 s4, 0x80
	v_cmp_eq_u16_sdwa s[12:13], v14, s4 src0_sel:BYTE_0 src1_sel:DWORD
	s_mov_b64 s[4:5], -1
                                        ; implicit-def: $sgpr10
	s_and_saveexec_b64 s[8:9], s[12:13]
; %bb.3114:
	s_mov_b32 s10, 0x7f800001
	s_xor_b64 s[4:5], exec, -1
; %bb.3115:
	s_or_b64 exec, exec, s[8:9]
	s_and_b64 s[4:5], s[4:5], exec
	s_or_saveexec_b64 s[6:7], s[6:7]
	v_mov_b32_e32 v10, s10
	s_xor_b64 exec, exec, s[6:7]
	s_cbranch_execz .LBB39_1066
.LBB39_3116:
	v_mov_b32_e32 v10, 0
	v_cmp_ne_u16_sdwa s[8:9], v14, v10 src0_sel:BYTE_0 src1_sel:DWORD
	s_andn2_b64 s[4:5], s[4:5], exec
	s_and_b64 s[8:9], s[8:9], exec
	s_or_b64 s[4:5], s[4:5], s[8:9]
	s_or_b64 exec, exec, s[6:7]
	s_and_saveexec_b64 s[6:7], s[4:5]
	s_cbranch_execnz .LBB39_1067
	s_branch .LBB39_1068
.LBB39_3117:
	s_movk_i32 s4, 0x80
	v_cmp_eq_u16_sdwa s[12:13], v14, s4 src0_sel:BYTE_0 src1_sel:DWORD
	s_mov_b64 s[4:5], -1
                                        ; implicit-def: $sgpr10
	s_and_saveexec_b64 s[8:9], s[12:13]
; %bb.3118:
	s_mov_b32 s10, 0x7f800001
	s_xor_b64 s[4:5], exec, -1
; %bb.3119:
	s_or_b64 exec, exec, s[8:9]
	s_and_b64 s[4:5], s[4:5], exec
	s_or_saveexec_b64 s[6:7], s[6:7]
	v_mov_b32_e32 v20, s10
	s_xor_b64 exec, exec, s[6:7]
	s_cbranch_execz .LBB39_1070
.LBB39_3120:
	v_mov_b32_e32 v20, 0
	v_cmp_ne_u16_sdwa s[8:9], v14, v20 src0_sel:BYTE_0 src1_sel:DWORD
	s_andn2_b64 s[4:5], s[4:5], exec
	s_and_b64 s[8:9], s[8:9], exec
	s_or_b64 s[4:5], s[4:5], s[8:9]
	s_or_b64 exec, exec, s[6:7]
	s_and_saveexec_b64 s[6:7], s[4:5]
	s_cbranch_execnz .LBB39_1071
	s_branch .LBB39_1072
.LBB39_3121:
	s_movk_i32 s4, 0x80
	v_cmp_eq_u16_e32 vcc, s4, v14
	s_mov_b64 s[4:5], -1
                                        ; implicit-def: $sgpr10
	s_and_saveexec_b64 s[8:9], vcc
; %bb.3122:
	s_mov_b32 s10, 0x7f800001
	s_xor_b64 s[4:5], exec, -1
; %bb.3123:
	s_or_b64 exec, exec, s[8:9]
	s_and_b64 s[4:5], s[4:5], exec
                                        ; implicit-def: $vgpr14
	s_or_saveexec_b64 s[6:7], s[6:7]
	v_mov_b32_e32 v10, s10
	s_xor_b64 exec, exec, s[6:7]
	s_cbranch_execz .LBB39_1074
.LBB39_3124:
	v_cmp_ne_u16_e32 vcc, 0, v14
	s_andn2_b64 s[4:5], s[4:5], exec
	s_and_b64 s[8:9], vcc, exec
	v_mov_b32_e32 v10, 0
	s_or_b64 s[4:5], s[4:5], s[8:9]
	s_or_b64 exec, exec, s[6:7]
	s_and_saveexec_b64 s[6:7], s[4:5]
	s_cbranch_execnz .LBB39_1075
	s_branch .LBB39_1076
.LBB39_3125:
	s_movk_i32 s4, 0x80
	v_cmp_eq_u16_e32 vcc, s4, v14
	s_mov_b64 s[4:5], -1
                                        ; implicit-def: $sgpr10
	s_and_saveexec_b64 s[8:9], vcc
; %bb.3126:
	s_mov_b32 s10, 0x7f800001
	s_xor_b64 s[4:5], exec, -1
; %bb.3127:
	s_or_b64 exec, exec, s[8:9]
	s_and_b64 s[4:5], s[4:5], exec
                                        ; implicit-def: $vgpr14
	s_or_saveexec_b64 s[6:7], s[6:7]
	v_mov_b32_e32 v20, s10
	s_xor_b64 exec, exec, s[6:7]
	s_cbranch_execz .LBB39_1078
.LBB39_3128:
	v_cmp_ne_u16_e32 vcc, 0, v14
	s_andn2_b64 s[4:5], s[4:5], exec
	s_and_b64 s[8:9], vcc, exec
	v_mov_b32_e32 v20, 0
	s_or_b64 s[4:5], s[4:5], s[8:9]
	s_or_b64 exec, exec, s[6:7]
	s_and_saveexec_b64 s[6:7], s[4:5]
	s_cbranch_execnz .LBB39_1079
	s_branch .LBB39_1080
.LBB39_3129:
	s_movk_i32 s4, 0x80
	v_cmp_eq_u16_sdwa s[12:13], v15, s4 src0_sel:BYTE_3 src1_sel:DWORD
	s_mov_b64 s[4:5], -1
                                        ; implicit-def: $sgpr10
	s_and_saveexec_b64 s[8:9], s[12:13]
; %bb.3130:
	s_mov_b32 s10, 0x7f800001
	s_xor_b64 s[4:5], exec, -1
; %bb.3131:
	s_or_b64 exec, exec, s[8:9]
	s_and_b64 s[4:5], s[4:5], exec
	s_or_saveexec_b64 s[6:7], s[6:7]
	v_mov_b32_e32 v10, s10
	s_xor_b64 exec, exec, s[6:7]
	s_cbranch_execz .LBB39_1082
.LBB39_3132:
	v_mov_b32_e32 v10, 0
	v_cmp_ne_u16_sdwa s[8:9], v15, v10 src0_sel:BYTE_3 src1_sel:DWORD
	s_andn2_b64 s[4:5], s[4:5], exec
	s_and_b64 s[8:9], s[8:9], exec
	s_or_b64 s[4:5], s[4:5], s[8:9]
	s_or_b64 exec, exec, s[6:7]
	s_and_saveexec_b64 s[6:7], s[4:5]
	s_cbranch_execnz .LBB39_1083
	s_branch .LBB39_1084
.LBB39_3133:
	s_movk_i32 s4, 0x80
	v_cmp_eq_u16_sdwa s[12:13], v11, s4 src0_sel:BYTE_3 src1_sel:DWORD
	s_mov_b64 s[4:5], -1
                                        ; implicit-def: $sgpr10
	s_and_saveexec_b64 s[8:9], s[12:13]
; %bb.3134:
	s_mov_b32 s10, 0x7f800001
	s_xor_b64 s[4:5], exec, -1
; %bb.3135:
	s_or_b64 exec, exec, s[8:9]
	s_and_b64 s[4:5], s[4:5], exec
	s_or_saveexec_b64 s[6:7], s[6:7]
	v_mov_b32_e32 v14, s10
	s_xor_b64 exec, exec, s[6:7]
	s_cbranch_execz .LBB39_1086
.LBB39_3136:
	v_mov_b32_e32 v14, 0
	v_cmp_ne_u16_sdwa s[8:9], v11, v14 src0_sel:BYTE_3 src1_sel:DWORD
	s_andn2_b64 s[4:5], s[4:5], exec
	s_and_b64 s[8:9], s[8:9], exec
	s_or_b64 s[4:5], s[4:5], s[8:9]
	s_or_b64 exec, exec, s[6:7]
	s_and_saveexec_b64 s[6:7], s[4:5]
	s_cbranch_execnz .LBB39_1087
	s_branch .LBB39_1088
.LBB39_3137:
	s_movk_i32 s4, 0x80
	v_cmp_eq_u16_sdwa s[12:13], v16, s4 src0_sel:BYTE_0 src1_sel:DWORD
	s_mov_b64 s[4:5], -1
                                        ; implicit-def: $sgpr10
	s_and_saveexec_b64 s[8:9], s[12:13]
; %bb.3138:
	s_mov_b32 s10, 0x7f800001
	s_xor_b64 s[4:5], exec, -1
; %bb.3139:
	s_or_b64 exec, exec, s[8:9]
	s_and_b64 s[4:5], s[4:5], exec
	s_or_saveexec_b64 s[6:7], s[6:7]
	v_mov_b32_e32 v10, s10
	s_xor_b64 exec, exec, s[6:7]
	s_cbranch_execz .LBB39_1090
.LBB39_3140:
	v_mov_b32_e32 v10, 0
	v_cmp_ne_u16_sdwa s[8:9], v16, v10 src0_sel:BYTE_0 src1_sel:DWORD
	s_andn2_b64 s[4:5], s[4:5], exec
	s_and_b64 s[8:9], s[8:9], exec
	s_or_b64 s[4:5], s[4:5], s[8:9]
	s_or_b64 exec, exec, s[6:7]
	s_and_saveexec_b64 s[6:7], s[4:5]
	s_cbranch_execnz .LBB39_1091
	s_branch .LBB39_1092
.LBB39_3141:
	s_movk_i32 s4, 0x80
	v_cmp_eq_u16_sdwa s[12:13], v12, s4 src0_sel:BYTE_0 src1_sel:DWORD
	s_mov_b64 s[4:5], -1
                                        ; implicit-def: $sgpr10
	s_and_saveexec_b64 s[8:9], s[12:13]
; %bb.3142:
	s_mov_b32 s10, 0x7f800001
	s_xor_b64 s[4:5], exec, -1
; %bb.3143:
	s_or_b64 exec, exec, s[8:9]
	s_and_b64 s[4:5], s[4:5], exec
	s_or_saveexec_b64 s[6:7], s[6:7]
	v_mov_b32_e32 v11, s10
	s_xor_b64 exec, exec, s[6:7]
	s_cbranch_execz .LBB39_1094
.LBB39_3144:
	v_mov_b32_e32 v11, 0
	v_cmp_ne_u16_sdwa s[8:9], v12, v11 src0_sel:BYTE_0 src1_sel:DWORD
	s_andn2_b64 s[4:5], s[4:5], exec
	s_and_b64 s[8:9], s[8:9], exec
	s_or_b64 s[4:5], s[4:5], s[8:9]
	s_or_b64 exec, exec, s[6:7]
	s_and_saveexec_b64 s[6:7], s[4:5]
	s_cbranch_execnz .LBB39_1095
	s_branch .LBB39_1096
.LBB39_3145:
	s_movk_i32 s4, 0x80
	v_cmp_eq_u16_sdwa s[12:13], v11, s4 src0_sel:BYTE_0 src1_sel:DWORD
	s_mov_b64 s[4:5], -1
                                        ; implicit-def: $sgpr10
	s_and_saveexec_b64 s[8:9], s[12:13]
; %bb.3146:
	s_mov_b32 s10, 0x7f800001
	s_xor_b64 s[4:5], exec, -1
; %bb.3147:
	s_or_b64 exec, exec, s[8:9]
	s_and_b64 s[4:5], s[4:5], exec
	s_or_saveexec_b64 s[6:7], s[6:7]
	v_mov_b32_e32 v10, s10
	s_xor_b64 exec, exec, s[6:7]
	s_cbranch_execz .LBB39_1098
.LBB39_3148:
	v_mov_b32_e32 v10, 0
	v_cmp_ne_u16_sdwa s[8:9], v11, v10 src0_sel:BYTE_0 src1_sel:DWORD
	s_andn2_b64 s[4:5], s[4:5], exec
	s_and_b64 s[8:9], s[8:9], exec
	s_or_b64 s[4:5], s[4:5], s[8:9]
	s_or_b64 exec, exec, s[6:7]
	s_and_saveexec_b64 s[6:7], s[4:5]
	s_cbranch_execnz .LBB39_1099
	s_branch .LBB39_1100
.LBB39_3149:
	s_movk_i32 s4, 0x80
	v_cmp_eq_u16_sdwa s[12:13], v11, s4 src0_sel:BYTE_0 src1_sel:DWORD
	s_mov_b64 s[4:5], -1
                                        ; implicit-def: $sgpr10
	s_and_saveexec_b64 s[8:9], s[12:13]
; %bb.3150:
	s_mov_b32 s10, 0x7f800001
	s_xor_b64 s[4:5], exec, -1
; %bb.3151:
	s_or_b64 exec, exec, s[8:9]
	s_and_b64 s[4:5], s[4:5], exec
	s_or_saveexec_b64 s[6:7], s[6:7]
	v_mov_b32_e32 v14, s10
	s_xor_b64 exec, exec, s[6:7]
	s_cbranch_execz .LBB39_1102
.LBB39_3152:
	v_mov_b32_e32 v14, 0
	v_cmp_ne_u16_sdwa s[8:9], v11, v14 src0_sel:BYTE_0 src1_sel:DWORD
	s_andn2_b64 s[4:5], s[4:5], exec
	s_and_b64 s[8:9], s[8:9], exec
	s_or_b64 s[4:5], s[4:5], s[8:9]
	s_or_b64 exec, exec, s[6:7]
	s_and_saveexec_b64 s[6:7], s[4:5]
	s_cbranch_execnz .LBB39_1103
	s_branch .LBB39_1104
.LBB39_3153:
	s_movk_i32 s4, 0x80
	v_cmp_eq_u16_e32 vcc, s4, v11
	s_mov_b64 s[4:5], -1
                                        ; implicit-def: $sgpr10
	s_and_saveexec_b64 s[8:9], vcc
; %bb.3154:
	s_mov_b32 s10, 0x7f800001
	s_xor_b64 s[4:5], exec, -1
; %bb.3155:
	s_or_b64 exec, exec, s[8:9]
	s_and_b64 s[4:5], s[4:5], exec
                                        ; implicit-def: $vgpr11
	s_or_saveexec_b64 s[6:7], s[6:7]
	v_mov_b32_e32 v10, s10
	s_xor_b64 exec, exec, s[6:7]
	s_cbranch_execz .LBB39_1106
.LBB39_3156:
	v_cmp_ne_u16_e32 vcc, 0, v11
	s_andn2_b64 s[4:5], s[4:5], exec
	s_and_b64 s[8:9], vcc, exec
	v_mov_b32_e32 v10, 0
	s_or_b64 s[4:5], s[4:5], s[8:9]
	s_or_b64 exec, exec, s[6:7]
	s_and_saveexec_b64 s[6:7], s[4:5]
	s_cbranch_execnz .LBB39_1107
	s_branch .LBB39_1108
.LBB39_3157:
	s_movk_i32 s4, 0x80
	v_cmp_eq_u16_e32 vcc, s4, v11
	s_mov_b64 s[4:5], -1
                                        ; implicit-def: $sgpr10
	s_and_saveexec_b64 s[8:9], vcc
; %bb.3158:
	s_mov_b32 s10, 0x7f800001
	s_xor_b64 s[4:5], exec, -1
; %bb.3159:
	s_or_b64 exec, exec, s[8:9]
	s_and_b64 s[4:5], s[4:5], exec
                                        ; implicit-def: $vgpr11
	s_or_saveexec_b64 s[6:7], s[6:7]
	v_mov_b32_e32 v14, s10
	s_xor_b64 exec, exec, s[6:7]
	s_cbranch_execz .LBB39_1110
.LBB39_3160:
	v_cmp_ne_u16_e32 vcc, 0, v11
	s_andn2_b64 s[4:5], s[4:5], exec
	s_and_b64 s[8:9], vcc, exec
	v_mov_b32_e32 v14, 0
	s_or_b64 s[4:5], s[4:5], s[8:9]
	s_or_b64 exec, exec, s[6:7]
	s_and_saveexec_b64 s[6:7], s[4:5]
	s_cbranch_execnz .LBB39_1111
	s_branch .LBB39_1112
.LBB39_3161:
	s_movk_i32 s4, 0x80
	v_cmp_eq_u16_sdwa s[12:13], v16, s4 src0_sel:BYTE_3 src1_sel:DWORD
	s_mov_b64 s[4:5], -1
                                        ; implicit-def: $sgpr10
	s_and_saveexec_b64 s[8:9], s[12:13]
; %bb.3162:
	s_mov_b32 s10, 0x7f800001
	s_xor_b64 s[4:5], exec, -1
; %bb.3163:
	s_or_b64 exec, exec, s[8:9]
	s_and_b64 s[4:5], s[4:5], exec
	s_or_saveexec_b64 s[6:7], s[6:7]
	v_mov_b32_e32 v10, s10
	s_xor_b64 exec, exec, s[6:7]
	s_cbranch_execz .LBB39_1114
.LBB39_3164:
	v_mov_b32_e32 v10, 0
	v_cmp_ne_u16_sdwa s[8:9], v16, v10 src0_sel:BYTE_3 src1_sel:DWORD
	s_andn2_b64 s[4:5], s[4:5], exec
	s_and_b64 s[8:9], s[8:9], exec
	s_or_b64 s[4:5], s[4:5], s[8:9]
	s_or_b64 exec, exec, s[6:7]
	s_and_saveexec_b64 s[6:7], s[4:5]
	s_cbranch_execnz .LBB39_1115
	s_branch .LBB39_1116
.LBB39_3165:
	s_movk_i32 s4, 0x80
	v_cmp_eq_u16_sdwa s[12:13], v12, s4 src0_sel:BYTE_3 src1_sel:DWORD
	s_mov_b64 s[4:5], -1
                                        ; implicit-def: $sgpr10
	s_and_saveexec_b64 s[8:9], s[12:13]
; %bb.3166:
	s_mov_b32 s10, 0x7f800001
	s_xor_b64 s[4:5], exec, -1
; %bb.3167:
	s_or_b64 exec, exec, s[8:9]
	s_and_b64 s[4:5], s[4:5], exec
	s_or_saveexec_b64 s[6:7], s[6:7]
	v_mov_b32_e32 v11, s10
	s_xor_b64 exec, exec, s[6:7]
	s_cbranch_execz .LBB39_1118
.LBB39_3168:
	v_mov_b32_e32 v11, 0
	v_cmp_ne_u16_sdwa s[8:9], v12, v11 src0_sel:BYTE_3 src1_sel:DWORD
	s_andn2_b64 s[4:5], s[4:5], exec
	s_and_b64 s[8:9], s[8:9], exec
	s_or_b64 s[4:5], s[4:5], s[8:9]
	s_or_b64 exec, exec, s[6:7]
	s_and_saveexec_b64 s[6:7], s[4:5]
	s_cbranch_execnz .LBB39_1119
	s_branch .LBB39_1120
.LBB39_3169:
	s_movk_i32 s4, 0x80
	v_cmp_eq_u16_sdwa s[12:13], v17, s4 src0_sel:BYTE_0 src1_sel:DWORD
	s_mov_b64 s[4:5], -1
                                        ; implicit-def: $sgpr10
	s_and_saveexec_b64 s[8:9], s[12:13]
; %bb.3170:
	s_mov_b32 s10, 0x7f800001
	s_xor_b64 s[4:5], exec, -1
; %bb.3171:
	s_or_b64 exec, exec, s[8:9]
	s_and_b64 s[4:5], s[4:5], exec
	s_or_saveexec_b64 s[6:7], s[6:7]
	v_mov_b32_e32 v10, s10
	s_xor_b64 exec, exec, s[6:7]
	s_cbranch_execz .LBB39_1122
.LBB39_3172:
	v_mov_b32_e32 v10, 0
	v_cmp_ne_u16_sdwa s[8:9], v17, v10 src0_sel:BYTE_0 src1_sel:DWORD
	s_andn2_b64 s[4:5], s[4:5], exec
	s_and_b64 s[8:9], s[8:9], exec
	s_or_b64 s[4:5], s[4:5], s[8:9]
	s_or_b64 exec, exec, s[6:7]
	s_and_saveexec_b64 s[6:7], s[4:5]
	s_cbranch_execnz .LBB39_1123
	s_branch .LBB39_1124
.LBB39_3173:
	s_movk_i32 s4, 0x80
	v_cmp_eq_u16_sdwa s[12:13], v13, s4 src0_sel:BYTE_0 src1_sel:DWORD
	s_mov_b64 s[4:5], -1
                                        ; implicit-def: $sgpr10
	s_and_saveexec_b64 s[8:9], s[12:13]
; %bb.3174:
	s_mov_b32 s10, 0x7f800001
	s_xor_b64 s[4:5], exec, -1
; %bb.3175:
	s_or_b64 exec, exec, s[8:9]
	s_and_b64 s[4:5], s[4:5], exec
	s_or_saveexec_b64 s[6:7], s[6:7]
	v_mov_b32_e32 v11, s10
	s_xor_b64 exec, exec, s[6:7]
	s_cbranch_execz .LBB39_1126
.LBB39_3176:
	v_mov_b32_e32 v11, 0
	v_cmp_ne_u16_sdwa s[8:9], v13, v11 src0_sel:BYTE_0 src1_sel:DWORD
	s_andn2_b64 s[4:5], s[4:5], exec
	s_and_b64 s[8:9], s[8:9], exec
	s_or_b64 s[4:5], s[4:5], s[8:9]
	s_or_b64 exec, exec, s[6:7]
	s_and_saveexec_b64 s[6:7], s[4:5]
	s_cbranch_execnz .LBB39_1127
	s_branch .LBB39_1128
.LBB39_3177:
	s_movk_i32 s4, 0x80
	v_cmp_eq_u16_sdwa s[12:13], v11, s4 src0_sel:BYTE_0 src1_sel:DWORD
	s_mov_b64 s[4:5], -1
                                        ; implicit-def: $sgpr10
	s_and_saveexec_b64 s[8:9], s[12:13]
; %bb.3178:
	s_mov_b32 s10, 0x7f800001
	s_xor_b64 s[4:5], exec, -1
; %bb.3179:
	s_or_b64 exec, exec, s[8:9]
	s_and_b64 s[4:5], s[4:5], exec
	s_or_saveexec_b64 s[6:7], s[6:7]
	v_mov_b32_e32 v10, s10
	s_xor_b64 exec, exec, s[6:7]
	s_cbranch_execz .LBB39_1130
.LBB39_3180:
	v_mov_b32_e32 v10, 0
	v_cmp_ne_u16_sdwa s[8:9], v11, v10 src0_sel:BYTE_0 src1_sel:DWORD
	s_andn2_b64 s[4:5], s[4:5], exec
	s_and_b64 s[8:9], s[8:9], exec
	s_or_b64 s[4:5], s[4:5], s[8:9]
	s_or_b64 exec, exec, s[6:7]
	s_and_saveexec_b64 s[6:7], s[4:5]
	s_cbranch_execnz .LBB39_1131
	s_branch .LBB39_1132
.LBB39_3181:
	s_movk_i32 s4, 0x80
	v_cmp_eq_u16_sdwa s[12:13], v11, s4 src0_sel:BYTE_0 src1_sel:DWORD
	s_mov_b64 s[4:5], -1
                                        ; implicit-def: $sgpr10
	s_and_saveexec_b64 s[8:9], s[12:13]
; %bb.3182:
	s_mov_b32 s10, 0x7f800001
	s_xor_b64 s[4:5], exec, -1
; %bb.3183:
	s_or_b64 exec, exec, s[8:9]
	s_and_b64 s[4:5], s[4:5], exec
	s_or_saveexec_b64 s[6:7], s[6:7]
	v_mov_b32_e32 v12, s10
	s_xor_b64 exec, exec, s[6:7]
	s_cbranch_execz .LBB39_1134
.LBB39_3184:
	v_mov_b32_e32 v12, 0
	v_cmp_ne_u16_sdwa s[8:9], v11, v12 src0_sel:BYTE_0 src1_sel:DWORD
	s_andn2_b64 s[4:5], s[4:5], exec
	s_and_b64 s[8:9], s[8:9], exec
	s_or_b64 s[4:5], s[4:5], s[8:9]
	s_or_b64 exec, exec, s[6:7]
	s_and_saveexec_b64 s[6:7], s[4:5]
	s_cbranch_execnz .LBB39_1135
	s_branch .LBB39_1136
.LBB39_3185:
	s_movk_i32 s4, 0x80
	v_cmp_eq_u16_e32 vcc, s4, v11
	s_mov_b64 s[4:5], -1
                                        ; implicit-def: $sgpr10
	s_and_saveexec_b64 s[8:9], vcc
; %bb.3186:
	s_mov_b32 s10, 0x7f800001
	s_xor_b64 s[4:5], exec, -1
; %bb.3187:
	s_or_b64 exec, exec, s[8:9]
	s_and_b64 s[4:5], s[4:5], exec
                                        ; implicit-def: $vgpr11
	s_or_saveexec_b64 s[6:7], s[6:7]
	v_mov_b32_e32 v10, s10
	s_xor_b64 exec, exec, s[6:7]
	s_cbranch_execz .LBB39_1138
.LBB39_3188:
	v_cmp_ne_u16_e32 vcc, 0, v11
	s_andn2_b64 s[4:5], s[4:5], exec
	s_and_b64 s[8:9], vcc, exec
	v_mov_b32_e32 v10, 0
	s_or_b64 s[4:5], s[4:5], s[8:9]
	s_or_b64 exec, exec, s[6:7]
	s_and_saveexec_b64 s[6:7], s[4:5]
	s_cbranch_execnz .LBB39_1139
	s_branch .LBB39_1140
.LBB39_3189:
	s_movk_i32 s4, 0x80
	v_cmp_eq_u16_e32 vcc, s4, v11
	s_mov_b64 s[4:5], -1
                                        ; implicit-def: $sgpr10
	s_and_saveexec_b64 s[8:9], vcc
; %bb.3190:
	s_mov_b32 s10, 0x7f800001
	s_xor_b64 s[4:5], exec, -1
; %bb.3191:
	s_or_b64 exec, exec, s[8:9]
	s_and_b64 s[4:5], s[4:5], exec
                                        ; implicit-def: $vgpr11
	s_or_saveexec_b64 s[6:7], s[6:7]
	v_mov_b32_e32 v12, s10
	s_xor_b64 exec, exec, s[6:7]
	s_cbranch_execz .LBB39_1142
.LBB39_3192:
	v_cmp_ne_u16_e32 vcc, 0, v11
	s_andn2_b64 s[4:5], s[4:5], exec
	s_and_b64 s[8:9], vcc, exec
	v_mov_b32_e32 v12, 0
	s_or_b64 s[4:5], s[4:5], s[8:9]
	s_or_b64 exec, exec, s[6:7]
	s_and_saveexec_b64 s[6:7], s[4:5]
	s_cbranch_execnz .LBB39_1143
	s_branch .LBB39_1144
.LBB39_3193:
	s_movk_i32 s4, 0x80
	v_cmp_eq_u16_sdwa s[12:13], v17, s4 src0_sel:BYTE_3 src1_sel:DWORD
	s_mov_b64 s[4:5], -1
                                        ; implicit-def: $sgpr10
	s_and_saveexec_b64 s[8:9], s[12:13]
; %bb.3194:
	s_mov_b32 s10, 0x7f800001
	s_xor_b64 s[4:5], exec, -1
; %bb.3195:
	s_or_b64 exec, exec, s[8:9]
	s_and_b64 s[4:5], s[4:5], exec
	s_or_saveexec_b64 s[6:7], s[6:7]
	v_mov_b32_e32 v10, s10
	s_xor_b64 exec, exec, s[6:7]
	s_cbranch_execz .LBB39_1146
.LBB39_3196:
	v_mov_b32_e32 v10, 0
	v_cmp_ne_u16_sdwa s[8:9], v17, v10 src0_sel:BYTE_3 src1_sel:DWORD
	s_andn2_b64 s[4:5], s[4:5], exec
	s_and_b64 s[8:9], s[8:9], exec
	s_or_b64 s[4:5], s[4:5], s[8:9]
	s_or_b64 exec, exec, s[6:7]
	s_and_saveexec_b64 s[6:7], s[4:5]
	s_cbranch_execnz .LBB39_1147
	s_branch .LBB39_1148
.LBB39_3197:
	s_movk_i32 s4, 0x80
	v_cmp_eq_u16_sdwa s[12:13], v13, s4 src0_sel:BYTE_3 src1_sel:DWORD
	s_mov_b64 s[4:5], -1
                                        ; implicit-def: $sgpr10
	s_and_saveexec_b64 s[8:9], s[12:13]
; %bb.3198:
	s_mov_b32 s10, 0x7f800001
	s_xor_b64 s[4:5], exec, -1
; %bb.3199:
	s_or_b64 exec, exec, s[8:9]
	s_and_b64 s[4:5], s[4:5], exec
	s_or_saveexec_b64 s[6:7], s[6:7]
	v_mov_b32_e32 v11, s10
	s_xor_b64 exec, exec, s[6:7]
	s_cbranch_execz .LBB39_1150
.LBB39_3200:
	v_mov_b32_e32 v11, 0
	v_cmp_ne_u16_sdwa s[8:9], v13, v11 src0_sel:BYTE_3 src1_sel:DWORD
	s_andn2_b64 s[4:5], s[4:5], exec
	s_and_b64 s[8:9], s[8:9], exec
	s_or_b64 s[4:5], s[4:5], s[8:9]
	s_or_b64 exec, exec, s[6:7]
	s_and_saveexec_b64 s[6:7], s[4:5]
	s_cbranch_execnz .LBB39_1151
	s_branch .LBB39_1152
.LBB39_3201:
	s_movk_i32 s4, 0x80
	v_cmp_eq_u16_sdwa s[12:13], v6, s4 src0_sel:BYTE_0 src1_sel:DWORD
	s_mov_b64 s[4:5], -1
                                        ; implicit-def: $sgpr10
	s_and_saveexec_b64 s[8:9], s[12:13]
; %bb.3202:
	s_mov_b32 s10, 0x7f800001
	s_xor_b64 s[4:5], exec, -1
; %bb.3203:
	s_or_b64 exec, exec, s[8:9]
	s_and_b64 s[4:5], s[4:5], exec
	s_or_saveexec_b64 s[6:7], s[6:7]
	v_mov_b32_e32 v10, s10
	s_xor_b64 exec, exec, s[6:7]
	s_cbranch_execz .LBB39_1154
.LBB39_3204:
	v_mov_b32_e32 v10, 0
	v_cmp_ne_u16_sdwa s[8:9], v6, v10 src0_sel:BYTE_0 src1_sel:DWORD
	s_andn2_b64 s[4:5], s[4:5], exec
	s_and_b64 s[8:9], s[8:9], exec
	s_or_b64 s[4:5], s[4:5], s[8:9]
	s_or_b64 exec, exec, s[6:7]
	s_and_saveexec_b64 s[6:7], s[4:5]
	s_cbranch_execnz .LBB39_1155
	s_branch .LBB39_1156
.LBB39_3205:
	s_movk_i32 s4, 0x80
	v_cmp_eq_u16_sdwa s[12:13], v2, s4 src0_sel:BYTE_0 src1_sel:DWORD
	s_mov_b64 s[4:5], -1
                                        ; implicit-def: $sgpr10
	s_and_saveexec_b64 s[8:9], s[12:13]
; %bb.3206:
	s_mov_b32 s10, 0x7f800001
	s_xor_b64 s[4:5], exec, -1
; %bb.3207:
	s_or_b64 exec, exec, s[8:9]
	s_and_b64 s[4:5], s[4:5], exec
	s_or_saveexec_b64 s[6:7], s[6:7]
	v_mov_b32_e32 v11, s10
	s_xor_b64 exec, exec, s[6:7]
	s_cbranch_execz .LBB39_1158
.LBB39_3208:
	v_mov_b32_e32 v11, 0
	v_cmp_ne_u16_sdwa s[8:9], v2, v11 src0_sel:BYTE_0 src1_sel:DWORD
	s_andn2_b64 s[4:5], s[4:5], exec
	s_and_b64 s[8:9], s[8:9], exec
	s_or_b64 s[4:5], s[4:5], s[8:9]
	s_or_b64 exec, exec, s[6:7]
	s_and_saveexec_b64 s[6:7], s[4:5]
	s_cbranch_execnz .LBB39_1159
	s_branch .LBB39_1160
.LBB39_3209:
	s_movk_i32 s4, 0x80
	v_cmp_eq_u16_sdwa s[12:13], v11, s4 src0_sel:BYTE_0 src1_sel:DWORD
	s_mov_b64 s[4:5], -1
                                        ; implicit-def: $sgpr10
	s_and_saveexec_b64 s[8:9], s[12:13]
; %bb.3210:
	s_mov_b32 s10, 0x7f800001
	s_xor_b64 s[4:5], exec, -1
; %bb.3211:
	s_or_b64 exec, exec, s[8:9]
	s_and_b64 s[4:5], s[4:5], exec
	s_or_saveexec_b64 s[6:7], s[6:7]
	v_mov_b32_e32 v10, s10
	s_xor_b64 exec, exec, s[6:7]
	s_cbranch_execz .LBB39_1162
.LBB39_3212:
	v_mov_b32_e32 v10, 0
	v_cmp_ne_u16_sdwa s[8:9], v11, v10 src0_sel:BYTE_0 src1_sel:DWORD
	s_andn2_b64 s[4:5], s[4:5], exec
	s_and_b64 s[8:9], s[8:9], exec
	s_or_b64 s[4:5], s[4:5], s[8:9]
	s_or_b64 exec, exec, s[6:7]
	s_and_saveexec_b64 s[6:7], s[4:5]
	s_cbranch_execnz .LBB39_1163
	s_branch .LBB39_1164
.LBB39_3213:
	s_movk_i32 s4, 0x80
	v_cmp_eq_u16_sdwa s[12:13], v11, s4 src0_sel:BYTE_0 src1_sel:DWORD
	s_mov_b64 s[4:5], -1
                                        ; implicit-def: $sgpr10
	s_and_saveexec_b64 s[8:9], s[12:13]
; %bb.3214:
	s_mov_b32 s10, 0x7f800001
	s_xor_b64 s[4:5], exec, -1
; %bb.3215:
	s_or_b64 exec, exec, s[8:9]
	s_and_b64 s[4:5], s[4:5], exec
	s_or_saveexec_b64 s[6:7], s[6:7]
	v_mov_b32_e32 v12, s10
	s_xor_b64 exec, exec, s[6:7]
	s_cbranch_execz .LBB39_1166
.LBB39_3216:
	v_mov_b32_e32 v12, 0
	v_cmp_ne_u16_sdwa s[8:9], v11, v12 src0_sel:BYTE_0 src1_sel:DWORD
	s_andn2_b64 s[4:5], s[4:5], exec
	s_and_b64 s[8:9], s[8:9], exec
	s_or_b64 s[4:5], s[4:5], s[8:9]
	s_or_b64 exec, exec, s[6:7]
	s_and_saveexec_b64 s[6:7], s[4:5]
	s_cbranch_execnz .LBB39_1167
	s_branch .LBB39_1168
.LBB39_3217:
	s_movk_i32 s4, 0x80
	v_cmp_eq_u16_e32 vcc, s4, v11
	s_mov_b64 s[4:5], -1
                                        ; implicit-def: $sgpr10
	s_and_saveexec_b64 s[8:9], vcc
; %bb.3218:
	s_mov_b32 s10, 0x7f800001
	s_xor_b64 s[4:5], exec, -1
; %bb.3219:
	s_or_b64 exec, exec, s[8:9]
	s_and_b64 s[4:5], s[4:5], exec
                                        ; implicit-def: $vgpr11
	s_or_saveexec_b64 s[6:7], s[6:7]
	v_mov_b32_e32 v10, s10
	s_xor_b64 exec, exec, s[6:7]
	s_cbranch_execz .LBB39_1170
.LBB39_3220:
	v_cmp_ne_u16_e32 vcc, 0, v11
	s_andn2_b64 s[4:5], s[4:5], exec
	s_and_b64 s[8:9], vcc, exec
	v_mov_b32_e32 v10, 0
	s_or_b64 s[4:5], s[4:5], s[8:9]
	s_or_b64 exec, exec, s[6:7]
	s_and_saveexec_b64 s[6:7], s[4:5]
	s_cbranch_execnz .LBB39_1171
	s_branch .LBB39_1172
.LBB39_3221:
	s_movk_i32 s4, 0x80
	v_cmp_eq_u16_e32 vcc, s4, v11
	s_mov_b64 s[4:5], -1
                                        ; implicit-def: $sgpr10
	s_and_saveexec_b64 s[8:9], vcc
; %bb.3222:
	s_mov_b32 s10, 0x7f800001
	s_xor_b64 s[4:5], exec, -1
; %bb.3223:
	s_or_b64 exec, exec, s[8:9]
	s_and_b64 s[4:5], s[4:5], exec
                                        ; implicit-def: $vgpr11
	s_or_saveexec_b64 s[6:7], s[6:7]
	v_mov_b32_e32 v12, s10
	s_xor_b64 exec, exec, s[6:7]
	s_cbranch_execz .LBB39_1174
.LBB39_3224:
	v_cmp_ne_u16_e32 vcc, 0, v11
	s_andn2_b64 s[4:5], s[4:5], exec
	s_and_b64 s[8:9], vcc, exec
	v_mov_b32_e32 v12, 0
	s_or_b64 s[4:5], s[4:5], s[8:9]
	s_or_b64 exec, exec, s[6:7]
	s_and_saveexec_b64 s[6:7], s[4:5]
	s_cbranch_execnz .LBB39_1175
	s_branch .LBB39_1176
.LBB39_3225:
	s_movk_i32 s4, 0x80
	v_cmp_eq_u16_sdwa s[12:13], v6, s4 src0_sel:BYTE_3 src1_sel:DWORD
	s_mov_b64 s[4:5], -1
                                        ; implicit-def: $sgpr10
	s_and_saveexec_b64 s[8:9], s[12:13]
; %bb.3226:
	s_mov_b32 s10, 0x7f800001
	s_xor_b64 s[4:5], exec, -1
; %bb.3227:
	s_or_b64 exec, exec, s[8:9]
	s_and_b64 s[4:5], s[4:5], exec
	s_or_saveexec_b64 s[6:7], s[6:7]
	v_mov_b32_e32 v10, s10
	s_xor_b64 exec, exec, s[6:7]
	s_cbranch_execz .LBB39_1178
.LBB39_3228:
	v_mov_b32_e32 v10, 0
	v_cmp_ne_u16_sdwa s[8:9], v6, v10 src0_sel:BYTE_3 src1_sel:DWORD
	s_andn2_b64 s[4:5], s[4:5], exec
	s_and_b64 s[8:9], s[8:9], exec
	s_or_b64 s[4:5], s[4:5], s[8:9]
	s_or_b64 exec, exec, s[6:7]
	s_and_saveexec_b64 s[6:7], s[4:5]
	s_cbranch_execnz .LBB39_1179
	s_branch .LBB39_1180
.LBB39_3229:
	s_movk_i32 s4, 0x80
	v_cmp_eq_u16_sdwa s[12:13], v2, s4 src0_sel:BYTE_3 src1_sel:DWORD
	s_mov_b64 s[4:5], -1
                                        ; implicit-def: $sgpr10
	s_and_saveexec_b64 s[8:9], s[12:13]
; %bb.3230:
	s_mov_b32 s10, 0x7f800001
	s_xor_b64 s[4:5], exec, -1
; %bb.3231:
	s_or_b64 exec, exec, s[8:9]
	s_and_b64 s[4:5], s[4:5], exec
	s_or_saveexec_b64 s[6:7], s[6:7]
	v_mov_b32_e32 v6, s10
	s_xor_b64 exec, exec, s[6:7]
	s_cbranch_execz .LBB39_1182
.LBB39_3232:
	v_mov_b32_e32 v6, 0
	v_cmp_ne_u16_sdwa s[8:9], v2, v6 src0_sel:BYTE_3 src1_sel:DWORD
	s_andn2_b64 s[4:5], s[4:5], exec
	s_and_b64 s[8:9], s[8:9], exec
	s_or_b64 s[4:5], s[4:5], s[8:9]
	s_or_b64 exec, exec, s[6:7]
	s_and_saveexec_b64 s[6:7], s[4:5]
	s_cbranch_execnz .LBB39_1183
	s_branch .LBB39_1184
.LBB39_3233:
	s_movk_i32 s4, 0x80
	v_cmp_eq_u16_sdwa s[12:13], v7, s4 src0_sel:BYTE_0 src1_sel:DWORD
	s_mov_b64 s[4:5], -1
                                        ; implicit-def: $sgpr10
	s_and_saveexec_b64 s[8:9], s[12:13]
; %bb.3234:
	s_mov_b32 s10, 0x7f800001
	s_xor_b64 s[4:5], exec, -1
; %bb.3235:
	s_or_b64 exec, exec, s[8:9]
	s_and_b64 s[4:5], s[4:5], exec
	s_or_saveexec_b64 s[6:7], s[6:7]
	v_mov_b32_e32 v2, s10
	s_xor_b64 exec, exec, s[6:7]
	s_cbranch_execz .LBB39_1186
.LBB39_3236:
	v_mov_b32_e32 v2, 0
	v_cmp_ne_u16_sdwa s[8:9], v7, v2 src0_sel:BYTE_0 src1_sel:DWORD
	s_andn2_b64 s[4:5], s[4:5], exec
	s_and_b64 s[8:9], s[8:9], exec
	s_or_b64 s[4:5], s[4:5], s[8:9]
	s_or_b64 exec, exec, s[6:7]
	s_and_saveexec_b64 s[6:7], s[4:5]
	s_cbranch_execnz .LBB39_1187
	s_branch .LBB39_1188
.LBB39_3237:
	s_movk_i32 s4, 0x80
	v_cmp_eq_u16_sdwa s[12:13], v3, s4 src0_sel:BYTE_0 src1_sel:DWORD
	s_mov_b64 s[4:5], -1
                                        ; implicit-def: $sgpr10
	s_and_saveexec_b64 s[8:9], s[12:13]
; %bb.3238:
	s_mov_b32 s10, 0x7f800001
	s_xor_b64 s[4:5], exec, -1
; %bb.3239:
	s_or_b64 exec, exec, s[8:9]
	s_and_b64 s[4:5], s[4:5], exec
	s_or_saveexec_b64 s[6:7], s[6:7]
	v_mov_b32_e32 v6, s10
	s_xor_b64 exec, exec, s[6:7]
	s_cbranch_execz .LBB39_1190
.LBB39_3240:
	v_mov_b32_e32 v6, 0
	v_cmp_ne_u16_sdwa s[8:9], v3, v6 src0_sel:BYTE_0 src1_sel:DWORD
	s_andn2_b64 s[4:5], s[4:5], exec
	s_and_b64 s[8:9], s[8:9], exec
	s_or_b64 s[4:5], s[4:5], s[8:9]
	s_or_b64 exec, exec, s[6:7]
	s_and_saveexec_b64 s[6:7], s[4:5]
	s_cbranch_execnz .LBB39_1191
	s_branch .LBB39_1192
.LBB39_3241:
	s_movk_i32 s4, 0x80
	v_cmp_eq_u16_sdwa s[12:13], v6, s4 src0_sel:BYTE_0 src1_sel:DWORD
	s_mov_b64 s[4:5], -1
                                        ; implicit-def: $sgpr10
	s_and_saveexec_b64 s[8:9], s[12:13]
; %bb.3242:
	s_mov_b32 s10, 0x7f800001
	s_xor_b64 s[4:5], exec, -1
; %bb.3243:
	s_or_b64 exec, exec, s[8:9]
	s_and_b64 s[4:5], s[4:5], exec
	s_or_saveexec_b64 s[6:7], s[6:7]
	v_mov_b32_e32 v2, s10
	s_xor_b64 exec, exec, s[6:7]
	s_cbranch_execz .LBB39_1194
.LBB39_3244:
	v_mov_b32_e32 v2, 0
	v_cmp_ne_u16_sdwa s[8:9], v6, v2 src0_sel:BYTE_0 src1_sel:DWORD
	s_andn2_b64 s[4:5], s[4:5], exec
	s_and_b64 s[8:9], s[8:9], exec
	s_or_b64 s[4:5], s[4:5], s[8:9]
	s_or_b64 exec, exec, s[6:7]
	s_and_saveexec_b64 s[6:7], s[4:5]
	s_cbranch_execnz .LBB39_1195
	s_branch .LBB39_1196
.LBB39_3245:
	s_movk_i32 s4, 0x80
	v_cmp_eq_u16_sdwa s[12:13], v6, s4 src0_sel:BYTE_0 src1_sel:DWORD
	s_mov_b64 s[4:5], -1
                                        ; implicit-def: $sgpr10
	s_and_saveexec_b64 s[8:9], s[12:13]
; %bb.3246:
	s_mov_b32 s10, 0x7f800001
	s_xor_b64 s[4:5], exec, -1
; %bb.3247:
	s_or_b64 exec, exec, s[8:9]
	s_and_b64 s[4:5], s[4:5], exec
	s_or_saveexec_b64 s[6:7], s[6:7]
	v_mov_b32_e32 v10, s10
	s_xor_b64 exec, exec, s[6:7]
	s_cbranch_execz .LBB39_1198
.LBB39_3248:
	v_mov_b32_e32 v10, 0
	v_cmp_ne_u16_sdwa s[8:9], v6, v10 src0_sel:BYTE_0 src1_sel:DWORD
	s_andn2_b64 s[4:5], s[4:5], exec
	s_and_b64 s[8:9], s[8:9], exec
	s_or_b64 s[4:5], s[4:5], s[8:9]
	s_or_b64 exec, exec, s[6:7]
	s_and_saveexec_b64 s[6:7], s[4:5]
	s_cbranch_execnz .LBB39_1199
	s_branch .LBB39_1200
.LBB39_3249:
	s_movk_i32 s4, 0x80
	v_cmp_eq_u16_e32 vcc, s4, v6
	s_mov_b64 s[4:5], -1
                                        ; implicit-def: $sgpr10
	s_and_saveexec_b64 s[8:9], vcc
; %bb.3250:
	s_mov_b32 s10, 0x7f800001
	s_xor_b64 s[4:5], exec, -1
; %bb.3251:
	s_or_b64 exec, exec, s[8:9]
	s_and_b64 s[4:5], s[4:5], exec
                                        ; implicit-def: $vgpr6
	s_or_saveexec_b64 s[6:7], s[6:7]
	v_mov_b32_e32 v2, s10
	s_xor_b64 exec, exec, s[6:7]
	s_cbranch_execz .LBB39_1202
.LBB39_3252:
	v_cmp_ne_u16_e32 vcc, 0, v6
	s_andn2_b64 s[4:5], s[4:5], exec
	s_and_b64 s[8:9], vcc, exec
	v_mov_b32_e32 v2, 0
	s_or_b64 s[4:5], s[4:5], s[8:9]
	s_or_b64 exec, exec, s[6:7]
	s_and_saveexec_b64 s[6:7], s[4:5]
	s_cbranch_execnz .LBB39_1203
	s_branch .LBB39_1204
.LBB39_3253:
	s_movk_i32 s4, 0x80
	v_cmp_eq_u16_e32 vcc, s4, v6
	s_mov_b64 s[4:5], -1
                                        ; implicit-def: $sgpr10
	s_and_saveexec_b64 s[8:9], vcc
; %bb.3254:
	s_mov_b32 s10, 0x7f800001
	s_xor_b64 s[4:5], exec, -1
; %bb.3255:
	s_or_b64 exec, exec, s[8:9]
	s_and_b64 s[4:5], s[4:5], exec
                                        ; implicit-def: $vgpr6
	s_or_saveexec_b64 s[6:7], s[6:7]
	v_mov_b32_e32 v10, s10
	s_xor_b64 exec, exec, s[6:7]
	s_cbranch_execz .LBB39_1206
.LBB39_3256:
	v_cmp_ne_u16_e32 vcc, 0, v6
	s_andn2_b64 s[4:5], s[4:5], exec
	s_and_b64 s[8:9], vcc, exec
	v_mov_b32_e32 v10, 0
	s_or_b64 s[4:5], s[4:5], s[8:9]
	s_or_b64 exec, exec, s[6:7]
	s_and_saveexec_b64 s[6:7], s[4:5]
	s_cbranch_execnz .LBB39_1207
	s_branch .LBB39_1208
.LBB39_3257:
	s_movk_i32 s4, 0x80
	v_cmp_eq_u16_sdwa s[12:13], v7, s4 src0_sel:BYTE_3 src1_sel:DWORD
	s_mov_b64 s[4:5], -1
                                        ; implicit-def: $sgpr10
	s_and_saveexec_b64 s[8:9], s[12:13]
; %bb.3258:
	s_mov_b32 s10, 0x7f800001
	s_xor_b64 s[4:5], exec, -1
; %bb.3259:
	s_or_b64 exec, exec, s[8:9]
	s_and_b64 s[4:5], s[4:5], exec
	s_or_saveexec_b64 s[6:7], s[6:7]
	v_mov_b32_e32 v2, s10
	s_xor_b64 exec, exec, s[6:7]
	s_cbranch_execz .LBB39_1210
.LBB39_3260:
	v_mov_b32_e32 v2, 0
	v_cmp_ne_u16_sdwa s[8:9], v7, v2 src0_sel:BYTE_3 src1_sel:DWORD
	s_andn2_b64 s[4:5], s[4:5], exec
	s_and_b64 s[8:9], s[8:9], exec
	s_or_b64 s[4:5], s[4:5], s[8:9]
	s_or_b64 exec, exec, s[6:7]
	s_and_saveexec_b64 s[6:7], s[4:5]
	s_cbranch_execnz .LBB39_1211
	s_branch .LBB39_1212
.LBB39_3261:
	s_movk_i32 s4, 0x80
	v_cmp_eq_u16_sdwa s[12:13], v3, s4 src0_sel:BYTE_3 src1_sel:DWORD
	s_mov_b64 s[4:5], -1
                                        ; implicit-def: $sgpr10
	s_and_saveexec_b64 s[8:9], s[12:13]
; %bb.3262:
	s_mov_b32 s10, 0x7f800001
	s_xor_b64 s[4:5], exec, -1
; %bb.3263:
	s_or_b64 exec, exec, s[8:9]
	s_and_b64 s[4:5], s[4:5], exec
	s_or_saveexec_b64 s[6:7], s[6:7]
	v_mov_b32_e32 v6, s10
	s_xor_b64 exec, exec, s[6:7]
	s_cbranch_execz .LBB39_1214
.LBB39_3264:
	v_mov_b32_e32 v6, 0
	v_cmp_ne_u16_sdwa s[8:9], v3, v6 src0_sel:BYTE_3 src1_sel:DWORD
	s_andn2_b64 s[4:5], s[4:5], exec
	s_and_b64 s[8:9], s[8:9], exec
	s_or_b64 s[4:5], s[4:5], s[8:9]
	s_or_b64 exec, exec, s[6:7]
	s_and_saveexec_b64 s[6:7], s[4:5]
	s_cbranch_execnz .LBB39_1215
	s_branch .LBB39_1216
.LBB39_3265:
	s_movk_i32 s4, 0x80
	v_cmp_eq_u16_sdwa s[12:13], v8, s4 src0_sel:BYTE_0 src1_sel:DWORD
	s_mov_b64 s[4:5], -1
                                        ; implicit-def: $sgpr10
	s_and_saveexec_b64 s[8:9], s[12:13]
; %bb.3266:
	s_mov_b32 s10, 0x7f800001
	s_xor_b64 s[4:5], exec, -1
; %bb.3267:
	s_or_b64 exec, exec, s[8:9]
	s_and_b64 s[4:5], s[4:5], exec
	s_or_saveexec_b64 s[6:7], s[6:7]
	v_mov_b32_e32 v2, s10
	s_xor_b64 exec, exec, s[6:7]
	s_cbranch_execz .LBB39_1218
.LBB39_3268:
	v_mov_b32_e32 v2, 0
	v_cmp_ne_u16_sdwa s[8:9], v8, v2 src0_sel:BYTE_0 src1_sel:DWORD
	s_andn2_b64 s[4:5], s[4:5], exec
	s_and_b64 s[8:9], s[8:9], exec
	s_or_b64 s[4:5], s[4:5], s[8:9]
	s_or_b64 exec, exec, s[6:7]
	s_and_saveexec_b64 s[6:7], s[4:5]
	s_cbranch_execnz .LBB39_1219
	s_branch .LBB39_1220
.LBB39_3269:
	s_movk_i32 s4, 0x80
	v_cmp_eq_u16_sdwa s[12:13], v4, s4 src0_sel:BYTE_0 src1_sel:DWORD
	s_mov_b64 s[4:5], -1
                                        ; implicit-def: $sgpr10
	s_and_saveexec_b64 s[8:9], s[12:13]
; %bb.3270:
	s_mov_b32 s10, 0x7f800001
	s_xor_b64 s[4:5], exec, -1
; %bb.3271:
	s_or_b64 exec, exec, s[8:9]
	s_and_b64 s[4:5], s[4:5], exec
	s_or_saveexec_b64 s[6:7], s[6:7]
	v_mov_b32_e32 v3, s10
	s_xor_b64 exec, exec, s[6:7]
	s_cbranch_execz .LBB39_1222
.LBB39_3272:
	v_mov_b32_e32 v3, 0
	v_cmp_ne_u16_sdwa s[8:9], v4, v3 src0_sel:BYTE_0 src1_sel:DWORD
	s_andn2_b64 s[4:5], s[4:5], exec
	s_and_b64 s[8:9], s[8:9], exec
	s_or_b64 s[4:5], s[4:5], s[8:9]
	s_or_b64 exec, exec, s[6:7]
	s_and_saveexec_b64 s[6:7], s[4:5]
	s_cbranch_execnz .LBB39_1223
	s_branch .LBB39_1224
.LBB39_3273:
	s_movk_i32 s4, 0x80
	v_cmp_eq_u16_sdwa s[12:13], v3, s4 src0_sel:BYTE_0 src1_sel:DWORD
	s_mov_b64 s[4:5], -1
                                        ; implicit-def: $sgpr10
	s_and_saveexec_b64 s[8:9], s[12:13]
; %bb.3274:
	s_mov_b32 s10, 0x7f800001
	s_xor_b64 s[4:5], exec, -1
; %bb.3275:
	s_or_b64 exec, exec, s[8:9]
	s_and_b64 s[4:5], s[4:5], exec
	s_or_saveexec_b64 s[6:7], s[6:7]
	v_mov_b32_e32 v2, s10
	s_xor_b64 exec, exec, s[6:7]
	s_cbranch_execz .LBB39_1226
.LBB39_3276:
	v_mov_b32_e32 v2, 0
	v_cmp_ne_u16_sdwa s[8:9], v3, v2 src0_sel:BYTE_0 src1_sel:DWORD
	s_andn2_b64 s[4:5], s[4:5], exec
	s_and_b64 s[8:9], s[8:9], exec
	s_or_b64 s[4:5], s[4:5], s[8:9]
	s_or_b64 exec, exec, s[6:7]
	s_and_saveexec_b64 s[6:7], s[4:5]
	s_cbranch_execnz .LBB39_1227
	s_branch .LBB39_1228
.LBB39_3277:
	s_movk_i32 s4, 0x80
	v_cmp_eq_u16_sdwa s[12:13], v3, s4 src0_sel:BYTE_0 src1_sel:DWORD
	s_mov_b64 s[4:5], -1
                                        ; implicit-def: $sgpr10
	s_and_saveexec_b64 s[8:9], s[12:13]
; %bb.3278:
	s_mov_b32 s10, 0x7f800001
	s_xor_b64 s[4:5], exec, -1
; %bb.3279:
	s_or_b64 exec, exec, s[8:9]
	s_and_b64 s[4:5], s[4:5], exec
	s_or_saveexec_b64 s[6:7], s[6:7]
	v_mov_b32_e32 v6, s10
	s_xor_b64 exec, exec, s[6:7]
	s_cbranch_execz .LBB39_1230
.LBB39_3280:
	v_mov_b32_e32 v6, 0
	v_cmp_ne_u16_sdwa s[8:9], v3, v6 src0_sel:BYTE_0 src1_sel:DWORD
	s_andn2_b64 s[4:5], s[4:5], exec
	s_and_b64 s[8:9], s[8:9], exec
	s_or_b64 s[4:5], s[4:5], s[8:9]
	s_or_b64 exec, exec, s[6:7]
	s_and_saveexec_b64 s[6:7], s[4:5]
	s_cbranch_execnz .LBB39_1231
	s_branch .LBB39_1232
.LBB39_3281:
	s_movk_i32 s4, 0x80
	v_cmp_eq_u16_e32 vcc, s4, v3
	s_mov_b64 s[4:5], -1
                                        ; implicit-def: $sgpr10
	s_and_saveexec_b64 s[8:9], vcc
; %bb.3282:
	s_mov_b32 s10, 0x7f800001
	s_xor_b64 s[4:5], exec, -1
; %bb.3283:
	s_or_b64 exec, exec, s[8:9]
	s_and_b64 s[4:5], s[4:5], exec
                                        ; implicit-def: $vgpr3
	s_or_saveexec_b64 s[6:7], s[6:7]
	v_mov_b32_e32 v2, s10
	s_xor_b64 exec, exec, s[6:7]
	s_cbranch_execz .LBB39_1234
.LBB39_3284:
	v_cmp_ne_u16_e32 vcc, 0, v3
	s_andn2_b64 s[4:5], s[4:5], exec
	s_and_b64 s[8:9], vcc, exec
	v_mov_b32_e32 v2, 0
	s_or_b64 s[4:5], s[4:5], s[8:9]
	s_or_b64 exec, exec, s[6:7]
	s_and_saveexec_b64 s[6:7], s[4:5]
	s_cbranch_execnz .LBB39_1235
	s_branch .LBB39_1236
.LBB39_3285:
	s_movk_i32 s4, 0x80
	v_cmp_eq_u16_e32 vcc, s4, v3
	s_mov_b64 s[4:5], -1
                                        ; implicit-def: $sgpr10
	s_and_saveexec_b64 s[8:9], vcc
; %bb.3286:
	s_mov_b32 s10, 0x7f800001
	s_xor_b64 s[4:5], exec, -1
; %bb.3287:
	s_or_b64 exec, exec, s[8:9]
	s_and_b64 s[4:5], s[4:5], exec
                                        ; implicit-def: $vgpr3
	s_or_saveexec_b64 s[6:7], s[6:7]
	v_mov_b32_e32 v6, s10
	s_xor_b64 exec, exec, s[6:7]
	s_cbranch_execz .LBB39_1238
.LBB39_3288:
	v_cmp_ne_u16_e32 vcc, 0, v3
	s_andn2_b64 s[4:5], s[4:5], exec
	s_and_b64 s[8:9], vcc, exec
	v_mov_b32_e32 v6, 0
	s_or_b64 s[4:5], s[4:5], s[8:9]
	s_or_b64 exec, exec, s[6:7]
	s_and_saveexec_b64 s[6:7], s[4:5]
	s_cbranch_execnz .LBB39_1239
	s_branch .LBB39_1240
.LBB39_3289:
	s_movk_i32 s4, 0x80
	v_cmp_eq_u16_sdwa s[12:13], v8, s4 src0_sel:BYTE_3 src1_sel:DWORD
	s_mov_b64 s[4:5], -1
                                        ; implicit-def: $sgpr10
	s_and_saveexec_b64 s[8:9], s[12:13]
; %bb.3290:
	s_mov_b32 s10, 0x7f800001
	s_xor_b64 s[4:5], exec, -1
; %bb.3291:
	s_or_b64 exec, exec, s[8:9]
	s_and_b64 s[4:5], s[4:5], exec
	s_or_saveexec_b64 s[6:7], s[6:7]
	v_mov_b32_e32 v2, s10
	s_xor_b64 exec, exec, s[6:7]
	s_cbranch_execz .LBB39_1242
.LBB39_3292:
	v_mov_b32_e32 v2, 0
	v_cmp_ne_u16_sdwa s[8:9], v8, v2 src0_sel:BYTE_3 src1_sel:DWORD
	s_andn2_b64 s[4:5], s[4:5], exec
	s_and_b64 s[8:9], s[8:9], exec
	s_or_b64 s[4:5], s[4:5], s[8:9]
	s_or_b64 exec, exec, s[6:7]
	s_and_saveexec_b64 s[6:7], s[4:5]
	s_cbranch_execnz .LBB39_1243
	s_branch .LBB39_1244
.LBB39_3293:
	s_movk_i32 s4, 0x80
	v_cmp_eq_u16_sdwa s[12:13], v4, s4 src0_sel:BYTE_3 src1_sel:DWORD
	s_mov_b64 s[4:5], -1
                                        ; implicit-def: $sgpr10
	s_and_saveexec_b64 s[8:9], s[12:13]
; %bb.3294:
	s_mov_b32 s10, 0x7f800001
	s_xor_b64 s[4:5], exec, -1
; %bb.3295:
	s_or_b64 exec, exec, s[8:9]
	s_and_b64 s[4:5], s[4:5], exec
	s_or_saveexec_b64 s[6:7], s[6:7]
	v_mov_b32_e32 v3, s10
	s_xor_b64 exec, exec, s[6:7]
	s_cbranch_execz .LBB39_1246
.LBB39_3296:
	v_mov_b32_e32 v3, 0
	v_cmp_ne_u16_sdwa s[8:9], v4, v3 src0_sel:BYTE_3 src1_sel:DWORD
	s_andn2_b64 s[4:5], s[4:5], exec
	s_and_b64 s[8:9], s[8:9], exec
	s_or_b64 s[4:5], s[4:5], s[8:9]
	s_or_b64 exec, exec, s[6:7]
	s_and_saveexec_b64 s[6:7], s[4:5]
	s_cbranch_execnz .LBB39_1247
	s_branch .LBB39_1248
.LBB39_3297:
	s_movk_i32 s4, 0x80
	v_cmp_eq_u16_sdwa s[12:13], v9, s4 src0_sel:BYTE_0 src1_sel:DWORD
	s_mov_b64 s[4:5], -1
                                        ; implicit-def: $sgpr10
	s_and_saveexec_b64 s[8:9], s[12:13]
; %bb.3298:
	s_mov_b32 s10, 0x7f800001
	s_xor_b64 s[4:5], exec, -1
; %bb.3299:
	s_or_b64 exec, exec, s[8:9]
	s_and_b64 s[4:5], s[4:5], exec
	s_or_saveexec_b64 s[6:7], s[6:7]
	v_mov_b32_e32 v2, s10
	s_xor_b64 exec, exec, s[6:7]
	s_cbranch_execz .LBB39_1250
.LBB39_3300:
	v_mov_b32_e32 v2, 0
	v_cmp_ne_u16_sdwa s[8:9], v9, v2 src0_sel:BYTE_0 src1_sel:DWORD
	s_andn2_b64 s[4:5], s[4:5], exec
	s_and_b64 s[8:9], s[8:9], exec
	s_or_b64 s[4:5], s[4:5], s[8:9]
	s_or_b64 exec, exec, s[6:7]
	s_and_saveexec_b64 s[6:7], s[4:5]
	s_cbranch_execnz .LBB39_1251
	s_branch .LBB39_1252
.LBB39_3301:
	s_movk_i32 s4, 0x80
	v_cmp_eq_u16_sdwa s[12:13], v5, s4 src0_sel:BYTE_0 src1_sel:DWORD
	s_mov_b64 s[4:5], -1
                                        ; implicit-def: $sgpr10
	s_and_saveexec_b64 s[8:9], s[12:13]
; %bb.3302:
	s_mov_b32 s10, 0x7f800001
	s_xor_b64 s[4:5], exec, -1
; %bb.3303:
	s_or_b64 exec, exec, s[8:9]
	s_and_b64 s[4:5], s[4:5], exec
	s_or_saveexec_b64 s[6:7], s[6:7]
	v_mov_b32_e32 v3, s10
	s_xor_b64 exec, exec, s[6:7]
	s_cbranch_execz .LBB39_1254
.LBB39_3304:
	v_mov_b32_e32 v3, 0
	v_cmp_ne_u16_sdwa s[8:9], v5, v3 src0_sel:BYTE_0 src1_sel:DWORD
	s_andn2_b64 s[4:5], s[4:5], exec
	s_and_b64 s[8:9], s[8:9], exec
	s_or_b64 s[4:5], s[4:5], s[8:9]
	s_or_b64 exec, exec, s[6:7]
	s_and_saveexec_b64 s[6:7], s[4:5]
	s_cbranch_execnz .LBB39_1255
	s_branch .LBB39_1256
.LBB39_3305:
	s_movk_i32 s4, 0x80
	v_cmp_eq_u16_sdwa s[12:13], v3, s4 src0_sel:BYTE_0 src1_sel:DWORD
	s_mov_b64 s[4:5], -1
                                        ; implicit-def: $sgpr10
	s_and_saveexec_b64 s[8:9], s[12:13]
; %bb.3306:
	s_mov_b32 s10, 0x7f800001
	s_xor_b64 s[4:5], exec, -1
; %bb.3307:
	s_or_b64 exec, exec, s[8:9]
	s_and_b64 s[4:5], s[4:5], exec
	s_or_saveexec_b64 s[6:7], s[6:7]
	v_mov_b32_e32 v2, s10
	s_xor_b64 exec, exec, s[6:7]
	s_cbranch_execz .LBB39_1258
.LBB39_3308:
	v_mov_b32_e32 v2, 0
	v_cmp_ne_u16_sdwa s[8:9], v3, v2 src0_sel:BYTE_0 src1_sel:DWORD
	s_andn2_b64 s[4:5], s[4:5], exec
	s_and_b64 s[8:9], s[8:9], exec
	s_or_b64 s[4:5], s[4:5], s[8:9]
	s_or_b64 exec, exec, s[6:7]
	s_and_saveexec_b64 s[6:7], s[4:5]
	s_cbranch_execnz .LBB39_1259
	s_branch .LBB39_1260
.LBB39_3309:
	s_movk_i32 s4, 0x80
	v_cmp_eq_u16_sdwa s[12:13], v3, s4 src0_sel:BYTE_0 src1_sel:DWORD
	s_mov_b64 s[4:5], -1
                                        ; implicit-def: $sgpr10
	s_and_saveexec_b64 s[8:9], s[12:13]
; %bb.3310:
	s_mov_b32 s10, 0x7f800001
	s_xor_b64 s[4:5], exec, -1
; %bb.3311:
	s_or_b64 exec, exec, s[8:9]
	s_and_b64 s[4:5], s[4:5], exec
	s_or_saveexec_b64 s[6:7], s[6:7]
	v_mov_b32_e32 v4, s10
	s_xor_b64 exec, exec, s[6:7]
	s_cbranch_execz .LBB39_1262
.LBB39_3312:
	v_mov_b32_e32 v4, 0
	v_cmp_ne_u16_sdwa s[8:9], v3, v4 src0_sel:BYTE_0 src1_sel:DWORD
	s_andn2_b64 s[4:5], s[4:5], exec
	s_and_b64 s[8:9], s[8:9], exec
	s_or_b64 s[4:5], s[4:5], s[8:9]
	s_or_b64 exec, exec, s[6:7]
	s_and_saveexec_b64 s[6:7], s[4:5]
	s_cbranch_execnz .LBB39_1263
	s_branch .LBB39_1264
.LBB39_3313:
	s_movk_i32 s4, 0x80
	v_cmp_eq_u16_e32 vcc, s4, v3
	s_mov_b64 s[4:5], -1
                                        ; implicit-def: $sgpr10
	s_and_saveexec_b64 s[8:9], vcc
; %bb.3314:
	s_mov_b32 s10, 0x7f800001
	s_xor_b64 s[4:5], exec, -1
; %bb.3315:
	s_or_b64 exec, exec, s[8:9]
	s_and_b64 s[4:5], s[4:5], exec
                                        ; implicit-def: $vgpr3
	s_or_saveexec_b64 s[6:7], s[6:7]
	v_mov_b32_e32 v2, s10
	s_xor_b64 exec, exec, s[6:7]
	s_cbranch_execz .LBB39_1266
.LBB39_3316:
	v_cmp_ne_u16_e32 vcc, 0, v3
	s_andn2_b64 s[4:5], s[4:5], exec
	s_and_b64 s[8:9], vcc, exec
	v_mov_b32_e32 v2, 0
	s_or_b64 s[4:5], s[4:5], s[8:9]
	s_or_b64 exec, exec, s[6:7]
	s_and_saveexec_b64 s[6:7], s[4:5]
	s_cbranch_execnz .LBB39_1267
	s_branch .LBB39_1268
.LBB39_3317:
	s_movk_i32 s4, 0x80
	v_cmp_eq_u16_e32 vcc, s4, v3
	s_mov_b64 s[4:5], -1
                                        ; implicit-def: $sgpr10
	s_and_saveexec_b64 s[8:9], vcc
; %bb.3318:
	s_mov_b32 s10, 0x7f800001
	s_xor_b64 s[4:5], exec, -1
; %bb.3319:
	s_or_b64 exec, exec, s[8:9]
	s_and_b64 s[4:5], s[4:5], exec
                                        ; implicit-def: $vgpr3
	s_or_saveexec_b64 s[6:7], s[6:7]
	v_mov_b32_e32 v4, s10
	s_xor_b64 exec, exec, s[6:7]
	s_cbranch_execz .LBB39_1270
.LBB39_3320:
	v_cmp_ne_u16_e32 vcc, 0, v3
	s_andn2_b64 s[4:5], s[4:5], exec
	s_and_b64 s[8:9], vcc, exec
	v_mov_b32_e32 v4, 0
	s_or_b64 s[4:5], s[4:5], s[8:9]
	s_or_b64 exec, exec, s[6:7]
	s_and_saveexec_b64 s[6:7], s[4:5]
	s_cbranch_execnz .LBB39_1271
	s_branch .LBB39_1272
.LBB39_3321:
	s_movk_i32 s4, 0x80
	v_cmp_eq_u16_sdwa s[12:13], v9, s4 src0_sel:BYTE_3 src1_sel:DWORD
	s_mov_b64 s[4:5], -1
                                        ; implicit-def: $sgpr10
	s_and_saveexec_b64 s[8:9], s[12:13]
; %bb.3322:
	s_mov_b32 s10, 0x7f800001
	s_xor_b64 s[4:5], exec, -1
; %bb.3323:
	s_or_b64 exec, exec, s[8:9]
	s_and_b64 s[4:5], s[4:5], exec
	s_or_saveexec_b64 s[6:7], s[6:7]
	v_mov_b32_e32 v2, s10
	s_xor_b64 exec, exec, s[6:7]
	s_cbranch_execz .LBB39_1274
.LBB39_3324:
	v_mov_b32_e32 v2, 0
	v_cmp_ne_u16_sdwa s[8:9], v9, v2 src0_sel:BYTE_3 src1_sel:DWORD
	s_andn2_b64 s[4:5], s[4:5], exec
	s_and_b64 s[8:9], s[8:9], exec
	s_or_b64 s[4:5], s[4:5], s[8:9]
	s_or_b64 exec, exec, s[6:7]
	s_and_saveexec_b64 s[6:7], s[4:5]
	s_cbranch_execnz .LBB39_1275
	s_branch .LBB39_1276
.LBB39_3325:
	s_movk_i32 s4, 0x80
	v_cmp_eq_u16_sdwa s[12:13], v5, s4 src0_sel:BYTE_3 src1_sel:DWORD
	s_mov_b64 s[4:5], -1
                                        ; implicit-def: $sgpr10
	s_and_saveexec_b64 s[8:9], s[12:13]
; %bb.3326:
	s_mov_b32 s10, 0x7f800001
	s_xor_b64 s[4:5], exec, -1
; %bb.3327:
	s_or_b64 exec, exec, s[8:9]
	s_and_b64 s[4:5], s[4:5], exec
	s_or_saveexec_b64 s[6:7], s[6:7]
	v_mov_b32_e32 v3, s10
	s_xor_b64 exec, exec, s[6:7]
	s_cbranch_execz .LBB39_1278
.LBB39_3328:
	v_mov_b32_e32 v3, 0
	v_cmp_ne_u16_sdwa s[8:9], v5, v3 src0_sel:BYTE_3 src1_sel:DWORD
	s_andn2_b64 s[4:5], s[4:5], exec
	s_and_b64 s[8:9], s[8:9], exec
	s_or_b64 s[4:5], s[4:5], s[8:9]
	s_or_b64 exec, exec, s[6:7]
	s_and_saveexec_b64 s[6:7], s[4:5]
	s_cbranch_execnz .LBB39_1279
	s_branch .LBB39_1280
.LBB39_3329:
	s_movk_i32 s4, 0x80
	v_cmp_eq_u16_sdwa s[12:13], v14, s4 src0_sel:BYTE_0 src1_sel:DWORD
	s_mov_b64 s[4:5], -1
                                        ; implicit-def: $sgpr10
	s_and_saveexec_b64 s[8:9], s[12:13]
; %bb.3330:
	s_mov_b32 s10, 0x7f800001
	s_xor_b64 s[4:5], exec, -1
; %bb.3331:
	s_or_b64 exec, exec, s[8:9]
	s_and_b64 s[4:5], s[4:5], exec
	s_or_saveexec_b64 s[6:7], s[6:7]
	v_mov_b32_e32 v20, s10
	s_xor_b64 exec, exec, s[6:7]
	s_cbranch_execz .LBB39_1282
.LBB39_3332:
	v_mov_b32_e32 v20, 0
	v_cmp_ne_u16_sdwa s[8:9], v14, v20 src0_sel:BYTE_0 src1_sel:DWORD
	s_andn2_b64 s[4:5], s[4:5], exec
	s_and_b64 s[8:9], s[8:9], exec
	s_or_b64 s[4:5], s[4:5], s[8:9]
	s_or_b64 exec, exec, s[6:7]
	s_and_saveexec_b64 s[6:7], s[4:5]
	s_cbranch_execnz .LBB39_1283
	s_branch .LBB39_1284
.LBB39_3333:
	s_movk_i32 s4, 0x80
	v_cmp_eq_u16_sdwa s[12:13], v10, s4 src0_sel:BYTE_0 src1_sel:DWORD
	s_mov_b64 s[4:5], -1
                                        ; implicit-def: $sgpr10
	s_and_saveexec_b64 s[8:9], s[12:13]
; %bb.3334:
	s_mov_b32 s10, 0x7f800001
	s_xor_b64 s[4:5], exec, -1
; %bb.3335:
	s_or_b64 exec, exec, s[8:9]
	s_and_b64 s[4:5], s[4:5], exec
	s_or_saveexec_b64 s[6:7], s[6:7]
	v_mov_b32_e32 v21, s10
	s_xor_b64 exec, exec, s[6:7]
	s_cbranch_execz .LBB39_1286
.LBB39_3336:
	v_mov_b32_e32 v21, 0
	v_cmp_ne_u16_sdwa s[8:9], v10, v21 src0_sel:BYTE_0 src1_sel:DWORD
	s_andn2_b64 s[4:5], s[4:5], exec
	s_and_b64 s[8:9], s[8:9], exec
	s_or_b64 s[4:5], s[4:5], s[8:9]
	s_or_b64 exec, exec, s[6:7]
	s_and_saveexec_b64 s[6:7], s[4:5]
	s_cbranch_execnz .LBB39_1287
	s_branch .LBB39_1288
.LBB39_3337:
	s_movk_i32 s4, 0x80
	v_cmp_eq_u16_sdwa s[12:13], v21, s4 src0_sel:BYTE_0 src1_sel:DWORD
	s_mov_b64 s[4:5], -1
                                        ; implicit-def: $sgpr10
	s_and_saveexec_b64 s[8:9], s[12:13]
; %bb.3338:
	s_mov_b32 s10, 0x7f800001
	s_xor_b64 s[4:5], exec, -1
; %bb.3339:
	s_or_b64 exec, exec, s[8:9]
	s_and_b64 s[4:5], s[4:5], exec
	s_or_saveexec_b64 s[6:7], s[6:7]
	v_mov_b32_e32 v20, s10
	s_xor_b64 exec, exec, s[6:7]
	s_cbranch_execz .LBB39_1290
.LBB39_3340:
	v_mov_b32_e32 v20, 0
	v_cmp_ne_u16_sdwa s[8:9], v21, v20 src0_sel:BYTE_0 src1_sel:DWORD
	s_andn2_b64 s[4:5], s[4:5], exec
	s_and_b64 s[8:9], s[8:9], exec
	s_or_b64 s[4:5], s[4:5], s[8:9]
	s_or_b64 exec, exec, s[6:7]
	s_and_saveexec_b64 s[6:7], s[4:5]
	s_cbranch_execnz .LBB39_1291
	s_branch .LBB39_1292
.LBB39_3341:
	s_movk_i32 s4, 0x80
	v_cmp_eq_u16_sdwa s[12:13], v21, s4 src0_sel:BYTE_0 src1_sel:DWORD
	s_mov_b64 s[4:5], -1
                                        ; implicit-def: $sgpr10
	s_and_saveexec_b64 s[8:9], s[12:13]
; %bb.3342:
	s_mov_b32 s10, 0x7f800001
	s_xor_b64 s[4:5], exec, -1
; %bb.3343:
	s_or_b64 exec, exec, s[8:9]
	s_and_b64 s[4:5], s[4:5], exec
	s_or_saveexec_b64 s[6:7], s[6:7]
	v_mov_b32_e32 v22, s10
	s_xor_b64 exec, exec, s[6:7]
	s_cbranch_execz .LBB39_1294
.LBB39_3344:
	v_mov_b32_e32 v22, 0
	v_cmp_ne_u16_sdwa s[8:9], v21, v22 src0_sel:BYTE_0 src1_sel:DWORD
	s_andn2_b64 s[4:5], s[4:5], exec
	s_and_b64 s[8:9], s[8:9], exec
	s_or_b64 s[4:5], s[4:5], s[8:9]
	s_or_b64 exec, exec, s[6:7]
	s_and_saveexec_b64 s[6:7], s[4:5]
	s_cbranch_execnz .LBB39_1295
	s_branch .LBB39_1296
.LBB39_3345:
	s_movk_i32 s4, 0x80
	v_cmp_eq_u16_e32 vcc, s4, v21
	s_mov_b64 s[4:5], -1
                                        ; implicit-def: $sgpr10
	s_and_saveexec_b64 s[8:9], vcc
; %bb.3346:
	s_mov_b32 s10, 0x7f800001
	s_xor_b64 s[4:5], exec, -1
; %bb.3347:
	s_or_b64 exec, exec, s[8:9]
	s_and_b64 s[4:5], s[4:5], exec
                                        ; implicit-def: $vgpr21
	s_or_saveexec_b64 s[6:7], s[6:7]
	v_mov_b32_e32 v20, s10
	s_xor_b64 exec, exec, s[6:7]
	s_cbranch_execz .LBB39_1298
.LBB39_3348:
	v_cmp_ne_u16_e32 vcc, 0, v21
	s_andn2_b64 s[4:5], s[4:5], exec
	s_and_b64 s[8:9], vcc, exec
	v_mov_b32_e32 v20, 0
	s_or_b64 s[4:5], s[4:5], s[8:9]
	s_or_b64 exec, exec, s[6:7]
	s_and_saveexec_b64 s[6:7], s[4:5]
	s_cbranch_execnz .LBB39_1299
	s_branch .LBB39_1300
.LBB39_3349:
	s_movk_i32 s4, 0x80
	v_cmp_eq_u16_e32 vcc, s4, v21
	s_mov_b64 s[4:5], -1
                                        ; implicit-def: $sgpr10
	s_and_saveexec_b64 s[8:9], vcc
; %bb.3350:
	s_mov_b32 s10, 0x7f800001
	s_xor_b64 s[4:5], exec, -1
; %bb.3351:
	s_or_b64 exec, exec, s[8:9]
	s_and_b64 s[4:5], s[4:5], exec
                                        ; implicit-def: $vgpr21
	s_or_saveexec_b64 s[6:7], s[6:7]
	v_mov_b32_e32 v22, s10
	s_xor_b64 exec, exec, s[6:7]
	s_cbranch_execz .LBB39_1302
.LBB39_3352:
	v_cmp_ne_u16_e32 vcc, 0, v21
	s_andn2_b64 s[4:5], s[4:5], exec
	s_and_b64 s[8:9], vcc, exec
	v_mov_b32_e32 v22, 0
	s_or_b64 s[4:5], s[4:5], s[8:9]
	s_or_b64 exec, exec, s[6:7]
	s_and_saveexec_b64 s[6:7], s[4:5]
	s_cbranch_execnz .LBB39_1303
	s_branch .LBB39_1304
.LBB39_3353:
	s_movk_i32 s4, 0x80
	v_cmp_eq_u16_sdwa s[12:13], v14, s4 src0_sel:BYTE_3 src1_sel:DWORD
	s_mov_b64 s[4:5], -1
                                        ; implicit-def: $sgpr10
	s_and_saveexec_b64 s[8:9], s[12:13]
; %bb.3354:
	s_mov_b32 s10, 0x7f800001
	s_xor_b64 s[4:5], exec, -1
; %bb.3355:
	s_or_b64 exec, exec, s[8:9]
	s_and_b64 s[4:5], s[4:5], exec
	s_or_saveexec_b64 s[6:7], s[6:7]
	v_mov_b32_e32 v20, s10
	s_xor_b64 exec, exec, s[6:7]
	s_cbranch_execz .LBB39_1306
.LBB39_3356:
	v_mov_b32_e32 v20, 0
	v_cmp_ne_u16_sdwa s[8:9], v14, v20 src0_sel:BYTE_3 src1_sel:DWORD
	s_andn2_b64 s[4:5], s[4:5], exec
	s_and_b64 s[8:9], s[8:9], exec
	s_or_b64 s[4:5], s[4:5], s[8:9]
	s_or_b64 exec, exec, s[6:7]
	s_and_saveexec_b64 s[6:7], s[4:5]
	s_cbranch_execnz .LBB39_1307
	s_branch .LBB39_1308
.LBB39_3357:
	s_movk_i32 s4, 0x80
	v_cmp_eq_u16_sdwa s[12:13], v10, s4 src0_sel:BYTE_3 src1_sel:DWORD
	s_mov_b64 s[4:5], -1
                                        ; implicit-def: $sgpr10
	s_and_saveexec_b64 s[8:9], s[12:13]
; %bb.3358:
	s_mov_b32 s10, 0x7f800001
	s_xor_b64 s[4:5], exec, -1
; %bb.3359:
	s_or_b64 exec, exec, s[8:9]
	s_and_b64 s[4:5], s[4:5], exec
	s_or_saveexec_b64 s[6:7], s[6:7]
	v_mov_b32_e32 v14, s10
	s_xor_b64 exec, exec, s[6:7]
	s_cbranch_execz .LBB39_1310
.LBB39_3360:
	v_mov_b32_e32 v14, 0
	v_cmp_ne_u16_sdwa s[8:9], v10, v14 src0_sel:BYTE_3 src1_sel:DWORD
	s_andn2_b64 s[4:5], s[4:5], exec
	s_and_b64 s[8:9], s[8:9], exec
	s_or_b64 s[4:5], s[4:5], s[8:9]
	s_or_b64 exec, exec, s[6:7]
	s_and_saveexec_b64 s[6:7], s[4:5]
	s_cbranch_execnz .LBB39_1311
	s_branch .LBB39_1312
.LBB39_3361:
	s_movk_i32 s4, 0x80
	v_cmp_eq_u16_sdwa s[12:13], v15, s4 src0_sel:BYTE_0 src1_sel:DWORD
	s_mov_b64 s[4:5], -1
                                        ; implicit-def: $sgpr10
	s_and_saveexec_b64 s[8:9], s[12:13]
; %bb.3362:
	s_mov_b32 s10, 0x7f800001
	s_xor_b64 s[4:5], exec, -1
; %bb.3363:
	s_or_b64 exec, exec, s[8:9]
	s_and_b64 s[4:5], s[4:5], exec
	s_or_saveexec_b64 s[6:7], s[6:7]
	v_mov_b32_e32 v10, s10
	s_xor_b64 exec, exec, s[6:7]
	s_cbranch_execz .LBB39_1314
.LBB39_3364:
	v_mov_b32_e32 v10, 0
	v_cmp_ne_u16_sdwa s[8:9], v15, v10 src0_sel:BYTE_0 src1_sel:DWORD
	s_andn2_b64 s[4:5], s[4:5], exec
	s_and_b64 s[8:9], s[8:9], exec
	s_or_b64 s[4:5], s[4:5], s[8:9]
	s_or_b64 exec, exec, s[6:7]
	s_and_saveexec_b64 s[6:7], s[4:5]
	s_cbranch_execnz .LBB39_1315
	s_branch .LBB39_1316
.LBB39_3365:
	s_movk_i32 s4, 0x80
	v_cmp_eq_u16_sdwa s[12:13], v11, s4 src0_sel:BYTE_0 src1_sel:DWORD
	s_mov_b64 s[4:5], -1
                                        ; implicit-def: $sgpr10
	s_and_saveexec_b64 s[8:9], s[12:13]
; %bb.3366:
	s_mov_b32 s10, 0x7f800001
	s_xor_b64 s[4:5], exec, -1
; %bb.3367:
	s_or_b64 exec, exec, s[8:9]
	s_and_b64 s[4:5], s[4:5], exec
	s_or_saveexec_b64 s[6:7], s[6:7]
	v_mov_b32_e32 v14, s10
	s_xor_b64 exec, exec, s[6:7]
	s_cbranch_execz .LBB39_1318
.LBB39_3368:
	v_mov_b32_e32 v14, 0
	v_cmp_ne_u16_sdwa s[8:9], v11, v14 src0_sel:BYTE_0 src1_sel:DWORD
	s_andn2_b64 s[4:5], s[4:5], exec
	s_and_b64 s[8:9], s[8:9], exec
	s_or_b64 s[4:5], s[4:5], s[8:9]
	s_or_b64 exec, exec, s[6:7]
	s_and_saveexec_b64 s[6:7], s[4:5]
	s_cbranch_execnz .LBB39_1319
	s_branch .LBB39_1320
.LBB39_3369:
	s_movk_i32 s4, 0x80
	v_cmp_eq_u16_sdwa s[12:13], v14, s4 src0_sel:BYTE_0 src1_sel:DWORD
	s_mov_b64 s[4:5], -1
                                        ; implicit-def: $sgpr10
	s_and_saveexec_b64 s[8:9], s[12:13]
; %bb.3370:
	s_mov_b32 s10, 0x7f800001
	s_xor_b64 s[4:5], exec, -1
; %bb.3371:
	s_or_b64 exec, exec, s[8:9]
	s_and_b64 s[4:5], s[4:5], exec
	s_or_saveexec_b64 s[6:7], s[6:7]
	v_mov_b32_e32 v10, s10
	s_xor_b64 exec, exec, s[6:7]
	s_cbranch_execz .LBB39_1322
.LBB39_3372:
	v_mov_b32_e32 v10, 0
	v_cmp_ne_u16_sdwa s[8:9], v14, v10 src0_sel:BYTE_0 src1_sel:DWORD
	s_andn2_b64 s[4:5], s[4:5], exec
	s_and_b64 s[8:9], s[8:9], exec
	s_or_b64 s[4:5], s[4:5], s[8:9]
	s_or_b64 exec, exec, s[6:7]
	s_and_saveexec_b64 s[6:7], s[4:5]
	s_cbranch_execnz .LBB39_1323
	s_branch .LBB39_1324
.LBB39_3373:
	s_movk_i32 s4, 0x80
	v_cmp_eq_u16_sdwa s[12:13], v14, s4 src0_sel:BYTE_0 src1_sel:DWORD
	s_mov_b64 s[4:5], -1
                                        ; implicit-def: $sgpr10
	s_and_saveexec_b64 s[8:9], s[12:13]
; %bb.3374:
	s_mov_b32 s10, 0x7f800001
	s_xor_b64 s[4:5], exec, -1
; %bb.3375:
	s_or_b64 exec, exec, s[8:9]
	s_and_b64 s[4:5], s[4:5], exec
	s_or_saveexec_b64 s[6:7], s[6:7]
	v_mov_b32_e32 v20, s10
	s_xor_b64 exec, exec, s[6:7]
	s_cbranch_execz .LBB39_1326
.LBB39_3376:
	v_mov_b32_e32 v20, 0
	v_cmp_ne_u16_sdwa s[8:9], v14, v20 src0_sel:BYTE_0 src1_sel:DWORD
	s_andn2_b64 s[4:5], s[4:5], exec
	s_and_b64 s[8:9], s[8:9], exec
	s_or_b64 s[4:5], s[4:5], s[8:9]
	s_or_b64 exec, exec, s[6:7]
	s_and_saveexec_b64 s[6:7], s[4:5]
	s_cbranch_execnz .LBB39_1327
	s_branch .LBB39_1328
.LBB39_3377:
	s_movk_i32 s4, 0x80
	v_cmp_eq_u16_e32 vcc, s4, v14
	s_mov_b64 s[4:5], -1
                                        ; implicit-def: $sgpr10
	s_and_saveexec_b64 s[8:9], vcc
; %bb.3378:
	s_mov_b32 s10, 0x7f800001
	s_xor_b64 s[4:5], exec, -1
; %bb.3379:
	s_or_b64 exec, exec, s[8:9]
	s_and_b64 s[4:5], s[4:5], exec
                                        ; implicit-def: $vgpr14
	s_or_saveexec_b64 s[6:7], s[6:7]
	v_mov_b32_e32 v10, s10
	s_xor_b64 exec, exec, s[6:7]
	s_cbranch_execz .LBB39_1330
.LBB39_3380:
	v_cmp_ne_u16_e32 vcc, 0, v14
	s_andn2_b64 s[4:5], s[4:5], exec
	s_and_b64 s[8:9], vcc, exec
	v_mov_b32_e32 v10, 0
	s_or_b64 s[4:5], s[4:5], s[8:9]
	s_or_b64 exec, exec, s[6:7]
	s_and_saveexec_b64 s[6:7], s[4:5]
	s_cbranch_execnz .LBB39_1331
	s_branch .LBB39_1332
.LBB39_3381:
	s_movk_i32 s4, 0x80
	v_cmp_eq_u16_e32 vcc, s4, v14
	s_mov_b64 s[4:5], -1
                                        ; implicit-def: $sgpr10
	s_and_saveexec_b64 s[8:9], vcc
; %bb.3382:
	s_mov_b32 s10, 0x7f800001
	s_xor_b64 s[4:5], exec, -1
; %bb.3383:
	s_or_b64 exec, exec, s[8:9]
	s_and_b64 s[4:5], s[4:5], exec
                                        ; implicit-def: $vgpr14
	s_or_saveexec_b64 s[6:7], s[6:7]
	v_mov_b32_e32 v20, s10
	s_xor_b64 exec, exec, s[6:7]
	s_cbranch_execz .LBB39_1334
.LBB39_3384:
	v_cmp_ne_u16_e32 vcc, 0, v14
	s_andn2_b64 s[4:5], s[4:5], exec
	s_and_b64 s[8:9], vcc, exec
	v_mov_b32_e32 v20, 0
	s_or_b64 s[4:5], s[4:5], s[8:9]
	s_or_b64 exec, exec, s[6:7]
	s_and_saveexec_b64 s[6:7], s[4:5]
	s_cbranch_execnz .LBB39_1335
	s_branch .LBB39_1336
.LBB39_3385:
	s_movk_i32 s4, 0x80
	v_cmp_eq_u16_sdwa s[12:13], v15, s4 src0_sel:BYTE_3 src1_sel:DWORD
	s_mov_b64 s[4:5], -1
                                        ; implicit-def: $sgpr10
	s_and_saveexec_b64 s[8:9], s[12:13]
; %bb.3386:
	s_mov_b32 s10, 0x7f800001
	s_xor_b64 s[4:5], exec, -1
; %bb.3387:
	s_or_b64 exec, exec, s[8:9]
	s_and_b64 s[4:5], s[4:5], exec
	s_or_saveexec_b64 s[6:7], s[6:7]
	v_mov_b32_e32 v10, s10
	s_xor_b64 exec, exec, s[6:7]
	s_cbranch_execz .LBB39_1338
.LBB39_3388:
	v_mov_b32_e32 v10, 0
	v_cmp_ne_u16_sdwa s[8:9], v15, v10 src0_sel:BYTE_3 src1_sel:DWORD
	s_andn2_b64 s[4:5], s[4:5], exec
	s_and_b64 s[8:9], s[8:9], exec
	s_or_b64 s[4:5], s[4:5], s[8:9]
	s_or_b64 exec, exec, s[6:7]
	s_and_saveexec_b64 s[6:7], s[4:5]
	s_cbranch_execnz .LBB39_1339
	s_branch .LBB39_1340
.LBB39_3389:
	s_movk_i32 s4, 0x80
	v_cmp_eq_u16_sdwa s[12:13], v11, s4 src0_sel:BYTE_3 src1_sel:DWORD
	s_mov_b64 s[4:5], -1
                                        ; implicit-def: $sgpr10
	s_and_saveexec_b64 s[8:9], s[12:13]
; %bb.3390:
	s_mov_b32 s10, 0x7f800001
	s_xor_b64 s[4:5], exec, -1
; %bb.3391:
	s_or_b64 exec, exec, s[8:9]
	s_and_b64 s[4:5], s[4:5], exec
	s_or_saveexec_b64 s[6:7], s[6:7]
	v_mov_b32_e32 v14, s10
	s_xor_b64 exec, exec, s[6:7]
	s_cbranch_execz .LBB39_1342
.LBB39_3392:
	v_mov_b32_e32 v14, 0
	v_cmp_ne_u16_sdwa s[8:9], v11, v14 src0_sel:BYTE_3 src1_sel:DWORD
	s_andn2_b64 s[4:5], s[4:5], exec
	s_and_b64 s[8:9], s[8:9], exec
	s_or_b64 s[4:5], s[4:5], s[8:9]
	s_or_b64 exec, exec, s[6:7]
	s_and_saveexec_b64 s[6:7], s[4:5]
	s_cbranch_execnz .LBB39_1343
	s_branch .LBB39_1344
.LBB39_3393:
	s_movk_i32 s4, 0x80
	v_cmp_eq_u16_sdwa s[12:13], v16, s4 src0_sel:BYTE_0 src1_sel:DWORD
	s_mov_b64 s[4:5], -1
                                        ; implicit-def: $sgpr10
	s_and_saveexec_b64 s[8:9], s[12:13]
; %bb.3394:
	s_mov_b32 s10, 0x7f800001
	s_xor_b64 s[4:5], exec, -1
; %bb.3395:
	s_or_b64 exec, exec, s[8:9]
	s_and_b64 s[4:5], s[4:5], exec
	s_or_saveexec_b64 s[6:7], s[6:7]
	v_mov_b32_e32 v10, s10
	s_xor_b64 exec, exec, s[6:7]
	s_cbranch_execz .LBB39_1346
.LBB39_3396:
	v_mov_b32_e32 v10, 0
	v_cmp_ne_u16_sdwa s[8:9], v16, v10 src0_sel:BYTE_0 src1_sel:DWORD
	s_andn2_b64 s[4:5], s[4:5], exec
	s_and_b64 s[8:9], s[8:9], exec
	s_or_b64 s[4:5], s[4:5], s[8:9]
	s_or_b64 exec, exec, s[6:7]
	s_and_saveexec_b64 s[6:7], s[4:5]
	s_cbranch_execnz .LBB39_1347
	s_branch .LBB39_1348
.LBB39_3397:
	s_movk_i32 s4, 0x80
	v_cmp_eq_u16_sdwa s[12:13], v12, s4 src0_sel:BYTE_0 src1_sel:DWORD
	s_mov_b64 s[4:5], -1
                                        ; implicit-def: $sgpr10
	s_and_saveexec_b64 s[8:9], s[12:13]
; %bb.3398:
	s_mov_b32 s10, 0x7f800001
	s_xor_b64 s[4:5], exec, -1
; %bb.3399:
	s_or_b64 exec, exec, s[8:9]
	s_and_b64 s[4:5], s[4:5], exec
	s_or_saveexec_b64 s[6:7], s[6:7]
	v_mov_b32_e32 v11, s10
	s_xor_b64 exec, exec, s[6:7]
	s_cbranch_execz .LBB39_1350
.LBB39_3400:
	v_mov_b32_e32 v11, 0
	v_cmp_ne_u16_sdwa s[8:9], v12, v11 src0_sel:BYTE_0 src1_sel:DWORD
	s_andn2_b64 s[4:5], s[4:5], exec
	s_and_b64 s[8:9], s[8:9], exec
	s_or_b64 s[4:5], s[4:5], s[8:9]
	s_or_b64 exec, exec, s[6:7]
	s_and_saveexec_b64 s[6:7], s[4:5]
	s_cbranch_execnz .LBB39_1351
	s_branch .LBB39_1352
.LBB39_3401:
	s_movk_i32 s4, 0x80
	v_cmp_eq_u16_sdwa s[12:13], v11, s4 src0_sel:BYTE_0 src1_sel:DWORD
	s_mov_b64 s[4:5], -1
                                        ; implicit-def: $sgpr10
	s_and_saveexec_b64 s[8:9], s[12:13]
; %bb.3402:
	s_mov_b32 s10, 0x7f800001
	s_xor_b64 s[4:5], exec, -1
; %bb.3403:
	s_or_b64 exec, exec, s[8:9]
	s_and_b64 s[4:5], s[4:5], exec
	s_or_saveexec_b64 s[6:7], s[6:7]
	v_mov_b32_e32 v10, s10
	s_xor_b64 exec, exec, s[6:7]
	s_cbranch_execz .LBB39_1354
.LBB39_3404:
	v_mov_b32_e32 v10, 0
	v_cmp_ne_u16_sdwa s[8:9], v11, v10 src0_sel:BYTE_0 src1_sel:DWORD
	s_andn2_b64 s[4:5], s[4:5], exec
	s_and_b64 s[8:9], s[8:9], exec
	s_or_b64 s[4:5], s[4:5], s[8:9]
	s_or_b64 exec, exec, s[6:7]
	s_and_saveexec_b64 s[6:7], s[4:5]
	s_cbranch_execnz .LBB39_1355
	s_branch .LBB39_1356
.LBB39_3405:
	s_movk_i32 s4, 0x80
	v_cmp_eq_u16_sdwa s[12:13], v11, s4 src0_sel:BYTE_0 src1_sel:DWORD
	s_mov_b64 s[4:5], -1
                                        ; implicit-def: $sgpr10
	s_and_saveexec_b64 s[8:9], s[12:13]
; %bb.3406:
	s_mov_b32 s10, 0x7f800001
	s_xor_b64 s[4:5], exec, -1
; %bb.3407:
	s_or_b64 exec, exec, s[8:9]
	s_and_b64 s[4:5], s[4:5], exec
	s_or_saveexec_b64 s[6:7], s[6:7]
	v_mov_b32_e32 v14, s10
	s_xor_b64 exec, exec, s[6:7]
	s_cbranch_execz .LBB39_1358
.LBB39_3408:
	v_mov_b32_e32 v14, 0
	v_cmp_ne_u16_sdwa s[8:9], v11, v14 src0_sel:BYTE_0 src1_sel:DWORD
	s_andn2_b64 s[4:5], s[4:5], exec
	s_and_b64 s[8:9], s[8:9], exec
	s_or_b64 s[4:5], s[4:5], s[8:9]
	s_or_b64 exec, exec, s[6:7]
	s_and_saveexec_b64 s[6:7], s[4:5]
	s_cbranch_execnz .LBB39_1359
	s_branch .LBB39_1360
.LBB39_3409:
	s_movk_i32 s4, 0x80
	v_cmp_eq_u16_e32 vcc, s4, v11
	s_mov_b64 s[4:5], -1
                                        ; implicit-def: $sgpr10
	s_and_saveexec_b64 s[8:9], vcc
; %bb.3410:
	s_mov_b32 s10, 0x7f800001
	s_xor_b64 s[4:5], exec, -1
; %bb.3411:
	s_or_b64 exec, exec, s[8:9]
	s_and_b64 s[4:5], s[4:5], exec
                                        ; implicit-def: $vgpr11
	s_or_saveexec_b64 s[6:7], s[6:7]
	v_mov_b32_e32 v10, s10
	s_xor_b64 exec, exec, s[6:7]
	s_cbranch_execz .LBB39_1362
.LBB39_3412:
	v_cmp_ne_u16_e32 vcc, 0, v11
	s_andn2_b64 s[4:5], s[4:5], exec
	s_and_b64 s[8:9], vcc, exec
	v_mov_b32_e32 v10, 0
	s_or_b64 s[4:5], s[4:5], s[8:9]
	s_or_b64 exec, exec, s[6:7]
	s_and_saveexec_b64 s[6:7], s[4:5]
	s_cbranch_execnz .LBB39_1363
	s_branch .LBB39_1364
.LBB39_3413:
	s_movk_i32 s4, 0x80
	v_cmp_eq_u16_e32 vcc, s4, v11
	s_mov_b64 s[4:5], -1
                                        ; implicit-def: $sgpr10
	s_and_saveexec_b64 s[8:9], vcc
; %bb.3414:
	s_mov_b32 s10, 0x7f800001
	s_xor_b64 s[4:5], exec, -1
; %bb.3415:
	s_or_b64 exec, exec, s[8:9]
	s_and_b64 s[4:5], s[4:5], exec
                                        ; implicit-def: $vgpr11
	s_or_saveexec_b64 s[6:7], s[6:7]
	v_mov_b32_e32 v14, s10
	s_xor_b64 exec, exec, s[6:7]
	s_cbranch_execz .LBB39_1366
.LBB39_3416:
	v_cmp_ne_u16_e32 vcc, 0, v11
	s_andn2_b64 s[4:5], s[4:5], exec
	s_and_b64 s[8:9], vcc, exec
	v_mov_b32_e32 v14, 0
	s_or_b64 s[4:5], s[4:5], s[8:9]
	s_or_b64 exec, exec, s[6:7]
	s_and_saveexec_b64 s[6:7], s[4:5]
	s_cbranch_execnz .LBB39_1367
	s_branch .LBB39_1368
.LBB39_3417:
	s_movk_i32 s4, 0x80
	v_cmp_eq_u16_sdwa s[12:13], v16, s4 src0_sel:BYTE_3 src1_sel:DWORD
	s_mov_b64 s[4:5], -1
                                        ; implicit-def: $sgpr10
	s_and_saveexec_b64 s[8:9], s[12:13]
; %bb.3418:
	s_mov_b32 s10, 0x7f800001
	s_xor_b64 s[4:5], exec, -1
; %bb.3419:
	s_or_b64 exec, exec, s[8:9]
	s_and_b64 s[4:5], s[4:5], exec
	s_or_saveexec_b64 s[6:7], s[6:7]
	v_mov_b32_e32 v10, s10
	s_xor_b64 exec, exec, s[6:7]
	s_cbranch_execz .LBB39_1370
.LBB39_3420:
	v_mov_b32_e32 v10, 0
	v_cmp_ne_u16_sdwa s[8:9], v16, v10 src0_sel:BYTE_3 src1_sel:DWORD
	s_andn2_b64 s[4:5], s[4:5], exec
	s_and_b64 s[8:9], s[8:9], exec
	s_or_b64 s[4:5], s[4:5], s[8:9]
	s_or_b64 exec, exec, s[6:7]
	s_and_saveexec_b64 s[6:7], s[4:5]
	s_cbranch_execnz .LBB39_1371
	s_branch .LBB39_1372
.LBB39_3421:
	s_movk_i32 s4, 0x80
	v_cmp_eq_u16_sdwa s[12:13], v12, s4 src0_sel:BYTE_3 src1_sel:DWORD
	s_mov_b64 s[4:5], -1
                                        ; implicit-def: $sgpr10
	s_and_saveexec_b64 s[8:9], s[12:13]
; %bb.3422:
	s_mov_b32 s10, 0x7f800001
	s_xor_b64 s[4:5], exec, -1
; %bb.3423:
	s_or_b64 exec, exec, s[8:9]
	s_and_b64 s[4:5], s[4:5], exec
	s_or_saveexec_b64 s[6:7], s[6:7]
	v_mov_b32_e32 v11, s10
	s_xor_b64 exec, exec, s[6:7]
	s_cbranch_execz .LBB39_1374
.LBB39_3424:
	v_mov_b32_e32 v11, 0
	v_cmp_ne_u16_sdwa s[8:9], v12, v11 src0_sel:BYTE_3 src1_sel:DWORD
	s_andn2_b64 s[4:5], s[4:5], exec
	s_and_b64 s[8:9], s[8:9], exec
	s_or_b64 s[4:5], s[4:5], s[8:9]
	s_or_b64 exec, exec, s[6:7]
	s_and_saveexec_b64 s[6:7], s[4:5]
	s_cbranch_execnz .LBB39_1375
	s_branch .LBB39_1376
.LBB39_3425:
	s_movk_i32 s4, 0x80
	v_cmp_eq_u16_sdwa s[12:13], v17, s4 src0_sel:BYTE_0 src1_sel:DWORD
	s_mov_b64 s[4:5], -1
                                        ; implicit-def: $sgpr10
	s_and_saveexec_b64 s[8:9], s[12:13]
; %bb.3426:
	s_mov_b32 s10, 0x7f800001
	s_xor_b64 s[4:5], exec, -1
; %bb.3427:
	s_or_b64 exec, exec, s[8:9]
	s_and_b64 s[4:5], s[4:5], exec
	s_or_saveexec_b64 s[6:7], s[6:7]
	v_mov_b32_e32 v10, s10
	s_xor_b64 exec, exec, s[6:7]
	s_cbranch_execz .LBB39_1378
.LBB39_3428:
	v_mov_b32_e32 v10, 0
	v_cmp_ne_u16_sdwa s[8:9], v17, v10 src0_sel:BYTE_0 src1_sel:DWORD
	s_andn2_b64 s[4:5], s[4:5], exec
	s_and_b64 s[8:9], s[8:9], exec
	s_or_b64 s[4:5], s[4:5], s[8:9]
	s_or_b64 exec, exec, s[6:7]
	s_and_saveexec_b64 s[6:7], s[4:5]
	s_cbranch_execnz .LBB39_1379
	s_branch .LBB39_1380
.LBB39_3429:
	s_movk_i32 s4, 0x80
	v_cmp_eq_u16_sdwa s[12:13], v13, s4 src0_sel:BYTE_0 src1_sel:DWORD
	s_mov_b64 s[4:5], -1
                                        ; implicit-def: $sgpr10
	s_and_saveexec_b64 s[8:9], s[12:13]
; %bb.3430:
	s_mov_b32 s10, 0x7f800001
	s_xor_b64 s[4:5], exec, -1
; %bb.3431:
	s_or_b64 exec, exec, s[8:9]
	s_and_b64 s[4:5], s[4:5], exec
	s_or_saveexec_b64 s[6:7], s[6:7]
	v_mov_b32_e32 v11, s10
	s_xor_b64 exec, exec, s[6:7]
	s_cbranch_execz .LBB39_1382
.LBB39_3432:
	v_mov_b32_e32 v11, 0
	v_cmp_ne_u16_sdwa s[8:9], v13, v11 src0_sel:BYTE_0 src1_sel:DWORD
	s_andn2_b64 s[4:5], s[4:5], exec
	s_and_b64 s[8:9], s[8:9], exec
	s_or_b64 s[4:5], s[4:5], s[8:9]
	s_or_b64 exec, exec, s[6:7]
	s_and_saveexec_b64 s[6:7], s[4:5]
	s_cbranch_execnz .LBB39_1383
	s_branch .LBB39_1384
.LBB39_3433:
	s_movk_i32 s4, 0x80
	v_cmp_eq_u16_sdwa s[12:13], v11, s4 src0_sel:BYTE_0 src1_sel:DWORD
	s_mov_b64 s[4:5], -1
                                        ; implicit-def: $sgpr10
	s_and_saveexec_b64 s[8:9], s[12:13]
; %bb.3434:
	s_mov_b32 s10, 0x7f800001
	s_xor_b64 s[4:5], exec, -1
; %bb.3435:
	s_or_b64 exec, exec, s[8:9]
	s_and_b64 s[4:5], s[4:5], exec
	s_or_saveexec_b64 s[6:7], s[6:7]
	v_mov_b32_e32 v10, s10
	s_xor_b64 exec, exec, s[6:7]
	s_cbranch_execz .LBB39_1386
.LBB39_3436:
	v_mov_b32_e32 v10, 0
	v_cmp_ne_u16_sdwa s[8:9], v11, v10 src0_sel:BYTE_0 src1_sel:DWORD
	s_andn2_b64 s[4:5], s[4:5], exec
	s_and_b64 s[8:9], s[8:9], exec
	s_or_b64 s[4:5], s[4:5], s[8:9]
	s_or_b64 exec, exec, s[6:7]
	s_and_saveexec_b64 s[6:7], s[4:5]
	s_cbranch_execnz .LBB39_1387
	s_branch .LBB39_1388
.LBB39_3437:
	s_movk_i32 s4, 0x80
	v_cmp_eq_u16_sdwa s[12:13], v11, s4 src0_sel:BYTE_0 src1_sel:DWORD
	s_mov_b64 s[4:5], -1
                                        ; implicit-def: $sgpr10
	s_and_saveexec_b64 s[8:9], s[12:13]
; %bb.3438:
	s_mov_b32 s10, 0x7f800001
	s_xor_b64 s[4:5], exec, -1
; %bb.3439:
	s_or_b64 exec, exec, s[8:9]
	s_and_b64 s[4:5], s[4:5], exec
	s_or_saveexec_b64 s[6:7], s[6:7]
	v_mov_b32_e32 v12, s10
	s_xor_b64 exec, exec, s[6:7]
	s_cbranch_execz .LBB39_1390
.LBB39_3440:
	v_mov_b32_e32 v12, 0
	v_cmp_ne_u16_sdwa s[8:9], v11, v12 src0_sel:BYTE_0 src1_sel:DWORD
	s_andn2_b64 s[4:5], s[4:5], exec
	s_and_b64 s[8:9], s[8:9], exec
	s_or_b64 s[4:5], s[4:5], s[8:9]
	s_or_b64 exec, exec, s[6:7]
	s_and_saveexec_b64 s[6:7], s[4:5]
	s_cbranch_execnz .LBB39_1391
	s_branch .LBB39_1392
.LBB39_3441:
	s_movk_i32 s4, 0x80
	v_cmp_eq_u16_e32 vcc, s4, v11
	s_mov_b64 s[4:5], -1
                                        ; implicit-def: $sgpr10
	s_and_saveexec_b64 s[8:9], vcc
; %bb.3442:
	s_mov_b32 s10, 0x7f800001
	s_xor_b64 s[4:5], exec, -1
; %bb.3443:
	s_or_b64 exec, exec, s[8:9]
	s_and_b64 s[4:5], s[4:5], exec
                                        ; implicit-def: $vgpr11
	s_or_saveexec_b64 s[6:7], s[6:7]
	v_mov_b32_e32 v10, s10
	s_xor_b64 exec, exec, s[6:7]
	s_cbranch_execz .LBB39_1394
.LBB39_3444:
	v_cmp_ne_u16_e32 vcc, 0, v11
	s_andn2_b64 s[4:5], s[4:5], exec
	s_and_b64 s[8:9], vcc, exec
	v_mov_b32_e32 v10, 0
	s_or_b64 s[4:5], s[4:5], s[8:9]
	s_or_b64 exec, exec, s[6:7]
	s_and_saveexec_b64 s[6:7], s[4:5]
	s_cbranch_execnz .LBB39_1395
	s_branch .LBB39_1396
.LBB39_3445:
	s_movk_i32 s4, 0x80
	v_cmp_eq_u16_e32 vcc, s4, v11
	s_mov_b64 s[4:5], -1
                                        ; implicit-def: $sgpr10
	s_and_saveexec_b64 s[8:9], vcc
; %bb.3446:
	s_mov_b32 s10, 0x7f800001
	s_xor_b64 s[4:5], exec, -1
; %bb.3447:
	s_or_b64 exec, exec, s[8:9]
	s_and_b64 s[4:5], s[4:5], exec
                                        ; implicit-def: $vgpr11
	s_or_saveexec_b64 s[6:7], s[6:7]
	v_mov_b32_e32 v12, s10
	s_xor_b64 exec, exec, s[6:7]
	s_cbranch_execz .LBB39_1398
.LBB39_3448:
	v_cmp_ne_u16_e32 vcc, 0, v11
	s_andn2_b64 s[4:5], s[4:5], exec
	s_and_b64 s[8:9], vcc, exec
	v_mov_b32_e32 v12, 0
	s_or_b64 s[4:5], s[4:5], s[8:9]
	s_or_b64 exec, exec, s[6:7]
	s_and_saveexec_b64 s[6:7], s[4:5]
	s_cbranch_execnz .LBB39_1399
	s_branch .LBB39_1400
.LBB39_3449:
	s_movk_i32 s4, 0x80
	v_cmp_eq_u16_sdwa s[12:13], v17, s4 src0_sel:BYTE_3 src1_sel:DWORD
	s_mov_b64 s[4:5], -1
                                        ; implicit-def: $sgpr10
	s_and_saveexec_b64 s[8:9], s[12:13]
; %bb.3450:
	s_mov_b32 s10, 0x7f800001
	s_xor_b64 s[4:5], exec, -1
; %bb.3451:
	s_or_b64 exec, exec, s[8:9]
	s_and_b64 s[4:5], s[4:5], exec
	s_or_saveexec_b64 s[6:7], s[6:7]
	v_mov_b32_e32 v10, s10
	s_xor_b64 exec, exec, s[6:7]
	s_cbranch_execz .LBB39_1402
.LBB39_3452:
	v_mov_b32_e32 v10, 0
	v_cmp_ne_u16_sdwa s[8:9], v17, v10 src0_sel:BYTE_3 src1_sel:DWORD
	s_andn2_b64 s[4:5], s[4:5], exec
	s_and_b64 s[8:9], s[8:9], exec
	s_or_b64 s[4:5], s[4:5], s[8:9]
	s_or_b64 exec, exec, s[6:7]
	s_and_saveexec_b64 s[6:7], s[4:5]
	s_cbranch_execnz .LBB39_1403
	s_branch .LBB39_1404
.LBB39_3453:
	s_movk_i32 s4, 0x80
	v_cmp_eq_u16_sdwa s[12:13], v13, s4 src0_sel:BYTE_3 src1_sel:DWORD
	s_mov_b64 s[4:5], -1
                                        ; implicit-def: $sgpr10
	s_and_saveexec_b64 s[8:9], s[12:13]
; %bb.3454:
	s_mov_b32 s10, 0x7f800001
	s_xor_b64 s[4:5], exec, -1
; %bb.3455:
	s_or_b64 exec, exec, s[8:9]
	s_and_b64 s[4:5], s[4:5], exec
	s_or_saveexec_b64 s[6:7], s[6:7]
	v_mov_b32_e32 v11, s10
	s_xor_b64 exec, exec, s[6:7]
	s_cbranch_execz .LBB39_1406
.LBB39_3456:
	v_mov_b32_e32 v11, 0
	v_cmp_ne_u16_sdwa s[8:9], v13, v11 src0_sel:BYTE_3 src1_sel:DWORD
	s_andn2_b64 s[4:5], s[4:5], exec
	s_and_b64 s[8:9], s[8:9], exec
	s_or_b64 s[4:5], s[4:5], s[8:9]
	s_or_b64 exec, exec, s[6:7]
	s_and_saveexec_b64 s[6:7], s[4:5]
	s_cbranch_execnz .LBB39_1407
	s_branch .LBB39_1408
.LBB39_3457:
	s_movk_i32 s4, 0x80
	v_cmp_eq_u16_sdwa s[12:13], v6, s4 src0_sel:BYTE_0 src1_sel:DWORD
	s_mov_b64 s[4:5], -1
                                        ; implicit-def: $sgpr10
	s_and_saveexec_b64 s[8:9], s[12:13]
; %bb.3458:
	s_mov_b32 s10, 0x7f800001
	s_xor_b64 s[4:5], exec, -1
; %bb.3459:
	s_or_b64 exec, exec, s[8:9]
	s_and_b64 s[4:5], s[4:5], exec
	s_or_saveexec_b64 s[6:7], s[6:7]
	v_mov_b32_e32 v10, s10
	s_xor_b64 exec, exec, s[6:7]
	s_cbranch_execz .LBB39_1410
.LBB39_3460:
	v_mov_b32_e32 v10, 0
	v_cmp_ne_u16_sdwa s[8:9], v6, v10 src0_sel:BYTE_0 src1_sel:DWORD
	s_andn2_b64 s[4:5], s[4:5], exec
	s_and_b64 s[8:9], s[8:9], exec
	s_or_b64 s[4:5], s[4:5], s[8:9]
	s_or_b64 exec, exec, s[6:7]
	s_and_saveexec_b64 s[6:7], s[4:5]
	s_cbranch_execnz .LBB39_1411
	s_branch .LBB39_1412
.LBB39_3461:
	s_movk_i32 s4, 0x80
	v_cmp_eq_u16_sdwa s[12:13], v2, s4 src0_sel:BYTE_0 src1_sel:DWORD
	s_mov_b64 s[4:5], -1
                                        ; implicit-def: $sgpr10
	s_and_saveexec_b64 s[8:9], s[12:13]
; %bb.3462:
	s_mov_b32 s10, 0x7f800001
	s_xor_b64 s[4:5], exec, -1
; %bb.3463:
	s_or_b64 exec, exec, s[8:9]
	s_and_b64 s[4:5], s[4:5], exec
	s_or_saveexec_b64 s[6:7], s[6:7]
	v_mov_b32_e32 v11, s10
	s_xor_b64 exec, exec, s[6:7]
	s_cbranch_execz .LBB39_1414
.LBB39_3464:
	v_mov_b32_e32 v11, 0
	v_cmp_ne_u16_sdwa s[8:9], v2, v11 src0_sel:BYTE_0 src1_sel:DWORD
	s_andn2_b64 s[4:5], s[4:5], exec
	s_and_b64 s[8:9], s[8:9], exec
	s_or_b64 s[4:5], s[4:5], s[8:9]
	s_or_b64 exec, exec, s[6:7]
	s_and_saveexec_b64 s[6:7], s[4:5]
	s_cbranch_execnz .LBB39_1415
	s_branch .LBB39_1416
.LBB39_3465:
	s_movk_i32 s4, 0x80
	v_cmp_eq_u16_sdwa s[12:13], v11, s4 src0_sel:BYTE_0 src1_sel:DWORD
	s_mov_b64 s[4:5], -1
                                        ; implicit-def: $sgpr10
	s_and_saveexec_b64 s[8:9], s[12:13]
; %bb.3466:
	s_mov_b32 s10, 0x7f800001
	s_xor_b64 s[4:5], exec, -1
; %bb.3467:
	s_or_b64 exec, exec, s[8:9]
	s_and_b64 s[4:5], s[4:5], exec
	s_or_saveexec_b64 s[6:7], s[6:7]
	v_mov_b32_e32 v10, s10
	s_xor_b64 exec, exec, s[6:7]
	s_cbranch_execz .LBB39_1418
.LBB39_3468:
	v_mov_b32_e32 v10, 0
	v_cmp_ne_u16_sdwa s[8:9], v11, v10 src0_sel:BYTE_0 src1_sel:DWORD
	s_andn2_b64 s[4:5], s[4:5], exec
	s_and_b64 s[8:9], s[8:9], exec
	s_or_b64 s[4:5], s[4:5], s[8:9]
	s_or_b64 exec, exec, s[6:7]
	s_and_saveexec_b64 s[6:7], s[4:5]
	s_cbranch_execnz .LBB39_1419
	s_branch .LBB39_1420
.LBB39_3469:
	s_movk_i32 s4, 0x80
	v_cmp_eq_u16_sdwa s[12:13], v11, s4 src0_sel:BYTE_0 src1_sel:DWORD
	s_mov_b64 s[4:5], -1
                                        ; implicit-def: $sgpr10
	s_and_saveexec_b64 s[8:9], s[12:13]
; %bb.3470:
	s_mov_b32 s10, 0x7f800001
	s_xor_b64 s[4:5], exec, -1
; %bb.3471:
	s_or_b64 exec, exec, s[8:9]
	s_and_b64 s[4:5], s[4:5], exec
	s_or_saveexec_b64 s[6:7], s[6:7]
	v_mov_b32_e32 v12, s10
	s_xor_b64 exec, exec, s[6:7]
	s_cbranch_execz .LBB39_1422
.LBB39_3472:
	v_mov_b32_e32 v12, 0
	v_cmp_ne_u16_sdwa s[8:9], v11, v12 src0_sel:BYTE_0 src1_sel:DWORD
	s_andn2_b64 s[4:5], s[4:5], exec
	s_and_b64 s[8:9], s[8:9], exec
	s_or_b64 s[4:5], s[4:5], s[8:9]
	s_or_b64 exec, exec, s[6:7]
	s_and_saveexec_b64 s[6:7], s[4:5]
	s_cbranch_execnz .LBB39_1423
	s_branch .LBB39_1424
.LBB39_3473:
	s_movk_i32 s4, 0x80
	v_cmp_eq_u16_e32 vcc, s4, v11
	s_mov_b64 s[4:5], -1
                                        ; implicit-def: $sgpr10
	s_and_saveexec_b64 s[8:9], vcc
; %bb.3474:
	s_mov_b32 s10, 0x7f800001
	s_xor_b64 s[4:5], exec, -1
; %bb.3475:
	s_or_b64 exec, exec, s[8:9]
	s_and_b64 s[4:5], s[4:5], exec
                                        ; implicit-def: $vgpr11
	s_or_saveexec_b64 s[6:7], s[6:7]
	v_mov_b32_e32 v10, s10
	s_xor_b64 exec, exec, s[6:7]
	s_cbranch_execz .LBB39_1426
.LBB39_3476:
	v_cmp_ne_u16_e32 vcc, 0, v11
	s_andn2_b64 s[4:5], s[4:5], exec
	s_and_b64 s[8:9], vcc, exec
	v_mov_b32_e32 v10, 0
	s_or_b64 s[4:5], s[4:5], s[8:9]
	s_or_b64 exec, exec, s[6:7]
	s_and_saveexec_b64 s[6:7], s[4:5]
	s_cbranch_execnz .LBB39_1427
	s_branch .LBB39_1428
.LBB39_3477:
	s_movk_i32 s4, 0x80
	v_cmp_eq_u16_e32 vcc, s4, v11
	s_mov_b64 s[4:5], -1
                                        ; implicit-def: $sgpr10
	s_and_saveexec_b64 s[8:9], vcc
; %bb.3478:
	s_mov_b32 s10, 0x7f800001
	s_xor_b64 s[4:5], exec, -1
; %bb.3479:
	s_or_b64 exec, exec, s[8:9]
	s_and_b64 s[4:5], s[4:5], exec
                                        ; implicit-def: $vgpr11
	s_or_saveexec_b64 s[6:7], s[6:7]
	v_mov_b32_e32 v12, s10
	s_xor_b64 exec, exec, s[6:7]
	s_cbranch_execz .LBB39_1430
.LBB39_3480:
	v_cmp_ne_u16_e32 vcc, 0, v11
	s_andn2_b64 s[4:5], s[4:5], exec
	s_and_b64 s[8:9], vcc, exec
	v_mov_b32_e32 v12, 0
	s_or_b64 s[4:5], s[4:5], s[8:9]
	s_or_b64 exec, exec, s[6:7]
	s_and_saveexec_b64 s[6:7], s[4:5]
	s_cbranch_execnz .LBB39_1431
	s_branch .LBB39_1432
.LBB39_3481:
	s_movk_i32 s4, 0x80
	v_cmp_eq_u16_sdwa s[12:13], v6, s4 src0_sel:BYTE_3 src1_sel:DWORD
	s_mov_b64 s[4:5], -1
                                        ; implicit-def: $sgpr10
	s_and_saveexec_b64 s[8:9], s[12:13]
; %bb.3482:
	s_mov_b32 s10, 0x7f800001
	s_xor_b64 s[4:5], exec, -1
; %bb.3483:
	s_or_b64 exec, exec, s[8:9]
	s_and_b64 s[4:5], s[4:5], exec
	s_or_saveexec_b64 s[6:7], s[6:7]
	v_mov_b32_e32 v10, s10
	s_xor_b64 exec, exec, s[6:7]
	s_cbranch_execz .LBB39_1434
.LBB39_3484:
	v_mov_b32_e32 v10, 0
	v_cmp_ne_u16_sdwa s[8:9], v6, v10 src0_sel:BYTE_3 src1_sel:DWORD
	s_andn2_b64 s[4:5], s[4:5], exec
	s_and_b64 s[8:9], s[8:9], exec
	s_or_b64 s[4:5], s[4:5], s[8:9]
	s_or_b64 exec, exec, s[6:7]
	s_and_saveexec_b64 s[6:7], s[4:5]
	s_cbranch_execnz .LBB39_1435
	s_branch .LBB39_1436
.LBB39_3485:
	s_movk_i32 s4, 0x80
	v_cmp_eq_u16_sdwa s[12:13], v2, s4 src0_sel:BYTE_3 src1_sel:DWORD
	s_mov_b64 s[4:5], -1
                                        ; implicit-def: $sgpr10
	s_and_saveexec_b64 s[8:9], s[12:13]
; %bb.3486:
	s_mov_b32 s10, 0x7f800001
	s_xor_b64 s[4:5], exec, -1
; %bb.3487:
	s_or_b64 exec, exec, s[8:9]
	s_and_b64 s[4:5], s[4:5], exec
	s_or_saveexec_b64 s[6:7], s[6:7]
	v_mov_b32_e32 v6, s10
	s_xor_b64 exec, exec, s[6:7]
	s_cbranch_execz .LBB39_1438
.LBB39_3488:
	v_mov_b32_e32 v6, 0
	v_cmp_ne_u16_sdwa s[8:9], v2, v6 src0_sel:BYTE_3 src1_sel:DWORD
	s_andn2_b64 s[4:5], s[4:5], exec
	s_and_b64 s[8:9], s[8:9], exec
	s_or_b64 s[4:5], s[4:5], s[8:9]
	s_or_b64 exec, exec, s[6:7]
	s_and_saveexec_b64 s[6:7], s[4:5]
	s_cbranch_execnz .LBB39_1439
	s_branch .LBB39_1440
.LBB39_3489:
	s_movk_i32 s4, 0x80
	v_cmp_eq_u16_sdwa s[12:13], v7, s4 src0_sel:BYTE_0 src1_sel:DWORD
	s_mov_b64 s[4:5], -1
                                        ; implicit-def: $sgpr10
	s_and_saveexec_b64 s[8:9], s[12:13]
; %bb.3490:
	s_mov_b32 s10, 0x7f800001
	s_xor_b64 s[4:5], exec, -1
; %bb.3491:
	s_or_b64 exec, exec, s[8:9]
	s_and_b64 s[4:5], s[4:5], exec
	s_or_saveexec_b64 s[6:7], s[6:7]
	v_mov_b32_e32 v2, s10
	s_xor_b64 exec, exec, s[6:7]
	s_cbranch_execz .LBB39_1442
.LBB39_3492:
	v_mov_b32_e32 v2, 0
	v_cmp_ne_u16_sdwa s[8:9], v7, v2 src0_sel:BYTE_0 src1_sel:DWORD
	s_andn2_b64 s[4:5], s[4:5], exec
	s_and_b64 s[8:9], s[8:9], exec
	s_or_b64 s[4:5], s[4:5], s[8:9]
	s_or_b64 exec, exec, s[6:7]
	s_and_saveexec_b64 s[6:7], s[4:5]
	s_cbranch_execnz .LBB39_1443
	s_branch .LBB39_1444
.LBB39_3493:
	s_movk_i32 s4, 0x80
	v_cmp_eq_u16_sdwa s[12:13], v3, s4 src0_sel:BYTE_0 src1_sel:DWORD
	s_mov_b64 s[4:5], -1
                                        ; implicit-def: $sgpr10
	s_and_saveexec_b64 s[8:9], s[12:13]
; %bb.3494:
	s_mov_b32 s10, 0x7f800001
	s_xor_b64 s[4:5], exec, -1
; %bb.3495:
	s_or_b64 exec, exec, s[8:9]
	s_and_b64 s[4:5], s[4:5], exec
	s_or_saveexec_b64 s[6:7], s[6:7]
	v_mov_b32_e32 v6, s10
	s_xor_b64 exec, exec, s[6:7]
	s_cbranch_execz .LBB39_1446
.LBB39_3496:
	v_mov_b32_e32 v6, 0
	v_cmp_ne_u16_sdwa s[8:9], v3, v6 src0_sel:BYTE_0 src1_sel:DWORD
	s_andn2_b64 s[4:5], s[4:5], exec
	s_and_b64 s[8:9], s[8:9], exec
	s_or_b64 s[4:5], s[4:5], s[8:9]
	s_or_b64 exec, exec, s[6:7]
	s_and_saveexec_b64 s[6:7], s[4:5]
	s_cbranch_execnz .LBB39_1447
	s_branch .LBB39_1448
.LBB39_3497:
	s_movk_i32 s4, 0x80
	v_cmp_eq_u16_sdwa s[12:13], v6, s4 src0_sel:BYTE_0 src1_sel:DWORD
	s_mov_b64 s[4:5], -1
                                        ; implicit-def: $sgpr10
	s_and_saveexec_b64 s[8:9], s[12:13]
; %bb.3498:
	s_mov_b32 s10, 0x7f800001
	s_xor_b64 s[4:5], exec, -1
; %bb.3499:
	s_or_b64 exec, exec, s[8:9]
	s_and_b64 s[4:5], s[4:5], exec
	s_or_saveexec_b64 s[6:7], s[6:7]
	v_mov_b32_e32 v2, s10
	s_xor_b64 exec, exec, s[6:7]
	s_cbranch_execz .LBB39_1450
.LBB39_3500:
	v_mov_b32_e32 v2, 0
	v_cmp_ne_u16_sdwa s[8:9], v6, v2 src0_sel:BYTE_0 src1_sel:DWORD
	s_andn2_b64 s[4:5], s[4:5], exec
	s_and_b64 s[8:9], s[8:9], exec
	s_or_b64 s[4:5], s[4:5], s[8:9]
	s_or_b64 exec, exec, s[6:7]
	s_and_saveexec_b64 s[6:7], s[4:5]
	s_cbranch_execnz .LBB39_1451
	s_branch .LBB39_1452
.LBB39_3501:
	s_movk_i32 s4, 0x80
	v_cmp_eq_u16_sdwa s[12:13], v6, s4 src0_sel:BYTE_0 src1_sel:DWORD
	s_mov_b64 s[4:5], -1
                                        ; implicit-def: $sgpr10
	s_and_saveexec_b64 s[8:9], s[12:13]
; %bb.3502:
	s_mov_b32 s10, 0x7f800001
	s_xor_b64 s[4:5], exec, -1
; %bb.3503:
	s_or_b64 exec, exec, s[8:9]
	s_and_b64 s[4:5], s[4:5], exec
	s_or_saveexec_b64 s[6:7], s[6:7]
	v_mov_b32_e32 v10, s10
	s_xor_b64 exec, exec, s[6:7]
	s_cbranch_execz .LBB39_1454
.LBB39_3504:
	v_mov_b32_e32 v10, 0
	v_cmp_ne_u16_sdwa s[8:9], v6, v10 src0_sel:BYTE_0 src1_sel:DWORD
	s_andn2_b64 s[4:5], s[4:5], exec
	s_and_b64 s[8:9], s[8:9], exec
	s_or_b64 s[4:5], s[4:5], s[8:9]
	s_or_b64 exec, exec, s[6:7]
	s_and_saveexec_b64 s[6:7], s[4:5]
	s_cbranch_execnz .LBB39_1455
	s_branch .LBB39_1456
.LBB39_3505:
	s_movk_i32 s4, 0x80
	v_cmp_eq_u16_e32 vcc, s4, v6
	s_mov_b64 s[4:5], -1
                                        ; implicit-def: $sgpr10
	s_and_saveexec_b64 s[8:9], vcc
; %bb.3506:
	s_mov_b32 s10, 0x7f800001
	s_xor_b64 s[4:5], exec, -1
; %bb.3507:
	s_or_b64 exec, exec, s[8:9]
	s_and_b64 s[4:5], s[4:5], exec
                                        ; implicit-def: $vgpr6
	s_or_saveexec_b64 s[6:7], s[6:7]
	v_mov_b32_e32 v2, s10
	s_xor_b64 exec, exec, s[6:7]
	s_cbranch_execz .LBB39_1458
.LBB39_3508:
	v_cmp_ne_u16_e32 vcc, 0, v6
	s_andn2_b64 s[4:5], s[4:5], exec
	s_and_b64 s[8:9], vcc, exec
	v_mov_b32_e32 v2, 0
	s_or_b64 s[4:5], s[4:5], s[8:9]
	s_or_b64 exec, exec, s[6:7]
	s_and_saveexec_b64 s[6:7], s[4:5]
	s_cbranch_execnz .LBB39_1459
	s_branch .LBB39_1460
.LBB39_3509:
	s_movk_i32 s4, 0x80
	v_cmp_eq_u16_e32 vcc, s4, v6
	s_mov_b64 s[4:5], -1
                                        ; implicit-def: $sgpr10
	s_and_saveexec_b64 s[8:9], vcc
; %bb.3510:
	s_mov_b32 s10, 0x7f800001
	s_xor_b64 s[4:5], exec, -1
; %bb.3511:
	s_or_b64 exec, exec, s[8:9]
	s_and_b64 s[4:5], s[4:5], exec
                                        ; implicit-def: $vgpr6
	s_or_saveexec_b64 s[6:7], s[6:7]
	v_mov_b32_e32 v10, s10
	s_xor_b64 exec, exec, s[6:7]
	s_cbranch_execz .LBB39_1462
.LBB39_3512:
	v_cmp_ne_u16_e32 vcc, 0, v6
	s_andn2_b64 s[4:5], s[4:5], exec
	s_and_b64 s[8:9], vcc, exec
	v_mov_b32_e32 v10, 0
	s_or_b64 s[4:5], s[4:5], s[8:9]
	s_or_b64 exec, exec, s[6:7]
	s_and_saveexec_b64 s[6:7], s[4:5]
	s_cbranch_execnz .LBB39_1463
	s_branch .LBB39_1464
.LBB39_3513:
	s_movk_i32 s4, 0x80
	v_cmp_eq_u16_sdwa s[12:13], v7, s4 src0_sel:BYTE_3 src1_sel:DWORD
	s_mov_b64 s[4:5], -1
                                        ; implicit-def: $sgpr10
	s_and_saveexec_b64 s[8:9], s[12:13]
; %bb.3514:
	s_mov_b32 s10, 0x7f800001
	s_xor_b64 s[4:5], exec, -1
; %bb.3515:
	s_or_b64 exec, exec, s[8:9]
	s_and_b64 s[4:5], s[4:5], exec
	s_or_saveexec_b64 s[6:7], s[6:7]
	v_mov_b32_e32 v2, s10
	s_xor_b64 exec, exec, s[6:7]
	s_cbranch_execz .LBB39_1466
.LBB39_3516:
	v_mov_b32_e32 v2, 0
	v_cmp_ne_u16_sdwa s[8:9], v7, v2 src0_sel:BYTE_3 src1_sel:DWORD
	s_andn2_b64 s[4:5], s[4:5], exec
	s_and_b64 s[8:9], s[8:9], exec
	s_or_b64 s[4:5], s[4:5], s[8:9]
	s_or_b64 exec, exec, s[6:7]
	s_and_saveexec_b64 s[6:7], s[4:5]
	s_cbranch_execnz .LBB39_1467
	s_branch .LBB39_1468
.LBB39_3517:
	s_movk_i32 s4, 0x80
	v_cmp_eq_u16_sdwa s[12:13], v3, s4 src0_sel:BYTE_3 src1_sel:DWORD
	s_mov_b64 s[4:5], -1
                                        ; implicit-def: $sgpr10
	s_and_saveexec_b64 s[8:9], s[12:13]
; %bb.3518:
	s_mov_b32 s10, 0x7f800001
	s_xor_b64 s[4:5], exec, -1
; %bb.3519:
	s_or_b64 exec, exec, s[8:9]
	s_and_b64 s[4:5], s[4:5], exec
	s_or_saveexec_b64 s[6:7], s[6:7]
	v_mov_b32_e32 v6, s10
	s_xor_b64 exec, exec, s[6:7]
	s_cbranch_execz .LBB39_1470
.LBB39_3520:
	v_mov_b32_e32 v6, 0
	v_cmp_ne_u16_sdwa s[8:9], v3, v6 src0_sel:BYTE_3 src1_sel:DWORD
	s_andn2_b64 s[4:5], s[4:5], exec
	s_and_b64 s[8:9], s[8:9], exec
	s_or_b64 s[4:5], s[4:5], s[8:9]
	s_or_b64 exec, exec, s[6:7]
	s_and_saveexec_b64 s[6:7], s[4:5]
	s_cbranch_execnz .LBB39_1471
	s_branch .LBB39_1472
.LBB39_3521:
	s_movk_i32 s4, 0x80
	v_cmp_eq_u16_sdwa s[12:13], v8, s4 src0_sel:BYTE_0 src1_sel:DWORD
	s_mov_b64 s[4:5], -1
                                        ; implicit-def: $sgpr10
	s_and_saveexec_b64 s[8:9], s[12:13]
; %bb.3522:
	s_mov_b32 s10, 0x7f800001
	s_xor_b64 s[4:5], exec, -1
; %bb.3523:
	s_or_b64 exec, exec, s[8:9]
	s_and_b64 s[4:5], s[4:5], exec
	s_or_saveexec_b64 s[6:7], s[6:7]
	v_mov_b32_e32 v2, s10
	s_xor_b64 exec, exec, s[6:7]
	s_cbranch_execz .LBB39_1474
.LBB39_3524:
	v_mov_b32_e32 v2, 0
	v_cmp_ne_u16_sdwa s[8:9], v8, v2 src0_sel:BYTE_0 src1_sel:DWORD
	s_andn2_b64 s[4:5], s[4:5], exec
	s_and_b64 s[8:9], s[8:9], exec
	s_or_b64 s[4:5], s[4:5], s[8:9]
	s_or_b64 exec, exec, s[6:7]
	s_and_saveexec_b64 s[6:7], s[4:5]
	s_cbranch_execnz .LBB39_1475
	s_branch .LBB39_1476
.LBB39_3525:
	s_movk_i32 s4, 0x80
	v_cmp_eq_u16_sdwa s[12:13], v4, s4 src0_sel:BYTE_0 src1_sel:DWORD
	s_mov_b64 s[4:5], -1
                                        ; implicit-def: $sgpr10
	s_and_saveexec_b64 s[8:9], s[12:13]
; %bb.3526:
	s_mov_b32 s10, 0x7f800001
	s_xor_b64 s[4:5], exec, -1
; %bb.3527:
	s_or_b64 exec, exec, s[8:9]
	s_and_b64 s[4:5], s[4:5], exec
	s_or_saveexec_b64 s[6:7], s[6:7]
	v_mov_b32_e32 v3, s10
	s_xor_b64 exec, exec, s[6:7]
	s_cbranch_execz .LBB39_1478
.LBB39_3528:
	v_mov_b32_e32 v3, 0
	v_cmp_ne_u16_sdwa s[8:9], v4, v3 src0_sel:BYTE_0 src1_sel:DWORD
	s_andn2_b64 s[4:5], s[4:5], exec
	s_and_b64 s[8:9], s[8:9], exec
	s_or_b64 s[4:5], s[4:5], s[8:9]
	s_or_b64 exec, exec, s[6:7]
	s_and_saveexec_b64 s[6:7], s[4:5]
	s_cbranch_execnz .LBB39_1479
	s_branch .LBB39_1480
.LBB39_3529:
	s_movk_i32 s4, 0x80
	v_cmp_eq_u16_sdwa s[12:13], v3, s4 src0_sel:BYTE_0 src1_sel:DWORD
	s_mov_b64 s[4:5], -1
                                        ; implicit-def: $sgpr10
	s_and_saveexec_b64 s[8:9], s[12:13]
; %bb.3530:
	s_mov_b32 s10, 0x7f800001
	s_xor_b64 s[4:5], exec, -1
; %bb.3531:
	s_or_b64 exec, exec, s[8:9]
	s_and_b64 s[4:5], s[4:5], exec
	s_or_saveexec_b64 s[6:7], s[6:7]
	v_mov_b32_e32 v2, s10
	s_xor_b64 exec, exec, s[6:7]
	s_cbranch_execz .LBB39_1482
.LBB39_3532:
	v_mov_b32_e32 v2, 0
	v_cmp_ne_u16_sdwa s[8:9], v3, v2 src0_sel:BYTE_0 src1_sel:DWORD
	s_andn2_b64 s[4:5], s[4:5], exec
	s_and_b64 s[8:9], s[8:9], exec
	s_or_b64 s[4:5], s[4:5], s[8:9]
	s_or_b64 exec, exec, s[6:7]
	s_and_saveexec_b64 s[6:7], s[4:5]
	s_cbranch_execnz .LBB39_1483
	s_branch .LBB39_1484
.LBB39_3533:
	s_movk_i32 s4, 0x80
	v_cmp_eq_u16_sdwa s[12:13], v3, s4 src0_sel:BYTE_0 src1_sel:DWORD
	s_mov_b64 s[4:5], -1
                                        ; implicit-def: $sgpr10
	s_and_saveexec_b64 s[8:9], s[12:13]
; %bb.3534:
	s_mov_b32 s10, 0x7f800001
	s_xor_b64 s[4:5], exec, -1
; %bb.3535:
	s_or_b64 exec, exec, s[8:9]
	s_and_b64 s[4:5], s[4:5], exec
	s_or_saveexec_b64 s[6:7], s[6:7]
	v_mov_b32_e32 v6, s10
	s_xor_b64 exec, exec, s[6:7]
	s_cbranch_execz .LBB39_1486
.LBB39_3536:
	v_mov_b32_e32 v6, 0
	v_cmp_ne_u16_sdwa s[8:9], v3, v6 src0_sel:BYTE_0 src1_sel:DWORD
	s_andn2_b64 s[4:5], s[4:5], exec
	s_and_b64 s[8:9], s[8:9], exec
	s_or_b64 s[4:5], s[4:5], s[8:9]
	s_or_b64 exec, exec, s[6:7]
	s_and_saveexec_b64 s[6:7], s[4:5]
	s_cbranch_execnz .LBB39_1487
	s_branch .LBB39_1488
.LBB39_3537:
	s_movk_i32 s4, 0x80
	v_cmp_eq_u16_e32 vcc, s4, v3
	s_mov_b64 s[4:5], -1
                                        ; implicit-def: $sgpr10
	s_and_saveexec_b64 s[8:9], vcc
; %bb.3538:
	s_mov_b32 s10, 0x7f800001
	s_xor_b64 s[4:5], exec, -1
; %bb.3539:
	s_or_b64 exec, exec, s[8:9]
	s_and_b64 s[4:5], s[4:5], exec
                                        ; implicit-def: $vgpr3
	s_or_saveexec_b64 s[6:7], s[6:7]
	v_mov_b32_e32 v2, s10
	s_xor_b64 exec, exec, s[6:7]
	s_cbranch_execz .LBB39_1490
.LBB39_3540:
	v_cmp_ne_u16_e32 vcc, 0, v3
	s_andn2_b64 s[4:5], s[4:5], exec
	s_and_b64 s[8:9], vcc, exec
	v_mov_b32_e32 v2, 0
	s_or_b64 s[4:5], s[4:5], s[8:9]
	s_or_b64 exec, exec, s[6:7]
	s_and_saveexec_b64 s[6:7], s[4:5]
	s_cbranch_execnz .LBB39_1491
	s_branch .LBB39_1492
.LBB39_3541:
	s_movk_i32 s4, 0x80
	v_cmp_eq_u16_e32 vcc, s4, v3
	s_mov_b64 s[4:5], -1
                                        ; implicit-def: $sgpr10
	s_and_saveexec_b64 s[8:9], vcc
; %bb.3542:
	s_mov_b32 s10, 0x7f800001
	s_xor_b64 s[4:5], exec, -1
; %bb.3543:
	s_or_b64 exec, exec, s[8:9]
	s_and_b64 s[4:5], s[4:5], exec
                                        ; implicit-def: $vgpr3
	s_or_saveexec_b64 s[6:7], s[6:7]
	v_mov_b32_e32 v6, s10
	s_xor_b64 exec, exec, s[6:7]
	s_cbranch_execz .LBB39_1494
.LBB39_3544:
	v_cmp_ne_u16_e32 vcc, 0, v3
	s_andn2_b64 s[4:5], s[4:5], exec
	s_and_b64 s[8:9], vcc, exec
	v_mov_b32_e32 v6, 0
	s_or_b64 s[4:5], s[4:5], s[8:9]
	s_or_b64 exec, exec, s[6:7]
	s_and_saveexec_b64 s[6:7], s[4:5]
	s_cbranch_execnz .LBB39_1495
	s_branch .LBB39_1496
.LBB39_3545:
	s_movk_i32 s4, 0x80
	v_cmp_eq_u16_sdwa s[12:13], v8, s4 src0_sel:BYTE_3 src1_sel:DWORD
	s_mov_b64 s[4:5], -1
                                        ; implicit-def: $sgpr10
	s_and_saveexec_b64 s[8:9], s[12:13]
; %bb.3546:
	s_mov_b32 s10, 0x7f800001
	s_xor_b64 s[4:5], exec, -1
; %bb.3547:
	s_or_b64 exec, exec, s[8:9]
	s_and_b64 s[4:5], s[4:5], exec
	s_or_saveexec_b64 s[6:7], s[6:7]
	v_mov_b32_e32 v2, s10
	s_xor_b64 exec, exec, s[6:7]
	s_cbranch_execz .LBB39_1498
.LBB39_3548:
	v_mov_b32_e32 v2, 0
	v_cmp_ne_u16_sdwa s[8:9], v8, v2 src0_sel:BYTE_3 src1_sel:DWORD
	s_andn2_b64 s[4:5], s[4:5], exec
	s_and_b64 s[8:9], s[8:9], exec
	s_or_b64 s[4:5], s[4:5], s[8:9]
	s_or_b64 exec, exec, s[6:7]
	s_and_saveexec_b64 s[6:7], s[4:5]
	s_cbranch_execnz .LBB39_1499
	s_branch .LBB39_1500
.LBB39_3549:
	s_movk_i32 s4, 0x80
	v_cmp_eq_u16_sdwa s[12:13], v4, s4 src0_sel:BYTE_3 src1_sel:DWORD
	s_mov_b64 s[4:5], -1
                                        ; implicit-def: $sgpr10
	s_and_saveexec_b64 s[8:9], s[12:13]
; %bb.3550:
	s_mov_b32 s10, 0x7f800001
	s_xor_b64 s[4:5], exec, -1
; %bb.3551:
	s_or_b64 exec, exec, s[8:9]
	s_and_b64 s[4:5], s[4:5], exec
	s_or_saveexec_b64 s[6:7], s[6:7]
	v_mov_b32_e32 v3, s10
	s_xor_b64 exec, exec, s[6:7]
	s_cbranch_execz .LBB39_1502
.LBB39_3552:
	v_mov_b32_e32 v3, 0
	v_cmp_ne_u16_sdwa s[8:9], v4, v3 src0_sel:BYTE_3 src1_sel:DWORD
	s_andn2_b64 s[4:5], s[4:5], exec
	s_and_b64 s[8:9], s[8:9], exec
	s_or_b64 s[4:5], s[4:5], s[8:9]
	s_or_b64 exec, exec, s[6:7]
	s_and_saveexec_b64 s[6:7], s[4:5]
	s_cbranch_execnz .LBB39_1503
	s_branch .LBB39_1504
.LBB39_3553:
	s_movk_i32 s4, 0x80
	v_cmp_eq_u16_sdwa s[12:13], v9, s4 src0_sel:BYTE_0 src1_sel:DWORD
	s_mov_b64 s[4:5], -1
                                        ; implicit-def: $sgpr10
	s_and_saveexec_b64 s[8:9], s[12:13]
; %bb.3554:
	s_mov_b32 s10, 0x7f800001
	s_xor_b64 s[4:5], exec, -1
; %bb.3555:
	s_or_b64 exec, exec, s[8:9]
	s_and_b64 s[4:5], s[4:5], exec
	s_or_saveexec_b64 s[6:7], s[6:7]
	v_mov_b32_e32 v2, s10
	s_xor_b64 exec, exec, s[6:7]
	s_cbranch_execz .LBB39_1506
.LBB39_3556:
	v_mov_b32_e32 v2, 0
	v_cmp_ne_u16_sdwa s[8:9], v9, v2 src0_sel:BYTE_0 src1_sel:DWORD
	s_andn2_b64 s[4:5], s[4:5], exec
	s_and_b64 s[8:9], s[8:9], exec
	s_or_b64 s[4:5], s[4:5], s[8:9]
	s_or_b64 exec, exec, s[6:7]
	s_and_saveexec_b64 s[6:7], s[4:5]
	s_cbranch_execnz .LBB39_1507
	s_branch .LBB39_1508
.LBB39_3557:
	s_movk_i32 s4, 0x80
	v_cmp_eq_u16_sdwa s[12:13], v5, s4 src0_sel:BYTE_0 src1_sel:DWORD
	s_mov_b64 s[4:5], -1
                                        ; implicit-def: $sgpr10
	s_and_saveexec_b64 s[8:9], s[12:13]
; %bb.3558:
	s_mov_b32 s10, 0x7f800001
	s_xor_b64 s[4:5], exec, -1
; %bb.3559:
	s_or_b64 exec, exec, s[8:9]
	s_and_b64 s[4:5], s[4:5], exec
	s_or_saveexec_b64 s[6:7], s[6:7]
	v_mov_b32_e32 v3, s10
	s_xor_b64 exec, exec, s[6:7]
	s_cbranch_execz .LBB39_1510
.LBB39_3560:
	v_mov_b32_e32 v3, 0
	v_cmp_ne_u16_sdwa s[8:9], v5, v3 src0_sel:BYTE_0 src1_sel:DWORD
	s_andn2_b64 s[4:5], s[4:5], exec
	s_and_b64 s[8:9], s[8:9], exec
	s_or_b64 s[4:5], s[4:5], s[8:9]
	s_or_b64 exec, exec, s[6:7]
	s_and_saveexec_b64 s[6:7], s[4:5]
	s_cbranch_execnz .LBB39_1511
	s_branch .LBB39_1512
.LBB39_3561:
	s_movk_i32 s4, 0x80
	v_cmp_eq_u16_sdwa s[12:13], v3, s4 src0_sel:BYTE_0 src1_sel:DWORD
	s_mov_b64 s[4:5], -1
                                        ; implicit-def: $sgpr10
	s_and_saveexec_b64 s[8:9], s[12:13]
; %bb.3562:
	s_mov_b32 s10, 0x7f800001
	s_xor_b64 s[4:5], exec, -1
; %bb.3563:
	s_or_b64 exec, exec, s[8:9]
	s_and_b64 s[4:5], s[4:5], exec
	s_or_saveexec_b64 s[6:7], s[6:7]
	v_mov_b32_e32 v2, s10
	s_xor_b64 exec, exec, s[6:7]
	s_cbranch_execz .LBB39_1514
.LBB39_3564:
	v_mov_b32_e32 v2, 0
	v_cmp_ne_u16_sdwa s[8:9], v3, v2 src0_sel:BYTE_0 src1_sel:DWORD
	s_andn2_b64 s[4:5], s[4:5], exec
	s_and_b64 s[8:9], s[8:9], exec
	s_or_b64 s[4:5], s[4:5], s[8:9]
	s_or_b64 exec, exec, s[6:7]
	s_and_saveexec_b64 s[6:7], s[4:5]
	s_cbranch_execnz .LBB39_1515
	s_branch .LBB39_1516
.LBB39_3565:
	s_movk_i32 s4, 0x80
	v_cmp_eq_u16_sdwa s[12:13], v3, s4 src0_sel:BYTE_0 src1_sel:DWORD
	s_mov_b64 s[4:5], -1
                                        ; implicit-def: $sgpr10
	s_and_saveexec_b64 s[8:9], s[12:13]
; %bb.3566:
	s_mov_b32 s10, 0x7f800001
	s_xor_b64 s[4:5], exec, -1
; %bb.3567:
	s_or_b64 exec, exec, s[8:9]
	s_and_b64 s[4:5], s[4:5], exec
	s_or_saveexec_b64 s[6:7], s[6:7]
	v_mov_b32_e32 v4, s10
	s_xor_b64 exec, exec, s[6:7]
	s_cbranch_execz .LBB39_1518
.LBB39_3568:
	v_mov_b32_e32 v4, 0
	v_cmp_ne_u16_sdwa s[8:9], v3, v4 src0_sel:BYTE_0 src1_sel:DWORD
	s_andn2_b64 s[4:5], s[4:5], exec
	s_and_b64 s[8:9], s[8:9], exec
	s_or_b64 s[4:5], s[4:5], s[8:9]
	s_or_b64 exec, exec, s[6:7]
	s_and_saveexec_b64 s[6:7], s[4:5]
	s_cbranch_execnz .LBB39_1519
	s_branch .LBB39_1520
.LBB39_3569:
	s_movk_i32 s4, 0x80
	v_cmp_eq_u16_e32 vcc, s4, v3
	s_mov_b64 s[4:5], -1
                                        ; implicit-def: $sgpr10
	s_and_saveexec_b64 s[8:9], vcc
; %bb.3570:
	s_mov_b32 s10, 0x7f800001
	s_xor_b64 s[4:5], exec, -1
; %bb.3571:
	s_or_b64 exec, exec, s[8:9]
	s_and_b64 s[4:5], s[4:5], exec
                                        ; implicit-def: $vgpr3
	s_or_saveexec_b64 s[6:7], s[6:7]
	v_mov_b32_e32 v2, s10
	s_xor_b64 exec, exec, s[6:7]
	s_cbranch_execz .LBB39_1522
.LBB39_3572:
	v_cmp_ne_u16_e32 vcc, 0, v3
	s_andn2_b64 s[4:5], s[4:5], exec
	s_and_b64 s[8:9], vcc, exec
	v_mov_b32_e32 v2, 0
	s_or_b64 s[4:5], s[4:5], s[8:9]
	s_or_b64 exec, exec, s[6:7]
	s_and_saveexec_b64 s[6:7], s[4:5]
	s_cbranch_execnz .LBB39_1523
	s_branch .LBB39_1524
.LBB39_3573:
	s_movk_i32 s4, 0x80
	v_cmp_eq_u16_e32 vcc, s4, v3
	s_mov_b64 s[4:5], -1
                                        ; implicit-def: $sgpr10
	s_and_saveexec_b64 s[8:9], vcc
; %bb.3574:
	s_mov_b32 s10, 0x7f800001
	s_xor_b64 s[4:5], exec, -1
; %bb.3575:
	s_or_b64 exec, exec, s[8:9]
	s_and_b64 s[4:5], s[4:5], exec
                                        ; implicit-def: $vgpr3
	s_or_saveexec_b64 s[6:7], s[6:7]
	v_mov_b32_e32 v4, s10
	s_xor_b64 exec, exec, s[6:7]
	s_cbranch_execz .LBB39_1526
.LBB39_3576:
	v_cmp_ne_u16_e32 vcc, 0, v3
	s_andn2_b64 s[4:5], s[4:5], exec
	s_and_b64 s[8:9], vcc, exec
	v_mov_b32_e32 v4, 0
	s_or_b64 s[4:5], s[4:5], s[8:9]
	s_or_b64 exec, exec, s[6:7]
	s_and_saveexec_b64 s[6:7], s[4:5]
	s_cbranch_execnz .LBB39_1527
	s_branch .LBB39_1528
.LBB39_3577:
	s_movk_i32 s4, 0x80
	v_cmp_eq_u16_sdwa s[12:13], v9, s4 src0_sel:BYTE_3 src1_sel:DWORD
	s_mov_b64 s[4:5], -1
                                        ; implicit-def: $sgpr10
	s_and_saveexec_b64 s[8:9], s[12:13]
; %bb.3578:
	s_mov_b32 s10, 0x7f800001
	s_xor_b64 s[4:5], exec, -1
; %bb.3579:
	s_or_b64 exec, exec, s[8:9]
	s_and_b64 s[4:5], s[4:5], exec
	s_or_saveexec_b64 s[6:7], s[6:7]
	v_mov_b32_e32 v2, s10
	s_xor_b64 exec, exec, s[6:7]
	s_cbranch_execz .LBB39_1530
.LBB39_3580:
	v_mov_b32_e32 v2, 0
	v_cmp_ne_u16_sdwa s[8:9], v9, v2 src0_sel:BYTE_3 src1_sel:DWORD
	s_andn2_b64 s[4:5], s[4:5], exec
	s_and_b64 s[8:9], s[8:9], exec
	s_or_b64 s[4:5], s[4:5], s[8:9]
	s_or_b64 exec, exec, s[6:7]
	s_and_saveexec_b64 s[6:7], s[4:5]
	s_cbranch_execnz .LBB39_1531
	s_branch .LBB39_1532
.LBB39_3581:
	s_movk_i32 s4, 0x80
	v_cmp_eq_u16_sdwa s[12:13], v5, s4 src0_sel:BYTE_3 src1_sel:DWORD
	s_mov_b64 s[4:5], -1
                                        ; implicit-def: $sgpr10
	s_and_saveexec_b64 s[8:9], s[12:13]
; %bb.3582:
	s_mov_b32 s10, 0x7f800001
	s_xor_b64 s[4:5], exec, -1
; %bb.3583:
	s_or_b64 exec, exec, s[8:9]
	s_and_b64 s[4:5], s[4:5], exec
	s_or_saveexec_b64 s[6:7], s[6:7]
	v_mov_b32_e32 v3, s10
	s_xor_b64 exec, exec, s[6:7]
	s_cbranch_execz .LBB39_1534
.LBB39_3584:
	v_mov_b32_e32 v3, 0
	v_cmp_ne_u16_sdwa s[8:9], v5, v3 src0_sel:BYTE_3 src1_sel:DWORD
	s_andn2_b64 s[4:5], s[4:5], exec
	s_and_b64 s[8:9], s[8:9], exec
	s_or_b64 s[4:5], s[4:5], s[8:9]
	s_or_b64 exec, exec, s[6:7]
	s_and_saveexec_b64 s[6:7], s[4:5]
	s_cbranch_execnz .LBB39_1535
	s_branch .LBB39_1536
.LBB39_3585:
	s_movk_i32 s4, 0x80
	v_cmp_eq_u16_sdwa s[12:13], v14, s4 src0_sel:BYTE_0 src1_sel:DWORD
	s_mov_b64 s[4:5], -1
                                        ; implicit-def: $sgpr10
	s_and_saveexec_b64 s[8:9], s[12:13]
; %bb.3586:
	s_mov_b32 s10, 0x7f800001
	s_xor_b64 s[4:5], exec, -1
; %bb.3587:
	s_or_b64 exec, exec, s[8:9]
	s_and_b64 s[4:5], s[4:5], exec
	s_or_saveexec_b64 s[6:7], s[6:7]
	v_mov_b32_e32 v20, s10
	s_xor_b64 exec, exec, s[6:7]
	s_cbranch_execz .LBB39_1538
.LBB39_3588:
	v_mov_b32_e32 v20, 0
	v_cmp_ne_u16_sdwa s[8:9], v14, v20 src0_sel:BYTE_0 src1_sel:DWORD
	s_andn2_b64 s[4:5], s[4:5], exec
	s_and_b64 s[8:9], s[8:9], exec
	s_or_b64 s[4:5], s[4:5], s[8:9]
	s_or_b64 exec, exec, s[6:7]
	s_and_saveexec_b64 s[6:7], s[4:5]
	s_cbranch_execnz .LBB39_1539
	s_branch .LBB39_1540
.LBB39_3589:
	s_movk_i32 s4, 0x80
	v_cmp_eq_u16_sdwa s[12:13], v10, s4 src0_sel:BYTE_0 src1_sel:DWORD
	s_mov_b64 s[4:5], -1
                                        ; implicit-def: $sgpr10
	s_and_saveexec_b64 s[8:9], s[12:13]
; %bb.3590:
	s_mov_b32 s10, 0x7f800001
	s_xor_b64 s[4:5], exec, -1
; %bb.3591:
	s_or_b64 exec, exec, s[8:9]
	s_and_b64 s[4:5], s[4:5], exec
	s_or_saveexec_b64 s[6:7], s[6:7]
	v_mov_b32_e32 v21, s10
	s_xor_b64 exec, exec, s[6:7]
	s_cbranch_execz .LBB39_1542
.LBB39_3592:
	v_mov_b32_e32 v21, 0
	v_cmp_ne_u16_sdwa s[8:9], v10, v21 src0_sel:BYTE_0 src1_sel:DWORD
	s_andn2_b64 s[4:5], s[4:5], exec
	s_and_b64 s[8:9], s[8:9], exec
	s_or_b64 s[4:5], s[4:5], s[8:9]
	s_or_b64 exec, exec, s[6:7]
	s_and_saveexec_b64 s[6:7], s[4:5]
	s_cbranch_execnz .LBB39_1543
	s_branch .LBB39_1544
.LBB39_3593:
	s_movk_i32 s4, 0x80
	v_cmp_eq_u16_sdwa s[12:13], v21, s4 src0_sel:BYTE_0 src1_sel:DWORD
	s_mov_b64 s[4:5], -1
                                        ; implicit-def: $sgpr10
	s_and_saveexec_b64 s[8:9], s[12:13]
; %bb.3594:
	s_mov_b32 s10, 0x7f800001
	s_xor_b64 s[4:5], exec, -1
; %bb.3595:
	s_or_b64 exec, exec, s[8:9]
	s_and_b64 s[4:5], s[4:5], exec
	s_or_saveexec_b64 s[6:7], s[6:7]
	v_mov_b32_e32 v20, s10
	s_xor_b64 exec, exec, s[6:7]
	s_cbranch_execz .LBB39_1546
.LBB39_3596:
	v_mov_b32_e32 v20, 0
	v_cmp_ne_u16_sdwa s[8:9], v21, v20 src0_sel:BYTE_0 src1_sel:DWORD
	s_andn2_b64 s[4:5], s[4:5], exec
	s_and_b64 s[8:9], s[8:9], exec
	s_or_b64 s[4:5], s[4:5], s[8:9]
	s_or_b64 exec, exec, s[6:7]
	s_and_saveexec_b64 s[6:7], s[4:5]
	s_cbranch_execnz .LBB39_1547
	s_branch .LBB39_1548
.LBB39_3597:
	s_movk_i32 s4, 0x80
	v_cmp_eq_u16_sdwa s[12:13], v21, s4 src0_sel:BYTE_0 src1_sel:DWORD
	s_mov_b64 s[4:5], -1
                                        ; implicit-def: $sgpr10
	s_and_saveexec_b64 s[8:9], s[12:13]
; %bb.3598:
	s_mov_b32 s10, 0x7f800001
	s_xor_b64 s[4:5], exec, -1
; %bb.3599:
	s_or_b64 exec, exec, s[8:9]
	s_and_b64 s[4:5], s[4:5], exec
	s_or_saveexec_b64 s[6:7], s[6:7]
	v_mov_b32_e32 v22, s10
	s_xor_b64 exec, exec, s[6:7]
	s_cbranch_execz .LBB39_1550
.LBB39_3600:
	v_mov_b32_e32 v22, 0
	v_cmp_ne_u16_sdwa s[8:9], v21, v22 src0_sel:BYTE_0 src1_sel:DWORD
	s_andn2_b64 s[4:5], s[4:5], exec
	s_and_b64 s[8:9], s[8:9], exec
	s_or_b64 s[4:5], s[4:5], s[8:9]
	s_or_b64 exec, exec, s[6:7]
	s_and_saveexec_b64 s[6:7], s[4:5]
	s_cbranch_execnz .LBB39_1551
	s_branch .LBB39_1552
.LBB39_3601:
	s_movk_i32 s4, 0x80
	v_cmp_eq_u16_e32 vcc, s4, v21
	s_mov_b64 s[4:5], -1
                                        ; implicit-def: $sgpr10
	s_and_saveexec_b64 s[8:9], vcc
; %bb.3602:
	s_mov_b32 s10, 0x7f800001
	s_xor_b64 s[4:5], exec, -1
; %bb.3603:
	s_or_b64 exec, exec, s[8:9]
	s_and_b64 s[4:5], s[4:5], exec
                                        ; implicit-def: $vgpr21
	s_or_saveexec_b64 s[6:7], s[6:7]
	v_mov_b32_e32 v20, s10
	s_xor_b64 exec, exec, s[6:7]
	s_cbranch_execz .LBB39_1554
.LBB39_3604:
	v_cmp_ne_u16_e32 vcc, 0, v21
	s_andn2_b64 s[4:5], s[4:5], exec
	s_and_b64 s[8:9], vcc, exec
	v_mov_b32_e32 v20, 0
	s_or_b64 s[4:5], s[4:5], s[8:9]
	s_or_b64 exec, exec, s[6:7]
	s_and_saveexec_b64 s[6:7], s[4:5]
	s_cbranch_execnz .LBB39_1555
	s_branch .LBB39_1556
.LBB39_3605:
	s_movk_i32 s4, 0x80
	v_cmp_eq_u16_e32 vcc, s4, v21
	s_mov_b64 s[4:5], -1
                                        ; implicit-def: $sgpr10
	s_and_saveexec_b64 s[8:9], vcc
; %bb.3606:
	s_mov_b32 s10, 0x7f800001
	s_xor_b64 s[4:5], exec, -1
; %bb.3607:
	s_or_b64 exec, exec, s[8:9]
	s_and_b64 s[4:5], s[4:5], exec
                                        ; implicit-def: $vgpr21
	s_or_saveexec_b64 s[6:7], s[6:7]
	v_mov_b32_e32 v22, s10
	s_xor_b64 exec, exec, s[6:7]
	s_cbranch_execz .LBB39_1558
.LBB39_3608:
	v_cmp_ne_u16_e32 vcc, 0, v21
	s_andn2_b64 s[4:5], s[4:5], exec
	s_and_b64 s[8:9], vcc, exec
	v_mov_b32_e32 v22, 0
	s_or_b64 s[4:5], s[4:5], s[8:9]
	s_or_b64 exec, exec, s[6:7]
	s_and_saveexec_b64 s[6:7], s[4:5]
	s_cbranch_execnz .LBB39_1559
	s_branch .LBB39_1560
.LBB39_3609:
	s_movk_i32 s4, 0x80
	v_cmp_eq_u16_sdwa s[12:13], v14, s4 src0_sel:BYTE_3 src1_sel:DWORD
	s_mov_b64 s[4:5], -1
                                        ; implicit-def: $sgpr10
	s_and_saveexec_b64 s[8:9], s[12:13]
; %bb.3610:
	s_mov_b32 s10, 0x7f800001
	s_xor_b64 s[4:5], exec, -1
; %bb.3611:
	s_or_b64 exec, exec, s[8:9]
	s_and_b64 s[4:5], s[4:5], exec
	s_or_saveexec_b64 s[6:7], s[6:7]
	v_mov_b32_e32 v20, s10
	s_xor_b64 exec, exec, s[6:7]
	s_cbranch_execz .LBB39_1562
.LBB39_3612:
	v_mov_b32_e32 v20, 0
	v_cmp_ne_u16_sdwa s[8:9], v14, v20 src0_sel:BYTE_3 src1_sel:DWORD
	s_andn2_b64 s[4:5], s[4:5], exec
	s_and_b64 s[8:9], s[8:9], exec
	s_or_b64 s[4:5], s[4:5], s[8:9]
	s_or_b64 exec, exec, s[6:7]
	s_and_saveexec_b64 s[6:7], s[4:5]
	s_cbranch_execnz .LBB39_1563
	s_branch .LBB39_1564
.LBB39_3613:
	s_movk_i32 s4, 0x80
	v_cmp_eq_u16_sdwa s[12:13], v10, s4 src0_sel:BYTE_3 src1_sel:DWORD
	s_mov_b64 s[4:5], -1
                                        ; implicit-def: $sgpr10
	s_and_saveexec_b64 s[8:9], s[12:13]
; %bb.3614:
	s_mov_b32 s10, 0x7f800001
	s_xor_b64 s[4:5], exec, -1
; %bb.3615:
	s_or_b64 exec, exec, s[8:9]
	s_and_b64 s[4:5], s[4:5], exec
	s_or_saveexec_b64 s[6:7], s[6:7]
	v_mov_b32_e32 v14, s10
	s_xor_b64 exec, exec, s[6:7]
	s_cbranch_execz .LBB39_1566
.LBB39_3616:
	v_mov_b32_e32 v14, 0
	v_cmp_ne_u16_sdwa s[8:9], v10, v14 src0_sel:BYTE_3 src1_sel:DWORD
	s_andn2_b64 s[4:5], s[4:5], exec
	s_and_b64 s[8:9], s[8:9], exec
	s_or_b64 s[4:5], s[4:5], s[8:9]
	s_or_b64 exec, exec, s[6:7]
	s_and_saveexec_b64 s[6:7], s[4:5]
	s_cbranch_execnz .LBB39_1567
	s_branch .LBB39_1568
.LBB39_3617:
	s_movk_i32 s4, 0x80
	v_cmp_eq_u16_sdwa s[12:13], v15, s4 src0_sel:BYTE_0 src1_sel:DWORD
	s_mov_b64 s[4:5], -1
                                        ; implicit-def: $sgpr10
	s_and_saveexec_b64 s[8:9], s[12:13]
; %bb.3618:
	s_mov_b32 s10, 0x7f800001
	s_xor_b64 s[4:5], exec, -1
; %bb.3619:
	s_or_b64 exec, exec, s[8:9]
	s_and_b64 s[4:5], s[4:5], exec
	s_or_saveexec_b64 s[6:7], s[6:7]
	v_mov_b32_e32 v10, s10
	s_xor_b64 exec, exec, s[6:7]
	s_cbranch_execz .LBB39_1570
.LBB39_3620:
	v_mov_b32_e32 v10, 0
	v_cmp_ne_u16_sdwa s[8:9], v15, v10 src0_sel:BYTE_0 src1_sel:DWORD
	s_andn2_b64 s[4:5], s[4:5], exec
	s_and_b64 s[8:9], s[8:9], exec
	s_or_b64 s[4:5], s[4:5], s[8:9]
	s_or_b64 exec, exec, s[6:7]
	s_and_saveexec_b64 s[6:7], s[4:5]
	s_cbranch_execnz .LBB39_1571
	s_branch .LBB39_1572
.LBB39_3621:
	s_movk_i32 s4, 0x80
	v_cmp_eq_u16_sdwa s[12:13], v11, s4 src0_sel:BYTE_0 src1_sel:DWORD
	s_mov_b64 s[4:5], -1
                                        ; implicit-def: $sgpr10
	s_and_saveexec_b64 s[8:9], s[12:13]
; %bb.3622:
	s_mov_b32 s10, 0x7f800001
	s_xor_b64 s[4:5], exec, -1
; %bb.3623:
	s_or_b64 exec, exec, s[8:9]
	s_and_b64 s[4:5], s[4:5], exec
	s_or_saveexec_b64 s[6:7], s[6:7]
	v_mov_b32_e32 v14, s10
	s_xor_b64 exec, exec, s[6:7]
	s_cbranch_execz .LBB39_1574
.LBB39_3624:
	v_mov_b32_e32 v14, 0
	v_cmp_ne_u16_sdwa s[8:9], v11, v14 src0_sel:BYTE_0 src1_sel:DWORD
	s_andn2_b64 s[4:5], s[4:5], exec
	s_and_b64 s[8:9], s[8:9], exec
	s_or_b64 s[4:5], s[4:5], s[8:9]
	s_or_b64 exec, exec, s[6:7]
	s_and_saveexec_b64 s[6:7], s[4:5]
	s_cbranch_execnz .LBB39_1575
	s_branch .LBB39_1576
.LBB39_3625:
	s_movk_i32 s4, 0x80
	v_cmp_eq_u16_sdwa s[12:13], v14, s4 src0_sel:BYTE_0 src1_sel:DWORD
	s_mov_b64 s[4:5], -1
                                        ; implicit-def: $sgpr10
	s_and_saveexec_b64 s[8:9], s[12:13]
; %bb.3626:
	s_mov_b32 s10, 0x7f800001
	s_xor_b64 s[4:5], exec, -1
; %bb.3627:
	s_or_b64 exec, exec, s[8:9]
	s_and_b64 s[4:5], s[4:5], exec
	s_or_saveexec_b64 s[6:7], s[6:7]
	v_mov_b32_e32 v10, s10
	s_xor_b64 exec, exec, s[6:7]
	s_cbranch_execz .LBB39_1578
.LBB39_3628:
	v_mov_b32_e32 v10, 0
	v_cmp_ne_u16_sdwa s[8:9], v14, v10 src0_sel:BYTE_0 src1_sel:DWORD
	s_andn2_b64 s[4:5], s[4:5], exec
	s_and_b64 s[8:9], s[8:9], exec
	s_or_b64 s[4:5], s[4:5], s[8:9]
	s_or_b64 exec, exec, s[6:7]
	s_and_saveexec_b64 s[6:7], s[4:5]
	s_cbranch_execnz .LBB39_1579
	s_branch .LBB39_1580
.LBB39_3629:
	s_movk_i32 s4, 0x80
	v_cmp_eq_u16_sdwa s[12:13], v14, s4 src0_sel:BYTE_0 src1_sel:DWORD
	s_mov_b64 s[4:5], -1
                                        ; implicit-def: $sgpr10
	s_and_saveexec_b64 s[8:9], s[12:13]
; %bb.3630:
	s_mov_b32 s10, 0x7f800001
	s_xor_b64 s[4:5], exec, -1
; %bb.3631:
	s_or_b64 exec, exec, s[8:9]
	s_and_b64 s[4:5], s[4:5], exec
	s_or_saveexec_b64 s[6:7], s[6:7]
	v_mov_b32_e32 v20, s10
	s_xor_b64 exec, exec, s[6:7]
	s_cbranch_execz .LBB39_1582
.LBB39_3632:
	v_mov_b32_e32 v20, 0
	v_cmp_ne_u16_sdwa s[8:9], v14, v20 src0_sel:BYTE_0 src1_sel:DWORD
	s_andn2_b64 s[4:5], s[4:5], exec
	s_and_b64 s[8:9], s[8:9], exec
	s_or_b64 s[4:5], s[4:5], s[8:9]
	s_or_b64 exec, exec, s[6:7]
	s_and_saveexec_b64 s[6:7], s[4:5]
	s_cbranch_execnz .LBB39_1583
	s_branch .LBB39_1584
.LBB39_3633:
	s_movk_i32 s4, 0x80
	v_cmp_eq_u16_e32 vcc, s4, v14
	s_mov_b64 s[4:5], -1
                                        ; implicit-def: $sgpr10
	s_and_saveexec_b64 s[8:9], vcc
; %bb.3634:
	s_mov_b32 s10, 0x7f800001
	s_xor_b64 s[4:5], exec, -1
; %bb.3635:
	s_or_b64 exec, exec, s[8:9]
	s_and_b64 s[4:5], s[4:5], exec
                                        ; implicit-def: $vgpr14
	s_or_saveexec_b64 s[6:7], s[6:7]
	v_mov_b32_e32 v10, s10
	s_xor_b64 exec, exec, s[6:7]
	s_cbranch_execz .LBB39_1586
.LBB39_3636:
	v_cmp_ne_u16_e32 vcc, 0, v14
	s_andn2_b64 s[4:5], s[4:5], exec
	s_and_b64 s[8:9], vcc, exec
	v_mov_b32_e32 v10, 0
	s_or_b64 s[4:5], s[4:5], s[8:9]
	s_or_b64 exec, exec, s[6:7]
	s_and_saveexec_b64 s[6:7], s[4:5]
	s_cbranch_execnz .LBB39_1587
	s_branch .LBB39_1588
.LBB39_3637:
	s_movk_i32 s4, 0x80
	v_cmp_eq_u16_e32 vcc, s4, v14
	s_mov_b64 s[4:5], -1
                                        ; implicit-def: $sgpr10
	s_and_saveexec_b64 s[8:9], vcc
; %bb.3638:
	s_mov_b32 s10, 0x7f800001
	s_xor_b64 s[4:5], exec, -1
; %bb.3639:
	s_or_b64 exec, exec, s[8:9]
	s_and_b64 s[4:5], s[4:5], exec
                                        ; implicit-def: $vgpr14
	s_or_saveexec_b64 s[6:7], s[6:7]
	v_mov_b32_e32 v20, s10
	s_xor_b64 exec, exec, s[6:7]
	s_cbranch_execz .LBB39_1590
.LBB39_3640:
	v_cmp_ne_u16_e32 vcc, 0, v14
	s_andn2_b64 s[4:5], s[4:5], exec
	s_and_b64 s[8:9], vcc, exec
	v_mov_b32_e32 v20, 0
	s_or_b64 s[4:5], s[4:5], s[8:9]
	s_or_b64 exec, exec, s[6:7]
	s_and_saveexec_b64 s[6:7], s[4:5]
	s_cbranch_execnz .LBB39_1591
	s_branch .LBB39_1592
.LBB39_3641:
	s_movk_i32 s4, 0x80
	v_cmp_eq_u16_sdwa s[12:13], v15, s4 src0_sel:BYTE_3 src1_sel:DWORD
	s_mov_b64 s[4:5], -1
                                        ; implicit-def: $sgpr10
	s_and_saveexec_b64 s[8:9], s[12:13]
; %bb.3642:
	s_mov_b32 s10, 0x7f800001
	s_xor_b64 s[4:5], exec, -1
; %bb.3643:
	s_or_b64 exec, exec, s[8:9]
	s_and_b64 s[4:5], s[4:5], exec
	s_or_saveexec_b64 s[6:7], s[6:7]
	v_mov_b32_e32 v10, s10
	s_xor_b64 exec, exec, s[6:7]
	s_cbranch_execz .LBB39_1594
.LBB39_3644:
	v_mov_b32_e32 v10, 0
	v_cmp_ne_u16_sdwa s[8:9], v15, v10 src0_sel:BYTE_3 src1_sel:DWORD
	s_andn2_b64 s[4:5], s[4:5], exec
	s_and_b64 s[8:9], s[8:9], exec
	s_or_b64 s[4:5], s[4:5], s[8:9]
	s_or_b64 exec, exec, s[6:7]
	s_and_saveexec_b64 s[6:7], s[4:5]
	s_cbranch_execnz .LBB39_1595
	s_branch .LBB39_1596
.LBB39_3645:
	s_movk_i32 s4, 0x80
	v_cmp_eq_u16_sdwa s[12:13], v11, s4 src0_sel:BYTE_3 src1_sel:DWORD
	s_mov_b64 s[4:5], -1
                                        ; implicit-def: $sgpr10
	s_and_saveexec_b64 s[8:9], s[12:13]
; %bb.3646:
	s_mov_b32 s10, 0x7f800001
	s_xor_b64 s[4:5], exec, -1
; %bb.3647:
	s_or_b64 exec, exec, s[8:9]
	s_and_b64 s[4:5], s[4:5], exec
	s_or_saveexec_b64 s[6:7], s[6:7]
	v_mov_b32_e32 v14, s10
	s_xor_b64 exec, exec, s[6:7]
	s_cbranch_execz .LBB39_1598
.LBB39_3648:
	v_mov_b32_e32 v14, 0
	v_cmp_ne_u16_sdwa s[8:9], v11, v14 src0_sel:BYTE_3 src1_sel:DWORD
	s_andn2_b64 s[4:5], s[4:5], exec
	s_and_b64 s[8:9], s[8:9], exec
	s_or_b64 s[4:5], s[4:5], s[8:9]
	s_or_b64 exec, exec, s[6:7]
	s_and_saveexec_b64 s[6:7], s[4:5]
	s_cbranch_execnz .LBB39_1599
	s_branch .LBB39_1600
.LBB39_3649:
	s_movk_i32 s4, 0x80
	v_cmp_eq_u16_sdwa s[12:13], v16, s4 src0_sel:BYTE_0 src1_sel:DWORD
	s_mov_b64 s[4:5], -1
                                        ; implicit-def: $sgpr10
	s_and_saveexec_b64 s[8:9], s[12:13]
; %bb.3650:
	s_mov_b32 s10, 0x7f800001
	s_xor_b64 s[4:5], exec, -1
; %bb.3651:
	s_or_b64 exec, exec, s[8:9]
	s_and_b64 s[4:5], s[4:5], exec
	s_or_saveexec_b64 s[6:7], s[6:7]
	v_mov_b32_e32 v10, s10
	s_xor_b64 exec, exec, s[6:7]
	s_cbranch_execz .LBB39_1602
.LBB39_3652:
	v_mov_b32_e32 v10, 0
	v_cmp_ne_u16_sdwa s[8:9], v16, v10 src0_sel:BYTE_0 src1_sel:DWORD
	s_andn2_b64 s[4:5], s[4:5], exec
	s_and_b64 s[8:9], s[8:9], exec
	s_or_b64 s[4:5], s[4:5], s[8:9]
	s_or_b64 exec, exec, s[6:7]
	s_and_saveexec_b64 s[6:7], s[4:5]
	s_cbranch_execnz .LBB39_1603
	s_branch .LBB39_1604
.LBB39_3653:
	s_movk_i32 s4, 0x80
	v_cmp_eq_u16_sdwa s[12:13], v12, s4 src0_sel:BYTE_0 src1_sel:DWORD
	s_mov_b64 s[4:5], -1
                                        ; implicit-def: $sgpr10
	s_and_saveexec_b64 s[8:9], s[12:13]
; %bb.3654:
	s_mov_b32 s10, 0x7f800001
	s_xor_b64 s[4:5], exec, -1
; %bb.3655:
	s_or_b64 exec, exec, s[8:9]
	s_and_b64 s[4:5], s[4:5], exec
	s_or_saveexec_b64 s[6:7], s[6:7]
	v_mov_b32_e32 v11, s10
	s_xor_b64 exec, exec, s[6:7]
	s_cbranch_execz .LBB39_1606
.LBB39_3656:
	v_mov_b32_e32 v11, 0
	v_cmp_ne_u16_sdwa s[8:9], v12, v11 src0_sel:BYTE_0 src1_sel:DWORD
	s_andn2_b64 s[4:5], s[4:5], exec
	s_and_b64 s[8:9], s[8:9], exec
	s_or_b64 s[4:5], s[4:5], s[8:9]
	s_or_b64 exec, exec, s[6:7]
	s_and_saveexec_b64 s[6:7], s[4:5]
	s_cbranch_execnz .LBB39_1607
	s_branch .LBB39_1608
.LBB39_3657:
	s_movk_i32 s4, 0x80
	v_cmp_eq_u16_sdwa s[12:13], v11, s4 src0_sel:BYTE_0 src1_sel:DWORD
	s_mov_b64 s[4:5], -1
                                        ; implicit-def: $sgpr10
	s_and_saveexec_b64 s[8:9], s[12:13]
; %bb.3658:
	s_mov_b32 s10, 0x7f800001
	s_xor_b64 s[4:5], exec, -1
; %bb.3659:
	s_or_b64 exec, exec, s[8:9]
	s_and_b64 s[4:5], s[4:5], exec
	s_or_saveexec_b64 s[6:7], s[6:7]
	v_mov_b32_e32 v10, s10
	s_xor_b64 exec, exec, s[6:7]
	s_cbranch_execz .LBB39_1610
.LBB39_3660:
	v_mov_b32_e32 v10, 0
	v_cmp_ne_u16_sdwa s[8:9], v11, v10 src0_sel:BYTE_0 src1_sel:DWORD
	s_andn2_b64 s[4:5], s[4:5], exec
	s_and_b64 s[8:9], s[8:9], exec
	s_or_b64 s[4:5], s[4:5], s[8:9]
	s_or_b64 exec, exec, s[6:7]
	s_and_saveexec_b64 s[6:7], s[4:5]
	s_cbranch_execnz .LBB39_1611
	s_branch .LBB39_1612
.LBB39_3661:
	s_movk_i32 s4, 0x80
	v_cmp_eq_u16_sdwa s[12:13], v11, s4 src0_sel:BYTE_0 src1_sel:DWORD
	s_mov_b64 s[4:5], -1
                                        ; implicit-def: $sgpr10
	s_and_saveexec_b64 s[8:9], s[12:13]
; %bb.3662:
	s_mov_b32 s10, 0x7f800001
	s_xor_b64 s[4:5], exec, -1
; %bb.3663:
	s_or_b64 exec, exec, s[8:9]
	s_and_b64 s[4:5], s[4:5], exec
	s_or_saveexec_b64 s[6:7], s[6:7]
	v_mov_b32_e32 v14, s10
	s_xor_b64 exec, exec, s[6:7]
	s_cbranch_execz .LBB39_1614
.LBB39_3664:
	v_mov_b32_e32 v14, 0
	v_cmp_ne_u16_sdwa s[8:9], v11, v14 src0_sel:BYTE_0 src1_sel:DWORD
	s_andn2_b64 s[4:5], s[4:5], exec
	s_and_b64 s[8:9], s[8:9], exec
	s_or_b64 s[4:5], s[4:5], s[8:9]
	s_or_b64 exec, exec, s[6:7]
	s_and_saveexec_b64 s[6:7], s[4:5]
	s_cbranch_execnz .LBB39_1615
	s_branch .LBB39_1616
.LBB39_3665:
	s_movk_i32 s4, 0x80
	v_cmp_eq_u16_e32 vcc, s4, v11
	s_mov_b64 s[4:5], -1
                                        ; implicit-def: $sgpr10
	s_and_saveexec_b64 s[8:9], vcc
; %bb.3666:
	s_mov_b32 s10, 0x7f800001
	s_xor_b64 s[4:5], exec, -1
; %bb.3667:
	s_or_b64 exec, exec, s[8:9]
	s_and_b64 s[4:5], s[4:5], exec
                                        ; implicit-def: $vgpr11
	s_or_saveexec_b64 s[6:7], s[6:7]
	v_mov_b32_e32 v10, s10
	s_xor_b64 exec, exec, s[6:7]
	s_cbranch_execz .LBB39_1618
.LBB39_3668:
	v_cmp_ne_u16_e32 vcc, 0, v11
	s_andn2_b64 s[4:5], s[4:5], exec
	s_and_b64 s[8:9], vcc, exec
	v_mov_b32_e32 v10, 0
	s_or_b64 s[4:5], s[4:5], s[8:9]
	s_or_b64 exec, exec, s[6:7]
	s_and_saveexec_b64 s[6:7], s[4:5]
	s_cbranch_execnz .LBB39_1619
	s_branch .LBB39_1620
.LBB39_3669:
	s_movk_i32 s4, 0x80
	v_cmp_eq_u16_e32 vcc, s4, v11
	s_mov_b64 s[4:5], -1
                                        ; implicit-def: $sgpr10
	s_and_saveexec_b64 s[8:9], vcc
; %bb.3670:
	s_mov_b32 s10, 0x7f800001
	s_xor_b64 s[4:5], exec, -1
; %bb.3671:
	s_or_b64 exec, exec, s[8:9]
	s_and_b64 s[4:5], s[4:5], exec
                                        ; implicit-def: $vgpr11
	s_or_saveexec_b64 s[6:7], s[6:7]
	v_mov_b32_e32 v14, s10
	s_xor_b64 exec, exec, s[6:7]
	s_cbranch_execz .LBB39_1622
.LBB39_3672:
	v_cmp_ne_u16_e32 vcc, 0, v11
	s_andn2_b64 s[4:5], s[4:5], exec
	s_and_b64 s[8:9], vcc, exec
	v_mov_b32_e32 v14, 0
	s_or_b64 s[4:5], s[4:5], s[8:9]
	s_or_b64 exec, exec, s[6:7]
	s_and_saveexec_b64 s[6:7], s[4:5]
	s_cbranch_execnz .LBB39_1623
	s_branch .LBB39_1624
.LBB39_3673:
	s_movk_i32 s4, 0x80
	v_cmp_eq_u16_sdwa s[12:13], v16, s4 src0_sel:BYTE_3 src1_sel:DWORD
	s_mov_b64 s[4:5], -1
                                        ; implicit-def: $sgpr10
	s_and_saveexec_b64 s[8:9], s[12:13]
; %bb.3674:
	s_mov_b32 s10, 0x7f800001
	s_xor_b64 s[4:5], exec, -1
; %bb.3675:
	s_or_b64 exec, exec, s[8:9]
	s_and_b64 s[4:5], s[4:5], exec
	s_or_saveexec_b64 s[6:7], s[6:7]
	v_mov_b32_e32 v10, s10
	s_xor_b64 exec, exec, s[6:7]
	s_cbranch_execz .LBB39_1626
.LBB39_3676:
	v_mov_b32_e32 v10, 0
	v_cmp_ne_u16_sdwa s[8:9], v16, v10 src0_sel:BYTE_3 src1_sel:DWORD
	s_andn2_b64 s[4:5], s[4:5], exec
	s_and_b64 s[8:9], s[8:9], exec
	s_or_b64 s[4:5], s[4:5], s[8:9]
	s_or_b64 exec, exec, s[6:7]
	s_and_saveexec_b64 s[6:7], s[4:5]
	s_cbranch_execnz .LBB39_1627
	s_branch .LBB39_1628
.LBB39_3677:
	s_movk_i32 s4, 0x80
	v_cmp_eq_u16_sdwa s[12:13], v12, s4 src0_sel:BYTE_3 src1_sel:DWORD
	s_mov_b64 s[4:5], -1
                                        ; implicit-def: $sgpr10
	s_and_saveexec_b64 s[8:9], s[12:13]
; %bb.3678:
	s_mov_b32 s10, 0x7f800001
	s_xor_b64 s[4:5], exec, -1
; %bb.3679:
	s_or_b64 exec, exec, s[8:9]
	s_and_b64 s[4:5], s[4:5], exec
	s_or_saveexec_b64 s[6:7], s[6:7]
	v_mov_b32_e32 v11, s10
	s_xor_b64 exec, exec, s[6:7]
	s_cbranch_execz .LBB39_1630
.LBB39_3680:
	v_mov_b32_e32 v11, 0
	v_cmp_ne_u16_sdwa s[8:9], v12, v11 src0_sel:BYTE_3 src1_sel:DWORD
	s_andn2_b64 s[4:5], s[4:5], exec
	s_and_b64 s[8:9], s[8:9], exec
	s_or_b64 s[4:5], s[4:5], s[8:9]
	s_or_b64 exec, exec, s[6:7]
	s_and_saveexec_b64 s[6:7], s[4:5]
	s_cbranch_execnz .LBB39_1631
	s_branch .LBB39_1632
.LBB39_3681:
	s_movk_i32 s4, 0x80
	v_cmp_eq_u16_sdwa s[12:13], v17, s4 src0_sel:BYTE_0 src1_sel:DWORD
	s_mov_b64 s[4:5], -1
                                        ; implicit-def: $sgpr10
	s_and_saveexec_b64 s[8:9], s[12:13]
; %bb.3682:
	s_mov_b32 s10, 0x7f800001
	s_xor_b64 s[4:5], exec, -1
; %bb.3683:
	s_or_b64 exec, exec, s[8:9]
	s_and_b64 s[4:5], s[4:5], exec
	s_or_saveexec_b64 s[6:7], s[6:7]
	v_mov_b32_e32 v10, s10
	s_xor_b64 exec, exec, s[6:7]
	s_cbranch_execz .LBB39_1634
.LBB39_3684:
	v_mov_b32_e32 v10, 0
	v_cmp_ne_u16_sdwa s[8:9], v17, v10 src0_sel:BYTE_0 src1_sel:DWORD
	s_andn2_b64 s[4:5], s[4:5], exec
	s_and_b64 s[8:9], s[8:9], exec
	s_or_b64 s[4:5], s[4:5], s[8:9]
	s_or_b64 exec, exec, s[6:7]
	s_and_saveexec_b64 s[6:7], s[4:5]
	s_cbranch_execnz .LBB39_1635
	s_branch .LBB39_1636
.LBB39_3685:
	s_movk_i32 s4, 0x80
	v_cmp_eq_u16_sdwa s[12:13], v13, s4 src0_sel:BYTE_0 src1_sel:DWORD
	s_mov_b64 s[4:5], -1
                                        ; implicit-def: $sgpr10
	s_and_saveexec_b64 s[8:9], s[12:13]
; %bb.3686:
	s_mov_b32 s10, 0x7f800001
	s_xor_b64 s[4:5], exec, -1
; %bb.3687:
	s_or_b64 exec, exec, s[8:9]
	s_and_b64 s[4:5], s[4:5], exec
	s_or_saveexec_b64 s[6:7], s[6:7]
	v_mov_b32_e32 v11, s10
	s_xor_b64 exec, exec, s[6:7]
	s_cbranch_execz .LBB39_1638
.LBB39_3688:
	v_mov_b32_e32 v11, 0
	v_cmp_ne_u16_sdwa s[8:9], v13, v11 src0_sel:BYTE_0 src1_sel:DWORD
	s_andn2_b64 s[4:5], s[4:5], exec
	s_and_b64 s[8:9], s[8:9], exec
	s_or_b64 s[4:5], s[4:5], s[8:9]
	s_or_b64 exec, exec, s[6:7]
	s_and_saveexec_b64 s[6:7], s[4:5]
	s_cbranch_execnz .LBB39_1639
	s_branch .LBB39_1640
.LBB39_3689:
	s_movk_i32 s4, 0x80
	v_cmp_eq_u16_sdwa s[12:13], v11, s4 src0_sel:BYTE_0 src1_sel:DWORD
	s_mov_b64 s[4:5], -1
                                        ; implicit-def: $sgpr10
	s_and_saveexec_b64 s[8:9], s[12:13]
; %bb.3690:
	s_mov_b32 s10, 0x7f800001
	s_xor_b64 s[4:5], exec, -1
; %bb.3691:
	s_or_b64 exec, exec, s[8:9]
	s_and_b64 s[4:5], s[4:5], exec
	s_or_saveexec_b64 s[6:7], s[6:7]
	v_mov_b32_e32 v10, s10
	s_xor_b64 exec, exec, s[6:7]
	s_cbranch_execz .LBB39_1642
.LBB39_3692:
	v_mov_b32_e32 v10, 0
	v_cmp_ne_u16_sdwa s[8:9], v11, v10 src0_sel:BYTE_0 src1_sel:DWORD
	s_andn2_b64 s[4:5], s[4:5], exec
	s_and_b64 s[8:9], s[8:9], exec
	s_or_b64 s[4:5], s[4:5], s[8:9]
	s_or_b64 exec, exec, s[6:7]
	s_and_saveexec_b64 s[6:7], s[4:5]
	s_cbranch_execnz .LBB39_1643
	s_branch .LBB39_1644
.LBB39_3693:
	s_movk_i32 s4, 0x80
	v_cmp_eq_u16_sdwa s[12:13], v11, s4 src0_sel:BYTE_0 src1_sel:DWORD
	s_mov_b64 s[4:5], -1
                                        ; implicit-def: $sgpr10
	s_and_saveexec_b64 s[8:9], s[12:13]
; %bb.3694:
	s_mov_b32 s10, 0x7f800001
	s_xor_b64 s[4:5], exec, -1
; %bb.3695:
	s_or_b64 exec, exec, s[8:9]
	s_and_b64 s[4:5], s[4:5], exec
	s_or_saveexec_b64 s[6:7], s[6:7]
	v_mov_b32_e32 v12, s10
	s_xor_b64 exec, exec, s[6:7]
	s_cbranch_execz .LBB39_1646
.LBB39_3696:
	v_mov_b32_e32 v12, 0
	v_cmp_ne_u16_sdwa s[8:9], v11, v12 src0_sel:BYTE_0 src1_sel:DWORD
	s_andn2_b64 s[4:5], s[4:5], exec
	s_and_b64 s[8:9], s[8:9], exec
	s_or_b64 s[4:5], s[4:5], s[8:9]
	s_or_b64 exec, exec, s[6:7]
	s_and_saveexec_b64 s[6:7], s[4:5]
	s_cbranch_execnz .LBB39_1647
	s_branch .LBB39_1648
.LBB39_3697:
	s_movk_i32 s4, 0x80
	v_cmp_eq_u16_e32 vcc, s4, v11
	s_mov_b64 s[4:5], -1
                                        ; implicit-def: $sgpr10
	s_and_saveexec_b64 s[8:9], vcc
; %bb.3698:
	s_mov_b32 s10, 0x7f800001
	s_xor_b64 s[4:5], exec, -1
; %bb.3699:
	s_or_b64 exec, exec, s[8:9]
	s_and_b64 s[4:5], s[4:5], exec
                                        ; implicit-def: $vgpr11
	s_or_saveexec_b64 s[6:7], s[6:7]
	v_mov_b32_e32 v10, s10
	s_xor_b64 exec, exec, s[6:7]
	s_cbranch_execz .LBB39_1650
.LBB39_3700:
	v_cmp_ne_u16_e32 vcc, 0, v11
	s_andn2_b64 s[4:5], s[4:5], exec
	s_and_b64 s[8:9], vcc, exec
	v_mov_b32_e32 v10, 0
	s_or_b64 s[4:5], s[4:5], s[8:9]
	s_or_b64 exec, exec, s[6:7]
	s_and_saveexec_b64 s[6:7], s[4:5]
	s_cbranch_execnz .LBB39_1651
	s_branch .LBB39_1652
.LBB39_3701:
	s_movk_i32 s4, 0x80
	v_cmp_eq_u16_e32 vcc, s4, v11
	s_mov_b64 s[4:5], -1
                                        ; implicit-def: $sgpr10
	s_and_saveexec_b64 s[8:9], vcc
; %bb.3702:
	s_mov_b32 s10, 0x7f800001
	s_xor_b64 s[4:5], exec, -1
; %bb.3703:
	s_or_b64 exec, exec, s[8:9]
	s_and_b64 s[4:5], s[4:5], exec
                                        ; implicit-def: $vgpr11
	s_or_saveexec_b64 s[6:7], s[6:7]
	v_mov_b32_e32 v12, s10
	s_xor_b64 exec, exec, s[6:7]
	s_cbranch_execz .LBB39_1654
.LBB39_3704:
	v_cmp_ne_u16_e32 vcc, 0, v11
	s_andn2_b64 s[4:5], s[4:5], exec
	s_and_b64 s[8:9], vcc, exec
	v_mov_b32_e32 v12, 0
	s_or_b64 s[4:5], s[4:5], s[8:9]
	s_or_b64 exec, exec, s[6:7]
	s_and_saveexec_b64 s[6:7], s[4:5]
	s_cbranch_execnz .LBB39_1655
	s_branch .LBB39_1656
.LBB39_3705:
	s_movk_i32 s4, 0x80
	v_cmp_eq_u16_sdwa s[12:13], v17, s4 src0_sel:BYTE_3 src1_sel:DWORD
	s_mov_b64 s[4:5], -1
                                        ; implicit-def: $sgpr10
	s_and_saveexec_b64 s[8:9], s[12:13]
; %bb.3706:
	s_mov_b32 s10, 0x7f800001
	s_xor_b64 s[4:5], exec, -1
; %bb.3707:
	s_or_b64 exec, exec, s[8:9]
	s_and_b64 s[4:5], s[4:5], exec
	s_or_saveexec_b64 s[6:7], s[6:7]
	v_mov_b32_e32 v10, s10
	s_xor_b64 exec, exec, s[6:7]
	s_cbranch_execz .LBB39_1658
.LBB39_3708:
	v_mov_b32_e32 v10, 0
	v_cmp_ne_u16_sdwa s[8:9], v17, v10 src0_sel:BYTE_3 src1_sel:DWORD
	s_andn2_b64 s[4:5], s[4:5], exec
	s_and_b64 s[8:9], s[8:9], exec
	s_or_b64 s[4:5], s[4:5], s[8:9]
	s_or_b64 exec, exec, s[6:7]
	s_and_saveexec_b64 s[6:7], s[4:5]
	s_cbranch_execnz .LBB39_1659
	s_branch .LBB39_1660
.LBB39_3709:
	s_movk_i32 s4, 0x80
	v_cmp_eq_u16_sdwa s[12:13], v13, s4 src0_sel:BYTE_3 src1_sel:DWORD
	s_mov_b64 s[4:5], -1
                                        ; implicit-def: $sgpr10
	s_and_saveexec_b64 s[8:9], s[12:13]
; %bb.3710:
	s_mov_b32 s10, 0x7f800001
	s_xor_b64 s[4:5], exec, -1
; %bb.3711:
	s_or_b64 exec, exec, s[8:9]
	s_and_b64 s[4:5], s[4:5], exec
	s_or_saveexec_b64 s[6:7], s[6:7]
	v_mov_b32_e32 v11, s10
	s_xor_b64 exec, exec, s[6:7]
	s_cbranch_execz .LBB39_1662
.LBB39_3712:
	v_mov_b32_e32 v11, 0
	v_cmp_ne_u16_sdwa s[8:9], v13, v11 src0_sel:BYTE_3 src1_sel:DWORD
	s_andn2_b64 s[4:5], s[4:5], exec
	s_and_b64 s[8:9], s[8:9], exec
	s_or_b64 s[4:5], s[4:5], s[8:9]
	s_or_b64 exec, exec, s[6:7]
	s_and_saveexec_b64 s[6:7], s[4:5]
	s_cbranch_execnz .LBB39_1663
	s_branch .LBB39_1664
.LBB39_3713:
	s_movk_i32 s4, 0x80
	v_cmp_eq_u16_sdwa s[12:13], v6, s4 src0_sel:BYTE_0 src1_sel:DWORD
	s_mov_b64 s[4:5], -1
                                        ; implicit-def: $sgpr10
	s_and_saveexec_b64 s[8:9], s[12:13]
; %bb.3714:
	s_mov_b32 s10, 0x7f800001
	s_xor_b64 s[4:5], exec, -1
; %bb.3715:
	s_or_b64 exec, exec, s[8:9]
	s_and_b64 s[4:5], s[4:5], exec
	s_or_saveexec_b64 s[6:7], s[6:7]
	v_mov_b32_e32 v10, s10
	s_xor_b64 exec, exec, s[6:7]
	s_cbranch_execz .LBB39_1666
.LBB39_3716:
	v_mov_b32_e32 v10, 0
	v_cmp_ne_u16_sdwa s[8:9], v6, v10 src0_sel:BYTE_0 src1_sel:DWORD
	s_andn2_b64 s[4:5], s[4:5], exec
	s_and_b64 s[8:9], s[8:9], exec
	s_or_b64 s[4:5], s[4:5], s[8:9]
	s_or_b64 exec, exec, s[6:7]
	s_and_saveexec_b64 s[6:7], s[4:5]
	s_cbranch_execnz .LBB39_1667
	s_branch .LBB39_1668
.LBB39_3717:
	s_movk_i32 s4, 0x80
	v_cmp_eq_u16_sdwa s[12:13], v2, s4 src0_sel:BYTE_0 src1_sel:DWORD
	s_mov_b64 s[4:5], -1
                                        ; implicit-def: $sgpr10
	s_and_saveexec_b64 s[8:9], s[12:13]
; %bb.3718:
	s_mov_b32 s10, 0x7f800001
	s_xor_b64 s[4:5], exec, -1
; %bb.3719:
	s_or_b64 exec, exec, s[8:9]
	s_and_b64 s[4:5], s[4:5], exec
	s_or_saveexec_b64 s[6:7], s[6:7]
	v_mov_b32_e32 v11, s10
	s_xor_b64 exec, exec, s[6:7]
	s_cbranch_execz .LBB39_1670
.LBB39_3720:
	v_mov_b32_e32 v11, 0
	v_cmp_ne_u16_sdwa s[8:9], v2, v11 src0_sel:BYTE_0 src1_sel:DWORD
	s_andn2_b64 s[4:5], s[4:5], exec
	s_and_b64 s[8:9], s[8:9], exec
	s_or_b64 s[4:5], s[4:5], s[8:9]
	s_or_b64 exec, exec, s[6:7]
	s_and_saveexec_b64 s[6:7], s[4:5]
	s_cbranch_execnz .LBB39_1671
	s_branch .LBB39_1672
.LBB39_3721:
	s_movk_i32 s4, 0x80
	v_cmp_eq_u16_sdwa s[12:13], v11, s4 src0_sel:BYTE_0 src1_sel:DWORD
	s_mov_b64 s[4:5], -1
                                        ; implicit-def: $sgpr10
	s_and_saveexec_b64 s[8:9], s[12:13]
; %bb.3722:
	s_mov_b32 s10, 0x7f800001
	s_xor_b64 s[4:5], exec, -1
; %bb.3723:
	s_or_b64 exec, exec, s[8:9]
	s_and_b64 s[4:5], s[4:5], exec
	s_or_saveexec_b64 s[6:7], s[6:7]
	v_mov_b32_e32 v10, s10
	s_xor_b64 exec, exec, s[6:7]
	s_cbranch_execz .LBB39_1674
.LBB39_3724:
	v_mov_b32_e32 v10, 0
	v_cmp_ne_u16_sdwa s[8:9], v11, v10 src0_sel:BYTE_0 src1_sel:DWORD
	s_andn2_b64 s[4:5], s[4:5], exec
	s_and_b64 s[8:9], s[8:9], exec
	s_or_b64 s[4:5], s[4:5], s[8:9]
	s_or_b64 exec, exec, s[6:7]
	s_and_saveexec_b64 s[6:7], s[4:5]
	s_cbranch_execnz .LBB39_1675
	s_branch .LBB39_1676
.LBB39_3725:
	s_movk_i32 s4, 0x80
	v_cmp_eq_u16_sdwa s[12:13], v11, s4 src0_sel:BYTE_0 src1_sel:DWORD
	s_mov_b64 s[4:5], -1
                                        ; implicit-def: $sgpr10
	s_and_saveexec_b64 s[8:9], s[12:13]
; %bb.3726:
	s_mov_b32 s10, 0x7f800001
	s_xor_b64 s[4:5], exec, -1
; %bb.3727:
	s_or_b64 exec, exec, s[8:9]
	s_and_b64 s[4:5], s[4:5], exec
	s_or_saveexec_b64 s[6:7], s[6:7]
	v_mov_b32_e32 v12, s10
	s_xor_b64 exec, exec, s[6:7]
	s_cbranch_execz .LBB39_1678
.LBB39_3728:
	v_mov_b32_e32 v12, 0
	v_cmp_ne_u16_sdwa s[8:9], v11, v12 src0_sel:BYTE_0 src1_sel:DWORD
	s_andn2_b64 s[4:5], s[4:5], exec
	s_and_b64 s[8:9], s[8:9], exec
	s_or_b64 s[4:5], s[4:5], s[8:9]
	s_or_b64 exec, exec, s[6:7]
	s_and_saveexec_b64 s[6:7], s[4:5]
	s_cbranch_execnz .LBB39_1679
	s_branch .LBB39_1680
.LBB39_3729:
	s_movk_i32 s4, 0x80
	v_cmp_eq_u16_e32 vcc, s4, v11
	s_mov_b64 s[4:5], -1
                                        ; implicit-def: $sgpr10
	s_and_saveexec_b64 s[8:9], vcc
; %bb.3730:
	s_mov_b32 s10, 0x7f800001
	s_xor_b64 s[4:5], exec, -1
; %bb.3731:
	s_or_b64 exec, exec, s[8:9]
	s_and_b64 s[4:5], s[4:5], exec
                                        ; implicit-def: $vgpr11
	s_or_saveexec_b64 s[6:7], s[6:7]
	v_mov_b32_e32 v10, s10
	s_xor_b64 exec, exec, s[6:7]
	s_cbranch_execz .LBB39_1682
.LBB39_3732:
	v_cmp_ne_u16_e32 vcc, 0, v11
	s_andn2_b64 s[4:5], s[4:5], exec
	s_and_b64 s[8:9], vcc, exec
	v_mov_b32_e32 v10, 0
	s_or_b64 s[4:5], s[4:5], s[8:9]
	s_or_b64 exec, exec, s[6:7]
	s_and_saveexec_b64 s[6:7], s[4:5]
	s_cbranch_execnz .LBB39_1683
	s_branch .LBB39_1684
.LBB39_3733:
	s_movk_i32 s4, 0x80
	v_cmp_eq_u16_e32 vcc, s4, v11
	s_mov_b64 s[4:5], -1
                                        ; implicit-def: $sgpr10
	s_and_saveexec_b64 s[8:9], vcc
; %bb.3734:
	s_mov_b32 s10, 0x7f800001
	s_xor_b64 s[4:5], exec, -1
; %bb.3735:
	s_or_b64 exec, exec, s[8:9]
	s_and_b64 s[4:5], s[4:5], exec
                                        ; implicit-def: $vgpr11
	s_or_saveexec_b64 s[6:7], s[6:7]
	v_mov_b32_e32 v12, s10
	s_xor_b64 exec, exec, s[6:7]
	s_cbranch_execz .LBB39_1686
.LBB39_3736:
	v_cmp_ne_u16_e32 vcc, 0, v11
	s_andn2_b64 s[4:5], s[4:5], exec
	s_and_b64 s[8:9], vcc, exec
	v_mov_b32_e32 v12, 0
	s_or_b64 s[4:5], s[4:5], s[8:9]
	s_or_b64 exec, exec, s[6:7]
	s_and_saveexec_b64 s[6:7], s[4:5]
	s_cbranch_execnz .LBB39_1687
	s_branch .LBB39_1688
.LBB39_3737:
	s_movk_i32 s4, 0x80
	v_cmp_eq_u16_sdwa s[12:13], v6, s4 src0_sel:BYTE_3 src1_sel:DWORD
	s_mov_b64 s[4:5], -1
                                        ; implicit-def: $sgpr10
	s_and_saveexec_b64 s[8:9], s[12:13]
; %bb.3738:
	s_mov_b32 s10, 0x7f800001
	s_xor_b64 s[4:5], exec, -1
; %bb.3739:
	s_or_b64 exec, exec, s[8:9]
	s_and_b64 s[4:5], s[4:5], exec
	s_or_saveexec_b64 s[6:7], s[6:7]
	v_mov_b32_e32 v10, s10
	s_xor_b64 exec, exec, s[6:7]
	s_cbranch_execz .LBB39_1690
.LBB39_3740:
	v_mov_b32_e32 v10, 0
	v_cmp_ne_u16_sdwa s[8:9], v6, v10 src0_sel:BYTE_3 src1_sel:DWORD
	s_andn2_b64 s[4:5], s[4:5], exec
	s_and_b64 s[8:9], s[8:9], exec
	s_or_b64 s[4:5], s[4:5], s[8:9]
	s_or_b64 exec, exec, s[6:7]
	s_and_saveexec_b64 s[6:7], s[4:5]
	s_cbranch_execnz .LBB39_1691
	s_branch .LBB39_1692
.LBB39_3741:
	s_movk_i32 s4, 0x80
	v_cmp_eq_u16_sdwa s[12:13], v2, s4 src0_sel:BYTE_3 src1_sel:DWORD
	s_mov_b64 s[4:5], -1
                                        ; implicit-def: $sgpr10
	s_and_saveexec_b64 s[8:9], s[12:13]
; %bb.3742:
	s_mov_b32 s10, 0x7f800001
	s_xor_b64 s[4:5], exec, -1
; %bb.3743:
	s_or_b64 exec, exec, s[8:9]
	s_and_b64 s[4:5], s[4:5], exec
	s_or_saveexec_b64 s[6:7], s[6:7]
	v_mov_b32_e32 v6, s10
	s_xor_b64 exec, exec, s[6:7]
	s_cbranch_execz .LBB39_1694
.LBB39_3744:
	v_mov_b32_e32 v6, 0
	v_cmp_ne_u16_sdwa s[8:9], v2, v6 src0_sel:BYTE_3 src1_sel:DWORD
	s_andn2_b64 s[4:5], s[4:5], exec
	s_and_b64 s[8:9], s[8:9], exec
	s_or_b64 s[4:5], s[4:5], s[8:9]
	s_or_b64 exec, exec, s[6:7]
	s_and_saveexec_b64 s[6:7], s[4:5]
	s_cbranch_execnz .LBB39_1695
	s_branch .LBB39_1696
.LBB39_3745:
	s_movk_i32 s4, 0x80
	v_cmp_eq_u16_sdwa s[12:13], v7, s4 src0_sel:BYTE_0 src1_sel:DWORD
	s_mov_b64 s[4:5], -1
                                        ; implicit-def: $sgpr10
	s_and_saveexec_b64 s[8:9], s[12:13]
; %bb.3746:
	s_mov_b32 s10, 0x7f800001
	s_xor_b64 s[4:5], exec, -1
; %bb.3747:
	s_or_b64 exec, exec, s[8:9]
	s_and_b64 s[4:5], s[4:5], exec
	s_or_saveexec_b64 s[6:7], s[6:7]
	v_mov_b32_e32 v2, s10
	s_xor_b64 exec, exec, s[6:7]
	s_cbranch_execz .LBB39_1698
.LBB39_3748:
	v_mov_b32_e32 v2, 0
	v_cmp_ne_u16_sdwa s[8:9], v7, v2 src0_sel:BYTE_0 src1_sel:DWORD
	s_andn2_b64 s[4:5], s[4:5], exec
	s_and_b64 s[8:9], s[8:9], exec
	s_or_b64 s[4:5], s[4:5], s[8:9]
	s_or_b64 exec, exec, s[6:7]
	s_and_saveexec_b64 s[6:7], s[4:5]
	s_cbranch_execnz .LBB39_1699
	s_branch .LBB39_1700
.LBB39_3749:
	s_movk_i32 s4, 0x80
	v_cmp_eq_u16_sdwa s[12:13], v3, s4 src0_sel:BYTE_0 src1_sel:DWORD
	s_mov_b64 s[4:5], -1
                                        ; implicit-def: $sgpr10
	s_and_saveexec_b64 s[8:9], s[12:13]
; %bb.3750:
	s_mov_b32 s10, 0x7f800001
	s_xor_b64 s[4:5], exec, -1
; %bb.3751:
	s_or_b64 exec, exec, s[8:9]
	s_and_b64 s[4:5], s[4:5], exec
	s_or_saveexec_b64 s[6:7], s[6:7]
	v_mov_b32_e32 v6, s10
	s_xor_b64 exec, exec, s[6:7]
	s_cbranch_execz .LBB39_1702
.LBB39_3752:
	v_mov_b32_e32 v6, 0
	v_cmp_ne_u16_sdwa s[8:9], v3, v6 src0_sel:BYTE_0 src1_sel:DWORD
	s_andn2_b64 s[4:5], s[4:5], exec
	s_and_b64 s[8:9], s[8:9], exec
	s_or_b64 s[4:5], s[4:5], s[8:9]
	s_or_b64 exec, exec, s[6:7]
	s_and_saveexec_b64 s[6:7], s[4:5]
	s_cbranch_execnz .LBB39_1703
	s_branch .LBB39_1704
.LBB39_3753:
	s_movk_i32 s4, 0x80
	v_cmp_eq_u16_sdwa s[12:13], v6, s4 src0_sel:BYTE_0 src1_sel:DWORD
	s_mov_b64 s[4:5], -1
                                        ; implicit-def: $sgpr10
	s_and_saveexec_b64 s[8:9], s[12:13]
; %bb.3754:
	s_mov_b32 s10, 0x7f800001
	s_xor_b64 s[4:5], exec, -1
; %bb.3755:
	s_or_b64 exec, exec, s[8:9]
	s_and_b64 s[4:5], s[4:5], exec
	s_or_saveexec_b64 s[6:7], s[6:7]
	v_mov_b32_e32 v2, s10
	s_xor_b64 exec, exec, s[6:7]
	s_cbranch_execz .LBB39_1706
.LBB39_3756:
	v_mov_b32_e32 v2, 0
	v_cmp_ne_u16_sdwa s[8:9], v6, v2 src0_sel:BYTE_0 src1_sel:DWORD
	s_andn2_b64 s[4:5], s[4:5], exec
	s_and_b64 s[8:9], s[8:9], exec
	s_or_b64 s[4:5], s[4:5], s[8:9]
	s_or_b64 exec, exec, s[6:7]
	s_and_saveexec_b64 s[6:7], s[4:5]
	s_cbranch_execnz .LBB39_1707
	s_branch .LBB39_1708
.LBB39_3757:
	s_movk_i32 s4, 0x80
	v_cmp_eq_u16_sdwa s[12:13], v6, s4 src0_sel:BYTE_0 src1_sel:DWORD
	s_mov_b64 s[4:5], -1
                                        ; implicit-def: $sgpr10
	s_and_saveexec_b64 s[8:9], s[12:13]
; %bb.3758:
	s_mov_b32 s10, 0x7f800001
	s_xor_b64 s[4:5], exec, -1
; %bb.3759:
	s_or_b64 exec, exec, s[8:9]
	s_and_b64 s[4:5], s[4:5], exec
	s_or_saveexec_b64 s[6:7], s[6:7]
	v_mov_b32_e32 v10, s10
	s_xor_b64 exec, exec, s[6:7]
	s_cbranch_execz .LBB39_1710
.LBB39_3760:
	v_mov_b32_e32 v10, 0
	v_cmp_ne_u16_sdwa s[8:9], v6, v10 src0_sel:BYTE_0 src1_sel:DWORD
	s_andn2_b64 s[4:5], s[4:5], exec
	s_and_b64 s[8:9], s[8:9], exec
	s_or_b64 s[4:5], s[4:5], s[8:9]
	s_or_b64 exec, exec, s[6:7]
	s_and_saveexec_b64 s[6:7], s[4:5]
	s_cbranch_execnz .LBB39_1711
	s_branch .LBB39_1712
.LBB39_3761:
	s_movk_i32 s4, 0x80
	v_cmp_eq_u16_e32 vcc, s4, v6
	s_mov_b64 s[4:5], -1
                                        ; implicit-def: $sgpr10
	s_and_saveexec_b64 s[8:9], vcc
; %bb.3762:
	s_mov_b32 s10, 0x7f800001
	s_xor_b64 s[4:5], exec, -1
; %bb.3763:
	s_or_b64 exec, exec, s[8:9]
	s_and_b64 s[4:5], s[4:5], exec
                                        ; implicit-def: $vgpr6
	s_or_saveexec_b64 s[6:7], s[6:7]
	v_mov_b32_e32 v2, s10
	s_xor_b64 exec, exec, s[6:7]
	s_cbranch_execz .LBB39_1714
.LBB39_3764:
	v_cmp_ne_u16_e32 vcc, 0, v6
	s_andn2_b64 s[4:5], s[4:5], exec
	s_and_b64 s[8:9], vcc, exec
	v_mov_b32_e32 v2, 0
	s_or_b64 s[4:5], s[4:5], s[8:9]
	s_or_b64 exec, exec, s[6:7]
	s_and_saveexec_b64 s[6:7], s[4:5]
	s_cbranch_execnz .LBB39_1715
	s_branch .LBB39_1716
.LBB39_3765:
	s_movk_i32 s4, 0x80
	v_cmp_eq_u16_e32 vcc, s4, v6
	s_mov_b64 s[4:5], -1
                                        ; implicit-def: $sgpr10
	s_and_saveexec_b64 s[8:9], vcc
; %bb.3766:
	s_mov_b32 s10, 0x7f800001
	s_xor_b64 s[4:5], exec, -1
; %bb.3767:
	s_or_b64 exec, exec, s[8:9]
	s_and_b64 s[4:5], s[4:5], exec
                                        ; implicit-def: $vgpr6
	s_or_saveexec_b64 s[6:7], s[6:7]
	v_mov_b32_e32 v10, s10
	s_xor_b64 exec, exec, s[6:7]
	s_cbranch_execz .LBB39_1718
.LBB39_3768:
	v_cmp_ne_u16_e32 vcc, 0, v6
	s_andn2_b64 s[4:5], s[4:5], exec
	s_and_b64 s[8:9], vcc, exec
	v_mov_b32_e32 v10, 0
	s_or_b64 s[4:5], s[4:5], s[8:9]
	s_or_b64 exec, exec, s[6:7]
	s_and_saveexec_b64 s[6:7], s[4:5]
	s_cbranch_execnz .LBB39_1719
	s_branch .LBB39_1720
.LBB39_3769:
	s_movk_i32 s4, 0x80
	v_cmp_eq_u16_sdwa s[12:13], v7, s4 src0_sel:BYTE_3 src1_sel:DWORD
	s_mov_b64 s[4:5], -1
                                        ; implicit-def: $sgpr10
	s_and_saveexec_b64 s[8:9], s[12:13]
; %bb.3770:
	s_mov_b32 s10, 0x7f800001
	s_xor_b64 s[4:5], exec, -1
; %bb.3771:
	s_or_b64 exec, exec, s[8:9]
	s_and_b64 s[4:5], s[4:5], exec
	s_or_saveexec_b64 s[6:7], s[6:7]
	v_mov_b32_e32 v2, s10
	s_xor_b64 exec, exec, s[6:7]
	s_cbranch_execz .LBB39_1722
.LBB39_3772:
	v_mov_b32_e32 v2, 0
	v_cmp_ne_u16_sdwa s[8:9], v7, v2 src0_sel:BYTE_3 src1_sel:DWORD
	s_andn2_b64 s[4:5], s[4:5], exec
	s_and_b64 s[8:9], s[8:9], exec
	s_or_b64 s[4:5], s[4:5], s[8:9]
	s_or_b64 exec, exec, s[6:7]
	s_and_saveexec_b64 s[6:7], s[4:5]
	s_cbranch_execnz .LBB39_1723
	s_branch .LBB39_1724
.LBB39_3773:
	s_movk_i32 s4, 0x80
	v_cmp_eq_u16_sdwa s[12:13], v3, s4 src0_sel:BYTE_3 src1_sel:DWORD
	s_mov_b64 s[4:5], -1
                                        ; implicit-def: $sgpr10
	s_and_saveexec_b64 s[8:9], s[12:13]
; %bb.3774:
	s_mov_b32 s10, 0x7f800001
	s_xor_b64 s[4:5], exec, -1
; %bb.3775:
	s_or_b64 exec, exec, s[8:9]
	s_and_b64 s[4:5], s[4:5], exec
	s_or_saveexec_b64 s[6:7], s[6:7]
	v_mov_b32_e32 v6, s10
	s_xor_b64 exec, exec, s[6:7]
	s_cbranch_execz .LBB39_1726
.LBB39_3776:
	v_mov_b32_e32 v6, 0
	v_cmp_ne_u16_sdwa s[8:9], v3, v6 src0_sel:BYTE_3 src1_sel:DWORD
	s_andn2_b64 s[4:5], s[4:5], exec
	s_and_b64 s[8:9], s[8:9], exec
	s_or_b64 s[4:5], s[4:5], s[8:9]
	s_or_b64 exec, exec, s[6:7]
	s_and_saveexec_b64 s[6:7], s[4:5]
	s_cbranch_execnz .LBB39_1727
	s_branch .LBB39_1728
.LBB39_3777:
	s_movk_i32 s4, 0x80
	v_cmp_eq_u16_sdwa s[12:13], v8, s4 src0_sel:BYTE_0 src1_sel:DWORD
	s_mov_b64 s[4:5], -1
                                        ; implicit-def: $sgpr10
	s_and_saveexec_b64 s[8:9], s[12:13]
; %bb.3778:
	s_mov_b32 s10, 0x7f800001
	s_xor_b64 s[4:5], exec, -1
; %bb.3779:
	s_or_b64 exec, exec, s[8:9]
	s_and_b64 s[4:5], s[4:5], exec
	s_or_saveexec_b64 s[6:7], s[6:7]
	v_mov_b32_e32 v2, s10
	s_xor_b64 exec, exec, s[6:7]
	s_cbranch_execz .LBB39_1730
.LBB39_3780:
	v_mov_b32_e32 v2, 0
	v_cmp_ne_u16_sdwa s[8:9], v8, v2 src0_sel:BYTE_0 src1_sel:DWORD
	s_andn2_b64 s[4:5], s[4:5], exec
	s_and_b64 s[8:9], s[8:9], exec
	s_or_b64 s[4:5], s[4:5], s[8:9]
	s_or_b64 exec, exec, s[6:7]
	s_and_saveexec_b64 s[6:7], s[4:5]
	s_cbranch_execnz .LBB39_1731
	s_branch .LBB39_1732
.LBB39_3781:
	s_movk_i32 s4, 0x80
	v_cmp_eq_u16_sdwa s[12:13], v4, s4 src0_sel:BYTE_0 src1_sel:DWORD
	s_mov_b64 s[4:5], -1
                                        ; implicit-def: $sgpr10
	s_and_saveexec_b64 s[8:9], s[12:13]
; %bb.3782:
	s_mov_b32 s10, 0x7f800001
	s_xor_b64 s[4:5], exec, -1
; %bb.3783:
	s_or_b64 exec, exec, s[8:9]
	s_and_b64 s[4:5], s[4:5], exec
	s_or_saveexec_b64 s[6:7], s[6:7]
	v_mov_b32_e32 v3, s10
	s_xor_b64 exec, exec, s[6:7]
	s_cbranch_execz .LBB39_1734
.LBB39_3784:
	v_mov_b32_e32 v3, 0
	v_cmp_ne_u16_sdwa s[8:9], v4, v3 src0_sel:BYTE_0 src1_sel:DWORD
	s_andn2_b64 s[4:5], s[4:5], exec
	s_and_b64 s[8:9], s[8:9], exec
	s_or_b64 s[4:5], s[4:5], s[8:9]
	s_or_b64 exec, exec, s[6:7]
	s_and_saveexec_b64 s[6:7], s[4:5]
	s_cbranch_execnz .LBB39_1735
	s_branch .LBB39_1736
.LBB39_3785:
	s_movk_i32 s4, 0x80
	v_cmp_eq_u16_sdwa s[12:13], v3, s4 src0_sel:BYTE_0 src1_sel:DWORD
	s_mov_b64 s[4:5], -1
                                        ; implicit-def: $sgpr10
	s_and_saveexec_b64 s[8:9], s[12:13]
; %bb.3786:
	s_mov_b32 s10, 0x7f800001
	s_xor_b64 s[4:5], exec, -1
; %bb.3787:
	s_or_b64 exec, exec, s[8:9]
	s_and_b64 s[4:5], s[4:5], exec
	s_or_saveexec_b64 s[6:7], s[6:7]
	v_mov_b32_e32 v2, s10
	s_xor_b64 exec, exec, s[6:7]
	s_cbranch_execz .LBB39_1738
.LBB39_3788:
	v_mov_b32_e32 v2, 0
	v_cmp_ne_u16_sdwa s[8:9], v3, v2 src0_sel:BYTE_0 src1_sel:DWORD
	s_andn2_b64 s[4:5], s[4:5], exec
	s_and_b64 s[8:9], s[8:9], exec
	s_or_b64 s[4:5], s[4:5], s[8:9]
	s_or_b64 exec, exec, s[6:7]
	s_and_saveexec_b64 s[6:7], s[4:5]
	s_cbranch_execnz .LBB39_1739
	s_branch .LBB39_1740
.LBB39_3789:
	s_movk_i32 s4, 0x80
	v_cmp_eq_u16_sdwa s[12:13], v3, s4 src0_sel:BYTE_0 src1_sel:DWORD
	s_mov_b64 s[4:5], -1
                                        ; implicit-def: $sgpr10
	s_and_saveexec_b64 s[8:9], s[12:13]
; %bb.3790:
	s_mov_b32 s10, 0x7f800001
	s_xor_b64 s[4:5], exec, -1
; %bb.3791:
	s_or_b64 exec, exec, s[8:9]
	s_and_b64 s[4:5], s[4:5], exec
	s_or_saveexec_b64 s[6:7], s[6:7]
	v_mov_b32_e32 v6, s10
	s_xor_b64 exec, exec, s[6:7]
	s_cbranch_execz .LBB39_1742
.LBB39_3792:
	v_mov_b32_e32 v6, 0
	v_cmp_ne_u16_sdwa s[8:9], v3, v6 src0_sel:BYTE_0 src1_sel:DWORD
	s_andn2_b64 s[4:5], s[4:5], exec
	s_and_b64 s[8:9], s[8:9], exec
	s_or_b64 s[4:5], s[4:5], s[8:9]
	s_or_b64 exec, exec, s[6:7]
	s_and_saveexec_b64 s[6:7], s[4:5]
	s_cbranch_execnz .LBB39_1743
	s_branch .LBB39_1744
.LBB39_3793:
	s_movk_i32 s4, 0x80
	v_cmp_eq_u16_e32 vcc, s4, v3
	s_mov_b64 s[4:5], -1
                                        ; implicit-def: $sgpr10
	s_and_saveexec_b64 s[8:9], vcc
; %bb.3794:
	s_mov_b32 s10, 0x7f800001
	s_xor_b64 s[4:5], exec, -1
; %bb.3795:
	s_or_b64 exec, exec, s[8:9]
	s_and_b64 s[4:5], s[4:5], exec
                                        ; implicit-def: $vgpr3
	s_or_saveexec_b64 s[6:7], s[6:7]
	v_mov_b32_e32 v2, s10
	s_xor_b64 exec, exec, s[6:7]
	s_cbranch_execz .LBB39_1746
.LBB39_3796:
	v_cmp_ne_u16_e32 vcc, 0, v3
	s_andn2_b64 s[4:5], s[4:5], exec
	s_and_b64 s[8:9], vcc, exec
	v_mov_b32_e32 v2, 0
	s_or_b64 s[4:5], s[4:5], s[8:9]
	s_or_b64 exec, exec, s[6:7]
	s_and_saveexec_b64 s[6:7], s[4:5]
	s_cbranch_execnz .LBB39_1747
	s_branch .LBB39_1748
.LBB39_3797:
	s_movk_i32 s4, 0x80
	v_cmp_eq_u16_e32 vcc, s4, v3
	s_mov_b64 s[4:5], -1
                                        ; implicit-def: $sgpr10
	s_and_saveexec_b64 s[8:9], vcc
; %bb.3798:
	s_mov_b32 s10, 0x7f800001
	s_xor_b64 s[4:5], exec, -1
; %bb.3799:
	s_or_b64 exec, exec, s[8:9]
	s_and_b64 s[4:5], s[4:5], exec
                                        ; implicit-def: $vgpr3
	s_or_saveexec_b64 s[6:7], s[6:7]
	v_mov_b32_e32 v6, s10
	s_xor_b64 exec, exec, s[6:7]
	s_cbranch_execz .LBB39_1750
.LBB39_3800:
	v_cmp_ne_u16_e32 vcc, 0, v3
	s_andn2_b64 s[4:5], s[4:5], exec
	s_and_b64 s[8:9], vcc, exec
	v_mov_b32_e32 v6, 0
	s_or_b64 s[4:5], s[4:5], s[8:9]
	s_or_b64 exec, exec, s[6:7]
	s_and_saveexec_b64 s[6:7], s[4:5]
	s_cbranch_execnz .LBB39_1751
	s_branch .LBB39_1752
.LBB39_3801:
	s_movk_i32 s4, 0x80
	v_cmp_eq_u16_sdwa s[12:13], v8, s4 src0_sel:BYTE_3 src1_sel:DWORD
	s_mov_b64 s[4:5], -1
                                        ; implicit-def: $sgpr10
	s_and_saveexec_b64 s[8:9], s[12:13]
; %bb.3802:
	s_mov_b32 s10, 0x7f800001
	s_xor_b64 s[4:5], exec, -1
; %bb.3803:
	s_or_b64 exec, exec, s[8:9]
	s_and_b64 s[4:5], s[4:5], exec
	s_or_saveexec_b64 s[6:7], s[6:7]
	v_mov_b32_e32 v2, s10
	s_xor_b64 exec, exec, s[6:7]
	s_cbranch_execz .LBB39_1754
.LBB39_3804:
	v_mov_b32_e32 v2, 0
	v_cmp_ne_u16_sdwa s[8:9], v8, v2 src0_sel:BYTE_3 src1_sel:DWORD
	s_andn2_b64 s[4:5], s[4:5], exec
	s_and_b64 s[8:9], s[8:9], exec
	s_or_b64 s[4:5], s[4:5], s[8:9]
	s_or_b64 exec, exec, s[6:7]
	s_and_saveexec_b64 s[6:7], s[4:5]
	s_cbranch_execnz .LBB39_1755
	s_branch .LBB39_1756
.LBB39_3805:
	s_movk_i32 s4, 0x80
	v_cmp_eq_u16_sdwa s[12:13], v4, s4 src0_sel:BYTE_3 src1_sel:DWORD
	s_mov_b64 s[4:5], -1
                                        ; implicit-def: $sgpr10
	s_and_saveexec_b64 s[8:9], s[12:13]
; %bb.3806:
	s_mov_b32 s10, 0x7f800001
	s_xor_b64 s[4:5], exec, -1
; %bb.3807:
	s_or_b64 exec, exec, s[8:9]
	s_and_b64 s[4:5], s[4:5], exec
	s_or_saveexec_b64 s[6:7], s[6:7]
	v_mov_b32_e32 v3, s10
	s_xor_b64 exec, exec, s[6:7]
	s_cbranch_execz .LBB39_1758
.LBB39_3808:
	v_mov_b32_e32 v3, 0
	v_cmp_ne_u16_sdwa s[8:9], v4, v3 src0_sel:BYTE_3 src1_sel:DWORD
	s_andn2_b64 s[4:5], s[4:5], exec
	s_and_b64 s[8:9], s[8:9], exec
	s_or_b64 s[4:5], s[4:5], s[8:9]
	s_or_b64 exec, exec, s[6:7]
	s_and_saveexec_b64 s[6:7], s[4:5]
	s_cbranch_execnz .LBB39_1759
	s_branch .LBB39_1760
.LBB39_3809:
	s_movk_i32 s4, 0x80
	v_cmp_eq_u16_sdwa s[12:13], v9, s4 src0_sel:BYTE_0 src1_sel:DWORD
	s_mov_b64 s[4:5], -1
                                        ; implicit-def: $sgpr10
	s_and_saveexec_b64 s[8:9], s[12:13]
; %bb.3810:
	s_mov_b32 s10, 0x7f800001
	s_xor_b64 s[4:5], exec, -1
; %bb.3811:
	s_or_b64 exec, exec, s[8:9]
	s_and_b64 s[4:5], s[4:5], exec
	s_or_saveexec_b64 s[6:7], s[6:7]
	v_mov_b32_e32 v2, s10
	s_xor_b64 exec, exec, s[6:7]
	s_cbranch_execz .LBB39_1762
.LBB39_3812:
	v_mov_b32_e32 v2, 0
	v_cmp_ne_u16_sdwa s[8:9], v9, v2 src0_sel:BYTE_0 src1_sel:DWORD
	s_andn2_b64 s[4:5], s[4:5], exec
	s_and_b64 s[8:9], s[8:9], exec
	s_or_b64 s[4:5], s[4:5], s[8:9]
	s_or_b64 exec, exec, s[6:7]
	s_and_saveexec_b64 s[6:7], s[4:5]
	s_cbranch_execnz .LBB39_1763
	s_branch .LBB39_1764
.LBB39_3813:
	s_movk_i32 s4, 0x80
	v_cmp_eq_u16_sdwa s[12:13], v5, s4 src0_sel:BYTE_0 src1_sel:DWORD
	s_mov_b64 s[4:5], -1
                                        ; implicit-def: $sgpr10
	s_and_saveexec_b64 s[8:9], s[12:13]
; %bb.3814:
	s_mov_b32 s10, 0x7f800001
	s_xor_b64 s[4:5], exec, -1
; %bb.3815:
	s_or_b64 exec, exec, s[8:9]
	s_and_b64 s[4:5], s[4:5], exec
	s_or_saveexec_b64 s[6:7], s[6:7]
	v_mov_b32_e32 v3, s10
	s_xor_b64 exec, exec, s[6:7]
	s_cbranch_execz .LBB39_1766
.LBB39_3816:
	v_mov_b32_e32 v3, 0
	v_cmp_ne_u16_sdwa s[8:9], v5, v3 src0_sel:BYTE_0 src1_sel:DWORD
	s_andn2_b64 s[4:5], s[4:5], exec
	s_and_b64 s[8:9], s[8:9], exec
	s_or_b64 s[4:5], s[4:5], s[8:9]
	s_or_b64 exec, exec, s[6:7]
	s_and_saveexec_b64 s[6:7], s[4:5]
	s_cbranch_execnz .LBB39_1767
	s_branch .LBB39_1768
.LBB39_3817:
	s_movk_i32 s4, 0x80
	v_cmp_eq_u16_sdwa s[12:13], v3, s4 src0_sel:BYTE_0 src1_sel:DWORD
	s_mov_b64 s[4:5], -1
                                        ; implicit-def: $sgpr10
	s_and_saveexec_b64 s[8:9], s[12:13]
; %bb.3818:
	s_mov_b32 s10, 0x7f800001
	s_xor_b64 s[4:5], exec, -1
; %bb.3819:
	s_or_b64 exec, exec, s[8:9]
	s_and_b64 s[4:5], s[4:5], exec
	s_or_saveexec_b64 s[6:7], s[6:7]
	v_mov_b32_e32 v2, s10
	s_xor_b64 exec, exec, s[6:7]
	s_cbranch_execz .LBB39_1770
.LBB39_3820:
	v_mov_b32_e32 v2, 0
	v_cmp_ne_u16_sdwa s[8:9], v3, v2 src0_sel:BYTE_0 src1_sel:DWORD
	s_andn2_b64 s[4:5], s[4:5], exec
	s_and_b64 s[8:9], s[8:9], exec
	s_or_b64 s[4:5], s[4:5], s[8:9]
	s_or_b64 exec, exec, s[6:7]
	s_and_saveexec_b64 s[6:7], s[4:5]
	s_cbranch_execnz .LBB39_1771
	s_branch .LBB39_1772
.LBB39_3821:
	s_movk_i32 s4, 0x80
	v_cmp_eq_u16_sdwa s[12:13], v3, s4 src0_sel:BYTE_0 src1_sel:DWORD
	s_mov_b64 s[4:5], -1
                                        ; implicit-def: $sgpr10
	s_and_saveexec_b64 s[8:9], s[12:13]
; %bb.3822:
	s_mov_b32 s10, 0x7f800001
	s_xor_b64 s[4:5], exec, -1
; %bb.3823:
	s_or_b64 exec, exec, s[8:9]
	s_and_b64 s[4:5], s[4:5], exec
	s_or_saveexec_b64 s[6:7], s[6:7]
	v_mov_b32_e32 v4, s10
	s_xor_b64 exec, exec, s[6:7]
	s_cbranch_execz .LBB39_1774
.LBB39_3824:
	v_mov_b32_e32 v4, 0
	v_cmp_ne_u16_sdwa s[8:9], v3, v4 src0_sel:BYTE_0 src1_sel:DWORD
	s_andn2_b64 s[4:5], s[4:5], exec
	s_and_b64 s[8:9], s[8:9], exec
	s_or_b64 s[4:5], s[4:5], s[8:9]
	s_or_b64 exec, exec, s[6:7]
	s_and_saveexec_b64 s[6:7], s[4:5]
	s_cbranch_execnz .LBB39_1775
	s_branch .LBB39_1776
.LBB39_3825:
	s_movk_i32 s4, 0x80
	v_cmp_eq_u16_e32 vcc, s4, v3
	s_mov_b64 s[4:5], -1
                                        ; implicit-def: $sgpr10
	s_and_saveexec_b64 s[8:9], vcc
; %bb.3826:
	s_mov_b32 s10, 0x7f800001
	s_xor_b64 s[4:5], exec, -1
; %bb.3827:
	s_or_b64 exec, exec, s[8:9]
	s_and_b64 s[4:5], s[4:5], exec
                                        ; implicit-def: $vgpr3
	s_or_saveexec_b64 s[6:7], s[6:7]
	v_mov_b32_e32 v2, s10
	s_xor_b64 exec, exec, s[6:7]
	s_cbranch_execz .LBB39_1778
.LBB39_3828:
	v_cmp_ne_u16_e32 vcc, 0, v3
	s_andn2_b64 s[4:5], s[4:5], exec
	s_and_b64 s[8:9], vcc, exec
	v_mov_b32_e32 v2, 0
	s_or_b64 s[4:5], s[4:5], s[8:9]
	s_or_b64 exec, exec, s[6:7]
	s_and_saveexec_b64 s[6:7], s[4:5]
	s_cbranch_execnz .LBB39_1779
	s_branch .LBB39_1780
.LBB39_3829:
	s_movk_i32 s4, 0x80
	v_cmp_eq_u16_e32 vcc, s4, v3
	s_mov_b64 s[4:5], -1
                                        ; implicit-def: $sgpr10
	s_and_saveexec_b64 s[8:9], vcc
; %bb.3830:
	s_mov_b32 s10, 0x7f800001
	s_xor_b64 s[4:5], exec, -1
; %bb.3831:
	s_or_b64 exec, exec, s[8:9]
	s_and_b64 s[4:5], s[4:5], exec
                                        ; implicit-def: $vgpr3
	s_or_saveexec_b64 s[6:7], s[6:7]
	v_mov_b32_e32 v4, s10
	s_xor_b64 exec, exec, s[6:7]
	s_cbranch_execz .LBB39_1782
.LBB39_3832:
	v_cmp_ne_u16_e32 vcc, 0, v3
	s_andn2_b64 s[4:5], s[4:5], exec
	s_and_b64 s[8:9], vcc, exec
	v_mov_b32_e32 v4, 0
	s_or_b64 s[4:5], s[4:5], s[8:9]
	s_or_b64 exec, exec, s[6:7]
	s_and_saveexec_b64 s[6:7], s[4:5]
	s_cbranch_execnz .LBB39_1783
	s_branch .LBB39_1784
.LBB39_3833:
	s_movk_i32 s4, 0x80
	v_cmp_eq_u16_sdwa s[12:13], v9, s4 src0_sel:BYTE_3 src1_sel:DWORD
	s_mov_b64 s[4:5], -1
                                        ; implicit-def: $sgpr10
	s_and_saveexec_b64 s[8:9], s[12:13]
; %bb.3834:
	s_mov_b32 s10, 0x7f800001
	s_xor_b64 s[4:5], exec, -1
; %bb.3835:
	s_or_b64 exec, exec, s[8:9]
	s_and_b64 s[4:5], s[4:5], exec
	s_or_saveexec_b64 s[6:7], s[6:7]
	v_mov_b32_e32 v2, s10
	s_xor_b64 exec, exec, s[6:7]
	s_cbranch_execz .LBB39_1786
.LBB39_3836:
	v_mov_b32_e32 v2, 0
	v_cmp_ne_u16_sdwa s[8:9], v9, v2 src0_sel:BYTE_3 src1_sel:DWORD
	s_andn2_b64 s[4:5], s[4:5], exec
	s_and_b64 s[8:9], s[8:9], exec
	s_or_b64 s[4:5], s[4:5], s[8:9]
	s_or_b64 exec, exec, s[6:7]
	s_and_saveexec_b64 s[6:7], s[4:5]
	s_cbranch_execnz .LBB39_1787
	s_branch .LBB39_1788
.LBB39_3837:
	s_movk_i32 s4, 0x80
	v_cmp_eq_u16_sdwa s[12:13], v5, s4 src0_sel:BYTE_3 src1_sel:DWORD
	s_mov_b64 s[4:5], -1
                                        ; implicit-def: $sgpr10
	s_and_saveexec_b64 s[8:9], s[12:13]
; %bb.3838:
	s_mov_b32 s10, 0x7f800001
	s_xor_b64 s[4:5], exec, -1
; %bb.3839:
	s_or_b64 exec, exec, s[8:9]
	s_and_b64 s[4:5], s[4:5], exec
	s_or_saveexec_b64 s[6:7], s[6:7]
	v_mov_b32_e32 v3, s10
	s_xor_b64 exec, exec, s[6:7]
	s_cbranch_execz .LBB39_1790
.LBB39_3840:
	v_mov_b32_e32 v3, 0
	v_cmp_ne_u16_sdwa s[8:9], v5, v3 src0_sel:BYTE_3 src1_sel:DWORD
	s_andn2_b64 s[4:5], s[4:5], exec
	s_and_b64 s[8:9], s[8:9], exec
	s_or_b64 s[4:5], s[4:5], s[8:9]
	s_or_b64 exec, exec, s[6:7]
	s_and_saveexec_b64 s[6:7], s[4:5]
	s_cbranch_execnz .LBB39_1791
	s_branch .LBB39_1792
.LBB39_3841:
	s_movk_i32 s4, 0x80
	v_cmp_eq_u16_sdwa s[12:13], v12, s4 src0_sel:BYTE_0 src1_sel:DWORD
	s_mov_b64 s[4:5], -1
                                        ; implicit-def: $sgpr10
	s_and_saveexec_b64 s[8:9], s[12:13]
; %bb.3842:
	s_mov_b32 s10, 0x7f800001
	s_xor_b64 s[4:5], exec, -1
; %bb.3843:
	s_or_b64 exec, exec, s[8:9]
	s_and_b64 s[4:5], s[4:5], exec
	s_or_saveexec_b64 s[6:7], s[6:7]
	v_mov_b32_e32 v18, s10
	s_xor_b64 exec, exec, s[6:7]
	s_cbranch_execz .LBB39_1794
.LBB39_3844:
	v_mov_b32_e32 v18, 0
	v_cmp_ne_u16_sdwa s[8:9], v12, v18 src0_sel:BYTE_0 src1_sel:DWORD
	s_andn2_b64 s[4:5], s[4:5], exec
	s_and_b64 s[8:9], s[8:9], exec
	s_or_b64 s[4:5], s[4:5], s[8:9]
	s_or_b64 exec, exec, s[6:7]
	s_and_saveexec_b64 s[6:7], s[4:5]
	s_cbranch_execnz .LBB39_1795
	s_branch .LBB39_1796
.LBB39_3845:
	s_movk_i32 s4, 0x80
	v_cmp_eq_u16_sdwa s[12:13], v8, s4 src0_sel:BYTE_0 src1_sel:DWORD
	s_mov_b64 s[4:5], -1
                                        ; implicit-def: $sgpr10
	s_and_saveexec_b64 s[8:9], s[12:13]
; %bb.3846:
	s_mov_b32 s10, 0x7f800001
	s_xor_b64 s[4:5], exec, -1
; %bb.3847:
	s_or_b64 exec, exec, s[8:9]
	s_and_b64 s[4:5], s[4:5], exec
	s_or_saveexec_b64 s[6:7], s[6:7]
	v_mov_b32_e32 v19, s10
	s_xor_b64 exec, exec, s[6:7]
	s_cbranch_execz .LBB39_1798
.LBB39_3848:
	v_mov_b32_e32 v19, 0
	v_cmp_ne_u16_sdwa s[8:9], v8, v19 src0_sel:BYTE_0 src1_sel:DWORD
	s_andn2_b64 s[4:5], s[4:5], exec
	s_and_b64 s[8:9], s[8:9], exec
	s_or_b64 s[4:5], s[4:5], s[8:9]
	s_or_b64 exec, exec, s[6:7]
	s_and_saveexec_b64 s[6:7], s[4:5]
	s_cbranch_execnz .LBB39_1799
	s_branch .LBB39_1800
.LBB39_3849:
	s_movk_i32 s4, 0x80
	v_cmp_eq_u16_sdwa s[12:13], v19, s4 src0_sel:BYTE_0 src1_sel:DWORD
	s_mov_b64 s[4:5], -1
                                        ; implicit-def: $sgpr10
	s_and_saveexec_b64 s[8:9], s[12:13]
; %bb.3850:
	s_mov_b32 s10, 0x7f800001
	s_xor_b64 s[4:5], exec, -1
; %bb.3851:
	s_or_b64 exec, exec, s[8:9]
	s_and_b64 s[4:5], s[4:5], exec
	s_or_saveexec_b64 s[6:7], s[6:7]
	v_mov_b32_e32 v18, s10
	s_xor_b64 exec, exec, s[6:7]
	s_cbranch_execz .LBB39_1802
.LBB39_3852:
	v_mov_b32_e32 v18, 0
	v_cmp_ne_u16_sdwa s[8:9], v19, v18 src0_sel:BYTE_0 src1_sel:DWORD
	s_andn2_b64 s[4:5], s[4:5], exec
	s_and_b64 s[8:9], s[8:9], exec
	s_or_b64 s[4:5], s[4:5], s[8:9]
	s_or_b64 exec, exec, s[6:7]
	s_and_saveexec_b64 s[6:7], s[4:5]
	s_cbranch_execnz .LBB39_1803
	s_branch .LBB39_1804
.LBB39_3853:
	s_movk_i32 s4, 0x80
	v_cmp_eq_u16_sdwa s[12:13], v19, s4 src0_sel:BYTE_0 src1_sel:DWORD
	s_mov_b64 s[4:5], -1
                                        ; implicit-def: $sgpr10
	s_and_saveexec_b64 s[8:9], s[12:13]
; %bb.3854:
	s_mov_b32 s10, 0x7f800001
	s_xor_b64 s[4:5], exec, -1
; %bb.3855:
	s_or_b64 exec, exec, s[8:9]
	s_and_b64 s[4:5], s[4:5], exec
	s_or_saveexec_b64 s[6:7], s[6:7]
	v_mov_b32_e32 v20, s10
	s_xor_b64 exec, exec, s[6:7]
	s_cbranch_execz .LBB39_1806
.LBB39_3856:
	v_mov_b32_e32 v20, 0
	v_cmp_ne_u16_sdwa s[8:9], v19, v20 src0_sel:BYTE_0 src1_sel:DWORD
	s_andn2_b64 s[4:5], s[4:5], exec
	s_and_b64 s[8:9], s[8:9], exec
	s_or_b64 s[4:5], s[4:5], s[8:9]
	s_or_b64 exec, exec, s[6:7]
	s_and_saveexec_b64 s[6:7], s[4:5]
	s_cbranch_execnz .LBB39_1807
	s_branch .LBB39_1808
.LBB39_3857:
	s_movk_i32 s4, 0x80
	v_cmp_eq_u16_e32 vcc, s4, v19
	s_mov_b64 s[4:5], -1
                                        ; implicit-def: $sgpr10
	s_and_saveexec_b64 s[8:9], vcc
; %bb.3858:
	s_mov_b32 s10, 0x7f800001
	s_xor_b64 s[4:5], exec, -1
; %bb.3859:
	s_or_b64 exec, exec, s[8:9]
	s_and_b64 s[4:5], s[4:5], exec
                                        ; implicit-def: $vgpr19
	s_or_saveexec_b64 s[6:7], s[6:7]
	v_mov_b32_e32 v18, s10
	s_xor_b64 exec, exec, s[6:7]
	s_cbranch_execz .LBB39_1810
.LBB39_3860:
	v_cmp_ne_u16_e32 vcc, 0, v19
	s_andn2_b64 s[4:5], s[4:5], exec
	s_and_b64 s[8:9], vcc, exec
	v_mov_b32_e32 v18, 0
	s_or_b64 s[4:5], s[4:5], s[8:9]
	s_or_b64 exec, exec, s[6:7]
	s_and_saveexec_b64 s[6:7], s[4:5]
	s_cbranch_execnz .LBB39_1811
	s_branch .LBB39_1812
.LBB39_3861:
	s_movk_i32 s4, 0x80
	v_cmp_eq_u16_e32 vcc, s4, v19
	s_mov_b64 s[4:5], -1
                                        ; implicit-def: $sgpr10
	s_and_saveexec_b64 s[8:9], vcc
; %bb.3862:
	s_mov_b32 s10, 0x7f800001
	s_xor_b64 s[4:5], exec, -1
; %bb.3863:
	s_or_b64 exec, exec, s[8:9]
	s_and_b64 s[4:5], s[4:5], exec
                                        ; implicit-def: $vgpr19
	s_or_saveexec_b64 s[6:7], s[6:7]
	v_mov_b32_e32 v20, s10
	s_xor_b64 exec, exec, s[6:7]
	s_cbranch_execz .LBB39_1814
.LBB39_3864:
	v_cmp_ne_u16_e32 vcc, 0, v19
	s_andn2_b64 s[4:5], s[4:5], exec
	s_and_b64 s[8:9], vcc, exec
	v_mov_b32_e32 v20, 0
	s_or_b64 s[4:5], s[4:5], s[8:9]
	s_or_b64 exec, exec, s[6:7]
	s_and_saveexec_b64 s[6:7], s[4:5]
	s_cbranch_execnz .LBB39_1815
	s_branch .LBB39_1816
.LBB39_3865:
	s_movk_i32 s4, 0x80
	v_cmp_eq_u16_sdwa s[12:13], v12, s4 src0_sel:BYTE_3 src1_sel:DWORD
	s_mov_b64 s[4:5], -1
                                        ; implicit-def: $sgpr10
	s_and_saveexec_b64 s[8:9], s[12:13]
; %bb.3866:
	s_mov_b32 s10, 0x7f800001
	s_xor_b64 s[4:5], exec, -1
; %bb.3867:
	s_or_b64 exec, exec, s[8:9]
	s_and_b64 s[4:5], s[4:5], exec
	s_or_saveexec_b64 s[6:7], s[6:7]
	v_mov_b32_e32 v18, s10
	s_xor_b64 exec, exec, s[6:7]
	s_cbranch_execz .LBB39_1818
.LBB39_3868:
	v_mov_b32_e32 v18, 0
	v_cmp_ne_u16_sdwa s[8:9], v12, v18 src0_sel:BYTE_3 src1_sel:DWORD
	s_andn2_b64 s[4:5], s[4:5], exec
	s_and_b64 s[8:9], s[8:9], exec
	s_or_b64 s[4:5], s[4:5], s[8:9]
	s_or_b64 exec, exec, s[6:7]
	s_and_saveexec_b64 s[6:7], s[4:5]
	s_cbranch_execnz .LBB39_1819
	s_branch .LBB39_1820
.LBB39_3869:
	s_movk_i32 s4, 0x80
	v_cmp_eq_u16_sdwa s[12:13], v8, s4 src0_sel:BYTE_3 src1_sel:DWORD
	s_mov_b64 s[4:5], -1
                                        ; implicit-def: $sgpr10
	s_and_saveexec_b64 s[8:9], s[12:13]
; %bb.3870:
	s_mov_b32 s10, 0x7f800001
	s_xor_b64 s[4:5], exec, -1
; %bb.3871:
	s_or_b64 exec, exec, s[8:9]
	s_and_b64 s[4:5], s[4:5], exec
	s_or_saveexec_b64 s[6:7], s[6:7]
	v_mov_b32_e32 v12, s10
	s_xor_b64 exec, exec, s[6:7]
	s_cbranch_execz .LBB39_1822
.LBB39_3872:
	v_mov_b32_e32 v12, 0
	v_cmp_ne_u16_sdwa s[8:9], v8, v12 src0_sel:BYTE_3 src1_sel:DWORD
	s_andn2_b64 s[4:5], s[4:5], exec
	s_and_b64 s[8:9], s[8:9], exec
	s_or_b64 s[4:5], s[4:5], s[8:9]
	s_or_b64 exec, exec, s[6:7]
	s_and_saveexec_b64 s[6:7], s[4:5]
	s_cbranch_execnz .LBB39_1823
	s_branch .LBB39_1824
.LBB39_3873:
	s_movk_i32 s4, 0x80
	v_cmp_eq_u16_sdwa s[12:13], v13, s4 src0_sel:BYTE_0 src1_sel:DWORD
	s_mov_b64 s[4:5], -1
                                        ; implicit-def: $sgpr10
	s_and_saveexec_b64 s[8:9], s[12:13]
; %bb.3874:
	s_mov_b32 s10, 0x7f800001
	s_xor_b64 s[4:5], exec, -1
; %bb.3875:
	s_or_b64 exec, exec, s[8:9]
	s_and_b64 s[4:5], s[4:5], exec
	s_or_saveexec_b64 s[6:7], s[6:7]
	v_mov_b32_e32 v8, s10
	s_xor_b64 exec, exec, s[6:7]
	s_cbranch_execz .LBB39_1826
.LBB39_3876:
	v_mov_b32_e32 v8, 0
	v_cmp_ne_u16_sdwa s[8:9], v13, v8 src0_sel:BYTE_0 src1_sel:DWORD
	s_andn2_b64 s[4:5], s[4:5], exec
	s_and_b64 s[8:9], s[8:9], exec
	s_or_b64 s[4:5], s[4:5], s[8:9]
	s_or_b64 exec, exec, s[6:7]
	s_and_saveexec_b64 s[6:7], s[4:5]
	s_cbranch_execnz .LBB39_1827
	s_branch .LBB39_1828
.LBB39_3877:
	s_movk_i32 s4, 0x80
	v_cmp_eq_u16_sdwa s[12:13], v9, s4 src0_sel:BYTE_0 src1_sel:DWORD
	s_mov_b64 s[4:5], -1
                                        ; implicit-def: $sgpr10
	s_and_saveexec_b64 s[8:9], s[12:13]
; %bb.3878:
	s_mov_b32 s10, 0x7f800001
	s_xor_b64 s[4:5], exec, -1
; %bb.3879:
	s_or_b64 exec, exec, s[8:9]
	s_and_b64 s[4:5], s[4:5], exec
	s_or_saveexec_b64 s[6:7], s[6:7]
	v_mov_b32_e32 v12, s10
	s_xor_b64 exec, exec, s[6:7]
	s_cbranch_execz .LBB39_1830
.LBB39_3880:
	v_mov_b32_e32 v12, 0
	v_cmp_ne_u16_sdwa s[8:9], v9, v12 src0_sel:BYTE_0 src1_sel:DWORD
	s_andn2_b64 s[4:5], s[4:5], exec
	s_and_b64 s[8:9], s[8:9], exec
	s_or_b64 s[4:5], s[4:5], s[8:9]
	s_or_b64 exec, exec, s[6:7]
	s_and_saveexec_b64 s[6:7], s[4:5]
	s_cbranch_execnz .LBB39_1831
	s_branch .LBB39_1832
.LBB39_3881:
	s_movk_i32 s4, 0x80
	v_cmp_eq_u16_sdwa s[12:13], v12, s4 src0_sel:BYTE_0 src1_sel:DWORD
	s_mov_b64 s[4:5], -1
                                        ; implicit-def: $sgpr10
	s_and_saveexec_b64 s[8:9], s[12:13]
; %bb.3882:
	s_mov_b32 s10, 0x7f800001
	s_xor_b64 s[4:5], exec, -1
; %bb.3883:
	s_or_b64 exec, exec, s[8:9]
	s_and_b64 s[4:5], s[4:5], exec
	s_or_saveexec_b64 s[6:7], s[6:7]
	v_mov_b32_e32 v8, s10
	s_xor_b64 exec, exec, s[6:7]
	s_cbranch_execz .LBB39_1834
.LBB39_3884:
	v_mov_b32_e32 v8, 0
	v_cmp_ne_u16_sdwa s[8:9], v12, v8 src0_sel:BYTE_0 src1_sel:DWORD
	s_andn2_b64 s[4:5], s[4:5], exec
	s_and_b64 s[8:9], s[8:9], exec
	s_or_b64 s[4:5], s[4:5], s[8:9]
	s_or_b64 exec, exec, s[6:7]
	s_and_saveexec_b64 s[6:7], s[4:5]
	s_cbranch_execnz .LBB39_1835
	s_branch .LBB39_1836
.LBB39_3885:
	s_movk_i32 s4, 0x80
	v_cmp_eq_u16_sdwa s[12:13], v12, s4 src0_sel:BYTE_0 src1_sel:DWORD
	s_mov_b64 s[4:5], -1
                                        ; implicit-def: $sgpr10
	s_and_saveexec_b64 s[8:9], s[12:13]
; %bb.3886:
	s_mov_b32 s10, 0x7f800001
	s_xor_b64 s[4:5], exec, -1
; %bb.3887:
	s_or_b64 exec, exec, s[8:9]
	s_and_b64 s[4:5], s[4:5], exec
	s_or_saveexec_b64 s[6:7], s[6:7]
	v_mov_b32_e32 v18, s10
	s_xor_b64 exec, exec, s[6:7]
	s_cbranch_execz .LBB39_1838
.LBB39_3888:
	v_mov_b32_e32 v18, 0
	v_cmp_ne_u16_sdwa s[8:9], v12, v18 src0_sel:BYTE_0 src1_sel:DWORD
	s_andn2_b64 s[4:5], s[4:5], exec
	s_and_b64 s[8:9], s[8:9], exec
	s_or_b64 s[4:5], s[4:5], s[8:9]
	s_or_b64 exec, exec, s[6:7]
	s_and_saveexec_b64 s[6:7], s[4:5]
	s_cbranch_execnz .LBB39_1839
	s_branch .LBB39_1840
.LBB39_3889:
	s_movk_i32 s4, 0x80
	v_cmp_eq_u16_e32 vcc, s4, v12
	s_mov_b64 s[4:5], -1
                                        ; implicit-def: $sgpr10
	s_and_saveexec_b64 s[8:9], vcc
; %bb.3890:
	s_mov_b32 s10, 0x7f800001
	s_xor_b64 s[4:5], exec, -1
; %bb.3891:
	s_or_b64 exec, exec, s[8:9]
	s_and_b64 s[4:5], s[4:5], exec
                                        ; implicit-def: $vgpr12
	s_or_saveexec_b64 s[6:7], s[6:7]
	v_mov_b32_e32 v8, s10
	s_xor_b64 exec, exec, s[6:7]
	s_cbranch_execz .LBB39_1842
.LBB39_3892:
	v_cmp_ne_u16_e32 vcc, 0, v12
	s_andn2_b64 s[4:5], s[4:5], exec
	s_and_b64 s[8:9], vcc, exec
	v_mov_b32_e32 v8, 0
	s_or_b64 s[4:5], s[4:5], s[8:9]
	s_or_b64 exec, exec, s[6:7]
	s_and_saveexec_b64 s[6:7], s[4:5]
	s_cbranch_execnz .LBB39_1843
	s_branch .LBB39_1844
.LBB39_3893:
	s_movk_i32 s4, 0x80
	v_cmp_eq_u16_e32 vcc, s4, v12
	s_mov_b64 s[4:5], -1
                                        ; implicit-def: $sgpr10
	s_and_saveexec_b64 s[8:9], vcc
; %bb.3894:
	s_mov_b32 s10, 0x7f800001
	s_xor_b64 s[4:5], exec, -1
; %bb.3895:
	s_or_b64 exec, exec, s[8:9]
	s_and_b64 s[4:5], s[4:5], exec
                                        ; implicit-def: $vgpr12
	s_or_saveexec_b64 s[6:7], s[6:7]
	v_mov_b32_e32 v18, s10
	s_xor_b64 exec, exec, s[6:7]
	s_cbranch_execz .LBB39_1846
.LBB39_3896:
	v_cmp_ne_u16_e32 vcc, 0, v12
	s_andn2_b64 s[4:5], s[4:5], exec
	s_and_b64 s[8:9], vcc, exec
	v_mov_b32_e32 v18, 0
	s_or_b64 s[4:5], s[4:5], s[8:9]
	s_or_b64 exec, exec, s[6:7]
	s_and_saveexec_b64 s[6:7], s[4:5]
	s_cbranch_execnz .LBB39_1847
	s_branch .LBB39_1848
.LBB39_3897:
	s_movk_i32 s4, 0x80
	v_cmp_eq_u16_sdwa s[12:13], v13, s4 src0_sel:BYTE_3 src1_sel:DWORD
	s_mov_b64 s[4:5], -1
                                        ; implicit-def: $sgpr10
	s_and_saveexec_b64 s[8:9], s[12:13]
; %bb.3898:
	s_mov_b32 s10, 0x7f800001
	s_xor_b64 s[4:5], exec, -1
; %bb.3899:
	s_or_b64 exec, exec, s[8:9]
	s_and_b64 s[4:5], s[4:5], exec
	s_or_saveexec_b64 s[6:7], s[6:7]
	v_mov_b32_e32 v8, s10
	s_xor_b64 exec, exec, s[6:7]
	s_cbranch_execz .LBB39_1850
.LBB39_3900:
	v_mov_b32_e32 v8, 0
	v_cmp_ne_u16_sdwa s[8:9], v13, v8 src0_sel:BYTE_3 src1_sel:DWORD
	s_andn2_b64 s[4:5], s[4:5], exec
	s_and_b64 s[8:9], s[8:9], exec
	s_or_b64 s[4:5], s[4:5], s[8:9]
	s_or_b64 exec, exec, s[6:7]
	s_and_saveexec_b64 s[6:7], s[4:5]
	s_cbranch_execnz .LBB39_1851
	s_branch .LBB39_1852
.LBB39_3901:
	s_movk_i32 s4, 0x80
	v_cmp_eq_u16_sdwa s[12:13], v9, s4 src0_sel:BYTE_3 src1_sel:DWORD
	s_mov_b64 s[4:5], -1
                                        ; implicit-def: $sgpr10
	s_and_saveexec_b64 s[8:9], s[12:13]
; %bb.3902:
	s_mov_b32 s10, 0x7f800001
	s_xor_b64 s[4:5], exec, -1
; %bb.3903:
	s_or_b64 exec, exec, s[8:9]
	s_and_b64 s[4:5], s[4:5], exec
	s_or_saveexec_b64 s[6:7], s[6:7]
	v_mov_b32_e32 v12, s10
	s_xor_b64 exec, exec, s[6:7]
	s_cbranch_execz .LBB39_1854
.LBB39_3904:
	v_mov_b32_e32 v12, 0
	v_cmp_ne_u16_sdwa s[8:9], v9, v12 src0_sel:BYTE_3 src1_sel:DWORD
	s_andn2_b64 s[4:5], s[4:5], exec
	s_and_b64 s[8:9], s[8:9], exec
	s_or_b64 s[4:5], s[4:5], s[8:9]
	s_or_b64 exec, exec, s[6:7]
	s_and_saveexec_b64 s[6:7], s[4:5]
	s_cbranch_execnz .LBB39_1855
	s_branch .LBB39_1856
.LBB39_3905:
	s_movk_i32 s4, 0x80
	v_cmp_eq_u16_sdwa s[12:13], v14, s4 src0_sel:BYTE_0 src1_sel:DWORD
	s_mov_b64 s[4:5], -1
                                        ; implicit-def: $sgpr10
	s_and_saveexec_b64 s[8:9], s[12:13]
; %bb.3906:
	s_mov_b32 s10, 0x7f800001
	s_xor_b64 s[4:5], exec, -1
; %bb.3907:
	s_or_b64 exec, exec, s[8:9]
	s_and_b64 s[4:5], s[4:5], exec
	s_or_saveexec_b64 s[6:7], s[6:7]
	v_mov_b32_e32 v8, s10
	s_xor_b64 exec, exec, s[6:7]
	s_cbranch_execz .LBB39_1858
.LBB39_3908:
	v_mov_b32_e32 v8, 0
	v_cmp_ne_u16_sdwa s[8:9], v14, v8 src0_sel:BYTE_0 src1_sel:DWORD
	s_andn2_b64 s[4:5], s[4:5], exec
	s_and_b64 s[8:9], s[8:9], exec
	s_or_b64 s[4:5], s[4:5], s[8:9]
	s_or_b64 exec, exec, s[6:7]
	s_and_saveexec_b64 s[6:7], s[4:5]
	s_cbranch_execnz .LBB39_1859
	s_branch .LBB39_1860
.LBB39_3909:
	s_movk_i32 s4, 0x80
	v_cmp_eq_u16_sdwa s[12:13], v10, s4 src0_sel:BYTE_0 src1_sel:DWORD
	s_mov_b64 s[4:5], -1
                                        ; implicit-def: $sgpr10
	s_and_saveexec_b64 s[8:9], s[12:13]
; %bb.3910:
	s_mov_b32 s10, 0x7f800001
	s_xor_b64 s[4:5], exec, -1
; %bb.3911:
	s_or_b64 exec, exec, s[8:9]
	s_and_b64 s[4:5], s[4:5], exec
	s_or_saveexec_b64 s[6:7], s[6:7]
	v_mov_b32_e32 v9, s10
	s_xor_b64 exec, exec, s[6:7]
	s_cbranch_execz .LBB39_1862
.LBB39_3912:
	v_mov_b32_e32 v9, 0
	v_cmp_ne_u16_sdwa s[8:9], v10, v9 src0_sel:BYTE_0 src1_sel:DWORD
	s_andn2_b64 s[4:5], s[4:5], exec
	s_and_b64 s[8:9], s[8:9], exec
	s_or_b64 s[4:5], s[4:5], s[8:9]
	s_or_b64 exec, exec, s[6:7]
	s_and_saveexec_b64 s[6:7], s[4:5]
	s_cbranch_execnz .LBB39_1863
	s_branch .LBB39_1864
.LBB39_3913:
	s_movk_i32 s4, 0x80
	v_cmp_eq_u16_sdwa s[12:13], v9, s4 src0_sel:BYTE_0 src1_sel:DWORD
	s_mov_b64 s[4:5], -1
                                        ; implicit-def: $sgpr10
	s_and_saveexec_b64 s[8:9], s[12:13]
; %bb.3914:
	s_mov_b32 s10, 0x7f800001
	s_xor_b64 s[4:5], exec, -1
; %bb.3915:
	s_or_b64 exec, exec, s[8:9]
	s_and_b64 s[4:5], s[4:5], exec
	s_or_saveexec_b64 s[6:7], s[6:7]
	v_mov_b32_e32 v8, s10
	s_xor_b64 exec, exec, s[6:7]
	s_cbranch_execz .LBB39_1866
.LBB39_3916:
	v_mov_b32_e32 v8, 0
	v_cmp_ne_u16_sdwa s[8:9], v9, v8 src0_sel:BYTE_0 src1_sel:DWORD
	s_andn2_b64 s[4:5], s[4:5], exec
	s_and_b64 s[8:9], s[8:9], exec
	s_or_b64 s[4:5], s[4:5], s[8:9]
	s_or_b64 exec, exec, s[6:7]
	s_and_saveexec_b64 s[6:7], s[4:5]
	s_cbranch_execnz .LBB39_1867
	s_branch .LBB39_1868
.LBB39_3917:
	s_movk_i32 s4, 0x80
	v_cmp_eq_u16_sdwa s[12:13], v9, s4 src0_sel:BYTE_0 src1_sel:DWORD
	s_mov_b64 s[4:5], -1
                                        ; implicit-def: $sgpr10
	s_and_saveexec_b64 s[8:9], s[12:13]
; %bb.3918:
	s_mov_b32 s10, 0x7f800001
	s_xor_b64 s[4:5], exec, -1
; %bb.3919:
	s_or_b64 exec, exec, s[8:9]
	s_and_b64 s[4:5], s[4:5], exec
	s_or_saveexec_b64 s[6:7], s[6:7]
	v_mov_b32_e32 v12, s10
	s_xor_b64 exec, exec, s[6:7]
	s_cbranch_execz .LBB39_1870
.LBB39_3920:
	v_mov_b32_e32 v12, 0
	v_cmp_ne_u16_sdwa s[8:9], v9, v12 src0_sel:BYTE_0 src1_sel:DWORD
	s_andn2_b64 s[4:5], s[4:5], exec
	s_and_b64 s[8:9], s[8:9], exec
	s_or_b64 s[4:5], s[4:5], s[8:9]
	s_or_b64 exec, exec, s[6:7]
	s_and_saveexec_b64 s[6:7], s[4:5]
	s_cbranch_execnz .LBB39_1871
	s_branch .LBB39_1872
.LBB39_3921:
	s_movk_i32 s4, 0x80
	v_cmp_eq_u16_e32 vcc, s4, v9
	s_mov_b64 s[4:5], -1
                                        ; implicit-def: $sgpr10
	s_and_saveexec_b64 s[8:9], vcc
; %bb.3922:
	s_mov_b32 s10, 0x7f800001
	s_xor_b64 s[4:5], exec, -1
; %bb.3923:
	s_or_b64 exec, exec, s[8:9]
	s_and_b64 s[4:5], s[4:5], exec
                                        ; implicit-def: $vgpr9
	s_or_saveexec_b64 s[6:7], s[6:7]
	v_mov_b32_e32 v8, s10
	s_xor_b64 exec, exec, s[6:7]
	s_cbranch_execz .LBB39_1874
.LBB39_3924:
	v_cmp_ne_u16_e32 vcc, 0, v9
	s_andn2_b64 s[4:5], s[4:5], exec
	s_and_b64 s[8:9], vcc, exec
	v_mov_b32_e32 v8, 0
	s_or_b64 s[4:5], s[4:5], s[8:9]
	s_or_b64 exec, exec, s[6:7]
	s_and_saveexec_b64 s[6:7], s[4:5]
	s_cbranch_execnz .LBB39_1875
	s_branch .LBB39_1876
.LBB39_3925:
	s_movk_i32 s4, 0x80
	v_cmp_eq_u16_e32 vcc, s4, v9
	s_mov_b64 s[4:5], -1
                                        ; implicit-def: $sgpr10
	s_and_saveexec_b64 s[8:9], vcc
; %bb.3926:
	s_mov_b32 s10, 0x7f800001
	s_xor_b64 s[4:5], exec, -1
; %bb.3927:
	s_or_b64 exec, exec, s[8:9]
	s_and_b64 s[4:5], s[4:5], exec
                                        ; implicit-def: $vgpr9
	s_or_saveexec_b64 s[6:7], s[6:7]
	v_mov_b32_e32 v12, s10
	s_xor_b64 exec, exec, s[6:7]
	s_cbranch_execz .LBB39_1878
.LBB39_3928:
	v_cmp_ne_u16_e32 vcc, 0, v9
	s_andn2_b64 s[4:5], s[4:5], exec
	s_and_b64 s[8:9], vcc, exec
	v_mov_b32_e32 v12, 0
	s_or_b64 s[4:5], s[4:5], s[8:9]
	s_or_b64 exec, exec, s[6:7]
	s_and_saveexec_b64 s[6:7], s[4:5]
	s_cbranch_execnz .LBB39_1879
	s_branch .LBB39_1880
.LBB39_3929:
	s_movk_i32 s4, 0x80
	v_cmp_eq_u16_sdwa s[12:13], v14, s4 src0_sel:BYTE_3 src1_sel:DWORD
	s_mov_b64 s[4:5], -1
                                        ; implicit-def: $sgpr10
	s_and_saveexec_b64 s[8:9], s[12:13]
; %bb.3930:
	s_mov_b32 s10, 0x7f800001
	s_xor_b64 s[4:5], exec, -1
; %bb.3931:
	s_or_b64 exec, exec, s[8:9]
	s_and_b64 s[4:5], s[4:5], exec
	s_or_saveexec_b64 s[6:7], s[6:7]
	v_mov_b32_e32 v8, s10
	s_xor_b64 exec, exec, s[6:7]
	s_cbranch_execz .LBB39_1882
.LBB39_3932:
	v_mov_b32_e32 v8, 0
	v_cmp_ne_u16_sdwa s[8:9], v14, v8 src0_sel:BYTE_3 src1_sel:DWORD
	s_andn2_b64 s[4:5], s[4:5], exec
	s_and_b64 s[8:9], s[8:9], exec
	s_or_b64 s[4:5], s[4:5], s[8:9]
	s_or_b64 exec, exec, s[6:7]
	s_and_saveexec_b64 s[6:7], s[4:5]
	s_cbranch_execnz .LBB39_1883
	s_branch .LBB39_1884
.LBB39_3933:
	s_movk_i32 s4, 0x80
	v_cmp_eq_u16_sdwa s[12:13], v10, s4 src0_sel:BYTE_3 src1_sel:DWORD
	s_mov_b64 s[4:5], -1
                                        ; implicit-def: $sgpr10
	s_and_saveexec_b64 s[8:9], s[12:13]
; %bb.3934:
	s_mov_b32 s10, 0x7f800001
	s_xor_b64 s[4:5], exec, -1
; %bb.3935:
	s_or_b64 exec, exec, s[8:9]
	s_and_b64 s[4:5], s[4:5], exec
	s_or_saveexec_b64 s[6:7], s[6:7]
	v_mov_b32_e32 v9, s10
	s_xor_b64 exec, exec, s[6:7]
	s_cbranch_execz .LBB39_1886
.LBB39_3936:
	v_mov_b32_e32 v9, 0
	v_cmp_ne_u16_sdwa s[8:9], v10, v9 src0_sel:BYTE_3 src1_sel:DWORD
	s_andn2_b64 s[4:5], s[4:5], exec
	s_and_b64 s[8:9], s[8:9], exec
	s_or_b64 s[4:5], s[4:5], s[8:9]
	s_or_b64 exec, exec, s[6:7]
	s_and_saveexec_b64 s[6:7], s[4:5]
	s_cbranch_execnz .LBB39_1887
	s_branch .LBB39_1888
.LBB39_3937:
	s_movk_i32 s4, 0x80
	v_cmp_eq_u16_sdwa s[12:13], v15, s4 src0_sel:BYTE_0 src1_sel:DWORD
	s_mov_b64 s[4:5], -1
                                        ; implicit-def: $sgpr10
	s_and_saveexec_b64 s[8:9], s[12:13]
; %bb.3938:
	s_mov_b32 s10, 0x7f800001
	s_xor_b64 s[4:5], exec, -1
; %bb.3939:
	s_or_b64 exec, exec, s[8:9]
	s_and_b64 s[4:5], s[4:5], exec
	s_or_saveexec_b64 s[6:7], s[6:7]
	v_mov_b32_e32 v8, s10
	s_xor_b64 exec, exec, s[6:7]
	s_cbranch_execz .LBB39_1890
.LBB39_3940:
	v_mov_b32_e32 v8, 0
	v_cmp_ne_u16_sdwa s[8:9], v15, v8 src0_sel:BYTE_0 src1_sel:DWORD
	s_andn2_b64 s[4:5], s[4:5], exec
	s_and_b64 s[8:9], s[8:9], exec
	s_or_b64 s[4:5], s[4:5], s[8:9]
	s_or_b64 exec, exec, s[6:7]
	s_and_saveexec_b64 s[6:7], s[4:5]
	s_cbranch_execnz .LBB39_1891
	s_branch .LBB39_1892
.LBB39_3941:
	s_movk_i32 s4, 0x80
	v_cmp_eq_u16_sdwa s[12:13], v11, s4 src0_sel:BYTE_0 src1_sel:DWORD
	s_mov_b64 s[4:5], -1
                                        ; implicit-def: $sgpr10
	s_and_saveexec_b64 s[8:9], s[12:13]
; %bb.3942:
	s_mov_b32 s10, 0x7f800001
	s_xor_b64 s[4:5], exec, -1
; %bb.3943:
	s_or_b64 exec, exec, s[8:9]
	s_and_b64 s[4:5], s[4:5], exec
	s_or_saveexec_b64 s[6:7], s[6:7]
	v_mov_b32_e32 v9, s10
	s_xor_b64 exec, exec, s[6:7]
	s_cbranch_execz .LBB39_1894
.LBB39_3944:
	v_mov_b32_e32 v9, 0
	v_cmp_ne_u16_sdwa s[8:9], v11, v9 src0_sel:BYTE_0 src1_sel:DWORD
	s_andn2_b64 s[4:5], s[4:5], exec
	s_and_b64 s[8:9], s[8:9], exec
	s_or_b64 s[4:5], s[4:5], s[8:9]
	s_or_b64 exec, exec, s[6:7]
	s_and_saveexec_b64 s[6:7], s[4:5]
	s_cbranch_execnz .LBB39_1895
	s_branch .LBB39_1896
.LBB39_3945:
	s_movk_i32 s4, 0x80
	v_cmp_eq_u16_sdwa s[12:13], v9, s4 src0_sel:BYTE_0 src1_sel:DWORD
	s_mov_b64 s[4:5], -1
                                        ; implicit-def: $sgpr10
	s_and_saveexec_b64 s[8:9], s[12:13]
; %bb.3946:
	s_mov_b32 s10, 0x7f800001
	s_xor_b64 s[4:5], exec, -1
; %bb.3947:
	s_or_b64 exec, exec, s[8:9]
	s_and_b64 s[4:5], s[4:5], exec
	s_or_saveexec_b64 s[6:7], s[6:7]
	v_mov_b32_e32 v8, s10
	s_xor_b64 exec, exec, s[6:7]
	s_cbranch_execz .LBB39_1898
.LBB39_3948:
	v_mov_b32_e32 v8, 0
	v_cmp_ne_u16_sdwa s[8:9], v9, v8 src0_sel:BYTE_0 src1_sel:DWORD
	s_andn2_b64 s[4:5], s[4:5], exec
	s_and_b64 s[8:9], s[8:9], exec
	s_or_b64 s[4:5], s[4:5], s[8:9]
	s_or_b64 exec, exec, s[6:7]
	s_and_saveexec_b64 s[6:7], s[4:5]
	s_cbranch_execnz .LBB39_1899
	s_branch .LBB39_1900
.LBB39_3949:
	s_movk_i32 s4, 0x80
	v_cmp_eq_u16_sdwa s[12:13], v9, s4 src0_sel:BYTE_0 src1_sel:DWORD
	s_mov_b64 s[4:5], -1
                                        ; implicit-def: $sgpr10
	s_and_saveexec_b64 s[8:9], s[12:13]
; %bb.3950:
	s_mov_b32 s10, 0x7f800001
	s_xor_b64 s[4:5], exec, -1
; %bb.3951:
	s_or_b64 exec, exec, s[8:9]
	s_and_b64 s[4:5], s[4:5], exec
	s_or_saveexec_b64 s[6:7], s[6:7]
	v_mov_b32_e32 v10, s10
	s_xor_b64 exec, exec, s[6:7]
	s_cbranch_execz .LBB39_1902
.LBB39_3952:
	v_mov_b32_e32 v10, 0
	v_cmp_ne_u16_sdwa s[8:9], v9, v10 src0_sel:BYTE_0 src1_sel:DWORD
	s_andn2_b64 s[4:5], s[4:5], exec
	s_and_b64 s[8:9], s[8:9], exec
	s_or_b64 s[4:5], s[4:5], s[8:9]
	s_or_b64 exec, exec, s[6:7]
	s_and_saveexec_b64 s[6:7], s[4:5]
	s_cbranch_execnz .LBB39_1903
	s_branch .LBB39_1904
.LBB39_3953:
	s_movk_i32 s4, 0x80
	v_cmp_eq_u16_e32 vcc, s4, v9
	s_mov_b64 s[4:5], -1
                                        ; implicit-def: $sgpr10
	s_and_saveexec_b64 s[8:9], vcc
; %bb.3954:
	s_mov_b32 s10, 0x7f800001
	s_xor_b64 s[4:5], exec, -1
; %bb.3955:
	s_or_b64 exec, exec, s[8:9]
	s_and_b64 s[4:5], s[4:5], exec
                                        ; implicit-def: $vgpr9
	s_or_saveexec_b64 s[6:7], s[6:7]
	v_mov_b32_e32 v8, s10
	s_xor_b64 exec, exec, s[6:7]
	s_cbranch_execz .LBB39_1906
.LBB39_3956:
	v_cmp_ne_u16_e32 vcc, 0, v9
	s_andn2_b64 s[4:5], s[4:5], exec
	s_and_b64 s[8:9], vcc, exec
	v_mov_b32_e32 v8, 0
	s_or_b64 s[4:5], s[4:5], s[8:9]
	s_or_b64 exec, exec, s[6:7]
	s_and_saveexec_b64 s[6:7], s[4:5]
	s_cbranch_execnz .LBB39_1907
	s_branch .LBB39_1908
.LBB39_3957:
	s_movk_i32 s4, 0x80
	v_cmp_eq_u16_e32 vcc, s4, v9
	s_mov_b64 s[4:5], -1
                                        ; implicit-def: $sgpr10
	s_and_saveexec_b64 s[8:9], vcc
; %bb.3958:
	s_mov_b32 s10, 0x7f800001
	s_xor_b64 s[4:5], exec, -1
; %bb.3959:
	s_or_b64 exec, exec, s[8:9]
	s_and_b64 s[4:5], s[4:5], exec
                                        ; implicit-def: $vgpr9
	s_or_saveexec_b64 s[6:7], s[6:7]
	v_mov_b32_e32 v10, s10
	s_xor_b64 exec, exec, s[6:7]
	s_cbranch_execz .LBB39_1910
.LBB39_3960:
	v_cmp_ne_u16_e32 vcc, 0, v9
	s_andn2_b64 s[4:5], s[4:5], exec
	s_and_b64 s[8:9], vcc, exec
	v_mov_b32_e32 v10, 0
	s_or_b64 s[4:5], s[4:5], s[8:9]
	s_or_b64 exec, exec, s[6:7]
	s_and_saveexec_b64 s[6:7], s[4:5]
	s_cbranch_execnz .LBB39_1911
	s_branch .LBB39_1912
.LBB39_3961:
	s_movk_i32 s4, 0x80
	v_cmp_eq_u16_sdwa s[12:13], v15, s4 src0_sel:BYTE_3 src1_sel:DWORD
	s_mov_b64 s[4:5], -1
                                        ; implicit-def: $sgpr10
	s_and_saveexec_b64 s[8:9], s[12:13]
; %bb.3962:
	s_mov_b32 s10, 0x7f800001
	s_xor_b64 s[4:5], exec, -1
; %bb.3963:
	s_or_b64 exec, exec, s[8:9]
	s_and_b64 s[4:5], s[4:5], exec
	s_or_saveexec_b64 s[6:7], s[6:7]
	v_mov_b32_e32 v8, s10
	s_xor_b64 exec, exec, s[6:7]
	s_cbranch_execz .LBB39_1914
.LBB39_3964:
	v_mov_b32_e32 v8, 0
	v_cmp_ne_u16_sdwa s[8:9], v15, v8 src0_sel:BYTE_3 src1_sel:DWORD
	s_andn2_b64 s[4:5], s[4:5], exec
	s_and_b64 s[8:9], s[8:9], exec
	s_or_b64 s[4:5], s[4:5], s[8:9]
	s_or_b64 exec, exec, s[6:7]
	s_and_saveexec_b64 s[6:7], s[4:5]
	s_cbranch_execnz .LBB39_1915
	s_branch .LBB39_1916
.LBB39_3965:
	s_movk_i32 s4, 0x80
	v_cmp_eq_u16_sdwa s[12:13], v11, s4 src0_sel:BYTE_3 src1_sel:DWORD
	s_mov_b64 s[4:5], -1
                                        ; implicit-def: $sgpr10
	s_and_saveexec_b64 s[8:9], s[12:13]
; %bb.3966:
	s_mov_b32 s10, 0x7f800001
	s_xor_b64 s[4:5], exec, -1
; %bb.3967:
	s_or_b64 exec, exec, s[8:9]
	s_and_b64 s[4:5], s[4:5], exec
	s_or_saveexec_b64 s[6:7], s[6:7]
	v_mov_b32_e32 v9, s10
	s_xor_b64 exec, exec, s[6:7]
	s_cbranch_execz .LBB39_1918
.LBB39_3968:
	v_mov_b32_e32 v9, 0
	v_cmp_ne_u16_sdwa s[8:9], v11, v9 src0_sel:BYTE_3 src1_sel:DWORD
	s_andn2_b64 s[4:5], s[4:5], exec
	s_and_b64 s[8:9], s[8:9], exec
	s_or_b64 s[4:5], s[4:5], s[8:9]
	s_or_b64 exec, exec, s[6:7]
	s_and_saveexec_b64 s[6:7], s[4:5]
	s_cbranch_execnz .LBB39_1919
	s_branch .LBB39_1920
.LBB39_3969:
	s_movk_i32 s4, 0x80
	v_cmp_eq_u16_sdwa s[12:13], v4, s4 src0_sel:BYTE_0 src1_sel:DWORD
	s_mov_b64 s[4:5], -1
                                        ; implicit-def: $sgpr10
	s_and_saveexec_b64 s[8:9], s[12:13]
; %bb.3970:
	s_mov_b32 s10, 0x7f800001
	s_xor_b64 s[4:5], exec, -1
; %bb.3971:
	s_or_b64 exec, exec, s[8:9]
	s_and_b64 s[4:5], s[4:5], exec
	s_or_saveexec_b64 s[6:7], s[6:7]
	v_mov_b32_e32 v8, s10
	s_xor_b64 exec, exec, s[6:7]
	s_cbranch_execz .LBB39_1922
.LBB39_3972:
	v_mov_b32_e32 v8, 0
	v_cmp_ne_u16_sdwa s[8:9], v4, v8 src0_sel:BYTE_0 src1_sel:DWORD
	s_andn2_b64 s[4:5], s[4:5], exec
	s_and_b64 s[8:9], s[8:9], exec
	s_or_b64 s[4:5], s[4:5], s[8:9]
	s_or_b64 exec, exec, s[6:7]
	s_and_saveexec_b64 s[6:7], s[4:5]
	s_cbranch_execnz .LBB39_1923
	s_branch .LBB39_1924
.LBB39_3973:
	s_movk_i32 s4, 0x80
	v_cmp_eq_u16_sdwa s[12:13], v0, s4 src0_sel:BYTE_0 src1_sel:DWORD
	s_mov_b64 s[4:5], -1
                                        ; implicit-def: $sgpr10
	s_and_saveexec_b64 s[8:9], s[12:13]
; %bb.3974:
	s_mov_b32 s10, 0x7f800001
	s_xor_b64 s[4:5], exec, -1
; %bb.3975:
	s_or_b64 exec, exec, s[8:9]
	s_and_b64 s[4:5], s[4:5], exec
	s_or_saveexec_b64 s[6:7], s[6:7]
	v_mov_b32_e32 v9, s10
	s_xor_b64 exec, exec, s[6:7]
	s_cbranch_execz .LBB39_1926
.LBB39_3976:
	v_mov_b32_e32 v9, 0
	v_cmp_ne_u16_sdwa s[8:9], v0, v9 src0_sel:BYTE_0 src1_sel:DWORD
	s_andn2_b64 s[4:5], s[4:5], exec
	s_and_b64 s[8:9], s[8:9], exec
	s_or_b64 s[4:5], s[4:5], s[8:9]
	s_or_b64 exec, exec, s[6:7]
	s_and_saveexec_b64 s[6:7], s[4:5]
	s_cbranch_execnz .LBB39_1927
	s_branch .LBB39_1928
.LBB39_3977:
	s_movk_i32 s4, 0x80
	v_cmp_eq_u16_sdwa s[12:13], v9, s4 src0_sel:BYTE_0 src1_sel:DWORD
	s_mov_b64 s[4:5], -1
                                        ; implicit-def: $sgpr10
	s_and_saveexec_b64 s[8:9], s[12:13]
; %bb.3978:
	s_mov_b32 s10, 0x7f800001
	s_xor_b64 s[4:5], exec, -1
; %bb.3979:
	s_or_b64 exec, exec, s[8:9]
	s_and_b64 s[4:5], s[4:5], exec
	s_or_saveexec_b64 s[6:7], s[6:7]
	v_mov_b32_e32 v8, s10
	s_xor_b64 exec, exec, s[6:7]
	s_cbranch_execz .LBB39_1930
.LBB39_3980:
	v_mov_b32_e32 v8, 0
	v_cmp_ne_u16_sdwa s[8:9], v9, v8 src0_sel:BYTE_0 src1_sel:DWORD
	s_andn2_b64 s[4:5], s[4:5], exec
	s_and_b64 s[8:9], s[8:9], exec
	s_or_b64 s[4:5], s[4:5], s[8:9]
	s_or_b64 exec, exec, s[6:7]
	s_and_saveexec_b64 s[6:7], s[4:5]
	s_cbranch_execnz .LBB39_1931
	s_branch .LBB39_1932
.LBB39_3981:
	s_movk_i32 s4, 0x80
	v_cmp_eq_u16_sdwa s[12:13], v9, s4 src0_sel:BYTE_0 src1_sel:DWORD
	s_mov_b64 s[4:5], -1
                                        ; implicit-def: $sgpr10
	s_and_saveexec_b64 s[8:9], s[12:13]
; %bb.3982:
	s_mov_b32 s10, 0x7f800001
	s_xor_b64 s[4:5], exec, -1
; %bb.3983:
	s_or_b64 exec, exec, s[8:9]
	s_and_b64 s[4:5], s[4:5], exec
	s_or_saveexec_b64 s[6:7], s[6:7]
	v_mov_b32_e32 v10, s10
	s_xor_b64 exec, exec, s[6:7]
	s_cbranch_execz .LBB39_1934
.LBB39_3984:
	v_mov_b32_e32 v10, 0
	v_cmp_ne_u16_sdwa s[8:9], v9, v10 src0_sel:BYTE_0 src1_sel:DWORD
	s_andn2_b64 s[4:5], s[4:5], exec
	s_and_b64 s[8:9], s[8:9], exec
	s_or_b64 s[4:5], s[4:5], s[8:9]
	s_or_b64 exec, exec, s[6:7]
	s_and_saveexec_b64 s[6:7], s[4:5]
	s_cbranch_execnz .LBB39_1935
	s_branch .LBB39_1936
.LBB39_3985:
	s_movk_i32 s4, 0x80
	v_cmp_eq_u16_e32 vcc, s4, v9
	s_mov_b64 s[4:5], -1
                                        ; implicit-def: $sgpr10
	s_and_saveexec_b64 s[8:9], vcc
; %bb.3986:
	s_mov_b32 s10, 0x7f800001
	s_xor_b64 s[4:5], exec, -1
; %bb.3987:
	s_or_b64 exec, exec, s[8:9]
	s_and_b64 s[4:5], s[4:5], exec
                                        ; implicit-def: $vgpr9
	s_or_saveexec_b64 s[6:7], s[6:7]
	v_mov_b32_e32 v8, s10
	s_xor_b64 exec, exec, s[6:7]
	s_cbranch_execz .LBB39_1938
.LBB39_3988:
	v_cmp_ne_u16_e32 vcc, 0, v9
	s_andn2_b64 s[4:5], s[4:5], exec
	s_and_b64 s[8:9], vcc, exec
	v_mov_b32_e32 v8, 0
	s_or_b64 s[4:5], s[4:5], s[8:9]
	s_or_b64 exec, exec, s[6:7]
	s_and_saveexec_b64 s[6:7], s[4:5]
	s_cbranch_execnz .LBB39_1939
	s_branch .LBB39_1940
.LBB39_3989:
	s_movk_i32 s4, 0x80
	v_cmp_eq_u16_e32 vcc, s4, v9
	s_mov_b64 s[4:5], -1
                                        ; implicit-def: $sgpr10
	s_and_saveexec_b64 s[8:9], vcc
; %bb.3990:
	s_mov_b32 s10, 0x7f800001
	s_xor_b64 s[4:5], exec, -1
; %bb.3991:
	s_or_b64 exec, exec, s[8:9]
	s_and_b64 s[4:5], s[4:5], exec
                                        ; implicit-def: $vgpr9
	s_or_saveexec_b64 s[6:7], s[6:7]
	v_mov_b32_e32 v10, s10
	s_xor_b64 exec, exec, s[6:7]
	s_cbranch_execz .LBB39_1942
.LBB39_3992:
	v_cmp_ne_u16_e32 vcc, 0, v9
	s_andn2_b64 s[4:5], s[4:5], exec
	s_and_b64 s[8:9], vcc, exec
	v_mov_b32_e32 v10, 0
	s_or_b64 s[4:5], s[4:5], s[8:9]
	s_or_b64 exec, exec, s[6:7]
	s_and_saveexec_b64 s[6:7], s[4:5]
	s_cbranch_execnz .LBB39_1943
	s_branch .LBB39_1944
.LBB39_3993:
	s_movk_i32 s4, 0x80
	v_cmp_eq_u16_sdwa s[12:13], v4, s4 src0_sel:BYTE_3 src1_sel:DWORD
	s_mov_b64 s[4:5], -1
                                        ; implicit-def: $sgpr10
	s_and_saveexec_b64 s[8:9], s[12:13]
; %bb.3994:
	s_mov_b32 s10, 0x7f800001
	s_xor_b64 s[4:5], exec, -1
; %bb.3995:
	s_or_b64 exec, exec, s[8:9]
	s_and_b64 s[4:5], s[4:5], exec
	s_or_saveexec_b64 s[6:7], s[6:7]
	v_mov_b32_e32 v8, s10
	s_xor_b64 exec, exec, s[6:7]
	s_cbranch_execz .LBB39_1946
.LBB39_3996:
	v_mov_b32_e32 v8, 0
	v_cmp_ne_u16_sdwa s[8:9], v4, v8 src0_sel:BYTE_3 src1_sel:DWORD
	s_andn2_b64 s[4:5], s[4:5], exec
	s_and_b64 s[8:9], s[8:9], exec
	s_or_b64 s[4:5], s[4:5], s[8:9]
	s_or_b64 exec, exec, s[6:7]
	s_and_saveexec_b64 s[6:7], s[4:5]
	s_cbranch_execnz .LBB39_1947
	s_branch .LBB39_1948
.LBB39_3997:
	s_movk_i32 s4, 0x80
	v_cmp_eq_u16_sdwa s[12:13], v0, s4 src0_sel:BYTE_3 src1_sel:DWORD
	s_mov_b64 s[4:5], -1
                                        ; implicit-def: $sgpr10
	s_and_saveexec_b64 s[8:9], s[12:13]
; %bb.3998:
	s_mov_b32 s10, 0x7f800001
	s_xor_b64 s[4:5], exec, -1
; %bb.3999:
	s_or_b64 exec, exec, s[8:9]
	s_and_b64 s[4:5], s[4:5], exec
	s_or_saveexec_b64 s[6:7], s[6:7]
	v_mov_b32_e32 v4, s10
	s_xor_b64 exec, exec, s[6:7]
	s_cbranch_execz .LBB39_1950
.LBB39_4000:
	v_mov_b32_e32 v4, 0
	v_cmp_ne_u16_sdwa s[8:9], v0, v4 src0_sel:BYTE_3 src1_sel:DWORD
	s_andn2_b64 s[4:5], s[4:5], exec
	s_and_b64 s[8:9], s[8:9], exec
	s_or_b64 s[4:5], s[4:5], s[8:9]
	s_or_b64 exec, exec, s[6:7]
	s_and_saveexec_b64 s[6:7], s[4:5]
	s_cbranch_execnz .LBB39_1951
	s_branch .LBB39_1952
.LBB39_4001:
	s_movk_i32 s4, 0x80
	v_cmp_eq_u16_sdwa s[12:13], v5, s4 src0_sel:BYTE_0 src1_sel:DWORD
	s_mov_b64 s[4:5], -1
                                        ; implicit-def: $sgpr10
	s_and_saveexec_b64 s[8:9], s[12:13]
; %bb.4002:
	s_mov_b32 s10, 0x7f800001
	s_xor_b64 s[4:5], exec, -1
; %bb.4003:
	s_or_b64 exec, exec, s[8:9]
	s_and_b64 s[4:5], s[4:5], exec
	s_or_saveexec_b64 s[6:7], s[6:7]
	v_mov_b32_e32 v0, s10
	s_xor_b64 exec, exec, s[6:7]
	s_cbranch_execz .LBB39_1954
.LBB39_4004:
	v_mov_b32_e32 v0, 0
	v_cmp_ne_u16_sdwa s[8:9], v5, v0 src0_sel:BYTE_0 src1_sel:DWORD
	s_andn2_b64 s[4:5], s[4:5], exec
	s_and_b64 s[8:9], s[8:9], exec
	s_or_b64 s[4:5], s[4:5], s[8:9]
	s_or_b64 exec, exec, s[6:7]
	s_and_saveexec_b64 s[6:7], s[4:5]
	s_cbranch_execnz .LBB39_1955
	s_branch .LBB39_1956
.LBB39_4005:
	s_movk_i32 s4, 0x80
	v_cmp_eq_u16_sdwa s[12:13], v1, s4 src0_sel:BYTE_0 src1_sel:DWORD
	s_mov_b64 s[4:5], -1
                                        ; implicit-def: $sgpr10
	s_and_saveexec_b64 s[8:9], s[12:13]
; %bb.4006:
	s_mov_b32 s10, 0x7f800001
	s_xor_b64 s[4:5], exec, -1
; %bb.4007:
	s_or_b64 exec, exec, s[8:9]
	s_and_b64 s[4:5], s[4:5], exec
	s_or_saveexec_b64 s[6:7], s[6:7]
	v_mov_b32_e32 v4, s10
	s_xor_b64 exec, exec, s[6:7]
	s_cbranch_execz .LBB39_1958
.LBB39_4008:
	v_mov_b32_e32 v4, 0
	v_cmp_ne_u16_sdwa s[8:9], v1, v4 src0_sel:BYTE_0 src1_sel:DWORD
	s_andn2_b64 s[4:5], s[4:5], exec
	s_and_b64 s[8:9], s[8:9], exec
	s_or_b64 s[4:5], s[4:5], s[8:9]
	s_or_b64 exec, exec, s[6:7]
	s_and_saveexec_b64 s[6:7], s[4:5]
	s_cbranch_execnz .LBB39_1959
	s_branch .LBB39_1960
.LBB39_4009:
	s_movk_i32 s4, 0x80
	v_cmp_eq_u16_sdwa s[12:13], v4, s4 src0_sel:BYTE_0 src1_sel:DWORD
	s_mov_b64 s[4:5], -1
                                        ; implicit-def: $sgpr10
	s_and_saveexec_b64 s[8:9], s[12:13]
; %bb.4010:
	s_mov_b32 s10, 0x7f800001
	s_xor_b64 s[4:5], exec, -1
; %bb.4011:
	s_or_b64 exec, exec, s[8:9]
	s_and_b64 s[4:5], s[4:5], exec
	s_or_saveexec_b64 s[6:7], s[6:7]
	v_mov_b32_e32 v0, s10
	s_xor_b64 exec, exec, s[6:7]
	s_cbranch_execz .LBB39_1962
.LBB39_4012:
	v_mov_b32_e32 v0, 0
	v_cmp_ne_u16_sdwa s[8:9], v4, v0 src0_sel:BYTE_0 src1_sel:DWORD
	s_andn2_b64 s[4:5], s[4:5], exec
	s_and_b64 s[8:9], s[8:9], exec
	s_or_b64 s[4:5], s[4:5], s[8:9]
	s_or_b64 exec, exec, s[6:7]
	s_and_saveexec_b64 s[6:7], s[4:5]
	s_cbranch_execnz .LBB39_1963
	s_branch .LBB39_1964
.LBB39_4013:
	s_movk_i32 s4, 0x80
	v_cmp_eq_u16_sdwa s[12:13], v4, s4 src0_sel:BYTE_0 src1_sel:DWORD
	s_mov_b64 s[4:5], -1
                                        ; implicit-def: $sgpr10
	s_and_saveexec_b64 s[8:9], s[12:13]
; %bb.4014:
	s_mov_b32 s10, 0x7f800001
	s_xor_b64 s[4:5], exec, -1
; %bb.4015:
	s_or_b64 exec, exec, s[8:9]
	s_and_b64 s[4:5], s[4:5], exec
	s_or_saveexec_b64 s[6:7], s[6:7]
	v_mov_b32_e32 v8, s10
	s_xor_b64 exec, exec, s[6:7]
	s_cbranch_execz .LBB39_1966
.LBB39_4016:
	v_mov_b32_e32 v8, 0
	v_cmp_ne_u16_sdwa s[8:9], v4, v8 src0_sel:BYTE_0 src1_sel:DWORD
	s_andn2_b64 s[4:5], s[4:5], exec
	s_and_b64 s[8:9], s[8:9], exec
	s_or_b64 s[4:5], s[4:5], s[8:9]
	s_or_b64 exec, exec, s[6:7]
	s_and_saveexec_b64 s[6:7], s[4:5]
	s_cbranch_execnz .LBB39_1967
	s_branch .LBB39_1968
.LBB39_4017:
	s_movk_i32 s4, 0x80
	v_cmp_eq_u16_e32 vcc, s4, v4
	s_mov_b64 s[4:5], -1
                                        ; implicit-def: $sgpr10
	s_and_saveexec_b64 s[8:9], vcc
; %bb.4018:
	s_mov_b32 s10, 0x7f800001
	s_xor_b64 s[4:5], exec, -1
; %bb.4019:
	s_or_b64 exec, exec, s[8:9]
	s_and_b64 s[4:5], s[4:5], exec
                                        ; implicit-def: $vgpr4
	s_or_saveexec_b64 s[6:7], s[6:7]
	v_mov_b32_e32 v0, s10
	s_xor_b64 exec, exec, s[6:7]
	s_cbranch_execz .LBB39_1970
.LBB39_4020:
	v_cmp_ne_u16_e32 vcc, 0, v4
	s_andn2_b64 s[4:5], s[4:5], exec
	s_and_b64 s[8:9], vcc, exec
	v_mov_b32_e32 v0, 0
	s_or_b64 s[4:5], s[4:5], s[8:9]
	s_or_b64 exec, exec, s[6:7]
	s_and_saveexec_b64 s[6:7], s[4:5]
	s_cbranch_execnz .LBB39_1971
	s_branch .LBB39_1972
.LBB39_4021:
	s_movk_i32 s4, 0x80
	v_cmp_eq_u16_e32 vcc, s4, v4
	s_mov_b64 s[4:5], -1
                                        ; implicit-def: $sgpr10
	s_and_saveexec_b64 s[8:9], vcc
; %bb.4022:
	s_mov_b32 s10, 0x7f800001
	s_xor_b64 s[4:5], exec, -1
; %bb.4023:
	s_or_b64 exec, exec, s[8:9]
	s_and_b64 s[4:5], s[4:5], exec
                                        ; implicit-def: $vgpr4
	s_or_saveexec_b64 s[6:7], s[6:7]
	v_mov_b32_e32 v8, s10
	s_xor_b64 exec, exec, s[6:7]
	s_cbranch_execz .LBB39_1974
.LBB39_4024:
	v_cmp_ne_u16_e32 vcc, 0, v4
	s_andn2_b64 s[4:5], s[4:5], exec
	s_and_b64 s[8:9], vcc, exec
	v_mov_b32_e32 v8, 0
	s_or_b64 s[4:5], s[4:5], s[8:9]
	s_or_b64 exec, exec, s[6:7]
	s_and_saveexec_b64 s[6:7], s[4:5]
	s_cbranch_execnz .LBB39_1975
	s_branch .LBB39_1976
.LBB39_4025:
	s_movk_i32 s4, 0x80
	v_cmp_eq_u16_sdwa s[12:13], v5, s4 src0_sel:BYTE_3 src1_sel:DWORD
	s_mov_b64 s[4:5], -1
                                        ; implicit-def: $sgpr10
	s_and_saveexec_b64 s[8:9], s[12:13]
; %bb.4026:
	s_mov_b32 s10, 0x7f800001
	s_xor_b64 s[4:5], exec, -1
; %bb.4027:
	s_or_b64 exec, exec, s[8:9]
	s_and_b64 s[4:5], s[4:5], exec
	s_or_saveexec_b64 s[6:7], s[6:7]
	v_mov_b32_e32 v0, s10
	s_xor_b64 exec, exec, s[6:7]
	s_cbranch_execz .LBB39_1978
.LBB39_4028:
	v_mov_b32_e32 v0, 0
	v_cmp_ne_u16_sdwa s[8:9], v5, v0 src0_sel:BYTE_3 src1_sel:DWORD
	s_andn2_b64 s[4:5], s[4:5], exec
	s_and_b64 s[8:9], s[8:9], exec
	s_or_b64 s[4:5], s[4:5], s[8:9]
	s_or_b64 exec, exec, s[6:7]
	s_and_saveexec_b64 s[6:7], s[4:5]
	s_cbranch_execnz .LBB39_1979
	s_branch .LBB39_1980
.LBB39_4029:
	s_movk_i32 s4, 0x80
	v_cmp_eq_u16_sdwa s[12:13], v1, s4 src0_sel:BYTE_3 src1_sel:DWORD
	s_mov_b64 s[4:5], -1
                                        ; implicit-def: $sgpr10
	s_and_saveexec_b64 s[8:9], s[12:13]
; %bb.4030:
	s_mov_b32 s10, 0x7f800001
	s_xor_b64 s[4:5], exec, -1
; %bb.4031:
	s_or_b64 exec, exec, s[8:9]
	s_and_b64 s[4:5], s[4:5], exec
	s_or_saveexec_b64 s[6:7], s[6:7]
	v_mov_b32_e32 v4, s10
	s_xor_b64 exec, exec, s[6:7]
	s_cbranch_execz .LBB39_1982
.LBB39_4032:
	v_mov_b32_e32 v4, 0
	v_cmp_ne_u16_sdwa s[8:9], v1, v4 src0_sel:BYTE_3 src1_sel:DWORD
	s_andn2_b64 s[4:5], s[4:5], exec
	s_and_b64 s[8:9], s[8:9], exec
	s_or_b64 s[4:5], s[4:5], s[8:9]
	s_or_b64 exec, exec, s[6:7]
	s_and_saveexec_b64 s[6:7], s[4:5]
	s_cbranch_execnz .LBB39_1983
	s_branch .LBB39_1984
.LBB39_4033:
	s_movk_i32 s4, 0x80
	v_cmp_eq_u16_sdwa s[12:13], v6, s4 src0_sel:BYTE_0 src1_sel:DWORD
	s_mov_b64 s[4:5], -1
                                        ; implicit-def: $sgpr10
	s_and_saveexec_b64 s[8:9], s[12:13]
; %bb.4034:
	s_mov_b32 s10, 0x7f800001
	s_xor_b64 s[4:5], exec, -1
; %bb.4035:
	s_or_b64 exec, exec, s[8:9]
	s_and_b64 s[4:5], s[4:5], exec
	s_or_saveexec_b64 s[6:7], s[6:7]
	v_mov_b32_e32 v0, s10
	s_xor_b64 exec, exec, s[6:7]
	s_cbranch_execz .LBB39_1986
.LBB39_4036:
	v_mov_b32_e32 v0, 0
	v_cmp_ne_u16_sdwa s[8:9], v6, v0 src0_sel:BYTE_0 src1_sel:DWORD
	s_andn2_b64 s[4:5], s[4:5], exec
	s_and_b64 s[8:9], s[8:9], exec
	s_or_b64 s[4:5], s[4:5], s[8:9]
	s_or_b64 exec, exec, s[6:7]
	s_and_saveexec_b64 s[6:7], s[4:5]
	s_cbranch_execnz .LBB39_1987
	s_branch .LBB39_1988
.LBB39_4037:
	s_movk_i32 s4, 0x80
	v_cmp_eq_u16_sdwa s[12:13], v2, s4 src0_sel:BYTE_0 src1_sel:DWORD
	s_mov_b64 s[4:5], -1
                                        ; implicit-def: $sgpr10
	s_and_saveexec_b64 s[8:9], s[12:13]
; %bb.4038:
	s_mov_b32 s10, 0x7f800001
	s_xor_b64 s[4:5], exec, -1
; %bb.4039:
	s_or_b64 exec, exec, s[8:9]
	s_and_b64 s[4:5], s[4:5], exec
	s_or_saveexec_b64 s[6:7], s[6:7]
	v_mov_b32_e32 v1, s10
	s_xor_b64 exec, exec, s[6:7]
	s_cbranch_execz .LBB39_1990
.LBB39_4040:
	v_mov_b32_e32 v1, 0
	v_cmp_ne_u16_sdwa s[8:9], v2, v1 src0_sel:BYTE_0 src1_sel:DWORD
	s_andn2_b64 s[4:5], s[4:5], exec
	s_and_b64 s[8:9], s[8:9], exec
	s_or_b64 s[4:5], s[4:5], s[8:9]
	s_or_b64 exec, exec, s[6:7]
	s_and_saveexec_b64 s[6:7], s[4:5]
	s_cbranch_execnz .LBB39_1991
	s_branch .LBB39_1992
.LBB39_4041:
	s_movk_i32 s4, 0x80
	v_cmp_eq_u16_sdwa s[12:13], v1, s4 src0_sel:BYTE_0 src1_sel:DWORD
	s_mov_b64 s[4:5], -1
                                        ; implicit-def: $sgpr10
	s_and_saveexec_b64 s[8:9], s[12:13]
; %bb.4042:
	s_mov_b32 s10, 0x7f800001
	s_xor_b64 s[4:5], exec, -1
; %bb.4043:
	s_or_b64 exec, exec, s[8:9]
	s_and_b64 s[4:5], s[4:5], exec
	s_or_saveexec_b64 s[6:7], s[6:7]
	v_mov_b32_e32 v0, s10
	s_xor_b64 exec, exec, s[6:7]
	s_cbranch_execz .LBB39_1994
.LBB39_4044:
	v_mov_b32_e32 v0, 0
	v_cmp_ne_u16_sdwa s[8:9], v1, v0 src0_sel:BYTE_0 src1_sel:DWORD
	s_andn2_b64 s[4:5], s[4:5], exec
	s_and_b64 s[8:9], s[8:9], exec
	s_or_b64 s[4:5], s[4:5], s[8:9]
	s_or_b64 exec, exec, s[6:7]
	s_and_saveexec_b64 s[6:7], s[4:5]
	s_cbranch_execnz .LBB39_1995
	s_branch .LBB39_1996
.LBB39_4045:
	s_movk_i32 s4, 0x80
	v_cmp_eq_u16_sdwa s[12:13], v1, s4 src0_sel:BYTE_0 src1_sel:DWORD
	s_mov_b64 s[4:5], -1
                                        ; implicit-def: $sgpr10
	s_and_saveexec_b64 s[8:9], s[12:13]
; %bb.4046:
	s_mov_b32 s10, 0x7f800001
	s_xor_b64 s[4:5], exec, -1
; %bb.4047:
	s_or_b64 exec, exec, s[8:9]
	s_and_b64 s[4:5], s[4:5], exec
	s_or_saveexec_b64 s[6:7], s[6:7]
	v_mov_b32_e32 v4, s10
	s_xor_b64 exec, exec, s[6:7]
	s_cbranch_execz .LBB39_1998
.LBB39_4048:
	v_mov_b32_e32 v4, 0
	v_cmp_ne_u16_sdwa s[8:9], v1, v4 src0_sel:BYTE_0 src1_sel:DWORD
	s_andn2_b64 s[4:5], s[4:5], exec
	s_and_b64 s[8:9], s[8:9], exec
	s_or_b64 s[4:5], s[4:5], s[8:9]
	s_or_b64 exec, exec, s[6:7]
	s_and_saveexec_b64 s[6:7], s[4:5]
	s_cbranch_execnz .LBB39_1999
	s_branch .LBB39_2000
.LBB39_4049:
	s_movk_i32 s4, 0x80
	v_cmp_eq_u16_e32 vcc, s4, v1
	s_mov_b64 s[4:5], -1
                                        ; implicit-def: $sgpr10
	s_and_saveexec_b64 s[8:9], vcc
; %bb.4050:
	s_mov_b32 s10, 0x7f800001
	s_xor_b64 s[4:5], exec, -1
; %bb.4051:
	s_or_b64 exec, exec, s[8:9]
	s_and_b64 s[4:5], s[4:5], exec
                                        ; implicit-def: $vgpr1
	s_or_saveexec_b64 s[6:7], s[6:7]
	v_mov_b32_e32 v0, s10
	s_xor_b64 exec, exec, s[6:7]
	s_cbranch_execz .LBB39_2002
.LBB39_4052:
	v_cmp_ne_u16_e32 vcc, 0, v1
	s_andn2_b64 s[4:5], s[4:5], exec
	s_and_b64 s[8:9], vcc, exec
	v_mov_b32_e32 v0, 0
	s_or_b64 s[4:5], s[4:5], s[8:9]
	s_or_b64 exec, exec, s[6:7]
	s_and_saveexec_b64 s[6:7], s[4:5]
	s_cbranch_execnz .LBB39_2003
	s_branch .LBB39_2004
.LBB39_4053:
	s_movk_i32 s4, 0x80
	v_cmp_eq_u16_e32 vcc, s4, v1
	s_mov_b64 s[4:5], -1
                                        ; implicit-def: $sgpr10
	s_and_saveexec_b64 s[8:9], vcc
; %bb.4054:
	s_mov_b32 s10, 0x7f800001
	s_xor_b64 s[4:5], exec, -1
; %bb.4055:
	s_or_b64 exec, exec, s[8:9]
	s_and_b64 s[4:5], s[4:5], exec
                                        ; implicit-def: $vgpr1
	s_or_saveexec_b64 s[6:7], s[6:7]
	v_mov_b32_e32 v4, s10
	s_xor_b64 exec, exec, s[6:7]
	s_cbranch_execz .LBB39_2006
.LBB39_4056:
	v_cmp_ne_u16_e32 vcc, 0, v1
	s_andn2_b64 s[4:5], s[4:5], exec
	s_and_b64 s[8:9], vcc, exec
	v_mov_b32_e32 v4, 0
	s_or_b64 s[4:5], s[4:5], s[8:9]
	s_or_b64 exec, exec, s[6:7]
	s_and_saveexec_b64 s[6:7], s[4:5]
	s_cbranch_execnz .LBB39_2007
	s_branch .LBB39_2008
.LBB39_4057:
	s_movk_i32 s4, 0x80
	v_cmp_eq_u16_sdwa s[12:13], v6, s4 src0_sel:BYTE_3 src1_sel:DWORD
	s_mov_b64 s[4:5], -1
                                        ; implicit-def: $sgpr10
	s_and_saveexec_b64 s[8:9], s[12:13]
; %bb.4058:
	s_mov_b32 s10, 0x7f800001
	s_xor_b64 s[4:5], exec, -1
; %bb.4059:
	s_or_b64 exec, exec, s[8:9]
	s_and_b64 s[4:5], s[4:5], exec
	s_or_saveexec_b64 s[6:7], s[6:7]
	v_mov_b32_e32 v0, s10
	s_xor_b64 exec, exec, s[6:7]
	s_cbranch_execz .LBB39_2010
.LBB39_4060:
	v_mov_b32_e32 v0, 0
	v_cmp_ne_u16_sdwa s[8:9], v6, v0 src0_sel:BYTE_3 src1_sel:DWORD
	s_andn2_b64 s[4:5], s[4:5], exec
	s_and_b64 s[8:9], s[8:9], exec
	s_or_b64 s[4:5], s[4:5], s[8:9]
	s_or_b64 exec, exec, s[6:7]
	s_and_saveexec_b64 s[6:7], s[4:5]
	s_cbranch_execnz .LBB39_2011
	s_branch .LBB39_2012
.LBB39_4061:
	s_movk_i32 s4, 0x80
	v_cmp_eq_u16_sdwa s[12:13], v2, s4 src0_sel:BYTE_3 src1_sel:DWORD
	s_mov_b64 s[4:5], -1
                                        ; implicit-def: $sgpr10
	s_and_saveexec_b64 s[8:9], s[12:13]
; %bb.4062:
	s_mov_b32 s10, 0x7f800001
	s_xor_b64 s[4:5], exec, -1
; %bb.4063:
	s_or_b64 exec, exec, s[8:9]
	s_and_b64 s[4:5], s[4:5], exec
	s_or_saveexec_b64 s[6:7], s[6:7]
	v_mov_b32_e32 v1, s10
	s_xor_b64 exec, exec, s[6:7]
	s_cbranch_execz .LBB39_2014
.LBB39_4064:
	v_mov_b32_e32 v1, 0
	v_cmp_ne_u16_sdwa s[8:9], v2, v1 src0_sel:BYTE_3 src1_sel:DWORD
	s_andn2_b64 s[4:5], s[4:5], exec
	s_and_b64 s[8:9], s[8:9], exec
	s_or_b64 s[4:5], s[4:5], s[8:9]
	s_or_b64 exec, exec, s[6:7]
	s_and_saveexec_b64 s[6:7], s[4:5]
	s_cbranch_execnz .LBB39_2015
	s_branch .LBB39_2016
.LBB39_4065:
	s_movk_i32 s4, 0x80
	v_cmp_eq_u16_sdwa s[12:13], v7, s4 src0_sel:BYTE_0 src1_sel:DWORD
	s_mov_b64 s[4:5], -1
                                        ; implicit-def: $sgpr10
	s_and_saveexec_b64 s[8:9], s[12:13]
; %bb.4066:
	s_mov_b32 s10, 0x7f800001
	s_xor_b64 s[4:5], exec, -1
; %bb.4067:
	s_or_b64 exec, exec, s[8:9]
	s_and_b64 s[4:5], s[4:5], exec
	s_or_saveexec_b64 s[6:7], s[6:7]
	v_mov_b32_e32 v0, s10
	s_xor_b64 exec, exec, s[6:7]
	s_cbranch_execz .LBB39_2018
.LBB39_4068:
	v_mov_b32_e32 v0, 0
	v_cmp_ne_u16_sdwa s[8:9], v7, v0 src0_sel:BYTE_0 src1_sel:DWORD
	s_andn2_b64 s[4:5], s[4:5], exec
	s_and_b64 s[8:9], s[8:9], exec
	s_or_b64 s[4:5], s[4:5], s[8:9]
	s_or_b64 exec, exec, s[6:7]
	s_and_saveexec_b64 s[6:7], s[4:5]
	s_cbranch_execnz .LBB39_2019
	s_branch .LBB39_2020
.LBB39_4069:
	s_movk_i32 s4, 0x80
	v_cmp_eq_u16_sdwa s[12:13], v3, s4 src0_sel:BYTE_0 src1_sel:DWORD
	s_mov_b64 s[4:5], -1
                                        ; implicit-def: $sgpr10
	s_and_saveexec_b64 s[8:9], s[12:13]
; %bb.4070:
	s_mov_b32 s10, 0x7f800001
	s_xor_b64 s[4:5], exec, -1
; %bb.4071:
	s_or_b64 exec, exec, s[8:9]
	s_and_b64 s[4:5], s[4:5], exec
	s_or_saveexec_b64 s[6:7], s[6:7]
	v_mov_b32_e32 v1, s10
	s_xor_b64 exec, exec, s[6:7]
	s_cbranch_execz .LBB39_2022
.LBB39_4072:
	v_mov_b32_e32 v1, 0
	v_cmp_ne_u16_sdwa s[8:9], v3, v1 src0_sel:BYTE_0 src1_sel:DWORD
	s_andn2_b64 s[4:5], s[4:5], exec
	s_and_b64 s[8:9], s[8:9], exec
	s_or_b64 s[4:5], s[4:5], s[8:9]
	s_or_b64 exec, exec, s[6:7]
	s_and_saveexec_b64 s[6:7], s[4:5]
	s_cbranch_execnz .LBB39_2023
	s_branch .LBB39_2024
.LBB39_4073:
	s_movk_i32 s4, 0x80
	v_cmp_eq_u16_sdwa s[12:13], v1, s4 src0_sel:BYTE_0 src1_sel:DWORD
	s_mov_b64 s[4:5], -1
                                        ; implicit-def: $sgpr10
	s_and_saveexec_b64 s[8:9], s[12:13]
; %bb.4074:
	s_mov_b32 s10, 0x7f800001
	s_xor_b64 s[4:5], exec, -1
; %bb.4075:
	s_or_b64 exec, exec, s[8:9]
	s_and_b64 s[4:5], s[4:5], exec
	s_or_saveexec_b64 s[6:7], s[6:7]
	v_mov_b32_e32 v0, s10
	s_xor_b64 exec, exec, s[6:7]
	s_cbranch_execz .LBB39_2026
.LBB39_4076:
	v_mov_b32_e32 v0, 0
	v_cmp_ne_u16_sdwa s[8:9], v1, v0 src0_sel:BYTE_0 src1_sel:DWORD
	s_andn2_b64 s[4:5], s[4:5], exec
	s_and_b64 s[8:9], s[8:9], exec
	s_or_b64 s[4:5], s[4:5], s[8:9]
	s_or_b64 exec, exec, s[6:7]
	s_and_saveexec_b64 s[6:7], s[4:5]
	s_cbranch_execnz .LBB39_2027
	s_branch .LBB39_2028
.LBB39_4077:
	s_movk_i32 s4, 0x80
	v_cmp_eq_u16_sdwa s[12:13], v1, s4 src0_sel:BYTE_0 src1_sel:DWORD
	s_mov_b64 s[4:5], -1
                                        ; implicit-def: $sgpr10
	s_and_saveexec_b64 s[8:9], s[12:13]
; %bb.4078:
	s_mov_b32 s10, 0x7f800001
	s_xor_b64 s[4:5], exec, -1
; %bb.4079:
	s_or_b64 exec, exec, s[8:9]
	s_and_b64 s[4:5], s[4:5], exec
	s_or_saveexec_b64 s[6:7], s[6:7]
	v_mov_b32_e32 v2, s10
	s_xor_b64 exec, exec, s[6:7]
	s_cbranch_execz .LBB39_2030
.LBB39_4080:
	v_mov_b32_e32 v2, 0
	v_cmp_ne_u16_sdwa s[8:9], v1, v2 src0_sel:BYTE_0 src1_sel:DWORD
	s_andn2_b64 s[4:5], s[4:5], exec
	s_and_b64 s[8:9], s[8:9], exec
	s_or_b64 s[4:5], s[4:5], s[8:9]
	s_or_b64 exec, exec, s[6:7]
	s_and_saveexec_b64 s[6:7], s[4:5]
	s_cbranch_execnz .LBB39_2031
	s_branch .LBB39_2032
.LBB39_4081:
	s_movk_i32 s4, 0x80
	v_cmp_eq_u16_e32 vcc, s4, v1
	s_mov_b64 s[4:5], -1
                                        ; implicit-def: $sgpr10
	s_and_saveexec_b64 s[8:9], vcc
; %bb.4082:
	s_mov_b32 s10, 0x7f800001
	s_xor_b64 s[4:5], exec, -1
; %bb.4083:
	s_or_b64 exec, exec, s[8:9]
	s_and_b64 s[4:5], s[4:5], exec
                                        ; implicit-def: $vgpr1
	s_or_saveexec_b64 s[6:7], s[6:7]
	v_mov_b32_e32 v0, s10
	s_xor_b64 exec, exec, s[6:7]
	s_cbranch_execz .LBB39_2034
.LBB39_4084:
	v_cmp_ne_u16_e32 vcc, 0, v1
	s_andn2_b64 s[4:5], s[4:5], exec
	s_and_b64 s[8:9], vcc, exec
	v_mov_b32_e32 v0, 0
	s_or_b64 s[4:5], s[4:5], s[8:9]
	s_or_b64 exec, exec, s[6:7]
	s_and_saveexec_b64 s[6:7], s[4:5]
	s_cbranch_execnz .LBB39_2035
	s_branch .LBB39_2036
.LBB39_4085:
	s_movk_i32 s4, 0x80
	v_cmp_eq_u16_e32 vcc, s4, v1
	s_mov_b64 s[4:5], -1
                                        ; implicit-def: $sgpr10
	s_and_saveexec_b64 s[8:9], vcc
; %bb.4086:
	s_mov_b32 s10, 0x7f800001
	s_xor_b64 s[4:5], exec, -1
; %bb.4087:
	s_or_b64 exec, exec, s[8:9]
	s_and_b64 s[4:5], s[4:5], exec
                                        ; implicit-def: $vgpr1
	s_or_saveexec_b64 s[6:7], s[6:7]
	v_mov_b32_e32 v2, s10
	s_xor_b64 exec, exec, s[6:7]
	s_cbranch_execz .LBB39_2038
.LBB39_4088:
	v_cmp_ne_u16_e32 vcc, 0, v1
	s_andn2_b64 s[4:5], s[4:5], exec
	s_and_b64 s[8:9], vcc, exec
	v_mov_b32_e32 v2, 0
	s_or_b64 s[4:5], s[4:5], s[8:9]
	s_or_b64 exec, exec, s[6:7]
	s_and_saveexec_b64 s[6:7], s[4:5]
	s_cbranch_execnz .LBB39_2039
	s_branch .LBB39_2040
.LBB39_4089:
	s_movk_i32 s4, 0x80
	v_cmp_eq_u16_sdwa s[12:13], v7, s4 src0_sel:BYTE_3 src1_sel:DWORD
	s_mov_b64 s[4:5], -1
                                        ; implicit-def: $sgpr10
	s_and_saveexec_b64 s[8:9], s[12:13]
; %bb.4090:
	s_mov_b32 s10, 0x7f800001
	s_xor_b64 s[4:5], exec, -1
; %bb.4091:
	s_or_b64 exec, exec, s[8:9]
	s_and_b64 s[4:5], s[4:5], exec
	s_or_saveexec_b64 s[6:7], s[6:7]
	v_mov_b32_e32 v0, s10
	s_xor_b64 exec, exec, s[6:7]
	s_cbranch_execz .LBB39_2042
.LBB39_4092:
	v_mov_b32_e32 v0, 0
	v_cmp_ne_u16_sdwa s[8:9], v7, v0 src0_sel:BYTE_3 src1_sel:DWORD
	s_andn2_b64 s[4:5], s[4:5], exec
	s_and_b64 s[8:9], s[8:9], exec
	s_or_b64 s[4:5], s[4:5], s[8:9]
	s_or_b64 exec, exec, s[6:7]
	s_and_saveexec_b64 s[6:7], s[4:5]
	s_cbranch_execnz .LBB39_2043
	s_branch .LBB39_2044
.LBB39_4093:
	s_movk_i32 s4, 0x80
	v_cmp_eq_u16_sdwa s[12:13], v3, s4 src0_sel:BYTE_3 src1_sel:DWORD
	s_mov_b64 s[4:5], -1
                                        ; implicit-def: $sgpr10
	s_and_saveexec_b64 s[8:9], s[12:13]
; %bb.4094:
	s_mov_b32 s10, 0x7f800001
	s_xor_b64 s[4:5], exec, -1
; %bb.4095:
	s_or_b64 exec, exec, s[8:9]
	s_and_b64 s[4:5], s[4:5], exec
	s_or_saveexec_b64 s[6:7], s[6:7]
	v_mov_b32_e32 v1, s10
	s_xor_b64 exec, exec, s[6:7]
	s_cbranch_execz .LBB39_2046
.LBB39_4096:
	v_mov_b32_e32 v1, 0
	v_cmp_ne_u16_sdwa s[8:9], v3, v1 src0_sel:BYTE_3 src1_sel:DWORD
	s_andn2_b64 s[4:5], s[4:5], exec
	s_and_b64 s[8:9], s[8:9], exec
	s_or_b64 s[4:5], s[4:5], s[8:9]
	s_or_b64 exec, exec, s[6:7]
	s_and_saveexec_b64 s[6:7], s[4:5]
	s_cbranch_execnz .LBB39_2047
	s_branch .LBB39_2048
.Lfunc_end39:
	.size	_ZNK2ck6detail7applierIiJLi0ELi1ELi2ELi3ELi4ELi5ELi6ELi7EEEclIZNKS_11static_fordINS_8SequenceIJLi1ELi8EEEENS5_IJLi0ELi1EEEEEclIZZZNKS_52BlockwiseGemmXdlops_pipeline_bpreshuffle_bdequant_v3ILNS_26BlockGemmPipelineSchedulerE0ELi256ENS_9f8_fnuz_tENS_7pk_i4_tESC_fNS_16TensorDescriptorINS_5TupleIJNS_5EmbedINSF_IJNS_17integral_constantIiLi8EEENSH_IiLi256EEENSH_IiLi16EEEEEENSF_IJSK_NSH_IiLi128EEENSH_IiLi1EEEEEELb0EEENS_3XorINSF_IJSJ_SI_EEELb1EEENS_11PassThroughISK_EENS_7UnMergeINSF_IJSI_SN_EEELb0EEENST_ISJ_EESU_NST_ISI_EENS_21Merge_v3_division_modINSF_IJSJ_SN_EEEEESU_EEENSF_IJNS5_IJLi0EEEENS5_IJLi2ELi1EEEENS5_IJLi3EEEENS5_IJLi5EEEENS5_IJLi4EEEENS5_IJLi6EEEENS5_IJLi7EEEENS5_IJLi9ELi8EEEENS5_IJLi10EEEEEEENSF_IJNS5_IJLi1ELi2ELi3EEEENS5_IJLi4ELi5EEEES19_NS5_IJLi7ELi8EEEENS5_IJLi9EEEES1C_NS5_IJLi11EEEENS5_IJLi12EEEENS5_IJLi13EEEEEEENS5_IJLi11ELi12ELi13EEEENSH_IlLl32768EEEEENSE_INSF_IJNSV_INSF_IJSI_SN_SN_NSH_IiLi32EEEEEELb0EEEEEENSF_IJS14_EEENSF_IJNS5_IJLi1ELi2ELi3ELi4EEEEEEES1U_NSH_IlLl256EEEEENSE_INSF_IJSP_SS_SU_SX_SY_SU_SZ_S12_SU_NS10_INSF_IJSI_SK_EEEEENSV_INSF_IJSI_NSH_IiLi2EEESK_EEELb0EEEEEENSF_IJS14_S15_S16_S17_S18_S19_S1A_S1B_S1C_NS5_IJLi11ELi13EEEES1J_EEENSF_IJS1E_S1F_S19_S1G_S1H_S1C_S1I_S1J_S1K_NS5_IJLi14EEEENS5_IJLi15ELi16ELi17EEEEEEENS5_IJLi15ELi16ELi17ELi14EEEES1N_EENSE_INSF_IJS1R_NS10_ISW_EES22_EEENSF_IJS14_NS5_IJLi1ELi3EEEENS5_IJLi2EEEEEEENSF_IJS1U_S17_NS5_IJLi6ELi7ELi8EEEEEEENS5_IJLi6ELi7ELi8ELi5EEEES1W_EELi16ELi32ELi256ELi256ELi128ELi16ELi16ELi8ELi8ELi32ELb0EE3RunILb1ELNS_10TailNumberE1ENSE_INSF_IJNSG_INSF_IJiiEEENSF_IJiSN_EEELb0EEENSV_IS2N_Lb0EEENST_IiEEEEENSF_IJS14_S2E_NS5_IJLi1EEEEEEENSF_IJNS5_IJLi1ELi2EEEENS5_IJLi3ELi4EEEES17_EEENS5_IJLi3ELi5ELi4EEEElEES1O_NS_35ThreadGroupTensorSliceTransfer_v4r1INS_15ThisThreadBlockILi256EEENS_16tensor_operation12element_wise11PassThroughES35_LNS_25InMemoryDataOperationEnumE0ENS5_IJLi8ELi256ELi16EEEENS5_IJLi8ELi32ELi1EEEENS5_IJLi1ELi0ELi2EEEESC_SC_RKS2Z_KS1O_S39_NS5_IJLi0ELi1ELi2EEEELi2ELi2ELi16ELi16ELi1ELi1ELb0ELb1ELi2EiEENS_13DynamicBufferILNS_16AddressSpaceEnumE1EKSC_lLb1ELNS_22AmdBufferCoherenceEnumE0EiEENSF_IJNS3F_ILS3G_2ESC_S1N_Lb1ELS3I_0EiEES3K_EEENSF_IJiiiEEENSE_INSF_IJNSG_INSF_IJiiiiEEENSF_IJiiiSN_EEELb0EEEEEES1T_S1V_S1U_lEENS_32ThreadwiseTensorSliceTransfer_v2ISD_SD_RKS3R_KS1X_NS5_IJLi8ELi1ELi1ELi32EEEENS5_IJLi1ELi2ELi0ELi3EEEELi3ELi32ELi0ELb1ELb0ELb0EEENS3F_ILS3G_1EKSD_lLb1ELS3I_0EiEENSF_IJNS_12StaticBufferILS3G_4ESD_Li256ELb1EEES42_EEES3N_NS_25StaticBufferTupleOfVectorILS3G_4EfLi64ELi4ELb1ELb0EEEEEvRKT1_RKT2_RT3_RKT4_RT5_RKT6_RKT7_RT8_RKT9_RT10_RKT11_RT12_iENKUlT_T0_E_clISN_NSH_IiLi0EEEEEDaS51_S52_ENKUlS51_E_clINSH_IiLi3EEEEEDaS51_EUlS51_E_EEvS51_EUlS51_E_EEvS51_, .Lfunc_end39-_ZNK2ck6detail7applierIiJLi0ELi1ELi2ELi3ELi4ELi5ELi6ELi7EEEclIZNKS_11static_fordINS_8SequenceIJLi1ELi8EEEENS5_IJLi0ELi1EEEEEclIZZZNKS_52BlockwiseGemmXdlops_pipeline_bpreshuffle_bdequant_v3ILNS_26BlockGemmPipelineSchedulerE0ELi256ENS_9f8_fnuz_tENS_7pk_i4_tESC_fNS_16TensorDescriptorINS_5TupleIJNS_5EmbedINSF_IJNS_17integral_constantIiLi8EEENSH_IiLi256EEENSH_IiLi16EEEEEENSF_IJSK_NSH_IiLi128EEENSH_IiLi1EEEEEELb0EEENS_3XorINSF_IJSJ_SI_EEELb1EEENS_11PassThroughISK_EENS_7UnMergeINSF_IJSI_SN_EEELb0EEENST_ISJ_EESU_NST_ISI_EENS_21Merge_v3_division_modINSF_IJSJ_SN_EEEEESU_EEENSF_IJNS5_IJLi0EEEENS5_IJLi2ELi1EEEENS5_IJLi3EEEENS5_IJLi5EEEENS5_IJLi4EEEENS5_IJLi6EEEENS5_IJLi7EEEENS5_IJLi9ELi8EEEENS5_IJLi10EEEEEEENSF_IJNS5_IJLi1ELi2ELi3EEEENS5_IJLi4ELi5EEEES19_NS5_IJLi7ELi8EEEENS5_IJLi9EEEES1C_NS5_IJLi11EEEENS5_IJLi12EEEENS5_IJLi13EEEEEEENS5_IJLi11ELi12ELi13EEEENSH_IlLl32768EEEEENSE_INSF_IJNSV_INSF_IJSI_SN_SN_NSH_IiLi32EEEEEELb0EEEEEENSF_IJS14_EEENSF_IJNS5_IJLi1ELi2ELi3ELi4EEEEEEES1U_NSH_IlLl256EEEEENSE_INSF_IJSP_SS_SU_SX_SY_SU_SZ_S12_SU_NS10_INSF_IJSI_SK_EEEEENSV_INSF_IJSI_NSH_IiLi2EEESK_EEELb0EEEEEENSF_IJS14_S15_S16_S17_S18_S19_S1A_S1B_S1C_NS5_IJLi11ELi13EEEES1J_EEENSF_IJS1E_S1F_S19_S1G_S1H_S1C_S1I_S1J_S1K_NS5_IJLi14EEEENS5_IJLi15ELi16ELi17EEEEEEENS5_IJLi15ELi16ELi17ELi14EEEES1N_EENSE_INSF_IJS1R_NS10_ISW_EES22_EEENSF_IJS14_NS5_IJLi1ELi3EEEENS5_IJLi2EEEEEEENSF_IJS1U_S17_NS5_IJLi6ELi7ELi8EEEEEEENS5_IJLi6ELi7ELi8ELi5EEEES1W_EELi16ELi32ELi256ELi256ELi128ELi16ELi16ELi8ELi8ELi32ELb0EE3RunILb1ELNS_10TailNumberE1ENSE_INSF_IJNSG_INSF_IJiiEEENSF_IJiSN_EEELb0EEENSV_IS2N_Lb0EEENST_IiEEEEENSF_IJS14_S2E_NS5_IJLi1EEEEEEENSF_IJNS5_IJLi1ELi2EEEENS5_IJLi3ELi4EEEES17_EEENS5_IJLi3ELi5ELi4EEEElEES1O_NS_35ThreadGroupTensorSliceTransfer_v4r1INS_15ThisThreadBlockILi256EEENS_16tensor_operation12element_wise11PassThroughES35_LNS_25InMemoryDataOperationEnumE0ENS5_IJLi8ELi256ELi16EEEENS5_IJLi8ELi32ELi1EEEENS5_IJLi1ELi0ELi2EEEESC_SC_RKS2Z_KS1O_S39_NS5_IJLi0ELi1ELi2EEEELi2ELi2ELi16ELi16ELi1ELi1ELb0ELb1ELi2EiEENS_13DynamicBufferILNS_16AddressSpaceEnumE1EKSC_lLb1ELNS_22AmdBufferCoherenceEnumE0EiEENSF_IJNS3F_ILS3G_2ESC_S1N_Lb1ELS3I_0EiEES3K_EEENSF_IJiiiEEENSE_INSF_IJNSG_INSF_IJiiiiEEENSF_IJiiiSN_EEELb0EEEEEES1T_S1V_S1U_lEENS_32ThreadwiseTensorSliceTransfer_v2ISD_SD_RKS3R_KS1X_NS5_IJLi8ELi1ELi1ELi32EEEENS5_IJLi1ELi2ELi0ELi3EEEELi3ELi32ELi0ELb1ELb0ELb0EEENS3F_ILS3G_1EKSD_lLb1ELS3I_0EiEENSF_IJNS_12StaticBufferILS3G_4ESD_Li256ELb1EEES42_EEES3N_NS_25StaticBufferTupleOfVectorILS3G_4EfLi64ELi4ELb1ELb0EEEEEvRKT1_RKT2_RT3_RKT4_RT5_RKT6_RKT7_RT8_RKT9_RT10_RKT11_RT12_iENKUlT_T0_E_clISN_NSH_IiLi0EEEEEDaS51_S52_ENKUlS51_E_clINSH_IiLi3EEEEEDaS51_EUlS51_E_EEvS51_EUlS51_E_EEvS51_
                                        ; -- End function
	.section	.AMDGPU.csdata,"",@progbits
; Function info:
; codeLenInByte = 133608
; NumSgprs: 36
; NumVgprs: 26
; NumAgprs: 4
; TotalNumVgprs: 32
; ScratchSize: 0
; MemoryBound: 1
	.text
	.p2align	2                               ; -- Begin function _ZNK2ck6detail7applierIiJLi0ELi1ELi2ELi3ELi4ELi5ELi6ELi7EEEclIZNKS_11static_fordINS_8SequenceIJLi1ELi8EEEENS5_IJLi0ELi1EEEEEclIZZZNKS_52BlockwiseGemmXdlops_pipeline_bpreshuffle_bdequant_v3ILNS_26BlockGemmPipelineSchedulerE0ELi256ENS_9f8_fnuz_tENS_7pk_i4_tESC_fNS_16TensorDescriptorINS_5TupleIJNS_5EmbedINSF_IJNS_17integral_constantIiLi8EEENSH_IiLi256EEENSH_IiLi16EEEEEENSF_IJSK_NSH_IiLi128EEENSH_IiLi1EEEEEELb0EEENS_3XorINSF_IJSJ_SI_EEELb1EEENS_11PassThroughISK_EENS_7UnMergeINSF_IJSI_SN_EEELb0EEENST_ISJ_EESU_NST_ISI_EENS_21Merge_v3_division_modINSF_IJSJ_SN_EEEEESU_EEENSF_IJNS5_IJLi0EEEENS5_IJLi2ELi1EEEENS5_IJLi3EEEENS5_IJLi5EEEENS5_IJLi4EEEENS5_IJLi6EEEENS5_IJLi7EEEENS5_IJLi9ELi8EEEENS5_IJLi10EEEEEEENSF_IJNS5_IJLi1ELi2ELi3EEEENS5_IJLi4ELi5EEEES19_NS5_IJLi7ELi8EEEENS5_IJLi9EEEES1C_NS5_IJLi11EEEENS5_IJLi12EEEENS5_IJLi13EEEEEEENS5_IJLi11ELi12ELi13EEEENSH_IlLl32768EEEEENSE_INSF_IJNSV_INSF_IJSI_SN_SN_NSH_IiLi32EEEEEELb0EEEEEENSF_IJS14_EEENSF_IJNS5_IJLi1ELi2ELi3ELi4EEEEEEES1U_NSH_IlLl256EEEEENSE_INSF_IJSP_SS_SU_SX_SY_SU_SZ_S12_SU_NS10_INSF_IJSI_SK_EEEEENSV_INSF_IJSI_NSH_IiLi2EEESK_EEELb0EEEEEENSF_IJS14_S15_S16_S17_S18_S19_S1A_S1B_S1C_NS5_IJLi11ELi13EEEES1J_EEENSF_IJS1E_S1F_S19_S1G_S1H_S1C_S1I_S1J_S1K_NS5_IJLi14EEEENS5_IJLi15ELi16ELi17EEEEEEENS5_IJLi15ELi16ELi17ELi14EEEES1N_EENSE_INSF_IJS1R_NS10_ISW_EES22_EEENSF_IJS14_NS5_IJLi1ELi3EEEENS5_IJLi2EEEEEEENSF_IJS1U_S17_NS5_IJLi6ELi7ELi8EEEEEEENS5_IJLi6ELi7ELi8ELi5EEEES1W_EELi16ELi32ELi256ELi256ELi128ELi16ELi16ELi8ELi8ELi32ELb0EE3RunILb1ELNS_10TailNumberE1ENSE_INSF_IJNSG_INSF_IJiiEEENSF_IJiSN_EEELb0EEENSV_IS2N_Lb0EEENST_IiEEEEENSF_IJS14_S2E_NS5_IJLi1EEEEEEENSF_IJNS5_IJLi1ELi2EEEENS5_IJLi3ELi4EEEES17_EEENS5_IJLi3ELi5ELi4EEEElEES1O_NS_35ThreadGroupTensorSliceTransfer_v4r1INS_15ThisThreadBlockILi256EEENS_16tensor_operation12element_wise11PassThroughES35_LNS_25InMemoryDataOperationEnumE0ENS5_IJLi8ELi256ELi16EEEENS5_IJLi8ELi32ELi1EEEENS5_IJLi1ELi0ELi2EEEESC_SC_RKS2Z_KS1O_S39_NS5_IJLi0ELi1ELi2EEEELi2ELi2ELi16ELi16ELi1ELi1ELb0ELb1ELi2EiEENS_13DynamicBufferILNS_16AddressSpaceEnumE1EKSC_lLb1ELNS_22AmdBufferCoherenceEnumE0EiEENSF_IJNS3F_ILS3G_2ESC_S1N_Lb1ELS3I_0EiEES3K_EEENSF_IJiiiEEENSE_INSF_IJNSG_INSF_IJiiiiEEENSF_IJiiiSN_EEELb0EEEEEES1T_S1V_S1U_lEENS_32ThreadwiseTensorSliceTransfer_v2ISD_SD_RKS3R_KS1X_NS5_IJLi8ELi1ELi1ELi32EEEENS5_IJLi1ELi2ELi0ELi3EEEELi3ELi32ELi0ELb1ELb0ELb0EEENS3F_ILS3G_1EKSD_lLb1ELS3I_0EiEENSF_IJNS_12StaticBufferILS3G_4ESD_Li256ELb1EEES42_EEES3N_NS_25StaticBufferTupleOfVectorILS3G_4EfLi64ELi4ELb1ELb0EEEEEvRKT1_RKT2_RT3_RKT4_RT5_RKT6_RKT7_RT8_RKT9_RT10_RKT11_RT12_iENKUlT_T0_E_clISN_NSH_IiLi0EEEEEDaS51_S52_ENKUlS51_E_clINSH_IiLi4EEEEEDaS51_EUlS51_E_EEvS51_EUlS51_E_EEvS51_
	.type	_ZNK2ck6detail7applierIiJLi0ELi1ELi2ELi3ELi4ELi5ELi6ELi7EEEclIZNKS_11static_fordINS_8SequenceIJLi1ELi8EEEENS5_IJLi0ELi1EEEEEclIZZZNKS_52BlockwiseGemmXdlops_pipeline_bpreshuffle_bdequant_v3ILNS_26BlockGemmPipelineSchedulerE0ELi256ENS_9f8_fnuz_tENS_7pk_i4_tESC_fNS_16TensorDescriptorINS_5TupleIJNS_5EmbedINSF_IJNS_17integral_constantIiLi8EEENSH_IiLi256EEENSH_IiLi16EEEEEENSF_IJSK_NSH_IiLi128EEENSH_IiLi1EEEEEELb0EEENS_3XorINSF_IJSJ_SI_EEELb1EEENS_11PassThroughISK_EENS_7UnMergeINSF_IJSI_SN_EEELb0EEENST_ISJ_EESU_NST_ISI_EENS_21Merge_v3_division_modINSF_IJSJ_SN_EEEEESU_EEENSF_IJNS5_IJLi0EEEENS5_IJLi2ELi1EEEENS5_IJLi3EEEENS5_IJLi5EEEENS5_IJLi4EEEENS5_IJLi6EEEENS5_IJLi7EEEENS5_IJLi9ELi8EEEENS5_IJLi10EEEEEEENSF_IJNS5_IJLi1ELi2ELi3EEEENS5_IJLi4ELi5EEEES19_NS5_IJLi7ELi8EEEENS5_IJLi9EEEES1C_NS5_IJLi11EEEENS5_IJLi12EEEENS5_IJLi13EEEEEEENS5_IJLi11ELi12ELi13EEEENSH_IlLl32768EEEEENSE_INSF_IJNSV_INSF_IJSI_SN_SN_NSH_IiLi32EEEEEELb0EEEEEENSF_IJS14_EEENSF_IJNS5_IJLi1ELi2ELi3ELi4EEEEEEES1U_NSH_IlLl256EEEEENSE_INSF_IJSP_SS_SU_SX_SY_SU_SZ_S12_SU_NS10_INSF_IJSI_SK_EEEEENSV_INSF_IJSI_NSH_IiLi2EEESK_EEELb0EEEEEENSF_IJS14_S15_S16_S17_S18_S19_S1A_S1B_S1C_NS5_IJLi11ELi13EEEES1J_EEENSF_IJS1E_S1F_S19_S1G_S1H_S1C_S1I_S1J_S1K_NS5_IJLi14EEEENS5_IJLi15ELi16ELi17EEEEEEENS5_IJLi15ELi16ELi17ELi14EEEES1N_EENSE_INSF_IJS1R_NS10_ISW_EES22_EEENSF_IJS14_NS5_IJLi1ELi3EEEENS5_IJLi2EEEEEEENSF_IJS1U_S17_NS5_IJLi6ELi7ELi8EEEEEEENS5_IJLi6ELi7ELi8ELi5EEEES1W_EELi16ELi32ELi256ELi256ELi128ELi16ELi16ELi8ELi8ELi32ELb0EE3RunILb1ELNS_10TailNumberE1ENSE_INSF_IJNSG_INSF_IJiiEEENSF_IJiSN_EEELb0EEENSV_IS2N_Lb0EEENST_IiEEEEENSF_IJS14_S2E_NS5_IJLi1EEEEEEENSF_IJNS5_IJLi1ELi2EEEENS5_IJLi3ELi4EEEES17_EEENS5_IJLi3ELi5ELi4EEEElEES1O_NS_35ThreadGroupTensorSliceTransfer_v4r1INS_15ThisThreadBlockILi256EEENS_16tensor_operation12element_wise11PassThroughES35_LNS_25InMemoryDataOperationEnumE0ENS5_IJLi8ELi256ELi16EEEENS5_IJLi8ELi32ELi1EEEENS5_IJLi1ELi0ELi2EEEESC_SC_RKS2Z_KS1O_S39_NS5_IJLi0ELi1ELi2EEEELi2ELi2ELi16ELi16ELi1ELi1ELb0ELb1ELi2EiEENS_13DynamicBufferILNS_16AddressSpaceEnumE1EKSC_lLb1ELNS_22AmdBufferCoherenceEnumE0EiEENSF_IJNS3F_ILS3G_2ESC_S1N_Lb1ELS3I_0EiEES3K_EEENSF_IJiiiEEENSE_INSF_IJNSG_INSF_IJiiiiEEENSF_IJiiiSN_EEELb0EEEEEES1T_S1V_S1U_lEENS_32ThreadwiseTensorSliceTransfer_v2ISD_SD_RKS3R_KS1X_NS5_IJLi8ELi1ELi1ELi32EEEENS5_IJLi1ELi2ELi0ELi3EEEELi3ELi32ELi0ELb1ELb0ELb0EEENS3F_ILS3G_1EKSD_lLb1ELS3I_0EiEENSF_IJNS_12StaticBufferILS3G_4ESD_Li256ELb1EEES42_EEES3N_NS_25StaticBufferTupleOfVectorILS3G_4EfLi64ELi4ELb1ELb0EEEEEvRKT1_RKT2_RT3_RKT4_RT5_RKT6_RKT7_RT8_RKT9_RT10_RKT11_RT12_iENKUlT_T0_E_clISN_NSH_IiLi0EEEEEDaS51_S52_ENKUlS51_E_clINSH_IiLi4EEEEEDaS51_EUlS51_E_EEvS51_EUlS51_E_EEvS51_,@function
_ZNK2ck6detail7applierIiJLi0ELi1ELi2ELi3ELi4ELi5ELi6ELi7EEEclIZNKS_11static_fordINS_8SequenceIJLi1ELi8EEEENS5_IJLi0ELi1EEEEEclIZZZNKS_52BlockwiseGemmXdlops_pipeline_bpreshuffle_bdequant_v3ILNS_26BlockGemmPipelineSchedulerE0ELi256ENS_9f8_fnuz_tENS_7pk_i4_tESC_fNS_16TensorDescriptorINS_5TupleIJNS_5EmbedINSF_IJNS_17integral_constantIiLi8EEENSH_IiLi256EEENSH_IiLi16EEEEEENSF_IJSK_NSH_IiLi128EEENSH_IiLi1EEEEEELb0EEENS_3XorINSF_IJSJ_SI_EEELb1EEENS_11PassThroughISK_EENS_7UnMergeINSF_IJSI_SN_EEELb0EEENST_ISJ_EESU_NST_ISI_EENS_21Merge_v3_division_modINSF_IJSJ_SN_EEEEESU_EEENSF_IJNS5_IJLi0EEEENS5_IJLi2ELi1EEEENS5_IJLi3EEEENS5_IJLi5EEEENS5_IJLi4EEEENS5_IJLi6EEEENS5_IJLi7EEEENS5_IJLi9ELi8EEEENS5_IJLi10EEEEEEENSF_IJNS5_IJLi1ELi2ELi3EEEENS5_IJLi4ELi5EEEES19_NS5_IJLi7ELi8EEEENS5_IJLi9EEEES1C_NS5_IJLi11EEEENS5_IJLi12EEEENS5_IJLi13EEEEEEENS5_IJLi11ELi12ELi13EEEENSH_IlLl32768EEEEENSE_INSF_IJNSV_INSF_IJSI_SN_SN_NSH_IiLi32EEEEEELb0EEEEEENSF_IJS14_EEENSF_IJNS5_IJLi1ELi2ELi3ELi4EEEEEEES1U_NSH_IlLl256EEEEENSE_INSF_IJSP_SS_SU_SX_SY_SU_SZ_S12_SU_NS10_INSF_IJSI_SK_EEEEENSV_INSF_IJSI_NSH_IiLi2EEESK_EEELb0EEEEEENSF_IJS14_S15_S16_S17_S18_S19_S1A_S1B_S1C_NS5_IJLi11ELi13EEEES1J_EEENSF_IJS1E_S1F_S19_S1G_S1H_S1C_S1I_S1J_S1K_NS5_IJLi14EEEENS5_IJLi15ELi16ELi17EEEEEEENS5_IJLi15ELi16ELi17ELi14EEEES1N_EENSE_INSF_IJS1R_NS10_ISW_EES22_EEENSF_IJS14_NS5_IJLi1ELi3EEEENS5_IJLi2EEEEEEENSF_IJS1U_S17_NS5_IJLi6ELi7ELi8EEEEEEENS5_IJLi6ELi7ELi8ELi5EEEES1W_EELi16ELi32ELi256ELi256ELi128ELi16ELi16ELi8ELi8ELi32ELb0EE3RunILb1ELNS_10TailNumberE1ENSE_INSF_IJNSG_INSF_IJiiEEENSF_IJiSN_EEELb0EEENSV_IS2N_Lb0EEENST_IiEEEEENSF_IJS14_S2E_NS5_IJLi1EEEEEEENSF_IJNS5_IJLi1ELi2EEEENS5_IJLi3ELi4EEEES17_EEENS5_IJLi3ELi5ELi4EEEElEES1O_NS_35ThreadGroupTensorSliceTransfer_v4r1INS_15ThisThreadBlockILi256EEENS_16tensor_operation12element_wise11PassThroughES35_LNS_25InMemoryDataOperationEnumE0ENS5_IJLi8ELi256ELi16EEEENS5_IJLi8ELi32ELi1EEEENS5_IJLi1ELi0ELi2EEEESC_SC_RKS2Z_KS1O_S39_NS5_IJLi0ELi1ELi2EEEELi2ELi2ELi16ELi16ELi1ELi1ELb0ELb1ELi2EiEENS_13DynamicBufferILNS_16AddressSpaceEnumE1EKSC_lLb1ELNS_22AmdBufferCoherenceEnumE0EiEENSF_IJNS3F_ILS3G_2ESC_S1N_Lb1ELS3I_0EiEES3K_EEENSF_IJiiiEEENSE_INSF_IJNSG_INSF_IJiiiiEEENSF_IJiiiSN_EEELb0EEEEEES1T_S1V_S1U_lEENS_32ThreadwiseTensorSliceTransfer_v2ISD_SD_RKS3R_KS1X_NS5_IJLi8ELi1ELi1ELi32EEEENS5_IJLi1ELi2ELi0ELi3EEEELi3ELi32ELi0ELb1ELb0ELb0EEENS3F_ILS3G_1EKSD_lLb1ELS3I_0EiEENSF_IJNS_12StaticBufferILS3G_4ESD_Li256ELb1EEES42_EEES3N_NS_25StaticBufferTupleOfVectorILS3G_4EfLi64ELi4ELb1ELb0EEEEEvRKT1_RKT2_RT3_RKT4_RT5_RKT6_RKT7_RT8_RKT9_RT10_RKT11_RT12_iENKUlT_T0_E_clISN_NSH_IiLi0EEEEEDaS51_S52_ENKUlS51_E_clINSH_IiLi4EEEEEDaS51_EUlS51_E_EEvS51_EUlS51_E_EEvS51_: ; @_ZNK2ck6detail7applierIiJLi0ELi1ELi2ELi3ELi4ELi5ELi6ELi7EEEclIZNKS_11static_fordINS_8SequenceIJLi1ELi8EEEENS5_IJLi0ELi1EEEEEclIZZZNKS_52BlockwiseGemmXdlops_pipeline_bpreshuffle_bdequant_v3ILNS_26BlockGemmPipelineSchedulerE0ELi256ENS_9f8_fnuz_tENS_7pk_i4_tESC_fNS_16TensorDescriptorINS_5TupleIJNS_5EmbedINSF_IJNS_17integral_constantIiLi8EEENSH_IiLi256EEENSH_IiLi16EEEEEENSF_IJSK_NSH_IiLi128EEENSH_IiLi1EEEEEELb0EEENS_3XorINSF_IJSJ_SI_EEELb1EEENS_11PassThroughISK_EENS_7UnMergeINSF_IJSI_SN_EEELb0EEENST_ISJ_EESU_NST_ISI_EENS_21Merge_v3_division_modINSF_IJSJ_SN_EEEEESU_EEENSF_IJNS5_IJLi0EEEENS5_IJLi2ELi1EEEENS5_IJLi3EEEENS5_IJLi5EEEENS5_IJLi4EEEENS5_IJLi6EEEENS5_IJLi7EEEENS5_IJLi9ELi8EEEENS5_IJLi10EEEEEEENSF_IJNS5_IJLi1ELi2ELi3EEEENS5_IJLi4ELi5EEEES19_NS5_IJLi7ELi8EEEENS5_IJLi9EEEES1C_NS5_IJLi11EEEENS5_IJLi12EEEENS5_IJLi13EEEEEEENS5_IJLi11ELi12ELi13EEEENSH_IlLl32768EEEEENSE_INSF_IJNSV_INSF_IJSI_SN_SN_NSH_IiLi32EEEEEELb0EEEEEENSF_IJS14_EEENSF_IJNS5_IJLi1ELi2ELi3ELi4EEEEEEES1U_NSH_IlLl256EEEEENSE_INSF_IJSP_SS_SU_SX_SY_SU_SZ_S12_SU_NS10_INSF_IJSI_SK_EEEEENSV_INSF_IJSI_NSH_IiLi2EEESK_EEELb0EEEEEENSF_IJS14_S15_S16_S17_S18_S19_S1A_S1B_S1C_NS5_IJLi11ELi13EEEES1J_EEENSF_IJS1E_S1F_S19_S1G_S1H_S1C_S1I_S1J_S1K_NS5_IJLi14EEEENS5_IJLi15ELi16ELi17EEEEEEENS5_IJLi15ELi16ELi17ELi14EEEES1N_EENSE_INSF_IJS1R_NS10_ISW_EES22_EEENSF_IJS14_NS5_IJLi1ELi3EEEENS5_IJLi2EEEEEEENSF_IJS1U_S17_NS5_IJLi6ELi7ELi8EEEEEEENS5_IJLi6ELi7ELi8ELi5EEEES1W_EELi16ELi32ELi256ELi256ELi128ELi16ELi16ELi8ELi8ELi32ELb0EE3RunILb1ELNS_10TailNumberE1ENSE_INSF_IJNSG_INSF_IJiiEEENSF_IJiSN_EEELb0EEENSV_IS2N_Lb0EEENST_IiEEEEENSF_IJS14_S2E_NS5_IJLi1EEEEEEENSF_IJNS5_IJLi1ELi2EEEENS5_IJLi3ELi4EEEES17_EEENS5_IJLi3ELi5ELi4EEEElEES1O_NS_35ThreadGroupTensorSliceTransfer_v4r1INS_15ThisThreadBlockILi256EEENS_16tensor_operation12element_wise11PassThroughES35_LNS_25InMemoryDataOperationEnumE0ENS5_IJLi8ELi256ELi16EEEENS5_IJLi8ELi32ELi1EEEENS5_IJLi1ELi0ELi2EEEESC_SC_RKS2Z_KS1O_S39_NS5_IJLi0ELi1ELi2EEEELi2ELi2ELi16ELi16ELi1ELi1ELb0ELb1ELi2EiEENS_13DynamicBufferILNS_16AddressSpaceEnumE1EKSC_lLb1ELNS_22AmdBufferCoherenceEnumE0EiEENSF_IJNS3F_ILS3G_2ESC_S1N_Lb1ELS3I_0EiEES3K_EEENSF_IJiiiEEENSE_INSF_IJNSG_INSF_IJiiiiEEENSF_IJiiiSN_EEELb0EEEEEES1T_S1V_S1U_lEENS_32ThreadwiseTensorSliceTransfer_v2ISD_SD_RKS3R_KS1X_NS5_IJLi8ELi1ELi1ELi32EEEENS5_IJLi1ELi2ELi0ELi3EEEELi3ELi32ELi0ELb1ELb0ELb0EEENS3F_ILS3G_1EKSD_lLb1ELS3I_0EiEENSF_IJNS_12StaticBufferILS3G_4ESD_Li256ELb1EEES42_EEES3N_NS_25StaticBufferTupleOfVectorILS3G_4EfLi64ELi4ELb1ELb0EEEEEvRKT1_RKT2_RT3_RKT4_RT5_RKT6_RKT7_RT8_RKT9_RT10_RKT11_RT12_iENKUlT_T0_E_clISN_NSH_IiLi0EEEEEDaS51_S52_ENKUlS51_E_clINSH_IiLi4EEEEEDaS51_EUlS51_E_EEvS51_EUlS51_E_EEvS51_
; %bb.0:
	s_waitcnt vmcnt(0) expcnt(0) lgkmcnt(0)
	flat_load_dwordx4 v[20:23], v[0:1] offset:16
	flat_load_dwordx2 v[18:19], v[0:1] offset:32
	s_movk_i32 s4, 0x7f
                                        ; implicit-def: $sgpr10
	s_waitcnt vmcnt(0) lgkmcnt(0)
	flat_load_dwordx4 v[14:17], v[20:21]
	flat_load_dwordx4 v[6:9], v[20:21] offset:16
	flat_load_dwordx4 v[10:13], v[22:23] offset:256
	;; [unrolled: 1-line block ×3, first 2 shown]
	s_waitcnt vmcnt(0) lgkmcnt(0)
	v_cmp_gt_i16_sdwa s[6:7], v14, s4 src0_sel:BYTE_0 src1_sel:DWORD
	s_mov_b64 s[4:5], 0
	s_and_saveexec_b64 s[8:9], s[6:7]
	s_xor_b64 s[6:7], exec, s[8:9]
	s_cbranch_execnz .LBB40_2049
; %bb.1:
	s_or_saveexec_b64 s[6:7], s[6:7]
	v_mov_b32_e32 v20, s10
	s_xor_b64 exec, exec, s[6:7]
	s_cbranch_execnz .LBB40_2052
.LBB40_2:
	s_or_b64 exec, exec, s[6:7]
	s_and_saveexec_b64 s[6:7], s[4:5]
	s_cbranch_execz .LBB40_4
.LBB40_3:
	v_and_b32_e32 v20, 7, v14
	v_ffbh_u32_e32 v22, v20
	v_min_u32_e32 v22, 32, v22
	v_lshrrev_b16_e32 v21, 3, v14
	v_subrev_u32_e32 v23, 28, v22
	v_and_b32_e32 v21, 15, v21
	v_lshlrev_b32_e32 v23, v23, v14
	v_sub_u32_e32 v22, 29, v22
	v_and_b32_e32 v23, 7, v23
	v_cmp_eq_u16_e32 vcc, 0, v21
	v_cndmask_b32_e32 v20, v20, v23, vcc
	v_cndmask_b32_e32 v21, v21, v22, vcc
	v_lshlrev_b32_e32 v22, 24, v14
	v_mov_b32_e32 v23, 0x3b800000
	v_lshlrev_b32_e32 v20, 20, v20
	v_and_b32_e32 v22, 0x80000000, v22
	v_lshl_add_u32 v21, v21, 23, v23
	v_or3_b32 v20, v22, v21, v20
.LBB40_4:
	s_or_b64 exec, exec, s[6:7]
	s_movk_i32 s4, 0x7f
	v_cmp_gt_i16_sdwa s[6:7], v10, s4 src0_sel:BYTE_0 src1_sel:DWORD
	s_mov_b64 s[4:5], 0
                                        ; implicit-def: $sgpr10
	s_and_saveexec_b64 s[8:9], s[6:7]
	s_xor_b64 s[6:7], exec, s[8:9]
	s_cbranch_execnz .LBB40_2053
; %bb.5:
	s_or_saveexec_b64 s[6:7], s[6:7]
	v_mov_b32_e32 v21, s10
	s_xor_b64 exec, exec, s[6:7]
	s_cbranch_execnz .LBB40_2056
.LBB40_6:
	s_or_b64 exec, exec, s[6:7]
	s_and_saveexec_b64 s[6:7], s[4:5]
	s_cbranch_execz .LBB40_8
.LBB40_7:
	v_and_b32_e32 v21, 7, v10
	v_ffbh_u32_e32 v23, v21
	v_min_u32_e32 v23, 32, v23
	v_lshrrev_b16_e32 v22, 3, v10
	v_subrev_u32_e32 v24, 28, v23
	v_and_b32_e32 v22, 15, v22
	v_lshlrev_b32_e32 v24, v24, v10
	v_sub_u32_e32 v23, 29, v23
	v_and_b32_e32 v24, 7, v24
	v_cmp_eq_u16_e32 vcc, 0, v22
	v_cndmask_b32_e32 v21, v21, v24, vcc
	v_cndmask_b32_e32 v22, v22, v23, vcc
	v_lshlrev_b32_e32 v23, 24, v10
	v_mov_b32_e32 v24, 0x3b800000
	v_lshlrev_b32_e32 v21, 20, v21
	v_and_b32_e32 v23, 0x80000000, v23
	v_lshl_add_u32 v22, v22, 23, v24
	v_or3_b32 v21, v23, v22, v21
.LBB40_8:
	s_or_b64 exec, exec, s[6:7]
	flat_load_dwordx4 a[0:3], v[18:19] offset:512
	s_movk_i32 s4, 0x7f
                                        ; implicit-def: $sgpr10
	s_waitcnt vmcnt(0) lgkmcnt(0)
	v_mfma_f32_16x16x4f32 a[0:3], v20, v21, a[0:3]
	v_lshrrev_b32_e32 v21, 8, v14
	v_cmp_gt_i16_sdwa s[6:7], v21, s4 src0_sel:BYTE_0 src1_sel:DWORD
	s_mov_b64 s[4:5], 0
	s_and_saveexec_b64 s[8:9], s[6:7]
	s_xor_b64 s[6:7], exec, s[8:9]
	s_cbranch_execnz .LBB40_2057
; %bb.9:
	s_or_saveexec_b64 s[6:7], s[6:7]
	v_mov_b32_e32 v20, s10
	s_xor_b64 exec, exec, s[6:7]
	s_cbranch_execnz .LBB40_2060
.LBB40_10:
	s_or_b64 exec, exec, s[6:7]
	s_and_saveexec_b64 s[6:7], s[4:5]
	s_cbranch_execz .LBB40_12
.LBB40_11:
	v_bfe_u32 v20, v14, 8, 3
	v_ffbh_u32_e32 v23, v20
	v_min_u32_e32 v23, 32, v23
	v_lshrrev_b16_e32 v22, 3, v21
	v_subrev_u32_e32 v24, 28, v23
	v_and_b32_e32 v22, 15, v22
	v_lshlrev_b32_e32 v21, v24, v21
	v_sub_u32_e32 v23, 29, v23
	v_and_b32_e32 v21, 7, v21
	v_cmp_eq_u16_e32 vcc, 0, v22
	v_cndmask_b32_e32 v20, v20, v21, vcc
	v_cndmask_b32_e32 v21, v22, v23, vcc
	v_lshlrev_b32_e32 v22, 16, v14
	v_mov_b32_e32 v23, 0x3b800000
	v_lshlrev_b32_e32 v20, 20, v20
	v_and_b32_e32 v22, 0x80000000, v22
	v_lshl_add_u32 v21, v21, 23, v23
	v_or3_b32 v20, v22, v21, v20
.LBB40_12:
	s_or_b64 exec, exec, s[6:7]
	v_lshrrev_b32_e32 v21, 8, v10
	s_movk_i32 s4, 0x7f
	v_cmp_gt_i16_sdwa s[6:7], v21, s4 src0_sel:BYTE_0 src1_sel:DWORD
	s_mov_b64 s[4:5], 0
                                        ; implicit-def: $sgpr10
	s_and_saveexec_b64 s[8:9], s[6:7]
	s_xor_b64 s[6:7], exec, s[8:9]
	s_cbranch_execnz .LBB40_2061
; %bb.13:
	s_or_saveexec_b64 s[6:7], s[6:7]
	v_mov_b32_e32 v22, s10
	s_xor_b64 exec, exec, s[6:7]
	s_cbranch_execnz .LBB40_2064
.LBB40_14:
	s_or_b64 exec, exec, s[6:7]
	s_and_saveexec_b64 s[6:7], s[4:5]
	s_cbranch_execz .LBB40_16
.LBB40_15:
	v_bfe_u32 v22, v10, 8, 3
	v_ffbh_u32_e32 v24, v22
	v_min_u32_e32 v24, 32, v24
	v_lshrrev_b16_e32 v23, 3, v21
	v_subrev_u32_e32 v25, 28, v24
	v_and_b32_e32 v23, 15, v23
	v_lshlrev_b32_e32 v21, v25, v21
	v_sub_u32_e32 v24, 29, v24
	v_and_b32_e32 v21, 7, v21
	v_cmp_eq_u16_e32 vcc, 0, v23
	v_cndmask_b32_e32 v21, v22, v21, vcc
	v_cndmask_b32_e32 v22, v23, v24, vcc
	v_lshlrev_b32_e32 v23, 16, v10
	v_mov_b32_e32 v24, 0x3b800000
	v_lshlrev_b32_e32 v21, 20, v21
	v_and_b32_e32 v23, 0x80000000, v23
	v_lshl_add_u32 v22, v22, 23, v24
	v_or3_b32 v22, v23, v22, v21
.LBB40_16:
	s_or_b64 exec, exec, s[6:7]
	s_nop 0
	v_mfma_f32_16x16x4f32 a[0:3], v20, v22, a[0:3]
	s_movk_i32 s4, 0xff
	v_and_b32_sdwa v21, v14, s4 dst_sel:DWORD dst_unused:UNUSED_PAD src0_sel:WORD_1 src1_sel:DWORD
	s_movk_i32 s4, 0x7f
	v_cmp_lt_i16_e32 vcc, s4, v21
	s_mov_b64 s[4:5], 0
                                        ; implicit-def: $sgpr10
	s_and_saveexec_b64 s[6:7], vcc
	s_xor_b64 s[6:7], exec, s[6:7]
	s_cbranch_execnz .LBB40_2065
; %bb.17:
	s_or_saveexec_b64 s[6:7], s[6:7]
	v_mov_b32_e32 v20, s10
	s_xor_b64 exec, exec, s[6:7]
	s_cbranch_execnz .LBB40_2068
.LBB40_18:
	s_or_b64 exec, exec, s[6:7]
	s_and_saveexec_b64 s[6:7], s[4:5]
	s_cbranch_execz .LBB40_20
.LBB40_19:
	v_bfe_u32 v20, v14, 16, 3
	v_ffbh_u32_e32 v23, v20
	v_min_u32_e32 v23, 32, v23
	v_lshrrev_b32_e32 v21, 19, v14
	v_subrev_u32_e32 v24, 28, v23
	v_and_b32_e32 v21, 15, v21
	v_lshlrev_b32_sdwa v24, v24, v14 dst_sel:DWORD dst_unused:UNUSED_PAD src0_sel:DWORD src1_sel:WORD_1
	v_bfe_u32 v22, v14, 19, 4
	v_sub_u32_e32 v23, 29, v23
	v_and_b32_e32 v24, 7, v24
	v_cmp_eq_u16_e32 vcc, 0, v21
	v_cndmask_b32_e32 v20, v20, v24, vcc
	v_cndmask_b32_e32 v21, v22, v23, vcc
	v_lshlrev_b32_e32 v22, 8, v14
	v_mov_b32_e32 v23, 0x3b800000
	v_lshlrev_b32_e32 v20, 20, v20
	v_and_b32_e32 v22, 0x80000000, v22
	v_lshl_add_u32 v21, v21, 23, v23
	v_or3_b32 v20, v22, v21, v20
.LBB40_20:
	s_or_b64 exec, exec, s[6:7]
	s_movk_i32 s4, 0xff
	v_and_b32_sdwa v21, v10, s4 dst_sel:DWORD dst_unused:UNUSED_PAD src0_sel:WORD_1 src1_sel:DWORD
	s_movk_i32 s4, 0x7f
	v_cmp_lt_i16_e32 vcc, s4, v21
	s_mov_b64 s[4:5], 0
                                        ; implicit-def: $sgpr10
	s_and_saveexec_b64 s[6:7], vcc
	s_xor_b64 s[6:7], exec, s[6:7]
	s_cbranch_execnz .LBB40_2069
; %bb.21:
	s_or_saveexec_b64 s[6:7], s[6:7]
	v_mov_b32_e32 v22, s10
	s_xor_b64 exec, exec, s[6:7]
	s_cbranch_execnz .LBB40_2072
.LBB40_22:
	s_or_b64 exec, exec, s[6:7]
	s_and_saveexec_b64 s[6:7], s[4:5]
	s_cbranch_execz .LBB40_24
.LBB40_23:
	v_bfe_u32 v21, v10, 16, 3
	v_ffbh_u32_e32 v24, v21
	v_min_u32_e32 v24, 32, v24
	v_lshrrev_b32_e32 v22, 19, v10
	v_subrev_u32_e32 v25, 28, v24
	v_and_b32_e32 v22, 15, v22
	v_lshlrev_b32_sdwa v25, v25, v10 dst_sel:DWORD dst_unused:UNUSED_PAD src0_sel:DWORD src1_sel:WORD_1
	v_bfe_u32 v23, v10, 19, 4
	v_sub_u32_e32 v24, 29, v24
	v_and_b32_e32 v25, 7, v25
	v_cmp_eq_u16_e32 vcc, 0, v22
	v_cndmask_b32_e32 v21, v21, v25, vcc
	v_cndmask_b32_e32 v22, v23, v24, vcc
	v_lshlrev_b32_e32 v23, 8, v10
	v_mov_b32_e32 v24, 0x3b800000
	v_lshlrev_b32_e32 v21, 20, v21
	v_and_b32_e32 v23, 0x80000000, v23
	v_lshl_add_u32 v22, v22, 23, v24
	v_or3_b32 v22, v23, v22, v21
.LBB40_24:
	s_or_b64 exec, exec, s[6:7]
	s_nop 0
	v_mfma_f32_16x16x4f32 a[0:3], v20, v22, a[0:3]
	s_movk_i32 s4, 0x7f
	v_cmp_gt_i16_sdwa s[6:7], v14, s4 src0_sel:BYTE_3 src1_sel:DWORD
	s_mov_b64 s[4:5], 0
                                        ; implicit-def: $sgpr10
	s_and_saveexec_b64 s[8:9], s[6:7]
	s_xor_b64 s[6:7], exec, s[8:9]
	s_cbranch_execnz .LBB40_2073
; %bb.25:
	s_or_saveexec_b64 s[6:7], s[6:7]
	v_mov_b32_e32 v20, s10
	s_xor_b64 exec, exec, s[6:7]
	s_cbranch_execnz .LBB40_2076
.LBB40_26:
	s_or_b64 exec, exec, s[6:7]
	s_and_saveexec_b64 s[6:7], s[4:5]
	s_cbranch_execz .LBB40_28
.LBB40_27:
	v_bfe_u32 v20, v14, 24, 3
	v_ffbh_u32_e32 v24, v20
	v_min_u32_e32 v24, 32, v24
	v_lshrrev_b32_e32 v22, 27, v14
	v_subrev_u32_e32 v25, 28, v24
	v_and_b32_e32 v21, 0x80000000, v14
	v_and_b32_e32 v22, 15, v22
	v_bfe_u32 v23, v14, 27, 4
	v_lshlrev_b32_sdwa v14, v25, v14 dst_sel:DWORD dst_unused:UNUSED_PAD src0_sel:DWORD src1_sel:BYTE_3
	v_sub_u32_e32 v24, 29, v24
	v_and_b32_e32 v14, 7, v14
	v_cmp_eq_u16_e32 vcc, 0, v22
	v_cndmask_b32_e32 v14, v20, v14, vcc
	v_cndmask_b32_e32 v20, v23, v24, vcc
	v_mov_b32_e32 v22, 0x3b800000
	v_lshlrev_b32_e32 v14, 20, v14
	v_lshl_add_u32 v20, v20, 23, v22
	v_or3_b32 v20, v21, v20, v14
.LBB40_28:
	s_or_b64 exec, exec, s[6:7]
	s_movk_i32 s4, 0x7f
	v_cmp_gt_i16_sdwa s[6:7], v10, s4 src0_sel:BYTE_3 src1_sel:DWORD
	s_mov_b64 s[4:5], 0
                                        ; implicit-def: $sgpr10
	s_and_saveexec_b64 s[8:9], s[6:7]
	s_xor_b64 s[6:7], exec, s[8:9]
	s_cbranch_execnz .LBB40_2077
; %bb.29:
	s_or_saveexec_b64 s[6:7], s[6:7]
	v_mov_b32_e32 v14, s10
	s_xor_b64 exec, exec, s[6:7]
	s_cbranch_execnz .LBB40_2080
.LBB40_30:
	s_or_b64 exec, exec, s[6:7]
	s_and_saveexec_b64 s[6:7], s[4:5]
	s_cbranch_execz .LBB40_32
.LBB40_31:
	v_bfe_u32 v14, v10, 24, 3
	v_ffbh_u32_e32 v24, v14
	v_min_u32_e32 v24, 32, v24
	v_lshrrev_b32_e32 v22, 27, v10
	v_subrev_u32_e32 v25, 28, v24
	v_and_b32_e32 v21, 0x80000000, v10
	v_and_b32_e32 v22, 15, v22
	v_bfe_u32 v23, v10, 27, 4
	v_lshlrev_b32_sdwa v10, v25, v10 dst_sel:DWORD dst_unused:UNUSED_PAD src0_sel:DWORD src1_sel:BYTE_3
	v_sub_u32_e32 v24, 29, v24
	v_and_b32_e32 v10, 7, v10
	v_cmp_eq_u16_e32 vcc, 0, v22
	v_cndmask_b32_e32 v10, v14, v10, vcc
	v_cndmask_b32_e32 v14, v23, v24, vcc
	v_mov_b32_e32 v22, 0x3b800000
	v_lshlrev_b32_e32 v10, 20, v10
	v_lshl_add_u32 v14, v14, 23, v22
	v_or3_b32 v14, v21, v14, v10
.LBB40_32:
	s_or_b64 exec, exec, s[6:7]
	s_nop 0
	v_mfma_f32_16x16x4f32 a[0:3], v20, v14, a[0:3]
	s_movk_i32 s4, 0x7f
	v_cmp_gt_i16_sdwa s[6:7], v15, s4 src0_sel:BYTE_0 src1_sel:DWORD
	s_mov_b64 s[4:5], 0
                                        ; implicit-def: $sgpr10
	s_and_saveexec_b64 s[8:9], s[6:7]
	s_xor_b64 s[6:7], exec, s[8:9]
	s_cbranch_execnz .LBB40_2081
; %bb.33:
	s_or_saveexec_b64 s[6:7], s[6:7]
	v_mov_b32_e32 v10, s10
	s_xor_b64 exec, exec, s[6:7]
	s_cbranch_execnz .LBB40_2084
.LBB40_34:
	s_or_b64 exec, exec, s[6:7]
	s_and_saveexec_b64 s[6:7], s[4:5]
	s_cbranch_execz .LBB40_36
.LBB40_35:
	v_and_b32_e32 v10, 7, v15
	v_ffbh_u32_e32 v20, v10
	v_min_u32_e32 v20, 32, v20
	v_lshrrev_b16_e32 v14, 3, v15
	v_subrev_u32_e32 v21, 28, v20
	v_and_b32_e32 v14, 15, v14
	v_lshlrev_b32_e32 v21, v21, v15
	v_sub_u32_e32 v20, 29, v20
	v_and_b32_e32 v21, 7, v21
	v_cmp_eq_u16_e32 vcc, 0, v14
	v_cndmask_b32_e32 v10, v10, v21, vcc
	v_cndmask_b32_e32 v14, v14, v20, vcc
	v_lshlrev_b32_e32 v20, 24, v15
	v_mov_b32_e32 v21, 0x3b800000
	v_lshlrev_b32_e32 v10, 20, v10
	v_and_b32_e32 v20, 0x80000000, v20
	v_lshl_add_u32 v14, v14, 23, v21
	v_or3_b32 v10, v20, v14, v10
.LBB40_36:
	s_or_b64 exec, exec, s[6:7]
	s_movk_i32 s4, 0x7f
	v_cmp_gt_i16_sdwa s[6:7], v11, s4 src0_sel:BYTE_0 src1_sel:DWORD
	s_mov_b64 s[4:5], 0
                                        ; implicit-def: $sgpr10
	s_and_saveexec_b64 s[8:9], s[6:7]
	s_xor_b64 s[6:7], exec, s[8:9]
	s_cbranch_execnz .LBB40_2085
; %bb.37:
	s_or_saveexec_b64 s[6:7], s[6:7]
	v_mov_b32_e32 v14, s10
	s_xor_b64 exec, exec, s[6:7]
	s_cbranch_execnz .LBB40_2088
.LBB40_38:
	s_or_b64 exec, exec, s[6:7]
	s_and_saveexec_b64 s[6:7], s[4:5]
	s_cbranch_execz .LBB40_40
.LBB40_39:
	v_and_b32_e32 v14, 7, v11
	v_ffbh_u32_e32 v21, v14
	v_min_u32_e32 v21, 32, v21
	v_lshrrev_b16_e32 v20, 3, v11
	v_subrev_u32_e32 v22, 28, v21
	v_and_b32_e32 v20, 15, v20
	v_lshlrev_b32_e32 v22, v22, v11
	v_sub_u32_e32 v21, 29, v21
	v_and_b32_e32 v22, 7, v22
	v_cmp_eq_u16_e32 vcc, 0, v20
	v_cndmask_b32_e32 v14, v14, v22, vcc
	v_cndmask_b32_e32 v20, v20, v21, vcc
	v_lshlrev_b32_e32 v21, 24, v11
	v_mov_b32_e32 v22, 0x3b800000
	v_lshlrev_b32_e32 v14, 20, v14
	v_and_b32_e32 v21, 0x80000000, v21
	v_lshl_add_u32 v20, v20, 23, v22
	v_or3_b32 v14, v21, v20, v14
.LBB40_40:
	s_or_b64 exec, exec, s[6:7]
	s_nop 0
	v_mfma_f32_16x16x4f32 a[0:3], v10, v14, a[0:3]
	v_lshrrev_b32_e32 v14, 8, v15
	s_movk_i32 s4, 0x7f
	v_cmp_gt_i16_sdwa s[6:7], v14, s4 src0_sel:BYTE_0 src1_sel:DWORD
	s_mov_b64 s[4:5], 0
                                        ; implicit-def: $sgpr10
	s_and_saveexec_b64 s[8:9], s[6:7]
	s_xor_b64 s[6:7], exec, s[8:9]
	s_cbranch_execnz .LBB40_2089
; %bb.41:
	s_or_saveexec_b64 s[6:7], s[6:7]
	v_mov_b32_e32 v10, s10
	s_xor_b64 exec, exec, s[6:7]
	s_cbranch_execnz .LBB40_2092
.LBB40_42:
	s_or_b64 exec, exec, s[6:7]
	s_and_saveexec_b64 s[6:7], s[4:5]
	s_cbranch_execz .LBB40_44
.LBB40_43:
	v_bfe_u32 v10, v15, 8, 3
	v_ffbh_u32_e32 v21, v10
	v_min_u32_e32 v21, 32, v21
	v_lshrrev_b16_e32 v20, 3, v14
	v_subrev_u32_e32 v22, 28, v21
	v_and_b32_e32 v20, 15, v20
	v_lshlrev_b32_e32 v14, v22, v14
	v_sub_u32_e32 v21, 29, v21
	v_and_b32_e32 v14, 7, v14
	v_cmp_eq_u16_e32 vcc, 0, v20
	v_cndmask_b32_e32 v10, v10, v14, vcc
	v_cndmask_b32_e32 v14, v20, v21, vcc
	v_lshlrev_b32_e32 v20, 16, v15
	v_mov_b32_e32 v21, 0x3b800000
	v_lshlrev_b32_e32 v10, 20, v10
	v_and_b32_e32 v20, 0x80000000, v20
	v_lshl_add_u32 v14, v14, 23, v21
	v_or3_b32 v10, v20, v14, v10
.LBB40_44:
	s_or_b64 exec, exec, s[6:7]
	v_lshrrev_b32_e32 v14, 8, v11
	s_movk_i32 s4, 0x7f
	v_cmp_gt_i16_sdwa s[6:7], v14, s4 src0_sel:BYTE_0 src1_sel:DWORD
	s_mov_b64 s[4:5], 0
                                        ; implicit-def: $sgpr10
	s_and_saveexec_b64 s[8:9], s[6:7]
	s_xor_b64 s[6:7], exec, s[8:9]
	s_cbranch_execnz .LBB40_2093
; %bb.45:
	s_or_saveexec_b64 s[6:7], s[6:7]
	v_mov_b32_e32 v20, s10
	s_xor_b64 exec, exec, s[6:7]
	s_cbranch_execnz .LBB40_2096
.LBB40_46:
	s_or_b64 exec, exec, s[6:7]
	s_and_saveexec_b64 s[6:7], s[4:5]
	s_cbranch_execz .LBB40_48
.LBB40_47:
	v_bfe_u32 v20, v11, 8, 3
	v_ffbh_u32_e32 v22, v20
	v_min_u32_e32 v22, 32, v22
	v_lshrrev_b16_e32 v21, 3, v14
	v_subrev_u32_e32 v23, 28, v22
	v_and_b32_e32 v21, 15, v21
	v_lshlrev_b32_e32 v14, v23, v14
	v_sub_u32_e32 v22, 29, v22
	v_and_b32_e32 v14, 7, v14
	v_cmp_eq_u16_e32 vcc, 0, v21
	v_cndmask_b32_e32 v14, v20, v14, vcc
	v_cndmask_b32_e32 v20, v21, v22, vcc
	v_lshlrev_b32_e32 v21, 16, v11
	v_mov_b32_e32 v22, 0x3b800000
	v_lshlrev_b32_e32 v14, 20, v14
	v_and_b32_e32 v21, 0x80000000, v21
	v_lshl_add_u32 v20, v20, 23, v22
	v_or3_b32 v20, v21, v20, v14
.LBB40_48:
	s_or_b64 exec, exec, s[6:7]
	s_nop 0
	v_mfma_f32_16x16x4f32 a[0:3], v10, v20, a[0:3]
	s_movk_i32 s4, 0xff
	v_and_b32_sdwa v14, v15, s4 dst_sel:DWORD dst_unused:UNUSED_PAD src0_sel:WORD_1 src1_sel:DWORD
	s_movk_i32 s4, 0x7f
	v_cmp_lt_i16_e32 vcc, s4, v14
	s_mov_b64 s[4:5], 0
                                        ; implicit-def: $sgpr10
	s_and_saveexec_b64 s[6:7], vcc
	s_xor_b64 s[6:7], exec, s[6:7]
	s_cbranch_execnz .LBB40_2097
; %bb.49:
	s_or_saveexec_b64 s[6:7], s[6:7]
	v_mov_b32_e32 v10, s10
	s_xor_b64 exec, exec, s[6:7]
	s_cbranch_execnz .LBB40_2100
.LBB40_50:
	s_or_b64 exec, exec, s[6:7]
	s_and_saveexec_b64 s[6:7], s[4:5]
	s_cbranch_execz .LBB40_52
.LBB40_51:
	v_bfe_u32 v10, v15, 16, 3
	v_ffbh_u32_e32 v21, v10
	v_min_u32_e32 v21, 32, v21
	v_lshrrev_b32_e32 v14, 19, v15
	v_subrev_u32_e32 v22, 28, v21
	v_and_b32_e32 v14, 15, v14
	v_lshlrev_b32_sdwa v22, v22, v15 dst_sel:DWORD dst_unused:UNUSED_PAD src0_sel:DWORD src1_sel:WORD_1
	v_bfe_u32 v20, v15, 19, 4
	v_sub_u32_e32 v21, 29, v21
	v_and_b32_e32 v22, 7, v22
	v_cmp_eq_u16_e32 vcc, 0, v14
	v_cndmask_b32_e32 v10, v10, v22, vcc
	v_cndmask_b32_e32 v14, v20, v21, vcc
	v_lshlrev_b32_e32 v20, 8, v15
	v_mov_b32_e32 v21, 0x3b800000
	v_lshlrev_b32_e32 v10, 20, v10
	v_and_b32_e32 v20, 0x80000000, v20
	v_lshl_add_u32 v14, v14, 23, v21
	v_or3_b32 v10, v20, v14, v10
.LBB40_52:
	s_or_b64 exec, exec, s[6:7]
	s_movk_i32 s4, 0xff
	v_and_b32_sdwa v14, v11, s4 dst_sel:DWORD dst_unused:UNUSED_PAD src0_sel:WORD_1 src1_sel:DWORD
	s_movk_i32 s4, 0x7f
	v_cmp_lt_i16_e32 vcc, s4, v14
	s_mov_b64 s[4:5], 0
                                        ; implicit-def: $sgpr10
	s_and_saveexec_b64 s[6:7], vcc
	s_xor_b64 s[6:7], exec, s[6:7]
	s_cbranch_execnz .LBB40_2101
; %bb.53:
	s_or_saveexec_b64 s[6:7], s[6:7]
	v_mov_b32_e32 v20, s10
	s_xor_b64 exec, exec, s[6:7]
	s_cbranch_execnz .LBB40_2104
.LBB40_54:
	s_or_b64 exec, exec, s[6:7]
	s_and_saveexec_b64 s[6:7], s[4:5]
	s_cbranch_execz .LBB40_56
.LBB40_55:
	v_bfe_u32 v14, v11, 16, 3
	v_ffbh_u32_e32 v22, v14
	v_min_u32_e32 v22, 32, v22
	v_lshrrev_b32_e32 v20, 19, v11
	v_subrev_u32_e32 v23, 28, v22
	v_and_b32_e32 v20, 15, v20
	v_lshlrev_b32_sdwa v23, v23, v11 dst_sel:DWORD dst_unused:UNUSED_PAD src0_sel:DWORD src1_sel:WORD_1
	v_bfe_u32 v21, v11, 19, 4
	v_sub_u32_e32 v22, 29, v22
	v_and_b32_e32 v23, 7, v23
	v_cmp_eq_u16_e32 vcc, 0, v20
	v_cndmask_b32_e32 v14, v14, v23, vcc
	v_cndmask_b32_e32 v20, v21, v22, vcc
	v_lshlrev_b32_e32 v21, 8, v11
	v_mov_b32_e32 v22, 0x3b800000
	v_lshlrev_b32_e32 v14, 20, v14
	v_and_b32_e32 v21, 0x80000000, v21
	v_lshl_add_u32 v20, v20, 23, v22
	v_or3_b32 v20, v21, v20, v14
.LBB40_56:
	s_or_b64 exec, exec, s[6:7]
	s_nop 0
	v_mfma_f32_16x16x4f32 a[0:3], v10, v20, a[0:3]
	s_movk_i32 s4, 0x7f
	v_cmp_gt_i16_sdwa s[6:7], v15, s4 src0_sel:BYTE_3 src1_sel:DWORD
	s_mov_b64 s[4:5], 0
                                        ; implicit-def: $sgpr10
	s_and_saveexec_b64 s[8:9], s[6:7]
	s_xor_b64 s[6:7], exec, s[8:9]
	s_cbranch_execnz .LBB40_2105
; %bb.57:
	s_or_saveexec_b64 s[6:7], s[6:7]
	v_mov_b32_e32 v10, s10
	s_xor_b64 exec, exec, s[6:7]
	s_cbranch_execnz .LBB40_2108
.LBB40_58:
	s_or_b64 exec, exec, s[6:7]
	s_and_saveexec_b64 s[6:7], s[4:5]
	s_cbranch_execz .LBB40_60
.LBB40_59:
	v_bfe_u32 v10, v15, 24, 3
	v_ffbh_u32_e32 v22, v10
	v_min_u32_e32 v22, 32, v22
	v_lshrrev_b32_e32 v20, 27, v15
	v_subrev_u32_e32 v23, 28, v22
	v_and_b32_e32 v14, 0x80000000, v15
	v_and_b32_e32 v20, 15, v20
	v_bfe_u32 v21, v15, 27, 4
	v_lshlrev_b32_sdwa v15, v23, v15 dst_sel:DWORD dst_unused:UNUSED_PAD src0_sel:DWORD src1_sel:BYTE_3
	v_sub_u32_e32 v22, 29, v22
	v_and_b32_e32 v15, 7, v15
	v_cmp_eq_u16_e32 vcc, 0, v20
	v_cndmask_b32_e32 v10, v10, v15, vcc
	v_cndmask_b32_e32 v15, v21, v22, vcc
	v_mov_b32_e32 v20, 0x3b800000
	v_lshlrev_b32_e32 v10, 20, v10
	v_lshl_add_u32 v15, v15, 23, v20
	v_or3_b32 v10, v14, v15, v10
.LBB40_60:
	s_or_b64 exec, exec, s[6:7]
	s_movk_i32 s4, 0x7f
	v_cmp_gt_i16_sdwa s[6:7], v11, s4 src0_sel:BYTE_3 src1_sel:DWORD
	s_mov_b64 s[4:5], 0
                                        ; implicit-def: $sgpr10
	s_and_saveexec_b64 s[8:9], s[6:7]
	s_xor_b64 s[6:7], exec, s[8:9]
	s_cbranch_execnz .LBB40_2109
; %bb.61:
	s_or_saveexec_b64 s[6:7], s[6:7]
	v_mov_b32_e32 v14, s10
	s_xor_b64 exec, exec, s[6:7]
	s_cbranch_execnz .LBB40_2112
.LBB40_62:
	s_or_b64 exec, exec, s[6:7]
	s_and_saveexec_b64 s[6:7], s[4:5]
	s_cbranch_execz .LBB40_64
.LBB40_63:
	v_bfe_u32 v14, v11, 24, 3
	v_ffbh_u32_e32 v22, v14
	v_min_u32_e32 v22, 32, v22
	v_lshrrev_b32_e32 v20, 27, v11
	v_subrev_u32_e32 v23, 28, v22
	v_and_b32_e32 v15, 0x80000000, v11
	v_and_b32_e32 v20, 15, v20
	v_bfe_u32 v21, v11, 27, 4
	v_lshlrev_b32_sdwa v11, v23, v11 dst_sel:DWORD dst_unused:UNUSED_PAD src0_sel:DWORD src1_sel:BYTE_3
	v_sub_u32_e32 v22, 29, v22
	v_and_b32_e32 v11, 7, v11
	v_cmp_eq_u16_e32 vcc, 0, v20
	v_cndmask_b32_e32 v11, v14, v11, vcc
	v_cndmask_b32_e32 v14, v21, v22, vcc
	v_mov_b32_e32 v20, 0x3b800000
	v_lshlrev_b32_e32 v11, 20, v11
	v_lshl_add_u32 v14, v14, 23, v20
	v_or3_b32 v14, v15, v14, v11
.LBB40_64:
	s_or_b64 exec, exec, s[6:7]
	s_nop 0
	v_mfma_f32_16x16x4f32 a[0:3], v10, v14, a[0:3]
	s_movk_i32 s4, 0x7f
	v_cmp_gt_i16_sdwa s[6:7], v16, s4 src0_sel:BYTE_0 src1_sel:DWORD
	s_mov_b64 s[4:5], 0
                                        ; implicit-def: $sgpr10
	s_and_saveexec_b64 s[8:9], s[6:7]
	s_xor_b64 s[6:7], exec, s[8:9]
	s_cbranch_execnz .LBB40_2113
; %bb.65:
	s_or_saveexec_b64 s[6:7], s[6:7]
	v_mov_b32_e32 v10, s10
	s_xor_b64 exec, exec, s[6:7]
	s_cbranch_execnz .LBB40_2116
.LBB40_66:
	s_or_b64 exec, exec, s[6:7]
	s_and_saveexec_b64 s[6:7], s[4:5]
	s_cbranch_execz .LBB40_68
.LBB40_67:
	v_and_b32_e32 v10, 7, v16
	v_ffbh_u32_e32 v14, v10
	v_min_u32_e32 v14, 32, v14
	v_lshrrev_b16_e32 v11, 3, v16
	v_subrev_u32_e32 v15, 28, v14
	v_and_b32_e32 v11, 15, v11
	v_lshlrev_b32_e32 v15, v15, v16
	v_sub_u32_e32 v14, 29, v14
	v_and_b32_e32 v15, 7, v15
	v_cmp_eq_u16_e32 vcc, 0, v11
	v_cndmask_b32_e32 v10, v10, v15, vcc
	v_cndmask_b32_e32 v11, v11, v14, vcc
	v_lshlrev_b32_e32 v14, 24, v16
	v_mov_b32_e32 v15, 0x3b800000
	v_lshlrev_b32_e32 v10, 20, v10
	v_and_b32_e32 v14, 0x80000000, v14
	v_lshl_add_u32 v11, v11, 23, v15
	v_or3_b32 v10, v14, v11, v10
.LBB40_68:
	s_or_b64 exec, exec, s[6:7]
	s_movk_i32 s4, 0x7f
	v_cmp_gt_i16_sdwa s[6:7], v12, s4 src0_sel:BYTE_0 src1_sel:DWORD
	s_mov_b64 s[4:5], 0
                                        ; implicit-def: $sgpr10
	s_and_saveexec_b64 s[8:9], s[6:7]
	s_xor_b64 s[6:7], exec, s[8:9]
	s_cbranch_execnz .LBB40_2117
; %bb.69:
	s_or_saveexec_b64 s[6:7], s[6:7]
	v_mov_b32_e32 v11, s10
	s_xor_b64 exec, exec, s[6:7]
	s_cbranch_execnz .LBB40_2120
.LBB40_70:
	s_or_b64 exec, exec, s[6:7]
	s_and_saveexec_b64 s[6:7], s[4:5]
	s_cbranch_execz .LBB40_72
.LBB40_71:
	v_and_b32_e32 v11, 7, v12
	v_ffbh_u32_e32 v15, v11
	v_min_u32_e32 v15, 32, v15
	v_lshrrev_b16_e32 v14, 3, v12
	v_subrev_u32_e32 v20, 28, v15
	v_and_b32_e32 v14, 15, v14
	v_lshlrev_b32_e32 v20, v20, v12
	v_sub_u32_e32 v15, 29, v15
	v_and_b32_e32 v20, 7, v20
	v_cmp_eq_u16_e32 vcc, 0, v14
	v_cndmask_b32_e32 v11, v11, v20, vcc
	v_cndmask_b32_e32 v14, v14, v15, vcc
	v_lshlrev_b32_e32 v15, 24, v12
	v_mov_b32_e32 v20, 0x3b800000
	v_lshlrev_b32_e32 v11, 20, v11
	v_and_b32_e32 v15, 0x80000000, v15
	v_lshl_add_u32 v14, v14, 23, v20
	v_or3_b32 v11, v15, v14, v11
.LBB40_72:
	s_or_b64 exec, exec, s[6:7]
	s_nop 0
	v_mfma_f32_16x16x4f32 a[0:3], v10, v11, a[0:3]
	v_lshrrev_b32_e32 v11, 8, v16
	s_movk_i32 s4, 0x7f
	v_cmp_gt_i16_sdwa s[6:7], v11, s4 src0_sel:BYTE_0 src1_sel:DWORD
	s_mov_b64 s[4:5], 0
                                        ; implicit-def: $sgpr10
	s_and_saveexec_b64 s[8:9], s[6:7]
	s_xor_b64 s[6:7], exec, s[8:9]
	s_cbranch_execnz .LBB40_2121
; %bb.73:
	s_or_saveexec_b64 s[6:7], s[6:7]
	v_mov_b32_e32 v10, s10
	s_xor_b64 exec, exec, s[6:7]
	s_cbranch_execnz .LBB40_2124
.LBB40_74:
	s_or_b64 exec, exec, s[6:7]
	s_and_saveexec_b64 s[6:7], s[4:5]
	s_cbranch_execz .LBB40_76
.LBB40_75:
	v_bfe_u32 v10, v16, 8, 3
	v_ffbh_u32_e32 v15, v10
	v_min_u32_e32 v15, 32, v15
	v_lshrrev_b16_e32 v14, 3, v11
	v_subrev_u32_e32 v20, 28, v15
	v_and_b32_e32 v14, 15, v14
	v_lshlrev_b32_e32 v11, v20, v11
	v_sub_u32_e32 v15, 29, v15
	v_and_b32_e32 v11, 7, v11
	v_cmp_eq_u16_e32 vcc, 0, v14
	v_cndmask_b32_e32 v10, v10, v11, vcc
	v_cndmask_b32_e32 v11, v14, v15, vcc
	v_lshlrev_b32_e32 v14, 16, v16
	v_mov_b32_e32 v15, 0x3b800000
	v_lshlrev_b32_e32 v10, 20, v10
	v_and_b32_e32 v14, 0x80000000, v14
	v_lshl_add_u32 v11, v11, 23, v15
	v_or3_b32 v10, v14, v11, v10
.LBB40_76:
	s_or_b64 exec, exec, s[6:7]
	v_lshrrev_b32_e32 v11, 8, v12
	s_movk_i32 s4, 0x7f
	v_cmp_gt_i16_sdwa s[6:7], v11, s4 src0_sel:BYTE_0 src1_sel:DWORD
	s_mov_b64 s[4:5], 0
                                        ; implicit-def: $sgpr10
	s_and_saveexec_b64 s[8:9], s[6:7]
	s_xor_b64 s[6:7], exec, s[8:9]
	s_cbranch_execnz .LBB40_2125
; %bb.77:
	s_or_saveexec_b64 s[6:7], s[6:7]
	v_mov_b32_e32 v14, s10
	s_xor_b64 exec, exec, s[6:7]
	s_cbranch_execnz .LBB40_2128
.LBB40_78:
	s_or_b64 exec, exec, s[6:7]
	s_and_saveexec_b64 s[6:7], s[4:5]
	s_cbranch_execz .LBB40_80
.LBB40_79:
	v_bfe_u32 v14, v12, 8, 3
	v_ffbh_u32_e32 v20, v14
	v_min_u32_e32 v20, 32, v20
	v_lshrrev_b16_e32 v15, 3, v11
	v_subrev_u32_e32 v21, 28, v20
	v_and_b32_e32 v15, 15, v15
	v_lshlrev_b32_e32 v11, v21, v11
	v_sub_u32_e32 v20, 29, v20
	v_and_b32_e32 v11, 7, v11
	v_cmp_eq_u16_e32 vcc, 0, v15
	v_cndmask_b32_e32 v11, v14, v11, vcc
	v_cndmask_b32_e32 v14, v15, v20, vcc
	v_lshlrev_b32_e32 v15, 16, v12
	v_mov_b32_e32 v20, 0x3b800000
	v_lshlrev_b32_e32 v11, 20, v11
	v_and_b32_e32 v15, 0x80000000, v15
	v_lshl_add_u32 v14, v14, 23, v20
	v_or3_b32 v14, v15, v14, v11
.LBB40_80:
	s_or_b64 exec, exec, s[6:7]
	s_nop 0
	v_mfma_f32_16x16x4f32 a[0:3], v10, v14, a[0:3]
	s_movk_i32 s4, 0xff
	v_and_b32_sdwa v11, v16, s4 dst_sel:DWORD dst_unused:UNUSED_PAD src0_sel:WORD_1 src1_sel:DWORD
	s_movk_i32 s4, 0x7f
	v_cmp_lt_i16_e32 vcc, s4, v11
	s_mov_b64 s[4:5], 0
                                        ; implicit-def: $sgpr10
	s_and_saveexec_b64 s[6:7], vcc
	s_xor_b64 s[6:7], exec, s[6:7]
	s_cbranch_execnz .LBB40_2129
; %bb.81:
	s_or_saveexec_b64 s[6:7], s[6:7]
	v_mov_b32_e32 v10, s10
	s_xor_b64 exec, exec, s[6:7]
	s_cbranch_execnz .LBB40_2132
.LBB40_82:
	s_or_b64 exec, exec, s[6:7]
	s_and_saveexec_b64 s[6:7], s[4:5]
	s_cbranch_execz .LBB40_84
.LBB40_83:
	v_bfe_u32 v10, v16, 16, 3
	v_ffbh_u32_e32 v15, v10
	v_min_u32_e32 v15, 32, v15
	v_lshrrev_b32_e32 v11, 19, v16
	v_subrev_u32_e32 v20, 28, v15
	v_and_b32_e32 v11, 15, v11
	v_lshlrev_b32_sdwa v20, v20, v16 dst_sel:DWORD dst_unused:UNUSED_PAD src0_sel:DWORD src1_sel:WORD_1
	v_bfe_u32 v14, v16, 19, 4
	v_sub_u32_e32 v15, 29, v15
	v_and_b32_e32 v20, 7, v20
	v_cmp_eq_u16_e32 vcc, 0, v11
	v_cndmask_b32_e32 v10, v10, v20, vcc
	v_cndmask_b32_e32 v11, v14, v15, vcc
	v_lshlrev_b32_e32 v14, 8, v16
	v_mov_b32_e32 v15, 0x3b800000
	v_lshlrev_b32_e32 v10, 20, v10
	v_and_b32_e32 v14, 0x80000000, v14
	v_lshl_add_u32 v11, v11, 23, v15
	v_or3_b32 v10, v14, v11, v10
.LBB40_84:
	s_or_b64 exec, exec, s[6:7]
	s_movk_i32 s4, 0xff
	v_and_b32_sdwa v11, v12, s4 dst_sel:DWORD dst_unused:UNUSED_PAD src0_sel:WORD_1 src1_sel:DWORD
	s_movk_i32 s4, 0x7f
	v_cmp_lt_i16_e32 vcc, s4, v11
	s_mov_b64 s[4:5], 0
                                        ; implicit-def: $sgpr10
	s_and_saveexec_b64 s[6:7], vcc
	s_xor_b64 s[6:7], exec, s[6:7]
	s_cbranch_execnz .LBB40_2133
; %bb.85:
	s_or_saveexec_b64 s[6:7], s[6:7]
	v_mov_b32_e32 v14, s10
	s_xor_b64 exec, exec, s[6:7]
	s_cbranch_execnz .LBB40_2136
.LBB40_86:
	s_or_b64 exec, exec, s[6:7]
	s_and_saveexec_b64 s[6:7], s[4:5]
	s_cbranch_execz .LBB40_88
.LBB40_87:
	v_bfe_u32 v11, v12, 16, 3
	v_ffbh_u32_e32 v20, v11
	v_min_u32_e32 v20, 32, v20
	v_lshrrev_b32_e32 v14, 19, v12
	v_subrev_u32_e32 v21, 28, v20
	v_and_b32_e32 v14, 15, v14
	v_lshlrev_b32_sdwa v21, v21, v12 dst_sel:DWORD dst_unused:UNUSED_PAD src0_sel:DWORD src1_sel:WORD_1
	v_bfe_u32 v15, v12, 19, 4
	v_sub_u32_e32 v20, 29, v20
	v_and_b32_e32 v21, 7, v21
	v_cmp_eq_u16_e32 vcc, 0, v14
	v_cndmask_b32_e32 v11, v11, v21, vcc
	v_cndmask_b32_e32 v14, v15, v20, vcc
	v_lshlrev_b32_e32 v15, 8, v12
	v_mov_b32_e32 v20, 0x3b800000
	v_lshlrev_b32_e32 v11, 20, v11
	v_and_b32_e32 v15, 0x80000000, v15
	v_lshl_add_u32 v14, v14, 23, v20
	v_or3_b32 v14, v15, v14, v11
.LBB40_88:
	s_or_b64 exec, exec, s[6:7]
	s_nop 0
	v_mfma_f32_16x16x4f32 a[0:3], v10, v14, a[0:3]
	s_movk_i32 s4, 0x7f
	v_cmp_gt_i16_sdwa s[6:7], v16, s4 src0_sel:BYTE_3 src1_sel:DWORD
	s_mov_b64 s[4:5], 0
                                        ; implicit-def: $sgpr10
	s_and_saveexec_b64 s[8:9], s[6:7]
	s_xor_b64 s[6:7], exec, s[8:9]
	s_cbranch_execnz .LBB40_2137
; %bb.89:
	s_or_saveexec_b64 s[6:7], s[6:7]
	v_mov_b32_e32 v10, s10
	s_xor_b64 exec, exec, s[6:7]
	s_cbranch_execnz .LBB40_2140
.LBB40_90:
	s_or_b64 exec, exec, s[6:7]
	s_and_saveexec_b64 s[6:7], s[4:5]
	s_cbranch_execz .LBB40_92
.LBB40_91:
	v_bfe_u32 v10, v16, 24, 3
	v_ffbh_u32_e32 v20, v10
	v_min_u32_e32 v20, 32, v20
	v_lshrrev_b32_e32 v14, 27, v16
	v_subrev_u32_e32 v21, 28, v20
	v_and_b32_e32 v11, 0x80000000, v16
	v_and_b32_e32 v14, 15, v14
	v_bfe_u32 v15, v16, 27, 4
	v_lshlrev_b32_sdwa v16, v21, v16 dst_sel:DWORD dst_unused:UNUSED_PAD src0_sel:DWORD src1_sel:BYTE_3
	v_sub_u32_e32 v20, 29, v20
	v_and_b32_e32 v16, 7, v16
	v_cmp_eq_u16_e32 vcc, 0, v14
	v_cndmask_b32_e32 v10, v10, v16, vcc
	v_cndmask_b32_e32 v14, v15, v20, vcc
	v_mov_b32_e32 v15, 0x3b800000
	v_lshlrev_b32_e32 v10, 20, v10
	v_lshl_add_u32 v14, v14, 23, v15
	v_or3_b32 v10, v11, v14, v10
.LBB40_92:
	s_or_b64 exec, exec, s[6:7]
	s_movk_i32 s4, 0x7f
	v_cmp_gt_i16_sdwa s[6:7], v12, s4 src0_sel:BYTE_3 src1_sel:DWORD
	s_mov_b64 s[4:5], 0
                                        ; implicit-def: $sgpr10
	s_and_saveexec_b64 s[8:9], s[6:7]
	s_xor_b64 s[6:7], exec, s[8:9]
	s_cbranch_execnz .LBB40_2141
; %bb.93:
	s_or_saveexec_b64 s[6:7], s[6:7]
	v_mov_b32_e32 v11, s10
	s_xor_b64 exec, exec, s[6:7]
	s_cbranch_execnz .LBB40_2144
.LBB40_94:
	s_or_b64 exec, exec, s[6:7]
	s_and_saveexec_b64 s[6:7], s[4:5]
	s_cbranch_execz .LBB40_96
.LBB40_95:
	v_bfe_u32 v11, v12, 24, 3
	v_ffbh_u32_e32 v20, v11
	v_min_u32_e32 v20, 32, v20
	v_lshrrev_b32_e32 v15, 27, v12
	v_subrev_u32_e32 v21, 28, v20
	v_and_b32_e32 v14, 0x80000000, v12
	v_and_b32_e32 v15, 15, v15
	v_bfe_u32 v16, v12, 27, 4
	v_lshlrev_b32_sdwa v12, v21, v12 dst_sel:DWORD dst_unused:UNUSED_PAD src0_sel:DWORD src1_sel:BYTE_3
	v_sub_u32_e32 v20, 29, v20
	v_and_b32_e32 v12, 7, v12
	v_cmp_eq_u16_e32 vcc, 0, v15
	v_cndmask_b32_e32 v11, v11, v12, vcc
	v_cndmask_b32_e32 v12, v16, v20, vcc
	v_mov_b32_e32 v15, 0x3b800000
	v_lshlrev_b32_e32 v11, 20, v11
	v_lshl_add_u32 v12, v12, 23, v15
	v_or3_b32 v11, v14, v12, v11
.LBB40_96:
	s_or_b64 exec, exec, s[6:7]
	s_nop 0
	v_mfma_f32_16x16x4f32 a[0:3], v10, v11, a[0:3]
	s_movk_i32 s4, 0x7f
	v_cmp_gt_i16_sdwa s[6:7], v17, s4 src0_sel:BYTE_0 src1_sel:DWORD
	s_mov_b64 s[4:5], 0
                                        ; implicit-def: $sgpr10
	s_and_saveexec_b64 s[8:9], s[6:7]
	s_xor_b64 s[6:7], exec, s[8:9]
	s_cbranch_execnz .LBB40_2145
; %bb.97:
	s_or_saveexec_b64 s[6:7], s[6:7]
	v_mov_b32_e32 v10, s10
	s_xor_b64 exec, exec, s[6:7]
	s_cbranch_execnz .LBB40_2148
.LBB40_98:
	s_or_b64 exec, exec, s[6:7]
	s_and_saveexec_b64 s[6:7], s[4:5]
	s_cbranch_execz .LBB40_100
.LBB40_99:
	v_and_b32_e32 v10, 7, v17
	v_ffbh_u32_e32 v12, v10
	v_min_u32_e32 v12, 32, v12
	v_lshrrev_b16_e32 v11, 3, v17
	v_subrev_u32_e32 v14, 28, v12
	v_and_b32_e32 v11, 15, v11
	v_lshlrev_b32_e32 v14, v14, v17
	v_sub_u32_e32 v12, 29, v12
	v_and_b32_e32 v14, 7, v14
	v_cmp_eq_u16_e32 vcc, 0, v11
	v_cndmask_b32_e32 v10, v10, v14, vcc
	v_cndmask_b32_e32 v11, v11, v12, vcc
	v_lshlrev_b32_e32 v12, 24, v17
	v_mov_b32_e32 v14, 0x3b800000
	v_lshlrev_b32_e32 v10, 20, v10
	v_and_b32_e32 v12, 0x80000000, v12
	v_lshl_add_u32 v11, v11, 23, v14
	v_or3_b32 v10, v12, v11, v10
.LBB40_100:
	s_or_b64 exec, exec, s[6:7]
	s_movk_i32 s4, 0x7f
	v_cmp_gt_i16_sdwa s[6:7], v13, s4 src0_sel:BYTE_0 src1_sel:DWORD
	s_mov_b64 s[4:5], 0
                                        ; implicit-def: $sgpr10
	s_and_saveexec_b64 s[8:9], s[6:7]
	s_xor_b64 s[6:7], exec, s[8:9]
	s_cbranch_execnz .LBB40_2149
; %bb.101:
	s_or_saveexec_b64 s[6:7], s[6:7]
	v_mov_b32_e32 v11, s10
	s_xor_b64 exec, exec, s[6:7]
	s_cbranch_execnz .LBB40_2152
.LBB40_102:
	s_or_b64 exec, exec, s[6:7]
	s_and_saveexec_b64 s[6:7], s[4:5]
	s_cbranch_execz .LBB40_104
.LBB40_103:
	v_and_b32_e32 v11, 7, v13
	v_ffbh_u32_e32 v14, v11
	v_min_u32_e32 v14, 32, v14
	v_lshrrev_b16_e32 v12, 3, v13
	v_subrev_u32_e32 v15, 28, v14
	v_and_b32_e32 v12, 15, v12
	v_lshlrev_b32_e32 v15, v15, v13
	v_sub_u32_e32 v14, 29, v14
	v_and_b32_e32 v15, 7, v15
	v_cmp_eq_u16_e32 vcc, 0, v12
	v_cndmask_b32_e32 v11, v11, v15, vcc
	v_cndmask_b32_e32 v12, v12, v14, vcc
	v_lshlrev_b32_e32 v14, 24, v13
	v_mov_b32_e32 v15, 0x3b800000
	v_lshlrev_b32_e32 v11, 20, v11
	v_and_b32_e32 v14, 0x80000000, v14
	v_lshl_add_u32 v12, v12, 23, v15
	v_or3_b32 v11, v14, v12, v11
.LBB40_104:
	s_or_b64 exec, exec, s[6:7]
	s_nop 0
	v_mfma_f32_16x16x4f32 a[0:3], v10, v11, a[0:3]
	v_lshrrev_b32_e32 v11, 8, v17
	s_movk_i32 s4, 0x7f
	v_cmp_gt_i16_sdwa s[6:7], v11, s4 src0_sel:BYTE_0 src1_sel:DWORD
	s_mov_b64 s[4:5], 0
                                        ; implicit-def: $sgpr10
	s_and_saveexec_b64 s[8:9], s[6:7]
	s_xor_b64 s[6:7], exec, s[8:9]
	s_cbranch_execnz .LBB40_2153
; %bb.105:
	s_or_saveexec_b64 s[6:7], s[6:7]
	v_mov_b32_e32 v10, s10
	s_xor_b64 exec, exec, s[6:7]
	s_cbranch_execnz .LBB40_2156
.LBB40_106:
	s_or_b64 exec, exec, s[6:7]
	s_and_saveexec_b64 s[6:7], s[4:5]
	s_cbranch_execz .LBB40_108
.LBB40_107:
	v_bfe_u32 v10, v17, 8, 3
	v_ffbh_u32_e32 v14, v10
	v_min_u32_e32 v14, 32, v14
	v_lshrrev_b16_e32 v12, 3, v11
	v_subrev_u32_e32 v15, 28, v14
	v_and_b32_e32 v12, 15, v12
	v_lshlrev_b32_e32 v11, v15, v11
	v_sub_u32_e32 v14, 29, v14
	v_and_b32_e32 v11, 7, v11
	v_cmp_eq_u16_e32 vcc, 0, v12
	v_cndmask_b32_e32 v10, v10, v11, vcc
	v_cndmask_b32_e32 v11, v12, v14, vcc
	v_lshlrev_b32_e32 v12, 16, v17
	v_mov_b32_e32 v14, 0x3b800000
	v_lshlrev_b32_e32 v10, 20, v10
	v_and_b32_e32 v12, 0x80000000, v12
	v_lshl_add_u32 v11, v11, 23, v14
	v_or3_b32 v10, v12, v11, v10
.LBB40_108:
	s_or_b64 exec, exec, s[6:7]
	v_lshrrev_b32_e32 v11, 8, v13
	s_movk_i32 s4, 0x7f
	v_cmp_gt_i16_sdwa s[6:7], v11, s4 src0_sel:BYTE_0 src1_sel:DWORD
	s_mov_b64 s[4:5], 0
                                        ; implicit-def: $sgpr10
	s_and_saveexec_b64 s[8:9], s[6:7]
	s_xor_b64 s[6:7], exec, s[8:9]
	s_cbranch_execnz .LBB40_2157
; %bb.109:
	s_or_saveexec_b64 s[6:7], s[6:7]
	v_mov_b32_e32 v12, s10
	s_xor_b64 exec, exec, s[6:7]
	s_cbranch_execnz .LBB40_2160
.LBB40_110:
	s_or_b64 exec, exec, s[6:7]
	s_and_saveexec_b64 s[6:7], s[4:5]
	s_cbranch_execz .LBB40_112
.LBB40_111:
	v_bfe_u32 v12, v13, 8, 3
	v_ffbh_u32_e32 v15, v12
	v_min_u32_e32 v15, 32, v15
	v_lshrrev_b16_e32 v14, 3, v11
	v_subrev_u32_e32 v16, 28, v15
	v_and_b32_e32 v14, 15, v14
	v_lshlrev_b32_e32 v11, v16, v11
	v_sub_u32_e32 v15, 29, v15
	v_and_b32_e32 v11, 7, v11
	v_cmp_eq_u16_e32 vcc, 0, v14
	v_cndmask_b32_e32 v11, v12, v11, vcc
	v_cndmask_b32_e32 v12, v14, v15, vcc
	v_lshlrev_b32_e32 v14, 16, v13
	v_mov_b32_e32 v15, 0x3b800000
	v_lshlrev_b32_e32 v11, 20, v11
	v_and_b32_e32 v14, 0x80000000, v14
	v_lshl_add_u32 v12, v12, 23, v15
	v_or3_b32 v12, v14, v12, v11
.LBB40_112:
	s_or_b64 exec, exec, s[6:7]
	s_nop 0
	v_mfma_f32_16x16x4f32 a[0:3], v10, v12, a[0:3]
	s_movk_i32 s4, 0xff
	v_and_b32_sdwa v11, v17, s4 dst_sel:DWORD dst_unused:UNUSED_PAD src0_sel:WORD_1 src1_sel:DWORD
	s_movk_i32 s4, 0x7f
	v_cmp_lt_i16_e32 vcc, s4, v11
	s_mov_b64 s[4:5], 0
                                        ; implicit-def: $sgpr10
	s_and_saveexec_b64 s[6:7], vcc
	s_xor_b64 s[6:7], exec, s[6:7]
	s_cbranch_execnz .LBB40_2161
; %bb.113:
	s_or_saveexec_b64 s[6:7], s[6:7]
	v_mov_b32_e32 v10, s10
	s_xor_b64 exec, exec, s[6:7]
	s_cbranch_execnz .LBB40_2164
.LBB40_114:
	s_or_b64 exec, exec, s[6:7]
	s_and_saveexec_b64 s[6:7], s[4:5]
	s_cbranch_execz .LBB40_116
.LBB40_115:
	v_bfe_u32 v10, v17, 16, 3
	v_ffbh_u32_e32 v14, v10
	v_min_u32_e32 v14, 32, v14
	v_lshrrev_b32_e32 v11, 19, v17
	v_subrev_u32_e32 v15, 28, v14
	v_and_b32_e32 v11, 15, v11
	v_lshlrev_b32_sdwa v15, v15, v17 dst_sel:DWORD dst_unused:UNUSED_PAD src0_sel:DWORD src1_sel:WORD_1
	v_bfe_u32 v12, v17, 19, 4
	v_sub_u32_e32 v14, 29, v14
	v_and_b32_e32 v15, 7, v15
	v_cmp_eq_u16_e32 vcc, 0, v11
	v_cndmask_b32_e32 v10, v10, v15, vcc
	v_cndmask_b32_e32 v11, v12, v14, vcc
	v_lshlrev_b32_e32 v12, 8, v17
	v_mov_b32_e32 v14, 0x3b800000
	v_lshlrev_b32_e32 v10, 20, v10
	v_and_b32_e32 v12, 0x80000000, v12
	v_lshl_add_u32 v11, v11, 23, v14
	v_or3_b32 v10, v12, v11, v10
.LBB40_116:
	s_or_b64 exec, exec, s[6:7]
	s_movk_i32 s4, 0xff
	v_and_b32_sdwa v11, v13, s4 dst_sel:DWORD dst_unused:UNUSED_PAD src0_sel:WORD_1 src1_sel:DWORD
	s_movk_i32 s4, 0x7f
	v_cmp_lt_i16_e32 vcc, s4, v11
	s_mov_b64 s[4:5], 0
                                        ; implicit-def: $sgpr10
	s_and_saveexec_b64 s[6:7], vcc
	s_xor_b64 s[6:7], exec, s[6:7]
	s_cbranch_execnz .LBB40_2165
; %bb.117:
	s_or_saveexec_b64 s[6:7], s[6:7]
	v_mov_b32_e32 v12, s10
	s_xor_b64 exec, exec, s[6:7]
	s_cbranch_execnz .LBB40_2168
.LBB40_118:
	s_or_b64 exec, exec, s[6:7]
	s_and_saveexec_b64 s[6:7], s[4:5]
	s_cbranch_execz .LBB40_120
.LBB40_119:
	v_bfe_u32 v11, v13, 16, 3
	v_ffbh_u32_e32 v15, v11
	v_min_u32_e32 v15, 32, v15
	v_lshrrev_b32_e32 v12, 19, v13
	v_subrev_u32_e32 v16, 28, v15
	v_and_b32_e32 v12, 15, v12
	v_lshlrev_b32_sdwa v16, v16, v13 dst_sel:DWORD dst_unused:UNUSED_PAD src0_sel:DWORD src1_sel:WORD_1
	v_bfe_u32 v14, v13, 19, 4
	v_sub_u32_e32 v15, 29, v15
	v_and_b32_e32 v16, 7, v16
	v_cmp_eq_u16_e32 vcc, 0, v12
	v_cndmask_b32_e32 v11, v11, v16, vcc
	v_cndmask_b32_e32 v12, v14, v15, vcc
	v_lshlrev_b32_e32 v14, 8, v13
	v_mov_b32_e32 v15, 0x3b800000
	v_lshlrev_b32_e32 v11, 20, v11
	v_and_b32_e32 v14, 0x80000000, v14
	v_lshl_add_u32 v12, v12, 23, v15
	v_or3_b32 v12, v14, v12, v11
.LBB40_120:
	s_or_b64 exec, exec, s[6:7]
	s_nop 0
	v_mfma_f32_16x16x4f32 a[0:3], v10, v12, a[0:3]
	s_movk_i32 s4, 0x7f
	v_cmp_gt_i16_sdwa s[6:7], v17, s4 src0_sel:BYTE_3 src1_sel:DWORD
	s_mov_b64 s[4:5], 0
                                        ; implicit-def: $sgpr10
	s_and_saveexec_b64 s[8:9], s[6:7]
	s_xor_b64 s[6:7], exec, s[8:9]
	s_cbranch_execnz .LBB40_2169
; %bb.121:
	s_or_saveexec_b64 s[6:7], s[6:7]
	v_mov_b32_e32 v10, s10
	s_xor_b64 exec, exec, s[6:7]
	s_cbranch_execnz .LBB40_2172
.LBB40_122:
	s_or_b64 exec, exec, s[6:7]
	s_and_saveexec_b64 s[6:7], s[4:5]
	s_cbranch_execz .LBB40_124
.LBB40_123:
	v_bfe_u32 v10, v17, 24, 3
	v_ffbh_u32_e32 v15, v10
	v_min_u32_e32 v15, 32, v15
	v_lshrrev_b32_e32 v12, 27, v17
	v_subrev_u32_e32 v16, 28, v15
	v_and_b32_e32 v12, 15, v12
	v_lshlrev_b32_sdwa v16, v16, v17 dst_sel:DWORD dst_unused:UNUSED_PAD src0_sel:DWORD src1_sel:BYTE_3
	v_bfe_u32 v14, v17, 27, 4
	v_sub_u32_e32 v15, 29, v15
	v_and_b32_e32 v16, 7, v16
	v_cmp_eq_u16_e32 vcc, 0, v12
	v_cndmask_b32_e32 v10, v10, v16, vcc
	v_cndmask_b32_e32 v12, v14, v15, vcc
	v_mov_b32_e32 v14, 0x3b800000
	v_and_b32_e32 v11, 0x80000000, v17
	v_lshlrev_b32_e32 v10, 20, v10
	v_lshl_add_u32 v12, v12, 23, v14
	v_or3_b32 v10, v11, v12, v10
.LBB40_124:
	s_or_b64 exec, exec, s[6:7]
	s_movk_i32 s4, 0x7f
	v_cmp_gt_i16_sdwa s[6:7], v13, s4 src0_sel:BYTE_3 src1_sel:DWORD
	s_mov_b64 s[4:5], 0
                                        ; implicit-def: $sgpr10
	s_and_saveexec_b64 s[8:9], s[6:7]
	s_xor_b64 s[6:7], exec, s[8:9]
	s_cbranch_execnz .LBB40_2173
; %bb.125:
	s_or_saveexec_b64 s[6:7], s[6:7]
	v_mov_b32_e32 v11, s10
	s_xor_b64 exec, exec, s[6:7]
	s_cbranch_execnz .LBB40_2176
.LBB40_126:
	s_or_b64 exec, exec, s[6:7]
	s_and_saveexec_b64 s[6:7], s[4:5]
	s_cbranch_execz .LBB40_128
.LBB40_127:
	v_bfe_u32 v11, v13, 24, 3
	v_ffbh_u32_e32 v16, v11
	v_min_u32_e32 v16, 32, v16
	v_lshrrev_b32_e32 v14, 27, v13
	v_subrev_u32_e32 v17, 28, v16
	v_and_b32_e32 v12, 0x80000000, v13
	v_and_b32_e32 v14, 15, v14
	v_bfe_u32 v15, v13, 27, 4
	v_lshlrev_b32_sdwa v13, v17, v13 dst_sel:DWORD dst_unused:UNUSED_PAD src0_sel:DWORD src1_sel:BYTE_3
	v_sub_u32_e32 v16, 29, v16
	v_and_b32_e32 v13, 7, v13
	v_cmp_eq_u16_e32 vcc, 0, v14
	v_cndmask_b32_e32 v11, v11, v13, vcc
	v_cndmask_b32_e32 v13, v15, v16, vcc
	v_mov_b32_e32 v14, 0x3b800000
	v_lshlrev_b32_e32 v11, 20, v11
	v_lshl_add_u32 v13, v13, 23, v14
	v_or3_b32 v11, v12, v13, v11
.LBB40_128:
	s_or_b64 exec, exec, s[6:7]
	s_nop 0
	v_mfma_f32_16x16x4f32 a[0:3], v10, v11, a[0:3]
	s_movk_i32 s4, 0x7f
	v_cmp_gt_i16_sdwa s[6:7], v6, s4 src0_sel:BYTE_0 src1_sel:DWORD
	s_mov_b64 s[4:5], 0
                                        ; implicit-def: $sgpr10
	s_and_saveexec_b64 s[8:9], s[6:7]
	s_xor_b64 s[6:7], exec, s[8:9]
	s_cbranch_execnz .LBB40_2177
; %bb.129:
	s_or_saveexec_b64 s[6:7], s[6:7]
	v_mov_b32_e32 v10, s10
	s_xor_b64 exec, exec, s[6:7]
	s_cbranch_execnz .LBB40_2180
.LBB40_130:
	s_or_b64 exec, exec, s[6:7]
	s_and_saveexec_b64 s[6:7], s[4:5]
	s_cbranch_execz .LBB40_132
.LBB40_131:
	v_and_b32_e32 v10, 7, v6
	v_ffbh_u32_e32 v12, v10
	v_min_u32_e32 v12, 32, v12
	v_lshrrev_b16_e32 v11, 3, v6
	v_subrev_u32_e32 v13, 28, v12
	v_and_b32_e32 v11, 15, v11
	v_lshlrev_b32_e32 v13, v13, v6
	v_sub_u32_e32 v12, 29, v12
	v_and_b32_e32 v13, 7, v13
	v_cmp_eq_u16_e32 vcc, 0, v11
	v_cndmask_b32_e32 v10, v10, v13, vcc
	v_cndmask_b32_e32 v11, v11, v12, vcc
	v_lshlrev_b32_e32 v12, 24, v6
	v_mov_b32_e32 v13, 0x3b800000
	v_lshlrev_b32_e32 v10, 20, v10
	v_and_b32_e32 v12, 0x80000000, v12
	v_lshl_add_u32 v11, v11, 23, v13
	v_or3_b32 v10, v12, v11, v10
.LBB40_132:
	s_or_b64 exec, exec, s[6:7]
	s_movk_i32 s4, 0x7f
	v_cmp_gt_i16_sdwa s[6:7], v2, s4 src0_sel:BYTE_0 src1_sel:DWORD
	s_mov_b64 s[4:5], 0
                                        ; implicit-def: $sgpr10
	s_and_saveexec_b64 s[8:9], s[6:7]
	s_xor_b64 s[6:7], exec, s[8:9]
	s_cbranch_execnz .LBB40_2181
; %bb.133:
	s_or_saveexec_b64 s[6:7], s[6:7]
	v_mov_b32_e32 v11, s10
	s_xor_b64 exec, exec, s[6:7]
	s_cbranch_execnz .LBB40_2184
.LBB40_134:
	s_or_b64 exec, exec, s[6:7]
	s_and_saveexec_b64 s[6:7], s[4:5]
	s_cbranch_execz .LBB40_136
.LBB40_135:
	v_and_b32_e32 v11, 7, v2
	v_ffbh_u32_e32 v13, v11
	v_min_u32_e32 v13, 32, v13
	v_lshrrev_b16_e32 v12, 3, v2
	v_subrev_u32_e32 v14, 28, v13
	v_and_b32_e32 v12, 15, v12
	v_lshlrev_b32_e32 v14, v14, v2
	v_sub_u32_e32 v13, 29, v13
	v_and_b32_e32 v14, 7, v14
	v_cmp_eq_u16_e32 vcc, 0, v12
	v_cndmask_b32_e32 v11, v11, v14, vcc
	v_cndmask_b32_e32 v12, v12, v13, vcc
	v_lshlrev_b32_e32 v13, 24, v2
	v_mov_b32_e32 v14, 0x3b800000
	v_lshlrev_b32_e32 v11, 20, v11
	v_and_b32_e32 v13, 0x80000000, v13
	v_lshl_add_u32 v12, v12, 23, v14
	v_or3_b32 v11, v13, v12, v11
.LBB40_136:
	s_or_b64 exec, exec, s[6:7]
	s_nop 0
	v_mfma_f32_16x16x4f32 a[0:3], v10, v11, a[0:3]
	v_lshrrev_b32_e32 v11, 8, v6
	s_movk_i32 s4, 0x7f
	v_cmp_gt_i16_sdwa s[6:7], v11, s4 src0_sel:BYTE_0 src1_sel:DWORD
	s_mov_b64 s[4:5], 0
                                        ; implicit-def: $sgpr10
	s_and_saveexec_b64 s[8:9], s[6:7]
	s_xor_b64 s[6:7], exec, s[8:9]
	s_cbranch_execnz .LBB40_2185
; %bb.137:
	s_or_saveexec_b64 s[6:7], s[6:7]
	v_mov_b32_e32 v10, s10
	s_xor_b64 exec, exec, s[6:7]
	s_cbranch_execnz .LBB40_2188
.LBB40_138:
	s_or_b64 exec, exec, s[6:7]
	s_and_saveexec_b64 s[6:7], s[4:5]
	s_cbranch_execz .LBB40_140
.LBB40_139:
	v_bfe_u32 v10, v6, 8, 3
	v_ffbh_u32_e32 v13, v10
	v_min_u32_e32 v13, 32, v13
	v_lshrrev_b16_e32 v12, 3, v11
	v_subrev_u32_e32 v14, 28, v13
	v_and_b32_e32 v12, 15, v12
	v_lshlrev_b32_e32 v11, v14, v11
	v_sub_u32_e32 v13, 29, v13
	v_and_b32_e32 v11, 7, v11
	v_cmp_eq_u16_e32 vcc, 0, v12
	v_cndmask_b32_e32 v10, v10, v11, vcc
	v_cndmask_b32_e32 v11, v12, v13, vcc
	v_lshlrev_b32_e32 v12, 16, v6
	v_mov_b32_e32 v13, 0x3b800000
	v_lshlrev_b32_e32 v10, 20, v10
	v_and_b32_e32 v12, 0x80000000, v12
	v_lshl_add_u32 v11, v11, 23, v13
	v_or3_b32 v10, v12, v11, v10
.LBB40_140:
	s_or_b64 exec, exec, s[6:7]
	v_lshrrev_b32_e32 v11, 8, v2
	s_movk_i32 s4, 0x7f
	v_cmp_gt_i16_sdwa s[6:7], v11, s4 src0_sel:BYTE_0 src1_sel:DWORD
	s_mov_b64 s[4:5], 0
                                        ; implicit-def: $sgpr10
	s_and_saveexec_b64 s[8:9], s[6:7]
	s_xor_b64 s[6:7], exec, s[8:9]
	s_cbranch_execnz .LBB40_2189
; %bb.141:
	s_or_saveexec_b64 s[6:7], s[6:7]
	v_mov_b32_e32 v12, s10
	s_xor_b64 exec, exec, s[6:7]
	s_cbranch_execnz .LBB40_2192
.LBB40_142:
	s_or_b64 exec, exec, s[6:7]
	s_and_saveexec_b64 s[6:7], s[4:5]
	s_cbranch_execz .LBB40_144
.LBB40_143:
	v_bfe_u32 v12, v2, 8, 3
	v_ffbh_u32_e32 v14, v12
	v_min_u32_e32 v14, 32, v14
	v_lshrrev_b16_e32 v13, 3, v11
	v_subrev_u32_e32 v15, 28, v14
	v_and_b32_e32 v13, 15, v13
	v_lshlrev_b32_e32 v11, v15, v11
	v_sub_u32_e32 v14, 29, v14
	v_and_b32_e32 v11, 7, v11
	v_cmp_eq_u16_e32 vcc, 0, v13
	v_cndmask_b32_e32 v11, v12, v11, vcc
	v_cndmask_b32_e32 v12, v13, v14, vcc
	v_lshlrev_b32_e32 v13, 16, v2
	v_mov_b32_e32 v14, 0x3b800000
	v_lshlrev_b32_e32 v11, 20, v11
	v_and_b32_e32 v13, 0x80000000, v13
	v_lshl_add_u32 v12, v12, 23, v14
	v_or3_b32 v12, v13, v12, v11
.LBB40_144:
	s_or_b64 exec, exec, s[6:7]
	s_nop 0
	v_mfma_f32_16x16x4f32 a[0:3], v10, v12, a[0:3]
	s_movk_i32 s4, 0xff
	v_and_b32_sdwa v11, v6, s4 dst_sel:DWORD dst_unused:UNUSED_PAD src0_sel:WORD_1 src1_sel:DWORD
	s_movk_i32 s4, 0x7f
	v_cmp_lt_i16_e32 vcc, s4, v11
	s_mov_b64 s[4:5], 0
                                        ; implicit-def: $sgpr10
	s_and_saveexec_b64 s[6:7], vcc
	s_xor_b64 s[6:7], exec, s[6:7]
	s_cbranch_execnz .LBB40_2193
; %bb.145:
	s_or_saveexec_b64 s[6:7], s[6:7]
	v_mov_b32_e32 v10, s10
	s_xor_b64 exec, exec, s[6:7]
	s_cbranch_execnz .LBB40_2196
.LBB40_146:
	s_or_b64 exec, exec, s[6:7]
	s_and_saveexec_b64 s[6:7], s[4:5]
	s_cbranch_execz .LBB40_148
.LBB40_147:
	v_bfe_u32 v10, v6, 16, 3
	v_ffbh_u32_e32 v13, v10
	v_min_u32_e32 v13, 32, v13
	v_lshrrev_b32_e32 v11, 19, v6
	v_subrev_u32_e32 v14, 28, v13
	v_and_b32_e32 v11, 15, v11
	v_lshlrev_b32_sdwa v14, v14, v6 dst_sel:DWORD dst_unused:UNUSED_PAD src0_sel:DWORD src1_sel:WORD_1
	v_bfe_u32 v12, v6, 19, 4
	v_sub_u32_e32 v13, 29, v13
	v_and_b32_e32 v14, 7, v14
	v_cmp_eq_u16_e32 vcc, 0, v11
	v_cndmask_b32_e32 v10, v10, v14, vcc
	v_cndmask_b32_e32 v11, v12, v13, vcc
	v_lshlrev_b32_e32 v12, 8, v6
	v_mov_b32_e32 v13, 0x3b800000
	v_lshlrev_b32_e32 v10, 20, v10
	v_and_b32_e32 v12, 0x80000000, v12
	v_lshl_add_u32 v11, v11, 23, v13
	v_or3_b32 v10, v12, v11, v10
.LBB40_148:
	s_or_b64 exec, exec, s[6:7]
	s_movk_i32 s4, 0xff
	v_and_b32_sdwa v11, v2, s4 dst_sel:DWORD dst_unused:UNUSED_PAD src0_sel:WORD_1 src1_sel:DWORD
	s_movk_i32 s4, 0x7f
	v_cmp_lt_i16_e32 vcc, s4, v11
	s_mov_b64 s[4:5], 0
                                        ; implicit-def: $sgpr10
	s_and_saveexec_b64 s[6:7], vcc
	s_xor_b64 s[6:7], exec, s[6:7]
	s_cbranch_execnz .LBB40_2197
; %bb.149:
	s_or_saveexec_b64 s[6:7], s[6:7]
	v_mov_b32_e32 v12, s10
	s_xor_b64 exec, exec, s[6:7]
	s_cbranch_execnz .LBB40_2200
.LBB40_150:
	s_or_b64 exec, exec, s[6:7]
	s_and_saveexec_b64 s[6:7], s[4:5]
	s_cbranch_execz .LBB40_152
.LBB40_151:
	v_bfe_u32 v11, v2, 16, 3
	v_ffbh_u32_e32 v14, v11
	v_min_u32_e32 v14, 32, v14
	v_lshrrev_b32_e32 v12, 19, v2
	v_subrev_u32_e32 v15, 28, v14
	v_and_b32_e32 v12, 15, v12
	v_lshlrev_b32_sdwa v15, v15, v2 dst_sel:DWORD dst_unused:UNUSED_PAD src0_sel:DWORD src1_sel:WORD_1
	v_bfe_u32 v13, v2, 19, 4
	v_sub_u32_e32 v14, 29, v14
	v_and_b32_e32 v15, 7, v15
	v_cmp_eq_u16_e32 vcc, 0, v12
	v_cndmask_b32_e32 v11, v11, v15, vcc
	v_cndmask_b32_e32 v12, v13, v14, vcc
	v_lshlrev_b32_e32 v13, 8, v2
	v_mov_b32_e32 v14, 0x3b800000
	v_lshlrev_b32_e32 v11, 20, v11
	v_and_b32_e32 v13, 0x80000000, v13
	v_lshl_add_u32 v12, v12, 23, v14
	v_or3_b32 v12, v13, v12, v11
.LBB40_152:
	s_or_b64 exec, exec, s[6:7]
	s_nop 0
	v_mfma_f32_16x16x4f32 a[0:3], v10, v12, a[0:3]
	s_movk_i32 s4, 0x7f
	v_cmp_gt_i16_sdwa s[6:7], v6, s4 src0_sel:BYTE_3 src1_sel:DWORD
	s_mov_b64 s[4:5], 0
                                        ; implicit-def: $sgpr10
	s_and_saveexec_b64 s[8:9], s[6:7]
	s_xor_b64 s[6:7], exec, s[8:9]
	s_cbranch_execnz .LBB40_2201
; %bb.153:
	s_or_saveexec_b64 s[6:7], s[6:7]
	v_mov_b32_e32 v10, s10
	s_xor_b64 exec, exec, s[6:7]
	s_cbranch_execnz .LBB40_2204
.LBB40_154:
	s_or_b64 exec, exec, s[6:7]
	s_and_saveexec_b64 s[6:7], s[4:5]
	s_cbranch_execz .LBB40_156
.LBB40_155:
	v_bfe_u32 v10, v6, 24, 3
	v_ffbh_u32_e32 v14, v10
	v_min_u32_e32 v14, 32, v14
	v_lshrrev_b32_e32 v12, 27, v6
	v_subrev_u32_e32 v15, 28, v14
	v_and_b32_e32 v11, 0x80000000, v6
	v_and_b32_e32 v12, 15, v12
	v_bfe_u32 v13, v6, 27, 4
	v_lshlrev_b32_sdwa v6, v15, v6 dst_sel:DWORD dst_unused:UNUSED_PAD src0_sel:DWORD src1_sel:BYTE_3
	v_sub_u32_e32 v14, 29, v14
	v_and_b32_e32 v6, 7, v6
	v_cmp_eq_u16_e32 vcc, 0, v12
	v_cndmask_b32_e32 v6, v10, v6, vcc
	v_cndmask_b32_e32 v10, v13, v14, vcc
	v_mov_b32_e32 v12, 0x3b800000
	v_lshlrev_b32_e32 v6, 20, v6
	v_lshl_add_u32 v10, v10, 23, v12
	v_or3_b32 v10, v11, v10, v6
.LBB40_156:
	s_or_b64 exec, exec, s[6:7]
	s_movk_i32 s4, 0x7f
	v_cmp_gt_i16_sdwa s[6:7], v2, s4 src0_sel:BYTE_3 src1_sel:DWORD
	s_mov_b64 s[4:5], 0
                                        ; implicit-def: $sgpr10
	s_and_saveexec_b64 s[8:9], s[6:7]
	s_xor_b64 s[6:7], exec, s[8:9]
	s_cbranch_execnz .LBB40_2205
; %bb.157:
	s_or_saveexec_b64 s[6:7], s[6:7]
	v_mov_b32_e32 v6, s10
	s_xor_b64 exec, exec, s[6:7]
	s_cbranch_execnz .LBB40_2208
.LBB40_158:
	s_or_b64 exec, exec, s[6:7]
	s_and_saveexec_b64 s[6:7], s[4:5]
	s_cbranch_execz .LBB40_160
.LBB40_159:
	v_bfe_u32 v6, v2, 24, 3
	v_ffbh_u32_e32 v14, v6
	v_min_u32_e32 v14, 32, v14
	v_lshrrev_b32_e32 v12, 27, v2
	v_subrev_u32_e32 v15, 28, v14
	v_and_b32_e32 v11, 0x80000000, v2
	v_and_b32_e32 v12, 15, v12
	v_bfe_u32 v13, v2, 27, 4
	v_lshlrev_b32_sdwa v2, v15, v2 dst_sel:DWORD dst_unused:UNUSED_PAD src0_sel:DWORD src1_sel:BYTE_3
	v_sub_u32_e32 v14, 29, v14
	v_and_b32_e32 v2, 7, v2
	v_cmp_eq_u16_e32 vcc, 0, v12
	v_cndmask_b32_e32 v2, v6, v2, vcc
	v_cndmask_b32_e32 v6, v13, v14, vcc
	v_mov_b32_e32 v12, 0x3b800000
	v_lshlrev_b32_e32 v2, 20, v2
	v_lshl_add_u32 v6, v6, 23, v12
	v_or3_b32 v6, v11, v6, v2
.LBB40_160:
	s_or_b64 exec, exec, s[6:7]
	s_nop 0
	v_mfma_f32_16x16x4f32 a[0:3], v10, v6, a[0:3]
	s_movk_i32 s4, 0x7f
	v_cmp_gt_i16_sdwa s[6:7], v7, s4 src0_sel:BYTE_0 src1_sel:DWORD
	s_mov_b64 s[4:5], 0
                                        ; implicit-def: $sgpr10
	s_and_saveexec_b64 s[8:9], s[6:7]
	s_xor_b64 s[6:7], exec, s[8:9]
	s_cbranch_execnz .LBB40_2209
; %bb.161:
	s_or_saveexec_b64 s[6:7], s[6:7]
	v_mov_b32_e32 v2, s10
	s_xor_b64 exec, exec, s[6:7]
	s_cbranch_execnz .LBB40_2212
.LBB40_162:
	s_or_b64 exec, exec, s[6:7]
	s_and_saveexec_b64 s[6:7], s[4:5]
	s_cbranch_execz .LBB40_164
.LBB40_163:
	v_and_b32_e32 v2, 7, v7
	v_ffbh_u32_e32 v10, v2
	v_min_u32_e32 v10, 32, v10
	v_lshrrev_b16_e32 v6, 3, v7
	v_subrev_u32_e32 v11, 28, v10
	v_and_b32_e32 v6, 15, v6
	v_lshlrev_b32_e32 v11, v11, v7
	v_sub_u32_e32 v10, 29, v10
	v_and_b32_e32 v11, 7, v11
	v_cmp_eq_u16_e32 vcc, 0, v6
	v_cndmask_b32_e32 v2, v2, v11, vcc
	v_cndmask_b32_e32 v6, v6, v10, vcc
	v_lshlrev_b32_e32 v10, 24, v7
	v_mov_b32_e32 v11, 0x3b800000
	v_lshlrev_b32_e32 v2, 20, v2
	v_and_b32_e32 v10, 0x80000000, v10
	v_lshl_add_u32 v6, v6, 23, v11
	v_or3_b32 v2, v10, v6, v2
.LBB40_164:
	s_or_b64 exec, exec, s[6:7]
	s_movk_i32 s4, 0x7f
	v_cmp_gt_i16_sdwa s[6:7], v3, s4 src0_sel:BYTE_0 src1_sel:DWORD
	s_mov_b64 s[4:5], 0
                                        ; implicit-def: $sgpr10
	s_and_saveexec_b64 s[8:9], s[6:7]
	s_xor_b64 s[6:7], exec, s[8:9]
	s_cbranch_execnz .LBB40_2213
; %bb.165:
	s_or_saveexec_b64 s[6:7], s[6:7]
	v_mov_b32_e32 v6, s10
	s_xor_b64 exec, exec, s[6:7]
	s_cbranch_execnz .LBB40_2216
.LBB40_166:
	s_or_b64 exec, exec, s[6:7]
	s_and_saveexec_b64 s[6:7], s[4:5]
	s_cbranch_execz .LBB40_168
.LBB40_167:
	v_and_b32_e32 v6, 7, v3
	v_ffbh_u32_e32 v11, v6
	v_min_u32_e32 v11, 32, v11
	v_lshrrev_b16_e32 v10, 3, v3
	v_subrev_u32_e32 v12, 28, v11
	v_and_b32_e32 v10, 15, v10
	v_lshlrev_b32_e32 v12, v12, v3
	v_sub_u32_e32 v11, 29, v11
	v_and_b32_e32 v12, 7, v12
	v_cmp_eq_u16_e32 vcc, 0, v10
	v_cndmask_b32_e32 v6, v6, v12, vcc
	v_cndmask_b32_e32 v10, v10, v11, vcc
	v_lshlrev_b32_e32 v11, 24, v3
	v_mov_b32_e32 v12, 0x3b800000
	v_lshlrev_b32_e32 v6, 20, v6
	v_and_b32_e32 v11, 0x80000000, v11
	v_lshl_add_u32 v10, v10, 23, v12
	v_or3_b32 v6, v11, v10, v6
.LBB40_168:
	s_or_b64 exec, exec, s[6:7]
	s_nop 0
	v_mfma_f32_16x16x4f32 a[0:3], v2, v6, a[0:3]
	v_lshrrev_b32_e32 v6, 8, v7
	s_movk_i32 s4, 0x7f
	v_cmp_gt_i16_sdwa s[6:7], v6, s4 src0_sel:BYTE_0 src1_sel:DWORD
	s_mov_b64 s[4:5], 0
                                        ; implicit-def: $sgpr10
	s_and_saveexec_b64 s[8:9], s[6:7]
	s_xor_b64 s[6:7], exec, s[8:9]
	s_cbranch_execnz .LBB40_2217
; %bb.169:
	s_or_saveexec_b64 s[6:7], s[6:7]
	v_mov_b32_e32 v2, s10
	s_xor_b64 exec, exec, s[6:7]
	s_cbranch_execnz .LBB40_2220
.LBB40_170:
	s_or_b64 exec, exec, s[6:7]
	s_and_saveexec_b64 s[6:7], s[4:5]
	s_cbranch_execz .LBB40_172
.LBB40_171:
	v_bfe_u32 v2, v7, 8, 3
	v_ffbh_u32_e32 v11, v2
	v_min_u32_e32 v11, 32, v11
	v_lshrrev_b16_e32 v10, 3, v6
	v_subrev_u32_e32 v12, 28, v11
	v_and_b32_e32 v10, 15, v10
	v_lshlrev_b32_e32 v6, v12, v6
	v_sub_u32_e32 v11, 29, v11
	v_and_b32_e32 v6, 7, v6
	v_cmp_eq_u16_e32 vcc, 0, v10
	v_cndmask_b32_e32 v2, v2, v6, vcc
	v_cndmask_b32_e32 v6, v10, v11, vcc
	v_lshlrev_b32_e32 v10, 16, v7
	v_mov_b32_e32 v11, 0x3b800000
	v_lshlrev_b32_e32 v2, 20, v2
	v_and_b32_e32 v10, 0x80000000, v10
	v_lshl_add_u32 v6, v6, 23, v11
	v_or3_b32 v2, v10, v6, v2
.LBB40_172:
	s_or_b64 exec, exec, s[6:7]
	v_lshrrev_b32_e32 v6, 8, v3
	s_movk_i32 s4, 0x7f
	v_cmp_gt_i16_sdwa s[6:7], v6, s4 src0_sel:BYTE_0 src1_sel:DWORD
	s_mov_b64 s[4:5], 0
                                        ; implicit-def: $sgpr10
	s_and_saveexec_b64 s[8:9], s[6:7]
	s_xor_b64 s[6:7], exec, s[8:9]
	s_cbranch_execnz .LBB40_2221
; %bb.173:
	s_or_saveexec_b64 s[6:7], s[6:7]
	v_mov_b32_e32 v10, s10
	s_xor_b64 exec, exec, s[6:7]
	s_cbranch_execnz .LBB40_2224
.LBB40_174:
	s_or_b64 exec, exec, s[6:7]
	s_and_saveexec_b64 s[6:7], s[4:5]
	s_cbranch_execz .LBB40_176
.LBB40_175:
	v_bfe_u32 v10, v3, 8, 3
	v_ffbh_u32_e32 v12, v10
	v_min_u32_e32 v12, 32, v12
	v_lshrrev_b16_e32 v11, 3, v6
	v_subrev_u32_e32 v13, 28, v12
	v_and_b32_e32 v11, 15, v11
	v_lshlrev_b32_e32 v6, v13, v6
	v_sub_u32_e32 v12, 29, v12
	v_and_b32_e32 v6, 7, v6
	v_cmp_eq_u16_e32 vcc, 0, v11
	v_cndmask_b32_e32 v6, v10, v6, vcc
	v_cndmask_b32_e32 v10, v11, v12, vcc
	v_lshlrev_b32_e32 v11, 16, v3
	v_mov_b32_e32 v12, 0x3b800000
	v_lshlrev_b32_e32 v6, 20, v6
	v_and_b32_e32 v11, 0x80000000, v11
	v_lshl_add_u32 v10, v10, 23, v12
	v_or3_b32 v10, v11, v10, v6
.LBB40_176:
	s_or_b64 exec, exec, s[6:7]
	s_nop 0
	v_mfma_f32_16x16x4f32 a[0:3], v2, v10, a[0:3]
	s_movk_i32 s4, 0xff
	v_and_b32_sdwa v6, v7, s4 dst_sel:DWORD dst_unused:UNUSED_PAD src0_sel:WORD_1 src1_sel:DWORD
	s_movk_i32 s4, 0x7f
	v_cmp_lt_i16_e32 vcc, s4, v6
	s_mov_b64 s[4:5], 0
                                        ; implicit-def: $sgpr10
	s_and_saveexec_b64 s[6:7], vcc
	s_xor_b64 s[6:7], exec, s[6:7]
	s_cbranch_execnz .LBB40_2225
; %bb.177:
	s_or_saveexec_b64 s[6:7], s[6:7]
	v_mov_b32_e32 v2, s10
	s_xor_b64 exec, exec, s[6:7]
	s_cbranch_execnz .LBB40_2228
.LBB40_178:
	s_or_b64 exec, exec, s[6:7]
	s_and_saveexec_b64 s[6:7], s[4:5]
	s_cbranch_execz .LBB40_180
.LBB40_179:
	v_bfe_u32 v2, v7, 16, 3
	v_ffbh_u32_e32 v11, v2
	v_min_u32_e32 v11, 32, v11
	v_lshrrev_b32_e32 v6, 19, v7
	v_subrev_u32_e32 v12, 28, v11
	v_and_b32_e32 v6, 15, v6
	v_lshlrev_b32_sdwa v12, v12, v7 dst_sel:DWORD dst_unused:UNUSED_PAD src0_sel:DWORD src1_sel:WORD_1
	v_bfe_u32 v10, v7, 19, 4
	v_sub_u32_e32 v11, 29, v11
	v_and_b32_e32 v12, 7, v12
	v_cmp_eq_u16_e32 vcc, 0, v6
	v_cndmask_b32_e32 v2, v2, v12, vcc
	v_cndmask_b32_e32 v6, v10, v11, vcc
	v_lshlrev_b32_e32 v10, 8, v7
	v_mov_b32_e32 v11, 0x3b800000
	v_lshlrev_b32_e32 v2, 20, v2
	v_and_b32_e32 v10, 0x80000000, v10
	v_lshl_add_u32 v6, v6, 23, v11
	v_or3_b32 v2, v10, v6, v2
.LBB40_180:
	s_or_b64 exec, exec, s[6:7]
	s_movk_i32 s4, 0xff
	v_and_b32_sdwa v6, v3, s4 dst_sel:DWORD dst_unused:UNUSED_PAD src0_sel:WORD_1 src1_sel:DWORD
	s_movk_i32 s4, 0x7f
	v_cmp_lt_i16_e32 vcc, s4, v6
	s_mov_b64 s[4:5], 0
                                        ; implicit-def: $sgpr10
	s_and_saveexec_b64 s[6:7], vcc
	s_xor_b64 s[6:7], exec, s[6:7]
	s_cbranch_execnz .LBB40_2229
; %bb.181:
	s_or_saveexec_b64 s[6:7], s[6:7]
	v_mov_b32_e32 v10, s10
	s_xor_b64 exec, exec, s[6:7]
	s_cbranch_execnz .LBB40_2232
.LBB40_182:
	s_or_b64 exec, exec, s[6:7]
	s_and_saveexec_b64 s[6:7], s[4:5]
	s_cbranch_execz .LBB40_184
.LBB40_183:
	v_bfe_u32 v6, v3, 16, 3
	v_ffbh_u32_e32 v12, v6
	v_min_u32_e32 v12, 32, v12
	v_lshrrev_b32_e32 v10, 19, v3
	v_subrev_u32_e32 v13, 28, v12
	v_and_b32_e32 v10, 15, v10
	v_lshlrev_b32_sdwa v13, v13, v3 dst_sel:DWORD dst_unused:UNUSED_PAD src0_sel:DWORD src1_sel:WORD_1
	v_bfe_u32 v11, v3, 19, 4
	v_sub_u32_e32 v12, 29, v12
	v_and_b32_e32 v13, 7, v13
	v_cmp_eq_u16_e32 vcc, 0, v10
	v_cndmask_b32_e32 v6, v6, v13, vcc
	v_cndmask_b32_e32 v10, v11, v12, vcc
	v_lshlrev_b32_e32 v11, 8, v3
	v_mov_b32_e32 v12, 0x3b800000
	v_lshlrev_b32_e32 v6, 20, v6
	v_and_b32_e32 v11, 0x80000000, v11
	v_lshl_add_u32 v10, v10, 23, v12
	v_or3_b32 v10, v11, v10, v6
.LBB40_184:
	s_or_b64 exec, exec, s[6:7]
	s_nop 0
	v_mfma_f32_16x16x4f32 a[0:3], v2, v10, a[0:3]
	s_movk_i32 s4, 0x7f
	v_cmp_gt_i16_sdwa s[6:7], v7, s4 src0_sel:BYTE_3 src1_sel:DWORD
	s_mov_b64 s[4:5], 0
                                        ; implicit-def: $sgpr10
	s_and_saveexec_b64 s[8:9], s[6:7]
	s_xor_b64 s[6:7], exec, s[8:9]
	s_cbranch_execnz .LBB40_2233
; %bb.185:
	s_or_saveexec_b64 s[6:7], s[6:7]
	v_mov_b32_e32 v2, s10
	s_xor_b64 exec, exec, s[6:7]
	s_cbranch_execnz .LBB40_2236
.LBB40_186:
	s_or_b64 exec, exec, s[6:7]
	s_and_saveexec_b64 s[6:7], s[4:5]
	s_cbranch_execz .LBB40_188
.LBB40_187:
	v_bfe_u32 v2, v7, 24, 3
	v_ffbh_u32_e32 v12, v2
	v_min_u32_e32 v12, 32, v12
	v_lshrrev_b32_e32 v10, 27, v7
	v_subrev_u32_e32 v13, 28, v12
	v_and_b32_e32 v6, 0x80000000, v7
	v_and_b32_e32 v10, 15, v10
	v_bfe_u32 v11, v7, 27, 4
	v_lshlrev_b32_sdwa v7, v13, v7 dst_sel:DWORD dst_unused:UNUSED_PAD src0_sel:DWORD src1_sel:BYTE_3
	v_sub_u32_e32 v12, 29, v12
	v_and_b32_e32 v7, 7, v7
	v_cmp_eq_u16_e32 vcc, 0, v10
	v_cndmask_b32_e32 v2, v2, v7, vcc
	v_cndmask_b32_e32 v7, v11, v12, vcc
	v_mov_b32_e32 v10, 0x3b800000
	v_lshlrev_b32_e32 v2, 20, v2
	v_lshl_add_u32 v7, v7, 23, v10
	v_or3_b32 v2, v6, v7, v2
.LBB40_188:
	s_or_b64 exec, exec, s[6:7]
	s_movk_i32 s4, 0x7f
	v_cmp_gt_i16_sdwa s[6:7], v3, s4 src0_sel:BYTE_3 src1_sel:DWORD
	s_mov_b64 s[4:5], 0
                                        ; implicit-def: $sgpr10
	s_and_saveexec_b64 s[8:9], s[6:7]
	s_xor_b64 s[6:7], exec, s[8:9]
	s_cbranch_execnz .LBB40_2237
; %bb.189:
	s_or_saveexec_b64 s[6:7], s[6:7]
	v_mov_b32_e32 v6, s10
	s_xor_b64 exec, exec, s[6:7]
	s_cbranch_execnz .LBB40_2240
.LBB40_190:
	s_or_b64 exec, exec, s[6:7]
	s_and_saveexec_b64 s[6:7], s[4:5]
	s_cbranch_execz .LBB40_192
.LBB40_191:
	v_bfe_u32 v6, v3, 24, 3
	v_ffbh_u32_e32 v12, v6
	v_min_u32_e32 v12, 32, v12
	v_lshrrev_b32_e32 v10, 27, v3
	v_subrev_u32_e32 v13, 28, v12
	v_and_b32_e32 v7, 0x80000000, v3
	v_and_b32_e32 v10, 15, v10
	v_bfe_u32 v11, v3, 27, 4
	v_lshlrev_b32_sdwa v3, v13, v3 dst_sel:DWORD dst_unused:UNUSED_PAD src0_sel:DWORD src1_sel:BYTE_3
	v_sub_u32_e32 v12, 29, v12
	v_and_b32_e32 v3, 7, v3
	v_cmp_eq_u16_e32 vcc, 0, v10
	v_cndmask_b32_e32 v3, v6, v3, vcc
	v_cndmask_b32_e32 v6, v11, v12, vcc
	v_mov_b32_e32 v10, 0x3b800000
	v_lshlrev_b32_e32 v3, 20, v3
	v_lshl_add_u32 v6, v6, 23, v10
	v_or3_b32 v6, v7, v6, v3
.LBB40_192:
	s_or_b64 exec, exec, s[6:7]
	s_nop 0
	v_mfma_f32_16x16x4f32 a[0:3], v2, v6, a[0:3]
	s_movk_i32 s4, 0x7f
	v_cmp_gt_i16_sdwa s[6:7], v8, s4 src0_sel:BYTE_0 src1_sel:DWORD
	s_mov_b64 s[4:5], 0
                                        ; implicit-def: $sgpr10
	s_and_saveexec_b64 s[8:9], s[6:7]
	s_xor_b64 s[6:7], exec, s[8:9]
	s_cbranch_execnz .LBB40_2241
; %bb.193:
	s_or_saveexec_b64 s[6:7], s[6:7]
	v_mov_b32_e32 v2, s10
	s_xor_b64 exec, exec, s[6:7]
	s_cbranch_execnz .LBB40_2244
.LBB40_194:
	s_or_b64 exec, exec, s[6:7]
	s_and_saveexec_b64 s[6:7], s[4:5]
	s_cbranch_execz .LBB40_196
.LBB40_195:
	v_and_b32_e32 v2, 7, v8
	v_ffbh_u32_e32 v6, v2
	v_min_u32_e32 v6, 32, v6
	v_lshrrev_b16_e32 v3, 3, v8
	v_subrev_u32_e32 v7, 28, v6
	v_and_b32_e32 v3, 15, v3
	v_lshlrev_b32_e32 v7, v7, v8
	v_sub_u32_e32 v6, 29, v6
	v_and_b32_e32 v7, 7, v7
	v_cmp_eq_u16_e32 vcc, 0, v3
	v_cndmask_b32_e32 v2, v2, v7, vcc
	v_cndmask_b32_e32 v3, v3, v6, vcc
	v_lshlrev_b32_e32 v6, 24, v8
	v_mov_b32_e32 v7, 0x3b800000
	v_lshlrev_b32_e32 v2, 20, v2
	v_and_b32_e32 v6, 0x80000000, v6
	v_lshl_add_u32 v3, v3, 23, v7
	v_or3_b32 v2, v6, v3, v2
.LBB40_196:
	s_or_b64 exec, exec, s[6:7]
	s_movk_i32 s4, 0x7f
	v_cmp_gt_i16_sdwa s[6:7], v4, s4 src0_sel:BYTE_0 src1_sel:DWORD
	s_mov_b64 s[4:5], 0
                                        ; implicit-def: $sgpr10
	s_and_saveexec_b64 s[8:9], s[6:7]
	s_xor_b64 s[6:7], exec, s[8:9]
	s_cbranch_execnz .LBB40_2245
; %bb.197:
	s_or_saveexec_b64 s[6:7], s[6:7]
	v_mov_b32_e32 v3, s10
	s_xor_b64 exec, exec, s[6:7]
	s_cbranch_execnz .LBB40_2248
.LBB40_198:
	s_or_b64 exec, exec, s[6:7]
	s_and_saveexec_b64 s[6:7], s[4:5]
	s_cbranch_execz .LBB40_200
.LBB40_199:
	v_and_b32_e32 v3, 7, v4
	v_ffbh_u32_e32 v7, v3
	v_min_u32_e32 v7, 32, v7
	v_lshrrev_b16_e32 v6, 3, v4
	v_subrev_u32_e32 v10, 28, v7
	v_and_b32_e32 v6, 15, v6
	v_lshlrev_b32_e32 v10, v10, v4
	v_sub_u32_e32 v7, 29, v7
	v_and_b32_e32 v10, 7, v10
	v_cmp_eq_u16_e32 vcc, 0, v6
	v_cndmask_b32_e32 v3, v3, v10, vcc
	v_cndmask_b32_e32 v6, v6, v7, vcc
	v_lshlrev_b32_e32 v7, 24, v4
	v_mov_b32_e32 v10, 0x3b800000
	v_lshlrev_b32_e32 v3, 20, v3
	v_and_b32_e32 v7, 0x80000000, v7
	v_lshl_add_u32 v6, v6, 23, v10
	v_or3_b32 v3, v7, v6, v3
.LBB40_200:
	s_or_b64 exec, exec, s[6:7]
	s_nop 0
	v_mfma_f32_16x16x4f32 a[0:3], v2, v3, a[0:3]
	v_lshrrev_b32_e32 v3, 8, v8
	s_movk_i32 s4, 0x7f
	v_cmp_gt_i16_sdwa s[6:7], v3, s4 src0_sel:BYTE_0 src1_sel:DWORD
	s_mov_b64 s[4:5], 0
                                        ; implicit-def: $sgpr10
	s_and_saveexec_b64 s[8:9], s[6:7]
	s_xor_b64 s[6:7], exec, s[8:9]
	s_cbranch_execnz .LBB40_2249
; %bb.201:
	s_or_saveexec_b64 s[6:7], s[6:7]
	v_mov_b32_e32 v2, s10
	s_xor_b64 exec, exec, s[6:7]
	s_cbranch_execnz .LBB40_2252
.LBB40_202:
	s_or_b64 exec, exec, s[6:7]
	s_and_saveexec_b64 s[6:7], s[4:5]
	s_cbranch_execz .LBB40_204
.LBB40_203:
	v_bfe_u32 v2, v8, 8, 3
	v_ffbh_u32_e32 v7, v2
	v_min_u32_e32 v7, 32, v7
	v_lshrrev_b16_e32 v6, 3, v3
	v_subrev_u32_e32 v10, 28, v7
	v_and_b32_e32 v6, 15, v6
	v_lshlrev_b32_e32 v3, v10, v3
	v_sub_u32_e32 v7, 29, v7
	v_and_b32_e32 v3, 7, v3
	v_cmp_eq_u16_e32 vcc, 0, v6
	v_cndmask_b32_e32 v2, v2, v3, vcc
	v_cndmask_b32_e32 v3, v6, v7, vcc
	v_lshlrev_b32_e32 v6, 16, v8
	v_mov_b32_e32 v7, 0x3b800000
	v_lshlrev_b32_e32 v2, 20, v2
	v_and_b32_e32 v6, 0x80000000, v6
	v_lshl_add_u32 v3, v3, 23, v7
	v_or3_b32 v2, v6, v3, v2
.LBB40_204:
	s_or_b64 exec, exec, s[6:7]
	v_lshrrev_b32_e32 v3, 8, v4
	s_movk_i32 s4, 0x7f
	v_cmp_gt_i16_sdwa s[6:7], v3, s4 src0_sel:BYTE_0 src1_sel:DWORD
	s_mov_b64 s[4:5], 0
                                        ; implicit-def: $sgpr10
	s_and_saveexec_b64 s[8:9], s[6:7]
	s_xor_b64 s[6:7], exec, s[8:9]
	s_cbranch_execnz .LBB40_2253
; %bb.205:
	s_or_saveexec_b64 s[6:7], s[6:7]
	v_mov_b32_e32 v6, s10
	s_xor_b64 exec, exec, s[6:7]
	s_cbranch_execnz .LBB40_2256
.LBB40_206:
	s_or_b64 exec, exec, s[6:7]
	s_and_saveexec_b64 s[6:7], s[4:5]
	s_cbranch_execz .LBB40_208
.LBB40_207:
	v_bfe_u32 v6, v4, 8, 3
	v_ffbh_u32_e32 v10, v6
	v_min_u32_e32 v10, 32, v10
	v_lshrrev_b16_e32 v7, 3, v3
	v_subrev_u32_e32 v11, 28, v10
	v_and_b32_e32 v7, 15, v7
	v_lshlrev_b32_e32 v3, v11, v3
	v_sub_u32_e32 v10, 29, v10
	v_and_b32_e32 v3, 7, v3
	v_cmp_eq_u16_e32 vcc, 0, v7
	v_cndmask_b32_e32 v3, v6, v3, vcc
	v_cndmask_b32_e32 v6, v7, v10, vcc
	v_lshlrev_b32_e32 v7, 16, v4
	v_mov_b32_e32 v10, 0x3b800000
	v_lshlrev_b32_e32 v3, 20, v3
	v_and_b32_e32 v7, 0x80000000, v7
	v_lshl_add_u32 v6, v6, 23, v10
	v_or3_b32 v6, v7, v6, v3
.LBB40_208:
	s_or_b64 exec, exec, s[6:7]
	s_nop 0
	v_mfma_f32_16x16x4f32 a[0:3], v2, v6, a[0:3]
	s_movk_i32 s4, 0xff
	v_and_b32_sdwa v3, v8, s4 dst_sel:DWORD dst_unused:UNUSED_PAD src0_sel:WORD_1 src1_sel:DWORD
	s_movk_i32 s4, 0x7f
	v_cmp_lt_i16_e32 vcc, s4, v3
	s_mov_b64 s[4:5], 0
                                        ; implicit-def: $sgpr10
	s_and_saveexec_b64 s[6:7], vcc
	s_xor_b64 s[6:7], exec, s[6:7]
	s_cbranch_execnz .LBB40_2257
; %bb.209:
	s_or_saveexec_b64 s[6:7], s[6:7]
	v_mov_b32_e32 v2, s10
	s_xor_b64 exec, exec, s[6:7]
	s_cbranch_execnz .LBB40_2260
.LBB40_210:
	s_or_b64 exec, exec, s[6:7]
	s_and_saveexec_b64 s[6:7], s[4:5]
	s_cbranch_execz .LBB40_212
.LBB40_211:
	v_bfe_u32 v2, v8, 16, 3
	v_ffbh_u32_e32 v7, v2
	v_min_u32_e32 v7, 32, v7
	v_lshrrev_b32_e32 v3, 19, v8
	v_subrev_u32_e32 v10, 28, v7
	v_and_b32_e32 v3, 15, v3
	v_lshlrev_b32_sdwa v10, v10, v8 dst_sel:DWORD dst_unused:UNUSED_PAD src0_sel:DWORD src1_sel:WORD_1
	v_bfe_u32 v6, v8, 19, 4
	v_sub_u32_e32 v7, 29, v7
	v_and_b32_e32 v10, 7, v10
	v_cmp_eq_u16_e32 vcc, 0, v3
	v_cndmask_b32_e32 v2, v2, v10, vcc
	v_cndmask_b32_e32 v3, v6, v7, vcc
	v_lshlrev_b32_e32 v6, 8, v8
	v_mov_b32_e32 v7, 0x3b800000
	v_lshlrev_b32_e32 v2, 20, v2
	v_and_b32_e32 v6, 0x80000000, v6
	v_lshl_add_u32 v3, v3, 23, v7
	v_or3_b32 v2, v6, v3, v2
.LBB40_212:
	s_or_b64 exec, exec, s[6:7]
	s_movk_i32 s4, 0xff
	v_and_b32_sdwa v3, v4, s4 dst_sel:DWORD dst_unused:UNUSED_PAD src0_sel:WORD_1 src1_sel:DWORD
	s_movk_i32 s4, 0x7f
	v_cmp_lt_i16_e32 vcc, s4, v3
	s_mov_b64 s[4:5], 0
                                        ; implicit-def: $sgpr10
	s_and_saveexec_b64 s[6:7], vcc
	s_xor_b64 s[6:7], exec, s[6:7]
	s_cbranch_execnz .LBB40_2261
; %bb.213:
	s_or_saveexec_b64 s[6:7], s[6:7]
	v_mov_b32_e32 v6, s10
	s_xor_b64 exec, exec, s[6:7]
	s_cbranch_execnz .LBB40_2264
.LBB40_214:
	s_or_b64 exec, exec, s[6:7]
	s_and_saveexec_b64 s[6:7], s[4:5]
	s_cbranch_execz .LBB40_216
.LBB40_215:
	v_bfe_u32 v3, v4, 16, 3
	v_ffbh_u32_e32 v10, v3
	v_min_u32_e32 v10, 32, v10
	v_lshrrev_b32_e32 v6, 19, v4
	v_subrev_u32_e32 v11, 28, v10
	v_and_b32_e32 v6, 15, v6
	v_lshlrev_b32_sdwa v11, v11, v4 dst_sel:DWORD dst_unused:UNUSED_PAD src0_sel:DWORD src1_sel:WORD_1
	v_bfe_u32 v7, v4, 19, 4
	v_sub_u32_e32 v10, 29, v10
	v_and_b32_e32 v11, 7, v11
	v_cmp_eq_u16_e32 vcc, 0, v6
	v_cndmask_b32_e32 v3, v3, v11, vcc
	v_cndmask_b32_e32 v6, v7, v10, vcc
	v_lshlrev_b32_e32 v7, 8, v4
	v_mov_b32_e32 v10, 0x3b800000
	v_lshlrev_b32_e32 v3, 20, v3
	v_and_b32_e32 v7, 0x80000000, v7
	v_lshl_add_u32 v6, v6, 23, v10
	v_or3_b32 v6, v7, v6, v3
.LBB40_216:
	s_or_b64 exec, exec, s[6:7]
	s_nop 0
	v_mfma_f32_16x16x4f32 a[0:3], v2, v6, a[0:3]
	s_movk_i32 s4, 0x7f
	v_cmp_gt_i16_sdwa s[6:7], v8, s4 src0_sel:BYTE_3 src1_sel:DWORD
	s_mov_b64 s[4:5], 0
                                        ; implicit-def: $sgpr10
	s_and_saveexec_b64 s[8:9], s[6:7]
	s_xor_b64 s[6:7], exec, s[8:9]
	s_cbranch_execnz .LBB40_2265
; %bb.217:
	s_or_saveexec_b64 s[6:7], s[6:7]
	v_mov_b32_e32 v2, s10
	s_xor_b64 exec, exec, s[6:7]
	s_cbranch_execnz .LBB40_2268
.LBB40_218:
	s_or_b64 exec, exec, s[6:7]
	s_and_saveexec_b64 s[6:7], s[4:5]
	s_cbranch_execz .LBB40_220
.LBB40_219:
	v_bfe_u32 v2, v8, 24, 3
	v_ffbh_u32_e32 v10, v2
	v_min_u32_e32 v10, 32, v10
	v_lshrrev_b32_e32 v6, 27, v8
	v_subrev_u32_e32 v11, 28, v10
	v_and_b32_e32 v3, 0x80000000, v8
	v_and_b32_e32 v6, 15, v6
	v_bfe_u32 v7, v8, 27, 4
	v_lshlrev_b32_sdwa v8, v11, v8 dst_sel:DWORD dst_unused:UNUSED_PAD src0_sel:DWORD src1_sel:BYTE_3
	v_sub_u32_e32 v10, 29, v10
	v_and_b32_e32 v8, 7, v8
	v_cmp_eq_u16_e32 vcc, 0, v6
	v_cndmask_b32_e32 v2, v2, v8, vcc
	v_cndmask_b32_e32 v6, v7, v10, vcc
	v_mov_b32_e32 v7, 0x3b800000
	v_lshlrev_b32_e32 v2, 20, v2
	v_lshl_add_u32 v6, v6, 23, v7
	v_or3_b32 v2, v3, v6, v2
.LBB40_220:
	s_or_b64 exec, exec, s[6:7]
	s_movk_i32 s4, 0x7f
	v_cmp_gt_i16_sdwa s[6:7], v4, s4 src0_sel:BYTE_3 src1_sel:DWORD
	s_mov_b64 s[4:5], 0
                                        ; implicit-def: $sgpr10
	s_and_saveexec_b64 s[8:9], s[6:7]
	s_xor_b64 s[6:7], exec, s[8:9]
	s_cbranch_execnz .LBB40_2269
; %bb.221:
	s_or_saveexec_b64 s[6:7], s[6:7]
	v_mov_b32_e32 v3, s10
	s_xor_b64 exec, exec, s[6:7]
	s_cbranch_execnz .LBB40_2272
.LBB40_222:
	s_or_b64 exec, exec, s[6:7]
	s_and_saveexec_b64 s[6:7], s[4:5]
	s_cbranch_execz .LBB40_224
.LBB40_223:
	v_bfe_u32 v3, v4, 24, 3
	v_ffbh_u32_e32 v10, v3
	v_min_u32_e32 v10, 32, v10
	v_lshrrev_b32_e32 v7, 27, v4
	v_subrev_u32_e32 v11, 28, v10
	v_and_b32_e32 v6, 0x80000000, v4
	v_and_b32_e32 v7, 15, v7
	v_bfe_u32 v8, v4, 27, 4
	v_lshlrev_b32_sdwa v4, v11, v4 dst_sel:DWORD dst_unused:UNUSED_PAD src0_sel:DWORD src1_sel:BYTE_3
	v_sub_u32_e32 v10, 29, v10
	v_and_b32_e32 v4, 7, v4
	v_cmp_eq_u16_e32 vcc, 0, v7
	v_cndmask_b32_e32 v3, v3, v4, vcc
	v_cndmask_b32_e32 v4, v8, v10, vcc
	v_mov_b32_e32 v7, 0x3b800000
	v_lshlrev_b32_e32 v3, 20, v3
	v_lshl_add_u32 v4, v4, 23, v7
	v_or3_b32 v3, v6, v4, v3
.LBB40_224:
	s_or_b64 exec, exec, s[6:7]
	s_nop 0
	v_mfma_f32_16x16x4f32 a[0:3], v2, v3, a[0:3]
	s_movk_i32 s4, 0x7f
	v_cmp_gt_i16_sdwa s[6:7], v9, s4 src0_sel:BYTE_0 src1_sel:DWORD
	s_mov_b64 s[4:5], 0
                                        ; implicit-def: $sgpr10
	s_and_saveexec_b64 s[8:9], s[6:7]
	s_xor_b64 s[6:7], exec, s[8:9]
	s_cbranch_execnz .LBB40_2273
; %bb.225:
	s_or_saveexec_b64 s[6:7], s[6:7]
	v_mov_b32_e32 v2, s10
	s_xor_b64 exec, exec, s[6:7]
	s_cbranch_execnz .LBB40_2276
.LBB40_226:
	s_or_b64 exec, exec, s[6:7]
	s_and_saveexec_b64 s[6:7], s[4:5]
	s_cbranch_execz .LBB40_228
.LBB40_227:
	v_mov_b32_e32 v2, 8
	v_and_b32_e32 v3, 7, v9
	v_lshrrev_b32_sdwa v2, v2, v9 dst_sel:BYTE_1 dst_unused:UNUSED_PAD src0_sel:DWORD src1_sel:DWORD
	v_ffbh_u32_e32 v4, v3
	v_or_b32_sdwa v2, v9, v2 dst_sel:DWORD dst_unused:UNUSED_PAD src0_sel:BYTE_0 src1_sel:DWORD
	v_min_u32_e32 v4, 32, v4
	v_lshrrev_b16_e32 v2, 3, v2
	v_subrev_u32_e32 v6, 28, v4
	v_and_b32_e32 v2, 15, v2
	v_lshlrev_b32_e32 v6, v6, v9
	v_sub_u32_e32 v4, 29, v4
	v_and_b32_e32 v6, 7, v6
	v_cmp_eq_u16_e32 vcc, 0, v2
	v_cndmask_b32_e32 v3, v3, v6, vcc
	v_cndmask_b32_e32 v2, v2, v4, vcc
	v_lshlrev_b32_e32 v4, 24, v9
	v_mov_b32_e32 v6, 0x3b800000
	v_lshlrev_b32_e32 v3, 20, v3
	v_and_b32_e32 v4, 0x80000000, v4
	v_lshl_add_u32 v2, v2, 23, v6
	v_or3_b32 v2, v4, v2, v3
.LBB40_228:
	s_or_b64 exec, exec, s[6:7]
	s_movk_i32 s4, 0x7f
	v_cmp_gt_i16_sdwa s[6:7], v5, s4 src0_sel:BYTE_0 src1_sel:DWORD
	s_mov_b64 s[4:5], 0
                                        ; implicit-def: $sgpr10
	s_and_saveexec_b64 s[8:9], s[6:7]
	s_xor_b64 s[6:7], exec, s[8:9]
	s_cbranch_execnz .LBB40_2277
; %bb.229:
	s_or_saveexec_b64 s[6:7], s[6:7]
	v_mov_b32_e32 v3, s10
	s_xor_b64 exec, exec, s[6:7]
	s_cbranch_execnz .LBB40_2280
.LBB40_230:
	s_or_b64 exec, exec, s[6:7]
	s_and_saveexec_b64 s[6:7], s[4:5]
	s_cbranch_execz .LBB40_232
.LBB40_231:
	v_mov_b32_e32 v3, 8
	v_and_b32_e32 v4, 7, v5
	v_lshrrev_b32_sdwa v3, v3, v5 dst_sel:BYTE_1 dst_unused:UNUSED_PAD src0_sel:DWORD src1_sel:DWORD
	v_ffbh_u32_e32 v6, v4
	v_or_b32_sdwa v3, v5, v3 dst_sel:DWORD dst_unused:UNUSED_PAD src0_sel:BYTE_0 src1_sel:DWORD
	v_min_u32_e32 v6, 32, v6
	v_lshrrev_b16_e32 v3, 3, v3
	v_subrev_u32_e32 v7, 28, v6
	v_and_b32_e32 v3, 15, v3
	v_lshlrev_b32_e32 v7, v7, v5
	v_sub_u32_e32 v6, 29, v6
	v_and_b32_e32 v7, 7, v7
	v_cmp_eq_u16_e32 vcc, 0, v3
	v_cndmask_b32_e32 v4, v4, v7, vcc
	v_cndmask_b32_e32 v3, v3, v6, vcc
	v_lshlrev_b32_e32 v6, 24, v5
	v_mov_b32_e32 v7, 0x3b800000
	v_lshlrev_b32_e32 v4, 20, v4
	v_and_b32_e32 v6, 0x80000000, v6
	v_lshl_add_u32 v3, v3, 23, v7
	v_or3_b32 v3, v6, v3, v4
.LBB40_232:
	s_or_b64 exec, exec, s[6:7]
	s_nop 0
	v_mfma_f32_16x16x4f32 a[0:3], v2, v3, a[0:3]
	v_lshrrev_b32_e32 v3, 8, v9
	s_movk_i32 s4, 0x7f
	v_cmp_gt_i16_sdwa s[6:7], v3, s4 src0_sel:BYTE_0 src1_sel:DWORD
	s_mov_b64 s[4:5], 0
                                        ; implicit-def: $sgpr10
	s_and_saveexec_b64 s[8:9], s[6:7]
	s_xor_b64 s[6:7], exec, s[8:9]
	s_cbranch_execnz .LBB40_2281
; %bb.233:
	s_or_saveexec_b64 s[6:7], s[6:7]
	v_mov_b32_e32 v2, s10
	s_xor_b64 exec, exec, s[6:7]
	s_cbranch_execnz .LBB40_2284
.LBB40_234:
	s_or_b64 exec, exec, s[6:7]
	s_and_saveexec_b64 s[6:7], s[4:5]
	s_cbranch_execz .LBB40_236
.LBB40_235:
	v_bfe_u32 v2, v9, 8, 3
	v_ffbh_u32_e32 v6, v2
	v_min_u32_e32 v6, 32, v6
	v_lshrrev_b16_e32 v4, 3, v3
	v_subrev_u32_e32 v7, 28, v6
	v_and_b32_e32 v4, 15, v4
	v_lshlrev_b32_e32 v3, v7, v3
	v_sub_u32_e32 v6, 29, v6
	v_and_b32_e32 v3, 7, v3
	v_cmp_eq_u16_e32 vcc, 0, v4
	v_cndmask_b32_e32 v2, v2, v3, vcc
	v_cndmask_b32_e32 v3, v4, v6, vcc
	v_lshlrev_b32_e32 v4, 16, v9
	v_mov_b32_e32 v6, 0x3b800000
	v_lshlrev_b32_e32 v2, 20, v2
	v_and_b32_e32 v4, 0x80000000, v4
	v_lshl_add_u32 v3, v3, 23, v6
	v_or3_b32 v2, v4, v3, v2
.LBB40_236:
	s_or_b64 exec, exec, s[6:7]
	v_lshrrev_b32_e32 v3, 8, v5
	s_movk_i32 s4, 0x7f
	v_cmp_gt_i16_sdwa s[6:7], v3, s4 src0_sel:BYTE_0 src1_sel:DWORD
	s_mov_b64 s[4:5], 0
                                        ; implicit-def: $sgpr10
	s_and_saveexec_b64 s[8:9], s[6:7]
	s_xor_b64 s[6:7], exec, s[8:9]
	s_cbranch_execnz .LBB40_2285
; %bb.237:
	s_or_saveexec_b64 s[6:7], s[6:7]
	v_mov_b32_e32 v4, s10
	s_xor_b64 exec, exec, s[6:7]
	s_cbranch_execnz .LBB40_2288
.LBB40_238:
	s_or_b64 exec, exec, s[6:7]
	s_and_saveexec_b64 s[6:7], s[4:5]
	s_cbranch_execz .LBB40_240
.LBB40_239:
	v_bfe_u32 v4, v5, 8, 3
	v_ffbh_u32_e32 v7, v4
	v_min_u32_e32 v7, 32, v7
	v_lshrrev_b16_e32 v6, 3, v3
	v_subrev_u32_e32 v8, 28, v7
	v_and_b32_e32 v6, 15, v6
	v_lshlrev_b32_e32 v3, v8, v3
	v_sub_u32_e32 v7, 29, v7
	v_and_b32_e32 v3, 7, v3
	v_cmp_eq_u16_e32 vcc, 0, v6
	v_cndmask_b32_e32 v3, v4, v3, vcc
	v_cndmask_b32_e32 v4, v6, v7, vcc
	v_lshlrev_b32_e32 v6, 16, v5
	v_mov_b32_e32 v7, 0x3b800000
	v_lshlrev_b32_e32 v3, 20, v3
	v_and_b32_e32 v6, 0x80000000, v6
	v_lshl_add_u32 v4, v4, 23, v7
	v_or3_b32 v4, v6, v4, v3
.LBB40_240:
	s_or_b64 exec, exec, s[6:7]
	s_nop 0
	v_mfma_f32_16x16x4f32 a[0:3], v2, v4, a[0:3]
	s_movk_i32 s4, 0xff
	v_and_b32_sdwa v3, v9, s4 dst_sel:DWORD dst_unused:UNUSED_PAD src0_sel:WORD_1 src1_sel:DWORD
	s_movk_i32 s4, 0x7f
	v_cmp_lt_i16_e32 vcc, s4, v3
	s_mov_b64 s[4:5], 0
                                        ; implicit-def: $sgpr10
	s_and_saveexec_b64 s[6:7], vcc
	s_xor_b64 s[6:7], exec, s[6:7]
	s_cbranch_execnz .LBB40_2289
; %bb.241:
	s_or_saveexec_b64 s[6:7], s[6:7]
	v_mov_b32_e32 v2, s10
	s_xor_b64 exec, exec, s[6:7]
	s_cbranch_execnz .LBB40_2292
.LBB40_242:
	s_or_b64 exec, exec, s[6:7]
	s_and_saveexec_b64 s[6:7], s[4:5]
	s_cbranch_execz .LBB40_244
.LBB40_243:
	v_bfe_u32 v2, v9, 16, 3
	v_ffbh_u32_e32 v6, v2
	v_min_u32_e32 v6, 32, v6
	v_lshrrev_b32_e32 v3, 19, v9
	v_subrev_u32_e32 v7, 28, v6
	v_and_b32_e32 v3, 15, v3
	v_lshlrev_b32_sdwa v7, v7, v9 dst_sel:DWORD dst_unused:UNUSED_PAD src0_sel:DWORD src1_sel:WORD_1
	v_bfe_u32 v4, v9, 19, 4
	v_sub_u32_e32 v6, 29, v6
	v_and_b32_e32 v7, 7, v7
	v_cmp_eq_u16_e32 vcc, 0, v3
	v_cndmask_b32_e32 v2, v2, v7, vcc
	v_cndmask_b32_e32 v3, v4, v6, vcc
	v_lshlrev_b32_e32 v4, 8, v9
	v_mov_b32_e32 v6, 0x3b800000
	v_lshlrev_b32_e32 v2, 20, v2
	v_and_b32_e32 v4, 0x80000000, v4
	v_lshl_add_u32 v3, v3, 23, v6
	v_or3_b32 v2, v4, v3, v2
.LBB40_244:
	s_or_b64 exec, exec, s[6:7]
	s_movk_i32 s4, 0xff
	v_and_b32_sdwa v3, v5, s4 dst_sel:DWORD dst_unused:UNUSED_PAD src0_sel:WORD_1 src1_sel:DWORD
	s_movk_i32 s4, 0x7f
	v_cmp_lt_i16_e32 vcc, s4, v3
	s_mov_b64 s[4:5], 0
                                        ; implicit-def: $sgpr10
	s_and_saveexec_b64 s[6:7], vcc
	s_xor_b64 s[6:7], exec, s[6:7]
	s_cbranch_execnz .LBB40_2293
; %bb.245:
	s_or_saveexec_b64 s[6:7], s[6:7]
	v_mov_b32_e32 v4, s10
	s_xor_b64 exec, exec, s[6:7]
	s_cbranch_execnz .LBB40_2296
.LBB40_246:
	s_or_b64 exec, exec, s[6:7]
	s_and_saveexec_b64 s[6:7], s[4:5]
	s_cbranch_execz .LBB40_248
.LBB40_247:
	v_bfe_u32 v3, v5, 16, 3
	v_ffbh_u32_e32 v7, v3
	v_min_u32_e32 v7, 32, v7
	v_lshrrev_b32_e32 v4, 19, v5
	v_subrev_u32_e32 v8, 28, v7
	v_and_b32_e32 v4, 15, v4
	v_lshlrev_b32_sdwa v8, v8, v5 dst_sel:DWORD dst_unused:UNUSED_PAD src0_sel:DWORD src1_sel:WORD_1
	v_bfe_u32 v6, v5, 19, 4
	v_sub_u32_e32 v7, 29, v7
	v_and_b32_e32 v8, 7, v8
	v_cmp_eq_u16_e32 vcc, 0, v4
	v_cndmask_b32_e32 v3, v3, v8, vcc
	v_cndmask_b32_e32 v4, v6, v7, vcc
	v_lshlrev_b32_e32 v6, 8, v5
	v_mov_b32_e32 v7, 0x3b800000
	v_lshlrev_b32_e32 v3, 20, v3
	v_and_b32_e32 v6, 0x80000000, v6
	v_lshl_add_u32 v4, v4, 23, v7
	v_or3_b32 v4, v6, v4, v3
.LBB40_248:
	s_or_b64 exec, exec, s[6:7]
	s_nop 0
	v_mfma_f32_16x16x4f32 a[0:3], v2, v4, a[0:3]
	s_movk_i32 s4, 0x7f
	v_cmp_gt_i16_sdwa s[6:7], v9, s4 src0_sel:BYTE_3 src1_sel:DWORD
	s_mov_b64 s[4:5], 0
                                        ; implicit-def: $sgpr10
	s_and_saveexec_b64 s[8:9], s[6:7]
	s_xor_b64 s[6:7], exec, s[8:9]
	s_cbranch_execnz .LBB40_2297
; %bb.249:
	s_or_saveexec_b64 s[6:7], s[6:7]
	v_mov_b32_e32 v2, s10
	s_xor_b64 exec, exec, s[6:7]
	s_cbranch_execnz .LBB40_2300
.LBB40_250:
	s_or_b64 exec, exec, s[6:7]
	s_and_saveexec_b64 s[6:7], s[4:5]
	s_cbranch_execz .LBB40_252
.LBB40_251:
	v_bfe_u32 v2, v9, 24, 3
	v_ffbh_u32_e32 v7, v2
	v_min_u32_e32 v7, 32, v7
	v_lshrrev_b32_e32 v4, 27, v9
	v_subrev_u32_e32 v8, 28, v7
	v_and_b32_e32 v4, 15, v4
	v_lshlrev_b32_sdwa v8, v8, v9 dst_sel:DWORD dst_unused:UNUSED_PAD src0_sel:DWORD src1_sel:BYTE_3
	v_bfe_u32 v6, v9, 27, 4
	v_sub_u32_e32 v7, 29, v7
	v_and_b32_e32 v8, 7, v8
	v_cmp_eq_u16_e32 vcc, 0, v4
	v_cndmask_b32_e32 v2, v2, v8, vcc
	v_cndmask_b32_e32 v4, v6, v7, vcc
	v_mov_b32_e32 v6, 0x3b800000
	v_and_b32_e32 v3, 0x80000000, v9
	v_lshlrev_b32_e32 v2, 20, v2
	v_lshl_add_u32 v4, v4, 23, v6
	v_or3_b32 v2, v3, v4, v2
.LBB40_252:
	s_or_b64 exec, exec, s[6:7]
	s_movk_i32 s4, 0x7f
	v_cmp_gt_i16_sdwa s[6:7], v5, s4 src0_sel:BYTE_3 src1_sel:DWORD
	s_mov_b64 s[4:5], 0
                                        ; implicit-def: $sgpr10
	s_and_saveexec_b64 s[8:9], s[6:7]
	s_xor_b64 s[6:7], exec, s[8:9]
	s_cbranch_execnz .LBB40_2301
; %bb.253:
	s_or_saveexec_b64 s[6:7], s[6:7]
	v_mov_b32_e32 v3, s10
	s_xor_b64 exec, exec, s[6:7]
	s_cbranch_execnz .LBB40_2304
.LBB40_254:
	s_or_b64 exec, exec, s[6:7]
	s_and_saveexec_b64 s[6:7], s[4:5]
	s_cbranch_execz .LBB40_256
.LBB40_255:
	v_bfe_u32 v3, v5, 24, 3
	v_ffbh_u32_e32 v8, v3
	v_min_u32_e32 v8, 32, v8
	v_lshrrev_b32_e32 v6, 27, v5
	v_subrev_u32_e32 v9, 28, v8
	v_and_b32_e32 v4, 0x80000000, v5
	v_and_b32_e32 v6, 15, v6
	v_bfe_u32 v7, v5, 27, 4
	v_lshlrev_b32_sdwa v5, v9, v5 dst_sel:DWORD dst_unused:UNUSED_PAD src0_sel:DWORD src1_sel:BYTE_3
	v_sub_u32_e32 v8, 29, v8
	v_and_b32_e32 v5, 7, v5
	v_cmp_eq_u16_e32 vcc, 0, v6
	v_cndmask_b32_e32 v3, v3, v5, vcc
	v_cndmask_b32_e32 v5, v7, v8, vcc
	v_mov_b32_e32 v6, 0x3b800000
	v_lshlrev_b32_e32 v3, 20, v3
	v_lshl_add_u32 v5, v5, 23, v6
	v_or3_b32 v3, v4, v5, v3
.LBB40_256:
	s_or_b64 exec, exec, s[6:7]
	s_nop 0
	v_mfma_f32_16x16x4f32 a[0:3], v2, v3, a[0:3]
	s_movk_i32 s4, 0x7f
                                        ; implicit-def: $sgpr10
	s_nop 7
	s_nop 1
	flat_store_dwordx4 v[18:19], a[0:3] offset:512
	flat_load_dwordx4 v[20:23], v[0:1] offset:16
	s_nop 0
	flat_load_dwordx2 v[18:19], v[0:1] offset:32
	s_waitcnt vmcnt(0) lgkmcnt(0)
	flat_load_dwordx4 v[14:17], v[20:21]
	flat_load_dwordx4 v[6:9], v[20:21] offset:16
	flat_load_dwordx4 v[10:13], v[22:23] offset:288
	;; [unrolled: 1-line block ×3, first 2 shown]
	s_waitcnt vmcnt(0) lgkmcnt(0)
	v_cmp_gt_i16_sdwa s[6:7], v14, s4 src0_sel:BYTE_0 src1_sel:DWORD
	s_mov_b64 s[4:5], 0
	s_and_saveexec_b64 s[8:9], s[6:7]
	s_xor_b64 s[6:7], exec, s[8:9]
	s_cbranch_execnz .LBB40_2305
; %bb.257:
	s_or_saveexec_b64 s[6:7], s[6:7]
	v_mov_b32_e32 v20, s10
	s_xor_b64 exec, exec, s[6:7]
	s_cbranch_execnz .LBB40_2308
.LBB40_258:
	s_or_b64 exec, exec, s[6:7]
	s_and_saveexec_b64 s[6:7], s[4:5]
	s_cbranch_execz .LBB40_260
.LBB40_259:
	v_and_b32_e32 v20, 7, v14
	v_ffbh_u32_e32 v22, v20
	v_min_u32_e32 v22, 32, v22
	v_lshrrev_b16_e32 v21, 3, v14
	v_subrev_u32_e32 v23, 28, v22
	v_and_b32_e32 v21, 15, v21
	v_lshlrev_b32_e32 v23, v23, v14
	v_sub_u32_e32 v22, 29, v22
	v_and_b32_e32 v23, 7, v23
	v_cmp_eq_u16_e32 vcc, 0, v21
	v_cndmask_b32_e32 v20, v20, v23, vcc
	v_cndmask_b32_e32 v21, v21, v22, vcc
	v_lshlrev_b32_e32 v22, 24, v14
	v_mov_b32_e32 v23, 0x3b800000
	v_lshlrev_b32_e32 v20, 20, v20
	v_and_b32_e32 v22, 0x80000000, v22
	v_lshl_add_u32 v21, v21, 23, v23
	v_or3_b32 v20, v22, v21, v20
.LBB40_260:
	s_or_b64 exec, exec, s[6:7]
	s_movk_i32 s4, 0x7f
	v_cmp_gt_i16_sdwa s[6:7], v10, s4 src0_sel:BYTE_0 src1_sel:DWORD
	s_mov_b64 s[4:5], 0
                                        ; implicit-def: $sgpr10
	s_and_saveexec_b64 s[8:9], s[6:7]
	s_xor_b64 s[6:7], exec, s[8:9]
	s_cbranch_execnz .LBB40_2309
; %bb.261:
	s_or_saveexec_b64 s[6:7], s[6:7]
	v_mov_b32_e32 v21, s10
	s_xor_b64 exec, exec, s[6:7]
	s_cbranch_execnz .LBB40_2312
.LBB40_262:
	s_or_b64 exec, exec, s[6:7]
	s_and_saveexec_b64 s[6:7], s[4:5]
	s_cbranch_execz .LBB40_264
.LBB40_263:
	v_and_b32_e32 v21, 7, v10
	v_ffbh_u32_e32 v23, v21
	v_min_u32_e32 v23, 32, v23
	v_lshrrev_b16_e32 v22, 3, v10
	v_subrev_u32_e32 v24, 28, v23
	v_and_b32_e32 v22, 15, v22
	v_lshlrev_b32_e32 v24, v24, v10
	v_sub_u32_e32 v23, 29, v23
	v_and_b32_e32 v24, 7, v24
	v_cmp_eq_u16_e32 vcc, 0, v22
	v_cndmask_b32_e32 v21, v21, v24, vcc
	v_cndmask_b32_e32 v22, v22, v23, vcc
	v_lshlrev_b32_e32 v23, 24, v10
	v_mov_b32_e32 v24, 0x3b800000
	v_lshlrev_b32_e32 v21, 20, v21
	v_and_b32_e32 v23, 0x80000000, v23
	v_lshl_add_u32 v22, v22, 23, v24
	v_or3_b32 v21, v23, v22, v21
.LBB40_264:
	s_or_b64 exec, exec, s[6:7]
	flat_load_dwordx4 a[0:3], v[18:19] offset:528
	s_movk_i32 s4, 0x7f
                                        ; implicit-def: $sgpr10
	s_waitcnt vmcnt(0) lgkmcnt(0)
	v_mfma_f32_16x16x4f32 a[0:3], v20, v21, a[0:3]
	v_lshrrev_b32_e32 v21, 8, v14
	v_cmp_gt_i16_sdwa s[6:7], v21, s4 src0_sel:BYTE_0 src1_sel:DWORD
	s_mov_b64 s[4:5], 0
	s_and_saveexec_b64 s[8:9], s[6:7]
	s_xor_b64 s[6:7], exec, s[8:9]
	s_cbranch_execnz .LBB40_2313
; %bb.265:
	s_or_saveexec_b64 s[6:7], s[6:7]
	v_mov_b32_e32 v20, s10
	s_xor_b64 exec, exec, s[6:7]
	s_cbranch_execnz .LBB40_2316
.LBB40_266:
	s_or_b64 exec, exec, s[6:7]
	s_and_saveexec_b64 s[6:7], s[4:5]
	s_cbranch_execz .LBB40_268
.LBB40_267:
	v_bfe_u32 v20, v14, 8, 3
	v_ffbh_u32_e32 v23, v20
	v_min_u32_e32 v23, 32, v23
	v_lshrrev_b16_e32 v22, 3, v21
	v_subrev_u32_e32 v24, 28, v23
	v_and_b32_e32 v22, 15, v22
	v_lshlrev_b32_e32 v21, v24, v21
	v_sub_u32_e32 v23, 29, v23
	v_and_b32_e32 v21, 7, v21
	v_cmp_eq_u16_e32 vcc, 0, v22
	v_cndmask_b32_e32 v20, v20, v21, vcc
	v_cndmask_b32_e32 v21, v22, v23, vcc
	v_lshlrev_b32_e32 v22, 16, v14
	v_mov_b32_e32 v23, 0x3b800000
	v_lshlrev_b32_e32 v20, 20, v20
	v_and_b32_e32 v22, 0x80000000, v22
	v_lshl_add_u32 v21, v21, 23, v23
	v_or3_b32 v20, v22, v21, v20
.LBB40_268:
	s_or_b64 exec, exec, s[6:7]
	v_lshrrev_b32_e32 v21, 8, v10
	s_movk_i32 s4, 0x7f
	v_cmp_gt_i16_sdwa s[6:7], v21, s4 src0_sel:BYTE_0 src1_sel:DWORD
	s_mov_b64 s[4:5], 0
                                        ; implicit-def: $sgpr10
	s_and_saveexec_b64 s[8:9], s[6:7]
	s_xor_b64 s[6:7], exec, s[8:9]
	s_cbranch_execnz .LBB40_2317
; %bb.269:
	s_or_saveexec_b64 s[6:7], s[6:7]
	v_mov_b32_e32 v22, s10
	s_xor_b64 exec, exec, s[6:7]
	s_cbranch_execnz .LBB40_2320
.LBB40_270:
	s_or_b64 exec, exec, s[6:7]
	s_and_saveexec_b64 s[6:7], s[4:5]
	s_cbranch_execz .LBB40_272
.LBB40_271:
	v_bfe_u32 v22, v10, 8, 3
	v_ffbh_u32_e32 v24, v22
	v_min_u32_e32 v24, 32, v24
	v_lshrrev_b16_e32 v23, 3, v21
	v_subrev_u32_e32 v25, 28, v24
	v_and_b32_e32 v23, 15, v23
	v_lshlrev_b32_e32 v21, v25, v21
	v_sub_u32_e32 v24, 29, v24
	v_and_b32_e32 v21, 7, v21
	v_cmp_eq_u16_e32 vcc, 0, v23
	v_cndmask_b32_e32 v21, v22, v21, vcc
	v_cndmask_b32_e32 v22, v23, v24, vcc
	v_lshlrev_b32_e32 v23, 16, v10
	v_mov_b32_e32 v24, 0x3b800000
	v_lshlrev_b32_e32 v21, 20, v21
	v_and_b32_e32 v23, 0x80000000, v23
	v_lshl_add_u32 v22, v22, 23, v24
	v_or3_b32 v22, v23, v22, v21
.LBB40_272:
	s_or_b64 exec, exec, s[6:7]
	s_nop 0
	v_mfma_f32_16x16x4f32 a[0:3], v20, v22, a[0:3]
	s_movk_i32 s4, 0xff
	v_and_b32_sdwa v21, v14, s4 dst_sel:DWORD dst_unused:UNUSED_PAD src0_sel:WORD_1 src1_sel:DWORD
	s_movk_i32 s4, 0x7f
	v_cmp_lt_i16_e32 vcc, s4, v21
	s_mov_b64 s[4:5], 0
                                        ; implicit-def: $sgpr10
	s_and_saveexec_b64 s[6:7], vcc
	s_xor_b64 s[6:7], exec, s[6:7]
	s_cbranch_execnz .LBB40_2321
; %bb.273:
	s_or_saveexec_b64 s[6:7], s[6:7]
	v_mov_b32_e32 v20, s10
	s_xor_b64 exec, exec, s[6:7]
	s_cbranch_execnz .LBB40_2324
.LBB40_274:
	s_or_b64 exec, exec, s[6:7]
	s_and_saveexec_b64 s[6:7], s[4:5]
	s_cbranch_execz .LBB40_276
.LBB40_275:
	v_bfe_u32 v20, v14, 16, 3
	v_ffbh_u32_e32 v23, v20
	v_min_u32_e32 v23, 32, v23
	v_lshrrev_b32_e32 v21, 19, v14
	v_subrev_u32_e32 v24, 28, v23
	v_and_b32_e32 v21, 15, v21
	v_lshlrev_b32_sdwa v24, v24, v14 dst_sel:DWORD dst_unused:UNUSED_PAD src0_sel:DWORD src1_sel:WORD_1
	v_bfe_u32 v22, v14, 19, 4
	v_sub_u32_e32 v23, 29, v23
	v_and_b32_e32 v24, 7, v24
	v_cmp_eq_u16_e32 vcc, 0, v21
	v_cndmask_b32_e32 v20, v20, v24, vcc
	v_cndmask_b32_e32 v21, v22, v23, vcc
	v_lshlrev_b32_e32 v22, 8, v14
	v_mov_b32_e32 v23, 0x3b800000
	v_lshlrev_b32_e32 v20, 20, v20
	v_and_b32_e32 v22, 0x80000000, v22
	v_lshl_add_u32 v21, v21, 23, v23
	v_or3_b32 v20, v22, v21, v20
.LBB40_276:
	s_or_b64 exec, exec, s[6:7]
	s_movk_i32 s4, 0xff
	v_and_b32_sdwa v21, v10, s4 dst_sel:DWORD dst_unused:UNUSED_PAD src0_sel:WORD_1 src1_sel:DWORD
	s_movk_i32 s4, 0x7f
	v_cmp_lt_i16_e32 vcc, s4, v21
	s_mov_b64 s[4:5], 0
                                        ; implicit-def: $sgpr10
	s_and_saveexec_b64 s[6:7], vcc
	s_xor_b64 s[6:7], exec, s[6:7]
	s_cbranch_execnz .LBB40_2325
; %bb.277:
	s_or_saveexec_b64 s[6:7], s[6:7]
	v_mov_b32_e32 v22, s10
	s_xor_b64 exec, exec, s[6:7]
	s_cbranch_execnz .LBB40_2328
.LBB40_278:
	s_or_b64 exec, exec, s[6:7]
	s_and_saveexec_b64 s[6:7], s[4:5]
	s_cbranch_execz .LBB40_280
.LBB40_279:
	v_bfe_u32 v21, v10, 16, 3
	v_ffbh_u32_e32 v24, v21
	v_min_u32_e32 v24, 32, v24
	v_lshrrev_b32_e32 v22, 19, v10
	v_subrev_u32_e32 v25, 28, v24
	v_and_b32_e32 v22, 15, v22
	v_lshlrev_b32_sdwa v25, v25, v10 dst_sel:DWORD dst_unused:UNUSED_PAD src0_sel:DWORD src1_sel:WORD_1
	v_bfe_u32 v23, v10, 19, 4
	v_sub_u32_e32 v24, 29, v24
	v_and_b32_e32 v25, 7, v25
	v_cmp_eq_u16_e32 vcc, 0, v22
	v_cndmask_b32_e32 v21, v21, v25, vcc
	v_cndmask_b32_e32 v22, v23, v24, vcc
	v_lshlrev_b32_e32 v23, 8, v10
	v_mov_b32_e32 v24, 0x3b800000
	v_lshlrev_b32_e32 v21, 20, v21
	v_and_b32_e32 v23, 0x80000000, v23
	v_lshl_add_u32 v22, v22, 23, v24
	v_or3_b32 v22, v23, v22, v21
.LBB40_280:
	s_or_b64 exec, exec, s[6:7]
	s_nop 0
	v_mfma_f32_16x16x4f32 a[0:3], v20, v22, a[0:3]
	s_movk_i32 s4, 0x7f
	v_cmp_gt_i16_sdwa s[6:7], v14, s4 src0_sel:BYTE_3 src1_sel:DWORD
	s_mov_b64 s[4:5], 0
                                        ; implicit-def: $sgpr10
	s_and_saveexec_b64 s[8:9], s[6:7]
	s_xor_b64 s[6:7], exec, s[8:9]
	s_cbranch_execnz .LBB40_2329
; %bb.281:
	s_or_saveexec_b64 s[6:7], s[6:7]
	v_mov_b32_e32 v20, s10
	s_xor_b64 exec, exec, s[6:7]
	s_cbranch_execnz .LBB40_2332
.LBB40_282:
	s_or_b64 exec, exec, s[6:7]
	s_and_saveexec_b64 s[6:7], s[4:5]
	s_cbranch_execz .LBB40_284
.LBB40_283:
	v_bfe_u32 v20, v14, 24, 3
	v_ffbh_u32_e32 v24, v20
	v_min_u32_e32 v24, 32, v24
	v_lshrrev_b32_e32 v22, 27, v14
	v_subrev_u32_e32 v25, 28, v24
	v_and_b32_e32 v21, 0x80000000, v14
	v_and_b32_e32 v22, 15, v22
	v_bfe_u32 v23, v14, 27, 4
	v_lshlrev_b32_sdwa v14, v25, v14 dst_sel:DWORD dst_unused:UNUSED_PAD src0_sel:DWORD src1_sel:BYTE_3
	v_sub_u32_e32 v24, 29, v24
	v_and_b32_e32 v14, 7, v14
	v_cmp_eq_u16_e32 vcc, 0, v22
	v_cndmask_b32_e32 v14, v20, v14, vcc
	v_cndmask_b32_e32 v20, v23, v24, vcc
	v_mov_b32_e32 v22, 0x3b800000
	v_lshlrev_b32_e32 v14, 20, v14
	v_lshl_add_u32 v20, v20, 23, v22
	v_or3_b32 v20, v21, v20, v14
.LBB40_284:
	s_or_b64 exec, exec, s[6:7]
	s_movk_i32 s4, 0x7f
	v_cmp_gt_i16_sdwa s[6:7], v10, s4 src0_sel:BYTE_3 src1_sel:DWORD
	s_mov_b64 s[4:5], 0
                                        ; implicit-def: $sgpr10
	s_and_saveexec_b64 s[8:9], s[6:7]
	s_xor_b64 s[6:7], exec, s[8:9]
	s_cbranch_execnz .LBB40_2333
; %bb.285:
	s_or_saveexec_b64 s[6:7], s[6:7]
	v_mov_b32_e32 v14, s10
	s_xor_b64 exec, exec, s[6:7]
	s_cbranch_execnz .LBB40_2336
.LBB40_286:
	s_or_b64 exec, exec, s[6:7]
	s_and_saveexec_b64 s[6:7], s[4:5]
	s_cbranch_execz .LBB40_288
.LBB40_287:
	v_bfe_u32 v14, v10, 24, 3
	v_ffbh_u32_e32 v24, v14
	v_min_u32_e32 v24, 32, v24
	v_lshrrev_b32_e32 v22, 27, v10
	v_subrev_u32_e32 v25, 28, v24
	v_and_b32_e32 v21, 0x80000000, v10
	v_and_b32_e32 v22, 15, v22
	v_bfe_u32 v23, v10, 27, 4
	v_lshlrev_b32_sdwa v10, v25, v10 dst_sel:DWORD dst_unused:UNUSED_PAD src0_sel:DWORD src1_sel:BYTE_3
	v_sub_u32_e32 v24, 29, v24
	v_and_b32_e32 v10, 7, v10
	v_cmp_eq_u16_e32 vcc, 0, v22
	v_cndmask_b32_e32 v10, v14, v10, vcc
	v_cndmask_b32_e32 v14, v23, v24, vcc
	v_mov_b32_e32 v22, 0x3b800000
	v_lshlrev_b32_e32 v10, 20, v10
	v_lshl_add_u32 v14, v14, 23, v22
	v_or3_b32 v14, v21, v14, v10
.LBB40_288:
	s_or_b64 exec, exec, s[6:7]
	s_nop 0
	v_mfma_f32_16x16x4f32 a[0:3], v20, v14, a[0:3]
	s_movk_i32 s4, 0x7f
	v_cmp_gt_i16_sdwa s[6:7], v15, s4 src0_sel:BYTE_0 src1_sel:DWORD
	s_mov_b64 s[4:5], 0
                                        ; implicit-def: $sgpr10
	s_and_saveexec_b64 s[8:9], s[6:7]
	s_xor_b64 s[6:7], exec, s[8:9]
	s_cbranch_execnz .LBB40_2337
; %bb.289:
	s_or_saveexec_b64 s[6:7], s[6:7]
	v_mov_b32_e32 v10, s10
	s_xor_b64 exec, exec, s[6:7]
	s_cbranch_execnz .LBB40_2340
.LBB40_290:
	s_or_b64 exec, exec, s[6:7]
	s_and_saveexec_b64 s[6:7], s[4:5]
	s_cbranch_execz .LBB40_292
.LBB40_291:
	v_and_b32_e32 v10, 7, v15
	v_ffbh_u32_e32 v20, v10
	v_min_u32_e32 v20, 32, v20
	v_lshrrev_b16_e32 v14, 3, v15
	v_subrev_u32_e32 v21, 28, v20
	v_and_b32_e32 v14, 15, v14
	v_lshlrev_b32_e32 v21, v21, v15
	v_sub_u32_e32 v20, 29, v20
	v_and_b32_e32 v21, 7, v21
	v_cmp_eq_u16_e32 vcc, 0, v14
	v_cndmask_b32_e32 v10, v10, v21, vcc
	v_cndmask_b32_e32 v14, v14, v20, vcc
	v_lshlrev_b32_e32 v20, 24, v15
	v_mov_b32_e32 v21, 0x3b800000
	v_lshlrev_b32_e32 v10, 20, v10
	v_and_b32_e32 v20, 0x80000000, v20
	v_lshl_add_u32 v14, v14, 23, v21
	v_or3_b32 v10, v20, v14, v10
.LBB40_292:
	s_or_b64 exec, exec, s[6:7]
	s_movk_i32 s4, 0x7f
	v_cmp_gt_i16_sdwa s[6:7], v11, s4 src0_sel:BYTE_0 src1_sel:DWORD
	s_mov_b64 s[4:5], 0
                                        ; implicit-def: $sgpr10
	s_and_saveexec_b64 s[8:9], s[6:7]
	s_xor_b64 s[6:7], exec, s[8:9]
	s_cbranch_execnz .LBB40_2341
; %bb.293:
	s_or_saveexec_b64 s[6:7], s[6:7]
	v_mov_b32_e32 v14, s10
	s_xor_b64 exec, exec, s[6:7]
	s_cbranch_execnz .LBB40_2344
.LBB40_294:
	s_or_b64 exec, exec, s[6:7]
	s_and_saveexec_b64 s[6:7], s[4:5]
	s_cbranch_execz .LBB40_296
.LBB40_295:
	v_and_b32_e32 v14, 7, v11
	v_ffbh_u32_e32 v21, v14
	v_min_u32_e32 v21, 32, v21
	v_lshrrev_b16_e32 v20, 3, v11
	v_subrev_u32_e32 v22, 28, v21
	v_and_b32_e32 v20, 15, v20
	v_lshlrev_b32_e32 v22, v22, v11
	v_sub_u32_e32 v21, 29, v21
	v_and_b32_e32 v22, 7, v22
	v_cmp_eq_u16_e32 vcc, 0, v20
	v_cndmask_b32_e32 v14, v14, v22, vcc
	v_cndmask_b32_e32 v20, v20, v21, vcc
	v_lshlrev_b32_e32 v21, 24, v11
	v_mov_b32_e32 v22, 0x3b800000
	v_lshlrev_b32_e32 v14, 20, v14
	v_and_b32_e32 v21, 0x80000000, v21
	v_lshl_add_u32 v20, v20, 23, v22
	v_or3_b32 v14, v21, v20, v14
.LBB40_296:
	s_or_b64 exec, exec, s[6:7]
	s_nop 0
	v_mfma_f32_16x16x4f32 a[0:3], v10, v14, a[0:3]
	v_lshrrev_b32_e32 v14, 8, v15
	s_movk_i32 s4, 0x7f
	v_cmp_gt_i16_sdwa s[6:7], v14, s4 src0_sel:BYTE_0 src1_sel:DWORD
	s_mov_b64 s[4:5], 0
                                        ; implicit-def: $sgpr10
	s_and_saveexec_b64 s[8:9], s[6:7]
	s_xor_b64 s[6:7], exec, s[8:9]
	s_cbranch_execnz .LBB40_2345
; %bb.297:
	s_or_saveexec_b64 s[6:7], s[6:7]
	v_mov_b32_e32 v10, s10
	s_xor_b64 exec, exec, s[6:7]
	s_cbranch_execnz .LBB40_2348
.LBB40_298:
	s_or_b64 exec, exec, s[6:7]
	s_and_saveexec_b64 s[6:7], s[4:5]
	s_cbranch_execz .LBB40_300
.LBB40_299:
	v_bfe_u32 v10, v15, 8, 3
	v_ffbh_u32_e32 v21, v10
	v_min_u32_e32 v21, 32, v21
	v_lshrrev_b16_e32 v20, 3, v14
	v_subrev_u32_e32 v22, 28, v21
	v_and_b32_e32 v20, 15, v20
	v_lshlrev_b32_e32 v14, v22, v14
	v_sub_u32_e32 v21, 29, v21
	v_and_b32_e32 v14, 7, v14
	v_cmp_eq_u16_e32 vcc, 0, v20
	v_cndmask_b32_e32 v10, v10, v14, vcc
	v_cndmask_b32_e32 v14, v20, v21, vcc
	v_lshlrev_b32_e32 v20, 16, v15
	v_mov_b32_e32 v21, 0x3b800000
	v_lshlrev_b32_e32 v10, 20, v10
	v_and_b32_e32 v20, 0x80000000, v20
	v_lshl_add_u32 v14, v14, 23, v21
	v_or3_b32 v10, v20, v14, v10
.LBB40_300:
	s_or_b64 exec, exec, s[6:7]
	v_lshrrev_b32_e32 v14, 8, v11
	s_movk_i32 s4, 0x7f
	v_cmp_gt_i16_sdwa s[6:7], v14, s4 src0_sel:BYTE_0 src1_sel:DWORD
	s_mov_b64 s[4:5], 0
                                        ; implicit-def: $sgpr10
	s_and_saveexec_b64 s[8:9], s[6:7]
	s_xor_b64 s[6:7], exec, s[8:9]
	s_cbranch_execnz .LBB40_2349
; %bb.301:
	s_or_saveexec_b64 s[6:7], s[6:7]
	v_mov_b32_e32 v20, s10
	s_xor_b64 exec, exec, s[6:7]
	s_cbranch_execnz .LBB40_2352
.LBB40_302:
	s_or_b64 exec, exec, s[6:7]
	s_and_saveexec_b64 s[6:7], s[4:5]
	s_cbranch_execz .LBB40_304
.LBB40_303:
	v_bfe_u32 v20, v11, 8, 3
	v_ffbh_u32_e32 v22, v20
	v_min_u32_e32 v22, 32, v22
	v_lshrrev_b16_e32 v21, 3, v14
	v_subrev_u32_e32 v23, 28, v22
	v_and_b32_e32 v21, 15, v21
	v_lshlrev_b32_e32 v14, v23, v14
	v_sub_u32_e32 v22, 29, v22
	v_and_b32_e32 v14, 7, v14
	v_cmp_eq_u16_e32 vcc, 0, v21
	v_cndmask_b32_e32 v14, v20, v14, vcc
	v_cndmask_b32_e32 v20, v21, v22, vcc
	v_lshlrev_b32_e32 v21, 16, v11
	v_mov_b32_e32 v22, 0x3b800000
	v_lshlrev_b32_e32 v14, 20, v14
	v_and_b32_e32 v21, 0x80000000, v21
	v_lshl_add_u32 v20, v20, 23, v22
	v_or3_b32 v20, v21, v20, v14
.LBB40_304:
	s_or_b64 exec, exec, s[6:7]
	s_nop 0
	v_mfma_f32_16x16x4f32 a[0:3], v10, v20, a[0:3]
	s_movk_i32 s4, 0xff
	v_and_b32_sdwa v14, v15, s4 dst_sel:DWORD dst_unused:UNUSED_PAD src0_sel:WORD_1 src1_sel:DWORD
	s_movk_i32 s4, 0x7f
	v_cmp_lt_i16_e32 vcc, s4, v14
	s_mov_b64 s[4:5], 0
                                        ; implicit-def: $sgpr10
	s_and_saveexec_b64 s[6:7], vcc
	s_xor_b64 s[6:7], exec, s[6:7]
	s_cbranch_execnz .LBB40_2353
; %bb.305:
	s_or_saveexec_b64 s[6:7], s[6:7]
	v_mov_b32_e32 v10, s10
	s_xor_b64 exec, exec, s[6:7]
	s_cbranch_execnz .LBB40_2356
.LBB40_306:
	s_or_b64 exec, exec, s[6:7]
	s_and_saveexec_b64 s[6:7], s[4:5]
	s_cbranch_execz .LBB40_308
.LBB40_307:
	v_bfe_u32 v10, v15, 16, 3
	v_ffbh_u32_e32 v21, v10
	v_min_u32_e32 v21, 32, v21
	v_lshrrev_b32_e32 v14, 19, v15
	v_subrev_u32_e32 v22, 28, v21
	v_and_b32_e32 v14, 15, v14
	v_lshlrev_b32_sdwa v22, v22, v15 dst_sel:DWORD dst_unused:UNUSED_PAD src0_sel:DWORD src1_sel:WORD_1
	v_bfe_u32 v20, v15, 19, 4
	v_sub_u32_e32 v21, 29, v21
	v_and_b32_e32 v22, 7, v22
	v_cmp_eq_u16_e32 vcc, 0, v14
	v_cndmask_b32_e32 v10, v10, v22, vcc
	v_cndmask_b32_e32 v14, v20, v21, vcc
	v_lshlrev_b32_e32 v20, 8, v15
	v_mov_b32_e32 v21, 0x3b800000
	v_lshlrev_b32_e32 v10, 20, v10
	v_and_b32_e32 v20, 0x80000000, v20
	v_lshl_add_u32 v14, v14, 23, v21
	v_or3_b32 v10, v20, v14, v10
.LBB40_308:
	s_or_b64 exec, exec, s[6:7]
	s_movk_i32 s4, 0xff
	v_and_b32_sdwa v14, v11, s4 dst_sel:DWORD dst_unused:UNUSED_PAD src0_sel:WORD_1 src1_sel:DWORD
	s_movk_i32 s4, 0x7f
	v_cmp_lt_i16_e32 vcc, s4, v14
	s_mov_b64 s[4:5], 0
                                        ; implicit-def: $sgpr10
	s_and_saveexec_b64 s[6:7], vcc
	s_xor_b64 s[6:7], exec, s[6:7]
	s_cbranch_execnz .LBB40_2357
; %bb.309:
	s_or_saveexec_b64 s[6:7], s[6:7]
	v_mov_b32_e32 v20, s10
	s_xor_b64 exec, exec, s[6:7]
	s_cbranch_execnz .LBB40_2360
.LBB40_310:
	s_or_b64 exec, exec, s[6:7]
	s_and_saveexec_b64 s[6:7], s[4:5]
	s_cbranch_execz .LBB40_312
.LBB40_311:
	v_bfe_u32 v14, v11, 16, 3
	v_ffbh_u32_e32 v22, v14
	v_min_u32_e32 v22, 32, v22
	v_lshrrev_b32_e32 v20, 19, v11
	v_subrev_u32_e32 v23, 28, v22
	v_and_b32_e32 v20, 15, v20
	v_lshlrev_b32_sdwa v23, v23, v11 dst_sel:DWORD dst_unused:UNUSED_PAD src0_sel:DWORD src1_sel:WORD_1
	v_bfe_u32 v21, v11, 19, 4
	v_sub_u32_e32 v22, 29, v22
	v_and_b32_e32 v23, 7, v23
	v_cmp_eq_u16_e32 vcc, 0, v20
	v_cndmask_b32_e32 v14, v14, v23, vcc
	v_cndmask_b32_e32 v20, v21, v22, vcc
	v_lshlrev_b32_e32 v21, 8, v11
	v_mov_b32_e32 v22, 0x3b800000
	v_lshlrev_b32_e32 v14, 20, v14
	v_and_b32_e32 v21, 0x80000000, v21
	v_lshl_add_u32 v20, v20, 23, v22
	v_or3_b32 v20, v21, v20, v14
.LBB40_312:
	s_or_b64 exec, exec, s[6:7]
	s_nop 0
	v_mfma_f32_16x16x4f32 a[0:3], v10, v20, a[0:3]
	s_movk_i32 s4, 0x7f
	v_cmp_gt_i16_sdwa s[6:7], v15, s4 src0_sel:BYTE_3 src1_sel:DWORD
	s_mov_b64 s[4:5], 0
                                        ; implicit-def: $sgpr10
	s_and_saveexec_b64 s[8:9], s[6:7]
	s_xor_b64 s[6:7], exec, s[8:9]
	s_cbranch_execnz .LBB40_2361
; %bb.313:
	s_or_saveexec_b64 s[6:7], s[6:7]
	v_mov_b32_e32 v10, s10
	s_xor_b64 exec, exec, s[6:7]
	s_cbranch_execnz .LBB40_2364
.LBB40_314:
	s_or_b64 exec, exec, s[6:7]
	s_and_saveexec_b64 s[6:7], s[4:5]
	s_cbranch_execz .LBB40_316
.LBB40_315:
	v_bfe_u32 v10, v15, 24, 3
	v_ffbh_u32_e32 v22, v10
	v_min_u32_e32 v22, 32, v22
	v_lshrrev_b32_e32 v20, 27, v15
	v_subrev_u32_e32 v23, 28, v22
	v_and_b32_e32 v14, 0x80000000, v15
	v_and_b32_e32 v20, 15, v20
	v_bfe_u32 v21, v15, 27, 4
	v_lshlrev_b32_sdwa v15, v23, v15 dst_sel:DWORD dst_unused:UNUSED_PAD src0_sel:DWORD src1_sel:BYTE_3
	v_sub_u32_e32 v22, 29, v22
	v_and_b32_e32 v15, 7, v15
	v_cmp_eq_u16_e32 vcc, 0, v20
	v_cndmask_b32_e32 v10, v10, v15, vcc
	v_cndmask_b32_e32 v15, v21, v22, vcc
	v_mov_b32_e32 v20, 0x3b800000
	v_lshlrev_b32_e32 v10, 20, v10
	v_lshl_add_u32 v15, v15, 23, v20
	v_or3_b32 v10, v14, v15, v10
.LBB40_316:
	s_or_b64 exec, exec, s[6:7]
	s_movk_i32 s4, 0x7f
	v_cmp_gt_i16_sdwa s[6:7], v11, s4 src0_sel:BYTE_3 src1_sel:DWORD
	s_mov_b64 s[4:5], 0
                                        ; implicit-def: $sgpr10
	s_and_saveexec_b64 s[8:9], s[6:7]
	s_xor_b64 s[6:7], exec, s[8:9]
	s_cbranch_execnz .LBB40_2365
; %bb.317:
	s_or_saveexec_b64 s[6:7], s[6:7]
	v_mov_b32_e32 v14, s10
	s_xor_b64 exec, exec, s[6:7]
	s_cbranch_execnz .LBB40_2368
.LBB40_318:
	s_or_b64 exec, exec, s[6:7]
	s_and_saveexec_b64 s[6:7], s[4:5]
	s_cbranch_execz .LBB40_320
.LBB40_319:
	v_bfe_u32 v14, v11, 24, 3
	v_ffbh_u32_e32 v22, v14
	v_min_u32_e32 v22, 32, v22
	v_lshrrev_b32_e32 v20, 27, v11
	v_subrev_u32_e32 v23, 28, v22
	v_and_b32_e32 v15, 0x80000000, v11
	v_and_b32_e32 v20, 15, v20
	v_bfe_u32 v21, v11, 27, 4
	v_lshlrev_b32_sdwa v11, v23, v11 dst_sel:DWORD dst_unused:UNUSED_PAD src0_sel:DWORD src1_sel:BYTE_3
	v_sub_u32_e32 v22, 29, v22
	v_and_b32_e32 v11, 7, v11
	v_cmp_eq_u16_e32 vcc, 0, v20
	v_cndmask_b32_e32 v11, v14, v11, vcc
	v_cndmask_b32_e32 v14, v21, v22, vcc
	v_mov_b32_e32 v20, 0x3b800000
	v_lshlrev_b32_e32 v11, 20, v11
	v_lshl_add_u32 v14, v14, 23, v20
	v_or3_b32 v14, v15, v14, v11
.LBB40_320:
	s_or_b64 exec, exec, s[6:7]
	s_nop 0
	v_mfma_f32_16x16x4f32 a[0:3], v10, v14, a[0:3]
	s_movk_i32 s4, 0x7f
	v_cmp_gt_i16_sdwa s[6:7], v16, s4 src0_sel:BYTE_0 src1_sel:DWORD
	s_mov_b64 s[4:5], 0
                                        ; implicit-def: $sgpr10
	s_and_saveexec_b64 s[8:9], s[6:7]
	s_xor_b64 s[6:7], exec, s[8:9]
	s_cbranch_execnz .LBB40_2369
; %bb.321:
	s_or_saveexec_b64 s[6:7], s[6:7]
	v_mov_b32_e32 v10, s10
	s_xor_b64 exec, exec, s[6:7]
	s_cbranch_execnz .LBB40_2372
.LBB40_322:
	s_or_b64 exec, exec, s[6:7]
	s_and_saveexec_b64 s[6:7], s[4:5]
	s_cbranch_execz .LBB40_324
.LBB40_323:
	v_and_b32_e32 v10, 7, v16
	v_ffbh_u32_e32 v14, v10
	v_min_u32_e32 v14, 32, v14
	v_lshrrev_b16_e32 v11, 3, v16
	v_subrev_u32_e32 v15, 28, v14
	v_and_b32_e32 v11, 15, v11
	v_lshlrev_b32_e32 v15, v15, v16
	v_sub_u32_e32 v14, 29, v14
	v_and_b32_e32 v15, 7, v15
	v_cmp_eq_u16_e32 vcc, 0, v11
	v_cndmask_b32_e32 v10, v10, v15, vcc
	v_cndmask_b32_e32 v11, v11, v14, vcc
	v_lshlrev_b32_e32 v14, 24, v16
	v_mov_b32_e32 v15, 0x3b800000
	v_lshlrev_b32_e32 v10, 20, v10
	v_and_b32_e32 v14, 0x80000000, v14
	v_lshl_add_u32 v11, v11, 23, v15
	v_or3_b32 v10, v14, v11, v10
.LBB40_324:
	s_or_b64 exec, exec, s[6:7]
	s_movk_i32 s4, 0x7f
	v_cmp_gt_i16_sdwa s[6:7], v12, s4 src0_sel:BYTE_0 src1_sel:DWORD
	s_mov_b64 s[4:5], 0
                                        ; implicit-def: $sgpr10
	s_and_saveexec_b64 s[8:9], s[6:7]
	s_xor_b64 s[6:7], exec, s[8:9]
	s_cbranch_execnz .LBB40_2373
; %bb.325:
	s_or_saveexec_b64 s[6:7], s[6:7]
	v_mov_b32_e32 v11, s10
	s_xor_b64 exec, exec, s[6:7]
	s_cbranch_execnz .LBB40_2376
.LBB40_326:
	s_or_b64 exec, exec, s[6:7]
	s_and_saveexec_b64 s[6:7], s[4:5]
	s_cbranch_execz .LBB40_328
.LBB40_327:
	v_and_b32_e32 v11, 7, v12
	v_ffbh_u32_e32 v15, v11
	v_min_u32_e32 v15, 32, v15
	v_lshrrev_b16_e32 v14, 3, v12
	v_subrev_u32_e32 v20, 28, v15
	v_and_b32_e32 v14, 15, v14
	v_lshlrev_b32_e32 v20, v20, v12
	v_sub_u32_e32 v15, 29, v15
	v_and_b32_e32 v20, 7, v20
	v_cmp_eq_u16_e32 vcc, 0, v14
	v_cndmask_b32_e32 v11, v11, v20, vcc
	v_cndmask_b32_e32 v14, v14, v15, vcc
	v_lshlrev_b32_e32 v15, 24, v12
	v_mov_b32_e32 v20, 0x3b800000
	v_lshlrev_b32_e32 v11, 20, v11
	v_and_b32_e32 v15, 0x80000000, v15
	v_lshl_add_u32 v14, v14, 23, v20
	v_or3_b32 v11, v15, v14, v11
.LBB40_328:
	s_or_b64 exec, exec, s[6:7]
	s_nop 0
	v_mfma_f32_16x16x4f32 a[0:3], v10, v11, a[0:3]
	v_lshrrev_b32_e32 v11, 8, v16
	s_movk_i32 s4, 0x7f
	v_cmp_gt_i16_sdwa s[6:7], v11, s4 src0_sel:BYTE_0 src1_sel:DWORD
	s_mov_b64 s[4:5], 0
                                        ; implicit-def: $sgpr10
	s_and_saveexec_b64 s[8:9], s[6:7]
	s_xor_b64 s[6:7], exec, s[8:9]
	s_cbranch_execnz .LBB40_2377
; %bb.329:
	s_or_saveexec_b64 s[6:7], s[6:7]
	v_mov_b32_e32 v10, s10
	s_xor_b64 exec, exec, s[6:7]
	s_cbranch_execnz .LBB40_2380
.LBB40_330:
	s_or_b64 exec, exec, s[6:7]
	s_and_saveexec_b64 s[6:7], s[4:5]
	s_cbranch_execz .LBB40_332
.LBB40_331:
	v_bfe_u32 v10, v16, 8, 3
	v_ffbh_u32_e32 v15, v10
	v_min_u32_e32 v15, 32, v15
	v_lshrrev_b16_e32 v14, 3, v11
	v_subrev_u32_e32 v20, 28, v15
	v_and_b32_e32 v14, 15, v14
	v_lshlrev_b32_e32 v11, v20, v11
	v_sub_u32_e32 v15, 29, v15
	v_and_b32_e32 v11, 7, v11
	v_cmp_eq_u16_e32 vcc, 0, v14
	v_cndmask_b32_e32 v10, v10, v11, vcc
	v_cndmask_b32_e32 v11, v14, v15, vcc
	v_lshlrev_b32_e32 v14, 16, v16
	v_mov_b32_e32 v15, 0x3b800000
	v_lshlrev_b32_e32 v10, 20, v10
	v_and_b32_e32 v14, 0x80000000, v14
	v_lshl_add_u32 v11, v11, 23, v15
	v_or3_b32 v10, v14, v11, v10
.LBB40_332:
	s_or_b64 exec, exec, s[6:7]
	v_lshrrev_b32_e32 v11, 8, v12
	s_movk_i32 s4, 0x7f
	v_cmp_gt_i16_sdwa s[6:7], v11, s4 src0_sel:BYTE_0 src1_sel:DWORD
	s_mov_b64 s[4:5], 0
                                        ; implicit-def: $sgpr10
	s_and_saveexec_b64 s[8:9], s[6:7]
	s_xor_b64 s[6:7], exec, s[8:9]
	s_cbranch_execnz .LBB40_2381
; %bb.333:
	s_or_saveexec_b64 s[6:7], s[6:7]
	v_mov_b32_e32 v14, s10
	s_xor_b64 exec, exec, s[6:7]
	s_cbranch_execnz .LBB40_2384
.LBB40_334:
	s_or_b64 exec, exec, s[6:7]
	s_and_saveexec_b64 s[6:7], s[4:5]
	s_cbranch_execz .LBB40_336
.LBB40_335:
	v_bfe_u32 v14, v12, 8, 3
	v_ffbh_u32_e32 v20, v14
	v_min_u32_e32 v20, 32, v20
	v_lshrrev_b16_e32 v15, 3, v11
	v_subrev_u32_e32 v21, 28, v20
	v_and_b32_e32 v15, 15, v15
	v_lshlrev_b32_e32 v11, v21, v11
	v_sub_u32_e32 v20, 29, v20
	v_and_b32_e32 v11, 7, v11
	v_cmp_eq_u16_e32 vcc, 0, v15
	v_cndmask_b32_e32 v11, v14, v11, vcc
	v_cndmask_b32_e32 v14, v15, v20, vcc
	v_lshlrev_b32_e32 v15, 16, v12
	v_mov_b32_e32 v20, 0x3b800000
	v_lshlrev_b32_e32 v11, 20, v11
	v_and_b32_e32 v15, 0x80000000, v15
	v_lshl_add_u32 v14, v14, 23, v20
	v_or3_b32 v14, v15, v14, v11
.LBB40_336:
	s_or_b64 exec, exec, s[6:7]
	s_nop 0
	v_mfma_f32_16x16x4f32 a[0:3], v10, v14, a[0:3]
	s_movk_i32 s4, 0xff
	v_and_b32_sdwa v11, v16, s4 dst_sel:DWORD dst_unused:UNUSED_PAD src0_sel:WORD_1 src1_sel:DWORD
	s_movk_i32 s4, 0x7f
	v_cmp_lt_i16_e32 vcc, s4, v11
	s_mov_b64 s[4:5], 0
                                        ; implicit-def: $sgpr10
	s_and_saveexec_b64 s[6:7], vcc
	s_xor_b64 s[6:7], exec, s[6:7]
	s_cbranch_execnz .LBB40_2385
; %bb.337:
	s_or_saveexec_b64 s[6:7], s[6:7]
	v_mov_b32_e32 v10, s10
	s_xor_b64 exec, exec, s[6:7]
	s_cbranch_execnz .LBB40_2388
.LBB40_338:
	s_or_b64 exec, exec, s[6:7]
	s_and_saveexec_b64 s[6:7], s[4:5]
	s_cbranch_execz .LBB40_340
.LBB40_339:
	v_bfe_u32 v10, v16, 16, 3
	v_ffbh_u32_e32 v15, v10
	v_min_u32_e32 v15, 32, v15
	v_lshrrev_b32_e32 v11, 19, v16
	v_subrev_u32_e32 v20, 28, v15
	v_and_b32_e32 v11, 15, v11
	v_lshlrev_b32_sdwa v20, v20, v16 dst_sel:DWORD dst_unused:UNUSED_PAD src0_sel:DWORD src1_sel:WORD_1
	v_bfe_u32 v14, v16, 19, 4
	v_sub_u32_e32 v15, 29, v15
	v_and_b32_e32 v20, 7, v20
	v_cmp_eq_u16_e32 vcc, 0, v11
	v_cndmask_b32_e32 v10, v10, v20, vcc
	v_cndmask_b32_e32 v11, v14, v15, vcc
	v_lshlrev_b32_e32 v14, 8, v16
	v_mov_b32_e32 v15, 0x3b800000
	v_lshlrev_b32_e32 v10, 20, v10
	v_and_b32_e32 v14, 0x80000000, v14
	v_lshl_add_u32 v11, v11, 23, v15
	v_or3_b32 v10, v14, v11, v10
.LBB40_340:
	s_or_b64 exec, exec, s[6:7]
	s_movk_i32 s4, 0xff
	v_and_b32_sdwa v11, v12, s4 dst_sel:DWORD dst_unused:UNUSED_PAD src0_sel:WORD_1 src1_sel:DWORD
	s_movk_i32 s4, 0x7f
	v_cmp_lt_i16_e32 vcc, s4, v11
	s_mov_b64 s[4:5], 0
                                        ; implicit-def: $sgpr10
	s_and_saveexec_b64 s[6:7], vcc
	s_xor_b64 s[6:7], exec, s[6:7]
	s_cbranch_execnz .LBB40_2389
; %bb.341:
	s_or_saveexec_b64 s[6:7], s[6:7]
	v_mov_b32_e32 v14, s10
	s_xor_b64 exec, exec, s[6:7]
	s_cbranch_execnz .LBB40_2392
.LBB40_342:
	s_or_b64 exec, exec, s[6:7]
	s_and_saveexec_b64 s[6:7], s[4:5]
	s_cbranch_execz .LBB40_344
.LBB40_343:
	v_bfe_u32 v11, v12, 16, 3
	v_ffbh_u32_e32 v20, v11
	v_min_u32_e32 v20, 32, v20
	v_lshrrev_b32_e32 v14, 19, v12
	v_subrev_u32_e32 v21, 28, v20
	v_and_b32_e32 v14, 15, v14
	v_lshlrev_b32_sdwa v21, v21, v12 dst_sel:DWORD dst_unused:UNUSED_PAD src0_sel:DWORD src1_sel:WORD_1
	v_bfe_u32 v15, v12, 19, 4
	v_sub_u32_e32 v20, 29, v20
	v_and_b32_e32 v21, 7, v21
	v_cmp_eq_u16_e32 vcc, 0, v14
	v_cndmask_b32_e32 v11, v11, v21, vcc
	v_cndmask_b32_e32 v14, v15, v20, vcc
	v_lshlrev_b32_e32 v15, 8, v12
	v_mov_b32_e32 v20, 0x3b800000
	v_lshlrev_b32_e32 v11, 20, v11
	v_and_b32_e32 v15, 0x80000000, v15
	v_lshl_add_u32 v14, v14, 23, v20
	v_or3_b32 v14, v15, v14, v11
.LBB40_344:
	s_or_b64 exec, exec, s[6:7]
	s_nop 0
	v_mfma_f32_16x16x4f32 a[0:3], v10, v14, a[0:3]
	s_movk_i32 s4, 0x7f
	v_cmp_gt_i16_sdwa s[6:7], v16, s4 src0_sel:BYTE_3 src1_sel:DWORD
	s_mov_b64 s[4:5], 0
                                        ; implicit-def: $sgpr10
	s_and_saveexec_b64 s[8:9], s[6:7]
	s_xor_b64 s[6:7], exec, s[8:9]
	s_cbranch_execnz .LBB40_2393
; %bb.345:
	s_or_saveexec_b64 s[6:7], s[6:7]
	v_mov_b32_e32 v10, s10
	s_xor_b64 exec, exec, s[6:7]
	s_cbranch_execnz .LBB40_2396
.LBB40_346:
	s_or_b64 exec, exec, s[6:7]
	s_and_saveexec_b64 s[6:7], s[4:5]
	s_cbranch_execz .LBB40_348
.LBB40_347:
	v_bfe_u32 v10, v16, 24, 3
	v_ffbh_u32_e32 v20, v10
	v_min_u32_e32 v20, 32, v20
	v_lshrrev_b32_e32 v14, 27, v16
	v_subrev_u32_e32 v21, 28, v20
	v_and_b32_e32 v11, 0x80000000, v16
	v_and_b32_e32 v14, 15, v14
	v_bfe_u32 v15, v16, 27, 4
	v_lshlrev_b32_sdwa v16, v21, v16 dst_sel:DWORD dst_unused:UNUSED_PAD src0_sel:DWORD src1_sel:BYTE_3
	v_sub_u32_e32 v20, 29, v20
	v_and_b32_e32 v16, 7, v16
	v_cmp_eq_u16_e32 vcc, 0, v14
	v_cndmask_b32_e32 v10, v10, v16, vcc
	v_cndmask_b32_e32 v14, v15, v20, vcc
	v_mov_b32_e32 v15, 0x3b800000
	v_lshlrev_b32_e32 v10, 20, v10
	v_lshl_add_u32 v14, v14, 23, v15
	v_or3_b32 v10, v11, v14, v10
.LBB40_348:
	s_or_b64 exec, exec, s[6:7]
	s_movk_i32 s4, 0x7f
	v_cmp_gt_i16_sdwa s[6:7], v12, s4 src0_sel:BYTE_3 src1_sel:DWORD
	s_mov_b64 s[4:5], 0
                                        ; implicit-def: $sgpr10
	s_and_saveexec_b64 s[8:9], s[6:7]
	s_xor_b64 s[6:7], exec, s[8:9]
	s_cbranch_execnz .LBB40_2397
; %bb.349:
	s_or_saveexec_b64 s[6:7], s[6:7]
	v_mov_b32_e32 v11, s10
	s_xor_b64 exec, exec, s[6:7]
	s_cbranch_execnz .LBB40_2400
.LBB40_350:
	s_or_b64 exec, exec, s[6:7]
	s_and_saveexec_b64 s[6:7], s[4:5]
	s_cbranch_execz .LBB40_352
.LBB40_351:
	v_bfe_u32 v11, v12, 24, 3
	v_ffbh_u32_e32 v20, v11
	v_min_u32_e32 v20, 32, v20
	v_lshrrev_b32_e32 v15, 27, v12
	v_subrev_u32_e32 v21, 28, v20
	v_and_b32_e32 v14, 0x80000000, v12
	v_and_b32_e32 v15, 15, v15
	v_bfe_u32 v16, v12, 27, 4
	v_lshlrev_b32_sdwa v12, v21, v12 dst_sel:DWORD dst_unused:UNUSED_PAD src0_sel:DWORD src1_sel:BYTE_3
	v_sub_u32_e32 v20, 29, v20
	v_and_b32_e32 v12, 7, v12
	v_cmp_eq_u16_e32 vcc, 0, v15
	v_cndmask_b32_e32 v11, v11, v12, vcc
	v_cndmask_b32_e32 v12, v16, v20, vcc
	v_mov_b32_e32 v15, 0x3b800000
	v_lshlrev_b32_e32 v11, 20, v11
	v_lshl_add_u32 v12, v12, 23, v15
	v_or3_b32 v11, v14, v12, v11
.LBB40_352:
	s_or_b64 exec, exec, s[6:7]
	s_nop 0
	v_mfma_f32_16x16x4f32 a[0:3], v10, v11, a[0:3]
	s_movk_i32 s4, 0x7f
	v_cmp_gt_i16_sdwa s[6:7], v17, s4 src0_sel:BYTE_0 src1_sel:DWORD
	s_mov_b64 s[4:5], 0
                                        ; implicit-def: $sgpr10
	s_and_saveexec_b64 s[8:9], s[6:7]
	s_xor_b64 s[6:7], exec, s[8:9]
	s_cbranch_execnz .LBB40_2401
; %bb.353:
	s_or_saveexec_b64 s[6:7], s[6:7]
	v_mov_b32_e32 v10, s10
	s_xor_b64 exec, exec, s[6:7]
	s_cbranch_execnz .LBB40_2404
.LBB40_354:
	s_or_b64 exec, exec, s[6:7]
	s_and_saveexec_b64 s[6:7], s[4:5]
	s_cbranch_execz .LBB40_356
.LBB40_355:
	v_and_b32_e32 v10, 7, v17
	v_ffbh_u32_e32 v12, v10
	v_min_u32_e32 v12, 32, v12
	v_lshrrev_b16_e32 v11, 3, v17
	v_subrev_u32_e32 v14, 28, v12
	v_and_b32_e32 v11, 15, v11
	v_lshlrev_b32_e32 v14, v14, v17
	v_sub_u32_e32 v12, 29, v12
	v_and_b32_e32 v14, 7, v14
	v_cmp_eq_u16_e32 vcc, 0, v11
	v_cndmask_b32_e32 v10, v10, v14, vcc
	v_cndmask_b32_e32 v11, v11, v12, vcc
	v_lshlrev_b32_e32 v12, 24, v17
	v_mov_b32_e32 v14, 0x3b800000
	v_lshlrev_b32_e32 v10, 20, v10
	v_and_b32_e32 v12, 0x80000000, v12
	v_lshl_add_u32 v11, v11, 23, v14
	v_or3_b32 v10, v12, v11, v10
.LBB40_356:
	s_or_b64 exec, exec, s[6:7]
	s_movk_i32 s4, 0x7f
	v_cmp_gt_i16_sdwa s[6:7], v13, s4 src0_sel:BYTE_0 src1_sel:DWORD
	s_mov_b64 s[4:5], 0
                                        ; implicit-def: $sgpr10
	s_and_saveexec_b64 s[8:9], s[6:7]
	s_xor_b64 s[6:7], exec, s[8:9]
	s_cbranch_execnz .LBB40_2405
; %bb.357:
	s_or_saveexec_b64 s[6:7], s[6:7]
	v_mov_b32_e32 v11, s10
	s_xor_b64 exec, exec, s[6:7]
	s_cbranch_execnz .LBB40_2408
.LBB40_358:
	s_or_b64 exec, exec, s[6:7]
	s_and_saveexec_b64 s[6:7], s[4:5]
	s_cbranch_execz .LBB40_360
.LBB40_359:
	v_and_b32_e32 v11, 7, v13
	v_ffbh_u32_e32 v14, v11
	v_min_u32_e32 v14, 32, v14
	v_lshrrev_b16_e32 v12, 3, v13
	v_subrev_u32_e32 v15, 28, v14
	v_and_b32_e32 v12, 15, v12
	v_lshlrev_b32_e32 v15, v15, v13
	v_sub_u32_e32 v14, 29, v14
	v_and_b32_e32 v15, 7, v15
	v_cmp_eq_u16_e32 vcc, 0, v12
	v_cndmask_b32_e32 v11, v11, v15, vcc
	v_cndmask_b32_e32 v12, v12, v14, vcc
	v_lshlrev_b32_e32 v14, 24, v13
	v_mov_b32_e32 v15, 0x3b800000
	v_lshlrev_b32_e32 v11, 20, v11
	v_and_b32_e32 v14, 0x80000000, v14
	v_lshl_add_u32 v12, v12, 23, v15
	v_or3_b32 v11, v14, v12, v11
.LBB40_360:
	s_or_b64 exec, exec, s[6:7]
	s_nop 0
	v_mfma_f32_16x16x4f32 a[0:3], v10, v11, a[0:3]
	v_lshrrev_b32_e32 v11, 8, v17
	s_movk_i32 s4, 0x7f
	v_cmp_gt_i16_sdwa s[6:7], v11, s4 src0_sel:BYTE_0 src1_sel:DWORD
	s_mov_b64 s[4:5], 0
                                        ; implicit-def: $sgpr10
	s_and_saveexec_b64 s[8:9], s[6:7]
	s_xor_b64 s[6:7], exec, s[8:9]
	s_cbranch_execnz .LBB40_2409
; %bb.361:
	s_or_saveexec_b64 s[6:7], s[6:7]
	v_mov_b32_e32 v10, s10
	s_xor_b64 exec, exec, s[6:7]
	s_cbranch_execnz .LBB40_2412
.LBB40_362:
	s_or_b64 exec, exec, s[6:7]
	s_and_saveexec_b64 s[6:7], s[4:5]
	s_cbranch_execz .LBB40_364
.LBB40_363:
	v_bfe_u32 v10, v17, 8, 3
	v_ffbh_u32_e32 v14, v10
	v_min_u32_e32 v14, 32, v14
	v_lshrrev_b16_e32 v12, 3, v11
	v_subrev_u32_e32 v15, 28, v14
	v_and_b32_e32 v12, 15, v12
	v_lshlrev_b32_e32 v11, v15, v11
	v_sub_u32_e32 v14, 29, v14
	v_and_b32_e32 v11, 7, v11
	v_cmp_eq_u16_e32 vcc, 0, v12
	v_cndmask_b32_e32 v10, v10, v11, vcc
	v_cndmask_b32_e32 v11, v12, v14, vcc
	v_lshlrev_b32_e32 v12, 16, v17
	v_mov_b32_e32 v14, 0x3b800000
	v_lshlrev_b32_e32 v10, 20, v10
	v_and_b32_e32 v12, 0x80000000, v12
	v_lshl_add_u32 v11, v11, 23, v14
	v_or3_b32 v10, v12, v11, v10
.LBB40_364:
	s_or_b64 exec, exec, s[6:7]
	v_lshrrev_b32_e32 v11, 8, v13
	s_movk_i32 s4, 0x7f
	v_cmp_gt_i16_sdwa s[6:7], v11, s4 src0_sel:BYTE_0 src1_sel:DWORD
	s_mov_b64 s[4:5], 0
                                        ; implicit-def: $sgpr10
	s_and_saveexec_b64 s[8:9], s[6:7]
	s_xor_b64 s[6:7], exec, s[8:9]
	s_cbranch_execnz .LBB40_2413
; %bb.365:
	s_or_saveexec_b64 s[6:7], s[6:7]
	v_mov_b32_e32 v12, s10
	s_xor_b64 exec, exec, s[6:7]
	s_cbranch_execnz .LBB40_2416
.LBB40_366:
	s_or_b64 exec, exec, s[6:7]
	s_and_saveexec_b64 s[6:7], s[4:5]
	s_cbranch_execz .LBB40_368
.LBB40_367:
	v_bfe_u32 v12, v13, 8, 3
	v_ffbh_u32_e32 v15, v12
	v_min_u32_e32 v15, 32, v15
	v_lshrrev_b16_e32 v14, 3, v11
	v_subrev_u32_e32 v16, 28, v15
	v_and_b32_e32 v14, 15, v14
	v_lshlrev_b32_e32 v11, v16, v11
	v_sub_u32_e32 v15, 29, v15
	v_and_b32_e32 v11, 7, v11
	v_cmp_eq_u16_e32 vcc, 0, v14
	v_cndmask_b32_e32 v11, v12, v11, vcc
	v_cndmask_b32_e32 v12, v14, v15, vcc
	v_lshlrev_b32_e32 v14, 16, v13
	v_mov_b32_e32 v15, 0x3b800000
	v_lshlrev_b32_e32 v11, 20, v11
	v_and_b32_e32 v14, 0x80000000, v14
	v_lshl_add_u32 v12, v12, 23, v15
	v_or3_b32 v12, v14, v12, v11
.LBB40_368:
	s_or_b64 exec, exec, s[6:7]
	s_nop 0
	v_mfma_f32_16x16x4f32 a[0:3], v10, v12, a[0:3]
	s_movk_i32 s4, 0xff
	v_and_b32_sdwa v11, v17, s4 dst_sel:DWORD dst_unused:UNUSED_PAD src0_sel:WORD_1 src1_sel:DWORD
	s_movk_i32 s4, 0x7f
	v_cmp_lt_i16_e32 vcc, s4, v11
	s_mov_b64 s[4:5], 0
                                        ; implicit-def: $sgpr10
	s_and_saveexec_b64 s[6:7], vcc
	s_xor_b64 s[6:7], exec, s[6:7]
	s_cbranch_execnz .LBB40_2417
; %bb.369:
	s_or_saveexec_b64 s[6:7], s[6:7]
	v_mov_b32_e32 v10, s10
	s_xor_b64 exec, exec, s[6:7]
	s_cbranch_execnz .LBB40_2420
.LBB40_370:
	s_or_b64 exec, exec, s[6:7]
	s_and_saveexec_b64 s[6:7], s[4:5]
	s_cbranch_execz .LBB40_372
.LBB40_371:
	v_bfe_u32 v10, v17, 16, 3
	v_ffbh_u32_e32 v14, v10
	v_min_u32_e32 v14, 32, v14
	v_lshrrev_b32_e32 v11, 19, v17
	v_subrev_u32_e32 v15, 28, v14
	v_and_b32_e32 v11, 15, v11
	v_lshlrev_b32_sdwa v15, v15, v17 dst_sel:DWORD dst_unused:UNUSED_PAD src0_sel:DWORD src1_sel:WORD_1
	v_bfe_u32 v12, v17, 19, 4
	v_sub_u32_e32 v14, 29, v14
	v_and_b32_e32 v15, 7, v15
	v_cmp_eq_u16_e32 vcc, 0, v11
	v_cndmask_b32_e32 v10, v10, v15, vcc
	v_cndmask_b32_e32 v11, v12, v14, vcc
	v_lshlrev_b32_e32 v12, 8, v17
	v_mov_b32_e32 v14, 0x3b800000
	v_lshlrev_b32_e32 v10, 20, v10
	v_and_b32_e32 v12, 0x80000000, v12
	v_lshl_add_u32 v11, v11, 23, v14
	v_or3_b32 v10, v12, v11, v10
.LBB40_372:
	s_or_b64 exec, exec, s[6:7]
	s_movk_i32 s4, 0xff
	v_and_b32_sdwa v11, v13, s4 dst_sel:DWORD dst_unused:UNUSED_PAD src0_sel:WORD_1 src1_sel:DWORD
	s_movk_i32 s4, 0x7f
	v_cmp_lt_i16_e32 vcc, s4, v11
	s_mov_b64 s[4:5], 0
                                        ; implicit-def: $sgpr10
	s_and_saveexec_b64 s[6:7], vcc
	s_xor_b64 s[6:7], exec, s[6:7]
	s_cbranch_execnz .LBB40_2421
; %bb.373:
	s_or_saveexec_b64 s[6:7], s[6:7]
	v_mov_b32_e32 v12, s10
	s_xor_b64 exec, exec, s[6:7]
	s_cbranch_execnz .LBB40_2424
.LBB40_374:
	s_or_b64 exec, exec, s[6:7]
	s_and_saveexec_b64 s[6:7], s[4:5]
	s_cbranch_execz .LBB40_376
.LBB40_375:
	v_bfe_u32 v11, v13, 16, 3
	v_ffbh_u32_e32 v15, v11
	v_min_u32_e32 v15, 32, v15
	v_lshrrev_b32_e32 v12, 19, v13
	v_subrev_u32_e32 v16, 28, v15
	v_and_b32_e32 v12, 15, v12
	v_lshlrev_b32_sdwa v16, v16, v13 dst_sel:DWORD dst_unused:UNUSED_PAD src0_sel:DWORD src1_sel:WORD_1
	v_bfe_u32 v14, v13, 19, 4
	v_sub_u32_e32 v15, 29, v15
	v_and_b32_e32 v16, 7, v16
	v_cmp_eq_u16_e32 vcc, 0, v12
	v_cndmask_b32_e32 v11, v11, v16, vcc
	v_cndmask_b32_e32 v12, v14, v15, vcc
	v_lshlrev_b32_e32 v14, 8, v13
	v_mov_b32_e32 v15, 0x3b800000
	v_lshlrev_b32_e32 v11, 20, v11
	v_and_b32_e32 v14, 0x80000000, v14
	v_lshl_add_u32 v12, v12, 23, v15
	v_or3_b32 v12, v14, v12, v11
.LBB40_376:
	s_or_b64 exec, exec, s[6:7]
	s_nop 0
	v_mfma_f32_16x16x4f32 a[0:3], v10, v12, a[0:3]
	s_movk_i32 s4, 0x7f
	v_cmp_gt_i16_sdwa s[6:7], v17, s4 src0_sel:BYTE_3 src1_sel:DWORD
	s_mov_b64 s[4:5], 0
                                        ; implicit-def: $sgpr10
	s_and_saveexec_b64 s[8:9], s[6:7]
	s_xor_b64 s[6:7], exec, s[8:9]
	s_cbranch_execnz .LBB40_2425
; %bb.377:
	s_or_saveexec_b64 s[6:7], s[6:7]
	v_mov_b32_e32 v10, s10
	s_xor_b64 exec, exec, s[6:7]
	s_cbranch_execnz .LBB40_2428
.LBB40_378:
	s_or_b64 exec, exec, s[6:7]
	s_and_saveexec_b64 s[6:7], s[4:5]
	s_cbranch_execz .LBB40_380
.LBB40_379:
	v_bfe_u32 v10, v17, 24, 3
	v_ffbh_u32_e32 v15, v10
	v_min_u32_e32 v15, 32, v15
	v_lshrrev_b32_e32 v12, 27, v17
	v_subrev_u32_e32 v16, 28, v15
	v_and_b32_e32 v12, 15, v12
	v_lshlrev_b32_sdwa v16, v16, v17 dst_sel:DWORD dst_unused:UNUSED_PAD src0_sel:DWORD src1_sel:BYTE_3
	v_bfe_u32 v14, v17, 27, 4
	v_sub_u32_e32 v15, 29, v15
	v_and_b32_e32 v16, 7, v16
	v_cmp_eq_u16_e32 vcc, 0, v12
	v_cndmask_b32_e32 v10, v10, v16, vcc
	v_cndmask_b32_e32 v12, v14, v15, vcc
	v_mov_b32_e32 v14, 0x3b800000
	v_and_b32_e32 v11, 0x80000000, v17
	v_lshlrev_b32_e32 v10, 20, v10
	v_lshl_add_u32 v12, v12, 23, v14
	v_or3_b32 v10, v11, v12, v10
.LBB40_380:
	s_or_b64 exec, exec, s[6:7]
	s_movk_i32 s4, 0x7f
	v_cmp_gt_i16_sdwa s[6:7], v13, s4 src0_sel:BYTE_3 src1_sel:DWORD
	s_mov_b64 s[4:5], 0
                                        ; implicit-def: $sgpr10
	s_and_saveexec_b64 s[8:9], s[6:7]
	s_xor_b64 s[6:7], exec, s[8:9]
	s_cbranch_execnz .LBB40_2429
; %bb.381:
	s_or_saveexec_b64 s[6:7], s[6:7]
	v_mov_b32_e32 v11, s10
	s_xor_b64 exec, exec, s[6:7]
	s_cbranch_execnz .LBB40_2432
.LBB40_382:
	s_or_b64 exec, exec, s[6:7]
	s_and_saveexec_b64 s[6:7], s[4:5]
	s_cbranch_execz .LBB40_384
.LBB40_383:
	v_bfe_u32 v11, v13, 24, 3
	v_ffbh_u32_e32 v16, v11
	v_min_u32_e32 v16, 32, v16
	v_lshrrev_b32_e32 v14, 27, v13
	v_subrev_u32_e32 v17, 28, v16
	v_and_b32_e32 v12, 0x80000000, v13
	v_and_b32_e32 v14, 15, v14
	v_bfe_u32 v15, v13, 27, 4
	v_lshlrev_b32_sdwa v13, v17, v13 dst_sel:DWORD dst_unused:UNUSED_PAD src0_sel:DWORD src1_sel:BYTE_3
	v_sub_u32_e32 v16, 29, v16
	v_and_b32_e32 v13, 7, v13
	v_cmp_eq_u16_e32 vcc, 0, v14
	v_cndmask_b32_e32 v11, v11, v13, vcc
	v_cndmask_b32_e32 v13, v15, v16, vcc
	v_mov_b32_e32 v14, 0x3b800000
	v_lshlrev_b32_e32 v11, 20, v11
	v_lshl_add_u32 v13, v13, 23, v14
	v_or3_b32 v11, v12, v13, v11
.LBB40_384:
	s_or_b64 exec, exec, s[6:7]
	s_nop 0
	v_mfma_f32_16x16x4f32 a[0:3], v10, v11, a[0:3]
	s_movk_i32 s4, 0x7f
	v_cmp_gt_i16_sdwa s[6:7], v6, s4 src0_sel:BYTE_0 src1_sel:DWORD
	s_mov_b64 s[4:5], 0
                                        ; implicit-def: $sgpr10
	s_and_saveexec_b64 s[8:9], s[6:7]
	s_xor_b64 s[6:7], exec, s[8:9]
	s_cbranch_execnz .LBB40_2433
; %bb.385:
	s_or_saveexec_b64 s[6:7], s[6:7]
	v_mov_b32_e32 v10, s10
	s_xor_b64 exec, exec, s[6:7]
	s_cbranch_execnz .LBB40_2436
.LBB40_386:
	s_or_b64 exec, exec, s[6:7]
	s_and_saveexec_b64 s[6:7], s[4:5]
	s_cbranch_execz .LBB40_388
.LBB40_387:
	v_and_b32_e32 v10, 7, v6
	v_ffbh_u32_e32 v12, v10
	v_min_u32_e32 v12, 32, v12
	v_lshrrev_b16_e32 v11, 3, v6
	v_subrev_u32_e32 v13, 28, v12
	v_and_b32_e32 v11, 15, v11
	v_lshlrev_b32_e32 v13, v13, v6
	v_sub_u32_e32 v12, 29, v12
	v_and_b32_e32 v13, 7, v13
	v_cmp_eq_u16_e32 vcc, 0, v11
	v_cndmask_b32_e32 v10, v10, v13, vcc
	v_cndmask_b32_e32 v11, v11, v12, vcc
	v_lshlrev_b32_e32 v12, 24, v6
	v_mov_b32_e32 v13, 0x3b800000
	v_lshlrev_b32_e32 v10, 20, v10
	v_and_b32_e32 v12, 0x80000000, v12
	v_lshl_add_u32 v11, v11, 23, v13
	v_or3_b32 v10, v12, v11, v10
.LBB40_388:
	s_or_b64 exec, exec, s[6:7]
	s_movk_i32 s4, 0x7f
	v_cmp_gt_i16_sdwa s[6:7], v2, s4 src0_sel:BYTE_0 src1_sel:DWORD
	s_mov_b64 s[4:5], 0
                                        ; implicit-def: $sgpr10
	s_and_saveexec_b64 s[8:9], s[6:7]
	s_xor_b64 s[6:7], exec, s[8:9]
	s_cbranch_execnz .LBB40_2437
; %bb.389:
	s_or_saveexec_b64 s[6:7], s[6:7]
	v_mov_b32_e32 v11, s10
	s_xor_b64 exec, exec, s[6:7]
	s_cbranch_execnz .LBB40_2440
.LBB40_390:
	s_or_b64 exec, exec, s[6:7]
	s_and_saveexec_b64 s[6:7], s[4:5]
	s_cbranch_execz .LBB40_392
.LBB40_391:
	v_and_b32_e32 v11, 7, v2
	v_ffbh_u32_e32 v13, v11
	v_min_u32_e32 v13, 32, v13
	v_lshrrev_b16_e32 v12, 3, v2
	v_subrev_u32_e32 v14, 28, v13
	v_and_b32_e32 v12, 15, v12
	v_lshlrev_b32_e32 v14, v14, v2
	v_sub_u32_e32 v13, 29, v13
	v_and_b32_e32 v14, 7, v14
	v_cmp_eq_u16_e32 vcc, 0, v12
	v_cndmask_b32_e32 v11, v11, v14, vcc
	v_cndmask_b32_e32 v12, v12, v13, vcc
	v_lshlrev_b32_e32 v13, 24, v2
	v_mov_b32_e32 v14, 0x3b800000
	v_lshlrev_b32_e32 v11, 20, v11
	v_and_b32_e32 v13, 0x80000000, v13
	v_lshl_add_u32 v12, v12, 23, v14
	v_or3_b32 v11, v13, v12, v11
.LBB40_392:
	s_or_b64 exec, exec, s[6:7]
	s_nop 0
	v_mfma_f32_16x16x4f32 a[0:3], v10, v11, a[0:3]
	v_lshrrev_b32_e32 v11, 8, v6
	s_movk_i32 s4, 0x7f
	v_cmp_gt_i16_sdwa s[6:7], v11, s4 src0_sel:BYTE_0 src1_sel:DWORD
	s_mov_b64 s[4:5], 0
                                        ; implicit-def: $sgpr10
	s_and_saveexec_b64 s[8:9], s[6:7]
	s_xor_b64 s[6:7], exec, s[8:9]
	s_cbranch_execnz .LBB40_2441
; %bb.393:
	s_or_saveexec_b64 s[6:7], s[6:7]
	v_mov_b32_e32 v10, s10
	s_xor_b64 exec, exec, s[6:7]
	s_cbranch_execnz .LBB40_2444
.LBB40_394:
	s_or_b64 exec, exec, s[6:7]
	s_and_saveexec_b64 s[6:7], s[4:5]
	s_cbranch_execz .LBB40_396
.LBB40_395:
	v_bfe_u32 v10, v6, 8, 3
	v_ffbh_u32_e32 v13, v10
	v_min_u32_e32 v13, 32, v13
	v_lshrrev_b16_e32 v12, 3, v11
	v_subrev_u32_e32 v14, 28, v13
	v_and_b32_e32 v12, 15, v12
	v_lshlrev_b32_e32 v11, v14, v11
	v_sub_u32_e32 v13, 29, v13
	v_and_b32_e32 v11, 7, v11
	v_cmp_eq_u16_e32 vcc, 0, v12
	v_cndmask_b32_e32 v10, v10, v11, vcc
	v_cndmask_b32_e32 v11, v12, v13, vcc
	v_lshlrev_b32_e32 v12, 16, v6
	v_mov_b32_e32 v13, 0x3b800000
	v_lshlrev_b32_e32 v10, 20, v10
	v_and_b32_e32 v12, 0x80000000, v12
	v_lshl_add_u32 v11, v11, 23, v13
	v_or3_b32 v10, v12, v11, v10
.LBB40_396:
	s_or_b64 exec, exec, s[6:7]
	v_lshrrev_b32_e32 v11, 8, v2
	s_movk_i32 s4, 0x7f
	v_cmp_gt_i16_sdwa s[6:7], v11, s4 src0_sel:BYTE_0 src1_sel:DWORD
	s_mov_b64 s[4:5], 0
                                        ; implicit-def: $sgpr10
	s_and_saveexec_b64 s[8:9], s[6:7]
	s_xor_b64 s[6:7], exec, s[8:9]
	s_cbranch_execnz .LBB40_2445
; %bb.397:
	s_or_saveexec_b64 s[6:7], s[6:7]
	v_mov_b32_e32 v12, s10
	s_xor_b64 exec, exec, s[6:7]
	s_cbranch_execnz .LBB40_2448
.LBB40_398:
	s_or_b64 exec, exec, s[6:7]
	s_and_saveexec_b64 s[6:7], s[4:5]
	s_cbranch_execz .LBB40_400
.LBB40_399:
	v_bfe_u32 v12, v2, 8, 3
	v_ffbh_u32_e32 v14, v12
	v_min_u32_e32 v14, 32, v14
	v_lshrrev_b16_e32 v13, 3, v11
	v_subrev_u32_e32 v15, 28, v14
	v_and_b32_e32 v13, 15, v13
	v_lshlrev_b32_e32 v11, v15, v11
	v_sub_u32_e32 v14, 29, v14
	v_and_b32_e32 v11, 7, v11
	v_cmp_eq_u16_e32 vcc, 0, v13
	v_cndmask_b32_e32 v11, v12, v11, vcc
	v_cndmask_b32_e32 v12, v13, v14, vcc
	v_lshlrev_b32_e32 v13, 16, v2
	v_mov_b32_e32 v14, 0x3b800000
	v_lshlrev_b32_e32 v11, 20, v11
	v_and_b32_e32 v13, 0x80000000, v13
	v_lshl_add_u32 v12, v12, 23, v14
	v_or3_b32 v12, v13, v12, v11
.LBB40_400:
	s_or_b64 exec, exec, s[6:7]
	s_nop 0
	v_mfma_f32_16x16x4f32 a[0:3], v10, v12, a[0:3]
	s_movk_i32 s4, 0xff
	v_and_b32_sdwa v11, v6, s4 dst_sel:DWORD dst_unused:UNUSED_PAD src0_sel:WORD_1 src1_sel:DWORD
	s_movk_i32 s4, 0x7f
	v_cmp_lt_i16_e32 vcc, s4, v11
	s_mov_b64 s[4:5], 0
                                        ; implicit-def: $sgpr10
	s_and_saveexec_b64 s[6:7], vcc
	s_xor_b64 s[6:7], exec, s[6:7]
	s_cbranch_execnz .LBB40_2449
; %bb.401:
	s_or_saveexec_b64 s[6:7], s[6:7]
	v_mov_b32_e32 v10, s10
	s_xor_b64 exec, exec, s[6:7]
	s_cbranch_execnz .LBB40_2452
.LBB40_402:
	s_or_b64 exec, exec, s[6:7]
	s_and_saveexec_b64 s[6:7], s[4:5]
	s_cbranch_execz .LBB40_404
.LBB40_403:
	v_bfe_u32 v10, v6, 16, 3
	v_ffbh_u32_e32 v13, v10
	v_min_u32_e32 v13, 32, v13
	v_lshrrev_b32_e32 v11, 19, v6
	v_subrev_u32_e32 v14, 28, v13
	v_and_b32_e32 v11, 15, v11
	v_lshlrev_b32_sdwa v14, v14, v6 dst_sel:DWORD dst_unused:UNUSED_PAD src0_sel:DWORD src1_sel:WORD_1
	v_bfe_u32 v12, v6, 19, 4
	v_sub_u32_e32 v13, 29, v13
	v_and_b32_e32 v14, 7, v14
	v_cmp_eq_u16_e32 vcc, 0, v11
	v_cndmask_b32_e32 v10, v10, v14, vcc
	v_cndmask_b32_e32 v11, v12, v13, vcc
	v_lshlrev_b32_e32 v12, 8, v6
	v_mov_b32_e32 v13, 0x3b800000
	v_lshlrev_b32_e32 v10, 20, v10
	v_and_b32_e32 v12, 0x80000000, v12
	v_lshl_add_u32 v11, v11, 23, v13
	v_or3_b32 v10, v12, v11, v10
.LBB40_404:
	s_or_b64 exec, exec, s[6:7]
	s_movk_i32 s4, 0xff
	v_and_b32_sdwa v11, v2, s4 dst_sel:DWORD dst_unused:UNUSED_PAD src0_sel:WORD_1 src1_sel:DWORD
	s_movk_i32 s4, 0x7f
	v_cmp_lt_i16_e32 vcc, s4, v11
	s_mov_b64 s[4:5], 0
                                        ; implicit-def: $sgpr10
	s_and_saveexec_b64 s[6:7], vcc
	s_xor_b64 s[6:7], exec, s[6:7]
	s_cbranch_execnz .LBB40_2453
; %bb.405:
	s_or_saveexec_b64 s[6:7], s[6:7]
	v_mov_b32_e32 v12, s10
	s_xor_b64 exec, exec, s[6:7]
	s_cbranch_execnz .LBB40_2456
.LBB40_406:
	s_or_b64 exec, exec, s[6:7]
	s_and_saveexec_b64 s[6:7], s[4:5]
	s_cbranch_execz .LBB40_408
.LBB40_407:
	v_bfe_u32 v11, v2, 16, 3
	v_ffbh_u32_e32 v14, v11
	v_min_u32_e32 v14, 32, v14
	v_lshrrev_b32_e32 v12, 19, v2
	v_subrev_u32_e32 v15, 28, v14
	v_and_b32_e32 v12, 15, v12
	v_lshlrev_b32_sdwa v15, v15, v2 dst_sel:DWORD dst_unused:UNUSED_PAD src0_sel:DWORD src1_sel:WORD_1
	v_bfe_u32 v13, v2, 19, 4
	v_sub_u32_e32 v14, 29, v14
	v_and_b32_e32 v15, 7, v15
	v_cmp_eq_u16_e32 vcc, 0, v12
	v_cndmask_b32_e32 v11, v11, v15, vcc
	v_cndmask_b32_e32 v12, v13, v14, vcc
	v_lshlrev_b32_e32 v13, 8, v2
	v_mov_b32_e32 v14, 0x3b800000
	v_lshlrev_b32_e32 v11, 20, v11
	v_and_b32_e32 v13, 0x80000000, v13
	v_lshl_add_u32 v12, v12, 23, v14
	v_or3_b32 v12, v13, v12, v11
.LBB40_408:
	s_or_b64 exec, exec, s[6:7]
	s_nop 0
	v_mfma_f32_16x16x4f32 a[0:3], v10, v12, a[0:3]
	s_movk_i32 s4, 0x7f
	v_cmp_gt_i16_sdwa s[6:7], v6, s4 src0_sel:BYTE_3 src1_sel:DWORD
	s_mov_b64 s[4:5], 0
                                        ; implicit-def: $sgpr10
	s_and_saveexec_b64 s[8:9], s[6:7]
	s_xor_b64 s[6:7], exec, s[8:9]
	s_cbranch_execnz .LBB40_2457
; %bb.409:
	s_or_saveexec_b64 s[6:7], s[6:7]
	v_mov_b32_e32 v10, s10
	s_xor_b64 exec, exec, s[6:7]
	s_cbranch_execnz .LBB40_2460
.LBB40_410:
	s_or_b64 exec, exec, s[6:7]
	s_and_saveexec_b64 s[6:7], s[4:5]
	s_cbranch_execz .LBB40_412
.LBB40_411:
	v_bfe_u32 v10, v6, 24, 3
	v_ffbh_u32_e32 v14, v10
	v_min_u32_e32 v14, 32, v14
	v_lshrrev_b32_e32 v12, 27, v6
	v_subrev_u32_e32 v15, 28, v14
	v_and_b32_e32 v11, 0x80000000, v6
	v_and_b32_e32 v12, 15, v12
	v_bfe_u32 v13, v6, 27, 4
	v_lshlrev_b32_sdwa v6, v15, v6 dst_sel:DWORD dst_unused:UNUSED_PAD src0_sel:DWORD src1_sel:BYTE_3
	v_sub_u32_e32 v14, 29, v14
	v_and_b32_e32 v6, 7, v6
	v_cmp_eq_u16_e32 vcc, 0, v12
	v_cndmask_b32_e32 v6, v10, v6, vcc
	v_cndmask_b32_e32 v10, v13, v14, vcc
	v_mov_b32_e32 v12, 0x3b800000
	v_lshlrev_b32_e32 v6, 20, v6
	v_lshl_add_u32 v10, v10, 23, v12
	v_or3_b32 v10, v11, v10, v6
.LBB40_412:
	s_or_b64 exec, exec, s[6:7]
	s_movk_i32 s4, 0x7f
	v_cmp_gt_i16_sdwa s[6:7], v2, s4 src0_sel:BYTE_3 src1_sel:DWORD
	s_mov_b64 s[4:5], 0
                                        ; implicit-def: $sgpr10
	s_and_saveexec_b64 s[8:9], s[6:7]
	s_xor_b64 s[6:7], exec, s[8:9]
	s_cbranch_execnz .LBB40_2461
; %bb.413:
	s_or_saveexec_b64 s[6:7], s[6:7]
	v_mov_b32_e32 v6, s10
	s_xor_b64 exec, exec, s[6:7]
	s_cbranch_execnz .LBB40_2464
.LBB40_414:
	s_or_b64 exec, exec, s[6:7]
	s_and_saveexec_b64 s[6:7], s[4:5]
	s_cbranch_execz .LBB40_416
.LBB40_415:
	v_bfe_u32 v6, v2, 24, 3
	v_ffbh_u32_e32 v14, v6
	v_min_u32_e32 v14, 32, v14
	v_lshrrev_b32_e32 v12, 27, v2
	v_subrev_u32_e32 v15, 28, v14
	v_and_b32_e32 v11, 0x80000000, v2
	v_and_b32_e32 v12, 15, v12
	v_bfe_u32 v13, v2, 27, 4
	v_lshlrev_b32_sdwa v2, v15, v2 dst_sel:DWORD dst_unused:UNUSED_PAD src0_sel:DWORD src1_sel:BYTE_3
	v_sub_u32_e32 v14, 29, v14
	v_and_b32_e32 v2, 7, v2
	v_cmp_eq_u16_e32 vcc, 0, v12
	v_cndmask_b32_e32 v2, v6, v2, vcc
	v_cndmask_b32_e32 v6, v13, v14, vcc
	v_mov_b32_e32 v12, 0x3b800000
	v_lshlrev_b32_e32 v2, 20, v2
	v_lshl_add_u32 v6, v6, 23, v12
	v_or3_b32 v6, v11, v6, v2
.LBB40_416:
	s_or_b64 exec, exec, s[6:7]
	s_nop 0
	v_mfma_f32_16x16x4f32 a[0:3], v10, v6, a[0:3]
	s_movk_i32 s4, 0x7f
	v_cmp_gt_i16_sdwa s[6:7], v7, s4 src0_sel:BYTE_0 src1_sel:DWORD
	s_mov_b64 s[4:5], 0
                                        ; implicit-def: $sgpr10
	s_and_saveexec_b64 s[8:9], s[6:7]
	s_xor_b64 s[6:7], exec, s[8:9]
	s_cbranch_execnz .LBB40_2465
; %bb.417:
	s_or_saveexec_b64 s[6:7], s[6:7]
	v_mov_b32_e32 v2, s10
	s_xor_b64 exec, exec, s[6:7]
	s_cbranch_execnz .LBB40_2468
.LBB40_418:
	s_or_b64 exec, exec, s[6:7]
	s_and_saveexec_b64 s[6:7], s[4:5]
	s_cbranch_execz .LBB40_420
.LBB40_419:
	v_and_b32_e32 v2, 7, v7
	v_ffbh_u32_e32 v10, v2
	v_min_u32_e32 v10, 32, v10
	v_lshrrev_b16_e32 v6, 3, v7
	v_subrev_u32_e32 v11, 28, v10
	v_and_b32_e32 v6, 15, v6
	v_lshlrev_b32_e32 v11, v11, v7
	v_sub_u32_e32 v10, 29, v10
	v_and_b32_e32 v11, 7, v11
	v_cmp_eq_u16_e32 vcc, 0, v6
	v_cndmask_b32_e32 v2, v2, v11, vcc
	v_cndmask_b32_e32 v6, v6, v10, vcc
	v_lshlrev_b32_e32 v10, 24, v7
	v_mov_b32_e32 v11, 0x3b800000
	v_lshlrev_b32_e32 v2, 20, v2
	v_and_b32_e32 v10, 0x80000000, v10
	v_lshl_add_u32 v6, v6, 23, v11
	v_or3_b32 v2, v10, v6, v2
.LBB40_420:
	s_or_b64 exec, exec, s[6:7]
	s_movk_i32 s4, 0x7f
	v_cmp_gt_i16_sdwa s[6:7], v3, s4 src0_sel:BYTE_0 src1_sel:DWORD
	s_mov_b64 s[4:5], 0
                                        ; implicit-def: $sgpr10
	s_and_saveexec_b64 s[8:9], s[6:7]
	s_xor_b64 s[6:7], exec, s[8:9]
	s_cbranch_execnz .LBB40_2469
; %bb.421:
	s_or_saveexec_b64 s[6:7], s[6:7]
	v_mov_b32_e32 v6, s10
	s_xor_b64 exec, exec, s[6:7]
	s_cbranch_execnz .LBB40_2472
.LBB40_422:
	s_or_b64 exec, exec, s[6:7]
	s_and_saveexec_b64 s[6:7], s[4:5]
	s_cbranch_execz .LBB40_424
.LBB40_423:
	v_and_b32_e32 v6, 7, v3
	v_ffbh_u32_e32 v11, v6
	v_min_u32_e32 v11, 32, v11
	v_lshrrev_b16_e32 v10, 3, v3
	v_subrev_u32_e32 v12, 28, v11
	v_and_b32_e32 v10, 15, v10
	v_lshlrev_b32_e32 v12, v12, v3
	v_sub_u32_e32 v11, 29, v11
	v_and_b32_e32 v12, 7, v12
	v_cmp_eq_u16_e32 vcc, 0, v10
	v_cndmask_b32_e32 v6, v6, v12, vcc
	v_cndmask_b32_e32 v10, v10, v11, vcc
	v_lshlrev_b32_e32 v11, 24, v3
	v_mov_b32_e32 v12, 0x3b800000
	v_lshlrev_b32_e32 v6, 20, v6
	v_and_b32_e32 v11, 0x80000000, v11
	v_lshl_add_u32 v10, v10, 23, v12
	v_or3_b32 v6, v11, v10, v6
.LBB40_424:
	s_or_b64 exec, exec, s[6:7]
	s_nop 0
	v_mfma_f32_16x16x4f32 a[0:3], v2, v6, a[0:3]
	v_lshrrev_b32_e32 v6, 8, v7
	s_movk_i32 s4, 0x7f
	v_cmp_gt_i16_sdwa s[6:7], v6, s4 src0_sel:BYTE_0 src1_sel:DWORD
	s_mov_b64 s[4:5], 0
                                        ; implicit-def: $sgpr10
	s_and_saveexec_b64 s[8:9], s[6:7]
	s_xor_b64 s[6:7], exec, s[8:9]
	s_cbranch_execnz .LBB40_2473
; %bb.425:
	s_or_saveexec_b64 s[6:7], s[6:7]
	v_mov_b32_e32 v2, s10
	s_xor_b64 exec, exec, s[6:7]
	s_cbranch_execnz .LBB40_2476
.LBB40_426:
	s_or_b64 exec, exec, s[6:7]
	s_and_saveexec_b64 s[6:7], s[4:5]
	s_cbranch_execz .LBB40_428
.LBB40_427:
	v_bfe_u32 v2, v7, 8, 3
	v_ffbh_u32_e32 v11, v2
	v_min_u32_e32 v11, 32, v11
	v_lshrrev_b16_e32 v10, 3, v6
	v_subrev_u32_e32 v12, 28, v11
	v_and_b32_e32 v10, 15, v10
	v_lshlrev_b32_e32 v6, v12, v6
	v_sub_u32_e32 v11, 29, v11
	v_and_b32_e32 v6, 7, v6
	v_cmp_eq_u16_e32 vcc, 0, v10
	v_cndmask_b32_e32 v2, v2, v6, vcc
	v_cndmask_b32_e32 v6, v10, v11, vcc
	v_lshlrev_b32_e32 v10, 16, v7
	v_mov_b32_e32 v11, 0x3b800000
	v_lshlrev_b32_e32 v2, 20, v2
	v_and_b32_e32 v10, 0x80000000, v10
	v_lshl_add_u32 v6, v6, 23, v11
	v_or3_b32 v2, v10, v6, v2
.LBB40_428:
	s_or_b64 exec, exec, s[6:7]
	v_lshrrev_b32_e32 v6, 8, v3
	s_movk_i32 s4, 0x7f
	v_cmp_gt_i16_sdwa s[6:7], v6, s4 src0_sel:BYTE_0 src1_sel:DWORD
	s_mov_b64 s[4:5], 0
                                        ; implicit-def: $sgpr10
	s_and_saveexec_b64 s[8:9], s[6:7]
	s_xor_b64 s[6:7], exec, s[8:9]
	s_cbranch_execnz .LBB40_2477
; %bb.429:
	s_or_saveexec_b64 s[6:7], s[6:7]
	v_mov_b32_e32 v10, s10
	s_xor_b64 exec, exec, s[6:7]
	s_cbranch_execnz .LBB40_2480
.LBB40_430:
	s_or_b64 exec, exec, s[6:7]
	s_and_saveexec_b64 s[6:7], s[4:5]
	s_cbranch_execz .LBB40_432
.LBB40_431:
	v_bfe_u32 v10, v3, 8, 3
	v_ffbh_u32_e32 v12, v10
	v_min_u32_e32 v12, 32, v12
	v_lshrrev_b16_e32 v11, 3, v6
	v_subrev_u32_e32 v13, 28, v12
	v_and_b32_e32 v11, 15, v11
	v_lshlrev_b32_e32 v6, v13, v6
	v_sub_u32_e32 v12, 29, v12
	v_and_b32_e32 v6, 7, v6
	v_cmp_eq_u16_e32 vcc, 0, v11
	v_cndmask_b32_e32 v6, v10, v6, vcc
	v_cndmask_b32_e32 v10, v11, v12, vcc
	v_lshlrev_b32_e32 v11, 16, v3
	v_mov_b32_e32 v12, 0x3b800000
	v_lshlrev_b32_e32 v6, 20, v6
	v_and_b32_e32 v11, 0x80000000, v11
	v_lshl_add_u32 v10, v10, 23, v12
	v_or3_b32 v10, v11, v10, v6
.LBB40_432:
	s_or_b64 exec, exec, s[6:7]
	s_nop 0
	v_mfma_f32_16x16x4f32 a[0:3], v2, v10, a[0:3]
	s_movk_i32 s4, 0xff
	v_and_b32_sdwa v6, v7, s4 dst_sel:DWORD dst_unused:UNUSED_PAD src0_sel:WORD_1 src1_sel:DWORD
	s_movk_i32 s4, 0x7f
	v_cmp_lt_i16_e32 vcc, s4, v6
	s_mov_b64 s[4:5], 0
                                        ; implicit-def: $sgpr10
	s_and_saveexec_b64 s[6:7], vcc
	s_xor_b64 s[6:7], exec, s[6:7]
	s_cbranch_execnz .LBB40_2481
; %bb.433:
	s_or_saveexec_b64 s[6:7], s[6:7]
	v_mov_b32_e32 v2, s10
	s_xor_b64 exec, exec, s[6:7]
	s_cbranch_execnz .LBB40_2484
.LBB40_434:
	s_or_b64 exec, exec, s[6:7]
	s_and_saveexec_b64 s[6:7], s[4:5]
	s_cbranch_execz .LBB40_436
.LBB40_435:
	v_bfe_u32 v2, v7, 16, 3
	v_ffbh_u32_e32 v11, v2
	v_min_u32_e32 v11, 32, v11
	v_lshrrev_b32_e32 v6, 19, v7
	v_subrev_u32_e32 v12, 28, v11
	v_and_b32_e32 v6, 15, v6
	v_lshlrev_b32_sdwa v12, v12, v7 dst_sel:DWORD dst_unused:UNUSED_PAD src0_sel:DWORD src1_sel:WORD_1
	v_bfe_u32 v10, v7, 19, 4
	v_sub_u32_e32 v11, 29, v11
	v_and_b32_e32 v12, 7, v12
	v_cmp_eq_u16_e32 vcc, 0, v6
	v_cndmask_b32_e32 v2, v2, v12, vcc
	v_cndmask_b32_e32 v6, v10, v11, vcc
	v_lshlrev_b32_e32 v10, 8, v7
	v_mov_b32_e32 v11, 0x3b800000
	v_lshlrev_b32_e32 v2, 20, v2
	v_and_b32_e32 v10, 0x80000000, v10
	v_lshl_add_u32 v6, v6, 23, v11
	v_or3_b32 v2, v10, v6, v2
.LBB40_436:
	s_or_b64 exec, exec, s[6:7]
	s_movk_i32 s4, 0xff
	v_and_b32_sdwa v6, v3, s4 dst_sel:DWORD dst_unused:UNUSED_PAD src0_sel:WORD_1 src1_sel:DWORD
	s_movk_i32 s4, 0x7f
	v_cmp_lt_i16_e32 vcc, s4, v6
	s_mov_b64 s[4:5], 0
                                        ; implicit-def: $sgpr10
	s_and_saveexec_b64 s[6:7], vcc
	s_xor_b64 s[6:7], exec, s[6:7]
	s_cbranch_execnz .LBB40_2485
; %bb.437:
	s_or_saveexec_b64 s[6:7], s[6:7]
	v_mov_b32_e32 v10, s10
	s_xor_b64 exec, exec, s[6:7]
	s_cbranch_execnz .LBB40_2488
.LBB40_438:
	s_or_b64 exec, exec, s[6:7]
	s_and_saveexec_b64 s[6:7], s[4:5]
	s_cbranch_execz .LBB40_440
.LBB40_439:
	v_bfe_u32 v6, v3, 16, 3
	v_ffbh_u32_e32 v12, v6
	v_min_u32_e32 v12, 32, v12
	v_lshrrev_b32_e32 v10, 19, v3
	v_subrev_u32_e32 v13, 28, v12
	v_and_b32_e32 v10, 15, v10
	v_lshlrev_b32_sdwa v13, v13, v3 dst_sel:DWORD dst_unused:UNUSED_PAD src0_sel:DWORD src1_sel:WORD_1
	v_bfe_u32 v11, v3, 19, 4
	v_sub_u32_e32 v12, 29, v12
	v_and_b32_e32 v13, 7, v13
	v_cmp_eq_u16_e32 vcc, 0, v10
	v_cndmask_b32_e32 v6, v6, v13, vcc
	v_cndmask_b32_e32 v10, v11, v12, vcc
	v_lshlrev_b32_e32 v11, 8, v3
	v_mov_b32_e32 v12, 0x3b800000
	v_lshlrev_b32_e32 v6, 20, v6
	v_and_b32_e32 v11, 0x80000000, v11
	v_lshl_add_u32 v10, v10, 23, v12
	v_or3_b32 v10, v11, v10, v6
.LBB40_440:
	s_or_b64 exec, exec, s[6:7]
	s_nop 0
	v_mfma_f32_16x16x4f32 a[0:3], v2, v10, a[0:3]
	s_movk_i32 s4, 0x7f
	v_cmp_gt_i16_sdwa s[6:7], v7, s4 src0_sel:BYTE_3 src1_sel:DWORD
	s_mov_b64 s[4:5], 0
                                        ; implicit-def: $sgpr10
	s_and_saveexec_b64 s[8:9], s[6:7]
	s_xor_b64 s[6:7], exec, s[8:9]
	s_cbranch_execnz .LBB40_2489
; %bb.441:
	s_or_saveexec_b64 s[6:7], s[6:7]
	v_mov_b32_e32 v2, s10
	s_xor_b64 exec, exec, s[6:7]
	s_cbranch_execnz .LBB40_2492
.LBB40_442:
	s_or_b64 exec, exec, s[6:7]
	s_and_saveexec_b64 s[6:7], s[4:5]
	s_cbranch_execz .LBB40_444
.LBB40_443:
	v_bfe_u32 v2, v7, 24, 3
	v_ffbh_u32_e32 v12, v2
	v_min_u32_e32 v12, 32, v12
	v_lshrrev_b32_e32 v10, 27, v7
	v_subrev_u32_e32 v13, 28, v12
	v_and_b32_e32 v6, 0x80000000, v7
	v_and_b32_e32 v10, 15, v10
	v_bfe_u32 v11, v7, 27, 4
	v_lshlrev_b32_sdwa v7, v13, v7 dst_sel:DWORD dst_unused:UNUSED_PAD src0_sel:DWORD src1_sel:BYTE_3
	v_sub_u32_e32 v12, 29, v12
	v_and_b32_e32 v7, 7, v7
	v_cmp_eq_u16_e32 vcc, 0, v10
	v_cndmask_b32_e32 v2, v2, v7, vcc
	v_cndmask_b32_e32 v7, v11, v12, vcc
	v_mov_b32_e32 v10, 0x3b800000
	v_lshlrev_b32_e32 v2, 20, v2
	v_lshl_add_u32 v7, v7, 23, v10
	v_or3_b32 v2, v6, v7, v2
.LBB40_444:
	s_or_b64 exec, exec, s[6:7]
	s_movk_i32 s4, 0x7f
	v_cmp_gt_i16_sdwa s[6:7], v3, s4 src0_sel:BYTE_3 src1_sel:DWORD
	s_mov_b64 s[4:5], 0
                                        ; implicit-def: $sgpr10
	s_and_saveexec_b64 s[8:9], s[6:7]
	s_xor_b64 s[6:7], exec, s[8:9]
	s_cbranch_execnz .LBB40_2493
; %bb.445:
	s_or_saveexec_b64 s[6:7], s[6:7]
	v_mov_b32_e32 v6, s10
	s_xor_b64 exec, exec, s[6:7]
	s_cbranch_execnz .LBB40_2496
.LBB40_446:
	s_or_b64 exec, exec, s[6:7]
	s_and_saveexec_b64 s[6:7], s[4:5]
	s_cbranch_execz .LBB40_448
.LBB40_447:
	v_bfe_u32 v6, v3, 24, 3
	v_ffbh_u32_e32 v12, v6
	v_min_u32_e32 v12, 32, v12
	v_lshrrev_b32_e32 v10, 27, v3
	v_subrev_u32_e32 v13, 28, v12
	v_and_b32_e32 v7, 0x80000000, v3
	v_and_b32_e32 v10, 15, v10
	v_bfe_u32 v11, v3, 27, 4
	v_lshlrev_b32_sdwa v3, v13, v3 dst_sel:DWORD dst_unused:UNUSED_PAD src0_sel:DWORD src1_sel:BYTE_3
	v_sub_u32_e32 v12, 29, v12
	v_and_b32_e32 v3, 7, v3
	v_cmp_eq_u16_e32 vcc, 0, v10
	v_cndmask_b32_e32 v3, v6, v3, vcc
	v_cndmask_b32_e32 v6, v11, v12, vcc
	v_mov_b32_e32 v10, 0x3b800000
	v_lshlrev_b32_e32 v3, 20, v3
	v_lshl_add_u32 v6, v6, 23, v10
	v_or3_b32 v6, v7, v6, v3
.LBB40_448:
	s_or_b64 exec, exec, s[6:7]
	s_nop 0
	v_mfma_f32_16x16x4f32 a[0:3], v2, v6, a[0:3]
	s_movk_i32 s4, 0x7f
	v_cmp_gt_i16_sdwa s[6:7], v8, s4 src0_sel:BYTE_0 src1_sel:DWORD
	s_mov_b64 s[4:5], 0
                                        ; implicit-def: $sgpr10
	s_and_saveexec_b64 s[8:9], s[6:7]
	s_xor_b64 s[6:7], exec, s[8:9]
	s_cbranch_execnz .LBB40_2497
; %bb.449:
	s_or_saveexec_b64 s[6:7], s[6:7]
	v_mov_b32_e32 v2, s10
	s_xor_b64 exec, exec, s[6:7]
	s_cbranch_execnz .LBB40_2500
.LBB40_450:
	s_or_b64 exec, exec, s[6:7]
	s_and_saveexec_b64 s[6:7], s[4:5]
	s_cbranch_execz .LBB40_452
.LBB40_451:
	v_and_b32_e32 v2, 7, v8
	v_ffbh_u32_e32 v6, v2
	v_min_u32_e32 v6, 32, v6
	v_lshrrev_b16_e32 v3, 3, v8
	v_subrev_u32_e32 v7, 28, v6
	v_and_b32_e32 v3, 15, v3
	v_lshlrev_b32_e32 v7, v7, v8
	v_sub_u32_e32 v6, 29, v6
	v_and_b32_e32 v7, 7, v7
	v_cmp_eq_u16_e32 vcc, 0, v3
	v_cndmask_b32_e32 v2, v2, v7, vcc
	v_cndmask_b32_e32 v3, v3, v6, vcc
	v_lshlrev_b32_e32 v6, 24, v8
	v_mov_b32_e32 v7, 0x3b800000
	v_lshlrev_b32_e32 v2, 20, v2
	v_and_b32_e32 v6, 0x80000000, v6
	v_lshl_add_u32 v3, v3, 23, v7
	v_or3_b32 v2, v6, v3, v2
.LBB40_452:
	s_or_b64 exec, exec, s[6:7]
	s_movk_i32 s4, 0x7f
	v_cmp_gt_i16_sdwa s[6:7], v4, s4 src0_sel:BYTE_0 src1_sel:DWORD
	s_mov_b64 s[4:5], 0
                                        ; implicit-def: $sgpr10
	s_and_saveexec_b64 s[8:9], s[6:7]
	s_xor_b64 s[6:7], exec, s[8:9]
	s_cbranch_execnz .LBB40_2501
; %bb.453:
	s_or_saveexec_b64 s[6:7], s[6:7]
	v_mov_b32_e32 v3, s10
	s_xor_b64 exec, exec, s[6:7]
	s_cbranch_execnz .LBB40_2504
.LBB40_454:
	s_or_b64 exec, exec, s[6:7]
	s_and_saveexec_b64 s[6:7], s[4:5]
	s_cbranch_execz .LBB40_456
.LBB40_455:
	v_and_b32_e32 v3, 7, v4
	v_ffbh_u32_e32 v7, v3
	v_min_u32_e32 v7, 32, v7
	v_lshrrev_b16_e32 v6, 3, v4
	v_subrev_u32_e32 v10, 28, v7
	v_and_b32_e32 v6, 15, v6
	v_lshlrev_b32_e32 v10, v10, v4
	v_sub_u32_e32 v7, 29, v7
	v_and_b32_e32 v10, 7, v10
	v_cmp_eq_u16_e32 vcc, 0, v6
	v_cndmask_b32_e32 v3, v3, v10, vcc
	v_cndmask_b32_e32 v6, v6, v7, vcc
	v_lshlrev_b32_e32 v7, 24, v4
	v_mov_b32_e32 v10, 0x3b800000
	v_lshlrev_b32_e32 v3, 20, v3
	v_and_b32_e32 v7, 0x80000000, v7
	v_lshl_add_u32 v6, v6, 23, v10
	v_or3_b32 v3, v7, v6, v3
.LBB40_456:
	s_or_b64 exec, exec, s[6:7]
	s_nop 0
	v_mfma_f32_16x16x4f32 a[0:3], v2, v3, a[0:3]
	v_lshrrev_b32_e32 v3, 8, v8
	s_movk_i32 s4, 0x7f
	v_cmp_gt_i16_sdwa s[6:7], v3, s4 src0_sel:BYTE_0 src1_sel:DWORD
	s_mov_b64 s[4:5], 0
                                        ; implicit-def: $sgpr10
	s_and_saveexec_b64 s[8:9], s[6:7]
	s_xor_b64 s[6:7], exec, s[8:9]
	s_cbranch_execnz .LBB40_2505
; %bb.457:
	s_or_saveexec_b64 s[6:7], s[6:7]
	v_mov_b32_e32 v2, s10
	s_xor_b64 exec, exec, s[6:7]
	s_cbranch_execnz .LBB40_2508
.LBB40_458:
	s_or_b64 exec, exec, s[6:7]
	s_and_saveexec_b64 s[6:7], s[4:5]
	s_cbranch_execz .LBB40_460
.LBB40_459:
	v_bfe_u32 v2, v8, 8, 3
	v_ffbh_u32_e32 v7, v2
	v_min_u32_e32 v7, 32, v7
	v_lshrrev_b16_e32 v6, 3, v3
	v_subrev_u32_e32 v10, 28, v7
	v_and_b32_e32 v6, 15, v6
	v_lshlrev_b32_e32 v3, v10, v3
	v_sub_u32_e32 v7, 29, v7
	v_and_b32_e32 v3, 7, v3
	v_cmp_eq_u16_e32 vcc, 0, v6
	v_cndmask_b32_e32 v2, v2, v3, vcc
	v_cndmask_b32_e32 v3, v6, v7, vcc
	v_lshlrev_b32_e32 v6, 16, v8
	v_mov_b32_e32 v7, 0x3b800000
	v_lshlrev_b32_e32 v2, 20, v2
	v_and_b32_e32 v6, 0x80000000, v6
	v_lshl_add_u32 v3, v3, 23, v7
	v_or3_b32 v2, v6, v3, v2
.LBB40_460:
	s_or_b64 exec, exec, s[6:7]
	v_lshrrev_b32_e32 v3, 8, v4
	s_movk_i32 s4, 0x7f
	v_cmp_gt_i16_sdwa s[6:7], v3, s4 src0_sel:BYTE_0 src1_sel:DWORD
	s_mov_b64 s[4:5], 0
                                        ; implicit-def: $sgpr10
	s_and_saveexec_b64 s[8:9], s[6:7]
	s_xor_b64 s[6:7], exec, s[8:9]
	s_cbranch_execnz .LBB40_2509
; %bb.461:
	s_or_saveexec_b64 s[6:7], s[6:7]
	v_mov_b32_e32 v6, s10
	s_xor_b64 exec, exec, s[6:7]
	s_cbranch_execnz .LBB40_2512
.LBB40_462:
	s_or_b64 exec, exec, s[6:7]
	s_and_saveexec_b64 s[6:7], s[4:5]
	s_cbranch_execz .LBB40_464
.LBB40_463:
	v_bfe_u32 v6, v4, 8, 3
	v_ffbh_u32_e32 v10, v6
	v_min_u32_e32 v10, 32, v10
	v_lshrrev_b16_e32 v7, 3, v3
	v_subrev_u32_e32 v11, 28, v10
	v_and_b32_e32 v7, 15, v7
	v_lshlrev_b32_e32 v3, v11, v3
	v_sub_u32_e32 v10, 29, v10
	v_and_b32_e32 v3, 7, v3
	v_cmp_eq_u16_e32 vcc, 0, v7
	v_cndmask_b32_e32 v3, v6, v3, vcc
	v_cndmask_b32_e32 v6, v7, v10, vcc
	v_lshlrev_b32_e32 v7, 16, v4
	v_mov_b32_e32 v10, 0x3b800000
	v_lshlrev_b32_e32 v3, 20, v3
	v_and_b32_e32 v7, 0x80000000, v7
	v_lshl_add_u32 v6, v6, 23, v10
	v_or3_b32 v6, v7, v6, v3
.LBB40_464:
	s_or_b64 exec, exec, s[6:7]
	s_nop 0
	v_mfma_f32_16x16x4f32 a[0:3], v2, v6, a[0:3]
	s_movk_i32 s4, 0xff
	v_and_b32_sdwa v3, v8, s4 dst_sel:DWORD dst_unused:UNUSED_PAD src0_sel:WORD_1 src1_sel:DWORD
	s_movk_i32 s4, 0x7f
	v_cmp_lt_i16_e32 vcc, s4, v3
	s_mov_b64 s[4:5], 0
                                        ; implicit-def: $sgpr10
	s_and_saveexec_b64 s[6:7], vcc
	s_xor_b64 s[6:7], exec, s[6:7]
	s_cbranch_execnz .LBB40_2513
; %bb.465:
	s_or_saveexec_b64 s[6:7], s[6:7]
	v_mov_b32_e32 v2, s10
	s_xor_b64 exec, exec, s[6:7]
	s_cbranch_execnz .LBB40_2516
.LBB40_466:
	s_or_b64 exec, exec, s[6:7]
	s_and_saveexec_b64 s[6:7], s[4:5]
	s_cbranch_execz .LBB40_468
.LBB40_467:
	v_bfe_u32 v2, v8, 16, 3
	v_ffbh_u32_e32 v7, v2
	v_min_u32_e32 v7, 32, v7
	v_lshrrev_b32_e32 v3, 19, v8
	v_subrev_u32_e32 v10, 28, v7
	v_and_b32_e32 v3, 15, v3
	v_lshlrev_b32_sdwa v10, v10, v8 dst_sel:DWORD dst_unused:UNUSED_PAD src0_sel:DWORD src1_sel:WORD_1
	v_bfe_u32 v6, v8, 19, 4
	v_sub_u32_e32 v7, 29, v7
	v_and_b32_e32 v10, 7, v10
	v_cmp_eq_u16_e32 vcc, 0, v3
	v_cndmask_b32_e32 v2, v2, v10, vcc
	v_cndmask_b32_e32 v3, v6, v7, vcc
	v_lshlrev_b32_e32 v6, 8, v8
	v_mov_b32_e32 v7, 0x3b800000
	v_lshlrev_b32_e32 v2, 20, v2
	v_and_b32_e32 v6, 0x80000000, v6
	v_lshl_add_u32 v3, v3, 23, v7
	v_or3_b32 v2, v6, v3, v2
.LBB40_468:
	s_or_b64 exec, exec, s[6:7]
	s_movk_i32 s4, 0xff
	v_and_b32_sdwa v3, v4, s4 dst_sel:DWORD dst_unused:UNUSED_PAD src0_sel:WORD_1 src1_sel:DWORD
	s_movk_i32 s4, 0x7f
	v_cmp_lt_i16_e32 vcc, s4, v3
	s_mov_b64 s[4:5], 0
                                        ; implicit-def: $sgpr10
	s_and_saveexec_b64 s[6:7], vcc
	s_xor_b64 s[6:7], exec, s[6:7]
	s_cbranch_execnz .LBB40_2517
; %bb.469:
	s_or_saveexec_b64 s[6:7], s[6:7]
	v_mov_b32_e32 v6, s10
	s_xor_b64 exec, exec, s[6:7]
	s_cbranch_execnz .LBB40_2520
.LBB40_470:
	s_or_b64 exec, exec, s[6:7]
	s_and_saveexec_b64 s[6:7], s[4:5]
	s_cbranch_execz .LBB40_472
.LBB40_471:
	v_bfe_u32 v3, v4, 16, 3
	v_ffbh_u32_e32 v10, v3
	v_min_u32_e32 v10, 32, v10
	v_lshrrev_b32_e32 v6, 19, v4
	v_subrev_u32_e32 v11, 28, v10
	v_and_b32_e32 v6, 15, v6
	v_lshlrev_b32_sdwa v11, v11, v4 dst_sel:DWORD dst_unused:UNUSED_PAD src0_sel:DWORD src1_sel:WORD_1
	v_bfe_u32 v7, v4, 19, 4
	v_sub_u32_e32 v10, 29, v10
	v_and_b32_e32 v11, 7, v11
	v_cmp_eq_u16_e32 vcc, 0, v6
	v_cndmask_b32_e32 v3, v3, v11, vcc
	v_cndmask_b32_e32 v6, v7, v10, vcc
	v_lshlrev_b32_e32 v7, 8, v4
	v_mov_b32_e32 v10, 0x3b800000
	v_lshlrev_b32_e32 v3, 20, v3
	v_and_b32_e32 v7, 0x80000000, v7
	v_lshl_add_u32 v6, v6, 23, v10
	v_or3_b32 v6, v7, v6, v3
.LBB40_472:
	s_or_b64 exec, exec, s[6:7]
	s_nop 0
	v_mfma_f32_16x16x4f32 a[0:3], v2, v6, a[0:3]
	s_movk_i32 s4, 0x7f
	v_cmp_gt_i16_sdwa s[6:7], v8, s4 src0_sel:BYTE_3 src1_sel:DWORD
	s_mov_b64 s[4:5], 0
                                        ; implicit-def: $sgpr10
	s_and_saveexec_b64 s[8:9], s[6:7]
	s_xor_b64 s[6:7], exec, s[8:9]
	s_cbranch_execnz .LBB40_2521
; %bb.473:
	s_or_saveexec_b64 s[6:7], s[6:7]
	v_mov_b32_e32 v2, s10
	s_xor_b64 exec, exec, s[6:7]
	s_cbranch_execnz .LBB40_2524
.LBB40_474:
	s_or_b64 exec, exec, s[6:7]
	s_and_saveexec_b64 s[6:7], s[4:5]
	s_cbranch_execz .LBB40_476
.LBB40_475:
	v_bfe_u32 v2, v8, 24, 3
	v_ffbh_u32_e32 v10, v2
	v_min_u32_e32 v10, 32, v10
	v_lshrrev_b32_e32 v6, 27, v8
	v_subrev_u32_e32 v11, 28, v10
	v_and_b32_e32 v3, 0x80000000, v8
	v_and_b32_e32 v6, 15, v6
	v_bfe_u32 v7, v8, 27, 4
	v_lshlrev_b32_sdwa v8, v11, v8 dst_sel:DWORD dst_unused:UNUSED_PAD src0_sel:DWORD src1_sel:BYTE_3
	v_sub_u32_e32 v10, 29, v10
	v_and_b32_e32 v8, 7, v8
	v_cmp_eq_u16_e32 vcc, 0, v6
	v_cndmask_b32_e32 v2, v2, v8, vcc
	v_cndmask_b32_e32 v6, v7, v10, vcc
	v_mov_b32_e32 v7, 0x3b800000
	v_lshlrev_b32_e32 v2, 20, v2
	v_lshl_add_u32 v6, v6, 23, v7
	v_or3_b32 v2, v3, v6, v2
.LBB40_476:
	s_or_b64 exec, exec, s[6:7]
	s_movk_i32 s4, 0x7f
	v_cmp_gt_i16_sdwa s[6:7], v4, s4 src0_sel:BYTE_3 src1_sel:DWORD
	s_mov_b64 s[4:5], 0
                                        ; implicit-def: $sgpr10
	s_and_saveexec_b64 s[8:9], s[6:7]
	s_xor_b64 s[6:7], exec, s[8:9]
	s_cbranch_execnz .LBB40_2525
; %bb.477:
	s_or_saveexec_b64 s[6:7], s[6:7]
	v_mov_b32_e32 v3, s10
	s_xor_b64 exec, exec, s[6:7]
	s_cbranch_execnz .LBB40_2528
.LBB40_478:
	s_or_b64 exec, exec, s[6:7]
	s_and_saveexec_b64 s[6:7], s[4:5]
	s_cbranch_execz .LBB40_480
.LBB40_479:
	v_bfe_u32 v3, v4, 24, 3
	v_ffbh_u32_e32 v10, v3
	v_min_u32_e32 v10, 32, v10
	v_lshrrev_b32_e32 v7, 27, v4
	v_subrev_u32_e32 v11, 28, v10
	v_and_b32_e32 v6, 0x80000000, v4
	v_and_b32_e32 v7, 15, v7
	v_bfe_u32 v8, v4, 27, 4
	v_lshlrev_b32_sdwa v4, v11, v4 dst_sel:DWORD dst_unused:UNUSED_PAD src0_sel:DWORD src1_sel:BYTE_3
	v_sub_u32_e32 v10, 29, v10
	v_and_b32_e32 v4, 7, v4
	v_cmp_eq_u16_e32 vcc, 0, v7
	v_cndmask_b32_e32 v3, v3, v4, vcc
	v_cndmask_b32_e32 v4, v8, v10, vcc
	v_mov_b32_e32 v7, 0x3b800000
	v_lshlrev_b32_e32 v3, 20, v3
	v_lshl_add_u32 v4, v4, 23, v7
	v_or3_b32 v3, v6, v4, v3
.LBB40_480:
	s_or_b64 exec, exec, s[6:7]
	s_nop 0
	v_mfma_f32_16x16x4f32 a[0:3], v2, v3, a[0:3]
	s_movk_i32 s4, 0x7f
	v_cmp_gt_i16_sdwa s[6:7], v9, s4 src0_sel:BYTE_0 src1_sel:DWORD
	s_mov_b64 s[4:5], 0
                                        ; implicit-def: $sgpr10
	s_and_saveexec_b64 s[8:9], s[6:7]
	s_xor_b64 s[6:7], exec, s[8:9]
	s_cbranch_execnz .LBB40_2529
; %bb.481:
	s_or_saveexec_b64 s[6:7], s[6:7]
	v_mov_b32_e32 v2, s10
	s_xor_b64 exec, exec, s[6:7]
	s_cbranch_execnz .LBB40_2532
.LBB40_482:
	s_or_b64 exec, exec, s[6:7]
	s_and_saveexec_b64 s[6:7], s[4:5]
	s_cbranch_execz .LBB40_484
.LBB40_483:
	v_mov_b32_e32 v2, 8
	v_and_b32_e32 v3, 7, v9
	v_lshrrev_b32_sdwa v2, v2, v9 dst_sel:BYTE_1 dst_unused:UNUSED_PAD src0_sel:DWORD src1_sel:DWORD
	v_ffbh_u32_e32 v4, v3
	v_or_b32_sdwa v2, v9, v2 dst_sel:DWORD dst_unused:UNUSED_PAD src0_sel:BYTE_0 src1_sel:DWORD
	v_min_u32_e32 v4, 32, v4
	v_lshrrev_b16_e32 v2, 3, v2
	v_subrev_u32_e32 v6, 28, v4
	v_and_b32_e32 v2, 15, v2
	v_lshlrev_b32_e32 v6, v6, v9
	v_sub_u32_e32 v4, 29, v4
	v_and_b32_e32 v6, 7, v6
	v_cmp_eq_u16_e32 vcc, 0, v2
	v_cndmask_b32_e32 v3, v3, v6, vcc
	v_cndmask_b32_e32 v2, v2, v4, vcc
	v_lshlrev_b32_e32 v4, 24, v9
	v_mov_b32_e32 v6, 0x3b800000
	v_lshlrev_b32_e32 v3, 20, v3
	v_and_b32_e32 v4, 0x80000000, v4
	v_lshl_add_u32 v2, v2, 23, v6
	v_or3_b32 v2, v4, v2, v3
.LBB40_484:
	s_or_b64 exec, exec, s[6:7]
	s_movk_i32 s4, 0x7f
	v_cmp_gt_i16_sdwa s[6:7], v5, s4 src0_sel:BYTE_0 src1_sel:DWORD
	s_mov_b64 s[4:5], 0
                                        ; implicit-def: $sgpr10
	s_and_saveexec_b64 s[8:9], s[6:7]
	s_xor_b64 s[6:7], exec, s[8:9]
	s_cbranch_execnz .LBB40_2533
; %bb.485:
	s_or_saveexec_b64 s[6:7], s[6:7]
	v_mov_b32_e32 v3, s10
	s_xor_b64 exec, exec, s[6:7]
	s_cbranch_execnz .LBB40_2536
.LBB40_486:
	s_or_b64 exec, exec, s[6:7]
	s_and_saveexec_b64 s[6:7], s[4:5]
	s_cbranch_execz .LBB40_488
.LBB40_487:
	v_mov_b32_e32 v3, 8
	v_and_b32_e32 v4, 7, v5
	v_lshrrev_b32_sdwa v3, v3, v5 dst_sel:BYTE_1 dst_unused:UNUSED_PAD src0_sel:DWORD src1_sel:DWORD
	v_ffbh_u32_e32 v6, v4
	v_or_b32_sdwa v3, v5, v3 dst_sel:DWORD dst_unused:UNUSED_PAD src0_sel:BYTE_0 src1_sel:DWORD
	v_min_u32_e32 v6, 32, v6
	v_lshrrev_b16_e32 v3, 3, v3
	v_subrev_u32_e32 v7, 28, v6
	v_and_b32_e32 v3, 15, v3
	v_lshlrev_b32_e32 v7, v7, v5
	v_sub_u32_e32 v6, 29, v6
	v_and_b32_e32 v7, 7, v7
	v_cmp_eq_u16_e32 vcc, 0, v3
	v_cndmask_b32_e32 v4, v4, v7, vcc
	v_cndmask_b32_e32 v3, v3, v6, vcc
	v_lshlrev_b32_e32 v6, 24, v5
	v_mov_b32_e32 v7, 0x3b800000
	v_lshlrev_b32_e32 v4, 20, v4
	v_and_b32_e32 v6, 0x80000000, v6
	v_lshl_add_u32 v3, v3, 23, v7
	v_or3_b32 v3, v6, v3, v4
.LBB40_488:
	s_or_b64 exec, exec, s[6:7]
	s_nop 0
	v_mfma_f32_16x16x4f32 a[0:3], v2, v3, a[0:3]
	v_lshrrev_b32_e32 v3, 8, v9
	s_movk_i32 s4, 0x7f
	v_cmp_gt_i16_sdwa s[6:7], v3, s4 src0_sel:BYTE_0 src1_sel:DWORD
	s_mov_b64 s[4:5], 0
                                        ; implicit-def: $sgpr10
	s_and_saveexec_b64 s[8:9], s[6:7]
	s_xor_b64 s[6:7], exec, s[8:9]
	s_cbranch_execnz .LBB40_2537
; %bb.489:
	s_or_saveexec_b64 s[6:7], s[6:7]
	v_mov_b32_e32 v2, s10
	s_xor_b64 exec, exec, s[6:7]
	s_cbranch_execnz .LBB40_2540
.LBB40_490:
	s_or_b64 exec, exec, s[6:7]
	s_and_saveexec_b64 s[6:7], s[4:5]
	s_cbranch_execz .LBB40_492
.LBB40_491:
	v_bfe_u32 v2, v9, 8, 3
	v_ffbh_u32_e32 v6, v2
	v_min_u32_e32 v6, 32, v6
	v_lshrrev_b16_e32 v4, 3, v3
	v_subrev_u32_e32 v7, 28, v6
	v_and_b32_e32 v4, 15, v4
	v_lshlrev_b32_e32 v3, v7, v3
	v_sub_u32_e32 v6, 29, v6
	v_and_b32_e32 v3, 7, v3
	v_cmp_eq_u16_e32 vcc, 0, v4
	v_cndmask_b32_e32 v2, v2, v3, vcc
	v_cndmask_b32_e32 v3, v4, v6, vcc
	v_lshlrev_b32_e32 v4, 16, v9
	v_mov_b32_e32 v6, 0x3b800000
	v_lshlrev_b32_e32 v2, 20, v2
	v_and_b32_e32 v4, 0x80000000, v4
	v_lshl_add_u32 v3, v3, 23, v6
	v_or3_b32 v2, v4, v3, v2
.LBB40_492:
	s_or_b64 exec, exec, s[6:7]
	v_lshrrev_b32_e32 v3, 8, v5
	s_movk_i32 s4, 0x7f
	v_cmp_gt_i16_sdwa s[6:7], v3, s4 src0_sel:BYTE_0 src1_sel:DWORD
	s_mov_b64 s[4:5], 0
                                        ; implicit-def: $sgpr10
	s_and_saveexec_b64 s[8:9], s[6:7]
	s_xor_b64 s[6:7], exec, s[8:9]
	s_cbranch_execnz .LBB40_2541
; %bb.493:
	s_or_saveexec_b64 s[6:7], s[6:7]
	v_mov_b32_e32 v4, s10
	s_xor_b64 exec, exec, s[6:7]
	s_cbranch_execnz .LBB40_2544
.LBB40_494:
	s_or_b64 exec, exec, s[6:7]
	s_and_saveexec_b64 s[6:7], s[4:5]
	s_cbranch_execz .LBB40_496
.LBB40_495:
	v_bfe_u32 v4, v5, 8, 3
	v_ffbh_u32_e32 v7, v4
	v_min_u32_e32 v7, 32, v7
	v_lshrrev_b16_e32 v6, 3, v3
	v_subrev_u32_e32 v8, 28, v7
	v_and_b32_e32 v6, 15, v6
	v_lshlrev_b32_e32 v3, v8, v3
	v_sub_u32_e32 v7, 29, v7
	v_and_b32_e32 v3, 7, v3
	v_cmp_eq_u16_e32 vcc, 0, v6
	v_cndmask_b32_e32 v3, v4, v3, vcc
	v_cndmask_b32_e32 v4, v6, v7, vcc
	v_lshlrev_b32_e32 v6, 16, v5
	v_mov_b32_e32 v7, 0x3b800000
	v_lshlrev_b32_e32 v3, 20, v3
	v_and_b32_e32 v6, 0x80000000, v6
	v_lshl_add_u32 v4, v4, 23, v7
	v_or3_b32 v4, v6, v4, v3
.LBB40_496:
	s_or_b64 exec, exec, s[6:7]
	s_nop 0
	v_mfma_f32_16x16x4f32 a[0:3], v2, v4, a[0:3]
	s_movk_i32 s4, 0xff
	v_and_b32_sdwa v3, v9, s4 dst_sel:DWORD dst_unused:UNUSED_PAD src0_sel:WORD_1 src1_sel:DWORD
	s_movk_i32 s4, 0x7f
	v_cmp_lt_i16_e32 vcc, s4, v3
	s_mov_b64 s[4:5], 0
                                        ; implicit-def: $sgpr10
	s_and_saveexec_b64 s[6:7], vcc
	s_xor_b64 s[6:7], exec, s[6:7]
	s_cbranch_execnz .LBB40_2545
; %bb.497:
	s_or_saveexec_b64 s[6:7], s[6:7]
	v_mov_b32_e32 v2, s10
	s_xor_b64 exec, exec, s[6:7]
	s_cbranch_execnz .LBB40_2548
.LBB40_498:
	s_or_b64 exec, exec, s[6:7]
	s_and_saveexec_b64 s[6:7], s[4:5]
	s_cbranch_execz .LBB40_500
.LBB40_499:
	v_bfe_u32 v2, v9, 16, 3
	v_ffbh_u32_e32 v6, v2
	v_min_u32_e32 v6, 32, v6
	v_lshrrev_b32_e32 v3, 19, v9
	v_subrev_u32_e32 v7, 28, v6
	v_and_b32_e32 v3, 15, v3
	v_lshlrev_b32_sdwa v7, v7, v9 dst_sel:DWORD dst_unused:UNUSED_PAD src0_sel:DWORD src1_sel:WORD_1
	v_bfe_u32 v4, v9, 19, 4
	v_sub_u32_e32 v6, 29, v6
	v_and_b32_e32 v7, 7, v7
	v_cmp_eq_u16_e32 vcc, 0, v3
	v_cndmask_b32_e32 v2, v2, v7, vcc
	v_cndmask_b32_e32 v3, v4, v6, vcc
	v_lshlrev_b32_e32 v4, 8, v9
	v_mov_b32_e32 v6, 0x3b800000
	v_lshlrev_b32_e32 v2, 20, v2
	v_and_b32_e32 v4, 0x80000000, v4
	v_lshl_add_u32 v3, v3, 23, v6
	v_or3_b32 v2, v4, v3, v2
.LBB40_500:
	s_or_b64 exec, exec, s[6:7]
	s_movk_i32 s4, 0xff
	v_and_b32_sdwa v3, v5, s4 dst_sel:DWORD dst_unused:UNUSED_PAD src0_sel:WORD_1 src1_sel:DWORD
	s_movk_i32 s4, 0x7f
	v_cmp_lt_i16_e32 vcc, s4, v3
	s_mov_b64 s[4:5], 0
                                        ; implicit-def: $sgpr10
	s_and_saveexec_b64 s[6:7], vcc
	s_xor_b64 s[6:7], exec, s[6:7]
	s_cbranch_execnz .LBB40_2549
; %bb.501:
	s_or_saveexec_b64 s[6:7], s[6:7]
	v_mov_b32_e32 v4, s10
	s_xor_b64 exec, exec, s[6:7]
	s_cbranch_execnz .LBB40_2552
.LBB40_502:
	s_or_b64 exec, exec, s[6:7]
	s_and_saveexec_b64 s[6:7], s[4:5]
	s_cbranch_execz .LBB40_504
.LBB40_503:
	v_bfe_u32 v3, v5, 16, 3
	v_ffbh_u32_e32 v7, v3
	v_min_u32_e32 v7, 32, v7
	v_lshrrev_b32_e32 v4, 19, v5
	v_subrev_u32_e32 v8, 28, v7
	v_and_b32_e32 v4, 15, v4
	v_lshlrev_b32_sdwa v8, v8, v5 dst_sel:DWORD dst_unused:UNUSED_PAD src0_sel:DWORD src1_sel:WORD_1
	v_bfe_u32 v6, v5, 19, 4
	v_sub_u32_e32 v7, 29, v7
	v_and_b32_e32 v8, 7, v8
	v_cmp_eq_u16_e32 vcc, 0, v4
	v_cndmask_b32_e32 v3, v3, v8, vcc
	v_cndmask_b32_e32 v4, v6, v7, vcc
	v_lshlrev_b32_e32 v6, 8, v5
	v_mov_b32_e32 v7, 0x3b800000
	v_lshlrev_b32_e32 v3, 20, v3
	v_and_b32_e32 v6, 0x80000000, v6
	v_lshl_add_u32 v4, v4, 23, v7
	v_or3_b32 v4, v6, v4, v3
.LBB40_504:
	s_or_b64 exec, exec, s[6:7]
	s_nop 0
	v_mfma_f32_16x16x4f32 a[0:3], v2, v4, a[0:3]
	s_movk_i32 s4, 0x7f
	v_cmp_gt_i16_sdwa s[6:7], v9, s4 src0_sel:BYTE_3 src1_sel:DWORD
	s_mov_b64 s[4:5], 0
                                        ; implicit-def: $sgpr10
	s_and_saveexec_b64 s[8:9], s[6:7]
	s_xor_b64 s[6:7], exec, s[8:9]
	s_cbranch_execnz .LBB40_2553
; %bb.505:
	s_or_saveexec_b64 s[6:7], s[6:7]
	v_mov_b32_e32 v2, s10
	s_xor_b64 exec, exec, s[6:7]
	s_cbranch_execnz .LBB40_2556
.LBB40_506:
	s_or_b64 exec, exec, s[6:7]
	s_and_saveexec_b64 s[6:7], s[4:5]
	s_cbranch_execz .LBB40_508
.LBB40_507:
	v_bfe_u32 v2, v9, 24, 3
	v_ffbh_u32_e32 v7, v2
	v_min_u32_e32 v7, 32, v7
	v_lshrrev_b32_e32 v4, 27, v9
	v_subrev_u32_e32 v8, 28, v7
	v_and_b32_e32 v4, 15, v4
	v_lshlrev_b32_sdwa v8, v8, v9 dst_sel:DWORD dst_unused:UNUSED_PAD src0_sel:DWORD src1_sel:BYTE_3
	v_bfe_u32 v6, v9, 27, 4
	v_sub_u32_e32 v7, 29, v7
	v_and_b32_e32 v8, 7, v8
	v_cmp_eq_u16_e32 vcc, 0, v4
	v_cndmask_b32_e32 v2, v2, v8, vcc
	v_cndmask_b32_e32 v4, v6, v7, vcc
	v_mov_b32_e32 v6, 0x3b800000
	v_and_b32_e32 v3, 0x80000000, v9
	v_lshlrev_b32_e32 v2, 20, v2
	v_lshl_add_u32 v4, v4, 23, v6
	v_or3_b32 v2, v3, v4, v2
.LBB40_508:
	s_or_b64 exec, exec, s[6:7]
	s_movk_i32 s4, 0x7f
	v_cmp_gt_i16_sdwa s[6:7], v5, s4 src0_sel:BYTE_3 src1_sel:DWORD
	s_mov_b64 s[4:5], 0
                                        ; implicit-def: $sgpr10
	s_and_saveexec_b64 s[8:9], s[6:7]
	s_xor_b64 s[6:7], exec, s[8:9]
	s_cbranch_execnz .LBB40_2557
; %bb.509:
	s_or_saveexec_b64 s[6:7], s[6:7]
	v_mov_b32_e32 v3, s10
	s_xor_b64 exec, exec, s[6:7]
	s_cbranch_execnz .LBB40_2560
.LBB40_510:
	s_or_b64 exec, exec, s[6:7]
	s_and_saveexec_b64 s[6:7], s[4:5]
	s_cbranch_execz .LBB40_512
.LBB40_511:
	v_bfe_u32 v3, v5, 24, 3
	v_ffbh_u32_e32 v8, v3
	v_min_u32_e32 v8, 32, v8
	v_lshrrev_b32_e32 v6, 27, v5
	v_subrev_u32_e32 v9, 28, v8
	v_and_b32_e32 v4, 0x80000000, v5
	v_and_b32_e32 v6, 15, v6
	v_bfe_u32 v7, v5, 27, 4
	v_lshlrev_b32_sdwa v5, v9, v5 dst_sel:DWORD dst_unused:UNUSED_PAD src0_sel:DWORD src1_sel:BYTE_3
	v_sub_u32_e32 v8, 29, v8
	v_and_b32_e32 v5, 7, v5
	v_cmp_eq_u16_e32 vcc, 0, v6
	v_cndmask_b32_e32 v3, v3, v5, vcc
	v_cndmask_b32_e32 v5, v7, v8, vcc
	v_mov_b32_e32 v6, 0x3b800000
	v_lshlrev_b32_e32 v3, 20, v3
	v_lshl_add_u32 v5, v5, 23, v6
	v_or3_b32 v3, v4, v5, v3
.LBB40_512:
	s_or_b64 exec, exec, s[6:7]
	s_nop 0
	v_mfma_f32_16x16x4f32 a[0:3], v2, v3, a[0:3]
	s_movk_i32 s4, 0x7f
                                        ; implicit-def: $sgpr10
	s_nop 7
	s_nop 1
	flat_store_dwordx4 v[18:19], a[0:3] offset:528
	flat_load_dwordx4 v[20:23], v[0:1] offset:16
	s_nop 0
	flat_load_dwordx2 v[18:19], v[0:1] offset:32
	s_waitcnt vmcnt(0) lgkmcnt(0)
	flat_load_dwordx4 v[14:17], v[20:21]
	flat_load_dwordx4 v[6:9], v[20:21] offset:16
	flat_load_dwordx4 v[10:13], v[22:23] offset:320
	;; [unrolled: 1-line block ×3, first 2 shown]
	s_waitcnt vmcnt(0) lgkmcnt(0)
	v_cmp_gt_i16_sdwa s[6:7], v14, s4 src0_sel:BYTE_0 src1_sel:DWORD
	s_mov_b64 s[4:5], 0
	s_and_saveexec_b64 s[8:9], s[6:7]
	s_xor_b64 s[6:7], exec, s[8:9]
	s_cbranch_execnz .LBB40_2561
; %bb.513:
	s_or_saveexec_b64 s[6:7], s[6:7]
	v_mov_b32_e32 v20, s10
	s_xor_b64 exec, exec, s[6:7]
	s_cbranch_execnz .LBB40_2564
.LBB40_514:
	s_or_b64 exec, exec, s[6:7]
	s_and_saveexec_b64 s[6:7], s[4:5]
	s_cbranch_execz .LBB40_516
.LBB40_515:
	v_and_b32_e32 v20, 7, v14
	v_ffbh_u32_e32 v22, v20
	v_min_u32_e32 v22, 32, v22
	v_lshrrev_b16_e32 v21, 3, v14
	v_subrev_u32_e32 v23, 28, v22
	v_and_b32_e32 v21, 15, v21
	v_lshlrev_b32_e32 v23, v23, v14
	v_sub_u32_e32 v22, 29, v22
	v_and_b32_e32 v23, 7, v23
	v_cmp_eq_u16_e32 vcc, 0, v21
	v_cndmask_b32_e32 v20, v20, v23, vcc
	v_cndmask_b32_e32 v21, v21, v22, vcc
	v_lshlrev_b32_e32 v22, 24, v14
	v_mov_b32_e32 v23, 0x3b800000
	v_lshlrev_b32_e32 v20, 20, v20
	v_and_b32_e32 v22, 0x80000000, v22
	v_lshl_add_u32 v21, v21, 23, v23
	v_or3_b32 v20, v22, v21, v20
.LBB40_516:
	s_or_b64 exec, exec, s[6:7]
	s_movk_i32 s4, 0x7f
	v_cmp_gt_i16_sdwa s[6:7], v10, s4 src0_sel:BYTE_0 src1_sel:DWORD
	s_mov_b64 s[4:5], 0
                                        ; implicit-def: $sgpr10
	s_and_saveexec_b64 s[8:9], s[6:7]
	s_xor_b64 s[6:7], exec, s[8:9]
	s_cbranch_execnz .LBB40_2565
; %bb.517:
	s_or_saveexec_b64 s[6:7], s[6:7]
	v_mov_b32_e32 v21, s10
	s_xor_b64 exec, exec, s[6:7]
	s_cbranch_execnz .LBB40_2568
.LBB40_518:
	s_or_b64 exec, exec, s[6:7]
	s_and_saveexec_b64 s[6:7], s[4:5]
	s_cbranch_execz .LBB40_520
.LBB40_519:
	v_and_b32_e32 v21, 7, v10
	v_ffbh_u32_e32 v23, v21
	v_min_u32_e32 v23, 32, v23
	v_lshrrev_b16_e32 v22, 3, v10
	v_subrev_u32_e32 v24, 28, v23
	v_and_b32_e32 v22, 15, v22
	v_lshlrev_b32_e32 v24, v24, v10
	v_sub_u32_e32 v23, 29, v23
	v_and_b32_e32 v24, 7, v24
	v_cmp_eq_u16_e32 vcc, 0, v22
	v_cndmask_b32_e32 v21, v21, v24, vcc
	v_cndmask_b32_e32 v22, v22, v23, vcc
	v_lshlrev_b32_e32 v23, 24, v10
	v_mov_b32_e32 v24, 0x3b800000
	v_lshlrev_b32_e32 v21, 20, v21
	v_and_b32_e32 v23, 0x80000000, v23
	v_lshl_add_u32 v22, v22, 23, v24
	v_or3_b32 v21, v23, v22, v21
.LBB40_520:
	s_or_b64 exec, exec, s[6:7]
	flat_load_dwordx4 a[0:3], v[18:19] offset:544
	s_movk_i32 s4, 0x7f
                                        ; implicit-def: $sgpr10
	s_waitcnt vmcnt(0) lgkmcnt(0)
	v_mfma_f32_16x16x4f32 a[0:3], v20, v21, a[0:3]
	v_lshrrev_b32_e32 v21, 8, v14
	v_cmp_gt_i16_sdwa s[6:7], v21, s4 src0_sel:BYTE_0 src1_sel:DWORD
	s_mov_b64 s[4:5], 0
	s_and_saveexec_b64 s[8:9], s[6:7]
	s_xor_b64 s[6:7], exec, s[8:9]
	s_cbranch_execnz .LBB40_2569
; %bb.521:
	s_or_saveexec_b64 s[6:7], s[6:7]
	v_mov_b32_e32 v20, s10
	s_xor_b64 exec, exec, s[6:7]
	s_cbranch_execnz .LBB40_2572
.LBB40_522:
	s_or_b64 exec, exec, s[6:7]
	s_and_saveexec_b64 s[6:7], s[4:5]
	s_cbranch_execz .LBB40_524
.LBB40_523:
	v_bfe_u32 v20, v14, 8, 3
	v_ffbh_u32_e32 v23, v20
	v_min_u32_e32 v23, 32, v23
	v_lshrrev_b16_e32 v22, 3, v21
	v_subrev_u32_e32 v24, 28, v23
	v_and_b32_e32 v22, 15, v22
	v_lshlrev_b32_e32 v21, v24, v21
	v_sub_u32_e32 v23, 29, v23
	v_and_b32_e32 v21, 7, v21
	v_cmp_eq_u16_e32 vcc, 0, v22
	v_cndmask_b32_e32 v20, v20, v21, vcc
	v_cndmask_b32_e32 v21, v22, v23, vcc
	v_lshlrev_b32_e32 v22, 16, v14
	v_mov_b32_e32 v23, 0x3b800000
	v_lshlrev_b32_e32 v20, 20, v20
	v_and_b32_e32 v22, 0x80000000, v22
	v_lshl_add_u32 v21, v21, 23, v23
	v_or3_b32 v20, v22, v21, v20
.LBB40_524:
	s_or_b64 exec, exec, s[6:7]
	v_lshrrev_b32_e32 v21, 8, v10
	s_movk_i32 s4, 0x7f
	v_cmp_gt_i16_sdwa s[6:7], v21, s4 src0_sel:BYTE_0 src1_sel:DWORD
	s_mov_b64 s[4:5], 0
                                        ; implicit-def: $sgpr10
	s_and_saveexec_b64 s[8:9], s[6:7]
	s_xor_b64 s[6:7], exec, s[8:9]
	s_cbranch_execnz .LBB40_2573
; %bb.525:
	s_or_saveexec_b64 s[6:7], s[6:7]
	v_mov_b32_e32 v22, s10
	s_xor_b64 exec, exec, s[6:7]
	s_cbranch_execnz .LBB40_2576
.LBB40_526:
	s_or_b64 exec, exec, s[6:7]
	s_and_saveexec_b64 s[6:7], s[4:5]
	s_cbranch_execz .LBB40_528
.LBB40_527:
	v_bfe_u32 v22, v10, 8, 3
	v_ffbh_u32_e32 v24, v22
	v_min_u32_e32 v24, 32, v24
	v_lshrrev_b16_e32 v23, 3, v21
	v_subrev_u32_e32 v25, 28, v24
	v_and_b32_e32 v23, 15, v23
	v_lshlrev_b32_e32 v21, v25, v21
	v_sub_u32_e32 v24, 29, v24
	v_and_b32_e32 v21, 7, v21
	v_cmp_eq_u16_e32 vcc, 0, v23
	v_cndmask_b32_e32 v21, v22, v21, vcc
	v_cndmask_b32_e32 v22, v23, v24, vcc
	v_lshlrev_b32_e32 v23, 16, v10
	v_mov_b32_e32 v24, 0x3b800000
	v_lshlrev_b32_e32 v21, 20, v21
	v_and_b32_e32 v23, 0x80000000, v23
	v_lshl_add_u32 v22, v22, 23, v24
	v_or3_b32 v22, v23, v22, v21
.LBB40_528:
	s_or_b64 exec, exec, s[6:7]
	s_nop 0
	v_mfma_f32_16x16x4f32 a[0:3], v20, v22, a[0:3]
	s_movk_i32 s4, 0xff
	v_and_b32_sdwa v21, v14, s4 dst_sel:DWORD dst_unused:UNUSED_PAD src0_sel:WORD_1 src1_sel:DWORD
	s_movk_i32 s4, 0x7f
	v_cmp_lt_i16_e32 vcc, s4, v21
	s_mov_b64 s[4:5], 0
                                        ; implicit-def: $sgpr10
	s_and_saveexec_b64 s[6:7], vcc
	s_xor_b64 s[6:7], exec, s[6:7]
	s_cbranch_execnz .LBB40_2577
; %bb.529:
	s_or_saveexec_b64 s[6:7], s[6:7]
	v_mov_b32_e32 v20, s10
	s_xor_b64 exec, exec, s[6:7]
	s_cbranch_execnz .LBB40_2580
.LBB40_530:
	s_or_b64 exec, exec, s[6:7]
	s_and_saveexec_b64 s[6:7], s[4:5]
	s_cbranch_execz .LBB40_532
.LBB40_531:
	v_bfe_u32 v20, v14, 16, 3
	v_ffbh_u32_e32 v23, v20
	v_min_u32_e32 v23, 32, v23
	v_lshrrev_b32_e32 v21, 19, v14
	v_subrev_u32_e32 v24, 28, v23
	v_and_b32_e32 v21, 15, v21
	v_lshlrev_b32_sdwa v24, v24, v14 dst_sel:DWORD dst_unused:UNUSED_PAD src0_sel:DWORD src1_sel:WORD_1
	v_bfe_u32 v22, v14, 19, 4
	v_sub_u32_e32 v23, 29, v23
	v_and_b32_e32 v24, 7, v24
	v_cmp_eq_u16_e32 vcc, 0, v21
	v_cndmask_b32_e32 v20, v20, v24, vcc
	v_cndmask_b32_e32 v21, v22, v23, vcc
	v_lshlrev_b32_e32 v22, 8, v14
	v_mov_b32_e32 v23, 0x3b800000
	v_lshlrev_b32_e32 v20, 20, v20
	v_and_b32_e32 v22, 0x80000000, v22
	v_lshl_add_u32 v21, v21, 23, v23
	v_or3_b32 v20, v22, v21, v20
.LBB40_532:
	s_or_b64 exec, exec, s[6:7]
	s_movk_i32 s4, 0xff
	v_and_b32_sdwa v21, v10, s4 dst_sel:DWORD dst_unused:UNUSED_PAD src0_sel:WORD_1 src1_sel:DWORD
	s_movk_i32 s4, 0x7f
	v_cmp_lt_i16_e32 vcc, s4, v21
	s_mov_b64 s[4:5], 0
                                        ; implicit-def: $sgpr10
	s_and_saveexec_b64 s[6:7], vcc
	s_xor_b64 s[6:7], exec, s[6:7]
	s_cbranch_execnz .LBB40_2581
; %bb.533:
	s_or_saveexec_b64 s[6:7], s[6:7]
	v_mov_b32_e32 v22, s10
	s_xor_b64 exec, exec, s[6:7]
	s_cbranch_execnz .LBB40_2584
.LBB40_534:
	s_or_b64 exec, exec, s[6:7]
	s_and_saveexec_b64 s[6:7], s[4:5]
	s_cbranch_execz .LBB40_536
.LBB40_535:
	v_bfe_u32 v21, v10, 16, 3
	v_ffbh_u32_e32 v24, v21
	v_min_u32_e32 v24, 32, v24
	v_lshrrev_b32_e32 v22, 19, v10
	v_subrev_u32_e32 v25, 28, v24
	v_and_b32_e32 v22, 15, v22
	v_lshlrev_b32_sdwa v25, v25, v10 dst_sel:DWORD dst_unused:UNUSED_PAD src0_sel:DWORD src1_sel:WORD_1
	v_bfe_u32 v23, v10, 19, 4
	v_sub_u32_e32 v24, 29, v24
	v_and_b32_e32 v25, 7, v25
	v_cmp_eq_u16_e32 vcc, 0, v22
	v_cndmask_b32_e32 v21, v21, v25, vcc
	v_cndmask_b32_e32 v22, v23, v24, vcc
	v_lshlrev_b32_e32 v23, 8, v10
	v_mov_b32_e32 v24, 0x3b800000
	v_lshlrev_b32_e32 v21, 20, v21
	v_and_b32_e32 v23, 0x80000000, v23
	v_lshl_add_u32 v22, v22, 23, v24
	v_or3_b32 v22, v23, v22, v21
.LBB40_536:
	s_or_b64 exec, exec, s[6:7]
	s_nop 0
	v_mfma_f32_16x16x4f32 a[0:3], v20, v22, a[0:3]
	s_movk_i32 s4, 0x7f
	v_cmp_gt_i16_sdwa s[6:7], v14, s4 src0_sel:BYTE_3 src1_sel:DWORD
	s_mov_b64 s[4:5], 0
                                        ; implicit-def: $sgpr10
	s_and_saveexec_b64 s[8:9], s[6:7]
	s_xor_b64 s[6:7], exec, s[8:9]
	s_cbranch_execnz .LBB40_2585
; %bb.537:
	s_or_saveexec_b64 s[6:7], s[6:7]
	v_mov_b32_e32 v20, s10
	s_xor_b64 exec, exec, s[6:7]
	s_cbranch_execnz .LBB40_2588
.LBB40_538:
	s_or_b64 exec, exec, s[6:7]
	s_and_saveexec_b64 s[6:7], s[4:5]
	s_cbranch_execz .LBB40_540
.LBB40_539:
	v_bfe_u32 v20, v14, 24, 3
	v_ffbh_u32_e32 v24, v20
	v_min_u32_e32 v24, 32, v24
	v_lshrrev_b32_e32 v22, 27, v14
	v_subrev_u32_e32 v25, 28, v24
	v_and_b32_e32 v21, 0x80000000, v14
	v_and_b32_e32 v22, 15, v22
	v_bfe_u32 v23, v14, 27, 4
	v_lshlrev_b32_sdwa v14, v25, v14 dst_sel:DWORD dst_unused:UNUSED_PAD src0_sel:DWORD src1_sel:BYTE_3
	v_sub_u32_e32 v24, 29, v24
	v_and_b32_e32 v14, 7, v14
	v_cmp_eq_u16_e32 vcc, 0, v22
	v_cndmask_b32_e32 v14, v20, v14, vcc
	v_cndmask_b32_e32 v20, v23, v24, vcc
	v_mov_b32_e32 v22, 0x3b800000
	v_lshlrev_b32_e32 v14, 20, v14
	v_lshl_add_u32 v20, v20, 23, v22
	v_or3_b32 v20, v21, v20, v14
.LBB40_540:
	s_or_b64 exec, exec, s[6:7]
	s_movk_i32 s4, 0x7f
	v_cmp_gt_i16_sdwa s[6:7], v10, s4 src0_sel:BYTE_3 src1_sel:DWORD
	s_mov_b64 s[4:5], 0
                                        ; implicit-def: $sgpr10
	s_and_saveexec_b64 s[8:9], s[6:7]
	s_xor_b64 s[6:7], exec, s[8:9]
	s_cbranch_execnz .LBB40_2589
; %bb.541:
	s_or_saveexec_b64 s[6:7], s[6:7]
	v_mov_b32_e32 v14, s10
	s_xor_b64 exec, exec, s[6:7]
	s_cbranch_execnz .LBB40_2592
.LBB40_542:
	s_or_b64 exec, exec, s[6:7]
	s_and_saveexec_b64 s[6:7], s[4:5]
	s_cbranch_execz .LBB40_544
.LBB40_543:
	v_bfe_u32 v14, v10, 24, 3
	v_ffbh_u32_e32 v24, v14
	v_min_u32_e32 v24, 32, v24
	v_lshrrev_b32_e32 v22, 27, v10
	v_subrev_u32_e32 v25, 28, v24
	v_and_b32_e32 v21, 0x80000000, v10
	v_and_b32_e32 v22, 15, v22
	v_bfe_u32 v23, v10, 27, 4
	v_lshlrev_b32_sdwa v10, v25, v10 dst_sel:DWORD dst_unused:UNUSED_PAD src0_sel:DWORD src1_sel:BYTE_3
	v_sub_u32_e32 v24, 29, v24
	v_and_b32_e32 v10, 7, v10
	v_cmp_eq_u16_e32 vcc, 0, v22
	v_cndmask_b32_e32 v10, v14, v10, vcc
	v_cndmask_b32_e32 v14, v23, v24, vcc
	v_mov_b32_e32 v22, 0x3b800000
	v_lshlrev_b32_e32 v10, 20, v10
	v_lshl_add_u32 v14, v14, 23, v22
	v_or3_b32 v14, v21, v14, v10
.LBB40_544:
	s_or_b64 exec, exec, s[6:7]
	s_nop 0
	v_mfma_f32_16x16x4f32 a[0:3], v20, v14, a[0:3]
	s_movk_i32 s4, 0x7f
	v_cmp_gt_i16_sdwa s[6:7], v15, s4 src0_sel:BYTE_0 src1_sel:DWORD
	s_mov_b64 s[4:5], 0
                                        ; implicit-def: $sgpr10
	s_and_saveexec_b64 s[8:9], s[6:7]
	s_xor_b64 s[6:7], exec, s[8:9]
	s_cbranch_execnz .LBB40_2593
; %bb.545:
	s_or_saveexec_b64 s[6:7], s[6:7]
	v_mov_b32_e32 v10, s10
	s_xor_b64 exec, exec, s[6:7]
	s_cbranch_execnz .LBB40_2596
.LBB40_546:
	s_or_b64 exec, exec, s[6:7]
	s_and_saveexec_b64 s[6:7], s[4:5]
	s_cbranch_execz .LBB40_548
.LBB40_547:
	v_and_b32_e32 v10, 7, v15
	v_ffbh_u32_e32 v20, v10
	v_min_u32_e32 v20, 32, v20
	v_lshrrev_b16_e32 v14, 3, v15
	v_subrev_u32_e32 v21, 28, v20
	v_and_b32_e32 v14, 15, v14
	v_lshlrev_b32_e32 v21, v21, v15
	v_sub_u32_e32 v20, 29, v20
	v_and_b32_e32 v21, 7, v21
	v_cmp_eq_u16_e32 vcc, 0, v14
	v_cndmask_b32_e32 v10, v10, v21, vcc
	v_cndmask_b32_e32 v14, v14, v20, vcc
	v_lshlrev_b32_e32 v20, 24, v15
	v_mov_b32_e32 v21, 0x3b800000
	v_lshlrev_b32_e32 v10, 20, v10
	v_and_b32_e32 v20, 0x80000000, v20
	v_lshl_add_u32 v14, v14, 23, v21
	v_or3_b32 v10, v20, v14, v10
.LBB40_548:
	s_or_b64 exec, exec, s[6:7]
	s_movk_i32 s4, 0x7f
	v_cmp_gt_i16_sdwa s[6:7], v11, s4 src0_sel:BYTE_0 src1_sel:DWORD
	s_mov_b64 s[4:5], 0
                                        ; implicit-def: $sgpr10
	s_and_saveexec_b64 s[8:9], s[6:7]
	s_xor_b64 s[6:7], exec, s[8:9]
	s_cbranch_execnz .LBB40_2597
; %bb.549:
	s_or_saveexec_b64 s[6:7], s[6:7]
	v_mov_b32_e32 v14, s10
	s_xor_b64 exec, exec, s[6:7]
	s_cbranch_execnz .LBB40_2600
.LBB40_550:
	s_or_b64 exec, exec, s[6:7]
	s_and_saveexec_b64 s[6:7], s[4:5]
	s_cbranch_execz .LBB40_552
.LBB40_551:
	v_and_b32_e32 v14, 7, v11
	v_ffbh_u32_e32 v21, v14
	v_min_u32_e32 v21, 32, v21
	v_lshrrev_b16_e32 v20, 3, v11
	v_subrev_u32_e32 v22, 28, v21
	v_and_b32_e32 v20, 15, v20
	v_lshlrev_b32_e32 v22, v22, v11
	v_sub_u32_e32 v21, 29, v21
	v_and_b32_e32 v22, 7, v22
	v_cmp_eq_u16_e32 vcc, 0, v20
	v_cndmask_b32_e32 v14, v14, v22, vcc
	v_cndmask_b32_e32 v20, v20, v21, vcc
	v_lshlrev_b32_e32 v21, 24, v11
	v_mov_b32_e32 v22, 0x3b800000
	v_lshlrev_b32_e32 v14, 20, v14
	v_and_b32_e32 v21, 0x80000000, v21
	v_lshl_add_u32 v20, v20, 23, v22
	v_or3_b32 v14, v21, v20, v14
.LBB40_552:
	s_or_b64 exec, exec, s[6:7]
	s_nop 0
	v_mfma_f32_16x16x4f32 a[0:3], v10, v14, a[0:3]
	v_lshrrev_b32_e32 v14, 8, v15
	s_movk_i32 s4, 0x7f
	v_cmp_gt_i16_sdwa s[6:7], v14, s4 src0_sel:BYTE_0 src1_sel:DWORD
	s_mov_b64 s[4:5], 0
                                        ; implicit-def: $sgpr10
	s_and_saveexec_b64 s[8:9], s[6:7]
	s_xor_b64 s[6:7], exec, s[8:9]
	s_cbranch_execnz .LBB40_2601
; %bb.553:
	s_or_saveexec_b64 s[6:7], s[6:7]
	v_mov_b32_e32 v10, s10
	s_xor_b64 exec, exec, s[6:7]
	s_cbranch_execnz .LBB40_2604
.LBB40_554:
	s_or_b64 exec, exec, s[6:7]
	s_and_saveexec_b64 s[6:7], s[4:5]
	s_cbranch_execz .LBB40_556
.LBB40_555:
	v_bfe_u32 v10, v15, 8, 3
	v_ffbh_u32_e32 v21, v10
	v_min_u32_e32 v21, 32, v21
	v_lshrrev_b16_e32 v20, 3, v14
	v_subrev_u32_e32 v22, 28, v21
	v_and_b32_e32 v20, 15, v20
	v_lshlrev_b32_e32 v14, v22, v14
	v_sub_u32_e32 v21, 29, v21
	v_and_b32_e32 v14, 7, v14
	v_cmp_eq_u16_e32 vcc, 0, v20
	v_cndmask_b32_e32 v10, v10, v14, vcc
	v_cndmask_b32_e32 v14, v20, v21, vcc
	v_lshlrev_b32_e32 v20, 16, v15
	v_mov_b32_e32 v21, 0x3b800000
	v_lshlrev_b32_e32 v10, 20, v10
	v_and_b32_e32 v20, 0x80000000, v20
	v_lshl_add_u32 v14, v14, 23, v21
	v_or3_b32 v10, v20, v14, v10
.LBB40_556:
	s_or_b64 exec, exec, s[6:7]
	v_lshrrev_b32_e32 v14, 8, v11
	s_movk_i32 s4, 0x7f
	v_cmp_gt_i16_sdwa s[6:7], v14, s4 src0_sel:BYTE_0 src1_sel:DWORD
	s_mov_b64 s[4:5], 0
                                        ; implicit-def: $sgpr10
	s_and_saveexec_b64 s[8:9], s[6:7]
	s_xor_b64 s[6:7], exec, s[8:9]
	s_cbranch_execnz .LBB40_2605
; %bb.557:
	s_or_saveexec_b64 s[6:7], s[6:7]
	v_mov_b32_e32 v20, s10
	s_xor_b64 exec, exec, s[6:7]
	s_cbranch_execnz .LBB40_2608
.LBB40_558:
	s_or_b64 exec, exec, s[6:7]
	s_and_saveexec_b64 s[6:7], s[4:5]
	s_cbranch_execz .LBB40_560
.LBB40_559:
	v_bfe_u32 v20, v11, 8, 3
	v_ffbh_u32_e32 v22, v20
	v_min_u32_e32 v22, 32, v22
	v_lshrrev_b16_e32 v21, 3, v14
	v_subrev_u32_e32 v23, 28, v22
	v_and_b32_e32 v21, 15, v21
	v_lshlrev_b32_e32 v14, v23, v14
	v_sub_u32_e32 v22, 29, v22
	v_and_b32_e32 v14, 7, v14
	v_cmp_eq_u16_e32 vcc, 0, v21
	v_cndmask_b32_e32 v14, v20, v14, vcc
	v_cndmask_b32_e32 v20, v21, v22, vcc
	v_lshlrev_b32_e32 v21, 16, v11
	v_mov_b32_e32 v22, 0x3b800000
	v_lshlrev_b32_e32 v14, 20, v14
	v_and_b32_e32 v21, 0x80000000, v21
	v_lshl_add_u32 v20, v20, 23, v22
	v_or3_b32 v20, v21, v20, v14
.LBB40_560:
	s_or_b64 exec, exec, s[6:7]
	s_nop 0
	v_mfma_f32_16x16x4f32 a[0:3], v10, v20, a[0:3]
	s_movk_i32 s4, 0xff
	v_and_b32_sdwa v14, v15, s4 dst_sel:DWORD dst_unused:UNUSED_PAD src0_sel:WORD_1 src1_sel:DWORD
	s_movk_i32 s4, 0x7f
	v_cmp_lt_i16_e32 vcc, s4, v14
	s_mov_b64 s[4:5], 0
                                        ; implicit-def: $sgpr10
	s_and_saveexec_b64 s[6:7], vcc
	s_xor_b64 s[6:7], exec, s[6:7]
	s_cbranch_execnz .LBB40_2609
; %bb.561:
	s_or_saveexec_b64 s[6:7], s[6:7]
	v_mov_b32_e32 v10, s10
	s_xor_b64 exec, exec, s[6:7]
	s_cbranch_execnz .LBB40_2612
.LBB40_562:
	s_or_b64 exec, exec, s[6:7]
	s_and_saveexec_b64 s[6:7], s[4:5]
	s_cbranch_execz .LBB40_564
.LBB40_563:
	v_bfe_u32 v10, v15, 16, 3
	v_ffbh_u32_e32 v21, v10
	v_min_u32_e32 v21, 32, v21
	v_lshrrev_b32_e32 v14, 19, v15
	v_subrev_u32_e32 v22, 28, v21
	v_and_b32_e32 v14, 15, v14
	v_lshlrev_b32_sdwa v22, v22, v15 dst_sel:DWORD dst_unused:UNUSED_PAD src0_sel:DWORD src1_sel:WORD_1
	v_bfe_u32 v20, v15, 19, 4
	v_sub_u32_e32 v21, 29, v21
	v_and_b32_e32 v22, 7, v22
	v_cmp_eq_u16_e32 vcc, 0, v14
	v_cndmask_b32_e32 v10, v10, v22, vcc
	v_cndmask_b32_e32 v14, v20, v21, vcc
	v_lshlrev_b32_e32 v20, 8, v15
	v_mov_b32_e32 v21, 0x3b800000
	v_lshlrev_b32_e32 v10, 20, v10
	v_and_b32_e32 v20, 0x80000000, v20
	v_lshl_add_u32 v14, v14, 23, v21
	v_or3_b32 v10, v20, v14, v10
.LBB40_564:
	s_or_b64 exec, exec, s[6:7]
	s_movk_i32 s4, 0xff
	v_and_b32_sdwa v14, v11, s4 dst_sel:DWORD dst_unused:UNUSED_PAD src0_sel:WORD_1 src1_sel:DWORD
	s_movk_i32 s4, 0x7f
	v_cmp_lt_i16_e32 vcc, s4, v14
	s_mov_b64 s[4:5], 0
                                        ; implicit-def: $sgpr10
	s_and_saveexec_b64 s[6:7], vcc
	s_xor_b64 s[6:7], exec, s[6:7]
	s_cbranch_execnz .LBB40_2613
; %bb.565:
	s_or_saveexec_b64 s[6:7], s[6:7]
	v_mov_b32_e32 v20, s10
	s_xor_b64 exec, exec, s[6:7]
	s_cbranch_execnz .LBB40_2616
.LBB40_566:
	s_or_b64 exec, exec, s[6:7]
	s_and_saveexec_b64 s[6:7], s[4:5]
	s_cbranch_execz .LBB40_568
.LBB40_567:
	v_bfe_u32 v14, v11, 16, 3
	v_ffbh_u32_e32 v22, v14
	v_min_u32_e32 v22, 32, v22
	v_lshrrev_b32_e32 v20, 19, v11
	v_subrev_u32_e32 v23, 28, v22
	v_and_b32_e32 v20, 15, v20
	v_lshlrev_b32_sdwa v23, v23, v11 dst_sel:DWORD dst_unused:UNUSED_PAD src0_sel:DWORD src1_sel:WORD_1
	v_bfe_u32 v21, v11, 19, 4
	v_sub_u32_e32 v22, 29, v22
	v_and_b32_e32 v23, 7, v23
	v_cmp_eq_u16_e32 vcc, 0, v20
	v_cndmask_b32_e32 v14, v14, v23, vcc
	v_cndmask_b32_e32 v20, v21, v22, vcc
	v_lshlrev_b32_e32 v21, 8, v11
	v_mov_b32_e32 v22, 0x3b800000
	v_lshlrev_b32_e32 v14, 20, v14
	v_and_b32_e32 v21, 0x80000000, v21
	v_lshl_add_u32 v20, v20, 23, v22
	v_or3_b32 v20, v21, v20, v14
.LBB40_568:
	s_or_b64 exec, exec, s[6:7]
	s_nop 0
	v_mfma_f32_16x16x4f32 a[0:3], v10, v20, a[0:3]
	s_movk_i32 s4, 0x7f
	v_cmp_gt_i16_sdwa s[6:7], v15, s4 src0_sel:BYTE_3 src1_sel:DWORD
	s_mov_b64 s[4:5], 0
                                        ; implicit-def: $sgpr10
	s_and_saveexec_b64 s[8:9], s[6:7]
	s_xor_b64 s[6:7], exec, s[8:9]
	s_cbranch_execnz .LBB40_2617
; %bb.569:
	s_or_saveexec_b64 s[6:7], s[6:7]
	v_mov_b32_e32 v10, s10
	s_xor_b64 exec, exec, s[6:7]
	s_cbranch_execnz .LBB40_2620
.LBB40_570:
	s_or_b64 exec, exec, s[6:7]
	s_and_saveexec_b64 s[6:7], s[4:5]
	s_cbranch_execz .LBB40_572
.LBB40_571:
	v_bfe_u32 v10, v15, 24, 3
	v_ffbh_u32_e32 v22, v10
	v_min_u32_e32 v22, 32, v22
	v_lshrrev_b32_e32 v20, 27, v15
	v_subrev_u32_e32 v23, 28, v22
	v_and_b32_e32 v14, 0x80000000, v15
	v_and_b32_e32 v20, 15, v20
	v_bfe_u32 v21, v15, 27, 4
	v_lshlrev_b32_sdwa v15, v23, v15 dst_sel:DWORD dst_unused:UNUSED_PAD src0_sel:DWORD src1_sel:BYTE_3
	v_sub_u32_e32 v22, 29, v22
	v_and_b32_e32 v15, 7, v15
	v_cmp_eq_u16_e32 vcc, 0, v20
	v_cndmask_b32_e32 v10, v10, v15, vcc
	v_cndmask_b32_e32 v15, v21, v22, vcc
	v_mov_b32_e32 v20, 0x3b800000
	v_lshlrev_b32_e32 v10, 20, v10
	v_lshl_add_u32 v15, v15, 23, v20
	v_or3_b32 v10, v14, v15, v10
.LBB40_572:
	s_or_b64 exec, exec, s[6:7]
	s_movk_i32 s4, 0x7f
	v_cmp_gt_i16_sdwa s[6:7], v11, s4 src0_sel:BYTE_3 src1_sel:DWORD
	s_mov_b64 s[4:5], 0
                                        ; implicit-def: $sgpr10
	s_and_saveexec_b64 s[8:9], s[6:7]
	s_xor_b64 s[6:7], exec, s[8:9]
	s_cbranch_execnz .LBB40_2621
; %bb.573:
	s_or_saveexec_b64 s[6:7], s[6:7]
	v_mov_b32_e32 v14, s10
	s_xor_b64 exec, exec, s[6:7]
	s_cbranch_execnz .LBB40_2624
.LBB40_574:
	s_or_b64 exec, exec, s[6:7]
	s_and_saveexec_b64 s[6:7], s[4:5]
	s_cbranch_execz .LBB40_576
.LBB40_575:
	v_bfe_u32 v14, v11, 24, 3
	v_ffbh_u32_e32 v22, v14
	v_min_u32_e32 v22, 32, v22
	v_lshrrev_b32_e32 v20, 27, v11
	v_subrev_u32_e32 v23, 28, v22
	v_and_b32_e32 v15, 0x80000000, v11
	v_and_b32_e32 v20, 15, v20
	v_bfe_u32 v21, v11, 27, 4
	v_lshlrev_b32_sdwa v11, v23, v11 dst_sel:DWORD dst_unused:UNUSED_PAD src0_sel:DWORD src1_sel:BYTE_3
	v_sub_u32_e32 v22, 29, v22
	v_and_b32_e32 v11, 7, v11
	v_cmp_eq_u16_e32 vcc, 0, v20
	v_cndmask_b32_e32 v11, v14, v11, vcc
	v_cndmask_b32_e32 v14, v21, v22, vcc
	v_mov_b32_e32 v20, 0x3b800000
	v_lshlrev_b32_e32 v11, 20, v11
	v_lshl_add_u32 v14, v14, 23, v20
	v_or3_b32 v14, v15, v14, v11
.LBB40_576:
	s_or_b64 exec, exec, s[6:7]
	s_nop 0
	v_mfma_f32_16x16x4f32 a[0:3], v10, v14, a[0:3]
	s_movk_i32 s4, 0x7f
	v_cmp_gt_i16_sdwa s[6:7], v16, s4 src0_sel:BYTE_0 src1_sel:DWORD
	s_mov_b64 s[4:5], 0
                                        ; implicit-def: $sgpr10
	s_and_saveexec_b64 s[8:9], s[6:7]
	s_xor_b64 s[6:7], exec, s[8:9]
	s_cbranch_execnz .LBB40_2625
; %bb.577:
	s_or_saveexec_b64 s[6:7], s[6:7]
	v_mov_b32_e32 v10, s10
	s_xor_b64 exec, exec, s[6:7]
	s_cbranch_execnz .LBB40_2628
.LBB40_578:
	s_or_b64 exec, exec, s[6:7]
	s_and_saveexec_b64 s[6:7], s[4:5]
	s_cbranch_execz .LBB40_580
.LBB40_579:
	v_and_b32_e32 v10, 7, v16
	v_ffbh_u32_e32 v14, v10
	v_min_u32_e32 v14, 32, v14
	v_lshrrev_b16_e32 v11, 3, v16
	v_subrev_u32_e32 v15, 28, v14
	v_and_b32_e32 v11, 15, v11
	v_lshlrev_b32_e32 v15, v15, v16
	v_sub_u32_e32 v14, 29, v14
	v_and_b32_e32 v15, 7, v15
	v_cmp_eq_u16_e32 vcc, 0, v11
	v_cndmask_b32_e32 v10, v10, v15, vcc
	v_cndmask_b32_e32 v11, v11, v14, vcc
	v_lshlrev_b32_e32 v14, 24, v16
	v_mov_b32_e32 v15, 0x3b800000
	v_lshlrev_b32_e32 v10, 20, v10
	v_and_b32_e32 v14, 0x80000000, v14
	v_lshl_add_u32 v11, v11, 23, v15
	v_or3_b32 v10, v14, v11, v10
.LBB40_580:
	s_or_b64 exec, exec, s[6:7]
	s_movk_i32 s4, 0x7f
	v_cmp_gt_i16_sdwa s[6:7], v12, s4 src0_sel:BYTE_0 src1_sel:DWORD
	s_mov_b64 s[4:5], 0
                                        ; implicit-def: $sgpr10
	s_and_saveexec_b64 s[8:9], s[6:7]
	s_xor_b64 s[6:7], exec, s[8:9]
	s_cbranch_execnz .LBB40_2629
; %bb.581:
	s_or_saveexec_b64 s[6:7], s[6:7]
	v_mov_b32_e32 v11, s10
	s_xor_b64 exec, exec, s[6:7]
	s_cbranch_execnz .LBB40_2632
.LBB40_582:
	s_or_b64 exec, exec, s[6:7]
	s_and_saveexec_b64 s[6:7], s[4:5]
	s_cbranch_execz .LBB40_584
.LBB40_583:
	v_and_b32_e32 v11, 7, v12
	v_ffbh_u32_e32 v15, v11
	v_min_u32_e32 v15, 32, v15
	v_lshrrev_b16_e32 v14, 3, v12
	v_subrev_u32_e32 v20, 28, v15
	v_and_b32_e32 v14, 15, v14
	v_lshlrev_b32_e32 v20, v20, v12
	v_sub_u32_e32 v15, 29, v15
	v_and_b32_e32 v20, 7, v20
	v_cmp_eq_u16_e32 vcc, 0, v14
	v_cndmask_b32_e32 v11, v11, v20, vcc
	v_cndmask_b32_e32 v14, v14, v15, vcc
	v_lshlrev_b32_e32 v15, 24, v12
	v_mov_b32_e32 v20, 0x3b800000
	v_lshlrev_b32_e32 v11, 20, v11
	v_and_b32_e32 v15, 0x80000000, v15
	v_lshl_add_u32 v14, v14, 23, v20
	v_or3_b32 v11, v15, v14, v11
.LBB40_584:
	s_or_b64 exec, exec, s[6:7]
	s_nop 0
	v_mfma_f32_16x16x4f32 a[0:3], v10, v11, a[0:3]
	v_lshrrev_b32_e32 v11, 8, v16
	s_movk_i32 s4, 0x7f
	v_cmp_gt_i16_sdwa s[6:7], v11, s4 src0_sel:BYTE_0 src1_sel:DWORD
	s_mov_b64 s[4:5], 0
                                        ; implicit-def: $sgpr10
	s_and_saveexec_b64 s[8:9], s[6:7]
	s_xor_b64 s[6:7], exec, s[8:9]
	s_cbranch_execnz .LBB40_2633
; %bb.585:
	s_or_saveexec_b64 s[6:7], s[6:7]
	v_mov_b32_e32 v10, s10
	s_xor_b64 exec, exec, s[6:7]
	s_cbranch_execnz .LBB40_2636
.LBB40_586:
	s_or_b64 exec, exec, s[6:7]
	s_and_saveexec_b64 s[6:7], s[4:5]
	s_cbranch_execz .LBB40_588
.LBB40_587:
	v_bfe_u32 v10, v16, 8, 3
	v_ffbh_u32_e32 v15, v10
	v_min_u32_e32 v15, 32, v15
	v_lshrrev_b16_e32 v14, 3, v11
	v_subrev_u32_e32 v20, 28, v15
	v_and_b32_e32 v14, 15, v14
	v_lshlrev_b32_e32 v11, v20, v11
	v_sub_u32_e32 v15, 29, v15
	v_and_b32_e32 v11, 7, v11
	v_cmp_eq_u16_e32 vcc, 0, v14
	v_cndmask_b32_e32 v10, v10, v11, vcc
	v_cndmask_b32_e32 v11, v14, v15, vcc
	v_lshlrev_b32_e32 v14, 16, v16
	v_mov_b32_e32 v15, 0x3b800000
	v_lshlrev_b32_e32 v10, 20, v10
	v_and_b32_e32 v14, 0x80000000, v14
	v_lshl_add_u32 v11, v11, 23, v15
	v_or3_b32 v10, v14, v11, v10
.LBB40_588:
	s_or_b64 exec, exec, s[6:7]
	v_lshrrev_b32_e32 v11, 8, v12
	s_movk_i32 s4, 0x7f
	v_cmp_gt_i16_sdwa s[6:7], v11, s4 src0_sel:BYTE_0 src1_sel:DWORD
	s_mov_b64 s[4:5], 0
                                        ; implicit-def: $sgpr10
	s_and_saveexec_b64 s[8:9], s[6:7]
	s_xor_b64 s[6:7], exec, s[8:9]
	s_cbranch_execnz .LBB40_2637
; %bb.589:
	s_or_saveexec_b64 s[6:7], s[6:7]
	v_mov_b32_e32 v14, s10
	s_xor_b64 exec, exec, s[6:7]
	s_cbranch_execnz .LBB40_2640
.LBB40_590:
	s_or_b64 exec, exec, s[6:7]
	s_and_saveexec_b64 s[6:7], s[4:5]
	s_cbranch_execz .LBB40_592
.LBB40_591:
	v_bfe_u32 v14, v12, 8, 3
	v_ffbh_u32_e32 v20, v14
	v_min_u32_e32 v20, 32, v20
	v_lshrrev_b16_e32 v15, 3, v11
	v_subrev_u32_e32 v21, 28, v20
	v_and_b32_e32 v15, 15, v15
	v_lshlrev_b32_e32 v11, v21, v11
	v_sub_u32_e32 v20, 29, v20
	v_and_b32_e32 v11, 7, v11
	v_cmp_eq_u16_e32 vcc, 0, v15
	v_cndmask_b32_e32 v11, v14, v11, vcc
	v_cndmask_b32_e32 v14, v15, v20, vcc
	v_lshlrev_b32_e32 v15, 16, v12
	v_mov_b32_e32 v20, 0x3b800000
	v_lshlrev_b32_e32 v11, 20, v11
	v_and_b32_e32 v15, 0x80000000, v15
	v_lshl_add_u32 v14, v14, 23, v20
	v_or3_b32 v14, v15, v14, v11
.LBB40_592:
	s_or_b64 exec, exec, s[6:7]
	s_nop 0
	v_mfma_f32_16x16x4f32 a[0:3], v10, v14, a[0:3]
	s_movk_i32 s4, 0xff
	v_and_b32_sdwa v11, v16, s4 dst_sel:DWORD dst_unused:UNUSED_PAD src0_sel:WORD_1 src1_sel:DWORD
	s_movk_i32 s4, 0x7f
	v_cmp_lt_i16_e32 vcc, s4, v11
	s_mov_b64 s[4:5], 0
                                        ; implicit-def: $sgpr10
	s_and_saveexec_b64 s[6:7], vcc
	s_xor_b64 s[6:7], exec, s[6:7]
	s_cbranch_execnz .LBB40_2641
; %bb.593:
	s_or_saveexec_b64 s[6:7], s[6:7]
	v_mov_b32_e32 v10, s10
	s_xor_b64 exec, exec, s[6:7]
	s_cbranch_execnz .LBB40_2644
.LBB40_594:
	s_or_b64 exec, exec, s[6:7]
	s_and_saveexec_b64 s[6:7], s[4:5]
	s_cbranch_execz .LBB40_596
.LBB40_595:
	v_bfe_u32 v10, v16, 16, 3
	v_ffbh_u32_e32 v15, v10
	v_min_u32_e32 v15, 32, v15
	v_lshrrev_b32_e32 v11, 19, v16
	v_subrev_u32_e32 v20, 28, v15
	v_and_b32_e32 v11, 15, v11
	v_lshlrev_b32_sdwa v20, v20, v16 dst_sel:DWORD dst_unused:UNUSED_PAD src0_sel:DWORD src1_sel:WORD_1
	v_bfe_u32 v14, v16, 19, 4
	v_sub_u32_e32 v15, 29, v15
	v_and_b32_e32 v20, 7, v20
	v_cmp_eq_u16_e32 vcc, 0, v11
	v_cndmask_b32_e32 v10, v10, v20, vcc
	v_cndmask_b32_e32 v11, v14, v15, vcc
	v_lshlrev_b32_e32 v14, 8, v16
	v_mov_b32_e32 v15, 0x3b800000
	v_lshlrev_b32_e32 v10, 20, v10
	v_and_b32_e32 v14, 0x80000000, v14
	v_lshl_add_u32 v11, v11, 23, v15
	v_or3_b32 v10, v14, v11, v10
.LBB40_596:
	s_or_b64 exec, exec, s[6:7]
	s_movk_i32 s4, 0xff
	v_and_b32_sdwa v11, v12, s4 dst_sel:DWORD dst_unused:UNUSED_PAD src0_sel:WORD_1 src1_sel:DWORD
	s_movk_i32 s4, 0x7f
	v_cmp_lt_i16_e32 vcc, s4, v11
	s_mov_b64 s[4:5], 0
                                        ; implicit-def: $sgpr10
	s_and_saveexec_b64 s[6:7], vcc
	s_xor_b64 s[6:7], exec, s[6:7]
	s_cbranch_execnz .LBB40_2645
; %bb.597:
	s_or_saveexec_b64 s[6:7], s[6:7]
	v_mov_b32_e32 v14, s10
	s_xor_b64 exec, exec, s[6:7]
	s_cbranch_execnz .LBB40_2648
.LBB40_598:
	s_or_b64 exec, exec, s[6:7]
	s_and_saveexec_b64 s[6:7], s[4:5]
	s_cbranch_execz .LBB40_600
.LBB40_599:
	v_bfe_u32 v11, v12, 16, 3
	v_ffbh_u32_e32 v20, v11
	v_min_u32_e32 v20, 32, v20
	v_lshrrev_b32_e32 v14, 19, v12
	v_subrev_u32_e32 v21, 28, v20
	v_and_b32_e32 v14, 15, v14
	v_lshlrev_b32_sdwa v21, v21, v12 dst_sel:DWORD dst_unused:UNUSED_PAD src0_sel:DWORD src1_sel:WORD_1
	v_bfe_u32 v15, v12, 19, 4
	v_sub_u32_e32 v20, 29, v20
	v_and_b32_e32 v21, 7, v21
	v_cmp_eq_u16_e32 vcc, 0, v14
	v_cndmask_b32_e32 v11, v11, v21, vcc
	v_cndmask_b32_e32 v14, v15, v20, vcc
	v_lshlrev_b32_e32 v15, 8, v12
	v_mov_b32_e32 v20, 0x3b800000
	v_lshlrev_b32_e32 v11, 20, v11
	v_and_b32_e32 v15, 0x80000000, v15
	v_lshl_add_u32 v14, v14, 23, v20
	v_or3_b32 v14, v15, v14, v11
.LBB40_600:
	s_or_b64 exec, exec, s[6:7]
	s_nop 0
	v_mfma_f32_16x16x4f32 a[0:3], v10, v14, a[0:3]
	s_movk_i32 s4, 0x7f
	v_cmp_gt_i16_sdwa s[6:7], v16, s4 src0_sel:BYTE_3 src1_sel:DWORD
	s_mov_b64 s[4:5], 0
                                        ; implicit-def: $sgpr10
	s_and_saveexec_b64 s[8:9], s[6:7]
	s_xor_b64 s[6:7], exec, s[8:9]
	s_cbranch_execnz .LBB40_2649
; %bb.601:
	s_or_saveexec_b64 s[6:7], s[6:7]
	v_mov_b32_e32 v10, s10
	s_xor_b64 exec, exec, s[6:7]
	s_cbranch_execnz .LBB40_2652
.LBB40_602:
	s_or_b64 exec, exec, s[6:7]
	s_and_saveexec_b64 s[6:7], s[4:5]
	s_cbranch_execz .LBB40_604
.LBB40_603:
	v_bfe_u32 v10, v16, 24, 3
	v_ffbh_u32_e32 v20, v10
	v_min_u32_e32 v20, 32, v20
	v_lshrrev_b32_e32 v14, 27, v16
	v_subrev_u32_e32 v21, 28, v20
	v_and_b32_e32 v11, 0x80000000, v16
	v_and_b32_e32 v14, 15, v14
	v_bfe_u32 v15, v16, 27, 4
	v_lshlrev_b32_sdwa v16, v21, v16 dst_sel:DWORD dst_unused:UNUSED_PAD src0_sel:DWORD src1_sel:BYTE_3
	v_sub_u32_e32 v20, 29, v20
	v_and_b32_e32 v16, 7, v16
	v_cmp_eq_u16_e32 vcc, 0, v14
	v_cndmask_b32_e32 v10, v10, v16, vcc
	v_cndmask_b32_e32 v14, v15, v20, vcc
	v_mov_b32_e32 v15, 0x3b800000
	v_lshlrev_b32_e32 v10, 20, v10
	v_lshl_add_u32 v14, v14, 23, v15
	v_or3_b32 v10, v11, v14, v10
.LBB40_604:
	s_or_b64 exec, exec, s[6:7]
	s_movk_i32 s4, 0x7f
	v_cmp_gt_i16_sdwa s[6:7], v12, s4 src0_sel:BYTE_3 src1_sel:DWORD
	s_mov_b64 s[4:5], 0
                                        ; implicit-def: $sgpr10
	s_and_saveexec_b64 s[8:9], s[6:7]
	s_xor_b64 s[6:7], exec, s[8:9]
	s_cbranch_execnz .LBB40_2653
; %bb.605:
	s_or_saveexec_b64 s[6:7], s[6:7]
	v_mov_b32_e32 v11, s10
	s_xor_b64 exec, exec, s[6:7]
	s_cbranch_execnz .LBB40_2656
.LBB40_606:
	s_or_b64 exec, exec, s[6:7]
	s_and_saveexec_b64 s[6:7], s[4:5]
	s_cbranch_execz .LBB40_608
.LBB40_607:
	v_bfe_u32 v11, v12, 24, 3
	v_ffbh_u32_e32 v20, v11
	v_min_u32_e32 v20, 32, v20
	v_lshrrev_b32_e32 v15, 27, v12
	v_subrev_u32_e32 v21, 28, v20
	v_and_b32_e32 v14, 0x80000000, v12
	v_and_b32_e32 v15, 15, v15
	v_bfe_u32 v16, v12, 27, 4
	v_lshlrev_b32_sdwa v12, v21, v12 dst_sel:DWORD dst_unused:UNUSED_PAD src0_sel:DWORD src1_sel:BYTE_3
	v_sub_u32_e32 v20, 29, v20
	v_and_b32_e32 v12, 7, v12
	v_cmp_eq_u16_e32 vcc, 0, v15
	v_cndmask_b32_e32 v11, v11, v12, vcc
	v_cndmask_b32_e32 v12, v16, v20, vcc
	v_mov_b32_e32 v15, 0x3b800000
	v_lshlrev_b32_e32 v11, 20, v11
	v_lshl_add_u32 v12, v12, 23, v15
	v_or3_b32 v11, v14, v12, v11
.LBB40_608:
	s_or_b64 exec, exec, s[6:7]
	s_nop 0
	v_mfma_f32_16x16x4f32 a[0:3], v10, v11, a[0:3]
	s_movk_i32 s4, 0x7f
	v_cmp_gt_i16_sdwa s[6:7], v17, s4 src0_sel:BYTE_0 src1_sel:DWORD
	s_mov_b64 s[4:5], 0
                                        ; implicit-def: $sgpr10
	s_and_saveexec_b64 s[8:9], s[6:7]
	s_xor_b64 s[6:7], exec, s[8:9]
	s_cbranch_execnz .LBB40_2657
; %bb.609:
	s_or_saveexec_b64 s[6:7], s[6:7]
	v_mov_b32_e32 v10, s10
	s_xor_b64 exec, exec, s[6:7]
	s_cbranch_execnz .LBB40_2660
.LBB40_610:
	s_or_b64 exec, exec, s[6:7]
	s_and_saveexec_b64 s[6:7], s[4:5]
	s_cbranch_execz .LBB40_612
.LBB40_611:
	v_and_b32_e32 v10, 7, v17
	v_ffbh_u32_e32 v12, v10
	v_min_u32_e32 v12, 32, v12
	v_lshrrev_b16_e32 v11, 3, v17
	v_subrev_u32_e32 v14, 28, v12
	v_and_b32_e32 v11, 15, v11
	v_lshlrev_b32_e32 v14, v14, v17
	v_sub_u32_e32 v12, 29, v12
	v_and_b32_e32 v14, 7, v14
	v_cmp_eq_u16_e32 vcc, 0, v11
	v_cndmask_b32_e32 v10, v10, v14, vcc
	v_cndmask_b32_e32 v11, v11, v12, vcc
	v_lshlrev_b32_e32 v12, 24, v17
	v_mov_b32_e32 v14, 0x3b800000
	v_lshlrev_b32_e32 v10, 20, v10
	v_and_b32_e32 v12, 0x80000000, v12
	v_lshl_add_u32 v11, v11, 23, v14
	v_or3_b32 v10, v12, v11, v10
.LBB40_612:
	s_or_b64 exec, exec, s[6:7]
	s_movk_i32 s4, 0x7f
	v_cmp_gt_i16_sdwa s[6:7], v13, s4 src0_sel:BYTE_0 src1_sel:DWORD
	s_mov_b64 s[4:5], 0
                                        ; implicit-def: $sgpr10
	s_and_saveexec_b64 s[8:9], s[6:7]
	s_xor_b64 s[6:7], exec, s[8:9]
	s_cbranch_execnz .LBB40_2661
; %bb.613:
	s_or_saveexec_b64 s[6:7], s[6:7]
	v_mov_b32_e32 v11, s10
	s_xor_b64 exec, exec, s[6:7]
	s_cbranch_execnz .LBB40_2664
.LBB40_614:
	s_or_b64 exec, exec, s[6:7]
	s_and_saveexec_b64 s[6:7], s[4:5]
	s_cbranch_execz .LBB40_616
.LBB40_615:
	v_and_b32_e32 v11, 7, v13
	v_ffbh_u32_e32 v14, v11
	v_min_u32_e32 v14, 32, v14
	v_lshrrev_b16_e32 v12, 3, v13
	v_subrev_u32_e32 v15, 28, v14
	v_and_b32_e32 v12, 15, v12
	v_lshlrev_b32_e32 v15, v15, v13
	v_sub_u32_e32 v14, 29, v14
	v_and_b32_e32 v15, 7, v15
	v_cmp_eq_u16_e32 vcc, 0, v12
	v_cndmask_b32_e32 v11, v11, v15, vcc
	v_cndmask_b32_e32 v12, v12, v14, vcc
	v_lshlrev_b32_e32 v14, 24, v13
	v_mov_b32_e32 v15, 0x3b800000
	v_lshlrev_b32_e32 v11, 20, v11
	v_and_b32_e32 v14, 0x80000000, v14
	v_lshl_add_u32 v12, v12, 23, v15
	v_or3_b32 v11, v14, v12, v11
.LBB40_616:
	s_or_b64 exec, exec, s[6:7]
	s_nop 0
	v_mfma_f32_16x16x4f32 a[0:3], v10, v11, a[0:3]
	v_lshrrev_b32_e32 v11, 8, v17
	s_movk_i32 s4, 0x7f
	v_cmp_gt_i16_sdwa s[6:7], v11, s4 src0_sel:BYTE_0 src1_sel:DWORD
	s_mov_b64 s[4:5], 0
                                        ; implicit-def: $sgpr10
	s_and_saveexec_b64 s[8:9], s[6:7]
	s_xor_b64 s[6:7], exec, s[8:9]
	s_cbranch_execnz .LBB40_2665
; %bb.617:
	s_or_saveexec_b64 s[6:7], s[6:7]
	v_mov_b32_e32 v10, s10
	s_xor_b64 exec, exec, s[6:7]
	s_cbranch_execnz .LBB40_2668
.LBB40_618:
	s_or_b64 exec, exec, s[6:7]
	s_and_saveexec_b64 s[6:7], s[4:5]
	s_cbranch_execz .LBB40_620
.LBB40_619:
	v_bfe_u32 v10, v17, 8, 3
	v_ffbh_u32_e32 v14, v10
	v_min_u32_e32 v14, 32, v14
	v_lshrrev_b16_e32 v12, 3, v11
	v_subrev_u32_e32 v15, 28, v14
	v_and_b32_e32 v12, 15, v12
	v_lshlrev_b32_e32 v11, v15, v11
	v_sub_u32_e32 v14, 29, v14
	v_and_b32_e32 v11, 7, v11
	v_cmp_eq_u16_e32 vcc, 0, v12
	v_cndmask_b32_e32 v10, v10, v11, vcc
	v_cndmask_b32_e32 v11, v12, v14, vcc
	v_lshlrev_b32_e32 v12, 16, v17
	v_mov_b32_e32 v14, 0x3b800000
	v_lshlrev_b32_e32 v10, 20, v10
	v_and_b32_e32 v12, 0x80000000, v12
	v_lshl_add_u32 v11, v11, 23, v14
	v_or3_b32 v10, v12, v11, v10
.LBB40_620:
	s_or_b64 exec, exec, s[6:7]
	v_lshrrev_b32_e32 v11, 8, v13
	s_movk_i32 s4, 0x7f
	v_cmp_gt_i16_sdwa s[6:7], v11, s4 src0_sel:BYTE_0 src1_sel:DWORD
	s_mov_b64 s[4:5], 0
                                        ; implicit-def: $sgpr10
	s_and_saveexec_b64 s[8:9], s[6:7]
	s_xor_b64 s[6:7], exec, s[8:9]
	s_cbranch_execnz .LBB40_2669
; %bb.621:
	s_or_saveexec_b64 s[6:7], s[6:7]
	v_mov_b32_e32 v12, s10
	s_xor_b64 exec, exec, s[6:7]
	s_cbranch_execnz .LBB40_2672
.LBB40_622:
	s_or_b64 exec, exec, s[6:7]
	s_and_saveexec_b64 s[6:7], s[4:5]
	s_cbranch_execz .LBB40_624
.LBB40_623:
	v_bfe_u32 v12, v13, 8, 3
	v_ffbh_u32_e32 v15, v12
	v_min_u32_e32 v15, 32, v15
	v_lshrrev_b16_e32 v14, 3, v11
	v_subrev_u32_e32 v16, 28, v15
	v_and_b32_e32 v14, 15, v14
	v_lshlrev_b32_e32 v11, v16, v11
	v_sub_u32_e32 v15, 29, v15
	v_and_b32_e32 v11, 7, v11
	v_cmp_eq_u16_e32 vcc, 0, v14
	v_cndmask_b32_e32 v11, v12, v11, vcc
	v_cndmask_b32_e32 v12, v14, v15, vcc
	v_lshlrev_b32_e32 v14, 16, v13
	v_mov_b32_e32 v15, 0x3b800000
	v_lshlrev_b32_e32 v11, 20, v11
	v_and_b32_e32 v14, 0x80000000, v14
	v_lshl_add_u32 v12, v12, 23, v15
	v_or3_b32 v12, v14, v12, v11
.LBB40_624:
	s_or_b64 exec, exec, s[6:7]
	s_nop 0
	v_mfma_f32_16x16x4f32 a[0:3], v10, v12, a[0:3]
	s_movk_i32 s4, 0xff
	v_and_b32_sdwa v11, v17, s4 dst_sel:DWORD dst_unused:UNUSED_PAD src0_sel:WORD_1 src1_sel:DWORD
	s_movk_i32 s4, 0x7f
	v_cmp_lt_i16_e32 vcc, s4, v11
	s_mov_b64 s[4:5], 0
                                        ; implicit-def: $sgpr10
	s_and_saveexec_b64 s[6:7], vcc
	s_xor_b64 s[6:7], exec, s[6:7]
	s_cbranch_execnz .LBB40_2673
; %bb.625:
	s_or_saveexec_b64 s[6:7], s[6:7]
	v_mov_b32_e32 v10, s10
	s_xor_b64 exec, exec, s[6:7]
	s_cbranch_execnz .LBB40_2676
.LBB40_626:
	s_or_b64 exec, exec, s[6:7]
	s_and_saveexec_b64 s[6:7], s[4:5]
	s_cbranch_execz .LBB40_628
.LBB40_627:
	v_bfe_u32 v10, v17, 16, 3
	v_ffbh_u32_e32 v14, v10
	v_min_u32_e32 v14, 32, v14
	v_lshrrev_b32_e32 v11, 19, v17
	v_subrev_u32_e32 v15, 28, v14
	v_and_b32_e32 v11, 15, v11
	v_lshlrev_b32_sdwa v15, v15, v17 dst_sel:DWORD dst_unused:UNUSED_PAD src0_sel:DWORD src1_sel:WORD_1
	v_bfe_u32 v12, v17, 19, 4
	v_sub_u32_e32 v14, 29, v14
	v_and_b32_e32 v15, 7, v15
	v_cmp_eq_u16_e32 vcc, 0, v11
	v_cndmask_b32_e32 v10, v10, v15, vcc
	v_cndmask_b32_e32 v11, v12, v14, vcc
	v_lshlrev_b32_e32 v12, 8, v17
	v_mov_b32_e32 v14, 0x3b800000
	v_lshlrev_b32_e32 v10, 20, v10
	v_and_b32_e32 v12, 0x80000000, v12
	v_lshl_add_u32 v11, v11, 23, v14
	v_or3_b32 v10, v12, v11, v10
.LBB40_628:
	s_or_b64 exec, exec, s[6:7]
	s_movk_i32 s4, 0xff
	v_and_b32_sdwa v11, v13, s4 dst_sel:DWORD dst_unused:UNUSED_PAD src0_sel:WORD_1 src1_sel:DWORD
	s_movk_i32 s4, 0x7f
	v_cmp_lt_i16_e32 vcc, s4, v11
	s_mov_b64 s[4:5], 0
                                        ; implicit-def: $sgpr10
	s_and_saveexec_b64 s[6:7], vcc
	s_xor_b64 s[6:7], exec, s[6:7]
	s_cbranch_execnz .LBB40_2677
; %bb.629:
	s_or_saveexec_b64 s[6:7], s[6:7]
	v_mov_b32_e32 v12, s10
	s_xor_b64 exec, exec, s[6:7]
	s_cbranch_execnz .LBB40_2680
.LBB40_630:
	s_or_b64 exec, exec, s[6:7]
	s_and_saveexec_b64 s[6:7], s[4:5]
	s_cbranch_execz .LBB40_632
.LBB40_631:
	v_bfe_u32 v11, v13, 16, 3
	v_ffbh_u32_e32 v15, v11
	v_min_u32_e32 v15, 32, v15
	v_lshrrev_b32_e32 v12, 19, v13
	v_subrev_u32_e32 v16, 28, v15
	v_and_b32_e32 v12, 15, v12
	v_lshlrev_b32_sdwa v16, v16, v13 dst_sel:DWORD dst_unused:UNUSED_PAD src0_sel:DWORD src1_sel:WORD_1
	v_bfe_u32 v14, v13, 19, 4
	v_sub_u32_e32 v15, 29, v15
	v_and_b32_e32 v16, 7, v16
	v_cmp_eq_u16_e32 vcc, 0, v12
	v_cndmask_b32_e32 v11, v11, v16, vcc
	v_cndmask_b32_e32 v12, v14, v15, vcc
	v_lshlrev_b32_e32 v14, 8, v13
	v_mov_b32_e32 v15, 0x3b800000
	v_lshlrev_b32_e32 v11, 20, v11
	v_and_b32_e32 v14, 0x80000000, v14
	v_lshl_add_u32 v12, v12, 23, v15
	v_or3_b32 v12, v14, v12, v11
.LBB40_632:
	s_or_b64 exec, exec, s[6:7]
	s_nop 0
	v_mfma_f32_16x16x4f32 a[0:3], v10, v12, a[0:3]
	s_movk_i32 s4, 0x7f
	v_cmp_gt_i16_sdwa s[6:7], v17, s4 src0_sel:BYTE_3 src1_sel:DWORD
	s_mov_b64 s[4:5], 0
                                        ; implicit-def: $sgpr10
	s_and_saveexec_b64 s[8:9], s[6:7]
	s_xor_b64 s[6:7], exec, s[8:9]
	s_cbranch_execnz .LBB40_2681
; %bb.633:
	s_or_saveexec_b64 s[6:7], s[6:7]
	v_mov_b32_e32 v10, s10
	s_xor_b64 exec, exec, s[6:7]
	s_cbranch_execnz .LBB40_2684
.LBB40_634:
	s_or_b64 exec, exec, s[6:7]
	s_and_saveexec_b64 s[6:7], s[4:5]
	s_cbranch_execz .LBB40_636
.LBB40_635:
	v_bfe_u32 v10, v17, 24, 3
	v_ffbh_u32_e32 v15, v10
	v_min_u32_e32 v15, 32, v15
	v_lshrrev_b32_e32 v12, 27, v17
	v_subrev_u32_e32 v16, 28, v15
	v_and_b32_e32 v12, 15, v12
	v_lshlrev_b32_sdwa v16, v16, v17 dst_sel:DWORD dst_unused:UNUSED_PAD src0_sel:DWORD src1_sel:BYTE_3
	v_bfe_u32 v14, v17, 27, 4
	v_sub_u32_e32 v15, 29, v15
	v_and_b32_e32 v16, 7, v16
	v_cmp_eq_u16_e32 vcc, 0, v12
	v_cndmask_b32_e32 v10, v10, v16, vcc
	v_cndmask_b32_e32 v12, v14, v15, vcc
	v_mov_b32_e32 v14, 0x3b800000
	v_and_b32_e32 v11, 0x80000000, v17
	v_lshlrev_b32_e32 v10, 20, v10
	v_lshl_add_u32 v12, v12, 23, v14
	v_or3_b32 v10, v11, v12, v10
.LBB40_636:
	s_or_b64 exec, exec, s[6:7]
	s_movk_i32 s4, 0x7f
	v_cmp_gt_i16_sdwa s[6:7], v13, s4 src0_sel:BYTE_3 src1_sel:DWORD
	s_mov_b64 s[4:5], 0
                                        ; implicit-def: $sgpr10
	s_and_saveexec_b64 s[8:9], s[6:7]
	s_xor_b64 s[6:7], exec, s[8:9]
	s_cbranch_execnz .LBB40_2685
; %bb.637:
	s_or_saveexec_b64 s[6:7], s[6:7]
	v_mov_b32_e32 v11, s10
	s_xor_b64 exec, exec, s[6:7]
	s_cbranch_execnz .LBB40_2688
.LBB40_638:
	s_or_b64 exec, exec, s[6:7]
	s_and_saveexec_b64 s[6:7], s[4:5]
	s_cbranch_execz .LBB40_640
.LBB40_639:
	v_bfe_u32 v11, v13, 24, 3
	v_ffbh_u32_e32 v16, v11
	v_min_u32_e32 v16, 32, v16
	v_lshrrev_b32_e32 v14, 27, v13
	v_subrev_u32_e32 v17, 28, v16
	v_and_b32_e32 v12, 0x80000000, v13
	v_and_b32_e32 v14, 15, v14
	v_bfe_u32 v15, v13, 27, 4
	v_lshlrev_b32_sdwa v13, v17, v13 dst_sel:DWORD dst_unused:UNUSED_PAD src0_sel:DWORD src1_sel:BYTE_3
	v_sub_u32_e32 v16, 29, v16
	v_and_b32_e32 v13, 7, v13
	v_cmp_eq_u16_e32 vcc, 0, v14
	v_cndmask_b32_e32 v11, v11, v13, vcc
	v_cndmask_b32_e32 v13, v15, v16, vcc
	v_mov_b32_e32 v14, 0x3b800000
	v_lshlrev_b32_e32 v11, 20, v11
	v_lshl_add_u32 v13, v13, 23, v14
	v_or3_b32 v11, v12, v13, v11
.LBB40_640:
	s_or_b64 exec, exec, s[6:7]
	s_nop 0
	v_mfma_f32_16x16x4f32 a[0:3], v10, v11, a[0:3]
	s_movk_i32 s4, 0x7f
	v_cmp_gt_i16_sdwa s[6:7], v6, s4 src0_sel:BYTE_0 src1_sel:DWORD
	s_mov_b64 s[4:5], 0
                                        ; implicit-def: $sgpr10
	s_and_saveexec_b64 s[8:9], s[6:7]
	s_xor_b64 s[6:7], exec, s[8:9]
	s_cbranch_execnz .LBB40_2689
; %bb.641:
	s_or_saveexec_b64 s[6:7], s[6:7]
	v_mov_b32_e32 v10, s10
	s_xor_b64 exec, exec, s[6:7]
	s_cbranch_execnz .LBB40_2692
.LBB40_642:
	s_or_b64 exec, exec, s[6:7]
	s_and_saveexec_b64 s[6:7], s[4:5]
	s_cbranch_execz .LBB40_644
.LBB40_643:
	v_and_b32_e32 v10, 7, v6
	v_ffbh_u32_e32 v12, v10
	v_min_u32_e32 v12, 32, v12
	v_lshrrev_b16_e32 v11, 3, v6
	v_subrev_u32_e32 v13, 28, v12
	v_and_b32_e32 v11, 15, v11
	v_lshlrev_b32_e32 v13, v13, v6
	v_sub_u32_e32 v12, 29, v12
	v_and_b32_e32 v13, 7, v13
	v_cmp_eq_u16_e32 vcc, 0, v11
	v_cndmask_b32_e32 v10, v10, v13, vcc
	v_cndmask_b32_e32 v11, v11, v12, vcc
	v_lshlrev_b32_e32 v12, 24, v6
	v_mov_b32_e32 v13, 0x3b800000
	v_lshlrev_b32_e32 v10, 20, v10
	v_and_b32_e32 v12, 0x80000000, v12
	v_lshl_add_u32 v11, v11, 23, v13
	v_or3_b32 v10, v12, v11, v10
.LBB40_644:
	s_or_b64 exec, exec, s[6:7]
	s_movk_i32 s4, 0x7f
	v_cmp_gt_i16_sdwa s[6:7], v2, s4 src0_sel:BYTE_0 src1_sel:DWORD
	s_mov_b64 s[4:5], 0
                                        ; implicit-def: $sgpr10
	s_and_saveexec_b64 s[8:9], s[6:7]
	s_xor_b64 s[6:7], exec, s[8:9]
	s_cbranch_execnz .LBB40_2693
; %bb.645:
	s_or_saveexec_b64 s[6:7], s[6:7]
	v_mov_b32_e32 v11, s10
	s_xor_b64 exec, exec, s[6:7]
	s_cbranch_execnz .LBB40_2696
.LBB40_646:
	s_or_b64 exec, exec, s[6:7]
	s_and_saveexec_b64 s[6:7], s[4:5]
	s_cbranch_execz .LBB40_648
.LBB40_647:
	v_and_b32_e32 v11, 7, v2
	v_ffbh_u32_e32 v13, v11
	v_min_u32_e32 v13, 32, v13
	v_lshrrev_b16_e32 v12, 3, v2
	v_subrev_u32_e32 v14, 28, v13
	v_and_b32_e32 v12, 15, v12
	v_lshlrev_b32_e32 v14, v14, v2
	v_sub_u32_e32 v13, 29, v13
	v_and_b32_e32 v14, 7, v14
	v_cmp_eq_u16_e32 vcc, 0, v12
	v_cndmask_b32_e32 v11, v11, v14, vcc
	v_cndmask_b32_e32 v12, v12, v13, vcc
	v_lshlrev_b32_e32 v13, 24, v2
	v_mov_b32_e32 v14, 0x3b800000
	v_lshlrev_b32_e32 v11, 20, v11
	v_and_b32_e32 v13, 0x80000000, v13
	v_lshl_add_u32 v12, v12, 23, v14
	v_or3_b32 v11, v13, v12, v11
.LBB40_648:
	s_or_b64 exec, exec, s[6:7]
	s_nop 0
	v_mfma_f32_16x16x4f32 a[0:3], v10, v11, a[0:3]
	v_lshrrev_b32_e32 v11, 8, v6
	s_movk_i32 s4, 0x7f
	v_cmp_gt_i16_sdwa s[6:7], v11, s4 src0_sel:BYTE_0 src1_sel:DWORD
	s_mov_b64 s[4:5], 0
                                        ; implicit-def: $sgpr10
	s_and_saveexec_b64 s[8:9], s[6:7]
	s_xor_b64 s[6:7], exec, s[8:9]
	s_cbranch_execnz .LBB40_2697
; %bb.649:
	s_or_saveexec_b64 s[6:7], s[6:7]
	v_mov_b32_e32 v10, s10
	s_xor_b64 exec, exec, s[6:7]
	s_cbranch_execnz .LBB40_2700
.LBB40_650:
	s_or_b64 exec, exec, s[6:7]
	s_and_saveexec_b64 s[6:7], s[4:5]
	s_cbranch_execz .LBB40_652
.LBB40_651:
	v_bfe_u32 v10, v6, 8, 3
	v_ffbh_u32_e32 v13, v10
	v_min_u32_e32 v13, 32, v13
	v_lshrrev_b16_e32 v12, 3, v11
	v_subrev_u32_e32 v14, 28, v13
	v_and_b32_e32 v12, 15, v12
	v_lshlrev_b32_e32 v11, v14, v11
	v_sub_u32_e32 v13, 29, v13
	v_and_b32_e32 v11, 7, v11
	v_cmp_eq_u16_e32 vcc, 0, v12
	v_cndmask_b32_e32 v10, v10, v11, vcc
	v_cndmask_b32_e32 v11, v12, v13, vcc
	v_lshlrev_b32_e32 v12, 16, v6
	v_mov_b32_e32 v13, 0x3b800000
	v_lshlrev_b32_e32 v10, 20, v10
	v_and_b32_e32 v12, 0x80000000, v12
	v_lshl_add_u32 v11, v11, 23, v13
	v_or3_b32 v10, v12, v11, v10
.LBB40_652:
	s_or_b64 exec, exec, s[6:7]
	v_lshrrev_b32_e32 v11, 8, v2
	s_movk_i32 s4, 0x7f
	v_cmp_gt_i16_sdwa s[6:7], v11, s4 src0_sel:BYTE_0 src1_sel:DWORD
	s_mov_b64 s[4:5], 0
                                        ; implicit-def: $sgpr10
	s_and_saveexec_b64 s[8:9], s[6:7]
	s_xor_b64 s[6:7], exec, s[8:9]
	s_cbranch_execnz .LBB40_2701
; %bb.653:
	s_or_saveexec_b64 s[6:7], s[6:7]
	v_mov_b32_e32 v12, s10
	s_xor_b64 exec, exec, s[6:7]
	s_cbranch_execnz .LBB40_2704
.LBB40_654:
	s_or_b64 exec, exec, s[6:7]
	s_and_saveexec_b64 s[6:7], s[4:5]
	s_cbranch_execz .LBB40_656
.LBB40_655:
	v_bfe_u32 v12, v2, 8, 3
	v_ffbh_u32_e32 v14, v12
	v_min_u32_e32 v14, 32, v14
	v_lshrrev_b16_e32 v13, 3, v11
	v_subrev_u32_e32 v15, 28, v14
	v_and_b32_e32 v13, 15, v13
	v_lshlrev_b32_e32 v11, v15, v11
	v_sub_u32_e32 v14, 29, v14
	v_and_b32_e32 v11, 7, v11
	v_cmp_eq_u16_e32 vcc, 0, v13
	v_cndmask_b32_e32 v11, v12, v11, vcc
	v_cndmask_b32_e32 v12, v13, v14, vcc
	v_lshlrev_b32_e32 v13, 16, v2
	v_mov_b32_e32 v14, 0x3b800000
	v_lshlrev_b32_e32 v11, 20, v11
	v_and_b32_e32 v13, 0x80000000, v13
	v_lshl_add_u32 v12, v12, 23, v14
	v_or3_b32 v12, v13, v12, v11
.LBB40_656:
	s_or_b64 exec, exec, s[6:7]
	s_nop 0
	v_mfma_f32_16x16x4f32 a[0:3], v10, v12, a[0:3]
	s_movk_i32 s4, 0xff
	v_and_b32_sdwa v11, v6, s4 dst_sel:DWORD dst_unused:UNUSED_PAD src0_sel:WORD_1 src1_sel:DWORD
	s_movk_i32 s4, 0x7f
	v_cmp_lt_i16_e32 vcc, s4, v11
	s_mov_b64 s[4:5], 0
                                        ; implicit-def: $sgpr10
	s_and_saveexec_b64 s[6:7], vcc
	s_xor_b64 s[6:7], exec, s[6:7]
	s_cbranch_execnz .LBB40_2705
; %bb.657:
	s_or_saveexec_b64 s[6:7], s[6:7]
	v_mov_b32_e32 v10, s10
	s_xor_b64 exec, exec, s[6:7]
	s_cbranch_execnz .LBB40_2708
.LBB40_658:
	s_or_b64 exec, exec, s[6:7]
	s_and_saveexec_b64 s[6:7], s[4:5]
	s_cbranch_execz .LBB40_660
.LBB40_659:
	v_bfe_u32 v10, v6, 16, 3
	v_ffbh_u32_e32 v13, v10
	v_min_u32_e32 v13, 32, v13
	v_lshrrev_b32_e32 v11, 19, v6
	v_subrev_u32_e32 v14, 28, v13
	v_and_b32_e32 v11, 15, v11
	v_lshlrev_b32_sdwa v14, v14, v6 dst_sel:DWORD dst_unused:UNUSED_PAD src0_sel:DWORD src1_sel:WORD_1
	v_bfe_u32 v12, v6, 19, 4
	v_sub_u32_e32 v13, 29, v13
	v_and_b32_e32 v14, 7, v14
	v_cmp_eq_u16_e32 vcc, 0, v11
	v_cndmask_b32_e32 v10, v10, v14, vcc
	v_cndmask_b32_e32 v11, v12, v13, vcc
	v_lshlrev_b32_e32 v12, 8, v6
	v_mov_b32_e32 v13, 0x3b800000
	v_lshlrev_b32_e32 v10, 20, v10
	v_and_b32_e32 v12, 0x80000000, v12
	v_lshl_add_u32 v11, v11, 23, v13
	v_or3_b32 v10, v12, v11, v10
.LBB40_660:
	s_or_b64 exec, exec, s[6:7]
	s_movk_i32 s4, 0xff
	v_and_b32_sdwa v11, v2, s4 dst_sel:DWORD dst_unused:UNUSED_PAD src0_sel:WORD_1 src1_sel:DWORD
	s_movk_i32 s4, 0x7f
	v_cmp_lt_i16_e32 vcc, s4, v11
	s_mov_b64 s[4:5], 0
                                        ; implicit-def: $sgpr10
	s_and_saveexec_b64 s[6:7], vcc
	s_xor_b64 s[6:7], exec, s[6:7]
	s_cbranch_execnz .LBB40_2709
; %bb.661:
	s_or_saveexec_b64 s[6:7], s[6:7]
	v_mov_b32_e32 v12, s10
	s_xor_b64 exec, exec, s[6:7]
	s_cbranch_execnz .LBB40_2712
.LBB40_662:
	s_or_b64 exec, exec, s[6:7]
	s_and_saveexec_b64 s[6:7], s[4:5]
	s_cbranch_execz .LBB40_664
.LBB40_663:
	v_bfe_u32 v11, v2, 16, 3
	v_ffbh_u32_e32 v14, v11
	v_min_u32_e32 v14, 32, v14
	v_lshrrev_b32_e32 v12, 19, v2
	v_subrev_u32_e32 v15, 28, v14
	v_and_b32_e32 v12, 15, v12
	v_lshlrev_b32_sdwa v15, v15, v2 dst_sel:DWORD dst_unused:UNUSED_PAD src0_sel:DWORD src1_sel:WORD_1
	v_bfe_u32 v13, v2, 19, 4
	v_sub_u32_e32 v14, 29, v14
	v_and_b32_e32 v15, 7, v15
	v_cmp_eq_u16_e32 vcc, 0, v12
	v_cndmask_b32_e32 v11, v11, v15, vcc
	v_cndmask_b32_e32 v12, v13, v14, vcc
	v_lshlrev_b32_e32 v13, 8, v2
	v_mov_b32_e32 v14, 0x3b800000
	v_lshlrev_b32_e32 v11, 20, v11
	v_and_b32_e32 v13, 0x80000000, v13
	v_lshl_add_u32 v12, v12, 23, v14
	v_or3_b32 v12, v13, v12, v11
.LBB40_664:
	s_or_b64 exec, exec, s[6:7]
	s_nop 0
	v_mfma_f32_16x16x4f32 a[0:3], v10, v12, a[0:3]
	s_movk_i32 s4, 0x7f
	v_cmp_gt_i16_sdwa s[6:7], v6, s4 src0_sel:BYTE_3 src1_sel:DWORD
	s_mov_b64 s[4:5], 0
                                        ; implicit-def: $sgpr10
	s_and_saveexec_b64 s[8:9], s[6:7]
	s_xor_b64 s[6:7], exec, s[8:9]
	s_cbranch_execnz .LBB40_2713
; %bb.665:
	s_or_saveexec_b64 s[6:7], s[6:7]
	v_mov_b32_e32 v10, s10
	s_xor_b64 exec, exec, s[6:7]
	s_cbranch_execnz .LBB40_2716
.LBB40_666:
	s_or_b64 exec, exec, s[6:7]
	s_and_saveexec_b64 s[6:7], s[4:5]
	s_cbranch_execz .LBB40_668
.LBB40_667:
	v_bfe_u32 v10, v6, 24, 3
	v_ffbh_u32_e32 v14, v10
	v_min_u32_e32 v14, 32, v14
	v_lshrrev_b32_e32 v12, 27, v6
	v_subrev_u32_e32 v15, 28, v14
	v_and_b32_e32 v11, 0x80000000, v6
	v_and_b32_e32 v12, 15, v12
	v_bfe_u32 v13, v6, 27, 4
	v_lshlrev_b32_sdwa v6, v15, v6 dst_sel:DWORD dst_unused:UNUSED_PAD src0_sel:DWORD src1_sel:BYTE_3
	v_sub_u32_e32 v14, 29, v14
	v_and_b32_e32 v6, 7, v6
	v_cmp_eq_u16_e32 vcc, 0, v12
	v_cndmask_b32_e32 v6, v10, v6, vcc
	v_cndmask_b32_e32 v10, v13, v14, vcc
	v_mov_b32_e32 v12, 0x3b800000
	v_lshlrev_b32_e32 v6, 20, v6
	v_lshl_add_u32 v10, v10, 23, v12
	v_or3_b32 v10, v11, v10, v6
.LBB40_668:
	s_or_b64 exec, exec, s[6:7]
	s_movk_i32 s4, 0x7f
	v_cmp_gt_i16_sdwa s[6:7], v2, s4 src0_sel:BYTE_3 src1_sel:DWORD
	s_mov_b64 s[4:5], 0
                                        ; implicit-def: $sgpr10
	s_and_saveexec_b64 s[8:9], s[6:7]
	s_xor_b64 s[6:7], exec, s[8:9]
	s_cbranch_execnz .LBB40_2717
; %bb.669:
	s_or_saveexec_b64 s[6:7], s[6:7]
	v_mov_b32_e32 v6, s10
	s_xor_b64 exec, exec, s[6:7]
	s_cbranch_execnz .LBB40_2720
.LBB40_670:
	s_or_b64 exec, exec, s[6:7]
	s_and_saveexec_b64 s[6:7], s[4:5]
	s_cbranch_execz .LBB40_672
.LBB40_671:
	v_bfe_u32 v6, v2, 24, 3
	v_ffbh_u32_e32 v14, v6
	v_min_u32_e32 v14, 32, v14
	v_lshrrev_b32_e32 v12, 27, v2
	v_subrev_u32_e32 v15, 28, v14
	v_and_b32_e32 v11, 0x80000000, v2
	v_and_b32_e32 v12, 15, v12
	v_bfe_u32 v13, v2, 27, 4
	v_lshlrev_b32_sdwa v2, v15, v2 dst_sel:DWORD dst_unused:UNUSED_PAD src0_sel:DWORD src1_sel:BYTE_3
	v_sub_u32_e32 v14, 29, v14
	v_and_b32_e32 v2, 7, v2
	v_cmp_eq_u16_e32 vcc, 0, v12
	v_cndmask_b32_e32 v2, v6, v2, vcc
	v_cndmask_b32_e32 v6, v13, v14, vcc
	v_mov_b32_e32 v12, 0x3b800000
	v_lshlrev_b32_e32 v2, 20, v2
	v_lshl_add_u32 v6, v6, 23, v12
	v_or3_b32 v6, v11, v6, v2
.LBB40_672:
	s_or_b64 exec, exec, s[6:7]
	s_nop 0
	v_mfma_f32_16x16x4f32 a[0:3], v10, v6, a[0:3]
	s_movk_i32 s4, 0x7f
	v_cmp_gt_i16_sdwa s[6:7], v7, s4 src0_sel:BYTE_0 src1_sel:DWORD
	s_mov_b64 s[4:5], 0
                                        ; implicit-def: $sgpr10
	s_and_saveexec_b64 s[8:9], s[6:7]
	s_xor_b64 s[6:7], exec, s[8:9]
	s_cbranch_execnz .LBB40_2721
; %bb.673:
	s_or_saveexec_b64 s[6:7], s[6:7]
	v_mov_b32_e32 v2, s10
	s_xor_b64 exec, exec, s[6:7]
	s_cbranch_execnz .LBB40_2724
.LBB40_674:
	s_or_b64 exec, exec, s[6:7]
	s_and_saveexec_b64 s[6:7], s[4:5]
	s_cbranch_execz .LBB40_676
.LBB40_675:
	v_and_b32_e32 v2, 7, v7
	v_ffbh_u32_e32 v10, v2
	v_min_u32_e32 v10, 32, v10
	v_lshrrev_b16_e32 v6, 3, v7
	v_subrev_u32_e32 v11, 28, v10
	v_and_b32_e32 v6, 15, v6
	v_lshlrev_b32_e32 v11, v11, v7
	v_sub_u32_e32 v10, 29, v10
	v_and_b32_e32 v11, 7, v11
	v_cmp_eq_u16_e32 vcc, 0, v6
	v_cndmask_b32_e32 v2, v2, v11, vcc
	v_cndmask_b32_e32 v6, v6, v10, vcc
	v_lshlrev_b32_e32 v10, 24, v7
	v_mov_b32_e32 v11, 0x3b800000
	v_lshlrev_b32_e32 v2, 20, v2
	v_and_b32_e32 v10, 0x80000000, v10
	v_lshl_add_u32 v6, v6, 23, v11
	v_or3_b32 v2, v10, v6, v2
.LBB40_676:
	s_or_b64 exec, exec, s[6:7]
	s_movk_i32 s4, 0x7f
	v_cmp_gt_i16_sdwa s[6:7], v3, s4 src0_sel:BYTE_0 src1_sel:DWORD
	s_mov_b64 s[4:5], 0
                                        ; implicit-def: $sgpr10
	s_and_saveexec_b64 s[8:9], s[6:7]
	s_xor_b64 s[6:7], exec, s[8:9]
	s_cbranch_execnz .LBB40_2725
; %bb.677:
	s_or_saveexec_b64 s[6:7], s[6:7]
	v_mov_b32_e32 v6, s10
	s_xor_b64 exec, exec, s[6:7]
	s_cbranch_execnz .LBB40_2728
.LBB40_678:
	s_or_b64 exec, exec, s[6:7]
	s_and_saveexec_b64 s[6:7], s[4:5]
	s_cbranch_execz .LBB40_680
.LBB40_679:
	v_and_b32_e32 v6, 7, v3
	v_ffbh_u32_e32 v11, v6
	v_min_u32_e32 v11, 32, v11
	v_lshrrev_b16_e32 v10, 3, v3
	v_subrev_u32_e32 v12, 28, v11
	v_and_b32_e32 v10, 15, v10
	v_lshlrev_b32_e32 v12, v12, v3
	v_sub_u32_e32 v11, 29, v11
	v_and_b32_e32 v12, 7, v12
	v_cmp_eq_u16_e32 vcc, 0, v10
	v_cndmask_b32_e32 v6, v6, v12, vcc
	v_cndmask_b32_e32 v10, v10, v11, vcc
	v_lshlrev_b32_e32 v11, 24, v3
	v_mov_b32_e32 v12, 0x3b800000
	v_lshlrev_b32_e32 v6, 20, v6
	v_and_b32_e32 v11, 0x80000000, v11
	v_lshl_add_u32 v10, v10, 23, v12
	v_or3_b32 v6, v11, v10, v6
.LBB40_680:
	s_or_b64 exec, exec, s[6:7]
	s_nop 0
	v_mfma_f32_16x16x4f32 a[0:3], v2, v6, a[0:3]
	v_lshrrev_b32_e32 v6, 8, v7
	s_movk_i32 s4, 0x7f
	v_cmp_gt_i16_sdwa s[6:7], v6, s4 src0_sel:BYTE_0 src1_sel:DWORD
	s_mov_b64 s[4:5], 0
                                        ; implicit-def: $sgpr10
	s_and_saveexec_b64 s[8:9], s[6:7]
	s_xor_b64 s[6:7], exec, s[8:9]
	s_cbranch_execnz .LBB40_2729
; %bb.681:
	s_or_saveexec_b64 s[6:7], s[6:7]
	v_mov_b32_e32 v2, s10
	s_xor_b64 exec, exec, s[6:7]
	s_cbranch_execnz .LBB40_2732
.LBB40_682:
	s_or_b64 exec, exec, s[6:7]
	s_and_saveexec_b64 s[6:7], s[4:5]
	s_cbranch_execz .LBB40_684
.LBB40_683:
	v_bfe_u32 v2, v7, 8, 3
	v_ffbh_u32_e32 v11, v2
	v_min_u32_e32 v11, 32, v11
	v_lshrrev_b16_e32 v10, 3, v6
	v_subrev_u32_e32 v12, 28, v11
	v_and_b32_e32 v10, 15, v10
	v_lshlrev_b32_e32 v6, v12, v6
	v_sub_u32_e32 v11, 29, v11
	v_and_b32_e32 v6, 7, v6
	v_cmp_eq_u16_e32 vcc, 0, v10
	v_cndmask_b32_e32 v2, v2, v6, vcc
	v_cndmask_b32_e32 v6, v10, v11, vcc
	v_lshlrev_b32_e32 v10, 16, v7
	v_mov_b32_e32 v11, 0x3b800000
	v_lshlrev_b32_e32 v2, 20, v2
	v_and_b32_e32 v10, 0x80000000, v10
	v_lshl_add_u32 v6, v6, 23, v11
	v_or3_b32 v2, v10, v6, v2
.LBB40_684:
	s_or_b64 exec, exec, s[6:7]
	v_lshrrev_b32_e32 v6, 8, v3
	s_movk_i32 s4, 0x7f
	v_cmp_gt_i16_sdwa s[6:7], v6, s4 src0_sel:BYTE_0 src1_sel:DWORD
	s_mov_b64 s[4:5], 0
                                        ; implicit-def: $sgpr10
	s_and_saveexec_b64 s[8:9], s[6:7]
	s_xor_b64 s[6:7], exec, s[8:9]
	s_cbranch_execnz .LBB40_2733
; %bb.685:
	s_or_saveexec_b64 s[6:7], s[6:7]
	v_mov_b32_e32 v10, s10
	s_xor_b64 exec, exec, s[6:7]
	s_cbranch_execnz .LBB40_2736
.LBB40_686:
	s_or_b64 exec, exec, s[6:7]
	s_and_saveexec_b64 s[6:7], s[4:5]
	s_cbranch_execz .LBB40_688
.LBB40_687:
	v_bfe_u32 v10, v3, 8, 3
	v_ffbh_u32_e32 v12, v10
	v_min_u32_e32 v12, 32, v12
	v_lshrrev_b16_e32 v11, 3, v6
	v_subrev_u32_e32 v13, 28, v12
	v_and_b32_e32 v11, 15, v11
	v_lshlrev_b32_e32 v6, v13, v6
	v_sub_u32_e32 v12, 29, v12
	v_and_b32_e32 v6, 7, v6
	v_cmp_eq_u16_e32 vcc, 0, v11
	v_cndmask_b32_e32 v6, v10, v6, vcc
	v_cndmask_b32_e32 v10, v11, v12, vcc
	v_lshlrev_b32_e32 v11, 16, v3
	v_mov_b32_e32 v12, 0x3b800000
	v_lshlrev_b32_e32 v6, 20, v6
	v_and_b32_e32 v11, 0x80000000, v11
	v_lshl_add_u32 v10, v10, 23, v12
	v_or3_b32 v10, v11, v10, v6
.LBB40_688:
	s_or_b64 exec, exec, s[6:7]
	s_nop 0
	v_mfma_f32_16x16x4f32 a[0:3], v2, v10, a[0:3]
	s_movk_i32 s4, 0xff
	v_and_b32_sdwa v6, v7, s4 dst_sel:DWORD dst_unused:UNUSED_PAD src0_sel:WORD_1 src1_sel:DWORD
	s_movk_i32 s4, 0x7f
	v_cmp_lt_i16_e32 vcc, s4, v6
	s_mov_b64 s[4:5], 0
                                        ; implicit-def: $sgpr10
	s_and_saveexec_b64 s[6:7], vcc
	s_xor_b64 s[6:7], exec, s[6:7]
	s_cbranch_execnz .LBB40_2737
; %bb.689:
	s_or_saveexec_b64 s[6:7], s[6:7]
	v_mov_b32_e32 v2, s10
	s_xor_b64 exec, exec, s[6:7]
	s_cbranch_execnz .LBB40_2740
.LBB40_690:
	s_or_b64 exec, exec, s[6:7]
	s_and_saveexec_b64 s[6:7], s[4:5]
	s_cbranch_execz .LBB40_692
.LBB40_691:
	v_bfe_u32 v2, v7, 16, 3
	v_ffbh_u32_e32 v11, v2
	v_min_u32_e32 v11, 32, v11
	v_lshrrev_b32_e32 v6, 19, v7
	v_subrev_u32_e32 v12, 28, v11
	v_and_b32_e32 v6, 15, v6
	v_lshlrev_b32_sdwa v12, v12, v7 dst_sel:DWORD dst_unused:UNUSED_PAD src0_sel:DWORD src1_sel:WORD_1
	v_bfe_u32 v10, v7, 19, 4
	v_sub_u32_e32 v11, 29, v11
	v_and_b32_e32 v12, 7, v12
	v_cmp_eq_u16_e32 vcc, 0, v6
	v_cndmask_b32_e32 v2, v2, v12, vcc
	v_cndmask_b32_e32 v6, v10, v11, vcc
	v_lshlrev_b32_e32 v10, 8, v7
	v_mov_b32_e32 v11, 0x3b800000
	v_lshlrev_b32_e32 v2, 20, v2
	v_and_b32_e32 v10, 0x80000000, v10
	v_lshl_add_u32 v6, v6, 23, v11
	v_or3_b32 v2, v10, v6, v2
.LBB40_692:
	s_or_b64 exec, exec, s[6:7]
	s_movk_i32 s4, 0xff
	v_and_b32_sdwa v6, v3, s4 dst_sel:DWORD dst_unused:UNUSED_PAD src0_sel:WORD_1 src1_sel:DWORD
	s_movk_i32 s4, 0x7f
	v_cmp_lt_i16_e32 vcc, s4, v6
	s_mov_b64 s[4:5], 0
                                        ; implicit-def: $sgpr10
	s_and_saveexec_b64 s[6:7], vcc
	s_xor_b64 s[6:7], exec, s[6:7]
	s_cbranch_execnz .LBB40_2741
; %bb.693:
	s_or_saveexec_b64 s[6:7], s[6:7]
	v_mov_b32_e32 v10, s10
	s_xor_b64 exec, exec, s[6:7]
	s_cbranch_execnz .LBB40_2744
.LBB40_694:
	s_or_b64 exec, exec, s[6:7]
	s_and_saveexec_b64 s[6:7], s[4:5]
	s_cbranch_execz .LBB40_696
.LBB40_695:
	v_bfe_u32 v6, v3, 16, 3
	v_ffbh_u32_e32 v12, v6
	v_min_u32_e32 v12, 32, v12
	v_lshrrev_b32_e32 v10, 19, v3
	v_subrev_u32_e32 v13, 28, v12
	v_and_b32_e32 v10, 15, v10
	v_lshlrev_b32_sdwa v13, v13, v3 dst_sel:DWORD dst_unused:UNUSED_PAD src0_sel:DWORD src1_sel:WORD_1
	v_bfe_u32 v11, v3, 19, 4
	v_sub_u32_e32 v12, 29, v12
	v_and_b32_e32 v13, 7, v13
	v_cmp_eq_u16_e32 vcc, 0, v10
	v_cndmask_b32_e32 v6, v6, v13, vcc
	v_cndmask_b32_e32 v10, v11, v12, vcc
	v_lshlrev_b32_e32 v11, 8, v3
	v_mov_b32_e32 v12, 0x3b800000
	v_lshlrev_b32_e32 v6, 20, v6
	v_and_b32_e32 v11, 0x80000000, v11
	v_lshl_add_u32 v10, v10, 23, v12
	v_or3_b32 v10, v11, v10, v6
.LBB40_696:
	s_or_b64 exec, exec, s[6:7]
	s_nop 0
	v_mfma_f32_16x16x4f32 a[0:3], v2, v10, a[0:3]
	s_movk_i32 s4, 0x7f
	v_cmp_gt_i16_sdwa s[6:7], v7, s4 src0_sel:BYTE_3 src1_sel:DWORD
	s_mov_b64 s[4:5], 0
                                        ; implicit-def: $sgpr10
	s_and_saveexec_b64 s[8:9], s[6:7]
	s_xor_b64 s[6:7], exec, s[8:9]
	s_cbranch_execnz .LBB40_2745
; %bb.697:
	s_or_saveexec_b64 s[6:7], s[6:7]
	v_mov_b32_e32 v2, s10
	s_xor_b64 exec, exec, s[6:7]
	s_cbranch_execnz .LBB40_2748
.LBB40_698:
	s_or_b64 exec, exec, s[6:7]
	s_and_saveexec_b64 s[6:7], s[4:5]
	s_cbranch_execz .LBB40_700
.LBB40_699:
	v_bfe_u32 v2, v7, 24, 3
	v_ffbh_u32_e32 v12, v2
	v_min_u32_e32 v12, 32, v12
	v_lshrrev_b32_e32 v10, 27, v7
	v_subrev_u32_e32 v13, 28, v12
	v_and_b32_e32 v6, 0x80000000, v7
	v_and_b32_e32 v10, 15, v10
	v_bfe_u32 v11, v7, 27, 4
	v_lshlrev_b32_sdwa v7, v13, v7 dst_sel:DWORD dst_unused:UNUSED_PAD src0_sel:DWORD src1_sel:BYTE_3
	v_sub_u32_e32 v12, 29, v12
	v_and_b32_e32 v7, 7, v7
	v_cmp_eq_u16_e32 vcc, 0, v10
	v_cndmask_b32_e32 v2, v2, v7, vcc
	v_cndmask_b32_e32 v7, v11, v12, vcc
	v_mov_b32_e32 v10, 0x3b800000
	v_lshlrev_b32_e32 v2, 20, v2
	v_lshl_add_u32 v7, v7, 23, v10
	v_or3_b32 v2, v6, v7, v2
.LBB40_700:
	s_or_b64 exec, exec, s[6:7]
	s_movk_i32 s4, 0x7f
	v_cmp_gt_i16_sdwa s[6:7], v3, s4 src0_sel:BYTE_3 src1_sel:DWORD
	s_mov_b64 s[4:5], 0
                                        ; implicit-def: $sgpr10
	s_and_saveexec_b64 s[8:9], s[6:7]
	s_xor_b64 s[6:7], exec, s[8:9]
	s_cbranch_execnz .LBB40_2749
; %bb.701:
	s_or_saveexec_b64 s[6:7], s[6:7]
	v_mov_b32_e32 v6, s10
	s_xor_b64 exec, exec, s[6:7]
	s_cbranch_execnz .LBB40_2752
.LBB40_702:
	s_or_b64 exec, exec, s[6:7]
	s_and_saveexec_b64 s[6:7], s[4:5]
	s_cbranch_execz .LBB40_704
.LBB40_703:
	v_bfe_u32 v6, v3, 24, 3
	v_ffbh_u32_e32 v12, v6
	v_min_u32_e32 v12, 32, v12
	v_lshrrev_b32_e32 v10, 27, v3
	v_subrev_u32_e32 v13, 28, v12
	v_and_b32_e32 v7, 0x80000000, v3
	v_and_b32_e32 v10, 15, v10
	v_bfe_u32 v11, v3, 27, 4
	v_lshlrev_b32_sdwa v3, v13, v3 dst_sel:DWORD dst_unused:UNUSED_PAD src0_sel:DWORD src1_sel:BYTE_3
	v_sub_u32_e32 v12, 29, v12
	v_and_b32_e32 v3, 7, v3
	v_cmp_eq_u16_e32 vcc, 0, v10
	v_cndmask_b32_e32 v3, v6, v3, vcc
	v_cndmask_b32_e32 v6, v11, v12, vcc
	v_mov_b32_e32 v10, 0x3b800000
	v_lshlrev_b32_e32 v3, 20, v3
	v_lshl_add_u32 v6, v6, 23, v10
	v_or3_b32 v6, v7, v6, v3
.LBB40_704:
	s_or_b64 exec, exec, s[6:7]
	s_nop 0
	v_mfma_f32_16x16x4f32 a[0:3], v2, v6, a[0:3]
	s_movk_i32 s4, 0x7f
	v_cmp_gt_i16_sdwa s[6:7], v8, s4 src0_sel:BYTE_0 src1_sel:DWORD
	s_mov_b64 s[4:5], 0
                                        ; implicit-def: $sgpr10
	s_and_saveexec_b64 s[8:9], s[6:7]
	s_xor_b64 s[6:7], exec, s[8:9]
	s_cbranch_execnz .LBB40_2753
; %bb.705:
	s_or_saveexec_b64 s[6:7], s[6:7]
	v_mov_b32_e32 v2, s10
	s_xor_b64 exec, exec, s[6:7]
	s_cbranch_execnz .LBB40_2756
.LBB40_706:
	s_or_b64 exec, exec, s[6:7]
	s_and_saveexec_b64 s[6:7], s[4:5]
	s_cbranch_execz .LBB40_708
.LBB40_707:
	v_and_b32_e32 v2, 7, v8
	v_ffbh_u32_e32 v6, v2
	v_min_u32_e32 v6, 32, v6
	v_lshrrev_b16_e32 v3, 3, v8
	v_subrev_u32_e32 v7, 28, v6
	v_and_b32_e32 v3, 15, v3
	v_lshlrev_b32_e32 v7, v7, v8
	v_sub_u32_e32 v6, 29, v6
	v_and_b32_e32 v7, 7, v7
	v_cmp_eq_u16_e32 vcc, 0, v3
	v_cndmask_b32_e32 v2, v2, v7, vcc
	v_cndmask_b32_e32 v3, v3, v6, vcc
	v_lshlrev_b32_e32 v6, 24, v8
	v_mov_b32_e32 v7, 0x3b800000
	v_lshlrev_b32_e32 v2, 20, v2
	v_and_b32_e32 v6, 0x80000000, v6
	v_lshl_add_u32 v3, v3, 23, v7
	v_or3_b32 v2, v6, v3, v2
.LBB40_708:
	s_or_b64 exec, exec, s[6:7]
	s_movk_i32 s4, 0x7f
	v_cmp_gt_i16_sdwa s[6:7], v4, s4 src0_sel:BYTE_0 src1_sel:DWORD
	s_mov_b64 s[4:5], 0
                                        ; implicit-def: $sgpr10
	s_and_saveexec_b64 s[8:9], s[6:7]
	s_xor_b64 s[6:7], exec, s[8:9]
	s_cbranch_execnz .LBB40_2757
; %bb.709:
	s_or_saveexec_b64 s[6:7], s[6:7]
	v_mov_b32_e32 v3, s10
	s_xor_b64 exec, exec, s[6:7]
	s_cbranch_execnz .LBB40_2760
.LBB40_710:
	s_or_b64 exec, exec, s[6:7]
	s_and_saveexec_b64 s[6:7], s[4:5]
	s_cbranch_execz .LBB40_712
.LBB40_711:
	v_and_b32_e32 v3, 7, v4
	v_ffbh_u32_e32 v7, v3
	v_min_u32_e32 v7, 32, v7
	v_lshrrev_b16_e32 v6, 3, v4
	v_subrev_u32_e32 v10, 28, v7
	v_and_b32_e32 v6, 15, v6
	v_lshlrev_b32_e32 v10, v10, v4
	v_sub_u32_e32 v7, 29, v7
	v_and_b32_e32 v10, 7, v10
	v_cmp_eq_u16_e32 vcc, 0, v6
	v_cndmask_b32_e32 v3, v3, v10, vcc
	v_cndmask_b32_e32 v6, v6, v7, vcc
	v_lshlrev_b32_e32 v7, 24, v4
	v_mov_b32_e32 v10, 0x3b800000
	v_lshlrev_b32_e32 v3, 20, v3
	v_and_b32_e32 v7, 0x80000000, v7
	v_lshl_add_u32 v6, v6, 23, v10
	v_or3_b32 v3, v7, v6, v3
.LBB40_712:
	s_or_b64 exec, exec, s[6:7]
	s_nop 0
	v_mfma_f32_16x16x4f32 a[0:3], v2, v3, a[0:3]
	v_lshrrev_b32_e32 v3, 8, v8
	s_movk_i32 s4, 0x7f
	v_cmp_gt_i16_sdwa s[6:7], v3, s4 src0_sel:BYTE_0 src1_sel:DWORD
	s_mov_b64 s[4:5], 0
                                        ; implicit-def: $sgpr10
	s_and_saveexec_b64 s[8:9], s[6:7]
	s_xor_b64 s[6:7], exec, s[8:9]
	s_cbranch_execnz .LBB40_2761
; %bb.713:
	s_or_saveexec_b64 s[6:7], s[6:7]
	v_mov_b32_e32 v2, s10
	s_xor_b64 exec, exec, s[6:7]
	s_cbranch_execnz .LBB40_2764
.LBB40_714:
	s_or_b64 exec, exec, s[6:7]
	s_and_saveexec_b64 s[6:7], s[4:5]
	s_cbranch_execz .LBB40_716
.LBB40_715:
	v_bfe_u32 v2, v8, 8, 3
	v_ffbh_u32_e32 v7, v2
	v_min_u32_e32 v7, 32, v7
	v_lshrrev_b16_e32 v6, 3, v3
	v_subrev_u32_e32 v10, 28, v7
	v_and_b32_e32 v6, 15, v6
	v_lshlrev_b32_e32 v3, v10, v3
	v_sub_u32_e32 v7, 29, v7
	v_and_b32_e32 v3, 7, v3
	v_cmp_eq_u16_e32 vcc, 0, v6
	v_cndmask_b32_e32 v2, v2, v3, vcc
	v_cndmask_b32_e32 v3, v6, v7, vcc
	v_lshlrev_b32_e32 v6, 16, v8
	v_mov_b32_e32 v7, 0x3b800000
	v_lshlrev_b32_e32 v2, 20, v2
	v_and_b32_e32 v6, 0x80000000, v6
	v_lshl_add_u32 v3, v3, 23, v7
	v_or3_b32 v2, v6, v3, v2
.LBB40_716:
	s_or_b64 exec, exec, s[6:7]
	v_lshrrev_b32_e32 v3, 8, v4
	s_movk_i32 s4, 0x7f
	v_cmp_gt_i16_sdwa s[6:7], v3, s4 src0_sel:BYTE_0 src1_sel:DWORD
	s_mov_b64 s[4:5], 0
                                        ; implicit-def: $sgpr10
	s_and_saveexec_b64 s[8:9], s[6:7]
	s_xor_b64 s[6:7], exec, s[8:9]
	s_cbranch_execnz .LBB40_2765
; %bb.717:
	s_or_saveexec_b64 s[6:7], s[6:7]
	v_mov_b32_e32 v6, s10
	s_xor_b64 exec, exec, s[6:7]
	s_cbranch_execnz .LBB40_2768
.LBB40_718:
	s_or_b64 exec, exec, s[6:7]
	s_and_saveexec_b64 s[6:7], s[4:5]
	s_cbranch_execz .LBB40_720
.LBB40_719:
	v_bfe_u32 v6, v4, 8, 3
	v_ffbh_u32_e32 v10, v6
	v_min_u32_e32 v10, 32, v10
	v_lshrrev_b16_e32 v7, 3, v3
	v_subrev_u32_e32 v11, 28, v10
	v_and_b32_e32 v7, 15, v7
	v_lshlrev_b32_e32 v3, v11, v3
	v_sub_u32_e32 v10, 29, v10
	v_and_b32_e32 v3, 7, v3
	v_cmp_eq_u16_e32 vcc, 0, v7
	v_cndmask_b32_e32 v3, v6, v3, vcc
	v_cndmask_b32_e32 v6, v7, v10, vcc
	v_lshlrev_b32_e32 v7, 16, v4
	v_mov_b32_e32 v10, 0x3b800000
	v_lshlrev_b32_e32 v3, 20, v3
	v_and_b32_e32 v7, 0x80000000, v7
	v_lshl_add_u32 v6, v6, 23, v10
	v_or3_b32 v6, v7, v6, v3
.LBB40_720:
	s_or_b64 exec, exec, s[6:7]
	s_nop 0
	v_mfma_f32_16x16x4f32 a[0:3], v2, v6, a[0:3]
	s_movk_i32 s4, 0xff
	v_and_b32_sdwa v3, v8, s4 dst_sel:DWORD dst_unused:UNUSED_PAD src0_sel:WORD_1 src1_sel:DWORD
	s_movk_i32 s4, 0x7f
	v_cmp_lt_i16_e32 vcc, s4, v3
	s_mov_b64 s[4:5], 0
                                        ; implicit-def: $sgpr10
	s_and_saveexec_b64 s[6:7], vcc
	s_xor_b64 s[6:7], exec, s[6:7]
	s_cbranch_execnz .LBB40_2769
; %bb.721:
	s_or_saveexec_b64 s[6:7], s[6:7]
	v_mov_b32_e32 v2, s10
	s_xor_b64 exec, exec, s[6:7]
	s_cbranch_execnz .LBB40_2772
.LBB40_722:
	s_or_b64 exec, exec, s[6:7]
	s_and_saveexec_b64 s[6:7], s[4:5]
	s_cbranch_execz .LBB40_724
.LBB40_723:
	v_bfe_u32 v2, v8, 16, 3
	v_ffbh_u32_e32 v7, v2
	v_min_u32_e32 v7, 32, v7
	v_lshrrev_b32_e32 v3, 19, v8
	v_subrev_u32_e32 v10, 28, v7
	v_and_b32_e32 v3, 15, v3
	v_lshlrev_b32_sdwa v10, v10, v8 dst_sel:DWORD dst_unused:UNUSED_PAD src0_sel:DWORD src1_sel:WORD_1
	v_bfe_u32 v6, v8, 19, 4
	v_sub_u32_e32 v7, 29, v7
	v_and_b32_e32 v10, 7, v10
	v_cmp_eq_u16_e32 vcc, 0, v3
	v_cndmask_b32_e32 v2, v2, v10, vcc
	v_cndmask_b32_e32 v3, v6, v7, vcc
	v_lshlrev_b32_e32 v6, 8, v8
	v_mov_b32_e32 v7, 0x3b800000
	v_lshlrev_b32_e32 v2, 20, v2
	v_and_b32_e32 v6, 0x80000000, v6
	v_lshl_add_u32 v3, v3, 23, v7
	v_or3_b32 v2, v6, v3, v2
.LBB40_724:
	s_or_b64 exec, exec, s[6:7]
	s_movk_i32 s4, 0xff
	v_and_b32_sdwa v3, v4, s4 dst_sel:DWORD dst_unused:UNUSED_PAD src0_sel:WORD_1 src1_sel:DWORD
	s_movk_i32 s4, 0x7f
	v_cmp_lt_i16_e32 vcc, s4, v3
	s_mov_b64 s[4:5], 0
                                        ; implicit-def: $sgpr10
	s_and_saveexec_b64 s[6:7], vcc
	s_xor_b64 s[6:7], exec, s[6:7]
	s_cbranch_execnz .LBB40_2773
; %bb.725:
	s_or_saveexec_b64 s[6:7], s[6:7]
	v_mov_b32_e32 v6, s10
	s_xor_b64 exec, exec, s[6:7]
	s_cbranch_execnz .LBB40_2776
.LBB40_726:
	s_or_b64 exec, exec, s[6:7]
	s_and_saveexec_b64 s[6:7], s[4:5]
	s_cbranch_execz .LBB40_728
.LBB40_727:
	v_bfe_u32 v3, v4, 16, 3
	v_ffbh_u32_e32 v10, v3
	v_min_u32_e32 v10, 32, v10
	v_lshrrev_b32_e32 v6, 19, v4
	v_subrev_u32_e32 v11, 28, v10
	v_and_b32_e32 v6, 15, v6
	v_lshlrev_b32_sdwa v11, v11, v4 dst_sel:DWORD dst_unused:UNUSED_PAD src0_sel:DWORD src1_sel:WORD_1
	v_bfe_u32 v7, v4, 19, 4
	v_sub_u32_e32 v10, 29, v10
	v_and_b32_e32 v11, 7, v11
	v_cmp_eq_u16_e32 vcc, 0, v6
	v_cndmask_b32_e32 v3, v3, v11, vcc
	v_cndmask_b32_e32 v6, v7, v10, vcc
	v_lshlrev_b32_e32 v7, 8, v4
	v_mov_b32_e32 v10, 0x3b800000
	v_lshlrev_b32_e32 v3, 20, v3
	v_and_b32_e32 v7, 0x80000000, v7
	v_lshl_add_u32 v6, v6, 23, v10
	v_or3_b32 v6, v7, v6, v3
.LBB40_728:
	s_or_b64 exec, exec, s[6:7]
	s_nop 0
	v_mfma_f32_16x16x4f32 a[0:3], v2, v6, a[0:3]
	s_movk_i32 s4, 0x7f
	v_cmp_gt_i16_sdwa s[6:7], v8, s4 src0_sel:BYTE_3 src1_sel:DWORD
	s_mov_b64 s[4:5], 0
                                        ; implicit-def: $sgpr10
	s_and_saveexec_b64 s[8:9], s[6:7]
	s_xor_b64 s[6:7], exec, s[8:9]
	s_cbranch_execnz .LBB40_2777
; %bb.729:
	s_or_saveexec_b64 s[6:7], s[6:7]
	v_mov_b32_e32 v2, s10
	s_xor_b64 exec, exec, s[6:7]
	s_cbranch_execnz .LBB40_2780
.LBB40_730:
	s_or_b64 exec, exec, s[6:7]
	s_and_saveexec_b64 s[6:7], s[4:5]
	s_cbranch_execz .LBB40_732
.LBB40_731:
	v_bfe_u32 v2, v8, 24, 3
	v_ffbh_u32_e32 v10, v2
	v_min_u32_e32 v10, 32, v10
	v_lshrrev_b32_e32 v6, 27, v8
	v_subrev_u32_e32 v11, 28, v10
	v_and_b32_e32 v3, 0x80000000, v8
	v_and_b32_e32 v6, 15, v6
	v_bfe_u32 v7, v8, 27, 4
	v_lshlrev_b32_sdwa v8, v11, v8 dst_sel:DWORD dst_unused:UNUSED_PAD src0_sel:DWORD src1_sel:BYTE_3
	v_sub_u32_e32 v10, 29, v10
	v_and_b32_e32 v8, 7, v8
	v_cmp_eq_u16_e32 vcc, 0, v6
	v_cndmask_b32_e32 v2, v2, v8, vcc
	v_cndmask_b32_e32 v6, v7, v10, vcc
	v_mov_b32_e32 v7, 0x3b800000
	v_lshlrev_b32_e32 v2, 20, v2
	v_lshl_add_u32 v6, v6, 23, v7
	v_or3_b32 v2, v3, v6, v2
.LBB40_732:
	s_or_b64 exec, exec, s[6:7]
	s_movk_i32 s4, 0x7f
	v_cmp_gt_i16_sdwa s[6:7], v4, s4 src0_sel:BYTE_3 src1_sel:DWORD
	s_mov_b64 s[4:5], 0
                                        ; implicit-def: $sgpr10
	s_and_saveexec_b64 s[8:9], s[6:7]
	s_xor_b64 s[6:7], exec, s[8:9]
	s_cbranch_execnz .LBB40_2781
; %bb.733:
	s_or_saveexec_b64 s[6:7], s[6:7]
	v_mov_b32_e32 v3, s10
	s_xor_b64 exec, exec, s[6:7]
	s_cbranch_execnz .LBB40_2784
.LBB40_734:
	s_or_b64 exec, exec, s[6:7]
	s_and_saveexec_b64 s[6:7], s[4:5]
	s_cbranch_execz .LBB40_736
.LBB40_735:
	v_bfe_u32 v3, v4, 24, 3
	v_ffbh_u32_e32 v10, v3
	v_min_u32_e32 v10, 32, v10
	v_lshrrev_b32_e32 v7, 27, v4
	v_subrev_u32_e32 v11, 28, v10
	v_and_b32_e32 v6, 0x80000000, v4
	v_and_b32_e32 v7, 15, v7
	v_bfe_u32 v8, v4, 27, 4
	v_lshlrev_b32_sdwa v4, v11, v4 dst_sel:DWORD dst_unused:UNUSED_PAD src0_sel:DWORD src1_sel:BYTE_3
	v_sub_u32_e32 v10, 29, v10
	v_and_b32_e32 v4, 7, v4
	v_cmp_eq_u16_e32 vcc, 0, v7
	v_cndmask_b32_e32 v3, v3, v4, vcc
	v_cndmask_b32_e32 v4, v8, v10, vcc
	v_mov_b32_e32 v7, 0x3b800000
	v_lshlrev_b32_e32 v3, 20, v3
	v_lshl_add_u32 v4, v4, 23, v7
	v_or3_b32 v3, v6, v4, v3
.LBB40_736:
	s_or_b64 exec, exec, s[6:7]
	s_nop 0
	v_mfma_f32_16x16x4f32 a[0:3], v2, v3, a[0:3]
	s_movk_i32 s4, 0x7f
	v_cmp_gt_i16_sdwa s[6:7], v9, s4 src0_sel:BYTE_0 src1_sel:DWORD
	s_mov_b64 s[4:5], 0
                                        ; implicit-def: $sgpr10
	s_and_saveexec_b64 s[8:9], s[6:7]
	s_xor_b64 s[6:7], exec, s[8:9]
	s_cbranch_execnz .LBB40_2785
; %bb.737:
	s_or_saveexec_b64 s[6:7], s[6:7]
	v_mov_b32_e32 v2, s10
	s_xor_b64 exec, exec, s[6:7]
	s_cbranch_execnz .LBB40_2788
.LBB40_738:
	s_or_b64 exec, exec, s[6:7]
	s_and_saveexec_b64 s[6:7], s[4:5]
	s_cbranch_execz .LBB40_740
.LBB40_739:
	v_mov_b32_e32 v2, 8
	v_and_b32_e32 v3, 7, v9
	v_lshrrev_b32_sdwa v2, v2, v9 dst_sel:BYTE_1 dst_unused:UNUSED_PAD src0_sel:DWORD src1_sel:DWORD
	v_ffbh_u32_e32 v4, v3
	v_or_b32_sdwa v2, v9, v2 dst_sel:DWORD dst_unused:UNUSED_PAD src0_sel:BYTE_0 src1_sel:DWORD
	v_min_u32_e32 v4, 32, v4
	v_lshrrev_b16_e32 v2, 3, v2
	v_subrev_u32_e32 v6, 28, v4
	v_and_b32_e32 v2, 15, v2
	v_lshlrev_b32_e32 v6, v6, v9
	v_sub_u32_e32 v4, 29, v4
	v_and_b32_e32 v6, 7, v6
	v_cmp_eq_u16_e32 vcc, 0, v2
	v_cndmask_b32_e32 v3, v3, v6, vcc
	v_cndmask_b32_e32 v2, v2, v4, vcc
	v_lshlrev_b32_e32 v4, 24, v9
	v_mov_b32_e32 v6, 0x3b800000
	v_lshlrev_b32_e32 v3, 20, v3
	v_and_b32_e32 v4, 0x80000000, v4
	v_lshl_add_u32 v2, v2, 23, v6
	v_or3_b32 v2, v4, v2, v3
.LBB40_740:
	s_or_b64 exec, exec, s[6:7]
	s_movk_i32 s4, 0x7f
	v_cmp_gt_i16_sdwa s[6:7], v5, s4 src0_sel:BYTE_0 src1_sel:DWORD
	s_mov_b64 s[4:5], 0
                                        ; implicit-def: $sgpr10
	s_and_saveexec_b64 s[8:9], s[6:7]
	s_xor_b64 s[6:7], exec, s[8:9]
	s_cbranch_execnz .LBB40_2789
; %bb.741:
	s_or_saveexec_b64 s[6:7], s[6:7]
	v_mov_b32_e32 v3, s10
	s_xor_b64 exec, exec, s[6:7]
	s_cbranch_execnz .LBB40_2792
.LBB40_742:
	s_or_b64 exec, exec, s[6:7]
	s_and_saveexec_b64 s[6:7], s[4:5]
	s_cbranch_execz .LBB40_744
.LBB40_743:
	v_mov_b32_e32 v3, 8
	v_and_b32_e32 v4, 7, v5
	v_lshrrev_b32_sdwa v3, v3, v5 dst_sel:BYTE_1 dst_unused:UNUSED_PAD src0_sel:DWORD src1_sel:DWORD
	v_ffbh_u32_e32 v6, v4
	v_or_b32_sdwa v3, v5, v3 dst_sel:DWORD dst_unused:UNUSED_PAD src0_sel:BYTE_0 src1_sel:DWORD
	v_min_u32_e32 v6, 32, v6
	v_lshrrev_b16_e32 v3, 3, v3
	v_subrev_u32_e32 v7, 28, v6
	v_and_b32_e32 v3, 15, v3
	v_lshlrev_b32_e32 v7, v7, v5
	v_sub_u32_e32 v6, 29, v6
	v_and_b32_e32 v7, 7, v7
	v_cmp_eq_u16_e32 vcc, 0, v3
	v_cndmask_b32_e32 v4, v4, v7, vcc
	v_cndmask_b32_e32 v3, v3, v6, vcc
	v_lshlrev_b32_e32 v6, 24, v5
	v_mov_b32_e32 v7, 0x3b800000
	v_lshlrev_b32_e32 v4, 20, v4
	v_and_b32_e32 v6, 0x80000000, v6
	v_lshl_add_u32 v3, v3, 23, v7
	v_or3_b32 v3, v6, v3, v4
.LBB40_744:
	s_or_b64 exec, exec, s[6:7]
	s_nop 0
	v_mfma_f32_16x16x4f32 a[0:3], v2, v3, a[0:3]
	v_lshrrev_b32_e32 v3, 8, v9
	s_movk_i32 s4, 0x7f
	v_cmp_gt_i16_sdwa s[6:7], v3, s4 src0_sel:BYTE_0 src1_sel:DWORD
	s_mov_b64 s[4:5], 0
                                        ; implicit-def: $sgpr10
	s_and_saveexec_b64 s[8:9], s[6:7]
	s_xor_b64 s[6:7], exec, s[8:9]
	s_cbranch_execnz .LBB40_2793
; %bb.745:
	s_or_saveexec_b64 s[6:7], s[6:7]
	v_mov_b32_e32 v2, s10
	s_xor_b64 exec, exec, s[6:7]
	s_cbranch_execnz .LBB40_2796
.LBB40_746:
	s_or_b64 exec, exec, s[6:7]
	s_and_saveexec_b64 s[6:7], s[4:5]
	s_cbranch_execz .LBB40_748
.LBB40_747:
	v_bfe_u32 v2, v9, 8, 3
	v_ffbh_u32_e32 v6, v2
	v_min_u32_e32 v6, 32, v6
	v_lshrrev_b16_e32 v4, 3, v3
	v_subrev_u32_e32 v7, 28, v6
	v_and_b32_e32 v4, 15, v4
	v_lshlrev_b32_e32 v3, v7, v3
	v_sub_u32_e32 v6, 29, v6
	v_and_b32_e32 v3, 7, v3
	v_cmp_eq_u16_e32 vcc, 0, v4
	v_cndmask_b32_e32 v2, v2, v3, vcc
	v_cndmask_b32_e32 v3, v4, v6, vcc
	v_lshlrev_b32_e32 v4, 16, v9
	v_mov_b32_e32 v6, 0x3b800000
	v_lshlrev_b32_e32 v2, 20, v2
	v_and_b32_e32 v4, 0x80000000, v4
	v_lshl_add_u32 v3, v3, 23, v6
	v_or3_b32 v2, v4, v3, v2
.LBB40_748:
	s_or_b64 exec, exec, s[6:7]
	v_lshrrev_b32_e32 v3, 8, v5
	s_movk_i32 s4, 0x7f
	v_cmp_gt_i16_sdwa s[6:7], v3, s4 src0_sel:BYTE_0 src1_sel:DWORD
	s_mov_b64 s[4:5], 0
                                        ; implicit-def: $sgpr10
	s_and_saveexec_b64 s[8:9], s[6:7]
	s_xor_b64 s[6:7], exec, s[8:9]
	s_cbranch_execnz .LBB40_2797
; %bb.749:
	s_or_saveexec_b64 s[6:7], s[6:7]
	v_mov_b32_e32 v4, s10
	s_xor_b64 exec, exec, s[6:7]
	s_cbranch_execnz .LBB40_2800
.LBB40_750:
	s_or_b64 exec, exec, s[6:7]
	s_and_saveexec_b64 s[6:7], s[4:5]
	s_cbranch_execz .LBB40_752
.LBB40_751:
	v_bfe_u32 v4, v5, 8, 3
	v_ffbh_u32_e32 v7, v4
	v_min_u32_e32 v7, 32, v7
	v_lshrrev_b16_e32 v6, 3, v3
	v_subrev_u32_e32 v8, 28, v7
	v_and_b32_e32 v6, 15, v6
	v_lshlrev_b32_e32 v3, v8, v3
	v_sub_u32_e32 v7, 29, v7
	v_and_b32_e32 v3, 7, v3
	v_cmp_eq_u16_e32 vcc, 0, v6
	v_cndmask_b32_e32 v3, v4, v3, vcc
	v_cndmask_b32_e32 v4, v6, v7, vcc
	v_lshlrev_b32_e32 v6, 16, v5
	v_mov_b32_e32 v7, 0x3b800000
	v_lshlrev_b32_e32 v3, 20, v3
	v_and_b32_e32 v6, 0x80000000, v6
	v_lshl_add_u32 v4, v4, 23, v7
	v_or3_b32 v4, v6, v4, v3
.LBB40_752:
	s_or_b64 exec, exec, s[6:7]
	s_nop 0
	v_mfma_f32_16x16x4f32 a[0:3], v2, v4, a[0:3]
	s_movk_i32 s4, 0xff
	v_and_b32_sdwa v3, v9, s4 dst_sel:DWORD dst_unused:UNUSED_PAD src0_sel:WORD_1 src1_sel:DWORD
	s_movk_i32 s4, 0x7f
	v_cmp_lt_i16_e32 vcc, s4, v3
	s_mov_b64 s[4:5], 0
                                        ; implicit-def: $sgpr10
	s_and_saveexec_b64 s[6:7], vcc
	s_xor_b64 s[6:7], exec, s[6:7]
	s_cbranch_execnz .LBB40_2801
; %bb.753:
	s_or_saveexec_b64 s[6:7], s[6:7]
	v_mov_b32_e32 v2, s10
	s_xor_b64 exec, exec, s[6:7]
	s_cbranch_execnz .LBB40_2804
.LBB40_754:
	s_or_b64 exec, exec, s[6:7]
	s_and_saveexec_b64 s[6:7], s[4:5]
	s_cbranch_execz .LBB40_756
.LBB40_755:
	v_bfe_u32 v2, v9, 16, 3
	v_ffbh_u32_e32 v6, v2
	v_min_u32_e32 v6, 32, v6
	v_lshrrev_b32_e32 v3, 19, v9
	v_subrev_u32_e32 v7, 28, v6
	v_and_b32_e32 v3, 15, v3
	v_lshlrev_b32_sdwa v7, v7, v9 dst_sel:DWORD dst_unused:UNUSED_PAD src0_sel:DWORD src1_sel:WORD_1
	v_bfe_u32 v4, v9, 19, 4
	v_sub_u32_e32 v6, 29, v6
	v_and_b32_e32 v7, 7, v7
	v_cmp_eq_u16_e32 vcc, 0, v3
	v_cndmask_b32_e32 v2, v2, v7, vcc
	v_cndmask_b32_e32 v3, v4, v6, vcc
	v_lshlrev_b32_e32 v4, 8, v9
	v_mov_b32_e32 v6, 0x3b800000
	v_lshlrev_b32_e32 v2, 20, v2
	v_and_b32_e32 v4, 0x80000000, v4
	v_lshl_add_u32 v3, v3, 23, v6
	v_or3_b32 v2, v4, v3, v2
.LBB40_756:
	s_or_b64 exec, exec, s[6:7]
	s_movk_i32 s4, 0xff
	v_and_b32_sdwa v3, v5, s4 dst_sel:DWORD dst_unused:UNUSED_PAD src0_sel:WORD_1 src1_sel:DWORD
	s_movk_i32 s4, 0x7f
	v_cmp_lt_i16_e32 vcc, s4, v3
	s_mov_b64 s[4:5], 0
                                        ; implicit-def: $sgpr10
	s_and_saveexec_b64 s[6:7], vcc
	s_xor_b64 s[6:7], exec, s[6:7]
	s_cbranch_execnz .LBB40_2805
; %bb.757:
	s_or_saveexec_b64 s[6:7], s[6:7]
	v_mov_b32_e32 v4, s10
	s_xor_b64 exec, exec, s[6:7]
	s_cbranch_execnz .LBB40_2808
.LBB40_758:
	s_or_b64 exec, exec, s[6:7]
	s_and_saveexec_b64 s[6:7], s[4:5]
	s_cbranch_execz .LBB40_760
.LBB40_759:
	v_bfe_u32 v3, v5, 16, 3
	v_ffbh_u32_e32 v7, v3
	v_min_u32_e32 v7, 32, v7
	v_lshrrev_b32_e32 v4, 19, v5
	v_subrev_u32_e32 v8, 28, v7
	v_and_b32_e32 v4, 15, v4
	v_lshlrev_b32_sdwa v8, v8, v5 dst_sel:DWORD dst_unused:UNUSED_PAD src0_sel:DWORD src1_sel:WORD_1
	v_bfe_u32 v6, v5, 19, 4
	v_sub_u32_e32 v7, 29, v7
	v_and_b32_e32 v8, 7, v8
	v_cmp_eq_u16_e32 vcc, 0, v4
	v_cndmask_b32_e32 v3, v3, v8, vcc
	v_cndmask_b32_e32 v4, v6, v7, vcc
	v_lshlrev_b32_e32 v6, 8, v5
	v_mov_b32_e32 v7, 0x3b800000
	v_lshlrev_b32_e32 v3, 20, v3
	v_and_b32_e32 v6, 0x80000000, v6
	v_lshl_add_u32 v4, v4, 23, v7
	v_or3_b32 v4, v6, v4, v3
.LBB40_760:
	s_or_b64 exec, exec, s[6:7]
	s_nop 0
	v_mfma_f32_16x16x4f32 a[0:3], v2, v4, a[0:3]
	s_movk_i32 s4, 0x7f
	v_cmp_gt_i16_sdwa s[6:7], v9, s4 src0_sel:BYTE_3 src1_sel:DWORD
	s_mov_b64 s[4:5], 0
                                        ; implicit-def: $sgpr10
	s_and_saveexec_b64 s[8:9], s[6:7]
	s_xor_b64 s[6:7], exec, s[8:9]
	s_cbranch_execnz .LBB40_2809
; %bb.761:
	s_or_saveexec_b64 s[6:7], s[6:7]
	v_mov_b32_e32 v2, s10
	s_xor_b64 exec, exec, s[6:7]
	s_cbranch_execnz .LBB40_2812
.LBB40_762:
	s_or_b64 exec, exec, s[6:7]
	s_and_saveexec_b64 s[6:7], s[4:5]
	s_cbranch_execz .LBB40_764
.LBB40_763:
	v_bfe_u32 v2, v9, 24, 3
	v_ffbh_u32_e32 v7, v2
	v_min_u32_e32 v7, 32, v7
	v_lshrrev_b32_e32 v4, 27, v9
	v_subrev_u32_e32 v8, 28, v7
	v_and_b32_e32 v4, 15, v4
	v_lshlrev_b32_sdwa v8, v8, v9 dst_sel:DWORD dst_unused:UNUSED_PAD src0_sel:DWORD src1_sel:BYTE_3
	v_bfe_u32 v6, v9, 27, 4
	v_sub_u32_e32 v7, 29, v7
	v_and_b32_e32 v8, 7, v8
	v_cmp_eq_u16_e32 vcc, 0, v4
	v_cndmask_b32_e32 v2, v2, v8, vcc
	v_cndmask_b32_e32 v4, v6, v7, vcc
	v_mov_b32_e32 v6, 0x3b800000
	v_and_b32_e32 v3, 0x80000000, v9
	v_lshlrev_b32_e32 v2, 20, v2
	v_lshl_add_u32 v4, v4, 23, v6
	v_or3_b32 v2, v3, v4, v2
.LBB40_764:
	s_or_b64 exec, exec, s[6:7]
	s_movk_i32 s4, 0x7f
	v_cmp_gt_i16_sdwa s[6:7], v5, s4 src0_sel:BYTE_3 src1_sel:DWORD
	s_mov_b64 s[4:5], 0
                                        ; implicit-def: $sgpr10
	s_and_saveexec_b64 s[8:9], s[6:7]
	s_xor_b64 s[6:7], exec, s[8:9]
	s_cbranch_execnz .LBB40_2813
; %bb.765:
	s_or_saveexec_b64 s[6:7], s[6:7]
	v_mov_b32_e32 v3, s10
	s_xor_b64 exec, exec, s[6:7]
	s_cbranch_execnz .LBB40_2816
.LBB40_766:
	s_or_b64 exec, exec, s[6:7]
	s_and_saveexec_b64 s[6:7], s[4:5]
	s_cbranch_execz .LBB40_768
.LBB40_767:
	v_bfe_u32 v3, v5, 24, 3
	v_ffbh_u32_e32 v8, v3
	v_min_u32_e32 v8, 32, v8
	v_lshrrev_b32_e32 v6, 27, v5
	v_subrev_u32_e32 v9, 28, v8
	v_and_b32_e32 v4, 0x80000000, v5
	v_and_b32_e32 v6, 15, v6
	v_bfe_u32 v7, v5, 27, 4
	v_lshlrev_b32_sdwa v5, v9, v5 dst_sel:DWORD dst_unused:UNUSED_PAD src0_sel:DWORD src1_sel:BYTE_3
	v_sub_u32_e32 v8, 29, v8
	v_and_b32_e32 v5, 7, v5
	v_cmp_eq_u16_e32 vcc, 0, v6
	v_cndmask_b32_e32 v3, v3, v5, vcc
	v_cndmask_b32_e32 v5, v7, v8, vcc
	v_mov_b32_e32 v6, 0x3b800000
	v_lshlrev_b32_e32 v3, 20, v3
	v_lshl_add_u32 v5, v5, 23, v6
	v_or3_b32 v3, v4, v5, v3
.LBB40_768:
	s_or_b64 exec, exec, s[6:7]
	s_nop 0
	v_mfma_f32_16x16x4f32 a[0:3], v2, v3, a[0:3]
	s_movk_i32 s4, 0x7f
                                        ; implicit-def: $sgpr10
	s_nop 7
	s_nop 1
	flat_store_dwordx4 v[18:19], a[0:3] offset:544
	flat_load_dwordx4 v[20:23], v[0:1] offset:16
	s_nop 0
	flat_load_dwordx2 v[18:19], v[0:1] offset:32
	s_waitcnt vmcnt(0) lgkmcnt(0)
	flat_load_dwordx4 v[14:17], v[20:21]
	flat_load_dwordx4 v[6:9], v[20:21] offset:16
	flat_load_dwordx4 v[10:13], v[22:23] offset:352
	flat_load_dwordx4 v[2:5], v[22:23] offset:368
	s_waitcnt vmcnt(0) lgkmcnt(0)
	v_cmp_gt_i16_sdwa s[6:7], v14, s4 src0_sel:BYTE_0 src1_sel:DWORD
	s_mov_b64 s[4:5], 0
	s_and_saveexec_b64 s[8:9], s[6:7]
	s_xor_b64 s[6:7], exec, s[8:9]
	s_cbranch_execnz .LBB40_2817
; %bb.769:
	s_or_saveexec_b64 s[6:7], s[6:7]
	v_mov_b32_e32 v20, s10
	s_xor_b64 exec, exec, s[6:7]
	s_cbranch_execnz .LBB40_2820
.LBB40_770:
	s_or_b64 exec, exec, s[6:7]
	s_and_saveexec_b64 s[6:7], s[4:5]
	s_cbranch_execz .LBB40_772
.LBB40_771:
	v_and_b32_e32 v20, 7, v14
	v_ffbh_u32_e32 v22, v20
	v_min_u32_e32 v22, 32, v22
	v_lshrrev_b16_e32 v21, 3, v14
	v_subrev_u32_e32 v23, 28, v22
	v_and_b32_e32 v21, 15, v21
	v_lshlrev_b32_e32 v23, v23, v14
	v_sub_u32_e32 v22, 29, v22
	v_and_b32_e32 v23, 7, v23
	v_cmp_eq_u16_e32 vcc, 0, v21
	v_cndmask_b32_e32 v20, v20, v23, vcc
	v_cndmask_b32_e32 v21, v21, v22, vcc
	v_lshlrev_b32_e32 v22, 24, v14
	v_mov_b32_e32 v23, 0x3b800000
	v_lshlrev_b32_e32 v20, 20, v20
	v_and_b32_e32 v22, 0x80000000, v22
	v_lshl_add_u32 v21, v21, 23, v23
	v_or3_b32 v20, v22, v21, v20
.LBB40_772:
	s_or_b64 exec, exec, s[6:7]
	s_movk_i32 s4, 0x7f
	v_cmp_gt_i16_sdwa s[6:7], v10, s4 src0_sel:BYTE_0 src1_sel:DWORD
	s_mov_b64 s[4:5], 0
                                        ; implicit-def: $sgpr10
	s_and_saveexec_b64 s[8:9], s[6:7]
	s_xor_b64 s[6:7], exec, s[8:9]
	s_cbranch_execnz .LBB40_2821
; %bb.773:
	s_or_saveexec_b64 s[6:7], s[6:7]
	v_mov_b32_e32 v21, s10
	s_xor_b64 exec, exec, s[6:7]
	s_cbranch_execnz .LBB40_2824
.LBB40_774:
	s_or_b64 exec, exec, s[6:7]
	s_and_saveexec_b64 s[6:7], s[4:5]
	s_cbranch_execz .LBB40_776
.LBB40_775:
	v_and_b32_e32 v21, 7, v10
	v_ffbh_u32_e32 v23, v21
	v_min_u32_e32 v23, 32, v23
	v_lshrrev_b16_e32 v22, 3, v10
	v_subrev_u32_e32 v24, 28, v23
	v_and_b32_e32 v22, 15, v22
	v_lshlrev_b32_e32 v24, v24, v10
	v_sub_u32_e32 v23, 29, v23
	v_and_b32_e32 v24, 7, v24
	v_cmp_eq_u16_e32 vcc, 0, v22
	v_cndmask_b32_e32 v21, v21, v24, vcc
	v_cndmask_b32_e32 v22, v22, v23, vcc
	v_lshlrev_b32_e32 v23, 24, v10
	v_mov_b32_e32 v24, 0x3b800000
	v_lshlrev_b32_e32 v21, 20, v21
	v_and_b32_e32 v23, 0x80000000, v23
	v_lshl_add_u32 v22, v22, 23, v24
	v_or3_b32 v21, v23, v22, v21
.LBB40_776:
	s_or_b64 exec, exec, s[6:7]
	flat_load_dwordx4 a[0:3], v[18:19] offset:560
	s_movk_i32 s4, 0x7f
                                        ; implicit-def: $sgpr10
	s_waitcnt vmcnt(0) lgkmcnt(0)
	v_mfma_f32_16x16x4f32 a[0:3], v20, v21, a[0:3]
	v_lshrrev_b32_e32 v21, 8, v14
	v_cmp_gt_i16_sdwa s[6:7], v21, s4 src0_sel:BYTE_0 src1_sel:DWORD
	s_mov_b64 s[4:5], 0
	s_and_saveexec_b64 s[8:9], s[6:7]
	s_xor_b64 s[6:7], exec, s[8:9]
	s_cbranch_execnz .LBB40_2825
; %bb.777:
	s_or_saveexec_b64 s[6:7], s[6:7]
	v_mov_b32_e32 v20, s10
	s_xor_b64 exec, exec, s[6:7]
	s_cbranch_execnz .LBB40_2828
.LBB40_778:
	s_or_b64 exec, exec, s[6:7]
	s_and_saveexec_b64 s[6:7], s[4:5]
	s_cbranch_execz .LBB40_780
.LBB40_779:
	v_bfe_u32 v20, v14, 8, 3
	v_ffbh_u32_e32 v23, v20
	v_min_u32_e32 v23, 32, v23
	v_lshrrev_b16_e32 v22, 3, v21
	v_subrev_u32_e32 v24, 28, v23
	v_and_b32_e32 v22, 15, v22
	v_lshlrev_b32_e32 v21, v24, v21
	v_sub_u32_e32 v23, 29, v23
	v_and_b32_e32 v21, 7, v21
	v_cmp_eq_u16_e32 vcc, 0, v22
	v_cndmask_b32_e32 v20, v20, v21, vcc
	v_cndmask_b32_e32 v21, v22, v23, vcc
	v_lshlrev_b32_e32 v22, 16, v14
	v_mov_b32_e32 v23, 0x3b800000
	v_lshlrev_b32_e32 v20, 20, v20
	v_and_b32_e32 v22, 0x80000000, v22
	v_lshl_add_u32 v21, v21, 23, v23
	v_or3_b32 v20, v22, v21, v20
.LBB40_780:
	s_or_b64 exec, exec, s[6:7]
	v_lshrrev_b32_e32 v21, 8, v10
	s_movk_i32 s4, 0x7f
	v_cmp_gt_i16_sdwa s[6:7], v21, s4 src0_sel:BYTE_0 src1_sel:DWORD
	s_mov_b64 s[4:5], 0
                                        ; implicit-def: $sgpr10
	s_and_saveexec_b64 s[8:9], s[6:7]
	s_xor_b64 s[6:7], exec, s[8:9]
	s_cbranch_execnz .LBB40_2829
; %bb.781:
	s_or_saveexec_b64 s[6:7], s[6:7]
	v_mov_b32_e32 v22, s10
	s_xor_b64 exec, exec, s[6:7]
	s_cbranch_execnz .LBB40_2832
.LBB40_782:
	s_or_b64 exec, exec, s[6:7]
	s_and_saveexec_b64 s[6:7], s[4:5]
	s_cbranch_execz .LBB40_784
.LBB40_783:
	v_bfe_u32 v22, v10, 8, 3
	v_ffbh_u32_e32 v24, v22
	v_min_u32_e32 v24, 32, v24
	v_lshrrev_b16_e32 v23, 3, v21
	v_subrev_u32_e32 v25, 28, v24
	v_and_b32_e32 v23, 15, v23
	v_lshlrev_b32_e32 v21, v25, v21
	v_sub_u32_e32 v24, 29, v24
	v_and_b32_e32 v21, 7, v21
	v_cmp_eq_u16_e32 vcc, 0, v23
	v_cndmask_b32_e32 v21, v22, v21, vcc
	v_cndmask_b32_e32 v22, v23, v24, vcc
	v_lshlrev_b32_e32 v23, 16, v10
	v_mov_b32_e32 v24, 0x3b800000
	v_lshlrev_b32_e32 v21, 20, v21
	v_and_b32_e32 v23, 0x80000000, v23
	v_lshl_add_u32 v22, v22, 23, v24
	v_or3_b32 v22, v23, v22, v21
.LBB40_784:
	s_or_b64 exec, exec, s[6:7]
	s_nop 0
	v_mfma_f32_16x16x4f32 a[0:3], v20, v22, a[0:3]
	s_movk_i32 s4, 0xff
	v_and_b32_sdwa v21, v14, s4 dst_sel:DWORD dst_unused:UNUSED_PAD src0_sel:WORD_1 src1_sel:DWORD
	s_movk_i32 s4, 0x7f
	v_cmp_lt_i16_e32 vcc, s4, v21
	s_mov_b64 s[4:5], 0
                                        ; implicit-def: $sgpr10
	s_and_saveexec_b64 s[6:7], vcc
	s_xor_b64 s[6:7], exec, s[6:7]
	s_cbranch_execnz .LBB40_2833
; %bb.785:
	s_or_saveexec_b64 s[6:7], s[6:7]
	v_mov_b32_e32 v20, s10
	s_xor_b64 exec, exec, s[6:7]
	s_cbranch_execnz .LBB40_2836
.LBB40_786:
	s_or_b64 exec, exec, s[6:7]
	s_and_saveexec_b64 s[6:7], s[4:5]
	s_cbranch_execz .LBB40_788
.LBB40_787:
	v_bfe_u32 v20, v14, 16, 3
	v_ffbh_u32_e32 v23, v20
	v_min_u32_e32 v23, 32, v23
	v_lshrrev_b32_e32 v21, 19, v14
	v_subrev_u32_e32 v24, 28, v23
	v_and_b32_e32 v21, 15, v21
	v_lshlrev_b32_sdwa v24, v24, v14 dst_sel:DWORD dst_unused:UNUSED_PAD src0_sel:DWORD src1_sel:WORD_1
	v_bfe_u32 v22, v14, 19, 4
	v_sub_u32_e32 v23, 29, v23
	v_and_b32_e32 v24, 7, v24
	v_cmp_eq_u16_e32 vcc, 0, v21
	v_cndmask_b32_e32 v20, v20, v24, vcc
	v_cndmask_b32_e32 v21, v22, v23, vcc
	v_lshlrev_b32_e32 v22, 8, v14
	v_mov_b32_e32 v23, 0x3b800000
	v_lshlrev_b32_e32 v20, 20, v20
	v_and_b32_e32 v22, 0x80000000, v22
	v_lshl_add_u32 v21, v21, 23, v23
	v_or3_b32 v20, v22, v21, v20
.LBB40_788:
	s_or_b64 exec, exec, s[6:7]
	s_movk_i32 s4, 0xff
	v_and_b32_sdwa v21, v10, s4 dst_sel:DWORD dst_unused:UNUSED_PAD src0_sel:WORD_1 src1_sel:DWORD
	s_movk_i32 s4, 0x7f
	v_cmp_lt_i16_e32 vcc, s4, v21
	s_mov_b64 s[4:5], 0
                                        ; implicit-def: $sgpr10
	s_and_saveexec_b64 s[6:7], vcc
	s_xor_b64 s[6:7], exec, s[6:7]
	s_cbranch_execnz .LBB40_2837
; %bb.789:
	s_or_saveexec_b64 s[6:7], s[6:7]
	v_mov_b32_e32 v22, s10
	s_xor_b64 exec, exec, s[6:7]
	s_cbranch_execnz .LBB40_2840
.LBB40_790:
	s_or_b64 exec, exec, s[6:7]
	s_and_saveexec_b64 s[6:7], s[4:5]
	s_cbranch_execz .LBB40_792
.LBB40_791:
	v_bfe_u32 v21, v10, 16, 3
	v_ffbh_u32_e32 v24, v21
	v_min_u32_e32 v24, 32, v24
	v_lshrrev_b32_e32 v22, 19, v10
	v_subrev_u32_e32 v25, 28, v24
	v_and_b32_e32 v22, 15, v22
	v_lshlrev_b32_sdwa v25, v25, v10 dst_sel:DWORD dst_unused:UNUSED_PAD src0_sel:DWORD src1_sel:WORD_1
	v_bfe_u32 v23, v10, 19, 4
	v_sub_u32_e32 v24, 29, v24
	v_and_b32_e32 v25, 7, v25
	v_cmp_eq_u16_e32 vcc, 0, v22
	v_cndmask_b32_e32 v21, v21, v25, vcc
	v_cndmask_b32_e32 v22, v23, v24, vcc
	v_lshlrev_b32_e32 v23, 8, v10
	v_mov_b32_e32 v24, 0x3b800000
	v_lshlrev_b32_e32 v21, 20, v21
	v_and_b32_e32 v23, 0x80000000, v23
	v_lshl_add_u32 v22, v22, 23, v24
	v_or3_b32 v22, v23, v22, v21
.LBB40_792:
	s_or_b64 exec, exec, s[6:7]
	s_nop 0
	v_mfma_f32_16x16x4f32 a[0:3], v20, v22, a[0:3]
	s_movk_i32 s4, 0x7f
	v_cmp_gt_i16_sdwa s[6:7], v14, s4 src0_sel:BYTE_3 src1_sel:DWORD
	s_mov_b64 s[4:5], 0
                                        ; implicit-def: $sgpr10
	s_and_saveexec_b64 s[8:9], s[6:7]
	s_xor_b64 s[6:7], exec, s[8:9]
	s_cbranch_execnz .LBB40_2841
; %bb.793:
	s_or_saveexec_b64 s[6:7], s[6:7]
	v_mov_b32_e32 v20, s10
	s_xor_b64 exec, exec, s[6:7]
	s_cbranch_execnz .LBB40_2844
.LBB40_794:
	s_or_b64 exec, exec, s[6:7]
	s_and_saveexec_b64 s[6:7], s[4:5]
	s_cbranch_execz .LBB40_796
.LBB40_795:
	v_bfe_u32 v20, v14, 24, 3
	v_ffbh_u32_e32 v24, v20
	v_min_u32_e32 v24, 32, v24
	v_lshrrev_b32_e32 v22, 27, v14
	v_subrev_u32_e32 v25, 28, v24
	v_and_b32_e32 v21, 0x80000000, v14
	v_and_b32_e32 v22, 15, v22
	v_bfe_u32 v23, v14, 27, 4
	v_lshlrev_b32_sdwa v14, v25, v14 dst_sel:DWORD dst_unused:UNUSED_PAD src0_sel:DWORD src1_sel:BYTE_3
	v_sub_u32_e32 v24, 29, v24
	v_and_b32_e32 v14, 7, v14
	v_cmp_eq_u16_e32 vcc, 0, v22
	v_cndmask_b32_e32 v14, v20, v14, vcc
	v_cndmask_b32_e32 v20, v23, v24, vcc
	v_mov_b32_e32 v22, 0x3b800000
	v_lshlrev_b32_e32 v14, 20, v14
	v_lshl_add_u32 v20, v20, 23, v22
	v_or3_b32 v20, v21, v20, v14
.LBB40_796:
	s_or_b64 exec, exec, s[6:7]
	s_movk_i32 s4, 0x7f
	v_cmp_gt_i16_sdwa s[6:7], v10, s4 src0_sel:BYTE_3 src1_sel:DWORD
	s_mov_b64 s[4:5], 0
                                        ; implicit-def: $sgpr10
	s_and_saveexec_b64 s[8:9], s[6:7]
	s_xor_b64 s[6:7], exec, s[8:9]
	s_cbranch_execnz .LBB40_2845
; %bb.797:
	s_or_saveexec_b64 s[6:7], s[6:7]
	v_mov_b32_e32 v14, s10
	s_xor_b64 exec, exec, s[6:7]
	s_cbranch_execnz .LBB40_2848
.LBB40_798:
	s_or_b64 exec, exec, s[6:7]
	s_and_saveexec_b64 s[6:7], s[4:5]
	s_cbranch_execz .LBB40_800
.LBB40_799:
	v_bfe_u32 v14, v10, 24, 3
	v_ffbh_u32_e32 v24, v14
	v_min_u32_e32 v24, 32, v24
	v_lshrrev_b32_e32 v22, 27, v10
	v_subrev_u32_e32 v25, 28, v24
	v_and_b32_e32 v21, 0x80000000, v10
	v_and_b32_e32 v22, 15, v22
	v_bfe_u32 v23, v10, 27, 4
	v_lshlrev_b32_sdwa v10, v25, v10 dst_sel:DWORD dst_unused:UNUSED_PAD src0_sel:DWORD src1_sel:BYTE_3
	v_sub_u32_e32 v24, 29, v24
	v_and_b32_e32 v10, 7, v10
	v_cmp_eq_u16_e32 vcc, 0, v22
	v_cndmask_b32_e32 v10, v14, v10, vcc
	v_cndmask_b32_e32 v14, v23, v24, vcc
	v_mov_b32_e32 v22, 0x3b800000
	v_lshlrev_b32_e32 v10, 20, v10
	v_lshl_add_u32 v14, v14, 23, v22
	v_or3_b32 v14, v21, v14, v10
.LBB40_800:
	s_or_b64 exec, exec, s[6:7]
	s_nop 0
	v_mfma_f32_16x16x4f32 a[0:3], v20, v14, a[0:3]
	s_movk_i32 s4, 0x7f
	v_cmp_gt_i16_sdwa s[6:7], v15, s4 src0_sel:BYTE_0 src1_sel:DWORD
	s_mov_b64 s[4:5], 0
                                        ; implicit-def: $sgpr10
	s_and_saveexec_b64 s[8:9], s[6:7]
	s_xor_b64 s[6:7], exec, s[8:9]
	s_cbranch_execnz .LBB40_2849
; %bb.801:
	s_or_saveexec_b64 s[6:7], s[6:7]
	v_mov_b32_e32 v10, s10
	s_xor_b64 exec, exec, s[6:7]
	s_cbranch_execnz .LBB40_2852
.LBB40_802:
	s_or_b64 exec, exec, s[6:7]
	s_and_saveexec_b64 s[6:7], s[4:5]
	s_cbranch_execz .LBB40_804
.LBB40_803:
	v_and_b32_e32 v10, 7, v15
	v_ffbh_u32_e32 v20, v10
	v_min_u32_e32 v20, 32, v20
	v_lshrrev_b16_e32 v14, 3, v15
	v_subrev_u32_e32 v21, 28, v20
	v_and_b32_e32 v14, 15, v14
	v_lshlrev_b32_e32 v21, v21, v15
	v_sub_u32_e32 v20, 29, v20
	v_and_b32_e32 v21, 7, v21
	v_cmp_eq_u16_e32 vcc, 0, v14
	v_cndmask_b32_e32 v10, v10, v21, vcc
	v_cndmask_b32_e32 v14, v14, v20, vcc
	v_lshlrev_b32_e32 v20, 24, v15
	v_mov_b32_e32 v21, 0x3b800000
	v_lshlrev_b32_e32 v10, 20, v10
	v_and_b32_e32 v20, 0x80000000, v20
	v_lshl_add_u32 v14, v14, 23, v21
	v_or3_b32 v10, v20, v14, v10
.LBB40_804:
	s_or_b64 exec, exec, s[6:7]
	s_movk_i32 s4, 0x7f
	v_cmp_gt_i16_sdwa s[6:7], v11, s4 src0_sel:BYTE_0 src1_sel:DWORD
	s_mov_b64 s[4:5], 0
                                        ; implicit-def: $sgpr10
	s_and_saveexec_b64 s[8:9], s[6:7]
	s_xor_b64 s[6:7], exec, s[8:9]
	s_cbranch_execnz .LBB40_2853
; %bb.805:
	s_or_saveexec_b64 s[6:7], s[6:7]
	v_mov_b32_e32 v14, s10
	s_xor_b64 exec, exec, s[6:7]
	s_cbranch_execnz .LBB40_2856
.LBB40_806:
	s_or_b64 exec, exec, s[6:7]
	s_and_saveexec_b64 s[6:7], s[4:5]
	s_cbranch_execz .LBB40_808
.LBB40_807:
	v_and_b32_e32 v14, 7, v11
	v_ffbh_u32_e32 v21, v14
	v_min_u32_e32 v21, 32, v21
	v_lshrrev_b16_e32 v20, 3, v11
	v_subrev_u32_e32 v22, 28, v21
	v_and_b32_e32 v20, 15, v20
	v_lshlrev_b32_e32 v22, v22, v11
	v_sub_u32_e32 v21, 29, v21
	v_and_b32_e32 v22, 7, v22
	v_cmp_eq_u16_e32 vcc, 0, v20
	v_cndmask_b32_e32 v14, v14, v22, vcc
	v_cndmask_b32_e32 v20, v20, v21, vcc
	v_lshlrev_b32_e32 v21, 24, v11
	v_mov_b32_e32 v22, 0x3b800000
	v_lshlrev_b32_e32 v14, 20, v14
	v_and_b32_e32 v21, 0x80000000, v21
	v_lshl_add_u32 v20, v20, 23, v22
	v_or3_b32 v14, v21, v20, v14
.LBB40_808:
	s_or_b64 exec, exec, s[6:7]
	s_nop 0
	v_mfma_f32_16x16x4f32 a[0:3], v10, v14, a[0:3]
	v_lshrrev_b32_e32 v14, 8, v15
	s_movk_i32 s4, 0x7f
	v_cmp_gt_i16_sdwa s[6:7], v14, s4 src0_sel:BYTE_0 src1_sel:DWORD
	s_mov_b64 s[4:5], 0
                                        ; implicit-def: $sgpr10
	s_and_saveexec_b64 s[8:9], s[6:7]
	s_xor_b64 s[6:7], exec, s[8:9]
	s_cbranch_execnz .LBB40_2857
; %bb.809:
	s_or_saveexec_b64 s[6:7], s[6:7]
	v_mov_b32_e32 v10, s10
	s_xor_b64 exec, exec, s[6:7]
	s_cbranch_execnz .LBB40_2860
.LBB40_810:
	s_or_b64 exec, exec, s[6:7]
	s_and_saveexec_b64 s[6:7], s[4:5]
	s_cbranch_execz .LBB40_812
.LBB40_811:
	v_bfe_u32 v10, v15, 8, 3
	v_ffbh_u32_e32 v21, v10
	v_min_u32_e32 v21, 32, v21
	v_lshrrev_b16_e32 v20, 3, v14
	v_subrev_u32_e32 v22, 28, v21
	v_and_b32_e32 v20, 15, v20
	v_lshlrev_b32_e32 v14, v22, v14
	v_sub_u32_e32 v21, 29, v21
	v_and_b32_e32 v14, 7, v14
	v_cmp_eq_u16_e32 vcc, 0, v20
	v_cndmask_b32_e32 v10, v10, v14, vcc
	v_cndmask_b32_e32 v14, v20, v21, vcc
	v_lshlrev_b32_e32 v20, 16, v15
	v_mov_b32_e32 v21, 0x3b800000
	v_lshlrev_b32_e32 v10, 20, v10
	v_and_b32_e32 v20, 0x80000000, v20
	v_lshl_add_u32 v14, v14, 23, v21
	v_or3_b32 v10, v20, v14, v10
.LBB40_812:
	s_or_b64 exec, exec, s[6:7]
	v_lshrrev_b32_e32 v14, 8, v11
	s_movk_i32 s4, 0x7f
	v_cmp_gt_i16_sdwa s[6:7], v14, s4 src0_sel:BYTE_0 src1_sel:DWORD
	s_mov_b64 s[4:5], 0
                                        ; implicit-def: $sgpr10
	s_and_saveexec_b64 s[8:9], s[6:7]
	s_xor_b64 s[6:7], exec, s[8:9]
	s_cbranch_execnz .LBB40_2861
; %bb.813:
	s_or_saveexec_b64 s[6:7], s[6:7]
	v_mov_b32_e32 v20, s10
	s_xor_b64 exec, exec, s[6:7]
	s_cbranch_execnz .LBB40_2864
.LBB40_814:
	s_or_b64 exec, exec, s[6:7]
	s_and_saveexec_b64 s[6:7], s[4:5]
	s_cbranch_execz .LBB40_816
.LBB40_815:
	v_bfe_u32 v20, v11, 8, 3
	v_ffbh_u32_e32 v22, v20
	v_min_u32_e32 v22, 32, v22
	v_lshrrev_b16_e32 v21, 3, v14
	v_subrev_u32_e32 v23, 28, v22
	v_and_b32_e32 v21, 15, v21
	v_lshlrev_b32_e32 v14, v23, v14
	v_sub_u32_e32 v22, 29, v22
	v_and_b32_e32 v14, 7, v14
	v_cmp_eq_u16_e32 vcc, 0, v21
	v_cndmask_b32_e32 v14, v20, v14, vcc
	v_cndmask_b32_e32 v20, v21, v22, vcc
	v_lshlrev_b32_e32 v21, 16, v11
	v_mov_b32_e32 v22, 0x3b800000
	v_lshlrev_b32_e32 v14, 20, v14
	v_and_b32_e32 v21, 0x80000000, v21
	v_lshl_add_u32 v20, v20, 23, v22
	v_or3_b32 v20, v21, v20, v14
.LBB40_816:
	s_or_b64 exec, exec, s[6:7]
	s_nop 0
	v_mfma_f32_16x16x4f32 a[0:3], v10, v20, a[0:3]
	s_movk_i32 s4, 0xff
	v_and_b32_sdwa v14, v15, s4 dst_sel:DWORD dst_unused:UNUSED_PAD src0_sel:WORD_1 src1_sel:DWORD
	s_movk_i32 s4, 0x7f
	v_cmp_lt_i16_e32 vcc, s4, v14
	s_mov_b64 s[4:5], 0
                                        ; implicit-def: $sgpr10
	s_and_saveexec_b64 s[6:7], vcc
	s_xor_b64 s[6:7], exec, s[6:7]
	s_cbranch_execnz .LBB40_2865
; %bb.817:
	s_or_saveexec_b64 s[6:7], s[6:7]
	v_mov_b32_e32 v10, s10
	s_xor_b64 exec, exec, s[6:7]
	s_cbranch_execnz .LBB40_2868
.LBB40_818:
	s_or_b64 exec, exec, s[6:7]
	s_and_saveexec_b64 s[6:7], s[4:5]
	s_cbranch_execz .LBB40_820
.LBB40_819:
	v_bfe_u32 v10, v15, 16, 3
	v_ffbh_u32_e32 v21, v10
	v_min_u32_e32 v21, 32, v21
	v_lshrrev_b32_e32 v14, 19, v15
	v_subrev_u32_e32 v22, 28, v21
	v_and_b32_e32 v14, 15, v14
	v_lshlrev_b32_sdwa v22, v22, v15 dst_sel:DWORD dst_unused:UNUSED_PAD src0_sel:DWORD src1_sel:WORD_1
	v_bfe_u32 v20, v15, 19, 4
	v_sub_u32_e32 v21, 29, v21
	v_and_b32_e32 v22, 7, v22
	v_cmp_eq_u16_e32 vcc, 0, v14
	v_cndmask_b32_e32 v10, v10, v22, vcc
	v_cndmask_b32_e32 v14, v20, v21, vcc
	v_lshlrev_b32_e32 v20, 8, v15
	v_mov_b32_e32 v21, 0x3b800000
	v_lshlrev_b32_e32 v10, 20, v10
	v_and_b32_e32 v20, 0x80000000, v20
	v_lshl_add_u32 v14, v14, 23, v21
	v_or3_b32 v10, v20, v14, v10
.LBB40_820:
	s_or_b64 exec, exec, s[6:7]
	s_movk_i32 s4, 0xff
	v_and_b32_sdwa v14, v11, s4 dst_sel:DWORD dst_unused:UNUSED_PAD src0_sel:WORD_1 src1_sel:DWORD
	s_movk_i32 s4, 0x7f
	v_cmp_lt_i16_e32 vcc, s4, v14
	s_mov_b64 s[4:5], 0
                                        ; implicit-def: $sgpr10
	s_and_saveexec_b64 s[6:7], vcc
	s_xor_b64 s[6:7], exec, s[6:7]
	s_cbranch_execnz .LBB40_2869
; %bb.821:
	s_or_saveexec_b64 s[6:7], s[6:7]
	v_mov_b32_e32 v20, s10
	s_xor_b64 exec, exec, s[6:7]
	s_cbranch_execnz .LBB40_2872
.LBB40_822:
	s_or_b64 exec, exec, s[6:7]
	s_and_saveexec_b64 s[6:7], s[4:5]
	s_cbranch_execz .LBB40_824
.LBB40_823:
	v_bfe_u32 v14, v11, 16, 3
	v_ffbh_u32_e32 v22, v14
	v_min_u32_e32 v22, 32, v22
	v_lshrrev_b32_e32 v20, 19, v11
	v_subrev_u32_e32 v23, 28, v22
	v_and_b32_e32 v20, 15, v20
	v_lshlrev_b32_sdwa v23, v23, v11 dst_sel:DWORD dst_unused:UNUSED_PAD src0_sel:DWORD src1_sel:WORD_1
	v_bfe_u32 v21, v11, 19, 4
	v_sub_u32_e32 v22, 29, v22
	v_and_b32_e32 v23, 7, v23
	v_cmp_eq_u16_e32 vcc, 0, v20
	v_cndmask_b32_e32 v14, v14, v23, vcc
	v_cndmask_b32_e32 v20, v21, v22, vcc
	v_lshlrev_b32_e32 v21, 8, v11
	v_mov_b32_e32 v22, 0x3b800000
	v_lshlrev_b32_e32 v14, 20, v14
	v_and_b32_e32 v21, 0x80000000, v21
	v_lshl_add_u32 v20, v20, 23, v22
	v_or3_b32 v20, v21, v20, v14
.LBB40_824:
	s_or_b64 exec, exec, s[6:7]
	s_nop 0
	v_mfma_f32_16x16x4f32 a[0:3], v10, v20, a[0:3]
	s_movk_i32 s4, 0x7f
	v_cmp_gt_i16_sdwa s[6:7], v15, s4 src0_sel:BYTE_3 src1_sel:DWORD
	s_mov_b64 s[4:5], 0
                                        ; implicit-def: $sgpr10
	s_and_saveexec_b64 s[8:9], s[6:7]
	s_xor_b64 s[6:7], exec, s[8:9]
	s_cbranch_execnz .LBB40_2873
; %bb.825:
	s_or_saveexec_b64 s[6:7], s[6:7]
	v_mov_b32_e32 v10, s10
	s_xor_b64 exec, exec, s[6:7]
	s_cbranch_execnz .LBB40_2876
.LBB40_826:
	s_or_b64 exec, exec, s[6:7]
	s_and_saveexec_b64 s[6:7], s[4:5]
	s_cbranch_execz .LBB40_828
.LBB40_827:
	v_bfe_u32 v10, v15, 24, 3
	v_ffbh_u32_e32 v22, v10
	v_min_u32_e32 v22, 32, v22
	v_lshrrev_b32_e32 v20, 27, v15
	v_subrev_u32_e32 v23, 28, v22
	v_and_b32_e32 v14, 0x80000000, v15
	v_and_b32_e32 v20, 15, v20
	v_bfe_u32 v21, v15, 27, 4
	v_lshlrev_b32_sdwa v15, v23, v15 dst_sel:DWORD dst_unused:UNUSED_PAD src0_sel:DWORD src1_sel:BYTE_3
	v_sub_u32_e32 v22, 29, v22
	v_and_b32_e32 v15, 7, v15
	v_cmp_eq_u16_e32 vcc, 0, v20
	v_cndmask_b32_e32 v10, v10, v15, vcc
	v_cndmask_b32_e32 v15, v21, v22, vcc
	v_mov_b32_e32 v20, 0x3b800000
	v_lshlrev_b32_e32 v10, 20, v10
	v_lshl_add_u32 v15, v15, 23, v20
	v_or3_b32 v10, v14, v15, v10
.LBB40_828:
	s_or_b64 exec, exec, s[6:7]
	s_movk_i32 s4, 0x7f
	v_cmp_gt_i16_sdwa s[6:7], v11, s4 src0_sel:BYTE_3 src1_sel:DWORD
	s_mov_b64 s[4:5], 0
                                        ; implicit-def: $sgpr10
	s_and_saveexec_b64 s[8:9], s[6:7]
	s_xor_b64 s[6:7], exec, s[8:9]
	s_cbranch_execnz .LBB40_2877
; %bb.829:
	s_or_saveexec_b64 s[6:7], s[6:7]
	v_mov_b32_e32 v14, s10
	s_xor_b64 exec, exec, s[6:7]
	s_cbranch_execnz .LBB40_2880
.LBB40_830:
	s_or_b64 exec, exec, s[6:7]
	s_and_saveexec_b64 s[6:7], s[4:5]
	s_cbranch_execz .LBB40_832
.LBB40_831:
	v_bfe_u32 v14, v11, 24, 3
	v_ffbh_u32_e32 v22, v14
	v_min_u32_e32 v22, 32, v22
	v_lshrrev_b32_e32 v20, 27, v11
	v_subrev_u32_e32 v23, 28, v22
	v_and_b32_e32 v15, 0x80000000, v11
	v_and_b32_e32 v20, 15, v20
	v_bfe_u32 v21, v11, 27, 4
	v_lshlrev_b32_sdwa v11, v23, v11 dst_sel:DWORD dst_unused:UNUSED_PAD src0_sel:DWORD src1_sel:BYTE_3
	v_sub_u32_e32 v22, 29, v22
	v_and_b32_e32 v11, 7, v11
	v_cmp_eq_u16_e32 vcc, 0, v20
	v_cndmask_b32_e32 v11, v14, v11, vcc
	v_cndmask_b32_e32 v14, v21, v22, vcc
	v_mov_b32_e32 v20, 0x3b800000
	v_lshlrev_b32_e32 v11, 20, v11
	v_lshl_add_u32 v14, v14, 23, v20
	v_or3_b32 v14, v15, v14, v11
.LBB40_832:
	s_or_b64 exec, exec, s[6:7]
	s_nop 0
	v_mfma_f32_16x16x4f32 a[0:3], v10, v14, a[0:3]
	s_movk_i32 s4, 0x7f
	v_cmp_gt_i16_sdwa s[6:7], v16, s4 src0_sel:BYTE_0 src1_sel:DWORD
	s_mov_b64 s[4:5], 0
                                        ; implicit-def: $sgpr10
	s_and_saveexec_b64 s[8:9], s[6:7]
	s_xor_b64 s[6:7], exec, s[8:9]
	s_cbranch_execnz .LBB40_2881
; %bb.833:
	s_or_saveexec_b64 s[6:7], s[6:7]
	v_mov_b32_e32 v10, s10
	s_xor_b64 exec, exec, s[6:7]
	s_cbranch_execnz .LBB40_2884
.LBB40_834:
	s_or_b64 exec, exec, s[6:7]
	s_and_saveexec_b64 s[6:7], s[4:5]
	s_cbranch_execz .LBB40_836
.LBB40_835:
	v_and_b32_e32 v10, 7, v16
	v_ffbh_u32_e32 v14, v10
	v_min_u32_e32 v14, 32, v14
	v_lshrrev_b16_e32 v11, 3, v16
	v_subrev_u32_e32 v15, 28, v14
	v_and_b32_e32 v11, 15, v11
	v_lshlrev_b32_e32 v15, v15, v16
	v_sub_u32_e32 v14, 29, v14
	v_and_b32_e32 v15, 7, v15
	v_cmp_eq_u16_e32 vcc, 0, v11
	v_cndmask_b32_e32 v10, v10, v15, vcc
	v_cndmask_b32_e32 v11, v11, v14, vcc
	v_lshlrev_b32_e32 v14, 24, v16
	v_mov_b32_e32 v15, 0x3b800000
	v_lshlrev_b32_e32 v10, 20, v10
	v_and_b32_e32 v14, 0x80000000, v14
	v_lshl_add_u32 v11, v11, 23, v15
	v_or3_b32 v10, v14, v11, v10
.LBB40_836:
	s_or_b64 exec, exec, s[6:7]
	s_movk_i32 s4, 0x7f
	v_cmp_gt_i16_sdwa s[6:7], v12, s4 src0_sel:BYTE_0 src1_sel:DWORD
	s_mov_b64 s[4:5], 0
                                        ; implicit-def: $sgpr10
	s_and_saveexec_b64 s[8:9], s[6:7]
	s_xor_b64 s[6:7], exec, s[8:9]
	s_cbranch_execnz .LBB40_2885
; %bb.837:
	s_or_saveexec_b64 s[6:7], s[6:7]
	v_mov_b32_e32 v11, s10
	s_xor_b64 exec, exec, s[6:7]
	s_cbranch_execnz .LBB40_2888
.LBB40_838:
	s_or_b64 exec, exec, s[6:7]
	s_and_saveexec_b64 s[6:7], s[4:5]
	s_cbranch_execz .LBB40_840
.LBB40_839:
	v_and_b32_e32 v11, 7, v12
	v_ffbh_u32_e32 v15, v11
	v_min_u32_e32 v15, 32, v15
	v_lshrrev_b16_e32 v14, 3, v12
	v_subrev_u32_e32 v20, 28, v15
	v_and_b32_e32 v14, 15, v14
	v_lshlrev_b32_e32 v20, v20, v12
	v_sub_u32_e32 v15, 29, v15
	v_and_b32_e32 v20, 7, v20
	v_cmp_eq_u16_e32 vcc, 0, v14
	v_cndmask_b32_e32 v11, v11, v20, vcc
	v_cndmask_b32_e32 v14, v14, v15, vcc
	v_lshlrev_b32_e32 v15, 24, v12
	v_mov_b32_e32 v20, 0x3b800000
	v_lshlrev_b32_e32 v11, 20, v11
	v_and_b32_e32 v15, 0x80000000, v15
	v_lshl_add_u32 v14, v14, 23, v20
	v_or3_b32 v11, v15, v14, v11
.LBB40_840:
	s_or_b64 exec, exec, s[6:7]
	s_nop 0
	v_mfma_f32_16x16x4f32 a[0:3], v10, v11, a[0:3]
	v_lshrrev_b32_e32 v11, 8, v16
	s_movk_i32 s4, 0x7f
	v_cmp_gt_i16_sdwa s[6:7], v11, s4 src0_sel:BYTE_0 src1_sel:DWORD
	s_mov_b64 s[4:5], 0
                                        ; implicit-def: $sgpr10
	s_and_saveexec_b64 s[8:9], s[6:7]
	s_xor_b64 s[6:7], exec, s[8:9]
	s_cbranch_execnz .LBB40_2889
; %bb.841:
	s_or_saveexec_b64 s[6:7], s[6:7]
	v_mov_b32_e32 v10, s10
	s_xor_b64 exec, exec, s[6:7]
	s_cbranch_execnz .LBB40_2892
.LBB40_842:
	s_or_b64 exec, exec, s[6:7]
	s_and_saveexec_b64 s[6:7], s[4:5]
	s_cbranch_execz .LBB40_844
.LBB40_843:
	v_bfe_u32 v10, v16, 8, 3
	v_ffbh_u32_e32 v15, v10
	v_min_u32_e32 v15, 32, v15
	v_lshrrev_b16_e32 v14, 3, v11
	v_subrev_u32_e32 v20, 28, v15
	v_and_b32_e32 v14, 15, v14
	v_lshlrev_b32_e32 v11, v20, v11
	v_sub_u32_e32 v15, 29, v15
	v_and_b32_e32 v11, 7, v11
	v_cmp_eq_u16_e32 vcc, 0, v14
	v_cndmask_b32_e32 v10, v10, v11, vcc
	v_cndmask_b32_e32 v11, v14, v15, vcc
	v_lshlrev_b32_e32 v14, 16, v16
	v_mov_b32_e32 v15, 0x3b800000
	v_lshlrev_b32_e32 v10, 20, v10
	v_and_b32_e32 v14, 0x80000000, v14
	v_lshl_add_u32 v11, v11, 23, v15
	v_or3_b32 v10, v14, v11, v10
.LBB40_844:
	s_or_b64 exec, exec, s[6:7]
	v_lshrrev_b32_e32 v11, 8, v12
	s_movk_i32 s4, 0x7f
	v_cmp_gt_i16_sdwa s[6:7], v11, s4 src0_sel:BYTE_0 src1_sel:DWORD
	s_mov_b64 s[4:5], 0
                                        ; implicit-def: $sgpr10
	s_and_saveexec_b64 s[8:9], s[6:7]
	s_xor_b64 s[6:7], exec, s[8:9]
	s_cbranch_execnz .LBB40_2893
; %bb.845:
	s_or_saveexec_b64 s[6:7], s[6:7]
	v_mov_b32_e32 v14, s10
	s_xor_b64 exec, exec, s[6:7]
	s_cbranch_execnz .LBB40_2896
.LBB40_846:
	s_or_b64 exec, exec, s[6:7]
	s_and_saveexec_b64 s[6:7], s[4:5]
	s_cbranch_execz .LBB40_848
.LBB40_847:
	v_bfe_u32 v14, v12, 8, 3
	v_ffbh_u32_e32 v20, v14
	v_min_u32_e32 v20, 32, v20
	v_lshrrev_b16_e32 v15, 3, v11
	v_subrev_u32_e32 v21, 28, v20
	v_and_b32_e32 v15, 15, v15
	v_lshlrev_b32_e32 v11, v21, v11
	v_sub_u32_e32 v20, 29, v20
	v_and_b32_e32 v11, 7, v11
	v_cmp_eq_u16_e32 vcc, 0, v15
	v_cndmask_b32_e32 v11, v14, v11, vcc
	v_cndmask_b32_e32 v14, v15, v20, vcc
	v_lshlrev_b32_e32 v15, 16, v12
	v_mov_b32_e32 v20, 0x3b800000
	v_lshlrev_b32_e32 v11, 20, v11
	v_and_b32_e32 v15, 0x80000000, v15
	v_lshl_add_u32 v14, v14, 23, v20
	v_or3_b32 v14, v15, v14, v11
.LBB40_848:
	s_or_b64 exec, exec, s[6:7]
	s_nop 0
	v_mfma_f32_16x16x4f32 a[0:3], v10, v14, a[0:3]
	s_movk_i32 s4, 0xff
	v_and_b32_sdwa v11, v16, s4 dst_sel:DWORD dst_unused:UNUSED_PAD src0_sel:WORD_1 src1_sel:DWORD
	s_movk_i32 s4, 0x7f
	v_cmp_lt_i16_e32 vcc, s4, v11
	s_mov_b64 s[4:5], 0
                                        ; implicit-def: $sgpr10
	s_and_saveexec_b64 s[6:7], vcc
	s_xor_b64 s[6:7], exec, s[6:7]
	s_cbranch_execnz .LBB40_2897
; %bb.849:
	s_or_saveexec_b64 s[6:7], s[6:7]
	v_mov_b32_e32 v10, s10
	s_xor_b64 exec, exec, s[6:7]
	s_cbranch_execnz .LBB40_2900
.LBB40_850:
	s_or_b64 exec, exec, s[6:7]
	s_and_saveexec_b64 s[6:7], s[4:5]
	s_cbranch_execz .LBB40_852
.LBB40_851:
	v_bfe_u32 v10, v16, 16, 3
	v_ffbh_u32_e32 v15, v10
	v_min_u32_e32 v15, 32, v15
	v_lshrrev_b32_e32 v11, 19, v16
	v_subrev_u32_e32 v20, 28, v15
	v_and_b32_e32 v11, 15, v11
	v_lshlrev_b32_sdwa v20, v20, v16 dst_sel:DWORD dst_unused:UNUSED_PAD src0_sel:DWORD src1_sel:WORD_1
	v_bfe_u32 v14, v16, 19, 4
	v_sub_u32_e32 v15, 29, v15
	v_and_b32_e32 v20, 7, v20
	v_cmp_eq_u16_e32 vcc, 0, v11
	v_cndmask_b32_e32 v10, v10, v20, vcc
	v_cndmask_b32_e32 v11, v14, v15, vcc
	v_lshlrev_b32_e32 v14, 8, v16
	v_mov_b32_e32 v15, 0x3b800000
	v_lshlrev_b32_e32 v10, 20, v10
	v_and_b32_e32 v14, 0x80000000, v14
	v_lshl_add_u32 v11, v11, 23, v15
	v_or3_b32 v10, v14, v11, v10
.LBB40_852:
	s_or_b64 exec, exec, s[6:7]
	s_movk_i32 s4, 0xff
	v_and_b32_sdwa v11, v12, s4 dst_sel:DWORD dst_unused:UNUSED_PAD src0_sel:WORD_1 src1_sel:DWORD
	s_movk_i32 s4, 0x7f
	v_cmp_lt_i16_e32 vcc, s4, v11
	s_mov_b64 s[4:5], 0
                                        ; implicit-def: $sgpr10
	s_and_saveexec_b64 s[6:7], vcc
	s_xor_b64 s[6:7], exec, s[6:7]
	s_cbranch_execnz .LBB40_2901
; %bb.853:
	s_or_saveexec_b64 s[6:7], s[6:7]
	v_mov_b32_e32 v14, s10
	s_xor_b64 exec, exec, s[6:7]
	s_cbranch_execnz .LBB40_2904
.LBB40_854:
	s_or_b64 exec, exec, s[6:7]
	s_and_saveexec_b64 s[6:7], s[4:5]
	s_cbranch_execz .LBB40_856
.LBB40_855:
	v_bfe_u32 v11, v12, 16, 3
	v_ffbh_u32_e32 v20, v11
	v_min_u32_e32 v20, 32, v20
	v_lshrrev_b32_e32 v14, 19, v12
	v_subrev_u32_e32 v21, 28, v20
	v_and_b32_e32 v14, 15, v14
	v_lshlrev_b32_sdwa v21, v21, v12 dst_sel:DWORD dst_unused:UNUSED_PAD src0_sel:DWORD src1_sel:WORD_1
	v_bfe_u32 v15, v12, 19, 4
	v_sub_u32_e32 v20, 29, v20
	v_and_b32_e32 v21, 7, v21
	v_cmp_eq_u16_e32 vcc, 0, v14
	v_cndmask_b32_e32 v11, v11, v21, vcc
	v_cndmask_b32_e32 v14, v15, v20, vcc
	v_lshlrev_b32_e32 v15, 8, v12
	v_mov_b32_e32 v20, 0x3b800000
	v_lshlrev_b32_e32 v11, 20, v11
	v_and_b32_e32 v15, 0x80000000, v15
	v_lshl_add_u32 v14, v14, 23, v20
	v_or3_b32 v14, v15, v14, v11
.LBB40_856:
	s_or_b64 exec, exec, s[6:7]
	s_nop 0
	v_mfma_f32_16x16x4f32 a[0:3], v10, v14, a[0:3]
	s_movk_i32 s4, 0x7f
	v_cmp_gt_i16_sdwa s[6:7], v16, s4 src0_sel:BYTE_3 src1_sel:DWORD
	s_mov_b64 s[4:5], 0
                                        ; implicit-def: $sgpr10
	s_and_saveexec_b64 s[8:9], s[6:7]
	s_xor_b64 s[6:7], exec, s[8:9]
	s_cbranch_execnz .LBB40_2905
; %bb.857:
	s_or_saveexec_b64 s[6:7], s[6:7]
	v_mov_b32_e32 v10, s10
	s_xor_b64 exec, exec, s[6:7]
	s_cbranch_execnz .LBB40_2908
.LBB40_858:
	s_or_b64 exec, exec, s[6:7]
	s_and_saveexec_b64 s[6:7], s[4:5]
	s_cbranch_execz .LBB40_860
.LBB40_859:
	v_bfe_u32 v10, v16, 24, 3
	v_ffbh_u32_e32 v20, v10
	v_min_u32_e32 v20, 32, v20
	v_lshrrev_b32_e32 v14, 27, v16
	v_subrev_u32_e32 v21, 28, v20
	v_and_b32_e32 v11, 0x80000000, v16
	v_and_b32_e32 v14, 15, v14
	v_bfe_u32 v15, v16, 27, 4
	v_lshlrev_b32_sdwa v16, v21, v16 dst_sel:DWORD dst_unused:UNUSED_PAD src0_sel:DWORD src1_sel:BYTE_3
	v_sub_u32_e32 v20, 29, v20
	v_and_b32_e32 v16, 7, v16
	v_cmp_eq_u16_e32 vcc, 0, v14
	v_cndmask_b32_e32 v10, v10, v16, vcc
	v_cndmask_b32_e32 v14, v15, v20, vcc
	v_mov_b32_e32 v15, 0x3b800000
	v_lshlrev_b32_e32 v10, 20, v10
	v_lshl_add_u32 v14, v14, 23, v15
	v_or3_b32 v10, v11, v14, v10
.LBB40_860:
	s_or_b64 exec, exec, s[6:7]
	s_movk_i32 s4, 0x7f
	v_cmp_gt_i16_sdwa s[6:7], v12, s4 src0_sel:BYTE_3 src1_sel:DWORD
	s_mov_b64 s[4:5], 0
                                        ; implicit-def: $sgpr10
	s_and_saveexec_b64 s[8:9], s[6:7]
	s_xor_b64 s[6:7], exec, s[8:9]
	s_cbranch_execnz .LBB40_2909
; %bb.861:
	s_or_saveexec_b64 s[6:7], s[6:7]
	v_mov_b32_e32 v11, s10
	s_xor_b64 exec, exec, s[6:7]
	s_cbranch_execnz .LBB40_2912
.LBB40_862:
	s_or_b64 exec, exec, s[6:7]
	s_and_saveexec_b64 s[6:7], s[4:5]
	s_cbranch_execz .LBB40_864
.LBB40_863:
	v_bfe_u32 v11, v12, 24, 3
	v_ffbh_u32_e32 v20, v11
	v_min_u32_e32 v20, 32, v20
	v_lshrrev_b32_e32 v15, 27, v12
	v_subrev_u32_e32 v21, 28, v20
	v_and_b32_e32 v14, 0x80000000, v12
	v_and_b32_e32 v15, 15, v15
	v_bfe_u32 v16, v12, 27, 4
	v_lshlrev_b32_sdwa v12, v21, v12 dst_sel:DWORD dst_unused:UNUSED_PAD src0_sel:DWORD src1_sel:BYTE_3
	v_sub_u32_e32 v20, 29, v20
	v_and_b32_e32 v12, 7, v12
	v_cmp_eq_u16_e32 vcc, 0, v15
	v_cndmask_b32_e32 v11, v11, v12, vcc
	v_cndmask_b32_e32 v12, v16, v20, vcc
	v_mov_b32_e32 v15, 0x3b800000
	v_lshlrev_b32_e32 v11, 20, v11
	v_lshl_add_u32 v12, v12, 23, v15
	v_or3_b32 v11, v14, v12, v11
.LBB40_864:
	s_or_b64 exec, exec, s[6:7]
	s_nop 0
	v_mfma_f32_16x16x4f32 a[0:3], v10, v11, a[0:3]
	s_movk_i32 s4, 0x7f
	v_cmp_gt_i16_sdwa s[6:7], v17, s4 src0_sel:BYTE_0 src1_sel:DWORD
	s_mov_b64 s[4:5], 0
                                        ; implicit-def: $sgpr10
	s_and_saveexec_b64 s[8:9], s[6:7]
	s_xor_b64 s[6:7], exec, s[8:9]
	s_cbranch_execnz .LBB40_2913
; %bb.865:
	s_or_saveexec_b64 s[6:7], s[6:7]
	v_mov_b32_e32 v10, s10
	s_xor_b64 exec, exec, s[6:7]
	s_cbranch_execnz .LBB40_2916
.LBB40_866:
	s_or_b64 exec, exec, s[6:7]
	s_and_saveexec_b64 s[6:7], s[4:5]
	s_cbranch_execz .LBB40_868
.LBB40_867:
	v_and_b32_e32 v10, 7, v17
	v_ffbh_u32_e32 v12, v10
	v_min_u32_e32 v12, 32, v12
	v_lshrrev_b16_e32 v11, 3, v17
	v_subrev_u32_e32 v14, 28, v12
	v_and_b32_e32 v11, 15, v11
	v_lshlrev_b32_e32 v14, v14, v17
	v_sub_u32_e32 v12, 29, v12
	v_and_b32_e32 v14, 7, v14
	v_cmp_eq_u16_e32 vcc, 0, v11
	v_cndmask_b32_e32 v10, v10, v14, vcc
	v_cndmask_b32_e32 v11, v11, v12, vcc
	v_lshlrev_b32_e32 v12, 24, v17
	v_mov_b32_e32 v14, 0x3b800000
	v_lshlrev_b32_e32 v10, 20, v10
	v_and_b32_e32 v12, 0x80000000, v12
	v_lshl_add_u32 v11, v11, 23, v14
	v_or3_b32 v10, v12, v11, v10
.LBB40_868:
	s_or_b64 exec, exec, s[6:7]
	s_movk_i32 s4, 0x7f
	v_cmp_gt_i16_sdwa s[6:7], v13, s4 src0_sel:BYTE_0 src1_sel:DWORD
	s_mov_b64 s[4:5], 0
                                        ; implicit-def: $sgpr10
	s_and_saveexec_b64 s[8:9], s[6:7]
	s_xor_b64 s[6:7], exec, s[8:9]
	s_cbranch_execnz .LBB40_2917
; %bb.869:
	s_or_saveexec_b64 s[6:7], s[6:7]
	v_mov_b32_e32 v11, s10
	s_xor_b64 exec, exec, s[6:7]
	s_cbranch_execnz .LBB40_2920
.LBB40_870:
	s_or_b64 exec, exec, s[6:7]
	s_and_saveexec_b64 s[6:7], s[4:5]
	s_cbranch_execz .LBB40_872
.LBB40_871:
	v_and_b32_e32 v11, 7, v13
	v_ffbh_u32_e32 v14, v11
	v_min_u32_e32 v14, 32, v14
	v_lshrrev_b16_e32 v12, 3, v13
	v_subrev_u32_e32 v15, 28, v14
	v_and_b32_e32 v12, 15, v12
	v_lshlrev_b32_e32 v15, v15, v13
	v_sub_u32_e32 v14, 29, v14
	v_and_b32_e32 v15, 7, v15
	v_cmp_eq_u16_e32 vcc, 0, v12
	v_cndmask_b32_e32 v11, v11, v15, vcc
	v_cndmask_b32_e32 v12, v12, v14, vcc
	v_lshlrev_b32_e32 v14, 24, v13
	v_mov_b32_e32 v15, 0x3b800000
	v_lshlrev_b32_e32 v11, 20, v11
	v_and_b32_e32 v14, 0x80000000, v14
	v_lshl_add_u32 v12, v12, 23, v15
	v_or3_b32 v11, v14, v12, v11
.LBB40_872:
	s_or_b64 exec, exec, s[6:7]
	s_nop 0
	v_mfma_f32_16x16x4f32 a[0:3], v10, v11, a[0:3]
	v_lshrrev_b32_e32 v11, 8, v17
	s_movk_i32 s4, 0x7f
	v_cmp_gt_i16_sdwa s[6:7], v11, s4 src0_sel:BYTE_0 src1_sel:DWORD
	s_mov_b64 s[4:5], 0
                                        ; implicit-def: $sgpr10
	s_and_saveexec_b64 s[8:9], s[6:7]
	s_xor_b64 s[6:7], exec, s[8:9]
	s_cbranch_execnz .LBB40_2921
; %bb.873:
	s_or_saveexec_b64 s[6:7], s[6:7]
	v_mov_b32_e32 v10, s10
	s_xor_b64 exec, exec, s[6:7]
	s_cbranch_execnz .LBB40_2924
.LBB40_874:
	s_or_b64 exec, exec, s[6:7]
	s_and_saveexec_b64 s[6:7], s[4:5]
	s_cbranch_execz .LBB40_876
.LBB40_875:
	v_bfe_u32 v10, v17, 8, 3
	v_ffbh_u32_e32 v14, v10
	v_min_u32_e32 v14, 32, v14
	v_lshrrev_b16_e32 v12, 3, v11
	v_subrev_u32_e32 v15, 28, v14
	v_and_b32_e32 v12, 15, v12
	v_lshlrev_b32_e32 v11, v15, v11
	v_sub_u32_e32 v14, 29, v14
	v_and_b32_e32 v11, 7, v11
	v_cmp_eq_u16_e32 vcc, 0, v12
	v_cndmask_b32_e32 v10, v10, v11, vcc
	v_cndmask_b32_e32 v11, v12, v14, vcc
	v_lshlrev_b32_e32 v12, 16, v17
	v_mov_b32_e32 v14, 0x3b800000
	v_lshlrev_b32_e32 v10, 20, v10
	v_and_b32_e32 v12, 0x80000000, v12
	v_lshl_add_u32 v11, v11, 23, v14
	v_or3_b32 v10, v12, v11, v10
.LBB40_876:
	s_or_b64 exec, exec, s[6:7]
	v_lshrrev_b32_e32 v11, 8, v13
	s_movk_i32 s4, 0x7f
	v_cmp_gt_i16_sdwa s[6:7], v11, s4 src0_sel:BYTE_0 src1_sel:DWORD
	s_mov_b64 s[4:5], 0
                                        ; implicit-def: $sgpr10
	s_and_saveexec_b64 s[8:9], s[6:7]
	s_xor_b64 s[6:7], exec, s[8:9]
	s_cbranch_execnz .LBB40_2925
; %bb.877:
	s_or_saveexec_b64 s[6:7], s[6:7]
	v_mov_b32_e32 v12, s10
	s_xor_b64 exec, exec, s[6:7]
	s_cbranch_execnz .LBB40_2928
.LBB40_878:
	s_or_b64 exec, exec, s[6:7]
	s_and_saveexec_b64 s[6:7], s[4:5]
	s_cbranch_execz .LBB40_880
.LBB40_879:
	v_bfe_u32 v12, v13, 8, 3
	v_ffbh_u32_e32 v15, v12
	v_min_u32_e32 v15, 32, v15
	v_lshrrev_b16_e32 v14, 3, v11
	v_subrev_u32_e32 v16, 28, v15
	v_and_b32_e32 v14, 15, v14
	v_lshlrev_b32_e32 v11, v16, v11
	v_sub_u32_e32 v15, 29, v15
	v_and_b32_e32 v11, 7, v11
	v_cmp_eq_u16_e32 vcc, 0, v14
	v_cndmask_b32_e32 v11, v12, v11, vcc
	v_cndmask_b32_e32 v12, v14, v15, vcc
	v_lshlrev_b32_e32 v14, 16, v13
	v_mov_b32_e32 v15, 0x3b800000
	v_lshlrev_b32_e32 v11, 20, v11
	v_and_b32_e32 v14, 0x80000000, v14
	v_lshl_add_u32 v12, v12, 23, v15
	v_or3_b32 v12, v14, v12, v11
.LBB40_880:
	s_or_b64 exec, exec, s[6:7]
	s_nop 0
	v_mfma_f32_16x16x4f32 a[0:3], v10, v12, a[0:3]
	s_movk_i32 s4, 0xff
	v_and_b32_sdwa v11, v17, s4 dst_sel:DWORD dst_unused:UNUSED_PAD src0_sel:WORD_1 src1_sel:DWORD
	s_movk_i32 s4, 0x7f
	v_cmp_lt_i16_e32 vcc, s4, v11
	s_mov_b64 s[4:5], 0
                                        ; implicit-def: $sgpr10
	s_and_saveexec_b64 s[6:7], vcc
	s_xor_b64 s[6:7], exec, s[6:7]
	s_cbranch_execnz .LBB40_2929
; %bb.881:
	s_or_saveexec_b64 s[6:7], s[6:7]
	v_mov_b32_e32 v10, s10
	s_xor_b64 exec, exec, s[6:7]
	s_cbranch_execnz .LBB40_2932
.LBB40_882:
	s_or_b64 exec, exec, s[6:7]
	s_and_saveexec_b64 s[6:7], s[4:5]
	s_cbranch_execz .LBB40_884
.LBB40_883:
	v_bfe_u32 v10, v17, 16, 3
	v_ffbh_u32_e32 v14, v10
	v_min_u32_e32 v14, 32, v14
	v_lshrrev_b32_e32 v11, 19, v17
	v_subrev_u32_e32 v15, 28, v14
	v_and_b32_e32 v11, 15, v11
	v_lshlrev_b32_sdwa v15, v15, v17 dst_sel:DWORD dst_unused:UNUSED_PAD src0_sel:DWORD src1_sel:WORD_1
	v_bfe_u32 v12, v17, 19, 4
	v_sub_u32_e32 v14, 29, v14
	v_and_b32_e32 v15, 7, v15
	v_cmp_eq_u16_e32 vcc, 0, v11
	v_cndmask_b32_e32 v10, v10, v15, vcc
	v_cndmask_b32_e32 v11, v12, v14, vcc
	v_lshlrev_b32_e32 v12, 8, v17
	v_mov_b32_e32 v14, 0x3b800000
	v_lshlrev_b32_e32 v10, 20, v10
	v_and_b32_e32 v12, 0x80000000, v12
	v_lshl_add_u32 v11, v11, 23, v14
	v_or3_b32 v10, v12, v11, v10
.LBB40_884:
	s_or_b64 exec, exec, s[6:7]
	s_movk_i32 s4, 0xff
	v_and_b32_sdwa v11, v13, s4 dst_sel:DWORD dst_unused:UNUSED_PAD src0_sel:WORD_1 src1_sel:DWORD
	s_movk_i32 s4, 0x7f
	v_cmp_lt_i16_e32 vcc, s4, v11
	s_mov_b64 s[4:5], 0
                                        ; implicit-def: $sgpr10
	s_and_saveexec_b64 s[6:7], vcc
	s_xor_b64 s[6:7], exec, s[6:7]
	s_cbranch_execnz .LBB40_2933
; %bb.885:
	s_or_saveexec_b64 s[6:7], s[6:7]
	v_mov_b32_e32 v12, s10
	s_xor_b64 exec, exec, s[6:7]
	s_cbranch_execnz .LBB40_2936
.LBB40_886:
	s_or_b64 exec, exec, s[6:7]
	s_and_saveexec_b64 s[6:7], s[4:5]
	s_cbranch_execz .LBB40_888
.LBB40_887:
	v_bfe_u32 v11, v13, 16, 3
	v_ffbh_u32_e32 v15, v11
	v_min_u32_e32 v15, 32, v15
	v_lshrrev_b32_e32 v12, 19, v13
	v_subrev_u32_e32 v16, 28, v15
	v_and_b32_e32 v12, 15, v12
	v_lshlrev_b32_sdwa v16, v16, v13 dst_sel:DWORD dst_unused:UNUSED_PAD src0_sel:DWORD src1_sel:WORD_1
	v_bfe_u32 v14, v13, 19, 4
	v_sub_u32_e32 v15, 29, v15
	v_and_b32_e32 v16, 7, v16
	v_cmp_eq_u16_e32 vcc, 0, v12
	v_cndmask_b32_e32 v11, v11, v16, vcc
	v_cndmask_b32_e32 v12, v14, v15, vcc
	v_lshlrev_b32_e32 v14, 8, v13
	v_mov_b32_e32 v15, 0x3b800000
	v_lshlrev_b32_e32 v11, 20, v11
	v_and_b32_e32 v14, 0x80000000, v14
	v_lshl_add_u32 v12, v12, 23, v15
	v_or3_b32 v12, v14, v12, v11
.LBB40_888:
	s_or_b64 exec, exec, s[6:7]
	s_nop 0
	v_mfma_f32_16x16x4f32 a[0:3], v10, v12, a[0:3]
	s_movk_i32 s4, 0x7f
	v_cmp_gt_i16_sdwa s[6:7], v17, s4 src0_sel:BYTE_3 src1_sel:DWORD
	s_mov_b64 s[4:5], 0
                                        ; implicit-def: $sgpr10
	s_and_saveexec_b64 s[8:9], s[6:7]
	s_xor_b64 s[6:7], exec, s[8:9]
	s_cbranch_execnz .LBB40_2937
; %bb.889:
	s_or_saveexec_b64 s[6:7], s[6:7]
	v_mov_b32_e32 v10, s10
	s_xor_b64 exec, exec, s[6:7]
	s_cbranch_execnz .LBB40_2940
.LBB40_890:
	s_or_b64 exec, exec, s[6:7]
	s_and_saveexec_b64 s[6:7], s[4:5]
	s_cbranch_execz .LBB40_892
.LBB40_891:
	v_bfe_u32 v10, v17, 24, 3
	v_ffbh_u32_e32 v15, v10
	v_min_u32_e32 v15, 32, v15
	v_lshrrev_b32_e32 v12, 27, v17
	v_subrev_u32_e32 v16, 28, v15
	v_and_b32_e32 v12, 15, v12
	v_lshlrev_b32_sdwa v16, v16, v17 dst_sel:DWORD dst_unused:UNUSED_PAD src0_sel:DWORD src1_sel:BYTE_3
	v_bfe_u32 v14, v17, 27, 4
	v_sub_u32_e32 v15, 29, v15
	v_and_b32_e32 v16, 7, v16
	v_cmp_eq_u16_e32 vcc, 0, v12
	v_cndmask_b32_e32 v10, v10, v16, vcc
	v_cndmask_b32_e32 v12, v14, v15, vcc
	v_mov_b32_e32 v14, 0x3b800000
	v_and_b32_e32 v11, 0x80000000, v17
	v_lshlrev_b32_e32 v10, 20, v10
	v_lshl_add_u32 v12, v12, 23, v14
	v_or3_b32 v10, v11, v12, v10
.LBB40_892:
	s_or_b64 exec, exec, s[6:7]
	s_movk_i32 s4, 0x7f
	v_cmp_gt_i16_sdwa s[6:7], v13, s4 src0_sel:BYTE_3 src1_sel:DWORD
	s_mov_b64 s[4:5], 0
                                        ; implicit-def: $sgpr10
	s_and_saveexec_b64 s[8:9], s[6:7]
	s_xor_b64 s[6:7], exec, s[8:9]
	s_cbranch_execnz .LBB40_2941
; %bb.893:
	s_or_saveexec_b64 s[6:7], s[6:7]
	v_mov_b32_e32 v11, s10
	s_xor_b64 exec, exec, s[6:7]
	s_cbranch_execnz .LBB40_2944
.LBB40_894:
	s_or_b64 exec, exec, s[6:7]
	s_and_saveexec_b64 s[6:7], s[4:5]
	s_cbranch_execz .LBB40_896
.LBB40_895:
	v_bfe_u32 v11, v13, 24, 3
	v_ffbh_u32_e32 v16, v11
	v_min_u32_e32 v16, 32, v16
	v_lshrrev_b32_e32 v14, 27, v13
	v_subrev_u32_e32 v17, 28, v16
	v_and_b32_e32 v12, 0x80000000, v13
	v_and_b32_e32 v14, 15, v14
	v_bfe_u32 v15, v13, 27, 4
	v_lshlrev_b32_sdwa v13, v17, v13 dst_sel:DWORD dst_unused:UNUSED_PAD src0_sel:DWORD src1_sel:BYTE_3
	v_sub_u32_e32 v16, 29, v16
	v_and_b32_e32 v13, 7, v13
	v_cmp_eq_u16_e32 vcc, 0, v14
	v_cndmask_b32_e32 v11, v11, v13, vcc
	v_cndmask_b32_e32 v13, v15, v16, vcc
	v_mov_b32_e32 v14, 0x3b800000
	v_lshlrev_b32_e32 v11, 20, v11
	v_lshl_add_u32 v13, v13, 23, v14
	v_or3_b32 v11, v12, v13, v11
.LBB40_896:
	s_or_b64 exec, exec, s[6:7]
	s_nop 0
	v_mfma_f32_16x16x4f32 a[0:3], v10, v11, a[0:3]
	s_movk_i32 s4, 0x7f
	v_cmp_gt_i16_sdwa s[6:7], v6, s4 src0_sel:BYTE_0 src1_sel:DWORD
	s_mov_b64 s[4:5], 0
                                        ; implicit-def: $sgpr10
	s_and_saveexec_b64 s[8:9], s[6:7]
	s_xor_b64 s[6:7], exec, s[8:9]
	s_cbranch_execnz .LBB40_2945
; %bb.897:
	s_or_saveexec_b64 s[6:7], s[6:7]
	v_mov_b32_e32 v10, s10
	s_xor_b64 exec, exec, s[6:7]
	s_cbranch_execnz .LBB40_2948
.LBB40_898:
	s_or_b64 exec, exec, s[6:7]
	s_and_saveexec_b64 s[6:7], s[4:5]
	s_cbranch_execz .LBB40_900
.LBB40_899:
	v_and_b32_e32 v10, 7, v6
	v_ffbh_u32_e32 v12, v10
	v_min_u32_e32 v12, 32, v12
	v_lshrrev_b16_e32 v11, 3, v6
	v_subrev_u32_e32 v13, 28, v12
	v_and_b32_e32 v11, 15, v11
	v_lshlrev_b32_e32 v13, v13, v6
	v_sub_u32_e32 v12, 29, v12
	v_and_b32_e32 v13, 7, v13
	v_cmp_eq_u16_e32 vcc, 0, v11
	v_cndmask_b32_e32 v10, v10, v13, vcc
	v_cndmask_b32_e32 v11, v11, v12, vcc
	v_lshlrev_b32_e32 v12, 24, v6
	v_mov_b32_e32 v13, 0x3b800000
	v_lshlrev_b32_e32 v10, 20, v10
	v_and_b32_e32 v12, 0x80000000, v12
	v_lshl_add_u32 v11, v11, 23, v13
	v_or3_b32 v10, v12, v11, v10
.LBB40_900:
	s_or_b64 exec, exec, s[6:7]
	s_movk_i32 s4, 0x7f
	v_cmp_gt_i16_sdwa s[6:7], v2, s4 src0_sel:BYTE_0 src1_sel:DWORD
	s_mov_b64 s[4:5], 0
                                        ; implicit-def: $sgpr10
	s_and_saveexec_b64 s[8:9], s[6:7]
	s_xor_b64 s[6:7], exec, s[8:9]
	s_cbranch_execnz .LBB40_2949
; %bb.901:
	s_or_saveexec_b64 s[6:7], s[6:7]
	v_mov_b32_e32 v11, s10
	s_xor_b64 exec, exec, s[6:7]
	s_cbranch_execnz .LBB40_2952
.LBB40_902:
	s_or_b64 exec, exec, s[6:7]
	s_and_saveexec_b64 s[6:7], s[4:5]
	s_cbranch_execz .LBB40_904
.LBB40_903:
	v_and_b32_e32 v11, 7, v2
	v_ffbh_u32_e32 v13, v11
	v_min_u32_e32 v13, 32, v13
	v_lshrrev_b16_e32 v12, 3, v2
	v_subrev_u32_e32 v14, 28, v13
	v_and_b32_e32 v12, 15, v12
	v_lshlrev_b32_e32 v14, v14, v2
	v_sub_u32_e32 v13, 29, v13
	v_and_b32_e32 v14, 7, v14
	v_cmp_eq_u16_e32 vcc, 0, v12
	v_cndmask_b32_e32 v11, v11, v14, vcc
	v_cndmask_b32_e32 v12, v12, v13, vcc
	v_lshlrev_b32_e32 v13, 24, v2
	v_mov_b32_e32 v14, 0x3b800000
	v_lshlrev_b32_e32 v11, 20, v11
	v_and_b32_e32 v13, 0x80000000, v13
	v_lshl_add_u32 v12, v12, 23, v14
	v_or3_b32 v11, v13, v12, v11
.LBB40_904:
	s_or_b64 exec, exec, s[6:7]
	s_nop 0
	v_mfma_f32_16x16x4f32 a[0:3], v10, v11, a[0:3]
	v_lshrrev_b32_e32 v11, 8, v6
	s_movk_i32 s4, 0x7f
	v_cmp_gt_i16_sdwa s[6:7], v11, s4 src0_sel:BYTE_0 src1_sel:DWORD
	s_mov_b64 s[4:5], 0
                                        ; implicit-def: $sgpr10
	s_and_saveexec_b64 s[8:9], s[6:7]
	s_xor_b64 s[6:7], exec, s[8:9]
	s_cbranch_execnz .LBB40_2953
; %bb.905:
	s_or_saveexec_b64 s[6:7], s[6:7]
	v_mov_b32_e32 v10, s10
	s_xor_b64 exec, exec, s[6:7]
	s_cbranch_execnz .LBB40_2956
.LBB40_906:
	s_or_b64 exec, exec, s[6:7]
	s_and_saveexec_b64 s[6:7], s[4:5]
	s_cbranch_execz .LBB40_908
.LBB40_907:
	v_bfe_u32 v10, v6, 8, 3
	v_ffbh_u32_e32 v13, v10
	v_min_u32_e32 v13, 32, v13
	v_lshrrev_b16_e32 v12, 3, v11
	v_subrev_u32_e32 v14, 28, v13
	v_and_b32_e32 v12, 15, v12
	v_lshlrev_b32_e32 v11, v14, v11
	v_sub_u32_e32 v13, 29, v13
	v_and_b32_e32 v11, 7, v11
	v_cmp_eq_u16_e32 vcc, 0, v12
	v_cndmask_b32_e32 v10, v10, v11, vcc
	v_cndmask_b32_e32 v11, v12, v13, vcc
	v_lshlrev_b32_e32 v12, 16, v6
	v_mov_b32_e32 v13, 0x3b800000
	v_lshlrev_b32_e32 v10, 20, v10
	v_and_b32_e32 v12, 0x80000000, v12
	v_lshl_add_u32 v11, v11, 23, v13
	v_or3_b32 v10, v12, v11, v10
.LBB40_908:
	s_or_b64 exec, exec, s[6:7]
	v_lshrrev_b32_e32 v11, 8, v2
	s_movk_i32 s4, 0x7f
	v_cmp_gt_i16_sdwa s[6:7], v11, s4 src0_sel:BYTE_0 src1_sel:DWORD
	s_mov_b64 s[4:5], 0
                                        ; implicit-def: $sgpr10
	s_and_saveexec_b64 s[8:9], s[6:7]
	s_xor_b64 s[6:7], exec, s[8:9]
	s_cbranch_execnz .LBB40_2957
; %bb.909:
	s_or_saveexec_b64 s[6:7], s[6:7]
	v_mov_b32_e32 v12, s10
	s_xor_b64 exec, exec, s[6:7]
	s_cbranch_execnz .LBB40_2960
.LBB40_910:
	s_or_b64 exec, exec, s[6:7]
	s_and_saveexec_b64 s[6:7], s[4:5]
	s_cbranch_execz .LBB40_912
.LBB40_911:
	v_bfe_u32 v12, v2, 8, 3
	v_ffbh_u32_e32 v14, v12
	v_min_u32_e32 v14, 32, v14
	v_lshrrev_b16_e32 v13, 3, v11
	v_subrev_u32_e32 v15, 28, v14
	v_and_b32_e32 v13, 15, v13
	v_lshlrev_b32_e32 v11, v15, v11
	v_sub_u32_e32 v14, 29, v14
	v_and_b32_e32 v11, 7, v11
	v_cmp_eq_u16_e32 vcc, 0, v13
	v_cndmask_b32_e32 v11, v12, v11, vcc
	v_cndmask_b32_e32 v12, v13, v14, vcc
	v_lshlrev_b32_e32 v13, 16, v2
	v_mov_b32_e32 v14, 0x3b800000
	v_lshlrev_b32_e32 v11, 20, v11
	v_and_b32_e32 v13, 0x80000000, v13
	v_lshl_add_u32 v12, v12, 23, v14
	v_or3_b32 v12, v13, v12, v11
.LBB40_912:
	s_or_b64 exec, exec, s[6:7]
	s_nop 0
	v_mfma_f32_16x16x4f32 a[0:3], v10, v12, a[0:3]
	s_movk_i32 s4, 0xff
	v_and_b32_sdwa v11, v6, s4 dst_sel:DWORD dst_unused:UNUSED_PAD src0_sel:WORD_1 src1_sel:DWORD
	s_movk_i32 s4, 0x7f
	v_cmp_lt_i16_e32 vcc, s4, v11
	s_mov_b64 s[4:5], 0
                                        ; implicit-def: $sgpr10
	s_and_saveexec_b64 s[6:7], vcc
	s_xor_b64 s[6:7], exec, s[6:7]
	s_cbranch_execnz .LBB40_2961
; %bb.913:
	s_or_saveexec_b64 s[6:7], s[6:7]
	v_mov_b32_e32 v10, s10
	s_xor_b64 exec, exec, s[6:7]
	s_cbranch_execnz .LBB40_2964
.LBB40_914:
	s_or_b64 exec, exec, s[6:7]
	s_and_saveexec_b64 s[6:7], s[4:5]
	s_cbranch_execz .LBB40_916
.LBB40_915:
	v_bfe_u32 v10, v6, 16, 3
	v_ffbh_u32_e32 v13, v10
	v_min_u32_e32 v13, 32, v13
	v_lshrrev_b32_e32 v11, 19, v6
	v_subrev_u32_e32 v14, 28, v13
	v_and_b32_e32 v11, 15, v11
	v_lshlrev_b32_sdwa v14, v14, v6 dst_sel:DWORD dst_unused:UNUSED_PAD src0_sel:DWORD src1_sel:WORD_1
	v_bfe_u32 v12, v6, 19, 4
	v_sub_u32_e32 v13, 29, v13
	v_and_b32_e32 v14, 7, v14
	v_cmp_eq_u16_e32 vcc, 0, v11
	v_cndmask_b32_e32 v10, v10, v14, vcc
	v_cndmask_b32_e32 v11, v12, v13, vcc
	v_lshlrev_b32_e32 v12, 8, v6
	v_mov_b32_e32 v13, 0x3b800000
	v_lshlrev_b32_e32 v10, 20, v10
	v_and_b32_e32 v12, 0x80000000, v12
	v_lshl_add_u32 v11, v11, 23, v13
	v_or3_b32 v10, v12, v11, v10
.LBB40_916:
	s_or_b64 exec, exec, s[6:7]
	s_movk_i32 s4, 0xff
	v_and_b32_sdwa v11, v2, s4 dst_sel:DWORD dst_unused:UNUSED_PAD src0_sel:WORD_1 src1_sel:DWORD
	s_movk_i32 s4, 0x7f
	v_cmp_lt_i16_e32 vcc, s4, v11
	s_mov_b64 s[4:5], 0
                                        ; implicit-def: $sgpr10
	s_and_saveexec_b64 s[6:7], vcc
	s_xor_b64 s[6:7], exec, s[6:7]
	s_cbranch_execnz .LBB40_2965
; %bb.917:
	s_or_saveexec_b64 s[6:7], s[6:7]
	v_mov_b32_e32 v12, s10
	s_xor_b64 exec, exec, s[6:7]
	s_cbranch_execnz .LBB40_2968
.LBB40_918:
	s_or_b64 exec, exec, s[6:7]
	s_and_saveexec_b64 s[6:7], s[4:5]
	s_cbranch_execz .LBB40_920
.LBB40_919:
	v_bfe_u32 v11, v2, 16, 3
	v_ffbh_u32_e32 v14, v11
	v_min_u32_e32 v14, 32, v14
	v_lshrrev_b32_e32 v12, 19, v2
	v_subrev_u32_e32 v15, 28, v14
	v_and_b32_e32 v12, 15, v12
	v_lshlrev_b32_sdwa v15, v15, v2 dst_sel:DWORD dst_unused:UNUSED_PAD src0_sel:DWORD src1_sel:WORD_1
	v_bfe_u32 v13, v2, 19, 4
	v_sub_u32_e32 v14, 29, v14
	v_and_b32_e32 v15, 7, v15
	v_cmp_eq_u16_e32 vcc, 0, v12
	v_cndmask_b32_e32 v11, v11, v15, vcc
	v_cndmask_b32_e32 v12, v13, v14, vcc
	v_lshlrev_b32_e32 v13, 8, v2
	v_mov_b32_e32 v14, 0x3b800000
	v_lshlrev_b32_e32 v11, 20, v11
	v_and_b32_e32 v13, 0x80000000, v13
	v_lshl_add_u32 v12, v12, 23, v14
	v_or3_b32 v12, v13, v12, v11
.LBB40_920:
	s_or_b64 exec, exec, s[6:7]
	s_nop 0
	v_mfma_f32_16x16x4f32 a[0:3], v10, v12, a[0:3]
	s_movk_i32 s4, 0x7f
	v_cmp_gt_i16_sdwa s[6:7], v6, s4 src0_sel:BYTE_3 src1_sel:DWORD
	s_mov_b64 s[4:5], 0
                                        ; implicit-def: $sgpr10
	s_and_saveexec_b64 s[8:9], s[6:7]
	s_xor_b64 s[6:7], exec, s[8:9]
	s_cbranch_execnz .LBB40_2969
; %bb.921:
	s_or_saveexec_b64 s[6:7], s[6:7]
	v_mov_b32_e32 v10, s10
	s_xor_b64 exec, exec, s[6:7]
	s_cbranch_execnz .LBB40_2972
.LBB40_922:
	s_or_b64 exec, exec, s[6:7]
	s_and_saveexec_b64 s[6:7], s[4:5]
	s_cbranch_execz .LBB40_924
.LBB40_923:
	v_bfe_u32 v10, v6, 24, 3
	v_ffbh_u32_e32 v14, v10
	v_min_u32_e32 v14, 32, v14
	v_lshrrev_b32_e32 v12, 27, v6
	v_subrev_u32_e32 v15, 28, v14
	v_and_b32_e32 v11, 0x80000000, v6
	v_and_b32_e32 v12, 15, v12
	v_bfe_u32 v13, v6, 27, 4
	v_lshlrev_b32_sdwa v6, v15, v6 dst_sel:DWORD dst_unused:UNUSED_PAD src0_sel:DWORD src1_sel:BYTE_3
	v_sub_u32_e32 v14, 29, v14
	v_and_b32_e32 v6, 7, v6
	v_cmp_eq_u16_e32 vcc, 0, v12
	v_cndmask_b32_e32 v6, v10, v6, vcc
	v_cndmask_b32_e32 v10, v13, v14, vcc
	v_mov_b32_e32 v12, 0x3b800000
	v_lshlrev_b32_e32 v6, 20, v6
	v_lshl_add_u32 v10, v10, 23, v12
	v_or3_b32 v10, v11, v10, v6
.LBB40_924:
	s_or_b64 exec, exec, s[6:7]
	s_movk_i32 s4, 0x7f
	v_cmp_gt_i16_sdwa s[6:7], v2, s4 src0_sel:BYTE_3 src1_sel:DWORD
	s_mov_b64 s[4:5], 0
                                        ; implicit-def: $sgpr10
	s_and_saveexec_b64 s[8:9], s[6:7]
	s_xor_b64 s[6:7], exec, s[8:9]
	s_cbranch_execnz .LBB40_2973
; %bb.925:
	s_or_saveexec_b64 s[6:7], s[6:7]
	v_mov_b32_e32 v6, s10
	s_xor_b64 exec, exec, s[6:7]
	s_cbranch_execnz .LBB40_2976
.LBB40_926:
	s_or_b64 exec, exec, s[6:7]
	s_and_saveexec_b64 s[6:7], s[4:5]
	s_cbranch_execz .LBB40_928
.LBB40_927:
	v_bfe_u32 v6, v2, 24, 3
	v_ffbh_u32_e32 v14, v6
	v_min_u32_e32 v14, 32, v14
	v_lshrrev_b32_e32 v12, 27, v2
	v_subrev_u32_e32 v15, 28, v14
	v_and_b32_e32 v11, 0x80000000, v2
	v_and_b32_e32 v12, 15, v12
	v_bfe_u32 v13, v2, 27, 4
	v_lshlrev_b32_sdwa v2, v15, v2 dst_sel:DWORD dst_unused:UNUSED_PAD src0_sel:DWORD src1_sel:BYTE_3
	v_sub_u32_e32 v14, 29, v14
	v_and_b32_e32 v2, 7, v2
	v_cmp_eq_u16_e32 vcc, 0, v12
	v_cndmask_b32_e32 v2, v6, v2, vcc
	v_cndmask_b32_e32 v6, v13, v14, vcc
	v_mov_b32_e32 v12, 0x3b800000
	v_lshlrev_b32_e32 v2, 20, v2
	v_lshl_add_u32 v6, v6, 23, v12
	v_or3_b32 v6, v11, v6, v2
.LBB40_928:
	s_or_b64 exec, exec, s[6:7]
	s_nop 0
	v_mfma_f32_16x16x4f32 a[0:3], v10, v6, a[0:3]
	s_movk_i32 s4, 0x7f
	v_cmp_gt_i16_sdwa s[6:7], v7, s4 src0_sel:BYTE_0 src1_sel:DWORD
	s_mov_b64 s[4:5], 0
                                        ; implicit-def: $sgpr10
	s_and_saveexec_b64 s[8:9], s[6:7]
	s_xor_b64 s[6:7], exec, s[8:9]
	s_cbranch_execnz .LBB40_2977
; %bb.929:
	s_or_saveexec_b64 s[6:7], s[6:7]
	v_mov_b32_e32 v2, s10
	s_xor_b64 exec, exec, s[6:7]
	s_cbranch_execnz .LBB40_2980
.LBB40_930:
	s_or_b64 exec, exec, s[6:7]
	s_and_saveexec_b64 s[6:7], s[4:5]
	s_cbranch_execz .LBB40_932
.LBB40_931:
	v_and_b32_e32 v2, 7, v7
	v_ffbh_u32_e32 v10, v2
	v_min_u32_e32 v10, 32, v10
	v_lshrrev_b16_e32 v6, 3, v7
	v_subrev_u32_e32 v11, 28, v10
	v_and_b32_e32 v6, 15, v6
	v_lshlrev_b32_e32 v11, v11, v7
	v_sub_u32_e32 v10, 29, v10
	v_and_b32_e32 v11, 7, v11
	v_cmp_eq_u16_e32 vcc, 0, v6
	v_cndmask_b32_e32 v2, v2, v11, vcc
	v_cndmask_b32_e32 v6, v6, v10, vcc
	v_lshlrev_b32_e32 v10, 24, v7
	v_mov_b32_e32 v11, 0x3b800000
	v_lshlrev_b32_e32 v2, 20, v2
	v_and_b32_e32 v10, 0x80000000, v10
	v_lshl_add_u32 v6, v6, 23, v11
	v_or3_b32 v2, v10, v6, v2
.LBB40_932:
	s_or_b64 exec, exec, s[6:7]
	s_movk_i32 s4, 0x7f
	v_cmp_gt_i16_sdwa s[6:7], v3, s4 src0_sel:BYTE_0 src1_sel:DWORD
	s_mov_b64 s[4:5], 0
                                        ; implicit-def: $sgpr10
	s_and_saveexec_b64 s[8:9], s[6:7]
	s_xor_b64 s[6:7], exec, s[8:9]
	s_cbranch_execnz .LBB40_2981
; %bb.933:
	s_or_saveexec_b64 s[6:7], s[6:7]
	v_mov_b32_e32 v6, s10
	s_xor_b64 exec, exec, s[6:7]
	s_cbranch_execnz .LBB40_2984
.LBB40_934:
	s_or_b64 exec, exec, s[6:7]
	s_and_saveexec_b64 s[6:7], s[4:5]
	s_cbranch_execz .LBB40_936
.LBB40_935:
	v_and_b32_e32 v6, 7, v3
	v_ffbh_u32_e32 v11, v6
	v_min_u32_e32 v11, 32, v11
	v_lshrrev_b16_e32 v10, 3, v3
	v_subrev_u32_e32 v12, 28, v11
	v_and_b32_e32 v10, 15, v10
	v_lshlrev_b32_e32 v12, v12, v3
	v_sub_u32_e32 v11, 29, v11
	v_and_b32_e32 v12, 7, v12
	v_cmp_eq_u16_e32 vcc, 0, v10
	v_cndmask_b32_e32 v6, v6, v12, vcc
	v_cndmask_b32_e32 v10, v10, v11, vcc
	v_lshlrev_b32_e32 v11, 24, v3
	v_mov_b32_e32 v12, 0x3b800000
	v_lshlrev_b32_e32 v6, 20, v6
	v_and_b32_e32 v11, 0x80000000, v11
	v_lshl_add_u32 v10, v10, 23, v12
	v_or3_b32 v6, v11, v10, v6
.LBB40_936:
	s_or_b64 exec, exec, s[6:7]
	s_nop 0
	v_mfma_f32_16x16x4f32 a[0:3], v2, v6, a[0:3]
	v_lshrrev_b32_e32 v6, 8, v7
	s_movk_i32 s4, 0x7f
	v_cmp_gt_i16_sdwa s[6:7], v6, s4 src0_sel:BYTE_0 src1_sel:DWORD
	s_mov_b64 s[4:5], 0
                                        ; implicit-def: $sgpr10
	s_and_saveexec_b64 s[8:9], s[6:7]
	s_xor_b64 s[6:7], exec, s[8:9]
	s_cbranch_execnz .LBB40_2985
; %bb.937:
	s_or_saveexec_b64 s[6:7], s[6:7]
	v_mov_b32_e32 v2, s10
	s_xor_b64 exec, exec, s[6:7]
	s_cbranch_execnz .LBB40_2988
.LBB40_938:
	s_or_b64 exec, exec, s[6:7]
	s_and_saveexec_b64 s[6:7], s[4:5]
	s_cbranch_execz .LBB40_940
.LBB40_939:
	v_bfe_u32 v2, v7, 8, 3
	v_ffbh_u32_e32 v11, v2
	v_min_u32_e32 v11, 32, v11
	v_lshrrev_b16_e32 v10, 3, v6
	v_subrev_u32_e32 v12, 28, v11
	v_and_b32_e32 v10, 15, v10
	v_lshlrev_b32_e32 v6, v12, v6
	v_sub_u32_e32 v11, 29, v11
	v_and_b32_e32 v6, 7, v6
	v_cmp_eq_u16_e32 vcc, 0, v10
	v_cndmask_b32_e32 v2, v2, v6, vcc
	v_cndmask_b32_e32 v6, v10, v11, vcc
	v_lshlrev_b32_e32 v10, 16, v7
	v_mov_b32_e32 v11, 0x3b800000
	v_lshlrev_b32_e32 v2, 20, v2
	v_and_b32_e32 v10, 0x80000000, v10
	v_lshl_add_u32 v6, v6, 23, v11
	v_or3_b32 v2, v10, v6, v2
.LBB40_940:
	s_or_b64 exec, exec, s[6:7]
	v_lshrrev_b32_e32 v6, 8, v3
	s_movk_i32 s4, 0x7f
	v_cmp_gt_i16_sdwa s[6:7], v6, s4 src0_sel:BYTE_0 src1_sel:DWORD
	s_mov_b64 s[4:5], 0
                                        ; implicit-def: $sgpr10
	s_and_saveexec_b64 s[8:9], s[6:7]
	s_xor_b64 s[6:7], exec, s[8:9]
	s_cbranch_execnz .LBB40_2989
; %bb.941:
	s_or_saveexec_b64 s[6:7], s[6:7]
	v_mov_b32_e32 v10, s10
	s_xor_b64 exec, exec, s[6:7]
	s_cbranch_execnz .LBB40_2992
.LBB40_942:
	s_or_b64 exec, exec, s[6:7]
	s_and_saveexec_b64 s[6:7], s[4:5]
	s_cbranch_execz .LBB40_944
.LBB40_943:
	v_bfe_u32 v10, v3, 8, 3
	v_ffbh_u32_e32 v12, v10
	v_min_u32_e32 v12, 32, v12
	v_lshrrev_b16_e32 v11, 3, v6
	v_subrev_u32_e32 v13, 28, v12
	v_and_b32_e32 v11, 15, v11
	v_lshlrev_b32_e32 v6, v13, v6
	v_sub_u32_e32 v12, 29, v12
	v_and_b32_e32 v6, 7, v6
	v_cmp_eq_u16_e32 vcc, 0, v11
	v_cndmask_b32_e32 v6, v10, v6, vcc
	v_cndmask_b32_e32 v10, v11, v12, vcc
	v_lshlrev_b32_e32 v11, 16, v3
	v_mov_b32_e32 v12, 0x3b800000
	v_lshlrev_b32_e32 v6, 20, v6
	v_and_b32_e32 v11, 0x80000000, v11
	v_lshl_add_u32 v10, v10, 23, v12
	v_or3_b32 v10, v11, v10, v6
.LBB40_944:
	s_or_b64 exec, exec, s[6:7]
	s_nop 0
	v_mfma_f32_16x16x4f32 a[0:3], v2, v10, a[0:3]
	s_movk_i32 s4, 0xff
	v_and_b32_sdwa v6, v7, s4 dst_sel:DWORD dst_unused:UNUSED_PAD src0_sel:WORD_1 src1_sel:DWORD
	s_movk_i32 s4, 0x7f
	v_cmp_lt_i16_e32 vcc, s4, v6
	s_mov_b64 s[4:5], 0
                                        ; implicit-def: $sgpr10
	s_and_saveexec_b64 s[6:7], vcc
	s_xor_b64 s[6:7], exec, s[6:7]
	s_cbranch_execnz .LBB40_2993
; %bb.945:
	s_or_saveexec_b64 s[6:7], s[6:7]
	v_mov_b32_e32 v2, s10
	s_xor_b64 exec, exec, s[6:7]
	s_cbranch_execnz .LBB40_2996
.LBB40_946:
	s_or_b64 exec, exec, s[6:7]
	s_and_saveexec_b64 s[6:7], s[4:5]
	s_cbranch_execz .LBB40_948
.LBB40_947:
	v_bfe_u32 v2, v7, 16, 3
	v_ffbh_u32_e32 v11, v2
	v_min_u32_e32 v11, 32, v11
	v_lshrrev_b32_e32 v6, 19, v7
	v_subrev_u32_e32 v12, 28, v11
	v_and_b32_e32 v6, 15, v6
	v_lshlrev_b32_sdwa v12, v12, v7 dst_sel:DWORD dst_unused:UNUSED_PAD src0_sel:DWORD src1_sel:WORD_1
	v_bfe_u32 v10, v7, 19, 4
	v_sub_u32_e32 v11, 29, v11
	v_and_b32_e32 v12, 7, v12
	v_cmp_eq_u16_e32 vcc, 0, v6
	v_cndmask_b32_e32 v2, v2, v12, vcc
	v_cndmask_b32_e32 v6, v10, v11, vcc
	v_lshlrev_b32_e32 v10, 8, v7
	v_mov_b32_e32 v11, 0x3b800000
	v_lshlrev_b32_e32 v2, 20, v2
	v_and_b32_e32 v10, 0x80000000, v10
	v_lshl_add_u32 v6, v6, 23, v11
	v_or3_b32 v2, v10, v6, v2
.LBB40_948:
	s_or_b64 exec, exec, s[6:7]
	s_movk_i32 s4, 0xff
	v_and_b32_sdwa v6, v3, s4 dst_sel:DWORD dst_unused:UNUSED_PAD src0_sel:WORD_1 src1_sel:DWORD
	s_movk_i32 s4, 0x7f
	v_cmp_lt_i16_e32 vcc, s4, v6
	s_mov_b64 s[4:5], 0
                                        ; implicit-def: $sgpr10
	s_and_saveexec_b64 s[6:7], vcc
	s_xor_b64 s[6:7], exec, s[6:7]
	s_cbranch_execnz .LBB40_2997
; %bb.949:
	s_or_saveexec_b64 s[6:7], s[6:7]
	v_mov_b32_e32 v10, s10
	s_xor_b64 exec, exec, s[6:7]
	s_cbranch_execnz .LBB40_3000
.LBB40_950:
	s_or_b64 exec, exec, s[6:7]
	s_and_saveexec_b64 s[6:7], s[4:5]
	s_cbranch_execz .LBB40_952
.LBB40_951:
	v_bfe_u32 v6, v3, 16, 3
	v_ffbh_u32_e32 v12, v6
	v_min_u32_e32 v12, 32, v12
	v_lshrrev_b32_e32 v10, 19, v3
	v_subrev_u32_e32 v13, 28, v12
	v_and_b32_e32 v10, 15, v10
	v_lshlrev_b32_sdwa v13, v13, v3 dst_sel:DWORD dst_unused:UNUSED_PAD src0_sel:DWORD src1_sel:WORD_1
	v_bfe_u32 v11, v3, 19, 4
	v_sub_u32_e32 v12, 29, v12
	v_and_b32_e32 v13, 7, v13
	v_cmp_eq_u16_e32 vcc, 0, v10
	v_cndmask_b32_e32 v6, v6, v13, vcc
	v_cndmask_b32_e32 v10, v11, v12, vcc
	v_lshlrev_b32_e32 v11, 8, v3
	v_mov_b32_e32 v12, 0x3b800000
	v_lshlrev_b32_e32 v6, 20, v6
	v_and_b32_e32 v11, 0x80000000, v11
	v_lshl_add_u32 v10, v10, 23, v12
	v_or3_b32 v10, v11, v10, v6
.LBB40_952:
	s_or_b64 exec, exec, s[6:7]
	s_nop 0
	v_mfma_f32_16x16x4f32 a[0:3], v2, v10, a[0:3]
	s_movk_i32 s4, 0x7f
	v_cmp_gt_i16_sdwa s[6:7], v7, s4 src0_sel:BYTE_3 src1_sel:DWORD
	s_mov_b64 s[4:5], 0
                                        ; implicit-def: $sgpr10
	s_and_saveexec_b64 s[8:9], s[6:7]
	s_xor_b64 s[6:7], exec, s[8:9]
	s_cbranch_execnz .LBB40_3001
; %bb.953:
	s_or_saveexec_b64 s[6:7], s[6:7]
	v_mov_b32_e32 v2, s10
	s_xor_b64 exec, exec, s[6:7]
	s_cbranch_execnz .LBB40_3004
.LBB40_954:
	s_or_b64 exec, exec, s[6:7]
	s_and_saveexec_b64 s[6:7], s[4:5]
	s_cbranch_execz .LBB40_956
.LBB40_955:
	v_bfe_u32 v2, v7, 24, 3
	v_ffbh_u32_e32 v12, v2
	v_min_u32_e32 v12, 32, v12
	v_lshrrev_b32_e32 v10, 27, v7
	v_subrev_u32_e32 v13, 28, v12
	v_and_b32_e32 v6, 0x80000000, v7
	v_and_b32_e32 v10, 15, v10
	v_bfe_u32 v11, v7, 27, 4
	v_lshlrev_b32_sdwa v7, v13, v7 dst_sel:DWORD dst_unused:UNUSED_PAD src0_sel:DWORD src1_sel:BYTE_3
	v_sub_u32_e32 v12, 29, v12
	v_and_b32_e32 v7, 7, v7
	v_cmp_eq_u16_e32 vcc, 0, v10
	v_cndmask_b32_e32 v2, v2, v7, vcc
	v_cndmask_b32_e32 v7, v11, v12, vcc
	v_mov_b32_e32 v10, 0x3b800000
	v_lshlrev_b32_e32 v2, 20, v2
	v_lshl_add_u32 v7, v7, 23, v10
	v_or3_b32 v2, v6, v7, v2
.LBB40_956:
	s_or_b64 exec, exec, s[6:7]
	s_movk_i32 s4, 0x7f
	v_cmp_gt_i16_sdwa s[6:7], v3, s4 src0_sel:BYTE_3 src1_sel:DWORD
	s_mov_b64 s[4:5], 0
                                        ; implicit-def: $sgpr10
	s_and_saveexec_b64 s[8:9], s[6:7]
	s_xor_b64 s[6:7], exec, s[8:9]
	s_cbranch_execnz .LBB40_3005
; %bb.957:
	s_or_saveexec_b64 s[6:7], s[6:7]
	v_mov_b32_e32 v6, s10
	s_xor_b64 exec, exec, s[6:7]
	s_cbranch_execnz .LBB40_3008
.LBB40_958:
	s_or_b64 exec, exec, s[6:7]
	s_and_saveexec_b64 s[6:7], s[4:5]
	s_cbranch_execz .LBB40_960
.LBB40_959:
	v_bfe_u32 v6, v3, 24, 3
	v_ffbh_u32_e32 v12, v6
	v_min_u32_e32 v12, 32, v12
	v_lshrrev_b32_e32 v10, 27, v3
	v_subrev_u32_e32 v13, 28, v12
	v_and_b32_e32 v7, 0x80000000, v3
	v_and_b32_e32 v10, 15, v10
	v_bfe_u32 v11, v3, 27, 4
	v_lshlrev_b32_sdwa v3, v13, v3 dst_sel:DWORD dst_unused:UNUSED_PAD src0_sel:DWORD src1_sel:BYTE_3
	v_sub_u32_e32 v12, 29, v12
	v_and_b32_e32 v3, 7, v3
	v_cmp_eq_u16_e32 vcc, 0, v10
	v_cndmask_b32_e32 v3, v6, v3, vcc
	v_cndmask_b32_e32 v6, v11, v12, vcc
	v_mov_b32_e32 v10, 0x3b800000
	v_lshlrev_b32_e32 v3, 20, v3
	v_lshl_add_u32 v6, v6, 23, v10
	v_or3_b32 v6, v7, v6, v3
.LBB40_960:
	s_or_b64 exec, exec, s[6:7]
	s_nop 0
	v_mfma_f32_16x16x4f32 a[0:3], v2, v6, a[0:3]
	s_movk_i32 s4, 0x7f
	v_cmp_gt_i16_sdwa s[6:7], v8, s4 src0_sel:BYTE_0 src1_sel:DWORD
	s_mov_b64 s[4:5], 0
                                        ; implicit-def: $sgpr10
	s_and_saveexec_b64 s[8:9], s[6:7]
	s_xor_b64 s[6:7], exec, s[8:9]
	s_cbranch_execnz .LBB40_3009
; %bb.961:
	s_or_saveexec_b64 s[6:7], s[6:7]
	v_mov_b32_e32 v2, s10
	s_xor_b64 exec, exec, s[6:7]
	s_cbranch_execnz .LBB40_3012
.LBB40_962:
	s_or_b64 exec, exec, s[6:7]
	s_and_saveexec_b64 s[6:7], s[4:5]
	s_cbranch_execz .LBB40_964
.LBB40_963:
	v_and_b32_e32 v2, 7, v8
	v_ffbh_u32_e32 v6, v2
	v_min_u32_e32 v6, 32, v6
	v_lshrrev_b16_e32 v3, 3, v8
	v_subrev_u32_e32 v7, 28, v6
	v_and_b32_e32 v3, 15, v3
	v_lshlrev_b32_e32 v7, v7, v8
	v_sub_u32_e32 v6, 29, v6
	v_and_b32_e32 v7, 7, v7
	v_cmp_eq_u16_e32 vcc, 0, v3
	v_cndmask_b32_e32 v2, v2, v7, vcc
	v_cndmask_b32_e32 v3, v3, v6, vcc
	v_lshlrev_b32_e32 v6, 24, v8
	v_mov_b32_e32 v7, 0x3b800000
	v_lshlrev_b32_e32 v2, 20, v2
	v_and_b32_e32 v6, 0x80000000, v6
	v_lshl_add_u32 v3, v3, 23, v7
	v_or3_b32 v2, v6, v3, v2
.LBB40_964:
	s_or_b64 exec, exec, s[6:7]
	s_movk_i32 s4, 0x7f
	v_cmp_gt_i16_sdwa s[6:7], v4, s4 src0_sel:BYTE_0 src1_sel:DWORD
	s_mov_b64 s[4:5], 0
                                        ; implicit-def: $sgpr10
	s_and_saveexec_b64 s[8:9], s[6:7]
	s_xor_b64 s[6:7], exec, s[8:9]
	s_cbranch_execnz .LBB40_3013
; %bb.965:
	s_or_saveexec_b64 s[6:7], s[6:7]
	v_mov_b32_e32 v3, s10
	s_xor_b64 exec, exec, s[6:7]
	s_cbranch_execnz .LBB40_3016
.LBB40_966:
	s_or_b64 exec, exec, s[6:7]
	s_and_saveexec_b64 s[6:7], s[4:5]
	s_cbranch_execz .LBB40_968
.LBB40_967:
	v_and_b32_e32 v3, 7, v4
	v_ffbh_u32_e32 v7, v3
	v_min_u32_e32 v7, 32, v7
	v_lshrrev_b16_e32 v6, 3, v4
	v_subrev_u32_e32 v10, 28, v7
	v_and_b32_e32 v6, 15, v6
	v_lshlrev_b32_e32 v10, v10, v4
	v_sub_u32_e32 v7, 29, v7
	v_and_b32_e32 v10, 7, v10
	v_cmp_eq_u16_e32 vcc, 0, v6
	v_cndmask_b32_e32 v3, v3, v10, vcc
	v_cndmask_b32_e32 v6, v6, v7, vcc
	v_lshlrev_b32_e32 v7, 24, v4
	v_mov_b32_e32 v10, 0x3b800000
	v_lshlrev_b32_e32 v3, 20, v3
	v_and_b32_e32 v7, 0x80000000, v7
	v_lshl_add_u32 v6, v6, 23, v10
	v_or3_b32 v3, v7, v6, v3
.LBB40_968:
	s_or_b64 exec, exec, s[6:7]
	s_nop 0
	v_mfma_f32_16x16x4f32 a[0:3], v2, v3, a[0:3]
	v_lshrrev_b32_e32 v3, 8, v8
	s_movk_i32 s4, 0x7f
	v_cmp_gt_i16_sdwa s[6:7], v3, s4 src0_sel:BYTE_0 src1_sel:DWORD
	s_mov_b64 s[4:5], 0
                                        ; implicit-def: $sgpr10
	s_and_saveexec_b64 s[8:9], s[6:7]
	s_xor_b64 s[6:7], exec, s[8:9]
	s_cbranch_execnz .LBB40_3017
; %bb.969:
	s_or_saveexec_b64 s[6:7], s[6:7]
	v_mov_b32_e32 v2, s10
	s_xor_b64 exec, exec, s[6:7]
	s_cbranch_execnz .LBB40_3020
.LBB40_970:
	s_or_b64 exec, exec, s[6:7]
	s_and_saveexec_b64 s[6:7], s[4:5]
	s_cbranch_execz .LBB40_972
.LBB40_971:
	v_bfe_u32 v2, v8, 8, 3
	v_ffbh_u32_e32 v7, v2
	v_min_u32_e32 v7, 32, v7
	v_lshrrev_b16_e32 v6, 3, v3
	v_subrev_u32_e32 v10, 28, v7
	v_and_b32_e32 v6, 15, v6
	v_lshlrev_b32_e32 v3, v10, v3
	v_sub_u32_e32 v7, 29, v7
	v_and_b32_e32 v3, 7, v3
	v_cmp_eq_u16_e32 vcc, 0, v6
	v_cndmask_b32_e32 v2, v2, v3, vcc
	v_cndmask_b32_e32 v3, v6, v7, vcc
	v_lshlrev_b32_e32 v6, 16, v8
	v_mov_b32_e32 v7, 0x3b800000
	v_lshlrev_b32_e32 v2, 20, v2
	v_and_b32_e32 v6, 0x80000000, v6
	v_lshl_add_u32 v3, v3, 23, v7
	v_or3_b32 v2, v6, v3, v2
.LBB40_972:
	s_or_b64 exec, exec, s[6:7]
	v_lshrrev_b32_e32 v3, 8, v4
	s_movk_i32 s4, 0x7f
	v_cmp_gt_i16_sdwa s[6:7], v3, s4 src0_sel:BYTE_0 src1_sel:DWORD
	s_mov_b64 s[4:5], 0
                                        ; implicit-def: $sgpr10
	s_and_saveexec_b64 s[8:9], s[6:7]
	s_xor_b64 s[6:7], exec, s[8:9]
	s_cbranch_execnz .LBB40_3021
; %bb.973:
	s_or_saveexec_b64 s[6:7], s[6:7]
	v_mov_b32_e32 v6, s10
	s_xor_b64 exec, exec, s[6:7]
	s_cbranch_execnz .LBB40_3024
.LBB40_974:
	s_or_b64 exec, exec, s[6:7]
	s_and_saveexec_b64 s[6:7], s[4:5]
	s_cbranch_execz .LBB40_976
.LBB40_975:
	v_bfe_u32 v6, v4, 8, 3
	v_ffbh_u32_e32 v10, v6
	v_min_u32_e32 v10, 32, v10
	v_lshrrev_b16_e32 v7, 3, v3
	v_subrev_u32_e32 v11, 28, v10
	v_and_b32_e32 v7, 15, v7
	v_lshlrev_b32_e32 v3, v11, v3
	v_sub_u32_e32 v10, 29, v10
	v_and_b32_e32 v3, 7, v3
	v_cmp_eq_u16_e32 vcc, 0, v7
	v_cndmask_b32_e32 v3, v6, v3, vcc
	v_cndmask_b32_e32 v6, v7, v10, vcc
	v_lshlrev_b32_e32 v7, 16, v4
	v_mov_b32_e32 v10, 0x3b800000
	v_lshlrev_b32_e32 v3, 20, v3
	v_and_b32_e32 v7, 0x80000000, v7
	v_lshl_add_u32 v6, v6, 23, v10
	v_or3_b32 v6, v7, v6, v3
.LBB40_976:
	s_or_b64 exec, exec, s[6:7]
	s_nop 0
	v_mfma_f32_16x16x4f32 a[0:3], v2, v6, a[0:3]
	s_movk_i32 s4, 0xff
	v_and_b32_sdwa v3, v8, s4 dst_sel:DWORD dst_unused:UNUSED_PAD src0_sel:WORD_1 src1_sel:DWORD
	s_movk_i32 s4, 0x7f
	v_cmp_lt_i16_e32 vcc, s4, v3
	s_mov_b64 s[4:5], 0
                                        ; implicit-def: $sgpr10
	s_and_saveexec_b64 s[6:7], vcc
	s_xor_b64 s[6:7], exec, s[6:7]
	s_cbranch_execnz .LBB40_3025
; %bb.977:
	s_or_saveexec_b64 s[6:7], s[6:7]
	v_mov_b32_e32 v2, s10
	s_xor_b64 exec, exec, s[6:7]
	s_cbranch_execnz .LBB40_3028
.LBB40_978:
	s_or_b64 exec, exec, s[6:7]
	s_and_saveexec_b64 s[6:7], s[4:5]
	s_cbranch_execz .LBB40_980
.LBB40_979:
	v_bfe_u32 v2, v8, 16, 3
	v_ffbh_u32_e32 v7, v2
	v_min_u32_e32 v7, 32, v7
	v_lshrrev_b32_e32 v3, 19, v8
	v_subrev_u32_e32 v10, 28, v7
	v_and_b32_e32 v3, 15, v3
	v_lshlrev_b32_sdwa v10, v10, v8 dst_sel:DWORD dst_unused:UNUSED_PAD src0_sel:DWORD src1_sel:WORD_1
	v_bfe_u32 v6, v8, 19, 4
	v_sub_u32_e32 v7, 29, v7
	v_and_b32_e32 v10, 7, v10
	v_cmp_eq_u16_e32 vcc, 0, v3
	v_cndmask_b32_e32 v2, v2, v10, vcc
	v_cndmask_b32_e32 v3, v6, v7, vcc
	v_lshlrev_b32_e32 v6, 8, v8
	v_mov_b32_e32 v7, 0x3b800000
	v_lshlrev_b32_e32 v2, 20, v2
	v_and_b32_e32 v6, 0x80000000, v6
	v_lshl_add_u32 v3, v3, 23, v7
	v_or3_b32 v2, v6, v3, v2
.LBB40_980:
	s_or_b64 exec, exec, s[6:7]
	s_movk_i32 s4, 0xff
	v_and_b32_sdwa v3, v4, s4 dst_sel:DWORD dst_unused:UNUSED_PAD src0_sel:WORD_1 src1_sel:DWORD
	s_movk_i32 s4, 0x7f
	v_cmp_lt_i16_e32 vcc, s4, v3
	s_mov_b64 s[4:5], 0
                                        ; implicit-def: $sgpr10
	s_and_saveexec_b64 s[6:7], vcc
	s_xor_b64 s[6:7], exec, s[6:7]
	s_cbranch_execnz .LBB40_3029
; %bb.981:
	s_or_saveexec_b64 s[6:7], s[6:7]
	v_mov_b32_e32 v6, s10
	s_xor_b64 exec, exec, s[6:7]
	s_cbranch_execnz .LBB40_3032
.LBB40_982:
	s_or_b64 exec, exec, s[6:7]
	s_and_saveexec_b64 s[6:7], s[4:5]
	s_cbranch_execz .LBB40_984
.LBB40_983:
	v_bfe_u32 v3, v4, 16, 3
	v_ffbh_u32_e32 v10, v3
	v_min_u32_e32 v10, 32, v10
	v_lshrrev_b32_e32 v6, 19, v4
	v_subrev_u32_e32 v11, 28, v10
	v_and_b32_e32 v6, 15, v6
	v_lshlrev_b32_sdwa v11, v11, v4 dst_sel:DWORD dst_unused:UNUSED_PAD src0_sel:DWORD src1_sel:WORD_1
	v_bfe_u32 v7, v4, 19, 4
	v_sub_u32_e32 v10, 29, v10
	v_and_b32_e32 v11, 7, v11
	v_cmp_eq_u16_e32 vcc, 0, v6
	v_cndmask_b32_e32 v3, v3, v11, vcc
	v_cndmask_b32_e32 v6, v7, v10, vcc
	v_lshlrev_b32_e32 v7, 8, v4
	v_mov_b32_e32 v10, 0x3b800000
	v_lshlrev_b32_e32 v3, 20, v3
	v_and_b32_e32 v7, 0x80000000, v7
	v_lshl_add_u32 v6, v6, 23, v10
	v_or3_b32 v6, v7, v6, v3
.LBB40_984:
	s_or_b64 exec, exec, s[6:7]
	s_nop 0
	v_mfma_f32_16x16x4f32 a[0:3], v2, v6, a[0:3]
	s_movk_i32 s4, 0x7f
	v_cmp_gt_i16_sdwa s[6:7], v8, s4 src0_sel:BYTE_3 src1_sel:DWORD
	s_mov_b64 s[4:5], 0
                                        ; implicit-def: $sgpr10
	s_and_saveexec_b64 s[8:9], s[6:7]
	s_xor_b64 s[6:7], exec, s[8:9]
	s_cbranch_execnz .LBB40_3033
; %bb.985:
	s_or_saveexec_b64 s[6:7], s[6:7]
	v_mov_b32_e32 v2, s10
	s_xor_b64 exec, exec, s[6:7]
	s_cbranch_execnz .LBB40_3036
.LBB40_986:
	s_or_b64 exec, exec, s[6:7]
	s_and_saveexec_b64 s[6:7], s[4:5]
	s_cbranch_execz .LBB40_988
.LBB40_987:
	v_bfe_u32 v2, v8, 24, 3
	v_ffbh_u32_e32 v10, v2
	v_min_u32_e32 v10, 32, v10
	v_lshrrev_b32_e32 v6, 27, v8
	v_subrev_u32_e32 v11, 28, v10
	v_and_b32_e32 v3, 0x80000000, v8
	v_and_b32_e32 v6, 15, v6
	v_bfe_u32 v7, v8, 27, 4
	v_lshlrev_b32_sdwa v8, v11, v8 dst_sel:DWORD dst_unused:UNUSED_PAD src0_sel:DWORD src1_sel:BYTE_3
	v_sub_u32_e32 v10, 29, v10
	v_and_b32_e32 v8, 7, v8
	v_cmp_eq_u16_e32 vcc, 0, v6
	v_cndmask_b32_e32 v2, v2, v8, vcc
	v_cndmask_b32_e32 v6, v7, v10, vcc
	v_mov_b32_e32 v7, 0x3b800000
	v_lshlrev_b32_e32 v2, 20, v2
	v_lshl_add_u32 v6, v6, 23, v7
	v_or3_b32 v2, v3, v6, v2
.LBB40_988:
	s_or_b64 exec, exec, s[6:7]
	s_movk_i32 s4, 0x7f
	v_cmp_gt_i16_sdwa s[6:7], v4, s4 src0_sel:BYTE_3 src1_sel:DWORD
	s_mov_b64 s[4:5], 0
                                        ; implicit-def: $sgpr10
	s_and_saveexec_b64 s[8:9], s[6:7]
	s_xor_b64 s[6:7], exec, s[8:9]
	s_cbranch_execnz .LBB40_3037
; %bb.989:
	s_or_saveexec_b64 s[6:7], s[6:7]
	v_mov_b32_e32 v3, s10
	s_xor_b64 exec, exec, s[6:7]
	s_cbranch_execnz .LBB40_3040
.LBB40_990:
	s_or_b64 exec, exec, s[6:7]
	s_and_saveexec_b64 s[6:7], s[4:5]
	s_cbranch_execz .LBB40_992
.LBB40_991:
	v_bfe_u32 v3, v4, 24, 3
	v_ffbh_u32_e32 v10, v3
	v_min_u32_e32 v10, 32, v10
	v_lshrrev_b32_e32 v7, 27, v4
	v_subrev_u32_e32 v11, 28, v10
	v_and_b32_e32 v6, 0x80000000, v4
	v_and_b32_e32 v7, 15, v7
	v_bfe_u32 v8, v4, 27, 4
	v_lshlrev_b32_sdwa v4, v11, v4 dst_sel:DWORD dst_unused:UNUSED_PAD src0_sel:DWORD src1_sel:BYTE_3
	v_sub_u32_e32 v10, 29, v10
	v_and_b32_e32 v4, 7, v4
	v_cmp_eq_u16_e32 vcc, 0, v7
	v_cndmask_b32_e32 v3, v3, v4, vcc
	v_cndmask_b32_e32 v4, v8, v10, vcc
	v_mov_b32_e32 v7, 0x3b800000
	v_lshlrev_b32_e32 v3, 20, v3
	v_lshl_add_u32 v4, v4, 23, v7
	v_or3_b32 v3, v6, v4, v3
.LBB40_992:
	s_or_b64 exec, exec, s[6:7]
	s_nop 0
	v_mfma_f32_16x16x4f32 a[0:3], v2, v3, a[0:3]
	s_movk_i32 s4, 0x7f
	v_cmp_gt_i16_sdwa s[6:7], v9, s4 src0_sel:BYTE_0 src1_sel:DWORD
	s_mov_b64 s[4:5], 0
                                        ; implicit-def: $sgpr10
	s_and_saveexec_b64 s[8:9], s[6:7]
	s_xor_b64 s[6:7], exec, s[8:9]
	s_cbranch_execnz .LBB40_3041
; %bb.993:
	s_or_saveexec_b64 s[6:7], s[6:7]
	v_mov_b32_e32 v2, s10
	s_xor_b64 exec, exec, s[6:7]
	s_cbranch_execnz .LBB40_3044
.LBB40_994:
	s_or_b64 exec, exec, s[6:7]
	s_and_saveexec_b64 s[6:7], s[4:5]
	s_cbranch_execz .LBB40_996
.LBB40_995:
	v_mov_b32_e32 v2, 8
	v_and_b32_e32 v3, 7, v9
	v_lshrrev_b32_sdwa v2, v2, v9 dst_sel:BYTE_1 dst_unused:UNUSED_PAD src0_sel:DWORD src1_sel:DWORD
	v_ffbh_u32_e32 v4, v3
	v_or_b32_sdwa v2, v9, v2 dst_sel:DWORD dst_unused:UNUSED_PAD src0_sel:BYTE_0 src1_sel:DWORD
	v_min_u32_e32 v4, 32, v4
	v_lshrrev_b16_e32 v2, 3, v2
	v_subrev_u32_e32 v6, 28, v4
	v_and_b32_e32 v2, 15, v2
	v_lshlrev_b32_e32 v6, v6, v9
	v_sub_u32_e32 v4, 29, v4
	v_and_b32_e32 v6, 7, v6
	v_cmp_eq_u16_e32 vcc, 0, v2
	v_cndmask_b32_e32 v3, v3, v6, vcc
	v_cndmask_b32_e32 v2, v2, v4, vcc
	v_lshlrev_b32_e32 v4, 24, v9
	v_mov_b32_e32 v6, 0x3b800000
	v_lshlrev_b32_e32 v3, 20, v3
	v_and_b32_e32 v4, 0x80000000, v4
	v_lshl_add_u32 v2, v2, 23, v6
	v_or3_b32 v2, v4, v2, v3
.LBB40_996:
	s_or_b64 exec, exec, s[6:7]
	s_movk_i32 s4, 0x7f
	v_cmp_gt_i16_sdwa s[6:7], v5, s4 src0_sel:BYTE_0 src1_sel:DWORD
	s_mov_b64 s[4:5], 0
                                        ; implicit-def: $sgpr10
	s_and_saveexec_b64 s[8:9], s[6:7]
	s_xor_b64 s[6:7], exec, s[8:9]
	s_cbranch_execnz .LBB40_3045
; %bb.997:
	s_or_saveexec_b64 s[6:7], s[6:7]
	v_mov_b32_e32 v3, s10
	s_xor_b64 exec, exec, s[6:7]
	s_cbranch_execnz .LBB40_3048
.LBB40_998:
	s_or_b64 exec, exec, s[6:7]
	s_and_saveexec_b64 s[6:7], s[4:5]
	s_cbranch_execz .LBB40_1000
.LBB40_999:
	v_mov_b32_e32 v3, 8
	v_and_b32_e32 v4, 7, v5
	v_lshrrev_b32_sdwa v3, v3, v5 dst_sel:BYTE_1 dst_unused:UNUSED_PAD src0_sel:DWORD src1_sel:DWORD
	v_ffbh_u32_e32 v6, v4
	v_or_b32_sdwa v3, v5, v3 dst_sel:DWORD dst_unused:UNUSED_PAD src0_sel:BYTE_0 src1_sel:DWORD
	v_min_u32_e32 v6, 32, v6
	v_lshrrev_b16_e32 v3, 3, v3
	v_subrev_u32_e32 v7, 28, v6
	v_and_b32_e32 v3, 15, v3
	v_lshlrev_b32_e32 v7, v7, v5
	v_sub_u32_e32 v6, 29, v6
	v_and_b32_e32 v7, 7, v7
	v_cmp_eq_u16_e32 vcc, 0, v3
	v_cndmask_b32_e32 v4, v4, v7, vcc
	v_cndmask_b32_e32 v3, v3, v6, vcc
	v_lshlrev_b32_e32 v6, 24, v5
	v_mov_b32_e32 v7, 0x3b800000
	v_lshlrev_b32_e32 v4, 20, v4
	v_and_b32_e32 v6, 0x80000000, v6
	v_lshl_add_u32 v3, v3, 23, v7
	v_or3_b32 v3, v6, v3, v4
.LBB40_1000:
	s_or_b64 exec, exec, s[6:7]
	s_nop 0
	v_mfma_f32_16x16x4f32 a[0:3], v2, v3, a[0:3]
	v_lshrrev_b32_e32 v3, 8, v9
	s_movk_i32 s4, 0x7f
	v_cmp_gt_i16_sdwa s[6:7], v3, s4 src0_sel:BYTE_0 src1_sel:DWORD
	s_mov_b64 s[4:5], 0
                                        ; implicit-def: $sgpr10
	s_and_saveexec_b64 s[8:9], s[6:7]
	s_xor_b64 s[6:7], exec, s[8:9]
	s_cbranch_execnz .LBB40_3049
; %bb.1001:
	s_or_saveexec_b64 s[6:7], s[6:7]
	v_mov_b32_e32 v2, s10
	s_xor_b64 exec, exec, s[6:7]
	s_cbranch_execnz .LBB40_3052
.LBB40_1002:
	s_or_b64 exec, exec, s[6:7]
	s_and_saveexec_b64 s[6:7], s[4:5]
	s_cbranch_execz .LBB40_1004
.LBB40_1003:
	v_bfe_u32 v2, v9, 8, 3
	v_ffbh_u32_e32 v6, v2
	v_min_u32_e32 v6, 32, v6
	v_lshrrev_b16_e32 v4, 3, v3
	v_subrev_u32_e32 v7, 28, v6
	v_and_b32_e32 v4, 15, v4
	v_lshlrev_b32_e32 v3, v7, v3
	v_sub_u32_e32 v6, 29, v6
	v_and_b32_e32 v3, 7, v3
	v_cmp_eq_u16_e32 vcc, 0, v4
	v_cndmask_b32_e32 v2, v2, v3, vcc
	v_cndmask_b32_e32 v3, v4, v6, vcc
	v_lshlrev_b32_e32 v4, 16, v9
	v_mov_b32_e32 v6, 0x3b800000
	v_lshlrev_b32_e32 v2, 20, v2
	v_and_b32_e32 v4, 0x80000000, v4
	v_lshl_add_u32 v3, v3, 23, v6
	v_or3_b32 v2, v4, v3, v2
.LBB40_1004:
	s_or_b64 exec, exec, s[6:7]
	v_lshrrev_b32_e32 v3, 8, v5
	s_movk_i32 s4, 0x7f
	v_cmp_gt_i16_sdwa s[6:7], v3, s4 src0_sel:BYTE_0 src1_sel:DWORD
	s_mov_b64 s[4:5], 0
                                        ; implicit-def: $sgpr10
	s_and_saveexec_b64 s[8:9], s[6:7]
	s_xor_b64 s[6:7], exec, s[8:9]
	s_cbranch_execnz .LBB40_3053
; %bb.1005:
	s_or_saveexec_b64 s[6:7], s[6:7]
	v_mov_b32_e32 v4, s10
	s_xor_b64 exec, exec, s[6:7]
	s_cbranch_execnz .LBB40_3056
.LBB40_1006:
	s_or_b64 exec, exec, s[6:7]
	s_and_saveexec_b64 s[6:7], s[4:5]
	s_cbranch_execz .LBB40_1008
.LBB40_1007:
	v_bfe_u32 v4, v5, 8, 3
	v_ffbh_u32_e32 v7, v4
	v_min_u32_e32 v7, 32, v7
	v_lshrrev_b16_e32 v6, 3, v3
	v_subrev_u32_e32 v8, 28, v7
	v_and_b32_e32 v6, 15, v6
	v_lshlrev_b32_e32 v3, v8, v3
	v_sub_u32_e32 v7, 29, v7
	v_and_b32_e32 v3, 7, v3
	v_cmp_eq_u16_e32 vcc, 0, v6
	v_cndmask_b32_e32 v3, v4, v3, vcc
	v_cndmask_b32_e32 v4, v6, v7, vcc
	v_lshlrev_b32_e32 v6, 16, v5
	v_mov_b32_e32 v7, 0x3b800000
	v_lshlrev_b32_e32 v3, 20, v3
	v_and_b32_e32 v6, 0x80000000, v6
	v_lshl_add_u32 v4, v4, 23, v7
	v_or3_b32 v4, v6, v4, v3
.LBB40_1008:
	s_or_b64 exec, exec, s[6:7]
	s_nop 0
	v_mfma_f32_16x16x4f32 a[0:3], v2, v4, a[0:3]
	s_movk_i32 s4, 0xff
	v_and_b32_sdwa v3, v9, s4 dst_sel:DWORD dst_unused:UNUSED_PAD src0_sel:WORD_1 src1_sel:DWORD
	s_movk_i32 s4, 0x7f
	v_cmp_lt_i16_e32 vcc, s4, v3
	s_mov_b64 s[4:5], 0
                                        ; implicit-def: $sgpr10
	s_and_saveexec_b64 s[6:7], vcc
	s_xor_b64 s[6:7], exec, s[6:7]
	s_cbranch_execnz .LBB40_3057
; %bb.1009:
	s_or_saveexec_b64 s[6:7], s[6:7]
	v_mov_b32_e32 v2, s10
	s_xor_b64 exec, exec, s[6:7]
	s_cbranch_execnz .LBB40_3060
.LBB40_1010:
	s_or_b64 exec, exec, s[6:7]
	s_and_saveexec_b64 s[6:7], s[4:5]
	s_cbranch_execz .LBB40_1012
.LBB40_1011:
	v_bfe_u32 v2, v9, 16, 3
	v_ffbh_u32_e32 v6, v2
	v_min_u32_e32 v6, 32, v6
	v_lshrrev_b32_e32 v3, 19, v9
	v_subrev_u32_e32 v7, 28, v6
	v_and_b32_e32 v3, 15, v3
	v_lshlrev_b32_sdwa v7, v7, v9 dst_sel:DWORD dst_unused:UNUSED_PAD src0_sel:DWORD src1_sel:WORD_1
	v_bfe_u32 v4, v9, 19, 4
	v_sub_u32_e32 v6, 29, v6
	v_and_b32_e32 v7, 7, v7
	v_cmp_eq_u16_e32 vcc, 0, v3
	v_cndmask_b32_e32 v2, v2, v7, vcc
	v_cndmask_b32_e32 v3, v4, v6, vcc
	v_lshlrev_b32_e32 v4, 8, v9
	v_mov_b32_e32 v6, 0x3b800000
	v_lshlrev_b32_e32 v2, 20, v2
	v_and_b32_e32 v4, 0x80000000, v4
	v_lshl_add_u32 v3, v3, 23, v6
	v_or3_b32 v2, v4, v3, v2
.LBB40_1012:
	s_or_b64 exec, exec, s[6:7]
	s_movk_i32 s4, 0xff
	v_and_b32_sdwa v3, v5, s4 dst_sel:DWORD dst_unused:UNUSED_PAD src0_sel:WORD_1 src1_sel:DWORD
	s_movk_i32 s4, 0x7f
	v_cmp_lt_i16_e32 vcc, s4, v3
	s_mov_b64 s[4:5], 0
                                        ; implicit-def: $sgpr10
	s_and_saveexec_b64 s[6:7], vcc
	s_xor_b64 s[6:7], exec, s[6:7]
	s_cbranch_execnz .LBB40_3061
; %bb.1013:
	s_or_saveexec_b64 s[6:7], s[6:7]
	v_mov_b32_e32 v4, s10
	s_xor_b64 exec, exec, s[6:7]
	s_cbranch_execnz .LBB40_3064
.LBB40_1014:
	s_or_b64 exec, exec, s[6:7]
	s_and_saveexec_b64 s[6:7], s[4:5]
	s_cbranch_execz .LBB40_1016
.LBB40_1015:
	v_bfe_u32 v3, v5, 16, 3
	v_ffbh_u32_e32 v7, v3
	v_min_u32_e32 v7, 32, v7
	v_lshrrev_b32_e32 v4, 19, v5
	v_subrev_u32_e32 v8, 28, v7
	v_and_b32_e32 v4, 15, v4
	v_lshlrev_b32_sdwa v8, v8, v5 dst_sel:DWORD dst_unused:UNUSED_PAD src0_sel:DWORD src1_sel:WORD_1
	v_bfe_u32 v6, v5, 19, 4
	v_sub_u32_e32 v7, 29, v7
	v_and_b32_e32 v8, 7, v8
	v_cmp_eq_u16_e32 vcc, 0, v4
	v_cndmask_b32_e32 v3, v3, v8, vcc
	v_cndmask_b32_e32 v4, v6, v7, vcc
	v_lshlrev_b32_e32 v6, 8, v5
	v_mov_b32_e32 v7, 0x3b800000
	v_lshlrev_b32_e32 v3, 20, v3
	v_and_b32_e32 v6, 0x80000000, v6
	v_lshl_add_u32 v4, v4, 23, v7
	v_or3_b32 v4, v6, v4, v3
.LBB40_1016:
	s_or_b64 exec, exec, s[6:7]
	s_nop 0
	v_mfma_f32_16x16x4f32 a[0:3], v2, v4, a[0:3]
	s_movk_i32 s4, 0x7f
	v_cmp_gt_i16_sdwa s[6:7], v9, s4 src0_sel:BYTE_3 src1_sel:DWORD
	s_mov_b64 s[4:5], 0
                                        ; implicit-def: $sgpr10
	s_and_saveexec_b64 s[8:9], s[6:7]
	s_xor_b64 s[6:7], exec, s[8:9]
	s_cbranch_execnz .LBB40_3065
; %bb.1017:
	s_or_saveexec_b64 s[6:7], s[6:7]
	v_mov_b32_e32 v2, s10
	s_xor_b64 exec, exec, s[6:7]
	s_cbranch_execnz .LBB40_3068
.LBB40_1018:
	s_or_b64 exec, exec, s[6:7]
	s_and_saveexec_b64 s[6:7], s[4:5]
	s_cbranch_execz .LBB40_1020
.LBB40_1019:
	v_bfe_u32 v2, v9, 24, 3
	v_ffbh_u32_e32 v7, v2
	v_min_u32_e32 v7, 32, v7
	v_lshrrev_b32_e32 v4, 27, v9
	v_subrev_u32_e32 v8, 28, v7
	v_and_b32_e32 v4, 15, v4
	v_lshlrev_b32_sdwa v8, v8, v9 dst_sel:DWORD dst_unused:UNUSED_PAD src0_sel:DWORD src1_sel:BYTE_3
	v_bfe_u32 v6, v9, 27, 4
	v_sub_u32_e32 v7, 29, v7
	v_and_b32_e32 v8, 7, v8
	v_cmp_eq_u16_e32 vcc, 0, v4
	v_cndmask_b32_e32 v2, v2, v8, vcc
	v_cndmask_b32_e32 v4, v6, v7, vcc
	v_mov_b32_e32 v6, 0x3b800000
	v_and_b32_e32 v3, 0x80000000, v9
	v_lshlrev_b32_e32 v2, 20, v2
	v_lshl_add_u32 v4, v4, 23, v6
	v_or3_b32 v2, v3, v4, v2
.LBB40_1020:
	s_or_b64 exec, exec, s[6:7]
	s_movk_i32 s4, 0x7f
	v_cmp_gt_i16_sdwa s[6:7], v5, s4 src0_sel:BYTE_3 src1_sel:DWORD
	s_mov_b64 s[4:5], 0
                                        ; implicit-def: $sgpr10
	s_and_saveexec_b64 s[8:9], s[6:7]
	s_xor_b64 s[6:7], exec, s[8:9]
	s_cbranch_execnz .LBB40_3069
; %bb.1021:
	s_or_saveexec_b64 s[6:7], s[6:7]
	v_mov_b32_e32 v3, s10
	s_xor_b64 exec, exec, s[6:7]
	s_cbranch_execnz .LBB40_3072
.LBB40_1022:
	s_or_b64 exec, exec, s[6:7]
	s_and_saveexec_b64 s[6:7], s[4:5]
	s_cbranch_execz .LBB40_1024
.LBB40_1023:
	v_bfe_u32 v3, v5, 24, 3
	v_ffbh_u32_e32 v8, v3
	v_min_u32_e32 v8, 32, v8
	v_lshrrev_b32_e32 v6, 27, v5
	v_subrev_u32_e32 v9, 28, v8
	v_and_b32_e32 v4, 0x80000000, v5
	v_and_b32_e32 v6, 15, v6
	v_bfe_u32 v7, v5, 27, 4
	v_lshlrev_b32_sdwa v5, v9, v5 dst_sel:DWORD dst_unused:UNUSED_PAD src0_sel:DWORD src1_sel:BYTE_3
	v_sub_u32_e32 v8, 29, v8
	v_and_b32_e32 v5, 7, v5
	v_cmp_eq_u16_e32 vcc, 0, v6
	v_cndmask_b32_e32 v3, v3, v5, vcc
	v_cndmask_b32_e32 v5, v7, v8, vcc
	v_mov_b32_e32 v6, 0x3b800000
	v_lshlrev_b32_e32 v3, 20, v3
	v_lshl_add_u32 v5, v5, 23, v6
	v_or3_b32 v3, v4, v5, v3
.LBB40_1024:
	s_or_b64 exec, exec, s[6:7]
	s_nop 0
	v_mfma_f32_16x16x4f32 a[0:3], v2, v3, a[0:3]
	s_movk_i32 s4, 0x7f
                                        ; implicit-def: $sgpr10
	s_nop 7
	s_nop 1
	flat_store_dwordx4 v[18:19], a[0:3] offset:560
	flat_load_dwordx4 v[20:23], v[0:1] offset:16
	s_nop 0
	flat_load_dwordx2 v[18:19], v[0:1] offset:32
	s_waitcnt vmcnt(0) lgkmcnt(0)
	flat_load_dwordx4 v[14:17], v[20:21]
	flat_load_dwordx4 v[6:9], v[20:21] offset:16
	flat_load_dwordx4 v[10:13], v[22:23] offset:384
	;; [unrolled: 1-line block ×3, first 2 shown]
	s_waitcnt vmcnt(0) lgkmcnt(0)
	v_cmp_gt_i16_sdwa s[6:7], v14, s4 src0_sel:BYTE_0 src1_sel:DWORD
	s_mov_b64 s[4:5], 0
	s_and_saveexec_b64 s[8:9], s[6:7]
	s_xor_b64 s[6:7], exec, s[8:9]
	s_cbranch_execnz .LBB40_3073
; %bb.1025:
	s_or_saveexec_b64 s[6:7], s[6:7]
	v_mov_b32_e32 v20, s10
	s_xor_b64 exec, exec, s[6:7]
	s_cbranch_execnz .LBB40_3076
.LBB40_1026:
	s_or_b64 exec, exec, s[6:7]
	s_and_saveexec_b64 s[6:7], s[4:5]
	s_cbranch_execz .LBB40_1028
.LBB40_1027:
	v_and_b32_e32 v20, 7, v14
	v_ffbh_u32_e32 v22, v20
	v_min_u32_e32 v22, 32, v22
	v_lshrrev_b16_e32 v21, 3, v14
	v_subrev_u32_e32 v23, 28, v22
	v_and_b32_e32 v21, 15, v21
	v_lshlrev_b32_e32 v23, v23, v14
	v_sub_u32_e32 v22, 29, v22
	v_and_b32_e32 v23, 7, v23
	v_cmp_eq_u16_e32 vcc, 0, v21
	v_cndmask_b32_e32 v20, v20, v23, vcc
	v_cndmask_b32_e32 v21, v21, v22, vcc
	v_lshlrev_b32_e32 v22, 24, v14
	v_mov_b32_e32 v23, 0x3b800000
	v_lshlrev_b32_e32 v20, 20, v20
	v_and_b32_e32 v22, 0x80000000, v22
	v_lshl_add_u32 v21, v21, 23, v23
	v_or3_b32 v20, v22, v21, v20
.LBB40_1028:
	s_or_b64 exec, exec, s[6:7]
	s_movk_i32 s4, 0x7f
	v_cmp_gt_i16_sdwa s[6:7], v10, s4 src0_sel:BYTE_0 src1_sel:DWORD
	s_mov_b64 s[4:5], 0
                                        ; implicit-def: $sgpr10
	s_and_saveexec_b64 s[8:9], s[6:7]
	s_xor_b64 s[6:7], exec, s[8:9]
	s_cbranch_execnz .LBB40_3077
; %bb.1029:
	s_or_saveexec_b64 s[6:7], s[6:7]
	v_mov_b32_e32 v21, s10
	s_xor_b64 exec, exec, s[6:7]
	s_cbranch_execnz .LBB40_3080
.LBB40_1030:
	s_or_b64 exec, exec, s[6:7]
	s_and_saveexec_b64 s[6:7], s[4:5]
	s_cbranch_execz .LBB40_1032
.LBB40_1031:
	v_and_b32_e32 v21, 7, v10
	v_ffbh_u32_e32 v23, v21
	v_min_u32_e32 v23, 32, v23
	v_lshrrev_b16_e32 v22, 3, v10
	v_subrev_u32_e32 v24, 28, v23
	v_and_b32_e32 v22, 15, v22
	v_lshlrev_b32_e32 v24, v24, v10
	v_sub_u32_e32 v23, 29, v23
	v_and_b32_e32 v24, 7, v24
	v_cmp_eq_u16_e32 vcc, 0, v22
	v_cndmask_b32_e32 v21, v21, v24, vcc
	v_cndmask_b32_e32 v22, v22, v23, vcc
	v_lshlrev_b32_e32 v23, 24, v10
	v_mov_b32_e32 v24, 0x3b800000
	v_lshlrev_b32_e32 v21, 20, v21
	v_and_b32_e32 v23, 0x80000000, v23
	v_lshl_add_u32 v22, v22, 23, v24
	v_or3_b32 v21, v23, v22, v21
.LBB40_1032:
	s_or_b64 exec, exec, s[6:7]
	flat_load_dwordx4 a[0:3], v[18:19] offset:576
	s_movk_i32 s4, 0x7f
                                        ; implicit-def: $sgpr10
	s_waitcnt vmcnt(0) lgkmcnt(0)
	v_mfma_f32_16x16x4f32 a[0:3], v20, v21, a[0:3]
	v_lshrrev_b32_e32 v21, 8, v14
	v_cmp_gt_i16_sdwa s[6:7], v21, s4 src0_sel:BYTE_0 src1_sel:DWORD
	s_mov_b64 s[4:5], 0
	s_and_saveexec_b64 s[8:9], s[6:7]
	s_xor_b64 s[6:7], exec, s[8:9]
	s_cbranch_execnz .LBB40_3081
; %bb.1033:
	s_or_saveexec_b64 s[6:7], s[6:7]
	v_mov_b32_e32 v20, s10
	s_xor_b64 exec, exec, s[6:7]
	s_cbranch_execnz .LBB40_3084
.LBB40_1034:
	s_or_b64 exec, exec, s[6:7]
	s_and_saveexec_b64 s[6:7], s[4:5]
	s_cbranch_execz .LBB40_1036
.LBB40_1035:
	v_bfe_u32 v20, v14, 8, 3
	v_ffbh_u32_e32 v23, v20
	v_min_u32_e32 v23, 32, v23
	v_lshrrev_b16_e32 v22, 3, v21
	v_subrev_u32_e32 v24, 28, v23
	v_and_b32_e32 v22, 15, v22
	v_lshlrev_b32_e32 v21, v24, v21
	v_sub_u32_e32 v23, 29, v23
	v_and_b32_e32 v21, 7, v21
	v_cmp_eq_u16_e32 vcc, 0, v22
	v_cndmask_b32_e32 v20, v20, v21, vcc
	v_cndmask_b32_e32 v21, v22, v23, vcc
	v_lshlrev_b32_e32 v22, 16, v14
	v_mov_b32_e32 v23, 0x3b800000
	v_lshlrev_b32_e32 v20, 20, v20
	v_and_b32_e32 v22, 0x80000000, v22
	v_lshl_add_u32 v21, v21, 23, v23
	v_or3_b32 v20, v22, v21, v20
.LBB40_1036:
	s_or_b64 exec, exec, s[6:7]
	v_lshrrev_b32_e32 v21, 8, v10
	s_movk_i32 s4, 0x7f
	v_cmp_gt_i16_sdwa s[6:7], v21, s4 src0_sel:BYTE_0 src1_sel:DWORD
	s_mov_b64 s[4:5], 0
                                        ; implicit-def: $sgpr10
	s_and_saveexec_b64 s[8:9], s[6:7]
	s_xor_b64 s[6:7], exec, s[8:9]
	s_cbranch_execnz .LBB40_3085
; %bb.1037:
	s_or_saveexec_b64 s[6:7], s[6:7]
	v_mov_b32_e32 v22, s10
	s_xor_b64 exec, exec, s[6:7]
	s_cbranch_execnz .LBB40_3088
.LBB40_1038:
	s_or_b64 exec, exec, s[6:7]
	s_and_saveexec_b64 s[6:7], s[4:5]
	s_cbranch_execz .LBB40_1040
.LBB40_1039:
	v_bfe_u32 v22, v10, 8, 3
	v_ffbh_u32_e32 v24, v22
	v_min_u32_e32 v24, 32, v24
	v_lshrrev_b16_e32 v23, 3, v21
	v_subrev_u32_e32 v25, 28, v24
	v_and_b32_e32 v23, 15, v23
	v_lshlrev_b32_e32 v21, v25, v21
	v_sub_u32_e32 v24, 29, v24
	v_and_b32_e32 v21, 7, v21
	v_cmp_eq_u16_e32 vcc, 0, v23
	v_cndmask_b32_e32 v21, v22, v21, vcc
	v_cndmask_b32_e32 v22, v23, v24, vcc
	v_lshlrev_b32_e32 v23, 16, v10
	v_mov_b32_e32 v24, 0x3b800000
	v_lshlrev_b32_e32 v21, 20, v21
	v_and_b32_e32 v23, 0x80000000, v23
	v_lshl_add_u32 v22, v22, 23, v24
	v_or3_b32 v22, v23, v22, v21
.LBB40_1040:
	s_or_b64 exec, exec, s[6:7]
	s_nop 0
	v_mfma_f32_16x16x4f32 a[0:3], v20, v22, a[0:3]
	s_movk_i32 s4, 0xff
	v_and_b32_sdwa v21, v14, s4 dst_sel:DWORD dst_unused:UNUSED_PAD src0_sel:WORD_1 src1_sel:DWORD
	s_movk_i32 s4, 0x7f
	v_cmp_lt_i16_e32 vcc, s4, v21
	s_mov_b64 s[4:5], 0
                                        ; implicit-def: $sgpr10
	s_and_saveexec_b64 s[6:7], vcc
	s_xor_b64 s[6:7], exec, s[6:7]
	s_cbranch_execnz .LBB40_3089
; %bb.1041:
	s_or_saveexec_b64 s[6:7], s[6:7]
	v_mov_b32_e32 v20, s10
	s_xor_b64 exec, exec, s[6:7]
	s_cbranch_execnz .LBB40_3092
.LBB40_1042:
	s_or_b64 exec, exec, s[6:7]
	s_and_saveexec_b64 s[6:7], s[4:5]
	s_cbranch_execz .LBB40_1044
.LBB40_1043:
	v_bfe_u32 v20, v14, 16, 3
	v_ffbh_u32_e32 v23, v20
	v_min_u32_e32 v23, 32, v23
	v_lshrrev_b32_e32 v21, 19, v14
	v_subrev_u32_e32 v24, 28, v23
	v_and_b32_e32 v21, 15, v21
	v_lshlrev_b32_sdwa v24, v24, v14 dst_sel:DWORD dst_unused:UNUSED_PAD src0_sel:DWORD src1_sel:WORD_1
	v_bfe_u32 v22, v14, 19, 4
	v_sub_u32_e32 v23, 29, v23
	v_and_b32_e32 v24, 7, v24
	v_cmp_eq_u16_e32 vcc, 0, v21
	v_cndmask_b32_e32 v20, v20, v24, vcc
	v_cndmask_b32_e32 v21, v22, v23, vcc
	v_lshlrev_b32_e32 v22, 8, v14
	v_mov_b32_e32 v23, 0x3b800000
	v_lshlrev_b32_e32 v20, 20, v20
	v_and_b32_e32 v22, 0x80000000, v22
	v_lshl_add_u32 v21, v21, 23, v23
	v_or3_b32 v20, v22, v21, v20
.LBB40_1044:
	s_or_b64 exec, exec, s[6:7]
	s_movk_i32 s4, 0xff
	v_and_b32_sdwa v21, v10, s4 dst_sel:DWORD dst_unused:UNUSED_PAD src0_sel:WORD_1 src1_sel:DWORD
	s_movk_i32 s4, 0x7f
	v_cmp_lt_i16_e32 vcc, s4, v21
	s_mov_b64 s[4:5], 0
                                        ; implicit-def: $sgpr10
	s_and_saveexec_b64 s[6:7], vcc
	s_xor_b64 s[6:7], exec, s[6:7]
	s_cbranch_execnz .LBB40_3093
; %bb.1045:
	s_or_saveexec_b64 s[6:7], s[6:7]
	v_mov_b32_e32 v22, s10
	s_xor_b64 exec, exec, s[6:7]
	s_cbranch_execnz .LBB40_3096
.LBB40_1046:
	s_or_b64 exec, exec, s[6:7]
	s_and_saveexec_b64 s[6:7], s[4:5]
	s_cbranch_execz .LBB40_1048
.LBB40_1047:
	v_bfe_u32 v21, v10, 16, 3
	v_ffbh_u32_e32 v24, v21
	v_min_u32_e32 v24, 32, v24
	v_lshrrev_b32_e32 v22, 19, v10
	v_subrev_u32_e32 v25, 28, v24
	v_and_b32_e32 v22, 15, v22
	v_lshlrev_b32_sdwa v25, v25, v10 dst_sel:DWORD dst_unused:UNUSED_PAD src0_sel:DWORD src1_sel:WORD_1
	v_bfe_u32 v23, v10, 19, 4
	v_sub_u32_e32 v24, 29, v24
	v_and_b32_e32 v25, 7, v25
	v_cmp_eq_u16_e32 vcc, 0, v22
	v_cndmask_b32_e32 v21, v21, v25, vcc
	v_cndmask_b32_e32 v22, v23, v24, vcc
	v_lshlrev_b32_e32 v23, 8, v10
	v_mov_b32_e32 v24, 0x3b800000
	v_lshlrev_b32_e32 v21, 20, v21
	v_and_b32_e32 v23, 0x80000000, v23
	v_lshl_add_u32 v22, v22, 23, v24
	v_or3_b32 v22, v23, v22, v21
.LBB40_1048:
	s_or_b64 exec, exec, s[6:7]
	s_nop 0
	v_mfma_f32_16x16x4f32 a[0:3], v20, v22, a[0:3]
	s_movk_i32 s4, 0x7f
	v_cmp_gt_i16_sdwa s[6:7], v14, s4 src0_sel:BYTE_3 src1_sel:DWORD
	s_mov_b64 s[4:5], 0
                                        ; implicit-def: $sgpr10
	s_and_saveexec_b64 s[8:9], s[6:7]
	s_xor_b64 s[6:7], exec, s[8:9]
	s_cbranch_execnz .LBB40_3097
; %bb.1049:
	s_or_saveexec_b64 s[6:7], s[6:7]
	v_mov_b32_e32 v20, s10
	s_xor_b64 exec, exec, s[6:7]
	s_cbranch_execnz .LBB40_3100
.LBB40_1050:
	s_or_b64 exec, exec, s[6:7]
	s_and_saveexec_b64 s[6:7], s[4:5]
	s_cbranch_execz .LBB40_1052
.LBB40_1051:
	v_bfe_u32 v20, v14, 24, 3
	v_ffbh_u32_e32 v24, v20
	v_min_u32_e32 v24, 32, v24
	v_lshrrev_b32_e32 v22, 27, v14
	v_subrev_u32_e32 v25, 28, v24
	v_and_b32_e32 v21, 0x80000000, v14
	v_and_b32_e32 v22, 15, v22
	v_bfe_u32 v23, v14, 27, 4
	v_lshlrev_b32_sdwa v14, v25, v14 dst_sel:DWORD dst_unused:UNUSED_PAD src0_sel:DWORD src1_sel:BYTE_3
	v_sub_u32_e32 v24, 29, v24
	v_and_b32_e32 v14, 7, v14
	v_cmp_eq_u16_e32 vcc, 0, v22
	v_cndmask_b32_e32 v14, v20, v14, vcc
	v_cndmask_b32_e32 v20, v23, v24, vcc
	v_mov_b32_e32 v22, 0x3b800000
	v_lshlrev_b32_e32 v14, 20, v14
	v_lshl_add_u32 v20, v20, 23, v22
	v_or3_b32 v20, v21, v20, v14
.LBB40_1052:
	s_or_b64 exec, exec, s[6:7]
	s_movk_i32 s4, 0x7f
	v_cmp_gt_i16_sdwa s[6:7], v10, s4 src0_sel:BYTE_3 src1_sel:DWORD
	s_mov_b64 s[4:5], 0
                                        ; implicit-def: $sgpr10
	s_and_saveexec_b64 s[8:9], s[6:7]
	s_xor_b64 s[6:7], exec, s[8:9]
	s_cbranch_execnz .LBB40_3101
; %bb.1053:
	s_or_saveexec_b64 s[6:7], s[6:7]
	v_mov_b32_e32 v14, s10
	s_xor_b64 exec, exec, s[6:7]
	s_cbranch_execnz .LBB40_3104
.LBB40_1054:
	s_or_b64 exec, exec, s[6:7]
	s_and_saveexec_b64 s[6:7], s[4:5]
	s_cbranch_execz .LBB40_1056
.LBB40_1055:
	v_bfe_u32 v14, v10, 24, 3
	v_ffbh_u32_e32 v24, v14
	v_min_u32_e32 v24, 32, v24
	v_lshrrev_b32_e32 v22, 27, v10
	v_subrev_u32_e32 v25, 28, v24
	v_and_b32_e32 v21, 0x80000000, v10
	v_and_b32_e32 v22, 15, v22
	v_bfe_u32 v23, v10, 27, 4
	v_lshlrev_b32_sdwa v10, v25, v10 dst_sel:DWORD dst_unused:UNUSED_PAD src0_sel:DWORD src1_sel:BYTE_3
	v_sub_u32_e32 v24, 29, v24
	v_and_b32_e32 v10, 7, v10
	v_cmp_eq_u16_e32 vcc, 0, v22
	v_cndmask_b32_e32 v10, v14, v10, vcc
	v_cndmask_b32_e32 v14, v23, v24, vcc
	v_mov_b32_e32 v22, 0x3b800000
	v_lshlrev_b32_e32 v10, 20, v10
	v_lshl_add_u32 v14, v14, 23, v22
	v_or3_b32 v14, v21, v14, v10
.LBB40_1056:
	s_or_b64 exec, exec, s[6:7]
	s_nop 0
	v_mfma_f32_16x16x4f32 a[0:3], v20, v14, a[0:3]
	s_movk_i32 s4, 0x7f
	v_cmp_gt_i16_sdwa s[6:7], v15, s4 src0_sel:BYTE_0 src1_sel:DWORD
	s_mov_b64 s[4:5], 0
                                        ; implicit-def: $sgpr10
	s_and_saveexec_b64 s[8:9], s[6:7]
	s_xor_b64 s[6:7], exec, s[8:9]
	s_cbranch_execnz .LBB40_3105
; %bb.1057:
	s_or_saveexec_b64 s[6:7], s[6:7]
	v_mov_b32_e32 v10, s10
	s_xor_b64 exec, exec, s[6:7]
	s_cbranch_execnz .LBB40_3108
.LBB40_1058:
	s_or_b64 exec, exec, s[6:7]
	s_and_saveexec_b64 s[6:7], s[4:5]
	s_cbranch_execz .LBB40_1060
.LBB40_1059:
	v_and_b32_e32 v10, 7, v15
	v_ffbh_u32_e32 v20, v10
	v_min_u32_e32 v20, 32, v20
	v_lshrrev_b16_e32 v14, 3, v15
	v_subrev_u32_e32 v21, 28, v20
	v_and_b32_e32 v14, 15, v14
	v_lshlrev_b32_e32 v21, v21, v15
	v_sub_u32_e32 v20, 29, v20
	v_and_b32_e32 v21, 7, v21
	v_cmp_eq_u16_e32 vcc, 0, v14
	v_cndmask_b32_e32 v10, v10, v21, vcc
	v_cndmask_b32_e32 v14, v14, v20, vcc
	v_lshlrev_b32_e32 v20, 24, v15
	v_mov_b32_e32 v21, 0x3b800000
	v_lshlrev_b32_e32 v10, 20, v10
	v_and_b32_e32 v20, 0x80000000, v20
	v_lshl_add_u32 v14, v14, 23, v21
	v_or3_b32 v10, v20, v14, v10
.LBB40_1060:
	s_or_b64 exec, exec, s[6:7]
	s_movk_i32 s4, 0x7f
	v_cmp_gt_i16_sdwa s[6:7], v11, s4 src0_sel:BYTE_0 src1_sel:DWORD
	s_mov_b64 s[4:5], 0
                                        ; implicit-def: $sgpr10
	s_and_saveexec_b64 s[8:9], s[6:7]
	s_xor_b64 s[6:7], exec, s[8:9]
	s_cbranch_execnz .LBB40_3109
; %bb.1061:
	s_or_saveexec_b64 s[6:7], s[6:7]
	v_mov_b32_e32 v14, s10
	s_xor_b64 exec, exec, s[6:7]
	s_cbranch_execnz .LBB40_3112
.LBB40_1062:
	s_or_b64 exec, exec, s[6:7]
	s_and_saveexec_b64 s[6:7], s[4:5]
	s_cbranch_execz .LBB40_1064
.LBB40_1063:
	v_and_b32_e32 v14, 7, v11
	v_ffbh_u32_e32 v21, v14
	v_min_u32_e32 v21, 32, v21
	v_lshrrev_b16_e32 v20, 3, v11
	v_subrev_u32_e32 v22, 28, v21
	v_and_b32_e32 v20, 15, v20
	v_lshlrev_b32_e32 v22, v22, v11
	v_sub_u32_e32 v21, 29, v21
	v_and_b32_e32 v22, 7, v22
	v_cmp_eq_u16_e32 vcc, 0, v20
	v_cndmask_b32_e32 v14, v14, v22, vcc
	v_cndmask_b32_e32 v20, v20, v21, vcc
	v_lshlrev_b32_e32 v21, 24, v11
	v_mov_b32_e32 v22, 0x3b800000
	v_lshlrev_b32_e32 v14, 20, v14
	v_and_b32_e32 v21, 0x80000000, v21
	v_lshl_add_u32 v20, v20, 23, v22
	v_or3_b32 v14, v21, v20, v14
.LBB40_1064:
	s_or_b64 exec, exec, s[6:7]
	s_nop 0
	v_mfma_f32_16x16x4f32 a[0:3], v10, v14, a[0:3]
	v_lshrrev_b32_e32 v14, 8, v15
	s_movk_i32 s4, 0x7f
	v_cmp_gt_i16_sdwa s[6:7], v14, s4 src0_sel:BYTE_0 src1_sel:DWORD
	s_mov_b64 s[4:5], 0
                                        ; implicit-def: $sgpr10
	s_and_saveexec_b64 s[8:9], s[6:7]
	s_xor_b64 s[6:7], exec, s[8:9]
	s_cbranch_execnz .LBB40_3113
; %bb.1065:
	s_or_saveexec_b64 s[6:7], s[6:7]
	v_mov_b32_e32 v10, s10
	s_xor_b64 exec, exec, s[6:7]
	s_cbranch_execnz .LBB40_3116
.LBB40_1066:
	s_or_b64 exec, exec, s[6:7]
	s_and_saveexec_b64 s[6:7], s[4:5]
	s_cbranch_execz .LBB40_1068
.LBB40_1067:
	v_bfe_u32 v10, v15, 8, 3
	v_ffbh_u32_e32 v21, v10
	v_min_u32_e32 v21, 32, v21
	v_lshrrev_b16_e32 v20, 3, v14
	v_subrev_u32_e32 v22, 28, v21
	v_and_b32_e32 v20, 15, v20
	v_lshlrev_b32_e32 v14, v22, v14
	v_sub_u32_e32 v21, 29, v21
	v_and_b32_e32 v14, 7, v14
	v_cmp_eq_u16_e32 vcc, 0, v20
	v_cndmask_b32_e32 v10, v10, v14, vcc
	v_cndmask_b32_e32 v14, v20, v21, vcc
	v_lshlrev_b32_e32 v20, 16, v15
	v_mov_b32_e32 v21, 0x3b800000
	v_lshlrev_b32_e32 v10, 20, v10
	v_and_b32_e32 v20, 0x80000000, v20
	v_lshl_add_u32 v14, v14, 23, v21
	v_or3_b32 v10, v20, v14, v10
.LBB40_1068:
	s_or_b64 exec, exec, s[6:7]
	v_lshrrev_b32_e32 v14, 8, v11
	s_movk_i32 s4, 0x7f
	v_cmp_gt_i16_sdwa s[6:7], v14, s4 src0_sel:BYTE_0 src1_sel:DWORD
	s_mov_b64 s[4:5], 0
                                        ; implicit-def: $sgpr10
	s_and_saveexec_b64 s[8:9], s[6:7]
	s_xor_b64 s[6:7], exec, s[8:9]
	s_cbranch_execnz .LBB40_3117
; %bb.1069:
	s_or_saveexec_b64 s[6:7], s[6:7]
	v_mov_b32_e32 v20, s10
	s_xor_b64 exec, exec, s[6:7]
	s_cbranch_execnz .LBB40_3120
.LBB40_1070:
	s_or_b64 exec, exec, s[6:7]
	s_and_saveexec_b64 s[6:7], s[4:5]
	s_cbranch_execz .LBB40_1072
.LBB40_1071:
	v_bfe_u32 v20, v11, 8, 3
	v_ffbh_u32_e32 v22, v20
	v_min_u32_e32 v22, 32, v22
	v_lshrrev_b16_e32 v21, 3, v14
	v_subrev_u32_e32 v23, 28, v22
	v_and_b32_e32 v21, 15, v21
	v_lshlrev_b32_e32 v14, v23, v14
	v_sub_u32_e32 v22, 29, v22
	v_and_b32_e32 v14, 7, v14
	v_cmp_eq_u16_e32 vcc, 0, v21
	v_cndmask_b32_e32 v14, v20, v14, vcc
	v_cndmask_b32_e32 v20, v21, v22, vcc
	v_lshlrev_b32_e32 v21, 16, v11
	v_mov_b32_e32 v22, 0x3b800000
	v_lshlrev_b32_e32 v14, 20, v14
	v_and_b32_e32 v21, 0x80000000, v21
	v_lshl_add_u32 v20, v20, 23, v22
	v_or3_b32 v20, v21, v20, v14
.LBB40_1072:
	s_or_b64 exec, exec, s[6:7]
	s_nop 0
	v_mfma_f32_16x16x4f32 a[0:3], v10, v20, a[0:3]
	s_movk_i32 s4, 0xff
	v_and_b32_sdwa v14, v15, s4 dst_sel:DWORD dst_unused:UNUSED_PAD src0_sel:WORD_1 src1_sel:DWORD
	s_movk_i32 s4, 0x7f
	v_cmp_lt_i16_e32 vcc, s4, v14
	s_mov_b64 s[4:5], 0
                                        ; implicit-def: $sgpr10
	s_and_saveexec_b64 s[6:7], vcc
	s_xor_b64 s[6:7], exec, s[6:7]
	s_cbranch_execnz .LBB40_3121
; %bb.1073:
	s_or_saveexec_b64 s[6:7], s[6:7]
	v_mov_b32_e32 v10, s10
	s_xor_b64 exec, exec, s[6:7]
	s_cbranch_execnz .LBB40_3124
.LBB40_1074:
	s_or_b64 exec, exec, s[6:7]
	s_and_saveexec_b64 s[6:7], s[4:5]
	s_cbranch_execz .LBB40_1076
.LBB40_1075:
	v_bfe_u32 v10, v15, 16, 3
	v_ffbh_u32_e32 v21, v10
	v_min_u32_e32 v21, 32, v21
	v_lshrrev_b32_e32 v14, 19, v15
	v_subrev_u32_e32 v22, 28, v21
	v_and_b32_e32 v14, 15, v14
	v_lshlrev_b32_sdwa v22, v22, v15 dst_sel:DWORD dst_unused:UNUSED_PAD src0_sel:DWORD src1_sel:WORD_1
	v_bfe_u32 v20, v15, 19, 4
	v_sub_u32_e32 v21, 29, v21
	v_and_b32_e32 v22, 7, v22
	v_cmp_eq_u16_e32 vcc, 0, v14
	v_cndmask_b32_e32 v10, v10, v22, vcc
	v_cndmask_b32_e32 v14, v20, v21, vcc
	v_lshlrev_b32_e32 v20, 8, v15
	v_mov_b32_e32 v21, 0x3b800000
	v_lshlrev_b32_e32 v10, 20, v10
	v_and_b32_e32 v20, 0x80000000, v20
	v_lshl_add_u32 v14, v14, 23, v21
	v_or3_b32 v10, v20, v14, v10
.LBB40_1076:
	s_or_b64 exec, exec, s[6:7]
	s_movk_i32 s4, 0xff
	v_and_b32_sdwa v14, v11, s4 dst_sel:DWORD dst_unused:UNUSED_PAD src0_sel:WORD_1 src1_sel:DWORD
	s_movk_i32 s4, 0x7f
	v_cmp_lt_i16_e32 vcc, s4, v14
	s_mov_b64 s[4:5], 0
                                        ; implicit-def: $sgpr10
	s_and_saveexec_b64 s[6:7], vcc
	s_xor_b64 s[6:7], exec, s[6:7]
	s_cbranch_execnz .LBB40_3125
; %bb.1077:
	s_or_saveexec_b64 s[6:7], s[6:7]
	v_mov_b32_e32 v20, s10
	s_xor_b64 exec, exec, s[6:7]
	s_cbranch_execnz .LBB40_3128
.LBB40_1078:
	s_or_b64 exec, exec, s[6:7]
	s_and_saveexec_b64 s[6:7], s[4:5]
	s_cbranch_execz .LBB40_1080
.LBB40_1079:
	v_bfe_u32 v14, v11, 16, 3
	v_ffbh_u32_e32 v22, v14
	v_min_u32_e32 v22, 32, v22
	v_lshrrev_b32_e32 v20, 19, v11
	v_subrev_u32_e32 v23, 28, v22
	v_and_b32_e32 v20, 15, v20
	v_lshlrev_b32_sdwa v23, v23, v11 dst_sel:DWORD dst_unused:UNUSED_PAD src0_sel:DWORD src1_sel:WORD_1
	v_bfe_u32 v21, v11, 19, 4
	v_sub_u32_e32 v22, 29, v22
	v_and_b32_e32 v23, 7, v23
	v_cmp_eq_u16_e32 vcc, 0, v20
	v_cndmask_b32_e32 v14, v14, v23, vcc
	v_cndmask_b32_e32 v20, v21, v22, vcc
	v_lshlrev_b32_e32 v21, 8, v11
	v_mov_b32_e32 v22, 0x3b800000
	v_lshlrev_b32_e32 v14, 20, v14
	v_and_b32_e32 v21, 0x80000000, v21
	v_lshl_add_u32 v20, v20, 23, v22
	v_or3_b32 v20, v21, v20, v14
.LBB40_1080:
	s_or_b64 exec, exec, s[6:7]
	s_nop 0
	v_mfma_f32_16x16x4f32 a[0:3], v10, v20, a[0:3]
	s_movk_i32 s4, 0x7f
	v_cmp_gt_i16_sdwa s[6:7], v15, s4 src0_sel:BYTE_3 src1_sel:DWORD
	s_mov_b64 s[4:5], 0
                                        ; implicit-def: $sgpr10
	s_and_saveexec_b64 s[8:9], s[6:7]
	s_xor_b64 s[6:7], exec, s[8:9]
	s_cbranch_execnz .LBB40_3129
; %bb.1081:
	s_or_saveexec_b64 s[6:7], s[6:7]
	v_mov_b32_e32 v10, s10
	s_xor_b64 exec, exec, s[6:7]
	s_cbranch_execnz .LBB40_3132
.LBB40_1082:
	s_or_b64 exec, exec, s[6:7]
	s_and_saveexec_b64 s[6:7], s[4:5]
	s_cbranch_execz .LBB40_1084
.LBB40_1083:
	v_bfe_u32 v10, v15, 24, 3
	v_ffbh_u32_e32 v22, v10
	v_min_u32_e32 v22, 32, v22
	v_lshrrev_b32_e32 v20, 27, v15
	v_subrev_u32_e32 v23, 28, v22
	v_and_b32_e32 v14, 0x80000000, v15
	v_and_b32_e32 v20, 15, v20
	v_bfe_u32 v21, v15, 27, 4
	v_lshlrev_b32_sdwa v15, v23, v15 dst_sel:DWORD dst_unused:UNUSED_PAD src0_sel:DWORD src1_sel:BYTE_3
	v_sub_u32_e32 v22, 29, v22
	v_and_b32_e32 v15, 7, v15
	v_cmp_eq_u16_e32 vcc, 0, v20
	v_cndmask_b32_e32 v10, v10, v15, vcc
	v_cndmask_b32_e32 v15, v21, v22, vcc
	v_mov_b32_e32 v20, 0x3b800000
	v_lshlrev_b32_e32 v10, 20, v10
	v_lshl_add_u32 v15, v15, 23, v20
	v_or3_b32 v10, v14, v15, v10
.LBB40_1084:
	s_or_b64 exec, exec, s[6:7]
	s_movk_i32 s4, 0x7f
	v_cmp_gt_i16_sdwa s[6:7], v11, s4 src0_sel:BYTE_3 src1_sel:DWORD
	s_mov_b64 s[4:5], 0
                                        ; implicit-def: $sgpr10
	s_and_saveexec_b64 s[8:9], s[6:7]
	s_xor_b64 s[6:7], exec, s[8:9]
	s_cbranch_execnz .LBB40_3133
; %bb.1085:
	s_or_saveexec_b64 s[6:7], s[6:7]
	v_mov_b32_e32 v14, s10
	s_xor_b64 exec, exec, s[6:7]
	s_cbranch_execnz .LBB40_3136
.LBB40_1086:
	s_or_b64 exec, exec, s[6:7]
	s_and_saveexec_b64 s[6:7], s[4:5]
	s_cbranch_execz .LBB40_1088
.LBB40_1087:
	v_bfe_u32 v14, v11, 24, 3
	v_ffbh_u32_e32 v22, v14
	v_min_u32_e32 v22, 32, v22
	v_lshrrev_b32_e32 v20, 27, v11
	v_subrev_u32_e32 v23, 28, v22
	v_and_b32_e32 v15, 0x80000000, v11
	v_and_b32_e32 v20, 15, v20
	v_bfe_u32 v21, v11, 27, 4
	v_lshlrev_b32_sdwa v11, v23, v11 dst_sel:DWORD dst_unused:UNUSED_PAD src0_sel:DWORD src1_sel:BYTE_3
	v_sub_u32_e32 v22, 29, v22
	v_and_b32_e32 v11, 7, v11
	v_cmp_eq_u16_e32 vcc, 0, v20
	v_cndmask_b32_e32 v11, v14, v11, vcc
	v_cndmask_b32_e32 v14, v21, v22, vcc
	v_mov_b32_e32 v20, 0x3b800000
	v_lshlrev_b32_e32 v11, 20, v11
	v_lshl_add_u32 v14, v14, 23, v20
	v_or3_b32 v14, v15, v14, v11
.LBB40_1088:
	s_or_b64 exec, exec, s[6:7]
	s_nop 0
	v_mfma_f32_16x16x4f32 a[0:3], v10, v14, a[0:3]
	s_movk_i32 s4, 0x7f
	v_cmp_gt_i16_sdwa s[6:7], v16, s4 src0_sel:BYTE_0 src1_sel:DWORD
	s_mov_b64 s[4:5], 0
                                        ; implicit-def: $sgpr10
	s_and_saveexec_b64 s[8:9], s[6:7]
	s_xor_b64 s[6:7], exec, s[8:9]
	s_cbranch_execnz .LBB40_3137
; %bb.1089:
	s_or_saveexec_b64 s[6:7], s[6:7]
	v_mov_b32_e32 v10, s10
	s_xor_b64 exec, exec, s[6:7]
	s_cbranch_execnz .LBB40_3140
.LBB40_1090:
	s_or_b64 exec, exec, s[6:7]
	s_and_saveexec_b64 s[6:7], s[4:5]
	s_cbranch_execz .LBB40_1092
.LBB40_1091:
	v_and_b32_e32 v10, 7, v16
	v_ffbh_u32_e32 v14, v10
	v_min_u32_e32 v14, 32, v14
	v_lshrrev_b16_e32 v11, 3, v16
	v_subrev_u32_e32 v15, 28, v14
	v_and_b32_e32 v11, 15, v11
	v_lshlrev_b32_e32 v15, v15, v16
	v_sub_u32_e32 v14, 29, v14
	v_and_b32_e32 v15, 7, v15
	v_cmp_eq_u16_e32 vcc, 0, v11
	v_cndmask_b32_e32 v10, v10, v15, vcc
	v_cndmask_b32_e32 v11, v11, v14, vcc
	v_lshlrev_b32_e32 v14, 24, v16
	v_mov_b32_e32 v15, 0x3b800000
	v_lshlrev_b32_e32 v10, 20, v10
	v_and_b32_e32 v14, 0x80000000, v14
	v_lshl_add_u32 v11, v11, 23, v15
	v_or3_b32 v10, v14, v11, v10
.LBB40_1092:
	s_or_b64 exec, exec, s[6:7]
	s_movk_i32 s4, 0x7f
	v_cmp_gt_i16_sdwa s[6:7], v12, s4 src0_sel:BYTE_0 src1_sel:DWORD
	s_mov_b64 s[4:5], 0
                                        ; implicit-def: $sgpr10
	s_and_saveexec_b64 s[8:9], s[6:7]
	s_xor_b64 s[6:7], exec, s[8:9]
	s_cbranch_execnz .LBB40_3141
; %bb.1093:
	s_or_saveexec_b64 s[6:7], s[6:7]
	v_mov_b32_e32 v11, s10
	s_xor_b64 exec, exec, s[6:7]
	s_cbranch_execnz .LBB40_3144
.LBB40_1094:
	s_or_b64 exec, exec, s[6:7]
	s_and_saveexec_b64 s[6:7], s[4:5]
	s_cbranch_execz .LBB40_1096
.LBB40_1095:
	v_and_b32_e32 v11, 7, v12
	v_ffbh_u32_e32 v15, v11
	v_min_u32_e32 v15, 32, v15
	v_lshrrev_b16_e32 v14, 3, v12
	v_subrev_u32_e32 v20, 28, v15
	v_and_b32_e32 v14, 15, v14
	v_lshlrev_b32_e32 v20, v20, v12
	v_sub_u32_e32 v15, 29, v15
	v_and_b32_e32 v20, 7, v20
	v_cmp_eq_u16_e32 vcc, 0, v14
	v_cndmask_b32_e32 v11, v11, v20, vcc
	v_cndmask_b32_e32 v14, v14, v15, vcc
	v_lshlrev_b32_e32 v15, 24, v12
	v_mov_b32_e32 v20, 0x3b800000
	v_lshlrev_b32_e32 v11, 20, v11
	v_and_b32_e32 v15, 0x80000000, v15
	v_lshl_add_u32 v14, v14, 23, v20
	v_or3_b32 v11, v15, v14, v11
.LBB40_1096:
	s_or_b64 exec, exec, s[6:7]
	s_nop 0
	v_mfma_f32_16x16x4f32 a[0:3], v10, v11, a[0:3]
	v_lshrrev_b32_e32 v11, 8, v16
	s_movk_i32 s4, 0x7f
	v_cmp_gt_i16_sdwa s[6:7], v11, s4 src0_sel:BYTE_0 src1_sel:DWORD
	s_mov_b64 s[4:5], 0
                                        ; implicit-def: $sgpr10
	s_and_saveexec_b64 s[8:9], s[6:7]
	s_xor_b64 s[6:7], exec, s[8:9]
	s_cbranch_execnz .LBB40_3145
; %bb.1097:
	s_or_saveexec_b64 s[6:7], s[6:7]
	v_mov_b32_e32 v10, s10
	s_xor_b64 exec, exec, s[6:7]
	s_cbranch_execnz .LBB40_3148
.LBB40_1098:
	s_or_b64 exec, exec, s[6:7]
	s_and_saveexec_b64 s[6:7], s[4:5]
	s_cbranch_execz .LBB40_1100
.LBB40_1099:
	v_bfe_u32 v10, v16, 8, 3
	v_ffbh_u32_e32 v15, v10
	v_min_u32_e32 v15, 32, v15
	v_lshrrev_b16_e32 v14, 3, v11
	v_subrev_u32_e32 v20, 28, v15
	v_and_b32_e32 v14, 15, v14
	v_lshlrev_b32_e32 v11, v20, v11
	v_sub_u32_e32 v15, 29, v15
	v_and_b32_e32 v11, 7, v11
	v_cmp_eq_u16_e32 vcc, 0, v14
	v_cndmask_b32_e32 v10, v10, v11, vcc
	v_cndmask_b32_e32 v11, v14, v15, vcc
	v_lshlrev_b32_e32 v14, 16, v16
	v_mov_b32_e32 v15, 0x3b800000
	v_lshlrev_b32_e32 v10, 20, v10
	v_and_b32_e32 v14, 0x80000000, v14
	v_lshl_add_u32 v11, v11, 23, v15
	v_or3_b32 v10, v14, v11, v10
.LBB40_1100:
	s_or_b64 exec, exec, s[6:7]
	v_lshrrev_b32_e32 v11, 8, v12
	s_movk_i32 s4, 0x7f
	v_cmp_gt_i16_sdwa s[6:7], v11, s4 src0_sel:BYTE_0 src1_sel:DWORD
	s_mov_b64 s[4:5], 0
                                        ; implicit-def: $sgpr10
	s_and_saveexec_b64 s[8:9], s[6:7]
	s_xor_b64 s[6:7], exec, s[8:9]
	s_cbranch_execnz .LBB40_3149
; %bb.1101:
	s_or_saveexec_b64 s[6:7], s[6:7]
	v_mov_b32_e32 v14, s10
	s_xor_b64 exec, exec, s[6:7]
	s_cbranch_execnz .LBB40_3152
.LBB40_1102:
	s_or_b64 exec, exec, s[6:7]
	s_and_saveexec_b64 s[6:7], s[4:5]
	s_cbranch_execz .LBB40_1104
.LBB40_1103:
	v_bfe_u32 v14, v12, 8, 3
	v_ffbh_u32_e32 v20, v14
	v_min_u32_e32 v20, 32, v20
	v_lshrrev_b16_e32 v15, 3, v11
	v_subrev_u32_e32 v21, 28, v20
	v_and_b32_e32 v15, 15, v15
	v_lshlrev_b32_e32 v11, v21, v11
	v_sub_u32_e32 v20, 29, v20
	v_and_b32_e32 v11, 7, v11
	v_cmp_eq_u16_e32 vcc, 0, v15
	v_cndmask_b32_e32 v11, v14, v11, vcc
	v_cndmask_b32_e32 v14, v15, v20, vcc
	v_lshlrev_b32_e32 v15, 16, v12
	v_mov_b32_e32 v20, 0x3b800000
	v_lshlrev_b32_e32 v11, 20, v11
	v_and_b32_e32 v15, 0x80000000, v15
	v_lshl_add_u32 v14, v14, 23, v20
	v_or3_b32 v14, v15, v14, v11
.LBB40_1104:
	s_or_b64 exec, exec, s[6:7]
	s_nop 0
	v_mfma_f32_16x16x4f32 a[0:3], v10, v14, a[0:3]
	s_movk_i32 s4, 0xff
	v_and_b32_sdwa v11, v16, s4 dst_sel:DWORD dst_unused:UNUSED_PAD src0_sel:WORD_1 src1_sel:DWORD
	s_movk_i32 s4, 0x7f
	v_cmp_lt_i16_e32 vcc, s4, v11
	s_mov_b64 s[4:5], 0
                                        ; implicit-def: $sgpr10
	s_and_saveexec_b64 s[6:7], vcc
	s_xor_b64 s[6:7], exec, s[6:7]
	s_cbranch_execnz .LBB40_3153
; %bb.1105:
	s_or_saveexec_b64 s[6:7], s[6:7]
	v_mov_b32_e32 v10, s10
	s_xor_b64 exec, exec, s[6:7]
	s_cbranch_execnz .LBB40_3156
.LBB40_1106:
	s_or_b64 exec, exec, s[6:7]
	s_and_saveexec_b64 s[6:7], s[4:5]
	s_cbranch_execz .LBB40_1108
.LBB40_1107:
	v_bfe_u32 v10, v16, 16, 3
	v_ffbh_u32_e32 v15, v10
	v_min_u32_e32 v15, 32, v15
	v_lshrrev_b32_e32 v11, 19, v16
	v_subrev_u32_e32 v20, 28, v15
	v_and_b32_e32 v11, 15, v11
	v_lshlrev_b32_sdwa v20, v20, v16 dst_sel:DWORD dst_unused:UNUSED_PAD src0_sel:DWORD src1_sel:WORD_1
	v_bfe_u32 v14, v16, 19, 4
	v_sub_u32_e32 v15, 29, v15
	v_and_b32_e32 v20, 7, v20
	v_cmp_eq_u16_e32 vcc, 0, v11
	v_cndmask_b32_e32 v10, v10, v20, vcc
	v_cndmask_b32_e32 v11, v14, v15, vcc
	v_lshlrev_b32_e32 v14, 8, v16
	v_mov_b32_e32 v15, 0x3b800000
	v_lshlrev_b32_e32 v10, 20, v10
	v_and_b32_e32 v14, 0x80000000, v14
	v_lshl_add_u32 v11, v11, 23, v15
	v_or3_b32 v10, v14, v11, v10
.LBB40_1108:
	s_or_b64 exec, exec, s[6:7]
	s_movk_i32 s4, 0xff
	v_and_b32_sdwa v11, v12, s4 dst_sel:DWORD dst_unused:UNUSED_PAD src0_sel:WORD_1 src1_sel:DWORD
	s_movk_i32 s4, 0x7f
	v_cmp_lt_i16_e32 vcc, s4, v11
	s_mov_b64 s[4:5], 0
                                        ; implicit-def: $sgpr10
	s_and_saveexec_b64 s[6:7], vcc
	s_xor_b64 s[6:7], exec, s[6:7]
	s_cbranch_execnz .LBB40_3157
; %bb.1109:
	s_or_saveexec_b64 s[6:7], s[6:7]
	v_mov_b32_e32 v14, s10
	s_xor_b64 exec, exec, s[6:7]
	s_cbranch_execnz .LBB40_3160
.LBB40_1110:
	s_or_b64 exec, exec, s[6:7]
	s_and_saveexec_b64 s[6:7], s[4:5]
	s_cbranch_execz .LBB40_1112
.LBB40_1111:
	v_bfe_u32 v11, v12, 16, 3
	v_ffbh_u32_e32 v20, v11
	v_min_u32_e32 v20, 32, v20
	v_lshrrev_b32_e32 v14, 19, v12
	v_subrev_u32_e32 v21, 28, v20
	v_and_b32_e32 v14, 15, v14
	v_lshlrev_b32_sdwa v21, v21, v12 dst_sel:DWORD dst_unused:UNUSED_PAD src0_sel:DWORD src1_sel:WORD_1
	v_bfe_u32 v15, v12, 19, 4
	v_sub_u32_e32 v20, 29, v20
	v_and_b32_e32 v21, 7, v21
	v_cmp_eq_u16_e32 vcc, 0, v14
	v_cndmask_b32_e32 v11, v11, v21, vcc
	v_cndmask_b32_e32 v14, v15, v20, vcc
	v_lshlrev_b32_e32 v15, 8, v12
	v_mov_b32_e32 v20, 0x3b800000
	v_lshlrev_b32_e32 v11, 20, v11
	v_and_b32_e32 v15, 0x80000000, v15
	v_lshl_add_u32 v14, v14, 23, v20
	v_or3_b32 v14, v15, v14, v11
.LBB40_1112:
	s_or_b64 exec, exec, s[6:7]
	s_nop 0
	v_mfma_f32_16x16x4f32 a[0:3], v10, v14, a[0:3]
	s_movk_i32 s4, 0x7f
	v_cmp_gt_i16_sdwa s[6:7], v16, s4 src0_sel:BYTE_3 src1_sel:DWORD
	s_mov_b64 s[4:5], 0
                                        ; implicit-def: $sgpr10
	s_and_saveexec_b64 s[8:9], s[6:7]
	s_xor_b64 s[6:7], exec, s[8:9]
	s_cbranch_execnz .LBB40_3161
; %bb.1113:
	s_or_saveexec_b64 s[6:7], s[6:7]
	v_mov_b32_e32 v10, s10
	s_xor_b64 exec, exec, s[6:7]
	s_cbranch_execnz .LBB40_3164
.LBB40_1114:
	s_or_b64 exec, exec, s[6:7]
	s_and_saveexec_b64 s[6:7], s[4:5]
	s_cbranch_execz .LBB40_1116
.LBB40_1115:
	v_bfe_u32 v10, v16, 24, 3
	v_ffbh_u32_e32 v20, v10
	v_min_u32_e32 v20, 32, v20
	v_lshrrev_b32_e32 v14, 27, v16
	v_subrev_u32_e32 v21, 28, v20
	v_and_b32_e32 v11, 0x80000000, v16
	v_and_b32_e32 v14, 15, v14
	v_bfe_u32 v15, v16, 27, 4
	v_lshlrev_b32_sdwa v16, v21, v16 dst_sel:DWORD dst_unused:UNUSED_PAD src0_sel:DWORD src1_sel:BYTE_3
	v_sub_u32_e32 v20, 29, v20
	v_and_b32_e32 v16, 7, v16
	v_cmp_eq_u16_e32 vcc, 0, v14
	v_cndmask_b32_e32 v10, v10, v16, vcc
	v_cndmask_b32_e32 v14, v15, v20, vcc
	v_mov_b32_e32 v15, 0x3b800000
	v_lshlrev_b32_e32 v10, 20, v10
	v_lshl_add_u32 v14, v14, 23, v15
	v_or3_b32 v10, v11, v14, v10
.LBB40_1116:
	s_or_b64 exec, exec, s[6:7]
	s_movk_i32 s4, 0x7f
	v_cmp_gt_i16_sdwa s[6:7], v12, s4 src0_sel:BYTE_3 src1_sel:DWORD
	s_mov_b64 s[4:5], 0
                                        ; implicit-def: $sgpr10
	s_and_saveexec_b64 s[8:9], s[6:7]
	s_xor_b64 s[6:7], exec, s[8:9]
	s_cbranch_execnz .LBB40_3165
; %bb.1117:
	s_or_saveexec_b64 s[6:7], s[6:7]
	v_mov_b32_e32 v11, s10
	s_xor_b64 exec, exec, s[6:7]
	s_cbranch_execnz .LBB40_3168
.LBB40_1118:
	s_or_b64 exec, exec, s[6:7]
	s_and_saveexec_b64 s[6:7], s[4:5]
	s_cbranch_execz .LBB40_1120
.LBB40_1119:
	v_bfe_u32 v11, v12, 24, 3
	v_ffbh_u32_e32 v20, v11
	v_min_u32_e32 v20, 32, v20
	v_lshrrev_b32_e32 v15, 27, v12
	v_subrev_u32_e32 v21, 28, v20
	v_and_b32_e32 v14, 0x80000000, v12
	v_and_b32_e32 v15, 15, v15
	v_bfe_u32 v16, v12, 27, 4
	v_lshlrev_b32_sdwa v12, v21, v12 dst_sel:DWORD dst_unused:UNUSED_PAD src0_sel:DWORD src1_sel:BYTE_3
	v_sub_u32_e32 v20, 29, v20
	v_and_b32_e32 v12, 7, v12
	v_cmp_eq_u16_e32 vcc, 0, v15
	v_cndmask_b32_e32 v11, v11, v12, vcc
	v_cndmask_b32_e32 v12, v16, v20, vcc
	v_mov_b32_e32 v15, 0x3b800000
	v_lshlrev_b32_e32 v11, 20, v11
	v_lshl_add_u32 v12, v12, 23, v15
	v_or3_b32 v11, v14, v12, v11
.LBB40_1120:
	s_or_b64 exec, exec, s[6:7]
	s_nop 0
	v_mfma_f32_16x16x4f32 a[0:3], v10, v11, a[0:3]
	s_movk_i32 s4, 0x7f
	v_cmp_gt_i16_sdwa s[6:7], v17, s4 src0_sel:BYTE_0 src1_sel:DWORD
	s_mov_b64 s[4:5], 0
                                        ; implicit-def: $sgpr10
	s_and_saveexec_b64 s[8:9], s[6:7]
	s_xor_b64 s[6:7], exec, s[8:9]
	s_cbranch_execnz .LBB40_3169
; %bb.1121:
	s_or_saveexec_b64 s[6:7], s[6:7]
	v_mov_b32_e32 v10, s10
	s_xor_b64 exec, exec, s[6:7]
	s_cbranch_execnz .LBB40_3172
.LBB40_1122:
	s_or_b64 exec, exec, s[6:7]
	s_and_saveexec_b64 s[6:7], s[4:5]
	s_cbranch_execz .LBB40_1124
.LBB40_1123:
	v_and_b32_e32 v10, 7, v17
	v_ffbh_u32_e32 v12, v10
	v_min_u32_e32 v12, 32, v12
	v_lshrrev_b16_e32 v11, 3, v17
	v_subrev_u32_e32 v14, 28, v12
	v_and_b32_e32 v11, 15, v11
	v_lshlrev_b32_e32 v14, v14, v17
	v_sub_u32_e32 v12, 29, v12
	v_and_b32_e32 v14, 7, v14
	v_cmp_eq_u16_e32 vcc, 0, v11
	v_cndmask_b32_e32 v10, v10, v14, vcc
	v_cndmask_b32_e32 v11, v11, v12, vcc
	v_lshlrev_b32_e32 v12, 24, v17
	v_mov_b32_e32 v14, 0x3b800000
	v_lshlrev_b32_e32 v10, 20, v10
	v_and_b32_e32 v12, 0x80000000, v12
	v_lshl_add_u32 v11, v11, 23, v14
	v_or3_b32 v10, v12, v11, v10
.LBB40_1124:
	s_or_b64 exec, exec, s[6:7]
	s_movk_i32 s4, 0x7f
	v_cmp_gt_i16_sdwa s[6:7], v13, s4 src0_sel:BYTE_0 src1_sel:DWORD
	s_mov_b64 s[4:5], 0
                                        ; implicit-def: $sgpr10
	s_and_saveexec_b64 s[8:9], s[6:7]
	s_xor_b64 s[6:7], exec, s[8:9]
	s_cbranch_execnz .LBB40_3173
; %bb.1125:
	s_or_saveexec_b64 s[6:7], s[6:7]
	v_mov_b32_e32 v11, s10
	s_xor_b64 exec, exec, s[6:7]
	s_cbranch_execnz .LBB40_3176
.LBB40_1126:
	s_or_b64 exec, exec, s[6:7]
	s_and_saveexec_b64 s[6:7], s[4:5]
	s_cbranch_execz .LBB40_1128
.LBB40_1127:
	v_and_b32_e32 v11, 7, v13
	v_ffbh_u32_e32 v14, v11
	v_min_u32_e32 v14, 32, v14
	v_lshrrev_b16_e32 v12, 3, v13
	v_subrev_u32_e32 v15, 28, v14
	v_and_b32_e32 v12, 15, v12
	v_lshlrev_b32_e32 v15, v15, v13
	v_sub_u32_e32 v14, 29, v14
	v_and_b32_e32 v15, 7, v15
	v_cmp_eq_u16_e32 vcc, 0, v12
	v_cndmask_b32_e32 v11, v11, v15, vcc
	v_cndmask_b32_e32 v12, v12, v14, vcc
	v_lshlrev_b32_e32 v14, 24, v13
	v_mov_b32_e32 v15, 0x3b800000
	v_lshlrev_b32_e32 v11, 20, v11
	v_and_b32_e32 v14, 0x80000000, v14
	v_lshl_add_u32 v12, v12, 23, v15
	v_or3_b32 v11, v14, v12, v11
.LBB40_1128:
	s_or_b64 exec, exec, s[6:7]
	s_nop 0
	v_mfma_f32_16x16x4f32 a[0:3], v10, v11, a[0:3]
	v_lshrrev_b32_e32 v11, 8, v17
	s_movk_i32 s4, 0x7f
	v_cmp_gt_i16_sdwa s[6:7], v11, s4 src0_sel:BYTE_0 src1_sel:DWORD
	s_mov_b64 s[4:5], 0
                                        ; implicit-def: $sgpr10
	s_and_saveexec_b64 s[8:9], s[6:7]
	s_xor_b64 s[6:7], exec, s[8:9]
	s_cbranch_execnz .LBB40_3177
; %bb.1129:
	s_or_saveexec_b64 s[6:7], s[6:7]
	v_mov_b32_e32 v10, s10
	s_xor_b64 exec, exec, s[6:7]
	s_cbranch_execnz .LBB40_3180
.LBB40_1130:
	s_or_b64 exec, exec, s[6:7]
	s_and_saveexec_b64 s[6:7], s[4:5]
	s_cbranch_execz .LBB40_1132
.LBB40_1131:
	v_bfe_u32 v10, v17, 8, 3
	v_ffbh_u32_e32 v14, v10
	v_min_u32_e32 v14, 32, v14
	v_lshrrev_b16_e32 v12, 3, v11
	v_subrev_u32_e32 v15, 28, v14
	v_and_b32_e32 v12, 15, v12
	v_lshlrev_b32_e32 v11, v15, v11
	v_sub_u32_e32 v14, 29, v14
	v_and_b32_e32 v11, 7, v11
	v_cmp_eq_u16_e32 vcc, 0, v12
	v_cndmask_b32_e32 v10, v10, v11, vcc
	v_cndmask_b32_e32 v11, v12, v14, vcc
	v_lshlrev_b32_e32 v12, 16, v17
	v_mov_b32_e32 v14, 0x3b800000
	v_lshlrev_b32_e32 v10, 20, v10
	v_and_b32_e32 v12, 0x80000000, v12
	v_lshl_add_u32 v11, v11, 23, v14
	v_or3_b32 v10, v12, v11, v10
.LBB40_1132:
	s_or_b64 exec, exec, s[6:7]
	v_lshrrev_b32_e32 v11, 8, v13
	s_movk_i32 s4, 0x7f
	v_cmp_gt_i16_sdwa s[6:7], v11, s4 src0_sel:BYTE_0 src1_sel:DWORD
	s_mov_b64 s[4:5], 0
                                        ; implicit-def: $sgpr10
	s_and_saveexec_b64 s[8:9], s[6:7]
	s_xor_b64 s[6:7], exec, s[8:9]
	s_cbranch_execnz .LBB40_3181
; %bb.1133:
	s_or_saveexec_b64 s[6:7], s[6:7]
	v_mov_b32_e32 v12, s10
	s_xor_b64 exec, exec, s[6:7]
	s_cbranch_execnz .LBB40_3184
.LBB40_1134:
	s_or_b64 exec, exec, s[6:7]
	s_and_saveexec_b64 s[6:7], s[4:5]
	s_cbranch_execz .LBB40_1136
.LBB40_1135:
	v_bfe_u32 v12, v13, 8, 3
	v_ffbh_u32_e32 v15, v12
	v_min_u32_e32 v15, 32, v15
	v_lshrrev_b16_e32 v14, 3, v11
	v_subrev_u32_e32 v16, 28, v15
	v_and_b32_e32 v14, 15, v14
	v_lshlrev_b32_e32 v11, v16, v11
	v_sub_u32_e32 v15, 29, v15
	v_and_b32_e32 v11, 7, v11
	v_cmp_eq_u16_e32 vcc, 0, v14
	v_cndmask_b32_e32 v11, v12, v11, vcc
	v_cndmask_b32_e32 v12, v14, v15, vcc
	v_lshlrev_b32_e32 v14, 16, v13
	v_mov_b32_e32 v15, 0x3b800000
	v_lshlrev_b32_e32 v11, 20, v11
	v_and_b32_e32 v14, 0x80000000, v14
	v_lshl_add_u32 v12, v12, 23, v15
	v_or3_b32 v12, v14, v12, v11
.LBB40_1136:
	s_or_b64 exec, exec, s[6:7]
	s_nop 0
	v_mfma_f32_16x16x4f32 a[0:3], v10, v12, a[0:3]
	s_movk_i32 s4, 0xff
	v_and_b32_sdwa v11, v17, s4 dst_sel:DWORD dst_unused:UNUSED_PAD src0_sel:WORD_1 src1_sel:DWORD
	s_movk_i32 s4, 0x7f
	v_cmp_lt_i16_e32 vcc, s4, v11
	s_mov_b64 s[4:5], 0
                                        ; implicit-def: $sgpr10
	s_and_saveexec_b64 s[6:7], vcc
	s_xor_b64 s[6:7], exec, s[6:7]
	s_cbranch_execnz .LBB40_3185
; %bb.1137:
	s_or_saveexec_b64 s[6:7], s[6:7]
	v_mov_b32_e32 v10, s10
	s_xor_b64 exec, exec, s[6:7]
	s_cbranch_execnz .LBB40_3188
.LBB40_1138:
	s_or_b64 exec, exec, s[6:7]
	s_and_saveexec_b64 s[6:7], s[4:5]
	s_cbranch_execz .LBB40_1140
.LBB40_1139:
	v_bfe_u32 v10, v17, 16, 3
	v_ffbh_u32_e32 v14, v10
	v_min_u32_e32 v14, 32, v14
	v_lshrrev_b32_e32 v11, 19, v17
	v_subrev_u32_e32 v15, 28, v14
	v_and_b32_e32 v11, 15, v11
	v_lshlrev_b32_sdwa v15, v15, v17 dst_sel:DWORD dst_unused:UNUSED_PAD src0_sel:DWORD src1_sel:WORD_1
	v_bfe_u32 v12, v17, 19, 4
	v_sub_u32_e32 v14, 29, v14
	v_and_b32_e32 v15, 7, v15
	v_cmp_eq_u16_e32 vcc, 0, v11
	v_cndmask_b32_e32 v10, v10, v15, vcc
	v_cndmask_b32_e32 v11, v12, v14, vcc
	v_lshlrev_b32_e32 v12, 8, v17
	v_mov_b32_e32 v14, 0x3b800000
	v_lshlrev_b32_e32 v10, 20, v10
	v_and_b32_e32 v12, 0x80000000, v12
	v_lshl_add_u32 v11, v11, 23, v14
	v_or3_b32 v10, v12, v11, v10
.LBB40_1140:
	s_or_b64 exec, exec, s[6:7]
	s_movk_i32 s4, 0xff
	v_and_b32_sdwa v11, v13, s4 dst_sel:DWORD dst_unused:UNUSED_PAD src0_sel:WORD_1 src1_sel:DWORD
	s_movk_i32 s4, 0x7f
	v_cmp_lt_i16_e32 vcc, s4, v11
	s_mov_b64 s[4:5], 0
                                        ; implicit-def: $sgpr10
	s_and_saveexec_b64 s[6:7], vcc
	s_xor_b64 s[6:7], exec, s[6:7]
	s_cbranch_execnz .LBB40_3189
; %bb.1141:
	s_or_saveexec_b64 s[6:7], s[6:7]
	v_mov_b32_e32 v12, s10
	s_xor_b64 exec, exec, s[6:7]
	s_cbranch_execnz .LBB40_3192
.LBB40_1142:
	s_or_b64 exec, exec, s[6:7]
	s_and_saveexec_b64 s[6:7], s[4:5]
	s_cbranch_execz .LBB40_1144
.LBB40_1143:
	v_bfe_u32 v11, v13, 16, 3
	v_ffbh_u32_e32 v15, v11
	v_min_u32_e32 v15, 32, v15
	v_lshrrev_b32_e32 v12, 19, v13
	v_subrev_u32_e32 v16, 28, v15
	v_and_b32_e32 v12, 15, v12
	v_lshlrev_b32_sdwa v16, v16, v13 dst_sel:DWORD dst_unused:UNUSED_PAD src0_sel:DWORD src1_sel:WORD_1
	v_bfe_u32 v14, v13, 19, 4
	v_sub_u32_e32 v15, 29, v15
	v_and_b32_e32 v16, 7, v16
	v_cmp_eq_u16_e32 vcc, 0, v12
	v_cndmask_b32_e32 v11, v11, v16, vcc
	v_cndmask_b32_e32 v12, v14, v15, vcc
	v_lshlrev_b32_e32 v14, 8, v13
	v_mov_b32_e32 v15, 0x3b800000
	v_lshlrev_b32_e32 v11, 20, v11
	v_and_b32_e32 v14, 0x80000000, v14
	v_lshl_add_u32 v12, v12, 23, v15
	v_or3_b32 v12, v14, v12, v11
.LBB40_1144:
	s_or_b64 exec, exec, s[6:7]
	s_nop 0
	v_mfma_f32_16x16x4f32 a[0:3], v10, v12, a[0:3]
	s_movk_i32 s4, 0x7f
	v_cmp_gt_i16_sdwa s[6:7], v17, s4 src0_sel:BYTE_3 src1_sel:DWORD
	s_mov_b64 s[4:5], 0
                                        ; implicit-def: $sgpr10
	s_and_saveexec_b64 s[8:9], s[6:7]
	s_xor_b64 s[6:7], exec, s[8:9]
	s_cbranch_execnz .LBB40_3193
; %bb.1145:
	s_or_saveexec_b64 s[6:7], s[6:7]
	v_mov_b32_e32 v10, s10
	s_xor_b64 exec, exec, s[6:7]
	s_cbranch_execnz .LBB40_3196
.LBB40_1146:
	s_or_b64 exec, exec, s[6:7]
	s_and_saveexec_b64 s[6:7], s[4:5]
	s_cbranch_execz .LBB40_1148
.LBB40_1147:
	v_bfe_u32 v10, v17, 24, 3
	v_ffbh_u32_e32 v15, v10
	v_min_u32_e32 v15, 32, v15
	v_lshrrev_b32_e32 v12, 27, v17
	v_subrev_u32_e32 v16, 28, v15
	v_and_b32_e32 v12, 15, v12
	v_lshlrev_b32_sdwa v16, v16, v17 dst_sel:DWORD dst_unused:UNUSED_PAD src0_sel:DWORD src1_sel:BYTE_3
	v_bfe_u32 v14, v17, 27, 4
	v_sub_u32_e32 v15, 29, v15
	v_and_b32_e32 v16, 7, v16
	v_cmp_eq_u16_e32 vcc, 0, v12
	v_cndmask_b32_e32 v10, v10, v16, vcc
	v_cndmask_b32_e32 v12, v14, v15, vcc
	v_mov_b32_e32 v14, 0x3b800000
	v_and_b32_e32 v11, 0x80000000, v17
	v_lshlrev_b32_e32 v10, 20, v10
	v_lshl_add_u32 v12, v12, 23, v14
	v_or3_b32 v10, v11, v12, v10
.LBB40_1148:
	s_or_b64 exec, exec, s[6:7]
	s_movk_i32 s4, 0x7f
	v_cmp_gt_i16_sdwa s[6:7], v13, s4 src0_sel:BYTE_3 src1_sel:DWORD
	s_mov_b64 s[4:5], 0
                                        ; implicit-def: $sgpr10
	s_and_saveexec_b64 s[8:9], s[6:7]
	s_xor_b64 s[6:7], exec, s[8:9]
	s_cbranch_execnz .LBB40_3197
; %bb.1149:
	s_or_saveexec_b64 s[6:7], s[6:7]
	v_mov_b32_e32 v11, s10
	s_xor_b64 exec, exec, s[6:7]
	s_cbranch_execnz .LBB40_3200
.LBB40_1150:
	s_or_b64 exec, exec, s[6:7]
	s_and_saveexec_b64 s[6:7], s[4:5]
	s_cbranch_execz .LBB40_1152
.LBB40_1151:
	v_bfe_u32 v11, v13, 24, 3
	v_ffbh_u32_e32 v16, v11
	v_min_u32_e32 v16, 32, v16
	v_lshrrev_b32_e32 v14, 27, v13
	v_subrev_u32_e32 v17, 28, v16
	v_and_b32_e32 v12, 0x80000000, v13
	v_and_b32_e32 v14, 15, v14
	v_bfe_u32 v15, v13, 27, 4
	v_lshlrev_b32_sdwa v13, v17, v13 dst_sel:DWORD dst_unused:UNUSED_PAD src0_sel:DWORD src1_sel:BYTE_3
	v_sub_u32_e32 v16, 29, v16
	v_and_b32_e32 v13, 7, v13
	v_cmp_eq_u16_e32 vcc, 0, v14
	v_cndmask_b32_e32 v11, v11, v13, vcc
	v_cndmask_b32_e32 v13, v15, v16, vcc
	v_mov_b32_e32 v14, 0x3b800000
	v_lshlrev_b32_e32 v11, 20, v11
	v_lshl_add_u32 v13, v13, 23, v14
	v_or3_b32 v11, v12, v13, v11
.LBB40_1152:
	s_or_b64 exec, exec, s[6:7]
	s_nop 0
	v_mfma_f32_16x16x4f32 a[0:3], v10, v11, a[0:3]
	s_movk_i32 s4, 0x7f
	v_cmp_gt_i16_sdwa s[6:7], v6, s4 src0_sel:BYTE_0 src1_sel:DWORD
	s_mov_b64 s[4:5], 0
                                        ; implicit-def: $sgpr10
	s_and_saveexec_b64 s[8:9], s[6:7]
	s_xor_b64 s[6:7], exec, s[8:9]
	s_cbranch_execnz .LBB40_3201
; %bb.1153:
	s_or_saveexec_b64 s[6:7], s[6:7]
	v_mov_b32_e32 v10, s10
	s_xor_b64 exec, exec, s[6:7]
	s_cbranch_execnz .LBB40_3204
.LBB40_1154:
	s_or_b64 exec, exec, s[6:7]
	s_and_saveexec_b64 s[6:7], s[4:5]
	s_cbranch_execz .LBB40_1156
.LBB40_1155:
	v_and_b32_e32 v10, 7, v6
	v_ffbh_u32_e32 v12, v10
	v_min_u32_e32 v12, 32, v12
	v_lshrrev_b16_e32 v11, 3, v6
	v_subrev_u32_e32 v13, 28, v12
	v_and_b32_e32 v11, 15, v11
	v_lshlrev_b32_e32 v13, v13, v6
	v_sub_u32_e32 v12, 29, v12
	v_and_b32_e32 v13, 7, v13
	v_cmp_eq_u16_e32 vcc, 0, v11
	v_cndmask_b32_e32 v10, v10, v13, vcc
	v_cndmask_b32_e32 v11, v11, v12, vcc
	v_lshlrev_b32_e32 v12, 24, v6
	v_mov_b32_e32 v13, 0x3b800000
	v_lshlrev_b32_e32 v10, 20, v10
	v_and_b32_e32 v12, 0x80000000, v12
	v_lshl_add_u32 v11, v11, 23, v13
	v_or3_b32 v10, v12, v11, v10
.LBB40_1156:
	s_or_b64 exec, exec, s[6:7]
	s_movk_i32 s4, 0x7f
	v_cmp_gt_i16_sdwa s[6:7], v2, s4 src0_sel:BYTE_0 src1_sel:DWORD
	s_mov_b64 s[4:5], 0
                                        ; implicit-def: $sgpr10
	s_and_saveexec_b64 s[8:9], s[6:7]
	s_xor_b64 s[6:7], exec, s[8:9]
	s_cbranch_execnz .LBB40_3205
; %bb.1157:
	s_or_saveexec_b64 s[6:7], s[6:7]
	v_mov_b32_e32 v11, s10
	s_xor_b64 exec, exec, s[6:7]
	s_cbranch_execnz .LBB40_3208
.LBB40_1158:
	s_or_b64 exec, exec, s[6:7]
	s_and_saveexec_b64 s[6:7], s[4:5]
	s_cbranch_execz .LBB40_1160
.LBB40_1159:
	v_and_b32_e32 v11, 7, v2
	v_ffbh_u32_e32 v13, v11
	v_min_u32_e32 v13, 32, v13
	v_lshrrev_b16_e32 v12, 3, v2
	v_subrev_u32_e32 v14, 28, v13
	v_and_b32_e32 v12, 15, v12
	v_lshlrev_b32_e32 v14, v14, v2
	v_sub_u32_e32 v13, 29, v13
	v_and_b32_e32 v14, 7, v14
	v_cmp_eq_u16_e32 vcc, 0, v12
	v_cndmask_b32_e32 v11, v11, v14, vcc
	v_cndmask_b32_e32 v12, v12, v13, vcc
	v_lshlrev_b32_e32 v13, 24, v2
	v_mov_b32_e32 v14, 0x3b800000
	v_lshlrev_b32_e32 v11, 20, v11
	v_and_b32_e32 v13, 0x80000000, v13
	v_lshl_add_u32 v12, v12, 23, v14
	v_or3_b32 v11, v13, v12, v11
.LBB40_1160:
	s_or_b64 exec, exec, s[6:7]
	s_nop 0
	v_mfma_f32_16x16x4f32 a[0:3], v10, v11, a[0:3]
	v_lshrrev_b32_e32 v11, 8, v6
	s_movk_i32 s4, 0x7f
	v_cmp_gt_i16_sdwa s[6:7], v11, s4 src0_sel:BYTE_0 src1_sel:DWORD
	s_mov_b64 s[4:5], 0
                                        ; implicit-def: $sgpr10
	s_and_saveexec_b64 s[8:9], s[6:7]
	s_xor_b64 s[6:7], exec, s[8:9]
	s_cbranch_execnz .LBB40_3209
; %bb.1161:
	s_or_saveexec_b64 s[6:7], s[6:7]
	v_mov_b32_e32 v10, s10
	s_xor_b64 exec, exec, s[6:7]
	s_cbranch_execnz .LBB40_3212
.LBB40_1162:
	s_or_b64 exec, exec, s[6:7]
	s_and_saveexec_b64 s[6:7], s[4:5]
	s_cbranch_execz .LBB40_1164
.LBB40_1163:
	v_bfe_u32 v10, v6, 8, 3
	v_ffbh_u32_e32 v13, v10
	v_min_u32_e32 v13, 32, v13
	v_lshrrev_b16_e32 v12, 3, v11
	v_subrev_u32_e32 v14, 28, v13
	v_and_b32_e32 v12, 15, v12
	v_lshlrev_b32_e32 v11, v14, v11
	v_sub_u32_e32 v13, 29, v13
	v_and_b32_e32 v11, 7, v11
	v_cmp_eq_u16_e32 vcc, 0, v12
	v_cndmask_b32_e32 v10, v10, v11, vcc
	v_cndmask_b32_e32 v11, v12, v13, vcc
	v_lshlrev_b32_e32 v12, 16, v6
	v_mov_b32_e32 v13, 0x3b800000
	v_lshlrev_b32_e32 v10, 20, v10
	v_and_b32_e32 v12, 0x80000000, v12
	v_lshl_add_u32 v11, v11, 23, v13
	v_or3_b32 v10, v12, v11, v10
.LBB40_1164:
	s_or_b64 exec, exec, s[6:7]
	v_lshrrev_b32_e32 v11, 8, v2
	s_movk_i32 s4, 0x7f
	v_cmp_gt_i16_sdwa s[6:7], v11, s4 src0_sel:BYTE_0 src1_sel:DWORD
	s_mov_b64 s[4:5], 0
                                        ; implicit-def: $sgpr10
	s_and_saveexec_b64 s[8:9], s[6:7]
	s_xor_b64 s[6:7], exec, s[8:9]
	s_cbranch_execnz .LBB40_3213
; %bb.1165:
	s_or_saveexec_b64 s[6:7], s[6:7]
	v_mov_b32_e32 v12, s10
	s_xor_b64 exec, exec, s[6:7]
	s_cbranch_execnz .LBB40_3216
.LBB40_1166:
	s_or_b64 exec, exec, s[6:7]
	s_and_saveexec_b64 s[6:7], s[4:5]
	s_cbranch_execz .LBB40_1168
.LBB40_1167:
	v_bfe_u32 v12, v2, 8, 3
	v_ffbh_u32_e32 v14, v12
	v_min_u32_e32 v14, 32, v14
	v_lshrrev_b16_e32 v13, 3, v11
	v_subrev_u32_e32 v15, 28, v14
	v_and_b32_e32 v13, 15, v13
	v_lshlrev_b32_e32 v11, v15, v11
	v_sub_u32_e32 v14, 29, v14
	v_and_b32_e32 v11, 7, v11
	v_cmp_eq_u16_e32 vcc, 0, v13
	v_cndmask_b32_e32 v11, v12, v11, vcc
	v_cndmask_b32_e32 v12, v13, v14, vcc
	v_lshlrev_b32_e32 v13, 16, v2
	v_mov_b32_e32 v14, 0x3b800000
	v_lshlrev_b32_e32 v11, 20, v11
	v_and_b32_e32 v13, 0x80000000, v13
	v_lshl_add_u32 v12, v12, 23, v14
	v_or3_b32 v12, v13, v12, v11
.LBB40_1168:
	s_or_b64 exec, exec, s[6:7]
	s_nop 0
	v_mfma_f32_16x16x4f32 a[0:3], v10, v12, a[0:3]
	s_movk_i32 s4, 0xff
	v_and_b32_sdwa v11, v6, s4 dst_sel:DWORD dst_unused:UNUSED_PAD src0_sel:WORD_1 src1_sel:DWORD
	s_movk_i32 s4, 0x7f
	v_cmp_lt_i16_e32 vcc, s4, v11
	s_mov_b64 s[4:5], 0
                                        ; implicit-def: $sgpr10
	s_and_saveexec_b64 s[6:7], vcc
	s_xor_b64 s[6:7], exec, s[6:7]
	s_cbranch_execnz .LBB40_3217
; %bb.1169:
	s_or_saveexec_b64 s[6:7], s[6:7]
	v_mov_b32_e32 v10, s10
	s_xor_b64 exec, exec, s[6:7]
	s_cbranch_execnz .LBB40_3220
.LBB40_1170:
	s_or_b64 exec, exec, s[6:7]
	s_and_saveexec_b64 s[6:7], s[4:5]
	s_cbranch_execz .LBB40_1172
.LBB40_1171:
	v_bfe_u32 v10, v6, 16, 3
	v_ffbh_u32_e32 v13, v10
	v_min_u32_e32 v13, 32, v13
	v_lshrrev_b32_e32 v11, 19, v6
	v_subrev_u32_e32 v14, 28, v13
	v_and_b32_e32 v11, 15, v11
	v_lshlrev_b32_sdwa v14, v14, v6 dst_sel:DWORD dst_unused:UNUSED_PAD src0_sel:DWORD src1_sel:WORD_1
	v_bfe_u32 v12, v6, 19, 4
	v_sub_u32_e32 v13, 29, v13
	v_and_b32_e32 v14, 7, v14
	v_cmp_eq_u16_e32 vcc, 0, v11
	v_cndmask_b32_e32 v10, v10, v14, vcc
	v_cndmask_b32_e32 v11, v12, v13, vcc
	v_lshlrev_b32_e32 v12, 8, v6
	v_mov_b32_e32 v13, 0x3b800000
	v_lshlrev_b32_e32 v10, 20, v10
	v_and_b32_e32 v12, 0x80000000, v12
	v_lshl_add_u32 v11, v11, 23, v13
	v_or3_b32 v10, v12, v11, v10
.LBB40_1172:
	s_or_b64 exec, exec, s[6:7]
	s_movk_i32 s4, 0xff
	v_and_b32_sdwa v11, v2, s4 dst_sel:DWORD dst_unused:UNUSED_PAD src0_sel:WORD_1 src1_sel:DWORD
	s_movk_i32 s4, 0x7f
	v_cmp_lt_i16_e32 vcc, s4, v11
	s_mov_b64 s[4:5], 0
                                        ; implicit-def: $sgpr10
	s_and_saveexec_b64 s[6:7], vcc
	s_xor_b64 s[6:7], exec, s[6:7]
	s_cbranch_execnz .LBB40_3221
; %bb.1173:
	s_or_saveexec_b64 s[6:7], s[6:7]
	v_mov_b32_e32 v12, s10
	s_xor_b64 exec, exec, s[6:7]
	s_cbranch_execnz .LBB40_3224
.LBB40_1174:
	s_or_b64 exec, exec, s[6:7]
	s_and_saveexec_b64 s[6:7], s[4:5]
	s_cbranch_execz .LBB40_1176
.LBB40_1175:
	v_bfe_u32 v11, v2, 16, 3
	v_ffbh_u32_e32 v14, v11
	v_min_u32_e32 v14, 32, v14
	v_lshrrev_b32_e32 v12, 19, v2
	v_subrev_u32_e32 v15, 28, v14
	v_and_b32_e32 v12, 15, v12
	v_lshlrev_b32_sdwa v15, v15, v2 dst_sel:DWORD dst_unused:UNUSED_PAD src0_sel:DWORD src1_sel:WORD_1
	v_bfe_u32 v13, v2, 19, 4
	v_sub_u32_e32 v14, 29, v14
	v_and_b32_e32 v15, 7, v15
	v_cmp_eq_u16_e32 vcc, 0, v12
	v_cndmask_b32_e32 v11, v11, v15, vcc
	v_cndmask_b32_e32 v12, v13, v14, vcc
	v_lshlrev_b32_e32 v13, 8, v2
	v_mov_b32_e32 v14, 0x3b800000
	v_lshlrev_b32_e32 v11, 20, v11
	v_and_b32_e32 v13, 0x80000000, v13
	v_lshl_add_u32 v12, v12, 23, v14
	v_or3_b32 v12, v13, v12, v11
.LBB40_1176:
	s_or_b64 exec, exec, s[6:7]
	s_nop 0
	v_mfma_f32_16x16x4f32 a[0:3], v10, v12, a[0:3]
	s_movk_i32 s4, 0x7f
	v_cmp_gt_i16_sdwa s[6:7], v6, s4 src0_sel:BYTE_3 src1_sel:DWORD
	s_mov_b64 s[4:5], 0
                                        ; implicit-def: $sgpr10
	s_and_saveexec_b64 s[8:9], s[6:7]
	s_xor_b64 s[6:7], exec, s[8:9]
	s_cbranch_execnz .LBB40_3225
; %bb.1177:
	s_or_saveexec_b64 s[6:7], s[6:7]
	v_mov_b32_e32 v10, s10
	s_xor_b64 exec, exec, s[6:7]
	s_cbranch_execnz .LBB40_3228
.LBB40_1178:
	s_or_b64 exec, exec, s[6:7]
	s_and_saveexec_b64 s[6:7], s[4:5]
	s_cbranch_execz .LBB40_1180
.LBB40_1179:
	v_bfe_u32 v10, v6, 24, 3
	v_ffbh_u32_e32 v14, v10
	v_min_u32_e32 v14, 32, v14
	v_lshrrev_b32_e32 v12, 27, v6
	v_subrev_u32_e32 v15, 28, v14
	v_and_b32_e32 v11, 0x80000000, v6
	v_and_b32_e32 v12, 15, v12
	v_bfe_u32 v13, v6, 27, 4
	v_lshlrev_b32_sdwa v6, v15, v6 dst_sel:DWORD dst_unused:UNUSED_PAD src0_sel:DWORD src1_sel:BYTE_3
	v_sub_u32_e32 v14, 29, v14
	v_and_b32_e32 v6, 7, v6
	v_cmp_eq_u16_e32 vcc, 0, v12
	v_cndmask_b32_e32 v6, v10, v6, vcc
	v_cndmask_b32_e32 v10, v13, v14, vcc
	v_mov_b32_e32 v12, 0x3b800000
	v_lshlrev_b32_e32 v6, 20, v6
	v_lshl_add_u32 v10, v10, 23, v12
	v_or3_b32 v10, v11, v10, v6
.LBB40_1180:
	s_or_b64 exec, exec, s[6:7]
	s_movk_i32 s4, 0x7f
	v_cmp_gt_i16_sdwa s[6:7], v2, s4 src0_sel:BYTE_3 src1_sel:DWORD
	s_mov_b64 s[4:5], 0
                                        ; implicit-def: $sgpr10
	s_and_saveexec_b64 s[8:9], s[6:7]
	s_xor_b64 s[6:7], exec, s[8:9]
	s_cbranch_execnz .LBB40_3229
; %bb.1181:
	s_or_saveexec_b64 s[6:7], s[6:7]
	v_mov_b32_e32 v6, s10
	s_xor_b64 exec, exec, s[6:7]
	s_cbranch_execnz .LBB40_3232
.LBB40_1182:
	s_or_b64 exec, exec, s[6:7]
	s_and_saveexec_b64 s[6:7], s[4:5]
	s_cbranch_execz .LBB40_1184
.LBB40_1183:
	v_bfe_u32 v6, v2, 24, 3
	v_ffbh_u32_e32 v14, v6
	v_min_u32_e32 v14, 32, v14
	v_lshrrev_b32_e32 v12, 27, v2
	v_subrev_u32_e32 v15, 28, v14
	v_and_b32_e32 v11, 0x80000000, v2
	v_and_b32_e32 v12, 15, v12
	v_bfe_u32 v13, v2, 27, 4
	v_lshlrev_b32_sdwa v2, v15, v2 dst_sel:DWORD dst_unused:UNUSED_PAD src0_sel:DWORD src1_sel:BYTE_3
	v_sub_u32_e32 v14, 29, v14
	v_and_b32_e32 v2, 7, v2
	v_cmp_eq_u16_e32 vcc, 0, v12
	v_cndmask_b32_e32 v2, v6, v2, vcc
	v_cndmask_b32_e32 v6, v13, v14, vcc
	v_mov_b32_e32 v12, 0x3b800000
	v_lshlrev_b32_e32 v2, 20, v2
	v_lshl_add_u32 v6, v6, 23, v12
	v_or3_b32 v6, v11, v6, v2
.LBB40_1184:
	s_or_b64 exec, exec, s[6:7]
	s_nop 0
	v_mfma_f32_16x16x4f32 a[0:3], v10, v6, a[0:3]
	s_movk_i32 s4, 0x7f
	v_cmp_gt_i16_sdwa s[6:7], v7, s4 src0_sel:BYTE_0 src1_sel:DWORD
	s_mov_b64 s[4:5], 0
                                        ; implicit-def: $sgpr10
	s_and_saveexec_b64 s[8:9], s[6:7]
	s_xor_b64 s[6:7], exec, s[8:9]
	s_cbranch_execnz .LBB40_3233
; %bb.1185:
	s_or_saveexec_b64 s[6:7], s[6:7]
	v_mov_b32_e32 v2, s10
	s_xor_b64 exec, exec, s[6:7]
	s_cbranch_execnz .LBB40_3236
.LBB40_1186:
	s_or_b64 exec, exec, s[6:7]
	s_and_saveexec_b64 s[6:7], s[4:5]
	s_cbranch_execz .LBB40_1188
.LBB40_1187:
	v_and_b32_e32 v2, 7, v7
	v_ffbh_u32_e32 v10, v2
	v_min_u32_e32 v10, 32, v10
	v_lshrrev_b16_e32 v6, 3, v7
	v_subrev_u32_e32 v11, 28, v10
	v_and_b32_e32 v6, 15, v6
	v_lshlrev_b32_e32 v11, v11, v7
	v_sub_u32_e32 v10, 29, v10
	v_and_b32_e32 v11, 7, v11
	v_cmp_eq_u16_e32 vcc, 0, v6
	v_cndmask_b32_e32 v2, v2, v11, vcc
	v_cndmask_b32_e32 v6, v6, v10, vcc
	v_lshlrev_b32_e32 v10, 24, v7
	v_mov_b32_e32 v11, 0x3b800000
	v_lshlrev_b32_e32 v2, 20, v2
	v_and_b32_e32 v10, 0x80000000, v10
	v_lshl_add_u32 v6, v6, 23, v11
	v_or3_b32 v2, v10, v6, v2
.LBB40_1188:
	s_or_b64 exec, exec, s[6:7]
	s_movk_i32 s4, 0x7f
	v_cmp_gt_i16_sdwa s[6:7], v3, s4 src0_sel:BYTE_0 src1_sel:DWORD
	s_mov_b64 s[4:5], 0
                                        ; implicit-def: $sgpr10
	s_and_saveexec_b64 s[8:9], s[6:7]
	s_xor_b64 s[6:7], exec, s[8:9]
	s_cbranch_execnz .LBB40_3237
; %bb.1189:
	s_or_saveexec_b64 s[6:7], s[6:7]
	v_mov_b32_e32 v6, s10
	s_xor_b64 exec, exec, s[6:7]
	s_cbranch_execnz .LBB40_3240
.LBB40_1190:
	s_or_b64 exec, exec, s[6:7]
	s_and_saveexec_b64 s[6:7], s[4:5]
	s_cbranch_execz .LBB40_1192
.LBB40_1191:
	v_and_b32_e32 v6, 7, v3
	v_ffbh_u32_e32 v11, v6
	v_min_u32_e32 v11, 32, v11
	v_lshrrev_b16_e32 v10, 3, v3
	v_subrev_u32_e32 v12, 28, v11
	v_and_b32_e32 v10, 15, v10
	v_lshlrev_b32_e32 v12, v12, v3
	v_sub_u32_e32 v11, 29, v11
	v_and_b32_e32 v12, 7, v12
	v_cmp_eq_u16_e32 vcc, 0, v10
	v_cndmask_b32_e32 v6, v6, v12, vcc
	v_cndmask_b32_e32 v10, v10, v11, vcc
	v_lshlrev_b32_e32 v11, 24, v3
	v_mov_b32_e32 v12, 0x3b800000
	v_lshlrev_b32_e32 v6, 20, v6
	v_and_b32_e32 v11, 0x80000000, v11
	v_lshl_add_u32 v10, v10, 23, v12
	v_or3_b32 v6, v11, v10, v6
.LBB40_1192:
	s_or_b64 exec, exec, s[6:7]
	s_nop 0
	v_mfma_f32_16x16x4f32 a[0:3], v2, v6, a[0:3]
	v_lshrrev_b32_e32 v6, 8, v7
	s_movk_i32 s4, 0x7f
	v_cmp_gt_i16_sdwa s[6:7], v6, s4 src0_sel:BYTE_0 src1_sel:DWORD
	s_mov_b64 s[4:5], 0
                                        ; implicit-def: $sgpr10
	s_and_saveexec_b64 s[8:9], s[6:7]
	s_xor_b64 s[6:7], exec, s[8:9]
	s_cbranch_execnz .LBB40_3241
; %bb.1193:
	s_or_saveexec_b64 s[6:7], s[6:7]
	v_mov_b32_e32 v2, s10
	s_xor_b64 exec, exec, s[6:7]
	s_cbranch_execnz .LBB40_3244
.LBB40_1194:
	s_or_b64 exec, exec, s[6:7]
	s_and_saveexec_b64 s[6:7], s[4:5]
	s_cbranch_execz .LBB40_1196
.LBB40_1195:
	v_bfe_u32 v2, v7, 8, 3
	v_ffbh_u32_e32 v11, v2
	v_min_u32_e32 v11, 32, v11
	v_lshrrev_b16_e32 v10, 3, v6
	v_subrev_u32_e32 v12, 28, v11
	v_and_b32_e32 v10, 15, v10
	v_lshlrev_b32_e32 v6, v12, v6
	v_sub_u32_e32 v11, 29, v11
	v_and_b32_e32 v6, 7, v6
	v_cmp_eq_u16_e32 vcc, 0, v10
	v_cndmask_b32_e32 v2, v2, v6, vcc
	v_cndmask_b32_e32 v6, v10, v11, vcc
	v_lshlrev_b32_e32 v10, 16, v7
	v_mov_b32_e32 v11, 0x3b800000
	v_lshlrev_b32_e32 v2, 20, v2
	v_and_b32_e32 v10, 0x80000000, v10
	v_lshl_add_u32 v6, v6, 23, v11
	v_or3_b32 v2, v10, v6, v2
.LBB40_1196:
	s_or_b64 exec, exec, s[6:7]
	v_lshrrev_b32_e32 v6, 8, v3
	s_movk_i32 s4, 0x7f
	v_cmp_gt_i16_sdwa s[6:7], v6, s4 src0_sel:BYTE_0 src1_sel:DWORD
	s_mov_b64 s[4:5], 0
                                        ; implicit-def: $sgpr10
	s_and_saveexec_b64 s[8:9], s[6:7]
	s_xor_b64 s[6:7], exec, s[8:9]
	s_cbranch_execnz .LBB40_3245
; %bb.1197:
	s_or_saveexec_b64 s[6:7], s[6:7]
	v_mov_b32_e32 v10, s10
	s_xor_b64 exec, exec, s[6:7]
	s_cbranch_execnz .LBB40_3248
.LBB40_1198:
	s_or_b64 exec, exec, s[6:7]
	s_and_saveexec_b64 s[6:7], s[4:5]
	s_cbranch_execz .LBB40_1200
.LBB40_1199:
	v_bfe_u32 v10, v3, 8, 3
	v_ffbh_u32_e32 v12, v10
	v_min_u32_e32 v12, 32, v12
	v_lshrrev_b16_e32 v11, 3, v6
	v_subrev_u32_e32 v13, 28, v12
	v_and_b32_e32 v11, 15, v11
	v_lshlrev_b32_e32 v6, v13, v6
	v_sub_u32_e32 v12, 29, v12
	v_and_b32_e32 v6, 7, v6
	v_cmp_eq_u16_e32 vcc, 0, v11
	v_cndmask_b32_e32 v6, v10, v6, vcc
	v_cndmask_b32_e32 v10, v11, v12, vcc
	v_lshlrev_b32_e32 v11, 16, v3
	v_mov_b32_e32 v12, 0x3b800000
	v_lshlrev_b32_e32 v6, 20, v6
	v_and_b32_e32 v11, 0x80000000, v11
	v_lshl_add_u32 v10, v10, 23, v12
	v_or3_b32 v10, v11, v10, v6
.LBB40_1200:
	s_or_b64 exec, exec, s[6:7]
	s_nop 0
	v_mfma_f32_16x16x4f32 a[0:3], v2, v10, a[0:3]
	s_movk_i32 s4, 0xff
	v_and_b32_sdwa v6, v7, s4 dst_sel:DWORD dst_unused:UNUSED_PAD src0_sel:WORD_1 src1_sel:DWORD
	s_movk_i32 s4, 0x7f
	v_cmp_lt_i16_e32 vcc, s4, v6
	s_mov_b64 s[4:5], 0
                                        ; implicit-def: $sgpr10
	s_and_saveexec_b64 s[6:7], vcc
	s_xor_b64 s[6:7], exec, s[6:7]
	s_cbranch_execnz .LBB40_3249
; %bb.1201:
	s_or_saveexec_b64 s[6:7], s[6:7]
	v_mov_b32_e32 v2, s10
	s_xor_b64 exec, exec, s[6:7]
	s_cbranch_execnz .LBB40_3252
.LBB40_1202:
	s_or_b64 exec, exec, s[6:7]
	s_and_saveexec_b64 s[6:7], s[4:5]
	s_cbranch_execz .LBB40_1204
.LBB40_1203:
	v_bfe_u32 v2, v7, 16, 3
	v_ffbh_u32_e32 v11, v2
	v_min_u32_e32 v11, 32, v11
	v_lshrrev_b32_e32 v6, 19, v7
	v_subrev_u32_e32 v12, 28, v11
	v_and_b32_e32 v6, 15, v6
	v_lshlrev_b32_sdwa v12, v12, v7 dst_sel:DWORD dst_unused:UNUSED_PAD src0_sel:DWORD src1_sel:WORD_1
	v_bfe_u32 v10, v7, 19, 4
	v_sub_u32_e32 v11, 29, v11
	v_and_b32_e32 v12, 7, v12
	v_cmp_eq_u16_e32 vcc, 0, v6
	v_cndmask_b32_e32 v2, v2, v12, vcc
	v_cndmask_b32_e32 v6, v10, v11, vcc
	v_lshlrev_b32_e32 v10, 8, v7
	v_mov_b32_e32 v11, 0x3b800000
	v_lshlrev_b32_e32 v2, 20, v2
	v_and_b32_e32 v10, 0x80000000, v10
	v_lshl_add_u32 v6, v6, 23, v11
	v_or3_b32 v2, v10, v6, v2
.LBB40_1204:
	s_or_b64 exec, exec, s[6:7]
	s_movk_i32 s4, 0xff
	v_and_b32_sdwa v6, v3, s4 dst_sel:DWORD dst_unused:UNUSED_PAD src0_sel:WORD_1 src1_sel:DWORD
	s_movk_i32 s4, 0x7f
	v_cmp_lt_i16_e32 vcc, s4, v6
	s_mov_b64 s[4:5], 0
                                        ; implicit-def: $sgpr10
	s_and_saveexec_b64 s[6:7], vcc
	s_xor_b64 s[6:7], exec, s[6:7]
	s_cbranch_execnz .LBB40_3253
; %bb.1205:
	s_or_saveexec_b64 s[6:7], s[6:7]
	v_mov_b32_e32 v10, s10
	s_xor_b64 exec, exec, s[6:7]
	s_cbranch_execnz .LBB40_3256
.LBB40_1206:
	s_or_b64 exec, exec, s[6:7]
	s_and_saveexec_b64 s[6:7], s[4:5]
	s_cbranch_execz .LBB40_1208
.LBB40_1207:
	v_bfe_u32 v6, v3, 16, 3
	v_ffbh_u32_e32 v12, v6
	v_min_u32_e32 v12, 32, v12
	v_lshrrev_b32_e32 v10, 19, v3
	v_subrev_u32_e32 v13, 28, v12
	v_and_b32_e32 v10, 15, v10
	v_lshlrev_b32_sdwa v13, v13, v3 dst_sel:DWORD dst_unused:UNUSED_PAD src0_sel:DWORD src1_sel:WORD_1
	v_bfe_u32 v11, v3, 19, 4
	v_sub_u32_e32 v12, 29, v12
	v_and_b32_e32 v13, 7, v13
	v_cmp_eq_u16_e32 vcc, 0, v10
	v_cndmask_b32_e32 v6, v6, v13, vcc
	v_cndmask_b32_e32 v10, v11, v12, vcc
	v_lshlrev_b32_e32 v11, 8, v3
	v_mov_b32_e32 v12, 0x3b800000
	v_lshlrev_b32_e32 v6, 20, v6
	v_and_b32_e32 v11, 0x80000000, v11
	v_lshl_add_u32 v10, v10, 23, v12
	v_or3_b32 v10, v11, v10, v6
.LBB40_1208:
	s_or_b64 exec, exec, s[6:7]
	s_nop 0
	v_mfma_f32_16x16x4f32 a[0:3], v2, v10, a[0:3]
	s_movk_i32 s4, 0x7f
	v_cmp_gt_i16_sdwa s[6:7], v7, s4 src0_sel:BYTE_3 src1_sel:DWORD
	s_mov_b64 s[4:5], 0
                                        ; implicit-def: $sgpr10
	s_and_saveexec_b64 s[8:9], s[6:7]
	s_xor_b64 s[6:7], exec, s[8:9]
	s_cbranch_execnz .LBB40_3257
; %bb.1209:
	s_or_saveexec_b64 s[6:7], s[6:7]
	v_mov_b32_e32 v2, s10
	s_xor_b64 exec, exec, s[6:7]
	s_cbranch_execnz .LBB40_3260
.LBB40_1210:
	s_or_b64 exec, exec, s[6:7]
	s_and_saveexec_b64 s[6:7], s[4:5]
	s_cbranch_execz .LBB40_1212
.LBB40_1211:
	v_bfe_u32 v2, v7, 24, 3
	v_ffbh_u32_e32 v12, v2
	v_min_u32_e32 v12, 32, v12
	v_lshrrev_b32_e32 v10, 27, v7
	v_subrev_u32_e32 v13, 28, v12
	v_and_b32_e32 v6, 0x80000000, v7
	v_and_b32_e32 v10, 15, v10
	v_bfe_u32 v11, v7, 27, 4
	v_lshlrev_b32_sdwa v7, v13, v7 dst_sel:DWORD dst_unused:UNUSED_PAD src0_sel:DWORD src1_sel:BYTE_3
	v_sub_u32_e32 v12, 29, v12
	v_and_b32_e32 v7, 7, v7
	v_cmp_eq_u16_e32 vcc, 0, v10
	v_cndmask_b32_e32 v2, v2, v7, vcc
	v_cndmask_b32_e32 v7, v11, v12, vcc
	v_mov_b32_e32 v10, 0x3b800000
	v_lshlrev_b32_e32 v2, 20, v2
	v_lshl_add_u32 v7, v7, 23, v10
	v_or3_b32 v2, v6, v7, v2
.LBB40_1212:
	s_or_b64 exec, exec, s[6:7]
	s_movk_i32 s4, 0x7f
	v_cmp_gt_i16_sdwa s[6:7], v3, s4 src0_sel:BYTE_3 src1_sel:DWORD
	s_mov_b64 s[4:5], 0
                                        ; implicit-def: $sgpr10
	s_and_saveexec_b64 s[8:9], s[6:7]
	s_xor_b64 s[6:7], exec, s[8:9]
	s_cbranch_execnz .LBB40_3261
; %bb.1213:
	s_or_saveexec_b64 s[6:7], s[6:7]
	v_mov_b32_e32 v6, s10
	s_xor_b64 exec, exec, s[6:7]
	s_cbranch_execnz .LBB40_3264
.LBB40_1214:
	s_or_b64 exec, exec, s[6:7]
	s_and_saveexec_b64 s[6:7], s[4:5]
	s_cbranch_execz .LBB40_1216
.LBB40_1215:
	v_bfe_u32 v6, v3, 24, 3
	v_ffbh_u32_e32 v12, v6
	v_min_u32_e32 v12, 32, v12
	v_lshrrev_b32_e32 v10, 27, v3
	v_subrev_u32_e32 v13, 28, v12
	v_and_b32_e32 v7, 0x80000000, v3
	v_and_b32_e32 v10, 15, v10
	v_bfe_u32 v11, v3, 27, 4
	v_lshlrev_b32_sdwa v3, v13, v3 dst_sel:DWORD dst_unused:UNUSED_PAD src0_sel:DWORD src1_sel:BYTE_3
	v_sub_u32_e32 v12, 29, v12
	v_and_b32_e32 v3, 7, v3
	v_cmp_eq_u16_e32 vcc, 0, v10
	v_cndmask_b32_e32 v3, v6, v3, vcc
	v_cndmask_b32_e32 v6, v11, v12, vcc
	v_mov_b32_e32 v10, 0x3b800000
	v_lshlrev_b32_e32 v3, 20, v3
	v_lshl_add_u32 v6, v6, 23, v10
	v_or3_b32 v6, v7, v6, v3
.LBB40_1216:
	s_or_b64 exec, exec, s[6:7]
	s_nop 0
	v_mfma_f32_16x16x4f32 a[0:3], v2, v6, a[0:3]
	s_movk_i32 s4, 0x7f
	v_cmp_gt_i16_sdwa s[6:7], v8, s4 src0_sel:BYTE_0 src1_sel:DWORD
	s_mov_b64 s[4:5], 0
                                        ; implicit-def: $sgpr10
	s_and_saveexec_b64 s[8:9], s[6:7]
	s_xor_b64 s[6:7], exec, s[8:9]
	s_cbranch_execnz .LBB40_3265
; %bb.1217:
	s_or_saveexec_b64 s[6:7], s[6:7]
	v_mov_b32_e32 v2, s10
	s_xor_b64 exec, exec, s[6:7]
	s_cbranch_execnz .LBB40_3268
.LBB40_1218:
	s_or_b64 exec, exec, s[6:7]
	s_and_saveexec_b64 s[6:7], s[4:5]
	s_cbranch_execz .LBB40_1220
.LBB40_1219:
	v_and_b32_e32 v2, 7, v8
	v_ffbh_u32_e32 v6, v2
	v_min_u32_e32 v6, 32, v6
	v_lshrrev_b16_e32 v3, 3, v8
	v_subrev_u32_e32 v7, 28, v6
	v_and_b32_e32 v3, 15, v3
	v_lshlrev_b32_e32 v7, v7, v8
	v_sub_u32_e32 v6, 29, v6
	v_and_b32_e32 v7, 7, v7
	v_cmp_eq_u16_e32 vcc, 0, v3
	v_cndmask_b32_e32 v2, v2, v7, vcc
	v_cndmask_b32_e32 v3, v3, v6, vcc
	v_lshlrev_b32_e32 v6, 24, v8
	v_mov_b32_e32 v7, 0x3b800000
	v_lshlrev_b32_e32 v2, 20, v2
	v_and_b32_e32 v6, 0x80000000, v6
	v_lshl_add_u32 v3, v3, 23, v7
	v_or3_b32 v2, v6, v3, v2
.LBB40_1220:
	s_or_b64 exec, exec, s[6:7]
	s_movk_i32 s4, 0x7f
	v_cmp_gt_i16_sdwa s[6:7], v4, s4 src0_sel:BYTE_0 src1_sel:DWORD
	s_mov_b64 s[4:5], 0
                                        ; implicit-def: $sgpr10
	s_and_saveexec_b64 s[8:9], s[6:7]
	s_xor_b64 s[6:7], exec, s[8:9]
	s_cbranch_execnz .LBB40_3269
; %bb.1221:
	s_or_saveexec_b64 s[6:7], s[6:7]
	v_mov_b32_e32 v3, s10
	s_xor_b64 exec, exec, s[6:7]
	s_cbranch_execnz .LBB40_3272
.LBB40_1222:
	s_or_b64 exec, exec, s[6:7]
	s_and_saveexec_b64 s[6:7], s[4:5]
	s_cbranch_execz .LBB40_1224
.LBB40_1223:
	v_and_b32_e32 v3, 7, v4
	v_ffbh_u32_e32 v7, v3
	v_min_u32_e32 v7, 32, v7
	v_lshrrev_b16_e32 v6, 3, v4
	v_subrev_u32_e32 v10, 28, v7
	v_and_b32_e32 v6, 15, v6
	v_lshlrev_b32_e32 v10, v10, v4
	v_sub_u32_e32 v7, 29, v7
	v_and_b32_e32 v10, 7, v10
	v_cmp_eq_u16_e32 vcc, 0, v6
	v_cndmask_b32_e32 v3, v3, v10, vcc
	v_cndmask_b32_e32 v6, v6, v7, vcc
	v_lshlrev_b32_e32 v7, 24, v4
	v_mov_b32_e32 v10, 0x3b800000
	v_lshlrev_b32_e32 v3, 20, v3
	v_and_b32_e32 v7, 0x80000000, v7
	v_lshl_add_u32 v6, v6, 23, v10
	v_or3_b32 v3, v7, v6, v3
.LBB40_1224:
	s_or_b64 exec, exec, s[6:7]
	s_nop 0
	v_mfma_f32_16x16x4f32 a[0:3], v2, v3, a[0:3]
	v_lshrrev_b32_e32 v3, 8, v8
	s_movk_i32 s4, 0x7f
	v_cmp_gt_i16_sdwa s[6:7], v3, s4 src0_sel:BYTE_0 src1_sel:DWORD
	s_mov_b64 s[4:5], 0
                                        ; implicit-def: $sgpr10
	s_and_saveexec_b64 s[8:9], s[6:7]
	s_xor_b64 s[6:7], exec, s[8:9]
	s_cbranch_execnz .LBB40_3273
; %bb.1225:
	s_or_saveexec_b64 s[6:7], s[6:7]
	v_mov_b32_e32 v2, s10
	s_xor_b64 exec, exec, s[6:7]
	s_cbranch_execnz .LBB40_3276
.LBB40_1226:
	s_or_b64 exec, exec, s[6:7]
	s_and_saveexec_b64 s[6:7], s[4:5]
	s_cbranch_execz .LBB40_1228
.LBB40_1227:
	v_bfe_u32 v2, v8, 8, 3
	v_ffbh_u32_e32 v7, v2
	v_min_u32_e32 v7, 32, v7
	v_lshrrev_b16_e32 v6, 3, v3
	v_subrev_u32_e32 v10, 28, v7
	v_and_b32_e32 v6, 15, v6
	v_lshlrev_b32_e32 v3, v10, v3
	v_sub_u32_e32 v7, 29, v7
	v_and_b32_e32 v3, 7, v3
	v_cmp_eq_u16_e32 vcc, 0, v6
	v_cndmask_b32_e32 v2, v2, v3, vcc
	v_cndmask_b32_e32 v3, v6, v7, vcc
	v_lshlrev_b32_e32 v6, 16, v8
	v_mov_b32_e32 v7, 0x3b800000
	v_lshlrev_b32_e32 v2, 20, v2
	v_and_b32_e32 v6, 0x80000000, v6
	v_lshl_add_u32 v3, v3, 23, v7
	v_or3_b32 v2, v6, v3, v2
.LBB40_1228:
	s_or_b64 exec, exec, s[6:7]
	v_lshrrev_b32_e32 v3, 8, v4
	s_movk_i32 s4, 0x7f
	v_cmp_gt_i16_sdwa s[6:7], v3, s4 src0_sel:BYTE_0 src1_sel:DWORD
	s_mov_b64 s[4:5], 0
                                        ; implicit-def: $sgpr10
	s_and_saveexec_b64 s[8:9], s[6:7]
	s_xor_b64 s[6:7], exec, s[8:9]
	s_cbranch_execnz .LBB40_3277
; %bb.1229:
	s_or_saveexec_b64 s[6:7], s[6:7]
	v_mov_b32_e32 v6, s10
	s_xor_b64 exec, exec, s[6:7]
	s_cbranch_execnz .LBB40_3280
.LBB40_1230:
	s_or_b64 exec, exec, s[6:7]
	s_and_saveexec_b64 s[6:7], s[4:5]
	s_cbranch_execz .LBB40_1232
.LBB40_1231:
	v_bfe_u32 v6, v4, 8, 3
	v_ffbh_u32_e32 v10, v6
	v_min_u32_e32 v10, 32, v10
	v_lshrrev_b16_e32 v7, 3, v3
	v_subrev_u32_e32 v11, 28, v10
	v_and_b32_e32 v7, 15, v7
	v_lshlrev_b32_e32 v3, v11, v3
	v_sub_u32_e32 v10, 29, v10
	v_and_b32_e32 v3, 7, v3
	v_cmp_eq_u16_e32 vcc, 0, v7
	v_cndmask_b32_e32 v3, v6, v3, vcc
	v_cndmask_b32_e32 v6, v7, v10, vcc
	v_lshlrev_b32_e32 v7, 16, v4
	v_mov_b32_e32 v10, 0x3b800000
	v_lshlrev_b32_e32 v3, 20, v3
	v_and_b32_e32 v7, 0x80000000, v7
	v_lshl_add_u32 v6, v6, 23, v10
	v_or3_b32 v6, v7, v6, v3
.LBB40_1232:
	s_or_b64 exec, exec, s[6:7]
	s_nop 0
	v_mfma_f32_16x16x4f32 a[0:3], v2, v6, a[0:3]
	s_movk_i32 s4, 0xff
	v_and_b32_sdwa v3, v8, s4 dst_sel:DWORD dst_unused:UNUSED_PAD src0_sel:WORD_1 src1_sel:DWORD
	s_movk_i32 s4, 0x7f
	v_cmp_lt_i16_e32 vcc, s4, v3
	s_mov_b64 s[4:5], 0
                                        ; implicit-def: $sgpr10
	s_and_saveexec_b64 s[6:7], vcc
	s_xor_b64 s[6:7], exec, s[6:7]
	s_cbranch_execnz .LBB40_3281
; %bb.1233:
	s_or_saveexec_b64 s[6:7], s[6:7]
	v_mov_b32_e32 v2, s10
	s_xor_b64 exec, exec, s[6:7]
	s_cbranch_execnz .LBB40_3284
.LBB40_1234:
	s_or_b64 exec, exec, s[6:7]
	s_and_saveexec_b64 s[6:7], s[4:5]
	s_cbranch_execz .LBB40_1236
.LBB40_1235:
	v_bfe_u32 v2, v8, 16, 3
	v_ffbh_u32_e32 v7, v2
	v_min_u32_e32 v7, 32, v7
	v_lshrrev_b32_e32 v3, 19, v8
	v_subrev_u32_e32 v10, 28, v7
	v_and_b32_e32 v3, 15, v3
	v_lshlrev_b32_sdwa v10, v10, v8 dst_sel:DWORD dst_unused:UNUSED_PAD src0_sel:DWORD src1_sel:WORD_1
	v_bfe_u32 v6, v8, 19, 4
	v_sub_u32_e32 v7, 29, v7
	v_and_b32_e32 v10, 7, v10
	v_cmp_eq_u16_e32 vcc, 0, v3
	v_cndmask_b32_e32 v2, v2, v10, vcc
	v_cndmask_b32_e32 v3, v6, v7, vcc
	v_lshlrev_b32_e32 v6, 8, v8
	v_mov_b32_e32 v7, 0x3b800000
	v_lshlrev_b32_e32 v2, 20, v2
	v_and_b32_e32 v6, 0x80000000, v6
	v_lshl_add_u32 v3, v3, 23, v7
	v_or3_b32 v2, v6, v3, v2
.LBB40_1236:
	s_or_b64 exec, exec, s[6:7]
	s_movk_i32 s4, 0xff
	v_and_b32_sdwa v3, v4, s4 dst_sel:DWORD dst_unused:UNUSED_PAD src0_sel:WORD_1 src1_sel:DWORD
	s_movk_i32 s4, 0x7f
	v_cmp_lt_i16_e32 vcc, s4, v3
	s_mov_b64 s[4:5], 0
                                        ; implicit-def: $sgpr10
	s_and_saveexec_b64 s[6:7], vcc
	s_xor_b64 s[6:7], exec, s[6:7]
	s_cbranch_execnz .LBB40_3285
; %bb.1237:
	s_or_saveexec_b64 s[6:7], s[6:7]
	v_mov_b32_e32 v6, s10
	s_xor_b64 exec, exec, s[6:7]
	s_cbranch_execnz .LBB40_3288
.LBB40_1238:
	s_or_b64 exec, exec, s[6:7]
	s_and_saveexec_b64 s[6:7], s[4:5]
	s_cbranch_execz .LBB40_1240
.LBB40_1239:
	v_bfe_u32 v3, v4, 16, 3
	v_ffbh_u32_e32 v10, v3
	v_min_u32_e32 v10, 32, v10
	v_lshrrev_b32_e32 v6, 19, v4
	v_subrev_u32_e32 v11, 28, v10
	v_and_b32_e32 v6, 15, v6
	v_lshlrev_b32_sdwa v11, v11, v4 dst_sel:DWORD dst_unused:UNUSED_PAD src0_sel:DWORD src1_sel:WORD_1
	v_bfe_u32 v7, v4, 19, 4
	v_sub_u32_e32 v10, 29, v10
	v_and_b32_e32 v11, 7, v11
	v_cmp_eq_u16_e32 vcc, 0, v6
	v_cndmask_b32_e32 v3, v3, v11, vcc
	v_cndmask_b32_e32 v6, v7, v10, vcc
	v_lshlrev_b32_e32 v7, 8, v4
	v_mov_b32_e32 v10, 0x3b800000
	v_lshlrev_b32_e32 v3, 20, v3
	v_and_b32_e32 v7, 0x80000000, v7
	v_lshl_add_u32 v6, v6, 23, v10
	v_or3_b32 v6, v7, v6, v3
.LBB40_1240:
	s_or_b64 exec, exec, s[6:7]
	s_nop 0
	v_mfma_f32_16x16x4f32 a[0:3], v2, v6, a[0:3]
	s_movk_i32 s4, 0x7f
	v_cmp_gt_i16_sdwa s[6:7], v8, s4 src0_sel:BYTE_3 src1_sel:DWORD
	s_mov_b64 s[4:5], 0
                                        ; implicit-def: $sgpr10
	s_and_saveexec_b64 s[8:9], s[6:7]
	s_xor_b64 s[6:7], exec, s[8:9]
	s_cbranch_execnz .LBB40_3289
; %bb.1241:
	s_or_saveexec_b64 s[6:7], s[6:7]
	v_mov_b32_e32 v2, s10
	s_xor_b64 exec, exec, s[6:7]
	s_cbranch_execnz .LBB40_3292
.LBB40_1242:
	s_or_b64 exec, exec, s[6:7]
	s_and_saveexec_b64 s[6:7], s[4:5]
	s_cbranch_execz .LBB40_1244
.LBB40_1243:
	v_bfe_u32 v2, v8, 24, 3
	v_ffbh_u32_e32 v10, v2
	v_min_u32_e32 v10, 32, v10
	v_lshrrev_b32_e32 v6, 27, v8
	v_subrev_u32_e32 v11, 28, v10
	v_and_b32_e32 v3, 0x80000000, v8
	v_and_b32_e32 v6, 15, v6
	v_bfe_u32 v7, v8, 27, 4
	v_lshlrev_b32_sdwa v8, v11, v8 dst_sel:DWORD dst_unused:UNUSED_PAD src0_sel:DWORD src1_sel:BYTE_3
	v_sub_u32_e32 v10, 29, v10
	v_and_b32_e32 v8, 7, v8
	v_cmp_eq_u16_e32 vcc, 0, v6
	v_cndmask_b32_e32 v2, v2, v8, vcc
	v_cndmask_b32_e32 v6, v7, v10, vcc
	v_mov_b32_e32 v7, 0x3b800000
	v_lshlrev_b32_e32 v2, 20, v2
	v_lshl_add_u32 v6, v6, 23, v7
	v_or3_b32 v2, v3, v6, v2
.LBB40_1244:
	s_or_b64 exec, exec, s[6:7]
	s_movk_i32 s4, 0x7f
	v_cmp_gt_i16_sdwa s[6:7], v4, s4 src0_sel:BYTE_3 src1_sel:DWORD
	s_mov_b64 s[4:5], 0
                                        ; implicit-def: $sgpr10
	s_and_saveexec_b64 s[8:9], s[6:7]
	s_xor_b64 s[6:7], exec, s[8:9]
	s_cbranch_execnz .LBB40_3293
; %bb.1245:
	s_or_saveexec_b64 s[6:7], s[6:7]
	v_mov_b32_e32 v3, s10
	s_xor_b64 exec, exec, s[6:7]
	s_cbranch_execnz .LBB40_3296
.LBB40_1246:
	s_or_b64 exec, exec, s[6:7]
	s_and_saveexec_b64 s[6:7], s[4:5]
	s_cbranch_execz .LBB40_1248
.LBB40_1247:
	v_bfe_u32 v3, v4, 24, 3
	v_ffbh_u32_e32 v10, v3
	v_min_u32_e32 v10, 32, v10
	v_lshrrev_b32_e32 v7, 27, v4
	v_subrev_u32_e32 v11, 28, v10
	v_and_b32_e32 v6, 0x80000000, v4
	v_and_b32_e32 v7, 15, v7
	v_bfe_u32 v8, v4, 27, 4
	v_lshlrev_b32_sdwa v4, v11, v4 dst_sel:DWORD dst_unused:UNUSED_PAD src0_sel:DWORD src1_sel:BYTE_3
	v_sub_u32_e32 v10, 29, v10
	v_and_b32_e32 v4, 7, v4
	v_cmp_eq_u16_e32 vcc, 0, v7
	v_cndmask_b32_e32 v3, v3, v4, vcc
	v_cndmask_b32_e32 v4, v8, v10, vcc
	v_mov_b32_e32 v7, 0x3b800000
	v_lshlrev_b32_e32 v3, 20, v3
	v_lshl_add_u32 v4, v4, 23, v7
	v_or3_b32 v3, v6, v4, v3
.LBB40_1248:
	s_or_b64 exec, exec, s[6:7]
	s_nop 0
	v_mfma_f32_16x16x4f32 a[0:3], v2, v3, a[0:3]
	s_movk_i32 s4, 0x7f
	v_cmp_gt_i16_sdwa s[6:7], v9, s4 src0_sel:BYTE_0 src1_sel:DWORD
	s_mov_b64 s[4:5], 0
                                        ; implicit-def: $sgpr10
	s_and_saveexec_b64 s[8:9], s[6:7]
	s_xor_b64 s[6:7], exec, s[8:9]
	s_cbranch_execnz .LBB40_3297
; %bb.1249:
	s_or_saveexec_b64 s[6:7], s[6:7]
	v_mov_b32_e32 v2, s10
	s_xor_b64 exec, exec, s[6:7]
	s_cbranch_execnz .LBB40_3300
.LBB40_1250:
	s_or_b64 exec, exec, s[6:7]
	s_and_saveexec_b64 s[6:7], s[4:5]
	s_cbranch_execz .LBB40_1252
.LBB40_1251:
	v_mov_b32_e32 v2, 8
	v_and_b32_e32 v3, 7, v9
	v_lshrrev_b32_sdwa v2, v2, v9 dst_sel:BYTE_1 dst_unused:UNUSED_PAD src0_sel:DWORD src1_sel:DWORD
	v_ffbh_u32_e32 v4, v3
	v_or_b32_sdwa v2, v9, v2 dst_sel:DWORD dst_unused:UNUSED_PAD src0_sel:BYTE_0 src1_sel:DWORD
	v_min_u32_e32 v4, 32, v4
	v_lshrrev_b16_e32 v2, 3, v2
	v_subrev_u32_e32 v6, 28, v4
	v_and_b32_e32 v2, 15, v2
	v_lshlrev_b32_e32 v6, v6, v9
	v_sub_u32_e32 v4, 29, v4
	v_and_b32_e32 v6, 7, v6
	v_cmp_eq_u16_e32 vcc, 0, v2
	v_cndmask_b32_e32 v3, v3, v6, vcc
	v_cndmask_b32_e32 v2, v2, v4, vcc
	v_lshlrev_b32_e32 v4, 24, v9
	v_mov_b32_e32 v6, 0x3b800000
	v_lshlrev_b32_e32 v3, 20, v3
	v_and_b32_e32 v4, 0x80000000, v4
	v_lshl_add_u32 v2, v2, 23, v6
	v_or3_b32 v2, v4, v2, v3
.LBB40_1252:
	s_or_b64 exec, exec, s[6:7]
	s_movk_i32 s4, 0x7f
	v_cmp_gt_i16_sdwa s[6:7], v5, s4 src0_sel:BYTE_0 src1_sel:DWORD
	s_mov_b64 s[4:5], 0
                                        ; implicit-def: $sgpr10
	s_and_saveexec_b64 s[8:9], s[6:7]
	s_xor_b64 s[6:7], exec, s[8:9]
	s_cbranch_execnz .LBB40_3301
; %bb.1253:
	s_or_saveexec_b64 s[6:7], s[6:7]
	v_mov_b32_e32 v3, s10
	s_xor_b64 exec, exec, s[6:7]
	s_cbranch_execnz .LBB40_3304
.LBB40_1254:
	s_or_b64 exec, exec, s[6:7]
	s_and_saveexec_b64 s[6:7], s[4:5]
	s_cbranch_execz .LBB40_1256
.LBB40_1255:
	v_mov_b32_e32 v3, 8
	v_and_b32_e32 v4, 7, v5
	v_lshrrev_b32_sdwa v3, v3, v5 dst_sel:BYTE_1 dst_unused:UNUSED_PAD src0_sel:DWORD src1_sel:DWORD
	v_ffbh_u32_e32 v6, v4
	v_or_b32_sdwa v3, v5, v3 dst_sel:DWORD dst_unused:UNUSED_PAD src0_sel:BYTE_0 src1_sel:DWORD
	v_min_u32_e32 v6, 32, v6
	v_lshrrev_b16_e32 v3, 3, v3
	v_subrev_u32_e32 v7, 28, v6
	v_and_b32_e32 v3, 15, v3
	v_lshlrev_b32_e32 v7, v7, v5
	v_sub_u32_e32 v6, 29, v6
	v_and_b32_e32 v7, 7, v7
	v_cmp_eq_u16_e32 vcc, 0, v3
	v_cndmask_b32_e32 v4, v4, v7, vcc
	v_cndmask_b32_e32 v3, v3, v6, vcc
	v_lshlrev_b32_e32 v6, 24, v5
	v_mov_b32_e32 v7, 0x3b800000
	v_lshlrev_b32_e32 v4, 20, v4
	v_and_b32_e32 v6, 0x80000000, v6
	v_lshl_add_u32 v3, v3, 23, v7
	v_or3_b32 v3, v6, v3, v4
.LBB40_1256:
	s_or_b64 exec, exec, s[6:7]
	s_nop 0
	v_mfma_f32_16x16x4f32 a[0:3], v2, v3, a[0:3]
	v_lshrrev_b32_e32 v3, 8, v9
	s_movk_i32 s4, 0x7f
	v_cmp_gt_i16_sdwa s[6:7], v3, s4 src0_sel:BYTE_0 src1_sel:DWORD
	s_mov_b64 s[4:5], 0
                                        ; implicit-def: $sgpr10
	s_and_saveexec_b64 s[8:9], s[6:7]
	s_xor_b64 s[6:7], exec, s[8:9]
	s_cbranch_execnz .LBB40_3305
; %bb.1257:
	s_or_saveexec_b64 s[6:7], s[6:7]
	v_mov_b32_e32 v2, s10
	s_xor_b64 exec, exec, s[6:7]
	s_cbranch_execnz .LBB40_3308
.LBB40_1258:
	s_or_b64 exec, exec, s[6:7]
	s_and_saveexec_b64 s[6:7], s[4:5]
	s_cbranch_execz .LBB40_1260
.LBB40_1259:
	v_bfe_u32 v2, v9, 8, 3
	v_ffbh_u32_e32 v6, v2
	v_min_u32_e32 v6, 32, v6
	v_lshrrev_b16_e32 v4, 3, v3
	v_subrev_u32_e32 v7, 28, v6
	v_and_b32_e32 v4, 15, v4
	v_lshlrev_b32_e32 v3, v7, v3
	v_sub_u32_e32 v6, 29, v6
	v_and_b32_e32 v3, 7, v3
	v_cmp_eq_u16_e32 vcc, 0, v4
	v_cndmask_b32_e32 v2, v2, v3, vcc
	v_cndmask_b32_e32 v3, v4, v6, vcc
	v_lshlrev_b32_e32 v4, 16, v9
	v_mov_b32_e32 v6, 0x3b800000
	v_lshlrev_b32_e32 v2, 20, v2
	v_and_b32_e32 v4, 0x80000000, v4
	v_lshl_add_u32 v3, v3, 23, v6
	v_or3_b32 v2, v4, v3, v2
.LBB40_1260:
	s_or_b64 exec, exec, s[6:7]
	v_lshrrev_b32_e32 v3, 8, v5
	s_movk_i32 s4, 0x7f
	v_cmp_gt_i16_sdwa s[6:7], v3, s4 src0_sel:BYTE_0 src1_sel:DWORD
	s_mov_b64 s[4:5], 0
                                        ; implicit-def: $sgpr10
	s_and_saveexec_b64 s[8:9], s[6:7]
	s_xor_b64 s[6:7], exec, s[8:9]
	s_cbranch_execnz .LBB40_3309
; %bb.1261:
	s_or_saveexec_b64 s[6:7], s[6:7]
	v_mov_b32_e32 v4, s10
	s_xor_b64 exec, exec, s[6:7]
	s_cbranch_execnz .LBB40_3312
.LBB40_1262:
	s_or_b64 exec, exec, s[6:7]
	s_and_saveexec_b64 s[6:7], s[4:5]
	s_cbranch_execz .LBB40_1264
.LBB40_1263:
	v_bfe_u32 v4, v5, 8, 3
	v_ffbh_u32_e32 v7, v4
	v_min_u32_e32 v7, 32, v7
	v_lshrrev_b16_e32 v6, 3, v3
	v_subrev_u32_e32 v8, 28, v7
	v_and_b32_e32 v6, 15, v6
	v_lshlrev_b32_e32 v3, v8, v3
	v_sub_u32_e32 v7, 29, v7
	v_and_b32_e32 v3, 7, v3
	v_cmp_eq_u16_e32 vcc, 0, v6
	v_cndmask_b32_e32 v3, v4, v3, vcc
	v_cndmask_b32_e32 v4, v6, v7, vcc
	v_lshlrev_b32_e32 v6, 16, v5
	v_mov_b32_e32 v7, 0x3b800000
	v_lshlrev_b32_e32 v3, 20, v3
	v_and_b32_e32 v6, 0x80000000, v6
	v_lshl_add_u32 v4, v4, 23, v7
	v_or3_b32 v4, v6, v4, v3
.LBB40_1264:
	s_or_b64 exec, exec, s[6:7]
	s_nop 0
	v_mfma_f32_16x16x4f32 a[0:3], v2, v4, a[0:3]
	s_movk_i32 s4, 0xff
	v_and_b32_sdwa v3, v9, s4 dst_sel:DWORD dst_unused:UNUSED_PAD src0_sel:WORD_1 src1_sel:DWORD
	s_movk_i32 s4, 0x7f
	v_cmp_lt_i16_e32 vcc, s4, v3
	s_mov_b64 s[4:5], 0
                                        ; implicit-def: $sgpr10
	s_and_saveexec_b64 s[6:7], vcc
	s_xor_b64 s[6:7], exec, s[6:7]
	s_cbranch_execnz .LBB40_3313
; %bb.1265:
	s_or_saveexec_b64 s[6:7], s[6:7]
	v_mov_b32_e32 v2, s10
	s_xor_b64 exec, exec, s[6:7]
	s_cbranch_execnz .LBB40_3316
.LBB40_1266:
	s_or_b64 exec, exec, s[6:7]
	s_and_saveexec_b64 s[6:7], s[4:5]
	s_cbranch_execz .LBB40_1268
.LBB40_1267:
	v_bfe_u32 v2, v9, 16, 3
	v_ffbh_u32_e32 v6, v2
	v_min_u32_e32 v6, 32, v6
	v_lshrrev_b32_e32 v3, 19, v9
	v_subrev_u32_e32 v7, 28, v6
	v_and_b32_e32 v3, 15, v3
	v_lshlrev_b32_sdwa v7, v7, v9 dst_sel:DWORD dst_unused:UNUSED_PAD src0_sel:DWORD src1_sel:WORD_1
	v_bfe_u32 v4, v9, 19, 4
	v_sub_u32_e32 v6, 29, v6
	v_and_b32_e32 v7, 7, v7
	v_cmp_eq_u16_e32 vcc, 0, v3
	v_cndmask_b32_e32 v2, v2, v7, vcc
	v_cndmask_b32_e32 v3, v4, v6, vcc
	v_lshlrev_b32_e32 v4, 8, v9
	v_mov_b32_e32 v6, 0x3b800000
	v_lshlrev_b32_e32 v2, 20, v2
	v_and_b32_e32 v4, 0x80000000, v4
	v_lshl_add_u32 v3, v3, 23, v6
	v_or3_b32 v2, v4, v3, v2
.LBB40_1268:
	s_or_b64 exec, exec, s[6:7]
	s_movk_i32 s4, 0xff
	v_and_b32_sdwa v3, v5, s4 dst_sel:DWORD dst_unused:UNUSED_PAD src0_sel:WORD_1 src1_sel:DWORD
	s_movk_i32 s4, 0x7f
	v_cmp_lt_i16_e32 vcc, s4, v3
	s_mov_b64 s[4:5], 0
                                        ; implicit-def: $sgpr10
	s_and_saveexec_b64 s[6:7], vcc
	s_xor_b64 s[6:7], exec, s[6:7]
	s_cbranch_execnz .LBB40_3317
; %bb.1269:
	s_or_saveexec_b64 s[6:7], s[6:7]
	v_mov_b32_e32 v4, s10
	s_xor_b64 exec, exec, s[6:7]
	s_cbranch_execnz .LBB40_3320
.LBB40_1270:
	s_or_b64 exec, exec, s[6:7]
	s_and_saveexec_b64 s[6:7], s[4:5]
	s_cbranch_execz .LBB40_1272
.LBB40_1271:
	v_bfe_u32 v3, v5, 16, 3
	v_ffbh_u32_e32 v7, v3
	v_min_u32_e32 v7, 32, v7
	v_lshrrev_b32_e32 v4, 19, v5
	v_subrev_u32_e32 v8, 28, v7
	v_and_b32_e32 v4, 15, v4
	v_lshlrev_b32_sdwa v8, v8, v5 dst_sel:DWORD dst_unused:UNUSED_PAD src0_sel:DWORD src1_sel:WORD_1
	v_bfe_u32 v6, v5, 19, 4
	v_sub_u32_e32 v7, 29, v7
	v_and_b32_e32 v8, 7, v8
	v_cmp_eq_u16_e32 vcc, 0, v4
	v_cndmask_b32_e32 v3, v3, v8, vcc
	v_cndmask_b32_e32 v4, v6, v7, vcc
	v_lshlrev_b32_e32 v6, 8, v5
	v_mov_b32_e32 v7, 0x3b800000
	v_lshlrev_b32_e32 v3, 20, v3
	v_and_b32_e32 v6, 0x80000000, v6
	v_lshl_add_u32 v4, v4, 23, v7
	v_or3_b32 v4, v6, v4, v3
.LBB40_1272:
	s_or_b64 exec, exec, s[6:7]
	s_nop 0
	v_mfma_f32_16x16x4f32 a[0:3], v2, v4, a[0:3]
	s_movk_i32 s4, 0x7f
	v_cmp_gt_i16_sdwa s[6:7], v9, s4 src0_sel:BYTE_3 src1_sel:DWORD
	s_mov_b64 s[4:5], 0
                                        ; implicit-def: $sgpr10
	s_and_saveexec_b64 s[8:9], s[6:7]
	s_xor_b64 s[6:7], exec, s[8:9]
	s_cbranch_execnz .LBB40_3321
; %bb.1273:
	s_or_saveexec_b64 s[6:7], s[6:7]
	v_mov_b32_e32 v2, s10
	s_xor_b64 exec, exec, s[6:7]
	s_cbranch_execnz .LBB40_3324
.LBB40_1274:
	s_or_b64 exec, exec, s[6:7]
	s_and_saveexec_b64 s[6:7], s[4:5]
	s_cbranch_execz .LBB40_1276
.LBB40_1275:
	v_bfe_u32 v2, v9, 24, 3
	v_ffbh_u32_e32 v7, v2
	v_min_u32_e32 v7, 32, v7
	v_lshrrev_b32_e32 v4, 27, v9
	v_subrev_u32_e32 v8, 28, v7
	v_and_b32_e32 v4, 15, v4
	v_lshlrev_b32_sdwa v8, v8, v9 dst_sel:DWORD dst_unused:UNUSED_PAD src0_sel:DWORD src1_sel:BYTE_3
	v_bfe_u32 v6, v9, 27, 4
	v_sub_u32_e32 v7, 29, v7
	v_and_b32_e32 v8, 7, v8
	v_cmp_eq_u16_e32 vcc, 0, v4
	v_cndmask_b32_e32 v2, v2, v8, vcc
	v_cndmask_b32_e32 v4, v6, v7, vcc
	v_mov_b32_e32 v6, 0x3b800000
	v_and_b32_e32 v3, 0x80000000, v9
	v_lshlrev_b32_e32 v2, 20, v2
	v_lshl_add_u32 v4, v4, 23, v6
	v_or3_b32 v2, v3, v4, v2
.LBB40_1276:
	s_or_b64 exec, exec, s[6:7]
	s_movk_i32 s4, 0x7f
	v_cmp_gt_i16_sdwa s[6:7], v5, s4 src0_sel:BYTE_3 src1_sel:DWORD
	s_mov_b64 s[4:5], 0
                                        ; implicit-def: $sgpr10
	s_and_saveexec_b64 s[8:9], s[6:7]
	s_xor_b64 s[6:7], exec, s[8:9]
	s_cbranch_execnz .LBB40_3325
; %bb.1277:
	s_or_saveexec_b64 s[6:7], s[6:7]
	v_mov_b32_e32 v3, s10
	s_xor_b64 exec, exec, s[6:7]
	s_cbranch_execnz .LBB40_3328
.LBB40_1278:
	s_or_b64 exec, exec, s[6:7]
	s_and_saveexec_b64 s[6:7], s[4:5]
	s_cbranch_execz .LBB40_1280
.LBB40_1279:
	v_bfe_u32 v3, v5, 24, 3
	v_ffbh_u32_e32 v8, v3
	v_min_u32_e32 v8, 32, v8
	v_lshrrev_b32_e32 v6, 27, v5
	v_subrev_u32_e32 v9, 28, v8
	v_and_b32_e32 v4, 0x80000000, v5
	v_and_b32_e32 v6, 15, v6
	v_bfe_u32 v7, v5, 27, 4
	v_lshlrev_b32_sdwa v5, v9, v5 dst_sel:DWORD dst_unused:UNUSED_PAD src0_sel:DWORD src1_sel:BYTE_3
	v_sub_u32_e32 v8, 29, v8
	v_and_b32_e32 v5, 7, v5
	v_cmp_eq_u16_e32 vcc, 0, v6
	v_cndmask_b32_e32 v3, v3, v5, vcc
	v_cndmask_b32_e32 v5, v7, v8, vcc
	v_mov_b32_e32 v6, 0x3b800000
	v_lshlrev_b32_e32 v3, 20, v3
	v_lshl_add_u32 v5, v5, 23, v6
	v_or3_b32 v3, v4, v5, v3
.LBB40_1280:
	s_or_b64 exec, exec, s[6:7]
	s_nop 0
	v_mfma_f32_16x16x4f32 a[0:3], v2, v3, a[0:3]
	s_movk_i32 s4, 0x7f
                                        ; implicit-def: $sgpr10
	s_nop 7
	s_nop 1
	flat_store_dwordx4 v[18:19], a[0:3] offset:576
	flat_load_dwordx4 v[20:23], v[0:1] offset:16
	s_nop 0
	flat_load_dwordx2 v[18:19], v[0:1] offset:32
	s_waitcnt vmcnt(0) lgkmcnt(0)
	flat_load_dwordx4 v[14:17], v[20:21]
	flat_load_dwordx4 v[6:9], v[20:21] offset:16
	flat_load_dwordx4 v[10:13], v[22:23] offset:416
	;; [unrolled: 1-line block ×3, first 2 shown]
	s_waitcnt vmcnt(0) lgkmcnt(0)
	v_cmp_gt_i16_sdwa s[6:7], v14, s4 src0_sel:BYTE_0 src1_sel:DWORD
	s_mov_b64 s[4:5], 0
	s_and_saveexec_b64 s[8:9], s[6:7]
	s_xor_b64 s[6:7], exec, s[8:9]
	s_cbranch_execnz .LBB40_3329
; %bb.1281:
	s_or_saveexec_b64 s[6:7], s[6:7]
	v_mov_b32_e32 v20, s10
	s_xor_b64 exec, exec, s[6:7]
	s_cbranch_execnz .LBB40_3332
.LBB40_1282:
	s_or_b64 exec, exec, s[6:7]
	s_and_saveexec_b64 s[6:7], s[4:5]
	s_cbranch_execz .LBB40_1284
.LBB40_1283:
	v_and_b32_e32 v20, 7, v14
	v_ffbh_u32_e32 v22, v20
	v_min_u32_e32 v22, 32, v22
	v_lshrrev_b16_e32 v21, 3, v14
	v_subrev_u32_e32 v23, 28, v22
	v_and_b32_e32 v21, 15, v21
	v_lshlrev_b32_e32 v23, v23, v14
	v_sub_u32_e32 v22, 29, v22
	v_and_b32_e32 v23, 7, v23
	v_cmp_eq_u16_e32 vcc, 0, v21
	v_cndmask_b32_e32 v20, v20, v23, vcc
	v_cndmask_b32_e32 v21, v21, v22, vcc
	v_lshlrev_b32_e32 v22, 24, v14
	v_mov_b32_e32 v23, 0x3b800000
	v_lshlrev_b32_e32 v20, 20, v20
	v_and_b32_e32 v22, 0x80000000, v22
	v_lshl_add_u32 v21, v21, 23, v23
	v_or3_b32 v20, v22, v21, v20
.LBB40_1284:
	s_or_b64 exec, exec, s[6:7]
	s_movk_i32 s4, 0x7f
	v_cmp_gt_i16_sdwa s[6:7], v10, s4 src0_sel:BYTE_0 src1_sel:DWORD
	s_mov_b64 s[4:5], 0
                                        ; implicit-def: $sgpr10
	s_and_saveexec_b64 s[8:9], s[6:7]
	s_xor_b64 s[6:7], exec, s[8:9]
	s_cbranch_execnz .LBB40_3333
; %bb.1285:
	s_or_saveexec_b64 s[6:7], s[6:7]
	v_mov_b32_e32 v21, s10
	s_xor_b64 exec, exec, s[6:7]
	s_cbranch_execnz .LBB40_3336
.LBB40_1286:
	s_or_b64 exec, exec, s[6:7]
	s_and_saveexec_b64 s[6:7], s[4:5]
	s_cbranch_execz .LBB40_1288
.LBB40_1287:
	v_and_b32_e32 v21, 7, v10
	v_ffbh_u32_e32 v23, v21
	v_min_u32_e32 v23, 32, v23
	v_lshrrev_b16_e32 v22, 3, v10
	v_subrev_u32_e32 v24, 28, v23
	v_and_b32_e32 v22, 15, v22
	v_lshlrev_b32_e32 v24, v24, v10
	v_sub_u32_e32 v23, 29, v23
	v_and_b32_e32 v24, 7, v24
	v_cmp_eq_u16_e32 vcc, 0, v22
	v_cndmask_b32_e32 v21, v21, v24, vcc
	v_cndmask_b32_e32 v22, v22, v23, vcc
	v_lshlrev_b32_e32 v23, 24, v10
	v_mov_b32_e32 v24, 0x3b800000
	v_lshlrev_b32_e32 v21, 20, v21
	v_and_b32_e32 v23, 0x80000000, v23
	v_lshl_add_u32 v22, v22, 23, v24
	v_or3_b32 v21, v23, v22, v21
.LBB40_1288:
	s_or_b64 exec, exec, s[6:7]
	flat_load_dwordx4 a[0:3], v[18:19] offset:592
	s_movk_i32 s4, 0x7f
                                        ; implicit-def: $sgpr10
	s_waitcnt vmcnt(0) lgkmcnt(0)
	v_mfma_f32_16x16x4f32 a[0:3], v20, v21, a[0:3]
	v_lshrrev_b32_e32 v21, 8, v14
	v_cmp_gt_i16_sdwa s[6:7], v21, s4 src0_sel:BYTE_0 src1_sel:DWORD
	s_mov_b64 s[4:5], 0
	s_and_saveexec_b64 s[8:9], s[6:7]
	s_xor_b64 s[6:7], exec, s[8:9]
	s_cbranch_execnz .LBB40_3337
; %bb.1289:
	s_or_saveexec_b64 s[6:7], s[6:7]
	v_mov_b32_e32 v20, s10
	s_xor_b64 exec, exec, s[6:7]
	s_cbranch_execnz .LBB40_3340
.LBB40_1290:
	s_or_b64 exec, exec, s[6:7]
	s_and_saveexec_b64 s[6:7], s[4:5]
	s_cbranch_execz .LBB40_1292
.LBB40_1291:
	v_bfe_u32 v20, v14, 8, 3
	v_ffbh_u32_e32 v23, v20
	v_min_u32_e32 v23, 32, v23
	v_lshrrev_b16_e32 v22, 3, v21
	v_subrev_u32_e32 v24, 28, v23
	v_and_b32_e32 v22, 15, v22
	v_lshlrev_b32_e32 v21, v24, v21
	v_sub_u32_e32 v23, 29, v23
	v_and_b32_e32 v21, 7, v21
	v_cmp_eq_u16_e32 vcc, 0, v22
	v_cndmask_b32_e32 v20, v20, v21, vcc
	v_cndmask_b32_e32 v21, v22, v23, vcc
	v_lshlrev_b32_e32 v22, 16, v14
	v_mov_b32_e32 v23, 0x3b800000
	v_lshlrev_b32_e32 v20, 20, v20
	v_and_b32_e32 v22, 0x80000000, v22
	v_lshl_add_u32 v21, v21, 23, v23
	v_or3_b32 v20, v22, v21, v20
.LBB40_1292:
	s_or_b64 exec, exec, s[6:7]
	v_lshrrev_b32_e32 v21, 8, v10
	s_movk_i32 s4, 0x7f
	v_cmp_gt_i16_sdwa s[6:7], v21, s4 src0_sel:BYTE_0 src1_sel:DWORD
	s_mov_b64 s[4:5], 0
                                        ; implicit-def: $sgpr10
	s_and_saveexec_b64 s[8:9], s[6:7]
	s_xor_b64 s[6:7], exec, s[8:9]
	s_cbranch_execnz .LBB40_3341
; %bb.1293:
	s_or_saveexec_b64 s[6:7], s[6:7]
	v_mov_b32_e32 v22, s10
	s_xor_b64 exec, exec, s[6:7]
	s_cbranch_execnz .LBB40_3344
.LBB40_1294:
	s_or_b64 exec, exec, s[6:7]
	s_and_saveexec_b64 s[6:7], s[4:5]
	s_cbranch_execz .LBB40_1296
.LBB40_1295:
	v_bfe_u32 v22, v10, 8, 3
	v_ffbh_u32_e32 v24, v22
	v_min_u32_e32 v24, 32, v24
	v_lshrrev_b16_e32 v23, 3, v21
	v_subrev_u32_e32 v25, 28, v24
	v_and_b32_e32 v23, 15, v23
	v_lshlrev_b32_e32 v21, v25, v21
	v_sub_u32_e32 v24, 29, v24
	v_and_b32_e32 v21, 7, v21
	v_cmp_eq_u16_e32 vcc, 0, v23
	v_cndmask_b32_e32 v21, v22, v21, vcc
	v_cndmask_b32_e32 v22, v23, v24, vcc
	v_lshlrev_b32_e32 v23, 16, v10
	v_mov_b32_e32 v24, 0x3b800000
	v_lshlrev_b32_e32 v21, 20, v21
	v_and_b32_e32 v23, 0x80000000, v23
	v_lshl_add_u32 v22, v22, 23, v24
	v_or3_b32 v22, v23, v22, v21
.LBB40_1296:
	s_or_b64 exec, exec, s[6:7]
	s_nop 0
	v_mfma_f32_16x16x4f32 a[0:3], v20, v22, a[0:3]
	s_movk_i32 s4, 0xff
	v_and_b32_sdwa v21, v14, s4 dst_sel:DWORD dst_unused:UNUSED_PAD src0_sel:WORD_1 src1_sel:DWORD
	s_movk_i32 s4, 0x7f
	v_cmp_lt_i16_e32 vcc, s4, v21
	s_mov_b64 s[4:5], 0
                                        ; implicit-def: $sgpr10
	s_and_saveexec_b64 s[6:7], vcc
	s_xor_b64 s[6:7], exec, s[6:7]
	s_cbranch_execnz .LBB40_3345
; %bb.1297:
	s_or_saveexec_b64 s[6:7], s[6:7]
	v_mov_b32_e32 v20, s10
	s_xor_b64 exec, exec, s[6:7]
	s_cbranch_execnz .LBB40_3348
.LBB40_1298:
	s_or_b64 exec, exec, s[6:7]
	s_and_saveexec_b64 s[6:7], s[4:5]
	s_cbranch_execz .LBB40_1300
.LBB40_1299:
	v_bfe_u32 v20, v14, 16, 3
	v_ffbh_u32_e32 v23, v20
	v_min_u32_e32 v23, 32, v23
	v_lshrrev_b32_e32 v21, 19, v14
	v_subrev_u32_e32 v24, 28, v23
	v_and_b32_e32 v21, 15, v21
	v_lshlrev_b32_sdwa v24, v24, v14 dst_sel:DWORD dst_unused:UNUSED_PAD src0_sel:DWORD src1_sel:WORD_1
	v_bfe_u32 v22, v14, 19, 4
	v_sub_u32_e32 v23, 29, v23
	v_and_b32_e32 v24, 7, v24
	v_cmp_eq_u16_e32 vcc, 0, v21
	v_cndmask_b32_e32 v20, v20, v24, vcc
	v_cndmask_b32_e32 v21, v22, v23, vcc
	v_lshlrev_b32_e32 v22, 8, v14
	v_mov_b32_e32 v23, 0x3b800000
	v_lshlrev_b32_e32 v20, 20, v20
	v_and_b32_e32 v22, 0x80000000, v22
	v_lshl_add_u32 v21, v21, 23, v23
	v_or3_b32 v20, v22, v21, v20
.LBB40_1300:
	s_or_b64 exec, exec, s[6:7]
	s_movk_i32 s4, 0xff
	v_and_b32_sdwa v21, v10, s4 dst_sel:DWORD dst_unused:UNUSED_PAD src0_sel:WORD_1 src1_sel:DWORD
	s_movk_i32 s4, 0x7f
	v_cmp_lt_i16_e32 vcc, s4, v21
	s_mov_b64 s[4:5], 0
                                        ; implicit-def: $sgpr10
	s_and_saveexec_b64 s[6:7], vcc
	s_xor_b64 s[6:7], exec, s[6:7]
	s_cbranch_execnz .LBB40_3349
; %bb.1301:
	s_or_saveexec_b64 s[6:7], s[6:7]
	v_mov_b32_e32 v22, s10
	s_xor_b64 exec, exec, s[6:7]
	s_cbranch_execnz .LBB40_3352
.LBB40_1302:
	s_or_b64 exec, exec, s[6:7]
	s_and_saveexec_b64 s[6:7], s[4:5]
	s_cbranch_execz .LBB40_1304
.LBB40_1303:
	v_bfe_u32 v21, v10, 16, 3
	v_ffbh_u32_e32 v24, v21
	v_min_u32_e32 v24, 32, v24
	v_lshrrev_b32_e32 v22, 19, v10
	v_subrev_u32_e32 v25, 28, v24
	v_and_b32_e32 v22, 15, v22
	v_lshlrev_b32_sdwa v25, v25, v10 dst_sel:DWORD dst_unused:UNUSED_PAD src0_sel:DWORD src1_sel:WORD_1
	v_bfe_u32 v23, v10, 19, 4
	v_sub_u32_e32 v24, 29, v24
	v_and_b32_e32 v25, 7, v25
	v_cmp_eq_u16_e32 vcc, 0, v22
	v_cndmask_b32_e32 v21, v21, v25, vcc
	v_cndmask_b32_e32 v22, v23, v24, vcc
	v_lshlrev_b32_e32 v23, 8, v10
	v_mov_b32_e32 v24, 0x3b800000
	v_lshlrev_b32_e32 v21, 20, v21
	v_and_b32_e32 v23, 0x80000000, v23
	v_lshl_add_u32 v22, v22, 23, v24
	v_or3_b32 v22, v23, v22, v21
.LBB40_1304:
	s_or_b64 exec, exec, s[6:7]
	s_nop 0
	v_mfma_f32_16x16x4f32 a[0:3], v20, v22, a[0:3]
	s_movk_i32 s4, 0x7f
	v_cmp_gt_i16_sdwa s[6:7], v14, s4 src0_sel:BYTE_3 src1_sel:DWORD
	s_mov_b64 s[4:5], 0
                                        ; implicit-def: $sgpr10
	s_and_saveexec_b64 s[8:9], s[6:7]
	s_xor_b64 s[6:7], exec, s[8:9]
	s_cbranch_execnz .LBB40_3353
; %bb.1305:
	s_or_saveexec_b64 s[6:7], s[6:7]
	v_mov_b32_e32 v20, s10
	s_xor_b64 exec, exec, s[6:7]
	s_cbranch_execnz .LBB40_3356
.LBB40_1306:
	s_or_b64 exec, exec, s[6:7]
	s_and_saveexec_b64 s[6:7], s[4:5]
	s_cbranch_execz .LBB40_1308
.LBB40_1307:
	v_bfe_u32 v20, v14, 24, 3
	v_ffbh_u32_e32 v24, v20
	v_min_u32_e32 v24, 32, v24
	v_lshrrev_b32_e32 v22, 27, v14
	v_subrev_u32_e32 v25, 28, v24
	v_and_b32_e32 v21, 0x80000000, v14
	v_and_b32_e32 v22, 15, v22
	v_bfe_u32 v23, v14, 27, 4
	v_lshlrev_b32_sdwa v14, v25, v14 dst_sel:DWORD dst_unused:UNUSED_PAD src0_sel:DWORD src1_sel:BYTE_3
	v_sub_u32_e32 v24, 29, v24
	v_and_b32_e32 v14, 7, v14
	v_cmp_eq_u16_e32 vcc, 0, v22
	v_cndmask_b32_e32 v14, v20, v14, vcc
	v_cndmask_b32_e32 v20, v23, v24, vcc
	v_mov_b32_e32 v22, 0x3b800000
	v_lshlrev_b32_e32 v14, 20, v14
	v_lshl_add_u32 v20, v20, 23, v22
	v_or3_b32 v20, v21, v20, v14
.LBB40_1308:
	s_or_b64 exec, exec, s[6:7]
	s_movk_i32 s4, 0x7f
	v_cmp_gt_i16_sdwa s[6:7], v10, s4 src0_sel:BYTE_3 src1_sel:DWORD
	s_mov_b64 s[4:5], 0
                                        ; implicit-def: $sgpr10
	s_and_saveexec_b64 s[8:9], s[6:7]
	s_xor_b64 s[6:7], exec, s[8:9]
	s_cbranch_execnz .LBB40_3357
; %bb.1309:
	s_or_saveexec_b64 s[6:7], s[6:7]
	v_mov_b32_e32 v14, s10
	s_xor_b64 exec, exec, s[6:7]
	s_cbranch_execnz .LBB40_3360
.LBB40_1310:
	s_or_b64 exec, exec, s[6:7]
	s_and_saveexec_b64 s[6:7], s[4:5]
	s_cbranch_execz .LBB40_1312
.LBB40_1311:
	v_bfe_u32 v14, v10, 24, 3
	v_ffbh_u32_e32 v24, v14
	v_min_u32_e32 v24, 32, v24
	v_lshrrev_b32_e32 v22, 27, v10
	v_subrev_u32_e32 v25, 28, v24
	v_and_b32_e32 v21, 0x80000000, v10
	v_and_b32_e32 v22, 15, v22
	v_bfe_u32 v23, v10, 27, 4
	v_lshlrev_b32_sdwa v10, v25, v10 dst_sel:DWORD dst_unused:UNUSED_PAD src0_sel:DWORD src1_sel:BYTE_3
	v_sub_u32_e32 v24, 29, v24
	v_and_b32_e32 v10, 7, v10
	v_cmp_eq_u16_e32 vcc, 0, v22
	v_cndmask_b32_e32 v10, v14, v10, vcc
	v_cndmask_b32_e32 v14, v23, v24, vcc
	v_mov_b32_e32 v22, 0x3b800000
	v_lshlrev_b32_e32 v10, 20, v10
	v_lshl_add_u32 v14, v14, 23, v22
	v_or3_b32 v14, v21, v14, v10
.LBB40_1312:
	s_or_b64 exec, exec, s[6:7]
	s_nop 0
	v_mfma_f32_16x16x4f32 a[0:3], v20, v14, a[0:3]
	s_movk_i32 s4, 0x7f
	v_cmp_gt_i16_sdwa s[6:7], v15, s4 src0_sel:BYTE_0 src1_sel:DWORD
	s_mov_b64 s[4:5], 0
                                        ; implicit-def: $sgpr10
	s_and_saveexec_b64 s[8:9], s[6:7]
	s_xor_b64 s[6:7], exec, s[8:9]
	s_cbranch_execnz .LBB40_3361
; %bb.1313:
	s_or_saveexec_b64 s[6:7], s[6:7]
	v_mov_b32_e32 v10, s10
	s_xor_b64 exec, exec, s[6:7]
	s_cbranch_execnz .LBB40_3364
.LBB40_1314:
	s_or_b64 exec, exec, s[6:7]
	s_and_saveexec_b64 s[6:7], s[4:5]
	s_cbranch_execz .LBB40_1316
.LBB40_1315:
	v_and_b32_e32 v10, 7, v15
	v_ffbh_u32_e32 v20, v10
	v_min_u32_e32 v20, 32, v20
	v_lshrrev_b16_e32 v14, 3, v15
	v_subrev_u32_e32 v21, 28, v20
	v_and_b32_e32 v14, 15, v14
	v_lshlrev_b32_e32 v21, v21, v15
	v_sub_u32_e32 v20, 29, v20
	v_and_b32_e32 v21, 7, v21
	v_cmp_eq_u16_e32 vcc, 0, v14
	v_cndmask_b32_e32 v10, v10, v21, vcc
	v_cndmask_b32_e32 v14, v14, v20, vcc
	v_lshlrev_b32_e32 v20, 24, v15
	v_mov_b32_e32 v21, 0x3b800000
	v_lshlrev_b32_e32 v10, 20, v10
	v_and_b32_e32 v20, 0x80000000, v20
	v_lshl_add_u32 v14, v14, 23, v21
	v_or3_b32 v10, v20, v14, v10
.LBB40_1316:
	s_or_b64 exec, exec, s[6:7]
	s_movk_i32 s4, 0x7f
	v_cmp_gt_i16_sdwa s[6:7], v11, s4 src0_sel:BYTE_0 src1_sel:DWORD
	s_mov_b64 s[4:5], 0
                                        ; implicit-def: $sgpr10
	s_and_saveexec_b64 s[8:9], s[6:7]
	s_xor_b64 s[6:7], exec, s[8:9]
	s_cbranch_execnz .LBB40_3365
; %bb.1317:
	s_or_saveexec_b64 s[6:7], s[6:7]
	v_mov_b32_e32 v14, s10
	s_xor_b64 exec, exec, s[6:7]
	s_cbranch_execnz .LBB40_3368
.LBB40_1318:
	s_or_b64 exec, exec, s[6:7]
	s_and_saveexec_b64 s[6:7], s[4:5]
	s_cbranch_execz .LBB40_1320
.LBB40_1319:
	v_and_b32_e32 v14, 7, v11
	v_ffbh_u32_e32 v21, v14
	v_min_u32_e32 v21, 32, v21
	v_lshrrev_b16_e32 v20, 3, v11
	v_subrev_u32_e32 v22, 28, v21
	v_and_b32_e32 v20, 15, v20
	v_lshlrev_b32_e32 v22, v22, v11
	v_sub_u32_e32 v21, 29, v21
	v_and_b32_e32 v22, 7, v22
	v_cmp_eq_u16_e32 vcc, 0, v20
	v_cndmask_b32_e32 v14, v14, v22, vcc
	v_cndmask_b32_e32 v20, v20, v21, vcc
	v_lshlrev_b32_e32 v21, 24, v11
	v_mov_b32_e32 v22, 0x3b800000
	v_lshlrev_b32_e32 v14, 20, v14
	v_and_b32_e32 v21, 0x80000000, v21
	v_lshl_add_u32 v20, v20, 23, v22
	v_or3_b32 v14, v21, v20, v14
.LBB40_1320:
	s_or_b64 exec, exec, s[6:7]
	s_nop 0
	v_mfma_f32_16x16x4f32 a[0:3], v10, v14, a[0:3]
	v_lshrrev_b32_e32 v14, 8, v15
	s_movk_i32 s4, 0x7f
	v_cmp_gt_i16_sdwa s[6:7], v14, s4 src0_sel:BYTE_0 src1_sel:DWORD
	s_mov_b64 s[4:5], 0
                                        ; implicit-def: $sgpr10
	s_and_saveexec_b64 s[8:9], s[6:7]
	s_xor_b64 s[6:7], exec, s[8:9]
	s_cbranch_execnz .LBB40_3369
; %bb.1321:
	s_or_saveexec_b64 s[6:7], s[6:7]
	v_mov_b32_e32 v10, s10
	s_xor_b64 exec, exec, s[6:7]
	s_cbranch_execnz .LBB40_3372
.LBB40_1322:
	s_or_b64 exec, exec, s[6:7]
	s_and_saveexec_b64 s[6:7], s[4:5]
	s_cbranch_execz .LBB40_1324
.LBB40_1323:
	v_bfe_u32 v10, v15, 8, 3
	v_ffbh_u32_e32 v21, v10
	v_min_u32_e32 v21, 32, v21
	v_lshrrev_b16_e32 v20, 3, v14
	v_subrev_u32_e32 v22, 28, v21
	v_and_b32_e32 v20, 15, v20
	v_lshlrev_b32_e32 v14, v22, v14
	v_sub_u32_e32 v21, 29, v21
	v_and_b32_e32 v14, 7, v14
	v_cmp_eq_u16_e32 vcc, 0, v20
	v_cndmask_b32_e32 v10, v10, v14, vcc
	v_cndmask_b32_e32 v14, v20, v21, vcc
	v_lshlrev_b32_e32 v20, 16, v15
	v_mov_b32_e32 v21, 0x3b800000
	v_lshlrev_b32_e32 v10, 20, v10
	v_and_b32_e32 v20, 0x80000000, v20
	v_lshl_add_u32 v14, v14, 23, v21
	v_or3_b32 v10, v20, v14, v10
.LBB40_1324:
	s_or_b64 exec, exec, s[6:7]
	v_lshrrev_b32_e32 v14, 8, v11
	s_movk_i32 s4, 0x7f
	v_cmp_gt_i16_sdwa s[6:7], v14, s4 src0_sel:BYTE_0 src1_sel:DWORD
	s_mov_b64 s[4:5], 0
                                        ; implicit-def: $sgpr10
	s_and_saveexec_b64 s[8:9], s[6:7]
	s_xor_b64 s[6:7], exec, s[8:9]
	s_cbranch_execnz .LBB40_3373
; %bb.1325:
	s_or_saveexec_b64 s[6:7], s[6:7]
	v_mov_b32_e32 v20, s10
	s_xor_b64 exec, exec, s[6:7]
	s_cbranch_execnz .LBB40_3376
.LBB40_1326:
	s_or_b64 exec, exec, s[6:7]
	s_and_saveexec_b64 s[6:7], s[4:5]
	s_cbranch_execz .LBB40_1328
.LBB40_1327:
	v_bfe_u32 v20, v11, 8, 3
	v_ffbh_u32_e32 v22, v20
	v_min_u32_e32 v22, 32, v22
	v_lshrrev_b16_e32 v21, 3, v14
	v_subrev_u32_e32 v23, 28, v22
	v_and_b32_e32 v21, 15, v21
	v_lshlrev_b32_e32 v14, v23, v14
	v_sub_u32_e32 v22, 29, v22
	v_and_b32_e32 v14, 7, v14
	v_cmp_eq_u16_e32 vcc, 0, v21
	v_cndmask_b32_e32 v14, v20, v14, vcc
	v_cndmask_b32_e32 v20, v21, v22, vcc
	v_lshlrev_b32_e32 v21, 16, v11
	v_mov_b32_e32 v22, 0x3b800000
	v_lshlrev_b32_e32 v14, 20, v14
	v_and_b32_e32 v21, 0x80000000, v21
	v_lshl_add_u32 v20, v20, 23, v22
	v_or3_b32 v20, v21, v20, v14
.LBB40_1328:
	s_or_b64 exec, exec, s[6:7]
	s_nop 0
	v_mfma_f32_16x16x4f32 a[0:3], v10, v20, a[0:3]
	s_movk_i32 s4, 0xff
	v_and_b32_sdwa v14, v15, s4 dst_sel:DWORD dst_unused:UNUSED_PAD src0_sel:WORD_1 src1_sel:DWORD
	s_movk_i32 s4, 0x7f
	v_cmp_lt_i16_e32 vcc, s4, v14
	s_mov_b64 s[4:5], 0
                                        ; implicit-def: $sgpr10
	s_and_saveexec_b64 s[6:7], vcc
	s_xor_b64 s[6:7], exec, s[6:7]
	s_cbranch_execnz .LBB40_3377
; %bb.1329:
	s_or_saveexec_b64 s[6:7], s[6:7]
	v_mov_b32_e32 v10, s10
	s_xor_b64 exec, exec, s[6:7]
	s_cbranch_execnz .LBB40_3380
.LBB40_1330:
	s_or_b64 exec, exec, s[6:7]
	s_and_saveexec_b64 s[6:7], s[4:5]
	s_cbranch_execz .LBB40_1332
.LBB40_1331:
	v_bfe_u32 v10, v15, 16, 3
	v_ffbh_u32_e32 v21, v10
	v_min_u32_e32 v21, 32, v21
	v_lshrrev_b32_e32 v14, 19, v15
	v_subrev_u32_e32 v22, 28, v21
	v_and_b32_e32 v14, 15, v14
	v_lshlrev_b32_sdwa v22, v22, v15 dst_sel:DWORD dst_unused:UNUSED_PAD src0_sel:DWORD src1_sel:WORD_1
	v_bfe_u32 v20, v15, 19, 4
	v_sub_u32_e32 v21, 29, v21
	v_and_b32_e32 v22, 7, v22
	v_cmp_eq_u16_e32 vcc, 0, v14
	v_cndmask_b32_e32 v10, v10, v22, vcc
	v_cndmask_b32_e32 v14, v20, v21, vcc
	v_lshlrev_b32_e32 v20, 8, v15
	v_mov_b32_e32 v21, 0x3b800000
	v_lshlrev_b32_e32 v10, 20, v10
	v_and_b32_e32 v20, 0x80000000, v20
	v_lshl_add_u32 v14, v14, 23, v21
	v_or3_b32 v10, v20, v14, v10
.LBB40_1332:
	s_or_b64 exec, exec, s[6:7]
	s_movk_i32 s4, 0xff
	v_and_b32_sdwa v14, v11, s4 dst_sel:DWORD dst_unused:UNUSED_PAD src0_sel:WORD_1 src1_sel:DWORD
	s_movk_i32 s4, 0x7f
	v_cmp_lt_i16_e32 vcc, s4, v14
	s_mov_b64 s[4:5], 0
                                        ; implicit-def: $sgpr10
	s_and_saveexec_b64 s[6:7], vcc
	s_xor_b64 s[6:7], exec, s[6:7]
	s_cbranch_execnz .LBB40_3381
; %bb.1333:
	s_or_saveexec_b64 s[6:7], s[6:7]
	v_mov_b32_e32 v20, s10
	s_xor_b64 exec, exec, s[6:7]
	s_cbranch_execnz .LBB40_3384
.LBB40_1334:
	s_or_b64 exec, exec, s[6:7]
	s_and_saveexec_b64 s[6:7], s[4:5]
	s_cbranch_execz .LBB40_1336
.LBB40_1335:
	v_bfe_u32 v14, v11, 16, 3
	v_ffbh_u32_e32 v22, v14
	v_min_u32_e32 v22, 32, v22
	v_lshrrev_b32_e32 v20, 19, v11
	v_subrev_u32_e32 v23, 28, v22
	v_and_b32_e32 v20, 15, v20
	v_lshlrev_b32_sdwa v23, v23, v11 dst_sel:DWORD dst_unused:UNUSED_PAD src0_sel:DWORD src1_sel:WORD_1
	v_bfe_u32 v21, v11, 19, 4
	v_sub_u32_e32 v22, 29, v22
	v_and_b32_e32 v23, 7, v23
	v_cmp_eq_u16_e32 vcc, 0, v20
	v_cndmask_b32_e32 v14, v14, v23, vcc
	v_cndmask_b32_e32 v20, v21, v22, vcc
	v_lshlrev_b32_e32 v21, 8, v11
	v_mov_b32_e32 v22, 0x3b800000
	v_lshlrev_b32_e32 v14, 20, v14
	v_and_b32_e32 v21, 0x80000000, v21
	v_lshl_add_u32 v20, v20, 23, v22
	v_or3_b32 v20, v21, v20, v14
.LBB40_1336:
	s_or_b64 exec, exec, s[6:7]
	s_nop 0
	v_mfma_f32_16x16x4f32 a[0:3], v10, v20, a[0:3]
	s_movk_i32 s4, 0x7f
	v_cmp_gt_i16_sdwa s[6:7], v15, s4 src0_sel:BYTE_3 src1_sel:DWORD
	s_mov_b64 s[4:5], 0
                                        ; implicit-def: $sgpr10
	s_and_saveexec_b64 s[8:9], s[6:7]
	s_xor_b64 s[6:7], exec, s[8:9]
	s_cbranch_execnz .LBB40_3385
; %bb.1337:
	s_or_saveexec_b64 s[6:7], s[6:7]
	v_mov_b32_e32 v10, s10
	s_xor_b64 exec, exec, s[6:7]
	s_cbranch_execnz .LBB40_3388
.LBB40_1338:
	s_or_b64 exec, exec, s[6:7]
	s_and_saveexec_b64 s[6:7], s[4:5]
	s_cbranch_execz .LBB40_1340
.LBB40_1339:
	v_bfe_u32 v10, v15, 24, 3
	v_ffbh_u32_e32 v22, v10
	v_min_u32_e32 v22, 32, v22
	v_lshrrev_b32_e32 v20, 27, v15
	v_subrev_u32_e32 v23, 28, v22
	v_and_b32_e32 v14, 0x80000000, v15
	v_and_b32_e32 v20, 15, v20
	v_bfe_u32 v21, v15, 27, 4
	v_lshlrev_b32_sdwa v15, v23, v15 dst_sel:DWORD dst_unused:UNUSED_PAD src0_sel:DWORD src1_sel:BYTE_3
	v_sub_u32_e32 v22, 29, v22
	v_and_b32_e32 v15, 7, v15
	v_cmp_eq_u16_e32 vcc, 0, v20
	v_cndmask_b32_e32 v10, v10, v15, vcc
	v_cndmask_b32_e32 v15, v21, v22, vcc
	v_mov_b32_e32 v20, 0x3b800000
	v_lshlrev_b32_e32 v10, 20, v10
	v_lshl_add_u32 v15, v15, 23, v20
	v_or3_b32 v10, v14, v15, v10
.LBB40_1340:
	s_or_b64 exec, exec, s[6:7]
	s_movk_i32 s4, 0x7f
	v_cmp_gt_i16_sdwa s[6:7], v11, s4 src0_sel:BYTE_3 src1_sel:DWORD
	s_mov_b64 s[4:5], 0
                                        ; implicit-def: $sgpr10
	s_and_saveexec_b64 s[8:9], s[6:7]
	s_xor_b64 s[6:7], exec, s[8:9]
	s_cbranch_execnz .LBB40_3389
; %bb.1341:
	s_or_saveexec_b64 s[6:7], s[6:7]
	v_mov_b32_e32 v14, s10
	s_xor_b64 exec, exec, s[6:7]
	s_cbranch_execnz .LBB40_3392
.LBB40_1342:
	s_or_b64 exec, exec, s[6:7]
	s_and_saveexec_b64 s[6:7], s[4:5]
	s_cbranch_execz .LBB40_1344
.LBB40_1343:
	v_bfe_u32 v14, v11, 24, 3
	v_ffbh_u32_e32 v22, v14
	v_min_u32_e32 v22, 32, v22
	v_lshrrev_b32_e32 v20, 27, v11
	v_subrev_u32_e32 v23, 28, v22
	v_and_b32_e32 v15, 0x80000000, v11
	v_and_b32_e32 v20, 15, v20
	v_bfe_u32 v21, v11, 27, 4
	v_lshlrev_b32_sdwa v11, v23, v11 dst_sel:DWORD dst_unused:UNUSED_PAD src0_sel:DWORD src1_sel:BYTE_3
	v_sub_u32_e32 v22, 29, v22
	v_and_b32_e32 v11, 7, v11
	v_cmp_eq_u16_e32 vcc, 0, v20
	v_cndmask_b32_e32 v11, v14, v11, vcc
	v_cndmask_b32_e32 v14, v21, v22, vcc
	v_mov_b32_e32 v20, 0x3b800000
	v_lshlrev_b32_e32 v11, 20, v11
	v_lshl_add_u32 v14, v14, 23, v20
	v_or3_b32 v14, v15, v14, v11
.LBB40_1344:
	s_or_b64 exec, exec, s[6:7]
	s_nop 0
	v_mfma_f32_16x16x4f32 a[0:3], v10, v14, a[0:3]
	s_movk_i32 s4, 0x7f
	v_cmp_gt_i16_sdwa s[6:7], v16, s4 src0_sel:BYTE_0 src1_sel:DWORD
	s_mov_b64 s[4:5], 0
                                        ; implicit-def: $sgpr10
	s_and_saveexec_b64 s[8:9], s[6:7]
	s_xor_b64 s[6:7], exec, s[8:9]
	s_cbranch_execnz .LBB40_3393
; %bb.1345:
	s_or_saveexec_b64 s[6:7], s[6:7]
	v_mov_b32_e32 v10, s10
	s_xor_b64 exec, exec, s[6:7]
	s_cbranch_execnz .LBB40_3396
.LBB40_1346:
	s_or_b64 exec, exec, s[6:7]
	s_and_saveexec_b64 s[6:7], s[4:5]
	s_cbranch_execz .LBB40_1348
.LBB40_1347:
	v_and_b32_e32 v10, 7, v16
	v_ffbh_u32_e32 v14, v10
	v_min_u32_e32 v14, 32, v14
	v_lshrrev_b16_e32 v11, 3, v16
	v_subrev_u32_e32 v15, 28, v14
	v_and_b32_e32 v11, 15, v11
	v_lshlrev_b32_e32 v15, v15, v16
	v_sub_u32_e32 v14, 29, v14
	v_and_b32_e32 v15, 7, v15
	v_cmp_eq_u16_e32 vcc, 0, v11
	v_cndmask_b32_e32 v10, v10, v15, vcc
	v_cndmask_b32_e32 v11, v11, v14, vcc
	v_lshlrev_b32_e32 v14, 24, v16
	v_mov_b32_e32 v15, 0x3b800000
	v_lshlrev_b32_e32 v10, 20, v10
	v_and_b32_e32 v14, 0x80000000, v14
	v_lshl_add_u32 v11, v11, 23, v15
	v_or3_b32 v10, v14, v11, v10
.LBB40_1348:
	s_or_b64 exec, exec, s[6:7]
	s_movk_i32 s4, 0x7f
	v_cmp_gt_i16_sdwa s[6:7], v12, s4 src0_sel:BYTE_0 src1_sel:DWORD
	s_mov_b64 s[4:5], 0
                                        ; implicit-def: $sgpr10
	s_and_saveexec_b64 s[8:9], s[6:7]
	s_xor_b64 s[6:7], exec, s[8:9]
	s_cbranch_execnz .LBB40_3397
; %bb.1349:
	s_or_saveexec_b64 s[6:7], s[6:7]
	v_mov_b32_e32 v11, s10
	s_xor_b64 exec, exec, s[6:7]
	s_cbranch_execnz .LBB40_3400
.LBB40_1350:
	s_or_b64 exec, exec, s[6:7]
	s_and_saveexec_b64 s[6:7], s[4:5]
	s_cbranch_execz .LBB40_1352
.LBB40_1351:
	v_and_b32_e32 v11, 7, v12
	v_ffbh_u32_e32 v15, v11
	v_min_u32_e32 v15, 32, v15
	v_lshrrev_b16_e32 v14, 3, v12
	v_subrev_u32_e32 v20, 28, v15
	v_and_b32_e32 v14, 15, v14
	v_lshlrev_b32_e32 v20, v20, v12
	v_sub_u32_e32 v15, 29, v15
	v_and_b32_e32 v20, 7, v20
	v_cmp_eq_u16_e32 vcc, 0, v14
	v_cndmask_b32_e32 v11, v11, v20, vcc
	v_cndmask_b32_e32 v14, v14, v15, vcc
	v_lshlrev_b32_e32 v15, 24, v12
	v_mov_b32_e32 v20, 0x3b800000
	v_lshlrev_b32_e32 v11, 20, v11
	v_and_b32_e32 v15, 0x80000000, v15
	v_lshl_add_u32 v14, v14, 23, v20
	v_or3_b32 v11, v15, v14, v11
.LBB40_1352:
	s_or_b64 exec, exec, s[6:7]
	s_nop 0
	v_mfma_f32_16x16x4f32 a[0:3], v10, v11, a[0:3]
	v_lshrrev_b32_e32 v11, 8, v16
	s_movk_i32 s4, 0x7f
	v_cmp_gt_i16_sdwa s[6:7], v11, s4 src0_sel:BYTE_0 src1_sel:DWORD
	s_mov_b64 s[4:5], 0
                                        ; implicit-def: $sgpr10
	s_and_saveexec_b64 s[8:9], s[6:7]
	s_xor_b64 s[6:7], exec, s[8:9]
	s_cbranch_execnz .LBB40_3401
; %bb.1353:
	s_or_saveexec_b64 s[6:7], s[6:7]
	v_mov_b32_e32 v10, s10
	s_xor_b64 exec, exec, s[6:7]
	s_cbranch_execnz .LBB40_3404
.LBB40_1354:
	s_or_b64 exec, exec, s[6:7]
	s_and_saveexec_b64 s[6:7], s[4:5]
	s_cbranch_execz .LBB40_1356
.LBB40_1355:
	v_bfe_u32 v10, v16, 8, 3
	v_ffbh_u32_e32 v15, v10
	v_min_u32_e32 v15, 32, v15
	v_lshrrev_b16_e32 v14, 3, v11
	v_subrev_u32_e32 v20, 28, v15
	v_and_b32_e32 v14, 15, v14
	v_lshlrev_b32_e32 v11, v20, v11
	v_sub_u32_e32 v15, 29, v15
	v_and_b32_e32 v11, 7, v11
	v_cmp_eq_u16_e32 vcc, 0, v14
	v_cndmask_b32_e32 v10, v10, v11, vcc
	v_cndmask_b32_e32 v11, v14, v15, vcc
	v_lshlrev_b32_e32 v14, 16, v16
	v_mov_b32_e32 v15, 0x3b800000
	v_lshlrev_b32_e32 v10, 20, v10
	v_and_b32_e32 v14, 0x80000000, v14
	v_lshl_add_u32 v11, v11, 23, v15
	v_or3_b32 v10, v14, v11, v10
.LBB40_1356:
	s_or_b64 exec, exec, s[6:7]
	v_lshrrev_b32_e32 v11, 8, v12
	s_movk_i32 s4, 0x7f
	v_cmp_gt_i16_sdwa s[6:7], v11, s4 src0_sel:BYTE_0 src1_sel:DWORD
	s_mov_b64 s[4:5], 0
                                        ; implicit-def: $sgpr10
	s_and_saveexec_b64 s[8:9], s[6:7]
	s_xor_b64 s[6:7], exec, s[8:9]
	s_cbranch_execnz .LBB40_3405
; %bb.1357:
	s_or_saveexec_b64 s[6:7], s[6:7]
	v_mov_b32_e32 v14, s10
	s_xor_b64 exec, exec, s[6:7]
	s_cbranch_execnz .LBB40_3408
.LBB40_1358:
	s_or_b64 exec, exec, s[6:7]
	s_and_saveexec_b64 s[6:7], s[4:5]
	s_cbranch_execz .LBB40_1360
.LBB40_1359:
	v_bfe_u32 v14, v12, 8, 3
	v_ffbh_u32_e32 v20, v14
	v_min_u32_e32 v20, 32, v20
	v_lshrrev_b16_e32 v15, 3, v11
	v_subrev_u32_e32 v21, 28, v20
	v_and_b32_e32 v15, 15, v15
	v_lshlrev_b32_e32 v11, v21, v11
	v_sub_u32_e32 v20, 29, v20
	v_and_b32_e32 v11, 7, v11
	v_cmp_eq_u16_e32 vcc, 0, v15
	v_cndmask_b32_e32 v11, v14, v11, vcc
	v_cndmask_b32_e32 v14, v15, v20, vcc
	v_lshlrev_b32_e32 v15, 16, v12
	v_mov_b32_e32 v20, 0x3b800000
	v_lshlrev_b32_e32 v11, 20, v11
	v_and_b32_e32 v15, 0x80000000, v15
	v_lshl_add_u32 v14, v14, 23, v20
	v_or3_b32 v14, v15, v14, v11
.LBB40_1360:
	s_or_b64 exec, exec, s[6:7]
	s_nop 0
	v_mfma_f32_16x16x4f32 a[0:3], v10, v14, a[0:3]
	s_movk_i32 s4, 0xff
	v_and_b32_sdwa v11, v16, s4 dst_sel:DWORD dst_unused:UNUSED_PAD src0_sel:WORD_1 src1_sel:DWORD
	s_movk_i32 s4, 0x7f
	v_cmp_lt_i16_e32 vcc, s4, v11
	s_mov_b64 s[4:5], 0
                                        ; implicit-def: $sgpr10
	s_and_saveexec_b64 s[6:7], vcc
	s_xor_b64 s[6:7], exec, s[6:7]
	s_cbranch_execnz .LBB40_3409
; %bb.1361:
	s_or_saveexec_b64 s[6:7], s[6:7]
	v_mov_b32_e32 v10, s10
	s_xor_b64 exec, exec, s[6:7]
	s_cbranch_execnz .LBB40_3412
.LBB40_1362:
	s_or_b64 exec, exec, s[6:7]
	s_and_saveexec_b64 s[6:7], s[4:5]
	s_cbranch_execz .LBB40_1364
.LBB40_1363:
	v_bfe_u32 v10, v16, 16, 3
	v_ffbh_u32_e32 v15, v10
	v_min_u32_e32 v15, 32, v15
	v_lshrrev_b32_e32 v11, 19, v16
	v_subrev_u32_e32 v20, 28, v15
	v_and_b32_e32 v11, 15, v11
	v_lshlrev_b32_sdwa v20, v20, v16 dst_sel:DWORD dst_unused:UNUSED_PAD src0_sel:DWORD src1_sel:WORD_1
	v_bfe_u32 v14, v16, 19, 4
	v_sub_u32_e32 v15, 29, v15
	v_and_b32_e32 v20, 7, v20
	v_cmp_eq_u16_e32 vcc, 0, v11
	v_cndmask_b32_e32 v10, v10, v20, vcc
	v_cndmask_b32_e32 v11, v14, v15, vcc
	v_lshlrev_b32_e32 v14, 8, v16
	v_mov_b32_e32 v15, 0x3b800000
	v_lshlrev_b32_e32 v10, 20, v10
	v_and_b32_e32 v14, 0x80000000, v14
	v_lshl_add_u32 v11, v11, 23, v15
	v_or3_b32 v10, v14, v11, v10
.LBB40_1364:
	s_or_b64 exec, exec, s[6:7]
	s_movk_i32 s4, 0xff
	v_and_b32_sdwa v11, v12, s4 dst_sel:DWORD dst_unused:UNUSED_PAD src0_sel:WORD_1 src1_sel:DWORD
	s_movk_i32 s4, 0x7f
	v_cmp_lt_i16_e32 vcc, s4, v11
	s_mov_b64 s[4:5], 0
                                        ; implicit-def: $sgpr10
	s_and_saveexec_b64 s[6:7], vcc
	s_xor_b64 s[6:7], exec, s[6:7]
	s_cbranch_execnz .LBB40_3413
; %bb.1365:
	s_or_saveexec_b64 s[6:7], s[6:7]
	v_mov_b32_e32 v14, s10
	s_xor_b64 exec, exec, s[6:7]
	s_cbranch_execnz .LBB40_3416
.LBB40_1366:
	s_or_b64 exec, exec, s[6:7]
	s_and_saveexec_b64 s[6:7], s[4:5]
	s_cbranch_execz .LBB40_1368
.LBB40_1367:
	v_bfe_u32 v11, v12, 16, 3
	v_ffbh_u32_e32 v20, v11
	v_min_u32_e32 v20, 32, v20
	v_lshrrev_b32_e32 v14, 19, v12
	v_subrev_u32_e32 v21, 28, v20
	v_and_b32_e32 v14, 15, v14
	v_lshlrev_b32_sdwa v21, v21, v12 dst_sel:DWORD dst_unused:UNUSED_PAD src0_sel:DWORD src1_sel:WORD_1
	v_bfe_u32 v15, v12, 19, 4
	v_sub_u32_e32 v20, 29, v20
	v_and_b32_e32 v21, 7, v21
	v_cmp_eq_u16_e32 vcc, 0, v14
	v_cndmask_b32_e32 v11, v11, v21, vcc
	v_cndmask_b32_e32 v14, v15, v20, vcc
	v_lshlrev_b32_e32 v15, 8, v12
	v_mov_b32_e32 v20, 0x3b800000
	v_lshlrev_b32_e32 v11, 20, v11
	v_and_b32_e32 v15, 0x80000000, v15
	v_lshl_add_u32 v14, v14, 23, v20
	v_or3_b32 v14, v15, v14, v11
.LBB40_1368:
	s_or_b64 exec, exec, s[6:7]
	s_nop 0
	v_mfma_f32_16x16x4f32 a[0:3], v10, v14, a[0:3]
	s_movk_i32 s4, 0x7f
	v_cmp_gt_i16_sdwa s[6:7], v16, s4 src0_sel:BYTE_3 src1_sel:DWORD
	s_mov_b64 s[4:5], 0
                                        ; implicit-def: $sgpr10
	s_and_saveexec_b64 s[8:9], s[6:7]
	s_xor_b64 s[6:7], exec, s[8:9]
	s_cbranch_execnz .LBB40_3417
; %bb.1369:
	s_or_saveexec_b64 s[6:7], s[6:7]
	v_mov_b32_e32 v10, s10
	s_xor_b64 exec, exec, s[6:7]
	s_cbranch_execnz .LBB40_3420
.LBB40_1370:
	s_or_b64 exec, exec, s[6:7]
	s_and_saveexec_b64 s[6:7], s[4:5]
	s_cbranch_execz .LBB40_1372
.LBB40_1371:
	v_bfe_u32 v10, v16, 24, 3
	v_ffbh_u32_e32 v20, v10
	v_min_u32_e32 v20, 32, v20
	v_lshrrev_b32_e32 v14, 27, v16
	v_subrev_u32_e32 v21, 28, v20
	v_and_b32_e32 v11, 0x80000000, v16
	v_and_b32_e32 v14, 15, v14
	v_bfe_u32 v15, v16, 27, 4
	v_lshlrev_b32_sdwa v16, v21, v16 dst_sel:DWORD dst_unused:UNUSED_PAD src0_sel:DWORD src1_sel:BYTE_3
	v_sub_u32_e32 v20, 29, v20
	v_and_b32_e32 v16, 7, v16
	v_cmp_eq_u16_e32 vcc, 0, v14
	v_cndmask_b32_e32 v10, v10, v16, vcc
	v_cndmask_b32_e32 v14, v15, v20, vcc
	v_mov_b32_e32 v15, 0x3b800000
	v_lshlrev_b32_e32 v10, 20, v10
	v_lshl_add_u32 v14, v14, 23, v15
	v_or3_b32 v10, v11, v14, v10
.LBB40_1372:
	s_or_b64 exec, exec, s[6:7]
	s_movk_i32 s4, 0x7f
	v_cmp_gt_i16_sdwa s[6:7], v12, s4 src0_sel:BYTE_3 src1_sel:DWORD
	s_mov_b64 s[4:5], 0
                                        ; implicit-def: $sgpr10
	s_and_saveexec_b64 s[8:9], s[6:7]
	s_xor_b64 s[6:7], exec, s[8:9]
	s_cbranch_execnz .LBB40_3421
; %bb.1373:
	s_or_saveexec_b64 s[6:7], s[6:7]
	v_mov_b32_e32 v11, s10
	s_xor_b64 exec, exec, s[6:7]
	s_cbranch_execnz .LBB40_3424
.LBB40_1374:
	s_or_b64 exec, exec, s[6:7]
	s_and_saveexec_b64 s[6:7], s[4:5]
	s_cbranch_execz .LBB40_1376
.LBB40_1375:
	v_bfe_u32 v11, v12, 24, 3
	v_ffbh_u32_e32 v20, v11
	v_min_u32_e32 v20, 32, v20
	v_lshrrev_b32_e32 v15, 27, v12
	v_subrev_u32_e32 v21, 28, v20
	v_and_b32_e32 v14, 0x80000000, v12
	v_and_b32_e32 v15, 15, v15
	v_bfe_u32 v16, v12, 27, 4
	v_lshlrev_b32_sdwa v12, v21, v12 dst_sel:DWORD dst_unused:UNUSED_PAD src0_sel:DWORD src1_sel:BYTE_3
	v_sub_u32_e32 v20, 29, v20
	v_and_b32_e32 v12, 7, v12
	v_cmp_eq_u16_e32 vcc, 0, v15
	v_cndmask_b32_e32 v11, v11, v12, vcc
	v_cndmask_b32_e32 v12, v16, v20, vcc
	v_mov_b32_e32 v15, 0x3b800000
	v_lshlrev_b32_e32 v11, 20, v11
	v_lshl_add_u32 v12, v12, 23, v15
	v_or3_b32 v11, v14, v12, v11
.LBB40_1376:
	s_or_b64 exec, exec, s[6:7]
	s_nop 0
	v_mfma_f32_16x16x4f32 a[0:3], v10, v11, a[0:3]
	s_movk_i32 s4, 0x7f
	v_cmp_gt_i16_sdwa s[6:7], v17, s4 src0_sel:BYTE_0 src1_sel:DWORD
	s_mov_b64 s[4:5], 0
                                        ; implicit-def: $sgpr10
	s_and_saveexec_b64 s[8:9], s[6:7]
	s_xor_b64 s[6:7], exec, s[8:9]
	s_cbranch_execnz .LBB40_3425
; %bb.1377:
	s_or_saveexec_b64 s[6:7], s[6:7]
	v_mov_b32_e32 v10, s10
	s_xor_b64 exec, exec, s[6:7]
	s_cbranch_execnz .LBB40_3428
.LBB40_1378:
	s_or_b64 exec, exec, s[6:7]
	s_and_saveexec_b64 s[6:7], s[4:5]
	s_cbranch_execz .LBB40_1380
.LBB40_1379:
	v_and_b32_e32 v10, 7, v17
	v_ffbh_u32_e32 v12, v10
	v_min_u32_e32 v12, 32, v12
	v_lshrrev_b16_e32 v11, 3, v17
	v_subrev_u32_e32 v14, 28, v12
	v_and_b32_e32 v11, 15, v11
	v_lshlrev_b32_e32 v14, v14, v17
	v_sub_u32_e32 v12, 29, v12
	v_and_b32_e32 v14, 7, v14
	v_cmp_eq_u16_e32 vcc, 0, v11
	v_cndmask_b32_e32 v10, v10, v14, vcc
	v_cndmask_b32_e32 v11, v11, v12, vcc
	v_lshlrev_b32_e32 v12, 24, v17
	v_mov_b32_e32 v14, 0x3b800000
	v_lshlrev_b32_e32 v10, 20, v10
	v_and_b32_e32 v12, 0x80000000, v12
	v_lshl_add_u32 v11, v11, 23, v14
	v_or3_b32 v10, v12, v11, v10
.LBB40_1380:
	s_or_b64 exec, exec, s[6:7]
	s_movk_i32 s4, 0x7f
	v_cmp_gt_i16_sdwa s[6:7], v13, s4 src0_sel:BYTE_0 src1_sel:DWORD
	s_mov_b64 s[4:5], 0
                                        ; implicit-def: $sgpr10
	s_and_saveexec_b64 s[8:9], s[6:7]
	s_xor_b64 s[6:7], exec, s[8:9]
	s_cbranch_execnz .LBB40_3429
; %bb.1381:
	s_or_saveexec_b64 s[6:7], s[6:7]
	v_mov_b32_e32 v11, s10
	s_xor_b64 exec, exec, s[6:7]
	s_cbranch_execnz .LBB40_3432
.LBB40_1382:
	s_or_b64 exec, exec, s[6:7]
	s_and_saveexec_b64 s[6:7], s[4:5]
	s_cbranch_execz .LBB40_1384
.LBB40_1383:
	v_and_b32_e32 v11, 7, v13
	v_ffbh_u32_e32 v14, v11
	v_min_u32_e32 v14, 32, v14
	v_lshrrev_b16_e32 v12, 3, v13
	v_subrev_u32_e32 v15, 28, v14
	v_and_b32_e32 v12, 15, v12
	v_lshlrev_b32_e32 v15, v15, v13
	v_sub_u32_e32 v14, 29, v14
	v_and_b32_e32 v15, 7, v15
	v_cmp_eq_u16_e32 vcc, 0, v12
	v_cndmask_b32_e32 v11, v11, v15, vcc
	v_cndmask_b32_e32 v12, v12, v14, vcc
	v_lshlrev_b32_e32 v14, 24, v13
	v_mov_b32_e32 v15, 0x3b800000
	v_lshlrev_b32_e32 v11, 20, v11
	v_and_b32_e32 v14, 0x80000000, v14
	v_lshl_add_u32 v12, v12, 23, v15
	v_or3_b32 v11, v14, v12, v11
.LBB40_1384:
	s_or_b64 exec, exec, s[6:7]
	s_nop 0
	v_mfma_f32_16x16x4f32 a[0:3], v10, v11, a[0:3]
	v_lshrrev_b32_e32 v11, 8, v17
	s_movk_i32 s4, 0x7f
	v_cmp_gt_i16_sdwa s[6:7], v11, s4 src0_sel:BYTE_0 src1_sel:DWORD
	s_mov_b64 s[4:5], 0
                                        ; implicit-def: $sgpr10
	s_and_saveexec_b64 s[8:9], s[6:7]
	s_xor_b64 s[6:7], exec, s[8:9]
	s_cbranch_execnz .LBB40_3433
; %bb.1385:
	s_or_saveexec_b64 s[6:7], s[6:7]
	v_mov_b32_e32 v10, s10
	s_xor_b64 exec, exec, s[6:7]
	s_cbranch_execnz .LBB40_3436
.LBB40_1386:
	s_or_b64 exec, exec, s[6:7]
	s_and_saveexec_b64 s[6:7], s[4:5]
	s_cbranch_execz .LBB40_1388
.LBB40_1387:
	v_bfe_u32 v10, v17, 8, 3
	v_ffbh_u32_e32 v14, v10
	v_min_u32_e32 v14, 32, v14
	v_lshrrev_b16_e32 v12, 3, v11
	v_subrev_u32_e32 v15, 28, v14
	v_and_b32_e32 v12, 15, v12
	v_lshlrev_b32_e32 v11, v15, v11
	v_sub_u32_e32 v14, 29, v14
	v_and_b32_e32 v11, 7, v11
	v_cmp_eq_u16_e32 vcc, 0, v12
	v_cndmask_b32_e32 v10, v10, v11, vcc
	v_cndmask_b32_e32 v11, v12, v14, vcc
	v_lshlrev_b32_e32 v12, 16, v17
	v_mov_b32_e32 v14, 0x3b800000
	v_lshlrev_b32_e32 v10, 20, v10
	v_and_b32_e32 v12, 0x80000000, v12
	v_lshl_add_u32 v11, v11, 23, v14
	v_or3_b32 v10, v12, v11, v10
.LBB40_1388:
	s_or_b64 exec, exec, s[6:7]
	v_lshrrev_b32_e32 v11, 8, v13
	s_movk_i32 s4, 0x7f
	v_cmp_gt_i16_sdwa s[6:7], v11, s4 src0_sel:BYTE_0 src1_sel:DWORD
	s_mov_b64 s[4:5], 0
                                        ; implicit-def: $sgpr10
	s_and_saveexec_b64 s[8:9], s[6:7]
	s_xor_b64 s[6:7], exec, s[8:9]
	s_cbranch_execnz .LBB40_3437
; %bb.1389:
	s_or_saveexec_b64 s[6:7], s[6:7]
	v_mov_b32_e32 v12, s10
	s_xor_b64 exec, exec, s[6:7]
	s_cbranch_execnz .LBB40_3440
.LBB40_1390:
	s_or_b64 exec, exec, s[6:7]
	s_and_saveexec_b64 s[6:7], s[4:5]
	s_cbranch_execz .LBB40_1392
.LBB40_1391:
	v_bfe_u32 v12, v13, 8, 3
	v_ffbh_u32_e32 v15, v12
	v_min_u32_e32 v15, 32, v15
	v_lshrrev_b16_e32 v14, 3, v11
	v_subrev_u32_e32 v16, 28, v15
	v_and_b32_e32 v14, 15, v14
	v_lshlrev_b32_e32 v11, v16, v11
	v_sub_u32_e32 v15, 29, v15
	v_and_b32_e32 v11, 7, v11
	v_cmp_eq_u16_e32 vcc, 0, v14
	v_cndmask_b32_e32 v11, v12, v11, vcc
	v_cndmask_b32_e32 v12, v14, v15, vcc
	v_lshlrev_b32_e32 v14, 16, v13
	v_mov_b32_e32 v15, 0x3b800000
	v_lshlrev_b32_e32 v11, 20, v11
	v_and_b32_e32 v14, 0x80000000, v14
	v_lshl_add_u32 v12, v12, 23, v15
	v_or3_b32 v12, v14, v12, v11
.LBB40_1392:
	s_or_b64 exec, exec, s[6:7]
	s_nop 0
	v_mfma_f32_16x16x4f32 a[0:3], v10, v12, a[0:3]
	s_movk_i32 s4, 0xff
	v_and_b32_sdwa v11, v17, s4 dst_sel:DWORD dst_unused:UNUSED_PAD src0_sel:WORD_1 src1_sel:DWORD
	s_movk_i32 s4, 0x7f
	v_cmp_lt_i16_e32 vcc, s4, v11
	s_mov_b64 s[4:5], 0
                                        ; implicit-def: $sgpr10
	s_and_saveexec_b64 s[6:7], vcc
	s_xor_b64 s[6:7], exec, s[6:7]
	s_cbranch_execnz .LBB40_3441
; %bb.1393:
	s_or_saveexec_b64 s[6:7], s[6:7]
	v_mov_b32_e32 v10, s10
	s_xor_b64 exec, exec, s[6:7]
	s_cbranch_execnz .LBB40_3444
.LBB40_1394:
	s_or_b64 exec, exec, s[6:7]
	s_and_saveexec_b64 s[6:7], s[4:5]
	s_cbranch_execz .LBB40_1396
.LBB40_1395:
	v_bfe_u32 v10, v17, 16, 3
	v_ffbh_u32_e32 v14, v10
	v_min_u32_e32 v14, 32, v14
	v_lshrrev_b32_e32 v11, 19, v17
	v_subrev_u32_e32 v15, 28, v14
	v_and_b32_e32 v11, 15, v11
	v_lshlrev_b32_sdwa v15, v15, v17 dst_sel:DWORD dst_unused:UNUSED_PAD src0_sel:DWORD src1_sel:WORD_1
	v_bfe_u32 v12, v17, 19, 4
	v_sub_u32_e32 v14, 29, v14
	v_and_b32_e32 v15, 7, v15
	v_cmp_eq_u16_e32 vcc, 0, v11
	v_cndmask_b32_e32 v10, v10, v15, vcc
	v_cndmask_b32_e32 v11, v12, v14, vcc
	v_lshlrev_b32_e32 v12, 8, v17
	v_mov_b32_e32 v14, 0x3b800000
	v_lshlrev_b32_e32 v10, 20, v10
	v_and_b32_e32 v12, 0x80000000, v12
	v_lshl_add_u32 v11, v11, 23, v14
	v_or3_b32 v10, v12, v11, v10
.LBB40_1396:
	s_or_b64 exec, exec, s[6:7]
	s_movk_i32 s4, 0xff
	v_and_b32_sdwa v11, v13, s4 dst_sel:DWORD dst_unused:UNUSED_PAD src0_sel:WORD_1 src1_sel:DWORD
	s_movk_i32 s4, 0x7f
	v_cmp_lt_i16_e32 vcc, s4, v11
	s_mov_b64 s[4:5], 0
                                        ; implicit-def: $sgpr10
	s_and_saveexec_b64 s[6:7], vcc
	s_xor_b64 s[6:7], exec, s[6:7]
	s_cbranch_execnz .LBB40_3445
; %bb.1397:
	s_or_saveexec_b64 s[6:7], s[6:7]
	v_mov_b32_e32 v12, s10
	s_xor_b64 exec, exec, s[6:7]
	s_cbranch_execnz .LBB40_3448
.LBB40_1398:
	s_or_b64 exec, exec, s[6:7]
	s_and_saveexec_b64 s[6:7], s[4:5]
	s_cbranch_execz .LBB40_1400
.LBB40_1399:
	v_bfe_u32 v11, v13, 16, 3
	v_ffbh_u32_e32 v15, v11
	v_min_u32_e32 v15, 32, v15
	v_lshrrev_b32_e32 v12, 19, v13
	v_subrev_u32_e32 v16, 28, v15
	v_and_b32_e32 v12, 15, v12
	v_lshlrev_b32_sdwa v16, v16, v13 dst_sel:DWORD dst_unused:UNUSED_PAD src0_sel:DWORD src1_sel:WORD_1
	v_bfe_u32 v14, v13, 19, 4
	v_sub_u32_e32 v15, 29, v15
	v_and_b32_e32 v16, 7, v16
	v_cmp_eq_u16_e32 vcc, 0, v12
	v_cndmask_b32_e32 v11, v11, v16, vcc
	v_cndmask_b32_e32 v12, v14, v15, vcc
	v_lshlrev_b32_e32 v14, 8, v13
	v_mov_b32_e32 v15, 0x3b800000
	v_lshlrev_b32_e32 v11, 20, v11
	v_and_b32_e32 v14, 0x80000000, v14
	v_lshl_add_u32 v12, v12, 23, v15
	v_or3_b32 v12, v14, v12, v11
.LBB40_1400:
	s_or_b64 exec, exec, s[6:7]
	s_nop 0
	v_mfma_f32_16x16x4f32 a[0:3], v10, v12, a[0:3]
	s_movk_i32 s4, 0x7f
	v_cmp_gt_i16_sdwa s[6:7], v17, s4 src0_sel:BYTE_3 src1_sel:DWORD
	s_mov_b64 s[4:5], 0
                                        ; implicit-def: $sgpr10
	s_and_saveexec_b64 s[8:9], s[6:7]
	s_xor_b64 s[6:7], exec, s[8:9]
	s_cbranch_execnz .LBB40_3449
; %bb.1401:
	s_or_saveexec_b64 s[6:7], s[6:7]
	v_mov_b32_e32 v10, s10
	s_xor_b64 exec, exec, s[6:7]
	s_cbranch_execnz .LBB40_3452
.LBB40_1402:
	s_or_b64 exec, exec, s[6:7]
	s_and_saveexec_b64 s[6:7], s[4:5]
	s_cbranch_execz .LBB40_1404
.LBB40_1403:
	v_bfe_u32 v10, v17, 24, 3
	v_ffbh_u32_e32 v15, v10
	v_min_u32_e32 v15, 32, v15
	v_lshrrev_b32_e32 v12, 27, v17
	v_subrev_u32_e32 v16, 28, v15
	v_and_b32_e32 v12, 15, v12
	v_lshlrev_b32_sdwa v16, v16, v17 dst_sel:DWORD dst_unused:UNUSED_PAD src0_sel:DWORD src1_sel:BYTE_3
	v_bfe_u32 v14, v17, 27, 4
	v_sub_u32_e32 v15, 29, v15
	v_and_b32_e32 v16, 7, v16
	v_cmp_eq_u16_e32 vcc, 0, v12
	v_cndmask_b32_e32 v10, v10, v16, vcc
	v_cndmask_b32_e32 v12, v14, v15, vcc
	v_mov_b32_e32 v14, 0x3b800000
	v_and_b32_e32 v11, 0x80000000, v17
	v_lshlrev_b32_e32 v10, 20, v10
	v_lshl_add_u32 v12, v12, 23, v14
	v_or3_b32 v10, v11, v12, v10
.LBB40_1404:
	s_or_b64 exec, exec, s[6:7]
	s_movk_i32 s4, 0x7f
	v_cmp_gt_i16_sdwa s[6:7], v13, s4 src0_sel:BYTE_3 src1_sel:DWORD
	s_mov_b64 s[4:5], 0
                                        ; implicit-def: $sgpr10
	s_and_saveexec_b64 s[8:9], s[6:7]
	s_xor_b64 s[6:7], exec, s[8:9]
	s_cbranch_execnz .LBB40_3453
; %bb.1405:
	s_or_saveexec_b64 s[6:7], s[6:7]
	v_mov_b32_e32 v11, s10
	s_xor_b64 exec, exec, s[6:7]
	s_cbranch_execnz .LBB40_3456
.LBB40_1406:
	s_or_b64 exec, exec, s[6:7]
	s_and_saveexec_b64 s[6:7], s[4:5]
	s_cbranch_execz .LBB40_1408
.LBB40_1407:
	v_bfe_u32 v11, v13, 24, 3
	v_ffbh_u32_e32 v16, v11
	v_min_u32_e32 v16, 32, v16
	v_lshrrev_b32_e32 v14, 27, v13
	v_subrev_u32_e32 v17, 28, v16
	v_and_b32_e32 v12, 0x80000000, v13
	v_and_b32_e32 v14, 15, v14
	v_bfe_u32 v15, v13, 27, 4
	v_lshlrev_b32_sdwa v13, v17, v13 dst_sel:DWORD dst_unused:UNUSED_PAD src0_sel:DWORD src1_sel:BYTE_3
	v_sub_u32_e32 v16, 29, v16
	v_and_b32_e32 v13, 7, v13
	v_cmp_eq_u16_e32 vcc, 0, v14
	v_cndmask_b32_e32 v11, v11, v13, vcc
	v_cndmask_b32_e32 v13, v15, v16, vcc
	v_mov_b32_e32 v14, 0x3b800000
	v_lshlrev_b32_e32 v11, 20, v11
	v_lshl_add_u32 v13, v13, 23, v14
	v_or3_b32 v11, v12, v13, v11
.LBB40_1408:
	s_or_b64 exec, exec, s[6:7]
	s_nop 0
	v_mfma_f32_16x16x4f32 a[0:3], v10, v11, a[0:3]
	s_movk_i32 s4, 0x7f
	v_cmp_gt_i16_sdwa s[6:7], v6, s4 src0_sel:BYTE_0 src1_sel:DWORD
	s_mov_b64 s[4:5], 0
                                        ; implicit-def: $sgpr10
	s_and_saveexec_b64 s[8:9], s[6:7]
	s_xor_b64 s[6:7], exec, s[8:9]
	s_cbranch_execnz .LBB40_3457
; %bb.1409:
	s_or_saveexec_b64 s[6:7], s[6:7]
	v_mov_b32_e32 v10, s10
	s_xor_b64 exec, exec, s[6:7]
	s_cbranch_execnz .LBB40_3460
.LBB40_1410:
	s_or_b64 exec, exec, s[6:7]
	s_and_saveexec_b64 s[6:7], s[4:5]
	s_cbranch_execz .LBB40_1412
.LBB40_1411:
	v_and_b32_e32 v10, 7, v6
	v_ffbh_u32_e32 v12, v10
	v_min_u32_e32 v12, 32, v12
	v_lshrrev_b16_e32 v11, 3, v6
	v_subrev_u32_e32 v13, 28, v12
	v_and_b32_e32 v11, 15, v11
	v_lshlrev_b32_e32 v13, v13, v6
	v_sub_u32_e32 v12, 29, v12
	v_and_b32_e32 v13, 7, v13
	v_cmp_eq_u16_e32 vcc, 0, v11
	v_cndmask_b32_e32 v10, v10, v13, vcc
	v_cndmask_b32_e32 v11, v11, v12, vcc
	v_lshlrev_b32_e32 v12, 24, v6
	v_mov_b32_e32 v13, 0x3b800000
	v_lshlrev_b32_e32 v10, 20, v10
	v_and_b32_e32 v12, 0x80000000, v12
	v_lshl_add_u32 v11, v11, 23, v13
	v_or3_b32 v10, v12, v11, v10
.LBB40_1412:
	s_or_b64 exec, exec, s[6:7]
	s_movk_i32 s4, 0x7f
	v_cmp_gt_i16_sdwa s[6:7], v2, s4 src0_sel:BYTE_0 src1_sel:DWORD
	s_mov_b64 s[4:5], 0
                                        ; implicit-def: $sgpr10
	s_and_saveexec_b64 s[8:9], s[6:7]
	s_xor_b64 s[6:7], exec, s[8:9]
	s_cbranch_execnz .LBB40_3461
; %bb.1413:
	s_or_saveexec_b64 s[6:7], s[6:7]
	v_mov_b32_e32 v11, s10
	s_xor_b64 exec, exec, s[6:7]
	s_cbranch_execnz .LBB40_3464
.LBB40_1414:
	s_or_b64 exec, exec, s[6:7]
	s_and_saveexec_b64 s[6:7], s[4:5]
	s_cbranch_execz .LBB40_1416
.LBB40_1415:
	v_and_b32_e32 v11, 7, v2
	v_ffbh_u32_e32 v13, v11
	v_min_u32_e32 v13, 32, v13
	v_lshrrev_b16_e32 v12, 3, v2
	v_subrev_u32_e32 v14, 28, v13
	v_and_b32_e32 v12, 15, v12
	v_lshlrev_b32_e32 v14, v14, v2
	v_sub_u32_e32 v13, 29, v13
	v_and_b32_e32 v14, 7, v14
	v_cmp_eq_u16_e32 vcc, 0, v12
	v_cndmask_b32_e32 v11, v11, v14, vcc
	v_cndmask_b32_e32 v12, v12, v13, vcc
	v_lshlrev_b32_e32 v13, 24, v2
	v_mov_b32_e32 v14, 0x3b800000
	v_lshlrev_b32_e32 v11, 20, v11
	v_and_b32_e32 v13, 0x80000000, v13
	v_lshl_add_u32 v12, v12, 23, v14
	v_or3_b32 v11, v13, v12, v11
.LBB40_1416:
	s_or_b64 exec, exec, s[6:7]
	s_nop 0
	v_mfma_f32_16x16x4f32 a[0:3], v10, v11, a[0:3]
	v_lshrrev_b32_e32 v11, 8, v6
	s_movk_i32 s4, 0x7f
	v_cmp_gt_i16_sdwa s[6:7], v11, s4 src0_sel:BYTE_0 src1_sel:DWORD
	s_mov_b64 s[4:5], 0
                                        ; implicit-def: $sgpr10
	s_and_saveexec_b64 s[8:9], s[6:7]
	s_xor_b64 s[6:7], exec, s[8:9]
	s_cbranch_execnz .LBB40_3465
; %bb.1417:
	s_or_saveexec_b64 s[6:7], s[6:7]
	v_mov_b32_e32 v10, s10
	s_xor_b64 exec, exec, s[6:7]
	s_cbranch_execnz .LBB40_3468
.LBB40_1418:
	s_or_b64 exec, exec, s[6:7]
	s_and_saveexec_b64 s[6:7], s[4:5]
	s_cbranch_execz .LBB40_1420
.LBB40_1419:
	v_bfe_u32 v10, v6, 8, 3
	v_ffbh_u32_e32 v13, v10
	v_min_u32_e32 v13, 32, v13
	v_lshrrev_b16_e32 v12, 3, v11
	v_subrev_u32_e32 v14, 28, v13
	v_and_b32_e32 v12, 15, v12
	v_lshlrev_b32_e32 v11, v14, v11
	v_sub_u32_e32 v13, 29, v13
	v_and_b32_e32 v11, 7, v11
	v_cmp_eq_u16_e32 vcc, 0, v12
	v_cndmask_b32_e32 v10, v10, v11, vcc
	v_cndmask_b32_e32 v11, v12, v13, vcc
	v_lshlrev_b32_e32 v12, 16, v6
	v_mov_b32_e32 v13, 0x3b800000
	v_lshlrev_b32_e32 v10, 20, v10
	v_and_b32_e32 v12, 0x80000000, v12
	v_lshl_add_u32 v11, v11, 23, v13
	v_or3_b32 v10, v12, v11, v10
.LBB40_1420:
	s_or_b64 exec, exec, s[6:7]
	v_lshrrev_b32_e32 v11, 8, v2
	s_movk_i32 s4, 0x7f
	v_cmp_gt_i16_sdwa s[6:7], v11, s4 src0_sel:BYTE_0 src1_sel:DWORD
	s_mov_b64 s[4:5], 0
                                        ; implicit-def: $sgpr10
	s_and_saveexec_b64 s[8:9], s[6:7]
	s_xor_b64 s[6:7], exec, s[8:9]
	s_cbranch_execnz .LBB40_3469
; %bb.1421:
	s_or_saveexec_b64 s[6:7], s[6:7]
	v_mov_b32_e32 v12, s10
	s_xor_b64 exec, exec, s[6:7]
	s_cbranch_execnz .LBB40_3472
.LBB40_1422:
	s_or_b64 exec, exec, s[6:7]
	s_and_saveexec_b64 s[6:7], s[4:5]
	s_cbranch_execz .LBB40_1424
.LBB40_1423:
	v_bfe_u32 v12, v2, 8, 3
	v_ffbh_u32_e32 v14, v12
	v_min_u32_e32 v14, 32, v14
	v_lshrrev_b16_e32 v13, 3, v11
	v_subrev_u32_e32 v15, 28, v14
	v_and_b32_e32 v13, 15, v13
	v_lshlrev_b32_e32 v11, v15, v11
	v_sub_u32_e32 v14, 29, v14
	v_and_b32_e32 v11, 7, v11
	v_cmp_eq_u16_e32 vcc, 0, v13
	v_cndmask_b32_e32 v11, v12, v11, vcc
	v_cndmask_b32_e32 v12, v13, v14, vcc
	v_lshlrev_b32_e32 v13, 16, v2
	v_mov_b32_e32 v14, 0x3b800000
	v_lshlrev_b32_e32 v11, 20, v11
	v_and_b32_e32 v13, 0x80000000, v13
	v_lshl_add_u32 v12, v12, 23, v14
	v_or3_b32 v12, v13, v12, v11
.LBB40_1424:
	s_or_b64 exec, exec, s[6:7]
	s_nop 0
	v_mfma_f32_16x16x4f32 a[0:3], v10, v12, a[0:3]
	s_movk_i32 s4, 0xff
	v_and_b32_sdwa v11, v6, s4 dst_sel:DWORD dst_unused:UNUSED_PAD src0_sel:WORD_1 src1_sel:DWORD
	s_movk_i32 s4, 0x7f
	v_cmp_lt_i16_e32 vcc, s4, v11
	s_mov_b64 s[4:5], 0
                                        ; implicit-def: $sgpr10
	s_and_saveexec_b64 s[6:7], vcc
	s_xor_b64 s[6:7], exec, s[6:7]
	s_cbranch_execnz .LBB40_3473
; %bb.1425:
	s_or_saveexec_b64 s[6:7], s[6:7]
	v_mov_b32_e32 v10, s10
	s_xor_b64 exec, exec, s[6:7]
	s_cbranch_execnz .LBB40_3476
.LBB40_1426:
	s_or_b64 exec, exec, s[6:7]
	s_and_saveexec_b64 s[6:7], s[4:5]
	s_cbranch_execz .LBB40_1428
.LBB40_1427:
	v_bfe_u32 v10, v6, 16, 3
	v_ffbh_u32_e32 v13, v10
	v_min_u32_e32 v13, 32, v13
	v_lshrrev_b32_e32 v11, 19, v6
	v_subrev_u32_e32 v14, 28, v13
	v_and_b32_e32 v11, 15, v11
	v_lshlrev_b32_sdwa v14, v14, v6 dst_sel:DWORD dst_unused:UNUSED_PAD src0_sel:DWORD src1_sel:WORD_1
	v_bfe_u32 v12, v6, 19, 4
	v_sub_u32_e32 v13, 29, v13
	v_and_b32_e32 v14, 7, v14
	v_cmp_eq_u16_e32 vcc, 0, v11
	v_cndmask_b32_e32 v10, v10, v14, vcc
	v_cndmask_b32_e32 v11, v12, v13, vcc
	v_lshlrev_b32_e32 v12, 8, v6
	v_mov_b32_e32 v13, 0x3b800000
	v_lshlrev_b32_e32 v10, 20, v10
	v_and_b32_e32 v12, 0x80000000, v12
	v_lshl_add_u32 v11, v11, 23, v13
	v_or3_b32 v10, v12, v11, v10
.LBB40_1428:
	s_or_b64 exec, exec, s[6:7]
	s_movk_i32 s4, 0xff
	v_and_b32_sdwa v11, v2, s4 dst_sel:DWORD dst_unused:UNUSED_PAD src0_sel:WORD_1 src1_sel:DWORD
	s_movk_i32 s4, 0x7f
	v_cmp_lt_i16_e32 vcc, s4, v11
	s_mov_b64 s[4:5], 0
                                        ; implicit-def: $sgpr10
	s_and_saveexec_b64 s[6:7], vcc
	s_xor_b64 s[6:7], exec, s[6:7]
	s_cbranch_execnz .LBB40_3477
; %bb.1429:
	s_or_saveexec_b64 s[6:7], s[6:7]
	v_mov_b32_e32 v12, s10
	s_xor_b64 exec, exec, s[6:7]
	s_cbranch_execnz .LBB40_3480
.LBB40_1430:
	s_or_b64 exec, exec, s[6:7]
	s_and_saveexec_b64 s[6:7], s[4:5]
	s_cbranch_execz .LBB40_1432
.LBB40_1431:
	v_bfe_u32 v11, v2, 16, 3
	v_ffbh_u32_e32 v14, v11
	v_min_u32_e32 v14, 32, v14
	v_lshrrev_b32_e32 v12, 19, v2
	v_subrev_u32_e32 v15, 28, v14
	v_and_b32_e32 v12, 15, v12
	v_lshlrev_b32_sdwa v15, v15, v2 dst_sel:DWORD dst_unused:UNUSED_PAD src0_sel:DWORD src1_sel:WORD_1
	v_bfe_u32 v13, v2, 19, 4
	v_sub_u32_e32 v14, 29, v14
	v_and_b32_e32 v15, 7, v15
	v_cmp_eq_u16_e32 vcc, 0, v12
	v_cndmask_b32_e32 v11, v11, v15, vcc
	v_cndmask_b32_e32 v12, v13, v14, vcc
	v_lshlrev_b32_e32 v13, 8, v2
	v_mov_b32_e32 v14, 0x3b800000
	v_lshlrev_b32_e32 v11, 20, v11
	v_and_b32_e32 v13, 0x80000000, v13
	v_lshl_add_u32 v12, v12, 23, v14
	v_or3_b32 v12, v13, v12, v11
.LBB40_1432:
	s_or_b64 exec, exec, s[6:7]
	s_nop 0
	v_mfma_f32_16x16x4f32 a[0:3], v10, v12, a[0:3]
	s_movk_i32 s4, 0x7f
	v_cmp_gt_i16_sdwa s[6:7], v6, s4 src0_sel:BYTE_3 src1_sel:DWORD
	s_mov_b64 s[4:5], 0
                                        ; implicit-def: $sgpr10
	s_and_saveexec_b64 s[8:9], s[6:7]
	s_xor_b64 s[6:7], exec, s[8:9]
	s_cbranch_execnz .LBB40_3481
; %bb.1433:
	s_or_saveexec_b64 s[6:7], s[6:7]
	v_mov_b32_e32 v10, s10
	s_xor_b64 exec, exec, s[6:7]
	s_cbranch_execnz .LBB40_3484
.LBB40_1434:
	s_or_b64 exec, exec, s[6:7]
	s_and_saveexec_b64 s[6:7], s[4:5]
	s_cbranch_execz .LBB40_1436
.LBB40_1435:
	v_bfe_u32 v10, v6, 24, 3
	v_ffbh_u32_e32 v14, v10
	v_min_u32_e32 v14, 32, v14
	v_lshrrev_b32_e32 v12, 27, v6
	v_subrev_u32_e32 v15, 28, v14
	v_and_b32_e32 v11, 0x80000000, v6
	v_and_b32_e32 v12, 15, v12
	v_bfe_u32 v13, v6, 27, 4
	v_lshlrev_b32_sdwa v6, v15, v6 dst_sel:DWORD dst_unused:UNUSED_PAD src0_sel:DWORD src1_sel:BYTE_3
	v_sub_u32_e32 v14, 29, v14
	v_and_b32_e32 v6, 7, v6
	v_cmp_eq_u16_e32 vcc, 0, v12
	v_cndmask_b32_e32 v6, v10, v6, vcc
	v_cndmask_b32_e32 v10, v13, v14, vcc
	v_mov_b32_e32 v12, 0x3b800000
	v_lshlrev_b32_e32 v6, 20, v6
	v_lshl_add_u32 v10, v10, 23, v12
	v_or3_b32 v10, v11, v10, v6
.LBB40_1436:
	s_or_b64 exec, exec, s[6:7]
	s_movk_i32 s4, 0x7f
	v_cmp_gt_i16_sdwa s[6:7], v2, s4 src0_sel:BYTE_3 src1_sel:DWORD
	s_mov_b64 s[4:5], 0
                                        ; implicit-def: $sgpr10
	s_and_saveexec_b64 s[8:9], s[6:7]
	s_xor_b64 s[6:7], exec, s[8:9]
	s_cbranch_execnz .LBB40_3485
; %bb.1437:
	s_or_saveexec_b64 s[6:7], s[6:7]
	v_mov_b32_e32 v6, s10
	s_xor_b64 exec, exec, s[6:7]
	s_cbranch_execnz .LBB40_3488
.LBB40_1438:
	s_or_b64 exec, exec, s[6:7]
	s_and_saveexec_b64 s[6:7], s[4:5]
	s_cbranch_execz .LBB40_1440
.LBB40_1439:
	v_bfe_u32 v6, v2, 24, 3
	v_ffbh_u32_e32 v14, v6
	v_min_u32_e32 v14, 32, v14
	v_lshrrev_b32_e32 v12, 27, v2
	v_subrev_u32_e32 v15, 28, v14
	v_and_b32_e32 v11, 0x80000000, v2
	v_and_b32_e32 v12, 15, v12
	v_bfe_u32 v13, v2, 27, 4
	v_lshlrev_b32_sdwa v2, v15, v2 dst_sel:DWORD dst_unused:UNUSED_PAD src0_sel:DWORD src1_sel:BYTE_3
	v_sub_u32_e32 v14, 29, v14
	v_and_b32_e32 v2, 7, v2
	v_cmp_eq_u16_e32 vcc, 0, v12
	v_cndmask_b32_e32 v2, v6, v2, vcc
	v_cndmask_b32_e32 v6, v13, v14, vcc
	v_mov_b32_e32 v12, 0x3b800000
	v_lshlrev_b32_e32 v2, 20, v2
	v_lshl_add_u32 v6, v6, 23, v12
	v_or3_b32 v6, v11, v6, v2
.LBB40_1440:
	s_or_b64 exec, exec, s[6:7]
	s_nop 0
	v_mfma_f32_16x16x4f32 a[0:3], v10, v6, a[0:3]
	s_movk_i32 s4, 0x7f
	v_cmp_gt_i16_sdwa s[6:7], v7, s4 src0_sel:BYTE_0 src1_sel:DWORD
	s_mov_b64 s[4:5], 0
                                        ; implicit-def: $sgpr10
	s_and_saveexec_b64 s[8:9], s[6:7]
	s_xor_b64 s[6:7], exec, s[8:9]
	s_cbranch_execnz .LBB40_3489
; %bb.1441:
	s_or_saveexec_b64 s[6:7], s[6:7]
	v_mov_b32_e32 v2, s10
	s_xor_b64 exec, exec, s[6:7]
	s_cbranch_execnz .LBB40_3492
.LBB40_1442:
	s_or_b64 exec, exec, s[6:7]
	s_and_saveexec_b64 s[6:7], s[4:5]
	s_cbranch_execz .LBB40_1444
.LBB40_1443:
	v_and_b32_e32 v2, 7, v7
	v_ffbh_u32_e32 v10, v2
	v_min_u32_e32 v10, 32, v10
	v_lshrrev_b16_e32 v6, 3, v7
	v_subrev_u32_e32 v11, 28, v10
	v_and_b32_e32 v6, 15, v6
	v_lshlrev_b32_e32 v11, v11, v7
	v_sub_u32_e32 v10, 29, v10
	v_and_b32_e32 v11, 7, v11
	v_cmp_eq_u16_e32 vcc, 0, v6
	v_cndmask_b32_e32 v2, v2, v11, vcc
	v_cndmask_b32_e32 v6, v6, v10, vcc
	v_lshlrev_b32_e32 v10, 24, v7
	v_mov_b32_e32 v11, 0x3b800000
	v_lshlrev_b32_e32 v2, 20, v2
	v_and_b32_e32 v10, 0x80000000, v10
	v_lshl_add_u32 v6, v6, 23, v11
	v_or3_b32 v2, v10, v6, v2
.LBB40_1444:
	s_or_b64 exec, exec, s[6:7]
	s_movk_i32 s4, 0x7f
	v_cmp_gt_i16_sdwa s[6:7], v3, s4 src0_sel:BYTE_0 src1_sel:DWORD
	s_mov_b64 s[4:5], 0
                                        ; implicit-def: $sgpr10
	s_and_saveexec_b64 s[8:9], s[6:7]
	s_xor_b64 s[6:7], exec, s[8:9]
	s_cbranch_execnz .LBB40_3493
; %bb.1445:
	s_or_saveexec_b64 s[6:7], s[6:7]
	v_mov_b32_e32 v6, s10
	s_xor_b64 exec, exec, s[6:7]
	s_cbranch_execnz .LBB40_3496
.LBB40_1446:
	s_or_b64 exec, exec, s[6:7]
	s_and_saveexec_b64 s[6:7], s[4:5]
	s_cbranch_execz .LBB40_1448
.LBB40_1447:
	v_and_b32_e32 v6, 7, v3
	v_ffbh_u32_e32 v11, v6
	v_min_u32_e32 v11, 32, v11
	v_lshrrev_b16_e32 v10, 3, v3
	v_subrev_u32_e32 v12, 28, v11
	v_and_b32_e32 v10, 15, v10
	v_lshlrev_b32_e32 v12, v12, v3
	v_sub_u32_e32 v11, 29, v11
	v_and_b32_e32 v12, 7, v12
	v_cmp_eq_u16_e32 vcc, 0, v10
	v_cndmask_b32_e32 v6, v6, v12, vcc
	v_cndmask_b32_e32 v10, v10, v11, vcc
	v_lshlrev_b32_e32 v11, 24, v3
	v_mov_b32_e32 v12, 0x3b800000
	v_lshlrev_b32_e32 v6, 20, v6
	v_and_b32_e32 v11, 0x80000000, v11
	v_lshl_add_u32 v10, v10, 23, v12
	v_or3_b32 v6, v11, v10, v6
.LBB40_1448:
	s_or_b64 exec, exec, s[6:7]
	s_nop 0
	v_mfma_f32_16x16x4f32 a[0:3], v2, v6, a[0:3]
	v_lshrrev_b32_e32 v6, 8, v7
	s_movk_i32 s4, 0x7f
	v_cmp_gt_i16_sdwa s[6:7], v6, s4 src0_sel:BYTE_0 src1_sel:DWORD
	s_mov_b64 s[4:5], 0
                                        ; implicit-def: $sgpr10
	s_and_saveexec_b64 s[8:9], s[6:7]
	s_xor_b64 s[6:7], exec, s[8:9]
	s_cbranch_execnz .LBB40_3497
; %bb.1449:
	s_or_saveexec_b64 s[6:7], s[6:7]
	v_mov_b32_e32 v2, s10
	s_xor_b64 exec, exec, s[6:7]
	s_cbranch_execnz .LBB40_3500
.LBB40_1450:
	s_or_b64 exec, exec, s[6:7]
	s_and_saveexec_b64 s[6:7], s[4:5]
	s_cbranch_execz .LBB40_1452
.LBB40_1451:
	v_bfe_u32 v2, v7, 8, 3
	v_ffbh_u32_e32 v11, v2
	v_min_u32_e32 v11, 32, v11
	v_lshrrev_b16_e32 v10, 3, v6
	v_subrev_u32_e32 v12, 28, v11
	v_and_b32_e32 v10, 15, v10
	v_lshlrev_b32_e32 v6, v12, v6
	v_sub_u32_e32 v11, 29, v11
	v_and_b32_e32 v6, 7, v6
	v_cmp_eq_u16_e32 vcc, 0, v10
	v_cndmask_b32_e32 v2, v2, v6, vcc
	v_cndmask_b32_e32 v6, v10, v11, vcc
	v_lshlrev_b32_e32 v10, 16, v7
	v_mov_b32_e32 v11, 0x3b800000
	v_lshlrev_b32_e32 v2, 20, v2
	v_and_b32_e32 v10, 0x80000000, v10
	v_lshl_add_u32 v6, v6, 23, v11
	v_or3_b32 v2, v10, v6, v2
.LBB40_1452:
	s_or_b64 exec, exec, s[6:7]
	v_lshrrev_b32_e32 v6, 8, v3
	s_movk_i32 s4, 0x7f
	v_cmp_gt_i16_sdwa s[6:7], v6, s4 src0_sel:BYTE_0 src1_sel:DWORD
	s_mov_b64 s[4:5], 0
                                        ; implicit-def: $sgpr10
	s_and_saveexec_b64 s[8:9], s[6:7]
	s_xor_b64 s[6:7], exec, s[8:9]
	s_cbranch_execnz .LBB40_3501
; %bb.1453:
	s_or_saveexec_b64 s[6:7], s[6:7]
	v_mov_b32_e32 v10, s10
	s_xor_b64 exec, exec, s[6:7]
	s_cbranch_execnz .LBB40_3504
.LBB40_1454:
	s_or_b64 exec, exec, s[6:7]
	s_and_saveexec_b64 s[6:7], s[4:5]
	s_cbranch_execz .LBB40_1456
.LBB40_1455:
	v_bfe_u32 v10, v3, 8, 3
	v_ffbh_u32_e32 v12, v10
	v_min_u32_e32 v12, 32, v12
	v_lshrrev_b16_e32 v11, 3, v6
	v_subrev_u32_e32 v13, 28, v12
	v_and_b32_e32 v11, 15, v11
	v_lshlrev_b32_e32 v6, v13, v6
	v_sub_u32_e32 v12, 29, v12
	v_and_b32_e32 v6, 7, v6
	v_cmp_eq_u16_e32 vcc, 0, v11
	v_cndmask_b32_e32 v6, v10, v6, vcc
	v_cndmask_b32_e32 v10, v11, v12, vcc
	v_lshlrev_b32_e32 v11, 16, v3
	v_mov_b32_e32 v12, 0x3b800000
	v_lshlrev_b32_e32 v6, 20, v6
	v_and_b32_e32 v11, 0x80000000, v11
	v_lshl_add_u32 v10, v10, 23, v12
	v_or3_b32 v10, v11, v10, v6
.LBB40_1456:
	s_or_b64 exec, exec, s[6:7]
	s_nop 0
	v_mfma_f32_16x16x4f32 a[0:3], v2, v10, a[0:3]
	s_movk_i32 s4, 0xff
	v_and_b32_sdwa v6, v7, s4 dst_sel:DWORD dst_unused:UNUSED_PAD src0_sel:WORD_1 src1_sel:DWORD
	s_movk_i32 s4, 0x7f
	v_cmp_lt_i16_e32 vcc, s4, v6
	s_mov_b64 s[4:5], 0
                                        ; implicit-def: $sgpr10
	s_and_saveexec_b64 s[6:7], vcc
	s_xor_b64 s[6:7], exec, s[6:7]
	s_cbranch_execnz .LBB40_3505
; %bb.1457:
	s_or_saveexec_b64 s[6:7], s[6:7]
	v_mov_b32_e32 v2, s10
	s_xor_b64 exec, exec, s[6:7]
	s_cbranch_execnz .LBB40_3508
.LBB40_1458:
	s_or_b64 exec, exec, s[6:7]
	s_and_saveexec_b64 s[6:7], s[4:5]
	s_cbranch_execz .LBB40_1460
.LBB40_1459:
	v_bfe_u32 v2, v7, 16, 3
	v_ffbh_u32_e32 v11, v2
	v_min_u32_e32 v11, 32, v11
	v_lshrrev_b32_e32 v6, 19, v7
	v_subrev_u32_e32 v12, 28, v11
	v_and_b32_e32 v6, 15, v6
	v_lshlrev_b32_sdwa v12, v12, v7 dst_sel:DWORD dst_unused:UNUSED_PAD src0_sel:DWORD src1_sel:WORD_1
	v_bfe_u32 v10, v7, 19, 4
	v_sub_u32_e32 v11, 29, v11
	v_and_b32_e32 v12, 7, v12
	v_cmp_eq_u16_e32 vcc, 0, v6
	v_cndmask_b32_e32 v2, v2, v12, vcc
	v_cndmask_b32_e32 v6, v10, v11, vcc
	v_lshlrev_b32_e32 v10, 8, v7
	v_mov_b32_e32 v11, 0x3b800000
	v_lshlrev_b32_e32 v2, 20, v2
	v_and_b32_e32 v10, 0x80000000, v10
	v_lshl_add_u32 v6, v6, 23, v11
	v_or3_b32 v2, v10, v6, v2
.LBB40_1460:
	s_or_b64 exec, exec, s[6:7]
	s_movk_i32 s4, 0xff
	v_and_b32_sdwa v6, v3, s4 dst_sel:DWORD dst_unused:UNUSED_PAD src0_sel:WORD_1 src1_sel:DWORD
	s_movk_i32 s4, 0x7f
	v_cmp_lt_i16_e32 vcc, s4, v6
	s_mov_b64 s[4:5], 0
                                        ; implicit-def: $sgpr10
	s_and_saveexec_b64 s[6:7], vcc
	s_xor_b64 s[6:7], exec, s[6:7]
	s_cbranch_execnz .LBB40_3509
; %bb.1461:
	s_or_saveexec_b64 s[6:7], s[6:7]
	v_mov_b32_e32 v10, s10
	s_xor_b64 exec, exec, s[6:7]
	s_cbranch_execnz .LBB40_3512
.LBB40_1462:
	s_or_b64 exec, exec, s[6:7]
	s_and_saveexec_b64 s[6:7], s[4:5]
	s_cbranch_execz .LBB40_1464
.LBB40_1463:
	v_bfe_u32 v6, v3, 16, 3
	v_ffbh_u32_e32 v12, v6
	v_min_u32_e32 v12, 32, v12
	v_lshrrev_b32_e32 v10, 19, v3
	v_subrev_u32_e32 v13, 28, v12
	v_and_b32_e32 v10, 15, v10
	v_lshlrev_b32_sdwa v13, v13, v3 dst_sel:DWORD dst_unused:UNUSED_PAD src0_sel:DWORD src1_sel:WORD_1
	v_bfe_u32 v11, v3, 19, 4
	v_sub_u32_e32 v12, 29, v12
	v_and_b32_e32 v13, 7, v13
	v_cmp_eq_u16_e32 vcc, 0, v10
	v_cndmask_b32_e32 v6, v6, v13, vcc
	v_cndmask_b32_e32 v10, v11, v12, vcc
	v_lshlrev_b32_e32 v11, 8, v3
	v_mov_b32_e32 v12, 0x3b800000
	v_lshlrev_b32_e32 v6, 20, v6
	v_and_b32_e32 v11, 0x80000000, v11
	v_lshl_add_u32 v10, v10, 23, v12
	v_or3_b32 v10, v11, v10, v6
.LBB40_1464:
	s_or_b64 exec, exec, s[6:7]
	s_nop 0
	v_mfma_f32_16x16x4f32 a[0:3], v2, v10, a[0:3]
	s_movk_i32 s4, 0x7f
	v_cmp_gt_i16_sdwa s[6:7], v7, s4 src0_sel:BYTE_3 src1_sel:DWORD
	s_mov_b64 s[4:5], 0
                                        ; implicit-def: $sgpr10
	s_and_saveexec_b64 s[8:9], s[6:7]
	s_xor_b64 s[6:7], exec, s[8:9]
	s_cbranch_execnz .LBB40_3513
; %bb.1465:
	s_or_saveexec_b64 s[6:7], s[6:7]
	v_mov_b32_e32 v2, s10
	s_xor_b64 exec, exec, s[6:7]
	s_cbranch_execnz .LBB40_3516
.LBB40_1466:
	s_or_b64 exec, exec, s[6:7]
	s_and_saveexec_b64 s[6:7], s[4:5]
	s_cbranch_execz .LBB40_1468
.LBB40_1467:
	v_bfe_u32 v2, v7, 24, 3
	v_ffbh_u32_e32 v12, v2
	v_min_u32_e32 v12, 32, v12
	v_lshrrev_b32_e32 v10, 27, v7
	v_subrev_u32_e32 v13, 28, v12
	v_and_b32_e32 v6, 0x80000000, v7
	v_and_b32_e32 v10, 15, v10
	v_bfe_u32 v11, v7, 27, 4
	v_lshlrev_b32_sdwa v7, v13, v7 dst_sel:DWORD dst_unused:UNUSED_PAD src0_sel:DWORD src1_sel:BYTE_3
	v_sub_u32_e32 v12, 29, v12
	v_and_b32_e32 v7, 7, v7
	v_cmp_eq_u16_e32 vcc, 0, v10
	v_cndmask_b32_e32 v2, v2, v7, vcc
	v_cndmask_b32_e32 v7, v11, v12, vcc
	v_mov_b32_e32 v10, 0x3b800000
	v_lshlrev_b32_e32 v2, 20, v2
	v_lshl_add_u32 v7, v7, 23, v10
	v_or3_b32 v2, v6, v7, v2
.LBB40_1468:
	s_or_b64 exec, exec, s[6:7]
	s_movk_i32 s4, 0x7f
	v_cmp_gt_i16_sdwa s[6:7], v3, s4 src0_sel:BYTE_3 src1_sel:DWORD
	s_mov_b64 s[4:5], 0
                                        ; implicit-def: $sgpr10
	s_and_saveexec_b64 s[8:9], s[6:7]
	s_xor_b64 s[6:7], exec, s[8:9]
	s_cbranch_execnz .LBB40_3517
; %bb.1469:
	s_or_saveexec_b64 s[6:7], s[6:7]
	v_mov_b32_e32 v6, s10
	s_xor_b64 exec, exec, s[6:7]
	s_cbranch_execnz .LBB40_3520
.LBB40_1470:
	s_or_b64 exec, exec, s[6:7]
	s_and_saveexec_b64 s[6:7], s[4:5]
	s_cbranch_execz .LBB40_1472
.LBB40_1471:
	v_bfe_u32 v6, v3, 24, 3
	v_ffbh_u32_e32 v12, v6
	v_min_u32_e32 v12, 32, v12
	v_lshrrev_b32_e32 v10, 27, v3
	v_subrev_u32_e32 v13, 28, v12
	v_and_b32_e32 v7, 0x80000000, v3
	v_and_b32_e32 v10, 15, v10
	v_bfe_u32 v11, v3, 27, 4
	v_lshlrev_b32_sdwa v3, v13, v3 dst_sel:DWORD dst_unused:UNUSED_PAD src0_sel:DWORD src1_sel:BYTE_3
	v_sub_u32_e32 v12, 29, v12
	v_and_b32_e32 v3, 7, v3
	v_cmp_eq_u16_e32 vcc, 0, v10
	v_cndmask_b32_e32 v3, v6, v3, vcc
	v_cndmask_b32_e32 v6, v11, v12, vcc
	v_mov_b32_e32 v10, 0x3b800000
	v_lshlrev_b32_e32 v3, 20, v3
	v_lshl_add_u32 v6, v6, 23, v10
	v_or3_b32 v6, v7, v6, v3
.LBB40_1472:
	s_or_b64 exec, exec, s[6:7]
	s_nop 0
	v_mfma_f32_16x16x4f32 a[0:3], v2, v6, a[0:3]
	s_movk_i32 s4, 0x7f
	v_cmp_gt_i16_sdwa s[6:7], v8, s4 src0_sel:BYTE_0 src1_sel:DWORD
	s_mov_b64 s[4:5], 0
                                        ; implicit-def: $sgpr10
	s_and_saveexec_b64 s[8:9], s[6:7]
	s_xor_b64 s[6:7], exec, s[8:9]
	s_cbranch_execnz .LBB40_3521
; %bb.1473:
	s_or_saveexec_b64 s[6:7], s[6:7]
	v_mov_b32_e32 v2, s10
	s_xor_b64 exec, exec, s[6:7]
	s_cbranch_execnz .LBB40_3524
.LBB40_1474:
	s_or_b64 exec, exec, s[6:7]
	s_and_saveexec_b64 s[6:7], s[4:5]
	s_cbranch_execz .LBB40_1476
.LBB40_1475:
	v_and_b32_e32 v2, 7, v8
	v_ffbh_u32_e32 v6, v2
	v_min_u32_e32 v6, 32, v6
	v_lshrrev_b16_e32 v3, 3, v8
	v_subrev_u32_e32 v7, 28, v6
	v_and_b32_e32 v3, 15, v3
	v_lshlrev_b32_e32 v7, v7, v8
	v_sub_u32_e32 v6, 29, v6
	v_and_b32_e32 v7, 7, v7
	v_cmp_eq_u16_e32 vcc, 0, v3
	v_cndmask_b32_e32 v2, v2, v7, vcc
	v_cndmask_b32_e32 v3, v3, v6, vcc
	v_lshlrev_b32_e32 v6, 24, v8
	v_mov_b32_e32 v7, 0x3b800000
	v_lshlrev_b32_e32 v2, 20, v2
	v_and_b32_e32 v6, 0x80000000, v6
	v_lshl_add_u32 v3, v3, 23, v7
	v_or3_b32 v2, v6, v3, v2
.LBB40_1476:
	s_or_b64 exec, exec, s[6:7]
	s_movk_i32 s4, 0x7f
	v_cmp_gt_i16_sdwa s[6:7], v4, s4 src0_sel:BYTE_0 src1_sel:DWORD
	s_mov_b64 s[4:5], 0
                                        ; implicit-def: $sgpr10
	s_and_saveexec_b64 s[8:9], s[6:7]
	s_xor_b64 s[6:7], exec, s[8:9]
	s_cbranch_execnz .LBB40_3525
; %bb.1477:
	s_or_saveexec_b64 s[6:7], s[6:7]
	v_mov_b32_e32 v3, s10
	s_xor_b64 exec, exec, s[6:7]
	s_cbranch_execnz .LBB40_3528
.LBB40_1478:
	s_or_b64 exec, exec, s[6:7]
	s_and_saveexec_b64 s[6:7], s[4:5]
	s_cbranch_execz .LBB40_1480
.LBB40_1479:
	v_and_b32_e32 v3, 7, v4
	v_ffbh_u32_e32 v7, v3
	v_min_u32_e32 v7, 32, v7
	v_lshrrev_b16_e32 v6, 3, v4
	v_subrev_u32_e32 v10, 28, v7
	v_and_b32_e32 v6, 15, v6
	v_lshlrev_b32_e32 v10, v10, v4
	v_sub_u32_e32 v7, 29, v7
	v_and_b32_e32 v10, 7, v10
	v_cmp_eq_u16_e32 vcc, 0, v6
	v_cndmask_b32_e32 v3, v3, v10, vcc
	v_cndmask_b32_e32 v6, v6, v7, vcc
	v_lshlrev_b32_e32 v7, 24, v4
	v_mov_b32_e32 v10, 0x3b800000
	v_lshlrev_b32_e32 v3, 20, v3
	v_and_b32_e32 v7, 0x80000000, v7
	v_lshl_add_u32 v6, v6, 23, v10
	v_or3_b32 v3, v7, v6, v3
.LBB40_1480:
	s_or_b64 exec, exec, s[6:7]
	s_nop 0
	v_mfma_f32_16x16x4f32 a[0:3], v2, v3, a[0:3]
	v_lshrrev_b32_e32 v3, 8, v8
	s_movk_i32 s4, 0x7f
	v_cmp_gt_i16_sdwa s[6:7], v3, s4 src0_sel:BYTE_0 src1_sel:DWORD
	s_mov_b64 s[4:5], 0
                                        ; implicit-def: $sgpr10
	s_and_saveexec_b64 s[8:9], s[6:7]
	s_xor_b64 s[6:7], exec, s[8:9]
	s_cbranch_execnz .LBB40_3529
; %bb.1481:
	s_or_saveexec_b64 s[6:7], s[6:7]
	v_mov_b32_e32 v2, s10
	s_xor_b64 exec, exec, s[6:7]
	s_cbranch_execnz .LBB40_3532
.LBB40_1482:
	s_or_b64 exec, exec, s[6:7]
	s_and_saveexec_b64 s[6:7], s[4:5]
	s_cbranch_execz .LBB40_1484
.LBB40_1483:
	v_bfe_u32 v2, v8, 8, 3
	v_ffbh_u32_e32 v7, v2
	v_min_u32_e32 v7, 32, v7
	v_lshrrev_b16_e32 v6, 3, v3
	v_subrev_u32_e32 v10, 28, v7
	v_and_b32_e32 v6, 15, v6
	v_lshlrev_b32_e32 v3, v10, v3
	v_sub_u32_e32 v7, 29, v7
	v_and_b32_e32 v3, 7, v3
	v_cmp_eq_u16_e32 vcc, 0, v6
	v_cndmask_b32_e32 v2, v2, v3, vcc
	v_cndmask_b32_e32 v3, v6, v7, vcc
	v_lshlrev_b32_e32 v6, 16, v8
	v_mov_b32_e32 v7, 0x3b800000
	v_lshlrev_b32_e32 v2, 20, v2
	v_and_b32_e32 v6, 0x80000000, v6
	v_lshl_add_u32 v3, v3, 23, v7
	v_or3_b32 v2, v6, v3, v2
.LBB40_1484:
	s_or_b64 exec, exec, s[6:7]
	v_lshrrev_b32_e32 v3, 8, v4
	s_movk_i32 s4, 0x7f
	v_cmp_gt_i16_sdwa s[6:7], v3, s4 src0_sel:BYTE_0 src1_sel:DWORD
	s_mov_b64 s[4:5], 0
                                        ; implicit-def: $sgpr10
	s_and_saveexec_b64 s[8:9], s[6:7]
	s_xor_b64 s[6:7], exec, s[8:9]
	s_cbranch_execnz .LBB40_3533
; %bb.1485:
	s_or_saveexec_b64 s[6:7], s[6:7]
	v_mov_b32_e32 v6, s10
	s_xor_b64 exec, exec, s[6:7]
	s_cbranch_execnz .LBB40_3536
.LBB40_1486:
	s_or_b64 exec, exec, s[6:7]
	s_and_saveexec_b64 s[6:7], s[4:5]
	s_cbranch_execz .LBB40_1488
.LBB40_1487:
	v_bfe_u32 v6, v4, 8, 3
	v_ffbh_u32_e32 v10, v6
	v_min_u32_e32 v10, 32, v10
	v_lshrrev_b16_e32 v7, 3, v3
	v_subrev_u32_e32 v11, 28, v10
	v_and_b32_e32 v7, 15, v7
	v_lshlrev_b32_e32 v3, v11, v3
	v_sub_u32_e32 v10, 29, v10
	v_and_b32_e32 v3, 7, v3
	v_cmp_eq_u16_e32 vcc, 0, v7
	v_cndmask_b32_e32 v3, v6, v3, vcc
	v_cndmask_b32_e32 v6, v7, v10, vcc
	v_lshlrev_b32_e32 v7, 16, v4
	v_mov_b32_e32 v10, 0x3b800000
	v_lshlrev_b32_e32 v3, 20, v3
	v_and_b32_e32 v7, 0x80000000, v7
	v_lshl_add_u32 v6, v6, 23, v10
	v_or3_b32 v6, v7, v6, v3
.LBB40_1488:
	s_or_b64 exec, exec, s[6:7]
	s_nop 0
	v_mfma_f32_16x16x4f32 a[0:3], v2, v6, a[0:3]
	s_movk_i32 s4, 0xff
	v_and_b32_sdwa v3, v8, s4 dst_sel:DWORD dst_unused:UNUSED_PAD src0_sel:WORD_1 src1_sel:DWORD
	s_movk_i32 s4, 0x7f
	v_cmp_lt_i16_e32 vcc, s4, v3
	s_mov_b64 s[4:5], 0
                                        ; implicit-def: $sgpr10
	s_and_saveexec_b64 s[6:7], vcc
	s_xor_b64 s[6:7], exec, s[6:7]
	s_cbranch_execnz .LBB40_3537
; %bb.1489:
	s_or_saveexec_b64 s[6:7], s[6:7]
	v_mov_b32_e32 v2, s10
	s_xor_b64 exec, exec, s[6:7]
	s_cbranch_execnz .LBB40_3540
.LBB40_1490:
	s_or_b64 exec, exec, s[6:7]
	s_and_saveexec_b64 s[6:7], s[4:5]
	s_cbranch_execz .LBB40_1492
.LBB40_1491:
	v_bfe_u32 v2, v8, 16, 3
	v_ffbh_u32_e32 v7, v2
	v_min_u32_e32 v7, 32, v7
	v_lshrrev_b32_e32 v3, 19, v8
	v_subrev_u32_e32 v10, 28, v7
	v_and_b32_e32 v3, 15, v3
	v_lshlrev_b32_sdwa v10, v10, v8 dst_sel:DWORD dst_unused:UNUSED_PAD src0_sel:DWORD src1_sel:WORD_1
	v_bfe_u32 v6, v8, 19, 4
	v_sub_u32_e32 v7, 29, v7
	v_and_b32_e32 v10, 7, v10
	v_cmp_eq_u16_e32 vcc, 0, v3
	v_cndmask_b32_e32 v2, v2, v10, vcc
	v_cndmask_b32_e32 v3, v6, v7, vcc
	v_lshlrev_b32_e32 v6, 8, v8
	v_mov_b32_e32 v7, 0x3b800000
	v_lshlrev_b32_e32 v2, 20, v2
	v_and_b32_e32 v6, 0x80000000, v6
	v_lshl_add_u32 v3, v3, 23, v7
	v_or3_b32 v2, v6, v3, v2
.LBB40_1492:
	s_or_b64 exec, exec, s[6:7]
	s_movk_i32 s4, 0xff
	v_and_b32_sdwa v3, v4, s4 dst_sel:DWORD dst_unused:UNUSED_PAD src0_sel:WORD_1 src1_sel:DWORD
	s_movk_i32 s4, 0x7f
	v_cmp_lt_i16_e32 vcc, s4, v3
	s_mov_b64 s[4:5], 0
                                        ; implicit-def: $sgpr10
	s_and_saveexec_b64 s[6:7], vcc
	s_xor_b64 s[6:7], exec, s[6:7]
	s_cbranch_execnz .LBB40_3541
; %bb.1493:
	s_or_saveexec_b64 s[6:7], s[6:7]
	v_mov_b32_e32 v6, s10
	s_xor_b64 exec, exec, s[6:7]
	s_cbranch_execnz .LBB40_3544
.LBB40_1494:
	s_or_b64 exec, exec, s[6:7]
	s_and_saveexec_b64 s[6:7], s[4:5]
	s_cbranch_execz .LBB40_1496
.LBB40_1495:
	v_bfe_u32 v3, v4, 16, 3
	v_ffbh_u32_e32 v10, v3
	v_min_u32_e32 v10, 32, v10
	v_lshrrev_b32_e32 v6, 19, v4
	v_subrev_u32_e32 v11, 28, v10
	v_and_b32_e32 v6, 15, v6
	v_lshlrev_b32_sdwa v11, v11, v4 dst_sel:DWORD dst_unused:UNUSED_PAD src0_sel:DWORD src1_sel:WORD_1
	v_bfe_u32 v7, v4, 19, 4
	v_sub_u32_e32 v10, 29, v10
	v_and_b32_e32 v11, 7, v11
	v_cmp_eq_u16_e32 vcc, 0, v6
	v_cndmask_b32_e32 v3, v3, v11, vcc
	v_cndmask_b32_e32 v6, v7, v10, vcc
	v_lshlrev_b32_e32 v7, 8, v4
	v_mov_b32_e32 v10, 0x3b800000
	v_lshlrev_b32_e32 v3, 20, v3
	v_and_b32_e32 v7, 0x80000000, v7
	v_lshl_add_u32 v6, v6, 23, v10
	v_or3_b32 v6, v7, v6, v3
.LBB40_1496:
	s_or_b64 exec, exec, s[6:7]
	s_nop 0
	v_mfma_f32_16x16x4f32 a[0:3], v2, v6, a[0:3]
	s_movk_i32 s4, 0x7f
	v_cmp_gt_i16_sdwa s[6:7], v8, s4 src0_sel:BYTE_3 src1_sel:DWORD
	s_mov_b64 s[4:5], 0
                                        ; implicit-def: $sgpr10
	s_and_saveexec_b64 s[8:9], s[6:7]
	s_xor_b64 s[6:7], exec, s[8:9]
	s_cbranch_execnz .LBB40_3545
; %bb.1497:
	s_or_saveexec_b64 s[6:7], s[6:7]
	v_mov_b32_e32 v2, s10
	s_xor_b64 exec, exec, s[6:7]
	s_cbranch_execnz .LBB40_3548
.LBB40_1498:
	s_or_b64 exec, exec, s[6:7]
	s_and_saveexec_b64 s[6:7], s[4:5]
	s_cbranch_execz .LBB40_1500
.LBB40_1499:
	v_bfe_u32 v2, v8, 24, 3
	v_ffbh_u32_e32 v10, v2
	v_min_u32_e32 v10, 32, v10
	v_lshrrev_b32_e32 v6, 27, v8
	v_subrev_u32_e32 v11, 28, v10
	v_and_b32_e32 v3, 0x80000000, v8
	v_and_b32_e32 v6, 15, v6
	v_bfe_u32 v7, v8, 27, 4
	v_lshlrev_b32_sdwa v8, v11, v8 dst_sel:DWORD dst_unused:UNUSED_PAD src0_sel:DWORD src1_sel:BYTE_3
	v_sub_u32_e32 v10, 29, v10
	v_and_b32_e32 v8, 7, v8
	v_cmp_eq_u16_e32 vcc, 0, v6
	v_cndmask_b32_e32 v2, v2, v8, vcc
	v_cndmask_b32_e32 v6, v7, v10, vcc
	v_mov_b32_e32 v7, 0x3b800000
	v_lshlrev_b32_e32 v2, 20, v2
	v_lshl_add_u32 v6, v6, 23, v7
	v_or3_b32 v2, v3, v6, v2
.LBB40_1500:
	s_or_b64 exec, exec, s[6:7]
	s_movk_i32 s4, 0x7f
	v_cmp_gt_i16_sdwa s[6:7], v4, s4 src0_sel:BYTE_3 src1_sel:DWORD
	s_mov_b64 s[4:5], 0
                                        ; implicit-def: $sgpr10
	s_and_saveexec_b64 s[8:9], s[6:7]
	s_xor_b64 s[6:7], exec, s[8:9]
	s_cbranch_execnz .LBB40_3549
; %bb.1501:
	s_or_saveexec_b64 s[6:7], s[6:7]
	v_mov_b32_e32 v3, s10
	s_xor_b64 exec, exec, s[6:7]
	s_cbranch_execnz .LBB40_3552
.LBB40_1502:
	s_or_b64 exec, exec, s[6:7]
	s_and_saveexec_b64 s[6:7], s[4:5]
	s_cbranch_execz .LBB40_1504
.LBB40_1503:
	v_bfe_u32 v3, v4, 24, 3
	v_ffbh_u32_e32 v10, v3
	v_min_u32_e32 v10, 32, v10
	v_lshrrev_b32_e32 v7, 27, v4
	v_subrev_u32_e32 v11, 28, v10
	v_and_b32_e32 v6, 0x80000000, v4
	v_and_b32_e32 v7, 15, v7
	v_bfe_u32 v8, v4, 27, 4
	v_lshlrev_b32_sdwa v4, v11, v4 dst_sel:DWORD dst_unused:UNUSED_PAD src0_sel:DWORD src1_sel:BYTE_3
	v_sub_u32_e32 v10, 29, v10
	v_and_b32_e32 v4, 7, v4
	v_cmp_eq_u16_e32 vcc, 0, v7
	v_cndmask_b32_e32 v3, v3, v4, vcc
	v_cndmask_b32_e32 v4, v8, v10, vcc
	v_mov_b32_e32 v7, 0x3b800000
	v_lshlrev_b32_e32 v3, 20, v3
	v_lshl_add_u32 v4, v4, 23, v7
	v_or3_b32 v3, v6, v4, v3
.LBB40_1504:
	s_or_b64 exec, exec, s[6:7]
	s_nop 0
	v_mfma_f32_16x16x4f32 a[0:3], v2, v3, a[0:3]
	s_movk_i32 s4, 0x7f
	v_cmp_gt_i16_sdwa s[6:7], v9, s4 src0_sel:BYTE_0 src1_sel:DWORD
	s_mov_b64 s[4:5], 0
                                        ; implicit-def: $sgpr10
	s_and_saveexec_b64 s[8:9], s[6:7]
	s_xor_b64 s[6:7], exec, s[8:9]
	s_cbranch_execnz .LBB40_3553
; %bb.1505:
	s_or_saveexec_b64 s[6:7], s[6:7]
	v_mov_b32_e32 v2, s10
	s_xor_b64 exec, exec, s[6:7]
	s_cbranch_execnz .LBB40_3556
.LBB40_1506:
	s_or_b64 exec, exec, s[6:7]
	s_and_saveexec_b64 s[6:7], s[4:5]
	s_cbranch_execz .LBB40_1508
.LBB40_1507:
	v_mov_b32_e32 v2, 8
	v_and_b32_e32 v3, 7, v9
	v_lshrrev_b32_sdwa v2, v2, v9 dst_sel:BYTE_1 dst_unused:UNUSED_PAD src0_sel:DWORD src1_sel:DWORD
	v_ffbh_u32_e32 v4, v3
	v_or_b32_sdwa v2, v9, v2 dst_sel:DWORD dst_unused:UNUSED_PAD src0_sel:BYTE_0 src1_sel:DWORD
	v_min_u32_e32 v4, 32, v4
	v_lshrrev_b16_e32 v2, 3, v2
	v_subrev_u32_e32 v6, 28, v4
	v_and_b32_e32 v2, 15, v2
	v_lshlrev_b32_e32 v6, v6, v9
	v_sub_u32_e32 v4, 29, v4
	v_and_b32_e32 v6, 7, v6
	v_cmp_eq_u16_e32 vcc, 0, v2
	v_cndmask_b32_e32 v3, v3, v6, vcc
	v_cndmask_b32_e32 v2, v2, v4, vcc
	v_lshlrev_b32_e32 v4, 24, v9
	v_mov_b32_e32 v6, 0x3b800000
	v_lshlrev_b32_e32 v3, 20, v3
	v_and_b32_e32 v4, 0x80000000, v4
	v_lshl_add_u32 v2, v2, 23, v6
	v_or3_b32 v2, v4, v2, v3
.LBB40_1508:
	s_or_b64 exec, exec, s[6:7]
	s_movk_i32 s4, 0x7f
	v_cmp_gt_i16_sdwa s[6:7], v5, s4 src0_sel:BYTE_0 src1_sel:DWORD
	s_mov_b64 s[4:5], 0
                                        ; implicit-def: $sgpr10
	s_and_saveexec_b64 s[8:9], s[6:7]
	s_xor_b64 s[6:7], exec, s[8:9]
	s_cbranch_execnz .LBB40_3557
; %bb.1509:
	s_or_saveexec_b64 s[6:7], s[6:7]
	v_mov_b32_e32 v3, s10
	s_xor_b64 exec, exec, s[6:7]
	s_cbranch_execnz .LBB40_3560
.LBB40_1510:
	s_or_b64 exec, exec, s[6:7]
	s_and_saveexec_b64 s[6:7], s[4:5]
	s_cbranch_execz .LBB40_1512
.LBB40_1511:
	v_mov_b32_e32 v3, 8
	v_and_b32_e32 v4, 7, v5
	v_lshrrev_b32_sdwa v3, v3, v5 dst_sel:BYTE_1 dst_unused:UNUSED_PAD src0_sel:DWORD src1_sel:DWORD
	v_ffbh_u32_e32 v6, v4
	v_or_b32_sdwa v3, v5, v3 dst_sel:DWORD dst_unused:UNUSED_PAD src0_sel:BYTE_0 src1_sel:DWORD
	v_min_u32_e32 v6, 32, v6
	v_lshrrev_b16_e32 v3, 3, v3
	v_subrev_u32_e32 v7, 28, v6
	v_and_b32_e32 v3, 15, v3
	v_lshlrev_b32_e32 v7, v7, v5
	v_sub_u32_e32 v6, 29, v6
	v_and_b32_e32 v7, 7, v7
	v_cmp_eq_u16_e32 vcc, 0, v3
	v_cndmask_b32_e32 v4, v4, v7, vcc
	v_cndmask_b32_e32 v3, v3, v6, vcc
	v_lshlrev_b32_e32 v6, 24, v5
	v_mov_b32_e32 v7, 0x3b800000
	v_lshlrev_b32_e32 v4, 20, v4
	v_and_b32_e32 v6, 0x80000000, v6
	v_lshl_add_u32 v3, v3, 23, v7
	v_or3_b32 v3, v6, v3, v4
.LBB40_1512:
	s_or_b64 exec, exec, s[6:7]
	s_nop 0
	v_mfma_f32_16x16x4f32 a[0:3], v2, v3, a[0:3]
	v_lshrrev_b32_e32 v3, 8, v9
	s_movk_i32 s4, 0x7f
	v_cmp_gt_i16_sdwa s[6:7], v3, s4 src0_sel:BYTE_0 src1_sel:DWORD
	s_mov_b64 s[4:5], 0
                                        ; implicit-def: $sgpr10
	s_and_saveexec_b64 s[8:9], s[6:7]
	s_xor_b64 s[6:7], exec, s[8:9]
	s_cbranch_execnz .LBB40_3561
; %bb.1513:
	s_or_saveexec_b64 s[6:7], s[6:7]
	v_mov_b32_e32 v2, s10
	s_xor_b64 exec, exec, s[6:7]
	s_cbranch_execnz .LBB40_3564
.LBB40_1514:
	s_or_b64 exec, exec, s[6:7]
	s_and_saveexec_b64 s[6:7], s[4:5]
	s_cbranch_execz .LBB40_1516
.LBB40_1515:
	v_bfe_u32 v2, v9, 8, 3
	v_ffbh_u32_e32 v6, v2
	v_min_u32_e32 v6, 32, v6
	v_lshrrev_b16_e32 v4, 3, v3
	v_subrev_u32_e32 v7, 28, v6
	v_and_b32_e32 v4, 15, v4
	v_lshlrev_b32_e32 v3, v7, v3
	v_sub_u32_e32 v6, 29, v6
	v_and_b32_e32 v3, 7, v3
	v_cmp_eq_u16_e32 vcc, 0, v4
	v_cndmask_b32_e32 v2, v2, v3, vcc
	v_cndmask_b32_e32 v3, v4, v6, vcc
	v_lshlrev_b32_e32 v4, 16, v9
	v_mov_b32_e32 v6, 0x3b800000
	v_lshlrev_b32_e32 v2, 20, v2
	v_and_b32_e32 v4, 0x80000000, v4
	v_lshl_add_u32 v3, v3, 23, v6
	v_or3_b32 v2, v4, v3, v2
.LBB40_1516:
	s_or_b64 exec, exec, s[6:7]
	v_lshrrev_b32_e32 v3, 8, v5
	s_movk_i32 s4, 0x7f
	v_cmp_gt_i16_sdwa s[6:7], v3, s4 src0_sel:BYTE_0 src1_sel:DWORD
	s_mov_b64 s[4:5], 0
                                        ; implicit-def: $sgpr10
	s_and_saveexec_b64 s[8:9], s[6:7]
	s_xor_b64 s[6:7], exec, s[8:9]
	s_cbranch_execnz .LBB40_3565
; %bb.1517:
	s_or_saveexec_b64 s[6:7], s[6:7]
	v_mov_b32_e32 v4, s10
	s_xor_b64 exec, exec, s[6:7]
	s_cbranch_execnz .LBB40_3568
.LBB40_1518:
	s_or_b64 exec, exec, s[6:7]
	s_and_saveexec_b64 s[6:7], s[4:5]
	s_cbranch_execz .LBB40_1520
.LBB40_1519:
	v_bfe_u32 v4, v5, 8, 3
	v_ffbh_u32_e32 v7, v4
	v_min_u32_e32 v7, 32, v7
	v_lshrrev_b16_e32 v6, 3, v3
	v_subrev_u32_e32 v8, 28, v7
	v_and_b32_e32 v6, 15, v6
	v_lshlrev_b32_e32 v3, v8, v3
	v_sub_u32_e32 v7, 29, v7
	v_and_b32_e32 v3, 7, v3
	v_cmp_eq_u16_e32 vcc, 0, v6
	v_cndmask_b32_e32 v3, v4, v3, vcc
	v_cndmask_b32_e32 v4, v6, v7, vcc
	v_lshlrev_b32_e32 v6, 16, v5
	v_mov_b32_e32 v7, 0x3b800000
	v_lshlrev_b32_e32 v3, 20, v3
	v_and_b32_e32 v6, 0x80000000, v6
	v_lshl_add_u32 v4, v4, 23, v7
	v_or3_b32 v4, v6, v4, v3
.LBB40_1520:
	s_or_b64 exec, exec, s[6:7]
	s_nop 0
	v_mfma_f32_16x16x4f32 a[0:3], v2, v4, a[0:3]
	s_movk_i32 s4, 0xff
	v_and_b32_sdwa v3, v9, s4 dst_sel:DWORD dst_unused:UNUSED_PAD src0_sel:WORD_1 src1_sel:DWORD
	s_movk_i32 s4, 0x7f
	v_cmp_lt_i16_e32 vcc, s4, v3
	s_mov_b64 s[4:5], 0
                                        ; implicit-def: $sgpr10
	s_and_saveexec_b64 s[6:7], vcc
	s_xor_b64 s[6:7], exec, s[6:7]
	s_cbranch_execnz .LBB40_3569
; %bb.1521:
	s_or_saveexec_b64 s[6:7], s[6:7]
	v_mov_b32_e32 v2, s10
	s_xor_b64 exec, exec, s[6:7]
	s_cbranch_execnz .LBB40_3572
.LBB40_1522:
	s_or_b64 exec, exec, s[6:7]
	s_and_saveexec_b64 s[6:7], s[4:5]
	s_cbranch_execz .LBB40_1524
.LBB40_1523:
	v_bfe_u32 v2, v9, 16, 3
	v_ffbh_u32_e32 v6, v2
	v_min_u32_e32 v6, 32, v6
	v_lshrrev_b32_e32 v3, 19, v9
	v_subrev_u32_e32 v7, 28, v6
	v_and_b32_e32 v3, 15, v3
	v_lshlrev_b32_sdwa v7, v7, v9 dst_sel:DWORD dst_unused:UNUSED_PAD src0_sel:DWORD src1_sel:WORD_1
	v_bfe_u32 v4, v9, 19, 4
	v_sub_u32_e32 v6, 29, v6
	v_and_b32_e32 v7, 7, v7
	v_cmp_eq_u16_e32 vcc, 0, v3
	v_cndmask_b32_e32 v2, v2, v7, vcc
	v_cndmask_b32_e32 v3, v4, v6, vcc
	v_lshlrev_b32_e32 v4, 8, v9
	v_mov_b32_e32 v6, 0x3b800000
	v_lshlrev_b32_e32 v2, 20, v2
	v_and_b32_e32 v4, 0x80000000, v4
	v_lshl_add_u32 v3, v3, 23, v6
	v_or3_b32 v2, v4, v3, v2
.LBB40_1524:
	s_or_b64 exec, exec, s[6:7]
	s_movk_i32 s4, 0xff
	v_and_b32_sdwa v3, v5, s4 dst_sel:DWORD dst_unused:UNUSED_PAD src0_sel:WORD_1 src1_sel:DWORD
	s_movk_i32 s4, 0x7f
	v_cmp_lt_i16_e32 vcc, s4, v3
	s_mov_b64 s[4:5], 0
                                        ; implicit-def: $sgpr10
	s_and_saveexec_b64 s[6:7], vcc
	s_xor_b64 s[6:7], exec, s[6:7]
	s_cbranch_execnz .LBB40_3573
; %bb.1525:
	s_or_saveexec_b64 s[6:7], s[6:7]
	v_mov_b32_e32 v4, s10
	s_xor_b64 exec, exec, s[6:7]
	s_cbranch_execnz .LBB40_3576
.LBB40_1526:
	s_or_b64 exec, exec, s[6:7]
	s_and_saveexec_b64 s[6:7], s[4:5]
	s_cbranch_execz .LBB40_1528
.LBB40_1527:
	v_bfe_u32 v3, v5, 16, 3
	v_ffbh_u32_e32 v7, v3
	v_min_u32_e32 v7, 32, v7
	v_lshrrev_b32_e32 v4, 19, v5
	v_subrev_u32_e32 v8, 28, v7
	v_and_b32_e32 v4, 15, v4
	v_lshlrev_b32_sdwa v8, v8, v5 dst_sel:DWORD dst_unused:UNUSED_PAD src0_sel:DWORD src1_sel:WORD_1
	v_bfe_u32 v6, v5, 19, 4
	v_sub_u32_e32 v7, 29, v7
	v_and_b32_e32 v8, 7, v8
	v_cmp_eq_u16_e32 vcc, 0, v4
	v_cndmask_b32_e32 v3, v3, v8, vcc
	v_cndmask_b32_e32 v4, v6, v7, vcc
	v_lshlrev_b32_e32 v6, 8, v5
	v_mov_b32_e32 v7, 0x3b800000
	v_lshlrev_b32_e32 v3, 20, v3
	v_and_b32_e32 v6, 0x80000000, v6
	v_lshl_add_u32 v4, v4, 23, v7
	v_or3_b32 v4, v6, v4, v3
.LBB40_1528:
	s_or_b64 exec, exec, s[6:7]
	s_nop 0
	v_mfma_f32_16x16x4f32 a[0:3], v2, v4, a[0:3]
	s_movk_i32 s4, 0x7f
	v_cmp_gt_i16_sdwa s[6:7], v9, s4 src0_sel:BYTE_3 src1_sel:DWORD
	s_mov_b64 s[4:5], 0
                                        ; implicit-def: $sgpr10
	s_and_saveexec_b64 s[8:9], s[6:7]
	s_xor_b64 s[6:7], exec, s[8:9]
	s_cbranch_execnz .LBB40_3577
; %bb.1529:
	s_or_saveexec_b64 s[6:7], s[6:7]
	v_mov_b32_e32 v2, s10
	s_xor_b64 exec, exec, s[6:7]
	s_cbranch_execnz .LBB40_3580
.LBB40_1530:
	s_or_b64 exec, exec, s[6:7]
	s_and_saveexec_b64 s[6:7], s[4:5]
	s_cbranch_execz .LBB40_1532
.LBB40_1531:
	v_bfe_u32 v2, v9, 24, 3
	v_ffbh_u32_e32 v7, v2
	v_min_u32_e32 v7, 32, v7
	v_lshrrev_b32_e32 v4, 27, v9
	v_subrev_u32_e32 v8, 28, v7
	v_and_b32_e32 v4, 15, v4
	v_lshlrev_b32_sdwa v8, v8, v9 dst_sel:DWORD dst_unused:UNUSED_PAD src0_sel:DWORD src1_sel:BYTE_3
	v_bfe_u32 v6, v9, 27, 4
	v_sub_u32_e32 v7, 29, v7
	v_and_b32_e32 v8, 7, v8
	v_cmp_eq_u16_e32 vcc, 0, v4
	v_cndmask_b32_e32 v2, v2, v8, vcc
	v_cndmask_b32_e32 v4, v6, v7, vcc
	v_mov_b32_e32 v6, 0x3b800000
	v_and_b32_e32 v3, 0x80000000, v9
	v_lshlrev_b32_e32 v2, 20, v2
	v_lshl_add_u32 v4, v4, 23, v6
	v_or3_b32 v2, v3, v4, v2
.LBB40_1532:
	s_or_b64 exec, exec, s[6:7]
	s_movk_i32 s4, 0x7f
	v_cmp_gt_i16_sdwa s[6:7], v5, s4 src0_sel:BYTE_3 src1_sel:DWORD
	s_mov_b64 s[4:5], 0
                                        ; implicit-def: $sgpr10
	s_and_saveexec_b64 s[8:9], s[6:7]
	s_xor_b64 s[6:7], exec, s[8:9]
	s_cbranch_execnz .LBB40_3581
; %bb.1533:
	s_or_saveexec_b64 s[6:7], s[6:7]
	v_mov_b32_e32 v3, s10
	s_xor_b64 exec, exec, s[6:7]
	s_cbranch_execnz .LBB40_3584
.LBB40_1534:
	s_or_b64 exec, exec, s[6:7]
	s_and_saveexec_b64 s[6:7], s[4:5]
	s_cbranch_execz .LBB40_1536
.LBB40_1535:
	v_bfe_u32 v3, v5, 24, 3
	v_ffbh_u32_e32 v8, v3
	v_min_u32_e32 v8, 32, v8
	v_lshrrev_b32_e32 v6, 27, v5
	v_subrev_u32_e32 v9, 28, v8
	v_and_b32_e32 v4, 0x80000000, v5
	v_and_b32_e32 v6, 15, v6
	v_bfe_u32 v7, v5, 27, 4
	v_lshlrev_b32_sdwa v5, v9, v5 dst_sel:DWORD dst_unused:UNUSED_PAD src0_sel:DWORD src1_sel:BYTE_3
	v_sub_u32_e32 v8, 29, v8
	v_and_b32_e32 v5, 7, v5
	v_cmp_eq_u16_e32 vcc, 0, v6
	v_cndmask_b32_e32 v3, v3, v5, vcc
	v_cndmask_b32_e32 v5, v7, v8, vcc
	v_mov_b32_e32 v6, 0x3b800000
	v_lshlrev_b32_e32 v3, 20, v3
	v_lshl_add_u32 v5, v5, 23, v6
	v_or3_b32 v3, v4, v5, v3
.LBB40_1536:
	s_or_b64 exec, exec, s[6:7]
	s_nop 0
	v_mfma_f32_16x16x4f32 a[0:3], v2, v3, a[0:3]
	s_movk_i32 s4, 0x7f
                                        ; implicit-def: $sgpr10
	s_nop 7
	s_nop 1
	flat_store_dwordx4 v[18:19], a[0:3] offset:592
	flat_load_dwordx4 v[20:23], v[0:1] offset:16
	s_nop 0
	flat_load_dwordx2 v[18:19], v[0:1] offset:32
	s_waitcnt vmcnt(0) lgkmcnt(0)
	flat_load_dwordx4 v[14:17], v[20:21]
	flat_load_dwordx4 v[6:9], v[20:21] offset:16
	flat_load_dwordx4 v[10:13], v[22:23] offset:448
	;; [unrolled: 1-line block ×3, first 2 shown]
	s_waitcnt vmcnt(0) lgkmcnt(0)
	v_cmp_gt_i16_sdwa s[6:7], v14, s4 src0_sel:BYTE_0 src1_sel:DWORD
	s_mov_b64 s[4:5], 0
	s_and_saveexec_b64 s[8:9], s[6:7]
	s_xor_b64 s[6:7], exec, s[8:9]
	s_cbranch_execnz .LBB40_3585
; %bb.1537:
	s_or_saveexec_b64 s[6:7], s[6:7]
	v_mov_b32_e32 v20, s10
	s_xor_b64 exec, exec, s[6:7]
	s_cbranch_execnz .LBB40_3588
.LBB40_1538:
	s_or_b64 exec, exec, s[6:7]
	s_and_saveexec_b64 s[6:7], s[4:5]
	s_cbranch_execz .LBB40_1540
.LBB40_1539:
	v_and_b32_e32 v20, 7, v14
	v_ffbh_u32_e32 v22, v20
	v_min_u32_e32 v22, 32, v22
	v_lshrrev_b16_e32 v21, 3, v14
	v_subrev_u32_e32 v23, 28, v22
	v_and_b32_e32 v21, 15, v21
	v_lshlrev_b32_e32 v23, v23, v14
	v_sub_u32_e32 v22, 29, v22
	v_and_b32_e32 v23, 7, v23
	v_cmp_eq_u16_e32 vcc, 0, v21
	v_cndmask_b32_e32 v20, v20, v23, vcc
	v_cndmask_b32_e32 v21, v21, v22, vcc
	v_lshlrev_b32_e32 v22, 24, v14
	v_mov_b32_e32 v23, 0x3b800000
	v_lshlrev_b32_e32 v20, 20, v20
	v_and_b32_e32 v22, 0x80000000, v22
	v_lshl_add_u32 v21, v21, 23, v23
	v_or3_b32 v20, v22, v21, v20
.LBB40_1540:
	s_or_b64 exec, exec, s[6:7]
	s_movk_i32 s4, 0x7f
	v_cmp_gt_i16_sdwa s[6:7], v10, s4 src0_sel:BYTE_0 src1_sel:DWORD
	s_mov_b64 s[4:5], 0
                                        ; implicit-def: $sgpr10
	s_and_saveexec_b64 s[8:9], s[6:7]
	s_xor_b64 s[6:7], exec, s[8:9]
	s_cbranch_execnz .LBB40_3589
; %bb.1541:
	s_or_saveexec_b64 s[6:7], s[6:7]
	v_mov_b32_e32 v21, s10
	s_xor_b64 exec, exec, s[6:7]
	s_cbranch_execnz .LBB40_3592
.LBB40_1542:
	s_or_b64 exec, exec, s[6:7]
	s_and_saveexec_b64 s[6:7], s[4:5]
	s_cbranch_execz .LBB40_1544
.LBB40_1543:
	v_and_b32_e32 v21, 7, v10
	v_ffbh_u32_e32 v23, v21
	v_min_u32_e32 v23, 32, v23
	v_lshrrev_b16_e32 v22, 3, v10
	v_subrev_u32_e32 v24, 28, v23
	v_and_b32_e32 v22, 15, v22
	v_lshlrev_b32_e32 v24, v24, v10
	v_sub_u32_e32 v23, 29, v23
	v_and_b32_e32 v24, 7, v24
	v_cmp_eq_u16_e32 vcc, 0, v22
	v_cndmask_b32_e32 v21, v21, v24, vcc
	v_cndmask_b32_e32 v22, v22, v23, vcc
	v_lshlrev_b32_e32 v23, 24, v10
	v_mov_b32_e32 v24, 0x3b800000
	v_lshlrev_b32_e32 v21, 20, v21
	v_and_b32_e32 v23, 0x80000000, v23
	v_lshl_add_u32 v22, v22, 23, v24
	v_or3_b32 v21, v23, v22, v21
.LBB40_1544:
	s_or_b64 exec, exec, s[6:7]
	flat_load_dwordx4 a[0:3], v[18:19] offset:608
	s_movk_i32 s4, 0x7f
                                        ; implicit-def: $sgpr10
	s_waitcnt vmcnt(0) lgkmcnt(0)
	v_mfma_f32_16x16x4f32 a[0:3], v20, v21, a[0:3]
	v_lshrrev_b32_e32 v21, 8, v14
	v_cmp_gt_i16_sdwa s[6:7], v21, s4 src0_sel:BYTE_0 src1_sel:DWORD
	s_mov_b64 s[4:5], 0
	s_and_saveexec_b64 s[8:9], s[6:7]
	s_xor_b64 s[6:7], exec, s[8:9]
	s_cbranch_execnz .LBB40_3593
; %bb.1545:
	s_or_saveexec_b64 s[6:7], s[6:7]
	v_mov_b32_e32 v20, s10
	s_xor_b64 exec, exec, s[6:7]
	s_cbranch_execnz .LBB40_3596
.LBB40_1546:
	s_or_b64 exec, exec, s[6:7]
	s_and_saveexec_b64 s[6:7], s[4:5]
	s_cbranch_execz .LBB40_1548
.LBB40_1547:
	v_bfe_u32 v20, v14, 8, 3
	v_ffbh_u32_e32 v23, v20
	v_min_u32_e32 v23, 32, v23
	v_lshrrev_b16_e32 v22, 3, v21
	v_subrev_u32_e32 v24, 28, v23
	v_and_b32_e32 v22, 15, v22
	v_lshlrev_b32_e32 v21, v24, v21
	v_sub_u32_e32 v23, 29, v23
	v_and_b32_e32 v21, 7, v21
	v_cmp_eq_u16_e32 vcc, 0, v22
	v_cndmask_b32_e32 v20, v20, v21, vcc
	v_cndmask_b32_e32 v21, v22, v23, vcc
	v_lshlrev_b32_e32 v22, 16, v14
	v_mov_b32_e32 v23, 0x3b800000
	v_lshlrev_b32_e32 v20, 20, v20
	v_and_b32_e32 v22, 0x80000000, v22
	v_lshl_add_u32 v21, v21, 23, v23
	v_or3_b32 v20, v22, v21, v20
.LBB40_1548:
	s_or_b64 exec, exec, s[6:7]
	v_lshrrev_b32_e32 v21, 8, v10
	s_movk_i32 s4, 0x7f
	v_cmp_gt_i16_sdwa s[6:7], v21, s4 src0_sel:BYTE_0 src1_sel:DWORD
	s_mov_b64 s[4:5], 0
                                        ; implicit-def: $sgpr10
	s_and_saveexec_b64 s[8:9], s[6:7]
	s_xor_b64 s[6:7], exec, s[8:9]
	s_cbranch_execnz .LBB40_3597
; %bb.1549:
	s_or_saveexec_b64 s[6:7], s[6:7]
	v_mov_b32_e32 v22, s10
	s_xor_b64 exec, exec, s[6:7]
	s_cbranch_execnz .LBB40_3600
.LBB40_1550:
	s_or_b64 exec, exec, s[6:7]
	s_and_saveexec_b64 s[6:7], s[4:5]
	s_cbranch_execz .LBB40_1552
.LBB40_1551:
	v_bfe_u32 v22, v10, 8, 3
	v_ffbh_u32_e32 v24, v22
	v_min_u32_e32 v24, 32, v24
	v_lshrrev_b16_e32 v23, 3, v21
	v_subrev_u32_e32 v25, 28, v24
	v_and_b32_e32 v23, 15, v23
	v_lshlrev_b32_e32 v21, v25, v21
	v_sub_u32_e32 v24, 29, v24
	v_and_b32_e32 v21, 7, v21
	v_cmp_eq_u16_e32 vcc, 0, v23
	v_cndmask_b32_e32 v21, v22, v21, vcc
	v_cndmask_b32_e32 v22, v23, v24, vcc
	v_lshlrev_b32_e32 v23, 16, v10
	v_mov_b32_e32 v24, 0x3b800000
	v_lshlrev_b32_e32 v21, 20, v21
	v_and_b32_e32 v23, 0x80000000, v23
	v_lshl_add_u32 v22, v22, 23, v24
	v_or3_b32 v22, v23, v22, v21
.LBB40_1552:
	s_or_b64 exec, exec, s[6:7]
	s_nop 0
	v_mfma_f32_16x16x4f32 a[0:3], v20, v22, a[0:3]
	s_movk_i32 s4, 0xff
	v_and_b32_sdwa v21, v14, s4 dst_sel:DWORD dst_unused:UNUSED_PAD src0_sel:WORD_1 src1_sel:DWORD
	s_movk_i32 s4, 0x7f
	v_cmp_lt_i16_e32 vcc, s4, v21
	s_mov_b64 s[4:5], 0
                                        ; implicit-def: $sgpr10
	s_and_saveexec_b64 s[6:7], vcc
	s_xor_b64 s[6:7], exec, s[6:7]
	s_cbranch_execnz .LBB40_3601
; %bb.1553:
	s_or_saveexec_b64 s[6:7], s[6:7]
	v_mov_b32_e32 v20, s10
	s_xor_b64 exec, exec, s[6:7]
	s_cbranch_execnz .LBB40_3604
.LBB40_1554:
	s_or_b64 exec, exec, s[6:7]
	s_and_saveexec_b64 s[6:7], s[4:5]
	s_cbranch_execz .LBB40_1556
.LBB40_1555:
	v_bfe_u32 v20, v14, 16, 3
	v_ffbh_u32_e32 v23, v20
	v_min_u32_e32 v23, 32, v23
	v_lshrrev_b32_e32 v21, 19, v14
	v_subrev_u32_e32 v24, 28, v23
	v_and_b32_e32 v21, 15, v21
	v_lshlrev_b32_sdwa v24, v24, v14 dst_sel:DWORD dst_unused:UNUSED_PAD src0_sel:DWORD src1_sel:WORD_1
	v_bfe_u32 v22, v14, 19, 4
	v_sub_u32_e32 v23, 29, v23
	v_and_b32_e32 v24, 7, v24
	v_cmp_eq_u16_e32 vcc, 0, v21
	v_cndmask_b32_e32 v20, v20, v24, vcc
	v_cndmask_b32_e32 v21, v22, v23, vcc
	v_lshlrev_b32_e32 v22, 8, v14
	v_mov_b32_e32 v23, 0x3b800000
	v_lshlrev_b32_e32 v20, 20, v20
	v_and_b32_e32 v22, 0x80000000, v22
	v_lshl_add_u32 v21, v21, 23, v23
	v_or3_b32 v20, v22, v21, v20
.LBB40_1556:
	s_or_b64 exec, exec, s[6:7]
	s_movk_i32 s4, 0xff
	v_and_b32_sdwa v21, v10, s4 dst_sel:DWORD dst_unused:UNUSED_PAD src0_sel:WORD_1 src1_sel:DWORD
	s_movk_i32 s4, 0x7f
	v_cmp_lt_i16_e32 vcc, s4, v21
	s_mov_b64 s[4:5], 0
                                        ; implicit-def: $sgpr10
	s_and_saveexec_b64 s[6:7], vcc
	s_xor_b64 s[6:7], exec, s[6:7]
	s_cbranch_execnz .LBB40_3605
; %bb.1557:
	s_or_saveexec_b64 s[6:7], s[6:7]
	v_mov_b32_e32 v22, s10
	s_xor_b64 exec, exec, s[6:7]
	s_cbranch_execnz .LBB40_3608
.LBB40_1558:
	s_or_b64 exec, exec, s[6:7]
	s_and_saveexec_b64 s[6:7], s[4:5]
	s_cbranch_execz .LBB40_1560
.LBB40_1559:
	v_bfe_u32 v21, v10, 16, 3
	v_ffbh_u32_e32 v24, v21
	v_min_u32_e32 v24, 32, v24
	v_lshrrev_b32_e32 v22, 19, v10
	v_subrev_u32_e32 v25, 28, v24
	v_and_b32_e32 v22, 15, v22
	v_lshlrev_b32_sdwa v25, v25, v10 dst_sel:DWORD dst_unused:UNUSED_PAD src0_sel:DWORD src1_sel:WORD_1
	v_bfe_u32 v23, v10, 19, 4
	v_sub_u32_e32 v24, 29, v24
	v_and_b32_e32 v25, 7, v25
	v_cmp_eq_u16_e32 vcc, 0, v22
	v_cndmask_b32_e32 v21, v21, v25, vcc
	v_cndmask_b32_e32 v22, v23, v24, vcc
	v_lshlrev_b32_e32 v23, 8, v10
	v_mov_b32_e32 v24, 0x3b800000
	v_lshlrev_b32_e32 v21, 20, v21
	v_and_b32_e32 v23, 0x80000000, v23
	v_lshl_add_u32 v22, v22, 23, v24
	v_or3_b32 v22, v23, v22, v21
.LBB40_1560:
	s_or_b64 exec, exec, s[6:7]
	s_nop 0
	v_mfma_f32_16x16x4f32 a[0:3], v20, v22, a[0:3]
	s_movk_i32 s4, 0x7f
	v_cmp_gt_i16_sdwa s[6:7], v14, s4 src0_sel:BYTE_3 src1_sel:DWORD
	s_mov_b64 s[4:5], 0
                                        ; implicit-def: $sgpr10
	s_and_saveexec_b64 s[8:9], s[6:7]
	s_xor_b64 s[6:7], exec, s[8:9]
	s_cbranch_execnz .LBB40_3609
; %bb.1561:
	s_or_saveexec_b64 s[6:7], s[6:7]
	v_mov_b32_e32 v20, s10
	s_xor_b64 exec, exec, s[6:7]
	s_cbranch_execnz .LBB40_3612
.LBB40_1562:
	s_or_b64 exec, exec, s[6:7]
	s_and_saveexec_b64 s[6:7], s[4:5]
	s_cbranch_execz .LBB40_1564
.LBB40_1563:
	v_bfe_u32 v20, v14, 24, 3
	v_ffbh_u32_e32 v24, v20
	v_min_u32_e32 v24, 32, v24
	v_lshrrev_b32_e32 v22, 27, v14
	v_subrev_u32_e32 v25, 28, v24
	v_and_b32_e32 v21, 0x80000000, v14
	v_and_b32_e32 v22, 15, v22
	v_bfe_u32 v23, v14, 27, 4
	v_lshlrev_b32_sdwa v14, v25, v14 dst_sel:DWORD dst_unused:UNUSED_PAD src0_sel:DWORD src1_sel:BYTE_3
	v_sub_u32_e32 v24, 29, v24
	v_and_b32_e32 v14, 7, v14
	v_cmp_eq_u16_e32 vcc, 0, v22
	v_cndmask_b32_e32 v14, v20, v14, vcc
	v_cndmask_b32_e32 v20, v23, v24, vcc
	v_mov_b32_e32 v22, 0x3b800000
	v_lshlrev_b32_e32 v14, 20, v14
	v_lshl_add_u32 v20, v20, 23, v22
	v_or3_b32 v20, v21, v20, v14
.LBB40_1564:
	s_or_b64 exec, exec, s[6:7]
	s_movk_i32 s4, 0x7f
	v_cmp_gt_i16_sdwa s[6:7], v10, s4 src0_sel:BYTE_3 src1_sel:DWORD
	s_mov_b64 s[4:5], 0
                                        ; implicit-def: $sgpr10
	s_and_saveexec_b64 s[8:9], s[6:7]
	s_xor_b64 s[6:7], exec, s[8:9]
	s_cbranch_execnz .LBB40_3613
; %bb.1565:
	s_or_saveexec_b64 s[6:7], s[6:7]
	v_mov_b32_e32 v14, s10
	s_xor_b64 exec, exec, s[6:7]
	s_cbranch_execnz .LBB40_3616
.LBB40_1566:
	s_or_b64 exec, exec, s[6:7]
	s_and_saveexec_b64 s[6:7], s[4:5]
	s_cbranch_execz .LBB40_1568
.LBB40_1567:
	v_bfe_u32 v14, v10, 24, 3
	v_ffbh_u32_e32 v24, v14
	v_min_u32_e32 v24, 32, v24
	v_lshrrev_b32_e32 v22, 27, v10
	v_subrev_u32_e32 v25, 28, v24
	v_and_b32_e32 v21, 0x80000000, v10
	v_and_b32_e32 v22, 15, v22
	v_bfe_u32 v23, v10, 27, 4
	v_lshlrev_b32_sdwa v10, v25, v10 dst_sel:DWORD dst_unused:UNUSED_PAD src0_sel:DWORD src1_sel:BYTE_3
	v_sub_u32_e32 v24, 29, v24
	v_and_b32_e32 v10, 7, v10
	v_cmp_eq_u16_e32 vcc, 0, v22
	v_cndmask_b32_e32 v10, v14, v10, vcc
	v_cndmask_b32_e32 v14, v23, v24, vcc
	v_mov_b32_e32 v22, 0x3b800000
	v_lshlrev_b32_e32 v10, 20, v10
	v_lshl_add_u32 v14, v14, 23, v22
	v_or3_b32 v14, v21, v14, v10
.LBB40_1568:
	s_or_b64 exec, exec, s[6:7]
	s_nop 0
	v_mfma_f32_16x16x4f32 a[0:3], v20, v14, a[0:3]
	s_movk_i32 s4, 0x7f
	v_cmp_gt_i16_sdwa s[6:7], v15, s4 src0_sel:BYTE_0 src1_sel:DWORD
	s_mov_b64 s[4:5], 0
                                        ; implicit-def: $sgpr10
	s_and_saveexec_b64 s[8:9], s[6:7]
	s_xor_b64 s[6:7], exec, s[8:9]
	s_cbranch_execnz .LBB40_3617
; %bb.1569:
	s_or_saveexec_b64 s[6:7], s[6:7]
	v_mov_b32_e32 v10, s10
	s_xor_b64 exec, exec, s[6:7]
	s_cbranch_execnz .LBB40_3620
.LBB40_1570:
	s_or_b64 exec, exec, s[6:7]
	s_and_saveexec_b64 s[6:7], s[4:5]
	s_cbranch_execz .LBB40_1572
.LBB40_1571:
	v_and_b32_e32 v10, 7, v15
	v_ffbh_u32_e32 v20, v10
	v_min_u32_e32 v20, 32, v20
	v_lshrrev_b16_e32 v14, 3, v15
	v_subrev_u32_e32 v21, 28, v20
	v_and_b32_e32 v14, 15, v14
	v_lshlrev_b32_e32 v21, v21, v15
	v_sub_u32_e32 v20, 29, v20
	v_and_b32_e32 v21, 7, v21
	v_cmp_eq_u16_e32 vcc, 0, v14
	v_cndmask_b32_e32 v10, v10, v21, vcc
	v_cndmask_b32_e32 v14, v14, v20, vcc
	v_lshlrev_b32_e32 v20, 24, v15
	v_mov_b32_e32 v21, 0x3b800000
	v_lshlrev_b32_e32 v10, 20, v10
	v_and_b32_e32 v20, 0x80000000, v20
	v_lshl_add_u32 v14, v14, 23, v21
	v_or3_b32 v10, v20, v14, v10
.LBB40_1572:
	s_or_b64 exec, exec, s[6:7]
	s_movk_i32 s4, 0x7f
	v_cmp_gt_i16_sdwa s[6:7], v11, s4 src0_sel:BYTE_0 src1_sel:DWORD
	s_mov_b64 s[4:5], 0
                                        ; implicit-def: $sgpr10
	s_and_saveexec_b64 s[8:9], s[6:7]
	s_xor_b64 s[6:7], exec, s[8:9]
	s_cbranch_execnz .LBB40_3621
; %bb.1573:
	s_or_saveexec_b64 s[6:7], s[6:7]
	v_mov_b32_e32 v14, s10
	s_xor_b64 exec, exec, s[6:7]
	s_cbranch_execnz .LBB40_3624
.LBB40_1574:
	s_or_b64 exec, exec, s[6:7]
	s_and_saveexec_b64 s[6:7], s[4:5]
	s_cbranch_execz .LBB40_1576
.LBB40_1575:
	v_and_b32_e32 v14, 7, v11
	v_ffbh_u32_e32 v21, v14
	v_min_u32_e32 v21, 32, v21
	v_lshrrev_b16_e32 v20, 3, v11
	v_subrev_u32_e32 v22, 28, v21
	v_and_b32_e32 v20, 15, v20
	v_lshlrev_b32_e32 v22, v22, v11
	v_sub_u32_e32 v21, 29, v21
	v_and_b32_e32 v22, 7, v22
	v_cmp_eq_u16_e32 vcc, 0, v20
	v_cndmask_b32_e32 v14, v14, v22, vcc
	v_cndmask_b32_e32 v20, v20, v21, vcc
	v_lshlrev_b32_e32 v21, 24, v11
	v_mov_b32_e32 v22, 0x3b800000
	v_lshlrev_b32_e32 v14, 20, v14
	v_and_b32_e32 v21, 0x80000000, v21
	v_lshl_add_u32 v20, v20, 23, v22
	v_or3_b32 v14, v21, v20, v14
.LBB40_1576:
	s_or_b64 exec, exec, s[6:7]
	s_nop 0
	v_mfma_f32_16x16x4f32 a[0:3], v10, v14, a[0:3]
	v_lshrrev_b32_e32 v14, 8, v15
	s_movk_i32 s4, 0x7f
	v_cmp_gt_i16_sdwa s[6:7], v14, s4 src0_sel:BYTE_0 src1_sel:DWORD
	s_mov_b64 s[4:5], 0
                                        ; implicit-def: $sgpr10
	s_and_saveexec_b64 s[8:9], s[6:7]
	s_xor_b64 s[6:7], exec, s[8:9]
	s_cbranch_execnz .LBB40_3625
; %bb.1577:
	s_or_saveexec_b64 s[6:7], s[6:7]
	v_mov_b32_e32 v10, s10
	s_xor_b64 exec, exec, s[6:7]
	s_cbranch_execnz .LBB40_3628
.LBB40_1578:
	s_or_b64 exec, exec, s[6:7]
	s_and_saveexec_b64 s[6:7], s[4:5]
	s_cbranch_execz .LBB40_1580
.LBB40_1579:
	v_bfe_u32 v10, v15, 8, 3
	v_ffbh_u32_e32 v21, v10
	v_min_u32_e32 v21, 32, v21
	v_lshrrev_b16_e32 v20, 3, v14
	v_subrev_u32_e32 v22, 28, v21
	v_and_b32_e32 v20, 15, v20
	v_lshlrev_b32_e32 v14, v22, v14
	v_sub_u32_e32 v21, 29, v21
	v_and_b32_e32 v14, 7, v14
	v_cmp_eq_u16_e32 vcc, 0, v20
	v_cndmask_b32_e32 v10, v10, v14, vcc
	v_cndmask_b32_e32 v14, v20, v21, vcc
	v_lshlrev_b32_e32 v20, 16, v15
	v_mov_b32_e32 v21, 0x3b800000
	v_lshlrev_b32_e32 v10, 20, v10
	v_and_b32_e32 v20, 0x80000000, v20
	v_lshl_add_u32 v14, v14, 23, v21
	v_or3_b32 v10, v20, v14, v10
.LBB40_1580:
	s_or_b64 exec, exec, s[6:7]
	v_lshrrev_b32_e32 v14, 8, v11
	s_movk_i32 s4, 0x7f
	v_cmp_gt_i16_sdwa s[6:7], v14, s4 src0_sel:BYTE_0 src1_sel:DWORD
	s_mov_b64 s[4:5], 0
                                        ; implicit-def: $sgpr10
	s_and_saveexec_b64 s[8:9], s[6:7]
	s_xor_b64 s[6:7], exec, s[8:9]
	s_cbranch_execnz .LBB40_3629
; %bb.1581:
	s_or_saveexec_b64 s[6:7], s[6:7]
	v_mov_b32_e32 v20, s10
	s_xor_b64 exec, exec, s[6:7]
	s_cbranch_execnz .LBB40_3632
.LBB40_1582:
	s_or_b64 exec, exec, s[6:7]
	s_and_saveexec_b64 s[6:7], s[4:5]
	s_cbranch_execz .LBB40_1584
.LBB40_1583:
	v_bfe_u32 v20, v11, 8, 3
	v_ffbh_u32_e32 v22, v20
	v_min_u32_e32 v22, 32, v22
	v_lshrrev_b16_e32 v21, 3, v14
	v_subrev_u32_e32 v23, 28, v22
	v_and_b32_e32 v21, 15, v21
	v_lshlrev_b32_e32 v14, v23, v14
	v_sub_u32_e32 v22, 29, v22
	v_and_b32_e32 v14, 7, v14
	v_cmp_eq_u16_e32 vcc, 0, v21
	v_cndmask_b32_e32 v14, v20, v14, vcc
	v_cndmask_b32_e32 v20, v21, v22, vcc
	v_lshlrev_b32_e32 v21, 16, v11
	v_mov_b32_e32 v22, 0x3b800000
	v_lshlrev_b32_e32 v14, 20, v14
	v_and_b32_e32 v21, 0x80000000, v21
	v_lshl_add_u32 v20, v20, 23, v22
	v_or3_b32 v20, v21, v20, v14
.LBB40_1584:
	s_or_b64 exec, exec, s[6:7]
	s_nop 0
	v_mfma_f32_16x16x4f32 a[0:3], v10, v20, a[0:3]
	s_movk_i32 s4, 0xff
	v_and_b32_sdwa v14, v15, s4 dst_sel:DWORD dst_unused:UNUSED_PAD src0_sel:WORD_1 src1_sel:DWORD
	s_movk_i32 s4, 0x7f
	v_cmp_lt_i16_e32 vcc, s4, v14
	s_mov_b64 s[4:5], 0
                                        ; implicit-def: $sgpr10
	s_and_saveexec_b64 s[6:7], vcc
	s_xor_b64 s[6:7], exec, s[6:7]
	s_cbranch_execnz .LBB40_3633
; %bb.1585:
	s_or_saveexec_b64 s[6:7], s[6:7]
	v_mov_b32_e32 v10, s10
	s_xor_b64 exec, exec, s[6:7]
	s_cbranch_execnz .LBB40_3636
.LBB40_1586:
	s_or_b64 exec, exec, s[6:7]
	s_and_saveexec_b64 s[6:7], s[4:5]
	s_cbranch_execz .LBB40_1588
.LBB40_1587:
	v_bfe_u32 v10, v15, 16, 3
	v_ffbh_u32_e32 v21, v10
	v_min_u32_e32 v21, 32, v21
	v_lshrrev_b32_e32 v14, 19, v15
	v_subrev_u32_e32 v22, 28, v21
	v_and_b32_e32 v14, 15, v14
	v_lshlrev_b32_sdwa v22, v22, v15 dst_sel:DWORD dst_unused:UNUSED_PAD src0_sel:DWORD src1_sel:WORD_1
	v_bfe_u32 v20, v15, 19, 4
	v_sub_u32_e32 v21, 29, v21
	v_and_b32_e32 v22, 7, v22
	v_cmp_eq_u16_e32 vcc, 0, v14
	v_cndmask_b32_e32 v10, v10, v22, vcc
	v_cndmask_b32_e32 v14, v20, v21, vcc
	v_lshlrev_b32_e32 v20, 8, v15
	v_mov_b32_e32 v21, 0x3b800000
	v_lshlrev_b32_e32 v10, 20, v10
	v_and_b32_e32 v20, 0x80000000, v20
	v_lshl_add_u32 v14, v14, 23, v21
	v_or3_b32 v10, v20, v14, v10
.LBB40_1588:
	s_or_b64 exec, exec, s[6:7]
	s_movk_i32 s4, 0xff
	v_and_b32_sdwa v14, v11, s4 dst_sel:DWORD dst_unused:UNUSED_PAD src0_sel:WORD_1 src1_sel:DWORD
	s_movk_i32 s4, 0x7f
	v_cmp_lt_i16_e32 vcc, s4, v14
	s_mov_b64 s[4:5], 0
                                        ; implicit-def: $sgpr10
	s_and_saveexec_b64 s[6:7], vcc
	s_xor_b64 s[6:7], exec, s[6:7]
	s_cbranch_execnz .LBB40_3637
; %bb.1589:
	s_or_saveexec_b64 s[6:7], s[6:7]
	v_mov_b32_e32 v20, s10
	s_xor_b64 exec, exec, s[6:7]
	s_cbranch_execnz .LBB40_3640
.LBB40_1590:
	s_or_b64 exec, exec, s[6:7]
	s_and_saveexec_b64 s[6:7], s[4:5]
	s_cbranch_execz .LBB40_1592
.LBB40_1591:
	v_bfe_u32 v14, v11, 16, 3
	v_ffbh_u32_e32 v22, v14
	v_min_u32_e32 v22, 32, v22
	v_lshrrev_b32_e32 v20, 19, v11
	v_subrev_u32_e32 v23, 28, v22
	v_and_b32_e32 v20, 15, v20
	v_lshlrev_b32_sdwa v23, v23, v11 dst_sel:DWORD dst_unused:UNUSED_PAD src0_sel:DWORD src1_sel:WORD_1
	v_bfe_u32 v21, v11, 19, 4
	v_sub_u32_e32 v22, 29, v22
	v_and_b32_e32 v23, 7, v23
	v_cmp_eq_u16_e32 vcc, 0, v20
	v_cndmask_b32_e32 v14, v14, v23, vcc
	v_cndmask_b32_e32 v20, v21, v22, vcc
	v_lshlrev_b32_e32 v21, 8, v11
	v_mov_b32_e32 v22, 0x3b800000
	v_lshlrev_b32_e32 v14, 20, v14
	v_and_b32_e32 v21, 0x80000000, v21
	v_lshl_add_u32 v20, v20, 23, v22
	v_or3_b32 v20, v21, v20, v14
.LBB40_1592:
	s_or_b64 exec, exec, s[6:7]
	s_nop 0
	v_mfma_f32_16x16x4f32 a[0:3], v10, v20, a[0:3]
	s_movk_i32 s4, 0x7f
	v_cmp_gt_i16_sdwa s[6:7], v15, s4 src0_sel:BYTE_3 src1_sel:DWORD
	s_mov_b64 s[4:5], 0
                                        ; implicit-def: $sgpr10
	s_and_saveexec_b64 s[8:9], s[6:7]
	s_xor_b64 s[6:7], exec, s[8:9]
	s_cbranch_execnz .LBB40_3641
; %bb.1593:
	s_or_saveexec_b64 s[6:7], s[6:7]
	v_mov_b32_e32 v10, s10
	s_xor_b64 exec, exec, s[6:7]
	s_cbranch_execnz .LBB40_3644
.LBB40_1594:
	s_or_b64 exec, exec, s[6:7]
	s_and_saveexec_b64 s[6:7], s[4:5]
	s_cbranch_execz .LBB40_1596
.LBB40_1595:
	v_bfe_u32 v10, v15, 24, 3
	v_ffbh_u32_e32 v22, v10
	v_min_u32_e32 v22, 32, v22
	v_lshrrev_b32_e32 v20, 27, v15
	v_subrev_u32_e32 v23, 28, v22
	v_and_b32_e32 v14, 0x80000000, v15
	v_and_b32_e32 v20, 15, v20
	v_bfe_u32 v21, v15, 27, 4
	v_lshlrev_b32_sdwa v15, v23, v15 dst_sel:DWORD dst_unused:UNUSED_PAD src0_sel:DWORD src1_sel:BYTE_3
	v_sub_u32_e32 v22, 29, v22
	v_and_b32_e32 v15, 7, v15
	v_cmp_eq_u16_e32 vcc, 0, v20
	v_cndmask_b32_e32 v10, v10, v15, vcc
	v_cndmask_b32_e32 v15, v21, v22, vcc
	v_mov_b32_e32 v20, 0x3b800000
	v_lshlrev_b32_e32 v10, 20, v10
	v_lshl_add_u32 v15, v15, 23, v20
	v_or3_b32 v10, v14, v15, v10
.LBB40_1596:
	s_or_b64 exec, exec, s[6:7]
	s_movk_i32 s4, 0x7f
	v_cmp_gt_i16_sdwa s[6:7], v11, s4 src0_sel:BYTE_3 src1_sel:DWORD
	s_mov_b64 s[4:5], 0
                                        ; implicit-def: $sgpr10
	s_and_saveexec_b64 s[8:9], s[6:7]
	s_xor_b64 s[6:7], exec, s[8:9]
	s_cbranch_execnz .LBB40_3645
; %bb.1597:
	s_or_saveexec_b64 s[6:7], s[6:7]
	v_mov_b32_e32 v14, s10
	s_xor_b64 exec, exec, s[6:7]
	s_cbranch_execnz .LBB40_3648
.LBB40_1598:
	s_or_b64 exec, exec, s[6:7]
	s_and_saveexec_b64 s[6:7], s[4:5]
	s_cbranch_execz .LBB40_1600
.LBB40_1599:
	v_bfe_u32 v14, v11, 24, 3
	v_ffbh_u32_e32 v22, v14
	v_min_u32_e32 v22, 32, v22
	v_lshrrev_b32_e32 v20, 27, v11
	v_subrev_u32_e32 v23, 28, v22
	v_and_b32_e32 v15, 0x80000000, v11
	v_and_b32_e32 v20, 15, v20
	v_bfe_u32 v21, v11, 27, 4
	v_lshlrev_b32_sdwa v11, v23, v11 dst_sel:DWORD dst_unused:UNUSED_PAD src0_sel:DWORD src1_sel:BYTE_3
	v_sub_u32_e32 v22, 29, v22
	v_and_b32_e32 v11, 7, v11
	v_cmp_eq_u16_e32 vcc, 0, v20
	v_cndmask_b32_e32 v11, v14, v11, vcc
	v_cndmask_b32_e32 v14, v21, v22, vcc
	v_mov_b32_e32 v20, 0x3b800000
	v_lshlrev_b32_e32 v11, 20, v11
	v_lshl_add_u32 v14, v14, 23, v20
	v_or3_b32 v14, v15, v14, v11
.LBB40_1600:
	s_or_b64 exec, exec, s[6:7]
	s_nop 0
	v_mfma_f32_16x16x4f32 a[0:3], v10, v14, a[0:3]
	s_movk_i32 s4, 0x7f
	v_cmp_gt_i16_sdwa s[6:7], v16, s4 src0_sel:BYTE_0 src1_sel:DWORD
	s_mov_b64 s[4:5], 0
                                        ; implicit-def: $sgpr10
	s_and_saveexec_b64 s[8:9], s[6:7]
	s_xor_b64 s[6:7], exec, s[8:9]
	s_cbranch_execnz .LBB40_3649
; %bb.1601:
	s_or_saveexec_b64 s[6:7], s[6:7]
	v_mov_b32_e32 v10, s10
	s_xor_b64 exec, exec, s[6:7]
	s_cbranch_execnz .LBB40_3652
.LBB40_1602:
	s_or_b64 exec, exec, s[6:7]
	s_and_saveexec_b64 s[6:7], s[4:5]
	s_cbranch_execz .LBB40_1604
.LBB40_1603:
	v_and_b32_e32 v10, 7, v16
	v_ffbh_u32_e32 v14, v10
	v_min_u32_e32 v14, 32, v14
	v_lshrrev_b16_e32 v11, 3, v16
	v_subrev_u32_e32 v15, 28, v14
	v_and_b32_e32 v11, 15, v11
	v_lshlrev_b32_e32 v15, v15, v16
	v_sub_u32_e32 v14, 29, v14
	v_and_b32_e32 v15, 7, v15
	v_cmp_eq_u16_e32 vcc, 0, v11
	v_cndmask_b32_e32 v10, v10, v15, vcc
	v_cndmask_b32_e32 v11, v11, v14, vcc
	v_lshlrev_b32_e32 v14, 24, v16
	v_mov_b32_e32 v15, 0x3b800000
	v_lshlrev_b32_e32 v10, 20, v10
	v_and_b32_e32 v14, 0x80000000, v14
	v_lshl_add_u32 v11, v11, 23, v15
	v_or3_b32 v10, v14, v11, v10
.LBB40_1604:
	s_or_b64 exec, exec, s[6:7]
	s_movk_i32 s4, 0x7f
	v_cmp_gt_i16_sdwa s[6:7], v12, s4 src0_sel:BYTE_0 src1_sel:DWORD
	s_mov_b64 s[4:5], 0
                                        ; implicit-def: $sgpr10
	s_and_saveexec_b64 s[8:9], s[6:7]
	s_xor_b64 s[6:7], exec, s[8:9]
	s_cbranch_execnz .LBB40_3653
; %bb.1605:
	s_or_saveexec_b64 s[6:7], s[6:7]
	v_mov_b32_e32 v11, s10
	s_xor_b64 exec, exec, s[6:7]
	s_cbranch_execnz .LBB40_3656
.LBB40_1606:
	s_or_b64 exec, exec, s[6:7]
	s_and_saveexec_b64 s[6:7], s[4:5]
	s_cbranch_execz .LBB40_1608
.LBB40_1607:
	v_and_b32_e32 v11, 7, v12
	v_ffbh_u32_e32 v15, v11
	v_min_u32_e32 v15, 32, v15
	v_lshrrev_b16_e32 v14, 3, v12
	v_subrev_u32_e32 v20, 28, v15
	v_and_b32_e32 v14, 15, v14
	v_lshlrev_b32_e32 v20, v20, v12
	v_sub_u32_e32 v15, 29, v15
	v_and_b32_e32 v20, 7, v20
	v_cmp_eq_u16_e32 vcc, 0, v14
	v_cndmask_b32_e32 v11, v11, v20, vcc
	v_cndmask_b32_e32 v14, v14, v15, vcc
	v_lshlrev_b32_e32 v15, 24, v12
	v_mov_b32_e32 v20, 0x3b800000
	v_lshlrev_b32_e32 v11, 20, v11
	v_and_b32_e32 v15, 0x80000000, v15
	v_lshl_add_u32 v14, v14, 23, v20
	v_or3_b32 v11, v15, v14, v11
.LBB40_1608:
	s_or_b64 exec, exec, s[6:7]
	s_nop 0
	v_mfma_f32_16x16x4f32 a[0:3], v10, v11, a[0:3]
	v_lshrrev_b32_e32 v11, 8, v16
	s_movk_i32 s4, 0x7f
	v_cmp_gt_i16_sdwa s[6:7], v11, s4 src0_sel:BYTE_0 src1_sel:DWORD
	s_mov_b64 s[4:5], 0
                                        ; implicit-def: $sgpr10
	s_and_saveexec_b64 s[8:9], s[6:7]
	s_xor_b64 s[6:7], exec, s[8:9]
	s_cbranch_execnz .LBB40_3657
; %bb.1609:
	s_or_saveexec_b64 s[6:7], s[6:7]
	v_mov_b32_e32 v10, s10
	s_xor_b64 exec, exec, s[6:7]
	s_cbranch_execnz .LBB40_3660
.LBB40_1610:
	s_or_b64 exec, exec, s[6:7]
	s_and_saveexec_b64 s[6:7], s[4:5]
	s_cbranch_execz .LBB40_1612
.LBB40_1611:
	v_bfe_u32 v10, v16, 8, 3
	v_ffbh_u32_e32 v15, v10
	v_min_u32_e32 v15, 32, v15
	v_lshrrev_b16_e32 v14, 3, v11
	v_subrev_u32_e32 v20, 28, v15
	v_and_b32_e32 v14, 15, v14
	v_lshlrev_b32_e32 v11, v20, v11
	v_sub_u32_e32 v15, 29, v15
	v_and_b32_e32 v11, 7, v11
	v_cmp_eq_u16_e32 vcc, 0, v14
	v_cndmask_b32_e32 v10, v10, v11, vcc
	v_cndmask_b32_e32 v11, v14, v15, vcc
	v_lshlrev_b32_e32 v14, 16, v16
	v_mov_b32_e32 v15, 0x3b800000
	v_lshlrev_b32_e32 v10, 20, v10
	v_and_b32_e32 v14, 0x80000000, v14
	v_lshl_add_u32 v11, v11, 23, v15
	v_or3_b32 v10, v14, v11, v10
.LBB40_1612:
	s_or_b64 exec, exec, s[6:7]
	v_lshrrev_b32_e32 v11, 8, v12
	s_movk_i32 s4, 0x7f
	v_cmp_gt_i16_sdwa s[6:7], v11, s4 src0_sel:BYTE_0 src1_sel:DWORD
	s_mov_b64 s[4:5], 0
                                        ; implicit-def: $sgpr10
	s_and_saveexec_b64 s[8:9], s[6:7]
	s_xor_b64 s[6:7], exec, s[8:9]
	s_cbranch_execnz .LBB40_3661
; %bb.1613:
	s_or_saveexec_b64 s[6:7], s[6:7]
	v_mov_b32_e32 v14, s10
	s_xor_b64 exec, exec, s[6:7]
	s_cbranch_execnz .LBB40_3664
.LBB40_1614:
	s_or_b64 exec, exec, s[6:7]
	s_and_saveexec_b64 s[6:7], s[4:5]
	s_cbranch_execz .LBB40_1616
.LBB40_1615:
	v_bfe_u32 v14, v12, 8, 3
	v_ffbh_u32_e32 v20, v14
	v_min_u32_e32 v20, 32, v20
	v_lshrrev_b16_e32 v15, 3, v11
	v_subrev_u32_e32 v21, 28, v20
	v_and_b32_e32 v15, 15, v15
	v_lshlrev_b32_e32 v11, v21, v11
	v_sub_u32_e32 v20, 29, v20
	v_and_b32_e32 v11, 7, v11
	v_cmp_eq_u16_e32 vcc, 0, v15
	v_cndmask_b32_e32 v11, v14, v11, vcc
	v_cndmask_b32_e32 v14, v15, v20, vcc
	v_lshlrev_b32_e32 v15, 16, v12
	v_mov_b32_e32 v20, 0x3b800000
	v_lshlrev_b32_e32 v11, 20, v11
	v_and_b32_e32 v15, 0x80000000, v15
	v_lshl_add_u32 v14, v14, 23, v20
	v_or3_b32 v14, v15, v14, v11
.LBB40_1616:
	s_or_b64 exec, exec, s[6:7]
	s_nop 0
	v_mfma_f32_16x16x4f32 a[0:3], v10, v14, a[0:3]
	s_movk_i32 s4, 0xff
	v_and_b32_sdwa v11, v16, s4 dst_sel:DWORD dst_unused:UNUSED_PAD src0_sel:WORD_1 src1_sel:DWORD
	s_movk_i32 s4, 0x7f
	v_cmp_lt_i16_e32 vcc, s4, v11
	s_mov_b64 s[4:5], 0
                                        ; implicit-def: $sgpr10
	s_and_saveexec_b64 s[6:7], vcc
	s_xor_b64 s[6:7], exec, s[6:7]
	s_cbranch_execnz .LBB40_3665
; %bb.1617:
	s_or_saveexec_b64 s[6:7], s[6:7]
	v_mov_b32_e32 v10, s10
	s_xor_b64 exec, exec, s[6:7]
	s_cbranch_execnz .LBB40_3668
.LBB40_1618:
	s_or_b64 exec, exec, s[6:7]
	s_and_saveexec_b64 s[6:7], s[4:5]
	s_cbranch_execz .LBB40_1620
.LBB40_1619:
	v_bfe_u32 v10, v16, 16, 3
	v_ffbh_u32_e32 v15, v10
	v_min_u32_e32 v15, 32, v15
	v_lshrrev_b32_e32 v11, 19, v16
	v_subrev_u32_e32 v20, 28, v15
	v_and_b32_e32 v11, 15, v11
	v_lshlrev_b32_sdwa v20, v20, v16 dst_sel:DWORD dst_unused:UNUSED_PAD src0_sel:DWORD src1_sel:WORD_1
	v_bfe_u32 v14, v16, 19, 4
	v_sub_u32_e32 v15, 29, v15
	v_and_b32_e32 v20, 7, v20
	v_cmp_eq_u16_e32 vcc, 0, v11
	v_cndmask_b32_e32 v10, v10, v20, vcc
	v_cndmask_b32_e32 v11, v14, v15, vcc
	v_lshlrev_b32_e32 v14, 8, v16
	v_mov_b32_e32 v15, 0x3b800000
	v_lshlrev_b32_e32 v10, 20, v10
	v_and_b32_e32 v14, 0x80000000, v14
	v_lshl_add_u32 v11, v11, 23, v15
	v_or3_b32 v10, v14, v11, v10
.LBB40_1620:
	s_or_b64 exec, exec, s[6:7]
	s_movk_i32 s4, 0xff
	v_and_b32_sdwa v11, v12, s4 dst_sel:DWORD dst_unused:UNUSED_PAD src0_sel:WORD_1 src1_sel:DWORD
	s_movk_i32 s4, 0x7f
	v_cmp_lt_i16_e32 vcc, s4, v11
	s_mov_b64 s[4:5], 0
                                        ; implicit-def: $sgpr10
	s_and_saveexec_b64 s[6:7], vcc
	s_xor_b64 s[6:7], exec, s[6:7]
	s_cbranch_execnz .LBB40_3669
; %bb.1621:
	s_or_saveexec_b64 s[6:7], s[6:7]
	v_mov_b32_e32 v14, s10
	s_xor_b64 exec, exec, s[6:7]
	s_cbranch_execnz .LBB40_3672
.LBB40_1622:
	s_or_b64 exec, exec, s[6:7]
	s_and_saveexec_b64 s[6:7], s[4:5]
	s_cbranch_execz .LBB40_1624
.LBB40_1623:
	v_bfe_u32 v11, v12, 16, 3
	v_ffbh_u32_e32 v20, v11
	v_min_u32_e32 v20, 32, v20
	v_lshrrev_b32_e32 v14, 19, v12
	v_subrev_u32_e32 v21, 28, v20
	v_and_b32_e32 v14, 15, v14
	v_lshlrev_b32_sdwa v21, v21, v12 dst_sel:DWORD dst_unused:UNUSED_PAD src0_sel:DWORD src1_sel:WORD_1
	v_bfe_u32 v15, v12, 19, 4
	v_sub_u32_e32 v20, 29, v20
	v_and_b32_e32 v21, 7, v21
	v_cmp_eq_u16_e32 vcc, 0, v14
	v_cndmask_b32_e32 v11, v11, v21, vcc
	v_cndmask_b32_e32 v14, v15, v20, vcc
	v_lshlrev_b32_e32 v15, 8, v12
	v_mov_b32_e32 v20, 0x3b800000
	v_lshlrev_b32_e32 v11, 20, v11
	v_and_b32_e32 v15, 0x80000000, v15
	v_lshl_add_u32 v14, v14, 23, v20
	v_or3_b32 v14, v15, v14, v11
.LBB40_1624:
	s_or_b64 exec, exec, s[6:7]
	s_nop 0
	v_mfma_f32_16x16x4f32 a[0:3], v10, v14, a[0:3]
	s_movk_i32 s4, 0x7f
	v_cmp_gt_i16_sdwa s[6:7], v16, s4 src0_sel:BYTE_3 src1_sel:DWORD
	s_mov_b64 s[4:5], 0
                                        ; implicit-def: $sgpr10
	s_and_saveexec_b64 s[8:9], s[6:7]
	s_xor_b64 s[6:7], exec, s[8:9]
	s_cbranch_execnz .LBB40_3673
; %bb.1625:
	s_or_saveexec_b64 s[6:7], s[6:7]
	v_mov_b32_e32 v10, s10
	s_xor_b64 exec, exec, s[6:7]
	s_cbranch_execnz .LBB40_3676
.LBB40_1626:
	s_or_b64 exec, exec, s[6:7]
	s_and_saveexec_b64 s[6:7], s[4:5]
	s_cbranch_execz .LBB40_1628
.LBB40_1627:
	v_bfe_u32 v10, v16, 24, 3
	v_ffbh_u32_e32 v20, v10
	v_min_u32_e32 v20, 32, v20
	v_lshrrev_b32_e32 v14, 27, v16
	v_subrev_u32_e32 v21, 28, v20
	v_and_b32_e32 v11, 0x80000000, v16
	v_and_b32_e32 v14, 15, v14
	v_bfe_u32 v15, v16, 27, 4
	v_lshlrev_b32_sdwa v16, v21, v16 dst_sel:DWORD dst_unused:UNUSED_PAD src0_sel:DWORD src1_sel:BYTE_3
	v_sub_u32_e32 v20, 29, v20
	v_and_b32_e32 v16, 7, v16
	v_cmp_eq_u16_e32 vcc, 0, v14
	v_cndmask_b32_e32 v10, v10, v16, vcc
	v_cndmask_b32_e32 v14, v15, v20, vcc
	v_mov_b32_e32 v15, 0x3b800000
	v_lshlrev_b32_e32 v10, 20, v10
	v_lshl_add_u32 v14, v14, 23, v15
	v_or3_b32 v10, v11, v14, v10
.LBB40_1628:
	s_or_b64 exec, exec, s[6:7]
	s_movk_i32 s4, 0x7f
	v_cmp_gt_i16_sdwa s[6:7], v12, s4 src0_sel:BYTE_3 src1_sel:DWORD
	s_mov_b64 s[4:5], 0
                                        ; implicit-def: $sgpr10
	s_and_saveexec_b64 s[8:9], s[6:7]
	s_xor_b64 s[6:7], exec, s[8:9]
	s_cbranch_execnz .LBB40_3677
; %bb.1629:
	s_or_saveexec_b64 s[6:7], s[6:7]
	v_mov_b32_e32 v11, s10
	s_xor_b64 exec, exec, s[6:7]
	s_cbranch_execnz .LBB40_3680
.LBB40_1630:
	s_or_b64 exec, exec, s[6:7]
	s_and_saveexec_b64 s[6:7], s[4:5]
	s_cbranch_execz .LBB40_1632
.LBB40_1631:
	v_bfe_u32 v11, v12, 24, 3
	v_ffbh_u32_e32 v20, v11
	v_min_u32_e32 v20, 32, v20
	v_lshrrev_b32_e32 v15, 27, v12
	v_subrev_u32_e32 v21, 28, v20
	v_and_b32_e32 v14, 0x80000000, v12
	v_and_b32_e32 v15, 15, v15
	v_bfe_u32 v16, v12, 27, 4
	v_lshlrev_b32_sdwa v12, v21, v12 dst_sel:DWORD dst_unused:UNUSED_PAD src0_sel:DWORD src1_sel:BYTE_3
	v_sub_u32_e32 v20, 29, v20
	v_and_b32_e32 v12, 7, v12
	v_cmp_eq_u16_e32 vcc, 0, v15
	v_cndmask_b32_e32 v11, v11, v12, vcc
	v_cndmask_b32_e32 v12, v16, v20, vcc
	v_mov_b32_e32 v15, 0x3b800000
	v_lshlrev_b32_e32 v11, 20, v11
	v_lshl_add_u32 v12, v12, 23, v15
	v_or3_b32 v11, v14, v12, v11
.LBB40_1632:
	s_or_b64 exec, exec, s[6:7]
	s_nop 0
	v_mfma_f32_16x16x4f32 a[0:3], v10, v11, a[0:3]
	s_movk_i32 s4, 0x7f
	v_cmp_gt_i16_sdwa s[6:7], v17, s4 src0_sel:BYTE_0 src1_sel:DWORD
	s_mov_b64 s[4:5], 0
                                        ; implicit-def: $sgpr10
	s_and_saveexec_b64 s[8:9], s[6:7]
	s_xor_b64 s[6:7], exec, s[8:9]
	s_cbranch_execnz .LBB40_3681
; %bb.1633:
	s_or_saveexec_b64 s[6:7], s[6:7]
	v_mov_b32_e32 v10, s10
	s_xor_b64 exec, exec, s[6:7]
	s_cbranch_execnz .LBB40_3684
.LBB40_1634:
	s_or_b64 exec, exec, s[6:7]
	s_and_saveexec_b64 s[6:7], s[4:5]
	s_cbranch_execz .LBB40_1636
.LBB40_1635:
	v_and_b32_e32 v10, 7, v17
	v_ffbh_u32_e32 v12, v10
	v_min_u32_e32 v12, 32, v12
	v_lshrrev_b16_e32 v11, 3, v17
	v_subrev_u32_e32 v14, 28, v12
	v_and_b32_e32 v11, 15, v11
	v_lshlrev_b32_e32 v14, v14, v17
	v_sub_u32_e32 v12, 29, v12
	v_and_b32_e32 v14, 7, v14
	v_cmp_eq_u16_e32 vcc, 0, v11
	v_cndmask_b32_e32 v10, v10, v14, vcc
	v_cndmask_b32_e32 v11, v11, v12, vcc
	v_lshlrev_b32_e32 v12, 24, v17
	v_mov_b32_e32 v14, 0x3b800000
	v_lshlrev_b32_e32 v10, 20, v10
	v_and_b32_e32 v12, 0x80000000, v12
	v_lshl_add_u32 v11, v11, 23, v14
	v_or3_b32 v10, v12, v11, v10
.LBB40_1636:
	s_or_b64 exec, exec, s[6:7]
	s_movk_i32 s4, 0x7f
	v_cmp_gt_i16_sdwa s[6:7], v13, s4 src0_sel:BYTE_0 src1_sel:DWORD
	s_mov_b64 s[4:5], 0
                                        ; implicit-def: $sgpr10
	s_and_saveexec_b64 s[8:9], s[6:7]
	s_xor_b64 s[6:7], exec, s[8:9]
	s_cbranch_execnz .LBB40_3685
; %bb.1637:
	s_or_saveexec_b64 s[6:7], s[6:7]
	v_mov_b32_e32 v11, s10
	s_xor_b64 exec, exec, s[6:7]
	s_cbranch_execnz .LBB40_3688
.LBB40_1638:
	s_or_b64 exec, exec, s[6:7]
	s_and_saveexec_b64 s[6:7], s[4:5]
	s_cbranch_execz .LBB40_1640
.LBB40_1639:
	v_and_b32_e32 v11, 7, v13
	v_ffbh_u32_e32 v14, v11
	v_min_u32_e32 v14, 32, v14
	v_lshrrev_b16_e32 v12, 3, v13
	v_subrev_u32_e32 v15, 28, v14
	v_and_b32_e32 v12, 15, v12
	v_lshlrev_b32_e32 v15, v15, v13
	v_sub_u32_e32 v14, 29, v14
	v_and_b32_e32 v15, 7, v15
	v_cmp_eq_u16_e32 vcc, 0, v12
	v_cndmask_b32_e32 v11, v11, v15, vcc
	v_cndmask_b32_e32 v12, v12, v14, vcc
	v_lshlrev_b32_e32 v14, 24, v13
	v_mov_b32_e32 v15, 0x3b800000
	v_lshlrev_b32_e32 v11, 20, v11
	v_and_b32_e32 v14, 0x80000000, v14
	v_lshl_add_u32 v12, v12, 23, v15
	v_or3_b32 v11, v14, v12, v11
.LBB40_1640:
	s_or_b64 exec, exec, s[6:7]
	s_nop 0
	v_mfma_f32_16x16x4f32 a[0:3], v10, v11, a[0:3]
	v_lshrrev_b32_e32 v11, 8, v17
	s_movk_i32 s4, 0x7f
	v_cmp_gt_i16_sdwa s[6:7], v11, s4 src0_sel:BYTE_0 src1_sel:DWORD
	s_mov_b64 s[4:5], 0
                                        ; implicit-def: $sgpr10
	s_and_saveexec_b64 s[8:9], s[6:7]
	s_xor_b64 s[6:7], exec, s[8:9]
	s_cbranch_execnz .LBB40_3689
; %bb.1641:
	s_or_saveexec_b64 s[6:7], s[6:7]
	v_mov_b32_e32 v10, s10
	s_xor_b64 exec, exec, s[6:7]
	s_cbranch_execnz .LBB40_3692
.LBB40_1642:
	s_or_b64 exec, exec, s[6:7]
	s_and_saveexec_b64 s[6:7], s[4:5]
	s_cbranch_execz .LBB40_1644
.LBB40_1643:
	v_bfe_u32 v10, v17, 8, 3
	v_ffbh_u32_e32 v14, v10
	v_min_u32_e32 v14, 32, v14
	v_lshrrev_b16_e32 v12, 3, v11
	v_subrev_u32_e32 v15, 28, v14
	v_and_b32_e32 v12, 15, v12
	v_lshlrev_b32_e32 v11, v15, v11
	v_sub_u32_e32 v14, 29, v14
	v_and_b32_e32 v11, 7, v11
	v_cmp_eq_u16_e32 vcc, 0, v12
	v_cndmask_b32_e32 v10, v10, v11, vcc
	v_cndmask_b32_e32 v11, v12, v14, vcc
	v_lshlrev_b32_e32 v12, 16, v17
	v_mov_b32_e32 v14, 0x3b800000
	v_lshlrev_b32_e32 v10, 20, v10
	v_and_b32_e32 v12, 0x80000000, v12
	v_lshl_add_u32 v11, v11, 23, v14
	v_or3_b32 v10, v12, v11, v10
.LBB40_1644:
	s_or_b64 exec, exec, s[6:7]
	v_lshrrev_b32_e32 v11, 8, v13
	s_movk_i32 s4, 0x7f
	v_cmp_gt_i16_sdwa s[6:7], v11, s4 src0_sel:BYTE_0 src1_sel:DWORD
	s_mov_b64 s[4:5], 0
                                        ; implicit-def: $sgpr10
	s_and_saveexec_b64 s[8:9], s[6:7]
	s_xor_b64 s[6:7], exec, s[8:9]
	s_cbranch_execnz .LBB40_3693
; %bb.1645:
	s_or_saveexec_b64 s[6:7], s[6:7]
	v_mov_b32_e32 v12, s10
	s_xor_b64 exec, exec, s[6:7]
	s_cbranch_execnz .LBB40_3696
.LBB40_1646:
	s_or_b64 exec, exec, s[6:7]
	s_and_saveexec_b64 s[6:7], s[4:5]
	s_cbranch_execz .LBB40_1648
.LBB40_1647:
	v_bfe_u32 v12, v13, 8, 3
	v_ffbh_u32_e32 v15, v12
	v_min_u32_e32 v15, 32, v15
	v_lshrrev_b16_e32 v14, 3, v11
	v_subrev_u32_e32 v16, 28, v15
	v_and_b32_e32 v14, 15, v14
	v_lshlrev_b32_e32 v11, v16, v11
	v_sub_u32_e32 v15, 29, v15
	v_and_b32_e32 v11, 7, v11
	v_cmp_eq_u16_e32 vcc, 0, v14
	v_cndmask_b32_e32 v11, v12, v11, vcc
	v_cndmask_b32_e32 v12, v14, v15, vcc
	v_lshlrev_b32_e32 v14, 16, v13
	v_mov_b32_e32 v15, 0x3b800000
	v_lshlrev_b32_e32 v11, 20, v11
	v_and_b32_e32 v14, 0x80000000, v14
	v_lshl_add_u32 v12, v12, 23, v15
	v_or3_b32 v12, v14, v12, v11
.LBB40_1648:
	s_or_b64 exec, exec, s[6:7]
	s_nop 0
	v_mfma_f32_16x16x4f32 a[0:3], v10, v12, a[0:3]
	s_movk_i32 s4, 0xff
	v_and_b32_sdwa v11, v17, s4 dst_sel:DWORD dst_unused:UNUSED_PAD src0_sel:WORD_1 src1_sel:DWORD
	s_movk_i32 s4, 0x7f
	v_cmp_lt_i16_e32 vcc, s4, v11
	s_mov_b64 s[4:5], 0
                                        ; implicit-def: $sgpr10
	s_and_saveexec_b64 s[6:7], vcc
	s_xor_b64 s[6:7], exec, s[6:7]
	s_cbranch_execnz .LBB40_3697
; %bb.1649:
	s_or_saveexec_b64 s[6:7], s[6:7]
	v_mov_b32_e32 v10, s10
	s_xor_b64 exec, exec, s[6:7]
	s_cbranch_execnz .LBB40_3700
.LBB40_1650:
	s_or_b64 exec, exec, s[6:7]
	s_and_saveexec_b64 s[6:7], s[4:5]
	s_cbranch_execz .LBB40_1652
.LBB40_1651:
	v_bfe_u32 v10, v17, 16, 3
	v_ffbh_u32_e32 v14, v10
	v_min_u32_e32 v14, 32, v14
	v_lshrrev_b32_e32 v11, 19, v17
	v_subrev_u32_e32 v15, 28, v14
	v_and_b32_e32 v11, 15, v11
	v_lshlrev_b32_sdwa v15, v15, v17 dst_sel:DWORD dst_unused:UNUSED_PAD src0_sel:DWORD src1_sel:WORD_1
	v_bfe_u32 v12, v17, 19, 4
	v_sub_u32_e32 v14, 29, v14
	v_and_b32_e32 v15, 7, v15
	v_cmp_eq_u16_e32 vcc, 0, v11
	v_cndmask_b32_e32 v10, v10, v15, vcc
	v_cndmask_b32_e32 v11, v12, v14, vcc
	v_lshlrev_b32_e32 v12, 8, v17
	v_mov_b32_e32 v14, 0x3b800000
	v_lshlrev_b32_e32 v10, 20, v10
	v_and_b32_e32 v12, 0x80000000, v12
	v_lshl_add_u32 v11, v11, 23, v14
	v_or3_b32 v10, v12, v11, v10
.LBB40_1652:
	s_or_b64 exec, exec, s[6:7]
	s_movk_i32 s4, 0xff
	v_and_b32_sdwa v11, v13, s4 dst_sel:DWORD dst_unused:UNUSED_PAD src0_sel:WORD_1 src1_sel:DWORD
	s_movk_i32 s4, 0x7f
	v_cmp_lt_i16_e32 vcc, s4, v11
	s_mov_b64 s[4:5], 0
                                        ; implicit-def: $sgpr10
	s_and_saveexec_b64 s[6:7], vcc
	s_xor_b64 s[6:7], exec, s[6:7]
	s_cbranch_execnz .LBB40_3701
; %bb.1653:
	s_or_saveexec_b64 s[6:7], s[6:7]
	v_mov_b32_e32 v12, s10
	s_xor_b64 exec, exec, s[6:7]
	s_cbranch_execnz .LBB40_3704
.LBB40_1654:
	s_or_b64 exec, exec, s[6:7]
	s_and_saveexec_b64 s[6:7], s[4:5]
	s_cbranch_execz .LBB40_1656
.LBB40_1655:
	v_bfe_u32 v11, v13, 16, 3
	v_ffbh_u32_e32 v15, v11
	v_min_u32_e32 v15, 32, v15
	v_lshrrev_b32_e32 v12, 19, v13
	v_subrev_u32_e32 v16, 28, v15
	v_and_b32_e32 v12, 15, v12
	v_lshlrev_b32_sdwa v16, v16, v13 dst_sel:DWORD dst_unused:UNUSED_PAD src0_sel:DWORD src1_sel:WORD_1
	v_bfe_u32 v14, v13, 19, 4
	v_sub_u32_e32 v15, 29, v15
	v_and_b32_e32 v16, 7, v16
	v_cmp_eq_u16_e32 vcc, 0, v12
	v_cndmask_b32_e32 v11, v11, v16, vcc
	v_cndmask_b32_e32 v12, v14, v15, vcc
	v_lshlrev_b32_e32 v14, 8, v13
	v_mov_b32_e32 v15, 0x3b800000
	v_lshlrev_b32_e32 v11, 20, v11
	v_and_b32_e32 v14, 0x80000000, v14
	v_lshl_add_u32 v12, v12, 23, v15
	v_or3_b32 v12, v14, v12, v11
.LBB40_1656:
	s_or_b64 exec, exec, s[6:7]
	s_nop 0
	v_mfma_f32_16x16x4f32 a[0:3], v10, v12, a[0:3]
	s_movk_i32 s4, 0x7f
	v_cmp_gt_i16_sdwa s[6:7], v17, s4 src0_sel:BYTE_3 src1_sel:DWORD
	s_mov_b64 s[4:5], 0
                                        ; implicit-def: $sgpr10
	s_and_saveexec_b64 s[8:9], s[6:7]
	s_xor_b64 s[6:7], exec, s[8:9]
	s_cbranch_execnz .LBB40_3705
; %bb.1657:
	s_or_saveexec_b64 s[6:7], s[6:7]
	v_mov_b32_e32 v10, s10
	s_xor_b64 exec, exec, s[6:7]
	s_cbranch_execnz .LBB40_3708
.LBB40_1658:
	s_or_b64 exec, exec, s[6:7]
	s_and_saveexec_b64 s[6:7], s[4:5]
	s_cbranch_execz .LBB40_1660
.LBB40_1659:
	v_bfe_u32 v10, v17, 24, 3
	v_ffbh_u32_e32 v15, v10
	v_min_u32_e32 v15, 32, v15
	v_lshrrev_b32_e32 v12, 27, v17
	v_subrev_u32_e32 v16, 28, v15
	v_and_b32_e32 v12, 15, v12
	v_lshlrev_b32_sdwa v16, v16, v17 dst_sel:DWORD dst_unused:UNUSED_PAD src0_sel:DWORD src1_sel:BYTE_3
	v_bfe_u32 v14, v17, 27, 4
	v_sub_u32_e32 v15, 29, v15
	v_and_b32_e32 v16, 7, v16
	v_cmp_eq_u16_e32 vcc, 0, v12
	v_cndmask_b32_e32 v10, v10, v16, vcc
	v_cndmask_b32_e32 v12, v14, v15, vcc
	v_mov_b32_e32 v14, 0x3b800000
	v_and_b32_e32 v11, 0x80000000, v17
	v_lshlrev_b32_e32 v10, 20, v10
	v_lshl_add_u32 v12, v12, 23, v14
	v_or3_b32 v10, v11, v12, v10
.LBB40_1660:
	s_or_b64 exec, exec, s[6:7]
	s_movk_i32 s4, 0x7f
	v_cmp_gt_i16_sdwa s[6:7], v13, s4 src0_sel:BYTE_3 src1_sel:DWORD
	s_mov_b64 s[4:5], 0
                                        ; implicit-def: $sgpr10
	s_and_saveexec_b64 s[8:9], s[6:7]
	s_xor_b64 s[6:7], exec, s[8:9]
	s_cbranch_execnz .LBB40_3709
; %bb.1661:
	s_or_saveexec_b64 s[6:7], s[6:7]
	v_mov_b32_e32 v11, s10
	s_xor_b64 exec, exec, s[6:7]
	s_cbranch_execnz .LBB40_3712
.LBB40_1662:
	s_or_b64 exec, exec, s[6:7]
	s_and_saveexec_b64 s[6:7], s[4:5]
	s_cbranch_execz .LBB40_1664
.LBB40_1663:
	v_bfe_u32 v11, v13, 24, 3
	v_ffbh_u32_e32 v16, v11
	v_min_u32_e32 v16, 32, v16
	v_lshrrev_b32_e32 v14, 27, v13
	v_subrev_u32_e32 v17, 28, v16
	v_and_b32_e32 v12, 0x80000000, v13
	v_and_b32_e32 v14, 15, v14
	v_bfe_u32 v15, v13, 27, 4
	v_lshlrev_b32_sdwa v13, v17, v13 dst_sel:DWORD dst_unused:UNUSED_PAD src0_sel:DWORD src1_sel:BYTE_3
	v_sub_u32_e32 v16, 29, v16
	v_and_b32_e32 v13, 7, v13
	v_cmp_eq_u16_e32 vcc, 0, v14
	v_cndmask_b32_e32 v11, v11, v13, vcc
	v_cndmask_b32_e32 v13, v15, v16, vcc
	v_mov_b32_e32 v14, 0x3b800000
	v_lshlrev_b32_e32 v11, 20, v11
	v_lshl_add_u32 v13, v13, 23, v14
	v_or3_b32 v11, v12, v13, v11
.LBB40_1664:
	s_or_b64 exec, exec, s[6:7]
	s_nop 0
	v_mfma_f32_16x16x4f32 a[0:3], v10, v11, a[0:3]
	s_movk_i32 s4, 0x7f
	v_cmp_gt_i16_sdwa s[6:7], v6, s4 src0_sel:BYTE_0 src1_sel:DWORD
	s_mov_b64 s[4:5], 0
                                        ; implicit-def: $sgpr10
	s_and_saveexec_b64 s[8:9], s[6:7]
	s_xor_b64 s[6:7], exec, s[8:9]
	s_cbranch_execnz .LBB40_3713
; %bb.1665:
	s_or_saveexec_b64 s[6:7], s[6:7]
	v_mov_b32_e32 v10, s10
	s_xor_b64 exec, exec, s[6:7]
	s_cbranch_execnz .LBB40_3716
.LBB40_1666:
	s_or_b64 exec, exec, s[6:7]
	s_and_saveexec_b64 s[6:7], s[4:5]
	s_cbranch_execz .LBB40_1668
.LBB40_1667:
	v_and_b32_e32 v10, 7, v6
	v_ffbh_u32_e32 v12, v10
	v_min_u32_e32 v12, 32, v12
	v_lshrrev_b16_e32 v11, 3, v6
	v_subrev_u32_e32 v13, 28, v12
	v_and_b32_e32 v11, 15, v11
	v_lshlrev_b32_e32 v13, v13, v6
	v_sub_u32_e32 v12, 29, v12
	v_and_b32_e32 v13, 7, v13
	v_cmp_eq_u16_e32 vcc, 0, v11
	v_cndmask_b32_e32 v10, v10, v13, vcc
	v_cndmask_b32_e32 v11, v11, v12, vcc
	v_lshlrev_b32_e32 v12, 24, v6
	v_mov_b32_e32 v13, 0x3b800000
	v_lshlrev_b32_e32 v10, 20, v10
	v_and_b32_e32 v12, 0x80000000, v12
	v_lshl_add_u32 v11, v11, 23, v13
	v_or3_b32 v10, v12, v11, v10
.LBB40_1668:
	s_or_b64 exec, exec, s[6:7]
	s_movk_i32 s4, 0x7f
	v_cmp_gt_i16_sdwa s[6:7], v2, s4 src0_sel:BYTE_0 src1_sel:DWORD
	s_mov_b64 s[4:5], 0
                                        ; implicit-def: $sgpr10
	s_and_saveexec_b64 s[8:9], s[6:7]
	s_xor_b64 s[6:7], exec, s[8:9]
	s_cbranch_execnz .LBB40_3717
; %bb.1669:
	s_or_saveexec_b64 s[6:7], s[6:7]
	v_mov_b32_e32 v11, s10
	s_xor_b64 exec, exec, s[6:7]
	s_cbranch_execnz .LBB40_3720
.LBB40_1670:
	s_or_b64 exec, exec, s[6:7]
	s_and_saveexec_b64 s[6:7], s[4:5]
	s_cbranch_execz .LBB40_1672
.LBB40_1671:
	v_and_b32_e32 v11, 7, v2
	v_ffbh_u32_e32 v13, v11
	v_min_u32_e32 v13, 32, v13
	v_lshrrev_b16_e32 v12, 3, v2
	v_subrev_u32_e32 v14, 28, v13
	v_and_b32_e32 v12, 15, v12
	v_lshlrev_b32_e32 v14, v14, v2
	v_sub_u32_e32 v13, 29, v13
	v_and_b32_e32 v14, 7, v14
	v_cmp_eq_u16_e32 vcc, 0, v12
	v_cndmask_b32_e32 v11, v11, v14, vcc
	v_cndmask_b32_e32 v12, v12, v13, vcc
	v_lshlrev_b32_e32 v13, 24, v2
	v_mov_b32_e32 v14, 0x3b800000
	v_lshlrev_b32_e32 v11, 20, v11
	v_and_b32_e32 v13, 0x80000000, v13
	v_lshl_add_u32 v12, v12, 23, v14
	v_or3_b32 v11, v13, v12, v11
.LBB40_1672:
	s_or_b64 exec, exec, s[6:7]
	s_nop 0
	v_mfma_f32_16x16x4f32 a[0:3], v10, v11, a[0:3]
	v_lshrrev_b32_e32 v11, 8, v6
	s_movk_i32 s4, 0x7f
	v_cmp_gt_i16_sdwa s[6:7], v11, s4 src0_sel:BYTE_0 src1_sel:DWORD
	s_mov_b64 s[4:5], 0
                                        ; implicit-def: $sgpr10
	s_and_saveexec_b64 s[8:9], s[6:7]
	s_xor_b64 s[6:7], exec, s[8:9]
	s_cbranch_execnz .LBB40_3721
; %bb.1673:
	s_or_saveexec_b64 s[6:7], s[6:7]
	v_mov_b32_e32 v10, s10
	s_xor_b64 exec, exec, s[6:7]
	s_cbranch_execnz .LBB40_3724
.LBB40_1674:
	s_or_b64 exec, exec, s[6:7]
	s_and_saveexec_b64 s[6:7], s[4:5]
	s_cbranch_execz .LBB40_1676
.LBB40_1675:
	v_bfe_u32 v10, v6, 8, 3
	v_ffbh_u32_e32 v13, v10
	v_min_u32_e32 v13, 32, v13
	v_lshrrev_b16_e32 v12, 3, v11
	v_subrev_u32_e32 v14, 28, v13
	v_and_b32_e32 v12, 15, v12
	v_lshlrev_b32_e32 v11, v14, v11
	v_sub_u32_e32 v13, 29, v13
	v_and_b32_e32 v11, 7, v11
	v_cmp_eq_u16_e32 vcc, 0, v12
	v_cndmask_b32_e32 v10, v10, v11, vcc
	v_cndmask_b32_e32 v11, v12, v13, vcc
	v_lshlrev_b32_e32 v12, 16, v6
	v_mov_b32_e32 v13, 0x3b800000
	v_lshlrev_b32_e32 v10, 20, v10
	v_and_b32_e32 v12, 0x80000000, v12
	v_lshl_add_u32 v11, v11, 23, v13
	v_or3_b32 v10, v12, v11, v10
.LBB40_1676:
	s_or_b64 exec, exec, s[6:7]
	v_lshrrev_b32_e32 v11, 8, v2
	s_movk_i32 s4, 0x7f
	v_cmp_gt_i16_sdwa s[6:7], v11, s4 src0_sel:BYTE_0 src1_sel:DWORD
	s_mov_b64 s[4:5], 0
                                        ; implicit-def: $sgpr10
	s_and_saveexec_b64 s[8:9], s[6:7]
	s_xor_b64 s[6:7], exec, s[8:9]
	s_cbranch_execnz .LBB40_3725
; %bb.1677:
	s_or_saveexec_b64 s[6:7], s[6:7]
	v_mov_b32_e32 v12, s10
	s_xor_b64 exec, exec, s[6:7]
	s_cbranch_execnz .LBB40_3728
.LBB40_1678:
	s_or_b64 exec, exec, s[6:7]
	s_and_saveexec_b64 s[6:7], s[4:5]
	s_cbranch_execz .LBB40_1680
.LBB40_1679:
	v_bfe_u32 v12, v2, 8, 3
	v_ffbh_u32_e32 v14, v12
	v_min_u32_e32 v14, 32, v14
	v_lshrrev_b16_e32 v13, 3, v11
	v_subrev_u32_e32 v15, 28, v14
	v_and_b32_e32 v13, 15, v13
	v_lshlrev_b32_e32 v11, v15, v11
	v_sub_u32_e32 v14, 29, v14
	v_and_b32_e32 v11, 7, v11
	v_cmp_eq_u16_e32 vcc, 0, v13
	v_cndmask_b32_e32 v11, v12, v11, vcc
	v_cndmask_b32_e32 v12, v13, v14, vcc
	v_lshlrev_b32_e32 v13, 16, v2
	v_mov_b32_e32 v14, 0x3b800000
	v_lshlrev_b32_e32 v11, 20, v11
	v_and_b32_e32 v13, 0x80000000, v13
	v_lshl_add_u32 v12, v12, 23, v14
	v_or3_b32 v12, v13, v12, v11
.LBB40_1680:
	s_or_b64 exec, exec, s[6:7]
	s_nop 0
	v_mfma_f32_16x16x4f32 a[0:3], v10, v12, a[0:3]
	s_movk_i32 s4, 0xff
	v_and_b32_sdwa v11, v6, s4 dst_sel:DWORD dst_unused:UNUSED_PAD src0_sel:WORD_1 src1_sel:DWORD
	s_movk_i32 s4, 0x7f
	v_cmp_lt_i16_e32 vcc, s4, v11
	s_mov_b64 s[4:5], 0
                                        ; implicit-def: $sgpr10
	s_and_saveexec_b64 s[6:7], vcc
	s_xor_b64 s[6:7], exec, s[6:7]
	s_cbranch_execnz .LBB40_3729
; %bb.1681:
	s_or_saveexec_b64 s[6:7], s[6:7]
	v_mov_b32_e32 v10, s10
	s_xor_b64 exec, exec, s[6:7]
	s_cbranch_execnz .LBB40_3732
.LBB40_1682:
	s_or_b64 exec, exec, s[6:7]
	s_and_saveexec_b64 s[6:7], s[4:5]
	s_cbranch_execz .LBB40_1684
.LBB40_1683:
	v_bfe_u32 v10, v6, 16, 3
	v_ffbh_u32_e32 v13, v10
	v_min_u32_e32 v13, 32, v13
	v_lshrrev_b32_e32 v11, 19, v6
	v_subrev_u32_e32 v14, 28, v13
	v_and_b32_e32 v11, 15, v11
	v_lshlrev_b32_sdwa v14, v14, v6 dst_sel:DWORD dst_unused:UNUSED_PAD src0_sel:DWORD src1_sel:WORD_1
	v_bfe_u32 v12, v6, 19, 4
	v_sub_u32_e32 v13, 29, v13
	v_and_b32_e32 v14, 7, v14
	v_cmp_eq_u16_e32 vcc, 0, v11
	v_cndmask_b32_e32 v10, v10, v14, vcc
	v_cndmask_b32_e32 v11, v12, v13, vcc
	v_lshlrev_b32_e32 v12, 8, v6
	v_mov_b32_e32 v13, 0x3b800000
	v_lshlrev_b32_e32 v10, 20, v10
	v_and_b32_e32 v12, 0x80000000, v12
	v_lshl_add_u32 v11, v11, 23, v13
	v_or3_b32 v10, v12, v11, v10
.LBB40_1684:
	s_or_b64 exec, exec, s[6:7]
	s_movk_i32 s4, 0xff
	v_and_b32_sdwa v11, v2, s4 dst_sel:DWORD dst_unused:UNUSED_PAD src0_sel:WORD_1 src1_sel:DWORD
	s_movk_i32 s4, 0x7f
	v_cmp_lt_i16_e32 vcc, s4, v11
	s_mov_b64 s[4:5], 0
                                        ; implicit-def: $sgpr10
	s_and_saveexec_b64 s[6:7], vcc
	s_xor_b64 s[6:7], exec, s[6:7]
	s_cbranch_execnz .LBB40_3733
; %bb.1685:
	s_or_saveexec_b64 s[6:7], s[6:7]
	v_mov_b32_e32 v12, s10
	s_xor_b64 exec, exec, s[6:7]
	s_cbranch_execnz .LBB40_3736
.LBB40_1686:
	s_or_b64 exec, exec, s[6:7]
	s_and_saveexec_b64 s[6:7], s[4:5]
	s_cbranch_execz .LBB40_1688
.LBB40_1687:
	v_bfe_u32 v11, v2, 16, 3
	v_ffbh_u32_e32 v14, v11
	v_min_u32_e32 v14, 32, v14
	v_lshrrev_b32_e32 v12, 19, v2
	v_subrev_u32_e32 v15, 28, v14
	v_and_b32_e32 v12, 15, v12
	v_lshlrev_b32_sdwa v15, v15, v2 dst_sel:DWORD dst_unused:UNUSED_PAD src0_sel:DWORD src1_sel:WORD_1
	v_bfe_u32 v13, v2, 19, 4
	v_sub_u32_e32 v14, 29, v14
	v_and_b32_e32 v15, 7, v15
	v_cmp_eq_u16_e32 vcc, 0, v12
	v_cndmask_b32_e32 v11, v11, v15, vcc
	v_cndmask_b32_e32 v12, v13, v14, vcc
	v_lshlrev_b32_e32 v13, 8, v2
	v_mov_b32_e32 v14, 0x3b800000
	v_lshlrev_b32_e32 v11, 20, v11
	v_and_b32_e32 v13, 0x80000000, v13
	v_lshl_add_u32 v12, v12, 23, v14
	v_or3_b32 v12, v13, v12, v11
.LBB40_1688:
	s_or_b64 exec, exec, s[6:7]
	s_nop 0
	v_mfma_f32_16x16x4f32 a[0:3], v10, v12, a[0:3]
	s_movk_i32 s4, 0x7f
	v_cmp_gt_i16_sdwa s[6:7], v6, s4 src0_sel:BYTE_3 src1_sel:DWORD
	s_mov_b64 s[4:5], 0
                                        ; implicit-def: $sgpr10
	s_and_saveexec_b64 s[8:9], s[6:7]
	s_xor_b64 s[6:7], exec, s[8:9]
	s_cbranch_execnz .LBB40_3737
; %bb.1689:
	s_or_saveexec_b64 s[6:7], s[6:7]
	v_mov_b32_e32 v10, s10
	s_xor_b64 exec, exec, s[6:7]
	s_cbranch_execnz .LBB40_3740
.LBB40_1690:
	s_or_b64 exec, exec, s[6:7]
	s_and_saveexec_b64 s[6:7], s[4:5]
	s_cbranch_execz .LBB40_1692
.LBB40_1691:
	v_bfe_u32 v10, v6, 24, 3
	v_ffbh_u32_e32 v14, v10
	v_min_u32_e32 v14, 32, v14
	v_lshrrev_b32_e32 v12, 27, v6
	v_subrev_u32_e32 v15, 28, v14
	v_and_b32_e32 v11, 0x80000000, v6
	v_and_b32_e32 v12, 15, v12
	v_bfe_u32 v13, v6, 27, 4
	v_lshlrev_b32_sdwa v6, v15, v6 dst_sel:DWORD dst_unused:UNUSED_PAD src0_sel:DWORD src1_sel:BYTE_3
	v_sub_u32_e32 v14, 29, v14
	v_and_b32_e32 v6, 7, v6
	v_cmp_eq_u16_e32 vcc, 0, v12
	v_cndmask_b32_e32 v6, v10, v6, vcc
	v_cndmask_b32_e32 v10, v13, v14, vcc
	v_mov_b32_e32 v12, 0x3b800000
	v_lshlrev_b32_e32 v6, 20, v6
	v_lshl_add_u32 v10, v10, 23, v12
	v_or3_b32 v10, v11, v10, v6
.LBB40_1692:
	s_or_b64 exec, exec, s[6:7]
	s_movk_i32 s4, 0x7f
	v_cmp_gt_i16_sdwa s[6:7], v2, s4 src0_sel:BYTE_3 src1_sel:DWORD
	s_mov_b64 s[4:5], 0
                                        ; implicit-def: $sgpr10
	s_and_saveexec_b64 s[8:9], s[6:7]
	s_xor_b64 s[6:7], exec, s[8:9]
	s_cbranch_execnz .LBB40_3741
; %bb.1693:
	s_or_saveexec_b64 s[6:7], s[6:7]
	v_mov_b32_e32 v6, s10
	s_xor_b64 exec, exec, s[6:7]
	s_cbranch_execnz .LBB40_3744
.LBB40_1694:
	s_or_b64 exec, exec, s[6:7]
	s_and_saveexec_b64 s[6:7], s[4:5]
	s_cbranch_execz .LBB40_1696
.LBB40_1695:
	v_bfe_u32 v6, v2, 24, 3
	v_ffbh_u32_e32 v14, v6
	v_min_u32_e32 v14, 32, v14
	v_lshrrev_b32_e32 v12, 27, v2
	v_subrev_u32_e32 v15, 28, v14
	v_and_b32_e32 v11, 0x80000000, v2
	v_and_b32_e32 v12, 15, v12
	v_bfe_u32 v13, v2, 27, 4
	v_lshlrev_b32_sdwa v2, v15, v2 dst_sel:DWORD dst_unused:UNUSED_PAD src0_sel:DWORD src1_sel:BYTE_3
	v_sub_u32_e32 v14, 29, v14
	v_and_b32_e32 v2, 7, v2
	v_cmp_eq_u16_e32 vcc, 0, v12
	v_cndmask_b32_e32 v2, v6, v2, vcc
	v_cndmask_b32_e32 v6, v13, v14, vcc
	v_mov_b32_e32 v12, 0x3b800000
	v_lshlrev_b32_e32 v2, 20, v2
	v_lshl_add_u32 v6, v6, 23, v12
	v_or3_b32 v6, v11, v6, v2
.LBB40_1696:
	s_or_b64 exec, exec, s[6:7]
	s_nop 0
	v_mfma_f32_16x16x4f32 a[0:3], v10, v6, a[0:3]
	s_movk_i32 s4, 0x7f
	v_cmp_gt_i16_sdwa s[6:7], v7, s4 src0_sel:BYTE_0 src1_sel:DWORD
	s_mov_b64 s[4:5], 0
                                        ; implicit-def: $sgpr10
	s_and_saveexec_b64 s[8:9], s[6:7]
	s_xor_b64 s[6:7], exec, s[8:9]
	s_cbranch_execnz .LBB40_3745
; %bb.1697:
	s_or_saveexec_b64 s[6:7], s[6:7]
	v_mov_b32_e32 v2, s10
	s_xor_b64 exec, exec, s[6:7]
	s_cbranch_execnz .LBB40_3748
.LBB40_1698:
	s_or_b64 exec, exec, s[6:7]
	s_and_saveexec_b64 s[6:7], s[4:5]
	s_cbranch_execz .LBB40_1700
.LBB40_1699:
	v_and_b32_e32 v2, 7, v7
	v_ffbh_u32_e32 v10, v2
	v_min_u32_e32 v10, 32, v10
	v_lshrrev_b16_e32 v6, 3, v7
	v_subrev_u32_e32 v11, 28, v10
	v_and_b32_e32 v6, 15, v6
	v_lshlrev_b32_e32 v11, v11, v7
	v_sub_u32_e32 v10, 29, v10
	v_and_b32_e32 v11, 7, v11
	v_cmp_eq_u16_e32 vcc, 0, v6
	v_cndmask_b32_e32 v2, v2, v11, vcc
	v_cndmask_b32_e32 v6, v6, v10, vcc
	v_lshlrev_b32_e32 v10, 24, v7
	v_mov_b32_e32 v11, 0x3b800000
	v_lshlrev_b32_e32 v2, 20, v2
	v_and_b32_e32 v10, 0x80000000, v10
	v_lshl_add_u32 v6, v6, 23, v11
	v_or3_b32 v2, v10, v6, v2
.LBB40_1700:
	s_or_b64 exec, exec, s[6:7]
	s_movk_i32 s4, 0x7f
	v_cmp_gt_i16_sdwa s[6:7], v3, s4 src0_sel:BYTE_0 src1_sel:DWORD
	s_mov_b64 s[4:5], 0
                                        ; implicit-def: $sgpr10
	s_and_saveexec_b64 s[8:9], s[6:7]
	s_xor_b64 s[6:7], exec, s[8:9]
	s_cbranch_execnz .LBB40_3749
; %bb.1701:
	s_or_saveexec_b64 s[6:7], s[6:7]
	v_mov_b32_e32 v6, s10
	s_xor_b64 exec, exec, s[6:7]
	s_cbranch_execnz .LBB40_3752
.LBB40_1702:
	s_or_b64 exec, exec, s[6:7]
	s_and_saveexec_b64 s[6:7], s[4:5]
	s_cbranch_execz .LBB40_1704
.LBB40_1703:
	v_and_b32_e32 v6, 7, v3
	v_ffbh_u32_e32 v11, v6
	v_min_u32_e32 v11, 32, v11
	v_lshrrev_b16_e32 v10, 3, v3
	v_subrev_u32_e32 v12, 28, v11
	v_and_b32_e32 v10, 15, v10
	v_lshlrev_b32_e32 v12, v12, v3
	v_sub_u32_e32 v11, 29, v11
	v_and_b32_e32 v12, 7, v12
	v_cmp_eq_u16_e32 vcc, 0, v10
	v_cndmask_b32_e32 v6, v6, v12, vcc
	v_cndmask_b32_e32 v10, v10, v11, vcc
	v_lshlrev_b32_e32 v11, 24, v3
	v_mov_b32_e32 v12, 0x3b800000
	v_lshlrev_b32_e32 v6, 20, v6
	v_and_b32_e32 v11, 0x80000000, v11
	v_lshl_add_u32 v10, v10, 23, v12
	v_or3_b32 v6, v11, v10, v6
.LBB40_1704:
	s_or_b64 exec, exec, s[6:7]
	s_nop 0
	v_mfma_f32_16x16x4f32 a[0:3], v2, v6, a[0:3]
	v_lshrrev_b32_e32 v6, 8, v7
	s_movk_i32 s4, 0x7f
	v_cmp_gt_i16_sdwa s[6:7], v6, s4 src0_sel:BYTE_0 src1_sel:DWORD
	s_mov_b64 s[4:5], 0
                                        ; implicit-def: $sgpr10
	s_and_saveexec_b64 s[8:9], s[6:7]
	s_xor_b64 s[6:7], exec, s[8:9]
	s_cbranch_execnz .LBB40_3753
; %bb.1705:
	s_or_saveexec_b64 s[6:7], s[6:7]
	v_mov_b32_e32 v2, s10
	s_xor_b64 exec, exec, s[6:7]
	s_cbranch_execnz .LBB40_3756
.LBB40_1706:
	s_or_b64 exec, exec, s[6:7]
	s_and_saveexec_b64 s[6:7], s[4:5]
	s_cbranch_execz .LBB40_1708
.LBB40_1707:
	v_bfe_u32 v2, v7, 8, 3
	v_ffbh_u32_e32 v11, v2
	v_min_u32_e32 v11, 32, v11
	v_lshrrev_b16_e32 v10, 3, v6
	v_subrev_u32_e32 v12, 28, v11
	v_and_b32_e32 v10, 15, v10
	v_lshlrev_b32_e32 v6, v12, v6
	v_sub_u32_e32 v11, 29, v11
	v_and_b32_e32 v6, 7, v6
	v_cmp_eq_u16_e32 vcc, 0, v10
	v_cndmask_b32_e32 v2, v2, v6, vcc
	v_cndmask_b32_e32 v6, v10, v11, vcc
	v_lshlrev_b32_e32 v10, 16, v7
	v_mov_b32_e32 v11, 0x3b800000
	v_lshlrev_b32_e32 v2, 20, v2
	v_and_b32_e32 v10, 0x80000000, v10
	v_lshl_add_u32 v6, v6, 23, v11
	v_or3_b32 v2, v10, v6, v2
.LBB40_1708:
	s_or_b64 exec, exec, s[6:7]
	v_lshrrev_b32_e32 v6, 8, v3
	s_movk_i32 s4, 0x7f
	v_cmp_gt_i16_sdwa s[6:7], v6, s4 src0_sel:BYTE_0 src1_sel:DWORD
	s_mov_b64 s[4:5], 0
                                        ; implicit-def: $sgpr10
	s_and_saveexec_b64 s[8:9], s[6:7]
	s_xor_b64 s[6:7], exec, s[8:9]
	s_cbranch_execnz .LBB40_3757
; %bb.1709:
	s_or_saveexec_b64 s[6:7], s[6:7]
	v_mov_b32_e32 v10, s10
	s_xor_b64 exec, exec, s[6:7]
	s_cbranch_execnz .LBB40_3760
.LBB40_1710:
	s_or_b64 exec, exec, s[6:7]
	s_and_saveexec_b64 s[6:7], s[4:5]
	s_cbranch_execz .LBB40_1712
.LBB40_1711:
	v_bfe_u32 v10, v3, 8, 3
	v_ffbh_u32_e32 v12, v10
	v_min_u32_e32 v12, 32, v12
	v_lshrrev_b16_e32 v11, 3, v6
	v_subrev_u32_e32 v13, 28, v12
	v_and_b32_e32 v11, 15, v11
	v_lshlrev_b32_e32 v6, v13, v6
	v_sub_u32_e32 v12, 29, v12
	v_and_b32_e32 v6, 7, v6
	v_cmp_eq_u16_e32 vcc, 0, v11
	v_cndmask_b32_e32 v6, v10, v6, vcc
	v_cndmask_b32_e32 v10, v11, v12, vcc
	v_lshlrev_b32_e32 v11, 16, v3
	v_mov_b32_e32 v12, 0x3b800000
	v_lshlrev_b32_e32 v6, 20, v6
	v_and_b32_e32 v11, 0x80000000, v11
	v_lshl_add_u32 v10, v10, 23, v12
	v_or3_b32 v10, v11, v10, v6
.LBB40_1712:
	s_or_b64 exec, exec, s[6:7]
	s_nop 0
	v_mfma_f32_16x16x4f32 a[0:3], v2, v10, a[0:3]
	s_movk_i32 s4, 0xff
	v_and_b32_sdwa v6, v7, s4 dst_sel:DWORD dst_unused:UNUSED_PAD src0_sel:WORD_1 src1_sel:DWORD
	s_movk_i32 s4, 0x7f
	v_cmp_lt_i16_e32 vcc, s4, v6
	s_mov_b64 s[4:5], 0
                                        ; implicit-def: $sgpr10
	s_and_saveexec_b64 s[6:7], vcc
	s_xor_b64 s[6:7], exec, s[6:7]
	s_cbranch_execnz .LBB40_3761
; %bb.1713:
	s_or_saveexec_b64 s[6:7], s[6:7]
	v_mov_b32_e32 v2, s10
	s_xor_b64 exec, exec, s[6:7]
	s_cbranch_execnz .LBB40_3764
.LBB40_1714:
	s_or_b64 exec, exec, s[6:7]
	s_and_saveexec_b64 s[6:7], s[4:5]
	s_cbranch_execz .LBB40_1716
.LBB40_1715:
	v_bfe_u32 v2, v7, 16, 3
	v_ffbh_u32_e32 v11, v2
	v_min_u32_e32 v11, 32, v11
	v_lshrrev_b32_e32 v6, 19, v7
	v_subrev_u32_e32 v12, 28, v11
	v_and_b32_e32 v6, 15, v6
	v_lshlrev_b32_sdwa v12, v12, v7 dst_sel:DWORD dst_unused:UNUSED_PAD src0_sel:DWORD src1_sel:WORD_1
	v_bfe_u32 v10, v7, 19, 4
	v_sub_u32_e32 v11, 29, v11
	v_and_b32_e32 v12, 7, v12
	v_cmp_eq_u16_e32 vcc, 0, v6
	v_cndmask_b32_e32 v2, v2, v12, vcc
	v_cndmask_b32_e32 v6, v10, v11, vcc
	v_lshlrev_b32_e32 v10, 8, v7
	v_mov_b32_e32 v11, 0x3b800000
	v_lshlrev_b32_e32 v2, 20, v2
	v_and_b32_e32 v10, 0x80000000, v10
	v_lshl_add_u32 v6, v6, 23, v11
	v_or3_b32 v2, v10, v6, v2
.LBB40_1716:
	s_or_b64 exec, exec, s[6:7]
	s_movk_i32 s4, 0xff
	v_and_b32_sdwa v6, v3, s4 dst_sel:DWORD dst_unused:UNUSED_PAD src0_sel:WORD_1 src1_sel:DWORD
	s_movk_i32 s4, 0x7f
	v_cmp_lt_i16_e32 vcc, s4, v6
	s_mov_b64 s[4:5], 0
                                        ; implicit-def: $sgpr10
	s_and_saveexec_b64 s[6:7], vcc
	s_xor_b64 s[6:7], exec, s[6:7]
	s_cbranch_execnz .LBB40_3765
; %bb.1717:
	s_or_saveexec_b64 s[6:7], s[6:7]
	v_mov_b32_e32 v10, s10
	s_xor_b64 exec, exec, s[6:7]
	s_cbranch_execnz .LBB40_3768
.LBB40_1718:
	s_or_b64 exec, exec, s[6:7]
	s_and_saveexec_b64 s[6:7], s[4:5]
	s_cbranch_execz .LBB40_1720
.LBB40_1719:
	v_bfe_u32 v6, v3, 16, 3
	v_ffbh_u32_e32 v12, v6
	v_min_u32_e32 v12, 32, v12
	v_lshrrev_b32_e32 v10, 19, v3
	v_subrev_u32_e32 v13, 28, v12
	v_and_b32_e32 v10, 15, v10
	v_lshlrev_b32_sdwa v13, v13, v3 dst_sel:DWORD dst_unused:UNUSED_PAD src0_sel:DWORD src1_sel:WORD_1
	v_bfe_u32 v11, v3, 19, 4
	v_sub_u32_e32 v12, 29, v12
	v_and_b32_e32 v13, 7, v13
	v_cmp_eq_u16_e32 vcc, 0, v10
	v_cndmask_b32_e32 v6, v6, v13, vcc
	v_cndmask_b32_e32 v10, v11, v12, vcc
	v_lshlrev_b32_e32 v11, 8, v3
	v_mov_b32_e32 v12, 0x3b800000
	v_lshlrev_b32_e32 v6, 20, v6
	v_and_b32_e32 v11, 0x80000000, v11
	v_lshl_add_u32 v10, v10, 23, v12
	v_or3_b32 v10, v11, v10, v6
.LBB40_1720:
	s_or_b64 exec, exec, s[6:7]
	s_nop 0
	v_mfma_f32_16x16x4f32 a[0:3], v2, v10, a[0:3]
	s_movk_i32 s4, 0x7f
	v_cmp_gt_i16_sdwa s[6:7], v7, s4 src0_sel:BYTE_3 src1_sel:DWORD
	s_mov_b64 s[4:5], 0
                                        ; implicit-def: $sgpr10
	s_and_saveexec_b64 s[8:9], s[6:7]
	s_xor_b64 s[6:7], exec, s[8:9]
	s_cbranch_execnz .LBB40_3769
; %bb.1721:
	s_or_saveexec_b64 s[6:7], s[6:7]
	v_mov_b32_e32 v2, s10
	s_xor_b64 exec, exec, s[6:7]
	s_cbranch_execnz .LBB40_3772
.LBB40_1722:
	s_or_b64 exec, exec, s[6:7]
	s_and_saveexec_b64 s[6:7], s[4:5]
	s_cbranch_execz .LBB40_1724
.LBB40_1723:
	v_bfe_u32 v2, v7, 24, 3
	v_ffbh_u32_e32 v12, v2
	v_min_u32_e32 v12, 32, v12
	v_lshrrev_b32_e32 v10, 27, v7
	v_subrev_u32_e32 v13, 28, v12
	v_and_b32_e32 v6, 0x80000000, v7
	v_and_b32_e32 v10, 15, v10
	v_bfe_u32 v11, v7, 27, 4
	v_lshlrev_b32_sdwa v7, v13, v7 dst_sel:DWORD dst_unused:UNUSED_PAD src0_sel:DWORD src1_sel:BYTE_3
	v_sub_u32_e32 v12, 29, v12
	v_and_b32_e32 v7, 7, v7
	v_cmp_eq_u16_e32 vcc, 0, v10
	v_cndmask_b32_e32 v2, v2, v7, vcc
	v_cndmask_b32_e32 v7, v11, v12, vcc
	v_mov_b32_e32 v10, 0x3b800000
	v_lshlrev_b32_e32 v2, 20, v2
	v_lshl_add_u32 v7, v7, 23, v10
	v_or3_b32 v2, v6, v7, v2
.LBB40_1724:
	s_or_b64 exec, exec, s[6:7]
	s_movk_i32 s4, 0x7f
	v_cmp_gt_i16_sdwa s[6:7], v3, s4 src0_sel:BYTE_3 src1_sel:DWORD
	s_mov_b64 s[4:5], 0
                                        ; implicit-def: $sgpr10
	s_and_saveexec_b64 s[8:9], s[6:7]
	s_xor_b64 s[6:7], exec, s[8:9]
	s_cbranch_execnz .LBB40_3773
; %bb.1725:
	s_or_saveexec_b64 s[6:7], s[6:7]
	v_mov_b32_e32 v6, s10
	s_xor_b64 exec, exec, s[6:7]
	s_cbranch_execnz .LBB40_3776
.LBB40_1726:
	s_or_b64 exec, exec, s[6:7]
	s_and_saveexec_b64 s[6:7], s[4:5]
	s_cbranch_execz .LBB40_1728
.LBB40_1727:
	v_bfe_u32 v6, v3, 24, 3
	v_ffbh_u32_e32 v12, v6
	v_min_u32_e32 v12, 32, v12
	v_lshrrev_b32_e32 v10, 27, v3
	v_subrev_u32_e32 v13, 28, v12
	v_and_b32_e32 v7, 0x80000000, v3
	v_and_b32_e32 v10, 15, v10
	v_bfe_u32 v11, v3, 27, 4
	v_lshlrev_b32_sdwa v3, v13, v3 dst_sel:DWORD dst_unused:UNUSED_PAD src0_sel:DWORD src1_sel:BYTE_3
	v_sub_u32_e32 v12, 29, v12
	v_and_b32_e32 v3, 7, v3
	v_cmp_eq_u16_e32 vcc, 0, v10
	v_cndmask_b32_e32 v3, v6, v3, vcc
	v_cndmask_b32_e32 v6, v11, v12, vcc
	v_mov_b32_e32 v10, 0x3b800000
	v_lshlrev_b32_e32 v3, 20, v3
	v_lshl_add_u32 v6, v6, 23, v10
	v_or3_b32 v6, v7, v6, v3
.LBB40_1728:
	s_or_b64 exec, exec, s[6:7]
	s_nop 0
	v_mfma_f32_16x16x4f32 a[0:3], v2, v6, a[0:3]
	s_movk_i32 s4, 0x7f
	v_cmp_gt_i16_sdwa s[6:7], v8, s4 src0_sel:BYTE_0 src1_sel:DWORD
	s_mov_b64 s[4:5], 0
                                        ; implicit-def: $sgpr10
	s_and_saveexec_b64 s[8:9], s[6:7]
	s_xor_b64 s[6:7], exec, s[8:9]
	s_cbranch_execnz .LBB40_3777
; %bb.1729:
	s_or_saveexec_b64 s[6:7], s[6:7]
	v_mov_b32_e32 v2, s10
	s_xor_b64 exec, exec, s[6:7]
	s_cbranch_execnz .LBB40_3780
.LBB40_1730:
	s_or_b64 exec, exec, s[6:7]
	s_and_saveexec_b64 s[6:7], s[4:5]
	s_cbranch_execz .LBB40_1732
.LBB40_1731:
	v_and_b32_e32 v2, 7, v8
	v_ffbh_u32_e32 v6, v2
	v_min_u32_e32 v6, 32, v6
	v_lshrrev_b16_e32 v3, 3, v8
	v_subrev_u32_e32 v7, 28, v6
	v_and_b32_e32 v3, 15, v3
	v_lshlrev_b32_e32 v7, v7, v8
	v_sub_u32_e32 v6, 29, v6
	v_and_b32_e32 v7, 7, v7
	v_cmp_eq_u16_e32 vcc, 0, v3
	v_cndmask_b32_e32 v2, v2, v7, vcc
	v_cndmask_b32_e32 v3, v3, v6, vcc
	v_lshlrev_b32_e32 v6, 24, v8
	v_mov_b32_e32 v7, 0x3b800000
	v_lshlrev_b32_e32 v2, 20, v2
	v_and_b32_e32 v6, 0x80000000, v6
	v_lshl_add_u32 v3, v3, 23, v7
	v_or3_b32 v2, v6, v3, v2
.LBB40_1732:
	s_or_b64 exec, exec, s[6:7]
	s_movk_i32 s4, 0x7f
	v_cmp_gt_i16_sdwa s[6:7], v4, s4 src0_sel:BYTE_0 src1_sel:DWORD
	s_mov_b64 s[4:5], 0
                                        ; implicit-def: $sgpr10
	s_and_saveexec_b64 s[8:9], s[6:7]
	s_xor_b64 s[6:7], exec, s[8:9]
	s_cbranch_execnz .LBB40_3781
; %bb.1733:
	s_or_saveexec_b64 s[6:7], s[6:7]
	v_mov_b32_e32 v3, s10
	s_xor_b64 exec, exec, s[6:7]
	s_cbranch_execnz .LBB40_3784
.LBB40_1734:
	s_or_b64 exec, exec, s[6:7]
	s_and_saveexec_b64 s[6:7], s[4:5]
	s_cbranch_execz .LBB40_1736
.LBB40_1735:
	v_and_b32_e32 v3, 7, v4
	v_ffbh_u32_e32 v7, v3
	v_min_u32_e32 v7, 32, v7
	v_lshrrev_b16_e32 v6, 3, v4
	v_subrev_u32_e32 v10, 28, v7
	v_and_b32_e32 v6, 15, v6
	v_lshlrev_b32_e32 v10, v10, v4
	v_sub_u32_e32 v7, 29, v7
	v_and_b32_e32 v10, 7, v10
	v_cmp_eq_u16_e32 vcc, 0, v6
	v_cndmask_b32_e32 v3, v3, v10, vcc
	v_cndmask_b32_e32 v6, v6, v7, vcc
	v_lshlrev_b32_e32 v7, 24, v4
	v_mov_b32_e32 v10, 0x3b800000
	v_lshlrev_b32_e32 v3, 20, v3
	v_and_b32_e32 v7, 0x80000000, v7
	v_lshl_add_u32 v6, v6, 23, v10
	v_or3_b32 v3, v7, v6, v3
.LBB40_1736:
	s_or_b64 exec, exec, s[6:7]
	s_nop 0
	v_mfma_f32_16x16x4f32 a[0:3], v2, v3, a[0:3]
	v_lshrrev_b32_e32 v3, 8, v8
	s_movk_i32 s4, 0x7f
	v_cmp_gt_i16_sdwa s[6:7], v3, s4 src0_sel:BYTE_0 src1_sel:DWORD
	s_mov_b64 s[4:5], 0
                                        ; implicit-def: $sgpr10
	s_and_saveexec_b64 s[8:9], s[6:7]
	s_xor_b64 s[6:7], exec, s[8:9]
	s_cbranch_execnz .LBB40_3785
; %bb.1737:
	s_or_saveexec_b64 s[6:7], s[6:7]
	v_mov_b32_e32 v2, s10
	s_xor_b64 exec, exec, s[6:7]
	s_cbranch_execnz .LBB40_3788
.LBB40_1738:
	s_or_b64 exec, exec, s[6:7]
	s_and_saveexec_b64 s[6:7], s[4:5]
	s_cbranch_execz .LBB40_1740
.LBB40_1739:
	v_bfe_u32 v2, v8, 8, 3
	v_ffbh_u32_e32 v7, v2
	v_min_u32_e32 v7, 32, v7
	v_lshrrev_b16_e32 v6, 3, v3
	v_subrev_u32_e32 v10, 28, v7
	v_and_b32_e32 v6, 15, v6
	v_lshlrev_b32_e32 v3, v10, v3
	v_sub_u32_e32 v7, 29, v7
	v_and_b32_e32 v3, 7, v3
	v_cmp_eq_u16_e32 vcc, 0, v6
	v_cndmask_b32_e32 v2, v2, v3, vcc
	v_cndmask_b32_e32 v3, v6, v7, vcc
	v_lshlrev_b32_e32 v6, 16, v8
	v_mov_b32_e32 v7, 0x3b800000
	v_lshlrev_b32_e32 v2, 20, v2
	v_and_b32_e32 v6, 0x80000000, v6
	v_lshl_add_u32 v3, v3, 23, v7
	v_or3_b32 v2, v6, v3, v2
.LBB40_1740:
	s_or_b64 exec, exec, s[6:7]
	v_lshrrev_b32_e32 v3, 8, v4
	s_movk_i32 s4, 0x7f
	v_cmp_gt_i16_sdwa s[6:7], v3, s4 src0_sel:BYTE_0 src1_sel:DWORD
	s_mov_b64 s[4:5], 0
                                        ; implicit-def: $sgpr10
	s_and_saveexec_b64 s[8:9], s[6:7]
	s_xor_b64 s[6:7], exec, s[8:9]
	s_cbranch_execnz .LBB40_3789
; %bb.1741:
	s_or_saveexec_b64 s[6:7], s[6:7]
	v_mov_b32_e32 v6, s10
	s_xor_b64 exec, exec, s[6:7]
	s_cbranch_execnz .LBB40_3792
.LBB40_1742:
	s_or_b64 exec, exec, s[6:7]
	s_and_saveexec_b64 s[6:7], s[4:5]
	s_cbranch_execz .LBB40_1744
.LBB40_1743:
	v_bfe_u32 v6, v4, 8, 3
	v_ffbh_u32_e32 v10, v6
	v_min_u32_e32 v10, 32, v10
	v_lshrrev_b16_e32 v7, 3, v3
	v_subrev_u32_e32 v11, 28, v10
	v_and_b32_e32 v7, 15, v7
	v_lshlrev_b32_e32 v3, v11, v3
	v_sub_u32_e32 v10, 29, v10
	v_and_b32_e32 v3, 7, v3
	v_cmp_eq_u16_e32 vcc, 0, v7
	v_cndmask_b32_e32 v3, v6, v3, vcc
	v_cndmask_b32_e32 v6, v7, v10, vcc
	v_lshlrev_b32_e32 v7, 16, v4
	v_mov_b32_e32 v10, 0x3b800000
	v_lshlrev_b32_e32 v3, 20, v3
	v_and_b32_e32 v7, 0x80000000, v7
	v_lshl_add_u32 v6, v6, 23, v10
	v_or3_b32 v6, v7, v6, v3
.LBB40_1744:
	s_or_b64 exec, exec, s[6:7]
	s_nop 0
	v_mfma_f32_16x16x4f32 a[0:3], v2, v6, a[0:3]
	s_movk_i32 s4, 0xff
	v_and_b32_sdwa v3, v8, s4 dst_sel:DWORD dst_unused:UNUSED_PAD src0_sel:WORD_1 src1_sel:DWORD
	s_movk_i32 s4, 0x7f
	v_cmp_lt_i16_e32 vcc, s4, v3
	s_mov_b64 s[4:5], 0
                                        ; implicit-def: $sgpr10
	s_and_saveexec_b64 s[6:7], vcc
	s_xor_b64 s[6:7], exec, s[6:7]
	s_cbranch_execnz .LBB40_3793
; %bb.1745:
	s_or_saveexec_b64 s[6:7], s[6:7]
	v_mov_b32_e32 v2, s10
	s_xor_b64 exec, exec, s[6:7]
	s_cbranch_execnz .LBB40_3796
.LBB40_1746:
	s_or_b64 exec, exec, s[6:7]
	s_and_saveexec_b64 s[6:7], s[4:5]
	s_cbranch_execz .LBB40_1748
.LBB40_1747:
	v_bfe_u32 v2, v8, 16, 3
	v_ffbh_u32_e32 v7, v2
	v_min_u32_e32 v7, 32, v7
	v_lshrrev_b32_e32 v3, 19, v8
	v_subrev_u32_e32 v10, 28, v7
	v_and_b32_e32 v3, 15, v3
	v_lshlrev_b32_sdwa v10, v10, v8 dst_sel:DWORD dst_unused:UNUSED_PAD src0_sel:DWORD src1_sel:WORD_1
	v_bfe_u32 v6, v8, 19, 4
	v_sub_u32_e32 v7, 29, v7
	v_and_b32_e32 v10, 7, v10
	v_cmp_eq_u16_e32 vcc, 0, v3
	v_cndmask_b32_e32 v2, v2, v10, vcc
	v_cndmask_b32_e32 v3, v6, v7, vcc
	v_lshlrev_b32_e32 v6, 8, v8
	v_mov_b32_e32 v7, 0x3b800000
	v_lshlrev_b32_e32 v2, 20, v2
	v_and_b32_e32 v6, 0x80000000, v6
	v_lshl_add_u32 v3, v3, 23, v7
	v_or3_b32 v2, v6, v3, v2
.LBB40_1748:
	s_or_b64 exec, exec, s[6:7]
	s_movk_i32 s4, 0xff
	v_and_b32_sdwa v3, v4, s4 dst_sel:DWORD dst_unused:UNUSED_PAD src0_sel:WORD_1 src1_sel:DWORD
	s_movk_i32 s4, 0x7f
	v_cmp_lt_i16_e32 vcc, s4, v3
	s_mov_b64 s[4:5], 0
                                        ; implicit-def: $sgpr10
	s_and_saveexec_b64 s[6:7], vcc
	s_xor_b64 s[6:7], exec, s[6:7]
	s_cbranch_execnz .LBB40_3797
; %bb.1749:
	s_or_saveexec_b64 s[6:7], s[6:7]
	v_mov_b32_e32 v6, s10
	s_xor_b64 exec, exec, s[6:7]
	s_cbranch_execnz .LBB40_3800
.LBB40_1750:
	s_or_b64 exec, exec, s[6:7]
	s_and_saveexec_b64 s[6:7], s[4:5]
	s_cbranch_execz .LBB40_1752
.LBB40_1751:
	v_bfe_u32 v3, v4, 16, 3
	v_ffbh_u32_e32 v10, v3
	v_min_u32_e32 v10, 32, v10
	v_lshrrev_b32_e32 v6, 19, v4
	v_subrev_u32_e32 v11, 28, v10
	v_and_b32_e32 v6, 15, v6
	v_lshlrev_b32_sdwa v11, v11, v4 dst_sel:DWORD dst_unused:UNUSED_PAD src0_sel:DWORD src1_sel:WORD_1
	v_bfe_u32 v7, v4, 19, 4
	v_sub_u32_e32 v10, 29, v10
	v_and_b32_e32 v11, 7, v11
	v_cmp_eq_u16_e32 vcc, 0, v6
	v_cndmask_b32_e32 v3, v3, v11, vcc
	v_cndmask_b32_e32 v6, v7, v10, vcc
	v_lshlrev_b32_e32 v7, 8, v4
	v_mov_b32_e32 v10, 0x3b800000
	v_lshlrev_b32_e32 v3, 20, v3
	v_and_b32_e32 v7, 0x80000000, v7
	v_lshl_add_u32 v6, v6, 23, v10
	v_or3_b32 v6, v7, v6, v3
.LBB40_1752:
	s_or_b64 exec, exec, s[6:7]
	s_nop 0
	v_mfma_f32_16x16x4f32 a[0:3], v2, v6, a[0:3]
	s_movk_i32 s4, 0x7f
	v_cmp_gt_i16_sdwa s[6:7], v8, s4 src0_sel:BYTE_3 src1_sel:DWORD
	s_mov_b64 s[4:5], 0
                                        ; implicit-def: $sgpr10
	s_and_saveexec_b64 s[8:9], s[6:7]
	s_xor_b64 s[6:7], exec, s[8:9]
	s_cbranch_execnz .LBB40_3801
; %bb.1753:
	s_or_saveexec_b64 s[6:7], s[6:7]
	v_mov_b32_e32 v2, s10
	s_xor_b64 exec, exec, s[6:7]
	s_cbranch_execnz .LBB40_3804
.LBB40_1754:
	s_or_b64 exec, exec, s[6:7]
	s_and_saveexec_b64 s[6:7], s[4:5]
	s_cbranch_execz .LBB40_1756
.LBB40_1755:
	v_bfe_u32 v2, v8, 24, 3
	v_ffbh_u32_e32 v10, v2
	v_min_u32_e32 v10, 32, v10
	v_lshrrev_b32_e32 v6, 27, v8
	v_subrev_u32_e32 v11, 28, v10
	v_and_b32_e32 v3, 0x80000000, v8
	v_and_b32_e32 v6, 15, v6
	v_bfe_u32 v7, v8, 27, 4
	v_lshlrev_b32_sdwa v8, v11, v8 dst_sel:DWORD dst_unused:UNUSED_PAD src0_sel:DWORD src1_sel:BYTE_3
	v_sub_u32_e32 v10, 29, v10
	v_and_b32_e32 v8, 7, v8
	v_cmp_eq_u16_e32 vcc, 0, v6
	v_cndmask_b32_e32 v2, v2, v8, vcc
	v_cndmask_b32_e32 v6, v7, v10, vcc
	v_mov_b32_e32 v7, 0x3b800000
	v_lshlrev_b32_e32 v2, 20, v2
	v_lshl_add_u32 v6, v6, 23, v7
	v_or3_b32 v2, v3, v6, v2
.LBB40_1756:
	s_or_b64 exec, exec, s[6:7]
	s_movk_i32 s4, 0x7f
	v_cmp_gt_i16_sdwa s[6:7], v4, s4 src0_sel:BYTE_3 src1_sel:DWORD
	s_mov_b64 s[4:5], 0
                                        ; implicit-def: $sgpr10
	s_and_saveexec_b64 s[8:9], s[6:7]
	s_xor_b64 s[6:7], exec, s[8:9]
	s_cbranch_execnz .LBB40_3805
; %bb.1757:
	s_or_saveexec_b64 s[6:7], s[6:7]
	v_mov_b32_e32 v3, s10
	s_xor_b64 exec, exec, s[6:7]
	s_cbranch_execnz .LBB40_3808
.LBB40_1758:
	s_or_b64 exec, exec, s[6:7]
	s_and_saveexec_b64 s[6:7], s[4:5]
	s_cbranch_execz .LBB40_1760
.LBB40_1759:
	v_bfe_u32 v3, v4, 24, 3
	v_ffbh_u32_e32 v10, v3
	v_min_u32_e32 v10, 32, v10
	v_lshrrev_b32_e32 v7, 27, v4
	v_subrev_u32_e32 v11, 28, v10
	v_and_b32_e32 v6, 0x80000000, v4
	v_and_b32_e32 v7, 15, v7
	v_bfe_u32 v8, v4, 27, 4
	v_lshlrev_b32_sdwa v4, v11, v4 dst_sel:DWORD dst_unused:UNUSED_PAD src0_sel:DWORD src1_sel:BYTE_3
	v_sub_u32_e32 v10, 29, v10
	v_and_b32_e32 v4, 7, v4
	v_cmp_eq_u16_e32 vcc, 0, v7
	v_cndmask_b32_e32 v3, v3, v4, vcc
	v_cndmask_b32_e32 v4, v8, v10, vcc
	v_mov_b32_e32 v7, 0x3b800000
	v_lshlrev_b32_e32 v3, 20, v3
	v_lshl_add_u32 v4, v4, 23, v7
	v_or3_b32 v3, v6, v4, v3
.LBB40_1760:
	s_or_b64 exec, exec, s[6:7]
	s_nop 0
	v_mfma_f32_16x16x4f32 a[0:3], v2, v3, a[0:3]
	s_movk_i32 s4, 0x7f
	v_cmp_gt_i16_sdwa s[6:7], v9, s4 src0_sel:BYTE_0 src1_sel:DWORD
	s_mov_b64 s[4:5], 0
                                        ; implicit-def: $sgpr10
	s_and_saveexec_b64 s[8:9], s[6:7]
	s_xor_b64 s[6:7], exec, s[8:9]
	s_cbranch_execnz .LBB40_3809
; %bb.1761:
	s_or_saveexec_b64 s[6:7], s[6:7]
	v_mov_b32_e32 v2, s10
	s_xor_b64 exec, exec, s[6:7]
	s_cbranch_execnz .LBB40_3812
.LBB40_1762:
	s_or_b64 exec, exec, s[6:7]
	s_and_saveexec_b64 s[6:7], s[4:5]
	s_cbranch_execz .LBB40_1764
.LBB40_1763:
	v_mov_b32_e32 v2, 8
	v_and_b32_e32 v3, 7, v9
	v_lshrrev_b32_sdwa v2, v2, v9 dst_sel:BYTE_1 dst_unused:UNUSED_PAD src0_sel:DWORD src1_sel:DWORD
	v_ffbh_u32_e32 v4, v3
	v_or_b32_sdwa v2, v9, v2 dst_sel:DWORD dst_unused:UNUSED_PAD src0_sel:BYTE_0 src1_sel:DWORD
	v_min_u32_e32 v4, 32, v4
	v_lshrrev_b16_e32 v2, 3, v2
	v_subrev_u32_e32 v6, 28, v4
	v_and_b32_e32 v2, 15, v2
	v_lshlrev_b32_e32 v6, v6, v9
	v_sub_u32_e32 v4, 29, v4
	v_and_b32_e32 v6, 7, v6
	v_cmp_eq_u16_e32 vcc, 0, v2
	v_cndmask_b32_e32 v3, v3, v6, vcc
	v_cndmask_b32_e32 v2, v2, v4, vcc
	v_lshlrev_b32_e32 v4, 24, v9
	v_mov_b32_e32 v6, 0x3b800000
	v_lshlrev_b32_e32 v3, 20, v3
	v_and_b32_e32 v4, 0x80000000, v4
	v_lshl_add_u32 v2, v2, 23, v6
	v_or3_b32 v2, v4, v2, v3
.LBB40_1764:
	s_or_b64 exec, exec, s[6:7]
	s_movk_i32 s4, 0x7f
	v_cmp_gt_i16_sdwa s[6:7], v5, s4 src0_sel:BYTE_0 src1_sel:DWORD
	s_mov_b64 s[4:5], 0
                                        ; implicit-def: $sgpr10
	s_and_saveexec_b64 s[8:9], s[6:7]
	s_xor_b64 s[6:7], exec, s[8:9]
	s_cbranch_execnz .LBB40_3813
; %bb.1765:
	s_or_saveexec_b64 s[6:7], s[6:7]
	v_mov_b32_e32 v3, s10
	s_xor_b64 exec, exec, s[6:7]
	s_cbranch_execnz .LBB40_3816
.LBB40_1766:
	s_or_b64 exec, exec, s[6:7]
	s_and_saveexec_b64 s[6:7], s[4:5]
	s_cbranch_execz .LBB40_1768
.LBB40_1767:
	v_mov_b32_e32 v3, 8
	v_and_b32_e32 v4, 7, v5
	v_lshrrev_b32_sdwa v3, v3, v5 dst_sel:BYTE_1 dst_unused:UNUSED_PAD src0_sel:DWORD src1_sel:DWORD
	v_ffbh_u32_e32 v6, v4
	v_or_b32_sdwa v3, v5, v3 dst_sel:DWORD dst_unused:UNUSED_PAD src0_sel:BYTE_0 src1_sel:DWORD
	v_min_u32_e32 v6, 32, v6
	v_lshrrev_b16_e32 v3, 3, v3
	v_subrev_u32_e32 v7, 28, v6
	v_and_b32_e32 v3, 15, v3
	v_lshlrev_b32_e32 v7, v7, v5
	v_sub_u32_e32 v6, 29, v6
	v_and_b32_e32 v7, 7, v7
	v_cmp_eq_u16_e32 vcc, 0, v3
	v_cndmask_b32_e32 v4, v4, v7, vcc
	v_cndmask_b32_e32 v3, v3, v6, vcc
	v_lshlrev_b32_e32 v6, 24, v5
	v_mov_b32_e32 v7, 0x3b800000
	v_lshlrev_b32_e32 v4, 20, v4
	v_and_b32_e32 v6, 0x80000000, v6
	v_lshl_add_u32 v3, v3, 23, v7
	v_or3_b32 v3, v6, v3, v4
.LBB40_1768:
	s_or_b64 exec, exec, s[6:7]
	s_nop 0
	v_mfma_f32_16x16x4f32 a[0:3], v2, v3, a[0:3]
	v_lshrrev_b32_e32 v3, 8, v9
	s_movk_i32 s4, 0x7f
	v_cmp_gt_i16_sdwa s[6:7], v3, s4 src0_sel:BYTE_0 src1_sel:DWORD
	s_mov_b64 s[4:5], 0
                                        ; implicit-def: $sgpr10
	s_and_saveexec_b64 s[8:9], s[6:7]
	s_xor_b64 s[6:7], exec, s[8:9]
	s_cbranch_execnz .LBB40_3817
; %bb.1769:
	s_or_saveexec_b64 s[6:7], s[6:7]
	v_mov_b32_e32 v2, s10
	s_xor_b64 exec, exec, s[6:7]
	s_cbranch_execnz .LBB40_3820
.LBB40_1770:
	s_or_b64 exec, exec, s[6:7]
	s_and_saveexec_b64 s[6:7], s[4:5]
	s_cbranch_execz .LBB40_1772
.LBB40_1771:
	v_bfe_u32 v2, v9, 8, 3
	v_ffbh_u32_e32 v6, v2
	v_min_u32_e32 v6, 32, v6
	v_lshrrev_b16_e32 v4, 3, v3
	v_subrev_u32_e32 v7, 28, v6
	v_and_b32_e32 v4, 15, v4
	v_lshlrev_b32_e32 v3, v7, v3
	v_sub_u32_e32 v6, 29, v6
	v_and_b32_e32 v3, 7, v3
	v_cmp_eq_u16_e32 vcc, 0, v4
	v_cndmask_b32_e32 v2, v2, v3, vcc
	v_cndmask_b32_e32 v3, v4, v6, vcc
	v_lshlrev_b32_e32 v4, 16, v9
	v_mov_b32_e32 v6, 0x3b800000
	v_lshlrev_b32_e32 v2, 20, v2
	v_and_b32_e32 v4, 0x80000000, v4
	v_lshl_add_u32 v3, v3, 23, v6
	v_or3_b32 v2, v4, v3, v2
.LBB40_1772:
	s_or_b64 exec, exec, s[6:7]
	v_lshrrev_b32_e32 v3, 8, v5
	s_movk_i32 s4, 0x7f
	v_cmp_gt_i16_sdwa s[6:7], v3, s4 src0_sel:BYTE_0 src1_sel:DWORD
	s_mov_b64 s[4:5], 0
                                        ; implicit-def: $sgpr10
	s_and_saveexec_b64 s[8:9], s[6:7]
	s_xor_b64 s[6:7], exec, s[8:9]
	s_cbranch_execnz .LBB40_3821
; %bb.1773:
	s_or_saveexec_b64 s[6:7], s[6:7]
	v_mov_b32_e32 v4, s10
	s_xor_b64 exec, exec, s[6:7]
	s_cbranch_execnz .LBB40_3824
.LBB40_1774:
	s_or_b64 exec, exec, s[6:7]
	s_and_saveexec_b64 s[6:7], s[4:5]
	s_cbranch_execz .LBB40_1776
.LBB40_1775:
	v_bfe_u32 v4, v5, 8, 3
	v_ffbh_u32_e32 v7, v4
	v_min_u32_e32 v7, 32, v7
	v_lshrrev_b16_e32 v6, 3, v3
	v_subrev_u32_e32 v8, 28, v7
	v_and_b32_e32 v6, 15, v6
	v_lshlrev_b32_e32 v3, v8, v3
	v_sub_u32_e32 v7, 29, v7
	v_and_b32_e32 v3, 7, v3
	v_cmp_eq_u16_e32 vcc, 0, v6
	v_cndmask_b32_e32 v3, v4, v3, vcc
	v_cndmask_b32_e32 v4, v6, v7, vcc
	v_lshlrev_b32_e32 v6, 16, v5
	v_mov_b32_e32 v7, 0x3b800000
	v_lshlrev_b32_e32 v3, 20, v3
	v_and_b32_e32 v6, 0x80000000, v6
	v_lshl_add_u32 v4, v4, 23, v7
	v_or3_b32 v4, v6, v4, v3
.LBB40_1776:
	s_or_b64 exec, exec, s[6:7]
	s_nop 0
	v_mfma_f32_16x16x4f32 a[0:3], v2, v4, a[0:3]
	s_movk_i32 s4, 0xff
	v_and_b32_sdwa v3, v9, s4 dst_sel:DWORD dst_unused:UNUSED_PAD src0_sel:WORD_1 src1_sel:DWORD
	s_movk_i32 s4, 0x7f
	v_cmp_lt_i16_e32 vcc, s4, v3
	s_mov_b64 s[4:5], 0
                                        ; implicit-def: $sgpr10
	s_and_saveexec_b64 s[6:7], vcc
	s_xor_b64 s[6:7], exec, s[6:7]
	s_cbranch_execnz .LBB40_3825
; %bb.1777:
	s_or_saveexec_b64 s[6:7], s[6:7]
	v_mov_b32_e32 v2, s10
	s_xor_b64 exec, exec, s[6:7]
	s_cbranch_execnz .LBB40_3828
.LBB40_1778:
	s_or_b64 exec, exec, s[6:7]
	s_and_saveexec_b64 s[6:7], s[4:5]
	s_cbranch_execz .LBB40_1780
.LBB40_1779:
	v_bfe_u32 v2, v9, 16, 3
	v_ffbh_u32_e32 v6, v2
	v_min_u32_e32 v6, 32, v6
	v_lshrrev_b32_e32 v3, 19, v9
	v_subrev_u32_e32 v7, 28, v6
	v_and_b32_e32 v3, 15, v3
	v_lshlrev_b32_sdwa v7, v7, v9 dst_sel:DWORD dst_unused:UNUSED_PAD src0_sel:DWORD src1_sel:WORD_1
	v_bfe_u32 v4, v9, 19, 4
	v_sub_u32_e32 v6, 29, v6
	v_and_b32_e32 v7, 7, v7
	v_cmp_eq_u16_e32 vcc, 0, v3
	v_cndmask_b32_e32 v2, v2, v7, vcc
	v_cndmask_b32_e32 v3, v4, v6, vcc
	v_lshlrev_b32_e32 v4, 8, v9
	v_mov_b32_e32 v6, 0x3b800000
	v_lshlrev_b32_e32 v2, 20, v2
	v_and_b32_e32 v4, 0x80000000, v4
	v_lshl_add_u32 v3, v3, 23, v6
	v_or3_b32 v2, v4, v3, v2
.LBB40_1780:
	s_or_b64 exec, exec, s[6:7]
	s_movk_i32 s4, 0xff
	v_and_b32_sdwa v3, v5, s4 dst_sel:DWORD dst_unused:UNUSED_PAD src0_sel:WORD_1 src1_sel:DWORD
	s_movk_i32 s4, 0x7f
	v_cmp_lt_i16_e32 vcc, s4, v3
	s_mov_b64 s[4:5], 0
                                        ; implicit-def: $sgpr10
	s_and_saveexec_b64 s[6:7], vcc
	s_xor_b64 s[6:7], exec, s[6:7]
	s_cbranch_execnz .LBB40_3829
; %bb.1781:
	s_or_saveexec_b64 s[6:7], s[6:7]
	v_mov_b32_e32 v4, s10
	s_xor_b64 exec, exec, s[6:7]
	s_cbranch_execnz .LBB40_3832
.LBB40_1782:
	s_or_b64 exec, exec, s[6:7]
	s_and_saveexec_b64 s[6:7], s[4:5]
	s_cbranch_execz .LBB40_1784
.LBB40_1783:
	v_bfe_u32 v3, v5, 16, 3
	v_ffbh_u32_e32 v7, v3
	v_min_u32_e32 v7, 32, v7
	v_lshrrev_b32_e32 v4, 19, v5
	v_subrev_u32_e32 v8, 28, v7
	v_and_b32_e32 v4, 15, v4
	v_lshlrev_b32_sdwa v8, v8, v5 dst_sel:DWORD dst_unused:UNUSED_PAD src0_sel:DWORD src1_sel:WORD_1
	v_bfe_u32 v6, v5, 19, 4
	v_sub_u32_e32 v7, 29, v7
	v_and_b32_e32 v8, 7, v8
	v_cmp_eq_u16_e32 vcc, 0, v4
	v_cndmask_b32_e32 v3, v3, v8, vcc
	v_cndmask_b32_e32 v4, v6, v7, vcc
	v_lshlrev_b32_e32 v6, 8, v5
	v_mov_b32_e32 v7, 0x3b800000
	v_lshlrev_b32_e32 v3, 20, v3
	v_and_b32_e32 v6, 0x80000000, v6
	v_lshl_add_u32 v4, v4, 23, v7
	v_or3_b32 v4, v6, v4, v3
.LBB40_1784:
	s_or_b64 exec, exec, s[6:7]
	s_nop 0
	v_mfma_f32_16x16x4f32 a[0:3], v2, v4, a[0:3]
	s_movk_i32 s4, 0x7f
	v_cmp_gt_i16_sdwa s[6:7], v9, s4 src0_sel:BYTE_3 src1_sel:DWORD
	s_mov_b64 s[4:5], 0
                                        ; implicit-def: $sgpr10
	s_and_saveexec_b64 s[8:9], s[6:7]
	s_xor_b64 s[6:7], exec, s[8:9]
	s_cbranch_execnz .LBB40_3833
; %bb.1785:
	s_or_saveexec_b64 s[6:7], s[6:7]
	v_mov_b32_e32 v2, s10
	s_xor_b64 exec, exec, s[6:7]
	s_cbranch_execnz .LBB40_3836
.LBB40_1786:
	s_or_b64 exec, exec, s[6:7]
	s_and_saveexec_b64 s[6:7], s[4:5]
	s_cbranch_execz .LBB40_1788
.LBB40_1787:
	v_bfe_u32 v2, v9, 24, 3
	v_ffbh_u32_e32 v7, v2
	v_min_u32_e32 v7, 32, v7
	v_lshrrev_b32_e32 v4, 27, v9
	v_subrev_u32_e32 v8, 28, v7
	v_and_b32_e32 v4, 15, v4
	v_lshlrev_b32_sdwa v8, v8, v9 dst_sel:DWORD dst_unused:UNUSED_PAD src0_sel:DWORD src1_sel:BYTE_3
	v_bfe_u32 v6, v9, 27, 4
	v_sub_u32_e32 v7, 29, v7
	v_and_b32_e32 v8, 7, v8
	v_cmp_eq_u16_e32 vcc, 0, v4
	v_cndmask_b32_e32 v2, v2, v8, vcc
	v_cndmask_b32_e32 v4, v6, v7, vcc
	v_mov_b32_e32 v6, 0x3b800000
	v_and_b32_e32 v3, 0x80000000, v9
	v_lshlrev_b32_e32 v2, 20, v2
	v_lshl_add_u32 v4, v4, 23, v6
	v_or3_b32 v2, v3, v4, v2
.LBB40_1788:
	s_or_b64 exec, exec, s[6:7]
	s_movk_i32 s4, 0x7f
	v_cmp_gt_i16_sdwa s[6:7], v5, s4 src0_sel:BYTE_3 src1_sel:DWORD
	s_mov_b64 s[4:5], 0
                                        ; implicit-def: $sgpr10
	s_and_saveexec_b64 s[8:9], s[6:7]
	s_xor_b64 s[6:7], exec, s[8:9]
	s_cbranch_execnz .LBB40_3837
; %bb.1789:
	s_or_saveexec_b64 s[6:7], s[6:7]
	v_mov_b32_e32 v3, s10
	s_xor_b64 exec, exec, s[6:7]
	s_cbranch_execnz .LBB40_3840
.LBB40_1790:
	s_or_b64 exec, exec, s[6:7]
	s_and_saveexec_b64 s[6:7], s[4:5]
	s_cbranch_execz .LBB40_1792
.LBB40_1791:
	v_bfe_u32 v3, v5, 24, 3
	v_ffbh_u32_e32 v8, v3
	v_min_u32_e32 v8, 32, v8
	v_lshrrev_b32_e32 v6, 27, v5
	v_subrev_u32_e32 v9, 28, v8
	v_and_b32_e32 v4, 0x80000000, v5
	v_and_b32_e32 v6, 15, v6
	v_bfe_u32 v7, v5, 27, 4
	v_lshlrev_b32_sdwa v5, v9, v5 dst_sel:DWORD dst_unused:UNUSED_PAD src0_sel:DWORD src1_sel:BYTE_3
	v_sub_u32_e32 v8, 29, v8
	v_and_b32_e32 v5, 7, v5
	v_cmp_eq_u16_e32 vcc, 0, v6
	v_cndmask_b32_e32 v3, v3, v5, vcc
	v_cndmask_b32_e32 v5, v7, v8, vcc
	v_mov_b32_e32 v6, 0x3b800000
	v_lshlrev_b32_e32 v3, 20, v3
	v_lshl_add_u32 v5, v5, 23, v6
	v_or3_b32 v3, v4, v5, v3
.LBB40_1792:
	s_or_b64 exec, exec, s[6:7]
	s_nop 0
	v_mfma_f32_16x16x4f32 a[0:3], v2, v3, a[0:3]
	s_movk_i32 s4, 0x7f
                                        ; implicit-def: $sgpr10
	s_nop 7
	s_nop 1
	flat_store_dwordx4 v[18:19], a[0:3] offset:608
	flat_load_dwordx4 v[18:21], v[0:1] offset:16
	s_nop 0
	flat_load_dwordx2 v[16:17], v[0:1] offset:32
	s_waitcnt vmcnt(0) lgkmcnt(0)
	flat_load_dwordx4 v[12:15], v[18:19]
	flat_load_dwordx4 v[4:7], v[18:19] offset:16
	flat_load_dwordx4 v[8:11], v[20:21] offset:480
	;; [unrolled: 1-line block ×3, first 2 shown]
	s_waitcnt vmcnt(0) lgkmcnt(0)
	v_cmp_gt_i16_sdwa s[6:7], v12, s4 src0_sel:BYTE_0 src1_sel:DWORD
	s_mov_b64 s[4:5], 0
	s_and_saveexec_b64 s[8:9], s[6:7]
	s_xor_b64 s[6:7], exec, s[8:9]
	s_cbranch_execnz .LBB40_3841
; %bb.1793:
	s_or_saveexec_b64 s[6:7], s[6:7]
	v_mov_b32_e32 v18, s10
	s_xor_b64 exec, exec, s[6:7]
	s_cbranch_execnz .LBB40_3844
.LBB40_1794:
	s_or_b64 exec, exec, s[6:7]
	s_and_saveexec_b64 s[6:7], s[4:5]
	s_cbranch_execz .LBB40_1796
.LBB40_1795:
	v_and_b32_e32 v18, 7, v12
	v_ffbh_u32_e32 v20, v18
	v_min_u32_e32 v20, 32, v20
	v_lshrrev_b16_e32 v19, 3, v12
	v_subrev_u32_e32 v21, 28, v20
	v_and_b32_e32 v19, 15, v19
	v_lshlrev_b32_e32 v21, v21, v12
	v_sub_u32_e32 v20, 29, v20
	v_and_b32_e32 v21, 7, v21
	v_cmp_eq_u16_e32 vcc, 0, v19
	v_cndmask_b32_e32 v18, v18, v21, vcc
	v_cndmask_b32_e32 v19, v19, v20, vcc
	v_lshlrev_b32_e32 v20, 24, v12
	v_mov_b32_e32 v21, 0x3b800000
	v_lshlrev_b32_e32 v18, 20, v18
	v_and_b32_e32 v20, 0x80000000, v20
	v_lshl_add_u32 v19, v19, 23, v21
	v_or3_b32 v18, v20, v19, v18
.LBB40_1796:
	s_or_b64 exec, exec, s[6:7]
	s_movk_i32 s4, 0x7f
	v_cmp_gt_i16_sdwa s[6:7], v8, s4 src0_sel:BYTE_0 src1_sel:DWORD
	s_mov_b64 s[4:5], 0
                                        ; implicit-def: $sgpr10
	s_and_saveexec_b64 s[8:9], s[6:7]
	s_xor_b64 s[6:7], exec, s[8:9]
	s_cbranch_execnz .LBB40_3845
; %bb.1797:
	s_or_saveexec_b64 s[6:7], s[6:7]
	v_mov_b32_e32 v19, s10
	s_xor_b64 exec, exec, s[6:7]
	s_cbranch_execnz .LBB40_3848
.LBB40_1798:
	s_or_b64 exec, exec, s[6:7]
	s_and_saveexec_b64 s[6:7], s[4:5]
	s_cbranch_execz .LBB40_1800
.LBB40_1799:
	v_and_b32_e32 v19, 7, v8
	v_ffbh_u32_e32 v21, v19
	v_min_u32_e32 v21, 32, v21
	v_lshrrev_b16_e32 v20, 3, v8
	v_subrev_u32_e32 v22, 28, v21
	v_and_b32_e32 v20, 15, v20
	v_lshlrev_b32_e32 v22, v22, v8
	v_sub_u32_e32 v21, 29, v21
	v_and_b32_e32 v22, 7, v22
	v_cmp_eq_u16_e32 vcc, 0, v20
	v_cndmask_b32_e32 v19, v19, v22, vcc
	v_cndmask_b32_e32 v20, v20, v21, vcc
	v_lshlrev_b32_e32 v21, 24, v8
	v_mov_b32_e32 v22, 0x3b800000
	v_lshlrev_b32_e32 v19, 20, v19
	v_and_b32_e32 v21, 0x80000000, v21
	v_lshl_add_u32 v20, v20, 23, v22
	v_or3_b32 v19, v21, v20, v19
.LBB40_1800:
	s_or_b64 exec, exec, s[6:7]
	flat_load_dwordx4 a[0:3], v[16:17] offset:624
	s_movk_i32 s4, 0x7f
                                        ; implicit-def: $sgpr10
	s_waitcnt vmcnt(0) lgkmcnt(0)
	v_mfma_f32_16x16x4f32 a[0:3], v18, v19, a[0:3]
	v_lshrrev_b32_e32 v19, 8, v12
	v_cmp_gt_i16_sdwa s[6:7], v19, s4 src0_sel:BYTE_0 src1_sel:DWORD
	s_mov_b64 s[4:5], 0
	s_and_saveexec_b64 s[8:9], s[6:7]
	s_xor_b64 s[6:7], exec, s[8:9]
	s_cbranch_execnz .LBB40_3849
; %bb.1801:
	s_or_saveexec_b64 s[6:7], s[6:7]
	v_mov_b32_e32 v18, s10
	s_xor_b64 exec, exec, s[6:7]
	s_cbranch_execnz .LBB40_3852
.LBB40_1802:
	s_or_b64 exec, exec, s[6:7]
	s_and_saveexec_b64 s[6:7], s[4:5]
	s_cbranch_execz .LBB40_1804
.LBB40_1803:
	v_bfe_u32 v18, v12, 8, 3
	v_ffbh_u32_e32 v21, v18
	v_min_u32_e32 v21, 32, v21
	v_lshrrev_b16_e32 v20, 3, v19
	v_subrev_u32_e32 v22, 28, v21
	v_and_b32_e32 v20, 15, v20
	v_lshlrev_b32_e32 v19, v22, v19
	v_sub_u32_e32 v21, 29, v21
	v_and_b32_e32 v19, 7, v19
	v_cmp_eq_u16_e32 vcc, 0, v20
	v_cndmask_b32_e32 v18, v18, v19, vcc
	v_cndmask_b32_e32 v19, v20, v21, vcc
	v_lshlrev_b32_e32 v20, 16, v12
	v_mov_b32_e32 v21, 0x3b800000
	v_lshlrev_b32_e32 v18, 20, v18
	v_and_b32_e32 v20, 0x80000000, v20
	v_lshl_add_u32 v19, v19, 23, v21
	v_or3_b32 v18, v20, v19, v18
.LBB40_1804:
	s_or_b64 exec, exec, s[6:7]
	v_lshrrev_b32_e32 v19, 8, v8
	s_movk_i32 s4, 0x7f
	v_cmp_gt_i16_sdwa s[6:7], v19, s4 src0_sel:BYTE_0 src1_sel:DWORD
	s_mov_b64 s[4:5], 0
                                        ; implicit-def: $sgpr10
	s_and_saveexec_b64 s[8:9], s[6:7]
	s_xor_b64 s[6:7], exec, s[8:9]
	s_cbranch_execnz .LBB40_3853
; %bb.1805:
	s_or_saveexec_b64 s[6:7], s[6:7]
	v_mov_b32_e32 v20, s10
	s_xor_b64 exec, exec, s[6:7]
	s_cbranch_execnz .LBB40_3856
.LBB40_1806:
	s_or_b64 exec, exec, s[6:7]
	s_and_saveexec_b64 s[6:7], s[4:5]
	s_cbranch_execz .LBB40_1808
.LBB40_1807:
	v_bfe_u32 v20, v8, 8, 3
	v_ffbh_u32_e32 v22, v20
	v_min_u32_e32 v22, 32, v22
	v_lshrrev_b16_e32 v21, 3, v19
	v_subrev_u32_e32 v23, 28, v22
	v_and_b32_e32 v21, 15, v21
	v_lshlrev_b32_e32 v19, v23, v19
	v_sub_u32_e32 v22, 29, v22
	v_and_b32_e32 v19, 7, v19
	v_cmp_eq_u16_e32 vcc, 0, v21
	v_cndmask_b32_e32 v19, v20, v19, vcc
	v_cndmask_b32_e32 v20, v21, v22, vcc
	v_lshlrev_b32_e32 v21, 16, v8
	v_mov_b32_e32 v22, 0x3b800000
	v_lshlrev_b32_e32 v19, 20, v19
	v_and_b32_e32 v21, 0x80000000, v21
	v_lshl_add_u32 v20, v20, 23, v22
	v_or3_b32 v20, v21, v20, v19
.LBB40_1808:
	s_or_b64 exec, exec, s[6:7]
	s_nop 0
	v_mfma_f32_16x16x4f32 a[0:3], v18, v20, a[0:3]
	s_movk_i32 s4, 0xff
	v_and_b32_sdwa v19, v12, s4 dst_sel:DWORD dst_unused:UNUSED_PAD src0_sel:WORD_1 src1_sel:DWORD
	s_movk_i32 s4, 0x7f
	v_cmp_lt_i16_e32 vcc, s4, v19
	s_mov_b64 s[4:5], 0
                                        ; implicit-def: $sgpr10
	s_and_saveexec_b64 s[6:7], vcc
	s_xor_b64 s[6:7], exec, s[6:7]
	s_cbranch_execnz .LBB40_3857
; %bb.1809:
	s_or_saveexec_b64 s[6:7], s[6:7]
	v_mov_b32_e32 v18, s10
	s_xor_b64 exec, exec, s[6:7]
	s_cbranch_execnz .LBB40_3860
.LBB40_1810:
	s_or_b64 exec, exec, s[6:7]
	s_and_saveexec_b64 s[6:7], s[4:5]
	s_cbranch_execz .LBB40_1812
.LBB40_1811:
	v_bfe_u32 v18, v12, 16, 3
	v_ffbh_u32_e32 v21, v18
	v_min_u32_e32 v21, 32, v21
	v_lshrrev_b32_e32 v19, 19, v12
	v_subrev_u32_e32 v22, 28, v21
	v_and_b32_e32 v19, 15, v19
	v_lshlrev_b32_sdwa v22, v22, v12 dst_sel:DWORD dst_unused:UNUSED_PAD src0_sel:DWORD src1_sel:WORD_1
	v_bfe_u32 v20, v12, 19, 4
	v_sub_u32_e32 v21, 29, v21
	v_and_b32_e32 v22, 7, v22
	v_cmp_eq_u16_e32 vcc, 0, v19
	v_cndmask_b32_e32 v18, v18, v22, vcc
	v_cndmask_b32_e32 v19, v20, v21, vcc
	v_lshlrev_b32_e32 v20, 8, v12
	v_mov_b32_e32 v21, 0x3b800000
	v_lshlrev_b32_e32 v18, 20, v18
	v_and_b32_e32 v20, 0x80000000, v20
	v_lshl_add_u32 v19, v19, 23, v21
	v_or3_b32 v18, v20, v19, v18
.LBB40_1812:
	s_or_b64 exec, exec, s[6:7]
	s_movk_i32 s4, 0xff
	v_and_b32_sdwa v19, v8, s4 dst_sel:DWORD dst_unused:UNUSED_PAD src0_sel:WORD_1 src1_sel:DWORD
	s_movk_i32 s4, 0x7f
	v_cmp_lt_i16_e32 vcc, s4, v19
	s_mov_b64 s[4:5], 0
                                        ; implicit-def: $sgpr10
	s_and_saveexec_b64 s[6:7], vcc
	s_xor_b64 s[6:7], exec, s[6:7]
	s_cbranch_execnz .LBB40_3861
; %bb.1813:
	s_or_saveexec_b64 s[6:7], s[6:7]
	v_mov_b32_e32 v20, s10
	s_xor_b64 exec, exec, s[6:7]
	s_cbranch_execnz .LBB40_3864
.LBB40_1814:
	s_or_b64 exec, exec, s[6:7]
	s_and_saveexec_b64 s[6:7], s[4:5]
	s_cbranch_execz .LBB40_1816
.LBB40_1815:
	v_bfe_u32 v19, v8, 16, 3
	v_ffbh_u32_e32 v22, v19
	v_min_u32_e32 v22, 32, v22
	v_lshrrev_b32_e32 v20, 19, v8
	v_subrev_u32_e32 v23, 28, v22
	v_and_b32_e32 v20, 15, v20
	v_lshlrev_b32_sdwa v23, v23, v8 dst_sel:DWORD dst_unused:UNUSED_PAD src0_sel:DWORD src1_sel:WORD_1
	v_bfe_u32 v21, v8, 19, 4
	v_sub_u32_e32 v22, 29, v22
	v_and_b32_e32 v23, 7, v23
	v_cmp_eq_u16_e32 vcc, 0, v20
	v_cndmask_b32_e32 v19, v19, v23, vcc
	v_cndmask_b32_e32 v20, v21, v22, vcc
	v_lshlrev_b32_e32 v21, 8, v8
	v_mov_b32_e32 v22, 0x3b800000
	v_lshlrev_b32_e32 v19, 20, v19
	v_and_b32_e32 v21, 0x80000000, v21
	v_lshl_add_u32 v20, v20, 23, v22
	v_or3_b32 v20, v21, v20, v19
.LBB40_1816:
	s_or_b64 exec, exec, s[6:7]
	s_nop 0
	v_mfma_f32_16x16x4f32 a[0:3], v18, v20, a[0:3]
	s_movk_i32 s4, 0x7f
	v_cmp_gt_i16_sdwa s[6:7], v12, s4 src0_sel:BYTE_3 src1_sel:DWORD
	s_mov_b64 s[4:5], 0
                                        ; implicit-def: $sgpr10
	s_and_saveexec_b64 s[8:9], s[6:7]
	s_xor_b64 s[6:7], exec, s[8:9]
	s_cbranch_execnz .LBB40_3865
; %bb.1817:
	s_or_saveexec_b64 s[6:7], s[6:7]
	v_mov_b32_e32 v18, s10
	s_xor_b64 exec, exec, s[6:7]
	s_cbranch_execnz .LBB40_3868
.LBB40_1818:
	s_or_b64 exec, exec, s[6:7]
	s_and_saveexec_b64 s[6:7], s[4:5]
	s_cbranch_execz .LBB40_1820
.LBB40_1819:
	v_bfe_u32 v18, v12, 24, 3
	v_ffbh_u32_e32 v22, v18
	v_min_u32_e32 v22, 32, v22
	v_lshrrev_b32_e32 v20, 27, v12
	v_subrev_u32_e32 v23, 28, v22
	v_and_b32_e32 v19, 0x80000000, v12
	v_and_b32_e32 v20, 15, v20
	v_bfe_u32 v21, v12, 27, 4
	v_lshlrev_b32_sdwa v12, v23, v12 dst_sel:DWORD dst_unused:UNUSED_PAD src0_sel:DWORD src1_sel:BYTE_3
	v_sub_u32_e32 v22, 29, v22
	v_and_b32_e32 v12, 7, v12
	v_cmp_eq_u16_e32 vcc, 0, v20
	v_cndmask_b32_e32 v12, v18, v12, vcc
	v_cndmask_b32_e32 v18, v21, v22, vcc
	v_mov_b32_e32 v20, 0x3b800000
	v_lshlrev_b32_e32 v12, 20, v12
	v_lshl_add_u32 v18, v18, 23, v20
	v_or3_b32 v18, v19, v18, v12
.LBB40_1820:
	s_or_b64 exec, exec, s[6:7]
	s_movk_i32 s4, 0x7f
	v_cmp_gt_i16_sdwa s[6:7], v8, s4 src0_sel:BYTE_3 src1_sel:DWORD
	s_mov_b64 s[4:5], 0
                                        ; implicit-def: $sgpr10
	s_and_saveexec_b64 s[8:9], s[6:7]
	s_xor_b64 s[6:7], exec, s[8:9]
	s_cbranch_execnz .LBB40_3869
; %bb.1821:
	s_or_saveexec_b64 s[6:7], s[6:7]
	v_mov_b32_e32 v12, s10
	s_xor_b64 exec, exec, s[6:7]
	s_cbranch_execnz .LBB40_3872
.LBB40_1822:
	s_or_b64 exec, exec, s[6:7]
	s_and_saveexec_b64 s[6:7], s[4:5]
	s_cbranch_execz .LBB40_1824
.LBB40_1823:
	v_bfe_u32 v12, v8, 24, 3
	v_ffbh_u32_e32 v22, v12
	v_min_u32_e32 v22, 32, v22
	v_lshrrev_b32_e32 v20, 27, v8
	v_subrev_u32_e32 v23, 28, v22
	v_and_b32_e32 v19, 0x80000000, v8
	v_and_b32_e32 v20, 15, v20
	v_bfe_u32 v21, v8, 27, 4
	v_lshlrev_b32_sdwa v8, v23, v8 dst_sel:DWORD dst_unused:UNUSED_PAD src0_sel:DWORD src1_sel:BYTE_3
	v_sub_u32_e32 v22, 29, v22
	v_and_b32_e32 v8, 7, v8
	v_cmp_eq_u16_e32 vcc, 0, v20
	v_cndmask_b32_e32 v8, v12, v8, vcc
	v_cndmask_b32_e32 v12, v21, v22, vcc
	v_mov_b32_e32 v20, 0x3b800000
	v_lshlrev_b32_e32 v8, 20, v8
	v_lshl_add_u32 v12, v12, 23, v20
	v_or3_b32 v12, v19, v12, v8
.LBB40_1824:
	s_or_b64 exec, exec, s[6:7]
	s_nop 0
	v_mfma_f32_16x16x4f32 a[0:3], v18, v12, a[0:3]
	s_movk_i32 s4, 0x7f
	v_cmp_gt_i16_sdwa s[6:7], v13, s4 src0_sel:BYTE_0 src1_sel:DWORD
	s_mov_b64 s[4:5], 0
                                        ; implicit-def: $sgpr10
	s_and_saveexec_b64 s[8:9], s[6:7]
	s_xor_b64 s[6:7], exec, s[8:9]
	s_cbranch_execnz .LBB40_3873
; %bb.1825:
	s_or_saveexec_b64 s[6:7], s[6:7]
	v_mov_b32_e32 v8, s10
	s_xor_b64 exec, exec, s[6:7]
	s_cbranch_execnz .LBB40_3876
.LBB40_1826:
	s_or_b64 exec, exec, s[6:7]
	s_and_saveexec_b64 s[6:7], s[4:5]
	s_cbranch_execz .LBB40_1828
.LBB40_1827:
	v_and_b32_e32 v8, 7, v13
	v_ffbh_u32_e32 v18, v8
	v_min_u32_e32 v18, 32, v18
	v_lshrrev_b16_e32 v12, 3, v13
	v_subrev_u32_e32 v19, 28, v18
	v_and_b32_e32 v12, 15, v12
	v_lshlrev_b32_e32 v19, v19, v13
	v_sub_u32_e32 v18, 29, v18
	v_and_b32_e32 v19, 7, v19
	v_cmp_eq_u16_e32 vcc, 0, v12
	v_cndmask_b32_e32 v8, v8, v19, vcc
	v_cndmask_b32_e32 v12, v12, v18, vcc
	v_lshlrev_b32_e32 v18, 24, v13
	v_mov_b32_e32 v19, 0x3b800000
	v_lshlrev_b32_e32 v8, 20, v8
	v_and_b32_e32 v18, 0x80000000, v18
	v_lshl_add_u32 v12, v12, 23, v19
	v_or3_b32 v8, v18, v12, v8
.LBB40_1828:
	s_or_b64 exec, exec, s[6:7]
	s_movk_i32 s4, 0x7f
	v_cmp_gt_i16_sdwa s[6:7], v9, s4 src0_sel:BYTE_0 src1_sel:DWORD
	s_mov_b64 s[4:5], 0
                                        ; implicit-def: $sgpr10
	s_and_saveexec_b64 s[8:9], s[6:7]
	s_xor_b64 s[6:7], exec, s[8:9]
	s_cbranch_execnz .LBB40_3877
; %bb.1829:
	s_or_saveexec_b64 s[6:7], s[6:7]
	v_mov_b32_e32 v12, s10
	s_xor_b64 exec, exec, s[6:7]
	s_cbranch_execnz .LBB40_3880
.LBB40_1830:
	s_or_b64 exec, exec, s[6:7]
	s_and_saveexec_b64 s[6:7], s[4:5]
	s_cbranch_execz .LBB40_1832
.LBB40_1831:
	v_and_b32_e32 v12, 7, v9
	v_ffbh_u32_e32 v19, v12
	v_min_u32_e32 v19, 32, v19
	v_lshrrev_b16_e32 v18, 3, v9
	v_subrev_u32_e32 v20, 28, v19
	v_and_b32_e32 v18, 15, v18
	v_lshlrev_b32_e32 v20, v20, v9
	v_sub_u32_e32 v19, 29, v19
	v_and_b32_e32 v20, 7, v20
	v_cmp_eq_u16_e32 vcc, 0, v18
	v_cndmask_b32_e32 v12, v12, v20, vcc
	v_cndmask_b32_e32 v18, v18, v19, vcc
	v_lshlrev_b32_e32 v19, 24, v9
	v_mov_b32_e32 v20, 0x3b800000
	v_lshlrev_b32_e32 v12, 20, v12
	v_and_b32_e32 v19, 0x80000000, v19
	v_lshl_add_u32 v18, v18, 23, v20
	v_or3_b32 v12, v19, v18, v12
.LBB40_1832:
	s_or_b64 exec, exec, s[6:7]
	s_nop 0
	v_mfma_f32_16x16x4f32 a[0:3], v8, v12, a[0:3]
	v_lshrrev_b32_e32 v12, 8, v13
	s_movk_i32 s4, 0x7f
	v_cmp_gt_i16_sdwa s[6:7], v12, s4 src0_sel:BYTE_0 src1_sel:DWORD
	s_mov_b64 s[4:5], 0
                                        ; implicit-def: $sgpr10
	s_and_saveexec_b64 s[8:9], s[6:7]
	s_xor_b64 s[6:7], exec, s[8:9]
	s_cbranch_execnz .LBB40_3881
; %bb.1833:
	s_or_saveexec_b64 s[6:7], s[6:7]
	v_mov_b32_e32 v8, s10
	s_xor_b64 exec, exec, s[6:7]
	s_cbranch_execnz .LBB40_3884
.LBB40_1834:
	s_or_b64 exec, exec, s[6:7]
	s_and_saveexec_b64 s[6:7], s[4:5]
	s_cbranch_execz .LBB40_1836
.LBB40_1835:
	v_bfe_u32 v8, v13, 8, 3
	v_ffbh_u32_e32 v19, v8
	v_min_u32_e32 v19, 32, v19
	v_lshrrev_b16_e32 v18, 3, v12
	v_subrev_u32_e32 v20, 28, v19
	v_and_b32_e32 v18, 15, v18
	v_lshlrev_b32_e32 v12, v20, v12
	v_sub_u32_e32 v19, 29, v19
	v_and_b32_e32 v12, 7, v12
	v_cmp_eq_u16_e32 vcc, 0, v18
	v_cndmask_b32_e32 v8, v8, v12, vcc
	v_cndmask_b32_e32 v12, v18, v19, vcc
	v_lshlrev_b32_e32 v18, 16, v13
	v_mov_b32_e32 v19, 0x3b800000
	v_lshlrev_b32_e32 v8, 20, v8
	v_and_b32_e32 v18, 0x80000000, v18
	v_lshl_add_u32 v12, v12, 23, v19
	v_or3_b32 v8, v18, v12, v8
.LBB40_1836:
	s_or_b64 exec, exec, s[6:7]
	v_lshrrev_b32_e32 v12, 8, v9
	s_movk_i32 s4, 0x7f
	v_cmp_gt_i16_sdwa s[6:7], v12, s4 src0_sel:BYTE_0 src1_sel:DWORD
	s_mov_b64 s[4:5], 0
                                        ; implicit-def: $sgpr10
	s_and_saveexec_b64 s[8:9], s[6:7]
	s_xor_b64 s[6:7], exec, s[8:9]
	s_cbranch_execnz .LBB40_3885
; %bb.1837:
	s_or_saveexec_b64 s[6:7], s[6:7]
	v_mov_b32_e32 v18, s10
	s_xor_b64 exec, exec, s[6:7]
	s_cbranch_execnz .LBB40_3888
.LBB40_1838:
	s_or_b64 exec, exec, s[6:7]
	s_and_saveexec_b64 s[6:7], s[4:5]
	s_cbranch_execz .LBB40_1840
.LBB40_1839:
	v_bfe_u32 v18, v9, 8, 3
	v_ffbh_u32_e32 v20, v18
	v_min_u32_e32 v20, 32, v20
	v_lshrrev_b16_e32 v19, 3, v12
	v_subrev_u32_e32 v21, 28, v20
	v_and_b32_e32 v19, 15, v19
	v_lshlrev_b32_e32 v12, v21, v12
	v_sub_u32_e32 v20, 29, v20
	v_and_b32_e32 v12, 7, v12
	v_cmp_eq_u16_e32 vcc, 0, v19
	v_cndmask_b32_e32 v12, v18, v12, vcc
	v_cndmask_b32_e32 v18, v19, v20, vcc
	v_lshlrev_b32_e32 v19, 16, v9
	v_mov_b32_e32 v20, 0x3b800000
	v_lshlrev_b32_e32 v12, 20, v12
	v_and_b32_e32 v19, 0x80000000, v19
	v_lshl_add_u32 v18, v18, 23, v20
	v_or3_b32 v18, v19, v18, v12
.LBB40_1840:
	s_or_b64 exec, exec, s[6:7]
	s_nop 0
	v_mfma_f32_16x16x4f32 a[0:3], v8, v18, a[0:3]
	s_movk_i32 s4, 0xff
	v_and_b32_sdwa v12, v13, s4 dst_sel:DWORD dst_unused:UNUSED_PAD src0_sel:WORD_1 src1_sel:DWORD
	s_movk_i32 s4, 0x7f
	v_cmp_lt_i16_e32 vcc, s4, v12
	s_mov_b64 s[4:5], 0
                                        ; implicit-def: $sgpr10
	s_and_saveexec_b64 s[6:7], vcc
	s_xor_b64 s[6:7], exec, s[6:7]
	s_cbranch_execnz .LBB40_3889
; %bb.1841:
	s_or_saveexec_b64 s[6:7], s[6:7]
	v_mov_b32_e32 v8, s10
	s_xor_b64 exec, exec, s[6:7]
	s_cbranch_execnz .LBB40_3892
.LBB40_1842:
	s_or_b64 exec, exec, s[6:7]
	s_and_saveexec_b64 s[6:7], s[4:5]
	s_cbranch_execz .LBB40_1844
.LBB40_1843:
	v_bfe_u32 v8, v13, 16, 3
	v_ffbh_u32_e32 v19, v8
	v_min_u32_e32 v19, 32, v19
	v_lshrrev_b32_e32 v12, 19, v13
	v_subrev_u32_e32 v20, 28, v19
	v_and_b32_e32 v12, 15, v12
	v_lshlrev_b32_sdwa v20, v20, v13 dst_sel:DWORD dst_unused:UNUSED_PAD src0_sel:DWORD src1_sel:WORD_1
	v_bfe_u32 v18, v13, 19, 4
	v_sub_u32_e32 v19, 29, v19
	v_and_b32_e32 v20, 7, v20
	v_cmp_eq_u16_e32 vcc, 0, v12
	v_cndmask_b32_e32 v8, v8, v20, vcc
	v_cndmask_b32_e32 v12, v18, v19, vcc
	v_lshlrev_b32_e32 v18, 8, v13
	v_mov_b32_e32 v19, 0x3b800000
	v_lshlrev_b32_e32 v8, 20, v8
	v_and_b32_e32 v18, 0x80000000, v18
	v_lshl_add_u32 v12, v12, 23, v19
	v_or3_b32 v8, v18, v12, v8
.LBB40_1844:
	s_or_b64 exec, exec, s[6:7]
	s_movk_i32 s4, 0xff
	v_and_b32_sdwa v12, v9, s4 dst_sel:DWORD dst_unused:UNUSED_PAD src0_sel:WORD_1 src1_sel:DWORD
	s_movk_i32 s4, 0x7f
	v_cmp_lt_i16_e32 vcc, s4, v12
	s_mov_b64 s[4:5], 0
                                        ; implicit-def: $sgpr10
	s_and_saveexec_b64 s[6:7], vcc
	s_xor_b64 s[6:7], exec, s[6:7]
	s_cbranch_execnz .LBB40_3893
; %bb.1845:
	s_or_saveexec_b64 s[6:7], s[6:7]
	v_mov_b32_e32 v18, s10
	s_xor_b64 exec, exec, s[6:7]
	s_cbranch_execnz .LBB40_3896
.LBB40_1846:
	s_or_b64 exec, exec, s[6:7]
	s_and_saveexec_b64 s[6:7], s[4:5]
	s_cbranch_execz .LBB40_1848
.LBB40_1847:
	v_bfe_u32 v12, v9, 16, 3
	v_ffbh_u32_e32 v20, v12
	v_min_u32_e32 v20, 32, v20
	v_lshrrev_b32_e32 v18, 19, v9
	v_subrev_u32_e32 v21, 28, v20
	v_and_b32_e32 v18, 15, v18
	v_lshlrev_b32_sdwa v21, v21, v9 dst_sel:DWORD dst_unused:UNUSED_PAD src0_sel:DWORD src1_sel:WORD_1
	v_bfe_u32 v19, v9, 19, 4
	v_sub_u32_e32 v20, 29, v20
	v_and_b32_e32 v21, 7, v21
	v_cmp_eq_u16_e32 vcc, 0, v18
	v_cndmask_b32_e32 v12, v12, v21, vcc
	v_cndmask_b32_e32 v18, v19, v20, vcc
	v_lshlrev_b32_e32 v19, 8, v9
	v_mov_b32_e32 v20, 0x3b800000
	v_lshlrev_b32_e32 v12, 20, v12
	v_and_b32_e32 v19, 0x80000000, v19
	v_lshl_add_u32 v18, v18, 23, v20
	v_or3_b32 v18, v19, v18, v12
.LBB40_1848:
	s_or_b64 exec, exec, s[6:7]
	s_nop 0
	v_mfma_f32_16x16x4f32 a[0:3], v8, v18, a[0:3]
	s_movk_i32 s4, 0x7f
	v_cmp_gt_i16_sdwa s[6:7], v13, s4 src0_sel:BYTE_3 src1_sel:DWORD
	s_mov_b64 s[4:5], 0
                                        ; implicit-def: $sgpr10
	s_and_saveexec_b64 s[8:9], s[6:7]
	s_xor_b64 s[6:7], exec, s[8:9]
	s_cbranch_execnz .LBB40_3897
; %bb.1849:
	s_or_saveexec_b64 s[6:7], s[6:7]
	v_mov_b32_e32 v8, s10
	s_xor_b64 exec, exec, s[6:7]
	s_cbranch_execnz .LBB40_3900
.LBB40_1850:
	s_or_b64 exec, exec, s[6:7]
	s_and_saveexec_b64 s[6:7], s[4:5]
	s_cbranch_execz .LBB40_1852
.LBB40_1851:
	v_bfe_u32 v8, v13, 24, 3
	v_ffbh_u32_e32 v20, v8
	v_min_u32_e32 v20, 32, v20
	v_lshrrev_b32_e32 v18, 27, v13
	v_subrev_u32_e32 v21, 28, v20
	v_and_b32_e32 v12, 0x80000000, v13
	v_and_b32_e32 v18, 15, v18
	v_bfe_u32 v19, v13, 27, 4
	v_lshlrev_b32_sdwa v13, v21, v13 dst_sel:DWORD dst_unused:UNUSED_PAD src0_sel:DWORD src1_sel:BYTE_3
	v_sub_u32_e32 v20, 29, v20
	v_and_b32_e32 v13, 7, v13
	v_cmp_eq_u16_e32 vcc, 0, v18
	v_cndmask_b32_e32 v8, v8, v13, vcc
	v_cndmask_b32_e32 v13, v19, v20, vcc
	v_mov_b32_e32 v18, 0x3b800000
	v_lshlrev_b32_e32 v8, 20, v8
	v_lshl_add_u32 v13, v13, 23, v18
	v_or3_b32 v8, v12, v13, v8
.LBB40_1852:
	s_or_b64 exec, exec, s[6:7]
	s_movk_i32 s4, 0x7f
	v_cmp_gt_i16_sdwa s[6:7], v9, s4 src0_sel:BYTE_3 src1_sel:DWORD
	s_mov_b64 s[4:5], 0
                                        ; implicit-def: $sgpr10
	s_and_saveexec_b64 s[8:9], s[6:7]
	s_xor_b64 s[6:7], exec, s[8:9]
	s_cbranch_execnz .LBB40_3901
; %bb.1853:
	s_or_saveexec_b64 s[6:7], s[6:7]
	v_mov_b32_e32 v12, s10
	s_xor_b64 exec, exec, s[6:7]
	s_cbranch_execnz .LBB40_3904
.LBB40_1854:
	s_or_b64 exec, exec, s[6:7]
	s_and_saveexec_b64 s[6:7], s[4:5]
	s_cbranch_execz .LBB40_1856
.LBB40_1855:
	v_bfe_u32 v12, v9, 24, 3
	v_ffbh_u32_e32 v20, v12
	v_min_u32_e32 v20, 32, v20
	v_lshrrev_b32_e32 v18, 27, v9
	v_subrev_u32_e32 v21, 28, v20
	v_and_b32_e32 v13, 0x80000000, v9
	v_and_b32_e32 v18, 15, v18
	v_bfe_u32 v19, v9, 27, 4
	v_lshlrev_b32_sdwa v9, v21, v9 dst_sel:DWORD dst_unused:UNUSED_PAD src0_sel:DWORD src1_sel:BYTE_3
	v_sub_u32_e32 v20, 29, v20
	v_and_b32_e32 v9, 7, v9
	v_cmp_eq_u16_e32 vcc, 0, v18
	v_cndmask_b32_e32 v9, v12, v9, vcc
	v_cndmask_b32_e32 v12, v19, v20, vcc
	v_mov_b32_e32 v18, 0x3b800000
	v_lshlrev_b32_e32 v9, 20, v9
	v_lshl_add_u32 v12, v12, 23, v18
	v_or3_b32 v12, v13, v12, v9
.LBB40_1856:
	s_or_b64 exec, exec, s[6:7]
	s_nop 0
	v_mfma_f32_16x16x4f32 a[0:3], v8, v12, a[0:3]
	s_movk_i32 s4, 0x7f
	v_cmp_gt_i16_sdwa s[6:7], v14, s4 src0_sel:BYTE_0 src1_sel:DWORD
	s_mov_b64 s[4:5], 0
                                        ; implicit-def: $sgpr10
	s_and_saveexec_b64 s[8:9], s[6:7]
	s_xor_b64 s[6:7], exec, s[8:9]
	s_cbranch_execnz .LBB40_3905
; %bb.1857:
	s_or_saveexec_b64 s[6:7], s[6:7]
	v_mov_b32_e32 v8, s10
	s_xor_b64 exec, exec, s[6:7]
	s_cbranch_execnz .LBB40_3908
.LBB40_1858:
	s_or_b64 exec, exec, s[6:7]
	s_and_saveexec_b64 s[6:7], s[4:5]
	s_cbranch_execz .LBB40_1860
.LBB40_1859:
	v_and_b32_e32 v8, 7, v14
	v_ffbh_u32_e32 v12, v8
	v_min_u32_e32 v12, 32, v12
	v_lshrrev_b16_e32 v9, 3, v14
	v_subrev_u32_e32 v13, 28, v12
	v_and_b32_e32 v9, 15, v9
	v_lshlrev_b32_e32 v13, v13, v14
	v_sub_u32_e32 v12, 29, v12
	v_and_b32_e32 v13, 7, v13
	v_cmp_eq_u16_e32 vcc, 0, v9
	v_cndmask_b32_e32 v8, v8, v13, vcc
	v_cndmask_b32_e32 v9, v9, v12, vcc
	v_lshlrev_b32_e32 v12, 24, v14
	v_mov_b32_e32 v13, 0x3b800000
	v_lshlrev_b32_e32 v8, 20, v8
	v_and_b32_e32 v12, 0x80000000, v12
	v_lshl_add_u32 v9, v9, 23, v13
	v_or3_b32 v8, v12, v9, v8
.LBB40_1860:
	s_or_b64 exec, exec, s[6:7]
	s_movk_i32 s4, 0x7f
	v_cmp_gt_i16_sdwa s[6:7], v10, s4 src0_sel:BYTE_0 src1_sel:DWORD
	s_mov_b64 s[4:5], 0
                                        ; implicit-def: $sgpr10
	s_and_saveexec_b64 s[8:9], s[6:7]
	s_xor_b64 s[6:7], exec, s[8:9]
	s_cbranch_execnz .LBB40_3909
; %bb.1861:
	s_or_saveexec_b64 s[6:7], s[6:7]
	v_mov_b32_e32 v9, s10
	s_xor_b64 exec, exec, s[6:7]
	s_cbranch_execnz .LBB40_3912
.LBB40_1862:
	s_or_b64 exec, exec, s[6:7]
	s_and_saveexec_b64 s[6:7], s[4:5]
	s_cbranch_execz .LBB40_1864
.LBB40_1863:
	v_and_b32_e32 v9, 7, v10
	v_ffbh_u32_e32 v13, v9
	v_min_u32_e32 v13, 32, v13
	v_lshrrev_b16_e32 v12, 3, v10
	v_subrev_u32_e32 v18, 28, v13
	v_and_b32_e32 v12, 15, v12
	v_lshlrev_b32_e32 v18, v18, v10
	v_sub_u32_e32 v13, 29, v13
	v_and_b32_e32 v18, 7, v18
	v_cmp_eq_u16_e32 vcc, 0, v12
	v_cndmask_b32_e32 v9, v9, v18, vcc
	v_cndmask_b32_e32 v12, v12, v13, vcc
	v_lshlrev_b32_e32 v13, 24, v10
	v_mov_b32_e32 v18, 0x3b800000
	v_lshlrev_b32_e32 v9, 20, v9
	v_and_b32_e32 v13, 0x80000000, v13
	v_lshl_add_u32 v12, v12, 23, v18
	v_or3_b32 v9, v13, v12, v9
.LBB40_1864:
	s_or_b64 exec, exec, s[6:7]
	s_nop 0
	v_mfma_f32_16x16x4f32 a[0:3], v8, v9, a[0:3]
	v_lshrrev_b32_e32 v9, 8, v14
	s_movk_i32 s4, 0x7f
	v_cmp_gt_i16_sdwa s[6:7], v9, s4 src0_sel:BYTE_0 src1_sel:DWORD
	s_mov_b64 s[4:5], 0
                                        ; implicit-def: $sgpr10
	s_and_saveexec_b64 s[8:9], s[6:7]
	s_xor_b64 s[6:7], exec, s[8:9]
	s_cbranch_execnz .LBB40_3913
; %bb.1865:
	s_or_saveexec_b64 s[6:7], s[6:7]
	v_mov_b32_e32 v8, s10
	s_xor_b64 exec, exec, s[6:7]
	s_cbranch_execnz .LBB40_3916
.LBB40_1866:
	s_or_b64 exec, exec, s[6:7]
	s_and_saveexec_b64 s[6:7], s[4:5]
	s_cbranch_execz .LBB40_1868
.LBB40_1867:
	v_bfe_u32 v8, v14, 8, 3
	v_ffbh_u32_e32 v13, v8
	v_min_u32_e32 v13, 32, v13
	v_lshrrev_b16_e32 v12, 3, v9
	v_subrev_u32_e32 v18, 28, v13
	v_and_b32_e32 v12, 15, v12
	v_lshlrev_b32_e32 v9, v18, v9
	v_sub_u32_e32 v13, 29, v13
	v_and_b32_e32 v9, 7, v9
	v_cmp_eq_u16_e32 vcc, 0, v12
	v_cndmask_b32_e32 v8, v8, v9, vcc
	v_cndmask_b32_e32 v9, v12, v13, vcc
	v_lshlrev_b32_e32 v12, 16, v14
	v_mov_b32_e32 v13, 0x3b800000
	v_lshlrev_b32_e32 v8, 20, v8
	v_and_b32_e32 v12, 0x80000000, v12
	v_lshl_add_u32 v9, v9, 23, v13
	v_or3_b32 v8, v12, v9, v8
.LBB40_1868:
	s_or_b64 exec, exec, s[6:7]
	v_lshrrev_b32_e32 v9, 8, v10
	s_movk_i32 s4, 0x7f
	v_cmp_gt_i16_sdwa s[6:7], v9, s4 src0_sel:BYTE_0 src1_sel:DWORD
	s_mov_b64 s[4:5], 0
                                        ; implicit-def: $sgpr10
	s_and_saveexec_b64 s[8:9], s[6:7]
	s_xor_b64 s[6:7], exec, s[8:9]
	s_cbranch_execnz .LBB40_3917
; %bb.1869:
	s_or_saveexec_b64 s[6:7], s[6:7]
	v_mov_b32_e32 v12, s10
	s_xor_b64 exec, exec, s[6:7]
	s_cbranch_execnz .LBB40_3920
.LBB40_1870:
	s_or_b64 exec, exec, s[6:7]
	s_and_saveexec_b64 s[6:7], s[4:5]
	s_cbranch_execz .LBB40_1872
.LBB40_1871:
	v_bfe_u32 v12, v10, 8, 3
	v_ffbh_u32_e32 v18, v12
	v_min_u32_e32 v18, 32, v18
	v_lshrrev_b16_e32 v13, 3, v9
	v_subrev_u32_e32 v19, 28, v18
	v_and_b32_e32 v13, 15, v13
	v_lshlrev_b32_e32 v9, v19, v9
	v_sub_u32_e32 v18, 29, v18
	v_and_b32_e32 v9, 7, v9
	v_cmp_eq_u16_e32 vcc, 0, v13
	v_cndmask_b32_e32 v9, v12, v9, vcc
	v_cndmask_b32_e32 v12, v13, v18, vcc
	v_lshlrev_b32_e32 v13, 16, v10
	v_mov_b32_e32 v18, 0x3b800000
	v_lshlrev_b32_e32 v9, 20, v9
	v_and_b32_e32 v13, 0x80000000, v13
	v_lshl_add_u32 v12, v12, 23, v18
	v_or3_b32 v12, v13, v12, v9
.LBB40_1872:
	s_or_b64 exec, exec, s[6:7]
	s_nop 0
	v_mfma_f32_16x16x4f32 a[0:3], v8, v12, a[0:3]
	s_movk_i32 s4, 0xff
	v_and_b32_sdwa v9, v14, s4 dst_sel:DWORD dst_unused:UNUSED_PAD src0_sel:WORD_1 src1_sel:DWORD
	s_movk_i32 s4, 0x7f
	v_cmp_lt_i16_e32 vcc, s4, v9
	s_mov_b64 s[4:5], 0
                                        ; implicit-def: $sgpr10
	s_and_saveexec_b64 s[6:7], vcc
	s_xor_b64 s[6:7], exec, s[6:7]
	s_cbranch_execnz .LBB40_3921
; %bb.1873:
	s_or_saveexec_b64 s[6:7], s[6:7]
	v_mov_b32_e32 v8, s10
	s_xor_b64 exec, exec, s[6:7]
	s_cbranch_execnz .LBB40_3924
.LBB40_1874:
	s_or_b64 exec, exec, s[6:7]
	s_and_saveexec_b64 s[6:7], s[4:5]
	s_cbranch_execz .LBB40_1876
.LBB40_1875:
	v_bfe_u32 v8, v14, 16, 3
	v_ffbh_u32_e32 v13, v8
	v_min_u32_e32 v13, 32, v13
	v_lshrrev_b32_e32 v9, 19, v14
	v_subrev_u32_e32 v18, 28, v13
	v_and_b32_e32 v9, 15, v9
	v_lshlrev_b32_sdwa v18, v18, v14 dst_sel:DWORD dst_unused:UNUSED_PAD src0_sel:DWORD src1_sel:WORD_1
	v_bfe_u32 v12, v14, 19, 4
	v_sub_u32_e32 v13, 29, v13
	v_and_b32_e32 v18, 7, v18
	v_cmp_eq_u16_e32 vcc, 0, v9
	v_cndmask_b32_e32 v8, v8, v18, vcc
	v_cndmask_b32_e32 v9, v12, v13, vcc
	v_lshlrev_b32_e32 v12, 8, v14
	v_mov_b32_e32 v13, 0x3b800000
	v_lshlrev_b32_e32 v8, 20, v8
	v_and_b32_e32 v12, 0x80000000, v12
	v_lshl_add_u32 v9, v9, 23, v13
	v_or3_b32 v8, v12, v9, v8
.LBB40_1876:
	s_or_b64 exec, exec, s[6:7]
	s_movk_i32 s4, 0xff
	v_and_b32_sdwa v9, v10, s4 dst_sel:DWORD dst_unused:UNUSED_PAD src0_sel:WORD_1 src1_sel:DWORD
	s_movk_i32 s4, 0x7f
	v_cmp_lt_i16_e32 vcc, s4, v9
	s_mov_b64 s[4:5], 0
                                        ; implicit-def: $sgpr10
	s_and_saveexec_b64 s[6:7], vcc
	s_xor_b64 s[6:7], exec, s[6:7]
	s_cbranch_execnz .LBB40_3925
; %bb.1877:
	s_or_saveexec_b64 s[6:7], s[6:7]
	v_mov_b32_e32 v12, s10
	s_xor_b64 exec, exec, s[6:7]
	s_cbranch_execnz .LBB40_3928
.LBB40_1878:
	s_or_b64 exec, exec, s[6:7]
	s_and_saveexec_b64 s[6:7], s[4:5]
	s_cbranch_execz .LBB40_1880
.LBB40_1879:
	v_bfe_u32 v9, v10, 16, 3
	v_ffbh_u32_e32 v18, v9
	v_min_u32_e32 v18, 32, v18
	v_lshrrev_b32_e32 v12, 19, v10
	v_subrev_u32_e32 v19, 28, v18
	v_and_b32_e32 v12, 15, v12
	v_lshlrev_b32_sdwa v19, v19, v10 dst_sel:DWORD dst_unused:UNUSED_PAD src0_sel:DWORD src1_sel:WORD_1
	v_bfe_u32 v13, v10, 19, 4
	v_sub_u32_e32 v18, 29, v18
	v_and_b32_e32 v19, 7, v19
	v_cmp_eq_u16_e32 vcc, 0, v12
	v_cndmask_b32_e32 v9, v9, v19, vcc
	v_cndmask_b32_e32 v12, v13, v18, vcc
	v_lshlrev_b32_e32 v13, 8, v10
	v_mov_b32_e32 v18, 0x3b800000
	v_lshlrev_b32_e32 v9, 20, v9
	v_and_b32_e32 v13, 0x80000000, v13
	v_lshl_add_u32 v12, v12, 23, v18
	v_or3_b32 v12, v13, v12, v9
.LBB40_1880:
	s_or_b64 exec, exec, s[6:7]
	s_nop 0
	v_mfma_f32_16x16x4f32 a[0:3], v8, v12, a[0:3]
	s_movk_i32 s4, 0x7f
	v_cmp_gt_i16_sdwa s[6:7], v14, s4 src0_sel:BYTE_3 src1_sel:DWORD
	s_mov_b64 s[4:5], 0
                                        ; implicit-def: $sgpr10
	s_and_saveexec_b64 s[8:9], s[6:7]
	s_xor_b64 s[6:7], exec, s[8:9]
	s_cbranch_execnz .LBB40_3929
; %bb.1881:
	s_or_saveexec_b64 s[6:7], s[6:7]
	v_mov_b32_e32 v8, s10
	s_xor_b64 exec, exec, s[6:7]
	s_cbranch_execnz .LBB40_3932
.LBB40_1882:
	s_or_b64 exec, exec, s[6:7]
	s_and_saveexec_b64 s[6:7], s[4:5]
	s_cbranch_execz .LBB40_1884
.LBB40_1883:
	v_bfe_u32 v8, v14, 24, 3
	v_ffbh_u32_e32 v18, v8
	v_min_u32_e32 v18, 32, v18
	v_lshrrev_b32_e32 v12, 27, v14
	v_subrev_u32_e32 v19, 28, v18
	v_and_b32_e32 v9, 0x80000000, v14
	v_and_b32_e32 v12, 15, v12
	v_bfe_u32 v13, v14, 27, 4
	v_lshlrev_b32_sdwa v14, v19, v14 dst_sel:DWORD dst_unused:UNUSED_PAD src0_sel:DWORD src1_sel:BYTE_3
	v_sub_u32_e32 v18, 29, v18
	v_and_b32_e32 v14, 7, v14
	v_cmp_eq_u16_e32 vcc, 0, v12
	v_cndmask_b32_e32 v8, v8, v14, vcc
	v_cndmask_b32_e32 v12, v13, v18, vcc
	v_mov_b32_e32 v13, 0x3b800000
	v_lshlrev_b32_e32 v8, 20, v8
	v_lshl_add_u32 v12, v12, 23, v13
	v_or3_b32 v8, v9, v12, v8
.LBB40_1884:
	s_or_b64 exec, exec, s[6:7]
	s_movk_i32 s4, 0x7f
	v_cmp_gt_i16_sdwa s[6:7], v10, s4 src0_sel:BYTE_3 src1_sel:DWORD
	s_mov_b64 s[4:5], 0
                                        ; implicit-def: $sgpr10
	s_and_saveexec_b64 s[8:9], s[6:7]
	s_xor_b64 s[6:7], exec, s[8:9]
	s_cbranch_execnz .LBB40_3933
; %bb.1885:
	s_or_saveexec_b64 s[6:7], s[6:7]
	v_mov_b32_e32 v9, s10
	s_xor_b64 exec, exec, s[6:7]
	s_cbranch_execnz .LBB40_3936
.LBB40_1886:
	s_or_b64 exec, exec, s[6:7]
	s_and_saveexec_b64 s[6:7], s[4:5]
	s_cbranch_execz .LBB40_1888
.LBB40_1887:
	v_bfe_u32 v9, v10, 24, 3
	v_ffbh_u32_e32 v18, v9
	v_min_u32_e32 v18, 32, v18
	v_lshrrev_b32_e32 v13, 27, v10
	v_subrev_u32_e32 v19, 28, v18
	v_and_b32_e32 v12, 0x80000000, v10
	v_and_b32_e32 v13, 15, v13
	v_bfe_u32 v14, v10, 27, 4
	v_lshlrev_b32_sdwa v10, v19, v10 dst_sel:DWORD dst_unused:UNUSED_PAD src0_sel:DWORD src1_sel:BYTE_3
	v_sub_u32_e32 v18, 29, v18
	v_and_b32_e32 v10, 7, v10
	v_cmp_eq_u16_e32 vcc, 0, v13
	v_cndmask_b32_e32 v9, v9, v10, vcc
	v_cndmask_b32_e32 v10, v14, v18, vcc
	v_mov_b32_e32 v13, 0x3b800000
	v_lshlrev_b32_e32 v9, 20, v9
	v_lshl_add_u32 v10, v10, 23, v13
	v_or3_b32 v9, v12, v10, v9
.LBB40_1888:
	s_or_b64 exec, exec, s[6:7]
	s_nop 0
	v_mfma_f32_16x16x4f32 a[0:3], v8, v9, a[0:3]
	s_movk_i32 s4, 0x7f
	v_cmp_gt_i16_sdwa s[6:7], v15, s4 src0_sel:BYTE_0 src1_sel:DWORD
	s_mov_b64 s[4:5], 0
                                        ; implicit-def: $sgpr10
	s_and_saveexec_b64 s[8:9], s[6:7]
	s_xor_b64 s[6:7], exec, s[8:9]
	s_cbranch_execnz .LBB40_3937
; %bb.1889:
	s_or_saveexec_b64 s[6:7], s[6:7]
	v_mov_b32_e32 v8, s10
	s_xor_b64 exec, exec, s[6:7]
	s_cbranch_execnz .LBB40_3940
.LBB40_1890:
	s_or_b64 exec, exec, s[6:7]
	s_and_saveexec_b64 s[6:7], s[4:5]
	s_cbranch_execz .LBB40_1892
.LBB40_1891:
	v_and_b32_e32 v8, 7, v15
	v_ffbh_u32_e32 v10, v8
	v_min_u32_e32 v10, 32, v10
	v_lshrrev_b16_e32 v9, 3, v15
	v_subrev_u32_e32 v12, 28, v10
	v_and_b32_e32 v9, 15, v9
	v_lshlrev_b32_e32 v12, v12, v15
	v_sub_u32_e32 v10, 29, v10
	v_and_b32_e32 v12, 7, v12
	v_cmp_eq_u16_e32 vcc, 0, v9
	v_cndmask_b32_e32 v8, v8, v12, vcc
	v_cndmask_b32_e32 v9, v9, v10, vcc
	v_lshlrev_b32_e32 v10, 24, v15
	v_mov_b32_e32 v12, 0x3b800000
	v_lshlrev_b32_e32 v8, 20, v8
	v_and_b32_e32 v10, 0x80000000, v10
	v_lshl_add_u32 v9, v9, 23, v12
	v_or3_b32 v8, v10, v9, v8
.LBB40_1892:
	s_or_b64 exec, exec, s[6:7]
	s_movk_i32 s4, 0x7f
	v_cmp_gt_i16_sdwa s[6:7], v11, s4 src0_sel:BYTE_0 src1_sel:DWORD
	s_mov_b64 s[4:5], 0
                                        ; implicit-def: $sgpr10
	s_and_saveexec_b64 s[8:9], s[6:7]
	s_xor_b64 s[6:7], exec, s[8:9]
	s_cbranch_execnz .LBB40_3941
; %bb.1893:
	s_or_saveexec_b64 s[6:7], s[6:7]
	v_mov_b32_e32 v9, s10
	s_xor_b64 exec, exec, s[6:7]
	s_cbranch_execnz .LBB40_3944
.LBB40_1894:
	s_or_b64 exec, exec, s[6:7]
	s_and_saveexec_b64 s[6:7], s[4:5]
	s_cbranch_execz .LBB40_1896
.LBB40_1895:
	v_and_b32_e32 v9, 7, v11
	v_ffbh_u32_e32 v12, v9
	v_min_u32_e32 v12, 32, v12
	v_lshrrev_b16_e32 v10, 3, v11
	v_subrev_u32_e32 v13, 28, v12
	v_and_b32_e32 v10, 15, v10
	v_lshlrev_b32_e32 v13, v13, v11
	v_sub_u32_e32 v12, 29, v12
	v_and_b32_e32 v13, 7, v13
	v_cmp_eq_u16_e32 vcc, 0, v10
	v_cndmask_b32_e32 v9, v9, v13, vcc
	v_cndmask_b32_e32 v10, v10, v12, vcc
	v_lshlrev_b32_e32 v12, 24, v11
	v_mov_b32_e32 v13, 0x3b800000
	v_lshlrev_b32_e32 v9, 20, v9
	v_and_b32_e32 v12, 0x80000000, v12
	v_lshl_add_u32 v10, v10, 23, v13
	v_or3_b32 v9, v12, v10, v9
.LBB40_1896:
	s_or_b64 exec, exec, s[6:7]
	s_nop 0
	v_mfma_f32_16x16x4f32 a[0:3], v8, v9, a[0:3]
	v_lshrrev_b32_e32 v9, 8, v15
	s_movk_i32 s4, 0x7f
	v_cmp_gt_i16_sdwa s[6:7], v9, s4 src0_sel:BYTE_0 src1_sel:DWORD
	s_mov_b64 s[4:5], 0
                                        ; implicit-def: $sgpr10
	s_and_saveexec_b64 s[8:9], s[6:7]
	s_xor_b64 s[6:7], exec, s[8:9]
	s_cbranch_execnz .LBB40_3945
; %bb.1897:
	s_or_saveexec_b64 s[6:7], s[6:7]
	v_mov_b32_e32 v8, s10
	s_xor_b64 exec, exec, s[6:7]
	s_cbranch_execnz .LBB40_3948
.LBB40_1898:
	s_or_b64 exec, exec, s[6:7]
	s_and_saveexec_b64 s[6:7], s[4:5]
	s_cbranch_execz .LBB40_1900
.LBB40_1899:
	v_bfe_u32 v8, v15, 8, 3
	v_ffbh_u32_e32 v12, v8
	v_min_u32_e32 v12, 32, v12
	v_lshrrev_b16_e32 v10, 3, v9
	v_subrev_u32_e32 v13, 28, v12
	v_and_b32_e32 v10, 15, v10
	v_lshlrev_b32_e32 v9, v13, v9
	v_sub_u32_e32 v12, 29, v12
	v_and_b32_e32 v9, 7, v9
	v_cmp_eq_u16_e32 vcc, 0, v10
	v_cndmask_b32_e32 v8, v8, v9, vcc
	v_cndmask_b32_e32 v9, v10, v12, vcc
	v_lshlrev_b32_e32 v10, 16, v15
	v_mov_b32_e32 v12, 0x3b800000
	v_lshlrev_b32_e32 v8, 20, v8
	v_and_b32_e32 v10, 0x80000000, v10
	v_lshl_add_u32 v9, v9, 23, v12
	v_or3_b32 v8, v10, v9, v8
.LBB40_1900:
	s_or_b64 exec, exec, s[6:7]
	v_lshrrev_b32_e32 v9, 8, v11
	s_movk_i32 s4, 0x7f
	v_cmp_gt_i16_sdwa s[6:7], v9, s4 src0_sel:BYTE_0 src1_sel:DWORD
	s_mov_b64 s[4:5], 0
                                        ; implicit-def: $sgpr10
	s_and_saveexec_b64 s[8:9], s[6:7]
	s_xor_b64 s[6:7], exec, s[8:9]
	s_cbranch_execnz .LBB40_3949
; %bb.1901:
	s_or_saveexec_b64 s[6:7], s[6:7]
	v_mov_b32_e32 v10, s10
	s_xor_b64 exec, exec, s[6:7]
	s_cbranch_execnz .LBB40_3952
.LBB40_1902:
	s_or_b64 exec, exec, s[6:7]
	s_and_saveexec_b64 s[6:7], s[4:5]
	s_cbranch_execz .LBB40_1904
.LBB40_1903:
	v_bfe_u32 v10, v11, 8, 3
	v_ffbh_u32_e32 v13, v10
	v_min_u32_e32 v13, 32, v13
	v_lshrrev_b16_e32 v12, 3, v9
	v_subrev_u32_e32 v14, 28, v13
	v_and_b32_e32 v12, 15, v12
	v_lshlrev_b32_e32 v9, v14, v9
	v_sub_u32_e32 v13, 29, v13
	v_and_b32_e32 v9, 7, v9
	v_cmp_eq_u16_e32 vcc, 0, v12
	v_cndmask_b32_e32 v9, v10, v9, vcc
	v_cndmask_b32_e32 v10, v12, v13, vcc
	v_lshlrev_b32_e32 v12, 16, v11
	v_mov_b32_e32 v13, 0x3b800000
	v_lshlrev_b32_e32 v9, 20, v9
	v_and_b32_e32 v12, 0x80000000, v12
	v_lshl_add_u32 v10, v10, 23, v13
	v_or3_b32 v10, v12, v10, v9
.LBB40_1904:
	s_or_b64 exec, exec, s[6:7]
	s_nop 0
	v_mfma_f32_16x16x4f32 a[0:3], v8, v10, a[0:3]
	s_movk_i32 s4, 0xff
	v_and_b32_sdwa v9, v15, s4 dst_sel:DWORD dst_unused:UNUSED_PAD src0_sel:WORD_1 src1_sel:DWORD
	s_movk_i32 s4, 0x7f
	v_cmp_lt_i16_e32 vcc, s4, v9
	s_mov_b64 s[4:5], 0
                                        ; implicit-def: $sgpr10
	s_and_saveexec_b64 s[6:7], vcc
	s_xor_b64 s[6:7], exec, s[6:7]
	s_cbranch_execnz .LBB40_3953
; %bb.1905:
	s_or_saveexec_b64 s[6:7], s[6:7]
	v_mov_b32_e32 v8, s10
	s_xor_b64 exec, exec, s[6:7]
	s_cbranch_execnz .LBB40_3956
.LBB40_1906:
	s_or_b64 exec, exec, s[6:7]
	s_and_saveexec_b64 s[6:7], s[4:5]
	s_cbranch_execz .LBB40_1908
.LBB40_1907:
	v_bfe_u32 v8, v15, 16, 3
	v_ffbh_u32_e32 v12, v8
	v_min_u32_e32 v12, 32, v12
	v_lshrrev_b32_e32 v9, 19, v15
	v_subrev_u32_e32 v13, 28, v12
	v_and_b32_e32 v9, 15, v9
	v_lshlrev_b32_sdwa v13, v13, v15 dst_sel:DWORD dst_unused:UNUSED_PAD src0_sel:DWORD src1_sel:WORD_1
	v_bfe_u32 v10, v15, 19, 4
	v_sub_u32_e32 v12, 29, v12
	v_and_b32_e32 v13, 7, v13
	v_cmp_eq_u16_e32 vcc, 0, v9
	v_cndmask_b32_e32 v8, v8, v13, vcc
	v_cndmask_b32_e32 v9, v10, v12, vcc
	v_lshlrev_b32_e32 v10, 8, v15
	v_mov_b32_e32 v12, 0x3b800000
	v_lshlrev_b32_e32 v8, 20, v8
	v_and_b32_e32 v10, 0x80000000, v10
	v_lshl_add_u32 v9, v9, 23, v12
	v_or3_b32 v8, v10, v9, v8
.LBB40_1908:
	s_or_b64 exec, exec, s[6:7]
	s_movk_i32 s4, 0xff
	v_and_b32_sdwa v9, v11, s4 dst_sel:DWORD dst_unused:UNUSED_PAD src0_sel:WORD_1 src1_sel:DWORD
	s_movk_i32 s4, 0x7f
	v_cmp_lt_i16_e32 vcc, s4, v9
	s_mov_b64 s[4:5], 0
                                        ; implicit-def: $sgpr10
	s_and_saveexec_b64 s[6:7], vcc
	s_xor_b64 s[6:7], exec, s[6:7]
	s_cbranch_execnz .LBB40_3957
; %bb.1909:
	s_or_saveexec_b64 s[6:7], s[6:7]
	v_mov_b32_e32 v10, s10
	s_xor_b64 exec, exec, s[6:7]
	s_cbranch_execnz .LBB40_3960
.LBB40_1910:
	s_or_b64 exec, exec, s[6:7]
	s_and_saveexec_b64 s[6:7], s[4:5]
	s_cbranch_execz .LBB40_1912
.LBB40_1911:
	v_bfe_u32 v9, v11, 16, 3
	v_ffbh_u32_e32 v13, v9
	v_min_u32_e32 v13, 32, v13
	v_lshrrev_b32_e32 v10, 19, v11
	v_subrev_u32_e32 v14, 28, v13
	v_and_b32_e32 v10, 15, v10
	v_lshlrev_b32_sdwa v14, v14, v11 dst_sel:DWORD dst_unused:UNUSED_PAD src0_sel:DWORD src1_sel:WORD_1
	v_bfe_u32 v12, v11, 19, 4
	v_sub_u32_e32 v13, 29, v13
	v_and_b32_e32 v14, 7, v14
	v_cmp_eq_u16_e32 vcc, 0, v10
	v_cndmask_b32_e32 v9, v9, v14, vcc
	v_cndmask_b32_e32 v10, v12, v13, vcc
	v_lshlrev_b32_e32 v12, 8, v11
	v_mov_b32_e32 v13, 0x3b800000
	v_lshlrev_b32_e32 v9, 20, v9
	v_and_b32_e32 v12, 0x80000000, v12
	v_lshl_add_u32 v10, v10, 23, v13
	v_or3_b32 v10, v12, v10, v9
.LBB40_1912:
	s_or_b64 exec, exec, s[6:7]
	s_nop 0
	v_mfma_f32_16x16x4f32 a[0:3], v8, v10, a[0:3]
	s_movk_i32 s4, 0x7f
	v_cmp_gt_i16_sdwa s[6:7], v15, s4 src0_sel:BYTE_3 src1_sel:DWORD
	s_mov_b64 s[4:5], 0
                                        ; implicit-def: $sgpr10
	s_and_saveexec_b64 s[8:9], s[6:7]
	s_xor_b64 s[6:7], exec, s[8:9]
	s_cbranch_execnz .LBB40_3961
; %bb.1913:
	s_or_saveexec_b64 s[6:7], s[6:7]
	v_mov_b32_e32 v8, s10
	s_xor_b64 exec, exec, s[6:7]
	s_cbranch_execnz .LBB40_3964
.LBB40_1914:
	s_or_b64 exec, exec, s[6:7]
	s_and_saveexec_b64 s[6:7], s[4:5]
	s_cbranch_execz .LBB40_1916
.LBB40_1915:
	v_bfe_u32 v8, v15, 24, 3
	v_ffbh_u32_e32 v13, v8
	v_min_u32_e32 v13, 32, v13
	v_lshrrev_b32_e32 v10, 27, v15
	v_subrev_u32_e32 v14, 28, v13
	v_and_b32_e32 v10, 15, v10
	v_lshlrev_b32_sdwa v14, v14, v15 dst_sel:DWORD dst_unused:UNUSED_PAD src0_sel:DWORD src1_sel:BYTE_3
	v_bfe_u32 v12, v15, 27, 4
	v_sub_u32_e32 v13, 29, v13
	v_and_b32_e32 v14, 7, v14
	v_cmp_eq_u16_e32 vcc, 0, v10
	v_cndmask_b32_e32 v8, v8, v14, vcc
	v_cndmask_b32_e32 v10, v12, v13, vcc
	v_mov_b32_e32 v12, 0x3b800000
	v_and_b32_e32 v9, 0x80000000, v15
	v_lshlrev_b32_e32 v8, 20, v8
	v_lshl_add_u32 v10, v10, 23, v12
	v_or3_b32 v8, v9, v10, v8
.LBB40_1916:
	s_or_b64 exec, exec, s[6:7]
	s_movk_i32 s4, 0x7f
	v_cmp_gt_i16_sdwa s[6:7], v11, s4 src0_sel:BYTE_3 src1_sel:DWORD
	s_mov_b64 s[4:5], 0
                                        ; implicit-def: $sgpr10
	s_and_saveexec_b64 s[8:9], s[6:7]
	s_xor_b64 s[6:7], exec, s[8:9]
	s_cbranch_execnz .LBB40_3965
; %bb.1917:
	s_or_saveexec_b64 s[6:7], s[6:7]
	v_mov_b32_e32 v9, s10
	s_xor_b64 exec, exec, s[6:7]
	s_cbranch_execnz .LBB40_3968
.LBB40_1918:
	s_or_b64 exec, exec, s[6:7]
	s_and_saveexec_b64 s[6:7], s[4:5]
	s_cbranch_execz .LBB40_1920
.LBB40_1919:
	v_bfe_u32 v9, v11, 24, 3
	v_ffbh_u32_e32 v14, v9
	v_min_u32_e32 v14, 32, v14
	v_lshrrev_b32_e32 v12, 27, v11
	v_subrev_u32_e32 v15, 28, v14
	v_and_b32_e32 v10, 0x80000000, v11
	v_and_b32_e32 v12, 15, v12
	v_bfe_u32 v13, v11, 27, 4
	v_lshlrev_b32_sdwa v11, v15, v11 dst_sel:DWORD dst_unused:UNUSED_PAD src0_sel:DWORD src1_sel:BYTE_3
	v_sub_u32_e32 v14, 29, v14
	v_and_b32_e32 v11, 7, v11
	v_cmp_eq_u16_e32 vcc, 0, v12
	v_cndmask_b32_e32 v9, v9, v11, vcc
	v_cndmask_b32_e32 v11, v13, v14, vcc
	v_mov_b32_e32 v12, 0x3b800000
	v_lshlrev_b32_e32 v9, 20, v9
	v_lshl_add_u32 v11, v11, 23, v12
	v_or3_b32 v9, v10, v11, v9
.LBB40_1920:
	s_or_b64 exec, exec, s[6:7]
	s_nop 0
	v_mfma_f32_16x16x4f32 a[0:3], v8, v9, a[0:3]
	s_movk_i32 s4, 0x7f
	v_cmp_gt_i16_sdwa s[6:7], v4, s4 src0_sel:BYTE_0 src1_sel:DWORD
	s_mov_b64 s[4:5], 0
                                        ; implicit-def: $sgpr10
	s_and_saveexec_b64 s[8:9], s[6:7]
	s_xor_b64 s[6:7], exec, s[8:9]
	s_cbranch_execnz .LBB40_3969
; %bb.1921:
	s_or_saveexec_b64 s[6:7], s[6:7]
	v_mov_b32_e32 v8, s10
	s_xor_b64 exec, exec, s[6:7]
	s_cbranch_execnz .LBB40_3972
.LBB40_1922:
	s_or_b64 exec, exec, s[6:7]
	s_and_saveexec_b64 s[6:7], s[4:5]
	s_cbranch_execz .LBB40_1924
.LBB40_1923:
	v_and_b32_e32 v8, 7, v4
	v_ffbh_u32_e32 v10, v8
	v_min_u32_e32 v10, 32, v10
	v_lshrrev_b16_e32 v9, 3, v4
	v_subrev_u32_e32 v11, 28, v10
	v_and_b32_e32 v9, 15, v9
	v_lshlrev_b32_e32 v11, v11, v4
	v_sub_u32_e32 v10, 29, v10
	v_and_b32_e32 v11, 7, v11
	v_cmp_eq_u16_e32 vcc, 0, v9
	v_cndmask_b32_e32 v8, v8, v11, vcc
	v_cndmask_b32_e32 v9, v9, v10, vcc
	v_lshlrev_b32_e32 v10, 24, v4
	v_mov_b32_e32 v11, 0x3b800000
	v_lshlrev_b32_e32 v8, 20, v8
	v_and_b32_e32 v10, 0x80000000, v10
	v_lshl_add_u32 v9, v9, 23, v11
	v_or3_b32 v8, v10, v9, v8
.LBB40_1924:
	s_or_b64 exec, exec, s[6:7]
	s_movk_i32 s4, 0x7f
	v_cmp_gt_i16_sdwa s[6:7], v0, s4 src0_sel:BYTE_0 src1_sel:DWORD
	s_mov_b64 s[4:5], 0
                                        ; implicit-def: $sgpr10
	s_and_saveexec_b64 s[8:9], s[6:7]
	s_xor_b64 s[6:7], exec, s[8:9]
	s_cbranch_execnz .LBB40_3973
; %bb.1925:
	s_or_saveexec_b64 s[6:7], s[6:7]
	v_mov_b32_e32 v9, s10
	s_xor_b64 exec, exec, s[6:7]
	s_cbranch_execnz .LBB40_3976
.LBB40_1926:
	s_or_b64 exec, exec, s[6:7]
	s_and_saveexec_b64 s[6:7], s[4:5]
	s_cbranch_execz .LBB40_1928
.LBB40_1927:
	v_and_b32_e32 v9, 7, v0
	v_ffbh_u32_e32 v11, v9
	v_min_u32_e32 v11, 32, v11
	v_lshrrev_b16_e32 v10, 3, v0
	v_subrev_u32_e32 v12, 28, v11
	v_and_b32_e32 v10, 15, v10
	v_lshlrev_b32_e32 v12, v12, v0
	v_sub_u32_e32 v11, 29, v11
	v_and_b32_e32 v12, 7, v12
	v_cmp_eq_u16_e32 vcc, 0, v10
	v_cndmask_b32_e32 v9, v9, v12, vcc
	v_cndmask_b32_e32 v10, v10, v11, vcc
	v_lshlrev_b32_e32 v11, 24, v0
	v_mov_b32_e32 v12, 0x3b800000
	v_lshlrev_b32_e32 v9, 20, v9
	v_and_b32_e32 v11, 0x80000000, v11
	v_lshl_add_u32 v10, v10, 23, v12
	v_or3_b32 v9, v11, v10, v9
.LBB40_1928:
	s_or_b64 exec, exec, s[6:7]
	s_nop 0
	v_mfma_f32_16x16x4f32 a[0:3], v8, v9, a[0:3]
	v_lshrrev_b32_e32 v9, 8, v4
	s_movk_i32 s4, 0x7f
	v_cmp_gt_i16_sdwa s[6:7], v9, s4 src0_sel:BYTE_0 src1_sel:DWORD
	s_mov_b64 s[4:5], 0
                                        ; implicit-def: $sgpr10
	s_and_saveexec_b64 s[8:9], s[6:7]
	s_xor_b64 s[6:7], exec, s[8:9]
	s_cbranch_execnz .LBB40_3977
; %bb.1929:
	s_or_saveexec_b64 s[6:7], s[6:7]
	v_mov_b32_e32 v8, s10
	s_xor_b64 exec, exec, s[6:7]
	s_cbranch_execnz .LBB40_3980
.LBB40_1930:
	s_or_b64 exec, exec, s[6:7]
	s_and_saveexec_b64 s[6:7], s[4:5]
	s_cbranch_execz .LBB40_1932
.LBB40_1931:
	v_bfe_u32 v8, v4, 8, 3
	v_ffbh_u32_e32 v11, v8
	v_min_u32_e32 v11, 32, v11
	v_lshrrev_b16_e32 v10, 3, v9
	v_subrev_u32_e32 v12, 28, v11
	v_and_b32_e32 v10, 15, v10
	v_lshlrev_b32_e32 v9, v12, v9
	v_sub_u32_e32 v11, 29, v11
	v_and_b32_e32 v9, 7, v9
	v_cmp_eq_u16_e32 vcc, 0, v10
	v_cndmask_b32_e32 v8, v8, v9, vcc
	v_cndmask_b32_e32 v9, v10, v11, vcc
	v_lshlrev_b32_e32 v10, 16, v4
	v_mov_b32_e32 v11, 0x3b800000
	v_lshlrev_b32_e32 v8, 20, v8
	v_and_b32_e32 v10, 0x80000000, v10
	v_lshl_add_u32 v9, v9, 23, v11
	v_or3_b32 v8, v10, v9, v8
.LBB40_1932:
	s_or_b64 exec, exec, s[6:7]
	v_lshrrev_b32_e32 v9, 8, v0
	s_movk_i32 s4, 0x7f
	v_cmp_gt_i16_sdwa s[6:7], v9, s4 src0_sel:BYTE_0 src1_sel:DWORD
	s_mov_b64 s[4:5], 0
                                        ; implicit-def: $sgpr10
	s_and_saveexec_b64 s[8:9], s[6:7]
	s_xor_b64 s[6:7], exec, s[8:9]
	s_cbranch_execnz .LBB40_3981
; %bb.1933:
	s_or_saveexec_b64 s[6:7], s[6:7]
	v_mov_b32_e32 v10, s10
	s_xor_b64 exec, exec, s[6:7]
	s_cbranch_execnz .LBB40_3984
.LBB40_1934:
	s_or_b64 exec, exec, s[6:7]
	s_and_saveexec_b64 s[6:7], s[4:5]
	s_cbranch_execz .LBB40_1936
.LBB40_1935:
	v_bfe_u32 v10, v0, 8, 3
	v_ffbh_u32_e32 v12, v10
	v_min_u32_e32 v12, 32, v12
	v_lshrrev_b16_e32 v11, 3, v9
	v_subrev_u32_e32 v13, 28, v12
	v_and_b32_e32 v11, 15, v11
	v_lshlrev_b32_e32 v9, v13, v9
	v_sub_u32_e32 v12, 29, v12
	v_and_b32_e32 v9, 7, v9
	v_cmp_eq_u16_e32 vcc, 0, v11
	v_cndmask_b32_e32 v9, v10, v9, vcc
	v_cndmask_b32_e32 v10, v11, v12, vcc
	v_lshlrev_b32_e32 v11, 16, v0
	v_mov_b32_e32 v12, 0x3b800000
	v_lshlrev_b32_e32 v9, 20, v9
	v_and_b32_e32 v11, 0x80000000, v11
	v_lshl_add_u32 v10, v10, 23, v12
	v_or3_b32 v10, v11, v10, v9
.LBB40_1936:
	s_or_b64 exec, exec, s[6:7]
	s_nop 0
	v_mfma_f32_16x16x4f32 a[0:3], v8, v10, a[0:3]
	s_movk_i32 s4, 0xff
	v_and_b32_sdwa v9, v4, s4 dst_sel:DWORD dst_unused:UNUSED_PAD src0_sel:WORD_1 src1_sel:DWORD
	s_movk_i32 s4, 0x7f
	v_cmp_lt_i16_e32 vcc, s4, v9
	s_mov_b64 s[4:5], 0
                                        ; implicit-def: $sgpr10
	s_and_saveexec_b64 s[6:7], vcc
	s_xor_b64 s[6:7], exec, s[6:7]
	s_cbranch_execnz .LBB40_3985
; %bb.1937:
	s_or_saveexec_b64 s[6:7], s[6:7]
	v_mov_b32_e32 v8, s10
	s_xor_b64 exec, exec, s[6:7]
	s_cbranch_execnz .LBB40_3988
.LBB40_1938:
	s_or_b64 exec, exec, s[6:7]
	s_and_saveexec_b64 s[6:7], s[4:5]
	s_cbranch_execz .LBB40_1940
.LBB40_1939:
	v_bfe_u32 v8, v4, 16, 3
	v_ffbh_u32_e32 v11, v8
	v_min_u32_e32 v11, 32, v11
	v_lshrrev_b32_e32 v9, 19, v4
	v_subrev_u32_e32 v12, 28, v11
	v_and_b32_e32 v9, 15, v9
	v_lshlrev_b32_sdwa v12, v12, v4 dst_sel:DWORD dst_unused:UNUSED_PAD src0_sel:DWORD src1_sel:WORD_1
	v_bfe_u32 v10, v4, 19, 4
	v_sub_u32_e32 v11, 29, v11
	v_and_b32_e32 v12, 7, v12
	v_cmp_eq_u16_e32 vcc, 0, v9
	v_cndmask_b32_e32 v8, v8, v12, vcc
	v_cndmask_b32_e32 v9, v10, v11, vcc
	v_lshlrev_b32_e32 v10, 8, v4
	v_mov_b32_e32 v11, 0x3b800000
	v_lshlrev_b32_e32 v8, 20, v8
	v_and_b32_e32 v10, 0x80000000, v10
	v_lshl_add_u32 v9, v9, 23, v11
	v_or3_b32 v8, v10, v9, v8
.LBB40_1940:
	s_or_b64 exec, exec, s[6:7]
	s_movk_i32 s4, 0xff
	v_and_b32_sdwa v9, v0, s4 dst_sel:DWORD dst_unused:UNUSED_PAD src0_sel:WORD_1 src1_sel:DWORD
	s_movk_i32 s4, 0x7f
	v_cmp_lt_i16_e32 vcc, s4, v9
	s_mov_b64 s[4:5], 0
                                        ; implicit-def: $sgpr10
	s_and_saveexec_b64 s[6:7], vcc
	s_xor_b64 s[6:7], exec, s[6:7]
	s_cbranch_execnz .LBB40_3989
; %bb.1941:
	s_or_saveexec_b64 s[6:7], s[6:7]
	v_mov_b32_e32 v10, s10
	s_xor_b64 exec, exec, s[6:7]
	s_cbranch_execnz .LBB40_3992
.LBB40_1942:
	s_or_b64 exec, exec, s[6:7]
	s_and_saveexec_b64 s[6:7], s[4:5]
	s_cbranch_execz .LBB40_1944
.LBB40_1943:
	v_bfe_u32 v9, v0, 16, 3
	v_ffbh_u32_e32 v12, v9
	v_min_u32_e32 v12, 32, v12
	v_lshrrev_b32_e32 v10, 19, v0
	v_subrev_u32_e32 v13, 28, v12
	v_and_b32_e32 v10, 15, v10
	v_lshlrev_b32_sdwa v13, v13, v0 dst_sel:DWORD dst_unused:UNUSED_PAD src0_sel:DWORD src1_sel:WORD_1
	v_bfe_u32 v11, v0, 19, 4
	v_sub_u32_e32 v12, 29, v12
	v_and_b32_e32 v13, 7, v13
	v_cmp_eq_u16_e32 vcc, 0, v10
	v_cndmask_b32_e32 v9, v9, v13, vcc
	v_cndmask_b32_e32 v10, v11, v12, vcc
	v_lshlrev_b32_e32 v11, 8, v0
	v_mov_b32_e32 v12, 0x3b800000
	v_lshlrev_b32_e32 v9, 20, v9
	v_and_b32_e32 v11, 0x80000000, v11
	v_lshl_add_u32 v10, v10, 23, v12
	v_or3_b32 v10, v11, v10, v9
.LBB40_1944:
	s_or_b64 exec, exec, s[6:7]
	s_nop 0
	v_mfma_f32_16x16x4f32 a[0:3], v8, v10, a[0:3]
	s_movk_i32 s4, 0x7f
	v_cmp_gt_i16_sdwa s[6:7], v4, s4 src0_sel:BYTE_3 src1_sel:DWORD
	s_mov_b64 s[4:5], 0
                                        ; implicit-def: $sgpr10
	s_and_saveexec_b64 s[8:9], s[6:7]
	s_xor_b64 s[6:7], exec, s[8:9]
	s_cbranch_execnz .LBB40_3993
; %bb.1945:
	s_or_saveexec_b64 s[6:7], s[6:7]
	v_mov_b32_e32 v8, s10
	s_xor_b64 exec, exec, s[6:7]
	s_cbranch_execnz .LBB40_3996
.LBB40_1946:
	s_or_b64 exec, exec, s[6:7]
	s_and_saveexec_b64 s[6:7], s[4:5]
	s_cbranch_execz .LBB40_1948
.LBB40_1947:
	v_bfe_u32 v8, v4, 24, 3
	v_ffbh_u32_e32 v12, v8
	v_min_u32_e32 v12, 32, v12
	v_lshrrev_b32_e32 v10, 27, v4
	v_subrev_u32_e32 v13, 28, v12
	v_and_b32_e32 v9, 0x80000000, v4
	v_and_b32_e32 v10, 15, v10
	v_bfe_u32 v11, v4, 27, 4
	v_lshlrev_b32_sdwa v4, v13, v4 dst_sel:DWORD dst_unused:UNUSED_PAD src0_sel:DWORD src1_sel:BYTE_3
	v_sub_u32_e32 v12, 29, v12
	v_and_b32_e32 v4, 7, v4
	v_cmp_eq_u16_e32 vcc, 0, v10
	v_cndmask_b32_e32 v4, v8, v4, vcc
	v_cndmask_b32_e32 v8, v11, v12, vcc
	v_mov_b32_e32 v10, 0x3b800000
	v_lshlrev_b32_e32 v4, 20, v4
	v_lshl_add_u32 v8, v8, 23, v10
	v_or3_b32 v8, v9, v8, v4
.LBB40_1948:
	s_or_b64 exec, exec, s[6:7]
	s_movk_i32 s4, 0x7f
	v_cmp_gt_i16_sdwa s[6:7], v0, s4 src0_sel:BYTE_3 src1_sel:DWORD
	s_mov_b64 s[4:5], 0
                                        ; implicit-def: $sgpr10
	s_and_saveexec_b64 s[8:9], s[6:7]
	s_xor_b64 s[6:7], exec, s[8:9]
	s_cbranch_execnz .LBB40_3997
; %bb.1949:
	s_or_saveexec_b64 s[6:7], s[6:7]
	v_mov_b32_e32 v4, s10
	s_xor_b64 exec, exec, s[6:7]
	s_cbranch_execnz .LBB40_4000
.LBB40_1950:
	s_or_b64 exec, exec, s[6:7]
	s_and_saveexec_b64 s[6:7], s[4:5]
	s_cbranch_execz .LBB40_1952
.LBB40_1951:
	v_bfe_u32 v4, v0, 24, 3
	v_ffbh_u32_e32 v12, v4
	v_min_u32_e32 v12, 32, v12
	v_lshrrev_b32_e32 v10, 27, v0
	v_subrev_u32_e32 v13, 28, v12
	v_and_b32_e32 v9, 0x80000000, v0
	v_and_b32_e32 v10, 15, v10
	v_bfe_u32 v11, v0, 27, 4
	v_lshlrev_b32_sdwa v0, v13, v0 dst_sel:DWORD dst_unused:UNUSED_PAD src0_sel:DWORD src1_sel:BYTE_3
	v_sub_u32_e32 v12, 29, v12
	v_and_b32_e32 v0, 7, v0
	v_cmp_eq_u16_e32 vcc, 0, v10
	v_cndmask_b32_e32 v0, v4, v0, vcc
	v_cndmask_b32_e32 v4, v11, v12, vcc
	v_mov_b32_e32 v10, 0x3b800000
	v_lshlrev_b32_e32 v0, 20, v0
	v_lshl_add_u32 v4, v4, 23, v10
	v_or3_b32 v4, v9, v4, v0
.LBB40_1952:
	s_or_b64 exec, exec, s[6:7]
	s_nop 0
	v_mfma_f32_16x16x4f32 a[0:3], v8, v4, a[0:3]
	s_movk_i32 s4, 0x7f
	v_cmp_gt_i16_sdwa s[6:7], v5, s4 src0_sel:BYTE_0 src1_sel:DWORD
	s_mov_b64 s[4:5], 0
                                        ; implicit-def: $sgpr10
	s_and_saveexec_b64 s[8:9], s[6:7]
	s_xor_b64 s[6:7], exec, s[8:9]
	s_cbranch_execnz .LBB40_4001
; %bb.1953:
	s_or_saveexec_b64 s[6:7], s[6:7]
	v_mov_b32_e32 v0, s10
	s_xor_b64 exec, exec, s[6:7]
	s_cbranch_execnz .LBB40_4004
.LBB40_1954:
	s_or_b64 exec, exec, s[6:7]
	s_and_saveexec_b64 s[6:7], s[4:5]
	s_cbranch_execz .LBB40_1956
.LBB40_1955:
	v_and_b32_e32 v0, 7, v5
	v_ffbh_u32_e32 v8, v0
	v_min_u32_e32 v8, 32, v8
	v_lshrrev_b16_e32 v4, 3, v5
	v_subrev_u32_e32 v9, 28, v8
	v_and_b32_e32 v4, 15, v4
	v_lshlrev_b32_e32 v9, v9, v5
	v_sub_u32_e32 v8, 29, v8
	v_and_b32_e32 v9, 7, v9
	v_cmp_eq_u16_e32 vcc, 0, v4
	v_cndmask_b32_e32 v0, v0, v9, vcc
	v_cndmask_b32_e32 v4, v4, v8, vcc
	v_lshlrev_b32_e32 v8, 24, v5
	v_mov_b32_e32 v9, 0x3b800000
	v_lshlrev_b32_e32 v0, 20, v0
	v_and_b32_e32 v8, 0x80000000, v8
	v_lshl_add_u32 v4, v4, 23, v9
	v_or3_b32 v0, v8, v4, v0
.LBB40_1956:
	s_or_b64 exec, exec, s[6:7]
	s_movk_i32 s4, 0x7f
	v_cmp_gt_i16_sdwa s[6:7], v1, s4 src0_sel:BYTE_0 src1_sel:DWORD
	s_mov_b64 s[4:5], 0
                                        ; implicit-def: $sgpr10
	s_and_saveexec_b64 s[8:9], s[6:7]
	s_xor_b64 s[6:7], exec, s[8:9]
	s_cbranch_execnz .LBB40_4005
; %bb.1957:
	s_or_saveexec_b64 s[6:7], s[6:7]
	v_mov_b32_e32 v4, s10
	s_xor_b64 exec, exec, s[6:7]
	s_cbranch_execnz .LBB40_4008
.LBB40_1958:
	s_or_b64 exec, exec, s[6:7]
	s_and_saveexec_b64 s[6:7], s[4:5]
	s_cbranch_execz .LBB40_1960
.LBB40_1959:
	v_and_b32_e32 v4, 7, v1
	v_ffbh_u32_e32 v9, v4
	v_min_u32_e32 v9, 32, v9
	v_lshrrev_b16_e32 v8, 3, v1
	v_subrev_u32_e32 v10, 28, v9
	v_and_b32_e32 v8, 15, v8
	v_lshlrev_b32_e32 v10, v10, v1
	v_sub_u32_e32 v9, 29, v9
	v_and_b32_e32 v10, 7, v10
	v_cmp_eq_u16_e32 vcc, 0, v8
	v_cndmask_b32_e32 v4, v4, v10, vcc
	v_cndmask_b32_e32 v8, v8, v9, vcc
	v_lshlrev_b32_e32 v9, 24, v1
	v_mov_b32_e32 v10, 0x3b800000
	v_lshlrev_b32_e32 v4, 20, v4
	v_and_b32_e32 v9, 0x80000000, v9
	v_lshl_add_u32 v8, v8, 23, v10
	v_or3_b32 v4, v9, v8, v4
.LBB40_1960:
	s_or_b64 exec, exec, s[6:7]
	s_nop 0
	v_mfma_f32_16x16x4f32 a[0:3], v0, v4, a[0:3]
	v_lshrrev_b32_e32 v4, 8, v5
	s_movk_i32 s4, 0x7f
	v_cmp_gt_i16_sdwa s[6:7], v4, s4 src0_sel:BYTE_0 src1_sel:DWORD
	s_mov_b64 s[4:5], 0
                                        ; implicit-def: $sgpr10
	s_and_saveexec_b64 s[8:9], s[6:7]
	s_xor_b64 s[6:7], exec, s[8:9]
	s_cbranch_execnz .LBB40_4009
; %bb.1961:
	s_or_saveexec_b64 s[6:7], s[6:7]
	v_mov_b32_e32 v0, s10
	s_xor_b64 exec, exec, s[6:7]
	s_cbranch_execnz .LBB40_4012
.LBB40_1962:
	s_or_b64 exec, exec, s[6:7]
	s_and_saveexec_b64 s[6:7], s[4:5]
	s_cbranch_execz .LBB40_1964
.LBB40_1963:
	v_bfe_u32 v0, v5, 8, 3
	v_ffbh_u32_e32 v9, v0
	v_min_u32_e32 v9, 32, v9
	v_lshrrev_b16_e32 v8, 3, v4
	v_subrev_u32_e32 v10, 28, v9
	v_and_b32_e32 v8, 15, v8
	v_lshlrev_b32_e32 v4, v10, v4
	v_sub_u32_e32 v9, 29, v9
	v_and_b32_e32 v4, 7, v4
	v_cmp_eq_u16_e32 vcc, 0, v8
	v_cndmask_b32_e32 v0, v0, v4, vcc
	v_cndmask_b32_e32 v4, v8, v9, vcc
	v_lshlrev_b32_e32 v8, 16, v5
	v_mov_b32_e32 v9, 0x3b800000
	v_lshlrev_b32_e32 v0, 20, v0
	v_and_b32_e32 v8, 0x80000000, v8
	v_lshl_add_u32 v4, v4, 23, v9
	v_or3_b32 v0, v8, v4, v0
.LBB40_1964:
	s_or_b64 exec, exec, s[6:7]
	v_lshrrev_b32_e32 v4, 8, v1
	s_movk_i32 s4, 0x7f
	v_cmp_gt_i16_sdwa s[6:7], v4, s4 src0_sel:BYTE_0 src1_sel:DWORD
	s_mov_b64 s[4:5], 0
                                        ; implicit-def: $sgpr10
	s_and_saveexec_b64 s[8:9], s[6:7]
	s_xor_b64 s[6:7], exec, s[8:9]
	s_cbranch_execnz .LBB40_4013
; %bb.1965:
	s_or_saveexec_b64 s[6:7], s[6:7]
	v_mov_b32_e32 v8, s10
	s_xor_b64 exec, exec, s[6:7]
	s_cbranch_execnz .LBB40_4016
.LBB40_1966:
	s_or_b64 exec, exec, s[6:7]
	s_and_saveexec_b64 s[6:7], s[4:5]
	s_cbranch_execz .LBB40_1968
.LBB40_1967:
	v_bfe_u32 v8, v1, 8, 3
	v_ffbh_u32_e32 v10, v8
	v_min_u32_e32 v10, 32, v10
	v_lshrrev_b16_e32 v9, 3, v4
	v_subrev_u32_e32 v11, 28, v10
	v_and_b32_e32 v9, 15, v9
	v_lshlrev_b32_e32 v4, v11, v4
	v_sub_u32_e32 v10, 29, v10
	v_and_b32_e32 v4, 7, v4
	v_cmp_eq_u16_e32 vcc, 0, v9
	v_cndmask_b32_e32 v4, v8, v4, vcc
	v_cndmask_b32_e32 v8, v9, v10, vcc
	v_lshlrev_b32_e32 v9, 16, v1
	v_mov_b32_e32 v10, 0x3b800000
	v_lshlrev_b32_e32 v4, 20, v4
	v_and_b32_e32 v9, 0x80000000, v9
	v_lshl_add_u32 v8, v8, 23, v10
	v_or3_b32 v8, v9, v8, v4
.LBB40_1968:
	s_or_b64 exec, exec, s[6:7]
	s_nop 0
	v_mfma_f32_16x16x4f32 a[0:3], v0, v8, a[0:3]
	s_movk_i32 s4, 0xff
	v_and_b32_sdwa v4, v5, s4 dst_sel:DWORD dst_unused:UNUSED_PAD src0_sel:WORD_1 src1_sel:DWORD
	s_movk_i32 s4, 0x7f
	v_cmp_lt_i16_e32 vcc, s4, v4
	s_mov_b64 s[4:5], 0
                                        ; implicit-def: $sgpr10
	s_and_saveexec_b64 s[6:7], vcc
	s_xor_b64 s[6:7], exec, s[6:7]
	s_cbranch_execnz .LBB40_4017
; %bb.1969:
	s_or_saveexec_b64 s[6:7], s[6:7]
	v_mov_b32_e32 v0, s10
	s_xor_b64 exec, exec, s[6:7]
	s_cbranch_execnz .LBB40_4020
.LBB40_1970:
	s_or_b64 exec, exec, s[6:7]
	s_and_saveexec_b64 s[6:7], s[4:5]
	s_cbranch_execz .LBB40_1972
.LBB40_1971:
	v_bfe_u32 v0, v5, 16, 3
	v_ffbh_u32_e32 v9, v0
	v_min_u32_e32 v9, 32, v9
	v_lshrrev_b32_e32 v4, 19, v5
	v_subrev_u32_e32 v10, 28, v9
	v_and_b32_e32 v4, 15, v4
	v_lshlrev_b32_sdwa v10, v10, v5 dst_sel:DWORD dst_unused:UNUSED_PAD src0_sel:DWORD src1_sel:WORD_1
	v_bfe_u32 v8, v5, 19, 4
	v_sub_u32_e32 v9, 29, v9
	v_and_b32_e32 v10, 7, v10
	v_cmp_eq_u16_e32 vcc, 0, v4
	v_cndmask_b32_e32 v0, v0, v10, vcc
	v_cndmask_b32_e32 v4, v8, v9, vcc
	v_lshlrev_b32_e32 v8, 8, v5
	v_mov_b32_e32 v9, 0x3b800000
	v_lshlrev_b32_e32 v0, 20, v0
	v_and_b32_e32 v8, 0x80000000, v8
	v_lshl_add_u32 v4, v4, 23, v9
	v_or3_b32 v0, v8, v4, v0
.LBB40_1972:
	s_or_b64 exec, exec, s[6:7]
	s_movk_i32 s4, 0xff
	v_and_b32_sdwa v4, v1, s4 dst_sel:DWORD dst_unused:UNUSED_PAD src0_sel:WORD_1 src1_sel:DWORD
	s_movk_i32 s4, 0x7f
	v_cmp_lt_i16_e32 vcc, s4, v4
	s_mov_b64 s[4:5], 0
                                        ; implicit-def: $sgpr10
	s_and_saveexec_b64 s[6:7], vcc
	s_xor_b64 s[6:7], exec, s[6:7]
	s_cbranch_execnz .LBB40_4021
; %bb.1973:
	s_or_saveexec_b64 s[6:7], s[6:7]
	v_mov_b32_e32 v8, s10
	s_xor_b64 exec, exec, s[6:7]
	s_cbranch_execnz .LBB40_4024
.LBB40_1974:
	s_or_b64 exec, exec, s[6:7]
	s_and_saveexec_b64 s[6:7], s[4:5]
	s_cbranch_execz .LBB40_1976
.LBB40_1975:
	v_bfe_u32 v4, v1, 16, 3
	v_ffbh_u32_e32 v10, v4
	v_min_u32_e32 v10, 32, v10
	v_lshrrev_b32_e32 v8, 19, v1
	v_subrev_u32_e32 v11, 28, v10
	v_and_b32_e32 v8, 15, v8
	v_lshlrev_b32_sdwa v11, v11, v1 dst_sel:DWORD dst_unused:UNUSED_PAD src0_sel:DWORD src1_sel:WORD_1
	v_bfe_u32 v9, v1, 19, 4
	v_sub_u32_e32 v10, 29, v10
	v_and_b32_e32 v11, 7, v11
	v_cmp_eq_u16_e32 vcc, 0, v8
	v_cndmask_b32_e32 v4, v4, v11, vcc
	v_cndmask_b32_e32 v8, v9, v10, vcc
	v_lshlrev_b32_e32 v9, 8, v1
	v_mov_b32_e32 v10, 0x3b800000
	v_lshlrev_b32_e32 v4, 20, v4
	v_and_b32_e32 v9, 0x80000000, v9
	v_lshl_add_u32 v8, v8, 23, v10
	v_or3_b32 v8, v9, v8, v4
.LBB40_1976:
	s_or_b64 exec, exec, s[6:7]
	s_nop 0
	v_mfma_f32_16x16x4f32 a[0:3], v0, v8, a[0:3]
	s_movk_i32 s4, 0x7f
	v_cmp_gt_i16_sdwa s[6:7], v5, s4 src0_sel:BYTE_3 src1_sel:DWORD
	s_mov_b64 s[4:5], 0
                                        ; implicit-def: $sgpr10
	s_and_saveexec_b64 s[8:9], s[6:7]
	s_xor_b64 s[6:7], exec, s[8:9]
	s_cbranch_execnz .LBB40_4025
; %bb.1977:
	s_or_saveexec_b64 s[6:7], s[6:7]
	v_mov_b32_e32 v0, s10
	s_xor_b64 exec, exec, s[6:7]
	s_cbranch_execnz .LBB40_4028
.LBB40_1978:
	s_or_b64 exec, exec, s[6:7]
	s_and_saveexec_b64 s[6:7], s[4:5]
	s_cbranch_execz .LBB40_1980
.LBB40_1979:
	v_bfe_u32 v0, v5, 24, 3
	v_ffbh_u32_e32 v10, v0
	v_min_u32_e32 v10, 32, v10
	v_lshrrev_b32_e32 v8, 27, v5
	v_subrev_u32_e32 v11, 28, v10
	v_and_b32_e32 v4, 0x80000000, v5
	v_and_b32_e32 v8, 15, v8
	v_bfe_u32 v9, v5, 27, 4
	v_lshlrev_b32_sdwa v5, v11, v5 dst_sel:DWORD dst_unused:UNUSED_PAD src0_sel:DWORD src1_sel:BYTE_3
	v_sub_u32_e32 v10, 29, v10
	v_and_b32_e32 v5, 7, v5
	v_cmp_eq_u16_e32 vcc, 0, v8
	v_cndmask_b32_e32 v0, v0, v5, vcc
	v_cndmask_b32_e32 v5, v9, v10, vcc
	v_mov_b32_e32 v8, 0x3b800000
	v_lshlrev_b32_e32 v0, 20, v0
	v_lshl_add_u32 v5, v5, 23, v8
	v_or3_b32 v0, v4, v5, v0
.LBB40_1980:
	s_or_b64 exec, exec, s[6:7]
	s_movk_i32 s4, 0x7f
	v_cmp_gt_i16_sdwa s[6:7], v1, s4 src0_sel:BYTE_3 src1_sel:DWORD
	s_mov_b64 s[4:5], 0
                                        ; implicit-def: $sgpr10
	s_and_saveexec_b64 s[8:9], s[6:7]
	s_xor_b64 s[6:7], exec, s[8:9]
	s_cbranch_execnz .LBB40_4029
; %bb.1981:
	s_or_saveexec_b64 s[6:7], s[6:7]
	v_mov_b32_e32 v4, s10
	s_xor_b64 exec, exec, s[6:7]
	s_cbranch_execnz .LBB40_4032
.LBB40_1982:
	s_or_b64 exec, exec, s[6:7]
	s_and_saveexec_b64 s[6:7], s[4:5]
	s_cbranch_execz .LBB40_1984
.LBB40_1983:
	v_bfe_u32 v4, v1, 24, 3
	v_ffbh_u32_e32 v10, v4
	v_min_u32_e32 v10, 32, v10
	v_lshrrev_b32_e32 v8, 27, v1
	v_subrev_u32_e32 v11, 28, v10
	v_and_b32_e32 v5, 0x80000000, v1
	v_and_b32_e32 v8, 15, v8
	v_bfe_u32 v9, v1, 27, 4
	v_lshlrev_b32_sdwa v1, v11, v1 dst_sel:DWORD dst_unused:UNUSED_PAD src0_sel:DWORD src1_sel:BYTE_3
	v_sub_u32_e32 v10, 29, v10
	v_and_b32_e32 v1, 7, v1
	v_cmp_eq_u16_e32 vcc, 0, v8
	v_cndmask_b32_e32 v1, v4, v1, vcc
	v_cndmask_b32_e32 v4, v9, v10, vcc
	v_mov_b32_e32 v8, 0x3b800000
	v_lshlrev_b32_e32 v1, 20, v1
	v_lshl_add_u32 v4, v4, 23, v8
	v_or3_b32 v4, v5, v4, v1
.LBB40_1984:
	s_or_b64 exec, exec, s[6:7]
	s_nop 0
	v_mfma_f32_16x16x4f32 a[0:3], v0, v4, a[0:3]
	s_movk_i32 s4, 0x7f
	v_cmp_gt_i16_sdwa s[6:7], v6, s4 src0_sel:BYTE_0 src1_sel:DWORD
	s_mov_b64 s[4:5], 0
                                        ; implicit-def: $sgpr10
	s_and_saveexec_b64 s[8:9], s[6:7]
	s_xor_b64 s[6:7], exec, s[8:9]
	s_cbranch_execnz .LBB40_4033
; %bb.1985:
	s_or_saveexec_b64 s[6:7], s[6:7]
	v_mov_b32_e32 v0, s10
	s_xor_b64 exec, exec, s[6:7]
	s_cbranch_execnz .LBB40_4036
.LBB40_1986:
	s_or_b64 exec, exec, s[6:7]
	s_and_saveexec_b64 s[6:7], s[4:5]
	s_cbranch_execz .LBB40_1988
.LBB40_1987:
	v_and_b32_e32 v0, 7, v6
	v_ffbh_u32_e32 v4, v0
	v_min_u32_e32 v4, 32, v4
	v_lshrrev_b16_e32 v1, 3, v6
	v_subrev_u32_e32 v5, 28, v4
	v_and_b32_e32 v1, 15, v1
	v_lshlrev_b32_e32 v5, v5, v6
	v_sub_u32_e32 v4, 29, v4
	v_and_b32_e32 v5, 7, v5
	v_cmp_eq_u16_e32 vcc, 0, v1
	v_cndmask_b32_e32 v0, v0, v5, vcc
	v_cndmask_b32_e32 v1, v1, v4, vcc
	v_lshlrev_b32_e32 v4, 24, v6
	v_mov_b32_e32 v5, 0x3b800000
	v_lshlrev_b32_e32 v0, 20, v0
	v_and_b32_e32 v4, 0x80000000, v4
	v_lshl_add_u32 v1, v1, 23, v5
	v_or3_b32 v0, v4, v1, v0
.LBB40_1988:
	s_or_b64 exec, exec, s[6:7]
	s_movk_i32 s4, 0x7f
	v_cmp_gt_i16_sdwa s[6:7], v2, s4 src0_sel:BYTE_0 src1_sel:DWORD
	s_mov_b64 s[4:5], 0
                                        ; implicit-def: $sgpr10
	s_and_saveexec_b64 s[8:9], s[6:7]
	s_xor_b64 s[6:7], exec, s[8:9]
	s_cbranch_execnz .LBB40_4037
; %bb.1989:
	s_or_saveexec_b64 s[6:7], s[6:7]
	v_mov_b32_e32 v1, s10
	s_xor_b64 exec, exec, s[6:7]
	s_cbranch_execnz .LBB40_4040
.LBB40_1990:
	s_or_b64 exec, exec, s[6:7]
	s_and_saveexec_b64 s[6:7], s[4:5]
	s_cbranch_execz .LBB40_1992
.LBB40_1991:
	v_and_b32_e32 v1, 7, v2
	v_ffbh_u32_e32 v5, v1
	v_min_u32_e32 v5, 32, v5
	v_lshrrev_b16_e32 v4, 3, v2
	v_subrev_u32_e32 v8, 28, v5
	v_and_b32_e32 v4, 15, v4
	v_lshlrev_b32_e32 v8, v8, v2
	v_sub_u32_e32 v5, 29, v5
	v_and_b32_e32 v8, 7, v8
	v_cmp_eq_u16_e32 vcc, 0, v4
	v_cndmask_b32_e32 v1, v1, v8, vcc
	v_cndmask_b32_e32 v4, v4, v5, vcc
	v_lshlrev_b32_e32 v5, 24, v2
	v_mov_b32_e32 v8, 0x3b800000
	v_lshlrev_b32_e32 v1, 20, v1
	v_and_b32_e32 v5, 0x80000000, v5
	v_lshl_add_u32 v4, v4, 23, v8
	v_or3_b32 v1, v5, v4, v1
.LBB40_1992:
	s_or_b64 exec, exec, s[6:7]
	s_nop 0
	v_mfma_f32_16x16x4f32 a[0:3], v0, v1, a[0:3]
	v_lshrrev_b32_e32 v1, 8, v6
	s_movk_i32 s4, 0x7f
	v_cmp_gt_i16_sdwa s[6:7], v1, s4 src0_sel:BYTE_0 src1_sel:DWORD
	s_mov_b64 s[4:5], 0
                                        ; implicit-def: $sgpr10
	s_and_saveexec_b64 s[8:9], s[6:7]
	s_xor_b64 s[6:7], exec, s[8:9]
	s_cbranch_execnz .LBB40_4041
; %bb.1993:
	s_or_saveexec_b64 s[6:7], s[6:7]
	v_mov_b32_e32 v0, s10
	s_xor_b64 exec, exec, s[6:7]
	s_cbranch_execnz .LBB40_4044
.LBB40_1994:
	s_or_b64 exec, exec, s[6:7]
	s_and_saveexec_b64 s[6:7], s[4:5]
	s_cbranch_execz .LBB40_1996
.LBB40_1995:
	v_bfe_u32 v0, v6, 8, 3
	v_ffbh_u32_e32 v5, v0
	v_min_u32_e32 v5, 32, v5
	v_lshrrev_b16_e32 v4, 3, v1
	v_subrev_u32_e32 v8, 28, v5
	v_and_b32_e32 v4, 15, v4
	v_lshlrev_b32_e32 v1, v8, v1
	v_sub_u32_e32 v5, 29, v5
	v_and_b32_e32 v1, 7, v1
	v_cmp_eq_u16_e32 vcc, 0, v4
	v_cndmask_b32_e32 v0, v0, v1, vcc
	v_cndmask_b32_e32 v1, v4, v5, vcc
	v_lshlrev_b32_e32 v4, 16, v6
	v_mov_b32_e32 v5, 0x3b800000
	v_lshlrev_b32_e32 v0, 20, v0
	v_and_b32_e32 v4, 0x80000000, v4
	v_lshl_add_u32 v1, v1, 23, v5
	v_or3_b32 v0, v4, v1, v0
.LBB40_1996:
	s_or_b64 exec, exec, s[6:7]
	v_lshrrev_b32_e32 v1, 8, v2
	s_movk_i32 s4, 0x7f
	v_cmp_gt_i16_sdwa s[6:7], v1, s4 src0_sel:BYTE_0 src1_sel:DWORD
	s_mov_b64 s[4:5], 0
                                        ; implicit-def: $sgpr10
	s_and_saveexec_b64 s[8:9], s[6:7]
	s_xor_b64 s[6:7], exec, s[8:9]
	s_cbranch_execnz .LBB40_4045
; %bb.1997:
	s_or_saveexec_b64 s[6:7], s[6:7]
	v_mov_b32_e32 v4, s10
	s_xor_b64 exec, exec, s[6:7]
	s_cbranch_execnz .LBB40_4048
.LBB40_1998:
	s_or_b64 exec, exec, s[6:7]
	s_and_saveexec_b64 s[6:7], s[4:5]
	s_cbranch_execz .LBB40_2000
.LBB40_1999:
	v_bfe_u32 v4, v2, 8, 3
	v_ffbh_u32_e32 v8, v4
	v_min_u32_e32 v8, 32, v8
	v_lshrrev_b16_e32 v5, 3, v1
	v_subrev_u32_e32 v9, 28, v8
	v_and_b32_e32 v5, 15, v5
	v_lshlrev_b32_e32 v1, v9, v1
	v_sub_u32_e32 v8, 29, v8
	v_and_b32_e32 v1, 7, v1
	v_cmp_eq_u16_e32 vcc, 0, v5
	v_cndmask_b32_e32 v1, v4, v1, vcc
	v_cndmask_b32_e32 v4, v5, v8, vcc
	v_lshlrev_b32_e32 v5, 16, v2
	v_mov_b32_e32 v8, 0x3b800000
	v_lshlrev_b32_e32 v1, 20, v1
	v_and_b32_e32 v5, 0x80000000, v5
	v_lshl_add_u32 v4, v4, 23, v8
	v_or3_b32 v4, v5, v4, v1
.LBB40_2000:
	s_or_b64 exec, exec, s[6:7]
	s_nop 0
	v_mfma_f32_16x16x4f32 a[0:3], v0, v4, a[0:3]
	s_movk_i32 s4, 0xff
	v_and_b32_sdwa v1, v6, s4 dst_sel:DWORD dst_unused:UNUSED_PAD src0_sel:WORD_1 src1_sel:DWORD
	s_movk_i32 s4, 0x7f
	v_cmp_lt_i16_e32 vcc, s4, v1
	s_mov_b64 s[4:5], 0
                                        ; implicit-def: $sgpr10
	s_and_saveexec_b64 s[6:7], vcc
	s_xor_b64 s[6:7], exec, s[6:7]
	s_cbranch_execnz .LBB40_4049
; %bb.2001:
	s_or_saveexec_b64 s[6:7], s[6:7]
	v_mov_b32_e32 v0, s10
	s_xor_b64 exec, exec, s[6:7]
	s_cbranch_execnz .LBB40_4052
.LBB40_2002:
	s_or_b64 exec, exec, s[6:7]
	s_and_saveexec_b64 s[6:7], s[4:5]
	s_cbranch_execz .LBB40_2004
.LBB40_2003:
	v_bfe_u32 v0, v6, 16, 3
	v_ffbh_u32_e32 v5, v0
	v_min_u32_e32 v5, 32, v5
	v_lshrrev_b32_e32 v1, 19, v6
	v_subrev_u32_e32 v8, 28, v5
	v_and_b32_e32 v1, 15, v1
	v_lshlrev_b32_sdwa v8, v8, v6 dst_sel:DWORD dst_unused:UNUSED_PAD src0_sel:DWORD src1_sel:WORD_1
	v_bfe_u32 v4, v6, 19, 4
	v_sub_u32_e32 v5, 29, v5
	v_and_b32_e32 v8, 7, v8
	v_cmp_eq_u16_e32 vcc, 0, v1
	v_cndmask_b32_e32 v0, v0, v8, vcc
	v_cndmask_b32_e32 v1, v4, v5, vcc
	v_lshlrev_b32_e32 v4, 8, v6
	v_mov_b32_e32 v5, 0x3b800000
	v_lshlrev_b32_e32 v0, 20, v0
	v_and_b32_e32 v4, 0x80000000, v4
	v_lshl_add_u32 v1, v1, 23, v5
	v_or3_b32 v0, v4, v1, v0
.LBB40_2004:
	s_or_b64 exec, exec, s[6:7]
	s_movk_i32 s4, 0xff
	v_and_b32_sdwa v1, v2, s4 dst_sel:DWORD dst_unused:UNUSED_PAD src0_sel:WORD_1 src1_sel:DWORD
	s_movk_i32 s4, 0x7f
	v_cmp_lt_i16_e32 vcc, s4, v1
	s_mov_b64 s[4:5], 0
                                        ; implicit-def: $sgpr10
	s_and_saveexec_b64 s[6:7], vcc
	s_xor_b64 s[6:7], exec, s[6:7]
	s_cbranch_execnz .LBB40_4053
; %bb.2005:
	s_or_saveexec_b64 s[6:7], s[6:7]
	v_mov_b32_e32 v4, s10
	s_xor_b64 exec, exec, s[6:7]
	s_cbranch_execnz .LBB40_4056
.LBB40_2006:
	s_or_b64 exec, exec, s[6:7]
	s_and_saveexec_b64 s[6:7], s[4:5]
	s_cbranch_execz .LBB40_2008
.LBB40_2007:
	v_bfe_u32 v1, v2, 16, 3
	v_ffbh_u32_e32 v8, v1
	v_min_u32_e32 v8, 32, v8
	v_lshrrev_b32_e32 v4, 19, v2
	v_subrev_u32_e32 v9, 28, v8
	v_and_b32_e32 v4, 15, v4
	v_lshlrev_b32_sdwa v9, v9, v2 dst_sel:DWORD dst_unused:UNUSED_PAD src0_sel:DWORD src1_sel:WORD_1
	v_bfe_u32 v5, v2, 19, 4
	v_sub_u32_e32 v8, 29, v8
	v_and_b32_e32 v9, 7, v9
	v_cmp_eq_u16_e32 vcc, 0, v4
	v_cndmask_b32_e32 v1, v1, v9, vcc
	v_cndmask_b32_e32 v4, v5, v8, vcc
	v_lshlrev_b32_e32 v5, 8, v2
	v_mov_b32_e32 v8, 0x3b800000
	v_lshlrev_b32_e32 v1, 20, v1
	v_and_b32_e32 v5, 0x80000000, v5
	v_lshl_add_u32 v4, v4, 23, v8
	v_or3_b32 v4, v5, v4, v1
.LBB40_2008:
	s_or_b64 exec, exec, s[6:7]
	s_nop 0
	v_mfma_f32_16x16x4f32 a[0:3], v0, v4, a[0:3]
	s_movk_i32 s4, 0x7f
	v_cmp_gt_i16_sdwa s[6:7], v6, s4 src0_sel:BYTE_3 src1_sel:DWORD
	s_mov_b64 s[4:5], 0
                                        ; implicit-def: $sgpr10
	s_and_saveexec_b64 s[8:9], s[6:7]
	s_xor_b64 s[6:7], exec, s[8:9]
	s_cbranch_execnz .LBB40_4057
; %bb.2009:
	s_or_saveexec_b64 s[6:7], s[6:7]
	v_mov_b32_e32 v0, s10
	s_xor_b64 exec, exec, s[6:7]
	s_cbranch_execnz .LBB40_4060
.LBB40_2010:
	s_or_b64 exec, exec, s[6:7]
	s_and_saveexec_b64 s[6:7], s[4:5]
	s_cbranch_execz .LBB40_2012
.LBB40_2011:
	v_bfe_u32 v0, v6, 24, 3
	v_ffbh_u32_e32 v8, v0
	v_min_u32_e32 v8, 32, v8
	v_lshrrev_b32_e32 v4, 27, v6
	v_subrev_u32_e32 v9, 28, v8
	v_and_b32_e32 v1, 0x80000000, v6
	v_and_b32_e32 v4, 15, v4
	v_bfe_u32 v5, v6, 27, 4
	v_lshlrev_b32_sdwa v6, v9, v6 dst_sel:DWORD dst_unused:UNUSED_PAD src0_sel:DWORD src1_sel:BYTE_3
	v_sub_u32_e32 v8, 29, v8
	v_and_b32_e32 v6, 7, v6
	v_cmp_eq_u16_e32 vcc, 0, v4
	v_cndmask_b32_e32 v0, v0, v6, vcc
	v_cndmask_b32_e32 v4, v5, v8, vcc
	v_mov_b32_e32 v5, 0x3b800000
	v_lshlrev_b32_e32 v0, 20, v0
	v_lshl_add_u32 v4, v4, 23, v5
	v_or3_b32 v0, v1, v4, v0
.LBB40_2012:
	s_or_b64 exec, exec, s[6:7]
	s_movk_i32 s4, 0x7f
	v_cmp_gt_i16_sdwa s[6:7], v2, s4 src0_sel:BYTE_3 src1_sel:DWORD
	s_mov_b64 s[4:5], 0
                                        ; implicit-def: $sgpr10
	s_and_saveexec_b64 s[8:9], s[6:7]
	s_xor_b64 s[6:7], exec, s[8:9]
	s_cbranch_execnz .LBB40_4061
; %bb.2013:
	s_or_saveexec_b64 s[6:7], s[6:7]
	v_mov_b32_e32 v1, s10
	s_xor_b64 exec, exec, s[6:7]
	s_cbranch_execnz .LBB40_4064
.LBB40_2014:
	s_or_b64 exec, exec, s[6:7]
	s_and_saveexec_b64 s[6:7], s[4:5]
	s_cbranch_execz .LBB40_2016
.LBB40_2015:
	v_bfe_u32 v1, v2, 24, 3
	v_ffbh_u32_e32 v8, v1
	v_min_u32_e32 v8, 32, v8
	v_lshrrev_b32_e32 v5, 27, v2
	v_subrev_u32_e32 v9, 28, v8
	v_and_b32_e32 v4, 0x80000000, v2
	v_and_b32_e32 v5, 15, v5
	v_bfe_u32 v6, v2, 27, 4
	v_lshlrev_b32_sdwa v2, v9, v2 dst_sel:DWORD dst_unused:UNUSED_PAD src0_sel:DWORD src1_sel:BYTE_3
	v_sub_u32_e32 v8, 29, v8
	v_and_b32_e32 v2, 7, v2
	v_cmp_eq_u16_e32 vcc, 0, v5
	v_cndmask_b32_e32 v1, v1, v2, vcc
	v_cndmask_b32_e32 v2, v6, v8, vcc
	v_mov_b32_e32 v5, 0x3b800000
	v_lshlrev_b32_e32 v1, 20, v1
	v_lshl_add_u32 v2, v2, 23, v5
	v_or3_b32 v1, v4, v2, v1
.LBB40_2016:
	s_or_b64 exec, exec, s[6:7]
	s_nop 0
	v_mfma_f32_16x16x4f32 a[0:3], v0, v1, a[0:3]
	s_movk_i32 s4, 0x7f
	v_cmp_gt_i16_sdwa s[6:7], v7, s4 src0_sel:BYTE_0 src1_sel:DWORD
	s_mov_b64 s[4:5], 0
                                        ; implicit-def: $sgpr10
	s_and_saveexec_b64 s[8:9], s[6:7]
	s_xor_b64 s[6:7], exec, s[8:9]
	s_cbranch_execnz .LBB40_4065
; %bb.2017:
	s_or_saveexec_b64 s[6:7], s[6:7]
	v_mov_b32_e32 v0, s10
	s_xor_b64 exec, exec, s[6:7]
	s_cbranch_execnz .LBB40_4068
.LBB40_2018:
	s_or_b64 exec, exec, s[6:7]
	s_and_saveexec_b64 s[6:7], s[4:5]
	s_cbranch_execz .LBB40_2020
.LBB40_2019:
	v_mov_b32_e32 v0, 8
	v_and_b32_e32 v1, 7, v7
	v_lshrrev_b32_sdwa v0, v0, v7 dst_sel:BYTE_1 dst_unused:UNUSED_PAD src0_sel:DWORD src1_sel:DWORD
	v_ffbh_u32_e32 v2, v1
	v_or_b32_sdwa v0, v7, v0 dst_sel:DWORD dst_unused:UNUSED_PAD src0_sel:BYTE_0 src1_sel:DWORD
	v_min_u32_e32 v2, 32, v2
	v_lshrrev_b16_e32 v0, 3, v0
	v_subrev_u32_e32 v4, 28, v2
	v_and_b32_e32 v0, 15, v0
	v_lshlrev_b32_e32 v4, v4, v7
	v_sub_u32_e32 v2, 29, v2
	v_and_b32_e32 v4, 7, v4
	v_cmp_eq_u16_e32 vcc, 0, v0
	v_cndmask_b32_e32 v1, v1, v4, vcc
	v_cndmask_b32_e32 v0, v0, v2, vcc
	v_lshlrev_b32_e32 v2, 24, v7
	v_mov_b32_e32 v4, 0x3b800000
	v_lshlrev_b32_e32 v1, 20, v1
	v_and_b32_e32 v2, 0x80000000, v2
	v_lshl_add_u32 v0, v0, 23, v4
	v_or3_b32 v0, v2, v0, v1
.LBB40_2020:
	s_or_b64 exec, exec, s[6:7]
	s_movk_i32 s4, 0x7f
	v_cmp_gt_i16_sdwa s[6:7], v3, s4 src0_sel:BYTE_0 src1_sel:DWORD
	s_mov_b64 s[4:5], 0
                                        ; implicit-def: $sgpr10
	s_and_saveexec_b64 s[8:9], s[6:7]
	s_xor_b64 s[6:7], exec, s[8:9]
	s_cbranch_execnz .LBB40_4069
; %bb.2021:
	s_or_saveexec_b64 s[6:7], s[6:7]
	v_mov_b32_e32 v1, s10
	s_xor_b64 exec, exec, s[6:7]
	s_cbranch_execnz .LBB40_4072
.LBB40_2022:
	s_or_b64 exec, exec, s[6:7]
	s_and_saveexec_b64 s[6:7], s[4:5]
	s_cbranch_execz .LBB40_2024
.LBB40_2023:
	v_mov_b32_e32 v1, 8
	v_and_b32_e32 v2, 7, v3
	v_lshrrev_b32_sdwa v1, v1, v3 dst_sel:BYTE_1 dst_unused:UNUSED_PAD src0_sel:DWORD src1_sel:DWORD
	v_ffbh_u32_e32 v4, v2
	v_or_b32_sdwa v1, v3, v1 dst_sel:DWORD dst_unused:UNUSED_PAD src0_sel:BYTE_0 src1_sel:DWORD
	v_min_u32_e32 v4, 32, v4
	v_lshrrev_b16_e32 v1, 3, v1
	v_subrev_u32_e32 v5, 28, v4
	v_and_b32_e32 v1, 15, v1
	v_lshlrev_b32_e32 v5, v5, v3
	v_sub_u32_e32 v4, 29, v4
	v_and_b32_e32 v5, 7, v5
	v_cmp_eq_u16_e32 vcc, 0, v1
	v_cndmask_b32_e32 v2, v2, v5, vcc
	v_cndmask_b32_e32 v1, v1, v4, vcc
	v_lshlrev_b32_e32 v4, 24, v3
	v_mov_b32_e32 v5, 0x3b800000
	v_lshlrev_b32_e32 v2, 20, v2
	v_and_b32_e32 v4, 0x80000000, v4
	v_lshl_add_u32 v1, v1, 23, v5
	v_or3_b32 v1, v4, v1, v2
.LBB40_2024:
	s_or_b64 exec, exec, s[6:7]
	s_nop 0
	v_mfma_f32_16x16x4f32 a[0:3], v0, v1, a[0:3]
	v_lshrrev_b32_e32 v1, 8, v7
	s_movk_i32 s4, 0x7f
	v_cmp_gt_i16_sdwa s[6:7], v1, s4 src0_sel:BYTE_0 src1_sel:DWORD
	s_mov_b64 s[4:5], 0
                                        ; implicit-def: $sgpr10
	s_and_saveexec_b64 s[8:9], s[6:7]
	s_xor_b64 s[6:7], exec, s[8:9]
	s_cbranch_execnz .LBB40_4073
; %bb.2025:
	s_or_saveexec_b64 s[6:7], s[6:7]
	v_mov_b32_e32 v0, s10
	s_xor_b64 exec, exec, s[6:7]
	s_cbranch_execnz .LBB40_4076
.LBB40_2026:
	s_or_b64 exec, exec, s[6:7]
	s_and_saveexec_b64 s[6:7], s[4:5]
	s_cbranch_execz .LBB40_2028
.LBB40_2027:
	v_bfe_u32 v0, v7, 8, 3
	v_ffbh_u32_e32 v4, v0
	v_min_u32_e32 v4, 32, v4
	v_lshrrev_b16_e32 v2, 3, v1
	v_subrev_u32_e32 v5, 28, v4
	v_and_b32_e32 v2, 15, v2
	v_lshlrev_b32_e32 v1, v5, v1
	v_sub_u32_e32 v4, 29, v4
	v_and_b32_e32 v1, 7, v1
	v_cmp_eq_u16_e32 vcc, 0, v2
	v_cndmask_b32_e32 v0, v0, v1, vcc
	v_cndmask_b32_e32 v1, v2, v4, vcc
	v_lshlrev_b32_e32 v2, 16, v7
	v_mov_b32_e32 v4, 0x3b800000
	v_lshlrev_b32_e32 v0, 20, v0
	v_and_b32_e32 v2, 0x80000000, v2
	v_lshl_add_u32 v1, v1, 23, v4
	v_or3_b32 v0, v2, v1, v0
.LBB40_2028:
	s_or_b64 exec, exec, s[6:7]
	v_lshrrev_b32_e32 v1, 8, v3
	s_movk_i32 s4, 0x7f
	v_cmp_gt_i16_sdwa s[6:7], v1, s4 src0_sel:BYTE_0 src1_sel:DWORD
	s_mov_b64 s[4:5], 0
                                        ; implicit-def: $sgpr10
	s_and_saveexec_b64 s[8:9], s[6:7]
	s_xor_b64 s[6:7], exec, s[8:9]
	s_cbranch_execnz .LBB40_4077
; %bb.2029:
	s_or_saveexec_b64 s[6:7], s[6:7]
	v_mov_b32_e32 v2, s10
	s_xor_b64 exec, exec, s[6:7]
	s_cbranch_execnz .LBB40_4080
.LBB40_2030:
	s_or_b64 exec, exec, s[6:7]
	s_and_saveexec_b64 s[6:7], s[4:5]
	s_cbranch_execz .LBB40_2032
.LBB40_2031:
	v_bfe_u32 v2, v3, 8, 3
	v_ffbh_u32_e32 v5, v2
	v_min_u32_e32 v5, 32, v5
	v_lshrrev_b16_e32 v4, 3, v1
	v_subrev_u32_e32 v6, 28, v5
	v_and_b32_e32 v4, 15, v4
	v_lshlrev_b32_e32 v1, v6, v1
	v_sub_u32_e32 v5, 29, v5
	v_and_b32_e32 v1, 7, v1
	v_cmp_eq_u16_e32 vcc, 0, v4
	v_cndmask_b32_e32 v1, v2, v1, vcc
	v_cndmask_b32_e32 v2, v4, v5, vcc
	v_lshlrev_b32_e32 v4, 16, v3
	v_mov_b32_e32 v5, 0x3b800000
	v_lshlrev_b32_e32 v1, 20, v1
	v_and_b32_e32 v4, 0x80000000, v4
	v_lshl_add_u32 v2, v2, 23, v5
	v_or3_b32 v2, v4, v2, v1
.LBB40_2032:
	s_or_b64 exec, exec, s[6:7]
	s_nop 0
	v_mfma_f32_16x16x4f32 a[0:3], v0, v2, a[0:3]
	s_movk_i32 s4, 0xff
	v_and_b32_sdwa v1, v7, s4 dst_sel:DWORD dst_unused:UNUSED_PAD src0_sel:WORD_1 src1_sel:DWORD
	s_movk_i32 s4, 0x7f
	v_cmp_lt_i16_e32 vcc, s4, v1
	s_mov_b64 s[4:5], 0
                                        ; implicit-def: $sgpr10
	s_and_saveexec_b64 s[6:7], vcc
	s_xor_b64 s[6:7], exec, s[6:7]
	s_cbranch_execnz .LBB40_4081
; %bb.2033:
	s_or_saveexec_b64 s[6:7], s[6:7]
	v_mov_b32_e32 v0, s10
	s_xor_b64 exec, exec, s[6:7]
	s_cbranch_execnz .LBB40_4084
.LBB40_2034:
	s_or_b64 exec, exec, s[6:7]
	s_and_saveexec_b64 s[6:7], s[4:5]
	s_cbranch_execz .LBB40_2036
.LBB40_2035:
	v_bfe_u32 v0, v7, 16, 3
	v_ffbh_u32_e32 v4, v0
	v_min_u32_e32 v4, 32, v4
	v_lshrrev_b32_e32 v1, 19, v7
	v_subrev_u32_e32 v5, 28, v4
	v_and_b32_e32 v1, 15, v1
	v_lshlrev_b32_sdwa v5, v5, v7 dst_sel:DWORD dst_unused:UNUSED_PAD src0_sel:DWORD src1_sel:WORD_1
	v_bfe_u32 v2, v7, 19, 4
	v_sub_u32_e32 v4, 29, v4
	v_and_b32_e32 v5, 7, v5
	v_cmp_eq_u16_e32 vcc, 0, v1
	v_cndmask_b32_e32 v0, v0, v5, vcc
	v_cndmask_b32_e32 v1, v2, v4, vcc
	v_lshlrev_b32_e32 v2, 8, v7
	v_mov_b32_e32 v4, 0x3b800000
	v_lshlrev_b32_e32 v0, 20, v0
	v_and_b32_e32 v2, 0x80000000, v2
	v_lshl_add_u32 v1, v1, 23, v4
	v_or3_b32 v0, v2, v1, v0
.LBB40_2036:
	s_or_b64 exec, exec, s[6:7]
	s_movk_i32 s4, 0xff
	v_and_b32_sdwa v1, v3, s4 dst_sel:DWORD dst_unused:UNUSED_PAD src0_sel:WORD_1 src1_sel:DWORD
	s_movk_i32 s4, 0x7f
	v_cmp_lt_i16_e32 vcc, s4, v1
	s_mov_b64 s[4:5], 0
                                        ; implicit-def: $sgpr10
	s_and_saveexec_b64 s[6:7], vcc
	s_xor_b64 s[6:7], exec, s[6:7]
	s_cbranch_execnz .LBB40_4085
; %bb.2037:
	s_or_saveexec_b64 s[6:7], s[6:7]
	v_mov_b32_e32 v2, s10
	s_xor_b64 exec, exec, s[6:7]
	s_cbranch_execnz .LBB40_4088
.LBB40_2038:
	s_or_b64 exec, exec, s[6:7]
	s_and_saveexec_b64 s[6:7], s[4:5]
	s_cbranch_execz .LBB40_2040
.LBB40_2039:
	v_bfe_u32 v1, v3, 16, 3
	v_ffbh_u32_e32 v5, v1
	v_min_u32_e32 v5, 32, v5
	v_lshrrev_b32_e32 v2, 19, v3
	v_subrev_u32_e32 v6, 28, v5
	v_and_b32_e32 v2, 15, v2
	v_lshlrev_b32_sdwa v6, v6, v3 dst_sel:DWORD dst_unused:UNUSED_PAD src0_sel:DWORD src1_sel:WORD_1
	v_bfe_u32 v4, v3, 19, 4
	v_sub_u32_e32 v5, 29, v5
	v_and_b32_e32 v6, 7, v6
	v_cmp_eq_u16_e32 vcc, 0, v2
	v_cndmask_b32_e32 v1, v1, v6, vcc
	v_cndmask_b32_e32 v2, v4, v5, vcc
	v_lshlrev_b32_e32 v4, 8, v3
	v_mov_b32_e32 v5, 0x3b800000
	v_lshlrev_b32_e32 v1, 20, v1
	v_and_b32_e32 v4, 0x80000000, v4
	v_lshl_add_u32 v2, v2, 23, v5
	v_or3_b32 v2, v4, v2, v1
.LBB40_2040:
	s_or_b64 exec, exec, s[6:7]
	s_nop 0
	v_mfma_f32_16x16x4f32 a[0:3], v0, v2, a[0:3]
	s_movk_i32 s4, 0x7f
	v_cmp_gt_i16_sdwa s[6:7], v7, s4 src0_sel:BYTE_3 src1_sel:DWORD
	s_mov_b64 s[4:5], 0
                                        ; implicit-def: $sgpr10
	s_and_saveexec_b64 s[8:9], s[6:7]
	s_xor_b64 s[6:7], exec, s[8:9]
	s_cbranch_execnz .LBB40_4089
; %bb.2041:
	s_or_saveexec_b64 s[6:7], s[6:7]
	v_mov_b32_e32 v0, s10
	s_xor_b64 exec, exec, s[6:7]
	s_cbranch_execnz .LBB40_4092
.LBB40_2042:
	s_or_b64 exec, exec, s[6:7]
	s_and_saveexec_b64 s[6:7], s[4:5]
	s_cbranch_execz .LBB40_2044
.LBB40_2043:
	v_bfe_u32 v0, v7, 24, 3
	v_ffbh_u32_e32 v5, v0
	v_min_u32_e32 v5, 32, v5
	v_lshrrev_b32_e32 v2, 27, v7
	v_subrev_u32_e32 v6, 28, v5
	v_and_b32_e32 v2, 15, v2
	v_lshlrev_b32_sdwa v6, v6, v7 dst_sel:DWORD dst_unused:UNUSED_PAD src0_sel:DWORD src1_sel:BYTE_3
	v_bfe_u32 v4, v7, 27, 4
	v_sub_u32_e32 v5, 29, v5
	v_and_b32_e32 v6, 7, v6
	v_cmp_eq_u16_e32 vcc, 0, v2
	v_cndmask_b32_e32 v0, v0, v6, vcc
	v_cndmask_b32_e32 v2, v4, v5, vcc
	v_mov_b32_e32 v4, 0x3b800000
	v_and_b32_e32 v1, 0x80000000, v7
	v_lshlrev_b32_e32 v0, 20, v0
	v_lshl_add_u32 v2, v2, 23, v4
	v_or3_b32 v0, v1, v2, v0
.LBB40_2044:
	s_or_b64 exec, exec, s[6:7]
	s_movk_i32 s4, 0x7f
	v_cmp_gt_i16_sdwa s[6:7], v3, s4 src0_sel:BYTE_3 src1_sel:DWORD
	s_mov_b64 s[4:5], 0
                                        ; implicit-def: $sgpr10
	s_and_saveexec_b64 s[8:9], s[6:7]
	s_xor_b64 s[6:7], exec, s[8:9]
	s_cbranch_execnz .LBB40_4093
; %bb.2045:
	s_or_saveexec_b64 s[6:7], s[6:7]
	v_mov_b32_e32 v1, s10
	s_xor_b64 exec, exec, s[6:7]
	s_cbranch_execnz .LBB40_4096
.LBB40_2046:
	s_or_b64 exec, exec, s[6:7]
	s_and_saveexec_b64 s[6:7], s[4:5]
	s_cbranch_execz .LBB40_2048
.LBB40_2047:
	v_bfe_u32 v1, v3, 24, 3
	v_ffbh_u32_e32 v6, v1
	v_min_u32_e32 v6, 32, v6
	v_lshrrev_b32_e32 v4, 27, v3
	v_subrev_u32_e32 v7, 28, v6
	v_and_b32_e32 v2, 0x80000000, v3
	v_and_b32_e32 v4, 15, v4
	v_bfe_u32 v5, v3, 27, 4
	v_lshlrev_b32_sdwa v3, v7, v3 dst_sel:DWORD dst_unused:UNUSED_PAD src0_sel:DWORD src1_sel:BYTE_3
	v_sub_u32_e32 v6, 29, v6
	v_and_b32_e32 v3, 7, v3
	v_cmp_eq_u16_e32 vcc, 0, v4
	v_cndmask_b32_e32 v1, v1, v3, vcc
	v_cndmask_b32_e32 v3, v5, v6, vcc
	v_mov_b32_e32 v4, 0x3b800000
	v_lshlrev_b32_e32 v1, 20, v1
	v_lshl_add_u32 v3, v3, 23, v4
	v_or3_b32 v1, v2, v3, v1
.LBB40_2048:
	s_or_b64 exec, exec, s[6:7]
	s_nop 0
	v_mfma_f32_16x16x4f32 a[0:3], v0, v1, a[0:3]
	s_nop 7
	s_nop 2
	flat_store_dwordx4 v[16:17], a[0:3] offset:624
	s_waitcnt vmcnt(0) lgkmcnt(0)
	s_setpc_b64 s[30:31]
.LBB40_2049:
	s_movk_i32 s4, 0x80
	v_cmp_eq_u16_sdwa s[12:13], v14, s4 src0_sel:BYTE_0 src1_sel:DWORD
	s_mov_b64 s[4:5], -1
                                        ; implicit-def: $sgpr10
	s_and_saveexec_b64 s[8:9], s[12:13]
; %bb.2050:
	s_mov_b32 s10, 0x7f800001
	s_xor_b64 s[4:5], exec, -1
; %bb.2051:
	s_or_b64 exec, exec, s[8:9]
	s_and_b64 s[4:5], s[4:5], exec
	s_or_saveexec_b64 s[6:7], s[6:7]
	v_mov_b32_e32 v20, s10
	s_xor_b64 exec, exec, s[6:7]
	s_cbranch_execz .LBB40_2
.LBB40_2052:
	v_mov_b32_e32 v20, 0
	v_cmp_ne_u16_sdwa s[8:9], v14, v20 src0_sel:BYTE_0 src1_sel:DWORD
	s_andn2_b64 s[4:5], s[4:5], exec
	s_and_b64 s[8:9], s[8:9], exec
	s_or_b64 s[4:5], s[4:5], s[8:9]
	s_or_b64 exec, exec, s[6:7]
	s_and_saveexec_b64 s[6:7], s[4:5]
	s_cbranch_execnz .LBB40_3
	s_branch .LBB40_4
.LBB40_2053:
	s_movk_i32 s4, 0x80
	v_cmp_eq_u16_sdwa s[12:13], v10, s4 src0_sel:BYTE_0 src1_sel:DWORD
	s_mov_b64 s[4:5], -1
                                        ; implicit-def: $sgpr10
	s_and_saveexec_b64 s[8:9], s[12:13]
; %bb.2054:
	s_mov_b32 s10, 0x7f800001
	s_xor_b64 s[4:5], exec, -1
; %bb.2055:
	s_or_b64 exec, exec, s[8:9]
	s_and_b64 s[4:5], s[4:5], exec
	s_or_saveexec_b64 s[6:7], s[6:7]
	v_mov_b32_e32 v21, s10
	s_xor_b64 exec, exec, s[6:7]
	s_cbranch_execz .LBB40_6
.LBB40_2056:
	v_mov_b32_e32 v21, 0
	v_cmp_ne_u16_sdwa s[8:9], v10, v21 src0_sel:BYTE_0 src1_sel:DWORD
	s_andn2_b64 s[4:5], s[4:5], exec
	s_and_b64 s[8:9], s[8:9], exec
	s_or_b64 s[4:5], s[4:5], s[8:9]
	s_or_b64 exec, exec, s[6:7]
	s_and_saveexec_b64 s[6:7], s[4:5]
	s_cbranch_execnz .LBB40_7
	s_branch .LBB40_8
.LBB40_2057:
	s_movk_i32 s4, 0x80
	v_cmp_eq_u16_sdwa s[12:13], v21, s4 src0_sel:BYTE_0 src1_sel:DWORD
	s_mov_b64 s[4:5], -1
                                        ; implicit-def: $sgpr10
	s_and_saveexec_b64 s[8:9], s[12:13]
; %bb.2058:
	s_mov_b32 s10, 0x7f800001
	s_xor_b64 s[4:5], exec, -1
; %bb.2059:
	s_or_b64 exec, exec, s[8:9]
	s_and_b64 s[4:5], s[4:5], exec
	s_or_saveexec_b64 s[6:7], s[6:7]
	v_mov_b32_e32 v20, s10
	s_xor_b64 exec, exec, s[6:7]
	s_cbranch_execz .LBB40_10
.LBB40_2060:
	v_mov_b32_e32 v20, 0
	v_cmp_ne_u16_sdwa s[8:9], v21, v20 src0_sel:BYTE_0 src1_sel:DWORD
	s_andn2_b64 s[4:5], s[4:5], exec
	s_and_b64 s[8:9], s[8:9], exec
	s_or_b64 s[4:5], s[4:5], s[8:9]
	s_or_b64 exec, exec, s[6:7]
	s_and_saveexec_b64 s[6:7], s[4:5]
	s_cbranch_execnz .LBB40_11
	s_branch .LBB40_12
.LBB40_2061:
	s_movk_i32 s4, 0x80
	v_cmp_eq_u16_sdwa s[12:13], v21, s4 src0_sel:BYTE_0 src1_sel:DWORD
	s_mov_b64 s[4:5], -1
                                        ; implicit-def: $sgpr10
	s_and_saveexec_b64 s[8:9], s[12:13]
; %bb.2062:
	s_mov_b32 s10, 0x7f800001
	s_xor_b64 s[4:5], exec, -1
; %bb.2063:
	s_or_b64 exec, exec, s[8:9]
	s_and_b64 s[4:5], s[4:5], exec
	s_or_saveexec_b64 s[6:7], s[6:7]
	v_mov_b32_e32 v22, s10
	s_xor_b64 exec, exec, s[6:7]
	s_cbranch_execz .LBB40_14
.LBB40_2064:
	v_mov_b32_e32 v22, 0
	v_cmp_ne_u16_sdwa s[8:9], v21, v22 src0_sel:BYTE_0 src1_sel:DWORD
	s_andn2_b64 s[4:5], s[4:5], exec
	s_and_b64 s[8:9], s[8:9], exec
	s_or_b64 s[4:5], s[4:5], s[8:9]
	s_or_b64 exec, exec, s[6:7]
	s_and_saveexec_b64 s[6:7], s[4:5]
	s_cbranch_execnz .LBB40_15
	s_branch .LBB40_16
.LBB40_2065:
	s_movk_i32 s4, 0x80
	v_cmp_eq_u16_e32 vcc, s4, v21
	s_mov_b64 s[4:5], -1
                                        ; implicit-def: $sgpr10
	s_and_saveexec_b64 s[8:9], vcc
; %bb.2066:
	s_mov_b32 s10, 0x7f800001
	s_xor_b64 s[4:5], exec, -1
; %bb.2067:
	s_or_b64 exec, exec, s[8:9]
	s_and_b64 s[4:5], s[4:5], exec
                                        ; implicit-def: $vgpr21
	s_or_saveexec_b64 s[6:7], s[6:7]
	v_mov_b32_e32 v20, s10
	s_xor_b64 exec, exec, s[6:7]
	s_cbranch_execz .LBB40_18
.LBB40_2068:
	v_cmp_ne_u16_e32 vcc, 0, v21
	s_andn2_b64 s[4:5], s[4:5], exec
	s_and_b64 s[8:9], vcc, exec
	v_mov_b32_e32 v20, 0
	s_or_b64 s[4:5], s[4:5], s[8:9]
	s_or_b64 exec, exec, s[6:7]
	s_and_saveexec_b64 s[6:7], s[4:5]
	s_cbranch_execnz .LBB40_19
	s_branch .LBB40_20
.LBB40_2069:
	s_movk_i32 s4, 0x80
	v_cmp_eq_u16_e32 vcc, s4, v21
	s_mov_b64 s[4:5], -1
                                        ; implicit-def: $sgpr10
	s_and_saveexec_b64 s[8:9], vcc
; %bb.2070:
	s_mov_b32 s10, 0x7f800001
	s_xor_b64 s[4:5], exec, -1
; %bb.2071:
	s_or_b64 exec, exec, s[8:9]
	s_and_b64 s[4:5], s[4:5], exec
                                        ; implicit-def: $vgpr21
	s_or_saveexec_b64 s[6:7], s[6:7]
	v_mov_b32_e32 v22, s10
	s_xor_b64 exec, exec, s[6:7]
	s_cbranch_execz .LBB40_22
.LBB40_2072:
	v_cmp_ne_u16_e32 vcc, 0, v21
	s_andn2_b64 s[4:5], s[4:5], exec
	s_and_b64 s[8:9], vcc, exec
	v_mov_b32_e32 v22, 0
	s_or_b64 s[4:5], s[4:5], s[8:9]
	s_or_b64 exec, exec, s[6:7]
	s_and_saveexec_b64 s[6:7], s[4:5]
	s_cbranch_execnz .LBB40_23
	s_branch .LBB40_24
.LBB40_2073:
	s_movk_i32 s4, 0x80
	v_cmp_eq_u16_sdwa s[12:13], v14, s4 src0_sel:BYTE_3 src1_sel:DWORD
	s_mov_b64 s[4:5], -1
                                        ; implicit-def: $sgpr10
	s_and_saveexec_b64 s[8:9], s[12:13]
; %bb.2074:
	s_mov_b32 s10, 0x7f800001
	s_xor_b64 s[4:5], exec, -1
; %bb.2075:
	s_or_b64 exec, exec, s[8:9]
	s_and_b64 s[4:5], s[4:5], exec
	s_or_saveexec_b64 s[6:7], s[6:7]
	v_mov_b32_e32 v20, s10
	s_xor_b64 exec, exec, s[6:7]
	s_cbranch_execz .LBB40_26
.LBB40_2076:
	v_mov_b32_e32 v20, 0
	v_cmp_ne_u16_sdwa s[8:9], v14, v20 src0_sel:BYTE_3 src1_sel:DWORD
	s_andn2_b64 s[4:5], s[4:5], exec
	s_and_b64 s[8:9], s[8:9], exec
	s_or_b64 s[4:5], s[4:5], s[8:9]
	s_or_b64 exec, exec, s[6:7]
	s_and_saveexec_b64 s[6:7], s[4:5]
	s_cbranch_execnz .LBB40_27
	s_branch .LBB40_28
.LBB40_2077:
	s_movk_i32 s4, 0x80
	v_cmp_eq_u16_sdwa s[12:13], v10, s4 src0_sel:BYTE_3 src1_sel:DWORD
	s_mov_b64 s[4:5], -1
                                        ; implicit-def: $sgpr10
	s_and_saveexec_b64 s[8:9], s[12:13]
; %bb.2078:
	s_mov_b32 s10, 0x7f800001
	s_xor_b64 s[4:5], exec, -1
; %bb.2079:
	s_or_b64 exec, exec, s[8:9]
	s_and_b64 s[4:5], s[4:5], exec
	s_or_saveexec_b64 s[6:7], s[6:7]
	v_mov_b32_e32 v14, s10
	s_xor_b64 exec, exec, s[6:7]
	s_cbranch_execz .LBB40_30
.LBB40_2080:
	v_mov_b32_e32 v14, 0
	v_cmp_ne_u16_sdwa s[8:9], v10, v14 src0_sel:BYTE_3 src1_sel:DWORD
	s_andn2_b64 s[4:5], s[4:5], exec
	s_and_b64 s[8:9], s[8:9], exec
	s_or_b64 s[4:5], s[4:5], s[8:9]
	s_or_b64 exec, exec, s[6:7]
	s_and_saveexec_b64 s[6:7], s[4:5]
	s_cbranch_execnz .LBB40_31
	s_branch .LBB40_32
.LBB40_2081:
	s_movk_i32 s4, 0x80
	v_cmp_eq_u16_sdwa s[12:13], v15, s4 src0_sel:BYTE_0 src1_sel:DWORD
	s_mov_b64 s[4:5], -1
                                        ; implicit-def: $sgpr10
	s_and_saveexec_b64 s[8:9], s[12:13]
; %bb.2082:
	s_mov_b32 s10, 0x7f800001
	s_xor_b64 s[4:5], exec, -1
; %bb.2083:
	s_or_b64 exec, exec, s[8:9]
	s_and_b64 s[4:5], s[4:5], exec
	s_or_saveexec_b64 s[6:7], s[6:7]
	v_mov_b32_e32 v10, s10
	s_xor_b64 exec, exec, s[6:7]
	s_cbranch_execz .LBB40_34
.LBB40_2084:
	v_mov_b32_e32 v10, 0
	v_cmp_ne_u16_sdwa s[8:9], v15, v10 src0_sel:BYTE_0 src1_sel:DWORD
	s_andn2_b64 s[4:5], s[4:5], exec
	s_and_b64 s[8:9], s[8:9], exec
	s_or_b64 s[4:5], s[4:5], s[8:9]
	s_or_b64 exec, exec, s[6:7]
	s_and_saveexec_b64 s[6:7], s[4:5]
	s_cbranch_execnz .LBB40_35
	s_branch .LBB40_36
.LBB40_2085:
	s_movk_i32 s4, 0x80
	v_cmp_eq_u16_sdwa s[12:13], v11, s4 src0_sel:BYTE_0 src1_sel:DWORD
	s_mov_b64 s[4:5], -1
                                        ; implicit-def: $sgpr10
	s_and_saveexec_b64 s[8:9], s[12:13]
; %bb.2086:
	s_mov_b32 s10, 0x7f800001
	s_xor_b64 s[4:5], exec, -1
; %bb.2087:
	s_or_b64 exec, exec, s[8:9]
	s_and_b64 s[4:5], s[4:5], exec
	s_or_saveexec_b64 s[6:7], s[6:7]
	v_mov_b32_e32 v14, s10
	s_xor_b64 exec, exec, s[6:7]
	s_cbranch_execz .LBB40_38
.LBB40_2088:
	v_mov_b32_e32 v14, 0
	v_cmp_ne_u16_sdwa s[8:9], v11, v14 src0_sel:BYTE_0 src1_sel:DWORD
	s_andn2_b64 s[4:5], s[4:5], exec
	s_and_b64 s[8:9], s[8:9], exec
	s_or_b64 s[4:5], s[4:5], s[8:9]
	s_or_b64 exec, exec, s[6:7]
	s_and_saveexec_b64 s[6:7], s[4:5]
	s_cbranch_execnz .LBB40_39
	s_branch .LBB40_40
.LBB40_2089:
	s_movk_i32 s4, 0x80
	v_cmp_eq_u16_sdwa s[12:13], v14, s4 src0_sel:BYTE_0 src1_sel:DWORD
	s_mov_b64 s[4:5], -1
                                        ; implicit-def: $sgpr10
	s_and_saveexec_b64 s[8:9], s[12:13]
; %bb.2090:
	s_mov_b32 s10, 0x7f800001
	s_xor_b64 s[4:5], exec, -1
; %bb.2091:
	s_or_b64 exec, exec, s[8:9]
	s_and_b64 s[4:5], s[4:5], exec
	s_or_saveexec_b64 s[6:7], s[6:7]
	v_mov_b32_e32 v10, s10
	s_xor_b64 exec, exec, s[6:7]
	s_cbranch_execz .LBB40_42
.LBB40_2092:
	v_mov_b32_e32 v10, 0
	v_cmp_ne_u16_sdwa s[8:9], v14, v10 src0_sel:BYTE_0 src1_sel:DWORD
	s_andn2_b64 s[4:5], s[4:5], exec
	s_and_b64 s[8:9], s[8:9], exec
	s_or_b64 s[4:5], s[4:5], s[8:9]
	s_or_b64 exec, exec, s[6:7]
	s_and_saveexec_b64 s[6:7], s[4:5]
	s_cbranch_execnz .LBB40_43
	s_branch .LBB40_44
.LBB40_2093:
	s_movk_i32 s4, 0x80
	v_cmp_eq_u16_sdwa s[12:13], v14, s4 src0_sel:BYTE_0 src1_sel:DWORD
	s_mov_b64 s[4:5], -1
                                        ; implicit-def: $sgpr10
	s_and_saveexec_b64 s[8:9], s[12:13]
; %bb.2094:
	s_mov_b32 s10, 0x7f800001
	s_xor_b64 s[4:5], exec, -1
; %bb.2095:
	s_or_b64 exec, exec, s[8:9]
	s_and_b64 s[4:5], s[4:5], exec
	s_or_saveexec_b64 s[6:7], s[6:7]
	v_mov_b32_e32 v20, s10
	s_xor_b64 exec, exec, s[6:7]
	s_cbranch_execz .LBB40_46
.LBB40_2096:
	v_mov_b32_e32 v20, 0
	v_cmp_ne_u16_sdwa s[8:9], v14, v20 src0_sel:BYTE_0 src1_sel:DWORD
	s_andn2_b64 s[4:5], s[4:5], exec
	s_and_b64 s[8:9], s[8:9], exec
	s_or_b64 s[4:5], s[4:5], s[8:9]
	s_or_b64 exec, exec, s[6:7]
	s_and_saveexec_b64 s[6:7], s[4:5]
	s_cbranch_execnz .LBB40_47
	s_branch .LBB40_48
.LBB40_2097:
	s_movk_i32 s4, 0x80
	v_cmp_eq_u16_e32 vcc, s4, v14
	s_mov_b64 s[4:5], -1
                                        ; implicit-def: $sgpr10
	s_and_saveexec_b64 s[8:9], vcc
; %bb.2098:
	s_mov_b32 s10, 0x7f800001
	s_xor_b64 s[4:5], exec, -1
; %bb.2099:
	s_or_b64 exec, exec, s[8:9]
	s_and_b64 s[4:5], s[4:5], exec
                                        ; implicit-def: $vgpr14
	s_or_saveexec_b64 s[6:7], s[6:7]
	v_mov_b32_e32 v10, s10
	s_xor_b64 exec, exec, s[6:7]
	s_cbranch_execz .LBB40_50
.LBB40_2100:
	v_cmp_ne_u16_e32 vcc, 0, v14
	s_andn2_b64 s[4:5], s[4:5], exec
	s_and_b64 s[8:9], vcc, exec
	v_mov_b32_e32 v10, 0
	s_or_b64 s[4:5], s[4:5], s[8:9]
	s_or_b64 exec, exec, s[6:7]
	s_and_saveexec_b64 s[6:7], s[4:5]
	s_cbranch_execnz .LBB40_51
	s_branch .LBB40_52
.LBB40_2101:
	s_movk_i32 s4, 0x80
	v_cmp_eq_u16_e32 vcc, s4, v14
	s_mov_b64 s[4:5], -1
                                        ; implicit-def: $sgpr10
	s_and_saveexec_b64 s[8:9], vcc
; %bb.2102:
	s_mov_b32 s10, 0x7f800001
	s_xor_b64 s[4:5], exec, -1
; %bb.2103:
	s_or_b64 exec, exec, s[8:9]
	s_and_b64 s[4:5], s[4:5], exec
                                        ; implicit-def: $vgpr14
	s_or_saveexec_b64 s[6:7], s[6:7]
	v_mov_b32_e32 v20, s10
	s_xor_b64 exec, exec, s[6:7]
	s_cbranch_execz .LBB40_54
.LBB40_2104:
	v_cmp_ne_u16_e32 vcc, 0, v14
	s_andn2_b64 s[4:5], s[4:5], exec
	s_and_b64 s[8:9], vcc, exec
	v_mov_b32_e32 v20, 0
	s_or_b64 s[4:5], s[4:5], s[8:9]
	s_or_b64 exec, exec, s[6:7]
	s_and_saveexec_b64 s[6:7], s[4:5]
	s_cbranch_execnz .LBB40_55
	s_branch .LBB40_56
.LBB40_2105:
	s_movk_i32 s4, 0x80
	v_cmp_eq_u16_sdwa s[12:13], v15, s4 src0_sel:BYTE_3 src1_sel:DWORD
	s_mov_b64 s[4:5], -1
                                        ; implicit-def: $sgpr10
	s_and_saveexec_b64 s[8:9], s[12:13]
; %bb.2106:
	s_mov_b32 s10, 0x7f800001
	s_xor_b64 s[4:5], exec, -1
; %bb.2107:
	s_or_b64 exec, exec, s[8:9]
	s_and_b64 s[4:5], s[4:5], exec
	s_or_saveexec_b64 s[6:7], s[6:7]
	v_mov_b32_e32 v10, s10
	s_xor_b64 exec, exec, s[6:7]
	s_cbranch_execz .LBB40_58
.LBB40_2108:
	v_mov_b32_e32 v10, 0
	v_cmp_ne_u16_sdwa s[8:9], v15, v10 src0_sel:BYTE_3 src1_sel:DWORD
	s_andn2_b64 s[4:5], s[4:5], exec
	s_and_b64 s[8:9], s[8:9], exec
	s_or_b64 s[4:5], s[4:5], s[8:9]
	s_or_b64 exec, exec, s[6:7]
	s_and_saveexec_b64 s[6:7], s[4:5]
	s_cbranch_execnz .LBB40_59
	s_branch .LBB40_60
.LBB40_2109:
	s_movk_i32 s4, 0x80
	v_cmp_eq_u16_sdwa s[12:13], v11, s4 src0_sel:BYTE_3 src1_sel:DWORD
	s_mov_b64 s[4:5], -1
                                        ; implicit-def: $sgpr10
	s_and_saveexec_b64 s[8:9], s[12:13]
; %bb.2110:
	s_mov_b32 s10, 0x7f800001
	s_xor_b64 s[4:5], exec, -1
; %bb.2111:
	s_or_b64 exec, exec, s[8:9]
	s_and_b64 s[4:5], s[4:5], exec
	s_or_saveexec_b64 s[6:7], s[6:7]
	v_mov_b32_e32 v14, s10
	s_xor_b64 exec, exec, s[6:7]
	s_cbranch_execz .LBB40_62
.LBB40_2112:
	v_mov_b32_e32 v14, 0
	v_cmp_ne_u16_sdwa s[8:9], v11, v14 src0_sel:BYTE_3 src1_sel:DWORD
	s_andn2_b64 s[4:5], s[4:5], exec
	s_and_b64 s[8:9], s[8:9], exec
	s_or_b64 s[4:5], s[4:5], s[8:9]
	s_or_b64 exec, exec, s[6:7]
	s_and_saveexec_b64 s[6:7], s[4:5]
	s_cbranch_execnz .LBB40_63
	s_branch .LBB40_64
.LBB40_2113:
	s_movk_i32 s4, 0x80
	v_cmp_eq_u16_sdwa s[12:13], v16, s4 src0_sel:BYTE_0 src1_sel:DWORD
	s_mov_b64 s[4:5], -1
                                        ; implicit-def: $sgpr10
	s_and_saveexec_b64 s[8:9], s[12:13]
; %bb.2114:
	s_mov_b32 s10, 0x7f800001
	s_xor_b64 s[4:5], exec, -1
; %bb.2115:
	s_or_b64 exec, exec, s[8:9]
	s_and_b64 s[4:5], s[4:5], exec
	s_or_saveexec_b64 s[6:7], s[6:7]
	v_mov_b32_e32 v10, s10
	s_xor_b64 exec, exec, s[6:7]
	s_cbranch_execz .LBB40_66
.LBB40_2116:
	v_mov_b32_e32 v10, 0
	v_cmp_ne_u16_sdwa s[8:9], v16, v10 src0_sel:BYTE_0 src1_sel:DWORD
	s_andn2_b64 s[4:5], s[4:5], exec
	s_and_b64 s[8:9], s[8:9], exec
	s_or_b64 s[4:5], s[4:5], s[8:9]
	s_or_b64 exec, exec, s[6:7]
	s_and_saveexec_b64 s[6:7], s[4:5]
	s_cbranch_execnz .LBB40_67
	s_branch .LBB40_68
.LBB40_2117:
	s_movk_i32 s4, 0x80
	v_cmp_eq_u16_sdwa s[12:13], v12, s4 src0_sel:BYTE_0 src1_sel:DWORD
	s_mov_b64 s[4:5], -1
                                        ; implicit-def: $sgpr10
	s_and_saveexec_b64 s[8:9], s[12:13]
; %bb.2118:
	s_mov_b32 s10, 0x7f800001
	s_xor_b64 s[4:5], exec, -1
; %bb.2119:
	s_or_b64 exec, exec, s[8:9]
	s_and_b64 s[4:5], s[4:5], exec
	s_or_saveexec_b64 s[6:7], s[6:7]
	v_mov_b32_e32 v11, s10
	s_xor_b64 exec, exec, s[6:7]
	s_cbranch_execz .LBB40_70
.LBB40_2120:
	v_mov_b32_e32 v11, 0
	v_cmp_ne_u16_sdwa s[8:9], v12, v11 src0_sel:BYTE_0 src1_sel:DWORD
	s_andn2_b64 s[4:5], s[4:5], exec
	s_and_b64 s[8:9], s[8:9], exec
	s_or_b64 s[4:5], s[4:5], s[8:9]
	s_or_b64 exec, exec, s[6:7]
	s_and_saveexec_b64 s[6:7], s[4:5]
	s_cbranch_execnz .LBB40_71
	s_branch .LBB40_72
.LBB40_2121:
	s_movk_i32 s4, 0x80
	v_cmp_eq_u16_sdwa s[12:13], v11, s4 src0_sel:BYTE_0 src1_sel:DWORD
	s_mov_b64 s[4:5], -1
                                        ; implicit-def: $sgpr10
	s_and_saveexec_b64 s[8:9], s[12:13]
; %bb.2122:
	s_mov_b32 s10, 0x7f800001
	s_xor_b64 s[4:5], exec, -1
; %bb.2123:
	s_or_b64 exec, exec, s[8:9]
	s_and_b64 s[4:5], s[4:5], exec
	s_or_saveexec_b64 s[6:7], s[6:7]
	v_mov_b32_e32 v10, s10
	s_xor_b64 exec, exec, s[6:7]
	s_cbranch_execz .LBB40_74
.LBB40_2124:
	v_mov_b32_e32 v10, 0
	v_cmp_ne_u16_sdwa s[8:9], v11, v10 src0_sel:BYTE_0 src1_sel:DWORD
	s_andn2_b64 s[4:5], s[4:5], exec
	s_and_b64 s[8:9], s[8:9], exec
	s_or_b64 s[4:5], s[4:5], s[8:9]
	s_or_b64 exec, exec, s[6:7]
	s_and_saveexec_b64 s[6:7], s[4:5]
	s_cbranch_execnz .LBB40_75
	s_branch .LBB40_76
.LBB40_2125:
	s_movk_i32 s4, 0x80
	v_cmp_eq_u16_sdwa s[12:13], v11, s4 src0_sel:BYTE_0 src1_sel:DWORD
	s_mov_b64 s[4:5], -1
                                        ; implicit-def: $sgpr10
	s_and_saveexec_b64 s[8:9], s[12:13]
; %bb.2126:
	s_mov_b32 s10, 0x7f800001
	s_xor_b64 s[4:5], exec, -1
; %bb.2127:
	s_or_b64 exec, exec, s[8:9]
	s_and_b64 s[4:5], s[4:5], exec
	s_or_saveexec_b64 s[6:7], s[6:7]
	v_mov_b32_e32 v14, s10
	s_xor_b64 exec, exec, s[6:7]
	s_cbranch_execz .LBB40_78
.LBB40_2128:
	v_mov_b32_e32 v14, 0
	v_cmp_ne_u16_sdwa s[8:9], v11, v14 src0_sel:BYTE_0 src1_sel:DWORD
	s_andn2_b64 s[4:5], s[4:5], exec
	s_and_b64 s[8:9], s[8:9], exec
	s_or_b64 s[4:5], s[4:5], s[8:9]
	s_or_b64 exec, exec, s[6:7]
	s_and_saveexec_b64 s[6:7], s[4:5]
	s_cbranch_execnz .LBB40_79
	s_branch .LBB40_80
.LBB40_2129:
	s_movk_i32 s4, 0x80
	v_cmp_eq_u16_e32 vcc, s4, v11
	s_mov_b64 s[4:5], -1
                                        ; implicit-def: $sgpr10
	s_and_saveexec_b64 s[8:9], vcc
; %bb.2130:
	s_mov_b32 s10, 0x7f800001
	s_xor_b64 s[4:5], exec, -1
; %bb.2131:
	s_or_b64 exec, exec, s[8:9]
	s_and_b64 s[4:5], s[4:5], exec
                                        ; implicit-def: $vgpr11
	s_or_saveexec_b64 s[6:7], s[6:7]
	v_mov_b32_e32 v10, s10
	s_xor_b64 exec, exec, s[6:7]
	s_cbranch_execz .LBB40_82
.LBB40_2132:
	v_cmp_ne_u16_e32 vcc, 0, v11
	s_andn2_b64 s[4:5], s[4:5], exec
	s_and_b64 s[8:9], vcc, exec
	v_mov_b32_e32 v10, 0
	s_or_b64 s[4:5], s[4:5], s[8:9]
	s_or_b64 exec, exec, s[6:7]
	s_and_saveexec_b64 s[6:7], s[4:5]
	s_cbranch_execnz .LBB40_83
	s_branch .LBB40_84
.LBB40_2133:
	s_movk_i32 s4, 0x80
	v_cmp_eq_u16_e32 vcc, s4, v11
	s_mov_b64 s[4:5], -1
                                        ; implicit-def: $sgpr10
	s_and_saveexec_b64 s[8:9], vcc
; %bb.2134:
	s_mov_b32 s10, 0x7f800001
	s_xor_b64 s[4:5], exec, -1
; %bb.2135:
	s_or_b64 exec, exec, s[8:9]
	s_and_b64 s[4:5], s[4:5], exec
                                        ; implicit-def: $vgpr11
	s_or_saveexec_b64 s[6:7], s[6:7]
	v_mov_b32_e32 v14, s10
	s_xor_b64 exec, exec, s[6:7]
	s_cbranch_execz .LBB40_86
.LBB40_2136:
	v_cmp_ne_u16_e32 vcc, 0, v11
	s_andn2_b64 s[4:5], s[4:5], exec
	s_and_b64 s[8:9], vcc, exec
	v_mov_b32_e32 v14, 0
	s_or_b64 s[4:5], s[4:5], s[8:9]
	s_or_b64 exec, exec, s[6:7]
	s_and_saveexec_b64 s[6:7], s[4:5]
	s_cbranch_execnz .LBB40_87
	s_branch .LBB40_88
.LBB40_2137:
	s_movk_i32 s4, 0x80
	v_cmp_eq_u16_sdwa s[12:13], v16, s4 src0_sel:BYTE_3 src1_sel:DWORD
	s_mov_b64 s[4:5], -1
                                        ; implicit-def: $sgpr10
	s_and_saveexec_b64 s[8:9], s[12:13]
; %bb.2138:
	s_mov_b32 s10, 0x7f800001
	s_xor_b64 s[4:5], exec, -1
; %bb.2139:
	s_or_b64 exec, exec, s[8:9]
	s_and_b64 s[4:5], s[4:5], exec
	s_or_saveexec_b64 s[6:7], s[6:7]
	v_mov_b32_e32 v10, s10
	s_xor_b64 exec, exec, s[6:7]
	s_cbranch_execz .LBB40_90
.LBB40_2140:
	v_mov_b32_e32 v10, 0
	v_cmp_ne_u16_sdwa s[8:9], v16, v10 src0_sel:BYTE_3 src1_sel:DWORD
	s_andn2_b64 s[4:5], s[4:5], exec
	s_and_b64 s[8:9], s[8:9], exec
	s_or_b64 s[4:5], s[4:5], s[8:9]
	s_or_b64 exec, exec, s[6:7]
	s_and_saveexec_b64 s[6:7], s[4:5]
	s_cbranch_execnz .LBB40_91
	s_branch .LBB40_92
.LBB40_2141:
	s_movk_i32 s4, 0x80
	v_cmp_eq_u16_sdwa s[12:13], v12, s4 src0_sel:BYTE_3 src1_sel:DWORD
	s_mov_b64 s[4:5], -1
                                        ; implicit-def: $sgpr10
	s_and_saveexec_b64 s[8:9], s[12:13]
; %bb.2142:
	s_mov_b32 s10, 0x7f800001
	s_xor_b64 s[4:5], exec, -1
; %bb.2143:
	s_or_b64 exec, exec, s[8:9]
	s_and_b64 s[4:5], s[4:5], exec
	s_or_saveexec_b64 s[6:7], s[6:7]
	v_mov_b32_e32 v11, s10
	s_xor_b64 exec, exec, s[6:7]
	s_cbranch_execz .LBB40_94
.LBB40_2144:
	v_mov_b32_e32 v11, 0
	v_cmp_ne_u16_sdwa s[8:9], v12, v11 src0_sel:BYTE_3 src1_sel:DWORD
	s_andn2_b64 s[4:5], s[4:5], exec
	s_and_b64 s[8:9], s[8:9], exec
	s_or_b64 s[4:5], s[4:5], s[8:9]
	s_or_b64 exec, exec, s[6:7]
	s_and_saveexec_b64 s[6:7], s[4:5]
	s_cbranch_execnz .LBB40_95
	s_branch .LBB40_96
.LBB40_2145:
	s_movk_i32 s4, 0x80
	v_cmp_eq_u16_sdwa s[12:13], v17, s4 src0_sel:BYTE_0 src1_sel:DWORD
	s_mov_b64 s[4:5], -1
                                        ; implicit-def: $sgpr10
	s_and_saveexec_b64 s[8:9], s[12:13]
; %bb.2146:
	s_mov_b32 s10, 0x7f800001
	s_xor_b64 s[4:5], exec, -1
; %bb.2147:
	s_or_b64 exec, exec, s[8:9]
	s_and_b64 s[4:5], s[4:5], exec
	s_or_saveexec_b64 s[6:7], s[6:7]
	v_mov_b32_e32 v10, s10
	s_xor_b64 exec, exec, s[6:7]
	s_cbranch_execz .LBB40_98
.LBB40_2148:
	v_mov_b32_e32 v10, 0
	v_cmp_ne_u16_sdwa s[8:9], v17, v10 src0_sel:BYTE_0 src1_sel:DWORD
	s_andn2_b64 s[4:5], s[4:5], exec
	s_and_b64 s[8:9], s[8:9], exec
	s_or_b64 s[4:5], s[4:5], s[8:9]
	s_or_b64 exec, exec, s[6:7]
	s_and_saveexec_b64 s[6:7], s[4:5]
	s_cbranch_execnz .LBB40_99
	s_branch .LBB40_100
.LBB40_2149:
	s_movk_i32 s4, 0x80
	v_cmp_eq_u16_sdwa s[12:13], v13, s4 src0_sel:BYTE_0 src1_sel:DWORD
	s_mov_b64 s[4:5], -1
                                        ; implicit-def: $sgpr10
	s_and_saveexec_b64 s[8:9], s[12:13]
; %bb.2150:
	s_mov_b32 s10, 0x7f800001
	s_xor_b64 s[4:5], exec, -1
; %bb.2151:
	s_or_b64 exec, exec, s[8:9]
	s_and_b64 s[4:5], s[4:5], exec
	s_or_saveexec_b64 s[6:7], s[6:7]
	v_mov_b32_e32 v11, s10
	s_xor_b64 exec, exec, s[6:7]
	s_cbranch_execz .LBB40_102
.LBB40_2152:
	v_mov_b32_e32 v11, 0
	v_cmp_ne_u16_sdwa s[8:9], v13, v11 src0_sel:BYTE_0 src1_sel:DWORD
	s_andn2_b64 s[4:5], s[4:5], exec
	s_and_b64 s[8:9], s[8:9], exec
	s_or_b64 s[4:5], s[4:5], s[8:9]
	s_or_b64 exec, exec, s[6:7]
	s_and_saveexec_b64 s[6:7], s[4:5]
	s_cbranch_execnz .LBB40_103
	s_branch .LBB40_104
.LBB40_2153:
	s_movk_i32 s4, 0x80
	v_cmp_eq_u16_sdwa s[12:13], v11, s4 src0_sel:BYTE_0 src1_sel:DWORD
	s_mov_b64 s[4:5], -1
                                        ; implicit-def: $sgpr10
	s_and_saveexec_b64 s[8:9], s[12:13]
; %bb.2154:
	s_mov_b32 s10, 0x7f800001
	s_xor_b64 s[4:5], exec, -1
; %bb.2155:
	s_or_b64 exec, exec, s[8:9]
	s_and_b64 s[4:5], s[4:5], exec
	s_or_saveexec_b64 s[6:7], s[6:7]
	v_mov_b32_e32 v10, s10
	s_xor_b64 exec, exec, s[6:7]
	s_cbranch_execz .LBB40_106
.LBB40_2156:
	v_mov_b32_e32 v10, 0
	v_cmp_ne_u16_sdwa s[8:9], v11, v10 src0_sel:BYTE_0 src1_sel:DWORD
	s_andn2_b64 s[4:5], s[4:5], exec
	s_and_b64 s[8:9], s[8:9], exec
	s_or_b64 s[4:5], s[4:5], s[8:9]
	s_or_b64 exec, exec, s[6:7]
	s_and_saveexec_b64 s[6:7], s[4:5]
	s_cbranch_execnz .LBB40_107
	s_branch .LBB40_108
.LBB40_2157:
	s_movk_i32 s4, 0x80
	v_cmp_eq_u16_sdwa s[12:13], v11, s4 src0_sel:BYTE_0 src1_sel:DWORD
	s_mov_b64 s[4:5], -1
                                        ; implicit-def: $sgpr10
	s_and_saveexec_b64 s[8:9], s[12:13]
; %bb.2158:
	s_mov_b32 s10, 0x7f800001
	s_xor_b64 s[4:5], exec, -1
; %bb.2159:
	s_or_b64 exec, exec, s[8:9]
	s_and_b64 s[4:5], s[4:5], exec
	s_or_saveexec_b64 s[6:7], s[6:7]
	v_mov_b32_e32 v12, s10
	s_xor_b64 exec, exec, s[6:7]
	s_cbranch_execz .LBB40_110
.LBB40_2160:
	v_mov_b32_e32 v12, 0
	v_cmp_ne_u16_sdwa s[8:9], v11, v12 src0_sel:BYTE_0 src1_sel:DWORD
	s_andn2_b64 s[4:5], s[4:5], exec
	s_and_b64 s[8:9], s[8:9], exec
	s_or_b64 s[4:5], s[4:5], s[8:9]
	s_or_b64 exec, exec, s[6:7]
	s_and_saveexec_b64 s[6:7], s[4:5]
	s_cbranch_execnz .LBB40_111
	s_branch .LBB40_112
.LBB40_2161:
	s_movk_i32 s4, 0x80
	v_cmp_eq_u16_e32 vcc, s4, v11
	s_mov_b64 s[4:5], -1
                                        ; implicit-def: $sgpr10
	s_and_saveexec_b64 s[8:9], vcc
; %bb.2162:
	s_mov_b32 s10, 0x7f800001
	s_xor_b64 s[4:5], exec, -1
; %bb.2163:
	s_or_b64 exec, exec, s[8:9]
	s_and_b64 s[4:5], s[4:5], exec
                                        ; implicit-def: $vgpr11
	s_or_saveexec_b64 s[6:7], s[6:7]
	v_mov_b32_e32 v10, s10
	s_xor_b64 exec, exec, s[6:7]
	s_cbranch_execz .LBB40_114
.LBB40_2164:
	v_cmp_ne_u16_e32 vcc, 0, v11
	s_andn2_b64 s[4:5], s[4:5], exec
	s_and_b64 s[8:9], vcc, exec
	v_mov_b32_e32 v10, 0
	s_or_b64 s[4:5], s[4:5], s[8:9]
	s_or_b64 exec, exec, s[6:7]
	s_and_saveexec_b64 s[6:7], s[4:5]
	s_cbranch_execnz .LBB40_115
	s_branch .LBB40_116
.LBB40_2165:
	s_movk_i32 s4, 0x80
	v_cmp_eq_u16_e32 vcc, s4, v11
	s_mov_b64 s[4:5], -1
                                        ; implicit-def: $sgpr10
	s_and_saveexec_b64 s[8:9], vcc
; %bb.2166:
	s_mov_b32 s10, 0x7f800001
	s_xor_b64 s[4:5], exec, -1
; %bb.2167:
	s_or_b64 exec, exec, s[8:9]
	s_and_b64 s[4:5], s[4:5], exec
                                        ; implicit-def: $vgpr11
	s_or_saveexec_b64 s[6:7], s[6:7]
	v_mov_b32_e32 v12, s10
	s_xor_b64 exec, exec, s[6:7]
	s_cbranch_execz .LBB40_118
.LBB40_2168:
	v_cmp_ne_u16_e32 vcc, 0, v11
	s_andn2_b64 s[4:5], s[4:5], exec
	s_and_b64 s[8:9], vcc, exec
	v_mov_b32_e32 v12, 0
	s_or_b64 s[4:5], s[4:5], s[8:9]
	s_or_b64 exec, exec, s[6:7]
	s_and_saveexec_b64 s[6:7], s[4:5]
	s_cbranch_execnz .LBB40_119
	s_branch .LBB40_120
.LBB40_2169:
	s_movk_i32 s4, 0x80
	v_cmp_eq_u16_sdwa s[12:13], v17, s4 src0_sel:BYTE_3 src1_sel:DWORD
	s_mov_b64 s[4:5], -1
                                        ; implicit-def: $sgpr10
	s_and_saveexec_b64 s[8:9], s[12:13]
; %bb.2170:
	s_mov_b32 s10, 0x7f800001
	s_xor_b64 s[4:5], exec, -1
; %bb.2171:
	s_or_b64 exec, exec, s[8:9]
	s_and_b64 s[4:5], s[4:5], exec
	s_or_saveexec_b64 s[6:7], s[6:7]
	v_mov_b32_e32 v10, s10
	s_xor_b64 exec, exec, s[6:7]
	s_cbranch_execz .LBB40_122
.LBB40_2172:
	v_mov_b32_e32 v10, 0
	v_cmp_ne_u16_sdwa s[8:9], v17, v10 src0_sel:BYTE_3 src1_sel:DWORD
	s_andn2_b64 s[4:5], s[4:5], exec
	s_and_b64 s[8:9], s[8:9], exec
	s_or_b64 s[4:5], s[4:5], s[8:9]
	s_or_b64 exec, exec, s[6:7]
	s_and_saveexec_b64 s[6:7], s[4:5]
	s_cbranch_execnz .LBB40_123
	s_branch .LBB40_124
.LBB40_2173:
	s_movk_i32 s4, 0x80
	v_cmp_eq_u16_sdwa s[12:13], v13, s4 src0_sel:BYTE_3 src1_sel:DWORD
	s_mov_b64 s[4:5], -1
                                        ; implicit-def: $sgpr10
	s_and_saveexec_b64 s[8:9], s[12:13]
; %bb.2174:
	s_mov_b32 s10, 0x7f800001
	s_xor_b64 s[4:5], exec, -1
; %bb.2175:
	s_or_b64 exec, exec, s[8:9]
	s_and_b64 s[4:5], s[4:5], exec
	s_or_saveexec_b64 s[6:7], s[6:7]
	v_mov_b32_e32 v11, s10
	s_xor_b64 exec, exec, s[6:7]
	s_cbranch_execz .LBB40_126
.LBB40_2176:
	v_mov_b32_e32 v11, 0
	v_cmp_ne_u16_sdwa s[8:9], v13, v11 src0_sel:BYTE_3 src1_sel:DWORD
	s_andn2_b64 s[4:5], s[4:5], exec
	s_and_b64 s[8:9], s[8:9], exec
	s_or_b64 s[4:5], s[4:5], s[8:9]
	s_or_b64 exec, exec, s[6:7]
	s_and_saveexec_b64 s[6:7], s[4:5]
	s_cbranch_execnz .LBB40_127
	s_branch .LBB40_128
.LBB40_2177:
	s_movk_i32 s4, 0x80
	v_cmp_eq_u16_sdwa s[12:13], v6, s4 src0_sel:BYTE_0 src1_sel:DWORD
	s_mov_b64 s[4:5], -1
                                        ; implicit-def: $sgpr10
	s_and_saveexec_b64 s[8:9], s[12:13]
; %bb.2178:
	s_mov_b32 s10, 0x7f800001
	s_xor_b64 s[4:5], exec, -1
; %bb.2179:
	s_or_b64 exec, exec, s[8:9]
	s_and_b64 s[4:5], s[4:5], exec
	s_or_saveexec_b64 s[6:7], s[6:7]
	v_mov_b32_e32 v10, s10
	s_xor_b64 exec, exec, s[6:7]
	s_cbranch_execz .LBB40_130
.LBB40_2180:
	v_mov_b32_e32 v10, 0
	v_cmp_ne_u16_sdwa s[8:9], v6, v10 src0_sel:BYTE_0 src1_sel:DWORD
	s_andn2_b64 s[4:5], s[4:5], exec
	s_and_b64 s[8:9], s[8:9], exec
	s_or_b64 s[4:5], s[4:5], s[8:9]
	s_or_b64 exec, exec, s[6:7]
	s_and_saveexec_b64 s[6:7], s[4:5]
	s_cbranch_execnz .LBB40_131
	s_branch .LBB40_132
.LBB40_2181:
	s_movk_i32 s4, 0x80
	v_cmp_eq_u16_sdwa s[12:13], v2, s4 src0_sel:BYTE_0 src1_sel:DWORD
	s_mov_b64 s[4:5], -1
                                        ; implicit-def: $sgpr10
	s_and_saveexec_b64 s[8:9], s[12:13]
; %bb.2182:
	s_mov_b32 s10, 0x7f800001
	s_xor_b64 s[4:5], exec, -1
; %bb.2183:
	s_or_b64 exec, exec, s[8:9]
	s_and_b64 s[4:5], s[4:5], exec
	s_or_saveexec_b64 s[6:7], s[6:7]
	v_mov_b32_e32 v11, s10
	s_xor_b64 exec, exec, s[6:7]
	s_cbranch_execz .LBB40_134
.LBB40_2184:
	v_mov_b32_e32 v11, 0
	v_cmp_ne_u16_sdwa s[8:9], v2, v11 src0_sel:BYTE_0 src1_sel:DWORD
	s_andn2_b64 s[4:5], s[4:5], exec
	s_and_b64 s[8:9], s[8:9], exec
	s_or_b64 s[4:5], s[4:5], s[8:9]
	s_or_b64 exec, exec, s[6:7]
	s_and_saveexec_b64 s[6:7], s[4:5]
	s_cbranch_execnz .LBB40_135
	s_branch .LBB40_136
.LBB40_2185:
	s_movk_i32 s4, 0x80
	v_cmp_eq_u16_sdwa s[12:13], v11, s4 src0_sel:BYTE_0 src1_sel:DWORD
	s_mov_b64 s[4:5], -1
                                        ; implicit-def: $sgpr10
	s_and_saveexec_b64 s[8:9], s[12:13]
; %bb.2186:
	s_mov_b32 s10, 0x7f800001
	s_xor_b64 s[4:5], exec, -1
; %bb.2187:
	s_or_b64 exec, exec, s[8:9]
	s_and_b64 s[4:5], s[4:5], exec
	s_or_saveexec_b64 s[6:7], s[6:7]
	v_mov_b32_e32 v10, s10
	s_xor_b64 exec, exec, s[6:7]
	s_cbranch_execz .LBB40_138
.LBB40_2188:
	v_mov_b32_e32 v10, 0
	v_cmp_ne_u16_sdwa s[8:9], v11, v10 src0_sel:BYTE_0 src1_sel:DWORD
	s_andn2_b64 s[4:5], s[4:5], exec
	s_and_b64 s[8:9], s[8:9], exec
	s_or_b64 s[4:5], s[4:5], s[8:9]
	s_or_b64 exec, exec, s[6:7]
	s_and_saveexec_b64 s[6:7], s[4:5]
	s_cbranch_execnz .LBB40_139
	s_branch .LBB40_140
.LBB40_2189:
	s_movk_i32 s4, 0x80
	v_cmp_eq_u16_sdwa s[12:13], v11, s4 src0_sel:BYTE_0 src1_sel:DWORD
	s_mov_b64 s[4:5], -1
                                        ; implicit-def: $sgpr10
	s_and_saveexec_b64 s[8:9], s[12:13]
; %bb.2190:
	s_mov_b32 s10, 0x7f800001
	s_xor_b64 s[4:5], exec, -1
; %bb.2191:
	s_or_b64 exec, exec, s[8:9]
	s_and_b64 s[4:5], s[4:5], exec
	s_or_saveexec_b64 s[6:7], s[6:7]
	v_mov_b32_e32 v12, s10
	s_xor_b64 exec, exec, s[6:7]
	s_cbranch_execz .LBB40_142
.LBB40_2192:
	v_mov_b32_e32 v12, 0
	v_cmp_ne_u16_sdwa s[8:9], v11, v12 src0_sel:BYTE_0 src1_sel:DWORD
	s_andn2_b64 s[4:5], s[4:5], exec
	s_and_b64 s[8:9], s[8:9], exec
	s_or_b64 s[4:5], s[4:5], s[8:9]
	s_or_b64 exec, exec, s[6:7]
	s_and_saveexec_b64 s[6:7], s[4:5]
	s_cbranch_execnz .LBB40_143
	s_branch .LBB40_144
.LBB40_2193:
	s_movk_i32 s4, 0x80
	v_cmp_eq_u16_e32 vcc, s4, v11
	s_mov_b64 s[4:5], -1
                                        ; implicit-def: $sgpr10
	s_and_saveexec_b64 s[8:9], vcc
; %bb.2194:
	s_mov_b32 s10, 0x7f800001
	s_xor_b64 s[4:5], exec, -1
; %bb.2195:
	s_or_b64 exec, exec, s[8:9]
	s_and_b64 s[4:5], s[4:5], exec
                                        ; implicit-def: $vgpr11
	s_or_saveexec_b64 s[6:7], s[6:7]
	v_mov_b32_e32 v10, s10
	s_xor_b64 exec, exec, s[6:7]
	s_cbranch_execz .LBB40_146
.LBB40_2196:
	v_cmp_ne_u16_e32 vcc, 0, v11
	s_andn2_b64 s[4:5], s[4:5], exec
	s_and_b64 s[8:9], vcc, exec
	v_mov_b32_e32 v10, 0
	s_or_b64 s[4:5], s[4:5], s[8:9]
	s_or_b64 exec, exec, s[6:7]
	s_and_saveexec_b64 s[6:7], s[4:5]
	s_cbranch_execnz .LBB40_147
	s_branch .LBB40_148
.LBB40_2197:
	s_movk_i32 s4, 0x80
	v_cmp_eq_u16_e32 vcc, s4, v11
	s_mov_b64 s[4:5], -1
                                        ; implicit-def: $sgpr10
	s_and_saveexec_b64 s[8:9], vcc
; %bb.2198:
	s_mov_b32 s10, 0x7f800001
	s_xor_b64 s[4:5], exec, -1
; %bb.2199:
	s_or_b64 exec, exec, s[8:9]
	s_and_b64 s[4:5], s[4:5], exec
                                        ; implicit-def: $vgpr11
	s_or_saveexec_b64 s[6:7], s[6:7]
	v_mov_b32_e32 v12, s10
	s_xor_b64 exec, exec, s[6:7]
	s_cbranch_execz .LBB40_150
.LBB40_2200:
	v_cmp_ne_u16_e32 vcc, 0, v11
	s_andn2_b64 s[4:5], s[4:5], exec
	s_and_b64 s[8:9], vcc, exec
	v_mov_b32_e32 v12, 0
	s_or_b64 s[4:5], s[4:5], s[8:9]
	s_or_b64 exec, exec, s[6:7]
	s_and_saveexec_b64 s[6:7], s[4:5]
	s_cbranch_execnz .LBB40_151
	s_branch .LBB40_152
.LBB40_2201:
	s_movk_i32 s4, 0x80
	v_cmp_eq_u16_sdwa s[12:13], v6, s4 src0_sel:BYTE_3 src1_sel:DWORD
	s_mov_b64 s[4:5], -1
                                        ; implicit-def: $sgpr10
	s_and_saveexec_b64 s[8:9], s[12:13]
; %bb.2202:
	s_mov_b32 s10, 0x7f800001
	s_xor_b64 s[4:5], exec, -1
; %bb.2203:
	s_or_b64 exec, exec, s[8:9]
	s_and_b64 s[4:5], s[4:5], exec
	s_or_saveexec_b64 s[6:7], s[6:7]
	v_mov_b32_e32 v10, s10
	s_xor_b64 exec, exec, s[6:7]
	s_cbranch_execz .LBB40_154
.LBB40_2204:
	v_mov_b32_e32 v10, 0
	v_cmp_ne_u16_sdwa s[8:9], v6, v10 src0_sel:BYTE_3 src1_sel:DWORD
	s_andn2_b64 s[4:5], s[4:5], exec
	s_and_b64 s[8:9], s[8:9], exec
	s_or_b64 s[4:5], s[4:5], s[8:9]
	s_or_b64 exec, exec, s[6:7]
	s_and_saveexec_b64 s[6:7], s[4:5]
	s_cbranch_execnz .LBB40_155
	s_branch .LBB40_156
.LBB40_2205:
	s_movk_i32 s4, 0x80
	v_cmp_eq_u16_sdwa s[12:13], v2, s4 src0_sel:BYTE_3 src1_sel:DWORD
	s_mov_b64 s[4:5], -1
                                        ; implicit-def: $sgpr10
	s_and_saveexec_b64 s[8:9], s[12:13]
; %bb.2206:
	s_mov_b32 s10, 0x7f800001
	s_xor_b64 s[4:5], exec, -1
; %bb.2207:
	s_or_b64 exec, exec, s[8:9]
	s_and_b64 s[4:5], s[4:5], exec
	s_or_saveexec_b64 s[6:7], s[6:7]
	v_mov_b32_e32 v6, s10
	s_xor_b64 exec, exec, s[6:7]
	s_cbranch_execz .LBB40_158
.LBB40_2208:
	v_mov_b32_e32 v6, 0
	v_cmp_ne_u16_sdwa s[8:9], v2, v6 src0_sel:BYTE_3 src1_sel:DWORD
	s_andn2_b64 s[4:5], s[4:5], exec
	s_and_b64 s[8:9], s[8:9], exec
	s_or_b64 s[4:5], s[4:5], s[8:9]
	s_or_b64 exec, exec, s[6:7]
	s_and_saveexec_b64 s[6:7], s[4:5]
	s_cbranch_execnz .LBB40_159
	s_branch .LBB40_160
.LBB40_2209:
	s_movk_i32 s4, 0x80
	v_cmp_eq_u16_sdwa s[12:13], v7, s4 src0_sel:BYTE_0 src1_sel:DWORD
	s_mov_b64 s[4:5], -1
                                        ; implicit-def: $sgpr10
	s_and_saveexec_b64 s[8:9], s[12:13]
; %bb.2210:
	s_mov_b32 s10, 0x7f800001
	s_xor_b64 s[4:5], exec, -1
; %bb.2211:
	s_or_b64 exec, exec, s[8:9]
	s_and_b64 s[4:5], s[4:5], exec
	s_or_saveexec_b64 s[6:7], s[6:7]
	v_mov_b32_e32 v2, s10
	s_xor_b64 exec, exec, s[6:7]
	s_cbranch_execz .LBB40_162
.LBB40_2212:
	v_mov_b32_e32 v2, 0
	v_cmp_ne_u16_sdwa s[8:9], v7, v2 src0_sel:BYTE_0 src1_sel:DWORD
	s_andn2_b64 s[4:5], s[4:5], exec
	s_and_b64 s[8:9], s[8:9], exec
	s_or_b64 s[4:5], s[4:5], s[8:9]
	s_or_b64 exec, exec, s[6:7]
	s_and_saveexec_b64 s[6:7], s[4:5]
	s_cbranch_execnz .LBB40_163
	s_branch .LBB40_164
.LBB40_2213:
	s_movk_i32 s4, 0x80
	v_cmp_eq_u16_sdwa s[12:13], v3, s4 src0_sel:BYTE_0 src1_sel:DWORD
	s_mov_b64 s[4:5], -1
                                        ; implicit-def: $sgpr10
	s_and_saveexec_b64 s[8:9], s[12:13]
; %bb.2214:
	s_mov_b32 s10, 0x7f800001
	s_xor_b64 s[4:5], exec, -1
; %bb.2215:
	s_or_b64 exec, exec, s[8:9]
	s_and_b64 s[4:5], s[4:5], exec
	s_or_saveexec_b64 s[6:7], s[6:7]
	v_mov_b32_e32 v6, s10
	s_xor_b64 exec, exec, s[6:7]
	s_cbranch_execz .LBB40_166
.LBB40_2216:
	v_mov_b32_e32 v6, 0
	v_cmp_ne_u16_sdwa s[8:9], v3, v6 src0_sel:BYTE_0 src1_sel:DWORD
	s_andn2_b64 s[4:5], s[4:5], exec
	s_and_b64 s[8:9], s[8:9], exec
	s_or_b64 s[4:5], s[4:5], s[8:9]
	s_or_b64 exec, exec, s[6:7]
	s_and_saveexec_b64 s[6:7], s[4:5]
	s_cbranch_execnz .LBB40_167
	s_branch .LBB40_168
.LBB40_2217:
	s_movk_i32 s4, 0x80
	v_cmp_eq_u16_sdwa s[12:13], v6, s4 src0_sel:BYTE_0 src1_sel:DWORD
	s_mov_b64 s[4:5], -1
                                        ; implicit-def: $sgpr10
	s_and_saveexec_b64 s[8:9], s[12:13]
; %bb.2218:
	s_mov_b32 s10, 0x7f800001
	s_xor_b64 s[4:5], exec, -1
; %bb.2219:
	s_or_b64 exec, exec, s[8:9]
	s_and_b64 s[4:5], s[4:5], exec
	s_or_saveexec_b64 s[6:7], s[6:7]
	v_mov_b32_e32 v2, s10
	s_xor_b64 exec, exec, s[6:7]
	s_cbranch_execz .LBB40_170
.LBB40_2220:
	v_mov_b32_e32 v2, 0
	v_cmp_ne_u16_sdwa s[8:9], v6, v2 src0_sel:BYTE_0 src1_sel:DWORD
	s_andn2_b64 s[4:5], s[4:5], exec
	s_and_b64 s[8:9], s[8:9], exec
	s_or_b64 s[4:5], s[4:5], s[8:9]
	s_or_b64 exec, exec, s[6:7]
	s_and_saveexec_b64 s[6:7], s[4:5]
	s_cbranch_execnz .LBB40_171
	s_branch .LBB40_172
.LBB40_2221:
	s_movk_i32 s4, 0x80
	v_cmp_eq_u16_sdwa s[12:13], v6, s4 src0_sel:BYTE_0 src1_sel:DWORD
	s_mov_b64 s[4:5], -1
                                        ; implicit-def: $sgpr10
	s_and_saveexec_b64 s[8:9], s[12:13]
; %bb.2222:
	s_mov_b32 s10, 0x7f800001
	s_xor_b64 s[4:5], exec, -1
; %bb.2223:
	s_or_b64 exec, exec, s[8:9]
	s_and_b64 s[4:5], s[4:5], exec
	s_or_saveexec_b64 s[6:7], s[6:7]
	v_mov_b32_e32 v10, s10
	s_xor_b64 exec, exec, s[6:7]
	s_cbranch_execz .LBB40_174
.LBB40_2224:
	v_mov_b32_e32 v10, 0
	v_cmp_ne_u16_sdwa s[8:9], v6, v10 src0_sel:BYTE_0 src1_sel:DWORD
	s_andn2_b64 s[4:5], s[4:5], exec
	s_and_b64 s[8:9], s[8:9], exec
	s_or_b64 s[4:5], s[4:5], s[8:9]
	s_or_b64 exec, exec, s[6:7]
	s_and_saveexec_b64 s[6:7], s[4:5]
	s_cbranch_execnz .LBB40_175
	s_branch .LBB40_176
.LBB40_2225:
	s_movk_i32 s4, 0x80
	v_cmp_eq_u16_e32 vcc, s4, v6
	s_mov_b64 s[4:5], -1
                                        ; implicit-def: $sgpr10
	s_and_saveexec_b64 s[8:9], vcc
; %bb.2226:
	s_mov_b32 s10, 0x7f800001
	s_xor_b64 s[4:5], exec, -1
; %bb.2227:
	s_or_b64 exec, exec, s[8:9]
	s_and_b64 s[4:5], s[4:5], exec
                                        ; implicit-def: $vgpr6
	s_or_saveexec_b64 s[6:7], s[6:7]
	v_mov_b32_e32 v2, s10
	s_xor_b64 exec, exec, s[6:7]
	s_cbranch_execz .LBB40_178
.LBB40_2228:
	v_cmp_ne_u16_e32 vcc, 0, v6
	s_andn2_b64 s[4:5], s[4:5], exec
	s_and_b64 s[8:9], vcc, exec
	v_mov_b32_e32 v2, 0
	s_or_b64 s[4:5], s[4:5], s[8:9]
	s_or_b64 exec, exec, s[6:7]
	s_and_saveexec_b64 s[6:7], s[4:5]
	s_cbranch_execnz .LBB40_179
	s_branch .LBB40_180
.LBB40_2229:
	s_movk_i32 s4, 0x80
	v_cmp_eq_u16_e32 vcc, s4, v6
	s_mov_b64 s[4:5], -1
                                        ; implicit-def: $sgpr10
	s_and_saveexec_b64 s[8:9], vcc
; %bb.2230:
	s_mov_b32 s10, 0x7f800001
	s_xor_b64 s[4:5], exec, -1
; %bb.2231:
	s_or_b64 exec, exec, s[8:9]
	s_and_b64 s[4:5], s[4:5], exec
                                        ; implicit-def: $vgpr6
	s_or_saveexec_b64 s[6:7], s[6:7]
	v_mov_b32_e32 v10, s10
	s_xor_b64 exec, exec, s[6:7]
	s_cbranch_execz .LBB40_182
.LBB40_2232:
	v_cmp_ne_u16_e32 vcc, 0, v6
	s_andn2_b64 s[4:5], s[4:5], exec
	s_and_b64 s[8:9], vcc, exec
	v_mov_b32_e32 v10, 0
	s_or_b64 s[4:5], s[4:5], s[8:9]
	s_or_b64 exec, exec, s[6:7]
	s_and_saveexec_b64 s[6:7], s[4:5]
	s_cbranch_execnz .LBB40_183
	s_branch .LBB40_184
.LBB40_2233:
	s_movk_i32 s4, 0x80
	v_cmp_eq_u16_sdwa s[12:13], v7, s4 src0_sel:BYTE_3 src1_sel:DWORD
	s_mov_b64 s[4:5], -1
                                        ; implicit-def: $sgpr10
	s_and_saveexec_b64 s[8:9], s[12:13]
; %bb.2234:
	s_mov_b32 s10, 0x7f800001
	s_xor_b64 s[4:5], exec, -1
; %bb.2235:
	s_or_b64 exec, exec, s[8:9]
	s_and_b64 s[4:5], s[4:5], exec
	s_or_saveexec_b64 s[6:7], s[6:7]
	v_mov_b32_e32 v2, s10
	s_xor_b64 exec, exec, s[6:7]
	s_cbranch_execz .LBB40_186
.LBB40_2236:
	v_mov_b32_e32 v2, 0
	v_cmp_ne_u16_sdwa s[8:9], v7, v2 src0_sel:BYTE_3 src1_sel:DWORD
	s_andn2_b64 s[4:5], s[4:5], exec
	s_and_b64 s[8:9], s[8:9], exec
	s_or_b64 s[4:5], s[4:5], s[8:9]
	s_or_b64 exec, exec, s[6:7]
	s_and_saveexec_b64 s[6:7], s[4:5]
	s_cbranch_execnz .LBB40_187
	s_branch .LBB40_188
.LBB40_2237:
	s_movk_i32 s4, 0x80
	v_cmp_eq_u16_sdwa s[12:13], v3, s4 src0_sel:BYTE_3 src1_sel:DWORD
	s_mov_b64 s[4:5], -1
                                        ; implicit-def: $sgpr10
	s_and_saveexec_b64 s[8:9], s[12:13]
; %bb.2238:
	s_mov_b32 s10, 0x7f800001
	s_xor_b64 s[4:5], exec, -1
; %bb.2239:
	s_or_b64 exec, exec, s[8:9]
	s_and_b64 s[4:5], s[4:5], exec
	s_or_saveexec_b64 s[6:7], s[6:7]
	v_mov_b32_e32 v6, s10
	s_xor_b64 exec, exec, s[6:7]
	s_cbranch_execz .LBB40_190
.LBB40_2240:
	v_mov_b32_e32 v6, 0
	v_cmp_ne_u16_sdwa s[8:9], v3, v6 src0_sel:BYTE_3 src1_sel:DWORD
	s_andn2_b64 s[4:5], s[4:5], exec
	s_and_b64 s[8:9], s[8:9], exec
	s_or_b64 s[4:5], s[4:5], s[8:9]
	s_or_b64 exec, exec, s[6:7]
	s_and_saveexec_b64 s[6:7], s[4:5]
	s_cbranch_execnz .LBB40_191
	s_branch .LBB40_192
.LBB40_2241:
	s_movk_i32 s4, 0x80
	v_cmp_eq_u16_sdwa s[12:13], v8, s4 src0_sel:BYTE_0 src1_sel:DWORD
	s_mov_b64 s[4:5], -1
                                        ; implicit-def: $sgpr10
	s_and_saveexec_b64 s[8:9], s[12:13]
; %bb.2242:
	s_mov_b32 s10, 0x7f800001
	s_xor_b64 s[4:5], exec, -1
; %bb.2243:
	s_or_b64 exec, exec, s[8:9]
	s_and_b64 s[4:5], s[4:5], exec
	s_or_saveexec_b64 s[6:7], s[6:7]
	v_mov_b32_e32 v2, s10
	s_xor_b64 exec, exec, s[6:7]
	s_cbranch_execz .LBB40_194
.LBB40_2244:
	v_mov_b32_e32 v2, 0
	v_cmp_ne_u16_sdwa s[8:9], v8, v2 src0_sel:BYTE_0 src1_sel:DWORD
	s_andn2_b64 s[4:5], s[4:5], exec
	s_and_b64 s[8:9], s[8:9], exec
	s_or_b64 s[4:5], s[4:5], s[8:9]
	s_or_b64 exec, exec, s[6:7]
	s_and_saveexec_b64 s[6:7], s[4:5]
	s_cbranch_execnz .LBB40_195
	s_branch .LBB40_196
.LBB40_2245:
	s_movk_i32 s4, 0x80
	v_cmp_eq_u16_sdwa s[12:13], v4, s4 src0_sel:BYTE_0 src1_sel:DWORD
	s_mov_b64 s[4:5], -1
                                        ; implicit-def: $sgpr10
	s_and_saveexec_b64 s[8:9], s[12:13]
; %bb.2246:
	s_mov_b32 s10, 0x7f800001
	s_xor_b64 s[4:5], exec, -1
; %bb.2247:
	s_or_b64 exec, exec, s[8:9]
	s_and_b64 s[4:5], s[4:5], exec
	s_or_saveexec_b64 s[6:7], s[6:7]
	v_mov_b32_e32 v3, s10
	s_xor_b64 exec, exec, s[6:7]
	s_cbranch_execz .LBB40_198
.LBB40_2248:
	v_mov_b32_e32 v3, 0
	v_cmp_ne_u16_sdwa s[8:9], v4, v3 src0_sel:BYTE_0 src1_sel:DWORD
	s_andn2_b64 s[4:5], s[4:5], exec
	s_and_b64 s[8:9], s[8:9], exec
	s_or_b64 s[4:5], s[4:5], s[8:9]
	s_or_b64 exec, exec, s[6:7]
	s_and_saveexec_b64 s[6:7], s[4:5]
	s_cbranch_execnz .LBB40_199
	s_branch .LBB40_200
.LBB40_2249:
	s_movk_i32 s4, 0x80
	v_cmp_eq_u16_sdwa s[12:13], v3, s4 src0_sel:BYTE_0 src1_sel:DWORD
	s_mov_b64 s[4:5], -1
                                        ; implicit-def: $sgpr10
	s_and_saveexec_b64 s[8:9], s[12:13]
; %bb.2250:
	s_mov_b32 s10, 0x7f800001
	s_xor_b64 s[4:5], exec, -1
; %bb.2251:
	s_or_b64 exec, exec, s[8:9]
	s_and_b64 s[4:5], s[4:5], exec
	s_or_saveexec_b64 s[6:7], s[6:7]
	v_mov_b32_e32 v2, s10
	s_xor_b64 exec, exec, s[6:7]
	s_cbranch_execz .LBB40_202
.LBB40_2252:
	v_mov_b32_e32 v2, 0
	v_cmp_ne_u16_sdwa s[8:9], v3, v2 src0_sel:BYTE_0 src1_sel:DWORD
	s_andn2_b64 s[4:5], s[4:5], exec
	s_and_b64 s[8:9], s[8:9], exec
	s_or_b64 s[4:5], s[4:5], s[8:9]
	s_or_b64 exec, exec, s[6:7]
	s_and_saveexec_b64 s[6:7], s[4:5]
	s_cbranch_execnz .LBB40_203
	s_branch .LBB40_204
.LBB40_2253:
	s_movk_i32 s4, 0x80
	v_cmp_eq_u16_sdwa s[12:13], v3, s4 src0_sel:BYTE_0 src1_sel:DWORD
	s_mov_b64 s[4:5], -1
                                        ; implicit-def: $sgpr10
	s_and_saveexec_b64 s[8:9], s[12:13]
; %bb.2254:
	s_mov_b32 s10, 0x7f800001
	s_xor_b64 s[4:5], exec, -1
; %bb.2255:
	s_or_b64 exec, exec, s[8:9]
	s_and_b64 s[4:5], s[4:5], exec
	s_or_saveexec_b64 s[6:7], s[6:7]
	v_mov_b32_e32 v6, s10
	s_xor_b64 exec, exec, s[6:7]
	s_cbranch_execz .LBB40_206
.LBB40_2256:
	v_mov_b32_e32 v6, 0
	v_cmp_ne_u16_sdwa s[8:9], v3, v6 src0_sel:BYTE_0 src1_sel:DWORD
	s_andn2_b64 s[4:5], s[4:5], exec
	s_and_b64 s[8:9], s[8:9], exec
	s_or_b64 s[4:5], s[4:5], s[8:9]
	s_or_b64 exec, exec, s[6:7]
	s_and_saveexec_b64 s[6:7], s[4:5]
	s_cbranch_execnz .LBB40_207
	s_branch .LBB40_208
.LBB40_2257:
	s_movk_i32 s4, 0x80
	v_cmp_eq_u16_e32 vcc, s4, v3
	s_mov_b64 s[4:5], -1
                                        ; implicit-def: $sgpr10
	s_and_saveexec_b64 s[8:9], vcc
; %bb.2258:
	s_mov_b32 s10, 0x7f800001
	s_xor_b64 s[4:5], exec, -1
; %bb.2259:
	s_or_b64 exec, exec, s[8:9]
	s_and_b64 s[4:5], s[4:5], exec
                                        ; implicit-def: $vgpr3
	s_or_saveexec_b64 s[6:7], s[6:7]
	v_mov_b32_e32 v2, s10
	s_xor_b64 exec, exec, s[6:7]
	s_cbranch_execz .LBB40_210
.LBB40_2260:
	v_cmp_ne_u16_e32 vcc, 0, v3
	s_andn2_b64 s[4:5], s[4:5], exec
	s_and_b64 s[8:9], vcc, exec
	v_mov_b32_e32 v2, 0
	s_or_b64 s[4:5], s[4:5], s[8:9]
	s_or_b64 exec, exec, s[6:7]
	s_and_saveexec_b64 s[6:7], s[4:5]
	s_cbranch_execnz .LBB40_211
	s_branch .LBB40_212
.LBB40_2261:
	s_movk_i32 s4, 0x80
	v_cmp_eq_u16_e32 vcc, s4, v3
	s_mov_b64 s[4:5], -1
                                        ; implicit-def: $sgpr10
	s_and_saveexec_b64 s[8:9], vcc
; %bb.2262:
	s_mov_b32 s10, 0x7f800001
	s_xor_b64 s[4:5], exec, -1
; %bb.2263:
	s_or_b64 exec, exec, s[8:9]
	s_and_b64 s[4:5], s[4:5], exec
                                        ; implicit-def: $vgpr3
	s_or_saveexec_b64 s[6:7], s[6:7]
	v_mov_b32_e32 v6, s10
	s_xor_b64 exec, exec, s[6:7]
	s_cbranch_execz .LBB40_214
.LBB40_2264:
	v_cmp_ne_u16_e32 vcc, 0, v3
	s_andn2_b64 s[4:5], s[4:5], exec
	s_and_b64 s[8:9], vcc, exec
	v_mov_b32_e32 v6, 0
	s_or_b64 s[4:5], s[4:5], s[8:9]
	s_or_b64 exec, exec, s[6:7]
	s_and_saveexec_b64 s[6:7], s[4:5]
	s_cbranch_execnz .LBB40_215
	s_branch .LBB40_216
.LBB40_2265:
	s_movk_i32 s4, 0x80
	v_cmp_eq_u16_sdwa s[12:13], v8, s4 src0_sel:BYTE_3 src1_sel:DWORD
	s_mov_b64 s[4:5], -1
                                        ; implicit-def: $sgpr10
	s_and_saveexec_b64 s[8:9], s[12:13]
; %bb.2266:
	s_mov_b32 s10, 0x7f800001
	s_xor_b64 s[4:5], exec, -1
; %bb.2267:
	s_or_b64 exec, exec, s[8:9]
	s_and_b64 s[4:5], s[4:5], exec
	s_or_saveexec_b64 s[6:7], s[6:7]
	v_mov_b32_e32 v2, s10
	s_xor_b64 exec, exec, s[6:7]
	s_cbranch_execz .LBB40_218
.LBB40_2268:
	v_mov_b32_e32 v2, 0
	v_cmp_ne_u16_sdwa s[8:9], v8, v2 src0_sel:BYTE_3 src1_sel:DWORD
	s_andn2_b64 s[4:5], s[4:5], exec
	s_and_b64 s[8:9], s[8:9], exec
	s_or_b64 s[4:5], s[4:5], s[8:9]
	s_or_b64 exec, exec, s[6:7]
	s_and_saveexec_b64 s[6:7], s[4:5]
	s_cbranch_execnz .LBB40_219
	s_branch .LBB40_220
.LBB40_2269:
	s_movk_i32 s4, 0x80
	v_cmp_eq_u16_sdwa s[12:13], v4, s4 src0_sel:BYTE_3 src1_sel:DWORD
	s_mov_b64 s[4:5], -1
                                        ; implicit-def: $sgpr10
	s_and_saveexec_b64 s[8:9], s[12:13]
; %bb.2270:
	s_mov_b32 s10, 0x7f800001
	s_xor_b64 s[4:5], exec, -1
; %bb.2271:
	s_or_b64 exec, exec, s[8:9]
	s_and_b64 s[4:5], s[4:5], exec
	s_or_saveexec_b64 s[6:7], s[6:7]
	v_mov_b32_e32 v3, s10
	s_xor_b64 exec, exec, s[6:7]
	s_cbranch_execz .LBB40_222
.LBB40_2272:
	v_mov_b32_e32 v3, 0
	v_cmp_ne_u16_sdwa s[8:9], v4, v3 src0_sel:BYTE_3 src1_sel:DWORD
	s_andn2_b64 s[4:5], s[4:5], exec
	s_and_b64 s[8:9], s[8:9], exec
	s_or_b64 s[4:5], s[4:5], s[8:9]
	s_or_b64 exec, exec, s[6:7]
	s_and_saveexec_b64 s[6:7], s[4:5]
	s_cbranch_execnz .LBB40_223
	s_branch .LBB40_224
.LBB40_2273:
	s_movk_i32 s4, 0x80
	v_cmp_eq_u16_sdwa s[12:13], v9, s4 src0_sel:BYTE_0 src1_sel:DWORD
	s_mov_b64 s[4:5], -1
                                        ; implicit-def: $sgpr10
	s_and_saveexec_b64 s[8:9], s[12:13]
; %bb.2274:
	s_mov_b32 s10, 0x7f800001
	s_xor_b64 s[4:5], exec, -1
; %bb.2275:
	s_or_b64 exec, exec, s[8:9]
	s_and_b64 s[4:5], s[4:5], exec
	s_or_saveexec_b64 s[6:7], s[6:7]
	v_mov_b32_e32 v2, s10
	s_xor_b64 exec, exec, s[6:7]
	s_cbranch_execz .LBB40_226
.LBB40_2276:
	v_mov_b32_e32 v2, 0
	v_cmp_ne_u16_sdwa s[8:9], v9, v2 src0_sel:BYTE_0 src1_sel:DWORD
	s_andn2_b64 s[4:5], s[4:5], exec
	s_and_b64 s[8:9], s[8:9], exec
	s_or_b64 s[4:5], s[4:5], s[8:9]
	s_or_b64 exec, exec, s[6:7]
	s_and_saveexec_b64 s[6:7], s[4:5]
	s_cbranch_execnz .LBB40_227
	s_branch .LBB40_228
.LBB40_2277:
	s_movk_i32 s4, 0x80
	v_cmp_eq_u16_sdwa s[12:13], v5, s4 src0_sel:BYTE_0 src1_sel:DWORD
	s_mov_b64 s[4:5], -1
                                        ; implicit-def: $sgpr10
	s_and_saveexec_b64 s[8:9], s[12:13]
; %bb.2278:
	s_mov_b32 s10, 0x7f800001
	s_xor_b64 s[4:5], exec, -1
; %bb.2279:
	s_or_b64 exec, exec, s[8:9]
	s_and_b64 s[4:5], s[4:5], exec
	s_or_saveexec_b64 s[6:7], s[6:7]
	v_mov_b32_e32 v3, s10
	s_xor_b64 exec, exec, s[6:7]
	s_cbranch_execz .LBB40_230
.LBB40_2280:
	v_mov_b32_e32 v3, 0
	v_cmp_ne_u16_sdwa s[8:9], v5, v3 src0_sel:BYTE_0 src1_sel:DWORD
	s_andn2_b64 s[4:5], s[4:5], exec
	s_and_b64 s[8:9], s[8:9], exec
	s_or_b64 s[4:5], s[4:5], s[8:9]
	s_or_b64 exec, exec, s[6:7]
	s_and_saveexec_b64 s[6:7], s[4:5]
	s_cbranch_execnz .LBB40_231
	s_branch .LBB40_232
.LBB40_2281:
	s_movk_i32 s4, 0x80
	v_cmp_eq_u16_sdwa s[12:13], v3, s4 src0_sel:BYTE_0 src1_sel:DWORD
	s_mov_b64 s[4:5], -1
                                        ; implicit-def: $sgpr10
	s_and_saveexec_b64 s[8:9], s[12:13]
; %bb.2282:
	s_mov_b32 s10, 0x7f800001
	s_xor_b64 s[4:5], exec, -1
; %bb.2283:
	s_or_b64 exec, exec, s[8:9]
	s_and_b64 s[4:5], s[4:5], exec
	s_or_saveexec_b64 s[6:7], s[6:7]
	v_mov_b32_e32 v2, s10
	s_xor_b64 exec, exec, s[6:7]
	s_cbranch_execz .LBB40_234
.LBB40_2284:
	v_mov_b32_e32 v2, 0
	v_cmp_ne_u16_sdwa s[8:9], v3, v2 src0_sel:BYTE_0 src1_sel:DWORD
	s_andn2_b64 s[4:5], s[4:5], exec
	s_and_b64 s[8:9], s[8:9], exec
	s_or_b64 s[4:5], s[4:5], s[8:9]
	s_or_b64 exec, exec, s[6:7]
	s_and_saveexec_b64 s[6:7], s[4:5]
	s_cbranch_execnz .LBB40_235
	s_branch .LBB40_236
.LBB40_2285:
	s_movk_i32 s4, 0x80
	v_cmp_eq_u16_sdwa s[12:13], v3, s4 src0_sel:BYTE_0 src1_sel:DWORD
	s_mov_b64 s[4:5], -1
                                        ; implicit-def: $sgpr10
	s_and_saveexec_b64 s[8:9], s[12:13]
; %bb.2286:
	s_mov_b32 s10, 0x7f800001
	s_xor_b64 s[4:5], exec, -1
; %bb.2287:
	s_or_b64 exec, exec, s[8:9]
	s_and_b64 s[4:5], s[4:5], exec
	s_or_saveexec_b64 s[6:7], s[6:7]
	v_mov_b32_e32 v4, s10
	s_xor_b64 exec, exec, s[6:7]
	s_cbranch_execz .LBB40_238
.LBB40_2288:
	v_mov_b32_e32 v4, 0
	v_cmp_ne_u16_sdwa s[8:9], v3, v4 src0_sel:BYTE_0 src1_sel:DWORD
	s_andn2_b64 s[4:5], s[4:5], exec
	s_and_b64 s[8:9], s[8:9], exec
	s_or_b64 s[4:5], s[4:5], s[8:9]
	s_or_b64 exec, exec, s[6:7]
	s_and_saveexec_b64 s[6:7], s[4:5]
	s_cbranch_execnz .LBB40_239
	s_branch .LBB40_240
.LBB40_2289:
	s_movk_i32 s4, 0x80
	v_cmp_eq_u16_e32 vcc, s4, v3
	s_mov_b64 s[4:5], -1
                                        ; implicit-def: $sgpr10
	s_and_saveexec_b64 s[8:9], vcc
; %bb.2290:
	s_mov_b32 s10, 0x7f800001
	s_xor_b64 s[4:5], exec, -1
; %bb.2291:
	s_or_b64 exec, exec, s[8:9]
	s_and_b64 s[4:5], s[4:5], exec
                                        ; implicit-def: $vgpr3
	s_or_saveexec_b64 s[6:7], s[6:7]
	v_mov_b32_e32 v2, s10
	s_xor_b64 exec, exec, s[6:7]
	s_cbranch_execz .LBB40_242
.LBB40_2292:
	v_cmp_ne_u16_e32 vcc, 0, v3
	s_andn2_b64 s[4:5], s[4:5], exec
	s_and_b64 s[8:9], vcc, exec
	v_mov_b32_e32 v2, 0
	s_or_b64 s[4:5], s[4:5], s[8:9]
	s_or_b64 exec, exec, s[6:7]
	s_and_saveexec_b64 s[6:7], s[4:5]
	s_cbranch_execnz .LBB40_243
	s_branch .LBB40_244
.LBB40_2293:
	s_movk_i32 s4, 0x80
	v_cmp_eq_u16_e32 vcc, s4, v3
	s_mov_b64 s[4:5], -1
                                        ; implicit-def: $sgpr10
	s_and_saveexec_b64 s[8:9], vcc
; %bb.2294:
	s_mov_b32 s10, 0x7f800001
	s_xor_b64 s[4:5], exec, -1
; %bb.2295:
	s_or_b64 exec, exec, s[8:9]
	s_and_b64 s[4:5], s[4:5], exec
                                        ; implicit-def: $vgpr3
	s_or_saveexec_b64 s[6:7], s[6:7]
	v_mov_b32_e32 v4, s10
	s_xor_b64 exec, exec, s[6:7]
	s_cbranch_execz .LBB40_246
.LBB40_2296:
	v_cmp_ne_u16_e32 vcc, 0, v3
	s_andn2_b64 s[4:5], s[4:5], exec
	s_and_b64 s[8:9], vcc, exec
	v_mov_b32_e32 v4, 0
	s_or_b64 s[4:5], s[4:5], s[8:9]
	s_or_b64 exec, exec, s[6:7]
	s_and_saveexec_b64 s[6:7], s[4:5]
	s_cbranch_execnz .LBB40_247
	s_branch .LBB40_248
.LBB40_2297:
	s_movk_i32 s4, 0x80
	v_cmp_eq_u16_sdwa s[12:13], v9, s4 src0_sel:BYTE_3 src1_sel:DWORD
	s_mov_b64 s[4:5], -1
                                        ; implicit-def: $sgpr10
	s_and_saveexec_b64 s[8:9], s[12:13]
; %bb.2298:
	s_mov_b32 s10, 0x7f800001
	s_xor_b64 s[4:5], exec, -1
; %bb.2299:
	s_or_b64 exec, exec, s[8:9]
	s_and_b64 s[4:5], s[4:5], exec
	s_or_saveexec_b64 s[6:7], s[6:7]
	v_mov_b32_e32 v2, s10
	s_xor_b64 exec, exec, s[6:7]
	s_cbranch_execz .LBB40_250
.LBB40_2300:
	v_mov_b32_e32 v2, 0
	v_cmp_ne_u16_sdwa s[8:9], v9, v2 src0_sel:BYTE_3 src1_sel:DWORD
	s_andn2_b64 s[4:5], s[4:5], exec
	s_and_b64 s[8:9], s[8:9], exec
	s_or_b64 s[4:5], s[4:5], s[8:9]
	s_or_b64 exec, exec, s[6:7]
	s_and_saveexec_b64 s[6:7], s[4:5]
	s_cbranch_execnz .LBB40_251
	s_branch .LBB40_252
.LBB40_2301:
	s_movk_i32 s4, 0x80
	v_cmp_eq_u16_sdwa s[12:13], v5, s4 src0_sel:BYTE_3 src1_sel:DWORD
	s_mov_b64 s[4:5], -1
                                        ; implicit-def: $sgpr10
	s_and_saveexec_b64 s[8:9], s[12:13]
; %bb.2302:
	s_mov_b32 s10, 0x7f800001
	s_xor_b64 s[4:5], exec, -1
; %bb.2303:
	s_or_b64 exec, exec, s[8:9]
	s_and_b64 s[4:5], s[4:5], exec
	s_or_saveexec_b64 s[6:7], s[6:7]
	v_mov_b32_e32 v3, s10
	s_xor_b64 exec, exec, s[6:7]
	s_cbranch_execz .LBB40_254
.LBB40_2304:
	v_mov_b32_e32 v3, 0
	v_cmp_ne_u16_sdwa s[8:9], v5, v3 src0_sel:BYTE_3 src1_sel:DWORD
	s_andn2_b64 s[4:5], s[4:5], exec
	s_and_b64 s[8:9], s[8:9], exec
	s_or_b64 s[4:5], s[4:5], s[8:9]
	s_or_b64 exec, exec, s[6:7]
	s_and_saveexec_b64 s[6:7], s[4:5]
	s_cbranch_execnz .LBB40_255
	s_branch .LBB40_256
.LBB40_2305:
	s_movk_i32 s4, 0x80
	v_cmp_eq_u16_sdwa s[12:13], v14, s4 src0_sel:BYTE_0 src1_sel:DWORD
	s_mov_b64 s[4:5], -1
                                        ; implicit-def: $sgpr10
	s_and_saveexec_b64 s[8:9], s[12:13]
; %bb.2306:
	s_mov_b32 s10, 0x7f800001
	s_xor_b64 s[4:5], exec, -1
; %bb.2307:
	s_or_b64 exec, exec, s[8:9]
	s_and_b64 s[4:5], s[4:5], exec
	s_or_saveexec_b64 s[6:7], s[6:7]
	v_mov_b32_e32 v20, s10
	s_xor_b64 exec, exec, s[6:7]
	s_cbranch_execz .LBB40_258
.LBB40_2308:
	v_mov_b32_e32 v20, 0
	v_cmp_ne_u16_sdwa s[8:9], v14, v20 src0_sel:BYTE_0 src1_sel:DWORD
	s_andn2_b64 s[4:5], s[4:5], exec
	s_and_b64 s[8:9], s[8:9], exec
	s_or_b64 s[4:5], s[4:5], s[8:9]
	s_or_b64 exec, exec, s[6:7]
	s_and_saveexec_b64 s[6:7], s[4:5]
	s_cbranch_execnz .LBB40_259
	s_branch .LBB40_260
.LBB40_2309:
	s_movk_i32 s4, 0x80
	v_cmp_eq_u16_sdwa s[12:13], v10, s4 src0_sel:BYTE_0 src1_sel:DWORD
	s_mov_b64 s[4:5], -1
                                        ; implicit-def: $sgpr10
	s_and_saveexec_b64 s[8:9], s[12:13]
; %bb.2310:
	s_mov_b32 s10, 0x7f800001
	s_xor_b64 s[4:5], exec, -1
; %bb.2311:
	s_or_b64 exec, exec, s[8:9]
	s_and_b64 s[4:5], s[4:5], exec
	s_or_saveexec_b64 s[6:7], s[6:7]
	v_mov_b32_e32 v21, s10
	s_xor_b64 exec, exec, s[6:7]
	s_cbranch_execz .LBB40_262
.LBB40_2312:
	v_mov_b32_e32 v21, 0
	v_cmp_ne_u16_sdwa s[8:9], v10, v21 src0_sel:BYTE_0 src1_sel:DWORD
	s_andn2_b64 s[4:5], s[4:5], exec
	s_and_b64 s[8:9], s[8:9], exec
	s_or_b64 s[4:5], s[4:5], s[8:9]
	s_or_b64 exec, exec, s[6:7]
	s_and_saveexec_b64 s[6:7], s[4:5]
	s_cbranch_execnz .LBB40_263
	s_branch .LBB40_264
.LBB40_2313:
	s_movk_i32 s4, 0x80
	v_cmp_eq_u16_sdwa s[12:13], v21, s4 src0_sel:BYTE_0 src1_sel:DWORD
	s_mov_b64 s[4:5], -1
                                        ; implicit-def: $sgpr10
	s_and_saveexec_b64 s[8:9], s[12:13]
; %bb.2314:
	s_mov_b32 s10, 0x7f800001
	s_xor_b64 s[4:5], exec, -1
; %bb.2315:
	s_or_b64 exec, exec, s[8:9]
	s_and_b64 s[4:5], s[4:5], exec
	s_or_saveexec_b64 s[6:7], s[6:7]
	v_mov_b32_e32 v20, s10
	s_xor_b64 exec, exec, s[6:7]
	s_cbranch_execz .LBB40_266
.LBB40_2316:
	v_mov_b32_e32 v20, 0
	v_cmp_ne_u16_sdwa s[8:9], v21, v20 src0_sel:BYTE_0 src1_sel:DWORD
	s_andn2_b64 s[4:5], s[4:5], exec
	s_and_b64 s[8:9], s[8:9], exec
	s_or_b64 s[4:5], s[4:5], s[8:9]
	s_or_b64 exec, exec, s[6:7]
	s_and_saveexec_b64 s[6:7], s[4:5]
	s_cbranch_execnz .LBB40_267
	s_branch .LBB40_268
.LBB40_2317:
	s_movk_i32 s4, 0x80
	v_cmp_eq_u16_sdwa s[12:13], v21, s4 src0_sel:BYTE_0 src1_sel:DWORD
	s_mov_b64 s[4:5], -1
                                        ; implicit-def: $sgpr10
	s_and_saveexec_b64 s[8:9], s[12:13]
; %bb.2318:
	s_mov_b32 s10, 0x7f800001
	s_xor_b64 s[4:5], exec, -1
; %bb.2319:
	s_or_b64 exec, exec, s[8:9]
	s_and_b64 s[4:5], s[4:5], exec
	s_or_saveexec_b64 s[6:7], s[6:7]
	v_mov_b32_e32 v22, s10
	s_xor_b64 exec, exec, s[6:7]
	s_cbranch_execz .LBB40_270
.LBB40_2320:
	v_mov_b32_e32 v22, 0
	v_cmp_ne_u16_sdwa s[8:9], v21, v22 src0_sel:BYTE_0 src1_sel:DWORD
	s_andn2_b64 s[4:5], s[4:5], exec
	s_and_b64 s[8:9], s[8:9], exec
	s_or_b64 s[4:5], s[4:5], s[8:9]
	s_or_b64 exec, exec, s[6:7]
	s_and_saveexec_b64 s[6:7], s[4:5]
	s_cbranch_execnz .LBB40_271
	s_branch .LBB40_272
.LBB40_2321:
	s_movk_i32 s4, 0x80
	v_cmp_eq_u16_e32 vcc, s4, v21
	s_mov_b64 s[4:5], -1
                                        ; implicit-def: $sgpr10
	s_and_saveexec_b64 s[8:9], vcc
; %bb.2322:
	s_mov_b32 s10, 0x7f800001
	s_xor_b64 s[4:5], exec, -1
; %bb.2323:
	s_or_b64 exec, exec, s[8:9]
	s_and_b64 s[4:5], s[4:5], exec
                                        ; implicit-def: $vgpr21
	s_or_saveexec_b64 s[6:7], s[6:7]
	v_mov_b32_e32 v20, s10
	s_xor_b64 exec, exec, s[6:7]
	s_cbranch_execz .LBB40_274
.LBB40_2324:
	v_cmp_ne_u16_e32 vcc, 0, v21
	s_andn2_b64 s[4:5], s[4:5], exec
	s_and_b64 s[8:9], vcc, exec
	v_mov_b32_e32 v20, 0
	s_or_b64 s[4:5], s[4:5], s[8:9]
	s_or_b64 exec, exec, s[6:7]
	s_and_saveexec_b64 s[6:7], s[4:5]
	s_cbranch_execnz .LBB40_275
	s_branch .LBB40_276
.LBB40_2325:
	s_movk_i32 s4, 0x80
	v_cmp_eq_u16_e32 vcc, s4, v21
	s_mov_b64 s[4:5], -1
                                        ; implicit-def: $sgpr10
	s_and_saveexec_b64 s[8:9], vcc
; %bb.2326:
	s_mov_b32 s10, 0x7f800001
	s_xor_b64 s[4:5], exec, -1
; %bb.2327:
	s_or_b64 exec, exec, s[8:9]
	s_and_b64 s[4:5], s[4:5], exec
                                        ; implicit-def: $vgpr21
	s_or_saveexec_b64 s[6:7], s[6:7]
	v_mov_b32_e32 v22, s10
	s_xor_b64 exec, exec, s[6:7]
	s_cbranch_execz .LBB40_278
.LBB40_2328:
	v_cmp_ne_u16_e32 vcc, 0, v21
	s_andn2_b64 s[4:5], s[4:5], exec
	s_and_b64 s[8:9], vcc, exec
	v_mov_b32_e32 v22, 0
	s_or_b64 s[4:5], s[4:5], s[8:9]
	s_or_b64 exec, exec, s[6:7]
	s_and_saveexec_b64 s[6:7], s[4:5]
	s_cbranch_execnz .LBB40_279
	s_branch .LBB40_280
.LBB40_2329:
	s_movk_i32 s4, 0x80
	v_cmp_eq_u16_sdwa s[12:13], v14, s4 src0_sel:BYTE_3 src1_sel:DWORD
	s_mov_b64 s[4:5], -1
                                        ; implicit-def: $sgpr10
	s_and_saveexec_b64 s[8:9], s[12:13]
; %bb.2330:
	s_mov_b32 s10, 0x7f800001
	s_xor_b64 s[4:5], exec, -1
; %bb.2331:
	s_or_b64 exec, exec, s[8:9]
	s_and_b64 s[4:5], s[4:5], exec
	s_or_saveexec_b64 s[6:7], s[6:7]
	v_mov_b32_e32 v20, s10
	s_xor_b64 exec, exec, s[6:7]
	s_cbranch_execz .LBB40_282
.LBB40_2332:
	v_mov_b32_e32 v20, 0
	v_cmp_ne_u16_sdwa s[8:9], v14, v20 src0_sel:BYTE_3 src1_sel:DWORD
	s_andn2_b64 s[4:5], s[4:5], exec
	s_and_b64 s[8:9], s[8:9], exec
	s_or_b64 s[4:5], s[4:5], s[8:9]
	s_or_b64 exec, exec, s[6:7]
	s_and_saveexec_b64 s[6:7], s[4:5]
	s_cbranch_execnz .LBB40_283
	s_branch .LBB40_284
.LBB40_2333:
	s_movk_i32 s4, 0x80
	v_cmp_eq_u16_sdwa s[12:13], v10, s4 src0_sel:BYTE_3 src1_sel:DWORD
	s_mov_b64 s[4:5], -1
                                        ; implicit-def: $sgpr10
	s_and_saveexec_b64 s[8:9], s[12:13]
; %bb.2334:
	s_mov_b32 s10, 0x7f800001
	s_xor_b64 s[4:5], exec, -1
; %bb.2335:
	s_or_b64 exec, exec, s[8:9]
	s_and_b64 s[4:5], s[4:5], exec
	s_or_saveexec_b64 s[6:7], s[6:7]
	v_mov_b32_e32 v14, s10
	s_xor_b64 exec, exec, s[6:7]
	s_cbranch_execz .LBB40_286
.LBB40_2336:
	v_mov_b32_e32 v14, 0
	v_cmp_ne_u16_sdwa s[8:9], v10, v14 src0_sel:BYTE_3 src1_sel:DWORD
	s_andn2_b64 s[4:5], s[4:5], exec
	s_and_b64 s[8:9], s[8:9], exec
	s_or_b64 s[4:5], s[4:5], s[8:9]
	s_or_b64 exec, exec, s[6:7]
	s_and_saveexec_b64 s[6:7], s[4:5]
	s_cbranch_execnz .LBB40_287
	s_branch .LBB40_288
.LBB40_2337:
	s_movk_i32 s4, 0x80
	v_cmp_eq_u16_sdwa s[12:13], v15, s4 src0_sel:BYTE_0 src1_sel:DWORD
	s_mov_b64 s[4:5], -1
                                        ; implicit-def: $sgpr10
	s_and_saveexec_b64 s[8:9], s[12:13]
; %bb.2338:
	s_mov_b32 s10, 0x7f800001
	s_xor_b64 s[4:5], exec, -1
; %bb.2339:
	s_or_b64 exec, exec, s[8:9]
	s_and_b64 s[4:5], s[4:5], exec
	s_or_saveexec_b64 s[6:7], s[6:7]
	v_mov_b32_e32 v10, s10
	s_xor_b64 exec, exec, s[6:7]
	s_cbranch_execz .LBB40_290
.LBB40_2340:
	v_mov_b32_e32 v10, 0
	v_cmp_ne_u16_sdwa s[8:9], v15, v10 src0_sel:BYTE_0 src1_sel:DWORD
	s_andn2_b64 s[4:5], s[4:5], exec
	s_and_b64 s[8:9], s[8:9], exec
	s_or_b64 s[4:5], s[4:5], s[8:9]
	s_or_b64 exec, exec, s[6:7]
	s_and_saveexec_b64 s[6:7], s[4:5]
	s_cbranch_execnz .LBB40_291
	s_branch .LBB40_292
.LBB40_2341:
	s_movk_i32 s4, 0x80
	v_cmp_eq_u16_sdwa s[12:13], v11, s4 src0_sel:BYTE_0 src1_sel:DWORD
	s_mov_b64 s[4:5], -1
                                        ; implicit-def: $sgpr10
	s_and_saveexec_b64 s[8:9], s[12:13]
; %bb.2342:
	s_mov_b32 s10, 0x7f800001
	s_xor_b64 s[4:5], exec, -1
; %bb.2343:
	s_or_b64 exec, exec, s[8:9]
	s_and_b64 s[4:5], s[4:5], exec
	s_or_saveexec_b64 s[6:7], s[6:7]
	v_mov_b32_e32 v14, s10
	s_xor_b64 exec, exec, s[6:7]
	s_cbranch_execz .LBB40_294
.LBB40_2344:
	v_mov_b32_e32 v14, 0
	v_cmp_ne_u16_sdwa s[8:9], v11, v14 src0_sel:BYTE_0 src1_sel:DWORD
	s_andn2_b64 s[4:5], s[4:5], exec
	s_and_b64 s[8:9], s[8:9], exec
	s_or_b64 s[4:5], s[4:5], s[8:9]
	s_or_b64 exec, exec, s[6:7]
	s_and_saveexec_b64 s[6:7], s[4:5]
	s_cbranch_execnz .LBB40_295
	s_branch .LBB40_296
.LBB40_2345:
	s_movk_i32 s4, 0x80
	v_cmp_eq_u16_sdwa s[12:13], v14, s4 src0_sel:BYTE_0 src1_sel:DWORD
	s_mov_b64 s[4:5], -1
                                        ; implicit-def: $sgpr10
	s_and_saveexec_b64 s[8:9], s[12:13]
; %bb.2346:
	s_mov_b32 s10, 0x7f800001
	s_xor_b64 s[4:5], exec, -1
; %bb.2347:
	s_or_b64 exec, exec, s[8:9]
	s_and_b64 s[4:5], s[4:5], exec
	s_or_saveexec_b64 s[6:7], s[6:7]
	v_mov_b32_e32 v10, s10
	s_xor_b64 exec, exec, s[6:7]
	s_cbranch_execz .LBB40_298
.LBB40_2348:
	v_mov_b32_e32 v10, 0
	v_cmp_ne_u16_sdwa s[8:9], v14, v10 src0_sel:BYTE_0 src1_sel:DWORD
	s_andn2_b64 s[4:5], s[4:5], exec
	s_and_b64 s[8:9], s[8:9], exec
	s_or_b64 s[4:5], s[4:5], s[8:9]
	s_or_b64 exec, exec, s[6:7]
	s_and_saveexec_b64 s[6:7], s[4:5]
	s_cbranch_execnz .LBB40_299
	s_branch .LBB40_300
.LBB40_2349:
	s_movk_i32 s4, 0x80
	v_cmp_eq_u16_sdwa s[12:13], v14, s4 src0_sel:BYTE_0 src1_sel:DWORD
	s_mov_b64 s[4:5], -1
                                        ; implicit-def: $sgpr10
	s_and_saveexec_b64 s[8:9], s[12:13]
; %bb.2350:
	s_mov_b32 s10, 0x7f800001
	s_xor_b64 s[4:5], exec, -1
; %bb.2351:
	s_or_b64 exec, exec, s[8:9]
	s_and_b64 s[4:5], s[4:5], exec
	s_or_saveexec_b64 s[6:7], s[6:7]
	v_mov_b32_e32 v20, s10
	s_xor_b64 exec, exec, s[6:7]
	s_cbranch_execz .LBB40_302
.LBB40_2352:
	v_mov_b32_e32 v20, 0
	v_cmp_ne_u16_sdwa s[8:9], v14, v20 src0_sel:BYTE_0 src1_sel:DWORD
	s_andn2_b64 s[4:5], s[4:5], exec
	s_and_b64 s[8:9], s[8:9], exec
	s_or_b64 s[4:5], s[4:5], s[8:9]
	s_or_b64 exec, exec, s[6:7]
	s_and_saveexec_b64 s[6:7], s[4:5]
	s_cbranch_execnz .LBB40_303
	s_branch .LBB40_304
.LBB40_2353:
	s_movk_i32 s4, 0x80
	v_cmp_eq_u16_e32 vcc, s4, v14
	s_mov_b64 s[4:5], -1
                                        ; implicit-def: $sgpr10
	s_and_saveexec_b64 s[8:9], vcc
; %bb.2354:
	s_mov_b32 s10, 0x7f800001
	s_xor_b64 s[4:5], exec, -1
; %bb.2355:
	s_or_b64 exec, exec, s[8:9]
	s_and_b64 s[4:5], s[4:5], exec
                                        ; implicit-def: $vgpr14
	s_or_saveexec_b64 s[6:7], s[6:7]
	v_mov_b32_e32 v10, s10
	s_xor_b64 exec, exec, s[6:7]
	s_cbranch_execz .LBB40_306
.LBB40_2356:
	v_cmp_ne_u16_e32 vcc, 0, v14
	s_andn2_b64 s[4:5], s[4:5], exec
	s_and_b64 s[8:9], vcc, exec
	v_mov_b32_e32 v10, 0
	s_or_b64 s[4:5], s[4:5], s[8:9]
	s_or_b64 exec, exec, s[6:7]
	s_and_saveexec_b64 s[6:7], s[4:5]
	s_cbranch_execnz .LBB40_307
	s_branch .LBB40_308
.LBB40_2357:
	s_movk_i32 s4, 0x80
	v_cmp_eq_u16_e32 vcc, s4, v14
	s_mov_b64 s[4:5], -1
                                        ; implicit-def: $sgpr10
	s_and_saveexec_b64 s[8:9], vcc
; %bb.2358:
	s_mov_b32 s10, 0x7f800001
	s_xor_b64 s[4:5], exec, -1
; %bb.2359:
	s_or_b64 exec, exec, s[8:9]
	s_and_b64 s[4:5], s[4:5], exec
                                        ; implicit-def: $vgpr14
	s_or_saveexec_b64 s[6:7], s[6:7]
	v_mov_b32_e32 v20, s10
	s_xor_b64 exec, exec, s[6:7]
	s_cbranch_execz .LBB40_310
.LBB40_2360:
	v_cmp_ne_u16_e32 vcc, 0, v14
	s_andn2_b64 s[4:5], s[4:5], exec
	s_and_b64 s[8:9], vcc, exec
	v_mov_b32_e32 v20, 0
	s_or_b64 s[4:5], s[4:5], s[8:9]
	s_or_b64 exec, exec, s[6:7]
	s_and_saveexec_b64 s[6:7], s[4:5]
	s_cbranch_execnz .LBB40_311
	s_branch .LBB40_312
.LBB40_2361:
	s_movk_i32 s4, 0x80
	v_cmp_eq_u16_sdwa s[12:13], v15, s4 src0_sel:BYTE_3 src1_sel:DWORD
	s_mov_b64 s[4:5], -1
                                        ; implicit-def: $sgpr10
	s_and_saveexec_b64 s[8:9], s[12:13]
; %bb.2362:
	s_mov_b32 s10, 0x7f800001
	s_xor_b64 s[4:5], exec, -1
; %bb.2363:
	s_or_b64 exec, exec, s[8:9]
	s_and_b64 s[4:5], s[4:5], exec
	s_or_saveexec_b64 s[6:7], s[6:7]
	v_mov_b32_e32 v10, s10
	s_xor_b64 exec, exec, s[6:7]
	s_cbranch_execz .LBB40_314
.LBB40_2364:
	v_mov_b32_e32 v10, 0
	v_cmp_ne_u16_sdwa s[8:9], v15, v10 src0_sel:BYTE_3 src1_sel:DWORD
	s_andn2_b64 s[4:5], s[4:5], exec
	s_and_b64 s[8:9], s[8:9], exec
	s_or_b64 s[4:5], s[4:5], s[8:9]
	s_or_b64 exec, exec, s[6:7]
	s_and_saveexec_b64 s[6:7], s[4:5]
	s_cbranch_execnz .LBB40_315
	s_branch .LBB40_316
.LBB40_2365:
	s_movk_i32 s4, 0x80
	v_cmp_eq_u16_sdwa s[12:13], v11, s4 src0_sel:BYTE_3 src1_sel:DWORD
	s_mov_b64 s[4:5], -1
                                        ; implicit-def: $sgpr10
	s_and_saveexec_b64 s[8:9], s[12:13]
; %bb.2366:
	s_mov_b32 s10, 0x7f800001
	s_xor_b64 s[4:5], exec, -1
; %bb.2367:
	s_or_b64 exec, exec, s[8:9]
	s_and_b64 s[4:5], s[4:5], exec
	s_or_saveexec_b64 s[6:7], s[6:7]
	v_mov_b32_e32 v14, s10
	s_xor_b64 exec, exec, s[6:7]
	s_cbranch_execz .LBB40_318
.LBB40_2368:
	v_mov_b32_e32 v14, 0
	v_cmp_ne_u16_sdwa s[8:9], v11, v14 src0_sel:BYTE_3 src1_sel:DWORD
	s_andn2_b64 s[4:5], s[4:5], exec
	s_and_b64 s[8:9], s[8:9], exec
	s_or_b64 s[4:5], s[4:5], s[8:9]
	s_or_b64 exec, exec, s[6:7]
	s_and_saveexec_b64 s[6:7], s[4:5]
	s_cbranch_execnz .LBB40_319
	s_branch .LBB40_320
.LBB40_2369:
	s_movk_i32 s4, 0x80
	v_cmp_eq_u16_sdwa s[12:13], v16, s4 src0_sel:BYTE_0 src1_sel:DWORD
	s_mov_b64 s[4:5], -1
                                        ; implicit-def: $sgpr10
	s_and_saveexec_b64 s[8:9], s[12:13]
; %bb.2370:
	s_mov_b32 s10, 0x7f800001
	s_xor_b64 s[4:5], exec, -1
; %bb.2371:
	s_or_b64 exec, exec, s[8:9]
	s_and_b64 s[4:5], s[4:5], exec
	s_or_saveexec_b64 s[6:7], s[6:7]
	v_mov_b32_e32 v10, s10
	s_xor_b64 exec, exec, s[6:7]
	s_cbranch_execz .LBB40_322
.LBB40_2372:
	v_mov_b32_e32 v10, 0
	v_cmp_ne_u16_sdwa s[8:9], v16, v10 src0_sel:BYTE_0 src1_sel:DWORD
	s_andn2_b64 s[4:5], s[4:5], exec
	s_and_b64 s[8:9], s[8:9], exec
	s_or_b64 s[4:5], s[4:5], s[8:9]
	s_or_b64 exec, exec, s[6:7]
	s_and_saveexec_b64 s[6:7], s[4:5]
	s_cbranch_execnz .LBB40_323
	s_branch .LBB40_324
.LBB40_2373:
	s_movk_i32 s4, 0x80
	v_cmp_eq_u16_sdwa s[12:13], v12, s4 src0_sel:BYTE_0 src1_sel:DWORD
	s_mov_b64 s[4:5], -1
                                        ; implicit-def: $sgpr10
	s_and_saveexec_b64 s[8:9], s[12:13]
; %bb.2374:
	s_mov_b32 s10, 0x7f800001
	s_xor_b64 s[4:5], exec, -1
; %bb.2375:
	s_or_b64 exec, exec, s[8:9]
	s_and_b64 s[4:5], s[4:5], exec
	s_or_saveexec_b64 s[6:7], s[6:7]
	v_mov_b32_e32 v11, s10
	s_xor_b64 exec, exec, s[6:7]
	s_cbranch_execz .LBB40_326
.LBB40_2376:
	v_mov_b32_e32 v11, 0
	v_cmp_ne_u16_sdwa s[8:9], v12, v11 src0_sel:BYTE_0 src1_sel:DWORD
	s_andn2_b64 s[4:5], s[4:5], exec
	s_and_b64 s[8:9], s[8:9], exec
	s_or_b64 s[4:5], s[4:5], s[8:9]
	s_or_b64 exec, exec, s[6:7]
	s_and_saveexec_b64 s[6:7], s[4:5]
	s_cbranch_execnz .LBB40_327
	s_branch .LBB40_328
.LBB40_2377:
	s_movk_i32 s4, 0x80
	v_cmp_eq_u16_sdwa s[12:13], v11, s4 src0_sel:BYTE_0 src1_sel:DWORD
	s_mov_b64 s[4:5], -1
                                        ; implicit-def: $sgpr10
	s_and_saveexec_b64 s[8:9], s[12:13]
; %bb.2378:
	s_mov_b32 s10, 0x7f800001
	s_xor_b64 s[4:5], exec, -1
; %bb.2379:
	s_or_b64 exec, exec, s[8:9]
	s_and_b64 s[4:5], s[4:5], exec
	s_or_saveexec_b64 s[6:7], s[6:7]
	v_mov_b32_e32 v10, s10
	s_xor_b64 exec, exec, s[6:7]
	s_cbranch_execz .LBB40_330
.LBB40_2380:
	v_mov_b32_e32 v10, 0
	v_cmp_ne_u16_sdwa s[8:9], v11, v10 src0_sel:BYTE_0 src1_sel:DWORD
	s_andn2_b64 s[4:5], s[4:5], exec
	s_and_b64 s[8:9], s[8:9], exec
	s_or_b64 s[4:5], s[4:5], s[8:9]
	s_or_b64 exec, exec, s[6:7]
	s_and_saveexec_b64 s[6:7], s[4:5]
	s_cbranch_execnz .LBB40_331
	s_branch .LBB40_332
.LBB40_2381:
	s_movk_i32 s4, 0x80
	v_cmp_eq_u16_sdwa s[12:13], v11, s4 src0_sel:BYTE_0 src1_sel:DWORD
	s_mov_b64 s[4:5], -1
                                        ; implicit-def: $sgpr10
	s_and_saveexec_b64 s[8:9], s[12:13]
; %bb.2382:
	s_mov_b32 s10, 0x7f800001
	s_xor_b64 s[4:5], exec, -1
; %bb.2383:
	s_or_b64 exec, exec, s[8:9]
	s_and_b64 s[4:5], s[4:5], exec
	s_or_saveexec_b64 s[6:7], s[6:7]
	v_mov_b32_e32 v14, s10
	s_xor_b64 exec, exec, s[6:7]
	s_cbranch_execz .LBB40_334
.LBB40_2384:
	v_mov_b32_e32 v14, 0
	v_cmp_ne_u16_sdwa s[8:9], v11, v14 src0_sel:BYTE_0 src1_sel:DWORD
	s_andn2_b64 s[4:5], s[4:5], exec
	s_and_b64 s[8:9], s[8:9], exec
	s_or_b64 s[4:5], s[4:5], s[8:9]
	s_or_b64 exec, exec, s[6:7]
	s_and_saveexec_b64 s[6:7], s[4:5]
	s_cbranch_execnz .LBB40_335
	s_branch .LBB40_336
.LBB40_2385:
	s_movk_i32 s4, 0x80
	v_cmp_eq_u16_e32 vcc, s4, v11
	s_mov_b64 s[4:5], -1
                                        ; implicit-def: $sgpr10
	s_and_saveexec_b64 s[8:9], vcc
; %bb.2386:
	s_mov_b32 s10, 0x7f800001
	s_xor_b64 s[4:5], exec, -1
; %bb.2387:
	s_or_b64 exec, exec, s[8:9]
	s_and_b64 s[4:5], s[4:5], exec
                                        ; implicit-def: $vgpr11
	s_or_saveexec_b64 s[6:7], s[6:7]
	v_mov_b32_e32 v10, s10
	s_xor_b64 exec, exec, s[6:7]
	s_cbranch_execz .LBB40_338
.LBB40_2388:
	v_cmp_ne_u16_e32 vcc, 0, v11
	s_andn2_b64 s[4:5], s[4:5], exec
	s_and_b64 s[8:9], vcc, exec
	v_mov_b32_e32 v10, 0
	s_or_b64 s[4:5], s[4:5], s[8:9]
	s_or_b64 exec, exec, s[6:7]
	s_and_saveexec_b64 s[6:7], s[4:5]
	s_cbranch_execnz .LBB40_339
	s_branch .LBB40_340
.LBB40_2389:
	s_movk_i32 s4, 0x80
	v_cmp_eq_u16_e32 vcc, s4, v11
	s_mov_b64 s[4:5], -1
                                        ; implicit-def: $sgpr10
	s_and_saveexec_b64 s[8:9], vcc
; %bb.2390:
	s_mov_b32 s10, 0x7f800001
	s_xor_b64 s[4:5], exec, -1
; %bb.2391:
	s_or_b64 exec, exec, s[8:9]
	s_and_b64 s[4:5], s[4:5], exec
                                        ; implicit-def: $vgpr11
	s_or_saveexec_b64 s[6:7], s[6:7]
	v_mov_b32_e32 v14, s10
	s_xor_b64 exec, exec, s[6:7]
	s_cbranch_execz .LBB40_342
.LBB40_2392:
	v_cmp_ne_u16_e32 vcc, 0, v11
	s_andn2_b64 s[4:5], s[4:5], exec
	s_and_b64 s[8:9], vcc, exec
	v_mov_b32_e32 v14, 0
	s_or_b64 s[4:5], s[4:5], s[8:9]
	s_or_b64 exec, exec, s[6:7]
	s_and_saveexec_b64 s[6:7], s[4:5]
	s_cbranch_execnz .LBB40_343
	s_branch .LBB40_344
.LBB40_2393:
	s_movk_i32 s4, 0x80
	v_cmp_eq_u16_sdwa s[12:13], v16, s4 src0_sel:BYTE_3 src1_sel:DWORD
	s_mov_b64 s[4:5], -1
                                        ; implicit-def: $sgpr10
	s_and_saveexec_b64 s[8:9], s[12:13]
; %bb.2394:
	s_mov_b32 s10, 0x7f800001
	s_xor_b64 s[4:5], exec, -1
; %bb.2395:
	s_or_b64 exec, exec, s[8:9]
	s_and_b64 s[4:5], s[4:5], exec
	s_or_saveexec_b64 s[6:7], s[6:7]
	v_mov_b32_e32 v10, s10
	s_xor_b64 exec, exec, s[6:7]
	s_cbranch_execz .LBB40_346
.LBB40_2396:
	v_mov_b32_e32 v10, 0
	v_cmp_ne_u16_sdwa s[8:9], v16, v10 src0_sel:BYTE_3 src1_sel:DWORD
	s_andn2_b64 s[4:5], s[4:5], exec
	s_and_b64 s[8:9], s[8:9], exec
	s_or_b64 s[4:5], s[4:5], s[8:9]
	s_or_b64 exec, exec, s[6:7]
	s_and_saveexec_b64 s[6:7], s[4:5]
	s_cbranch_execnz .LBB40_347
	s_branch .LBB40_348
.LBB40_2397:
	s_movk_i32 s4, 0x80
	v_cmp_eq_u16_sdwa s[12:13], v12, s4 src0_sel:BYTE_3 src1_sel:DWORD
	s_mov_b64 s[4:5], -1
                                        ; implicit-def: $sgpr10
	s_and_saveexec_b64 s[8:9], s[12:13]
; %bb.2398:
	s_mov_b32 s10, 0x7f800001
	s_xor_b64 s[4:5], exec, -1
; %bb.2399:
	s_or_b64 exec, exec, s[8:9]
	s_and_b64 s[4:5], s[4:5], exec
	s_or_saveexec_b64 s[6:7], s[6:7]
	v_mov_b32_e32 v11, s10
	s_xor_b64 exec, exec, s[6:7]
	s_cbranch_execz .LBB40_350
.LBB40_2400:
	v_mov_b32_e32 v11, 0
	v_cmp_ne_u16_sdwa s[8:9], v12, v11 src0_sel:BYTE_3 src1_sel:DWORD
	s_andn2_b64 s[4:5], s[4:5], exec
	s_and_b64 s[8:9], s[8:9], exec
	s_or_b64 s[4:5], s[4:5], s[8:9]
	s_or_b64 exec, exec, s[6:7]
	s_and_saveexec_b64 s[6:7], s[4:5]
	s_cbranch_execnz .LBB40_351
	s_branch .LBB40_352
.LBB40_2401:
	s_movk_i32 s4, 0x80
	v_cmp_eq_u16_sdwa s[12:13], v17, s4 src0_sel:BYTE_0 src1_sel:DWORD
	s_mov_b64 s[4:5], -1
                                        ; implicit-def: $sgpr10
	s_and_saveexec_b64 s[8:9], s[12:13]
; %bb.2402:
	s_mov_b32 s10, 0x7f800001
	s_xor_b64 s[4:5], exec, -1
; %bb.2403:
	s_or_b64 exec, exec, s[8:9]
	s_and_b64 s[4:5], s[4:5], exec
	s_or_saveexec_b64 s[6:7], s[6:7]
	v_mov_b32_e32 v10, s10
	s_xor_b64 exec, exec, s[6:7]
	s_cbranch_execz .LBB40_354
.LBB40_2404:
	v_mov_b32_e32 v10, 0
	v_cmp_ne_u16_sdwa s[8:9], v17, v10 src0_sel:BYTE_0 src1_sel:DWORD
	s_andn2_b64 s[4:5], s[4:5], exec
	s_and_b64 s[8:9], s[8:9], exec
	s_or_b64 s[4:5], s[4:5], s[8:9]
	s_or_b64 exec, exec, s[6:7]
	s_and_saveexec_b64 s[6:7], s[4:5]
	s_cbranch_execnz .LBB40_355
	s_branch .LBB40_356
.LBB40_2405:
	s_movk_i32 s4, 0x80
	v_cmp_eq_u16_sdwa s[12:13], v13, s4 src0_sel:BYTE_0 src1_sel:DWORD
	s_mov_b64 s[4:5], -1
                                        ; implicit-def: $sgpr10
	s_and_saveexec_b64 s[8:9], s[12:13]
; %bb.2406:
	s_mov_b32 s10, 0x7f800001
	s_xor_b64 s[4:5], exec, -1
; %bb.2407:
	s_or_b64 exec, exec, s[8:9]
	s_and_b64 s[4:5], s[4:5], exec
	s_or_saveexec_b64 s[6:7], s[6:7]
	v_mov_b32_e32 v11, s10
	s_xor_b64 exec, exec, s[6:7]
	s_cbranch_execz .LBB40_358
.LBB40_2408:
	v_mov_b32_e32 v11, 0
	v_cmp_ne_u16_sdwa s[8:9], v13, v11 src0_sel:BYTE_0 src1_sel:DWORD
	s_andn2_b64 s[4:5], s[4:5], exec
	s_and_b64 s[8:9], s[8:9], exec
	s_or_b64 s[4:5], s[4:5], s[8:9]
	s_or_b64 exec, exec, s[6:7]
	s_and_saveexec_b64 s[6:7], s[4:5]
	s_cbranch_execnz .LBB40_359
	s_branch .LBB40_360
.LBB40_2409:
	s_movk_i32 s4, 0x80
	v_cmp_eq_u16_sdwa s[12:13], v11, s4 src0_sel:BYTE_0 src1_sel:DWORD
	s_mov_b64 s[4:5], -1
                                        ; implicit-def: $sgpr10
	s_and_saveexec_b64 s[8:9], s[12:13]
; %bb.2410:
	s_mov_b32 s10, 0x7f800001
	s_xor_b64 s[4:5], exec, -1
; %bb.2411:
	s_or_b64 exec, exec, s[8:9]
	s_and_b64 s[4:5], s[4:5], exec
	s_or_saveexec_b64 s[6:7], s[6:7]
	v_mov_b32_e32 v10, s10
	s_xor_b64 exec, exec, s[6:7]
	s_cbranch_execz .LBB40_362
.LBB40_2412:
	v_mov_b32_e32 v10, 0
	v_cmp_ne_u16_sdwa s[8:9], v11, v10 src0_sel:BYTE_0 src1_sel:DWORD
	s_andn2_b64 s[4:5], s[4:5], exec
	s_and_b64 s[8:9], s[8:9], exec
	s_or_b64 s[4:5], s[4:5], s[8:9]
	s_or_b64 exec, exec, s[6:7]
	s_and_saveexec_b64 s[6:7], s[4:5]
	s_cbranch_execnz .LBB40_363
	s_branch .LBB40_364
.LBB40_2413:
	s_movk_i32 s4, 0x80
	v_cmp_eq_u16_sdwa s[12:13], v11, s4 src0_sel:BYTE_0 src1_sel:DWORD
	s_mov_b64 s[4:5], -1
                                        ; implicit-def: $sgpr10
	s_and_saveexec_b64 s[8:9], s[12:13]
; %bb.2414:
	s_mov_b32 s10, 0x7f800001
	s_xor_b64 s[4:5], exec, -1
; %bb.2415:
	s_or_b64 exec, exec, s[8:9]
	s_and_b64 s[4:5], s[4:5], exec
	s_or_saveexec_b64 s[6:7], s[6:7]
	v_mov_b32_e32 v12, s10
	s_xor_b64 exec, exec, s[6:7]
	s_cbranch_execz .LBB40_366
.LBB40_2416:
	v_mov_b32_e32 v12, 0
	v_cmp_ne_u16_sdwa s[8:9], v11, v12 src0_sel:BYTE_0 src1_sel:DWORD
	s_andn2_b64 s[4:5], s[4:5], exec
	s_and_b64 s[8:9], s[8:9], exec
	s_or_b64 s[4:5], s[4:5], s[8:9]
	s_or_b64 exec, exec, s[6:7]
	s_and_saveexec_b64 s[6:7], s[4:5]
	s_cbranch_execnz .LBB40_367
	s_branch .LBB40_368
.LBB40_2417:
	s_movk_i32 s4, 0x80
	v_cmp_eq_u16_e32 vcc, s4, v11
	s_mov_b64 s[4:5], -1
                                        ; implicit-def: $sgpr10
	s_and_saveexec_b64 s[8:9], vcc
; %bb.2418:
	s_mov_b32 s10, 0x7f800001
	s_xor_b64 s[4:5], exec, -1
; %bb.2419:
	s_or_b64 exec, exec, s[8:9]
	s_and_b64 s[4:5], s[4:5], exec
                                        ; implicit-def: $vgpr11
	s_or_saveexec_b64 s[6:7], s[6:7]
	v_mov_b32_e32 v10, s10
	s_xor_b64 exec, exec, s[6:7]
	s_cbranch_execz .LBB40_370
.LBB40_2420:
	v_cmp_ne_u16_e32 vcc, 0, v11
	s_andn2_b64 s[4:5], s[4:5], exec
	s_and_b64 s[8:9], vcc, exec
	v_mov_b32_e32 v10, 0
	s_or_b64 s[4:5], s[4:5], s[8:9]
	s_or_b64 exec, exec, s[6:7]
	s_and_saveexec_b64 s[6:7], s[4:5]
	s_cbranch_execnz .LBB40_371
	s_branch .LBB40_372
.LBB40_2421:
	s_movk_i32 s4, 0x80
	v_cmp_eq_u16_e32 vcc, s4, v11
	s_mov_b64 s[4:5], -1
                                        ; implicit-def: $sgpr10
	s_and_saveexec_b64 s[8:9], vcc
; %bb.2422:
	s_mov_b32 s10, 0x7f800001
	s_xor_b64 s[4:5], exec, -1
; %bb.2423:
	s_or_b64 exec, exec, s[8:9]
	s_and_b64 s[4:5], s[4:5], exec
                                        ; implicit-def: $vgpr11
	s_or_saveexec_b64 s[6:7], s[6:7]
	v_mov_b32_e32 v12, s10
	s_xor_b64 exec, exec, s[6:7]
	s_cbranch_execz .LBB40_374
.LBB40_2424:
	v_cmp_ne_u16_e32 vcc, 0, v11
	s_andn2_b64 s[4:5], s[4:5], exec
	s_and_b64 s[8:9], vcc, exec
	v_mov_b32_e32 v12, 0
	s_or_b64 s[4:5], s[4:5], s[8:9]
	s_or_b64 exec, exec, s[6:7]
	s_and_saveexec_b64 s[6:7], s[4:5]
	s_cbranch_execnz .LBB40_375
	s_branch .LBB40_376
.LBB40_2425:
	s_movk_i32 s4, 0x80
	v_cmp_eq_u16_sdwa s[12:13], v17, s4 src0_sel:BYTE_3 src1_sel:DWORD
	s_mov_b64 s[4:5], -1
                                        ; implicit-def: $sgpr10
	s_and_saveexec_b64 s[8:9], s[12:13]
; %bb.2426:
	s_mov_b32 s10, 0x7f800001
	s_xor_b64 s[4:5], exec, -1
; %bb.2427:
	s_or_b64 exec, exec, s[8:9]
	s_and_b64 s[4:5], s[4:5], exec
	s_or_saveexec_b64 s[6:7], s[6:7]
	v_mov_b32_e32 v10, s10
	s_xor_b64 exec, exec, s[6:7]
	s_cbranch_execz .LBB40_378
.LBB40_2428:
	v_mov_b32_e32 v10, 0
	v_cmp_ne_u16_sdwa s[8:9], v17, v10 src0_sel:BYTE_3 src1_sel:DWORD
	s_andn2_b64 s[4:5], s[4:5], exec
	s_and_b64 s[8:9], s[8:9], exec
	s_or_b64 s[4:5], s[4:5], s[8:9]
	s_or_b64 exec, exec, s[6:7]
	s_and_saveexec_b64 s[6:7], s[4:5]
	s_cbranch_execnz .LBB40_379
	s_branch .LBB40_380
.LBB40_2429:
	s_movk_i32 s4, 0x80
	v_cmp_eq_u16_sdwa s[12:13], v13, s4 src0_sel:BYTE_3 src1_sel:DWORD
	s_mov_b64 s[4:5], -1
                                        ; implicit-def: $sgpr10
	s_and_saveexec_b64 s[8:9], s[12:13]
; %bb.2430:
	s_mov_b32 s10, 0x7f800001
	s_xor_b64 s[4:5], exec, -1
; %bb.2431:
	s_or_b64 exec, exec, s[8:9]
	s_and_b64 s[4:5], s[4:5], exec
	s_or_saveexec_b64 s[6:7], s[6:7]
	v_mov_b32_e32 v11, s10
	s_xor_b64 exec, exec, s[6:7]
	s_cbranch_execz .LBB40_382
.LBB40_2432:
	v_mov_b32_e32 v11, 0
	v_cmp_ne_u16_sdwa s[8:9], v13, v11 src0_sel:BYTE_3 src1_sel:DWORD
	s_andn2_b64 s[4:5], s[4:5], exec
	s_and_b64 s[8:9], s[8:9], exec
	s_or_b64 s[4:5], s[4:5], s[8:9]
	s_or_b64 exec, exec, s[6:7]
	s_and_saveexec_b64 s[6:7], s[4:5]
	s_cbranch_execnz .LBB40_383
	s_branch .LBB40_384
.LBB40_2433:
	s_movk_i32 s4, 0x80
	v_cmp_eq_u16_sdwa s[12:13], v6, s4 src0_sel:BYTE_0 src1_sel:DWORD
	s_mov_b64 s[4:5], -1
                                        ; implicit-def: $sgpr10
	s_and_saveexec_b64 s[8:9], s[12:13]
; %bb.2434:
	s_mov_b32 s10, 0x7f800001
	s_xor_b64 s[4:5], exec, -1
; %bb.2435:
	s_or_b64 exec, exec, s[8:9]
	s_and_b64 s[4:5], s[4:5], exec
	s_or_saveexec_b64 s[6:7], s[6:7]
	v_mov_b32_e32 v10, s10
	s_xor_b64 exec, exec, s[6:7]
	s_cbranch_execz .LBB40_386
.LBB40_2436:
	v_mov_b32_e32 v10, 0
	v_cmp_ne_u16_sdwa s[8:9], v6, v10 src0_sel:BYTE_0 src1_sel:DWORD
	s_andn2_b64 s[4:5], s[4:5], exec
	s_and_b64 s[8:9], s[8:9], exec
	s_or_b64 s[4:5], s[4:5], s[8:9]
	s_or_b64 exec, exec, s[6:7]
	s_and_saveexec_b64 s[6:7], s[4:5]
	s_cbranch_execnz .LBB40_387
	s_branch .LBB40_388
.LBB40_2437:
	s_movk_i32 s4, 0x80
	v_cmp_eq_u16_sdwa s[12:13], v2, s4 src0_sel:BYTE_0 src1_sel:DWORD
	s_mov_b64 s[4:5], -1
                                        ; implicit-def: $sgpr10
	s_and_saveexec_b64 s[8:9], s[12:13]
; %bb.2438:
	s_mov_b32 s10, 0x7f800001
	s_xor_b64 s[4:5], exec, -1
; %bb.2439:
	s_or_b64 exec, exec, s[8:9]
	s_and_b64 s[4:5], s[4:5], exec
	s_or_saveexec_b64 s[6:7], s[6:7]
	v_mov_b32_e32 v11, s10
	s_xor_b64 exec, exec, s[6:7]
	s_cbranch_execz .LBB40_390
.LBB40_2440:
	v_mov_b32_e32 v11, 0
	v_cmp_ne_u16_sdwa s[8:9], v2, v11 src0_sel:BYTE_0 src1_sel:DWORD
	s_andn2_b64 s[4:5], s[4:5], exec
	s_and_b64 s[8:9], s[8:9], exec
	s_or_b64 s[4:5], s[4:5], s[8:9]
	s_or_b64 exec, exec, s[6:7]
	s_and_saveexec_b64 s[6:7], s[4:5]
	s_cbranch_execnz .LBB40_391
	s_branch .LBB40_392
.LBB40_2441:
	s_movk_i32 s4, 0x80
	v_cmp_eq_u16_sdwa s[12:13], v11, s4 src0_sel:BYTE_0 src1_sel:DWORD
	s_mov_b64 s[4:5], -1
                                        ; implicit-def: $sgpr10
	s_and_saveexec_b64 s[8:9], s[12:13]
; %bb.2442:
	s_mov_b32 s10, 0x7f800001
	s_xor_b64 s[4:5], exec, -1
; %bb.2443:
	s_or_b64 exec, exec, s[8:9]
	s_and_b64 s[4:5], s[4:5], exec
	s_or_saveexec_b64 s[6:7], s[6:7]
	v_mov_b32_e32 v10, s10
	s_xor_b64 exec, exec, s[6:7]
	s_cbranch_execz .LBB40_394
.LBB40_2444:
	v_mov_b32_e32 v10, 0
	v_cmp_ne_u16_sdwa s[8:9], v11, v10 src0_sel:BYTE_0 src1_sel:DWORD
	s_andn2_b64 s[4:5], s[4:5], exec
	s_and_b64 s[8:9], s[8:9], exec
	s_or_b64 s[4:5], s[4:5], s[8:9]
	s_or_b64 exec, exec, s[6:7]
	s_and_saveexec_b64 s[6:7], s[4:5]
	s_cbranch_execnz .LBB40_395
	s_branch .LBB40_396
.LBB40_2445:
	s_movk_i32 s4, 0x80
	v_cmp_eq_u16_sdwa s[12:13], v11, s4 src0_sel:BYTE_0 src1_sel:DWORD
	s_mov_b64 s[4:5], -1
                                        ; implicit-def: $sgpr10
	s_and_saveexec_b64 s[8:9], s[12:13]
; %bb.2446:
	s_mov_b32 s10, 0x7f800001
	s_xor_b64 s[4:5], exec, -1
; %bb.2447:
	s_or_b64 exec, exec, s[8:9]
	s_and_b64 s[4:5], s[4:5], exec
	s_or_saveexec_b64 s[6:7], s[6:7]
	v_mov_b32_e32 v12, s10
	s_xor_b64 exec, exec, s[6:7]
	s_cbranch_execz .LBB40_398
.LBB40_2448:
	v_mov_b32_e32 v12, 0
	v_cmp_ne_u16_sdwa s[8:9], v11, v12 src0_sel:BYTE_0 src1_sel:DWORD
	s_andn2_b64 s[4:5], s[4:5], exec
	s_and_b64 s[8:9], s[8:9], exec
	s_or_b64 s[4:5], s[4:5], s[8:9]
	s_or_b64 exec, exec, s[6:7]
	s_and_saveexec_b64 s[6:7], s[4:5]
	s_cbranch_execnz .LBB40_399
	s_branch .LBB40_400
.LBB40_2449:
	s_movk_i32 s4, 0x80
	v_cmp_eq_u16_e32 vcc, s4, v11
	s_mov_b64 s[4:5], -1
                                        ; implicit-def: $sgpr10
	s_and_saveexec_b64 s[8:9], vcc
; %bb.2450:
	s_mov_b32 s10, 0x7f800001
	s_xor_b64 s[4:5], exec, -1
; %bb.2451:
	s_or_b64 exec, exec, s[8:9]
	s_and_b64 s[4:5], s[4:5], exec
                                        ; implicit-def: $vgpr11
	s_or_saveexec_b64 s[6:7], s[6:7]
	v_mov_b32_e32 v10, s10
	s_xor_b64 exec, exec, s[6:7]
	s_cbranch_execz .LBB40_402
.LBB40_2452:
	v_cmp_ne_u16_e32 vcc, 0, v11
	s_andn2_b64 s[4:5], s[4:5], exec
	s_and_b64 s[8:9], vcc, exec
	v_mov_b32_e32 v10, 0
	s_or_b64 s[4:5], s[4:5], s[8:9]
	s_or_b64 exec, exec, s[6:7]
	s_and_saveexec_b64 s[6:7], s[4:5]
	s_cbranch_execnz .LBB40_403
	s_branch .LBB40_404
.LBB40_2453:
	s_movk_i32 s4, 0x80
	v_cmp_eq_u16_e32 vcc, s4, v11
	s_mov_b64 s[4:5], -1
                                        ; implicit-def: $sgpr10
	s_and_saveexec_b64 s[8:9], vcc
; %bb.2454:
	s_mov_b32 s10, 0x7f800001
	s_xor_b64 s[4:5], exec, -1
; %bb.2455:
	s_or_b64 exec, exec, s[8:9]
	s_and_b64 s[4:5], s[4:5], exec
                                        ; implicit-def: $vgpr11
	s_or_saveexec_b64 s[6:7], s[6:7]
	v_mov_b32_e32 v12, s10
	s_xor_b64 exec, exec, s[6:7]
	s_cbranch_execz .LBB40_406
.LBB40_2456:
	v_cmp_ne_u16_e32 vcc, 0, v11
	s_andn2_b64 s[4:5], s[4:5], exec
	s_and_b64 s[8:9], vcc, exec
	v_mov_b32_e32 v12, 0
	s_or_b64 s[4:5], s[4:5], s[8:9]
	s_or_b64 exec, exec, s[6:7]
	s_and_saveexec_b64 s[6:7], s[4:5]
	s_cbranch_execnz .LBB40_407
	s_branch .LBB40_408
.LBB40_2457:
	s_movk_i32 s4, 0x80
	v_cmp_eq_u16_sdwa s[12:13], v6, s4 src0_sel:BYTE_3 src1_sel:DWORD
	s_mov_b64 s[4:5], -1
                                        ; implicit-def: $sgpr10
	s_and_saveexec_b64 s[8:9], s[12:13]
; %bb.2458:
	s_mov_b32 s10, 0x7f800001
	s_xor_b64 s[4:5], exec, -1
; %bb.2459:
	s_or_b64 exec, exec, s[8:9]
	s_and_b64 s[4:5], s[4:5], exec
	s_or_saveexec_b64 s[6:7], s[6:7]
	v_mov_b32_e32 v10, s10
	s_xor_b64 exec, exec, s[6:7]
	s_cbranch_execz .LBB40_410
.LBB40_2460:
	v_mov_b32_e32 v10, 0
	v_cmp_ne_u16_sdwa s[8:9], v6, v10 src0_sel:BYTE_3 src1_sel:DWORD
	s_andn2_b64 s[4:5], s[4:5], exec
	s_and_b64 s[8:9], s[8:9], exec
	s_or_b64 s[4:5], s[4:5], s[8:9]
	s_or_b64 exec, exec, s[6:7]
	s_and_saveexec_b64 s[6:7], s[4:5]
	s_cbranch_execnz .LBB40_411
	s_branch .LBB40_412
.LBB40_2461:
	s_movk_i32 s4, 0x80
	v_cmp_eq_u16_sdwa s[12:13], v2, s4 src0_sel:BYTE_3 src1_sel:DWORD
	s_mov_b64 s[4:5], -1
                                        ; implicit-def: $sgpr10
	s_and_saveexec_b64 s[8:9], s[12:13]
; %bb.2462:
	s_mov_b32 s10, 0x7f800001
	s_xor_b64 s[4:5], exec, -1
; %bb.2463:
	s_or_b64 exec, exec, s[8:9]
	s_and_b64 s[4:5], s[4:5], exec
	s_or_saveexec_b64 s[6:7], s[6:7]
	v_mov_b32_e32 v6, s10
	s_xor_b64 exec, exec, s[6:7]
	s_cbranch_execz .LBB40_414
.LBB40_2464:
	v_mov_b32_e32 v6, 0
	v_cmp_ne_u16_sdwa s[8:9], v2, v6 src0_sel:BYTE_3 src1_sel:DWORD
	s_andn2_b64 s[4:5], s[4:5], exec
	s_and_b64 s[8:9], s[8:9], exec
	s_or_b64 s[4:5], s[4:5], s[8:9]
	s_or_b64 exec, exec, s[6:7]
	s_and_saveexec_b64 s[6:7], s[4:5]
	s_cbranch_execnz .LBB40_415
	s_branch .LBB40_416
.LBB40_2465:
	s_movk_i32 s4, 0x80
	v_cmp_eq_u16_sdwa s[12:13], v7, s4 src0_sel:BYTE_0 src1_sel:DWORD
	s_mov_b64 s[4:5], -1
                                        ; implicit-def: $sgpr10
	s_and_saveexec_b64 s[8:9], s[12:13]
; %bb.2466:
	s_mov_b32 s10, 0x7f800001
	s_xor_b64 s[4:5], exec, -1
; %bb.2467:
	s_or_b64 exec, exec, s[8:9]
	s_and_b64 s[4:5], s[4:5], exec
	s_or_saveexec_b64 s[6:7], s[6:7]
	v_mov_b32_e32 v2, s10
	s_xor_b64 exec, exec, s[6:7]
	s_cbranch_execz .LBB40_418
.LBB40_2468:
	v_mov_b32_e32 v2, 0
	v_cmp_ne_u16_sdwa s[8:9], v7, v2 src0_sel:BYTE_0 src1_sel:DWORD
	s_andn2_b64 s[4:5], s[4:5], exec
	s_and_b64 s[8:9], s[8:9], exec
	s_or_b64 s[4:5], s[4:5], s[8:9]
	s_or_b64 exec, exec, s[6:7]
	s_and_saveexec_b64 s[6:7], s[4:5]
	s_cbranch_execnz .LBB40_419
	s_branch .LBB40_420
.LBB40_2469:
	s_movk_i32 s4, 0x80
	v_cmp_eq_u16_sdwa s[12:13], v3, s4 src0_sel:BYTE_0 src1_sel:DWORD
	s_mov_b64 s[4:5], -1
                                        ; implicit-def: $sgpr10
	s_and_saveexec_b64 s[8:9], s[12:13]
; %bb.2470:
	s_mov_b32 s10, 0x7f800001
	s_xor_b64 s[4:5], exec, -1
; %bb.2471:
	s_or_b64 exec, exec, s[8:9]
	s_and_b64 s[4:5], s[4:5], exec
	s_or_saveexec_b64 s[6:7], s[6:7]
	v_mov_b32_e32 v6, s10
	s_xor_b64 exec, exec, s[6:7]
	s_cbranch_execz .LBB40_422
.LBB40_2472:
	v_mov_b32_e32 v6, 0
	v_cmp_ne_u16_sdwa s[8:9], v3, v6 src0_sel:BYTE_0 src1_sel:DWORD
	s_andn2_b64 s[4:5], s[4:5], exec
	s_and_b64 s[8:9], s[8:9], exec
	s_or_b64 s[4:5], s[4:5], s[8:9]
	s_or_b64 exec, exec, s[6:7]
	s_and_saveexec_b64 s[6:7], s[4:5]
	s_cbranch_execnz .LBB40_423
	s_branch .LBB40_424
.LBB40_2473:
	s_movk_i32 s4, 0x80
	v_cmp_eq_u16_sdwa s[12:13], v6, s4 src0_sel:BYTE_0 src1_sel:DWORD
	s_mov_b64 s[4:5], -1
                                        ; implicit-def: $sgpr10
	s_and_saveexec_b64 s[8:9], s[12:13]
; %bb.2474:
	s_mov_b32 s10, 0x7f800001
	s_xor_b64 s[4:5], exec, -1
; %bb.2475:
	s_or_b64 exec, exec, s[8:9]
	s_and_b64 s[4:5], s[4:5], exec
	s_or_saveexec_b64 s[6:7], s[6:7]
	v_mov_b32_e32 v2, s10
	s_xor_b64 exec, exec, s[6:7]
	s_cbranch_execz .LBB40_426
.LBB40_2476:
	v_mov_b32_e32 v2, 0
	v_cmp_ne_u16_sdwa s[8:9], v6, v2 src0_sel:BYTE_0 src1_sel:DWORD
	s_andn2_b64 s[4:5], s[4:5], exec
	s_and_b64 s[8:9], s[8:9], exec
	s_or_b64 s[4:5], s[4:5], s[8:9]
	s_or_b64 exec, exec, s[6:7]
	s_and_saveexec_b64 s[6:7], s[4:5]
	s_cbranch_execnz .LBB40_427
	s_branch .LBB40_428
.LBB40_2477:
	s_movk_i32 s4, 0x80
	v_cmp_eq_u16_sdwa s[12:13], v6, s4 src0_sel:BYTE_0 src1_sel:DWORD
	s_mov_b64 s[4:5], -1
                                        ; implicit-def: $sgpr10
	s_and_saveexec_b64 s[8:9], s[12:13]
; %bb.2478:
	s_mov_b32 s10, 0x7f800001
	s_xor_b64 s[4:5], exec, -1
; %bb.2479:
	s_or_b64 exec, exec, s[8:9]
	s_and_b64 s[4:5], s[4:5], exec
	s_or_saveexec_b64 s[6:7], s[6:7]
	v_mov_b32_e32 v10, s10
	s_xor_b64 exec, exec, s[6:7]
	s_cbranch_execz .LBB40_430
.LBB40_2480:
	v_mov_b32_e32 v10, 0
	v_cmp_ne_u16_sdwa s[8:9], v6, v10 src0_sel:BYTE_0 src1_sel:DWORD
	s_andn2_b64 s[4:5], s[4:5], exec
	s_and_b64 s[8:9], s[8:9], exec
	s_or_b64 s[4:5], s[4:5], s[8:9]
	s_or_b64 exec, exec, s[6:7]
	s_and_saveexec_b64 s[6:7], s[4:5]
	s_cbranch_execnz .LBB40_431
	s_branch .LBB40_432
.LBB40_2481:
	s_movk_i32 s4, 0x80
	v_cmp_eq_u16_e32 vcc, s4, v6
	s_mov_b64 s[4:5], -1
                                        ; implicit-def: $sgpr10
	s_and_saveexec_b64 s[8:9], vcc
; %bb.2482:
	s_mov_b32 s10, 0x7f800001
	s_xor_b64 s[4:5], exec, -1
; %bb.2483:
	s_or_b64 exec, exec, s[8:9]
	s_and_b64 s[4:5], s[4:5], exec
                                        ; implicit-def: $vgpr6
	s_or_saveexec_b64 s[6:7], s[6:7]
	v_mov_b32_e32 v2, s10
	s_xor_b64 exec, exec, s[6:7]
	s_cbranch_execz .LBB40_434
.LBB40_2484:
	v_cmp_ne_u16_e32 vcc, 0, v6
	s_andn2_b64 s[4:5], s[4:5], exec
	s_and_b64 s[8:9], vcc, exec
	v_mov_b32_e32 v2, 0
	s_or_b64 s[4:5], s[4:5], s[8:9]
	s_or_b64 exec, exec, s[6:7]
	s_and_saveexec_b64 s[6:7], s[4:5]
	s_cbranch_execnz .LBB40_435
	s_branch .LBB40_436
.LBB40_2485:
	s_movk_i32 s4, 0x80
	v_cmp_eq_u16_e32 vcc, s4, v6
	s_mov_b64 s[4:5], -1
                                        ; implicit-def: $sgpr10
	s_and_saveexec_b64 s[8:9], vcc
; %bb.2486:
	s_mov_b32 s10, 0x7f800001
	s_xor_b64 s[4:5], exec, -1
; %bb.2487:
	s_or_b64 exec, exec, s[8:9]
	s_and_b64 s[4:5], s[4:5], exec
                                        ; implicit-def: $vgpr6
	s_or_saveexec_b64 s[6:7], s[6:7]
	v_mov_b32_e32 v10, s10
	s_xor_b64 exec, exec, s[6:7]
	s_cbranch_execz .LBB40_438
.LBB40_2488:
	v_cmp_ne_u16_e32 vcc, 0, v6
	s_andn2_b64 s[4:5], s[4:5], exec
	s_and_b64 s[8:9], vcc, exec
	v_mov_b32_e32 v10, 0
	s_or_b64 s[4:5], s[4:5], s[8:9]
	s_or_b64 exec, exec, s[6:7]
	s_and_saveexec_b64 s[6:7], s[4:5]
	s_cbranch_execnz .LBB40_439
	s_branch .LBB40_440
.LBB40_2489:
	s_movk_i32 s4, 0x80
	v_cmp_eq_u16_sdwa s[12:13], v7, s4 src0_sel:BYTE_3 src1_sel:DWORD
	s_mov_b64 s[4:5], -1
                                        ; implicit-def: $sgpr10
	s_and_saveexec_b64 s[8:9], s[12:13]
; %bb.2490:
	s_mov_b32 s10, 0x7f800001
	s_xor_b64 s[4:5], exec, -1
; %bb.2491:
	s_or_b64 exec, exec, s[8:9]
	s_and_b64 s[4:5], s[4:5], exec
	s_or_saveexec_b64 s[6:7], s[6:7]
	v_mov_b32_e32 v2, s10
	s_xor_b64 exec, exec, s[6:7]
	s_cbranch_execz .LBB40_442
.LBB40_2492:
	v_mov_b32_e32 v2, 0
	v_cmp_ne_u16_sdwa s[8:9], v7, v2 src0_sel:BYTE_3 src1_sel:DWORD
	s_andn2_b64 s[4:5], s[4:5], exec
	s_and_b64 s[8:9], s[8:9], exec
	s_or_b64 s[4:5], s[4:5], s[8:9]
	s_or_b64 exec, exec, s[6:7]
	s_and_saveexec_b64 s[6:7], s[4:5]
	s_cbranch_execnz .LBB40_443
	s_branch .LBB40_444
.LBB40_2493:
	s_movk_i32 s4, 0x80
	v_cmp_eq_u16_sdwa s[12:13], v3, s4 src0_sel:BYTE_3 src1_sel:DWORD
	s_mov_b64 s[4:5], -1
                                        ; implicit-def: $sgpr10
	s_and_saveexec_b64 s[8:9], s[12:13]
; %bb.2494:
	s_mov_b32 s10, 0x7f800001
	s_xor_b64 s[4:5], exec, -1
; %bb.2495:
	s_or_b64 exec, exec, s[8:9]
	s_and_b64 s[4:5], s[4:5], exec
	s_or_saveexec_b64 s[6:7], s[6:7]
	v_mov_b32_e32 v6, s10
	s_xor_b64 exec, exec, s[6:7]
	s_cbranch_execz .LBB40_446
.LBB40_2496:
	v_mov_b32_e32 v6, 0
	v_cmp_ne_u16_sdwa s[8:9], v3, v6 src0_sel:BYTE_3 src1_sel:DWORD
	s_andn2_b64 s[4:5], s[4:5], exec
	s_and_b64 s[8:9], s[8:9], exec
	s_or_b64 s[4:5], s[4:5], s[8:9]
	s_or_b64 exec, exec, s[6:7]
	s_and_saveexec_b64 s[6:7], s[4:5]
	s_cbranch_execnz .LBB40_447
	s_branch .LBB40_448
.LBB40_2497:
	s_movk_i32 s4, 0x80
	v_cmp_eq_u16_sdwa s[12:13], v8, s4 src0_sel:BYTE_0 src1_sel:DWORD
	s_mov_b64 s[4:5], -1
                                        ; implicit-def: $sgpr10
	s_and_saveexec_b64 s[8:9], s[12:13]
; %bb.2498:
	s_mov_b32 s10, 0x7f800001
	s_xor_b64 s[4:5], exec, -1
; %bb.2499:
	s_or_b64 exec, exec, s[8:9]
	s_and_b64 s[4:5], s[4:5], exec
	s_or_saveexec_b64 s[6:7], s[6:7]
	v_mov_b32_e32 v2, s10
	s_xor_b64 exec, exec, s[6:7]
	s_cbranch_execz .LBB40_450
.LBB40_2500:
	v_mov_b32_e32 v2, 0
	v_cmp_ne_u16_sdwa s[8:9], v8, v2 src0_sel:BYTE_0 src1_sel:DWORD
	s_andn2_b64 s[4:5], s[4:5], exec
	s_and_b64 s[8:9], s[8:9], exec
	s_or_b64 s[4:5], s[4:5], s[8:9]
	s_or_b64 exec, exec, s[6:7]
	s_and_saveexec_b64 s[6:7], s[4:5]
	s_cbranch_execnz .LBB40_451
	s_branch .LBB40_452
.LBB40_2501:
	s_movk_i32 s4, 0x80
	v_cmp_eq_u16_sdwa s[12:13], v4, s4 src0_sel:BYTE_0 src1_sel:DWORD
	s_mov_b64 s[4:5], -1
                                        ; implicit-def: $sgpr10
	s_and_saveexec_b64 s[8:9], s[12:13]
; %bb.2502:
	s_mov_b32 s10, 0x7f800001
	s_xor_b64 s[4:5], exec, -1
; %bb.2503:
	s_or_b64 exec, exec, s[8:9]
	s_and_b64 s[4:5], s[4:5], exec
	s_or_saveexec_b64 s[6:7], s[6:7]
	v_mov_b32_e32 v3, s10
	s_xor_b64 exec, exec, s[6:7]
	s_cbranch_execz .LBB40_454
.LBB40_2504:
	v_mov_b32_e32 v3, 0
	v_cmp_ne_u16_sdwa s[8:9], v4, v3 src0_sel:BYTE_0 src1_sel:DWORD
	s_andn2_b64 s[4:5], s[4:5], exec
	s_and_b64 s[8:9], s[8:9], exec
	s_or_b64 s[4:5], s[4:5], s[8:9]
	s_or_b64 exec, exec, s[6:7]
	s_and_saveexec_b64 s[6:7], s[4:5]
	s_cbranch_execnz .LBB40_455
	s_branch .LBB40_456
.LBB40_2505:
	s_movk_i32 s4, 0x80
	v_cmp_eq_u16_sdwa s[12:13], v3, s4 src0_sel:BYTE_0 src1_sel:DWORD
	s_mov_b64 s[4:5], -1
                                        ; implicit-def: $sgpr10
	s_and_saveexec_b64 s[8:9], s[12:13]
; %bb.2506:
	s_mov_b32 s10, 0x7f800001
	s_xor_b64 s[4:5], exec, -1
; %bb.2507:
	s_or_b64 exec, exec, s[8:9]
	s_and_b64 s[4:5], s[4:5], exec
	s_or_saveexec_b64 s[6:7], s[6:7]
	v_mov_b32_e32 v2, s10
	s_xor_b64 exec, exec, s[6:7]
	s_cbranch_execz .LBB40_458
.LBB40_2508:
	v_mov_b32_e32 v2, 0
	v_cmp_ne_u16_sdwa s[8:9], v3, v2 src0_sel:BYTE_0 src1_sel:DWORD
	s_andn2_b64 s[4:5], s[4:5], exec
	s_and_b64 s[8:9], s[8:9], exec
	s_or_b64 s[4:5], s[4:5], s[8:9]
	s_or_b64 exec, exec, s[6:7]
	s_and_saveexec_b64 s[6:7], s[4:5]
	s_cbranch_execnz .LBB40_459
	s_branch .LBB40_460
.LBB40_2509:
	s_movk_i32 s4, 0x80
	v_cmp_eq_u16_sdwa s[12:13], v3, s4 src0_sel:BYTE_0 src1_sel:DWORD
	s_mov_b64 s[4:5], -1
                                        ; implicit-def: $sgpr10
	s_and_saveexec_b64 s[8:9], s[12:13]
; %bb.2510:
	s_mov_b32 s10, 0x7f800001
	s_xor_b64 s[4:5], exec, -1
; %bb.2511:
	s_or_b64 exec, exec, s[8:9]
	s_and_b64 s[4:5], s[4:5], exec
	s_or_saveexec_b64 s[6:7], s[6:7]
	v_mov_b32_e32 v6, s10
	s_xor_b64 exec, exec, s[6:7]
	s_cbranch_execz .LBB40_462
.LBB40_2512:
	v_mov_b32_e32 v6, 0
	v_cmp_ne_u16_sdwa s[8:9], v3, v6 src0_sel:BYTE_0 src1_sel:DWORD
	s_andn2_b64 s[4:5], s[4:5], exec
	s_and_b64 s[8:9], s[8:9], exec
	s_or_b64 s[4:5], s[4:5], s[8:9]
	s_or_b64 exec, exec, s[6:7]
	s_and_saveexec_b64 s[6:7], s[4:5]
	s_cbranch_execnz .LBB40_463
	s_branch .LBB40_464
.LBB40_2513:
	s_movk_i32 s4, 0x80
	v_cmp_eq_u16_e32 vcc, s4, v3
	s_mov_b64 s[4:5], -1
                                        ; implicit-def: $sgpr10
	s_and_saveexec_b64 s[8:9], vcc
; %bb.2514:
	s_mov_b32 s10, 0x7f800001
	s_xor_b64 s[4:5], exec, -1
; %bb.2515:
	s_or_b64 exec, exec, s[8:9]
	s_and_b64 s[4:5], s[4:5], exec
                                        ; implicit-def: $vgpr3
	s_or_saveexec_b64 s[6:7], s[6:7]
	v_mov_b32_e32 v2, s10
	s_xor_b64 exec, exec, s[6:7]
	s_cbranch_execz .LBB40_466
.LBB40_2516:
	v_cmp_ne_u16_e32 vcc, 0, v3
	s_andn2_b64 s[4:5], s[4:5], exec
	s_and_b64 s[8:9], vcc, exec
	v_mov_b32_e32 v2, 0
	s_or_b64 s[4:5], s[4:5], s[8:9]
	s_or_b64 exec, exec, s[6:7]
	s_and_saveexec_b64 s[6:7], s[4:5]
	s_cbranch_execnz .LBB40_467
	s_branch .LBB40_468
.LBB40_2517:
	s_movk_i32 s4, 0x80
	v_cmp_eq_u16_e32 vcc, s4, v3
	s_mov_b64 s[4:5], -1
                                        ; implicit-def: $sgpr10
	s_and_saveexec_b64 s[8:9], vcc
; %bb.2518:
	s_mov_b32 s10, 0x7f800001
	s_xor_b64 s[4:5], exec, -1
; %bb.2519:
	s_or_b64 exec, exec, s[8:9]
	s_and_b64 s[4:5], s[4:5], exec
                                        ; implicit-def: $vgpr3
	s_or_saveexec_b64 s[6:7], s[6:7]
	v_mov_b32_e32 v6, s10
	s_xor_b64 exec, exec, s[6:7]
	s_cbranch_execz .LBB40_470
.LBB40_2520:
	v_cmp_ne_u16_e32 vcc, 0, v3
	s_andn2_b64 s[4:5], s[4:5], exec
	s_and_b64 s[8:9], vcc, exec
	v_mov_b32_e32 v6, 0
	s_or_b64 s[4:5], s[4:5], s[8:9]
	s_or_b64 exec, exec, s[6:7]
	s_and_saveexec_b64 s[6:7], s[4:5]
	s_cbranch_execnz .LBB40_471
	s_branch .LBB40_472
.LBB40_2521:
	s_movk_i32 s4, 0x80
	v_cmp_eq_u16_sdwa s[12:13], v8, s4 src0_sel:BYTE_3 src1_sel:DWORD
	s_mov_b64 s[4:5], -1
                                        ; implicit-def: $sgpr10
	s_and_saveexec_b64 s[8:9], s[12:13]
; %bb.2522:
	s_mov_b32 s10, 0x7f800001
	s_xor_b64 s[4:5], exec, -1
; %bb.2523:
	s_or_b64 exec, exec, s[8:9]
	s_and_b64 s[4:5], s[4:5], exec
	s_or_saveexec_b64 s[6:7], s[6:7]
	v_mov_b32_e32 v2, s10
	s_xor_b64 exec, exec, s[6:7]
	s_cbranch_execz .LBB40_474
.LBB40_2524:
	v_mov_b32_e32 v2, 0
	v_cmp_ne_u16_sdwa s[8:9], v8, v2 src0_sel:BYTE_3 src1_sel:DWORD
	s_andn2_b64 s[4:5], s[4:5], exec
	s_and_b64 s[8:9], s[8:9], exec
	s_or_b64 s[4:5], s[4:5], s[8:9]
	s_or_b64 exec, exec, s[6:7]
	s_and_saveexec_b64 s[6:7], s[4:5]
	s_cbranch_execnz .LBB40_475
	s_branch .LBB40_476
.LBB40_2525:
	s_movk_i32 s4, 0x80
	v_cmp_eq_u16_sdwa s[12:13], v4, s4 src0_sel:BYTE_3 src1_sel:DWORD
	s_mov_b64 s[4:5], -1
                                        ; implicit-def: $sgpr10
	s_and_saveexec_b64 s[8:9], s[12:13]
; %bb.2526:
	s_mov_b32 s10, 0x7f800001
	s_xor_b64 s[4:5], exec, -1
; %bb.2527:
	s_or_b64 exec, exec, s[8:9]
	s_and_b64 s[4:5], s[4:5], exec
	s_or_saveexec_b64 s[6:7], s[6:7]
	v_mov_b32_e32 v3, s10
	s_xor_b64 exec, exec, s[6:7]
	s_cbranch_execz .LBB40_478
.LBB40_2528:
	v_mov_b32_e32 v3, 0
	v_cmp_ne_u16_sdwa s[8:9], v4, v3 src0_sel:BYTE_3 src1_sel:DWORD
	s_andn2_b64 s[4:5], s[4:5], exec
	s_and_b64 s[8:9], s[8:9], exec
	s_or_b64 s[4:5], s[4:5], s[8:9]
	s_or_b64 exec, exec, s[6:7]
	s_and_saveexec_b64 s[6:7], s[4:5]
	s_cbranch_execnz .LBB40_479
	s_branch .LBB40_480
.LBB40_2529:
	s_movk_i32 s4, 0x80
	v_cmp_eq_u16_sdwa s[12:13], v9, s4 src0_sel:BYTE_0 src1_sel:DWORD
	s_mov_b64 s[4:5], -1
                                        ; implicit-def: $sgpr10
	s_and_saveexec_b64 s[8:9], s[12:13]
; %bb.2530:
	s_mov_b32 s10, 0x7f800001
	s_xor_b64 s[4:5], exec, -1
; %bb.2531:
	s_or_b64 exec, exec, s[8:9]
	s_and_b64 s[4:5], s[4:5], exec
	s_or_saveexec_b64 s[6:7], s[6:7]
	v_mov_b32_e32 v2, s10
	s_xor_b64 exec, exec, s[6:7]
	s_cbranch_execz .LBB40_482
.LBB40_2532:
	v_mov_b32_e32 v2, 0
	v_cmp_ne_u16_sdwa s[8:9], v9, v2 src0_sel:BYTE_0 src1_sel:DWORD
	s_andn2_b64 s[4:5], s[4:5], exec
	s_and_b64 s[8:9], s[8:9], exec
	s_or_b64 s[4:5], s[4:5], s[8:9]
	s_or_b64 exec, exec, s[6:7]
	s_and_saveexec_b64 s[6:7], s[4:5]
	s_cbranch_execnz .LBB40_483
	s_branch .LBB40_484
.LBB40_2533:
	s_movk_i32 s4, 0x80
	v_cmp_eq_u16_sdwa s[12:13], v5, s4 src0_sel:BYTE_0 src1_sel:DWORD
	s_mov_b64 s[4:5], -1
                                        ; implicit-def: $sgpr10
	s_and_saveexec_b64 s[8:9], s[12:13]
; %bb.2534:
	s_mov_b32 s10, 0x7f800001
	s_xor_b64 s[4:5], exec, -1
; %bb.2535:
	s_or_b64 exec, exec, s[8:9]
	s_and_b64 s[4:5], s[4:5], exec
	s_or_saveexec_b64 s[6:7], s[6:7]
	v_mov_b32_e32 v3, s10
	s_xor_b64 exec, exec, s[6:7]
	s_cbranch_execz .LBB40_486
.LBB40_2536:
	v_mov_b32_e32 v3, 0
	v_cmp_ne_u16_sdwa s[8:9], v5, v3 src0_sel:BYTE_0 src1_sel:DWORD
	s_andn2_b64 s[4:5], s[4:5], exec
	s_and_b64 s[8:9], s[8:9], exec
	s_or_b64 s[4:5], s[4:5], s[8:9]
	s_or_b64 exec, exec, s[6:7]
	s_and_saveexec_b64 s[6:7], s[4:5]
	s_cbranch_execnz .LBB40_487
	s_branch .LBB40_488
.LBB40_2537:
	s_movk_i32 s4, 0x80
	v_cmp_eq_u16_sdwa s[12:13], v3, s4 src0_sel:BYTE_0 src1_sel:DWORD
	s_mov_b64 s[4:5], -1
                                        ; implicit-def: $sgpr10
	s_and_saveexec_b64 s[8:9], s[12:13]
; %bb.2538:
	s_mov_b32 s10, 0x7f800001
	s_xor_b64 s[4:5], exec, -1
; %bb.2539:
	s_or_b64 exec, exec, s[8:9]
	s_and_b64 s[4:5], s[4:5], exec
	s_or_saveexec_b64 s[6:7], s[6:7]
	v_mov_b32_e32 v2, s10
	s_xor_b64 exec, exec, s[6:7]
	s_cbranch_execz .LBB40_490
.LBB40_2540:
	v_mov_b32_e32 v2, 0
	v_cmp_ne_u16_sdwa s[8:9], v3, v2 src0_sel:BYTE_0 src1_sel:DWORD
	s_andn2_b64 s[4:5], s[4:5], exec
	s_and_b64 s[8:9], s[8:9], exec
	s_or_b64 s[4:5], s[4:5], s[8:9]
	s_or_b64 exec, exec, s[6:7]
	s_and_saveexec_b64 s[6:7], s[4:5]
	s_cbranch_execnz .LBB40_491
	s_branch .LBB40_492
.LBB40_2541:
	s_movk_i32 s4, 0x80
	v_cmp_eq_u16_sdwa s[12:13], v3, s4 src0_sel:BYTE_0 src1_sel:DWORD
	s_mov_b64 s[4:5], -1
                                        ; implicit-def: $sgpr10
	s_and_saveexec_b64 s[8:9], s[12:13]
; %bb.2542:
	s_mov_b32 s10, 0x7f800001
	s_xor_b64 s[4:5], exec, -1
; %bb.2543:
	s_or_b64 exec, exec, s[8:9]
	s_and_b64 s[4:5], s[4:5], exec
	s_or_saveexec_b64 s[6:7], s[6:7]
	v_mov_b32_e32 v4, s10
	s_xor_b64 exec, exec, s[6:7]
	s_cbranch_execz .LBB40_494
.LBB40_2544:
	v_mov_b32_e32 v4, 0
	v_cmp_ne_u16_sdwa s[8:9], v3, v4 src0_sel:BYTE_0 src1_sel:DWORD
	s_andn2_b64 s[4:5], s[4:5], exec
	s_and_b64 s[8:9], s[8:9], exec
	s_or_b64 s[4:5], s[4:5], s[8:9]
	s_or_b64 exec, exec, s[6:7]
	s_and_saveexec_b64 s[6:7], s[4:5]
	s_cbranch_execnz .LBB40_495
	s_branch .LBB40_496
.LBB40_2545:
	s_movk_i32 s4, 0x80
	v_cmp_eq_u16_e32 vcc, s4, v3
	s_mov_b64 s[4:5], -1
                                        ; implicit-def: $sgpr10
	s_and_saveexec_b64 s[8:9], vcc
; %bb.2546:
	s_mov_b32 s10, 0x7f800001
	s_xor_b64 s[4:5], exec, -1
; %bb.2547:
	s_or_b64 exec, exec, s[8:9]
	s_and_b64 s[4:5], s[4:5], exec
                                        ; implicit-def: $vgpr3
	s_or_saveexec_b64 s[6:7], s[6:7]
	v_mov_b32_e32 v2, s10
	s_xor_b64 exec, exec, s[6:7]
	s_cbranch_execz .LBB40_498
.LBB40_2548:
	v_cmp_ne_u16_e32 vcc, 0, v3
	s_andn2_b64 s[4:5], s[4:5], exec
	s_and_b64 s[8:9], vcc, exec
	v_mov_b32_e32 v2, 0
	s_or_b64 s[4:5], s[4:5], s[8:9]
	s_or_b64 exec, exec, s[6:7]
	s_and_saveexec_b64 s[6:7], s[4:5]
	s_cbranch_execnz .LBB40_499
	s_branch .LBB40_500
.LBB40_2549:
	s_movk_i32 s4, 0x80
	v_cmp_eq_u16_e32 vcc, s4, v3
	s_mov_b64 s[4:5], -1
                                        ; implicit-def: $sgpr10
	s_and_saveexec_b64 s[8:9], vcc
; %bb.2550:
	s_mov_b32 s10, 0x7f800001
	s_xor_b64 s[4:5], exec, -1
; %bb.2551:
	s_or_b64 exec, exec, s[8:9]
	s_and_b64 s[4:5], s[4:5], exec
                                        ; implicit-def: $vgpr3
	s_or_saveexec_b64 s[6:7], s[6:7]
	v_mov_b32_e32 v4, s10
	s_xor_b64 exec, exec, s[6:7]
	s_cbranch_execz .LBB40_502
.LBB40_2552:
	v_cmp_ne_u16_e32 vcc, 0, v3
	s_andn2_b64 s[4:5], s[4:5], exec
	s_and_b64 s[8:9], vcc, exec
	v_mov_b32_e32 v4, 0
	s_or_b64 s[4:5], s[4:5], s[8:9]
	s_or_b64 exec, exec, s[6:7]
	s_and_saveexec_b64 s[6:7], s[4:5]
	s_cbranch_execnz .LBB40_503
	s_branch .LBB40_504
.LBB40_2553:
	s_movk_i32 s4, 0x80
	v_cmp_eq_u16_sdwa s[12:13], v9, s4 src0_sel:BYTE_3 src1_sel:DWORD
	s_mov_b64 s[4:5], -1
                                        ; implicit-def: $sgpr10
	s_and_saveexec_b64 s[8:9], s[12:13]
; %bb.2554:
	s_mov_b32 s10, 0x7f800001
	s_xor_b64 s[4:5], exec, -1
; %bb.2555:
	s_or_b64 exec, exec, s[8:9]
	s_and_b64 s[4:5], s[4:5], exec
	s_or_saveexec_b64 s[6:7], s[6:7]
	v_mov_b32_e32 v2, s10
	s_xor_b64 exec, exec, s[6:7]
	s_cbranch_execz .LBB40_506
.LBB40_2556:
	v_mov_b32_e32 v2, 0
	v_cmp_ne_u16_sdwa s[8:9], v9, v2 src0_sel:BYTE_3 src1_sel:DWORD
	s_andn2_b64 s[4:5], s[4:5], exec
	s_and_b64 s[8:9], s[8:9], exec
	s_or_b64 s[4:5], s[4:5], s[8:9]
	s_or_b64 exec, exec, s[6:7]
	s_and_saveexec_b64 s[6:7], s[4:5]
	s_cbranch_execnz .LBB40_507
	s_branch .LBB40_508
.LBB40_2557:
	s_movk_i32 s4, 0x80
	v_cmp_eq_u16_sdwa s[12:13], v5, s4 src0_sel:BYTE_3 src1_sel:DWORD
	s_mov_b64 s[4:5], -1
                                        ; implicit-def: $sgpr10
	s_and_saveexec_b64 s[8:9], s[12:13]
; %bb.2558:
	s_mov_b32 s10, 0x7f800001
	s_xor_b64 s[4:5], exec, -1
; %bb.2559:
	s_or_b64 exec, exec, s[8:9]
	s_and_b64 s[4:5], s[4:5], exec
	s_or_saveexec_b64 s[6:7], s[6:7]
	v_mov_b32_e32 v3, s10
	s_xor_b64 exec, exec, s[6:7]
	s_cbranch_execz .LBB40_510
.LBB40_2560:
	v_mov_b32_e32 v3, 0
	v_cmp_ne_u16_sdwa s[8:9], v5, v3 src0_sel:BYTE_3 src1_sel:DWORD
	s_andn2_b64 s[4:5], s[4:5], exec
	s_and_b64 s[8:9], s[8:9], exec
	s_or_b64 s[4:5], s[4:5], s[8:9]
	s_or_b64 exec, exec, s[6:7]
	s_and_saveexec_b64 s[6:7], s[4:5]
	s_cbranch_execnz .LBB40_511
	s_branch .LBB40_512
.LBB40_2561:
	s_movk_i32 s4, 0x80
	v_cmp_eq_u16_sdwa s[12:13], v14, s4 src0_sel:BYTE_0 src1_sel:DWORD
	s_mov_b64 s[4:5], -1
                                        ; implicit-def: $sgpr10
	s_and_saveexec_b64 s[8:9], s[12:13]
; %bb.2562:
	s_mov_b32 s10, 0x7f800001
	s_xor_b64 s[4:5], exec, -1
; %bb.2563:
	s_or_b64 exec, exec, s[8:9]
	s_and_b64 s[4:5], s[4:5], exec
	s_or_saveexec_b64 s[6:7], s[6:7]
	v_mov_b32_e32 v20, s10
	s_xor_b64 exec, exec, s[6:7]
	s_cbranch_execz .LBB40_514
.LBB40_2564:
	v_mov_b32_e32 v20, 0
	v_cmp_ne_u16_sdwa s[8:9], v14, v20 src0_sel:BYTE_0 src1_sel:DWORD
	s_andn2_b64 s[4:5], s[4:5], exec
	s_and_b64 s[8:9], s[8:9], exec
	s_or_b64 s[4:5], s[4:5], s[8:9]
	s_or_b64 exec, exec, s[6:7]
	s_and_saveexec_b64 s[6:7], s[4:5]
	s_cbranch_execnz .LBB40_515
	s_branch .LBB40_516
.LBB40_2565:
	s_movk_i32 s4, 0x80
	v_cmp_eq_u16_sdwa s[12:13], v10, s4 src0_sel:BYTE_0 src1_sel:DWORD
	s_mov_b64 s[4:5], -1
                                        ; implicit-def: $sgpr10
	s_and_saveexec_b64 s[8:9], s[12:13]
; %bb.2566:
	s_mov_b32 s10, 0x7f800001
	s_xor_b64 s[4:5], exec, -1
; %bb.2567:
	s_or_b64 exec, exec, s[8:9]
	s_and_b64 s[4:5], s[4:5], exec
	s_or_saveexec_b64 s[6:7], s[6:7]
	v_mov_b32_e32 v21, s10
	s_xor_b64 exec, exec, s[6:7]
	s_cbranch_execz .LBB40_518
.LBB40_2568:
	v_mov_b32_e32 v21, 0
	v_cmp_ne_u16_sdwa s[8:9], v10, v21 src0_sel:BYTE_0 src1_sel:DWORD
	s_andn2_b64 s[4:5], s[4:5], exec
	s_and_b64 s[8:9], s[8:9], exec
	s_or_b64 s[4:5], s[4:5], s[8:9]
	s_or_b64 exec, exec, s[6:7]
	s_and_saveexec_b64 s[6:7], s[4:5]
	s_cbranch_execnz .LBB40_519
	s_branch .LBB40_520
.LBB40_2569:
	s_movk_i32 s4, 0x80
	v_cmp_eq_u16_sdwa s[12:13], v21, s4 src0_sel:BYTE_0 src1_sel:DWORD
	s_mov_b64 s[4:5], -1
                                        ; implicit-def: $sgpr10
	s_and_saveexec_b64 s[8:9], s[12:13]
; %bb.2570:
	s_mov_b32 s10, 0x7f800001
	s_xor_b64 s[4:5], exec, -1
; %bb.2571:
	s_or_b64 exec, exec, s[8:9]
	s_and_b64 s[4:5], s[4:5], exec
	s_or_saveexec_b64 s[6:7], s[6:7]
	v_mov_b32_e32 v20, s10
	s_xor_b64 exec, exec, s[6:7]
	s_cbranch_execz .LBB40_522
.LBB40_2572:
	v_mov_b32_e32 v20, 0
	v_cmp_ne_u16_sdwa s[8:9], v21, v20 src0_sel:BYTE_0 src1_sel:DWORD
	s_andn2_b64 s[4:5], s[4:5], exec
	s_and_b64 s[8:9], s[8:9], exec
	s_or_b64 s[4:5], s[4:5], s[8:9]
	s_or_b64 exec, exec, s[6:7]
	s_and_saveexec_b64 s[6:7], s[4:5]
	s_cbranch_execnz .LBB40_523
	s_branch .LBB40_524
.LBB40_2573:
	s_movk_i32 s4, 0x80
	v_cmp_eq_u16_sdwa s[12:13], v21, s4 src0_sel:BYTE_0 src1_sel:DWORD
	s_mov_b64 s[4:5], -1
                                        ; implicit-def: $sgpr10
	s_and_saveexec_b64 s[8:9], s[12:13]
; %bb.2574:
	s_mov_b32 s10, 0x7f800001
	s_xor_b64 s[4:5], exec, -1
; %bb.2575:
	s_or_b64 exec, exec, s[8:9]
	s_and_b64 s[4:5], s[4:5], exec
	s_or_saveexec_b64 s[6:7], s[6:7]
	v_mov_b32_e32 v22, s10
	s_xor_b64 exec, exec, s[6:7]
	s_cbranch_execz .LBB40_526
.LBB40_2576:
	v_mov_b32_e32 v22, 0
	v_cmp_ne_u16_sdwa s[8:9], v21, v22 src0_sel:BYTE_0 src1_sel:DWORD
	s_andn2_b64 s[4:5], s[4:5], exec
	s_and_b64 s[8:9], s[8:9], exec
	s_or_b64 s[4:5], s[4:5], s[8:9]
	s_or_b64 exec, exec, s[6:7]
	s_and_saveexec_b64 s[6:7], s[4:5]
	s_cbranch_execnz .LBB40_527
	s_branch .LBB40_528
.LBB40_2577:
	s_movk_i32 s4, 0x80
	v_cmp_eq_u16_e32 vcc, s4, v21
	s_mov_b64 s[4:5], -1
                                        ; implicit-def: $sgpr10
	s_and_saveexec_b64 s[8:9], vcc
; %bb.2578:
	s_mov_b32 s10, 0x7f800001
	s_xor_b64 s[4:5], exec, -1
; %bb.2579:
	s_or_b64 exec, exec, s[8:9]
	s_and_b64 s[4:5], s[4:5], exec
                                        ; implicit-def: $vgpr21
	s_or_saveexec_b64 s[6:7], s[6:7]
	v_mov_b32_e32 v20, s10
	s_xor_b64 exec, exec, s[6:7]
	s_cbranch_execz .LBB40_530
.LBB40_2580:
	v_cmp_ne_u16_e32 vcc, 0, v21
	s_andn2_b64 s[4:5], s[4:5], exec
	s_and_b64 s[8:9], vcc, exec
	v_mov_b32_e32 v20, 0
	s_or_b64 s[4:5], s[4:5], s[8:9]
	s_or_b64 exec, exec, s[6:7]
	s_and_saveexec_b64 s[6:7], s[4:5]
	s_cbranch_execnz .LBB40_531
	s_branch .LBB40_532
.LBB40_2581:
	s_movk_i32 s4, 0x80
	v_cmp_eq_u16_e32 vcc, s4, v21
	s_mov_b64 s[4:5], -1
                                        ; implicit-def: $sgpr10
	s_and_saveexec_b64 s[8:9], vcc
; %bb.2582:
	s_mov_b32 s10, 0x7f800001
	s_xor_b64 s[4:5], exec, -1
; %bb.2583:
	s_or_b64 exec, exec, s[8:9]
	s_and_b64 s[4:5], s[4:5], exec
                                        ; implicit-def: $vgpr21
	s_or_saveexec_b64 s[6:7], s[6:7]
	v_mov_b32_e32 v22, s10
	s_xor_b64 exec, exec, s[6:7]
	s_cbranch_execz .LBB40_534
.LBB40_2584:
	v_cmp_ne_u16_e32 vcc, 0, v21
	s_andn2_b64 s[4:5], s[4:5], exec
	s_and_b64 s[8:9], vcc, exec
	v_mov_b32_e32 v22, 0
	s_or_b64 s[4:5], s[4:5], s[8:9]
	s_or_b64 exec, exec, s[6:7]
	s_and_saveexec_b64 s[6:7], s[4:5]
	s_cbranch_execnz .LBB40_535
	s_branch .LBB40_536
.LBB40_2585:
	s_movk_i32 s4, 0x80
	v_cmp_eq_u16_sdwa s[12:13], v14, s4 src0_sel:BYTE_3 src1_sel:DWORD
	s_mov_b64 s[4:5], -1
                                        ; implicit-def: $sgpr10
	s_and_saveexec_b64 s[8:9], s[12:13]
; %bb.2586:
	s_mov_b32 s10, 0x7f800001
	s_xor_b64 s[4:5], exec, -1
; %bb.2587:
	s_or_b64 exec, exec, s[8:9]
	s_and_b64 s[4:5], s[4:5], exec
	s_or_saveexec_b64 s[6:7], s[6:7]
	v_mov_b32_e32 v20, s10
	s_xor_b64 exec, exec, s[6:7]
	s_cbranch_execz .LBB40_538
.LBB40_2588:
	v_mov_b32_e32 v20, 0
	v_cmp_ne_u16_sdwa s[8:9], v14, v20 src0_sel:BYTE_3 src1_sel:DWORD
	s_andn2_b64 s[4:5], s[4:5], exec
	s_and_b64 s[8:9], s[8:9], exec
	s_or_b64 s[4:5], s[4:5], s[8:9]
	s_or_b64 exec, exec, s[6:7]
	s_and_saveexec_b64 s[6:7], s[4:5]
	s_cbranch_execnz .LBB40_539
	s_branch .LBB40_540
.LBB40_2589:
	s_movk_i32 s4, 0x80
	v_cmp_eq_u16_sdwa s[12:13], v10, s4 src0_sel:BYTE_3 src1_sel:DWORD
	s_mov_b64 s[4:5], -1
                                        ; implicit-def: $sgpr10
	s_and_saveexec_b64 s[8:9], s[12:13]
; %bb.2590:
	s_mov_b32 s10, 0x7f800001
	s_xor_b64 s[4:5], exec, -1
; %bb.2591:
	s_or_b64 exec, exec, s[8:9]
	s_and_b64 s[4:5], s[4:5], exec
	s_or_saveexec_b64 s[6:7], s[6:7]
	v_mov_b32_e32 v14, s10
	s_xor_b64 exec, exec, s[6:7]
	s_cbranch_execz .LBB40_542
.LBB40_2592:
	v_mov_b32_e32 v14, 0
	v_cmp_ne_u16_sdwa s[8:9], v10, v14 src0_sel:BYTE_3 src1_sel:DWORD
	s_andn2_b64 s[4:5], s[4:5], exec
	s_and_b64 s[8:9], s[8:9], exec
	s_or_b64 s[4:5], s[4:5], s[8:9]
	s_or_b64 exec, exec, s[6:7]
	s_and_saveexec_b64 s[6:7], s[4:5]
	s_cbranch_execnz .LBB40_543
	s_branch .LBB40_544
.LBB40_2593:
	s_movk_i32 s4, 0x80
	v_cmp_eq_u16_sdwa s[12:13], v15, s4 src0_sel:BYTE_0 src1_sel:DWORD
	s_mov_b64 s[4:5], -1
                                        ; implicit-def: $sgpr10
	s_and_saveexec_b64 s[8:9], s[12:13]
; %bb.2594:
	s_mov_b32 s10, 0x7f800001
	s_xor_b64 s[4:5], exec, -1
; %bb.2595:
	s_or_b64 exec, exec, s[8:9]
	s_and_b64 s[4:5], s[4:5], exec
	s_or_saveexec_b64 s[6:7], s[6:7]
	v_mov_b32_e32 v10, s10
	s_xor_b64 exec, exec, s[6:7]
	s_cbranch_execz .LBB40_546
.LBB40_2596:
	v_mov_b32_e32 v10, 0
	v_cmp_ne_u16_sdwa s[8:9], v15, v10 src0_sel:BYTE_0 src1_sel:DWORD
	s_andn2_b64 s[4:5], s[4:5], exec
	s_and_b64 s[8:9], s[8:9], exec
	s_or_b64 s[4:5], s[4:5], s[8:9]
	s_or_b64 exec, exec, s[6:7]
	s_and_saveexec_b64 s[6:7], s[4:5]
	s_cbranch_execnz .LBB40_547
	s_branch .LBB40_548
.LBB40_2597:
	s_movk_i32 s4, 0x80
	v_cmp_eq_u16_sdwa s[12:13], v11, s4 src0_sel:BYTE_0 src1_sel:DWORD
	s_mov_b64 s[4:5], -1
                                        ; implicit-def: $sgpr10
	s_and_saveexec_b64 s[8:9], s[12:13]
; %bb.2598:
	s_mov_b32 s10, 0x7f800001
	s_xor_b64 s[4:5], exec, -1
; %bb.2599:
	s_or_b64 exec, exec, s[8:9]
	s_and_b64 s[4:5], s[4:5], exec
	s_or_saveexec_b64 s[6:7], s[6:7]
	v_mov_b32_e32 v14, s10
	s_xor_b64 exec, exec, s[6:7]
	s_cbranch_execz .LBB40_550
.LBB40_2600:
	v_mov_b32_e32 v14, 0
	v_cmp_ne_u16_sdwa s[8:9], v11, v14 src0_sel:BYTE_0 src1_sel:DWORD
	s_andn2_b64 s[4:5], s[4:5], exec
	s_and_b64 s[8:9], s[8:9], exec
	s_or_b64 s[4:5], s[4:5], s[8:9]
	s_or_b64 exec, exec, s[6:7]
	s_and_saveexec_b64 s[6:7], s[4:5]
	s_cbranch_execnz .LBB40_551
	s_branch .LBB40_552
.LBB40_2601:
	s_movk_i32 s4, 0x80
	v_cmp_eq_u16_sdwa s[12:13], v14, s4 src0_sel:BYTE_0 src1_sel:DWORD
	s_mov_b64 s[4:5], -1
                                        ; implicit-def: $sgpr10
	s_and_saveexec_b64 s[8:9], s[12:13]
; %bb.2602:
	s_mov_b32 s10, 0x7f800001
	s_xor_b64 s[4:5], exec, -1
; %bb.2603:
	s_or_b64 exec, exec, s[8:9]
	s_and_b64 s[4:5], s[4:5], exec
	s_or_saveexec_b64 s[6:7], s[6:7]
	v_mov_b32_e32 v10, s10
	s_xor_b64 exec, exec, s[6:7]
	s_cbranch_execz .LBB40_554
.LBB40_2604:
	v_mov_b32_e32 v10, 0
	v_cmp_ne_u16_sdwa s[8:9], v14, v10 src0_sel:BYTE_0 src1_sel:DWORD
	s_andn2_b64 s[4:5], s[4:5], exec
	s_and_b64 s[8:9], s[8:9], exec
	s_or_b64 s[4:5], s[4:5], s[8:9]
	s_or_b64 exec, exec, s[6:7]
	s_and_saveexec_b64 s[6:7], s[4:5]
	s_cbranch_execnz .LBB40_555
	s_branch .LBB40_556
.LBB40_2605:
	s_movk_i32 s4, 0x80
	v_cmp_eq_u16_sdwa s[12:13], v14, s4 src0_sel:BYTE_0 src1_sel:DWORD
	s_mov_b64 s[4:5], -1
                                        ; implicit-def: $sgpr10
	s_and_saveexec_b64 s[8:9], s[12:13]
; %bb.2606:
	s_mov_b32 s10, 0x7f800001
	s_xor_b64 s[4:5], exec, -1
; %bb.2607:
	s_or_b64 exec, exec, s[8:9]
	s_and_b64 s[4:5], s[4:5], exec
	s_or_saveexec_b64 s[6:7], s[6:7]
	v_mov_b32_e32 v20, s10
	s_xor_b64 exec, exec, s[6:7]
	s_cbranch_execz .LBB40_558
.LBB40_2608:
	v_mov_b32_e32 v20, 0
	v_cmp_ne_u16_sdwa s[8:9], v14, v20 src0_sel:BYTE_0 src1_sel:DWORD
	s_andn2_b64 s[4:5], s[4:5], exec
	s_and_b64 s[8:9], s[8:9], exec
	s_or_b64 s[4:5], s[4:5], s[8:9]
	s_or_b64 exec, exec, s[6:7]
	s_and_saveexec_b64 s[6:7], s[4:5]
	s_cbranch_execnz .LBB40_559
	s_branch .LBB40_560
.LBB40_2609:
	s_movk_i32 s4, 0x80
	v_cmp_eq_u16_e32 vcc, s4, v14
	s_mov_b64 s[4:5], -1
                                        ; implicit-def: $sgpr10
	s_and_saveexec_b64 s[8:9], vcc
; %bb.2610:
	s_mov_b32 s10, 0x7f800001
	s_xor_b64 s[4:5], exec, -1
; %bb.2611:
	s_or_b64 exec, exec, s[8:9]
	s_and_b64 s[4:5], s[4:5], exec
                                        ; implicit-def: $vgpr14
	s_or_saveexec_b64 s[6:7], s[6:7]
	v_mov_b32_e32 v10, s10
	s_xor_b64 exec, exec, s[6:7]
	s_cbranch_execz .LBB40_562
.LBB40_2612:
	v_cmp_ne_u16_e32 vcc, 0, v14
	s_andn2_b64 s[4:5], s[4:5], exec
	s_and_b64 s[8:9], vcc, exec
	v_mov_b32_e32 v10, 0
	s_or_b64 s[4:5], s[4:5], s[8:9]
	s_or_b64 exec, exec, s[6:7]
	s_and_saveexec_b64 s[6:7], s[4:5]
	s_cbranch_execnz .LBB40_563
	s_branch .LBB40_564
.LBB40_2613:
	s_movk_i32 s4, 0x80
	v_cmp_eq_u16_e32 vcc, s4, v14
	s_mov_b64 s[4:5], -1
                                        ; implicit-def: $sgpr10
	s_and_saveexec_b64 s[8:9], vcc
; %bb.2614:
	s_mov_b32 s10, 0x7f800001
	s_xor_b64 s[4:5], exec, -1
; %bb.2615:
	s_or_b64 exec, exec, s[8:9]
	s_and_b64 s[4:5], s[4:5], exec
                                        ; implicit-def: $vgpr14
	s_or_saveexec_b64 s[6:7], s[6:7]
	v_mov_b32_e32 v20, s10
	s_xor_b64 exec, exec, s[6:7]
	s_cbranch_execz .LBB40_566
.LBB40_2616:
	v_cmp_ne_u16_e32 vcc, 0, v14
	s_andn2_b64 s[4:5], s[4:5], exec
	s_and_b64 s[8:9], vcc, exec
	v_mov_b32_e32 v20, 0
	s_or_b64 s[4:5], s[4:5], s[8:9]
	s_or_b64 exec, exec, s[6:7]
	s_and_saveexec_b64 s[6:7], s[4:5]
	s_cbranch_execnz .LBB40_567
	s_branch .LBB40_568
.LBB40_2617:
	s_movk_i32 s4, 0x80
	v_cmp_eq_u16_sdwa s[12:13], v15, s4 src0_sel:BYTE_3 src1_sel:DWORD
	s_mov_b64 s[4:5], -1
                                        ; implicit-def: $sgpr10
	s_and_saveexec_b64 s[8:9], s[12:13]
; %bb.2618:
	s_mov_b32 s10, 0x7f800001
	s_xor_b64 s[4:5], exec, -1
; %bb.2619:
	s_or_b64 exec, exec, s[8:9]
	s_and_b64 s[4:5], s[4:5], exec
	s_or_saveexec_b64 s[6:7], s[6:7]
	v_mov_b32_e32 v10, s10
	s_xor_b64 exec, exec, s[6:7]
	s_cbranch_execz .LBB40_570
.LBB40_2620:
	v_mov_b32_e32 v10, 0
	v_cmp_ne_u16_sdwa s[8:9], v15, v10 src0_sel:BYTE_3 src1_sel:DWORD
	s_andn2_b64 s[4:5], s[4:5], exec
	s_and_b64 s[8:9], s[8:9], exec
	s_or_b64 s[4:5], s[4:5], s[8:9]
	s_or_b64 exec, exec, s[6:7]
	s_and_saveexec_b64 s[6:7], s[4:5]
	s_cbranch_execnz .LBB40_571
	s_branch .LBB40_572
.LBB40_2621:
	s_movk_i32 s4, 0x80
	v_cmp_eq_u16_sdwa s[12:13], v11, s4 src0_sel:BYTE_3 src1_sel:DWORD
	s_mov_b64 s[4:5], -1
                                        ; implicit-def: $sgpr10
	s_and_saveexec_b64 s[8:9], s[12:13]
; %bb.2622:
	s_mov_b32 s10, 0x7f800001
	s_xor_b64 s[4:5], exec, -1
; %bb.2623:
	s_or_b64 exec, exec, s[8:9]
	s_and_b64 s[4:5], s[4:5], exec
	s_or_saveexec_b64 s[6:7], s[6:7]
	v_mov_b32_e32 v14, s10
	s_xor_b64 exec, exec, s[6:7]
	s_cbranch_execz .LBB40_574
.LBB40_2624:
	v_mov_b32_e32 v14, 0
	v_cmp_ne_u16_sdwa s[8:9], v11, v14 src0_sel:BYTE_3 src1_sel:DWORD
	s_andn2_b64 s[4:5], s[4:5], exec
	s_and_b64 s[8:9], s[8:9], exec
	s_or_b64 s[4:5], s[4:5], s[8:9]
	s_or_b64 exec, exec, s[6:7]
	s_and_saveexec_b64 s[6:7], s[4:5]
	s_cbranch_execnz .LBB40_575
	s_branch .LBB40_576
.LBB40_2625:
	s_movk_i32 s4, 0x80
	v_cmp_eq_u16_sdwa s[12:13], v16, s4 src0_sel:BYTE_0 src1_sel:DWORD
	s_mov_b64 s[4:5], -1
                                        ; implicit-def: $sgpr10
	s_and_saveexec_b64 s[8:9], s[12:13]
; %bb.2626:
	s_mov_b32 s10, 0x7f800001
	s_xor_b64 s[4:5], exec, -1
; %bb.2627:
	s_or_b64 exec, exec, s[8:9]
	s_and_b64 s[4:5], s[4:5], exec
	s_or_saveexec_b64 s[6:7], s[6:7]
	v_mov_b32_e32 v10, s10
	s_xor_b64 exec, exec, s[6:7]
	s_cbranch_execz .LBB40_578
.LBB40_2628:
	v_mov_b32_e32 v10, 0
	v_cmp_ne_u16_sdwa s[8:9], v16, v10 src0_sel:BYTE_0 src1_sel:DWORD
	s_andn2_b64 s[4:5], s[4:5], exec
	s_and_b64 s[8:9], s[8:9], exec
	s_or_b64 s[4:5], s[4:5], s[8:9]
	s_or_b64 exec, exec, s[6:7]
	s_and_saveexec_b64 s[6:7], s[4:5]
	s_cbranch_execnz .LBB40_579
	s_branch .LBB40_580
.LBB40_2629:
	s_movk_i32 s4, 0x80
	v_cmp_eq_u16_sdwa s[12:13], v12, s4 src0_sel:BYTE_0 src1_sel:DWORD
	s_mov_b64 s[4:5], -1
                                        ; implicit-def: $sgpr10
	s_and_saveexec_b64 s[8:9], s[12:13]
; %bb.2630:
	s_mov_b32 s10, 0x7f800001
	s_xor_b64 s[4:5], exec, -1
; %bb.2631:
	s_or_b64 exec, exec, s[8:9]
	s_and_b64 s[4:5], s[4:5], exec
	s_or_saveexec_b64 s[6:7], s[6:7]
	v_mov_b32_e32 v11, s10
	s_xor_b64 exec, exec, s[6:7]
	s_cbranch_execz .LBB40_582
.LBB40_2632:
	v_mov_b32_e32 v11, 0
	v_cmp_ne_u16_sdwa s[8:9], v12, v11 src0_sel:BYTE_0 src1_sel:DWORD
	s_andn2_b64 s[4:5], s[4:5], exec
	s_and_b64 s[8:9], s[8:9], exec
	s_or_b64 s[4:5], s[4:5], s[8:9]
	s_or_b64 exec, exec, s[6:7]
	s_and_saveexec_b64 s[6:7], s[4:5]
	s_cbranch_execnz .LBB40_583
	s_branch .LBB40_584
.LBB40_2633:
	s_movk_i32 s4, 0x80
	v_cmp_eq_u16_sdwa s[12:13], v11, s4 src0_sel:BYTE_0 src1_sel:DWORD
	s_mov_b64 s[4:5], -1
                                        ; implicit-def: $sgpr10
	s_and_saveexec_b64 s[8:9], s[12:13]
; %bb.2634:
	s_mov_b32 s10, 0x7f800001
	s_xor_b64 s[4:5], exec, -1
; %bb.2635:
	s_or_b64 exec, exec, s[8:9]
	s_and_b64 s[4:5], s[4:5], exec
	s_or_saveexec_b64 s[6:7], s[6:7]
	v_mov_b32_e32 v10, s10
	s_xor_b64 exec, exec, s[6:7]
	s_cbranch_execz .LBB40_586
.LBB40_2636:
	v_mov_b32_e32 v10, 0
	v_cmp_ne_u16_sdwa s[8:9], v11, v10 src0_sel:BYTE_0 src1_sel:DWORD
	s_andn2_b64 s[4:5], s[4:5], exec
	s_and_b64 s[8:9], s[8:9], exec
	s_or_b64 s[4:5], s[4:5], s[8:9]
	s_or_b64 exec, exec, s[6:7]
	s_and_saveexec_b64 s[6:7], s[4:5]
	s_cbranch_execnz .LBB40_587
	s_branch .LBB40_588
.LBB40_2637:
	s_movk_i32 s4, 0x80
	v_cmp_eq_u16_sdwa s[12:13], v11, s4 src0_sel:BYTE_0 src1_sel:DWORD
	s_mov_b64 s[4:5], -1
                                        ; implicit-def: $sgpr10
	s_and_saveexec_b64 s[8:9], s[12:13]
; %bb.2638:
	s_mov_b32 s10, 0x7f800001
	s_xor_b64 s[4:5], exec, -1
; %bb.2639:
	s_or_b64 exec, exec, s[8:9]
	s_and_b64 s[4:5], s[4:5], exec
	s_or_saveexec_b64 s[6:7], s[6:7]
	v_mov_b32_e32 v14, s10
	s_xor_b64 exec, exec, s[6:7]
	s_cbranch_execz .LBB40_590
.LBB40_2640:
	v_mov_b32_e32 v14, 0
	v_cmp_ne_u16_sdwa s[8:9], v11, v14 src0_sel:BYTE_0 src1_sel:DWORD
	s_andn2_b64 s[4:5], s[4:5], exec
	s_and_b64 s[8:9], s[8:9], exec
	s_or_b64 s[4:5], s[4:5], s[8:9]
	s_or_b64 exec, exec, s[6:7]
	s_and_saveexec_b64 s[6:7], s[4:5]
	s_cbranch_execnz .LBB40_591
	s_branch .LBB40_592
.LBB40_2641:
	s_movk_i32 s4, 0x80
	v_cmp_eq_u16_e32 vcc, s4, v11
	s_mov_b64 s[4:5], -1
                                        ; implicit-def: $sgpr10
	s_and_saveexec_b64 s[8:9], vcc
; %bb.2642:
	s_mov_b32 s10, 0x7f800001
	s_xor_b64 s[4:5], exec, -1
; %bb.2643:
	s_or_b64 exec, exec, s[8:9]
	s_and_b64 s[4:5], s[4:5], exec
                                        ; implicit-def: $vgpr11
	s_or_saveexec_b64 s[6:7], s[6:7]
	v_mov_b32_e32 v10, s10
	s_xor_b64 exec, exec, s[6:7]
	s_cbranch_execz .LBB40_594
.LBB40_2644:
	v_cmp_ne_u16_e32 vcc, 0, v11
	s_andn2_b64 s[4:5], s[4:5], exec
	s_and_b64 s[8:9], vcc, exec
	v_mov_b32_e32 v10, 0
	s_or_b64 s[4:5], s[4:5], s[8:9]
	s_or_b64 exec, exec, s[6:7]
	s_and_saveexec_b64 s[6:7], s[4:5]
	s_cbranch_execnz .LBB40_595
	s_branch .LBB40_596
.LBB40_2645:
	s_movk_i32 s4, 0x80
	v_cmp_eq_u16_e32 vcc, s4, v11
	s_mov_b64 s[4:5], -1
                                        ; implicit-def: $sgpr10
	s_and_saveexec_b64 s[8:9], vcc
; %bb.2646:
	s_mov_b32 s10, 0x7f800001
	s_xor_b64 s[4:5], exec, -1
; %bb.2647:
	s_or_b64 exec, exec, s[8:9]
	s_and_b64 s[4:5], s[4:5], exec
                                        ; implicit-def: $vgpr11
	s_or_saveexec_b64 s[6:7], s[6:7]
	v_mov_b32_e32 v14, s10
	s_xor_b64 exec, exec, s[6:7]
	s_cbranch_execz .LBB40_598
.LBB40_2648:
	v_cmp_ne_u16_e32 vcc, 0, v11
	s_andn2_b64 s[4:5], s[4:5], exec
	s_and_b64 s[8:9], vcc, exec
	v_mov_b32_e32 v14, 0
	s_or_b64 s[4:5], s[4:5], s[8:9]
	s_or_b64 exec, exec, s[6:7]
	s_and_saveexec_b64 s[6:7], s[4:5]
	s_cbranch_execnz .LBB40_599
	s_branch .LBB40_600
.LBB40_2649:
	s_movk_i32 s4, 0x80
	v_cmp_eq_u16_sdwa s[12:13], v16, s4 src0_sel:BYTE_3 src1_sel:DWORD
	s_mov_b64 s[4:5], -1
                                        ; implicit-def: $sgpr10
	s_and_saveexec_b64 s[8:9], s[12:13]
; %bb.2650:
	s_mov_b32 s10, 0x7f800001
	s_xor_b64 s[4:5], exec, -1
; %bb.2651:
	s_or_b64 exec, exec, s[8:9]
	s_and_b64 s[4:5], s[4:5], exec
	s_or_saveexec_b64 s[6:7], s[6:7]
	v_mov_b32_e32 v10, s10
	s_xor_b64 exec, exec, s[6:7]
	s_cbranch_execz .LBB40_602
.LBB40_2652:
	v_mov_b32_e32 v10, 0
	v_cmp_ne_u16_sdwa s[8:9], v16, v10 src0_sel:BYTE_3 src1_sel:DWORD
	s_andn2_b64 s[4:5], s[4:5], exec
	s_and_b64 s[8:9], s[8:9], exec
	s_or_b64 s[4:5], s[4:5], s[8:9]
	s_or_b64 exec, exec, s[6:7]
	s_and_saveexec_b64 s[6:7], s[4:5]
	s_cbranch_execnz .LBB40_603
	s_branch .LBB40_604
.LBB40_2653:
	s_movk_i32 s4, 0x80
	v_cmp_eq_u16_sdwa s[12:13], v12, s4 src0_sel:BYTE_3 src1_sel:DWORD
	s_mov_b64 s[4:5], -1
                                        ; implicit-def: $sgpr10
	s_and_saveexec_b64 s[8:9], s[12:13]
; %bb.2654:
	s_mov_b32 s10, 0x7f800001
	s_xor_b64 s[4:5], exec, -1
; %bb.2655:
	s_or_b64 exec, exec, s[8:9]
	s_and_b64 s[4:5], s[4:5], exec
	s_or_saveexec_b64 s[6:7], s[6:7]
	v_mov_b32_e32 v11, s10
	s_xor_b64 exec, exec, s[6:7]
	s_cbranch_execz .LBB40_606
.LBB40_2656:
	v_mov_b32_e32 v11, 0
	v_cmp_ne_u16_sdwa s[8:9], v12, v11 src0_sel:BYTE_3 src1_sel:DWORD
	s_andn2_b64 s[4:5], s[4:5], exec
	s_and_b64 s[8:9], s[8:9], exec
	s_or_b64 s[4:5], s[4:5], s[8:9]
	s_or_b64 exec, exec, s[6:7]
	s_and_saveexec_b64 s[6:7], s[4:5]
	s_cbranch_execnz .LBB40_607
	s_branch .LBB40_608
.LBB40_2657:
	s_movk_i32 s4, 0x80
	v_cmp_eq_u16_sdwa s[12:13], v17, s4 src0_sel:BYTE_0 src1_sel:DWORD
	s_mov_b64 s[4:5], -1
                                        ; implicit-def: $sgpr10
	s_and_saveexec_b64 s[8:9], s[12:13]
; %bb.2658:
	s_mov_b32 s10, 0x7f800001
	s_xor_b64 s[4:5], exec, -1
; %bb.2659:
	s_or_b64 exec, exec, s[8:9]
	s_and_b64 s[4:5], s[4:5], exec
	s_or_saveexec_b64 s[6:7], s[6:7]
	v_mov_b32_e32 v10, s10
	s_xor_b64 exec, exec, s[6:7]
	s_cbranch_execz .LBB40_610
.LBB40_2660:
	v_mov_b32_e32 v10, 0
	v_cmp_ne_u16_sdwa s[8:9], v17, v10 src0_sel:BYTE_0 src1_sel:DWORD
	s_andn2_b64 s[4:5], s[4:5], exec
	s_and_b64 s[8:9], s[8:9], exec
	s_or_b64 s[4:5], s[4:5], s[8:9]
	s_or_b64 exec, exec, s[6:7]
	s_and_saveexec_b64 s[6:7], s[4:5]
	s_cbranch_execnz .LBB40_611
	s_branch .LBB40_612
.LBB40_2661:
	s_movk_i32 s4, 0x80
	v_cmp_eq_u16_sdwa s[12:13], v13, s4 src0_sel:BYTE_0 src1_sel:DWORD
	s_mov_b64 s[4:5], -1
                                        ; implicit-def: $sgpr10
	s_and_saveexec_b64 s[8:9], s[12:13]
; %bb.2662:
	s_mov_b32 s10, 0x7f800001
	s_xor_b64 s[4:5], exec, -1
; %bb.2663:
	s_or_b64 exec, exec, s[8:9]
	s_and_b64 s[4:5], s[4:5], exec
	s_or_saveexec_b64 s[6:7], s[6:7]
	v_mov_b32_e32 v11, s10
	s_xor_b64 exec, exec, s[6:7]
	s_cbranch_execz .LBB40_614
.LBB40_2664:
	v_mov_b32_e32 v11, 0
	v_cmp_ne_u16_sdwa s[8:9], v13, v11 src0_sel:BYTE_0 src1_sel:DWORD
	s_andn2_b64 s[4:5], s[4:5], exec
	s_and_b64 s[8:9], s[8:9], exec
	s_or_b64 s[4:5], s[4:5], s[8:9]
	s_or_b64 exec, exec, s[6:7]
	s_and_saveexec_b64 s[6:7], s[4:5]
	s_cbranch_execnz .LBB40_615
	s_branch .LBB40_616
.LBB40_2665:
	s_movk_i32 s4, 0x80
	v_cmp_eq_u16_sdwa s[12:13], v11, s4 src0_sel:BYTE_0 src1_sel:DWORD
	s_mov_b64 s[4:5], -1
                                        ; implicit-def: $sgpr10
	s_and_saveexec_b64 s[8:9], s[12:13]
; %bb.2666:
	s_mov_b32 s10, 0x7f800001
	s_xor_b64 s[4:5], exec, -1
; %bb.2667:
	s_or_b64 exec, exec, s[8:9]
	s_and_b64 s[4:5], s[4:5], exec
	s_or_saveexec_b64 s[6:7], s[6:7]
	v_mov_b32_e32 v10, s10
	s_xor_b64 exec, exec, s[6:7]
	s_cbranch_execz .LBB40_618
.LBB40_2668:
	v_mov_b32_e32 v10, 0
	v_cmp_ne_u16_sdwa s[8:9], v11, v10 src0_sel:BYTE_0 src1_sel:DWORD
	s_andn2_b64 s[4:5], s[4:5], exec
	s_and_b64 s[8:9], s[8:9], exec
	s_or_b64 s[4:5], s[4:5], s[8:9]
	s_or_b64 exec, exec, s[6:7]
	s_and_saveexec_b64 s[6:7], s[4:5]
	s_cbranch_execnz .LBB40_619
	s_branch .LBB40_620
.LBB40_2669:
	s_movk_i32 s4, 0x80
	v_cmp_eq_u16_sdwa s[12:13], v11, s4 src0_sel:BYTE_0 src1_sel:DWORD
	s_mov_b64 s[4:5], -1
                                        ; implicit-def: $sgpr10
	s_and_saveexec_b64 s[8:9], s[12:13]
; %bb.2670:
	s_mov_b32 s10, 0x7f800001
	s_xor_b64 s[4:5], exec, -1
; %bb.2671:
	s_or_b64 exec, exec, s[8:9]
	s_and_b64 s[4:5], s[4:5], exec
	s_or_saveexec_b64 s[6:7], s[6:7]
	v_mov_b32_e32 v12, s10
	s_xor_b64 exec, exec, s[6:7]
	s_cbranch_execz .LBB40_622
.LBB40_2672:
	v_mov_b32_e32 v12, 0
	v_cmp_ne_u16_sdwa s[8:9], v11, v12 src0_sel:BYTE_0 src1_sel:DWORD
	s_andn2_b64 s[4:5], s[4:5], exec
	s_and_b64 s[8:9], s[8:9], exec
	s_or_b64 s[4:5], s[4:5], s[8:9]
	s_or_b64 exec, exec, s[6:7]
	s_and_saveexec_b64 s[6:7], s[4:5]
	s_cbranch_execnz .LBB40_623
	s_branch .LBB40_624
.LBB40_2673:
	s_movk_i32 s4, 0x80
	v_cmp_eq_u16_e32 vcc, s4, v11
	s_mov_b64 s[4:5], -1
                                        ; implicit-def: $sgpr10
	s_and_saveexec_b64 s[8:9], vcc
; %bb.2674:
	s_mov_b32 s10, 0x7f800001
	s_xor_b64 s[4:5], exec, -1
; %bb.2675:
	s_or_b64 exec, exec, s[8:9]
	s_and_b64 s[4:5], s[4:5], exec
                                        ; implicit-def: $vgpr11
	s_or_saveexec_b64 s[6:7], s[6:7]
	v_mov_b32_e32 v10, s10
	s_xor_b64 exec, exec, s[6:7]
	s_cbranch_execz .LBB40_626
.LBB40_2676:
	v_cmp_ne_u16_e32 vcc, 0, v11
	s_andn2_b64 s[4:5], s[4:5], exec
	s_and_b64 s[8:9], vcc, exec
	v_mov_b32_e32 v10, 0
	s_or_b64 s[4:5], s[4:5], s[8:9]
	s_or_b64 exec, exec, s[6:7]
	s_and_saveexec_b64 s[6:7], s[4:5]
	s_cbranch_execnz .LBB40_627
	s_branch .LBB40_628
.LBB40_2677:
	s_movk_i32 s4, 0x80
	v_cmp_eq_u16_e32 vcc, s4, v11
	s_mov_b64 s[4:5], -1
                                        ; implicit-def: $sgpr10
	s_and_saveexec_b64 s[8:9], vcc
; %bb.2678:
	s_mov_b32 s10, 0x7f800001
	s_xor_b64 s[4:5], exec, -1
; %bb.2679:
	s_or_b64 exec, exec, s[8:9]
	s_and_b64 s[4:5], s[4:5], exec
                                        ; implicit-def: $vgpr11
	s_or_saveexec_b64 s[6:7], s[6:7]
	v_mov_b32_e32 v12, s10
	s_xor_b64 exec, exec, s[6:7]
	s_cbranch_execz .LBB40_630
.LBB40_2680:
	v_cmp_ne_u16_e32 vcc, 0, v11
	s_andn2_b64 s[4:5], s[4:5], exec
	s_and_b64 s[8:9], vcc, exec
	v_mov_b32_e32 v12, 0
	s_or_b64 s[4:5], s[4:5], s[8:9]
	s_or_b64 exec, exec, s[6:7]
	s_and_saveexec_b64 s[6:7], s[4:5]
	s_cbranch_execnz .LBB40_631
	s_branch .LBB40_632
.LBB40_2681:
	s_movk_i32 s4, 0x80
	v_cmp_eq_u16_sdwa s[12:13], v17, s4 src0_sel:BYTE_3 src1_sel:DWORD
	s_mov_b64 s[4:5], -1
                                        ; implicit-def: $sgpr10
	s_and_saveexec_b64 s[8:9], s[12:13]
; %bb.2682:
	s_mov_b32 s10, 0x7f800001
	s_xor_b64 s[4:5], exec, -1
; %bb.2683:
	s_or_b64 exec, exec, s[8:9]
	s_and_b64 s[4:5], s[4:5], exec
	s_or_saveexec_b64 s[6:7], s[6:7]
	v_mov_b32_e32 v10, s10
	s_xor_b64 exec, exec, s[6:7]
	s_cbranch_execz .LBB40_634
.LBB40_2684:
	v_mov_b32_e32 v10, 0
	v_cmp_ne_u16_sdwa s[8:9], v17, v10 src0_sel:BYTE_3 src1_sel:DWORD
	s_andn2_b64 s[4:5], s[4:5], exec
	s_and_b64 s[8:9], s[8:9], exec
	s_or_b64 s[4:5], s[4:5], s[8:9]
	s_or_b64 exec, exec, s[6:7]
	s_and_saveexec_b64 s[6:7], s[4:5]
	s_cbranch_execnz .LBB40_635
	s_branch .LBB40_636
.LBB40_2685:
	s_movk_i32 s4, 0x80
	v_cmp_eq_u16_sdwa s[12:13], v13, s4 src0_sel:BYTE_3 src1_sel:DWORD
	s_mov_b64 s[4:5], -1
                                        ; implicit-def: $sgpr10
	s_and_saveexec_b64 s[8:9], s[12:13]
; %bb.2686:
	s_mov_b32 s10, 0x7f800001
	s_xor_b64 s[4:5], exec, -1
; %bb.2687:
	s_or_b64 exec, exec, s[8:9]
	s_and_b64 s[4:5], s[4:5], exec
	s_or_saveexec_b64 s[6:7], s[6:7]
	v_mov_b32_e32 v11, s10
	s_xor_b64 exec, exec, s[6:7]
	s_cbranch_execz .LBB40_638
.LBB40_2688:
	v_mov_b32_e32 v11, 0
	v_cmp_ne_u16_sdwa s[8:9], v13, v11 src0_sel:BYTE_3 src1_sel:DWORD
	s_andn2_b64 s[4:5], s[4:5], exec
	s_and_b64 s[8:9], s[8:9], exec
	s_or_b64 s[4:5], s[4:5], s[8:9]
	s_or_b64 exec, exec, s[6:7]
	s_and_saveexec_b64 s[6:7], s[4:5]
	s_cbranch_execnz .LBB40_639
	s_branch .LBB40_640
.LBB40_2689:
	s_movk_i32 s4, 0x80
	v_cmp_eq_u16_sdwa s[12:13], v6, s4 src0_sel:BYTE_0 src1_sel:DWORD
	s_mov_b64 s[4:5], -1
                                        ; implicit-def: $sgpr10
	s_and_saveexec_b64 s[8:9], s[12:13]
; %bb.2690:
	s_mov_b32 s10, 0x7f800001
	s_xor_b64 s[4:5], exec, -1
; %bb.2691:
	s_or_b64 exec, exec, s[8:9]
	s_and_b64 s[4:5], s[4:5], exec
	s_or_saveexec_b64 s[6:7], s[6:7]
	v_mov_b32_e32 v10, s10
	s_xor_b64 exec, exec, s[6:7]
	s_cbranch_execz .LBB40_642
.LBB40_2692:
	v_mov_b32_e32 v10, 0
	v_cmp_ne_u16_sdwa s[8:9], v6, v10 src0_sel:BYTE_0 src1_sel:DWORD
	s_andn2_b64 s[4:5], s[4:5], exec
	s_and_b64 s[8:9], s[8:9], exec
	s_or_b64 s[4:5], s[4:5], s[8:9]
	s_or_b64 exec, exec, s[6:7]
	s_and_saveexec_b64 s[6:7], s[4:5]
	s_cbranch_execnz .LBB40_643
	s_branch .LBB40_644
.LBB40_2693:
	s_movk_i32 s4, 0x80
	v_cmp_eq_u16_sdwa s[12:13], v2, s4 src0_sel:BYTE_0 src1_sel:DWORD
	s_mov_b64 s[4:5], -1
                                        ; implicit-def: $sgpr10
	s_and_saveexec_b64 s[8:9], s[12:13]
; %bb.2694:
	s_mov_b32 s10, 0x7f800001
	s_xor_b64 s[4:5], exec, -1
; %bb.2695:
	s_or_b64 exec, exec, s[8:9]
	s_and_b64 s[4:5], s[4:5], exec
	s_or_saveexec_b64 s[6:7], s[6:7]
	v_mov_b32_e32 v11, s10
	s_xor_b64 exec, exec, s[6:7]
	s_cbranch_execz .LBB40_646
.LBB40_2696:
	v_mov_b32_e32 v11, 0
	v_cmp_ne_u16_sdwa s[8:9], v2, v11 src0_sel:BYTE_0 src1_sel:DWORD
	s_andn2_b64 s[4:5], s[4:5], exec
	s_and_b64 s[8:9], s[8:9], exec
	s_or_b64 s[4:5], s[4:5], s[8:9]
	s_or_b64 exec, exec, s[6:7]
	s_and_saveexec_b64 s[6:7], s[4:5]
	s_cbranch_execnz .LBB40_647
	s_branch .LBB40_648
.LBB40_2697:
	s_movk_i32 s4, 0x80
	v_cmp_eq_u16_sdwa s[12:13], v11, s4 src0_sel:BYTE_0 src1_sel:DWORD
	s_mov_b64 s[4:5], -1
                                        ; implicit-def: $sgpr10
	s_and_saveexec_b64 s[8:9], s[12:13]
; %bb.2698:
	s_mov_b32 s10, 0x7f800001
	s_xor_b64 s[4:5], exec, -1
; %bb.2699:
	s_or_b64 exec, exec, s[8:9]
	s_and_b64 s[4:5], s[4:5], exec
	s_or_saveexec_b64 s[6:7], s[6:7]
	v_mov_b32_e32 v10, s10
	s_xor_b64 exec, exec, s[6:7]
	s_cbranch_execz .LBB40_650
.LBB40_2700:
	v_mov_b32_e32 v10, 0
	v_cmp_ne_u16_sdwa s[8:9], v11, v10 src0_sel:BYTE_0 src1_sel:DWORD
	s_andn2_b64 s[4:5], s[4:5], exec
	s_and_b64 s[8:9], s[8:9], exec
	s_or_b64 s[4:5], s[4:5], s[8:9]
	s_or_b64 exec, exec, s[6:7]
	s_and_saveexec_b64 s[6:7], s[4:5]
	s_cbranch_execnz .LBB40_651
	s_branch .LBB40_652
.LBB40_2701:
	s_movk_i32 s4, 0x80
	v_cmp_eq_u16_sdwa s[12:13], v11, s4 src0_sel:BYTE_0 src1_sel:DWORD
	s_mov_b64 s[4:5], -1
                                        ; implicit-def: $sgpr10
	s_and_saveexec_b64 s[8:9], s[12:13]
; %bb.2702:
	s_mov_b32 s10, 0x7f800001
	s_xor_b64 s[4:5], exec, -1
; %bb.2703:
	s_or_b64 exec, exec, s[8:9]
	s_and_b64 s[4:5], s[4:5], exec
	s_or_saveexec_b64 s[6:7], s[6:7]
	v_mov_b32_e32 v12, s10
	s_xor_b64 exec, exec, s[6:7]
	s_cbranch_execz .LBB40_654
.LBB40_2704:
	v_mov_b32_e32 v12, 0
	v_cmp_ne_u16_sdwa s[8:9], v11, v12 src0_sel:BYTE_0 src1_sel:DWORD
	s_andn2_b64 s[4:5], s[4:5], exec
	s_and_b64 s[8:9], s[8:9], exec
	s_or_b64 s[4:5], s[4:5], s[8:9]
	s_or_b64 exec, exec, s[6:7]
	s_and_saveexec_b64 s[6:7], s[4:5]
	s_cbranch_execnz .LBB40_655
	s_branch .LBB40_656
.LBB40_2705:
	s_movk_i32 s4, 0x80
	v_cmp_eq_u16_e32 vcc, s4, v11
	s_mov_b64 s[4:5], -1
                                        ; implicit-def: $sgpr10
	s_and_saveexec_b64 s[8:9], vcc
; %bb.2706:
	s_mov_b32 s10, 0x7f800001
	s_xor_b64 s[4:5], exec, -1
; %bb.2707:
	s_or_b64 exec, exec, s[8:9]
	s_and_b64 s[4:5], s[4:5], exec
                                        ; implicit-def: $vgpr11
	s_or_saveexec_b64 s[6:7], s[6:7]
	v_mov_b32_e32 v10, s10
	s_xor_b64 exec, exec, s[6:7]
	s_cbranch_execz .LBB40_658
.LBB40_2708:
	v_cmp_ne_u16_e32 vcc, 0, v11
	s_andn2_b64 s[4:5], s[4:5], exec
	s_and_b64 s[8:9], vcc, exec
	v_mov_b32_e32 v10, 0
	s_or_b64 s[4:5], s[4:5], s[8:9]
	s_or_b64 exec, exec, s[6:7]
	s_and_saveexec_b64 s[6:7], s[4:5]
	s_cbranch_execnz .LBB40_659
	s_branch .LBB40_660
.LBB40_2709:
	s_movk_i32 s4, 0x80
	v_cmp_eq_u16_e32 vcc, s4, v11
	s_mov_b64 s[4:5], -1
                                        ; implicit-def: $sgpr10
	s_and_saveexec_b64 s[8:9], vcc
; %bb.2710:
	s_mov_b32 s10, 0x7f800001
	s_xor_b64 s[4:5], exec, -1
; %bb.2711:
	s_or_b64 exec, exec, s[8:9]
	s_and_b64 s[4:5], s[4:5], exec
                                        ; implicit-def: $vgpr11
	s_or_saveexec_b64 s[6:7], s[6:7]
	v_mov_b32_e32 v12, s10
	s_xor_b64 exec, exec, s[6:7]
	s_cbranch_execz .LBB40_662
.LBB40_2712:
	v_cmp_ne_u16_e32 vcc, 0, v11
	s_andn2_b64 s[4:5], s[4:5], exec
	s_and_b64 s[8:9], vcc, exec
	v_mov_b32_e32 v12, 0
	s_or_b64 s[4:5], s[4:5], s[8:9]
	s_or_b64 exec, exec, s[6:7]
	s_and_saveexec_b64 s[6:7], s[4:5]
	s_cbranch_execnz .LBB40_663
	s_branch .LBB40_664
.LBB40_2713:
	s_movk_i32 s4, 0x80
	v_cmp_eq_u16_sdwa s[12:13], v6, s4 src0_sel:BYTE_3 src1_sel:DWORD
	s_mov_b64 s[4:5], -1
                                        ; implicit-def: $sgpr10
	s_and_saveexec_b64 s[8:9], s[12:13]
; %bb.2714:
	s_mov_b32 s10, 0x7f800001
	s_xor_b64 s[4:5], exec, -1
; %bb.2715:
	s_or_b64 exec, exec, s[8:9]
	s_and_b64 s[4:5], s[4:5], exec
	s_or_saveexec_b64 s[6:7], s[6:7]
	v_mov_b32_e32 v10, s10
	s_xor_b64 exec, exec, s[6:7]
	s_cbranch_execz .LBB40_666
.LBB40_2716:
	v_mov_b32_e32 v10, 0
	v_cmp_ne_u16_sdwa s[8:9], v6, v10 src0_sel:BYTE_3 src1_sel:DWORD
	s_andn2_b64 s[4:5], s[4:5], exec
	s_and_b64 s[8:9], s[8:9], exec
	s_or_b64 s[4:5], s[4:5], s[8:9]
	s_or_b64 exec, exec, s[6:7]
	s_and_saveexec_b64 s[6:7], s[4:5]
	s_cbranch_execnz .LBB40_667
	s_branch .LBB40_668
.LBB40_2717:
	s_movk_i32 s4, 0x80
	v_cmp_eq_u16_sdwa s[12:13], v2, s4 src0_sel:BYTE_3 src1_sel:DWORD
	s_mov_b64 s[4:5], -1
                                        ; implicit-def: $sgpr10
	s_and_saveexec_b64 s[8:9], s[12:13]
; %bb.2718:
	s_mov_b32 s10, 0x7f800001
	s_xor_b64 s[4:5], exec, -1
; %bb.2719:
	s_or_b64 exec, exec, s[8:9]
	s_and_b64 s[4:5], s[4:5], exec
	s_or_saveexec_b64 s[6:7], s[6:7]
	v_mov_b32_e32 v6, s10
	s_xor_b64 exec, exec, s[6:7]
	s_cbranch_execz .LBB40_670
.LBB40_2720:
	v_mov_b32_e32 v6, 0
	v_cmp_ne_u16_sdwa s[8:9], v2, v6 src0_sel:BYTE_3 src1_sel:DWORD
	s_andn2_b64 s[4:5], s[4:5], exec
	s_and_b64 s[8:9], s[8:9], exec
	s_or_b64 s[4:5], s[4:5], s[8:9]
	s_or_b64 exec, exec, s[6:7]
	s_and_saveexec_b64 s[6:7], s[4:5]
	s_cbranch_execnz .LBB40_671
	s_branch .LBB40_672
.LBB40_2721:
	s_movk_i32 s4, 0x80
	v_cmp_eq_u16_sdwa s[12:13], v7, s4 src0_sel:BYTE_0 src1_sel:DWORD
	s_mov_b64 s[4:5], -1
                                        ; implicit-def: $sgpr10
	s_and_saveexec_b64 s[8:9], s[12:13]
; %bb.2722:
	s_mov_b32 s10, 0x7f800001
	s_xor_b64 s[4:5], exec, -1
; %bb.2723:
	s_or_b64 exec, exec, s[8:9]
	s_and_b64 s[4:5], s[4:5], exec
	s_or_saveexec_b64 s[6:7], s[6:7]
	v_mov_b32_e32 v2, s10
	s_xor_b64 exec, exec, s[6:7]
	s_cbranch_execz .LBB40_674
.LBB40_2724:
	v_mov_b32_e32 v2, 0
	v_cmp_ne_u16_sdwa s[8:9], v7, v2 src0_sel:BYTE_0 src1_sel:DWORD
	s_andn2_b64 s[4:5], s[4:5], exec
	s_and_b64 s[8:9], s[8:9], exec
	s_or_b64 s[4:5], s[4:5], s[8:9]
	s_or_b64 exec, exec, s[6:7]
	s_and_saveexec_b64 s[6:7], s[4:5]
	s_cbranch_execnz .LBB40_675
	s_branch .LBB40_676
.LBB40_2725:
	s_movk_i32 s4, 0x80
	v_cmp_eq_u16_sdwa s[12:13], v3, s4 src0_sel:BYTE_0 src1_sel:DWORD
	s_mov_b64 s[4:5], -1
                                        ; implicit-def: $sgpr10
	s_and_saveexec_b64 s[8:9], s[12:13]
; %bb.2726:
	s_mov_b32 s10, 0x7f800001
	s_xor_b64 s[4:5], exec, -1
; %bb.2727:
	s_or_b64 exec, exec, s[8:9]
	s_and_b64 s[4:5], s[4:5], exec
	s_or_saveexec_b64 s[6:7], s[6:7]
	v_mov_b32_e32 v6, s10
	s_xor_b64 exec, exec, s[6:7]
	s_cbranch_execz .LBB40_678
.LBB40_2728:
	v_mov_b32_e32 v6, 0
	v_cmp_ne_u16_sdwa s[8:9], v3, v6 src0_sel:BYTE_0 src1_sel:DWORD
	s_andn2_b64 s[4:5], s[4:5], exec
	s_and_b64 s[8:9], s[8:9], exec
	s_or_b64 s[4:5], s[4:5], s[8:9]
	s_or_b64 exec, exec, s[6:7]
	s_and_saveexec_b64 s[6:7], s[4:5]
	s_cbranch_execnz .LBB40_679
	s_branch .LBB40_680
.LBB40_2729:
	s_movk_i32 s4, 0x80
	v_cmp_eq_u16_sdwa s[12:13], v6, s4 src0_sel:BYTE_0 src1_sel:DWORD
	s_mov_b64 s[4:5], -1
                                        ; implicit-def: $sgpr10
	s_and_saveexec_b64 s[8:9], s[12:13]
; %bb.2730:
	s_mov_b32 s10, 0x7f800001
	s_xor_b64 s[4:5], exec, -1
; %bb.2731:
	s_or_b64 exec, exec, s[8:9]
	s_and_b64 s[4:5], s[4:5], exec
	s_or_saveexec_b64 s[6:7], s[6:7]
	v_mov_b32_e32 v2, s10
	s_xor_b64 exec, exec, s[6:7]
	s_cbranch_execz .LBB40_682
.LBB40_2732:
	v_mov_b32_e32 v2, 0
	v_cmp_ne_u16_sdwa s[8:9], v6, v2 src0_sel:BYTE_0 src1_sel:DWORD
	s_andn2_b64 s[4:5], s[4:5], exec
	s_and_b64 s[8:9], s[8:9], exec
	s_or_b64 s[4:5], s[4:5], s[8:9]
	s_or_b64 exec, exec, s[6:7]
	s_and_saveexec_b64 s[6:7], s[4:5]
	s_cbranch_execnz .LBB40_683
	s_branch .LBB40_684
.LBB40_2733:
	s_movk_i32 s4, 0x80
	v_cmp_eq_u16_sdwa s[12:13], v6, s4 src0_sel:BYTE_0 src1_sel:DWORD
	s_mov_b64 s[4:5], -1
                                        ; implicit-def: $sgpr10
	s_and_saveexec_b64 s[8:9], s[12:13]
; %bb.2734:
	s_mov_b32 s10, 0x7f800001
	s_xor_b64 s[4:5], exec, -1
; %bb.2735:
	s_or_b64 exec, exec, s[8:9]
	s_and_b64 s[4:5], s[4:5], exec
	s_or_saveexec_b64 s[6:7], s[6:7]
	v_mov_b32_e32 v10, s10
	s_xor_b64 exec, exec, s[6:7]
	s_cbranch_execz .LBB40_686
.LBB40_2736:
	v_mov_b32_e32 v10, 0
	v_cmp_ne_u16_sdwa s[8:9], v6, v10 src0_sel:BYTE_0 src1_sel:DWORD
	s_andn2_b64 s[4:5], s[4:5], exec
	s_and_b64 s[8:9], s[8:9], exec
	s_or_b64 s[4:5], s[4:5], s[8:9]
	s_or_b64 exec, exec, s[6:7]
	s_and_saveexec_b64 s[6:7], s[4:5]
	s_cbranch_execnz .LBB40_687
	s_branch .LBB40_688
.LBB40_2737:
	s_movk_i32 s4, 0x80
	v_cmp_eq_u16_e32 vcc, s4, v6
	s_mov_b64 s[4:5], -1
                                        ; implicit-def: $sgpr10
	s_and_saveexec_b64 s[8:9], vcc
; %bb.2738:
	s_mov_b32 s10, 0x7f800001
	s_xor_b64 s[4:5], exec, -1
; %bb.2739:
	s_or_b64 exec, exec, s[8:9]
	s_and_b64 s[4:5], s[4:5], exec
                                        ; implicit-def: $vgpr6
	s_or_saveexec_b64 s[6:7], s[6:7]
	v_mov_b32_e32 v2, s10
	s_xor_b64 exec, exec, s[6:7]
	s_cbranch_execz .LBB40_690
.LBB40_2740:
	v_cmp_ne_u16_e32 vcc, 0, v6
	s_andn2_b64 s[4:5], s[4:5], exec
	s_and_b64 s[8:9], vcc, exec
	v_mov_b32_e32 v2, 0
	s_or_b64 s[4:5], s[4:5], s[8:9]
	s_or_b64 exec, exec, s[6:7]
	s_and_saveexec_b64 s[6:7], s[4:5]
	s_cbranch_execnz .LBB40_691
	s_branch .LBB40_692
.LBB40_2741:
	s_movk_i32 s4, 0x80
	v_cmp_eq_u16_e32 vcc, s4, v6
	s_mov_b64 s[4:5], -1
                                        ; implicit-def: $sgpr10
	s_and_saveexec_b64 s[8:9], vcc
; %bb.2742:
	s_mov_b32 s10, 0x7f800001
	s_xor_b64 s[4:5], exec, -1
; %bb.2743:
	s_or_b64 exec, exec, s[8:9]
	s_and_b64 s[4:5], s[4:5], exec
                                        ; implicit-def: $vgpr6
	s_or_saveexec_b64 s[6:7], s[6:7]
	v_mov_b32_e32 v10, s10
	s_xor_b64 exec, exec, s[6:7]
	s_cbranch_execz .LBB40_694
.LBB40_2744:
	v_cmp_ne_u16_e32 vcc, 0, v6
	s_andn2_b64 s[4:5], s[4:5], exec
	s_and_b64 s[8:9], vcc, exec
	v_mov_b32_e32 v10, 0
	s_or_b64 s[4:5], s[4:5], s[8:9]
	s_or_b64 exec, exec, s[6:7]
	s_and_saveexec_b64 s[6:7], s[4:5]
	s_cbranch_execnz .LBB40_695
	s_branch .LBB40_696
.LBB40_2745:
	s_movk_i32 s4, 0x80
	v_cmp_eq_u16_sdwa s[12:13], v7, s4 src0_sel:BYTE_3 src1_sel:DWORD
	s_mov_b64 s[4:5], -1
                                        ; implicit-def: $sgpr10
	s_and_saveexec_b64 s[8:9], s[12:13]
; %bb.2746:
	s_mov_b32 s10, 0x7f800001
	s_xor_b64 s[4:5], exec, -1
; %bb.2747:
	s_or_b64 exec, exec, s[8:9]
	s_and_b64 s[4:5], s[4:5], exec
	s_or_saveexec_b64 s[6:7], s[6:7]
	v_mov_b32_e32 v2, s10
	s_xor_b64 exec, exec, s[6:7]
	s_cbranch_execz .LBB40_698
.LBB40_2748:
	v_mov_b32_e32 v2, 0
	v_cmp_ne_u16_sdwa s[8:9], v7, v2 src0_sel:BYTE_3 src1_sel:DWORD
	s_andn2_b64 s[4:5], s[4:5], exec
	s_and_b64 s[8:9], s[8:9], exec
	s_or_b64 s[4:5], s[4:5], s[8:9]
	s_or_b64 exec, exec, s[6:7]
	s_and_saveexec_b64 s[6:7], s[4:5]
	s_cbranch_execnz .LBB40_699
	s_branch .LBB40_700
.LBB40_2749:
	s_movk_i32 s4, 0x80
	v_cmp_eq_u16_sdwa s[12:13], v3, s4 src0_sel:BYTE_3 src1_sel:DWORD
	s_mov_b64 s[4:5], -1
                                        ; implicit-def: $sgpr10
	s_and_saveexec_b64 s[8:9], s[12:13]
; %bb.2750:
	s_mov_b32 s10, 0x7f800001
	s_xor_b64 s[4:5], exec, -1
; %bb.2751:
	s_or_b64 exec, exec, s[8:9]
	s_and_b64 s[4:5], s[4:5], exec
	s_or_saveexec_b64 s[6:7], s[6:7]
	v_mov_b32_e32 v6, s10
	s_xor_b64 exec, exec, s[6:7]
	s_cbranch_execz .LBB40_702
.LBB40_2752:
	v_mov_b32_e32 v6, 0
	v_cmp_ne_u16_sdwa s[8:9], v3, v6 src0_sel:BYTE_3 src1_sel:DWORD
	s_andn2_b64 s[4:5], s[4:5], exec
	s_and_b64 s[8:9], s[8:9], exec
	s_or_b64 s[4:5], s[4:5], s[8:9]
	s_or_b64 exec, exec, s[6:7]
	s_and_saveexec_b64 s[6:7], s[4:5]
	s_cbranch_execnz .LBB40_703
	s_branch .LBB40_704
.LBB40_2753:
	s_movk_i32 s4, 0x80
	v_cmp_eq_u16_sdwa s[12:13], v8, s4 src0_sel:BYTE_0 src1_sel:DWORD
	s_mov_b64 s[4:5], -1
                                        ; implicit-def: $sgpr10
	s_and_saveexec_b64 s[8:9], s[12:13]
; %bb.2754:
	s_mov_b32 s10, 0x7f800001
	s_xor_b64 s[4:5], exec, -1
; %bb.2755:
	s_or_b64 exec, exec, s[8:9]
	s_and_b64 s[4:5], s[4:5], exec
	s_or_saveexec_b64 s[6:7], s[6:7]
	v_mov_b32_e32 v2, s10
	s_xor_b64 exec, exec, s[6:7]
	s_cbranch_execz .LBB40_706
.LBB40_2756:
	v_mov_b32_e32 v2, 0
	v_cmp_ne_u16_sdwa s[8:9], v8, v2 src0_sel:BYTE_0 src1_sel:DWORD
	s_andn2_b64 s[4:5], s[4:5], exec
	s_and_b64 s[8:9], s[8:9], exec
	s_or_b64 s[4:5], s[4:5], s[8:9]
	s_or_b64 exec, exec, s[6:7]
	s_and_saveexec_b64 s[6:7], s[4:5]
	s_cbranch_execnz .LBB40_707
	s_branch .LBB40_708
.LBB40_2757:
	s_movk_i32 s4, 0x80
	v_cmp_eq_u16_sdwa s[12:13], v4, s4 src0_sel:BYTE_0 src1_sel:DWORD
	s_mov_b64 s[4:5], -1
                                        ; implicit-def: $sgpr10
	s_and_saveexec_b64 s[8:9], s[12:13]
; %bb.2758:
	s_mov_b32 s10, 0x7f800001
	s_xor_b64 s[4:5], exec, -1
; %bb.2759:
	s_or_b64 exec, exec, s[8:9]
	s_and_b64 s[4:5], s[4:5], exec
	s_or_saveexec_b64 s[6:7], s[6:7]
	v_mov_b32_e32 v3, s10
	s_xor_b64 exec, exec, s[6:7]
	s_cbranch_execz .LBB40_710
.LBB40_2760:
	v_mov_b32_e32 v3, 0
	v_cmp_ne_u16_sdwa s[8:9], v4, v3 src0_sel:BYTE_0 src1_sel:DWORD
	s_andn2_b64 s[4:5], s[4:5], exec
	s_and_b64 s[8:9], s[8:9], exec
	s_or_b64 s[4:5], s[4:5], s[8:9]
	s_or_b64 exec, exec, s[6:7]
	s_and_saveexec_b64 s[6:7], s[4:5]
	s_cbranch_execnz .LBB40_711
	s_branch .LBB40_712
.LBB40_2761:
	s_movk_i32 s4, 0x80
	v_cmp_eq_u16_sdwa s[12:13], v3, s4 src0_sel:BYTE_0 src1_sel:DWORD
	s_mov_b64 s[4:5], -1
                                        ; implicit-def: $sgpr10
	s_and_saveexec_b64 s[8:9], s[12:13]
; %bb.2762:
	s_mov_b32 s10, 0x7f800001
	s_xor_b64 s[4:5], exec, -1
; %bb.2763:
	s_or_b64 exec, exec, s[8:9]
	s_and_b64 s[4:5], s[4:5], exec
	s_or_saveexec_b64 s[6:7], s[6:7]
	v_mov_b32_e32 v2, s10
	s_xor_b64 exec, exec, s[6:7]
	s_cbranch_execz .LBB40_714
.LBB40_2764:
	v_mov_b32_e32 v2, 0
	v_cmp_ne_u16_sdwa s[8:9], v3, v2 src0_sel:BYTE_0 src1_sel:DWORD
	s_andn2_b64 s[4:5], s[4:5], exec
	s_and_b64 s[8:9], s[8:9], exec
	s_or_b64 s[4:5], s[4:5], s[8:9]
	s_or_b64 exec, exec, s[6:7]
	s_and_saveexec_b64 s[6:7], s[4:5]
	s_cbranch_execnz .LBB40_715
	s_branch .LBB40_716
.LBB40_2765:
	s_movk_i32 s4, 0x80
	v_cmp_eq_u16_sdwa s[12:13], v3, s4 src0_sel:BYTE_0 src1_sel:DWORD
	s_mov_b64 s[4:5], -1
                                        ; implicit-def: $sgpr10
	s_and_saveexec_b64 s[8:9], s[12:13]
; %bb.2766:
	s_mov_b32 s10, 0x7f800001
	s_xor_b64 s[4:5], exec, -1
; %bb.2767:
	s_or_b64 exec, exec, s[8:9]
	s_and_b64 s[4:5], s[4:5], exec
	s_or_saveexec_b64 s[6:7], s[6:7]
	v_mov_b32_e32 v6, s10
	s_xor_b64 exec, exec, s[6:7]
	s_cbranch_execz .LBB40_718
.LBB40_2768:
	v_mov_b32_e32 v6, 0
	v_cmp_ne_u16_sdwa s[8:9], v3, v6 src0_sel:BYTE_0 src1_sel:DWORD
	s_andn2_b64 s[4:5], s[4:5], exec
	s_and_b64 s[8:9], s[8:9], exec
	s_or_b64 s[4:5], s[4:5], s[8:9]
	s_or_b64 exec, exec, s[6:7]
	s_and_saveexec_b64 s[6:7], s[4:5]
	s_cbranch_execnz .LBB40_719
	s_branch .LBB40_720
.LBB40_2769:
	s_movk_i32 s4, 0x80
	v_cmp_eq_u16_e32 vcc, s4, v3
	s_mov_b64 s[4:5], -1
                                        ; implicit-def: $sgpr10
	s_and_saveexec_b64 s[8:9], vcc
; %bb.2770:
	s_mov_b32 s10, 0x7f800001
	s_xor_b64 s[4:5], exec, -1
; %bb.2771:
	s_or_b64 exec, exec, s[8:9]
	s_and_b64 s[4:5], s[4:5], exec
                                        ; implicit-def: $vgpr3
	s_or_saveexec_b64 s[6:7], s[6:7]
	v_mov_b32_e32 v2, s10
	s_xor_b64 exec, exec, s[6:7]
	s_cbranch_execz .LBB40_722
.LBB40_2772:
	v_cmp_ne_u16_e32 vcc, 0, v3
	s_andn2_b64 s[4:5], s[4:5], exec
	s_and_b64 s[8:9], vcc, exec
	v_mov_b32_e32 v2, 0
	s_or_b64 s[4:5], s[4:5], s[8:9]
	s_or_b64 exec, exec, s[6:7]
	s_and_saveexec_b64 s[6:7], s[4:5]
	s_cbranch_execnz .LBB40_723
	s_branch .LBB40_724
.LBB40_2773:
	s_movk_i32 s4, 0x80
	v_cmp_eq_u16_e32 vcc, s4, v3
	s_mov_b64 s[4:5], -1
                                        ; implicit-def: $sgpr10
	s_and_saveexec_b64 s[8:9], vcc
; %bb.2774:
	s_mov_b32 s10, 0x7f800001
	s_xor_b64 s[4:5], exec, -1
; %bb.2775:
	s_or_b64 exec, exec, s[8:9]
	s_and_b64 s[4:5], s[4:5], exec
                                        ; implicit-def: $vgpr3
	s_or_saveexec_b64 s[6:7], s[6:7]
	v_mov_b32_e32 v6, s10
	s_xor_b64 exec, exec, s[6:7]
	s_cbranch_execz .LBB40_726
.LBB40_2776:
	v_cmp_ne_u16_e32 vcc, 0, v3
	s_andn2_b64 s[4:5], s[4:5], exec
	s_and_b64 s[8:9], vcc, exec
	v_mov_b32_e32 v6, 0
	s_or_b64 s[4:5], s[4:5], s[8:9]
	s_or_b64 exec, exec, s[6:7]
	s_and_saveexec_b64 s[6:7], s[4:5]
	s_cbranch_execnz .LBB40_727
	s_branch .LBB40_728
.LBB40_2777:
	s_movk_i32 s4, 0x80
	v_cmp_eq_u16_sdwa s[12:13], v8, s4 src0_sel:BYTE_3 src1_sel:DWORD
	s_mov_b64 s[4:5], -1
                                        ; implicit-def: $sgpr10
	s_and_saveexec_b64 s[8:9], s[12:13]
; %bb.2778:
	s_mov_b32 s10, 0x7f800001
	s_xor_b64 s[4:5], exec, -1
; %bb.2779:
	s_or_b64 exec, exec, s[8:9]
	s_and_b64 s[4:5], s[4:5], exec
	s_or_saveexec_b64 s[6:7], s[6:7]
	v_mov_b32_e32 v2, s10
	s_xor_b64 exec, exec, s[6:7]
	s_cbranch_execz .LBB40_730
.LBB40_2780:
	v_mov_b32_e32 v2, 0
	v_cmp_ne_u16_sdwa s[8:9], v8, v2 src0_sel:BYTE_3 src1_sel:DWORD
	s_andn2_b64 s[4:5], s[4:5], exec
	s_and_b64 s[8:9], s[8:9], exec
	s_or_b64 s[4:5], s[4:5], s[8:9]
	s_or_b64 exec, exec, s[6:7]
	s_and_saveexec_b64 s[6:7], s[4:5]
	s_cbranch_execnz .LBB40_731
	s_branch .LBB40_732
.LBB40_2781:
	s_movk_i32 s4, 0x80
	v_cmp_eq_u16_sdwa s[12:13], v4, s4 src0_sel:BYTE_3 src1_sel:DWORD
	s_mov_b64 s[4:5], -1
                                        ; implicit-def: $sgpr10
	s_and_saveexec_b64 s[8:9], s[12:13]
; %bb.2782:
	s_mov_b32 s10, 0x7f800001
	s_xor_b64 s[4:5], exec, -1
; %bb.2783:
	s_or_b64 exec, exec, s[8:9]
	s_and_b64 s[4:5], s[4:5], exec
	s_or_saveexec_b64 s[6:7], s[6:7]
	v_mov_b32_e32 v3, s10
	s_xor_b64 exec, exec, s[6:7]
	s_cbranch_execz .LBB40_734
.LBB40_2784:
	v_mov_b32_e32 v3, 0
	v_cmp_ne_u16_sdwa s[8:9], v4, v3 src0_sel:BYTE_3 src1_sel:DWORD
	s_andn2_b64 s[4:5], s[4:5], exec
	s_and_b64 s[8:9], s[8:9], exec
	s_or_b64 s[4:5], s[4:5], s[8:9]
	s_or_b64 exec, exec, s[6:7]
	s_and_saveexec_b64 s[6:7], s[4:5]
	s_cbranch_execnz .LBB40_735
	s_branch .LBB40_736
.LBB40_2785:
	s_movk_i32 s4, 0x80
	v_cmp_eq_u16_sdwa s[12:13], v9, s4 src0_sel:BYTE_0 src1_sel:DWORD
	s_mov_b64 s[4:5], -1
                                        ; implicit-def: $sgpr10
	s_and_saveexec_b64 s[8:9], s[12:13]
; %bb.2786:
	s_mov_b32 s10, 0x7f800001
	s_xor_b64 s[4:5], exec, -1
; %bb.2787:
	s_or_b64 exec, exec, s[8:9]
	s_and_b64 s[4:5], s[4:5], exec
	s_or_saveexec_b64 s[6:7], s[6:7]
	v_mov_b32_e32 v2, s10
	s_xor_b64 exec, exec, s[6:7]
	s_cbranch_execz .LBB40_738
.LBB40_2788:
	v_mov_b32_e32 v2, 0
	v_cmp_ne_u16_sdwa s[8:9], v9, v2 src0_sel:BYTE_0 src1_sel:DWORD
	s_andn2_b64 s[4:5], s[4:5], exec
	s_and_b64 s[8:9], s[8:9], exec
	s_or_b64 s[4:5], s[4:5], s[8:9]
	s_or_b64 exec, exec, s[6:7]
	s_and_saveexec_b64 s[6:7], s[4:5]
	s_cbranch_execnz .LBB40_739
	s_branch .LBB40_740
.LBB40_2789:
	s_movk_i32 s4, 0x80
	v_cmp_eq_u16_sdwa s[12:13], v5, s4 src0_sel:BYTE_0 src1_sel:DWORD
	s_mov_b64 s[4:5], -1
                                        ; implicit-def: $sgpr10
	s_and_saveexec_b64 s[8:9], s[12:13]
; %bb.2790:
	s_mov_b32 s10, 0x7f800001
	s_xor_b64 s[4:5], exec, -1
; %bb.2791:
	s_or_b64 exec, exec, s[8:9]
	s_and_b64 s[4:5], s[4:5], exec
	s_or_saveexec_b64 s[6:7], s[6:7]
	v_mov_b32_e32 v3, s10
	s_xor_b64 exec, exec, s[6:7]
	s_cbranch_execz .LBB40_742
.LBB40_2792:
	v_mov_b32_e32 v3, 0
	v_cmp_ne_u16_sdwa s[8:9], v5, v3 src0_sel:BYTE_0 src1_sel:DWORD
	s_andn2_b64 s[4:5], s[4:5], exec
	s_and_b64 s[8:9], s[8:9], exec
	s_or_b64 s[4:5], s[4:5], s[8:9]
	s_or_b64 exec, exec, s[6:7]
	s_and_saveexec_b64 s[6:7], s[4:5]
	s_cbranch_execnz .LBB40_743
	s_branch .LBB40_744
.LBB40_2793:
	s_movk_i32 s4, 0x80
	v_cmp_eq_u16_sdwa s[12:13], v3, s4 src0_sel:BYTE_0 src1_sel:DWORD
	s_mov_b64 s[4:5], -1
                                        ; implicit-def: $sgpr10
	s_and_saveexec_b64 s[8:9], s[12:13]
; %bb.2794:
	s_mov_b32 s10, 0x7f800001
	s_xor_b64 s[4:5], exec, -1
; %bb.2795:
	s_or_b64 exec, exec, s[8:9]
	s_and_b64 s[4:5], s[4:5], exec
	s_or_saveexec_b64 s[6:7], s[6:7]
	v_mov_b32_e32 v2, s10
	s_xor_b64 exec, exec, s[6:7]
	s_cbranch_execz .LBB40_746
.LBB40_2796:
	v_mov_b32_e32 v2, 0
	v_cmp_ne_u16_sdwa s[8:9], v3, v2 src0_sel:BYTE_0 src1_sel:DWORD
	s_andn2_b64 s[4:5], s[4:5], exec
	s_and_b64 s[8:9], s[8:9], exec
	s_or_b64 s[4:5], s[4:5], s[8:9]
	s_or_b64 exec, exec, s[6:7]
	s_and_saveexec_b64 s[6:7], s[4:5]
	s_cbranch_execnz .LBB40_747
	s_branch .LBB40_748
.LBB40_2797:
	s_movk_i32 s4, 0x80
	v_cmp_eq_u16_sdwa s[12:13], v3, s4 src0_sel:BYTE_0 src1_sel:DWORD
	s_mov_b64 s[4:5], -1
                                        ; implicit-def: $sgpr10
	s_and_saveexec_b64 s[8:9], s[12:13]
; %bb.2798:
	s_mov_b32 s10, 0x7f800001
	s_xor_b64 s[4:5], exec, -1
; %bb.2799:
	s_or_b64 exec, exec, s[8:9]
	s_and_b64 s[4:5], s[4:5], exec
	s_or_saveexec_b64 s[6:7], s[6:7]
	v_mov_b32_e32 v4, s10
	s_xor_b64 exec, exec, s[6:7]
	s_cbranch_execz .LBB40_750
.LBB40_2800:
	v_mov_b32_e32 v4, 0
	v_cmp_ne_u16_sdwa s[8:9], v3, v4 src0_sel:BYTE_0 src1_sel:DWORD
	s_andn2_b64 s[4:5], s[4:5], exec
	s_and_b64 s[8:9], s[8:9], exec
	s_or_b64 s[4:5], s[4:5], s[8:9]
	s_or_b64 exec, exec, s[6:7]
	s_and_saveexec_b64 s[6:7], s[4:5]
	s_cbranch_execnz .LBB40_751
	s_branch .LBB40_752
.LBB40_2801:
	s_movk_i32 s4, 0x80
	v_cmp_eq_u16_e32 vcc, s4, v3
	s_mov_b64 s[4:5], -1
                                        ; implicit-def: $sgpr10
	s_and_saveexec_b64 s[8:9], vcc
; %bb.2802:
	s_mov_b32 s10, 0x7f800001
	s_xor_b64 s[4:5], exec, -1
; %bb.2803:
	s_or_b64 exec, exec, s[8:9]
	s_and_b64 s[4:5], s[4:5], exec
                                        ; implicit-def: $vgpr3
	s_or_saveexec_b64 s[6:7], s[6:7]
	v_mov_b32_e32 v2, s10
	s_xor_b64 exec, exec, s[6:7]
	s_cbranch_execz .LBB40_754
.LBB40_2804:
	v_cmp_ne_u16_e32 vcc, 0, v3
	s_andn2_b64 s[4:5], s[4:5], exec
	s_and_b64 s[8:9], vcc, exec
	v_mov_b32_e32 v2, 0
	s_or_b64 s[4:5], s[4:5], s[8:9]
	s_or_b64 exec, exec, s[6:7]
	s_and_saveexec_b64 s[6:7], s[4:5]
	s_cbranch_execnz .LBB40_755
	s_branch .LBB40_756
.LBB40_2805:
	s_movk_i32 s4, 0x80
	v_cmp_eq_u16_e32 vcc, s4, v3
	s_mov_b64 s[4:5], -1
                                        ; implicit-def: $sgpr10
	s_and_saveexec_b64 s[8:9], vcc
; %bb.2806:
	s_mov_b32 s10, 0x7f800001
	s_xor_b64 s[4:5], exec, -1
; %bb.2807:
	s_or_b64 exec, exec, s[8:9]
	s_and_b64 s[4:5], s[4:5], exec
                                        ; implicit-def: $vgpr3
	s_or_saveexec_b64 s[6:7], s[6:7]
	v_mov_b32_e32 v4, s10
	s_xor_b64 exec, exec, s[6:7]
	s_cbranch_execz .LBB40_758
.LBB40_2808:
	v_cmp_ne_u16_e32 vcc, 0, v3
	s_andn2_b64 s[4:5], s[4:5], exec
	s_and_b64 s[8:9], vcc, exec
	v_mov_b32_e32 v4, 0
	s_or_b64 s[4:5], s[4:5], s[8:9]
	s_or_b64 exec, exec, s[6:7]
	s_and_saveexec_b64 s[6:7], s[4:5]
	s_cbranch_execnz .LBB40_759
	s_branch .LBB40_760
.LBB40_2809:
	s_movk_i32 s4, 0x80
	v_cmp_eq_u16_sdwa s[12:13], v9, s4 src0_sel:BYTE_3 src1_sel:DWORD
	s_mov_b64 s[4:5], -1
                                        ; implicit-def: $sgpr10
	s_and_saveexec_b64 s[8:9], s[12:13]
; %bb.2810:
	s_mov_b32 s10, 0x7f800001
	s_xor_b64 s[4:5], exec, -1
; %bb.2811:
	s_or_b64 exec, exec, s[8:9]
	s_and_b64 s[4:5], s[4:5], exec
	s_or_saveexec_b64 s[6:7], s[6:7]
	v_mov_b32_e32 v2, s10
	s_xor_b64 exec, exec, s[6:7]
	s_cbranch_execz .LBB40_762
.LBB40_2812:
	v_mov_b32_e32 v2, 0
	v_cmp_ne_u16_sdwa s[8:9], v9, v2 src0_sel:BYTE_3 src1_sel:DWORD
	s_andn2_b64 s[4:5], s[4:5], exec
	s_and_b64 s[8:9], s[8:9], exec
	s_or_b64 s[4:5], s[4:5], s[8:9]
	s_or_b64 exec, exec, s[6:7]
	s_and_saveexec_b64 s[6:7], s[4:5]
	s_cbranch_execnz .LBB40_763
	s_branch .LBB40_764
.LBB40_2813:
	s_movk_i32 s4, 0x80
	v_cmp_eq_u16_sdwa s[12:13], v5, s4 src0_sel:BYTE_3 src1_sel:DWORD
	s_mov_b64 s[4:5], -1
                                        ; implicit-def: $sgpr10
	s_and_saveexec_b64 s[8:9], s[12:13]
; %bb.2814:
	s_mov_b32 s10, 0x7f800001
	s_xor_b64 s[4:5], exec, -1
; %bb.2815:
	s_or_b64 exec, exec, s[8:9]
	s_and_b64 s[4:5], s[4:5], exec
	s_or_saveexec_b64 s[6:7], s[6:7]
	v_mov_b32_e32 v3, s10
	s_xor_b64 exec, exec, s[6:7]
	s_cbranch_execz .LBB40_766
.LBB40_2816:
	v_mov_b32_e32 v3, 0
	v_cmp_ne_u16_sdwa s[8:9], v5, v3 src0_sel:BYTE_3 src1_sel:DWORD
	s_andn2_b64 s[4:5], s[4:5], exec
	s_and_b64 s[8:9], s[8:9], exec
	s_or_b64 s[4:5], s[4:5], s[8:9]
	s_or_b64 exec, exec, s[6:7]
	s_and_saveexec_b64 s[6:7], s[4:5]
	s_cbranch_execnz .LBB40_767
	s_branch .LBB40_768
.LBB40_2817:
	s_movk_i32 s4, 0x80
	v_cmp_eq_u16_sdwa s[12:13], v14, s4 src0_sel:BYTE_0 src1_sel:DWORD
	s_mov_b64 s[4:5], -1
                                        ; implicit-def: $sgpr10
	s_and_saveexec_b64 s[8:9], s[12:13]
; %bb.2818:
	s_mov_b32 s10, 0x7f800001
	s_xor_b64 s[4:5], exec, -1
; %bb.2819:
	s_or_b64 exec, exec, s[8:9]
	s_and_b64 s[4:5], s[4:5], exec
	s_or_saveexec_b64 s[6:7], s[6:7]
	v_mov_b32_e32 v20, s10
	s_xor_b64 exec, exec, s[6:7]
	s_cbranch_execz .LBB40_770
.LBB40_2820:
	v_mov_b32_e32 v20, 0
	v_cmp_ne_u16_sdwa s[8:9], v14, v20 src0_sel:BYTE_0 src1_sel:DWORD
	s_andn2_b64 s[4:5], s[4:5], exec
	s_and_b64 s[8:9], s[8:9], exec
	s_or_b64 s[4:5], s[4:5], s[8:9]
	s_or_b64 exec, exec, s[6:7]
	s_and_saveexec_b64 s[6:7], s[4:5]
	s_cbranch_execnz .LBB40_771
	s_branch .LBB40_772
.LBB40_2821:
	s_movk_i32 s4, 0x80
	v_cmp_eq_u16_sdwa s[12:13], v10, s4 src0_sel:BYTE_0 src1_sel:DWORD
	s_mov_b64 s[4:5], -1
                                        ; implicit-def: $sgpr10
	s_and_saveexec_b64 s[8:9], s[12:13]
; %bb.2822:
	s_mov_b32 s10, 0x7f800001
	s_xor_b64 s[4:5], exec, -1
; %bb.2823:
	s_or_b64 exec, exec, s[8:9]
	s_and_b64 s[4:5], s[4:5], exec
	s_or_saveexec_b64 s[6:7], s[6:7]
	v_mov_b32_e32 v21, s10
	s_xor_b64 exec, exec, s[6:7]
	s_cbranch_execz .LBB40_774
.LBB40_2824:
	v_mov_b32_e32 v21, 0
	v_cmp_ne_u16_sdwa s[8:9], v10, v21 src0_sel:BYTE_0 src1_sel:DWORD
	s_andn2_b64 s[4:5], s[4:5], exec
	s_and_b64 s[8:9], s[8:9], exec
	s_or_b64 s[4:5], s[4:5], s[8:9]
	s_or_b64 exec, exec, s[6:7]
	s_and_saveexec_b64 s[6:7], s[4:5]
	s_cbranch_execnz .LBB40_775
	s_branch .LBB40_776
.LBB40_2825:
	s_movk_i32 s4, 0x80
	v_cmp_eq_u16_sdwa s[12:13], v21, s4 src0_sel:BYTE_0 src1_sel:DWORD
	s_mov_b64 s[4:5], -1
                                        ; implicit-def: $sgpr10
	s_and_saveexec_b64 s[8:9], s[12:13]
; %bb.2826:
	s_mov_b32 s10, 0x7f800001
	s_xor_b64 s[4:5], exec, -1
; %bb.2827:
	s_or_b64 exec, exec, s[8:9]
	s_and_b64 s[4:5], s[4:5], exec
	s_or_saveexec_b64 s[6:7], s[6:7]
	v_mov_b32_e32 v20, s10
	s_xor_b64 exec, exec, s[6:7]
	s_cbranch_execz .LBB40_778
.LBB40_2828:
	v_mov_b32_e32 v20, 0
	v_cmp_ne_u16_sdwa s[8:9], v21, v20 src0_sel:BYTE_0 src1_sel:DWORD
	s_andn2_b64 s[4:5], s[4:5], exec
	s_and_b64 s[8:9], s[8:9], exec
	s_or_b64 s[4:5], s[4:5], s[8:9]
	s_or_b64 exec, exec, s[6:7]
	s_and_saveexec_b64 s[6:7], s[4:5]
	s_cbranch_execnz .LBB40_779
	s_branch .LBB40_780
.LBB40_2829:
	s_movk_i32 s4, 0x80
	v_cmp_eq_u16_sdwa s[12:13], v21, s4 src0_sel:BYTE_0 src1_sel:DWORD
	s_mov_b64 s[4:5], -1
                                        ; implicit-def: $sgpr10
	s_and_saveexec_b64 s[8:9], s[12:13]
; %bb.2830:
	s_mov_b32 s10, 0x7f800001
	s_xor_b64 s[4:5], exec, -1
; %bb.2831:
	s_or_b64 exec, exec, s[8:9]
	s_and_b64 s[4:5], s[4:5], exec
	s_or_saveexec_b64 s[6:7], s[6:7]
	v_mov_b32_e32 v22, s10
	s_xor_b64 exec, exec, s[6:7]
	s_cbranch_execz .LBB40_782
.LBB40_2832:
	v_mov_b32_e32 v22, 0
	v_cmp_ne_u16_sdwa s[8:9], v21, v22 src0_sel:BYTE_0 src1_sel:DWORD
	s_andn2_b64 s[4:5], s[4:5], exec
	s_and_b64 s[8:9], s[8:9], exec
	s_or_b64 s[4:5], s[4:5], s[8:9]
	s_or_b64 exec, exec, s[6:7]
	s_and_saveexec_b64 s[6:7], s[4:5]
	s_cbranch_execnz .LBB40_783
	s_branch .LBB40_784
.LBB40_2833:
	s_movk_i32 s4, 0x80
	v_cmp_eq_u16_e32 vcc, s4, v21
	s_mov_b64 s[4:5], -1
                                        ; implicit-def: $sgpr10
	s_and_saveexec_b64 s[8:9], vcc
; %bb.2834:
	s_mov_b32 s10, 0x7f800001
	s_xor_b64 s[4:5], exec, -1
; %bb.2835:
	s_or_b64 exec, exec, s[8:9]
	s_and_b64 s[4:5], s[4:5], exec
                                        ; implicit-def: $vgpr21
	s_or_saveexec_b64 s[6:7], s[6:7]
	v_mov_b32_e32 v20, s10
	s_xor_b64 exec, exec, s[6:7]
	s_cbranch_execz .LBB40_786
.LBB40_2836:
	v_cmp_ne_u16_e32 vcc, 0, v21
	s_andn2_b64 s[4:5], s[4:5], exec
	s_and_b64 s[8:9], vcc, exec
	v_mov_b32_e32 v20, 0
	s_or_b64 s[4:5], s[4:5], s[8:9]
	s_or_b64 exec, exec, s[6:7]
	s_and_saveexec_b64 s[6:7], s[4:5]
	s_cbranch_execnz .LBB40_787
	s_branch .LBB40_788
.LBB40_2837:
	s_movk_i32 s4, 0x80
	v_cmp_eq_u16_e32 vcc, s4, v21
	s_mov_b64 s[4:5], -1
                                        ; implicit-def: $sgpr10
	s_and_saveexec_b64 s[8:9], vcc
; %bb.2838:
	s_mov_b32 s10, 0x7f800001
	s_xor_b64 s[4:5], exec, -1
; %bb.2839:
	s_or_b64 exec, exec, s[8:9]
	s_and_b64 s[4:5], s[4:5], exec
                                        ; implicit-def: $vgpr21
	s_or_saveexec_b64 s[6:7], s[6:7]
	v_mov_b32_e32 v22, s10
	s_xor_b64 exec, exec, s[6:7]
	s_cbranch_execz .LBB40_790
.LBB40_2840:
	v_cmp_ne_u16_e32 vcc, 0, v21
	s_andn2_b64 s[4:5], s[4:5], exec
	s_and_b64 s[8:9], vcc, exec
	v_mov_b32_e32 v22, 0
	s_or_b64 s[4:5], s[4:5], s[8:9]
	s_or_b64 exec, exec, s[6:7]
	s_and_saveexec_b64 s[6:7], s[4:5]
	s_cbranch_execnz .LBB40_791
	s_branch .LBB40_792
.LBB40_2841:
	s_movk_i32 s4, 0x80
	v_cmp_eq_u16_sdwa s[12:13], v14, s4 src0_sel:BYTE_3 src1_sel:DWORD
	s_mov_b64 s[4:5], -1
                                        ; implicit-def: $sgpr10
	s_and_saveexec_b64 s[8:9], s[12:13]
; %bb.2842:
	s_mov_b32 s10, 0x7f800001
	s_xor_b64 s[4:5], exec, -1
; %bb.2843:
	s_or_b64 exec, exec, s[8:9]
	s_and_b64 s[4:5], s[4:5], exec
	s_or_saveexec_b64 s[6:7], s[6:7]
	v_mov_b32_e32 v20, s10
	s_xor_b64 exec, exec, s[6:7]
	s_cbranch_execz .LBB40_794
.LBB40_2844:
	v_mov_b32_e32 v20, 0
	v_cmp_ne_u16_sdwa s[8:9], v14, v20 src0_sel:BYTE_3 src1_sel:DWORD
	s_andn2_b64 s[4:5], s[4:5], exec
	s_and_b64 s[8:9], s[8:9], exec
	s_or_b64 s[4:5], s[4:5], s[8:9]
	s_or_b64 exec, exec, s[6:7]
	s_and_saveexec_b64 s[6:7], s[4:5]
	s_cbranch_execnz .LBB40_795
	s_branch .LBB40_796
.LBB40_2845:
	s_movk_i32 s4, 0x80
	v_cmp_eq_u16_sdwa s[12:13], v10, s4 src0_sel:BYTE_3 src1_sel:DWORD
	s_mov_b64 s[4:5], -1
                                        ; implicit-def: $sgpr10
	s_and_saveexec_b64 s[8:9], s[12:13]
; %bb.2846:
	s_mov_b32 s10, 0x7f800001
	s_xor_b64 s[4:5], exec, -1
; %bb.2847:
	s_or_b64 exec, exec, s[8:9]
	s_and_b64 s[4:5], s[4:5], exec
	s_or_saveexec_b64 s[6:7], s[6:7]
	v_mov_b32_e32 v14, s10
	s_xor_b64 exec, exec, s[6:7]
	s_cbranch_execz .LBB40_798
.LBB40_2848:
	v_mov_b32_e32 v14, 0
	v_cmp_ne_u16_sdwa s[8:9], v10, v14 src0_sel:BYTE_3 src1_sel:DWORD
	s_andn2_b64 s[4:5], s[4:5], exec
	s_and_b64 s[8:9], s[8:9], exec
	s_or_b64 s[4:5], s[4:5], s[8:9]
	s_or_b64 exec, exec, s[6:7]
	s_and_saveexec_b64 s[6:7], s[4:5]
	s_cbranch_execnz .LBB40_799
	s_branch .LBB40_800
.LBB40_2849:
	s_movk_i32 s4, 0x80
	v_cmp_eq_u16_sdwa s[12:13], v15, s4 src0_sel:BYTE_0 src1_sel:DWORD
	s_mov_b64 s[4:5], -1
                                        ; implicit-def: $sgpr10
	s_and_saveexec_b64 s[8:9], s[12:13]
; %bb.2850:
	s_mov_b32 s10, 0x7f800001
	s_xor_b64 s[4:5], exec, -1
; %bb.2851:
	s_or_b64 exec, exec, s[8:9]
	s_and_b64 s[4:5], s[4:5], exec
	s_or_saveexec_b64 s[6:7], s[6:7]
	v_mov_b32_e32 v10, s10
	s_xor_b64 exec, exec, s[6:7]
	s_cbranch_execz .LBB40_802
.LBB40_2852:
	v_mov_b32_e32 v10, 0
	v_cmp_ne_u16_sdwa s[8:9], v15, v10 src0_sel:BYTE_0 src1_sel:DWORD
	s_andn2_b64 s[4:5], s[4:5], exec
	s_and_b64 s[8:9], s[8:9], exec
	s_or_b64 s[4:5], s[4:5], s[8:9]
	s_or_b64 exec, exec, s[6:7]
	s_and_saveexec_b64 s[6:7], s[4:5]
	s_cbranch_execnz .LBB40_803
	s_branch .LBB40_804
.LBB40_2853:
	s_movk_i32 s4, 0x80
	v_cmp_eq_u16_sdwa s[12:13], v11, s4 src0_sel:BYTE_0 src1_sel:DWORD
	s_mov_b64 s[4:5], -1
                                        ; implicit-def: $sgpr10
	s_and_saveexec_b64 s[8:9], s[12:13]
; %bb.2854:
	s_mov_b32 s10, 0x7f800001
	s_xor_b64 s[4:5], exec, -1
; %bb.2855:
	s_or_b64 exec, exec, s[8:9]
	s_and_b64 s[4:5], s[4:5], exec
	s_or_saveexec_b64 s[6:7], s[6:7]
	v_mov_b32_e32 v14, s10
	s_xor_b64 exec, exec, s[6:7]
	s_cbranch_execz .LBB40_806
.LBB40_2856:
	v_mov_b32_e32 v14, 0
	v_cmp_ne_u16_sdwa s[8:9], v11, v14 src0_sel:BYTE_0 src1_sel:DWORD
	s_andn2_b64 s[4:5], s[4:5], exec
	s_and_b64 s[8:9], s[8:9], exec
	s_or_b64 s[4:5], s[4:5], s[8:9]
	s_or_b64 exec, exec, s[6:7]
	s_and_saveexec_b64 s[6:7], s[4:5]
	s_cbranch_execnz .LBB40_807
	s_branch .LBB40_808
.LBB40_2857:
	s_movk_i32 s4, 0x80
	v_cmp_eq_u16_sdwa s[12:13], v14, s4 src0_sel:BYTE_0 src1_sel:DWORD
	s_mov_b64 s[4:5], -1
                                        ; implicit-def: $sgpr10
	s_and_saveexec_b64 s[8:9], s[12:13]
; %bb.2858:
	s_mov_b32 s10, 0x7f800001
	s_xor_b64 s[4:5], exec, -1
; %bb.2859:
	s_or_b64 exec, exec, s[8:9]
	s_and_b64 s[4:5], s[4:5], exec
	s_or_saveexec_b64 s[6:7], s[6:7]
	v_mov_b32_e32 v10, s10
	s_xor_b64 exec, exec, s[6:7]
	s_cbranch_execz .LBB40_810
.LBB40_2860:
	v_mov_b32_e32 v10, 0
	v_cmp_ne_u16_sdwa s[8:9], v14, v10 src0_sel:BYTE_0 src1_sel:DWORD
	s_andn2_b64 s[4:5], s[4:5], exec
	s_and_b64 s[8:9], s[8:9], exec
	s_or_b64 s[4:5], s[4:5], s[8:9]
	s_or_b64 exec, exec, s[6:7]
	s_and_saveexec_b64 s[6:7], s[4:5]
	s_cbranch_execnz .LBB40_811
	s_branch .LBB40_812
.LBB40_2861:
	s_movk_i32 s4, 0x80
	v_cmp_eq_u16_sdwa s[12:13], v14, s4 src0_sel:BYTE_0 src1_sel:DWORD
	s_mov_b64 s[4:5], -1
                                        ; implicit-def: $sgpr10
	s_and_saveexec_b64 s[8:9], s[12:13]
; %bb.2862:
	s_mov_b32 s10, 0x7f800001
	s_xor_b64 s[4:5], exec, -1
; %bb.2863:
	s_or_b64 exec, exec, s[8:9]
	s_and_b64 s[4:5], s[4:5], exec
	s_or_saveexec_b64 s[6:7], s[6:7]
	v_mov_b32_e32 v20, s10
	s_xor_b64 exec, exec, s[6:7]
	s_cbranch_execz .LBB40_814
.LBB40_2864:
	v_mov_b32_e32 v20, 0
	v_cmp_ne_u16_sdwa s[8:9], v14, v20 src0_sel:BYTE_0 src1_sel:DWORD
	s_andn2_b64 s[4:5], s[4:5], exec
	s_and_b64 s[8:9], s[8:9], exec
	s_or_b64 s[4:5], s[4:5], s[8:9]
	s_or_b64 exec, exec, s[6:7]
	s_and_saveexec_b64 s[6:7], s[4:5]
	s_cbranch_execnz .LBB40_815
	s_branch .LBB40_816
.LBB40_2865:
	s_movk_i32 s4, 0x80
	v_cmp_eq_u16_e32 vcc, s4, v14
	s_mov_b64 s[4:5], -1
                                        ; implicit-def: $sgpr10
	s_and_saveexec_b64 s[8:9], vcc
; %bb.2866:
	s_mov_b32 s10, 0x7f800001
	s_xor_b64 s[4:5], exec, -1
; %bb.2867:
	s_or_b64 exec, exec, s[8:9]
	s_and_b64 s[4:5], s[4:5], exec
                                        ; implicit-def: $vgpr14
	s_or_saveexec_b64 s[6:7], s[6:7]
	v_mov_b32_e32 v10, s10
	s_xor_b64 exec, exec, s[6:7]
	s_cbranch_execz .LBB40_818
.LBB40_2868:
	v_cmp_ne_u16_e32 vcc, 0, v14
	s_andn2_b64 s[4:5], s[4:5], exec
	s_and_b64 s[8:9], vcc, exec
	v_mov_b32_e32 v10, 0
	s_or_b64 s[4:5], s[4:5], s[8:9]
	s_or_b64 exec, exec, s[6:7]
	s_and_saveexec_b64 s[6:7], s[4:5]
	s_cbranch_execnz .LBB40_819
	s_branch .LBB40_820
.LBB40_2869:
	s_movk_i32 s4, 0x80
	v_cmp_eq_u16_e32 vcc, s4, v14
	s_mov_b64 s[4:5], -1
                                        ; implicit-def: $sgpr10
	s_and_saveexec_b64 s[8:9], vcc
; %bb.2870:
	s_mov_b32 s10, 0x7f800001
	s_xor_b64 s[4:5], exec, -1
; %bb.2871:
	s_or_b64 exec, exec, s[8:9]
	s_and_b64 s[4:5], s[4:5], exec
                                        ; implicit-def: $vgpr14
	s_or_saveexec_b64 s[6:7], s[6:7]
	v_mov_b32_e32 v20, s10
	s_xor_b64 exec, exec, s[6:7]
	s_cbranch_execz .LBB40_822
.LBB40_2872:
	v_cmp_ne_u16_e32 vcc, 0, v14
	s_andn2_b64 s[4:5], s[4:5], exec
	s_and_b64 s[8:9], vcc, exec
	v_mov_b32_e32 v20, 0
	s_or_b64 s[4:5], s[4:5], s[8:9]
	s_or_b64 exec, exec, s[6:7]
	s_and_saveexec_b64 s[6:7], s[4:5]
	s_cbranch_execnz .LBB40_823
	s_branch .LBB40_824
.LBB40_2873:
	s_movk_i32 s4, 0x80
	v_cmp_eq_u16_sdwa s[12:13], v15, s4 src0_sel:BYTE_3 src1_sel:DWORD
	s_mov_b64 s[4:5], -1
                                        ; implicit-def: $sgpr10
	s_and_saveexec_b64 s[8:9], s[12:13]
; %bb.2874:
	s_mov_b32 s10, 0x7f800001
	s_xor_b64 s[4:5], exec, -1
; %bb.2875:
	s_or_b64 exec, exec, s[8:9]
	s_and_b64 s[4:5], s[4:5], exec
	s_or_saveexec_b64 s[6:7], s[6:7]
	v_mov_b32_e32 v10, s10
	s_xor_b64 exec, exec, s[6:7]
	s_cbranch_execz .LBB40_826
.LBB40_2876:
	v_mov_b32_e32 v10, 0
	v_cmp_ne_u16_sdwa s[8:9], v15, v10 src0_sel:BYTE_3 src1_sel:DWORD
	s_andn2_b64 s[4:5], s[4:5], exec
	s_and_b64 s[8:9], s[8:9], exec
	s_or_b64 s[4:5], s[4:5], s[8:9]
	s_or_b64 exec, exec, s[6:7]
	s_and_saveexec_b64 s[6:7], s[4:5]
	s_cbranch_execnz .LBB40_827
	s_branch .LBB40_828
.LBB40_2877:
	s_movk_i32 s4, 0x80
	v_cmp_eq_u16_sdwa s[12:13], v11, s4 src0_sel:BYTE_3 src1_sel:DWORD
	s_mov_b64 s[4:5], -1
                                        ; implicit-def: $sgpr10
	s_and_saveexec_b64 s[8:9], s[12:13]
; %bb.2878:
	s_mov_b32 s10, 0x7f800001
	s_xor_b64 s[4:5], exec, -1
; %bb.2879:
	s_or_b64 exec, exec, s[8:9]
	s_and_b64 s[4:5], s[4:5], exec
	s_or_saveexec_b64 s[6:7], s[6:7]
	v_mov_b32_e32 v14, s10
	s_xor_b64 exec, exec, s[6:7]
	s_cbranch_execz .LBB40_830
.LBB40_2880:
	v_mov_b32_e32 v14, 0
	v_cmp_ne_u16_sdwa s[8:9], v11, v14 src0_sel:BYTE_3 src1_sel:DWORD
	s_andn2_b64 s[4:5], s[4:5], exec
	s_and_b64 s[8:9], s[8:9], exec
	s_or_b64 s[4:5], s[4:5], s[8:9]
	s_or_b64 exec, exec, s[6:7]
	s_and_saveexec_b64 s[6:7], s[4:5]
	s_cbranch_execnz .LBB40_831
	s_branch .LBB40_832
.LBB40_2881:
	s_movk_i32 s4, 0x80
	v_cmp_eq_u16_sdwa s[12:13], v16, s4 src0_sel:BYTE_0 src1_sel:DWORD
	s_mov_b64 s[4:5], -1
                                        ; implicit-def: $sgpr10
	s_and_saveexec_b64 s[8:9], s[12:13]
; %bb.2882:
	s_mov_b32 s10, 0x7f800001
	s_xor_b64 s[4:5], exec, -1
; %bb.2883:
	s_or_b64 exec, exec, s[8:9]
	s_and_b64 s[4:5], s[4:5], exec
	s_or_saveexec_b64 s[6:7], s[6:7]
	v_mov_b32_e32 v10, s10
	s_xor_b64 exec, exec, s[6:7]
	s_cbranch_execz .LBB40_834
.LBB40_2884:
	v_mov_b32_e32 v10, 0
	v_cmp_ne_u16_sdwa s[8:9], v16, v10 src0_sel:BYTE_0 src1_sel:DWORD
	s_andn2_b64 s[4:5], s[4:5], exec
	s_and_b64 s[8:9], s[8:9], exec
	s_or_b64 s[4:5], s[4:5], s[8:9]
	s_or_b64 exec, exec, s[6:7]
	s_and_saveexec_b64 s[6:7], s[4:5]
	s_cbranch_execnz .LBB40_835
	s_branch .LBB40_836
.LBB40_2885:
	s_movk_i32 s4, 0x80
	v_cmp_eq_u16_sdwa s[12:13], v12, s4 src0_sel:BYTE_0 src1_sel:DWORD
	s_mov_b64 s[4:5], -1
                                        ; implicit-def: $sgpr10
	s_and_saveexec_b64 s[8:9], s[12:13]
; %bb.2886:
	s_mov_b32 s10, 0x7f800001
	s_xor_b64 s[4:5], exec, -1
; %bb.2887:
	s_or_b64 exec, exec, s[8:9]
	s_and_b64 s[4:5], s[4:5], exec
	s_or_saveexec_b64 s[6:7], s[6:7]
	v_mov_b32_e32 v11, s10
	s_xor_b64 exec, exec, s[6:7]
	s_cbranch_execz .LBB40_838
.LBB40_2888:
	v_mov_b32_e32 v11, 0
	v_cmp_ne_u16_sdwa s[8:9], v12, v11 src0_sel:BYTE_0 src1_sel:DWORD
	s_andn2_b64 s[4:5], s[4:5], exec
	s_and_b64 s[8:9], s[8:9], exec
	s_or_b64 s[4:5], s[4:5], s[8:9]
	s_or_b64 exec, exec, s[6:7]
	s_and_saveexec_b64 s[6:7], s[4:5]
	s_cbranch_execnz .LBB40_839
	s_branch .LBB40_840
.LBB40_2889:
	s_movk_i32 s4, 0x80
	v_cmp_eq_u16_sdwa s[12:13], v11, s4 src0_sel:BYTE_0 src1_sel:DWORD
	s_mov_b64 s[4:5], -1
                                        ; implicit-def: $sgpr10
	s_and_saveexec_b64 s[8:9], s[12:13]
; %bb.2890:
	s_mov_b32 s10, 0x7f800001
	s_xor_b64 s[4:5], exec, -1
; %bb.2891:
	s_or_b64 exec, exec, s[8:9]
	s_and_b64 s[4:5], s[4:5], exec
	s_or_saveexec_b64 s[6:7], s[6:7]
	v_mov_b32_e32 v10, s10
	s_xor_b64 exec, exec, s[6:7]
	s_cbranch_execz .LBB40_842
.LBB40_2892:
	v_mov_b32_e32 v10, 0
	v_cmp_ne_u16_sdwa s[8:9], v11, v10 src0_sel:BYTE_0 src1_sel:DWORD
	s_andn2_b64 s[4:5], s[4:5], exec
	s_and_b64 s[8:9], s[8:9], exec
	s_or_b64 s[4:5], s[4:5], s[8:9]
	s_or_b64 exec, exec, s[6:7]
	s_and_saveexec_b64 s[6:7], s[4:5]
	s_cbranch_execnz .LBB40_843
	s_branch .LBB40_844
.LBB40_2893:
	s_movk_i32 s4, 0x80
	v_cmp_eq_u16_sdwa s[12:13], v11, s4 src0_sel:BYTE_0 src1_sel:DWORD
	s_mov_b64 s[4:5], -1
                                        ; implicit-def: $sgpr10
	s_and_saveexec_b64 s[8:9], s[12:13]
; %bb.2894:
	s_mov_b32 s10, 0x7f800001
	s_xor_b64 s[4:5], exec, -1
; %bb.2895:
	s_or_b64 exec, exec, s[8:9]
	s_and_b64 s[4:5], s[4:5], exec
	s_or_saveexec_b64 s[6:7], s[6:7]
	v_mov_b32_e32 v14, s10
	s_xor_b64 exec, exec, s[6:7]
	s_cbranch_execz .LBB40_846
.LBB40_2896:
	v_mov_b32_e32 v14, 0
	v_cmp_ne_u16_sdwa s[8:9], v11, v14 src0_sel:BYTE_0 src1_sel:DWORD
	s_andn2_b64 s[4:5], s[4:5], exec
	s_and_b64 s[8:9], s[8:9], exec
	s_or_b64 s[4:5], s[4:5], s[8:9]
	s_or_b64 exec, exec, s[6:7]
	s_and_saveexec_b64 s[6:7], s[4:5]
	s_cbranch_execnz .LBB40_847
	s_branch .LBB40_848
.LBB40_2897:
	s_movk_i32 s4, 0x80
	v_cmp_eq_u16_e32 vcc, s4, v11
	s_mov_b64 s[4:5], -1
                                        ; implicit-def: $sgpr10
	s_and_saveexec_b64 s[8:9], vcc
; %bb.2898:
	s_mov_b32 s10, 0x7f800001
	s_xor_b64 s[4:5], exec, -1
; %bb.2899:
	s_or_b64 exec, exec, s[8:9]
	s_and_b64 s[4:5], s[4:5], exec
                                        ; implicit-def: $vgpr11
	s_or_saveexec_b64 s[6:7], s[6:7]
	v_mov_b32_e32 v10, s10
	s_xor_b64 exec, exec, s[6:7]
	s_cbranch_execz .LBB40_850
.LBB40_2900:
	v_cmp_ne_u16_e32 vcc, 0, v11
	s_andn2_b64 s[4:5], s[4:5], exec
	s_and_b64 s[8:9], vcc, exec
	v_mov_b32_e32 v10, 0
	s_or_b64 s[4:5], s[4:5], s[8:9]
	s_or_b64 exec, exec, s[6:7]
	s_and_saveexec_b64 s[6:7], s[4:5]
	s_cbranch_execnz .LBB40_851
	s_branch .LBB40_852
.LBB40_2901:
	s_movk_i32 s4, 0x80
	v_cmp_eq_u16_e32 vcc, s4, v11
	s_mov_b64 s[4:5], -1
                                        ; implicit-def: $sgpr10
	s_and_saveexec_b64 s[8:9], vcc
; %bb.2902:
	s_mov_b32 s10, 0x7f800001
	s_xor_b64 s[4:5], exec, -1
; %bb.2903:
	s_or_b64 exec, exec, s[8:9]
	s_and_b64 s[4:5], s[4:5], exec
                                        ; implicit-def: $vgpr11
	s_or_saveexec_b64 s[6:7], s[6:7]
	v_mov_b32_e32 v14, s10
	s_xor_b64 exec, exec, s[6:7]
	s_cbranch_execz .LBB40_854
.LBB40_2904:
	v_cmp_ne_u16_e32 vcc, 0, v11
	s_andn2_b64 s[4:5], s[4:5], exec
	s_and_b64 s[8:9], vcc, exec
	v_mov_b32_e32 v14, 0
	s_or_b64 s[4:5], s[4:5], s[8:9]
	s_or_b64 exec, exec, s[6:7]
	s_and_saveexec_b64 s[6:7], s[4:5]
	s_cbranch_execnz .LBB40_855
	s_branch .LBB40_856
.LBB40_2905:
	s_movk_i32 s4, 0x80
	v_cmp_eq_u16_sdwa s[12:13], v16, s4 src0_sel:BYTE_3 src1_sel:DWORD
	s_mov_b64 s[4:5], -1
                                        ; implicit-def: $sgpr10
	s_and_saveexec_b64 s[8:9], s[12:13]
; %bb.2906:
	s_mov_b32 s10, 0x7f800001
	s_xor_b64 s[4:5], exec, -1
; %bb.2907:
	s_or_b64 exec, exec, s[8:9]
	s_and_b64 s[4:5], s[4:5], exec
	s_or_saveexec_b64 s[6:7], s[6:7]
	v_mov_b32_e32 v10, s10
	s_xor_b64 exec, exec, s[6:7]
	s_cbranch_execz .LBB40_858
.LBB40_2908:
	v_mov_b32_e32 v10, 0
	v_cmp_ne_u16_sdwa s[8:9], v16, v10 src0_sel:BYTE_3 src1_sel:DWORD
	s_andn2_b64 s[4:5], s[4:5], exec
	s_and_b64 s[8:9], s[8:9], exec
	s_or_b64 s[4:5], s[4:5], s[8:9]
	s_or_b64 exec, exec, s[6:7]
	s_and_saveexec_b64 s[6:7], s[4:5]
	s_cbranch_execnz .LBB40_859
	s_branch .LBB40_860
.LBB40_2909:
	s_movk_i32 s4, 0x80
	v_cmp_eq_u16_sdwa s[12:13], v12, s4 src0_sel:BYTE_3 src1_sel:DWORD
	s_mov_b64 s[4:5], -1
                                        ; implicit-def: $sgpr10
	s_and_saveexec_b64 s[8:9], s[12:13]
; %bb.2910:
	s_mov_b32 s10, 0x7f800001
	s_xor_b64 s[4:5], exec, -1
; %bb.2911:
	s_or_b64 exec, exec, s[8:9]
	s_and_b64 s[4:5], s[4:5], exec
	s_or_saveexec_b64 s[6:7], s[6:7]
	v_mov_b32_e32 v11, s10
	s_xor_b64 exec, exec, s[6:7]
	s_cbranch_execz .LBB40_862
.LBB40_2912:
	v_mov_b32_e32 v11, 0
	v_cmp_ne_u16_sdwa s[8:9], v12, v11 src0_sel:BYTE_3 src1_sel:DWORD
	s_andn2_b64 s[4:5], s[4:5], exec
	s_and_b64 s[8:9], s[8:9], exec
	s_or_b64 s[4:5], s[4:5], s[8:9]
	s_or_b64 exec, exec, s[6:7]
	s_and_saveexec_b64 s[6:7], s[4:5]
	s_cbranch_execnz .LBB40_863
	s_branch .LBB40_864
.LBB40_2913:
	s_movk_i32 s4, 0x80
	v_cmp_eq_u16_sdwa s[12:13], v17, s4 src0_sel:BYTE_0 src1_sel:DWORD
	s_mov_b64 s[4:5], -1
                                        ; implicit-def: $sgpr10
	s_and_saveexec_b64 s[8:9], s[12:13]
; %bb.2914:
	s_mov_b32 s10, 0x7f800001
	s_xor_b64 s[4:5], exec, -1
; %bb.2915:
	s_or_b64 exec, exec, s[8:9]
	s_and_b64 s[4:5], s[4:5], exec
	s_or_saveexec_b64 s[6:7], s[6:7]
	v_mov_b32_e32 v10, s10
	s_xor_b64 exec, exec, s[6:7]
	s_cbranch_execz .LBB40_866
.LBB40_2916:
	v_mov_b32_e32 v10, 0
	v_cmp_ne_u16_sdwa s[8:9], v17, v10 src0_sel:BYTE_0 src1_sel:DWORD
	s_andn2_b64 s[4:5], s[4:5], exec
	s_and_b64 s[8:9], s[8:9], exec
	s_or_b64 s[4:5], s[4:5], s[8:9]
	s_or_b64 exec, exec, s[6:7]
	s_and_saveexec_b64 s[6:7], s[4:5]
	s_cbranch_execnz .LBB40_867
	s_branch .LBB40_868
.LBB40_2917:
	s_movk_i32 s4, 0x80
	v_cmp_eq_u16_sdwa s[12:13], v13, s4 src0_sel:BYTE_0 src1_sel:DWORD
	s_mov_b64 s[4:5], -1
                                        ; implicit-def: $sgpr10
	s_and_saveexec_b64 s[8:9], s[12:13]
; %bb.2918:
	s_mov_b32 s10, 0x7f800001
	s_xor_b64 s[4:5], exec, -1
; %bb.2919:
	s_or_b64 exec, exec, s[8:9]
	s_and_b64 s[4:5], s[4:5], exec
	s_or_saveexec_b64 s[6:7], s[6:7]
	v_mov_b32_e32 v11, s10
	s_xor_b64 exec, exec, s[6:7]
	s_cbranch_execz .LBB40_870
.LBB40_2920:
	v_mov_b32_e32 v11, 0
	v_cmp_ne_u16_sdwa s[8:9], v13, v11 src0_sel:BYTE_0 src1_sel:DWORD
	s_andn2_b64 s[4:5], s[4:5], exec
	s_and_b64 s[8:9], s[8:9], exec
	s_or_b64 s[4:5], s[4:5], s[8:9]
	s_or_b64 exec, exec, s[6:7]
	s_and_saveexec_b64 s[6:7], s[4:5]
	s_cbranch_execnz .LBB40_871
	s_branch .LBB40_872
.LBB40_2921:
	s_movk_i32 s4, 0x80
	v_cmp_eq_u16_sdwa s[12:13], v11, s4 src0_sel:BYTE_0 src1_sel:DWORD
	s_mov_b64 s[4:5], -1
                                        ; implicit-def: $sgpr10
	s_and_saveexec_b64 s[8:9], s[12:13]
; %bb.2922:
	s_mov_b32 s10, 0x7f800001
	s_xor_b64 s[4:5], exec, -1
; %bb.2923:
	s_or_b64 exec, exec, s[8:9]
	s_and_b64 s[4:5], s[4:5], exec
	s_or_saveexec_b64 s[6:7], s[6:7]
	v_mov_b32_e32 v10, s10
	s_xor_b64 exec, exec, s[6:7]
	s_cbranch_execz .LBB40_874
.LBB40_2924:
	v_mov_b32_e32 v10, 0
	v_cmp_ne_u16_sdwa s[8:9], v11, v10 src0_sel:BYTE_0 src1_sel:DWORD
	s_andn2_b64 s[4:5], s[4:5], exec
	s_and_b64 s[8:9], s[8:9], exec
	s_or_b64 s[4:5], s[4:5], s[8:9]
	s_or_b64 exec, exec, s[6:7]
	s_and_saveexec_b64 s[6:7], s[4:5]
	s_cbranch_execnz .LBB40_875
	s_branch .LBB40_876
.LBB40_2925:
	s_movk_i32 s4, 0x80
	v_cmp_eq_u16_sdwa s[12:13], v11, s4 src0_sel:BYTE_0 src1_sel:DWORD
	s_mov_b64 s[4:5], -1
                                        ; implicit-def: $sgpr10
	s_and_saveexec_b64 s[8:9], s[12:13]
; %bb.2926:
	s_mov_b32 s10, 0x7f800001
	s_xor_b64 s[4:5], exec, -1
; %bb.2927:
	s_or_b64 exec, exec, s[8:9]
	s_and_b64 s[4:5], s[4:5], exec
	s_or_saveexec_b64 s[6:7], s[6:7]
	v_mov_b32_e32 v12, s10
	s_xor_b64 exec, exec, s[6:7]
	s_cbranch_execz .LBB40_878
.LBB40_2928:
	v_mov_b32_e32 v12, 0
	v_cmp_ne_u16_sdwa s[8:9], v11, v12 src0_sel:BYTE_0 src1_sel:DWORD
	s_andn2_b64 s[4:5], s[4:5], exec
	s_and_b64 s[8:9], s[8:9], exec
	s_or_b64 s[4:5], s[4:5], s[8:9]
	s_or_b64 exec, exec, s[6:7]
	s_and_saveexec_b64 s[6:7], s[4:5]
	s_cbranch_execnz .LBB40_879
	s_branch .LBB40_880
.LBB40_2929:
	s_movk_i32 s4, 0x80
	v_cmp_eq_u16_e32 vcc, s4, v11
	s_mov_b64 s[4:5], -1
                                        ; implicit-def: $sgpr10
	s_and_saveexec_b64 s[8:9], vcc
; %bb.2930:
	s_mov_b32 s10, 0x7f800001
	s_xor_b64 s[4:5], exec, -1
; %bb.2931:
	s_or_b64 exec, exec, s[8:9]
	s_and_b64 s[4:5], s[4:5], exec
                                        ; implicit-def: $vgpr11
	s_or_saveexec_b64 s[6:7], s[6:7]
	v_mov_b32_e32 v10, s10
	s_xor_b64 exec, exec, s[6:7]
	s_cbranch_execz .LBB40_882
.LBB40_2932:
	v_cmp_ne_u16_e32 vcc, 0, v11
	s_andn2_b64 s[4:5], s[4:5], exec
	s_and_b64 s[8:9], vcc, exec
	v_mov_b32_e32 v10, 0
	s_or_b64 s[4:5], s[4:5], s[8:9]
	s_or_b64 exec, exec, s[6:7]
	s_and_saveexec_b64 s[6:7], s[4:5]
	s_cbranch_execnz .LBB40_883
	s_branch .LBB40_884
.LBB40_2933:
	s_movk_i32 s4, 0x80
	v_cmp_eq_u16_e32 vcc, s4, v11
	s_mov_b64 s[4:5], -1
                                        ; implicit-def: $sgpr10
	s_and_saveexec_b64 s[8:9], vcc
; %bb.2934:
	s_mov_b32 s10, 0x7f800001
	s_xor_b64 s[4:5], exec, -1
; %bb.2935:
	s_or_b64 exec, exec, s[8:9]
	s_and_b64 s[4:5], s[4:5], exec
                                        ; implicit-def: $vgpr11
	s_or_saveexec_b64 s[6:7], s[6:7]
	v_mov_b32_e32 v12, s10
	s_xor_b64 exec, exec, s[6:7]
	s_cbranch_execz .LBB40_886
.LBB40_2936:
	v_cmp_ne_u16_e32 vcc, 0, v11
	s_andn2_b64 s[4:5], s[4:5], exec
	s_and_b64 s[8:9], vcc, exec
	v_mov_b32_e32 v12, 0
	s_or_b64 s[4:5], s[4:5], s[8:9]
	s_or_b64 exec, exec, s[6:7]
	s_and_saveexec_b64 s[6:7], s[4:5]
	s_cbranch_execnz .LBB40_887
	s_branch .LBB40_888
.LBB40_2937:
	s_movk_i32 s4, 0x80
	v_cmp_eq_u16_sdwa s[12:13], v17, s4 src0_sel:BYTE_3 src1_sel:DWORD
	s_mov_b64 s[4:5], -1
                                        ; implicit-def: $sgpr10
	s_and_saveexec_b64 s[8:9], s[12:13]
; %bb.2938:
	s_mov_b32 s10, 0x7f800001
	s_xor_b64 s[4:5], exec, -1
; %bb.2939:
	s_or_b64 exec, exec, s[8:9]
	s_and_b64 s[4:5], s[4:5], exec
	s_or_saveexec_b64 s[6:7], s[6:7]
	v_mov_b32_e32 v10, s10
	s_xor_b64 exec, exec, s[6:7]
	s_cbranch_execz .LBB40_890
.LBB40_2940:
	v_mov_b32_e32 v10, 0
	v_cmp_ne_u16_sdwa s[8:9], v17, v10 src0_sel:BYTE_3 src1_sel:DWORD
	s_andn2_b64 s[4:5], s[4:5], exec
	s_and_b64 s[8:9], s[8:9], exec
	s_or_b64 s[4:5], s[4:5], s[8:9]
	s_or_b64 exec, exec, s[6:7]
	s_and_saveexec_b64 s[6:7], s[4:5]
	s_cbranch_execnz .LBB40_891
	s_branch .LBB40_892
.LBB40_2941:
	s_movk_i32 s4, 0x80
	v_cmp_eq_u16_sdwa s[12:13], v13, s4 src0_sel:BYTE_3 src1_sel:DWORD
	s_mov_b64 s[4:5], -1
                                        ; implicit-def: $sgpr10
	s_and_saveexec_b64 s[8:9], s[12:13]
; %bb.2942:
	s_mov_b32 s10, 0x7f800001
	s_xor_b64 s[4:5], exec, -1
; %bb.2943:
	s_or_b64 exec, exec, s[8:9]
	s_and_b64 s[4:5], s[4:5], exec
	s_or_saveexec_b64 s[6:7], s[6:7]
	v_mov_b32_e32 v11, s10
	s_xor_b64 exec, exec, s[6:7]
	s_cbranch_execz .LBB40_894
.LBB40_2944:
	v_mov_b32_e32 v11, 0
	v_cmp_ne_u16_sdwa s[8:9], v13, v11 src0_sel:BYTE_3 src1_sel:DWORD
	s_andn2_b64 s[4:5], s[4:5], exec
	s_and_b64 s[8:9], s[8:9], exec
	s_or_b64 s[4:5], s[4:5], s[8:9]
	s_or_b64 exec, exec, s[6:7]
	s_and_saveexec_b64 s[6:7], s[4:5]
	s_cbranch_execnz .LBB40_895
	s_branch .LBB40_896
.LBB40_2945:
	s_movk_i32 s4, 0x80
	v_cmp_eq_u16_sdwa s[12:13], v6, s4 src0_sel:BYTE_0 src1_sel:DWORD
	s_mov_b64 s[4:5], -1
                                        ; implicit-def: $sgpr10
	s_and_saveexec_b64 s[8:9], s[12:13]
; %bb.2946:
	s_mov_b32 s10, 0x7f800001
	s_xor_b64 s[4:5], exec, -1
; %bb.2947:
	s_or_b64 exec, exec, s[8:9]
	s_and_b64 s[4:5], s[4:5], exec
	s_or_saveexec_b64 s[6:7], s[6:7]
	v_mov_b32_e32 v10, s10
	s_xor_b64 exec, exec, s[6:7]
	s_cbranch_execz .LBB40_898
.LBB40_2948:
	v_mov_b32_e32 v10, 0
	v_cmp_ne_u16_sdwa s[8:9], v6, v10 src0_sel:BYTE_0 src1_sel:DWORD
	s_andn2_b64 s[4:5], s[4:5], exec
	s_and_b64 s[8:9], s[8:9], exec
	s_or_b64 s[4:5], s[4:5], s[8:9]
	s_or_b64 exec, exec, s[6:7]
	s_and_saveexec_b64 s[6:7], s[4:5]
	s_cbranch_execnz .LBB40_899
	s_branch .LBB40_900
.LBB40_2949:
	s_movk_i32 s4, 0x80
	v_cmp_eq_u16_sdwa s[12:13], v2, s4 src0_sel:BYTE_0 src1_sel:DWORD
	s_mov_b64 s[4:5], -1
                                        ; implicit-def: $sgpr10
	s_and_saveexec_b64 s[8:9], s[12:13]
; %bb.2950:
	s_mov_b32 s10, 0x7f800001
	s_xor_b64 s[4:5], exec, -1
; %bb.2951:
	s_or_b64 exec, exec, s[8:9]
	s_and_b64 s[4:5], s[4:5], exec
	s_or_saveexec_b64 s[6:7], s[6:7]
	v_mov_b32_e32 v11, s10
	s_xor_b64 exec, exec, s[6:7]
	s_cbranch_execz .LBB40_902
.LBB40_2952:
	v_mov_b32_e32 v11, 0
	v_cmp_ne_u16_sdwa s[8:9], v2, v11 src0_sel:BYTE_0 src1_sel:DWORD
	s_andn2_b64 s[4:5], s[4:5], exec
	s_and_b64 s[8:9], s[8:9], exec
	s_or_b64 s[4:5], s[4:5], s[8:9]
	s_or_b64 exec, exec, s[6:7]
	s_and_saveexec_b64 s[6:7], s[4:5]
	s_cbranch_execnz .LBB40_903
	s_branch .LBB40_904
.LBB40_2953:
	s_movk_i32 s4, 0x80
	v_cmp_eq_u16_sdwa s[12:13], v11, s4 src0_sel:BYTE_0 src1_sel:DWORD
	s_mov_b64 s[4:5], -1
                                        ; implicit-def: $sgpr10
	s_and_saveexec_b64 s[8:9], s[12:13]
; %bb.2954:
	s_mov_b32 s10, 0x7f800001
	s_xor_b64 s[4:5], exec, -1
; %bb.2955:
	s_or_b64 exec, exec, s[8:9]
	s_and_b64 s[4:5], s[4:5], exec
	s_or_saveexec_b64 s[6:7], s[6:7]
	v_mov_b32_e32 v10, s10
	s_xor_b64 exec, exec, s[6:7]
	s_cbranch_execz .LBB40_906
.LBB40_2956:
	v_mov_b32_e32 v10, 0
	v_cmp_ne_u16_sdwa s[8:9], v11, v10 src0_sel:BYTE_0 src1_sel:DWORD
	s_andn2_b64 s[4:5], s[4:5], exec
	s_and_b64 s[8:9], s[8:9], exec
	s_or_b64 s[4:5], s[4:5], s[8:9]
	s_or_b64 exec, exec, s[6:7]
	s_and_saveexec_b64 s[6:7], s[4:5]
	s_cbranch_execnz .LBB40_907
	s_branch .LBB40_908
.LBB40_2957:
	s_movk_i32 s4, 0x80
	v_cmp_eq_u16_sdwa s[12:13], v11, s4 src0_sel:BYTE_0 src1_sel:DWORD
	s_mov_b64 s[4:5], -1
                                        ; implicit-def: $sgpr10
	s_and_saveexec_b64 s[8:9], s[12:13]
; %bb.2958:
	s_mov_b32 s10, 0x7f800001
	s_xor_b64 s[4:5], exec, -1
; %bb.2959:
	s_or_b64 exec, exec, s[8:9]
	s_and_b64 s[4:5], s[4:5], exec
	s_or_saveexec_b64 s[6:7], s[6:7]
	v_mov_b32_e32 v12, s10
	s_xor_b64 exec, exec, s[6:7]
	s_cbranch_execz .LBB40_910
.LBB40_2960:
	v_mov_b32_e32 v12, 0
	v_cmp_ne_u16_sdwa s[8:9], v11, v12 src0_sel:BYTE_0 src1_sel:DWORD
	s_andn2_b64 s[4:5], s[4:5], exec
	s_and_b64 s[8:9], s[8:9], exec
	s_or_b64 s[4:5], s[4:5], s[8:9]
	s_or_b64 exec, exec, s[6:7]
	s_and_saveexec_b64 s[6:7], s[4:5]
	s_cbranch_execnz .LBB40_911
	s_branch .LBB40_912
.LBB40_2961:
	s_movk_i32 s4, 0x80
	v_cmp_eq_u16_e32 vcc, s4, v11
	s_mov_b64 s[4:5], -1
                                        ; implicit-def: $sgpr10
	s_and_saveexec_b64 s[8:9], vcc
; %bb.2962:
	s_mov_b32 s10, 0x7f800001
	s_xor_b64 s[4:5], exec, -1
; %bb.2963:
	s_or_b64 exec, exec, s[8:9]
	s_and_b64 s[4:5], s[4:5], exec
                                        ; implicit-def: $vgpr11
	s_or_saveexec_b64 s[6:7], s[6:7]
	v_mov_b32_e32 v10, s10
	s_xor_b64 exec, exec, s[6:7]
	s_cbranch_execz .LBB40_914
.LBB40_2964:
	v_cmp_ne_u16_e32 vcc, 0, v11
	s_andn2_b64 s[4:5], s[4:5], exec
	s_and_b64 s[8:9], vcc, exec
	v_mov_b32_e32 v10, 0
	s_or_b64 s[4:5], s[4:5], s[8:9]
	s_or_b64 exec, exec, s[6:7]
	s_and_saveexec_b64 s[6:7], s[4:5]
	s_cbranch_execnz .LBB40_915
	s_branch .LBB40_916
.LBB40_2965:
	s_movk_i32 s4, 0x80
	v_cmp_eq_u16_e32 vcc, s4, v11
	s_mov_b64 s[4:5], -1
                                        ; implicit-def: $sgpr10
	s_and_saveexec_b64 s[8:9], vcc
; %bb.2966:
	s_mov_b32 s10, 0x7f800001
	s_xor_b64 s[4:5], exec, -1
; %bb.2967:
	s_or_b64 exec, exec, s[8:9]
	s_and_b64 s[4:5], s[4:5], exec
                                        ; implicit-def: $vgpr11
	s_or_saveexec_b64 s[6:7], s[6:7]
	v_mov_b32_e32 v12, s10
	s_xor_b64 exec, exec, s[6:7]
	s_cbranch_execz .LBB40_918
.LBB40_2968:
	v_cmp_ne_u16_e32 vcc, 0, v11
	s_andn2_b64 s[4:5], s[4:5], exec
	s_and_b64 s[8:9], vcc, exec
	v_mov_b32_e32 v12, 0
	s_or_b64 s[4:5], s[4:5], s[8:9]
	s_or_b64 exec, exec, s[6:7]
	s_and_saveexec_b64 s[6:7], s[4:5]
	s_cbranch_execnz .LBB40_919
	s_branch .LBB40_920
.LBB40_2969:
	s_movk_i32 s4, 0x80
	v_cmp_eq_u16_sdwa s[12:13], v6, s4 src0_sel:BYTE_3 src1_sel:DWORD
	s_mov_b64 s[4:5], -1
                                        ; implicit-def: $sgpr10
	s_and_saveexec_b64 s[8:9], s[12:13]
; %bb.2970:
	s_mov_b32 s10, 0x7f800001
	s_xor_b64 s[4:5], exec, -1
; %bb.2971:
	s_or_b64 exec, exec, s[8:9]
	s_and_b64 s[4:5], s[4:5], exec
	s_or_saveexec_b64 s[6:7], s[6:7]
	v_mov_b32_e32 v10, s10
	s_xor_b64 exec, exec, s[6:7]
	s_cbranch_execz .LBB40_922
.LBB40_2972:
	v_mov_b32_e32 v10, 0
	v_cmp_ne_u16_sdwa s[8:9], v6, v10 src0_sel:BYTE_3 src1_sel:DWORD
	s_andn2_b64 s[4:5], s[4:5], exec
	s_and_b64 s[8:9], s[8:9], exec
	s_or_b64 s[4:5], s[4:5], s[8:9]
	s_or_b64 exec, exec, s[6:7]
	s_and_saveexec_b64 s[6:7], s[4:5]
	s_cbranch_execnz .LBB40_923
	s_branch .LBB40_924
.LBB40_2973:
	s_movk_i32 s4, 0x80
	v_cmp_eq_u16_sdwa s[12:13], v2, s4 src0_sel:BYTE_3 src1_sel:DWORD
	s_mov_b64 s[4:5], -1
                                        ; implicit-def: $sgpr10
	s_and_saveexec_b64 s[8:9], s[12:13]
; %bb.2974:
	s_mov_b32 s10, 0x7f800001
	s_xor_b64 s[4:5], exec, -1
; %bb.2975:
	s_or_b64 exec, exec, s[8:9]
	s_and_b64 s[4:5], s[4:5], exec
	s_or_saveexec_b64 s[6:7], s[6:7]
	v_mov_b32_e32 v6, s10
	s_xor_b64 exec, exec, s[6:7]
	s_cbranch_execz .LBB40_926
.LBB40_2976:
	v_mov_b32_e32 v6, 0
	v_cmp_ne_u16_sdwa s[8:9], v2, v6 src0_sel:BYTE_3 src1_sel:DWORD
	s_andn2_b64 s[4:5], s[4:5], exec
	s_and_b64 s[8:9], s[8:9], exec
	s_or_b64 s[4:5], s[4:5], s[8:9]
	s_or_b64 exec, exec, s[6:7]
	s_and_saveexec_b64 s[6:7], s[4:5]
	s_cbranch_execnz .LBB40_927
	s_branch .LBB40_928
.LBB40_2977:
	s_movk_i32 s4, 0x80
	v_cmp_eq_u16_sdwa s[12:13], v7, s4 src0_sel:BYTE_0 src1_sel:DWORD
	s_mov_b64 s[4:5], -1
                                        ; implicit-def: $sgpr10
	s_and_saveexec_b64 s[8:9], s[12:13]
; %bb.2978:
	s_mov_b32 s10, 0x7f800001
	s_xor_b64 s[4:5], exec, -1
; %bb.2979:
	s_or_b64 exec, exec, s[8:9]
	s_and_b64 s[4:5], s[4:5], exec
	s_or_saveexec_b64 s[6:7], s[6:7]
	v_mov_b32_e32 v2, s10
	s_xor_b64 exec, exec, s[6:7]
	s_cbranch_execz .LBB40_930
.LBB40_2980:
	v_mov_b32_e32 v2, 0
	v_cmp_ne_u16_sdwa s[8:9], v7, v2 src0_sel:BYTE_0 src1_sel:DWORD
	s_andn2_b64 s[4:5], s[4:5], exec
	s_and_b64 s[8:9], s[8:9], exec
	s_or_b64 s[4:5], s[4:5], s[8:9]
	s_or_b64 exec, exec, s[6:7]
	s_and_saveexec_b64 s[6:7], s[4:5]
	s_cbranch_execnz .LBB40_931
	s_branch .LBB40_932
.LBB40_2981:
	s_movk_i32 s4, 0x80
	v_cmp_eq_u16_sdwa s[12:13], v3, s4 src0_sel:BYTE_0 src1_sel:DWORD
	s_mov_b64 s[4:5], -1
                                        ; implicit-def: $sgpr10
	s_and_saveexec_b64 s[8:9], s[12:13]
; %bb.2982:
	s_mov_b32 s10, 0x7f800001
	s_xor_b64 s[4:5], exec, -1
; %bb.2983:
	s_or_b64 exec, exec, s[8:9]
	s_and_b64 s[4:5], s[4:5], exec
	s_or_saveexec_b64 s[6:7], s[6:7]
	v_mov_b32_e32 v6, s10
	s_xor_b64 exec, exec, s[6:7]
	s_cbranch_execz .LBB40_934
.LBB40_2984:
	v_mov_b32_e32 v6, 0
	v_cmp_ne_u16_sdwa s[8:9], v3, v6 src0_sel:BYTE_0 src1_sel:DWORD
	s_andn2_b64 s[4:5], s[4:5], exec
	s_and_b64 s[8:9], s[8:9], exec
	s_or_b64 s[4:5], s[4:5], s[8:9]
	s_or_b64 exec, exec, s[6:7]
	s_and_saveexec_b64 s[6:7], s[4:5]
	s_cbranch_execnz .LBB40_935
	s_branch .LBB40_936
.LBB40_2985:
	s_movk_i32 s4, 0x80
	v_cmp_eq_u16_sdwa s[12:13], v6, s4 src0_sel:BYTE_0 src1_sel:DWORD
	s_mov_b64 s[4:5], -1
                                        ; implicit-def: $sgpr10
	s_and_saveexec_b64 s[8:9], s[12:13]
; %bb.2986:
	s_mov_b32 s10, 0x7f800001
	s_xor_b64 s[4:5], exec, -1
; %bb.2987:
	s_or_b64 exec, exec, s[8:9]
	s_and_b64 s[4:5], s[4:5], exec
	s_or_saveexec_b64 s[6:7], s[6:7]
	v_mov_b32_e32 v2, s10
	s_xor_b64 exec, exec, s[6:7]
	s_cbranch_execz .LBB40_938
.LBB40_2988:
	v_mov_b32_e32 v2, 0
	v_cmp_ne_u16_sdwa s[8:9], v6, v2 src0_sel:BYTE_0 src1_sel:DWORD
	s_andn2_b64 s[4:5], s[4:5], exec
	s_and_b64 s[8:9], s[8:9], exec
	s_or_b64 s[4:5], s[4:5], s[8:9]
	s_or_b64 exec, exec, s[6:7]
	s_and_saveexec_b64 s[6:7], s[4:5]
	s_cbranch_execnz .LBB40_939
	s_branch .LBB40_940
.LBB40_2989:
	s_movk_i32 s4, 0x80
	v_cmp_eq_u16_sdwa s[12:13], v6, s4 src0_sel:BYTE_0 src1_sel:DWORD
	s_mov_b64 s[4:5], -1
                                        ; implicit-def: $sgpr10
	s_and_saveexec_b64 s[8:9], s[12:13]
; %bb.2990:
	s_mov_b32 s10, 0x7f800001
	s_xor_b64 s[4:5], exec, -1
; %bb.2991:
	s_or_b64 exec, exec, s[8:9]
	s_and_b64 s[4:5], s[4:5], exec
	s_or_saveexec_b64 s[6:7], s[6:7]
	v_mov_b32_e32 v10, s10
	s_xor_b64 exec, exec, s[6:7]
	s_cbranch_execz .LBB40_942
.LBB40_2992:
	v_mov_b32_e32 v10, 0
	v_cmp_ne_u16_sdwa s[8:9], v6, v10 src0_sel:BYTE_0 src1_sel:DWORD
	s_andn2_b64 s[4:5], s[4:5], exec
	s_and_b64 s[8:9], s[8:9], exec
	s_or_b64 s[4:5], s[4:5], s[8:9]
	s_or_b64 exec, exec, s[6:7]
	s_and_saveexec_b64 s[6:7], s[4:5]
	s_cbranch_execnz .LBB40_943
	s_branch .LBB40_944
.LBB40_2993:
	s_movk_i32 s4, 0x80
	v_cmp_eq_u16_e32 vcc, s4, v6
	s_mov_b64 s[4:5], -1
                                        ; implicit-def: $sgpr10
	s_and_saveexec_b64 s[8:9], vcc
; %bb.2994:
	s_mov_b32 s10, 0x7f800001
	s_xor_b64 s[4:5], exec, -1
; %bb.2995:
	s_or_b64 exec, exec, s[8:9]
	s_and_b64 s[4:5], s[4:5], exec
                                        ; implicit-def: $vgpr6
	s_or_saveexec_b64 s[6:7], s[6:7]
	v_mov_b32_e32 v2, s10
	s_xor_b64 exec, exec, s[6:7]
	s_cbranch_execz .LBB40_946
.LBB40_2996:
	v_cmp_ne_u16_e32 vcc, 0, v6
	s_andn2_b64 s[4:5], s[4:5], exec
	s_and_b64 s[8:9], vcc, exec
	v_mov_b32_e32 v2, 0
	s_or_b64 s[4:5], s[4:5], s[8:9]
	s_or_b64 exec, exec, s[6:7]
	s_and_saveexec_b64 s[6:7], s[4:5]
	s_cbranch_execnz .LBB40_947
	s_branch .LBB40_948
.LBB40_2997:
	s_movk_i32 s4, 0x80
	v_cmp_eq_u16_e32 vcc, s4, v6
	s_mov_b64 s[4:5], -1
                                        ; implicit-def: $sgpr10
	s_and_saveexec_b64 s[8:9], vcc
; %bb.2998:
	s_mov_b32 s10, 0x7f800001
	s_xor_b64 s[4:5], exec, -1
; %bb.2999:
	s_or_b64 exec, exec, s[8:9]
	s_and_b64 s[4:5], s[4:5], exec
                                        ; implicit-def: $vgpr6
	s_or_saveexec_b64 s[6:7], s[6:7]
	v_mov_b32_e32 v10, s10
	s_xor_b64 exec, exec, s[6:7]
	s_cbranch_execz .LBB40_950
.LBB40_3000:
	v_cmp_ne_u16_e32 vcc, 0, v6
	s_andn2_b64 s[4:5], s[4:5], exec
	s_and_b64 s[8:9], vcc, exec
	v_mov_b32_e32 v10, 0
	s_or_b64 s[4:5], s[4:5], s[8:9]
	s_or_b64 exec, exec, s[6:7]
	s_and_saveexec_b64 s[6:7], s[4:5]
	s_cbranch_execnz .LBB40_951
	s_branch .LBB40_952
.LBB40_3001:
	s_movk_i32 s4, 0x80
	v_cmp_eq_u16_sdwa s[12:13], v7, s4 src0_sel:BYTE_3 src1_sel:DWORD
	s_mov_b64 s[4:5], -1
                                        ; implicit-def: $sgpr10
	s_and_saveexec_b64 s[8:9], s[12:13]
; %bb.3002:
	s_mov_b32 s10, 0x7f800001
	s_xor_b64 s[4:5], exec, -1
; %bb.3003:
	s_or_b64 exec, exec, s[8:9]
	s_and_b64 s[4:5], s[4:5], exec
	s_or_saveexec_b64 s[6:7], s[6:7]
	v_mov_b32_e32 v2, s10
	s_xor_b64 exec, exec, s[6:7]
	s_cbranch_execz .LBB40_954
.LBB40_3004:
	v_mov_b32_e32 v2, 0
	v_cmp_ne_u16_sdwa s[8:9], v7, v2 src0_sel:BYTE_3 src1_sel:DWORD
	s_andn2_b64 s[4:5], s[4:5], exec
	s_and_b64 s[8:9], s[8:9], exec
	s_or_b64 s[4:5], s[4:5], s[8:9]
	s_or_b64 exec, exec, s[6:7]
	s_and_saveexec_b64 s[6:7], s[4:5]
	s_cbranch_execnz .LBB40_955
	s_branch .LBB40_956
.LBB40_3005:
	s_movk_i32 s4, 0x80
	v_cmp_eq_u16_sdwa s[12:13], v3, s4 src0_sel:BYTE_3 src1_sel:DWORD
	s_mov_b64 s[4:5], -1
                                        ; implicit-def: $sgpr10
	s_and_saveexec_b64 s[8:9], s[12:13]
; %bb.3006:
	s_mov_b32 s10, 0x7f800001
	s_xor_b64 s[4:5], exec, -1
; %bb.3007:
	s_or_b64 exec, exec, s[8:9]
	s_and_b64 s[4:5], s[4:5], exec
	s_or_saveexec_b64 s[6:7], s[6:7]
	v_mov_b32_e32 v6, s10
	s_xor_b64 exec, exec, s[6:7]
	s_cbranch_execz .LBB40_958
.LBB40_3008:
	v_mov_b32_e32 v6, 0
	v_cmp_ne_u16_sdwa s[8:9], v3, v6 src0_sel:BYTE_3 src1_sel:DWORD
	s_andn2_b64 s[4:5], s[4:5], exec
	s_and_b64 s[8:9], s[8:9], exec
	s_or_b64 s[4:5], s[4:5], s[8:9]
	s_or_b64 exec, exec, s[6:7]
	s_and_saveexec_b64 s[6:7], s[4:5]
	s_cbranch_execnz .LBB40_959
	s_branch .LBB40_960
.LBB40_3009:
	s_movk_i32 s4, 0x80
	v_cmp_eq_u16_sdwa s[12:13], v8, s4 src0_sel:BYTE_0 src1_sel:DWORD
	s_mov_b64 s[4:5], -1
                                        ; implicit-def: $sgpr10
	s_and_saveexec_b64 s[8:9], s[12:13]
; %bb.3010:
	s_mov_b32 s10, 0x7f800001
	s_xor_b64 s[4:5], exec, -1
; %bb.3011:
	s_or_b64 exec, exec, s[8:9]
	s_and_b64 s[4:5], s[4:5], exec
	s_or_saveexec_b64 s[6:7], s[6:7]
	v_mov_b32_e32 v2, s10
	s_xor_b64 exec, exec, s[6:7]
	s_cbranch_execz .LBB40_962
.LBB40_3012:
	v_mov_b32_e32 v2, 0
	v_cmp_ne_u16_sdwa s[8:9], v8, v2 src0_sel:BYTE_0 src1_sel:DWORD
	s_andn2_b64 s[4:5], s[4:5], exec
	s_and_b64 s[8:9], s[8:9], exec
	s_or_b64 s[4:5], s[4:5], s[8:9]
	s_or_b64 exec, exec, s[6:7]
	s_and_saveexec_b64 s[6:7], s[4:5]
	s_cbranch_execnz .LBB40_963
	s_branch .LBB40_964
.LBB40_3013:
	s_movk_i32 s4, 0x80
	v_cmp_eq_u16_sdwa s[12:13], v4, s4 src0_sel:BYTE_0 src1_sel:DWORD
	s_mov_b64 s[4:5], -1
                                        ; implicit-def: $sgpr10
	s_and_saveexec_b64 s[8:9], s[12:13]
; %bb.3014:
	s_mov_b32 s10, 0x7f800001
	s_xor_b64 s[4:5], exec, -1
; %bb.3015:
	s_or_b64 exec, exec, s[8:9]
	s_and_b64 s[4:5], s[4:5], exec
	s_or_saveexec_b64 s[6:7], s[6:7]
	v_mov_b32_e32 v3, s10
	s_xor_b64 exec, exec, s[6:7]
	s_cbranch_execz .LBB40_966
.LBB40_3016:
	v_mov_b32_e32 v3, 0
	v_cmp_ne_u16_sdwa s[8:9], v4, v3 src0_sel:BYTE_0 src1_sel:DWORD
	s_andn2_b64 s[4:5], s[4:5], exec
	s_and_b64 s[8:9], s[8:9], exec
	s_or_b64 s[4:5], s[4:5], s[8:9]
	s_or_b64 exec, exec, s[6:7]
	s_and_saveexec_b64 s[6:7], s[4:5]
	s_cbranch_execnz .LBB40_967
	s_branch .LBB40_968
.LBB40_3017:
	s_movk_i32 s4, 0x80
	v_cmp_eq_u16_sdwa s[12:13], v3, s4 src0_sel:BYTE_0 src1_sel:DWORD
	s_mov_b64 s[4:5], -1
                                        ; implicit-def: $sgpr10
	s_and_saveexec_b64 s[8:9], s[12:13]
; %bb.3018:
	s_mov_b32 s10, 0x7f800001
	s_xor_b64 s[4:5], exec, -1
; %bb.3019:
	s_or_b64 exec, exec, s[8:9]
	s_and_b64 s[4:5], s[4:5], exec
	s_or_saveexec_b64 s[6:7], s[6:7]
	v_mov_b32_e32 v2, s10
	s_xor_b64 exec, exec, s[6:7]
	s_cbranch_execz .LBB40_970
.LBB40_3020:
	v_mov_b32_e32 v2, 0
	v_cmp_ne_u16_sdwa s[8:9], v3, v2 src0_sel:BYTE_0 src1_sel:DWORD
	s_andn2_b64 s[4:5], s[4:5], exec
	s_and_b64 s[8:9], s[8:9], exec
	s_or_b64 s[4:5], s[4:5], s[8:9]
	s_or_b64 exec, exec, s[6:7]
	s_and_saveexec_b64 s[6:7], s[4:5]
	s_cbranch_execnz .LBB40_971
	s_branch .LBB40_972
.LBB40_3021:
	s_movk_i32 s4, 0x80
	v_cmp_eq_u16_sdwa s[12:13], v3, s4 src0_sel:BYTE_0 src1_sel:DWORD
	s_mov_b64 s[4:5], -1
                                        ; implicit-def: $sgpr10
	s_and_saveexec_b64 s[8:9], s[12:13]
; %bb.3022:
	s_mov_b32 s10, 0x7f800001
	s_xor_b64 s[4:5], exec, -1
; %bb.3023:
	s_or_b64 exec, exec, s[8:9]
	s_and_b64 s[4:5], s[4:5], exec
	s_or_saveexec_b64 s[6:7], s[6:7]
	v_mov_b32_e32 v6, s10
	s_xor_b64 exec, exec, s[6:7]
	s_cbranch_execz .LBB40_974
.LBB40_3024:
	v_mov_b32_e32 v6, 0
	v_cmp_ne_u16_sdwa s[8:9], v3, v6 src0_sel:BYTE_0 src1_sel:DWORD
	s_andn2_b64 s[4:5], s[4:5], exec
	s_and_b64 s[8:9], s[8:9], exec
	s_or_b64 s[4:5], s[4:5], s[8:9]
	s_or_b64 exec, exec, s[6:7]
	s_and_saveexec_b64 s[6:7], s[4:5]
	s_cbranch_execnz .LBB40_975
	s_branch .LBB40_976
.LBB40_3025:
	s_movk_i32 s4, 0x80
	v_cmp_eq_u16_e32 vcc, s4, v3
	s_mov_b64 s[4:5], -1
                                        ; implicit-def: $sgpr10
	s_and_saveexec_b64 s[8:9], vcc
; %bb.3026:
	s_mov_b32 s10, 0x7f800001
	s_xor_b64 s[4:5], exec, -1
; %bb.3027:
	s_or_b64 exec, exec, s[8:9]
	s_and_b64 s[4:5], s[4:5], exec
                                        ; implicit-def: $vgpr3
	s_or_saveexec_b64 s[6:7], s[6:7]
	v_mov_b32_e32 v2, s10
	s_xor_b64 exec, exec, s[6:7]
	s_cbranch_execz .LBB40_978
.LBB40_3028:
	v_cmp_ne_u16_e32 vcc, 0, v3
	s_andn2_b64 s[4:5], s[4:5], exec
	s_and_b64 s[8:9], vcc, exec
	v_mov_b32_e32 v2, 0
	s_or_b64 s[4:5], s[4:5], s[8:9]
	s_or_b64 exec, exec, s[6:7]
	s_and_saveexec_b64 s[6:7], s[4:5]
	s_cbranch_execnz .LBB40_979
	s_branch .LBB40_980
.LBB40_3029:
	s_movk_i32 s4, 0x80
	v_cmp_eq_u16_e32 vcc, s4, v3
	s_mov_b64 s[4:5], -1
                                        ; implicit-def: $sgpr10
	s_and_saveexec_b64 s[8:9], vcc
; %bb.3030:
	s_mov_b32 s10, 0x7f800001
	s_xor_b64 s[4:5], exec, -1
; %bb.3031:
	s_or_b64 exec, exec, s[8:9]
	s_and_b64 s[4:5], s[4:5], exec
                                        ; implicit-def: $vgpr3
	s_or_saveexec_b64 s[6:7], s[6:7]
	v_mov_b32_e32 v6, s10
	s_xor_b64 exec, exec, s[6:7]
	s_cbranch_execz .LBB40_982
.LBB40_3032:
	v_cmp_ne_u16_e32 vcc, 0, v3
	s_andn2_b64 s[4:5], s[4:5], exec
	s_and_b64 s[8:9], vcc, exec
	v_mov_b32_e32 v6, 0
	s_or_b64 s[4:5], s[4:5], s[8:9]
	s_or_b64 exec, exec, s[6:7]
	s_and_saveexec_b64 s[6:7], s[4:5]
	s_cbranch_execnz .LBB40_983
	s_branch .LBB40_984
.LBB40_3033:
	s_movk_i32 s4, 0x80
	v_cmp_eq_u16_sdwa s[12:13], v8, s4 src0_sel:BYTE_3 src1_sel:DWORD
	s_mov_b64 s[4:5], -1
                                        ; implicit-def: $sgpr10
	s_and_saveexec_b64 s[8:9], s[12:13]
; %bb.3034:
	s_mov_b32 s10, 0x7f800001
	s_xor_b64 s[4:5], exec, -1
; %bb.3035:
	s_or_b64 exec, exec, s[8:9]
	s_and_b64 s[4:5], s[4:5], exec
	s_or_saveexec_b64 s[6:7], s[6:7]
	v_mov_b32_e32 v2, s10
	s_xor_b64 exec, exec, s[6:7]
	s_cbranch_execz .LBB40_986
.LBB40_3036:
	v_mov_b32_e32 v2, 0
	v_cmp_ne_u16_sdwa s[8:9], v8, v2 src0_sel:BYTE_3 src1_sel:DWORD
	s_andn2_b64 s[4:5], s[4:5], exec
	s_and_b64 s[8:9], s[8:9], exec
	s_or_b64 s[4:5], s[4:5], s[8:9]
	s_or_b64 exec, exec, s[6:7]
	s_and_saveexec_b64 s[6:7], s[4:5]
	s_cbranch_execnz .LBB40_987
	s_branch .LBB40_988
.LBB40_3037:
	s_movk_i32 s4, 0x80
	v_cmp_eq_u16_sdwa s[12:13], v4, s4 src0_sel:BYTE_3 src1_sel:DWORD
	s_mov_b64 s[4:5], -1
                                        ; implicit-def: $sgpr10
	s_and_saveexec_b64 s[8:9], s[12:13]
; %bb.3038:
	s_mov_b32 s10, 0x7f800001
	s_xor_b64 s[4:5], exec, -1
; %bb.3039:
	s_or_b64 exec, exec, s[8:9]
	s_and_b64 s[4:5], s[4:5], exec
	s_or_saveexec_b64 s[6:7], s[6:7]
	v_mov_b32_e32 v3, s10
	s_xor_b64 exec, exec, s[6:7]
	s_cbranch_execz .LBB40_990
.LBB40_3040:
	v_mov_b32_e32 v3, 0
	v_cmp_ne_u16_sdwa s[8:9], v4, v3 src0_sel:BYTE_3 src1_sel:DWORD
	s_andn2_b64 s[4:5], s[4:5], exec
	s_and_b64 s[8:9], s[8:9], exec
	s_or_b64 s[4:5], s[4:5], s[8:9]
	s_or_b64 exec, exec, s[6:7]
	s_and_saveexec_b64 s[6:7], s[4:5]
	s_cbranch_execnz .LBB40_991
	s_branch .LBB40_992
.LBB40_3041:
	s_movk_i32 s4, 0x80
	v_cmp_eq_u16_sdwa s[12:13], v9, s4 src0_sel:BYTE_0 src1_sel:DWORD
	s_mov_b64 s[4:5], -1
                                        ; implicit-def: $sgpr10
	s_and_saveexec_b64 s[8:9], s[12:13]
; %bb.3042:
	s_mov_b32 s10, 0x7f800001
	s_xor_b64 s[4:5], exec, -1
; %bb.3043:
	s_or_b64 exec, exec, s[8:9]
	s_and_b64 s[4:5], s[4:5], exec
	s_or_saveexec_b64 s[6:7], s[6:7]
	v_mov_b32_e32 v2, s10
	s_xor_b64 exec, exec, s[6:7]
	s_cbranch_execz .LBB40_994
.LBB40_3044:
	v_mov_b32_e32 v2, 0
	v_cmp_ne_u16_sdwa s[8:9], v9, v2 src0_sel:BYTE_0 src1_sel:DWORD
	s_andn2_b64 s[4:5], s[4:5], exec
	s_and_b64 s[8:9], s[8:9], exec
	s_or_b64 s[4:5], s[4:5], s[8:9]
	s_or_b64 exec, exec, s[6:7]
	s_and_saveexec_b64 s[6:7], s[4:5]
	s_cbranch_execnz .LBB40_995
	s_branch .LBB40_996
.LBB40_3045:
	s_movk_i32 s4, 0x80
	v_cmp_eq_u16_sdwa s[12:13], v5, s4 src0_sel:BYTE_0 src1_sel:DWORD
	s_mov_b64 s[4:5], -1
                                        ; implicit-def: $sgpr10
	s_and_saveexec_b64 s[8:9], s[12:13]
; %bb.3046:
	s_mov_b32 s10, 0x7f800001
	s_xor_b64 s[4:5], exec, -1
; %bb.3047:
	s_or_b64 exec, exec, s[8:9]
	s_and_b64 s[4:5], s[4:5], exec
	s_or_saveexec_b64 s[6:7], s[6:7]
	v_mov_b32_e32 v3, s10
	s_xor_b64 exec, exec, s[6:7]
	s_cbranch_execz .LBB40_998
.LBB40_3048:
	v_mov_b32_e32 v3, 0
	v_cmp_ne_u16_sdwa s[8:9], v5, v3 src0_sel:BYTE_0 src1_sel:DWORD
	s_andn2_b64 s[4:5], s[4:5], exec
	s_and_b64 s[8:9], s[8:9], exec
	s_or_b64 s[4:5], s[4:5], s[8:9]
	s_or_b64 exec, exec, s[6:7]
	s_and_saveexec_b64 s[6:7], s[4:5]
	s_cbranch_execnz .LBB40_999
	s_branch .LBB40_1000
.LBB40_3049:
	s_movk_i32 s4, 0x80
	v_cmp_eq_u16_sdwa s[12:13], v3, s4 src0_sel:BYTE_0 src1_sel:DWORD
	s_mov_b64 s[4:5], -1
                                        ; implicit-def: $sgpr10
	s_and_saveexec_b64 s[8:9], s[12:13]
; %bb.3050:
	s_mov_b32 s10, 0x7f800001
	s_xor_b64 s[4:5], exec, -1
; %bb.3051:
	s_or_b64 exec, exec, s[8:9]
	s_and_b64 s[4:5], s[4:5], exec
	s_or_saveexec_b64 s[6:7], s[6:7]
	v_mov_b32_e32 v2, s10
	s_xor_b64 exec, exec, s[6:7]
	s_cbranch_execz .LBB40_1002
.LBB40_3052:
	v_mov_b32_e32 v2, 0
	v_cmp_ne_u16_sdwa s[8:9], v3, v2 src0_sel:BYTE_0 src1_sel:DWORD
	s_andn2_b64 s[4:5], s[4:5], exec
	s_and_b64 s[8:9], s[8:9], exec
	s_or_b64 s[4:5], s[4:5], s[8:9]
	s_or_b64 exec, exec, s[6:7]
	s_and_saveexec_b64 s[6:7], s[4:5]
	s_cbranch_execnz .LBB40_1003
	s_branch .LBB40_1004
.LBB40_3053:
	s_movk_i32 s4, 0x80
	v_cmp_eq_u16_sdwa s[12:13], v3, s4 src0_sel:BYTE_0 src1_sel:DWORD
	s_mov_b64 s[4:5], -1
                                        ; implicit-def: $sgpr10
	s_and_saveexec_b64 s[8:9], s[12:13]
; %bb.3054:
	s_mov_b32 s10, 0x7f800001
	s_xor_b64 s[4:5], exec, -1
; %bb.3055:
	s_or_b64 exec, exec, s[8:9]
	s_and_b64 s[4:5], s[4:5], exec
	s_or_saveexec_b64 s[6:7], s[6:7]
	v_mov_b32_e32 v4, s10
	s_xor_b64 exec, exec, s[6:7]
	s_cbranch_execz .LBB40_1006
.LBB40_3056:
	v_mov_b32_e32 v4, 0
	v_cmp_ne_u16_sdwa s[8:9], v3, v4 src0_sel:BYTE_0 src1_sel:DWORD
	s_andn2_b64 s[4:5], s[4:5], exec
	s_and_b64 s[8:9], s[8:9], exec
	s_or_b64 s[4:5], s[4:5], s[8:9]
	s_or_b64 exec, exec, s[6:7]
	s_and_saveexec_b64 s[6:7], s[4:5]
	s_cbranch_execnz .LBB40_1007
	s_branch .LBB40_1008
.LBB40_3057:
	s_movk_i32 s4, 0x80
	v_cmp_eq_u16_e32 vcc, s4, v3
	s_mov_b64 s[4:5], -1
                                        ; implicit-def: $sgpr10
	s_and_saveexec_b64 s[8:9], vcc
; %bb.3058:
	s_mov_b32 s10, 0x7f800001
	s_xor_b64 s[4:5], exec, -1
; %bb.3059:
	s_or_b64 exec, exec, s[8:9]
	s_and_b64 s[4:5], s[4:5], exec
                                        ; implicit-def: $vgpr3
	s_or_saveexec_b64 s[6:7], s[6:7]
	v_mov_b32_e32 v2, s10
	s_xor_b64 exec, exec, s[6:7]
	s_cbranch_execz .LBB40_1010
.LBB40_3060:
	v_cmp_ne_u16_e32 vcc, 0, v3
	s_andn2_b64 s[4:5], s[4:5], exec
	s_and_b64 s[8:9], vcc, exec
	v_mov_b32_e32 v2, 0
	s_or_b64 s[4:5], s[4:5], s[8:9]
	s_or_b64 exec, exec, s[6:7]
	s_and_saveexec_b64 s[6:7], s[4:5]
	s_cbranch_execnz .LBB40_1011
	s_branch .LBB40_1012
.LBB40_3061:
	s_movk_i32 s4, 0x80
	v_cmp_eq_u16_e32 vcc, s4, v3
	s_mov_b64 s[4:5], -1
                                        ; implicit-def: $sgpr10
	s_and_saveexec_b64 s[8:9], vcc
; %bb.3062:
	s_mov_b32 s10, 0x7f800001
	s_xor_b64 s[4:5], exec, -1
; %bb.3063:
	s_or_b64 exec, exec, s[8:9]
	s_and_b64 s[4:5], s[4:5], exec
                                        ; implicit-def: $vgpr3
	s_or_saveexec_b64 s[6:7], s[6:7]
	v_mov_b32_e32 v4, s10
	s_xor_b64 exec, exec, s[6:7]
	s_cbranch_execz .LBB40_1014
.LBB40_3064:
	v_cmp_ne_u16_e32 vcc, 0, v3
	s_andn2_b64 s[4:5], s[4:5], exec
	s_and_b64 s[8:9], vcc, exec
	v_mov_b32_e32 v4, 0
	s_or_b64 s[4:5], s[4:5], s[8:9]
	s_or_b64 exec, exec, s[6:7]
	s_and_saveexec_b64 s[6:7], s[4:5]
	s_cbranch_execnz .LBB40_1015
	s_branch .LBB40_1016
.LBB40_3065:
	s_movk_i32 s4, 0x80
	v_cmp_eq_u16_sdwa s[12:13], v9, s4 src0_sel:BYTE_3 src1_sel:DWORD
	s_mov_b64 s[4:5], -1
                                        ; implicit-def: $sgpr10
	s_and_saveexec_b64 s[8:9], s[12:13]
; %bb.3066:
	s_mov_b32 s10, 0x7f800001
	s_xor_b64 s[4:5], exec, -1
; %bb.3067:
	s_or_b64 exec, exec, s[8:9]
	s_and_b64 s[4:5], s[4:5], exec
	s_or_saveexec_b64 s[6:7], s[6:7]
	v_mov_b32_e32 v2, s10
	s_xor_b64 exec, exec, s[6:7]
	s_cbranch_execz .LBB40_1018
.LBB40_3068:
	v_mov_b32_e32 v2, 0
	v_cmp_ne_u16_sdwa s[8:9], v9, v2 src0_sel:BYTE_3 src1_sel:DWORD
	s_andn2_b64 s[4:5], s[4:5], exec
	s_and_b64 s[8:9], s[8:9], exec
	s_or_b64 s[4:5], s[4:5], s[8:9]
	s_or_b64 exec, exec, s[6:7]
	s_and_saveexec_b64 s[6:7], s[4:5]
	s_cbranch_execnz .LBB40_1019
	s_branch .LBB40_1020
.LBB40_3069:
	s_movk_i32 s4, 0x80
	v_cmp_eq_u16_sdwa s[12:13], v5, s4 src0_sel:BYTE_3 src1_sel:DWORD
	s_mov_b64 s[4:5], -1
                                        ; implicit-def: $sgpr10
	s_and_saveexec_b64 s[8:9], s[12:13]
; %bb.3070:
	s_mov_b32 s10, 0x7f800001
	s_xor_b64 s[4:5], exec, -1
; %bb.3071:
	s_or_b64 exec, exec, s[8:9]
	s_and_b64 s[4:5], s[4:5], exec
	s_or_saveexec_b64 s[6:7], s[6:7]
	v_mov_b32_e32 v3, s10
	s_xor_b64 exec, exec, s[6:7]
	s_cbranch_execz .LBB40_1022
.LBB40_3072:
	v_mov_b32_e32 v3, 0
	v_cmp_ne_u16_sdwa s[8:9], v5, v3 src0_sel:BYTE_3 src1_sel:DWORD
	s_andn2_b64 s[4:5], s[4:5], exec
	s_and_b64 s[8:9], s[8:9], exec
	s_or_b64 s[4:5], s[4:5], s[8:9]
	s_or_b64 exec, exec, s[6:7]
	s_and_saveexec_b64 s[6:7], s[4:5]
	s_cbranch_execnz .LBB40_1023
	s_branch .LBB40_1024
.LBB40_3073:
	s_movk_i32 s4, 0x80
	v_cmp_eq_u16_sdwa s[12:13], v14, s4 src0_sel:BYTE_0 src1_sel:DWORD
	s_mov_b64 s[4:5], -1
                                        ; implicit-def: $sgpr10
	s_and_saveexec_b64 s[8:9], s[12:13]
; %bb.3074:
	s_mov_b32 s10, 0x7f800001
	s_xor_b64 s[4:5], exec, -1
; %bb.3075:
	s_or_b64 exec, exec, s[8:9]
	s_and_b64 s[4:5], s[4:5], exec
	s_or_saveexec_b64 s[6:7], s[6:7]
	v_mov_b32_e32 v20, s10
	s_xor_b64 exec, exec, s[6:7]
	s_cbranch_execz .LBB40_1026
.LBB40_3076:
	v_mov_b32_e32 v20, 0
	v_cmp_ne_u16_sdwa s[8:9], v14, v20 src0_sel:BYTE_0 src1_sel:DWORD
	s_andn2_b64 s[4:5], s[4:5], exec
	s_and_b64 s[8:9], s[8:9], exec
	s_or_b64 s[4:5], s[4:5], s[8:9]
	s_or_b64 exec, exec, s[6:7]
	s_and_saveexec_b64 s[6:7], s[4:5]
	s_cbranch_execnz .LBB40_1027
	s_branch .LBB40_1028
.LBB40_3077:
	s_movk_i32 s4, 0x80
	v_cmp_eq_u16_sdwa s[12:13], v10, s4 src0_sel:BYTE_0 src1_sel:DWORD
	s_mov_b64 s[4:5], -1
                                        ; implicit-def: $sgpr10
	s_and_saveexec_b64 s[8:9], s[12:13]
; %bb.3078:
	s_mov_b32 s10, 0x7f800001
	s_xor_b64 s[4:5], exec, -1
; %bb.3079:
	s_or_b64 exec, exec, s[8:9]
	s_and_b64 s[4:5], s[4:5], exec
	s_or_saveexec_b64 s[6:7], s[6:7]
	v_mov_b32_e32 v21, s10
	s_xor_b64 exec, exec, s[6:7]
	s_cbranch_execz .LBB40_1030
.LBB40_3080:
	v_mov_b32_e32 v21, 0
	v_cmp_ne_u16_sdwa s[8:9], v10, v21 src0_sel:BYTE_0 src1_sel:DWORD
	s_andn2_b64 s[4:5], s[4:5], exec
	s_and_b64 s[8:9], s[8:9], exec
	s_or_b64 s[4:5], s[4:5], s[8:9]
	s_or_b64 exec, exec, s[6:7]
	s_and_saveexec_b64 s[6:7], s[4:5]
	s_cbranch_execnz .LBB40_1031
	s_branch .LBB40_1032
.LBB40_3081:
	s_movk_i32 s4, 0x80
	v_cmp_eq_u16_sdwa s[12:13], v21, s4 src0_sel:BYTE_0 src1_sel:DWORD
	s_mov_b64 s[4:5], -1
                                        ; implicit-def: $sgpr10
	s_and_saveexec_b64 s[8:9], s[12:13]
; %bb.3082:
	s_mov_b32 s10, 0x7f800001
	s_xor_b64 s[4:5], exec, -1
; %bb.3083:
	s_or_b64 exec, exec, s[8:9]
	s_and_b64 s[4:5], s[4:5], exec
	s_or_saveexec_b64 s[6:7], s[6:7]
	v_mov_b32_e32 v20, s10
	s_xor_b64 exec, exec, s[6:7]
	s_cbranch_execz .LBB40_1034
.LBB40_3084:
	v_mov_b32_e32 v20, 0
	v_cmp_ne_u16_sdwa s[8:9], v21, v20 src0_sel:BYTE_0 src1_sel:DWORD
	s_andn2_b64 s[4:5], s[4:5], exec
	s_and_b64 s[8:9], s[8:9], exec
	s_or_b64 s[4:5], s[4:5], s[8:9]
	s_or_b64 exec, exec, s[6:7]
	s_and_saveexec_b64 s[6:7], s[4:5]
	s_cbranch_execnz .LBB40_1035
	s_branch .LBB40_1036
.LBB40_3085:
	s_movk_i32 s4, 0x80
	v_cmp_eq_u16_sdwa s[12:13], v21, s4 src0_sel:BYTE_0 src1_sel:DWORD
	s_mov_b64 s[4:5], -1
                                        ; implicit-def: $sgpr10
	s_and_saveexec_b64 s[8:9], s[12:13]
; %bb.3086:
	s_mov_b32 s10, 0x7f800001
	s_xor_b64 s[4:5], exec, -1
; %bb.3087:
	s_or_b64 exec, exec, s[8:9]
	s_and_b64 s[4:5], s[4:5], exec
	s_or_saveexec_b64 s[6:7], s[6:7]
	v_mov_b32_e32 v22, s10
	s_xor_b64 exec, exec, s[6:7]
	s_cbranch_execz .LBB40_1038
.LBB40_3088:
	v_mov_b32_e32 v22, 0
	v_cmp_ne_u16_sdwa s[8:9], v21, v22 src0_sel:BYTE_0 src1_sel:DWORD
	s_andn2_b64 s[4:5], s[4:5], exec
	s_and_b64 s[8:9], s[8:9], exec
	s_or_b64 s[4:5], s[4:5], s[8:9]
	s_or_b64 exec, exec, s[6:7]
	s_and_saveexec_b64 s[6:7], s[4:5]
	s_cbranch_execnz .LBB40_1039
	s_branch .LBB40_1040
.LBB40_3089:
	s_movk_i32 s4, 0x80
	v_cmp_eq_u16_e32 vcc, s4, v21
	s_mov_b64 s[4:5], -1
                                        ; implicit-def: $sgpr10
	s_and_saveexec_b64 s[8:9], vcc
; %bb.3090:
	s_mov_b32 s10, 0x7f800001
	s_xor_b64 s[4:5], exec, -1
; %bb.3091:
	s_or_b64 exec, exec, s[8:9]
	s_and_b64 s[4:5], s[4:5], exec
                                        ; implicit-def: $vgpr21
	s_or_saveexec_b64 s[6:7], s[6:7]
	v_mov_b32_e32 v20, s10
	s_xor_b64 exec, exec, s[6:7]
	s_cbranch_execz .LBB40_1042
.LBB40_3092:
	v_cmp_ne_u16_e32 vcc, 0, v21
	s_andn2_b64 s[4:5], s[4:5], exec
	s_and_b64 s[8:9], vcc, exec
	v_mov_b32_e32 v20, 0
	s_or_b64 s[4:5], s[4:5], s[8:9]
	s_or_b64 exec, exec, s[6:7]
	s_and_saveexec_b64 s[6:7], s[4:5]
	s_cbranch_execnz .LBB40_1043
	s_branch .LBB40_1044
.LBB40_3093:
	s_movk_i32 s4, 0x80
	v_cmp_eq_u16_e32 vcc, s4, v21
	s_mov_b64 s[4:5], -1
                                        ; implicit-def: $sgpr10
	s_and_saveexec_b64 s[8:9], vcc
; %bb.3094:
	s_mov_b32 s10, 0x7f800001
	s_xor_b64 s[4:5], exec, -1
; %bb.3095:
	s_or_b64 exec, exec, s[8:9]
	s_and_b64 s[4:5], s[4:5], exec
                                        ; implicit-def: $vgpr21
	s_or_saveexec_b64 s[6:7], s[6:7]
	v_mov_b32_e32 v22, s10
	s_xor_b64 exec, exec, s[6:7]
	s_cbranch_execz .LBB40_1046
.LBB40_3096:
	v_cmp_ne_u16_e32 vcc, 0, v21
	s_andn2_b64 s[4:5], s[4:5], exec
	s_and_b64 s[8:9], vcc, exec
	v_mov_b32_e32 v22, 0
	s_or_b64 s[4:5], s[4:5], s[8:9]
	s_or_b64 exec, exec, s[6:7]
	s_and_saveexec_b64 s[6:7], s[4:5]
	s_cbranch_execnz .LBB40_1047
	s_branch .LBB40_1048
.LBB40_3097:
	s_movk_i32 s4, 0x80
	v_cmp_eq_u16_sdwa s[12:13], v14, s4 src0_sel:BYTE_3 src1_sel:DWORD
	s_mov_b64 s[4:5], -1
                                        ; implicit-def: $sgpr10
	s_and_saveexec_b64 s[8:9], s[12:13]
; %bb.3098:
	s_mov_b32 s10, 0x7f800001
	s_xor_b64 s[4:5], exec, -1
; %bb.3099:
	s_or_b64 exec, exec, s[8:9]
	s_and_b64 s[4:5], s[4:5], exec
	s_or_saveexec_b64 s[6:7], s[6:7]
	v_mov_b32_e32 v20, s10
	s_xor_b64 exec, exec, s[6:7]
	s_cbranch_execz .LBB40_1050
.LBB40_3100:
	v_mov_b32_e32 v20, 0
	v_cmp_ne_u16_sdwa s[8:9], v14, v20 src0_sel:BYTE_3 src1_sel:DWORD
	s_andn2_b64 s[4:5], s[4:5], exec
	s_and_b64 s[8:9], s[8:9], exec
	s_or_b64 s[4:5], s[4:5], s[8:9]
	s_or_b64 exec, exec, s[6:7]
	s_and_saveexec_b64 s[6:7], s[4:5]
	s_cbranch_execnz .LBB40_1051
	s_branch .LBB40_1052
.LBB40_3101:
	s_movk_i32 s4, 0x80
	v_cmp_eq_u16_sdwa s[12:13], v10, s4 src0_sel:BYTE_3 src1_sel:DWORD
	s_mov_b64 s[4:5], -1
                                        ; implicit-def: $sgpr10
	s_and_saveexec_b64 s[8:9], s[12:13]
; %bb.3102:
	s_mov_b32 s10, 0x7f800001
	s_xor_b64 s[4:5], exec, -1
; %bb.3103:
	s_or_b64 exec, exec, s[8:9]
	s_and_b64 s[4:5], s[4:5], exec
	s_or_saveexec_b64 s[6:7], s[6:7]
	v_mov_b32_e32 v14, s10
	s_xor_b64 exec, exec, s[6:7]
	s_cbranch_execz .LBB40_1054
.LBB40_3104:
	v_mov_b32_e32 v14, 0
	v_cmp_ne_u16_sdwa s[8:9], v10, v14 src0_sel:BYTE_3 src1_sel:DWORD
	s_andn2_b64 s[4:5], s[4:5], exec
	s_and_b64 s[8:9], s[8:9], exec
	s_or_b64 s[4:5], s[4:5], s[8:9]
	s_or_b64 exec, exec, s[6:7]
	s_and_saveexec_b64 s[6:7], s[4:5]
	s_cbranch_execnz .LBB40_1055
	s_branch .LBB40_1056
.LBB40_3105:
	s_movk_i32 s4, 0x80
	v_cmp_eq_u16_sdwa s[12:13], v15, s4 src0_sel:BYTE_0 src1_sel:DWORD
	s_mov_b64 s[4:5], -1
                                        ; implicit-def: $sgpr10
	s_and_saveexec_b64 s[8:9], s[12:13]
; %bb.3106:
	s_mov_b32 s10, 0x7f800001
	s_xor_b64 s[4:5], exec, -1
; %bb.3107:
	s_or_b64 exec, exec, s[8:9]
	s_and_b64 s[4:5], s[4:5], exec
	s_or_saveexec_b64 s[6:7], s[6:7]
	v_mov_b32_e32 v10, s10
	s_xor_b64 exec, exec, s[6:7]
	s_cbranch_execz .LBB40_1058
.LBB40_3108:
	v_mov_b32_e32 v10, 0
	v_cmp_ne_u16_sdwa s[8:9], v15, v10 src0_sel:BYTE_0 src1_sel:DWORD
	s_andn2_b64 s[4:5], s[4:5], exec
	s_and_b64 s[8:9], s[8:9], exec
	s_or_b64 s[4:5], s[4:5], s[8:9]
	s_or_b64 exec, exec, s[6:7]
	s_and_saveexec_b64 s[6:7], s[4:5]
	s_cbranch_execnz .LBB40_1059
	s_branch .LBB40_1060
.LBB40_3109:
	s_movk_i32 s4, 0x80
	v_cmp_eq_u16_sdwa s[12:13], v11, s4 src0_sel:BYTE_0 src1_sel:DWORD
	s_mov_b64 s[4:5], -1
                                        ; implicit-def: $sgpr10
	s_and_saveexec_b64 s[8:9], s[12:13]
; %bb.3110:
	s_mov_b32 s10, 0x7f800001
	s_xor_b64 s[4:5], exec, -1
; %bb.3111:
	s_or_b64 exec, exec, s[8:9]
	s_and_b64 s[4:5], s[4:5], exec
	s_or_saveexec_b64 s[6:7], s[6:7]
	v_mov_b32_e32 v14, s10
	s_xor_b64 exec, exec, s[6:7]
	s_cbranch_execz .LBB40_1062
.LBB40_3112:
	v_mov_b32_e32 v14, 0
	v_cmp_ne_u16_sdwa s[8:9], v11, v14 src0_sel:BYTE_0 src1_sel:DWORD
	s_andn2_b64 s[4:5], s[4:5], exec
	s_and_b64 s[8:9], s[8:9], exec
	s_or_b64 s[4:5], s[4:5], s[8:9]
	s_or_b64 exec, exec, s[6:7]
	s_and_saveexec_b64 s[6:7], s[4:5]
	s_cbranch_execnz .LBB40_1063
	s_branch .LBB40_1064
.LBB40_3113:
	s_movk_i32 s4, 0x80
	v_cmp_eq_u16_sdwa s[12:13], v14, s4 src0_sel:BYTE_0 src1_sel:DWORD
	s_mov_b64 s[4:5], -1
                                        ; implicit-def: $sgpr10
	s_and_saveexec_b64 s[8:9], s[12:13]
; %bb.3114:
	s_mov_b32 s10, 0x7f800001
	s_xor_b64 s[4:5], exec, -1
; %bb.3115:
	s_or_b64 exec, exec, s[8:9]
	s_and_b64 s[4:5], s[4:5], exec
	s_or_saveexec_b64 s[6:7], s[6:7]
	v_mov_b32_e32 v10, s10
	s_xor_b64 exec, exec, s[6:7]
	s_cbranch_execz .LBB40_1066
.LBB40_3116:
	v_mov_b32_e32 v10, 0
	v_cmp_ne_u16_sdwa s[8:9], v14, v10 src0_sel:BYTE_0 src1_sel:DWORD
	s_andn2_b64 s[4:5], s[4:5], exec
	s_and_b64 s[8:9], s[8:9], exec
	s_or_b64 s[4:5], s[4:5], s[8:9]
	s_or_b64 exec, exec, s[6:7]
	s_and_saveexec_b64 s[6:7], s[4:5]
	s_cbranch_execnz .LBB40_1067
	s_branch .LBB40_1068
.LBB40_3117:
	s_movk_i32 s4, 0x80
	v_cmp_eq_u16_sdwa s[12:13], v14, s4 src0_sel:BYTE_0 src1_sel:DWORD
	s_mov_b64 s[4:5], -1
                                        ; implicit-def: $sgpr10
	s_and_saveexec_b64 s[8:9], s[12:13]
; %bb.3118:
	s_mov_b32 s10, 0x7f800001
	s_xor_b64 s[4:5], exec, -1
; %bb.3119:
	s_or_b64 exec, exec, s[8:9]
	s_and_b64 s[4:5], s[4:5], exec
	s_or_saveexec_b64 s[6:7], s[6:7]
	v_mov_b32_e32 v20, s10
	s_xor_b64 exec, exec, s[6:7]
	s_cbranch_execz .LBB40_1070
.LBB40_3120:
	v_mov_b32_e32 v20, 0
	v_cmp_ne_u16_sdwa s[8:9], v14, v20 src0_sel:BYTE_0 src1_sel:DWORD
	s_andn2_b64 s[4:5], s[4:5], exec
	s_and_b64 s[8:9], s[8:9], exec
	s_or_b64 s[4:5], s[4:5], s[8:9]
	s_or_b64 exec, exec, s[6:7]
	s_and_saveexec_b64 s[6:7], s[4:5]
	s_cbranch_execnz .LBB40_1071
	s_branch .LBB40_1072
.LBB40_3121:
	s_movk_i32 s4, 0x80
	v_cmp_eq_u16_e32 vcc, s4, v14
	s_mov_b64 s[4:5], -1
                                        ; implicit-def: $sgpr10
	s_and_saveexec_b64 s[8:9], vcc
; %bb.3122:
	s_mov_b32 s10, 0x7f800001
	s_xor_b64 s[4:5], exec, -1
; %bb.3123:
	s_or_b64 exec, exec, s[8:9]
	s_and_b64 s[4:5], s[4:5], exec
                                        ; implicit-def: $vgpr14
	s_or_saveexec_b64 s[6:7], s[6:7]
	v_mov_b32_e32 v10, s10
	s_xor_b64 exec, exec, s[6:7]
	s_cbranch_execz .LBB40_1074
.LBB40_3124:
	v_cmp_ne_u16_e32 vcc, 0, v14
	s_andn2_b64 s[4:5], s[4:5], exec
	s_and_b64 s[8:9], vcc, exec
	v_mov_b32_e32 v10, 0
	s_or_b64 s[4:5], s[4:5], s[8:9]
	s_or_b64 exec, exec, s[6:7]
	s_and_saveexec_b64 s[6:7], s[4:5]
	s_cbranch_execnz .LBB40_1075
	s_branch .LBB40_1076
.LBB40_3125:
	s_movk_i32 s4, 0x80
	v_cmp_eq_u16_e32 vcc, s4, v14
	s_mov_b64 s[4:5], -1
                                        ; implicit-def: $sgpr10
	s_and_saveexec_b64 s[8:9], vcc
; %bb.3126:
	s_mov_b32 s10, 0x7f800001
	s_xor_b64 s[4:5], exec, -1
; %bb.3127:
	s_or_b64 exec, exec, s[8:9]
	s_and_b64 s[4:5], s[4:5], exec
                                        ; implicit-def: $vgpr14
	s_or_saveexec_b64 s[6:7], s[6:7]
	v_mov_b32_e32 v20, s10
	s_xor_b64 exec, exec, s[6:7]
	s_cbranch_execz .LBB40_1078
.LBB40_3128:
	v_cmp_ne_u16_e32 vcc, 0, v14
	s_andn2_b64 s[4:5], s[4:5], exec
	s_and_b64 s[8:9], vcc, exec
	v_mov_b32_e32 v20, 0
	s_or_b64 s[4:5], s[4:5], s[8:9]
	s_or_b64 exec, exec, s[6:7]
	s_and_saveexec_b64 s[6:7], s[4:5]
	s_cbranch_execnz .LBB40_1079
	s_branch .LBB40_1080
.LBB40_3129:
	s_movk_i32 s4, 0x80
	v_cmp_eq_u16_sdwa s[12:13], v15, s4 src0_sel:BYTE_3 src1_sel:DWORD
	s_mov_b64 s[4:5], -1
                                        ; implicit-def: $sgpr10
	s_and_saveexec_b64 s[8:9], s[12:13]
; %bb.3130:
	s_mov_b32 s10, 0x7f800001
	s_xor_b64 s[4:5], exec, -1
; %bb.3131:
	s_or_b64 exec, exec, s[8:9]
	s_and_b64 s[4:5], s[4:5], exec
	s_or_saveexec_b64 s[6:7], s[6:7]
	v_mov_b32_e32 v10, s10
	s_xor_b64 exec, exec, s[6:7]
	s_cbranch_execz .LBB40_1082
.LBB40_3132:
	v_mov_b32_e32 v10, 0
	v_cmp_ne_u16_sdwa s[8:9], v15, v10 src0_sel:BYTE_3 src1_sel:DWORD
	s_andn2_b64 s[4:5], s[4:5], exec
	s_and_b64 s[8:9], s[8:9], exec
	s_or_b64 s[4:5], s[4:5], s[8:9]
	s_or_b64 exec, exec, s[6:7]
	s_and_saveexec_b64 s[6:7], s[4:5]
	s_cbranch_execnz .LBB40_1083
	s_branch .LBB40_1084
.LBB40_3133:
	s_movk_i32 s4, 0x80
	v_cmp_eq_u16_sdwa s[12:13], v11, s4 src0_sel:BYTE_3 src1_sel:DWORD
	s_mov_b64 s[4:5], -1
                                        ; implicit-def: $sgpr10
	s_and_saveexec_b64 s[8:9], s[12:13]
; %bb.3134:
	s_mov_b32 s10, 0x7f800001
	s_xor_b64 s[4:5], exec, -1
; %bb.3135:
	s_or_b64 exec, exec, s[8:9]
	s_and_b64 s[4:5], s[4:5], exec
	s_or_saveexec_b64 s[6:7], s[6:7]
	v_mov_b32_e32 v14, s10
	s_xor_b64 exec, exec, s[6:7]
	s_cbranch_execz .LBB40_1086
.LBB40_3136:
	v_mov_b32_e32 v14, 0
	v_cmp_ne_u16_sdwa s[8:9], v11, v14 src0_sel:BYTE_3 src1_sel:DWORD
	s_andn2_b64 s[4:5], s[4:5], exec
	s_and_b64 s[8:9], s[8:9], exec
	s_or_b64 s[4:5], s[4:5], s[8:9]
	s_or_b64 exec, exec, s[6:7]
	s_and_saveexec_b64 s[6:7], s[4:5]
	s_cbranch_execnz .LBB40_1087
	s_branch .LBB40_1088
.LBB40_3137:
	s_movk_i32 s4, 0x80
	v_cmp_eq_u16_sdwa s[12:13], v16, s4 src0_sel:BYTE_0 src1_sel:DWORD
	s_mov_b64 s[4:5], -1
                                        ; implicit-def: $sgpr10
	s_and_saveexec_b64 s[8:9], s[12:13]
; %bb.3138:
	s_mov_b32 s10, 0x7f800001
	s_xor_b64 s[4:5], exec, -1
; %bb.3139:
	s_or_b64 exec, exec, s[8:9]
	s_and_b64 s[4:5], s[4:5], exec
	s_or_saveexec_b64 s[6:7], s[6:7]
	v_mov_b32_e32 v10, s10
	s_xor_b64 exec, exec, s[6:7]
	s_cbranch_execz .LBB40_1090
.LBB40_3140:
	v_mov_b32_e32 v10, 0
	v_cmp_ne_u16_sdwa s[8:9], v16, v10 src0_sel:BYTE_0 src1_sel:DWORD
	s_andn2_b64 s[4:5], s[4:5], exec
	s_and_b64 s[8:9], s[8:9], exec
	s_or_b64 s[4:5], s[4:5], s[8:9]
	s_or_b64 exec, exec, s[6:7]
	s_and_saveexec_b64 s[6:7], s[4:5]
	s_cbranch_execnz .LBB40_1091
	s_branch .LBB40_1092
.LBB40_3141:
	s_movk_i32 s4, 0x80
	v_cmp_eq_u16_sdwa s[12:13], v12, s4 src0_sel:BYTE_0 src1_sel:DWORD
	s_mov_b64 s[4:5], -1
                                        ; implicit-def: $sgpr10
	s_and_saveexec_b64 s[8:9], s[12:13]
; %bb.3142:
	s_mov_b32 s10, 0x7f800001
	s_xor_b64 s[4:5], exec, -1
; %bb.3143:
	s_or_b64 exec, exec, s[8:9]
	s_and_b64 s[4:5], s[4:5], exec
	s_or_saveexec_b64 s[6:7], s[6:7]
	v_mov_b32_e32 v11, s10
	s_xor_b64 exec, exec, s[6:7]
	s_cbranch_execz .LBB40_1094
.LBB40_3144:
	v_mov_b32_e32 v11, 0
	v_cmp_ne_u16_sdwa s[8:9], v12, v11 src0_sel:BYTE_0 src1_sel:DWORD
	s_andn2_b64 s[4:5], s[4:5], exec
	s_and_b64 s[8:9], s[8:9], exec
	s_or_b64 s[4:5], s[4:5], s[8:9]
	s_or_b64 exec, exec, s[6:7]
	s_and_saveexec_b64 s[6:7], s[4:5]
	s_cbranch_execnz .LBB40_1095
	s_branch .LBB40_1096
.LBB40_3145:
	s_movk_i32 s4, 0x80
	v_cmp_eq_u16_sdwa s[12:13], v11, s4 src0_sel:BYTE_0 src1_sel:DWORD
	s_mov_b64 s[4:5], -1
                                        ; implicit-def: $sgpr10
	s_and_saveexec_b64 s[8:9], s[12:13]
; %bb.3146:
	s_mov_b32 s10, 0x7f800001
	s_xor_b64 s[4:5], exec, -1
; %bb.3147:
	s_or_b64 exec, exec, s[8:9]
	s_and_b64 s[4:5], s[4:5], exec
	s_or_saveexec_b64 s[6:7], s[6:7]
	v_mov_b32_e32 v10, s10
	s_xor_b64 exec, exec, s[6:7]
	s_cbranch_execz .LBB40_1098
.LBB40_3148:
	v_mov_b32_e32 v10, 0
	v_cmp_ne_u16_sdwa s[8:9], v11, v10 src0_sel:BYTE_0 src1_sel:DWORD
	s_andn2_b64 s[4:5], s[4:5], exec
	s_and_b64 s[8:9], s[8:9], exec
	s_or_b64 s[4:5], s[4:5], s[8:9]
	s_or_b64 exec, exec, s[6:7]
	s_and_saveexec_b64 s[6:7], s[4:5]
	s_cbranch_execnz .LBB40_1099
	s_branch .LBB40_1100
.LBB40_3149:
	s_movk_i32 s4, 0x80
	v_cmp_eq_u16_sdwa s[12:13], v11, s4 src0_sel:BYTE_0 src1_sel:DWORD
	s_mov_b64 s[4:5], -1
                                        ; implicit-def: $sgpr10
	s_and_saveexec_b64 s[8:9], s[12:13]
; %bb.3150:
	s_mov_b32 s10, 0x7f800001
	s_xor_b64 s[4:5], exec, -1
; %bb.3151:
	s_or_b64 exec, exec, s[8:9]
	s_and_b64 s[4:5], s[4:5], exec
	s_or_saveexec_b64 s[6:7], s[6:7]
	v_mov_b32_e32 v14, s10
	s_xor_b64 exec, exec, s[6:7]
	s_cbranch_execz .LBB40_1102
.LBB40_3152:
	v_mov_b32_e32 v14, 0
	v_cmp_ne_u16_sdwa s[8:9], v11, v14 src0_sel:BYTE_0 src1_sel:DWORD
	s_andn2_b64 s[4:5], s[4:5], exec
	s_and_b64 s[8:9], s[8:9], exec
	s_or_b64 s[4:5], s[4:5], s[8:9]
	s_or_b64 exec, exec, s[6:7]
	s_and_saveexec_b64 s[6:7], s[4:5]
	s_cbranch_execnz .LBB40_1103
	s_branch .LBB40_1104
.LBB40_3153:
	s_movk_i32 s4, 0x80
	v_cmp_eq_u16_e32 vcc, s4, v11
	s_mov_b64 s[4:5], -1
                                        ; implicit-def: $sgpr10
	s_and_saveexec_b64 s[8:9], vcc
; %bb.3154:
	s_mov_b32 s10, 0x7f800001
	s_xor_b64 s[4:5], exec, -1
; %bb.3155:
	s_or_b64 exec, exec, s[8:9]
	s_and_b64 s[4:5], s[4:5], exec
                                        ; implicit-def: $vgpr11
	s_or_saveexec_b64 s[6:7], s[6:7]
	v_mov_b32_e32 v10, s10
	s_xor_b64 exec, exec, s[6:7]
	s_cbranch_execz .LBB40_1106
.LBB40_3156:
	v_cmp_ne_u16_e32 vcc, 0, v11
	s_andn2_b64 s[4:5], s[4:5], exec
	s_and_b64 s[8:9], vcc, exec
	v_mov_b32_e32 v10, 0
	s_or_b64 s[4:5], s[4:5], s[8:9]
	s_or_b64 exec, exec, s[6:7]
	s_and_saveexec_b64 s[6:7], s[4:5]
	s_cbranch_execnz .LBB40_1107
	s_branch .LBB40_1108
.LBB40_3157:
	s_movk_i32 s4, 0x80
	v_cmp_eq_u16_e32 vcc, s4, v11
	s_mov_b64 s[4:5], -1
                                        ; implicit-def: $sgpr10
	s_and_saveexec_b64 s[8:9], vcc
; %bb.3158:
	s_mov_b32 s10, 0x7f800001
	s_xor_b64 s[4:5], exec, -1
; %bb.3159:
	s_or_b64 exec, exec, s[8:9]
	s_and_b64 s[4:5], s[4:5], exec
                                        ; implicit-def: $vgpr11
	s_or_saveexec_b64 s[6:7], s[6:7]
	v_mov_b32_e32 v14, s10
	s_xor_b64 exec, exec, s[6:7]
	s_cbranch_execz .LBB40_1110
.LBB40_3160:
	v_cmp_ne_u16_e32 vcc, 0, v11
	s_andn2_b64 s[4:5], s[4:5], exec
	s_and_b64 s[8:9], vcc, exec
	v_mov_b32_e32 v14, 0
	s_or_b64 s[4:5], s[4:5], s[8:9]
	s_or_b64 exec, exec, s[6:7]
	s_and_saveexec_b64 s[6:7], s[4:5]
	s_cbranch_execnz .LBB40_1111
	s_branch .LBB40_1112
.LBB40_3161:
	s_movk_i32 s4, 0x80
	v_cmp_eq_u16_sdwa s[12:13], v16, s4 src0_sel:BYTE_3 src1_sel:DWORD
	s_mov_b64 s[4:5], -1
                                        ; implicit-def: $sgpr10
	s_and_saveexec_b64 s[8:9], s[12:13]
; %bb.3162:
	s_mov_b32 s10, 0x7f800001
	s_xor_b64 s[4:5], exec, -1
; %bb.3163:
	s_or_b64 exec, exec, s[8:9]
	s_and_b64 s[4:5], s[4:5], exec
	s_or_saveexec_b64 s[6:7], s[6:7]
	v_mov_b32_e32 v10, s10
	s_xor_b64 exec, exec, s[6:7]
	s_cbranch_execz .LBB40_1114
.LBB40_3164:
	v_mov_b32_e32 v10, 0
	v_cmp_ne_u16_sdwa s[8:9], v16, v10 src0_sel:BYTE_3 src1_sel:DWORD
	s_andn2_b64 s[4:5], s[4:5], exec
	s_and_b64 s[8:9], s[8:9], exec
	s_or_b64 s[4:5], s[4:5], s[8:9]
	s_or_b64 exec, exec, s[6:7]
	s_and_saveexec_b64 s[6:7], s[4:5]
	s_cbranch_execnz .LBB40_1115
	s_branch .LBB40_1116
.LBB40_3165:
	s_movk_i32 s4, 0x80
	v_cmp_eq_u16_sdwa s[12:13], v12, s4 src0_sel:BYTE_3 src1_sel:DWORD
	s_mov_b64 s[4:5], -1
                                        ; implicit-def: $sgpr10
	s_and_saveexec_b64 s[8:9], s[12:13]
; %bb.3166:
	s_mov_b32 s10, 0x7f800001
	s_xor_b64 s[4:5], exec, -1
; %bb.3167:
	s_or_b64 exec, exec, s[8:9]
	s_and_b64 s[4:5], s[4:5], exec
	s_or_saveexec_b64 s[6:7], s[6:7]
	v_mov_b32_e32 v11, s10
	s_xor_b64 exec, exec, s[6:7]
	s_cbranch_execz .LBB40_1118
.LBB40_3168:
	v_mov_b32_e32 v11, 0
	v_cmp_ne_u16_sdwa s[8:9], v12, v11 src0_sel:BYTE_3 src1_sel:DWORD
	s_andn2_b64 s[4:5], s[4:5], exec
	s_and_b64 s[8:9], s[8:9], exec
	s_or_b64 s[4:5], s[4:5], s[8:9]
	s_or_b64 exec, exec, s[6:7]
	s_and_saveexec_b64 s[6:7], s[4:5]
	s_cbranch_execnz .LBB40_1119
	s_branch .LBB40_1120
.LBB40_3169:
	s_movk_i32 s4, 0x80
	v_cmp_eq_u16_sdwa s[12:13], v17, s4 src0_sel:BYTE_0 src1_sel:DWORD
	s_mov_b64 s[4:5], -1
                                        ; implicit-def: $sgpr10
	s_and_saveexec_b64 s[8:9], s[12:13]
; %bb.3170:
	s_mov_b32 s10, 0x7f800001
	s_xor_b64 s[4:5], exec, -1
; %bb.3171:
	s_or_b64 exec, exec, s[8:9]
	s_and_b64 s[4:5], s[4:5], exec
	s_or_saveexec_b64 s[6:7], s[6:7]
	v_mov_b32_e32 v10, s10
	s_xor_b64 exec, exec, s[6:7]
	s_cbranch_execz .LBB40_1122
.LBB40_3172:
	v_mov_b32_e32 v10, 0
	v_cmp_ne_u16_sdwa s[8:9], v17, v10 src0_sel:BYTE_0 src1_sel:DWORD
	s_andn2_b64 s[4:5], s[4:5], exec
	s_and_b64 s[8:9], s[8:9], exec
	s_or_b64 s[4:5], s[4:5], s[8:9]
	s_or_b64 exec, exec, s[6:7]
	s_and_saveexec_b64 s[6:7], s[4:5]
	s_cbranch_execnz .LBB40_1123
	s_branch .LBB40_1124
.LBB40_3173:
	s_movk_i32 s4, 0x80
	v_cmp_eq_u16_sdwa s[12:13], v13, s4 src0_sel:BYTE_0 src1_sel:DWORD
	s_mov_b64 s[4:5], -1
                                        ; implicit-def: $sgpr10
	s_and_saveexec_b64 s[8:9], s[12:13]
; %bb.3174:
	s_mov_b32 s10, 0x7f800001
	s_xor_b64 s[4:5], exec, -1
; %bb.3175:
	s_or_b64 exec, exec, s[8:9]
	s_and_b64 s[4:5], s[4:5], exec
	s_or_saveexec_b64 s[6:7], s[6:7]
	v_mov_b32_e32 v11, s10
	s_xor_b64 exec, exec, s[6:7]
	s_cbranch_execz .LBB40_1126
.LBB40_3176:
	v_mov_b32_e32 v11, 0
	v_cmp_ne_u16_sdwa s[8:9], v13, v11 src0_sel:BYTE_0 src1_sel:DWORD
	s_andn2_b64 s[4:5], s[4:5], exec
	s_and_b64 s[8:9], s[8:9], exec
	s_or_b64 s[4:5], s[4:5], s[8:9]
	s_or_b64 exec, exec, s[6:7]
	s_and_saveexec_b64 s[6:7], s[4:5]
	s_cbranch_execnz .LBB40_1127
	s_branch .LBB40_1128
.LBB40_3177:
	s_movk_i32 s4, 0x80
	v_cmp_eq_u16_sdwa s[12:13], v11, s4 src0_sel:BYTE_0 src1_sel:DWORD
	s_mov_b64 s[4:5], -1
                                        ; implicit-def: $sgpr10
	s_and_saveexec_b64 s[8:9], s[12:13]
; %bb.3178:
	s_mov_b32 s10, 0x7f800001
	s_xor_b64 s[4:5], exec, -1
; %bb.3179:
	s_or_b64 exec, exec, s[8:9]
	s_and_b64 s[4:5], s[4:5], exec
	s_or_saveexec_b64 s[6:7], s[6:7]
	v_mov_b32_e32 v10, s10
	s_xor_b64 exec, exec, s[6:7]
	s_cbranch_execz .LBB40_1130
.LBB40_3180:
	v_mov_b32_e32 v10, 0
	v_cmp_ne_u16_sdwa s[8:9], v11, v10 src0_sel:BYTE_0 src1_sel:DWORD
	s_andn2_b64 s[4:5], s[4:5], exec
	s_and_b64 s[8:9], s[8:9], exec
	s_or_b64 s[4:5], s[4:5], s[8:9]
	s_or_b64 exec, exec, s[6:7]
	s_and_saveexec_b64 s[6:7], s[4:5]
	s_cbranch_execnz .LBB40_1131
	s_branch .LBB40_1132
.LBB40_3181:
	s_movk_i32 s4, 0x80
	v_cmp_eq_u16_sdwa s[12:13], v11, s4 src0_sel:BYTE_0 src1_sel:DWORD
	s_mov_b64 s[4:5], -1
                                        ; implicit-def: $sgpr10
	s_and_saveexec_b64 s[8:9], s[12:13]
; %bb.3182:
	s_mov_b32 s10, 0x7f800001
	s_xor_b64 s[4:5], exec, -1
; %bb.3183:
	s_or_b64 exec, exec, s[8:9]
	s_and_b64 s[4:5], s[4:5], exec
	s_or_saveexec_b64 s[6:7], s[6:7]
	v_mov_b32_e32 v12, s10
	s_xor_b64 exec, exec, s[6:7]
	s_cbranch_execz .LBB40_1134
.LBB40_3184:
	v_mov_b32_e32 v12, 0
	v_cmp_ne_u16_sdwa s[8:9], v11, v12 src0_sel:BYTE_0 src1_sel:DWORD
	s_andn2_b64 s[4:5], s[4:5], exec
	s_and_b64 s[8:9], s[8:9], exec
	s_or_b64 s[4:5], s[4:5], s[8:9]
	s_or_b64 exec, exec, s[6:7]
	s_and_saveexec_b64 s[6:7], s[4:5]
	s_cbranch_execnz .LBB40_1135
	s_branch .LBB40_1136
.LBB40_3185:
	s_movk_i32 s4, 0x80
	v_cmp_eq_u16_e32 vcc, s4, v11
	s_mov_b64 s[4:5], -1
                                        ; implicit-def: $sgpr10
	s_and_saveexec_b64 s[8:9], vcc
; %bb.3186:
	s_mov_b32 s10, 0x7f800001
	s_xor_b64 s[4:5], exec, -1
; %bb.3187:
	s_or_b64 exec, exec, s[8:9]
	s_and_b64 s[4:5], s[4:5], exec
                                        ; implicit-def: $vgpr11
	s_or_saveexec_b64 s[6:7], s[6:7]
	v_mov_b32_e32 v10, s10
	s_xor_b64 exec, exec, s[6:7]
	s_cbranch_execz .LBB40_1138
.LBB40_3188:
	v_cmp_ne_u16_e32 vcc, 0, v11
	s_andn2_b64 s[4:5], s[4:5], exec
	s_and_b64 s[8:9], vcc, exec
	v_mov_b32_e32 v10, 0
	s_or_b64 s[4:5], s[4:5], s[8:9]
	s_or_b64 exec, exec, s[6:7]
	s_and_saveexec_b64 s[6:7], s[4:5]
	s_cbranch_execnz .LBB40_1139
	s_branch .LBB40_1140
.LBB40_3189:
	s_movk_i32 s4, 0x80
	v_cmp_eq_u16_e32 vcc, s4, v11
	s_mov_b64 s[4:5], -1
                                        ; implicit-def: $sgpr10
	s_and_saveexec_b64 s[8:9], vcc
; %bb.3190:
	s_mov_b32 s10, 0x7f800001
	s_xor_b64 s[4:5], exec, -1
; %bb.3191:
	s_or_b64 exec, exec, s[8:9]
	s_and_b64 s[4:5], s[4:5], exec
                                        ; implicit-def: $vgpr11
	s_or_saveexec_b64 s[6:7], s[6:7]
	v_mov_b32_e32 v12, s10
	s_xor_b64 exec, exec, s[6:7]
	s_cbranch_execz .LBB40_1142
.LBB40_3192:
	v_cmp_ne_u16_e32 vcc, 0, v11
	s_andn2_b64 s[4:5], s[4:5], exec
	s_and_b64 s[8:9], vcc, exec
	v_mov_b32_e32 v12, 0
	s_or_b64 s[4:5], s[4:5], s[8:9]
	s_or_b64 exec, exec, s[6:7]
	s_and_saveexec_b64 s[6:7], s[4:5]
	s_cbranch_execnz .LBB40_1143
	s_branch .LBB40_1144
.LBB40_3193:
	s_movk_i32 s4, 0x80
	v_cmp_eq_u16_sdwa s[12:13], v17, s4 src0_sel:BYTE_3 src1_sel:DWORD
	s_mov_b64 s[4:5], -1
                                        ; implicit-def: $sgpr10
	s_and_saveexec_b64 s[8:9], s[12:13]
; %bb.3194:
	s_mov_b32 s10, 0x7f800001
	s_xor_b64 s[4:5], exec, -1
; %bb.3195:
	s_or_b64 exec, exec, s[8:9]
	s_and_b64 s[4:5], s[4:5], exec
	s_or_saveexec_b64 s[6:7], s[6:7]
	v_mov_b32_e32 v10, s10
	s_xor_b64 exec, exec, s[6:7]
	s_cbranch_execz .LBB40_1146
.LBB40_3196:
	v_mov_b32_e32 v10, 0
	v_cmp_ne_u16_sdwa s[8:9], v17, v10 src0_sel:BYTE_3 src1_sel:DWORD
	s_andn2_b64 s[4:5], s[4:5], exec
	s_and_b64 s[8:9], s[8:9], exec
	s_or_b64 s[4:5], s[4:5], s[8:9]
	s_or_b64 exec, exec, s[6:7]
	s_and_saveexec_b64 s[6:7], s[4:5]
	s_cbranch_execnz .LBB40_1147
	s_branch .LBB40_1148
.LBB40_3197:
	s_movk_i32 s4, 0x80
	v_cmp_eq_u16_sdwa s[12:13], v13, s4 src0_sel:BYTE_3 src1_sel:DWORD
	s_mov_b64 s[4:5], -1
                                        ; implicit-def: $sgpr10
	s_and_saveexec_b64 s[8:9], s[12:13]
; %bb.3198:
	s_mov_b32 s10, 0x7f800001
	s_xor_b64 s[4:5], exec, -1
; %bb.3199:
	s_or_b64 exec, exec, s[8:9]
	s_and_b64 s[4:5], s[4:5], exec
	s_or_saveexec_b64 s[6:7], s[6:7]
	v_mov_b32_e32 v11, s10
	s_xor_b64 exec, exec, s[6:7]
	s_cbranch_execz .LBB40_1150
.LBB40_3200:
	v_mov_b32_e32 v11, 0
	v_cmp_ne_u16_sdwa s[8:9], v13, v11 src0_sel:BYTE_3 src1_sel:DWORD
	s_andn2_b64 s[4:5], s[4:5], exec
	s_and_b64 s[8:9], s[8:9], exec
	s_or_b64 s[4:5], s[4:5], s[8:9]
	s_or_b64 exec, exec, s[6:7]
	s_and_saveexec_b64 s[6:7], s[4:5]
	s_cbranch_execnz .LBB40_1151
	s_branch .LBB40_1152
.LBB40_3201:
	s_movk_i32 s4, 0x80
	v_cmp_eq_u16_sdwa s[12:13], v6, s4 src0_sel:BYTE_0 src1_sel:DWORD
	s_mov_b64 s[4:5], -1
                                        ; implicit-def: $sgpr10
	s_and_saveexec_b64 s[8:9], s[12:13]
; %bb.3202:
	s_mov_b32 s10, 0x7f800001
	s_xor_b64 s[4:5], exec, -1
; %bb.3203:
	s_or_b64 exec, exec, s[8:9]
	s_and_b64 s[4:5], s[4:5], exec
	s_or_saveexec_b64 s[6:7], s[6:7]
	v_mov_b32_e32 v10, s10
	s_xor_b64 exec, exec, s[6:7]
	s_cbranch_execz .LBB40_1154
.LBB40_3204:
	v_mov_b32_e32 v10, 0
	v_cmp_ne_u16_sdwa s[8:9], v6, v10 src0_sel:BYTE_0 src1_sel:DWORD
	s_andn2_b64 s[4:5], s[4:5], exec
	s_and_b64 s[8:9], s[8:9], exec
	s_or_b64 s[4:5], s[4:5], s[8:9]
	s_or_b64 exec, exec, s[6:7]
	s_and_saveexec_b64 s[6:7], s[4:5]
	s_cbranch_execnz .LBB40_1155
	s_branch .LBB40_1156
.LBB40_3205:
	s_movk_i32 s4, 0x80
	v_cmp_eq_u16_sdwa s[12:13], v2, s4 src0_sel:BYTE_0 src1_sel:DWORD
	s_mov_b64 s[4:5], -1
                                        ; implicit-def: $sgpr10
	s_and_saveexec_b64 s[8:9], s[12:13]
; %bb.3206:
	s_mov_b32 s10, 0x7f800001
	s_xor_b64 s[4:5], exec, -1
; %bb.3207:
	s_or_b64 exec, exec, s[8:9]
	s_and_b64 s[4:5], s[4:5], exec
	s_or_saveexec_b64 s[6:7], s[6:7]
	v_mov_b32_e32 v11, s10
	s_xor_b64 exec, exec, s[6:7]
	s_cbranch_execz .LBB40_1158
.LBB40_3208:
	v_mov_b32_e32 v11, 0
	v_cmp_ne_u16_sdwa s[8:9], v2, v11 src0_sel:BYTE_0 src1_sel:DWORD
	s_andn2_b64 s[4:5], s[4:5], exec
	s_and_b64 s[8:9], s[8:9], exec
	s_or_b64 s[4:5], s[4:5], s[8:9]
	s_or_b64 exec, exec, s[6:7]
	s_and_saveexec_b64 s[6:7], s[4:5]
	s_cbranch_execnz .LBB40_1159
	s_branch .LBB40_1160
.LBB40_3209:
	s_movk_i32 s4, 0x80
	v_cmp_eq_u16_sdwa s[12:13], v11, s4 src0_sel:BYTE_0 src1_sel:DWORD
	s_mov_b64 s[4:5], -1
                                        ; implicit-def: $sgpr10
	s_and_saveexec_b64 s[8:9], s[12:13]
; %bb.3210:
	s_mov_b32 s10, 0x7f800001
	s_xor_b64 s[4:5], exec, -1
; %bb.3211:
	s_or_b64 exec, exec, s[8:9]
	s_and_b64 s[4:5], s[4:5], exec
	s_or_saveexec_b64 s[6:7], s[6:7]
	v_mov_b32_e32 v10, s10
	s_xor_b64 exec, exec, s[6:7]
	s_cbranch_execz .LBB40_1162
.LBB40_3212:
	v_mov_b32_e32 v10, 0
	v_cmp_ne_u16_sdwa s[8:9], v11, v10 src0_sel:BYTE_0 src1_sel:DWORD
	s_andn2_b64 s[4:5], s[4:5], exec
	s_and_b64 s[8:9], s[8:9], exec
	s_or_b64 s[4:5], s[4:5], s[8:9]
	s_or_b64 exec, exec, s[6:7]
	s_and_saveexec_b64 s[6:7], s[4:5]
	s_cbranch_execnz .LBB40_1163
	s_branch .LBB40_1164
.LBB40_3213:
	s_movk_i32 s4, 0x80
	v_cmp_eq_u16_sdwa s[12:13], v11, s4 src0_sel:BYTE_0 src1_sel:DWORD
	s_mov_b64 s[4:5], -1
                                        ; implicit-def: $sgpr10
	s_and_saveexec_b64 s[8:9], s[12:13]
; %bb.3214:
	s_mov_b32 s10, 0x7f800001
	s_xor_b64 s[4:5], exec, -1
; %bb.3215:
	s_or_b64 exec, exec, s[8:9]
	s_and_b64 s[4:5], s[4:5], exec
	s_or_saveexec_b64 s[6:7], s[6:7]
	v_mov_b32_e32 v12, s10
	s_xor_b64 exec, exec, s[6:7]
	s_cbranch_execz .LBB40_1166
.LBB40_3216:
	v_mov_b32_e32 v12, 0
	v_cmp_ne_u16_sdwa s[8:9], v11, v12 src0_sel:BYTE_0 src1_sel:DWORD
	s_andn2_b64 s[4:5], s[4:5], exec
	s_and_b64 s[8:9], s[8:9], exec
	s_or_b64 s[4:5], s[4:5], s[8:9]
	s_or_b64 exec, exec, s[6:7]
	s_and_saveexec_b64 s[6:7], s[4:5]
	s_cbranch_execnz .LBB40_1167
	s_branch .LBB40_1168
.LBB40_3217:
	s_movk_i32 s4, 0x80
	v_cmp_eq_u16_e32 vcc, s4, v11
	s_mov_b64 s[4:5], -1
                                        ; implicit-def: $sgpr10
	s_and_saveexec_b64 s[8:9], vcc
; %bb.3218:
	s_mov_b32 s10, 0x7f800001
	s_xor_b64 s[4:5], exec, -1
; %bb.3219:
	s_or_b64 exec, exec, s[8:9]
	s_and_b64 s[4:5], s[4:5], exec
                                        ; implicit-def: $vgpr11
	s_or_saveexec_b64 s[6:7], s[6:7]
	v_mov_b32_e32 v10, s10
	s_xor_b64 exec, exec, s[6:7]
	s_cbranch_execz .LBB40_1170
.LBB40_3220:
	v_cmp_ne_u16_e32 vcc, 0, v11
	s_andn2_b64 s[4:5], s[4:5], exec
	s_and_b64 s[8:9], vcc, exec
	v_mov_b32_e32 v10, 0
	s_or_b64 s[4:5], s[4:5], s[8:9]
	s_or_b64 exec, exec, s[6:7]
	s_and_saveexec_b64 s[6:7], s[4:5]
	s_cbranch_execnz .LBB40_1171
	s_branch .LBB40_1172
.LBB40_3221:
	s_movk_i32 s4, 0x80
	v_cmp_eq_u16_e32 vcc, s4, v11
	s_mov_b64 s[4:5], -1
                                        ; implicit-def: $sgpr10
	s_and_saveexec_b64 s[8:9], vcc
; %bb.3222:
	s_mov_b32 s10, 0x7f800001
	s_xor_b64 s[4:5], exec, -1
; %bb.3223:
	s_or_b64 exec, exec, s[8:9]
	s_and_b64 s[4:5], s[4:5], exec
                                        ; implicit-def: $vgpr11
	s_or_saveexec_b64 s[6:7], s[6:7]
	v_mov_b32_e32 v12, s10
	s_xor_b64 exec, exec, s[6:7]
	s_cbranch_execz .LBB40_1174
.LBB40_3224:
	v_cmp_ne_u16_e32 vcc, 0, v11
	s_andn2_b64 s[4:5], s[4:5], exec
	s_and_b64 s[8:9], vcc, exec
	v_mov_b32_e32 v12, 0
	s_or_b64 s[4:5], s[4:5], s[8:9]
	s_or_b64 exec, exec, s[6:7]
	s_and_saveexec_b64 s[6:7], s[4:5]
	s_cbranch_execnz .LBB40_1175
	s_branch .LBB40_1176
.LBB40_3225:
	s_movk_i32 s4, 0x80
	v_cmp_eq_u16_sdwa s[12:13], v6, s4 src0_sel:BYTE_3 src1_sel:DWORD
	s_mov_b64 s[4:5], -1
                                        ; implicit-def: $sgpr10
	s_and_saveexec_b64 s[8:9], s[12:13]
; %bb.3226:
	s_mov_b32 s10, 0x7f800001
	s_xor_b64 s[4:5], exec, -1
; %bb.3227:
	s_or_b64 exec, exec, s[8:9]
	s_and_b64 s[4:5], s[4:5], exec
	s_or_saveexec_b64 s[6:7], s[6:7]
	v_mov_b32_e32 v10, s10
	s_xor_b64 exec, exec, s[6:7]
	s_cbranch_execz .LBB40_1178
.LBB40_3228:
	v_mov_b32_e32 v10, 0
	v_cmp_ne_u16_sdwa s[8:9], v6, v10 src0_sel:BYTE_3 src1_sel:DWORD
	s_andn2_b64 s[4:5], s[4:5], exec
	s_and_b64 s[8:9], s[8:9], exec
	s_or_b64 s[4:5], s[4:5], s[8:9]
	s_or_b64 exec, exec, s[6:7]
	s_and_saveexec_b64 s[6:7], s[4:5]
	s_cbranch_execnz .LBB40_1179
	s_branch .LBB40_1180
.LBB40_3229:
	s_movk_i32 s4, 0x80
	v_cmp_eq_u16_sdwa s[12:13], v2, s4 src0_sel:BYTE_3 src1_sel:DWORD
	s_mov_b64 s[4:5], -1
                                        ; implicit-def: $sgpr10
	s_and_saveexec_b64 s[8:9], s[12:13]
; %bb.3230:
	s_mov_b32 s10, 0x7f800001
	s_xor_b64 s[4:5], exec, -1
; %bb.3231:
	s_or_b64 exec, exec, s[8:9]
	s_and_b64 s[4:5], s[4:5], exec
	s_or_saveexec_b64 s[6:7], s[6:7]
	v_mov_b32_e32 v6, s10
	s_xor_b64 exec, exec, s[6:7]
	s_cbranch_execz .LBB40_1182
.LBB40_3232:
	v_mov_b32_e32 v6, 0
	v_cmp_ne_u16_sdwa s[8:9], v2, v6 src0_sel:BYTE_3 src1_sel:DWORD
	s_andn2_b64 s[4:5], s[4:5], exec
	s_and_b64 s[8:9], s[8:9], exec
	s_or_b64 s[4:5], s[4:5], s[8:9]
	s_or_b64 exec, exec, s[6:7]
	s_and_saveexec_b64 s[6:7], s[4:5]
	s_cbranch_execnz .LBB40_1183
	s_branch .LBB40_1184
.LBB40_3233:
	s_movk_i32 s4, 0x80
	v_cmp_eq_u16_sdwa s[12:13], v7, s4 src0_sel:BYTE_0 src1_sel:DWORD
	s_mov_b64 s[4:5], -1
                                        ; implicit-def: $sgpr10
	s_and_saveexec_b64 s[8:9], s[12:13]
; %bb.3234:
	s_mov_b32 s10, 0x7f800001
	s_xor_b64 s[4:5], exec, -1
; %bb.3235:
	s_or_b64 exec, exec, s[8:9]
	s_and_b64 s[4:5], s[4:5], exec
	s_or_saveexec_b64 s[6:7], s[6:7]
	v_mov_b32_e32 v2, s10
	s_xor_b64 exec, exec, s[6:7]
	s_cbranch_execz .LBB40_1186
.LBB40_3236:
	v_mov_b32_e32 v2, 0
	v_cmp_ne_u16_sdwa s[8:9], v7, v2 src0_sel:BYTE_0 src1_sel:DWORD
	s_andn2_b64 s[4:5], s[4:5], exec
	s_and_b64 s[8:9], s[8:9], exec
	s_or_b64 s[4:5], s[4:5], s[8:9]
	s_or_b64 exec, exec, s[6:7]
	s_and_saveexec_b64 s[6:7], s[4:5]
	s_cbranch_execnz .LBB40_1187
	s_branch .LBB40_1188
.LBB40_3237:
	s_movk_i32 s4, 0x80
	v_cmp_eq_u16_sdwa s[12:13], v3, s4 src0_sel:BYTE_0 src1_sel:DWORD
	s_mov_b64 s[4:5], -1
                                        ; implicit-def: $sgpr10
	s_and_saveexec_b64 s[8:9], s[12:13]
; %bb.3238:
	s_mov_b32 s10, 0x7f800001
	s_xor_b64 s[4:5], exec, -1
; %bb.3239:
	s_or_b64 exec, exec, s[8:9]
	s_and_b64 s[4:5], s[4:5], exec
	s_or_saveexec_b64 s[6:7], s[6:7]
	v_mov_b32_e32 v6, s10
	s_xor_b64 exec, exec, s[6:7]
	s_cbranch_execz .LBB40_1190
.LBB40_3240:
	v_mov_b32_e32 v6, 0
	v_cmp_ne_u16_sdwa s[8:9], v3, v6 src0_sel:BYTE_0 src1_sel:DWORD
	s_andn2_b64 s[4:5], s[4:5], exec
	s_and_b64 s[8:9], s[8:9], exec
	s_or_b64 s[4:5], s[4:5], s[8:9]
	s_or_b64 exec, exec, s[6:7]
	s_and_saveexec_b64 s[6:7], s[4:5]
	s_cbranch_execnz .LBB40_1191
	s_branch .LBB40_1192
.LBB40_3241:
	s_movk_i32 s4, 0x80
	v_cmp_eq_u16_sdwa s[12:13], v6, s4 src0_sel:BYTE_0 src1_sel:DWORD
	s_mov_b64 s[4:5], -1
                                        ; implicit-def: $sgpr10
	s_and_saveexec_b64 s[8:9], s[12:13]
; %bb.3242:
	s_mov_b32 s10, 0x7f800001
	s_xor_b64 s[4:5], exec, -1
; %bb.3243:
	s_or_b64 exec, exec, s[8:9]
	s_and_b64 s[4:5], s[4:5], exec
	s_or_saveexec_b64 s[6:7], s[6:7]
	v_mov_b32_e32 v2, s10
	s_xor_b64 exec, exec, s[6:7]
	s_cbranch_execz .LBB40_1194
.LBB40_3244:
	v_mov_b32_e32 v2, 0
	v_cmp_ne_u16_sdwa s[8:9], v6, v2 src0_sel:BYTE_0 src1_sel:DWORD
	s_andn2_b64 s[4:5], s[4:5], exec
	s_and_b64 s[8:9], s[8:9], exec
	s_or_b64 s[4:5], s[4:5], s[8:9]
	s_or_b64 exec, exec, s[6:7]
	s_and_saveexec_b64 s[6:7], s[4:5]
	s_cbranch_execnz .LBB40_1195
	s_branch .LBB40_1196
.LBB40_3245:
	s_movk_i32 s4, 0x80
	v_cmp_eq_u16_sdwa s[12:13], v6, s4 src0_sel:BYTE_0 src1_sel:DWORD
	s_mov_b64 s[4:5], -1
                                        ; implicit-def: $sgpr10
	s_and_saveexec_b64 s[8:9], s[12:13]
; %bb.3246:
	s_mov_b32 s10, 0x7f800001
	s_xor_b64 s[4:5], exec, -1
; %bb.3247:
	s_or_b64 exec, exec, s[8:9]
	s_and_b64 s[4:5], s[4:5], exec
	s_or_saveexec_b64 s[6:7], s[6:7]
	v_mov_b32_e32 v10, s10
	s_xor_b64 exec, exec, s[6:7]
	s_cbranch_execz .LBB40_1198
.LBB40_3248:
	v_mov_b32_e32 v10, 0
	v_cmp_ne_u16_sdwa s[8:9], v6, v10 src0_sel:BYTE_0 src1_sel:DWORD
	s_andn2_b64 s[4:5], s[4:5], exec
	s_and_b64 s[8:9], s[8:9], exec
	s_or_b64 s[4:5], s[4:5], s[8:9]
	s_or_b64 exec, exec, s[6:7]
	s_and_saveexec_b64 s[6:7], s[4:5]
	s_cbranch_execnz .LBB40_1199
	s_branch .LBB40_1200
.LBB40_3249:
	s_movk_i32 s4, 0x80
	v_cmp_eq_u16_e32 vcc, s4, v6
	s_mov_b64 s[4:5], -1
                                        ; implicit-def: $sgpr10
	s_and_saveexec_b64 s[8:9], vcc
; %bb.3250:
	s_mov_b32 s10, 0x7f800001
	s_xor_b64 s[4:5], exec, -1
; %bb.3251:
	s_or_b64 exec, exec, s[8:9]
	s_and_b64 s[4:5], s[4:5], exec
                                        ; implicit-def: $vgpr6
	s_or_saveexec_b64 s[6:7], s[6:7]
	v_mov_b32_e32 v2, s10
	s_xor_b64 exec, exec, s[6:7]
	s_cbranch_execz .LBB40_1202
.LBB40_3252:
	v_cmp_ne_u16_e32 vcc, 0, v6
	s_andn2_b64 s[4:5], s[4:5], exec
	s_and_b64 s[8:9], vcc, exec
	v_mov_b32_e32 v2, 0
	s_or_b64 s[4:5], s[4:5], s[8:9]
	s_or_b64 exec, exec, s[6:7]
	s_and_saveexec_b64 s[6:7], s[4:5]
	s_cbranch_execnz .LBB40_1203
	s_branch .LBB40_1204
.LBB40_3253:
	s_movk_i32 s4, 0x80
	v_cmp_eq_u16_e32 vcc, s4, v6
	s_mov_b64 s[4:5], -1
                                        ; implicit-def: $sgpr10
	s_and_saveexec_b64 s[8:9], vcc
; %bb.3254:
	s_mov_b32 s10, 0x7f800001
	s_xor_b64 s[4:5], exec, -1
; %bb.3255:
	s_or_b64 exec, exec, s[8:9]
	s_and_b64 s[4:5], s[4:5], exec
                                        ; implicit-def: $vgpr6
	s_or_saveexec_b64 s[6:7], s[6:7]
	v_mov_b32_e32 v10, s10
	s_xor_b64 exec, exec, s[6:7]
	s_cbranch_execz .LBB40_1206
.LBB40_3256:
	v_cmp_ne_u16_e32 vcc, 0, v6
	s_andn2_b64 s[4:5], s[4:5], exec
	s_and_b64 s[8:9], vcc, exec
	v_mov_b32_e32 v10, 0
	s_or_b64 s[4:5], s[4:5], s[8:9]
	s_or_b64 exec, exec, s[6:7]
	s_and_saveexec_b64 s[6:7], s[4:5]
	s_cbranch_execnz .LBB40_1207
	s_branch .LBB40_1208
.LBB40_3257:
	s_movk_i32 s4, 0x80
	v_cmp_eq_u16_sdwa s[12:13], v7, s4 src0_sel:BYTE_3 src1_sel:DWORD
	s_mov_b64 s[4:5], -1
                                        ; implicit-def: $sgpr10
	s_and_saveexec_b64 s[8:9], s[12:13]
; %bb.3258:
	s_mov_b32 s10, 0x7f800001
	s_xor_b64 s[4:5], exec, -1
; %bb.3259:
	s_or_b64 exec, exec, s[8:9]
	s_and_b64 s[4:5], s[4:5], exec
	s_or_saveexec_b64 s[6:7], s[6:7]
	v_mov_b32_e32 v2, s10
	s_xor_b64 exec, exec, s[6:7]
	s_cbranch_execz .LBB40_1210
.LBB40_3260:
	v_mov_b32_e32 v2, 0
	v_cmp_ne_u16_sdwa s[8:9], v7, v2 src0_sel:BYTE_3 src1_sel:DWORD
	s_andn2_b64 s[4:5], s[4:5], exec
	s_and_b64 s[8:9], s[8:9], exec
	s_or_b64 s[4:5], s[4:5], s[8:9]
	s_or_b64 exec, exec, s[6:7]
	s_and_saveexec_b64 s[6:7], s[4:5]
	s_cbranch_execnz .LBB40_1211
	s_branch .LBB40_1212
.LBB40_3261:
	s_movk_i32 s4, 0x80
	v_cmp_eq_u16_sdwa s[12:13], v3, s4 src0_sel:BYTE_3 src1_sel:DWORD
	s_mov_b64 s[4:5], -1
                                        ; implicit-def: $sgpr10
	s_and_saveexec_b64 s[8:9], s[12:13]
; %bb.3262:
	s_mov_b32 s10, 0x7f800001
	s_xor_b64 s[4:5], exec, -1
; %bb.3263:
	s_or_b64 exec, exec, s[8:9]
	s_and_b64 s[4:5], s[4:5], exec
	s_or_saveexec_b64 s[6:7], s[6:7]
	v_mov_b32_e32 v6, s10
	s_xor_b64 exec, exec, s[6:7]
	s_cbranch_execz .LBB40_1214
.LBB40_3264:
	v_mov_b32_e32 v6, 0
	v_cmp_ne_u16_sdwa s[8:9], v3, v6 src0_sel:BYTE_3 src1_sel:DWORD
	s_andn2_b64 s[4:5], s[4:5], exec
	s_and_b64 s[8:9], s[8:9], exec
	s_or_b64 s[4:5], s[4:5], s[8:9]
	s_or_b64 exec, exec, s[6:7]
	s_and_saveexec_b64 s[6:7], s[4:5]
	s_cbranch_execnz .LBB40_1215
	s_branch .LBB40_1216
.LBB40_3265:
	s_movk_i32 s4, 0x80
	v_cmp_eq_u16_sdwa s[12:13], v8, s4 src0_sel:BYTE_0 src1_sel:DWORD
	s_mov_b64 s[4:5], -1
                                        ; implicit-def: $sgpr10
	s_and_saveexec_b64 s[8:9], s[12:13]
; %bb.3266:
	s_mov_b32 s10, 0x7f800001
	s_xor_b64 s[4:5], exec, -1
; %bb.3267:
	s_or_b64 exec, exec, s[8:9]
	s_and_b64 s[4:5], s[4:5], exec
	s_or_saveexec_b64 s[6:7], s[6:7]
	v_mov_b32_e32 v2, s10
	s_xor_b64 exec, exec, s[6:7]
	s_cbranch_execz .LBB40_1218
.LBB40_3268:
	v_mov_b32_e32 v2, 0
	v_cmp_ne_u16_sdwa s[8:9], v8, v2 src0_sel:BYTE_0 src1_sel:DWORD
	s_andn2_b64 s[4:5], s[4:5], exec
	s_and_b64 s[8:9], s[8:9], exec
	s_or_b64 s[4:5], s[4:5], s[8:9]
	s_or_b64 exec, exec, s[6:7]
	s_and_saveexec_b64 s[6:7], s[4:5]
	s_cbranch_execnz .LBB40_1219
	s_branch .LBB40_1220
.LBB40_3269:
	s_movk_i32 s4, 0x80
	v_cmp_eq_u16_sdwa s[12:13], v4, s4 src0_sel:BYTE_0 src1_sel:DWORD
	s_mov_b64 s[4:5], -1
                                        ; implicit-def: $sgpr10
	s_and_saveexec_b64 s[8:9], s[12:13]
; %bb.3270:
	s_mov_b32 s10, 0x7f800001
	s_xor_b64 s[4:5], exec, -1
; %bb.3271:
	s_or_b64 exec, exec, s[8:9]
	s_and_b64 s[4:5], s[4:5], exec
	s_or_saveexec_b64 s[6:7], s[6:7]
	v_mov_b32_e32 v3, s10
	s_xor_b64 exec, exec, s[6:7]
	s_cbranch_execz .LBB40_1222
.LBB40_3272:
	v_mov_b32_e32 v3, 0
	v_cmp_ne_u16_sdwa s[8:9], v4, v3 src0_sel:BYTE_0 src1_sel:DWORD
	s_andn2_b64 s[4:5], s[4:5], exec
	s_and_b64 s[8:9], s[8:9], exec
	s_or_b64 s[4:5], s[4:5], s[8:9]
	s_or_b64 exec, exec, s[6:7]
	s_and_saveexec_b64 s[6:7], s[4:5]
	s_cbranch_execnz .LBB40_1223
	s_branch .LBB40_1224
.LBB40_3273:
	s_movk_i32 s4, 0x80
	v_cmp_eq_u16_sdwa s[12:13], v3, s4 src0_sel:BYTE_0 src1_sel:DWORD
	s_mov_b64 s[4:5], -1
                                        ; implicit-def: $sgpr10
	s_and_saveexec_b64 s[8:9], s[12:13]
; %bb.3274:
	s_mov_b32 s10, 0x7f800001
	s_xor_b64 s[4:5], exec, -1
; %bb.3275:
	s_or_b64 exec, exec, s[8:9]
	s_and_b64 s[4:5], s[4:5], exec
	s_or_saveexec_b64 s[6:7], s[6:7]
	v_mov_b32_e32 v2, s10
	s_xor_b64 exec, exec, s[6:7]
	s_cbranch_execz .LBB40_1226
.LBB40_3276:
	v_mov_b32_e32 v2, 0
	v_cmp_ne_u16_sdwa s[8:9], v3, v2 src0_sel:BYTE_0 src1_sel:DWORD
	s_andn2_b64 s[4:5], s[4:5], exec
	s_and_b64 s[8:9], s[8:9], exec
	s_or_b64 s[4:5], s[4:5], s[8:9]
	s_or_b64 exec, exec, s[6:7]
	s_and_saveexec_b64 s[6:7], s[4:5]
	s_cbranch_execnz .LBB40_1227
	s_branch .LBB40_1228
.LBB40_3277:
	s_movk_i32 s4, 0x80
	v_cmp_eq_u16_sdwa s[12:13], v3, s4 src0_sel:BYTE_0 src1_sel:DWORD
	s_mov_b64 s[4:5], -1
                                        ; implicit-def: $sgpr10
	s_and_saveexec_b64 s[8:9], s[12:13]
; %bb.3278:
	s_mov_b32 s10, 0x7f800001
	s_xor_b64 s[4:5], exec, -1
; %bb.3279:
	s_or_b64 exec, exec, s[8:9]
	s_and_b64 s[4:5], s[4:5], exec
	s_or_saveexec_b64 s[6:7], s[6:7]
	v_mov_b32_e32 v6, s10
	s_xor_b64 exec, exec, s[6:7]
	s_cbranch_execz .LBB40_1230
.LBB40_3280:
	v_mov_b32_e32 v6, 0
	v_cmp_ne_u16_sdwa s[8:9], v3, v6 src0_sel:BYTE_0 src1_sel:DWORD
	s_andn2_b64 s[4:5], s[4:5], exec
	s_and_b64 s[8:9], s[8:9], exec
	s_or_b64 s[4:5], s[4:5], s[8:9]
	s_or_b64 exec, exec, s[6:7]
	s_and_saveexec_b64 s[6:7], s[4:5]
	s_cbranch_execnz .LBB40_1231
	s_branch .LBB40_1232
.LBB40_3281:
	s_movk_i32 s4, 0x80
	v_cmp_eq_u16_e32 vcc, s4, v3
	s_mov_b64 s[4:5], -1
                                        ; implicit-def: $sgpr10
	s_and_saveexec_b64 s[8:9], vcc
; %bb.3282:
	s_mov_b32 s10, 0x7f800001
	s_xor_b64 s[4:5], exec, -1
; %bb.3283:
	s_or_b64 exec, exec, s[8:9]
	s_and_b64 s[4:5], s[4:5], exec
                                        ; implicit-def: $vgpr3
	s_or_saveexec_b64 s[6:7], s[6:7]
	v_mov_b32_e32 v2, s10
	s_xor_b64 exec, exec, s[6:7]
	s_cbranch_execz .LBB40_1234
.LBB40_3284:
	v_cmp_ne_u16_e32 vcc, 0, v3
	s_andn2_b64 s[4:5], s[4:5], exec
	s_and_b64 s[8:9], vcc, exec
	v_mov_b32_e32 v2, 0
	s_or_b64 s[4:5], s[4:5], s[8:9]
	s_or_b64 exec, exec, s[6:7]
	s_and_saveexec_b64 s[6:7], s[4:5]
	s_cbranch_execnz .LBB40_1235
	s_branch .LBB40_1236
.LBB40_3285:
	s_movk_i32 s4, 0x80
	v_cmp_eq_u16_e32 vcc, s4, v3
	s_mov_b64 s[4:5], -1
                                        ; implicit-def: $sgpr10
	s_and_saveexec_b64 s[8:9], vcc
; %bb.3286:
	s_mov_b32 s10, 0x7f800001
	s_xor_b64 s[4:5], exec, -1
; %bb.3287:
	s_or_b64 exec, exec, s[8:9]
	s_and_b64 s[4:5], s[4:5], exec
                                        ; implicit-def: $vgpr3
	s_or_saveexec_b64 s[6:7], s[6:7]
	v_mov_b32_e32 v6, s10
	s_xor_b64 exec, exec, s[6:7]
	s_cbranch_execz .LBB40_1238
.LBB40_3288:
	v_cmp_ne_u16_e32 vcc, 0, v3
	s_andn2_b64 s[4:5], s[4:5], exec
	s_and_b64 s[8:9], vcc, exec
	v_mov_b32_e32 v6, 0
	s_or_b64 s[4:5], s[4:5], s[8:9]
	s_or_b64 exec, exec, s[6:7]
	s_and_saveexec_b64 s[6:7], s[4:5]
	s_cbranch_execnz .LBB40_1239
	s_branch .LBB40_1240
.LBB40_3289:
	s_movk_i32 s4, 0x80
	v_cmp_eq_u16_sdwa s[12:13], v8, s4 src0_sel:BYTE_3 src1_sel:DWORD
	s_mov_b64 s[4:5], -1
                                        ; implicit-def: $sgpr10
	s_and_saveexec_b64 s[8:9], s[12:13]
; %bb.3290:
	s_mov_b32 s10, 0x7f800001
	s_xor_b64 s[4:5], exec, -1
; %bb.3291:
	s_or_b64 exec, exec, s[8:9]
	s_and_b64 s[4:5], s[4:5], exec
	s_or_saveexec_b64 s[6:7], s[6:7]
	v_mov_b32_e32 v2, s10
	s_xor_b64 exec, exec, s[6:7]
	s_cbranch_execz .LBB40_1242
.LBB40_3292:
	v_mov_b32_e32 v2, 0
	v_cmp_ne_u16_sdwa s[8:9], v8, v2 src0_sel:BYTE_3 src1_sel:DWORD
	s_andn2_b64 s[4:5], s[4:5], exec
	s_and_b64 s[8:9], s[8:9], exec
	s_or_b64 s[4:5], s[4:5], s[8:9]
	s_or_b64 exec, exec, s[6:7]
	s_and_saveexec_b64 s[6:7], s[4:5]
	s_cbranch_execnz .LBB40_1243
	s_branch .LBB40_1244
.LBB40_3293:
	s_movk_i32 s4, 0x80
	v_cmp_eq_u16_sdwa s[12:13], v4, s4 src0_sel:BYTE_3 src1_sel:DWORD
	s_mov_b64 s[4:5], -1
                                        ; implicit-def: $sgpr10
	s_and_saveexec_b64 s[8:9], s[12:13]
; %bb.3294:
	s_mov_b32 s10, 0x7f800001
	s_xor_b64 s[4:5], exec, -1
; %bb.3295:
	s_or_b64 exec, exec, s[8:9]
	s_and_b64 s[4:5], s[4:5], exec
	s_or_saveexec_b64 s[6:7], s[6:7]
	v_mov_b32_e32 v3, s10
	s_xor_b64 exec, exec, s[6:7]
	s_cbranch_execz .LBB40_1246
.LBB40_3296:
	v_mov_b32_e32 v3, 0
	v_cmp_ne_u16_sdwa s[8:9], v4, v3 src0_sel:BYTE_3 src1_sel:DWORD
	s_andn2_b64 s[4:5], s[4:5], exec
	s_and_b64 s[8:9], s[8:9], exec
	s_or_b64 s[4:5], s[4:5], s[8:9]
	s_or_b64 exec, exec, s[6:7]
	s_and_saveexec_b64 s[6:7], s[4:5]
	s_cbranch_execnz .LBB40_1247
	s_branch .LBB40_1248
.LBB40_3297:
	s_movk_i32 s4, 0x80
	v_cmp_eq_u16_sdwa s[12:13], v9, s4 src0_sel:BYTE_0 src1_sel:DWORD
	s_mov_b64 s[4:5], -1
                                        ; implicit-def: $sgpr10
	s_and_saveexec_b64 s[8:9], s[12:13]
; %bb.3298:
	s_mov_b32 s10, 0x7f800001
	s_xor_b64 s[4:5], exec, -1
; %bb.3299:
	s_or_b64 exec, exec, s[8:9]
	s_and_b64 s[4:5], s[4:5], exec
	s_or_saveexec_b64 s[6:7], s[6:7]
	v_mov_b32_e32 v2, s10
	s_xor_b64 exec, exec, s[6:7]
	s_cbranch_execz .LBB40_1250
.LBB40_3300:
	v_mov_b32_e32 v2, 0
	v_cmp_ne_u16_sdwa s[8:9], v9, v2 src0_sel:BYTE_0 src1_sel:DWORD
	s_andn2_b64 s[4:5], s[4:5], exec
	s_and_b64 s[8:9], s[8:9], exec
	s_or_b64 s[4:5], s[4:5], s[8:9]
	s_or_b64 exec, exec, s[6:7]
	s_and_saveexec_b64 s[6:7], s[4:5]
	s_cbranch_execnz .LBB40_1251
	s_branch .LBB40_1252
.LBB40_3301:
	s_movk_i32 s4, 0x80
	v_cmp_eq_u16_sdwa s[12:13], v5, s4 src0_sel:BYTE_0 src1_sel:DWORD
	s_mov_b64 s[4:5], -1
                                        ; implicit-def: $sgpr10
	s_and_saveexec_b64 s[8:9], s[12:13]
; %bb.3302:
	s_mov_b32 s10, 0x7f800001
	s_xor_b64 s[4:5], exec, -1
; %bb.3303:
	s_or_b64 exec, exec, s[8:9]
	s_and_b64 s[4:5], s[4:5], exec
	s_or_saveexec_b64 s[6:7], s[6:7]
	v_mov_b32_e32 v3, s10
	s_xor_b64 exec, exec, s[6:7]
	s_cbranch_execz .LBB40_1254
.LBB40_3304:
	v_mov_b32_e32 v3, 0
	v_cmp_ne_u16_sdwa s[8:9], v5, v3 src0_sel:BYTE_0 src1_sel:DWORD
	s_andn2_b64 s[4:5], s[4:5], exec
	s_and_b64 s[8:9], s[8:9], exec
	s_or_b64 s[4:5], s[4:5], s[8:9]
	s_or_b64 exec, exec, s[6:7]
	s_and_saveexec_b64 s[6:7], s[4:5]
	s_cbranch_execnz .LBB40_1255
	s_branch .LBB40_1256
.LBB40_3305:
	s_movk_i32 s4, 0x80
	v_cmp_eq_u16_sdwa s[12:13], v3, s4 src0_sel:BYTE_0 src1_sel:DWORD
	s_mov_b64 s[4:5], -1
                                        ; implicit-def: $sgpr10
	s_and_saveexec_b64 s[8:9], s[12:13]
; %bb.3306:
	s_mov_b32 s10, 0x7f800001
	s_xor_b64 s[4:5], exec, -1
; %bb.3307:
	s_or_b64 exec, exec, s[8:9]
	s_and_b64 s[4:5], s[4:5], exec
	s_or_saveexec_b64 s[6:7], s[6:7]
	v_mov_b32_e32 v2, s10
	s_xor_b64 exec, exec, s[6:7]
	s_cbranch_execz .LBB40_1258
.LBB40_3308:
	v_mov_b32_e32 v2, 0
	v_cmp_ne_u16_sdwa s[8:9], v3, v2 src0_sel:BYTE_0 src1_sel:DWORD
	s_andn2_b64 s[4:5], s[4:5], exec
	s_and_b64 s[8:9], s[8:9], exec
	s_or_b64 s[4:5], s[4:5], s[8:9]
	s_or_b64 exec, exec, s[6:7]
	s_and_saveexec_b64 s[6:7], s[4:5]
	s_cbranch_execnz .LBB40_1259
	s_branch .LBB40_1260
.LBB40_3309:
	s_movk_i32 s4, 0x80
	v_cmp_eq_u16_sdwa s[12:13], v3, s4 src0_sel:BYTE_0 src1_sel:DWORD
	s_mov_b64 s[4:5], -1
                                        ; implicit-def: $sgpr10
	s_and_saveexec_b64 s[8:9], s[12:13]
; %bb.3310:
	s_mov_b32 s10, 0x7f800001
	s_xor_b64 s[4:5], exec, -1
; %bb.3311:
	s_or_b64 exec, exec, s[8:9]
	s_and_b64 s[4:5], s[4:5], exec
	s_or_saveexec_b64 s[6:7], s[6:7]
	v_mov_b32_e32 v4, s10
	s_xor_b64 exec, exec, s[6:7]
	s_cbranch_execz .LBB40_1262
.LBB40_3312:
	v_mov_b32_e32 v4, 0
	v_cmp_ne_u16_sdwa s[8:9], v3, v4 src0_sel:BYTE_0 src1_sel:DWORD
	s_andn2_b64 s[4:5], s[4:5], exec
	s_and_b64 s[8:9], s[8:9], exec
	s_or_b64 s[4:5], s[4:5], s[8:9]
	s_or_b64 exec, exec, s[6:7]
	s_and_saveexec_b64 s[6:7], s[4:5]
	s_cbranch_execnz .LBB40_1263
	s_branch .LBB40_1264
.LBB40_3313:
	s_movk_i32 s4, 0x80
	v_cmp_eq_u16_e32 vcc, s4, v3
	s_mov_b64 s[4:5], -1
                                        ; implicit-def: $sgpr10
	s_and_saveexec_b64 s[8:9], vcc
; %bb.3314:
	s_mov_b32 s10, 0x7f800001
	s_xor_b64 s[4:5], exec, -1
; %bb.3315:
	s_or_b64 exec, exec, s[8:9]
	s_and_b64 s[4:5], s[4:5], exec
                                        ; implicit-def: $vgpr3
	s_or_saveexec_b64 s[6:7], s[6:7]
	v_mov_b32_e32 v2, s10
	s_xor_b64 exec, exec, s[6:7]
	s_cbranch_execz .LBB40_1266
.LBB40_3316:
	v_cmp_ne_u16_e32 vcc, 0, v3
	s_andn2_b64 s[4:5], s[4:5], exec
	s_and_b64 s[8:9], vcc, exec
	v_mov_b32_e32 v2, 0
	s_or_b64 s[4:5], s[4:5], s[8:9]
	s_or_b64 exec, exec, s[6:7]
	s_and_saveexec_b64 s[6:7], s[4:5]
	s_cbranch_execnz .LBB40_1267
	s_branch .LBB40_1268
.LBB40_3317:
	s_movk_i32 s4, 0x80
	v_cmp_eq_u16_e32 vcc, s4, v3
	s_mov_b64 s[4:5], -1
                                        ; implicit-def: $sgpr10
	s_and_saveexec_b64 s[8:9], vcc
; %bb.3318:
	s_mov_b32 s10, 0x7f800001
	s_xor_b64 s[4:5], exec, -1
; %bb.3319:
	s_or_b64 exec, exec, s[8:9]
	s_and_b64 s[4:5], s[4:5], exec
                                        ; implicit-def: $vgpr3
	s_or_saveexec_b64 s[6:7], s[6:7]
	v_mov_b32_e32 v4, s10
	s_xor_b64 exec, exec, s[6:7]
	s_cbranch_execz .LBB40_1270
.LBB40_3320:
	v_cmp_ne_u16_e32 vcc, 0, v3
	s_andn2_b64 s[4:5], s[4:5], exec
	s_and_b64 s[8:9], vcc, exec
	v_mov_b32_e32 v4, 0
	s_or_b64 s[4:5], s[4:5], s[8:9]
	s_or_b64 exec, exec, s[6:7]
	s_and_saveexec_b64 s[6:7], s[4:5]
	s_cbranch_execnz .LBB40_1271
	s_branch .LBB40_1272
.LBB40_3321:
	s_movk_i32 s4, 0x80
	v_cmp_eq_u16_sdwa s[12:13], v9, s4 src0_sel:BYTE_3 src1_sel:DWORD
	s_mov_b64 s[4:5], -1
                                        ; implicit-def: $sgpr10
	s_and_saveexec_b64 s[8:9], s[12:13]
; %bb.3322:
	s_mov_b32 s10, 0x7f800001
	s_xor_b64 s[4:5], exec, -1
; %bb.3323:
	s_or_b64 exec, exec, s[8:9]
	s_and_b64 s[4:5], s[4:5], exec
	s_or_saveexec_b64 s[6:7], s[6:7]
	v_mov_b32_e32 v2, s10
	s_xor_b64 exec, exec, s[6:7]
	s_cbranch_execz .LBB40_1274
.LBB40_3324:
	v_mov_b32_e32 v2, 0
	v_cmp_ne_u16_sdwa s[8:9], v9, v2 src0_sel:BYTE_3 src1_sel:DWORD
	s_andn2_b64 s[4:5], s[4:5], exec
	s_and_b64 s[8:9], s[8:9], exec
	s_or_b64 s[4:5], s[4:5], s[8:9]
	s_or_b64 exec, exec, s[6:7]
	s_and_saveexec_b64 s[6:7], s[4:5]
	s_cbranch_execnz .LBB40_1275
	s_branch .LBB40_1276
.LBB40_3325:
	s_movk_i32 s4, 0x80
	v_cmp_eq_u16_sdwa s[12:13], v5, s4 src0_sel:BYTE_3 src1_sel:DWORD
	s_mov_b64 s[4:5], -1
                                        ; implicit-def: $sgpr10
	s_and_saveexec_b64 s[8:9], s[12:13]
; %bb.3326:
	s_mov_b32 s10, 0x7f800001
	s_xor_b64 s[4:5], exec, -1
; %bb.3327:
	s_or_b64 exec, exec, s[8:9]
	s_and_b64 s[4:5], s[4:5], exec
	s_or_saveexec_b64 s[6:7], s[6:7]
	v_mov_b32_e32 v3, s10
	s_xor_b64 exec, exec, s[6:7]
	s_cbranch_execz .LBB40_1278
.LBB40_3328:
	v_mov_b32_e32 v3, 0
	v_cmp_ne_u16_sdwa s[8:9], v5, v3 src0_sel:BYTE_3 src1_sel:DWORD
	s_andn2_b64 s[4:5], s[4:5], exec
	s_and_b64 s[8:9], s[8:9], exec
	s_or_b64 s[4:5], s[4:5], s[8:9]
	s_or_b64 exec, exec, s[6:7]
	s_and_saveexec_b64 s[6:7], s[4:5]
	s_cbranch_execnz .LBB40_1279
	s_branch .LBB40_1280
.LBB40_3329:
	s_movk_i32 s4, 0x80
	v_cmp_eq_u16_sdwa s[12:13], v14, s4 src0_sel:BYTE_0 src1_sel:DWORD
	s_mov_b64 s[4:5], -1
                                        ; implicit-def: $sgpr10
	s_and_saveexec_b64 s[8:9], s[12:13]
; %bb.3330:
	s_mov_b32 s10, 0x7f800001
	s_xor_b64 s[4:5], exec, -1
; %bb.3331:
	s_or_b64 exec, exec, s[8:9]
	s_and_b64 s[4:5], s[4:5], exec
	s_or_saveexec_b64 s[6:7], s[6:7]
	v_mov_b32_e32 v20, s10
	s_xor_b64 exec, exec, s[6:7]
	s_cbranch_execz .LBB40_1282
.LBB40_3332:
	v_mov_b32_e32 v20, 0
	v_cmp_ne_u16_sdwa s[8:9], v14, v20 src0_sel:BYTE_0 src1_sel:DWORD
	s_andn2_b64 s[4:5], s[4:5], exec
	s_and_b64 s[8:9], s[8:9], exec
	s_or_b64 s[4:5], s[4:5], s[8:9]
	s_or_b64 exec, exec, s[6:7]
	s_and_saveexec_b64 s[6:7], s[4:5]
	s_cbranch_execnz .LBB40_1283
	s_branch .LBB40_1284
.LBB40_3333:
	s_movk_i32 s4, 0x80
	v_cmp_eq_u16_sdwa s[12:13], v10, s4 src0_sel:BYTE_0 src1_sel:DWORD
	s_mov_b64 s[4:5], -1
                                        ; implicit-def: $sgpr10
	s_and_saveexec_b64 s[8:9], s[12:13]
; %bb.3334:
	s_mov_b32 s10, 0x7f800001
	s_xor_b64 s[4:5], exec, -1
; %bb.3335:
	s_or_b64 exec, exec, s[8:9]
	s_and_b64 s[4:5], s[4:5], exec
	s_or_saveexec_b64 s[6:7], s[6:7]
	v_mov_b32_e32 v21, s10
	s_xor_b64 exec, exec, s[6:7]
	s_cbranch_execz .LBB40_1286
.LBB40_3336:
	v_mov_b32_e32 v21, 0
	v_cmp_ne_u16_sdwa s[8:9], v10, v21 src0_sel:BYTE_0 src1_sel:DWORD
	s_andn2_b64 s[4:5], s[4:5], exec
	s_and_b64 s[8:9], s[8:9], exec
	s_or_b64 s[4:5], s[4:5], s[8:9]
	s_or_b64 exec, exec, s[6:7]
	s_and_saveexec_b64 s[6:7], s[4:5]
	s_cbranch_execnz .LBB40_1287
	s_branch .LBB40_1288
.LBB40_3337:
	s_movk_i32 s4, 0x80
	v_cmp_eq_u16_sdwa s[12:13], v21, s4 src0_sel:BYTE_0 src1_sel:DWORD
	s_mov_b64 s[4:5], -1
                                        ; implicit-def: $sgpr10
	s_and_saveexec_b64 s[8:9], s[12:13]
; %bb.3338:
	s_mov_b32 s10, 0x7f800001
	s_xor_b64 s[4:5], exec, -1
; %bb.3339:
	s_or_b64 exec, exec, s[8:9]
	s_and_b64 s[4:5], s[4:5], exec
	s_or_saveexec_b64 s[6:7], s[6:7]
	v_mov_b32_e32 v20, s10
	s_xor_b64 exec, exec, s[6:7]
	s_cbranch_execz .LBB40_1290
.LBB40_3340:
	v_mov_b32_e32 v20, 0
	v_cmp_ne_u16_sdwa s[8:9], v21, v20 src0_sel:BYTE_0 src1_sel:DWORD
	s_andn2_b64 s[4:5], s[4:5], exec
	s_and_b64 s[8:9], s[8:9], exec
	s_or_b64 s[4:5], s[4:5], s[8:9]
	s_or_b64 exec, exec, s[6:7]
	s_and_saveexec_b64 s[6:7], s[4:5]
	s_cbranch_execnz .LBB40_1291
	s_branch .LBB40_1292
.LBB40_3341:
	s_movk_i32 s4, 0x80
	v_cmp_eq_u16_sdwa s[12:13], v21, s4 src0_sel:BYTE_0 src1_sel:DWORD
	s_mov_b64 s[4:5], -1
                                        ; implicit-def: $sgpr10
	s_and_saveexec_b64 s[8:9], s[12:13]
; %bb.3342:
	s_mov_b32 s10, 0x7f800001
	s_xor_b64 s[4:5], exec, -1
; %bb.3343:
	s_or_b64 exec, exec, s[8:9]
	s_and_b64 s[4:5], s[4:5], exec
	s_or_saveexec_b64 s[6:7], s[6:7]
	v_mov_b32_e32 v22, s10
	s_xor_b64 exec, exec, s[6:7]
	s_cbranch_execz .LBB40_1294
.LBB40_3344:
	v_mov_b32_e32 v22, 0
	v_cmp_ne_u16_sdwa s[8:9], v21, v22 src0_sel:BYTE_0 src1_sel:DWORD
	s_andn2_b64 s[4:5], s[4:5], exec
	s_and_b64 s[8:9], s[8:9], exec
	s_or_b64 s[4:5], s[4:5], s[8:9]
	s_or_b64 exec, exec, s[6:7]
	s_and_saveexec_b64 s[6:7], s[4:5]
	s_cbranch_execnz .LBB40_1295
	s_branch .LBB40_1296
.LBB40_3345:
	s_movk_i32 s4, 0x80
	v_cmp_eq_u16_e32 vcc, s4, v21
	s_mov_b64 s[4:5], -1
                                        ; implicit-def: $sgpr10
	s_and_saveexec_b64 s[8:9], vcc
; %bb.3346:
	s_mov_b32 s10, 0x7f800001
	s_xor_b64 s[4:5], exec, -1
; %bb.3347:
	s_or_b64 exec, exec, s[8:9]
	s_and_b64 s[4:5], s[4:5], exec
                                        ; implicit-def: $vgpr21
	s_or_saveexec_b64 s[6:7], s[6:7]
	v_mov_b32_e32 v20, s10
	s_xor_b64 exec, exec, s[6:7]
	s_cbranch_execz .LBB40_1298
.LBB40_3348:
	v_cmp_ne_u16_e32 vcc, 0, v21
	s_andn2_b64 s[4:5], s[4:5], exec
	s_and_b64 s[8:9], vcc, exec
	v_mov_b32_e32 v20, 0
	s_or_b64 s[4:5], s[4:5], s[8:9]
	s_or_b64 exec, exec, s[6:7]
	s_and_saveexec_b64 s[6:7], s[4:5]
	s_cbranch_execnz .LBB40_1299
	s_branch .LBB40_1300
.LBB40_3349:
	s_movk_i32 s4, 0x80
	v_cmp_eq_u16_e32 vcc, s4, v21
	s_mov_b64 s[4:5], -1
                                        ; implicit-def: $sgpr10
	s_and_saveexec_b64 s[8:9], vcc
; %bb.3350:
	s_mov_b32 s10, 0x7f800001
	s_xor_b64 s[4:5], exec, -1
; %bb.3351:
	s_or_b64 exec, exec, s[8:9]
	s_and_b64 s[4:5], s[4:5], exec
                                        ; implicit-def: $vgpr21
	s_or_saveexec_b64 s[6:7], s[6:7]
	v_mov_b32_e32 v22, s10
	s_xor_b64 exec, exec, s[6:7]
	s_cbranch_execz .LBB40_1302
.LBB40_3352:
	v_cmp_ne_u16_e32 vcc, 0, v21
	s_andn2_b64 s[4:5], s[4:5], exec
	s_and_b64 s[8:9], vcc, exec
	v_mov_b32_e32 v22, 0
	s_or_b64 s[4:5], s[4:5], s[8:9]
	s_or_b64 exec, exec, s[6:7]
	s_and_saveexec_b64 s[6:7], s[4:5]
	s_cbranch_execnz .LBB40_1303
	s_branch .LBB40_1304
.LBB40_3353:
	s_movk_i32 s4, 0x80
	v_cmp_eq_u16_sdwa s[12:13], v14, s4 src0_sel:BYTE_3 src1_sel:DWORD
	s_mov_b64 s[4:5], -1
                                        ; implicit-def: $sgpr10
	s_and_saveexec_b64 s[8:9], s[12:13]
; %bb.3354:
	s_mov_b32 s10, 0x7f800001
	s_xor_b64 s[4:5], exec, -1
; %bb.3355:
	s_or_b64 exec, exec, s[8:9]
	s_and_b64 s[4:5], s[4:5], exec
	s_or_saveexec_b64 s[6:7], s[6:7]
	v_mov_b32_e32 v20, s10
	s_xor_b64 exec, exec, s[6:7]
	s_cbranch_execz .LBB40_1306
.LBB40_3356:
	v_mov_b32_e32 v20, 0
	v_cmp_ne_u16_sdwa s[8:9], v14, v20 src0_sel:BYTE_3 src1_sel:DWORD
	s_andn2_b64 s[4:5], s[4:5], exec
	s_and_b64 s[8:9], s[8:9], exec
	s_or_b64 s[4:5], s[4:5], s[8:9]
	s_or_b64 exec, exec, s[6:7]
	s_and_saveexec_b64 s[6:7], s[4:5]
	s_cbranch_execnz .LBB40_1307
	s_branch .LBB40_1308
.LBB40_3357:
	s_movk_i32 s4, 0x80
	v_cmp_eq_u16_sdwa s[12:13], v10, s4 src0_sel:BYTE_3 src1_sel:DWORD
	s_mov_b64 s[4:5], -1
                                        ; implicit-def: $sgpr10
	s_and_saveexec_b64 s[8:9], s[12:13]
; %bb.3358:
	s_mov_b32 s10, 0x7f800001
	s_xor_b64 s[4:5], exec, -1
; %bb.3359:
	s_or_b64 exec, exec, s[8:9]
	s_and_b64 s[4:5], s[4:5], exec
	s_or_saveexec_b64 s[6:7], s[6:7]
	v_mov_b32_e32 v14, s10
	s_xor_b64 exec, exec, s[6:7]
	s_cbranch_execz .LBB40_1310
.LBB40_3360:
	v_mov_b32_e32 v14, 0
	v_cmp_ne_u16_sdwa s[8:9], v10, v14 src0_sel:BYTE_3 src1_sel:DWORD
	s_andn2_b64 s[4:5], s[4:5], exec
	s_and_b64 s[8:9], s[8:9], exec
	s_or_b64 s[4:5], s[4:5], s[8:9]
	s_or_b64 exec, exec, s[6:7]
	s_and_saveexec_b64 s[6:7], s[4:5]
	s_cbranch_execnz .LBB40_1311
	s_branch .LBB40_1312
.LBB40_3361:
	s_movk_i32 s4, 0x80
	v_cmp_eq_u16_sdwa s[12:13], v15, s4 src0_sel:BYTE_0 src1_sel:DWORD
	s_mov_b64 s[4:5], -1
                                        ; implicit-def: $sgpr10
	s_and_saveexec_b64 s[8:9], s[12:13]
; %bb.3362:
	s_mov_b32 s10, 0x7f800001
	s_xor_b64 s[4:5], exec, -1
; %bb.3363:
	s_or_b64 exec, exec, s[8:9]
	s_and_b64 s[4:5], s[4:5], exec
	s_or_saveexec_b64 s[6:7], s[6:7]
	v_mov_b32_e32 v10, s10
	s_xor_b64 exec, exec, s[6:7]
	s_cbranch_execz .LBB40_1314
.LBB40_3364:
	v_mov_b32_e32 v10, 0
	v_cmp_ne_u16_sdwa s[8:9], v15, v10 src0_sel:BYTE_0 src1_sel:DWORD
	s_andn2_b64 s[4:5], s[4:5], exec
	s_and_b64 s[8:9], s[8:9], exec
	s_or_b64 s[4:5], s[4:5], s[8:9]
	s_or_b64 exec, exec, s[6:7]
	s_and_saveexec_b64 s[6:7], s[4:5]
	s_cbranch_execnz .LBB40_1315
	s_branch .LBB40_1316
.LBB40_3365:
	s_movk_i32 s4, 0x80
	v_cmp_eq_u16_sdwa s[12:13], v11, s4 src0_sel:BYTE_0 src1_sel:DWORD
	s_mov_b64 s[4:5], -1
                                        ; implicit-def: $sgpr10
	s_and_saveexec_b64 s[8:9], s[12:13]
; %bb.3366:
	s_mov_b32 s10, 0x7f800001
	s_xor_b64 s[4:5], exec, -1
; %bb.3367:
	s_or_b64 exec, exec, s[8:9]
	s_and_b64 s[4:5], s[4:5], exec
	s_or_saveexec_b64 s[6:7], s[6:7]
	v_mov_b32_e32 v14, s10
	s_xor_b64 exec, exec, s[6:7]
	s_cbranch_execz .LBB40_1318
.LBB40_3368:
	v_mov_b32_e32 v14, 0
	v_cmp_ne_u16_sdwa s[8:9], v11, v14 src0_sel:BYTE_0 src1_sel:DWORD
	s_andn2_b64 s[4:5], s[4:5], exec
	s_and_b64 s[8:9], s[8:9], exec
	s_or_b64 s[4:5], s[4:5], s[8:9]
	s_or_b64 exec, exec, s[6:7]
	s_and_saveexec_b64 s[6:7], s[4:5]
	s_cbranch_execnz .LBB40_1319
	s_branch .LBB40_1320
.LBB40_3369:
	s_movk_i32 s4, 0x80
	v_cmp_eq_u16_sdwa s[12:13], v14, s4 src0_sel:BYTE_0 src1_sel:DWORD
	s_mov_b64 s[4:5], -1
                                        ; implicit-def: $sgpr10
	s_and_saveexec_b64 s[8:9], s[12:13]
; %bb.3370:
	s_mov_b32 s10, 0x7f800001
	s_xor_b64 s[4:5], exec, -1
; %bb.3371:
	s_or_b64 exec, exec, s[8:9]
	s_and_b64 s[4:5], s[4:5], exec
	s_or_saveexec_b64 s[6:7], s[6:7]
	v_mov_b32_e32 v10, s10
	s_xor_b64 exec, exec, s[6:7]
	s_cbranch_execz .LBB40_1322
.LBB40_3372:
	v_mov_b32_e32 v10, 0
	v_cmp_ne_u16_sdwa s[8:9], v14, v10 src0_sel:BYTE_0 src1_sel:DWORD
	s_andn2_b64 s[4:5], s[4:5], exec
	s_and_b64 s[8:9], s[8:9], exec
	s_or_b64 s[4:5], s[4:5], s[8:9]
	s_or_b64 exec, exec, s[6:7]
	s_and_saveexec_b64 s[6:7], s[4:5]
	s_cbranch_execnz .LBB40_1323
	s_branch .LBB40_1324
.LBB40_3373:
	s_movk_i32 s4, 0x80
	v_cmp_eq_u16_sdwa s[12:13], v14, s4 src0_sel:BYTE_0 src1_sel:DWORD
	s_mov_b64 s[4:5], -1
                                        ; implicit-def: $sgpr10
	s_and_saveexec_b64 s[8:9], s[12:13]
; %bb.3374:
	s_mov_b32 s10, 0x7f800001
	s_xor_b64 s[4:5], exec, -1
; %bb.3375:
	s_or_b64 exec, exec, s[8:9]
	s_and_b64 s[4:5], s[4:5], exec
	s_or_saveexec_b64 s[6:7], s[6:7]
	v_mov_b32_e32 v20, s10
	s_xor_b64 exec, exec, s[6:7]
	s_cbranch_execz .LBB40_1326
.LBB40_3376:
	v_mov_b32_e32 v20, 0
	v_cmp_ne_u16_sdwa s[8:9], v14, v20 src0_sel:BYTE_0 src1_sel:DWORD
	s_andn2_b64 s[4:5], s[4:5], exec
	s_and_b64 s[8:9], s[8:9], exec
	s_or_b64 s[4:5], s[4:5], s[8:9]
	s_or_b64 exec, exec, s[6:7]
	s_and_saveexec_b64 s[6:7], s[4:5]
	s_cbranch_execnz .LBB40_1327
	s_branch .LBB40_1328
.LBB40_3377:
	s_movk_i32 s4, 0x80
	v_cmp_eq_u16_e32 vcc, s4, v14
	s_mov_b64 s[4:5], -1
                                        ; implicit-def: $sgpr10
	s_and_saveexec_b64 s[8:9], vcc
; %bb.3378:
	s_mov_b32 s10, 0x7f800001
	s_xor_b64 s[4:5], exec, -1
; %bb.3379:
	s_or_b64 exec, exec, s[8:9]
	s_and_b64 s[4:5], s[4:5], exec
                                        ; implicit-def: $vgpr14
	s_or_saveexec_b64 s[6:7], s[6:7]
	v_mov_b32_e32 v10, s10
	s_xor_b64 exec, exec, s[6:7]
	s_cbranch_execz .LBB40_1330
.LBB40_3380:
	v_cmp_ne_u16_e32 vcc, 0, v14
	s_andn2_b64 s[4:5], s[4:5], exec
	s_and_b64 s[8:9], vcc, exec
	v_mov_b32_e32 v10, 0
	s_or_b64 s[4:5], s[4:5], s[8:9]
	s_or_b64 exec, exec, s[6:7]
	s_and_saveexec_b64 s[6:7], s[4:5]
	s_cbranch_execnz .LBB40_1331
	s_branch .LBB40_1332
.LBB40_3381:
	s_movk_i32 s4, 0x80
	v_cmp_eq_u16_e32 vcc, s4, v14
	s_mov_b64 s[4:5], -1
                                        ; implicit-def: $sgpr10
	s_and_saveexec_b64 s[8:9], vcc
; %bb.3382:
	s_mov_b32 s10, 0x7f800001
	s_xor_b64 s[4:5], exec, -1
; %bb.3383:
	s_or_b64 exec, exec, s[8:9]
	s_and_b64 s[4:5], s[4:5], exec
                                        ; implicit-def: $vgpr14
	s_or_saveexec_b64 s[6:7], s[6:7]
	v_mov_b32_e32 v20, s10
	s_xor_b64 exec, exec, s[6:7]
	s_cbranch_execz .LBB40_1334
.LBB40_3384:
	v_cmp_ne_u16_e32 vcc, 0, v14
	s_andn2_b64 s[4:5], s[4:5], exec
	s_and_b64 s[8:9], vcc, exec
	v_mov_b32_e32 v20, 0
	s_or_b64 s[4:5], s[4:5], s[8:9]
	s_or_b64 exec, exec, s[6:7]
	s_and_saveexec_b64 s[6:7], s[4:5]
	s_cbranch_execnz .LBB40_1335
	s_branch .LBB40_1336
.LBB40_3385:
	s_movk_i32 s4, 0x80
	v_cmp_eq_u16_sdwa s[12:13], v15, s4 src0_sel:BYTE_3 src1_sel:DWORD
	s_mov_b64 s[4:5], -1
                                        ; implicit-def: $sgpr10
	s_and_saveexec_b64 s[8:9], s[12:13]
; %bb.3386:
	s_mov_b32 s10, 0x7f800001
	s_xor_b64 s[4:5], exec, -1
; %bb.3387:
	s_or_b64 exec, exec, s[8:9]
	s_and_b64 s[4:5], s[4:5], exec
	s_or_saveexec_b64 s[6:7], s[6:7]
	v_mov_b32_e32 v10, s10
	s_xor_b64 exec, exec, s[6:7]
	s_cbranch_execz .LBB40_1338
.LBB40_3388:
	v_mov_b32_e32 v10, 0
	v_cmp_ne_u16_sdwa s[8:9], v15, v10 src0_sel:BYTE_3 src1_sel:DWORD
	s_andn2_b64 s[4:5], s[4:5], exec
	s_and_b64 s[8:9], s[8:9], exec
	s_or_b64 s[4:5], s[4:5], s[8:9]
	s_or_b64 exec, exec, s[6:7]
	s_and_saveexec_b64 s[6:7], s[4:5]
	s_cbranch_execnz .LBB40_1339
	s_branch .LBB40_1340
.LBB40_3389:
	s_movk_i32 s4, 0x80
	v_cmp_eq_u16_sdwa s[12:13], v11, s4 src0_sel:BYTE_3 src1_sel:DWORD
	s_mov_b64 s[4:5], -1
                                        ; implicit-def: $sgpr10
	s_and_saveexec_b64 s[8:9], s[12:13]
; %bb.3390:
	s_mov_b32 s10, 0x7f800001
	s_xor_b64 s[4:5], exec, -1
; %bb.3391:
	s_or_b64 exec, exec, s[8:9]
	s_and_b64 s[4:5], s[4:5], exec
	s_or_saveexec_b64 s[6:7], s[6:7]
	v_mov_b32_e32 v14, s10
	s_xor_b64 exec, exec, s[6:7]
	s_cbranch_execz .LBB40_1342
.LBB40_3392:
	v_mov_b32_e32 v14, 0
	v_cmp_ne_u16_sdwa s[8:9], v11, v14 src0_sel:BYTE_3 src1_sel:DWORD
	s_andn2_b64 s[4:5], s[4:5], exec
	s_and_b64 s[8:9], s[8:9], exec
	s_or_b64 s[4:5], s[4:5], s[8:9]
	s_or_b64 exec, exec, s[6:7]
	s_and_saveexec_b64 s[6:7], s[4:5]
	s_cbranch_execnz .LBB40_1343
	s_branch .LBB40_1344
.LBB40_3393:
	s_movk_i32 s4, 0x80
	v_cmp_eq_u16_sdwa s[12:13], v16, s4 src0_sel:BYTE_0 src1_sel:DWORD
	s_mov_b64 s[4:5], -1
                                        ; implicit-def: $sgpr10
	s_and_saveexec_b64 s[8:9], s[12:13]
; %bb.3394:
	s_mov_b32 s10, 0x7f800001
	s_xor_b64 s[4:5], exec, -1
; %bb.3395:
	s_or_b64 exec, exec, s[8:9]
	s_and_b64 s[4:5], s[4:5], exec
	s_or_saveexec_b64 s[6:7], s[6:7]
	v_mov_b32_e32 v10, s10
	s_xor_b64 exec, exec, s[6:7]
	s_cbranch_execz .LBB40_1346
.LBB40_3396:
	v_mov_b32_e32 v10, 0
	v_cmp_ne_u16_sdwa s[8:9], v16, v10 src0_sel:BYTE_0 src1_sel:DWORD
	s_andn2_b64 s[4:5], s[4:5], exec
	s_and_b64 s[8:9], s[8:9], exec
	s_or_b64 s[4:5], s[4:5], s[8:9]
	s_or_b64 exec, exec, s[6:7]
	s_and_saveexec_b64 s[6:7], s[4:5]
	s_cbranch_execnz .LBB40_1347
	s_branch .LBB40_1348
.LBB40_3397:
	s_movk_i32 s4, 0x80
	v_cmp_eq_u16_sdwa s[12:13], v12, s4 src0_sel:BYTE_0 src1_sel:DWORD
	s_mov_b64 s[4:5], -1
                                        ; implicit-def: $sgpr10
	s_and_saveexec_b64 s[8:9], s[12:13]
; %bb.3398:
	s_mov_b32 s10, 0x7f800001
	s_xor_b64 s[4:5], exec, -1
; %bb.3399:
	s_or_b64 exec, exec, s[8:9]
	s_and_b64 s[4:5], s[4:5], exec
	s_or_saveexec_b64 s[6:7], s[6:7]
	v_mov_b32_e32 v11, s10
	s_xor_b64 exec, exec, s[6:7]
	s_cbranch_execz .LBB40_1350
.LBB40_3400:
	v_mov_b32_e32 v11, 0
	v_cmp_ne_u16_sdwa s[8:9], v12, v11 src0_sel:BYTE_0 src1_sel:DWORD
	s_andn2_b64 s[4:5], s[4:5], exec
	s_and_b64 s[8:9], s[8:9], exec
	s_or_b64 s[4:5], s[4:5], s[8:9]
	s_or_b64 exec, exec, s[6:7]
	s_and_saveexec_b64 s[6:7], s[4:5]
	s_cbranch_execnz .LBB40_1351
	s_branch .LBB40_1352
.LBB40_3401:
	s_movk_i32 s4, 0x80
	v_cmp_eq_u16_sdwa s[12:13], v11, s4 src0_sel:BYTE_0 src1_sel:DWORD
	s_mov_b64 s[4:5], -1
                                        ; implicit-def: $sgpr10
	s_and_saveexec_b64 s[8:9], s[12:13]
; %bb.3402:
	s_mov_b32 s10, 0x7f800001
	s_xor_b64 s[4:5], exec, -1
; %bb.3403:
	s_or_b64 exec, exec, s[8:9]
	s_and_b64 s[4:5], s[4:5], exec
	s_or_saveexec_b64 s[6:7], s[6:7]
	v_mov_b32_e32 v10, s10
	s_xor_b64 exec, exec, s[6:7]
	s_cbranch_execz .LBB40_1354
.LBB40_3404:
	v_mov_b32_e32 v10, 0
	v_cmp_ne_u16_sdwa s[8:9], v11, v10 src0_sel:BYTE_0 src1_sel:DWORD
	s_andn2_b64 s[4:5], s[4:5], exec
	s_and_b64 s[8:9], s[8:9], exec
	s_or_b64 s[4:5], s[4:5], s[8:9]
	s_or_b64 exec, exec, s[6:7]
	s_and_saveexec_b64 s[6:7], s[4:5]
	s_cbranch_execnz .LBB40_1355
	s_branch .LBB40_1356
.LBB40_3405:
	s_movk_i32 s4, 0x80
	v_cmp_eq_u16_sdwa s[12:13], v11, s4 src0_sel:BYTE_0 src1_sel:DWORD
	s_mov_b64 s[4:5], -1
                                        ; implicit-def: $sgpr10
	s_and_saveexec_b64 s[8:9], s[12:13]
; %bb.3406:
	s_mov_b32 s10, 0x7f800001
	s_xor_b64 s[4:5], exec, -1
; %bb.3407:
	s_or_b64 exec, exec, s[8:9]
	s_and_b64 s[4:5], s[4:5], exec
	s_or_saveexec_b64 s[6:7], s[6:7]
	v_mov_b32_e32 v14, s10
	s_xor_b64 exec, exec, s[6:7]
	s_cbranch_execz .LBB40_1358
.LBB40_3408:
	v_mov_b32_e32 v14, 0
	v_cmp_ne_u16_sdwa s[8:9], v11, v14 src0_sel:BYTE_0 src1_sel:DWORD
	s_andn2_b64 s[4:5], s[4:5], exec
	s_and_b64 s[8:9], s[8:9], exec
	s_or_b64 s[4:5], s[4:5], s[8:9]
	s_or_b64 exec, exec, s[6:7]
	s_and_saveexec_b64 s[6:7], s[4:5]
	s_cbranch_execnz .LBB40_1359
	s_branch .LBB40_1360
.LBB40_3409:
	s_movk_i32 s4, 0x80
	v_cmp_eq_u16_e32 vcc, s4, v11
	s_mov_b64 s[4:5], -1
                                        ; implicit-def: $sgpr10
	s_and_saveexec_b64 s[8:9], vcc
; %bb.3410:
	s_mov_b32 s10, 0x7f800001
	s_xor_b64 s[4:5], exec, -1
; %bb.3411:
	s_or_b64 exec, exec, s[8:9]
	s_and_b64 s[4:5], s[4:5], exec
                                        ; implicit-def: $vgpr11
	s_or_saveexec_b64 s[6:7], s[6:7]
	v_mov_b32_e32 v10, s10
	s_xor_b64 exec, exec, s[6:7]
	s_cbranch_execz .LBB40_1362
.LBB40_3412:
	v_cmp_ne_u16_e32 vcc, 0, v11
	s_andn2_b64 s[4:5], s[4:5], exec
	s_and_b64 s[8:9], vcc, exec
	v_mov_b32_e32 v10, 0
	s_or_b64 s[4:5], s[4:5], s[8:9]
	s_or_b64 exec, exec, s[6:7]
	s_and_saveexec_b64 s[6:7], s[4:5]
	s_cbranch_execnz .LBB40_1363
	s_branch .LBB40_1364
.LBB40_3413:
	s_movk_i32 s4, 0x80
	v_cmp_eq_u16_e32 vcc, s4, v11
	s_mov_b64 s[4:5], -1
                                        ; implicit-def: $sgpr10
	s_and_saveexec_b64 s[8:9], vcc
; %bb.3414:
	s_mov_b32 s10, 0x7f800001
	s_xor_b64 s[4:5], exec, -1
; %bb.3415:
	s_or_b64 exec, exec, s[8:9]
	s_and_b64 s[4:5], s[4:5], exec
                                        ; implicit-def: $vgpr11
	s_or_saveexec_b64 s[6:7], s[6:7]
	v_mov_b32_e32 v14, s10
	s_xor_b64 exec, exec, s[6:7]
	s_cbranch_execz .LBB40_1366
.LBB40_3416:
	v_cmp_ne_u16_e32 vcc, 0, v11
	s_andn2_b64 s[4:5], s[4:5], exec
	s_and_b64 s[8:9], vcc, exec
	v_mov_b32_e32 v14, 0
	s_or_b64 s[4:5], s[4:5], s[8:9]
	s_or_b64 exec, exec, s[6:7]
	s_and_saveexec_b64 s[6:7], s[4:5]
	s_cbranch_execnz .LBB40_1367
	s_branch .LBB40_1368
.LBB40_3417:
	s_movk_i32 s4, 0x80
	v_cmp_eq_u16_sdwa s[12:13], v16, s4 src0_sel:BYTE_3 src1_sel:DWORD
	s_mov_b64 s[4:5], -1
                                        ; implicit-def: $sgpr10
	s_and_saveexec_b64 s[8:9], s[12:13]
; %bb.3418:
	s_mov_b32 s10, 0x7f800001
	s_xor_b64 s[4:5], exec, -1
; %bb.3419:
	s_or_b64 exec, exec, s[8:9]
	s_and_b64 s[4:5], s[4:5], exec
	s_or_saveexec_b64 s[6:7], s[6:7]
	v_mov_b32_e32 v10, s10
	s_xor_b64 exec, exec, s[6:7]
	s_cbranch_execz .LBB40_1370
.LBB40_3420:
	v_mov_b32_e32 v10, 0
	v_cmp_ne_u16_sdwa s[8:9], v16, v10 src0_sel:BYTE_3 src1_sel:DWORD
	s_andn2_b64 s[4:5], s[4:5], exec
	s_and_b64 s[8:9], s[8:9], exec
	s_or_b64 s[4:5], s[4:5], s[8:9]
	s_or_b64 exec, exec, s[6:7]
	s_and_saveexec_b64 s[6:7], s[4:5]
	s_cbranch_execnz .LBB40_1371
	s_branch .LBB40_1372
.LBB40_3421:
	s_movk_i32 s4, 0x80
	v_cmp_eq_u16_sdwa s[12:13], v12, s4 src0_sel:BYTE_3 src1_sel:DWORD
	s_mov_b64 s[4:5], -1
                                        ; implicit-def: $sgpr10
	s_and_saveexec_b64 s[8:9], s[12:13]
; %bb.3422:
	s_mov_b32 s10, 0x7f800001
	s_xor_b64 s[4:5], exec, -1
; %bb.3423:
	s_or_b64 exec, exec, s[8:9]
	s_and_b64 s[4:5], s[4:5], exec
	s_or_saveexec_b64 s[6:7], s[6:7]
	v_mov_b32_e32 v11, s10
	s_xor_b64 exec, exec, s[6:7]
	s_cbranch_execz .LBB40_1374
.LBB40_3424:
	v_mov_b32_e32 v11, 0
	v_cmp_ne_u16_sdwa s[8:9], v12, v11 src0_sel:BYTE_3 src1_sel:DWORD
	s_andn2_b64 s[4:5], s[4:5], exec
	s_and_b64 s[8:9], s[8:9], exec
	s_or_b64 s[4:5], s[4:5], s[8:9]
	s_or_b64 exec, exec, s[6:7]
	s_and_saveexec_b64 s[6:7], s[4:5]
	s_cbranch_execnz .LBB40_1375
	s_branch .LBB40_1376
.LBB40_3425:
	s_movk_i32 s4, 0x80
	v_cmp_eq_u16_sdwa s[12:13], v17, s4 src0_sel:BYTE_0 src1_sel:DWORD
	s_mov_b64 s[4:5], -1
                                        ; implicit-def: $sgpr10
	s_and_saveexec_b64 s[8:9], s[12:13]
; %bb.3426:
	s_mov_b32 s10, 0x7f800001
	s_xor_b64 s[4:5], exec, -1
; %bb.3427:
	s_or_b64 exec, exec, s[8:9]
	s_and_b64 s[4:5], s[4:5], exec
	s_or_saveexec_b64 s[6:7], s[6:7]
	v_mov_b32_e32 v10, s10
	s_xor_b64 exec, exec, s[6:7]
	s_cbranch_execz .LBB40_1378
.LBB40_3428:
	v_mov_b32_e32 v10, 0
	v_cmp_ne_u16_sdwa s[8:9], v17, v10 src0_sel:BYTE_0 src1_sel:DWORD
	s_andn2_b64 s[4:5], s[4:5], exec
	s_and_b64 s[8:9], s[8:9], exec
	s_or_b64 s[4:5], s[4:5], s[8:9]
	s_or_b64 exec, exec, s[6:7]
	s_and_saveexec_b64 s[6:7], s[4:5]
	s_cbranch_execnz .LBB40_1379
	s_branch .LBB40_1380
.LBB40_3429:
	s_movk_i32 s4, 0x80
	v_cmp_eq_u16_sdwa s[12:13], v13, s4 src0_sel:BYTE_0 src1_sel:DWORD
	s_mov_b64 s[4:5], -1
                                        ; implicit-def: $sgpr10
	s_and_saveexec_b64 s[8:9], s[12:13]
; %bb.3430:
	s_mov_b32 s10, 0x7f800001
	s_xor_b64 s[4:5], exec, -1
; %bb.3431:
	s_or_b64 exec, exec, s[8:9]
	s_and_b64 s[4:5], s[4:5], exec
	s_or_saveexec_b64 s[6:7], s[6:7]
	v_mov_b32_e32 v11, s10
	s_xor_b64 exec, exec, s[6:7]
	s_cbranch_execz .LBB40_1382
.LBB40_3432:
	v_mov_b32_e32 v11, 0
	v_cmp_ne_u16_sdwa s[8:9], v13, v11 src0_sel:BYTE_0 src1_sel:DWORD
	s_andn2_b64 s[4:5], s[4:5], exec
	s_and_b64 s[8:9], s[8:9], exec
	s_or_b64 s[4:5], s[4:5], s[8:9]
	s_or_b64 exec, exec, s[6:7]
	s_and_saveexec_b64 s[6:7], s[4:5]
	s_cbranch_execnz .LBB40_1383
	s_branch .LBB40_1384
.LBB40_3433:
	s_movk_i32 s4, 0x80
	v_cmp_eq_u16_sdwa s[12:13], v11, s4 src0_sel:BYTE_0 src1_sel:DWORD
	s_mov_b64 s[4:5], -1
                                        ; implicit-def: $sgpr10
	s_and_saveexec_b64 s[8:9], s[12:13]
; %bb.3434:
	s_mov_b32 s10, 0x7f800001
	s_xor_b64 s[4:5], exec, -1
; %bb.3435:
	s_or_b64 exec, exec, s[8:9]
	s_and_b64 s[4:5], s[4:5], exec
	s_or_saveexec_b64 s[6:7], s[6:7]
	v_mov_b32_e32 v10, s10
	s_xor_b64 exec, exec, s[6:7]
	s_cbranch_execz .LBB40_1386
.LBB40_3436:
	v_mov_b32_e32 v10, 0
	v_cmp_ne_u16_sdwa s[8:9], v11, v10 src0_sel:BYTE_0 src1_sel:DWORD
	s_andn2_b64 s[4:5], s[4:5], exec
	s_and_b64 s[8:9], s[8:9], exec
	s_or_b64 s[4:5], s[4:5], s[8:9]
	s_or_b64 exec, exec, s[6:7]
	s_and_saveexec_b64 s[6:7], s[4:5]
	s_cbranch_execnz .LBB40_1387
	s_branch .LBB40_1388
.LBB40_3437:
	s_movk_i32 s4, 0x80
	v_cmp_eq_u16_sdwa s[12:13], v11, s4 src0_sel:BYTE_0 src1_sel:DWORD
	s_mov_b64 s[4:5], -1
                                        ; implicit-def: $sgpr10
	s_and_saveexec_b64 s[8:9], s[12:13]
; %bb.3438:
	s_mov_b32 s10, 0x7f800001
	s_xor_b64 s[4:5], exec, -1
; %bb.3439:
	s_or_b64 exec, exec, s[8:9]
	s_and_b64 s[4:5], s[4:5], exec
	s_or_saveexec_b64 s[6:7], s[6:7]
	v_mov_b32_e32 v12, s10
	s_xor_b64 exec, exec, s[6:7]
	s_cbranch_execz .LBB40_1390
.LBB40_3440:
	v_mov_b32_e32 v12, 0
	v_cmp_ne_u16_sdwa s[8:9], v11, v12 src0_sel:BYTE_0 src1_sel:DWORD
	s_andn2_b64 s[4:5], s[4:5], exec
	s_and_b64 s[8:9], s[8:9], exec
	s_or_b64 s[4:5], s[4:5], s[8:9]
	s_or_b64 exec, exec, s[6:7]
	s_and_saveexec_b64 s[6:7], s[4:5]
	s_cbranch_execnz .LBB40_1391
	s_branch .LBB40_1392
.LBB40_3441:
	s_movk_i32 s4, 0x80
	v_cmp_eq_u16_e32 vcc, s4, v11
	s_mov_b64 s[4:5], -1
                                        ; implicit-def: $sgpr10
	s_and_saveexec_b64 s[8:9], vcc
; %bb.3442:
	s_mov_b32 s10, 0x7f800001
	s_xor_b64 s[4:5], exec, -1
; %bb.3443:
	s_or_b64 exec, exec, s[8:9]
	s_and_b64 s[4:5], s[4:5], exec
                                        ; implicit-def: $vgpr11
	s_or_saveexec_b64 s[6:7], s[6:7]
	v_mov_b32_e32 v10, s10
	s_xor_b64 exec, exec, s[6:7]
	s_cbranch_execz .LBB40_1394
.LBB40_3444:
	v_cmp_ne_u16_e32 vcc, 0, v11
	s_andn2_b64 s[4:5], s[4:5], exec
	s_and_b64 s[8:9], vcc, exec
	v_mov_b32_e32 v10, 0
	s_or_b64 s[4:5], s[4:5], s[8:9]
	s_or_b64 exec, exec, s[6:7]
	s_and_saveexec_b64 s[6:7], s[4:5]
	s_cbranch_execnz .LBB40_1395
	s_branch .LBB40_1396
.LBB40_3445:
	s_movk_i32 s4, 0x80
	v_cmp_eq_u16_e32 vcc, s4, v11
	s_mov_b64 s[4:5], -1
                                        ; implicit-def: $sgpr10
	s_and_saveexec_b64 s[8:9], vcc
; %bb.3446:
	s_mov_b32 s10, 0x7f800001
	s_xor_b64 s[4:5], exec, -1
; %bb.3447:
	s_or_b64 exec, exec, s[8:9]
	s_and_b64 s[4:5], s[4:5], exec
                                        ; implicit-def: $vgpr11
	s_or_saveexec_b64 s[6:7], s[6:7]
	v_mov_b32_e32 v12, s10
	s_xor_b64 exec, exec, s[6:7]
	s_cbranch_execz .LBB40_1398
.LBB40_3448:
	v_cmp_ne_u16_e32 vcc, 0, v11
	s_andn2_b64 s[4:5], s[4:5], exec
	s_and_b64 s[8:9], vcc, exec
	v_mov_b32_e32 v12, 0
	s_or_b64 s[4:5], s[4:5], s[8:9]
	s_or_b64 exec, exec, s[6:7]
	s_and_saveexec_b64 s[6:7], s[4:5]
	s_cbranch_execnz .LBB40_1399
	s_branch .LBB40_1400
.LBB40_3449:
	s_movk_i32 s4, 0x80
	v_cmp_eq_u16_sdwa s[12:13], v17, s4 src0_sel:BYTE_3 src1_sel:DWORD
	s_mov_b64 s[4:5], -1
                                        ; implicit-def: $sgpr10
	s_and_saveexec_b64 s[8:9], s[12:13]
; %bb.3450:
	s_mov_b32 s10, 0x7f800001
	s_xor_b64 s[4:5], exec, -1
; %bb.3451:
	s_or_b64 exec, exec, s[8:9]
	s_and_b64 s[4:5], s[4:5], exec
	s_or_saveexec_b64 s[6:7], s[6:7]
	v_mov_b32_e32 v10, s10
	s_xor_b64 exec, exec, s[6:7]
	s_cbranch_execz .LBB40_1402
.LBB40_3452:
	v_mov_b32_e32 v10, 0
	v_cmp_ne_u16_sdwa s[8:9], v17, v10 src0_sel:BYTE_3 src1_sel:DWORD
	s_andn2_b64 s[4:5], s[4:5], exec
	s_and_b64 s[8:9], s[8:9], exec
	s_or_b64 s[4:5], s[4:5], s[8:9]
	s_or_b64 exec, exec, s[6:7]
	s_and_saveexec_b64 s[6:7], s[4:5]
	s_cbranch_execnz .LBB40_1403
	s_branch .LBB40_1404
.LBB40_3453:
	s_movk_i32 s4, 0x80
	v_cmp_eq_u16_sdwa s[12:13], v13, s4 src0_sel:BYTE_3 src1_sel:DWORD
	s_mov_b64 s[4:5], -1
                                        ; implicit-def: $sgpr10
	s_and_saveexec_b64 s[8:9], s[12:13]
; %bb.3454:
	s_mov_b32 s10, 0x7f800001
	s_xor_b64 s[4:5], exec, -1
; %bb.3455:
	s_or_b64 exec, exec, s[8:9]
	s_and_b64 s[4:5], s[4:5], exec
	s_or_saveexec_b64 s[6:7], s[6:7]
	v_mov_b32_e32 v11, s10
	s_xor_b64 exec, exec, s[6:7]
	s_cbranch_execz .LBB40_1406
.LBB40_3456:
	v_mov_b32_e32 v11, 0
	v_cmp_ne_u16_sdwa s[8:9], v13, v11 src0_sel:BYTE_3 src1_sel:DWORD
	s_andn2_b64 s[4:5], s[4:5], exec
	s_and_b64 s[8:9], s[8:9], exec
	s_or_b64 s[4:5], s[4:5], s[8:9]
	s_or_b64 exec, exec, s[6:7]
	s_and_saveexec_b64 s[6:7], s[4:5]
	s_cbranch_execnz .LBB40_1407
	s_branch .LBB40_1408
.LBB40_3457:
	s_movk_i32 s4, 0x80
	v_cmp_eq_u16_sdwa s[12:13], v6, s4 src0_sel:BYTE_0 src1_sel:DWORD
	s_mov_b64 s[4:5], -1
                                        ; implicit-def: $sgpr10
	s_and_saveexec_b64 s[8:9], s[12:13]
; %bb.3458:
	s_mov_b32 s10, 0x7f800001
	s_xor_b64 s[4:5], exec, -1
; %bb.3459:
	s_or_b64 exec, exec, s[8:9]
	s_and_b64 s[4:5], s[4:5], exec
	s_or_saveexec_b64 s[6:7], s[6:7]
	v_mov_b32_e32 v10, s10
	s_xor_b64 exec, exec, s[6:7]
	s_cbranch_execz .LBB40_1410
.LBB40_3460:
	v_mov_b32_e32 v10, 0
	v_cmp_ne_u16_sdwa s[8:9], v6, v10 src0_sel:BYTE_0 src1_sel:DWORD
	s_andn2_b64 s[4:5], s[4:5], exec
	s_and_b64 s[8:9], s[8:9], exec
	s_or_b64 s[4:5], s[4:5], s[8:9]
	s_or_b64 exec, exec, s[6:7]
	s_and_saveexec_b64 s[6:7], s[4:5]
	s_cbranch_execnz .LBB40_1411
	s_branch .LBB40_1412
.LBB40_3461:
	s_movk_i32 s4, 0x80
	v_cmp_eq_u16_sdwa s[12:13], v2, s4 src0_sel:BYTE_0 src1_sel:DWORD
	s_mov_b64 s[4:5], -1
                                        ; implicit-def: $sgpr10
	s_and_saveexec_b64 s[8:9], s[12:13]
; %bb.3462:
	s_mov_b32 s10, 0x7f800001
	s_xor_b64 s[4:5], exec, -1
; %bb.3463:
	s_or_b64 exec, exec, s[8:9]
	s_and_b64 s[4:5], s[4:5], exec
	s_or_saveexec_b64 s[6:7], s[6:7]
	v_mov_b32_e32 v11, s10
	s_xor_b64 exec, exec, s[6:7]
	s_cbranch_execz .LBB40_1414
.LBB40_3464:
	v_mov_b32_e32 v11, 0
	v_cmp_ne_u16_sdwa s[8:9], v2, v11 src0_sel:BYTE_0 src1_sel:DWORD
	s_andn2_b64 s[4:5], s[4:5], exec
	s_and_b64 s[8:9], s[8:9], exec
	s_or_b64 s[4:5], s[4:5], s[8:9]
	s_or_b64 exec, exec, s[6:7]
	s_and_saveexec_b64 s[6:7], s[4:5]
	s_cbranch_execnz .LBB40_1415
	s_branch .LBB40_1416
.LBB40_3465:
	s_movk_i32 s4, 0x80
	v_cmp_eq_u16_sdwa s[12:13], v11, s4 src0_sel:BYTE_0 src1_sel:DWORD
	s_mov_b64 s[4:5], -1
                                        ; implicit-def: $sgpr10
	s_and_saveexec_b64 s[8:9], s[12:13]
; %bb.3466:
	s_mov_b32 s10, 0x7f800001
	s_xor_b64 s[4:5], exec, -1
; %bb.3467:
	s_or_b64 exec, exec, s[8:9]
	s_and_b64 s[4:5], s[4:5], exec
	s_or_saveexec_b64 s[6:7], s[6:7]
	v_mov_b32_e32 v10, s10
	s_xor_b64 exec, exec, s[6:7]
	s_cbranch_execz .LBB40_1418
.LBB40_3468:
	v_mov_b32_e32 v10, 0
	v_cmp_ne_u16_sdwa s[8:9], v11, v10 src0_sel:BYTE_0 src1_sel:DWORD
	s_andn2_b64 s[4:5], s[4:5], exec
	s_and_b64 s[8:9], s[8:9], exec
	s_or_b64 s[4:5], s[4:5], s[8:9]
	s_or_b64 exec, exec, s[6:7]
	s_and_saveexec_b64 s[6:7], s[4:5]
	s_cbranch_execnz .LBB40_1419
	s_branch .LBB40_1420
.LBB40_3469:
	s_movk_i32 s4, 0x80
	v_cmp_eq_u16_sdwa s[12:13], v11, s4 src0_sel:BYTE_0 src1_sel:DWORD
	s_mov_b64 s[4:5], -1
                                        ; implicit-def: $sgpr10
	s_and_saveexec_b64 s[8:9], s[12:13]
; %bb.3470:
	s_mov_b32 s10, 0x7f800001
	s_xor_b64 s[4:5], exec, -1
; %bb.3471:
	s_or_b64 exec, exec, s[8:9]
	s_and_b64 s[4:5], s[4:5], exec
	s_or_saveexec_b64 s[6:7], s[6:7]
	v_mov_b32_e32 v12, s10
	s_xor_b64 exec, exec, s[6:7]
	s_cbranch_execz .LBB40_1422
.LBB40_3472:
	v_mov_b32_e32 v12, 0
	v_cmp_ne_u16_sdwa s[8:9], v11, v12 src0_sel:BYTE_0 src1_sel:DWORD
	s_andn2_b64 s[4:5], s[4:5], exec
	s_and_b64 s[8:9], s[8:9], exec
	s_or_b64 s[4:5], s[4:5], s[8:9]
	s_or_b64 exec, exec, s[6:7]
	s_and_saveexec_b64 s[6:7], s[4:5]
	s_cbranch_execnz .LBB40_1423
	s_branch .LBB40_1424
.LBB40_3473:
	s_movk_i32 s4, 0x80
	v_cmp_eq_u16_e32 vcc, s4, v11
	s_mov_b64 s[4:5], -1
                                        ; implicit-def: $sgpr10
	s_and_saveexec_b64 s[8:9], vcc
; %bb.3474:
	s_mov_b32 s10, 0x7f800001
	s_xor_b64 s[4:5], exec, -1
; %bb.3475:
	s_or_b64 exec, exec, s[8:9]
	s_and_b64 s[4:5], s[4:5], exec
                                        ; implicit-def: $vgpr11
	s_or_saveexec_b64 s[6:7], s[6:7]
	v_mov_b32_e32 v10, s10
	s_xor_b64 exec, exec, s[6:7]
	s_cbranch_execz .LBB40_1426
.LBB40_3476:
	v_cmp_ne_u16_e32 vcc, 0, v11
	s_andn2_b64 s[4:5], s[4:5], exec
	s_and_b64 s[8:9], vcc, exec
	v_mov_b32_e32 v10, 0
	s_or_b64 s[4:5], s[4:5], s[8:9]
	s_or_b64 exec, exec, s[6:7]
	s_and_saveexec_b64 s[6:7], s[4:5]
	s_cbranch_execnz .LBB40_1427
	s_branch .LBB40_1428
.LBB40_3477:
	s_movk_i32 s4, 0x80
	v_cmp_eq_u16_e32 vcc, s4, v11
	s_mov_b64 s[4:5], -1
                                        ; implicit-def: $sgpr10
	s_and_saveexec_b64 s[8:9], vcc
; %bb.3478:
	s_mov_b32 s10, 0x7f800001
	s_xor_b64 s[4:5], exec, -1
; %bb.3479:
	s_or_b64 exec, exec, s[8:9]
	s_and_b64 s[4:5], s[4:5], exec
                                        ; implicit-def: $vgpr11
	s_or_saveexec_b64 s[6:7], s[6:7]
	v_mov_b32_e32 v12, s10
	s_xor_b64 exec, exec, s[6:7]
	s_cbranch_execz .LBB40_1430
.LBB40_3480:
	v_cmp_ne_u16_e32 vcc, 0, v11
	s_andn2_b64 s[4:5], s[4:5], exec
	s_and_b64 s[8:9], vcc, exec
	v_mov_b32_e32 v12, 0
	s_or_b64 s[4:5], s[4:5], s[8:9]
	s_or_b64 exec, exec, s[6:7]
	s_and_saveexec_b64 s[6:7], s[4:5]
	s_cbranch_execnz .LBB40_1431
	s_branch .LBB40_1432
.LBB40_3481:
	s_movk_i32 s4, 0x80
	v_cmp_eq_u16_sdwa s[12:13], v6, s4 src0_sel:BYTE_3 src1_sel:DWORD
	s_mov_b64 s[4:5], -1
                                        ; implicit-def: $sgpr10
	s_and_saveexec_b64 s[8:9], s[12:13]
; %bb.3482:
	s_mov_b32 s10, 0x7f800001
	s_xor_b64 s[4:5], exec, -1
; %bb.3483:
	s_or_b64 exec, exec, s[8:9]
	s_and_b64 s[4:5], s[4:5], exec
	s_or_saveexec_b64 s[6:7], s[6:7]
	v_mov_b32_e32 v10, s10
	s_xor_b64 exec, exec, s[6:7]
	s_cbranch_execz .LBB40_1434
.LBB40_3484:
	v_mov_b32_e32 v10, 0
	v_cmp_ne_u16_sdwa s[8:9], v6, v10 src0_sel:BYTE_3 src1_sel:DWORD
	s_andn2_b64 s[4:5], s[4:5], exec
	s_and_b64 s[8:9], s[8:9], exec
	s_or_b64 s[4:5], s[4:5], s[8:9]
	s_or_b64 exec, exec, s[6:7]
	s_and_saveexec_b64 s[6:7], s[4:5]
	s_cbranch_execnz .LBB40_1435
	s_branch .LBB40_1436
.LBB40_3485:
	s_movk_i32 s4, 0x80
	v_cmp_eq_u16_sdwa s[12:13], v2, s4 src0_sel:BYTE_3 src1_sel:DWORD
	s_mov_b64 s[4:5], -1
                                        ; implicit-def: $sgpr10
	s_and_saveexec_b64 s[8:9], s[12:13]
; %bb.3486:
	s_mov_b32 s10, 0x7f800001
	s_xor_b64 s[4:5], exec, -1
; %bb.3487:
	s_or_b64 exec, exec, s[8:9]
	s_and_b64 s[4:5], s[4:5], exec
	s_or_saveexec_b64 s[6:7], s[6:7]
	v_mov_b32_e32 v6, s10
	s_xor_b64 exec, exec, s[6:7]
	s_cbranch_execz .LBB40_1438
.LBB40_3488:
	v_mov_b32_e32 v6, 0
	v_cmp_ne_u16_sdwa s[8:9], v2, v6 src0_sel:BYTE_3 src1_sel:DWORD
	s_andn2_b64 s[4:5], s[4:5], exec
	s_and_b64 s[8:9], s[8:9], exec
	s_or_b64 s[4:5], s[4:5], s[8:9]
	s_or_b64 exec, exec, s[6:7]
	s_and_saveexec_b64 s[6:7], s[4:5]
	s_cbranch_execnz .LBB40_1439
	s_branch .LBB40_1440
.LBB40_3489:
	s_movk_i32 s4, 0x80
	v_cmp_eq_u16_sdwa s[12:13], v7, s4 src0_sel:BYTE_0 src1_sel:DWORD
	s_mov_b64 s[4:5], -1
                                        ; implicit-def: $sgpr10
	s_and_saveexec_b64 s[8:9], s[12:13]
; %bb.3490:
	s_mov_b32 s10, 0x7f800001
	s_xor_b64 s[4:5], exec, -1
; %bb.3491:
	s_or_b64 exec, exec, s[8:9]
	s_and_b64 s[4:5], s[4:5], exec
	s_or_saveexec_b64 s[6:7], s[6:7]
	v_mov_b32_e32 v2, s10
	s_xor_b64 exec, exec, s[6:7]
	s_cbranch_execz .LBB40_1442
.LBB40_3492:
	v_mov_b32_e32 v2, 0
	v_cmp_ne_u16_sdwa s[8:9], v7, v2 src0_sel:BYTE_0 src1_sel:DWORD
	s_andn2_b64 s[4:5], s[4:5], exec
	s_and_b64 s[8:9], s[8:9], exec
	s_or_b64 s[4:5], s[4:5], s[8:9]
	s_or_b64 exec, exec, s[6:7]
	s_and_saveexec_b64 s[6:7], s[4:5]
	s_cbranch_execnz .LBB40_1443
	s_branch .LBB40_1444
.LBB40_3493:
	s_movk_i32 s4, 0x80
	v_cmp_eq_u16_sdwa s[12:13], v3, s4 src0_sel:BYTE_0 src1_sel:DWORD
	s_mov_b64 s[4:5], -1
                                        ; implicit-def: $sgpr10
	s_and_saveexec_b64 s[8:9], s[12:13]
; %bb.3494:
	s_mov_b32 s10, 0x7f800001
	s_xor_b64 s[4:5], exec, -1
; %bb.3495:
	s_or_b64 exec, exec, s[8:9]
	s_and_b64 s[4:5], s[4:5], exec
	s_or_saveexec_b64 s[6:7], s[6:7]
	v_mov_b32_e32 v6, s10
	s_xor_b64 exec, exec, s[6:7]
	s_cbranch_execz .LBB40_1446
.LBB40_3496:
	v_mov_b32_e32 v6, 0
	v_cmp_ne_u16_sdwa s[8:9], v3, v6 src0_sel:BYTE_0 src1_sel:DWORD
	s_andn2_b64 s[4:5], s[4:5], exec
	s_and_b64 s[8:9], s[8:9], exec
	s_or_b64 s[4:5], s[4:5], s[8:9]
	s_or_b64 exec, exec, s[6:7]
	s_and_saveexec_b64 s[6:7], s[4:5]
	s_cbranch_execnz .LBB40_1447
	s_branch .LBB40_1448
.LBB40_3497:
	s_movk_i32 s4, 0x80
	v_cmp_eq_u16_sdwa s[12:13], v6, s4 src0_sel:BYTE_0 src1_sel:DWORD
	s_mov_b64 s[4:5], -1
                                        ; implicit-def: $sgpr10
	s_and_saveexec_b64 s[8:9], s[12:13]
; %bb.3498:
	s_mov_b32 s10, 0x7f800001
	s_xor_b64 s[4:5], exec, -1
; %bb.3499:
	s_or_b64 exec, exec, s[8:9]
	s_and_b64 s[4:5], s[4:5], exec
	s_or_saveexec_b64 s[6:7], s[6:7]
	v_mov_b32_e32 v2, s10
	s_xor_b64 exec, exec, s[6:7]
	s_cbranch_execz .LBB40_1450
.LBB40_3500:
	v_mov_b32_e32 v2, 0
	v_cmp_ne_u16_sdwa s[8:9], v6, v2 src0_sel:BYTE_0 src1_sel:DWORD
	s_andn2_b64 s[4:5], s[4:5], exec
	s_and_b64 s[8:9], s[8:9], exec
	s_or_b64 s[4:5], s[4:5], s[8:9]
	s_or_b64 exec, exec, s[6:7]
	s_and_saveexec_b64 s[6:7], s[4:5]
	s_cbranch_execnz .LBB40_1451
	s_branch .LBB40_1452
.LBB40_3501:
	s_movk_i32 s4, 0x80
	v_cmp_eq_u16_sdwa s[12:13], v6, s4 src0_sel:BYTE_0 src1_sel:DWORD
	s_mov_b64 s[4:5], -1
                                        ; implicit-def: $sgpr10
	s_and_saveexec_b64 s[8:9], s[12:13]
; %bb.3502:
	s_mov_b32 s10, 0x7f800001
	s_xor_b64 s[4:5], exec, -1
; %bb.3503:
	s_or_b64 exec, exec, s[8:9]
	s_and_b64 s[4:5], s[4:5], exec
	s_or_saveexec_b64 s[6:7], s[6:7]
	v_mov_b32_e32 v10, s10
	s_xor_b64 exec, exec, s[6:7]
	s_cbranch_execz .LBB40_1454
.LBB40_3504:
	v_mov_b32_e32 v10, 0
	v_cmp_ne_u16_sdwa s[8:9], v6, v10 src0_sel:BYTE_0 src1_sel:DWORD
	s_andn2_b64 s[4:5], s[4:5], exec
	s_and_b64 s[8:9], s[8:9], exec
	s_or_b64 s[4:5], s[4:5], s[8:9]
	s_or_b64 exec, exec, s[6:7]
	s_and_saveexec_b64 s[6:7], s[4:5]
	s_cbranch_execnz .LBB40_1455
	s_branch .LBB40_1456
.LBB40_3505:
	s_movk_i32 s4, 0x80
	v_cmp_eq_u16_e32 vcc, s4, v6
	s_mov_b64 s[4:5], -1
                                        ; implicit-def: $sgpr10
	s_and_saveexec_b64 s[8:9], vcc
; %bb.3506:
	s_mov_b32 s10, 0x7f800001
	s_xor_b64 s[4:5], exec, -1
; %bb.3507:
	s_or_b64 exec, exec, s[8:9]
	s_and_b64 s[4:5], s[4:5], exec
                                        ; implicit-def: $vgpr6
	s_or_saveexec_b64 s[6:7], s[6:7]
	v_mov_b32_e32 v2, s10
	s_xor_b64 exec, exec, s[6:7]
	s_cbranch_execz .LBB40_1458
.LBB40_3508:
	v_cmp_ne_u16_e32 vcc, 0, v6
	s_andn2_b64 s[4:5], s[4:5], exec
	s_and_b64 s[8:9], vcc, exec
	v_mov_b32_e32 v2, 0
	s_or_b64 s[4:5], s[4:5], s[8:9]
	s_or_b64 exec, exec, s[6:7]
	s_and_saveexec_b64 s[6:7], s[4:5]
	s_cbranch_execnz .LBB40_1459
	s_branch .LBB40_1460
.LBB40_3509:
	s_movk_i32 s4, 0x80
	v_cmp_eq_u16_e32 vcc, s4, v6
	s_mov_b64 s[4:5], -1
                                        ; implicit-def: $sgpr10
	s_and_saveexec_b64 s[8:9], vcc
; %bb.3510:
	s_mov_b32 s10, 0x7f800001
	s_xor_b64 s[4:5], exec, -1
; %bb.3511:
	s_or_b64 exec, exec, s[8:9]
	s_and_b64 s[4:5], s[4:5], exec
                                        ; implicit-def: $vgpr6
	s_or_saveexec_b64 s[6:7], s[6:7]
	v_mov_b32_e32 v10, s10
	s_xor_b64 exec, exec, s[6:7]
	s_cbranch_execz .LBB40_1462
.LBB40_3512:
	v_cmp_ne_u16_e32 vcc, 0, v6
	s_andn2_b64 s[4:5], s[4:5], exec
	s_and_b64 s[8:9], vcc, exec
	v_mov_b32_e32 v10, 0
	s_or_b64 s[4:5], s[4:5], s[8:9]
	s_or_b64 exec, exec, s[6:7]
	s_and_saveexec_b64 s[6:7], s[4:5]
	s_cbranch_execnz .LBB40_1463
	s_branch .LBB40_1464
.LBB40_3513:
	s_movk_i32 s4, 0x80
	v_cmp_eq_u16_sdwa s[12:13], v7, s4 src0_sel:BYTE_3 src1_sel:DWORD
	s_mov_b64 s[4:5], -1
                                        ; implicit-def: $sgpr10
	s_and_saveexec_b64 s[8:9], s[12:13]
; %bb.3514:
	s_mov_b32 s10, 0x7f800001
	s_xor_b64 s[4:5], exec, -1
; %bb.3515:
	s_or_b64 exec, exec, s[8:9]
	s_and_b64 s[4:5], s[4:5], exec
	s_or_saveexec_b64 s[6:7], s[6:7]
	v_mov_b32_e32 v2, s10
	s_xor_b64 exec, exec, s[6:7]
	s_cbranch_execz .LBB40_1466
.LBB40_3516:
	v_mov_b32_e32 v2, 0
	v_cmp_ne_u16_sdwa s[8:9], v7, v2 src0_sel:BYTE_3 src1_sel:DWORD
	s_andn2_b64 s[4:5], s[4:5], exec
	s_and_b64 s[8:9], s[8:9], exec
	s_or_b64 s[4:5], s[4:5], s[8:9]
	s_or_b64 exec, exec, s[6:7]
	s_and_saveexec_b64 s[6:7], s[4:5]
	s_cbranch_execnz .LBB40_1467
	s_branch .LBB40_1468
.LBB40_3517:
	s_movk_i32 s4, 0x80
	v_cmp_eq_u16_sdwa s[12:13], v3, s4 src0_sel:BYTE_3 src1_sel:DWORD
	s_mov_b64 s[4:5], -1
                                        ; implicit-def: $sgpr10
	s_and_saveexec_b64 s[8:9], s[12:13]
; %bb.3518:
	s_mov_b32 s10, 0x7f800001
	s_xor_b64 s[4:5], exec, -1
; %bb.3519:
	s_or_b64 exec, exec, s[8:9]
	s_and_b64 s[4:5], s[4:5], exec
	s_or_saveexec_b64 s[6:7], s[6:7]
	v_mov_b32_e32 v6, s10
	s_xor_b64 exec, exec, s[6:7]
	s_cbranch_execz .LBB40_1470
.LBB40_3520:
	v_mov_b32_e32 v6, 0
	v_cmp_ne_u16_sdwa s[8:9], v3, v6 src0_sel:BYTE_3 src1_sel:DWORD
	s_andn2_b64 s[4:5], s[4:5], exec
	s_and_b64 s[8:9], s[8:9], exec
	s_or_b64 s[4:5], s[4:5], s[8:9]
	s_or_b64 exec, exec, s[6:7]
	s_and_saveexec_b64 s[6:7], s[4:5]
	s_cbranch_execnz .LBB40_1471
	s_branch .LBB40_1472
.LBB40_3521:
	s_movk_i32 s4, 0x80
	v_cmp_eq_u16_sdwa s[12:13], v8, s4 src0_sel:BYTE_0 src1_sel:DWORD
	s_mov_b64 s[4:5], -1
                                        ; implicit-def: $sgpr10
	s_and_saveexec_b64 s[8:9], s[12:13]
; %bb.3522:
	s_mov_b32 s10, 0x7f800001
	s_xor_b64 s[4:5], exec, -1
; %bb.3523:
	s_or_b64 exec, exec, s[8:9]
	s_and_b64 s[4:5], s[4:5], exec
	s_or_saveexec_b64 s[6:7], s[6:7]
	v_mov_b32_e32 v2, s10
	s_xor_b64 exec, exec, s[6:7]
	s_cbranch_execz .LBB40_1474
.LBB40_3524:
	v_mov_b32_e32 v2, 0
	v_cmp_ne_u16_sdwa s[8:9], v8, v2 src0_sel:BYTE_0 src1_sel:DWORD
	s_andn2_b64 s[4:5], s[4:5], exec
	s_and_b64 s[8:9], s[8:9], exec
	s_or_b64 s[4:5], s[4:5], s[8:9]
	s_or_b64 exec, exec, s[6:7]
	s_and_saveexec_b64 s[6:7], s[4:5]
	s_cbranch_execnz .LBB40_1475
	s_branch .LBB40_1476
.LBB40_3525:
	s_movk_i32 s4, 0x80
	v_cmp_eq_u16_sdwa s[12:13], v4, s4 src0_sel:BYTE_0 src1_sel:DWORD
	s_mov_b64 s[4:5], -1
                                        ; implicit-def: $sgpr10
	s_and_saveexec_b64 s[8:9], s[12:13]
; %bb.3526:
	s_mov_b32 s10, 0x7f800001
	s_xor_b64 s[4:5], exec, -1
; %bb.3527:
	s_or_b64 exec, exec, s[8:9]
	s_and_b64 s[4:5], s[4:5], exec
	s_or_saveexec_b64 s[6:7], s[6:7]
	v_mov_b32_e32 v3, s10
	s_xor_b64 exec, exec, s[6:7]
	s_cbranch_execz .LBB40_1478
.LBB40_3528:
	v_mov_b32_e32 v3, 0
	v_cmp_ne_u16_sdwa s[8:9], v4, v3 src0_sel:BYTE_0 src1_sel:DWORD
	s_andn2_b64 s[4:5], s[4:5], exec
	s_and_b64 s[8:9], s[8:9], exec
	s_or_b64 s[4:5], s[4:5], s[8:9]
	s_or_b64 exec, exec, s[6:7]
	s_and_saveexec_b64 s[6:7], s[4:5]
	s_cbranch_execnz .LBB40_1479
	s_branch .LBB40_1480
.LBB40_3529:
	s_movk_i32 s4, 0x80
	v_cmp_eq_u16_sdwa s[12:13], v3, s4 src0_sel:BYTE_0 src1_sel:DWORD
	s_mov_b64 s[4:5], -1
                                        ; implicit-def: $sgpr10
	s_and_saveexec_b64 s[8:9], s[12:13]
; %bb.3530:
	s_mov_b32 s10, 0x7f800001
	s_xor_b64 s[4:5], exec, -1
; %bb.3531:
	s_or_b64 exec, exec, s[8:9]
	s_and_b64 s[4:5], s[4:5], exec
	s_or_saveexec_b64 s[6:7], s[6:7]
	v_mov_b32_e32 v2, s10
	s_xor_b64 exec, exec, s[6:7]
	s_cbranch_execz .LBB40_1482
.LBB40_3532:
	v_mov_b32_e32 v2, 0
	v_cmp_ne_u16_sdwa s[8:9], v3, v2 src0_sel:BYTE_0 src1_sel:DWORD
	s_andn2_b64 s[4:5], s[4:5], exec
	s_and_b64 s[8:9], s[8:9], exec
	s_or_b64 s[4:5], s[4:5], s[8:9]
	s_or_b64 exec, exec, s[6:7]
	s_and_saveexec_b64 s[6:7], s[4:5]
	s_cbranch_execnz .LBB40_1483
	s_branch .LBB40_1484
.LBB40_3533:
	s_movk_i32 s4, 0x80
	v_cmp_eq_u16_sdwa s[12:13], v3, s4 src0_sel:BYTE_0 src1_sel:DWORD
	s_mov_b64 s[4:5], -1
                                        ; implicit-def: $sgpr10
	s_and_saveexec_b64 s[8:9], s[12:13]
; %bb.3534:
	s_mov_b32 s10, 0x7f800001
	s_xor_b64 s[4:5], exec, -1
; %bb.3535:
	s_or_b64 exec, exec, s[8:9]
	s_and_b64 s[4:5], s[4:5], exec
	s_or_saveexec_b64 s[6:7], s[6:7]
	v_mov_b32_e32 v6, s10
	s_xor_b64 exec, exec, s[6:7]
	s_cbranch_execz .LBB40_1486
.LBB40_3536:
	v_mov_b32_e32 v6, 0
	v_cmp_ne_u16_sdwa s[8:9], v3, v6 src0_sel:BYTE_0 src1_sel:DWORD
	s_andn2_b64 s[4:5], s[4:5], exec
	s_and_b64 s[8:9], s[8:9], exec
	s_or_b64 s[4:5], s[4:5], s[8:9]
	s_or_b64 exec, exec, s[6:7]
	s_and_saveexec_b64 s[6:7], s[4:5]
	s_cbranch_execnz .LBB40_1487
	s_branch .LBB40_1488
.LBB40_3537:
	s_movk_i32 s4, 0x80
	v_cmp_eq_u16_e32 vcc, s4, v3
	s_mov_b64 s[4:5], -1
                                        ; implicit-def: $sgpr10
	s_and_saveexec_b64 s[8:9], vcc
; %bb.3538:
	s_mov_b32 s10, 0x7f800001
	s_xor_b64 s[4:5], exec, -1
; %bb.3539:
	s_or_b64 exec, exec, s[8:9]
	s_and_b64 s[4:5], s[4:5], exec
                                        ; implicit-def: $vgpr3
	s_or_saveexec_b64 s[6:7], s[6:7]
	v_mov_b32_e32 v2, s10
	s_xor_b64 exec, exec, s[6:7]
	s_cbranch_execz .LBB40_1490
.LBB40_3540:
	v_cmp_ne_u16_e32 vcc, 0, v3
	s_andn2_b64 s[4:5], s[4:5], exec
	s_and_b64 s[8:9], vcc, exec
	v_mov_b32_e32 v2, 0
	s_or_b64 s[4:5], s[4:5], s[8:9]
	s_or_b64 exec, exec, s[6:7]
	s_and_saveexec_b64 s[6:7], s[4:5]
	s_cbranch_execnz .LBB40_1491
	s_branch .LBB40_1492
.LBB40_3541:
	s_movk_i32 s4, 0x80
	v_cmp_eq_u16_e32 vcc, s4, v3
	s_mov_b64 s[4:5], -1
                                        ; implicit-def: $sgpr10
	s_and_saveexec_b64 s[8:9], vcc
; %bb.3542:
	s_mov_b32 s10, 0x7f800001
	s_xor_b64 s[4:5], exec, -1
; %bb.3543:
	s_or_b64 exec, exec, s[8:9]
	s_and_b64 s[4:5], s[4:5], exec
                                        ; implicit-def: $vgpr3
	s_or_saveexec_b64 s[6:7], s[6:7]
	v_mov_b32_e32 v6, s10
	s_xor_b64 exec, exec, s[6:7]
	s_cbranch_execz .LBB40_1494
.LBB40_3544:
	v_cmp_ne_u16_e32 vcc, 0, v3
	s_andn2_b64 s[4:5], s[4:5], exec
	s_and_b64 s[8:9], vcc, exec
	v_mov_b32_e32 v6, 0
	s_or_b64 s[4:5], s[4:5], s[8:9]
	s_or_b64 exec, exec, s[6:7]
	s_and_saveexec_b64 s[6:7], s[4:5]
	s_cbranch_execnz .LBB40_1495
	s_branch .LBB40_1496
.LBB40_3545:
	s_movk_i32 s4, 0x80
	v_cmp_eq_u16_sdwa s[12:13], v8, s4 src0_sel:BYTE_3 src1_sel:DWORD
	s_mov_b64 s[4:5], -1
                                        ; implicit-def: $sgpr10
	s_and_saveexec_b64 s[8:9], s[12:13]
; %bb.3546:
	s_mov_b32 s10, 0x7f800001
	s_xor_b64 s[4:5], exec, -1
; %bb.3547:
	s_or_b64 exec, exec, s[8:9]
	s_and_b64 s[4:5], s[4:5], exec
	s_or_saveexec_b64 s[6:7], s[6:7]
	v_mov_b32_e32 v2, s10
	s_xor_b64 exec, exec, s[6:7]
	s_cbranch_execz .LBB40_1498
.LBB40_3548:
	v_mov_b32_e32 v2, 0
	v_cmp_ne_u16_sdwa s[8:9], v8, v2 src0_sel:BYTE_3 src1_sel:DWORD
	s_andn2_b64 s[4:5], s[4:5], exec
	s_and_b64 s[8:9], s[8:9], exec
	s_or_b64 s[4:5], s[4:5], s[8:9]
	s_or_b64 exec, exec, s[6:7]
	s_and_saveexec_b64 s[6:7], s[4:5]
	s_cbranch_execnz .LBB40_1499
	s_branch .LBB40_1500
.LBB40_3549:
	s_movk_i32 s4, 0x80
	v_cmp_eq_u16_sdwa s[12:13], v4, s4 src0_sel:BYTE_3 src1_sel:DWORD
	s_mov_b64 s[4:5], -1
                                        ; implicit-def: $sgpr10
	s_and_saveexec_b64 s[8:9], s[12:13]
; %bb.3550:
	s_mov_b32 s10, 0x7f800001
	s_xor_b64 s[4:5], exec, -1
; %bb.3551:
	s_or_b64 exec, exec, s[8:9]
	s_and_b64 s[4:5], s[4:5], exec
	s_or_saveexec_b64 s[6:7], s[6:7]
	v_mov_b32_e32 v3, s10
	s_xor_b64 exec, exec, s[6:7]
	s_cbranch_execz .LBB40_1502
.LBB40_3552:
	v_mov_b32_e32 v3, 0
	v_cmp_ne_u16_sdwa s[8:9], v4, v3 src0_sel:BYTE_3 src1_sel:DWORD
	s_andn2_b64 s[4:5], s[4:5], exec
	s_and_b64 s[8:9], s[8:9], exec
	s_or_b64 s[4:5], s[4:5], s[8:9]
	s_or_b64 exec, exec, s[6:7]
	s_and_saveexec_b64 s[6:7], s[4:5]
	s_cbranch_execnz .LBB40_1503
	s_branch .LBB40_1504
.LBB40_3553:
	s_movk_i32 s4, 0x80
	v_cmp_eq_u16_sdwa s[12:13], v9, s4 src0_sel:BYTE_0 src1_sel:DWORD
	s_mov_b64 s[4:5], -1
                                        ; implicit-def: $sgpr10
	s_and_saveexec_b64 s[8:9], s[12:13]
; %bb.3554:
	s_mov_b32 s10, 0x7f800001
	s_xor_b64 s[4:5], exec, -1
; %bb.3555:
	s_or_b64 exec, exec, s[8:9]
	s_and_b64 s[4:5], s[4:5], exec
	s_or_saveexec_b64 s[6:7], s[6:7]
	v_mov_b32_e32 v2, s10
	s_xor_b64 exec, exec, s[6:7]
	s_cbranch_execz .LBB40_1506
.LBB40_3556:
	v_mov_b32_e32 v2, 0
	v_cmp_ne_u16_sdwa s[8:9], v9, v2 src0_sel:BYTE_0 src1_sel:DWORD
	s_andn2_b64 s[4:5], s[4:5], exec
	s_and_b64 s[8:9], s[8:9], exec
	s_or_b64 s[4:5], s[4:5], s[8:9]
	s_or_b64 exec, exec, s[6:7]
	s_and_saveexec_b64 s[6:7], s[4:5]
	s_cbranch_execnz .LBB40_1507
	s_branch .LBB40_1508
.LBB40_3557:
	s_movk_i32 s4, 0x80
	v_cmp_eq_u16_sdwa s[12:13], v5, s4 src0_sel:BYTE_0 src1_sel:DWORD
	s_mov_b64 s[4:5], -1
                                        ; implicit-def: $sgpr10
	s_and_saveexec_b64 s[8:9], s[12:13]
; %bb.3558:
	s_mov_b32 s10, 0x7f800001
	s_xor_b64 s[4:5], exec, -1
; %bb.3559:
	s_or_b64 exec, exec, s[8:9]
	s_and_b64 s[4:5], s[4:5], exec
	s_or_saveexec_b64 s[6:7], s[6:7]
	v_mov_b32_e32 v3, s10
	s_xor_b64 exec, exec, s[6:7]
	s_cbranch_execz .LBB40_1510
.LBB40_3560:
	v_mov_b32_e32 v3, 0
	v_cmp_ne_u16_sdwa s[8:9], v5, v3 src0_sel:BYTE_0 src1_sel:DWORD
	s_andn2_b64 s[4:5], s[4:5], exec
	s_and_b64 s[8:9], s[8:9], exec
	s_or_b64 s[4:5], s[4:5], s[8:9]
	s_or_b64 exec, exec, s[6:7]
	s_and_saveexec_b64 s[6:7], s[4:5]
	s_cbranch_execnz .LBB40_1511
	s_branch .LBB40_1512
.LBB40_3561:
	s_movk_i32 s4, 0x80
	v_cmp_eq_u16_sdwa s[12:13], v3, s4 src0_sel:BYTE_0 src1_sel:DWORD
	s_mov_b64 s[4:5], -1
                                        ; implicit-def: $sgpr10
	s_and_saveexec_b64 s[8:9], s[12:13]
; %bb.3562:
	s_mov_b32 s10, 0x7f800001
	s_xor_b64 s[4:5], exec, -1
; %bb.3563:
	s_or_b64 exec, exec, s[8:9]
	s_and_b64 s[4:5], s[4:5], exec
	s_or_saveexec_b64 s[6:7], s[6:7]
	v_mov_b32_e32 v2, s10
	s_xor_b64 exec, exec, s[6:7]
	s_cbranch_execz .LBB40_1514
.LBB40_3564:
	v_mov_b32_e32 v2, 0
	v_cmp_ne_u16_sdwa s[8:9], v3, v2 src0_sel:BYTE_0 src1_sel:DWORD
	s_andn2_b64 s[4:5], s[4:5], exec
	s_and_b64 s[8:9], s[8:9], exec
	s_or_b64 s[4:5], s[4:5], s[8:9]
	s_or_b64 exec, exec, s[6:7]
	s_and_saveexec_b64 s[6:7], s[4:5]
	s_cbranch_execnz .LBB40_1515
	s_branch .LBB40_1516
.LBB40_3565:
	s_movk_i32 s4, 0x80
	v_cmp_eq_u16_sdwa s[12:13], v3, s4 src0_sel:BYTE_0 src1_sel:DWORD
	s_mov_b64 s[4:5], -1
                                        ; implicit-def: $sgpr10
	s_and_saveexec_b64 s[8:9], s[12:13]
; %bb.3566:
	s_mov_b32 s10, 0x7f800001
	s_xor_b64 s[4:5], exec, -1
; %bb.3567:
	s_or_b64 exec, exec, s[8:9]
	s_and_b64 s[4:5], s[4:5], exec
	s_or_saveexec_b64 s[6:7], s[6:7]
	v_mov_b32_e32 v4, s10
	s_xor_b64 exec, exec, s[6:7]
	s_cbranch_execz .LBB40_1518
.LBB40_3568:
	v_mov_b32_e32 v4, 0
	v_cmp_ne_u16_sdwa s[8:9], v3, v4 src0_sel:BYTE_0 src1_sel:DWORD
	s_andn2_b64 s[4:5], s[4:5], exec
	s_and_b64 s[8:9], s[8:9], exec
	s_or_b64 s[4:5], s[4:5], s[8:9]
	s_or_b64 exec, exec, s[6:7]
	s_and_saveexec_b64 s[6:7], s[4:5]
	s_cbranch_execnz .LBB40_1519
	s_branch .LBB40_1520
.LBB40_3569:
	s_movk_i32 s4, 0x80
	v_cmp_eq_u16_e32 vcc, s4, v3
	s_mov_b64 s[4:5], -1
                                        ; implicit-def: $sgpr10
	s_and_saveexec_b64 s[8:9], vcc
; %bb.3570:
	s_mov_b32 s10, 0x7f800001
	s_xor_b64 s[4:5], exec, -1
; %bb.3571:
	s_or_b64 exec, exec, s[8:9]
	s_and_b64 s[4:5], s[4:5], exec
                                        ; implicit-def: $vgpr3
	s_or_saveexec_b64 s[6:7], s[6:7]
	v_mov_b32_e32 v2, s10
	s_xor_b64 exec, exec, s[6:7]
	s_cbranch_execz .LBB40_1522
.LBB40_3572:
	v_cmp_ne_u16_e32 vcc, 0, v3
	s_andn2_b64 s[4:5], s[4:5], exec
	s_and_b64 s[8:9], vcc, exec
	v_mov_b32_e32 v2, 0
	s_or_b64 s[4:5], s[4:5], s[8:9]
	s_or_b64 exec, exec, s[6:7]
	s_and_saveexec_b64 s[6:7], s[4:5]
	s_cbranch_execnz .LBB40_1523
	s_branch .LBB40_1524
.LBB40_3573:
	s_movk_i32 s4, 0x80
	v_cmp_eq_u16_e32 vcc, s4, v3
	s_mov_b64 s[4:5], -1
                                        ; implicit-def: $sgpr10
	s_and_saveexec_b64 s[8:9], vcc
; %bb.3574:
	s_mov_b32 s10, 0x7f800001
	s_xor_b64 s[4:5], exec, -1
; %bb.3575:
	s_or_b64 exec, exec, s[8:9]
	s_and_b64 s[4:5], s[4:5], exec
                                        ; implicit-def: $vgpr3
	s_or_saveexec_b64 s[6:7], s[6:7]
	v_mov_b32_e32 v4, s10
	s_xor_b64 exec, exec, s[6:7]
	s_cbranch_execz .LBB40_1526
.LBB40_3576:
	v_cmp_ne_u16_e32 vcc, 0, v3
	s_andn2_b64 s[4:5], s[4:5], exec
	s_and_b64 s[8:9], vcc, exec
	v_mov_b32_e32 v4, 0
	s_or_b64 s[4:5], s[4:5], s[8:9]
	s_or_b64 exec, exec, s[6:7]
	s_and_saveexec_b64 s[6:7], s[4:5]
	s_cbranch_execnz .LBB40_1527
	s_branch .LBB40_1528
.LBB40_3577:
	s_movk_i32 s4, 0x80
	v_cmp_eq_u16_sdwa s[12:13], v9, s4 src0_sel:BYTE_3 src1_sel:DWORD
	s_mov_b64 s[4:5], -1
                                        ; implicit-def: $sgpr10
	s_and_saveexec_b64 s[8:9], s[12:13]
; %bb.3578:
	s_mov_b32 s10, 0x7f800001
	s_xor_b64 s[4:5], exec, -1
; %bb.3579:
	s_or_b64 exec, exec, s[8:9]
	s_and_b64 s[4:5], s[4:5], exec
	s_or_saveexec_b64 s[6:7], s[6:7]
	v_mov_b32_e32 v2, s10
	s_xor_b64 exec, exec, s[6:7]
	s_cbranch_execz .LBB40_1530
.LBB40_3580:
	v_mov_b32_e32 v2, 0
	v_cmp_ne_u16_sdwa s[8:9], v9, v2 src0_sel:BYTE_3 src1_sel:DWORD
	s_andn2_b64 s[4:5], s[4:5], exec
	s_and_b64 s[8:9], s[8:9], exec
	s_or_b64 s[4:5], s[4:5], s[8:9]
	s_or_b64 exec, exec, s[6:7]
	s_and_saveexec_b64 s[6:7], s[4:5]
	s_cbranch_execnz .LBB40_1531
	s_branch .LBB40_1532
.LBB40_3581:
	s_movk_i32 s4, 0x80
	v_cmp_eq_u16_sdwa s[12:13], v5, s4 src0_sel:BYTE_3 src1_sel:DWORD
	s_mov_b64 s[4:5], -1
                                        ; implicit-def: $sgpr10
	s_and_saveexec_b64 s[8:9], s[12:13]
; %bb.3582:
	s_mov_b32 s10, 0x7f800001
	s_xor_b64 s[4:5], exec, -1
; %bb.3583:
	s_or_b64 exec, exec, s[8:9]
	s_and_b64 s[4:5], s[4:5], exec
	s_or_saveexec_b64 s[6:7], s[6:7]
	v_mov_b32_e32 v3, s10
	s_xor_b64 exec, exec, s[6:7]
	s_cbranch_execz .LBB40_1534
.LBB40_3584:
	v_mov_b32_e32 v3, 0
	v_cmp_ne_u16_sdwa s[8:9], v5, v3 src0_sel:BYTE_3 src1_sel:DWORD
	s_andn2_b64 s[4:5], s[4:5], exec
	s_and_b64 s[8:9], s[8:9], exec
	s_or_b64 s[4:5], s[4:5], s[8:9]
	s_or_b64 exec, exec, s[6:7]
	s_and_saveexec_b64 s[6:7], s[4:5]
	s_cbranch_execnz .LBB40_1535
	s_branch .LBB40_1536
.LBB40_3585:
	s_movk_i32 s4, 0x80
	v_cmp_eq_u16_sdwa s[12:13], v14, s4 src0_sel:BYTE_0 src1_sel:DWORD
	s_mov_b64 s[4:5], -1
                                        ; implicit-def: $sgpr10
	s_and_saveexec_b64 s[8:9], s[12:13]
; %bb.3586:
	s_mov_b32 s10, 0x7f800001
	s_xor_b64 s[4:5], exec, -1
; %bb.3587:
	s_or_b64 exec, exec, s[8:9]
	s_and_b64 s[4:5], s[4:5], exec
	s_or_saveexec_b64 s[6:7], s[6:7]
	v_mov_b32_e32 v20, s10
	s_xor_b64 exec, exec, s[6:7]
	s_cbranch_execz .LBB40_1538
.LBB40_3588:
	v_mov_b32_e32 v20, 0
	v_cmp_ne_u16_sdwa s[8:9], v14, v20 src0_sel:BYTE_0 src1_sel:DWORD
	s_andn2_b64 s[4:5], s[4:5], exec
	s_and_b64 s[8:9], s[8:9], exec
	s_or_b64 s[4:5], s[4:5], s[8:9]
	s_or_b64 exec, exec, s[6:7]
	s_and_saveexec_b64 s[6:7], s[4:5]
	s_cbranch_execnz .LBB40_1539
	s_branch .LBB40_1540
.LBB40_3589:
	s_movk_i32 s4, 0x80
	v_cmp_eq_u16_sdwa s[12:13], v10, s4 src0_sel:BYTE_0 src1_sel:DWORD
	s_mov_b64 s[4:5], -1
                                        ; implicit-def: $sgpr10
	s_and_saveexec_b64 s[8:9], s[12:13]
; %bb.3590:
	s_mov_b32 s10, 0x7f800001
	s_xor_b64 s[4:5], exec, -1
; %bb.3591:
	s_or_b64 exec, exec, s[8:9]
	s_and_b64 s[4:5], s[4:5], exec
	s_or_saveexec_b64 s[6:7], s[6:7]
	v_mov_b32_e32 v21, s10
	s_xor_b64 exec, exec, s[6:7]
	s_cbranch_execz .LBB40_1542
.LBB40_3592:
	v_mov_b32_e32 v21, 0
	v_cmp_ne_u16_sdwa s[8:9], v10, v21 src0_sel:BYTE_0 src1_sel:DWORD
	s_andn2_b64 s[4:5], s[4:5], exec
	s_and_b64 s[8:9], s[8:9], exec
	s_or_b64 s[4:5], s[4:5], s[8:9]
	s_or_b64 exec, exec, s[6:7]
	s_and_saveexec_b64 s[6:7], s[4:5]
	s_cbranch_execnz .LBB40_1543
	s_branch .LBB40_1544
.LBB40_3593:
	s_movk_i32 s4, 0x80
	v_cmp_eq_u16_sdwa s[12:13], v21, s4 src0_sel:BYTE_0 src1_sel:DWORD
	s_mov_b64 s[4:5], -1
                                        ; implicit-def: $sgpr10
	s_and_saveexec_b64 s[8:9], s[12:13]
; %bb.3594:
	s_mov_b32 s10, 0x7f800001
	s_xor_b64 s[4:5], exec, -1
; %bb.3595:
	s_or_b64 exec, exec, s[8:9]
	s_and_b64 s[4:5], s[4:5], exec
	s_or_saveexec_b64 s[6:7], s[6:7]
	v_mov_b32_e32 v20, s10
	s_xor_b64 exec, exec, s[6:7]
	s_cbranch_execz .LBB40_1546
.LBB40_3596:
	v_mov_b32_e32 v20, 0
	v_cmp_ne_u16_sdwa s[8:9], v21, v20 src0_sel:BYTE_0 src1_sel:DWORD
	s_andn2_b64 s[4:5], s[4:5], exec
	s_and_b64 s[8:9], s[8:9], exec
	s_or_b64 s[4:5], s[4:5], s[8:9]
	s_or_b64 exec, exec, s[6:7]
	s_and_saveexec_b64 s[6:7], s[4:5]
	s_cbranch_execnz .LBB40_1547
	s_branch .LBB40_1548
.LBB40_3597:
	s_movk_i32 s4, 0x80
	v_cmp_eq_u16_sdwa s[12:13], v21, s4 src0_sel:BYTE_0 src1_sel:DWORD
	s_mov_b64 s[4:5], -1
                                        ; implicit-def: $sgpr10
	s_and_saveexec_b64 s[8:9], s[12:13]
; %bb.3598:
	s_mov_b32 s10, 0x7f800001
	s_xor_b64 s[4:5], exec, -1
; %bb.3599:
	s_or_b64 exec, exec, s[8:9]
	s_and_b64 s[4:5], s[4:5], exec
	s_or_saveexec_b64 s[6:7], s[6:7]
	v_mov_b32_e32 v22, s10
	s_xor_b64 exec, exec, s[6:7]
	s_cbranch_execz .LBB40_1550
.LBB40_3600:
	v_mov_b32_e32 v22, 0
	v_cmp_ne_u16_sdwa s[8:9], v21, v22 src0_sel:BYTE_0 src1_sel:DWORD
	s_andn2_b64 s[4:5], s[4:5], exec
	s_and_b64 s[8:9], s[8:9], exec
	s_or_b64 s[4:5], s[4:5], s[8:9]
	s_or_b64 exec, exec, s[6:7]
	s_and_saveexec_b64 s[6:7], s[4:5]
	s_cbranch_execnz .LBB40_1551
	s_branch .LBB40_1552
.LBB40_3601:
	s_movk_i32 s4, 0x80
	v_cmp_eq_u16_e32 vcc, s4, v21
	s_mov_b64 s[4:5], -1
                                        ; implicit-def: $sgpr10
	s_and_saveexec_b64 s[8:9], vcc
; %bb.3602:
	s_mov_b32 s10, 0x7f800001
	s_xor_b64 s[4:5], exec, -1
; %bb.3603:
	s_or_b64 exec, exec, s[8:9]
	s_and_b64 s[4:5], s[4:5], exec
                                        ; implicit-def: $vgpr21
	s_or_saveexec_b64 s[6:7], s[6:7]
	v_mov_b32_e32 v20, s10
	s_xor_b64 exec, exec, s[6:7]
	s_cbranch_execz .LBB40_1554
.LBB40_3604:
	v_cmp_ne_u16_e32 vcc, 0, v21
	s_andn2_b64 s[4:5], s[4:5], exec
	s_and_b64 s[8:9], vcc, exec
	v_mov_b32_e32 v20, 0
	s_or_b64 s[4:5], s[4:5], s[8:9]
	s_or_b64 exec, exec, s[6:7]
	s_and_saveexec_b64 s[6:7], s[4:5]
	s_cbranch_execnz .LBB40_1555
	s_branch .LBB40_1556
.LBB40_3605:
	s_movk_i32 s4, 0x80
	v_cmp_eq_u16_e32 vcc, s4, v21
	s_mov_b64 s[4:5], -1
                                        ; implicit-def: $sgpr10
	s_and_saveexec_b64 s[8:9], vcc
; %bb.3606:
	s_mov_b32 s10, 0x7f800001
	s_xor_b64 s[4:5], exec, -1
; %bb.3607:
	s_or_b64 exec, exec, s[8:9]
	s_and_b64 s[4:5], s[4:5], exec
                                        ; implicit-def: $vgpr21
	s_or_saveexec_b64 s[6:7], s[6:7]
	v_mov_b32_e32 v22, s10
	s_xor_b64 exec, exec, s[6:7]
	s_cbranch_execz .LBB40_1558
.LBB40_3608:
	v_cmp_ne_u16_e32 vcc, 0, v21
	s_andn2_b64 s[4:5], s[4:5], exec
	s_and_b64 s[8:9], vcc, exec
	v_mov_b32_e32 v22, 0
	s_or_b64 s[4:5], s[4:5], s[8:9]
	s_or_b64 exec, exec, s[6:7]
	s_and_saveexec_b64 s[6:7], s[4:5]
	s_cbranch_execnz .LBB40_1559
	s_branch .LBB40_1560
.LBB40_3609:
	s_movk_i32 s4, 0x80
	v_cmp_eq_u16_sdwa s[12:13], v14, s4 src0_sel:BYTE_3 src1_sel:DWORD
	s_mov_b64 s[4:5], -1
                                        ; implicit-def: $sgpr10
	s_and_saveexec_b64 s[8:9], s[12:13]
; %bb.3610:
	s_mov_b32 s10, 0x7f800001
	s_xor_b64 s[4:5], exec, -1
; %bb.3611:
	s_or_b64 exec, exec, s[8:9]
	s_and_b64 s[4:5], s[4:5], exec
	s_or_saveexec_b64 s[6:7], s[6:7]
	v_mov_b32_e32 v20, s10
	s_xor_b64 exec, exec, s[6:7]
	s_cbranch_execz .LBB40_1562
.LBB40_3612:
	v_mov_b32_e32 v20, 0
	v_cmp_ne_u16_sdwa s[8:9], v14, v20 src0_sel:BYTE_3 src1_sel:DWORD
	s_andn2_b64 s[4:5], s[4:5], exec
	s_and_b64 s[8:9], s[8:9], exec
	s_or_b64 s[4:5], s[4:5], s[8:9]
	s_or_b64 exec, exec, s[6:7]
	s_and_saveexec_b64 s[6:7], s[4:5]
	s_cbranch_execnz .LBB40_1563
	s_branch .LBB40_1564
.LBB40_3613:
	s_movk_i32 s4, 0x80
	v_cmp_eq_u16_sdwa s[12:13], v10, s4 src0_sel:BYTE_3 src1_sel:DWORD
	s_mov_b64 s[4:5], -1
                                        ; implicit-def: $sgpr10
	s_and_saveexec_b64 s[8:9], s[12:13]
; %bb.3614:
	s_mov_b32 s10, 0x7f800001
	s_xor_b64 s[4:5], exec, -1
; %bb.3615:
	s_or_b64 exec, exec, s[8:9]
	s_and_b64 s[4:5], s[4:5], exec
	s_or_saveexec_b64 s[6:7], s[6:7]
	v_mov_b32_e32 v14, s10
	s_xor_b64 exec, exec, s[6:7]
	s_cbranch_execz .LBB40_1566
.LBB40_3616:
	v_mov_b32_e32 v14, 0
	v_cmp_ne_u16_sdwa s[8:9], v10, v14 src0_sel:BYTE_3 src1_sel:DWORD
	s_andn2_b64 s[4:5], s[4:5], exec
	s_and_b64 s[8:9], s[8:9], exec
	s_or_b64 s[4:5], s[4:5], s[8:9]
	s_or_b64 exec, exec, s[6:7]
	s_and_saveexec_b64 s[6:7], s[4:5]
	s_cbranch_execnz .LBB40_1567
	s_branch .LBB40_1568
.LBB40_3617:
	s_movk_i32 s4, 0x80
	v_cmp_eq_u16_sdwa s[12:13], v15, s4 src0_sel:BYTE_0 src1_sel:DWORD
	s_mov_b64 s[4:5], -1
                                        ; implicit-def: $sgpr10
	s_and_saveexec_b64 s[8:9], s[12:13]
; %bb.3618:
	s_mov_b32 s10, 0x7f800001
	s_xor_b64 s[4:5], exec, -1
; %bb.3619:
	s_or_b64 exec, exec, s[8:9]
	s_and_b64 s[4:5], s[4:5], exec
	s_or_saveexec_b64 s[6:7], s[6:7]
	v_mov_b32_e32 v10, s10
	s_xor_b64 exec, exec, s[6:7]
	s_cbranch_execz .LBB40_1570
.LBB40_3620:
	v_mov_b32_e32 v10, 0
	v_cmp_ne_u16_sdwa s[8:9], v15, v10 src0_sel:BYTE_0 src1_sel:DWORD
	s_andn2_b64 s[4:5], s[4:5], exec
	s_and_b64 s[8:9], s[8:9], exec
	s_or_b64 s[4:5], s[4:5], s[8:9]
	s_or_b64 exec, exec, s[6:7]
	s_and_saveexec_b64 s[6:7], s[4:5]
	s_cbranch_execnz .LBB40_1571
	s_branch .LBB40_1572
.LBB40_3621:
	s_movk_i32 s4, 0x80
	v_cmp_eq_u16_sdwa s[12:13], v11, s4 src0_sel:BYTE_0 src1_sel:DWORD
	s_mov_b64 s[4:5], -1
                                        ; implicit-def: $sgpr10
	s_and_saveexec_b64 s[8:9], s[12:13]
; %bb.3622:
	s_mov_b32 s10, 0x7f800001
	s_xor_b64 s[4:5], exec, -1
; %bb.3623:
	s_or_b64 exec, exec, s[8:9]
	s_and_b64 s[4:5], s[4:5], exec
	s_or_saveexec_b64 s[6:7], s[6:7]
	v_mov_b32_e32 v14, s10
	s_xor_b64 exec, exec, s[6:7]
	s_cbranch_execz .LBB40_1574
.LBB40_3624:
	v_mov_b32_e32 v14, 0
	v_cmp_ne_u16_sdwa s[8:9], v11, v14 src0_sel:BYTE_0 src1_sel:DWORD
	s_andn2_b64 s[4:5], s[4:5], exec
	s_and_b64 s[8:9], s[8:9], exec
	s_or_b64 s[4:5], s[4:5], s[8:9]
	s_or_b64 exec, exec, s[6:7]
	s_and_saveexec_b64 s[6:7], s[4:5]
	s_cbranch_execnz .LBB40_1575
	s_branch .LBB40_1576
.LBB40_3625:
	s_movk_i32 s4, 0x80
	v_cmp_eq_u16_sdwa s[12:13], v14, s4 src0_sel:BYTE_0 src1_sel:DWORD
	s_mov_b64 s[4:5], -1
                                        ; implicit-def: $sgpr10
	s_and_saveexec_b64 s[8:9], s[12:13]
; %bb.3626:
	s_mov_b32 s10, 0x7f800001
	s_xor_b64 s[4:5], exec, -1
; %bb.3627:
	s_or_b64 exec, exec, s[8:9]
	s_and_b64 s[4:5], s[4:5], exec
	s_or_saveexec_b64 s[6:7], s[6:7]
	v_mov_b32_e32 v10, s10
	s_xor_b64 exec, exec, s[6:7]
	s_cbranch_execz .LBB40_1578
.LBB40_3628:
	v_mov_b32_e32 v10, 0
	v_cmp_ne_u16_sdwa s[8:9], v14, v10 src0_sel:BYTE_0 src1_sel:DWORD
	s_andn2_b64 s[4:5], s[4:5], exec
	s_and_b64 s[8:9], s[8:9], exec
	s_or_b64 s[4:5], s[4:5], s[8:9]
	s_or_b64 exec, exec, s[6:7]
	s_and_saveexec_b64 s[6:7], s[4:5]
	s_cbranch_execnz .LBB40_1579
	s_branch .LBB40_1580
.LBB40_3629:
	s_movk_i32 s4, 0x80
	v_cmp_eq_u16_sdwa s[12:13], v14, s4 src0_sel:BYTE_0 src1_sel:DWORD
	s_mov_b64 s[4:5], -1
                                        ; implicit-def: $sgpr10
	s_and_saveexec_b64 s[8:9], s[12:13]
; %bb.3630:
	s_mov_b32 s10, 0x7f800001
	s_xor_b64 s[4:5], exec, -1
; %bb.3631:
	s_or_b64 exec, exec, s[8:9]
	s_and_b64 s[4:5], s[4:5], exec
	s_or_saveexec_b64 s[6:7], s[6:7]
	v_mov_b32_e32 v20, s10
	s_xor_b64 exec, exec, s[6:7]
	s_cbranch_execz .LBB40_1582
.LBB40_3632:
	v_mov_b32_e32 v20, 0
	v_cmp_ne_u16_sdwa s[8:9], v14, v20 src0_sel:BYTE_0 src1_sel:DWORD
	s_andn2_b64 s[4:5], s[4:5], exec
	s_and_b64 s[8:9], s[8:9], exec
	s_or_b64 s[4:5], s[4:5], s[8:9]
	s_or_b64 exec, exec, s[6:7]
	s_and_saveexec_b64 s[6:7], s[4:5]
	s_cbranch_execnz .LBB40_1583
	s_branch .LBB40_1584
.LBB40_3633:
	s_movk_i32 s4, 0x80
	v_cmp_eq_u16_e32 vcc, s4, v14
	s_mov_b64 s[4:5], -1
                                        ; implicit-def: $sgpr10
	s_and_saveexec_b64 s[8:9], vcc
; %bb.3634:
	s_mov_b32 s10, 0x7f800001
	s_xor_b64 s[4:5], exec, -1
; %bb.3635:
	s_or_b64 exec, exec, s[8:9]
	s_and_b64 s[4:5], s[4:5], exec
                                        ; implicit-def: $vgpr14
	s_or_saveexec_b64 s[6:7], s[6:7]
	v_mov_b32_e32 v10, s10
	s_xor_b64 exec, exec, s[6:7]
	s_cbranch_execz .LBB40_1586
.LBB40_3636:
	v_cmp_ne_u16_e32 vcc, 0, v14
	s_andn2_b64 s[4:5], s[4:5], exec
	s_and_b64 s[8:9], vcc, exec
	v_mov_b32_e32 v10, 0
	s_or_b64 s[4:5], s[4:5], s[8:9]
	s_or_b64 exec, exec, s[6:7]
	s_and_saveexec_b64 s[6:7], s[4:5]
	s_cbranch_execnz .LBB40_1587
	s_branch .LBB40_1588
.LBB40_3637:
	s_movk_i32 s4, 0x80
	v_cmp_eq_u16_e32 vcc, s4, v14
	s_mov_b64 s[4:5], -1
                                        ; implicit-def: $sgpr10
	s_and_saveexec_b64 s[8:9], vcc
; %bb.3638:
	s_mov_b32 s10, 0x7f800001
	s_xor_b64 s[4:5], exec, -1
; %bb.3639:
	s_or_b64 exec, exec, s[8:9]
	s_and_b64 s[4:5], s[4:5], exec
                                        ; implicit-def: $vgpr14
	s_or_saveexec_b64 s[6:7], s[6:7]
	v_mov_b32_e32 v20, s10
	s_xor_b64 exec, exec, s[6:7]
	s_cbranch_execz .LBB40_1590
.LBB40_3640:
	v_cmp_ne_u16_e32 vcc, 0, v14
	s_andn2_b64 s[4:5], s[4:5], exec
	s_and_b64 s[8:9], vcc, exec
	v_mov_b32_e32 v20, 0
	s_or_b64 s[4:5], s[4:5], s[8:9]
	s_or_b64 exec, exec, s[6:7]
	s_and_saveexec_b64 s[6:7], s[4:5]
	s_cbranch_execnz .LBB40_1591
	s_branch .LBB40_1592
.LBB40_3641:
	s_movk_i32 s4, 0x80
	v_cmp_eq_u16_sdwa s[12:13], v15, s4 src0_sel:BYTE_3 src1_sel:DWORD
	s_mov_b64 s[4:5], -1
                                        ; implicit-def: $sgpr10
	s_and_saveexec_b64 s[8:9], s[12:13]
; %bb.3642:
	s_mov_b32 s10, 0x7f800001
	s_xor_b64 s[4:5], exec, -1
; %bb.3643:
	s_or_b64 exec, exec, s[8:9]
	s_and_b64 s[4:5], s[4:5], exec
	s_or_saveexec_b64 s[6:7], s[6:7]
	v_mov_b32_e32 v10, s10
	s_xor_b64 exec, exec, s[6:7]
	s_cbranch_execz .LBB40_1594
.LBB40_3644:
	v_mov_b32_e32 v10, 0
	v_cmp_ne_u16_sdwa s[8:9], v15, v10 src0_sel:BYTE_3 src1_sel:DWORD
	s_andn2_b64 s[4:5], s[4:5], exec
	s_and_b64 s[8:9], s[8:9], exec
	s_or_b64 s[4:5], s[4:5], s[8:9]
	s_or_b64 exec, exec, s[6:7]
	s_and_saveexec_b64 s[6:7], s[4:5]
	s_cbranch_execnz .LBB40_1595
	s_branch .LBB40_1596
.LBB40_3645:
	s_movk_i32 s4, 0x80
	v_cmp_eq_u16_sdwa s[12:13], v11, s4 src0_sel:BYTE_3 src1_sel:DWORD
	s_mov_b64 s[4:5], -1
                                        ; implicit-def: $sgpr10
	s_and_saveexec_b64 s[8:9], s[12:13]
; %bb.3646:
	s_mov_b32 s10, 0x7f800001
	s_xor_b64 s[4:5], exec, -1
; %bb.3647:
	s_or_b64 exec, exec, s[8:9]
	s_and_b64 s[4:5], s[4:5], exec
	s_or_saveexec_b64 s[6:7], s[6:7]
	v_mov_b32_e32 v14, s10
	s_xor_b64 exec, exec, s[6:7]
	s_cbranch_execz .LBB40_1598
.LBB40_3648:
	v_mov_b32_e32 v14, 0
	v_cmp_ne_u16_sdwa s[8:9], v11, v14 src0_sel:BYTE_3 src1_sel:DWORD
	s_andn2_b64 s[4:5], s[4:5], exec
	s_and_b64 s[8:9], s[8:9], exec
	s_or_b64 s[4:5], s[4:5], s[8:9]
	s_or_b64 exec, exec, s[6:7]
	s_and_saveexec_b64 s[6:7], s[4:5]
	s_cbranch_execnz .LBB40_1599
	s_branch .LBB40_1600
.LBB40_3649:
	s_movk_i32 s4, 0x80
	v_cmp_eq_u16_sdwa s[12:13], v16, s4 src0_sel:BYTE_0 src1_sel:DWORD
	s_mov_b64 s[4:5], -1
                                        ; implicit-def: $sgpr10
	s_and_saveexec_b64 s[8:9], s[12:13]
; %bb.3650:
	s_mov_b32 s10, 0x7f800001
	s_xor_b64 s[4:5], exec, -1
; %bb.3651:
	s_or_b64 exec, exec, s[8:9]
	s_and_b64 s[4:5], s[4:5], exec
	s_or_saveexec_b64 s[6:7], s[6:7]
	v_mov_b32_e32 v10, s10
	s_xor_b64 exec, exec, s[6:7]
	s_cbranch_execz .LBB40_1602
.LBB40_3652:
	v_mov_b32_e32 v10, 0
	v_cmp_ne_u16_sdwa s[8:9], v16, v10 src0_sel:BYTE_0 src1_sel:DWORD
	s_andn2_b64 s[4:5], s[4:5], exec
	s_and_b64 s[8:9], s[8:9], exec
	s_or_b64 s[4:5], s[4:5], s[8:9]
	s_or_b64 exec, exec, s[6:7]
	s_and_saveexec_b64 s[6:7], s[4:5]
	s_cbranch_execnz .LBB40_1603
	s_branch .LBB40_1604
.LBB40_3653:
	s_movk_i32 s4, 0x80
	v_cmp_eq_u16_sdwa s[12:13], v12, s4 src0_sel:BYTE_0 src1_sel:DWORD
	s_mov_b64 s[4:5], -1
                                        ; implicit-def: $sgpr10
	s_and_saveexec_b64 s[8:9], s[12:13]
; %bb.3654:
	s_mov_b32 s10, 0x7f800001
	s_xor_b64 s[4:5], exec, -1
; %bb.3655:
	s_or_b64 exec, exec, s[8:9]
	s_and_b64 s[4:5], s[4:5], exec
	s_or_saveexec_b64 s[6:7], s[6:7]
	v_mov_b32_e32 v11, s10
	s_xor_b64 exec, exec, s[6:7]
	s_cbranch_execz .LBB40_1606
.LBB40_3656:
	v_mov_b32_e32 v11, 0
	v_cmp_ne_u16_sdwa s[8:9], v12, v11 src0_sel:BYTE_0 src1_sel:DWORD
	s_andn2_b64 s[4:5], s[4:5], exec
	s_and_b64 s[8:9], s[8:9], exec
	s_or_b64 s[4:5], s[4:5], s[8:9]
	s_or_b64 exec, exec, s[6:7]
	s_and_saveexec_b64 s[6:7], s[4:5]
	s_cbranch_execnz .LBB40_1607
	s_branch .LBB40_1608
.LBB40_3657:
	s_movk_i32 s4, 0x80
	v_cmp_eq_u16_sdwa s[12:13], v11, s4 src0_sel:BYTE_0 src1_sel:DWORD
	s_mov_b64 s[4:5], -1
                                        ; implicit-def: $sgpr10
	s_and_saveexec_b64 s[8:9], s[12:13]
; %bb.3658:
	s_mov_b32 s10, 0x7f800001
	s_xor_b64 s[4:5], exec, -1
; %bb.3659:
	s_or_b64 exec, exec, s[8:9]
	s_and_b64 s[4:5], s[4:5], exec
	s_or_saveexec_b64 s[6:7], s[6:7]
	v_mov_b32_e32 v10, s10
	s_xor_b64 exec, exec, s[6:7]
	s_cbranch_execz .LBB40_1610
.LBB40_3660:
	v_mov_b32_e32 v10, 0
	v_cmp_ne_u16_sdwa s[8:9], v11, v10 src0_sel:BYTE_0 src1_sel:DWORD
	s_andn2_b64 s[4:5], s[4:5], exec
	s_and_b64 s[8:9], s[8:9], exec
	s_or_b64 s[4:5], s[4:5], s[8:9]
	s_or_b64 exec, exec, s[6:7]
	s_and_saveexec_b64 s[6:7], s[4:5]
	s_cbranch_execnz .LBB40_1611
	s_branch .LBB40_1612
.LBB40_3661:
	s_movk_i32 s4, 0x80
	v_cmp_eq_u16_sdwa s[12:13], v11, s4 src0_sel:BYTE_0 src1_sel:DWORD
	s_mov_b64 s[4:5], -1
                                        ; implicit-def: $sgpr10
	s_and_saveexec_b64 s[8:9], s[12:13]
; %bb.3662:
	s_mov_b32 s10, 0x7f800001
	s_xor_b64 s[4:5], exec, -1
; %bb.3663:
	s_or_b64 exec, exec, s[8:9]
	s_and_b64 s[4:5], s[4:5], exec
	s_or_saveexec_b64 s[6:7], s[6:7]
	v_mov_b32_e32 v14, s10
	s_xor_b64 exec, exec, s[6:7]
	s_cbranch_execz .LBB40_1614
.LBB40_3664:
	v_mov_b32_e32 v14, 0
	v_cmp_ne_u16_sdwa s[8:9], v11, v14 src0_sel:BYTE_0 src1_sel:DWORD
	s_andn2_b64 s[4:5], s[4:5], exec
	s_and_b64 s[8:9], s[8:9], exec
	s_or_b64 s[4:5], s[4:5], s[8:9]
	s_or_b64 exec, exec, s[6:7]
	s_and_saveexec_b64 s[6:7], s[4:5]
	s_cbranch_execnz .LBB40_1615
	s_branch .LBB40_1616
.LBB40_3665:
	s_movk_i32 s4, 0x80
	v_cmp_eq_u16_e32 vcc, s4, v11
	s_mov_b64 s[4:5], -1
                                        ; implicit-def: $sgpr10
	s_and_saveexec_b64 s[8:9], vcc
; %bb.3666:
	s_mov_b32 s10, 0x7f800001
	s_xor_b64 s[4:5], exec, -1
; %bb.3667:
	s_or_b64 exec, exec, s[8:9]
	s_and_b64 s[4:5], s[4:5], exec
                                        ; implicit-def: $vgpr11
	s_or_saveexec_b64 s[6:7], s[6:7]
	v_mov_b32_e32 v10, s10
	s_xor_b64 exec, exec, s[6:7]
	s_cbranch_execz .LBB40_1618
.LBB40_3668:
	v_cmp_ne_u16_e32 vcc, 0, v11
	s_andn2_b64 s[4:5], s[4:5], exec
	s_and_b64 s[8:9], vcc, exec
	v_mov_b32_e32 v10, 0
	s_or_b64 s[4:5], s[4:5], s[8:9]
	s_or_b64 exec, exec, s[6:7]
	s_and_saveexec_b64 s[6:7], s[4:5]
	s_cbranch_execnz .LBB40_1619
	s_branch .LBB40_1620
.LBB40_3669:
	s_movk_i32 s4, 0x80
	v_cmp_eq_u16_e32 vcc, s4, v11
	s_mov_b64 s[4:5], -1
                                        ; implicit-def: $sgpr10
	s_and_saveexec_b64 s[8:9], vcc
; %bb.3670:
	s_mov_b32 s10, 0x7f800001
	s_xor_b64 s[4:5], exec, -1
; %bb.3671:
	s_or_b64 exec, exec, s[8:9]
	s_and_b64 s[4:5], s[4:5], exec
                                        ; implicit-def: $vgpr11
	s_or_saveexec_b64 s[6:7], s[6:7]
	v_mov_b32_e32 v14, s10
	s_xor_b64 exec, exec, s[6:7]
	s_cbranch_execz .LBB40_1622
.LBB40_3672:
	v_cmp_ne_u16_e32 vcc, 0, v11
	s_andn2_b64 s[4:5], s[4:5], exec
	s_and_b64 s[8:9], vcc, exec
	v_mov_b32_e32 v14, 0
	s_or_b64 s[4:5], s[4:5], s[8:9]
	s_or_b64 exec, exec, s[6:7]
	s_and_saveexec_b64 s[6:7], s[4:5]
	s_cbranch_execnz .LBB40_1623
	s_branch .LBB40_1624
.LBB40_3673:
	s_movk_i32 s4, 0x80
	v_cmp_eq_u16_sdwa s[12:13], v16, s4 src0_sel:BYTE_3 src1_sel:DWORD
	s_mov_b64 s[4:5], -1
                                        ; implicit-def: $sgpr10
	s_and_saveexec_b64 s[8:9], s[12:13]
; %bb.3674:
	s_mov_b32 s10, 0x7f800001
	s_xor_b64 s[4:5], exec, -1
; %bb.3675:
	s_or_b64 exec, exec, s[8:9]
	s_and_b64 s[4:5], s[4:5], exec
	s_or_saveexec_b64 s[6:7], s[6:7]
	v_mov_b32_e32 v10, s10
	s_xor_b64 exec, exec, s[6:7]
	s_cbranch_execz .LBB40_1626
.LBB40_3676:
	v_mov_b32_e32 v10, 0
	v_cmp_ne_u16_sdwa s[8:9], v16, v10 src0_sel:BYTE_3 src1_sel:DWORD
	s_andn2_b64 s[4:5], s[4:5], exec
	s_and_b64 s[8:9], s[8:9], exec
	s_or_b64 s[4:5], s[4:5], s[8:9]
	s_or_b64 exec, exec, s[6:7]
	s_and_saveexec_b64 s[6:7], s[4:5]
	s_cbranch_execnz .LBB40_1627
	s_branch .LBB40_1628
.LBB40_3677:
	s_movk_i32 s4, 0x80
	v_cmp_eq_u16_sdwa s[12:13], v12, s4 src0_sel:BYTE_3 src1_sel:DWORD
	s_mov_b64 s[4:5], -1
                                        ; implicit-def: $sgpr10
	s_and_saveexec_b64 s[8:9], s[12:13]
; %bb.3678:
	s_mov_b32 s10, 0x7f800001
	s_xor_b64 s[4:5], exec, -1
; %bb.3679:
	s_or_b64 exec, exec, s[8:9]
	s_and_b64 s[4:5], s[4:5], exec
	s_or_saveexec_b64 s[6:7], s[6:7]
	v_mov_b32_e32 v11, s10
	s_xor_b64 exec, exec, s[6:7]
	s_cbranch_execz .LBB40_1630
.LBB40_3680:
	v_mov_b32_e32 v11, 0
	v_cmp_ne_u16_sdwa s[8:9], v12, v11 src0_sel:BYTE_3 src1_sel:DWORD
	s_andn2_b64 s[4:5], s[4:5], exec
	s_and_b64 s[8:9], s[8:9], exec
	s_or_b64 s[4:5], s[4:5], s[8:9]
	s_or_b64 exec, exec, s[6:7]
	s_and_saveexec_b64 s[6:7], s[4:5]
	s_cbranch_execnz .LBB40_1631
	s_branch .LBB40_1632
.LBB40_3681:
	s_movk_i32 s4, 0x80
	v_cmp_eq_u16_sdwa s[12:13], v17, s4 src0_sel:BYTE_0 src1_sel:DWORD
	s_mov_b64 s[4:5], -1
                                        ; implicit-def: $sgpr10
	s_and_saveexec_b64 s[8:9], s[12:13]
; %bb.3682:
	s_mov_b32 s10, 0x7f800001
	s_xor_b64 s[4:5], exec, -1
; %bb.3683:
	s_or_b64 exec, exec, s[8:9]
	s_and_b64 s[4:5], s[4:5], exec
	s_or_saveexec_b64 s[6:7], s[6:7]
	v_mov_b32_e32 v10, s10
	s_xor_b64 exec, exec, s[6:7]
	s_cbranch_execz .LBB40_1634
.LBB40_3684:
	v_mov_b32_e32 v10, 0
	v_cmp_ne_u16_sdwa s[8:9], v17, v10 src0_sel:BYTE_0 src1_sel:DWORD
	s_andn2_b64 s[4:5], s[4:5], exec
	s_and_b64 s[8:9], s[8:9], exec
	s_or_b64 s[4:5], s[4:5], s[8:9]
	s_or_b64 exec, exec, s[6:7]
	s_and_saveexec_b64 s[6:7], s[4:5]
	s_cbranch_execnz .LBB40_1635
	s_branch .LBB40_1636
.LBB40_3685:
	s_movk_i32 s4, 0x80
	v_cmp_eq_u16_sdwa s[12:13], v13, s4 src0_sel:BYTE_0 src1_sel:DWORD
	s_mov_b64 s[4:5], -1
                                        ; implicit-def: $sgpr10
	s_and_saveexec_b64 s[8:9], s[12:13]
; %bb.3686:
	s_mov_b32 s10, 0x7f800001
	s_xor_b64 s[4:5], exec, -1
; %bb.3687:
	s_or_b64 exec, exec, s[8:9]
	s_and_b64 s[4:5], s[4:5], exec
	s_or_saveexec_b64 s[6:7], s[6:7]
	v_mov_b32_e32 v11, s10
	s_xor_b64 exec, exec, s[6:7]
	s_cbranch_execz .LBB40_1638
.LBB40_3688:
	v_mov_b32_e32 v11, 0
	v_cmp_ne_u16_sdwa s[8:9], v13, v11 src0_sel:BYTE_0 src1_sel:DWORD
	s_andn2_b64 s[4:5], s[4:5], exec
	s_and_b64 s[8:9], s[8:9], exec
	s_or_b64 s[4:5], s[4:5], s[8:9]
	s_or_b64 exec, exec, s[6:7]
	s_and_saveexec_b64 s[6:7], s[4:5]
	s_cbranch_execnz .LBB40_1639
	s_branch .LBB40_1640
.LBB40_3689:
	s_movk_i32 s4, 0x80
	v_cmp_eq_u16_sdwa s[12:13], v11, s4 src0_sel:BYTE_0 src1_sel:DWORD
	s_mov_b64 s[4:5], -1
                                        ; implicit-def: $sgpr10
	s_and_saveexec_b64 s[8:9], s[12:13]
; %bb.3690:
	s_mov_b32 s10, 0x7f800001
	s_xor_b64 s[4:5], exec, -1
; %bb.3691:
	s_or_b64 exec, exec, s[8:9]
	s_and_b64 s[4:5], s[4:5], exec
	s_or_saveexec_b64 s[6:7], s[6:7]
	v_mov_b32_e32 v10, s10
	s_xor_b64 exec, exec, s[6:7]
	s_cbranch_execz .LBB40_1642
.LBB40_3692:
	v_mov_b32_e32 v10, 0
	v_cmp_ne_u16_sdwa s[8:9], v11, v10 src0_sel:BYTE_0 src1_sel:DWORD
	s_andn2_b64 s[4:5], s[4:5], exec
	s_and_b64 s[8:9], s[8:9], exec
	s_or_b64 s[4:5], s[4:5], s[8:9]
	s_or_b64 exec, exec, s[6:7]
	s_and_saveexec_b64 s[6:7], s[4:5]
	s_cbranch_execnz .LBB40_1643
	s_branch .LBB40_1644
.LBB40_3693:
	s_movk_i32 s4, 0x80
	v_cmp_eq_u16_sdwa s[12:13], v11, s4 src0_sel:BYTE_0 src1_sel:DWORD
	s_mov_b64 s[4:5], -1
                                        ; implicit-def: $sgpr10
	s_and_saveexec_b64 s[8:9], s[12:13]
; %bb.3694:
	s_mov_b32 s10, 0x7f800001
	s_xor_b64 s[4:5], exec, -1
; %bb.3695:
	s_or_b64 exec, exec, s[8:9]
	s_and_b64 s[4:5], s[4:5], exec
	s_or_saveexec_b64 s[6:7], s[6:7]
	v_mov_b32_e32 v12, s10
	s_xor_b64 exec, exec, s[6:7]
	s_cbranch_execz .LBB40_1646
.LBB40_3696:
	v_mov_b32_e32 v12, 0
	v_cmp_ne_u16_sdwa s[8:9], v11, v12 src0_sel:BYTE_0 src1_sel:DWORD
	s_andn2_b64 s[4:5], s[4:5], exec
	s_and_b64 s[8:9], s[8:9], exec
	s_or_b64 s[4:5], s[4:5], s[8:9]
	s_or_b64 exec, exec, s[6:7]
	s_and_saveexec_b64 s[6:7], s[4:5]
	s_cbranch_execnz .LBB40_1647
	s_branch .LBB40_1648
.LBB40_3697:
	s_movk_i32 s4, 0x80
	v_cmp_eq_u16_e32 vcc, s4, v11
	s_mov_b64 s[4:5], -1
                                        ; implicit-def: $sgpr10
	s_and_saveexec_b64 s[8:9], vcc
; %bb.3698:
	s_mov_b32 s10, 0x7f800001
	s_xor_b64 s[4:5], exec, -1
; %bb.3699:
	s_or_b64 exec, exec, s[8:9]
	s_and_b64 s[4:5], s[4:5], exec
                                        ; implicit-def: $vgpr11
	s_or_saveexec_b64 s[6:7], s[6:7]
	v_mov_b32_e32 v10, s10
	s_xor_b64 exec, exec, s[6:7]
	s_cbranch_execz .LBB40_1650
.LBB40_3700:
	v_cmp_ne_u16_e32 vcc, 0, v11
	s_andn2_b64 s[4:5], s[4:5], exec
	s_and_b64 s[8:9], vcc, exec
	v_mov_b32_e32 v10, 0
	s_or_b64 s[4:5], s[4:5], s[8:9]
	s_or_b64 exec, exec, s[6:7]
	s_and_saveexec_b64 s[6:7], s[4:5]
	s_cbranch_execnz .LBB40_1651
	s_branch .LBB40_1652
.LBB40_3701:
	s_movk_i32 s4, 0x80
	v_cmp_eq_u16_e32 vcc, s4, v11
	s_mov_b64 s[4:5], -1
                                        ; implicit-def: $sgpr10
	s_and_saveexec_b64 s[8:9], vcc
; %bb.3702:
	s_mov_b32 s10, 0x7f800001
	s_xor_b64 s[4:5], exec, -1
; %bb.3703:
	s_or_b64 exec, exec, s[8:9]
	s_and_b64 s[4:5], s[4:5], exec
                                        ; implicit-def: $vgpr11
	s_or_saveexec_b64 s[6:7], s[6:7]
	v_mov_b32_e32 v12, s10
	s_xor_b64 exec, exec, s[6:7]
	s_cbranch_execz .LBB40_1654
.LBB40_3704:
	v_cmp_ne_u16_e32 vcc, 0, v11
	s_andn2_b64 s[4:5], s[4:5], exec
	s_and_b64 s[8:9], vcc, exec
	v_mov_b32_e32 v12, 0
	s_or_b64 s[4:5], s[4:5], s[8:9]
	s_or_b64 exec, exec, s[6:7]
	s_and_saveexec_b64 s[6:7], s[4:5]
	s_cbranch_execnz .LBB40_1655
	s_branch .LBB40_1656
.LBB40_3705:
	s_movk_i32 s4, 0x80
	v_cmp_eq_u16_sdwa s[12:13], v17, s4 src0_sel:BYTE_3 src1_sel:DWORD
	s_mov_b64 s[4:5], -1
                                        ; implicit-def: $sgpr10
	s_and_saveexec_b64 s[8:9], s[12:13]
; %bb.3706:
	s_mov_b32 s10, 0x7f800001
	s_xor_b64 s[4:5], exec, -1
; %bb.3707:
	s_or_b64 exec, exec, s[8:9]
	s_and_b64 s[4:5], s[4:5], exec
	s_or_saveexec_b64 s[6:7], s[6:7]
	v_mov_b32_e32 v10, s10
	s_xor_b64 exec, exec, s[6:7]
	s_cbranch_execz .LBB40_1658
.LBB40_3708:
	v_mov_b32_e32 v10, 0
	v_cmp_ne_u16_sdwa s[8:9], v17, v10 src0_sel:BYTE_3 src1_sel:DWORD
	s_andn2_b64 s[4:5], s[4:5], exec
	s_and_b64 s[8:9], s[8:9], exec
	s_or_b64 s[4:5], s[4:5], s[8:9]
	s_or_b64 exec, exec, s[6:7]
	s_and_saveexec_b64 s[6:7], s[4:5]
	s_cbranch_execnz .LBB40_1659
	s_branch .LBB40_1660
.LBB40_3709:
	s_movk_i32 s4, 0x80
	v_cmp_eq_u16_sdwa s[12:13], v13, s4 src0_sel:BYTE_3 src1_sel:DWORD
	s_mov_b64 s[4:5], -1
                                        ; implicit-def: $sgpr10
	s_and_saveexec_b64 s[8:9], s[12:13]
; %bb.3710:
	s_mov_b32 s10, 0x7f800001
	s_xor_b64 s[4:5], exec, -1
; %bb.3711:
	s_or_b64 exec, exec, s[8:9]
	s_and_b64 s[4:5], s[4:5], exec
	s_or_saveexec_b64 s[6:7], s[6:7]
	v_mov_b32_e32 v11, s10
	s_xor_b64 exec, exec, s[6:7]
	s_cbranch_execz .LBB40_1662
.LBB40_3712:
	v_mov_b32_e32 v11, 0
	v_cmp_ne_u16_sdwa s[8:9], v13, v11 src0_sel:BYTE_3 src1_sel:DWORD
	s_andn2_b64 s[4:5], s[4:5], exec
	s_and_b64 s[8:9], s[8:9], exec
	s_or_b64 s[4:5], s[4:5], s[8:9]
	s_or_b64 exec, exec, s[6:7]
	s_and_saveexec_b64 s[6:7], s[4:5]
	s_cbranch_execnz .LBB40_1663
	s_branch .LBB40_1664
.LBB40_3713:
	s_movk_i32 s4, 0x80
	v_cmp_eq_u16_sdwa s[12:13], v6, s4 src0_sel:BYTE_0 src1_sel:DWORD
	s_mov_b64 s[4:5], -1
                                        ; implicit-def: $sgpr10
	s_and_saveexec_b64 s[8:9], s[12:13]
; %bb.3714:
	s_mov_b32 s10, 0x7f800001
	s_xor_b64 s[4:5], exec, -1
; %bb.3715:
	s_or_b64 exec, exec, s[8:9]
	s_and_b64 s[4:5], s[4:5], exec
	s_or_saveexec_b64 s[6:7], s[6:7]
	v_mov_b32_e32 v10, s10
	s_xor_b64 exec, exec, s[6:7]
	s_cbranch_execz .LBB40_1666
.LBB40_3716:
	v_mov_b32_e32 v10, 0
	v_cmp_ne_u16_sdwa s[8:9], v6, v10 src0_sel:BYTE_0 src1_sel:DWORD
	s_andn2_b64 s[4:5], s[4:5], exec
	s_and_b64 s[8:9], s[8:9], exec
	s_or_b64 s[4:5], s[4:5], s[8:9]
	s_or_b64 exec, exec, s[6:7]
	s_and_saveexec_b64 s[6:7], s[4:5]
	s_cbranch_execnz .LBB40_1667
	s_branch .LBB40_1668
.LBB40_3717:
	s_movk_i32 s4, 0x80
	v_cmp_eq_u16_sdwa s[12:13], v2, s4 src0_sel:BYTE_0 src1_sel:DWORD
	s_mov_b64 s[4:5], -1
                                        ; implicit-def: $sgpr10
	s_and_saveexec_b64 s[8:9], s[12:13]
; %bb.3718:
	s_mov_b32 s10, 0x7f800001
	s_xor_b64 s[4:5], exec, -1
; %bb.3719:
	s_or_b64 exec, exec, s[8:9]
	s_and_b64 s[4:5], s[4:5], exec
	s_or_saveexec_b64 s[6:7], s[6:7]
	v_mov_b32_e32 v11, s10
	s_xor_b64 exec, exec, s[6:7]
	s_cbranch_execz .LBB40_1670
.LBB40_3720:
	v_mov_b32_e32 v11, 0
	v_cmp_ne_u16_sdwa s[8:9], v2, v11 src0_sel:BYTE_0 src1_sel:DWORD
	s_andn2_b64 s[4:5], s[4:5], exec
	s_and_b64 s[8:9], s[8:9], exec
	s_or_b64 s[4:5], s[4:5], s[8:9]
	s_or_b64 exec, exec, s[6:7]
	s_and_saveexec_b64 s[6:7], s[4:5]
	s_cbranch_execnz .LBB40_1671
	s_branch .LBB40_1672
.LBB40_3721:
	s_movk_i32 s4, 0x80
	v_cmp_eq_u16_sdwa s[12:13], v11, s4 src0_sel:BYTE_0 src1_sel:DWORD
	s_mov_b64 s[4:5], -1
                                        ; implicit-def: $sgpr10
	s_and_saveexec_b64 s[8:9], s[12:13]
; %bb.3722:
	s_mov_b32 s10, 0x7f800001
	s_xor_b64 s[4:5], exec, -1
; %bb.3723:
	s_or_b64 exec, exec, s[8:9]
	s_and_b64 s[4:5], s[4:5], exec
	s_or_saveexec_b64 s[6:7], s[6:7]
	v_mov_b32_e32 v10, s10
	s_xor_b64 exec, exec, s[6:7]
	s_cbranch_execz .LBB40_1674
.LBB40_3724:
	v_mov_b32_e32 v10, 0
	v_cmp_ne_u16_sdwa s[8:9], v11, v10 src0_sel:BYTE_0 src1_sel:DWORD
	s_andn2_b64 s[4:5], s[4:5], exec
	s_and_b64 s[8:9], s[8:9], exec
	s_or_b64 s[4:5], s[4:5], s[8:9]
	s_or_b64 exec, exec, s[6:7]
	s_and_saveexec_b64 s[6:7], s[4:5]
	s_cbranch_execnz .LBB40_1675
	s_branch .LBB40_1676
.LBB40_3725:
	s_movk_i32 s4, 0x80
	v_cmp_eq_u16_sdwa s[12:13], v11, s4 src0_sel:BYTE_0 src1_sel:DWORD
	s_mov_b64 s[4:5], -1
                                        ; implicit-def: $sgpr10
	s_and_saveexec_b64 s[8:9], s[12:13]
; %bb.3726:
	s_mov_b32 s10, 0x7f800001
	s_xor_b64 s[4:5], exec, -1
; %bb.3727:
	s_or_b64 exec, exec, s[8:9]
	s_and_b64 s[4:5], s[4:5], exec
	s_or_saveexec_b64 s[6:7], s[6:7]
	v_mov_b32_e32 v12, s10
	s_xor_b64 exec, exec, s[6:7]
	s_cbranch_execz .LBB40_1678
.LBB40_3728:
	v_mov_b32_e32 v12, 0
	v_cmp_ne_u16_sdwa s[8:9], v11, v12 src0_sel:BYTE_0 src1_sel:DWORD
	s_andn2_b64 s[4:5], s[4:5], exec
	s_and_b64 s[8:9], s[8:9], exec
	s_or_b64 s[4:5], s[4:5], s[8:9]
	s_or_b64 exec, exec, s[6:7]
	s_and_saveexec_b64 s[6:7], s[4:5]
	s_cbranch_execnz .LBB40_1679
	s_branch .LBB40_1680
.LBB40_3729:
	s_movk_i32 s4, 0x80
	v_cmp_eq_u16_e32 vcc, s4, v11
	s_mov_b64 s[4:5], -1
                                        ; implicit-def: $sgpr10
	s_and_saveexec_b64 s[8:9], vcc
; %bb.3730:
	s_mov_b32 s10, 0x7f800001
	s_xor_b64 s[4:5], exec, -1
; %bb.3731:
	s_or_b64 exec, exec, s[8:9]
	s_and_b64 s[4:5], s[4:5], exec
                                        ; implicit-def: $vgpr11
	s_or_saveexec_b64 s[6:7], s[6:7]
	v_mov_b32_e32 v10, s10
	s_xor_b64 exec, exec, s[6:7]
	s_cbranch_execz .LBB40_1682
.LBB40_3732:
	v_cmp_ne_u16_e32 vcc, 0, v11
	s_andn2_b64 s[4:5], s[4:5], exec
	s_and_b64 s[8:9], vcc, exec
	v_mov_b32_e32 v10, 0
	s_or_b64 s[4:5], s[4:5], s[8:9]
	s_or_b64 exec, exec, s[6:7]
	s_and_saveexec_b64 s[6:7], s[4:5]
	s_cbranch_execnz .LBB40_1683
	s_branch .LBB40_1684
.LBB40_3733:
	s_movk_i32 s4, 0x80
	v_cmp_eq_u16_e32 vcc, s4, v11
	s_mov_b64 s[4:5], -1
                                        ; implicit-def: $sgpr10
	s_and_saveexec_b64 s[8:9], vcc
; %bb.3734:
	s_mov_b32 s10, 0x7f800001
	s_xor_b64 s[4:5], exec, -1
; %bb.3735:
	s_or_b64 exec, exec, s[8:9]
	s_and_b64 s[4:5], s[4:5], exec
                                        ; implicit-def: $vgpr11
	s_or_saveexec_b64 s[6:7], s[6:7]
	v_mov_b32_e32 v12, s10
	s_xor_b64 exec, exec, s[6:7]
	s_cbranch_execz .LBB40_1686
.LBB40_3736:
	v_cmp_ne_u16_e32 vcc, 0, v11
	s_andn2_b64 s[4:5], s[4:5], exec
	s_and_b64 s[8:9], vcc, exec
	v_mov_b32_e32 v12, 0
	s_or_b64 s[4:5], s[4:5], s[8:9]
	s_or_b64 exec, exec, s[6:7]
	s_and_saveexec_b64 s[6:7], s[4:5]
	s_cbranch_execnz .LBB40_1687
	s_branch .LBB40_1688
.LBB40_3737:
	s_movk_i32 s4, 0x80
	v_cmp_eq_u16_sdwa s[12:13], v6, s4 src0_sel:BYTE_3 src1_sel:DWORD
	s_mov_b64 s[4:5], -1
                                        ; implicit-def: $sgpr10
	s_and_saveexec_b64 s[8:9], s[12:13]
; %bb.3738:
	s_mov_b32 s10, 0x7f800001
	s_xor_b64 s[4:5], exec, -1
; %bb.3739:
	s_or_b64 exec, exec, s[8:9]
	s_and_b64 s[4:5], s[4:5], exec
	s_or_saveexec_b64 s[6:7], s[6:7]
	v_mov_b32_e32 v10, s10
	s_xor_b64 exec, exec, s[6:7]
	s_cbranch_execz .LBB40_1690
.LBB40_3740:
	v_mov_b32_e32 v10, 0
	v_cmp_ne_u16_sdwa s[8:9], v6, v10 src0_sel:BYTE_3 src1_sel:DWORD
	s_andn2_b64 s[4:5], s[4:5], exec
	s_and_b64 s[8:9], s[8:9], exec
	s_or_b64 s[4:5], s[4:5], s[8:9]
	s_or_b64 exec, exec, s[6:7]
	s_and_saveexec_b64 s[6:7], s[4:5]
	s_cbranch_execnz .LBB40_1691
	s_branch .LBB40_1692
.LBB40_3741:
	s_movk_i32 s4, 0x80
	v_cmp_eq_u16_sdwa s[12:13], v2, s4 src0_sel:BYTE_3 src1_sel:DWORD
	s_mov_b64 s[4:5], -1
                                        ; implicit-def: $sgpr10
	s_and_saveexec_b64 s[8:9], s[12:13]
; %bb.3742:
	s_mov_b32 s10, 0x7f800001
	s_xor_b64 s[4:5], exec, -1
; %bb.3743:
	s_or_b64 exec, exec, s[8:9]
	s_and_b64 s[4:5], s[4:5], exec
	s_or_saveexec_b64 s[6:7], s[6:7]
	v_mov_b32_e32 v6, s10
	s_xor_b64 exec, exec, s[6:7]
	s_cbranch_execz .LBB40_1694
.LBB40_3744:
	v_mov_b32_e32 v6, 0
	v_cmp_ne_u16_sdwa s[8:9], v2, v6 src0_sel:BYTE_3 src1_sel:DWORD
	s_andn2_b64 s[4:5], s[4:5], exec
	s_and_b64 s[8:9], s[8:9], exec
	s_or_b64 s[4:5], s[4:5], s[8:9]
	s_or_b64 exec, exec, s[6:7]
	s_and_saveexec_b64 s[6:7], s[4:5]
	s_cbranch_execnz .LBB40_1695
	s_branch .LBB40_1696
.LBB40_3745:
	s_movk_i32 s4, 0x80
	v_cmp_eq_u16_sdwa s[12:13], v7, s4 src0_sel:BYTE_0 src1_sel:DWORD
	s_mov_b64 s[4:5], -1
                                        ; implicit-def: $sgpr10
	s_and_saveexec_b64 s[8:9], s[12:13]
; %bb.3746:
	s_mov_b32 s10, 0x7f800001
	s_xor_b64 s[4:5], exec, -1
; %bb.3747:
	s_or_b64 exec, exec, s[8:9]
	s_and_b64 s[4:5], s[4:5], exec
	s_or_saveexec_b64 s[6:7], s[6:7]
	v_mov_b32_e32 v2, s10
	s_xor_b64 exec, exec, s[6:7]
	s_cbranch_execz .LBB40_1698
.LBB40_3748:
	v_mov_b32_e32 v2, 0
	v_cmp_ne_u16_sdwa s[8:9], v7, v2 src0_sel:BYTE_0 src1_sel:DWORD
	s_andn2_b64 s[4:5], s[4:5], exec
	s_and_b64 s[8:9], s[8:9], exec
	s_or_b64 s[4:5], s[4:5], s[8:9]
	s_or_b64 exec, exec, s[6:7]
	s_and_saveexec_b64 s[6:7], s[4:5]
	s_cbranch_execnz .LBB40_1699
	s_branch .LBB40_1700
.LBB40_3749:
	s_movk_i32 s4, 0x80
	v_cmp_eq_u16_sdwa s[12:13], v3, s4 src0_sel:BYTE_0 src1_sel:DWORD
	s_mov_b64 s[4:5], -1
                                        ; implicit-def: $sgpr10
	s_and_saveexec_b64 s[8:9], s[12:13]
; %bb.3750:
	s_mov_b32 s10, 0x7f800001
	s_xor_b64 s[4:5], exec, -1
; %bb.3751:
	s_or_b64 exec, exec, s[8:9]
	s_and_b64 s[4:5], s[4:5], exec
	s_or_saveexec_b64 s[6:7], s[6:7]
	v_mov_b32_e32 v6, s10
	s_xor_b64 exec, exec, s[6:7]
	s_cbranch_execz .LBB40_1702
.LBB40_3752:
	v_mov_b32_e32 v6, 0
	v_cmp_ne_u16_sdwa s[8:9], v3, v6 src0_sel:BYTE_0 src1_sel:DWORD
	s_andn2_b64 s[4:5], s[4:5], exec
	s_and_b64 s[8:9], s[8:9], exec
	s_or_b64 s[4:5], s[4:5], s[8:9]
	s_or_b64 exec, exec, s[6:7]
	s_and_saveexec_b64 s[6:7], s[4:5]
	s_cbranch_execnz .LBB40_1703
	s_branch .LBB40_1704
.LBB40_3753:
	s_movk_i32 s4, 0x80
	v_cmp_eq_u16_sdwa s[12:13], v6, s4 src0_sel:BYTE_0 src1_sel:DWORD
	s_mov_b64 s[4:5], -1
                                        ; implicit-def: $sgpr10
	s_and_saveexec_b64 s[8:9], s[12:13]
; %bb.3754:
	s_mov_b32 s10, 0x7f800001
	s_xor_b64 s[4:5], exec, -1
; %bb.3755:
	s_or_b64 exec, exec, s[8:9]
	s_and_b64 s[4:5], s[4:5], exec
	s_or_saveexec_b64 s[6:7], s[6:7]
	v_mov_b32_e32 v2, s10
	s_xor_b64 exec, exec, s[6:7]
	s_cbranch_execz .LBB40_1706
.LBB40_3756:
	v_mov_b32_e32 v2, 0
	v_cmp_ne_u16_sdwa s[8:9], v6, v2 src0_sel:BYTE_0 src1_sel:DWORD
	s_andn2_b64 s[4:5], s[4:5], exec
	s_and_b64 s[8:9], s[8:9], exec
	s_or_b64 s[4:5], s[4:5], s[8:9]
	s_or_b64 exec, exec, s[6:7]
	s_and_saveexec_b64 s[6:7], s[4:5]
	s_cbranch_execnz .LBB40_1707
	s_branch .LBB40_1708
.LBB40_3757:
	s_movk_i32 s4, 0x80
	v_cmp_eq_u16_sdwa s[12:13], v6, s4 src0_sel:BYTE_0 src1_sel:DWORD
	s_mov_b64 s[4:5], -1
                                        ; implicit-def: $sgpr10
	s_and_saveexec_b64 s[8:9], s[12:13]
; %bb.3758:
	s_mov_b32 s10, 0x7f800001
	s_xor_b64 s[4:5], exec, -1
; %bb.3759:
	s_or_b64 exec, exec, s[8:9]
	s_and_b64 s[4:5], s[4:5], exec
	s_or_saveexec_b64 s[6:7], s[6:7]
	v_mov_b32_e32 v10, s10
	s_xor_b64 exec, exec, s[6:7]
	s_cbranch_execz .LBB40_1710
.LBB40_3760:
	v_mov_b32_e32 v10, 0
	v_cmp_ne_u16_sdwa s[8:9], v6, v10 src0_sel:BYTE_0 src1_sel:DWORD
	s_andn2_b64 s[4:5], s[4:5], exec
	s_and_b64 s[8:9], s[8:9], exec
	s_or_b64 s[4:5], s[4:5], s[8:9]
	s_or_b64 exec, exec, s[6:7]
	s_and_saveexec_b64 s[6:7], s[4:5]
	s_cbranch_execnz .LBB40_1711
	s_branch .LBB40_1712
.LBB40_3761:
	s_movk_i32 s4, 0x80
	v_cmp_eq_u16_e32 vcc, s4, v6
	s_mov_b64 s[4:5], -1
                                        ; implicit-def: $sgpr10
	s_and_saveexec_b64 s[8:9], vcc
; %bb.3762:
	s_mov_b32 s10, 0x7f800001
	s_xor_b64 s[4:5], exec, -1
; %bb.3763:
	s_or_b64 exec, exec, s[8:9]
	s_and_b64 s[4:5], s[4:5], exec
                                        ; implicit-def: $vgpr6
	s_or_saveexec_b64 s[6:7], s[6:7]
	v_mov_b32_e32 v2, s10
	s_xor_b64 exec, exec, s[6:7]
	s_cbranch_execz .LBB40_1714
.LBB40_3764:
	v_cmp_ne_u16_e32 vcc, 0, v6
	s_andn2_b64 s[4:5], s[4:5], exec
	s_and_b64 s[8:9], vcc, exec
	v_mov_b32_e32 v2, 0
	s_or_b64 s[4:5], s[4:5], s[8:9]
	s_or_b64 exec, exec, s[6:7]
	s_and_saveexec_b64 s[6:7], s[4:5]
	s_cbranch_execnz .LBB40_1715
	s_branch .LBB40_1716
.LBB40_3765:
	s_movk_i32 s4, 0x80
	v_cmp_eq_u16_e32 vcc, s4, v6
	s_mov_b64 s[4:5], -1
                                        ; implicit-def: $sgpr10
	s_and_saveexec_b64 s[8:9], vcc
; %bb.3766:
	s_mov_b32 s10, 0x7f800001
	s_xor_b64 s[4:5], exec, -1
; %bb.3767:
	s_or_b64 exec, exec, s[8:9]
	s_and_b64 s[4:5], s[4:5], exec
                                        ; implicit-def: $vgpr6
	s_or_saveexec_b64 s[6:7], s[6:7]
	v_mov_b32_e32 v10, s10
	s_xor_b64 exec, exec, s[6:7]
	s_cbranch_execz .LBB40_1718
.LBB40_3768:
	v_cmp_ne_u16_e32 vcc, 0, v6
	s_andn2_b64 s[4:5], s[4:5], exec
	s_and_b64 s[8:9], vcc, exec
	v_mov_b32_e32 v10, 0
	s_or_b64 s[4:5], s[4:5], s[8:9]
	s_or_b64 exec, exec, s[6:7]
	s_and_saveexec_b64 s[6:7], s[4:5]
	s_cbranch_execnz .LBB40_1719
	s_branch .LBB40_1720
.LBB40_3769:
	s_movk_i32 s4, 0x80
	v_cmp_eq_u16_sdwa s[12:13], v7, s4 src0_sel:BYTE_3 src1_sel:DWORD
	s_mov_b64 s[4:5], -1
                                        ; implicit-def: $sgpr10
	s_and_saveexec_b64 s[8:9], s[12:13]
; %bb.3770:
	s_mov_b32 s10, 0x7f800001
	s_xor_b64 s[4:5], exec, -1
; %bb.3771:
	s_or_b64 exec, exec, s[8:9]
	s_and_b64 s[4:5], s[4:5], exec
	s_or_saveexec_b64 s[6:7], s[6:7]
	v_mov_b32_e32 v2, s10
	s_xor_b64 exec, exec, s[6:7]
	s_cbranch_execz .LBB40_1722
.LBB40_3772:
	v_mov_b32_e32 v2, 0
	v_cmp_ne_u16_sdwa s[8:9], v7, v2 src0_sel:BYTE_3 src1_sel:DWORD
	s_andn2_b64 s[4:5], s[4:5], exec
	s_and_b64 s[8:9], s[8:9], exec
	s_or_b64 s[4:5], s[4:5], s[8:9]
	s_or_b64 exec, exec, s[6:7]
	s_and_saveexec_b64 s[6:7], s[4:5]
	s_cbranch_execnz .LBB40_1723
	s_branch .LBB40_1724
.LBB40_3773:
	s_movk_i32 s4, 0x80
	v_cmp_eq_u16_sdwa s[12:13], v3, s4 src0_sel:BYTE_3 src1_sel:DWORD
	s_mov_b64 s[4:5], -1
                                        ; implicit-def: $sgpr10
	s_and_saveexec_b64 s[8:9], s[12:13]
; %bb.3774:
	s_mov_b32 s10, 0x7f800001
	s_xor_b64 s[4:5], exec, -1
; %bb.3775:
	s_or_b64 exec, exec, s[8:9]
	s_and_b64 s[4:5], s[4:5], exec
	s_or_saveexec_b64 s[6:7], s[6:7]
	v_mov_b32_e32 v6, s10
	s_xor_b64 exec, exec, s[6:7]
	s_cbranch_execz .LBB40_1726
.LBB40_3776:
	v_mov_b32_e32 v6, 0
	v_cmp_ne_u16_sdwa s[8:9], v3, v6 src0_sel:BYTE_3 src1_sel:DWORD
	s_andn2_b64 s[4:5], s[4:5], exec
	s_and_b64 s[8:9], s[8:9], exec
	s_or_b64 s[4:5], s[4:5], s[8:9]
	s_or_b64 exec, exec, s[6:7]
	s_and_saveexec_b64 s[6:7], s[4:5]
	s_cbranch_execnz .LBB40_1727
	s_branch .LBB40_1728
.LBB40_3777:
	s_movk_i32 s4, 0x80
	v_cmp_eq_u16_sdwa s[12:13], v8, s4 src0_sel:BYTE_0 src1_sel:DWORD
	s_mov_b64 s[4:5], -1
                                        ; implicit-def: $sgpr10
	s_and_saveexec_b64 s[8:9], s[12:13]
; %bb.3778:
	s_mov_b32 s10, 0x7f800001
	s_xor_b64 s[4:5], exec, -1
; %bb.3779:
	s_or_b64 exec, exec, s[8:9]
	s_and_b64 s[4:5], s[4:5], exec
	s_or_saveexec_b64 s[6:7], s[6:7]
	v_mov_b32_e32 v2, s10
	s_xor_b64 exec, exec, s[6:7]
	s_cbranch_execz .LBB40_1730
.LBB40_3780:
	v_mov_b32_e32 v2, 0
	v_cmp_ne_u16_sdwa s[8:9], v8, v2 src0_sel:BYTE_0 src1_sel:DWORD
	s_andn2_b64 s[4:5], s[4:5], exec
	s_and_b64 s[8:9], s[8:9], exec
	s_or_b64 s[4:5], s[4:5], s[8:9]
	s_or_b64 exec, exec, s[6:7]
	s_and_saveexec_b64 s[6:7], s[4:5]
	s_cbranch_execnz .LBB40_1731
	s_branch .LBB40_1732
.LBB40_3781:
	s_movk_i32 s4, 0x80
	v_cmp_eq_u16_sdwa s[12:13], v4, s4 src0_sel:BYTE_0 src1_sel:DWORD
	s_mov_b64 s[4:5], -1
                                        ; implicit-def: $sgpr10
	s_and_saveexec_b64 s[8:9], s[12:13]
; %bb.3782:
	s_mov_b32 s10, 0x7f800001
	s_xor_b64 s[4:5], exec, -1
; %bb.3783:
	s_or_b64 exec, exec, s[8:9]
	s_and_b64 s[4:5], s[4:5], exec
	s_or_saveexec_b64 s[6:7], s[6:7]
	v_mov_b32_e32 v3, s10
	s_xor_b64 exec, exec, s[6:7]
	s_cbranch_execz .LBB40_1734
.LBB40_3784:
	v_mov_b32_e32 v3, 0
	v_cmp_ne_u16_sdwa s[8:9], v4, v3 src0_sel:BYTE_0 src1_sel:DWORD
	s_andn2_b64 s[4:5], s[4:5], exec
	s_and_b64 s[8:9], s[8:9], exec
	s_or_b64 s[4:5], s[4:5], s[8:9]
	s_or_b64 exec, exec, s[6:7]
	s_and_saveexec_b64 s[6:7], s[4:5]
	s_cbranch_execnz .LBB40_1735
	s_branch .LBB40_1736
.LBB40_3785:
	s_movk_i32 s4, 0x80
	v_cmp_eq_u16_sdwa s[12:13], v3, s4 src0_sel:BYTE_0 src1_sel:DWORD
	s_mov_b64 s[4:5], -1
                                        ; implicit-def: $sgpr10
	s_and_saveexec_b64 s[8:9], s[12:13]
; %bb.3786:
	s_mov_b32 s10, 0x7f800001
	s_xor_b64 s[4:5], exec, -1
; %bb.3787:
	s_or_b64 exec, exec, s[8:9]
	s_and_b64 s[4:5], s[4:5], exec
	s_or_saveexec_b64 s[6:7], s[6:7]
	v_mov_b32_e32 v2, s10
	s_xor_b64 exec, exec, s[6:7]
	s_cbranch_execz .LBB40_1738
.LBB40_3788:
	v_mov_b32_e32 v2, 0
	v_cmp_ne_u16_sdwa s[8:9], v3, v2 src0_sel:BYTE_0 src1_sel:DWORD
	s_andn2_b64 s[4:5], s[4:5], exec
	s_and_b64 s[8:9], s[8:9], exec
	s_or_b64 s[4:5], s[4:5], s[8:9]
	s_or_b64 exec, exec, s[6:7]
	s_and_saveexec_b64 s[6:7], s[4:5]
	s_cbranch_execnz .LBB40_1739
	s_branch .LBB40_1740
.LBB40_3789:
	s_movk_i32 s4, 0x80
	v_cmp_eq_u16_sdwa s[12:13], v3, s4 src0_sel:BYTE_0 src1_sel:DWORD
	s_mov_b64 s[4:5], -1
                                        ; implicit-def: $sgpr10
	s_and_saveexec_b64 s[8:9], s[12:13]
; %bb.3790:
	s_mov_b32 s10, 0x7f800001
	s_xor_b64 s[4:5], exec, -1
; %bb.3791:
	s_or_b64 exec, exec, s[8:9]
	s_and_b64 s[4:5], s[4:5], exec
	s_or_saveexec_b64 s[6:7], s[6:7]
	v_mov_b32_e32 v6, s10
	s_xor_b64 exec, exec, s[6:7]
	s_cbranch_execz .LBB40_1742
.LBB40_3792:
	v_mov_b32_e32 v6, 0
	v_cmp_ne_u16_sdwa s[8:9], v3, v6 src0_sel:BYTE_0 src1_sel:DWORD
	s_andn2_b64 s[4:5], s[4:5], exec
	s_and_b64 s[8:9], s[8:9], exec
	s_or_b64 s[4:5], s[4:5], s[8:9]
	s_or_b64 exec, exec, s[6:7]
	s_and_saveexec_b64 s[6:7], s[4:5]
	s_cbranch_execnz .LBB40_1743
	s_branch .LBB40_1744
.LBB40_3793:
	s_movk_i32 s4, 0x80
	v_cmp_eq_u16_e32 vcc, s4, v3
	s_mov_b64 s[4:5], -1
                                        ; implicit-def: $sgpr10
	s_and_saveexec_b64 s[8:9], vcc
; %bb.3794:
	s_mov_b32 s10, 0x7f800001
	s_xor_b64 s[4:5], exec, -1
; %bb.3795:
	s_or_b64 exec, exec, s[8:9]
	s_and_b64 s[4:5], s[4:5], exec
                                        ; implicit-def: $vgpr3
	s_or_saveexec_b64 s[6:7], s[6:7]
	v_mov_b32_e32 v2, s10
	s_xor_b64 exec, exec, s[6:7]
	s_cbranch_execz .LBB40_1746
.LBB40_3796:
	v_cmp_ne_u16_e32 vcc, 0, v3
	s_andn2_b64 s[4:5], s[4:5], exec
	s_and_b64 s[8:9], vcc, exec
	v_mov_b32_e32 v2, 0
	s_or_b64 s[4:5], s[4:5], s[8:9]
	s_or_b64 exec, exec, s[6:7]
	s_and_saveexec_b64 s[6:7], s[4:5]
	s_cbranch_execnz .LBB40_1747
	s_branch .LBB40_1748
.LBB40_3797:
	s_movk_i32 s4, 0x80
	v_cmp_eq_u16_e32 vcc, s4, v3
	s_mov_b64 s[4:5], -1
                                        ; implicit-def: $sgpr10
	s_and_saveexec_b64 s[8:9], vcc
; %bb.3798:
	s_mov_b32 s10, 0x7f800001
	s_xor_b64 s[4:5], exec, -1
; %bb.3799:
	s_or_b64 exec, exec, s[8:9]
	s_and_b64 s[4:5], s[4:5], exec
                                        ; implicit-def: $vgpr3
	s_or_saveexec_b64 s[6:7], s[6:7]
	v_mov_b32_e32 v6, s10
	s_xor_b64 exec, exec, s[6:7]
	s_cbranch_execz .LBB40_1750
.LBB40_3800:
	v_cmp_ne_u16_e32 vcc, 0, v3
	s_andn2_b64 s[4:5], s[4:5], exec
	s_and_b64 s[8:9], vcc, exec
	v_mov_b32_e32 v6, 0
	s_or_b64 s[4:5], s[4:5], s[8:9]
	s_or_b64 exec, exec, s[6:7]
	s_and_saveexec_b64 s[6:7], s[4:5]
	s_cbranch_execnz .LBB40_1751
	s_branch .LBB40_1752
.LBB40_3801:
	s_movk_i32 s4, 0x80
	v_cmp_eq_u16_sdwa s[12:13], v8, s4 src0_sel:BYTE_3 src1_sel:DWORD
	s_mov_b64 s[4:5], -1
                                        ; implicit-def: $sgpr10
	s_and_saveexec_b64 s[8:9], s[12:13]
; %bb.3802:
	s_mov_b32 s10, 0x7f800001
	s_xor_b64 s[4:5], exec, -1
; %bb.3803:
	s_or_b64 exec, exec, s[8:9]
	s_and_b64 s[4:5], s[4:5], exec
	s_or_saveexec_b64 s[6:7], s[6:7]
	v_mov_b32_e32 v2, s10
	s_xor_b64 exec, exec, s[6:7]
	s_cbranch_execz .LBB40_1754
.LBB40_3804:
	v_mov_b32_e32 v2, 0
	v_cmp_ne_u16_sdwa s[8:9], v8, v2 src0_sel:BYTE_3 src1_sel:DWORD
	s_andn2_b64 s[4:5], s[4:5], exec
	s_and_b64 s[8:9], s[8:9], exec
	s_or_b64 s[4:5], s[4:5], s[8:9]
	s_or_b64 exec, exec, s[6:7]
	s_and_saveexec_b64 s[6:7], s[4:5]
	s_cbranch_execnz .LBB40_1755
	s_branch .LBB40_1756
.LBB40_3805:
	s_movk_i32 s4, 0x80
	v_cmp_eq_u16_sdwa s[12:13], v4, s4 src0_sel:BYTE_3 src1_sel:DWORD
	s_mov_b64 s[4:5], -1
                                        ; implicit-def: $sgpr10
	s_and_saveexec_b64 s[8:9], s[12:13]
; %bb.3806:
	s_mov_b32 s10, 0x7f800001
	s_xor_b64 s[4:5], exec, -1
; %bb.3807:
	s_or_b64 exec, exec, s[8:9]
	s_and_b64 s[4:5], s[4:5], exec
	s_or_saveexec_b64 s[6:7], s[6:7]
	v_mov_b32_e32 v3, s10
	s_xor_b64 exec, exec, s[6:7]
	s_cbranch_execz .LBB40_1758
.LBB40_3808:
	v_mov_b32_e32 v3, 0
	v_cmp_ne_u16_sdwa s[8:9], v4, v3 src0_sel:BYTE_3 src1_sel:DWORD
	s_andn2_b64 s[4:5], s[4:5], exec
	s_and_b64 s[8:9], s[8:9], exec
	s_or_b64 s[4:5], s[4:5], s[8:9]
	s_or_b64 exec, exec, s[6:7]
	s_and_saveexec_b64 s[6:7], s[4:5]
	s_cbranch_execnz .LBB40_1759
	s_branch .LBB40_1760
.LBB40_3809:
	s_movk_i32 s4, 0x80
	v_cmp_eq_u16_sdwa s[12:13], v9, s4 src0_sel:BYTE_0 src1_sel:DWORD
	s_mov_b64 s[4:5], -1
                                        ; implicit-def: $sgpr10
	s_and_saveexec_b64 s[8:9], s[12:13]
; %bb.3810:
	s_mov_b32 s10, 0x7f800001
	s_xor_b64 s[4:5], exec, -1
; %bb.3811:
	s_or_b64 exec, exec, s[8:9]
	s_and_b64 s[4:5], s[4:5], exec
	s_or_saveexec_b64 s[6:7], s[6:7]
	v_mov_b32_e32 v2, s10
	s_xor_b64 exec, exec, s[6:7]
	s_cbranch_execz .LBB40_1762
.LBB40_3812:
	v_mov_b32_e32 v2, 0
	v_cmp_ne_u16_sdwa s[8:9], v9, v2 src0_sel:BYTE_0 src1_sel:DWORD
	s_andn2_b64 s[4:5], s[4:5], exec
	s_and_b64 s[8:9], s[8:9], exec
	s_or_b64 s[4:5], s[4:5], s[8:9]
	s_or_b64 exec, exec, s[6:7]
	s_and_saveexec_b64 s[6:7], s[4:5]
	s_cbranch_execnz .LBB40_1763
	s_branch .LBB40_1764
.LBB40_3813:
	s_movk_i32 s4, 0x80
	v_cmp_eq_u16_sdwa s[12:13], v5, s4 src0_sel:BYTE_0 src1_sel:DWORD
	s_mov_b64 s[4:5], -1
                                        ; implicit-def: $sgpr10
	s_and_saveexec_b64 s[8:9], s[12:13]
; %bb.3814:
	s_mov_b32 s10, 0x7f800001
	s_xor_b64 s[4:5], exec, -1
; %bb.3815:
	s_or_b64 exec, exec, s[8:9]
	s_and_b64 s[4:5], s[4:5], exec
	s_or_saveexec_b64 s[6:7], s[6:7]
	v_mov_b32_e32 v3, s10
	s_xor_b64 exec, exec, s[6:7]
	s_cbranch_execz .LBB40_1766
.LBB40_3816:
	v_mov_b32_e32 v3, 0
	v_cmp_ne_u16_sdwa s[8:9], v5, v3 src0_sel:BYTE_0 src1_sel:DWORD
	s_andn2_b64 s[4:5], s[4:5], exec
	s_and_b64 s[8:9], s[8:9], exec
	s_or_b64 s[4:5], s[4:5], s[8:9]
	s_or_b64 exec, exec, s[6:7]
	s_and_saveexec_b64 s[6:7], s[4:5]
	s_cbranch_execnz .LBB40_1767
	s_branch .LBB40_1768
.LBB40_3817:
	s_movk_i32 s4, 0x80
	v_cmp_eq_u16_sdwa s[12:13], v3, s4 src0_sel:BYTE_0 src1_sel:DWORD
	s_mov_b64 s[4:5], -1
                                        ; implicit-def: $sgpr10
	s_and_saveexec_b64 s[8:9], s[12:13]
; %bb.3818:
	s_mov_b32 s10, 0x7f800001
	s_xor_b64 s[4:5], exec, -1
; %bb.3819:
	s_or_b64 exec, exec, s[8:9]
	s_and_b64 s[4:5], s[4:5], exec
	s_or_saveexec_b64 s[6:7], s[6:7]
	v_mov_b32_e32 v2, s10
	s_xor_b64 exec, exec, s[6:7]
	s_cbranch_execz .LBB40_1770
.LBB40_3820:
	v_mov_b32_e32 v2, 0
	v_cmp_ne_u16_sdwa s[8:9], v3, v2 src0_sel:BYTE_0 src1_sel:DWORD
	s_andn2_b64 s[4:5], s[4:5], exec
	s_and_b64 s[8:9], s[8:9], exec
	s_or_b64 s[4:5], s[4:5], s[8:9]
	s_or_b64 exec, exec, s[6:7]
	s_and_saveexec_b64 s[6:7], s[4:5]
	s_cbranch_execnz .LBB40_1771
	s_branch .LBB40_1772
.LBB40_3821:
	s_movk_i32 s4, 0x80
	v_cmp_eq_u16_sdwa s[12:13], v3, s4 src0_sel:BYTE_0 src1_sel:DWORD
	s_mov_b64 s[4:5], -1
                                        ; implicit-def: $sgpr10
	s_and_saveexec_b64 s[8:9], s[12:13]
; %bb.3822:
	s_mov_b32 s10, 0x7f800001
	s_xor_b64 s[4:5], exec, -1
; %bb.3823:
	s_or_b64 exec, exec, s[8:9]
	s_and_b64 s[4:5], s[4:5], exec
	s_or_saveexec_b64 s[6:7], s[6:7]
	v_mov_b32_e32 v4, s10
	s_xor_b64 exec, exec, s[6:7]
	s_cbranch_execz .LBB40_1774
.LBB40_3824:
	v_mov_b32_e32 v4, 0
	v_cmp_ne_u16_sdwa s[8:9], v3, v4 src0_sel:BYTE_0 src1_sel:DWORD
	s_andn2_b64 s[4:5], s[4:5], exec
	s_and_b64 s[8:9], s[8:9], exec
	s_or_b64 s[4:5], s[4:5], s[8:9]
	s_or_b64 exec, exec, s[6:7]
	s_and_saveexec_b64 s[6:7], s[4:5]
	s_cbranch_execnz .LBB40_1775
	s_branch .LBB40_1776
.LBB40_3825:
	s_movk_i32 s4, 0x80
	v_cmp_eq_u16_e32 vcc, s4, v3
	s_mov_b64 s[4:5], -1
                                        ; implicit-def: $sgpr10
	s_and_saveexec_b64 s[8:9], vcc
; %bb.3826:
	s_mov_b32 s10, 0x7f800001
	s_xor_b64 s[4:5], exec, -1
; %bb.3827:
	s_or_b64 exec, exec, s[8:9]
	s_and_b64 s[4:5], s[4:5], exec
                                        ; implicit-def: $vgpr3
	s_or_saveexec_b64 s[6:7], s[6:7]
	v_mov_b32_e32 v2, s10
	s_xor_b64 exec, exec, s[6:7]
	s_cbranch_execz .LBB40_1778
.LBB40_3828:
	v_cmp_ne_u16_e32 vcc, 0, v3
	s_andn2_b64 s[4:5], s[4:5], exec
	s_and_b64 s[8:9], vcc, exec
	v_mov_b32_e32 v2, 0
	s_or_b64 s[4:5], s[4:5], s[8:9]
	s_or_b64 exec, exec, s[6:7]
	s_and_saveexec_b64 s[6:7], s[4:5]
	s_cbranch_execnz .LBB40_1779
	s_branch .LBB40_1780
.LBB40_3829:
	s_movk_i32 s4, 0x80
	v_cmp_eq_u16_e32 vcc, s4, v3
	s_mov_b64 s[4:5], -1
                                        ; implicit-def: $sgpr10
	s_and_saveexec_b64 s[8:9], vcc
; %bb.3830:
	s_mov_b32 s10, 0x7f800001
	s_xor_b64 s[4:5], exec, -1
; %bb.3831:
	s_or_b64 exec, exec, s[8:9]
	s_and_b64 s[4:5], s[4:5], exec
                                        ; implicit-def: $vgpr3
	s_or_saveexec_b64 s[6:7], s[6:7]
	v_mov_b32_e32 v4, s10
	s_xor_b64 exec, exec, s[6:7]
	s_cbranch_execz .LBB40_1782
.LBB40_3832:
	v_cmp_ne_u16_e32 vcc, 0, v3
	s_andn2_b64 s[4:5], s[4:5], exec
	s_and_b64 s[8:9], vcc, exec
	v_mov_b32_e32 v4, 0
	s_or_b64 s[4:5], s[4:5], s[8:9]
	s_or_b64 exec, exec, s[6:7]
	s_and_saveexec_b64 s[6:7], s[4:5]
	s_cbranch_execnz .LBB40_1783
	s_branch .LBB40_1784
.LBB40_3833:
	s_movk_i32 s4, 0x80
	v_cmp_eq_u16_sdwa s[12:13], v9, s4 src0_sel:BYTE_3 src1_sel:DWORD
	s_mov_b64 s[4:5], -1
                                        ; implicit-def: $sgpr10
	s_and_saveexec_b64 s[8:9], s[12:13]
; %bb.3834:
	s_mov_b32 s10, 0x7f800001
	s_xor_b64 s[4:5], exec, -1
; %bb.3835:
	s_or_b64 exec, exec, s[8:9]
	s_and_b64 s[4:5], s[4:5], exec
	s_or_saveexec_b64 s[6:7], s[6:7]
	v_mov_b32_e32 v2, s10
	s_xor_b64 exec, exec, s[6:7]
	s_cbranch_execz .LBB40_1786
.LBB40_3836:
	v_mov_b32_e32 v2, 0
	v_cmp_ne_u16_sdwa s[8:9], v9, v2 src0_sel:BYTE_3 src1_sel:DWORD
	s_andn2_b64 s[4:5], s[4:5], exec
	s_and_b64 s[8:9], s[8:9], exec
	s_or_b64 s[4:5], s[4:5], s[8:9]
	s_or_b64 exec, exec, s[6:7]
	s_and_saveexec_b64 s[6:7], s[4:5]
	s_cbranch_execnz .LBB40_1787
	s_branch .LBB40_1788
.LBB40_3837:
	s_movk_i32 s4, 0x80
	v_cmp_eq_u16_sdwa s[12:13], v5, s4 src0_sel:BYTE_3 src1_sel:DWORD
	s_mov_b64 s[4:5], -1
                                        ; implicit-def: $sgpr10
	s_and_saveexec_b64 s[8:9], s[12:13]
; %bb.3838:
	s_mov_b32 s10, 0x7f800001
	s_xor_b64 s[4:5], exec, -1
; %bb.3839:
	s_or_b64 exec, exec, s[8:9]
	s_and_b64 s[4:5], s[4:5], exec
	s_or_saveexec_b64 s[6:7], s[6:7]
	v_mov_b32_e32 v3, s10
	s_xor_b64 exec, exec, s[6:7]
	s_cbranch_execz .LBB40_1790
.LBB40_3840:
	v_mov_b32_e32 v3, 0
	v_cmp_ne_u16_sdwa s[8:9], v5, v3 src0_sel:BYTE_3 src1_sel:DWORD
	s_andn2_b64 s[4:5], s[4:5], exec
	s_and_b64 s[8:9], s[8:9], exec
	s_or_b64 s[4:5], s[4:5], s[8:9]
	s_or_b64 exec, exec, s[6:7]
	s_and_saveexec_b64 s[6:7], s[4:5]
	s_cbranch_execnz .LBB40_1791
	s_branch .LBB40_1792
.LBB40_3841:
	s_movk_i32 s4, 0x80
	v_cmp_eq_u16_sdwa s[12:13], v12, s4 src0_sel:BYTE_0 src1_sel:DWORD
	s_mov_b64 s[4:5], -1
                                        ; implicit-def: $sgpr10
	s_and_saveexec_b64 s[8:9], s[12:13]
; %bb.3842:
	s_mov_b32 s10, 0x7f800001
	s_xor_b64 s[4:5], exec, -1
; %bb.3843:
	s_or_b64 exec, exec, s[8:9]
	s_and_b64 s[4:5], s[4:5], exec
	s_or_saveexec_b64 s[6:7], s[6:7]
	v_mov_b32_e32 v18, s10
	s_xor_b64 exec, exec, s[6:7]
	s_cbranch_execz .LBB40_1794
.LBB40_3844:
	v_mov_b32_e32 v18, 0
	v_cmp_ne_u16_sdwa s[8:9], v12, v18 src0_sel:BYTE_0 src1_sel:DWORD
	s_andn2_b64 s[4:5], s[4:5], exec
	s_and_b64 s[8:9], s[8:9], exec
	s_or_b64 s[4:5], s[4:5], s[8:9]
	s_or_b64 exec, exec, s[6:7]
	s_and_saveexec_b64 s[6:7], s[4:5]
	s_cbranch_execnz .LBB40_1795
	s_branch .LBB40_1796
.LBB40_3845:
	s_movk_i32 s4, 0x80
	v_cmp_eq_u16_sdwa s[12:13], v8, s4 src0_sel:BYTE_0 src1_sel:DWORD
	s_mov_b64 s[4:5], -1
                                        ; implicit-def: $sgpr10
	s_and_saveexec_b64 s[8:9], s[12:13]
; %bb.3846:
	s_mov_b32 s10, 0x7f800001
	s_xor_b64 s[4:5], exec, -1
; %bb.3847:
	s_or_b64 exec, exec, s[8:9]
	s_and_b64 s[4:5], s[4:5], exec
	s_or_saveexec_b64 s[6:7], s[6:7]
	v_mov_b32_e32 v19, s10
	s_xor_b64 exec, exec, s[6:7]
	s_cbranch_execz .LBB40_1798
.LBB40_3848:
	v_mov_b32_e32 v19, 0
	v_cmp_ne_u16_sdwa s[8:9], v8, v19 src0_sel:BYTE_0 src1_sel:DWORD
	s_andn2_b64 s[4:5], s[4:5], exec
	s_and_b64 s[8:9], s[8:9], exec
	s_or_b64 s[4:5], s[4:5], s[8:9]
	s_or_b64 exec, exec, s[6:7]
	s_and_saveexec_b64 s[6:7], s[4:5]
	s_cbranch_execnz .LBB40_1799
	s_branch .LBB40_1800
.LBB40_3849:
	s_movk_i32 s4, 0x80
	v_cmp_eq_u16_sdwa s[12:13], v19, s4 src0_sel:BYTE_0 src1_sel:DWORD
	s_mov_b64 s[4:5], -1
                                        ; implicit-def: $sgpr10
	s_and_saveexec_b64 s[8:9], s[12:13]
; %bb.3850:
	s_mov_b32 s10, 0x7f800001
	s_xor_b64 s[4:5], exec, -1
; %bb.3851:
	s_or_b64 exec, exec, s[8:9]
	s_and_b64 s[4:5], s[4:5], exec
	s_or_saveexec_b64 s[6:7], s[6:7]
	v_mov_b32_e32 v18, s10
	s_xor_b64 exec, exec, s[6:7]
	s_cbranch_execz .LBB40_1802
.LBB40_3852:
	v_mov_b32_e32 v18, 0
	v_cmp_ne_u16_sdwa s[8:9], v19, v18 src0_sel:BYTE_0 src1_sel:DWORD
	s_andn2_b64 s[4:5], s[4:5], exec
	s_and_b64 s[8:9], s[8:9], exec
	s_or_b64 s[4:5], s[4:5], s[8:9]
	s_or_b64 exec, exec, s[6:7]
	s_and_saveexec_b64 s[6:7], s[4:5]
	s_cbranch_execnz .LBB40_1803
	s_branch .LBB40_1804
.LBB40_3853:
	s_movk_i32 s4, 0x80
	v_cmp_eq_u16_sdwa s[12:13], v19, s4 src0_sel:BYTE_0 src1_sel:DWORD
	s_mov_b64 s[4:5], -1
                                        ; implicit-def: $sgpr10
	s_and_saveexec_b64 s[8:9], s[12:13]
; %bb.3854:
	s_mov_b32 s10, 0x7f800001
	s_xor_b64 s[4:5], exec, -1
; %bb.3855:
	s_or_b64 exec, exec, s[8:9]
	s_and_b64 s[4:5], s[4:5], exec
	s_or_saveexec_b64 s[6:7], s[6:7]
	v_mov_b32_e32 v20, s10
	s_xor_b64 exec, exec, s[6:7]
	s_cbranch_execz .LBB40_1806
.LBB40_3856:
	v_mov_b32_e32 v20, 0
	v_cmp_ne_u16_sdwa s[8:9], v19, v20 src0_sel:BYTE_0 src1_sel:DWORD
	s_andn2_b64 s[4:5], s[4:5], exec
	s_and_b64 s[8:9], s[8:9], exec
	s_or_b64 s[4:5], s[4:5], s[8:9]
	s_or_b64 exec, exec, s[6:7]
	s_and_saveexec_b64 s[6:7], s[4:5]
	s_cbranch_execnz .LBB40_1807
	s_branch .LBB40_1808
.LBB40_3857:
	s_movk_i32 s4, 0x80
	v_cmp_eq_u16_e32 vcc, s4, v19
	s_mov_b64 s[4:5], -1
                                        ; implicit-def: $sgpr10
	s_and_saveexec_b64 s[8:9], vcc
; %bb.3858:
	s_mov_b32 s10, 0x7f800001
	s_xor_b64 s[4:5], exec, -1
; %bb.3859:
	s_or_b64 exec, exec, s[8:9]
	s_and_b64 s[4:5], s[4:5], exec
                                        ; implicit-def: $vgpr19
	s_or_saveexec_b64 s[6:7], s[6:7]
	v_mov_b32_e32 v18, s10
	s_xor_b64 exec, exec, s[6:7]
	s_cbranch_execz .LBB40_1810
.LBB40_3860:
	v_cmp_ne_u16_e32 vcc, 0, v19
	s_andn2_b64 s[4:5], s[4:5], exec
	s_and_b64 s[8:9], vcc, exec
	v_mov_b32_e32 v18, 0
	s_or_b64 s[4:5], s[4:5], s[8:9]
	s_or_b64 exec, exec, s[6:7]
	s_and_saveexec_b64 s[6:7], s[4:5]
	s_cbranch_execnz .LBB40_1811
	s_branch .LBB40_1812
.LBB40_3861:
	s_movk_i32 s4, 0x80
	v_cmp_eq_u16_e32 vcc, s4, v19
	s_mov_b64 s[4:5], -1
                                        ; implicit-def: $sgpr10
	s_and_saveexec_b64 s[8:9], vcc
; %bb.3862:
	s_mov_b32 s10, 0x7f800001
	s_xor_b64 s[4:5], exec, -1
; %bb.3863:
	s_or_b64 exec, exec, s[8:9]
	s_and_b64 s[4:5], s[4:5], exec
                                        ; implicit-def: $vgpr19
	s_or_saveexec_b64 s[6:7], s[6:7]
	v_mov_b32_e32 v20, s10
	s_xor_b64 exec, exec, s[6:7]
	s_cbranch_execz .LBB40_1814
.LBB40_3864:
	v_cmp_ne_u16_e32 vcc, 0, v19
	s_andn2_b64 s[4:5], s[4:5], exec
	s_and_b64 s[8:9], vcc, exec
	v_mov_b32_e32 v20, 0
	s_or_b64 s[4:5], s[4:5], s[8:9]
	s_or_b64 exec, exec, s[6:7]
	s_and_saveexec_b64 s[6:7], s[4:5]
	s_cbranch_execnz .LBB40_1815
	s_branch .LBB40_1816
.LBB40_3865:
	s_movk_i32 s4, 0x80
	v_cmp_eq_u16_sdwa s[12:13], v12, s4 src0_sel:BYTE_3 src1_sel:DWORD
	s_mov_b64 s[4:5], -1
                                        ; implicit-def: $sgpr10
	s_and_saveexec_b64 s[8:9], s[12:13]
; %bb.3866:
	s_mov_b32 s10, 0x7f800001
	s_xor_b64 s[4:5], exec, -1
; %bb.3867:
	s_or_b64 exec, exec, s[8:9]
	s_and_b64 s[4:5], s[4:5], exec
	s_or_saveexec_b64 s[6:7], s[6:7]
	v_mov_b32_e32 v18, s10
	s_xor_b64 exec, exec, s[6:7]
	s_cbranch_execz .LBB40_1818
.LBB40_3868:
	v_mov_b32_e32 v18, 0
	v_cmp_ne_u16_sdwa s[8:9], v12, v18 src0_sel:BYTE_3 src1_sel:DWORD
	s_andn2_b64 s[4:5], s[4:5], exec
	s_and_b64 s[8:9], s[8:9], exec
	s_or_b64 s[4:5], s[4:5], s[8:9]
	s_or_b64 exec, exec, s[6:7]
	s_and_saveexec_b64 s[6:7], s[4:5]
	s_cbranch_execnz .LBB40_1819
	s_branch .LBB40_1820
.LBB40_3869:
	s_movk_i32 s4, 0x80
	v_cmp_eq_u16_sdwa s[12:13], v8, s4 src0_sel:BYTE_3 src1_sel:DWORD
	s_mov_b64 s[4:5], -1
                                        ; implicit-def: $sgpr10
	s_and_saveexec_b64 s[8:9], s[12:13]
; %bb.3870:
	s_mov_b32 s10, 0x7f800001
	s_xor_b64 s[4:5], exec, -1
; %bb.3871:
	s_or_b64 exec, exec, s[8:9]
	s_and_b64 s[4:5], s[4:5], exec
	s_or_saveexec_b64 s[6:7], s[6:7]
	v_mov_b32_e32 v12, s10
	s_xor_b64 exec, exec, s[6:7]
	s_cbranch_execz .LBB40_1822
.LBB40_3872:
	v_mov_b32_e32 v12, 0
	v_cmp_ne_u16_sdwa s[8:9], v8, v12 src0_sel:BYTE_3 src1_sel:DWORD
	s_andn2_b64 s[4:5], s[4:5], exec
	s_and_b64 s[8:9], s[8:9], exec
	s_or_b64 s[4:5], s[4:5], s[8:9]
	s_or_b64 exec, exec, s[6:7]
	s_and_saveexec_b64 s[6:7], s[4:5]
	s_cbranch_execnz .LBB40_1823
	s_branch .LBB40_1824
.LBB40_3873:
	s_movk_i32 s4, 0x80
	v_cmp_eq_u16_sdwa s[12:13], v13, s4 src0_sel:BYTE_0 src1_sel:DWORD
	s_mov_b64 s[4:5], -1
                                        ; implicit-def: $sgpr10
	s_and_saveexec_b64 s[8:9], s[12:13]
; %bb.3874:
	s_mov_b32 s10, 0x7f800001
	s_xor_b64 s[4:5], exec, -1
; %bb.3875:
	s_or_b64 exec, exec, s[8:9]
	s_and_b64 s[4:5], s[4:5], exec
	s_or_saveexec_b64 s[6:7], s[6:7]
	v_mov_b32_e32 v8, s10
	s_xor_b64 exec, exec, s[6:7]
	s_cbranch_execz .LBB40_1826
.LBB40_3876:
	v_mov_b32_e32 v8, 0
	v_cmp_ne_u16_sdwa s[8:9], v13, v8 src0_sel:BYTE_0 src1_sel:DWORD
	s_andn2_b64 s[4:5], s[4:5], exec
	s_and_b64 s[8:9], s[8:9], exec
	s_or_b64 s[4:5], s[4:5], s[8:9]
	s_or_b64 exec, exec, s[6:7]
	s_and_saveexec_b64 s[6:7], s[4:5]
	s_cbranch_execnz .LBB40_1827
	s_branch .LBB40_1828
.LBB40_3877:
	s_movk_i32 s4, 0x80
	v_cmp_eq_u16_sdwa s[12:13], v9, s4 src0_sel:BYTE_0 src1_sel:DWORD
	s_mov_b64 s[4:5], -1
                                        ; implicit-def: $sgpr10
	s_and_saveexec_b64 s[8:9], s[12:13]
; %bb.3878:
	s_mov_b32 s10, 0x7f800001
	s_xor_b64 s[4:5], exec, -1
; %bb.3879:
	s_or_b64 exec, exec, s[8:9]
	s_and_b64 s[4:5], s[4:5], exec
	s_or_saveexec_b64 s[6:7], s[6:7]
	v_mov_b32_e32 v12, s10
	s_xor_b64 exec, exec, s[6:7]
	s_cbranch_execz .LBB40_1830
.LBB40_3880:
	v_mov_b32_e32 v12, 0
	v_cmp_ne_u16_sdwa s[8:9], v9, v12 src0_sel:BYTE_0 src1_sel:DWORD
	s_andn2_b64 s[4:5], s[4:5], exec
	s_and_b64 s[8:9], s[8:9], exec
	s_or_b64 s[4:5], s[4:5], s[8:9]
	s_or_b64 exec, exec, s[6:7]
	s_and_saveexec_b64 s[6:7], s[4:5]
	s_cbranch_execnz .LBB40_1831
	s_branch .LBB40_1832
.LBB40_3881:
	s_movk_i32 s4, 0x80
	v_cmp_eq_u16_sdwa s[12:13], v12, s4 src0_sel:BYTE_0 src1_sel:DWORD
	s_mov_b64 s[4:5], -1
                                        ; implicit-def: $sgpr10
	s_and_saveexec_b64 s[8:9], s[12:13]
; %bb.3882:
	s_mov_b32 s10, 0x7f800001
	s_xor_b64 s[4:5], exec, -1
; %bb.3883:
	s_or_b64 exec, exec, s[8:9]
	s_and_b64 s[4:5], s[4:5], exec
	s_or_saveexec_b64 s[6:7], s[6:7]
	v_mov_b32_e32 v8, s10
	s_xor_b64 exec, exec, s[6:7]
	s_cbranch_execz .LBB40_1834
.LBB40_3884:
	v_mov_b32_e32 v8, 0
	v_cmp_ne_u16_sdwa s[8:9], v12, v8 src0_sel:BYTE_0 src1_sel:DWORD
	s_andn2_b64 s[4:5], s[4:5], exec
	s_and_b64 s[8:9], s[8:9], exec
	s_or_b64 s[4:5], s[4:5], s[8:9]
	s_or_b64 exec, exec, s[6:7]
	s_and_saveexec_b64 s[6:7], s[4:5]
	s_cbranch_execnz .LBB40_1835
	s_branch .LBB40_1836
.LBB40_3885:
	s_movk_i32 s4, 0x80
	v_cmp_eq_u16_sdwa s[12:13], v12, s4 src0_sel:BYTE_0 src1_sel:DWORD
	s_mov_b64 s[4:5], -1
                                        ; implicit-def: $sgpr10
	s_and_saveexec_b64 s[8:9], s[12:13]
; %bb.3886:
	s_mov_b32 s10, 0x7f800001
	s_xor_b64 s[4:5], exec, -1
; %bb.3887:
	s_or_b64 exec, exec, s[8:9]
	s_and_b64 s[4:5], s[4:5], exec
	s_or_saveexec_b64 s[6:7], s[6:7]
	v_mov_b32_e32 v18, s10
	s_xor_b64 exec, exec, s[6:7]
	s_cbranch_execz .LBB40_1838
.LBB40_3888:
	v_mov_b32_e32 v18, 0
	v_cmp_ne_u16_sdwa s[8:9], v12, v18 src0_sel:BYTE_0 src1_sel:DWORD
	s_andn2_b64 s[4:5], s[4:5], exec
	s_and_b64 s[8:9], s[8:9], exec
	s_or_b64 s[4:5], s[4:5], s[8:9]
	s_or_b64 exec, exec, s[6:7]
	s_and_saveexec_b64 s[6:7], s[4:5]
	s_cbranch_execnz .LBB40_1839
	s_branch .LBB40_1840
.LBB40_3889:
	s_movk_i32 s4, 0x80
	v_cmp_eq_u16_e32 vcc, s4, v12
	s_mov_b64 s[4:5], -1
                                        ; implicit-def: $sgpr10
	s_and_saveexec_b64 s[8:9], vcc
; %bb.3890:
	s_mov_b32 s10, 0x7f800001
	s_xor_b64 s[4:5], exec, -1
; %bb.3891:
	s_or_b64 exec, exec, s[8:9]
	s_and_b64 s[4:5], s[4:5], exec
                                        ; implicit-def: $vgpr12
	s_or_saveexec_b64 s[6:7], s[6:7]
	v_mov_b32_e32 v8, s10
	s_xor_b64 exec, exec, s[6:7]
	s_cbranch_execz .LBB40_1842
.LBB40_3892:
	v_cmp_ne_u16_e32 vcc, 0, v12
	s_andn2_b64 s[4:5], s[4:5], exec
	s_and_b64 s[8:9], vcc, exec
	v_mov_b32_e32 v8, 0
	s_or_b64 s[4:5], s[4:5], s[8:9]
	s_or_b64 exec, exec, s[6:7]
	s_and_saveexec_b64 s[6:7], s[4:5]
	s_cbranch_execnz .LBB40_1843
	s_branch .LBB40_1844
.LBB40_3893:
	s_movk_i32 s4, 0x80
	v_cmp_eq_u16_e32 vcc, s4, v12
	s_mov_b64 s[4:5], -1
                                        ; implicit-def: $sgpr10
	s_and_saveexec_b64 s[8:9], vcc
; %bb.3894:
	s_mov_b32 s10, 0x7f800001
	s_xor_b64 s[4:5], exec, -1
; %bb.3895:
	s_or_b64 exec, exec, s[8:9]
	s_and_b64 s[4:5], s[4:5], exec
                                        ; implicit-def: $vgpr12
	s_or_saveexec_b64 s[6:7], s[6:7]
	v_mov_b32_e32 v18, s10
	s_xor_b64 exec, exec, s[6:7]
	s_cbranch_execz .LBB40_1846
.LBB40_3896:
	v_cmp_ne_u16_e32 vcc, 0, v12
	s_andn2_b64 s[4:5], s[4:5], exec
	s_and_b64 s[8:9], vcc, exec
	v_mov_b32_e32 v18, 0
	s_or_b64 s[4:5], s[4:5], s[8:9]
	s_or_b64 exec, exec, s[6:7]
	s_and_saveexec_b64 s[6:7], s[4:5]
	s_cbranch_execnz .LBB40_1847
	s_branch .LBB40_1848
.LBB40_3897:
	s_movk_i32 s4, 0x80
	v_cmp_eq_u16_sdwa s[12:13], v13, s4 src0_sel:BYTE_3 src1_sel:DWORD
	s_mov_b64 s[4:5], -1
                                        ; implicit-def: $sgpr10
	s_and_saveexec_b64 s[8:9], s[12:13]
; %bb.3898:
	s_mov_b32 s10, 0x7f800001
	s_xor_b64 s[4:5], exec, -1
; %bb.3899:
	s_or_b64 exec, exec, s[8:9]
	s_and_b64 s[4:5], s[4:5], exec
	s_or_saveexec_b64 s[6:7], s[6:7]
	v_mov_b32_e32 v8, s10
	s_xor_b64 exec, exec, s[6:7]
	s_cbranch_execz .LBB40_1850
.LBB40_3900:
	v_mov_b32_e32 v8, 0
	v_cmp_ne_u16_sdwa s[8:9], v13, v8 src0_sel:BYTE_3 src1_sel:DWORD
	s_andn2_b64 s[4:5], s[4:5], exec
	s_and_b64 s[8:9], s[8:9], exec
	s_or_b64 s[4:5], s[4:5], s[8:9]
	s_or_b64 exec, exec, s[6:7]
	s_and_saveexec_b64 s[6:7], s[4:5]
	s_cbranch_execnz .LBB40_1851
	s_branch .LBB40_1852
.LBB40_3901:
	s_movk_i32 s4, 0x80
	v_cmp_eq_u16_sdwa s[12:13], v9, s4 src0_sel:BYTE_3 src1_sel:DWORD
	s_mov_b64 s[4:5], -1
                                        ; implicit-def: $sgpr10
	s_and_saveexec_b64 s[8:9], s[12:13]
; %bb.3902:
	s_mov_b32 s10, 0x7f800001
	s_xor_b64 s[4:5], exec, -1
; %bb.3903:
	s_or_b64 exec, exec, s[8:9]
	s_and_b64 s[4:5], s[4:5], exec
	s_or_saveexec_b64 s[6:7], s[6:7]
	v_mov_b32_e32 v12, s10
	s_xor_b64 exec, exec, s[6:7]
	s_cbranch_execz .LBB40_1854
.LBB40_3904:
	v_mov_b32_e32 v12, 0
	v_cmp_ne_u16_sdwa s[8:9], v9, v12 src0_sel:BYTE_3 src1_sel:DWORD
	s_andn2_b64 s[4:5], s[4:5], exec
	s_and_b64 s[8:9], s[8:9], exec
	s_or_b64 s[4:5], s[4:5], s[8:9]
	s_or_b64 exec, exec, s[6:7]
	s_and_saveexec_b64 s[6:7], s[4:5]
	s_cbranch_execnz .LBB40_1855
	s_branch .LBB40_1856
.LBB40_3905:
	s_movk_i32 s4, 0x80
	v_cmp_eq_u16_sdwa s[12:13], v14, s4 src0_sel:BYTE_0 src1_sel:DWORD
	s_mov_b64 s[4:5], -1
                                        ; implicit-def: $sgpr10
	s_and_saveexec_b64 s[8:9], s[12:13]
; %bb.3906:
	s_mov_b32 s10, 0x7f800001
	s_xor_b64 s[4:5], exec, -1
; %bb.3907:
	s_or_b64 exec, exec, s[8:9]
	s_and_b64 s[4:5], s[4:5], exec
	s_or_saveexec_b64 s[6:7], s[6:7]
	v_mov_b32_e32 v8, s10
	s_xor_b64 exec, exec, s[6:7]
	s_cbranch_execz .LBB40_1858
.LBB40_3908:
	v_mov_b32_e32 v8, 0
	v_cmp_ne_u16_sdwa s[8:9], v14, v8 src0_sel:BYTE_0 src1_sel:DWORD
	s_andn2_b64 s[4:5], s[4:5], exec
	s_and_b64 s[8:9], s[8:9], exec
	s_or_b64 s[4:5], s[4:5], s[8:9]
	s_or_b64 exec, exec, s[6:7]
	s_and_saveexec_b64 s[6:7], s[4:5]
	s_cbranch_execnz .LBB40_1859
	s_branch .LBB40_1860
.LBB40_3909:
	s_movk_i32 s4, 0x80
	v_cmp_eq_u16_sdwa s[12:13], v10, s4 src0_sel:BYTE_0 src1_sel:DWORD
	s_mov_b64 s[4:5], -1
                                        ; implicit-def: $sgpr10
	s_and_saveexec_b64 s[8:9], s[12:13]
; %bb.3910:
	s_mov_b32 s10, 0x7f800001
	s_xor_b64 s[4:5], exec, -1
; %bb.3911:
	s_or_b64 exec, exec, s[8:9]
	s_and_b64 s[4:5], s[4:5], exec
	s_or_saveexec_b64 s[6:7], s[6:7]
	v_mov_b32_e32 v9, s10
	s_xor_b64 exec, exec, s[6:7]
	s_cbranch_execz .LBB40_1862
.LBB40_3912:
	v_mov_b32_e32 v9, 0
	v_cmp_ne_u16_sdwa s[8:9], v10, v9 src0_sel:BYTE_0 src1_sel:DWORD
	s_andn2_b64 s[4:5], s[4:5], exec
	s_and_b64 s[8:9], s[8:9], exec
	s_or_b64 s[4:5], s[4:5], s[8:9]
	s_or_b64 exec, exec, s[6:7]
	s_and_saveexec_b64 s[6:7], s[4:5]
	s_cbranch_execnz .LBB40_1863
	s_branch .LBB40_1864
.LBB40_3913:
	s_movk_i32 s4, 0x80
	v_cmp_eq_u16_sdwa s[12:13], v9, s4 src0_sel:BYTE_0 src1_sel:DWORD
	s_mov_b64 s[4:5], -1
                                        ; implicit-def: $sgpr10
	s_and_saveexec_b64 s[8:9], s[12:13]
; %bb.3914:
	s_mov_b32 s10, 0x7f800001
	s_xor_b64 s[4:5], exec, -1
; %bb.3915:
	s_or_b64 exec, exec, s[8:9]
	s_and_b64 s[4:5], s[4:5], exec
	s_or_saveexec_b64 s[6:7], s[6:7]
	v_mov_b32_e32 v8, s10
	s_xor_b64 exec, exec, s[6:7]
	s_cbranch_execz .LBB40_1866
.LBB40_3916:
	v_mov_b32_e32 v8, 0
	v_cmp_ne_u16_sdwa s[8:9], v9, v8 src0_sel:BYTE_0 src1_sel:DWORD
	s_andn2_b64 s[4:5], s[4:5], exec
	s_and_b64 s[8:9], s[8:9], exec
	s_or_b64 s[4:5], s[4:5], s[8:9]
	s_or_b64 exec, exec, s[6:7]
	s_and_saveexec_b64 s[6:7], s[4:5]
	s_cbranch_execnz .LBB40_1867
	s_branch .LBB40_1868
.LBB40_3917:
	s_movk_i32 s4, 0x80
	v_cmp_eq_u16_sdwa s[12:13], v9, s4 src0_sel:BYTE_0 src1_sel:DWORD
	s_mov_b64 s[4:5], -1
                                        ; implicit-def: $sgpr10
	s_and_saveexec_b64 s[8:9], s[12:13]
; %bb.3918:
	s_mov_b32 s10, 0x7f800001
	s_xor_b64 s[4:5], exec, -1
; %bb.3919:
	s_or_b64 exec, exec, s[8:9]
	s_and_b64 s[4:5], s[4:5], exec
	s_or_saveexec_b64 s[6:7], s[6:7]
	v_mov_b32_e32 v12, s10
	s_xor_b64 exec, exec, s[6:7]
	s_cbranch_execz .LBB40_1870
.LBB40_3920:
	v_mov_b32_e32 v12, 0
	v_cmp_ne_u16_sdwa s[8:9], v9, v12 src0_sel:BYTE_0 src1_sel:DWORD
	s_andn2_b64 s[4:5], s[4:5], exec
	s_and_b64 s[8:9], s[8:9], exec
	s_or_b64 s[4:5], s[4:5], s[8:9]
	s_or_b64 exec, exec, s[6:7]
	s_and_saveexec_b64 s[6:7], s[4:5]
	s_cbranch_execnz .LBB40_1871
	s_branch .LBB40_1872
.LBB40_3921:
	s_movk_i32 s4, 0x80
	v_cmp_eq_u16_e32 vcc, s4, v9
	s_mov_b64 s[4:5], -1
                                        ; implicit-def: $sgpr10
	s_and_saveexec_b64 s[8:9], vcc
; %bb.3922:
	s_mov_b32 s10, 0x7f800001
	s_xor_b64 s[4:5], exec, -1
; %bb.3923:
	s_or_b64 exec, exec, s[8:9]
	s_and_b64 s[4:5], s[4:5], exec
                                        ; implicit-def: $vgpr9
	s_or_saveexec_b64 s[6:7], s[6:7]
	v_mov_b32_e32 v8, s10
	s_xor_b64 exec, exec, s[6:7]
	s_cbranch_execz .LBB40_1874
.LBB40_3924:
	v_cmp_ne_u16_e32 vcc, 0, v9
	s_andn2_b64 s[4:5], s[4:5], exec
	s_and_b64 s[8:9], vcc, exec
	v_mov_b32_e32 v8, 0
	s_or_b64 s[4:5], s[4:5], s[8:9]
	s_or_b64 exec, exec, s[6:7]
	s_and_saveexec_b64 s[6:7], s[4:5]
	s_cbranch_execnz .LBB40_1875
	s_branch .LBB40_1876
.LBB40_3925:
	s_movk_i32 s4, 0x80
	v_cmp_eq_u16_e32 vcc, s4, v9
	s_mov_b64 s[4:5], -1
                                        ; implicit-def: $sgpr10
	s_and_saveexec_b64 s[8:9], vcc
; %bb.3926:
	s_mov_b32 s10, 0x7f800001
	s_xor_b64 s[4:5], exec, -1
; %bb.3927:
	s_or_b64 exec, exec, s[8:9]
	s_and_b64 s[4:5], s[4:5], exec
                                        ; implicit-def: $vgpr9
	s_or_saveexec_b64 s[6:7], s[6:7]
	v_mov_b32_e32 v12, s10
	s_xor_b64 exec, exec, s[6:7]
	s_cbranch_execz .LBB40_1878
.LBB40_3928:
	v_cmp_ne_u16_e32 vcc, 0, v9
	s_andn2_b64 s[4:5], s[4:5], exec
	s_and_b64 s[8:9], vcc, exec
	v_mov_b32_e32 v12, 0
	s_or_b64 s[4:5], s[4:5], s[8:9]
	s_or_b64 exec, exec, s[6:7]
	s_and_saveexec_b64 s[6:7], s[4:5]
	s_cbranch_execnz .LBB40_1879
	s_branch .LBB40_1880
.LBB40_3929:
	s_movk_i32 s4, 0x80
	v_cmp_eq_u16_sdwa s[12:13], v14, s4 src0_sel:BYTE_3 src1_sel:DWORD
	s_mov_b64 s[4:5], -1
                                        ; implicit-def: $sgpr10
	s_and_saveexec_b64 s[8:9], s[12:13]
; %bb.3930:
	s_mov_b32 s10, 0x7f800001
	s_xor_b64 s[4:5], exec, -1
; %bb.3931:
	s_or_b64 exec, exec, s[8:9]
	s_and_b64 s[4:5], s[4:5], exec
	s_or_saveexec_b64 s[6:7], s[6:7]
	v_mov_b32_e32 v8, s10
	s_xor_b64 exec, exec, s[6:7]
	s_cbranch_execz .LBB40_1882
.LBB40_3932:
	v_mov_b32_e32 v8, 0
	v_cmp_ne_u16_sdwa s[8:9], v14, v8 src0_sel:BYTE_3 src1_sel:DWORD
	s_andn2_b64 s[4:5], s[4:5], exec
	s_and_b64 s[8:9], s[8:9], exec
	s_or_b64 s[4:5], s[4:5], s[8:9]
	s_or_b64 exec, exec, s[6:7]
	s_and_saveexec_b64 s[6:7], s[4:5]
	s_cbranch_execnz .LBB40_1883
	s_branch .LBB40_1884
.LBB40_3933:
	s_movk_i32 s4, 0x80
	v_cmp_eq_u16_sdwa s[12:13], v10, s4 src0_sel:BYTE_3 src1_sel:DWORD
	s_mov_b64 s[4:5], -1
                                        ; implicit-def: $sgpr10
	s_and_saveexec_b64 s[8:9], s[12:13]
; %bb.3934:
	s_mov_b32 s10, 0x7f800001
	s_xor_b64 s[4:5], exec, -1
; %bb.3935:
	s_or_b64 exec, exec, s[8:9]
	s_and_b64 s[4:5], s[4:5], exec
	s_or_saveexec_b64 s[6:7], s[6:7]
	v_mov_b32_e32 v9, s10
	s_xor_b64 exec, exec, s[6:7]
	s_cbranch_execz .LBB40_1886
.LBB40_3936:
	v_mov_b32_e32 v9, 0
	v_cmp_ne_u16_sdwa s[8:9], v10, v9 src0_sel:BYTE_3 src1_sel:DWORD
	s_andn2_b64 s[4:5], s[4:5], exec
	s_and_b64 s[8:9], s[8:9], exec
	s_or_b64 s[4:5], s[4:5], s[8:9]
	s_or_b64 exec, exec, s[6:7]
	s_and_saveexec_b64 s[6:7], s[4:5]
	s_cbranch_execnz .LBB40_1887
	s_branch .LBB40_1888
.LBB40_3937:
	s_movk_i32 s4, 0x80
	v_cmp_eq_u16_sdwa s[12:13], v15, s4 src0_sel:BYTE_0 src1_sel:DWORD
	s_mov_b64 s[4:5], -1
                                        ; implicit-def: $sgpr10
	s_and_saveexec_b64 s[8:9], s[12:13]
; %bb.3938:
	s_mov_b32 s10, 0x7f800001
	s_xor_b64 s[4:5], exec, -1
; %bb.3939:
	s_or_b64 exec, exec, s[8:9]
	s_and_b64 s[4:5], s[4:5], exec
	s_or_saveexec_b64 s[6:7], s[6:7]
	v_mov_b32_e32 v8, s10
	s_xor_b64 exec, exec, s[6:7]
	s_cbranch_execz .LBB40_1890
.LBB40_3940:
	v_mov_b32_e32 v8, 0
	v_cmp_ne_u16_sdwa s[8:9], v15, v8 src0_sel:BYTE_0 src1_sel:DWORD
	s_andn2_b64 s[4:5], s[4:5], exec
	s_and_b64 s[8:9], s[8:9], exec
	s_or_b64 s[4:5], s[4:5], s[8:9]
	s_or_b64 exec, exec, s[6:7]
	s_and_saveexec_b64 s[6:7], s[4:5]
	s_cbranch_execnz .LBB40_1891
	s_branch .LBB40_1892
.LBB40_3941:
	s_movk_i32 s4, 0x80
	v_cmp_eq_u16_sdwa s[12:13], v11, s4 src0_sel:BYTE_0 src1_sel:DWORD
	s_mov_b64 s[4:5], -1
                                        ; implicit-def: $sgpr10
	s_and_saveexec_b64 s[8:9], s[12:13]
; %bb.3942:
	s_mov_b32 s10, 0x7f800001
	s_xor_b64 s[4:5], exec, -1
; %bb.3943:
	s_or_b64 exec, exec, s[8:9]
	s_and_b64 s[4:5], s[4:5], exec
	s_or_saveexec_b64 s[6:7], s[6:7]
	v_mov_b32_e32 v9, s10
	s_xor_b64 exec, exec, s[6:7]
	s_cbranch_execz .LBB40_1894
.LBB40_3944:
	v_mov_b32_e32 v9, 0
	v_cmp_ne_u16_sdwa s[8:9], v11, v9 src0_sel:BYTE_0 src1_sel:DWORD
	s_andn2_b64 s[4:5], s[4:5], exec
	s_and_b64 s[8:9], s[8:9], exec
	s_or_b64 s[4:5], s[4:5], s[8:9]
	s_or_b64 exec, exec, s[6:7]
	s_and_saveexec_b64 s[6:7], s[4:5]
	s_cbranch_execnz .LBB40_1895
	s_branch .LBB40_1896
.LBB40_3945:
	s_movk_i32 s4, 0x80
	v_cmp_eq_u16_sdwa s[12:13], v9, s4 src0_sel:BYTE_0 src1_sel:DWORD
	s_mov_b64 s[4:5], -1
                                        ; implicit-def: $sgpr10
	s_and_saveexec_b64 s[8:9], s[12:13]
; %bb.3946:
	s_mov_b32 s10, 0x7f800001
	s_xor_b64 s[4:5], exec, -1
; %bb.3947:
	s_or_b64 exec, exec, s[8:9]
	s_and_b64 s[4:5], s[4:5], exec
	s_or_saveexec_b64 s[6:7], s[6:7]
	v_mov_b32_e32 v8, s10
	s_xor_b64 exec, exec, s[6:7]
	s_cbranch_execz .LBB40_1898
.LBB40_3948:
	v_mov_b32_e32 v8, 0
	v_cmp_ne_u16_sdwa s[8:9], v9, v8 src0_sel:BYTE_0 src1_sel:DWORD
	s_andn2_b64 s[4:5], s[4:5], exec
	s_and_b64 s[8:9], s[8:9], exec
	s_or_b64 s[4:5], s[4:5], s[8:9]
	s_or_b64 exec, exec, s[6:7]
	s_and_saveexec_b64 s[6:7], s[4:5]
	s_cbranch_execnz .LBB40_1899
	s_branch .LBB40_1900
.LBB40_3949:
	s_movk_i32 s4, 0x80
	v_cmp_eq_u16_sdwa s[12:13], v9, s4 src0_sel:BYTE_0 src1_sel:DWORD
	s_mov_b64 s[4:5], -1
                                        ; implicit-def: $sgpr10
	s_and_saveexec_b64 s[8:9], s[12:13]
; %bb.3950:
	s_mov_b32 s10, 0x7f800001
	s_xor_b64 s[4:5], exec, -1
; %bb.3951:
	s_or_b64 exec, exec, s[8:9]
	s_and_b64 s[4:5], s[4:5], exec
	s_or_saveexec_b64 s[6:7], s[6:7]
	v_mov_b32_e32 v10, s10
	s_xor_b64 exec, exec, s[6:7]
	s_cbranch_execz .LBB40_1902
.LBB40_3952:
	v_mov_b32_e32 v10, 0
	v_cmp_ne_u16_sdwa s[8:9], v9, v10 src0_sel:BYTE_0 src1_sel:DWORD
	s_andn2_b64 s[4:5], s[4:5], exec
	s_and_b64 s[8:9], s[8:9], exec
	s_or_b64 s[4:5], s[4:5], s[8:9]
	s_or_b64 exec, exec, s[6:7]
	s_and_saveexec_b64 s[6:7], s[4:5]
	s_cbranch_execnz .LBB40_1903
	s_branch .LBB40_1904
.LBB40_3953:
	s_movk_i32 s4, 0x80
	v_cmp_eq_u16_e32 vcc, s4, v9
	s_mov_b64 s[4:5], -1
                                        ; implicit-def: $sgpr10
	s_and_saveexec_b64 s[8:9], vcc
; %bb.3954:
	s_mov_b32 s10, 0x7f800001
	s_xor_b64 s[4:5], exec, -1
; %bb.3955:
	s_or_b64 exec, exec, s[8:9]
	s_and_b64 s[4:5], s[4:5], exec
                                        ; implicit-def: $vgpr9
	s_or_saveexec_b64 s[6:7], s[6:7]
	v_mov_b32_e32 v8, s10
	s_xor_b64 exec, exec, s[6:7]
	s_cbranch_execz .LBB40_1906
.LBB40_3956:
	v_cmp_ne_u16_e32 vcc, 0, v9
	s_andn2_b64 s[4:5], s[4:5], exec
	s_and_b64 s[8:9], vcc, exec
	v_mov_b32_e32 v8, 0
	s_or_b64 s[4:5], s[4:5], s[8:9]
	s_or_b64 exec, exec, s[6:7]
	s_and_saveexec_b64 s[6:7], s[4:5]
	s_cbranch_execnz .LBB40_1907
	s_branch .LBB40_1908
.LBB40_3957:
	s_movk_i32 s4, 0x80
	v_cmp_eq_u16_e32 vcc, s4, v9
	s_mov_b64 s[4:5], -1
                                        ; implicit-def: $sgpr10
	s_and_saveexec_b64 s[8:9], vcc
; %bb.3958:
	s_mov_b32 s10, 0x7f800001
	s_xor_b64 s[4:5], exec, -1
; %bb.3959:
	s_or_b64 exec, exec, s[8:9]
	s_and_b64 s[4:5], s[4:5], exec
                                        ; implicit-def: $vgpr9
	s_or_saveexec_b64 s[6:7], s[6:7]
	v_mov_b32_e32 v10, s10
	s_xor_b64 exec, exec, s[6:7]
	s_cbranch_execz .LBB40_1910
.LBB40_3960:
	v_cmp_ne_u16_e32 vcc, 0, v9
	s_andn2_b64 s[4:5], s[4:5], exec
	s_and_b64 s[8:9], vcc, exec
	v_mov_b32_e32 v10, 0
	s_or_b64 s[4:5], s[4:5], s[8:9]
	s_or_b64 exec, exec, s[6:7]
	s_and_saveexec_b64 s[6:7], s[4:5]
	s_cbranch_execnz .LBB40_1911
	s_branch .LBB40_1912
.LBB40_3961:
	s_movk_i32 s4, 0x80
	v_cmp_eq_u16_sdwa s[12:13], v15, s4 src0_sel:BYTE_3 src1_sel:DWORD
	s_mov_b64 s[4:5], -1
                                        ; implicit-def: $sgpr10
	s_and_saveexec_b64 s[8:9], s[12:13]
; %bb.3962:
	s_mov_b32 s10, 0x7f800001
	s_xor_b64 s[4:5], exec, -1
; %bb.3963:
	s_or_b64 exec, exec, s[8:9]
	s_and_b64 s[4:5], s[4:5], exec
	s_or_saveexec_b64 s[6:7], s[6:7]
	v_mov_b32_e32 v8, s10
	s_xor_b64 exec, exec, s[6:7]
	s_cbranch_execz .LBB40_1914
.LBB40_3964:
	v_mov_b32_e32 v8, 0
	v_cmp_ne_u16_sdwa s[8:9], v15, v8 src0_sel:BYTE_3 src1_sel:DWORD
	s_andn2_b64 s[4:5], s[4:5], exec
	s_and_b64 s[8:9], s[8:9], exec
	s_or_b64 s[4:5], s[4:5], s[8:9]
	s_or_b64 exec, exec, s[6:7]
	s_and_saveexec_b64 s[6:7], s[4:5]
	s_cbranch_execnz .LBB40_1915
	s_branch .LBB40_1916
.LBB40_3965:
	s_movk_i32 s4, 0x80
	v_cmp_eq_u16_sdwa s[12:13], v11, s4 src0_sel:BYTE_3 src1_sel:DWORD
	s_mov_b64 s[4:5], -1
                                        ; implicit-def: $sgpr10
	s_and_saveexec_b64 s[8:9], s[12:13]
; %bb.3966:
	s_mov_b32 s10, 0x7f800001
	s_xor_b64 s[4:5], exec, -1
; %bb.3967:
	s_or_b64 exec, exec, s[8:9]
	s_and_b64 s[4:5], s[4:5], exec
	s_or_saveexec_b64 s[6:7], s[6:7]
	v_mov_b32_e32 v9, s10
	s_xor_b64 exec, exec, s[6:7]
	s_cbranch_execz .LBB40_1918
.LBB40_3968:
	v_mov_b32_e32 v9, 0
	v_cmp_ne_u16_sdwa s[8:9], v11, v9 src0_sel:BYTE_3 src1_sel:DWORD
	s_andn2_b64 s[4:5], s[4:5], exec
	s_and_b64 s[8:9], s[8:9], exec
	s_or_b64 s[4:5], s[4:5], s[8:9]
	s_or_b64 exec, exec, s[6:7]
	s_and_saveexec_b64 s[6:7], s[4:5]
	s_cbranch_execnz .LBB40_1919
	s_branch .LBB40_1920
.LBB40_3969:
	s_movk_i32 s4, 0x80
	v_cmp_eq_u16_sdwa s[12:13], v4, s4 src0_sel:BYTE_0 src1_sel:DWORD
	s_mov_b64 s[4:5], -1
                                        ; implicit-def: $sgpr10
	s_and_saveexec_b64 s[8:9], s[12:13]
; %bb.3970:
	s_mov_b32 s10, 0x7f800001
	s_xor_b64 s[4:5], exec, -1
; %bb.3971:
	s_or_b64 exec, exec, s[8:9]
	s_and_b64 s[4:5], s[4:5], exec
	s_or_saveexec_b64 s[6:7], s[6:7]
	v_mov_b32_e32 v8, s10
	s_xor_b64 exec, exec, s[6:7]
	s_cbranch_execz .LBB40_1922
.LBB40_3972:
	v_mov_b32_e32 v8, 0
	v_cmp_ne_u16_sdwa s[8:9], v4, v8 src0_sel:BYTE_0 src1_sel:DWORD
	s_andn2_b64 s[4:5], s[4:5], exec
	s_and_b64 s[8:9], s[8:9], exec
	s_or_b64 s[4:5], s[4:5], s[8:9]
	s_or_b64 exec, exec, s[6:7]
	s_and_saveexec_b64 s[6:7], s[4:5]
	s_cbranch_execnz .LBB40_1923
	s_branch .LBB40_1924
.LBB40_3973:
	s_movk_i32 s4, 0x80
	v_cmp_eq_u16_sdwa s[12:13], v0, s4 src0_sel:BYTE_0 src1_sel:DWORD
	s_mov_b64 s[4:5], -1
                                        ; implicit-def: $sgpr10
	s_and_saveexec_b64 s[8:9], s[12:13]
; %bb.3974:
	s_mov_b32 s10, 0x7f800001
	s_xor_b64 s[4:5], exec, -1
; %bb.3975:
	s_or_b64 exec, exec, s[8:9]
	s_and_b64 s[4:5], s[4:5], exec
	s_or_saveexec_b64 s[6:7], s[6:7]
	v_mov_b32_e32 v9, s10
	s_xor_b64 exec, exec, s[6:7]
	s_cbranch_execz .LBB40_1926
.LBB40_3976:
	v_mov_b32_e32 v9, 0
	v_cmp_ne_u16_sdwa s[8:9], v0, v9 src0_sel:BYTE_0 src1_sel:DWORD
	s_andn2_b64 s[4:5], s[4:5], exec
	s_and_b64 s[8:9], s[8:9], exec
	s_or_b64 s[4:5], s[4:5], s[8:9]
	s_or_b64 exec, exec, s[6:7]
	s_and_saveexec_b64 s[6:7], s[4:5]
	s_cbranch_execnz .LBB40_1927
	s_branch .LBB40_1928
.LBB40_3977:
	s_movk_i32 s4, 0x80
	v_cmp_eq_u16_sdwa s[12:13], v9, s4 src0_sel:BYTE_0 src1_sel:DWORD
	s_mov_b64 s[4:5], -1
                                        ; implicit-def: $sgpr10
	s_and_saveexec_b64 s[8:9], s[12:13]
; %bb.3978:
	s_mov_b32 s10, 0x7f800001
	s_xor_b64 s[4:5], exec, -1
; %bb.3979:
	s_or_b64 exec, exec, s[8:9]
	s_and_b64 s[4:5], s[4:5], exec
	s_or_saveexec_b64 s[6:7], s[6:7]
	v_mov_b32_e32 v8, s10
	s_xor_b64 exec, exec, s[6:7]
	s_cbranch_execz .LBB40_1930
.LBB40_3980:
	v_mov_b32_e32 v8, 0
	v_cmp_ne_u16_sdwa s[8:9], v9, v8 src0_sel:BYTE_0 src1_sel:DWORD
	s_andn2_b64 s[4:5], s[4:5], exec
	s_and_b64 s[8:9], s[8:9], exec
	s_or_b64 s[4:5], s[4:5], s[8:9]
	s_or_b64 exec, exec, s[6:7]
	s_and_saveexec_b64 s[6:7], s[4:5]
	s_cbranch_execnz .LBB40_1931
	s_branch .LBB40_1932
.LBB40_3981:
	s_movk_i32 s4, 0x80
	v_cmp_eq_u16_sdwa s[12:13], v9, s4 src0_sel:BYTE_0 src1_sel:DWORD
	s_mov_b64 s[4:5], -1
                                        ; implicit-def: $sgpr10
	s_and_saveexec_b64 s[8:9], s[12:13]
; %bb.3982:
	s_mov_b32 s10, 0x7f800001
	s_xor_b64 s[4:5], exec, -1
; %bb.3983:
	s_or_b64 exec, exec, s[8:9]
	s_and_b64 s[4:5], s[4:5], exec
	s_or_saveexec_b64 s[6:7], s[6:7]
	v_mov_b32_e32 v10, s10
	s_xor_b64 exec, exec, s[6:7]
	s_cbranch_execz .LBB40_1934
.LBB40_3984:
	v_mov_b32_e32 v10, 0
	v_cmp_ne_u16_sdwa s[8:9], v9, v10 src0_sel:BYTE_0 src1_sel:DWORD
	s_andn2_b64 s[4:5], s[4:5], exec
	s_and_b64 s[8:9], s[8:9], exec
	s_or_b64 s[4:5], s[4:5], s[8:9]
	s_or_b64 exec, exec, s[6:7]
	s_and_saveexec_b64 s[6:7], s[4:5]
	s_cbranch_execnz .LBB40_1935
	s_branch .LBB40_1936
.LBB40_3985:
	s_movk_i32 s4, 0x80
	v_cmp_eq_u16_e32 vcc, s4, v9
	s_mov_b64 s[4:5], -1
                                        ; implicit-def: $sgpr10
	s_and_saveexec_b64 s[8:9], vcc
; %bb.3986:
	s_mov_b32 s10, 0x7f800001
	s_xor_b64 s[4:5], exec, -1
; %bb.3987:
	s_or_b64 exec, exec, s[8:9]
	s_and_b64 s[4:5], s[4:5], exec
                                        ; implicit-def: $vgpr9
	s_or_saveexec_b64 s[6:7], s[6:7]
	v_mov_b32_e32 v8, s10
	s_xor_b64 exec, exec, s[6:7]
	s_cbranch_execz .LBB40_1938
.LBB40_3988:
	v_cmp_ne_u16_e32 vcc, 0, v9
	s_andn2_b64 s[4:5], s[4:5], exec
	s_and_b64 s[8:9], vcc, exec
	v_mov_b32_e32 v8, 0
	s_or_b64 s[4:5], s[4:5], s[8:9]
	s_or_b64 exec, exec, s[6:7]
	s_and_saveexec_b64 s[6:7], s[4:5]
	s_cbranch_execnz .LBB40_1939
	s_branch .LBB40_1940
.LBB40_3989:
	s_movk_i32 s4, 0x80
	v_cmp_eq_u16_e32 vcc, s4, v9
	s_mov_b64 s[4:5], -1
                                        ; implicit-def: $sgpr10
	s_and_saveexec_b64 s[8:9], vcc
; %bb.3990:
	s_mov_b32 s10, 0x7f800001
	s_xor_b64 s[4:5], exec, -1
; %bb.3991:
	s_or_b64 exec, exec, s[8:9]
	s_and_b64 s[4:5], s[4:5], exec
                                        ; implicit-def: $vgpr9
	s_or_saveexec_b64 s[6:7], s[6:7]
	v_mov_b32_e32 v10, s10
	s_xor_b64 exec, exec, s[6:7]
	s_cbranch_execz .LBB40_1942
.LBB40_3992:
	v_cmp_ne_u16_e32 vcc, 0, v9
	s_andn2_b64 s[4:5], s[4:5], exec
	s_and_b64 s[8:9], vcc, exec
	v_mov_b32_e32 v10, 0
	s_or_b64 s[4:5], s[4:5], s[8:9]
	s_or_b64 exec, exec, s[6:7]
	s_and_saveexec_b64 s[6:7], s[4:5]
	s_cbranch_execnz .LBB40_1943
	s_branch .LBB40_1944
.LBB40_3993:
	s_movk_i32 s4, 0x80
	v_cmp_eq_u16_sdwa s[12:13], v4, s4 src0_sel:BYTE_3 src1_sel:DWORD
	s_mov_b64 s[4:5], -1
                                        ; implicit-def: $sgpr10
	s_and_saveexec_b64 s[8:9], s[12:13]
; %bb.3994:
	s_mov_b32 s10, 0x7f800001
	s_xor_b64 s[4:5], exec, -1
; %bb.3995:
	s_or_b64 exec, exec, s[8:9]
	s_and_b64 s[4:5], s[4:5], exec
	s_or_saveexec_b64 s[6:7], s[6:7]
	v_mov_b32_e32 v8, s10
	s_xor_b64 exec, exec, s[6:7]
	s_cbranch_execz .LBB40_1946
.LBB40_3996:
	v_mov_b32_e32 v8, 0
	v_cmp_ne_u16_sdwa s[8:9], v4, v8 src0_sel:BYTE_3 src1_sel:DWORD
	s_andn2_b64 s[4:5], s[4:5], exec
	s_and_b64 s[8:9], s[8:9], exec
	s_or_b64 s[4:5], s[4:5], s[8:9]
	s_or_b64 exec, exec, s[6:7]
	s_and_saveexec_b64 s[6:7], s[4:5]
	s_cbranch_execnz .LBB40_1947
	s_branch .LBB40_1948
.LBB40_3997:
	s_movk_i32 s4, 0x80
	v_cmp_eq_u16_sdwa s[12:13], v0, s4 src0_sel:BYTE_3 src1_sel:DWORD
	s_mov_b64 s[4:5], -1
                                        ; implicit-def: $sgpr10
	s_and_saveexec_b64 s[8:9], s[12:13]
; %bb.3998:
	s_mov_b32 s10, 0x7f800001
	s_xor_b64 s[4:5], exec, -1
; %bb.3999:
	s_or_b64 exec, exec, s[8:9]
	s_and_b64 s[4:5], s[4:5], exec
	s_or_saveexec_b64 s[6:7], s[6:7]
	v_mov_b32_e32 v4, s10
	s_xor_b64 exec, exec, s[6:7]
	s_cbranch_execz .LBB40_1950
.LBB40_4000:
	v_mov_b32_e32 v4, 0
	v_cmp_ne_u16_sdwa s[8:9], v0, v4 src0_sel:BYTE_3 src1_sel:DWORD
	s_andn2_b64 s[4:5], s[4:5], exec
	s_and_b64 s[8:9], s[8:9], exec
	s_or_b64 s[4:5], s[4:5], s[8:9]
	s_or_b64 exec, exec, s[6:7]
	s_and_saveexec_b64 s[6:7], s[4:5]
	s_cbranch_execnz .LBB40_1951
	s_branch .LBB40_1952
.LBB40_4001:
	s_movk_i32 s4, 0x80
	v_cmp_eq_u16_sdwa s[12:13], v5, s4 src0_sel:BYTE_0 src1_sel:DWORD
	s_mov_b64 s[4:5], -1
                                        ; implicit-def: $sgpr10
	s_and_saveexec_b64 s[8:9], s[12:13]
; %bb.4002:
	s_mov_b32 s10, 0x7f800001
	s_xor_b64 s[4:5], exec, -1
; %bb.4003:
	s_or_b64 exec, exec, s[8:9]
	s_and_b64 s[4:5], s[4:5], exec
	s_or_saveexec_b64 s[6:7], s[6:7]
	v_mov_b32_e32 v0, s10
	s_xor_b64 exec, exec, s[6:7]
	s_cbranch_execz .LBB40_1954
.LBB40_4004:
	v_mov_b32_e32 v0, 0
	v_cmp_ne_u16_sdwa s[8:9], v5, v0 src0_sel:BYTE_0 src1_sel:DWORD
	s_andn2_b64 s[4:5], s[4:5], exec
	s_and_b64 s[8:9], s[8:9], exec
	s_or_b64 s[4:5], s[4:5], s[8:9]
	s_or_b64 exec, exec, s[6:7]
	s_and_saveexec_b64 s[6:7], s[4:5]
	s_cbranch_execnz .LBB40_1955
	s_branch .LBB40_1956
.LBB40_4005:
	s_movk_i32 s4, 0x80
	v_cmp_eq_u16_sdwa s[12:13], v1, s4 src0_sel:BYTE_0 src1_sel:DWORD
	s_mov_b64 s[4:5], -1
                                        ; implicit-def: $sgpr10
	s_and_saveexec_b64 s[8:9], s[12:13]
; %bb.4006:
	s_mov_b32 s10, 0x7f800001
	s_xor_b64 s[4:5], exec, -1
; %bb.4007:
	s_or_b64 exec, exec, s[8:9]
	s_and_b64 s[4:5], s[4:5], exec
	s_or_saveexec_b64 s[6:7], s[6:7]
	v_mov_b32_e32 v4, s10
	s_xor_b64 exec, exec, s[6:7]
	s_cbranch_execz .LBB40_1958
.LBB40_4008:
	v_mov_b32_e32 v4, 0
	v_cmp_ne_u16_sdwa s[8:9], v1, v4 src0_sel:BYTE_0 src1_sel:DWORD
	s_andn2_b64 s[4:5], s[4:5], exec
	s_and_b64 s[8:9], s[8:9], exec
	s_or_b64 s[4:5], s[4:5], s[8:9]
	s_or_b64 exec, exec, s[6:7]
	s_and_saveexec_b64 s[6:7], s[4:5]
	s_cbranch_execnz .LBB40_1959
	s_branch .LBB40_1960
.LBB40_4009:
	s_movk_i32 s4, 0x80
	v_cmp_eq_u16_sdwa s[12:13], v4, s4 src0_sel:BYTE_0 src1_sel:DWORD
	s_mov_b64 s[4:5], -1
                                        ; implicit-def: $sgpr10
	s_and_saveexec_b64 s[8:9], s[12:13]
; %bb.4010:
	s_mov_b32 s10, 0x7f800001
	s_xor_b64 s[4:5], exec, -1
; %bb.4011:
	s_or_b64 exec, exec, s[8:9]
	s_and_b64 s[4:5], s[4:5], exec
	s_or_saveexec_b64 s[6:7], s[6:7]
	v_mov_b32_e32 v0, s10
	s_xor_b64 exec, exec, s[6:7]
	s_cbranch_execz .LBB40_1962
.LBB40_4012:
	v_mov_b32_e32 v0, 0
	v_cmp_ne_u16_sdwa s[8:9], v4, v0 src0_sel:BYTE_0 src1_sel:DWORD
	s_andn2_b64 s[4:5], s[4:5], exec
	s_and_b64 s[8:9], s[8:9], exec
	s_or_b64 s[4:5], s[4:5], s[8:9]
	s_or_b64 exec, exec, s[6:7]
	s_and_saveexec_b64 s[6:7], s[4:5]
	s_cbranch_execnz .LBB40_1963
	s_branch .LBB40_1964
.LBB40_4013:
	s_movk_i32 s4, 0x80
	v_cmp_eq_u16_sdwa s[12:13], v4, s4 src0_sel:BYTE_0 src1_sel:DWORD
	s_mov_b64 s[4:5], -1
                                        ; implicit-def: $sgpr10
	s_and_saveexec_b64 s[8:9], s[12:13]
; %bb.4014:
	s_mov_b32 s10, 0x7f800001
	s_xor_b64 s[4:5], exec, -1
; %bb.4015:
	s_or_b64 exec, exec, s[8:9]
	s_and_b64 s[4:5], s[4:5], exec
	s_or_saveexec_b64 s[6:7], s[6:7]
	v_mov_b32_e32 v8, s10
	s_xor_b64 exec, exec, s[6:7]
	s_cbranch_execz .LBB40_1966
.LBB40_4016:
	v_mov_b32_e32 v8, 0
	v_cmp_ne_u16_sdwa s[8:9], v4, v8 src0_sel:BYTE_0 src1_sel:DWORD
	s_andn2_b64 s[4:5], s[4:5], exec
	s_and_b64 s[8:9], s[8:9], exec
	s_or_b64 s[4:5], s[4:5], s[8:9]
	s_or_b64 exec, exec, s[6:7]
	s_and_saveexec_b64 s[6:7], s[4:5]
	s_cbranch_execnz .LBB40_1967
	s_branch .LBB40_1968
.LBB40_4017:
	s_movk_i32 s4, 0x80
	v_cmp_eq_u16_e32 vcc, s4, v4
	s_mov_b64 s[4:5], -1
                                        ; implicit-def: $sgpr10
	s_and_saveexec_b64 s[8:9], vcc
; %bb.4018:
	s_mov_b32 s10, 0x7f800001
	s_xor_b64 s[4:5], exec, -1
; %bb.4019:
	s_or_b64 exec, exec, s[8:9]
	s_and_b64 s[4:5], s[4:5], exec
                                        ; implicit-def: $vgpr4
	s_or_saveexec_b64 s[6:7], s[6:7]
	v_mov_b32_e32 v0, s10
	s_xor_b64 exec, exec, s[6:7]
	s_cbranch_execz .LBB40_1970
.LBB40_4020:
	v_cmp_ne_u16_e32 vcc, 0, v4
	s_andn2_b64 s[4:5], s[4:5], exec
	s_and_b64 s[8:9], vcc, exec
	v_mov_b32_e32 v0, 0
	s_or_b64 s[4:5], s[4:5], s[8:9]
	s_or_b64 exec, exec, s[6:7]
	s_and_saveexec_b64 s[6:7], s[4:5]
	s_cbranch_execnz .LBB40_1971
	s_branch .LBB40_1972
.LBB40_4021:
	s_movk_i32 s4, 0x80
	v_cmp_eq_u16_e32 vcc, s4, v4
	s_mov_b64 s[4:5], -1
                                        ; implicit-def: $sgpr10
	s_and_saveexec_b64 s[8:9], vcc
; %bb.4022:
	s_mov_b32 s10, 0x7f800001
	s_xor_b64 s[4:5], exec, -1
; %bb.4023:
	s_or_b64 exec, exec, s[8:9]
	s_and_b64 s[4:5], s[4:5], exec
                                        ; implicit-def: $vgpr4
	s_or_saveexec_b64 s[6:7], s[6:7]
	v_mov_b32_e32 v8, s10
	s_xor_b64 exec, exec, s[6:7]
	s_cbranch_execz .LBB40_1974
.LBB40_4024:
	v_cmp_ne_u16_e32 vcc, 0, v4
	s_andn2_b64 s[4:5], s[4:5], exec
	s_and_b64 s[8:9], vcc, exec
	v_mov_b32_e32 v8, 0
	s_or_b64 s[4:5], s[4:5], s[8:9]
	s_or_b64 exec, exec, s[6:7]
	s_and_saveexec_b64 s[6:7], s[4:5]
	s_cbranch_execnz .LBB40_1975
	s_branch .LBB40_1976
.LBB40_4025:
	s_movk_i32 s4, 0x80
	v_cmp_eq_u16_sdwa s[12:13], v5, s4 src0_sel:BYTE_3 src1_sel:DWORD
	s_mov_b64 s[4:5], -1
                                        ; implicit-def: $sgpr10
	s_and_saveexec_b64 s[8:9], s[12:13]
; %bb.4026:
	s_mov_b32 s10, 0x7f800001
	s_xor_b64 s[4:5], exec, -1
; %bb.4027:
	s_or_b64 exec, exec, s[8:9]
	s_and_b64 s[4:5], s[4:5], exec
	s_or_saveexec_b64 s[6:7], s[6:7]
	v_mov_b32_e32 v0, s10
	s_xor_b64 exec, exec, s[6:7]
	s_cbranch_execz .LBB40_1978
.LBB40_4028:
	v_mov_b32_e32 v0, 0
	v_cmp_ne_u16_sdwa s[8:9], v5, v0 src0_sel:BYTE_3 src1_sel:DWORD
	s_andn2_b64 s[4:5], s[4:5], exec
	s_and_b64 s[8:9], s[8:9], exec
	s_or_b64 s[4:5], s[4:5], s[8:9]
	s_or_b64 exec, exec, s[6:7]
	s_and_saveexec_b64 s[6:7], s[4:5]
	s_cbranch_execnz .LBB40_1979
	s_branch .LBB40_1980
.LBB40_4029:
	s_movk_i32 s4, 0x80
	v_cmp_eq_u16_sdwa s[12:13], v1, s4 src0_sel:BYTE_3 src1_sel:DWORD
	s_mov_b64 s[4:5], -1
                                        ; implicit-def: $sgpr10
	s_and_saveexec_b64 s[8:9], s[12:13]
; %bb.4030:
	s_mov_b32 s10, 0x7f800001
	s_xor_b64 s[4:5], exec, -1
; %bb.4031:
	s_or_b64 exec, exec, s[8:9]
	s_and_b64 s[4:5], s[4:5], exec
	s_or_saveexec_b64 s[6:7], s[6:7]
	v_mov_b32_e32 v4, s10
	s_xor_b64 exec, exec, s[6:7]
	s_cbranch_execz .LBB40_1982
.LBB40_4032:
	v_mov_b32_e32 v4, 0
	v_cmp_ne_u16_sdwa s[8:9], v1, v4 src0_sel:BYTE_3 src1_sel:DWORD
	s_andn2_b64 s[4:5], s[4:5], exec
	s_and_b64 s[8:9], s[8:9], exec
	s_or_b64 s[4:5], s[4:5], s[8:9]
	s_or_b64 exec, exec, s[6:7]
	s_and_saveexec_b64 s[6:7], s[4:5]
	s_cbranch_execnz .LBB40_1983
	s_branch .LBB40_1984
.LBB40_4033:
	s_movk_i32 s4, 0x80
	v_cmp_eq_u16_sdwa s[12:13], v6, s4 src0_sel:BYTE_0 src1_sel:DWORD
	s_mov_b64 s[4:5], -1
                                        ; implicit-def: $sgpr10
	s_and_saveexec_b64 s[8:9], s[12:13]
; %bb.4034:
	s_mov_b32 s10, 0x7f800001
	s_xor_b64 s[4:5], exec, -1
; %bb.4035:
	s_or_b64 exec, exec, s[8:9]
	s_and_b64 s[4:5], s[4:5], exec
	s_or_saveexec_b64 s[6:7], s[6:7]
	v_mov_b32_e32 v0, s10
	s_xor_b64 exec, exec, s[6:7]
	s_cbranch_execz .LBB40_1986
.LBB40_4036:
	v_mov_b32_e32 v0, 0
	v_cmp_ne_u16_sdwa s[8:9], v6, v0 src0_sel:BYTE_0 src1_sel:DWORD
	s_andn2_b64 s[4:5], s[4:5], exec
	s_and_b64 s[8:9], s[8:9], exec
	s_or_b64 s[4:5], s[4:5], s[8:9]
	s_or_b64 exec, exec, s[6:7]
	s_and_saveexec_b64 s[6:7], s[4:5]
	s_cbranch_execnz .LBB40_1987
	s_branch .LBB40_1988
.LBB40_4037:
	s_movk_i32 s4, 0x80
	v_cmp_eq_u16_sdwa s[12:13], v2, s4 src0_sel:BYTE_0 src1_sel:DWORD
	s_mov_b64 s[4:5], -1
                                        ; implicit-def: $sgpr10
	s_and_saveexec_b64 s[8:9], s[12:13]
; %bb.4038:
	s_mov_b32 s10, 0x7f800001
	s_xor_b64 s[4:5], exec, -1
; %bb.4039:
	s_or_b64 exec, exec, s[8:9]
	s_and_b64 s[4:5], s[4:5], exec
	s_or_saveexec_b64 s[6:7], s[6:7]
	v_mov_b32_e32 v1, s10
	s_xor_b64 exec, exec, s[6:7]
	s_cbranch_execz .LBB40_1990
.LBB40_4040:
	v_mov_b32_e32 v1, 0
	v_cmp_ne_u16_sdwa s[8:9], v2, v1 src0_sel:BYTE_0 src1_sel:DWORD
	s_andn2_b64 s[4:5], s[4:5], exec
	s_and_b64 s[8:9], s[8:9], exec
	s_or_b64 s[4:5], s[4:5], s[8:9]
	s_or_b64 exec, exec, s[6:7]
	s_and_saveexec_b64 s[6:7], s[4:5]
	s_cbranch_execnz .LBB40_1991
	s_branch .LBB40_1992
.LBB40_4041:
	s_movk_i32 s4, 0x80
	v_cmp_eq_u16_sdwa s[12:13], v1, s4 src0_sel:BYTE_0 src1_sel:DWORD
	s_mov_b64 s[4:5], -1
                                        ; implicit-def: $sgpr10
	s_and_saveexec_b64 s[8:9], s[12:13]
; %bb.4042:
	s_mov_b32 s10, 0x7f800001
	s_xor_b64 s[4:5], exec, -1
; %bb.4043:
	s_or_b64 exec, exec, s[8:9]
	s_and_b64 s[4:5], s[4:5], exec
	s_or_saveexec_b64 s[6:7], s[6:7]
	v_mov_b32_e32 v0, s10
	s_xor_b64 exec, exec, s[6:7]
	s_cbranch_execz .LBB40_1994
.LBB40_4044:
	v_mov_b32_e32 v0, 0
	v_cmp_ne_u16_sdwa s[8:9], v1, v0 src0_sel:BYTE_0 src1_sel:DWORD
	s_andn2_b64 s[4:5], s[4:5], exec
	s_and_b64 s[8:9], s[8:9], exec
	s_or_b64 s[4:5], s[4:5], s[8:9]
	s_or_b64 exec, exec, s[6:7]
	s_and_saveexec_b64 s[6:7], s[4:5]
	s_cbranch_execnz .LBB40_1995
	s_branch .LBB40_1996
.LBB40_4045:
	s_movk_i32 s4, 0x80
	v_cmp_eq_u16_sdwa s[12:13], v1, s4 src0_sel:BYTE_0 src1_sel:DWORD
	s_mov_b64 s[4:5], -1
                                        ; implicit-def: $sgpr10
	s_and_saveexec_b64 s[8:9], s[12:13]
; %bb.4046:
	s_mov_b32 s10, 0x7f800001
	s_xor_b64 s[4:5], exec, -1
; %bb.4047:
	s_or_b64 exec, exec, s[8:9]
	s_and_b64 s[4:5], s[4:5], exec
	s_or_saveexec_b64 s[6:7], s[6:7]
	v_mov_b32_e32 v4, s10
	s_xor_b64 exec, exec, s[6:7]
	s_cbranch_execz .LBB40_1998
.LBB40_4048:
	v_mov_b32_e32 v4, 0
	v_cmp_ne_u16_sdwa s[8:9], v1, v4 src0_sel:BYTE_0 src1_sel:DWORD
	s_andn2_b64 s[4:5], s[4:5], exec
	s_and_b64 s[8:9], s[8:9], exec
	s_or_b64 s[4:5], s[4:5], s[8:9]
	s_or_b64 exec, exec, s[6:7]
	s_and_saveexec_b64 s[6:7], s[4:5]
	s_cbranch_execnz .LBB40_1999
	s_branch .LBB40_2000
.LBB40_4049:
	s_movk_i32 s4, 0x80
	v_cmp_eq_u16_e32 vcc, s4, v1
	s_mov_b64 s[4:5], -1
                                        ; implicit-def: $sgpr10
	s_and_saveexec_b64 s[8:9], vcc
; %bb.4050:
	s_mov_b32 s10, 0x7f800001
	s_xor_b64 s[4:5], exec, -1
; %bb.4051:
	s_or_b64 exec, exec, s[8:9]
	s_and_b64 s[4:5], s[4:5], exec
                                        ; implicit-def: $vgpr1
	s_or_saveexec_b64 s[6:7], s[6:7]
	v_mov_b32_e32 v0, s10
	s_xor_b64 exec, exec, s[6:7]
	s_cbranch_execz .LBB40_2002
.LBB40_4052:
	v_cmp_ne_u16_e32 vcc, 0, v1
	s_andn2_b64 s[4:5], s[4:5], exec
	s_and_b64 s[8:9], vcc, exec
	v_mov_b32_e32 v0, 0
	s_or_b64 s[4:5], s[4:5], s[8:9]
	s_or_b64 exec, exec, s[6:7]
	s_and_saveexec_b64 s[6:7], s[4:5]
	s_cbranch_execnz .LBB40_2003
	s_branch .LBB40_2004
.LBB40_4053:
	s_movk_i32 s4, 0x80
	v_cmp_eq_u16_e32 vcc, s4, v1
	s_mov_b64 s[4:5], -1
                                        ; implicit-def: $sgpr10
	s_and_saveexec_b64 s[8:9], vcc
; %bb.4054:
	s_mov_b32 s10, 0x7f800001
	s_xor_b64 s[4:5], exec, -1
; %bb.4055:
	s_or_b64 exec, exec, s[8:9]
	s_and_b64 s[4:5], s[4:5], exec
                                        ; implicit-def: $vgpr1
	s_or_saveexec_b64 s[6:7], s[6:7]
	v_mov_b32_e32 v4, s10
	s_xor_b64 exec, exec, s[6:7]
	s_cbranch_execz .LBB40_2006
.LBB40_4056:
	v_cmp_ne_u16_e32 vcc, 0, v1
	s_andn2_b64 s[4:5], s[4:5], exec
	s_and_b64 s[8:9], vcc, exec
	v_mov_b32_e32 v4, 0
	s_or_b64 s[4:5], s[4:5], s[8:9]
	s_or_b64 exec, exec, s[6:7]
	s_and_saveexec_b64 s[6:7], s[4:5]
	s_cbranch_execnz .LBB40_2007
	s_branch .LBB40_2008
.LBB40_4057:
	s_movk_i32 s4, 0x80
	v_cmp_eq_u16_sdwa s[12:13], v6, s4 src0_sel:BYTE_3 src1_sel:DWORD
	s_mov_b64 s[4:5], -1
                                        ; implicit-def: $sgpr10
	s_and_saveexec_b64 s[8:9], s[12:13]
; %bb.4058:
	s_mov_b32 s10, 0x7f800001
	s_xor_b64 s[4:5], exec, -1
; %bb.4059:
	s_or_b64 exec, exec, s[8:9]
	s_and_b64 s[4:5], s[4:5], exec
	s_or_saveexec_b64 s[6:7], s[6:7]
	v_mov_b32_e32 v0, s10
	s_xor_b64 exec, exec, s[6:7]
	s_cbranch_execz .LBB40_2010
.LBB40_4060:
	v_mov_b32_e32 v0, 0
	v_cmp_ne_u16_sdwa s[8:9], v6, v0 src0_sel:BYTE_3 src1_sel:DWORD
	s_andn2_b64 s[4:5], s[4:5], exec
	s_and_b64 s[8:9], s[8:9], exec
	s_or_b64 s[4:5], s[4:5], s[8:9]
	s_or_b64 exec, exec, s[6:7]
	s_and_saveexec_b64 s[6:7], s[4:5]
	s_cbranch_execnz .LBB40_2011
	s_branch .LBB40_2012
.LBB40_4061:
	s_movk_i32 s4, 0x80
	v_cmp_eq_u16_sdwa s[12:13], v2, s4 src0_sel:BYTE_3 src1_sel:DWORD
	s_mov_b64 s[4:5], -1
                                        ; implicit-def: $sgpr10
	s_and_saveexec_b64 s[8:9], s[12:13]
; %bb.4062:
	s_mov_b32 s10, 0x7f800001
	s_xor_b64 s[4:5], exec, -1
; %bb.4063:
	s_or_b64 exec, exec, s[8:9]
	s_and_b64 s[4:5], s[4:5], exec
	s_or_saveexec_b64 s[6:7], s[6:7]
	v_mov_b32_e32 v1, s10
	s_xor_b64 exec, exec, s[6:7]
	s_cbranch_execz .LBB40_2014
.LBB40_4064:
	v_mov_b32_e32 v1, 0
	v_cmp_ne_u16_sdwa s[8:9], v2, v1 src0_sel:BYTE_3 src1_sel:DWORD
	s_andn2_b64 s[4:5], s[4:5], exec
	s_and_b64 s[8:9], s[8:9], exec
	s_or_b64 s[4:5], s[4:5], s[8:9]
	s_or_b64 exec, exec, s[6:7]
	s_and_saveexec_b64 s[6:7], s[4:5]
	s_cbranch_execnz .LBB40_2015
	s_branch .LBB40_2016
.LBB40_4065:
	s_movk_i32 s4, 0x80
	v_cmp_eq_u16_sdwa s[12:13], v7, s4 src0_sel:BYTE_0 src1_sel:DWORD
	s_mov_b64 s[4:5], -1
                                        ; implicit-def: $sgpr10
	s_and_saveexec_b64 s[8:9], s[12:13]
; %bb.4066:
	s_mov_b32 s10, 0x7f800001
	s_xor_b64 s[4:5], exec, -1
; %bb.4067:
	s_or_b64 exec, exec, s[8:9]
	s_and_b64 s[4:5], s[4:5], exec
	s_or_saveexec_b64 s[6:7], s[6:7]
	v_mov_b32_e32 v0, s10
	s_xor_b64 exec, exec, s[6:7]
	s_cbranch_execz .LBB40_2018
.LBB40_4068:
	v_mov_b32_e32 v0, 0
	v_cmp_ne_u16_sdwa s[8:9], v7, v0 src0_sel:BYTE_0 src1_sel:DWORD
	s_andn2_b64 s[4:5], s[4:5], exec
	s_and_b64 s[8:9], s[8:9], exec
	s_or_b64 s[4:5], s[4:5], s[8:9]
	s_or_b64 exec, exec, s[6:7]
	s_and_saveexec_b64 s[6:7], s[4:5]
	s_cbranch_execnz .LBB40_2019
	s_branch .LBB40_2020
.LBB40_4069:
	s_movk_i32 s4, 0x80
	v_cmp_eq_u16_sdwa s[12:13], v3, s4 src0_sel:BYTE_0 src1_sel:DWORD
	s_mov_b64 s[4:5], -1
                                        ; implicit-def: $sgpr10
	s_and_saveexec_b64 s[8:9], s[12:13]
; %bb.4070:
	s_mov_b32 s10, 0x7f800001
	s_xor_b64 s[4:5], exec, -1
; %bb.4071:
	s_or_b64 exec, exec, s[8:9]
	s_and_b64 s[4:5], s[4:5], exec
	s_or_saveexec_b64 s[6:7], s[6:7]
	v_mov_b32_e32 v1, s10
	s_xor_b64 exec, exec, s[6:7]
	s_cbranch_execz .LBB40_2022
.LBB40_4072:
	v_mov_b32_e32 v1, 0
	v_cmp_ne_u16_sdwa s[8:9], v3, v1 src0_sel:BYTE_0 src1_sel:DWORD
	s_andn2_b64 s[4:5], s[4:5], exec
	s_and_b64 s[8:9], s[8:9], exec
	s_or_b64 s[4:5], s[4:5], s[8:9]
	s_or_b64 exec, exec, s[6:7]
	s_and_saveexec_b64 s[6:7], s[4:5]
	s_cbranch_execnz .LBB40_2023
	s_branch .LBB40_2024
.LBB40_4073:
	s_movk_i32 s4, 0x80
	v_cmp_eq_u16_sdwa s[12:13], v1, s4 src0_sel:BYTE_0 src1_sel:DWORD
	s_mov_b64 s[4:5], -1
                                        ; implicit-def: $sgpr10
	s_and_saveexec_b64 s[8:9], s[12:13]
; %bb.4074:
	s_mov_b32 s10, 0x7f800001
	s_xor_b64 s[4:5], exec, -1
; %bb.4075:
	s_or_b64 exec, exec, s[8:9]
	s_and_b64 s[4:5], s[4:5], exec
	s_or_saveexec_b64 s[6:7], s[6:7]
	v_mov_b32_e32 v0, s10
	s_xor_b64 exec, exec, s[6:7]
	s_cbranch_execz .LBB40_2026
.LBB40_4076:
	v_mov_b32_e32 v0, 0
	v_cmp_ne_u16_sdwa s[8:9], v1, v0 src0_sel:BYTE_0 src1_sel:DWORD
	s_andn2_b64 s[4:5], s[4:5], exec
	s_and_b64 s[8:9], s[8:9], exec
	s_or_b64 s[4:5], s[4:5], s[8:9]
	s_or_b64 exec, exec, s[6:7]
	s_and_saveexec_b64 s[6:7], s[4:5]
	s_cbranch_execnz .LBB40_2027
	s_branch .LBB40_2028
.LBB40_4077:
	s_movk_i32 s4, 0x80
	v_cmp_eq_u16_sdwa s[12:13], v1, s4 src0_sel:BYTE_0 src1_sel:DWORD
	s_mov_b64 s[4:5], -1
                                        ; implicit-def: $sgpr10
	s_and_saveexec_b64 s[8:9], s[12:13]
; %bb.4078:
	s_mov_b32 s10, 0x7f800001
	s_xor_b64 s[4:5], exec, -1
; %bb.4079:
	s_or_b64 exec, exec, s[8:9]
	s_and_b64 s[4:5], s[4:5], exec
	s_or_saveexec_b64 s[6:7], s[6:7]
	v_mov_b32_e32 v2, s10
	s_xor_b64 exec, exec, s[6:7]
	s_cbranch_execz .LBB40_2030
.LBB40_4080:
	v_mov_b32_e32 v2, 0
	v_cmp_ne_u16_sdwa s[8:9], v1, v2 src0_sel:BYTE_0 src1_sel:DWORD
	s_andn2_b64 s[4:5], s[4:5], exec
	s_and_b64 s[8:9], s[8:9], exec
	s_or_b64 s[4:5], s[4:5], s[8:9]
	s_or_b64 exec, exec, s[6:7]
	s_and_saveexec_b64 s[6:7], s[4:5]
	s_cbranch_execnz .LBB40_2031
	s_branch .LBB40_2032
.LBB40_4081:
	s_movk_i32 s4, 0x80
	v_cmp_eq_u16_e32 vcc, s4, v1
	s_mov_b64 s[4:5], -1
                                        ; implicit-def: $sgpr10
	s_and_saveexec_b64 s[8:9], vcc
; %bb.4082:
	s_mov_b32 s10, 0x7f800001
	s_xor_b64 s[4:5], exec, -1
; %bb.4083:
	s_or_b64 exec, exec, s[8:9]
	s_and_b64 s[4:5], s[4:5], exec
                                        ; implicit-def: $vgpr1
	s_or_saveexec_b64 s[6:7], s[6:7]
	v_mov_b32_e32 v0, s10
	s_xor_b64 exec, exec, s[6:7]
	s_cbranch_execz .LBB40_2034
.LBB40_4084:
	v_cmp_ne_u16_e32 vcc, 0, v1
	s_andn2_b64 s[4:5], s[4:5], exec
	s_and_b64 s[8:9], vcc, exec
	v_mov_b32_e32 v0, 0
	s_or_b64 s[4:5], s[4:5], s[8:9]
	s_or_b64 exec, exec, s[6:7]
	s_and_saveexec_b64 s[6:7], s[4:5]
	s_cbranch_execnz .LBB40_2035
	s_branch .LBB40_2036
.LBB40_4085:
	s_movk_i32 s4, 0x80
	v_cmp_eq_u16_e32 vcc, s4, v1
	s_mov_b64 s[4:5], -1
                                        ; implicit-def: $sgpr10
	s_and_saveexec_b64 s[8:9], vcc
; %bb.4086:
	s_mov_b32 s10, 0x7f800001
	s_xor_b64 s[4:5], exec, -1
; %bb.4087:
	s_or_b64 exec, exec, s[8:9]
	s_and_b64 s[4:5], s[4:5], exec
                                        ; implicit-def: $vgpr1
	s_or_saveexec_b64 s[6:7], s[6:7]
	v_mov_b32_e32 v2, s10
	s_xor_b64 exec, exec, s[6:7]
	s_cbranch_execz .LBB40_2038
.LBB40_4088:
	v_cmp_ne_u16_e32 vcc, 0, v1
	s_andn2_b64 s[4:5], s[4:5], exec
	s_and_b64 s[8:9], vcc, exec
	v_mov_b32_e32 v2, 0
	s_or_b64 s[4:5], s[4:5], s[8:9]
	s_or_b64 exec, exec, s[6:7]
	s_and_saveexec_b64 s[6:7], s[4:5]
	s_cbranch_execnz .LBB40_2039
	s_branch .LBB40_2040
.LBB40_4089:
	s_movk_i32 s4, 0x80
	v_cmp_eq_u16_sdwa s[12:13], v7, s4 src0_sel:BYTE_3 src1_sel:DWORD
	s_mov_b64 s[4:5], -1
                                        ; implicit-def: $sgpr10
	s_and_saveexec_b64 s[8:9], s[12:13]
; %bb.4090:
	s_mov_b32 s10, 0x7f800001
	s_xor_b64 s[4:5], exec, -1
; %bb.4091:
	s_or_b64 exec, exec, s[8:9]
	s_and_b64 s[4:5], s[4:5], exec
	s_or_saveexec_b64 s[6:7], s[6:7]
	v_mov_b32_e32 v0, s10
	s_xor_b64 exec, exec, s[6:7]
	s_cbranch_execz .LBB40_2042
.LBB40_4092:
	v_mov_b32_e32 v0, 0
	v_cmp_ne_u16_sdwa s[8:9], v7, v0 src0_sel:BYTE_3 src1_sel:DWORD
	s_andn2_b64 s[4:5], s[4:5], exec
	s_and_b64 s[8:9], s[8:9], exec
	s_or_b64 s[4:5], s[4:5], s[8:9]
	s_or_b64 exec, exec, s[6:7]
	s_and_saveexec_b64 s[6:7], s[4:5]
	s_cbranch_execnz .LBB40_2043
	s_branch .LBB40_2044
.LBB40_4093:
	s_movk_i32 s4, 0x80
	v_cmp_eq_u16_sdwa s[12:13], v3, s4 src0_sel:BYTE_3 src1_sel:DWORD
	s_mov_b64 s[4:5], -1
                                        ; implicit-def: $sgpr10
	s_and_saveexec_b64 s[8:9], s[12:13]
; %bb.4094:
	s_mov_b32 s10, 0x7f800001
	s_xor_b64 s[4:5], exec, -1
; %bb.4095:
	s_or_b64 exec, exec, s[8:9]
	s_and_b64 s[4:5], s[4:5], exec
	s_or_saveexec_b64 s[6:7], s[6:7]
	v_mov_b32_e32 v1, s10
	s_xor_b64 exec, exec, s[6:7]
	s_cbranch_execz .LBB40_2046
.LBB40_4096:
	v_mov_b32_e32 v1, 0
	v_cmp_ne_u16_sdwa s[8:9], v3, v1 src0_sel:BYTE_3 src1_sel:DWORD
	s_andn2_b64 s[4:5], s[4:5], exec
	s_and_b64 s[8:9], s[8:9], exec
	s_or_b64 s[4:5], s[4:5], s[8:9]
	s_or_b64 exec, exec, s[6:7]
	s_and_saveexec_b64 s[6:7], s[4:5]
	s_cbranch_execnz .LBB40_2047
	s_branch .LBB40_2048
.Lfunc_end40:
	.size	_ZNK2ck6detail7applierIiJLi0ELi1ELi2ELi3ELi4ELi5ELi6ELi7EEEclIZNKS_11static_fordINS_8SequenceIJLi1ELi8EEEENS5_IJLi0ELi1EEEEEclIZZZNKS_52BlockwiseGemmXdlops_pipeline_bpreshuffle_bdequant_v3ILNS_26BlockGemmPipelineSchedulerE0ELi256ENS_9f8_fnuz_tENS_7pk_i4_tESC_fNS_16TensorDescriptorINS_5TupleIJNS_5EmbedINSF_IJNS_17integral_constantIiLi8EEENSH_IiLi256EEENSH_IiLi16EEEEEENSF_IJSK_NSH_IiLi128EEENSH_IiLi1EEEEEELb0EEENS_3XorINSF_IJSJ_SI_EEELb1EEENS_11PassThroughISK_EENS_7UnMergeINSF_IJSI_SN_EEELb0EEENST_ISJ_EESU_NST_ISI_EENS_21Merge_v3_division_modINSF_IJSJ_SN_EEEEESU_EEENSF_IJNS5_IJLi0EEEENS5_IJLi2ELi1EEEENS5_IJLi3EEEENS5_IJLi5EEEENS5_IJLi4EEEENS5_IJLi6EEEENS5_IJLi7EEEENS5_IJLi9ELi8EEEENS5_IJLi10EEEEEEENSF_IJNS5_IJLi1ELi2ELi3EEEENS5_IJLi4ELi5EEEES19_NS5_IJLi7ELi8EEEENS5_IJLi9EEEES1C_NS5_IJLi11EEEENS5_IJLi12EEEENS5_IJLi13EEEEEEENS5_IJLi11ELi12ELi13EEEENSH_IlLl32768EEEEENSE_INSF_IJNSV_INSF_IJSI_SN_SN_NSH_IiLi32EEEEEELb0EEEEEENSF_IJS14_EEENSF_IJNS5_IJLi1ELi2ELi3ELi4EEEEEEES1U_NSH_IlLl256EEEEENSE_INSF_IJSP_SS_SU_SX_SY_SU_SZ_S12_SU_NS10_INSF_IJSI_SK_EEEEENSV_INSF_IJSI_NSH_IiLi2EEESK_EEELb0EEEEEENSF_IJS14_S15_S16_S17_S18_S19_S1A_S1B_S1C_NS5_IJLi11ELi13EEEES1J_EEENSF_IJS1E_S1F_S19_S1G_S1H_S1C_S1I_S1J_S1K_NS5_IJLi14EEEENS5_IJLi15ELi16ELi17EEEEEEENS5_IJLi15ELi16ELi17ELi14EEEES1N_EENSE_INSF_IJS1R_NS10_ISW_EES22_EEENSF_IJS14_NS5_IJLi1ELi3EEEENS5_IJLi2EEEEEEENSF_IJS1U_S17_NS5_IJLi6ELi7ELi8EEEEEEENS5_IJLi6ELi7ELi8ELi5EEEES1W_EELi16ELi32ELi256ELi256ELi128ELi16ELi16ELi8ELi8ELi32ELb0EE3RunILb1ELNS_10TailNumberE1ENSE_INSF_IJNSG_INSF_IJiiEEENSF_IJiSN_EEELb0EEENSV_IS2N_Lb0EEENST_IiEEEEENSF_IJS14_S2E_NS5_IJLi1EEEEEEENSF_IJNS5_IJLi1ELi2EEEENS5_IJLi3ELi4EEEES17_EEENS5_IJLi3ELi5ELi4EEEElEES1O_NS_35ThreadGroupTensorSliceTransfer_v4r1INS_15ThisThreadBlockILi256EEENS_16tensor_operation12element_wise11PassThroughES35_LNS_25InMemoryDataOperationEnumE0ENS5_IJLi8ELi256ELi16EEEENS5_IJLi8ELi32ELi1EEEENS5_IJLi1ELi0ELi2EEEESC_SC_RKS2Z_KS1O_S39_NS5_IJLi0ELi1ELi2EEEELi2ELi2ELi16ELi16ELi1ELi1ELb0ELb1ELi2EiEENS_13DynamicBufferILNS_16AddressSpaceEnumE1EKSC_lLb1ELNS_22AmdBufferCoherenceEnumE0EiEENSF_IJNS3F_ILS3G_2ESC_S1N_Lb1ELS3I_0EiEES3K_EEENSF_IJiiiEEENSE_INSF_IJNSG_INSF_IJiiiiEEENSF_IJiiiSN_EEELb0EEEEEES1T_S1V_S1U_lEENS_32ThreadwiseTensorSliceTransfer_v2ISD_SD_RKS3R_KS1X_NS5_IJLi8ELi1ELi1ELi32EEEENS5_IJLi1ELi2ELi0ELi3EEEELi3ELi32ELi0ELb1ELb0ELb0EEENS3F_ILS3G_1EKSD_lLb1ELS3I_0EiEENSF_IJNS_12StaticBufferILS3G_4ESD_Li256ELb1EEES42_EEES3N_NS_25StaticBufferTupleOfVectorILS3G_4EfLi64ELi4ELb1ELb0EEEEEvRKT1_RKT2_RT3_RKT4_RT5_RKT6_RKT7_RT8_RKT9_RT10_RKT11_RT12_iENKUlT_T0_E_clISN_NSH_IiLi0EEEEEDaS51_S52_ENKUlS51_E_clINSH_IiLi4EEEEEDaS51_EUlS51_E_EEvS51_EUlS51_E_EEvS51_, .Lfunc_end40-_ZNK2ck6detail7applierIiJLi0ELi1ELi2ELi3ELi4ELi5ELi6ELi7EEEclIZNKS_11static_fordINS_8SequenceIJLi1ELi8EEEENS5_IJLi0ELi1EEEEEclIZZZNKS_52BlockwiseGemmXdlops_pipeline_bpreshuffle_bdequant_v3ILNS_26BlockGemmPipelineSchedulerE0ELi256ENS_9f8_fnuz_tENS_7pk_i4_tESC_fNS_16TensorDescriptorINS_5TupleIJNS_5EmbedINSF_IJNS_17integral_constantIiLi8EEENSH_IiLi256EEENSH_IiLi16EEEEEENSF_IJSK_NSH_IiLi128EEENSH_IiLi1EEEEEELb0EEENS_3XorINSF_IJSJ_SI_EEELb1EEENS_11PassThroughISK_EENS_7UnMergeINSF_IJSI_SN_EEELb0EEENST_ISJ_EESU_NST_ISI_EENS_21Merge_v3_division_modINSF_IJSJ_SN_EEEEESU_EEENSF_IJNS5_IJLi0EEEENS5_IJLi2ELi1EEEENS5_IJLi3EEEENS5_IJLi5EEEENS5_IJLi4EEEENS5_IJLi6EEEENS5_IJLi7EEEENS5_IJLi9ELi8EEEENS5_IJLi10EEEEEEENSF_IJNS5_IJLi1ELi2ELi3EEEENS5_IJLi4ELi5EEEES19_NS5_IJLi7ELi8EEEENS5_IJLi9EEEES1C_NS5_IJLi11EEEENS5_IJLi12EEEENS5_IJLi13EEEEEEENS5_IJLi11ELi12ELi13EEEENSH_IlLl32768EEEEENSE_INSF_IJNSV_INSF_IJSI_SN_SN_NSH_IiLi32EEEEEELb0EEEEEENSF_IJS14_EEENSF_IJNS5_IJLi1ELi2ELi3ELi4EEEEEEES1U_NSH_IlLl256EEEEENSE_INSF_IJSP_SS_SU_SX_SY_SU_SZ_S12_SU_NS10_INSF_IJSI_SK_EEEEENSV_INSF_IJSI_NSH_IiLi2EEESK_EEELb0EEEEEENSF_IJS14_S15_S16_S17_S18_S19_S1A_S1B_S1C_NS5_IJLi11ELi13EEEES1J_EEENSF_IJS1E_S1F_S19_S1G_S1H_S1C_S1I_S1J_S1K_NS5_IJLi14EEEENS5_IJLi15ELi16ELi17EEEEEEENS5_IJLi15ELi16ELi17ELi14EEEES1N_EENSE_INSF_IJS1R_NS10_ISW_EES22_EEENSF_IJS14_NS5_IJLi1ELi3EEEENS5_IJLi2EEEEEEENSF_IJS1U_S17_NS5_IJLi6ELi7ELi8EEEEEEENS5_IJLi6ELi7ELi8ELi5EEEES1W_EELi16ELi32ELi256ELi256ELi128ELi16ELi16ELi8ELi8ELi32ELb0EE3RunILb1ELNS_10TailNumberE1ENSE_INSF_IJNSG_INSF_IJiiEEENSF_IJiSN_EEELb0EEENSV_IS2N_Lb0EEENST_IiEEEEENSF_IJS14_S2E_NS5_IJLi1EEEEEEENSF_IJNS5_IJLi1ELi2EEEENS5_IJLi3ELi4EEEES17_EEENS5_IJLi3ELi5ELi4EEEElEES1O_NS_35ThreadGroupTensorSliceTransfer_v4r1INS_15ThisThreadBlockILi256EEENS_16tensor_operation12element_wise11PassThroughES35_LNS_25InMemoryDataOperationEnumE0ENS5_IJLi8ELi256ELi16EEEENS5_IJLi8ELi32ELi1EEEENS5_IJLi1ELi0ELi2EEEESC_SC_RKS2Z_KS1O_S39_NS5_IJLi0ELi1ELi2EEEELi2ELi2ELi16ELi16ELi1ELi1ELb0ELb1ELi2EiEENS_13DynamicBufferILNS_16AddressSpaceEnumE1EKSC_lLb1ELNS_22AmdBufferCoherenceEnumE0EiEENSF_IJNS3F_ILS3G_2ESC_S1N_Lb1ELS3I_0EiEES3K_EEENSF_IJiiiEEENSE_INSF_IJNSG_INSF_IJiiiiEEENSF_IJiiiSN_EEELb0EEEEEES1T_S1V_S1U_lEENS_32ThreadwiseTensorSliceTransfer_v2ISD_SD_RKS3R_KS1X_NS5_IJLi8ELi1ELi1ELi32EEEENS5_IJLi1ELi2ELi0ELi3EEEELi3ELi32ELi0ELb1ELb0ELb0EEENS3F_ILS3G_1EKSD_lLb1ELS3I_0EiEENSF_IJNS_12StaticBufferILS3G_4ESD_Li256ELb1EEES42_EEES3N_NS_25StaticBufferTupleOfVectorILS3G_4EfLi64ELi4ELb1ELb0EEEEEvRKT1_RKT2_RT3_RKT4_RT5_RKT6_RKT7_RT8_RKT9_RT10_RKT11_RT12_iENKUlT_T0_E_clISN_NSH_IiLi0EEEEEDaS51_S52_ENKUlS51_E_clINSH_IiLi4EEEEEDaS51_EUlS51_E_EEvS51_EUlS51_E_EEvS51_
                                        ; -- End function
	.section	.AMDGPU.csdata,"",@progbits
; Function info:
; codeLenInByte = 133608
; NumSgprs: 36
; NumVgprs: 26
; NumAgprs: 4
; TotalNumVgprs: 32
; ScratchSize: 0
; MemoryBound: 1
	.text
	.p2align	2                               ; -- Begin function _ZNK2ck6detail7applierIiJLi0ELi1ELi2ELi3ELi4ELi5ELi6ELi7EEEclIZNKS_11static_fordINS_8SequenceIJLi1ELi8EEEENS5_IJLi0ELi1EEEEEclIZZZNKS_52BlockwiseGemmXdlops_pipeline_bpreshuffle_bdequant_v3ILNS_26BlockGemmPipelineSchedulerE0ELi256ENS_9f8_fnuz_tENS_7pk_i4_tESC_fNS_16TensorDescriptorINS_5TupleIJNS_5EmbedINSF_IJNS_17integral_constantIiLi8EEENSH_IiLi256EEENSH_IiLi16EEEEEENSF_IJSK_NSH_IiLi128EEENSH_IiLi1EEEEEELb0EEENS_3XorINSF_IJSJ_SI_EEELb1EEENS_11PassThroughISK_EENS_7UnMergeINSF_IJSI_SN_EEELb0EEENST_ISJ_EESU_NST_ISI_EENS_21Merge_v3_division_modINSF_IJSJ_SN_EEEEESU_EEENSF_IJNS5_IJLi0EEEENS5_IJLi2ELi1EEEENS5_IJLi3EEEENS5_IJLi5EEEENS5_IJLi4EEEENS5_IJLi6EEEENS5_IJLi7EEEENS5_IJLi9ELi8EEEENS5_IJLi10EEEEEEENSF_IJNS5_IJLi1ELi2ELi3EEEENS5_IJLi4ELi5EEEES19_NS5_IJLi7ELi8EEEENS5_IJLi9EEEES1C_NS5_IJLi11EEEENS5_IJLi12EEEENS5_IJLi13EEEEEEENS5_IJLi11ELi12ELi13EEEENSH_IlLl32768EEEEENSE_INSF_IJNSV_INSF_IJSI_SN_SN_NSH_IiLi32EEEEEELb0EEEEEENSF_IJS14_EEENSF_IJNS5_IJLi1ELi2ELi3ELi4EEEEEEES1U_NSH_IlLl256EEEEENSE_INSF_IJSP_SS_SU_SX_SY_SU_SZ_S12_SU_NS10_INSF_IJSI_SK_EEEEENSV_INSF_IJSI_NSH_IiLi2EEESK_EEELb0EEEEEENSF_IJS14_S15_S16_S17_S18_S19_S1A_S1B_S1C_NS5_IJLi11ELi13EEEES1J_EEENSF_IJS1E_S1F_S19_S1G_S1H_S1C_S1I_S1J_S1K_NS5_IJLi14EEEENS5_IJLi15ELi16ELi17EEEEEEENS5_IJLi15ELi16ELi17ELi14EEEES1N_EENSE_INSF_IJS1R_NS10_ISW_EES22_EEENSF_IJS14_NS5_IJLi1ELi3EEEENS5_IJLi2EEEEEEENSF_IJS1U_S17_NS5_IJLi6ELi7ELi8EEEEEEENS5_IJLi6ELi7ELi8ELi5EEEES1W_EELi16ELi32ELi256ELi256ELi128ELi16ELi16ELi8ELi8ELi32ELb0EE3RunILb1ELNS_10TailNumberE1ENSE_INSF_IJNSG_INSF_IJiiEEENSF_IJiSN_EEELb0EEENSV_IS2N_Lb0EEENST_IiEEEEENSF_IJS14_S2E_NS5_IJLi1EEEEEEENSF_IJNS5_IJLi1ELi2EEEENS5_IJLi3ELi4EEEES17_EEENS5_IJLi3ELi5ELi4EEEElEES1O_NS_35ThreadGroupTensorSliceTransfer_v4r1INS_15ThisThreadBlockILi256EEENS_16tensor_operation12element_wise11PassThroughES35_LNS_25InMemoryDataOperationEnumE0ENS5_IJLi8ELi256ELi16EEEENS5_IJLi8ELi32ELi1EEEENS5_IJLi1ELi0ELi2EEEESC_SC_RKS2Z_KS1O_S39_NS5_IJLi0ELi1ELi2EEEELi2ELi2ELi16ELi16ELi1ELi1ELb0ELb1ELi2EiEENS_13DynamicBufferILNS_16AddressSpaceEnumE1EKSC_lLb1ELNS_22AmdBufferCoherenceEnumE0EiEENSF_IJNS3F_ILS3G_2ESC_S1N_Lb1ELS3I_0EiEES3K_EEENSF_IJiiiEEENSE_INSF_IJNSG_INSF_IJiiiiEEENSF_IJiiiSN_EEELb0EEEEEES1T_S1V_S1U_lEENS_32ThreadwiseTensorSliceTransfer_v2ISD_SD_RKS3R_KS1X_NS5_IJLi8ELi1ELi1ELi32EEEENS5_IJLi1ELi2ELi0ELi3EEEELi3ELi32ELi0ELb1ELb0ELb0EEENS3F_ILS3G_1EKSD_lLb1ELS3I_0EiEENSF_IJNS_12StaticBufferILS3G_4ESD_Li256ELb1EEES42_EEES3N_NS_25StaticBufferTupleOfVectorILS3G_4EfLi64ELi4ELb1ELb0EEEEEvRKT1_RKT2_RT3_RKT4_RT5_RKT6_RKT7_RT8_RKT9_RT10_RKT11_RT12_iENKUlT_T0_E_clISN_NSH_IiLi0EEEEEDaS51_S52_ENKUlS51_E_clINSH_IiLi5EEEEEDaS51_EUlS51_E_EEvS51_EUlS51_E_EEvS51_
	.type	_ZNK2ck6detail7applierIiJLi0ELi1ELi2ELi3ELi4ELi5ELi6ELi7EEEclIZNKS_11static_fordINS_8SequenceIJLi1ELi8EEEENS5_IJLi0ELi1EEEEEclIZZZNKS_52BlockwiseGemmXdlops_pipeline_bpreshuffle_bdequant_v3ILNS_26BlockGemmPipelineSchedulerE0ELi256ENS_9f8_fnuz_tENS_7pk_i4_tESC_fNS_16TensorDescriptorINS_5TupleIJNS_5EmbedINSF_IJNS_17integral_constantIiLi8EEENSH_IiLi256EEENSH_IiLi16EEEEEENSF_IJSK_NSH_IiLi128EEENSH_IiLi1EEEEEELb0EEENS_3XorINSF_IJSJ_SI_EEELb1EEENS_11PassThroughISK_EENS_7UnMergeINSF_IJSI_SN_EEELb0EEENST_ISJ_EESU_NST_ISI_EENS_21Merge_v3_division_modINSF_IJSJ_SN_EEEEESU_EEENSF_IJNS5_IJLi0EEEENS5_IJLi2ELi1EEEENS5_IJLi3EEEENS5_IJLi5EEEENS5_IJLi4EEEENS5_IJLi6EEEENS5_IJLi7EEEENS5_IJLi9ELi8EEEENS5_IJLi10EEEEEEENSF_IJNS5_IJLi1ELi2ELi3EEEENS5_IJLi4ELi5EEEES19_NS5_IJLi7ELi8EEEENS5_IJLi9EEEES1C_NS5_IJLi11EEEENS5_IJLi12EEEENS5_IJLi13EEEEEEENS5_IJLi11ELi12ELi13EEEENSH_IlLl32768EEEEENSE_INSF_IJNSV_INSF_IJSI_SN_SN_NSH_IiLi32EEEEEELb0EEEEEENSF_IJS14_EEENSF_IJNS5_IJLi1ELi2ELi3ELi4EEEEEEES1U_NSH_IlLl256EEEEENSE_INSF_IJSP_SS_SU_SX_SY_SU_SZ_S12_SU_NS10_INSF_IJSI_SK_EEEEENSV_INSF_IJSI_NSH_IiLi2EEESK_EEELb0EEEEEENSF_IJS14_S15_S16_S17_S18_S19_S1A_S1B_S1C_NS5_IJLi11ELi13EEEES1J_EEENSF_IJS1E_S1F_S19_S1G_S1H_S1C_S1I_S1J_S1K_NS5_IJLi14EEEENS5_IJLi15ELi16ELi17EEEEEEENS5_IJLi15ELi16ELi17ELi14EEEES1N_EENSE_INSF_IJS1R_NS10_ISW_EES22_EEENSF_IJS14_NS5_IJLi1ELi3EEEENS5_IJLi2EEEEEEENSF_IJS1U_S17_NS5_IJLi6ELi7ELi8EEEEEEENS5_IJLi6ELi7ELi8ELi5EEEES1W_EELi16ELi32ELi256ELi256ELi128ELi16ELi16ELi8ELi8ELi32ELb0EE3RunILb1ELNS_10TailNumberE1ENSE_INSF_IJNSG_INSF_IJiiEEENSF_IJiSN_EEELb0EEENSV_IS2N_Lb0EEENST_IiEEEEENSF_IJS14_S2E_NS5_IJLi1EEEEEEENSF_IJNS5_IJLi1ELi2EEEENS5_IJLi3ELi4EEEES17_EEENS5_IJLi3ELi5ELi4EEEElEES1O_NS_35ThreadGroupTensorSliceTransfer_v4r1INS_15ThisThreadBlockILi256EEENS_16tensor_operation12element_wise11PassThroughES35_LNS_25InMemoryDataOperationEnumE0ENS5_IJLi8ELi256ELi16EEEENS5_IJLi8ELi32ELi1EEEENS5_IJLi1ELi0ELi2EEEESC_SC_RKS2Z_KS1O_S39_NS5_IJLi0ELi1ELi2EEEELi2ELi2ELi16ELi16ELi1ELi1ELb0ELb1ELi2EiEENS_13DynamicBufferILNS_16AddressSpaceEnumE1EKSC_lLb1ELNS_22AmdBufferCoherenceEnumE0EiEENSF_IJNS3F_ILS3G_2ESC_S1N_Lb1ELS3I_0EiEES3K_EEENSF_IJiiiEEENSE_INSF_IJNSG_INSF_IJiiiiEEENSF_IJiiiSN_EEELb0EEEEEES1T_S1V_S1U_lEENS_32ThreadwiseTensorSliceTransfer_v2ISD_SD_RKS3R_KS1X_NS5_IJLi8ELi1ELi1ELi32EEEENS5_IJLi1ELi2ELi0ELi3EEEELi3ELi32ELi0ELb1ELb0ELb0EEENS3F_ILS3G_1EKSD_lLb1ELS3I_0EiEENSF_IJNS_12StaticBufferILS3G_4ESD_Li256ELb1EEES42_EEES3N_NS_25StaticBufferTupleOfVectorILS3G_4EfLi64ELi4ELb1ELb0EEEEEvRKT1_RKT2_RT3_RKT4_RT5_RKT6_RKT7_RT8_RKT9_RT10_RKT11_RT12_iENKUlT_T0_E_clISN_NSH_IiLi0EEEEEDaS51_S52_ENKUlS51_E_clINSH_IiLi5EEEEEDaS51_EUlS51_E_EEvS51_EUlS51_E_EEvS51_,@function
_ZNK2ck6detail7applierIiJLi0ELi1ELi2ELi3ELi4ELi5ELi6ELi7EEEclIZNKS_11static_fordINS_8SequenceIJLi1ELi8EEEENS5_IJLi0ELi1EEEEEclIZZZNKS_52BlockwiseGemmXdlops_pipeline_bpreshuffle_bdequant_v3ILNS_26BlockGemmPipelineSchedulerE0ELi256ENS_9f8_fnuz_tENS_7pk_i4_tESC_fNS_16TensorDescriptorINS_5TupleIJNS_5EmbedINSF_IJNS_17integral_constantIiLi8EEENSH_IiLi256EEENSH_IiLi16EEEEEENSF_IJSK_NSH_IiLi128EEENSH_IiLi1EEEEEELb0EEENS_3XorINSF_IJSJ_SI_EEELb1EEENS_11PassThroughISK_EENS_7UnMergeINSF_IJSI_SN_EEELb0EEENST_ISJ_EESU_NST_ISI_EENS_21Merge_v3_division_modINSF_IJSJ_SN_EEEEESU_EEENSF_IJNS5_IJLi0EEEENS5_IJLi2ELi1EEEENS5_IJLi3EEEENS5_IJLi5EEEENS5_IJLi4EEEENS5_IJLi6EEEENS5_IJLi7EEEENS5_IJLi9ELi8EEEENS5_IJLi10EEEEEEENSF_IJNS5_IJLi1ELi2ELi3EEEENS5_IJLi4ELi5EEEES19_NS5_IJLi7ELi8EEEENS5_IJLi9EEEES1C_NS5_IJLi11EEEENS5_IJLi12EEEENS5_IJLi13EEEEEEENS5_IJLi11ELi12ELi13EEEENSH_IlLl32768EEEEENSE_INSF_IJNSV_INSF_IJSI_SN_SN_NSH_IiLi32EEEEEELb0EEEEEENSF_IJS14_EEENSF_IJNS5_IJLi1ELi2ELi3ELi4EEEEEEES1U_NSH_IlLl256EEEEENSE_INSF_IJSP_SS_SU_SX_SY_SU_SZ_S12_SU_NS10_INSF_IJSI_SK_EEEEENSV_INSF_IJSI_NSH_IiLi2EEESK_EEELb0EEEEEENSF_IJS14_S15_S16_S17_S18_S19_S1A_S1B_S1C_NS5_IJLi11ELi13EEEES1J_EEENSF_IJS1E_S1F_S19_S1G_S1H_S1C_S1I_S1J_S1K_NS5_IJLi14EEEENS5_IJLi15ELi16ELi17EEEEEEENS5_IJLi15ELi16ELi17ELi14EEEES1N_EENSE_INSF_IJS1R_NS10_ISW_EES22_EEENSF_IJS14_NS5_IJLi1ELi3EEEENS5_IJLi2EEEEEEENSF_IJS1U_S17_NS5_IJLi6ELi7ELi8EEEEEEENS5_IJLi6ELi7ELi8ELi5EEEES1W_EELi16ELi32ELi256ELi256ELi128ELi16ELi16ELi8ELi8ELi32ELb0EE3RunILb1ELNS_10TailNumberE1ENSE_INSF_IJNSG_INSF_IJiiEEENSF_IJiSN_EEELb0EEENSV_IS2N_Lb0EEENST_IiEEEEENSF_IJS14_S2E_NS5_IJLi1EEEEEEENSF_IJNS5_IJLi1ELi2EEEENS5_IJLi3ELi4EEEES17_EEENS5_IJLi3ELi5ELi4EEEElEES1O_NS_35ThreadGroupTensorSliceTransfer_v4r1INS_15ThisThreadBlockILi256EEENS_16tensor_operation12element_wise11PassThroughES35_LNS_25InMemoryDataOperationEnumE0ENS5_IJLi8ELi256ELi16EEEENS5_IJLi8ELi32ELi1EEEENS5_IJLi1ELi0ELi2EEEESC_SC_RKS2Z_KS1O_S39_NS5_IJLi0ELi1ELi2EEEELi2ELi2ELi16ELi16ELi1ELi1ELb0ELb1ELi2EiEENS_13DynamicBufferILNS_16AddressSpaceEnumE1EKSC_lLb1ELNS_22AmdBufferCoherenceEnumE0EiEENSF_IJNS3F_ILS3G_2ESC_S1N_Lb1ELS3I_0EiEES3K_EEENSF_IJiiiEEENSE_INSF_IJNSG_INSF_IJiiiiEEENSF_IJiiiSN_EEELb0EEEEEES1T_S1V_S1U_lEENS_32ThreadwiseTensorSliceTransfer_v2ISD_SD_RKS3R_KS1X_NS5_IJLi8ELi1ELi1ELi32EEEENS5_IJLi1ELi2ELi0ELi3EEEELi3ELi32ELi0ELb1ELb0ELb0EEENS3F_ILS3G_1EKSD_lLb1ELS3I_0EiEENSF_IJNS_12StaticBufferILS3G_4ESD_Li256ELb1EEES42_EEES3N_NS_25StaticBufferTupleOfVectorILS3G_4EfLi64ELi4ELb1ELb0EEEEEvRKT1_RKT2_RT3_RKT4_RT5_RKT6_RKT7_RT8_RKT9_RT10_RKT11_RT12_iENKUlT_T0_E_clISN_NSH_IiLi0EEEEEDaS51_S52_ENKUlS51_E_clINSH_IiLi5EEEEEDaS51_EUlS51_E_EEvS51_EUlS51_E_EEvS51_: ; @_ZNK2ck6detail7applierIiJLi0ELi1ELi2ELi3ELi4ELi5ELi6ELi7EEEclIZNKS_11static_fordINS_8SequenceIJLi1ELi8EEEENS5_IJLi0ELi1EEEEEclIZZZNKS_52BlockwiseGemmXdlops_pipeline_bpreshuffle_bdequant_v3ILNS_26BlockGemmPipelineSchedulerE0ELi256ENS_9f8_fnuz_tENS_7pk_i4_tESC_fNS_16TensorDescriptorINS_5TupleIJNS_5EmbedINSF_IJNS_17integral_constantIiLi8EEENSH_IiLi256EEENSH_IiLi16EEEEEENSF_IJSK_NSH_IiLi128EEENSH_IiLi1EEEEEELb0EEENS_3XorINSF_IJSJ_SI_EEELb1EEENS_11PassThroughISK_EENS_7UnMergeINSF_IJSI_SN_EEELb0EEENST_ISJ_EESU_NST_ISI_EENS_21Merge_v3_division_modINSF_IJSJ_SN_EEEEESU_EEENSF_IJNS5_IJLi0EEEENS5_IJLi2ELi1EEEENS5_IJLi3EEEENS5_IJLi5EEEENS5_IJLi4EEEENS5_IJLi6EEEENS5_IJLi7EEEENS5_IJLi9ELi8EEEENS5_IJLi10EEEEEEENSF_IJNS5_IJLi1ELi2ELi3EEEENS5_IJLi4ELi5EEEES19_NS5_IJLi7ELi8EEEENS5_IJLi9EEEES1C_NS5_IJLi11EEEENS5_IJLi12EEEENS5_IJLi13EEEEEEENS5_IJLi11ELi12ELi13EEEENSH_IlLl32768EEEEENSE_INSF_IJNSV_INSF_IJSI_SN_SN_NSH_IiLi32EEEEEELb0EEEEEENSF_IJS14_EEENSF_IJNS5_IJLi1ELi2ELi3ELi4EEEEEEES1U_NSH_IlLl256EEEEENSE_INSF_IJSP_SS_SU_SX_SY_SU_SZ_S12_SU_NS10_INSF_IJSI_SK_EEEEENSV_INSF_IJSI_NSH_IiLi2EEESK_EEELb0EEEEEENSF_IJS14_S15_S16_S17_S18_S19_S1A_S1B_S1C_NS5_IJLi11ELi13EEEES1J_EEENSF_IJS1E_S1F_S19_S1G_S1H_S1C_S1I_S1J_S1K_NS5_IJLi14EEEENS5_IJLi15ELi16ELi17EEEEEEENS5_IJLi15ELi16ELi17ELi14EEEES1N_EENSE_INSF_IJS1R_NS10_ISW_EES22_EEENSF_IJS14_NS5_IJLi1ELi3EEEENS5_IJLi2EEEEEEENSF_IJS1U_S17_NS5_IJLi6ELi7ELi8EEEEEEENS5_IJLi6ELi7ELi8ELi5EEEES1W_EELi16ELi32ELi256ELi256ELi128ELi16ELi16ELi8ELi8ELi32ELb0EE3RunILb1ELNS_10TailNumberE1ENSE_INSF_IJNSG_INSF_IJiiEEENSF_IJiSN_EEELb0EEENSV_IS2N_Lb0EEENST_IiEEEEENSF_IJS14_S2E_NS5_IJLi1EEEEEEENSF_IJNS5_IJLi1ELi2EEEENS5_IJLi3ELi4EEEES17_EEENS5_IJLi3ELi5ELi4EEEElEES1O_NS_35ThreadGroupTensorSliceTransfer_v4r1INS_15ThisThreadBlockILi256EEENS_16tensor_operation12element_wise11PassThroughES35_LNS_25InMemoryDataOperationEnumE0ENS5_IJLi8ELi256ELi16EEEENS5_IJLi8ELi32ELi1EEEENS5_IJLi1ELi0ELi2EEEESC_SC_RKS2Z_KS1O_S39_NS5_IJLi0ELi1ELi2EEEELi2ELi2ELi16ELi16ELi1ELi1ELb0ELb1ELi2EiEENS_13DynamicBufferILNS_16AddressSpaceEnumE1EKSC_lLb1ELNS_22AmdBufferCoherenceEnumE0EiEENSF_IJNS3F_ILS3G_2ESC_S1N_Lb1ELS3I_0EiEES3K_EEENSF_IJiiiEEENSE_INSF_IJNSG_INSF_IJiiiiEEENSF_IJiiiSN_EEELb0EEEEEES1T_S1V_S1U_lEENS_32ThreadwiseTensorSliceTransfer_v2ISD_SD_RKS3R_KS1X_NS5_IJLi8ELi1ELi1ELi32EEEENS5_IJLi1ELi2ELi0ELi3EEEELi3ELi32ELi0ELb1ELb0ELb0EEENS3F_ILS3G_1EKSD_lLb1ELS3I_0EiEENSF_IJNS_12StaticBufferILS3G_4ESD_Li256ELb1EEES42_EEES3N_NS_25StaticBufferTupleOfVectorILS3G_4EfLi64ELi4ELb1ELb0EEEEEvRKT1_RKT2_RT3_RKT4_RT5_RKT6_RKT7_RT8_RKT9_RT10_RKT11_RT12_iENKUlT_T0_E_clISN_NSH_IiLi0EEEEEDaS51_S52_ENKUlS51_E_clINSH_IiLi5EEEEEDaS51_EUlS51_E_EEvS51_EUlS51_E_EEvS51_
; %bb.0:
	s_waitcnt vmcnt(0) expcnt(0) lgkmcnt(0)
	flat_load_dwordx4 v[20:23], v[0:1] offset:16
	flat_load_dwordx2 v[18:19], v[0:1] offset:32
	s_movk_i32 s4, 0x7f
                                        ; implicit-def: $sgpr10
	s_waitcnt vmcnt(0) lgkmcnt(0)
	flat_load_dwordx4 v[14:17], v[20:21] offset:32
	flat_load_dwordx4 v[6:9], v[20:21] offset:48
	flat_load_dwordx4 v[10:13], v[22:23] offset:256
	flat_load_dwordx4 v[2:5], v[22:23] offset:272
	s_waitcnt vmcnt(0) lgkmcnt(0)
	v_cmp_gt_i16_sdwa s[6:7], v14, s4 src0_sel:BYTE_0 src1_sel:DWORD
	s_mov_b64 s[4:5], 0
	s_and_saveexec_b64 s[8:9], s[6:7]
	s_xor_b64 s[6:7], exec, s[8:9]
	s_cbranch_execnz .LBB41_2049
; %bb.1:
	s_or_saveexec_b64 s[6:7], s[6:7]
	v_mov_b32_e32 v20, s10
	s_xor_b64 exec, exec, s[6:7]
	s_cbranch_execnz .LBB41_2052
.LBB41_2:
	s_or_b64 exec, exec, s[6:7]
	s_and_saveexec_b64 s[6:7], s[4:5]
	s_cbranch_execz .LBB41_4
.LBB41_3:
	v_and_b32_e32 v20, 7, v14
	v_ffbh_u32_e32 v22, v20
	v_min_u32_e32 v22, 32, v22
	v_lshrrev_b16_e32 v21, 3, v14
	v_subrev_u32_e32 v23, 28, v22
	v_and_b32_e32 v21, 15, v21
	v_lshlrev_b32_e32 v23, v23, v14
	v_sub_u32_e32 v22, 29, v22
	v_and_b32_e32 v23, 7, v23
	v_cmp_eq_u16_e32 vcc, 0, v21
	v_cndmask_b32_e32 v20, v20, v23, vcc
	v_cndmask_b32_e32 v21, v21, v22, vcc
	v_lshlrev_b32_e32 v22, 24, v14
	v_mov_b32_e32 v23, 0x3b800000
	v_lshlrev_b32_e32 v20, 20, v20
	v_and_b32_e32 v22, 0x80000000, v22
	v_lshl_add_u32 v21, v21, 23, v23
	v_or3_b32 v20, v22, v21, v20
.LBB41_4:
	s_or_b64 exec, exec, s[6:7]
	s_movk_i32 s4, 0x7f
	v_cmp_gt_i16_sdwa s[6:7], v10, s4 src0_sel:BYTE_0 src1_sel:DWORD
	s_mov_b64 s[4:5], 0
                                        ; implicit-def: $sgpr10
	s_and_saveexec_b64 s[8:9], s[6:7]
	s_xor_b64 s[6:7], exec, s[8:9]
	s_cbranch_execnz .LBB41_2053
; %bb.5:
	s_or_saveexec_b64 s[6:7], s[6:7]
	v_mov_b32_e32 v21, s10
	s_xor_b64 exec, exec, s[6:7]
	s_cbranch_execnz .LBB41_2056
.LBB41_6:
	s_or_b64 exec, exec, s[6:7]
	s_and_saveexec_b64 s[6:7], s[4:5]
	s_cbranch_execz .LBB41_8
.LBB41_7:
	v_and_b32_e32 v21, 7, v10
	v_ffbh_u32_e32 v23, v21
	v_min_u32_e32 v23, 32, v23
	v_lshrrev_b16_e32 v22, 3, v10
	v_subrev_u32_e32 v24, 28, v23
	v_and_b32_e32 v22, 15, v22
	v_lshlrev_b32_e32 v24, v24, v10
	v_sub_u32_e32 v23, 29, v23
	v_and_b32_e32 v24, 7, v24
	v_cmp_eq_u16_e32 vcc, 0, v22
	v_cndmask_b32_e32 v21, v21, v24, vcc
	v_cndmask_b32_e32 v22, v22, v23, vcc
	v_lshlrev_b32_e32 v23, 24, v10
	v_mov_b32_e32 v24, 0x3b800000
	v_lshlrev_b32_e32 v21, 20, v21
	v_and_b32_e32 v23, 0x80000000, v23
	v_lshl_add_u32 v22, v22, 23, v24
	v_or3_b32 v21, v23, v22, v21
.LBB41_8:
	s_or_b64 exec, exec, s[6:7]
	flat_load_dwordx4 a[0:3], v[18:19] offset:640
	s_movk_i32 s4, 0x7f
                                        ; implicit-def: $sgpr10
	s_waitcnt vmcnt(0) lgkmcnt(0)
	v_mfma_f32_16x16x4f32 a[0:3], v20, v21, a[0:3]
	v_lshrrev_b32_e32 v21, 8, v14
	v_cmp_gt_i16_sdwa s[6:7], v21, s4 src0_sel:BYTE_0 src1_sel:DWORD
	s_mov_b64 s[4:5], 0
	s_and_saveexec_b64 s[8:9], s[6:7]
	s_xor_b64 s[6:7], exec, s[8:9]
	s_cbranch_execnz .LBB41_2057
; %bb.9:
	s_or_saveexec_b64 s[6:7], s[6:7]
	v_mov_b32_e32 v20, s10
	s_xor_b64 exec, exec, s[6:7]
	s_cbranch_execnz .LBB41_2060
.LBB41_10:
	s_or_b64 exec, exec, s[6:7]
	s_and_saveexec_b64 s[6:7], s[4:5]
	s_cbranch_execz .LBB41_12
.LBB41_11:
	v_bfe_u32 v20, v14, 8, 3
	v_ffbh_u32_e32 v23, v20
	v_min_u32_e32 v23, 32, v23
	v_lshrrev_b16_e32 v22, 3, v21
	v_subrev_u32_e32 v24, 28, v23
	v_and_b32_e32 v22, 15, v22
	v_lshlrev_b32_e32 v21, v24, v21
	v_sub_u32_e32 v23, 29, v23
	v_and_b32_e32 v21, 7, v21
	v_cmp_eq_u16_e32 vcc, 0, v22
	v_cndmask_b32_e32 v20, v20, v21, vcc
	v_cndmask_b32_e32 v21, v22, v23, vcc
	v_lshlrev_b32_e32 v22, 16, v14
	v_mov_b32_e32 v23, 0x3b800000
	v_lshlrev_b32_e32 v20, 20, v20
	v_and_b32_e32 v22, 0x80000000, v22
	v_lshl_add_u32 v21, v21, 23, v23
	v_or3_b32 v20, v22, v21, v20
.LBB41_12:
	s_or_b64 exec, exec, s[6:7]
	v_lshrrev_b32_e32 v21, 8, v10
	s_movk_i32 s4, 0x7f
	v_cmp_gt_i16_sdwa s[6:7], v21, s4 src0_sel:BYTE_0 src1_sel:DWORD
	s_mov_b64 s[4:5], 0
                                        ; implicit-def: $sgpr10
	s_and_saveexec_b64 s[8:9], s[6:7]
	s_xor_b64 s[6:7], exec, s[8:9]
	s_cbranch_execnz .LBB41_2061
; %bb.13:
	s_or_saveexec_b64 s[6:7], s[6:7]
	v_mov_b32_e32 v22, s10
	s_xor_b64 exec, exec, s[6:7]
	s_cbranch_execnz .LBB41_2064
.LBB41_14:
	s_or_b64 exec, exec, s[6:7]
	s_and_saveexec_b64 s[6:7], s[4:5]
	s_cbranch_execz .LBB41_16
.LBB41_15:
	v_bfe_u32 v22, v10, 8, 3
	v_ffbh_u32_e32 v24, v22
	v_min_u32_e32 v24, 32, v24
	v_lshrrev_b16_e32 v23, 3, v21
	v_subrev_u32_e32 v25, 28, v24
	v_and_b32_e32 v23, 15, v23
	v_lshlrev_b32_e32 v21, v25, v21
	v_sub_u32_e32 v24, 29, v24
	v_and_b32_e32 v21, 7, v21
	v_cmp_eq_u16_e32 vcc, 0, v23
	v_cndmask_b32_e32 v21, v22, v21, vcc
	v_cndmask_b32_e32 v22, v23, v24, vcc
	v_lshlrev_b32_e32 v23, 16, v10
	v_mov_b32_e32 v24, 0x3b800000
	v_lshlrev_b32_e32 v21, 20, v21
	v_and_b32_e32 v23, 0x80000000, v23
	v_lshl_add_u32 v22, v22, 23, v24
	v_or3_b32 v22, v23, v22, v21
.LBB41_16:
	s_or_b64 exec, exec, s[6:7]
	s_nop 0
	v_mfma_f32_16x16x4f32 a[0:3], v20, v22, a[0:3]
	s_movk_i32 s4, 0xff
	v_and_b32_sdwa v21, v14, s4 dst_sel:DWORD dst_unused:UNUSED_PAD src0_sel:WORD_1 src1_sel:DWORD
	s_movk_i32 s4, 0x7f
	v_cmp_lt_i16_e32 vcc, s4, v21
	s_mov_b64 s[4:5], 0
                                        ; implicit-def: $sgpr10
	s_and_saveexec_b64 s[6:7], vcc
	s_xor_b64 s[6:7], exec, s[6:7]
	s_cbranch_execnz .LBB41_2065
; %bb.17:
	s_or_saveexec_b64 s[6:7], s[6:7]
	v_mov_b32_e32 v20, s10
	s_xor_b64 exec, exec, s[6:7]
	s_cbranch_execnz .LBB41_2068
.LBB41_18:
	s_or_b64 exec, exec, s[6:7]
	s_and_saveexec_b64 s[6:7], s[4:5]
	s_cbranch_execz .LBB41_20
.LBB41_19:
	v_bfe_u32 v20, v14, 16, 3
	v_ffbh_u32_e32 v23, v20
	v_min_u32_e32 v23, 32, v23
	v_lshrrev_b32_e32 v21, 19, v14
	v_subrev_u32_e32 v24, 28, v23
	v_and_b32_e32 v21, 15, v21
	v_lshlrev_b32_sdwa v24, v24, v14 dst_sel:DWORD dst_unused:UNUSED_PAD src0_sel:DWORD src1_sel:WORD_1
	v_bfe_u32 v22, v14, 19, 4
	v_sub_u32_e32 v23, 29, v23
	v_and_b32_e32 v24, 7, v24
	v_cmp_eq_u16_e32 vcc, 0, v21
	v_cndmask_b32_e32 v20, v20, v24, vcc
	v_cndmask_b32_e32 v21, v22, v23, vcc
	v_lshlrev_b32_e32 v22, 8, v14
	v_mov_b32_e32 v23, 0x3b800000
	v_lshlrev_b32_e32 v20, 20, v20
	v_and_b32_e32 v22, 0x80000000, v22
	v_lshl_add_u32 v21, v21, 23, v23
	v_or3_b32 v20, v22, v21, v20
.LBB41_20:
	s_or_b64 exec, exec, s[6:7]
	s_movk_i32 s4, 0xff
	v_and_b32_sdwa v21, v10, s4 dst_sel:DWORD dst_unused:UNUSED_PAD src0_sel:WORD_1 src1_sel:DWORD
	s_movk_i32 s4, 0x7f
	v_cmp_lt_i16_e32 vcc, s4, v21
	s_mov_b64 s[4:5], 0
                                        ; implicit-def: $sgpr10
	s_and_saveexec_b64 s[6:7], vcc
	s_xor_b64 s[6:7], exec, s[6:7]
	s_cbranch_execnz .LBB41_2069
; %bb.21:
	s_or_saveexec_b64 s[6:7], s[6:7]
	v_mov_b32_e32 v22, s10
	s_xor_b64 exec, exec, s[6:7]
	s_cbranch_execnz .LBB41_2072
.LBB41_22:
	s_or_b64 exec, exec, s[6:7]
	s_and_saveexec_b64 s[6:7], s[4:5]
	s_cbranch_execz .LBB41_24
.LBB41_23:
	v_bfe_u32 v21, v10, 16, 3
	v_ffbh_u32_e32 v24, v21
	v_min_u32_e32 v24, 32, v24
	v_lshrrev_b32_e32 v22, 19, v10
	v_subrev_u32_e32 v25, 28, v24
	v_and_b32_e32 v22, 15, v22
	v_lshlrev_b32_sdwa v25, v25, v10 dst_sel:DWORD dst_unused:UNUSED_PAD src0_sel:DWORD src1_sel:WORD_1
	v_bfe_u32 v23, v10, 19, 4
	v_sub_u32_e32 v24, 29, v24
	v_and_b32_e32 v25, 7, v25
	v_cmp_eq_u16_e32 vcc, 0, v22
	v_cndmask_b32_e32 v21, v21, v25, vcc
	v_cndmask_b32_e32 v22, v23, v24, vcc
	v_lshlrev_b32_e32 v23, 8, v10
	v_mov_b32_e32 v24, 0x3b800000
	v_lshlrev_b32_e32 v21, 20, v21
	v_and_b32_e32 v23, 0x80000000, v23
	v_lshl_add_u32 v22, v22, 23, v24
	v_or3_b32 v22, v23, v22, v21
.LBB41_24:
	s_or_b64 exec, exec, s[6:7]
	s_nop 0
	v_mfma_f32_16x16x4f32 a[0:3], v20, v22, a[0:3]
	s_movk_i32 s4, 0x7f
	v_cmp_gt_i16_sdwa s[6:7], v14, s4 src0_sel:BYTE_3 src1_sel:DWORD
	s_mov_b64 s[4:5], 0
                                        ; implicit-def: $sgpr10
	s_and_saveexec_b64 s[8:9], s[6:7]
	s_xor_b64 s[6:7], exec, s[8:9]
	s_cbranch_execnz .LBB41_2073
; %bb.25:
	s_or_saveexec_b64 s[6:7], s[6:7]
	v_mov_b32_e32 v20, s10
	s_xor_b64 exec, exec, s[6:7]
	s_cbranch_execnz .LBB41_2076
.LBB41_26:
	s_or_b64 exec, exec, s[6:7]
	s_and_saveexec_b64 s[6:7], s[4:5]
	s_cbranch_execz .LBB41_28
.LBB41_27:
	v_bfe_u32 v20, v14, 24, 3
	v_ffbh_u32_e32 v24, v20
	v_min_u32_e32 v24, 32, v24
	v_lshrrev_b32_e32 v22, 27, v14
	v_subrev_u32_e32 v25, 28, v24
	v_and_b32_e32 v21, 0x80000000, v14
	v_and_b32_e32 v22, 15, v22
	v_bfe_u32 v23, v14, 27, 4
	v_lshlrev_b32_sdwa v14, v25, v14 dst_sel:DWORD dst_unused:UNUSED_PAD src0_sel:DWORD src1_sel:BYTE_3
	v_sub_u32_e32 v24, 29, v24
	v_and_b32_e32 v14, 7, v14
	v_cmp_eq_u16_e32 vcc, 0, v22
	v_cndmask_b32_e32 v14, v20, v14, vcc
	v_cndmask_b32_e32 v20, v23, v24, vcc
	v_mov_b32_e32 v22, 0x3b800000
	v_lshlrev_b32_e32 v14, 20, v14
	v_lshl_add_u32 v20, v20, 23, v22
	v_or3_b32 v20, v21, v20, v14
.LBB41_28:
	s_or_b64 exec, exec, s[6:7]
	s_movk_i32 s4, 0x7f
	v_cmp_gt_i16_sdwa s[6:7], v10, s4 src0_sel:BYTE_3 src1_sel:DWORD
	s_mov_b64 s[4:5], 0
                                        ; implicit-def: $sgpr10
	s_and_saveexec_b64 s[8:9], s[6:7]
	s_xor_b64 s[6:7], exec, s[8:9]
	s_cbranch_execnz .LBB41_2077
; %bb.29:
	s_or_saveexec_b64 s[6:7], s[6:7]
	v_mov_b32_e32 v14, s10
	s_xor_b64 exec, exec, s[6:7]
	s_cbranch_execnz .LBB41_2080
.LBB41_30:
	s_or_b64 exec, exec, s[6:7]
	s_and_saveexec_b64 s[6:7], s[4:5]
	s_cbranch_execz .LBB41_32
.LBB41_31:
	v_bfe_u32 v14, v10, 24, 3
	v_ffbh_u32_e32 v24, v14
	v_min_u32_e32 v24, 32, v24
	v_lshrrev_b32_e32 v22, 27, v10
	v_subrev_u32_e32 v25, 28, v24
	v_and_b32_e32 v21, 0x80000000, v10
	v_and_b32_e32 v22, 15, v22
	v_bfe_u32 v23, v10, 27, 4
	v_lshlrev_b32_sdwa v10, v25, v10 dst_sel:DWORD dst_unused:UNUSED_PAD src0_sel:DWORD src1_sel:BYTE_3
	v_sub_u32_e32 v24, 29, v24
	v_and_b32_e32 v10, 7, v10
	v_cmp_eq_u16_e32 vcc, 0, v22
	v_cndmask_b32_e32 v10, v14, v10, vcc
	v_cndmask_b32_e32 v14, v23, v24, vcc
	v_mov_b32_e32 v22, 0x3b800000
	v_lshlrev_b32_e32 v10, 20, v10
	v_lshl_add_u32 v14, v14, 23, v22
	v_or3_b32 v14, v21, v14, v10
.LBB41_32:
	s_or_b64 exec, exec, s[6:7]
	s_nop 0
	v_mfma_f32_16x16x4f32 a[0:3], v20, v14, a[0:3]
	s_movk_i32 s4, 0x7f
	v_cmp_gt_i16_sdwa s[6:7], v15, s4 src0_sel:BYTE_0 src1_sel:DWORD
	s_mov_b64 s[4:5], 0
                                        ; implicit-def: $sgpr10
	s_and_saveexec_b64 s[8:9], s[6:7]
	s_xor_b64 s[6:7], exec, s[8:9]
	s_cbranch_execnz .LBB41_2081
; %bb.33:
	s_or_saveexec_b64 s[6:7], s[6:7]
	v_mov_b32_e32 v10, s10
	s_xor_b64 exec, exec, s[6:7]
	s_cbranch_execnz .LBB41_2084
.LBB41_34:
	s_or_b64 exec, exec, s[6:7]
	s_and_saveexec_b64 s[6:7], s[4:5]
	s_cbranch_execz .LBB41_36
.LBB41_35:
	v_and_b32_e32 v10, 7, v15
	v_ffbh_u32_e32 v20, v10
	v_min_u32_e32 v20, 32, v20
	v_lshrrev_b16_e32 v14, 3, v15
	v_subrev_u32_e32 v21, 28, v20
	v_and_b32_e32 v14, 15, v14
	v_lshlrev_b32_e32 v21, v21, v15
	v_sub_u32_e32 v20, 29, v20
	v_and_b32_e32 v21, 7, v21
	v_cmp_eq_u16_e32 vcc, 0, v14
	v_cndmask_b32_e32 v10, v10, v21, vcc
	v_cndmask_b32_e32 v14, v14, v20, vcc
	v_lshlrev_b32_e32 v20, 24, v15
	v_mov_b32_e32 v21, 0x3b800000
	v_lshlrev_b32_e32 v10, 20, v10
	v_and_b32_e32 v20, 0x80000000, v20
	v_lshl_add_u32 v14, v14, 23, v21
	v_or3_b32 v10, v20, v14, v10
.LBB41_36:
	s_or_b64 exec, exec, s[6:7]
	s_movk_i32 s4, 0x7f
	v_cmp_gt_i16_sdwa s[6:7], v11, s4 src0_sel:BYTE_0 src1_sel:DWORD
	s_mov_b64 s[4:5], 0
                                        ; implicit-def: $sgpr10
	s_and_saveexec_b64 s[8:9], s[6:7]
	s_xor_b64 s[6:7], exec, s[8:9]
	s_cbranch_execnz .LBB41_2085
; %bb.37:
	s_or_saveexec_b64 s[6:7], s[6:7]
	v_mov_b32_e32 v14, s10
	s_xor_b64 exec, exec, s[6:7]
	s_cbranch_execnz .LBB41_2088
.LBB41_38:
	s_or_b64 exec, exec, s[6:7]
	s_and_saveexec_b64 s[6:7], s[4:5]
	s_cbranch_execz .LBB41_40
.LBB41_39:
	v_and_b32_e32 v14, 7, v11
	v_ffbh_u32_e32 v21, v14
	v_min_u32_e32 v21, 32, v21
	v_lshrrev_b16_e32 v20, 3, v11
	v_subrev_u32_e32 v22, 28, v21
	v_and_b32_e32 v20, 15, v20
	v_lshlrev_b32_e32 v22, v22, v11
	v_sub_u32_e32 v21, 29, v21
	v_and_b32_e32 v22, 7, v22
	v_cmp_eq_u16_e32 vcc, 0, v20
	v_cndmask_b32_e32 v14, v14, v22, vcc
	v_cndmask_b32_e32 v20, v20, v21, vcc
	v_lshlrev_b32_e32 v21, 24, v11
	v_mov_b32_e32 v22, 0x3b800000
	v_lshlrev_b32_e32 v14, 20, v14
	v_and_b32_e32 v21, 0x80000000, v21
	v_lshl_add_u32 v20, v20, 23, v22
	v_or3_b32 v14, v21, v20, v14
.LBB41_40:
	s_or_b64 exec, exec, s[6:7]
	s_nop 0
	v_mfma_f32_16x16x4f32 a[0:3], v10, v14, a[0:3]
	v_lshrrev_b32_e32 v14, 8, v15
	s_movk_i32 s4, 0x7f
	v_cmp_gt_i16_sdwa s[6:7], v14, s4 src0_sel:BYTE_0 src1_sel:DWORD
	s_mov_b64 s[4:5], 0
                                        ; implicit-def: $sgpr10
	s_and_saveexec_b64 s[8:9], s[6:7]
	s_xor_b64 s[6:7], exec, s[8:9]
	s_cbranch_execnz .LBB41_2089
; %bb.41:
	s_or_saveexec_b64 s[6:7], s[6:7]
	v_mov_b32_e32 v10, s10
	s_xor_b64 exec, exec, s[6:7]
	s_cbranch_execnz .LBB41_2092
.LBB41_42:
	s_or_b64 exec, exec, s[6:7]
	s_and_saveexec_b64 s[6:7], s[4:5]
	s_cbranch_execz .LBB41_44
.LBB41_43:
	v_bfe_u32 v10, v15, 8, 3
	v_ffbh_u32_e32 v21, v10
	v_min_u32_e32 v21, 32, v21
	v_lshrrev_b16_e32 v20, 3, v14
	v_subrev_u32_e32 v22, 28, v21
	v_and_b32_e32 v20, 15, v20
	v_lshlrev_b32_e32 v14, v22, v14
	v_sub_u32_e32 v21, 29, v21
	v_and_b32_e32 v14, 7, v14
	v_cmp_eq_u16_e32 vcc, 0, v20
	v_cndmask_b32_e32 v10, v10, v14, vcc
	v_cndmask_b32_e32 v14, v20, v21, vcc
	v_lshlrev_b32_e32 v20, 16, v15
	v_mov_b32_e32 v21, 0x3b800000
	v_lshlrev_b32_e32 v10, 20, v10
	v_and_b32_e32 v20, 0x80000000, v20
	v_lshl_add_u32 v14, v14, 23, v21
	v_or3_b32 v10, v20, v14, v10
.LBB41_44:
	s_or_b64 exec, exec, s[6:7]
	v_lshrrev_b32_e32 v14, 8, v11
	s_movk_i32 s4, 0x7f
	v_cmp_gt_i16_sdwa s[6:7], v14, s4 src0_sel:BYTE_0 src1_sel:DWORD
	s_mov_b64 s[4:5], 0
                                        ; implicit-def: $sgpr10
	s_and_saveexec_b64 s[8:9], s[6:7]
	s_xor_b64 s[6:7], exec, s[8:9]
	s_cbranch_execnz .LBB41_2093
; %bb.45:
	s_or_saveexec_b64 s[6:7], s[6:7]
	v_mov_b32_e32 v20, s10
	s_xor_b64 exec, exec, s[6:7]
	s_cbranch_execnz .LBB41_2096
.LBB41_46:
	s_or_b64 exec, exec, s[6:7]
	s_and_saveexec_b64 s[6:7], s[4:5]
	s_cbranch_execz .LBB41_48
.LBB41_47:
	v_bfe_u32 v20, v11, 8, 3
	v_ffbh_u32_e32 v22, v20
	v_min_u32_e32 v22, 32, v22
	v_lshrrev_b16_e32 v21, 3, v14
	v_subrev_u32_e32 v23, 28, v22
	v_and_b32_e32 v21, 15, v21
	v_lshlrev_b32_e32 v14, v23, v14
	v_sub_u32_e32 v22, 29, v22
	v_and_b32_e32 v14, 7, v14
	v_cmp_eq_u16_e32 vcc, 0, v21
	v_cndmask_b32_e32 v14, v20, v14, vcc
	v_cndmask_b32_e32 v20, v21, v22, vcc
	v_lshlrev_b32_e32 v21, 16, v11
	v_mov_b32_e32 v22, 0x3b800000
	v_lshlrev_b32_e32 v14, 20, v14
	v_and_b32_e32 v21, 0x80000000, v21
	v_lshl_add_u32 v20, v20, 23, v22
	v_or3_b32 v20, v21, v20, v14
.LBB41_48:
	s_or_b64 exec, exec, s[6:7]
	s_nop 0
	v_mfma_f32_16x16x4f32 a[0:3], v10, v20, a[0:3]
	s_movk_i32 s4, 0xff
	v_and_b32_sdwa v14, v15, s4 dst_sel:DWORD dst_unused:UNUSED_PAD src0_sel:WORD_1 src1_sel:DWORD
	s_movk_i32 s4, 0x7f
	v_cmp_lt_i16_e32 vcc, s4, v14
	s_mov_b64 s[4:5], 0
                                        ; implicit-def: $sgpr10
	s_and_saveexec_b64 s[6:7], vcc
	s_xor_b64 s[6:7], exec, s[6:7]
	s_cbranch_execnz .LBB41_2097
; %bb.49:
	s_or_saveexec_b64 s[6:7], s[6:7]
	v_mov_b32_e32 v10, s10
	s_xor_b64 exec, exec, s[6:7]
	s_cbranch_execnz .LBB41_2100
.LBB41_50:
	s_or_b64 exec, exec, s[6:7]
	s_and_saveexec_b64 s[6:7], s[4:5]
	s_cbranch_execz .LBB41_52
.LBB41_51:
	v_bfe_u32 v10, v15, 16, 3
	v_ffbh_u32_e32 v21, v10
	v_min_u32_e32 v21, 32, v21
	v_lshrrev_b32_e32 v14, 19, v15
	v_subrev_u32_e32 v22, 28, v21
	v_and_b32_e32 v14, 15, v14
	v_lshlrev_b32_sdwa v22, v22, v15 dst_sel:DWORD dst_unused:UNUSED_PAD src0_sel:DWORD src1_sel:WORD_1
	v_bfe_u32 v20, v15, 19, 4
	v_sub_u32_e32 v21, 29, v21
	v_and_b32_e32 v22, 7, v22
	v_cmp_eq_u16_e32 vcc, 0, v14
	v_cndmask_b32_e32 v10, v10, v22, vcc
	v_cndmask_b32_e32 v14, v20, v21, vcc
	v_lshlrev_b32_e32 v20, 8, v15
	v_mov_b32_e32 v21, 0x3b800000
	v_lshlrev_b32_e32 v10, 20, v10
	v_and_b32_e32 v20, 0x80000000, v20
	v_lshl_add_u32 v14, v14, 23, v21
	v_or3_b32 v10, v20, v14, v10
.LBB41_52:
	s_or_b64 exec, exec, s[6:7]
	s_movk_i32 s4, 0xff
	v_and_b32_sdwa v14, v11, s4 dst_sel:DWORD dst_unused:UNUSED_PAD src0_sel:WORD_1 src1_sel:DWORD
	s_movk_i32 s4, 0x7f
	v_cmp_lt_i16_e32 vcc, s4, v14
	s_mov_b64 s[4:5], 0
                                        ; implicit-def: $sgpr10
	s_and_saveexec_b64 s[6:7], vcc
	s_xor_b64 s[6:7], exec, s[6:7]
	s_cbranch_execnz .LBB41_2101
; %bb.53:
	s_or_saveexec_b64 s[6:7], s[6:7]
	v_mov_b32_e32 v20, s10
	s_xor_b64 exec, exec, s[6:7]
	s_cbranch_execnz .LBB41_2104
.LBB41_54:
	s_or_b64 exec, exec, s[6:7]
	s_and_saveexec_b64 s[6:7], s[4:5]
	s_cbranch_execz .LBB41_56
.LBB41_55:
	v_bfe_u32 v14, v11, 16, 3
	v_ffbh_u32_e32 v22, v14
	v_min_u32_e32 v22, 32, v22
	v_lshrrev_b32_e32 v20, 19, v11
	v_subrev_u32_e32 v23, 28, v22
	v_and_b32_e32 v20, 15, v20
	v_lshlrev_b32_sdwa v23, v23, v11 dst_sel:DWORD dst_unused:UNUSED_PAD src0_sel:DWORD src1_sel:WORD_1
	v_bfe_u32 v21, v11, 19, 4
	v_sub_u32_e32 v22, 29, v22
	v_and_b32_e32 v23, 7, v23
	v_cmp_eq_u16_e32 vcc, 0, v20
	v_cndmask_b32_e32 v14, v14, v23, vcc
	v_cndmask_b32_e32 v20, v21, v22, vcc
	v_lshlrev_b32_e32 v21, 8, v11
	v_mov_b32_e32 v22, 0x3b800000
	v_lshlrev_b32_e32 v14, 20, v14
	v_and_b32_e32 v21, 0x80000000, v21
	v_lshl_add_u32 v20, v20, 23, v22
	v_or3_b32 v20, v21, v20, v14
.LBB41_56:
	s_or_b64 exec, exec, s[6:7]
	s_nop 0
	v_mfma_f32_16x16x4f32 a[0:3], v10, v20, a[0:3]
	s_movk_i32 s4, 0x7f
	v_cmp_gt_i16_sdwa s[6:7], v15, s4 src0_sel:BYTE_3 src1_sel:DWORD
	s_mov_b64 s[4:5], 0
                                        ; implicit-def: $sgpr10
	s_and_saveexec_b64 s[8:9], s[6:7]
	s_xor_b64 s[6:7], exec, s[8:9]
	s_cbranch_execnz .LBB41_2105
; %bb.57:
	s_or_saveexec_b64 s[6:7], s[6:7]
	v_mov_b32_e32 v10, s10
	s_xor_b64 exec, exec, s[6:7]
	s_cbranch_execnz .LBB41_2108
.LBB41_58:
	s_or_b64 exec, exec, s[6:7]
	s_and_saveexec_b64 s[6:7], s[4:5]
	s_cbranch_execz .LBB41_60
.LBB41_59:
	v_bfe_u32 v10, v15, 24, 3
	v_ffbh_u32_e32 v22, v10
	v_min_u32_e32 v22, 32, v22
	v_lshrrev_b32_e32 v20, 27, v15
	v_subrev_u32_e32 v23, 28, v22
	v_and_b32_e32 v14, 0x80000000, v15
	v_and_b32_e32 v20, 15, v20
	v_bfe_u32 v21, v15, 27, 4
	v_lshlrev_b32_sdwa v15, v23, v15 dst_sel:DWORD dst_unused:UNUSED_PAD src0_sel:DWORD src1_sel:BYTE_3
	v_sub_u32_e32 v22, 29, v22
	v_and_b32_e32 v15, 7, v15
	v_cmp_eq_u16_e32 vcc, 0, v20
	v_cndmask_b32_e32 v10, v10, v15, vcc
	v_cndmask_b32_e32 v15, v21, v22, vcc
	v_mov_b32_e32 v20, 0x3b800000
	v_lshlrev_b32_e32 v10, 20, v10
	v_lshl_add_u32 v15, v15, 23, v20
	v_or3_b32 v10, v14, v15, v10
.LBB41_60:
	s_or_b64 exec, exec, s[6:7]
	s_movk_i32 s4, 0x7f
	v_cmp_gt_i16_sdwa s[6:7], v11, s4 src0_sel:BYTE_3 src1_sel:DWORD
	s_mov_b64 s[4:5], 0
                                        ; implicit-def: $sgpr10
	s_and_saveexec_b64 s[8:9], s[6:7]
	s_xor_b64 s[6:7], exec, s[8:9]
	s_cbranch_execnz .LBB41_2109
; %bb.61:
	s_or_saveexec_b64 s[6:7], s[6:7]
	v_mov_b32_e32 v14, s10
	s_xor_b64 exec, exec, s[6:7]
	s_cbranch_execnz .LBB41_2112
.LBB41_62:
	s_or_b64 exec, exec, s[6:7]
	s_and_saveexec_b64 s[6:7], s[4:5]
	s_cbranch_execz .LBB41_64
.LBB41_63:
	v_bfe_u32 v14, v11, 24, 3
	v_ffbh_u32_e32 v22, v14
	v_min_u32_e32 v22, 32, v22
	v_lshrrev_b32_e32 v20, 27, v11
	v_subrev_u32_e32 v23, 28, v22
	v_and_b32_e32 v15, 0x80000000, v11
	v_and_b32_e32 v20, 15, v20
	v_bfe_u32 v21, v11, 27, 4
	v_lshlrev_b32_sdwa v11, v23, v11 dst_sel:DWORD dst_unused:UNUSED_PAD src0_sel:DWORD src1_sel:BYTE_3
	v_sub_u32_e32 v22, 29, v22
	v_and_b32_e32 v11, 7, v11
	v_cmp_eq_u16_e32 vcc, 0, v20
	v_cndmask_b32_e32 v11, v14, v11, vcc
	v_cndmask_b32_e32 v14, v21, v22, vcc
	v_mov_b32_e32 v20, 0x3b800000
	v_lshlrev_b32_e32 v11, 20, v11
	v_lshl_add_u32 v14, v14, 23, v20
	v_or3_b32 v14, v15, v14, v11
.LBB41_64:
	s_or_b64 exec, exec, s[6:7]
	s_nop 0
	v_mfma_f32_16x16x4f32 a[0:3], v10, v14, a[0:3]
	s_movk_i32 s4, 0x7f
	v_cmp_gt_i16_sdwa s[6:7], v16, s4 src0_sel:BYTE_0 src1_sel:DWORD
	s_mov_b64 s[4:5], 0
                                        ; implicit-def: $sgpr10
	s_and_saveexec_b64 s[8:9], s[6:7]
	s_xor_b64 s[6:7], exec, s[8:9]
	s_cbranch_execnz .LBB41_2113
; %bb.65:
	s_or_saveexec_b64 s[6:7], s[6:7]
	v_mov_b32_e32 v10, s10
	s_xor_b64 exec, exec, s[6:7]
	s_cbranch_execnz .LBB41_2116
.LBB41_66:
	s_or_b64 exec, exec, s[6:7]
	s_and_saveexec_b64 s[6:7], s[4:5]
	s_cbranch_execz .LBB41_68
.LBB41_67:
	v_and_b32_e32 v10, 7, v16
	v_ffbh_u32_e32 v14, v10
	v_min_u32_e32 v14, 32, v14
	v_lshrrev_b16_e32 v11, 3, v16
	v_subrev_u32_e32 v15, 28, v14
	v_and_b32_e32 v11, 15, v11
	v_lshlrev_b32_e32 v15, v15, v16
	v_sub_u32_e32 v14, 29, v14
	v_and_b32_e32 v15, 7, v15
	v_cmp_eq_u16_e32 vcc, 0, v11
	v_cndmask_b32_e32 v10, v10, v15, vcc
	v_cndmask_b32_e32 v11, v11, v14, vcc
	v_lshlrev_b32_e32 v14, 24, v16
	v_mov_b32_e32 v15, 0x3b800000
	v_lshlrev_b32_e32 v10, 20, v10
	v_and_b32_e32 v14, 0x80000000, v14
	v_lshl_add_u32 v11, v11, 23, v15
	v_or3_b32 v10, v14, v11, v10
.LBB41_68:
	s_or_b64 exec, exec, s[6:7]
	s_movk_i32 s4, 0x7f
	v_cmp_gt_i16_sdwa s[6:7], v12, s4 src0_sel:BYTE_0 src1_sel:DWORD
	s_mov_b64 s[4:5], 0
                                        ; implicit-def: $sgpr10
	s_and_saveexec_b64 s[8:9], s[6:7]
	s_xor_b64 s[6:7], exec, s[8:9]
	s_cbranch_execnz .LBB41_2117
; %bb.69:
	s_or_saveexec_b64 s[6:7], s[6:7]
	v_mov_b32_e32 v11, s10
	s_xor_b64 exec, exec, s[6:7]
	s_cbranch_execnz .LBB41_2120
.LBB41_70:
	s_or_b64 exec, exec, s[6:7]
	s_and_saveexec_b64 s[6:7], s[4:5]
	s_cbranch_execz .LBB41_72
.LBB41_71:
	v_and_b32_e32 v11, 7, v12
	v_ffbh_u32_e32 v15, v11
	v_min_u32_e32 v15, 32, v15
	v_lshrrev_b16_e32 v14, 3, v12
	v_subrev_u32_e32 v20, 28, v15
	v_and_b32_e32 v14, 15, v14
	v_lshlrev_b32_e32 v20, v20, v12
	v_sub_u32_e32 v15, 29, v15
	v_and_b32_e32 v20, 7, v20
	v_cmp_eq_u16_e32 vcc, 0, v14
	v_cndmask_b32_e32 v11, v11, v20, vcc
	v_cndmask_b32_e32 v14, v14, v15, vcc
	v_lshlrev_b32_e32 v15, 24, v12
	v_mov_b32_e32 v20, 0x3b800000
	v_lshlrev_b32_e32 v11, 20, v11
	v_and_b32_e32 v15, 0x80000000, v15
	v_lshl_add_u32 v14, v14, 23, v20
	v_or3_b32 v11, v15, v14, v11
.LBB41_72:
	s_or_b64 exec, exec, s[6:7]
	s_nop 0
	v_mfma_f32_16x16x4f32 a[0:3], v10, v11, a[0:3]
	v_lshrrev_b32_e32 v11, 8, v16
	s_movk_i32 s4, 0x7f
	v_cmp_gt_i16_sdwa s[6:7], v11, s4 src0_sel:BYTE_0 src1_sel:DWORD
	s_mov_b64 s[4:5], 0
                                        ; implicit-def: $sgpr10
	s_and_saveexec_b64 s[8:9], s[6:7]
	s_xor_b64 s[6:7], exec, s[8:9]
	s_cbranch_execnz .LBB41_2121
; %bb.73:
	s_or_saveexec_b64 s[6:7], s[6:7]
	v_mov_b32_e32 v10, s10
	s_xor_b64 exec, exec, s[6:7]
	s_cbranch_execnz .LBB41_2124
.LBB41_74:
	s_or_b64 exec, exec, s[6:7]
	s_and_saveexec_b64 s[6:7], s[4:5]
	s_cbranch_execz .LBB41_76
.LBB41_75:
	v_bfe_u32 v10, v16, 8, 3
	v_ffbh_u32_e32 v15, v10
	v_min_u32_e32 v15, 32, v15
	v_lshrrev_b16_e32 v14, 3, v11
	v_subrev_u32_e32 v20, 28, v15
	v_and_b32_e32 v14, 15, v14
	v_lshlrev_b32_e32 v11, v20, v11
	v_sub_u32_e32 v15, 29, v15
	v_and_b32_e32 v11, 7, v11
	v_cmp_eq_u16_e32 vcc, 0, v14
	v_cndmask_b32_e32 v10, v10, v11, vcc
	v_cndmask_b32_e32 v11, v14, v15, vcc
	v_lshlrev_b32_e32 v14, 16, v16
	v_mov_b32_e32 v15, 0x3b800000
	v_lshlrev_b32_e32 v10, 20, v10
	v_and_b32_e32 v14, 0x80000000, v14
	v_lshl_add_u32 v11, v11, 23, v15
	v_or3_b32 v10, v14, v11, v10
.LBB41_76:
	s_or_b64 exec, exec, s[6:7]
	v_lshrrev_b32_e32 v11, 8, v12
	s_movk_i32 s4, 0x7f
	v_cmp_gt_i16_sdwa s[6:7], v11, s4 src0_sel:BYTE_0 src1_sel:DWORD
	s_mov_b64 s[4:5], 0
                                        ; implicit-def: $sgpr10
	s_and_saveexec_b64 s[8:9], s[6:7]
	s_xor_b64 s[6:7], exec, s[8:9]
	s_cbranch_execnz .LBB41_2125
; %bb.77:
	s_or_saveexec_b64 s[6:7], s[6:7]
	v_mov_b32_e32 v14, s10
	s_xor_b64 exec, exec, s[6:7]
	s_cbranch_execnz .LBB41_2128
.LBB41_78:
	s_or_b64 exec, exec, s[6:7]
	s_and_saveexec_b64 s[6:7], s[4:5]
	s_cbranch_execz .LBB41_80
.LBB41_79:
	v_bfe_u32 v14, v12, 8, 3
	v_ffbh_u32_e32 v20, v14
	v_min_u32_e32 v20, 32, v20
	v_lshrrev_b16_e32 v15, 3, v11
	v_subrev_u32_e32 v21, 28, v20
	v_and_b32_e32 v15, 15, v15
	v_lshlrev_b32_e32 v11, v21, v11
	v_sub_u32_e32 v20, 29, v20
	v_and_b32_e32 v11, 7, v11
	v_cmp_eq_u16_e32 vcc, 0, v15
	v_cndmask_b32_e32 v11, v14, v11, vcc
	v_cndmask_b32_e32 v14, v15, v20, vcc
	v_lshlrev_b32_e32 v15, 16, v12
	v_mov_b32_e32 v20, 0x3b800000
	v_lshlrev_b32_e32 v11, 20, v11
	v_and_b32_e32 v15, 0x80000000, v15
	v_lshl_add_u32 v14, v14, 23, v20
	v_or3_b32 v14, v15, v14, v11
.LBB41_80:
	s_or_b64 exec, exec, s[6:7]
	s_nop 0
	v_mfma_f32_16x16x4f32 a[0:3], v10, v14, a[0:3]
	s_movk_i32 s4, 0xff
	v_and_b32_sdwa v11, v16, s4 dst_sel:DWORD dst_unused:UNUSED_PAD src0_sel:WORD_1 src1_sel:DWORD
	s_movk_i32 s4, 0x7f
	v_cmp_lt_i16_e32 vcc, s4, v11
	s_mov_b64 s[4:5], 0
                                        ; implicit-def: $sgpr10
	s_and_saveexec_b64 s[6:7], vcc
	s_xor_b64 s[6:7], exec, s[6:7]
	s_cbranch_execnz .LBB41_2129
; %bb.81:
	s_or_saveexec_b64 s[6:7], s[6:7]
	v_mov_b32_e32 v10, s10
	s_xor_b64 exec, exec, s[6:7]
	s_cbranch_execnz .LBB41_2132
.LBB41_82:
	s_or_b64 exec, exec, s[6:7]
	s_and_saveexec_b64 s[6:7], s[4:5]
	s_cbranch_execz .LBB41_84
.LBB41_83:
	v_bfe_u32 v10, v16, 16, 3
	v_ffbh_u32_e32 v15, v10
	v_min_u32_e32 v15, 32, v15
	v_lshrrev_b32_e32 v11, 19, v16
	v_subrev_u32_e32 v20, 28, v15
	v_and_b32_e32 v11, 15, v11
	v_lshlrev_b32_sdwa v20, v20, v16 dst_sel:DWORD dst_unused:UNUSED_PAD src0_sel:DWORD src1_sel:WORD_1
	v_bfe_u32 v14, v16, 19, 4
	v_sub_u32_e32 v15, 29, v15
	v_and_b32_e32 v20, 7, v20
	v_cmp_eq_u16_e32 vcc, 0, v11
	v_cndmask_b32_e32 v10, v10, v20, vcc
	v_cndmask_b32_e32 v11, v14, v15, vcc
	v_lshlrev_b32_e32 v14, 8, v16
	v_mov_b32_e32 v15, 0x3b800000
	v_lshlrev_b32_e32 v10, 20, v10
	v_and_b32_e32 v14, 0x80000000, v14
	v_lshl_add_u32 v11, v11, 23, v15
	v_or3_b32 v10, v14, v11, v10
.LBB41_84:
	s_or_b64 exec, exec, s[6:7]
	s_movk_i32 s4, 0xff
	v_and_b32_sdwa v11, v12, s4 dst_sel:DWORD dst_unused:UNUSED_PAD src0_sel:WORD_1 src1_sel:DWORD
	s_movk_i32 s4, 0x7f
	v_cmp_lt_i16_e32 vcc, s4, v11
	s_mov_b64 s[4:5], 0
                                        ; implicit-def: $sgpr10
	s_and_saveexec_b64 s[6:7], vcc
	s_xor_b64 s[6:7], exec, s[6:7]
	s_cbranch_execnz .LBB41_2133
; %bb.85:
	s_or_saveexec_b64 s[6:7], s[6:7]
	v_mov_b32_e32 v14, s10
	s_xor_b64 exec, exec, s[6:7]
	s_cbranch_execnz .LBB41_2136
.LBB41_86:
	s_or_b64 exec, exec, s[6:7]
	s_and_saveexec_b64 s[6:7], s[4:5]
	s_cbranch_execz .LBB41_88
.LBB41_87:
	v_bfe_u32 v11, v12, 16, 3
	v_ffbh_u32_e32 v20, v11
	v_min_u32_e32 v20, 32, v20
	v_lshrrev_b32_e32 v14, 19, v12
	v_subrev_u32_e32 v21, 28, v20
	v_and_b32_e32 v14, 15, v14
	v_lshlrev_b32_sdwa v21, v21, v12 dst_sel:DWORD dst_unused:UNUSED_PAD src0_sel:DWORD src1_sel:WORD_1
	v_bfe_u32 v15, v12, 19, 4
	v_sub_u32_e32 v20, 29, v20
	v_and_b32_e32 v21, 7, v21
	v_cmp_eq_u16_e32 vcc, 0, v14
	v_cndmask_b32_e32 v11, v11, v21, vcc
	v_cndmask_b32_e32 v14, v15, v20, vcc
	v_lshlrev_b32_e32 v15, 8, v12
	v_mov_b32_e32 v20, 0x3b800000
	v_lshlrev_b32_e32 v11, 20, v11
	v_and_b32_e32 v15, 0x80000000, v15
	v_lshl_add_u32 v14, v14, 23, v20
	v_or3_b32 v14, v15, v14, v11
.LBB41_88:
	s_or_b64 exec, exec, s[6:7]
	s_nop 0
	v_mfma_f32_16x16x4f32 a[0:3], v10, v14, a[0:3]
	s_movk_i32 s4, 0x7f
	v_cmp_gt_i16_sdwa s[6:7], v16, s4 src0_sel:BYTE_3 src1_sel:DWORD
	s_mov_b64 s[4:5], 0
                                        ; implicit-def: $sgpr10
	s_and_saveexec_b64 s[8:9], s[6:7]
	s_xor_b64 s[6:7], exec, s[8:9]
	s_cbranch_execnz .LBB41_2137
; %bb.89:
	s_or_saveexec_b64 s[6:7], s[6:7]
	v_mov_b32_e32 v10, s10
	s_xor_b64 exec, exec, s[6:7]
	s_cbranch_execnz .LBB41_2140
.LBB41_90:
	s_or_b64 exec, exec, s[6:7]
	s_and_saveexec_b64 s[6:7], s[4:5]
	s_cbranch_execz .LBB41_92
.LBB41_91:
	v_bfe_u32 v10, v16, 24, 3
	v_ffbh_u32_e32 v20, v10
	v_min_u32_e32 v20, 32, v20
	v_lshrrev_b32_e32 v14, 27, v16
	v_subrev_u32_e32 v21, 28, v20
	v_and_b32_e32 v11, 0x80000000, v16
	v_and_b32_e32 v14, 15, v14
	v_bfe_u32 v15, v16, 27, 4
	v_lshlrev_b32_sdwa v16, v21, v16 dst_sel:DWORD dst_unused:UNUSED_PAD src0_sel:DWORD src1_sel:BYTE_3
	v_sub_u32_e32 v20, 29, v20
	v_and_b32_e32 v16, 7, v16
	v_cmp_eq_u16_e32 vcc, 0, v14
	v_cndmask_b32_e32 v10, v10, v16, vcc
	v_cndmask_b32_e32 v14, v15, v20, vcc
	v_mov_b32_e32 v15, 0x3b800000
	v_lshlrev_b32_e32 v10, 20, v10
	v_lshl_add_u32 v14, v14, 23, v15
	v_or3_b32 v10, v11, v14, v10
.LBB41_92:
	s_or_b64 exec, exec, s[6:7]
	s_movk_i32 s4, 0x7f
	v_cmp_gt_i16_sdwa s[6:7], v12, s4 src0_sel:BYTE_3 src1_sel:DWORD
	s_mov_b64 s[4:5], 0
                                        ; implicit-def: $sgpr10
	s_and_saveexec_b64 s[8:9], s[6:7]
	s_xor_b64 s[6:7], exec, s[8:9]
	s_cbranch_execnz .LBB41_2141
; %bb.93:
	s_or_saveexec_b64 s[6:7], s[6:7]
	v_mov_b32_e32 v11, s10
	s_xor_b64 exec, exec, s[6:7]
	s_cbranch_execnz .LBB41_2144
.LBB41_94:
	s_or_b64 exec, exec, s[6:7]
	s_and_saveexec_b64 s[6:7], s[4:5]
	s_cbranch_execz .LBB41_96
.LBB41_95:
	v_bfe_u32 v11, v12, 24, 3
	v_ffbh_u32_e32 v20, v11
	v_min_u32_e32 v20, 32, v20
	v_lshrrev_b32_e32 v15, 27, v12
	v_subrev_u32_e32 v21, 28, v20
	v_and_b32_e32 v14, 0x80000000, v12
	v_and_b32_e32 v15, 15, v15
	v_bfe_u32 v16, v12, 27, 4
	v_lshlrev_b32_sdwa v12, v21, v12 dst_sel:DWORD dst_unused:UNUSED_PAD src0_sel:DWORD src1_sel:BYTE_3
	v_sub_u32_e32 v20, 29, v20
	v_and_b32_e32 v12, 7, v12
	v_cmp_eq_u16_e32 vcc, 0, v15
	v_cndmask_b32_e32 v11, v11, v12, vcc
	v_cndmask_b32_e32 v12, v16, v20, vcc
	v_mov_b32_e32 v15, 0x3b800000
	v_lshlrev_b32_e32 v11, 20, v11
	v_lshl_add_u32 v12, v12, 23, v15
	v_or3_b32 v11, v14, v12, v11
.LBB41_96:
	s_or_b64 exec, exec, s[6:7]
	s_nop 0
	v_mfma_f32_16x16x4f32 a[0:3], v10, v11, a[0:3]
	s_movk_i32 s4, 0x7f
	v_cmp_gt_i16_sdwa s[6:7], v17, s4 src0_sel:BYTE_0 src1_sel:DWORD
	s_mov_b64 s[4:5], 0
                                        ; implicit-def: $sgpr10
	s_and_saveexec_b64 s[8:9], s[6:7]
	s_xor_b64 s[6:7], exec, s[8:9]
	s_cbranch_execnz .LBB41_2145
; %bb.97:
	s_or_saveexec_b64 s[6:7], s[6:7]
	v_mov_b32_e32 v10, s10
	s_xor_b64 exec, exec, s[6:7]
	s_cbranch_execnz .LBB41_2148
.LBB41_98:
	s_or_b64 exec, exec, s[6:7]
	s_and_saveexec_b64 s[6:7], s[4:5]
	s_cbranch_execz .LBB41_100
.LBB41_99:
	v_and_b32_e32 v10, 7, v17
	v_ffbh_u32_e32 v12, v10
	v_min_u32_e32 v12, 32, v12
	v_lshrrev_b16_e32 v11, 3, v17
	v_subrev_u32_e32 v14, 28, v12
	v_and_b32_e32 v11, 15, v11
	v_lshlrev_b32_e32 v14, v14, v17
	v_sub_u32_e32 v12, 29, v12
	v_and_b32_e32 v14, 7, v14
	v_cmp_eq_u16_e32 vcc, 0, v11
	v_cndmask_b32_e32 v10, v10, v14, vcc
	v_cndmask_b32_e32 v11, v11, v12, vcc
	v_lshlrev_b32_e32 v12, 24, v17
	v_mov_b32_e32 v14, 0x3b800000
	v_lshlrev_b32_e32 v10, 20, v10
	v_and_b32_e32 v12, 0x80000000, v12
	v_lshl_add_u32 v11, v11, 23, v14
	v_or3_b32 v10, v12, v11, v10
.LBB41_100:
	s_or_b64 exec, exec, s[6:7]
	s_movk_i32 s4, 0x7f
	v_cmp_gt_i16_sdwa s[6:7], v13, s4 src0_sel:BYTE_0 src1_sel:DWORD
	s_mov_b64 s[4:5], 0
                                        ; implicit-def: $sgpr10
	s_and_saveexec_b64 s[8:9], s[6:7]
	s_xor_b64 s[6:7], exec, s[8:9]
	s_cbranch_execnz .LBB41_2149
; %bb.101:
	s_or_saveexec_b64 s[6:7], s[6:7]
	v_mov_b32_e32 v11, s10
	s_xor_b64 exec, exec, s[6:7]
	s_cbranch_execnz .LBB41_2152
.LBB41_102:
	s_or_b64 exec, exec, s[6:7]
	s_and_saveexec_b64 s[6:7], s[4:5]
	s_cbranch_execz .LBB41_104
.LBB41_103:
	v_and_b32_e32 v11, 7, v13
	v_ffbh_u32_e32 v14, v11
	v_min_u32_e32 v14, 32, v14
	v_lshrrev_b16_e32 v12, 3, v13
	v_subrev_u32_e32 v15, 28, v14
	v_and_b32_e32 v12, 15, v12
	v_lshlrev_b32_e32 v15, v15, v13
	v_sub_u32_e32 v14, 29, v14
	v_and_b32_e32 v15, 7, v15
	v_cmp_eq_u16_e32 vcc, 0, v12
	v_cndmask_b32_e32 v11, v11, v15, vcc
	v_cndmask_b32_e32 v12, v12, v14, vcc
	v_lshlrev_b32_e32 v14, 24, v13
	v_mov_b32_e32 v15, 0x3b800000
	v_lshlrev_b32_e32 v11, 20, v11
	v_and_b32_e32 v14, 0x80000000, v14
	v_lshl_add_u32 v12, v12, 23, v15
	v_or3_b32 v11, v14, v12, v11
.LBB41_104:
	s_or_b64 exec, exec, s[6:7]
	s_nop 0
	v_mfma_f32_16x16x4f32 a[0:3], v10, v11, a[0:3]
	v_lshrrev_b32_e32 v11, 8, v17
	s_movk_i32 s4, 0x7f
	v_cmp_gt_i16_sdwa s[6:7], v11, s4 src0_sel:BYTE_0 src1_sel:DWORD
	s_mov_b64 s[4:5], 0
                                        ; implicit-def: $sgpr10
	s_and_saveexec_b64 s[8:9], s[6:7]
	s_xor_b64 s[6:7], exec, s[8:9]
	s_cbranch_execnz .LBB41_2153
; %bb.105:
	s_or_saveexec_b64 s[6:7], s[6:7]
	v_mov_b32_e32 v10, s10
	s_xor_b64 exec, exec, s[6:7]
	s_cbranch_execnz .LBB41_2156
.LBB41_106:
	s_or_b64 exec, exec, s[6:7]
	s_and_saveexec_b64 s[6:7], s[4:5]
	s_cbranch_execz .LBB41_108
.LBB41_107:
	v_bfe_u32 v10, v17, 8, 3
	v_ffbh_u32_e32 v14, v10
	v_min_u32_e32 v14, 32, v14
	v_lshrrev_b16_e32 v12, 3, v11
	v_subrev_u32_e32 v15, 28, v14
	v_and_b32_e32 v12, 15, v12
	v_lshlrev_b32_e32 v11, v15, v11
	v_sub_u32_e32 v14, 29, v14
	v_and_b32_e32 v11, 7, v11
	v_cmp_eq_u16_e32 vcc, 0, v12
	v_cndmask_b32_e32 v10, v10, v11, vcc
	v_cndmask_b32_e32 v11, v12, v14, vcc
	v_lshlrev_b32_e32 v12, 16, v17
	v_mov_b32_e32 v14, 0x3b800000
	v_lshlrev_b32_e32 v10, 20, v10
	v_and_b32_e32 v12, 0x80000000, v12
	v_lshl_add_u32 v11, v11, 23, v14
	v_or3_b32 v10, v12, v11, v10
.LBB41_108:
	s_or_b64 exec, exec, s[6:7]
	v_lshrrev_b32_e32 v11, 8, v13
	s_movk_i32 s4, 0x7f
	v_cmp_gt_i16_sdwa s[6:7], v11, s4 src0_sel:BYTE_0 src1_sel:DWORD
	s_mov_b64 s[4:5], 0
                                        ; implicit-def: $sgpr10
	s_and_saveexec_b64 s[8:9], s[6:7]
	s_xor_b64 s[6:7], exec, s[8:9]
	s_cbranch_execnz .LBB41_2157
; %bb.109:
	s_or_saveexec_b64 s[6:7], s[6:7]
	v_mov_b32_e32 v12, s10
	s_xor_b64 exec, exec, s[6:7]
	s_cbranch_execnz .LBB41_2160
.LBB41_110:
	s_or_b64 exec, exec, s[6:7]
	s_and_saveexec_b64 s[6:7], s[4:5]
	s_cbranch_execz .LBB41_112
.LBB41_111:
	v_bfe_u32 v12, v13, 8, 3
	v_ffbh_u32_e32 v15, v12
	v_min_u32_e32 v15, 32, v15
	v_lshrrev_b16_e32 v14, 3, v11
	v_subrev_u32_e32 v16, 28, v15
	v_and_b32_e32 v14, 15, v14
	v_lshlrev_b32_e32 v11, v16, v11
	v_sub_u32_e32 v15, 29, v15
	v_and_b32_e32 v11, 7, v11
	v_cmp_eq_u16_e32 vcc, 0, v14
	v_cndmask_b32_e32 v11, v12, v11, vcc
	v_cndmask_b32_e32 v12, v14, v15, vcc
	v_lshlrev_b32_e32 v14, 16, v13
	v_mov_b32_e32 v15, 0x3b800000
	v_lshlrev_b32_e32 v11, 20, v11
	v_and_b32_e32 v14, 0x80000000, v14
	v_lshl_add_u32 v12, v12, 23, v15
	v_or3_b32 v12, v14, v12, v11
.LBB41_112:
	s_or_b64 exec, exec, s[6:7]
	s_nop 0
	v_mfma_f32_16x16x4f32 a[0:3], v10, v12, a[0:3]
	s_movk_i32 s4, 0xff
	v_and_b32_sdwa v11, v17, s4 dst_sel:DWORD dst_unused:UNUSED_PAD src0_sel:WORD_1 src1_sel:DWORD
	s_movk_i32 s4, 0x7f
	v_cmp_lt_i16_e32 vcc, s4, v11
	s_mov_b64 s[4:5], 0
                                        ; implicit-def: $sgpr10
	s_and_saveexec_b64 s[6:7], vcc
	s_xor_b64 s[6:7], exec, s[6:7]
	s_cbranch_execnz .LBB41_2161
; %bb.113:
	s_or_saveexec_b64 s[6:7], s[6:7]
	v_mov_b32_e32 v10, s10
	s_xor_b64 exec, exec, s[6:7]
	s_cbranch_execnz .LBB41_2164
.LBB41_114:
	s_or_b64 exec, exec, s[6:7]
	s_and_saveexec_b64 s[6:7], s[4:5]
	s_cbranch_execz .LBB41_116
.LBB41_115:
	v_bfe_u32 v10, v17, 16, 3
	v_ffbh_u32_e32 v14, v10
	v_min_u32_e32 v14, 32, v14
	v_lshrrev_b32_e32 v11, 19, v17
	v_subrev_u32_e32 v15, 28, v14
	v_and_b32_e32 v11, 15, v11
	v_lshlrev_b32_sdwa v15, v15, v17 dst_sel:DWORD dst_unused:UNUSED_PAD src0_sel:DWORD src1_sel:WORD_1
	v_bfe_u32 v12, v17, 19, 4
	v_sub_u32_e32 v14, 29, v14
	v_and_b32_e32 v15, 7, v15
	v_cmp_eq_u16_e32 vcc, 0, v11
	v_cndmask_b32_e32 v10, v10, v15, vcc
	v_cndmask_b32_e32 v11, v12, v14, vcc
	v_lshlrev_b32_e32 v12, 8, v17
	v_mov_b32_e32 v14, 0x3b800000
	v_lshlrev_b32_e32 v10, 20, v10
	v_and_b32_e32 v12, 0x80000000, v12
	v_lshl_add_u32 v11, v11, 23, v14
	v_or3_b32 v10, v12, v11, v10
.LBB41_116:
	s_or_b64 exec, exec, s[6:7]
	s_movk_i32 s4, 0xff
	v_and_b32_sdwa v11, v13, s4 dst_sel:DWORD dst_unused:UNUSED_PAD src0_sel:WORD_1 src1_sel:DWORD
	s_movk_i32 s4, 0x7f
	v_cmp_lt_i16_e32 vcc, s4, v11
	s_mov_b64 s[4:5], 0
                                        ; implicit-def: $sgpr10
	s_and_saveexec_b64 s[6:7], vcc
	s_xor_b64 s[6:7], exec, s[6:7]
	s_cbranch_execnz .LBB41_2165
; %bb.117:
	s_or_saveexec_b64 s[6:7], s[6:7]
	v_mov_b32_e32 v12, s10
	s_xor_b64 exec, exec, s[6:7]
	s_cbranch_execnz .LBB41_2168
.LBB41_118:
	s_or_b64 exec, exec, s[6:7]
	s_and_saveexec_b64 s[6:7], s[4:5]
	s_cbranch_execz .LBB41_120
.LBB41_119:
	v_bfe_u32 v11, v13, 16, 3
	v_ffbh_u32_e32 v15, v11
	v_min_u32_e32 v15, 32, v15
	v_lshrrev_b32_e32 v12, 19, v13
	v_subrev_u32_e32 v16, 28, v15
	v_and_b32_e32 v12, 15, v12
	v_lshlrev_b32_sdwa v16, v16, v13 dst_sel:DWORD dst_unused:UNUSED_PAD src0_sel:DWORD src1_sel:WORD_1
	v_bfe_u32 v14, v13, 19, 4
	v_sub_u32_e32 v15, 29, v15
	v_and_b32_e32 v16, 7, v16
	v_cmp_eq_u16_e32 vcc, 0, v12
	v_cndmask_b32_e32 v11, v11, v16, vcc
	v_cndmask_b32_e32 v12, v14, v15, vcc
	v_lshlrev_b32_e32 v14, 8, v13
	v_mov_b32_e32 v15, 0x3b800000
	v_lshlrev_b32_e32 v11, 20, v11
	v_and_b32_e32 v14, 0x80000000, v14
	v_lshl_add_u32 v12, v12, 23, v15
	v_or3_b32 v12, v14, v12, v11
.LBB41_120:
	s_or_b64 exec, exec, s[6:7]
	s_nop 0
	v_mfma_f32_16x16x4f32 a[0:3], v10, v12, a[0:3]
	s_movk_i32 s4, 0x7f
	v_cmp_gt_i16_sdwa s[6:7], v17, s4 src0_sel:BYTE_3 src1_sel:DWORD
	s_mov_b64 s[4:5], 0
                                        ; implicit-def: $sgpr10
	s_and_saveexec_b64 s[8:9], s[6:7]
	s_xor_b64 s[6:7], exec, s[8:9]
	s_cbranch_execnz .LBB41_2169
; %bb.121:
	s_or_saveexec_b64 s[6:7], s[6:7]
	v_mov_b32_e32 v10, s10
	s_xor_b64 exec, exec, s[6:7]
	s_cbranch_execnz .LBB41_2172
.LBB41_122:
	s_or_b64 exec, exec, s[6:7]
	s_and_saveexec_b64 s[6:7], s[4:5]
	s_cbranch_execz .LBB41_124
.LBB41_123:
	v_bfe_u32 v10, v17, 24, 3
	v_ffbh_u32_e32 v15, v10
	v_min_u32_e32 v15, 32, v15
	v_lshrrev_b32_e32 v12, 27, v17
	v_subrev_u32_e32 v16, 28, v15
	v_and_b32_e32 v12, 15, v12
	v_lshlrev_b32_sdwa v16, v16, v17 dst_sel:DWORD dst_unused:UNUSED_PAD src0_sel:DWORD src1_sel:BYTE_3
	v_bfe_u32 v14, v17, 27, 4
	v_sub_u32_e32 v15, 29, v15
	v_and_b32_e32 v16, 7, v16
	v_cmp_eq_u16_e32 vcc, 0, v12
	v_cndmask_b32_e32 v10, v10, v16, vcc
	v_cndmask_b32_e32 v12, v14, v15, vcc
	v_mov_b32_e32 v14, 0x3b800000
	v_and_b32_e32 v11, 0x80000000, v17
	v_lshlrev_b32_e32 v10, 20, v10
	v_lshl_add_u32 v12, v12, 23, v14
	v_or3_b32 v10, v11, v12, v10
.LBB41_124:
	s_or_b64 exec, exec, s[6:7]
	s_movk_i32 s4, 0x7f
	v_cmp_gt_i16_sdwa s[6:7], v13, s4 src0_sel:BYTE_3 src1_sel:DWORD
	s_mov_b64 s[4:5], 0
                                        ; implicit-def: $sgpr10
	s_and_saveexec_b64 s[8:9], s[6:7]
	s_xor_b64 s[6:7], exec, s[8:9]
	s_cbranch_execnz .LBB41_2173
; %bb.125:
	s_or_saveexec_b64 s[6:7], s[6:7]
	v_mov_b32_e32 v11, s10
	s_xor_b64 exec, exec, s[6:7]
	s_cbranch_execnz .LBB41_2176
.LBB41_126:
	s_or_b64 exec, exec, s[6:7]
	s_and_saveexec_b64 s[6:7], s[4:5]
	s_cbranch_execz .LBB41_128
.LBB41_127:
	v_bfe_u32 v11, v13, 24, 3
	v_ffbh_u32_e32 v16, v11
	v_min_u32_e32 v16, 32, v16
	v_lshrrev_b32_e32 v14, 27, v13
	v_subrev_u32_e32 v17, 28, v16
	v_and_b32_e32 v12, 0x80000000, v13
	v_and_b32_e32 v14, 15, v14
	v_bfe_u32 v15, v13, 27, 4
	v_lshlrev_b32_sdwa v13, v17, v13 dst_sel:DWORD dst_unused:UNUSED_PAD src0_sel:DWORD src1_sel:BYTE_3
	v_sub_u32_e32 v16, 29, v16
	v_and_b32_e32 v13, 7, v13
	v_cmp_eq_u16_e32 vcc, 0, v14
	v_cndmask_b32_e32 v11, v11, v13, vcc
	v_cndmask_b32_e32 v13, v15, v16, vcc
	v_mov_b32_e32 v14, 0x3b800000
	v_lshlrev_b32_e32 v11, 20, v11
	v_lshl_add_u32 v13, v13, 23, v14
	v_or3_b32 v11, v12, v13, v11
.LBB41_128:
	s_or_b64 exec, exec, s[6:7]
	s_nop 0
	v_mfma_f32_16x16x4f32 a[0:3], v10, v11, a[0:3]
	s_movk_i32 s4, 0x7f
	v_cmp_gt_i16_sdwa s[6:7], v6, s4 src0_sel:BYTE_0 src1_sel:DWORD
	s_mov_b64 s[4:5], 0
                                        ; implicit-def: $sgpr10
	s_and_saveexec_b64 s[8:9], s[6:7]
	s_xor_b64 s[6:7], exec, s[8:9]
	s_cbranch_execnz .LBB41_2177
; %bb.129:
	s_or_saveexec_b64 s[6:7], s[6:7]
	v_mov_b32_e32 v10, s10
	s_xor_b64 exec, exec, s[6:7]
	s_cbranch_execnz .LBB41_2180
.LBB41_130:
	s_or_b64 exec, exec, s[6:7]
	s_and_saveexec_b64 s[6:7], s[4:5]
	s_cbranch_execz .LBB41_132
.LBB41_131:
	v_and_b32_e32 v10, 7, v6
	v_ffbh_u32_e32 v12, v10
	v_min_u32_e32 v12, 32, v12
	v_lshrrev_b16_e32 v11, 3, v6
	v_subrev_u32_e32 v13, 28, v12
	v_and_b32_e32 v11, 15, v11
	v_lshlrev_b32_e32 v13, v13, v6
	v_sub_u32_e32 v12, 29, v12
	v_and_b32_e32 v13, 7, v13
	v_cmp_eq_u16_e32 vcc, 0, v11
	v_cndmask_b32_e32 v10, v10, v13, vcc
	v_cndmask_b32_e32 v11, v11, v12, vcc
	v_lshlrev_b32_e32 v12, 24, v6
	v_mov_b32_e32 v13, 0x3b800000
	v_lshlrev_b32_e32 v10, 20, v10
	v_and_b32_e32 v12, 0x80000000, v12
	v_lshl_add_u32 v11, v11, 23, v13
	v_or3_b32 v10, v12, v11, v10
.LBB41_132:
	s_or_b64 exec, exec, s[6:7]
	s_movk_i32 s4, 0x7f
	v_cmp_gt_i16_sdwa s[6:7], v2, s4 src0_sel:BYTE_0 src1_sel:DWORD
	s_mov_b64 s[4:5], 0
                                        ; implicit-def: $sgpr10
	s_and_saveexec_b64 s[8:9], s[6:7]
	s_xor_b64 s[6:7], exec, s[8:9]
	s_cbranch_execnz .LBB41_2181
; %bb.133:
	s_or_saveexec_b64 s[6:7], s[6:7]
	v_mov_b32_e32 v11, s10
	s_xor_b64 exec, exec, s[6:7]
	s_cbranch_execnz .LBB41_2184
.LBB41_134:
	s_or_b64 exec, exec, s[6:7]
	s_and_saveexec_b64 s[6:7], s[4:5]
	s_cbranch_execz .LBB41_136
.LBB41_135:
	v_and_b32_e32 v11, 7, v2
	v_ffbh_u32_e32 v13, v11
	v_min_u32_e32 v13, 32, v13
	v_lshrrev_b16_e32 v12, 3, v2
	v_subrev_u32_e32 v14, 28, v13
	v_and_b32_e32 v12, 15, v12
	v_lshlrev_b32_e32 v14, v14, v2
	v_sub_u32_e32 v13, 29, v13
	v_and_b32_e32 v14, 7, v14
	v_cmp_eq_u16_e32 vcc, 0, v12
	v_cndmask_b32_e32 v11, v11, v14, vcc
	v_cndmask_b32_e32 v12, v12, v13, vcc
	v_lshlrev_b32_e32 v13, 24, v2
	v_mov_b32_e32 v14, 0x3b800000
	v_lshlrev_b32_e32 v11, 20, v11
	v_and_b32_e32 v13, 0x80000000, v13
	v_lshl_add_u32 v12, v12, 23, v14
	v_or3_b32 v11, v13, v12, v11
.LBB41_136:
	s_or_b64 exec, exec, s[6:7]
	s_nop 0
	v_mfma_f32_16x16x4f32 a[0:3], v10, v11, a[0:3]
	v_lshrrev_b32_e32 v11, 8, v6
	s_movk_i32 s4, 0x7f
	v_cmp_gt_i16_sdwa s[6:7], v11, s4 src0_sel:BYTE_0 src1_sel:DWORD
	s_mov_b64 s[4:5], 0
                                        ; implicit-def: $sgpr10
	s_and_saveexec_b64 s[8:9], s[6:7]
	s_xor_b64 s[6:7], exec, s[8:9]
	s_cbranch_execnz .LBB41_2185
; %bb.137:
	s_or_saveexec_b64 s[6:7], s[6:7]
	v_mov_b32_e32 v10, s10
	s_xor_b64 exec, exec, s[6:7]
	s_cbranch_execnz .LBB41_2188
.LBB41_138:
	s_or_b64 exec, exec, s[6:7]
	s_and_saveexec_b64 s[6:7], s[4:5]
	s_cbranch_execz .LBB41_140
.LBB41_139:
	v_bfe_u32 v10, v6, 8, 3
	v_ffbh_u32_e32 v13, v10
	v_min_u32_e32 v13, 32, v13
	v_lshrrev_b16_e32 v12, 3, v11
	v_subrev_u32_e32 v14, 28, v13
	v_and_b32_e32 v12, 15, v12
	v_lshlrev_b32_e32 v11, v14, v11
	v_sub_u32_e32 v13, 29, v13
	v_and_b32_e32 v11, 7, v11
	v_cmp_eq_u16_e32 vcc, 0, v12
	v_cndmask_b32_e32 v10, v10, v11, vcc
	v_cndmask_b32_e32 v11, v12, v13, vcc
	v_lshlrev_b32_e32 v12, 16, v6
	v_mov_b32_e32 v13, 0x3b800000
	v_lshlrev_b32_e32 v10, 20, v10
	v_and_b32_e32 v12, 0x80000000, v12
	v_lshl_add_u32 v11, v11, 23, v13
	v_or3_b32 v10, v12, v11, v10
.LBB41_140:
	s_or_b64 exec, exec, s[6:7]
	v_lshrrev_b32_e32 v11, 8, v2
	s_movk_i32 s4, 0x7f
	v_cmp_gt_i16_sdwa s[6:7], v11, s4 src0_sel:BYTE_0 src1_sel:DWORD
	s_mov_b64 s[4:5], 0
                                        ; implicit-def: $sgpr10
	s_and_saveexec_b64 s[8:9], s[6:7]
	s_xor_b64 s[6:7], exec, s[8:9]
	s_cbranch_execnz .LBB41_2189
; %bb.141:
	s_or_saveexec_b64 s[6:7], s[6:7]
	v_mov_b32_e32 v12, s10
	s_xor_b64 exec, exec, s[6:7]
	s_cbranch_execnz .LBB41_2192
.LBB41_142:
	s_or_b64 exec, exec, s[6:7]
	s_and_saveexec_b64 s[6:7], s[4:5]
	s_cbranch_execz .LBB41_144
.LBB41_143:
	v_bfe_u32 v12, v2, 8, 3
	v_ffbh_u32_e32 v14, v12
	v_min_u32_e32 v14, 32, v14
	v_lshrrev_b16_e32 v13, 3, v11
	v_subrev_u32_e32 v15, 28, v14
	v_and_b32_e32 v13, 15, v13
	v_lshlrev_b32_e32 v11, v15, v11
	v_sub_u32_e32 v14, 29, v14
	v_and_b32_e32 v11, 7, v11
	v_cmp_eq_u16_e32 vcc, 0, v13
	v_cndmask_b32_e32 v11, v12, v11, vcc
	v_cndmask_b32_e32 v12, v13, v14, vcc
	v_lshlrev_b32_e32 v13, 16, v2
	v_mov_b32_e32 v14, 0x3b800000
	v_lshlrev_b32_e32 v11, 20, v11
	v_and_b32_e32 v13, 0x80000000, v13
	v_lshl_add_u32 v12, v12, 23, v14
	v_or3_b32 v12, v13, v12, v11
.LBB41_144:
	s_or_b64 exec, exec, s[6:7]
	s_nop 0
	v_mfma_f32_16x16x4f32 a[0:3], v10, v12, a[0:3]
	s_movk_i32 s4, 0xff
	v_and_b32_sdwa v11, v6, s4 dst_sel:DWORD dst_unused:UNUSED_PAD src0_sel:WORD_1 src1_sel:DWORD
	s_movk_i32 s4, 0x7f
	v_cmp_lt_i16_e32 vcc, s4, v11
	s_mov_b64 s[4:5], 0
                                        ; implicit-def: $sgpr10
	s_and_saveexec_b64 s[6:7], vcc
	s_xor_b64 s[6:7], exec, s[6:7]
	s_cbranch_execnz .LBB41_2193
; %bb.145:
	s_or_saveexec_b64 s[6:7], s[6:7]
	v_mov_b32_e32 v10, s10
	s_xor_b64 exec, exec, s[6:7]
	s_cbranch_execnz .LBB41_2196
.LBB41_146:
	s_or_b64 exec, exec, s[6:7]
	s_and_saveexec_b64 s[6:7], s[4:5]
	s_cbranch_execz .LBB41_148
.LBB41_147:
	v_bfe_u32 v10, v6, 16, 3
	v_ffbh_u32_e32 v13, v10
	v_min_u32_e32 v13, 32, v13
	v_lshrrev_b32_e32 v11, 19, v6
	v_subrev_u32_e32 v14, 28, v13
	v_and_b32_e32 v11, 15, v11
	v_lshlrev_b32_sdwa v14, v14, v6 dst_sel:DWORD dst_unused:UNUSED_PAD src0_sel:DWORD src1_sel:WORD_1
	v_bfe_u32 v12, v6, 19, 4
	v_sub_u32_e32 v13, 29, v13
	v_and_b32_e32 v14, 7, v14
	v_cmp_eq_u16_e32 vcc, 0, v11
	v_cndmask_b32_e32 v10, v10, v14, vcc
	v_cndmask_b32_e32 v11, v12, v13, vcc
	v_lshlrev_b32_e32 v12, 8, v6
	v_mov_b32_e32 v13, 0x3b800000
	v_lshlrev_b32_e32 v10, 20, v10
	v_and_b32_e32 v12, 0x80000000, v12
	v_lshl_add_u32 v11, v11, 23, v13
	v_or3_b32 v10, v12, v11, v10
.LBB41_148:
	s_or_b64 exec, exec, s[6:7]
	s_movk_i32 s4, 0xff
	v_and_b32_sdwa v11, v2, s4 dst_sel:DWORD dst_unused:UNUSED_PAD src0_sel:WORD_1 src1_sel:DWORD
	s_movk_i32 s4, 0x7f
	v_cmp_lt_i16_e32 vcc, s4, v11
	s_mov_b64 s[4:5], 0
                                        ; implicit-def: $sgpr10
	s_and_saveexec_b64 s[6:7], vcc
	s_xor_b64 s[6:7], exec, s[6:7]
	s_cbranch_execnz .LBB41_2197
; %bb.149:
	s_or_saveexec_b64 s[6:7], s[6:7]
	v_mov_b32_e32 v12, s10
	s_xor_b64 exec, exec, s[6:7]
	s_cbranch_execnz .LBB41_2200
.LBB41_150:
	s_or_b64 exec, exec, s[6:7]
	s_and_saveexec_b64 s[6:7], s[4:5]
	s_cbranch_execz .LBB41_152
.LBB41_151:
	v_bfe_u32 v11, v2, 16, 3
	v_ffbh_u32_e32 v14, v11
	v_min_u32_e32 v14, 32, v14
	v_lshrrev_b32_e32 v12, 19, v2
	v_subrev_u32_e32 v15, 28, v14
	v_and_b32_e32 v12, 15, v12
	v_lshlrev_b32_sdwa v15, v15, v2 dst_sel:DWORD dst_unused:UNUSED_PAD src0_sel:DWORD src1_sel:WORD_1
	v_bfe_u32 v13, v2, 19, 4
	v_sub_u32_e32 v14, 29, v14
	v_and_b32_e32 v15, 7, v15
	v_cmp_eq_u16_e32 vcc, 0, v12
	v_cndmask_b32_e32 v11, v11, v15, vcc
	v_cndmask_b32_e32 v12, v13, v14, vcc
	v_lshlrev_b32_e32 v13, 8, v2
	v_mov_b32_e32 v14, 0x3b800000
	v_lshlrev_b32_e32 v11, 20, v11
	v_and_b32_e32 v13, 0x80000000, v13
	v_lshl_add_u32 v12, v12, 23, v14
	v_or3_b32 v12, v13, v12, v11
.LBB41_152:
	s_or_b64 exec, exec, s[6:7]
	s_nop 0
	v_mfma_f32_16x16x4f32 a[0:3], v10, v12, a[0:3]
	s_movk_i32 s4, 0x7f
	v_cmp_gt_i16_sdwa s[6:7], v6, s4 src0_sel:BYTE_3 src1_sel:DWORD
	s_mov_b64 s[4:5], 0
                                        ; implicit-def: $sgpr10
	s_and_saveexec_b64 s[8:9], s[6:7]
	s_xor_b64 s[6:7], exec, s[8:9]
	s_cbranch_execnz .LBB41_2201
; %bb.153:
	s_or_saveexec_b64 s[6:7], s[6:7]
	v_mov_b32_e32 v10, s10
	s_xor_b64 exec, exec, s[6:7]
	s_cbranch_execnz .LBB41_2204
.LBB41_154:
	s_or_b64 exec, exec, s[6:7]
	s_and_saveexec_b64 s[6:7], s[4:5]
	s_cbranch_execz .LBB41_156
.LBB41_155:
	v_bfe_u32 v10, v6, 24, 3
	v_ffbh_u32_e32 v14, v10
	v_min_u32_e32 v14, 32, v14
	v_lshrrev_b32_e32 v12, 27, v6
	v_subrev_u32_e32 v15, 28, v14
	v_and_b32_e32 v11, 0x80000000, v6
	v_and_b32_e32 v12, 15, v12
	v_bfe_u32 v13, v6, 27, 4
	v_lshlrev_b32_sdwa v6, v15, v6 dst_sel:DWORD dst_unused:UNUSED_PAD src0_sel:DWORD src1_sel:BYTE_3
	v_sub_u32_e32 v14, 29, v14
	v_and_b32_e32 v6, 7, v6
	v_cmp_eq_u16_e32 vcc, 0, v12
	v_cndmask_b32_e32 v6, v10, v6, vcc
	v_cndmask_b32_e32 v10, v13, v14, vcc
	v_mov_b32_e32 v12, 0x3b800000
	v_lshlrev_b32_e32 v6, 20, v6
	v_lshl_add_u32 v10, v10, 23, v12
	v_or3_b32 v10, v11, v10, v6
.LBB41_156:
	s_or_b64 exec, exec, s[6:7]
	s_movk_i32 s4, 0x7f
	v_cmp_gt_i16_sdwa s[6:7], v2, s4 src0_sel:BYTE_3 src1_sel:DWORD
	s_mov_b64 s[4:5], 0
                                        ; implicit-def: $sgpr10
	s_and_saveexec_b64 s[8:9], s[6:7]
	s_xor_b64 s[6:7], exec, s[8:9]
	s_cbranch_execnz .LBB41_2205
; %bb.157:
	s_or_saveexec_b64 s[6:7], s[6:7]
	v_mov_b32_e32 v6, s10
	s_xor_b64 exec, exec, s[6:7]
	s_cbranch_execnz .LBB41_2208
.LBB41_158:
	s_or_b64 exec, exec, s[6:7]
	s_and_saveexec_b64 s[6:7], s[4:5]
	s_cbranch_execz .LBB41_160
.LBB41_159:
	v_bfe_u32 v6, v2, 24, 3
	v_ffbh_u32_e32 v14, v6
	v_min_u32_e32 v14, 32, v14
	v_lshrrev_b32_e32 v12, 27, v2
	v_subrev_u32_e32 v15, 28, v14
	v_and_b32_e32 v11, 0x80000000, v2
	v_and_b32_e32 v12, 15, v12
	v_bfe_u32 v13, v2, 27, 4
	v_lshlrev_b32_sdwa v2, v15, v2 dst_sel:DWORD dst_unused:UNUSED_PAD src0_sel:DWORD src1_sel:BYTE_3
	v_sub_u32_e32 v14, 29, v14
	v_and_b32_e32 v2, 7, v2
	v_cmp_eq_u16_e32 vcc, 0, v12
	v_cndmask_b32_e32 v2, v6, v2, vcc
	v_cndmask_b32_e32 v6, v13, v14, vcc
	v_mov_b32_e32 v12, 0x3b800000
	v_lshlrev_b32_e32 v2, 20, v2
	v_lshl_add_u32 v6, v6, 23, v12
	v_or3_b32 v6, v11, v6, v2
.LBB41_160:
	s_or_b64 exec, exec, s[6:7]
	s_nop 0
	v_mfma_f32_16x16x4f32 a[0:3], v10, v6, a[0:3]
	s_movk_i32 s4, 0x7f
	v_cmp_gt_i16_sdwa s[6:7], v7, s4 src0_sel:BYTE_0 src1_sel:DWORD
	s_mov_b64 s[4:5], 0
                                        ; implicit-def: $sgpr10
	s_and_saveexec_b64 s[8:9], s[6:7]
	s_xor_b64 s[6:7], exec, s[8:9]
	s_cbranch_execnz .LBB41_2209
; %bb.161:
	s_or_saveexec_b64 s[6:7], s[6:7]
	v_mov_b32_e32 v2, s10
	s_xor_b64 exec, exec, s[6:7]
	s_cbranch_execnz .LBB41_2212
.LBB41_162:
	s_or_b64 exec, exec, s[6:7]
	s_and_saveexec_b64 s[6:7], s[4:5]
	s_cbranch_execz .LBB41_164
.LBB41_163:
	v_and_b32_e32 v2, 7, v7
	v_ffbh_u32_e32 v10, v2
	v_min_u32_e32 v10, 32, v10
	v_lshrrev_b16_e32 v6, 3, v7
	v_subrev_u32_e32 v11, 28, v10
	v_and_b32_e32 v6, 15, v6
	v_lshlrev_b32_e32 v11, v11, v7
	v_sub_u32_e32 v10, 29, v10
	v_and_b32_e32 v11, 7, v11
	v_cmp_eq_u16_e32 vcc, 0, v6
	v_cndmask_b32_e32 v2, v2, v11, vcc
	v_cndmask_b32_e32 v6, v6, v10, vcc
	v_lshlrev_b32_e32 v10, 24, v7
	v_mov_b32_e32 v11, 0x3b800000
	v_lshlrev_b32_e32 v2, 20, v2
	v_and_b32_e32 v10, 0x80000000, v10
	v_lshl_add_u32 v6, v6, 23, v11
	v_or3_b32 v2, v10, v6, v2
.LBB41_164:
	s_or_b64 exec, exec, s[6:7]
	s_movk_i32 s4, 0x7f
	v_cmp_gt_i16_sdwa s[6:7], v3, s4 src0_sel:BYTE_0 src1_sel:DWORD
	s_mov_b64 s[4:5], 0
                                        ; implicit-def: $sgpr10
	s_and_saveexec_b64 s[8:9], s[6:7]
	s_xor_b64 s[6:7], exec, s[8:9]
	s_cbranch_execnz .LBB41_2213
; %bb.165:
	s_or_saveexec_b64 s[6:7], s[6:7]
	v_mov_b32_e32 v6, s10
	s_xor_b64 exec, exec, s[6:7]
	s_cbranch_execnz .LBB41_2216
.LBB41_166:
	s_or_b64 exec, exec, s[6:7]
	s_and_saveexec_b64 s[6:7], s[4:5]
	s_cbranch_execz .LBB41_168
.LBB41_167:
	v_and_b32_e32 v6, 7, v3
	v_ffbh_u32_e32 v11, v6
	v_min_u32_e32 v11, 32, v11
	v_lshrrev_b16_e32 v10, 3, v3
	v_subrev_u32_e32 v12, 28, v11
	v_and_b32_e32 v10, 15, v10
	v_lshlrev_b32_e32 v12, v12, v3
	v_sub_u32_e32 v11, 29, v11
	v_and_b32_e32 v12, 7, v12
	v_cmp_eq_u16_e32 vcc, 0, v10
	v_cndmask_b32_e32 v6, v6, v12, vcc
	v_cndmask_b32_e32 v10, v10, v11, vcc
	v_lshlrev_b32_e32 v11, 24, v3
	v_mov_b32_e32 v12, 0x3b800000
	v_lshlrev_b32_e32 v6, 20, v6
	v_and_b32_e32 v11, 0x80000000, v11
	v_lshl_add_u32 v10, v10, 23, v12
	v_or3_b32 v6, v11, v10, v6
.LBB41_168:
	s_or_b64 exec, exec, s[6:7]
	s_nop 0
	v_mfma_f32_16x16x4f32 a[0:3], v2, v6, a[0:3]
	v_lshrrev_b32_e32 v6, 8, v7
	s_movk_i32 s4, 0x7f
	v_cmp_gt_i16_sdwa s[6:7], v6, s4 src0_sel:BYTE_0 src1_sel:DWORD
	s_mov_b64 s[4:5], 0
                                        ; implicit-def: $sgpr10
	s_and_saveexec_b64 s[8:9], s[6:7]
	s_xor_b64 s[6:7], exec, s[8:9]
	s_cbranch_execnz .LBB41_2217
; %bb.169:
	s_or_saveexec_b64 s[6:7], s[6:7]
	v_mov_b32_e32 v2, s10
	s_xor_b64 exec, exec, s[6:7]
	s_cbranch_execnz .LBB41_2220
.LBB41_170:
	s_or_b64 exec, exec, s[6:7]
	s_and_saveexec_b64 s[6:7], s[4:5]
	s_cbranch_execz .LBB41_172
.LBB41_171:
	v_bfe_u32 v2, v7, 8, 3
	v_ffbh_u32_e32 v11, v2
	v_min_u32_e32 v11, 32, v11
	v_lshrrev_b16_e32 v10, 3, v6
	v_subrev_u32_e32 v12, 28, v11
	v_and_b32_e32 v10, 15, v10
	v_lshlrev_b32_e32 v6, v12, v6
	v_sub_u32_e32 v11, 29, v11
	v_and_b32_e32 v6, 7, v6
	v_cmp_eq_u16_e32 vcc, 0, v10
	v_cndmask_b32_e32 v2, v2, v6, vcc
	v_cndmask_b32_e32 v6, v10, v11, vcc
	v_lshlrev_b32_e32 v10, 16, v7
	v_mov_b32_e32 v11, 0x3b800000
	v_lshlrev_b32_e32 v2, 20, v2
	v_and_b32_e32 v10, 0x80000000, v10
	v_lshl_add_u32 v6, v6, 23, v11
	v_or3_b32 v2, v10, v6, v2
.LBB41_172:
	s_or_b64 exec, exec, s[6:7]
	v_lshrrev_b32_e32 v6, 8, v3
	s_movk_i32 s4, 0x7f
	v_cmp_gt_i16_sdwa s[6:7], v6, s4 src0_sel:BYTE_0 src1_sel:DWORD
	s_mov_b64 s[4:5], 0
                                        ; implicit-def: $sgpr10
	s_and_saveexec_b64 s[8:9], s[6:7]
	s_xor_b64 s[6:7], exec, s[8:9]
	s_cbranch_execnz .LBB41_2221
; %bb.173:
	s_or_saveexec_b64 s[6:7], s[6:7]
	v_mov_b32_e32 v10, s10
	s_xor_b64 exec, exec, s[6:7]
	s_cbranch_execnz .LBB41_2224
.LBB41_174:
	s_or_b64 exec, exec, s[6:7]
	s_and_saveexec_b64 s[6:7], s[4:5]
	s_cbranch_execz .LBB41_176
.LBB41_175:
	v_bfe_u32 v10, v3, 8, 3
	v_ffbh_u32_e32 v12, v10
	v_min_u32_e32 v12, 32, v12
	v_lshrrev_b16_e32 v11, 3, v6
	v_subrev_u32_e32 v13, 28, v12
	v_and_b32_e32 v11, 15, v11
	v_lshlrev_b32_e32 v6, v13, v6
	v_sub_u32_e32 v12, 29, v12
	v_and_b32_e32 v6, 7, v6
	v_cmp_eq_u16_e32 vcc, 0, v11
	v_cndmask_b32_e32 v6, v10, v6, vcc
	v_cndmask_b32_e32 v10, v11, v12, vcc
	v_lshlrev_b32_e32 v11, 16, v3
	v_mov_b32_e32 v12, 0x3b800000
	v_lshlrev_b32_e32 v6, 20, v6
	v_and_b32_e32 v11, 0x80000000, v11
	v_lshl_add_u32 v10, v10, 23, v12
	v_or3_b32 v10, v11, v10, v6
.LBB41_176:
	s_or_b64 exec, exec, s[6:7]
	s_nop 0
	v_mfma_f32_16x16x4f32 a[0:3], v2, v10, a[0:3]
	s_movk_i32 s4, 0xff
	v_and_b32_sdwa v6, v7, s4 dst_sel:DWORD dst_unused:UNUSED_PAD src0_sel:WORD_1 src1_sel:DWORD
	s_movk_i32 s4, 0x7f
	v_cmp_lt_i16_e32 vcc, s4, v6
	s_mov_b64 s[4:5], 0
                                        ; implicit-def: $sgpr10
	s_and_saveexec_b64 s[6:7], vcc
	s_xor_b64 s[6:7], exec, s[6:7]
	s_cbranch_execnz .LBB41_2225
; %bb.177:
	s_or_saveexec_b64 s[6:7], s[6:7]
	v_mov_b32_e32 v2, s10
	s_xor_b64 exec, exec, s[6:7]
	s_cbranch_execnz .LBB41_2228
.LBB41_178:
	s_or_b64 exec, exec, s[6:7]
	s_and_saveexec_b64 s[6:7], s[4:5]
	s_cbranch_execz .LBB41_180
.LBB41_179:
	v_bfe_u32 v2, v7, 16, 3
	v_ffbh_u32_e32 v11, v2
	v_min_u32_e32 v11, 32, v11
	v_lshrrev_b32_e32 v6, 19, v7
	v_subrev_u32_e32 v12, 28, v11
	v_and_b32_e32 v6, 15, v6
	v_lshlrev_b32_sdwa v12, v12, v7 dst_sel:DWORD dst_unused:UNUSED_PAD src0_sel:DWORD src1_sel:WORD_1
	v_bfe_u32 v10, v7, 19, 4
	v_sub_u32_e32 v11, 29, v11
	v_and_b32_e32 v12, 7, v12
	v_cmp_eq_u16_e32 vcc, 0, v6
	v_cndmask_b32_e32 v2, v2, v12, vcc
	v_cndmask_b32_e32 v6, v10, v11, vcc
	v_lshlrev_b32_e32 v10, 8, v7
	v_mov_b32_e32 v11, 0x3b800000
	v_lshlrev_b32_e32 v2, 20, v2
	v_and_b32_e32 v10, 0x80000000, v10
	v_lshl_add_u32 v6, v6, 23, v11
	v_or3_b32 v2, v10, v6, v2
.LBB41_180:
	s_or_b64 exec, exec, s[6:7]
	s_movk_i32 s4, 0xff
	v_and_b32_sdwa v6, v3, s4 dst_sel:DWORD dst_unused:UNUSED_PAD src0_sel:WORD_1 src1_sel:DWORD
	s_movk_i32 s4, 0x7f
	v_cmp_lt_i16_e32 vcc, s4, v6
	s_mov_b64 s[4:5], 0
                                        ; implicit-def: $sgpr10
	s_and_saveexec_b64 s[6:7], vcc
	s_xor_b64 s[6:7], exec, s[6:7]
	s_cbranch_execnz .LBB41_2229
; %bb.181:
	s_or_saveexec_b64 s[6:7], s[6:7]
	v_mov_b32_e32 v10, s10
	s_xor_b64 exec, exec, s[6:7]
	s_cbranch_execnz .LBB41_2232
.LBB41_182:
	s_or_b64 exec, exec, s[6:7]
	s_and_saveexec_b64 s[6:7], s[4:5]
	s_cbranch_execz .LBB41_184
.LBB41_183:
	v_bfe_u32 v6, v3, 16, 3
	v_ffbh_u32_e32 v12, v6
	v_min_u32_e32 v12, 32, v12
	v_lshrrev_b32_e32 v10, 19, v3
	v_subrev_u32_e32 v13, 28, v12
	v_and_b32_e32 v10, 15, v10
	v_lshlrev_b32_sdwa v13, v13, v3 dst_sel:DWORD dst_unused:UNUSED_PAD src0_sel:DWORD src1_sel:WORD_1
	v_bfe_u32 v11, v3, 19, 4
	v_sub_u32_e32 v12, 29, v12
	v_and_b32_e32 v13, 7, v13
	v_cmp_eq_u16_e32 vcc, 0, v10
	v_cndmask_b32_e32 v6, v6, v13, vcc
	v_cndmask_b32_e32 v10, v11, v12, vcc
	v_lshlrev_b32_e32 v11, 8, v3
	v_mov_b32_e32 v12, 0x3b800000
	v_lshlrev_b32_e32 v6, 20, v6
	v_and_b32_e32 v11, 0x80000000, v11
	v_lshl_add_u32 v10, v10, 23, v12
	v_or3_b32 v10, v11, v10, v6
.LBB41_184:
	s_or_b64 exec, exec, s[6:7]
	s_nop 0
	v_mfma_f32_16x16x4f32 a[0:3], v2, v10, a[0:3]
	s_movk_i32 s4, 0x7f
	v_cmp_gt_i16_sdwa s[6:7], v7, s4 src0_sel:BYTE_3 src1_sel:DWORD
	s_mov_b64 s[4:5], 0
                                        ; implicit-def: $sgpr10
	s_and_saveexec_b64 s[8:9], s[6:7]
	s_xor_b64 s[6:7], exec, s[8:9]
	s_cbranch_execnz .LBB41_2233
; %bb.185:
	s_or_saveexec_b64 s[6:7], s[6:7]
	v_mov_b32_e32 v2, s10
	s_xor_b64 exec, exec, s[6:7]
	s_cbranch_execnz .LBB41_2236
.LBB41_186:
	s_or_b64 exec, exec, s[6:7]
	s_and_saveexec_b64 s[6:7], s[4:5]
	s_cbranch_execz .LBB41_188
.LBB41_187:
	v_bfe_u32 v2, v7, 24, 3
	v_ffbh_u32_e32 v12, v2
	v_min_u32_e32 v12, 32, v12
	v_lshrrev_b32_e32 v10, 27, v7
	v_subrev_u32_e32 v13, 28, v12
	v_and_b32_e32 v6, 0x80000000, v7
	v_and_b32_e32 v10, 15, v10
	v_bfe_u32 v11, v7, 27, 4
	v_lshlrev_b32_sdwa v7, v13, v7 dst_sel:DWORD dst_unused:UNUSED_PAD src0_sel:DWORD src1_sel:BYTE_3
	v_sub_u32_e32 v12, 29, v12
	v_and_b32_e32 v7, 7, v7
	v_cmp_eq_u16_e32 vcc, 0, v10
	v_cndmask_b32_e32 v2, v2, v7, vcc
	v_cndmask_b32_e32 v7, v11, v12, vcc
	v_mov_b32_e32 v10, 0x3b800000
	v_lshlrev_b32_e32 v2, 20, v2
	v_lshl_add_u32 v7, v7, 23, v10
	v_or3_b32 v2, v6, v7, v2
.LBB41_188:
	s_or_b64 exec, exec, s[6:7]
	s_movk_i32 s4, 0x7f
	v_cmp_gt_i16_sdwa s[6:7], v3, s4 src0_sel:BYTE_3 src1_sel:DWORD
	s_mov_b64 s[4:5], 0
                                        ; implicit-def: $sgpr10
	s_and_saveexec_b64 s[8:9], s[6:7]
	s_xor_b64 s[6:7], exec, s[8:9]
	s_cbranch_execnz .LBB41_2237
; %bb.189:
	s_or_saveexec_b64 s[6:7], s[6:7]
	v_mov_b32_e32 v6, s10
	s_xor_b64 exec, exec, s[6:7]
	s_cbranch_execnz .LBB41_2240
.LBB41_190:
	s_or_b64 exec, exec, s[6:7]
	s_and_saveexec_b64 s[6:7], s[4:5]
	s_cbranch_execz .LBB41_192
.LBB41_191:
	v_bfe_u32 v6, v3, 24, 3
	v_ffbh_u32_e32 v12, v6
	v_min_u32_e32 v12, 32, v12
	v_lshrrev_b32_e32 v10, 27, v3
	v_subrev_u32_e32 v13, 28, v12
	v_and_b32_e32 v7, 0x80000000, v3
	v_and_b32_e32 v10, 15, v10
	v_bfe_u32 v11, v3, 27, 4
	v_lshlrev_b32_sdwa v3, v13, v3 dst_sel:DWORD dst_unused:UNUSED_PAD src0_sel:DWORD src1_sel:BYTE_3
	v_sub_u32_e32 v12, 29, v12
	v_and_b32_e32 v3, 7, v3
	v_cmp_eq_u16_e32 vcc, 0, v10
	v_cndmask_b32_e32 v3, v6, v3, vcc
	v_cndmask_b32_e32 v6, v11, v12, vcc
	v_mov_b32_e32 v10, 0x3b800000
	v_lshlrev_b32_e32 v3, 20, v3
	v_lshl_add_u32 v6, v6, 23, v10
	v_or3_b32 v6, v7, v6, v3
.LBB41_192:
	s_or_b64 exec, exec, s[6:7]
	s_nop 0
	v_mfma_f32_16x16x4f32 a[0:3], v2, v6, a[0:3]
	s_movk_i32 s4, 0x7f
	v_cmp_gt_i16_sdwa s[6:7], v8, s4 src0_sel:BYTE_0 src1_sel:DWORD
	s_mov_b64 s[4:5], 0
                                        ; implicit-def: $sgpr10
	s_and_saveexec_b64 s[8:9], s[6:7]
	s_xor_b64 s[6:7], exec, s[8:9]
	s_cbranch_execnz .LBB41_2241
; %bb.193:
	s_or_saveexec_b64 s[6:7], s[6:7]
	v_mov_b32_e32 v2, s10
	s_xor_b64 exec, exec, s[6:7]
	s_cbranch_execnz .LBB41_2244
.LBB41_194:
	s_or_b64 exec, exec, s[6:7]
	s_and_saveexec_b64 s[6:7], s[4:5]
	s_cbranch_execz .LBB41_196
.LBB41_195:
	v_and_b32_e32 v2, 7, v8
	v_ffbh_u32_e32 v6, v2
	v_min_u32_e32 v6, 32, v6
	v_lshrrev_b16_e32 v3, 3, v8
	v_subrev_u32_e32 v7, 28, v6
	v_and_b32_e32 v3, 15, v3
	v_lshlrev_b32_e32 v7, v7, v8
	v_sub_u32_e32 v6, 29, v6
	v_and_b32_e32 v7, 7, v7
	v_cmp_eq_u16_e32 vcc, 0, v3
	v_cndmask_b32_e32 v2, v2, v7, vcc
	v_cndmask_b32_e32 v3, v3, v6, vcc
	v_lshlrev_b32_e32 v6, 24, v8
	v_mov_b32_e32 v7, 0x3b800000
	v_lshlrev_b32_e32 v2, 20, v2
	v_and_b32_e32 v6, 0x80000000, v6
	v_lshl_add_u32 v3, v3, 23, v7
	v_or3_b32 v2, v6, v3, v2
.LBB41_196:
	s_or_b64 exec, exec, s[6:7]
	s_movk_i32 s4, 0x7f
	v_cmp_gt_i16_sdwa s[6:7], v4, s4 src0_sel:BYTE_0 src1_sel:DWORD
	s_mov_b64 s[4:5], 0
                                        ; implicit-def: $sgpr10
	s_and_saveexec_b64 s[8:9], s[6:7]
	s_xor_b64 s[6:7], exec, s[8:9]
	s_cbranch_execnz .LBB41_2245
; %bb.197:
	s_or_saveexec_b64 s[6:7], s[6:7]
	v_mov_b32_e32 v3, s10
	s_xor_b64 exec, exec, s[6:7]
	s_cbranch_execnz .LBB41_2248
.LBB41_198:
	s_or_b64 exec, exec, s[6:7]
	s_and_saveexec_b64 s[6:7], s[4:5]
	s_cbranch_execz .LBB41_200
.LBB41_199:
	v_and_b32_e32 v3, 7, v4
	v_ffbh_u32_e32 v7, v3
	v_min_u32_e32 v7, 32, v7
	v_lshrrev_b16_e32 v6, 3, v4
	v_subrev_u32_e32 v10, 28, v7
	v_and_b32_e32 v6, 15, v6
	v_lshlrev_b32_e32 v10, v10, v4
	v_sub_u32_e32 v7, 29, v7
	v_and_b32_e32 v10, 7, v10
	v_cmp_eq_u16_e32 vcc, 0, v6
	v_cndmask_b32_e32 v3, v3, v10, vcc
	v_cndmask_b32_e32 v6, v6, v7, vcc
	v_lshlrev_b32_e32 v7, 24, v4
	v_mov_b32_e32 v10, 0x3b800000
	v_lshlrev_b32_e32 v3, 20, v3
	v_and_b32_e32 v7, 0x80000000, v7
	v_lshl_add_u32 v6, v6, 23, v10
	v_or3_b32 v3, v7, v6, v3
.LBB41_200:
	s_or_b64 exec, exec, s[6:7]
	s_nop 0
	v_mfma_f32_16x16x4f32 a[0:3], v2, v3, a[0:3]
	v_lshrrev_b32_e32 v3, 8, v8
	s_movk_i32 s4, 0x7f
	v_cmp_gt_i16_sdwa s[6:7], v3, s4 src0_sel:BYTE_0 src1_sel:DWORD
	s_mov_b64 s[4:5], 0
                                        ; implicit-def: $sgpr10
	s_and_saveexec_b64 s[8:9], s[6:7]
	s_xor_b64 s[6:7], exec, s[8:9]
	s_cbranch_execnz .LBB41_2249
; %bb.201:
	s_or_saveexec_b64 s[6:7], s[6:7]
	v_mov_b32_e32 v2, s10
	s_xor_b64 exec, exec, s[6:7]
	s_cbranch_execnz .LBB41_2252
.LBB41_202:
	s_or_b64 exec, exec, s[6:7]
	s_and_saveexec_b64 s[6:7], s[4:5]
	s_cbranch_execz .LBB41_204
.LBB41_203:
	v_bfe_u32 v2, v8, 8, 3
	v_ffbh_u32_e32 v7, v2
	v_min_u32_e32 v7, 32, v7
	v_lshrrev_b16_e32 v6, 3, v3
	v_subrev_u32_e32 v10, 28, v7
	v_and_b32_e32 v6, 15, v6
	v_lshlrev_b32_e32 v3, v10, v3
	v_sub_u32_e32 v7, 29, v7
	v_and_b32_e32 v3, 7, v3
	v_cmp_eq_u16_e32 vcc, 0, v6
	v_cndmask_b32_e32 v2, v2, v3, vcc
	v_cndmask_b32_e32 v3, v6, v7, vcc
	v_lshlrev_b32_e32 v6, 16, v8
	v_mov_b32_e32 v7, 0x3b800000
	v_lshlrev_b32_e32 v2, 20, v2
	v_and_b32_e32 v6, 0x80000000, v6
	v_lshl_add_u32 v3, v3, 23, v7
	v_or3_b32 v2, v6, v3, v2
.LBB41_204:
	s_or_b64 exec, exec, s[6:7]
	v_lshrrev_b32_e32 v3, 8, v4
	s_movk_i32 s4, 0x7f
	v_cmp_gt_i16_sdwa s[6:7], v3, s4 src0_sel:BYTE_0 src1_sel:DWORD
	s_mov_b64 s[4:5], 0
                                        ; implicit-def: $sgpr10
	s_and_saveexec_b64 s[8:9], s[6:7]
	s_xor_b64 s[6:7], exec, s[8:9]
	s_cbranch_execnz .LBB41_2253
; %bb.205:
	s_or_saveexec_b64 s[6:7], s[6:7]
	v_mov_b32_e32 v6, s10
	s_xor_b64 exec, exec, s[6:7]
	s_cbranch_execnz .LBB41_2256
.LBB41_206:
	s_or_b64 exec, exec, s[6:7]
	s_and_saveexec_b64 s[6:7], s[4:5]
	s_cbranch_execz .LBB41_208
.LBB41_207:
	v_bfe_u32 v6, v4, 8, 3
	v_ffbh_u32_e32 v10, v6
	v_min_u32_e32 v10, 32, v10
	v_lshrrev_b16_e32 v7, 3, v3
	v_subrev_u32_e32 v11, 28, v10
	v_and_b32_e32 v7, 15, v7
	v_lshlrev_b32_e32 v3, v11, v3
	v_sub_u32_e32 v10, 29, v10
	v_and_b32_e32 v3, 7, v3
	v_cmp_eq_u16_e32 vcc, 0, v7
	v_cndmask_b32_e32 v3, v6, v3, vcc
	v_cndmask_b32_e32 v6, v7, v10, vcc
	v_lshlrev_b32_e32 v7, 16, v4
	v_mov_b32_e32 v10, 0x3b800000
	v_lshlrev_b32_e32 v3, 20, v3
	v_and_b32_e32 v7, 0x80000000, v7
	v_lshl_add_u32 v6, v6, 23, v10
	v_or3_b32 v6, v7, v6, v3
.LBB41_208:
	s_or_b64 exec, exec, s[6:7]
	s_nop 0
	v_mfma_f32_16x16x4f32 a[0:3], v2, v6, a[0:3]
	s_movk_i32 s4, 0xff
	v_and_b32_sdwa v3, v8, s4 dst_sel:DWORD dst_unused:UNUSED_PAD src0_sel:WORD_1 src1_sel:DWORD
	s_movk_i32 s4, 0x7f
	v_cmp_lt_i16_e32 vcc, s4, v3
	s_mov_b64 s[4:5], 0
                                        ; implicit-def: $sgpr10
	s_and_saveexec_b64 s[6:7], vcc
	s_xor_b64 s[6:7], exec, s[6:7]
	s_cbranch_execnz .LBB41_2257
; %bb.209:
	s_or_saveexec_b64 s[6:7], s[6:7]
	v_mov_b32_e32 v2, s10
	s_xor_b64 exec, exec, s[6:7]
	s_cbranch_execnz .LBB41_2260
.LBB41_210:
	s_or_b64 exec, exec, s[6:7]
	s_and_saveexec_b64 s[6:7], s[4:5]
	s_cbranch_execz .LBB41_212
.LBB41_211:
	v_bfe_u32 v2, v8, 16, 3
	v_ffbh_u32_e32 v7, v2
	v_min_u32_e32 v7, 32, v7
	v_lshrrev_b32_e32 v3, 19, v8
	v_subrev_u32_e32 v10, 28, v7
	v_and_b32_e32 v3, 15, v3
	v_lshlrev_b32_sdwa v10, v10, v8 dst_sel:DWORD dst_unused:UNUSED_PAD src0_sel:DWORD src1_sel:WORD_1
	v_bfe_u32 v6, v8, 19, 4
	v_sub_u32_e32 v7, 29, v7
	v_and_b32_e32 v10, 7, v10
	v_cmp_eq_u16_e32 vcc, 0, v3
	v_cndmask_b32_e32 v2, v2, v10, vcc
	v_cndmask_b32_e32 v3, v6, v7, vcc
	v_lshlrev_b32_e32 v6, 8, v8
	v_mov_b32_e32 v7, 0x3b800000
	v_lshlrev_b32_e32 v2, 20, v2
	v_and_b32_e32 v6, 0x80000000, v6
	v_lshl_add_u32 v3, v3, 23, v7
	v_or3_b32 v2, v6, v3, v2
.LBB41_212:
	s_or_b64 exec, exec, s[6:7]
	s_movk_i32 s4, 0xff
	v_and_b32_sdwa v3, v4, s4 dst_sel:DWORD dst_unused:UNUSED_PAD src0_sel:WORD_1 src1_sel:DWORD
	s_movk_i32 s4, 0x7f
	v_cmp_lt_i16_e32 vcc, s4, v3
	s_mov_b64 s[4:5], 0
                                        ; implicit-def: $sgpr10
	s_and_saveexec_b64 s[6:7], vcc
	s_xor_b64 s[6:7], exec, s[6:7]
	s_cbranch_execnz .LBB41_2261
; %bb.213:
	s_or_saveexec_b64 s[6:7], s[6:7]
	v_mov_b32_e32 v6, s10
	s_xor_b64 exec, exec, s[6:7]
	s_cbranch_execnz .LBB41_2264
.LBB41_214:
	s_or_b64 exec, exec, s[6:7]
	s_and_saveexec_b64 s[6:7], s[4:5]
	s_cbranch_execz .LBB41_216
.LBB41_215:
	v_bfe_u32 v3, v4, 16, 3
	v_ffbh_u32_e32 v10, v3
	v_min_u32_e32 v10, 32, v10
	v_lshrrev_b32_e32 v6, 19, v4
	v_subrev_u32_e32 v11, 28, v10
	v_and_b32_e32 v6, 15, v6
	v_lshlrev_b32_sdwa v11, v11, v4 dst_sel:DWORD dst_unused:UNUSED_PAD src0_sel:DWORD src1_sel:WORD_1
	v_bfe_u32 v7, v4, 19, 4
	v_sub_u32_e32 v10, 29, v10
	v_and_b32_e32 v11, 7, v11
	v_cmp_eq_u16_e32 vcc, 0, v6
	v_cndmask_b32_e32 v3, v3, v11, vcc
	v_cndmask_b32_e32 v6, v7, v10, vcc
	v_lshlrev_b32_e32 v7, 8, v4
	v_mov_b32_e32 v10, 0x3b800000
	v_lshlrev_b32_e32 v3, 20, v3
	v_and_b32_e32 v7, 0x80000000, v7
	v_lshl_add_u32 v6, v6, 23, v10
	v_or3_b32 v6, v7, v6, v3
.LBB41_216:
	s_or_b64 exec, exec, s[6:7]
	s_nop 0
	v_mfma_f32_16x16x4f32 a[0:3], v2, v6, a[0:3]
	s_movk_i32 s4, 0x7f
	v_cmp_gt_i16_sdwa s[6:7], v8, s4 src0_sel:BYTE_3 src1_sel:DWORD
	s_mov_b64 s[4:5], 0
                                        ; implicit-def: $sgpr10
	s_and_saveexec_b64 s[8:9], s[6:7]
	s_xor_b64 s[6:7], exec, s[8:9]
	s_cbranch_execnz .LBB41_2265
; %bb.217:
	s_or_saveexec_b64 s[6:7], s[6:7]
	v_mov_b32_e32 v2, s10
	s_xor_b64 exec, exec, s[6:7]
	s_cbranch_execnz .LBB41_2268
.LBB41_218:
	s_or_b64 exec, exec, s[6:7]
	s_and_saveexec_b64 s[6:7], s[4:5]
	s_cbranch_execz .LBB41_220
.LBB41_219:
	v_bfe_u32 v2, v8, 24, 3
	v_ffbh_u32_e32 v10, v2
	v_min_u32_e32 v10, 32, v10
	v_lshrrev_b32_e32 v6, 27, v8
	v_subrev_u32_e32 v11, 28, v10
	v_and_b32_e32 v3, 0x80000000, v8
	v_and_b32_e32 v6, 15, v6
	v_bfe_u32 v7, v8, 27, 4
	v_lshlrev_b32_sdwa v8, v11, v8 dst_sel:DWORD dst_unused:UNUSED_PAD src0_sel:DWORD src1_sel:BYTE_3
	v_sub_u32_e32 v10, 29, v10
	v_and_b32_e32 v8, 7, v8
	v_cmp_eq_u16_e32 vcc, 0, v6
	v_cndmask_b32_e32 v2, v2, v8, vcc
	v_cndmask_b32_e32 v6, v7, v10, vcc
	v_mov_b32_e32 v7, 0x3b800000
	v_lshlrev_b32_e32 v2, 20, v2
	v_lshl_add_u32 v6, v6, 23, v7
	v_or3_b32 v2, v3, v6, v2
.LBB41_220:
	s_or_b64 exec, exec, s[6:7]
	s_movk_i32 s4, 0x7f
	v_cmp_gt_i16_sdwa s[6:7], v4, s4 src0_sel:BYTE_3 src1_sel:DWORD
	s_mov_b64 s[4:5], 0
                                        ; implicit-def: $sgpr10
	s_and_saveexec_b64 s[8:9], s[6:7]
	s_xor_b64 s[6:7], exec, s[8:9]
	s_cbranch_execnz .LBB41_2269
; %bb.221:
	s_or_saveexec_b64 s[6:7], s[6:7]
	v_mov_b32_e32 v3, s10
	s_xor_b64 exec, exec, s[6:7]
	s_cbranch_execnz .LBB41_2272
.LBB41_222:
	s_or_b64 exec, exec, s[6:7]
	s_and_saveexec_b64 s[6:7], s[4:5]
	s_cbranch_execz .LBB41_224
.LBB41_223:
	v_bfe_u32 v3, v4, 24, 3
	v_ffbh_u32_e32 v10, v3
	v_min_u32_e32 v10, 32, v10
	v_lshrrev_b32_e32 v7, 27, v4
	v_subrev_u32_e32 v11, 28, v10
	v_and_b32_e32 v6, 0x80000000, v4
	v_and_b32_e32 v7, 15, v7
	v_bfe_u32 v8, v4, 27, 4
	v_lshlrev_b32_sdwa v4, v11, v4 dst_sel:DWORD dst_unused:UNUSED_PAD src0_sel:DWORD src1_sel:BYTE_3
	v_sub_u32_e32 v10, 29, v10
	v_and_b32_e32 v4, 7, v4
	v_cmp_eq_u16_e32 vcc, 0, v7
	v_cndmask_b32_e32 v3, v3, v4, vcc
	v_cndmask_b32_e32 v4, v8, v10, vcc
	v_mov_b32_e32 v7, 0x3b800000
	v_lshlrev_b32_e32 v3, 20, v3
	v_lshl_add_u32 v4, v4, 23, v7
	v_or3_b32 v3, v6, v4, v3
.LBB41_224:
	s_or_b64 exec, exec, s[6:7]
	s_nop 0
	v_mfma_f32_16x16x4f32 a[0:3], v2, v3, a[0:3]
	s_movk_i32 s4, 0x7f
	v_cmp_gt_i16_sdwa s[6:7], v9, s4 src0_sel:BYTE_0 src1_sel:DWORD
	s_mov_b64 s[4:5], 0
                                        ; implicit-def: $sgpr10
	s_and_saveexec_b64 s[8:9], s[6:7]
	s_xor_b64 s[6:7], exec, s[8:9]
	s_cbranch_execnz .LBB41_2273
; %bb.225:
	s_or_saveexec_b64 s[6:7], s[6:7]
	v_mov_b32_e32 v2, s10
	s_xor_b64 exec, exec, s[6:7]
	s_cbranch_execnz .LBB41_2276
.LBB41_226:
	s_or_b64 exec, exec, s[6:7]
	s_and_saveexec_b64 s[6:7], s[4:5]
	s_cbranch_execz .LBB41_228
.LBB41_227:
	v_mov_b32_e32 v2, 8
	v_and_b32_e32 v3, 7, v9
	v_lshrrev_b32_sdwa v2, v2, v9 dst_sel:BYTE_1 dst_unused:UNUSED_PAD src0_sel:DWORD src1_sel:DWORD
	v_ffbh_u32_e32 v4, v3
	v_or_b32_sdwa v2, v9, v2 dst_sel:DWORD dst_unused:UNUSED_PAD src0_sel:BYTE_0 src1_sel:DWORD
	v_min_u32_e32 v4, 32, v4
	v_lshrrev_b16_e32 v2, 3, v2
	v_subrev_u32_e32 v6, 28, v4
	v_and_b32_e32 v2, 15, v2
	v_lshlrev_b32_e32 v6, v6, v9
	v_sub_u32_e32 v4, 29, v4
	v_and_b32_e32 v6, 7, v6
	v_cmp_eq_u16_e32 vcc, 0, v2
	v_cndmask_b32_e32 v3, v3, v6, vcc
	v_cndmask_b32_e32 v2, v2, v4, vcc
	v_lshlrev_b32_e32 v4, 24, v9
	v_mov_b32_e32 v6, 0x3b800000
	v_lshlrev_b32_e32 v3, 20, v3
	v_and_b32_e32 v4, 0x80000000, v4
	v_lshl_add_u32 v2, v2, 23, v6
	v_or3_b32 v2, v4, v2, v3
.LBB41_228:
	s_or_b64 exec, exec, s[6:7]
	s_movk_i32 s4, 0x7f
	v_cmp_gt_i16_sdwa s[6:7], v5, s4 src0_sel:BYTE_0 src1_sel:DWORD
	s_mov_b64 s[4:5], 0
                                        ; implicit-def: $sgpr10
	s_and_saveexec_b64 s[8:9], s[6:7]
	s_xor_b64 s[6:7], exec, s[8:9]
	s_cbranch_execnz .LBB41_2277
; %bb.229:
	s_or_saveexec_b64 s[6:7], s[6:7]
	v_mov_b32_e32 v3, s10
	s_xor_b64 exec, exec, s[6:7]
	s_cbranch_execnz .LBB41_2280
.LBB41_230:
	s_or_b64 exec, exec, s[6:7]
	s_and_saveexec_b64 s[6:7], s[4:5]
	s_cbranch_execz .LBB41_232
.LBB41_231:
	v_mov_b32_e32 v3, 8
	v_and_b32_e32 v4, 7, v5
	v_lshrrev_b32_sdwa v3, v3, v5 dst_sel:BYTE_1 dst_unused:UNUSED_PAD src0_sel:DWORD src1_sel:DWORD
	v_ffbh_u32_e32 v6, v4
	v_or_b32_sdwa v3, v5, v3 dst_sel:DWORD dst_unused:UNUSED_PAD src0_sel:BYTE_0 src1_sel:DWORD
	v_min_u32_e32 v6, 32, v6
	v_lshrrev_b16_e32 v3, 3, v3
	v_subrev_u32_e32 v7, 28, v6
	v_and_b32_e32 v3, 15, v3
	v_lshlrev_b32_e32 v7, v7, v5
	v_sub_u32_e32 v6, 29, v6
	v_and_b32_e32 v7, 7, v7
	v_cmp_eq_u16_e32 vcc, 0, v3
	v_cndmask_b32_e32 v4, v4, v7, vcc
	v_cndmask_b32_e32 v3, v3, v6, vcc
	v_lshlrev_b32_e32 v6, 24, v5
	v_mov_b32_e32 v7, 0x3b800000
	v_lshlrev_b32_e32 v4, 20, v4
	v_and_b32_e32 v6, 0x80000000, v6
	v_lshl_add_u32 v3, v3, 23, v7
	v_or3_b32 v3, v6, v3, v4
.LBB41_232:
	s_or_b64 exec, exec, s[6:7]
	s_nop 0
	v_mfma_f32_16x16x4f32 a[0:3], v2, v3, a[0:3]
	v_lshrrev_b32_e32 v3, 8, v9
	s_movk_i32 s4, 0x7f
	v_cmp_gt_i16_sdwa s[6:7], v3, s4 src0_sel:BYTE_0 src1_sel:DWORD
	s_mov_b64 s[4:5], 0
                                        ; implicit-def: $sgpr10
	s_and_saveexec_b64 s[8:9], s[6:7]
	s_xor_b64 s[6:7], exec, s[8:9]
	s_cbranch_execnz .LBB41_2281
; %bb.233:
	s_or_saveexec_b64 s[6:7], s[6:7]
	v_mov_b32_e32 v2, s10
	s_xor_b64 exec, exec, s[6:7]
	s_cbranch_execnz .LBB41_2284
.LBB41_234:
	s_or_b64 exec, exec, s[6:7]
	s_and_saveexec_b64 s[6:7], s[4:5]
	s_cbranch_execz .LBB41_236
.LBB41_235:
	v_bfe_u32 v2, v9, 8, 3
	v_ffbh_u32_e32 v6, v2
	v_min_u32_e32 v6, 32, v6
	v_lshrrev_b16_e32 v4, 3, v3
	v_subrev_u32_e32 v7, 28, v6
	v_and_b32_e32 v4, 15, v4
	v_lshlrev_b32_e32 v3, v7, v3
	v_sub_u32_e32 v6, 29, v6
	v_and_b32_e32 v3, 7, v3
	v_cmp_eq_u16_e32 vcc, 0, v4
	v_cndmask_b32_e32 v2, v2, v3, vcc
	v_cndmask_b32_e32 v3, v4, v6, vcc
	v_lshlrev_b32_e32 v4, 16, v9
	v_mov_b32_e32 v6, 0x3b800000
	v_lshlrev_b32_e32 v2, 20, v2
	v_and_b32_e32 v4, 0x80000000, v4
	v_lshl_add_u32 v3, v3, 23, v6
	v_or3_b32 v2, v4, v3, v2
.LBB41_236:
	s_or_b64 exec, exec, s[6:7]
	v_lshrrev_b32_e32 v3, 8, v5
	s_movk_i32 s4, 0x7f
	v_cmp_gt_i16_sdwa s[6:7], v3, s4 src0_sel:BYTE_0 src1_sel:DWORD
	s_mov_b64 s[4:5], 0
                                        ; implicit-def: $sgpr10
	s_and_saveexec_b64 s[8:9], s[6:7]
	s_xor_b64 s[6:7], exec, s[8:9]
	s_cbranch_execnz .LBB41_2285
; %bb.237:
	s_or_saveexec_b64 s[6:7], s[6:7]
	v_mov_b32_e32 v4, s10
	s_xor_b64 exec, exec, s[6:7]
	s_cbranch_execnz .LBB41_2288
.LBB41_238:
	s_or_b64 exec, exec, s[6:7]
	s_and_saveexec_b64 s[6:7], s[4:5]
	s_cbranch_execz .LBB41_240
.LBB41_239:
	v_bfe_u32 v4, v5, 8, 3
	v_ffbh_u32_e32 v7, v4
	v_min_u32_e32 v7, 32, v7
	v_lshrrev_b16_e32 v6, 3, v3
	v_subrev_u32_e32 v8, 28, v7
	v_and_b32_e32 v6, 15, v6
	v_lshlrev_b32_e32 v3, v8, v3
	v_sub_u32_e32 v7, 29, v7
	v_and_b32_e32 v3, 7, v3
	v_cmp_eq_u16_e32 vcc, 0, v6
	v_cndmask_b32_e32 v3, v4, v3, vcc
	v_cndmask_b32_e32 v4, v6, v7, vcc
	v_lshlrev_b32_e32 v6, 16, v5
	v_mov_b32_e32 v7, 0x3b800000
	v_lshlrev_b32_e32 v3, 20, v3
	v_and_b32_e32 v6, 0x80000000, v6
	v_lshl_add_u32 v4, v4, 23, v7
	v_or3_b32 v4, v6, v4, v3
.LBB41_240:
	s_or_b64 exec, exec, s[6:7]
	s_nop 0
	v_mfma_f32_16x16x4f32 a[0:3], v2, v4, a[0:3]
	s_movk_i32 s4, 0xff
	v_and_b32_sdwa v3, v9, s4 dst_sel:DWORD dst_unused:UNUSED_PAD src0_sel:WORD_1 src1_sel:DWORD
	s_movk_i32 s4, 0x7f
	v_cmp_lt_i16_e32 vcc, s4, v3
	s_mov_b64 s[4:5], 0
                                        ; implicit-def: $sgpr10
	s_and_saveexec_b64 s[6:7], vcc
	s_xor_b64 s[6:7], exec, s[6:7]
	s_cbranch_execnz .LBB41_2289
; %bb.241:
	s_or_saveexec_b64 s[6:7], s[6:7]
	v_mov_b32_e32 v2, s10
	s_xor_b64 exec, exec, s[6:7]
	s_cbranch_execnz .LBB41_2292
.LBB41_242:
	s_or_b64 exec, exec, s[6:7]
	s_and_saveexec_b64 s[6:7], s[4:5]
	s_cbranch_execz .LBB41_244
.LBB41_243:
	v_bfe_u32 v2, v9, 16, 3
	v_ffbh_u32_e32 v6, v2
	v_min_u32_e32 v6, 32, v6
	v_lshrrev_b32_e32 v3, 19, v9
	v_subrev_u32_e32 v7, 28, v6
	v_and_b32_e32 v3, 15, v3
	v_lshlrev_b32_sdwa v7, v7, v9 dst_sel:DWORD dst_unused:UNUSED_PAD src0_sel:DWORD src1_sel:WORD_1
	v_bfe_u32 v4, v9, 19, 4
	v_sub_u32_e32 v6, 29, v6
	v_and_b32_e32 v7, 7, v7
	v_cmp_eq_u16_e32 vcc, 0, v3
	v_cndmask_b32_e32 v2, v2, v7, vcc
	v_cndmask_b32_e32 v3, v4, v6, vcc
	v_lshlrev_b32_e32 v4, 8, v9
	v_mov_b32_e32 v6, 0x3b800000
	v_lshlrev_b32_e32 v2, 20, v2
	v_and_b32_e32 v4, 0x80000000, v4
	v_lshl_add_u32 v3, v3, 23, v6
	v_or3_b32 v2, v4, v3, v2
.LBB41_244:
	s_or_b64 exec, exec, s[6:7]
	s_movk_i32 s4, 0xff
	v_and_b32_sdwa v3, v5, s4 dst_sel:DWORD dst_unused:UNUSED_PAD src0_sel:WORD_1 src1_sel:DWORD
	s_movk_i32 s4, 0x7f
	v_cmp_lt_i16_e32 vcc, s4, v3
	s_mov_b64 s[4:5], 0
                                        ; implicit-def: $sgpr10
	s_and_saveexec_b64 s[6:7], vcc
	s_xor_b64 s[6:7], exec, s[6:7]
	s_cbranch_execnz .LBB41_2293
; %bb.245:
	s_or_saveexec_b64 s[6:7], s[6:7]
	v_mov_b32_e32 v4, s10
	s_xor_b64 exec, exec, s[6:7]
	s_cbranch_execnz .LBB41_2296
.LBB41_246:
	s_or_b64 exec, exec, s[6:7]
	s_and_saveexec_b64 s[6:7], s[4:5]
	s_cbranch_execz .LBB41_248
.LBB41_247:
	v_bfe_u32 v3, v5, 16, 3
	v_ffbh_u32_e32 v7, v3
	v_min_u32_e32 v7, 32, v7
	v_lshrrev_b32_e32 v4, 19, v5
	v_subrev_u32_e32 v8, 28, v7
	v_and_b32_e32 v4, 15, v4
	v_lshlrev_b32_sdwa v8, v8, v5 dst_sel:DWORD dst_unused:UNUSED_PAD src0_sel:DWORD src1_sel:WORD_1
	v_bfe_u32 v6, v5, 19, 4
	v_sub_u32_e32 v7, 29, v7
	v_and_b32_e32 v8, 7, v8
	v_cmp_eq_u16_e32 vcc, 0, v4
	v_cndmask_b32_e32 v3, v3, v8, vcc
	v_cndmask_b32_e32 v4, v6, v7, vcc
	v_lshlrev_b32_e32 v6, 8, v5
	v_mov_b32_e32 v7, 0x3b800000
	v_lshlrev_b32_e32 v3, 20, v3
	v_and_b32_e32 v6, 0x80000000, v6
	v_lshl_add_u32 v4, v4, 23, v7
	v_or3_b32 v4, v6, v4, v3
.LBB41_248:
	s_or_b64 exec, exec, s[6:7]
	s_nop 0
	v_mfma_f32_16x16x4f32 a[0:3], v2, v4, a[0:3]
	s_movk_i32 s4, 0x7f
	v_cmp_gt_i16_sdwa s[6:7], v9, s4 src0_sel:BYTE_3 src1_sel:DWORD
	s_mov_b64 s[4:5], 0
                                        ; implicit-def: $sgpr10
	s_and_saveexec_b64 s[8:9], s[6:7]
	s_xor_b64 s[6:7], exec, s[8:9]
	s_cbranch_execnz .LBB41_2297
; %bb.249:
	s_or_saveexec_b64 s[6:7], s[6:7]
	v_mov_b32_e32 v2, s10
	s_xor_b64 exec, exec, s[6:7]
	s_cbranch_execnz .LBB41_2300
.LBB41_250:
	s_or_b64 exec, exec, s[6:7]
	s_and_saveexec_b64 s[6:7], s[4:5]
	s_cbranch_execz .LBB41_252
.LBB41_251:
	v_bfe_u32 v2, v9, 24, 3
	v_ffbh_u32_e32 v7, v2
	v_min_u32_e32 v7, 32, v7
	v_lshrrev_b32_e32 v4, 27, v9
	v_subrev_u32_e32 v8, 28, v7
	v_and_b32_e32 v4, 15, v4
	v_lshlrev_b32_sdwa v8, v8, v9 dst_sel:DWORD dst_unused:UNUSED_PAD src0_sel:DWORD src1_sel:BYTE_3
	v_bfe_u32 v6, v9, 27, 4
	v_sub_u32_e32 v7, 29, v7
	v_and_b32_e32 v8, 7, v8
	v_cmp_eq_u16_e32 vcc, 0, v4
	v_cndmask_b32_e32 v2, v2, v8, vcc
	v_cndmask_b32_e32 v4, v6, v7, vcc
	v_mov_b32_e32 v6, 0x3b800000
	v_and_b32_e32 v3, 0x80000000, v9
	v_lshlrev_b32_e32 v2, 20, v2
	v_lshl_add_u32 v4, v4, 23, v6
	v_or3_b32 v2, v3, v4, v2
.LBB41_252:
	s_or_b64 exec, exec, s[6:7]
	s_movk_i32 s4, 0x7f
	v_cmp_gt_i16_sdwa s[6:7], v5, s4 src0_sel:BYTE_3 src1_sel:DWORD
	s_mov_b64 s[4:5], 0
                                        ; implicit-def: $sgpr10
	s_and_saveexec_b64 s[8:9], s[6:7]
	s_xor_b64 s[6:7], exec, s[8:9]
	s_cbranch_execnz .LBB41_2301
; %bb.253:
	s_or_saveexec_b64 s[6:7], s[6:7]
	v_mov_b32_e32 v3, s10
	s_xor_b64 exec, exec, s[6:7]
	s_cbranch_execnz .LBB41_2304
.LBB41_254:
	s_or_b64 exec, exec, s[6:7]
	s_and_saveexec_b64 s[6:7], s[4:5]
	s_cbranch_execz .LBB41_256
.LBB41_255:
	v_bfe_u32 v3, v5, 24, 3
	v_ffbh_u32_e32 v8, v3
	v_min_u32_e32 v8, 32, v8
	v_lshrrev_b32_e32 v6, 27, v5
	v_subrev_u32_e32 v9, 28, v8
	v_and_b32_e32 v4, 0x80000000, v5
	v_and_b32_e32 v6, 15, v6
	v_bfe_u32 v7, v5, 27, 4
	v_lshlrev_b32_sdwa v5, v9, v5 dst_sel:DWORD dst_unused:UNUSED_PAD src0_sel:DWORD src1_sel:BYTE_3
	v_sub_u32_e32 v8, 29, v8
	v_and_b32_e32 v5, 7, v5
	v_cmp_eq_u16_e32 vcc, 0, v6
	v_cndmask_b32_e32 v3, v3, v5, vcc
	v_cndmask_b32_e32 v5, v7, v8, vcc
	v_mov_b32_e32 v6, 0x3b800000
	v_lshlrev_b32_e32 v3, 20, v3
	v_lshl_add_u32 v5, v5, 23, v6
	v_or3_b32 v3, v4, v5, v3
.LBB41_256:
	s_or_b64 exec, exec, s[6:7]
	s_nop 0
	v_mfma_f32_16x16x4f32 a[0:3], v2, v3, a[0:3]
	s_movk_i32 s4, 0x7f
                                        ; implicit-def: $sgpr10
	s_nop 7
	s_nop 1
	flat_store_dwordx4 v[18:19], a[0:3] offset:640
	flat_load_dwordx4 v[20:23], v[0:1] offset:16
	s_nop 0
	flat_load_dwordx2 v[18:19], v[0:1] offset:32
	s_waitcnt vmcnt(0) lgkmcnt(0)
	flat_load_dwordx4 v[14:17], v[20:21] offset:32
	flat_load_dwordx4 v[6:9], v[20:21] offset:48
	;; [unrolled: 1-line block ×4, first 2 shown]
	s_waitcnt vmcnt(0) lgkmcnt(0)
	v_cmp_gt_i16_sdwa s[6:7], v14, s4 src0_sel:BYTE_0 src1_sel:DWORD
	s_mov_b64 s[4:5], 0
	s_and_saveexec_b64 s[8:9], s[6:7]
	s_xor_b64 s[6:7], exec, s[8:9]
	s_cbranch_execnz .LBB41_2305
; %bb.257:
	s_or_saveexec_b64 s[6:7], s[6:7]
	v_mov_b32_e32 v20, s10
	s_xor_b64 exec, exec, s[6:7]
	s_cbranch_execnz .LBB41_2308
.LBB41_258:
	s_or_b64 exec, exec, s[6:7]
	s_and_saveexec_b64 s[6:7], s[4:5]
	s_cbranch_execz .LBB41_260
.LBB41_259:
	v_and_b32_e32 v20, 7, v14
	v_ffbh_u32_e32 v22, v20
	v_min_u32_e32 v22, 32, v22
	v_lshrrev_b16_e32 v21, 3, v14
	v_subrev_u32_e32 v23, 28, v22
	v_and_b32_e32 v21, 15, v21
	v_lshlrev_b32_e32 v23, v23, v14
	v_sub_u32_e32 v22, 29, v22
	v_and_b32_e32 v23, 7, v23
	v_cmp_eq_u16_e32 vcc, 0, v21
	v_cndmask_b32_e32 v20, v20, v23, vcc
	v_cndmask_b32_e32 v21, v21, v22, vcc
	v_lshlrev_b32_e32 v22, 24, v14
	v_mov_b32_e32 v23, 0x3b800000
	v_lshlrev_b32_e32 v20, 20, v20
	v_and_b32_e32 v22, 0x80000000, v22
	v_lshl_add_u32 v21, v21, 23, v23
	v_or3_b32 v20, v22, v21, v20
.LBB41_260:
	s_or_b64 exec, exec, s[6:7]
	s_movk_i32 s4, 0x7f
	v_cmp_gt_i16_sdwa s[6:7], v10, s4 src0_sel:BYTE_0 src1_sel:DWORD
	s_mov_b64 s[4:5], 0
                                        ; implicit-def: $sgpr10
	s_and_saveexec_b64 s[8:9], s[6:7]
	s_xor_b64 s[6:7], exec, s[8:9]
	s_cbranch_execnz .LBB41_2309
; %bb.261:
	s_or_saveexec_b64 s[6:7], s[6:7]
	v_mov_b32_e32 v21, s10
	s_xor_b64 exec, exec, s[6:7]
	s_cbranch_execnz .LBB41_2312
.LBB41_262:
	s_or_b64 exec, exec, s[6:7]
	s_and_saveexec_b64 s[6:7], s[4:5]
	s_cbranch_execz .LBB41_264
.LBB41_263:
	v_and_b32_e32 v21, 7, v10
	v_ffbh_u32_e32 v23, v21
	v_min_u32_e32 v23, 32, v23
	v_lshrrev_b16_e32 v22, 3, v10
	v_subrev_u32_e32 v24, 28, v23
	v_and_b32_e32 v22, 15, v22
	v_lshlrev_b32_e32 v24, v24, v10
	v_sub_u32_e32 v23, 29, v23
	v_and_b32_e32 v24, 7, v24
	v_cmp_eq_u16_e32 vcc, 0, v22
	v_cndmask_b32_e32 v21, v21, v24, vcc
	v_cndmask_b32_e32 v22, v22, v23, vcc
	v_lshlrev_b32_e32 v23, 24, v10
	v_mov_b32_e32 v24, 0x3b800000
	v_lshlrev_b32_e32 v21, 20, v21
	v_and_b32_e32 v23, 0x80000000, v23
	v_lshl_add_u32 v22, v22, 23, v24
	v_or3_b32 v21, v23, v22, v21
.LBB41_264:
	s_or_b64 exec, exec, s[6:7]
	flat_load_dwordx4 a[0:3], v[18:19] offset:656
	s_movk_i32 s4, 0x7f
                                        ; implicit-def: $sgpr10
	s_waitcnt vmcnt(0) lgkmcnt(0)
	v_mfma_f32_16x16x4f32 a[0:3], v20, v21, a[0:3]
	v_lshrrev_b32_e32 v21, 8, v14
	v_cmp_gt_i16_sdwa s[6:7], v21, s4 src0_sel:BYTE_0 src1_sel:DWORD
	s_mov_b64 s[4:5], 0
	s_and_saveexec_b64 s[8:9], s[6:7]
	s_xor_b64 s[6:7], exec, s[8:9]
	s_cbranch_execnz .LBB41_2313
; %bb.265:
	s_or_saveexec_b64 s[6:7], s[6:7]
	v_mov_b32_e32 v20, s10
	s_xor_b64 exec, exec, s[6:7]
	s_cbranch_execnz .LBB41_2316
.LBB41_266:
	s_or_b64 exec, exec, s[6:7]
	s_and_saveexec_b64 s[6:7], s[4:5]
	s_cbranch_execz .LBB41_268
.LBB41_267:
	v_bfe_u32 v20, v14, 8, 3
	v_ffbh_u32_e32 v23, v20
	v_min_u32_e32 v23, 32, v23
	v_lshrrev_b16_e32 v22, 3, v21
	v_subrev_u32_e32 v24, 28, v23
	v_and_b32_e32 v22, 15, v22
	v_lshlrev_b32_e32 v21, v24, v21
	v_sub_u32_e32 v23, 29, v23
	v_and_b32_e32 v21, 7, v21
	v_cmp_eq_u16_e32 vcc, 0, v22
	v_cndmask_b32_e32 v20, v20, v21, vcc
	v_cndmask_b32_e32 v21, v22, v23, vcc
	v_lshlrev_b32_e32 v22, 16, v14
	v_mov_b32_e32 v23, 0x3b800000
	v_lshlrev_b32_e32 v20, 20, v20
	v_and_b32_e32 v22, 0x80000000, v22
	v_lshl_add_u32 v21, v21, 23, v23
	v_or3_b32 v20, v22, v21, v20
.LBB41_268:
	s_or_b64 exec, exec, s[6:7]
	v_lshrrev_b32_e32 v21, 8, v10
	s_movk_i32 s4, 0x7f
	v_cmp_gt_i16_sdwa s[6:7], v21, s4 src0_sel:BYTE_0 src1_sel:DWORD
	s_mov_b64 s[4:5], 0
                                        ; implicit-def: $sgpr10
	s_and_saveexec_b64 s[8:9], s[6:7]
	s_xor_b64 s[6:7], exec, s[8:9]
	s_cbranch_execnz .LBB41_2317
; %bb.269:
	s_or_saveexec_b64 s[6:7], s[6:7]
	v_mov_b32_e32 v22, s10
	s_xor_b64 exec, exec, s[6:7]
	s_cbranch_execnz .LBB41_2320
.LBB41_270:
	s_or_b64 exec, exec, s[6:7]
	s_and_saveexec_b64 s[6:7], s[4:5]
	s_cbranch_execz .LBB41_272
.LBB41_271:
	v_bfe_u32 v22, v10, 8, 3
	v_ffbh_u32_e32 v24, v22
	v_min_u32_e32 v24, 32, v24
	v_lshrrev_b16_e32 v23, 3, v21
	v_subrev_u32_e32 v25, 28, v24
	v_and_b32_e32 v23, 15, v23
	v_lshlrev_b32_e32 v21, v25, v21
	v_sub_u32_e32 v24, 29, v24
	v_and_b32_e32 v21, 7, v21
	v_cmp_eq_u16_e32 vcc, 0, v23
	v_cndmask_b32_e32 v21, v22, v21, vcc
	v_cndmask_b32_e32 v22, v23, v24, vcc
	v_lshlrev_b32_e32 v23, 16, v10
	v_mov_b32_e32 v24, 0x3b800000
	v_lshlrev_b32_e32 v21, 20, v21
	v_and_b32_e32 v23, 0x80000000, v23
	v_lshl_add_u32 v22, v22, 23, v24
	v_or3_b32 v22, v23, v22, v21
.LBB41_272:
	s_or_b64 exec, exec, s[6:7]
	s_nop 0
	v_mfma_f32_16x16x4f32 a[0:3], v20, v22, a[0:3]
	s_movk_i32 s4, 0xff
	v_and_b32_sdwa v21, v14, s4 dst_sel:DWORD dst_unused:UNUSED_PAD src0_sel:WORD_1 src1_sel:DWORD
	s_movk_i32 s4, 0x7f
	v_cmp_lt_i16_e32 vcc, s4, v21
	s_mov_b64 s[4:5], 0
                                        ; implicit-def: $sgpr10
	s_and_saveexec_b64 s[6:7], vcc
	s_xor_b64 s[6:7], exec, s[6:7]
	s_cbranch_execnz .LBB41_2321
; %bb.273:
	s_or_saveexec_b64 s[6:7], s[6:7]
	v_mov_b32_e32 v20, s10
	s_xor_b64 exec, exec, s[6:7]
	s_cbranch_execnz .LBB41_2324
.LBB41_274:
	s_or_b64 exec, exec, s[6:7]
	s_and_saveexec_b64 s[6:7], s[4:5]
	s_cbranch_execz .LBB41_276
.LBB41_275:
	v_bfe_u32 v20, v14, 16, 3
	v_ffbh_u32_e32 v23, v20
	v_min_u32_e32 v23, 32, v23
	v_lshrrev_b32_e32 v21, 19, v14
	v_subrev_u32_e32 v24, 28, v23
	v_and_b32_e32 v21, 15, v21
	v_lshlrev_b32_sdwa v24, v24, v14 dst_sel:DWORD dst_unused:UNUSED_PAD src0_sel:DWORD src1_sel:WORD_1
	v_bfe_u32 v22, v14, 19, 4
	v_sub_u32_e32 v23, 29, v23
	v_and_b32_e32 v24, 7, v24
	v_cmp_eq_u16_e32 vcc, 0, v21
	v_cndmask_b32_e32 v20, v20, v24, vcc
	v_cndmask_b32_e32 v21, v22, v23, vcc
	v_lshlrev_b32_e32 v22, 8, v14
	v_mov_b32_e32 v23, 0x3b800000
	v_lshlrev_b32_e32 v20, 20, v20
	v_and_b32_e32 v22, 0x80000000, v22
	v_lshl_add_u32 v21, v21, 23, v23
	v_or3_b32 v20, v22, v21, v20
.LBB41_276:
	s_or_b64 exec, exec, s[6:7]
	s_movk_i32 s4, 0xff
	v_and_b32_sdwa v21, v10, s4 dst_sel:DWORD dst_unused:UNUSED_PAD src0_sel:WORD_1 src1_sel:DWORD
	s_movk_i32 s4, 0x7f
	v_cmp_lt_i16_e32 vcc, s4, v21
	s_mov_b64 s[4:5], 0
                                        ; implicit-def: $sgpr10
	s_and_saveexec_b64 s[6:7], vcc
	s_xor_b64 s[6:7], exec, s[6:7]
	s_cbranch_execnz .LBB41_2325
; %bb.277:
	s_or_saveexec_b64 s[6:7], s[6:7]
	v_mov_b32_e32 v22, s10
	s_xor_b64 exec, exec, s[6:7]
	s_cbranch_execnz .LBB41_2328
.LBB41_278:
	s_or_b64 exec, exec, s[6:7]
	s_and_saveexec_b64 s[6:7], s[4:5]
	s_cbranch_execz .LBB41_280
.LBB41_279:
	v_bfe_u32 v21, v10, 16, 3
	v_ffbh_u32_e32 v24, v21
	v_min_u32_e32 v24, 32, v24
	v_lshrrev_b32_e32 v22, 19, v10
	v_subrev_u32_e32 v25, 28, v24
	v_and_b32_e32 v22, 15, v22
	v_lshlrev_b32_sdwa v25, v25, v10 dst_sel:DWORD dst_unused:UNUSED_PAD src0_sel:DWORD src1_sel:WORD_1
	v_bfe_u32 v23, v10, 19, 4
	v_sub_u32_e32 v24, 29, v24
	v_and_b32_e32 v25, 7, v25
	v_cmp_eq_u16_e32 vcc, 0, v22
	v_cndmask_b32_e32 v21, v21, v25, vcc
	v_cndmask_b32_e32 v22, v23, v24, vcc
	v_lshlrev_b32_e32 v23, 8, v10
	v_mov_b32_e32 v24, 0x3b800000
	v_lshlrev_b32_e32 v21, 20, v21
	v_and_b32_e32 v23, 0x80000000, v23
	v_lshl_add_u32 v22, v22, 23, v24
	v_or3_b32 v22, v23, v22, v21
.LBB41_280:
	s_or_b64 exec, exec, s[6:7]
	s_nop 0
	v_mfma_f32_16x16x4f32 a[0:3], v20, v22, a[0:3]
	s_movk_i32 s4, 0x7f
	v_cmp_gt_i16_sdwa s[6:7], v14, s4 src0_sel:BYTE_3 src1_sel:DWORD
	s_mov_b64 s[4:5], 0
                                        ; implicit-def: $sgpr10
	s_and_saveexec_b64 s[8:9], s[6:7]
	s_xor_b64 s[6:7], exec, s[8:9]
	s_cbranch_execnz .LBB41_2329
; %bb.281:
	s_or_saveexec_b64 s[6:7], s[6:7]
	v_mov_b32_e32 v20, s10
	s_xor_b64 exec, exec, s[6:7]
	s_cbranch_execnz .LBB41_2332
.LBB41_282:
	s_or_b64 exec, exec, s[6:7]
	s_and_saveexec_b64 s[6:7], s[4:5]
	s_cbranch_execz .LBB41_284
.LBB41_283:
	v_bfe_u32 v20, v14, 24, 3
	v_ffbh_u32_e32 v24, v20
	v_min_u32_e32 v24, 32, v24
	v_lshrrev_b32_e32 v22, 27, v14
	v_subrev_u32_e32 v25, 28, v24
	v_and_b32_e32 v21, 0x80000000, v14
	v_and_b32_e32 v22, 15, v22
	v_bfe_u32 v23, v14, 27, 4
	v_lshlrev_b32_sdwa v14, v25, v14 dst_sel:DWORD dst_unused:UNUSED_PAD src0_sel:DWORD src1_sel:BYTE_3
	v_sub_u32_e32 v24, 29, v24
	v_and_b32_e32 v14, 7, v14
	v_cmp_eq_u16_e32 vcc, 0, v22
	v_cndmask_b32_e32 v14, v20, v14, vcc
	v_cndmask_b32_e32 v20, v23, v24, vcc
	v_mov_b32_e32 v22, 0x3b800000
	v_lshlrev_b32_e32 v14, 20, v14
	v_lshl_add_u32 v20, v20, 23, v22
	v_or3_b32 v20, v21, v20, v14
.LBB41_284:
	s_or_b64 exec, exec, s[6:7]
	s_movk_i32 s4, 0x7f
	v_cmp_gt_i16_sdwa s[6:7], v10, s4 src0_sel:BYTE_3 src1_sel:DWORD
	s_mov_b64 s[4:5], 0
                                        ; implicit-def: $sgpr10
	s_and_saveexec_b64 s[8:9], s[6:7]
	s_xor_b64 s[6:7], exec, s[8:9]
	s_cbranch_execnz .LBB41_2333
; %bb.285:
	s_or_saveexec_b64 s[6:7], s[6:7]
	v_mov_b32_e32 v14, s10
	s_xor_b64 exec, exec, s[6:7]
	s_cbranch_execnz .LBB41_2336
.LBB41_286:
	s_or_b64 exec, exec, s[6:7]
	s_and_saveexec_b64 s[6:7], s[4:5]
	s_cbranch_execz .LBB41_288
.LBB41_287:
	v_bfe_u32 v14, v10, 24, 3
	v_ffbh_u32_e32 v24, v14
	v_min_u32_e32 v24, 32, v24
	v_lshrrev_b32_e32 v22, 27, v10
	v_subrev_u32_e32 v25, 28, v24
	v_and_b32_e32 v21, 0x80000000, v10
	v_and_b32_e32 v22, 15, v22
	v_bfe_u32 v23, v10, 27, 4
	v_lshlrev_b32_sdwa v10, v25, v10 dst_sel:DWORD dst_unused:UNUSED_PAD src0_sel:DWORD src1_sel:BYTE_3
	v_sub_u32_e32 v24, 29, v24
	v_and_b32_e32 v10, 7, v10
	v_cmp_eq_u16_e32 vcc, 0, v22
	v_cndmask_b32_e32 v10, v14, v10, vcc
	v_cndmask_b32_e32 v14, v23, v24, vcc
	v_mov_b32_e32 v22, 0x3b800000
	v_lshlrev_b32_e32 v10, 20, v10
	v_lshl_add_u32 v14, v14, 23, v22
	v_or3_b32 v14, v21, v14, v10
.LBB41_288:
	s_or_b64 exec, exec, s[6:7]
	s_nop 0
	v_mfma_f32_16x16x4f32 a[0:3], v20, v14, a[0:3]
	s_movk_i32 s4, 0x7f
	v_cmp_gt_i16_sdwa s[6:7], v15, s4 src0_sel:BYTE_0 src1_sel:DWORD
	s_mov_b64 s[4:5], 0
                                        ; implicit-def: $sgpr10
	s_and_saveexec_b64 s[8:9], s[6:7]
	s_xor_b64 s[6:7], exec, s[8:9]
	s_cbranch_execnz .LBB41_2337
; %bb.289:
	s_or_saveexec_b64 s[6:7], s[6:7]
	v_mov_b32_e32 v10, s10
	s_xor_b64 exec, exec, s[6:7]
	s_cbranch_execnz .LBB41_2340
.LBB41_290:
	s_or_b64 exec, exec, s[6:7]
	s_and_saveexec_b64 s[6:7], s[4:5]
	s_cbranch_execz .LBB41_292
.LBB41_291:
	v_and_b32_e32 v10, 7, v15
	v_ffbh_u32_e32 v20, v10
	v_min_u32_e32 v20, 32, v20
	v_lshrrev_b16_e32 v14, 3, v15
	v_subrev_u32_e32 v21, 28, v20
	v_and_b32_e32 v14, 15, v14
	v_lshlrev_b32_e32 v21, v21, v15
	v_sub_u32_e32 v20, 29, v20
	v_and_b32_e32 v21, 7, v21
	v_cmp_eq_u16_e32 vcc, 0, v14
	v_cndmask_b32_e32 v10, v10, v21, vcc
	v_cndmask_b32_e32 v14, v14, v20, vcc
	v_lshlrev_b32_e32 v20, 24, v15
	v_mov_b32_e32 v21, 0x3b800000
	v_lshlrev_b32_e32 v10, 20, v10
	v_and_b32_e32 v20, 0x80000000, v20
	v_lshl_add_u32 v14, v14, 23, v21
	v_or3_b32 v10, v20, v14, v10
.LBB41_292:
	s_or_b64 exec, exec, s[6:7]
	s_movk_i32 s4, 0x7f
	v_cmp_gt_i16_sdwa s[6:7], v11, s4 src0_sel:BYTE_0 src1_sel:DWORD
	s_mov_b64 s[4:5], 0
                                        ; implicit-def: $sgpr10
	s_and_saveexec_b64 s[8:9], s[6:7]
	s_xor_b64 s[6:7], exec, s[8:9]
	s_cbranch_execnz .LBB41_2341
; %bb.293:
	s_or_saveexec_b64 s[6:7], s[6:7]
	v_mov_b32_e32 v14, s10
	s_xor_b64 exec, exec, s[6:7]
	s_cbranch_execnz .LBB41_2344
.LBB41_294:
	s_or_b64 exec, exec, s[6:7]
	s_and_saveexec_b64 s[6:7], s[4:5]
	s_cbranch_execz .LBB41_296
.LBB41_295:
	v_and_b32_e32 v14, 7, v11
	v_ffbh_u32_e32 v21, v14
	v_min_u32_e32 v21, 32, v21
	v_lshrrev_b16_e32 v20, 3, v11
	v_subrev_u32_e32 v22, 28, v21
	v_and_b32_e32 v20, 15, v20
	v_lshlrev_b32_e32 v22, v22, v11
	v_sub_u32_e32 v21, 29, v21
	v_and_b32_e32 v22, 7, v22
	v_cmp_eq_u16_e32 vcc, 0, v20
	v_cndmask_b32_e32 v14, v14, v22, vcc
	v_cndmask_b32_e32 v20, v20, v21, vcc
	v_lshlrev_b32_e32 v21, 24, v11
	v_mov_b32_e32 v22, 0x3b800000
	v_lshlrev_b32_e32 v14, 20, v14
	v_and_b32_e32 v21, 0x80000000, v21
	v_lshl_add_u32 v20, v20, 23, v22
	v_or3_b32 v14, v21, v20, v14
.LBB41_296:
	s_or_b64 exec, exec, s[6:7]
	s_nop 0
	v_mfma_f32_16x16x4f32 a[0:3], v10, v14, a[0:3]
	v_lshrrev_b32_e32 v14, 8, v15
	s_movk_i32 s4, 0x7f
	v_cmp_gt_i16_sdwa s[6:7], v14, s4 src0_sel:BYTE_0 src1_sel:DWORD
	s_mov_b64 s[4:5], 0
                                        ; implicit-def: $sgpr10
	s_and_saveexec_b64 s[8:9], s[6:7]
	s_xor_b64 s[6:7], exec, s[8:9]
	s_cbranch_execnz .LBB41_2345
; %bb.297:
	s_or_saveexec_b64 s[6:7], s[6:7]
	v_mov_b32_e32 v10, s10
	s_xor_b64 exec, exec, s[6:7]
	s_cbranch_execnz .LBB41_2348
.LBB41_298:
	s_or_b64 exec, exec, s[6:7]
	s_and_saveexec_b64 s[6:7], s[4:5]
	s_cbranch_execz .LBB41_300
.LBB41_299:
	v_bfe_u32 v10, v15, 8, 3
	v_ffbh_u32_e32 v21, v10
	v_min_u32_e32 v21, 32, v21
	v_lshrrev_b16_e32 v20, 3, v14
	v_subrev_u32_e32 v22, 28, v21
	v_and_b32_e32 v20, 15, v20
	v_lshlrev_b32_e32 v14, v22, v14
	v_sub_u32_e32 v21, 29, v21
	v_and_b32_e32 v14, 7, v14
	v_cmp_eq_u16_e32 vcc, 0, v20
	v_cndmask_b32_e32 v10, v10, v14, vcc
	v_cndmask_b32_e32 v14, v20, v21, vcc
	v_lshlrev_b32_e32 v20, 16, v15
	v_mov_b32_e32 v21, 0x3b800000
	v_lshlrev_b32_e32 v10, 20, v10
	v_and_b32_e32 v20, 0x80000000, v20
	v_lshl_add_u32 v14, v14, 23, v21
	v_or3_b32 v10, v20, v14, v10
.LBB41_300:
	s_or_b64 exec, exec, s[6:7]
	v_lshrrev_b32_e32 v14, 8, v11
	s_movk_i32 s4, 0x7f
	v_cmp_gt_i16_sdwa s[6:7], v14, s4 src0_sel:BYTE_0 src1_sel:DWORD
	s_mov_b64 s[4:5], 0
                                        ; implicit-def: $sgpr10
	s_and_saveexec_b64 s[8:9], s[6:7]
	s_xor_b64 s[6:7], exec, s[8:9]
	s_cbranch_execnz .LBB41_2349
; %bb.301:
	s_or_saveexec_b64 s[6:7], s[6:7]
	v_mov_b32_e32 v20, s10
	s_xor_b64 exec, exec, s[6:7]
	s_cbranch_execnz .LBB41_2352
.LBB41_302:
	s_or_b64 exec, exec, s[6:7]
	s_and_saveexec_b64 s[6:7], s[4:5]
	s_cbranch_execz .LBB41_304
.LBB41_303:
	v_bfe_u32 v20, v11, 8, 3
	v_ffbh_u32_e32 v22, v20
	v_min_u32_e32 v22, 32, v22
	v_lshrrev_b16_e32 v21, 3, v14
	v_subrev_u32_e32 v23, 28, v22
	v_and_b32_e32 v21, 15, v21
	v_lshlrev_b32_e32 v14, v23, v14
	v_sub_u32_e32 v22, 29, v22
	v_and_b32_e32 v14, 7, v14
	v_cmp_eq_u16_e32 vcc, 0, v21
	v_cndmask_b32_e32 v14, v20, v14, vcc
	v_cndmask_b32_e32 v20, v21, v22, vcc
	v_lshlrev_b32_e32 v21, 16, v11
	v_mov_b32_e32 v22, 0x3b800000
	v_lshlrev_b32_e32 v14, 20, v14
	v_and_b32_e32 v21, 0x80000000, v21
	v_lshl_add_u32 v20, v20, 23, v22
	v_or3_b32 v20, v21, v20, v14
.LBB41_304:
	s_or_b64 exec, exec, s[6:7]
	s_nop 0
	v_mfma_f32_16x16x4f32 a[0:3], v10, v20, a[0:3]
	s_movk_i32 s4, 0xff
	v_and_b32_sdwa v14, v15, s4 dst_sel:DWORD dst_unused:UNUSED_PAD src0_sel:WORD_1 src1_sel:DWORD
	s_movk_i32 s4, 0x7f
	v_cmp_lt_i16_e32 vcc, s4, v14
	s_mov_b64 s[4:5], 0
                                        ; implicit-def: $sgpr10
	s_and_saveexec_b64 s[6:7], vcc
	s_xor_b64 s[6:7], exec, s[6:7]
	s_cbranch_execnz .LBB41_2353
; %bb.305:
	s_or_saveexec_b64 s[6:7], s[6:7]
	v_mov_b32_e32 v10, s10
	s_xor_b64 exec, exec, s[6:7]
	s_cbranch_execnz .LBB41_2356
.LBB41_306:
	s_or_b64 exec, exec, s[6:7]
	s_and_saveexec_b64 s[6:7], s[4:5]
	s_cbranch_execz .LBB41_308
.LBB41_307:
	v_bfe_u32 v10, v15, 16, 3
	v_ffbh_u32_e32 v21, v10
	v_min_u32_e32 v21, 32, v21
	v_lshrrev_b32_e32 v14, 19, v15
	v_subrev_u32_e32 v22, 28, v21
	v_and_b32_e32 v14, 15, v14
	v_lshlrev_b32_sdwa v22, v22, v15 dst_sel:DWORD dst_unused:UNUSED_PAD src0_sel:DWORD src1_sel:WORD_1
	v_bfe_u32 v20, v15, 19, 4
	v_sub_u32_e32 v21, 29, v21
	v_and_b32_e32 v22, 7, v22
	v_cmp_eq_u16_e32 vcc, 0, v14
	v_cndmask_b32_e32 v10, v10, v22, vcc
	v_cndmask_b32_e32 v14, v20, v21, vcc
	v_lshlrev_b32_e32 v20, 8, v15
	v_mov_b32_e32 v21, 0x3b800000
	v_lshlrev_b32_e32 v10, 20, v10
	v_and_b32_e32 v20, 0x80000000, v20
	v_lshl_add_u32 v14, v14, 23, v21
	v_or3_b32 v10, v20, v14, v10
.LBB41_308:
	s_or_b64 exec, exec, s[6:7]
	s_movk_i32 s4, 0xff
	v_and_b32_sdwa v14, v11, s4 dst_sel:DWORD dst_unused:UNUSED_PAD src0_sel:WORD_1 src1_sel:DWORD
	s_movk_i32 s4, 0x7f
	v_cmp_lt_i16_e32 vcc, s4, v14
	s_mov_b64 s[4:5], 0
                                        ; implicit-def: $sgpr10
	s_and_saveexec_b64 s[6:7], vcc
	s_xor_b64 s[6:7], exec, s[6:7]
	s_cbranch_execnz .LBB41_2357
; %bb.309:
	s_or_saveexec_b64 s[6:7], s[6:7]
	v_mov_b32_e32 v20, s10
	s_xor_b64 exec, exec, s[6:7]
	s_cbranch_execnz .LBB41_2360
.LBB41_310:
	s_or_b64 exec, exec, s[6:7]
	s_and_saveexec_b64 s[6:7], s[4:5]
	s_cbranch_execz .LBB41_312
.LBB41_311:
	v_bfe_u32 v14, v11, 16, 3
	v_ffbh_u32_e32 v22, v14
	v_min_u32_e32 v22, 32, v22
	v_lshrrev_b32_e32 v20, 19, v11
	v_subrev_u32_e32 v23, 28, v22
	v_and_b32_e32 v20, 15, v20
	v_lshlrev_b32_sdwa v23, v23, v11 dst_sel:DWORD dst_unused:UNUSED_PAD src0_sel:DWORD src1_sel:WORD_1
	v_bfe_u32 v21, v11, 19, 4
	v_sub_u32_e32 v22, 29, v22
	v_and_b32_e32 v23, 7, v23
	v_cmp_eq_u16_e32 vcc, 0, v20
	v_cndmask_b32_e32 v14, v14, v23, vcc
	v_cndmask_b32_e32 v20, v21, v22, vcc
	v_lshlrev_b32_e32 v21, 8, v11
	v_mov_b32_e32 v22, 0x3b800000
	v_lshlrev_b32_e32 v14, 20, v14
	v_and_b32_e32 v21, 0x80000000, v21
	v_lshl_add_u32 v20, v20, 23, v22
	v_or3_b32 v20, v21, v20, v14
.LBB41_312:
	s_or_b64 exec, exec, s[6:7]
	s_nop 0
	v_mfma_f32_16x16x4f32 a[0:3], v10, v20, a[0:3]
	s_movk_i32 s4, 0x7f
	v_cmp_gt_i16_sdwa s[6:7], v15, s4 src0_sel:BYTE_3 src1_sel:DWORD
	s_mov_b64 s[4:5], 0
                                        ; implicit-def: $sgpr10
	s_and_saveexec_b64 s[8:9], s[6:7]
	s_xor_b64 s[6:7], exec, s[8:9]
	s_cbranch_execnz .LBB41_2361
; %bb.313:
	s_or_saveexec_b64 s[6:7], s[6:7]
	v_mov_b32_e32 v10, s10
	s_xor_b64 exec, exec, s[6:7]
	s_cbranch_execnz .LBB41_2364
.LBB41_314:
	s_or_b64 exec, exec, s[6:7]
	s_and_saveexec_b64 s[6:7], s[4:5]
	s_cbranch_execz .LBB41_316
.LBB41_315:
	v_bfe_u32 v10, v15, 24, 3
	v_ffbh_u32_e32 v22, v10
	v_min_u32_e32 v22, 32, v22
	v_lshrrev_b32_e32 v20, 27, v15
	v_subrev_u32_e32 v23, 28, v22
	v_and_b32_e32 v14, 0x80000000, v15
	v_and_b32_e32 v20, 15, v20
	v_bfe_u32 v21, v15, 27, 4
	v_lshlrev_b32_sdwa v15, v23, v15 dst_sel:DWORD dst_unused:UNUSED_PAD src0_sel:DWORD src1_sel:BYTE_3
	v_sub_u32_e32 v22, 29, v22
	v_and_b32_e32 v15, 7, v15
	v_cmp_eq_u16_e32 vcc, 0, v20
	v_cndmask_b32_e32 v10, v10, v15, vcc
	v_cndmask_b32_e32 v15, v21, v22, vcc
	v_mov_b32_e32 v20, 0x3b800000
	v_lshlrev_b32_e32 v10, 20, v10
	v_lshl_add_u32 v15, v15, 23, v20
	v_or3_b32 v10, v14, v15, v10
.LBB41_316:
	s_or_b64 exec, exec, s[6:7]
	s_movk_i32 s4, 0x7f
	v_cmp_gt_i16_sdwa s[6:7], v11, s4 src0_sel:BYTE_3 src1_sel:DWORD
	s_mov_b64 s[4:5], 0
                                        ; implicit-def: $sgpr10
	s_and_saveexec_b64 s[8:9], s[6:7]
	s_xor_b64 s[6:7], exec, s[8:9]
	s_cbranch_execnz .LBB41_2365
; %bb.317:
	s_or_saveexec_b64 s[6:7], s[6:7]
	v_mov_b32_e32 v14, s10
	s_xor_b64 exec, exec, s[6:7]
	s_cbranch_execnz .LBB41_2368
.LBB41_318:
	s_or_b64 exec, exec, s[6:7]
	s_and_saveexec_b64 s[6:7], s[4:5]
	s_cbranch_execz .LBB41_320
.LBB41_319:
	v_bfe_u32 v14, v11, 24, 3
	v_ffbh_u32_e32 v22, v14
	v_min_u32_e32 v22, 32, v22
	v_lshrrev_b32_e32 v20, 27, v11
	v_subrev_u32_e32 v23, 28, v22
	v_and_b32_e32 v15, 0x80000000, v11
	v_and_b32_e32 v20, 15, v20
	v_bfe_u32 v21, v11, 27, 4
	v_lshlrev_b32_sdwa v11, v23, v11 dst_sel:DWORD dst_unused:UNUSED_PAD src0_sel:DWORD src1_sel:BYTE_3
	v_sub_u32_e32 v22, 29, v22
	v_and_b32_e32 v11, 7, v11
	v_cmp_eq_u16_e32 vcc, 0, v20
	v_cndmask_b32_e32 v11, v14, v11, vcc
	v_cndmask_b32_e32 v14, v21, v22, vcc
	v_mov_b32_e32 v20, 0x3b800000
	v_lshlrev_b32_e32 v11, 20, v11
	v_lshl_add_u32 v14, v14, 23, v20
	v_or3_b32 v14, v15, v14, v11
.LBB41_320:
	s_or_b64 exec, exec, s[6:7]
	s_nop 0
	v_mfma_f32_16x16x4f32 a[0:3], v10, v14, a[0:3]
	s_movk_i32 s4, 0x7f
	v_cmp_gt_i16_sdwa s[6:7], v16, s4 src0_sel:BYTE_0 src1_sel:DWORD
	s_mov_b64 s[4:5], 0
                                        ; implicit-def: $sgpr10
	s_and_saveexec_b64 s[8:9], s[6:7]
	s_xor_b64 s[6:7], exec, s[8:9]
	s_cbranch_execnz .LBB41_2369
; %bb.321:
	s_or_saveexec_b64 s[6:7], s[6:7]
	v_mov_b32_e32 v10, s10
	s_xor_b64 exec, exec, s[6:7]
	s_cbranch_execnz .LBB41_2372
.LBB41_322:
	s_or_b64 exec, exec, s[6:7]
	s_and_saveexec_b64 s[6:7], s[4:5]
	s_cbranch_execz .LBB41_324
.LBB41_323:
	v_and_b32_e32 v10, 7, v16
	v_ffbh_u32_e32 v14, v10
	v_min_u32_e32 v14, 32, v14
	v_lshrrev_b16_e32 v11, 3, v16
	v_subrev_u32_e32 v15, 28, v14
	v_and_b32_e32 v11, 15, v11
	v_lshlrev_b32_e32 v15, v15, v16
	v_sub_u32_e32 v14, 29, v14
	v_and_b32_e32 v15, 7, v15
	v_cmp_eq_u16_e32 vcc, 0, v11
	v_cndmask_b32_e32 v10, v10, v15, vcc
	v_cndmask_b32_e32 v11, v11, v14, vcc
	v_lshlrev_b32_e32 v14, 24, v16
	v_mov_b32_e32 v15, 0x3b800000
	v_lshlrev_b32_e32 v10, 20, v10
	v_and_b32_e32 v14, 0x80000000, v14
	v_lshl_add_u32 v11, v11, 23, v15
	v_or3_b32 v10, v14, v11, v10
.LBB41_324:
	s_or_b64 exec, exec, s[6:7]
	s_movk_i32 s4, 0x7f
	v_cmp_gt_i16_sdwa s[6:7], v12, s4 src0_sel:BYTE_0 src1_sel:DWORD
	s_mov_b64 s[4:5], 0
                                        ; implicit-def: $sgpr10
	s_and_saveexec_b64 s[8:9], s[6:7]
	s_xor_b64 s[6:7], exec, s[8:9]
	s_cbranch_execnz .LBB41_2373
; %bb.325:
	s_or_saveexec_b64 s[6:7], s[6:7]
	v_mov_b32_e32 v11, s10
	s_xor_b64 exec, exec, s[6:7]
	s_cbranch_execnz .LBB41_2376
.LBB41_326:
	s_or_b64 exec, exec, s[6:7]
	s_and_saveexec_b64 s[6:7], s[4:5]
	s_cbranch_execz .LBB41_328
.LBB41_327:
	v_and_b32_e32 v11, 7, v12
	v_ffbh_u32_e32 v15, v11
	v_min_u32_e32 v15, 32, v15
	v_lshrrev_b16_e32 v14, 3, v12
	v_subrev_u32_e32 v20, 28, v15
	v_and_b32_e32 v14, 15, v14
	v_lshlrev_b32_e32 v20, v20, v12
	v_sub_u32_e32 v15, 29, v15
	v_and_b32_e32 v20, 7, v20
	v_cmp_eq_u16_e32 vcc, 0, v14
	v_cndmask_b32_e32 v11, v11, v20, vcc
	v_cndmask_b32_e32 v14, v14, v15, vcc
	v_lshlrev_b32_e32 v15, 24, v12
	v_mov_b32_e32 v20, 0x3b800000
	v_lshlrev_b32_e32 v11, 20, v11
	v_and_b32_e32 v15, 0x80000000, v15
	v_lshl_add_u32 v14, v14, 23, v20
	v_or3_b32 v11, v15, v14, v11
.LBB41_328:
	s_or_b64 exec, exec, s[6:7]
	s_nop 0
	v_mfma_f32_16x16x4f32 a[0:3], v10, v11, a[0:3]
	v_lshrrev_b32_e32 v11, 8, v16
	s_movk_i32 s4, 0x7f
	v_cmp_gt_i16_sdwa s[6:7], v11, s4 src0_sel:BYTE_0 src1_sel:DWORD
	s_mov_b64 s[4:5], 0
                                        ; implicit-def: $sgpr10
	s_and_saveexec_b64 s[8:9], s[6:7]
	s_xor_b64 s[6:7], exec, s[8:9]
	s_cbranch_execnz .LBB41_2377
; %bb.329:
	s_or_saveexec_b64 s[6:7], s[6:7]
	v_mov_b32_e32 v10, s10
	s_xor_b64 exec, exec, s[6:7]
	s_cbranch_execnz .LBB41_2380
.LBB41_330:
	s_or_b64 exec, exec, s[6:7]
	s_and_saveexec_b64 s[6:7], s[4:5]
	s_cbranch_execz .LBB41_332
.LBB41_331:
	v_bfe_u32 v10, v16, 8, 3
	v_ffbh_u32_e32 v15, v10
	v_min_u32_e32 v15, 32, v15
	v_lshrrev_b16_e32 v14, 3, v11
	v_subrev_u32_e32 v20, 28, v15
	v_and_b32_e32 v14, 15, v14
	v_lshlrev_b32_e32 v11, v20, v11
	v_sub_u32_e32 v15, 29, v15
	v_and_b32_e32 v11, 7, v11
	v_cmp_eq_u16_e32 vcc, 0, v14
	v_cndmask_b32_e32 v10, v10, v11, vcc
	v_cndmask_b32_e32 v11, v14, v15, vcc
	v_lshlrev_b32_e32 v14, 16, v16
	v_mov_b32_e32 v15, 0x3b800000
	v_lshlrev_b32_e32 v10, 20, v10
	v_and_b32_e32 v14, 0x80000000, v14
	v_lshl_add_u32 v11, v11, 23, v15
	v_or3_b32 v10, v14, v11, v10
.LBB41_332:
	s_or_b64 exec, exec, s[6:7]
	v_lshrrev_b32_e32 v11, 8, v12
	s_movk_i32 s4, 0x7f
	v_cmp_gt_i16_sdwa s[6:7], v11, s4 src0_sel:BYTE_0 src1_sel:DWORD
	s_mov_b64 s[4:5], 0
                                        ; implicit-def: $sgpr10
	s_and_saveexec_b64 s[8:9], s[6:7]
	s_xor_b64 s[6:7], exec, s[8:9]
	s_cbranch_execnz .LBB41_2381
; %bb.333:
	s_or_saveexec_b64 s[6:7], s[6:7]
	v_mov_b32_e32 v14, s10
	s_xor_b64 exec, exec, s[6:7]
	s_cbranch_execnz .LBB41_2384
.LBB41_334:
	s_or_b64 exec, exec, s[6:7]
	s_and_saveexec_b64 s[6:7], s[4:5]
	s_cbranch_execz .LBB41_336
.LBB41_335:
	v_bfe_u32 v14, v12, 8, 3
	v_ffbh_u32_e32 v20, v14
	v_min_u32_e32 v20, 32, v20
	v_lshrrev_b16_e32 v15, 3, v11
	v_subrev_u32_e32 v21, 28, v20
	v_and_b32_e32 v15, 15, v15
	v_lshlrev_b32_e32 v11, v21, v11
	v_sub_u32_e32 v20, 29, v20
	v_and_b32_e32 v11, 7, v11
	v_cmp_eq_u16_e32 vcc, 0, v15
	v_cndmask_b32_e32 v11, v14, v11, vcc
	v_cndmask_b32_e32 v14, v15, v20, vcc
	v_lshlrev_b32_e32 v15, 16, v12
	v_mov_b32_e32 v20, 0x3b800000
	v_lshlrev_b32_e32 v11, 20, v11
	v_and_b32_e32 v15, 0x80000000, v15
	v_lshl_add_u32 v14, v14, 23, v20
	v_or3_b32 v14, v15, v14, v11
.LBB41_336:
	s_or_b64 exec, exec, s[6:7]
	s_nop 0
	v_mfma_f32_16x16x4f32 a[0:3], v10, v14, a[0:3]
	s_movk_i32 s4, 0xff
	v_and_b32_sdwa v11, v16, s4 dst_sel:DWORD dst_unused:UNUSED_PAD src0_sel:WORD_1 src1_sel:DWORD
	s_movk_i32 s4, 0x7f
	v_cmp_lt_i16_e32 vcc, s4, v11
	s_mov_b64 s[4:5], 0
                                        ; implicit-def: $sgpr10
	s_and_saveexec_b64 s[6:7], vcc
	s_xor_b64 s[6:7], exec, s[6:7]
	s_cbranch_execnz .LBB41_2385
; %bb.337:
	s_or_saveexec_b64 s[6:7], s[6:7]
	v_mov_b32_e32 v10, s10
	s_xor_b64 exec, exec, s[6:7]
	s_cbranch_execnz .LBB41_2388
.LBB41_338:
	s_or_b64 exec, exec, s[6:7]
	s_and_saveexec_b64 s[6:7], s[4:5]
	s_cbranch_execz .LBB41_340
.LBB41_339:
	v_bfe_u32 v10, v16, 16, 3
	v_ffbh_u32_e32 v15, v10
	v_min_u32_e32 v15, 32, v15
	v_lshrrev_b32_e32 v11, 19, v16
	v_subrev_u32_e32 v20, 28, v15
	v_and_b32_e32 v11, 15, v11
	v_lshlrev_b32_sdwa v20, v20, v16 dst_sel:DWORD dst_unused:UNUSED_PAD src0_sel:DWORD src1_sel:WORD_1
	v_bfe_u32 v14, v16, 19, 4
	v_sub_u32_e32 v15, 29, v15
	v_and_b32_e32 v20, 7, v20
	v_cmp_eq_u16_e32 vcc, 0, v11
	v_cndmask_b32_e32 v10, v10, v20, vcc
	v_cndmask_b32_e32 v11, v14, v15, vcc
	v_lshlrev_b32_e32 v14, 8, v16
	v_mov_b32_e32 v15, 0x3b800000
	v_lshlrev_b32_e32 v10, 20, v10
	v_and_b32_e32 v14, 0x80000000, v14
	v_lshl_add_u32 v11, v11, 23, v15
	v_or3_b32 v10, v14, v11, v10
.LBB41_340:
	s_or_b64 exec, exec, s[6:7]
	s_movk_i32 s4, 0xff
	v_and_b32_sdwa v11, v12, s4 dst_sel:DWORD dst_unused:UNUSED_PAD src0_sel:WORD_1 src1_sel:DWORD
	s_movk_i32 s4, 0x7f
	v_cmp_lt_i16_e32 vcc, s4, v11
	s_mov_b64 s[4:5], 0
                                        ; implicit-def: $sgpr10
	s_and_saveexec_b64 s[6:7], vcc
	s_xor_b64 s[6:7], exec, s[6:7]
	s_cbranch_execnz .LBB41_2389
; %bb.341:
	s_or_saveexec_b64 s[6:7], s[6:7]
	v_mov_b32_e32 v14, s10
	s_xor_b64 exec, exec, s[6:7]
	s_cbranch_execnz .LBB41_2392
.LBB41_342:
	s_or_b64 exec, exec, s[6:7]
	s_and_saveexec_b64 s[6:7], s[4:5]
	s_cbranch_execz .LBB41_344
.LBB41_343:
	v_bfe_u32 v11, v12, 16, 3
	v_ffbh_u32_e32 v20, v11
	v_min_u32_e32 v20, 32, v20
	v_lshrrev_b32_e32 v14, 19, v12
	v_subrev_u32_e32 v21, 28, v20
	v_and_b32_e32 v14, 15, v14
	v_lshlrev_b32_sdwa v21, v21, v12 dst_sel:DWORD dst_unused:UNUSED_PAD src0_sel:DWORD src1_sel:WORD_1
	v_bfe_u32 v15, v12, 19, 4
	v_sub_u32_e32 v20, 29, v20
	v_and_b32_e32 v21, 7, v21
	v_cmp_eq_u16_e32 vcc, 0, v14
	v_cndmask_b32_e32 v11, v11, v21, vcc
	v_cndmask_b32_e32 v14, v15, v20, vcc
	v_lshlrev_b32_e32 v15, 8, v12
	v_mov_b32_e32 v20, 0x3b800000
	v_lshlrev_b32_e32 v11, 20, v11
	v_and_b32_e32 v15, 0x80000000, v15
	v_lshl_add_u32 v14, v14, 23, v20
	v_or3_b32 v14, v15, v14, v11
.LBB41_344:
	s_or_b64 exec, exec, s[6:7]
	s_nop 0
	v_mfma_f32_16x16x4f32 a[0:3], v10, v14, a[0:3]
	s_movk_i32 s4, 0x7f
	v_cmp_gt_i16_sdwa s[6:7], v16, s4 src0_sel:BYTE_3 src1_sel:DWORD
	s_mov_b64 s[4:5], 0
                                        ; implicit-def: $sgpr10
	s_and_saveexec_b64 s[8:9], s[6:7]
	s_xor_b64 s[6:7], exec, s[8:9]
	s_cbranch_execnz .LBB41_2393
; %bb.345:
	s_or_saveexec_b64 s[6:7], s[6:7]
	v_mov_b32_e32 v10, s10
	s_xor_b64 exec, exec, s[6:7]
	s_cbranch_execnz .LBB41_2396
.LBB41_346:
	s_or_b64 exec, exec, s[6:7]
	s_and_saveexec_b64 s[6:7], s[4:5]
	s_cbranch_execz .LBB41_348
.LBB41_347:
	v_bfe_u32 v10, v16, 24, 3
	v_ffbh_u32_e32 v20, v10
	v_min_u32_e32 v20, 32, v20
	v_lshrrev_b32_e32 v14, 27, v16
	v_subrev_u32_e32 v21, 28, v20
	v_and_b32_e32 v11, 0x80000000, v16
	v_and_b32_e32 v14, 15, v14
	v_bfe_u32 v15, v16, 27, 4
	v_lshlrev_b32_sdwa v16, v21, v16 dst_sel:DWORD dst_unused:UNUSED_PAD src0_sel:DWORD src1_sel:BYTE_3
	v_sub_u32_e32 v20, 29, v20
	v_and_b32_e32 v16, 7, v16
	v_cmp_eq_u16_e32 vcc, 0, v14
	v_cndmask_b32_e32 v10, v10, v16, vcc
	v_cndmask_b32_e32 v14, v15, v20, vcc
	v_mov_b32_e32 v15, 0x3b800000
	v_lshlrev_b32_e32 v10, 20, v10
	v_lshl_add_u32 v14, v14, 23, v15
	v_or3_b32 v10, v11, v14, v10
.LBB41_348:
	s_or_b64 exec, exec, s[6:7]
	s_movk_i32 s4, 0x7f
	v_cmp_gt_i16_sdwa s[6:7], v12, s4 src0_sel:BYTE_3 src1_sel:DWORD
	s_mov_b64 s[4:5], 0
                                        ; implicit-def: $sgpr10
	s_and_saveexec_b64 s[8:9], s[6:7]
	s_xor_b64 s[6:7], exec, s[8:9]
	s_cbranch_execnz .LBB41_2397
; %bb.349:
	s_or_saveexec_b64 s[6:7], s[6:7]
	v_mov_b32_e32 v11, s10
	s_xor_b64 exec, exec, s[6:7]
	s_cbranch_execnz .LBB41_2400
.LBB41_350:
	s_or_b64 exec, exec, s[6:7]
	s_and_saveexec_b64 s[6:7], s[4:5]
	s_cbranch_execz .LBB41_352
.LBB41_351:
	v_bfe_u32 v11, v12, 24, 3
	v_ffbh_u32_e32 v20, v11
	v_min_u32_e32 v20, 32, v20
	v_lshrrev_b32_e32 v15, 27, v12
	v_subrev_u32_e32 v21, 28, v20
	v_and_b32_e32 v14, 0x80000000, v12
	v_and_b32_e32 v15, 15, v15
	v_bfe_u32 v16, v12, 27, 4
	v_lshlrev_b32_sdwa v12, v21, v12 dst_sel:DWORD dst_unused:UNUSED_PAD src0_sel:DWORD src1_sel:BYTE_3
	v_sub_u32_e32 v20, 29, v20
	v_and_b32_e32 v12, 7, v12
	v_cmp_eq_u16_e32 vcc, 0, v15
	v_cndmask_b32_e32 v11, v11, v12, vcc
	v_cndmask_b32_e32 v12, v16, v20, vcc
	v_mov_b32_e32 v15, 0x3b800000
	v_lshlrev_b32_e32 v11, 20, v11
	v_lshl_add_u32 v12, v12, 23, v15
	v_or3_b32 v11, v14, v12, v11
.LBB41_352:
	s_or_b64 exec, exec, s[6:7]
	s_nop 0
	v_mfma_f32_16x16x4f32 a[0:3], v10, v11, a[0:3]
	s_movk_i32 s4, 0x7f
	v_cmp_gt_i16_sdwa s[6:7], v17, s4 src0_sel:BYTE_0 src1_sel:DWORD
	s_mov_b64 s[4:5], 0
                                        ; implicit-def: $sgpr10
	s_and_saveexec_b64 s[8:9], s[6:7]
	s_xor_b64 s[6:7], exec, s[8:9]
	s_cbranch_execnz .LBB41_2401
; %bb.353:
	s_or_saveexec_b64 s[6:7], s[6:7]
	v_mov_b32_e32 v10, s10
	s_xor_b64 exec, exec, s[6:7]
	s_cbranch_execnz .LBB41_2404
.LBB41_354:
	s_or_b64 exec, exec, s[6:7]
	s_and_saveexec_b64 s[6:7], s[4:5]
	s_cbranch_execz .LBB41_356
.LBB41_355:
	v_and_b32_e32 v10, 7, v17
	v_ffbh_u32_e32 v12, v10
	v_min_u32_e32 v12, 32, v12
	v_lshrrev_b16_e32 v11, 3, v17
	v_subrev_u32_e32 v14, 28, v12
	v_and_b32_e32 v11, 15, v11
	v_lshlrev_b32_e32 v14, v14, v17
	v_sub_u32_e32 v12, 29, v12
	v_and_b32_e32 v14, 7, v14
	v_cmp_eq_u16_e32 vcc, 0, v11
	v_cndmask_b32_e32 v10, v10, v14, vcc
	v_cndmask_b32_e32 v11, v11, v12, vcc
	v_lshlrev_b32_e32 v12, 24, v17
	v_mov_b32_e32 v14, 0x3b800000
	v_lshlrev_b32_e32 v10, 20, v10
	v_and_b32_e32 v12, 0x80000000, v12
	v_lshl_add_u32 v11, v11, 23, v14
	v_or3_b32 v10, v12, v11, v10
.LBB41_356:
	s_or_b64 exec, exec, s[6:7]
	s_movk_i32 s4, 0x7f
	v_cmp_gt_i16_sdwa s[6:7], v13, s4 src0_sel:BYTE_0 src1_sel:DWORD
	s_mov_b64 s[4:5], 0
                                        ; implicit-def: $sgpr10
	s_and_saveexec_b64 s[8:9], s[6:7]
	s_xor_b64 s[6:7], exec, s[8:9]
	s_cbranch_execnz .LBB41_2405
; %bb.357:
	s_or_saveexec_b64 s[6:7], s[6:7]
	v_mov_b32_e32 v11, s10
	s_xor_b64 exec, exec, s[6:7]
	s_cbranch_execnz .LBB41_2408
.LBB41_358:
	s_or_b64 exec, exec, s[6:7]
	s_and_saveexec_b64 s[6:7], s[4:5]
	s_cbranch_execz .LBB41_360
.LBB41_359:
	v_and_b32_e32 v11, 7, v13
	v_ffbh_u32_e32 v14, v11
	v_min_u32_e32 v14, 32, v14
	v_lshrrev_b16_e32 v12, 3, v13
	v_subrev_u32_e32 v15, 28, v14
	v_and_b32_e32 v12, 15, v12
	v_lshlrev_b32_e32 v15, v15, v13
	v_sub_u32_e32 v14, 29, v14
	v_and_b32_e32 v15, 7, v15
	v_cmp_eq_u16_e32 vcc, 0, v12
	v_cndmask_b32_e32 v11, v11, v15, vcc
	v_cndmask_b32_e32 v12, v12, v14, vcc
	v_lshlrev_b32_e32 v14, 24, v13
	v_mov_b32_e32 v15, 0x3b800000
	v_lshlrev_b32_e32 v11, 20, v11
	v_and_b32_e32 v14, 0x80000000, v14
	v_lshl_add_u32 v12, v12, 23, v15
	v_or3_b32 v11, v14, v12, v11
.LBB41_360:
	s_or_b64 exec, exec, s[6:7]
	s_nop 0
	v_mfma_f32_16x16x4f32 a[0:3], v10, v11, a[0:3]
	v_lshrrev_b32_e32 v11, 8, v17
	s_movk_i32 s4, 0x7f
	v_cmp_gt_i16_sdwa s[6:7], v11, s4 src0_sel:BYTE_0 src1_sel:DWORD
	s_mov_b64 s[4:5], 0
                                        ; implicit-def: $sgpr10
	s_and_saveexec_b64 s[8:9], s[6:7]
	s_xor_b64 s[6:7], exec, s[8:9]
	s_cbranch_execnz .LBB41_2409
; %bb.361:
	s_or_saveexec_b64 s[6:7], s[6:7]
	v_mov_b32_e32 v10, s10
	s_xor_b64 exec, exec, s[6:7]
	s_cbranch_execnz .LBB41_2412
.LBB41_362:
	s_or_b64 exec, exec, s[6:7]
	s_and_saveexec_b64 s[6:7], s[4:5]
	s_cbranch_execz .LBB41_364
.LBB41_363:
	v_bfe_u32 v10, v17, 8, 3
	v_ffbh_u32_e32 v14, v10
	v_min_u32_e32 v14, 32, v14
	v_lshrrev_b16_e32 v12, 3, v11
	v_subrev_u32_e32 v15, 28, v14
	v_and_b32_e32 v12, 15, v12
	v_lshlrev_b32_e32 v11, v15, v11
	v_sub_u32_e32 v14, 29, v14
	v_and_b32_e32 v11, 7, v11
	v_cmp_eq_u16_e32 vcc, 0, v12
	v_cndmask_b32_e32 v10, v10, v11, vcc
	v_cndmask_b32_e32 v11, v12, v14, vcc
	v_lshlrev_b32_e32 v12, 16, v17
	v_mov_b32_e32 v14, 0x3b800000
	v_lshlrev_b32_e32 v10, 20, v10
	v_and_b32_e32 v12, 0x80000000, v12
	v_lshl_add_u32 v11, v11, 23, v14
	v_or3_b32 v10, v12, v11, v10
.LBB41_364:
	s_or_b64 exec, exec, s[6:7]
	v_lshrrev_b32_e32 v11, 8, v13
	s_movk_i32 s4, 0x7f
	v_cmp_gt_i16_sdwa s[6:7], v11, s4 src0_sel:BYTE_0 src1_sel:DWORD
	s_mov_b64 s[4:5], 0
                                        ; implicit-def: $sgpr10
	s_and_saveexec_b64 s[8:9], s[6:7]
	s_xor_b64 s[6:7], exec, s[8:9]
	s_cbranch_execnz .LBB41_2413
; %bb.365:
	s_or_saveexec_b64 s[6:7], s[6:7]
	v_mov_b32_e32 v12, s10
	s_xor_b64 exec, exec, s[6:7]
	s_cbranch_execnz .LBB41_2416
.LBB41_366:
	s_or_b64 exec, exec, s[6:7]
	s_and_saveexec_b64 s[6:7], s[4:5]
	s_cbranch_execz .LBB41_368
.LBB41_367:
	v_bfe_u32 v12, v13, 8, 3
	v_ffbh_u32_e32 v15, v12
	v_min_u32_e32 v15, 32, v15
	v_lshrrev_b16_e32 v14, 3, v11
	v_subrev_u32_e32 v16, 28, v15
	v_and_b32_e32 v14, 15, v14
	v_lshlrev_b32_e32 v11, v16, v11
	v_sub_u32_e32 v15, 29, v15
	v_and_b32_e32 v11, 7, v11
	v_cmp_eq_u16_e32 vcc, 0, v14
	v_cndmask_b32_e32 v11, v12, v11, vcc
	v_cndmask_b32_e32 v12, v14, v15, vcc
	v_lshlrev_b32_e32 v14, 16, v13
	v_mov_b32_e32 v15, 0x3b800000
	v_lshlrev_b32_e32 v11, 20, v11
	v_and_b32_e32 v14, 0x80000000, v14
	v_lshl_add_u32 v12, v12, 23, v15
	v_or3_b32 v12, v14, v12, v11
.LBB41_368:
	s_or_b64 exec, exec, s[6:7]
	s_nop 0
	v_mfma_f32_16x16x4f32 a[0:3], v10, v12, a[0:3]
	s_movk_i32 s4, 0xff
	v_and_b32_sdwa v11, v17, s4 dst_sel:DWORD dst_unused:UNUSED_PAD src0_sel:WORD_1 src1_sel:DWORD
	s_movk_i32 s4, 0x7f
	v_cmp_lt_i16_e32 vcc, s4, v11
	s_mov_b64 s[4:5], 0
                                        ; implicit-def: $sgpr10
	s_and_saveexec_b64 s[6:7], vcc
	s_xor_b64 s[6:7], exec, s[6:7]
	s_cbranch_execnz .LBB41_2417
; %bb.369:
	s_or_saveexec_b64 s[6:7], s[6:7]
	v_mov_b32_e32 v10, s10
	s_xor_b64 exec, exec, s[6:7]
	s_cbranch_execnz .LBB41_2420
.LBB41_370:
	s_or_b64 exec, exec, s[6:7]
	s_and_saveexec_b64 s[6:7], s[4:5]
	s_cbranch_execz .LBB41_372
.LBB41_371:
	v_bfe_u32 v10, v17, 16, 3
	v_ffbh_u32_e32 v14, v10
	v_min_u32_e32 v14, 32, v14
	v_lshrrev_b32_e32 v11, 19, v17
	v_subrev_u32_e32 v15, 28, v14
	v_and_b32_e32 v11, 15, v11
	v_lshlrev_b32_sdwa v15, v15, v17 dst_sel:DWORD dst_unused:UNUSED_PAD src0_sel:DWORD src1_sel:WORD_1
	v_bfe_u32 v12, v17, 19, 4
	v_sub_u32_e32 v14, 29, v14
	v_and_b32_e32 v15, 7, v15
	v_cmp_eq_u16_e32 vcc, 0, v11
	v_cndmask_b32_e32 v10, v10, v15, vcc
	v_cndmask_b32_e32 v11, v12, v14, vcc
	v_lshlrev_b32_e32 v12, 8, v17
	v_mov_b32_e32 v14, 0x3b800000
	v_lshlrev_b32_e32 v10, 20, v10
	v_and_b32_e32 v12, 0x80000000, v12
	v_lshl_add_u32 v11, v11, 23, v14
	v_or3_b32 v10, v12, v11, v10
.LBB41_372:
	s_or_b64 exec, exec, s[6:7]
	s_movk_i32 s4, 0xff
	v_and_b32_sdwa v11, v13, s4 dst_sel:DWORD dst_unused:UNUSED_PAD src0_sel:WORD_1 src1_sel:DWORD
	s_movk_i32 s4, 0x7f
	v_cmp_lt_i16_e32 vcc, s4, v11
	s_mov_b64 s[4:5], 0
                                        ; implicit-def: $sgpr10
	s_and_saveexec_b64 s[6:7], vcc
	s_xor_b64 s[6:7], exec, s[6:7]
	s_cbranch_execnz .LBB41_2421
; %bb.373:
	s_or_saveexec_b64 s[6:7], s[6:7]
	v_mov_b32_e32 v12, s10
	s_xor_b64 exec, exec, s[6:7]
	s_cbranch_execnz .LBB41_2424
.LBB41_374:
	s_or_b64 exec, exec, s[6:7]
	s_and_saveexec_b64 s[6:7], s[4:5]
	s_cbranch_execz .LBB41_376
.LBB41_375:
	v_bfe_u32 v11, v13, 16, 3
	v_ffbh_u32_e32 v15, v11
	v_min_u32_e32 v15, 32, v15
	v_lshrrev_b32_e32 v12, 19, v13
	v_subrev_u32_e32 v16, 28, v15
	v_and_b32_e32 v12, 15, v12
	v_lshlrev_b32_sdwa v16, v16, v13 dst_sel:DWORD dst_unused:UNUSED_PAD src0_sel:DWORD src1_sel:WORD_1
	v_bfe_u32 v14, v13, 19, 4
	v_sub_u32_e32 v15, 29, v15
	v_and_b32_e32 v16, 7, v16
	v_cmp_eq_u16_e32 vcc, 0, v12
	v_cndmask_b32_e32 v11, v11, v16, vcc
	v_cndmask_b32_e32 v12, v14, v15, vcc
	v_lshlrev_b32_e32 v14, 8, v13
	v_mov_b32_e32 v15, 0x3b800000
	v_lshlrev_b32_e32 v11, 20, v11
	v_and_b32_e32 v14, 0x80000000, v14
	v_lshl_add_u32 v12, v12, 23, v15
	v_or3_b32 v12, v14, v12, v11
.LBB41_376:
	s_or_b64 exec, exec, s[6:7]
	s_nop 0
	v_mfma_f32_16x16x4f32 a[0:3], v10, v12, a[0:3]
	s_movk_i32 s4, 0x7f
	v_cmp_gt_i16_sdwa s[6:7], v17, s4 src0_sel:BYTE_3 src1_sel:DWORD
	s_mov_b64 s[4:5], 0
                                        ; implicit-def: $sgpr10
	s_and_saveexec_b64 s[8:9], s[6:7]
	s_xor_b64 s[6:7], exec, s[8:9]
	s_cbranch_execnz .LBB41_2425
; %bb.377:
	s_or_saveexec_b64 s[6:7], s[6:7]
	v_mov_b32_e32 v10, s10
	s_xor_b64 exec, exec, s[6:7]
	s_cbranch_execnz .LBB41_2428
.LBB41_378:
	s_or_b64 exec, exec, s[6:7]
	s_and_saveexec_b64 s[6:7], s[4:5]
	s_cbranch_execz .LBB41_380
.LBB41_379:
	v_bfe_u32 v10, v17, 24, 3
	v_ffbh_u32_e32 v15, v10
	v_min_u32_e32 v15, 32, v15
	v_lshrrev_b32_e32 v12, 27, v17
	v_subrev_u32_e32 v16, 28, v15
	v_and_b32_e32 v12, 15, v12
	v_lshlrev_b32_sdwa v16, v16, v17 dst_sel:DWORD dst_unused:UNUSED_PAD src0_sel:DWORD src1_sel:BYTE_3
	v_bfe_u32 v14, v17, 27, 4
	v_sub_u32_e32 v15, 29, v15
	v_and_b32_e32 v16, 7, v16
	v_cmp_eq_u16_e32 vcc, 0, v12
	v_cndmask_b32_e32 v10, v10, v16, vcc
	v_cndmask_b32_e32 v12, v14, v15, vcc
	v_mov_b32_e32 v14, 0x3b800000
	v_and_b32_e32 v11, 0x80000000, v17
	v_lshlrev_b32_e32 v10, 20, v10
	v_lshl_add_u32 v12, v12, 23, v14
	v_or3_b32 v10, v11, v12, v10
.LBB41_380:
	s_or_b64 exec, exec, s[6:7]
	s_movk_i32 s4, 0x7f
	v_cmp_gt_i16_sdwa s[6:7], v13, s4 src0_sel:BYTE_3 src1_sel:DWORD
	s_mov_b64 s[4:5], 0
                                        ; implicit-def: $sgpr10
	s_and_saveexec_b64 s[8:9], s[6:7]
	s_xor_b64 s[6:7], exec, s[8:9]
	s_cbranch_execnz .LBB41_2429
; %bb.381:
	s_or_saveexec_b64 s[6:7], s[6:7]
	v_mov_b32_e32 v11, s10
	s_xor_b64 exec, exec, s[6:7]
	s_cbranch_execnz .LBB41_2432
.LBB41_382:
	s_or_b64 exec, exec, s[6:7]
	s_and_saveexec_b64 s[6:7], s[4:5]
	s_cbranch_execz .LBB41_384
.LBB41_383:
	v_bfe_u32 v11, v13, 24, 3
	v_ffbh_u32_e32 v16, v11
	v_min_u32_e32 v16, 32, v16
	v_lshrrev_b32_e32 v14, 27, v13
	v_subrev_u32_e32 v17, 28, v16
	v_and_b32_e32 v12, 0x80000000, v13
	v_and_b32_e32 v14, 15, v14
	v_bfe_u32 v15, v13, 27, 4
	v_lshlrev_b32_sdwa v13, v17, v13 dst_sel:DWORD dst_unused:UNUSED_PAD src0_sel:DWORD src1_sel:BYTE_3
	v_sub_u32_e32 v16, 29, v16
	v_and_b32_e32 v13, 7, v13
	v_cmp_eq_u16_e32 vcc, 0, v14
	v_cndmask_b32_e32 v11, v11, v13, vcc
	v_cndmask_b32_e32 v13, v15, v16, vcc
	v_mov_b32_e32 v14, 0x3b800000
	v_lshlrev_b32_e32 v11, 20, v11
	v_lshl_add_u32 v13, v13, 23, v14
	v_or3_b32 v11, v12, v13, v11
.LBB41_384:
	s_or_b64 exec, exec, s[6:7]
	s_nop 0
	v_mfma_f32_16x16x4f32 a[0:3], v10, v11, a[0:3]
	s_movk_i32 s4, 0x7f
	v_cmp_gt_i16_sdwa s[6:7], v6, s4 src0_sel:BYTE_0 src1_sel:DWORD
	s_mov_b64 s[4:5], 0
                                        ; implicit-def: $sgpr10
	s_and_saveexec_b64 s[8:9], s[6:7]
	s_xor_b64 s[6:7], exec, s[8:9]
	s_cbranch_execnz .LBB41_2433
; %bb.385:
	s_or_saveexec_b64 s[6:7], s[6:7]
	v_mov_b32_e32 v10, s10
	s_xor_b64 exec, exec, s[6:7]
	s_cbranch_execnz .LBB41_2436
.LBB41_386:
	s_or_b64 exec, exec, s[6:7]
	s_and_saveexec_b64 s[6:7], s[4:5]
	s_cbranch_execz .LBB41_388
.LBB41_387:
	v_and_b32_e32 v10, 7, v6
	v_ffbh_u32_e32 v12, v10
	v_min_u32_e32 v12, 32, v12
	v_lshrrev_b16_e32 v11, 3, v6
	v_subrev_u32_e32 v13, 28, v12
	v_and_b32_e32 v11, 15, v11
	v_lshlrev_b32_e32 v13, v13, v6
	v_sub_u32_e32 v12, 29, v12
	v_and_b32_e32 v13, 7, v13
	v_cmp_eq_u16_e32 vcc, 0, v11
	v_cndmask_b32_e32 v10, v10, v13, vcc
	v_cndmask_b32_e32 v11, v11, v12, vcc
	v_lshlrev_b32_e32 v12, 24, v6
	v_mov_b32_e32 v13, 0x3b800000
	v_lshlrev_b32_e32 v10, 20, v10
	v_and_b32_e32 v12, 0x80000000, v12
	v_lshl_add_u32 v11, v11, 23, v13
	v_or3_b32 v10, v12, v11, v10
.LBB41_388:
	s_or_b64 exec, exec, s[6:7]
	s_movk_i32 s4, 0x7f
	v_cmp_gt_i16_sdwa s[6:7], v2, s4 src0_sel:BYTE_0 src1_sel:DWORD
	s_mov_b64 s[4:5], 0
                                        ; implicit-def: $sgpr10
	s_and_saveexec_b64 s[8:9], s[6:7]
	s_xor_b64 s[6:7], exec, s[8:9]
	s_cbranch_execnz .LBB41_2437
; %bb.389:
	s_or_saveexec_b64 s[6:7], s[6:7]
	v_mov_b32_e32 v11, s10
	s_xor_b64 exec, exec, s[6:7]
	s_cbranch_execnz .LBB41_2440
.LBB41_390:
	s_or_b64 exec, exec, s[6:7]
	s_and_saveexec_b64 s[6:7], s[4:5]
	s_cbranch_execz .LBB41_392
.LBB41_391:
	v_and_b32_e32 v11, 7, v2
	v_ffbh_u32_e32 v13, v11
	v_min_u32_e32 v13, 32, v13
	v_lshrrev_b16_e32 v12, 3, v2
	v_subrev_u32_e32 v14, 28, v13
	v_and_b32_e32 v12, 15, v12
	v_lshlrev_b32_e32 v14, v14, v2
	v_sub_u32_e32 v13, 29, v13
	v_and_b32_e32 v14, 7, v14
	v_cmp_eq_u16_e32 vcc, 0, v12
	v_cndmask_b32_e32 v11, v11, v14, vcc
	v_cndmask_b32_e32 v12, v12, v13, vcc
	v_lshlrev_b32_e32 v13, 24, v2
	v_mov_b32_e32 v14, 0x3b800000
	v_lshlrev_b32_e32 v11, 20, v11
	v_and_b32_e32 v13, 0x80000000, v13
	v_lshl_add_u32 v12, v12, 23, v14
	v_or3_b32 v11, v13, v12, v11
.LBB41_392:
	s_or_b64 exec, exec, s[6:7]
	s_nop 0
	v_mfma_f32_16x16x4f32 a[0:3], v10, v11, a[0:3]
	v_lshrrev_b32_e32 v11, 8, v6
	s_movk_i32 s4, 0x7f
	v_cmp_gt_i16_sdwa s[6:7], v11, s4 src0_sel:BYTE_0 src1_sel:DWORD
	s_mov_b64 s[4:5], 0
                                        ; implicit-def: $sgpr10
	s_and_saveexec_b64 s[8:9], s[6:7]
	s_xor_b64 s[6:7], exec, s[8:9]
	s_cbranch_execnz .LBB41_2441
; %bb.393:
	s_or_saveexec_b64 s[6:7], s[6:7]
	v_mov_b32_e32 v10, s10
	s_xor_b64 exec, exec, s[6:7]
	s_cbranch_execnz .LBB41_2444
.LBB41_394:
	s_or_b64 exec, exec, s[6:7]
	s_and_saveexec_b64 s[6:7], s[4:5]
	s_cbranch_execz .LBB41_396
.LBB41_395:
	v_bfe_u32 v10, v6, 8, 3
	v_ffbh_u32_e32 v13, v10
	v_min_u32_e32 v13, 32, v13
	v_lshrrev_b16_e32 v12, 3, v11
	v_subrev_u32_e32 v14, 28, v13
	v_and_b32_e32 v12, 15, v12
	v_lshlrev_b32_e32 v11, v14, v11
	v_sub_u32_e32 v13, 29, v13
	v_and_b32_e32 v11, 7, v11
	v_cmp_eq_u16_e32 vcc, 0, v12
	v_cndmask_b32_e32 v10, v10, v11, vcc
	v_cndmask_b32_e32 v11, v12, v13, vcc
	v_lshlrev_b32_e32 v12, 16, v6
	v_mov_b32_e32 v13, 0x3b800000
	v_lshlrev_b32_e32 v10, 20, v10
	v_and_b32_e32 v12, 0x80000000, v12
	v_lshl_add_u32 v11, v11, 23, v13
	v_or3_b32 v10, v12, v11, v10
.LBB41_396:
	s_or_b64 exec, exec, s[6:7]
	v_lshrrev_b32_e32 v11, 8, v2
	s_movk_i32 s4, 0x7f
	v_cmp_gt_i16_sdwa s[6:7], v11, s4 src0_sel:BYTE_0 src1_sel:DWORD
	s_mov_b64 s[4:5], 0
                                        ; implicit-def: $sgpr10
	s_and_saveexec_b64 s[8:9], s[6:7]
	s_xor_b64 s[6:7], exec, s[8:9]
	s_cbranch_execnz .LBB41_2445
; %bb.397:
	s_or_saveexec_b64 s[6:7], s[6:7]
	v_mov_b32_e32 v12, s10
	s_xor_b64 exec, exec, s[6:7]
	s_cbranch_execnz .LBB41_2448
.LBB41_398:
	s_or_b64 exec, exec, s[6:7]
	s_and_saveexec_b64 s[6:7], s[4:5]
	s_cbranch_execz .LBB41_400
.LBB41_399:
	v_bfe_u32 v12, v2, 8, 3
	v_ffbh_u32_e32 v14, v12
	v_min_u32_e32 v14, 32, v14
	v_lshrrev_b16_e32 v13, 3, v11
	v_subrev_u32_e32 v15, 28, v14
	v_and_b32_e32 v13, 15, v13
	v_lshlrev_b32_e32 v11, v15, v11
	v_sub_u32_e32 v14, 29, v14
	v_and_b32_e32 v11, 7, v11
	v_cmp_eq_u16_e32 vcc, 0, v13
	v_cndmask_b32_e32 v11, v12, v11, vcc
	v_cndmask_b32_e32 v12, v13, v14, vcc
	v_lshlrev_b32_e32 v13, 16, v2
	v_mov_b32_e32 v14, 0x3b800000
	v_lshlrev_b32_e32 v11, 20, v11
	v_and_b32_e32 v13, 0x80000000, v13
	v_lshl_add_u32 v12, v12, 23, v14
	v_or3_b32 v12, v13, v12, v11
.LBB41_400:
	s_or_b64 exec, exec, s[6:7]
	s_nop 0
	v_mfma_f32_16x16x4f32 a[0:3], v10, v12, a[0:3]
	s_movk_i32 s4, 0xff
	v_and_b32_sdwa v11, v6, s4 dst_sel:DWORD dst_unused:UNUSED_PAD src0_sel:WORD_1 src1_sel:DWORD
	s_movk_i32 s4, 0x7f
	v_cmp_lt_i16_e32 vcc, s4, v11
	s_mov_b64 s[4:5], 0
                                        ; implicit-def: $sgpr10
	s_and_saveexec_b64 s[6:7], vcc
	s_xor_b64 s[6:7], exec, s[6:7]
	s_cbranch_execnz .LBB41_2449
; %bb.401:
	s_or_saveexec_b64 s[6:7], s[6:7]
	v_mov_b32_e32 v10, s10
	s_xor_b64 exec, exec, s[6:7]
	s_cbranch_execnz .LBB41_2452
.LBB41_402:
	s_or_b64 exec, exec, s[6:7]
	s_and_saveexec_b64 s[6:7], s[4:5]
	s_cbranch_execz .LBB41_404
.LBB41_403:
	v_bfe_u32 v10, v6, 16, 3
	v_ffbh_u32_e32 v13, v10
	v_min_u32_e32 v13, 32, v13
	v_lshrrev_b32_e32 v11, 19, v6
	v_subrev_u32_e32 v14, 28, v13
	v_and_b32_e32 v11, 15, v11
	v_lshlrev_b32_sdwa v14, v14, v6 dst_sel:DWORD dst_unused:UNUSED_PAD src0_sel:DWORD src1_sel:WORD_1
	v_bfe_u32 v12, v6, 19, 4
	v_sub_u32_e32 v13, 29, v13
	v_and_b32_e32 v14, 7, v14
	v_cmp_eq_u16_e32 vcc, 0, v11
	v_cndmask_b32_e32 v10, v10, v14, vcc
	v_cndmask_b32_e32 v11, v12, v13, vcc
	v_lshlrev_b32_e32 v12, 8, v6
	v_mov_b32_e32 v13, 0x3b800000
	v_lshlrev_b32_e32 v10, 20, v10
	v_and_b32_e32 v12, 0x80000000, v12
	v_lshl_add_u32 v11, v11, 23, v13
	v_or3_b32 v10, v12, v11, v10
.LBB41_404:
	s_or_b64 exec, exec, s[6:7]
	s_movk_i32 s4, 0xff
	v_and_b32_sdwa v11, v2, s4 dst_sel:DWORD dst_unused:UNUSED_PAD src0_sel:WORD_1 src1_sel:DWORD
	s_movk_i32 s4, 0x7f
	v_cmp_lt_i16_e32 vcc, s4, v11
	s_mov_b64 s[4:5], 0
                                        ; implicit-def: $sgpr10
	s_and_saveexec_b64 s[6:7], vcc
	s_xor_b64 s[6:7], exec, s[6:7]
	s_cbranch_execnz .LBB41_2453
; %bb.405:
	s_or_saveexec_b64 s[6:7], s[6:7]
	v_mov_b32_e32 v12, s10
	s_xor_b64 exec, exec, s[6:7]
	s_cbranch_execnz .LBB41_2456
.LBB41_406:
	s_or_b64 exec, exec, s[6:7]
	s_and_saveexec_b64 s[6:7], s[4:5]
	s_cbranch_execz .LBB41_408
.LBB41_407:
	v_bfe_u32 v11, v2, 16, 3
	v_ffbh_u32_e32 v14, v11
	v_min_u32_e32 v14, 32, v14
	v_lshrrev_b32_e32 v12, 19, v2
	v_subrev_u32_e32 v15, 28, v14
	v_and_b32_e32 v12, 15, v12
	v_lshlrev_b32_sdwa v15, v15, v2 dst_sel:DWORD dst_unused:UNUSED_PAD src0_sel:DWORD src1_sel:WORD_1
	v_bfe_u32 v13, v2, 19, 4
	v_sub_u32_e32 v14, 29, v14
	v_and_b32_e32 v15, 7, v15
	v_cmp_eq_u16_e32 vcc, 0, v12
	v_cndmask_b32_e32 v11, v11, v15, vcc
	v_cndmask_b32_e32 v12, v13, v14, vcc
	v_lshlrev_b32_e32 v13, 8, v2
	v_mov_b32_e32 v14, 0x3b800000
	v_lshlrev_b32_e32 v11, 20, v11
	v_and_b32_e32 v13, 0x80000000, v13
	v_lshl_add_u32 v12, v12, 23, v14
	v_or3_b32 v12, v13, v12, v11
.LBB41_408:
	s_or_b64 exec, exec, s[6:7]
	s_nop 0
	v_mfma_f32_16x16x4f32 a[0:3], v10, v12, a[0:3]
	s_movk_i32 s4, 0x7f
	v_cmp_gt_i16_sdwa s[6:7], v6, s4 src0_sel:BYTE_3 src1_sel:DWORD
	s_mov_b64 s[4:5], 0
                                        ; implicit-def: $sgpr10
	s_and_saveexec_b64 s[8:9], s[6:7]
	s_xor_b64 s[6:7], exec, s[8:9]
	s_cbranch_execnz .LBB41_2457
; %bb.409:
	s_or_saveexec_b64 s[6:7], s[6:7]
	v_mov_b32_e32 v10, s10
	s_xor_b64 exec, exec, s[6:7]
	s_cbranch_execnz .LBB41_2460
.LBB41_410:
	s_or_b64 exec, exec, s[6:7]
	s_and_saveexec_b64 s[6:7], s[4:5]
	s_cbranch_execz .LBB41_412
.LBB41_411:
	v_bfe_u32 v10, v6, 24, 3
	v_ffbh_u32_e32 v14, v10
	v_min_u32_e32 v14, 32, v14
	v_lshrrev_b32_e32 v12, 27, v6
	v_subrev_u32_e32 v15, 28, v14
	v_and_b32_e32 v11, 0x80000000, v6
	v_and_b32_e32 v12, 15, v12
	v_bfe_u32 v13, v6, 27, 4
	v_lshlrev_b32_sdwa v6, v15, v6 dst_sel:DWORD dst_unused:UNUSED_PAD src0_sel:DWORD src1_sel:BYTE_3
	v_sub_u32_e32 v14, 29, v14
	v_and_b32_e32 v6, 7, v6
	v_cmp_eq_u16_e32 vcc, 0, v12
	v_cndmask_b32_e32 v6, v10, v6, vcc
	v_cndmask_b32_e32 v10, v13, v14, vcc
	v_mov_b32_e32 v12, 0x3b800000
	v_lshlrev_b32_e32 v6, 20, v6
	v_lshl_add_u32 v10, v10, 23, v12
	v_or3_b32 v10, v11, v10, v6
.LBB41_412:
	s_or_b64 exec, exec, s[6:7]
	s_movk_i32 s4, 0x7f
	v_cmp_gt_i16_sdwa s[6:7], v2, s4 src0_sel:BYTE_3 src1_sel:DWORD
	s_mov_b64 s[4:5], 0
                                        ; implicit-def: $sgpr10
	s_and_saveexec_b64 s[8:9], s[6:7]
	s_xor_b64 s[6:7], exec, s[8:9]
	s_cbranch_execnz .LBB41_2461
; %bb.413:
	s_or_saveexec_b64 s[6:7], s[6:7]
	v_mov_b32_e32 v6, s10
	s_xor_b64 exec, exec, s[6:7]
	s_cbranch_execnz .LBB41_2464
.LBB41_414:
	s_or_b64 exec, exec, s[6:7]
	s_and_saveexec_b64 s[6:7], s[4:5]
	s_cbranch_execz .LBB41_416
.LBB41_415:
	v_bfe_u32 v6, v2, 24, 3
	v_ffbh_u32_e32 v14, v6
	v_min_u32_e32 v14, 32, v14
	v_lshrrev_b32_e32 v12, 27, v2
	v_subrev_u32_e32 v15, 28, v14
	v_and_b32_e32 v11, 0x80000000, v2
	v_and_b32_e32 v12, 15, v12
	v_bfe_u32 v13, v2, 27, 4
	v_lshlrev_b32_sdwa v2, v15, v2 dst_sel:DWORD dst_unused:UNUSED_PAD src0_sel:DWORD src1_sel:BYTE_3
	v_sub_u32_e32 v14, 29, v14
	v_and_b32_e32 v2, 7, v2
	v_cmp_eq_u16_e32 vcc, 0, v12
	v_cndmask_b32_e32 v2, v6, v2, vcc
	v_cndmask_b32_e32 v6, v13, v14, vcc
	v_mov_b32_e32 v12, 0x3b800000
	v_lshlrev_b32_e32 v2, 20, v2
	v_lshl_add_u32 v6, v6, 23, v12
	v_or3_b32 v6, v11, v6, v2
.LBB41_416:
	s_or_b64 exec, exec, s[6:7]
	s_nop 0
	v_mfma_f32_16x16x4f32 a[0:3], v10, v6, a[0:3]
	s_movk_i32 s4, 0x7f
	v_cmp_gt_i16_sdwa s[6:7], v7, s4 src0_sel:BYTE_0 src1_sel:DWORD
	s_mov_b64 s[4:5], 0
                                        ; implicit-def: $sgpr10
	s_and_saveexec_b64 s[8:9], s[6:7]
	s_xor_b64 s[6:7], exec, s[8:9]
	s_cbranch_execnz .LBB41_2465
; %bb.417:
	s_or_saveexec_b64 s[6:7], s[6:7]
	v_mov_b32_e32 v2, s10
	s_xor_b64 exec, exec, s[6:7]
	s_cbranch_execnz .LBB41_2468
.LBB41_418:
	s_or_b64 exec, exec, s[6:7]
	s_and_saveexec_b64 s[6:7], s[4:5]
	s_cbranch_execz .LBB41_420
.LBB41_419:
	v_and_b32_e32 v2, 7, v7
	v_ffbh_u32_e32 v10, v2
	v_min_u32_e32 v10, 32, v10
	v_lshrrev_b16_e32 v6, 3, v7
	v_subrev_u32_e32 v11, 28, v10
	v_and_b32_e32 v6, 15, v6
	v_lshlrev_b32_e32 v11, v11, v7
	v_sub_u32_e32 v10, 29, v10
	v_and_b32_e32 v11, 7, v11
	v_cmp_eq_u16_e32 vcc, 0, v6
	v_cndmask_b32_e32 v2, v2, v11, vcc
	v_cndmask_b32_e32 v6, v6, v10, vcc
	v_lshlrev_b32_e32 v10, 24, v7
	v_mov_b32_e32 v11, 0x3b800000
	v_lshlrev_b32_e32 v2, 20, v2
	v_and_b32_e32 v10, 0x80000000, v10
	v_lshl_add_u32 v6, v6, 23, v11
	v_or3_b32 v2, v10, v6, v2
.LBB41_420:
	s_or_b64 exec, exec, s[6:7]
	s_movk_i32 s4, 0x7f
	v_cmp_gt_i16_sdwa s[6:7], v3, s4 src0_sel:BYTE_0 src1_sel:DWORD
	s_mov_b64 s[4:5], 0
                                        ; implicit-def: $sgpr10
	s_and_saveexec_b64 s[8:9], s[6:7]
	s_xor_b64 s[6:7], exec, s[8:9]
	s_cbranch_execnz .LBB41_2469
; %bb.421:
	s_or_saveexec_b64 s[6:7], s[6:7]
	v_mov_b32_e32 v6, s10
	s_xor_b64 exec, exec, s[6:7]
	s_cbranch_execnz .LBB41_2472
.LBB41_422:
	s_or_b64 exec, exec, s[6:7]
	s_and_saveexec_b64 s[6:7], s[4:5]
	s_cbranch_execz .LBB41_424
.LBB41_423:
	v_and_b32_e32 v6, 7, v3
	v_ffbh_u32_e32 v11, v6
	v_min_u32_e32 v11, 32, v11
	v_lshrrev_b16_e32 v10, 3, v3
	v_subrev_u32_e32 v12, 28, v11
	v_and_b32_e32 v10, 15, v10
	v_lshlrev_b32_e32 v12, v12, v3
	v_sub_u32_e32 v11, 29, v11
	v_and_b32_e32 v12, 7, v12
	v_cmp_eq_u16_e32 vcc, 0, v10
	v_cndmask_b32_e32 v6, v6, v12, vcc
	v_cndmask_b32_e32 v10, v10, v11, vcc
	v_lshlrev_b32_e32 v11, 24, v3
	v_mov_b32_e32 v12, 0x3b800000
	v_lshlrev_b32_e32 v6, 20, v6
	v_and_b32_e32 v11, 0x80000000, v11
	v_lshl_add_u32 v10, v10, 23, v12
	v_or3_b32 v6, v11, v10, v6
.LBB41_424:
	s_or_b64 exec, exec, s[6:7]
	s_nop 0
	v_mfma_f32_16x16x4f32 a[0:3], v2, v6, a[0:3]
	v_lshrrev_b32_e32 v6, 8, v7
	s_movk_i32 s4, 0x7f
	v_cmp_gt_i16_sdwa s[6:7], v6, s4 src0_sel:BYTE_0 src1_sel:DWORD
	s_mov_b64 s[4:5], 0
                                        ; implicit-def: $sgpr10
	s_and_saveexec_b64 s[8:9], s[6:7]
	s_xor_b64 s[6:7], exec, s[8:9]
	s_cbranch_execnz .LBB41_2473
; %bb.425:
	s_or_saveexec_b64 s[6:7], s[6:7]
	v_mov_b32_e32 v2, s10
	s_xor_b64 exec, exec, s[6:7]
	s_cbranch_execnz .LBB41_2476
.LBB41_426:
	s_or_b64 exec, exec, s[6:7]
	s_and_saveexec_b64 s[6:7], s[4:5]
	s_cbranch_execz .LBB41_428
.LBB41_427:
	v_bfe_u32 v2, v7, 8, 3
	v_ffbh_u32_e32 v11, v2
	v_min_u32_e32 v11, 32, v11
	v_lshrrev_b16_e32 v10, 3, v6
	v_subrev_u32_e32 v12, 28, v11
	v_and_b32_e32 v10, 15, v10
	v_lshlrev_b32_e32 v6, v12, v6
	v_sub_u32_e32 v11, 29, v11
	v_and_b32_e32 v6, 7, v6
	v_cmp_eq_u16_e32 vcc, 0, v10
	v_cndmask_b32_e32 v2, v2, v6, vcc
	v_cndmask_b32_e32 v6, v10, v11, vcc
	v_lshlrev_b32_e32 v10, 16, v7
	v_mov_b32_e32 v11, 0x3b800000
	v_lshlrev_b32_e32 v2, 20, v2
	v_and_b32_e32 v10, 0x80000000, v10
	v_lshl_add_u32 v6, v6, 23, v11
	v_or3_b32 v2, v10, v6, v2
.LBB41_428:
	s_or_b64 exec, exec, s[6:7]
	v_lshrrev_b32_e32 v6, 8, v3
	s_movk_i32 s4, 0x7f
	v_cmp_gt_i16_sdwa s[6:7], v6, s4 src0_sel:BYTE_0 src1_sel:DWORD
	s_mov_b64 s[4:5], 0
                                        ; implicit-def: $sgpr10
	s_and_saveexec_b64 s[8:9], s[6:7]
	s_xor_b64 s[6:7], exec, s[8:9]
	s_cbranch_execnz .LBB41_2477
; %bb.429:
	s_or_saveexec_b64 s[6:7], s[6:7]
	v_mov_b32_e32 v10, s10
	s_xor_b64 exec, exec, s[6:7]
	s_cbranch_execnz .LBB41_2480
.LBB41_430:
	s_or_b64 exec, exec, s[6:7]
	s_and_saveexec_b64 s[6:7], s[4:5]
	s_cbranch_execz .LBB41_432
.LBB41_431:
	v_bfe_u32 v10, v3, 8, 3
	v_ffbh_u32_e32 v12, v10
	v_min_u32_e32 v12, 32, v12
	v_lshrrev_b16_e32 v11, 3, v6
	v_subrev_u32_e32 v13, 28, v12
	v_and_b32_e32 v11, 15, v11
	v_lshlrev_b32_e32 v6, v13, v6
	v_sub_u32_e32 v12, 29, v12
	v_and_b32_e32 v6, 7, v6
	v_cmp_eq_u16_e32 vcc, 0, v11
	v_cndmask_b32_e32 v6, v10, v6, vcc
	v_cndmask_b32_e32 v10, v11, v12, vcc
	v_lshlrev_b32_e32 v11, 16, v3
	v_mov_b32_e32 v12, 0x3b800000
	v_lshlrev_b32_e32 v6, 20, v6
	v_and_b32_e32 v11, 0x80000000, v11
	v_lshl_add_u32 v10, v10, 23, v12
	v_or3_b32 v10, v11, v10, v6
.LBB41_432:
	s_or_b64 exec, exec, s[6:7]
	s_nop 0
	v_mfma_f32_16x16x4f32 a[0:3], v2, v10, a[0:3]
	s_movk_i32 s4, 0xff
	v_and_b32_sdwa v6, v7, s4 dst_sel:DWORD dst_unused:UNUSED_PAD src0_sel:WORD_1 src1_sel:DWORD
	s_movk_i32 s4, 0x7f
	v_cmp_lt_i16_e32 vcc, s4, v6
	s_mov_b64 s[4:5], 0
                                        ; implicit-def: $sgpr10
	s_and_saveexec_b64 s[6:7], vcc
	s_xor_b64 s[6:7], exec, s[6:7]
	s_cbranch_execnz .LBB41_2481
; %bb.433:
	s_or_saveexec_b64 s[6:7], s[6:7]
	v_mov_b32_e32 v2, s10
	s_xor_b64 exec, exec, s[6:7]
	s_cbranch_execnz .LBB41_2484
.LBB41_434:
	s_or_b64 exec, exec, s[6:7]
	s_and_saveexec_b64 s[6:7], s[4:5]
	s_cbranch_execz .LBB41_436
.LBB41_435:
	v_bfe_u32 v2, v7, 16, 3
	v_ffbh_u32_e32 v11, v2
	v_min_u32_e32 v11, 32, v11
	v_lshrrev_b32_e32 v6, 19, v7
	v_subrev_u32_e32 v12, 28, v11
	v_and_b32_e32 v6, 15, v6
	v_lshlrev_b32_sdwa v12, v12, v7 dst_sel:DWORD dst_unused:UNUSED_PAD src0_sel:DWORD src1_sel:WORD_1
	v_bfe_u32 v10, v7, 19, 4
	v_sub_u32_e32 v11, 29, v11
	v_and_b32_e32 v12, 7, v12
	v_cmp_eq_u16_e32 vcc, 0, v6
	v_cndmask_b32_e32 v2, v2, v12, vcc
	v_cndmask_b32_e32 v6, v10, v11, vcc
	v_lshlrev_b32_e32 v10, 8, v7
	v_mov_b32_e32 v11, 0x3b800000
	v_lshlrev_b32_e32 v2, 20, v2
	v_and_b32_e32 v10, 0x80000000, v10
	v_lshl_add_u32 v6, v6, 23, v11
	v_or3_b32 v2, v10, v6, v2
.LBB41_436:
	s_or_b64 exec, exec, s[6:7]
	s_movk_i32 s4, 0xff
	v_and_b32_sdwa v6, v3, s4 dst_sel:DWORD dst_unused:UNUSED_PAD src0_sel:WORD_1 src1_sel:DWORD
	s_movk_i32 s4, 0x7f
	v_cmp_lt_i16_e32 vcc, s4, v6
	s_mov_b64 s[4:5], 0
                                        ; implicit-def: $sgpr10
	s_and_saveexec_b64 s[6:7], vcc
	s_xor_b64 s[6:7], exec, s[6:7]
	s_cbranch_execnz .LBB41_2485
; %bb.437:
	s_or_saveexec_b64 s[6:7], s[6:7]
	v_mov_b32_e32 v10, s10
	s_xor_b64 exec, exec, s[6:7]
	s_cbranch_execnz .LBB41_2488
.LBB41_438:
	s_or_b64 exec, exec, s[6:7]
	s_and_saveexec_b64 s[6:7], s[4:5]
	s_cbranch_execz .LBB41_440
.LBB41_439:
	v_bfe_u32 v6, v3, 16, 3
	v_ffbh_u32_e32 v12, v6
	v_min_u32_e32 v12, 32, v12
	v_lshrrev_b32_e32 v10, 19, v3
	v_subrev_u32_e32 v13, 28, v12
	v_and_b32_e32 v10, 15, v10
	v_lshlrev_b32_sdwa v13, v13, v3 dst_sel:DWORD dst_unused:UNUSED_PAD src0_sel:DWORD src1_sel:WORD_1
	v_bfe_u32 v11, v3, 19, 4
	v_sub_u32_e32 v12, 29, v12
	v_and_b32_e32 v13, 7, v13
	v_cmp_eq_u16_e32 vcc, 0, v10
	v_cndmask_b32_e32 v6, v6, v13, vcc
	v_cndmask_b32_e32 v10, v11, v12, vcc
	v_lshlrev_b32_e32 v11, 8, v3
	v_mov_b32_e32 v12, 0x3b800000
	v_lshlrev_b32_e32 v6, 20, v6
	v_and_b32_e32 v11, 0x80000000, v11
	v_lshl_add_u32 v10, v10, 23, v12
	v_or3_b32 v10, v11, v10, v6
.LBB41_440:
	s_or_b64 exec, exec, s[6:7]
	s_nop 0
	v_mfma_f32_16x16x4f32 a[0:3], v2, v10, a[0:3]
	s_movk_i32 s4, 0x7f
	v_cmp_gt_i16_sdwa s[6:7], v7, s4 src0_sel:BYTE_3 src1_sel:DWORD
	s_mov_b64 s[4:5], 0
                                        ; implicit-def: $sgpr10
	s_and_saveexec_b64 s[8:9], s[6:7]
	s_xor_b64 s[6:7], exec, s[8:9]
	s_cbranch_execnz .LBB41_2489
; %bb.441:
	s_or_saveexec_b64 s[6:7], s[6:7]
	v_mov_b32_e32 v2, s10
	s_xor_b64 exec, exec, s[6:7]
	s_cbranch_execnz .LBB41_2492
.LBB41_442:
	s_or_b64 exec, exec, s[6:7]
	s_and_saveexec_b64 s[6:7], s[4:5]
	s_cbranch_execz .LBB41_444
.LBB41_443:
	v_bfe_u32 v2, v7, 24, 3
	v_ffbh_u32_e32 v12, v2
	v_min_u32_e32 v12, 32, v12
	v_lshrrev_b32_e32 v10, 27, v7
	v_subrev_u32_e32 v13, 28, v12
	v_and_b32_e32 v6, 0x80000000, v7
	v_and_b32_e32 v10, 15, v10
	v_bfe_u32 v11, v7, 27, 4
	v_lshlrev_b32_sdwa v7, v13, v7 dst_sel:DWORD dst_unused:UNUSED_PAD src0_sel:DWORD src1_sel:BYTE_3
	v_sub_u32_e32 v12, 29, v12
	v_and_b32_e32 v7, 7, v7
	v_cmp_eq_u16_e32 vcc, 0, v10
	v_cndmask_b32_e32 v2, v2, v7, vcc
	v_cndmask_b32_e32 v7, v11, v12, vcc
	v_mov_b32_e32 v10, 0x3b800000
	v_lshlrev_b32_e32 v2, 20, v2
	v_lshl_add_u32 v7, v7, 23, v10
	v_or3_b32 v2, v6, v7, v2
.LBB41_444:
	s_or_b64 exec, exec, s[6:7]
	s_movk_i32 s4, 0x7f
	v_cmp_gt_i16_sdwa s[6:7], v3, s4 src0_sel:BYTE_3 src1_sel:DWORD
	s_mov_b64 s[4:5], 0
                                        ; implicit-def: $sgpr10
	s_and_saveexec_b64 s[8:9], s[6:7]
	s_xor_b64 s[6:7], exec, s[8:9]
	s_cbranch_execnz .LBB41_2493
; %bb.445:
	s_or_saveexec_b64 s[6:7], s[6:7]
	v_mov_b32_e32 v6, s10
	s_xor_b64 exec, exec, s[6:7]
	s_cbranch_execnz .LBB41_2496
.LBB41_446:
	s_or_b64 exec, exec, s[6:7]
	s_and_saveexec_b64 s[6:7], s[4:5]
	s_cbranch_execz .LBB41_448
.LBB41_447:
	v_bfe_u32 v6, v3, 24, 3
	v_ffbh_u32_e32 v12, v6
	v_min_u32_e32 v12, 32, v12
	v_lshrrev_b32_e32 v10, 27, v3
	v_subrev_u32_e32 v13, 28, v12
	v_and_b32_e32 v7, 0x80000000, v3
	v_and_b32_e32 v10, 15, v10
	v_bfe_u32 v11, v3, 27, 4
	v_lshlrev_b32_sdwa v3, v13, v3 dst_sel:DWORD dst_unused:UNUSED_PAD src0_sel:DWORD src1_sel:BYTE_3
	v_sub_u32_e32 v12, 29, v12
	v_and_b32_e32 v3, 7, v3
	v_cmp_eq_u16_e32 vcc, 0, v10
	v_cndmask_b32_e32 v3, v6, v3, vcc
	v_cndmask_b32_e32 v6, v11, v12, vcc
	v_mov_b32_e32 v10, 0x3b800000
	v_lshlrev_b32_e32 v3, 20, v3
	v_lshl_add_u32 v6, v6, 23, v10
	v_or3_b32 v6, v7, v6, v3
.LBB41_448:
	s_or_b64 exec, exec, s[6:7]
	s_nop 0
	v_mfma_f32_16x16x4f32 a[0:3], v2, v6, a[0:3]
	s_movk_i32 s4, 0x7f
	v_cmp_gt_i16_sdwa s[6:7], v8, s4 src0_sel:BYTE_0 src1_sel:DWORD
	s_mov_b64 s[4:5], 0
                                        ; implicit-def: $sgpr10
	s_and_saveexec_b64 s[8:9], s[6:7]
	s_xor_b64 s[6:7], exec, s[8:9]
	s_cbranch_execnz .LBB41_2497
; %bb.449:
	s_or_saveexec_b64 s[6:7], s[6:7]
	v_mov_b32_e32 v2, s10
	s_xor_b64 exec, exec, s[6:7]
	s_cbranch_execnz .LBB41_2500
.LBB41_450:
	s_or_b64 exec, exec, s[6:7]
	s_and_saveexec_b64 s[6:7], s[4:5]
	s_cbranch_execz .LBB41_452
.LBB41_451:
	v_and_b32_e32 v2, 7, v8
	v_ffbh_u32_e32 v6, v2
	v_min_u32_e32 v6, 32, v6
	v_lshrrev_b16_e32 v3, 3, v8
	v_subrev_u32_e32 v7, 28, v6
	v_and_b32_e32 v3, 15, v3
	v_lshlrev_b32_e32 v7, v7, v8
	v_sub_u32_e32 v6, 29, v6
	v_and_b32_e32 v7, 7, v7
	v_cmp_eq_u16_e32 vcc, 0, v3
	v_cndmask_b32_e32 v2, v2, v7, vcc
	v_cndmask_b32_e32 v3, v3, v6, vcc
	v_lshlrev_b32_e32 v6, 24, v8
	v_mov_b32_e32 v7, 0x3b800000
	v_lshlrev_b32_e32 v2, 20, v2
	v_and_b32_e32 v6, 0x80000000, v6
	v_lshl_add_u32 v3, v3, 23, v7
	v_or3_b32 v2, v6, v3, v2
.LBB41_452:
	s_or_b64 exec, exec, s[6:7]
	s_movk_i32 s4, 0x7f
	v_cmp_gt_i16_sdwa s[6:7], v4, s4 src0_sel:BYTE_0 src1_sel:DWORD
	s_mov_b64 s[4:5], 0
                                        ; implicit-def: $sgpr10
	s_and_saveexec_b64 s[8:9], s[6:7]
	s_xor_b64 s[6:7], exec, s[8:9]
	s_cbranch_execnz .LBB41_2501
; %bb.453:
	s_or_saveexec_b64 s[6:7], s[6:7]
	v_mov_b32_e32 v3, s10
	s_xor_b64 exec, exec, s[6:7]
	s_cbranch_execnz .LBB41_2504
.LBB41_454:
	s_or_b64 exec, exec, s[6:7]
	s_and_saveexec_b64 s[6:7], s[4:5]
	s_cbranch_execz .LBB41_456
.LBB41_455:
	v_and_b32_e32 v3, 7, v4
	v_ffbh_u32_e32 v7, v3
	v_min_u32_e32 v7, 32, v7
	v_lshrrev_b16_e32 v6, 3, v4
	v_subrev_u32_e32 v10, 28, v7
	v_and_b32_e32 v6, 15, v6
	v_lshlrev_b32_e32 v10, v10, v4
	v_sub_u32_e32 v7, 29, v7
	v_and_b32_e32 v10, 7, v10
	v_cmp_eq_u16_e32 vcc, 0, v6
	v_cndmask_b32_e32 v3, v3, v10, vcc
	v_cndmask_b32_e32 v6, v6, v7, vcc
	v_lshlrev_b32_e32 v7, 24, v4
	v_mov_b32_e32 v10, 0x3b800000
	v_lshlrev_b32_e32 v3, 20, v3
	v_and_b32_e32 v7, 0x80000000, v7
	v_lshl_add_u32 v6, v6, 23, v10
	v_or3_b32 v3, v7, v6, v3
.LBB41_456:
	s_or_b64 exec, exec, s[6:7]
	s_nop 0
	v_mfma_f32_16x16x4f32 a[0:3], v2, v3, a[0:3]
	v_lshrrev_b32_e32 v3, 8, v8
	s_movk_i32 s4, 0x7f
	v_cmp_gt_i16_sdwa s[6:7], v3, s4 src0_sel:BYTE_0 src1_sel:DWORD
	s_mov_b64 s[4:5], 0
                                        ; implicit-def: $sgpr10
	s_and_saveexec_b64 s[8:9], s[6:7]
	s_xor_b64 s[6:7], exec, s[8:9]
	s_cbranch_execnz .LBB41_2505
; %bb.457:
	s_or_saveexec_b64 s[6:7], s[6:7]
	v_mov_b32_e32 v2, s10
	s_xor_b64 exec, exec, s[6:7]
	s_cbranch_execnz .LBB41_2508
.LBB41_458:
	s_or_b64 exec, exec, s[6:7]
	s_and_saveexec_b64 s[6:7], s[4:5]
	s_cbranch_execz .LBB41_460
.LBB41_459:
	v_bfe_u32 v2, v8, 8, 3
	v_ffbh_u32_e32 v7, v2
	v_min_u32_e32 v7, 32, v7
	v_lshrrev_b16_e32 v6, 3, v3
	v_subrev_u32_e32 v10, 28, v7
	v_and_b32_e32 v6, 15, v6
	v_lshlrev_b32_e32 v3, v10, v3
	v_sub_u32_e32 v7, 29, v7
	v_and_b32_e32 v3, 7, v3
	v_cmp_eq_u16_e32 vcc, 0, v6
	v_cndmask_b32_e32 v2, v2, v3, vcc
	v_cndmask_b32_e32 v3, v6, v7, vcc
	v_lshlrev_b32_e32 v6, 16, v8
	v_mov_b32_e32 v7, 0x3b800000
	v_lshlrev_b32_e32 v2, 20, v2
	v_and_b32_e32 v6, 0x80000000, v6
	v_lshl_add_u32 v3, v3, 23, v7
	v_or3_b32 v2, v6, v3, v2
.LBB41_460:
	s_or_b64 exec, exec, s[6:7]
	v_lshrrev_b32_e32 v3, 8, v4
	s_movk_i32 s4, 0x7f
	v_cmp_gt_i16_sdwa s[6:7], v3, s4 src0_sel:BYTE_0 src1_sel:DWORD
	s_mov_b64 s[4:5], 0
                                        ; implicit-def: $sgpr10
	s_and_saveexec_b64 s[8:9], s[6:7]
	s_xor_b64 s[6:7], exec, s[8:9]
	s_cbranch_execnz .LBB41_2509
; %bb.461:
	s_or_saveexec_b64 s[6:7], s[6:7]
	v_mov_b32_e32 v6, s10
	s_xor_b64 exec, exec, s[6:7]
	s_cbranch_execnz .LBB41_2512
.LBB41_462:
	s_or_b64 exec, exec, s[6:7]
	s_and_saveexec_b64 s[6:7], s[4:5]
	s_cbranch_execz .LBB41_464
.LBB41_463:
	v_bfe_u32 v6, v4, 8, 3
	v_ffbh_u32_e32 v10, v6
	v_min_u32_e32 v10, 32, v10
	v_lshrrev_b16_e32 v7, 3, v3
	v_subrev_u32_e32 v11, 28, v10
	v_and_b32_e32 v7, 15, v7
	v_lshlrev_b32_e32 v3, v11, v3
	v_sub_u32_e32 v10, 29, v10
	v_and_b32_e32 v3, 7, v3
	v_cmp_eq_u16_e32 vcc, 0, v7
	v_cndmask_b32_e32 v3, v6, v3, vcc
	v_cndmask_b32_e32 v6, v7, v10, vcc
	v_lshlrev_b32_e32 v7, 16, v4
	v_mov_b32_e32 v10, 0x3b800000
	v_lshlrev_b32_e32 v3, 20, v3
	v_and_b32_e32 v7, 0x80000000, v7
	v_lshl_add_u32 v6, v6, 23, v10
	v_or3_b32 v6, v7, v6, v3
.LBB41_464:
	s_or_b64 exec, exec, s[6:7]
	s_nop 0
	v_mfma_f32_16x16x4f32 a[0:3], v2, v6, a[0:3]
	s_movk_i32 s4, 0xff
	v_and_b32_sdwa v3, v8, s4 dst_sel:DWORD dst_unused:UNUSED_PAD src0_sel:WORD_1 src1_sel:DWORD
	s_movk_i32 s4, 0x7f
	v_cmp_lt_i16_e32 vcc, s4, v3
	s_mov_b64 s[4:5], 0
                                        ; implicit-def: $sgpr10
	s_and_saveexec_b64 s[6:7], vcc
	s_xor_b64 s[6:7], exec, s[6:7]
	s_cbranch_execnz .LBB41_2513
; %bb.465:
	s_or_saveexec_b64 s[6:7], s[6:7]
	v_mov_b32_e32 v2, s10
	s_xor_b64 exec, exec, s[6:7]
	s_cbranch_execnz .LBB41_2516
.LBB41_466:
	s_or_b64 exec, exec, s[6:7]
	s_and_saveexec_b64 s[6:7], s[4:5]
	s_cbranch_execz .LBB41_468
.LBB41_467:
	v_bfe_u32 v2, v8, 16, 3
	v_ffbh_u32_e32 v7, v2
	v_min_u32_e32 v7, 32, v7
	v_lshrrev_b32_e32 v3, 19, v8
	v_subrev_u32_e32 v10, 28, v7
	v_and_b32_e32 v3, 15, v3
	v_lshlrev_b32_sdwa v10, v10, v8 dst_sel:DWORD dst_unused:UNUSED_PAD src0_sel:DWORD src1_sel:WORD_1
	v_bfe_u32 v6, v8, 19, 4
	v_sub_u32_e32 v7, 29, v7
	v_and_b32_e32 v10, 7, v10
	v_cmp_eq_u16_e32 vcc, 0, v3
	v_cndmask_b32_e32 v2, v2, v10, vcc
	v_cndmask_b32_e32 v3, v6, v7, vcc
	v_lshlrev_b32_e32 v6, 8, v8
	v_mov_b32_e32 v7, 0x3b800000
	v_lshlrev_b32_e32 v2, 20, v2
	v_and_b32_e32 v6, 0x80000000, v6
	v_lshl_add_u32 v3, v3, 23, v7
	v_or3_b32 v2, v6, v3, v2
.LBB41_468:
	s_or_b64 exec, exec, s[6:7]
	s_movk_i32 s4, 0xff
	v_and_b32_sdwa v3, v4, s4 dst_sel:DWORD dst_unused:UNUSED_PAD src0_sel:WORD_1 src1_sel:DWORD
	s_movk_i32 s4, 0x7f
	v_cmp_lt_i16_e32 vcc, s4, v3
	s_mov_b64 s[4:5], 0
                                        ; implicit-def: $sgpr10
	s_and_saveexec_b64 s[6:7], vcc
	s_xor_b64 s[6:7], exec, s[6:7]
	s_cbranch_execnz .LBB41_2517
; %bb.469:
	s_or_saveexec_b64 s[6:7], s[6:7]
	v_mov_b32_e32 v6, s10
	s_xor_b64 exec, exec, s[6:7]
	s_cbranch_execnz .LBB41_2520
.LBB41_470:
	s_or_b64 exec, exec, s[6:7]
	s_and_saveexec_b64 s[6:7], s[4:5]
	s_cbranch_execz .LBB41_472
.LBB41_471:
	v_bfe_u32 v3, v4, 16, 3
	v_ffbh_u32_e32 v10, v3
	v_min_u32_e32 v10, 32, v10
	v_lshrrev_b32_e32 v6, 19, v4
	v_subrev_u32_e32 v11, 28, v10
	v_and_b32_e32 v6, 15, v6
	v_lshlrev_b32_sdwa v11, v11, v4 dst_sel:DWORD dst_unused:UNUSED_PAD src0_sel:DWORD src1_sel:WORD_1
	v_bfe_u32 v7, v4, 19, 4
	v_sub_u32_e32 v10, 29, v10
	v_and_b32_e32 v11, 7, v11
	v_cmp_eq_u16_e32 vcc, 0, v6
	v_cndmask_b32_e32 v3, v3, v11, vcc
	v_cndmask_b32_e32 v6, v7, v10, vcc
	v_lshlrev_b32_e32 v7, 8, v4
	v_mov_b32_e32 v10, 0x3b800000
	v_lshlrev_b32_e32 v3, 20, v3
	v_and_b32_e32 v7, 0x80000000, v7
	v_lshl_add_u32 v6, v6, 23, v10
	v_or3_b32 v6, v7, v6, v3
.LBB41_472:
	s_or_b64 exec, exec, s[6:7]
	s_nop 0
	v_mfma_f32_16x16x4f32 a[0:3], v2, v6, a[0:3]
	s_movk_i32 s4, 0x7f
	v_cmp_gt_i16_sdwa s[6:7], v8, s4 src0_sel:BYTE_3 src1_sel:DWORD
	s_mov_b64 s[4:5], 0
                                        ; implicit-def: $sgpr10
	s_and_saveexec_b64 s[8:9], s[6:7]
	s_xor_b64 s[6:7], exec, s[8:9]
	s_cbranch_execnz .LBB41_2521
; %bb.473:
	s_or_saveexec_b64 s[6:7], s[6:7]
	v_mov_b32_e32 v2, s10
	s_xor_b64 exec, exec, s[6:7]
	s_cbranch_execnz .LBB41_2524
.LBB41_474:
	s_or_b64 exec, exec, s[6:7]
	s_and_saveexec_b64 s[6:7], s[4:5]
	s_cbranch_execz .LBB41_476
.LBB41_475:
	v_bfe_u32 v2, v8, 24, 3
	v_ffbh_u32_e32 v10, v2
	v_min_u32_e32 v10, 32, v10
	v_lshrrev_b32_e32 v6, 27, v8
	v_subrev_u32_e32 v11, 28, v10
	v_and_b32_e32 v3, 0x80000000, v8
	v_and_b32_e32 v6, 15, v6
	v_bfe_u32 v7, v8, 27, 4
	v_lshlrev_b32_sdwa v8, v11, v8 dst_sel:DWORD dst_unused:UNUSED_PAD src0_sel:DWORD src1_sel:BYTE_3
	v_sub_u32_e32 v10, 29, v10
	v_and_b32_e32 v8, 7, v8
	v_cmp_eq_u16_e32 vcc, 0, v6
	v_cndmask_b32_e32 v2, v2, v8, vcc
	v_cndmask_b32_e32 v6, v7, v10, vcc
	v_mov_b32_e32 v7, 0x3b800000
	v_lshlrev_b32_e32 v2, 20, v2
	v_lshl_add_u32 v6, v6, 23, v7
	v_or3_b32 v2, v3, v6, v2
.LBB41_476:
	s_or_b64 exec, exec, s[6:7]
	s_movk_i32 s4, 0x7f
	v_cmp_gt_i16_sdwa s[6:7], v4, s4 src0_sel:BYTE_3 src1_sel:DWORD
	s_mov_b64 s[4:5], 0
                                        ; implicit-def: $sgpr10
	s_and_saveexec_b64 s[8:9], s[6:7]
	s_xor_b64 s[6:7], exec, s[8:9]
	s_cbranch_execnz .LBB41_2525
; %bb.477:
	s_or_saveexec_b64 s[6:7], s[6:7]
	v_mov_b32_e32 v3, s10
	s_xor_b64 exec, exec, s[6:7]
	s_cbranch_execnz .LBB41_2528
.LBB41_478:
	s_or_b64 exec, exec, s[6:7]
	s_and_saveexec_b64 s[6:7], s[4:5]
	s_cbranch_execz .LBB41_480
.LBB41_479:
	v_bfe_u32 v3, v4, 24, 3
	v_ffbh_u32_e32 v10, v3
	v_min_u32_e32 v10, 32, v10
	v_lshrrev_b32_e32 v7, 27, v4
	v_subrev_u32_e32 v11, 28, v10
	v_and_b32_e32 v6, 0x80000000, v4
	v_and_b32_e32 v7, 15, v7
	v_bfe_u32 v8, v4, 27, 4
	v_lshlrev_b32_sdwa v4, v11, v4 dst_sel:DWORD dst_unused:UNUSED_PAD src0_sel:DWORD src1_sel:BYTE_3
	v_sub_u32_e32 v10, 29, v10
	v_and_b32_e32 v4, 7, v4
	v_cmp_eq_u16_e32 vcc, 0, v7
	v_cndmask_b32_e32 v3, v3, v4, vcc
	v_cndmask_b32_e32 v4, v8, v10, vcc
	v_mov_b32_e32 v7, 0x3b800000
	v_lshlrev_b32_e32 v3, 20, v3
	v_lshl_add_u32 v4, v4, 23, v7
	v_or3_b32 v3, v6, v4, v3
.LBB41_480:
	s_or_b64 exec, exec, s[6:7]
	s_nop 0
	v_mfma_f32_16x16x4f32 a[0:3], v2, v3, a[0:3]
	s_movk_i32 s4, 0x7f
	v_cmp_gt_i16_sdwa s[6:7], v9, s4 src0_sel:BYTE_0 src1_sel:DWORD
	s_mov_b64 s[4:5], 0
                                        ; implicit-def: $sgpr10
	s_and_saveexec_b64 s[8:9], s[6:7]
	s_xor_b64 s[6:7], exec, s[8:9]
	s_cbranch_execnz .LBB41_2529
; %bb.481:
	s_or_saveexec_b64 s[6:7], s[6:7]
	v_mov_b32_e32 v2, s10
	s_xor_b64 exec, exec, s[6:7]
	s_cbranch_execnz .LBB41_2532
.LBB41_482:
	s_or_b64 exec, exec, s[6:7]
	s_and_saveexec_b64 s[6:7], s[4:5]
	s_cbranch_execz .LBB41_484
.LBB41_483:
	v_mov_b32_e32 v2, 8
	v_and_b32_e32 v3, 7, v9
	v_lshrrev_b32_sdwa v2, v2, v9 dst_sel:BYTE_1 dst_unused:UNUSED_PAD src0_sel:DWORD src1_sel:DWORD
	v_ffbh_u32_e32 v4, v3
	v_or_b32_sdwa v2, v9, v2 dst_sel:DWORD dst_unused:UNUSED_PAD src0_sel:BYTE_0 src1_sel:DWORD
	v_min_u32_e32 v4, 32, v4
	v_lshrrev_b16_e32 v2, 3, v2
	v_subrev_u32_e32 v6, 28, v4
	v_and_b32_e32 v2, 15, v2
	v_lshlrev_b32_e32 v6, v6, v9
	v_sub_u32_e32 v4, 29, v4
	v_and_b32_e32 v6, 7, v6
	v_cmp_eq_u16_e32 vcc, 0, v2
	v_cndmask_b32_e32 v3, v3, v6, vcc
	v_cndmask_b32_e32 v2, v2, v4, vcc
	v_lshlrev_b32_e32 v4, 24, v9
	v_mov_b32_e32 v6, 0x3b800000
	v_lshlrev_b32_e32 v3, 20, v3
	v_and_b32_e32 v4, 0x80000000, v4
	v_lshl_add_u32 v2, v2, 23, v6
	v_or3_b32 v2, v4, v2, v3
.LBB41_484:
	s_or_b64 exec, exec, s[6:7]
	s_movk_i32 s4, 0x7f
	v_cmp_gt_i16_sdwa s[6:7], v5, s4 src0_sel:BYTE_0 src1_sel:DWORD
	s_mov_b64 s[4:5], 0
                                        ; implicit-def: $sgpr10
	s_and_saveexec_b64 s[8:9], s[6:7]
	s_xor_b64 s[6:7], exec, s[8:9]
	s_cbranch_execnz .LBB41_2533
; %bb.485:
	s_or_saveexec_b64 s[6:7], s[6:7]
	v_mov_b32_e32 v3, s10
	s_xor_b64 exec, exec, s[6:7]
	s_cbranch_execnz .LBB41_2536
.LBB41_486:
	s_or_b64 exec, exec, s[6:7]
	s_and_saveexec_b64 s[6:7], s[4:5]
	s_cbranch_execz .LBB41_488
.LBB41_487:
	v_mov_b32_e32 v3, 8
	v_and_b32_e32 v4, 7, v5
	v_lshrrev_b32_sdwa v3, v3, v5 dst_sel:BYTE_1 dst_unused:UNUSED_PAD src0_sel:DWORD src1_sel:DWORD
	v_ffbh_u32_e32 v6, v4
	v_or_b32_sdwa v3, v5, v3 dst_sel:DWORD dst_unused:UNUSED_PAD src0_sel:BYTE_0 src1_sel:DWORD
	v_min_u32_e32 v6, 32, v6
	v_lshrrev_b16_e32 v3, 3, v3
	v_subrev_u32_e32 v7, 28, v6
	v_and_b32_e32 v3, 15, v3
	v_lshlrev_b32_e32 v7, v7, v5
	v_sub_u32_e32 v6, 29, v6
	v_and_b32_e32 v7, 7, v7
	v_cmp_eq_u16_e32 vcc, 0, v3
	v_cndmask_b32_e32 v4, v4, v7, vcc
	v_cndmask_b32_e32 v3, v3, v6, vcc
	v_lshlrev_b32_e32 v6, 24, v5
	v_mov_b32_e32 v7, 0x3b800000
	v_lshlrev_b32_e32 v4, 20, v4
	v_and_b32_e32 v6, 0x80000000, v6
	v_lshl_add_u32 v3, v3, 23, v7
	v_or3_b32 v3, v6, v3, v4
.LBB41_488:
	s_or_b64 exec, exec, s[6:7]
	s_nop 0
	v_mfma_f32_16x16x4f32 a[0:3], v2, v3, a[0:3]
	v_lshrrev_b32_e32 v3, 8, v9
	s_movk_i32 s4, 0x7f
	v_cmp_gt_i16_sdwa s[6:7], v3, s4 src0_sel:BYTE_0 src1_sel:DWORD
	s_mov_b64 s[4:5], 0
                                        ; implicit-def: $sgpr10
	s_and_saveexec_b64 s[8:9], s[6:7]
	s_xor_b64 s[6:7], exec, s[8:9]
	s_cbranch_execnz .LBB41_2537
; %bb.489:
	s_or_saveexec_b64 s[6:7], s[6:7]
	v_mov_b32_e32 v2, s10
	s_xor_b64 exec, exec, s[6:7]
	s_cbranch_execnz .LBB41_2540
.LBB41_490:
	s_or_b64 exec, exec, s[6:7]
	s_and_saveexec_b64 s[6:7], s[4:5]
	s_cbranch_execz .LBB41_492
.LBB41_491:
	v_bfe_u32 v2, v9, 8, 3
	v_ffbh_u32_e32 v6, v2
	v_min_u32_e32 v6, 32, v6
	v_lshrrev_b16_e32 v4, 3, v3
	v_subrev_u32_e32 v7, 28, v6
	v_and_b32_e32 v4, 15, v4
	v_lshlrev_b32_e32 v3, v7, v3
	v_sub_u32_e32 v6, 29, v6
	v_and_b32_e32 v3, 7, v3
	v_cmp_eq_u16_e32 vcc, 0, v4
	v_cndmask_b32_e32 v2, v2, v3, vcc
	v_cndmask_b32_e32 v3, v4, v6, vcc
	v_lshlrev_b32_e32 v4, 16, v9
	v_mov_b32_e32 v6, 0x3b800000
	v_lshlrev_b32_e32 v2, 20, v2
	v_and_b32_e32 v4, 0x80000000, v4
	v_lshl_add_u32 v3, v3, 23, v6
	v_or3_b32 v2, v4, v3, v2
.LBB41_492:
	s_or_b64 exec, exec, s[6:7]
	v_lshrrev_b32_e32 v3, 8, v5
	s_movk_i32 s4, 0x7f
	v_cmp_gt_i16_sdwa s[6:7], v3, s4 src0_sel:BYTE_0 src1_sel:DWORD
	s_mov_b64 s[4:5], 0
                                        ; implicit-def: $sgpr10
	s_and_saveexec_b64 s[8:9], s[6:7]
	s_xor_b64 s[6:7], exec, s[8:9]
	s_cbranch_execnz .LBB41_2541
; %bb.493:
	s_or_saveexec_b64 s[6:7], s[6:7]
	v_mov_b32_e32 v4, s10
	s_xor_b64 exec, exec, s[6:7]
	s_cbranch_execnz .LBB41_2544
.LBB41_494:
	s_or_b64 exec, exec, s[6:7]
	s_and_saveexec_b64 s[6:7], s[4:5]
	s_cbranch_execz .LBB41_496
.LBB41_495:
	v_bfe_u32 v4, v5, 8, 3
	v_ffbh_u32_e32 v7, v4
	v_min_u32_e32 v7, 32, v7
	v_lshrrev_b16_e32 v6, 3, v3
	v_subrev_u32_e32 v8, 28, v7
	v_and_b32_e32 v6, 15, v6
	v_lshlrev_b32_e32 v3, v8, v3
	v_sub_u32_e32 v7, 29, v7
	v_and_b32_e32 v3, 7, v3
	v_cmp_eq_u16_e32 vcc, 0, v6
	v_cndmask_b32_e32 v3, v4, v3, vcc
	v_cndmask_b32_e32 v4, v6, v7, vcc
	v_lshlrev_b32_e32 v6, 16, v5
	v_mov_b32_e32 v7, 0x3b800000
	v_lshlrev_b32_e32 v3, 20, v3
	v_and_b32_e32 v6, 0x80000000, v6
	v_lshl_add_u32 v4, v4, 23, v7
	v_or3_b32 v4, v6, v4, v3
.LBB41_496:
	s_or_b64 exec, exec, s[6:7]
	s_nop 0
	v_mfma_f32_16x16x4f32 a[0:3], v2, v4, a[0:3]
	s_movk_i32 s4, 0xff
	v_and_b32_sdwa v3, v9, s4 dst_sel:DWORD dst_unused:UNUSED_PAD src0_sel:WORD_1 src1_sel:DWORD
	s_movk_i32 s4, 0x7f
	v_cmp_lt_i16_e32 vcc, s4, v3
	s_mov_b64 s[4:5], 0
                                        ; implicit-def: $sgpr10
	s_and_saveexec_b64 s[6:7], vcc
	s_xor_b64 s[6:7], exec, s[6:7]
	s_cbranch_execnz .LBB41_2545
; %bb.497:
	s_or_saveexec_b64 s[6:7], s[6:7]
	v_mov_b32_e32 v2, s10
	s_xor_b64 exec, exec, s[6:7]
	s_cbranch_execnz .LBB41_2548
.LBB41_498:
	s_or_b64 exec, exec, s[6:7]
	s_and_saveexec_b64 s[6:7], s[4:5]
	s_cbranch_execz .LBB41_500
.LBB41_499:
	v_bfe_u32 v2, v9, 16, 3
	v_ffbh_u32_e32 v6, v2
	v_min_u32_e32 v6, 32, v6
	v_lshrrev_b32_e32 v3, 19, v9
	v_subrev_u32_e32 v7, 28, v6
	v_and_b32_e32 v3, 15, v3
	v_lshlrev_b32_sdwa v7, v7, v9 dst_sel:DWORD dst_unused:UNUSED_PAD src0_sel:DWORD src1_sel:WORD_1
	v_bfe_u32 v4, v9, 19, 4
	v_sub_u32_e32 v6, 29, v6
	v_and_b32_e32 v7, 7, v7
	v_cmp_eq_u16_e32 vcc, 0, v3
	v_cndmask_b32_e32 v2, v2, v7, vcc
	v_cndmask_b32_e32 v3, v4, v6, vcc
	v_lshlrev_b32_e32 v4, 8, v9
	v_mov_b32_e32 v6, 0x3b800000
	v_lshlrev_b32_e32 v2, 20, v2
	v_and_b32_e32 v4, 0x80000000, v4
	v_lshl_add_u32 v3, v3, 23, v6
	v_or3_b32 v2, v4, v3, v2
.LBB41_500:
	s_or_b64 exec, exec, s[6:7]
	s_movk_i32 s4, 0xff
	v_and_b32_sdwa v3, v5, s4 dst_sel:DWORD dst_unused:UNUSED_PAD src0_sel:WORD_1 src1_sel:DWORD
	s_movk_i32 s4, 0x7f
	v_cmp_lt_i16_e32 vcc, s4, v3
	s_mov_b64 s[4:5], 0
                                        ; implicit-def: $sgpr10
	s_and_saveexec_b64 s[6:7], vcc
	s_xor_b64 s[6:7], exec, s[6:7]
	s_cbranch_execnz .LBB41_2549
; %bb.501:
	s_or_saveexec_b64 s[6:7], s[6:7]
	v_mov_b32_e32 v4, s10
	s_xor_b64 exec, exec, s[6:7]
	s_cbranch_execnz .LBB41_2552
.LBB41_502:
	s_or_b64 exec, exec, s[6:7]
	s_and_saveexec_b64 s[6:7], s[4:5]
	s_cbranch_execz .LBB41_504
.LBB41_503:
	v_bfe_u32 v3, v5, 16, 3
	v_ffbh_u32_e32 v7, v3
	v_min_u32_e32 v7, 32, v7
	v_lshrrev_b32_e32 v4, 19, v5
	v_subrev_u32_e32 v8, 28, v7
	v_and_b32_e32 v4, 15, v4
	v_lshlrev_b32_sdwa v8, v8, v5 dst_sel:DWORD dst_unused:UNUSED_PAD src0_sel:DWORD src1_sel:WORD_1
	v_bfe_u32 v6, v5, 19, 4
	v_sub_u32_e32 v7, 29, v7
	v_and_b32_e32 v8, 7, v8
	v_cmp_eq_u16_e32 vcc, 0, v4
	v_cndmask_b32_e32 v3, v3, v8, vcc
	v_cndmask_b32_e32 v4, v6, v7, vcc
	v_lshlrev_b32_e32 v6, 8, v5
	v_mov_b32_e32 v7, 0x3b800000
	v_lshlrev_b32_e32 v3, 20, v3
	v_and_b32_e32 v6, 0x80000000, v6
	v_lshl_add_u32 v4, v4, 23, v7
	v_or3_b32 v4, v6, v4, v3
.LBB41_504:
	s_or_b64 exec, exec, s[6:7]
	s_nop 0
	v_mfma_f32_16x16x4f32 a[0:3], v2, v4, a[0:3]
	s_movk_i32 s4, 0x7f
	v_cmp_gt_i16_sdwa s[6:7], v9, s4 src0_sel:BYTE_3 src1_sel:DWORD
	s_mov_b64 s[4:5], 0
                                        ; implicit-def: $sgpr10
	s_and_saveexec_b64 s[8:9], s[6:7]
	s_xor_b64 s[6:7], exec, s[8:9]
	s_cbranch_execnz .LBB41_2553
; %bb.505:
	s_or_saveexec_b64 s[6:7], s[6:7]
	v_mov_b32_e32 v2, s10
	s_xor_b64 exec, exec, s[6:7]
	s_cbranch_execnz .LBB41_2556
.LBB41_506:
	s_or_b64 exec, exec, s[6:7]
	s_and_saveexec_b64 s[6:7], s[4:5]
	s_cbranch_execz .LBB41_508
.LBB41_507:
	v_bfe_u32 v2, v9, 24, 3
	v_ffbh_u32_e32 v7, v2
	v_min_u32_e32 v7, 32, v7
	v_lshrrev_b32_e32 v4, 27, v9
	v_subrev_u32_e32 v8, 28, v7
	v_and_b32_e32 v4, 15, v4
	v_lshlrev_b32_sdwa v8, v8, v9 dst_sel:DWORD dst_unused:UNUSED_PAD src0_sel:DWORD src1_sel:BYTE_3
	v_bfe_u32 v6, v9, 27, 4
	v_sub_u32_e32 v7, 29, v7
	v_and_b32_e32 v8, 7, v8
	v_cmp_eq_u16_e32 vcc, 0, v4
	v_cndmask_b32_e32 v2, v2, v8, vcc
	v_cndmask_b32_e32 v4, v6, v7, vcc
	v_mov_b32_e32 v6, 0x3b800000
	v_and_b32_e32 v3, 0x80000000, v9
	v_lshlrev_b32_e32 v2, 20, v2
	v_lshl_add_u32 v4, v4, 23, v6
	v_or3_b32 v2, v3, v4, v2
.LBB41_508:
	s_or_b64 exec, exec, s[6:7]
	s_movk_i32 s4, 0x7f
	v_cmp_gt_i16_sdwa s[6:7], v5, s4 src0_sel:BYTE_3 src1_sel:DWORD
	s_mov_b64 s[4:5], 0
                                        ; implicit-def: $sgpr10
	s_and_saveexec_b64 s[8:9], s[6:7]
	s_xor_b64 s[6:7], exec, s[8:9]
	s_cbranch_execnz .LBB41_2557
; %bb.509:
	s_or_saveexec_b64 s[6:7], s[6:7]
	v_mov_b32_e32 v3, s10
	s_xor_b64 exec, exec, s[6:7]
	s_cbranch_execnz .LBB41_2560
.LBB41_510:
	s_or_b64 exec, exec, s[6:7]
	s_and_saveexec_b64 s[6:7], s[4:5]
	s_cbranch_execz .LBB41_512
.LBB41_511:
	v_bfe_u32 v3, v5, 24, 3
	v_ffbh_u32_e32 v8, v3
	v_min_u32_e32 v8, 32, v8
	v_lshrrev_b32_e32 v6, 27, v5
	v_subrev_u32_e32 v9, 28, v8
	v_and_b32_e32 v4, 0x80000000, v5
	v_and_b32_e32 v6, 15, v6
	v_bfe_u32 v7, v5, 27, 4
	v_lshlrev_b32_sdwa v5, v9, v5 dst_sel:DWORD dst_unused:UNUSED_PAD src0_sel:DWORD src1_sel:BYTE_3
	v_sub_u32_e32 v8, 29, v8
	v_and_b32_e32 v5, 7, v5
	v_cmp_eq_u16_e32 vcc, 0, v6
	v_cndmask_b32_e32 v3, v3, v5, vcc
	v_cndmask_b32_e32 v5, v7, v8, vcc
	v_mov_b32_e32 v6, 0x3b800000
	v_lshlrev_b32_e32 v3, 20, v3
	v_lshl_add_u32 v5, v5, 23, v6
	v_or3_b32 v3, v4, v5, v3
.LBB41_512:
	s_or_b64 exec, exec, s[6:7]
	s_nop 0
	v_mfma_f32_16x16x4f32 a[0:3], v2, v3, a[0:3]
	s_movk_i32 s4, 0x7f
                                        ; implicit-def: $sgpr10
	s_nop 7
	s_nop 1
	flat_store_dwordx4 v[18:19], a[0:3] offset:656
	flat_load_dwordx4 v[20:23], v[0:1] offset:16
	s_nop 0
	flat_load_dwordx2 v[18:19], v[0:1] offset:32
	s_waitcnt vmcnt(0) lgkmcnt(0)
	flat_load_dwordx4 v[14:17], v[20:21] offset:32
	flat_load_dwordx4 v[6:9], v[20:21] offset:48
	;; [unrolled: 1-line block ×4, first 2 shown]
	s_waitcnt vmcnt(0) lgkmcnt(0)
	v_cmp_gt_i16_sdwa s[6:7], v14, s4 src0_sel:BYTE_0 src1_sel:DWORD
	s_mov_b64 s[4:5], 0
	s_and_saveexec_b64 s[8:9], s[6:7]
	s_xor_b64 s[6:7], exec, s[8:9]
	s_cbranch_execnz .LBB41_2561
; %bb.513:
	s_or_saveexec_b64 s[6:7], s[6:7]
	v_mov_b32_e32 v20, s10
	s_xor_b64 exec, exec, s[6:7]
	s_cbranch_execnz .LBB41_2564
.LBB41_514:
	s_or_b64 exec, exec, s[6:7]
	s_and_saveexec_b64 s[6:7], s[4:5]
	s_cbranch_execz .LBB41_516
.LBB41_515:
	v_and_b32_e32 v20, 7, v14
	v_ffbh_u32_e32 v22, v20
	v_min_u32_e32 v22, 32, v22
	v_lshrrev_b16_e32 v21, 3, v14
	v_subrev_u32_e32 v23, 28, v22
	v_and_b32_e32 v21, 15, v21
	v_lshlrev_b32_e32 v23, v23, v14
	v_sub_u32_e32 v22, 29, v22
	v_and_b32_e32 v23, 7, v23
	v_cmp_eq_u16_e32 vcc, 0, v21
	v_cndmask_b32_e32 v20, v20, v23, vcc
	v_cndmask_b32_e32 v21, v21, v22, vcc
	v_lshlrev_b32_e32 v22, 24, v14
	v_mov_b32_e32 v23, 0x3b800000
	v_lshlrev_b32_e32 v20, 20, v20
	v_and_b32_e32 v22, 0x80000000, v22
	v_lshl_add_u32 v21, v21, 23, v23
	v_or3_b32 v20, v22, v21, v20
.LBB41_516:
	s_or_b64 exec, exec, s[6:7]
	s_movk_i32 s4, 0x7f
	v_cmp_gt_i16_sdwa s[6:7], v10, s4 src0_sel:BYTE_0 src1_sel:DWORD
	s_mov_b64 s[4:5], 0
                                        ; implicit-def: $sgpr10
	s_and_saveexec_b64 s[8:9], s[6:7]
	s_xor_b64 s[6:7], exec, s[8:9]
	s_cbranch_execnz .LBB41_2565
; %bb.517:
	s_or_saveexec_b64 s[6:7], s[6:7]
	v_mov_b32_e32 v21, s10
	s_xor_b64 exec, exec, s[6:7]
	s_cbranch_execnz .LBB41_2568
.LBB41_518:
	s_or_b64 exec, exec, s[6:7]
	s_and_saveexec_b64 s[6:7], s[4:5]
	s_cbranch_execz .LBB41_520
.LBB41_519:
	v_and_b32_e32 v21, 7, v10
	v_ffbh_u32_e32 v23, v21
	v_min_u32_e32 v23, 32, v23
	v_lshrrev_b16_e32 v22, 3, v10
	v_subrev_u32_e32 v24, 28, v23
	v_and_b32_e32 v22, 15, v22
	v_lshlrev_b32_e32 v24, v24, v10
	v_sub_u32_e32 v23, 29, v23
	v_and_b32_e32 v24, 7, v24
	v_cmp_eq_u16_e32 vcc, 0, v22
	v_cndmask_b32_e32 v21, v21, v24, vcc
	v_cndmask_b32_e32 v22, v22, v23, vcc
	v_lshlrev_b32_e32 v23, 24, v10
	v_mov_b32_e32 v24, 0x3b800000
	v_lshlrev_b32_e32 v21, 20, v21
	v_and_b32_e32 v23, 0x80000000, v23
	v_lshl_add_u32 v22, v22, 23, v24
	v_or3_b32 v21, v23, v22, v21
.LBB41_520:
	s_or_b64 exec, exec, s[6:7]
	flat_load_dwordx4 a[0:3], v[18:19] offset:672
	s_movk_i32 s4, 0x7f
                                        ; implicit-def: $sgpr10
	s_waitcnt vmcnt(0) lgkmcnt(0)
	v_mfma_f32_16x16x4f32 a[0:3], v20, v21, a[0:3]
	v_lshrrev_b32_e32 v21, 8, v14
	v_cmp_gt_i16_sdwa s[6:7], v21, s4 src0_sel:BYTE_0 src1_sel:DWORD
	s_mov_b64 s[4:5], 0
	s_and_saveexec_b64 s[8:9], s[6:7]
	s_xor_b64 s[6:7], exec, s[8:9]
	s_cbranch_execnz .LBB41_2569
; %bb.521:
	s_or_saveexec_b64 s[6:7], s[6:7]
	v_mov_b32_e32 v20, s10
	s_xor_b64 exec, exec, s[6:7]
	s_cbranch_execnz .LBB41_2572
.LBB41_522:
	s_or_b64 exec, exec, s[6:7]
	s_and_saveexec_b64 s[6:7], s[4:5]
	s_cbranch_execz .LBB41_524
.LBB41_523:
	v_bfe_u32 v20, v14, 8, 3
	v_ffbh_u32_e32 v23, v20
	v_min_u32_e32 v23, 32, v23
	v_lshrrev_b16_e32 v22, 3, v21
	v_subrev_u32_e32 v24, 28, v23
	v_and_b32_e32 v22, 15, v22
	v_lshlrev_b32_e32 v21, v24, v21
	v_sub_u32_e32 v23, 29, v23
	v_and_b32_e32 v21, 7, v21
	v_cmp_eq_u16_e32 vcc, 0, v22
	v_cndmask_b32_e32 v20, v20, v21, vcc
	v_cndmask_b32_e32 v21, v22, v23, vcc
	v_lshlrev_b32_e32 v22, 16, v14
	v_mov_b32_e32 v23, 0x3b800000
	v_lshlrev_b32_e32 v20, 20, v20
	v_and_b32_e32 v22, 0x80000000, v22
	v_lshl_add_u32 v21, v21, 23, v23
	v_or3_b32 v20, v22, v21, v20
.LBB41_524:
	s_or_b64 exec, exec, s[6:7]
	v_lshrrev_b32_e32 v21, 8, v10
	s_movk_i32 s4, 0x7f
	v_cmp_gt_i16_sdwa s[6:7], v21, s4 src0_sel:BYTE_0 src1_sel:DWORD
	s_mov_b64 s[4:5], 0
                                        ; implicit-def: $sgpr10
	s_and_saveexec_b64 s[8:9], s[6:7]
	s_xor_b64 s[6:7], exec, s[8:9]
	s_cbranch_execnz .LBB41_2573
; %bb.525:
	s_or_saveexec_b64 s[6:7], s[6:7]
	v_mov_b32_e32 v22, s10
	s_xor_b64 exec, exec, s[6:7]
	s_cbranch_execnz .LBB41_2576
.LBB41_526:
	s_or_b64 exec, exec, s[6:7]
	s_and_saveexec_b64 s[6:7], s[4:5]
	s_cbranch_execz .LBB41_528
.LBB41_527:
	v_bfe_u32 v22, v10, 8, 3
	v_ffbh_u32_e32 v24, v22
	v_min_u32_e32 v24, 32, v24
	v_lshrrev_b16_e32 v23, 3, v21
	v_subrev_u32_e32 v25, 28, v24
	v_and_b32_e32 v23, 15, v23
	v_lshlrev_b32_e32 v21, v25, v21
	v_sub_u32_e32 v24, 29, v24
	v_and_b32_e32 v21, 7, v21
	v_cmp_eq_u16_e32 vcc, 0, v23
	v_cndmask_b32_e32 v21, v22, v21, vcc
	v_cndmask_b32_e32 v22, v23, v24, vcc
	v_lshlrev_b32_e32 v23, 16, v10
	v_mov_b32_e32 v24, 0x3b800000
	v_lshlrev_b32_e32 v21, 20, v21
	v_and_b32_e32 v23, 0x80000000, v23
	v_lshl_add_u32 v22, v22, 23, v24
	v_or3_b32 v22, v23, v22, v21
.LBB41_528:
	s_or_b64 exec, exec, s[6:7]
	s_nop 0
	v_mfma_f32_16x16x4f32 a[0:3], v20, v22, a[0:3]
	s_movk_i32 s4, 0xff
	v_and_b32_sdwa v21, v14, s4 dst_sel:DWORD dst_unused:UNUSED_PAD src0_sel:WORD_1 src1_sel:DWORD
	s_movk_i32 s4, 0x7f
	v_cmp_lt_i16_e32 vcc, s4, v21
	s_mov_b64 s[4:5], 0
                                        ; implicit-def: $sgpr10
	s_and_saveexec_b64 s[6:7], vcc
	s_xor_b64 s[6:7], exec, s[6:7]
	s_cbranch_execnz .LBB41_2577
; %bb.529:
	s_or_saveexec_b64 s[6:7], s[6:7]
	v_mov_b32_e32 v20, s10
	s_xor_b64 exec, exec, s[6:7]
	s_cbranch_execnz .LBB41_2580
.LBB41_530:
	s_or_b64 exec, exec, s[6:7]
	s_and_saveexec_b64 s[6:7], s[4:5]
	s_cbranch_execz .LBB41_532
.LBB41_531:
	v_bfe_u32 v20, v14, 16, 3
	v_ffbh_u32_e32 v23, v20
	v_min_u32_e32 v23, 32, v23
	v_lshrrev_b32_e32 v21, 19, v14
	v_subrev_u32_e32 v24, 28, v23
	v_and_b32_e32 v21, 15, v21
	v_lshlrev_b32_sdwa v24, v24, v14 dst_sel:DWORD dst_unused:UNUSED_PAD src0_sel:DWORD src1_sel:WORD_1
	v_bfe_u32 v22, v14, 19, 4
	v_sub_u32_e32 v23, 29, v23
	v_and_b32_e32 v24, 7, v24
	v_cmp_eq_u16_e32 vcc, 0, v21
	v_cndmask_b32_e32 v20, v20, v24, vcc
	v_cndmask_b32_e32 v21, v22, v23, vcc
	v_lshlrev_b32_e32 v22, 8, v14
	v_mov_b32_e32 v23, 0x3b800000
	v_lshlrev_b32_e32 v20, 20, v20
	v_and_b32_e32 v22, 0x80000000, v22
	v_lshl_add_u32 v21, v21, 23, v23
	v_or3_b32 v20, v22, v21, v20
.LBB41_532:
	s_or_b64 exec, exec, s[6:7]
	s_movk_i32 s4, 0xff
	v_and_b32_sdwa v21, v10, s4 dst_sel:DWORD dst_unused:UNUSED_PAD src0_sel:WORD_1 src1_sel:DWORD
	s_movk_i32 s4, 0x7f
	v_cmp_lt_i16_e32 vcc, s4, v21
	s_mov_b64 s[4:5], 0
                                        ; implicit-def: $sgpr10
	s_and_saveexec_b64 s[6:7], vcc
	s_xor_b64 s[6:7], exec, s[6:7]
	s_cbranch_execnz .LBB41_2581
; %bb.533:
	s_or_saveexec_b64 s[6:7], s[6:7]
	v_mov_b32_e32 v22, s10
	s_xor_b64 exec, exec, s[6:7]
	s_cbranch_execnz .LBB41_2584
.LBB41_534:
	s_or_b64 exec, exec, s[6:7]
	s_and_saveexec_b64 s[6:7], s[4:5]
	s_cbranch_execz .LBB41_536
.LBB41_535:
	v_bfe_u32 v21, v10, 16, 3
	v_ffbh_u32_e32 v24, v21
	v_min_u32_e32 v24, 32, v24
	v_lshrrev_b32_e32 v22, 19, v10
	v_subrev_u32_e32 v25, 28, v24
	v_and_b32_e32 v22, 15, v22
	v_lshlrev_b32_sdwa v25, v25, v10 dst_sel:DWORD dst_unused:UNUSED_PAD src0_sel:DWORD src1_sel:WORD_1
	v_bfe_u32 v23, v10, 19, 4
	v_sub_u32_e32 v24, 29, v24
	v_and_b32_e32 v25, 7, v25
	v_cmp_eq_u16_e32 vcc, 0, v22
	v_cndmask_b32_e32 v21, v21, v25, vcc
	v_cndmask_b32_e32 v22, v23, v24, vcc
	v_lshlrev_b32_e32 v23, 8, v10
	v_mov_b32_e32 v24, 0x3b800000
	v_lshlrev_b32_e32 v21, 20, v21
	v_and_b32_e32 v23, 0x80000000, v23
	v_lshl_add_u32 v22, v22, 23, v24
	v_or3_b32 v22, v23, v22, v21
.LBB41_536:
	s_or_b64 exec, exec, s[6:7]
	s_nop 0
	v_mfma_f32_16x16x4f32 a[0:3], v20, v22, a[0:3]
	s_movk_i32 s4, 0x7f
	v_cmp_gt_i16_sdwa s[6:7], v14, s4 src0_sel:BYTE_3 src1_sel:DWORD
	s_mov_b64 s[4:5], 0
                                        ; implicit-def: $sgpr10
	s_and_saveexec_b64 s[8:9], s[6:7]
	s_xor_b64 s[6:7], exec, s[8:9]
	s_cbranch_execnz .LBB41_2585
; %bb.537:
	s_or_saveexec_b64 s[6:7], s[6:7]
	v_mov_b32_e32 v20, s10
	s_xor_b64 exec, exec, s[6:7]
	s_cbranch_execnz .LBB41_2588
.LBB41_538:
	s_or_b64 exec, exec, s[6:7]
	s_and_saveexec_b64 s[6:7], s[4:5]
	s_cbranch_execz .LBB41_540
.LBB41_539:
	v_bfe_u32 v20, v14, 24, 3
	v_ffbh_u32_e32 v24, v20
	v_min_u32_e32 v24, 32, v24
	v_lshrrev_b32_e32 v22, 27, v14
	v_subrev_u32_e32 v25, 28, v24
	v_and_b32_e32 v21, 0x80000000, v14
	v_and_b32_e32 v22, 15, v22
	v_bfe_u32 v23, v14, 27, 4
	v_lshlrev_b32_sdwa v14, v25, v14 dst_sel:DWORD dst_unused:UNUSED_PAD src0_sel:DWORD src1_sel:BYTE_3
	v_sub_u32_e32 v24, 29, v24
	v_and_b32_e32 v14, 7, v14
	v_cmp_eq_u16_e32 vcc, 0, v22
	v_cndmask_b32_e32 v14, v20, v14, vcc
	v_cndmask_b32_e32 v20, v23, v24, vcc
	v_mov_b32_e32 v22, 0x3b800000
	v_lshlrev_b32_e32 v14, 20, v14
	v_lshl_add_u32 v20, v20, 23, v22
	v_or3_b32 v20, v21, v20, v14
.LBB41_540:
	s_or_b64 exec, exec, s[6:7]
	s_movk_i32 s4, 0x7f
	v_cmp_gt_i16_sdwa s[6:7], v10, s4 src0_sel:BYTE_3 src1_sel:DWORD
	s_mov_b64 s[4:5], 0
                                        ; implicit-def: $sgpr10
	s_and_saveexec_b64 s[8:9], s[6:7]
	s_xor_b64 s[6:7], exec, s[8:9]
	s_cbranch_execnz .LBB41_2589
; %bb.541:
	s_or_saveexec_b64 s[6:7], s[6:7]
	v_mov_b32_e32 v14, s10
	s_xor_b64 exec, exec, s[6:7]
	s_cbranch_execnz .LBB41_2592
.LBB41_542:
	s_or_b64 exec, exec, s[6:7]
	s_and_saveexec_b64 s[6:7], s[4:5]
	s_cbranch_execz .LBB41_544
.LBB41_543:
	v_bfe_u32 v14, v10, 24, 3
	v_ffbh_u32_e32 v24, v14
	v_min_u32_e32 v24, 32, v24
	v_lshrrev_b32_e32 v22, 27, v10
	v_subrev_u32_e32 v25, 28, v24
	v_and_b32_e32 v21, 0x80000000, v10
	v_and_b32_e32 v22, 15, v22
	v_bfe_u32 v23, v10, 27, 4
	v_lshlrev_b32_sdwa v10, v25, v10 dst_sel:DWORD dst_unused:UNUSED_PAD src0_sel:DWORD src1_sel:BYTE_3
	v_sub_u32_e32 v24, 29, v24
	v_and_b32_e32 v10, 7, v10
	v_cmp_eq_u16_e32 vcc, 0, v22
	v_cndmask_b32_e32 v10, v14, v10, vcc
	v_cndmask_b32_e32 v14, v23, v24, vcc
	v_mov_b32_e32 v22, 0x3b800000
	v_lshlrev_b32_e32 v10, 20, v10
	v_lshl_add_u32 v14, v14, 23, v22
	v_or3_b32 v14, v21, v14, v10
.LBB41_544:
	s_or_b64 exec, exec, s[6:7]
	s_nop 0
	v_mfma_f32_16x16x4f32 a[0:3], v20, v14, a[0:3]
	s_movk_i32 s4, 0x7f
	v_cmp_gt_i16_sdwa s[6:7], v15, s4 src0_sel:BYTE_0 src1_sel:DWORD
	s_mov_b64 s[4:5], 0
                                        ; implicit-def: $sgpr10
	s_and_saveexec_b64 s[8:9], s[6:7]
	s_xor_b64 s[6:7], exec, s[8:9]
	s_cbranch_execnz .LBB41_2593
; %bb.545:
	s_or_saveexec_b64 s[6:7], s[6:7]
	v_mov_b32_e32 v10, s10
	s_xor_b64 exec, exec, s[6:7]
	s_cbranch_execnz .LBB41_2596
.LBB41_546:
	s_or_b64 exec, exec, s[6:7]
	s_and_saveexec_b64 s[6:7], s[4:5]
	s_cbranch_execz .LBB41_548
.LBB41_547:
	v_and_b32_e32 v10, 7, v15
	v_ffbh_u32_e32 v20, v10
	v_min_u32_e32 v20, 32, v20
	v_lshrrev_b16_e32 v14, 3, v15
	v_subrev_u32_e32 v21, 28, v20
	v_and_b32_e32 v14, 15, v14
	v_lshlrev_b32_e32 v21, v21, v15
	v_sub_u32_e32 v20, 29, v20
	v_and_b32_e32 v21, 7, v21
	v_cmp_eq_u16_e32 vcc, 0, v14
	v_cndmask_b32_e32 v10, v10, v21, vcc
	v_cndmask_b32_e32 v14, v14, v20, vcc
	v_lshlrev_b32_e32 v20, 24, v15
	v_mov_b32_e32 v21, 0x3b800000
	v_lshlrev_b32_e32 v10, 20, v10
	v_and_b32_e32 v20, 0x80000000, v20
	v_lshl_add_u32 v14, v14, 23, v21
	v_or3_b32 v10, v20, v14, v10
.LBB41_548:
	s_or_b64 exec, exec, s[6:7]
	s_movk_i32 s4, 0x7f
	v_cmp_gt_i16_sdwa s[6:7], v11, s4 src0_sel:BYTE_0 src1_sel:DWORD
	s_mov_b64 s[4:5], 0
                                        ; implicit-def: $sgpr10
	s_and_saveexec_b64 s[8:9], s[6:7]
	s_xor_b64 s[6:7], exec, s[8:9]
	s_cbranch_execnz .LBB41_2597
; %bb.549:
	s_or_saveexec_b64 s[6:7], s[6:7]
	v_mov_b32_e32 v14, s10
	s_xor_b64 exec, exec, s[6:7]
	s_cbranch_execnz .LBB41_2600
.LBB41_550:
	s_or_b64 exec, exec, s[6:7]
	s_and_saveexec_b64 s[6:7], s[4:5]
	s_cbranch_execz .LBB41_552
.LBB41_551:
	v_and_b32_e32 v14, 7, v11
	v_ffbh_u32_e32 v21, v14
	v_min_u32_e32 v21, 32, v21
	v_lshrrev_b16_e32 v20, 3, v11
	v_subrev_u32_e32 v22, 28, v21
	v_and_b32_e32 v20, 15, v20
	v_lshlrev_b32_e32 v22, v22, v11
	v_sub_u32_e32 v21, 29, v21
	v_and_b32_e32 v22, 7, v22
	v_cmp_eq_u16_e32 vcc, 0, v20
	v_cndmask_b32_e32 v14, v14, v22, vcc
	v_cndmask_b32_e32 v20, v20, v21, vcc
	v_lshlrev_b32_e32 v21, 24, v11
	v_mov_b32_e32 v22, 0x3b800000
	v_lshlrev_b32_e32 v14, 20, v14
	v_and_b32_e32 v21, 0x80000000, v21
	v_lshl_add_u32 v20, v20, 23, v22
	v_or3_b32 v14, v21, v20, v14
.LBB41_552:
	s_or_b64 exec, exec, s[6:7]
	s_nop 0
	v_mfma_f32_16x16x4f32 a[0:3], v10, v14, a[0:3]
	v_lshrrev_b32_e32 v14, 8, v15
	s_movk_i32 s4, 0x7f
	v_cmp_gt_i16_sdwa s[6:7], v14, s4 src0_sel:BYTE_0 src1_sel:DWORD
	s_mov_b64 s[4:5], 0
                                        ; implicit-def: $sgpr10
	s_and_saveexec_b64 s[8:9], s[6:7]
	s_xor_b64 s[6:7], exec, s[8:9]
	s_cbranch_execnz .LBB41_2601
; %bb.553:
	s_or_saveexec_b64 s[6:7], s[6:7]
	v_mov_b32_e32 v10, s10
	s_xor_b64 exec, exec, s[6:7]
	s_cbranch_execnz .LBB41_2604
.LBB41_554:
	s_or_b64 exec, exec, s[6:7]
	s_and_saveexec_b64 s[6:7], s[4:5]
	s_cbranch_execz .LBB41_556
.LBB41_555:
	v_bfe_u32 v10, v15, 8, 3
	v_ffbh_u32_e32 v21, v10
	v_min_u32_e32 v21, 32, v21
	v_lshrrev_b16_e32 v20, 3, v14
	v_subrev_u32_e32 v22, 28, v21
	v_and_b32_e32 v20, 15, v20
	v_lshlrev_b32_e32 v14, v22, v14
	v_sub_u32_e32 v21, 29, v21
	v_and_b32_e32 v14, 7, v14
	v_cmp_eq_u16_e32 vcc, 0, v20
	v_cndmask_b32_e32 v10, v10, v14, vcc
	v_cndmask_b32_e32 v14, v20, v21, vcc
	v_lshlrev_b32_e32 v20, 16, v15
	v_mov_b32_e32 v21, 0x3b800000
	v_lshlrev_b32_e32 v10, 20, v10
	v_and_b32_e32 v20, 0x80000000, v20
	v_lshl_add_u32 v14, v14, 23, v21
	v_or3_b32 v10, v20, v14, v10
.LBB41_556:
	s_or_b64 exec, exec, s[6:7]
	v_lshrrev_b32_e32 v14, 8, v11
	s_movk_i32 s4, 0x7f
	v_cmp_gt_i16_sdwa s[6:7], v14, s4 src0_sel:BYTE_0 src1_sel:DWORD
	s_mov_b64 s[4:5], 0
                                        ; implicit-def: $sgpr10
	s_and_saveexec_b64 s[8:9], s[6:7]
	s_xor_b64 s[6:7], exec, s[8:9]
	s_cbranch_execnz .LBB41_2605
; %bb.557:
	s_or_saveexec_b64 s[6:7], s[6:7]
	v_mov_b32_e32 v20, s10
	s_xor_b64 exec, exec, s[6:7]
	s_cbranch_execnz .LBB41_2608
.LBB41_558:
	s_or_b64 exec, exec, s[6:7]
	s_and_saveexec_b64 s[6:7], s[4:5]
	s_cbranch_execz .LBB41_560
.LBB41_559:
	v_bfe_u32 v20, v11, 8, 3
	v_ffbh_u32_e32 v22, v20
	v_min_u32_e32 v22, 32, v22
	v_lshrrev_b16_e32 v21, 3, v14
	v_subrev_u32_e32 v23, 28, v22
	v_and_b32_e32 v21, 15, v21
	v_lshlrev_b32_e32 v14, v23, v14
	v_sub_u32_e32 v22, 29, v22
	v_and_b32_e32 v14, 7, v14
	v_cmp_eq_u16_e32 vcc, 0, v21
	v_cndmask_b32_e32 v14, v20, v14, vcc
	v_cndmask_b32_e32 v20, v21, v22, vcc
	v_lshlrev_b32_e32 v21, 16, v11
	v_mov_b32_e32 v22, 0x3b800000
	v_lshlrev_b32_e32 v14, 20, v14
	v_and_b32_e32 v21, 0x80000000, v21
	v_lshl_add_u32 v20, v20, 23, v22
	v_or3_b32 v20, v21, v20, v14
.LBB41_560:
	s_or_b64 exec, exec, s[6:7]
	s_nop 0
	v_mfma_f32_16x16x4f32 a[0:3], v10, v20, a[0:3]
	s_movk_i32 s4, 0xff
	v_and_b32_sdwa v14, v15, s4 dst_sel:DWORD dst_unused:UNUSED_PAD src0_sel:WORD_1 src1_sel:DWORD
	s_movk_i32 s4, 0x7f
	v_cmp_lt_i16_e32 vcc, s4, v14
	s_mov_b64 s[4:5], 0
                                        ; implicit-def: $sgpr10
	s_and_saveexec_b64 s[6:7], vcc
	s_xor_b64 s[6:7], exec, s[6:7]
	s_cbranch_execnz .LBB41_2609
; %bb.561:
	s_or_saveexec_b64 s[6:7], s[6:7]
	v_mov_b32_e32 v10, s10
	s_xor_b64 exec, exec, s[6:7]
	s_cbranch_execnz .LBB41_2612
.LBB41_562:
	s_or_b64 exec, exec, s[6:7]
	s_and_saveexec_b64 s[6:7], s[4:5]
	s_cbranch_execz .LBB41_564
.LBB41_563:
	v_bfe_u32 v10, v15, 16, 3
	v_ffbh_u32_e32 v21, v10
	v_min_u32_e32 v21, 32, v21
	v_lshrrev_b32_e32 v14, 19, v15
	v_subrev_u32_e32 v22, 28, v21
	v_and_b32_e32 v14, 15, v14
	v_lshlrev_b32_sdwa v22, v22, v15 dst_sel:DWORD dst_unused:UNUSED_PAD src0_sel:DWORD src1_sel:WORD_1
	v_bfe_u32 v20, v15, 19, 4
	v_sub_u32_e32 v21, 29, v21
	v_and_b32_e32 v22, 7, v22
	v_cmp_eq_u16_e32 vcc, 0, v14
	v_cndmask_b32_e32 v10, v10, v22, vcc
	v_cndmask_b32_e32 v14, v20, v21, vcc
	v_lshlrev_b32_e32 v20, 8, v15
	v_mov_b32_e32 v21, 0x3b800000
	v_lshlrev_b32_e32 v10, 20, v10
	v_and_b32_e32 v20, 0x80000000, v20
	v_lshl_add_u32 v14, v14, 23, v21
	v_or3_b32 v10, v20, v14, v10
.LBB41_564:
	s_or_b64 exec, exec, s[6:7]
	s_movk_i32 s4, 0xff
	v_and_b32_sdwa v14, v11, s4 dst_sel:DWORD dst_unused:UNUSED_PAD src0_sel:WORD_1 src1_sel:DWORD
	s_movk_i32 s4, 0x7f
	v_cmp_lt_i16_e32 vcc, s4, v14
	s_mov_b64 s[4:5], 0
                                        ; implicit-def: $sgpr10
	s_and_saveexec_b64 s[6:7], vcc
	s_xor_b64 s[6:7], exec, s[6:7]
	s_cbranch_execnz .LBB41_2613
; %bb.565:
	s_or_saveexec_b64 s[6:7], s[6:7]
	v_mov_b32_e32 v20, s10
	s_xor_b64 exec, exec, s[6:7]
	s_cbranch_execnz .LBB41_2616
.LBB41_566:
	s_or_b64 exec, exec, s[6:7]
	s_and_saveexec_b64 s[6:7], s[4:5]
	s_cbranch_execz .LBB41_568
.LBB41_567:
	v_bfe_u32 v14, v11, 16, 3
	v_ffbh_u32_e32 v22, v14
	v_min_u32_e32 v22, 32, v22
	v_lshrrev_b32_e32 v20, 19, v11
	v_subrev_u32_e32 v23, 28, v22
	v_and_b32_e32 v20, 15, v20
	v_lshlrev_b32_sdwa v23, v23, v11 dst_sel:DWORD dst_unused:UNUSED_PAD src0_sel:DWORD src1_sel:WORD_1
	v_bfe_u32 v21, v11, 19, 4
	v_sub_u32_e32 v22, 29, v22
	v_and_b32_e32 v23, 7, v23
	v_cmp_eq_u16_e32 vcc, 0, v20
	v_cndmask_b32_e32 v14, v14, v23, vcc
	v_cndmask_b32_e32 v20, v21, v22, vcc
	v_lshlrev_b32_e32 v21, 8, v11
	v_mov_b32_e32 v22, 0x3b800000
	v_lshlrev_b32_e32 v14, 20, v14
	v_and_b32_e32 v21, 0x80000000, v21
	v_lshl_add_u32 v20, v20, 23, v22
	v_or3_b32 v20, v21, v20, v14
.LBB41_568:
	s_or_b64 exec, exec, s[6:7]
	s_nop 0
	v_mfma_f32_16x16x4f32 a[0:3], v10, v20, a[0:3]
	s_movk_i32 s4, 0x7f
	v_cmp_gt_i16_sdwa s[6:7], v15, s4 src0_sel:BYTE_3 src1_sel:DWORD
	s_mov_b64 s[4:5], 0
                                        ; implicit-def: $sgpr10
	s_and_saveexec_b64 s[8:9], s[6:7]
	s_xor_b64 s[6:7], exec, s[8:9]
	s_cbranch_execnz .LBB41_2617
; %bb.569:
	s_or_saveexec_b64 s[6:7], s[6:7]
	v_mov_b32_e32 v10, s10
	s_xor_b64 exec, exec, s[6:7]
	s_cbranch_execnz .LBB41_2620
.LBB41_570:
	s_or_b64 exec, exec, s[6:7]
	s_and_saveexec_b64 s[6:7], s[4:5]
	s_cbranch_execz .LBB41_572
.LBB41_571:
	v_bfe_u32 v10, v15, 24, 3
	v_ffbh_u32_e32 v22, v10
	v_min_u32_e32 v22, 32, v22
	v_lshrrev_b32_e32 v20, 27, v15
	v_subrev_u32_e32 v23, 28, v22
	v_and_b32_e32 v14, 0x80000000, v15
	v_and_b32_e32 v20, 15, v20
	v_bfe_u32 v21, v15, 27, 4
	v_lshlrev_b32_sdwa v15, v23, v15 dst_sel:DWORD dst_unused:UNUSED_PAD src0_sel:DWORD src1_sel:BYTE_3
	v_sub_u32_e32 v22, 29, v22
	v_and_b32_e32 v15, 7, v15
	v_cmp_eq_u16_e32 vcc, 0, v20
	v_cndmask_b32_e32 v10, v10, v15, vcc
	v_cndmask_b32_e32 v15, v21, v22, vcc
	v_mov_b32_e32 v20, 0x3b800000
	v_lshlrev_b32_e32 v10, 20, v10
	v_lshl_add_u32 v15, v15, 23, v20
	v_or3_b32 v10, v14, v15, v10
.LBB41_572:
	s_or_b64 exec, exec, s[6:7]
	s_movk_i32 s4, 0x7f
	v_cmp_gt_i16_sdwa s[6:7], v11, s4 src0_sel:BYTE_3 src1_sel:DWORD
	s_mov_b64 s[4:5], 0
                                        ; implicit-def: $sgpr10
	s_and_saveexec_b64 s[8:9], s[6:7]
	s_xor_b64 s[6:7], exec, s[8:9]
	s_cbranch_execnz .LBB41_2621
; %bb.573:
	s_or_saveexec_b64 s[6:7], s[6:7]
	v_mov_b32_e32 v14, s10
	s_xor_b64 exec, exec, s[6:7]
	s_cbranch_execnz .LBB41_2624
.LBB41_574:
	s_or_b64 exec, exec, s[6:7]
	s_and_saveexec_b64 s[6:7], s[4:5]
	s_cbranch_execz .LBB41_576
.LBB41_575:
	v_bfe_u32 v14, v11, 24, 3
	v_ffbh_u32_e32 v22, v14
	v_min_u32_e32 v22, 32, v22
	v_lshrrev_b32_e32 v20, 27, v11
	v_subrev_u32_e32 v23, 28, v22
	v_and_b32_e32 v15, 0x80000000, v11
	v_and_b32_e32 v20, 15, v20
	v_bfe_u32 v21, v11, 27, 4
	v_lshlrev_b32_sdwa v11, v23, v11 dst_sel:DWORD dst_unused:UNUSED_PAD src0_sel:DWORD src1_sel:BYTE_3
	v_sub_u32_e32 v22, 29, v22
	v_and_b32_e32 v11, 7, v11
	v_cmp_eq_u16_e32 vcc, 0, v20
	v_cndmask_b32_e32 v11, v14, v11, vcc
	v_cndmask_b32_e32 v14, v21, v22, vcc
	v_mov_b32_e32 v20, 0x3b800000
	v_lshlrev_b32_e32 v11, 20, v11
	v_lshl_add_u32 v14, v14, 23, v20
	v_or3_b32 v14, v15, v14, v11
.LBB41_576:
	s_or_b64 exec, exec, s[6:7]
	s_nop 0
	v_mfma_f32_16x16x4f32 a[0:3], v10, v14, a[0:3]
	s_movk_i32 s4, 0x7f
	v_cmp_gt_i16_sdwa s[6:7], v16, s4 src0_sel:BYTE_0 src1_sel:DWORD
	s_mov_b64 s[4:5], 0
                                        ; implicit-def: $sgpr10
	s_and_saveexec_b64 s[8:9], s[6:7]
	s_xor_b64 s[6:7], exec, s[8:9]
	s_cbranch_execnz .LBB41_2625
; %bb.577:
	s_or_saveexec_b64 s[6:7], s[6:7]
	v_mov_b32_e32 v10, s10
	s_xor_b64 exec, exec, s[6:7]
	s_cbranch_execnz .LBB41_2628
.LBB41_578:
	s_or_b64 exec, exec, s[6:7]
	s_and_saveexec_b64 s[6:7], s[4:5]
	s_cbranch_execz .LBB41_580
.LBB41_579:
	v_and_b32_e32 v10, 7, v16
	v_ffbh_u32_e32 v14, v10
	v_min_u32_e32 v14, 32, v14
	v_lshrrev_b16_e32 v11, 3, v16
	v_subrev_u32_e32 v15, 28, v14
	v_and_b32_e32 v11, 15, v11
	v_lshlrev_b32_e32 v15, v15, v16
	v_sub_u32_e32 v14, 29, v14
	v_and_b32_e32 v15, 7, v15
	v_cmp_eq_u16_e32 vcc, 0, v11
	v_cndmask_b32_e32 v10, v10, v15, vcc
	v_cndmask_b32_e32 v11, v11, v14, vcc
	v_lshlrev_b32_e32 v14, 24, v16
	v_mov_b32_e32 v15, 0x3b800000
	v_lshlrev_b32_e32 v10, 20, v10
	v_and_b32_e32 v14, 0x80000000, v14
	v_lshl_add_u32 v11, v11, 23, v15
	v_or3_b32 v10, v14, v11, v10
.LBB41_580:
	s_or_b64 exec, exec, s[6:7]
	s_movk_i32 s4, 0x7f
	v_cmp_gt_i16_sdwa s[6:7], v12, s4 src0_sel:BYTE_0 src1_sel:DWORD
	s_mov_b64 s[4:5], 0
                                        ; implicit-def: $sgpr10
	s_and_saveexec_b64 s[8:9], s[6:7]
	s_xor_b64 s[6:7], exec, s[8:9]
	s_cbranch_execnz .LBB41_2629
; %bb.581:
	s_or_saveexec_b64 s[6:7], s[6:7]
	v_mov_b32_e32 v11, s10
	s_xor_b64 exec, exec, s[6:7]
	s_cbranch_execnz .LBB41_2632
.LBB41_582:
	s_or_b64 exec, exec, s[6:7]
	s_and_saveexec_b64 s[6:7], s[4:5]
	s_cbranch_execz .LBB41_584
.LBB41_583:
	v_and_b32_e32 v11, 7, v12
	v_ffbh_u32_e32 v15, v11
	v_min_u32_e32 v15, 32, v15
	v_lshrrev_b16_e32 v14, 3, v12
	v_subrev_u32_e32 v20, 28, v15
	v_and_b32_e32 v14, 15, v14
	v_lshlrev_b32_e32 v20, v20, v12
	v_sub_u32_e32 v15, 29, v15
	v_and_b32_e32 v20, 7, v20
	v_cmp_eq_u16_e32 vcc, 0, v14
	v_cndmask_b32_e32 v11, v11, v20, vcc
	v_cndmask_b32_e32 v14, v14, v15, vcc
	v_lshlrev_b32_e32 v15, 24, v12
	v_mov_b32_e32 v20, 0x3b800000
	v_lshlrev_b32_e32 v11, 20, v11
	v_and_b32_e32 v15, 0x80000000, v15
	v_lshl_add_u32 v14, v14, 23, v20
	v_or3_b32 v11, v15, v14, v11
.LBB41_584:
	s_or_b64 exec, exec, s[6:7]
	s_nop 0
	v_mfma_f32_16x16x4f32 a[0:3], v10, v11, a[0:3]
	v_lshrrev_b32_e32 v11, 8, v16
	s_movk_i32 s4, 0x7f
	v_cmp_gt_i16_sdwa s[6:7], v11, s4 src0_sel:BYTE_0 src1_sel:DWORD
	s_mov_b64 s[4:5], 0
                                        ; implicit-def: $sgpr10
	s_and_saveexec_b64 s[8:9], s[6:7]
	s_xor_b64 s[6:7], exec, s[8:9]
	s_cbranch_execnz .LBB41_2633
; %bb.585:
	s_or_saveexec_b64 s[6:7], s[6:7]
	v_mov_b32_e32 v10, s10
	s_xor_b64 exec, exec, s[6:7]
	s_cbranch_execnz .LBB41_2636
.LBB41_586:
	s_or_b64 exec, exec, s[6:7]
	s_and_saveexec_b64 s[6:7], s[4:5]
	s_cbranch_execz .LBB41_588
.LBB41_587:
	v_bfe_u32 v10, v16, 8, 3
	v_ffbh_u32_e32 v15, v10
	v_min_u32_e32 v15, 32, v15
	v_lshrrev_b16_e32 v14, 3, v11
	v_subrev_u32_e32 v20, 28, v15
	v_and_b32_e32 v14, 15, v14
	v_lshlrev_b32_e32 v11, v20, v11
	v_sub_u32_e32 v15, 29, v15
	v_and_b32_e32 v11, 7, v11
	v_cmp_eq_u16_e32 vcc, 0, v14
	v_cndmask_b32_e32 v10, v10, v11, vcc
	v_cndmask_b32_e32 v11, v14, v15, vcc
	v_lshlrev_b32_e32 v14, 16, v16
	v_mov_b32_e32 v15, 0x3b800000
	v_lshlrev_b32_e32 v10, 20, v10
	v_and_b32_e32 v14, 0x80000000, v14
	v_lshl_add_u32 v11, v11, 23, v15
	v_or3_b32 v10, v14, v11, v10
.LBB41_588:
	s_or_b64 exec, exec, s[6:7]
	v_lshrrev_b32_e32 v11, 8, v12
	s_movk_i32 s4, 0x7f
	v_cmp_gt_i16_sdwa s[6:7], v11, s4 src0_sel:BYTE_0 src1_sel:DWORD
	s_mov_b64 s[4:5], 0
                                        ; implicit-def: $sgpr10
	s_and_saveexec_b64 s[8:9], s[6:7]
	s_xor_b64 s[6:7], exec, s[8:9]
	s_cbranch_execnz .LBB41_2637
; %bb.589:
	s_or_saveexec_b64 s[6:7], s[6:7]
	v_mov_b32_e32 v14, s10
	s_xor_b64 exec, exec, s[6:7]
	s_cbranch_execnz .LBB41_2640
.LBB41_590:
	s_or_b64 exec, exec, s[6:7]
	s_and_saveexec_b64 s[6:7], s[4:5]
	s_cbranch_execz .LBB41_592
.LBB41_591:
	v_bfe_u32 v14, v12, 8, 3
	v_ffbh_u32_e32 v20, v14
	v_min_u32_e32 v20, 32, v20
	v_lshrrev_b16_e32 v15, 3, v11
	v_subrev_u32_e32 v21, 28, v20
	v_and_b32_e32 v15, 15, v15
	v_lshlrev_b32_e32 v11, v21, v11
	v_sub_u32_e32 v20, 29, v20
	v_and_b32_e32 v11, 7, v11
	v_cmp_eq_u16_e32 vcc, 0, v15
	v_cndmask_b32_e32 v11, v14, v11, vcc
	v_cndmask_b32_e32 v14, v15, v20, vcc
	v_lshlrev_b32_e32 v15, 16, v12
	v_mov_b32_e32 v20, 0x3b800000
	v_lshlrev_b32_e32 v11, 20, v11
	v_and_b32_e32 v15, 0x80000000, v15
	v_lshl_add_u32 v14, v14, 23, v20
	v_or3_b32 v14, v15, v14, v11
.LBB41_592:
	s_or_b64 exec, exec, s[6:7]
	s_nop 0
	v_mfma_f32_16x16x4f32 a[0:3], v10, v14, a[0:3]
	s_movk_i32 s4, 0xff
	v_and_b32_sdwa v11, v16, s4 dst_sel:DWORD dst_unused:UNUSED_PAD src0_sel:WORD_1 src1_sel:DWORD
	s_movk_i32 s4, 0x7f
	v_cmp_lt_i16_e32 vcc, s4, v11
	s_mov_b64 s[4:5], 0
                                        ; implicit-def: $sgpr10
	s_and_saveexec_b64 s[6:7], vcc
	s_xor_b64 s[6:7], exec, s[6:7]
	s_cbranch_execnz .LBB41_2641
; %bb.593:
	s_or_saveexec_b64 s[6:7], s[6:7]
	v_mov_b32_e32 v10, s10
	s_xor_b64 exec, exec, s[6:7]
	s_cbranch_execnz .LBB41_2644
.LBB41_594:
	s_or_b64 exec, exec, s[6:7]
	s_and_saveexec_b64 s[6:7], s[4:5]
	s_cbranch_execz .LBB41_596
.LBB41_595:
	v_bfe_u32 v10, v16, 16, 3
	v_ffbh_u32_e32 v15, v10
	v_min_u32_e32 v15, 32, v15
	v_lshrrev_b32_e32 v11, 19, v16
	v_subrev_u32_e32 v20, 28, v15
	v_and_b32_e32 v11, 15, v11
	v_lshlrev_b32_sdwa v20, v20, v16 dst_sel:DWORD dst_unused:UNUSED_PAD src0_sel:DWORD src1_sel:WORD_1
	v_bfe_u32 v14, v16, 19, 4
	v_sub_u32_e32 v15, 29, v15
	v_and_b32_e32 v20, 7, v20
	v_cmp_eq_u16_e32 vcc, 0, v11
	v_cndmask_b32_e32 v10, v10, v20, vcc
	v_cndmask_b32_e32 v11, v14, v15, vcc
	v_lshlrev_b32_e32 v14, 8, v16
	v_mov_b32_e32 v15, 0x3b800000
	v_lshlrev_b32_e32 v10, 20, v10
	v_and_b32_e32 v14, 0x80000000, v14
	v_lshl_add_u32 v11, v11, 23, v15
	v_or3_b32 v10, v14, v11, v10
.LBB41_596:
	s_or_b64 exec, exec, s[6:7]
	s_movk_i32 s4, 0xff
	v_and_b32_sdwa v11, v12, s4 dst_sel:DWORD dst_unused:UNUSED_PAD src0_sel:WORD_1 src1_sel:DWORD
	s_movk_i32 s4, 0x7f
	v_cmp_lt_i16_e32 vcc, s4, v11
	s_mov_b64 s[4:5], 0
                                        ; implicit-def: $sgpr10
	s_and_saveexec_b64 s[6:7], vcc
	s_xor_b64 s[6:7], exec, s[6:7]
	s_cbranch_execnz .LBB41_2645
; %bb.597:
	s_or_saveexec_b64 s[6:7], s[6:7]
	v_mov_b32_e32 v14, s10
	s_xor_b64 exec, exec, s[6:7]
	s_cbranch_execnz .LBB41_2648
.LBB41_598:
	s_or_b64 exec, exec, s[6:7]
	s_and_saveexec_b64 s[6:7], s[4:5]
	s_cbranch_execz .LBB41_600
.LBB41_599:
	v_bfe_u32 v11, v12, 16, 3
	v_ffbh_u32_e32 v20, v11
	v_min_u32_e32 v20, 32, v20
	v_lshrrev_b32_e32 v14, 19, v12
	v_subrev_u32_e32 v21, 28, v20
	v_and_b32_e32 v14, 15, v14
	v_lshlrev_b32_sdwa v21, v21, v12 dst_sel:DWORD dst_unused:UNUSED_PAD src0_sel:DWORD src1_sel:WORD_1
	v_bfe_u32 v15, v12, 19, 4
	v_sub_u32_e32 v20, 29, v20
	v_and_b32_e32 v21, 7, v21
	v_cmp_eq_u16_e32 vcc, 0, v14
	v_cndmask_b32_e32 v11, v11, v21, vcc
	v_cndmask_b32_e32 v14, v15, v20, vcc
	v_lshlrev_b32_e32 v15, 8, v12
	v_mov_b32_e32 v20, 0x3b800000
	v_lshlrev_b32_e32 v11, 20, v11
	v_and_b32_e32 v15, 0x80000000, v15
	v_lshl_add_u32 v14, v14, 23, v20
	v_or3_b32 v14, v15, v14, v11
.LBB41_600:
	s_or_b64 exec, exec, s[6:7]
	s_nop 0
	v_mfma_f32_16x16x4f32 a[0:3], v10, v14, a[0:3]
	s_movk_i32 s4, 0x7f
	v_cmp_gt_i16_sdwa s[6:7], v16, s4 src0_sel:BYTE_3 src1_sel:DWORD
	s_mov_b64 s[4:5], 0
                                        ; implicit-def: $sgpr10
	s_and_saveexec_b64 s[8:9], s[6:7]
	s_xor_b64 s[6:7], exec, s[8:9]
	s_cbranch_execnz .LBB41_2649
; %bb.601:
	s_or_saveexec_b64 s[6:7], s[6:7]
	v_mov_b32_e32 v10, s10
	s_xor_b64 exec, exec, s[6:7]
	s_cbranch_execnz .LBB41_2652
.LBB41_602:
	s_or_b64 exec, exec, s[6:7]
	s_and_saveexec_b64 s[6:7], s[4:5]
	s_cbranch_execz .LBB41_604
.LBB41_603:
	v_bfe_u32 v10, v16, 24, 3
	v_ffbh_u32_e32 v20, v10
	v_min_u32_e32 v20, 32, v20
	v_lshrrev_b32_e32 v14, 27, v16
	v_subrev_u32_e32 v21, 28, v20
	v_and_b32_e32 v11, 0x80000000, v16
	v_and_b32_e32 v14, 15, v14
	v_bfe_u32 v15, v16, 27, 4
	v_lshlrev_b32_sdwa v16, v21, v16 dst_sel:DWORD dst_unused:UNUSED_PAD src0_sel:DWORD src1_sel:BYTE_3
	v_sub_u32_e32 v20, 29, v20
	v_and_b32_e32 v16, 7, v16
	v_cmp_eq_u16_e32 vcc, 0, v14
	v_cndmask_b32_e32 v10, v10, v16, vcc
	v_cndmask_b32_e32 v14, v15, v20, vcc
	v_mov_b32_e32 v15, 0x3b800000
	v_lshlrev_b32_e32 v10, 20, v10
	v_lshl_add_u32 v14, v14, 23, v15
	v_or3_b32 v10, v11, v14, v10
.LBB41_604:
	s_or_b64 exec, exec, s[6:7]
	s_movk_i32 s4, 0x7f
	v_cmp_gt_i16_sdwa s[6:7], v12, s4 src0_sel:BYTE_3 src1_sel:DWORD
	s_mov_b64 s[4:5], 0
                                        ; implicit-def: $sgpr10
	s_and_saveexec_b64 s[8:9], s[6:7]
	s_xor_b64 s[6:7], exec, s[8:9]
	s_cbranch_execnz .LBB41_2653
; %bb.605:
	s_or_saveexec_b64 s[6:7], s[6:7]
	v_mov_b32_e32 v11, s10
	s_xor_b64 exec, exec, s[6:7]
	s_cbranch_execnz .LBB41_2656
.LBB41_606:
	s_or_b64 exec, exec, s[6:7]
	s_and_saveexec_b64 s[6:7], s[4:5]
	s_cbranch_execz .LBB41_608
.LBB41_607:
	v_bfe_u32 v11, v12, 24, 3
	v_ffbh_u32_e32 v20, v11
	v_min_u32_e32 v20, 32, v20
	v_lshrrev_b32_e32 v15, 27, v12
	v_subrev_u32_e32 v21, 28, v20
	v_and_b32_e32 v14, 0x80000000, v12
	v_and_b32_e32 v15, 15, v15
	v_bfe_u32 v16, v12, 27, 4
	v_lshlrev_b32_sdwa v12, v21, v12 dst_sel:DWORD dst_unused:UNUSED_PAD src0_sel:DWORD src1_sel:BYTE_3
	v_sub_u32_e32 v20, 29, v20
	v_and_b32_e32 v12, 7, v12
	v_cmp_eq_u16_e32 vcc, 0, v15
	v_cndmask_b32_e32 v11, v11, v12, vcc
	v_cndmask_b32_e32 v12, v16, v20, vcc
	v_mov_b32_e32 v15, 0x3b800000
	v_lshlrev_b32_e32 v11, 20, v11
	v_lshl_add_u32 v12, v12, 23, v15
	v_or3_b32 v11, v14, v12, v11
.LBB41_608:
	s_or_b64 exec, exec, s[6:7]
	s_nop 0
	v_mfma_f32_16x16x4f32 a[0:3], v10, v11, a[0:3]
	s_movk_i32 s4, 0x7f
	v_cmp_gt_i16_sdwa s[6:7], v17, s4 src0_sel:BYTE_0 src1_sel:DWORD
	s_mov_b64 s[4:5], 0
                                        ; implicit-def: $sgpr10
	s_and_saveexec_b64 s[8:9], s[6:7]
	s_xor_b64 s[6:7], exec, s[8:9]
	s_cbranch_execnz .LBB41_2657
; %bb.609:
	s_or_saveexec_b64 s[6:7], s[6:7]
	v_mov_b32_e32 v10, s10
	s_xor_b64 exec, exec, s[6:7]
	s_cbranch_execnz .LBB41_2660
.LBB41_610:
	s_or_b64 exec, exec, s[6:7]
	s_and_saveexec_b64 s[6:7], s[4:5]
	s_cbranch_execz .LBB41_612
.LBB41_611:
	v_and_b32_e32 v10, 7, v17
	v_ffbh_u32_e32 v12, v10
	v_min_u32_e32 v12, 32, v12
	v_lshrrev_b16_e32 v11, 3, v17
	v_subrev_u32_e32 v14, 28, v12
	v_and_b32_e32 v11, 15, v11
	v_lshlrev_b32_e32 v14, v14, v17
	v_sub_u32_e32 v12, 29, v12
	v_and_b32_e32 v14, 7, v14
	v_cmp_eq_u16_e32 vcc, 0, v11
	v_cndmask_b32_e32 v10, v10, v14, vcc
	v_cndmask_b32_e32 v11, v11, v12, vcc
	v_lshlrev_b32_e32 v12, 24, v17
	v_mov_b32_e32 v14, 0x3b800000
	v_lshlrev_b32_e32 v10, 20, v10
	v_and_b32_e32 v12, 0x80000000, v12
	v_lshl_add_u32 v11, v11, 23, v14
	v_or3_b32 v10, v12, v11, v10
.LBB41_612:
	s_or_b64 exec, exec, s[6:7]
	s_movk_i32 s4, 0x7f
	v_cmp_gt_i16_sdwa s[6:7], v13, s4 src0_sel:BYTE_0 src1_sel:DWORD
	s_mov_b64 s[4:5], 0
                                        ; implicit-def: $sgpr10
	s_and_saveexec_b64 s[8:9], s[6:7]
	s_xor_b64 s[6:7], exec, s[8:9]
	s_cbranch_execnz .LBB41_2661
; %bb.613:
	s_or_saveexec_b64 s[6:7], s[6:7]
	v_mov_b32_e32 v11, s10
	s_xor_b64 exec, exec, s[6:7]
	s_cbranch_execnz .LBB41_2664
.LBB41_614:
	s_or_b64 exec, exec, s[6:7]
	s_and_saveexec_b64 s[6:7], s[4:5]
	s_cbranch_execz .LBB41_616
.LBB41_615:
	v_and_b32_e32 v11, 7, v13
	v_ffbh_u32_e32 v14, v11
	v_min_u32_e32 v14, 32, v14
	v_lshrrev_b16_e32 v12, 3, v13
	v_subrev_u32_e32 v15, 28, v14
	v_and_b32_e32 v12, 15, v12
	v_lshlrev_b32_e32 v15, v15, v13
	v_sub_u32_e32 v14, 29, v14
	v_and_b32_e32 v15, 7, v15
	v_cmp_eq_u16_e32 vcc, 0, v12
	v_cndmask_b32_e32 v11, v11, v15, vcc
	v_cndmask_b32_e32 v12, v12, v14, vcc
	v_lshlrev_b32_e32 v14, 24, v13
	v_mov_b32_e32 v15, 0x3b800000
	v_lshlrev_b32_e32 v11, 20, v11
	v_and_b32_e32 v14, 0x80000000, v14
	v_lshl_add_u32 v12, v12, 23, v15
	v_or3_b32 v11, v14, v12, v11
.LBB41_616:
	s_or_b64 exec, exec, s[6:7]
	s_nop 0
	v_mfma_f32_16x16x4f32 a[0:3], v10, v11, a[0:3]
	v_lshrrev_b32_e32 v11, 8, v17
	s_movk_i32 s4, 0x7f
	v_cmp_gt_i16_sdwa s[6:7], v11, s4 src0_sel:BYTE_0 src1_sel:DWORD
	s_mov_b64 s[4:5], 0
                                        ; implicit-def: $sgpr10
	s_and_saveexec_b64 s[8:9], s[6:7]
	s_xor_b64 s[6:7], exec, s[8:9]
	s_cbranch_execnz .LBB41_2665
; %bb.617:
	s_or_saveexec_b64 s[6:7], s[6:7]
	v_mov_b32_e32 v10, s10
	s_xor_b64 exec, exec, s[6:7]
	s_cbranch_execnz .LBB41_2668
.LBB41_618:
	s_or_b64 exec, exec, s[6:7]
	s_and_saveexec_b64 s[6:7], s[4:5]
	s_cbranch_execz .LBB41_620
.LBB41_619:
	v_bfe_u32 v10, v17, 8, 3
	v_ffbh_u32_e32 v14, v10
	v_min_u32_e32 v14, 32, v14
	v_lshrrev_b16_e32 v12, 3, v11
	v_subrev_u32_e32 v15, 28, v14
	v_and_b32_e32 v12, 15, v12
	v_lshlrev_b32_e32 v11, v15, v11
	v_sub_u32_e32 v14, 29, v14
	v_and_b32_e32 v11, 7, v11
	v_cmp_eq_u16_e32 vcc, 0, v12
	v_cndmask_b32_e32 v10, v10, v11, vcc
	v_cndmask_b32_e32 v11, v12, v14, vcc
	v_lshlrev_b32_e32 v12, 16, v17
	v_mov_b32_e32 v14, 0x3b800000
	v_lshlrev_b32_e32 v10, 20, v10
	v_and_b32_e32 v12, 0x80000000, v12
	v_lshl_add_u32 v11, v11, 23, v14
	v_or3_b32 v10, v12, v11, v10
.LBB41_620:
	s_or_b64 exec, exec, s[6:7]
	v_lshrrev_b32_e32 v11, 8, v13
	s_movk_i32 s4, 0x7f
	v_cmp_gt_i16_sdwa s[6:7], v11, s4 src0_sel:BYTE_0 src1_sel:DWORD
	s_mov_b64 s[4:5], 0
                                        ; implicit-def: $sgpr10
	s_and_saveexec_b64 s[8:9], s[6:7]
	s_xor_b64 s[6:7], exec, s[8:9]
	s_cbranch_execnz .LBB41_2669
; %bb.621:
	s_or_saveexec_b64 s[6:7], s[6:7]
	v_mov_b32_e32 v12, s10
	s_xor_b64 exec, exec, s[6:7]
	s_cbranch_execnz .LBB41_2672
.LBB41_622:
	s_or_b64 exec, exec, s[6:7]
	s_and_saveexec_b64 s[6:7], s[4:5]
	s_cbranch_execz .LBB41_624
.LBB41_623:
	v_bfe_u32 v12, v13, 8, 3
	v_ffbh_u32_e32 v15, v12
	v_min_u32_e32 v15, 32, v15
	v_lshrrev_b16_e32 v14, 3, v11
	v_subrev_u32_e32 v16, 28, v15
	v_and_b32_e32 v14, 15, v14
	v_lshlrev_b32_e32 v11, v16, v11
	v_sub_u32_e32 v15, 29, v15
	v_and_b32_e32 v11, 7, v11
	v_cmp_eq_u16_e32 vcc, 0, v14
	v_cndmask_b32_e32 v11, v12, v11, vcc
	v_cndmask_b32_e32 v12, v14, v15, vcc
	v_lshlrev_b32_e32 v14, 16, v13
	v_mov_b32_e32 v15, 0x3b800000
	v_lshlrev_b32_e32 v11, 20, v11
	v_and_b32_e32 v14, 0x80000000, v14
	v_lshl_add_u32 v12, v12, 23, v15
	v_or3_b32 v12, v14, v12, v11
.LBB41_624:
	s_or_b64 exec, exec, s[6:7]
	s_nop 0
	v_mfma_f32_16x16x4f32 a[0:3], v10, v12, a[0:3]
	s_movk_i32 s4, 0xff
	v_and_b32_sdwa v11, v17, s4 dst_sel:DWORD dst_unused:UNUSED_PAD src0_sel:WORD_1 src1_sel:DWORD
	s_movk_i32 s4, 0x7f
	v_cmp_lt_i16_e32 vcc, s4, v11
	s_mov_b64 s[4:5], 0
                                        ; implicit-def: $sgpr10
	s_and_saveexec_b64 s[6:7], vcc
	s_xor_b64 s[6:7], exec, s[6:7]
	s_cbranch_execnz .LBB41_2673
; %bb.625:
	s_or_saveexec_b64 s[6:7], s[6:7]
	v_mov_b32_e32 v10, s10
	s_xor_b64 exec, exec, s[6:7]
	s_cbranch_execnz .LBB41_2676
.LBB41_626:
	s_or_b64 exec, exec, s[6:7]
	s_and_saveexec_b64 s[6:7], s[4:5]
	s_cbranch_execz .LBB41_628
.LBB41_627:
	v_bfe_u32 v10, v17, 16, 3
	v_ffbh_u32_e32 v14, v10
	v_min_u32_e32 v14, 32, v14
	v_lshrrev_b32_e32 v11, 19, v17
	v_subrev_u32_e32 v15, 28, v14
	v_and_b32_e32 v11, 15, v11
	v_lshlrev_b32_sdwa v15, v15, v17 dst_sel:DWORD dst_unused:UNUSED_PAD src0_sel:DWORD src1_sel:WORD_1
	v_bfe_u32 v12, v17, 19, 4
	v_sub_u32_e32 v14, 29, v14
	v_and_b32_e32 v15, 7, v15
	v_cmp_eq_u16_e32 vcc, 0, v11
	v_cndmask_b32_e32 v10, v10, v15, vcc
	v_cndmask_b32_e32 v11, v12, v14, vcc
	v_lshlrev_b32_e32 v12, 8, v17
	v_mov_b32_e32 v14, 0x3b800000
	v_lshlrev_b32_e32 v10, 20, v10
	v_and_b32_e32 v12, 0x80000000, v12
	v_lshl_add_u32 v11, v11, 23, v14
	v_or3_b32 v10, v12, v11, v10
.LBB41_628:
	s_or_b64 exec, exec, s[6:7]
	s_movk_i32 s4, 0xff
	v_and_b32_sdwa v11, v13, s4 dst_sel:DWORD dst_unused:UNUSED_PAD src0_sel:WORD_1 src1_sel:DWORD
	s_movk_i32 s4, 0x7f
	v_cmp_lt_i16_e32 vcc, s4, v11
	s_mov_b64 s[4:5], 0
                                        ; implicit-def: $sgpr10
	s_and_saveexec_b64 s[6:7], vcc
	s_xor_b64 s[6:7], exec, s[6:7]
	s_cbranch_execnz .LBB41_2677
; %bb.629:
	s_or_saveexec_b64 s[6:7], s[6:7]
	v_mov_b32_e32 v12, s10
	s_xor_b64 exec, exec, s[6:7]
	s_cbranch_execnz .LBB41_2680
.LBB41_630:
	s_or_b64 exec, exec, s[6:7]
	s_and_saveexec_b64 s[6:7], s[4:5]
	s_cbranch_execz .LBB41_632
.LBB41_631:
	v_bfe_u32 v11, v13, 16, 3
	v_ffbh_u32_e32 v15, v11
	v_min_u32_e32 v15, 32, v15
	v_lshrrev_b32_e32 v12, 19, v13
	v_subrev_u32_e32 v16, 28, v15
	v_and_b32_e32 v12, 15, v12
	v_lshlrev_b32_sdwa v16, v16, v13 dst_sel:DWORD dst_unused:UNUSED_PAD src0_sel:DWORD src1_sel:WORD_1
	v_bfe_u32 v14, v13, 19, 4
	v_sub_u32_e32 v15, 29, v15
	v_and_b32_e32 v16, 7, v16
	v_cmp_eq_u16_e32 vcc, 0, v12
	v_cndmask_b32_e32 v11, v11, v16, vcc
	v_cndmask_b32_e32 v12, v14, v15, vcc
	v_lshlrev_b32_e32 v14, 8, v13
	v_mov_b32_e32 v15, 0x3b800000
	v_lshlrev_b32_e32 v11, 20, v11
	v_and_b32_e32 v14, 0x80000000, v14
	v_lshl_add_u32 v12, v12, 23, v15
	v_or3_b32 v12, v14, v12, v11
.LBB41_632:
	s_or_b64 exec, exec, s[6:7]
	s_nop 0
	v_mfma_f32_16x16x4f32 a[0:3], v10, v12, a[0:3]
	s_movk_i32 s4, 0x7f
	v_cmp_gt_i16_sdwa s[6:7], v17, s4 src0_sel:BYTE_3 src1_sel:DWORD
	s_mov_b64 s[4:5], 0
                                        ; implicit-def: $sgpr10
	s_and_saveexec_b64 s[8:9], s[6:7]
	s_xor_b64 s[6:7], exec, s[8:9]
	s_cbranch_execnz .LBB41_2681
; %bb.633:
	s_or_saveexec_b64 s[6:7], s[6:7]
	v_mov_b32_e32 v10, s10
	s_xor_b64 exec, exec, s[6:7]
	s_cbranch_execnz .LBB41_2684
.LBB41_634:
	s_or_b64 exec, exec, s[6:7]
	s_and_saveexec_b64 s[6:7], s[4:5]
	s_cbranch_execz .LBB41_636
.LBB41_635:
	v_bfe_u32 v10, v17, 24, 3
	v_ffbh_u32_e32 v15, v10
	v_min_u32_e32 v15, 32, v15
	v_lshrrev_b32_e32 v12, 27, v17
	v_subrev_u32_e32 v16, 28, v15
	v_and_b32_e32 v12, 15, v12
	v_lshlrev_b32_sdwa v16, v16, v17 dst_sel:DWORD dst_unused:UNUSED_PAD src0_sel:DWORD src1_sel:BYTE_3
	v_bfe_u32 v14, v17, 27, 4
	v_sub_u32_e32 v15, 29, v15
	v_and_b32_e32 v16, 7, v16
	v_cmp_eq_u16_e32 vcc, 0, v12
	v_cndmask_b32_e32 v10, v10, v16, vcc
	v_cndmask_b32_e32 v12, v14, v15, vcc
	v_mov_b32_e32 v14, 0x3b800000
	v_and_b32_e32 v11, 0x80000000, v17
	v_lshlrev_b32_e32 v10, 20, v10
	v_lshl_add_u32 v12, v12, 23, v14
	v_or3_b32 v10, v11, v12, v10
.LBB41_636:
	s_or_b64 exec, exec, s[6:7]
	s_movk_i32 s4, 0x7f
	v_cmp_gt_i16_sdwa s[6:7], v13, s4 src0_sel:BYTE_3 src1_sel:DWORD
	s_mov_b64 s[4:5], 0
                                        ; implicit-def: $sgpr10
	s_and_saveexec_b64 s[8:9], s[6:7]
	s_xor_b64 s[6:7], exec, s[8:9]
	s_cbranch_execnz .LBB41_2685
; %bb.637:
	s_or_saveexec_b64 s[6:7], s[6:7]
	v_mov_b32_e32 v11, s10
	s_xor_b64 exec, exec, s[6:7]
	s_cbranch_execnz .LBB41_2688
.LBB41_638:
	s_or_b64 exec, exec, s[6:7]
	s_and_saveexec_b64 s[6:7], s[4:5]
	s_cbranch_execz .LBB41_640
.LBB41_639:
	v_bfe_u32 v11, v13, 24, 3
	v_ffbh_u32_e32 v16, v11
	v_min_u32_e32 v16, 32, v16
	v_lshrrev_b32_e32 v14, 27, v13
	v_subrev_u32_e32 v17, 28, v16
	v_and_b32_e32 v12, 0x80000000, v13
	v_and_b32_e32 v14, 15, v14
	v_bfe_u32 v15, v13, 27, 4
	v_lshlrev_b32_sdwa v13, v17, v13 dst_sel:DWORD dst_unused:UNUSED_PAD src0_sel:DWORD src1_sel:BYTE_3
	v_sub_u32_e32 v16, 29, v16
	v_and_b32_e32 v13, 7, v13
	v_cmp_eq_u16_e32 vcc, 0, v14
	v_cndmask_b32_e32 v11, v11, v13, vcc
	v_cndmask_b32_e32 v13, v15, v16, vcc
	v_mov_b32_e32 v14, 0x3b800000
	v_lshlrev_b32_e32 v11, 20, v11
	v_lshl_add_u32 v13, v13, 23, v14
	v_or3_b32 v11, v12, v13, v11
.LBB41_640:
	s_or_b64 exec, exec, s[6:7]
	s_nop 0
	v_mfma_f32_16x16x4f32 a[0:3], v10, v11, a[0:3]
	s_movk_i32 s4, 0x7f
	v_cmp_gt_i16_sdwa s[6:7], v6, s4 src0_sel:BYTE_0 src1_sel:DWORD
	s_mov_b64 s[4:5], 0
                                        ; implicit-def: $sgpr10
	s_and_saveexec_b64 s[8:9], s[6:7]
	s_xor_b64 s[6:7], exec, s[8:9]
	s_cbranch_execnz .LBB41_2689
; %bb.641:
	s_or_saveexec_b64 s[6:7], s[6:7]
	v_mov_b32_e32 v10, s10
	s_xor_b64 exec, exec, s[6:7]
	s_cbranch_execnz .LBB41_2692
.LBB41_642:
	s_or_b64 exec, exec, s[6:7]
	s_and_saveexec_b64 s[6:7], s[4:5]
	s_cbranch_execz .LBB41_644
.LBB41_643:
	v_and_b32_e32 v10, 7, v6
	v_ffbh_u32_e32 v12, v10
	v_min_u32_e32 v12, 32, v12
	v_lshrrev_b16_e32 v11, 3, v6
	v_subrev_u32_e32 v13, 28, v12
	v_and_b32_e32 v11, 15, v11
	v_lshlrev_b32_e32 v13, v13, v6
	v_sub_u32_e32 v12, 29, v12
	v_and_b32_e32 v13, 7, v13
	v_cmp_eq_u16_e32 vcc, 0, v11
	v_cndmask_b32_e32 v10, v10, v13, vcc
	v_cndmask_b32_e32 v11, v11, v12, vcc
	v_lshlrev_b32_e32 v12, 24, v6
	v_mov_b32_e32 v13, 0x3b800000
	v_lshlrev_b32_e32 v10, 20, v10
	v_and_b32_e32 v12, 0x80000000, v12
	v_lshl_add_u32 v11, v11, 23, v13
	v_or3_b32 v10, v12, v11, v10
.LBB41_644:
	s_or_b64 exec, exec, s[6:7]
	s_movk_i32 s4, 0x7f
	v_cmp_gt_i16_sdwa s[6:7], v2, s4 src0_sel:BYTE_0 src1_sel:DWORD
	s_mov_b64 s[4:5], 0
                                        ; implicit-def: $sgpr10
	s_and_saveexec_b64 s[8:9], s[6:7]
	s_xor_b64 s[6:7], exec, s[8:9]
	s_cbranch_execnz .LBB41_2693
; %bb.645:
	s_or_saveexec_b64 s[6:7], s[6:7]
	v_mov_b32_e32 v11, s10
	s_xor_b64 exec, exec, s[6:7]
	s_cbranch_execnz .LBB41_2696
.LBB41_646:
	s_or_b64 exec, exec, s[6:7]
	s_and_saveexec_b64 s[6:7], s[4:5]
	s_cbranch_execz .LBB41_648
.LBB41_647:
	v_and_b32_e32 v11, 7, v2
	v_ffbh_u32_e32 v13, v11
	v_min_u32_e32 v13, 32, v13
	v_lshrrev_b16_e32 v12, 3, v2
	v_subrev_u32_e32 v14, 28, v13
	v_and_b32_e32 v12, 15, v12
	v_lshlrev_b32_e32 v14, v14, v2
	v_sub_u32_e32 v13, 29, v13
	v_and_b32_e32 v14, 7, v14
	v_cmp_eq_u16_e32 vcc, 0, v12
	v_cndmask_b32_e32 v11, v11, v14, vcc
	v_cndmask_b32_e32 v12, v12, v13, vcc
	v_lshlrev_b32_e32 v13, 24, v2
	v_mov_b32_e32 v14, 0x3b800000
	v_lshlrev_b32_e32 v11, 20, v11
	v_and_b32_e32 v13, 0x80000000, v13
	v_lshl_add_u32 v12, v12, 23, v14
	v_or3_b32 v11, v13, v12, v11
.LBB41_648:
	s_or_b64 exec, exec, s[6:7]
	s_nop 0
	v_mfma_f32_16x16x4f32 a[0:3], v10, v11, a[0:3]
	v_lshrrev_b32_e32 v11, 8, v6
	s_movk_i32 s4, 0x7f
	v_cmp_gt_i16_sdwa s[6:7], v11, s4 src0_sel:BYTE_0 src1_sel:DWORD
	s_mov_b64 s[4:5], 0
                                        ; implicit-def: $sgpr10
	s_and_saveexec_b64 s[8:9], s[6:7]
	s_xor_b64 s[6:7], exec, s[8:9]
	s_cbranch_execnz .LBB41_2697
; %bb.649:
	s_or_saveexec_b64 s[6:7], s[6:7]
	v_mov_b32_e32 v10, s10
	s_xor_b64 exec, exec, s[6:7]
	s_cbranch_execnz .LBB41_2700
.LBB41_650:
	s_or_b64 exec, exec, s[6:7]
	s_and_saveexec_b64 s[6:7], s[4:5]
	s_cbranch_execz .LBB41_652
.LBB41_651:
	v_bfe_u32 v10, v6, 8, 3
	v_ffbh_u32_e32 v13, v10
	v_min_u32_e32 v13, 32, v13
	v_lshrrev_b16_e32 v12, 3, v11
	v_subrev_u32_e32 v14, 28, v13
	v_and_b32_e32 v12, 15, v12
	v_lshlrev_b32_e32 v11, v14, v11
	v_sub_u32_e32 v13, 29, v13
	v_and_b32_e32 v11, 7, v11
	v_cmp_eq_u16_e32 vcc, 0, v12
	v_cndmask_b32_e32 v10, v10, v11, vcc
	v_cndmask_b32_e32 v11, v12, v13, vcc
	v_lshlrev_b32_e32 v12, 16, v6
	v_mov_b32_e32 v13, 0x3b800000
	v_lshlrev_b32_e32 v10, 20, v10
	v_and_b32_e32 v12, 0x80000000, v12
	v_lshl_add_u32 v11, v11, 23, v13
	v_or3_b32 v10, v12, v11, v10
.LBB41_652:
	s_or_b64 exec, exec, s[6:7]
	v_lshrrev_b32_e32 v11, 8, v2
	s_movk_i32 s4, 0x7f
	v_cmp_gt_i16_sdwa s[6:7], v11, s4 src0_sel:BYTE_0 src1_sel:DWORD
	s_mov_b64 s[4:5], 0
                                        ; implicit-def: $sgpr10
	s_and_saveexec_b64 s[8:9], s[6:7]
	s_xor_b64 s[6:7], exec, s[8:9]
	s_cbranch_execnz .LBB41_2701
; %bb.653:
	s_or_saveexec_b64 s[6:7], s[6:7]
	v_mov_b32_e32 v12, s10
	s_xor_b64 exec, exec, s[6:7]
	s_cbranch_execnz .LBB41_2704
.LBB41_654:
	s_or_b64 exec, exec, s[6:7]
	s_and_saveexec_b64 s[6:7], s[4:5]
	s_cbranch_execz .LBB41_656
.LBB41_655:
	v_bfe_u32 v12, v2, 8, 3
	v_ffbh_u32_e32 v14, v12
	v_min_u32_e32 v14, 32, v14
	v_lshrrev_b16_e32 v13, 3, v11
	v_subrev_u32_e32 v15, 28, v14
	v_and_b32_e32 v13, 15, v13
	v_lshlrev_b32_e32 v11, v15, v11
	v_sub_u32_e32 v14, 29, v14
	v_and_b32_e32 v11, 7, v11
	v_cmp_eq_u16_e32 vcc, 0, v13
	v_cndmask_b32_e32 v11, v12, v11, vcc
	v_cndmask_b32_e32 v12, v13, v14, vcc
	v_lshlrev_b32_e32 v13, 16, v2
	v_mov_b32_e32 v14, 0x3b800000
	v_lshlrev_b32_e32 v11, 20, v11
	v_and_b32_e32 v13, 0x80000000, v13
	v_lshl_add_u32 v12, v12, 23, v14
	v_or3_b32 v12, v13, v12, v11
.LBB41_656:
	s_or_b64 exec, exec, s[6:7]
	s_nop 0
	v_mfma_f32_16x16x4f32 a[0:3], v10, v12, a[0:3]
	s_movk_i32 s4, 0xff
	v_and_b32_sdwa v11, v6, s4 dst_sel:DWORD dst_unused:UNUSED_PAD src0_sel:WORD_1 src1_sel:DWORD
	s_movk_i32 s4, 0x7f
	v_cmp_lt_i16_e32 vcc, s4, v11
	s_mov_b64 s[4:5], 0
                                        ; implicit-def: $sgpr10
	s_and_saveexec_b64 s[6:7], vcc
	s_xor_b64 s[6:7], exec, s[6:7]
	s_cbranch_execnz .LBB41_2705
; %bb.657:
	s_or_saveexec_b64 s[6:7], s[6:7]
	v_mov_b32_e32 v10, s10
	s_xor_b64 exec, exec, s[6:7]
	s_cbranch_execnz .LBB41_2708
.LBB41_658:
	s_or_b64 exec, exec, s[6:7]
	s_and_saveexec_b64 s[6:7], s[4:5]
	s_cbranch_execz .LBB41_660
.LBB41_659:
	v_bfe_u32 v10, v6, 16, 3
	v_ffbh_u32_e32 v13, v10
	v_min_u32_e32 v13, 32, v13
	v_lshrrev_b32_e32 v11, 19, v6
	v_subrev_u32_e32 v14, 28, v13
	v_and_b32_e32 v11, 15, v11
	v_lshlrev_b32_sdwa v14, v14, v6 dst_sel:DWORD dst_unused:UNUSED_PAD src0_sel:DWORD src1_sel:WORD_1
	v_bfe_u32 v12, v6, 19, 4
	v_sub_u32_e32 v13, 29, v13
	v_and_b32_e32 v14, 7, v14
	v_cmp_eq_u16_e32 vcc, 0, v11
	v_cndmask_b32_e32 v10, v10, v14, vcc
	v_cndmask_b32_e32 v11, v12, v13, vcc
	v_lshlrev_b32_e32 v12, 8, v6
	v_mov_b32_e32 v13, 0x3b800000
	v_lshlrev_b32_e32 v10, 20, v10
	v_and_b32_e32 v12, 0x80000000, v12
	v_lshl_add_u32 v11, v11, 23, v13
	v_or3_b32 v10, v12, v11, v10
.LBB41_660:
	s_or_b64 exec, exec, s[6:7]
	s_movk_i32 s4, 0xff
	v_and_b32_sdwa v11, v2, s4 dst_sel:DWORD dst_unused:UNUSED_PAD src0_sel:WORD_1 src1_sel:DWORD
	s_movk_i32 s4, 0x7f
	v_cmp_lt_i16_e32 vcc, s4, v11
	s_mov_b64 s[4:5], 0
                                        ; implicit-def: $sgpr10
	s_and_saveexec_b64 s[6:7], vcc
	s_xor_b64 s[6:7], exec, s[6:7]
	s_cbranch_execnz .LBB41_2709
; %bb.661:
	s_or_saveexec_b64 s[6:7], s[6:7]
	v_mov_b32_e32 v12, s10
	s_xor_b64 exec, exec, s[6:7]
	s_cbranch_execnz .LBB41_2712
.LBB41_662:
	s_or_b64 exec, exec, s[6:7]
	s_and_saveexec_b64 s[6:7], s[4:5]
	s_cbranch_execz .LBB41_664
.LBB41_663:
	v_bfe_u32 v11, v2, 16, 3
	v_ffbh_u32_e32 v14, v11
	v_min_u32_e32 v14, 32, v14
	v_lshrrev_b32_e32 v12, 19, v2
	v_subrev_u32_e32 v15, 28, v14
	v_and_b32_e32 v12, 15, v12
	v_lshlrev_b32_sdwa v15, v15, v2 dst_sel:DWORD dst_unused:UNUSED_PAD src0_sel:DWORD src1_sel:WORD_1
	v_bfe_u32 v13, v2, 19, 4
	v_sub_u32_e32 v14, 29, v14
	v_and_b32_e32 v15, 7, v15
	v_cmp_eq_u16_e32 vcc, 0, v12
	v_cndmask_b32_e32 v11, v11, v15, vcc
	v_cndmask_b32_e32 v12, v13, v14, vcc
	v_lshlrev_b32_e32 v13, 8, v2
	v_mov_b32_e32 v14, 0x3b800000
	v_lshlrev_b32_e32 v11, 20, v11
	v_and_b32_e32 v13, 0x80000000, v13
	v_lshl_add_u32 v12, v12, 23, v14
	v_or3_b32 v12, v13, v12, v11
.LBB41_664:
	s_or_b64 exec, exec, s[6:7]
	s_nop 0
	v_mfma_f32_16x16x4f32 a[0:3], v10, v12, a[0:3]
	s_movk_i32 s4, 0x7f
	v_cmp_gt_i16_sdwa s[6:7], v6, s4 src0_sel:BYTE_3 src1_sel:DWORD
	s_mov_b64 s[4:5], 0
                                        ; implicit-def: $sgpr10
	s_and_saveexec_b64 s[8:9], s[6:7]
	s_xor_b64 s[6:7], exec, s[8:9]
	s_cbranch_execnz .LBB41_2713
; %bb.665:
	s_or_saveexec_b64 s[6:7], s[6:7]
	v_mov_b32_e32 v10, s10
	s_xor_b64 exec, exec, s[6:7]
	s_cbranch_execnz .LBB41_2716
.LBB41_666:
	s_or_b64 exec, exec, s[6:7]
	s_and_saveexec_b64 s[6:7], s[4:5]
	s_cbranch_execz .LBB41_668
.LBB41_667:
	v_bfe_u32 v10, v6, 24, 3
	v_ffbh_u32_e32 v14, v10
	v_min_u32_e32 v14, 32, v14
	v_lshrrev_b32_e32 v12, 27, v6
	v_subrev_u32_e32 v15, 28, v14
	v_and_b32_e32 v11, 0x80000000, v6
	v_and_b32_e32 v12, 15, v12
	v_bfe_u32 v13, v6, 27, 4
	v_lshlrev_b32_sdwa v6, v15, v6 dst_sel:DWORD dst_unused:UNUSED_PAD src0_sel:DWORD src1_sel:BYTE_3
	v_sub_u32_e32 v14, 29, v14
	v_and_b32_e32 v6, 7, v6
	v_cmp_eq_u16_e32 vcc, 0, v12
	v_cndmask_b32_e32 v6, v10, v6, vcc
	v_cndmask_b32_e32 v10, v13, v14, vcc
	v_mov_b32_e32 v12, 0x3b800000
	v_lshlrev_b32_e32 v6, 20, v6
	v_lshl_add_u32 v10, v10, 23, v12
	v_or3_b32 v10, v11, v10, v6
.LBB41_668:
	s_or_b64 exec, exec, s[6:7]
	s_movk_i32 s4, 0x7f
	v_cmp_gt_i16_sdwa s[6:7], v2, s4 src0_sel:BYTE_3 src1_sel:DWORD
	s_mov_b64 s[4:5], 0
                                        ; implicit-def: $sgpr10
	s_and_saveexec_b64 s[8:9], s[6:7]
	s_xor_b64 s[6:7], exec, s[8:9]
	s_cbranch_execnz .LBB41_2717
; %bb.669:
	s_or_saveexec_b64 s[6:7], s[6:7]
	v_mov_b32_e32 v6, s10
	s_xor_b64 exec, exec, s[6:7]
	s_cbranch_execnz .LBB41_2720
.LBB41_670:
	s_or_b64 exec, exec, s[6:7]
	s_and_saveexec_b64 s[6:7], s[4:5]
	s_cbranch_execz .LBB41_672
.LBB41_671:
	v_bfe_u32 v6, v2, 24, 3
	v_ffbh_u32_e32 v14, v6
	v_min_u32_e32 v14, 32, v14
	v_lshrrev_b32_e32 v12, 27, v2
	v_subrev_u32_e32 v15, 28, v14
	v_and_b32_e32 v11, 0x80000000, v2
	v_and_b32_e32 v12, 15, v12
	v_bfe_u32 v13, v2, 27, 4
	v_lshlrev_b32_sdwa v2, v15, v2 dst_sel:DWORD dst_unused:UNUSED_PAD src0_sel:DWORD src1_sel:BYTE_3
	v_sub_u32_e32 v14, 29, v14
	v_and_b32_e32 v2, 7, v2
	v_cmp_eq_u16_e32 vcc, 0, v12
	v_cndmask_b32_e32 v2, v6, v2, vcc
	v_cndmask_b32_e32 v6, v13, v14, vcc
	v_mov_b32_e32 v12, 0x3b800000
	v_lshlrev_b32_e32 v2, 20, v2
	v_lshl_add_u32 v6, v6, 23, v12
	v_or3_b32 v6, v11, v6, v2
.LBB41_672:
	s_or_b64 exec, exec, s[6:7]
	s_nop 0
	v_mfma_f32_16x16x4f32 a[0:3], v10, v6, a[0:3]
	s_movk_i32 s4, 0x7f
	v_cmp_gt_i16_sdwa s[6:7], v7, s4 src0_sel:BYTE_0 src1_sel:DWORD
	s_mov_b64 s[4:5], 0
                                        ; implicit-def: $sgpr10
	s_and_saveexec_b64 s[8:9], s[6:7]
	s_xor_b64 s[6:7], exec, s[8:9]
	s_cbranch_execnz .LBB41_2721
; %bb.673:
	s_or_saveexec_b64 s[6:7], s[6:7]
	v_mov_b32_e32 v2, s10
	s_xor_b64 exec, exec, s[6:7]
	s_cbranch_execnz .LBB41_2724
.LBB41_674:
	s_or_b64 exec, exec, s[6:7]
	s_and_saveexec_b64 s[6:7], s[4:5]
	s_cbranch_execz .LBB41_676
.LBB41_675:
	v_and_b32_e32 v2, 7, v7
	v_ffbh_u32_e32 v10, v2
	v_min_u32_e32 v10, 32, v10
	v_lshrrev_b16_e32 v6, 3, v7
	v_subrev_u32_e32 v11, 28, v10
	v_and_b32_e32 v6, 15, v6
	v_lshlrev_b32_e32 v11, v11, v7
	v_sub_u32_e32 v10, 29, v10
	v_and_b32_e32 v11, 7, v11
	v_cmp_eq_u16_e32 vcc, 0, v6
	v_cndmask_b32_e32 v2, v2, v11, vcc
	v_cndmask_b32_e32 v6, v6, v10, vcc
	v_lshlrev_b32_e32 v10, 24, v7
	v_mov_b32_e32 v11, 0x3b800000
	v_lshlrev_b32_e32 v2, 20, v2
	v_and_b32_e32 v10, 0x80000000, v10
	v_lshl_add_u32 v6, v6, 23, v11
	v_or3_b32 v2, v10, v6, v2
.LBB41_676:
	s_or_b64 exec, exec, s[6:7]
	s_movk_i32 s4, 0x7f
	v_cmp_gt_i16_sdwa s[6:7], v3, s4 src0_sel:BYTE_0 src1_sel:DWORD
	s_mov_b64 s[4:5], 0
                                        ; implicit-def: $sgpr10
	s_and_saveexec_b64 s[8:9], s[6:7]
	s_xor_b64 s[6:7], exec, s[8:9]
	s_cbranch_execnz .LBB41_2725
; %bb.677:
	s_or_saveexec_b64 s[6:7], s[6:7]
	v_mov_b32_e32 v6, s10
	s_xor_b64 exec, exec, s[6:7]
	s_cbranch_execnz .LBB41_2728
.LBB41_678:
	s_or_b64 exec, exec, s[6:7]
	s_and_saveexec_b64 s[6:7], s[4:5]
	s_cbranch_execz .LBB41_680
.LBB41_679:
	v_and_b32_e32 v6, 7, v3
	v_ffbh_u32_e32 v11, v6
	v_min_u32_e32 v11, 32, v11
	v_lshrrev_b16_e32 v10, 3, v3
	v_subrev_u32_e32 v12, 28, v11
	v_and_b32_e32 v10, 15, v10
	v_lshlrev_b32_e32 v12, v12, v3
	v_sub_u32_e32 v11, 29, v11
	v_and_b32_e32 v12, 7, v12
	v_cmp_eq_u16_e32 vcc, 0, v10
	v_cndmask_b32_e32 v6, v6, v12, vcc
	v_cndmask_b32_e32 v10, v10, v11, vcc
	v_lshlrev_b32_e32 v11, 24, v3
	v_mov_b32_e32 v12, 0x3b800000
	v_lshlrev_b32_e32 v6, 20, v6
	v_and_b32_e32 v11, 0x80000000, v11
	v_lshl_add_u32 v10, v10, 23, v12
	v_or3_b32 v6, v11, v10, v6
.LBB41_680:
	s_or_b64 exec, exec, s[6:7]
	s_nop 0
	v_mfma_f32_16x16x4f32 a[0:3], v2, v6, a[0:3]
	v_lshrrev_b32_e32 v6, 8, v7
	s_movk_i32 s4, 0x7f
	v_cmp_gt_i16_sdwa s[6:7], v6, s4 src0_sel:BYTE_0 src1_sel:DWORD
	s_mov_b64 s[4:5], 0
                                        ; implicit-def: $sgpr10
	s_and_saveexec_b64 s[8:9], s[6:7]
	s_xor_b64 s[6:7], exec, s[8:9]
	s_cbranch_execnz .LBB41_2729
; %bb.681:
	s_or_saveexec_b64 s[6:7], s[6:7]
	v_mov_b32_e32 v2, s10
	s_xor_b64 exec, exec, s[6:7]
	s_cbranch_execnz .LBB41_2732
.LBB41_682:
	s_or_b64 exec, exec, s[6:7]
	s_and_saveexec_b64 s[6:7], s[4:5]
	s_cbranch_execz .LBB41_684
.LBB41_683:
	v_bfe_u32 v2, v7, 8, 3
	v_ffbh_u32_e32 v11, v2
	v_min_u32_e32 v11, 32, v11
	v_lshrrev_b16_e32 v10, 3, v6
	v_subrev_u32_e32 v12, 28, v11
	v_and_b32_e32 v10, 15, v10
	v_lshlrev_b32_e32 v6, v12, v6
	v_sub_u32_e32 v11, 29, v11
	v_and_b32_e32 v6, 7, v6
	v_cmp_eq_u16_e32 vcc, 0, v10
	v_cndmask_b32_e32 v2, v2, v6, vcc
	v_cndmask_b32_e32 v6, v10, v11, vcc
	v_lshlrev_b32_e32 v10, 16, v7
	v_mov_b32_e32 v11, 0x3b800000
	v_lshlrev_b32_e32 v2, 20, v2
	v_and_b32_e32 v10, 0x80000000, v10
	v_lshl_add_u32 v6, v6, 23, v11
	v_or3_b32 v2, v10, v6, v2
.LBB41_684:
	s_or_b64 exec, exec, s[6:7]
	v_lshrrev_b32_e32 v6, 8, v3
	s_movk_i32 s4, 0x7f
	v_cmp_gt_i16_sdwa s[6:7], v6, s4 src0_sel:BYTE_0 src1_sel:DWORD
	s_mov_b64 s[4:5], 0
                                        ; implicit-def: $sgpr10
	s_and_saveexec_b64 s[8:9], s[6:7]
	s_xor_b64 s[6:7], exec, s[8:9]
	s_cbranch_execnz .LBB41_2733
; %bb.685:
	s_or_saveexec_b64 s[6:7], s[6:7]
	v_mov_b32_e32 v10, s10
	s_xor_b64 exec, exec, s[6:7]
	s_cbranch_execnz .LBB41_2736
.LBB41_686:
	s_or_b64 exec, exec, s[6:7]
	s_and_saveexec_b64 s[6:7], s[4:5]
	s_cbranch_execz .LBB41_688
.LBB41_687:
	v_bfe_u32 v10, v3, 8, 3
	v_ffbh_u32_e32 v12, v10
	v_min_u32_e32 v12, 32, v12
	v_lshrrev_b16_e32 v11, 3, v6
	v_subrev_u32_e32 v13, 28, v12
	v_and_b32_e32 v11, 15, v11
	v_lshlrev_b32_e32 v6, v13, v6
	v_sub_u32_e32 v12, 29, v12
	v_and_b32_e32 v6, 7, v6
	v_cmp_eq_u16_e32 vcc, 0, v11
	v_cndmask_b32_e32 v6, v10, v6, vcc
	v_cndmask_b32_e32 v10, v11, v12, vcc
	v_lshlrev_b32_e32 v11, 16, v3
	v_mov_b32_e32 v12, 0x3b800000
	v_lshlrev_b32_e32 v6, 20, v6
	v_and_b32_e32 v11, 0x80000000, v11
	v_lshl_add_u32 v10, v10, 23, v12
	v_or3_b32 v10, v11, v10, v6
.LBB41_688:
	s_or_b64 exec, exec, s[6:7]
	s_nop 0
	v_mfma_f32_16x16x4f32 a[0:3], v2, v10, a[0:3]
	s_movk_i32 s4, 0xff
	v_and_b32_sdwa v6, v7, s4 dst_sel:DWORD dst_unused:UNUSED_PAD src0_sel:WORD_1 src1_sel:DWORD
	s_movk_i32 s4, 0x7f
	v_cmp_lt_i16_e32 vcc, s4, v6
	s_mov_b64 s[4:5], 0
                                        ; implicit-def: $sgpr10
	s_and_saveexec_b64 s[6:7], vcc
	s_xor_b64 s[6:7], exec, s[6:7]
	s_cbranch_execnz .LBB41_2737
; %bb.689:
	s_or_saveexec_b64 s[6:7], s[6:7]
	v_mov_b32_e32 v2, s10
	s_xor_b64 exec, exec, s[6:7]
	s_cbranch_execnz .LBB41_2740
.LBB41_690:
	s_or_b64 exec, exec, s[6:7]
	s_and_saveexec_b64 s[6:7], s[4:5]
	s_cbranch_execz .LBB41_692
.LBB41_691:
	v_bfe_u32 v2, v7, 16, 3
	v_ffbh_u32_e32 v11, v2
	v_min_u32_e32 v11, 32, v11
	v_lshrrev_b32_e32 v6, 19, v7
	v_subrev_u32_e32 v12, 28, v11
	v_and_b32_e32 v6, 15, v6
	v_lshlrev_b32_sdwa v12, v12, v7 dst_sel:DWORD dst_unused:UNUSED_PAD src0_sel:DWORD src1_sel:WORD_1
	v_bfe_u32 v10, v7, 19, 4
	v_sub_u32_e32 v11, 29, v11
	v_and_b32_e32 v12, 7, v12
	v_cmp_eq_u16_e32 vcc, 0, v6
	v_cndmask_b32_e32 v2, v2, v12, vcc
	v_cndmask_b32_e32 v6, v10, v11, vcc
	v_lshlrev_b32_e32 v10, 8, v7
	v_mov_b32_e32 v11, 0x3b800000
	v_lshlrev_b32_e32 v2, 20, v2
	v_and_b32_e32 v10, 0x80000000, v10
	v_lshl_add_u32 v6, v6, 23, v11
	v_or3_b32 v2, v10, v6, v2
.LBB41_692:
	s_or_b64 exec, exec, s[6:7]
	s_movk_i32 s4, 0xff
	v_and_b32_sdwa v6, v3, s4 dst_sel:DWORD dst_unused:UNUSED_PAD src0_sel:WORD_1 src1_sel:DWORD
	s_movk_i32 s4, 0x7f
	v_cmp_lt_i16_e32 vcc, s4, v6
	s_mov_b64 s[4:5], 0
                                        ; implicit-def: $sgpr10
	s_and_saveexec_b64 s[6:7], vcc
	s_xor_b64 s[6:7], exec, s[6:7]
	s_cbranch_execnz .LBB41_2741
; %bb.693:
	s_or_saveexec_b64 s[6:7], s[6:7]
	v_mov_b32_e32 v10, s10
	s_xor_b64 exec, exec, s[6:7]
	s_cbranch_execnz .LBB41_2744
.LBB41_694:
	s_or_b64 exec, exec, s[6:7]
	s_and_saveexec_b64 s[6:7], s[4:5]
	s_cbranch_execz .LBB41_696
.LBB41_695:
	v_bfe_u32 v6, v3, 16, 3
	v_ffbh_u32_e32 v12, v6
	v_min_u32_e32 v12, 32, v12
	v_lshrrev_b32_e32 v10, 19, v3
	v_subrev_u32_e32 v13, 28, v12
	v_and_b32_e32 v10, 15, v10
	v_lshlrev_b32_sdwa v13, v13, v3 dst_sel:DWORD dst_unused:UNUSED_PAD src0_sel:DWORD src1_sel:WORD_1
	v_bfe_u32 v11, v3, 19, 4
	v_sub_u32_e32 v12, 29, v12
	v_and_b32_e32 v13, 7, v13
	v_cmp_eq_u16_e32 vcc, 0, v10
	v_cndmask_b32_e32 v6, v6, v13, vcc
	v_cndmask_b32_e32 v10, v11, v12, vcc
	v_lshlrev_b32_e32 v11, 8, v3
	v_mov_b32_e32 v12, 0x3b800000
	v_lshlrev_b32_e32 v6, 20, v6
	v_and_b32_e32 v11, 0x80000000, v11
	v_lshl_add_u32 v10, v10, 23, v12
	v_or3_b32 v10, v11, v10, v6
.LBB41_696:
	s_or_b64 exec, exec, s[6:7]
	s_nop 0
	v_mfma_f32_16x16x4f32 a[0:3], v2, v10, a[0:3]
	s_movk_i32 s4, 0x7f
	v_cmp_gt_i16_sdwa s[6:7], v7, s4 src0_sel:BYTE_3 src1_sel:DWORD
	s_mov_b64 s[4:5], 0
                                        ; implicit-def: $sgpr10
	s_and_saveexec_b64 s[8:9], s[6:7]
	s_xor_b64 s[6:7], exec, s[8:9]
	s_cbranch_execnz .LBB41_2745
; %bb.697:
	s_or_saveexec_b64 s[6:7], s[6:7]
	v_mov_b32_e32 v2, s10
	s_xor_b64 exec, exec, s[6:7]
	s_cbranch_execnz .LBB41_2748
.LBB41_698:
	s_or_b64 exec, exec, s[6:7]
	s_and_saveexec_b64 s[6:7], s[4:5]
	s_cbranch_execz .LBB41_700
.LBB41_699:
	v_bfe_u32 v2, v7, 24, 3
	v_ffbh_u32_e32 v12, v2
	v_min_u32_e32 v12, 32, v12
	v_lshrrev_b32_e32 v10, 27, v7
	v_subrev_u32_e32 v13, 28, v12
	v_and_b32_e32 v6, 0x80000000, v7
	v_and_b32_e32 v10, 15, v10
	v_bfe_u32 v11, v7, 27, 4
	v_lshlrev_b32_sdwa v7, v13, v7 dst_sel:DWORD dst_unused:UNUSED_PAD src0_sel:DWORD src1_sel:BYTE_3
	v_sub_u32_e32 v12, 29, v12
	v_and_b32_e32 v7, 7, v7
	v_cmp_eq_u16_e32 vcc, 0, v10
	v_cndmask_b32_e32 v2, v2, v7, vcc
	v_cndmask_b32_e32 v7, v11, v12, vcc
	v_mov_b32_e32 v10, 0x3b800000
	v_lshlrev_b32_e32 v2, 20, v2
	v_lshl_add_u32 v7, v7, 23, v10
	v_or3_b32 v2, v6, v7, v2
.LBB41_700:
	s_or_b64 exec, exec, s[6:7]
	s_movk_i32 s4, 0x7f
	v_cmp_gt_i16_sdwa s[6:7], v3, s4 src0_sel:BYTE_3 src1_sel:DWORD
	s_mov_b64 s[4:5], 0
                                        ; implicit-def: $sgpr10
	s_and_saveexec_b64 s[8:9], s[6:7]
	s_xor_b64 s[6:7], exec, s[8:9]
	s_cbranch_execnz .LBB41_2749
; %bb.701:
	s_or_saveexec_b64 s[6:7], s[6:7]
	v_mov_b32_e32 v6, s10
	s_xor_b64 exec, exec, s[6:7]
	s_cbranch_execnz .LBB41_2752
.LBB41_702:
	s_or_b64 exec, exec, s[6:7]
	s_and_saveexec_b64 s[6:7], s[4:5]
	s_cbranch_execz .LBB41_704
.LBB41_703:
	v_bfe_u32 v6, v3, 24, 3
	v_ffbh_u32_e32 v12, v6
	v_min_u32_e32 v12, 32, v12
	v_lshrrev_b32_e32 v10, 27, v3
	v_subrev_u32_e32 v13, 28, v12
	v_and_b32_e32 v7, 0x80000000, v3
	v_and_b32_e32 v10, 15, v10
	v_bfe_u32 v11, v3, 27, 4
	v_lshlrev_b32_sdwa v3, v13, v3 dst_sel:DWORD dst_unused:UNUSED_PAD src0_sel:DWORD src1_sel:BYTE_3
	v_sub_u32_e32 v12, 29, v12
	v_and_b32_e32 v3, 7, v3
	v_cmp_eq_u16_e32 vcc, 0, v10
	v_cndmask_b32_e32 v3, v6, v3, vcc
	v_cndmask_b32_e32 v6, v11, v12, vcc
	v_mov_b32_e32 v10, 0x3b800000
	v_lshlrev_b32_e32 v3, 20, v3
	v_lshl_add_u32 v6, v6, 23, v10
	v_or3_b32 v6, v7, v6, v3
.LBB41_704:
	s_or_b64 exec, exec, s[6:7]
	s_nop 0
	v_mfma_f32_16x16x4f32 a[0:3], v2, v6, a[0:3]
	s_movk_i32 s4, 0x7f
	v_cmp_gt_i16_sdwa s[6:7], v8, s4 src0_sel:BYTE_0 src1_sel:DWORD
	s_mov_b64 s[4:5], 0
                                        ; implicit-def: $sgpr10
	s_and_saveexec_b64 s[8:9], s[6:7]
	s_xor_b64 s[6:7], exec, s[8:9]
	s_cbranch_execnz .LBB41_2753
; %bb.705:
	s_or_saveexec_b64 s[6:7], s[6:7]
	v_mov_b32_e32 v2, s10
	s_xor_b64 exec, exec, s[6:7]
	s_cbranch_execnz .LBB41_2756
.LBB41_706:
	s_or_b64 exec, exec, s[6:7]
	s_and_saveexec_b64 s[6:7], s[4:5]
	s_cbranch_execz .LBB41_708
.LBB41_707:
	v_and_b32_e32 v2, 7, v8
	v_ffbh_u32_e32 v6, v2
	v_min_u32_e32 v6, 32, v6
	v_lshrrev_b16_e32 v3, 3, v8
	v_subrev_u32_e32 v7, 28, v6
	v_and_b32_e32 v3, 15, v3
	v_lshlrev_b32_e32 v7, v7, v8
	v_sub_u32_e32 v6, 29, v6
	v_and_b32_e32 v7, 7, v7
	v_cmp_eq_u16_e32 vcc, 0, v3
	v_cndmask_b32_e32 v2, v2, v7, vcc
	v_cndmask_b32_e32 v3, v3, v6, vcc
	v_lshlrev_b32_e32 v6, 24, v8
	v_mov_b32_e32 v7, 0x3b800000
	v_lshlrev_b32_e32 v2, 20, v2
	v_and_b32_e32 v6, 0x80000000, v6
	v_lshl_add_u32 v3, v3, 23, v7
	v_or3_b32 v2, v6, v3, v2
.LBB41_708:
	s_or_b64 exec, exec, s[6:7]
	s_movk_i32 s4, 0x7f
	v_cmp_gt_i16_sdwa s[6:7], v4, s4 src0_sel:BYTE_0 src1_sel:DWORD
	s_mov_b64 s[4:5], 0
                                        ; implicit-def: $sgpr10
	s_and_saveexec_b64 s[8:9], s[6:7]
	s_xor_b64 s[6:7], exec, s[8:9]
	s_cbranch_execnz .LBB41_2757
; %bb.709:
	s_or_saveexec_b64 s[6:7], s[6:7]
	v_mov_b32_e32 v3, s10
	s_xor_b64 exec, exec, s[6:7]
	s_cbranch_execnz .LBB41_2760
.LBB41_710:
	s_or_b64 exec, exec, s[6:7]
	s_and_saveexec_b64 s[6:7], s[4:5]
	s_cbranch_execz .LBB41_712
.LBB41_711:
	v_and_b32_e32 v3, 7, v4
	v_ffbh_u32_e32 v7, v3
	v_min_u32_e32 v7, 32, v7
	v_lshrrev_b16_e32 v6, 3, v4
	v_subrev_u32_e32 v10, 28, v7
	v_and_b32_e32 v6, 15, v6
	v_lshlrev_b32_e32 v10, v10, v4
	v_sub_u32_e32 v7, 29, v7
	v_and_b32_e32 v10, 7, v10
	v_cmp_eq_u16_e32 vcc, 0, v6
	v_cndmask_b32_e32 v3, v3, v10, vcc
	v_cndmask_b32_e32 v6, v6, v7, vcc
	v_lshlrev_b32_e32 v7, 24, v4
	v_mov_b32_e32 v10, 0x3b800000
	v_lshlrev_b32_e32 v3, 20, v3
	v_and_b32_e32 v7, 0x80000000, v7
	v_lshl_add_u32 v6, v6, 23, v10
	v_or3_b32 v3, v7, v6, v3
.LBB41_712:
	s_or_b64 exec, exec, s[6:7]
	s_nop 0
	v_mfma_f32_16x16x4f32 a[0:3], v2, v3, a[0:3]
	v_lshrrev_b32_e32 v3, 8, v8
	s_movk_i32 s4, 0x7f
	v_cmp_gt_i16_sdwa s[6:7], v3, s4 src0_sel:BYTE_0 src1_sel:DWORD
	s_mov_b64 s[4:5], 0
                                        ; implicit-def: $sgpr10
	s_and_saveexec_b64 s[8:9], s[6:7]
	s_xor_b64 s[6:7], exec, s[8:9]
	s_cbranch_execnz .LBB41_2761
; %bb.713:
	s_or_saveexec_b64 s[6:7], s[6:7]
	v_mov_b32_e32 v2, s10
	s_xor_b64 exec, exec, s[6:7]
	s_cbranch_execnz .LBB41_2764
.LBB41_714:
	s_or_b64 exec, exec, s[6:7]
	s_and_saveexec_b64 s[6:7], s[4:5]
	s_cbranch_execz .LBB41_716
.LBB41_715:
	v_bfe_u32 v2, v8, 8, 3
	v_ffbh_u32_e32 v7, v2
	v_min_u32_e32 v7, 32, v7
	v_lshrrev_b16_e32 v6, 3, v3
	v_subrev_u32_e32 v10, 28, v7
	v_and_b32_e32 v6, 15, v6
	v_lshlrev_b32_e32 v3, v10, v3
	v_sub_u32_e32 v7, 29, v7
	v_and_b32_e32 v3, 7, v3
	v_cmp_eq_u16_e32 vcc, 0, v6
	v_cndmask_b32_e32 v2, v2, v3, vcc
	v_cndmask_b32_e32 v3, v6, v7, vcc
	v_lshlrev_b32_e32 v6, 16, v8
	v_mov_b32_e32 v7, 0x3b800000
	v_lshlrev_b32_e32 v2, 20, v2
	v_and_b32_e32 v6, 0x80000000, v6
	v_lshl_add_u32 v3, v3, 23, v7
	v_or3_b32 v2, v6, v3, v2
.LBB41_716:
	s_or_b64 exec, exec, s[6:7]
	v_lshrrev_b32_e32 v3, 8, v4
	s_movk_i32 s4, 0x7f
	v_cmp_gt_i16_sdwa s[6:7], v3, s4 src0_sel:BYTE_0 src1_sel:DWORD
	s_mov_b64 s[4:5], 0
                                        ; implicit-def: $sgpr10
	s_and_saveexec_b64 s[8:9], s[6:7]
	s_xor_b64 s[6:7], exec, s[8:9]
	s_cbranch_execnz .LBB41_2765
; %bb.717:
	s_or_saveexec_b64 s[6:7], s[6:7]
	v_mov_b32_e32 v6, s10
	s_xor_b64 exec, exec, s[6:7]
	s_cbranch_execnz .LBB41_2768
.LBB41_718:
	s_or_b64 exec, exec, s[6:7]
	s_and_saveexec_b64 s[6:7], s[4:5]
	s_cbranch_execz .LBB41_720
.LBB41_719:
	v_bfe_u32 v6, v4, 8, 3
	v_ffbh_u32_e32 v10, v6
	v_min_u32_e32 v10, 32, v10
	v_lshrrev_b16_e32 v7, 3, v3
	v_subrev_u32_e32 v11, 28, v10
	v_and_b32_e32 v7, 15, v7
	v_lshlrev_b32_e32 v3, v11, v3
	v_sub_u32_e32 v10, 29, v10
	v_and_b32_e32 v3, 7, v3
	v_cmp_eq_u16_e32 vcc, 0, v7
	v_cndmask_b32_e32 v3, v6, v3, vcc
	v_cndmask_b32_e32 v6, v7, v10, vcc
	v_lshlrev_b32_e32 v7, 16, v4
	v_mov_b32_e32 v10, 0x3b800000
	v_lshlrev_b32_e32 v3, 20, v3
	v_and_b32_e32 v7, 0x80000000, v7
	v_lshl_add_u32 v6, v6, 23, v10
	v_or3_b32 v6, v7, v6, v3
.LBB41_720:
	s_or_b64 exec, exec, s[6:7]
	s_nop 0
	v_mfma_f32_16x16x4f32 a[0:3], v2, v6, a[0:3]
	s_movk_i32 s4, 0xff
	v_and_b32_sdwa v3, v8, s4 dst_sel:DWORD dst_unused:UNUSED_PAD src0_sel:WORD_1 src1_sel:DWORD
	s_movk_i32 s4, 0x7f
	v_cmp_lt_i16_e32 vcc, s4, v3
	s_mov_b64 s[4:5], 0
                                        ; implicit-def: $sgpr10
	s_and_saveexec_b64 s[6:7], vcc
	s_xor_b64 s[6:7], exec, s[6:7]
	s_cbranch_execnz .LBB41_2769
; %bb.721:
	s_or_saveexec_b64 s[6:7], s[6:7]
	v_mov_b32_e32 v2, s10
	s_xor_b64 exec, exec, s[6:7]
	s_cbranch_execnz .LBB41_2772
.LBB41_722:
	s_or_b64 exec, exec, s[6:7]
	s_and_saveexec_b64 s[6:7], s[4:5]
	s_cbranch_execz .LBB41_724
.LBB41_723:
	v_bfe_u32 v2, v8, 16, 3
	v_ffbh_u32_e32 v7, v2
	v_min_u32_e32 v7, 32, v7
	v_lshrrev_b32_e32 v3, 19, v8
	v_subrev_u32_e32 v10, 28, v7
	v_and_b32_e32 v3, 15, v3
	v_lshlrev_b32_sdwa v10, v10, v8 dst_sel:DWORD dst_unused:UNUSED_PAD src0_sel:DWORD src1_sel:WORD_1
	v_bfe_u32 v6, v8, 19, 4
	v_sub_u32_e32 v7, 29, v7
	v_and_b32_e32 v10, 7, v10
	v_cmp_eq_u16_e32 vcc, 0, v3
	v_cndmask_b32_e32 v2, v2, v10, vcc
	v_cndmask_b32_e32 v3, v6, v7, vcc
	v_lshlrev_b32_e32 v6, 8, v8
	v_mov_b32_e32 v7, 0x3b800000
	v_lshlrev_b32_e32 v2, 20, v2
	v_and_b32_e32 v6, 0x80000000, v6
	v_lshl_add_u32 v3, v3, 23, v7
	v_or3_b32 v2, v6, v3, v2
.LBB41_724:
	s_or_b64 exec, exec, s[6:7]
	s_movk_i32 s4, 0xff
	v_and_b32_sdwa v3, v4, s4 dst_sel:DWORD dst_unused:UNUSED_PAD src0_sel:WORD_1 src1_sel:DWORD
	s_movk_i32 s4, 0x7f
	v_cmp_lt_i16_e32 vcc, s4, v3
	s_mov_b64 s[4:5], 0
                                        ; implicit-def: $sgpr10
	s_and_saveexec_b64 s[6:7], vcc
	s_xor_b64 s[6:7], exec, s[6:7]
	s_cbranch_execnz .LBB41_2773
; %bb.725:
	s_or_saveexec_b64 s[6:7], s[6:7]
	v_mov_b32_e32 v6, s10
	s_xor_b64 exec, exec, s[6:7]
	s_cbranch_execnz .LBB41_2776
.LBB41_726:
	s_or_b64 exec, exec, s[6:7]
	s_and_saveexec_b64 s[6:7], s[4:5]
	s_cbranch_execz .LBB41_728
.LBB41_727:
	v_bfe_u32 v3, v4, 16, 3
	v_ffbh_u32_e32 v10, v3
	v_min_u32_e32 v10, 32, v10
	v_lshrrev_b32_e32 v6, 19, v4
	v_subrev_u32_e32 v11, 28, v10
	v_and_b32_e32 v6, 15, v6
	v_lshlrev_b32_sdwa v11, v11, v4 dst_sel:DWORD dst_unused:UNUSED_PAD src0_sel:DWORD src1_sel:WORD_1
	v_bfe_u32 v7, v4, 19, 4
	v_sub_u32_e32 v10, 29, v10
	v_and_b32_e32 v11, 7, v11
	v_cmp_eq_u16_e32 vcc, 0, v6
	v_cndmask_b32_e32 v3, v3, v11, vcc
	v_cndmask_b32_e32 v6, v7, v10, vcc
	v_lshlrev_b32_e32 v7, 8, v4
	v_mov_b32_e32 v10, 0x3b800000
	v_lshlrev_b32_e32 v3, 20, v3
	v_and_b32_e32 v7, 0x80000000, v7
	v_lshl_add_u32 v6, v6, 23, v10
	v_or3_b32 v6, v7, v6, v3
.LBB41_728:
	s_or_b64 exec, exec, s[6:7]
	s_nop 0
	v_mfma_f32_16x16x4f32 a[0:3], v2, v6, a[0:3]
	s_movk_i32 s4, 0x7f
	v_cmp_gt_i16_sdwa s[6:7], v8, s4 src0_sel:BYTE_3 src1_sel:DWORD
	s_mov_b64 s[4:5], 0
                                        ; implicit-def: $sgpr10
	s_and_saveexec_b64 s[8:9], s[6:7]
	s_xor_b64 s[6:7], exec, s[8:9]
	s_cbranch_execnz .LBB41_2777
; %bb.729:
	s_or_saveexec_b64 s[6:7], s[6:7]
	v_mov_b32_e32 v2, s10
	s_xor_b64 exec, exec, s[6:7]
	s_cbranch_execnz .LBB41_2780
.LBB41_730:
	s_or_b64 exec, exec, s[6:7]
	s_and_saveexec_b64 s[6:7], s[4:5]
	s_cbranch_execz .LBB41_732
.LBB41_731:
	v_bfe_u32 v2, v8, 24, 3
	v_ffbh_u32_e32 v10, v2
	v_min_u32_e32 v10, 32, v10
	v_lshrrev_b32_e32 v6, 27, v8
	v_subrev_u32_e32 v11, 28, v10
	v_and_b32_e32 v3, 0x80000000, v8
	v_and_b32_e32 v6, 15, v6
	v_bfe_u32 v7, v8, 27, 4
	v_lshlrev_b32_sdwa v8, v11, v8 dst_sel:DWORD dst_unused:UNUSED_PAD src0_sel:DWORD src1_sel:BYTE_3
	v_sub_u32_e32 v10, 29, v10
	v_and_b32_e32 v8, 7, v8
	v_cmp_eq_u16_e32 vcc, 0, v6
	v_cndmask_b32_e32 v2, v2, v8, vcc
	v_cndmask_b32_e32 v6, v7, v10, vcc
	v_mov_b32_e32 v7, 0x3b800000
	v_lshlrev_b32_e32 v2, 20, v2
	v_lshl_add_u32 v6, v6, 23, v7
	v_or3_b32 v2, v3, v6, v2
.LBB41_732:
	s_or_b64 exec, exec, s[6:7]
	s_movk_i32 s4, 0x7f
	v_cmp_gt_i16_sdwa s[6:7], v4, s4 src0_sel:BYTE_3 src1_sel:DWORD
	s_mov_b64 s[4:5], 0
                                        ; implicit-def: $sgpr10
	s_and_saveexec_b64 s[8:9], s[6:7]
	s_xor_b64 s[6:7], exec, s[8:9]
	s_cbranch_execnz .LBB41_2781
; %bb.733:
	s_or_saveexec_b64 s[6:7], s[6:7]
	v_mov_b32_e32 v3, s10
	s_xor_b64 exec, exec, s[6:7]
	s_cbranch_execnz .LBB41_2784
.LBB41_734:
	s_or_b64 exec, exec, s[6:7]
	s_and_saveexec_b64 s[6:7], s[4:5]
	s_cbranch_execz .LBB41_736
.LBB41_735:
	v_bfe_u32 v3, v4, 24, 3
	v_ffbh_u32_e32 v10, v3
	v_min_u32_e32 v10, 32, v10
	v_lshrrev_b32_e32 v7, 27, v4
	v_subrev_u32_e32 v11, 28, v10
	v_and_b32_e32 v6, 0x80000000, v4
	v_and_b32_e32 v7, 15, v7
	v_bfe_u32 v8, v4, 27, 4
	v_lshlrev_b32_sdwa v4, v11, v4 dst_sel:DWORD dst_unused:UNUSED_PAD src0_sel:DWORD src1_sel:BYTE_3
	v_sub_u32_e32 v10, 29, v10
	v_and_b32_e32 v4, 7, v4
	v_cmp_eq_u16_e32 vcc, 0, v7
	v_cndmask_b32_e32 v3, v3, v4, vcc
	v_cndmask_b32_e32 v4, v8, v10, vcc
	v_mov_b32_e32 v7, 0x3b800000
	v_lshlrev_b32_e32 v3, 20, v3
	v_lshl_add_u32 v4, v4, 23, v7
	v_or3_b32 v3, v6, v4, v3
.LBB41_736:
	s_or_b64 exec, exec, s[6:7]
	s_nop 0
	v_mfma_f32_16x16x4f32 a[0:3], v2, v3, a[0:3]
	s_movk_i32 s4, 0x7f
	v_cmp_gt_i16_sdwa s[6:7], v9, s4 src0_sel:BYTE_0 src1_sel:DWORD
	s_mov_b64 s[4:5], 0
                                        ; implicit-def: $sgpr10
	s_and_saveexec_b64 s[8:9], s[6:7]
	s_xor_b64 s[6:7], exec, s[8:9]
	s_cbranch_execnz .LBB41_2785
; %bb.737:
	s_or_saveexec_b64 s[6:7], s[6:7]
	v_mov_b32_e32 v2, s10
	s_xor_b64 exec, exec, s[6:7]
	s_cbranch_execnz .LBB41_2788
.LBB41_738:
	s_or_b64 exec, exec, s[6:7]
	s_and_saveexec_b64 s[6:7], s[4:5]
	s_cbranch_execz .LBB41_740
.LBB41_739:
	v_mov_b32_e32 v2, 8
	v_and_b32_e32 v3, 7, v9
	v_lshrrev_b32_sdwa v2, v2, v9 dst_sel:BYTE_1 dst_unused:UNUSED_PAD src0_sel:DWORD src1_sel:DWORD
	v_ffbh_u32_e32 v4, v3
	v_or_b32_sdwa v2, v9, v2 dst_sel:DWORD dst_unused:UNUSED_PAD src0_sel:BYTE_0 src1_sel:DWORD
	v_min_u32_e32 v4, 32, v4
	v_lshrrev_b16_e32 v2, 3, v2
	v_subrev_u32_e32 v6, 28, v4
	v_and_b32_e32 v2, 15, v2
	v_lshlrev_b32_e32 v6, v6, v9
	v_sub_u32_e32 v4, 29, v4
	v_and_b32_e32 v6, 7, v6
	v_cmp_eq_u16_e32 vcc, 0, v2
	v_cndmask_b32_e32 v3, v3, v6, vcc
	v_cndmask_b32_e32 v2, v2, v4, vcc
	v_lshlrev_b32_e32 v4, 24, v9
	v_mov_b32_e32 v6, 0x3b800000
	v_lshlrev_b32_e32 v3, 20, v3
	v_and_b32_e32 v4, 0x80000000, v4
	v_lshl_add_u32 v2, v2, 23, v6
	v_or3_b32 v2, v4, v2, v3
.LBB41_740:
	s_or_b64 exec, exec, s[6:7]
	s_movk_i32 s4, 0x7f
	v_cmp_gt_i16_sdwa s[6:7], v5, s4 src0_sel:BYTE_0 src1_sel:DWORD
	s_mov_b64 s[4:5], 0
                                        ; implicit-def: $sgpr10
	s_and_saveexec_b64 s[8:9], s[6:7]
	s_xor_b64 s[6:7], exec, s[8:9]
	s_cbranch_execnz .LBB41_2789
; %bb.741:
	s_or_saveexec_b64 s[6:7], s[6:7]
	v_mov_b32_e32 v3, s10
	s_xor_b64 exec, exec, s[6:7]
	s_cbranch_execnz .LBB41_2792
.LBB41_742:
	s_or_b64 exec, exec, s[6:7]
	s_and_saveexec_b64 s[6:7], s[4:5]
	s_cbranch_execz .LBB41_744
.LBB41_743:
	v_mov_b32_e32 v3, 8
	v_and_b32_e32 v4, 7, v5
	v_lshrrev_b32_sdwa v3, v3, v5 dst_sel:BYTE_1 dst_unused:UNUSED_PAD src0_sel:DWORD src1_sel:DWORD
	v_ffbh_u32_e32 v6, v4
	v_or_b32_sdwa v3, v5, v3 dst_sel:DWORD dst_unused:UNUSED_PAD src0_sel:BYTE_0 src1_sel:DWORD
	v_min_u32_e32 v6, 32, v6
	v_lshrrev_b16_e32 v3, 3, v3
	v_subrev_u32_e32 v7, 28, v6
	v_and_b32_e32 v3, 15, v3
	v_lshlrev_b32_e32 v7, v7, v5
	v_sub_u32_e32 v6, 29, v6
	v_and_b32_e32 v7, 7, v7
	v_cmp_eq_u16_e32 vcc, 0, v3
	v_cndmask_b32_e32 v4, v4, v7, vcc
	v_cndmask_b32_e32 v3, v3, v6, vcc
	v_lshlrev_b32_e32 v6, 24, v5
	v_mov_b32_e32 v7, 0x3b800000
	v_lshlrev_b32_e32 v4, 20, v4
	v_and_b32_e32 v6, 0x80000000, v6
	v_lshl_add_u32 v3, v3, 23, v7
	v_or3_b32 v3, v6, v3, v4
.LBB41_744:
	s_or_b64 exec, exec, s[6:7]
	s_nop 0
	v_mfma_f32_16x16x4f32 a[0:3], v2, v3, a[0:3]
	v_lshrrev_b32_e32 v3, 8, v9
	s_movk_i32 s4, 0x7f
	v_cmp_gt_i16_sdwa s[6:7], v3, s4 src0_sel:BYTE_0 src1_sel:DWORD
	s_mov_b64 s[4:5], 0
                                        ; implicit-def: $sgpr10
	s_and_saveexec_b64 s[8:9], s[6:7]
	s_xor_b64 s[6:7], exec, s[8:9]
	s_cbranch_execnz .LBB41_2793
; %bb.745:
	s_or_saveexec_b64 s[6:7], s[6:7]
	v_mov_b32_e32 v2, s10
	s_xor_b64 exec, exec, s[6:7]
	s_cbranch_execnz .LBB41_2796
.LBB41_746:
	s_or_b64 exec, exec, s[6:7]
	s_and_saveexec_b64 s[6:7], s[4:5]
	s_cbranch_execz .LBB41_748
.LBB41_747:
	v_bfe_u32 v2, v9, 8, 3
	v_ffbh_u32_e32 v6, v2
	v_min_u32_e32 v6, 32, v6
	v_lshrrev_b16_e32 v4, 3, v3
	v_subrev_u32_e32 v7, 28, v6
	v_and_b32_e32 v4, 15, v4
	v_lshlrev_b32_e32 v3, v7, v3
	v_sub_u32_e32 v6, 29, v6
	v_and_b32_e32 v3, 7, v3
	v_cmp_eq_u16_e32 vcc, 0, v4
	v_cndmask_b32_e32 v2, v2, v3, vcc
	v_cndmask_b32_e32 v3, v4, v6, vcc
	v_lshlrev_b32_e32 v4, 16, v9
	v_mov_b32_e32 v6, 0x3b800000
	v_lshlrev_b32_e32 v2, 20, v2
	v_and_b32_e32 v4, 0x80000000, v4
	v_lshl_add_u32 v3, v3, 23, v6
	v_or3_b32 v2, v4, v3, v2
.LBB41_748:
	s_or_b64 exec, exec, s[6:7]
	v_lshrrev_b32_e32 v3, 8, v5
	s_movk_i32 s4, 0x7f
	v_cmp_gt_i16_sdwa s[6:7], v3, s4 src0_sel:BYTE_0 src1_sel:DWORD
	s_mov_b64 s[4:5], 0
                                        ; implicit-def: $sgpr10
	s_and_saveexec_b64 s[8:9], s[6:7]
	s_xor_b64 s[6:7], exec, s[8:9]
	s_cbranch_execnz .LBB41_2797
; %bb.749:
	s_or_saveexec_b64 s[6:7], s[6:7]
	v_mov_b32_e32 v4, s10
	s_xor_b64 exec, exec, s[6:7]
	s_cbranch_execnz .LBB41_2800
.LBB41_750:
	s_or_b64 exec, exec, s[6:7]
	s_and_saveexec_b64 s[6:7], s[4:5]
	s_cbranch_execz .LBB41_752
.LBB41_751:
	v_bfe_u32 v4, v5, 8, 3
	v_ffbh_u32_e32 v7, v4
	v_min_u32_e32 v7, 32, v7
	v_lshrrev_b16_e32 v6, 3, v3
	v_subrev_u32_e32 v8, 28, v7
	v_and_b32_e32 v6, 15, v6
	v_lshlrev_b32_e32 v3, v8, v3
	v_sub_u32_e32 v7, 29, v7
	v_and_b32_e32 v3, 7, v3
	v_cmp_eq_u16_e32 vcc, 0, v6
	v_cndmask_b32_e32 v3, v4, v3, vcc
	v_cndmask_b32_e32 v4, v6, v7, vcc
	v_lshlrev_b32_e32 v6, 16, v5
	v_mov_b32_e32 v7, 0x3b800000
	v_lshlrev_b32_e32 v3, 20, v3
	v_and_b32_e32 v6, 0x80000000, v6
	v_lshl_add_u32 v4, v4, 23, v7
	v_or3_b32 v4, v6, v4, v3
.LBB41_752:
	s_or_b64 exec, exec, s[6:7]
	s_nop 0
	v_mfma_f32_16x16x4f32 a[0:3], v2, v4, a[0:3]
	s_movk_i32 s4, 0xff
	v_and_b32_sdwa v3, v9, s4 dst_sel:DWORD dst_unused:UNUSED_PAD src0_sel:WORD_1 src1_sel:DWORD
	s_movk_i32 s4, 0x7f
	v_cmp_lt_i16_e32 vcc, s4, v3
	s_mov_b64 s[4:5], 0
                                        ; implicit-def: $sgpr10
	s_and_saveexec_b64 s[6:7], vcc
	s_xor_b64 s[6:7], exec, s[6:7]
	s_cbranch_execnz .LBB41_2801
; %bb.753:
	s_or_saveexec_b64 s[6:7], s[6:7]
	v_mov_b32_e32 v2, s10
	s_xor_b64 exec, exec, s[6:7]
	s_cbranch_execnz .LBB41_2804
.LBB41_754:
	s_or_b64 exec, exec, s[6:7]
	s_and_saveexec_b64 s[6:7], s[4:5]
	s_cbranch_execz .LBB41_756
.LBB41_755:
	v_bfe_u32 v2, v9, 16, 3
	v_ffbh_u32_e32 v6, v2
	v_min_u32_e32 v6, 32, v6
	v_lshrrev_b32_e32 v3, 19, v9
	v_subrev_u32_e32 v7, 28, v6
	v_and_b32_e32 v3, 15, v3
	v_lshlrev_b32_sdwa v7, v7, v9 dst_sel:DWORD dst_unused:UNUSED_PAD src0_sel:DWORD src1_sel:WORD_1
	v_bfe_u32 v4, v9, 19, 4
	v_sub_u32_e32 v6, 29, v6
	v_and_b32_e32 v7, 7, v7
	v_cmp_eq_u16_e32 vcc, 0, v3
	v_cndmask_b32_e32 v2, v2, v7, vcc
	v_cndmask_b32_e32 v3, v4, v6, vcc
	v_lshlrev_b32_e32 v4, 8, v9
	v_mov_b32_e32 v6, 0x3b800000
	v_lshlrev_b32_e32 v2, 20, v2
	v_and_b32_e32 v4, 0x80000000, v4
	v_lshl_add_u32 v3, v3, 23, v6
	v_or3_b32 v2, v4, v3, v2
.LBB41_756:
	s_or_b64 exec, exec, s[6:7]
	s_movk_i32 s4, 0xff
	v_and_b32_sdwa v3, v5, s4 dst_sel:DWORD dst_unused:UNUSED_PAD src0_sel:WORD_1 src1_sel:DWORD
	s_movk_i32 s4, 0x7f
	v_cmp_lt_i16_e32 vcc, s4, v3
	s_mov_b64 s[4:5], 0
                                        ; implicit-def: $sgpr10
	s_and_saveexec_b64 s[6:7], vcc
	s_xor_b64 s[6:7], exec, s[6:7]
	s_cbranch_execnz .LBB41_2805
; %bb.757:
	s_or_saveexec_b64 s[6:7], s[6:7]
	v_mov_b32_e32 v4, s10
	s_xor_b64 exec, exec, s[6:7]
	s_cbranch_execnz .LBB41_2808
.LBB41_758:
	s_or_b64 exec, exec, s[6:7]
	s_and_saveexec_b64 s[6:7], s[4:5]
	s_cbranch_execz .LBB41_760
.LBB41_759:
	v_bfe_u32 v3, v5, 16, 3
	v_ffbh_u32_e32 v7, v3
	v_min_u32_e32 v7, 32, v7
	v_lshrrev_b32_e32 v4, 19, v5
	v_subrev_u32_e32 v8, 28, v7
	v_and_b32_e32 v4, 15, v4
	v_lshlrev_b32_sdwa v8, v8, v5 dst_sel:DWORD dst_unused:UNUSED_PAD src0_sel:DWORD src1_sel:WORD_1
	v_bfe_u32 v6, v5, 19, 4
	v_sub_u32_e32 v7, 29, v7
	v_and_b32_e32 v8, 7, v8
	v_cmp_eq_u16_e32 vcc, 0, v4
	v_cndmask_b32_e32 v3, v3, v8, vcc
	v_cndmask_b32_e32 v4, v6, v7, vcc
	v_lshlrev_b32_e32 v6, 8, v5
	v_mov_b32_e32 v7, 0x3b800000
	v_lshlrev_b32_e32 v3, 20, v3
	v_and_b32_e32 v6, 0x80000000, v6
	v_lshl_add_u32 v4, v4, 23, v7
	v_or3_b32 v4, v6, v4, v3
.LBB41_760:
	s_or_b64 exec, exec, s[6:7]
	s_nop 0
	v_mfma_f32_16x16x4f32 a[0:3], v2, v4, a[0:3]
	s_movk_i32 s4, 0x7f
	v_cmp_gt_i16_sdwa s[6:7], v9, s4 src0_sel:BYTE_3 src1_sel:DWORD
	s_mov_b64 s[4:5], 0
                                        ; implicit-def: $sgpr10
	s_and_saveexec_b64 s[8:9], s[6:7]
	s_xor_b64 s[6:7], exec, s[8:9]
	s_cbranch_execnz .LBB41_2809
; %bb.761:
	s_or_saveexec_b64 s[6:7], s[6:7]
	v_mov_b32_e32 v2, s10
	s_xor_b64 exec, exec, s[6:7]
	s_cbranch_execnz .LBB41_2812
.LBB41_762:
	s_or_b64 exec, exec, s[6:7]
	s_and_saveexec_b64 s[6:7], s[4:5]
	s_cbranch_execz .LBB41_764
.LBB41_763:
	v_bfe_u32 v2, v9, 24, 3
	v_ffbh_u32_e32 v7, v2
	v_min_u32_e32 v7, 32, v7
	v_lshrrev_b32_e32 v4, 27, v9
	v_subrev_u32_e32 v8, 28, v7
	v_and_b32_e32 v4, 15, v4
	v_lshlrev_b32_sdwa v8, v8, v9 dst_sel:DWORD dst_unused:UNUSED_PAD src0_sel:DWORD src1_sel:BYTE_3
	v_bfe_u32 v6, v9, 27, 4
	v_sub_u32_e32 v7, 29, v7
	v_and_b32_e32 v8, 7, v8
	v_cmp_eq_u16_e32 vcc, 0, v4
	v_cndmask_b32_e32 v2, v2, v8, vcc
	v_cndmask_b32_e32 v4, v6, v7, vcc
	v_mov_b32_e32 v6, 0x3b800000
	v_and_b32_e32 v3, 0x80000000, v9
	v_lshlrev_b32_e32 v2, 20, v2
	v_lshl_add_u32 v4, v4, 23, v6
	v_or3_b32 v2, v3, v4, v2
.LBB41_764:
	s_or_b64 exec, exec, s[6:7]
	s_movk_i32 s4, 0x7f
	v_cmp_gt_i16_sdwa s[6:7], v5, s4 src0_sel:BYTE_3 src1_sel:DWORD
	s_mov_b64 s[4:5], 0
                                        ; implicit-def: $sgpr10
	s_and_saveexec_b64 s[8:9], s[6:7]
	s_xor_b64 s[6:7], exec, s[8:9]
	s_cbranch_execnz .LBB41_2813
; %bb.765:
	s_or_saveexec_b64 s[6:7], s[6:7]
	v_mov_b32_e32 v3, s10
	s_xor_b64 exec, exec, s[6:7]
	s_cbranch_execnz .LBB41_2816
.LBB41_766:
	s_or_b64 exec, exec, s[6:7]
	s_and_saveexec_b64 s[6:7], s[4:5]
	s_cbranch_execz .LBB41_768
.LBB41_767:
	v_bfe_u32 v3, v5, 24, 3
	v_ffbh_u32_e32 v8, v3
	v_min_u32_e32 v8, 32, v8
	v_lshrrev_b32_e32 v6, 27, v5
	v_subrev_u32_e32 v9, 28, v8
	v_and_b32_e32 v4, 0x80000000, v5
	v_and_b32_e32 v6, 15, v6
	v_bfe_u32 v7, v5, 27, 4
	v_lshlrev_b32_sdwa v5, v9, v5 dst_sel:DWORD dst_unused:UNUSED_PAD src0_sel:DWORD src1_sel:BYTE_3
	v_sub_u32_e32 v8, 29, v8
	v_and_b32_e32 v5, 7, v5
	v_cmp_eq_u16_e32 vcc, 0, v6
	v_cndmask_b32_e32 v3, v3, v5, vcc
	v_cndmask_b32_e32 v5, v7, v8, vcc
	v_mov_b32_e32 v6, 0x3b800000
	v_lshlrev_b32_e32 v3, 20, v3
	v_lshl_add_u32 v5, v5, 23, v6
	v_or3_b32 v3, v4, v5, v3
.LBB41_768:
	s_or_b64 exec, exec, s[6:7]
	s_nop 0
	v_mfma_f32_16x16x4f32 a[0:3], v2, v3, a[0:3]
	s_movk_i32 s4, 0x7f
                                        ; implicit-def: $sgpr10
	s_nop 7
	s_nop 1
	flat_store_dwordx4 v[18:19], a[0:3] offset:672
	flat_load_dwordx4 v[20:23], v[0:1] offset:16
	s_nop 0
	flat_load_dwordx2 v[18:19], v[0:1] offset:32
	s_waitcnt vmcnt(0) lgkmcnt(0)
	flat_load_dwordx4 v[14:17], v[20:21] offset:32
	flat_load_dwordx4 v[6:9], v[20:21] offset:48
	;; [unrolled: 1-line block ×4, first 2 shown]
	s_waitcnt vmcnt(0) lgkmcnt(0)
	v_cmp_gt_i16_sdwa s[6:7], v14, s4 src0_sel:BYTE_0 src1_sel:DWORD
	s_mov_b64 s[4:5], 0
	s_and_saveexec_b64 s[8:9], s[6:7]
	s_xor_b64 s[6:7], exec, s[8:9]
	s_cbranch_execnz .LBB41_2817
; %bb.769:
	s_or_saveexec_b64 s[6:7], s[6:7]
	v_mov_b32_e32 v20, s10
	s_xor_b64 exec, exec, s[6:7]
	s_cbranch_execnz .LBB41_2820
.LBB41_770:
	s_or_b64 exec, exec, s[6:7]
	s_and_saveexec_b64 s[6:7], s[4:5]
	s_cbranch_execz .LBB41_772
.LBB41_771:
	v_and_b32_e32 v20, 7, v14
	v_ffbh_u32_e32 v22, v20
	v_min_u32_e32 v22, 32, v22
	v_lshrrev_b16_e32 v21, 3, v14
	v_subrev_u32_e32 v23, 28, v22
	v_and_b32_e32 v21, 15, v21
	v_lshlrev_b32_e32 v23, v23, v14
	v_sub_u32_e32 v22, 29, v22
	v_and_b32_e32 v23, 7, v23
	v_cmp_eq_u16_e32 vcc, 0, v21
	v_cndmask_b32_e32 v20, v20, v23, vcc
	v_cndmask_b32_e32 v21, v21, v22, vcc
	v_lshlrev_b32_e32 v22, 24, v14
	v_mov_b32_e32 v23, 0x3b800000
	v_lshlrev_b32_e32 v20, 20, v20
	v_and_b32_e32 v22, 0x80000000, v22
	v_lshl_add_u32 v21, v21, 23, v23
	v_or3_b32 v20, v22, v21, v20
.LBB41_772:
	s_or_b64 exec, exec, s[6:7]
	s_movk_i32 s4, 0x7f
	v_cmp_gt_i16_sdwa s[6:7], v10, s4 src0_sel:BYTE_0 src1_sel:DWORD
	s_mov_b64 s[4:5], 0
                                        ; implicit-def: $sgpr10
	s_and_saveexec_b64 s[8:9], s[6:7]
	s_xor_b64 s[6:7], exec, s[8:9]
	s_cbranch_execnz .LBB41_2821
; %bb.773:
	s_or_saveexec_b64 s[6:7], s[6:7]
	v_mov_b32_e32 v21, s10
	s_xor_b64 exec, exec, s[6:7]
	s_cbranch_execnz .LBB41_2824
.LBB41_774:
	s_or_b64 exec, exec, s[6:7]
	s_and_saveexec_b64 s[6:7], s[4:5]
	s_cbranch_execz .LBB41_776
.LBB41_775:
	v_and_b32_e32 v21, 7, v10
	v_ffbh_u32_e32 v23, v21
	v_min_u32_e32 v23, 32, v23
	v_lshrrev_b16_e32 v22, 3, v10
	v_subrev_u32_e32 v24, 28, v23
	v_and_b32_e32 v22, 15, v22
	v_lshlrev_b32_e32 v24, v24, v10
	v_sub_u32_e32 v23, 29, v23
	v_and_b32_e32 v24, 7, v24
	v_cmp_eq_u16_e32 vcc, 0, v22
	v_cndmask_b32_e32 v21, v21, v24, vcc
	v_cndmask_b32_e32 v22, v22, v23, vcc
	v_lshlrev_b32_e32 v23, 24, v10
	v_mov_b32_e32 v24, 0x3b800000
	v_lshlrev_b32_e32 v21, 20, v21
	v_and_b32_e32 v23, 0x80000000, v23
	v_lshl_add_u32 v22, v22, 23, v24
	v_or3_b32 v21, v23, v22, v21
.LBB41_776:
	s_or_b64 exec, exec, s[6:7]
	flat_load_dwordx4 a[0:3], v[18:19] offset:688
	s_movk_i32 s4, 0x7f
                                        ; implicit-def: $sgpr10
	s_waitcnt vmcnt(0) lgkmcnt(0)
	v_mfma_f32_16x16x4f32 a[0:3], v20, v21, a[0:3]
	v_lshrrev_b32_e32 v21, 8, v14
	v_cmp_gt_i16_sdwa s[6:7], v21, s4 src0_sel:BYTE_0 src1_sel:DWORD
	s_mov_b64 s[4:5], 0
	s_and_saveexec_b64 s[8:9], s[6:7]
	s_xor_b64 s[6:7], exec, s[8:9]
	s_cbranch_execnz .LBB41_2825
; %bb.777:
	s_or_saveexec_b64 s[6:7], s[6:7]
	v_mov_b32_e32 v20, s10
	s_xor_b64 exec, exec, s[6:7]
	s_cbranch_execnz .LBB41_2828
.LBB41_778:
	s_or_b64 exec, exec, s[6:7]
	s_and_saveexec_b64 s[6:7], s[4:5]
	s_cbranch_execz .LBB41_780
.LBB41_779:
	v_bfe_u32 v20, v14, 8, 3
	v_ffbh_u32_e32 v23, v20
	v_min_u32_e32 v23, 32, v23
	v_lshrrev_b16_e32 v22, 3, v21
	v_subrev_u32_e32 v24, 28, v23
	v_and_b32_e32 v22, 15, v22
	v_lshlrev_b32_e32 v21, v24, v21
	v_sub_u32_e32 v23, 29, v23
	v_and_b32_e32 v21, 7, v21
	v_cmp_eq_u16_e32 vcc, 0, v22
	v_cndmask_b32_e32 v20, v20, v21, vcc
	v_cndmask_b32_e32 v21, v22, v23, vcc
	v_lshlrev_b32_e32 v22, 16, v14
	v_mov_b32_e32 v23, 0x3b800000
	v_lshlrev_b32_e32 v20, 20, v20
	v_and_b32_e32 v22, 0x80000000, v22
	v_lshl_add_u32 v21, v21, 23, v23
	v_or3_b32 v20, v22, v21, v20
.LBB41_780:
	s_or_b64 exec, exec, s[6:7]
	v_lshrrev_b32_e32 v21, 8, v10
	s_movk_i32 s4, 0x7f
	v_cmp_gt_i16_sdwa s[6:7], v21, s4 src0_sel:BYTE_0 src1_sel:DWORD
	s_mov_b64 s[4:5], 0
                                        ; implicit-def: $sgpr10
	s_and_saveexec_b64 s[8:9], s[6:7]
	s_xor_b64 s[6:7], exec, s[8:9]
	s_cbranch_execnz .LBB41_2829
; %bb.781:
	s_or_saveexec_b64 s[6:7], s[6:7]
	v_mov_b32_e32 v22, s10
	s_xor_b64 exec, exec, s[6:7]
	s_cbranch_execnz .LBB41_2832
.LBB41_782:
	s_or_b64 exec, exec, s[6:7]
	s_and_saveexec_b64 s[6:7], s[4:5]
	s_cbranch_execz .LBB41_784
.LBB41_783:
	v_bfe_u32 v22, v10, 8, 3
	v_ffbh_u32_e32 v24, v22
	v_min_u32_e32 v24, 32, v24
	v_lshrrev_b16_e32 v23, 3, v21
	v_subrev_u32_e32 v25, 28, v24
	v_and_b32_e32 v23, 15, v23
	v_lshlrev_b32_e32 v21, v25, v21
	v_sub_u32_e32 v24, 29, v24
	v_and_b32_e32 v21, 7, v21
	v_cmp_eq_u16_e32 vcc, 0, v23
	v_cndmask_b32_e32 v21, v22, v21, vcc
	v_cndmask_b32_e32 v22, v23, v24, vcc
	v_lshlrev_b32_e32 v23, 16, v10
	v_mov_b32_e32 v24, 0x3b800000
	v_lshlrev_b32_e32 v21, 20, v21
	v_and_b32_e32 v23, 0x80000000, v23
	v_lshl_add_u32 v22, v22, 23, v24
	v_or3_b32 v22, v23, v22, v21
.LBB41_784:
	s_or_b64 exec, exec, s[6:7]
	s_nop 0
	v_mfma_f32_16x16x4f32 a[0:3], v20, v22, a[0:3]
	s_movk_i32 s4, 0xff
	v_and_b32_sdwa v21, v14, s4 dst_sel:DWORD dst_unused:UNUSED_PAD src0_sel:WORD_1 src1_sel:DWORD
	s_movk_i32 s4, 0x7f
	v_cmp_lt_i16_e32 vcc, s4, v21
	s_mov_b64 s[4:5], 0
                                        ; implicit-def: $sgpr10
	s_and_saveexec_b64 s[6:7], vcc
	s_xor_b64 s[6:7], exec, s[6:7]
	s_cbranch_execnz .LBB41_2833
; %bb.785:
	s_or_saveexec_b64 s[6:7], s[6:7]
	v_mov_b32_e32 v20, s10
	s_xor_b64 exec, exec, s[6:7]
	s_cbranch_execnz .LBB41_2836
.LBB41_786:
	s_or_b64 exec, exec, s[6:7]
	s_and_saveexec_b64 s[6:7], s[4:5]
	s_cbranch_execz .LBB41_788
.LBB41_787:
	v_bfe_u32 v20, v14, 16, 3
	v_ffbh_u32_e32 v23, v20
	v_min_u32_e32 v23, 32, v23
	v_lshrrev_b32_e32 v21, 19, v14
	v_subrev_u32_e32 v24, 28, v23
	v_and_b32_e32 v21, 15, v21
	v_lshlrev_b32_sdwa v24, v24, v14 dst_sel:DWORD dst_unused:UNUSED_PAD src0_sel:DWORD src1_sel:WORD_1
	v_bfe_u32 v22, v14, 19, 4
	v_sub_u32_e32 v23, 29, v23
	v_and_b32_e32 v24, 7, v24
	v_cmp_eq_u16_e32 vcc, 0, v21
	v_cndmask_b32_e32 v20, v20, v24, vcc
	v_cndmask_b32_e32 v21, v22, v23, vcc
	v_lshlrev_b32_e32 v22, 8, v14
	v_mov_b32_e32 v23, 0x3b800000
	v_lshlrev_b32_e32 v20, 20, v20
	v_and_b32_e32 v22, 0x80000000, v22
	v_lshl_add_u32 v21, v21, 23, v23
	v_or3_b32 v20, v22, v21, v20
.LBB41_788:
	s_or_b64 exec, exec, s[6:7]
	s_movk_i32 s4, 0xff
	v_and_b32_sdwa v21, v10, s4 dst_sel:DWORD dst_unused:UNUSED_PAD src0_sel:WORD_1 src1_sel:DWORD
	s_movk_i32 s4, 0x7f
	v_cmp_lt_i16_e32 vcc, s4, v21
	s_mov_b64 s[4:5], 0
                                        ; implicit-def: $sgpr10
	s_and_saveexec_b64 s[6:7], vcc
	s_xor_b64 s[6:7], exec, s[6:7]
	s_cbranch_execnz .LBB41_2837
; %bb.789:
	s_or_saveexec_b64 s[6:7], s[6:7]
	v_mov_b32_e32 v22, s10
	s_xor_b64 exec, exec, s[6:7]
	s_cbranch_execnz .LBB41_2840
.LBB41_790:
	s_or_b64 exec, exec, s[6:7]
	s_and_saveexec_b64 s[6:7], s[4:5]
	s_cbranch_execz .LBB41_792
.LBB41_791:
	v_bfe_u32 v21, v10, 16, 3
	v_ffbh_u32_e32 v24, v21
	v_min_u32_e32 v24, 32, v24
	v_lshrrev_b32_e32 v22, 19, v10
	v_subrev_u32_e32 v25, 28, v24
	v_and_b32_e32 v22, 15, v22
	v_lshlrev_b32_sdwa v25, v25, v10 dst_sel:DWORD dst_unused:UNUSED_PAD src0_sel:DWORD src1_sel:WORD_1
	v_bfe_u32 v23, v10, 19, 4
	v_sub_u32_e32 v24, 29, v24
	v_and_b32_e32 v25, 7, v25
	v_cmp_eq_u16_e32 vcc, 0, v22
	v_cndmask_b32_e32 v21, v21, v25, vcc
	v_cndmask_b32_e32 v22, v23, v24, vcc
	v_lshlrev_b32_e32 v23, 8, v10
	v_mov_b32_e32 v24, 0x3b800000
	v_lshlrev_b32_e32 v21, 20, v21
	v_and_b32_e32 v23, 0x80000000, v23
	v_lshl_add_u32 v22, v22, 23, v24
	v_or3_b32 v22, v23, v22, v21
.LBB41_792:
	s_or_b64 exec, exec, s[6:7]
	s_nop 0
	v_mfma_f32_16x16x4f32 a[0:3], v20, v22, a[0:3]
	s_movk_i32 s4, 0x7f
	v_cmp_gt_i16_sdwa s[6:7], v14, s4 src0_sel:BYTE_3 src1_sel:DWORD
	s_mov_b64 s[4:5], 0
                                        ; implicit-def: $sgpr10
	s_and_saveexec_b64 s[8:9], s[6:7]
	s_xor_b64 s[6:7], exec, s[8:9]
	s_cbranch_execnz .LBB41_2841
; %bb.793:
	s_or_saveexec_b64 s[6:7], s[6:7]
	v_mov_b32_e32 v20, s10
	s_xor_b64 exec, exec, s[6:7]
	s_cbranch_execnz .LBB41_2844
.LBB41_794:
	s_or_b64 exec, exec, s[6:7]
	s_and_saveexec_b64 s[6:7], s[4:5]
	s_cbranch_execz .LBB41_796
.LBB41_795:
	v_bfe_u32 v20, v14, 24, 3
	v_ffbh_u32_e32 v24, v20
	v_min_u32_e32 v24, 32, v24
	v_lshrrev_b32_e32 v22, 27, v14
	v_subrev_u32_e32 v25, 28, v24
	v_and_b32_e32 v21, 0x80000000, v14
	v_and_b32_e32 v22, 15, v22
	v_bfe_u32 v23, v14, 27, 4
	v_lshlrev_b32_sdwa v14, v25, v14 dst_sel:DWORD dst_unused:UNUSED_PAD src0_sel:DWORD src1_sel:BYTE_3
	v_sub_u32_e32 v24, 29, v24
	v_and_b32_e32 v14, 7, v14
	v_cmp_eq_u16_e32 vcc, 0, v22
	v_cndmask_b32_e32 v14, v20, v14, vcc
	v_cndmask_b32_e32 v20, v23, v24, vcc
	v_mov_b32_e32 v22, 0x3b800000
	v_lshlrev_b32_e32 v14, 20, v14
	v_lshl_add_u32 v20, v20, 23, v22
	v_or3_b32 v20, v21, v20, v14
.LBB41_796:
	s_or_b64 exec, exec, s[6:7]
	s_movk_i32 s4, 0x7f
	v_cmp_gt_i16_sdwa s[6:7], v10, s4 src0_sel:BYTE_3 src1_sel:DWORD
	s_mov_b64 s[4:5], 0
                                        ; implicit-def: $sgpr10
	s_and_saveexec_b64 s[8:9], s[6:7]
	s_xor_b64 s[6:7], exec, s[8:9]
	s_cbranch_execnz .LBB41_2845
; %bb.797:
	s_or_saveexec_b64 s[6:7], s[6:7]
	v_mov_b32_e32 v14, s10
	s_xor_b64 exec, exec, s[6:7]
	s_cbranch_execnz .LBB41_2848
.LBB41_798:
	s_or_b64 exec, exec, s[6:7]
	s_and_saveexec_b64 s[6:7], s[4:5]
	s_cbranch_execz .LBB41_800
.LBB41_799:
	v_bfe_u32 v14, v10, 24, 3
	v_ffbh_u32_e32 v24, v14
	v_min_u32_e32 v24, 32, v24
	v_lshrrev_b32_e32 v22, 27, v10
	v_subrev_u32_e32 v25, 28, v24
	v_and_b32_e32 v21, 0x80000000, v10
	v_and_b32_e32 v22, 15, v22
	v_bfe_u32 v23, v10, 27, 4
	v_lshlrev_b32_sdwa v10, v25, v10 dst_sel:DWORD dst_unused:UNUSED_PAD src0_sel:DWORD src1_sel:BYTE_3
	v_sub_u32_e32 v24, 29, v24
	v_and_b32_e32 v10, 7, v10
	v_cmp_eq_u16_e32 vcc, 0, v22
	v_cndmask_b32_e32 v10, v14, v10, vcc
	v_cndmask_b32_e32 v14, v23, v24, vcc
	v_mov_b32_e32 v22, 0x3b800000
	v_lshlrev_b32_e32 v10, 20, v10
	v_lshl_add_u32 v14, v14, 23, v22
	v_or3_b32 v14, v21, v14, v10
.LBB41_800:
	s_or_b64 exec, exec, s[6:7]
	s_nop 0
	v_mfma_f32_16x16x4f32 a[0:3], v20, v14, a[0:3]
	s_movk_i32 s4, 0x7f
	v_cmp_gt_i16_sdwa s[6:7], v15, s4 src0_sel:BYTE_0 src1_sel:DWORD
	s_mov_b64 s[4:5], 0
                                        ; implicit-def: $sgpr10
	s_and_saveexec_b64 s[8:9], s[6:7]
	s_xor_b64 s[6:7], exec, s[8:9]
	s_cbranch_execnz .LBB41_2849
; %bb.801:
	s_or_saveexec_b64 s[6:7], s[6:7]
	v_mov_b32_e32 v10, s10
	s_xor_b64 exec, exec, s[6:7]
	s_cbranch_execnz .LBB41_2852
.LBB41_802:
	s_or_b64 exec, exec, s[6:7]
	s_and_saveexec_b64 s[6:7], s[4:5]
	s_cbranch_execz .LBB41_804
.LBB41_803:
	v_and_b32_e32 v10, 7, v15
	v_ffbh_u32_e32 v20, v10
	v_min_u32_e32 v20, 32, v20
	v_lshrrev_b16_e32 v14, 3, v15
	v_subrev_u32_e32 v21, 28, v20
	v_and_b32_e32 v14, 15, v14
	v_lshlrev_b32_e32 v21, v21, v15
	v_sub_u32_e32 v20, 29, v20
	v_and_b32_e32 v21, 7, v21
	v_cmp_eq_u16_e32 vcc, 0, v14
	v_cndmask_b32_e32 v10, v10, v21, vcc
	v_cndmask_b32_e32 v14, v14, v20, vcc
	v_lshlrev_b32_e32 v20, 24, v15
	v_mov_b32_e32 v21, 0x3b800000
	v_lshlrev_b32_e32 v10, 20, v10
	v_and_b32_e32 v20, 0x80000000, v20
	v_lshl_add_u32 v14, v14, 23, v21
	v_or3_b32 v10, v20, v14, v10
.LBB41_804:
	s_or_b64 exec, exec, s[6:7]
	s_movk_i32 s4, 0x7f
	v_cmp_gt_i16_sdwa s[6:7], v11, s4 src0_sel:BYTE_0 src1_sel:DWORD
	s_mov_b64 s[4:5], 0
                                        ; implicit-def: $sgpr10
	s_and_saveexec_b64 s[8:9], s[6:7]
	s_xor_b64 s[6:7], exec, s[8:9]
	s_cbranch_execnz .LBB41_2853
; %bb.805:
	s_or_saveexec_b64 s[6:7], s[6:7]
	v_mov_b32_e32 v14, s10
	s_xor_b64 exec, exec, s[6:7]
	s_cbranch_execnz .LBB41_2856
.LBB41_806:
	s_or_b64 exec, exec, s[6:7]
	s_and_saveexec_b64 s[6:7], s[4:5]
	s_cbranch_execz .LBB41_808
.LBB41_807:
	v_and_b32_e32 v14, 7, v11
	v_ffbh_u32_e32 v21, v14
	v_min_u32_e32 v21, 32, v21
	v_lshrrev_b16_e32 v20, 3, v11
	v_subrev_u32_e32 v22, 28, v21
	v_and_b32_e32 v20, 15, v20
	v_lshlrev_b32_e32 v22, v22, v11
	v_sub_u32_e32 v21, 29, v21
	v_and_b32_e32 v22, 7, v22
	v_cmp_eq_u16_e32 vcc, 0, v20
	v_cndmask_b32_e32 v14, v14, v22, vcc
	v_cndmask_b32_e32 v20, v20, v21, vcc
	v_lshlrev_b32_e32 v21, 24, v11
	v_mov_b32_e32 v22, 0x3b800000
	v_lshlrev_b32_e32 v14, 20, v14
	v_and_b32_e32 v21, 0x80000000, v21
	v_lshl_add_u32 v20, v20, 23, v22
	v_or3_b32 v14, v21, v20, v14
.LBB41_808:
	s_or_b64 exec, exec, s[6:7]
	s_nop 0
	v_mfma_f32_16x16x4f32 a[0:3], v10, v14, a[0:3]
	v_lshrrev_b32_e32 v14, 8, v15
	s_movk_i32 s4, 0x7f
	v_cmp_gt_i16_sdwa s[6:7], v14, s4 src0_sel:BYTE_0 src1_sel:DWORD
	s_mov_b64 s[4:5], 0
                                        ; implicit-def: $sgpr10
	s_and_saveexec_b64 s[8:9], s[6:7]
	s_xor_b64 s[6:7], exec, s[8:9]
	s_cbranch_execnz .LBB41_2857
; %bb.809:
	s_or_saveexec_b64 s[6:7], s[6:7]
	v_mov_b32_e32 v10, s10
	s_xor_b64 exec, exec, s[6:7]
	s_cbranch_execnz .LBB41_2860
.LBB41_810:
	s_or_b64 exec, exec, s[6:7]
	s_and_saveexec_b64 s[6:7], s[4:5]
	s_cbranch_execz .LBB41_812
.LBB41_811:
	v_bfe_u32 v10, v15, 8, 3
	v_ffbh_u32_e32 v21, v10
	v_min_u32_e32 v21, 32, v21
	v_lshrrev_b16_e32 v20, 3, v14
	v_subrev_u32_e32 v22, 28, v21
	v_and_b32_e32 v20, 15, v20
	v_lshlrev_b32_e32 v14, v22, v14
	v_sub_u32_e32 v21, 29, v21
	v_and_b32_e32 v14, 7, v14
	v_cmp_eq_u16_e32 vcc, 0, v20
	v_cndmask_b32_e32 v10, v10, v14, vcc
	v_cndmask_b32_e32 v14, v20, v21, vcc
	v_lshlrev_b32_e32 v20, 16, v15
	v_mov_b32_e32 v21, 0x3b800000
	v_lshlrev_b32_e32 v10, 20, v10
	v_and_b32_e32 v20, 0x80000000, v20
	v_lshl_add_u32 v14, v14, 23, v21
	v_or3_b32 v10, v20, v14, v10
.LBB41_812:
	s_or_b64 exec, exec, s[6:7]
	v_lshrrev_b32_e32 v14, 8, v11
	s_movk_i32 s4, 0x7f
	v_cmp_gt_i16_sdwa s[6:7], v14, s4 src0_sel:BYTE_0 src1_sel:DWORD
	s_mov_b64 s[4:5], 0
                                        ; implicit-def: $sgpr10
	s_and_saveexec_b64 s[8:9], s[6:7]
	s_xor_b64 s[6:7], exec, s[8:9]
	s_cbranch_execnz .LBB41_2861
; %bb.813:
	s_or_saveexec_b64 s[6:7], s[6:7]
	v_mov_b32_e32 v20, s10
	s_xor_b64 exec, exec, s[6:7]
	s_cbranch_execnz .LBB41_2864
.LBB41_814:
	s_or_b64 exec, exec, s[6:7]
	s_and_saveexec_b64 s[6:7], s[4:5]
	s_cbranch_execz .LBB41_816
.LBB41_815:
	v_bfe_u32 v20, v11, 8, 3
	v_ffbh_u32_e32 v22, v20
	v_min_u32_e32 v22, 32, v22
	v_lshrrev_b16_e32 v21, 3, v14
	v_subrev_u32_e32 v23, 28, v22
	v_and_b32_e32 v21, 15, v21
	v_lshlrev_b32_e32 v14, v23, v14
	v_sub_u32_e32 v22, 29, v22
	v_and_b32_e32 v14, 7, v14
	v_cmp_eq_u16_e32 vcc, 0, v21
	v_cndmask_b32_e32 v14, v20, v14, vcc
	v_cndmask_b32_e32 v20, v21, v22, vcc
	v_lshlrev_b32_e32 v21, 16, v11
	v_mov_b32_e32 v22, 0x3b800000
	v_lshlrev_b32_e32 v14, 20, v14
	v_and_b32_e32 v21, 0x80000000, v21
	v_lshl_add_u32 v20, v20, 23, v22
	v_or3_b32 v20, v21, v20, v14
.LBB41_816:
	s_or_b64 exec, exec, s[6:7]
	s_nop 0
	v_mfma_f32_16x16x4f32 a[0:3], v10, v20, a[0:3]
	s_movk_i32 s4, 0xff
	v_and_b32_sdwa v14, v15, s4 dst_sel:DWORD dst_unused:UNUSED_PAD src0_sel:WORD_1 src1_sel:DWORD
	s_movk_i32 s4, 0x7f
	v_cmp_lt_i16_e32 vcc, s4, v14
	s_mov_b64 s[4:5], 0
                                        ; implicit-def: $sgpr10
	s_and_saveexec_b64 s[6:7], vcc
	s_xor_b64 s[6:7], exec, s[6:7]
	s_cbranch_execnz .LBB41_2865
; %bb.817:
	s_or_saveexec_b64 s[6:7], s[6:7]
	v_mov_b32_e32 v10, s10
	s_xor_b64 exec, exec, s[6:7]
	s_cbranch_execnz .LBB41_2868
.LBB41_818:
	s_or_b64 exec, exec, s[6:7]
	s_and_saveexec_b64 s[6:7], s[4:5]
	s_cbranch_execz .LBB41_820
.LBB41_819:
	v_bfe_u32 v10, v15, 16, 3
	v_ffbh_u32_e32 v21, v10
	v_min_u32_e32 v21, 32, v21
	v_lshrrev_b32_e32 v14, 19, v15
	v_subrev_u32_e32 v22, 28, v21
	v_and_b32_e32 v14, 15, v14
	v_lshlrev_b32_sdwa v22, v22, v15 dst_sel:DWORD dst_unused:UNUSED_PAD src0_sel:DWORD src1_sel:WORD_1
	v_bfe_u32 v20, v15, 19, 4
	v_sub_u32_e32 v21, 29, v21
	v_and_b32_e32 v22, 7, v22
	v_cmp_eq_u16_e32 vcc, 0, v14
	v_cndmask_b32_e32 v10, v10, v22, vcc
	v_cndmask_b32_e32 v14, v20, v21, vcc
	v_lshlrev_b32_e32 v20, 8, v15
	v_mov_b32_e32 v21, 0x3b800000
	v_lshlrev_b32_e32 v10, 20, v10
	v_and_b32_e32 v20, 0x80000000, v20
	v_lshl_add_u32 v14, v14, 23, v21
	v_or3_b32 v10, v20, v14, v10
.LBB41_820:
	s_or_b64 exec, exec, s[6:7]
	s_movk_i32 s4, 0xff
	v_and_b32_sdwa v14, v11, s4 dst_sel:DWORD dst_unused:UNUSED_PAD src0_sel:WORD_1 src1_sel:DWORD
	s_movk_i32 s4, 0x7f
	v_cmp_lt_i16_e32 vcc, s4, v14
	s_mov_b64 s[4:5], 0
                                        ; implicit-def: $sgpr10
	s_and_saveexec_b64 s[6:7], vcc
	s_xor_b64 s[6:7], exec, s[6:7]
	s_cbranch_execnz .LBB41_2869
; %bb.821:
	s_or_saveexec_b64 s[6:7], s[6:7]
	v_mov_b32_e32 v20, s10
	s_xor_b64 exec, exec, s[6:7]
	s_cbranch_execnz .LBB41_2872
.LBB41_822:
	s_or_b64 exec, exec, s[6:7]
	s_and_saveexec_b64 s[6:7], s[4:5]
	s_cbranch_execz .LBB41_824
.LBB41_823:
	v_bfe_u32 v14, v11, 16, 3
	v_ffbh_u32_e32 v22, v14
	v_min_u32_e32 v22, 32, v22
	v_lshrrev_b32_e32 v20, 19, v11
	v_subrev_u32_e32 v23, 28, v22
	v_and_b32_e32 v20, 15, v20
	v_lshlrev_b32_sdwa v23, v23, v11 dst_sel:DWORD dst_unused:UNUSED_PAD src0_sel:DWORD src1_sel:WORD_1
	v_bfe_u32 v21, v11, 19, 4
	v_sub_u32_e32 v22, 29, v22
	v_and_b32_e32 v23, 7, v23
	v_cmp_eq_u16_e32 vcc, 0, v20
	v_cndmask_b32_e32 v14, v14, v23, vcc
	v_cndmask_b32_e32 v20, v21, v22, vcc
	v_lshlrev_b32_e32 v21, 8, v11
	v_mov_b32_e32 v22, 0x3b800000
	v_lshlrev_b32_e32 v14, 20, v14
	v_and_b32_e32 v21, 0x80000000, v21
	v_lshl_add_u32 v20, v20, 23, v22
	v_or3_b32 v20, v21, v20, v14
.LBB41_824:
	s_or_b64 exec, exec, s[6:7]
	s_nop 0
	v_mfma_f32_16x16x4f32 a[0:3], v10, v20, a[0:3]
	s_movk_i32 s4, 0x7f
	v_cmp_gt_i16_sdwa s[6:7], v15, s4 src0_sel:BYTE_3 src1_sel:DWORD
	s_mov_b64 s[4:5], 0
                                        ; implicit-def: $sgpr10
	s_and_saveexec_b64 s[8:9], s[6:7]
	s_xor_b64 s[6:7], exec, s[8:9]
	s_cbranch_execnz .LBB41_2873
; %bb.825:
	s_or_saveexec_b64 s[6:7], s[6:7]
	v_mov_b32_e32 v10, s10
	s_xor_b64 exec, exec, s[6:7]
	s_cbranch_execnz .LBB41_2876
.LBB41_826:
	s_or_b64 exec, exec, s[6:7]
	s_and_saveexec_b64 s[6:7], s[4:5]
	s_cbranch_execz .LBB41_828
.LBB41_827:
	v_bfe_u32 v10, v15, 24, 3
	v_ffbh_u32_e32 v22, v10
	v_min_u32_e32 v22, 32, v22
	v_lshrrev_b32_e32 v20, 27, v15
	v_subrev_u32_e32 v23, 28, v22
	v_and_b32_e32 v14, 0x80000000, v15
	v_and_b32_e32 v20, 15, v20
	v_bfe_u32 v21, v15, 27, 4
	v_lshlrev_b32_sdwa v15, v23, v15 dst_sel:DWORD dst_unused:UNUSED_PAD src0_sel:DWORD src1_sel:BYTE_3
	v_sub_u32_e32 v22, 29, v22
	v_and_b32_e32 v15, 7, v15
	v_cmp_eq_u16_e32 vcc, 0, v20
	v_cndmask_b32_e32 v10, v10, v15, vcc
	v_cndmask_b32_e32 v15, v21, v22, vcc
	v_mov_b32_e32 v20, 0x3b800000
	v_lshlrev_b32_e32 v10, 20, v10
	v_lshl_add_u32 v15, v15, 23, v20
	v_or3_b32 v10, v14, v15, v10
.LBB41_828:
	s_or_b64 exec, exec, s[6:7]
	s_movk_i32 s4, 0x7f
	v_cmp_gt_i16_sdwa s[6:7], v11, s4 src0_sel:BYTE_3 src1_sel:DWORD
	s_mov_b64 s[4:5], 0
                                        ; implicit-def: $sgpr10
	s_and_saveexec_b64 s[8:9], s[6:7]
	s_xor_b64 s[6:7], exec, s[8:9]
	s_cbranch_execnz .LBB41_2877
; %bb.829:
	s_or_saveexec_b64 s[6:7], s[6:7]
	v_mov_b32_e32 v14, s10
	s_xor_b64 exec, exec, s[6:7]
	s_cbranch_execnz .LBB41_2880
.LBB41_830:
	s_or_b64 exec, exec, s[6:7]
	s_and_saveexec_b64 s[6:7], s[4:5]
	s_cbranch_execz .LBB41_832
.LBB41_831:
	v_bfe_u32 v14, v11, 24, 3
	v_ffbh_u32_e32 v22, v14
	v_min_u32_e32 v22, 32, v22
	v_lshrrev_b32_e32 v20, 27, v11
	v_subrev_u32_e32 v23, 28, v22
	v_and_b32_e32 v15, 0x80000000, v11
	v_and_b32_e32 v20, 15, v20
	v_bfe_u32 v21, v11, 27, 4
	v_lshlrev_b32_sdwa v11, v23, v11 dst_sel:DWORD dst_unused:UNUSED_PAD src0_sel:DWORD src1_sel:BYTE_3
	v_sub_u32_e32 v22, 29, v22
	v_and_b32_e32 v11, 7, v11
	v_cmp_eq_u16_e32 vcc, 0, v20
	v_cndmask_b32_e32 v11, v14, v11, vcc
	v_cndmask_b32_e32 v14, v21, v22, vcc
	v_mov_b32_e32 v20, 0x3b800000
	v_lshlrev_b32_e32 v11, 20, v11
	v_lshl_add_u32 v14, v14, 23, v20
	v_or3_b32 v14, v15, v14, v11
.LBB41_832:
	s_or_b64 exec, exec, s[6:7]
	s_nop 0
	v_mfma_f32_16x16x4f32 a[0:3], v10, v14, a[0:3]
	s_movk_i32 s4, 0x7f
	v_cmp_gt_i16_sdwa s[6:7], v16, s4 src0_sel:BYTE_0 src1_sel:DWORD
	s_mov_b64 s[4:5], 0
                                        ; implicit-def: $sgpr10
	s_and_saveexec_b64 s[8:9], s[6:7]
	s_xor_b64 s[6:7], exec, s[8:9]
	s_cbranch_execnz .LBB41_2881
; %bb.833:
	s_or_saveexec_b64 s[6:7], s[6:7]
	v_mov_b32_e32 v10, s10
	s_xor_b64 exec, exec, s[6:7]
	s_cbranch_execnz .LBB41_2884
.LBB41_834:
	s_or_b64 exec, exec, s[6:7]
	s_and_saveexec_b64 s[6:7], s[4:5]
	s_cbranch_execz .LBB41_836
.LBB41_835:
	v_and_b32_e32 v10, 7, v16
	v_ffbh_u32_e32 v14, v10
	v_min_u32_e32 v14, 32, v14
	v_lshrrev_b16_e32 v11, 3, v16
	v_subrev_u32_e32 v15, 28, v14
	v_and_b32_e32 v11, 15, v11
	v_lshlrev_b32_e32 v15, v15, v16
	v_sub_u32_e32 v14, 29, v14
	v_and_b32_e32 v15, 7, v15
	v_cmp_eq_u16_e32 vcc, 0, v11
	v_cndmask_b32_e32 v10, v10, v15, vcc
	v_cndmask_b32_e32 v11, v11, v14, vcc
	v_lshlrev_b32_e32 v14, 24, v16
	v_mov_b32_e32 v15, 0x3b800000
	v_lshlrev_b32_e32 v10, 20, v10
	v_and_b32_e32 v14, 0x80000000, v14
	v_lshl_add_u32 v11, v11, 23, v15
	v_or3_b32 v10, v14, v11, v10
.LBB41_836:
	s_or_b64 exec, exec, s[6:7]
	s_movk_i32 s4, 0x7f
	v_cmp_gt_i16_sdwa s[6:7], v12, s4 src0_sel:BYTE_0 src1_sel:DWORD
	s_mov_b64 s[4:5], 0
                                        ; implicit-def: $sgpr10
	s_and_saveexec_b64 s[8:9], s[6:7]
	s_xor_b64 s[6:7], exec, s[8:9]
	s_cbranch_execnz .LBB41_2885
; %bb.837:
	s_or_saveexec_b64 s[6:7], s[6:7]
	v_mov_b32_e32 v11, s10
	s_xor_b64 exec, exec, s[6:7]
	s_cbranch_execnz .LBB41_2888
.LBB41_838:
	s_or_b64 exec, exec, s[6:7]
	s_and_saveexec_b64 s[6:7], s[4:5]
	s_cbranch_execz .LBB41_840
.LBB41_839:
	v_and_b32_e32 v11, 7, v12
	v_ffbh_u32_e32 v15, v11
	v_min_u32_e32 v15, 32, v15
	v_lshrrev_b16_e32 v14, 3, v12
	v_subrev_u32_e32 v20, 28, v15
	v_and_b32_e32 v14, 15, v14
	v_lshlrev_b32_e32 v20, v20, v12
	v_sub_u32_e32 v15, 29, v15
	v_and_b32_e32 v20, 7, v20
	v_cmp_eq_u16_e32 vcc, 0, v14
	v_cndmask_b32_e32 v11, v11, v20, vcc
	v_cndmask_b32_e32 v14, v14, v15, vcc
	v_lshlrev_b32_e32 v15, 24, v12
	v_mov_b32_e32 v20, 0x3b800000
	v_lshlrev_b32_e32 v11, 20, v11
	v_and_b32_e32 v15, 0x80000000, v15
	v_lshl_add_u32 v14, v14, 23, v20
	v_or3_b32 v11, v15, v14, v11
.LBB41_840:
	s_or_b64 exec, exec, s[6:7]
	s_nop 0
	v_mfma_f32_16x16x4f32 a[0:3], v10, v11, a[0:3]
	v_lshrrev_b32_e32 v11, 8, v16
	s_movk_i32 s4, 0x7f
	v_cmp_gt_i16_sdwa s[6:7], v11, s4 src0_sel:BYTE_0 src1_sel:DWORD
	s_mov_b64 s[4:5], 0
                                        ; implicit-def: $sgpr10
	s_and_saveexec_b64 s[8:9], s[6:7]
	s_xor_b64 s[6:7], exec, s[8:9]
	s_cbranch_execnz .LBB41_2889
; %bb.841:
	s_or_saveexec_b64 s[6:7], s[6:7]
	v_mov_b32_e32 v10, s10
	s_xor_b64 exec, exec, s[6:7]
	s_cbranch_execnz .LBB41_2892
.LBB41_842:
	s_or_b64 exec, exec, s[6:7]
	s_and_saveexec_b64 s[6:7], s[4:5]
	s_cbranch_execz .LBB41_844
.LBB41_843:
	v_bfe_u32 v10, v16, 8, 3
	v_ffbh_u32_e32 v15, v10
	v_min_u32_e32 v15, 32, v15
	v_lshrrev_b16_e32 v14, 3, v11
	v_subrev_u32_e32 v20, 28, v15
	v_and_b32_e32 v14, 15, v14
	v_lshlrev_b32_e32 v11, v20, v11
	v_sub_u32_e32 v15, 29, v15
	v_and_b32_e32 v11, 7, v11
	v_cmp_eq_u16_e32 vcc, 0, v14
	v_cndmask_b32_e32 v10, v10, v11, vcc
	v_cndmask_b32_e32 v11, v14, v15, vcc
	v_lshlrev_b32_e32 v14, 16, v16
	v_mov_b32_e32 v15, 0x3b800000
	v_lshlrev_b32_e32 v10, 20, v10
	v_and_b32_e32 v14, 0x80000000, v14
	v_lshl_add_u32 v11, v11, 23, v15
	v_or3_b32 v10, v14, v11, v10
.LBB41_844:
	s_or_b64 exec, exec, s[6:7]
	v_lshrrev_b32_e32 v11, 8, v12
	s_movk_i32 s4, 0x7f
	v_cmp_gt_i16_sdwa s[6:7], v11, s4 src0_sel:BYTE_0 src1_sel:DWORD
	s_mov_b64 s[4:5], 0
                                        ; implicit-def: $sgpr10
	s_and_saveexec_b64 s[8:9], s[6:7]
	s_xor_b64 s[6:7], exec, s[8:9]
	s_cbranch_execnz .LBB41_2893
; %bb.845:
	s_or_saveexec_b64 s[6:7], s[6:7]
	v_mov_b32_e32 v14, s10
	s_xor_b64 exec, exec, s[6:7]
	s_cbranch_execnz .LBB41_2896
.LBB41_846:
	s_or_b64 exec, exec, s[6:7]
	s_and_saveexec_b64 s[6:7], s[4:5]
	s_cbranch_execz .LBB41_848
.LBB41_847:
	v_bfe_u32 v14, v12, 8, 3
	v_ffbh_u32_e32 v20, v14
	v_min_u32_e32 v20, 32, v20
	v_lshrrev_b16_e32 v15, 3, v11
	v_subrev_u32_e32 v21, 28, v20
	v_and_b32_e32 v15, 15, v15
	v_lshlrev_b32_e32 v11, v21, v11
	v_sub_u32_e32 v20, 29, v20
	v_and_b32_e32 v11, 7, v11
	v_cmp_eq_u16_e32 vcc, 0, v15
	v_cndmask_b32_e32 v11, v14, v11, vcc
	v_cndmask_b32_e32 v14, v15, v20, vcc
	v_lshlrev_b32_e32 v15, 16, v12
	v_mov_b32_e32 v20, 0x3b800000
	v_lshlrev_b32_e32 v11, 20, v11
	v_and_b32_e32 v15, 0x80000000, v15
	v_lshl_add_u32 v14, v14, 23, v20
	v_or3_b32 v14, v15, v14, v11
.LBB41_848:
	s_or_b64 exec, exec, s[6:7]
	s_nop 0
	v_mfma_f32_16x16x4f32 a[0:3], v10, v14, a[0:3]
	s_movk_i32 s4, 0xff
	v_and_b32_sdwa v11, v16, s4 dst_sel:DWORD dst_unused:UNUSED_PAD src0_sel:WORD_1 src1_sel:DWORD
	s_movk_i32 s4, 0x7f
	v_cmp_lt_i16_e32 vcc, s4, v11
	s_mov_b64 s[4:5], 0
                                        ; implicit-def: $sgpr10
	s_and_saveexec_b64 s[6:7], vcc
	s_xor_b64 s[6:7], exec, s[6:7]
	s_cbranch_execnz .LBB41_2897
; %bb.849:
	s_or_saveexec_b64 s[6:7], s[6:7]
	v_mov_b32_e32 v10, s10
	s_xor_b64 exec, exec, s[6:7]
	s_cbranch_execnz .LBB41_2900
.LBB41_850:
	s_or_b64 exec, exec, s[6:7]
	s_and_saveexec_b64 s[6:7], s[4:5]
	s_cbranch_execz .LBB41_852
.LBB41_851:
	v_bfe_u32 v10, v16, 16, 3
	v_ffbh_u32_e32 v15, v10
	v_min_u32_e32 v15, 32, v15
	v_lshrrev_b32_e32 v11, 19, v16
	v_subrev_u32_e32 v20, 28, v15
	v_and_b32_e32 v11, 15, v11
	v_lshlrev_b32_sdwa v20, v20, v16 dst_sel:DWORD dst_unused:UNUSED_PAD src0_sel:DWORD src1_sel:WORD_1
	v_bfe_u32 v14, v16, 19, 4
	v_sub_u32_e32 v15, 29, v15
	v_and_b32_e32 v20, 7, v20
	v_cmp_eq_u16_e32 vcc, 0, v11
	v_cndmask_b32_e32 v10, v10, v20, vcc
	v_cndmask_b32_e32 v11, v14, v15, vcc
	v_lshlrev_b32_e32 v14, 8, v16
	v_mov_b32_e32 v15, 0x3b800000
	v_lshlrev_b32_e32 v10, 20, v10
	v_and_b32_e32 v14, 0x80000000, v14
	v_lshl_add_u32 v11, v11, 23, v15
	v_or3_b32 v10, v14, v11, v10
.LBB41_852:
	s_or_b64 exec, exec, s[6:7]
	s_movk_i32 s4, 0xff
	v_and_b32_sdwa v11, v12, s4 dst_sel:DWORD dst_unused:UNUSED_PAD src0_sel:WORD_1 src1_sel:DWORD
	s_movk_i32 s4, 0x7f
	v_cmp_lt_i16_e32 vcc, s4, v11
	s_mov_b64 s[4:5], 0
                                        ; implicit-def: $sgpr10
	s_and_saveexec_b64 s[6:7], vcc
	s_xor_b64 s[6:7], exec, s[6:7]
	s_cbranch_execnz .LBB41_2901
; %bb.853:
	s_or_saveexec_b64 s[6:7], s[6:7]
	v_mov_b32_e32 v14, s10
	s_xor_b64 exec, exec, s[6:7]
	s_cbranch_execnz .LBB41_2904
.LBB41_854:
	s_or_b64 exec, exec, s[6:7]
	s_and_saveexec_b64 s[6:7], s[4:5]
	s_cbranch_execz .LBB41_856
.LBB41_855:
	v_bfe_u32 v11, v12, 16, 3
	v_ffbh_u32_e32 v20, v11
	v_min_u32_e32 v20, 32, v20
	v_lshrrev_b32_e32 v14, 19, v12
	v_subrev_u32_e32 v21, 28, v20
	v_and_b32_e32 v14, 15, v14
	v_lshlrev_b32_sdwa v21, v21, v12 dst_sel:DWORD dst_unused:UNUSED_PAD src0_sel:DWORD src1_sel:WORD_1
	v_bfe_u32 v15, v12, 19, 4
	v_sub_u32_e32 v20, 29, v20
	v_and_b32_e32 v21, 7, v21
	v_cmp_eq_u16_e32 vcc, 0, v14
	v_cndmask_b32_e32 v11, v11, v21, vcc
	v_cndmask_b32_e32 v14, v15, v20, vcc
	v_lshlrev_b32_e32 v15, 8, v12
	v_mov_b32_e32 v20, 0x3b800000
	v_lshlrev_b32_e32 v11, 20, v11
	v_and_b32_e32 v15, 0x80000000, v15
	v_lshl_add_u32 v14, v14, 23, v20
	v_or3_b32 v14, v15, v14, v11
.LBB41_856:
	s_or_b64 exec, exec, s[6:7]
	s_nop 0
	v_mfma_f32_16x16x4f32 a[0:3], v10, v14, a[0:3]
	s_movk_i32 s4, 0x7f
	v_cmp_gt_i16_sdwa s[6:7], v16, s4 src0_sel:BYTE_3 src1_sel:DWORD
	s_mov_b64 s[4:5], 0
                                        ; implicit-def: $sgpr10
	s_and_saveexec_b64 s[8:9], s[6:7]
	s_xor_b64 s[6:7], exec, s[8:9]
	s_cbranch_execnz .LBB41_2905
; %bb.857:
	s_or_saveexec_b64 s[6:7], s[6:7]
	v_mov_b32_e32 v10, s10
	s_xor_b64 exec, exec, s[6:7]
	s_cbranch_execnz .LBB41_2908
.LBB41_858:
	s_or_b64 exec, exec, s[6:7]
	s_and_saveexec_b64 s[6:7], s[4:5]
	s_cbranch_execz .LBB41_860
.LBB41_859:
	v_bfe_u32 v10, v16, 24, 3
	v_ffbh_u32_e32 v20, v10
	v_min_u32_e32 v20, 32, v20
	v_lshrrev_b32_e32 v14, 27, v16
	v_subrev_u32_e32 v21, 28, v20
	v_and_b32_e32 v11, 0x80000000, v16
	v_and_b32_e32 v14, 15, v14
	v_bfe_u32 v15, v16, 27, 4
	v_lshlrev_b32_sdwa v16, v21, v16 dst_sel:DWORD dst_unused:UNUSED_PAD src0_sel:DWORD src1_sel:BYTE_3
	v_sub_u32_e32 v20, 29, v20
	v_and_b32_e32 v16, 7, v16
	v_cmp_eq_u16_e32 vcc, 0, v14
	v_cndmask_b32_e32 v10, v10, v16, vcc
	v_cndmask_b32_e32 v14, v15, v20, vcc
	v_mov_b32_e32 v15, 0x3b800000
	v_lshlrev_b32_e32 v10, 20, v10
	v_lshl_add_u32 v14, v14, 23, v15
	v_or3_b32 v10, v11, v14, v10
.LBB41_860:
	s_or_b64 exec, exec, s[6:7]
	s_movk_i32 s4, 0x7f
	v_cmp_gt_i16_sdwa s[6:7], v12, s4 src0_sel:BYTE_3 src1_sel:DWORD
	s_mov_b64 s[4:5], 0
                                        ; implicit-def: $sgpr10
	s_and_saveexec_b64 s[8:9], s[6:7]
	s_xor_b64 s[6:7], exec, s[8:9]
	s_cbranch_execnz .LBB41_2909
; %bb.861:
	s_or_saveexec_b64 s[6:7], s[6:7]
	v_mov_b32_e32 v11, s10
	s_xor_b64 exec, exec, s[6:7]
	s_cbranch_execnz .LBB41_2912
.LBB41_862:
	s_or_b64 exec, exec, s[6:7]
	s_and_saveexec_b64 s[6:7], s[4:5]
	s_cbranch_execz .LBB41_864
.LBB41_863:
	v_bfe_u32 v11, v12, 24, 3
	v_ffbh_u32_e32 v20, v11
	v_min_u32_e32 v20, 32, v20
	v_lshrrev_b32_e32 v15, 27, v12
	v_subrev_u32_e32 v21, 28, v20
	v_and_b32_e32 v14, 0x80000000, v12
	v_and_b32_e32 v15, 15, v15
	v_bfe_u32 v16, v12, 27, 4
	v_lshlrev_b32_sdwa v12, v21, v12 dst_sel:DWORD dst_unused:UNUSED_PAD src0_sel:DWORD src1_sel:BYTE_3
	v_sub_u32_e32 v20, 29, v20
	v_and_b32_e32 v12, 7, v12
	v_cmp_eq_u16_e32 vcc, 0, v15
	v_cndmask_b32_e32 v11, v11, v12, vcc
	v_cndmask_b32_e32 v12, v16, v20, vcc
	v_mov_b32_e32 v15, 0x3b800000
	v_lshlrev_b32_e32 v11, 20, v11
	v_lshl_add_u32 v12, v12, 23, v15
	v_or3_b32 v11, v14, v12, v11
.LBB41_864:
	s_or_b64 exec, exec, s[6:7]
	s_nop 0
	v_mfma_f32_16x16x4f32 a[0:3], v10, v11, a[0:3]
	s_movk_i32 s4, 0x7f
	v_cmp_gt_i16_sdwa s[6:7], v17, s4 src0_sel:BYTE_0 src1_sel:DWORD
	s_mov_b64 s[4:5], 0
                                        ; implicit-def: $sgpr10
	s_and_saveexec_b64 s[8:9], s[6:7]
	s_xor_b64 s[6:7], exec, s[8:9]
	s_cbranch_execnz .LBB41_2913
; %bb.865:
	s_or_saveexec_b64 s[6:7], s[6:7]
	v_mov_b32_e32 v10, s10
	s_xor_b64 exec, exec, s[6:7]
	s_cbranch_execnz .LBB41_2916
.LBB41_866:
	s_or_b64 exec, exec, s[6:7]
	s_and_saveexec_b64 s[6:7], s[4:5]
	s_cbranch_execz .LBB41_868
.LBB41_867:
	v_and_b32_e32 v10, 7, v17
	v_ffbh_u32_e32 v12, v10
	v_min_u32_e32 v12, 32, v12
	v_lshrrev_b16_e32 v11, 3, v17
	v_subrev_u32_e32 v14, 28, v12
	v_and_b32_e32 v11, 15, v11
	v_lshlrev_b32_e32 v14, v14, v17
	v_sub_u32_e32 v12, 29, v12
	v_and_b32_e32 v14, 7, v14
	v_cmp_eq_u16_e32 vcc, 0, v11
	v_cndmask_b32_e32 v10, v10, v14, vcc
	v_cndmask_b32_e32 v11, v11, v12, vcc
	v_lshlrev_b32_e32 v12, 24, v17
	v_mov_b32_e32 v14, 0x3b800000
	v_lshlrev_b32_e32 v10, 20, v10
	v_and_b32_e32 v12, 0x80000000, v12
	v_lshl_add_u32 v11, v11, 23, v14
	v_or3_b32 v10, v12, v11, v10
.LBB41_868:
	s_or_b64 exec, exec, s[6:7]
	s_movk_i32 s4, 0x7f
	v_cmp_gt_i16_sdwa s[6:7], v13, s4 src0_sel:BYTE_0 src1_sel:DWORD
	s_mov_b64 s[4:5], 0
                                        ; implicit-def: $sgpr10
	s_and_saveexec_b64 s[8:9], s[6:7]
	s_xor_b64 s[6:7], exec, s[8:9]
	s_cbranch_execnz .LBB41_2917
; %bb.869:
	s_or_saveexec_b64 s[6:7], s[6:7]
	v_mov_b32_e32 v11, s10
	s_xor_b64 exec, exec, s[6:7]
	s_cbranch_execnz .LBB41_2920
.LBB41_870:
	s_or_b64 exec, exec, s[6:7]
	s_and_saveexec_b64 s[6:7], s[4:5]
	s_cbranch_execz .LBB41_872
.LBB41_871:
	v_and_b32_e32 v11, 7, v13
	v_ffbh_u32_e32 v14, v11
	v_min_u32_e32 v14, 32, v14
	v_lshrrev_b16_e32 v12, 3, v13
	v_subrev_u32_e32 v15, 28, v14
	v_and_b32_e32 v12, 15, v12
	v_lshlrev_b32_e32 v15, v15, v13
	v_sub_u32_e32 v14, 29, v14
	v_and_b32_e32 v15, 7, v15
	v_cmp_eq_u16_e32 vcc, 0, v12
	v_cndmask_b32_e32 v11, v11, v15, vcc
	v_cndmask_b32_e32 v12, v12, v14, vcc
	v_lshlrev_b32_e32 v14, 24, v13
	v_mov_b32_e32 v15, 0x3b800000
	v_lshlrev_b32_e32 v11, 20, v11
	v_and_b32_e32 v14, 0x80000000, v14
	v_lshl_add_u32 v12, v12, 23, v15
	v_or3_b32 v11, v14, v12, v11
.LBB41_872:
	s_or_b64 exec, exec, s[6:7]
	s_nop 0
	v_mfma_f32_16x16x4f32 a[0:3], v10, v11, a[0:3]
	v_lshrrev_b32_e32 v11, 8, v17
	s_movk_i32 s4, 0x7f
	v_cmp_gt_i16_sdwa s[6:7], v11, s4 src0_sel:BYTE_0 src1_sel:DWORD
	s_mov_b64 s[4:5], 0
                                        ; implicit-def: $sgpr10
	s_and_saveexec_b64 s[8:9], s[6:7]
	s_xor_b64 s[6:7], exec, s[8:9]
	s_cbranch_execnz .LBB41_2921
; %bb.873:
	s_or_saveexec_b64 s[6:7], s[6:7]
	v_mov_b32_e32 v10, s10
	s_xor_b64 exec, exec, s[6:7]
	s_cbranch_execnz .LBB41_2924
.LBB41_874:
	s_or_b64 exec, exec, s[6:7]
	s_and_saveexec_b64 s[6:7], s[4:5]
	s_cbranch_execz .LBB41_876
.LBB41_875:
	v_bfe_u32 v10, v17, 8, 3
	v_ffbh_u32_e32 v14, v10
	v_min_u32_e32 v14, 32, v14
	v_lshrrev_b16_e32 v12, 3, v11
	v_subrev_u32_e32 v15, 28, v14
	v_and_b32_e32 v12, 15, v12
	v_lshlrev_b32_e32 v11, v15, v11
	v_sub_u32_e32 v14, 29, v14
	v_and_b32_e32 v11, 7, v11
	v_cmp_eq_u16_e32 vcc, 0, v12
	v_cndmask_b32_e32 v10, v10, v11, vcc
	v_cndmask_b32_e32 v11, v12, v14, vcc
	v_lshlrev_b32_e32 v12, 16, v17
	v_mov_b32_e32 v14, 0x3b800000
	v_lshlrev_b32_e32 v10, 20, v10
	v_and_b32_e32 v12, 0x80000000, v12
	v_lshl_add_u32 v11, v11, 23, v14
	v_or3_b32 v10, v12, v11, v10
.LBB41_876:
	s_or_b64 exec, exec, s[6:7]
	v_lshrrev_b32_e32 v11, 8, v13
	s_movk_i32 s4, 0x7f
	v_cmp_gt_i16_sdwa s[6:7], v11, s4 src0_sel:BYTE_0 src1_sel:DWORD
	s_mov_b64 s[4:5], 0
                                        ; implicit-def: $sgpr10
	s_and_saveexec_b64 s[8:9], s[6:7]
	s_xor_b64 s[6:7], exec, s[8:9]
	s_cbranch_execnz .LBB41_2925
; %bb.877:
	s_or_saveexec_b64 s[6:7], s[6:7]
	v_mov_b32_e32 v12, s10
	s_xor_b64 exec, exec, s[6:7]
	s_cbranch_execnz .LBB41_2928
.LBB41_878:
	s_or_b64 exec, exec, s[6:7]
	s_and_saveexec_b64 s[6:7], s[4:5]
	s_cbranch_execz .LBB41_880
.LBB41_879:
	v_bfe_u32 v12, v13, 8, 3
	v_ffbh_u32_e32 v15, v12
	v_min_u32_e32 v15, 32, v15
	v_lshrrev_b16_e32 v14, 3, v11
	v_subrev_u32_e32 v16, 28, v15
	v_and_b32_e32 v14, 15, v14
	v_lshlrev_b32_e32 v11, v16, v11
	v_sub_u32_e32 v15, 29, v15
	v_and_b32_e32 v11, 7, v11
	v_cmp_eq_u16_e32 vcc, 0, v14
	v_cndmask_b32_e32 v11, v12, v11, vcc
	v_cndmask_b32_e32 v12, v14, v15, vcc
	v_lshlrev_b32_e32 v14, 16, v13
	v_mov_b32_e32 v15, 0x3b800000
	v_lshlrev_b32_e32 v11, 20, v11
	v_and_b32_e32 v14, 0x80000000, v14
	v_lshl_add_u32 v12, v12, 23, v15
	v_or3_b32 v12, v14, v12, v11
.LBB41_880:
	s_or_b64 exec, exec, s[6:7]
	s_nop 0
	v_mfma_f32_16x16x4f32 a[0:3], v10, v12, a[0:3]
	s_movk_i32 s4, 0xff
	v_and_b32_sdwa v11, v17, s4 dst_sel:DWORD dst_unused:UNUSED_PAD src0_sel:WORD_1 src1_sel:DWORD
	s_movk_i32 s4, 0x7f
	v_cmp_lt_i16_e32 vcc, s4, v11
	s_mov_b64 s[4:5], 0
                                        ; implicit-def: $sgpr10
	s_and_saveexec_b64 s[6:7], vcc
	s_xor_b64 s[6:7], exec, s[6:7]
	s_cbranch_execnz .LBB41_2929
; %bb.881:
	s_or_saveexec_b64 s[6:7], s[6:7]
	v_mov_b32_e32 v10, s10
	s_xor_b64 exec, exec, s[6:7]
	s_cbranch_execnz .LBB41_2932
.LBB41_882:
	s_or_b64 exec, exec, s[6:7]
	s_and_saveexec_b64 s[6:7], s[4:5]
	s_cbranch_execz .LBB41_884
.LBB41_883:
	v_bfe_u32 v10, v17, 16, 3
	v_ffbh_u32_e32 v14, v10
	v_min_u32_e32 v14, 32, v14
	v_lshrrev_b32_e32 v11, 19, v17
	v_subrev_u32_e32 v15, 28, v14
	v_and_b32_e32 v11, 15, v11
	v_lshlrev_b32_sdwa v15, v15, v17 dst_sel:DWORD dst_unused:UNUSED_PAD src0_sel:DWORD src1_sel:WORD_1
	v_bfe_u32 v12, v17, 19, 4
	v_sub_u32_e32 v14, 29, v14
	v_and_b32_e32 v15, 7, v15
	v_cmp_eq_u16_e32 vcc, 0, v11
	v_cndmask_b32_e32 v10, v10, v15, vcc
	v_cndmask_b32_e32 v11, v12, v14, vcc
	v_lshlrev_b32_e32 v12, 8, v17
	v_mov_b32_e32 v14, 0x3b800000
	v_lshlrev_b32_e32 v10, 20, v10
	v_and_b32_e32 v12, 0x80000000, v12
	v_lshl_add_u32 v11, v11, 23, v14
	v_or3_b32 v10, v12, v11, v10
.LBB41_884:
	s_or_b64 exec, exec, s[6:7]
	s_movk_i32 s4, 0xff
	v_and_b32_sdwa v11, v13, s4 dst_sel:DWORD dst_unused:UNUSED_PAD src0_sel:WORD_1 src1_sel:DWORD
	s_movk_i32 s4, 0x7f
	v_cmp_lt_i16_e32 vcc, s4, v11
	s_mov_b64 s[4:5], 0
                                        ; implicit-def: $sgpr10
	s_and_saveexec_b64 s[6:7], vcc
	s_xor_b64 s[6:7], exec, s[6:7]
	s_cbranch_execnz .LBB41_2933
; %bb.885:
	s_or_saveexec_b64 s[6:7], s[6:7]
	v_mov_b32_e32 v12, s10
	s_xor_b64 exec, exec, s[6:7]
	s_cbranch_execnz .LBB41_2936
.LBB41_886:
	s_or_b64 exec, exec, s[6:7]
	s_and_saveexec_b64 s[6:7], s[4:5]
	s_cbranch_execz .LBB41_888
.LBB41_887:
	v_bfe_u32 v11, v13, 16, 3
	v_ffbh_u32_e32 v15, v11
	v_min_u32_e32 v15, 32, v15
	v_lshrrev_b32_e32 v12, 19, v13
	v_subrev_u32_e32 v16, 28, v15
	v_and_b32_e32 v12, 15, v12
	v_lshlrev_b32_sdwa v16, v16, v13 dst_sel:DWORD dst_unused:UNUSED_PAD src0_sel:DWORD src1_sel:WORD_1
	v_bfe_u32 v14, v13, 19, 4
	v_sub_u32_e32 v15, 29, v15
	v_and_b32_e32 v16, 7, v16
	v_cmp_eq_u16_e32 vcc, 0, v12
	v_cndmask_b32_e32 v11, v11, v16, vcc
	v_cndmask_b32_e32 v12, v14, v15, vcc
	v_lshlrev_b32_e32 v14, 8, v13
	v_mov_b32_e32 v15, 0x3b800000
	v_lshlrev_b32_e32 v11, 20, v11
	v_and_b32_e32 v14, 0x80000000, v14
	v_lshl_add_u32 v12, v12, 23, v15
	v_or3_b32 v12, v14, v12, v11
.LBB41_888:
	s_or_b64 exec, exec, s[6:7]
	s_nop 0
	v_mfma_f32_16x16x4f32 a[0:3], v10, v12, a[0:3]
	s_movk_i32 s4, 0x7f
	v_cmp_gt_i16_sdwa s[6:7], v17, s4 src0_sel:BYTE_3 src1_sel:DWORD
	s_mov_b64 s[4:5], 0
                                        ; implicit-def: $sgpr10
	s_and_saveexec_b64 s[8:9], s[6:7]
	s_xor_b64 s[6:7], exec, s[8:9]
	s_cbranch_execnz .LBB41_2937
; %bb.889:
	s_or_saveexec_b64 s[6:7], s[6:7]
	v_mov_b32_e32 v10, s10
	s_xor_b64 exec, exec, s[6:7]
	s_cbranch_execnz .LBB41_2940
.LBB41_890:
	s_or_b64 exec, exec, s[6:7]
	s_and_saveexec_b64 s[6:7], s[4:5]
	s_cbranch_execz .LBB41_892
.LBB41_891:
	v_bfe_u32 v10, v17, 24, 3
	v_ffbh_u32_e32 v15, v10
	v_min_u32_e32 v15, 32, v15
	v_lshrrev_b32_e32 v12, 27, v17
	v_subrev_u32_e32 v16, 28, v15
	v_and_b32_e32 v12, 15, v12
	v_lshlrev_b32_sdwa v16, v16, v17 dst_sel:DWORD dst_unused:UNUSED_PAD src0_sel:DWORD src1_sel:BYTE_3
	v_bfe_u32 v14, v17, 27, 4
	v_sub_u32_e32 v15, 29, v15
	v_and_b32_e32 v16, 7, v16
	v_cmp_eq_u16_e32 vcc, 0, v12
	v_cndmask_b32_e32 v10, v10, v16, vcc
	v_cndmask_b32_e32 v12, v14, v15, vcc
	v_mov_b32_e32 v14, 0x3b800000
	v_and_b32_e32 v11, 0x80000000, v17
	v_lshlrev_b32_e32 v10, 20, v10
	v_lshl_add_u32 v12, v12, 23, v14
	v_or3_b32 v10, v11, v12, v10
.LBB41_892:
	s_or_b64 exec, exec, s[6:7]
	s_movk_i32 s4, 0x7f
	v_cmp_gt_i16_sdwa s[6:7], v13, s4 src0_sel:BYTE_3 src1_sel:DWORD
	s_mov_b64 s[4:5], 0
                                        ; implicit-def: $sgpr10
	s_and_saveexec_b64 s[8:9], s[6:7]
	s_xor_b64 s[6:7], exec, s[8:9]
	s_cbranch_execnz .LBB41_2941
; %bb.893:
	s_or_saveexec_b64 s[6:7], s[6:7]
	v_mov_b32_e32 v11, s10
	s_xor_b64 exec, exec, s[6:7]
	s_cbranch_execnz .LBB41_2944
.LBB41_894:
	s_or_b64 exec, exec, s[6:7]
	s_and_saveexec_b64 s[6:7], s[4:5]
	s_cbranch_execz .LBB41_896
.LBB41_895:
	v_bfe_u32 v11, v13, 24, 3
	v_ffbh_u32_e32 v16, v11
	v_min_u32_e32 v16, 32, v16
	v_lshrrev_b32_e32 v14, 27, v13
	v_subrev_u32_e32 v17, 28, v16
	v_and_b32_e32 v12, 0x80000000, v13
	v_and_b32_e32 v14, 15, v14
	v_bfe_u32 v15, v13, 27, 4
	v_lshlrev_b32_sdwa v13, v17, v13 dst_sel:DWORD dst_unused:UNUSED_PAD src0_sel:DWORD src1_sel:BYTE_3
	v_sub_u32_e32 v16, 29, v16
	v_and_b32_e32 v13, 7, v13
	v_cmp_eq_u16_e32 vcc, 0, v14
	v_cndmask_b32_e32 v11, v11, v13, vcc
	v_cndmask_b32_e32 v13, v15, v16, vcc
	v_mov_b32_e32 v14, 0x3b800000
	v_lshlrev_b32_e32 v11, 20, v11
	v_lshl_add_u32 v13, v13, 23, v14
	v_or3_b32 v11, v12, v13, v11
.LBB41_896:
	s_or_b64 exec, exec, s[6:7]
	s_nop 0
	v_mfma_f32_16x16x4f32 a[0:3], v10, v11, a[0:3]
	s_movk_i32 s4, 0x7f
	v_cmp_gt_i16_sdwa s[6:7], v6, s4 src0_sel:BYTE_0 src1_sel:DWORD
	s_mov_b64 s[4:5], 0
                                        ; implicit-def: $sgpr10
	s_and_saveexec_b64 s[8:9], s[6:7]
	s_xor_b64 s[6:7], exec, s[8:9]
	s_cbranch_execnz .LBB41_2945
; %bb.897:
	s_or_saveexec_b64 s[6:7], s[6:7]
	v_mov_b32_e32 v10, s10
	s_xor_b64 exec, exec, s[6:7]
	s_cbranch_execnz .LBB41_2948
.LBB41_898:
	s_or_b64 exec, exec, s[6:7]
	s_and_saveexec_b64 s[6:7], s[4:5]
	s_cbranch_execz .LBB41_900
.LBB41_899:
	v_and_b32_e32 v10, 7, v6
	v_ffbh_u32_e32 v12, v10
	v_min_u32_e32 v12, 32, v12
	v_lshrrev_b16_e32 v11, 3, v6
	v_subrev_u32_e32 v13, 28, v12
	v_and_b32_e32 v11, 15, v11
	v_lshlrev_b32_e32 v13, v13, v6
	v_sub_u32_e32 v12, 29, v12
	v_and_b32_e32 v13, 7, v13
	v_cmp_eq_u16_e32 vcc, 0, v11
	v_cndmask_b32_e32 v10, v10, v13, vcc
	v_cndmask_b32_e32 v11, v11, v12, vcc
	v_lshlrev_b32_e32 v12, 24, v6
	v_mov_b32_e32 v13, 0x3b800000
	v_lshlrev_b32_e32 v10, 20, v10
	v_and_b32_e32 v12, 0x80000000, v12
	v_lshl_add_u32 v11, v11, 23, v13
	v_or3_b32 v10, v12, v11, v10
.LBB41_900:
	s_or_b64 exec, exec, s[6:7]
	s_movk_i32 s4, 0x7f
	v_cmp_gt_i16_sdwa s[6:7], v2, s4 src0_sel:BYTE_0 src1_sel:DWORD
	s_mov_b64 s[4:5], 0
                                        ; implicit-def: $sgpr10
	s_and_saveexec_b64 s[8:9], s[6:7]
	s_xor_b64 s[6:7], exec, s[8:9]
	s_cbranch_execnz .LBB41_2949
; %bb.901:
	s_or_saveexec_b64 s[6:7], s[6:7]
	v_mov_b32_e32 v11, s10
	s_xor_b64 exec, exec, s[6:7]
	s_cbranch_execnz .LBB41_2952
.LBB41_902:
	s_or_b64 exec, exec, s[6:7]
	s_and_saveexec_b64 s[6:7], s[4:5]
	s_cbranch_execz .LBB41_904
.LBB41_903:
	v_and_b32_e32 v11, 7, v2
	v_ffbh_u32_e32 v13, v11
	v_min_u32_e32 v13, 32, v13
	v_lshrrev_b16_e32 v12, 3, v2
	v_subrev_u32_e32 v14, 28, v13
	v_and_b32_e32 v12, 15, v12
	v_lshlrev_b32_e32 v14, v14, v2
	v_sub_u32_e32 v13, 29, v13
	v_and_b32_e32 v14, 7, v14
	v_cmp_eq_u16_e32 vcc, 0, v12
	v_cndmask_b32_e32 v11, v11, v14, vcc
	v_cndmask_b32_e32 v12, v12, v13, vcc
	v_lshlrev_b32_e32 v13, 24, v2
	v_mov_b32_e32 v14, 0x3b800000
	v_lshlrev_b32_e32 v11, 20, v11
	v_and_b32_e32 v13, 0x80000000, v13
	v_lshl_add_u32 v12, v12, 23, v14
	v_or3_b32 v11, v13, v12, v11
.LBB41_904:
	s_or_b64 exec, exec, s[6:7]
	s_nop 0
	v_mfma_f32_16x16x4f32 a[0:3], v10, v11, a[0:3]
	v_lshrrev_b32_e32 v11, 8, v6
	s_movk_i32 s4, 0x7f
	v_cmp_gt_i16_sdwa s[6:7], v11, s4 src0_sel:BYTE_0 src1_sel:DWORD
	s_mov_b64 s[4:5], 0
                                        ; implicit-def: $sgpr10
	s_and_saveexec_b64 s[8:9], s[6:7]
	s_xor_b64 s[6:7], exec, s[8:9]
	s_cbranch_execnz .LBB41_2953
; %bb.905:
	s_or_saveexec_b64 s[6:7], s[6:7]
	v_mov_b32_e32 v10, s10
	s_xor_b64 exec, exec, s[6:7]
	s_cbranch_execnz .LBB41_2956
.LBB41_906:
	s_or_b64 exec, exec, s[6:7]
	s_and_saveexec_b64 s[6:7], s[4:5]
	s_cbranch_execz .LBB41_908
.LBB41_907:
	v_bfe_u32 v10, v6, 8, 3
	v_ffbh_u32_e32 v13, v10
	v_min_u32_e32 v13, 32, v13
	v_lshrrev_b16_e32 v12, 3, v11
	v_subrev_u32_e32 v14, 28, v13
	v_and_b32_e32 v12, 15, v12
	v_lshlrev_b32_e32 v11, v14, v11
	v_sub_u32_e32 v13, 29, v13
	v_and_b32_e32 v11, 7, v11
	v_cmp_eq_u16_e32 vcc, 0, v12
	v_cndmask_b32_e32 v10, v10, v11, vcc
	v_cndmask_b32_e32 v11, v12, v13, vcc
	v_lshlrev_b32_e32 v12, 16, v6
	v_mov_b32_e32 v13, 0x3b800000
	v_lshlrev_b32_e32 v10, 20, v10
	v_and_b32_e32 v12, 0x80000000, v12
	v_lshl_add_u32 v11, v11, 23, v13
	v_or3_b32 v10, v12, v11, v10
.LBB41_908:
	s_or_b64 exec, exec, s[6:7]
	v_lshrrev_b32_e32 v11, 8, v2
	s_movk_i32 s4, 0x7f
	v_cmp_gt_i16_sdwa s[6:7], v11, s4 src0_sel:BYTE_0 src1_sel:DWORD
	s_mov_b64 s[4:5], 0
                                        ; implicit-def: $sgpr10
	s_and_saveexec_b64 s[8:9], s[6:7]
	s_xor_b64 s[6:7], exec, s[8:9]
	s_cbranch_execnz .LBB41_2957
; %bb.909:
	s_or_saveexec_b64 s[6:7], s[6:7]
	v_mov_b32_e32 v12, s10
	s_xor_b64 exec, exec, s[6:7]
	s_cbranch_execnz .LBB41_2960
.LBB41_910:
	s_or_b64 exec, exec, s[6:7]
	s_and_saveexec_b64 s[6:7], s[4:5]
	s_cbranch_execz .LBB41_912
.LBB41_911:
	v_bfe_u32 v12, v2, 8, 3
	v_ffbh_u32_e32 v14, v12
	v_min_u32_e32 v14, 32, v14
	v_lshrrev_b16_e32 v13, 3, v11
	v_subrev_u32_e32 v15, 28, v14
	v_and_b32_e32 v13, 15, v13
	v_lshlrev_b32_e32 v11, v15, v11
	v_sub_u32_e32 v14, 29, v14
	v_and_b32_e32 v11, 7, v11
	v_cmp_eq_u16_e32 vcc, 0, v13
	v_cndmask_b32_e32 v11, v12, v11, vcc
	v_cndmask_b32_e32 v12, v13, v14, vcc
	v_lshlrev_b32_e32 v13, 16, v2
	v_mov_b32_e32 v14, 0x3b800000
	v_lshlrev_b32_e32 v11, 20, v11
	v_and_b32_e32 v13, 0x80000000, v13
	v_lshl_add_u32 v12, v12, 23, v14
	v_or3_b32 v12, v13, v12, v11
.LBB41_912:
	s_or_b64 exec, exec, s[6:7]
	s_nop 0
	v_mfma_f32_16x16x4f32 a[0:3], v10, v12, a[0:3]
	s_movk_i32 s4, 0xff
	v_and_b32_sdwa v11, v6, s4 dst_sel:DWORD dst_unused:UNUSED_PAD src0_sel:WORD_1 src1_sel:DWORD
	s_movk_i32 s4, 0x7f
	v_cmp_lt_i16_e32 vcc, s4, v11
	s_mov_b64 s[4:5], 0
                                        ; implicit-def: $sgpr10
	s_and_saveexec_b64 s[6:7], vcc
	s_xor_b64 s[6:7], exec, s[6:7]
	s_cbranch_execnz .LBB41_2961
; %bb.913:
	s_or_saveexec_b64 s[6:7], s[6:7]
	v_mov_b32_e32 v10, s10
	s_xor_b64 exec, exec, s[6:7]
	s_cbranch_execnz .LBB41_2964
.LBB41_914:
	s_or_b64 exec, exec, s[6:7]
	s_and_saveexec_b64 s[6:7], s[4:5]
	s_cbranch_execz .LBB41_916
.LBB41_915:
	v_bfe_u32 v10, v6, 16, 3
	v_ffbh_u32_e32 v13, v10
	v_min_u32_e32 v13, 32, v13
	v_lshrrev_b32_e32 v11, 19, v6
	v_subrev_u32_e32 v14, 28, v13
	v_and_b32_e32 v11, 15, v11
	v_lshlrev_b32_sdwa v14, v14, v6 dst_sel:DWORD dst_unused:UNUSED_PAD src0_sel:DWORD src1_sel:WORD_1
	v_bfe_u32 v12, v6, 19, 4
	v_sub_u32_e32 v13, 29, v13
	v_and_b32_e32 v14, 7, v14
	v_cmp_eq_u16_e32 vcc, 0, v11
	v_cndmask_b32_e32 v10, v10, v14, vcc
	v_cndmask_b32_e32 v11, v12, v13, vcc
	v_lshlrev_b32_e32 v12, 8, v6
	v_mov_b32_e32 v13, 0x3b800000
	v_lshlrev_b32_e32 v10, 20, v10
	v_and_b32_e32 v12, 0x80000000, v12
	v_lshl_add_u32 v11, v11, 23, v13
	v_or3_b32 v10, v12, v11, v10
.LBB41_916:
	s_or_b64 exec, exec, s[6:7]
	s_movk_i32 s4, 0xff
	v_and_b32_sdwa v11, v2, s4 dst_sel:DWORD dst_unused:UNUSED_PAD src0_sel:WORD_1 src1_sel:DWORD
	s_movk_i32 s4, 0x7f
	v_cmp_lt_i16_e32 vcc, s4, v11
	s_mov_b64 s[4:5], 0
                                        ; implicit-def: $sgpr10
	s_and_saveexec_b64 s[6:7], vcc
	s_xor_b64 s[6:7], exec, s[6:7]
	s_cbranch_execnz .LBB41_2965
; %bb.917:
	s_or_saveexec_b64 s[6:7], s[6:7]
	v_mov_b32_e32 v12, s10
	s_xor_b64 exec, exec, s[6:7]
	s_cbranch_execnz .LBB41_2968
.LBB41_918:
	s_or_b64 exec, exec, s[6:7]
	s_and_saveexec_b64 s[6:7], s[4:5]
	s_cbranch_execz .LBB41_920
.LBB41_919:
	v_bfe_u32 v11, v2, 16, 3
	v_ffbh_u32_e32 v14, v11
	v_min_u32_e32 v14, 32, v14
	v_lshrrev_b32_e32 v12, 19, v2
	v_subrev_u32_e32 v15, 28, v14
	v_and_b32_e32 v12, 15, v12
	v_lshlrev_b32_sdwa v15, v15, v2 dst_sel:DWORD dst_unused:UNUSED_PAD src0_sel:DWORD src1_sel:WORD_1
	v_bfe_u32 v13, v2, 19, 4
	v_sub_u32_e32 v14, 29, v14
	v_and_b32_e32 v15, 7, v15
	v_cmp_eq_u16_e32 vcc, 0, v12
	v_cndmask_b32_e32 v11, v11, v15, vcc
	v_cndmask_b32_e32 v12, v13, v14, vcc
	v_lshlrev_b32_e32 v13, 8, v2
	v_mov_b32_e32 v14, 0x3b800000
	v_lshlrev_b32_e32 v11, 20, v11
	v_and_b32_e32 v13, 0x80000000, v13
	v_lshl_add_u32 v12, v12, 23, v14
	v_or3_b32 v12, v13, v12, v11
.LBB41_920:
	s_or_b64 exec, exec, s[6:7]
	s_nop 0
	v_mfma_f32_16x16x4f32 a[0:3], v10, v12, a[0:3]
	s_movk_i32 s4, 0x7f
	v_cmp_gt_i16_sdwa s[6:7], v6, s4 src0_sel:BYTE_3 src1_sel:DWORD
	s_mov_b64 s[4:5], 0
                                        ; implicit-def: $sgpr10
	s_and_saveexec_b64 s[8:9], s[6:7]
	s_xor_b64 s[6:7], exec, s[8:9]
	s_cbranch_execnz .LBB41_2969
; %bb.921:
	s_or_saveexec_b64 s[6:7], s[6:7]
	v_mov_b32_e32 v10, s10
	s_xor_b64 exec, exec, s[6:7]
	s_cbranch_execnz .LBB41_2972
.LBB41_922:
	s_or_b64 exec, exec, s[6:7]
	s_and_saveexec_b64 s[6:7], s[4:5]
	s_cbranch_execz .LBB41_924
.LBB41_923:
	v_bfe_u32 v10, v6, 24, 3
	v_ffbh_u32_e32 v14, v10
	v_min_u32_e32 v14, 32, v14
	v_lshrrev_b32_e32 v12, 27, v6
	v_subrev_u32_e32 v15, 28, v14
	v_and_b32_e32 v11, 0x80000000, v6
	v_and_b32_e32 v12, 15, v12
	v_bfe_u32 v13, v6, 27, 4
	v_lshlrev_b32_sdwa v6, v15, v6 dst_sel:DWORD dst_unused:UNUSED_PAD src0_sel:DWORD src1_sel:BYTE_3
	v_sub_u32_e32 v14, 29, v14
	v_and_b32_e32 v6, 7, v6
	v_cmp_eq_u16_e32 vcc, 0, v12
	v_cndmask_b32_e32 v6, v10, v6, vcc
	v_cndmask_b32_e32 v10, v13, v14, vcc
	v_mov_b32_e32 v12, 0x3b800000
	v_lshlrev_b32_e32 v6, 20, v6
	v_lshl_add_u32 v10, v10, 23, v12
	v_or3_b32 v10, v11, v10, v6
.LBB41_924:
	s_or_b64 exec, exec, s[6:7]
	s_movk_i32 s4, 0x7f
	v_cmp_gt_i16_sdwa s[6:7], v2, s4 src0_sel:BYTE_3 src1_sel:DWORD
	s_mov_b64 s[4:5], 0
                                        ; implicit-def: $sgpr10
	s_and_saveexec_b64 s[8:9], s[6:7]
	s_xor_b64 s[6:7], exec, s[8:9]
	s_cbranch_execnz .LBB41_2973
; %bb.925:
	s_or_saveexec_b64 s[6:7], s[6:7]
	v_mov_b32_e32 v6, s10
	s_xor_b64 exec, exec, s[6:7]
	s_cbranch_execnz .LBB41_2976
.LBB41_926:
	s_or_b64 exec, exec, s[6:7]
	s_and_saveexec_b64 s[6:7], s[4:5]
	s_cbranch_execz .LBB41_928
.LBB41_927:
	v_bfe_u32 v6, v2, 24, 3
	v_ffbh_u32_e32 v14, v6
	v_min_u32_e32 v14, 32, v14
	v_lshrrev_b32_e32 v12, 27, v2
	v_subrev_u32_e32 v15, 28, v14
	v_and_b32_e32 v11, 0x80000000, v2
	v_and_b32_e32 v12, 15, v12
	v_bfe_u32 v13, v2, 27, 4
	v_lshlrev_b32_sdwa v2, v15, v2 dst_sel:DWORD dst_unused:UNUSED_PAD src0_sel:DWORD src1_sel:BYTE_3
	v_sub_u32_e32 v14, 29, v14
	v_and_b32_e32 v2, 7, v2
	v_cmp_eq_u16_e32 vcc, 0, v12
	v_cndmask_b32_e32 v2, v6, v2, vcc
	v_cndmask_b32_e32 v6, v13, v14, vcc
	v_mov_b32_e32 v12, 0x3b800000
	v_lshlrev_b32_e32 v2, 20, v2
	v_lshl_add_u32 v6, v6, 23, v12
	v_or3_b32 v6, v11, v6, v2
.LBB41_928:
	s_or_b64 exec, exec, s[6:7]
	s_nop 0
	v_mfma_f32_16x16x4f32 a[0:3], v10, v6, a[0:3]
	s_movk_i32 s4, 0x7f
	v_cmp_gt_i16_sdwa s[6:7], v7, s4 src0_sel:BYTE_0 src1_sel:DWORD
	s_mov_b64 s[4:5], 0
                                        ; implicit-def: $sgpr10
	s_and_saveexec_b64 s[8:9], s[6:7]
	s_xor_b64 s[6:7], exec, s[8:9]
	s_cbranch_execnz .LBB41_2977
; %bb.929:
	s_or_saveexec_b64 s[6:7], s[6:7]
	v_mov_b32_e32 v2, s10
	s_xor_b64 exec, exec, s[6:7]
	s_cbranch_execnz .LBB41_2980
.LBB41_930:
	s_or_b64 exec, exec, s[6:7]
	s_and_saveexec_b64 s[6:7], s[4:5]
	s_cbranch_execz .LBB41_932
.LBB41_931:
	v_and_b32_e32 v2, 7, v7
	v_ffbh_u32_e32 v10, v2
	v_min_u32_e32 v10, 32, v10
	v_lshrrev_b16_e32 v6, 3, v7
	v_subrev_u32_e32 v11, 28, v10
	v_and_b32_e32 v6, 15, v6
	v_lshlrev_b32_e32 v11, v11, v7
	v_sub_u32_e32 v10, 29, v10
	v_and_b32_e32 v11, 7, v11
	v_cmp_eq_u16_e32 vcc, 0, v6
	v_cndmask_b32_e32 v2, v2, v11, vcc
	v_cndmask_b32_e32 v6, v6, v10, vcc
	v_lshlrev_b32_e32 v10, 24, v7
	v_mov_b32_e32 v11, 0x3b800000
	v_lshlrev_b32_e32 v2, 20, v2
	v_and_b32_e32 v10, 0x80000000, v10
	v_lshl_add_u32 v6, v6, 23, v11
	v_or3_b32 v2, v10, v6, v2
.LBB41_932:
	s_or_b64 exec, exec, s[6:7]
	s_movk_i32 s4, 0x7f
	v_cmp_gt_i16_sdwa s[6:7], v3, s4 src0_sel:BYTE_0 src1_sel:DWORD
	s_mov_b64 s[4:5], 0
                                        ; implicit-def: $sgpr10
	s_and_saveexec_b64 s[8:9], s[6:7]
	s_xor_b64 s[6:7], exec, s[8:9]
	s_cbranch_execnz .LBB41_2981
; %bb.933:
	s_or_saveexec_b64 s[6:7], s[6:7]
	v_mov_b32_e32 v6, s10
	s_xor_b64 exec, exec, s[6:7]
	s_cbranch_execnz .LBB41_2984
.LBB41_934:
	s_or_b64 exec, exec, s[6:7]
	s_and_saveexec_b64 s[6:7], s[4:5]
	s_cbranch_execz .LBB41_936
.LBB41_935:
	v_and_b32_e32 v6, 7, v3
	v_ffbh_u32_e32 v11, v6
	v_min_u32_e32 v11, 32, v11
	v_lshrrev_b16_e32 v10, 3, v3
	v_subrev_u32_e32 v12, 28, v11
	v_and_b32_e32 v10, 15, v10
	v_lshlrev_b32_e32 v12, v12, v3
	v_sub_u32_e32 v11, 29, v11
	v_and_b32_e32 v12, 7, v12
	v_cmp_eq_u16_e32 vcc, 0, v10
	v_cndmask_b32_e32 v6, v6, v12, vcc
	v_cndmask_b32_e32 v10, v10, v11, vcc
	v_lshlrev_b32_e32 v11, 24, v3
	v_mov_b32_e32 v12, 0x3b800000
	v_lshlrev_b32_e32 v6, 20, v6
	v_and_b32_e32 v11, 0x80000000, v11
	v_lshl_add_u32 v10, v10, 23, v12
	v_or3_b32 v6, v11, v10, v6
.LBB41_936:
	s_or_b64 exec, exec, s[6:7]
	s_nop 0
	v_mfma_f32_16x16x4f32 a[0:3], v2, v6, a[0:3]
	v_lshrrev_b32_e32 v6, 8, v7
	s_movk_i32 s4, 0x7f
	v_cmp_gt_i16_sdwa s[6:7], v6, s4 src0_sel:BYTE_0 src1_sel:DWORD
	s_mov_b64 s[4:5], 0
                                        ; implicit-def: $sgpr10
	s_and_saveexec_b64 s[8:9], s[6:7]
	s_xor_b64 s[6:7], exec, s[8:9]
	s_cbranch_execnz .LBB41_2985
; %bb.937:
	s_or_saveexec_b64 s[6:7], s[6:7]
	v_mov_b32_e32 v2, s10
	s_xor_b64 exec, exec, s[6:7]
	s_cbranch_execnz .LBB41_2988
.LBB41_938:
	s_or_b64 exec, exec, s[6:7]
	s_and_saveexec_b64 s[6:7], s[4:5]
	s_cbranch_execz .LBB41_940
.LBB41_939:
	v_bfe_u32 v2, v7, 8, 3
	v_ffbh_u32_e32 v11, v2
	v_min_u32_e32 v11, 32, v11
	v_lshrrev_b16_e32 v10, 3, v6
	v_subrev_u32_e32 v12, 28, v11
	v_and_b32_e32 v10, 15, v10
	v_lshlrev_b32_e32 v6, v12, v6
	v_sub_u32_e32 v11, 29, v11
	v_and_b32_e32 v6, 7, v6
	v_cmp_eq_u16_e32 vcc, 0, v10
	v_cndmask_b32_e32 v2, v2, v6, vcc
	v_cndmask_b32_e32 v6, v10, v11, vcc
	v_lshlrev_b32_e32 v10, 16, v7
	v_mov_b32_e32 v11, 0x3b800000
	v_lshlrev_b32_e32 v2, 20, v2
	v_and_b32_e32 v10, 0x80000000, v10
	v_lshl_add_u32 v6, v6, 23, v11
	v_or3_b32 v2, v10, v6, v2
.LBB41_940:
	s_or_b64 exec, exec, s[6:7]
	v_lshrrev_b32_e32 v6, 8, v3
	s_movk_i32 s4, 0x7f
	v_cmp_gt_i16_sdwa s[6:7], v6, s4 src0_sel:BYTE_0 src1_sel:DWORD
	s_mov_b64 s[4:5], 0
                                        ; implicit-def: $sgpr10
	s_and_saveexec_b64 s[8:9], s[6:7]
	s_xor_b64 s[6:7], exec, s[8:9]
	s_cbranch_execnz .LBB41_2989
; %bb.941:
	s_or_saveexec_b64 s[6:7], s[6:7]
	v_mov_b32_e32 v10, s10
	s_xor_b64 exec, exec, s[6:7]
	s_cbranch_execnz .LBB41_2992
.LBB41_942:
	s_or_b64 exec, exec, s[6:7]
	s_and_saveexec_b64 s[6:7], s[4:5]
	s_cbranch_execz .LBB41_944
.LBB41_943:
	v_bfe_u32 v10, v3, 8, 3
	v_ffbh_u32_e32 v12, v10
	v_min_u32_e32 v12, 32, v12
	v_lshrrev_b16_e32 v11, 3, v6
	v_subrev_u32_e32 v13, 28, v12
	v_and_b32_e32 v11, 15, v11
	v_lshlrev_b32_e32 v6, v13, v6
	v_sub_u32_e32 v12, 29, v12
	v_and_b32_e32 v6, 7, v6
	v_cmp_eq_u16_e32 vcc, 0, v11
	v_cndmask_b32_e32 v6, v10, v6, vcc
	v_cndmask_b32_e32 v10, v11, v12, vcc
	v_lshlrev_b32_e32 v11, 16, v3
	v_mov_b32_e32 v12, 0x3b800000
	v_lshlrev_b32_e32 v6, 20, v6
	v_and_b32_e32 v11, 0x80000000, v11
	v_lshl_add_u32 v10, v10, 23, v12
	v_or3_b32 v10, v11, v10, v6
.LBB41_944:
	s_or_b64 exec, exec, s[6:7]
	s_nop 0
	v_mfma_f32_16x16x4f32 a[0:3], v2, v10, a[0:3]
	s_movk_i32 s4, 0xff
	v_and_b32_sdwa v6, v7, s4 dst_sel:DWORD dst_unused:UNUSED_PAD src0_sel:WORD_1 src1_sel:DWORD
	s_movk_i32 s4, 0x7f
	v_cmp_lt_i16_e32 vcc, s4, v6
	s_mov_b64 s[4:5], 0
                                        ; implicit-def: $sgpr10
	s_and_saveexec_b64 s[6:7], vcc
	s_xor_b64 s[6:7], exec, s[6:7]
	s_cbranch_execnz .LBB41_2993
; %bb.945:
	s_or_saveexec_b64 s[6:7], s[6:7]
	v_mov_b32_e32 v2, s10
	s_xor_b64 exec, exec, s[6:7]
	s_cbranch_execnz .LBB41_2996
.LBB41_946:
	s_or_b64 exec, exec, s[6:7]
	s_and_saveexec_b64 s[6:7], s[4:5]
	s_cbranch_execz .LBB41_948
.LBB41_947:
	v_bfe_u32 v2, v7, 16, 3
	v_ffbh_u32_e32 v11, v2
	v_min_u32_e32 v11, 32, v11
	v_lshrrev_b32_e32 v6, 19, v7
	v_subrev_u32_e32 v12, 28, v11
	v_and_b32_e32 v6, 15, v6
	v_lshlrev_b32_sdwa v12, v12, v7 dst_sel:DWORD dst_unused:UNUSED_PAD src0_sel:DWORD src1_sel:WORD_1
	v_bfe_u32 v10, v7, 19, 4
	v_sub_u32_e32 v11, 29, v11
	v_and_b32_e32 v12, 7, v12
	v_cmp_eq_u16_e32 vcc, 0, v6
	v_cndmask_b32_e32 v2, v2, v12, vcc
	v_cndmask_b32_e32 v6, v10, v11, vcc
	v_lshlrev_b32_e32 v10, 8, v7
	v_mov_b32_e32 v11, 0x3b800000
	v_lshlrev_b32_e32 v2, 20, v2
	v_and_b32_e32 v10, 0x80000000, v10
	v_lshl_add_u32 v6, v6, 23, v11
	v_or3_b32 v2, v10, v6, v2
.LBB41_948:
	s_or_b64 exec, exec, s[6:7]
	s_movk_i32 s4, 0xff
	v_and_b32_sdwa v6, v3, s4 dst_sel:DWORD dst_unused:UNUSED_PAD src0_sel:WORD_1 src1_sel:DWORD
	s_movk_i32 s4, 0x7f
	v_cmp_lt_i16_e32 vcc, s4, v6
	s_mov_b64 s[4:5], 0
                                        ; implicit-def: $sgpr10
	s_and_saveexec_b64 s[6:7], vcc
	s_xor_b64 s[6:7], exec, s[6:7]
	s_cbranch_execnz .LBB41_2997
; %bb.949:
	s_or_saveexec_b64 s[6:7], s[6:7]
	v_mov_b32_e32 v10, s10
	s_xor_b64 exec, exec, s[6:7]
	s_cbranch_execnz .LBB41_3000
.LBB41_950:
	s_or_b64 exec, exec, s[6:7]
	s_and_saveexec_b64 s[6:7], s[4:5]
	s_cbranch_execz .LBB41_952
.LBB41_951:
	v_bfe_u32 v6, v3, 16, 3
	v_ffbh_u32_e32 v12, v6
	v_min_u32_e32 v12, 32, v12
	v_lshrrev_b32_e32 v10, 19, v3
	v_subrev_u32_e32 v13, 28, v12
	v_and_b32_e32 v10, 15, v10
	v_lshlrev_b32_sdwa v13, v13, v3 dst_sel:DWORD dst_unused:UNUSED_PAD src0_sel:DWORD src1_sel:WORD_1
	v_bfe_u32 v11, v3, 19, 4
	v_sub_u32_e32 v12, 29, v12
	v_and_b32_e32 v13, 7, v13
	v_cmp_eq_u16_e32 vcc, 0, v10
	v_cndmask_b32_e32 v6, v6, v13, vcc
	v_cndmask_b32_e32 v10, v11, v12, vcc
	v_lshlrev_b32_e32 v11, 8, v3
	v_mov_b32_e32 v12, 0x3b800000
	v_lshlrev_b32_e32 v6, 20, v6
	v_and_b32_e32 v11, 0x80000000, v11
	v_lshl_add_u32 v10, v10, 23, v12
	v_or3_b32 v10, v11, v10, v6
.LBB41_952:
	s_or_b64 exec, exec, s[6:7]
	s_nop 0
	v_mfma_f32_16x16x4f32 a[0:3], v2, v10, a[0:3]
	s_movk_i32 s4, 0x7f
	v_cmp_gt_i16_sdwa s[6:7], v7, s4 src0_sel:BYTE_3 src1_sel:DWORD
	s_mov_b64 s[4:5], 0
                                        ; implicit-def: $sgpr10
	s_and_saveexec_b64 s[8:9], s[6:7]
	s_xor_b64 s[6:7], exec, s[8:9]
	s_cbranch_execnz .LBB41_3001
; %bb.953:
	s_or_saveexec_b64 s[6:7], s[6:7]
	v_mov_b32_e32 v2, s10
	s_xor_b64 exec, exec, s[6:7]
	s_cbranch_execnz .LBB41_3004
.LBB41_954:
	s_or_b64 exec, exec, s[6:7]
	s_and_saveexec_b64 s[6:7], s[4:5]
	s_cbranch_execz .LBB41_956
.LBB41_955:
	v_bfe_u32 v2, v7, 24, 3
	v_ffbh_u32_e32 v12, v2
	v_min_u32_e32 v12, 32, v12
	v_lshrrev_b32_e32 v10, 27, v7
	v_subrev_u32_e32 v13, 28, v12
	v_and_b32_e32 v6, 0x80000000, v7
	v_and_b32_e32 v10, 15, v10
	v_bfe_u32 v11, v7, 27, 4
	v_lshlrev_b32_sdwa v7, v13, v7 dst_sel:DWORD dst_unused:UNUSED_PAD src0_sel:DWORD src1_sel:BYTE_3
	v_sub_u32_e32 v12, 29, v12
	v_and_b32_e32 v7, 7, v7
	v_cmp_eq_u16_e32 vcc, 0, v10
	v_cndmask_b32_e32 v2, v2, v7, vcc
	v_cndmask_b32_e32 v7, v11, v12, vcc
	v_mov_b32_e32 v10, 0x3b800000
	v_lshlrev_b32_e32 v2, 20, v2
	v_lshl_add_u32 v7, v7, 23, v10
	v_or3_b32 v2, v6, v7, v2
.LBB41_956:
	s_or_b64 exec, exec, s[6:7]
	s_movk_i32 s4, 0x7f
	v_cmp_gt_i16_sdwa s[6:7], v3, s4 src0_sel:BYTE_3 src1_sel:DWORD
	s_mov_b64 s[4:5], 0
                                        ; implicit-def: $sgpr10
	s_and_saveexec_b64 s[8:9], s[6:7]
	s_xor_b64 s[6:7], exec, s[8:9]
	s_cbranch_execnz .LBB41_3005
; %bb.957:
	s_or_saveexec_b64 s[6:7], s[6:7]
	v_mov_b32_e32 v6, s10
	s_xor_b64 exec, exec, s[6:7]
	s_cbranch_execnz .LBB41_3008
.LBB41_958:
	s_or_b64 exec, exec, s[6:7]
	s_and_saveexec_b64 s[6:7], s[4:5]
	s_cbranch_execz .LBB41_960
.LBB41_959:
	v_bfe_u32 v6, v3, 24, 3
	v_ffbh_u32_e32 v12, v6
	v_min_u32_e32 v12, 32, v12
	v_lshrrev_b32_e32 v10, 27, v3
	v_subrev_u32_e32 v13, 28, v12
	v_and_b32_e32 v7, 0x80000000, v3
	v_and_b32_e32 v10, 15, v10
	v_bfe_u32 v11, v3, 27, 4
	v_lshlrev_b32_sdwa v3, v13, v3 dst_sel:DWORD dst_unused:UNUSED_PAD src0_sel:DWORD src1_sel:BYTE_3
	v_sub_u32_e32 v12, 29, v12
	v_and_b32_e32 v3, 7, v3
	v_cmp_eq_u16_e32 vcc, 0, v10
	v_cndmask_b32_e32 v3, v6, v3, vcc
	v_cndmask_b32_e32 v6, v11, v12, vcc
	v_mov_b32_e32 v10, 0x3b800000
	v_lshlrev_b32_e32 v3, 20, v3
	v_lshl_add_u32 v6, v6, 23, v10
	v_or3_b32 v6, v7, v6, v3
.LBB41_960:
	s_or_b64 exec, exec, s[6:7]
	s_nop 0
	v_mfma_f32_16x16x4f32 a[0:3], v2, v6, a[0:3]
	s_movk_i32 s4, 0x7f
	v_cmp_gt_i16_sdwa s[6:7], v8, s4 src0_sel:BYTE_0 src1_sel:DWORD
	s_mov_b64 s[4:5], 0
                                        ; implicit-def: $sgpr10
	s_and_saveexec_b64 s[8:9], s[6:7]
	s_xor_b64 s[6:7], exec, s[8:9]
	s_cbranch_execnz .LBB41_3009
; %bb.961:
	s_or_saveexec_b64 s[6:7], s[6:7]
	v_mov_b32_e32 v2, s10
	s_xor_b64 exec, exec, s[6:7]
	s_cbranch_execnz .LBB41_3012
.LBB41_962:
	s_or_b64 exec, exec, s[6:7]
	s_and_saveexec_b64 s[6:7], s[4:5]
	s_cbranch_execz .LBB41_964
.LBB41_963:
	v_and_b32_e32 v2, 7, v8
	v_ffbh_u32_e32 v6, v2
	v_min_u32_e32 v6, 32, v6
	v_lshrrev_b16_e32 v3, 3, v8
	v_subrev_u32_e32 v7, 28, v6
	v_and_b32_e32 v3, 15, v3
	v_lshlrev_b32_e32 v7, v7, v8
	v_sub_u32_e32 v6, 29, v6
	v_and_b32_e32 v7, 7, v7
	v_cmp_eq_u16_e32 vcc, 0, v3
	v_cndmask_b32_e32 v2, v2, v7, vcc
	v_cndmask_b32_e32 v3, v3, v6, vcc
	v_lshlrev_b32_e32 v6, 24, v8
	v_mov_b32_e32 v7, 0x3b800000
	v_lshlrev_b32_e32 v2, 20, v2
	v_and_b32_e32 v6, 0x80000000, v6
	v_lshl_add_u32 v3, v3, 23, v7
	v_or3_b32 v2, v6, v3, v2
.LBB41_964:
	s_or_b64 exec, exec, s[6:7]
	s_movk_i32 s4, 0x7f
	v_cmp_gt_i16_sdwa s[6:7], v4, s4 src0_sel:BYTE_0 src1_sel:DWORD
	s_mov_b64 s[4:5], 0
                                        ; implicit-def: $sgpr10
	s_and_saveexec_b64 s[8:9], s[6:7]
	s_xor_b64 s[6:7], exec, s[8:9]
	s_cbranch_execnz .LBB41_3013
; %bb.965:
	s_or_saveexec_b64 s[6:7], s[6:7]
	v_mov_b32_e32 v3, s10
	s_xor_b64 exec, exec, s[6:7]
	s_cbranch_execnz .LBB41_3016
.LBB41_966:
	s_or_b64 exec, exec, s[6:7]
	s_and_saveexec_b64 s[6:7], s[4:5]
	s_cbranch_execz .LBB41_968
.LBB41_967:
	v_and_b32_e32 v3, 7, v4
	v_ffbh_u32_e32 v7, v3
	v_min_u32_e32 v7, 32, v7
	v_lshrrev_b16_e32 v6, 3, v4
	v_subrev_u32_e32 v10, 28, v7
	v_and_b32_e32 v6, 15, v6
	v_lshlrev_b32_e32 v10, v10, v4
	v_sub_u32_e32 v7, 29, v7
	v_and_b32_e32 v10, 7, v10
	v_cmp_eq_u16_e32 vcc, 0, v6
	v_cndmask_b32_e32 v3, v3, v10, vcc
	v_cndmask_b32_e32 v6, v6, v7, vcc
	v_lshlrev_b32_e32 v7, 24, v4
	v_mov_b32_e32 v10, 0x3b800000
	v_lshlrev_b32_e32 v3, 20, v3
	v_and_b32_e32 v7, 0x80000000, v7
	v_lshl_add_u32 v6, v6, 23, v10
	v_or3_b32 v3, v7, v6, v3
.LBB41_968:
	s_or_b64 exec, exec, s[6:7]
	s_nop 0
	v_mfma_f32_16x16x4f32 a[0:3], v2, v3, a[0:3]
	v_lshrrev_b32_e32 v3, 8, v8
	s_movk_i32 s4, 0x7f
	v_cmp_gt_i16_sdwa s[6:7], v3, s4 src0_sel:BYTE_0 src1_sel:DWORD
	s_mov_b64 s[4:5], 0
                                        ; implicit-def: $sgpr10
	s_and_saveexec_b64 s[8:9], s[6:7]
	s_xor_b64 s[6:7], exec, s[8:9]
	s_cbranch_execnz .LBB41_3017
; %bb.969:
	s_or_saveexec_b64 s[6:7], s[6:7]
	v_mov_b32_e32 v2, s10
	s_xor_b64 exec, exec, s[6:7]
	s_cbranch_execnz .LBB41_3020
.LBB41_970:
	s_or_b64 exec, exec, s[6:7]
	s_and_saveexec_b64 s[6:7], s[4:5]
	s_cbranch_execz .LBB41_972
.LBB41_971:
	v_bfe_u32 v2, v8, 8, 3
	v_ffbh_u32_e32 v7, v2
	v_min_u32_e32 v7, 32, v7
	v_lshrrev_b16_e32 v6, 3, v3
	v_subrev_u32_e32 v10, 28, v7
	v_and_b32_e32 v6, 15, v6
	v_lshlrev_b32_e32 v3, v10, v3
	v_sub_u32_e32 v7, 29, v7
	v_and_b32_e32 v3, 7, v3
	v_cmp_eq_u16_e32 vcc, 0, v6
	v_cndmask_b32_e32 v2, v2, v3, vcc
	v_cndmask_b32_e32 v3, v6, v7, vcc
	v_lshlrev_b32_e32 v6, 16, v8
	v_mov_b32_e32 v7, 0x3b800000
	v_lshlrev_b32_e32 v2, 20, v2
	v_and_b32_e32 v6, 0x80000000, v6
	v_lshl_add_u32 v3, v3, 23, v7
	v_or3_b32 v2, v6, v3, v2
.LBB41_972:
	s_or_b64 exec, exec, s[6:7]
	v_lshrrev_b32_e32 v3, 8, v4
	s_movk_i32 s4, 0x7f
	v_cmp_gt_i16_sdwa s[6:7], v3, s4 src0_sel:BYTE_0 src1_sel:DWORD
	s_mov_b64 s[4:5], 0
                                        ; implicit-def: $sgpr10
	s_and_saveexec_b64 s[8:9], s[6:7]
	s_xor_b64 s[6:7], exec, s[8:9]
	s_cbranch_execnz .LBB41_3021
; %bb.973:
	s_or_saveexec_b64 s[6:7], s[6:7]
	v_mov_b32_e32 v6, s10
	s_xor_b64 exec, exec, s[6:7]
	s_cbranch_execnz .LBB41_3024
.LBB41_974:
	s_or_b64 exec, exec, s[6:7]
	s_and_saveexec_b64 s[6:7], s[4:5]
	s_cbranch_execz .LBB41_976
.LBB41_975:
	v_bfe_u32 v6, v4, 8, 3
	v_ffbh_u32_e32 v10, v6
	v_min_u32_e32 v10, 32, v10
	v_lshrrev_b16_e32 v7, 3, v3
	v_subrev_u32_e32 v11, 28, v10
	v_and_b32_e32 v7, 15, v7
	v_lshlrev_b32_e32 v3, v11, v3
	v_sub_u32_e32 v10, 29, v10
	v_and_b32_e32 v3, 7, v3
	v_cmp_eq_u16_e32 vcc, 0, v7
	v_cndmask_b32_e32 v3, v6, v3, vcc
	v_cndmask_b32_e32 v6, v7, v10, vcc
	v_lshlrev_b32_e32 v7, 16, v4
	v_mov_b32_e32 v10, 0x3b800000
	v_lshlrev_b32_e32 v3, 20, v3
	v_and_b32_e32 v7, 0x80000000, v7
	v_lshl_add_u32 v6, v6, 23, v10
	v_or3_b32 v6, v7, v6, v3
.LBB41_976:
	s_or_b64 exec, exec, s[6:7]
	s_nop 0
	v_mfma_f32_16x16x4f32 a[0:3], v2, v6, a[0:3]
	s_movk_i32 s4, 0xff
	v_and_b32_sdwa v3, v8, s4 dst_sel:DWORD dst_unused:UNUSED_PAD src0_sel:WORD_1 src1_sel:DWORD
	s_movk_i32 s4, 0x7f
	v_cmp_lt_i16_e32 vcc, s4, v3
	s_mov_b64 s[4:5], 0
                                        ; implicit-def: $sgpr10
	s_and_saveexec_b64 s[6:7], vcc
	s_xor_b64 s[6:7], exec, s[6:7]
	s_cbranch_execnz .LBB41_3025
; %bb.977:
	s_or_saveexec_b64 s[6:7], s[6:7]
	v_mov_b32_e32 v2, s10
	s_xor_b64 exec, exec, s[6:7]
	s_cbranch_execnz .LBB41_3028
.LBB41_978:
	s_or_b64 exec, exec, s[6:7]
	s_and_saveexec_b64 s[6:7], s[4:5]
	s_cbranch_execz .LBB41_980
.LBB41_979:
	v_bfe_u32 v2, v8, 16, 3
	v_ffbh_u32_e32 v7, v2
	v_min_u32_e32 v7, 32, v7
	v_lshrrev_b32_e32 v3, 19, v8
	v_subrev_u32_e32 v10, 28, v7
	v_and_b32_e32 v3, 15, v3
	v_lshlrev_b32_sdwa v10, v10, v8 dst_sel:DWORD dst_unused:UNUSED_PAD src0_sel:DWORD src1_sel:WORD_1
	v_bfe_u32 v6, v8, 19, 4
	v_sub_u32_e32 v7, 29, v7
	v_and_b32_e32 v10, 7, v10
	v_cmp_eq_u16_e32 vcc, 0, v3
	v_cndmask_b32_e32 v2, v2, v10, vcc
	v_cndmask_b32_e32 v3, v6, v7, vcc
	v_lshlrev_b32_e32 v6, 8, v8
	v_mov_b32_e32 v7, 0x3b800000
	v_lshlrev_b32_e32 v2, 20, v2
	v_and_b32_e32 v6, 0x80000000, v6
	v_lshl_add_u32 v3, v3, 23, v7
	v_or3_b32 v2, v6, v3, v2
.LBB41_980:
	s_or_b64 exec, exec, s[6:7]
	s_movk_i32 s4, 0xff
	v_and_b32_sdwa v3, v4, s4 dst_sel:DWORD dst_unused:UNUSED_PAD src0_sel:WORD_1 src1_sel:DWORD
	s_movk_i32 s4, 0x7f
	v_cmp_lt_i16_e32 vcc, s4, v3
	s_mov_b64 s[4:5], 0
                                        ; implicit-def: $sgpr10
	s_and_saveexec_b64 s[6:7], vcc
	s_xor_b64 s[6:7], exec, s[6:7]
	s_cbranch_execnz .LBB41_3029
; %bb.981:
	s_or_saveexec_b64 s[6:7], s[6:7]
	v_mov_b32_e32 v6, s10
	s_xor_b64 exec, exec, s[6:7]
	s_cbranch_execnz .LBB41_3032
.LBB41_982:
	s_or_b64 exec, exec, s[6:7]
	s_and_saveexec_b64 s[6:7], s[4:5]
	s_cbranch_execz .LBB41_984
.LBB41_983:
	v_bfe_u32 v3, v4, 16, 3
	v_ffbh_u32_e32 v10, v3
	v_min_u32_e32 v10, 32, v10
	v_lshrrev_b32_e32 v6, 19, v4
	v_subrev_u32_e32 v11, 28, v10
	v_and_b32_e32 v6, 15, v6
	v_lshlrev_b32_sdwa v11, v11, v4 dst_sel:DWORD dst_unused:UNUSED_PAD src0_sel:DWORD src1_sel:WORD_1
	v_bfe_u32 v7, v4, 19, 4
	v_sub_u32_e32 v10, 29, v10
	v_and_b32_e32 v11, 7, v11
	v_cmp_eq_u16_e32 vcc, 0, v6
	v_cndmask_b32_e32 v3, v3, v11, vcc
	v_cndmask_b32_e32 v6, v7, v10, vcc
	v_lshlrev_b32_e32 v7, 8, v4
	v_mov_b32_e32 v10, 0x3b800000
	v_lshlrev_b32_e32 v3, 20, v3
	v_and_b32_e32 v7, 0x80000000, v7
	v_lshl_add_u32 v6, v6, 23, v10
	v_or3_b32 v6, v7, v6, v3
.LBB41_984:
	s_or_b64 exec, exec, s[6:7]
	s_nop 0
	v_mfma_f32_16x16x4f32 a[0:3], v2, v6, a[0:3]
	s_movk_i32 s4, 0x7f
	v_cmp_gt_i16_sdwa s[6:7], v8, s4 src0_sel:BYTE_3 src1_sel:DWORD
	s_mov_b64 s[4:5], 0
                                        ; implicit-def: $sgpr10
	s_and_saveexec_b64 s[8:9], s[6:7]
	s_xor_b64 s[6:7], exec, s[8:9]
	s_cbranch_execnz .LBB41_3033
; %bb.985:
	s_or_saveexec_b64 s[6:7], s[6:7]
	v_mov_b32_e32 v2, s10
	s_xor_b64 exec, exec, s[6:7]
	s_cbranch_execnz .LBB41_3036
.LBB41_986:
	s_or_b64 exec, exec, s[6:7]
	s_and_saveexec_b64 s[6:7], s[4:5]
	s_cbranch_execz .LBB41_988
.LBB41_987:
	v_bfe_u32 v2, v8, 24, 3
	v_ffbh_u32_e32 v10, v2
	v_min_u32_e32 v10, 32, v10
	v_lshrrev_b32_e32 v6, 27, v8
	v_subrev_u32_e32 v11, 28, v10
	v_and_b32_e32 v3, 0x80000000, v8
	v_and_b32_e32 v6, 15, v6
	v_bfe_u32 v7, v8, 27, 4
	v_lshlrev_b32_sdwa v8, v11, v8 dst_sel:DWORD dst_unused:UNUSED_PAD src0_sel:DWORD src1_sel:BYTE_3
	v_sub_u32_e32 v10, 29, v10
	v_and_b32_e32 v8, 7, v8
	v_cmp_eq_u16_e32 vcc, 0, v6
	v_cndmask_b32_e32 v2, v2, v8, vcc
	v_cndmask_b32_e32 v6, v7, v10, vcc
	v_mov_b32_e32 v7, 0x3b800000
	v_lshlrev_b32_e32 v2, 20, v2
	v_lshl_add_u32 v6, v6, 23, v7
	v_or3_b32 v2, v3, v6, v2
.LBB41_988:
	s_or_b64 exec, exec, s[6:7]
	s_movk_i32 s4, 0x7f
	v_cmp_gt_i16_sdwa s[6:7], v4, s4 src0_sel:BYTE_3 src1_sel:DWORD
	s_mov_b64 s[4:5], 0
                                        ; implicit-def: $sgpr10
	s_and_saveexec_b64 s[8:9], s[6:7]
	s_xor_b64 s[6:7], exec, s[8:9]
	s_cbranch_execnz .LBB41_3037
; %bb.989:
	s_or_saveexec_b64 s[6:7], s[6:7]
	v_mov_b32_e32 v3, s10
	s_xor_b64 exec, exec, s[6:7]
	s_cbranch_execnz .LBB41_3040
.LBB41_990:
	s_or_b64 exec, exec, s[6:7]
	s_and_saveexec_b64 s[6:7], s[4:5]
	s_cbranch_execz .LBB41_992
.LBB41_991:
	v_bfe_u32 v3, v4, 24, 3
	v_ffbh_u32_e32 v10, v3
	v_min_u32_e32 v10, 32, v10
	v_lshrrev_b32_e32 v7, 27, v4
	v_subrev_u32_e32 v11, 28, v10
	v_and_b32_e32 v6, 0x80000000, v4
	v_and_b32_e32 v7, 15, v7
	v_bfe_u32 v8, v4, 27, 4
	v_lshlrev_b32_sdwa v4, v11, v4 dst_sel:DWORD dst_unused:UNUSED_PAD src0_sel:DWORD src1_sel:BYTE_3
	v_sub_u32_e32 v10, 29, v10
	v_and_b32_e32 v4, 7, v4
	v_cmp_eq_u16_e32 vcc, 0, v7
	v_cndmask_b32_e32 v3, v3, v4, vcc
	v_cndmask_b32_e32 v4, v8, v10, vcc
	v_mov_b32_e32 v7, 0x3b800000
	v_lshlrev_b32_e32 v3, 20, v3
	v_lshl_add_u32 v4, v4, 23, v7
	v_or3_b32 v3, v6, v4, v3
.LBB41_992:
	s_or_b64 exec, exec, s[6:7]
	s_nop 0
	v_mfma_f32_16x16x4f32 a[0:3], v2, v3, a[0:3]
	s_movk_i32 s4, 0x7f
	v_cmp_gt_i16_sdwa s[6:7], v9, s4 src0_sel:BYTE_0 src1_sel:DWORD
	s_mov_b64 s[4:5], 0
                                        ; implicit-def: $sgpr10
	s_and_saveexec_b64 s[8:9], s[6:7]
	s_xor_b64 s[6:7], exec, s[8:9]
	s_cbranch_execnz .LBB41_3041
; %bb.993:
	s_or_saveexec_b64 s[6:7], s[6:7]
	v_mov_b32_e32 v2, s10
	s_xor_b64 exec, exec, s[6:7]
	s_cbranch_execnz .LBB41_3044
.LBB41_994:
	s_or_b64 exec, exec, s[6:7]
	s_and_saveexec_b64 s[6:7], s[4:5]
	s_cbranch_execz .LBB41_996
.LBB41_995:
	v_mov_b32_e32 v2, 8
	v_and_b32_e32 v3, 7, v9
	v_lshrrev_b32_sdwa v2, v2, v9 dst_sel:BYTE_1 dst_unused:UNUSED_PAD src0_sel:DWORD src1_sel:DWORD
	v_ffbh_u32_e32 v4, v3
	v_or_b32_sdwa v2, v9, v2 dst_sel:DWORD dst_unused:UNUSED_PAD src0_sel:BYTE_0 src1_sel:DWORD
	v_min_u32_e32 v4, 32, v4
	v_lshrrev_b16_e32 v2, 3, v2
	v_subrev_u32_e32 v6, 28, v4
	v_and_b32_e32 v2, 15, v2
	v_lshlrev_b32_e32 v6, v6, v9
	v_sub_u32_e32 v4, 29, v4
	v_and_b32_e32 v6, 7, v6
	v_cmp_eq_u16_e32 vcc, 0, v2
	v_cndmask_b32_e32 v3, v3, v6, vcc
	v_cndmask_b32_e32 v2, v2, v4, vcc
	v_lshlrev_b32_e32 v4, 24, v9
	v_mov_b32_e32 v6, 0x3b800000
	v_lshlrev_b32_e32 v3, 20, v3
	v_and_b32_e32 v4, 0x80000000, v4
	v_lshl_add_u32 v2, v2, 23, v6
	v_or3_b32 v2, v4, v2, v3
.LBB41_996:
	s_or_b64 exec, exec, s[6:7]
	s_movk_i32 s4, 0x7f
	v_cmp_gt_i16_sdwa s[6:7], v5, s4 src0_sel:BYTE_0 src1_sel:DWORD
	s_mov_b64 s[4:5], 0
                                        ; implicit-def: $sgpr10
	s_and_saveexec_b64 s[8:9], s[6:7]
	s_xor_b64 s[6:7], exec, s[8:9]
	s_cbranch_execnz .LBB41_3045
; %bb.997:
	s_or_saveexec_b64 s[6:7], s[6:7]
	v_mov_b32_e32 v3, s10
	s_xor_b64 exec, exec, s[6:7]
	s_cbranch_execnz .LBB41_3048
.LBB41_998:
	s_or_b64 exec, exec, s[6:7]
	s_and_saveexec_b64 s[6:7], s[4:5]
	s_cbranch_execz .LBB41_1000
.LBB41_999:
	v_mov_b32_e32 v3, 8
	v_and_b32_e32 v4, 7, v5
	v_lshrrev_b32_sdwa v3, v3, v5 dst_sel:BYTE_1 dst_unused:UNUSED_PAD src0_sel:DWORD src1_sel:DWORD
	v_ffbh_u32_e32 v6, v4
	v_or_b32_sdwa v3, v5, v3 dst_sel:DWORD dst_unused:UNUSED_PAD src0_sel:BYTE_0 src1_sel:DWORD
	v_min_u32_e32 v6, 32, v6
	v_lshrrev_b16_e32 v3, 3, v3
	v_subrev_u32_e32 v7, 28, v6
	v_and_b32_e32 v3, 15, v3
	v_lshlrev_b32_e32 v7, v7, v5
	v_sub_u32_e32 v6, 29, v6
	v_and_b32_e32 v7, 7, v7
	v_cmp_eq_u16_e32 vcc, 0, v3
	v_cndmask_b32_e32 v4, v4, v7, vcc
	v_cndmask_b32_e32 v3, v3, v6, vcc
	v_lshlrev_b32_e32 v6, 24, v5
	v_mov_b32_e32 v7, 0x3b800000
	v_lshlrev_b32_e32 v4, 20, v4
	v_and_b32_e32 v6, 0x80000000, v6
	v_lshl_add_u32 v3, v3, 23, v7
	v_or3_b32 v3, v6, v3, v4
.LBB41_1000:
	s_or_b64 exec, exec, s[6:7]
	s_nop 0
	v_mfma_f32_16x16x4f32 a[0:3], v2, v3, a[0:3]
	v_lshrrev_b32_e32 v3, 8, v9
	s_movk_i32 s4, 0x7f
	v_cmp_gt_i16_sdwa s[6:7], v3, s4 src0_sel:BYTE_0 src1_sel:DWORD
	s_mov_b64 s[4:5], 0
                                        ; implicit-def: $sgpr10
	s_and_saveexec_b64 s[8:9], s[6:7]
	s_xor_b64 s[6:7], exec, s[8:9]
	s_cbranch_execnz .LBB41_3049
; %bb.1001:
	s_or_saveexec_b64 s[6:7], s[6:7]
	v_mov_b32_e32 v2, s10
	s_xor_b64 exec, exec, s[6:7]
	s_cbranch_execnz .LBB41_3052
.LBB41_1002:
	s_or_b64 exec, exec, s[6:7]
	s_and_saveexec_b64 s[6:7], s[4:5]
	s_cbranch_execz .LBB41_1004
.LBB41_1003:
	v_bfe_u32 v2, v9, 8, 3
	v_ffbh_u32_e32 v6, v2
	v_min_u32_e32 v6, 32, v6
	v_lshrrev_b16_e32 v4, 3, v3
	v_subrev_u32_e32 v7, 28, v6
	v_and_b32_e32 v4, 15, v4
	v_lshlrev_b32_e32 v3, v7, v3
	v_sub_u32_e32 v6, 29, v6
	v_and_b32_e32 v3, 7, v3
	v_cmp_eq_u16_e32 vcc, 0, v4
	v_cndmask_b32_e32 v2, v2, v3, vcc
	v_cndmask_b32_e32 v3, v4, v6, vcc
	v_lshlrev_b32_e32 v4, 16, v9
	v_mov_b32_e32 v6, 0x3b800000
	v_lshlrev_b32_e32 v2, 20, v2
	v_and_b32_e32 v4, 0x80000000, v4
	v_lshl_add_u32 v3, v3, 23, v6
	v_or3_b32 v2, v4, v3, v2
.LBB41_1004:
	s_or_b64 exec, exec, s[6:7]
	v_lshrrev_b32_e32 v3, 8, v5
	s_movk_i32 s4, 0x7f
	v_cmp_gt_i16_sdwa s[6:7], v3, s4 src0_sel:BYTE_0 src1_sel:DWORD
	s_mov_b64 s[4:5], 0
                                        ; implicit-def: $sgpr10
	s_and_saveexec_b64 s[8:9], s[6:7]
	s_xor_b64 s[6:7], exec, s[8:9]
	s_cbranch_execnz .LBB41_3053
; %bb.1005:
	s_or_saveexec_b64 s[6:7], s[6:7]
	v_mov_b32_e32 v4, s10
	s_xor_b64 exec, exec, s[6:7]
	s_cbranch_execnz .LBB41_3056
.LBB41_1006:
	s_or_b64 exec, exec, s[6:7]
	s_and_saveexec_b64 s[6:7], s[4:5]
	s_cbranch_execz .LBB41_1008
.LBB41_1007:
	v_bfe_u32 v4, v5, 8, 3
	v_ffbh_u32_e32 v7, v4
	v_min_u32_e32 v7, 32, v7
	v_lshrrev_b16_e32 v6, 3, v3
	v_subrev_u32_e32 v8, 28, v7
	v_and_b32_e32 v6, 15, v6
	v_lshlrev_b32_e32 v3, v8, v3
	v_sub_u32_e32 v7, 29, v7
	v_and_b32_e32 v3, 7, v3
	v_cmp_eq_u16_e32 vcc, 0, v6
	v_cndmask_b32_e32 v3, v4, v3, vcc
	v_cndmask_b32_e32 v4, v6, v7, vcc
	v_lshlrev_b32_e32 v6, 16, v5
	v_mov_b32_e32 v7, 0x3b800000
	v_lshlrev_b32_e32 v3, 20, v3
	v_and_b32_e32 v6, 0x80000000, v6
	v_lshl_add_u32 v4, v4, 23, v7
	v_or3_b32 v4, v6, v4, v3
.LBB41_1008:
	s_or_b64 exec, exec, s[6:7]
	s_nop 0
	v_mfma_f32_16x16x4f32 a[0:3], v2, v4, a[0:3]
	s_movk_i32 s4, 0xff
	v_and_b32_sdwa v3, v9, s4 dst_sel:DWORD dst_unused:UNUSED_PAD src0_sel:WORD_1 src1_sel:DWORD
	s_movk_i32 s4, 0x7f
	v_cmp_lt_i16_e32 vcc, s4, v3
	s_mov_b64 s[4:5], 0
                                        ; implicit-def: $sgpr10
	s_and_saveexec_b64 s[6:7], vcc
	s_xor_b64 s[6:7], exec, s[6:7]
	s_cbranch_execnz .LBB41_3057
; %bb.1009:
	s_or_saveexec_b64 s[6:7], s[6:7]
	v_mov_b32_e32 v2, s10
	s_xor_b64 exec, exec, s[6:7]
	s_cbranch_execnz .LBB41_3060
.LBB41_1010:
	s_or_b64 exec, exec, s[6:7]
	s_and_saveexec_b64 s[6:7], s[4:5]
	s_cbranch_execz .LBB41_1012
.LBB41_1011:
	v_bfe_u32 v2, v9, 16, 3
	v_ffbh_u32_e32 v6, v2
	v_min_u32_e32 v6, 32, v6
	v_lshrrev_b32_e32 v3, 19, v9
	v_subrev_u32_e32 v7, 28, v6
	v_and_b32_e32 v3, 15, v3
	v_lshlrev_b32_sdwa v7, v7, v9 dst_sel:DWORD dst_unused:UNUSED_PAD src0_sel:DWORD src1_sel:WORD_1
	v_bfe_u32 v4, v9, 19, 4
	v_sub_u32_e32 v6, 29, v6
	v_and_b32_e32 v7, 7, v7
	v_cmp_eq_u16_e32 vcc, 0, v3
	v_cndmask_b32_e32 v2, v2, v7, vcc
	v_cndmask_b32_e32 v3, v4, v6, vcc
	v_lshlrev_b32_e32 v4, 8, v9
	v_mov_b32_e32 v6, 0x3b800000
	v_lshlrev_b32_e32 v2, 20, v2
	v_and_b32_e32 v4, 0x80000000, v4
	v_lshl_add_u32 v3, v3, 23, v6
	v_or3_b32 v2, v4, v3, v2
.LBB41_1012:
	s_or_b64 exec, exec, s[6:7]
	s_movk_i32 s4, 0xff
	v_and_b32_sdwa v3, v5, s4 dst_sel:DWORD dst_unused:UNUSED_PAD src0_sel:WORD_1 src1_sel:DWORD
	s_movk_i32 s4, 0x7f
	v_cmp_lt_i16_e32 vcc, s4, v3
	s_mov_b64 s[4:5], 0
                                        ; implicit-def: $sgpr10
	s_and_saveexec_b64 s[6:7], vcc
	s_xor_b64 s[6:7], exec, s[6:7]
	s_cbranch_execnz .LBB41_3061
; %bb.1013:
	s_or_saveexec_b64 s[6:7], s[6:7]
	v_mov_b32_e32 v4, s10
	s_xor_b64 exec, exec, s[6:7]
	s_cbranch_execnz .LBB41_3064
.LBB41_1014:
	s_or_b64 exec, exec, s[6:7]
	s_and_saveexec_b64 s[6:7], s[4:5]
	s_cbranch_execz .LBB41_1016
.LBB41_1015:
	v_bfe_u32 v3, v5, 16, 3
	v_ffbh_u32_e32 v7, v3
	v_min_u32_e32 v7, 32, v7
	v_lshrrev_b32_e32 v4, 19, v5
	v_subrev_u32_e32 v8, 28, v7
	v_and_b32_e32 v4, 15, v4
	v_lshlrev_b32_sdwa v8, v8, v5 dst_sel:DWORD dst_unused:UNUSED_PAD src0_sel:DWORD src1_sel:WORD_1
	v_bfe_u32 v6, v5, 19, 4
	v_sub_u32_e32 v7, 29, v7
	v_and_b32_e32 v8, 7, v8
	v_cmp_eq_u16_e32 vcc, 0, v4
	v_cndmask_b32_e32 v3, v3, v8, vcc
	v_cndmask_b32_e32 v4, v6, v7, vcc
	v_lshlrev_b32_e32 v6, 8, v5
	v_mov_b32_e32 v7, 0x3b800000
	v_lshlrev_b32_e32 v3, 20, v3
	v_and_b32_e32 v6, 0x80000000, v6
	v_lshl_add_u32 v4, v4, 23, v7
	v_or3_b32 v4, v6, v4, v3
.LBB41_1016:
	s_or_b64 exec, exec, s[6:7]
	s_nop 0
	v_mfma_f32_16x16x4f32 a[0:3], v2, v4, a[0:3]
	s_movk_i32 s4, 0x7f
	v_cmp_gt_i16_sdwa s[6:7], v9, s4 src0_sel:BYTE_3 src1_sel:DWORD
	s_mov_b64 s[4:5], 0
                                        ; implicit-def: $sgpr10
	s_and_saveexec_b64 s[8:9], s[6:7]
	s_xor_b64 s[6:7], exec, s[8:9]
	s_cbranch_execnz .LBB41_3065
; %bb.1017:
	s_or_saveexec_b64 s[6:7], s[6:7]
	v_mov_b32_e32 v2, s10
	s_xor_b64 exec, exec, s[6:7]
	s_cbranch_execnz .LBB41_3068
.LBB41_1018:
	s_or_b64 exec, exec, s[6:7]
	s_and_saveexec_b64 s[6:7], s[4:5]
	s_cbranch_execz .LBB41_1020
.LBB41_1019:
	v_bfe_u32 v2, v9, 24, 3
	v_ffbh_u32_e32 v7, v2
	v_min_u32_e32 v7, 32, v7
	v_lshrrev_b32_e32 v4, 27, v9
	v_subrev_u32_e32 v8, 28, v7
	v_and_b32_e32 v4, 15, v4
	v_lshlrev_b32_sdwa v8, v8, v9 dst_sel:DWORD dst_unused:UNUSED_PAD src0_sel:DWORD src1_sel:BYTE_3
	v_bfe_u32 v6, v9, 27, 4
	v_sub_u32_e32 v7, 29, v7
	v_and_b32_e32 v8, 7, v8
	v_cmp_eq_u16_e32 vcc, 0, v4
	v_cndmask_b32_e32 v2, v2, v8, vcc
	v_cndmask_b32_e32 v4, v6, v7, vcc
	v_mov_b32_e32 v6, 0x3b800000
	v_and_b32_e32 v3, 0x80000000, v9
	v_lshlrev_b32_e32 v2, 20, v2
	v_lshl_add_u32 v4, v4, 23, v6
	v_or3_b32 v2, v3, v4, v2
.LBB41_1020:
	s_or_b64 exec, exec, s[6:7]
	s_movk_i32 s4, 0x7f
	v_cmp_gt_i16_sdwa s[6:7], v5, s4 src0_sel:BYTE_3 src1_sel:DWORD
	s_mov_b64 s[4:5], 0
                                        ; implicit-def: $sgpr10
	s_and_saveexec_b64 s[8:9], s[6:7]
	s_xor_b64 s[6:7], exec, s[8:9]
	s_cbranch_execnz .LBB41_3069
; %bb.1021:
	s_or_saveexec_b64 s[6:7], s[6:7]
	v_mov_b32_e32 v3, s10
	s_xor_b64 exec, exec, s[6:7]
	s_cbranch_execnz .LBB41_3072
.LBB41_1022:
	s_or_b64 exec, exec, s[6:7]
	s_and_saveexec_b64 s[6:7], s[4:5]
	s_cbranch_execz .LBB41_1024
.LBB41_1023:
	v_bfe_u32 v3, v5, 24, 3
	v_ffbh_u32_e32 v8, v3
	v_min_u32_e32 v8, 32, v8
	v_lshrrev_b32_e32 v6, 27, v5
	v_subrev_u32_e32 v9, 28, v8
	v_and_b32_e32 v4, 0x80000000, v5
	v_and_b32_e32 v6, 15, v6
	v_bfe_u32 v7, v5, 27, 4
	v_lshlrev_b32_sdwa v5, v9, v5 dst_sel:DWORD dst_unused:UNUSED_PAD src0_sel:DWORD src1_sel:BYTE_3
	v_sub_u32_e32 v8, 29, v8
	v_and_b32_e32 v5, 7, v5
	v_cmp_eq_u16_e32 vcc, 0, v6
	v_cndmask_b32_e32 v3, v3, v5, vcc
	v_cndmask_b32_e32 v5, v7, v8, vcc
	v_mov_b32_e32 v6, 0x3b800000
	v_lshlrev_b32_e32 v3, 20, v3
	v_lshl_add_u32 v5, v5, 23, v6
	v_or3_b32 v3, v4, v5, v3
.LBB41_1024:
	s_or_b64 exec, exec, s[6:7]
	s_nop 0
	v_mfma_f32_16x16x4f32 a[0:3], v2, v3, a[0:3]
	s_movk_i32 s4, 0x7f
                                        ; implicit-def: $sgpr10
	s_nop 7
	s_nop 1
	flat_store_dwordx4 v[18:19], a[0:3] offset:688
	flat_load_dwordx4 v[20:23], v[0:1] offset:16
	s_nop 0
	flat_load_dwordx2 v[18:19], v[0:1] offset:32
	s_waitcnt vmcnt(0) lgkmcnt(0)
	flat_load_dwordx4 v[14:17], v[20:21] offset:32
	flat_load_dwordx4 v[6:9], v[20:21] offset:48
	;; [unrolled: 1-line block ×4, first 2 shown]
	s_waitcnt vmcnt(0) lgkmcnt(0)
	v_cmp_gt_i16_sdwa s[6:7], v14, s4 src0_sel:BYTE_0 src1_sel:DWORD
	s_mov_b64 s[4:5], 0
	s_and_saveexec_b64 s[8:9], s[6:7]
	s_xor_b64 s[6:7], exec, s[8:9]
	s_cbranch_execnz .LBB41_3073
; %bb.1025:
	s_or_saveexec_b64 s[6:7], s[6:7]
	v_mov_b32_e32 v20, s10
	s_xor_b64 exec, exec, s[6:7]
	s_cbranch_execnz .LBB41_3076
.LBB41_1026:
	s_or_b64 exec, exec, s[6:7]
	s_and_saveexec_b64 s[6:7], s[4:5]
	s_cbranch_execz .LBB41_1028
.LBB41_1027:
	v_and_b32_e32 v20, 7, v14
	v_ffbh_u32_e32 v22, v20
	v_min_u32_e32 v22, 32, v22
	v_lshrrev_b16_e32 v21, 3, v14
	v_subrev_u32_e32 v23, 28, v22
	v_and_b32_e32 v21, 15, v21
	v_lshlrev_b32_e32 v23, v23, v14
	v_sub_u32_e32 v22, 29, v22
	v_and_b32_e32 v23, 7, v23
	v_cmp_eq_u16_e32 vcc, 0, v21
	v_cndmask_b32_e32 v20, v20, v23, vcc
	v_cndmask_b32_e32 v21, v21, v22, vcc
	v_lshlrev_b32_e32 v22, 24, v14
	v_mov_b32_e32 v23, 0x3b800000
	v_lshlrev_b32_e32 v20, 20, v20
	v_and_b32_e32 v22, 0x80000000, v22
	v_lshl_add_u32 v21, v21, 23, v23
	v_or3_b32 v20, v22, v21, v20
.LBB41_1028:
	s_or_b64 exec, exec, s[6:7]
	s_movk_i32 s4, 0x7f
	v_cmp_gt_i16_sdwa s[6:7], v10, s4 src0_sel:BYTE_0 src1_sel:DWORD
	s_mov_b64 s[4:5], 0
                                        ; implicit-def: $sgpr10
	s_and_saveexec_b64 s[8:9], s[6:7]
	s_xor_b64 s[6:7], exec, s[8:9]
	s_cbranch_execnz .LBB41_3077
; %bb.1029:
	s_or_saveexec_b64 s[6:7], s[6:7]
	v_mov_b32_e32 v21, s10
	s_xor_b64 exec, exec, s[6:7]
	s_cbranch_execnz .LBB41_3080
.LBB41_1030:
	s_or_b64 exec, exec, s[6:7]
	s_and_saveexec_b64 s[6:7], s[4:5]
	s_cbranch_execz .LBB41_1032
.LBB41_1031:
	v_and_b32_e32 v21, 7, v10
	v_ffbh_u32_e32 v23, v21
	v_min_u32_e32 v23, 32, v23
	v_lshrrev_b16_e32 v22, 3, v10
	v_subrev_u32_e32 v24, 28, v23
	v_and_b32_e32 v22, 15, v22
	v_lshlrev_b32_e32 v24, v24, v10
	v_sub_u32_e32 v23, 29, v23
	v_and_b32_e32 v24, 7, v24
	v_cmp_eq_u16_e32 vcc, 0, v22
	v_cndmask_b32_e32 v21, v21, v24, vcc
	v_cndmask_b32_e32 v22, v22, v23, vcc
	v_lshlrev_b32_e32 v23, 24, v10
	v_mov_b32_e32 v24, 0x3b800000
	v_lshlrev_b32_e32 v21, 20, v21
	v_and_b32_e32 v23, 0x80000000, v23
	v_lshl_add_u32 v22, v22, 23, v24
	v_or3_b32 v21, v23, v22, v21
.LBB41_1032:
	s_or_b64 exec, exec, s[6:7]
	flat_load_dwordx4 a[0:3], v[18:19] offset:704
	s_movk_i32 s4, 0x7f
                                        ; implicit-def: $sgpr10
	s_waitcnt vmcnt(0) lgkmcnt(0)
	v_mfma_f32_16x16x4f32 a[0:3], v20, v21, a[0:3]
	v_lshrrev_b32_e32 v21, 8, v14
	v_cmp_gt_i16_sdwa s[6:7], v21, s4 src0_sel:BYTE_0 src1_sel:DWORD
	s_mov_b64 s[4:5], 0
	s_and_saveexec_b64 s[8:9], s[6:7]
	s_xor_b64 s[6:7], exec, s[8:9]
	s_cbranch_execnz .LBB41_3081
; %bb.1033:
	s_or_saveexec_b64 s[6:7], s[6:7]
	v_mov_b32_e32 v20, s10
	s_xor_b64 exec, exec, s[6:7]
	s_cbranch_execnz .LBB41_3084
.LBB41_1034:
	s_or_b64 exec, exec, s[6:7]
	s_and_saveexec_b64 s[6:7], s[4:5]
	s_cbranch_execz .LBB41_1036
.LBB41_1035:
	v_bfe_u32 v20, v14, 8, 3
	v_ffbh_u32_e32 v23, v20
	v_min_u32_e32 v23, 32, v23
	v_lshrrev_b16_e32 v22, 3, v21
	v_subrev_u32_e32 v24, 28, v23
	v_and_b32_e32 v22, 15, v22
	v_lshlrev_b32_e32 v21, v24, v21
	v_sub_u32_e32 v23, 29, v23
	v_and_b32_e32 v21, 7, v21
	v_cmp_eq_u16_e32 vcc, 0, v22
	v_cndmask_b32_e32 v20, v20, v21, vcc
	v_cndmask_b32_e32 v21, v22, v23, vcc
	v_lshlrev_b32_e32 v22, 16, v14
	v_mov_b32_e32 v23, 0x3b800000
	v_lshlrev_b32_e32 v20, 20, v20
	v_and_b32_e32 v22, 0x80000000, v22
	v_lshl_add_u32 v21, v21, 23, v23
	v_or3_b32 v20, v22, v21, v20
.LBB41_1036:
	s_or_b64 exec, exec, s[6:7]
	v_lshrrev_b32_e32 v21, 8, v10
	s_movk_i32 s4, 0x7f
	v_cmp_gt_i16_sdwa s[6:7], v21, s4 src0_sel:BYTE_0 src1_sel:DWORD
	s_mov_b64 s[4:5], 0
                                        ; implicit-def: $sgpr10
	s_and_saveexec_b64 s[8:9], s[6:7]
	s_xor_b64 s[6:7], exec, s[8:9]
	s_cbranch_execnz .LBB41_3085
; %bb.1037:
	s_or_saveexec_b64 s[6:7], s[6:7]
	v_mov_b32_e32 v22, s10
	s_xor_b64 exec, exec, s[6:7]
	s_cbranch_execnz .LBB41_3088
.LBB41_1038:
	s_or_b64 exec, exec, s[6:7]
	s_and_saveexec_b64 s[6:7], s[4:5]
	s_cbranch_execz .LBB41_1040
.LBB41_1039:
	v_bfe_u32 v22, v10, 8, 3
	v_ffbh_u32_e32 v24, v22
	v_min_u32_e32 v24, 32, v24
	v_lshrrev_b16_e32 v23, 3, v21
	v_subrev_u32_e32 v25, 28, v24
	v_and_b32_e32 v23, 15, v23
	v_lshlrev_b32_e32 v21, v25, v21
	v_sub_u32_e32 v24, 29, v24
	v_and_b32_e32 v21, 7, v21
	v_cmp_eq_u16_e32 vcc, 0, v23
	v_cndmask_b32_e32 v21, v22, v21, vcc
	v_cndmask_b32_e32 v22, v23, v24, vcc
	v_lshlrev_b32_e32 v23, 16, v10
	v_mov_b32_e32 v24, 0x3b800000
	v_lshlrev_b32_e32 v21, 20, v21
	v_and_b32_e32 v23, 0x80000000, v23
	v_lshl_add_u32 v22, v22, 23, v24
	v_or3_b32 v22, v23, v22, v21
.LBB41_1040:
	s_or_b64 exec, exec, s[6:7]
	s_nop 0
	v_mfma_f32_16x16x4f32 a[0:3], v20, v22, a[0:3]
	s_movk_i32 s4, 0xff
	v_and_b32_sdwa v21, v14, s4 dst_sel:DWORD dst_unused:UNUSED_PAD src0_sel:WORD_1 src1_sel:DWORD
	s_movk_i32 s4, 0x7f
	v_cmp_lt_i16_e32 vcc, s4, v21
	s_mov_b64 s[4:5], 0
                                        ; implicit-def: $sgpr10
	s_and_saveexec_b64 s[6:7], vcc
	s_xor_b64 s[6:7], exec, s[6:7]
	s_cbranch_execnz .LBB41_3089
; %bb.1041:
	s_or_saveexec_b64 s[6:7], s[6:7]
	v_mov_b32_e32 v20, s10
	s_xor_b64 exec, exec, s[6:7]
	s_cbranch_execnz .LBB41_3092
.LBB41_1042:
	s_or_b64 exec, exec, s[6:7]
	s_and_saveexec_b64 s[6:7], s[4:5]
	s_cbranch_execz .LBB41_1044
.LBB41_1043:
	v_bfe_u32 v20, v14, 16, 3
	v_ffbh_u32_e32 v23, v20
	v_min_u32_e32 v23, 32, v23
	v_lshrrev_b32_e32 v21, 19, v14
	v_subrev_u32_e32 v24, 28, v23
	v_and_b32_e32 v21, 15, v21
	v_lshlrev_b32_sdwa v24, v24, v14 dst_sel:DWORD dst_unused:UNUSED_PAD src0_sel:DWORD src1_sel:WORD_1
	v_bfe_u32 v22, v14, 19, 4
	v_sub_u32_e32 v23, 29, v23
	v_and_b32_e32 v24, 7, v24
	v_cmp_eq_u16_e32 vcc, 0, v21
	v_cndmask_b32_e32 v20, v20, v24, vcc
	v_cndmask_b32_e32 v21, v22, v23, vcc
	v_lshlrev_b32_e32 v22, 8, v14
	v_mov_b32_e32 v23, 0x3b800000
	v_lshlrev_b32_e32 v20, 20, v20
	v_and_b32_e32 v22, 0x80000000, v22
	v_lshl_add_u32 v21, v21, 23, v23
	v_or3_b32 v20, v22, v21, v20
.LBB41_1044:
	s_or_b64 exec, exec, s[6:7]
	s_movk_i32 s4, 0xff
	v_and_b32_sdwa v21, v10, s4 dst_sel:DWORD dst_unused:UNUSED_PAD src0_sel:WORD_1 src1_sel:DWORD
	s_movk_i32 s4, 0x7f
	v_cmp_lt_i16_e32 vcc, s4, v21
	s_mov_b64 s[4:5], 0
                                        ; implicit-def: $sgpr10
	s_and_saveexec_b64 s[6:7], vcc
	s_xor_b64 s[6:7], exec, s[6:7]
	s_cbranch_execnz .LBB41_3093
; %bb.1045:
	s_or_saveexec_b64 s[6:7], s[6:7]
	v_mov_b32_e32 v22, s10
	s_xor_b64 exec, exec, s[6:7]
	s_cbranch_execnz .LBB41_3096
.LBB41_1046:
	s_or_b64 exec, exec, s[6:7]
	s_and_saveexec_b64 s[6:7], s[4:5]
	s_cbranch_execz .LBB41_1048
.LBB41_1047:
	v_bfe_u32 v21, v10, 16, 3
	v_ffbh_u32_e32 v24, v21
	v_min_u32_e32 v24, 32, v24
	v_lshrrev_b32_e32 v22, 19, v10
	v_subrev_u32_e32 v25, 28, v24
	v_and_b32_e32 v22, 15, v22
	v_lshlrev_b32_sdwa v25, v25, v10 dst_sel:DWORD dst_unused:UNUSED_PAD src0_sel:DWORD src1_sel:WORD_1
	v_bfe_u32 v23, v10, 19, 4
	v_sub_u32_e32 v24, 29, v24
	v_and_b32_e32 v25, 7, v25
	v_cmp_eq_u16_e32 vcc, 0, v22
	v_cndmask_b32_e32 v21, v21, v25, vcc
	v_cndmask_b32_e32 v22, v23, v24, vcc
	v_lshlrev_b32_e32 v23, 8, v10
	v_mov_b32_e32 v24, 0x3b800000
	v_lshlrev_b32_e32 v21, 20, v21
	v_and_b32_e32 v23, 0x80000000, v23
	v_lshl_add_u32 v22, v22, 23, v24
	v_or3_b32 v22, v23, v22, v21
.LBB41_1048:
	s_or_b64 exec, exec, s[6:7]
	s_nop 0
	v_mfma_f32_16x16x4f32 a[0:3], v20, v22, a[0:3]
	s_movk_i32 s4, 0x7f
	v_cmp_gt_i16_sdwa s[6:7], v14, s4 src0_sel:BYTE_3 src1_sel:DWORD
	s_mov_b64 s[4:5], 0
                                        ; implicit-def: $sgpr10
	s_and_saveexec_b64 s[8:9], s[6:7]
	s_xor_b64 s[6:7], exec, s[8:9]
	s_cbranch_execnz .LBB41_3097
; %bb.1049:
	s_or_saveexec_b64 s[6:7], s[6:7]
	v_mov_b32_e32 v20, s10
	s_xor_b64 exec, exec, s[6:7]
	s_cbranch_execnz .LBB41_3100
.LBB41_1050:
	s_or_b64 exec, exec, s[6:7]
	s_and_saveexec_b64 s[6:7], s[4:5]
	s_cbranch_execz .LBB41_1052
.LBB41_1051:
	v_bfe_u32 v20, v14, 24, 3
	v_ffbh_u32_e32 v24, v20
	v_min_u32_e32 v24, 32, v24
	v_lshrrev_b32_e32 v22, 27, v14
	v_subrev_u32_e32 v25, 28, v24
	v_and_b32_e32 v21, 0x80000000, v14
	v_and_b32_e32 v22, 15, v22
	v_bfe_u32 v23, v14, 27, 4
	v_lshlrev_b32_sdwa v14, v25, v14 dst_sel:DWORD dst_unused:UNUSED_PAD src0_sel:DWORD src1_sel:BYTE_3
	v_sub_u32_e32 v24, 29, v24
	v_and_b32_e32 v14, 7, v14
	v_cmp_eq_u16_e32 vcc, 0, v22
	v_cndmask_b32_e32 v14, v20, v14, vcc
	v_cndmask_b32_e32 v20, v23, v24, vcc
	v_mov_b32_e32 v22, 0x3b800000
	v_lshlrev_b32_e32 v14, 20, v14
	v_lshl_add_u32 v20, v20, 23, v22
	v_or3_b32 v20, v21, v20, v14
.LBB41_1052:
	s_or_b64 exec, exec, s[6:7]
	s_movk_i32 s4, 0x7f
	v_cmp_gt_i16_sdwa s[6:7], v10, s4 src0_sel:BYTE_3 src1_sel:DWORD
	s_mov_b64 s[4:5], 0
                                        ; implicit-def: $sgpr10
	s_and_saveexec_b64 s[8:9], s[6:7]
	s_xor_b64 s[6:7], exec, s[8:9]
	s_cbranch_execnz .LBB41_3101
; %bb.1053:
	s_or_saveexec_b64 s[6:7], s[6:7]
	v_mov_b32_e32 v14, s10
	s_xor_b64 exec, exec, s[6:7]
	s_cbranch_execnz .LBB41_3104
.LBB41_1054:
	s_or_b64 exec, exec, s[6:7]
	s_and_saveexec_b64 s[6:7], s[4:5]
	s_cbranch_execz .LBB41_1056
.LBB41_1055:
	v_bfe_u32 v14, v10, 24, 3
	v_ffbh_u32_e32 v24, v14
	v_min_u32_e32 v24, 32, v24
	v_lshrrev_b32_e32 v22, 27, v10
	v_subrev_u32_e32 v25, 28, v24
	v_and_b32_e32 v21, 0x80000000, v10
	v_and_b32_e32 v22, 15, v22
	v_bfe_u32 v23, v10, 27, 4
	v_lshlrev_b32_sdwa v10, v25, v10 dst_sel:DWORD dst_unused:UNUSED_PAD src0_sel:DWORD src1_sel:BYTE_3
	v_sub_u32_e32 v24, 29, v24
	v_and_b32_e32 v10, 7, v10
	v_cmp_eq_u16_e32 vcc, 0, v22
	v_cndmask_b32_e32 v10, v14, v10, vcc
	v_cndmask_b32_e32 v14, v23, v24, vcc
	v_mov_b32_e32 v22, 0x3b800000
	v_lshlrev_b32_e32 v10, 20, v10
	v_lshl_add_u32 v14, v14, 23, v22
	v_or3_b32 v14, v21, v14, v10
.LBB41_1056:
	s_or_b64 exec, exec, s[6:7]
	s_nop 0
	v_mfma_f32_16x16x4f32 a[0:3], v20, v14, a[0:3]
	s_movk_i32 s4, 0x7f
	v_cmp_gt_i16_sdwa s[6:7], v15, s4 src0_sel:BYTE_0 src1_sel:DWORD
	s_mov_b64 s[4:5], 0
                                        ; implicit-def: $sgpr10
	s_and_saveexec_b64 s[8:9], s[6:7]
	s_xor_b64 s[6:7], exec, s[8:9]
	s_cbranch_execnz .LBB41_3105
; %bb.1057:
	s_or_saveexec_b64 s[6:7], s[6:7]
	v_mov_b32_e32 v10, s10
	s_xor_b64 exec, exec, s[6:7]
	s_cbranch_execnz .LBB41_3108
.LBB41_1058:
	s_or_b64 exec, exec, s[6:7]
	s_and_saveexec_b64 s[6:7], s[4:5]
	s_cbranch_execz .LBB41_1060
.LBB41_1059:
	v_and_b32_e32 v10, 7, v15
	v_ffbh_u32_e32 v20, v10
	v_min_u32_e32 v20, 32, v20
	v_lshrrev_b16_e32 v14, 3, v15
	v_subrev_u32_e32 v21, 28, v20
	v_and_b32_e32 v14, 15, v14
	v_lshlrev_b32_e32 v21, v21, v15
	v_sub_u32_e32 v20, 29, v20
	v_and_b32_e32 v21, 7, v21
	v_cmp_eq_u16_e32 vcc, 0, v14
	v_cndmask_b32_e32 v10, v10, v21, vcc
	v_cndmask_b32_e32 v14, v14, v20, vcc
	v_lshlrev_b32_e32 v20, 24, v15
	v_mov_b32_e32 v21, 0x3b800000
	v_lshlrev_b32_e32 v10, 20, v10
	v_and_b32_e32 v20, 0x80000000, v20
	v_lshl_add_u32 v14, v14, 23, v21
	v_or3_b32 v10, v20, v14, v10
.LBB41_1060:
	s_or_b64 exec, exec, s[6:7]
	s_movk_i32 s4, 0x7f
	v_cmp_gt_i16_sdwa s[6:7], v11, s4 src0_sel:BYTE_0 src1_sel:DWORD
	s_mov_b64 s[4:5], 0
                                        ; implicit-def: $sgpr10
	s_and_saveexec_b64 s[8:9], s[6:7]
	s_xor_b64 s[6:7], exec, s[8:9]
	s_cbranch_execnz .LBB41_3109
; %bb.1061:
	s_or_saveexec_b64 s[6:7], s[6:7]
	v_mov_b32_e32 v14, s10
	s_xor_b64 exec, exec, s[6:7]
	s_cbranch_execnz .LBB41_3112
.LBB41_1062:
	s_or_b64 exec, exec, s[6:7]
	s_and_saveexec_b64 s[6:7], s[4:5]
	s_cbranch_execz .LBB41_1064
.LBB41_1063:
	v_and_b32_e32 v14, 7, v11
	v_ffbh_u32_e32 v21, v14
	v_min_u32_e32 v21, 32, v21
	v_lshrrev_b16_e32 v20, 3, v11
	v_subrev_u32_e32 v22, 28, v21
	v_and_b32_e32 v20, 15, v20
	v_lshlrev_b32_e32 v22, v22, v11
	v_sub_u32_e32 v21, 29, v21
	v_and_b32_e32 v22, 7, v22
	v_cmp_eq_u16_e32 vcc, 0, v20
	v_cndmask_b32_e32 v14, v14, v22, vcc
	v_cndmask_b32_e32 v20, v20, v21, vcc
	v_lshlrev_b32_e32 v21, 24, v11
	v_mov_b32_e32 v22, 0x3b800000
	v_lshlrev_b32_e32 v14, 20, v14
	v_and_b32_e32 v21, 0x80000000, v21
	v_lshl_add_u32 v20, v20, 23, v22
	v_or3_b32 v14, v21, v20, v14
.LBB41_1064:
	s_or_b64 exec, exec, s[6:7]
	s_nop 0
	v_mfma_f32_16x16x4f32 a[0:3], v10, v14, a[0:3]
	v_lshrrev_b32_e32 v14, 8, v15
	s_movk_i32 s4, 0x7f
	v_cmp_gt_i16_sdwa s[6:7], v14, s4 src0_sel:BYTE_0 src1_sel:DWORD
	s_mov_b64 s[4:5], 0
                                        ; implicit-def: $sgpr10
	s_and_saveexec_b64 s[8:9], s[6:7]
	s_xor_b64 s[6:7], exec, s[8:9]
	s_cbranch_execnz .LBB41_3113
; %bb.1065:
	s_or_saveexec_b64 s[6:7], s[6:7]
	v_mov_b32_e32 v10, s10
	s_xor_b64 exec, exec, s[6:7]
	s_cbranch_execnz .LBB41_3116
.LBB41_1066:
	s_or_b64 exec, exec, s[6:7]
	s_and_saveexec_b64 s[6:7], s[4:5]
	s_cbranch_execz .LBB41_1068
.LBB41_1067:
	v_bfe_u32 v10, v15, 8, 3
	v_ffbh_u32_e32 v21, v10
	v_min_u32_e32 v21, 32, v21
	v_lshrrev_b16_e32 v20, 3, v14
	v_subrev_u32_e32 v22, 28, v21
	v_and_b32_e32 v20, 15, v20
	v_lshlrev_b32_e32 v14, v22, v14
	v_sub_u32_e32 v21, 29, v21
	v_and_b32_e32 v14, 7, v14
	v_cmp_eq_u16_e32 vcc, 0, v20
	v_cndmask_b32_e32 v10, v10, v14, vcc
	v_cndmask_b32_e32 v14, v20, v21, vcc
	v_lshlrev_b32_e32 v20, 16, v15
	v_mov_b32_e32 v21, 0x3b800000
	v_lshlrev_b32_e32 v10, 20, v10
	v_and_b32_e32 v20, 0x80000000, v20
	v_lshl_add_u32 v14, v14, 23, v21
	v_or3_b32 v10, v20, v14, v10
.LBB41_1068:
	s_or_b64 exec, exec, s[6:7]
	v_lshrrev_b32_e32 v14, 8, v11
	s_movk_i32 s4, 0x7f
	v_cmp_gt_i16_sdwa s[6:7], v14, s4 src0_sel:BYTE_0 src1_sel:DWORD
	s_mov_b64 s[4:5], 0
                                        ; implicit-def: $sgpr10
	s_and_saveexec_b64 s[8:9], s[6:7]
	s_xor_b64 s[6:7], exec, s[8:9]
	s_cbranch_execnz .LBB41_3117
; %bb.1069:
	s_or_saveexec_b64 s[6:7], s[6:7]
	v_mov_b32_e32 v20, s10
	s_xor_b64 exec, exec, s[6:7]
	s_cbranch_execnz .LBB41_3120
.LBB41_1070:
	s_or_b64 exec, exec, s[6:7]
	s_and_saveexec_b64 s[6:7], s[4:5]
	s_cbranch_execz .LBB41_1072
.LBB41_1071:
	v_bfe_u32 v20, v11, 8, 3
	v_ffbh_u32_e32 v22, v20
	v_min_u32_e32 v22, 32, v22
	v_lshrrev_b16_e32 v21, 3, v14
	v_subrev_u32_e32 v23, 28, v22
	v_and_b32_e32 v21, 15, v21
	v_lshlrev_b32_e32 v14, v23, v14
	v_sub_u32_e32 v22, 29, v22
	v_and_b32_e32 v14, 7, v14
	v_cmp_eq_u16_e32 vcc, 0, v21
	v_cndmask_b32_e32 v14, v20, v14, vcc
	v_cndmask_b32_e32 v20, v21, v22, vcc
	v_lshlrev_b32_e32 v21, 16, v11
	v_mov_b32_e32 v22, 0x3b800000
	v_lshlrev_b32_e32 v14, 20, v14
	v_and_b32_e32 v21, 0x80000000, v21
	v_lshl_add_u32 v20, v20, 23, v22
	v_or3_b32 v20, v21, v20, v14
.LBB41_1072:
	s_or_b64 exec, exec, s[6:7]
	s_nop 0
	v_mfma_f32_16x16x4f32 a[0:3], v10, v20, a[0:3]
	s_movk_i32 s4, 0xff
	v_and_b32_sdwa v14, v15, s4 dst_sel:DWORD dst_unused:UNUSED_PAD src0_sel:WORD_1 src1_sel:DWORD
	s_movk_i32 s4, 0x7f
	v_cmp_lt_i16_e32 vcc, s4, v14
	s_mov_b64 s[4:5], 0
                                        ; implicit-def: $sgpr10
	s_and_saveexec_b64 s[6:7], vcc
	s_xor_b64 s[6:7], exec, s[6:7]
	s_cbranch_execnz .LBB41_3121
; %bb.1073:
	s_or_saveexec_b64 s[6:7], s[6:7]
	v_mov_b32_e32 v10, s10
	s_xor_b64 exec, exec, s[6:7]
	s_cbranch_execnz .LBB41_3124
.LBB41_1074:
	s_or_b64 exec, exec, s[6:7]
	s_and_saveexec_b64 s[6:7], s[4:5]
	s_cbranch_execz .LBB41_1076
.LBB41_1075:
	v_bfe_u32 v10, v15, 16, 3
	v_ffbh_u32_e32 v21, v10
	v_min_u32_e32 v21, 32, v21
	v_lshrrev_b32_e32 v14, 19, v15
	v_subrev_u32_e32 v22, 28, v21
	v_and_b32_e32 v14, 15, v14
	v_lshlrev_b32_sdwa v22, v22, v15 dst_sel:DWORD dst_unused:UNUSED_PAD src0_sel:DWORD src1_sel:WORD_1
	v_bfe_u32 v20, v15, 19, 4
	v_sub_u32_e32 v21, 29, v21
	v_and_b32_e32 v22, 7, v22
	v_cmp_eq_u16_e32 vcc, 0, v14
	v_cndmask_b32_e32 v10, v10, v22, vcc
	v_cndmask_b32_e32 v14, v20, v21, vcc
	v_lshlrev_b32_e32 v20, 8, v15
	v_mov_b32_e32 v21, 0x3b800000
	v_lshlrev_b32_e32 v10, 20, v10
	v_and_b32_e32 v20, 0x80000000, v20
	v_lshl_add_u32 v14, v14, 23, v21
	v_or3_b32 v10, v20, v14, v10
.LBB41_1076:
	s_or_b64 exec, exec, s[6:7]
	s_movk_i32 s4, 0xff
	v_and_b32_sdwa v14, v11, s4 dst_sel:DWORD dst_unused:UNUSED_PAD src0_sel:WORD_1 src1_sel:DWORD
	s_movk_i32 s4, 0x7f
	v_cmp_lt_i16_e32 vcc, s4, v14
	s_mov_b64 s[4:5], 0
                                        ; implicit-def: $sgpr10
	s_and_saveexec_b64 s[6:7], vcc
	s_xor_b64 s[6:7], exec, s[6:7]
	s_cbranch_execnz .LBB41_3125
; %bb.1077:
	s_or_saveexec_b64 s[6:7], s[6:7]
	v_mov_b32_e32 v20, s10
	s_xor_b64 exec, exec, s[6:7]
	s_cbranch_execnz .LBB41_3128
.LBB41_1078:
	s_or_b64 exec, exec, s[6:7]
	s_and_saveexec_b64 s[6:7], s[4:5]
	s_cbranch_execz .LBB41_1080
.LBB41_1079:
	v_bfe_u32 v14, v11, 16, 3
	v_ffbh_u32_e32 v22, v14
	v_min_u32_e32 v22, 32, v22
	v_lshrrev_b32_e32 v20, 19, v11
	v_subrev_u32_e32 v23, 28, v22
	v_and_b32_e32 v20, 15, v20
	v_lshlrev_b32_sdwa v23, v23, v11 dst_sel:DWORD dst_unused:UNUSED_PAD src0_sel:DWORD src1_sel:WORD_1
	v_bfe_u32 v21, v11, 19, 4
	v_sub_u32_e32 v22, 29, v22
	v_and_b32_e32 v23, 7, v23
	v_cmp_eq_u16_e32 vcc, 0, v20
	v_cndmask_b32_e32 v14, v14, v23, vcc
	v_cndmask_b32_e32 v20, v21, v22, vcc
	v_lshlrev_b32_e32 v21, 8, v11
	v_mov_b32_e32 v22, 0x3b800000
	v_lshlrev_b32_e32 v14, 20, v14
	v_and_b32_e32 v21, 0x80000000, v21
	v_lshl_add_u32 v20, v20, 23, v22
	v_or3_b32 v20, v21, v20, v14
.LBB41_1080:
	s_or_b64 exec, exec, s[6:7]
	s_nop 0
	v_mfma_f32_16x16x4f32 a[0:3], v10, v20, a[0:3]
	s_movk_i32 s4, 0x7f
	v_cmp_gt_i16_sdwa s[6:7], v15, s4 src0_sel:BYTE_3 src1_sel:DWORD
	s_mov_b64 s[4:5], 0
                                        ; implicit-def: $sgpr10
	s_and_saveexec_b64 s[8:9], s[6:7]
	s_xor_b64 s[6:7], exec, s[8:9]
	s_cbranch_execnz .LBB41_3129
; %bb.1081:
	s_or_saveexec_b64 s[6:7], s[6:7]
	v_mov_b32_e32 v10, s10
	s_xor_b64 exec, exec, s[6:7]
	s_cbranch_execnz .LBB41_3132
.LBB41_1082:
	s_or_b64 exec, exec, s[6:7]
	s_and_saveexec_b64 s[6:7], s[4:5]
	s_cbranch_execz .LBB41_1084
.LBB41_1083:
	v_bfe_u32 v10, v15, 24, 3
	v_ffbh_u32_e32 v22, v10
	v_min_u32_e32 v22, 32, v22
	v_lshrrev_b32_e32 v20, 27, v15
	v_subrev_u32_e32 v23, 28, v22
	v_and_b32_e32 v14, 0x80000000, v15
	v_and_b32_e32 v20, 15, v20
	v_bfe_u32 v21, v15, 27, 4
	v_lshlrev_b32_sdwa v15, v23, v15 dst_sel:DWORD dst_unused:UNUSED_PAD src0_sel:DWORD src1_sel:BYTE_3
	v_sub_u32_e32 v22, 29, v22
	v_and_b32_e32 v15, 7, v15
	v_cmp_eq_u16_e32 vcc, 0, v20
	v_cndmask_b32_e32 v10, v10, v15, vcc
	v_cndmask_b32_e32 v15, v21, v22, vcc
	v_mov_b32_e32 v20, 0x3b800000
	v_lshlrev_b32_e32 v10, 20, v10
	v_lshl_add_u32 v15, v15, 23, v20
	v_or3_b32 v10, v14, v15, v10
.LBB41_1084:
	s_or_b64 exec, exec, s[6:7]
	s_movk_i32 s4, 0x7f
	v_cmp_gt_i16_sdwa s[6:7], v11, s4 src0_sel:BYTE_3 src1_sel:DWORD
	s_mov_b64 s[4:5], 0
                                        ; implicit-def: $sgpr10
	s_and_saveexec_b64 s[8:9], s[6:7]
	s_xor_b64 s[6:7], exec, s[8:9]
	s_cbranch_execnz .LBB41_3133
; %bb.1085:
	s_or_saveexec_b64 s[6:7], s[6:7]
	v_mov_b32_e32 v14, s10
	s_xor_b64 exec, exec, s[6:7]
	s_cbranch_execnz .LBB41_3136
.LBB41_1086:
	s_or_b64 exec, exec, s[6:7]
	s_and_saveexec_b64 s[6:7], s[4:5]
	s_cbranch_execz .LBB41_1088
.LBB41_1087:
	v_bfe_u32 v14, v11, 24, 3
	v_ffbh_u32_e32 v22, v14
	v_min_u32_e32 v22, 32, v22
	v_lshrrev_b32_e32 v20, 27, v11
	v_subrev_u32_e32 v23, 28, v22
	v_and_b32_e32 v15, 0x80000000, v11
	v_and_b32_e32 v20, 15, v20
	v_bfe_u32 v21, v11, 27, 4
	v_lshlrev_b32_sdwa v11, v23, v11 dst_sel:DWORD dst_unused:UNUSED_PAD src0_sel:DWORD src1_sel:BYTE_3
	v_sub_u32_e32 v22, 29, v22
	v_and_b32_e32 v11, 7, v11
	v_cmp_eq_u16_e32 vcc, 0, v20
	v_cndmask_b32_e32 v11, v14, v11, vcc
	v_cndmask_b32_e32 v14, v21, v22, vcc
	v_mov_b32_e32 v20, 0x3b800000
	v_lshlrev_b32_e32 v11, 20, v11
	v_lshl_add_u32 v14, v14, 23, v20
	v_or3_b32 v14, v15, v14, v11
.LBB41_1088:
	s_or_b64 exec, exec, s[6:7]
	s_nop 0
	v_mfma_f32_16x16x4f32 a[0:3], v10, v14, a[0:3]
	s_movk_i32 s4, 0x7f
	v_cmp_gt_i16_sdwa s[6:7], v16, s4 src0_sel:BYTE_0 src1_sel:DWORD
	s_mov_b64 s[4:5], 0
                                        ; implicit-def: $sgpr10
	s_and_saveexec_b64 s[8:9], s[6:7]
	s_xor_b64 s[6:7], exec, s[8:9]
	s_cbranch_execnz .LBB41_3137
; %bb.1089:
	s_or_saveexec_b64 s[6:7], s[6:7]
	v_mov_b32_e32 v10, s10
	s_xor_b64 exec, exec, s[6:7]
	s_cbranch_execnz .LBB41_3140
.LBB41_1090:
	s_or_b64 exec, exec, s[6:7]
	s_and_saveexec_b64 s[6:7], s[4:5]
	s_cbranch_execz .LBB41_1092
.LBB41_1091:
	v_and_b32_e32 v10, 7, v16
	v_ffbh_u32_e32 v14, v10
	v_min_u32_e32 v14, 32, v14
	v_lshrrev_b16_e32 v11, 3, v16
	v_subrev_u32_e32 v15, 28, v14
	v_and_b32_e32 v11, 15, v11
	v_lshlrev_b32_e32 v15, v15, v16
	v_sub_u32_e32 v14, 29, v14
	v_and_b32_e32 v15, 7, v15
	v_cmp_eq_u16_e32 vcc, 0, v11
	v_cndmask_b32_e32 v10, v10, v15, vcc
	v_cndmask_b32_e32 v11, v11, v14, vcc
	v_lshlrev_b32_e32 v14, 24, v16
	v_mov_b32_e32 v15, 0x3b800000
	v_lshlrev_b32_e32 v10, 20, v10
	v_and_b32_e32 v14, 0x80000000, v14
	v_lshl_add_u32 v11, v11, 23, v15
	v_or3_b32 v10, v14, v11, v10
.LBB41_1092:
	s_or_b64 exec, exec, s[6:7]
	s_movk_i32 s4, 0x7f
	v_cmp_gt_i16_sdwa s[6:7], v12, s4 src0_sel:BYTE_0 src1_sel:DWORD
	s_mov_b64 s[4:5], 0
                                        ; implicit-def: $sgpr10
	s_and_saveexec_b64 s[8:9], s[6:7]
	s_xor_b64 s[6:7], exec, s[8:9]
	s_cbranch_execnz .LBB41_3141
; %bb.1093:
	s_or_saveexec_b64 s[6:7], s[6:7]
	v_mov_b32_e32 v11, s10
	s_xor_b64 exec, exec, s[6:7]
	s_cbranch_execnz .LBB41_3144
.LBB41_1094:
	s_or_b64 exec, exec, s[6:7]
	s_and_saveexec_b64 s[6:7], s[4:5]
	s_cbranch_execz .LBB41_1096
.LBB41_1095:
	v_and_b32_e32 v11, 7, v12
	v_ffbh_u32_e32 v15, v11
	v_min_u32_e32 v15, 32, v15
	v_lshrrev_b16_e32 v14, 3, v12
	v_subrev_u32_e32 v20, 28, v15
	v_and_b32_e32 v14, 15, v14
	v_lshlrev_b32_e32 v20, v20, v12
	v_sub_u32_e32 v15, 29, v15
	v_and_b32_e32 v20, 7, v20
	v_cmp_eq_u16_e32 vcc, 0, v14
	v_cndmask_b32_e32 v11, v11, v20, vcc
	v_cndmask_b32_e32 v14, v14, v15, vcc
	v_lshlrev_b32_e32 v15, 24, v12
	v_mov_b32_e32 v20, 0x3b800000
	v_lshlrev_b32_e32 v11, 20, v11
	v_and_b32_e32 v15, 0x80000000, v15
	v_lshl_add_u32 v14, v14, 23, v20
	v_or3_b32 v11, v15, v14, v11
.LBB41_1096:
	s_or_b64 exec, exec, s[6:7]
	s_nop 0
	v_mfma_f32_16x16x4f32 a[0:3], v10, v11, a[0:3]
	v_lshrrev_b32_e32 v11, 8, v16
	s_movk_i32 s4, 0x7f
	v_cmp_gt_i16_sdwa s[6:7], v11, s4 src0_sel:BYTE_0 src1_sel:DWORD
	s_mov_b64 s[4:5], 0
                                        ; implicit-def: $sgpr10
	s_and_saveexec_b64 s[8:9], s[6:7]
	s_xor_b64 s[6:7], exec, s[8:9]
	s_cbranch_execnz .LBB41_3145
; %bb.1097:
	s_or_saveexec_b64 s[6:7], s[6:7]
	v_mov_b32_e32 v10, s10
	s_xor_b64 exec, exec, s[6:7]
	s_cbranch_execnz .LBB41_3148
.LBB41_1098:
	s_or_b64 exec, exec, s[6:7]
	s_and_saveexec_b64 s[6:7], s[4:5]
	s_cbranch_execz .LBB41_1100
.LBB41_1099:
	v_bfe_u32 v10, v16, 8, 3
	v_ffbh_u32_e32 v15, v10
	v_min_u32_e32 v15, 32, v15
	v_lshrrev_b16_e32 v14, 3, v11
	v_subrev_u32_e32 v20, 28, v15
	v_and_b32_e32 v14, 15, v14
	v_lshlrev_b32_e32 v11, v20, v11
	v_sub_u32_e32 v15, 29, v15
	v_and_b32_e32 v11, 7, v11
	v_cmp_eq_u16_e32 vcc, 0, v14
	v_cndmask_b32_e32 v10, v10, v11, vcc
	v_cndmask_b32_e32 v11, v14, v15, vcc
	v_lshlrev_b32_e32 v14, 16, v16
	v_mov_b32_e32 v15, 0x3b800000
	v_lshlrev_b32_e32 v10, 20, v10
	v_and_b32_e32 v14, 0x80000000, v14
	v_lshl_add_u32 v11, v11, 23, v15
	v_or3_b32 v10, v14, v11, v10
.LBB41_1100:
	s_or_b64 exec, exec, s[6:7]
	v_lshrrev_b32_e32 v11, 8, v12
	s_movk_i32 s4, 0x7f
	v_cmp_gt_i16_sdwa s[6:7], v11, s4 src0_sel:BYTE_0 src1_sel:DWORD
	s_mov_b64 s[4:5], 0
                                        ; implicit-def: $sgpr10
	s_and_saveexec_b64 s[8:9], s[6:7]
	s_xor_b64 s[6:7], exec, s[8:9]
	s_cbranch_execnz .LBB41_3149
; %bb.1101:
	s_or_saveexec_b64 s[6:7], s[6:7]
	v_mov_b32_e32 v14, s10
	s_xor_b64 exec, exec, s[6:7]
	s_cbranch_execnz .LBB41_3152
.LBB41_1102:
	s_or_b64 exec, exec, s[6:7]
	s_and_saveexec_b64 s[6:7], s[4:5]
	s_cbranch_execz .LBB41_1104
.LBB41_1103:
	v_bfe_u32 v14, v12, 8, 3
	v_ffbh_u32_e32 v20, v14
	v_min_u32_e32 v20, 32, v20
	v_lshrrev_b16_e32 v15, 3, v11
	v_subrev_u32_e32 v21, 28, v20
	v_and_b32_e32 v15, 15, v15
	v_lshlrev_b32_e32 v11, v21, v11
	v_sub_u32_e32 v20, 29, v20
	v_and_b32_e32 v11, 7, v11
	v_cmp_eq_u16_e32 vcc, 0, v15
	v_cndmask_b32_e32 v11, v14, v11, vcc
	v_cndmask_b32_e32 v14, v15, v20, vcc
	v_lshlrev_b32_e32 v15, 16, v12
	v_mov_b32_e32 v20, 0x3b800000
	v_lshlrev_b32_e32 v11, 20, v11
	v_and_b32_e32 v15, 0x80000000, v15
	v_lshl_add_u32 v14, v14, 23, v20
	v_or3_b32 v14, v15, v14, v11
.LBB41_1104:
	s_or_b64 exec, exec, s[6:7]
	s_nop 0
	v_mfma_f32_16x16x4f32 a[0:3], v10, v14, a[0:3]
	s_movk_i32 s4, 0xff
	v_and_b32_sdwa v11, v16, s4 dst_sel:DWORD dst_unused:UNUSED_PAD src0_sel:WORD_1 src1_sel:DWORD
	s_movk_i32 s4, 0x7f
	v_cmp_lt_i16_e32 vcc, s4, v11
	s_mov_b64 s[4:5], 0
                                        ; implicit-def: $sgpr10
	s_and_saveexec_b64 s[6:7], vcc
	s_xor_b64 s[6:7], exec, s[6:7]
	s_cbranch_execnz .LBB41_3153
; %bb.1105:
	s_or_saveexec_b64 s[6:7], s[6:7]
	v_mov_b32_e32 v10, s10
	s_xor_b64 exec, exec, s[6:7]
	s_cbranch_execnz .LBB41_3156
.LBB41_1106:
	s_or_b64 exec, exec, s[6:7]
	s_and_saveexec_b64 s[6:7], s[4:5]
	s_cbranch_execz .LBB41_1108
.LBB41_1107:
	v_bfe_u32 v10, v16, 16, 3
	v_ffbh_u32_e32 v15, v10
	v_min_u32_e32 v15, 32, v15
	v_lshrrev_b32_e32 v11, 19, v16
	v_subrev_u32_e32 v20, 28, v15
	v_and_b32_e32 v11, 15, v11
	v_lshlrev_b32_sdwa v20, v20, v16 dst_sel:DWORD dst_unused:UNUSED_PAD src0_sel:DWORD src1_sel:WORD_1
	v_bfe_u32 v14, v16, 19, 4
	v_sub_u32_e32 v15, 29, v15
	v_and_b32_e32 v20, 7, v20
	v_cmp_eq_u16_e32 vcc, 0, v11
	v_cndmask_b32_e32 v10, v10, v20, vcc
	v_cndmask_b32_e32 v11, v14, v15, vcc
	v_lshlrev_b32_e32 v14, 8, v16
	v_mov_b32_e32 v15, 0x3b800000
	v_lshlrev_b32_e32 v10, 20, v10
	v_and_b32_e32 v14, 0x80000000, v14
	v_lshl_add_u32 v11, v11, 23, v15
	v_or3_b32 v10, v14, v11, v10
.LBB41_1108:
	s_or_b64 exec, exec, s[6:7]
	s_movk_i32 s4, 0xff
	v_and_b32_sdwa v11, v12, s4 dst_sel:DWORD dst_unused:UNUSED_PAD src0_sel:WORD_1 src1_sel:DWORD
	s_movk_i32 s4, 0x7f
	v_cmp_lt_i16_e32 vcc, s4, v11
	s_mov_b64 s[4:5], 0
                                        ; implicit-def: $sgpr10
	s_and_saveexec_b64 s[6:7], vcc
	s_xor_b64 s[6:7], exec, s[6:7]
	s_cbranch_execnz .LBB41_3157
; %bb.1109:
	s_or_saveexec_b64 s[6:7], s[6:7]
	v_mov_b32_e32 v14, s10
	s_xor_b64 exec, exec, s[6:7]
	s_cbranch_execnz .LBB41_3160
.LBB41_1110:
	s_or_b64 exec, exec, s[6:7]
	s_and_saveexec_b64 s[6:7], s[4:5]
	s_cbranch_execz .LBB41_1112
.LBB41_1111:
	v_bfe_u32 v11, v12, 16, 3
	v_ffbh_u32_e32 v20, v11
	v_min_u32_e32 v20, 32, v20
	v_lshrrev_b32_e32 v14, 19, v12
	v_subrev_u32_e32 v21, 28, v20
	v_and_b32_e32 v14, 15, v14
	v_lshlrev_b32_sdwa v21, v21, v12 dst_sel:DWORD dst_unused:UNUSED_PAD src0_sel:DWORD src1_sel:WORD_1
	v_bfe_u32 v15, v12, 19, 4
	v_sub_u32_e32 v20, 29, v20
	v_and_b32_e32 v21, 7, v21
	v_cmp_eq_u16_e32 vcc, 0, v14
	v_cndmask_b32_e32 v11, v11, v21, vcc
	v_cndmask_b32_e32 v14, v15, v20, vcc
	v_lshlrev_b32_e32 v15, 8, v12
	v_mov_b32_e32 v20, 0x3b800000
	v_lshlrev_b32_e32 v11, 20, v11
	v_and_b32_e32 v15, 0x80000000, v15
	v_lshl_add_u32 v14, v14, 23, v20
	v_or3_b32 v14, v15, v14, v11
.LBB41_1112:
	s_or_b64 exec, exec, s[6:7]
	s_nop 0
	v_mfma_f32_16x16x4f32 a[0:3], v10, v14, a[0:3]
	s_movk_i32 s4, 0x7f
	v_cmp_gt_i16_sdwa s[6:7], v16, s4 src0_sel:BYTE_3 src1_sel:DWORD
	s_mov_b64 s[4:5], 0
                                        ; implicit-def: $sgpr10
	s_and_saveexec_b64 s[8:9], s[6:7]
	s_xor_b64 s[6:7], exec, s[8:9]
	s_cbranch_execnz .LBB41_3161
; %bb.1113:
	s_or_saveexec_b64 s[6:7], s[6:7]
	v_mov_b32_e32 v10, s10
	s_xor_b64 exec, exec, s[6:7]
	s_cbranch_execnz .LBB41_3164
.LBB41_1114:
	s_or_b64 exec, exec, s[6:7]
	s_and_saveexec_b64 s[6:7], s[4:5]
	s_cbranch_execz .LBB41_1116
.LBB41_1115:
	v_bfe_u32 v10, v16, 24, 3
	v_ffbh_u32_e32 v20, v10
	v_min_u32_e32 v20, 32, v20
	v_lshrrev_b32_e32 v14, 27, v16
	v_subrev_u32_e32 v21, 28, v20
	v_and_b32_e32 v11, 0x80000000, v16
	v_and_b32_e32 v14, 15, v14
	v_bfe_u32 v15, v16, 27, 4
	v_lshlrev_b32_sdwa v16, v21, v16 dst_sel:DWORD dst_unused:UNUSED_PAD src0_sel:DWORD src1_sel:BYTE_3
	v_sub_u32_e32 v20, 29, v20
	v_and_b32_e32 v16, 7, v16
	v_cmp_eq_u16_e32 vcc, 0, v14
	v_cndmask_b32_e32 v10, v10, v16, vcc
	v_cndmask_b32_e32 v14, v15, v20, vcc
	v_mov_b32_e32 v15, 0x3b800000
	v_lshlrev_b32_e32 v10, 20, v10
	v_lshl_add_u32 v14, v14, 23, v15
	v_or3_b32 v10, v11, v14, v10
.LBB41_1116:
	s_or_b64 exec, exec, s[6:7]
	s_movk_i32 s4, 0x7f
	v_cmp_gt_i16_sdwa s[6:7], v12, s4 src0_sel:BYTE_3 src1_sel:DWORD
	s_mov_b64 s[4:5], 0
                                        ; implicit-def: $sgpr10
	s_and_saveexec_b64 s[8:9], s[6:7]
	s_xor_b64 s[6:7], exec, s[8:9]
	s_cbranch_execnz .LBB41_3165
; %bb.1117:
	s_or_saveexec_b64 s[6:7], s[6:7]
	v_mov_b32_e32 v11, s10
	s_xor_b64 exec, exec, s[6:7]
	s_cbranch_execnz .LBB41_3168
.LBB41_1118:
	s_or_b64 exec, exec, s[6:7]
	s_and_saveexec_b64 s[6:7], s[4:5]
	s_cbranch_execz .LBB41_1120
.LBB41_1119:
	v_bfe_u32 v11, v12, 24, 3
	v_ffbh_u32_e32 v20, v11
	v_min_u32_e32 v20, 32, v20
	v_lshrrev_b32_e32 v15, 27, v12
	v_subrev_u32_e32 v21, 28, v20
	v_and_b32_e32 v14, 0x80000000, v12
	v_and_b32_e32 v15, 15, v15
	v_bfe_u32 v16, v12, 27, 4
	v_lshlrev_b32_sdwa v12, v21, v12 dst_sel:DWORD dst_unused:UNUSED_PAD src0_sel:DWORD src1_sel:BYTE_3
	v_sub_u32_e32 v20, 29, v20
	v_and_b32_e32 v12, 7, v12
	v_cmp_eq_u16_e32 vcc, 0, v15
	v_cndmask_b32_e32 v11, v11, v12, vcc
	v_cndmask_b32_e32 v12, v16, v20, vcc
	v_mov_b32_e32 v15, 0x3b800000
	v_lshlrev_b32_e32 v11, 20, v11
	v_lshl_add_u32 v12, v12, 23, v15
	v_or3_b32 v11, v14, v12, v11
.LBB41_1120:
	s_or_b64 exec, exec, s[6:7]
	s_nop 0
	v_mfma_f32_16x16x4f32 a[0:3], v10, v11, a[0:3]
	s_movk_i32 s4, 0x7f
	v_cmp_gt_i16_sdwa s[6:7], v17, s4 src0_sel:BYTE_0 src1_sel:DWORD
	s_mov_b64 s[4:5], 0
                                        ; implicit-def: $sgpr10
	s_and_saveexec_b64 s[8:9], s[6:7]
	s_xor_b64 s[6:7], exec, s[8:9]
	s_cbranch_execnz .LBB41_3169
; %bb.1121:
	s_or_saveexec_b64 s[6:7], s[6:7]
	v_mov_b32_e32 v10, s10
	s_xor_b64 exec, exec, s[6:7]
	s_cbranch_execnz .LBB41_3172
.LBB41_1122:
	s_or_b64 exec, exec, s[6:7]
	s_and_saveexec_b64 s[6:7], s[4:5]
	s_cbranch_execz .LBB41_1124
.LBB41_1123:
	v_and_b32_e32 v10, 7, v17
	v_ffbh_u32_e32 v12, v10
	v_min_u32_e32 v12, 32, v12
	v_lshrrev_b16_e32 v11, 3, v17
	v_subrev_u32_e32 v14, 28, v12
	v_and_b32_e32 v11, 15, v11
	v_lshlrev_b32_e32 v14, v14, v17
	v_sub_u32_e32 v12, 29, v12
	v_and_b32_e32 v14, 7, v14
	v_cmp_eq_u16_e32 vcc, 0, v11
	v_cndmask_b32_e32 v10, v10, v14, vcc
	v_cndmask_b32_e32 v11, v11, v12, vcc
	v_lshlrev_b32_e32 v12, 24, v17
	v_mov_b32_e32 v14, 0x3b800000
	v_lshlrev_b32_e32 v10, 20, v10
	v_and_b32_e32 v12, 0x80000000, v12
	v_lshl_add_u32 v11, v11, 23, v14
	v_or3_b32 v10, v12, v11, v10
.LBB41_1124:
	s_or_b64 exec, exec, s[6:7]
	s_movk_i32 s4, 0x7f
	v_cmp_gt_i16_sdwa s[6:7], v13, s4 src0_sel:BYTE_0 src1_sel:DWORD
	s_mov_b64 s[4:5], 0
                                        ; implicit-def: $sgpr10
	s_and_saveexec_b64 s[8:9], s[6:7]
	s_xor_b64 s[6:7], exec, s[8:9]
	s_cbranch_execnz .LBB41_3173
; %bb.1125:
	s_or_saveexec_b64 s[6:7], s[6:7]
	v_mov_b32_e32 v11, s10
	s_xor_b64 exec, exec, s[6:7]
	s_cbranch_execnz .LBB41_3176
.LBB41_1126:
	s_or_b64 exec, exec, s[6:7]
	s_and_saveexec_b64 s[6:7], s[4:5]
	s_cbranch_execz .LBB41_1128
.LBB41_1127:
	v_and_b32_e32 v11, 7, v13
	v_ffbh_u32_e32 v14, v11
	v_min_u32_e32 v14, 32, v14
	v_lshrrev_b16_e32 v12, 3, v13
	v_subrev_u32_e32 v15, 28, v14
	v_and_b32_e32 v12, 15, v12
	v_lshlrev_b32_e32 v15, v15, v13
	v_sub_u32_e32 v14, 29, v14
	v_and_b32_e32 v15, 7, v15
	v_cmp_eq_u16_e32 vcc, 0, v12
	v_cndmask_b32_e32 v11, v11, v15, vcc
	v_cndmask_b32_e32 v12, v12, v14, vcc
	v_lshlrev_b32_e32 v14, 24, v13
	v_mov_b32_e32 v15, 0x3b800000
	v_lshlrev_b32_e32 v11, 20, v11
	v_and_b32_e32 v14, 0x80000000, v14
	v_lshl_add_u32 v12, v12, 23, v15
	v_or3_b32 v11, v14, v12, v11
.LBB41_1128:
	s_or_b64 exec, exec, s[6:7]
	s_nop 0
	v_mfma_f32_16x16x4f32 a[0:3], v10, v11, a[0:3]
	v_lshrrev_b32_e32 v11, 8, v17
	s_movk_i32 s4, 0x7f
	v_cmp_gt_i16_sdwa s[6:7], v11, s4 src0_sel:BYTE_0 src1_sel:DWORD
	s_mov_b64 s[4:5], 0
                                        ; implicit-def: $sgpr10
	s_and_saveexec_b64 s[8:9], s[6:7]
	s_xor_b64 s[6:7], exec, s[8:9]
	s_cbranch_execnz .LBB41_3177
; %bb.1129:
	s_or_saveexec_b64 s[6:7], s[6:7]
	v_mov_b32_e32 v10, s10
	s_xor_b64 exec, exec, s[6:7]
	s_cbranch_execnz .LBB41_3180
.LBB41_1130:
	s_or_b64 exec, exec, s[6:7]
	s_and_saveexec_b64 s[6:7], s[4:5]
	s_cbranch_execz .LBB41_1132
.LBB41_1131:
	v_bfe_u32 v10, v17, 8, 3
	v_ffbh_u32_e32 v14, v10
	v_min_u32_e32 v14, 32, v14
	v_lshrrev_b16_e32 v12, 3, v11
	v_subrev_u32_e32 v15, 28, v14
	v_and_b32_e32 v12, 15, v12
	v_lshlrev_b32_e32 v11, v15, v11
	v_sub_u32_e32 v14, 29, v14
	v_and_b32_e32 v11, 7, v11
	v_cmp_eq_u16_e32 vcc, 0, v12
	v_cndmask_b32_e32 v10, v10, v11, vcc
	v_cndmask_b32_e32 v11, v12, v14, vcc
	v_lshlrev_b32_e32 v12, 16, v17
	v_mov_b32_e32 v14, 0x3b800000
	v_lshlrev_b32_e32 v10, 20, v10
	v_and_b32_e32 v12, 0x80000000, v12
	v_lshl_add_u32 v11, v11, 23, v14
	v_or3_b32 v10, v12, v11, v10
.LBB41_1132:
	s_or_b64 exec, exec, s[6:7]
	v_lshrrev_b32_e32 v11, 8, v13
	s_movk_i32 s4, 0x7f
	v_cmp_gt_i16_sdwa s[6:7], v11, s4 src0_sel:BYTE_0 src1_sel:DWORD
	s_mov_b64 s[4:5], 0
                                        ; implicit-def: $sgpr10
	s_and_saveexec_b64 s[8:9], s[6:7]
	s_xor_b64 s[6:7], exec, s[8:9]
	s_cbranch_execnz .LBB41_3181
; %bb.1133:
	s_or_saveexec_b64 s[6:7], s[6:7]
	v_mov_b32_e32 v12, s10
	s_xor_b64 exec, exec, s[6:7]
	s_cbranch_execnz .LBB41_3184
.LBB41_1134:
	s_or_b64 exec, exec, s[6:7]
	s_and_saveexec_b64 s[6:7], s[4:5]
	s_cbranch_execz .LBB41_1136
.LBB41_1135:
	v_bfe_u32 v12, v13, 8, 3
	v_ffbh_u32_e32 v15, v12
	v_min_u32_e32 v15, 32, v15
	v_lshrrev_b16_e32 v14, 3, v11
	v_subrev_u32_e32 v16, 28, v15
	v_and_b32_e32 v14, 15, v14
	v_lshlrev_b32_e32 v11, v16, v11
	v_sub_u32_e32 v15, 29, v15
	v_and_b32_e32 v11, 7, v11
	v_cmp_eq_u16_e32 vcc, 0, v14
	v_cndmask_b32_e32 v11, v12, v11, vcc
	v_cndmask_b32_e32 v12, v14, v15, vcc
	v_lshlrev_b32_e32 v14, 16, v13
	v_mov_b32_e32 v15, 0x3b800000
	v_lshlrev_b32_e32 v11, 20, v11
	v_and_b32_e32 v14, 0x80000000, v14
	v_lshl_add_u32 v12, v12, 23, v15
	v_or3_b32 v12, v14, v12, v11
.LBB41_1136:
	s_or_b64 exec, exec, s[6:7]
	s_nop 0
	v_mfma_f32_16x16x4f32 a[0:3], v10, v12, a[0:3]
	s_movk_i32 s4, 0xff
	v_and_b32_sdwa v11, v17, s4 dst_sel:DWORD dst_unused:UNUSED_PAD src0_sel:WORD_1 src1_sel:DWORD
	s_movk_i32 s4, 0x7f
	v_cmp_lt_i16_e32 vcc, s4, v11
	s_mov_b64 s[4:5], 0
                                        ; implicit-def: $sgpr10
	s_and_saveexec_b64 s[6:7], vcc
	s_xor_b64 s[6:7], exec, s[6:7]
	s_cbranch_execnz .LBB41_3185
; %bb.1137:
	s_or_saveexec_b64 s[6:7], s[6:7]
	v_mov_b32_e32 v10, s10
	s_xor_b64 exec, exec, s[6:7]
	s_cbranch_execnz .LBB41_3188
.LBB41_1138:
	s_or_b64 exec, exec, s[6:7]
	s_and_saveexec_b64 s[6:7], s[4:5]
	s_cbranch_execz .LBB41_1140
.LBB41_1139:
	v_bfe_u32 v10, v17, 16, 3
	v_ffbh_u32_e32 v14, v10
	v_min_u32_e32 v14, 32, v14
	v_lshrrev_b32_e32 v11, 19, v17
	v_subrev_u32_e32 v15, 28, v14
	v_and_b32_e32 v11, 15, v11
	v_lshlrev_b32_sdwa v15, v15, v17 dst_sel:DWORD dst_unused:UNUSED_PAD src0_sel:DWORD src1_sel:WORD_1
	v_bfe_u32 v12, v17, 19, 4
	v_sub_u32_e32 v14, 29, v14
	v_and_b32_e32 v15, 7, v15
	v_cmp_eq_u16_e32 vcc, 0, v11
	v_cndmask_b32_e32 v10, v10, v15, vcc
	v_cndmask_b32_e32 v11, v12, v14, vcc
	v_lshlrev_b32_e32 v12, 8, v17
	v_mov_b32_e32 v14, 0x3b800000
	v_lshlrev_b32_e32 v10, 20, v10
	v_and_b32_e32 v12, 0x80000000, v12
	v_lshl_add_u32 v11, v11, 23, v14
	v_or3_b32 v10, v12, v11, v10
.LBB41_1140:
	s_or_b64 exec, exec, s[6:7]
	s_movk_i32 s4, 0xff
	v_and_b32_sdwa v11, v13, s4 dst_sel:DWORD dst_unused:UNUSED_PAD src0_sel:WORD_1 src1_sel:DWORD
	s_movk_i32 s4, 0x7f
	v_cmp_lt_i16_e32 vcc, s4, v11
	s_mov_b64 s[4:5], 0
                                        ; implicit-def: $sgpr10
	s_and_saveexec_b64 s[6:7], vcc
	s_xor_b64 s[6:7], exec, s[6:7]
	s_cbranch_execnz .LBB41_3189
; %bb.1141:
	s_or_saveexec_b64 s[6:7], s[6:7]
	v_mov_b32_e32 v12, s10
	s_xor_b64 exec, exec, s[6:7]
	s_cbranch_execnz .LBB41_3192
.LBB41_1142:
	s_or_b64 exec, exec, s[6:7]
	s_and_saveexec_b64 s[6:7], s[4:5]
	s_cbranch_execz .LBB41_1144
.LBB41_1143:
	v_bfe_u32 v11, v13, 16, 3
	v_ffbh_u32_e32 v15, v11
	v_min_u32_e32 v15, 32, v15
	v_lshrrev_b32_e32 v12, 19, v13
	v_subrev_u32_e32 v16, 28, v15
	v_and_b32_e32 v12, 15, v12
	v_lshlrev_b32_sdwa v16, v16, v13 dst_sel:DWORD dst_unused:UNUSED_PAD src0_sel:DWORD src1_sel:WORD_1
	v_bfe_u32 v14, v13, 19, 4
	v_sub_u32_e32 v15, 29, v15
	v_and_b32_e32 v16, 7, v16
	v_cmp_eq_u16_e32 vcc, 0, v12
	v_cndmask_b32_e32 v11, v11, v16, vcc
	v_cndmask_b32_e32 v12, v14, v15, vcc
	v_lshlrev_b32_e32 v14, 8, v13
	v_mov_b32_e32 v15, 0x3b800000
	v_lshlrev_b32_e32 v11, 20, v11
	v_and_b32_e32 v14, 0x80000000, v14
	v_lshl_add_u32 v12, v12, 23, v15
	v_or3_b32 v12, v14, v12, v11
.LBB41_1144:
	s_or_b64 exec, exec, s[6:7]
	s_nop 0
	v_mfma_f32_16x16x4f32 a[0:3], v10, v12, a[0:3]
	s_movk_i32 s4, 0x7f
	v_cmp_gt_i16_sdwa s[6:7], v17, s4 src0_sel:BYTE_3 src1_sel:DWORD
	s_mov_b64 s[4:5], 0
                                        ; implicit-def: $sgpr10
	s_and_saveexec_b64 s[8:9], s[6:7]
	s_xor_b64 s[6:7], exec, s[8:9]
	s_cbranch_execnz .LBB41_3193
; %bb.1145:
	s_or_saveexec_b64 s[6:7], s[6:7]
	v_mov_b32_e32 v10, s10
	s_xor_b64 exec, exec, s[6:7]
	s_cbranch_execnz .LBB41_3196
.LBB41_1146:
	s_or_b64 exec, exec, s[6:7]
	s_and_saveexec_b64 s[6:7], s[4:5]
	s_cbranch_execz .LBB41_1148
.LBB41_1147:
	v_bfe_u32 v10, v17, 24, 3
	v_ffbh_u32_e32 v15, v10
	v_min_u32_e32 v15, 32, v15
	v_lshrrev_b32_e32 v12, 27, v17
	v_subrev_u32_e32 v16, 28, v15
	v_and_b32_e32 v12, 15, v12
	v_lshlrev_b32_sdwa v16, v16, v17 dst_sel:DWORD dst_unused:UNUSED_PAD src0_sel:DWORD src1_sel:BYTE_3
	v_bfe_u32 v14, v17, 27, 4
	v_sub_u32_e32 v15, 29, v15
	v_and_b32_e32 v16, 7, v16
	v_cmp_eq_u16_e32 vcc, 0, v12
	v_cndmask_b32_e32 v10, v10, v16, vcc
	v_cndmask_b32_e32 v12, v14, v15, vcc
	v_mov_b32_e32 v14, 0x3b800000
	v_and_b32_e32 v11, 0x80000000, v17
	v_lshlrev_b32_e32 v10, 20, v10
	v_lshl_add_u32 v12, v12, 23, v14
	v_or3_b32 v10, v11, v12, v10
.LBB41_1148:
	s_or_b64 exec, exec, s[6:7]
	s_movk_i32 s4, 0x7f
	v_cmp_gt_i16_sdwa s[6:7], v13, s4 src0_sel:BYTE_3 src1_sel:DWORD
	s_mov_b64 s[4:5], 0
                                        ; implicit-def: $sgpr10
	s_and_saveexec_b64 s[8:9], s[6:7]
	s_xor_b64 s[6:7], exec, s[8:9]
	s_cbranch_execnz .LBB41_3197
; %bb.1149:
	s_or_saveexec_b64 s[6:7], s[6:7]
	v_mov_b32_e32 v11, s10
	s_xor_b64 exec, exec, s[6:7]
	s_cbranch_execnz .LBB41_3200
.LBB41_1150:
	s_or_b64 exec, exec, s[6:7]
	s_and_saveexec_b64 s[6:7], s[4:5]
	s_cbranch_execz .LBB41_1152
.LBB41_1151:
	v_bfe_u32 v11, v13, 24, 3
	v_ffbh_u32_e32 v16, v11
	v_min_u32_e32 v16, 32, v16
	v_lshrrev_b32_e32 v14, 27, v13
	v_subrev_u32_e32 v17, 28, v16
	v_and_b32_e32 v12, 0x80000000, v13
	v_and_b32_e32 v14, 15, v14
	v_bfe_u32 v15, v13, 27, 4
	v_lshlrev_b32_sdwa v13, v17, v13 dst_sel:DWORD dst_unused:UNUSED_PAD src0_sel:DWORD src1_sel:BYTE_3
	v_sub_u32_e32 v16, 29, v16
	v_and_b32_e32 v13, 7, v13
	v_cmp_eq_u16_e32 vcc, 0, v14
	v_cndmask_b32_e32 v11, v11, v13, vcc
	v_cndmask_b32_e32 v13, v15, v16, vcc
	v_mov_b32_e32 v14, 0x3b800000
	v_lshlrev_b32_e32 v11, 20, v11
	v_lshl_add_u32 v13, v13, 23, v14
	v_or3_b32 v11, v12, v13, v11
.LBB41_1152:
	s_or_b64 exec, exec, s[6:7]
	s_nop 0
	v_mfma_f32_16x16x4f32 a[0:3], v10, v11, a[0:3]
	s_movk_i32 s4, 0x7f
	v_cmp_gt_i16_sdwa s[6:7], v6, s4 src0_sel:BYTE_0 src1_sel:DWORD
	s_mov_b64 s[4:5], 0
                                        ; implicit-def: $sgpr10
	s_and_saveexec_b64 s[8:9], s[6:7]
	s_xor_b64 s[6:7], exec, s[8:9]
	s_cbranch_execnz .LBB41_3201
; %bb.1153:
	s_or_saveexec_b64 s[6:7], s[6:7]
	v_mov_b32_e32 v10, s10
	s_xor_b64 exec, exec, s[6:7]
	s_cbranch_execnz .LBB41_3204
.LBB41_1154:
	s_or_b64 exec, exec, s[6:7]
	s_and_saveexec_b64 s[6:7], s[4:5]
	s_cbranch_execz .LBB41_1156
.LBB41_1155:
	v_and_b32_e32 v10, 7, v6
	v_ffbh_u32_e32 v12, v10
	v_min_u32_e32 v12, 32, v12
	v_lshrrev_b16_e32 v11, 3, v6
	v_subrev_u32_e32 v13, 28, v12
	v_and_b32_e32 v11, 15, v11
	v_lshlrev_b32_e32 v13, v13, v6
	v_sub_u32_e32 v12, 29, v12
	v_and_b32_e32 v13, 7, v13
	v_cmp_eq_u16_e32 vcc, 0, v11
	v_cndmask_b32_e32 v10, v10, v13, vcc
	v_cndmask_b32_e32 v11, v11, v12, vcc
	v_lshlrev_b32_e32 v12, 24, v6
	v_mov_b32_e32 v13, 0x3b800000
	v_lshlrev_b32_e32 v10, 20, v10
	v_and_b32_e32 v12, 0x80000000, v12
	v_lshl_add_u32 v11, v11, 23, v13
	v_or3_b32 v10, v12, v11, v10
.LBB41_1156:
	s_or_b64 exec, exec, s[6:7]
	s_movk_i32 s4, 0x7f
	v_cmp_gt_i16_sdwa s[6:7], v2, s4 src0_sel:BYTE_0 src1_sel:DWORD
	s_mov_b64 s[4:5], 0
                                        ; implicit-def: $sgpr10
	s_and_saveexec_b64 s[8:9], s[6:7]
	s_xor_b64 s[6:7], exec, s[8:9]
	s_cbranch_execnz .LBB41_3205
; %bb.1157:
	s_or_saveexec_b64 s[6:7], s[6:7]
	v_mov_b32_e32 v11, s10
	s_xor_b64 exec, exec, s[6:7]
	s_cbranch_execnz .LBB41_3208
.LBB41_1158:
	s_or_b64 exec, exec, s[6:7]
	s_and_saveexec_b64 s[6:7], s[4:5]
	s_cbranch_execz .LBB41_1160
.LBB41_1159:
	v_and_b32_e32 v11, 7, v2
	v_ffbh_u32_e32 v13, v11
	v_min_u32_e32 v13, 32, v13
	v_lshrrev_b16_e32 v12, 3, v2
	v_subrev_u32_e32 v14, 28, v13
	v_and_b32_e32 v12, 15, v12
	v_lshlrev_b32_e32 v14, v14, v2
	v_sub_u32_e32 v13, 29, v13
	v_and_b32_e32 v14, 7, v14
	v_cmp_eq_u16_e32 vcc, 0, v12
	v_cndmask_b32_e32 v11, v11, v14, vcc
	v_cndmask_b32_e32 v12, v12, v13, vcc
	v_lshlrev_b32_e32 v13, 24, v2
	v_mov_b32_e32 v14, 0x3b800000
	v_lshlrev_b32_e32 v11, 20, v11
	v_and_b32_e32 v13, 0x80000000, v13
	v_lshl_add_u32 v12, v12, 23, v14
	v_or3_b32 v11, v13, v12, v11
.LBB41_1160:
	s_or_b64 exec, exec, s[6:7]
	s_nop 0
	v_mfma_f32_16x16x4f32 a[0:3], v10, v11, a[0:3]
	v_lshrrev_b32_e32 v11, 8, v6
	s_movk_i32 s4, 0x7f
	v_cmp_gt_i16_sdwa s[6:7], v11, s4 src0_sel:BYTE_0 src1_sel:DWORD
	s_mov_b64 s[4:5], 0
                                        ; implicit-def: $sgpr10
	s_and_saveexec_b64 s[8:9], s[6:7]
	s_xor_b64 s[6:7], exec, s[8:9]
	s_cbranch_execnz .LBB41_3209
; %bb.1161:
	s_or_saveexec_b64 s[6:7], s[6:7]
	v_mov_b32_e32 v10, s10
	s_xor_b64 exec, exec, s[6:7]
	s_cbranch_execnz .LBB41_3212
.LBB41_1162:
	s_or_b64 exec, exec, s[6:7]
	s_and_saveexec_b64 s[6:7], s[4:5]
	s_cbranch_execz .LBB41_1164
.LBB41_1163:
	v_bfe_u32 v10, v6, 8, 3
	v_ffbh_u32_e32 v13, v10
	v_min_u32_e32 v13, 32, v13
	v_lshrrev_b16_e32 v12, 3, v11
	v_subrev_u32_e32 v14, 28, v13
	v_and_b32_e32 v12, 15, v12
	v_lshlrev_b32_e32 v11, v14, v11
	v_sub_u32_e32 v13, 29, v13
	v_and_b32_e32 v11, 7, v11
	v_cmp_eq_u16_e32 vcc, 0, v12
	v_cndmask_b32_e32 v10, v10, v11, vcc
	v_cndmask_b32_e32 v11, v12, v13, vcc
	v_lshlrev_b32_e32 v12, 16, v6
	v_mov_b32_e32 v13, 0x3b800000
	v_lshlrev_b32_e32 v10, 20, v10
	v_and_b32_e32 v12, 0x80000000, v12
	v_lshl_add_u32 v11, v11, 23, v13
	v_or3_b32 v10, v12, v11, v10
.LBB41_1164:
	s_or_b64 exec, exec, s[6:7]
	v_lshrrev_b32_e32 v11, 8, v2
	s_movk_i32 s4, 0x7f
	v_cmp_gt_i16_sdwa s[6:7], v11, s4 src0_sel:BYTE_0 src1_sel:DWORD
	s_mov_b64 s[4:5], 0
                                        ; implicit-def: $sgpr10
	s_and_saveexec_b64 s[8:9], s[6:7]
	s_xor_b64 s[6:7], exec, s[8:9]
	s_cbranch_execnz .LBB41_3213
; %bb.1165:
	s_or_saveexec_b64 s[6:7], s[6:7]
	v_mov_b32_e32 v12, s10
	s_xor_b64 exec, exec, s[6:7]
	s_cbranch_execnz .LBB41_3216
.LBB41_1166:
	s_or_b64 exec, exec, s[6:7]
	s_and_saveexec_b64 s[6:7], s[4:5]
	s_cbranch_execz .LBB41_1168
.LBB41_1167:
	v_bfe_u32 v12, v2, 8, 3
	v_ffbh_u32_e32 v14, v12
	v_min_u32_e32 v14, 32, v14
	v_lshrrev_b16_e32 v13, 3, v11
	v_subrev_u32_e32 v15, 28, v14
	v_and_b32_e32 v13, 15, v13
	v_lshlrev_b32_e32 v11, v15, v11
	v_sub_u32_e32 v14, 29, v14
	v_and_b32_e32 v11, 7, v11
	v_cmp_eq_u16_e32 vcc, 0, v13
	v_cndmask_b32_e32 v11, v12, v11, vcc
	v_cndmask_b32_e32 v12, v13, v14, vcc
	v_lshlrev_b32_e32 v13, 16, v2
	v_mov_b32_e32 v14, 0x3b800000
	v_lshlrev_b32_e32 v11, 20, v11
	v_and_b32_e32 v13, 0x80000000, v13
	v_lshl_add_u32 v12, v12, 23, v14
	v_or3_b32 v12, v13, v12, v11
.LBB41_1168:
	s_or_b64 exec, exec, s[6:7]
	s_nop 0
	v_mfma_f32_16x16x4f32 a[0:3], v10, v12, a[0:3]
	s_movk_i32 s4, 0xff
	v_and_b32_sdwa v11, v6, s4 dst_sel:DWORD dst_unused:UNUSED_PAD src0_sel:WORD_1 src1_sel:DWORD
	s_movk_i32 s4, 0x7f
	v_cmp_lt_i16_e32 vcc, s4, v11
	s_mov_b64 s[4:5], 0
                                        ; implicit-def: $sgpr10
	s_and_saveexec_b64 s[6:7], vcc
	s_xor_b64 s[6:7], exec, s[6:7]
	s_cbranch_execnz .LBB41_3217
; %bb.1169:
	s_or_saveexec_b64 s[6:7], s[6:7]
	v_mov_b32_e32 v10, s10
	s_xor_b64 exec, exec, s[6:7]
	s_cbranch_execnz .LBB41_3220
.LBB41_1170:
	s_or_b64 exec, exec, s[6:7]
	s_and_saveexec_b64 s[6:7], s[4:5]
	s_cbranch_execz .LBB41_1172
.LBB41_1171:
	v_bfe_u32 v10, v6, 16, 3
	v_ffbh_u32_e32 v13, v10
	v_min_u32_e32 v13, 32, v13
	v_lshrrev_b32_e32 v11, 19, v6
	v_subrev_u32_e32 v14, 28, v13
	v_and_b32_e32 v11, 15, v11
	v_lshlrev_b32_sdwa v14, v14, v6 dst_sel:DWORD dst_unused:UNUSED_PAD src0_sel:DWORD src1_sel:WORD_1
	v_bfe_u32 v12, v6, 19, 4
	v_sub_u32_e32 v13, 29, v13
	v_and_b32_e32 v14, 7, v14
	v_cmp_eq_u16_e32 vcc, 0, v11
	v_cndmask_b32_e32 v10, v10, v14, vcc
	v_cndmask_b32_e32 v11, v12, v13, vcc
	v_lshlrev_b32_e32 v12, 8, v6
	v_mov_b32_e32 v13, 0x3b800000
	v_lshlrev_b32_e32 v10, 20, v10
	v_and_b32_e32 v12, 0x80000000, v12
	v_lshl_add_u32 v11, v11, 23, v13
	v_or3_b32 v10, v12, v11, v10
.LBB41_1172:
	s_or_b64 exec, exec, s[6:7]
	s_movk_i32 s4, 0xff
	v_and_b32_sdwa v11, v2, s4 dst_sel:DWORD dst_unused:UNUSED_PAD src0_sel:WORD_1 src1_sel:DWORD
	s_movk_i32 s4, 0x7f
	v_cmp_lt_i16_e32 vcc, s4, v11
	s_mov_b64 s[4:5], 0
                                        ; implicit-def: $sgpr10
	s_and_saveexec_b64 s[6:7], vcc
	s_xor_b64 s[6:7], exec, s[6:7]
	s_cbranch_execnz .LBB41_3221
; %bb.1173:
	s_or_saveexec_b64 s[6:7], s[6:7]
	v_mov_b32_e32 v12, s10
	s_xor_b64 exec, exec, s[6:7]
	s_cbranch_execnz .LBB41_3224
.LBB41_1174:
	s_or_b64 exec, exec, s[6:7]
	s_and_saveexec_b64 s[6:7], s[4:5]
	s_cbranch_execz .LBB41_1176
.LBB41_1175:
	v_bfe_u32 v11, v2, 16, 3
	v_ffbh_u32_e32 v14, v11
	v_min_u32_e32 v14, 32, v14
	v_lshrrev_b32_e32 v12, 19, v2
	v_subrev_u32_e32 v15, 28, v14
	v_and_b32_e32 v12, 15, v12
	v_lshlrev_b32_sdwa v15, v15, v2 dst_sel:DWORD dst_unused:UNUSED_PAD src0_sel:DWORD src1_sel:WORD_1
	v_bfe_u32 v13, v2, 19, 4
	v_sub_u32_e32 v14, 29, v14
	v_and_b32_e32 v15, 7, v15
	v_cmp_eq_u16_e32 vcc, 0, v12
	v_cndmask_b32_e32 v11, v11, v15, vcc
	v_cndmask_b32_e32 v12, v13, v14, vcc
	v_lshlrev_b32_e32 v13, 8, v2
	v_mov_b32_e32 v14, 0x3b800000
	v_lshlrev_b32_e32 v11, 20, v11
	v_and_b32_e32 v13, 0x80000000, v13
	v_lshl_add_u32 v12, v12, 23, v14
	v_or3_b32 v12, v13, v12, v11
.LBB41_1176:
	s_or_b64 exec, exec, s[6:7]
	s_nop 0
	v_mfma_f32_16x16x4f32 a[0:3], v10, v12, a[0:3]
	s_movk_i32 s4, 0x7f
	v_cmp_gt_i16_sdwa s[6:7], v6, s4 src0_sel:BYTE_3 src1_sel:DWORD
	s_mov_b64 s[4:5], 0
                                        ; implicit-def: $sgpr10
	s_and_saveexec_b64 s[8:9], s[6:7]
	s_xor_b64 s[6:7], exec, s[8:9]
	s_cbranch_execnz .LBB41_3225
; %bb.1177:
	s_or_saveexec_b64 s[6:7], s[6:7]
	v_mov_b32_e32 v10, s10
	s_xor_b64 exec, exec, s[6:7]
	s_cbranch_execnz .LBB41_3228
.LBB41_1178:
	s_or_b64 exec, exec, s[6:7]
	s_and_saveexec_b64 s[6:7], s[4:5]
	s_cbranch_execz .LBB41_1180
.LBB41_1179:
	v_bfe_u32 v10, v6, 24, 3
	v_ffbh_u32_e32 v14, v10
	v_min_u32_e32 v14, 32, v14
	v_lshrrev_b32_e32 v12, 27, v6
	v_subrev_u32_e32 v15, 28, v14
	v_and_b32_e32 v11, 0x80000000, v6
	v_and_b32_e32 v12, 15, v12
	v_bfe_u32 v13, v6, 27, 4
	v_lshlrev_b32_sdwa v6, v15, v6 dst_sel:DWORD dst_unused:UNUSED_PAD src0_sel:DWORD src1_sel:BYTE_3
	v_sub_u32_e32 v14, 29, v14
	v_and_b32_e32 v6, 7, v6
	v_cmp_eq_u16_e32 vcc, 0, v12
	v_cndmask_b32_e32 v6, v10, v6, vcc
	v_cndmask_b32_e32 v10, v13, v14, vcc
	v_mov_b32_e32 v12, 0x3b800000
	v_lshlrev_b32_e32 v6, 20, v6
	v_lshl_add_u32 v10, v10, 23, v12
	v_or3_b32 v10, v11, v10, v6
.LBB41_1180:
	s_or_b64 exec, exec, s[6:7]
	s_movk_i32 s4, 0x7f
	v_cmp_gt_i16_sdwa s[6:7], v2, s4 src0_sel:BYTE_3 src1_sel:DWORD
	s_mov_b64 s[4:5], 0
                                        ; implicit-def: $sgpr10
	s_and_saveexec_b64 s[8:9], s[6:7]
	s_xor_b64 s[6:7], exec, s[8:9]
	s_cbranch_execnz .LBB41_3229
; %bb.1181:
	s_or_saveexec_b64 s[6:7], s[6:7]
	v_mov_b32_e32 v6, s10
	s_xor_b64 exec, exec, s[6:7]
	s_cbranch_execnz .LBB41_3232
.LBB41_1182:
	s_or_b64 exec, exec, s[6:7]
	s_and_saveexec_b64 s[6:7], s[4:5]
	s_cbranch_execz .LBB41_1184
.LBB41_1183:
	v_bfe_u32 v6, v2, 24, 3
	v_ffbh_u32_e32 v14, v6
	v_min_u32_e32 v14, 32, v14
	v_lshrrev_b32_e32 v12, 27, v2
	v_subrev_u32_e32 v15, 28, v14
	v_and_b32_e32 v11, 0x80000000, v2
	v_and_b32_e32 v12, 15, v12
	v_bfe_u32 v13, v2, 27, 4
	v_lshlrev_b32_sdwa v2, v15, v2 dst_sel:DWORD dst_unused:UNUSED_PAD src0_sel:DWORD src1_sel:BYTE_3
	v_sub_u32_e32 v14, 29, v14
	v_and_b32_e32 v2, 7, v2
	v_cmp_eq_u16_e32 vcc, 0, v12
	v_cndmask_b32_e32 v2, v6, v2, vcc
	v_cndmask_b32_e32 v6, v13, v14, vcc
	v_mov_b32_e32 v12, 0x3b800000
	v_lshlrev_b32_e32 v2, 20, v2
	v_lshl_add_u32 v6, v6, 23, v12
	v_or3_b32 v6, v11, v6, v2
.LBB41_1184:
	s_or_b64 exec, exec, s[6:7]
	s_nop 0
	v_mfma_f32_16x16x4f32 a[0:3], v10, v6, a[0:3]
	s_movk_i32 s4, 0x7f
	v_cmp_gt_i16_sdwa s[6:7], v7, s4 src0_sel:BYTE_0 src1_sel:DWORD
	s_mov_b64 s[4:5], 0
                                        ; implicit-def: $sgpr10
	s_and_saveexec_b64 s[8:9], s[6:7]
	s_xor_b64 s[6:7], exec, s[8:9]
	s_cbranch_execnz .LBB41_3233
; %bb.1185:
	s_or_saveexec_b64 s[6:7], s[6:7]
	v_mov_b32_e32 v2, s10
	s_xor_b64 exec, exec, s[6:7]
	s_cbranch_execnz .LBB41_3236
.LBB41_1186:
	s_or_b64 exec, exec, s[6:7]
	s_and_saveexec_b64 s[6:7], s[4:5]
	s_cbranch_execz .LBB41_1188
.LBB41_1187:
	v_and_b32_e32 v2, 7, v7
	v_ffbh_u32_e32 v10, v2
	v_min_u32_e32 v10, 32, v10
	v_lshrrev_b16_e32 v6, 3, v7
	v_subrev_u32_e32 v11, 28, v10
	v_and_b32_e32 v6, 15, v6
	v_lshlrev_b32_e32 v11, v11, v7
	v_sub_u32_e32 v10, 29, v10
	v_and_b32_e32 v11, 7, v11
	v_cmp_eq_u16_e32 vcc, 0, v6
	v_cndmask_b32_e32 v2, v2, v11, vcc
	v_cndmask_b32_e32 v6, v6, v10, vcc
	v_lshlrev_b32_e32 v10, 24, v7
	v_mov_b32_e32 v11, 0x3b800000
	v_lshlrev_b32_e32 v2, 20, v2
	v_and_b32_e32 v10, 0x80000000, v10
	v_lshl_add_u32 v6, v6, 23, v11
	v_or3_b32 v2, v10, v6, v2
.LBB41_1188:
	s_or_b64 exec, exec, s[6:7]
	s_movk_i32 s4, 0x7f
	v_cmp_gt_i16_sdwa s[6:7], v3, s4 src0_sel:BYTE_0 src1_sel:DWORD
	s_mov_b64 s[4:5], 0
                                        ; implicit-def: $sgpr10
	s_and_saveexec_b64 s[8:9], s[6:7]
	s_xor_b64 s[6:7], exec, s[8:9]
	s_cbranch_execnz .LBB41_3237
; %bb.1189:
	s_or_saveexec_b64 s[6:7], s[6:7]
	v_mov_b32_e32 v6, s10
	s_xor_b64 exec, exec, s[6:7]
	s_cbranch_execnz .LBB41_3240
.LBB41_1190:
	s_or_b64 exec, exec, s[6:7]
	s_and_saveexec_b64 s[6:7], s[4:5]
	s_cbranch_execz .LBB41_1192
.LBB41_1191:
	v_and_b32_e32 v6, 7, v3
	v_ffbh_u32_e32 v11, v6
	v_min_u32_e32 v11, 32, v11
	v_lshrrev_b16_e32 v10, 3, v3
	v_subrev_u32_e32 v12, 28, v11
	v_and_b32_e32 v10, 15, v10
	v_lshlrev_b32_e32 v12, v12, v3
	v_sub_u32_e32 v11, 29, v11
	v_and_b32_e32 v12, 7, v12
	v_cmp_eq_u16_e32 vcc, 0, v10
	v_cndmask_b32_e32 v6, v6, v12, vcc
	v_cndmask_b32_e32 v10, v10, v11, vcc
	v_lshlrev_b32_e32 v11, 24, v3
	v_mov_b32_e32 v12, 0x3b800000
	v_lshlrev_b32_e32 v6, 20, v6
	v_and_b32_e32 v11, 0x80000000, v11
	v_lshl_add_u32 v10, v10, 23, v12
	v_or3_b32 v6, v11, v10, v6
.LBB41_1192:
	s_or_b64 exec, exec, s[6:7]
	s_nop 0
	v_mfma_f32_16x16x4f32 a[0:3], v2, v6, a[0:3]
	v_lshrrev_b32_e32 v6, 8, v7
	s_movk_i32 s4, 0x7f
	v_cmp_gt_i16_sdwa s[6:7], v6, s4 src0_sel:BYTE_0 src1_sel:DWORD
	s_mov_b64 s[4:5], 0
                                        ; implicit-def: $sgpr10
	s_and_saveexec_b64 s[8:9], s[6:7]
	s_xor_b64 s[6:7], exec, s[8:9]
	s_cbranch_execnz .LBB41_3241
; %bb.1193:
	s_or_saveexec_b64 s[6:7], s[6:7]
	v_mov_b32_e32 v2, s10
	s_xor_b64 exec, exec, s[6:7]
	s_cbranch_execnz .LBB41_3244
.LBB41_1194:
	s_or_b64 exec, exec, s[6:7]
	s_and_saveexec_b64 s[6:7], s[4:5]
	s_cbranch_execz .LBB41_1196
.LBB41_1195:
	v_bfe_u32 v2, v7, 8, 3
	v_ffbh_u32_e32 v11, v2
	v_min_u32_e32 v11, 32, v11
	v_lshrrev_b16_e32 v10, 3, v6
	v_subrev_u32_e32 v12, 28, v11
	v_and_b32_e32 v10, 15, v10
	v_lshlrev_b32_e32 v6, v12, v6
	v_sub_u32_e32 v11, 29, v11
	v_and_b32_e32 v6, 7, v6
	v_cmp_eq_u16_e32 vcc, 0, v10
	v_cndmask_b32_e32 v2, v2, v6, vcc
	v_cndmask_b32_e32 v6, v10, v11, vcc
	v_lshlrev_b32_e32 v10, 16, v7
	v_mov_b32_e32 v11, 0x3b800000
	v_lshlrev_b32_e32 v2, 20, v2
	v_and_b32_e32 v10, 0x80000000, v10
	v_lshl_add_u32 v6, v6, 23, v11
	v_or3_b32 v2, v10, v6, v2
.LBB41_1196:
	s_or_b64 exec, exec, s[6:7]
	v_lshrrev_b32_e32 v6, 8, v3
	s_movk_i32 s4, 0x7f
	v_cmp_gt_i16_sdwa s[6:7], v6, s4 src0_sel:BYTE_0 src1_sel:DWORD
	s_mov_b64 s[4:5], 0
                                        ; implicit-def: $sgpr10
	s_and_saveexec_b64 s[8:9], s[6:7]
	s_xor_b64 s[6:7], exec, s[8:9]
	s_cbranch_execnz .LBB41_3245
; %bb.1197:
	s_or_saveexec_b64 s[6:7], s[6:7]
	v_mov_b32_e32 v10, s10
	s_xor_b64 exec, exec, s[6:7]
	s_cbranch_execnz .LBB41_3248
.LBB41_1198:
	s_or_b64 exec, exec, s[6:7]
	s_and_saveexec_b64 s[6:7], s[4:5]
	s_cbranch_execz .LBB41_1200
.LBB41_1199:
	v_bfe_u32 v10, v3, 8, 3
	v_ffbh_u32_e32 v12, v10
	v_min_u32_e32 v12, 32, v12
	v_lshrrev_b16_e32 v11, 3, v6
	v_subrev_u32_e32 v13, 28, v12
	v_and_b32_e32 v11, 15, v11
	v_lshlrev_b32_e32 v6, v13, v6
	v_sub_u32_e32 v12, 29, v12
	v_and_b32_e32 v6, 7, v6
	v_cmp_eq_u16_e32 vcc, 0, v11
	v_cndmask_b32_e32 v6, v10, v6, vcc
	v_cndmask_b32_e32 v10, v11, v12, vcc
	v_lshlrev_b32_e32 v11, 16, v3
	v_mov_b32_e32 v12, 0x3b800000
	v_lshlrev_b32_e32 v6, 20, v6
	v_and_b32_e32 v11, 0x80000000, v11
	v_lshl_add_u32 v10, v10, 23, v12
	v_or3_b32 v10, v11, v10, v6
.LBB41_1200:
	s_or_b64 exec, exec, s[6:7]
	s_nop 0
	v_mfma_f32_16x16x4f32 a[0:3], v2, v10, a[0:3]
	s_movk_i32 s4, 0xff
	v_and_b32_sdwa v6, v7, s4 dst_sel:DWORD dst_unused:UNUSED_PAD src0_sel:WORD_1 src1_sel:DWORD
	s_movk_i32 s4, 0x7f
	v_cmp_lt_i16_e32 vcc, s4, v6
	s_mov_b64 s[4:5], 0
                                        ; implicit-def: $sgpr10
	s_and_saveexec_b64 s[6:7], vcc
	s_xor_b64 s[6:7], exec, s[6:7]
	s_cbranch_execnz .LBB41_3249
; %bb.1201:
	s_or_saveexec_b64 s[6:7], s[6:7]
	v_mov_b32_e32 v2, s10
	s_xor_b64 exec, exec, s[6:7]
	s_cbranch_execnz .LBB41_3252
.LBB41_1202:
	s_or_b64 exec, exec, s[6:7]
	s_and_saveexec_b64 s[6:7], s[4:5]
	s_cbranch_execz .LBB41_1204
.LBB41_1203:
	v_bfe_u32 v2, v7, 16, 3
	v_ffbh_u32_e32 v11, v2
	v_min_u32_e32 v11, 32, v11
	v_lshrrev_b32_e32 v6, 19, v7
	v_subrev_u32_e32 v12, 28, v11
	v_and_b32_e32 v6, 15, v6
	v_lshlrev_b32_sdwa v12, v12, v7 dst_sel:DWORD dst_unused:UNUSED_PAD src0_sel:DWORD src1_sel:WORD_1
	v_bfe_u32 v10, v7, 19, 4
	v_sub_u32_e32 v11, 29, v11
	v_and_b32_e32 v12, 7, v12
	v_cmp_eq_u16_e32 vcc, 0, v6
	v_cndmask_b32_e32 v2, v2, v12, vcc
	v_cndmask_b32_e32 v6, v10, v11, vcc
	v_lshlrev_b32_e32 v10, 8, v7
	v_mov_b32_e32 v11, 0x3b800000
	v_lshlrev_b32_e32 v2, 20, v2
	v_and_b32_e32 v10, 0x80000000, v10
	v_lshl_add_u32 v6, v6, 23, v11
	v_or3_b32 v2, v10, v6, v2
.LBB41_1204:
	s_or_b64 exec, exec, s[6:7]
	s_movk_i32 s4, 0xff
	v_and_b32_sdwa v6, v3, s4 dst_sel:DWORD dst_unused:UNUSED_PAD src0_sel:WORD_1 src1_sel:DWORD
	s_movk_i32 s4, 0x7f
	v_cmp_lt_i16_e32 vcc, s4, v6
	s_mov_b64 s[4:5], 0
                                        ; implicit-def: $sgpr10
	s_and_saveexec_b64 s[6:7], vcc
	s_xor_b64 s[6:7], exec, s[6:7]
	s_cbranch_execnz .LBB41_3253
; %bb.1205:
	s_or_saveexec_b64 s[6:7], s[6:7]
	v_mov_b32_e32 v10, s10
	s_xor_b64 exec, exec, s[6:7]
	s_cbranch_execnz .LBB41_3256
.LBB41_1206:
	s_or_b64 exec, exec, s[6:7]
	s_and_saveexec_b64 s[6:7], s[4:5]
	s_cbranch_execz .LBB41_1208
.LBB41_1207:
	v_bfe_u32 v6, v3, 16, 3
	v_ffbh_u32_e32 v12, v6
	v_min_u32_e32 v12, 32, v12
	v_lshrrev_b32_e32 v10, 19, v3
	v_subrev_u32_e32 v13, 28, v12
	v_and_b32_e32 v10, 15, v10
	v_lshlrev_b32_sdwa v13, v13, v3 dst_sel:DWORD dst_unused:UNUSED_PAD src0_sel:DWORD src1_sel:WORD_1
	v_bfe_u32 v11, v3, 19, 4
	v_sub_u32_e32 v12, 29, v12
	v_and_b32_e32 v13, 7, v13
	v_cmp_eq_u16_e32 vcc, 0, v10
	v_cndmask_b32_e32 v6, v6, v13, vcc
	v_cndmask_b32_e32 v10, v11, v12, vcc
	v_lshlrev_b32_e32 v11, 8, v3
	v_mov_b32_e32 v12, 0x3b800000
	v_lshlrev_b32_e32 v6, 20, v6
	v_and_b32_e32 v11, 0x80000000, v11
	v_lshl_add_u32 v10, v10, 23, v12
	v_or3_b32 v10, v11, v10, v6
.LBB41_1208:
	s_or_b64 exec, exec, s[6:7]
	s_nop 0
	v_mfma_f32_16x16x4f32 a[0:3], v2, v10, a[0:3]
	s_movk_i32 s4, 0x7f
	v_cmp_gt_i16_sdwa s[6:7], v7, s4 src0_sel:BYTE_3 src1_sel:DWORD
	s_mov_b64 s[4:5], 0
                                        ; implicit-def: $sgpr10
	s_and_saveexec_b64 s[8:9], s[6:7]
	s_xor_b64 s[6:7], exec, s[8:9]
	s_cbranch_execnz .LBB41_3257
; %bb.1209:
	s_or_saveexec_b64 s[6:7], s[6:7]
	v_mov_b32_e32 v2, s10
	s_xor_b64 exec, exec, s[6:7]
	s_cbranch_execnz .LBB41_3260
.LBB41_1210:
	s_or_b64 exec, exec, s[6:7]
	s_and_saveexec_b64 s[6:7], s[4:5]
	s_cbranch_execz .LBB41_1212
.LBB41_1211:
	v_bfe_u32 v2, v7, 24, 3
	v_ffbh_u32_e32 v12, v2
	v_min_u32_e32 v12, 32, v12
	v_lshrrev_b32_e32 v10, 27, v7
	v_subrev_u32_e32 v13, 28, v12
	v_and_b32_e32 v6, 0x80000000, v7
	v_and_b32_e32 v10, 15, v10
	v_bfe_u32 v11, v7, 27, 4
	v_lshlrev_b32_sdwa v7, v13, v7 dst_sel:DWORD dst_unused:UNUSED_PAD src0_sel:DWORD src1_sel:BYTE_3
	v_sub_u32_e32 v12, 29, v12
	v_and_b32_e32 v7, 7, v7
	v_cmp_eq_u16_e32 vcc, 0, v10
	v_cndmask_b32_e32 v2, v2, v7, vcc
	v_cndmask_b32_e32 v7, v11, v12, vcc
	v_mov_b32_e32 v10, 0x3b800000
	v_lshlrev_b32_e32 v2, 20, v2
	v_lshl_add_u32 v7, v7, 23, v10
	v_or3_b32 v2, v6, v7, v2
.LBB41_1212:
	s_or_b64 exec, exec, s[6:7]
	s_movk_i32 s4, 0x7f
	v_cmp_gt_i16_sdwa s[6:7], v3, s4 src0_sel:BYTE_3 src1_sel:DWORD
	s_mov_b64 s[4:5], 0
                                        ; implicit-def: $sgpr10
	s_and_saveexec_b64 s[8:9], s[6:7]
	s_xor_b64 s[6:7], exec, s[8:9]
	s_cbranch_execnz .LBB41_3261
; %bb.1213:
	s_or_saveexec_b64 s[6:7], s[6:7]
	v_mov_b32_e32 v6, s10
	s_xor_b64 exec, exec, s[6:7]
	s_cbranch_execnz .LBB41_3264
.LBB41_1214:
	s_or_b64 exec, exec, s[6:7]
	s_and_saveexec_b64 s[6:7], s[4:5]
	s_cbranch_execz .LBB41_1216
.LBB41_1215:
	v_bfe_u32 v6, v3, 24, 3
	v_ffbh_u32_e32 v12, v6
	v_min_u32_e32 v12, 32, v12
	v_lshrrev_b32_e32 v10, 27, v3
	v_subrev_u32_e32 v13, 28, v12
	v_and_b32_e32 v7, 0x80000000, v3
	v_and_b32_e32 v10, 15, v10
	v_bfe_u32 v11, v3, 27, 4
	v_lshlrev_b32_sdwa v3, v13, v3 dst_sel:DWORD dst_unused:UNUSED_PAD src0_sel:DWORD src1_sel:BYTE_3
	v_sub_u32_e32 v12, 29, v12
	v_and_b32_e32 v3, 7, v3
	v_cmp_eq_u16_e32 vcc, 0, v10
	v_cndmask_b32_e32 v3, v6, v3, vcc
	v_cndmask_b32_e32 v6, v11, v12, vcc
	v_mov_b32_e32 v10, 0x3b800000
	v_lshlrev_b32_e32 v3, 20, v3
	v_lshl_add_u32 v6, v6, 23, v10
	v_or3_b32 v6, v7, v6, v3
.LBB41_1216:
	s_or_b64 exec, exec, s[6:7]
	s_nop 0
	v_mfma_f32_16x16x4f32 a[0:3], v2, v6, a[0:3]
	s_movk_i32 s4, 0x7f
	v_cmp_gt_i16_sdwa s[6:7], v8, s4 src0_sel:BYTE_0 src1_sel:DWORD
	s_mov_b64 s[4:5], 0
                                        ; implicit-def: $sgpr10
	s_and_saveexec_b64 s[8:9], s[6:7]
	s_xor_b64 s[6:7], exec, s[8:9]
	s_cbranch_execnz .LBB41_3265
; %bb.1217:
	s_or_saveexec_b64 s[6:7], s[6:7]
	v_mov_b32_e32 v2, s10
	s_xor_b64 exec, exec, s[6:7]
	s_cbranch_execnz .LBB41_3268
.LBB41_1218:
	s_or_b64 exec, exec, s[6:7]
	s_and_saveexec_b64 s[6:7], s[4:5]
	s_cbranch_execz .LBB41_1220
.LBB41_1219:
	v_and_b32_e32 v2, 7, v8
	v_ffbh_u32_e32 v6, v2
	v_min_u32_e32 v6, 32, v6
	v_lshrrev_b16_e32 v3, 3, v8
	v_subrev_u32_e32 v7, 28, v6
	v_and_b32_e32 v3, 15, v3
	v_lshlrev_b32_e32 v7, v7, v8
	v_sub_u32_e32 v6, 29, v6
	v_and_b32_e32 v7, 7, v7
	v_cmp_eq_u16_e32 vcc, 0, v3
	v_cndmask_b32_e32 v2, v2, v7, vcc
	v_cndmask_b32_e32 v3, v3, v6, vcc
	v_lshlrev_b32_e32 v6, 24, v8
	v_mov_b32_e32 v7, 0x3b800000
	v_lshlrev_b32_e32 v2, 20, v2
	v_and_b32_e32 v6, 0x80000000, v6
	v_lshl_add_u32 v3, v3, 23, v7
	v_or3_b32 v2, v6, v3, v2
.LBB41_1220:
	s_or_b64 exec, exec, s[6:7]
	s_movk_i32 s4, 0x7f
	v_cmp_gt_i16_sdwa s[6:7], v4, s4 src0_sel:BYTE_0 src1_sel:DWORD
	s_mov_b64 s[4:5], 0
                                        ; implicit-def: $sgpr10
	s_and_saveexec_b64 s[8:9], s[6:7]
	s_xor_b64 s[6:7], exec, s[8:9]
	s_cbranch_execnz .LBB41_3269
; %bb.1221:
	s_or_saveexec_b64 s[6:7], s[6:7]
	v_mov_b32_e32 v3, s10
	s_xor_b64 exec, exec, s[6:7]
	s_cbranch_execnz .LBB41_3272
.LBB41_1222:
	s_or_b64 exec, exec, s[6:7]
	s_and_saveexec_b64 s[6:7], s[4:5]
	s_cbranch_execz .LBB41_1224
.LBB41_1223:
	v_and_b32_e32 v3, 7, v4
	v_ffbh_u32_e32 v7, v3
	v_min_u32_e32 v7, 32, v7
	v_lshrrev_b16_e32 v6, 3, v4
	v_subrev_u32_e32 v10, 28, v7
	v_and_b32_e32 v6, 15, v6
	v_lshlrev_b32_e32 v10, v10, v4
	v_sub_u32_e32 v7, 29, v7
	v_and_b32_e32 v10, 7, v10
	v_cmp_eq_u16_e32 vcc, 0, v6
	v_cndmask_b32_e32 v3, v3, v10, vcc
	v_cndmask_b32_e32 v6, v6, v7, vcc
	v_lshlrev_b32_e32 v7, 24, v4
	v_mov_b32_e32 v10, 0x3b800000
	v_lshlrev_b32_e32 v3, 20, v3
	v_and_b32_e32 v7, 0x80000000, v7
	v_lshl_add_u32 v6, v6, 23, v10
	v_or3_b32 v3, v7, v6, v3
.LBB41_1224:
	s_or_b64 exec, exec, s[6:7]
	s_nop 0
	v_mfma_f32_16x16x4f32 a[0:3], v2, v3, a[0:3]
	v_lshrrev_b32_e32 v3, 8, v8
	s_movk_i32 s4, 0x7f
	v_cmp_gt_i16_sdwa s[6:7], v3, s4 src0_sel:BYTE_0 src1_sel:DWORD
	s_mov_b64 s[4:5], 0
                                        ; implicit-def: $sgpr10
	s_and_saveexec_b64 s[8:9], s[6:7]
	s_xor_b64 s[6:7], exec, s[8:9]
	s_cbranch_execnz .LBB41_3273
; %bb.1225:
	s_or_saveexec_b64 s[6:7], s[6:7]
	v_mov_b32_e32 v2, s10
	s_xor_b64 exec, exec, s[6:7]
	s_cbranch_execnz .LBB41_3276
.LBB41_1226:
	s_or_b64 exec, exec, s[6:7]
	s_and_saveexec_b64 s[6:7], s[4:5]
	s_cbranch_execz .LBB41_1228
.LBB41_1227:
	v_bfe_u32 v2, v8, 8, 3
	v_ffbh_u32_e32 v7, v2
	v_min_u32_e32 v7, 32, v7
	v_lshrrev_b16_e32 v6, 3, v3
	v_subrev_u32_e32 v10, 28, v7
	v_and_b32_e32 v6, 15, v6
	v_lshlrev_b32_e32 v3, v10, v3
	v_sub_u32_e32 v7, 29, v7
	v_and_b32_e32 v3, 7, v3
	v_cmp_eq_u16_e32 vcc, 0, v6
	v_cndmask_b32_e32 v2, v2, v3, vcc
	v_cndmask_b32_e32 v3, v6, v7, vcc
	v_lshlrev_b32_e32 v6, 16, v8
	v_mov_b32_e32 v7, 0x3b800000
	v_lshlrev_b32_e32 v2, 20, v2
	v_and_b32_e32 v6, 0x80000000, v6
	v_lshl_add_u32 v3, v3, 23, v7
	v_or3_b32 v2, v6, v3, v2
.LBB41_1228:
	s_or_b64 exec, exec, s[6:7]
	v_lshrrev_b32_e32 v3, 8, v4
	s_movk_i32 s4, 0x7f
	v_cmp_gt_i16_sdwa s[6:7], v3, s4 src0_sel:BYTE_0 src1_sel:DWORD
	s_mov_b64 s[4:5], 0
                                        ; implicit-def: $sgpr10
	s_and_saveexec_b64 s[8:9], s[6:7]
	s_xor_b64 s[6:7], exec, s[8:9]
	s_cbranch_execnz .LBB41_3277
; %bb.1229:
	s_or_saveexec_b64 s[6:7], s[6:7]
	v_mov_b32_e32 v6, s10
	s_xor_b64 exec, exec, s[6:7]
	s_cbranch_execnz .LBB41_3280
.LBB41_1230:
	s_or_b64 exec, exec, s[6:7]
	s_and_saveexec_b64 s[6:7], s[4:5]
	s_cbranch_execz .LBB41_1232
.LBB41_1231:
	v_bfe_u32 v6, v4, 8, 3
	v_ffbh_u32_e32 v10, v6
	v_min_u32_e32 v10, 32, v10
	v_lshrrev_b16_e32 v7, 3, v3
	v_subrev_u32_e32 v11, 28, v10
	v_and_b32_e32 v7, 15, v7
	v_lshlrev_b32_e32 v3, v11, v3
	v_sub_u32_e32 v10, 29, v10
	v_and_b32_e32 v3, 7, v3
	v_cmp_eq_u16_e32 vcc, 0, v7
	v_cndmask_b32_e32 v3, v6, v3, vcc
	v_cndmask_b32_e32 v6, v7, v10, vcc
	v_lshlrev_b32_e32 v7, 16, v4
	v_mov_b32_e32 v10, 0x3b800000
	v_lshlrev_b32_e32 v3, 20, v3
	v_and_b32_e32 v7, 0x80000000, v7
	v_lshl_add_u32 v6, v6, 23, v10
	v_or3_b32 v6, v7, v6, v3
.LBB41_1232:
	s_or_b64 exec, exec, s[6:7]
	s_nop 0
	v_mfma_f32_16x16x4f32 a[0:3], v2, v6, a[0:3]
	s_movk_i32 s4, 0xff
	v_and_b32_sdwa v3, v8, s4 dst_sel:DWORD dst_unused:UNUSED_PAD src0_sel:WORD_1 src1_sel:DWORD
	s_movk_i32 s4, 0x7f
	v_cmp_lt_i16_e32 vcc, s4, v3
	s_mov_b64 s[4:5], 0
                                        ; implicit-def: $sgpr10
	s_and_saveexec_b64 s[6:7], vcc
	s_xor_b64 s[6:7], exec, s[6:7]
	s_cbranch_execnz .LBB41_3281
; %bb.1233:
	s_or_saveexec_b64 s[6:7], s[6:7]
	v_mov_b32_e32 v2, s10
	s_xor_b64 exec, exec, s[6:7]
	s_cbranch_execnz .LBB41_3284
.LBB41_1234:
	s_or_b64 exec, exec, s[6:7]
	s_and_saveexec_b64 s[6:7], s[4:5]
	s_cbranch_execz .LBB41_1236
.LBB41_1235:
	v_bfe_u32 v2, v8, 16, 3
	v_ffbh_u32_e32 v7, v2
	v_min_u32_e32 v7, 32, v7
	v_lshrrev_b32_e32 v3, 19, v8
	v_subrev_u32_e32 v10, 28, v7
	v_and_b32_e32 v3, 15, v3
	v_lshlrev_b32_sdwa v10, v10, v8 dst_sel:DWORD dst_unused:UNUSED_PAD src0_sel:DWORD src1_sel:WORD_1
	v_bfe_u32 v6, v8, 19, 4
	v_sub_u32_e32 v7, 29, v7
	v_and_b32_e32 v10, 7, v10
	v_cmp_eq_u16_e32 vcc, 0, v3
	v_cndmask_b32_e32 v2, v2, v10, vcc
	v_cndmask_b32_e32 v3, v6, v7, vcc
	v_lshlrev_b32_e32 v6, 8, v8
	v_mov_b32_e32 v7, 0x3b800000
	v_lshlrev_b32_e32 v2, 20, v2
	v_and_b32_e32 v6, 0x80000000, v6
	v_lshl_add_u32 v3, v3, 23, v7
	v_or3_b32 v2, v6, v3, v2
.LBB41_1236:
	s_or_b64 exec, exec, s[6:7]
	s_movk_i32 s4, 0xff
	v_and_b32_sdwa v3, v4, s4 dst_sel:DWORD dst_unused:UNUSED_PAD src0_sel:WORD_1 src1_sel:DWORD
	s_movk_i32 s4, 0x7f
	v_cmp_lt_i16_e32 vcc, s4, v3
	s_mov_b64 s[4:5], 0
                                        ; implicit-def: $sgpr10
	s_and_saveexec_b64 s[6:7], vcc
	s_xor_b64 s[6:7], exec, s[6:7]
	s_cbranch_execnz .LBB41_3285
; %bb.1237:
	s_or_saveexec_b64 s[6:7], s[6:7]
	v_mov_b32_e32 v6, s10
	s_xor_b64 exec, exec, s[6:7]
	s_cbranch_execnz .LBB41_3288
.LBB41_1238:
	s_or_b64 exec, exec, s[6:7]
	s_and_saveexec_b64 s[6:7], s[4:5]
	s_cbranch_execz .LBB41_1240
.LBB41_1239:
	v_bfe_u32 v3, v4, 16, 3
	v_ffbh_u32_e32 v10, v3
	v_min_u32_e32 v10, 32, v10
	v_lshrrev_b32_e32 v6, 19, v4
	v_subrev_u32_e32 v11, 28, v10
	v_and_b32_e32 v6, 15, v6
	v_lshlrev_b32_sdwa v11, v11, v4 dst_sel:DWORD dst_unused:UNUSED_PAD src0_sel:DWORD src1_sel:WORD_1
	v_bfe_u32 v7, v4, 19, 4
	v_sub_u32_e32 v10, 29, v10
	v_and_b32_e32 v11, 7, v11
	v_cmp_eq_u16_e32 vcc, 0, v6
	v_cndmask_b32_e32 v3, v3, v11, vcc
	v_cndmask_b32_e32 v6, v7, v10, vcc
	v_lshlrev_b32_e32 v7, 8, v4
	v_mov_b32_e32 v10, 0x3b800000
	v_lshlrev_b32_e32 v3, 20, v3
	v_and_b32_e32 v7, 0x80000000, v7
	v_lshl_add_u32 v6, v6, 23, v10
	v_or3_b32 v6, v7, v6, v3
.LBB41_1240:
	s_or_b64 exec, exec, s[6:7]
	s_nop 0
	v_mfma_f32_16x16x4f32 a[0:3], v2, v6, a[0:3]
	s_movk_i32 s4, 0x7f
	v_cmp_gt_i16_sdwa s[6:7], v8, s4 src0_sel:BYTE_3 src1_sel:DWORD
	s_mov_b64 s[4:5], 0
                                        ; implicit-def: $sgpr10
	s_and_saveexec_b64 s[8:9], s[6:7]
	s_xor_b64 s[6:7], exec, s[8:9]
	s_cbranch_execnz .LBB41_3289
; %bb.1241:
	s_or_saveexec_b64 s[6:7], s[6:7]
	v_mov_b32_e32 v2, s10
	s_xor_b64 exec, exec, s[6:7]
	s_cbranch_execnz .LBB41_3292
.LBB41_1242:
	s_or_b64 exec, exec, s[6:7]
	s_and_saveexec_b64 s[6:7], s[4:5]
	s_cbranch_execz .LBB41_1244
.LBB41_1243:
	v_bfe_u32 v2, v8, 24, 3
	v_ffbh_u32_e32 v10, v2
	v_min_u32_e32 v10, 32, v10
	v_lshrrev_b32_e32 v6, 27, v8
	v_subrev_u32_e32 v11, 28, v10
	v_and_b32_e32 v3, 0x80000000, v8
	v_and_b32_e32 v6, 15, v6
	v_bfe_u32 v7, v8, 27, 4
	v_lshlrev_b32_sdwa v8, v11, v8 dst_sel:DWORD dst_unused:UNUSED_PAD src0_sel:DWORD src1_sel:BYTE_3
	v_sub_u32_e32 v10, 29, v10
	v_and_b32_e32 v8, 7, v8
	v_cmp_eq_u16_e32 vcc, 0, v6
	v_cndmask_b32_e32 v2, v2, v8, vcc
	v_cndmask_b32_e32 v6, v7, v10, vcc
	v_mov_b32_e32 v7, 0x3b800000
	v_lshlrev_b32_e32 v2, 20, v2
	v_lshl_add_u32 v6, v6, 23, v7
	v_or3_b32 v2, v3, v6, v2
.LBB41_1244:
	s_or_b64 exec, exec, s[6:7]
	s_movk_i32 s4, 0x7f
	v_cmp_gt_i16_sdwa s[6:7], v4, s4 src0_sel:BYTE_3 src1_sel:DWORD
	s_mov_b64 s[4:5], 0
                                        ; implicit-def: $sgpr10
	s_and_saveexec_b64 s[8:9], s[6:7]
	s_xor_b64 s[6:7], exec, s[8:9]
	s_cbranch_execnz .LBB41_3293
; %bb.1245:
	s_or_saveexec_b64 s[6:7], s[6:7]
	v_mov_b32_e32 v3, s10
	s_xor_b64 exec, exec, s[6:7]
	s_cbranch_execnz .LBB41_3296
.LBB41_1246:
	s_or_b64 exec, exec, s[6:7]
	s_and_saveexec_b64 s[6:7], s[4:5]
	s_cbranch_execz .LBB41_1248
.LBB41_1247:
	v_bfe_u32 v3, v4, 24, 3
	v_ffbh_u32_e32 v10, v3
	v_min_u32_e32 v10, 32, v10
	v_lshrrev_b32_e32 v7, 27, v4
	v_subrev_u32_e32 v11, 28, v10
	v_and_b32_e32 v6, 0x80000000, v4
	v_and_b32_e32 v7, 15, v7
	v_bfe_u32 v8, v4, 27, 4
	v_lshlrev_b32_sdwa v4, v11, v4 dst_sel:DWORD dst_unused:UNUSED_PAD src0_sel:DWORD src1_sel:BYTE_3
	v_sub_u32_e32 v10, 29, v10
	v_and_b32_e32 v4, 7, v4
	v_cmp_eq_u16_e32 vcc, 0, v7
	v_cndmask_b32_e32 v3, v3, v4, vcc
	v_cndmask_b32_e32 v4, v8, v10, vcc
	v_mov_b32_e32 v7, 0x3b800000
	v_lshlrev_b32_e32 v3, 20, v3
	v_lshl_add_u32 v4, v4, 23, v7
	v_or3_b32 v3, v6, v4, v3
.LBB41_1248:
	s_or_b64 exec, exec, s[6:7]
	s_nop 0
	v_mfma_f32_16x16x4f32 a[0:3], v2, v3, a[0:3]
	s_movk_i32 s4, 0x7f
	v_cmp_gt_i16_sdwa s[6:7], v9, s4 src0_sel:BYTE_0 src1_sel:DWORD
	s_mov_b64 s[4:5], 0
                                        ; implicit-def: $sgpr10
	s_and_saveexec_b64 s[8:9], s[6:7]
	s_xor_b64 s[6:7], exec, s[8:9]
	s_cbranch_execnz .LBB41_3297
; %bb.1249:
	s_or_saveexec_b64 s[6:7], s[6:7]
	v_mov_b32_e32 v2, s10
	s_xor_b64 exec, exec, s[6:7]
	s_cbranch_execnz .LBB41_3300
.LBB41_1250:
	s_or_b64 exec, exec, s[6:7]
	s_and_saveexec_b64 s[6:7], s[4:5]
	s_cbranch_execz .LBB41_1252
.LBB41_1251:
	v_mov_b32_e32 v2, 8
	v_and_b32_e32 v3, 7, v9
	v_lshrrev_b32_sdwa v2, v2, v9 dst_sel:BYTE_1 dst_unused:UNUSED_PAD src0_sel:DWORD src1_sel:DWORD
	v_ffbh_u32_e32 v4, v3
	v_or_b32_sdwa v2, v9, v2 dst_sel:DWORD dst_unused:UNUSED_PAD src0_sel:BYTE_0 src1_sel:DWORD
	v_min_u32_e32 v4, 32, v4
	v_lshrrev_b16_e32 v2, 3, v2
	v_subrev_u32_e32 v6, 28, v4
	v_and_b32_e32 v2, 15, v2
	v_lshlrev_b32_e32 v6, v6, v9
	v_sub_u32_e32 v4, 29, v4
	v_and_b32_e32 v6, 7, v6
	v_cmp_eq_u16_e32 vcc, 0, v2
	v_cndmask_b32_e32 v3, v3, v6, vcc
	v_cndmask_b32_e32 v2, v2, v4, vcc
	v_lshlrev_b32_e32 v4, 24, v9
	v_mov_b32_e32 v6, 0x3b800000
	v_lshlrev_b32_e32 v3, 20, v3
	v_and_b32_e32 v4, 0x80000000, v4
	v_lshl_add_u32 v2, v2, 23, v6
	v_or3_b32 v2, v4, v2, v3
.LBB41_1252:
	s_or_b64 exec, exec, s[6:7]
	s_movk_i32 s4, 0x7f
	v_cmp_gt_i16_sdwa s[6:7], v5, s4 src0_sel:BYTE_0 src1_sel:DWORD
	s_mov_b64 s[4:5], 0
                                        ; implicit-def: $sgpr10
	s_and_saveexec_b64 s[8:9], s[6:7]
	s_xor_b64 s[6:7], exec, s[8:9]
	s_cbranch_execnz .LBB41_3301
; %bb.1253:
	s_or_saveexec_b64 s[6:7], s[6:7]
	v_mov_b32_e32 v3, s10
	s_xor_b64 exec, exec, s[6:7]
	s_cbranch_execnz .LBB41_3304
.LBB41_1254:
	s_or_b64 exec, exec, s[6:7]
	s_and_saveexec_b64 s[6:7], s[4:5]
	s_cbranch_execz .LBB41_1256
.LBB41_1255:
	v_mov_b32_e32 v3, 8
	v_and_b32_e32 v4, 7, v5
	v_lshrrev_b32_sdwa v3, v3, v5 dst_sel:BYTE_1 dst_unused:UNUSED_PAD src0_sel:DWORD src1_sel:DWORD
	v_ffbh_u32_e32 v6, v4
	v_or_b32_sdwa v3, v5, v3 dst_sel:DWORD dst_unused:UNUSED_PAD src0_sel:BYTE_0 src1_sel:DWORD
	v_min_u32_e32 v6, 32, v6
	v_lshrrev_b16_e32 v3, 3, v3
	v_subrev_u32_e32 v7, 28, v6
	v_and_b32_e32 v3, 15, v3
	v_lshlrev_b32_e32 v7, v7, v5
	v_sub_u32_e32 v6, 29, v6
	v_and_b32_e32 v7, 7, v7
	v_cmp_eq_u16_e32 vcc, 0, v3
	v_cndmask_b32_e32 v4, v4, v7, vcc
	v_cndmask_b32_e32 v3, v3, v6, vcc
	v_lshlrev_b32_e32 v6, 24, v5
	v_mov_b32_e32 v7, 0x3b800000
	v_lshlrev_b32_e32 v4, 20, v4
	v_and_b32_e32 v6, 0x80000000, v6
	v_lshl_add_u32 v3, v3, 23, v7
	v_or3_b32 v3, v6, v3, v4
.LBB41_1256:
	s_or_b64 exec, exec, s[6:7]
	s_nop 0
	v_mfma_f32_16x16x4f32 a[0:3], v2, v3, a[0:3]
	v_lshrrev_b32_e32 v3, 8, v9
	s_movk_i32 s4, 0x7f
	v_cmp_gt_i16_sdwa s[6:7], v3, s4 src0_sel:BYTE_0 src1_sel:DWORD
	s_mov_b64 s[4:5], 0
                                        ; implicit-def: $sgpr10
	s_and_saveexec_b64 s[8:9], s[6:7]
	s_xor_b64 s[6:7], exec, s[8:9]
	s_cbranch_execnz .LBB41_3305
; %bb.1257:
	s_or_saveexec_b64 s[6:7], s[6:7]
	v_mov_b32_e32 v2, s10
	s_xor_b64 exec, exec, s[6:7]
	s_cbranch_execnz .LBB41_3308
.LBB41_1258:
	s_or_b64 exec, exec, s[6:7]
	s_and_saveexec_b64 s[6:7], s[4:5]
	s_cbranch_execz .LBB41_1260
.LBB41_1259:
	v_bfe_u32 v2, v9, 8, 3
	v_ffbh_u32_e32 v6, v2
	v_min_u32_e32 v6, 32, v6
	v_lshrrev_b16_e32 v4, 3, v3
	v_subrev_u32_e32 v7, 28, v6
	v_and_b32_e32 v4, 15, v4
	v_lshlrev_b32_e32 v3, v7, v3
	v_sub_u32_e32 v6, 29, v6
	v_and_b32_e32 v3, 7, v3
	v_cmp_eq_u16_e32 vcc, 0, v4
	v_cndmask_b32_e32 v2, v2, v3, vcc
	v_cndmask_b32_e32 v3, v4, v6, vcc
	v_lshlrev_b32_e32 v4, 16, v9
	v_mov_b32_e32 v6, 0x3b800000
	v_lshlrev_b32_e32 v2, 20, v2
	v_and_b32_e32 v4, 0x80000000, v4
	v_lshl_add_u32 v3, v3, 23, v6
	v_or3_b32 v2, v4, v3, v2
.LBB41_1260:
	s_or_b64 exec, exec, s[6:7]
	v_lshrrev_b32_e32 v3, 8, v5
	s_movk_i32 s4, 0x7f
	v_cmp_gt_i16_sdwa s[6:7], v3, s4 src0_sel:BYTE_0 src1_sel:DWORD
	s_mov_b64 s[4:5], 0
                                        ; implicit-def: $sgpr10
	s_and_saveexec_b64 s[8:9], s[6:7]
	s_xor_b64 s[6:7], exec, s[8:9]
	s_cbranch_execnz .LBB41_3309
; %bb.1261:
	s_or_saveexec_b64 s[6:7], s[6:7]
	v_mov_b32_e32 v4, s10
	s_xor_b64 exec, exec, s[6:7]
	s_cbranch_execnz .LBB41_3312
.LBB41_1262:
	s_or_b64 exec, exec, s[6:7]
	s_and_saveexec_b64 s[6:7], s[4:5]
	s_cbranch_execz .LBB41_1264
.LBB41_1263:
	v_bfe_u32 v4, v5, 8, 3
	v_ffbh_u32_e32 v7, v4
	v_min_u32_e32 v7, 32, v7
	v_lshrrev_b16_e32 v6, 3, v3
	v_subrev_u32_e32 v8, 28, v7
	v_and_b32_e32 v6, 15, v6
	v_lshlrev_b32_e32 v3, v8, v3
	v_sub_u32_e32 v7, 29, v7
	v_and_b32_e32 v3, 7, v3
	v_cmp_eq_u16_e32 vcc, 0, v6
	v_cndmask_b32_e32 v3, v4, v3, vcc
	v_cndmask_b32_e32 v4, v6, v7, vcc
	v_lshlrev_b32_e32 v6, 16, v5
	v_mov_b32_e32 v7, 0x3b800000
	v_lshlrev_b32_e32 v3, 20, v3
	v_and_b32_e32 v6, 0x80000000, v6
	v_lshl_add_u32 v4, v4, 23, v7
	v_or3_b32 v4, v6, v4, v3
.LBB41_1264:
	s_or_b64 exec, exec, s[6:7]
	s_nop 0
	v_mfma_f32_16x16x4f32 a[0:3], v2, v4, a[0:3]
	s_movk_i32 s4, 0xff
	v_and_b32_sdwa v3, v9, s4 dst_sel:DWORD dst_unused:UNUSED_PAD src0_sel:WORD_1 src1_sel:DWORD
	s_movk_i32 s4, 0x7f
	v_cmp_lt_i16_e32 vcc, s4, v3
	s_mov_b64 s[4:5], 0
                                        ; implicit-def: $sgpr10
	s_and_saveexec_b64 s[6:7], vcc
	s_xor_b64 s[6:7], exec, s[6:7]
	s_cbranch_execnz .LBB41_3313
; %bb.1265:
	s_or_saveexec_b64 s[6:7], s[6:7]
	v_mov_b32_e32 v2, s10
	s_xor_b64 exec, exec, s[6:7]
	s_cbranch_execnz .LBB41_3316
.LBB41_1266:
	s_or_b64 exec, exec, s[6:7]
	s_and_saveexec_b64 s[6:7], s[4:5]
	s_cbranch_execz .LBB41_1268
.LBB41_1267:
	v_bfe_u32 v2, v9, 16, 3
	v_ffbh_u32_e32 v6, v2
	v_min_u32_e32 v6, 32, v6
	v_lshrrev_b32_e32 v3, 19, v9
	v_subrev_u32_e32 v7, 28, v6
	v_and_b32_e32 v3, 15, v3
	v_lshlrev_b32_sdwa v7, v7, v9 dst_sel:DWORD dst_unused:UNUSED_PAD src0_sel:DWORD src1_sel:WORD_1
	v_bfe_u32 v4, v9, 19, 4
	v_sub_u32_e32 v6, 29, v6
	v_and_b32_e32 v7, 7, v7
	v_cmp_eq_u16_e32 vcc, 0, v3
	v_cndmask_b32_e32 v2, v2, v7, vcc
	v_cndmask_b32_e32 v3, v4, v6, vcc
	v_lshlrev_b32_e32 v4, 8, v9
	v_mov_b32_e32 v6, 0x3b800000
	v_lshlrev_b32_e32 v2, 20, v2
	v_and_b32_e32 v4, 0x80000000, v4
	v_lshl_add_u32 v3, v3, 23, v6
	v_or3_b32 v2, v4, v3, v2
.LBB41_1268:
	s_or_b64 exec, exec, s[6:7]
	s_movk_i32 s4, 0xff
	v_and_b32_sdwa v3, v5, s4 dst_sel:DWORD dst_unused:UNUSED_PAD src0_sel:WORD_1 src1_sel:DWORD
	s_movk_i32 s4, 0x7f
	v_cmp_lt_i16_e32 vcc, s4, v3
	s_mov_b64 s[4:5], 0
                                        ; implicit-def: $sgpr10
	s_and_saveexec_b64 s[6:7], vcc
	s_xor_b64 s[6:7], exec, s[6:7]
	s_cbranch_execnz .LBB41_3317
; %bb.1269:
	s_or_saveexec_b64 s[6:7], s[6:7]
	v_mov_b32_e32 v4, s10
	s_xor_b64 exec, exec, s[6:7]
	s_cbranch_execnz .LBB41_3320
.LBB41_1270:
	s_or_b64 exec, exec, s[6:7]
	s_and_saveexec_b64 s[6:7], s[4:5]
	s_cbranch_execz .LBB41_1272
.LBB41_1271:
	v_bfe_u32 v3, v5, 16, 3
	v_ffbh_u32_e32 v7, v3
	v_min_u32_e32 v7, 32, v7
	v_lshrrev_b32_e32 v4, 19, v5
	v_subrev_u32_e32 v8, 28, v7
	v_and_b32_e32 v4, 15, v4
	v_lshlrev_b32_sdwa v8, v8, v5 dst_sel:DWORD dst_unused:UNUSED_PAD src0_sel:DWORD src1_sel:WORD_1
	v_bfe_u32 v6, v5, 19, 4
	v_sub_u32_e32 v7, 29, v7
	v_and_b32_e32 v8, 7, v8
	v_cmp_eq_u16_e32 vcc, 0, v4
	v_cndmask_b32_e32 v3, v3, v8, vcc
	v_cndmask_b32_e32 v4, v6, v7, vcc
	v_lshlrev_b32_e32 v6, 8, v5
	v_mov_b32_e32 v7, 0x3b800000
	v_lshlrev_b32_e32 v3, 20, v3
	v_and_b32_e32 v6, 0x80000000, v6
	v_lshl_add_u32 v4, v4, 23, v7
	v_or3_b32 v4, v6, v4, v3
.LBB41_1272:
	s_or_b64 exec, exec, s[6:7]
	s_nop 0
	v_mfma_f32_16x16x4f32 a[0:3], v2, v4, a[0:3]
	s_movk_i32 s4, 0x7f
	v_cmp_gt_i16_sdwa s[6:7], v9, s4 src0_sel:BYTE_3 src1_sel:DWORD
	s_mov_b64 s[4:5], 0
                                        ; implicit-def: $sgpr10
	s_and_saveexec_b64 s[8:9], s[6:7]
	s_xor_b64 s[6:7], exec, s[8:9]
	s_cbranch_execnz .LBB41_3321
; %bb.1273:
	s_or_saveexec_b64 s[6:7], s[6:7]
	v_mov_b32_e32 v2, s10
	s_xor_b64 exec, exec, s[6:7]
	s_cbranch_execnz .LBB41_3324
.LBB41_1274:
	s_or_b64 exec, exec, s[6:7]
	s_and_saveexec_b64 s[6:7], s[4:5]
	s_cbranch_execz .LBB41_1276
.LBB41_1275:
	v_bfe_u32 v2, v9, 24, 3
	v_ffbh_u32_e32 v7, v2
	v_min_u32_e32 v7, 32, v7
	v_lshrrev_b32_e32 v4, 27, v9
	v_subrev_u32_e32 v8, 28, v7
	v_and_b32_e32 v4, 15, v4
	v_lshlrev_b32_sdwa v8, v8, v9 dst_sel:DWORD dst_unused:UNUSED_PAD src0_sel:DWORD src1_sel:BYTE_3
	v_bfe_u32 v6, v9, 27, 4
	v_sub_u32_e32 v7, 29, v7
	v_and_b32_e32 v8, 7, v8
	v_cmp_eq_u16_e32 vcc, 0, v4
	v_cndmask_b32_e32 v2, v2, v8, vcc
	v_cndmask_b32_e32 v4, v6, v7, vcc
	v_mov_b32_e32 v6, 0x3b800000
	v_and_b32_e32 v3, 0x80000000, v9
	v_lshlrev_b32_e32 v2, 20, v2
	v_lshl_add_u32 v4, v4, 23, v6
	v_or3_b32 v2, v3, v4, v2
.LBB41_1276:
	s_or_b64 exec, exec, s[6:7]
	s_movk_i32 s4, 0x7f
	v_cmp_gt_i16_sdwa s[6:7], v5, s4 src0_sel:BYTE_3 src1_sel:DWORD
	s_mov_b64 s[4:5], 0
                                        ; implicit-def: $sgpr10
	s_and_saveexec_b64 s[8:9], s[6:7]
	s_xor_b64 s[6:7], exec, s[8:9]
	s_cbranch_execnz .LBB41_3325
; %bb.1277:
	s_or_saveexec_b64 s[6:7], s[6:7]
	v_mov_b32_e32 v3, s10
	s_xor_b64 exec, exec, s[6:7]
	s_cbranch_execnz .LBB41_3328
.LBB41_1278:
	s_or_b64 exec, exec, s[6:7]
	s_and_saveexec_b64 s[6:7], s[4:5]
	s_cbranch_execz .LBB41_1280
.LBB41_1279:
	v_bfe_u32 v3, v5, 24, 3
	v_ffbh_u32_e32 v8, v3
	v_min_u32_e32 v8, 32, v8
	v_lshrrev_b32_e32 v6, 27, v5
	v_subrev_u32_e32 v9, 28, v8
	v_and_b32_e32 v4, 0x80000000, v5
	v_and_b32_e32 v6, 15, v6
	v_bfe_u32 v7, v5, 27, 4
	v_lshlrev_b32_sdwa v5, v9, v5 dst_sel:DWORD dst_unused:UNUSED_PAD src0_sel:DWORD src1_sel:BYTE_3
	v_sub_u32_e32 v8, 29, v8
	v_and_b32_e32 v5, 7, v5
	v_cmp_eq_u16_e32 vcc, 0, v6
	v_cndmask_b32_e32 v3, v3, v5, vcc
	v_cndmask_b32_e32 v5, v7, v8, vcc
	v_mov_b32_e32 v6, 0x3b800000
	v_lshlrev_b32_e32 v3, 20, v3
	v_lshl_add_u32 v5, v5, 23, v6
	v_or3_b32 v3, v4, v5, v3
.LBB41_1280:
	s_or_b64 exec, exec, s[6:7]
	s_nop 0
	v_mfma_f32_16x16x4f32 a[0:3], v2, v3, a[0:3]
	s_movk_i32 s4, 0x7f
                                        ; implicit-def: $sgpr10
	s_nop 7
	s_nop 1
	flat_store_dwordx4 v[18:19], a[0:3] offset:704
	flat_load_dwordx4 v[20:23], v[0:1] offset:16
	s_nop 0
	flat_load_dwordx2 v[18:19], v[0:1] offset:32
	s_waitcnt vmcnt(0) lgkmcnt(0)
	flat_load_dwordx4 v[14:17], v[20:21] offset:32
	flat_load_dwordx4 v[6:9], v[20:21] offset:48
	;; [unrolled: 1-line block ×4, first 2 shown]
	s_waitcnt vmcnt(0) lgkmcnt(0)
	v_cmp_gt_i16_sdwa s[6:7], v14, s4 src0_sel:BYTE_0 src1_sel:DWORD
	s_mov_b64 s[4:5], 0
	s_and_saveexec_b64 s[8:9], s[6:7]
	s_xor_b64 s[6:7], exec, s[8:9]
	s_cbranch_execnz .LBB41_3329
; %bb.1281:
	s_or_saveexec_b64 s[6:7], s[6:7]
	v_mov_b32_e32 v20, s10
	s_xor_b64 exec, exec, s[6:7]
	s_cbranch_execnz .LBB41_3332
.LBB41_1282:
	s_or_b64 exec, exec, s[6:7]
	s_and_saveexec_b64 s[6:7], s[4:5]
	s_cbranch_execz .LBB41_1284
.LBB41_1283:
	v_and_b32_e32 v20, 7, v14
	v_ffbh_u32_e32 v22, v20
	v_min_u32_e32 v22, 32, v22
	v_lshrrev_b16_e32 v21, 3, v14
	v_subrev_u32_e32 v23, 28, v22
	v_and_b32_e32 v21, 15, v21
	v_lshlrev_b32_e32 v23, v23, v14
	v_sub_u32_e32 v22, 29, v22
	v_and_b32_e32 v23, 7, v23
	v_cmp_eq_u16_e32 vcc, 0, v21
	v_cndmask_b32_e32 v20, v20, v23, vcc
	v_cndmask_b32_e32 v21, v21, v22, vcc
	v_lshlrev_b32_e32 v22, 24, v14
	v_mov_b32_e32 v23, 0x3b800000
	v_lshlrev_b32_e32 v20, 20, v20
	v_and_b32_e32 v22, 0x80000000, v22
	v_lshl_add_u32 v21, v21, 23, v23
	v_or3_b32 v20, v22, v21, v20
.LBB41_1284:
	s_or_b64 exec, exec, s[6:7]
	s_movk_i32 s4, 0x7f
	v_cmp_gt_i16_sdwa s[6:7], v10, s4 src0_sel:BYTE_0 src1_sel:DWORD
	s_mov_b64 s[4:5], 0
                                        ; implicit-def: $sgpr10
	s_and_saveexec_b64 s[8:9], s[6:7]
	s_xor_b64 s[6:7], exec, s[8:9]
	s_cbranch_execnz .LBB41_3333
; %bb.1285:
	s_or_saveexec_b64 s[6:7], s[6:7]
	v_mov_b32_e32 v21, s10
	s_xor_b64 exec, exec, s[6:7]
	s_cbranch_execnz .LBB41_3336
.LBB41_1286:
	s_or_b64 exec, exec, s[6:7]
	s_and_saveexec_b64 s[6:7], s[4:5]
	s_cbranch_execz .LBB41_1288
.LBB41_1287:
	v_and_b32_e32 v21, 7, v10
	v_ffbh_u32_e32 v23, v21
	v_min_u32_e32 v23, 32, v23
	v_lshrrev_b16_e32 v22, 3, v10
	v_subrev_u32_e32 v24, 28, v23
	v_and_b32_e32 v22, 15, v22
	v_lshlrev_b32_e32 v24, v24, v10
	v_sub_u32_e32 v23, 29, v23
	v_and_b32_e32 v24, 7, v24
	v_cmp_eq_u16_e32 vcc, 0, v22
	v_cndmask_b32_e32 v21, v21, v24, vcc
	v_cndmask_b32_e32 v22, v22, v23, vcc
	v_lshlrev_b32_e32 v23, 24, v10
	v_mov_b32_e32 v24, 0x3b800000
	v_lshlrev_b32_e32 v21, 20, v21
	v_and_b32_e32 v23, 0x80000000, v23
	v_lshl_add_u32 v22, v22, 23, v24
	v_or3_b32 v21, v23, v22, v21
.LBB41_1288:
	s_or_b64 exec, exec, s[6:7]
	flat_load_dwordx4 a[0:3], v[18:19] offset:720
	s_movk_i32 s4, 0x7f
                                        ; implicit-def: $sgpr10
	s_waitcnt vmcnt(0) lgkmcnt(0)
	v_mfma_f32_16x16x4f32 a[0:3], v20, v21, a[0:3]
	v_lshrrev_b32_e32 v21, 8, v14
	v_cmp_gt_i16_sdwa s[6:7], v21, s4 src0_sel:BYTE_0 src1_sel:DWORD
	s_mov_b64 s[4:5], 0
	s_and_saveexec_b64 s[8:9], s[6:7]
	s_xor_b64 s[6:7], exec, s[8:9]
	s_cbranch_execnz .LBB41_3337
; %bb.1289:
	s_or_saveexec_b64 s[6:7], s[6:7]
	v_mov_b32_e32 v20, s10
	s_xor_b64 exec, exec, s[6:7]
	s_cbranch_execnz .LBB41_3340
.LBB41_1290:
	s_or_b64 exec, exec, s[6:7]
	s_and_saveexec_b64 s[6:7], s[4:5]
	s_cbranch_execz .LBB41_1292
.LBB41_1291:
	v_bfe_u32 v20, v14, 8, 3
	v_ffbh_u32_e32 v23, v20
	v_min_u32_e32 v23, 32, v23
	v_lshrrev_b16_e32 v22, 3, v21
	v_subrev_u32_e32 v24, 28, v23
	v_and_b32_e32 v22, 15, v22
	v_lshlrev_b32_e32 v21, v24, v21
	v_sub_u32_e32 v23, 29, v23
	v_and_b32_e32 v21, 7, v21
	v_cmp_eq_u16_e32 vcc, 0, v22
	v_cndmask_b32_e32 v20, v20, v21, vcc
	v_cndmask_b32_e32 v21, v22, v23, vcc
	v_lshlrev_b32_e32 v22, 16, v14
	v_mov_b32_e32 v23, 0x3b800000
	v_lshlrev_b32_e32 v20, 20, v20
	v_and_b32_e32 v22, 0x80000000, v22
	v_lshl_add_u32 v21, v21, 23, v23
	v_or3_b32 v20, v22, v21, v20
.LBB41_1292:
	s_or_b64 exec, exec, s[6:7]
	v_lshrrev_b32_e32 v21, 8, v10
	s_movk_i32 s4, 0x7f
	v_cmp_gt_i16_sdwa s[6:7], v21, s4 src0_sel:BYTE_0 src1_sel:DWORD
	s_mov_b64 s[4:5], 0
                                        ; implicit-def: $sgpr10
	s_and_saveexec_b64 s[8:9], s[6:7]
	s_xor_b64 s[6:7], exec, s[8:9]
	s_cbranch_execnz .LBB41_3341
; %bb.1293:
	s_or_saveexec_b64 s[6:7], s[6:7]
	v_mov_b32_e32 v22, s10
	s_xor_b64 exec, exec, s[6:7]
	s_cbranch_execnz .LBB41_3344
.LBB41_1294:
	s_or_b64 exec, exec, s[6:7]
	s_and_saveexec_b64 s[6:7], s[4:5]
	s_cbranch_execz .LBB41_1296
.LBB41_1295:
	v_bfe_u32 v22, v10, 8, 3
	v_ffbh_u32_e32 v24, v22
	v_min_u32_e32 v24, 32, v24
	v_lshrrev_b16_e32 v23, 3, v21
	v_subrev_u32_e32 v25, 28, v24
	v_and_b32_e32 v23, 15, v23
	v_lshlrev_b32_e32 v21, v25, v21
	v_sub_u32_e32 v24, 29, v24
	v_and_b32_e32 v21, 7, v21
	v_cmp_eq_u16_e32 vcc, 0, v23
	v_cndmask_b32_e32 v21, v22, v21, vcc
	v_cndmask_b32_e32 v22, v23, v24, vcc
	v_lshlrev_b32_e32 v23, 16, v10
	v_mov_b32_e32 v24, 0x3b800000
	v_lshlrev_b32_e32 v21, 20, v21
	v_and_b32_e32 v23, 0x80000000, v23
	v_lshl_add_u32 v22, v22, 23, v24
	v_or3_b32 v22, v23, v22, v21
.LBB41_1296:
	s_or_b64 exec, exec, s[6:7]
	s_nop 0
	v_mfma_f32_16x16x4f32 a[0:3], v20, v22, a[0:3]
	s_movk_i32 s4, 0xff
	v_and_b32_sdwa v21, v14, s4 dst_sel:DWORD dst_unused:UNUSED_PAD src0_sel:WORD_1 src1_sel:DWORD
	s_movk_i32 s4, 0x7f
	v_cmp_lt_i16_e32 vcc, s4, v21
	s_mov_b64 s[4:5], 0
                                        ; implicit-def: $sgpr10
	s_and_saveexec_b64 s[6:7], vcc
	s_xor_b64 s[6:7], exec, s[6:7]
	s_cbranch_execnz .LBB41_3345
; %bb.1297:
	s_or_saveexec_b64 s[6:7], s[6:7]
	v_mov_b32_e32 v20, s10
	s_xor_b64 exec, exec, s[6:7]
	s_cbranch_execnz .LBB41_3348
.LBB41_1298:
	s_or_b64 exec, exec, s[6:7]
	s_and_saveexec_b64 s[6:7], s[4:5]
	s_cbranch_execz .LBB41_1300
.LBB41_1299:
	v_bfe_u32 v20, v14, 16, 3
	v_ffbh_u32_e32 v23, v20
	v_min_u32_e32 v23, 32, v23
	v_lshrrev_b32_e32 v21, 19, v14
	v_subrev_u32_e32 v24, 28, v23
	v_and_b32_e32 v21, 15, v21
	v_lshlrev_b32_sdwa v24, v24, v14 dst_sel:DWORD dst_unused:UNUSED_PAD src0_sel:DWORD src1_sel:WORD_1
	v_bfe_u32 v22, v14, 19, 4
	v_sub_u32_e32 v23, 29, v23
	v_and_b32_e32 v24, 7, v24
	v_cmp_eq_u16_e32 vcc, 0, v21
	v_cndmask_b32_e32 v20, v20, v24, vcc
	v_cndmask_b32_e32 v21, v22, v23, vcc
	v_lshlrev_b32_e32 v22, 8, v14
	v_mov_b32_e32 v23, 0x3b800000
	v_lshlrev_b32_e32 v20, 20, v20
	v_and_b32_e32 v22, 0x80000000, v22
	v_lshl_add_u32 v21, v21, 23, v23
	v_or3_b32 v20, v22, v21, v20
.LBB41_1300:
	s_or_b64 exec, exec, s[6:7]
	s_movk_i32 s4, 0xff
	v_and_b32_sdwa v21, v10, s4 dst_sel:DWORD dst_unused:UNUSED_PAD src0_sel:WORD_1 src1_sel:DWORD
	s_movk_i32 s4, 0x7f
	v_cmp_lt_i16_e32 vcc, s4, v21
	s_mov_b64 s[4:5], 0
                                        ; implicit-def: $sgpr10
	s_and_saveexec_b64 s[6:7], vcc
	s_xor_b64 s[6:7], exec, s[6:7]
	s_cbranch_execnz .LBB41_3349
; %bb.1301:
	s_or_saveexec_b64 s[6:7], s[6:7]
	v_mov_b32_e32 v22, s10
	s_xor_b64 exec, exec, s[6:7]
	s_cbranch_execnz .LBB41_3352
.LBB41_1302:
	s_or_b64 exec, exec, s[6:7]
	s_and_saveexec_b64 s[6:7], s[4:5]
	s_cbranch_execz .LBB41_1304
.LBB41_1303:
	v_bfe_u32 v21, v10, 16, 3
	v_ffbh_u32_e32 v24, v21
	v_min_u32_e32 v24, 32, v24
	v_lshrrev_b32_e32 v22, 19, v10
	v_subrev_u32_e32 v25, 28, v24
	v_and_b32_e32 v22, 15, v22
	v_lshlrev_b32_sdwa v25, v25, v10 dst_sel:DWORD dst_unused:UNUSED_PAD src0_sel:DWORD src1_sel:WORD_1
	v_bfe_u32 v23, v10, 19, 4
	v_sub_u32_e32 v24, 29, v24
	v_and_b32_e32 v25, 7, v25
	v_cmp_eq_u16_e32 vcc, 0, v22
	v_cndmask_b32_e32 v21, v21, v25, vcc
	v_cndmask_b32_e32 v22, v23, v24, vcc
	v_lshlrev_b32_e32 v23, 8, v10
	v_mov_b32_e32 v24, 0x3b800000
	v_lshlrev_b32_e32 v21, 20, v21
	v_and_b32_e32 v23, 0x80000000, v23
	v_lshl_add_u32 v22, v22, 23, v24
	v_or3_b32 v22, v23, v22, v21
.LBB41_1304:
	s_or_b64 exec, exec, s[6:7]
	s_nop 0
	v_mfma_f32_16x16x4f32 a[0:3], v20, v22, a[0:3]
	s_movk_i32 s4, 0x7f
	v_cmp_gt_i16_sdwa s[6:7], v14, s4 src0_sel:BYTE_3 src1_sel:DWORD
	s_mov_b64 s[4:5], 0
                                        ; implicit-def: $sgpr10
	s_and_saveexec_b64 s[8:9], s[6:7]
	s_xor_b64 s[6:7], exec, s[8:9]
	s_cbranch_execnz .LBB41_3353
; %bb.1305:
	s_or_saveexec_b64 s[6:7], s[6:7]
	v_mov_b32_e32 v20, s10
	s_xor_b64 exec, exec, s[6:7]
	s_cbranch_execnz .LBB41_3356
.LBB41_1306:
	s_or_b64 exec, exec, s[6:7]
	s_and_saveexec_b64 s[6:7], s[4:5]
	s_cbranch_execz .LBB41_1308
.LBB41_1307:
	v_bfe_u32 v20, v14, 24, 3
	v_ffbh_u32_e32 v24, v20
	v_min_u32_e32 v24, 32, v24
	v_lshrrev_b32_e32 v22, 27, v14
	v_subrev_u32_e32 v25, 28, v24
	v_and_b32_e32 v21, 0x80000000, v14
	v_and_b32_e32 v22, 15, v22
	v_bfe_u32 v23, v14, 27, 4
	v_lshlrev_b32_sdwa v14, v25, v14 dst_sel:DWORD dst_unused:UNUSED_PAD src0_sel:DWORD src1_sel:BYTE_3
	v_sub_u32_e32 v24, 29, v24
	v_and_b32_e32 v14, 7, v14
	v_cmp_eq_u16_e32 vcc, 0, v22
	v_cndmask_b32_e32 v14, v20, v14, vcc
	v_cndmask_b32_e32 v20, v23, v24, vcc
	v_mov_b32_e32 v22, 0x3b800000
	v_lshlrev_b32_e32 v14, 20, v14
	v_lshl_add_u32 v20, v20, 23, v22
	v_or3_b32 v20, v21, v20, v14
.LBB41_1308:
	s_or_b64 exec, exec, s[6:7]
	s_movk_i32 s4, 0x7f
	v_cmp_gt_i16_sdwa s[6:7], v10, s4 src0_sel:BYTE_3 src1_sel:DWORD
	s_mov_b64 s[4:5], 0
                                        ; implicit-def: $sgpr10
	s_and_saveexec_b64 s[8:9], s[6:7]
	s_xor_b64 s[6:7], exec, s[8:9]
	s_cbranch_execnz .LBB41_3357
; %bb.1309:
	s_or_saveexec_b64 s[6:7], s[6:7]
	v_mov_b32_e32 v14, s10
	s_xor_b64 exec, exec, s[6:7]
	s_cbranch_execnz .LBB41_3360
.LBB41_1310:
	s_or_b64 exec, exec, s[6:7]
	s_and_saveexec_b64 s[6:7], s[4:5]
	s_cbranch_execz .LBB41_1312
.LBB41_1311:
	v_bfe_u32 v14, v10, 24, 3
	v_ffbh_u32_e32 v24, v14
	v_min_u32_e32 v24, 32, v24
	v_lshrrev_b32_e32 v22, 27, v10
	v_subrev_u32_e32 v25, 28, v24
	v_and_b32_e32 v21, 0x80000000, v10
	v_and_b32_e32 v22, 15, v22
	v_bfe_u32 v23, v10, 27, 4
	v_lshlrev_b32_sdwa v10, v25, v10 dst_sel:DWORD dst_unused:UNUSED_PAD src0_sel:DWORD src1_sel:BYTE_3
	v_sub_u32_e32 v24, 29, v24
	v_and_b32_e32 v10, 7, v10
	v_cmp_eq_u16_e32 vcc, 0, v22
	v_cndmask_b32_e32 v10, v14, v10, vcc
	v_cndmask_b32_e32 v14, v23, v24, vcc
	v_mov_b32_e32 v22, 0x3b800000
	v_lshlrev_b32_e32 v10, 20, v10
	v_lshl_add_u32 v14, v14, 23, v22
	v_or3_b32 v14, v21, v14, v10
.LBB41_1312:
	s_or_b64 exec, exec, s[6:7]
	s_nop 0
	v_mfma_f32_16x16x4f32 a[0:3], v20, v14, a[0:3]
	s_movk_i32 s4, 0x7f
	v_cmp_gt_i16_sdwa s[6:7], v15, s4 src0_sel:BYTE_0 src1_sel:DWORD
	s_mov_b64 s[4:5], 0
                                        ; implicit-def: $sgpr10
	s_and_saveexec_b64 s[8:9], s[6:7]
	s_xor_b64 s[6:7], exec, s[8:9]
	s_cbranch_execnz .LBB41_3361
; %bb.1313:
	s_or_saveexec_b64 s[6:7], s[6:7]
	v_mov_b32_e32 v10, s10
	s_xor_b64 exec, exec, s[6:7]
	s_cbranch_execnz .LBB41_3364
.LBB41_1314:
	s_or_b64 exec, exec, s[6:7]
	s_and_saveexec_b64 s[6:7], s[4:5]
	s_cbranch_execz .LBB41_1316
.LBB41_1315:
	v_and_b32_e32 v10, 7, v15
	v_ffbh_u32_e32 v20, v10
	v_min_u32_e32 v20, 32, v20
	v_lshrrev_b16_e32 v14, 3, v15
	v_subrev_u32_e32 v21, 28, v20
	v_and_b32_e32 v14, 15, v14
	v_lshlrev_b32_e32 v21, v21, v15
	v_sub_u32_e32 v20, 29, v20
	v_and_b32_e32 v21, 7, v21
	v_cmp_eq_u16_e32 vcc, 0, v14
	v_cndmask_b32_e32 v10, v10, v21, vcc
	v_cndmask_b32_e32 v14, v14, v20, vcc
	v_lshlrev_b32_e32 v20, 24, v15
	v_mov_b32_e32 v21, 0x3b800000
	v_lshlrev_b32_e32 v10, 20, v10
	v_and_b32_e32 v20, 0x80000000, v20
	v_lshl_add_u32 v14, v14, 23, v21
	v_or3_b32 v10, v20, v14, v10
.LBB41_1316:
	s_or_b64 exec, exec, s[6:7]
	s_movk_i32 s4, 0x7f
	v_cmp_gt_i16_sdwa s[6:7], v11, s4 src0_sel:BYTE_0 src1_sel:DWORD
	s_mov_b64 s[4:5], 0
                                        ; implicit-def: $sgpr10
	s_and_saveexec_b64 s[8:9], s[6:7]
	s_xor_b64 s[6:7], exec, s[8:9]
	s_cbranch_execnz .LBB41_3365
; %bb.1317:
	s_or_saveexec_b64 s[6:7], s[6:7]
	v_mov_b32_e32 v14, s10
	s_xor_b64 exec, exec, s[6:7]
	s_cbranch_execnz .LBB41_3368
.LBB41_1318:
	s_or_b64 exec, exec, s[6:7]
	s_and_saveexec_b64 s[6:7], s[4:5]
	s_cbranch_execz .LBB41_1320
.LBB41_1319:
	v_and_b32_e32 v14, 7, v11
	v_ffbh_u32_e32 v21, v14
	v_min_u32_e32 v21, 32, v21
	v_lshrrev_b16_e32 v20, 3, v11
	v_subrev_u32_e32 v22, 28, v21
	v_and_b32_e32 v20, 15, v20
	v_lshlrev_b32_e32 v22, v22, v11
	v_sub_u32_e32 v21, 29, v21
	v_and_b32_e32 v22, 7, v22
	v_cmp_eq_u16_e32 vcc, 0, v20
	v_cndmask_b32_e32 v14, v14, v22, vcc
	v_cndmask_b32_e32 v20, v20, v21, vcc
	v_lshlrev_b32_e32 v21, 24, v11
	v_mov_b32_e32 v22, 0x3b800000
	v_lshlrev_b32_e32 v14, 20, v14
	v_and_b32_e32 v21, 0x80000000, v21
	v_lshl_add_u32 v20, v20, 23, v22
	v_or3_b32 v14, v21, v20, v14
.LBB41_1320:
	s_or_b64 exec, exec, s[6:7]
	s_nop 0
	v_mfma_f32_16x16x4f32 a[0:3], v10, v14, a[0:3]
	v_lshrrev_b32_e32 v14, 8, v15
	s_movk_i32 s4, 0x7f
	v_cmp_gt_i16_sdwa s[6:7], v14, s4 src0_sel:BYTE_0 src1_sel:DWORD
	s_mov_b64 s[4:5], 0
                                        ; implicit-def: $sgpr10
	s_and_saveexec_b64 s[8:9], s[6:7]
	s_xor_b64 s[6:7], exec, s[8:9]
	s_cbranch_execnz .LBB41_3369
; %bb.1321:
	s_or_saveexec_b64 s[6:7], s[6:7]
	v_mov_b32_e32 v10, s10
	s_xor_b64 exec, exec, s[6:7]
	s_cbranch_execnz .LBB41_3372
.LBB41_1322:
	s_or_b64 exec, exec, s[6:7]
	s_and_saveexec_b64 s[6:7], s[4:5]
	s_cbranch_execz .LBB41_1324
.LBB41_1323:
	v_bfe_u32 v10, v15, 8, 3
	v_ffbh_u32_e32 v21, v10
	v_min_u32_e32 v21, 32, v21
	v_lshrrev_b16_e32 v20, 3, v14
	v_subrev_u32_e32 v22, 28, v21
	v_and_b32_e32 v20, 15, v20
	v_lshlrev_b32_e32 v14, v22, v14
	v_sub_u32_e32 v21, 29, v21
	v_and_b32_e32 v14, 7, v14
	v_cmp_eq_u16_e32 vcc, 0, v20
	v_cndmask_b32_e32 v10, v10, v14, vcc
	v_cndmask_b32_e32 v14, v20, v21, vcc
	v_lshlrev_b32_e32 v20, 16, v15
	v_mov_b32_e32 v21, 0x3b800000
	v_lshlrev_b32_e32 v10, 20, v10
	v_and_b32_e32 v20, 0x80000000, v20
	v_lshl_add_u32 v14, v14, 23, v21
	v_or3_b32 v10, v20, v14, v10
.LBB41_1324:
	s_or_b64 exec, exec, s[6:7]
	v_lshrrev_b32_e32 v14, 8, v11
	s_movk_i32 s4, 0x7f
	v_cmp_gt_i16_sdwa s[6:7], v14, s4 src0_sel:BYTE_0 src1_sel:DWORD
	s_mov_b64 s[4:5], 0
                                        ; implicit-def: $sgpr10
	s_and_saveexec_b64 s[8:9], s[6:7]
	s_xor_b64 s[6:7], exec, s[8:9]
	s_cbranch_execnz .LBB41_3373
; %bb.1325:
	s_or_saveexec_b64 s[6:7], s[6:7]
	v_mov_b32_e32 v20, s10
	s_xor_b64 exec, exec, s[6:7]
	s_cbranch_execnz .LBB41_3376
.LBB41_1326:
	s_or_b64 exec, exec, s[6:7]
	s_and_saveexec_b64 s[6:7], s[4:5]
	s_cbranch_execz .LBB41_1328
.LBB41_1327:
	v_bfe_u32 v20, v11, 8, 3
	v_ffbh_u32_e32 v22, v20
	v_min_u32_e32 v22, 32, v22
	v_lshrrev_b16_e32 v21, 3, v14
	v_subrev_u32_e32 v23, 28, v22
	v_and_b32_e32 v21, 15, v21
	v_lshlrev_b32_e32 v14, v23, v14
	v_sub_u32_e32 v22, 29, v22
	v_and_b32_e32 v14, 7, v14
	v_cmp_eq_u16_e32 vcc, 0, v21
	v_cndmask_b32_e32 v14, v20, v14, vcc
	v_cndmask_b32_e32 v20, v21, v22, vcc
	v_lshlrev_b32_e32 v21, 16, v11
	v_mov_b32_e32 v22, 0x3b800000
	v_lshlrev_b32_e32 v14, 20, v14
	v_and_b32_e32 v21, 0x80000000, v21
	v_lshl_add_u32 v20, v20, 23, v22
	v_or3_b32 v20, v21, v20, v14
.LBB41_1328:
	s_or_b64 exec, exec, s[6:7]
	s_nop 0
	v_mfma_f32_16x16x4f32 a[0:3], v10, v20, a[0:3]
	s_movk_i32 s4, 0xff
	v_and_b32_sdwa v14, v15, s4 dst_sel:DWORD dst_unused:UNUSED_PAD src0_sel:WORD_1 src1_sel:DWORD
	s_movk_i32 s4, 0x7f
	v_cmp_lt_i16_e32 vcc, s4, v14
	s_mov_b64 s[4:5], 0
                                        ; implicit-def: $sgpr10
	s_and_saveexec_b64 s[6:7], vcc
	s_xor_b64 s[6:7], exec, s[6:7]
	s_cbranch_execnz .LBB41_3377
; %bb.1329:
	s_or_saveexec_b64 s[6:7], s[6:7]
	v_mov_b32_e32 v10, s10
	s_xor_b64 exec, exec, s[6:7]
	s_cbranch_execnz .LBB41_3380
.LBB41_1330:
	s_or_b64 exec, exec, s[6:7]
	s_and_saveexec_b64 s[6:7], s[4:5]
	s_cbranch_execz .LBB41_1332
.LBB41_1331:
	v_bfe_u32 v10, v15, 16, 3
	v_ffbh_u32_e32 v21, v10
	v_min_u32_e32 v21, 32, v21
	v_lshrrev_b32_e32 v14, 19, v15
	v_subrev_u32_e32 v22, 28, v21
	v_and_b32_e32 v14, 15, v14
	v_lshlrev_b32_sdwa v22, v22, v15 dst_sel:DWORD dst_unused:UNUSED_PAD src0_sel:DWORD src1_sel:WORD_1
	v_bfe_u32 v20, v15, 19, 4
	v_sub_u32_e32 v21, 29, v21
	v_and_b32_e32 v22, 7, v22
	v_cmp_eq_u16_e32 vcc, 0, v14
	v_cndmask_b32_e32 v10, v10, v22, vcc
	v_cndmask_b32_e32 v14, v20, v21, vcc
	v_lshlrev_b32_e32 v20, 8, v15
	v_mov_b32_e32 v21, 0x3b800000
	v_lshlrev_b32_e32 v10, 20, v10
	v_and_b32_e32 v20, 0x80000000, v20
	v_lshl_add_u32 v14, v14, 23, v21
	v_or3_b32 v10, v20, v14, v10
.LBB41_1332:
	s_or_b64 exec, exec, s[6:7]
	s_movk_i32 s4, 0xff
	v_and_b32_sdwa v14, v11, s4 dst_sel:DWORD dst_unused:UNUSED_PAD src0_sel:WORD_1 src1_sel:DWORD
	s_movk_i32 s4, 0x7f
	v_cmp_lt_i16_e32 vcc, s4, v14
	s_mov_b64 s[4:5], 0
                                        ; implicit-def: $sgpr10
	s_and_saveexec_b64 s[6:7], vcc
	s_xor_b64 s[6:7], exec, s[6:7]
	s_cbranch_execnz .LBB41_3381
; %bb.1333:
	s_or_saveexec_b64 s[6:7], s[6:7]
	v_mov_b32_e32 v20, s10
	s_xor_b64 exec, exec, s[6:7]
	s_cbranch_execnz .LBB41_3384
.LBB41_1334:
	s_or_b64 exec, exec, s[6:7]
	s_and_saveexec_b64 s[6:7], s[4:5]
	s_cbranch_execz .LBB41_1336
.LBB41_1335:
	v_bfe_u32 v14, v11, 16, 3
	v_ffbh_u32_e32 v22, v14
	v_min_u32_e32 v22, 32, v22
	v_lshrrev_b32_e32 v20, 19, v11
	v_subrev_u32_e32 v23, 28, v22
	v_and_b32_e32 v20, 15, v20
	v_lshlrev_b32_sdwa v23, v23, v11 dst_sel:DWORD dst_unused:UNUSED_PAD src0_sel:DWORD src1_sel:WORD_1
	v_bfe_u32 v21, v11, 19, 4
	v_sub_u32_e32 v22, 29, v22
	v_and_b32_e32 v23, 7, v23
	v_cmp_eq_u16_e32 vcc, 0, v20
	v_cndmask_b32_e32 v14, v14, v23, vcc
	v_cndmask_b32_e32 v20, v21, v22, vcc
	v_lshlrev_b32_e32 v21, 8, v11
	v_mov_b32_e32 v22, 0x3b800000
	v_lshlrev_b32_e32 v14, 20, v14
	v_and_b32_e32 v21, 0x80000000, v21
	v_lshl_add_u32 v20, v20, 23, v22
	v_or3_b32 v20, v21, v20, v14
.LBB41_1336:
	s_or_b64 exec, exec, s[6:7]
	s_nop 0
	v_mfma_f32_16x16x4f32 a[0:3], v10, v20, a[0:3]
	s_movk_i32 s4, 0x7f
	v_cmp_gt_i16_sdwa s[6:7], v15, s4 src0_sel:BYTE_3 src1_sel:DWORD
	s_mov_b64 s[4:5], 0
                                        ; implicit-def: $sgpr10
	s_and_saveexec_b64 s[8:9], s[6:7]
	s_xor_b64 s[6:7], exec, s[8:9]
	s_cbranch_execnz .LBB41_3385
; %bb.1337:
	s_or_saveexec_b64 s[6:7], s[6:7]
	v_mov_b32_e32 v10, s10
	s_xor_b64 exec, exec, s[6:7]
	s_cbranch_execnz .LBB41_3388
.LBB41_1338:
	s_or_b64 exec, exec, s[6:7]
	s_and_saveexec_b64 s[6:7], s[4:5]
	s_cbranch_execz .LBB41_1340
.LBB41_1339:
	v_bfe_u32 v10, v15, 24, 3
	v_ffbh_u32_e32 v22, v10
	v_min_u32_e32 v22, 32, v22
	v_lshrrev_b32_e32 v20, 27, v15
	v_subrev_u32_e32 v23, 28, v22
	v_and_b32_e32 v14, 0x80000000, v15
	v_and_b32_e32 v20, 15, v20
	v_bfe_u32 v21, v15, 27, 4
	v_lshlrev_b32_sdwa v15, v23, v15 dst_sel:DWORD dst_unused:UNUSED_PAD src0_sel:DWORD src1_sel:BYTE_3
	v_sub_u32_e32 v22, 29, v22
	v_and_b32_e32 v15, 7, v15
	v_cmp_eq_u16_e32 vcc, 0, v20
	v_cndmask_b32_e32 v10, v10, v15, vcc
	v_cndmask_b32_e32 v15, v21, v22, vcc
	v_mov_b32_e32 v20, 0x3b800000
	v_lshlrev_b32_e32 v10, 20, v10
	v_lshl_add_u32 v15, v15, 23, v20
	v_or3_b32 v10, v14, v15, v10
.LBB41_1340:
	s_or_b64 exec, exec, s[6:7]
	s_movk_i32 s4, 0x7f
	v_cmp_gt_i16_sdwa s[6:7], v11, s4 src0_sel:BYTE_3 src1_sel:DWORD
	s_mov_b64 s[4:5], 0
                                        ; implicit-def: $sgpr10
	s_and_saveexec_b64 s[8:9], s[6:7]
	s_xor_b64 s[6:7], exec, s[8:9]
	s_cbranch_execnz .LBB41_3389
; %bb.1341:
	s_or_saveexec_b64 s[6:7], s[6:7]
	v_mov_b32_e32 v14, s10
	s_xor_b64 exec, exec, s[6:7]
	s_cbranch_execnz .LBB41_3392
.LBB41_1342:
	s_or_b64 exec, exec, s[6:7]
	s_and_saveexec_b64 s[6:7], s[4:5]
	s_cbranch_execz .LBB41_1344
.LBB41_1343:
	v_bfe_u32 v14, v11, 24, 3
	v_ffbh_u32_e32 v22, v14
	v_min_u32_e32 v22, 32, v22
	v_lshrrev_b32_e32 v20, 27, v11
	v_subrev_u32_e32 v23, 28, v22
	v_and_b32_e32 v15, 0x80000000, v11
	v_and_b32_e32 v20, 15, v20
	v_bfe_u32 v21, v11, 27, 4
	v_lshlrev_b32_sdwa v11, v23, v11 dst_sel:DWORD dst_unused:UNUSED_PAD src0_sel:DWORD src1_sel:BYTE_3
	v_sub_u32_e32 v22, 29, v22
	v_and_b32_e32 v11, 7, v11
	v_cmp_eq_u16_e32 vcc, 0, v20
	v_cndmask_b32_e32 v11, v14, v11, vcc
	v_cndmask_b32_e32 v14, v21, v22, vcc
	v_mov_b32_e32 v20, 0x3b800000
	v_lshlrev_b32_e32 v11, 20, v11
	v_lshl_add_u32 v14, v14, 23, v20
	v_or3_b32 v14, v15, v14, v11
.LBB41_1344:
	s_or_b64 exec, exec, s[6:7]
	s_nop 0
	v_mfma_f32_16x16x4f32 a[0:3], v10, v14, a[0:3]
	s_movk_i32 s4, 0x7f
	v_cmp_gt_i16_sdwa s[6:7], v16, s4 src0_sel:BYTE_0 src1_sel:DWORD
	s_mov_b64 s[4:5], 0
                                        ; implicit-def: $sgpr10
	s_and_saveexec_b64 s[8:9], s[6:7]
	s_xor_b64 s[6:7], exec, s[8:9]
	s_cbranch_execnz .LBB41_3393
; %bb.1345:
	s_or_saveexec_b64 s[6:7], s[6:7]
	v_mov_b32_e32 v10, s10
	s_xor_b64 exec, exec, s[6:7]
	s_cbranch_execnz .LBB41_3396
.LBB41_1346:
	s_or_b64 exec, exec, s[6:7]
	s_and_saveexec_b64 s[6:7], s[4:5]
	s_cbranch_execz .LBB41_1348
.LBB41_1347:
	v_and_b32_e32 v10, 7, v16
	v_ffbh_u32_e32 v14, v10
	v_min_u32_e32 v14, 32, v14
	v_lshrrev_b16_e32 v11, 3, v16
	v_subrev_u32_e32 v15, 28, v14
	v_and_b32_e32 v11, 15, v11
	v_lshlrev_b32_e32 v15, v15, v16
	v_sub_u32_e32 v14, 29, v14
	v_and_b32_e32 v15, 7, v15
	v_cmp_eq_u16_e32 vcc, 0, v11
	v_cndmask_b32_e32 v10, v10, v15, vcc
	v_cndmask_b32_e32 v11, v11, v14, vcc
	v_lshlrev_b32_e32 v14, 24, v16
	v_mov_b32_e32 v15, 0x3b800000
	v_lshlrev_b32_e32 v10, 20, v10
	v_and_b32_e32 v14, 0x80000000, v14
	v_lshl_add_u32 v11, v11, 23, v15
	v_or3_b32 v10, v14, v11, v10
.LBB41_1348:
	s_or_b64 exec, exec, s[6:7]
	s_movk_i32 s4, 0x7f
	v_cmp_gt_i16_sdwa s[6:7], v12, s4 src0_sel:BYTE_0 src1_sel:DWORD
	s_mov_b64 s[4:5], 0
                                        ; implicit-def: $sgpr10
	s_and_saveexec_b64 s[8:9], s[6:7]
	s_xor_b64 s[6:7], exec, s[8:9]
	s_cbranch_execnz .LBB41_3397
; %bb.1349:
	s_or_saveexec_b64 s[6:7], s[6:7]
	v_mov_b32_e32 v11, s10
	s_xor_b64 exec, exec, s[6:7]
	s_cbranch_execnz .LBB41_3400
.LBB41_1350:
	s_or_b64 exec, exec, s[6:7]
	s_and_saveexec_b64 s[6:7], s[4:5]
	s_cbranch_execz .LBB41_1352
.LBB41_1351:
	v_and_b32_e32 v11, 7, v12
	v_ffbh_u32_e32 v15, v11
	v_min_u32_e32 v15, 32, v15
	v_lshrrev_b16_e32 v14, 3, v12
	v_subrev_u32_e32 v20, 28, v15
	v_and_b32_e32 v14, 15, v14
	v_lshlrev_b32_e32 v20, v20, v12
	v_sub_u32_e32 v15, 29, v15
	v_and_b32_e32 v20, 7, v20
	v_cmp_eq_u16_e32 vcc, 0, v14
	v_cndmask_b32_e32 v11, v11, v20, vcc
	v_cndmask_b32_e32 v14, v14, v15, vcc
	v_lshlrev_b32_e32 v15, 24, v12
	v_mov_b32_e32 v20, 0x3b800000
	v_lshlrev_b32_e32 v11, 20, v11
	v_and_b32_e32 v15, 0x80000000, v15
	v_lshl_add_u32 v14, v14, 23, v20
	v_or3_b32 v11, v15, v14, v11
.LBB41_1352:
	s_or_b64 exec, exec, s[6:7]
	s_nop 0
	v_mfma_f32_16x16x4f32 a[0:3], v10, v11, a[0:3]
	v_lshrrev_b32_e32 v11, 8, v16
	s_movk_i32 s4, 0x7f
	v_cmp_gt_i16_sdwa s[6:7], v11, s4 src0_sel:BYTE_0 src1_sel:DWORD
	s_mov_b64 s[4:5], 0
                                        ; implicit-def: $sgpr10
	s_and_saveexec_b64 s[8:9], s[6:7]
	s_xor_b64 s[6:7], exec, s[8:9]
	s_cbranch_execnz .LBB41_3401
; %bb.1353:
	s_or_saveexec_b64 s[6:7], s[6:7]
	v_mov_b32_e32 v10, s10
	s_xor_b64 exec, exec, s[6:7]
	s_cbranch_execnz .LBB41_3404
.LBB41_1354:
	s_or_b64 exec, exec, s[6:7]
	s_and_saveexec_b64 s[6:7], s[4:5]
	s_cbranch_execz .LBB41_1356
.LBB41_1355:
	v_bfe_u32 v10, v16, 8, 3
	v_ffbh_u32_e32 v15, v10
	v_min_u32_e32 v15, 32, v15
	v_lshrrev_b16_e32 v14, 3, v11
	v_subrev_u32_e32 v20, 28, v15
	v_and_b32_e32 v14, 15, v14
	v_lshlrev_b32_e32 v11, v20, v11
	v_sub_u32_e32 v15, 29, v15
	v_and_b32_e32 v11, 7, v11
	v_cmp_eq_u16_e32 vcc, 0, v14
	v_cndmask_b32_e32 v10, v10, v11, vcc
	v_cndmask_b32_e32 v11, v14, v15, vcc
	v_lshlrev_b32_e32 v14, 16, v16
	v_mov_b32_e32 v15, 0x3b800000
	v_lshlrev_b32_e32 v10, 20, v10
	v_and_b32_e32 v14, 0x80000000, v14
	v_lshl_add_u32 v11, v11, 23, v15
	v_or3_b32 v10, v14, v11, v10
.LBB41_1356:
	s_or_b64 exec, exec, s[6:7]
	v_lshrrev_b32_e32 v11, 8, v12
	s_movk_i32 s4, 0x7f
	v_cmp_gt_i16_sdwa s[6:7], v11, s4 src0_sel:BYTE_0 src1_sel:DWORD
	s_mov_b64 s[4:5], 0
                                        ; implicit-def: $sgpr10
	s_and_saveexec_b64 s[8:9], s[6:7]
	s_xor_b64 s[6:7], exec, s[8:9]
	s_cbranch_execnz .LBB41_3405
; %bb.1357:
	s_or_saveexec_b64 s[6:7], s[6:7]
	v_mov_b32_e32 v14, s10
	s_xor_b64 exec, exec, s[6:7]
	s_cbranch_execnz .LBB41_3408
.LBB41_1358:
	s_or_b64 exec, exec, s[6:7]
	s_and_saveexec_b64 s[6:7], s[4:5]
	s_cbranch_execz .LBB41_1360
.LBB41_1359:
	v_bfe_u32 v14, v12, 8, 3
	v_ffbh_u32_e32 v20, v14
	v_min_u32_e32 v20, 32, v20
	v_lshrrev_b16_e32 v15, 3, v11
	v_subrev_u32_e32 v21, 28, v20
	v_and_b32_e32 v15, 15, v15
	v_lshlrev_b32_e32 v11, v21, v11
	v_sub_u32_e32 v20, 29, v20
	v_and_b32_e32 v11, 7, v11
	v_cmp_eq_u16_e32 vcc, 0, v15
	v_cndmask_b32_e32 v11, v14, v11, vcc
	v_cndmask_b32_e32 v14, v15, v20, vcc
	v_lshlrev_b32_e32 v15, 16, v12
	v_mov_b32_e32 v20, 0x3b800000
	v_lshlrev_b32_e32 v11, 20, v11
	v_and_b32_e32 v15, 0x80000000, v15
	v_lshl_add_u32 v14, v14, 23, v20
	v_or3_b32 v14, v15, v14, v11
.LBB41_1360:
	s_or_b64 exec, exec, s[6:7]
	s_nop 0
	v_mfma_f32_16x16x4f32 a[0:3], v10, v14, a[0:3]
	s_movk_i32 s4, 0xff
	v_and_b32_sdwa v11, v16, s4 dst_sel:DWORD dst_unused:UNUSED_PAD src0_sel:WORD_1 src1_sel:DWORD
	s_movk_i32 s4, 0x7f
	v_cmp_lt_i16_e32 vcc, s4, v11
	s_mov_b64 s[4:5], 0
                                        ; implicit-def: $sgpr10
	s_and_saveexec_b64 s[6:7], vcc
	s_xor_b64 s[6:7], exec, s[6:7]
	s_cbranch_execnz .LBB41_3409
; %bb.1361:
	s_or_saveexec_b64 s[6:7], s[6:7]
	v_mov_b32_e32 v10, s10
	s_xor_b64 exec, exec, s[6:7]
	s_cbranch_execnz .LBB41_3412
.LBB41_1362:
	s_or_b64 exec, exec, s[6:7]
	s_and_saveexec_b64 s[6:7], s[4:5]
	s_cbranch_execz .LBB41_1364
.LBB41_1363:
	v_bfe_u32 v10, v16, 16, 3
	v_ffbh_u32_e32 v15, v10
	v_min_u32_e32 v15, 32, v15
	v_lshrrev_b32_e32 v11, 19, v16
	v_subrev_u32_e32 v20, 28, v15
	v_and_b32_e32 v11, 15, v11
	v_lshlrev_b32_sdwa v20, v20, v16 dst_sel:DWORD dst_unused:UNUSED_PAD src0_sel:DWORD src1_sel:WORD_1
	v_bfe_u32 v14, v16, 19, 4
	v_sub_u32_e32 v15, 29, v15
	v_and_b32_e32 v20, 7, v20
	v_cmp_eq_u16_e32 vcc, 0, v11
	v_cndmask_b32_e32 v10, v10, v20, vcc
	v_cndmask_b32_e32 v11, v14, v15, vcc
	v_lshlrev_b32_e32 v14, 8, v16
	v_mov_b32_e32 v15, 0x3b800000
	v_lshlrev_b32_e32 v10, 20, v10
	v_and_b32_e32 v14, 0x80000000, v14
	v_lshl_add_u32 v11, v11, 23, v15
	v_or3_b32 v10, v14, v11, v10
.LBB41_1364:
	s_or_b64 exec, exec, s[6:7]
	s_movk_i32 s4, 0xff
	v_and_b32_sdwa v11, v12, s4 dst_sel:DWORD dst_unused:UNUSED_PAD src0_sel:WORD_1 src1_sel:DWORD
	s_movk_i32 s4, 0x7f
	v_cmp_lt_i16_e32 vcc, s4, v11
	s_mov_b64 s[4:5], 0
                                        ; implicit-def: $sgpr10
	s_and_saveexec_b64 s[6:7], vcc
	s_xor_b64 s[6:7], exec, s[6:7]
	s_cbranch_execnz .LBB41_3413
; %bb.1365:
	s_or_saveexec_b64 s[6:7], s[6:7]
	v_mov_b32_e32 v14, s10
	s_xor_b64 exec, exec, s[6:7]
	s_cbranch_execnz .LBB41_3416
.LBB41_1366:
	s_or_b64 exec, exec, s[6:7]
	s_and_saveexec_b64 s[6:7], s[4:5]
	s_cbranch_execz .LBB41_1368
.LBB41_1367:
	v_bfe_u32 v11, v12, 16, 3
	v_ffbh_u32_e32 v20, v11
	v_min_u32_e32 v20, 32, v20
	v_lshrrev_b32_e32 v14, 19, v12
	v_subrev_u32_e32 v21, 28, v20
	v_and_b32_e32 v14, 15, v14
	v_lshlrev_b32_sdwa v21, v21, v12 dst_sel:DWORD dst_unused:UNUSED_PAD src0_sel:DWORD src1_sel:WORD_1
	v_bfe_u32 v15, v12, 19, 4
	v_sub_u32_e32 v20, 29, v20
	v_and_b32_e32 v21, 7, v21
	v_cmp_eq_u16_e32 vcc, 0, v14
	v_cndmask_b32_e32 v11, v11, v21, vcc
	v_cndmask_b32_e32 v14, v15, v20, vcc
	v_lshlrev_b32_e32 v15, 8, v12
	v_mov_b32_e32 v20, 0x3b800000
	v_lshlrev_b32_e32 v11, 20, v11
	v_and_b32_e32 v15, 0x80000000, v15
	v_lshl_add_u32 v14, v14, 23, v20
	v_or3_b32 v14, v15, v14, v11
.LBB41_1368:
	s_or_b64 exec, exec, s[6:7]
	s_nop 0
	v_mfma_f32_16x16x4f32 a[0:3], v10, v14, a[0:3]
	s_movk_i32 s4, 0x7f
	v_cmp_gt_i16_sdwa s[6:7], v16, s4 src0_sel:BYTE_3 src1_sel:DWORD
	s_mov_b64 s[4:5], 0
                                        ; implicit-def: $sgpr10
	s_and_saveexec_b64 s[8:9], s[6:7]
	s_xor_b64 s[6:7], exec, s[8:9]
	s_cbranch_execnz .LBB41_3417
; %bb.1369:
	s_or_saveexec_b64 s[6:7], s[6:7]
	v_mov_b32_e32 v10, s10
	s_xor_b64 exec, exec, s[6:7]
	s_cbranch_execnz .LBB41_3420
.LBB41_1370:
	s_or_b64 exec, exec, s[6:7]
	s_and_saveexec_b64 s[6:7], s[4:5]
	s_cbranch_execz .LBB41_1372
.LBB41_1371:
	v_bfe_u32 v10, v16, 24, 3
	v_ffbh_u32_e32 v20, v10
	v_min_u32_e32 v20, 32, v20
	v_lshrrev_b32_e32 v14, 27, v16
	v_subrev_u32_e32 v21, 28, v20
	v_and_b32_e32 v11, 0x80000000, v16
	v_and_b32_e32 v14, 15, v14
	v_bfe_u32 v15, v16, 27, 4
	v_lshlrev_b32_sdwa v16, v21, v16 dst_sel:DWORD dst_unused:UNUSED_PAD src0_sel:DWORD src1_sel:BYTE_3
	v_sub_u32_e32 v20, 29, v20
	v_and_b32_e32 v16, 7, v16
	v_cmp_eq_u16_e32 vcc, 0, v14
	v_cndmask_b32_e32 v10, v10, v16, vcc
	v_cndmask_b32_e32 v14, v15, v20, vcc
	v_mov_b32_e32 v15, 0x3b800000
	v_lshlrev_b32_e32 v10, 20, v10
	v_lshl_add_u32 v14, v14, 23, v15
	v_or3_b32 v10, v11, v14, v10
.LBB41_1372:
	s_or_b64 exec, exec, s[6:7]
	s_movk_i32 s4, 0x7f
	v_cmp_gt_i16_sdwa s[6:7], v12, s4 src0_sel:BYTE_3 src1_sel:DWORD
	s_mov_b64 s[4:5], 0
                                        ; implicit-def: $sgpr10
	s_and_saveexec_b64 s[8:9], s[6:7]
	s_xor_b64 s[6:7], exec, s[8:9]
	s_cbranch_execnz .LBB41_3421
; %bb.1373:
	s_or_saveexec_b64 s[6:7], s[6:7]
	v_mov_b32_e32 v11, s10
	s_xor_b64 exec, exec, s[6:7]
	s_cbranch_execnz .LBB41_3424
.LBB41_1374:
	s_or_b64 exec, exec, s[6:7]
	s_and_saveexec_b64 s[6:7], s[4:5]
	s_cbranch_execz .LBB41_1376
.LBB41_1375:
	v_bfe_u32 v11, v12, 24, 3
	v_ffbh_u32_e32 v20, v11
	v_min_u32_e32 v20, 32, v20
	v_lshrrev_b32_e32 v15, 27, v12
	v_subrev_u32_e32 v21, 28, v20
	v_and_b32_e32 v14, 0x80000000, v12
	v_and_b32_e32 v15, 15, v15
	v_bfe_u32 v16, v12, 27, 4
	v_lshlrev_b32_sdwa v12, v21, v12 dst_sel:DWORD dst_unused:UNUSED_PAD src0_sel:DWORD src1_sel:BYTE_3
	v_sub_u32_e32 v20, 29, v20
	v_and_b32_e32 v12, 7, v12
	v_cmp_eq_u16_e32 vcc, 0, v15
	v_cndmask_b32_e32 v11, v11, v12, vcc
	v_cndmask_b32_e32 v12, v16, v20, vcc
	v_mov_b32_e32 v15, 0x3b800000
	v_lshlrev_b32_e32 v11, 20, v11
	v_lshl_add_u32 v12, v12, 23, v15
	v_or3_b32 v11, v14, v12, v11
.LBB41_1376:
	s_or_b64 exec, exec, s[6:7]
	s_nop 0
	v_mfma_f32_16x16x4f32 a[0:3], v10, v11, a[0:3]
	s_movk_i32 s4, 0x7f
	v_cmp_gt_i16_sdwa s[6:7], v17, s4 src0_sel:BYTE_0 src1_sel:DWORD
	s_mov_b64 s[4:5], 0
                                        ; implicit-def: $sgpr10
	s_and_saveexec_b64 s[8:9], s[6:7]
	s_xor_b64 s[6:7], exec, s[8:9]
	s_cbranch_execnz .LBB41_3425
; %bb.1377:
	s_or_saveexec_b64 s[6:7], s[6:7]
	v_mov_b32_e32 v10, s10
	s_xor_b64 exec, exec, s[6:7]
	s_cbranch_execnz .LBB41_3428
.LBB41_1378:
	s_or_b64 exec, exec, s[6:7]
	s_and_saveexec_b64 s[6:7], s[4:5]
	s_cbranch_execz .LBB41_1380
.LBB41_1379:
	v_and_b32_e32 v10, 7, v17
	v_ffbh_u32_e32 v12, v10
	v_min_u32_e32 v12, 32, v12
	v_lshrrev_b16_e32 v11, 3, v17
	v_subrev_u32_e32 v14, 28, v12
	v_and_b32_e32 v11, 15, v11
	v_lshlrev_b32_e32 v14, v14, v17
	v_sub_u32_e32 v12, 29, v12
	v_and_b32_e32 v14, 7, v14
	v_cmp_eq_u16_e32 vcc, 0, v11
	v_cndmask_b32_e32 v10, v10, v14, vcc
	v_cndmask_b32_e32 v11, v11, v12, vcc
	v_lshlrev_b32_e32 v12, 24, v17
	v_mov_b32_e32 v14, 0x3b800000
	v_lshlrev_b32_e32 v10, 20, v10
	v_and_b32_e32 v12, 0x80000000, v12
	v_lshl_add_u32 v11, v11, 23, v14
	v_or3_b32 v10, v12, v11, v10
.LBB41_1380:
	s_or_b64 exec, exec, s[6:7]
	s_movk_i32 s4, 0x7f
	v_cmp_gt_i16_sdwa s[6:7], v13, s4 src0_sel:BYTE_0 src1_sel:DWORD
	s_mov_b64 s[4:5], 0
                                        ; implicit-def: $sgpr10
	s_and_saveexec_b64 s[8:9], s[6:7]
	s_xor_b64 s[6:7], exec, s[8:9]
	s_cbranch_execnz .LBB41_3429
; %bb.1381:
	s_or_saveexec_b64 s[6:7], s[6:7]
	v_mov_b32_e32 v11, s10
	s_xor_b64 exec, exec, s[6:7]
	s_cbranch_execnz .LBB41_3432
.LBB41_1382:
	s_or_b64 exec, exec, s[6:7]
	s_and_saveexec_b64 s[6:7], s[4:5]
	s_cbranch_execz .LBB41_1384
.LBB41_1383:
	v_and_b32_e32 v11, 7, v13
	v_ffbh_u32_e32 v14, v11
	v_min_u32_e32 v14, 32, v14
	v_lshrrev_b16_e32 v12, 3, v13
	v_subrev_u32_e32 v15, 28, v14
	v_and_b32_e32 v12, 15, v12
	v_lshlrev_b32_e32 v15, v15, v13
	v_sub_u32_e32 v14, 29, v14
	v_and_b32_e32 v15, 7, v15
	v_cmp_eq_u16_e32 vcc, 0, v12
	v_cndmask_b32_e32 v11, v11, v15, vcc
	v_cndmask_b32_e32 v12, v12, v14, vcc
	v_lshlrev_b32_e32 v14, 24, v13
	v_mov_b32_e32 v15, 0x3b800000
	v_lshlrev_b32_e32 v11, 20, v11
	v_and_b32_e32 v14, 0x80000000, v14
	v_lshl_add_u32 v12, v12, 23, v15
	v_or3_b32 v11, v14, v12, v11
.LBB41_1384:
	s_or_b64 exec, exec, s[6:7]
	s_nop 0
	v_mfma_f32_16x16x4f32 a[0:3], v10, v11, a[0:3]
	v_lshrrev_b32_e32 v11, 8, v17
	s_movk_i32 s4, 0x7f
	v_cmp_gt_i16_sdwa s[6:7], v11, s4 src0_sel:BYTE_0 src1_sel:DWORD
	s_mov_b64 s[4:5], 0
                                        ; implicit-def: $sgpr10
	s_and_saveexec_b64 s[8:9], s[6:7]
	s_xor_b64 s[6:7], exec, s[8:9]
	s_cbranch_execnz .LBB41_3433
; %bb.1385:
	s_or_saveexec_b64 s[6:7], s[6:7]
	v_mov_b32_e32 v10, s10
	s_xor_b64 exec, exec, s[6:7]
	s_cbranch_execnz .LBB41_3436
.LBB41_1386:
	s_or_b64 exec, exec, s[6:7]
	s_and_saveexec_b64 s[6:7], s[4:5]
	s_cbranch_execz .LBB41_1388
.LBB41_1387:
	v_bfe_u32 v10, v17, 8, 3
	v_ffbh_u32_e32 v14, v10
	v_min_u32_e32 v14, 32, v14
	v_lshrrev_b16_e32 v12, 3, v11
	v_subrev_u32_e32 v15, 28, v14
	v_and_b32_e32 v12, 15, v12
	v_lshlrev_b32_e32 v11, v15, v11
	v_sub_u32_e32 v14, 29, v14
	v_and_b32_e32 v11, 7, v11
	v_cmp_eq_u16_e32 vcc, 0, v12
	v_cndmask_b32_e32 v10, v10, v11, vcc
	v_cndmask_b32_e32 v11, v12, v14, vcc
	v_lshlrev_b32_e32 v12, 16, v17
	v_mov_b32_e32 v14, 0x3b800000
	v_lshlrev_b32_e32 v10, 20, v10
	v_and_b32_e32 v12, 0x80000000, v12
	v_lshl_add_u32 v11, v11, 23, v14
	v_or3_b32 v10, v12, v11, v10
.LBB41_1388:
	s_or_b64 exec, exec, s[6:7]
	v_lshrrev_b32_e32 v11, 8, v13
	s_movk_i32 s4, 0x7f
	v_cmp_gt_i16_sdwa s[6:7], v11, s4 src0_sel:BYTE_0 src1_sel:DWORD
	s_mov_b64 s[4:5], 0
                                        ; implicit-def: $sgpr10
	s_and_saveexec_b64 s[8:9], s[6:7]
	s_xor_b64 s[6:7], exec, s[8:9]
	s_cbranch_execnz .LBB41_3437
; %bb.1389:
	s_or_saveexec_b64 s[6:7], s[6:7]
	v_mov_b32_e32 v12, s10
	s_xor_b64 exec, exec, s[6:7]
	s_cbranch_execnz .LBB41_3440
.LBB41_1390:
	s_or_b64 exec, exec, s[6:7]
	s_and_saveexec_b64 s[6:7], s[4:5]
	s_cbranch_execz .LBB41_1392
.LBB41_1391:
	v_bfe_u32 v12, v13, 8, 3
	v_ffbh_u32_e32 v15, v12
	v_min_u32_e32 v15, 32, v15
	v_lshrrev_b16_e32 v14, 3, v11
	v_subrev_u32_e32 v16, 28, v15
	v_and_b32_e32 v14, 15, v14
	v_lshlrev_b32_e32 v11, v16, v11
	v_sub_u32_e32 v15, 29, v15
	v_and_b32_e32 v11, 7, v11
	v_cmp_eq_u16_e32 vcc, 0, v14
	v_cndmask_b32_e32 v11, v12, v11, vcc
	v_cndmask_b32_e32 v12, v14, v15, vcc
	v_lshlrev_b32_e32 v14, 16, v13
	v_mov_b32_e32 v15, 0x3b800000
	v_lshlrev_b32_e32 v11, 20, v11
	v_and_b32_e32 v14, 0x80000000, v14
	v_lshl_add_u32 v12, v12, 23, v15
	v_or3_b32 v12, v14, v12, v11
.LBB41_1392:
	s_or_b64 exec, exec, s[6:7]
	s_nop 0
	v_mfma_f32_16x16x4f32 a[0:3], v10, v12, a[0:3]
	s_movk_i32 s4, 0xff
	v_and_b32_sdwa v11, v17, s4 dst_sel:DWORD dst_unused:UNUSED_PAD src0_sel:WORD_1 src1_sel:DWORD
	s_movk_i32 s4, 0x7f
	v_cmp_lt_i16_e32 vcc, s4, v11
	s_mov_b64 s[4:5], 0
                                        ; implicit-def: $sgpr10
	s_and_saveexec_b64 s[6:7], vcc
	s_xor_b64 s[6:7], exec, s[6:7]
	s_cbranch_execnz .LBB41_3441
; %bb.1393:
	s_or_saveexec_b64 s[6:7], s[6:7]
	v_mov_b32_e32 v10, s10
	s_xor_b64 exec, exec, s[6:7]
	s_cbranch_execnz .LBB41_3444
.LBB41_1394:
	s_or_b64 exec, exec, s[6:7]
	s_and_saveexec_b64 s[6:7], s[4:5]
	s_cbranch_execz .LBB41_1396
.LBB41_1395:
	v_bfe_u32 v10, v17, 16, 3
	v_ffbh_u32_e32 v14, v10
	v_min_u32_e32 v14, 32, v14
	v_lshrrev_b32_e32 v11, 19, v17
	v_subrev_u32_e32 v15, 28, v14
	v_and_b32_e32 v11, 15, v11
	v_lshlrev_b32_sdwa v15, v15, v17 dst_sel:DWORD dst_unused:UNUSED_PAD src0_sel:DWORD src1_sel:WORD_1
	v_bfe_u32 v12, v17, 19, 4
	v_sub_u32_e32 v14, 29, v14
	v_and_b32_e32 v15, 7, v15
	v_cmp_eq_u16_e32 vcc, 0, v11
	v_cndmask_b32_e32 v10, v10, v15, vcc
	v_cndmask_b32_e32 v11, v12, v14, vcc
	v_lshlrev_b32_e32 v12, 8, v17
	v_mov_b32_e32 v14, 0x3b800000
	v_lshlrev_b32_e32 v10, 20, v10
	v_and_b32_e32 v12, 0x80000000, v12
	v_lshl_add_u32 v11, v11, 23, v14
	v_or3_b32 v10, v12, v11, v10
.LBB41_1396:
	s_or_b64 exec, exec, s[6:7]
	s_movk_i32 s4, 0xff
	v_and_b32_sdwa v11, v13, s4 dst_sel:DWORD dst_unused:UNUSED_PAD src0_sel:WORD_1 src1_sel:DWORD
	s_movk_i32 s4, 0x7f
	v_cmp_lt_i16_e32 vcc, s4, v11
	s_mov_b64 s[4:5], 0
                                        ; implicit-def: $sgpr10
	s_and_saveexec_b64 s[6:7], vcc
	s_xor_b64 s[6:7], exec, s[6:7]
	s_cbranch_execnz .LBB41_3445
; %bb.1397:
	s_or_saveexec_b64 s[6:7], s[6:7]
	v_mov_b32_e32 v12, s10
	s_xor_b64 exec, exec, s[6:7]
	s_cbranch_execnz .LBB41_3448
.LBB41_1398:
	s_or_b64 exec, exec, s[6:7]
	s_and_saveexec_b64 s[6:7], s[4:5]
	s_cbranch_execz .LBB41_1400
.LBB41_1399:
	v_bfe_u32 v11, v13, 16, 3
	v_ffbh_u32_e32 v15, v11
	v_min_u32_e32 v15, 32, v15
	v_lshrrev_b32_e32 v12, 19, v13
	v_subrev_u32_e32 v16, 28, v15
	v_and_b32_e32 v12, 15, v12
	v_lshlrev_b32_sdwa v16, v16, v13 dst_sel:DWORD dst_unused:UNUSED_PAD src0_sel:DWORD src1_sel:WORD_1
	v_bfe_u32 v14, v13, 19, 4
	v_sub_u32_e32 v15, 29, v15
	v_and_b32_e32 v16, 7, v16
	v_cmp_eq_u16_e32 vcc, 0, v12
	v_cndmask_b32_e32 v11, v11, v16, vcc
	v_cndmask_b32_e32 v12, v14, v15, vcc
	v_lshlrev_b32_e32 v14, 8, v13
	v_mov_b32_e32 v15, 0x3b800000
	v_lshlrev_b32_e32 v11, 20, v11
	v_and_b32_e32 v14, 0x80000000, v14
	v_lshl_add_u32 v12, v12, 23, v15
	v_or3_b32 v12, v14, v12, v11
.LBB41_1400:
	s_or_b64 exec, exec, s[6:7]
	s_nop 0
	v_mfma_f32_16x16x4f32 a[0:3], v10, v12, a[0:3]
	s_movk_i32 s4, 0x7f
	v_cmp_gt_i16_sdwa s[6:7], v17, s4 src0_sel:BYTE_3 src1_sel:DWORD
	s_mov_b64 s[4:5], 0
                                        ; implicit-def: $sgpr10
	s_and_saveexec_b64 s[8:9], s[6:7]
	s_xor_b64 s[6:7], exec, s[8:9]
	s_cbranch_execnz .LBB41_3449
; %bb.1401:
	s_or_saveexec_b64 s[6:7], s[6:7]
	v_mov_b32_e32 v10, s10
	s_xor_b64 exec, exec, s[6:7]
	s_cbranch_execnz .LBB41_3452
.LBB41_1402:
	s_or_b64 exec, exec, s[6:7]
	s_and_saveexec_b64 s[6:7], s[4:5]
	s_cbranch_execz .LBB41_1404
.LBB41_1403:
	v_bfe_u32 v10, v17, 24, 3
	v_ffbh_u32_e32 v15, v10
	v_min_u32_e32 v15, 32, v15
	v_lshrrev_b32_e32 v12, 27, v17
	v_subrev_u32_e32 v16, 28, v15
	v_and_b32_e32 v12, 15, v12
	v_lshlrev_b32_sdwa v16, v16, v17 dst_sel:DWORD dst_unused:UNUSED_PAD src0_sel:DWORD src1_sel:BYTE_3
	v_bfe_u32 v14, v17, 27, 4
	v_sub_u32_e32 v15, 29, v15
	v_and_b32_e32 v16, 7, v16
	v_cmp_eq_u16_e32 vcc, 0, v12
	v_cndmask_b32_e32 v10, v10, v16, vcc
	v_cndmask_b32_e32 v12, v14, v15, vcc
	v_mov_b32_e32 v14, 0x3b800000
	v_and_b32_e32 v11, 0x80000000, v17
	v_lshlrev_b32_e32 v10, 20, v10
	v_lshl_add_u32 v12, v12, 23, v14
	v_or3_b32 v10, v11, v12, v10
.LBB41_1404:
	s_or_b64 exec, exec, s[6:7]
	s_movk_i32 s4, 0x7f
	v_cmp_gt_i16_sdwa s[6:7], v13, s4 src0_sel:BYTE_3 src1_sel:DWORD
	s_mov_b64 s[4:5], 0
                                        ; implicit-def: $sgpr10
	s_and_saveexec_b64 s[8:9], s[6:7]
	s_xor_b64 s[6:7], exec, s[8:9]
	s_cbranch_execnz .LBB41_3453
; %bb.1405:
	s_or_saveexec_b64 s[6:7], s[6:7]
	v_mov_b32_e32 v11, s10
	s_xor_b64 exec, exec, s[6:7]
	s_cbranch_execnz .LBB41_3456
.LBB41_1406:
	s_or_b64 exec, exec, s[6:7]
	s_and_saveexec_b64 s[6:7], s[4:5]
	s_cbranch_execz .LBB41_1408
.LBB41_1407:
	v_bfe_u32 v11, v13, 24, 3
	v_ffbh_u32_e32 v16, v11
	v_min_u32_e32 v16, 32, v16
	v_lshrrev_b32_e32 v14, 27, v13
	v_subrev_u32_e32 v17, 28, v16
	v_and_b32_e32 v12, 0x80000000, v13
	v_and_b32_e32 v14, 15, v14
	v_bfe_u32 v15, v13, 27, 4
	v_lshlrev_b32_sdwa v13, v17, v13 dst_sel:DWORD dst_unused:UNUSED_PAD src0_sel:DWORD src1_sel:BYTE_3
	v_sub_u32_e32 v16, 29, v16
	v_and_b32_e32 v13, 7, v13
	v_cmp_eq_u16_e32 vcc, 0, v14
	v_cndmask_b32_e32 v11, v11, v13, vcc
	v_cndmask_b32_e32 v13, v15, v16, vcc
	v_mov_b32_e32 v14, 0x3b800000
	v_lshlrev_b32_e32 v11, 20, v11
	v_lshl_add_u32 v13, v13, 23, v14
	v_or3_b32 v11, v12, v13, v11
.LBB41_1408:
	s_or_b64 exec, exec, s[6:7]
	s_nop 0
	v_mfma_f32_16x16x4f32 a[0:3], v10, v11, a[0:3]
	s_movk_i32 s4, 0x7f
	v_cmp_gt_i16_sdwa s[6:7], v6, s4 src0_sel:BYTE_0 src1_sel:DWORD
	s_mov_b64 s[4:5], 0
                                        ; implicit-def: $sgpr10
	s_and_saveexec_b64 s[8:9], s[6:7]
	s_xor_b64 s[6:7], exec, s[8:9]
	s_cbranch_execnz .LBB41_3457
; %bb.1409:
	s_or_saveexec_b64 s[6:7], s[6:7]
	v_mov_b32_e32 v10, s10
	s_xor_b64 exec, exec, s[6:7]
	s_cbranch_execnz .LBB41_3460
.LBB41_1410:
	s_or_b64 exec, exec, s[6:7]
	s_and_saveexec_b64 s[6:7], s[4:5]
	s_cbranch_execz .LBB41_1412
.LBB41_1411:
	v_and_b32_e32 v10, 7, v6
	v_ffbh_u32_e32 v12, v10
	v_min_u32_e32 v12, 32, v12
	v_lshrrev_b16_e32 v11, 3, v6
	v_subrev_u32_e32 v13, 28, v12
	v_and_b32_e32 v11, 15, v11
	v_lshlrev_b32_e32 v13, v13, v6
	v_sub_u32_e32 v12, 29, v12
	v_and_b32_e32 v13, 7, v13
	v_cmp_eq_u16_e32 vcc, 0, v11
	v_cndmask_b32_e32 v10, v10, v13, vcc
	v_cndmask_b32_e32 v11, v11, v12, vcc
	v_lshlrev_b32_e32 v12, 24, v6
	v_mov_b32_e32 v13, 0x3b800000
	v_lshlrev_b32_e32 v10, 20, v10
	v_and_b32_e32 v12, 0x80000000, v12
	v_lshl_add_u32 v11, v11, 23, v13
	v_or3_b32 v10, v12, v11, v10
.LBB41_1412:
	s_or_b64 exec, exec, s[6:7]
	s_movk_i32 s4, 0x7f
	v_cmp_gt_i16_sdwa s[6:7], v2, s4 src0_sel:BYTE_0 src1_sel:DWORD
	s_mov_b64 s[4:5], 0
                                        ; implicit-def: $sgpr10
	s_and_saveexec_b64 s[8:9], s[6:7]
	s_xor_b64 s[6:7], exec, s[8:9]
	s_cbranch_execnz .LBB41_3461
; %bb.1413:
	s_or_saveexec_b64 s[6:7], s[6:7]
	v_mov_b32_e32 v11, s10
	s_xor_b64 exec, exec, s[6:7]
	s_cbranch_execnz .LBB41_3464
.LBB41_1414:
	s_or_b64 exec, exec, s[6:7]
	s_and_saveexec_b64 s[6:7], s[4:5]
	s_cbranch_execz .LBB41_1416
.LBB41_1415:
	v_and_b32_e32 v11, 7, v2
	v_ffbh_u32_e32 v13, v11
	v_min_u32_e32 v13, 32, v13
	v_lshrrev_b16_e32 v12, 3, v2
	v_subrev_u32_e32 v14, 28, v13
	v_and_b32_e32 v12, 15, v12
	v_lshlrev_b32_e32 v14, v14, v2
	v_sub_u32_e32 v13, 29, v13
	v_and_b32_e32 v14, 7, v14
	v_cmp_eq_u16_e32 vcc, 0, v12
	v_cndmask_b32_e32 v11, v11, v14, vcc
	v_cndmask_b32_e32 v12, v12, v13, vcc
	v_lshlrev_b32_e32 v13, 24, v2
	v_mov_b32_e32 v14, 0x3b800000
	v_lshlrev_b32_e32 v11, 20, v11
	v_and_b32_e32 v13, 0x80000000, v13
	v_lshl_add_u32 v12, v12, 23, v14
	v_or3_b32 v11, v13, v12, v11
.LBB41_1416:
	s_or_b64 exec, exec, s[6:7]
	s_nop 0
	v_mfma_f32_16x16x4f32 a[0:3], v10, v11, a[0:3]
	v_lshrrev_b32_e32 v11, 8, v6
	s_movk_i32 s4, 0x7f
	v_cmp_gt_i16_sdwa s[6:7], v11, s4 src0_sel:BYTE_0 src1_sel:DWORD
	s_mov_b64 s[4:5], 0
                                        ; implicit-def: $sgpr10
	s_and_saveexec_b64 s[8:9], s[6:7]
	s_xor_b64 s[6:7], exec, s[8:9]
	s_cbranch_execnz .LBB41_3465
; %bb.1417:
	s_or_saveexec_b64 s[6:7], s[6:7]
	v_mov_b32_e32 v10, s10
	s_xor_b64 exec, exec, s[6:7]
	s_cbranch_execnz .LBB41_3468
.LBB41_1418:
	s_or_b64 exec, exec, s[6:7]
	s_and_saveexec_b64 s[6:7], s[4:5]
	s_cbranch_execz .LBB41_1420
.LBB41_1419:
	v_bfe_u32 v10, v6, 8, 3
	v_ffbh_u32_e32 v13, v10
	v_min_u32_e32 v13, 32, v13
	v_lshrrev_b16_e32 v12, 3, v11
	v_subrev_u32_e32 v14, 28, v13
	v_and_b32_e32 v12, 15, v12
	v_lshlrev_b32_e32 v11, v14, v11
	v_sub_u32_e32 v13, 29, v13
	v_and_b32_e32 v11, 7, v11
	v_cmp_eq_u16_e32 vcc, 0, v12
	v_cndmask_b32_e32 v10, v10, v11, vcc
	v_cndmask_b32_e32 v11, v12, v13, vcc
	v_lshlrev_b32_e32 v12, 16, v6
	v_mov_b32_e32 v13, 0x3b800000
	v_lshlrev_b32_e32 v10, 20, v10
	v_and_b32_e32 v12, 0x80000000, v12
	v_lshl_add_u32 v11, v11, 23, v13
	v_or3_b32 v10, v12, v11, v10
.LBB41_1420:
	s_or_b64 exec, exec, s[6:7]
	v_lshrrev_b32_e32 v11, 8, v2
	s_movk_i32 s4, 0x7f
	v_cmp_gt_i16_sdwa s[6:7], v11, s4 src0_sel:BYTE_0 src1_sel:DWORD
	s_mov_b64 s[4:5], 0
                                        ; implicit-def: $sgpr10
	s_and_saveexec_b64 s[8:9], s[6:7]
	s_xor_b64 s[6:7], exec, s[8:9]
	s_cbranch_execnz .LBB41_3469
; %bb.1421:
	s_or_saveexec_b64 s[6:7], s[6:7]
	v_mov_b32_e32 v12, s10
	s_xor_b64 exec, exec, s[6:7]
	s_cbranch_execnz .LBB41_3472
.LBB41_1422:
	s_or_b64 exec, exec, s[6:7]
	s_and_saveexec_b64 s[6:7], s[4:5]
	s_cbranch_execz .LBB41_1424
.LBB41_1423:
	v_bfe_u32 v12, v2, 8, 3
	v_ffbh_u32_e32 v14, v12
	v_min_u32_e32 v14, 32, v14
	v_lshrrev_b16_e32 v13, 3, v11
	v_subrev_u32_e32 v15, 28, v14
	v_and_b32_e32 v13, 15, v13
	v_lshlrev_b32_e32 v11, v15, v11
	v_sub_u32_e32 v14, 29, v14
	v_and_b32_e32 v11, 7, v11
	v_cmp_eq_u16_e32 vcc, 0, v13
	v_cndmask_b32_e32 v11, v12, v11, vcc
	v_cndmask_b32_e32 v12, v13, v14, vcc
	v_lshlrev_b32_e32 v13, 16, v2
	v_mov_b32_e32 v14, 0x3b800000
	v_lshlrev_b32_e32 v11, 20, v11
	v_and_b32_e32 v13, 0x80000000, v13
	v_lshl_add_u32 v12, v12, 23, v14
	v_or3_b32 v12, v13, v12, v11
.LBB41_1424:
	s_or_b64 exec, exec, s[6:7]
	s_nop 0
	v_mfma_f32_16x16x4f32 a[0:3], v10, v12, a[0:3]
	s_movk_i32 s4, 0xff
	v_and_b32_sdwa v11, v6, s4 dst_sel:DWORD dst_unused:UNUSED_PAD src0_sel:WORD_1 src1_sel:DWORD
	s_movk_i32 s4, 0x7f
	v_cmp_lt_i16_e32 vcc, s4, v11
	s_mov_b64 s[4:5], 0
                                        ; implicit-def: $sgpr10
	s_and_saveexec_b64 s[6:7], vcc
	s_xor_b64 s[6:7], exec, s[6:7]
	s_cbranch_execnz .LBB41_3473
; %bb.1425:
	s_or_saveexec_b64 s[6:7], s[6:7]
	v_mov_b32_e32 v10, s10
	s_xor_b64 exec, exec, s[6:7]
	s_cbranch_execnz .LBB41_3476
.LBB41_1426:
	s_or_b64 exec, exec, s[6:7]
	s_and_saveexec_b64 s[6:7], s[4:5]
	s_cbranch_execz .LBB41_1428
.LBB41_1427:
	v_bfe_u32 v10, v6, 16, 3
	v_ffbh_u32_e32 v13, v10
	v_min_u32_e32 v13, 32, v13
	v_lshrrev_b32_e32 v11, 19, v6
	v_subrev_u32_e32 v14, 28, v13
	v_and_b32_e32 v11, 15, v11
	v_lshlrev_b32_sdwa v14, v14, v6 dst_sel:DWORD dst_unused:UNUSED_PAD src0_sel:DWORD src1_sel:WORD_1
	v_bfe_u32 v12, v6, 19, 4
	v_sub_u32_e32 v13, 29, v13
	v_and_b32_e32 v14, 7, v14
	v_cmp_eq_u16_e32 vcc, 0, v11
	v_cndmask_b32_e32 v10, v10, v14, vcc
	v_cndmask_b32_e32 v11, v12, v13, vcc
	v_lshlrev_b32_e32 v12, 8, v6
	v_mov_b32_e32 v13, 0x3b800000
	v_lshlrev_b32_e32 v10, 20, v10
	v_and_b32_e32 v12, 0x80000000, v12
	v_lshl_add_u32 v11, v11, 23, v13
	v_or3_b32 v10, v12, v11, v10
.LBB41_1428:
	s_or_b64 exec, exec, s[6:7]
	s_movk_i32 s4, 0xff
	v_and_b32_sdwa v11, v2, s4 dst_sel:DWORD dst_unused:UNUSED_PAD src0_sel:WORD_1 src1_sel:DWORD
	s_movk_i32 s4, 0x7f
	v_cmp_lt_i16_e32 vcc, s4, v11
	s_mov_b64 s[4:5], 0
                                        ; implicit-def: $sgpr10
	s_and_saveexec_b64 s[6:7], vcc
	s_xor_b64 s[6:7], exec, s[6:7]
	s_cbranch_execnz .LBB41_3477
; %bb.1429:
	s_or_saveexec_b64 s[6:7], s[6:7]
	v_mov_b32_e32 v12, s10
	s_xor_b64 exec, exec, s[6:7]
	s_cbranch_execnz .LBB41_3480
.LBB41_1430:
	s_or_b64 exec, exec, s[6:7]
	s_and_saveexec_b64 s[6:7], s[4:5]
	s_cbranch_execz .LBB41_1432
.LBB41_1431:
	v_bfe_u32 v11, v2, 16, 3
	v_ffbh_u32_e32 v14, v11
	v_min_u32_e32 v14, 32, v14
	v_lshrrev_b32_e32 v12, 19, v2
	v_subrev_u32_e32 v15, 28, v14
	v_and_b32_e32 v12, 15, v12
	v_lshlrev_b32_sdwa v15, v15, v2 dst_sel:DWORD dst_unused:UNUSED_PAD src0_sel:DWORD src1_sel:WORD_1
	v_bfe_u32 v13, v2, 19, 4
	v_sub_u32_e32 v14, 29, v14
	v_and_b32_e32 v15, 7, v15
	v_cmp_eq_u16_e32 vcc, 0, v12
	v_cndmask_b32_e32 v11, v11, v15, vcc
	v_cndmask_b32_e32 v12, v13, v14, vcc
	v_lshlrev_b32_e32 v13, 8, v2
	v_mov_b32_e32 v14, 0x3b800000
	v_lshlrev_b32_e32 v11, 20, v11
	v_and_b32_e32 v13, 0x80000000, v13
	v_lshl_add_u32 v12, v12, 23, v14
	v_or3_b32 v12, v13, v12, v11
.LBB41_1432:
	s_or_b64 exec, exec, s[6:7]
	s_nop 0
	v_mfma_f32_16x16x4f32 a[0:3], v10, v12, a[0:3]
	s_movk_i32 s4, 0x7f
	v_cmp_gt_i16_sdwa s[6:7], v6, s4 src0_sel:BYTE_3 src1_sel:DWORD
	s_mov_b64 s[4:5], 0
                                        ; implicit-def: $sgpr10
	s_and_saveexec_b64 s[8:9], s[6:7]
	s_xor_b64 s[6:7], exec, s[8:9]
	s_cbranch_execnz .LBB41_3481
; %bb.1433:
	s_or_saveexec_b64 s[6:7], s[6:7]
	v_mov_b32_e32 v10, s10
	s_xor_b64 exec, exec, s[6:7]
	s_cbranch_execnz .LBB41_3484
.LBB41_1434:
	s_or_b64 exec, exec, s[6:7]
	s_and_saveexec_b64 s[6:7], s[4:5]
	s_cbranch_execz .LBB41_1436
.LBB41_1435:
	v_bfe_u32 v10, v6, 24, 3
	v_ffbh_u32_e32 v14, v10
	v_min_u32_e32 v14, 32, v14
	v_lshrrev_b32_e32 v12, 27, v6
	v_subrev_u32_e32 v15, 28, v14
	v_and_b32_e32 v11, 0x80000000, v6
	v_and_b32_e32 v12, 15, v12
	v_bfe_u32 v13, v6, 27, 4
	v_lshlrev_b32_sdwa v6, v15, v6 dst_sel:DWORD dst_unused:UNUSED_PAD src0_sel:DWORD src1_sel:BYTE_3
	v_sub_u32_e32 v14, 29, v14
	v_and_b32_e32 v6, 7, v6
	v_cmp_eq_u16_e32 vcc, 0, v12
	v_cndmask_b32_e32 v6, v10, v6, vcc
	v_cndmask_b32_e32 v10, v13, v14, vcc
	v_mov_b32_e32 v12, 0x3b800000
	v_lshlrev_b32_e32 v6, 20, v6
	v_lshl_add_u32 v10, v10, 23, v12
	v_or3_b32 v10, v11, v10, v6
.LBB41_1436:
	s_or_b64 exec, exec, s[6:7]
	s_movk_i32 s4, 0x7f
	v_cmp_gt_i16_sdwa s[6:7], v2, s4 src0_sel:BYTE_3 src1_sel:DWORD
	s_mov_b64 s[4:5], 0
                                        ; implicit-def: $sgpr10
	s_and_saveexec_b64 s[8:9], s[6:7]
	s_xor_b64 s[6:7], exec, s[8:9]
	s_cbranch_execnz .LBB41_3485
; %bb.1437:
	s_or_saveexec_b64 s[6:7], s[6:7]
	v_mov_b32_e32 v6, s10
	s_xor_b64 exec, exec, s[6:7]
	s_cbranch_execnz .LBB41_3488
.LBB41_1438:
	s_or_b64 exec, exec, s[6:7]
	s_and_saveexec_b64 s[6:7], s[4:5]
	s_cbranch_execz .LBB41_1440
.LBB41_1439:
	v_bfe_u32 v6, v2, 24, 3
	v_ffbh_u32_e32 v14, v6
	v_min_u32_e32 v14, 32, v14
	v_lshrrev_b32_e32 v12, 27, v2
	v_subrev_u32_e32 v15, 28, v14
	v_and_b32_e32 v11, 0x80000000, v2
	v_and_b32_e32 v12, 15, v12
	v_bfe_u32 v13, v2, 27, 4
	v_lshlrev_b32_sdwa v2, v15, v2 dst_sel:DWORD dst_unused:UNUSED_PAD src0_sel:DWORD src1_sel:BYTE_3
	v_sub_u32_e32 v14, 29, v14
	v_and_b32_e32 v2, 7, v2
	v_cmp_eq_u16_e32 vcc, 0, v12
	v_cndmask_b32_e32 v2, v6, v2, vcc
	v_cndmask_b32_e32 v6, v13, v14, vcc
	v_mov_b32_e32 v12, 0x3b800000
	v_lshlrev_b32_e32 v2, 20, v2
	v_lshl_add_u32 v6, v6, 23, v12
	v_or3_b32 v6, v11, v6, v2
.LBB41_1440:
	s_or_b64 exec, exec, s[6:7]
	s_nop 0
	v_mfma_f32_16x16x4f32 a[0:3], v10, v6, a[0:3]
	s_movk_i32 s4, 0x7f
	v_cmp_gt_i16_sdwa s[6:7], v7, s4 src0_sel:BYTE_0 src1_sel:DWORD
	s_mov_b64 s[4:5], 0
                                        ; implicit-def: $sgpr10
	s_and_saveexec_b64 s[8:9], s[6:7]
	s_xor_b64 s[6:7], exec, s[8:9]
	s_cbranch_execnz .LBB41_3489
; %bb.1441:
	s_or_saveexec_b64 s[6:7], s[6:7]
	v_mov_b32_e32 v2, s10
	s_xor_b64 exec, exec, s[6:7]
	s_cbranch_execnz .LBB41_3492
.LBB41_1442:
	s_or_b64 exec, exec, s[6:7]
	s_and_saveexec_b64 s[6:7], s[4:5]
	s_cbranch_execz .LBB41_1444
.LBB41_1443:
	v_and_b32_e32 v2, 7, v7
	v_ffbh_u32_e32 v10, v2
	v_min_u32_e32 v10, 32, v10
	v_lshrrev_b16_e32 v6, 3, v7
	v_subrev_u32_e32 v11, 28, v10
	v_and_b32_e32 v6, 15, v6
	v_lshlrev_b32_e32 v11, v11, v7
	v_sub_u32_e32 v10, 29, v10
	v_and_b32_e32 v11, 7, v11
	v_cmp_eq_u16_e32 vcc, 0, v6
	v_cndmask_b32_e32 v2, v2, v11, vcc
	v_cndmask_b32_e32 v6, v6, v10, vcc
	v_lshlrev_b32_e32 v10, 24, v7
	v_mov_b32_e32 v11, 0x3b800000
	v_lshlrev_b32_e32 v2, 20, v2
	v_and_b32_e32 v10, 0x80000000, v10
	v_lshl_add_u32 v6, v6, 23, v11
	v_or3_b32 v2, v10, v6, v2
.LBB41_1444:
	s_or_b64 exec, exec, s[6:7]
	s_movk_i32 s4, 0x7f
	v_cmp_gt_i16_sdwa s[6:7], v3, s4 src0_sel:BYTE_0 src1_sel:DWORD
	s_mov_b64 s[4:5], 0
                                        ; implicit-def: $sgpr10
	s_and_saveexec_b64 s[8:9], s[6:7]
	s_xor_b64 s[6:7], exec, s[8:9]
	s_cbranch_execnz .LBB41_3493
; %bb.1445:
	s_or_saveexec_b64 s[6:7], s[6:7]
	v_mov_b32_e32 v6, s10
	s_xor_b64 exec, exec, s[6:7]
	s_cbranch_execnz .LBB41_3496
.LBB41_1446:
	s_or_b64 exec, exec, s[6:7]
	s_and_saveexec_b64 s[6:7], s[4:5]
	s_cbranch_execz .LBB41_1448
.LBB41_1447:
	v_and_b32_e32 v6, 7, v3
	v_ffbh_u32_e32 v11, v6
	v_min_u32_e32 v11, 32, v11
	v_lshrrev_b16_e32 v10, 3, v3
	v_subrev_u32_e32 v12, 28, v11
	v_and_b32_e32 v10, 15, v10
	v_lshlrev_b32_e32 v12, v12, v3
	v_sub_u32_e32 v11, 29, v11
	v_and_b32_e32 v12, 7, v12
	v_cmp_eq_u16_e32 vcc, 0, v10
	v_cndmask_b32_e32 v6, v6, v12, vcc
	v_cndmask_b32_e32 v10, v10, v11, vcc
	v_lshlrev_b32_e32 v11, 24, v3
	v_mov_b32_e32 v12, 0x3b800000
	v_lshlrev_b32_e32 v6, 20, v6
	v_and_b32_e32 v11, 0x80000000, v11
	v_lshl_add_u32 v10, v10, 23, v12
	v_or3_b32 v6, v11, v10, v6
.LBB41_1448:
	s_or_b64 exec, exec, s[6:7]
	s_nop 0
	v_mfma_f32_16x16x4f32 a[0:3], v2, v6, a[0:3]
	v_lshrrev_b32_e32 v6, 8, v7
	s_movk_i32 s4, 0x7f
	v_cmp_gt_i16_sdwa s[6:7], v6, s4 src0_sel:BYTE_0 src1_sel:DWORD
	s_mov_b64 s[4:5], 0
                                        ; implicit-def: $sgpr10
	s_and_saveexec_b64 s[8:9], s[6:7]
	s_xor_b64 s[6:7], exec, s[8:9]
	s_cbranch_execnz .LBB41_3497
; %bb.1449:
	s_or_saveexec_b64 s[6:7], s[6:7]
	v_mov_b32_e32 v2, s10
	s_xor_b64 exec, exec, s[6:7]
	s_cbranch_execnz .LBB41_3500
.LBB41_1450:
	s_or_b64 exec, exec, s[6:7]
	s_and_saveexec_b64 s[6:7], s[4:5]
	s_cbranch_execz .LBB41_1452
.LBB41_1451:
	v_bfe_u32 v2, v7, 8, 3
	v_ffbh_u32_e32 v11, v2
	v_min_u32_e32 v11, 32, v11
	v_lshrrev_b16_e32 v10, 3, v6
	v_subrev_u32_e32 v12, 28, v11
	v_and_b32_e32 v10, 15, v10
	v_lshlrev_b32_e32 v6, v12, v6
	v_sub_u32_e32 v11, 29, v11
	v_and_b32_e32 v6, 7, v6
	v_cmp_eq_u16_e32 vcc, 0, v10
	v_cndmask_b32_e32 v2, v2, v6, vcc
	v_cndmask_b32_e32 v6, v10, v11, vcc
	v_lshlrev_b32_e32 v10, 16, v7
	v_mov_b32_e32 v11, 0x3b800000
	v_lshlrev_b32_e32 v2, 20, v2
	v_and_b32_e32 v10, 0x80000000, v10
	v_lshl_add_u32 v6, v6, 23, v11
	v_or3_b32 v2, v10, v6, v2
.LBB41_1452:
	s_or_b64 exec, exec, s[6:7]
	v_lshrrev_b32_e32 v6, 8, v3
	s_movk_i32 s4, 0x7f
	v_cmp_gt_i16_sdwa s[6:7], v6, s4 src0_sel:BYTE_0 src1_sel:DWORD
	s_mov_b64 s[4:5], 0
                                        ; implicit-def: $sgpr10
	s_and_saveexec_b64 s[8:9], s[6:7]
	s_xor_b64 s[6:7], exec, s[8:9]
	s_cbranch_execnz .LBB41_3501
; %bb.1453:
	s_or_saveexec_b64 s[6:7], s[6:7]
	v_mov_b32_e32 v10, s10
	s_xor_b64 exec, exec, s[6:7]
	s_cbranch_execnz .LBB41_3504
.LBB41_1454:
	s_or_b64 exec, exec, s[6:7]
	s_and_saveexec_b64 s[6:7], s[4:5]
	s_cbranch_execz .LBB41_1456
.LBB41_1455:
	v_bfe_u32 v10, v3, 8, 3
	v_ffbh_u32_e32 v12, v10
	v_min_u32_e32 v12, 32, v12
	v_lshrrev_b16_e32 v11, 3, v6
	v_subrev_u32_e32 v13, 28, v12
	v_and_b32_e32 v11, 15, v11
	v_lshlrev_b32_e32 v6, v13, v6
	v_sub_u32_e32 v12, 29, v12
	v_and_b32_e32 v6, 7, v6
	v_cmp_eq_u16_e32 vcc, 0, v11
	v_cndmask_b32_e32 v6, v10, v6, vcc
	v_cndmask_b32_e32 v10, v11, v12, vcc
	v_lshlrev_b32_e32 v11, 16, v3
	v_mov_b32_e32 v12, 0x3b800000
	v_lshlrev_b32_e32 v6, 20, v6
	v_and_b32_e32 v11, 0x80000000, v11
	v_lshl_add_u32 v10, v10, 23, v12
	v_or3_b32 v10, v11, v10, v6
.LBB41_1456:
	s_or_b64 exec, exec, s[6:7]
	s_nop 0
	v_mfma_f32_16x16x4f32 a[0:3], v2, v10, a[0:3]
	s_movk_i32 s4, 0xff
	v_and_b32_sdwa v6, v7, s4 dst_sel:DWORD dst_unused:UNUSED_PAD src0_sel:WORD_1 src1_sel:DWORD
	s_movk_i32 s4, 0x7f
	v_cmp_lt_i16_e32 vcc, s4, v6
	s_mov_b64 s[4:5], 0
                                        ; implicit-def: $sgpr10
	s_and_saveexec_b64 s[6:7], vcc
	s_xor_b64 s[6:7], exec, s[6:7]
	s_cbranch_execnz .LBB41_3505
; %bb.1457:
	s_or_saveexec_b64 s[6:7], s[6:7]
	v_mov_b32_e32 v2, s10
	s_xor_b64 exec, exec, s[6:7]
	s_cbranch_execnz .LBB41_3508
.LBB41_1458:
	s_or_b64 exec, exec, s[6:7]
	s_and_saveexec_b64 s[6:7], s[4:5]
	s_cbranch_execz .LBB41_1460
.LBB41_1459:
	v_bfe_u32 v2, v7, 16, 3
	v_ffbh_u32_e32 v11, v2
	v_min_u32_e32 v11, 32, v11
	v_lshrrev_b32_e32 v6, 19, v7
	v_subrev_u32_e32 v12, 28, v11
	v_and_b32_e32 v6, 15, v6
	v_lshlrev_b32_sdwa v12, v12, v7 dst_sel:DWORD dst_unused:UNUSED_PAD src0_sel:DWORD src1_sel:WORD_1
	v_bfe_u32 v10, v7, 19, 4
	v_sub_u32_e32 v11, 29, v11
	v_and_b32_e32 v12, 7, v12
	v_cmp_eq_u16_e32 vcc, 0, v6
	v_cndmask_b32_e32 v2, v2, v12, vcc
	v_cndmask_b32_e32 v6, v10, v11, vcc
	v_lshlrev_b32_e32 v10, 8, v7
	v_mov_b32_e32 v11, 0x3b800000
	v_lshlrev_b32_e32 v2, 20, v2
	v_and_b32_e32 v10, 0x80000000, v10
	v_lshl_add_u32 v6, v6, 23, v11
	v_or3_b32 v2, v10, v6, v2
.LBB41_1460:
	s_or_b64 exec, exec, s[6:7]
	s_movk_i32 s4, 0xff
	v_and_b32_sdwa v6, v3, s4 dst_sel:DWORD dst_unused:UNUSED_PAD src0_sel:WORD_1 src1_sel:DWORD
	s_movk_i32 s4, 0x7f
	v_cmp_lt_i16_e32 vcc, s4, v6
	s_mov_b64 s[4:5], 0
                                        ; implicit-def: $sgpr10
	s_and_saveexec_b64 s[6:7], vcc
	s_xor_b64 s[6:7], exec, s[6:7]
	s_cbranch_execnz .LBB41_3509
; %bb.1461:
	s_or_saveexec_b64 s[6:7], s[6:7]
	v_mov_b32_e32 v10, s10
	s_xor_b64 exec, exec, s[6:7]
	s_cbranch_execnz .LBB41_3512
.LBB41_1462:
	s_or_b64 exec, exec, s[6:7]
	s_and_saveexec_b64 s[6:7], s[4:5]
	s_cbranch_execz .LBB41_1464
.LBB41_1463:
	v_bfe_u32 v6, v3, 16, 3
	v_ffbh_u32_e32 v12, v6
	v_min_u32_e32 v12, 32, v12
	v_lshrrev_b32_e32 v10, 19, v3
	v_subrev_u32_e32 v13, 28, v12
	v_and_b32_e32 v10, 15, v10
	v_lshlrev_b32_sdwa v13, v13, v3 dst_sel:DWORD dst_unused:UNUSED_PAD src0_sel:DWORD src1_sel:WORD_1
	v_bfe_u32 v11, v3, 19, 4
	v_sub_u32_e32 v12, 29, v12
	v_and_b32_e32 v13, 7, v13
	v_cmp_eq_u16_e32 vcc, 0, v10
	v_cndmask_b32_e32 v6, v6, v13, vcc
	v_cndmask_b32_e32 v10, v11, v12, vcc
	v_lshlrev_b32_e32 v11, 8, v3
	v_mov_b32_e32 v12, 0x3b800000
	v_lshlrev_b32_e32 v6, 20, v6
	v_and_b32_e32 v11, 0x80000000, v11
	v_lshl_add_u32 v10, v10, 23, v12
	v_or3_b32 v10, v11, v10, v6
.LBB41_1464:
	s_or_b64 exec, exec, s[6:7]
	s_nop 0
	v_mfma_f32_16x16x4f32 a[0:3], v2, v10, a[0:3]
	s_movk_i32 s4, 0x7f
	v_cmp_gt_i16_sdwa s[6:7], v7, s4 src0_sel:BYTE_3 src1_sel:DWORD
	s_mov_b64 s[4:5], 0
                                        ; implicit-def: $sgpr10
	s_and_saveexec_b64 s[8:9], s[6:7]
	s_xor_b64 s[6:7], exec, s[8:9]
	s_cbranch_execnz .LBB41_3513
; %bb.1465:
	s_or_saveexec_b64 s[6:7], s[6:7]
	v_mov_b32_e32 v2, s10
	s_xor_b64 exec, exec, s[6:7]
	s_cbranch_execnz .LBB41_3516
.LBB41_1466:
	s_or_b64 exec, exec, s[6:7]
	s_and_saveexec_b64 s[6:7], s[4:5]
	s_cbranch_execz .LBB41_1468
.LBB41_1467:
	v_bfe_u32 v2, v7, 24, 3
	v_ffbh_u32_e32 v12, v2
	v_min_u32_e32 v12, 32, v12
	v_lshrrev_b32_e32 v10, 27, v7
	v_subrev_u32_e32 v13, 28, v12
	v_and_b32_e32 v6, 0x80000000, v7
	v_and_b32_e32 v10, 15, v10
	v_bfe_u32 v11, v7, 27, 4
	v_lshlrev_b32_sdwa v7, v13, v7 dst_sel:DWORD dst_unused:UNUSED_PAD src0_sel:DWORD src1_sel:BYTE_3
	v_sub_u32_e32 v12, 29, v12
	v_and_b32_e32 v7, 7, v7
	v_cmp_eq_u16_e32 vcc, 0, v10
	v_cndmask_b32_e32 v2, v2, v7, vcc
	v_cndmask_b32_e32 v7, v11, v12, vcc
	v_mov_b32_e32 v10, 0x3b800000
	v_lshlrev_b32_e32 v2, 20, v2
	v_lshl_add_u32 v7, v7, 23, v10
	v_or3_b32 v2, v6, v7, v2
.LBB41_1468:
	s_or_b64 exec, exec, s[6:7]
	s_movk_i32 s4, 0x7f
	v_cmp_gt_i16_sdwa s[6:7], v3, s4 src0_sel:BYTE_3 src1_sel:DWORD
	s_mov_b64 s[4:5], 0
                                        ; implicit-def: $sgpr10
	s_and_saveexec_b64 s[8:9], s[6:7]
	s_xor_b64 s[6:7], exec, s[8:9]
	s_cbranch_execnz .LBB41_3517
; %bb.1469:
	s_or_saveexec_b64 s[6:7], s[6:7]
	v_mov_b32_e32 v6, s10
	s_xor_b64 exec, exec, s[6:7]
	s_cbranch_execnz .LBB41_3520
.LBB41_1470:
	s_or_b64 exec, exec, s[6:7]
	s_and_saveexec_b64 s[6:7], s[4:5]
	s_cbranch_execz .LBB41_1472
.LBB41_1471:
	v_bfe_u32 v6, v3, 24, 3
	v_ffbh_u32_e32 v12, v6
	v_min_u32_e32 v12, 32, v12
	v_lshrrev_b32_e32 v10, 27, v3
	v_subrev_u32_e32 v13, 28, v12
	v_and_b32_e32 v7, 0x80000000, v3
	v_and_b32_e32 v10, 15, v10
	v_bfe_u32 v11, v3, 27, 4
	v_lshlrev_b32_sdwa v3, v13, v3 dst_sel:DWORD dst_unused:UNUSED_PAD src0_sel:DWORD src1_sel:BYTE_3
	v_sub_u32_e32 v12, 29, v12
	v_and_b32_e32 v3, 7, v3
	v_cmp_eq_u16_e32 vcc, 0, v10
	v_cndmask_b32_e32 v3, v6, v3, vcc
	v_cndmask_b32_e32 v6, v11, v12, vcc
	v_mov_b32_e32 v10, 0x3b800000
	v_lshlrev_b32_e32 v3, 20, v3
	v_lshl_add_u32 v6, v6, 23, v10
	v_or3_b32 v6, v7, v6, v3
.LBB41_1472:
	s_or_b64 exec, exec, s[6:7]
	s_nop 0
	v_mfma_f32_16x16x4f32 a[0:3], v2, v6, a[0:3]
	s_movk_i32 s4, 0x7f
	v_cmp_gt_i16_sdwa s[6:7], v8, s4 src0_sel:BYTE_0 src1_sel:DWORD
	s_mov_b64 s[4:5], 0
                                        ; implicit-def: $sgpr10
	s_and_saveexec_b64 s[8:9], s[6:7]
	s_xor_b64 s[6:7], exec, s[8:9]
	s_cbranch_execnz .LBB41_3521
; %bb.1473:
	s_or_saveexec_b64 s[6:7], s[6:7]
	v_mov_b32_e32 v2, s10
	s_xor_b64 exec, exec, s[6:7]
	s_cbranch_execnz .LBB41_3524
.LBB41_1474:
	s_or_b64 exec, exec, s[6:7]
	s_and_saveexec_b64 s[6:7], s[4:5]
	s_cbranch_execz .LBB41_1476
.LBB41_1475:
	v_and_b32_e32 v2, 7, v8
	v_ffbh_u32_e32 v6, v2
	v_min_u32_e32 v6, 32, v6
	v_lshrrev_b16_e32 v3, 3, v8
	v_subrev_u32_e32 v7, 28, v6
	v_and_b32_e32 v3, 15, v3
	v_lshlrev_b32_e32 v7, v7, v8
	v_sub_u32_e32 v6, 29, v6
	v_and_b32_e32 v7, 7, v7
	v_cmp_eq_u16_e32 vcc, 0, v3
	v_cndmask_b32_e32 v2, v2, v7, vcc
	v_cndmask_b32_e32 v3, v3, v6, vcc
	v_lshlrev_b32_e32 v6, 24, v8
	v_mov_b32_e32 v7, 0x3b800000
	v_lshlrev_b32_e32 v2, 20, v2
	v_and_b32_e32 v6, 0x80000000, v6
	v_lshl_add_u32 v3, v3, 23, v7
	v_or3_b32 v2, v6, v3, v2
.LBB41_1476:
	s_or_b64 exec, exec, s[6:7]
	s_movk_i32 s4, 0x7f
	v_cmp_gt_i16_sdwa s[6:7], v4, s4 src0_sel:BYTE_0 src1_sel:DWORD
	s_mov_b64 s[4:5], 0
                                        ; implicit-def: $sgpr10
	s_and_saveexec_b64 s[8:9], s[6:7]
	s_xor_b64 s[6:7], exec, s[8:9]
	s_cbranch_execnz .LBB41_3525
; %bb.1477:
	s_or_saveexec_b64 s[6:7], s[6:7]
	v_mov_b32_e32 v3, s10
	s_xor_b64 exec, exec, s[6:7]
	s_cbranch_execnz .LBB41_3528
.LBB41_1478:
	s_or_b64 exec, exec, s[6:7]
	s_and_saveexec_b64 s[6:7], s[4:5]
	s_cbranch_execz .LBB41_1480
.LBB41_1479:
	v_and_b32_e32 v3, 7, v4
	v_ffbh_u32_e32 v7, v3
	v_min_u32_e32 v7, 32, v7
	v_lshrrev_b16_e32 v6, 3, v4
	v_subrev_u32_e32 v10, 28, v7
	v_and_b32_e32 v6, 15, v6
	v_lshlrev_b32_e32 v10, v10, v4
	v_sub_u32_e32 v7, 29, v7
	v_and_b32_e32 v10, 7, v10
	v_cmp_eq_u16_e32 vcc, 0, v6
	v_cndmask_b32_e32 v3, v3, v10, vcc
	v_cndmask_b32_e32 v6, v6, v7, vcc
	v_lshlrev_b32_e32 v7, 24, v4
	v_mov_b32_e32 v10, 0x3b800000
	v_lshlrev_b32_e32 v3, 20, v3
	v_and_b32_e32 v7, 0x80000000, v7
	v_lshl_add_u32 v6, v6, 23, v10
	v_or3_b32 v3, v7, v6, v3
.LBB41_1480:
	s_or_b64 exec, exec, s[6:7]
	s_nop 0
	v_mfma_f32_16x16x4f32 a[0:3], v2, v3, a[0:3]
	v_lshrrev_b32_e32 v3, 8, v8
	s_movk_i32 s4, 0x7f
	v_cmp_gt_i16_sdwa s[6:7], v3, s4 src0_sel:BYTE_0 src1_sel:DWORD
	s_mov_b64 s[4:5], 0
                                        ; implicit-def: $sgpr10
	s_and_saveexec_b64 s[8:9], s[6:7]
	s_xor_b64 s[6:7], exec, s[8:9]
	s_cbranch_execnz .LBB41_3529
; %bb.1481:
	s_or_saveexec_b64 s[6:7], s[6:7]
	v_mov_b32_e32 v2, s10
	s_xor_b64 exec, exec, s[6:7]
	s_cbranch_execnz .LBB41_3532
.LBB41_1482:
	s_or_b64 exec, exec, s[6:7]
	s_and_saveexec_b64 s[6:7], s[4:5]
	s_cbranch_execz .LBB41_1484
.LBB41_1483:
	v_bfe_u32 v2, v8, 8, 3
	v_ffbh_u32_e32 v7, v2
	v_min_u32_e32 v7, 32, v7
	v_lshrrev_b16_e32 v6, 3, v3
	v_subrev_u32_e32 v10, 28, v7
	v_and_b32_e32 v6, 15, v6
	v_lshlrev_b32_e32 v3, v10, v3
	v_sub_u32_e32 v7, 29, v7
	v_and_b32_e32 v3, 7, v3
	v_cmp_eq_u16_e32 vcc, 0, v6
	v_cndmask_b32_e32 v2, v2, v3, vcc
	v_cndmask_b32_e32 v3, v6, v7, vcc
	v_lshlrev_b32_e32 v6, 16, v8
	v_mov_b32_e32 v7, 0x3b800000
	v_lshlrev_b32_e32 v2, 20, v2
	v_and_b32_e32 v6, 0x80000000, v6
	v_lshl_add_u32 v3, v3, 23, v7
	v_or3_b32 v2, v6, v3, v2
.LBB41_1484:
	s_or_b64 exec, exec, s[6:7]
	v_lshrrev_b32_e32 v3, 8, v4
	s_movk_i32 s4, 0x7f
	v_cmp_gt_i16_sdwa s[6:7], v3, s4 src0_sel:BYTE_0 src1_sel:DWORD
	s_mov_b64 s[4:5], 0
                                        ; implicit-def: $sgpr10
	s_and_saveexec_b64 s[8:9], s[6:7]
	s_xor_b64 s[6:7], exec, s[8:9]
	s_cbranch_execnz .LBB41_3533
; %bb.1485:
	s_or_saveexec_b64 s[6:7], s[6:7]
	v_mov_b32_e32 v6, s10
	s_xor_b64 exec, exec, s[6:7]
	s_cbranch_execnz .LBB41_3536
.LBB41_1486:
	s_or_b64 exec, exec, s[6:7]
	s_and_saveexec_b64 s[6:7], s[4:5]
	s_cbranch_execz .LBB41_1488
.LBB41_1487:
	v_bfe_u32 v6, v4, 8, 3
	v_ffbh_u32_e32 v10, v6
	v_min_u32_e32 v10, 32, v10
	v_lshrrev_b16_e32 v7, 3, v3
	v_subrev_u32_e32 v11, 28, v10
	v_and_b32_e32 v7, 15, v7
	v_lshlrev_b32_e32 v3, v11, v3
	v_sub_u32_e32 v10, 29, v10
	v_and_b32_e32 v3, 7, v3
	v_cmp_eq_u16_e32 vcc, 0, v7
	v_cndmask_b32_e32 v3, v6, v3, vcc
	v_cndmask_b32_e32 v6, v7, v10, vcc
	v_lshlrev_b32_e32 v7, 16, v4
	v_mov_b32_e32 v10, 0x3b800000
	v_lshlrev_b32_e32 v3, 20, v3
	v_and_b32_e32 v7, 0x80000000, v7
	v_lshl_add_u32 v6, v6, 23, v10
	v_or3_b32 v6, v7, v6, v3
.LBB41_1488:
	s_or_b64 exec, exec, s[6:7]
	s_nop 0
	v_mfma_f32_16x16x4f32 a[0:3], v2, v6, a[0:3]
	s_movk_i32 s4, 0xff
	v_and_b32_sdwa v3, v8, s4 dst_sel:DWORD dst_unused:UNUSED_PAD src0_sel:WORD_1 src1_sel:DWORD
	s_movk_i32 s4, 0x7f
	v_cmp_lt_i16_e32 vcc, s4, v3
	s_mov_b64 s[4:5], 0
                                        ; implicit-def: $sgpr10
	s_and_saveexec_b64 s[6:7], vcc
	s_xor_b64 s[6:7], exec, s[6:7]
	s_cbranch_execnz .LBB41_3537
; %bb.1489:
	s_or_saveexec_b64 s[6:7], s[6:7]
	v_mov_b32_e32 v2, s10
	s_xor_b64 exec, exec, s[6:7]
	s_cbranch_execnz .LBB41_3540
.LBB41_1490:
	s_or_b64 exec, exec, s[6:7]
	s_and_saveexec_b64 s[6:7], s[4:5]
	s_cbranch_execz .LBB41_1492
.LBB41_1491:
	v_bfe_u32 v2, v8, 16, 3
	v_ffbh_u32_e32 v7, v2
	v_min_u32_e32 v7, 32, v7
	v_lshrrev_b32_e32 v3, 19, v8
	v_subrev_u32_e32 v10, 28, v7
	v_and_b32_e32 v3, 15, v3
	v_lshlrev_b32_sdwa v10, v10, v8 dst_sel:DWORD dst_unused:UNUSED_PAD src0_sel:DWORD src1_sel:WORD_1
	v_bfe_u32 v6, v8, 19, 4
	v_sub_u32_e32 v7, 29, v7
	v_and_b32_e32 v10, 7, v10
	v_cmp_eq_u16_e32 vcc, 0, v3
	v_cndmask_b32_e32 v2, v2, v10, vcc
	v_cndmask_b32_e32 v3, v6, v7, vcc
	v_lshlrev_b32_e32 v6, 8, v8
	v_mov_b32_e32 v7, 0x3b800000
	v_lshlrev_b32_e32 v2, 20, v2
	v_and_b32_e32 v6, 0x80000000, v6
	v_lshl_add_u32 v3, v3, 23, v7
	v_or3_b32 v2, v6, v3, v2
.LBB41_1492:
	s_or_b64 exec, exec, s[6:7]
	s_movk_i32 s4, 0xff
	v_and_b32_sdwa v3, v4, s4 dst_sel:DWORD dst_unused:UNUSED_PAD src0_sel:WORD_1 src1_sel:DWORD
	s_movk_i32 s4, 0x7f
	v_cmp_lt_i16_e32 vcc, s4, v3
	s_mov_b64 s[4:5], 0
                                        ; implicit-def: $sgpr10
	s_and_saveexec_b64 s[6:7], vcc
	s_xor_b64 s[6:7], exec, s[6:7]
	s_cbranch_execnz .LBB41_3541
; %bb.1493:
	s_or_saveexec_b64 s[6:7], s[6:7]
	v_mov_b32_e32 v6, s10
	s_xor_b64 exec, exec, s[6:7]
	s_cbranch_execnz .LBB41_3544
.LBB41_1494:
	s_or_b64 exec, exec, s[6:7]
	s_and_saveexec_b64 s[6:7], s[4:5]
	s_cbranch_execz .LBB41_1496
.LBB41_1495:
	v_bfe_u32 v3, v4, 16, 3
	v_ffbh_u32_e32 v10, v3
	v_min_u32_e32 v10, 32, v10
	v_lshrrev_b32_e32 v6, 19, v4
	v_subrev_u32_e32 v11, 28, v10
	v_and_b32_e32 v6, 15, v6
	v_lshlrev_b32_sdwa v11, v11, v4 dst_sel:DWORD dst_unused:UNUSED_PAD src0_sel:DWORD src1_sel:WORD_1
	v_bfe_u32 v7, v4, 19, 4
	v_sub_u32_e32 v10, 29, v10
	v_and_b32_e32 v11, 7, v11
	v_cmp_eq_u16_e32 vcc, 0, v6
	v_cndmask_b32_e32 v3, v3, v11, vcc
	v_cndmask_b32_e32 v6, v7, v10, vcc
	v_lshlrev_b32_e32 v7, 8, v4
	v_mov_b32_e32 v10, 0x3b800000
	v_lshlrev_b32_e32 v3, 20, v3
	v_and_b32_e32 v7, 0x80000000, v7
	v_lshl_add_u32 v6, v6, 23, v10
	v_or3_b32 v6, v7, v6, v3
.LBB41_1496:
	s_or_b64 exec, exec, s[6:7]
	s_nop 0
	v_mfma_f32_16x16x4f32 a[0:3], v2, v6, a[0:3]
	s_movk_i32 s4, 0x7f
	v_cmp_gt_i16_sdwa s[6:7], v8, s4 src0_sel:BYTE_3 src1_sel:DWORD
	s_mov_b64 s[4:5], 0
                                        ; implicit-def: $sgpr10
	s_and_saveexec_b64 s[8:9], s[6:7]
	s_xor_b64 s[6:7], exec, s[8:9]
	s_cbranch_execnz .LBB41_3545
; %bb.1497:
	s_or_saveexec_b64 s[6:7], s[6:7]
	v_mov_b32_e32 v2, s10
	s_xor_b64 exec, exec, s[6:7]
	s_cbranch_execnz .LBB41_3548
.LBB41_1498:
	s_or_b64 exec, exec, s[6:7]
	s_and_saveexec_b64 s[6:7], s[4:5]
	s_cbranch_execz .LBB41_1500
.LBB41_1499:
	v_bfe_u32 v2, v8, 24, 3
	v_ffbh_u32_e32 v10, v2
	v_min_u32_e32 v10, 32, v10
	v_lshrrev_b32_e32 v6, 27, v8
	v_subrev_u32_e32 v11, 28, v10
	v_and_b32_e32 v3, 0x80000000, v8
	v_and_b32_e32 v6, 15, v6
	v_bfe_u32 v7, v8, 27, 4
	v_lshlrev_b32_sdwa v8, v11, v8 dst_sel:DWORD dst_unused:UNUSED_PAD src0_sel:DWORD src1_sel:BYTE_3
	v_sub_u32_e32 v10, 29, v10
	v_and_b32_e32 v8, 7, v8
	v_cmp_eq_u16_e32 vcc, 0, v6
	v_cndmask_b32_e32 v2, v2, v8, vcc
	v_cndmask_b32_e32 v6, v7, v10, vcc
	v_mov_b32_e32 v7, 0x3b800000
	v_lshlrev_b32_e32 v2, 20, v2
	v_lshl_add_u32 v6, v6, 23, v7
	v_or3_b32 v2, v3, v6, v2
.LBB41_1500:
	s_or_b64 exec, exec, s[6:7]
	s_movk_i32 s4, 0x7f
	v_cmp_gt_i16_sdwa s[6:7], v4, s4 src0_sel:BYTE_3 src1_sel:DWORD
	s_mov_b64 s[4:5], 0
                                        ; implicit-def: $sgpr10
	s_and_saveexec_b64 s[8:9], s[6:7]
	s_xor_b64 s[6:7], exec, s[8:9]
	s_cbranch_execnz .LBB41_3549
; %bb.1501:
	s_or_saveexec_b64 s[6:7], s[6:7]
	v_mov_b32_e32 v3, s10
	s_xor_b64 exec, exec, s[6:7]
	s_cbranch_execnz .LBB41_3552
.LBB41_1502:
	s_or_b64 exec, exec, s[6:7]
	s_and_saveexec_b64 s[6:7], s[4:5]
	s_cbranch_execz .LBB41_1504
.LBB41_1503:
	v_bfe_u32 v3, v4, 24, 3
	v_ffbh_u32_e32 v10, v3
	v_min_u32_e32 v10, 32, v10
	v_lshrrev_b32_e32 v7, 27, v4
	v_subrev_u32_e32 v11, 28, v10
	v_and_b32_e32 v6, 0x80000000, v4
	v_and_b32_e32 v7, 15, v7
	v_bfe_u32 v8, v4, 27, 4
	v_lshlrev_b32_sdwa v4, v11, v4 dst_sel:DWORD dst_unused:UNUSED_PAD src0_sel:DWORD src1_sel:BYTE_3
	v_sub_u32_e32 v10, 29, v10
	v_and_b32_e32 v4, 7, v4
	v_cmp_eq_u16_e32 vcc, 0, v7
	v_cndmask_b32_e32 v3, v3, v4, vcc
	v_cndmask_b32_e32 v4, v8, v10, vcc
	v_mov_b32_e32 v7, 0x3b800000
	v_lshlrev_b32_e32 v3, 20, v3
	v_lshl_add_u32 v4, v4, 23, v7
	v_or3_b32 v3, v6, v4, v3
.LBB41_1504:
	s_or_b64 exec, exec, s[6:7]
	s_nop 0
	v_mfma_f32_16x16x4f32 a[0:3], v2, v3, a[0:3]
	s_movk_i32 s4, 0x7f
	v_cmp_gt_i16_sdwa s[6:7], v9, s4 src0_sel:BYTE_0 src1_sel:DWORD
	s_mov_b64 s[4:5], 0
                                        ; implicit-def: $sgpr10
	s_and_saveexec_b64 s[8:9], s[6:7]
	s_xor_b64 s[6:7], exec, s[8:9]
	s_cbranch_execnz .LBB41_3553
; %bb.1505:
	s_or_saveexec_b64 s[6:7], s[6:7]
	v_mov_b32_e32 v2, s10
	s_xor_b64 exec, exec, s[6:7]
	s_cbranch_execnz .LBB41_3556
.LBB41_1506:
	s_or_b64 exec, exec, s[6:7]
	s_and_saveexec_b64 s[6:7], s[4:5]
	s_cbranch_execz .LBB41_1508
.LBB41_1507:
	v_mov_b32_e32 v2, 8
	v_and_b32_e32 v3, 7, v9
	v_lshrrev_b32_sdwa v2, v2, v9 dst_sel:BYTE_1 dst_unused:UNUSED_PAD src0_sel:DWORD src1_sel:DWORD
	v_ffbh_u32_e32 v4, v3
	v_or_b32_sdwa v2, v9, v2 dst_sel:DWORD dst_unused:UNUSED_PAD src0_sel:BYTE_0 src1_sel:DWORD
	v_min_u32_e32 v4, 32, v4
	v_lshrrev_b16_e32 v2, 3, v2
	v_subrev_u32_e32 v6, 28, v4
	v_and_b32_e32 v2, 15, v2
	v_lshlrev_b32_e32 v6, v6, v9
	v_sub_u32_e32 v4, 29, v4
	v_and_b32_e32 v6, 7, v6
	v_cmp_eq_u16_e32 vcc, 0, v2
	v_cndmask_b32_e32 v3, v3, v6, vcc
	v_cndmask_b32_e32 v2, v2, v4, vcc
	v_lshlrev_b32_e32 v4, 24, v9
	v_mov_b32_e32 v6, 0x3b800000
	v_lshlrev_b32_e32 v3, 20, v3
	v_and_b32_e32 v4, 0x80000000, v4
	v_lshl_add_u32 v2, v2, 23, v6
	v_or3_b32 v2, v4, v2, v3
.LBB41_1508:
	s_or_b64 exec, exec, s[6:7]
	s_movk_i32 s4, 0x7f
	v_cmp_gt_i16_sdwa s[6:7], v5, s4 src0_sel:BYTE_0 src1_sel:DWORD
	s_mov_b64 s[4:5], 0
                                        ; implicit-def: $sgpr10
	s_and_saveexec_b64 s[8:9], s[6:7]
	s_xor_b64 s[6:7], exec, s[8:9]
	s_cbranch_execnz .LBB41_3557
; %bb.1509:
	s_or_saveexec_b64 s[6:7], s[6:7]
	v_mov_b32_e32 v3, s10
	s_xor_b64 exec, exec, s[6:7]
	s_cbranch_execnz .LBB41_3560
.LBB41_1510:
	s_or_b64 exec, exec, s[6:7]
	s_and_saveexec_b64 s[6:7], s[4:5]
	s_cbranch_execz .LBB41_1512
.LBB41_1511:
	v_mov_b32_e32 v3, 8
	v_and_b32_e32 v4, 7, v5
	v_lshrrev_b32_sdwa v3, v3, v5 dst_sel:BYTE_1 dst_unused:UNUSED_PAD src0_sel:DWORD src1_sel:DWORD
	v_ffbh_u32_e32 v6, v4
	v_or_b32_sdwa v3, v5, v3 dst_sel:DWORD dst_unused:UNUSED_PAD src0_sel:BYTE_0 src1_sel:DWORD
	v_min_u32_e32 v6, 32, v6
	v_lshrrev_b16_e32 v3, 3, v3
	v_subrev_u32_e32 v7, 28, v6
	v_and_b32_e32 v3, 15, v3
	v_lshlrev_b32_e32 v7, v7, v5
	v_sub_u32_e32 v6, 29, v6
	v_and_b32_e32 v7, 7, v7
	v_cmp_eq_u16_e32 vcc, 0, v3
	v_cndmask_b32_e32 v4, v4, v7, vcc
	v_cndmask_b32_e32 v3, v3, v6, vcc
	v_lshlrev_b32_e32 v6, 24, v5
	v_mov_b32_e32 v7, 0x3b800000
	v_lshlrev_b32_e32 v4, 20, v4
	v_and_b32_e32 v6, 0x80000000, v6
	v_lshl_add_u32 v3, v3, 23, v7
	v_or3_b32 v3, v6, v3, v4
.LBB41_1512:
	s_or_b64 exec, exec, s[6:7]
	s_nop 0
	v_mfma_f32_16x16x4f32 a[0:3], v2, v3, a[0:3]
	v_lshrrev_b32_e32 v3, 8, v9
	s_movk_i32 s4, 0x7f
	v_cmp_gt_i16_sdwa s[6:7], v3, s4 src0_sel:BYTE_0 src1_sel:DWORD
	s_mov_b64 s[4:5], 0
                                        ; implicit-def: $sgpr10
	s_and_saveexec_b64 s[8:9], s[6:7]
	s_xor_b64 s[6:7], exec, s[8:9]
	s_cbranch_execnz .LBB41_3561
; %bb.1513:
	s_or_saveexec_b64 s[6:7], s[6:7]
	v_mov_b32_e32 v2, s10
	s_xor_b64 exec, exec, s[6:7]
	s_cbranch_execnz .LBB41_3564
.LBB41_1514:
	s_or_b64 exec, exec, s[6:7]
	s_and_saveexec_b64 s[6:7], s[4:5]
	s_cbranch_execz .LBB41_1516
.LBB41_1515:
	v_bfe_u32 v2, v9, 8, 3
	v_ffbh_u32_e32 v6, v2
	v_min_u32_e32 v6, 32, v6
	v_lshrrev_b16_e32 v4, 3, v3
	v_subrev_u32_e32 v7, 28, v6
	v_and_b32_e32 v4, 15, v4
	v_lshlrev_b32_e32 v3, v7, v3
	v_sub_u32_e32 v6, 29, v6
	v_and_b32_e32 v3, 7, v3
	v_cmp_eq_u16_e32 vcc, 0, v4
	v_cndmask_b32_e32 v2, v2, v3, vcc
	v_cndmask_b32_e32 v3, v4, v6, vcc
	v_lshlrev_b32_e32 v4, 16, v9
	v_mov_b32_e32 v6, 0x3b800000
	v_lshlrev_b32_e32 v2, 20, v2
	v_and_b32_e32 v4, 0x80000000, v4
	v_lshl_add_u32 v3, v3, 23, v6
	v_or3_b32 v2, v4, v3, v2
.LBB41_1516:
	s_or_b64 exec, exec, s[6:7]
	v_lshrrev_b32_e32 v3, 8, v5
	s_movk_i32 s4, 0x7f
	v_cmp_gt_i16_sdwa s[6:7], v3, s4 src0_sel:BYTE_0 src1_sel:DWORD
	s_mov_b64 s[4:5], 0
                                        ; implicit-def: $sgpr10
	s_and_saveexec_b64 s[8:9], s[6:7]
	s_xor_b64 s[6:7], exec, s[8:9]
	s_cbranch_execnz .LBB41_3565
; %bb.1517:
	s_or_saveexec_b64 s[6:7], s[6:7]
	v_mov_b32_e32 v4, s10
	s_xor_b64 exec, exec, s[6:7]
	s_cbranch_execnz .LBB41_3568
.LBB41_1518:
	s_or_b64 exec, exec, s[6:7]
	s_and_saveexec_b64 s[6:7], s[4:5]
	s_cbranch_execz .LBB41_1520
.LBB41_1519:
	v_bfe_u32 v4, v5, 8, 3
	v_ffbh_u32_e32 v7, v4
	v_min_u32_e32 v7, 32, v7
	v_lshrrev_b16_e32 v6, 3, v3
	v_subrev_u32_e32 v8, 28, v7
	v_and_b32_e32 v6, 15, v6
	v_lshlrev_b32_e32 v3, v8, v3
	v_sub_u32_e32 v7, 29, v7
	v_and_b32_e32 v3, 7, v3
	v_cmp_eq_u16_e32 vcc, 0, v6
	v_cndmask_b32_e32 v3, v4, v3, vcc
	v_cndmask_b32_e32 v4, v6, v7, vcc
	v_lshlrev_b32_e32 v6, 16, v5
	v_mov_b32_e32 v7, 0x3b800000
	v_lshlrev_b32_e32 v3, 20, v3
	v_and_b32_e32 v6, 0x80000000, v6
	v_lshl_add_u32 v4, v4, 23, v7
	v_or3_b32 v4, v6, v4, v3
.LBB41_1520:
	s_or_b64 exec, exec, s[6:7]
	s_nop 0
	v_mfma_f32_16x16x4f32 a[0:3], v2, v4, a[0:3]
	s_movk_i32 s4, 0xff
	v_and_b32_sdwa v3, v9, s4 dst_sel:DWORD dst_unused:UNUSED_PAD src0_sel:WORD_1 src1_sel:DWORD
	s_movk_i32 s4, 0x7f
	v_cmp_lt_i16_e32 vcc, s4, v3
	s_mov_b64 s[4:5], 0
                                        ; implicit-def: $sgpr10
	s_and_saveexec_b64 s[6:7], vcc
	s_xor_b64 s[6:7], exec, s[6:7]
	s_cbranch_execnz .LBB41_3569
; %bb.1521:
	s_or_saveexec_b64 s[6:7], s[6:7]
	v_mov_b32_e32 v2, s10
	s_xor_b64 exec, exec, s[6:7]
	s_cbranch_execnz .LBB41_3572
.LBB41_1522:
	s_or_b64 exec, exec, s[6:7]
	s_and_saveexec_b64 s[6:7], s[4:5]
	s_cbranch_execz .LBB41_1524
.LBB41_1523:
	v_bfe_u32 v2, v9, 16, 3
	v_ffbh_u32_e32 v6, v2
	v_min_u32_e32 v6, 32, v6
	v_lshrrev_b32_e32 v3, 19, v9
	v_subrev_u32_e32 v7, 28, v6
	v_and_b32_e32 v3, 15, v3
	v_lshlrev_b32_sdwa v7, v7, v9 dst_sel:DWORD dst_unused:UNUSED_PAD src0_sel:DWORD src1_sel:WORD_1
	v_bfe_u32 v4, v9, 19, 4
	v_sub_u32_e32 v6, 29, v6
	v_and_b32_e32 v7, 7, v7
	v_cmp_eq_u16_e32 vcc, 0, v3
	v_cndmask_b32_e32 v2, v2, v7, vcc
	v_cndmask_b32_e32 v3, v4, v6, vcc
	v_lshlrev_b32_e32 v4, 8, v9
	v_mov_b32_e32 v6, 0x3b800000
	v_lshlrev_b32_e32 v2, 20, v2
	v_and_b32_e32 v4, 0x80000000, v4
	v_lshl_add_u32 v3, v3, 23, v6
	v_or3_b32 v2, v4, v3, v2
.LBB41_1524:
	s_or_b64 exec, exec, s[6:7]
	s_movk_i32 s4, 0xff
	v_and_b32_sdwa v3, v5, s4 dst_sel:DWORD dst_unused:UNUSED_PAD src0_sel:WORD_1 src1_sel:DWORD
	s_movk_i32 s4, 0x7f
	v_cmp_lt_i16_e32 vcc, s4, v3
	s_mov_b64 s[4:5], 0
                                        ; implicit-def: $sgpr10
	s_and_saveexec_b64 s[6:7], vcc
	s_xor_b64 s[6:7], exec, s[6:7]
	s_cbranch_execnz .LBB41_3573
; %bb.1525:
	s_or_saveexec_b64 s[6:7], s[6:7]
	v_mov_b32_e32 v4, s10
	s_xor_b64 exec, exec, s[6:7]
	s_cbranch_execnz .LBB41_3576
.LBB41_1526:
	s_or_b64 exec, exec, s[6:7]
	s_and_saveexec_b64 s[6:7], s[4:5]
	s_cbranch_execz .LBB41_1528
.LBB41_1527:
	v_bfe_u32 v3, v5, 16, 3
	v_ffbh_u32_e32 v7, v3
	v_min_u32_e32 v7, 32, v7
	v_lshrrev_b32_e32 v4, 19, v5
	v_subrev_u32_e32 v8, 28, v7
	v_and_b32_e32 v4, 15, v4
	v_lshlrev_b32_sdwa v8, v8, v5 dst_sel:DWORD dst_unused:UNUSED_PAD src0_sel:DWORD src1_sel:WORD_1
	v_bfe_u32 v6, v5, 19, 4
	v_sub_u32_e32 v7, 29, v7
	v_and_b32_e32 v8, 7, v8
	v_cmp_eq_u16_e32 vcc, 0, v4
	v_cndmask_b32_e32 v3, v3, v8, vcc
	v_cndmask_b32_e32 v4, v6, v7, vcc
	v_lshlrev_b32_e32 v6, 8, v5
	v_mov_b32_e32 v7, 0x3b800000
	v_lshlrev_b32_e32 v3, 20, v3
	v_and_b32_e32 v6, 0x80000000, v6
	v_lshl_add_u32 v4, v4, 23, v7
	v_or3_b32 v4, v6, v4, v3
.LBB41_1528:
	s_or_b64 exec, exec, s[6:7]
	s_nop 0
	v_mfma_f32_16x16x4f32 a[0:3], v2, v4, a[0:3]
	s_movk_i32 s4, 0x7f
	v_cmp_gt_i16_sdwa s[6:7], v9, s4 src0_sel:BYTE_3 src1_sel:DWORD
	s_mov_b64 s[4:5], 0
                                        ; implicit-def: $sgpr10
	s_and_saveexec_b64 s[8:9], s[6:7]
	s_xor_b64 s[6:7], exec, s[8:9]
	s_cbranch_execnz .LBB41_3577
; %bb.1529:
	s_or_saveexec_b64 s[6:7], s[6:7]
	v_mov_b32_e32 v2, s10
	s_xor_b64 exec, exec, s[6:7]
	s_cbranch_execnz .LBB41_3580
.LBB41_1530:
	s_or_b64 exec, exec, s[6:7]
	s_and_saveexec_b64 s[6:7], s[4:5]
	s_cbranch_execz .LBB41_1532
.LBB41_1531:
	v_bfe_u32 v2, v9, 24, 3
	v_ffbh_u32_e32 v7, v2
	v_min_u32_e32 v7, 32, v7
	v_lshrrev_b32_e32 v4, 27, v9
	v_subrev_u32_e32 v8, 28, v7
	v_and_b32_e32 v4, 15, v4
	v_lshlrev_b32_sdwa v8, v8, v9 dst_sel:DWORD dst_unused:UNUSED_PAD src0_sel:DWORD src1_sel:BYTE_3
	v_bfe_u32 v6, v9, 27, 4
	v_sub_u32_e32 v7, 29, v7
	v_and_b32_e32 v8, 7, v8
	v_cmp_eq_u16_e32 vcc, 0, v4
	v_cndmask_b32_e32 v2, v2, v8, vcc
	v_cndmask_b32_e32 v4, v6, v7, vcc
	v_mov_b32_e32 v6, 0x3b800000
	v_and_b32_e32 v3, 0x80000000, v9
	v_lshlrev_b32_e32 v2, 20, v2
	v_lshl_add_u32 v4, v4, 23, v6
	v_or3_b32 v2, v3, v4, v2
.LBB41_1532:
	s_or_b64 exec, exec, s[6:7]
	s_movk_i32 s4, 0x7f
	v_cmp_gt_i16_sdwa s[6:7], v5, s4 src0_sel:BYTE_3 src1_sel:DWORD
	s_mov_b64 s[4:5], 0
                                        ; implicit-def: $sgpr10
	s_and_saveexec_b64 s[8:9], s[6:7]
	s_xor_b64 s[6:7], exec, s[8:9]
	s_cbranch_execnz .LBB41_3581
; %bb.1533:
	s_or_saveexec_b64 s[6:7], s[6:7]
	v_mov_b32_e32 v3, s10
	s_xor_b64 exec, exec, s[6:7]
	s_cbranch_execnz .LBB41_3584
.LBB41_1534:
	s_or_b64 exec, exec, s[6:7]
	s_and_saveexec_b64 s[6:7], s[4:5]
	s_cbranch_execz .LBB41_1536
.LBB41_1535:
	v_bfe_u32 v3, v5, 24, 3
	v_ffbh_u32_e32 v8, v3
	v_min_u32_e32 v8, 32, v8
	v_lshrrev_b32_e32 v6, 27, v5
	v_subrev_u32_e32 v9, 28, v8
	v_and_b32_e32 v4, 0x80000000, v5
	v_and_b32_e32 v6, 15, v6
	v_bfe_u32 v7, v5, 27, 4
	v_lshlrev_b32_sdwa v5, v9, v5 dst_sel:DWORD dst_unused:UNUSED_PAD src0_sel:DWORD src1_sel:BYTE_3
	v_sub_u32_e32 v8, 29, v8
	v_and_b32_e32 v5, 7, v5
	v_cmp_eq_u16_e32 vcc, 0, v6
	v_cndmask_b32_e32 v3, v3, v5, vcc
	v_cndmask_b32_e32 v5, v7, v8, vcc
	v_mov_b32_e32 v6, 0x3b800000
	v_lshlrev_b32_e32 v3, 20, v3
	v_lshl_add_u32 v5, v5, 23, v6
	v_or3_b32 v3, v4, v5, v3
.LBB41_1536:
	s_or_b64 exec, exec, s[6:7]
	s_nop 0
	v_mfma_f32_16x16x4f32 a[0:3], v2, v3, a[0:3]
	s_movk_i32 s4, 0x7f
                                        ; implicit-def: $sgpr10
	s_nop 7
	s_nop 1
	flat_store_dwordx4 v[18:19], a[0:3] offset:720
	flat_load_dwordx4 v[20:23], v[0:1] offset:16
	s_nop 0
	flat_load_dwordx2 v[18:19], v[0:1] offset:32
	s_waitcnt vmcnt(0) lgkmcnt(0)
	flat_load_dwordx4 v[14:17], v[20:21] offset:32
	flat_load_dwordx4 v[6:9], v[20:21] offset:48
	;; [unrolled: 1-line block ×4, first 2 shown]
	s_waitcnt vmcnt(0) lgkmcnt(0)
	v_cmp_gt_i16_sdwa s[6:7], v14, s4 src0_sel:BYTE_0 src1_sel:DWORD
	s_mov_b64 s[4:5], 0
	s_and_saveexec_b64 s[8:9], s[6:7]
	s_xor_b64 s[6:7], exec, s[8:9]
	s_cbranch_execnz .LBB41_3585
; %bb.1537:
	s_or_saveexec_b64 s[6:7], s[6:7]
	v_mov_b32_e32 v20, s10
	s_xor_b64 exec, exec, s[6:7]
	s_cbranch_execnz .LBB41_3588
.LBB41_1538:
	s_or_b64 exec, exec, s[6:7]
	s_and_saveexec_b64 s[6:7], s[4:5]
	s_cbranch_execz .LBB41_1540
.LBB41_1539:
	v_and_b32_e32 v20, 7, v14
	v_ffbh_u32_e32 v22, v20
	v_min_u32_e32 v22, 32, v22
	v_lshrrev_b16_e32 v21, 3, v14
	v_subrev_u32_e32 v23, 28, v22
	v_and_b32_e32 v21, 15, v21
	v_lshlrev_b32_e32 v23, v23, v14
	v_sub_u32_e32 v22, 29, v22
	v_and_b32_e32 v23, 7, v23
	v_cmp_eq_u16_e32 vcc, 0, v21
	v_cndmask_b32_e32 v20, v20, v23, vcc
	v_cndmask_b32_e32 v21, v21, v22, vcc
	v_lshlrev_b32_e32 v22, 24, v14
	v_mov_b32_e32 v23, 0x3b800000
	v_lshlrev_b32_e32 v20, 20, v20
	v_and_b32_e32 v22, 0x80000000, v22
	v_lshl_add_u32 v21, v21, 23, v23
	v_or3_b32 v20, v22, v21, v20
.LBB41_1540:
	s_or_b64 exec, exec, s[6:7]
	s_movk_i32 s4, 0x7f
	v_cmp_gt_i16_sdwa s[6:7], v10, s4 src0_sel:BYTE_0 src1_sel:DWORD
	s_mov_b64 s[4:5], 0
                                        ; implicit-def: $sgpr10
	s_and_saveexec_b64 s[8:9], s[6:7]
	s_xor_b64 s[6:7], exec, s[8:9]
	s_cbranch_execnz .LBB41_3589
; %bb.1541:
	s_or_saveexec_b64 s[6:7], s[6:7]
	v_mov_b32_e32 v21, s10
	s_xor_b64 exec, exec, s[6:7]
	s_cbranch_execnz .LBB41_3592
.LBB41_1542:
	s_or_b64 exec, exec, s[6:7]
	s_and_saveexec_b64 s[6:7], s[4:5]
	s_cbranch_execz .LBB41_1544
.LBB41_1543:
	v_and_b32_e32 v21, 7, v10
	v_ffbh_u32_e32 v23, v21
	v_min_u32_e32 v23, 32, v23
	v_lshrrev_b16_e32 v22, 3, v10
	v_subrev_u32_e32 v24, 28, v23
	v_and_b32_e32 v22, 15, v22
	v_lshlrev_b32_e32 v24, v24, v10
	v_sub_u32_e32 v23, 29, v23
	v_and_b32_e32 v24, 7, v24
	v_cmp_eq_u16_e32 vcc, 0, v22
	v_cndmask_b32_e32 v21, v21, v24, vcc
	v_cndmask_b32_e32 v22, v22, v23, vcc
	v_lshlrev_b32_e32 v23, 24, v10
	v_mov_b32_e32 v24, 0x3b800000
	v_lshlrev_b32_e32 v21, 20, v21
	v_and_b32_e32 v23, 0x80000000, v23
	v_lshl_add_u32 v22, v22, 23, v24
	v_or3_b32 v21, v23, v22, v21
.LBB41_1544:
	s_or_b64 exec, exec, s[6:7]
	flat_load_dwordx4 a[0:3], v[18:19] offset:736
	s_movk_i32 s4, 0x7f
                                        ; implicit-def: $sgpr10
	s_waitcnt vmcnt(0) lgkmcnt(0)
	v_mfma_f32_16x16x4f32 a[0:3], v20, v21, a[0:3]
	v_lshrrev_b32_e32 v21, 8, v14
	v_cmp_gt_i16_sdwa s[6:7], v21, s4 src0_sel:BYTE_0 src1_sel:DWORD
	s_mov_b64 s[4:5], 0
	s_and_saveexec_b64 s[8:9], s[6:7]
	s_xor_b64 s[6:7], exec, s[8:9]
	s_cbranch_execnz .LBB41_3593
; %bb.1545:
	s_or_saveexec_b64 s[6:7], s[6:7]
	v_mov_b32_e32 v20, s10
	s_xor_b64 exec, exec, s[6:7]
	s_cbranch_execnz .LBB41_3596
.LBB41_1546:
	s_or_b64 exec, exec, s[6:7]
	s_and_saveexec_b64 s[6:7], s[4:5]
	s_cbranch_execz .LBB41_1548
.LBB41_1547:
	v_bfe_u32 v20, v14, 8, 3
	v_ffbh_u32_e32 v23, v20
	v_min_u32_e32 v23, 32, v23
	v_lshrrev_b16_e32 v22, 3, v21
	v_subrev_u32_e32 v24, 28, v23
	v_and_b32_e32 v22, 15, v22
	v_lshlrev_b32_e32 v21, v24, v21
	v_sub_u32_e32 v23, 29, v23
	v_and_b32_e32 v21, 7, v21
	v_cmp_eq_u16_e32 vcc, 0, v22
	v_cndmask_b32_e32 v20, v20, v21, vcc
	v_cndmask_b32_e32 v21, v22, v23, vcc
	v_lshlrev_b32_e32 v22, 16, v14
	v_mov_b32_e32 v23, 0x3b800000
	v_lshlrev_b32_e32 v20, 20, v20
	v_and_b32_e32 v22, 0x80000000, v22
	v_lshl_add_u32 v21, v21, 23, v23
	v_or3_b32 v20, v22, v21, v20
.LBB41_1548:
	s_or_b64 exec, exec, s[6:7]
	v_lshrrev_b32_e32 v21, 8, v10
	s_movk_i32 s4, 0x7f
	v_cmp_gt_i16_sdwa s[6:7], v21, s4 src0_sel:BYTE_0 src1_sel:DWORD
	s_mov_b64 s[4:5], 0
                                        ; implicit-def: $sgpr10
	s_and_saveexec_b64 s[8:9], s[6:7]
	s_xor_b64 s[6:7], exec, s[8:9]
	s_cbranch_execnz .LBB41_3597
; %bb.1549:
	s_or_saveexec_b64 s[6:7], s[6:7]
	v_mov_b32_e32 v22, s10
	s_xor_b64 exec, exec, s[6:7]
	s_cbranch_execnz .LBB41_3600
.LBB41_1550:
	s_or_b64 exec, exec, s[6:7]
	s_and_saveexec_b64 s[6:7], s[4:5]
	s_cbranch_execz .LBB41_1552
.LBB41_1551:
	v_bfe_u32 v22, v10, 8, 3
	v_ffbh_u32_e32 v24, v22
	v_min_u32_e32 v24, 32, v24
	v_lshrrev_b16_e32 v23, 3, v21
	v_subrev_u32_e32 v25, 28, v24
	v_and_b32_e32 v23, 15, v23
	v_lshlrev_b32_e32 v21, v25, v21
	v_sub_u32_e32 v24, 29, v24
	v_and_b32_e32 v21, 7, v21
	v_cmp_eq_u16_e32 vcc, 0, v23
	v_cndmask_b32_e32 v21, v22, v21, vcc
	v_cndmask_b32_e32 v22, v23, v24, vcc
	v_lshlrev_b32_e32 v23, 16, v10
	v_mov_b32_e32 v24, 0x3b800000
	v_lshlrev_b32_e32 v21, 20, v21
	v_and_b32_e32 v23, 0x80000000, v23
	v_lshl_add_u32 v22, v22, 23, v24
	v_or3_b32 v22, v23, v22, v21
.LBB41_1552:
	s_or_b64 exec, exec, s[6:7]
	s_nop 0
	v_mfma_f32_16x16x4f32 a[0:3], v20, v22, a[0:3]
	s_movk_i32 s4, 0xff
	v_and_b32_sdwa v21, v14, s4 dst_sel:DWORD dst_unused:UNUSED_PAD src0_sel:WORD_1 src1_sel:DWORD
	s_movk_i32 s4, 0x7f
	v_cmp_lt_i16_e32 vcc, s4, v21
	s_mov_b64 s[4:5], 0
                                        ; implicit-def: $sgpr10
	s_and_saveexec_b64 s[6:7], vcc
	s_xor_b64 s[6:7], exec, s[6:7]
	s_cbranch_execnz .LBB41_3601
; %bb.1553:
	s_or_saveexec_b64 s[6:7], s[6:7]
	v_mov_b32_e32 v20, s10
	s_xor_b64 exec, exec, s[6:7]
	s_cbranch_execnz .LBB41_3604
.LBB41_1554:
	s_or_b64 exec, exec, s[6:7]
	s_and_saveexec_b64 s[6:7], s[4:5]
	s_cbranch_execz .LBB41_1556
.LBB41_1555:
	v_bfe_u32 v20, v14, 16, 3
	v_ffbh_u32_e32 v23, v20
	v_min_u32_e32 v23, 32, v23
	v_lshrrev_b32_e32 v21, 19, v14
	v_subrev_u32_e32 v24, 28, v23
	v_and_b32_e32 v21, 15, v21
	v_lshlrev_b32_sdwa v24, v24, v14 dst_sel:DWORD dst_unused:UNUSED_PAD src0_sel:DWORD src1_sel:WORD_1
	v_bfe_u32 v22, v14, 19, 4
	v_sub_u32_e32 v23, 29, v23
	v_and_b32_e32 v24, 7, v24
	v_cmp_eq_u16_e32 vcc, 0, v21
	v_cndmask_b32_e32 v20, v20, v24, vcc
	v_cndmask_b32_e32 v21, v22, v23, vcc
	v_lshlrev_b32_e32 v22, 8, v14
	v_mov_b32_e32 v23, 0x3b800000
	v_lshlrev_b32_e32 v20, 20, v20
	v_and_b32_e32 v22, 0x80000000, v22
	v_lshl_add_u32 v21, v21, 23, v23
	v_or3_b32 v20, v22, v21, v20
.LBB41_1556:
	s_or_b64 exec, exec, s[6:7]
	s_movk_i32 s4, 0xff
	v_and_b32_sdwa v21, v10, s4 dst_sel:DWORD dst_unused:UNUSED_PAD src0_sel:WORD_1 src1_sel:DWORD
	s_movk_i32 s4, 0x7f
	v_cmp_lt_i16_e32 vcc, s4, v21
	s_mov_b64 s[4:5], 0
                                        ; implicit-def: $sgpr10
	s_and_saveexec_b64 s[6:7], vcc
	s_xor_b64 s[6:7], exec, s[6:7]
	s_cbranch_execnz .LBB41_3605
; %bb.1557:
	s_or_saveexec_b64 s[6:7], s[6:7]
	v_mov_b32_e32 v22, s10
	s_xor_b64 exec, exec, s[6:7]
	s_cbranch_execnz .LBB41_3608
.LBB41_1558:
	s_or_b64 exec, exec, s[6:7]
	s_and_saveexec_b64 s[6:7], s[4:5]
	s_cbranch_execz .LBB41_1560
.LBB41_1559:
	v_bfe_u32 v21, v10, 16, 3
	v_ffbh_u32_e32 v24, v21
	v_min_u32_e32 v24, 32, v24
	v_lshrrev_b32_e32 v22, 19, v10
	v_subrev_u32_e32 v25, 28, v24
	v_and_b32_e32 v22, 15, v22
	v_lshlrev_b32_sdwa v25, v25, v10 dst_sel:DWORD dst_unused:UNUSED_PAD src0_sel:DWORD src1_sel:WORD_1
	v_bfe_u32 v23, v10, 19, 4
	v_sub_u32_e32 v24, 29, v24
	v_and_b32_e32 v25, 7, v25
	v_cmp_eq_u16_e32 vcc, 0, v22
	v_cndmask_b32_e32 v21, v21, v25, vcc
	v_cndmask_b32_e32 v22, v23, v24, vcc
	v_lshlrev_b32_e32 v23, 8, v10
	v_mov_b32_e32 v24, 0x3b800000
	v_lshlrev_b32_e32 v21, 20, v21
	v_and_b32_e32 v23, 0x80000000, v23
	v_lshl_add_u32 v22, v22, 23, v24
	v_or3_b32 v22, v23, v22, v21
.LBB41_1560:
	s_or_b64 exec, exec, s[6:7]
	s_nop 0
	v_mfma_f32_16x16x4f32 a[0:3], v20, v22, a[0:3]
	s_movk_i32 s4, 0x7f
	v_cmp_gt_i16_sdwa s[6:7], v14, s4 src0_sel:BYTE_3 src1_sel:DWORD
	s_mov_b64 s[4:5], 0
                                        ; implicit-def: $sgpr10
	s_and_saveexec_b64 s[8:9], s[6:7]
	s_xor_b64 s[6:7], exec, s[8:9]
	s_cbranch_execnz .LBB41_3609
; %bb.1561:
	s_or_saveexec_b64 s[6:7], s[6:7]
	v_mov_b32_e32 v20, s10
	s_xor_b64 exec, exec, s[6:7]
	s_cbranch_execnz .LBB41_3612
.LBB41_1562:
	s_or_b64 exec, exec, s[6:7]
	s_and_saveexec_b64 s[6:7], s[4:5]
	s_cbranch_execz .LBB41_1564
.LBB41_1563:
	v_bfe_u32 v20, v14, 24, 3
	v_ffbh_u32_e32 v24, v20
	v_min_u32_e32 v24, 32, v24
	v_lshrrev_b32_e32 v22, 27, v14
	v_subrev_u32_e32 v25, 28, v24
	v_and_b32_e32 v21, 0x80000000, v14
	v_and_b32_e32 v22, 15, v22
	v_bfe_u32 v23, v14, 27, 4
	v_lshlrev_b32_sdwa v14, v25, v14 dst_sel:DWORD dst_unused:UNUSED_PAD src0_sel:DWORD src1_sel:BYTE_3
	v_sub_u32_e32 v24, 29, v24
	v_and_b32_e32 v14, 7, v14
	v_cmp_eq_u16_e32 vcc, 0, v22
	v_cndmask_b32_e32 v14, v20, v14, vcc
	v_cndmask_b32_e32 v20, v23, v24, vcc
	v_mov_b32_e32 v22, 0x3b800000
	v_lshlrev_b32_e32 v14, 20, v14
	v_lshl_add_u32 v20, v20, 23, v22
	v_or3_b32 v20, v21, v20, v14
.LBB41_1564:
	s_or_b64 exec, exec, s[6:7]
	s_movk_i32 s4, 0x7f
	v_cmp_gt_i16_sdwa s[6:7], v10, s4 src0_sel:BYTE_3 src1_sel:DWORD
	s_mov_b64 s[4:5], 0
                                        ; implicit-def: $sgpr10
	s_and_saveexec_b64 s[8:9], s[6:7]
	s_xor_b64 s[6:7], exec, s[8:9]
	s_cbranch_execnz .LBB41_3613
; %bb.1565:
	s_or_saveexec_b64 s[6:7], s[6:7]
	v_mov_b32_e32 v14, s10
	s_xor_b64 exec, exec, s[6:7]
	s_cbranch_execnz .LBB41_3616
.LBB41_1566:
	s_or_b64 exec, exec, s[6:7]
	s_and_saveexec_b64 s[6:7], s[4:5]
	s_cbranch_execz .LBB41_1568
.LBB41_1567:
	v_bfe_u32 v14, v10, 24, 3
	v_ffbh_u32_e32 v24, v14
	v_min_u32_e32 v24, 32, v24
	v_lshrrev_b32_e32 v22, 27, v10
	v_subrev_u32_e32 v25, 28, v24
	v_and_b32_e32 v21, 0x80000000, v10
	v_and_b32_e32 v22, 15, v22
	v_bfe_u32 v23, v10, 27, 4
	v_lshlrev_b32_sdwa v10, v25, v10 dst_sel:DWORD dst_unused:UNUSED_PAD src0_sel:DWORD src1_sel:BYTE_3
	v_sub_u32_e32 v24, 29, v24
	v_and_b32_e32 v10, 7, v10
	v_cmp_eq_u16_e32 vcc, 0, v22
	v_cndmask_b32_e32 v10, v14, v10, vcc
	v_cndmask_b32_e32 v14, v23, v24, vcc
	v_mov_b32_e32 v22, 0x3b800000
	v_lshlrev_b32_e32 v10, 20, v10
	v_lshl_add_u32 v14, v14, 23, v22
	v_or3_b32 v14, v21, v14, v10
.LBB41_1568:
	s_or_b64 exec, exec, s[6:7]
	s_nop 0
	v_mfma_f32_16x16x4f32 a[0:3], v20, v14, a[0:3]
	s_movk_i32 s4, 0x7f
	v_cmp_gt_i16_sdwa s[6:7], v15, s4 src0_sel:BYTE_0 src1_sel:DWORD
	s_mov_b64 s[4:5], 0
                                        ; implicit-def: $sgpr10
	s_and_saveexec_b64 s[8:9], s[6:7]
	s_xor_b64 s[6:7], exec, s[8:9]
	s_cbranch_execnz .LBB41_3617
; %bb.1569:
	s_or_saveexec_b64 s[6:7], s[6:7]
	v_mov_b32_e32 v10, s10
	s_xor_b64 exec, exec, s[6:7]
	s_cbranch_execnz .LBB41_3620
.LBB41_1570:
	s_or_b64 exec, exec, s[6:7]
	s_and_saveexec_b64 s[6:7], s[4:5]
	s_cbranch_execz .LBB41_1572
.LBB41_1571:
	v_and_b32_e32 v10, 7, v15
	v_ffbh_u32_e32 v20, v10
	v_min_u32_e32 v20, 32, v20
	v_lshrrev_b16_e32 v14, 3, v15
	v_subrev_u32_e32 v21, 28, v20
	v_and_b32_e32 v14, 15, v14
	v_lshlrev_b32_e32 v21, v21, v15
	v_sub_u32_e32 v20, 29, v20
	v_and_b32_e32 v21, 7, v21
	v_cmp_eq_u16_e32 vcc, 0, v14
	v_cndmask_b32_e32 v10, v10, v21, vcc
	v_cndmask_b32_e32 v14, v14, v20, vcc
	v_lshlrev_b32_e32 v20, 24, v15
	v_mov_b32_e32 v21, 0x3b800000
	v_lshlrev_b32_e32 v10, 20, v10
	v_and_b32_e32 v20, 0x80000000, v20
	v_lshl_add_u32 v14, v14, 23, v21
	v_or3_b32 v10, v20, v14, v10
.LBB41_1572:
	s_or_b64 exec, exec, s[6:7]
	s_movk_i32 s4, 0x7f
	v_cmp_gt_i16_sdwa s[6:7], v11, s4 src0_sel:BYTE_0 src1_sel:DWORD
	s_mov_b64 s[4:5], 0
                                        ; implicit-def: $sgpr10
	s_and_saveexec_b64 s[8:9], s[6:7]
	s_xor_b64 s[6:7], exec, s[8:9]
	s_cbranch_execnz .LBB41_3621
; %bb.1573:
	s_or_saveexec_b64 s[6:7], s[6:7]
	v_mov_b32_e32 v14, s10
	s_xor_b64 exec, exec, s[6:7]
	s_cbranch_execnz .LBB41_3624
.LBB41_1574:
	s_or_b64 exec, exec, s[6:7]
	s_and_saveexec_b64 s[6:7], s[4:5]
	s_cbranch_execz .LBB41_1576
.LBB41_1575:
	v_and_b32_e32 v14, 7, v11
	v_ffbh_u32_e32 v21, v14
	v_min_u32_e32 v21, 32, v21
	v_lshrrev_b16_e32 v20, 3, v11
	v_subrev_u32_e32 v22, 28, v21
	v_and_b32_e32 v20, 15, v20
	v_lshlrev_b32_e32 v22, v22, v11
	v_sub_u32_e32 v21, 29, v21
	v_and_b32_e32 v22, 7, v22
	v_cmp_eq_u16_e32 vcc, 0, v20
	v_cndmask_b32_e32 v14, v14, v22, vcc
	v_cndmask_b32_e32 v20, v20, v21, vcc
	v_lshlrev_b32_e32 v21, 24, v11
	v_mov_b32_e32 v22, 0x3b800000
	v_lshlrev_b32_e32 v14, 20, v14
	v_and_b32_e32 v21, 0x80000000, v21
	v_lshl_add_u32 v20, v20, 23, v22
	v_or3_b32 v14, v21, v20, v14
.LBB41_1576:
	s_or_b64 exec, exec, s[6:7]
	s_nop 0
	v_mfma_f32_16x16x4f32 a[0:3], v10, v14, a[0:3]
	v_lshrrev_b32_e32 v14, 8, v15
	s_movk_i32 s4, 0x7f
	v_cmp_gt_i16_sdwa s[6:7], v14, s4 src0_sel:BYTE_0 src1_sel:DWORD
	s_mov_b64 s[4:5], 0
                                        ; implicit-def: $sgpr10
	s_and_saveexec_b64 s[8:9], s[6:7]
	s_xor_b64 s[6:7], exec, s[8:9]
	s_cbranch_execnz .LBB41_3625
; %bb.1577:
	s_or_saveexec_b64 s[6:7], s[6:7]
	v_mov_b32_e32 v10, s10
	s_xor_b64 exec, exec, s[6:7]
	s_cbranch_execnz .LBB41_3628
.LBB41_1578:
	s_or_b64 exec, exec, s[6:7]
	s_and_saveexec_b64 s[6:7], s[4:5]
	s_cbranch_execz .LBB41_1580
.LBB41_1579:
	v_bfe_u32 v10, v15, 8, 3
	v_ffbh_u32_e32 v21, v10
	v_min_u32_e32 v21, 32, v21
	v_lshrrev_b16_e32 v20, 3, v14
	v_subrev_u32_e32 v22, 28, v21
	v_and_b32_e32 v20, 15, v20
	v_lshlrev_b32_e32 v14, v22, v14
	v_sub_u32_e32 v21, 29, v21
	v_and_b32_e32 v14, 7, v14
	v_cmp_eq_u16_e32 vcc, 0, v20
	v_cndmask_b32_e32 v10, v10, v14, vcc
	v_cndmask_b32_e32 v14, v20, v21, vcc
	v_lshlrev_b32_e32 v20, 16, v15
	v_mov_b32_e32 v21, 0x3b800000
	v_lshlrev_b32_e32 v10, 20, v10
	v_and_b32_e32 v20, 0x80000000, v20
	v_lshl_add_u32 v14, v14, 23, v21
	v_or3_b32 v10, v20, v14, v10
.LBB41_1580:
	s_or_b64 exec, exec, s[6:7]
	v_lshrrev_b32_e32 v14, 8, v11
	s_movk_i32 s4, 0x7f
	v_cmp_gt_i16_sdwa s[6:7], v14, s4 src0_sel:BYTE_0 src1_sel:DWORD
	s_mov_b64 s[4:5], 0
                                        ; implicit-def: $sgpr10
	s_and_saveexec_b64 s[8:9], s[6:7]
	s_xor_b64 s[6:7], exec, s[8:9]
	s_cbranch_execnz .LBB41_3629
; %bb.1581:
	s_or_saveexec_b64 s[6:7], s[6:7]
	v_mov_b32_e32 v20, s10
	s_xor_b64 exec, exec, s[6:7]
	s_cbranch_execnz .LBB41_3632
.LBB41_1582:
	s_or_b64 exec, exec, s[6:7]
	s_and_saveexec_b64 s[6:7], s[4:5]
	s_cbranch_execz .LBB41_1584
.LBB41_1583:
	v_bfe_u32 v20, v11, 8, 3
	v_ffbh_u32_e32 v22, v20
	v_min_u32_e32 v22, 32, v22
	v_lshrrev_b16_e32 v21, 3, v14
	v_subrev_u32_e32 v23, 28, v22
	v_and_b32_e32 v21, 15, v21
	v_lshlrev_b32_e32 v14, v23, v14
	v_sub_u32_e32 v22, 29, v22
	v_and_b32_e32 v14, 7, v14
	v_cmp_eq_u16_e32 vcc, 0, v21
	v_cndmask_b32_e32 v14, v20, v14, vcc
	v_cndmask_b32_e32 v20, v21, v22, vcc
	v_lshlrev_b32_e32 v21, 16, v11
	v_mov_b32_e32 v22, 0x3b800000
	v_lshlrev_b32_e32 v14, 20, v14
	v_and_b32_e32 v21, 0x80000000, v21
	v_lshl_add_u32 v20, v20, 23, v22
	v_or3_b32 v20, v21, v20, v14
.LBB41_1584:
	s_or_b64 exec, exec, s[6:7]
	s_nop 0
	v_mfma_f32_16x16x4f32 a[0:3], v10, v20, a[0:3]
	s_movk_i32 s4, 0xff
	v_and_b32_sdwa v14, v15, s4 dst_sel:DWORD dst_unused:UNUSED_PAD src0_sel:WORD_1 src1_sel:DWORD
	s_movk_i32 s4, 0x7f
	v_cmp_lt_i16_e32 vcc, s4, v14
	s_mov_b64 s[4:5], 0
                                        ; implicit-def: $sgpr10
	s_and_saveexec_b64 s[6:7], vcc
	s_xor_b64 s[6:7], exec, s[6:7]
	s_cbranch_execnz .LBB41_3633
; %bb.1585:
	s_or_saveexec_b64 s[6:7], s[6:7]
	v_mov_b32_e32 v10, s10
	s_xor_b64 exec, exec, s[6:7]
	s_cbranch_execnz .LBB41_3636
.LBB41_1586:
	s_or_b64 exec, exec, s[6:7]
	s_and_saveexec_b64 s[6:7], s[4:5]
	s_cbranch_execz .LBB41_1588
.LBB41_1587:
	v_bfe_u32 v10, v15, 16, 3
	v_ffbh_u32_e32 v21, v10
	v_min_u32_e32 v21, 32, v21
	v_lshrrev_b32_e32 v14, 19, v15
	v_subrev_u32_e32 v22, 28, v21
	v_and_b32_e32 v14, 15, v14
	v_lshlrev_b32_sdwa v22, v22, v15 dst_sel:DWORD dst_unused:UNUSED_PAD src0_sel:DWORD src1_sel:WORD_1
	v_bfe_u32 v20, v15, 19, 4
	v_sub_u32_e32 v21, 29, v21
	v_and_b32_e32 v22, 7, v22
	v_cmp_eq_u16_e32 vcc, 0, v14
	v_cndmask_b32_e32 v10, v10, v22, vcc
	v_cndmask_b32_e32 v14, v20, v21, vcc
	v_lshlrev_b32_e32 v20, 8, v15
	v_mov_b32_e32 v21, 0x3b800000
	v_lshlrev_b32_e32 v10, 20, v10
	v_and_b32_e32 v20, 0x80000000, v20
	v_lshl_add_u32 v14, v14, 23, v21
	v_or3_b32 v10, v20, v14, v10
.LBB41_1588:
	s_or_b64 exec, exec, s[6:7]
	s_movk_i32 s4, 0xff
	v_and_b32_sdwa v14, v11, s4 dst_sel:DWORD dst_unused:UNUSED_PAD src0_sel:WORD_1 src1_sel:DWORD
	s_movk_i32 s4, 0x7f
	v_cmp_lt_i16_e32 vcc, s4, v14
	s_mov_b64 s[4:5], 0
                                        ; implicit-def: $sgpr10
	s_and_saveexec_b64 s[6:7], vcc
	s_xor_b64 s[6:7], exec, s[6:7]
	s_cbranch_execnz .LBB41_3637
; %bb.1589:
	s_or_saveexec_b64 s[6:7], s[6:7]
	v_mov_b32_e32 v20, s10
	s_xor_b64 exec, exec, s[6:7]
	s_cbranch_execnz .LBB41_3640
.LBB41_1590:
	s_or_b64 exec, exec, s[6:7]
	s_and_saveexec_b64 s[6:7], s[4:5]
	s_cbranch_execz .LBB41_1592
.LBB41_1591:
	v_bfe_u32 v14, v11, 16, 3
	v_ffbh_u32_e32 v22, v14
	v_min_u32_e32 v22, 32, v22
	v_lshrrev_b32_e32 v20, 19, v11
	v_subrev_u32_e32 v23, 28, v22
	v_and_b32_e32 v20, 15, v20
	v_lshlrev_b32_sdwa v23, v23, v11 dst_sel:DWORD dst_unused:UNUSED_PAD src0_sel:DWORD src1_sel:WORD_1
	v_bfe_u32 v21, v11, 19, 4
	v_sub_u32_e32 v22, 29, v22
	v_and_b32_e32 v23, 7, v23
	v_cmp_eq_u16_e32 vcc, 0, v20
	v_cndmask_b32_e32 v14, v14, v23, vcc
	v_cndmask_b32_e32 v20, v21, v22, vcc
	v_lshlrev_b32_e32 v21, 8, v11
	v_mov_b32_e32 v22, 0x3b800000
	v_lshlrev_b32_e32 v14, 20, v14
	v_and_b32_e32 v21, 0x80000000, v21
	v_lshl_add_u32 v20, v20, 23, v22
	v_or3_b32 v20, v21, v20, v14
.LBB41_1592:
	s_or_b64 exec, exec, s[6:7]
	s_nop 0
	v_mfma_f32_16x16x4f32 a[0:3], v10, v20, a[0:3]
	s_movk_i32 s4, 0x7f
	v_cmp_gt_i16_sdwa s[6:7], v15, s4 src0_sel:BYTE_3 src1_sel:DWORD
	s_mov_b64 s[4:5], 0
                                        ; implicit-def: $sgpr10
	s_and_saveexec_b64 s[8:9], s[6:7]
	s_xor_b64 s[6:7], exec, s[8:9]
	s_cbranch_execnz .LBB41_3641
; %bb.1593:
	s_or_saveexec_b64 s[6:7], s[6:7]
	v_mov_b32_e32 v10, s10
	s_xor_b64 exec, exec, s[6:7]
	s_cbranch_execnz .LBB41_3644
.LBB41_1594:
	s_or_b64 exec, exec, s[6:7]
	s_and_saveexec_b64 s[6:7], s[4:5]
	s_cbranch_execz .LBB41_1596
.LBB41_1595:
	v_bfe_u32 v10, v15, 24, 3
	v_ffbh_u32_e32 v22, v10
	v_min_u32_e32 v22, 32, v22
	v_lshrrev_b32_e32 v20, 27, v15
	v_subrev_u32_e32 v23, 28, v22
	v_and_b32_e32 v14, 0x80000000, v15
	v_and_b32_e32 v20, 15, v20
	v_bfe_u32 v21, v15, 27, 4
	v_lshlrev_b32_sdwa v15, v23, v15 dst_sel:DWORD dst_unused:UNUSED_PAD src0_sel:DWORD src1_sel:BYTE_3
	v_sub_u32_e32 v22, 29, v22
	v_and_b32_e32 v15, 7, v15
	v_cmp_eq_u16_e32 vcc, 0, v20
	v_cndmask_b32_e32 v10, v10, v15, vcc
	v_cndmask_b32_e32 v15, v21, v22, vcc
	v_mov_b32_e32 v20, 0x3b800000
	v_lshlrev_b32_e32 v10, 20, v10
	v_lshl_add_u32 v15, v15, 23, v20
	v_or3_b32 v10, v14, v15, v10
.LBB41_1596:
	s_or_b64 exec, exec, s[6:7]
	s_movk_i32 s4, 0x7f
	v_cmp_gt_i16_sdwa s[6:7], v11, s4 src0_sel:BYTE_3 src1_sel:DWORD
	s_mov_b64 s[4:5], 0
                                        ; implicit-def: $sgpr10
	s_and_saveexec_b64 s[8:9], s[6:7]
	s_xor_b64 s[6:7], exec, s[8:9]
	s_cbranch_execnz .LBB41_3645
; %bb.1597:
	s_or_saveexec_b64 s[6:7], s[6:7]
	v_mov_b32_e32 v14, s10
	s_xor_b64 exec, exec, s[6:7]
	s_cbranch_execnz .LBB41_3648
.LBB41_1598:
	s_or_b64 exec, exec, s[6:7]
	s_and_saveexec_b64 s[6:7], s[4:5]
	s_cbranch_execz .LBB41_1600
.LBB41_1599:
	v_bfe_u32 v14, v11, 24, 3
	v_ffbh_u32_e32 v22, v14
	v_min_u32_e32 v22, 32, v22
	v_lshrrev_b32_e32 v20, 27, v11
	v_subrev_u32_e32 v23, 28, v22
	v_and_b32_e32 v15, 0x80000000, v11
	v_and_b32_e32 v20, 15, v20
	v_bfe_u32 v21, v11, 27, 4
	v_lshlrev_b32_sdwa v11, v23, v11 dst_sel:DWORD dst_unused:UNUSED_PAD src0_sel:DWORD src1_sel:BYTE_3
	v_sub_u32_e32 v22, 29, v22
	v_and_b32_e32 v11, 7, v11
	v_cmp_eq_u16_e32 vcc, 0, v20
	v_cndmask_b32_e32 v11, v14, v11, vcc
	v_cndmask_b32_e32 v14, v21, v22, vcc
	v_mov_b32_e32 v20, 0x3b800000
	v_lshlrev_b32_e32 v11, 20, v11
	v_lshl_add_u32 v14, v14, 23, v20
	v_or3_b32 v14, v15, v14, v11
.LBB41_1600:
	s_or_b64 exec, exec, s[6:7]
	s_nop 0
	v_mfma_f32_16x16x4f32 a[0:3], v10, v14, a[0:3]
	s_movk_i32 s4, 0x7f
	v_cmp_gt_i16_sdwa s[6:7], v16, s4 src0_sel:BYTE_0 src1_sel:DWORD
	s_mov_b64 s[4:5], 0
                                        ; implicit-def: $sgpr10
	s_and_saveexec_b64 s[8:9], s[6:7]
	s_xor_b64 s[6:7], exec, s[8:9]
	s_cbranch_execnz .LBB41_3649
; %bb.1601:
	s_or_saveexec_b64 s[6:7], s[6:7]
	v_mov_b32_e32 v10, s10
	s_xor_b64 exec, exec, s[6:7]
	s_cbranch_execnz .LBB41_3652
.LBB41_1602:
	s_or_b64 exec, exec, s[6:7]
	s_and_saveexec_b64 s[6:7], s[4:5]
	s_cbranch_execz .LBB41_1604
.LBB41_1603:
	v_and_b32_e32 v10, 7, v16
	v_ffbh_u32_e32 v14, v10
	v_min_u32_e32 v14, 32, v14
	v_lshrrev_b16_e32 v11, 3, v16
	v_subrev_u32_e32 v15, 28, v14
	v_and_b32_e32 v11, 15, v11
	v_lshlrev_b32_e32 v15, v15, v16
	v_sub_u32_e32 v14, 29, v14
	v_and_b32_e32 v15, 7, v15
	v_cmp_eq_u16_e32 vcc, 0, v11
	v_cndmask_b32_e32 v10, v10, v15, vcc
	v_cndmask_b32_e32 v11, v11, v14, vcc
	v_lshlrev_b32_e32 v14, 24, v16
	v_mov_b32_e32 v15, 0x3b800000
	v_lshlrev_b32_e32 v10, 20, v10
	v_and_b32_e32 v14, 0x80000000, v14
	v_lshl_add_u32 v11, v11, 23, v15
	v_or3_b32 v10, v14, v11, v10
.LBB41_1604:
	s_or_b64 exec, exec, s[6:7]
	s_movk_i32 s4, 0x7f
	v_cmp_gt_i16_sdwa s[6:7], v12, s4 src0_sel:BYTE_0 src1_sel:DWORD
	s_mov_b64 s[4:5], 0
                                        ; implicit-def: $sgpr10
	s_and_saveexec_b64 s[8:9], s[6:7]
	s_xor_b64 s[6:7], exec, s[8:9]
	s_cbranch_execnz .LBB41_3653
; %bb.1605:
	s_or_saveexec_b64 s[6:7], s[6:7]
	v_mov_b32_e32 v11, s10
	s_xor_b64 exec, exec, s[6:7]
	s_cbranch_execnz .LBB41_3656
.LBB41_1606:
	s_or_b64 exec, exec, s[6:7]
	s_and_saveexec_b64 s[6:7], s[4:5]
	s_cbranch_execz .LBB41_1608
.LBB41_1607:
	v_and_b32_e32 v11, 7, v12
	v_ffbh_u32_e32 v15, v11
	v_min_u32_e32 v15, 32, v15
	v_lshrrev_b16_e32 v14, 3, v12
	v_subrev_u32_e32 v20, 28, v15
	v_and_b32_e32 v14, 15, v14
	v_lshlrev_b32_e32 v20, v20, v12
	v_sub_u32_e32 v15, 29, v15
	v_and_b32_e32 v20, 7, v20
	v_cmp_eq_u16_e32 vcc, 0, v14
	v_cndmask_b32_e32 v11, v11, v20, vcc
	v_cndmask_b32_e32 v14, v14, v15, vcc
	v_lshlrev_b32_e32 v15, 24, v12
	v_mov_b32_e32 v20, 0x3b800000
	v_lshlrev_b32_e32 v11, 20, v11
	v_and_b32_e32 v15, 0x80000000, v15
	v_lshl_add_u32 v14, v14, 23, v20
	v_or3_b32 v11, v15, v14, v11
.LBB41_1608:
	s_or_b64 exec, exec, s[6:7]
	s_nop 0
	v_mfma_f32_16x16x4f32 a[0:3], v10, v11, a[0:3]
	v_lshrrev_b32_e32 v11, 8, v16
	s_movk_i32 s4, 0x7f
	v_cmp_gt_i16_sdwa s[6:7], v11, s4 src0_sel:BYTE_0 src1_sel:DWORD
	s_mov_b64 s[4:5], 0
                                        ; implicit-def: $sgpr10
	s_and_saveexec_b64 s[8:9], s[6:7]
	s_xor_b64 s[6:7], exec, s[8:9]
	s_cbranch_execnz .LBB41_3657
; %bb.1609:
	s_or_saveexec_b64 s[6:7], s[6:7]
	v_mov_b32_e32 v10, s10
	s_xor_b64 exec, exec, s[6:7]
	s_cbranch_execnz .LBB41_3660
.LBB41_1610:
	s_or_b64 exec, exec, s[6:7]
	s_and_saveexec_b64 s[6:7], s[4:5]
	s_cbranch_execz .LBB41_1612
.LBB41_1611:
	v_bfe_u32 v10, v16, 8, 3
	v_ffbh_u32_e32 v15, v10
	v_min_u32_e32 v15, 32, v15
	v_lshrrev_b16_e32 v14, 3, v11
	v_subrev_u32_e32 v20, 28, v15
	v_and_b32_e32 v14, 15, v14
	v_lshlrev_b32_e32 v11, v20, v11
	v_sub_u32_e32 v15, 29, v15
	v_and_b32_e32 v11, 7, v11
	v_cmp_eq_u16_e32 vcc, 0, v14
	v_cndmask_b32_e32 v10, v10, v11, vcc
	v_cndmask_b32_e32 v11, v14, v15, vcc
	v_lshlrev_b32_e32 v14, 16, v16
	v_mov_b32_e32 v15, 0x3b800000
	v_lshlrev_b32_e32 v10, 20, v10
	v_and_b32_e32 v14, 0x80000000, v14
	v_lshl_add_u32 v11, v11, 23, v15
	v_or3_b32 v10, v14, v11, v10
.LBB41_1612:
	s_or_b64 exec, exec, s[6:7]
	v_lshrrev_b32_e32 v11, 8, v12
	s_movk_i32 s4, 0x7f
	v_cmp_gt_i16_sdwa s[6:7], v11, s4 src0_sel:BYTE_0 src1_sel:DWORD
	s_mov_b64 s[4:5], 0
                                        ; implicit-def: $sgpr10
	s_and_saveexec_b64 s[8:9], s[6:7]
	s_xor_b64 s[6:7], exec, s[8:9]
	s_cbranch_execnz .LBB41_3661
; %bb.1613:
	s_or_saveexec_b64 s[6:7], s[6:7]
	v_mov_b32_e32 v14, s10
	s_xor_b64 exec, exec, s[6:7]
	s_cbranch_execnz .LBB41_3664
.LBB41_1614:
	s_or_b64 exec, exec, s[6:7]
	s_and_saveexec_b64 s[6:7], s[4:5]
	s_cbranch_execz .LBB41_1616
.LBB41_1615:
	v_bfe_u32 v14, v12, 8, 3
	v_ffbh_u32_e32 v20, v14
	v_min_u32_e32 v20, 32, v20
	v_lshrrev_b16_e32 v15, 3, v11
	v_subrev_u32_e32 v21, 28, v20
	v_and_b32_e32 v15, 15, v15
	v_lshlrev_b32_e32 v11, v21, v11
	v_sub_u32_e32 v20, 29, v20
	v_and_b32_e32 v11, 7, v11
	v_cmp_eq_u16_e32 vcc, 0, v15
	v_cndmask_b32_e32 v11, v14, v11, vcc
	v_cndmask_b32_e32 v14, v15, v20, vcc
	v_lshlrev_b32_e32 v15, 16, v12
	v_mov_b32_e32 v20, 0x3b800000
	v_lshlrev_b32_e32 v11, 20, v11
	v_and_b32_e32 v15, 0x80000000, v15
	v_lshl_add_u32 v14, v14, 23, v20
	v_or3_b32 v14, v15, v14, v11
.LBB41_1616:
	s_or_b64 exec, exec, s[6:7]
	s_nop 0
	v_mfma_f32_16x16x4f32 a[0:3], v10, v14, a[0:3]
	s_movk_i32 s4, 0xff
	v_and_b32_sdwa v11, v16, s4 dst_sel:DWORD dst_unused:UNUSED_PAD src0_sel:WORD_1 src1_sel:DWORD
	s_movk_i32 s4, 0x7f
	v_cmp_lt_i16_e32 vcc, s4, v11
	s_mov_b64 s[4:5], 0
                                        ; implicit-def: $sgpr10
	s_and_saveexec_b64 s[6:7], vcc
	s_xor_b64 s[6:7], exec, s[6:7]
	s_cbranch_execnz .LBB41_3665
; %bb.1617:
	s_or_saveexec_b64 s[6:7], s[6:7]
	v_mov_b32_e32 v10, s10
	s_xor_b64 exec, exec, s[6:7]
	s_cbranch_execnz .LBB41_3668
.LBB41_1618:
	s_or_b64 exec, exec, s[6:7]
	s_and_saveexec_b64 s[6:7], s[4:5]
	s_cbranch_execz .LBB41_1620
.LBB41_1619:
	v_bfe_u32 v10, v16, 16, 3
	v_ffbh_u32_e32 v15, v10
	v_min_u32_e32 v15, 32, v15
	v_lshrrev_b32_e32 v11, 19, v16
	v_subrev_u32_e32 v20, 28, v15
	v_and_b32_e32 v11, 15, v11
	v_lshlrev_b32_sdwa v20, v20, v16 dst_sel:DWORD dst_unused:UNUSED_PAD src0_sel:DWORD src1_sel:WORD_1
	v_bfe_u32 v14, v16, 19, 4
	v_sub_u32_e32 v15, 29, v15
	v_and_b32_e32 v20, 7, v20
	v_cmp_eq_u16_e32 vcc, 0, v11
	v_cndmask_b32_e32 v10, v10, v20, vcc
	v_cndmask_b32_e32 v11, v14, v15, vcc
	v_lshlrev_b32_e32 v14, 8, v16
	v_mov_b32_e32 v15, 0x3b800000
	v_lshlrev_b32_e32 v10, 20, v10
	v_and_b32_e32 v14, 0x80000000, v14
	v_lshl_add_u32 v11, v11, 23, v15
	v_or3_b32 v10, v14, v11, v10
.LBB41_1620:
	s_or_b64 exec, exec, s[6:7]
	s_movk_i32 s4, 0xff
	v_and_b32_sdwa v11, v12, s4 dst_sel:DWORD dst_unused:UNUSED_PAD src0_sel:WORD_1 src1_sel:DWORD
	s_movk_i32 s4, 0x7f
	v_cmp_lt_i16_e32 vcc, s4, v11
	s_mov_b64 s[4:5], 0
                                        ; implicit-def: $sgpr10
	s_and_saveexec_b64 s[6:7], vcc
	s_xor_b64 s[6:7], exec, s[6:7]
	s_cbranch_execnz .LBB41_3669
; %bb.1621:
	s_or_saveexec_b64 s[6:7], s[6:7]
	v_mov_b32_e32 v14, s10
	s_xor_b64 exec, exec, s[6:7]
	s_cbranch_execnz .LBB41_3672
.LBB41_1622:
	s_or_b64 exec, exec, s[6:7]
	s_and_saveexec_b64 s[6:7], s[4:5]
	s_cbranch_execz .LBB41_1624
.LBB41_1623:
	v_bfe_u32 v11, v12, 16, 3
	v_ffbh_u32_e32 v20, v11
	v_min_u32_e32 v20, 32, v20
	v_lshrrev_b32_e32 v14, 19, v12
	v_subrev_u32_e32 v21, 28, v20
	v_and_b32_e32 v14, 15, v14
	v_lshlrev_b32_sdwa v21, v21, v12 dst_sel:DWORD dst_unused:UNUSED_PAD src0_sel:DWORD src1_sel:WORD_1
	v_bfe_u32 v15, v12, 19, 4
	v_sub_u32_e32 v20, 29, v20
	v_and_b32_e32 v21, 7, v21
	v_cmp_eq_u16_e32 vcc, 0, v14
	v_cndmask_b32_e32 v11, v11, v21, vcc
	v_cndmask_b32_e32 v14, v15, v20, vcc
	v_lshlrev_b32_e32 v15, 8, v12
	v_mov_b32_e32 v20, 0x3b800000
	v_lshlrev_b32_e32 v11, 20, v11
	v_and_b32_e32 v15, 0x80000000, v15
	v_lshl_add_u32 v14, v14, 23, v20
	v_or3_b32 v14, v15, v14, v11
.LBB41_1624:
	s_or_b64 exec, exec, s[6:7]
	s_nop 0
	v_mfma_f32_16x16x4f32 a[0:3], v10, v14, a[0:3]
	s_movk_i32 s4, 0x7f
	v_cmp_gt_i16_sdwa s[6:7], v16, s4 src0_sel:BYTE_3 src1_sel:DWORD
	s_mov_b64 s[4:5], 0
                                        ; implicit-def: $sgpr10
	s_and_saveexec_b64 s[8:9], s[6:7]
	s_xor_b64 s[6:7], exec, s[8:9]
	s_cbranch_execnz .LBB41_3673
; %bb.1625:
	s_or_saveexec_b64 s[6:7], s[6:7]
	v_mov_b32_e32 v10, s10
	s_xor_b64 exec, exec, s[6:7]
	s_cbranch_execnz .LBB41_3676
.LBB41_1626:
	s_or_b64 exec, exec, s[6:7]
	s_and_saveexec_b64 s[6:7], s[4:5]
	s_cbranch_execz .LBB41_1628
.LBB41_1627:
	v_bfe_u32 v10, v16, 24, 3
	v_ffbh_u32_e32 v20, v10
	v_min_u32_e32 v20, 32, v20
	v_lshrrev_b32_e32 v14, 27, v16
	v_subrev_u32_e32 v21, 28, v20
	v_and_b32_e32 v11, 0x80000000, v16
	v_and_b32_e32 v14, 15, v14
	v_bfe_u32 v15, v16, 27, 4
	v_lshlrev_b32_sdwa v16, v21, v16 dst_sel:DWORD dst_unused:UNUSED_PAD src0_sel:DWORD src1_sel:BYTE_3
	v_sub_u32_e32 v20, 29, v20
	v_and_b32_e32 v16, 7, v16
	v_cmp_eq_u16_e32 vcc, 0, v14
	v_cndmask_b32_e32 v10, v10, v16, vcc
	v_cndmask_b32_e32 v14, v15, v20, vcc
	v_mov_b32_e32 v15, 0x3b800000
	v_lshlrev_b32_e32 v10, 20, v10
	v_lshl_add_u32 v14, v14, 23, v15
	v_or3_b32 v10, v11, v14, v10
.LBB41_1628:
	s_or_b64 exec, exec, s[6:7]
	s_movk_i32 s4, 0x7f
	v_cmp_gt_i16_sdwa s[6:7], v12, s4 src0_sel:BYTE_3 src1_sel:DWORD
	s_mov_b64 s[4:5], 0
                                        ; implicit-def: $sgpr10
	s_and_saveexec_b64 s[8:9], s[6:7]
	s_xor_b64 s[6:7], exec, s[8:9]
	s_cbranch_execnz .LBB41_3677
; %bb.1629:
	s_or_saveexec_b64 s[6:7], s[6:7]
	v_mov_b32_e32 v11, s10
	s_xor_b64 exec, exec, s[6:7]
	s_cbranch_execnz .LBB41_3680
.LBB41_1630:
	s_or_b64 exec, exec, s[6:7]
	s_and_saveexec_b64 s[6:7], s[4:5]
	s_cbranch_execz .LBB41_1632
.LBB41_1631:
	v_bfe_u32 v11, v12, 24, 3
	v_ffbh_u32_e32 v20, v11
	v_min_u32_e32 v20, 32, v20
	v_lshrrev_b32_e32 v15, 27, v12
	v_subrev_u32_e32 v21, 28, v20
	v_and_b32_e32 v14, 0x80000000, v12
	v_and_b32_e32 v15, 15, v15
	v_bfe_u32 v16, v12, 27, 4
	v_lshlrev_b32_sdwa v12, v21, v12 dst_sel:DWORD dst_unused:UNUSED_PAD src0_sel:DWORD src1_sel:BYTE_3
	v_sub_u32_e32 v20, 29, v20
	v_and_b32_e32 v12, 7, v12
	v_cmp_eq_u16_e32 vcc, 0, v15
	v_cndmask_b32_e32 v11, v11, v12, vcc
	v_cndmask_b32_e32 v12, v16, v20, vcc
	v_mov_b32_e32 v15, 0x3b800000
	v_lshlrev_b32_e32 v11, 20, v11
	v_lshl_add_u32 v12, v12, 23, v15
	v_or3_b32 v11, v14, v12, v11
.LBB41_1632:
	s_or_b64 exec, exec, s[6:7]
	s_nop 0
	v_mfma_f32_16x16x4f32 a[0:3], v10, v11, a[0:3]
	s_movk_i32 s4, 0x7f
	v_cmp_gt_i16_sdwa s[6:7], v17, s4 src0_sel:BYTE_0 src1_sel:DWORD
	s_mov_b64 s[4:5], 0
                                        ; implicit-def: $sgpr10
	s_and_saveexec_b64 s[8:9], s[6:7]
	s_xor_b64 s[6:7], exec, s[8:9]
	s_cbranch_execnz .LBB41_3681
; %bb.1633:
	s_or_saveexec_b64 s[6:7], s[6:7]
	v_mov_b32_e32 v10, s10
	s_xor_b64 exec, exec, s[6:7]
	s_cbranch_execnz .LBB41_3684
.LBB41_1634:
	s_or_b64 exec, exec, s[6:7]
	s_and_saveexec_b64 s[6:7], s[4:5]
	s_cbranch_execz .LBB41_1636
.LBB41_1635:
	v_and_b32_e32 v10, 7, v17
	v_ffbh_u32_e32 v12, v10
	v_min_u32_e32 v12, 32, v12
	v_lshrrev_b16_e32 v11, 3, v17
	v_subrev_u32_e32 v14, 28, v12
	v_and_b32_e32 v11, 15, v11
	v_lshlrev_b32_e32 v14, v14, v17
	v_sub_u32_e32 v12, 29, v12
	v_and_b32_e32 v14, 7, v14
	v_cmp_eq_u16_e32 vcc, 0, v11
	v_cndmask_b32_e32 v10, v10, v14, vcc
	v_cndmask_b32_e32 v11, v11, v12, vcc
	v_lshlrev_b32_e32 v12, 24, v17
	v_mov_b32_e32 v14, 0x3b800000
	v_lshlrev_b32_e32 v10, 20, v10
	v_and_b32_e32 v12, 0x80000000, v12
	v_lshl_add_u32 v11, v11, 23, v14
	v_or3_b32 v10, v12, v11, v10
.LBB41_1636:
	s_or_b64 exec, exec, s[6:7]
	s_movk_i32 s4, 0x7f
	v_cmp_gt_i16_sdwa s[6:7], v13, s4 src0_sel:BYTE_0 src1_sel:DWORD
	s_mov_b64 s[4:5], 0
                                        ; implicit-def: $sgpr10
	s_and_saveexec_b64 s[8:9], s[6:7]
	s_xor_b64 s[6:7], exec, s[8:9]
	s_cbranch_execnz .LBB41_3685
; %bb.1637:
	s_or_saveexec_b64 s[6:7], s[6:7]
	v_mov_b32_e32 v11, s10
	s_xor_b64 exec, exec, s[6:7]
	s_cbranch_execnz .LBB41_3688
.LBB41_1638:
	s_or_b64 exec, exec, s[6:7]
	s_and_saveexec_b64 s[6:7], s[4:5]
	s_cbranch_execz .LBB41_1640
.LBB41_1639:
	v_and_b32_e32 v11, 7, v13
	v_ffbh_u32_e32 v14, v11
	v_min_u32_e32 v14, 32, v14
	v_lshrrev_b16_e32 v12, 3, v13
	v_subrev_u32_e32 v15, 28, v14
	v_and_b32_e32 v12, 15, v12
	v_lshlrev_b32_e32 v15, v15, v13
	v_sub_u32_e32 v14, 29, v14
	v_and_b32_e32 v15, 7, v15
	v_cmp_eq_u16_e32 vcc, 0, v12
	v_cndmask_b32_e32 v11, v11, v15, vcc
	v_cndmask_b32_e32 v12, v12, v14, vcc
	v_lshlrev_b32_e32 v14, 24, v13
	v_mov_b32_e32 v15, 0x3b800000
	v_lshlrev_b32_e32 v11, 20, v11
	v_and_b32_e32 v14, 0x80000000, v14
	v_lshl_add_u32 v12, v12, 23, v15
	v_or3_b32 v11, v14, v12, v11
.LBB41_1640:
	s_or_b64 exec, exec, s[6:7]
	s_nop 0
	v_mfma_f32_16x16x4f32 a[0:3], v10, v11, a[0:3]
	v_lshrrev_b32_e32 v11, 8, v17
	s_movk_i32 s4, 0x7f
	v_cmp_gt_i16_sdwa s[6:7], v11, s4 src0_sel:BYTE_0 src1_sel:DWORD
	s_mov_b64 s[4:5], 0
                                        ; implicit-def: $sgpr10
	s_and_saveexec_b64 s[8:9], s[6:7]
	s_xor_b64 s[6:7], exec, s[8:9]
	s_cbranch_execnz .LBB41_3689
; %bb.1641:
	s_or_saveexec_b64 s[6:7], s[6:7]
	v_mov_b32_e32 v10, s10
	s_xor_b64 exec, exec, s[6:7]
	s_cbranch_execnz .LBB41_3692
.LBB41_1642:
	s_or_b64 exec, exec, s[6:7]
	s_and_saveexec_b64 s[6:7], s[4:5]
	s_cbranch_execz .LBB41_1644
.LBB41_1643:
	v_bfe_u32 v10, v17, 8, 3
	v_ffbh_u32_e32 v14, v10
	v_min_u32_e32 v14, 32, v14
	v_lshrrev_b16_e32 v12, 3, v11
	v_subrev_u32_e32 v15, 28, v14
	v_and_b32_e32 v12, 15, v12
	v_lshlrev_b32_e32 v11, v15, v11
	v_sub_u32_e32 v14, 29, v14
	v_and_b32_e32 v11, 7, v11
	v_cmp_eq_u16_e32 vcc, 0, v12
	v_cndmask_b32_e32 v10, v10, v11, vcc
	v_cndmask_b32_e32 v11, v12, v14, vcc
	v_lshlrev_b32_e32 v12, 16, v17
	v_mov_b32_e32 v14, 0x3b800000
	v_lshlrev_b32_e32 v10, 20, v10
	v_and_b32_e32 v12, 0x80000000, v12
	v_lshl_add_u32 v11, v11, 23, v14
	v_or3_b32 v10, v12, v11, v10
.LBB41_1644:
	s_or_b64 exec, exec, s[6:7]
	v_lshrrev_b32_e32 v11, 8, v13
	s_movk_i32 s4, 0x7f
	v_cmp_gt_i16_sdwa s[6:7], v11, s4 src0_sel:BYTE_0 src1_sel:DWORD
	s_mov_b64 s[4:5], 0
                                        ; implicit-def: $sgpr10
	s_and_saveexec_b64 s[8:9], s[6:7]
	s_xor_b64 s[6:7], exec, s[8:9]
	s_cbranch_execnz .LBB41_3693
; %bb.1645:
	s_or_saveexec_b64 s[6:7], s[6:7]
	v_mov_b32_e32 v12, s10
	s_xor_b64 exec, exec, s[6:7]
	s_cbranch_execnz .LBB41_3696
.LBB41_1646:
	s_or_b64 exec, exec, s[6:7]
	s_and_saveexec_b64 s[6:7], s[4:5]
	s_cbranch_execz .LBB41_1648
.LBB41_1647:
	v_bfe_u32 v12, v13, 8, 3
	v_ffbh_u32_e32 v15, v12
	v_min_u32_e32 v15, 32, v15
	v_lshrrev_b16_e32 v14, 3, v11
	v_subrev_u32_e32 v16, 28, v15
	v_and_b32_e32 v14, 15, v14
	v_lshlrev_b32_e32 v11, v16, v11
	v_sub_u32_e32 v15, 29, v15
	v_and_b32_e32 v11, 7, v11
	v_cmp_eq_u16_e32 vcc, 0, v14
	v_cndmask_b32_e32 v11, v12, v11, vcc
	v_cndmask_b32_e32 v12, v14, v15, vcc
	v_lshlrev_b32_e32 v14, 16, v13
	v_mov_b32_e32 v15, 0x3b800000
	v_lshlrev_b32_e32 v11, 20, v11
	v_and_b32_e32 v14, 0x80000000, v14
	v_lshl_add_u32 v12, v12, 23, v15
	v_or3_b32 v12, v14, v12, v11
.LBB41_1648:
	s_or_b64 exec, exec, s[6:7]
	s_nop 0
	v_mfma_f32_16x16x4f32 a[0:3], v10, v12, a[0:3]
	s_movk_i32 s4, 0xff
	v_and_b32_sdwa v11, v17, s4 dst_sel:DWORD dst_unused:UNUSED_PAD src0_sel:WORD_1 src1_sel:DWORD
	s_movk_i32 s4, 0x7f
	v_cmp_lt_i16_e32 vcc, s4, v11
	s_mov_b64 s[4:5], 0
                                        ; implicit-def: $sgpr10
	s_and_saveexec_b64 s[6:7], vcc
	s_xor_b64 s[6:7], exec, s[6:7]
	s_cbranch_execnz .LBB41_3697
; %bb.1649:
	s_or_saveexec_b64 s[6:7], s[6:7]
	v_mov_b32_e32 v10, s10
	s_xor_b64 exec, exec, s[6:7]
	s_cbranch_execnz .LBB41_3700
.LBB41_1650:
	s_or_b64 exec, exec, s[6:7]
	s_and_saveexec_b64 s[6:7], s[4:5]
	s_cbranch_execz .LBB41_1652
.LBB41_1651:
	v_bfe_u32 v10, v17, 16, 3
	v_ffbh_u32_e32 v14, v10
	v_min_u32_e32 v14, 32, v14
	v_lshrrev_b32_e32 v11, 19, v17
	v_subrev_u32_e32 v15, 28, v14
	v_and_b32_e32 v11, 15, v11
	v_lshlrev_b32_sdwa v15, v15, v17 dst_sel:DWORD dst_unused:UNUSED_PAD src0_sel:DWORD src1_sel:WORD_1
	v_bfe_u32 v12, v17, 19, 4
	v_sub_u32_e32 v14, 29, v14
	v_and_b32_e32 v15, 7, v15
	v_cmp_eq_u16_e32 vcc, 0, v11
	v_cndmask_b32_e32 v10, v10, v15, vcc
	v_cndmask_b32_e32 v11, v12, v14, vcc
	v_lshlrev_b32_e32 v12, 8, v17
	v_mov_b32_e32 v14, 0x3b800000
	v_lshlrev_b32_e32 v10, 20, v10
	v_and_b32_e32 v12, 0x80000000, v12
	v_lshl_add_u32 v11, v11, 23, v14
	v_or3_b32 v10, v12, v11, v10
.LBB41_1652:
	s_or_b64 exec, exec, s[6:7]
	s_movk_i32 s4, 0xff
	v_and_b32_sdwa v11, v13, s4 dst_sel:DWORD dst_unused:UNUSED_PAD src0_sel:WORD_1 src1_sel:DWORD
	s_movk_i32 s4, 0x7f
	v_cmp_lt_i16_e32 vcc, s4, v11
	s_mov_b64 s[4:5], 0
                                        ; implicit-def: $sgpr10
	s_and_saveexec_b64 s[6:7], vcc
	s_xor_b64 s[6:7], exec, s[6:7]
	s_cbranch_execnz .LBB41_3701
; %bb.1653:
	s_or_saveexec_b64 s[6:7], s[6:7]
	v_mov_b32_e32 v12, s10
	s_xor_b64 exec, exec, s[6:7]
	s_cbranch_execnz .LBB41_3704
.LBB41_1654:
	s_or_b64 exec, exec, s[6:7]
	s_and_saveexec_b64 s[6:7], s[4:5]
	s_cbranch_execz .LBB41_1656
.LBB41_1655:
	v_bfe_u32 v11, v13, 16, 3
	v_ffbh_u32_e32 v15, v11
	v_min_u32_e32 v15, 32, v15
	v_lshrrev_b32_e32 v12, 19, v13
	v_subrev_u32_e32 v16, 28, v15
	v_and_b32_e32 v12, 15, v12
	v_lshlrev_b32_sdwa v16, v16, v13 dst_sel:DWORD dst_unused:UNUSED_PAD src0_sel:DWORD src1_sel:WORD_1
	v_bfe_u32 v14, v13, 19, 4
	v_sub_u32_e32 v15, 29, v15
	v_and_b32_e32 v16, 7, v16
	v_cmp_eq_u16_e32 vcc, 0, v12
	v_cndmask_b32_e32 v11, v11, v16, vcc
	v_cndmask_b32_e32 v12, v14, v15, vcc
	v_lshlrev_b32_e32 v14, 8, v13
	v_mov_b32_e32 v15, 0x3b800000
	v_lshlrev_b32_e32 v11, 20, v11
	v_and_b32_e32 v14, 0x80000000, v14
	v_lshl_add_u32 v12, v12, 23, v15
	v_or3_b32 v12, v14, v12, v11
.LBB41_1656:
	s_or_b64 exec, exec, s[6:7]
	s_nop 0
	v_mfma_f32_16x16x4f32 a[0:3], v10, v12, a[0:3]
	s_movk_i32 s4, 0x7f
	v_cmp_gt_i16_sdwa s[6:7], v17, s4 src0_sel:BYTE_3 src1_sel:DWORD
	s_mov_b64 s[4:5], 0
                                        ; implicit-def: $sgpr10
	s_and_saveexec_b64 s[8:9], s[6:7]
	s_xor_b64 s[6:7], exec, s[8:9]
	s_cbranch_execnz .LBB41_3705
; %bb.1657:
	s_or_saveexec_b64 s[6:7], s[6:7]
	v_mov_b32_e32 v10, s10
	s_xor_b64 exec, exec, s[6:7]
	s_cbranch_execnz .LBB41_3708
.LBB41_1658:
	s_or_b64 exec, exec, s[6:7]
	s_and_saveexec_b64 s[6:7], s[4:5]
	s_cbranch_execz .LBB41_1660
.LBB41_1659:
	v_bfe_u32 v10, v17, 24, 3
	v_ffbh_u32_e32 v15, v10
	v_min_u32_e32 v15, 32, v15
	v_lshrrev_b32_e32 v12, 27, v17
	v_subrev_u32_e32 v16, 28, v15
	v_and_b32_e32 v12, 15, v12
	v_lshlrev_b32_sdwa v16, v16, v17 dst_sel:DWORD dst_unused:UNUSED_PAD src0_sel:DWORD src1_sel:BYTE_3
	v_bfe_u32 v14, v17, 27, 4
	v_sub_u32_e32 v15, 29, v15
	v_and_b32_e32 v16, 7, v16
	v_cmp_eq_u16_e32 vcc, 0, v12
	v_cndmask_b32_e32 v10, v10, v16, vcc
	v_cndmask_b32_e32 v12, v14, v15, vcc
	v_mov_b32_e32 v14, 0x3b800000
	v_and_b32_e32 v11, 0x80000000, v17
	v_lshlrev_b32_e32 v10, 20, v10
	v_lshl_add_u32 v12, v12, 23, v14
	v_or3_b32 v10, v11, v12, v10
.LBB41_1660:
	s_or_b64 exec, exec, s[6:7]
	s_movk_i32 s4, 0x7f
	v_cmp_gt_i16_sdwa s[6:7], v13, s4 src0_sel:BYTE_3 src1_sel:DWORD
	s_mov_b64 s[4:5], 0
                                        ; implicit-def: $sgpr10
	s_and_saveexec_b64 s[8:9], s[6:7]
	s_xor_b64 s[6:7], exec, s[8:9]
	s_cbranch_execnz .LBB41_3709
; %bb.1661:
	s_or_saveexec_b64 s[6:7], s[6:7]
	v_mov_b32_e32 v11, s10
	s_xor_b64 exec, exec, s[6:7]
	s_cbranch_execnz .LBB41_3712
.LBB41_1662:
	s_or_b64 exec, exec, s[6:7]
	s_and_saveexec_b64 s[6:7], s[4:5]
	s_cbranch_execz .LBB41_1664
.LBB41_1663:
	v_bfe_u32 v11, v13, 24, 3
	v_ffbh_u32_e32 v16, v11
	v_min_u32_e32 v16, 32, v16
	v_lshrrev_b32_e32 v14, 27, v13
	v_subrev_u32_e32 v17, 28, v16
	v_and_b32_e32 v12, 0x80000000, v13
	v_and_b32_e32 v14, 15, v14
	v_bfe_u32 v15, v13, 27, 4
	v_lshlrev_b32_sdwa v13, v17, v13 dst_sel:DWORD dst_unused:UNUSED_PAD src0_sel:DWORD src1_sel:BYTE_3
	v_sub_u32_e32 v16, 29, v16
	v_and_b32_e32 v13, 7, v13
	v_cmp_eq_u16_e32 vcc, 0, v14
	v_cndmask_b32_e32 v11, v11, v13, vcc
	v_cndmask_b32_e32 v13, v15, v16, vcc
	v_mov_b32_e32 v14, 0x3b800000
	v_lshlrev_b32_e32 v11, 20, v11
	v_lshl_add_u32 v13, v13, 23, v14
	v_or3_b32 v11, v12, v13, v11
.LBB41_1664:
	s_or_b64 exec, exec, s[6:7]
	s_nop 0
	v_mfma_f32_16x16x4f32 a[0:3], v10, v11, a[0:3]
	s_movk_i32 s4, 0x7f
	v_cmp_gt_i16_sdwa s[6:7], v6, s4 src0_sel:BYTE_0 src1_sel:DWORD
	s_mov_b64 s[4:5], 0
                                        ; implicit-def: $sgpr10
	s_and_saveexec_b64 s[8:9], s[6:7]
	s_xor_b64 s[6:7], exec, s[8:9]
	s_cbranch_execnz .LBB41_3713
; %bb.1665:
	s_or_saveexec_b64 s[6:7], s[6:7]
	v_mov_b32_e32 v10, s10
	s_xor_b64 exec, exec, s[6:7]
	s_cbranch_execnz .LBB41_3716
.LBB41_1666:
	s_or_b64 exec, exec, s[6:7]
	s_and_saveexec_b64 s[6:7], s[4:5]
	s_cbranch_execz .LBB41_1668
.LBB41_1667:
	v_and_b32_e32 v10, 7, v6
	v_ffbh_u32_e32 v12, v10
	v_min_u32_e32 v12, 32, v12
	v_lshrrev_b16_e32 v11, 3, v6
	v_subrev_u32_e32 v13, 28, v12
	v_and_b32_e32 v11, 15, v11
	v_lshlrev_b32_e32 v13, v13, v6
	v_sub_u32_e32 v12, 29, v12
	v_and_b32_e32 v13, 7, v13
	v_cmp_eq_u16_e32 vcc, 0, v11
	v_cndmask_b32_e32 v10, v10, v13, vcc
	v_cndmask_b32_e32 v11, v11, v12, vcc
	v_lshlrev_b32_e32 v12, 24, v6
	v_mov_b32_e32 v13, 0x3b800000
	v_lshlrev_b32_e32 v10, 20, v10
	v_and_b32_e32 v12, 0x80000000, v12
	v_lshl_add_u32 v11, v11, 23, v13
	v_or3_b32 v10, v12, v11, v10
.LBB41_1668:
	s_or_b64 exec, exec, s[6:7]
	s_movk_i32 s4, 0x7f
	v_cmp_gt_i16_sdwa s[6:7], v2, s4 src0_sel:BYTE_0 src1_sel:DWORD
	s_mov_b64 s[4:5], 0
                                        ; implicit-def: $sgpr10
	s_and_saveexec_b64 s[8:9], s[6:7]
	s_xor_b64 s[6:7], exec, s[8:9]
	s_cbranch_execnz .LBB41_3717
; %bb.1669:
	s_or_saveexec_b64 s[6:7], s[6:7]
	v_mov_b32_e32 v11, s10
	s_xor_b64 exec, exec, s[6:7]
	s_cbranch_execnz .LBB41_3720
.LBB41_1670:
	s_or_b64 exec, exec, s[6:7]
	s_and_saveexec_b64 s[6:7], s[4:5]
	s_cbranch_execz .LBB41_1672
.LBB41_1671:
	v_and_b32_e32 v11, 7, v2
	v_ffbh_u32_e32 v13, v11
	v_min_u32_e32 v13, 32, v13
	v_lshrrev_b16_e32 v12, 3, v2
	v_subrev_u32_e32 v14, 28, v13
	v_and_b32_e32 v12, 15, v12
	v_lshlrev_b32_e32 v14, v14, v2
	v_sub_u32_e32 v13, 29, v13
	v_and_b32_e32 v14, 7, v14
	v_cmp_eq_u16_e32 vcc, 0, v12
	v_cndmask_b32_e32 v11, v11, v14, vcc
	v_cndmask_b32_e32 v12, v12, v13, vcc
	v_lshlrev_b32_e32 v13, 24, v2
	v_mov_b32_e32 v14, 0x3b800000
	v_lshlrev_b32_e32 v11, 20, v11
	v_and_b32_e32 v13, 0x80000000, v13
	v_lshl_add_u32 v12, v12, 23, v14
	v_or3_b32 v11, v13, v12, v11
.LBB41_1672:
	s_or_b64 exec, exec, s[6:7]
	s_nop 0
	v_mfma_f32_16x16x4f32 a[0:3], v10, v11, a[0:3]
	v_lshrrev_b32_e32 v11, 8, v6
	s_movk_i32 s4, 0x7f
	v_cmp_gt_i16_sdwa s[6:7], v11, s4 src0_sel:BYTE_0 src1_sel:DWORD
	s_mov_b64 s[4:5], 0
                                        ; implicit-def: $sgpr10
	s_and_saveexec_b64 s[8:9], s[6:7]
	s_xor_b64 s[6:7], exec, s[8:9]
	s_cbranch_execnz .LBB41_3721
; %bb.1673:
	s_or_saveexec_b64 s[6:7], s[6:7]
	v_mov_b32_e32 v10, s10
	s_xor_b64 exec, exec, s[6:7]
	s_cbranch_execnz .LBB41_3724
.LBB41_1674:
	s_or_b64 exec, exec, s[6:7]
	s_and_saveexec_b64 s[6:7], s[4:5]
	s_cbranch_execz .LBB41_1676
.LBB41_1675:
	v_bfe_u32 v10, v6, 8, 3
	v_ffbh_u32_e32 v13, v10
	v_min_u32_e32 v13, 32, v13
	v_lshrrev_b16_e32 v12, 3, v11
	v_subrev_u32_e32 v14, 28, v13
	v_and_b32_e32 v12, 15, v12
	v_lshlrev_b32_e32 v11, v14, v11
	v_sub_u32_e32 v13, 29, v13
	v_and_b32_e32 v11, 7, v11
	v_cmp_eq_u16_e32 vcc, 0, v12
	v_cndmask_b32_e32 v10, v10, v11, vcc
	v_cndmask_b32_e32 v11, v12, v13, vcc
	v_lshlrev_b32_e32 v12, 16, v6
	v_mov_b32_e32 v13, 0x3b800000
	v_lshlrev_b32_e32 v10, 20, v10
	v_and_b32_e32 v12, 0x80000000, v12
	v_lshl_add_u32 v11, v11, 23, v13
	v_or3_b32 v10, v12, v11, v10
.LBB41_1676:
	s_or_b64 exec, exec, s[6:7]
	v_lshrrev_b32_e32 v11, 8, v2
	s_movk_i32 s4, 0x7f
	v_cmp_gt_i16_sdwa s[6:7], v11, s4 src0_sel:BYTE_0 src1_sel:DWORD
	s_mov_b64 s[4:5], 0
                                        ; implicit-def: $sgpr10
	s_and_saveexec_b64 s[8:9], s[6:7]
	s_xor_b64 s[6:7], exec, s[8:9]
	s_cbranch_execnz .LBB41_3725
; %bb.1677:
	s_or_saveexec_b64 s[6:7], s[6:7]
	v_mov_b32_e32 v12, s10
	s_xor_b64 exec, exec, s[6:7]
	s_cbranch_execnz .LBB41_3728
.LBB41_1678:
	s_or_b64 exec, exec, s[6:7]
	s_and_saveexec_b64 s[6:7], s[4:5]
	s_cbranch_execz .LBB41_1680
.LBB41_1679:
	v_bfe_u32 v12, v2, 8, 3
	v_ffbh_u32_e32 v14, v12
	v_min_u32_e32 v14, 32, v14
	v_lshrrev_b16_e32 v13, 3, v11
	v_subrev_u32_e32 v15, 28, v14
	v_and_b32_e32 v13, 15, v13
	v_lshlrev_b32_e32 v11, v15, v11
	v_sub_u32_e32 v14, 29, v14
	v_and_b32_e32 v11, 7, v11
	v_cmp_eq_u16_e32 vcc, 0, v13
	v_cndmask_b32_e32 v11, v12, v11, vcc
	v_cndmask_b32_e32 v12, v13, v14, vcc
	v_lshlrev_b32_e32 v13, 16, v2
	v_mov_b32_e32 v14, 0x3b800000
	v_lshlrev_b32_e32 v11, 20, v11
	v_and_b32_e32 v13, 0x80000000, v13
	v_lshl_add_u32 v12, v12, 23, v14
	v_or3_b32 v12, v13, v12, v11
.LBB41_1680:
	s_or_b64 exec, exec, s[6:7]
	s_nop 0
	v_mfma_f32_16x16x4f32 a[0:3], v10, v12, a[0:3]
	s_movk_i32 s4, 0xff
	v_and_b32_sdwa v11, v6, s4 dst_sel:DWORD dst_unused:UNUSED_PAD src0_sel:WORD_1 src1_sel:DWORD
	s_movk_i32 s4, 0x7f
	v_cmp_lt_i16_e32 vcc, s4, v11
	s_mov_b64 s[4:5], 0
                                        ; implicit-def: $sgpr10
	s_and_saveexec_b64 s[6:7], vcc
	s_xor_b64 s[6:7], exec, s[6:7]
	s_cbranch_execnz .LBB41_3729
; %bb.1681:
	s_or_saveexec_b64 s[6:7], s[6:7]
	v_mov_b32_e32 v10, s10
	s_xor_b64 exec, exec, s[6:7]
	s_cbranch_execnz .LBB41_3732
.LBB41_1682:
	s_or_b64 exec, exec, s[6:7]
	s_and_saveexec_b64 s[6:7], s[4:5]
	s_cbranch_execz .LBB41_1684
.LBB41_1683:
	v_bfe_u32 v10, v6, 16, 3
	v_ffbh_u32_e32 v13, v10
	v_min_u32_e32 v13, 32, v13
	v_lshrrev_b32_e32 v11, 19, v6
	v_subrev_u32_e32 v14, 28, v13
	v_and_b32_e32 v11, 15, v11
	v_lshlrev_b32_sdwa v14, v14, v6 dst_sel:DWORD dst_unused:UNUSED_PAD src0_sel:DWORD src1_sel:WORD_1
	v_bfe_u32 v12, v6, 19, 4
	v_sub_u32_e32 v13, 29, v13
	v_and_b32_e32 v14, 7, v14
	v_cmp_eq_u16_e32 vcc, 0, v11
	v_cndmask_b32_e32 v10, v10, v14, vcc
	v_cndmask_b32_e32 v11, v12, v13, vcc
	v_lshlrev_b32_e32 v12, 8, v6
	v_mov_b32_e32 v13, 0x3b800000
	v_lshlrev_b32_e32 v10, 20, v10
	v_and_b32_e32 v12, 0x80000000, v12
	v_lshl_add_u32 v11, v11, 23, v13
	v_or3_b32 v10, v12, v11, v10
.LBB41_1684:
	s_or_b64 exec, exec, s[6:7]
	s_movk_i32 s4, 0xff
	v_and_b32_sdwa v11, v2, s4 dst_sel:DWORD dst_unused:UNUSED_PAD src0_sel:WORD_1 src1_sel:DWORD
	s_movk_i32 s4, 0x7f
	v_cmp_lt_i16_e32 vcc, s4, v11
	s_mov_b64 s[4:5], 0
                                        ; implicit-def: $sgpr10
	s_and_saveexec_b64 s[6:7], vcc
	s_xor_b64 s[6:7], exec, s[6:7]
	s_cbranch_execnz .LBB41_3733
; %bb.1685:
	s_or_saveexec_b64 s[6:7], s[6:7]
	v_mov_b32_e32 v12, s10
	s_xor_b64 exec, exec, s[6:7]
	s_cbranch_execnz .LBB41_3736
.LBB41_1686:
	s_or_b64 exec, exec, s[6:7]
	s_and_saveexec_b64 s[6:7], s[4:5]
	s_cbranch_execz .LBB41_1688
.LBB41_1687:
	v_bfe_u32 v11, v2, 16, 3
	v_ffbh_u32_e32 v14, v11
	v_min_u32_e32 v14, 32, v14
	v_lshrrev_b32_e32 v12, 19, v2
	v_subrev_u32_e32 v15, 28, v14
	v_and_b32_e32 v12, 15, v12
	v_lshlrev_b32_sdwa v15, v15, v2 dst_sel:DWORD dst_unused:UNUSED_PAD src0_sel:DWORD src1_sel:WORD_1
	v_bfe_u32 v13, v2, 19, 4
	v_sub_u32_e32 v14, 29, v14
	v_and_b32_e32 v15, 7, v15
	v_cmp_eq_u16_e32 vcc, 0, v12
	v_cndmask_b32_e32 v11, v11, v15, vcc
	v_cndmask_b32_e32 v12, v13, v14, vcc
	v_lshlrev_b32_e32 v13, 8, v2
	v_mov_b32_e32 v14, 0x3b800000
	v_lshlrev_b32_e32 v11, 20, v11
	v_and_b32_e32 v13, 0x80000000, v13
	v_lshl_add_u32 v12, v12, 23, v14
	v_or3_b32 v12, v13, v12, v11
.LBB41_1688:
	s_or_b64 exec, exec, s[6:7]
	s_nop 0
	v_mfma_f32_16x16x4f32 a[0:3], v10, v12, a[0:3]
	s_movk_i32 s4, 0x7f
	v_cmp_gt_i16_sdwa s[6:7], v6, s4 src0_sel:BYTE_3 src1_sel:DWORD
	s_mov_b64 s[4:5], 0
                                        ; implicit-def: $sgpr10
	s_and_saveexec_b64 s[8:9], s[6:7]
	s_xor_b64 s[6:7], exec, s[8:9]
	s_cbranch_execnz .LBB41_3737
; %bb.1689:
	s_or_saveexec_b64 s[6:7], s[6:7]
	v_mov_b32_e32 v10, s10
	s_xor_b64 exec, exec, s[6:7]
	s_cbranch_execnz .LBB41_3740
.LBB41_1690:
	s_or_b64 exec, exec, s[6:7]
	s_and_saveexec_b64 s[6:7], s[4:5]
	s_cbranch_execz .LBB41_1692
.LBB41_1691:
	v_bfe_u32 v10, v6, 24, 3
	v_ffbh_u32_e32 v14, v10
	v_min_u32_e32 v14, 32, v14
	v_lshrrev_b32_e32 v12, 27, v6
	v_subrev_u32_e32 v15, 28, v14
	v_and_b32_e32 v11, 0x80000000, v6
	v_and_b32_e32 v12, 15, v12
	v_bfe_u32 v13, v6, 27, 4
	v_lshlrev_b32_sdwa v6, v15, v6 dst_sel:DWORD dst_unused:UNUSED_PAD src0_sel:DWORD src1_sel:BYTE_3
	v_sub_u32_e32 v14, 29, v14
	v_and_b32_e32 v6, 7, v6
	v_cmp_eq_u16_e32 vcc, 0, v12
	v_cndmask_b32_e32 v6, v10, v6, vcc
	v_cndmask_b32_e32 v10, v13, v14, vcc
	v_mov_b32_e32 v12, 0x3b800000
	v_lshlrev_b32_e32 v6, 20, v6
	v_lshl_add_u32 v10, v10, 23, v12
	v_or3_b32 v10, v11, v10, v6
.LBB41_1692:
	s_or_b64 exec, exec, s[6:7]
	s_movk_i32 s4, 0x7f
	v_cmp_gt_i16_sdwa s[6:7], v2, s4 src0_sel:BYTE_3 src1_sel:DWORD
	s_mov_b64 s[4:5], 0
                                        ; implicit-def: $sgpr10
	s_and_saveexec_b64 s[8:9], s[6:7]
	s_xor_b64 s[6:7], exec, s[8:9]
	s_cbranch_execnz .LBB41_3741
; %bb.1693:
	s_or_saveexec_b64 s[6:7], s[6:7]
	v_mov_b32_e32 v6, s10
	s_xor_b64 exec, exec, s[6:7]
	s_cbranch_execnz .LBB41_3744
.LBB41_1694:
	s_or_b64 exec, exec, s[6:7]
	s_and_saveexec_b64 s[6:7], s[4:5]
	s_cbranch_execz .LBB41_1696
.LBB41_1695:
	v_bfe_u32 v6, v2, 24, 3
	v_ffbh_u32_e32 v14, v6
	v_min_u32_e32 v14, 32, v14
	v_lshrrev_b32_e32 v12, 27, v2
	v_subrev_u32_e32 v15, 28, v14
	v_and_b32_e32 v11, 0x80000000, v2
	v_and_b32_e32 v12, 15, v12
	v_bfe_u32 v13, v2, 27, 4
	v_lshlrev_b32_sdwa v2, v15, v2 dst_sel:DWORD dst_unused:UNUSED_PAD src0_sel:DWORD src1_sel:BYTE_3
	v_sub_u32_e32 v14, 29, v14
	v_and_b32_e32 v2, 7, v2
	v_cmp_eq_u16_e32 vcc, 0, v12
	v_cndmask_b32_e32 v2, v6, v2, vcc
	v_cndmask_b32_e32 v6, v13, v14, vcc
	v_mov_b32_e32 v12, 0x3b800000
	v_lshlrev_b32_e32 v2, 20, v2
	v_lshl_add_u32 v6, v6, 23, v12
	v_or3_b32 v6, v11, v6, v2
.LBB41_1696:
	s_or_b64 exec, exec, s[6:7]
	s_nop 0
	v_mfma_f32_16x16x4f32 a[0:3], v10, v6, a[0:3]
	s_movk_i32 s4, 0x7f
	v_cmp_gt_i16_sdwa s[6:7], v7, s4 src0_sel:BYTE_0 src1_sel:DWORD
	s_mov_b64 s[4:5], 0
                                        ; implicit-def: $sgpr10
	s_and_saveexec_b64 s[8:9], s[6:7]
	s_xor_b64 s[6:7], exec, s[8:9]
	s_cbranch_execnz .LBB41_3745
; %bb.1697:
	s_or_saveexec_b64 s[6:7], s[6:7]
	v_mov_b32_e32 v2, s10
	s_xor_b64 exec, exec, s[6:7]
	s_cbranch_execnz .LBB41_3748
.LBB41_1698:
	s_or_b64 exec, exec, s[6:7]
	s_and_saveexec_b64 s[6:7], s[4:5]
	s_cbranch_execz .LBB41_1700
.LBB41_1699:
	v_and_b32_e32 v2, 7, v7
	v_ffbh_u32_e32 v10, v2
	v_min_u32_e32 v10, 32, v10
	v_lshrrev_b16_e32 v6, 3, v7
	v_subrev_u32_e32 v11, 28, v10
	v_and_b32_e32 v6, 15, v6
	v_lshlrev_b32_e32 v11, v11, v7
	v_sub_u32_e32 v10, 29, v10
	v_and_b32_e32 v11, 7, v11
	v_cmp_eq_u16_e32 vcc, 0, v6
	v_cndmask_b32_e32 v2, v2, v11, vcc
	v_cndmask_b32_e32 v6, v6, v10, vcc
	v_lshlrev_b32_e32 v10, 24, v7
	v_mov_b32_e32 v11, 0x3b800000
	v_lshlrev_b32_e32 v2, 20, v2
	v_and_b32_e32 v10, 0x80000000, v10
	v_lshl_add_u32 v6, v6, 23, v11
	v_or3_b32 v2, v10, v6, v2
.LBB41_1700:
	s_or_b64 exec, exec, s[6:7]
	s_movk_i32 s4, 0x7f
	v_cmp_gt_i16_sdwa s[6:7], v3, s4 src0_sel:BYTE_0 src1_sel:DWORD
	s_mov_b64 s[4:5], 0
                                        ; implicit-def: $sgpr10
	s_and_saveexec_b64 s[8:9], s[6:7]
	s_xor_b64 s[6:7], exec, s[8:9]
	s_cbranch_execnz .LBB41_3749
; %bb.1701:
	s_or_saveexec_b64 s[6:7], s[6:7]
	v_mov_b32_e32 v6, s10
	s_xor_b64 exec, exec, s[6:7]
	s_cbranch_execnz .LBB41_3752
.LBB41_1702:
	s_or_b64 exec, exec, s[6:7]
	s_and_saveexec_b64 s[6:7], s[4:5]
	s_cbranch_execz .LBB41_1704
.LBB41_1703:
	v_and_b32_e32 v6, 7, v3
	v_ffbh_u32_e32 v11, v6
	v_min_u32_e32 v11, 32, v11
	v_lshrrev_b16_e32 v10, 3, v3
	v_subrev_u32_e32 v12, 28, v11
	v_and_b32_e32 v10, 15, v10
	v_lshlrev_b32_e32 v12, v12, v3
	v_sub_u32_e32 v11, 29, v11
	v_and_b32_e32 v12, 7, v12
	v_cmp_eq_u16_e32 vcc, 0, v10
	v_cndmask_b32_e32 v6, v6, v12, vcc
	v_cndmask_b32_e32 v10, v10, v11, vcc
	v_lshlrev_b32_e32 v11, 24, v3
	v_mov_b32_e32 v12, 0x3b800000
	v_lshlrev_b32_e32 v6, 20, v6
	v_and_b32_e32 v11, 0x80000000, v11
	v_lshl_add_u32 v10, v10, 23, v12
	v_or3_b32 v6, v11, v10, v6
.LBB41_1704:
	s_or_b64 exec, exec, s[6:7]
	s_nop 0
	v_mfma_f32_16x16x4f32 a[0:3], v2, v6, a[0:3]
	v_lshrrev_b32_e32 v6, 8, v7
	s_movk_i32 s4, 0x7f
	v_cmp_gt_i16_sdwa s[6:7], v6, s4 src0_sel:BYTE_0 src1_sel:DWORD
	s_mov_b64 s[4:5], 0
                                        ; implicit-def: $sgpr10
	s_and_saveexec_b64 s[8:9], s[6:7]
	s_xor_b64 s[6:7], exec, s[8:9]
	s_cbranch_execnz .LBB41_3753
; %bb.1705:
	s_or_saveexec_b64 s[6:7], s[6:7]
	v_mov_b32_e32 v2, s10
	s_xor_b64 exec, exec, s[6:7]
	s_cbranch_execnz .LBB41_3756
.LBB41_1706:
	s_or_b64 exec, exec, s[6:7]
	s_and_saveexec_b64 s[6:7], s[4:5]
	s_cbranch_execz .LBB41_1708
.LBB41_1707:
	v_bfe_u32 v2, v7, 8, 3
	v_ffbh_u32_e32 v11, v2
	v_min_u32_e32 v11, 32, v11
	v_lshrrev_b16_e32 v10, 3, v6
	v_subrev_u32_e32 v12, 28, v11
	v_and_b32_e32 v10, 15, v10
	v_lshlrev_b32_e32 v6, v12, v6
	v_sub_u32_e32 v11, 29, v11
	v_and_b32_e32 v6, 7, v6
	v_cmp_eq_u16_e32 vcc, 0, v10
	v_cndmask_b32_e32 v2, v2, v6, vcc
	v_cndmask_b32_e32 v6, v10, v11, vcc
	v_lshlrev_b32_e32 v10, 16, v7
	v_mov_b32_e32 v11, 0x3b800000
	v_lshlrev_b32_e32 v2, 20, v2
	v_and_b32_e32 v10, 0x80000000, v10
	v_lshl_add_u32 v6, v6, 23, v11
	v_or3_b32 v2, v10, v6, v2
.LBB41_1708:
	s_or_b64 exec, exec, s[6:7]
	v_lshrrev_b32_e32 v6, 8, v3
	s_movk_i32 s4, 0x7f
	v_cmp_gt_i16_sdwa s[6:7], v6, s4 src0_sel:BYTE_0 src1_sel:DWORD
	s_mov_b64 s[4:5], 0
                                        ; implicit-def: $sgpr10
	s_and_saveexec_b64 s[8:9], s[6:7]
	s_xor_b64 s[6:7], exec, s[8:9]
	s_cbranch_execnz .LBB41_3757
; %bb.1709:
	s_or_saveexec_b64 s[6:7], s[6:7]
	v_mov_b32_e32 v10, s10
	s_xor_b64 exec, exec, s[6:7]
	s_cbranch_execnz .LBB41_3760
.LBB41_1710:
	s_or_b64 exec, exec, s[6:7]
	s_and_saveexec_b64 s[6:7], s[4:5]
	s_cbranch_execz .LBB41_1712
.LBB41_1711:
	v_bfe_u32 v10, v3, 8, 3
	v_ffbh_u32_e32 v12, v10
	v_min_u32_e32 v12, 32, v12
	v_lshrrev_b16_e32 v11, 3, v6
	v_subrev_u32_e32 v13, 28, v12
	v_and_b32_e32 v11, 15, v11
	v_lshlrev_b32_e32 v6, v13, v6
	v_sub_u32_e32 v12, 29, v12
	v_and_b32_e32 v6, 7, v6
	v_cmp_eq_u16_e32 vcc, 0, v11
	v_cndmask_b32_e32 v6, v10, v6, vcc
	v_cndmask_b32_e32 v10, v11, v12, vcc
	v_lshlrev_b32_e32 v11, 16, v3
	v_mov_b32_e32 v12, 0x3b800000
	v_lshlrev_b32_e32 v6, 20, v6
	v_and_b32_e32 v11, 0x80000000, v11
	v_lshl_add_u32 v10, v10, 23, v12
	v_or3_b32 v10, v11, v10, v6
.LBB41_1712:
	s_or_b64 exec, exec, s[6:7]
	s_nop 0
	v_mfma_f32_16x16x4f32 a[0:3], v2, v10, a[0:3]
	s_movk_i32 s4, 0xff
	v_and_b32_sdwa v6, v7, s4 dst_sel:DWORD dst_unused:UNUSED_PAD src0_sel:WORD_1 src1_sel:DWORD
	s_movk_i32 s4, 0x7f
	v_cmp_lt_i16_e32 vcc, s4, v6
	s_mov_b64 s[4:5], 0
                                        ; implicit-def: $sgpr10
	s_and_saveexec_b64 s[6:7], vcc
	s_xor_b64 s[6:7], exec, s[6:7]
	s_cbranch_execnz .LBB41_3761
; %bb.1713:
	s_or_saveexec_b64 s[6:7], s[6:7]
	v_mov_b32_e32 v2, s10
	s_xor_b64 exec, exec, s[6:7]
	s_cbranch_execnz .LBB41_3764
.LBB41_1714:
	s_or_b64 exec, exec, s[6:7]
	s_and_saveexec_b64 s[6:7], s[4:5]
	s_cbranch_execz .LBB41_1716
.LBB41_1715:
	v_bfe_u32 v2, v7, 16, 3
	v_ffbh_u32_e32 v11, v2
	v_min_u32_e32 v11, 32, v11
	v_lshrrev_b32_e32 v6, 19, v7
	v_subrev_u32_e32 v12, 28, v11
	v_and_b32_e32 v6, 15, v6
	v_lshlrev_b32_sdwa v12, v12, v7 dst_sel:DWORD dst_unused:UNUSED_PAD src0_sel:DWORD src1_sel:WORD_1
	v_bfe_u32 v10, v7, 19, 4
	v_sub_u32_e32 v11, 29, v11
	v_and_b32_e32 v12, 7, v12
	v_cmp_eq_u16_e32 vcc, 0, v6
	v_cndmask_b32_e32 v2, v2, v12, vcc
	v_cndmask_b32_e32 v6, v10, v11, vcc
	v_lshlrev_b32_e32 v10, 8, v7
	v_mov_b32_e32 v11, 0x3b800000
	v_lshlrev_b32_e32 v2, 20, v2
	v_and_b32_e32 v10, 0x80000000, v10
	v_lshl_add_u32 v6, v6, 23, v11
	v_or3_b32 v2, v10, v6, v2
.LBB41_1716:
	s_or_b64 exec, exec, s[6:7]
	s_movk_i32 s4, 0xff
	v_and_b32_sdwa v6, v3, s4 dst_sel:DWORD dst_unused:UNUSED_PAD src0_sel:WORD_1 src1_sel:DWORD
	s_movk_i32 s4, 0x7f
	v_cmp_lt_i16_e32 vcc, s4, v6
	s_mov_b64 s[4:5], 0
                                        ; implicit-def: $sgpr10
	s_and_saveexec_b64 s[6:7], vcc
	s_xor_b64 s[6:7], exec, s[6:7]
	s_cbranch_execnz .LBB41_3765
; %bb.1717:
	s_or_saveexec_b64 s[6:7], s[6:7]
	v_mov_b32_e32 v10, s10
	s_xor_b64 exec, exec, s[6:7]
	s_cbranch_execnz .LBB41_3768
.LBB41_1718:
	s_or_b64 exec, exec, s[6:7]
	s_and_saveexec_b64 s[6:7], s[4:5]
	s_cbranch_execz .LBB41_1720
.LBB41_1719:
	v_bfe_u32 v6, v3, 16, 3
	v_ffbh_u32_e32 v12, v6
	v_min_u32_e32 v12, 32, v12
	v_lshrrev_b32_e32 v10, 19, v3
	v_subrev_u32_e32 v13, 28, v12
	v_and_b32_e32 v10, 15, v10
	v_lshlrev_b32_sdwa v13, v13, v3 dst_sel:DWORD dst_unused:UNUSED_PAD src0_sel:DWORD src1_sel:WORD_1
	v_bfe_u32 v11, v3, 19, 4
	v_sub_u32_e32 v12, 29, v12
	v_and_b32_e32 v13, 7, v13
	v_cmp_eq_u16_e32 vcc, 0, v10
	v_cndmask_b32_e32 v6, v6, v13, vcc
	v_cndmask_b32_e32 v10, v11, v12, vcc
	v_lshlrev_b32_e32 v11, 8, v3
	v_mov_b32_e32 v12, 0x3b800000
	v_lshlrev_b32_e32 v6, 20, v6
	v_and_b32_e32 v11, 0x80000000, v11
	v_lshl_add_u32 v10, v10, 23, v12
	v_or3_b32 v10, v11, v10, v6
.LBB41_1720:
	s_or_b64 exec, exec, s[6:7]
	s_nop 0
	v_mfma_f32_16x16x4f32 a[0:3], v2, v10, a[0:3]
	s_movk_i32 s4, 0x7f
	v_cmp_gt_i16_sdwa s[6:7], v7, s4 src0_sel:BYTE_3 src1_sel:DWORD
	s_mov_b64 s[4:5], 0
                                        ; implicit-def: $sgpr10
	s_and_saveexec_b64 s[8:9], s[6:7]
	s_xor_b64 s[6:7], exec, s[8:9]
	s_cbranch_execnz .LBB41_3769
; %bb.1721:
	s_or_saveexec_b64 s[6:7], s[6:7]
	v_mov_b32_e32 v2, s10
	s_xor_b64 exec, exec, s[6:7]
	s_cbranch_execnz .LBB41_3772
.LBB41_1722:
	s_or_b64 exec, exec, s[6:7]
	s_and_saveexec_b64 s[6:7], s[4:5]
	s_cbranch_execz .LBB41_1724
.LBB41_1723:
	v_bfe_u32 v2, v7, 24, 3
	v_ffbh_u32_e32 v12, v2
	v_min_u32_e32 v12, 32, v12
	v_lshrrev_b32_e32 v10, 27, v7
	v_subrev_u32_e32 v13, 28, v12
	v_and_b32_e32 v6, 0x80000000, v7
	v_and_b32_e32 v10, 15, v10
	v_bfe_u32 v11, v7, 27, 4
	v_lshlrev_b32_sdwa v7, v13, v7 dst_sel:DWORD dst_unused:UNUSED_PAD src0_sel:DWORD src1_sel:BYTE_3
	v_sub_u32_e32 v12, 29, v12
	v_and_b32_e32 v7, 7, v7
	v_cmp_eq_u16_e32 vcc, 0, v10
	v_cndmask_b32_e32 v2, v2, v7, vcc
	v_cndmask_b32_e32 v7, v11, v12, vcc
	v_mov_b32_e32 v10, 0x3b800000
	v_lshlrev_b32_e32 v2, 20, v2
	v_lshl_add_u32 v7, v7, 23, v10
	v_or3_b32 v2, v6, v7, v2
.LBB41_1724:
	s_or_b64 exec, exec, s[6:7]
	s_movk_i32 s4, 0x7f
	v_cmp_gt_i16_sdwa s[6:7], v3, s4 src0_sel:BYTE_3 src1_sel:DWORD
	s_mov_b64 s[4:5], 0
                                        ; implicit-def: $sgpr10
	s_and_saveexec_b64 s[8:9], s[6:7]
	s_xor_b64 s[6:7], exec, s[8:9]
	s_cbranch_execnz .LBB41_3773
; %bb.1725:
	s_or_saveexec_b64 s[6:7], s[6:7]
	v_mov_b32_e32 v6, s10
	s_xor_b64 exec, exec, s[6:7]
	s_cbranch_execnz .LBB41_3776
.LBB41_1726:
	s_or_b64 exec, exec, s[6:7]
	s_and_saveexec_b64 s[6:7], s[4:5]
	s_cbranch_execz .LBB41_1728
.LBB41_1727:
	v_bfe_u32 v6, v3, 24, 3
	v_ffbh_u32_e32 v12, v6
	v_min_u32_e32 v12, 32, v12
	v_lshrrev_b32_e32 v10, 27, v3
	v_subrev_u32_e32 v13, 28, v12
	v_and_b32_e32 v7, 0x80000000, v3
	v_and_b32_e32 v10, 15, v10
	v_bfe_u32 v11, v3, 27, 4
	v_lshlrev_b32_sdwa v3, v13, v3 dst_sel:DWORD dst_unused:UNUSED_PAD src0_sel:DWORD src1_sel:BYTE_3
	v_sub_u32_e32 v12, 29, v12
	v_and_b32_e32 v3, 7, v3
	v_cmp_eq_u16_e32 vcc, 0, v10
	v_cndmask_b32_e32 v3, v6, v3, vcc
	v_cndmask_b32_e32 v6, v11, v12, vcc
	v_mov_b32_e32 v10, 0x3b800000
	v_lshlrev_b32_e32 v3, 20, v3
	v_lshl_add_u32 v6, v6, 23, v10
	v_or3_b32 v6, v7, v6, v3
.LBB41_1728:
	s_or_b64 exec, exec, s[6:7]
	s_nop 0
	v_mfma_f32_16x16x4f32 a[0:3], v2, v6, a[0:3]
	s_movk_i32 s4, 0x7f
	v_cmp_gt_i16_sdwa s[6:7], v8, s4 src0_sel:BYTE_0 src1_sel:DWORD
	s_mov_b64 s[4:5], 0
                                        ; implicit-def: $sgpr10
	s_and_saveexec_b64 s[8:9], s[6:7]
	s_xor_b64 s[6:7], exec, s[8:9]
	s_cbranch_execnz .LBB41_3777
; %bb.1729:
	s_or_saveexec_b64 s[6:7], s[6:7]
	v_mov_b32_e32 v2, s10
	s_xor_b64 exec, exec, s[6:7]
	s_cbranch_execnz .LBB41_3780
.LBB41_1730:
	s_or_b64 exec, exec, s[6:7]
	s_and_saveexec_b64 s[6:7], s[4:5]
	s_cbranch_execz .LBB41_1732
.LBB41_1731:
	v_and_b32_e32 v2, 7, v8
	v_ffbh_u32_e32 v6, v2
	v_min_u32_e32 v6, 32, v6
	v_lshrrev_b16_e32 v3, 3, v8
	v_subrev_u32_e32 v7, 28, v6
	v_and_b32_e32 v3, 15, v3
	v_lshlrev_b32_e32 v7, v7, v8
	v_sub_u32_e32 v6, 29, v6
	v_and_b32_e32 v7, 7, v7
	v_cmp_eq_u16_e32 vcc, 0, v3
	v_cndmask_b32_e32 v2, v2, v7, vcc
	v_cndmask_b32_e32 v3, v3, v6, vcc
	v_lshlrev_b32_e32 v6, 24, v8
	v_mov_b32_e32 v7, 0x3b800000
	v_lshlrev_b32_e32 v2, 20, v2
	v_and_b32_e32 v6, 0x80000000, v6
	v_lshl_add_u32 v3, v3, 23, v7
	v_or3_b32 v2, v6, v3, v2
.LBB41_1732:
	s_or_b64 exec, exec, s[6:7]
	s_movk_i32 s4, 0x7f
	v_cmp_gt_i16_sdwa s[6:7], v4, s4 src0_sel:BYTE_0 src1_sel:DWORD
	s_mov_b64 s[4:5], 0
                                        ; implicit-def: $sgpr10
	s_and_saveexec_b64 s[8:9], s[6:7]
	s_xor_b64 s[6:7], exec, s[8:9]
	s_cbranch_execnz .LBB41_3781
; %bb.1733:
	s_or_saveexec_b64 s[6:7], s[6:7]
	v_mov_b32_e32 v3, s10
	s_xor_b64 exec, exec, s[6:7]
	s_cbranch_execnz .LBB41_3784
.LBB41_1734:
	s_or_b64 exec, exec, s[6:7]
	s_and_saveexec_b64 s[6:7], s[4:5]
	s_cbranch_execz .LBB41_1736
.LBB41_1735:
	v_and_b32_e32 v3, 7, v4
	v_ffbh_u32_e32 v7, v3
	v_min_u32_e32 v7, 32, v7
	v_lshrrev_b16_e32 v6, 3, v4
	v_subrev_u32_e32 v10, 28, v7
	v_and_b32_e32 v6, 15, v6
	v_lshlrev_b32_e32 v10, v10, v4
	v_sub_u32_e32 v7, 29, v7
	v_and_b32_e32 v10, 7, v10
	v_cmp_eq_u16_e32 vcc, 0, v6
	v_cndmask_b32_e32 v3, v3, v10, vcc
	v_cndmask_b32_e32 v6, v6, v7, vcc
	v_lshlrev_b32_e32 v7, 24, v4
	v_mov_b32_e32 v10, 0x3b800000
	v_lshlrev_b32_e32 v3, 20, v3
	v_and_b32_e32 v7, 0x80000000, v7
	v_lshl_add_u32 v6, v6, 23, v10
	v_or3_b32 v3, v7, v6, v3
.LBB41_1736:
	s_or_b64 exec, exec, s[6:7]
	s_nop 0
	v_mfma_f32_16x16x4f32 a[0:3], v2, v3, a[0:3]
	v_lshrrev_b32_e32 v3, 8, v8
	s_movk_i32 s4, 0x7f
	v_cmp_gt_i16_sdwa s[6:7], v3, s4 src0_sel:BYTE_0 src1_sel:DWORD
	s_mov_b64 s[4:5], 0
                                        ; implicit-def: $sgpr10
	s_and_saveexec_b64 s[8:9], s[6:7]
	s_xor_b64 s[6:7], exec, s[8:9]
	s_cbranch_execnz .LBB41_3785
; %bb.1737:
	s_or_saveexec_b64 s[6:7], s[6:7]
	v_mov_b32_e32 v2, s10
	s_xor_b64 exec, exec, s[6:7]
	s_cbranch_execnz .LBB41_3788
.LBB41_1738:
	s_or_b64 exec, exec, s[6:7]
	s_and_saveexec_b64 s[6:7], s[4:5]
	s_cbranch_execz .LBB41_1740
.LBB41_1739:
	v_bfe_u32 v2, v8, 8, 3
	v_ffbh_u32_e32 v7, v2
	v_min_u32_e32 v7, 32, v7
	v_lshrrev_b16_e32 v6, 3, v3
	v_subrev_u32_e32 v10, 28, v7
	v_and_b32_e32 v6, 15, v6
	v_lshlrev_b32_e32 v3, v10, v3
	v_sub_u32_e32 v7, 29, v7
	v_and_b32_e32 v3, 7, v3
	v_cmp_eq_u16_e32 vcc, 0, v6
	v_cndmask_b32_e32 v2, v2, v3, vcc
	v_cndmask_b32_e32 v3, v6, v7, vcc
	v_lshlrev_b32_e32 v6, 16, v8
	v_mov_b32_e32 v7, 0x3b800000
	v_lshlrev_b32_e32 v2, 20, v2
	v_and_b32_e32 v6, 0x80000000, v6
	v_lshl_add_u32 v3, v3, 23, v7
	v_or3_b32 v2, v6, v3, v2
.LBB41_1740:
	s_or_b64 exec, exec, s[6:7]
	v_lshrrev_b32_e32 v3, 8, v4
	s_movk_i32 s4, 0x7f
	v_cmp_gt_i16_sdwa s[6:7], v3, s4 src0_sel:BYTE_0 src1_sel:DWORD
	s_mov_b64 s[4:5], 0
                                        ; implicit-def: $sgpr10
	s_and_saveexec_b64 s[8:9], s[6:7]
	s_xor_b64 s[6:7], exec, s[8:9]
	s_cbranch_execnz .LBB41_3789
; %bb.1741:
	s_or_saveexec_b64 s[6:7], s[6:7]
	v_mov_b32_e32 v6, s10
	s_xor_b64 exec, exec, s[6:7]
	s_cbranch_execnz .LBB41_3792
.LBB41_1742:
	s_or_b64 exec, exec, s[6:7]
	s_and_saveexec_b64 s[6:7], s[4:5]
	s_cbranch_execz .LBB41_1744
.LBB41_1743:
	v_bfe_u32 v6, v4, 8, 3
	v_ffbh_u32_e32 v10, v6
	v_min_u32_e32 v10, 32, v10
	v_lshrrev_b16_e32 v7, 3, v3
	v_subrev_u32_e32 v11, 28, v10
	v_and_b32_e32 v7, 15, v7
	v_lshlrev_b32_e32 v3, v11, v3
	v_sub_u32_e32 v10, 29, v10
	v_and_b32_e32 v3, 7, v3
	v_cmp_eq_u16_e32 vcc, 0, v7
	v_cndmask_b32_e32 v3, v6, v3, vcc
	v_cndmask_b32_e32 v6, v7, v10, vcc
	v_lshlrev_b32_e32 v7, 16, v4
	v_mov_b32_e32 v10, 0x3b800000
	v_lshlrev_b32_e32 v3, 20, v3
	v_and_b32_e32 v7, 0x80000000, v7
	v_lshl_add_u32 v6, v6, 23, v10
	v_or3_b32 v6, v7, v6, v3
.LBB41_1744:
	s_or_b64 exec, exec, s[6:7]
	s_nop 0
	v_mfma_f32_16x16x4f32 a[0:3], v2, v6, a[0:3]
	s_movk_i32 s4, 0xff
	v_and_b32_sdwa v3, v8, s4 dst_sel:DWORD dst_unused:UNUSED_PAD src0_sel:WORD_1 src1_sel:DWORD
	s_movk_i32 s4, 0x7f
	v_cmp_lt_i16_e32 vcc, s4, v3
	s_mov_b64 s[4:5], 0
                                        ; implicit-def: $sgpr10
	s_and_saveexec_b64 s[6:7], vcc
	s_xor_b64 s[6:7], exec, s[6:7]
	s_cbranch_execnz .LBB41_3793
; %bb.1745:
	s_or_saveexec_b64 s[6:7], s[6:7]
	v_mov_b32_e32 v2, s10
	s_xor_b64 exec, exec, s[6:7]
	s_cbranch_execnz .LBB41_3796
.LBB41_1746:
	s_or_b64 exec, exec, s[6:7]
	s_and_saveexec_b64 s[6:7], s[4:5]
	s_cbranch_execz .LBB41_1748
.LBB41_1747:
	v_bfe_u32 v2, v8, 16, 3
	v_ffbh_u32_e32 v7, v2
	v_min_u32_e32 v7, 32, v7
	v_lshrrev_b32_e32 v3, 19, v8
	v_subrev_u32_e32 v10, 28, v7
	v_and_b32_e32 v3, 15, v3
	v_lshlrev_b32_sdwa v10, v10, v8 dst_sel:DWORD dst_unused:UNUSED_PAD src0_sel:DWORD src1_sel:WORD_1
	v_bfe_u32 v6, v8, 19, 4
	v_sub_u32_e32 v7, 29, v7
	v_and_b32_e32 v10, 7, v10
	v_cmp_eq_u16_e32 vcc, 0, v3
	v_cndmask_b32_e32 v2, v2, v10, vcc
	v_cndmask_b32_e32 v3, v6, v7, vcc
	v_lshlrev_b32_e32 v6, 8, v8
	v_mov_b32_e32 v7, 0x3b800000
	v_lshlrev_b32_e32 v2, 20, v2
	v_and_b32_e32 v6, 0x80000000, v6
	v_lshl_add_u32 v3, v3, 23, v7
	v_or3_b32 v2, v6, v3, v2
.LBB41_1748:
	s_or_b64 exec, exec, s[6:7]
	s_movk_i32 s4, 0xff
	v_and_b32_sdwa v3, v4, s4 dst_sel:DWORD dst_unused:UNUSED_PAD src0_sel:WORD_1 src1_sel:DWORD
	s_movk_i32 s4, 0x7f
	v_cmp_lt_i16_e32 vcc, s4, v3
	s_mov_b64 s[4:5], 0
                                        ; implicit-def: $sgpr10
	s_and_saveexec_b64 s[6:7], vcc
	s_xor_b64 s[6:7], exec, s[6:7]
	s_cbranch_execnz .LBB41_3797
; %bb.1749:
	s_or_saveexec_b64 s[6:7], s[6:7]
	v_mov_b32_e32 v6, s10
	s_xor_b64 exec, exec, s[6:7]
	s_cbranch_execnz .LBB41_3800
.LBB41_1750:
	s_or_b64 exec, exec, s[6:7]
	s_and_saveexec_b64 s[6:7], s[4:5]
	s_cbranch_execz .LBB41_1752
.LBB41_1751:
	v_bfe_u32 v3, v4, 16, 3
	v_ffbh_u32_e32 v10, v3
	v_min_u32_e32 v10, 32, v10
	v_lshrrev_b32_e32 v6, 19, v4
	v_subrev_u32_e32 v11, 28, v10
	v_and_b32_e32 v6, 15, v6
	v_lshlrev_b32_sdwa v11, v11, v4 dst_sel:DWORD dst_unused:UNUSED_PAD src0_sel:DWORD src1_sel:WORD_1
	v_bfe_u32 v7, v4, 19, 4
	v_sub_u32_e32 v10, 29, v10
	v_and_b32_e32 v11, 7, v11
	v_cmp_eq_u16_e32 vcc, 0, v6
	v_cndmask_b32_e32 v3, v3, v11, vcc
	v_cndmask_b32_e32 v6, v7, v10, vcc
	v_lshlrev_b32_e32 v7, 8, v4
	v_mov_b32_e32 v10, 0x3b800000
	v_lshlrev_b32_e32 v3, 20, v3
	v_and_b32_e32 v7, 0x80000000, v7
	v_lshl_add_u32 v6, v6, 23, v10
	v_or3_b32 v6, v7, v6, v3
.LBB41_1752:
	s_or_b64 exec, exec, s[6:7]
	s_nop 0
	v_mfma_f32_16x16x4f32 a[0:3], v2, v6, a[0:3]
	s_movk_i32 s4, 0x7f
	v_cmp_gt_i16_sdwa s[6:7], v8, s4 src0_sel:BYTE_3 src1_sel:DWORD
	s_mov_b64 s[4:5], 0
                                        ; implicit-def: $sgpr10
	s_and_saveexec_b64 s[8:9], s[6:7]
	s_xor_b64 s[6:7], exec, s[8:9]
	s_cbranch_execnz .LBB41_3801
; %bb.1753:
	s_or_saveexec_b64 s[6:7], s[6:7]
	v_mov_b32_e32 v2, s10
	s_xor_b64 exec, exec, s[6:7]
	s_cbranch_execnz .LBB41_3804
.LBB41_1754:
	s_or_b64 exec, exec, s[6:7]
	s_and_saveexec_b64 s[6:7], s[4:5]
	s_cbranch_execz .LBB41_1756
.LBB41_1755:
	v_bfe_u32 v2, v8, 24, 3
	v_ffbh_u32_e32 v10, v2
	v_min_u32_e32 v10, 32, v10
	v_lshrrev_b32_e32 v6, 27, v8
	v_subrev_u32_e32 v11, 28, v10
	v_and_b32_e32 v3, 0x80000000, v8
	v_and_b32_e32 v6, 15, v6
	v_bfe_u32 v7, v8, 27, 4
	v_lshlrev_b32_sdwa v8, v11, v8 dst_sel:DWORD dst_unused:UNUSED_PAD src0_sel:DWORD src1_sel:BYTE_3
	v_sub_u32_e32 v10, 29, v10
	v_and_b32_e32 v8, 7, v8
	v_cmp_eq_u16_e32 vcc, 0, v6
	v_cndmask_b32_e32 v2, v2, v8, vcc
	v_cndmask_b32_e32 v6, v7, v10, vcc
	v_mov_b32_e32 v7, 0x3b800000
	v_lshlrev_b32_e32 v2, 20, v2
	v_lshl_add_u32 v6, v6, 23, v7
	v_or3_b32 v2, v3, v6, v2
.LBB41_1756:
	s_or_b64 exec, exec, s[6:7]
	s_movk_i32 s4, 0x7f
	v_cmp_gt_i16_sdwa s[6:7], v4, s4 src0_sel:BYTE_3 src1_sel:DWORD
	s_mov_b64 s[4:5], 0
                                        ; implicit-def: $sgpr10
	s_and_saveexec_b64 s[8:9], s[6:7]
	s_xor_b64 s[6:7], exec, s[8:9]
	s_cbranch_execnz .LBB41_3805
; %bb.1757:
	s_or_saveexec_b64 s[6:7], s[6:7]
	v_mov_b32_e32 v3, s10
	s_xor_b64 exec, exec, s[6:7]
	s_cbranch_execnz .LBB41_3808
.LBB41_1758:
	s_or_b64 exec, exec, s[6:7]
	s_and_saveexec_b64 s[6:7], s[4:5]
	s_cbranch_execz .LBB41_1760
.LBB41_1759:
	v_bfe_u32 v3, v4, 24, 3
	v_ffbh_u32_e32 v10, v3
	v_min_u32_e32 v10, 32, v10
	v_lshrrev_b32_e32 v7, 27, v4
	v_subrev_u32_e32 v11, 28, v10
	v_and_b32_e32 v6, 0x80000000, v4
	v_and_b32_e32 v7, 15, v7
	v_bfe_u32 v8, v4, 27, 4
	v_lshlrev_b32_sdwa v4, v11, v4 dst_sel:DWORD dst_unused:UNUSED_PAD src0_sel:DWORD src1_sel:BYTE_3
	v_sub_u32_e32 v10, 29, v10
	v_and_b32_e32 v4, 7, v4
	v_cmp_eq_u16_e32 vcc, 0, v7
	v_cndmask_b32_e32 v3, v3, v4, vcc
	v_cndmask_b32_e32 v4, v8, v10, vcc
	v_mov_b32_e32 v7, 0x3b800000
	v_lshlrev_b32_e32 v3, 20, v3
	v_lshl_add_u32 v4, v4, 23, v7
	v_or3_b32 v3, v6, v4, v3
.LBB41_1760:
	s_or_b64 exec, exec, s[6:7]
	s_nop 0
	v_mfma_f32_16x16x4f32 a[0:3], v2, v3, a[0:3]
	s_movk_i32 s4, 0x7f
	v_cmp_gt_i16_sdwa s[6:7], v9, s4 src0_sel:BYTE_0 src1_sel:DWORD
	s_mov_b64 s[4:5], 0
                                        ; implicit-def: $sgpr10
	s_and_saveexec_b64 s[8:9], s[6:7]
	s_xor_b64 s[6:7], exec, s[8:9]
	s_cbranch_execnz .LBB41_3809
; %bb.1761:
	s_or_saveexec_b64 s[6:7], s[6:7]
	v_mov_b32_e32 v2, s10
	s_xor_b64 exec, exec, s[6:7]
	s_cbranch_execnz .LBB41_3812
.LBB41_1762:
	s_or_b64 exec, exec, s[6:7]
	s_and_saveexec_b64 s[6:7], s[4:5]
	s_cbranch_execz .LBB41_1764
.LBB41_1763:
	v_mov_b32_e32 v2, 8
	v_and_b32_e32 v3, 7, v9
	v_lshrrev_b32_sdwa v2, v2, v9 dst_sel:BYTE_1 dst_unused:UNUSED_PAD src0_sel:DWORD src1_sel:DWORD
	v_ffbh_u32_e32 v4, v3
	v_or_b32_sdwa v2, v9, v2 dst_sel:DWORD dst_unused:UNUSED_PAD src0_sel:BYTE_0 src1_sel:DWORD
	v_min_u32_e32 v4, 32, v4
	v_lshrrev_b16_e32 v2, 3, v2
	v_subrev_u32_e32 v6, 28, v4
	v_and_b32_e32 v2, 15, v2
	v_lshlrev_b32_e32 v6, v6, v9
	v_sub_u32_e32 v4, 29, v4
	v_and_b32_e32 v6, 7, v6
	v_cmp_eq_u16_e32 vcc, 0, v2
	v_cndmask_b32_e32 v3, v3, v6, vcc
	v_cndmask_b32_e32 v2, v2, v4, vcc
	v_lshlrev_b32_e32 v4, 24, v9
	v_mov_b32_e32 v6, 0x3b800000
	v_lshlrev_b32_e32 v3, 20, v3
	v_and_b32_e32 v4, 0x80000000, v4
	v_lshl_add_u32 v2, v2, 23, v6
	v_or3_b32 v2, v4, v2, v3
.LBB41_1764:
	s_or_b64 exec, exec, s[6:7]
	s_movk_i32 s4, 0x7f
	v_cmp_gt_i16_sdwa s[6:7], v5, s4 src0_sel:BYTE_0 src1_sel:DWORD
	s_mov_b64 s[4:5], 0
                                        ; implicit-def: $sgpr10
	s_and_saveexec_b64 s[8:9], s[6:7]
	s_xor_b64 s[6:7], exec, s[8:9]
	s_cbranch_execnz .LBB41_3813
; %bb.1765:
	s_or_saveexec_b64 s[6:7], s[6:7]
	v_mov_b32_e32 v3, s10
	s_xor_b64 exec, exec, s[6:7]
	s_cbranch_execnz .LBB41_3816
.LBB41_1766:
	s_or_b64 exec, exec, s[6:7]
	s_and_saveexec_b64 s[6:7], s[4:5]
	s_cbranch_execz .LBB41_1768
.LBB41_1767:
	v_mov_b32_e32 v3, 8
	v_and_b32_e32 v4, 7, v5
	v_lshrrev_b32_sdwa v3, v3, v5 dst_sel:BYTE_1 dst_unused:UNUSED_PAD src0_sel:DWORD src1_sel:DWORD
	v_ffbh_u32_e32 v6, v4
	v_or_b32_sdwa v3, v5, v3 dst_sel:DWORD dst_unused:UNUSED_PAD src0_sel:BYTE_0 src1_sel:DWORD
	v_min_u32_e32 v6, 32, v6
	v_lshrrev_b16_e32 v3, 3, v3
	v_subrev_u32_e32 v7, 28, v6
	v_and_b32_e32 v3, 15, v3
	v_lshlrev_b32_e32 v7, v7, v5
	v_sub_u32_e32 v6, 29, v6
	v_and_b32_e32 v7, 7, v7
	v_cmp_eq_u16_e32 vcc, 0, v3
	v_cndmask_b32_e32 v4, v4, v7, vcc
	v_cndmask_b32_e32 v3, v3, v6, vcc
	v_lshlrev_b32_e32 v6, 24, v5
	v_mov_b32_e32 v7, 0x3b800000
	v_lshlrev_b32_e32 v4, 20, v4
	v_and_b32_e32 v6, 0x80000000, v6
	v_lshl_add_u32 v3, v3, 23, v7
	v_or3_b32 v3, v6, v3, v4
.LBB41_1768:
	s_or_b64 exec, exec, s[6:7]
	s_nop 0
	v_mfma_f32_16x16x4f32 a[0:3], v2, v3, a[0:3]
	v_lshrrev_b32_e32 v3, 8, v9
	s_movk_i32 s4, 0x7f
	v_cmp_gt_i16_sdwa s[6:7], v3, s4 src0_sel:BYTE_0 src1_sel:DWORD
	s_mov_b64 s[4:5], 0
                                        ; implicit-def: $sgpr10
	s_and_saveexec_b64 s[8:9], s[6:7]
	s_xor_b64 s[6:7], exec, s[8:9]
	s_cbranch_execnz .LBB41_3817
; %bb.1769:
	s_or_saveexec_b64 s[6:7], s[6:7]
	v_mov_b32_e32 v2, s10
	s_xor_b64 exec, exec, s[6:7]
	s_cbranch_execnz .LBB41_3820
.LBB41_1770:
	s_or_b64 exec, exec, s[6:7]
	s_and_saveexec_b64 s[6:7], s[4:5]
	s_cbranch_execz .LBB41_1772
.LBB41_1771:
	v_bfe_u32 v2, v9, 8, 3
	v_ffbh_u32_e32 v6, v2
	v_min_u32_e32 v6, 32, v6
	v_lshrrev_b16_e32 v4, 3, v3
	v_subrev_u32_e32 v7, 28, v6
	v_and_b32_e32 v4, 15, v4
	v_lshlrev_b32_e32 v3, v7, v3
	v_sub_u32_e32 v6, 29, v6
	v_and_b32_e32 v3, 7, v3
	v_cmp_eq_u16_e32 vcc, 0, v4
	v_cndmask_b32_e32 v2, v2, v3, vcc
	v_cndmask_b32_e32 v3, v4, v6, vcc
	v_lshlrev_b32_e32 v4, 16, v9
	v_mov_b32_e32 v6, 0x3b800000
	v_lshlrev_b32_e32 v2, 20, v2
	v_and_b32_e32 v4, 0x80000000, v4
	v_lshl_add_u32 v3, v3, 23, v6
	v_or3_b32 v2, v4, v3, v2
.LBB41_1772:
	s_or_b64 exec, exec, s[6:7]
	v_lshrrev_b32_e32 v3, 8, v5
	s_movk_i32 s4, 0x7f
	v_cmp_gt_i16_sdwa s[6:7], v3, s4 src0_sel:BYTE_0 src1_sel:DWORD
	s_mov_b64 s[4:5], 0
                                        ; implicit-def: $sgpr10
	s_and_saveexec_b64 s[8:9], s[6:7]
	s_xor_b64 s[6:7], exec, s[8:9]
	s_cbranch_execnz .LBB41_3821
; %bb.1773:
	s_or_saveexec_b64 s[6:7], s[6:7]
	v_mov_b32_e32 v4, s10
	s_xor_b64 exec, exec, s[6:7]
	s_cbranch_execnz .LBB41_3824
.LBB41_1774:
	s_or_b64 exec, exec, s[6:7]
	s_and_saveexec_b64 s[6:7], s[4:5]
	s_cbranch_execz .LBB41_1776
.LBB41_1775:
	v_bfe_u32 v4, v5, 8, 3
	v_ffbh_u32_e32 v7, v4
	v_min_u32_e32 v7, 32, v7
	v_lshrrev_b16_e32 v6, 3, v3
	v_subrev_u32_e32 v8, 28, v7
	v_and_b32_e32 v6, 15, v6
	v_lshlrev_b32_e32 v3, v8, v3
	v_sub_u32_e32 v7, 29, v7
	v_and_b32_e32 v3, 7, v3
	v_cmp_eq_u16_e32 vcc, 0, v6
	v_cndmask_b32_e32 v3, v4, v3, vcc
	v_cndmask_b32_e32 v4, v6, v7, vcc
	v_lshlrev_b32_e32 v6, 16, v5
	v_mov_b32_e32 v7, 0x3b800000
	v_lshlrev_b32_e32 v3, 20, v3
	v_and_b32_e32 v6, 0x80000000, v6
	v_lshl_add_u32 v4, v4, 23, v7
	v_or3_b32 v4, v6, v4, v3
.LBB41_1776:
	s_or_b64 exec, exec, s[6:7]
	s_nop 0
	v_mfma_f32_16x16x4f32 a[0:3], v2, v4, a[0:3]
	s_movk_i32 s4, 0xff
	v_and_b32_sdwa v3, v9, s4 dst_sel:DWORD dst_unused:UNUSED_PAD src0_sel:WORD_1 src1_sel:DWORD
	s_movk_i32 s4, 0x7f
	v_cmp_lt_i16_e32 vcc, s4, v3
	s_mov_b64 s[4:5], 0
                                        ; implicit-def: $sgpr10
	s_and_saveexec_b64 s[6:7], vcc
	s_xor_b64 s[6:7], exec, s[6:7]
	s_cbranch_execnz .LBB41_3825
; %bb.1777:
	s_or_saveexec_b64 s[6:7], s[6:7]
	v_mov_b32_e32 v2, s10
	s_xor_b64 exec, exec, s[6:7]
	s_cbranch_execnz .LBB41_3828
.LBB41_1778:
	s_or_b64 exec, exec, s[6:7]
	s_and_saveexec_b64 s[6:7], s[4:5]
	s_cbranch_execz .LBB41_1780
.LBB41_1779:
	v_bfe_u32 v2, v9, 16, 3
	v_ffbh_u32_e32 v6, v2
	v_min_u32_e32 v6, 32, v6
	v_lshrrev_b32_e32 v3, 19, v9
	v_subrev_u32_e32 v7, 28, v6
	v_and_b32_e32 v3, 15, v3
	v_lshlrev_b32_sdwa v7, v7, v9 dst_sel:DWORD dst_unused:UNUSED_PAD src0_sel:DWORD src1_sel:WORD_1
	v_bfe_u32 v4, v9, 19, 4
	v_sub_u32_e32 v6, 29, v6
	v_and_b32_e32 v7, 7, v7
	v_cmp_eq_u16_e32 vcc, 0, v3
	v_cndmask_b32_e32 v2, v2, v7, vcc
	v_cndmask_b32_e32 v3, v4, v6, vcc
	v_lshlrev_b32_e32 v4, 8, v9
	v_mov_b32_e32 v6, 0x3b800000
	v_lshlrev_b32_e32 v2, 20, v2
	v_and_b32_e32 v4, 0x80000000, v4
	v_lshl_add_u32 v3, v3, 23, v6
	v_or3_b32 v2, v4, v3, v2
.LBB41_1780:
	s_or_b64 exec, exec, s[6:7]
	s_movk_i32 s4, 0xff
	v_and_b32_sdwa v3, v5, s4 dst_sel:DWORD dst_unused:UNUSED_PAD src0_sel:WORD_1 src1_sel:DWORD
	s_movk_i32 s4, 0x7f
	v_cmp_lt_i16_e32 vcc, s4, v3
	s_mov_b64 s[4:5], 0
                                        ; implicit-def: $sgpr10
	s_and_saveexec_b64 s[6:7], vcc
	s_xor_b64 s[6:7], exec, s[6:7]
	s_cbranch_execnz .LBB41_3829
; %bb.1781:
	s_or_saveexec_b64 s[6:7], s[6:7]
	v_mov_b32_e32 v4, s10
	s_xor_b64 exec, exec, s[6:7]
	s_cbranch_execnz .LBB41_3832
.LBB41_1782:
	s_or_b64 exec, exec, s[6:7]
	s_and_saveexec_b64 s[6:7], s[4:5]
	s_cbranch_execz .LBB41_1784
.LBB41_1783:
	v_bfe_u32 v3, v5, 16, 3
	v_ffbh_u32_e32 v7, v3
	v_min_u32_e32 v7, 32, v7
	v_lshrrev_b32_e32 v4, 19, v5
	v_subrev_u32_e32 v8, 28, v7
	v_and_b32_e32 v4, 15, v4
	v_lshlrev_b32_sdwa v8, v8, v5 dst_sel:DWORD dst_unused:UNUSED_PAD src0_sel:DWORD src1_sel:WORD_1
	v_bfe_u32 v6, v5, 19, 4
	v_sub_u32_e32 v7, 29, v7
	v_and_b32_e32 v8, 7, v8
	v_cmp_eq_u16_e32 vcc, 0, v4
	v_cndmask_b32_e32 v3, v3, v8, vcc
	v_cndmask_b32_e32 v4, v6, v7, vcc
	v_lshlrev_b32_e32 v6, 8, v5
	v_mov_b32_e32 v7, 0x3b800000
	v_lshlrev_b32_e32 v3, 20, v3
	v_and_b32_e32 v6, 0x80000000, v6
	v_lshl_add_u32 v4, v4, 23, v7
	v_or3_b32 v4, v6, v4, v3
.LBB41_1784:
	s_or_b64 exec, exec, s[6:7]
	s_nop 0
	v_mfma_f32_16x16x4f32 a[0:3], v2, v4, a[0:3]
	s_movk_i32 s4, 0x7f
	v_cmp_gt_i16_sdwa s[6:7], v9, s4 src0_sel:BYTE_3 src1_sel:DWORD
	s_mov_b64 s[4:5], 0
                                        ; implicit-def: $sgpr10
	s_and_saveexec_b64 s[8:9], s[6:7]
	s_xor_b64 s[6:7], exec, s[8:9]
	s_cbranch_execnz .LBB41_3833
; %bb.1785:
	s_or_saveexec_b64 s[6:7], s[6:7]
	v_mov_b32_e32 v2, s10
	s_xor_b64 exec, exec, s[6:7]
	s_cbranch_execnz .LBB41_3836
.LBB41_1786:
	s_or_b64 exec, exec, s[6:7]
	s_and_saveexec_b64 s[6:7], s[4:5]
	s_cbranch_execz .LBB41_1788
.LBB41_1787:
	v_bfe_u32 v2, v9, 24, 3
	v_ffbh_u32_e32 v7, v2
	v_min_u32_e32 v7, 32, v7
	v_lshrrev_b32_e32 v4, 27, v9
	v_subrev_u32_e32 v8, 28, v7
	v_and_b32_e32 v4, 15, v4
	v_lshlrev_b32_sdwa v8, v8, v9 dst_sel:DWORD dst_unused:UNUSED_PAD src0_sel:DWORD src1_sel:BYTE_3
	v_bfe_u32 v6, v9, 27, 4
	v_sub_u32_e32 v7, 29, v7
	v_and_b32_e32 v8, 7, v8
	v_cmp_eq_u16_e32 vcc, 0, v4
	v_cndmask_b32_e32 v2, v2, v8, vcc
	v_cndmask_b32_e32 v4, v6, v7, vcc
	v_mov_b32_e32 v6, 0x3b800000
	v_and_b32_e32 v3, 0x80000000, v9
	v_lshlrev_b32_e32 v2, 20, v2
	v_lshl_add_u32 v4, v4, 23, v6
	v_or3_b32 v2, v3, v4, v2
.LBB41_1788:
	s_or_b64 exec, exec, s[6:7]
	s_movk_i32 s4, 0x7f
	v_cmp_gt_i16_sdwa s[6:7], v5, s4 src0_sel:BYTE_3 src1_sel:DWORD
	s_mov_b64 s[4:5], 0
                                        ; implicit-def: $sgpr10
	s_and_saveexec_b64 s[8:9], s[6:7]
	s_xor_b64 s[6:7], exec, s[8:9]
	s_cbranch_execnz .LBB41_3837
; %bb.1789:
	s_or_saveexec_b64 s[6:7], s[6:7]
	v_mov_b32_e32 v3, s10
	s_xor_b64 exec, exec, s[6:7]
	s_cbranch_execnz .LBB41_3840
.LBB41_1790:
	s_or_b64 exec, exec, s[6:7]
	s_and_saveexec_b64 s[6:7], s[4:5]
	s_cbranch_execz .LBB41_1792
.LBB41_1791:
	v_bfe_u32 v3, v5, 24, 3
	v_ffbh_u32_e32 v8, v3
	v_min_u32_e32 v8, 32, v8
	v_lshrrev_b32_e32 v6, 27, v5
	v_subrev_u32_e32 v9, 28, v8
	v_and_b32_e32 v4, 0x80000000, v5
	v_and_b32_e32 v6, 15, v6
	v_bfe_u32 v7, v5, 27, 4
	v_lshlrev_b32_sdwa v5, v9, v5 dst_sel:DWORD dst_unused:UNUSED_PAD src0_sel:DWORD src1_sel:BYTE_3
	v_sub_u32_e32 v8, 29, v8
	v_and_b32_e32 v5, 7, v5
	v_cmp_eq_u16_e32 vcc, 0, v6
	v_cndmask_b32_e32 v3, v3, v5, vcc
	v_cndmask_b32_e32 v5, v7, v8, vcc
	v_mov_b32_e32 v6, 0x3b800000
	v_lshlrev_b32_e32 v3, 20, v3
	v_lshl_add_u32 v5, v5, 23, v6
	v_or3_b32 v3, v4, v5, v3
.LBB41_1792:
	s_or_b64 exec, exec, s[6:7]
	s_nop 0
	v_mfma_f32_16x16x4f32 a[0:3], v2, v3, a[0:3]
	s_movk_i32 s4, 0x7f
                                        ; implicit-def: $sgpr10
	s_nop 7
	s_nop 1
	flat_store_dwordx4 v[18:19], a[0:3] offset:736
	flat_load_dwordx4 v[18:21], v[0:1] offset:16
	s_nop 0
	flat_load_dwordx2 v[16:17], v[0:1] offset:32
	s_waitcnt vmcnt(0) lgkmcnt(0)
	flat_load_dwordx4 v[12:15], v[18:19] offset:32
	flat_load_dwordx4 v[4:7], v[18:19] offset:48
	;; [unrolled: 1-line block ×4, first 2 shown]
	s_waitcnt vmcnt(0) lgkmcnt(0)
	v_cmp_gt_i16_sdwa s[6:7], v12, s4 src0_sel:BYTE_0 src1_sel:DWORD
	s_mov_b64 s[4:5], 0
	s_and_saveexec_b64 s[8:9], s[6:7]
	s_xor_b64 s[6:7], exec, s[8:9]
	s_cbranch_execnz .LBB41_3841
; %bb.1793:
	s_or_saveexec_b64 s[6:7], s[6:7]
	v_mov_b32_e32 v18, s10
	s_xor_b64 exec, exec, s[6:7]
	s_cbranch_execnz .LBB41_3844
.LBB41_1794:
	s_or_b64 exec, exec, s[6:7]
	s_and_saveexec_b64 s[6:7], s[4:5]
	s_cbranch_execz .LBB41_1796
.LBB41_1795:
	v_and_b32_e32 v18, 7, v12
	v_ffbh_u32_e32 v20, v18
	v_min_u32_e32 v20, 32, v20
	v_lshrrev_b16_e32 v19, 3, v12
	v_subrev_u32_e32 v21, 28, v20
	v_and_b32_e32 v19, 15, v19
	v_lshlrev_b32_e32 v21, v21, v12
	v_sub_u32_e32 v20, 29, v20
	v_and_b32_e32 v21, 7, v21
	v_cmp_eq_u16_e32 vcc, 0, v19
	v_cndmask_b32_e32 v18, v18, v21, vcc
	v_cndmask_b32_e32 v19, v19, v20, vcc
	v_lshlrev_b32_e32 v20, 24, v12
	v_mov_b32_e32 v21, 0x3b800000
	v_lshlrev_b32_e32 v18, 20, v18
	v_and_b32_e32 v20, 0x80000000, v20
	v_lshl_add_u32 v19, v19, 23, v21
	v_or3_b32 v18, v20, v19, v18
.LBB41_1796:
	s_or_b64 exec, exec, s[6:7]
	s_movk_i32 s4, 0x7f
	v_cmp_gt_i16_sdwa s[6:7], v8, s4 src0_sel:BYTE_0 src1_sel:DWORD
	s_mov_b64 s[4:5], 0
                                        ; implicit-def: $sgpr10
	s_and_saveexec_b64 s[8:9], s[6:7]
	s_xor_b64 s[6:7], exec, s[8:9]
	s_cbranch_execnz .LBB41_3845
; %bb.1797:
	s_or_saveexec_b64 s[6:7], s[6:7]
	v_mov_b32_e32 v19, s10
	s_xor_b64 exec, exec, s[6:7]
	s_cbranch_execnz .LBB41_3848
.LBB41_1798:
	s_or_b64 exec, exec, s[6:7]
	s_and_saveexec_b64 s[6:7], s[4:5]
	s_cbranch_execz .LBB41_1800
.LBB41_1799:
	v_and_b32_e32 v19, 7, v8
	v_ffbh_u32_e32 v21, v19
	v_min_u32_e32 v21, 32, v21
	v_lshrrev_b16_e32 v20, 3, v8
	v_subrev_u32_e32 v22, 28, v21
	v_and_b32_e32 v20, 15, v20
	v_lshlrev_b32_e32 v22, v22, v8
	v_sub_u32_e32 v21, 29, v21
	v_and_b32_e32 v22, 7, v22
	v_cmp_eq_u16_e32 vcc, 0, v20
	v_cndmask_b32_e32 v19, v19, v22, vcc
	v_cndmask_b32_e32 v20, v20, v21, vcc
	v_lshlrev_b32_e32 v21, 24, v8
	v_mov_b32_e32 v22, 0x3b800000
	v_lshlrev_b32_e32 v19, 20, v19
	v_and_b32_e32 v21, 0x80000000, v21
	v_lshl_add_u32 v20, v20, 23, v22
	v_or3_b32 v19, v21, v20, v19
.LBB41_1800:
	s_or_b64 exec, exec, s[6:7]
	flat_load_dwordx4 a[0:3], v[16:17] offset:752
	s_movk_i32 s4, 0x7f
                                        ; implicit-def: $sgpr10
	s_waitcnt vmcnt(0) lgkmcnt(0)
	v_mfma_f32_16x16x4f32 a[0:3], v18, v19, a[0:3]
	v_lshrrev_b32_e32 v19, 8, v12
	v_cmp_gt_i16_sdwa s[6:7], v19, s4 src0_sel:BYTE_0 src1_sel:DWORD
	s_mov_b64 s[4:5], 0
	s_and_saveexec_b64 s[8:9], s[6:7]
	s_xor_b64 s[6:7], exec, s[8:9]
	s_cbranch_execnz .LBB41_3849
; %bb.1801:
	s_or_saveexec_b64 s[6:7], s[6:7]
	v_mov_b32_e32 v18, s10
	s_xor_b64 exec, exec, s[6:7]
	s_cbranch_execnz .LBB41_3852
.LBB41_1802:
	s_or_b64 exec, exec, s[6:7]
	s_and_saveexec_b64 s[6:7], s[4:5]
	s_cbranch_execz .LBB41_1804
.LBB41_1803:
	v_bfe_u32 v18, v12, 8, 3
	v_ffbh_u32_e32 v21, v18
	v_min_u32_e32 v21, 32, v21
	v_lshrrev_b16_e32 v20, 3, v19
	v_subrev_u32_e32 v22, 28, v21
	v_and_b32_e32 v20, 15, v20
	v_lshlrev_b32_e32 v19, v22, v19
	v_sub_u32_e32 v21, 29, v21
	v_and_b32_e32 v19, 7, v19
	v_cmp_eq_u16_e32 vcc, 0, v20
	v_cndmask_b32_e32 v18, v18, v19, vcc
	v_cndmask_b32_e32 v19, v20, v21, vcc
	v_lshlrev_b32_e32 v20, 16, v12
	v_mov_b32_e32 v21, 0x3b800000
	v_lshlrev_b32_e32 v18, 20, v18
	v_and_b32_e32 v20, 0x80000000, v20
	v_lshl_add_u32 v19, v19, 23, v21
	v_or3_b32 v18, v20, v19, v18
.LBB41_1804:
	s_or_b64 exec, exec, s[6:7]
	v_lshrrev_b32_e32 v19, 8, v8
	s_movk_i32 s4, 0x7f
	v_cmp_gt_i16_sdwa s[6:7], v19, s4 src0_sel:BYTE_0 src1_sel:DWORD
	s_mov_b64 s[4:5], 0
                                        ; implicit-def: $sgpr10
	s_and_saveexec_b64 s[8:9], s[6:7]
	s_xor_b64 s[6:7], exec, s[8:9]
	s_cbranch_execnz .LBB41_3853
; %bb.1805:
	s_or_saveexec_b64 s[6:7], s[6:7]
	v_mov_b32_e32 v20, s10
	s_xor_b64 exec, exec, s[6:7]
	s_cbranch_execnz .LBB41_3856
.LBB41_1806:
	s_or_b64 exec, exec, s[6:7]
	s_and_saveexec_b64 s[6:7], s[4:5]
	s_cbranch_execz .LBB41_1808
.LBB41_1807:
	v_bfe_u32 v20, v8, 8, 3
	v_ffbh_u32_e32 v22, v20
	v_min_u32_e32 v22, 32, v22
	v_lshrrev_b16_e32 v21, 3, v19
	v_subrev_u32_e32 v23, 28, v22
	v_and_b32_e32 v21, 15, v21
	v_lshlrev_b32_e32 v19, v23, v19
	v_sub_u32_e32 v22, 29, v22
	v_and_b32_e32 v19, 7, v19
	v_cmp_eq_u16_e32 vcc, 0, v21
	v_cndmask_b32_e32 v19, v20, v19, vcc
	v_cndmask_b32_e32 v20, v21, v22, vcc
	v_lshlrev_b32_e32 v21, 16, v8
	v_mov_b32_e32 v22, 0x3b800000
	v_lshlrev_b32_e32 v19, 20, v19
	v_and_b32_e32 v21, 0x80000000, v21
	v_lshl_add_u32 v20, v20, 23, v22
	v_or3_b32 v20, v21, v20, v19
.LBB41_1808:
	s_or_b64 exec, exec, s[6:7]
	s_nop 0
	v_mfma_f32_16x16x4f32 a[0:3], v18, v20, a[0:3]
	s_movk_i32 s4, 0xff
	v_and_b32_sdwa v19, v12, s4 dst_sel:DWORD dst_unused:UNUSED_PAD src0_sel:WORD_1 src1_sel:DWORD
	s_movk_i32 s4, 0x7f
	v_cmp_lt_i16_e32 vcc, s4, v19
	s_mov_b64 s[4:5], 0
                                        ; implicit-def: $sgpr10
	s_and_saveexec_b64 s[6:7], vcc
	s_xor_b64 s[6:7], exec, s[6:7]
	s_cbranch_execnz .LBB41_3857
; %bb.1809:
	s_or_saveexec_b64 s[6:7], s[6:7]
	v_mov_b32_e32 v18, s10
	s_xor_b64 exec, exec, s[6:7]
	s_cbranch_execnz .LBB41_3860
.LBB41_1810:
	s_or_b64 exec, exec, s[6:7]
	s_and_saveexec_b64 s[6:7], s[4:5]
	s_cbranch_execz .LBB41_1812
.LBB41_1811:
	v_bfe_u32 v18, v12, 16, 3
	v_ffbh_u32_e32 v21, v18
	v_min_u32_e32 v21, 32, v21
	v_lshrrev_b32_e32 v19, 19, v12
	v_subrev_u32_e32 v22, 28, v21
	v_and_b32_e32 v19, 15, v19
	v_lshlrev_b32_sdwa v22, v22, v12 dst_sel:DWORD dst_unused:UNUSED_PAD src0_sel:DWORD src1_sel:WORD_1
	v_bfe_u32 v20, v12, 19, 4
	v_sub_u32_e32 v21, 29, v21
	v_and_b32_e32 v22, 7, v22
	v_cmp_eq_u16_e32 vcc, 0, v19
	v_cndmask_b32_e32 v18, v18, v22, vcc
	v_cndmask_b32_e32 v19, v20, v21, vcc
	v_lshlrev_b32_e32 v20, 8, v12
	v_mov_b32_e32 v21, 0x3b800000
	v_lshlrev_b32_e32 v18, 20, v18
	v_and_b32_e32 v20, 0x80000000, v20
	v_lshl_add_u32 v19, v19, 23, v21
	v_or3_b32 v18, v20, v19, v18
.LBB41_1812:
	s_or_b64 exec, exec, s[6:7]
	s_movk_i32 s4, 0xff
	v_and_b32_sdwa v19, v8, s4 dst_sel:DWORD dst_unused:UNUSED_PAD src0_sel:WORD_1 src1_sel:DWORD
	s_movk_i32 s4, 0x7f
	v_cmp_lt_i16_e32 vcc, s4, v19
	s_mov_b64 s[4:5], 0
                                        ; implicit-def: $sgpr10
	s_and_saveexec_b64 s[6:7], vcc
	s_xor_b64 s[6:7], exec, s[6:7]
	s_cbranch_execnz .LBB41_3861
; %bb.1813:
	s_or_saveexec_b64 s[6:7], s[6:7]
	v_mov_b32_e32 v20, s10
	s_xor_b64 exec, exec, s[6:7]
	s_cbranch_execnz .LBB41_3864
.LBB41_1814:
	s_or_b64 exec, exec, s[6:7]
	s_and_saveexec_b64 s[6:7], s[4:5]
	s_cbranch_execz .LBB41_1816
.LBB41_1815:
	v_bfe_u32 v19, v8, 16, 3
	v_ffbh_u32_e32 v22, v19
	v_min_u32_e32 v22, 32, v22
	v_lshrrev_b32_e32 v20, 19, v8
	v_subrev_u32_e32 v23, 28, v22
	v_and_b32_e32 v20, 15, v20
	v_lshlrev_b32_sdwa v23, v23, v8 dst_sel:DWORD dst_unused:UNUSED_PAD src0_sel:DWORD src1_sel:WORD_1
	v_bfe_u32 v21, v8, 19, 4
	v_sub_u32_e32 v22, 29, v22
	v_and_b32_e32 v23, 7, v23
	v_cmp_eq_u16_e32 vcc, 0, v20
	v_cndmask_b32_e32 v19, v19, v23, vcc
	v_cndmask_b32_e32 v20, v21, v22, vcc
	v_lshlrev_b32_e32 v21, 8, v8
	v_mov_b32_e32 v22, 0x3b800000
	v_lshlrev_b32_e32 v19, 20, v19
	v_and_b32_e32 v21, 0x80000000, v21
	v_lshl_add_u32 v20, v20, 23, v22
	v_or3_b32 v20, v21, v20, v19
.LBB41_1816:
	s_or_b64 exec, exec, s[6:7]
	s_nop 0
	v_mfma_f32_16x16x4f32 a[0:3], v18, v20, a[0:3]
	s_movk_i32 s4, 0x7f
	v_cmp_gt_i16_sdwa s[6:7], v12, s4 src0_sel:BYTE_3 src1_sel:DWORD
	s_mov_b64 s[4:5], 0
                                        ; implicit-def: $sgpr10
	s_and_saveexec_b64 s[8:9], s[6:7]
	s_xor_b64 s[6:7], exec, s[8:9]
	s_cbranch_execnz .LBB41_3865
; %bb.1817:
	s_or_saveexec_b64 s[6:7], s[6:7]
	v_mov_b32_e32 v18, s10
	s_xor_b64 exec, exec, s[6:7]
	s_cbranch_execnz .LBB41_3868
.LBB41_1818:
	s_or_b64 exec, exec, s[6:7]
	s_and_saveexec_b64 s[6:7], s[4:5]
	s_cbranch_execz .LBB41_1820
.LBB41_1819:
	v_bfe_u32 v18, v12, 24, 3
	v_ffbh_u32_e32 v22, v18
	v_min_u32_e32 v22, 32, v22
	v_lshrrev_b32_e32 v20, 27, v12
	v_subrev_u32_e32 v23, 28, v22
	v_and_b32_e32 v19, 0x80000000, v12
	v_and_b32_e32 v20, 15, v20
	v_bfe_u32 v21, v12, 27, 4
	v_lshlrev_b32_sdwa v12, v23, v12 dst_sel:DWORD dst_unused:UNUSED_PAD src0_sel:DWORD src1_sel:BYTE_3
	v_sub_u32_e32 v22, 29, v22
	v_and_b32_e32 v12, 7, v12
	v_cmp_eq_u16_e32 vcc, 0, v20
	v_cndmask_b32_e32 v12, v18, v12, vcc
	v_cndmask_b32_e32 v18, v21, v22, vcc
	v_mov_b32_e32 v20, 0x3b800000
	v_lshlrev_b32_e32 v12, 20, v12
	v_lshl_add_u32 v18, v18, 23, v20
	v_or3_b32 v18, v19, v18, v12
.LBB41_1820:
	s_or_b64 exec, exec, s[6:7]
	s_movk_i32 s4, 0x7f
	v_cmp_gt_i16_sdwa s[6:7], v8, s4 src0_sel:BYTE_3 src1_sel:DWORD
	s_mov_b64 s[4:5], 0
                                        ; implicit-def: $sgpr10
	s_and_saveexec_b64 s[8:9], s[6:7]
	s_xor_b64 s[6:7], exec, s[8:9]
	s_cbranch_execnz .LBB41_3869
; %bb.1821:
	s_or_saveexec_b64 s[6:7], s[6:7]
	v_mov_b32_e32 v12, s10
	s_xor_b64 exec, exec, s[6:7]
	s_cbranch_execnz .LBB41_3872
.LBB41_1822:
	s_or_b64 exec, exec, s[6:7]
	s_and_saveexec_b64 s[6:7], s[4:5]
	s_cbranch_execz .LBB41_1824
.LBB41_1823:
	v_bfe_u32 v12, v8, 24, 3
	v_ffbh_u32_e32 v22, v12
	v_min_u32_e32 v22, 32, v22
	v_lshrrev_b32_e32 v20, 27, v8
	v_subrev_u32_e32 v23, 28, v22
	v_and_b32_e32 v19, 0x80000000, v8
	v_and_b32_e32 v20, 15, v20
	v_bfe_u32 v21, v8, 27, 4
	v_lshlrev_b32_sdwa v8, v23, v8 dst_sel:DWORD dst_unused:UNUSED_PAD src0_sel:DWORD src1_sel:BYTE_3
	v_sub_u32_e32 v22, 29, v22
	v_and_b32_e32 v8, 7, v8
	v_cmp_eq_u16_e32 vcc, 0, v20
	v_cndmask_b32_e32 v8, v12, v8, vcc
	v_cndmask_b32_e32 v12, v21, v22, vcc
	v_mov_b32_e32 v20, 0x3b800000
	v_lshlrev_b32_e32 v8, 20, v8
	v_lshl_add_u32 v12, v12, 23, v20
	v_or3_b32 v12, v19, v12, v8
.LBB41_1824:
	s_or_b64 exec, exec, s[6:7]
	s_nop 0
	v_mfma_f32_16x16x4f32 a[0:3], v18, v12, a[0:3]
	s_movk_i32 s4, 0x7f
	v_cmp_gt_i16_sdwa s[6:7], v13, s4 src0_sel:BYTE_0 src1_sel:DWORD
	s_mov_b64 s[4:5], 0
                                        ; implicit-def: $sgpr10
	s_and_saveexec_b64 s[8:9], s[6:7]
	s_xor_b64 s[6:7], exec, s[8:9]
	s_cbranch_execnz .LBB41_3873
; %bb.1825:
	s_or_saveexec_b64 s[6:7], s[6:7]
	v_mov_b32_e32 v8, s10
	s_xor_b64 exec, exec, s[6:7]
	s_cbranch_execnz .LBB41_3876
.LBB41_1826:
	s_or_b64 exec, exec, s[6:7]
	s_and_saveexec_b64 s[6:7], s[4:5]
	s_cbranch_execz .LBB41_1828
.LBB41_1827:
	v_and_b32_e32 v8, 7, v13
	v_ffbh_u32_e32 v18, v8
	v_min_u32_e32 v18, 32, v18
	v_lshrrev_b16_e32 v12, 3, v13
	v_subrev_u32_e32 v19, 28, v18
	v_and_b32_e32 v12, 15, v12
	v_lshlrev_b32_e32 v19, v19, v13
	v_sub_u32_e32 v18, 29, v18
	v_and_b32_e32 v19, 7, v19
	v_cmp_eq_u16_e32 vcc, 0, v12
	v_cndmask_b32_e32 v8, v8, v19, vcc
	v_cndmask_b32_e32 v12, v12, v18, vcc
	v_lshlrev_b32_e32 v18, 24, v13
	v_mov_b32_e32 v19, 0x3b800000
	v_lshlrev_b32_e32 v8, 20, v8
	v_and_b32_e32 v18, 0x80000000, v18
	v_lshl_add_u32 v12, v12, 23, v19
	v_or3_b32 v8, v18, v12, v8
.LBB41_1828:
	s_or_b64 exec, exec, s[6:7]
	s_movk_i32 s4, 0x7f
	v_cmp_gt_i16_sdwa s[6:7], v9, s4 src0_sel:BYTE_0 src1_sel:DWORD
	s_mov_b64 s[4:5], 0
                                        ; implicit-def: $sgpr10
	s_and_saveexec_b64 s[8:9], s[6:7]
	s_xor_b64 s[6:7], exec, s[8:9]
	s_cbranch_execnz .LBB41_3877
; %bb.1829:
	s_or_saveexec_b64 s[6:7], s[6:7]
	v_mov_b32_e32 v12, s10
	s_xor_b64 exec, exec, s[6:7]
	s_cbranch_execnz .LBB41_3880
.LBB41_1830:
	s_or_b64 exec, exec, s[6:7]
	s_and_saveexec_b64 s[6:7], s[4:5]
	s_cbranch_execz .LBB41_1832
.LBB41_1831:
	v_and_b32_e32 v12, 7, v9
	v_ffbh_u32_e32 v19, v12
	v_min_u32_e32 v19, 32, v19
	v_lshrrev_b16_e32 v18, 3, v9
	v_subrev_u32_e32 v20, 28, v19
	v_and_b32_e32 v18, 15, v18
	v_lshlrev_b32_e32 v20, v20, v9
	v_sub_u32_e32 v19, 29, v19
	v_and_b32_e32 v20, 7, v20
	v_cmp_eq_u16_e32 vcc, 0, v18
	v_cndmask_b32_e32 v12, v12, v20, vcc
	v_cndmask_b32_e32 v18, v18, v19, vcc
	v_lshlrev_b32_e32 v19, 24, v9
	v_mov_b32_e32 v20, 0x3b800000
	v_lshlrev_b32_e32 v12, 20, v12
	v_and_b32_e32 v19, 0x80000000, v19
	v_lshl_add_u32 v18, v18, 23, v20
	v_or3_b32 v12, v19, v18, v12
.LBB41_1832:
	s_or_b64 exec, exec, s[6:7]
	s_nop 0
	v_mfma_f32_16x16x4f32 a[0:3], v8, v12, a[0:3]
	v_lshrrev_b32_e32 v12, 8, v13
	s_movk_i32 s4, 0x7f
	v_cmp_gt_i16_sdwa s[6:7], v12, s4 src0_sel:BYTE_0 src1_sel:DWORD
	s_mov_b64 s[4:5], 0
                                        ; implicit-def: $sgpr10
	s_and_saveexec_b64 s[8:9], s[6:7]
	s_xor_b64 s[6:7], exec, s[8:9]
	s_cbranch_execnz .LBB41_3881
; %bb.1833:
	s_or_saveexec_b64 s[6:7], s[6:7]
	v_mov_b32_e32 v8, s10
	s_xor_b64 exec, exec, s[6:7]
	s_cbranch_execnz .LBB41_3884
.LBB41_1834:
	s_or_b64 exec, exec, s[6:7]
	s_and_saveexec_b64 s[6:7], s[4:5]
	s_cbranch_execz .LBB41_1836
.LBB41_1835:
	v_bfe_u32 v8, v13, 8, 3
	v_ffbh_u32_e32 v19, v8
	v_min_u32_e32 v19, 32, v19
	v_lshrrev_b16_e32 v18, 3, v12
	v_subrev_u32_e32 v20, 28, v19
	v_and_b32_e32 v18, 15, v18
	v_lshlrev_b32_e32 v12, v20, v12
	v_sub_u32_e32 v19, 29, v19
	v_and_b32_e32 v12, 7, v12
	v_cmp_eq_u16_e32 vcc, 0, v18
	v_cndmask_b32_e32 v8, v8, v12, vcc
	v_cndmask_b32_e32 v12, v18, v19, vcc
	v_lshlrev_b32_e32 v18, 16, v13
	v_mov_b32_e32 v19, 0x3b800000
	v_lshlrev_b32_e32 v8, 20, v8
	v_and_b32_e32 v18, 0x80000000, v18
	v_lshl_add_u32 v12, v12, 23, v19
	v_or3_b32 v8, v18, v12, v8
.LBB41_1836:
	s_or_b64 exec, exec, s[6:7]
	v_lshrrev_b32_e32 v12, 8, v9
	s_movk_i32 s4, 0x7f
	v_cmp_gt_i16_sdwa s[6:7], v12, s4 src0_sel:BYTE_0 src1_sel:DWORD
	s_mov_b64 s[4:5], 0
                                        ; implicit-def: $sgpr10
	s_and_saveexec_b64 s[8:9], s[6:7]
	s_xor_b64 s[6:7], exec, s[8:9]
	s_cbranch_execnz .LBB41_3885
; %bb.1837:
	s_or_saveexec_b64 s[6:7], s[6:7]
	v_mov_b32_e32 v18, s10
	s_xor_b64 exec, exec, s[6:7]
	s_cbranch_execnz .LBB41_3888
.LBB41_1838:
	s_or_b64 exec, exec, s[6:7]
	s_and_saveexec_b64 s[6:7], s[4:5]
	s_cbranch_execz .LBB41_1840
.LBB41_1839:
	v_bfe_u32 v18, v9, 8, 3
	v_ffbh_u32_e32 v20, v18
	v_min_u32_e32 v20, 32, v20
	v_lshrrev_b16_e32 v19, 3, v12
	v_subrev_u32_e32 v21, 28, v20
	v_and_b32_e32 v19, 15, v19
	v_lshlrev_b32_e32 v12, v21, v12
	v_sub_u32_e32 v20, 29, v20
	v_and_b32_e32 v12, 7, v12
	v_cmp_eq_u16_e32 vcc, 0, v19
	v_cndmask_b32_e32 v12, v18, v12, vcc
	v_cndmask_b32_e32 v18, v19, v20, vcc
	v_lshlrev_b32_e32 v19, 16, v9
	v_mov_b32_e32 v20, 0x3b800000
	v_lshlrev_b32_e32 v12, 20, v12
	v_and_b32_e32 v19, 0x80000000, v19
	v_lshl_add_u32 v18, v18, 23, v20
	v_or3_b32 v18, v19, v18, v12
.LBB41_1840:
	s_or_b64 exec, exec, s[6:7]
	s_nop 0
	v_mfma_f32_16x16x4f32 a[0:3], v8, v18, a[0:3]
	s_movk_i32 s4, 0xff
	v_and_b32_sdwa v12, v13, s4 dst_sel:DWORD dst_unused:UNUSED_PAD src0_sel:WORD_1 src1_sel:DWORD
	s_movk_i32 s4, 0x7f
	v_cmp_lt_i16_e32 vcc, s4, v12
	s_mov_b64 s[4:5], 0
                                        ; implicit-def: $sgpr10
	s_and_saveexec_b64 s[6:7], vcc
	s_xor_b64 s[6:7], exec, s[6:7]
	s_cbranch_execnz .LBB41_3889
; %bb.1841:
	s_or_saveexec_b64 s[6:7], s[6:7]
	v_mov_b32_e32 v8, s10
	s_xor_b64 exec, exec, s[6:7]
	s_cbranch_execnz .LBB41_3892
.LBB41_1842:
	s_or_b64 exec, exec, s[6:7]
	s_and_saveexec_b64 s[6:7], s[4:5]
	s_cbranch_execz .LBB41_1844
.LBB41_1843:
	v_bfe_u32 v8, v13, 16, 3
	v_ffbh_u32_e32 v19, v8
	v_min_u32_e32 v19, 32, v19
	v_lshrrev_b32_e32 v12, 19, v13
	v_subrev_u32_e32 v20, 28, v19
	v_and_b32_e32 v12, 15, v12
	v_lshlrev_b32_sdwa v20, v20, v13 dst_sel:DWORD dst_unused:UNUSED_PAD src0_sel:DWORD src1_sel:WORD_1
	v_bfe_u32 v18, v13, 19, 4
	v_sub_u32_e32 v19, 29, v19
	v_and_b32_e32 v20, 7, v20
	v_cmp_eq_u16_e32 vcc, 0, v12
	v_cndmask_b32_e32 v8, v8, v20, vcc
	v_cndmask_b32_e32 v12, v18, v19, vcc
	v_lshlrev_b32_e32 v18, 8, v13
	v_mov_b32_e32 v19, 0x3b800000
	v_lshlrev_b32_e32 v8, 20, v8
	v_and_b32_e32 v18, 0x80000000, v18
	v_lshl_add_u32 v12, v12, 23, v19
	v_or3_b32 v8, v18, v12, v8
.LBB41_1844:
	s_or_b64 exec, exec, s[6:7]
	s_movk_i32 s4, 0xff
	v_and_b32_sdwa v12, v9, s4 dst_sel:DWORD dst_unused:UNUSED_PAD src0_sel:WORD_1 src1_sel:DWORD
	s_movk_i32 s4, 0x7f
	v_cmp_lt_i16_e32 vcc, s4, v12
	s_mov_b64 s[4:5], 0
                                        ; implicit-def: $sgpr10
	s_and_saveexec_b64 s[6:7], vcc
	s_xor_b64 s[6:7], exec, s[6:7]
	s_cbranch_execnz .LBB41_3893
; %bb.1845:
	s_or_saveexec_b64 s[6:7], s[6:7]
	v_mov_b32_e32 v18, s10
	s_xor_b64 exec, exec, s[6:7]
	s_cbranch_execnz .LBB41_3896
.LBB41_1846:
	s_or_b64 exec, exec, s[6:7]
	s_and_saveexec_b64 s[6:7], s[4:5]
	s_cbranch_execz .LBB41_1848
.LBB41_1847:
	v_bfe_u32 v12, v9, 16, 3
	v_ffbh_u32_e32 v20, v12
	v_min_u32_e32 v20, 32, v20
	v_lshrrev_b32_e32 v18, 19, v9
	v_subrev_u32_e32 v21, 28, v20
	v_and_b32_e32 v18, 15, v18
	v_lshlrev_b32_sdwa v21, v21, v9 dst_sel:DWORD dst_unused:UNUSED_PAD src0_sel:DWORD src1_sel:WORD_1
	v_bfe_u32 v19, v9, 19, 4
	v_sub_u32_e32 v20, 29, v20
	v_and_b32_e32 v21, 7, v21
	v_cmp_eq_u16_e32 vcc, 0, v18
	v_cndmask_b32_e32 v12, v12, v21, vcc
	v_cndmask_b32_e32 v18, v19, v20, vcc
	v_lshlrev_b32_e32 v19, 8, v9
	v_mov_b32_e32 v20, 0x3b800000
	v_lshlrev_b32_e32 v12, 20, v12
	v_and_b32_e32 v19, 0x80000000, v19
	v_lshl_add_u32 v18, v18, 23, v20
	v_or3_b32 v18, v19, v18, v12
.LBB41_1848:
	s_or_b64 exec, exec, s[6:7]
	s_nop 0
	v_mfma_f32_16x16x4f32 a[0:3], v8, v18, a[0:3]
	s_movk_i32 s4, 0x7f
	v_cmp_gt_i16_sdwa s[6:7], v13, s4 src0_sel:BYTE_3 src1_sel:DWORD
	s_mov_b64 s[4:5], 0
                                        ; implicit-def: $sgpr10
	s_and_saveexec_b64 s[8:9], s[6:7]
	s_xor_b64 s[6:7], exec, s[8:9]
	s_cbranch_execnz .LBB41_3897
; %bb.1849:
	s_or_saveexec_b64 s[6:7], s[6:7]
	v_mov_b32_e32 v8, s10
	s_xor_b64 exec, exec, s[6:7]
	s_cbranch_execnz .LBB41_3900
.LBB41_1850:
	s_or_b64 exec, exec, s[6:7]
	s_and_saveexec_b64 s[6:7], s[4:5]
	s_cbranch_execz .LBB41_1852
.LBB41_1851:
	v_bfe_u32 v8, v13, 24, 3
	v_ffbh_u32_e32 v20, v8
	v_min_u32_e32 v20, 32, v20
	v_lshrrev_b32_e32 v18, 27, v13
	v_subrev_u32_e32 v21, 28, v20
	v_and_b32_e32 v12, 0x80000000, v13
	v_and_b32_e32 v18, 15, v18
	v_bfe_u32 v19, v13, 27, 4
	v_lshlrev_b32_sdwa v13, v21, v13 dst_sel:DWORD dst_unused:UNUSED_PAD src0_sel:DWORD src1_sel:BYTE_3
	v_sub_u32_e32 v20, 29, v20
	v_and_b32_e32 v13, 7, v13
	v_cmp_eq_u16_e32 vcc, 0, v18
	v_cndmask_b32_e32 v8, v8, v13, vcc
	v_cndmask_b32_e32 v13, v19, v20, vcc
	v_mov_b32_e32 v18, 0x3b800000
	v_lshlrev_b32_e32 v8, 20, v8
	v_lshl_add_u32 v13, v13, 23, v18
	v_or3_b32 v8, v12, v13, v8
.LBB41_1852:
	s_or_b64 exec, exec, s[6:7]
	s_movk_i32 s4, 0x7f
	v_cmp_gt_i16_sdwa s[6:7], v9, s4 src0_sel:BYTE_3 src1_sel:DWORD
	s_mov_b64 s[4:5], 0
                                        ; implicit-def: $sgpr10
	s_and_saveexec_b64 s[8:9], s[6:7]
	s_xor_b64 s[6:7], exec, s[8:9]
	s_cbranch_execnz .LBB41_3901
; %bb.1853:
	s_or_saveexec_b64 s[6:7], s[6:7]
	v_mov_b32_e32 v12, s10
	s_xor_b64 exec, exec, s[6:7]
	s_cbranch_execnz .LBB41_3904
.LBB41_1854:
	s_or_b64 exec, exec, s[6:7]
	s_and_saveexec_b64 s[6:7], s[4:5]
	s_cbranch_execz .LBB41_1856
.LBB41_1855:
	v_bfe_u32 v12, v9, 24, 3
	v_ffbh_u32_e32 v20, v12
	v_min_u32_e32 v20, 32, v20
	v_lshrrev_b32_e32 v18, 27, v9
	v_subrev_u32_e32 v21, 28, v20
	v_and_b32_e32 v13, 0x80000000, v9
	v_and_b32_e32 v18, 15, v18
	v_bfe_u32 v19, v9, 27, 4
	v_lshlrev_b32_sdwa v9, v21, v9 dst_sel:DWORD dst_unused:UNUSED_PAD src0_sel:DWORD src1_sel:BYTE_3
	v_sub_u32_e32 v20, 29, v20
	v_and_b32_e32 v9, 7, v9
	v_cmp_eq_u16_e32 vcc, 0, v18
	v_cndmask_b32_e32 v9, v12, v9, vcc
	v_cndmask_b32_e32 v12, v19, v20, vcc
	v_mov_b32_e32 v18, 0x3b800000
	v_lshlrev_b32_e32 v9, 20, v9
	v_lshl_add_u32 v12, v12, 23, v18
	v_or3_b32 v12, v13, v12, v9
.LBB41_1856:
	s_or_b64 exec, exec, s[6:7]
	s_nop 0
	v_mfma_f32_16x16x4f32 a[0:3], v8, v12, a[0:3]
	s_movk_i32 s4, 0x7f
	v_cmp_gt_i16_sdwa s[6:7], v14, s4 src0_sel:BYTE_0 src1_sel:DWORD
	s_mov_b64 s[4:5], 0
                                        ; implicit-def: $sgpr10
	s_and_saveexec_b64 s[8:9], s[6:7]
	s_xor_b64 s[6:7], exec, s[8:9]
	s_cbranch_execnz .LBB41_3905
; %bb.1857:
	s_or_saveexec_b64 s[6:7], s[6:7]
	v_mov_b32_e32 v8, s10
	s_xor_b64 exec, exec, s[6:7]
	s_cbranch_execnz .LBB41_3908
.LBB41_1858:
	s_or_b64 exec, exec, s[6:7]
	s_and_saveexec_b64 s[6:7], s[4:5]
	s_cbranch_execz .LBB41_1860
.LBB41_1859:
	v_and_b32_e32 v8, 7, v14
	v_ffbh_u32_e32 v12, v8
	v_min_u32_e32 v12, 32, v12
	v_lshrrev_b16_e32 v9, 3, v14
	v_subrev_u32_e32 v13, 28, v12
	v_and_b32_e32 v9, 15, v9
	v_lshlrev_b32_e32 v13, v13, v14
	v_sub_u32_e32 v12, 29, v12
	v_and_b32_e32 v13, 7, v13
	v_cmp_eq_u16_e32 vcc, 0, v9
	v_cndmask_b32_e32 v8, v8, v13, vcc
	v_cndmask_b32_e32 v9, v9, v12, vcc
	v_lshlrev_b32_e32 v12, 24, v14
	v_mov_b32_e32 v13, 0x3b800000
	v_lshlrev_b32_e32 v8, 20, v8
	v_and_b32_e32 v12, 0x80000000, v12
	v_lshl_add_u32 v9, v9, 23, v13
	v_or3_b32 v8, v12, v9, v8
.LBB41_1860:
	s_or_b64 exec, exec, s[6:7]
	s_movk_i32 s4, 0x7f
	v_cmp_gt_i16_sdwa s[6:7], v10, s4 src0_sel:BYTE_0 src1_sel:DWORD
	s_mov_b64 s[4:5], 0
                                        ; implicit-def: $sgpr10
	s_and_saveexec_b64 s[8:9], s[6:7]
	s_xor_b64 s[6:7], exec, s[8:9]
	s_cbranch_execnz .LBB41_3909
; %bb.1861:
	s_or_saveexec_b64 s[6:7], s[6:7]
	v_mov_b32_e32 v9, s10
	s_xor_b64 exec, exec, s[6:7]
	s_cbranch_execnz .LBB41_3912
.LBB41_1862:
	s_or_b64 exec, exec, s[6:7]
	s_and_saveexec_b64 s[6:7], s[4:5]
	s_cbranch_execz .LBB41_1864
.LBB41_1863:
	v_and_b32_e32 v9, 7, v10
	v_ffbh_u32_e32 v13, v9
	v_min_u32_e32 v13, 32, v13
	v_lshrrev_b16_e32 v12, 3, v10
	v_subrev_u32_e32 v18, 28, v13
	v_and_b32_e32 v12, 15, v12
	v_lshlrev_b32_e32 v18, v18, v10
	v_sub_u32_e32 v13, 29, v13
	v_and_b32_e32 v18, 7, v18
	v_cmp_eq_u16_e32 vcc, 0, v12
	v_cndmask_b32_e32 v9, v9, v18, vcc
	v_cndmask_b32_e32 v12, v12, v13, vcc
	v_lshlrev_b32_e32 v13, 24, v10
	v_mov_b32_e32 v18, 0x3b800000
	v_lshlrev_b32_e32 v9, 20, v9
	v_and_b32_e32 v13, 0x80000000, v13
	v_lshl_add_u32 v12, v12, 23, v18
	v_or3_b32 v9, v13, v12, v9
.LBB41_1864:
	s_or_b64 exec, exec, s[6:7]
	s_nop 0
	v_mfma_f32_16x16x4f32 a[0:3], v8, v9, a[0:3]
	v_lshrrev_b32_e32 v9, 8, v14
	s_movk_i32 s4, 0x7f
	v_cmp_gt_i16_sdwa s[6:7], v9, s4 src0_sel:BYTE_0 src1_sel:DWORD
	s_mov_b64 s[4:5], 0
                                        ; implicit-def: $sgpr10
	s_and_saveexec_b64 s[8:9], s[6:7]
	s_xor_b64 s[6:7], exec, s[8:9]
	s_cbranch_execnz .LBB41_3913
; %bb.1865:
	s_or_saveexec_b64 s[6:7], s[6:7]
	v_mov_b32_e32 v8, s10
	s_xor_b64 exec, exec, s[6:7]
	s_cbranch_execnz .LBB41_3916
.LBB41_1866:
	s_or_b64 exec, exec, s[6:7]
	s_and_saveexec_b64 s[6:7], s[4:5]
	s_cbranch_execz .LBB41_1868
.LBB41_1867:
	v_bfe_u32 v8, v14, 8, 3
	v_ffbh_u32_e32 v13, v8
	v_min_u32_e32 v13, 32, v13
	v_lshrrev_b16_e32 v12, 3, v9
	v_subrev_u32_e32 v18, 28, v13
	v_and_b32_e32 v12, 15, v12
	v_lshlrev_b32_e32 v9, v18, v9
	v_sub_u32_e32 v13, 29, v13
	v_and_b32_e32 v9, 7, v9
	v_cmp_eq_u16_e32 vcc, 0, v12
	v_cndmask_b32_e32 v8, v8, v9, vcc
	v_cndmask_b32_e32 v9, v12, v13, vcc
	v_lshlrev_b32_e32 v12, 16, v14
	v_mov_b32_e32 v13, 0x3b800000
	v_lshlrev_b32_e32 v8, 20, v8
	v_and_b32_e32 v12, 0x80000000, v12
	v_lshl_add_u32 v9, v9, 23, v13
	v_or3_b32 v8, v12, v9, v8
.LBB41_1868:
	s_or_b64 exec, exec, s[6:7]
	v_lshrrev_b32_e32 v9, 8, v10
	s_movk_i32 s4, 0x7f
	v_cmp_gt_i16_sdwa s[6:7], v9, s4 src0_sel:BYTE_0 src1_sel:DWORD
	s_mov_b64 s[4:5], 0
                                        ; implicit-def: $sgpr10
	s_and_saveexec_b64 s[8:9], s[6:7]
	s_xor_b64 s[6:7], exec, s[8:9]
	s_cbranch_execnz .LBB41_3917
; %bb.1869:
	s_or_saveexec_b64 s[6:7], s[6:7]
	v_mov_b32_e32 v12, s10
	s_xor_b64 exec, exec, s[6:7]
	s_cbranch_execnz .LBB41_3920
.LBB41_1870:
	s_or_b64 exec, exec, s[6:7]
	s_and_saveexec_b64 s[6:7], s[4:5]
	s_cbranch_execz .LBB41_1872
.LBB41_1871:
	v_bfe_u32 v12, v10, 8, 3
	v_ffbh_u32_e32 v18, v12
	v_min_u32_e32 v18, 32, v18
	v_lshrrev_b16_e32 v13, 3, v9
	v_subrev_u32_e32 v19, 28, v18
	v_and_b32_e32 v13, 15, v13
	v_lshlrev_b32_e32 v9, v19, v9
	v_sub_u32_e32 v18, 29, v18
	v_and_b32_e32 v9, 7, v9
	v_cmp_eq_u16_e32 vcc, 0, v13
	v_cndmask_b32_e32 v9, v12, v9, vcc
	v_cndmask_b32_e32 v12, v13, v18, vcc
	v_lshlrev_b32_e32 v13, 16, v10
	v_mov_b32_e32 v18, 0x3b800000
	v_lshlrev_b32_e32 v9, 20, v9
	v_and_b32_e32 v13, 0x80000000, v13
	v_lshl_add_u32 v12, v12, 23, v18
	v_or3_b32 v12, v13, v12, v9
.LBB41_1872:
	s_or_b64 exec, exec, s[6:7]
	s_nop 0
	v_mfma_f32_16x16x4f32 a[0:3], v8, v12, a[0:3]
	s_movk_i32 s4, 0xff
	v_and_b32_sdwa v9, v14, s4 dst_sel:DWORD dst_unused:UNUSED_PAD src0_sel:WORD_1 src1_sel:DWORD
	s_movk_i32 s4, 0x7f
	v_cmp_lt_i16_e32 vcc, s4, v9
	s_mov_b64 s[4:5], 0
                                        ; implicit-def: $sgpr10
	s_and_saveexec_b64 s[6:7], vcc
	s_xor_b64 s[6:7], exec, s[6:7]
	s_cbranch_execnz .LBB41_3921
; %bb.1873:
	s_or_saveexec_b64 s[6:7], s[6:7]
	v_mov_b32_e32 v8, s10
	s_xor_b64 exec, exec, s[6:7]
	s_cbranch_execnz .LBB41_3924
.LBB41_1874:
	s_or_b64 exec, exec, s[6:7]
	s_and_saveexec_b64 s[6:7], s[4:5]
	s_cbranch_execz .LBB41_1876
.LBB41_1875:
	v_bfe_u32 v8, v14, 16, 3
	v_ffbh_u32_e32 v13, v8
	v_min_u32_e32 v13, 32, v13
	v_lshrrev_b32_e32 v9, 19, v14
	v_subrev_u32_e32 v18, 28, v13
	v_and_b32_e32 v9, 15, v9
	v_lshlrev_b32_sdwa v18, v18, v14 dst_sel:DWORD dst_unused:UNUSED_PAD src0_sel:DWORD src1_sel:WORD_1
	v_bfe_u32 v12, v14, 19, 4
	v_sub_u32_e32 v13, 29, v13
	v_and_b32_e32 v18, 7, v18
	v_cmp_eq_u16_e32 vcc, 0, v9
	v_cndmask_b32_e32 v8, v8, v18, vcc
	v_cndmask_b32_e32 v9, v12, v13, vcc
	v_lshlrev_b32_e32 v12, 8, v14
	v_mov_b32_e32 v13, 0x3b800000
	v_lshlrev_b32_e32 v8, 20, v8
	v_and_b32_e32 v12, 0x80000000, v12
	v_lshl_add_u32 v9, v9, 23, v13
	v_or3_b32 v8, v12, v9, v8
.LBB41_1876:
	s_or_b64 exec, exec, s[6:7]
	s_movk_i32 s4, 0xff
	v_and_b32_sdwa v9, v10, s4 dst_sel:DWORD dst_unused:UNUSED_PAD src0_sel:WORD_1 src1_sel:DWORD
	s_movk_i32 s4, 0x7f
	v_cmp_lt_i16_e32 vcc, s4, v9
	s_mov_b64 s[4:5], 0
                                        ; implicit-def: $sgpr10
	s_and_saveexec_b64 s[6:7], vcc
	s_xor_b64 s[6:7], exec, s[6:7]
	s_cbranch_execnz .LBB41_3925
; %bb.1877:
	s_or_saveexec_b64 s[6:7], s[6:7]
	v_mov_b32_e32 v12, s10
	s_xor_b64 exec, exec, s[6:7]
	s_cbranch_execnz .LBB41_3928
.LBB41_1878:
	s_or_b64 exec, exec, s[6:7]
	s_and_saveexec_b64 s[6:7], s[4:5]
	s_cbranch_execz .LBB41_1880
.LBB41_1879:
	v_bfe_u32 v9, v10, 16, 3
	v_ffbh_u32_e32 v18, v9
	v_min_u32_e32 v18, 32, v18
	v_lshrrev_b32_e32 v12, 19, v10
	v_subrev_u32_e32 v19, 28, v18
	v_and_b32_e32 v12, 15, v12
	v_lshlrev_b32_sdwa v19, v19, v10 dst_sel:DWORD dst_unused:UNUSED_PAD src0_sel:DWORD src1_sel:WORD_1
	v_bfe_u32 v13, v10, 19, 4
	v_sub_u32_e32 v18, 29, v18
	v_and_b32_e32 v19, 7, v19
	v_cmp_eq_u16_e32 vcc, 0, v12
	v_cndmask_b32_e32 v9, v9, v19, vcc
	v_cndmask_b32_e32 v12, v13, v18, vcc
	v_lshlrev_b32_e32 v13, 8, v10
	v_mov_b32_e32 v18, 0x3b800000
	v_lshlrev_b32_e32 v9, 20, v9
	v_and_b32_e32 v13, 0x80000000, v13
	v_lshl_add_u32 v12, v12, 23, v18
	v_or3_b32 v12, v13, v12, v9
.LBB41_1880:
	s_or_b64 exec, exec, s[6:7]
	s_nop 0
	v_mfma_f32_16x16x4f32 a[0:3], v8, v12, a[0:3]
	s_movk_i32 s4, 0x7f
	v_cmp_gt_i16_sdwa s[6:7], v14, s4 src0_sel:BYTE_3 src1_sel:DWORD
	s_mov_b64 s[4:5], 0
                                        ; implicit-def: $sgpr10
	s_and_saveexec_b64 s[8:9], s[6:7]
	s_xor_b64 s[6:7], exec, s[8:9]
	s_cbranch_execnz .LBB41_3929
; %bb.1881:
	s_or_saveexec_b64 s[6:7], s[6:7]
	v_mov_b32_e32 v8, s10
	s_xor_b64 exec, exec, s[6:7]
	s_cbranch_execnz .LBB41_3932
.LBB41_1882:
	s_or_b64 exec, exec, s[6:7]
	s_and_saveexec_b64 s[6:7], s[4:5]
	s_cbranch_execz .LBB41_1884
.LBB41_1883:
	v_bfe_u32 v8, v14, 24, 3
	v_ffbh_u32_e32 v18, v8
	v_min_u32_e32 v18, 32, v18
	v_lshrrev_b32_e32 v12, 27, v14
	v_subrev_u32_e32 v19, 28, v18
	v_and_b32_e32 v9, 0x80000000, v14
	v_and_b32_e32 v12, 15, v12
	v_bfe_u32 v13, v14, 27, 4
	v_lshlrev_b32_sdwa v14, v19, v14 dst_sel:DWORD dst_unused:UNUSED_PAD src0_sel:DWORD src1_sel:BYTE_3
	v_sub_u32_e32 v18, 29, v18
	v_and_b32_e32 v14, 7, v14
	v_cmp_eq_u16_e32 vcc, 0, v12
	v_cndmask_b32_e32 v8, v8, v14, vcc
	v_cndmask_b32_e32 v12, v13, v18, vcc
	v_mov_b32_e32 v13, 0x3b800000
	v_lshlrev_b32_e32 v8, 20, v8
	v_lshl_add_u32 v12, v12, 23, v13
	v_or3_b32 v8, v9, v12, v8
.LBB41_1884:
	s_or_b64 exec, exec, s[6:7]
	s_movk_i32 s4, 0x7f
	v_cmp_gt_i16_sdwa s[6:7], v10, s4 src0_sel:BYTE_3 src1_sel:DWORD
	s_mov_b64 s[4:5], 0
                                        ; implicit-def: $sgpr10
	s_and_saveexec_b64 s[8:9], s[6:7]
	s_xor_b64 s[6:7], exec, s[8:9]
	s_cbranch_execnz .LBB41_3933
; %bb.1885:
	s_or_saveexec_b64 s[6:7], s[6:7]
	v_mov_b32_e32 v9, s10
	s_xor_b64 exec, exec, s[6:7]
	s_cbranch_execnz .LBB41_3936
.LBB41_1886:
	s_or_b64 exec, exec, s[6:7]
	s_and_saveexec_b64 s[6:7], s[4:5]
	s_cbranch_execz .LBB41_1888
.LBB41_1887:
	v_bfe_u32 v9, v10, 24, 3
	v_ffbh_u32_e32 v18, v9
	v_min_u32_e32 v18, 32, v18
	v_lshrrev_b32_e32 v13, 27, v10
	v_subrev_u32_e32 v19, 28, v18
	v_and_b32_e32 v12, 0x80000000, v10
	v_and_b32_e32 v13, 15, v13
	v_bfe_u32 v14, v10, 27, 4
	v_lshlrev_b32_sdwa v10, v19, v10 dst_sel:DWORD dst_unused:UNUSED_PAD src0_sel:DWORD src1_sel:BYTE_3
	v_sub_u32_e32 v18, 29, v18
	v_and_b32_e32 v10, 7, v10
	v_cmp_eq_u16_e32 vcc, 0, v13
	v_cndmask_b32_e32 v9, v9, v10, vcc
	v_cndmask_b32_e32 v10, v14, v18, vcc
	v_mov_b32_e32 v13, 0x3b800000
	v_lshlrev_b32_e32 v9, 20, v9
	v_lshl_add_u32 v10, v10, 23, v13
	v_or3_b32 v9, v12, v10, v9
.LBB41_1888:
	s_or_b64 exec, exec, s[6:7]
	s_nop 0
	v_mfma_f32_16x16x4f32 a[0:3], v8, v9, a[0:3]
	s_movk_i32 s4, 0x7f
	v_cmp_gt_i16_sdwa s[6:7], v15, s4 src0_sel:BYTE_0 src1_sel:DWORD
	s_mov_b64 s[4:5], 0
                                        ; implicit-def: $sgpr10
	s_and_saveexec_b64 s[8:9], s[6:7]
	s_xor_b64 s[6:7], exec, s[8:9]
	s_cbranch_execnz .LBB41_3937
; %bb.1889:
	s_or_saveexec_b64 s[6:7], s[6:7]
	v_mov_b32_e32 v8, s10
	s_xor_b64 exec, exec, s[6:7]
	s_cbranch_execnz .LBB41_3940
.LBB41_1890:
	s_or_b64 exec, exec, s[6:7]
	s_and_saveexec_b64 s[6:7], s[4:5]
	s_cbranch_execz .LBB41_1892
.LBB41_1891:
	v_and_b32_e32 v8, 7, v15
	v_ffbh_u32_e32 v10, v8
	v_min_u32_e32 v10, 32, v10
	v_lshrrev_b16_e32 v9, 3, v15
	v_subrev_u32_e32 v12, 28, v10
	v_and_b32_e32 v9, 15, v9
	v_lshlrev_b32_e32 v12, v12, v15
	v_sub_u32_e32 v10, 29, v10
	v_and_b32_e32 v12, 7, v12
	v_cmp_eq_u16_e32 vcc, 0, v9
	v_cndmask_b32_e32 v8, v8, v12, vcc
	v_cndmask_b32_e32 v9, v9, v10, vcc
	v_lshlrev_b32_e32 v10, 24, v15
	v_mov_b32_e32 v12, 0x3b800000
	v_lshlrev_b32_e32 v8, 20, v8
	v_and_b32_e32 v10, 0x80000000, v10
	v_lshl_add_u32 v9, v9, 23, v12
	v_or3_b32 v8, v10, v9, v8
.LBB41_1892:
	s_or_b64 exec, exec, s[6:7]
	s_movk_i32 s4, 0x7f
	v_cmp_gt_i16_sdwa s[6:7], v11, s4 src0_sel:BYTE_0 src1_sel:DWORD
	s_mov_b64 s[4:5], 0
                                        ; implicit-def: $sgpr10
	s_and_saveexec_b64 s[8:9], s[6:7]
	s_xor_b64 s[6:7], exec, s[8:9]
	s_cbranch_execnz .LBB41_3941
; %bb.1893:
	s_or_saveexec_b64 s[6:7], s[6:7]
	v_mov_b32_e32 v9, s10
	s_xor_b64 exec, exec, s[6:7]
	s_cbranch_execnz .LBB41_3944
.LBB41_1894:
	s_or_b64 exec, exec, s[6:7]
	s_and_saveexec_b64 s[6:7], s[4:5]
	s_cbranch_execz .LBB41_1896
.LBB41_1895:
	v_and_b32_e32 v9, 7, v11
	v_ffbh_u32_e32 v12, v9
	v_min_u32_e32 v12, 32, v12
	v_lshrrev_b16_e32 v10, 3, v11
	v_subrev_u32_e32 v13, 28, v12
	v_and_b32_e32 v10, 15, v10
	v_lshlrev_b32_e32 v13, v13, v11
	v_sub_u32_e32 v12, 29, v12
	v_and_b32_e32 v13, 7, v13
	v_cmp_eq_u16_e32 vcc, 0, v10
	v_cndmask_b32_e32 v9, v9, v13, vcc
	v_cndmask_b32_e32 v10, v10, v12, vcc
	v_lshlrev_b32_e32 v12, 24, v11
	v_mov_b32_e32 v13, 0x3b800000
	v_lshlrev_b32_e32 v9, 20, v9
	v_and_b32_e32 v12, 0x80000000, v12
	v_lshl_add_u32 v10, v10, 23, v13
	v_or3_b32 v9, v12, v10, v9
.LBB41_1896:
	s_or_b64 exec, exec, s[6:7]
	s_nop 0
	v_mfma_f32_16x16x4f32 a[0:3], v8, v9, a[0:3]
	v_lshrrev_b32_e32 v9, 8, v15
	s_movk_i32 s4, 0x7f
	v_cmp_gt_i16_sdwa s[6:7], v9, s4 src0_sel:BYTE_0 src1_sel:DWORD
	s_mov_b64 s[4:5], 0
                                        ; implicit-def: $sgpr10
	s_and_saveexec_b64 s[8:9], s[6:7]
	s_xor_b64 s[6:7], exec, s[8:9]
	s_cbranch_execnz .LBB41_3945
; %bb.1897:
	s_or_saveexec_b64 s[6:7], s[6:7]
	v_mov_b32_e32 v8, s10
	s_xor_b64 exec, exec, s[6:7]
	s_cbranch_execnz .LBB41_3948
.LBB41_1898:
	s_or_b64 exec, exec, s[6:7]
	s_and_saveexec_b64 s[6:7], s[4:5]
	s_cbranch_execz .LBB41_1900
.LBB41_1899:
	v_bfe_u32 v8, v15, 8, 3
	v_ffbh_u32_e32 v12, v8
	v_min_u32_e32 v12, 32, v12
	v_lshrrev_b16_e32 v10, 3, v9
	v_subrev_u32_e32 v13, 28, v12
	v_and_b32_e32 v10, 15, v10
	v_lshlrev_b32_e32 v9, v13, v9
	v_sub_u32_e32 v12, 29, v12
	v_and_b32_e32 v9, 7, v9
	v_cmp_eq_u16_e32 vcc, 0, v10
	v_cndmask_b32_e32 v8, v8, v9, vcc
	v_cndmask_b32_e32 v9, v10, v12, vcc
	v_lshlrev_b32_e32 v10, 16, v15
	v_mov_b32_e32 v12, 0x3b800000
	v_lshlrev_b32_e32 v8, 20, v8
	v_and_b32_e32 v10, 0x80000000, v10
	v_lshl_add_u32 v9, v9, 23, v12
	v_or3_b32 v8, v10, v9, v8
.LBB41_1900:
	s_or_b64 exec, exec, s[6:7]
	v_lshrrev_b32_e32 v9, 8, v11
	s_movk_i32 s4, 0x7f
	v_cmp_gt_i16_sdwa s[6:7], v9, s4 src0_sel:BYTE_0 src1_sel:DWORD
	s_mov_b64 s[4:5], 0
                                        ; implicit-def: $sgpr10
	s_and_saveexec_b64 s[8:9], s[6:7]
	s_xor_b64 s[6:7], exec, s[8:9]
	s_cbranch_execnz .LBB41_3949
; %bb.1901:
	s_or_saveexec_b64 s[6:7], s[6:7]
	v_mov_b32_e32 v10, s10
	s_xor_b64 exec, exec, s[6:7]
	s_cbranch_execnz .LBB41_3952
.LBB41_1902:
	s_or_b64 exec, exec, s[6:7]
	s_and_saveexec_b64 s[6:7], s[4:5]
	s_cbranch_execz .LBB41_1904
.LBB41_1903:
	v_bfe_u32 v10, v11, 8, 3
	v_ffbh_u32_e32 v13, v10
	v_min_u32_e32 v13, 32, v13
	v_lshrrev_b16_e32 v12, 3, v9
	v_subrev_u32_e32 v14, 28, v13
	v_and_b32_e32 v12, 15, v12
	v_lshlrev_b32_e32 v9, v14, v9
	v_sub_u32_e32 v13, 29, v13
	v_and_b32_e32 v9, 7, v9
	v_cmp_eq_u16_e32 vcc, 0, v12
	v_cndmask_b32_e32 v9, v10, v9, vcc
	v_cndmask_b32_e32 v10, v12, v13, vcc
	v_lshlrev_b32_e32 v12, 16, v11
	v_mov_b32_e32 v13, 0x3b800000
	v_lshlrev_b32_e32 v9, 20, v9
	v_and_b32_e32 v12, 0x80000000, v12
	v_lshl_add_u32 v10, v10, 23, v13
	v_or3_b32 v10, v12, v10, v9
.LBB41_1904:
	s_or_b64 exec, exec, s[6:7]
	s_nop 0
	v_mfma_f32_16x16x4f32 a[0:3], v8, v10, a[0:3]
	s_movk_i32 s4, 0xff
	v_and_b32_sdwa v9, v15, s4 dst_sel:DWORD dst_unused:UNUSED_PAD src0_sel:WORD_1 src1_sel:DWORD
	s_movk_i32 s4, 0x7f
	v_cmp_lt_i16_e32 vcc, s4, v9
	s_mov_b64 s[4:5], 0
                                        ; implicit-def: $sgpr10
	s_and_saveexec_b64 s[6:7], vcc
	s_xor_b64 s[6:7], exec, s[6:7]
	s_cbranch_execnz .LBB41_3953
; %bb.1905:
	s_or_saveexec_b64 s[6:7], s[6:7]
	v_mov_b32_e32 v8, s10
	s_xor_b64 exec, exec, s[6:7]
	s_cbranch_execnz .LBB41_3956
.LBB41_1906:
	s_or_b64 exec, exec, s[6:7]
	s_and_saveexec_b64 s[6:7], s[4:5]
	s_cbranch_execz .LBB41_1908
.LBB41_1907:
	v_bfe_u32 v8, v15, 16, 3
	v_ffbh_u32_e32 v12, v8
	v_min_u32_e32 v12, 32, v12
	v_lshrrev_b32_e32 v9, 19, v15
	v_subrev_u32_e32 v13, 28, v12
	v_and_b32_e32 v9, 15, v9
	v_lshlrev_b32_sdwa v13, v13, v15 dst_sel:DWORD dst_unused:UNUSED_PAD src0_sel:DWORD src1_sel:WORD_1
	v_bfe_u32 v10, v15, 19, 4
	v_sub_u32_e32 v12, 29, v12
	v_and_b32_e32 v13, 7, v13
	v_cmp_eq_u16_e32 vcc, 0, v9
	v_cndmask_b32_e32 v8, v8, v13, vcc
	v_cndmask_b32_e32 v9, v10, v12, vcc
	v_lshlrev_b32_e32 v10, 8, v15
	v_mov_b32_e32 v12, 0x3b800000
	v_lshlrev_b32_e32 v8, 20, v8
	v_and_b32_e32 v10, 0x80000000, v10
	v_lshl_add_u32 v9, v9, 23, v12
	v_or3_b32 v8, v10, v9, v8
.LBB41_1908:
	s_or_b64 exec, exec, s[6:7]
	s_movk_i32 s4, 0xff
	v_and_b32_sdwa v9, v11, s4 dst_sel:DWORD dst_unused:UNUSED_PAD src0_sel:WORD_1 src1_sel:DWORD
	s_movk_i32 s4, 0x7f
	v_cmp_lt_i16_e32 vcc, s4, v9
	s_mov_b64 s[4:5], 0
                                        ; implicit-def: $sgpr10
	s_and_saveexec_b64 s[6:7], vcc
	s_xor_b64 s[6:7], exec, s[6:7]
	s_cbranch_execnz .LBB41_3957
; %bb.1909:
	s_or_saveexec_b64 s[6:7], s[6:7]
	v_mov_b32_e32 v10, s10
	s_xor_b64 exec, exec, s[6:7]
	s_cbranch_execnz .LBB41_3960
.LBB41_1910:
	s_or_b64 exec, exec, s[6:7]
	s_and_saveexec_b64 s[6:7], s[4:5]
	s_cbranch_execz .LBB41_1912
.LBB41_1911:
	v_bfe_u32 v9, v11, 16, 3
	v_ffbh_u32_e32 v13, v9
	v_min_u32_e32 v13, 32, v13
	v_lshrrev_b32_e32 v10, 19, v11
	v_subrev_u32_e32 v14, 28, v13
	v_and_b32_e32 v10, 15, v10
	v_lshlrev_b32_sdwa v14, v14, v11 dst_sel:DWORD dst_unused:UNUSED_PAD src0_sel:DWORD src1_sel:WORD_1
	v_bfe_u32 v12, v11, 19, 4
	v_sub_u32_e32 v13, 29, v13
	v_and_b32_e32 v14, 7, v14
	v_cmp_eq_u16_e32 vcc, 0, v10
	v_cndmask_b32_e32 v9, v9, v14, vcc
	v_cndmask_b32_e32 v10, v12, v13, vcc
	v_lshlrev_b32_e32 v12, 8, v11
	v_mov_b32_e32 v13, 0x3b800000
	v_lshlrev_b32_e32 v9, 20, v9
	v_and_b32_e32 v12, 0x80000000, v12
	v_lshl_add_u32 v10, v10, 23, v13
	v_or3_b32 v10, v12, v10, v9
.LBB41_1912:
	s_or_b64 exec, exec, s[6:7]
	s_nop 0
	v_mfma_f32_16x16x4f32 a[0:3], v8, v10, a[0:3]
	s_movk_i32 s4, 0x7f
	v_cmp_gt_i16_sdwa s[6:7], v15, s4 src0_sel:BYTE_3 src1_sel:DWORD
	s_mov_b64 s[4:5], 0
                                        ; implicit-def: $sgpr10
	s_and_saveexec_b64 s[8:9], s[6:7]
	s_xor_b64 s[6:7], exec, s[8:9]
	s_cbranch_execnz .LBB41_3961
; %bb.1913:
	s_or_saveexec_b64 s[6:7], s[6:7]
	v_mov_b32_e32 v8, s10
	s_xor_b64 exec, exec, s[6:7]
	s_cbranch_execnz .LBB41_3964
.LBB41_1914:
	s_or_b64 exec, exec, s[6:7]
	s_and_saveexec_b64 s[6:7], s[4:5]
	s_cbranch_execz .LBB41_1916
.LBB41_1915:
	v_bfe_u32 v8, v15, 24, 3
	v_ffbh_u32_e32 v13, v8
	v_min_u32_e32 v13, 32, v13
	v_lshrrev_b32_e32 v10, 27, v15
	v_subrev_u32_e32 v14, 28, v13
	v_and_b32_e32 v10, 15, v10
	v_lshlrev_b32_sdwa v14, v14, v15 dst_sel:DWORD dst_unused:UNUSED_PAD src0_sel:DWORD src1_sel:BYTE_3
	v_bfe_u32 v12, v15, 27, 4
	v_sub_u32_e32 v13, 29, v13
	v_and_b32_e32 v14, 7, v14
	v_cmp_eq_u16_e32 vcc, 0, v10
	v_cndmask_b32_e32 v8, v8, v14, vcc
	v_cndmask_b32_e32 v10, v12, v13, vcc
	v_mov_b32_e32 v12, 0x3b800000
	v_and_b32_e32 v9, 0x80000000, v15
	v_lshlrev_b32_e32 v8, 20, v8
	v_lshl_add_u32 v10, v10, 23, v12
	v_or3_b32 v8, v9, v10, v8
.LBB41_1916:
	s_or_b64 exec, exec, s[6:7]
	s_movk_i32 s4, 0x7f
	v_cmp_gt_i16_sdwa s[6:7], v11, s4 src0_sel:BYTE_3 src1_sel:DWORD
	s_mov_b64 s[4:5], 0
                                        ; implicit-def: $sgpr10
	s_and_saveexec_b64 s[8:9], s[6:7]
	s_xor_b64 s[6:7], exec, s[8:9]
	s_cbranch_execnz .LBB41_3965
; %bb.1917:
	s_or_saveexec_b64 s[6:7], s[6:7]
	v_mov_b32_e32 v9, s10
	s_xor_b64 exec, exec, s[6:7]
	s_cbranch_execnz .LBB41_3968
.LBB41_1918:
	s_or_b64 exec, exec, s[6:7]
	s_and_saveexec_b64 s[6:7], s[4:5]
	s_cbranch_execz .LBB41_1920
.LBB41_1919:
	v_bfe_u32 v9, v11, 24, 3
	v_ffbh_u32_e32 v14, v9
	v_min_u32_e32 v14, 32, v14
	v_lshrrev_b32_e32 v12, 27, v11
	v_subrev_u32_e32 v15, 28, v14
	v_and_b32_e32 v10, 0x80000000, v11
	v_and_b32_e32 v12, 15, v12
	v_bfe_u32 v13, v11, 27, 4
	v_lshlrev_b32_sdwa v11, v15, v11 dst_sel:DWORD dst_unused:UNUSED_PAD src0_sel:DWORD src1_sel:BYTE_3
	v_sub_u32_e32 v14, 29, v14
	v_and_b32_e32 v11, 7, v11
	v_cmp_eq_u16_e32 vcc, 0, v12
	v_cndmask_b32_e32 v9, v9, v11, vcc
	v_cndmask_b32_e32 v11, v13, v14, vcc
	v_mov_b32_e32 v12, 0x3b800000
	v_lshlrev_b32_e32 v9, 20, v9
	v_lshl_add_u32 v11, v11, 23, v12
	v_or3_b32 v9, v10, v11, v9
.LBB41_1920:
	s_or_b64 exec, exec, s[6:7]
	s_nop 0
	v_mfma_f32_16x16x4f32 a[0:3], v8, v9, a[0:3]
	s_movk_i32 s4, 0x7f
	v_cmp_gt_i16_sdwa s[6:7], v4, s4 src0_sel:BYTE_0 src1_sel:DWORD
	s_mov_b64 s[4:5], 0
                                        ; implicit-def: $sgpr10
	s_and_saveexec_b64 s[8:9], s[6:7]
	s_xor_b64 s[6:7], exec, s[8:9]
	s_cbranch_execnz .LBB41_3969
; %bb.1921:
	s_or_saveexec_b64 s[6:7], s[6:7]
	v_mov_b32_e32 v8, s10
	s_xor_b64 exec, exec, s[6:7]
	s_cbranch_execnz .LBB41_3972
.LBB41_1922:
	s_or_b64 exec, exec, s[6:7]
	s_and_saveexec_b64 s[6:7], s[4:5]
	s_cbranch_execz .LBB41_1924
.LBB41_1923:
	v_and_b32_e32 v8, 7, v4
	v_ffbh_u32_e32 v10, v8
	v_min_u32_e32 v10, 32, v10
	v_lshrrev_b16_e32 v9, 3, v4
	v_subrev_u32_e32 v11, 28, v10
	v_and_b32_e32 v9, 15, v9
	v_lshlrev_b32_e32 v11, v11, v4
	v_sub_u32_e32 v10, 29, v10
	v_and_b32_e32 v11, 7, v11
	v_cmp_eq_u16_e32 vcc, 0, v9
	v_cndmask_b32_e32 v8, v8, v11, vcc
	v_cndmask_b32_e32 v9, v9, v10, vcc
	v_lshlrev_b32_e32 v10, 24, v4
	v_mov_b32_e32 v11, 0x3b800000
	v_lshlrev_b32_e32 v8, 20, v8
	v_and_b32_e32 v10, 0x80000000, v10
	v_lshl_add_u32 v9, v9, 23, v11
	v_or3_b32 v8, v10, v9, v8
.LBB41_1924:
	s_or_b64 exec, exec, s[6:7]
	s_movk_i32 s4, 0x7f
	v_cmp_gt_i16_sdwa s[6:7], v0, s4 src0_sel:BYTE_0 src1_sel:DWORD
	s_mov_b64 s[4:5], 0
                                        ; implicit-def: $sgpr10
	s_and_saveexec_b64 s[8:9], s[6:7]
	s_xor_b64 s[6:7], exec, s[8:9]
	s_cbranch_execnz .LBB41_3973
; %bb.1925:
	s_or_saveexec_b64 s[6:7], s[6:7]
	v_mov_b32_e32 v9, s10
	s_xor_b64 exec, exec, s[6:7]
	s_cbranch_execnz .LBB41_3976
.LBB41_1926:
	s_or_b64 exec, exec, s[6:7]
	s_and_saveexec_b64 s[6:7], s[4:5]
	s_cbranch_execz .LBB41_1928
.LBB41_1927:
	v_and_b32_e32 v9, 7, v0
	v_ffbh_u32_e32 v11, v9
	v_min_u32_e32 v11, 32, v11
	v_lshrrev_b16_e32 v10, 3, v0
	v_subrev_u32_e32 v12, 28, v11
	v_and_b32_e32 v10, 15, v10
	v_lshlrev_b32_e32 v12, v12, v0
	v_sub_u32_e32 v11, 29, v11
	v_and_b32_e32 v12, 7, v12
	v_cmp_eq_u16_e32 vcc, 0, v10
	v_cndmask_b32_e32 v9, v9, v12, vcc
	v_cndmask_b32_e32 v10, v10, v11, vcc
	v_lshlrev_b32_e32 v11, 24, v0
	v_mov_b32_e32 v12, 0x3b800000
	v_lshlrev_b32_e32 v9, 20, v9
	v_and_b32_e32 v11, 0x80000000, v11
	v_lshl_add_u32 v10, v10, 23, v12
	v_or3_b32 v9, v11, v10, v9
.LBB41_1928:
	s_or_b64 exec, exec, s[6:7]
	s_nop 0
	v_mfma_f32_16x16x4f32 a[0:3], v8, v9, a[0:3]
	v_lshrrev_b32_e32 v9, 8, v4
	s_movk_i32 s4, 0x7f
	v_cmp_gt_i16_sdwa s[6:7], v9, s4 src0_sel:BYTE_0 src1_sel:DWORD
	s_mov_b64 s[4:5], 0
                                        ; implicit-def: $sgpr10
	s_and_saveexec_b64 s[8:9], s[6:7]
	s_xor_b64 s[6:7], exec, s[8:9]
	s_cbranch_execnz .LBB41_3977
; %bb.1929:
	s_or_saveexec_b64 s[6:7], s[6:7]
	v_mov_b32_e32 v8, s10
	s_xor_b64 exec, exec, s[6:7]
	s_cbranch_execnz .LBB41_3980
.LBB41_1930:
	s_or_b64 exec, exec, s[6:7]
	s_and_saveexec_b64 s[6:7], s[4:5]
	s_cbranch_execz .LBB41_1932
.LBB41_1931:
	v_bfe_u32 v8, v4, 8, 3
	v_ffbh_u32_e32 v11, v8
	v_min_u32_e32 v11, 32, v11
	v_lshrrev_b16_e32 v10, 3, v9
	v_subrev_u32_e32 v12, 28, v11
	v_and_b32_e32 v10, 15, v10
	v_lshlrev_b32_e32 v9, v12, v9
	v_sub_u32_e32 v11, 29, v11
	v_and_b32_e32 v9, 7, v9
	v_cmp_eq_u16_e32 vcc, 0, v10
	v_cndmask_b32_e32 v8, v8, v9, vcc
	v_cndmask_b32_e32 v9, v10, v11, vcc
	v_lshlrev_b32_e32 v10, 16, v4
	v_mov_b32_e32 v11, 0x3b800000
	v_lshlrev_b32_e32 v8, 20, v8
	v_and_b32_e32 v10, 0x80000000, v10
	v_lshl_add_u32 v9, v9, 23, v11
	v_or3_b32 v8, v10, v9, v8
.LBB41_1932:
	s_or_b64 exec, exec, s[6:7]
	v_lshrrev_b32_e32 v9, 8, v0
	s_movk_i32 s4, 0x7f
	v_cmp_gt_i16_sdwa s[6:7], v9, s4 src0_sel:BYTE_0 src1_sel:DWORD
	s_mov_b64 s[4:5], 0
                                        ; implicit-def: $sgpr10
	s_and_saveexec_b64 s[8:9], s[6:7]
	s_xor_b64 s[6:7], exec, s[8:9]
	s_cbranch_execnz .LBB41_3981
; %bb.1933:
	s_or_saveexec_b64 s[6:7], s[6:7]
	v_mov_b32_e32 v10, s10
	s_xor_b64 exec, exec, s[6:7]
	s_cbranch_execnz .LBB41_3984
.LBB41_1934:
	s_or_b64 exec, exec, s[6:7]
	s_and_saveexec_b64 s[6:7], s[4:5]
	s_cbranch_execz .LBB41_1936
.LBB41_1935:
	v_bfe_u32 v10, v0, 8, 3
	v_ffbh_u32_e32 v12, v10
	v_min_u32_e32 v12, 32, v12
	v_lshrrev_b16_e32 v11, 3, v9
	v_subrev_u32_e32 v13, 28, v12
	v_and_b32_e32 v11, 15, v11
	v_lshlrev_b32_e32 v9, v13, v9
	v_sub_u32_e32 v12, 29, v12
	v_and_b32_e32 v9, 7, v9
	v_cmp_eq_u16_e32 vcc, 0, v11
	v_cndmask_b32_e32 v9, v10, v9, vcc
	v_cndmask_b32_e32 v10, v11, v12, vcc
	v_lshlrev_b32_e32 v11, 16, v0
	v_mov_b32_e32 v12, 0x3b800000
	v_lshlrev_b32_e32 v9, 20, v9
	v_and_b32_e32 v11, 0x80000000, v11
	v_lshl_add_u32 v10, v10, 23, v12
	v_or3_b32 v10, v11, v10, v9
.LBB41_1936:
	s_or_b64 exec, exec, s[6:7]
	s_nop 0
	v_mfma_f32_16x16x4f32 a[0:3], v8, v10, a[0:3]
	s_movk_i32 s4, 0xff
	v_and_b32_sdwa v9, v4, s4 dst_sel:DWORD dst_unused:UNUSED_PAD src0_sel:WORD_1 src1_sel:DWORD
	s_movk_i32 s4, 0x7f
	v_cmp_lt_i16_e32 vcc, s4, v9
	s_mov_b64 s[4:5], 0
                                        ; implicit-def: $sgpr10
	s_and_saveexec_b64 s[6:7], vcc
	s_xor_b64 s[6:7], exec, s[6:7]
	s_cbranch_execnz .LBB41_3985
; %bb.1937:
	s_or_saveexec_b64 s[6:7], s[6:7]
	v_mov_b32_e32 v8, s10
	s_xor_b64 exec, exec, s[6:7]
	s_cbranch_execnz .LBB41_3988
.LBB41_1938:
	s_or_b64 exec, exec, s[6:7]
	s_and_saveexec_b64 s[6:7], s[4:5]
	s_cbranch_execz .LBB41_1940
.LBB41_1939:
	v_bfe_u32 v8, v4, 16, 3
	v_ffbh_u32_e32 v11, v8
	v_min_u32_e32 v11, 32, v11
	v_lshrrev_b32_e32 v9, 19, v4
	v_subrev_u32_e32 v12, 28, v11
	v_and_b32_e32 v9, 15, v9
	v_lshlrev_b32_sdwa v12, v12, v4 dst_sel:DWORD dst_unused:UNUSED_PAD src0_sel:DWORD src1_sel:WORD_1
	v_bfe_u32 v10, v4, 19, 4
	v_sub_u32_e32 v11, 29, v11
	v_and_b32_e32 v12, 7, v12
	v_cmp_eq_u16_e32 vcc, 0, v9
	v_cndmask_b32_e32 v8, v8, v12, vcc
	v_cndmask_b32_e32 v9, v10, v11, vcc
	v_lshlrev_b32_e32 v10, 8, v4
	v_mov_b32_e32 v11, 0x3b800000
	v_lshlrev_b32_e32 v8, 20, v8
	v_and_b32_e32 v10, 0x80000000, v10
	v_lshl_add_u32 v9, v9, 23, v11
	v_or3_b32 v8, v10, v9, v8
.LBB41_1940:
	s_or_b64 exec, exec, s[6:7]
	s_movk_i32 s4, 0xff
	v_and_b32_sdwa v9, v0, s4 dst_sel:DWORD dst_unused:UNUSED_PAD src0_sel:WORD_1 src1_sel:DWORD
	s_movk_i32 s4, 0x7f
	v_cmp_lt_i16_e32 vcc, s4, v9
	s_mov_b64 s[4:5], 0
                                        ; implicit-def: $sgpr10
	s_and_saveexec_b64 s[6:7], vcc
	s_xor_b64 s[6:7], exec, s[6:7]
	s_cbranch_execnz .LBB41_3989
; %bb.1941:
	s_or_saveexec_b64 s[6:7], s[6:7]
	v_mov_b32_e32 v10, s10
	s_xor_b64 exec, exec, s[6:7]
	s_cbranch_execnz .LBB41_3992
.LBB41_1942:
	s_or_b64 exec, exec, s[6:7]
	s_and_saveexec_b64 s[6:7], s[4:5]
	s_cbranch_execz .LBB41_1944
.LBB41_1943:
	v_bfe_u32 v9, v0, 16, 3
	v_ffbh_u32_e32 v12, v9
	v_min_u32_e32 v12, 32, v12
	v_lshrrev_b32_e32 v10, 19, v0
	v_subrev_u32_e32 v13, 28, v12
	v_and_b32_e32 v10, 15, v10
	v_lshlrev_b32_sdwa v13, v13, v0 dst_sel:DWORD dst_unused:UNUSED_PAD src0_sel:DWORD src1_sel:WORD_1
	v_bfe_u32 v11, v0, 19, 4
	v_sub_u32_e32 v12, 29, v12
	v_and_b32_e32 v13, 7, v13
	v_cmp_eq_u16_e32 vcc, 0, v10
	v_cndmask_b32_e32 v9, v9, v13, vcc
	v_cndmask_b32_e32 v10, v11, v12, vcc
	v_lshlrev_b32_e32 v11, 8, v0
	v_mov_b32_e32 v12, 0x3b800000
	v_lshlrev_b32_e32 v9, 20, v9
	v_and_b32_e32 v11, 0x80000000, v11
	v_lshl_add_u32 v10, v10, 23, v12
	v_or3_b32 v10, v11, v10, v9
.LBB41_1944:
	s_or_b64 exec, exec, s[6:7]
	s_nop 0
	v_mfma_f32_16x16x4f32 a[0:3], v8, v10, a[0:3]
	s_movk_i32 s4, 0x7f
	v_cmp_gt_i16_sdwa s[6:7], v4, s4 src0_sel:BYTE_3 src1_sel:DWORD
	s_mov_b64 s[4:5], 0
                                        ; implicit-def: $sgpr10
	s_and_saveexec_b64 s[8:9], s[6:7]
	s_xor_b64 s[6:7], exec, s[8:9]
	s_cbranch_execnz .LBB41_3993
; %bb.1945:
	s_or_saveexec_b64 s[6:7], s[6:7]
	v_mov_b32_e32 v8, s10
	s_xor_b64 exec, exec, s[6:7]
	s_cbranch_execnz .LBB41_3996
.LBB41_1946:
	s_or_b64 exec, exec, s[6:7]
	s_and_saveexec_b64 s[6:7], s[4:5]
	s_cbranch_execz .LBB41_1948
.LBB41_1947:
	v_bfe_u32 v8, v4, 24, 3
	v_ffbh_u32_e32 v12, v8
	v_min_u32_e32 v12, 32, v12
	v_lshrrev_b32_e32 v10, 27, v4
	v_subrev_u32_e32 v13, 28, v12
	v_and_b32_e32 v9, 0x80000000, v4
	v_and_b32_e32 v10, 15, v10
	v_bfe_u32 v11, v4, 27, 4
	v_lshlrev_b32_sdwa v4, v13, v4 dst_sel:DWORD dst_unused:UNUSED_PAD src0_sel:DWORD src1_sel:BYTE_3
	v_sub_u32_e32 v12, 29, v12
	v_and_b32_e32 v4, 7, v4
	v_cmp_eq_u16_e32 vcc, 0, v10
	v_cndmask_b32_e32 v4, v8, v4, vcc
	v_cndmask_b32_e32 v8, v11, v12, vcc
	v_mov_b32_e32 v10, 0x3b800000
	v_lshlrev_b32_e32 v4, 20, v4
	v_lshl_add_u32 v8, v8, 23, v10
	v_or3_b32 v8, v9, v8, v4
.LBB41_1948:
	s_or_b64 exec, exec, s[6:7]
	s_movk_i32 s4, 0x7f
	v_cmp_gt_i16_sdwa s[6:7], v0, s4 src0_sel:BYTE_3 src1_sel:DWORD
	s_mov_b64 s[4:5], 0
                                        ; implicit-def: $sgpr10
	s_and_saveexec_b64 s[8:9], s[6:7]
	s_xor_b64 s[6:7], exec, s[8:9]
	s_cbranch_execnz .LBB41_3997
; %bb.1949:
	s_or_saveexec_b64 s[6:7], s[6:7]
	v_mov_b32_e32 v4, s10
	s_xor_b64 exec, exec, s[6:7]
	s_cbranch_execnz .LBB41_4000
.LBB41_1950:
	s_or_b64 exec, exec, s[6:7]
	s_and_saveexec_b64 s[6:7], s[4:5]
	s_cbranch_execz .LBB41_1952
.LBB41_1951:
	v_bfe_u32 v4, v0, 24, 3
	v_ffbh_u32_e32 v12, v4
	v_min_u32_e32 v12, 32, v12
	v_lshrrev_b32_e32 v10, 27, v0
	v_subrev_u32_e32 v13, 28, v12
	v_and_b32_e32 v9, 0x80000000, v0
	v_and_b32_e32 v10, 15, v10
	v_bfe_u32 v11, v0, 27, 4
	v_lshlrev_b32_sdwa v0, v13, v0 dst_sel:DWORD dst_unused:UNUSED_PAD src0_sel:DWORD src1_sel:BYTE_3
	v_sub_u32_e32 v12, 29, v12
	v_and_b32_e32 v0, 7, v0
	v_cmp_eq_u16_e32 vcc, 0, v10
	v_cndmask_b32_e32 v0, v4, v0, vcc
	v_cndmask_b32_e32 v4, v11, v12, vcc
	v_mov_b32_e32 v10, 0x3b800000
	v_lshlrev_b32_e32 v0, 20, v0
	v_lshl_add_u32 v4, v4, 23, v10
	v_or3_b32 v4, v9, v4, v0
.LBB41_1952:
	s_or_b64 exec, exec, s[6:7]
	s_nop 0
	v_mfma_f32_16x16x4f32 a[0:3], v8, v4, a[0:3]
	s_movk_i32 s4, 0x7f
	v_cmp_gt_i16_sdwa s[6:7], v5, s4 src0_sel:BYTE_0 src1_sel:DWORD
	s_mov_b64 s[4:5], 0
                                        ; implicit-def: $sgpr10
	s_and_saveexec_b64 s[8:9], s[6:7]
	s_xor_b64 s[6:7], exec, s[8:9]
	s_cbranch_execnz .LBB41_4001
; %bb.1953:
	s_or_saveexec_b64 s[6:7], s[6:7]
	v_mov_b32_e32 v0, s10
	s_xor_b64 exec, exec, s[6:7]
	s_cbranch_execnz .LBB41_4004
.LBB41_1954:
	s_or_b64 exec, exec, s[6:7]
	s_and_saveexec_b64 s[6:7], s[4:5]
	s_cbranch_execz .LBB41_1956
.LBB41_1955:
	v_and_b32_e32 v0, 7, v5
	v_ffbh_u32_e32 v8, v0
	v_min_u32_e32 v8, 32, v8
	v_lshrrev_b16_e32 v4, 3, v5
	v_subrev_u32_e32 v9, 28, v8
	v_and_b32_e32 v4, 15, v4
	v_lshlrev_b32_e32 v9, v9, v5
	v_sub_u32_e32 v8, 29, v8
	v_and_b32_e32 v9, 7, v9
	v_cmp_eq_u16_e32 vcc, 0, v4
	v_cndmask_b32_e32 v0, v0, v9, vcc
	v_cndmask_b32_e32 v4, v4, v8, vcc
	v_lshlrev_b32_e32 v8, 24, v5
	v_mov_b32_e32 v9, 0x3b800000
	v_lshlrev_b32_e32 v0, 20, v0
	v_and_b32_e32 v8, 0x80000000, v8
	v_lshl_add_u32 v4, v4, 23, v9
	v_or3_b32 v0, v8, v4, v0
.LBB41_1956:
	s_or_b64 exec, exec, s[6:7]
	s_movk_i32 s4, 0x7f
	v_cmp_gt_i16_sdwa s[6:7], v1, s4 src0_sel:BYTE_0 src1_sel:DWORD
	s_mov_b64 s[4:5], 0
                                        ; implicit-def: $sgpr10
	s_and_saveexec_b64 s[8:9], s[6:7]
	s_xor_b64 s[6:7], exec, s[8:9]
	s_cbranch_execnz .LBB41_4005
; %bb.1957:
	s_or_saveexec_b64 s[6:7], s[6:7]
	v_mov_b32_e32 v4, s10
	s_xor_b64 exec, exec, s[6:7]
	s_cbranch_execnz .LBB41_4008
.LBB41_1958:
	s_or_b64 exec, exec, s[6:7]
	s_and_saveexec_b64 s[6:7], s[4:5]
	s_cbranch_execz .LBB41_1960
.LBB41_1959:
	v_and_b32_e32 v4, 7, v1
	v_ffbh_u32_e32 v9, v4
	v_min_u32_e32 v9, 32, v9
	v_lshrrev_b16_e32 v8, 3, v1
	v_subrev_u32_e32 v10, 28, v9
	v_and_b32_e32 v8, 15, v8
	v_lshlrev_b32_e32 v10, v10, v1
	v_sub_u32_e32 v9, 29, v9
	v_and_b32_e32 v10, 7, v10
	v_cmp_eq_u16_e32 vcc, 0, v8
	v_cndmask_b32_e32 v4, v4, v10, vcc
	v_cndmask_b32_e32 v8, v8, v9, vcc
	v_lshlrev_b32_e32 v9, 24, v1
	v_mov_b32_e32 v10, 0x3b800000
	v_lshlrev_b32_e32 v4, 20, v4
	v_and_b32_e32 v9, 0x80000000, v9
	v_lshl_add_u32 v8, v8, 23, v10
	v_or3_b32 v4, v9, v8, v4
.LBB41_1960:
	s_or_b64 exec, exec, s[6:7]
	s_nop 0
	v_mfma_f32_16x16x4f32 a[0:3], v0, v4, a[0:3]
	v_lshrrev_b32_e32 v4, 8, v5
	s_movk_i32 s4, 0x7f
	v_cmp_gt_i16_sdwa s[6:7], v4, s4 src0_sel:BYTE_0 src1_sel:DWORD
	s_mov_b64 s[4:5], 0
                                        ; implicit-def: $sgpr10
	s_and_saveexec_b64 s[8:9], s[6:7]
	s_xor_b64 s[6:7], exec, s[8:9]
	s_cbranch_execnz .LBB41_4009
; %bb.1961:
	s_or_saveexec_b64 s[6:7], s[6:7]
	v_mov_b32_e32 v0, s10
	s_xor_b64 exec, exec, s[6:7]
	s_cbranch_execnz .LBB41_4012
.LBB41_1962:
	s_or_b64 exec, exec, s[6:7]
	s_and_saveexec_b64 s[6:7], s[4:5]
	s_cbranch_execz .LBB41_1964
.LBB41_1963:
	v_bfe_u32 v0, v5, 8, 3
	v_ffbh_u32_e32 v9, v0
	v_min_u32_e32 v9, 32, v9
	v_lshrrev_b16_e32 v8, 3, v4
	v_subrev_u32_e32 v10, 28, v9
	v_and_b32_e32 v8, 15, v8
	v_lshlrev_b32_e32 v4, v10, v4
	v_sub_u32_e32 v9, 29, v9
	v_and_b32_e32 v4, 7, v4
	v_cmp_eq_u16_e32 vcc, 0, v8
	v_cndmask_b32_e32 v0, v0, v4, vcc
	v_cndmask_b32_e32 v4, v8, v9, vcc
	v_lshlrev_b32_e32 v8, 16, v5
	v_mov_b32_e32 v9, 0x3b800000
	v_lshlrev_b32_e32 v0, 20, v0
	v_and_b32_e32 v8, 0x80000000, v8
	v_lshl_add_u32 v4, v4, 23, v9
	v_or3_b32 v0, v8, v4, v0
.LBB41_1964:
	s_or_b64 exec, exec, s[6:7]
	v_lshrrev_b32_e32 v4, 8, v1
	s_movk_i32 s4, 0x7f
	v_cmp_gt_i16_sdwa s[6:7], v4, s4 src0_sel:BYTE_0 src1_sel:DWORD
	s_mov_b64 s[4:5], 0
                                        ; implicit-def: $sgpr10
	s_and_saveexec_b64 s[8:9], s[6:7]
	s_xor_b64 s[6:7], exec, s[8:9]
	s_cbranch_execnz .LBB41_4013
; %bb.1965:
	s_or_saveexec_b64 s[6:7], s[6:7]
	v_mov_b32_e32 v8, s10
	s_xor_b64 exec, exec, s[6:7]
	s_cbranch_execnz .LBB41_4016
.LBB41_1966:
	s_or_b64 exec, exec, s[6:7]
	s_and_saveexec_b64 s[6:7], s[4:5]
	s_cbranch_execz .LBB41_1968
.LBB41_1967:
	v_bfe_u32 v8, v1, 8, 3
	v_ffbh_u32_e32 v10, v8
	v_min_u32_e32 v10, 32, v10
	v_lshrrev_b16_e32 v9, 3, v4
	v_subrev_u32_e32 v11, 28, v10
	v_and_b32_e32 v9, 15, v9
	v_lshlrev_b32_e32 v4, v11, v4
	v_sub_u32_e32 v10, 29, v10
	v_and_b32_e32 v4, 7, v4
	v_cmp_eq_u16_e32 vcc, 0, v9
	v_cndmask_b32_e32 v4, v8, v4, vcc
	v_cndmask_b32_e32 v8, v9, v10, vcc
	v_lshlrev_b32_e32 v9, 16, v1
	v_mov_b32_e32 v10, 0x3b800000
	v_lshlrev_b32_e32 v4, 20, v4
	v_and_b32_e32 v9, 0x80000000, v9
	v_lshl_add_u32 v8, v8, 23, v10
	v_or3_b32 v8, v9, v8, v4
.LBB41_1968:
	s_or_b64 exec, exec, s[6:7]
	s_nop 0
	v_mfma_f32_16x16x4f32 a[0:3], v0, v8, a[0:3]
	s_movk_i32 s4, 0xff
	v_and_b32_sdwa v4, v5, s4 dst_sel:DWORD dst_unused:UNUSED_PAD src0_sel:WORD_1 src1_sel:DWORD
	s_movk_i32 s4, 0x7f
	v_cmp_lt_i16_e32 vcc, s4, v4
	s_mov_b64 s[4:5], 0
                                        ; implicit-def: $sgpr10
	s_and_saveexec_b64 s[6:7], vcc
	s_xor_b64 s[6:7], exec, s[6:7]
	s_cbranch_execnz .LBB41_4017
; %bb.1969:
	s_or_saveexec_b64 s[6:7], s[6:7]
	v_mov_b32_e32 v0, s10
	s_xor_b64 exec, exec, s[6:7]
	s_cbranch_execnz .LBB41_4020
.LBB41_1970:
	s_or_b64 exec, exec, s[6:7]
	s_and_saveexec_b64 s[6:7], s[4:5]
	s_cbranch_execz .LBB41_1972
.LBB41_1971:
	v_bfe_u32 v0, v5, 16, 3
	v_ffbh_u32_e32 v9, v0
	v_min_u32_e32 v9, 32, v9
	v_lshrrev_b32_e32 v4, 19, v5
	v_subrev_u32_e32 v10, 28, v9
	v_and_b32_e32 v4, 15, v4
	v_lshlrev_b32_sdwa v10, v10, v5 dst_sel:DWORD dst_unused:UNUSED_PAD src0_sel:DWORD src1_sel:WORD_1
	v_bfe_u32 v8, v5, 19, 4
	v_sub_u32_e32 v9, 29, v9
	v_and_b32_e32 v10, 7, v10
	v_cmp_eq_u16_e32 vcc, 0, v4
	v_cndmask_b32_e32 v0, v0, v10, vcc
	v_cndmask_b32_e32 v4, v8, v9, vcc
	v_lshlrev_b32_e32 v8, 8, v5
	v_mov_b32_e32 v9, 0x3b800000
	v_lshlrev_b32_e32 v0, 20, v0
	v_and_b32_e32 v8, 0x80000000, v8
	v_lshl_add_u32 v4, v4, 23, v9
	v_or3_b32 v0, v8, v4, v0
.LBB41_1972:
	s_or_b64 exec, exec, s[6:7]
	s_movk_i32 s4, 0xff
	v_and_b32_sdwa v4, v1, s4 dst_sel:DWORD dst_unused:UNUSED_PAD src0_sel:WORD_1 src1_sel:DWORD
	s_movk_i32 s4, 0x7f
	v_cmp_lt_i16_e32 vcc, s4, v4
	s_mov_b64 s[4:5], 0
                                        ; implicit-def: $sgpr10
	s_and_saveexec_b64 s[6:7], vcc
	s_xor_b64 s[6:7], exec, s[6:7]
	s_cbranch_execnz .LBB41_4021
; %bb.1973:
	s_or_saveexec_b64 s[6:7], s[6:7]
	v_mov_b32_e32 v8, s10
	s_xor_b64 exec, exec, s[6:7]
	s_cbranch_execnz .LBB41_4024
.LBB41_1974:
	s_or_b64 exec, exec, s[6:7]
	s_and_saveexec_b64 s[6:7], s[4:5]
	s_cbranch_execz .LBB41_1976
.LBB41_1975:
	v_bfe_u32 v4, v1, 16, 3
	v_ffbh_u32_e32 v10, v4
	v_min_u32_e32 v10, 32, v10
	v_lshrrev_b32_e32 v8, 19, v1
	v_subrev_u32_e32 v11, 28, v10
	v_and_b32_e32 v8, 15, v8
	v_lshlrev_b32_sdwa v11, v11, v1 dst_sel:DWORD dst_unused:UNUSED_PAD src0_sel:DWORD src1_sel:WORD_1
	v_bfe_u32 v9, v1, 19, 4
	v_sub_u32_e32 v10, 29, v10
	v_and_b32_e32 v11, 7, v11
	v_cmp_eq_u16_e32 vcc, 0, v8
	v_cndmask_b32_e32 v4, v4, v11, vcc
	v_cndmask_b32_e32 v8, v9, v10, vcc
	v_lshlrev_b32_e32 v9, 8, v1
	v_mov_b32_e32 v10, 0x3b800000
	v_lshlrev_b32_e32 v4, 20, v4
	v_and_b32_e32 v9, 0x80000000, v9
	v_lshl_add_u32 v8, v8, 23, v10
	v_or3_b32 v8, v9, v8, v4
.LBB41_1976:
	s_or_b64 exec, exec, s[6:7]
	s_nop 0
	v_mfma_f32_16x16x4f32 a[0:3], v0, v8, a[0:3]
	s_movk_i32 s4, 0x7f
	v_cmp_gt_i16_sdwa s[6:7], v5, s4 src0_sel:BYTE_3 src1_sel:DWORD
	s_mov_b64 s[4:5], 0
                                        ; implicit-def: $sgpr10
	s_and_saveexec_b64 s[8:9], s[6:7]
	s_xor_b64 s[6:7], exec, s[8:9]
	s_cbranch_execnz .LBB41_4025
; %bb.1977:
	s_or_saveexec_b64 s[6:7], s[6:7]
	v_mov_b32_e32 v0, s10
	s_xor_b64 exec, exec, s[6:7]
	s_cbranch_execnz .LBB41_4028
.LBB41_1978:
	s_or_b64 exec, exec, s[6:7]
	s_and_saveexec_b64 s[6:7], s[4:5]
	s_cbranch_execz .LBB41_1980
.LBB41_1979:
	v_bfe_u32 v0, v5, 24, 3
	v_ffbh_u32_e32 v10, v0
	v_min_u32_e32 v10, 32, v10
	v_lshrrev_b32_e32 v8, 27, v5
	v_subrev_u32_e32 v11, 28, v10
	v_and_b32_e32 v4, 0x80000000, v5
	v_and_b32_e32 v8, 15, v8
	v_bfe_u32 v9, v5, 27, 4
	v_lshlrev_b32_sdwa v5, v11, v5 dst_sel:DWORD dst_unused:UNUSED_PAD src0_sel:DWORD src1_sel:BYTE_3
	v_sub_u32_e32 v10, 29, v10
	v_and_b32_e32 v5, 7, v5
	v_cmp_eq_u16_e32 vcc, 0, v8
	v_cndmask_b32_e32 v0, v0, v5, vcc
	v_cndmask_b32_e32 v5, v9, v10, vcc
	v_mov_b32_e32 v8, 0x3b800000
	v_lshlrev_b32_e32 v0, 20, v0
	v_lshl_add_u32 v5, v5, 23, v8
	v_or3_b32 v0, v4, v5, v0
.LBB41_1980:
	s_or_b64 exec, exec, s[6:7]
	s_movk_i32 s4, 0x7f
	v_cmp_gt_i16_sdwa s[6:7], v1, s4 src0_sel:BYTE_3 src1_sel:DWORD
	s_mov_b64 s[4:5], 0
                                        ; implicit-def: $sgpr10
	s_and_saveexec_b64 s[8:9], s[6:7]
	s_xor_b64 s[6:7], exec, s[8:9]
	s_cbranch_execnz .LBB41_4029
; %bb.1981:
	s_or_saveexec_b64 s[6:7], s[6:7]
	v_mov_b32_e32 v4, s10
	s_xor_b64 exec, exec, s[6:7]
	s_cbranch_execnz .LBB41_4032
.LBB41_1982:
	s_or_b64 exec, exec, s[6:7]
	s_and_saveexec_b64 s[6:7], s[4:5]
	s_cbranch_execz .LBB41_1984
.LBB41_1983:
	v_bfe_u32 v4, v1, 24, 3
	v_ffbh_u32_e32 v10, v4
	v_min_u32_e32 v10, 32, v10
	v_lshrrev_b32_e32 v8, 27, v1
	v_subrev_u32_e32 v11, 28, v10
	v_and_b32_e32 v5, 0x80000000, v1
	v_and_b32_e32 v8, 15, v8
	v_bfe_u32 v9, v1, 27, 4
	v_lshlrev_b32_sdwa v1, v11, v1 dst_sel:DWORD dst_unused:UNUSED_PAD src0_sel:DWORD src1_sel:BYTE_3
	v_sub_u32_e32 v10, 29, v10
	v_and_b32_e32 v1, 7, v1
	v_cmp_eq_u16_e32 vcc, 0, v8
	v_cndmask_b32_e32 v1, v4, v1, vcc
	v_cndmask_b32_e32 v4, v9, v10, vcc
	v_mov_b32_e32 v8, 0x3b800000
	v_lshlrev_b32_e32 v1, 20, v1
	v_lshl_add_u32 v4, v4, 23, v8
	v_or3_b32 v4, v5, v4, v1
.LBB41_1984:
	s_or_b64 exec, exec, s[6:7]
	s_nop 0
	v_mfma_f32_16x16x4f32 a[0:3], v0, v4, a[0:3]
	s_movk_i32 s4, 0x7f
	v_cmp_gt_i16_sdwa s[6:7], v6, s4 src0_sel:BYTE_0 src1_sel:DWORD
	s_mov_b64 s[4:5], 0
                                        ; implicit-def: $sgpr10
	s_and_saveexec_b64 s[8:9], s[6:7]
	s_xor_b64 s[6:7], exec, s[8:9]
	s_cbranch_execnz .LBB41_4033
; %bb.1985:
	s_or_saveexec_b64 s[6:7], s[6:7]
	v_mov_b32_e32 v0, s10
	s_xor_b64 exec, exec, s[6:7]
	s_cbranch_execnz .LBB41_4036
.LBB41_1986:
	s_or_b64 exec, exec, s[6:7]
	s_and_saveexec_b64 s[6:7], s[4:5]
	s_cbranch_execz .LBB41_1988
.LBB41_1987:
	v_and_b32_e32 v0, 7, v6
	v_ffbh_u32_e32 v4, v0
	v_min_u32_e32 v4, 32, v4
	v_lshrrev_b16_e32 v1, 3, v6
	v_subrev_u32_e32 v5, 28, v4
	v_and_b32_e32 v1, 15, v1
	v_lshlrev_b32_e32 v5, v5, v6
	v_sub_u32_e32 v4, 29, v4
	v_and_b32_e32 v5, 7, v5
	v_cmp_eq_u16_e32 vcc, 0, v1
	v_cndmask_b32_e32 v0, v0, v5, vcc
	v_cndmask_b32_e32 v1, v1, v4, vcc
	v_lshlrev_b32_e32 v4, 24, v6
	v_mov_b32_e32 v5, 0x3b800000
	v_lshlrev_b32_e32 v0, 20, v0
	v_and_b32_e32 v4, 0x80000000, v4
	v_lshl_add_u32 v1, v1, 23, v5
	v_or3_b32 v0, v4, v1, v0
.LBB41_1988:
	s_or_b64 exec, exec, s[6:7]
	s_movk_i32 s4, 0x7f
	v_cmp_gt_i16_sdwa s[6:7], v2, s4 src0_sel:BYTE_0 src1_sel:DWORD
	s_mov_b64 s[4:5], 0
                                        ; implicit-def: $sgpr10
	s_and_saveexec_b64 s[8:9], s[6:7]
	s_xor_b64 s[6:7], exec, s[8:9]
	s_cbranch_execnz .LBB41_4037
; %bb.1989:
	s_or_saveexec_b64 s[6:7], s[6:7]
	v_mov_b32_e32 v1, s10
	s_xor_b64 exec, exec, s[6:7]
	s_cbranch_execnz .LBB41_4040
.LBB41_1990:
	s_or_b64 exec, exec, s[6:7]
	s_and_saveexec_b64 s[6:7], s[4:5]
	s_cbranch_execz .LBB41_1992
.LBB41_1991:
	v_and_b32_e32 v1, 7, v2
	v_ffbh_u32_e32 v5, v1
	v_min_u32_e32 v5, 32, v5
	v_lshrrev_b16_e32 v4, 3, v2
	v_subrev_u32_e32 v8, 28, v5
	v_and_b32_e32 v4, 15, v4
	v_lshlrev_b32_e32 v8, v8, v2
	v_sub_u32_e32 v5, 29, v5
	v_and_b32_e32 v8, 7, v8
	v_cmp_eq_u16_e32 vcc, 0, v4
	v_cndmask_b32_e32 v1, v1, v8, vcc
	v_cndmask_b32_e32 v4, v4, v5, vcc
	v_lshlrev_b32_e32 v5, 24, v2
	v_mov_b32_e32 v8, 0x3b800000
	v_lshlrev_b32_e32 v1, 20, v1
	v_and_b32_e32 v5, 0x80000000, v5
	v_lshl_add_u32 v4, v4, 23, v8
	v_or3_b32 v1, v5, v4, v1
.LBB41_1992:
	s_or_b64 exec, exec, s[6:7]
	s_nop 0
	v_mfma_f32_16x16x4f32 a[0:3], v0, v1, a[0:3]
	v_lshrrev_b32_e32 v1, 8, v6
	s_movk_i32 s4, 0x7f
	v_cmp_gt_i16_sdwa s[6:7], v1, s4 src0_sel:BYTE_0 src1_sel:DWORD
	s_mov_b64 s[4:5], 0
                                        ; implicit-def: $sgpr10
	s_and_saveexec_b64 s[8:9], s[6:7]
	s_xor_b64 s[6:7], exec, s[8:9]
	s_cbranch_execnz .LBB41_4041
; %bb.1993:
	s_or_saveexec_b64 s[6:7], s[6:7]
	v_mov_b32_e32 v0, s10
	s_xor_b64 exec, exec, s[6:7]
	s_cbranch_execnz .LBB41_4044
.LBB41_1994:
	s_or_b64 exec, exec, s[6:7]
	s_and_saveexec_b64 s[6:7], s[4:5]
	s_cbranch_execz .LBB41_1996
.LBB41_1995:
	v_bfe_u32 v0, v6, 8, 3
	v_ffbh_u32_e32 v5, v0
	v_min_u32_e32 v5, 32, v5
	v_lshrrev_b16_e32 v4, 3, v1
	v_subrev_u32_e32 v8, 28, v5
	v_and_b32_e32 v4, 15, v4
	v_lshlrev_b32_e32 v1, v8, v1
	v_sub_u32_e32 v5, 29, v5
	v_and_b32_e32 v1, 7, v1
	v_cmp_eq_u16_e32 vcc, 0, v4
	v_cndmask_b32_e32 v0, v0, v1, vcc
	v_cndmask_b32_e32 v1, v4, v5, vcc
	v_lshlrev_b32_e32 v4, 16, v6
	v_mov_b32_e32 v5, 0x3b800000
	v_lshlrev_b32_e32 v0, 20, v0
	v_and_b32_e32 v4, 0x80000000, v4
	v_lshl_add_u32 v1, v1, 23, v5
	v_or3_b32 v0, v4, v1, v0
.LBB41_1996:
	s_or_b64 exec, exec, s[6:7]
	v_lshrrev_b32_e32 v1, 8, v2
	s_movk_i32 s4, 0x7f
	v_cmp_gt_i16_sdwa s[6:7], v1, s4 src0_sel:BYTE_0 src1_sel:DWORD
	s_mov_b64 s[4:5], 0
                                        ; implicit-def: $sgpr10
	s_and_saveexec_b64 s[8:9], s[6:7]
	s_xor_b64 s[6:7], exec, s[8:9]
	s_cbranch_execnz .LBB41_4045
; %bb.1997:
	s_or_saveexec_b64 s[6:7], s[6:7]
	v_mov_b32_e32 v4, s10
	s_xor_b64 exec, exec, s[6:7]
	s_cbranch_execnz .LBB41_4048
.LBB41_1998:
	s_or_b64 exec, exec, s[6:7]
	s_and_saveexec_b64 s[6:7], s[4:5]
	s_cbranch_execz .LBB41_2000
.LBB41_1999:
	v_bfe_u32 v4, v2, 8, 3
	v_ffbh_u32_e32 v8, v4
	v_min_u32_e32 v8, 32, v8
	v_lshrrev_b16_e32 v5, 3, v1
	v_subrev_u32_e32 v9, 28, v8
	v_and_b32_e32 v5, 15, v5
	v_lshlrev_b32_e32 v1, v9, v1
	v_sub_u32_e32 v8, 29, v8
	v_and_b32_e32 v1, 7, v1
	v_cmp_eq_u16_e32 vcc, 0, v5
	v_cndmask_b32_e32 v1, v4, v1, vcc
	v_cndmask_b32_e32 v4, v5, v8, vcc
	v_lshlrev_b32_e32 v5, 16, v2
	v_mov_b32_e32 v8, 0x3b800000
	v_lshlrev_b32_e32 v1, 20, v1
	v_and_b32_e32 v5, 0x80000000, v5
	v_lshl_add_u32 v4, v4, 23, v8
	v_or3_b32 v4, v5, v4, v1
.LBB41_2000:
	s_or_b64 exec, exec, s[6:7]
	s_nop 0
	v_mfma_f32_16x16x4f32 a[0:3], v0, v4, a[0:3]
	s_movk_i32 s4, 0xff
	v_and_b32_sdwa v1, v6, s4 dst_sel:DWORD dst_unused:UNUSED_PAD src0_sel:WORD_1 src1_sel:DWORD
	s_movk_i32 s4, 0x7f
	v_cmp_lt_i16_e32 vcc, s4, v1
	s_mov_b64 s[4:5], 0
                                        ; implicit-def: $sgpr10
	s_and_saveexec_b64 s[6:7], vcc
	s_xor_b64 s[6:7], exec, s[6:7]
	s_cbranch_execnz .LBB41_4049
; %bb.2001:
	s_or_saveexec_b64 s[6:7], s[6:7]
	v_mov_b32_e32 v0, s10
	s_xor_b64 exec, exec, s[6:7]
	s_cbranch_execnz .LBB41_4052
.LBB41_2002:
	s_or_b64 exec, exec, s[6:7]
	s_and_saveexec_b64 s[6:7], s[4:5]
	s_cbranch_execz .LBB41_2004
.LBB41_2003:
	v_bfe_u32 v0, v6, 16, 3
	v_ffbh_u32_e32 v5, v0
	v_min_u32_e32 v5, 32, v5
	v_lshrrev_b32_e32 v1, 19, v6
	v_subrev_u32_e32 v8, 28, v5
	v_and_b32_e32 v1, 15, v1
	v_lshlrev_b32_sdwa v8, v8, v6 dst_sel:DWORD dst_unused:UNUSED_PAD src0_sel:DWORD src1_sel:WORD_1
	v_bfe_u32 v4, v6, 19, 4
	v_sub_u32_e32 v5, 29, v5
	v_and_b32_e32 v8, 7, v8
	v_cmp_eq_u16_e32 vcc, 0, v1
	v_cndmask_b32_e32 v0, v0, v8, vcc
	v_cndmask_b32_e32 v1, v4, v5, vcc
	v_lshlrev_b32_e32 v4, 8, v6
	v_mov_b32_e32 v5, 0x3b800000
	v_lshlrev_b32_e32 v0, 20, v0
	v_and_b32_e32 v4, 0x80000000, v4
	v_lshl_add_u32 v1, v1, 23, v5
	v_or3_b32 v0, v4, v1, v0
.LBB41_2004:
	s_or_b64 exec, exec, s[6:7]
	s_movk_i32 s4, 0xff
	v_and_b32_sdwa v1, v2, s4 dst_sel:DWORD dst_unused:UNUSED_PAD src0_sel:WORD_1 src1_sel:DWORD
	s_movk_i32 s4, 0x7f
	v_cmp_lt_i16_e32 vcc, s4, v1
	s_mov_b64 s[4:5], 0
                                        ; implicit-def: $sgpr10
	s_and_saveexec_b64 s[6:7], vcc
	s_xor_b64 s[6:7], exec, s[6:7]
	s_cbranch_execnz .LBB41_4053
; %bb.2005:
	s_or_saveexec_b64 s[6:7], s[6:7]
	v_mov_b32_e32 v4, s10
	s_xor_b64 exec, exec, s[6:7]
	s_cbranch_execnz .LBB41_4056
.LBB41_2006:
	s_or_b64 exec, exec, s[6:7]
	s_and_saveexec_b64 s[6:7], s[4:5]
	s_cbranch_execz .LBB41_2008
.LBB41_2007:
	v_bfe_u32 v1, v2, 16, 3
	v_ffbh_u32_e32 v8, v1
	v_min_u32_e32 v8, 32, v8
	v_lshrrev_b32_e32 v4, 19, v2
	v_subrev_u32_e32 v9, 28, v8
	v_and_b32_e32 v4, 15, v4
	v_lshlrev_b32_sdwa v9, v9, v2 dst_sel:DWORD dst_unused:UNUSED_PAD src0_sel:DWORD src1_sel:WORD_1
	v_bfe_u32 v5, v2, 19, 4
	v_sub_u32_e32 v8, 29, v8
	v_and_b32_e32 v9, 7, v9
	v_cmp_eq_u16_e32 vcc, 0, v4
	v_cndmask_b32_e32 v1, v1, v9, vcc
	v_cndmask_b32_e32 v4, v5, v8, vcc
	v_lshlrev_b32_e32 v5, 8, v2
	v_mov_b32_e32 v8, 0x3b800000
	v_lshlrev_b32_e32 v1, 20, v1
	v_and_b32_e32 v5, 0x80000000, v5
	v_lshl_add_u32 v4, v4, 23, v8
	v_or3_b32 v4, v5, v4, v1
.LBB41_2008:
	s_or_b64 exec, exec, s[6:7]
	s_nop 0
	v_mfma_f32_16x16x4f32 a[0:3], v0, v4, a[0:3]
	s_movk_i32 s4, 0x7f
	v_cmp_gt_i16_sdwa s[6:7], v6, s4 src0_sel:BYTE_3 src1_sel:DWORD
	s_mov_b64 s[4:5], 0
                                        ; implicit-def: $sgpr10
	s_and_saveexec_b64 s[8:9], s[6:7]
	s_xor_b64 s[6:7], exec, s[8:9]
	s_cbranch_execnz .LBB41_4057
; %bb.2009:
	s_or_saveexec_b64 s[6:7], s[6:7]
	v_mov_b32_e32 v0, s10
	s_xor_b64 exec, exec, s[6:7]
	s_cbranch_execnz .LBB41_4060
.LBB41_2010:
	s_or_b64 exec, exec, s[6:7]
	s_and_saveexec_b64 s[6:7], s[4:5]
	s_cbranch_execz .LBB41_2012
.LBB41_2011:
	v_bfe_u32 v0, v6, 24, 3
	v_ffbh_u32_e32 v8, v0
	v_min_u32_e32 v8, 32, v8
	v_lshrrev_b32_e32 v4, 27, v6
	v_subrev_u32_e32 v9, 28, v8
	v_and_b32_e32 v1, 0x80000000, v6
	v_and_b32_e32 v4, 15, v4
	v_bfe_u32 v5, v6, 27, 4
	v_lshlrev_b32_sdwa v6, v9, v6 dst_sel:DWORD dst_unused:UNUSED_PAD src0_sel:DWORD src1_sel:BYTE_3
	v_sub_u32_e32 v8, 29, v8
	v_and_b32_e32 v6, 7, v6
	v_cmp_eq_u16_e32 vcc, 0, v4
	v_cndmask_b32_e32 v0, v0, v6, vcc
	v_cndmask_b32_e32 v4, v5, v8, vcc
	v_mov_b32_e32 v5, 0x3b800000
	v_lshlrev_b32_e32 v0, 20, v0
	v_lshl_add_u32 v4, v4, 23, v5
	v_or3_b32 v0, v1, v4, v0
.LBB41_2012:
	s_or_b64 exec, exec, s[6:7]
	s_movk_i32 s4, 0x7f
	v_cmp_gt_i16_sdwa s[6:7], v2, s4 src0_sel:BYTE_3 src1_sel:DWORD
	s_mov_b64 s[4:5], 0
                                        ; implicit-def: $sgpr10
	s_and_saveexec_b64 s[8:9], s[6:7]
	s_xor_b64 s[6:7], exec, s[8:9]
	s_cbranch_execnz .LBB41_4061
; %bb.2013:
	s_or_saveexec_b64 s[6:7], s[6:7]
	v_mov_b32_e32 v1, s10
	s_xor_b64 exec, exec, s[6:7]
	s_cbranch_execnz .LBB41_4064
.LBB41_2014:
	s_or_b64 exec, exec, s[6:7]
	s_and_saveexec_b64 s[6:7], s[4:5]
	s_cbranch_execz .LBB41_2016
.LBB41_2015:
	v_bfe_u32 v1, v2, 24, 3
	v_ffbh_u32_e32 v8, v1
	v_min_u32_e32 v8, 32, v8
	v_lshrrev_b32_e32 v5, 27, v2
	v_subrev_u32_e32 v9, 28, v8
	v_and_b32_e32 v4, 0x80000000, v2
	v_and_b32_e32 v5, 15, v5
	v_bfe_u32 v6, v2, 27, 4
	v_lshlrev_b32_sdwa v2, v9, v2 dst_sel:DWORD dst_unused:UNUSED_PAD src0_sel:DWORD src1_sel:BYTE_3
	v_sub_u32_e32 v8, 29, v8
	v_and_b32_e32 v2, 7, v2
	v_cmp_eq_u16_e32 vcc, 0, v5
	v_cndmask_b32_e32 v1, v1, v2, vcc
	v_cndmask_b32_e32 v2, v6, v8, vcc
	v_mov_b32_e32 v5, 0x3b800000
	v_lshlrev_b32_e32 v1, 20, v1
	v_lshl_add_u32 v2, v2, 23, v5
	v_or3_b32 v1, v4, v2, v1
.LBB41_2016:
	s_or_b64 exec, exec, s[6:7]
	s_nop 0
	v_mfma_f32_16x16x4f32 a[0:3], v0, v1, a[0:3]
	s_movk_i32 s4, 0x7f
	v_cmp_gt_i16_sdwa s[6:7], v7, s4 src0_sel:BYTE_0 src1_sel:DWORD
	s_mov_b64 s[4:5], 0
                                        ; implicit-def: $sgpr10
	s_and_saveexec_b64 s[8:9], s[6:7]
	s_xor_b64 s[6:7], exec, s[8:9]
	s_cbranch_execnz .LBB41_4065
; %bb.2017:
	s_or_saveexec_b64 s[6:7], s[6:7]
	v_mov_b32_e32 v0, s10
	s_xor_b64 exec, exec, s[6:7]
	s_cbranch_execnz .LBB41_4068
.LBB41_2018:
	s_or_b64 exec, exec, s[6:7]
	s_and_saveexec_b64 s[6:7], s[4:5]
	s_cbranch_execz .LBB41_2020
.LBB41_2019:
	v_mov_b32_e32 v0, 8
	v_and_b32_e32 v1, 7, v7
	v_lshrrev_b32_sdwa v0, v0, v7 dst_sel:BYTE_1 dst_unused:UNUSED_PAD src0_sel:DWORD src1_sel:DWORD
	v_ffbh_u32_e32 v2, v1
	v_or_b32_sdwa v0, v7, v0 dst_sel:DWORD dst_unused:UNUSED_PAD src0_sel:BYTE_0 src1_sel:DWORD
	v_min_u32_e32 v2, 32, v2
	v_lshrrev_b16_e32 v0, 3, v0
	v_subrev_u32_e32 v4, 28, v2
	v_and_b32_e32 v0, 15, v0
	v_lshlrev_b32_e32 v4, v4, v7
	v_sub_u32_e32 v2, 29, v2
	v_and_b32_e32 v4, 7, v4
	v_cmp_eq_u16_e32 vcc, 0, v0
	v_cndmask_b32_e32 v1, v1, v4, vcc
	v_cndmask_b32_e32 v0, v0, v2, vcc
	v_lshlrev_b32_e32 v2, 24, v7
	v_mov_b32_e32 v4, 0x3b800000
	v_lshlrev_b32_e32 v1, 20, v1
	v_and_b32_e32 v2, 0x80000000, v2
	v_lshl_add_u32 v0, v0, 23, v4
	v_or3_b32 v0, v2, v0, v1
.LBB41_2020:
	s_or_b64 exec, exec, s[6:7]
	s_movk_i32 s4, 0x7f
	v_cmp_gt_i16_sdwa s[6:7], v3, s4 src0_sel:BYTE_0 src1_sel:DWORD
	s_mov_b64 s[4:5], 0
                                        ; implicit-def: $sgpr10
	s_and_saveexec_b64 s[8:9], s[6:7]
	s_xor_b64 s[6:7], exec, s[8:9]
	s_cbranch_execnz .LBB41_4069
; %bb.2021:
	s_or_saveexec_b64 s[6:7], s[6:7]
	v_mov_b32_e32 v1, s10
	s_xor_b64 exec, exec, s[6:7]
	s_cbranch_execnz .LBB41_4072
.LBB41_2022:
	s_or_b64 exec, exec, s[6:7]
	s_and_saveexec_b64 s[6:7], s[4:5]
	s_cbranch_execz .LBB41_2024
.LBB41_2023:
	v_mov_b32_e32 v1, 8
	v_and_b32_e32 v2, 7, v3
	v_lshrrev_b32_sdwa v1, v1, v3 dst_sel:BYTE_1 dst_unused:UNUSED_PAD src0_sel:DWORD src1_sel:DWORD
	v_ffbh_u32_e32 v4, v2
	v_or_b32_sdwa v1, v3, v1 dst_sel:DWORD dst_unused:UNUSED_PAD src0_sel:BYTE_0 src1_sel:DWORD
	v_min_u32_e32 v4, 32, v4
	v_lshrrev_b16_e32 v1, 3, v1
	v_subrev_u32_e32 v5, 28, v4
	v_and_b32_e32 v1, 15, v1
	v_lshlrev_b32_e32 v5, v5, v3
	v_sub_u32_e32 v4, 29, v4
	v_and_b32_e32 v5, 7, v5
	v_cmp_eq_u16_e32 vcc, 0, v1
	v_cndmask_b32_e32 v2, v2, v5, vcc
	v_cndmask_b32_e32 v1, v1, v4, vcc
	v_lshlrev_b32_e32 v4, 24, v3
	v_mov_b32_e32 v5, 0x3b800000
	v_lshlrev_b32_e32 v2, 20, v2
	v_and_b32_e32 v4, 0x80000000, v4
	v_lshl_add_u32 v1, v1, 23, v5
	v_or3_b32 v1, v4, v1, v2
.LBB41_2024:
	s_or_b64 exec, exec, s[6:7]
	s_nop 0
	v_mfma_f32_16x16x4f32 a[0:3], v0, v1, a[0:3]
	v_lshrrev_b32_e32 v1, 8, v7
	s_movk_i32 s4, 0x7f
	v_cmp_gt_i16_sdwa s[6:7], v1, s4 src0_sel:BYTE_0 src1_sel:DWORD
	s_mov_b64 s[4:5], 0
                                        ; implicit-def: $sgpr10
	s_and_saveexec_b64 s[8:9], s[6:7]
	s_xor_b64 s[6:7], exec, s[8:9]
	s_cbranch_execnz .LBB41_4073
; %bb.2025:
	s_or_saveexec_b64 s[6:7], s[6:7]
	v_mov_b32_e32 v0, s10
	s_xor_b64 exec, exec, s[6:7]
	s_cbranch_execnz .LBB41_4076
.LBB41_2026:
	s_or_b64 exec, exec, s[6:7]
	s_and_saveexec_b64 s[6:7], s[4:5]
	s_cbranch_execz .LBB41_2028
.LBB41_2027:
	v_bfe_u32 v0, v7, 8, 3
	v_ffbh_u32_e32 v4, v0
	v_min_u32_e32 v4, 32, v4
	v_lshrrev_b16_e32 v2, 3, v1
	v_subrev_u32_e32 v5, 28, v4
	v_and_b32_e32 v2, 15, v2
	v_lshlrev_b32_e32 v1, v5, v1
	v_sub_u32_e32 v4, 29, v4
	v_and_b32_e32 v1, 7, v1
	v_cmp_eq_u16_e32 vcc, 0, v2
	v_cndmask_b32_e32 v0, v0, v1, vcc
	v_cndmask_b32_e32 v1, v2, v4, vcc
	v_lshlrev_b32_e32 v2, 16, v7
	v_mov_b32_e32 v4, 0x3b800000
	v_lshlrev_b32_e32 v0, 20, v0
	v_and_b32_e32 v2, 0x80000000, v2
	v_lshl_add_u32 v1, v1, 23, v4
	v_or3_b32 v0, v2, v1, v0
.LBB41_2028:
	s_or_b64 exec, exec, s[6:7]
	v_lshrrev_b32_e32 v1, 8, v3
	s_movk_i32 s4, 0x7f
	v_cmp_gt_i16_sdwa s[6:7], v1, s4 src0_sel:BYTE_0 src1_sel:DWORD
	s_mov_b64 s[4:5], 0
                                        ; implicit-def: $sgpr10
	s_and_saveexec_b64 s[8:9], s[6:7]
	s_xor_b64 s[6:7], exec, s[8:9]
	s_cbranch_execnz .LBB41_4077
; %bb.2029:
	s_or_saveexec_b64 s[6:7], s[6:7]
	v_mov_b32_e32 v2, s10
	s_xor_b64 exec, exec, s[6:7]
	s_cbranch_execnz .LBB41_4080
.LBB41_2030:
	s_or_b64 exec, exec, s[6:7]
	s_and_saveexec_b64 s[6:7], s[4:5]
	s_cbranch_execz .LBB41_2032
.LBB41_2031:
	v_bfe_u32 v2, v3, 8, 3
	v_ffbh_u32_e32 v5, v2
	v_min_u32_e32 v5, 32, v5
	v_lshrrev_b16_e32 v4, 3, v1
	v_subrev_u32_e32 v6, 28, v5
	v_and_b32_e32 v4, 15, v4
	v_lshlrev_b32_e32 v1, v6, v1
	v_sub_u32_e32 v5, 29, v5
	v_and_b32_e32 v1, 7, v1
	v_cmp_eq_u16_e32 vcc, 0, v4
	v_cndmask_b32_e32 v1, v2, v1, vcc
	v_cndmask_b32_e32 v2, v4, v5, vcc
	v_lshlrev_b32_e32 v4, 16, v3
	v_mov_b32_e32 v5, 0x3b800000
	v_lshlrev_b32_e32 v1, 20, v1
	v_and_b32_e32 v4, 0x80000000, v4
	v_lshl_add_u32 v2, v2, 23, v5
	v_or3_b32 v2, v4, v2, v1
.LBB41_2032:
	s_or_b64 exec, exec, s[6:7]
	s_nop 0
	v_mfma_f32_16x16x4f32 a[0:3], v0, v2, a[0:3]
	s_movk_i32 s4, 0xff
	v_and_b32_sdwa v1, v7, s4 dst_sel:DWORD dst_unused:UNUSED_PAD src0_sel:WORD_1 src1_sel:DWORD
	s_movk_i32 s4, 0x7f
	v_cmp_lt_i16_e32 vcc, s4, v1
	s_mov_b64 s[4:5], 0
                                        ; implicit-def: $sgpr10
	s_and_saveexec_b64 s[6:7], vcc
	s_xor_b64 s[6:7], exec, s[6:7]
	s_cbranch_execnz .LBB41_4081
; %bb.2033:
	s_or_saveexec_b64 s[6:7], s[6:7]
	v_mov_b32_e32 v0, s10
	s_xor_b64 exec, exec, s[6:7]
	s_cbranch_execnz .LBB41_4084
.LBB41_2034:
	s_or_b64 exec, exec, s[6:7]
	s_and_saveexec_b64 s[6:7], s[4:5]
	s_cbranch_execz .LBB41_2036
.LBB41_2035:
	v_bfe_u32 v0, v7, 16, 3
	v_ffbh_u32_e32 v4, v0
	v_min_u32_e32 v4, 32, v4
	v_lshrrev_b32_e32 v1, 19, v7
	v_subrev_u32_e32 v5, 28, v4
	v_and_b32_e32 v1, 15, v1
	v_lshlrev_b32_sdwa v5, v5, v7 dst_sel:DWORD dst_unused:UNUSED_PAD src0_sel:DWORD src1_sel:WORD_1
	v_bfe_u32 v2, v7, 19, 4
	v_sub_u32_e32 v4, 29, v4
	v_and_b32_e32 v5, 7, v5
	v_cmp_eq_u16_e32 vcc, 0, v1
	v_cndmask_b32_e32 v0, v0, v5, vcc
	v_cndmask_b32_e32 v1, v2, v4, vcc
	v_lshlrev_b32_e32 v2, 8, v7
	v_mov_b32_e32 v4, 0x3b800000
	v_lshlrev_b32_e32 v0, 20, v0
	v_and_b32_e32 v2, 0x80000000, v2
	v_lshl_add_u32 v1, v1, 23, v4
	v_or3_b32 v0, v2, v1, v0
.LBB41_2036:
	s_or_b64 exec, exec, s[6:7]
	s_movk_i32 s4, 0xff
	v_and_b32_sdwa v1, v3, s4 dst_sel:DWORD dst_unused:UNUSED_PAD src0_sel:WORD_1 src1_sel:DWORD
	s_movk_i32 s4, 0x7f
	v_cmp_lt_i16_e32 vcc, s4, v1
	s_mov_b64 s[4:5], 0
                                        ; implicit-def: $sgpr10
	s_and_saveexec_b64 s[6:7], vcc
	s_xor_b64 s[6:7], exec, s[6:7]
	s_cbranch_execnz .LBB41_4085
; %bb.2037:
	s_or_saveexec_b64 s[6:7], s[6:7]
	v_mov_b32_e32 v2, s10
	s_xor_b64 exec, exec, s[6:7]
	s_cbranch_execnz .LBB41_4088
.LBB41_2038:
	s_or_b64 exec, exec, s[6:7]
	s_and_saveexec_b64 s[6:7], s[4:5]
	s_cbranch_execz .LBB41_2040
.LBB41_2039:
	v_bfe_u32 v1, v3, 16, 3
	v_ffbh_u32_e32 v5, v1
	v_min_u32_e32 v5, 32, v5
	v_lshrrev_b32_e32 v2, 19, v3
	v_subrev_u32_e32 v6, 28, v5
	v_and_b32_e32 v2, 15, v2
	v_lshlrev_b32_sdwa v6, v6, v3 dst_sel:DWORD dst_unused:UNUSED_PAD src0_sel:DWORD src1_sel:WORD_1
	v_bfe_u32 v4, v3, 19, 4
	v_sub_u32_e32 v5, 29, v5
	v_and_b32_e32 v6, 7, v6
	v_cmp_eq_u16_e32 vcc, 0, v2
	v_cndmask_b32_e32 v1, v1, v6, vcc
	v_cndmask_b32_e32 v2, v4, v5, vcc
	v_lshlrev_b32_e32 v4, 8, v3
	v_mov_b32_e32 v5, 0x3b800000
	v_lshlrev_b32_e32 v1, 20, v1
	v_and_b32_e32 v4, 0x80000000, v4
	v_lshl_add_u32 v2, v2, 23, v5
	v_or3_b32 v2, v4, v2, v1
.LBB41_2040:
	s_or_b64 exec, exec, s[6:7]
	s_nop 0
	v_mfma_f32_16x16x4f32 a[0:3], v0, v2, a[0:3]
	s_movk_i32 s4, 0x7f
	v_cmp_gt_i16_sdwa s[6:7], v7, s4 src0_sel:BYTE_3 src1_sel:DWORD
	s_mov_b64 s[4:5], 0
                                        ; implicit-def: $sgpr10
	s_and_saveexec_b64 s[8:9], s[6:7]
	s_xor_b64 s[6:7], exec, s[8:9]
	s_cbranch_execnz .LBB41_4089
; %bb.2041:
	s_or_saveexec_b64 s[6:7], s[6:7]
	v_mov_b32_e32 v0, s10
	s_xor_b64 exec, exec, s[6:7]
	s_cbranch_execnz .LBB41_4092
.LBB41_2042:
	s_or_b64 exec, exec, s[6:7]
	s_and_saveexec_b64 s[6:7], s[4:5]
	s_cbranch_execz .LBB41_2044
.LBB41_2043:
	v_bfe_u32 v0, v7, 24, 3
	v_ffbh_u32_e32 v5, v0
	v_min_u32_e32 v5, 32, v5
	v_lshrrev_b32_e32 v2, 27, v7
	v_subrev_u32_e32 v6, 28, v5
	v_and_b32_e32 v2, 15, v2
	v_lshlrev_b32_sdwa v6, v6, v7 dst_sel:DWORD dst_unused:UNUSED_PAD src0_sel:DWORD src1_sel:BYTE_3
	v_bfe_u32 v4, v7, 27, 4
	v_sub_u32_e32 v5, 29, v5
	v_and_b32_e32 v6, 7, v6
	v_cmp_eq_u16_e32 vcc, 0, v2
	v_cndmask_b32_e32 v0, v0, v6, vcc
	v_cndmask_b32_e32 v2, v4, v5, vcc
	v_mov_b32_e32 v4, 0x3b800000
	v_and_b32_e32 v1, 0x80000000, v7
	v_lshlrev_b32_e32 v0, 20, v0
	v_lshl_add_u32 v2, v2, 23, v4
	v_or3_b32 v0, v1, v2, v0
.LBB41_2044:
	s_or_b64 exec, exec, s[6:7]
	s_movk_i32 s4, 0x7f
	v_cmp_gt_i16_sdwa s[6:7], v3, s4 src0_sel:BYTE_3 src1_sel:DWORD
	s_mov_b64 s[4:5], 0
                                        ; implicit-def: $sgpr10
	s_and_saveexec_b64 s[8:9], s[6:7]
	s_xor_b64 s[6:7], exec, s[8:9]
	s_cbranch_execnz .LBB41_4093
; %bb.2045:
	s_or_saveexec_b64 s[6:7], s[6:7]
	v_mov_b32_e32 v1, s10
	s_xor_b64 exec, exec, s[6:7]
	s_cbranch_execnz .LBB41_4096
.LBB41_2046:
	s_or_b64 exec, exec, s[6:7]
	s_and_saveexec_b64 s[6:7], s[4:5]
	s_cbranch_execz .LBB41_2048
.LBB41_2047:
	v_bfe_u32 v1, v3, 24, 3
	v_ffbh_u32_e32 v6, v1
	v_min_u32_e32 v6, 32, v6
	v_lshrrev_b32_e32 v4, 27, v3
	v_subrev_u32_e32 v7, 28, v6
	v_and_b32_e32 v2, 0x80000000, v3
	v_and_b32_e32 v4, 15, v4
	v_bfe_u32 v5, v3, 27, 4
	v_lshlrev_b32_sdwa v3, v7, v3 dst_sel:DWORD dst_unused:UNUSED_PAD src0_sel:DWORD src1_sel:BYTE_3
	v_sub_u32_e32 v6, 29, v6
	v_and_b32_e32 v3, 7, v3
	v_cmp_eq_u16_e32 vcc, 0, v4
	v_cndmask_b32_e32 v1, v1, v3, vcc
	v_cndmask_b32_e32 v3, v5, v6, vcc
	v_mov_b32_e32 v4, 0x3b800000
	v_lshlrev_b32_e32 v1, 20, v1
	v_lshl_add_u32 v3, v3, 23, v4
	v_or3_b32 v1, v2, v3, v1
.LBB41_2048:
	s_or_b64 exec, exec, s[6:7]
	s_nop 0
	v_mfma_f32_16x16x4f32 a[0:3], v0, v1, a[0:3]
	s_nop 7
	s_nop 2
	flat_store_dwordx4 v[16:17], a[0:3] offset:752
	s_waitcnt vmcnt(0) lgkmcnt(0)
	s_setpc_b64 s[30:31]
.LBB41_2049:
	s_movk_i32 s4, 0x80
	v_cmp_eq_u16_sdwa s[12:13], v14, s4 src0_sel:BYTE_0 src1_sel:DWORD
	s_mov_b64 s[4:5], -1
                                        ; implicit-def: $sgpr10
	s_and_saveexec_b64 s[8:9], s[12:13]
; %bb.2050:
	s_mov_b32 s10, 0x7f800001
	s_xor_b64 s[4:5], exec, -1
; %bb.2051:
	s_or_b64 exec, exec, s[8:9]
	s_and_b64 s[4:5], s[4:5], exec
	s_or_saveexec_b64 s[6:7], s[6:7]
	v_mov_b32_e32 v20, s10
	s_xor_b64 exec, exec, s[6:7]
	s_cbranch_execz .LBB41_2
.LBB41_2052:
	v_mov_b32_e32 v20, 0
	v_cmp_ne_u16_sdwa s[8:9], v14, v20 src0_sel:BYTE_0 src1_sel:DWORD
	s_andn2_b64 s[4:5], s[4:5], exec
	s_and_b64 s[8:9], s[8:9], exec
	s_or_b64 s[4:5], s[4:5], s[8:9]
	s_or_b64 exec, exec, s[6:7]
	s_and_saveexec_b64 s[6:7], s[4:5]
	s_cbranch_execnz .LBB41_3
	s_branch .LBB41_4
.LBB41_2053:
	s_movk_i32 s4, 0x80
	v_cmp_eq_u16_sdwa s[12:13], v10, s4 src0_sel:BYTE_0 src1_sel:DWORD
	s_mov_b64 s[4:5], -1
                                        ; implicit-def: $sgpr10
	s_and_saveexec_b64 s[8:9], s[12:13]
; %bb.2054:
	s_mov_b32 s10, 0x7f800001
	s_xor_b64 s[4:5], exec, -1
; %bb.2055:
	s_or_b64 exec, exec, s[8:9]
	s_and_b64 s[4:5], s[4:5], exec
	s_or_saveexec_b64 s[6:7], s[6:7]
	v_mov_b32_e32 v21, s10
	s_xor_b64 exec, exec, s[6:7]
	s_cbranch_execz .LBB41_6
.LBB41_2056:
	v_mov_b32_e32 v21, 0
	v_cmp_ne_u16_sdwa s[8:9], v10, v21 src0_sel:BYTE_0 src1_sel:DWORD
	s_andn2_b64 s[4:5], s[4:5], exec
	s_and_b64 s[8:9], s[8:9], exec
	s_or_b64 s[4:5], s[4:5], s[8:9]
	s_or_b64 exec, exec, s[6:7]
	s_and_saveexec_b64 s[6:7], s[4:5]
	s_cbranch_execnz .LBB41_7
	s_branch .LBB41_8
.LBB41_2057:
	s_movk_i32 s4, 0x80
	v_cmp_eq_u16_sdwa s[12:13], v21, s4 src0_sel:BYTE_0 src1_sel:DWORD
	s_mov_b64 s[4:5], -1
                                        ; implicit-def: $sgpr10
	s_and_saveexec_b64 s[8:9], s[12:13]
; %bb.2058:
	s_mov_b32 s10, 0x7f800001
	s_xor_b64 s[4:5], exec, -1
; %bb.2059:
	s_or_b64 exec, exec, s[8:9]
	s_and_b64 s[4:5], s[4:5], exec
	s_or_saveexec_b64 s[6:7], s[6:7]
	v_mov_b32_e32 v20, s10
	s_xor_b64 exec, exec, s[6:7]
	s_cbranch_execz .LBB41_10
.LBB41_2060:
	v_mov_b32_e32 v20, 0
	v_cmp_ne_u16_sdwa s[8:9], v21, v20 src0_sel:BYTE_0 src1_sel:DWORD
	s_andn2_b64 s[4:5], s[4:5], exec
	s_and_b64 s[8:9], s[8:9], exec
	s_or_b64 s[4:5], s[4:5], s[8:9]
	s_or_b64 exec, exec, s[6:7]
	s_and_saveexec_b64 s[6:7], s[4:5]
	s_cbranch_execnz .LBB41_11
	s_branch .LBB41_12
.LBB41_2061:
	s_movk_i32 s4, 0x80
	v_cmp_eq_u16_sdwa s[12:13], v21, s4 src0_sel:BYTE_0 src1_sel:DWORD
	s_mov_b64 s[4:5], -1
                                        ; implicit-def: $sgpr10
	s_and_saveexec_b64 s[8:9], s[12:13]
; %bb.2062:
	s_mov_b32 s10, 0x7f800001
	s_xor_b64 s[4:5], exec, -1
; %bb.2063:
	s_or_b64 exec, exec, s[8:9]
	s_and_b64 s[4:5], s[4:5], exec
	s_or_saveexec_b64 s[6:7], s[6:7]
	v_mov_b32_e32 v22, s10
	s_xor_b64 exec, exec, s[6:7]
	s_cbranch_execz .LBB41_14
.LBB41_2064:
	v_mov_b32_e32 v22, 0
	v_cmp_ne_u16_sdwa s[8:9], v21, v22 src0_sel:BYTE_0 src1_sel:DWORD
	s_andn2_b64 s[4:5], s[4:5], exec
	s_and_b64 s[8:9], s[8:9], exec
	s_or_b64 s[4:5], s[4:5], s[8:9]
	s_or_b64 exec, exec, s[6:7]
	s_and_saveexec_b64 s[6:7], s[4:5]
	s_cbranch_execnz .LBB41_15
	s_branch .LBB41_16
.LBB41_2065:
	s_movk_i32 s4, 0x80
	v_cmp_eq_u16_e32 vcc, s4, v21
	s_mov_b64 s[4:5], -1
                                        ; implicit-def: $sgpr10
	s_and_saveexec_b64 s[8:9], vcc
; %bb.2066:
	s_mov_b32 s10, 0x7f800001
	s_xor_b64 s[4:5], exec, -1
; %bb.2067:
	s_or_b64 exec, exec, s[8:9]
	s_and_b64 s[4:5], s[4:5], exec
                                        ; implicit-def: $vgpr21
	s_or_saveexec_b64 s[6:7], s[6:7]
	v_mov_b32_e32 v20, s10
	s_xor_b64 exec, exec, s[6:7]
	s_cbranch_execz .LBB41_18
.LBB41_2068:
	v_cmp_ne_u16_e32 vcc, 0, v21
	s_andn2_b64 s[4:5], s[4:5], exec
	s_and_b64 s[8:9], vcc, exec
	v_mov_b32_e32 v20, 0
	s_or_b64 s[4:5], s[4:5], s[8:9]
	s_or_b64 exec, exec, s[6:7]
	s_and_saveexec_b64 s[6:7], s[4:5]
	s_cbranch_execnz .LBB41_19
	s_branch .LBB41_20
.LBB41_2069:
	s_movk_i32 s4, 0x80
	v_cmp_eq_u16_e32 vcc, s4, v21
	s_mov_b64 s[4:5], -1
                                        ; implicit-def: $sgpr10
	s_and_saveexec_b64 s[8:9], vcc
; %bb.2070:
	s_mov_b32 s10, 0x7f800001
	s_xor_b64 s[4:5], exec, -1
; %bb.2071:
	s_or_b64 exec, exec, s[8:9]
	s_and_b64 s[4:5], s[4:5], exec
                                        ; implicit-def: $vgpr21
	s_or_saveexec_b64 s[6:7], s[6:7]
	v_mov_b32_e32 v22, s10
	s_xor_b64 exec, exec, s[6:7]
	s_cbranch_execz .LBB41_22
.LBB41_2072:
	v_cmp_ne_u16_e32 vcc, 0, v21
	s_andn2_b64 s[4:5], s[4:5], exec
	s_and_b64 s[8:9], vcc, exec
	v_mov_b32_e32 v22, 0
	s_or_b64 s[4:5], s[4:5], s[8:9]
	s_or_b64 exec, exec, s[6:7]
	s_and_saveexec_b64 s[6:7], s[4:5]
	s_cbranch_execnz .LBB41_23
	s_branch .LBB41_24
.LBB41_2073:
	s_movk_i32 s4, 0x80
	v_cmp_eq_u16_sdwa s[12:13], v14, s4 src0_sel:BYTE_3 src1_sel:DWORD
	s_mov_b64 s[4:5], -1
                                        ; implicit-def: $sgpr10
	s_and_saveexec_b64 s[8:9], s[12:13]
; %bb.2074:
	s_mov_b32 s10, 0x7f800001
	s_xor_b64 s[4:5], exec, -1
; %bb.2075:
	s_or_b64 exec, exec, s[8:9]
	s_and_b64 s[4:5], s[4:5], exec
	s_or_saveexec_b64 s[6:7], s[6:7]
	v_mov_b32_e32 v20, s10
	s_xor_b64 exec, exec, s[6:7]
	s_cbranch_execz .LBB41_26
.LBB41_2076:
	v_mov_b32_e32 v20, 0
	v_cmp_ne_u16_sdwa s[8:9], v14, v20 src0_sel:BYTE_3 src1_sel:DWORD
	s_andn2_b64 s[4:5], s[4:5], exec
	s_and_b64 s[8:9], s[8:9], exec
	s_or_b64 s[4:5], s[4:5], s[8:9]
	s_or_b64 exec, exec, s[6:7]
	s_and_saveexec_b64 s[6:7], s[4:5]
	s_cbranch_execnz .LBB41_27
	s_branch .LBB41_28
.LBB41_2077:
	s_movk_i32 s4, 0x80
	v_cmp_eq_u16_sdwa s[12:13], v10, s4 src0_sel:BYTE_3 src1_sel:DWORD
	s_mov_b64 s[4:5], -1
                                        ; implicit-def: $sgpr10
	s_and_saveexec_b64 s[8:9], s[12:13]
; %bb.2078:
	s_mov_b32 s10, 0x7f800001
	s_xor_b64 s[4:5], exec, -1
; %bb.2079:
	s_or_b64 exec, exec, s[8:9]
	s_and_b64 s[4:5], s[4:5], exec
	s_or_saveexec_b64 s[6:7], s[6:7]
	v_mov_b32_e32 v14, s10
	s_xor_b64 exec, exec, s[6:7]
	s_cbranch_execz .LBB41_30
.LBB41_2080:
	v_mov_b32_e32 v14, 0
	v_cmp_ne_u16_sdwa s[8:9], v10, v14 src0_sel:BYTE_3 src1_sel:DWORD
	s_andn2_b64 s[4:5], s[4:5], exec
	s_and_b64 s[8:9], s[8:9], exec
	s_or_b64 s[4:5], s[4:5], s[8:9]
	s_or_b64 exec, exec, s[6:7]
	s_and_saveexec_b64 s[6:7], s[4:5]
	s_cbranch_execnz .LBB41_31
	s_branch .LBB41_32
.LBB41_2081:
	s_movk_i32 s4, 0x80
	v_cmp_eq_u16_sdwa s[12:13], v15, s4 src0_sel:BYTE_0 src1_sel:DWORD
	s_mov_b64 s[4:5], -1
                                        ; implicit-def: $sgpr10
	s_and_saveexec_b64 s[8:9], s[12:13]
; %bb.2082:
	s_mov_b32 s10, 0x7f800001
	s_xor_b64 s[4:5], exec, -1
; %bb.2083:
	s_or_b64 exec, exec, s[8:9]
	s_and_b64 s[4:5], s[4:5], exec
	s_or_saveexec_b64 s[6:7], s[6:7]
	v_mov_b32_e32 v10, s10
	s_xor_b64 exec, exec, s[6:7]
	s_cbranch_execz .LBB41_34
.LBB41_2084:
	v_mov_b32_e32 v10, 0
	v_cmp_ne_u16_sdwa s[8:9], v15, v10 src0_sel:BYTE_0 src1_sel:DWORD
	s_andn2_b64 s[4:5], s[4:5], exec
	s_and_b64 s[8:9], s[8:9], exec
	s_or_b64 s[4:5], s[4:5], s[8:9]
	s_or_b64 exec, exec, s[6:7]
	s_and_saveexec_b64 s[6:7], s[4:5]
	s_cbranch_execnz .LBB41_35
	s_branch .LBB41_36
.LBB41_2085:
	s_movk_i32 s4, 0x80
	v_cmp_eq_u16_sdwa s[12:13], v11, s4 src0_sel:BYTE_0 src1_sel:DWORD
	s_mov_b64 s[4:5], -1
                                        ; implicit-def: $sgpr10
	s_and_saveexec_b64 s[8:9], s[12:13]
; %bb.2086:
	s_mov_b32 s10, 0x7f800001
	s_xor_b64 s[4:5], exec, -1
; %bb.2087:
	s_or_b64 exec, exec, s[8:9]
	s_and_b64 s[4:5], s[4:5], exec
	s_or_saveexec_b64 s[6:7], s[6:7]
	v_mov_b32_e32 v14, s10
	s_xor_b64 exec, exec, s[6:7]
	s_cbranch_execz .LBB41_38
.LBB41_2088:
	v_mov_b32_e32 v14, 0
	v_cmp_ne_u16_sdwa s[8:9], v11, v14 src0_sel:BYTE_0 src1_sel:DWORD
	s_andn2_b64 s[4:5], s[4:5], exec
	s_and_b64 s[8:9], s[8:9], exec
	s_or_b64 s[4:5], s[4:5], s[8:9]
	s_or_b64 exec, exec, s[6:7]
	s_and_saveexec_b64 s[6:7], s[4:5]
	s_cbranch_execnz .LBB41_39
	s_branch .LBB41_40
.LBB41_2089:
	s_movk_i32 s4, 0x80
	v_cmp_eq_u16_sdwa s[12:13], v14, s4 src0_sel:BYTE_0 src1_sel:DWORD
	s_mov_b64 s[4:5], -1
                                        ; implicit-def: $sgpr10
	s_and_saveexec_b64 s[8:9], s[12:13]
; %bb.2090:
	s_mov_b32 s10, 0x7f800001
	s_xor_b64 s[4:5], exec, -1
; %bb.2091:
	s_or_b64 exec, exec, s[8:9]
	s_and_b64 s[4:5], s[4:5], exec
	s_or_saveexec_b64 s[6:7], s[6:7]
	v_mov_b32_e32 v10, s10
	s_xor_b64 exec, exec, s[6:7]
	s_cbranch_execz .LBB41_42
.LBB41_2092:
	v_mov_b32_e32 v10, 0
	v_cmp_ne_u16_sdwa s[8:9], v14, v10 src0_sel:BYTE_0 src1_sel:DWORD
	s_andn2_b64 s[4:5], s[4:5], exec
	s_and_b64 s[8:9], s[8:9], exec
	s_or_b64 s[4:5], s[4:5], s[8:9]
	s_or_b64 exec, exec, s[6:7]
	s_and_saveexec_b64 s[6:7], s[4:5]
	s_cbranch_execnz .LBB41_43
	s_branch .LBB41_44
.LBB41_2093:
	s_movk_i32 s4, 0x80
	v_cmp_eq_u16_sdwa s[12:13], v14, s4 src0_sel:BYTE_0 src1_sel:DWORD
	s_mov_b64 s[4:5], -1
                                        ; implicit-def: $sgpr10
	s_and_saveexec_b64 s[8:9], s[12:13]
; %bb.2094:
	s_mov_b32 s10, 0x7f800001
	s_xor_b64 s[4:5], exec, -1
; %bb.2095:
	s_or_b64 exec, exec, s[8:9]
	s_and_b64 s[4:5], s[4:5], exec
	s_or_saveexec_b64 s[6:7], s[6:7]
	v_mov_b32_e32 v20, s10
	s_xor_b64 exec, exec, s[6:7]
	s_cbranch_execz .LBB41_46
.LBB41_2096:
	v_mov_b32_e32 v20, 0
	v_cmp_ne_u16_sdwa s[8:9], v14, v20 src0_sel:BYTE_0 src1_sel:DWORD
	s_andn2_b64 s[4:5], s[4:5], exec
	s_and_b64 s[8:9], s[8:9], exec
	s_or_b64 s[4:5], s[4:5], s[8:9]
	s_or_b64 exec, exec, s[6:7]
	s_and_saveexec_b64 s[6:7], s[4:5]
	s_cbranch_execnz .LBB41_47
	s_branch .LBB41_48
.LBB41_2097:
	s_movk_i32 s4, 0x80
	v_cmp_eq_u16_e32 vcc, s4, v14
	s_mov_b64 s[4:5], -1
                                        ; implicit-def: $sgpr10
	s_and_saveexec_b64 s[8:9], vcc
; %bb.2098:
	s_mov_b32 s10, 0x7f800001
	s_xor_b64 s[4:5], exec, -1
; %bb.2099:
	s_or_b64 exec, exec, s[8:9]
	s_and_b64 s[4:5], s[4:5], exec
                                        ; implicit-def: $vgpr14
	s_or_saveexec_b64 s[6:7], s[6:7]
	v_mov_b32_e32 v10, s10
	s_xor_b64 exec, exec, s[6:7]
	s_cbranch_execz .LBB41_50
.LBB41_2100:
	v_cmp_ne_u16_e32 vcc, 0, v14
	s_andn2_b64 s[4:5], s[4:5], exec
	s_and_b64 s[8:9], vcc, exec
	v_mov_b32_e32 v10, 0
	s_or_b64 s[4:5], s[4:5], s[8:9]
	s_or_b64 exec, exec, s[6:7]
	s_and_saveexec_b64 s[6:7], s[4:5]
	s_cbranch_execnz .LBB41_51
	s_branch .LBB41_52
.LBB41_2101:
	s_movk_i32 s4, 0x80
	v_cmp_eq_u16_e32 vcc, s4, v14
	s_mov_b64 s[4:5], -1
                                        ; implicit-def: $sgpr10
	s_and_saveexec_b64 s[8:9], vcc
; %bb.2102:
	s_mov_b32 s10, 0x7f800001
	s_xor_b64 s[4:5], exec, -1
; %bb.2103:
	s_or_b64 exec, exec, s[8:9]
	s_and_b64 s[4:5], s[4:5], exec
                                        ; implicit-def: $vgpr14
	s_or_saveexec_b64 s[6:7], s[6:7]
	v_mov_b32_e32 v20, s10
	s_xor_b64 exec, exec, s[6:7]
	s_cbranch_execz .LBB41_54
.LBB41_2104:
	v_cmp_ne_u16_e32 vcc, 0, v14
	s_andn2_b64 s[4:5], s[4:5], exec
	s_and_b64 s[8:9], vcc, exec
	v_mov_b32_e32 v20, 0
	s_or_b64 s[4:5], s[4:5], s[8:9]
	s_or_b64 exec, exec, s[6:7]
	s_and_saveexec_b64 s[6:7], s[4:5]
	s_cbranch_execnz .LBB41_55
	s_branch .LBB41_56
.LBB41_2105:
	s_movk_i32 s4, 0x80
	v_cmp_eq_u16_sdwa s[12:13], v15, s4 src0_sel:BYTE_3 src1_sel:DWORD
	s_mov_b64 s[4:5], -1
                                        ; implicit-def: $sgpr10
	s_and_saveexec_b64 s[8:9], s[12:13]
; %bb.2106:
	s_mov_b32 s10, 0x7f800001
	s_xor_b64 s[4:5], exec, -1
; %bb.2107:
	s_or_b64 exec, exec, s[8:9]
	s_and_b64 s[4:5], s[4:5], exec
	s_or_saveexec_b64 s[6:7], s[6:7]
	v_mov_b32_e32 v10, s10
	s_xor_b64 exec, exec, s[6:7]
	s_cbranch_execz .LBB41_58
.LBB41_2108:
	v_mov_b32_e32 v10, 0
	v_cmp_ne_u16_sdwa s[8:9], v15, v10 src0_sel:BYTE_3 src1_sel:DWORD
	s_andn2_b64 s[4:5], s[4:5], exec
	s_and_b64 s[8:9], s[8:9], exec
	s_or_b64 s[4:5], s[4:5], s[8:9]
	s_or_b64 exec, exec, s[6:7]
	s_and_saveexec_b64 s[6:7], s[4:5]
	s_cbranch_execnz .LBB41_59
	s_branch .LBB41_60
.LBB41_2109:
	s_movk_i32 s4, 0x80
	v_cmp_eq_u16_sdwa s[12:13], v11, s4 src0_sel:BYTE_3 src1_sel:DWORD
	s_mov_b64 s[4:5], -1
                                        ; implicit-def: $sgpr10
	s_and_saveexec_b64 s[8:9], s[12:13]
; %bb.2110:
	s_mov_b32 s10, 0x7f800001
	s_xor_b64 s[4:5], exec, -1
; %bb.2111:
	s_or_b64 exec, exec, s[8:9]
	s_and_b64 s[4:5], s[4:5], exec
	s_or_saveexec_b64 s[6:7], s[6:7]
	v_mov_b32_e32 v14, s10
	s_xor_b64 exec, exec, s[6:7]
	s_cbranch_execz .LBB41_62
.LBB41_2112:
	v_mov_b32_e32 v14, 0
	v_cmp_ne_u16_sdwa s[8:9], v11, v14 src0_sel:BYTE_3 src1_sel:DWORD
	s_andn2_b64 s[4:5], s[4:5], exec
	s_and_b64 s[8:9], s[8:9], exec
	s_or_b64 s[4:5], s[4:5], s[8:9]
	s_or_b64 exec, exec, s[6:7]
	s_and_saveexec_b64 s[6:7], s[4:5]
	s_cbranch_execnz .LBB41_63
	s_branch .LBB41_64
.LBB41_2113:
	s_movk_i32 s4, 0x80
	v_cmp_eq_u16_sdwa s[12:13], v16, s4 src0_sel:BYTE_0 src1_sel:DWORD
	s_mov_b64 s[4:5], -1
                                        ; implicit-def: $sgpr10
	s_and_saveexec_b64 s[8:9], s[12:13]
; %bb.2114:
	s_mov_b32 s10, 0x7f800001
	s_xor_b64 s[4:5], exec, -1
; %bb.2115:
	s_or_b64 exec, exec, s[8:9]
	s_and_b64 s[4:5], s[4:5], exec
	s_or_saveexec_b64 s[6:7], s[6:7]
	v_mov_b32_e32 v10, s10
	s_xor_b64 exec, exec, s[6:7]
	s_cbranch_execz .LBB41_66
.LBB41_2116:
	v_mov_b32_e32 v10, 0
	v_cmp_ne_u16_sdwa s[8:9], v16, v10 src0_sel:BYTE_0 src1_sel:DWORD
	s_andn2_b64 s[4:5], s[4:5], exec
	s_and_b64 s[8:9], s[8:9], exec
	s_or_b64 s[4:5], s[4:5], s[8:9]
	s_or_b64 exec, exec, s[6:7]
	s_and_saveexec_b64 s[6:7], s[4:5]
	s_cbranch_execnz .LBB41_67
	s_branch .LBB41_68
.LBB41_2117:
	s_movk_i32 s4, 0x80
	v_cmp_eq_u16_sdwa s[12:13], v12, s4 src0_sel:BYTE_0 src1_sel:DWORD
	s_mov_b64 s[4:5], -1
                                        ; implicit-def: $sgpr10
	s_and_saveexec_b64 s[8:9], s[12:13]
; %bb.2118:
	s_mov_b32 s10, 0x7f800001
	s_xor_b64 s[4:5], exec, -1
; %bb.2119:
	s_or_b64 exec, exec, s[8:9]
	s_and_b64 s[4:5], s[4:5], exec
	s_or_saveexec_b64 s[6:7], s[6:7]
	v_mov_b32_e32 v11, s10
	s_xor_b64 exec, exec, s[6:7]
	s_cbranch_execz .LBB41_70
.LBB41_2120:
	v_mov_b32_e32 v11, 0
	v_cmp_ne_u16_sdwa s[8:9], v12, v11 src0_sel:BYTE_0 src1_sel:DWORD
	s_andn2_b64 s[4:5], s[4:5], exec
	s_and_b64 s[8:9], s[8:9], exec
	s_or_b64 s[4:5], s[4:5], s[8:9]
	s_or_b64 exec, exec, s[6:7]
	s_and_saveexec_b64 s[6:7], s[4:5]
	s_cbranch_execnz .LBB41_71
	s_branch .LBB41_72
.LBB41_2121:
	s_movk_i32 s4, 0x80
	v_cmp_eq_u16_sdwa s[12:13], v11, s4 src0_sel:BYTE_0 src1_sel:DWORD
	s_mov_b64 s[4:5], -1
                                        ; implicit-def: $sgpr10
	s_and_saveexec_b64 s[8:9], s[12:13]
; %bb.2122:
	s_mov_b32 s10, 0x7f800001
	s_xor_b64 s[4:5], exec, -1
; %bb.2123:
	s_or_b64 exec, exec, s[8:9]
	s_and_b64 s[4:5], s[4:5], exec
	s_or_saveexec_b64 s[6:7], s[6:7]
	v_mov_b32_e32 v10, s10
	s_xor_b64 exec, exec, s[6:7]
	s_cbranch_execz .LBB41_74
.LBB41_2124:
	v_mov_b32_e32 v10, 0
	v_cmp_ne_u16_sdwa s[8:9], v11, v10 src0_sel:BYTE_0 src1_sel:DWORD
	s_andn2_b64 s[4:5], s[4:5], exec
	s_and_b64 s[8:9], s[8:9], exec
	s_or_b64 s[4:5], s[4:5], s[8:9]
	s_or_b64 exec, exec, s[6:7]
	s_and_saveexec_b64 s[6:7], s[4:5]
	s_cbranch_execnz .LBB41_75
	s_branch .LBB41_76
.LBB41_2125:
	s_movk_i32 s4, 0x80
	v_cmp_eq_u16_sdwa s[12:13], v11, s4 src0_sel:BYTE_0 src1_sel:DWORD
	s_mov_b64 s[4:5], -1
                                        ; implicit-def: $sgpr10
	s_and_saveexec_b64 s[8:9], s[12:13]
; %bb.2126:
	s_mov_b32 s10, 0x7f800001
	s_xor_b64 s[4:5], exec, -1
; %bb.2127:
	s_or_b64 exec, exec, s[8:9]
	s_and_b64 s[4:5], s[4:5], exec
	s_or_saveexec_b64 s[6:7], s[6:7]
	v_mov_b32_e32 v14, s10
	s_xor_b64 exec, exec, s[6:7]
	s_cbranch_execz .LBB41_78
.LBB41_2128:
	v_mov_b32_e32 v14, 0
	v_cmp_ne_u16_sdwa s[8:9], v11, v14 src0_sel:BYTE_0 src1_sel:DWORD
	s_andn2_b64 s[4:5], s[4:5], exec
	s_and_b64 s[8:9], s[8:9], exec
	s_or_b64 s[4:5], s[4:5], s[8:9]
	s_or_b64 exec, exec, s[6:7]
	s_and_saveexec_b64 s[6:7], s[4:5]
	s_cbranch_execnz .LBB41_79
	s_branch .LBB41_80
.LBB41_2129:
	s_movk_i32 s4, 0x80
	v_cmp_eq_u16_e32 vcc, s4, v11
	s_mov_b64 s[4:5], -1
                                        ; implicit-def: $sgpr10
	s_and_saveexec_b64 s[8:9], vcc
; %bb.2130:
	s_mov_b32 s10, 0x7f800001
	s_xor_b64 s[4:5], exec, -1
; %bb.2131:
	s_or_b64 exec, exec, s[8:9]
	s_and_b64 s[4:5], s[4:5], exec
                                        ; implicit-def: $vgpr11
	s_or_saveexec_b64 s[6:7], s[6:7]
	v_mov_b32_e32 v10, s10
	s_xor_b64 exec, exec, s[6:7]
	s_cbranch_execz .LBB41_82
.LBB41_2132:
	v_cmp_ne_u16_e32 vcc, 0, v11
	s_andn2_b64 s[4:5], s[4:5], exec
	s_and_b64 s[8:9], vcc, exec
	v_mov_b32_e32 v10, 0
	s_or_b64 s[4:5], s[4:5], s[8:9]
	s_or_b64 exec, exec, s[6:7]
	s_and_saveexec_b64 s[6:7], s[4:5]
	s_cbranch_execnz .LBB41_83
	s_branch .LBB41_84
.LBB41_2133:
	s_movk_i32 s4, 0x80
	v_cmp_eq_u16_e32 vcc, s4, v11
	s_mov_b64 s[4:5], -1
                                        ; implicit-def: $sgpr10
	s_and_saveexec_b64 s[8:9], vcc
; %bb.2134:
	s_mov_b32 s10, 0x7f800001
	s_xor_b64 s[4:5], exec, -1
; %bb.2135:
	s_or_b64 exec, exec, s[8:9]
	s_and_b64 s[4:5], s[4:5], exec
                                        ; implicit-def: $vgpr11
	s_or_saveexec_b64 s[6:7], s[6:7]
	v_mov_b32_e32 v14, s10
	s_xor_b64 exec, exec, s[6:7]
	s_cbranch_execz .LBB41_86
.LBB41_2136:
	v_cmp_ne_u16_e32 vcc, 0, v11
	s_andn2_b64 s[4:5], s[4:5], exec
	s_and_b64 s[8:9], vcc, exec
	v_mov_b32_e32 v14, 0
	s_or_b64 s[4:5], s[4:5], s[8:9]
	s_or_b64 exec, exec, s[6:7]
	s_and_saveexec_b64 s[6:7], s[4:5]
	s_cbranch_execnz .LBB41_87
	s_branch .LBB41_88
.LBB41_2137:
	s_movk_i32 s4, 0x80
	v_cmp_eq_u16_sdwa s[12:13], v16, s4 src0_sel:BYTE_3 src1_sel:DWORD
	s_mov_b64 s[4:5], -1
                                        ; implicit-def: $sgpr10
	s_and_saveexec_b64 s[8:9], s[12:13]
; %bb.2138:
	s_mov_b32 s10, 0x7f800001
	s_xor_b64 s[4:5], exec, -1
; %bb.2139:
	s_or_b64 exec, exec, s[8:9]
	s_and_b64 s[4:5], s[4:5], exec
	s_or_saveexec_b64 s[6:7], s[6:7]
	v_mov_b32_e32 v10, s10
	s_xor_b64 exec, exec, s[6:7]
	s_cbranch_execz .LBB41_90
.LBB41_2140:
	v_mov_b32_e32 v10, 0
	v_cmp_ne_u16_sdwa s[8:9], v16, v10 src0_sel:BYTE_3 src1_sel:DWORD
	s_andn2_b64 s[4:5], s[4:5], exec
	s_and_b64 s[8:9], s[8:9], exec
	s_or_b64 s[4:5], s[4:5], s[8:9]
	s_or_b64 exec, exec, s[6:7]
	s_and_saveexec_b64 s[6:7], s[4:5]
	s_cbranch_execnz .LBB41_91
	s_branch .LBB41_92
.LBB41_2141:
	s_movk_i32 s4, 0x80
	v_cmp_eq_u16_sdwa s[12:13], v12, s4 src0_sel:BYTE_3 src1_sel:DWORD
	s_mov_b64 s[4:5], -1
                                        ; implicit-def: $sgpr10
	s_and_saveexec_b64 s[8:9], s[12:13]
; %bb.2142:
	s_mov_b32 s10, 0x7f800001
	s_xor_b64 s[4:5], exec, -1
; %bb.2143:
	s_or_b64 exec, exec, s[8:9]
	s_and_b64 s[4:5], s[4:5], exec
	s_or_saveexec_b64 s[6:7], s[6:7]
	v_mov_b32_e32 v11, s10
	s_xor_b64 exec, exec, s[6:7]
	s_cbranch_execz .LBB41_94
.LBB41_2144:
	v_mov_b32_e32 v11, 0
	v_cmp_ne_u16_sdwa s[8:9], v12, v11 src0_sel:BYTE_3 src1_sel:DWORD
	s_andn2_b64 s[4:5], s[4:5], exec
	s_and_b64 s[8:9], s[8:9], exec
	s_or_b64 s[4:5], s[4:5], s[8:9]
	s_or_b64 exec, exec, s[6:7]
	s_and_saveexec_b64 s[6:7], s[4:5]
	s_cbranch_execnz .LBB41_95
	s_branch .LBB41_96
.LBB41_2145:
	s_movk_i32 s4, 0x80
	v_cmp_eq_u16_sdwa s[12:13], v17, s4 src0_sel:BYTE_0 src1_sel:DWORD
	s_mov_b64 s[4:5], -1
                                        ; implicit-def: $sgpr10
	s_and_saveexec_b64 s[8:9], s[12:13]
; %bb.2146:
	s_mov_b32 s10, 0x7f800001
	s_xor_b64 s[4:5], exec, -1
; %bb.2147:
	s_or_b64 exec, exec, s[8:9]
	s_and_b64 s[4:5], s[4:5], exec
	s_or_saveexec_b64 s[6:7], s[6:7]
	v_mov_b32_e32 v10, s10
	s_xor_b64 exec, exec, s[6:7]
	s_cbranch_execz .LBB41_98
.LBB41_2148:
	v_mov_b32_e32 v10, 0
	v_cmp_ne_u16_sdwa s[8:9], v17, v10 src0_sel:BYTE_0 src1_sel:DWORD
	s_andn2_b64 s[4:5], s[4:5], exec
	s_and_b64 s[8:9], s[8:9], exec
	s_or_b64 s[4:5], s[4:5], s[8:9]
	s_or_b64 exec, exec, s[6:7]
	s_and_saveexec_b64 s[6:7], s[4:5]
	s_cbranch_execnz .LBB41_99
	s_branch .LBB41_100
.LBB41_2149:
	s_movk_i32 s4, 0x80
	v_cmp_eq_u16_sdwa s[12:13], v13, s4 src0_sel:BYTE_0 src1_sel:DWORD
	s_mov_b64 s[4:5], -1
                                        ; implicit-def: $sgpr10
	s_and_saveexec_b64 s[8:9], s[12:13]
; %bb.2150:
	s_mov_b32 s10, 0x7f800001
	s_xor_b64 s[4:5], exec, -1
; %bb.2151:
	s_or_b64 exec, exec, s[8:9]
	s_and_b64 s[4:5], s[4:5], exec
	s_or_saveexec_b64 s[6:7], s[6:7]
	v_mov_b32_e32 v11, s10
	s_xor_b64 exec, exec, s[6:7]
	s_cbranch_execz .LBB41_102
.LBB41_2152:
	v_mov_b32_e32 v11, 0
	v_cmp_ne_u16_sdwa s[8:9], v13, v11 src0_sel:BYTE_0 src1_sel:DWORD
	s_andn2_b64 s[4:5], s[4:5], exec
	s_and_b64 s[8:9], s[8:9], exec
	s_or_b64 s[4:5], s[4:5], s[8:9]
	s_or_b64 exec, exec, s[6:7]
	s_and_saveexec_b64 s[6:7], s[4:5]
	s_cbranch_execnz .LBB41_103
	s_branch .LBB41_104
.LBB41_2153:
	s_movk_i32 s4, 0x80
	v_cmp_eq_u16_sdwa s[12:13], v11, s4 src0_sel:BYTE_0 src1_sel:DWORD
	s_mov_b64 s[4:5], -1
                                        ; implicit-def: $sgpr10
	s_and_saveexec_b64 s[8:9], s[12:13]
; %bb.2154:
	s_mov_b32 s10, 0x7f800001
	s_xor_b64 s[4:5], exec, -1
; %bb.2155:
	s_or_b64 exec, exec, s[8:9]
	s_and_b64 s[4:5], s[4:5], exec
	s_or_saveexec_b64 s[6:7], s[6:7]
	v_mov_b32_e32 v10, s10
	s_xor_b64 exec, exec, s[6:7]
	s_cbranch_execz .LBB41_106
.LBB41_2156:
	v_mov_b32_e32 v10, 0
	v_cmp_ne_u16_sdwa s[8:9], v11, v10 src0_sel:BYTE_0 src1_sel:DWORD
	s_andn2_b64 s[4:5], s[4:5], exec
	s_and_b64 s[8:9], s[8:9], exec
	s_or_b64 s[4:5], s[4:5], s[8:9]
	s_or_b64 exec, exec, s[6:7]
	s_and_saveexec_b64 s[6:7], s[4:5]
	s_cbranch_execnz .LBB41_107
	s_branch .LBB41_108
.LBB41_2157:
	s_movk_i32 s4, 0x80
	v_cmp_eq_u16_sdwa s[12:13], v11, s4 src0_sel:BYTE_0 src1_sel:DWORD
	s_mov_b64 s[4:5], -1
                                        ; implicit-def: $sgpr10
	s_and_saveexec_b64 s[8:9], s[12:13]
; %bb.2158:
	s_mov_b32 s10, 0x7f800001
	s_xor_b64 s[4:5], exec, -1
; %bb.2159:
	s_or_b64 exec, exec, s[8:9]
	s_and_b64 s[4:5], s[4:5], exec
	s_or_saveexec_b64 s[6:7], s[6:7]
	v_mov_b32_e32 v12, s10
	s_xor_b64 exec, exec, s[6:7]
	s_cbranch_execz .LBB41_110
.LBB41_2160:
	v_mov_b32_e32 v12, 0
	v_cmp_ne_u16_sdwa s[8:9], v11, v12 src0_sel:BYTE_0 src1_sel:DWORD
	s_andn2_b64 s[4:5], s[4:5], exec
	s_and_b64 s[8:9], s[8:9], exec
	s_or_b64 s[4:5], s[4:5], s[8:9]
	s_or_b64 exec, exec, s[6:7]
	s_and_saveexec_b64 s[6:7], s[4:5]
	s_cbranch_execnz .LBB41_111
	s_branch .LBB41_112
.LBB41_2161:
	s_movk_i32 s4, 0x80
	v_cmp_eq_u16_e32 vcc, s4, v11
	s_mov_b64 s[4:5], -1
                                        ; implicit-def: $sgpr10
	s_and_saveexec_b64 s[8:9], vcc
; %bb.2162:
	s_mov_b32 s10, 0x7f800001
	s_xor_b64 s[4:5], exec, -1
; %bb.2163:
	s_or_b64 exec, exec, s[8:9]
	s_and_b64 s[4:5], s[4:5], exec
                                        ; implicit-def: $vgpr11
	s_or_saveexec_b64 s[6:7], s[6:7]
	v_mov_b32_e32 v10, s10
	s_xor_b64 exec, exec, s[6:7]
	s_cbranch_execz .LBB41_114
.LBB41_2164:
	v_cmp_ne_u16_e32 vcc, 0, v11
	s_andn2_b64 s[4:5], s[4:5], exec
	s_and_b64 s[8:9], vcc, exec
	v_mov_b32_e32 v10, 0
	s_or_b64 s[4:5], s[4:5], s[8:9]
	s_or_b64 exec, exec, s[6:7]
	s_and_saveexec_b64 s[6:7], s[4:5]
	s_cbranch_execnz .LBB41_115
	s_branch .LBB41_116
.LBB41_2165:
	s_movk_i32 s4, 0x80
	v_cmp_eq_u16_e32 vcc, s4, v11
	s_mov_b64 s[4:5], -1
                                        ; implicit-def: $sgpr10
	s_and_saveexec_b64 s[8:9], vcc
; %bb.2166:
	s_mov_b32 s10, 0x7f800001
	s_xor_b64 s[4:5], exec, -1
; %bb.2167:
	s_or_b64 exec, exec, s[8:9]
	s_and_b64 s[4:5], s[4:5], exec
                                        ; implicit-def: $vgpr11
	s_or_saveexec_b64 s[6:7], s[6:7]
	v_mov_b32_e32 v12, s10
	s_xor_b64 exec, exec, s[6:7]
	s_cbranch_execz .LBB41_118
.LBB41_2168:
	v_cmp_ne_u16_e32 vcc, 0, v11
	s_andn2_b64 s[4:5], s[4:5], exec
	s_and_b64 s[8:9], vcc, exec
	v_mov_b32_e32 v12, 0
	s_or_b64 s[4:5], s[4:5], s[8:9]
	s_or_b64 exec, exec, s[6:7]
	s_and_saveexec_b64 s[6:7], s[4:5]
	s_cbranch_execnz .LBB41_119
	s_branch .LBB41_120
.LBB41_2169:
	s_movk_i32 s4, 0x80
	v_cmp_eq_u16_sdwa s[12:13], v17, s4 src0_sel:BYTE_3 src1_sel:DWORD
	s_mov_b64 s[4:5], -1
                                        ; implicit-def: $sgpr10
	s_and_saveexec_b64 s[8:9], s[12:13]
; %bb.2170:
	s_mov_b32 s10, 0x7f800001
	s_xor_b64 s[4:5], exec, -1
; %bb.2171:
	s_or_b64 exec, exec, s[8:9]
	s_and_b64 s[4:5], s[4:5], exec
	s_or_saveexec_b64 s[6:7], s[6:7]
	v_mov_b32_e32 v10, s10
	s_xor_b64 exec, exec, s[6:7]
	s_cbranch_execz .LBB41_122
.LBB41_2172:
	v_mov_b32_e32 v10, 0
	v_cmp_ne_u16_sdwa s[8:9], v17, v10 src0_sel:BYTE_3 src1_sel:DWORD
	s_andn2_b64 s[4:5], s[4:5], exec
	s_and_b64 s[8:9], s[8:9], exec
	s_or_b64 s[4:5], s[4:5], s[8:9]
	s_or_b64 exec, exec, s[6:7]
	s_and_saveexec_b64 s[6:7], s[4:5]
	s_cbranch_execnz .LBB41_123
	s_branch .LBB41_124
.LBB41_2173:
	s_movk_i32 s4, 0x80
	v_cmp_eq_u16_sdwa s[12:13], v13, s4 src0_sel:BYTE_3 src1_sel:DWORD
	s_mov_b64 s[4:5], -1
                                        ; implicit-def: $sgpr10
	s_and_saveexec_b64 s[8:9], s[12:13]
; %bb.2174:
	s_mov_b32 s10, 0x7f800001
	s_xor_b64 s[4:5], exec, -1
; %bb.2175:
	s_or_b64 exec, exec, s[8:9]
	s_and_b64 s[4:5], s[4:5], exec
	s_or_saveexec_b64 s[6:7], s[6:7]
	v_mov_b32_e32 v11, s10
	s_xor_b64 exec, exec, s[6:7]
	s_cbranch_execz .LBB41_126
.LBB41_2176:
	v_mov_b32_e32 v11, 0
	v_cmp_ne_u16_sdwa s[8:9], v13, v11 src0_sel:BYTE_3 src1_sel:DWORD
	s_andn2_b64 s[4:5], s[4:5], exec
	s_and_b64 s[8:9], s[8:9], exec
	s_or_b64 s[4:5], s[4:5], s[8:9]
	s_or_b64 exec, exec, s[6:7]
	s_and_saveexec_b64 s[6:7], s[4:5]
	s_cbranch_execnz .LBB41_127
	s_branch .LBB41_128
.LBB41_2177:
	s_movk_i32 s4, 0x80
	v_cmp_eq_u16_sdwa s[12:13], v6, s4 src0_sel:BYTE_0 src1_sel:DWORD
	s_mov_b64 s[4:5], -1
                                        ; implicit-def: $sgpr10
	s_and_saveexec_b64 s[8:9], s[12:13]
; %bb.2178:
	s_mov_b32 s10, 0x7f800001
	s_xor_b64 s[4:5], exec, -1
; %bb.2179:
	s_or_b64 exec, exec, s[8:9]
	s_and_b64 s[4:5], s[4:5], exec
	s_or_saveexec_b64 s[6:7], s[6:7]
	v_mov_b32_e32 v10, s10
	s_xor_b64 exec, exec, s[6:7]
	s_cbranch_execz .LBB41_130
.LBB41_2180:
	v_mov_b32_e32 v10, 0
	v_cmp_ne_u16_sdwa s[8:9], v6, v10 src0_sel:BYTE_0 src1_sel:DWORD
	s_andn2_b64 s[4:5], s[4:5], exec
	s_and_b64 s[8:9], s[8:9], exec
	s_or_b64 s[4:5], s[4:5], s[8:9]
	s_or_b64 exec, exec, s[6:7]
	s_and_saveexec_b64 s[6:7], s[4:5]
	s_cbranch_execnz .LBB41_131
	s_branch .LBB41_132
.LBB41_2181:
	s_movk_i32 s4, 0x80
	v_cmp_eq_u16_sdwa s[12:13], v2, s4 src0_sel:BYTE_0 src1_sel:DWORD
	s_mov_b64 s[4:5], -1
                                        ; implicit-def: $sgpr10
	s_and_saveexec_b64 s[8:9], s[12:13]
; %bb.2182:
	s_mov_b32 s10, 0x7f800001
	s_xor_b64 s[4:5], exec, -1
; %bb.2183:
	s_or_b64 exec, exec, s[8:9]
	s_and_b64 s[4:5], s[4:5], exec
	s_or_saveexec_b64 s[6:7], s[6:7]
	v_mov_b32_e32 v11, s10
	s_xor_b64 exec, exec, s[6:7]
	s_cbranch_execz .LBB41_134
.LBB41_2184:
	v_mov_b32_e32 v11, 0
	v_cmp_ne_u16_sdwa s[8:9], v2, v11 src0_sel:BYTE_0 src1_sel:DWORD
	s_andn2_b64 s[4:5], s[4:5], exec
	s_and_b64 s[8:9], s[8:9], exec
	s_or_b64 s[4:5], s[4:5], s[8:9]
	s_or_b64 exec, exec, s[6:7]
	s_and_saveexec_b64 s[6:7], s[4:5]
	s_cbranch_execnz .LBB41_135
	s_branch .LBB41_136
.LBB41_2185:
	s_movk_i32 s4, 0x80
	v_cmp_eq_u16_sdwa s[12:13], v11, s4 src0_sel:BYTE_0 src1_sel:DWORD
	s_mov_b64 s[4:5], -1
                                        ; implicit-def: $sgpr10
	s_and_saveexec_b64 s[8:9], s[12:13]
; %bb.2186:
	s_mov_b32 s10, 0x7f800001
	s_xor_b64 s[4:5], exec, -1
; %bb.2187:
	s_or_b64 exec, exec, s[8:9]
	s_and_b64 s[4:5], s[4:5], exec
	s_or_saveexec_b64 s[6:7], s[6:7]
	v_mov_b32_e32 v10, s10
	s_xor_b64 exec, exec, s[6:7]
	s_cbranch_execz .LBB41_138
.LBB41_2188:
	v_mov_b32_e32 v10, 0
	v_cmp_ne_u16_sdwa s[8:9], v11, v10 src0_sel:BYTE_0 src1_sel:DWORD
	s_andn2_b64 s[4:5], s[4:5], exec
	s_and_b64 s[8:9], s[8:9], exec
	s_or_b64 s[4:5], s[4:5], s[8:9]
	s_or_b64 exec, exec, s[6:7]
	s_and_saveexec_b64 s[6:7], s[4:5]
	s_cbranch_execnz .LBB41_139
	s_branch .LBB41_140
.LBB41_2189:
	s_movk_i32 s4, 0x80
	v_cmp_eq_u16_sdwa s[12:13], v11, s4 src0_sel:BYTE_0 src1_sel:DWORD
	s_mov_b64 s[4:5], -1
                                        ; implicit-def: $sgpr10
	s_and_saveexec_b64 s[8:9], s[12:13]
; %bb.2190:
	s_mov_b32 s10, 0x7f800001
	s_xor_b64 s[4:5], exec, -1
; %bb.2191:
	s_or_b64 exec, exec, s[8:9]
	s_and_b64 s[4:5], s[4:5], exec
	s_or_saveexec_b64 s[6:7], s[6:7]
	v_mov_b32_e32 v12, s10
	s_xor_b64 exec, exec, s[6:7]
	s_cbranch_execz .LBB41_142
.LBB41_2192:
	v_mov_b32_e32 v12, 0
	v_cmp_ne_u16_sdwa s[8:9], v11, v12 src0_sel:BYTE_0 src1_sel:DWORD
	s_andn2_b64 s[4:5], s[4:5], exec
	s_and_b64 s[8:9], s[8:9], exec
	s_or_b64 s[4:5], s[4:5], s[8:9]
	s_or_b64 exec, exec, s[6:7]
	s_and_saveexec_b64 s[6:7], s[4:5]
	s_cbranch_execnz .LBB41_143
	s_branch .LBB41_144
.LBB41_2193:
	s_movk_i32 s4, 0x80
	v_cmp_eq_u16_e32 vcc, s4, v11
	s_mov_b64 s[4:5], -1
                                        ; implicit-def: $sgpr10
	s_and_saveexec_b64 s[8:9], vcc
; %bb.2194:
	s_mov_b32 s10, 0x7f800001
	s_xor_b64 s[4:5], exec, -1
; %bb.2195:
	s_or_b64 exec, exec, s[8:9]
	s_and_b64 s[4:5], s[4:5], exec
                                        ; implicit-def: $vgpr11
	s_or_saveexec_b64 s[6:7], s[6:7]
	v_mov_b32_e32 v10, s10
	s_xor_b64 exec, exec, s[6:7]
	s_cbranch_execz .LBB41_146
.LBB41_2196:
	v_cmp_ne_u16_e32 vcc, 0, v11
	s_andn2_b64 s[4:5], s[4:5], exec
	s_and_b64 s[8:9], vcc, exec
	v_mov_b32_e32 v10, 0
	s_or_b64 s[4:5], s[4:5], s[8:9]
	s_or_b64 exec, exec, s[6:7]
	s_and_saveexec_b64 s[6:7], s[4:5]
	s_cbranch_execnz .LBB41_147
	s_branch .LBB41_148
.LBB41_2197:
	s_movk_i32 s4, 0x80
	v_cmp_eq_u16_e32 vcc, s4, v11
	s_mov_b64 s[4:5], -1
                                        ; implicit-def: $sgpr10
	s_and_saveexec_b64 s[8:9], vcc
; %bb.2198:
	s_mov_b32 s10, 0x7f800001
	s_xor_b64 s[4:5], exec, -1
; %bb.2199:
	s_or_b64 exec, exec, s[8:9]
	s_and_b64 s[4:5], s[4:5], exec
                                        ; implicit-def: $vgpr11
	s_or_saveexec_b64 s[6:7], s[6:7]
	v_mov_b32_e32 v12, s10
	s_xor_b64 exec, exec, s[6:7]
	s_cbranch_execz .LBB41_150
.LBB41_2200:
	v_cmp_ne_u16_e32 vcc, 0, v11
	s_andn2_b64 s[4:5], s[4:5], exec
	s_and_b64 s[8:9], vcc, exec
	v_mov_b32_e32 v12, 0
	s_or_b64 s[4:5], s[4:5], s[8:9]
	s_or_b64 exec, exec, s[6:7]
	s_and_saveexec_b64 s[6:7], s[4:5]
	s_cbranch_execnz .LBB41_151
	s_branch .LBB41_152
.LBB41_2201:
	s_movk_i32 s4, 0x80
	v_cmp_eq_u16_sdwa s[12:13], v6, s4 src0_sel:BYTE_3 src1_sel:DWORD
	s_mov_b64 s[4:5], -1
                                        ; implicit-def: $sgpr10
	s_and_saveexec_b64 s[8:9], s[12:13]
; %bb.2202:
	s_mov_b32 s10, 0x7f800001
	s_xor_b64 s[4:5], exec, -1
; %bb.2203:
	s_or_b64 exec, exec, s[8:9]
	s_and_b64 s[4:5], s[4:5], exec
	s_or_saveexec_b64 s[6:7], s[6:7]
	v_mov_b32_e32 v10, s10
	s_xor_b64 exec, exec, s[6:7]
	s_cbranch_execz .LBB41_154
.LBB41_2204:
	v_mov_b32_e32 v10, 0
	v_cmp_ne_u16_sdwa s[8:9], v6, v10 src0_sel:BYTE_3 src1_sel:DWORD
	s_andn2_b64 s[4:5], s[4:5], exec
	s_and_b64 s[8:9], s[8:9], exec
	s_or_b64 s[4:5], s[4:5], s[8:9]
	s_or_b64 exec, exec, s[6:7]
	s_and_saveexec_b64 s[6:7], s[4:5]
	s_cbranch_execnz .LBB41_155
	s_branch .LBB41_156
.LBB41_2205:
	s_movk_i32 s4, 0x80
	v_cmp_eq_u16_sdwa s[12:13], v2, s4 src0_sel:BYTE_3 src1_sel:DWORD
	s_mov_b64 s[4:5], -1
                                        ; implicit-def: $sgpr10
	s_and_saveexec_b64 s[8:9], s[12:13]
; %bb.2206:
	s_mov_b32 s10, 0x7f800001
	s_xor_b64 s[4:5], exec, -1
; %bb.2207:
	s_or_b64 exec, exec, s[8:9]
	s_and_b64 s[4:5], s[4:5], exec
	s_or_saveexec_b64 s[6:7], s[6:7]
	v_mov_b32_e32 v6, s10
	s_xor_b64 exec, exec, s[6:7]
	s_cbranch_execz .LBB41_158
.LBB41_2208:
	v_mov_b32_e32 v6, 0
	v_cmp_ne_u16_sdwa s[8:9], v2, v6 src0_sel:BYTE_3 src1_sel:DWORD
	s_andn2_b64 s[4:5], s[4:5], exec
	s_and_b64 s[8:9], s[8:9], exec
	s_or_b64 s[4:5], s[4:5], s[8:9]
	s_or_b64 exec, exec, s[6:7]
	s_and_saveexec_b64 s[6:7], s[4:5]
	s_cbranch_execnz .LBB41_159
	s_branch .LBB41_160
.LBB41_2209:
	s_movk_i32 s4, 0x80
	v_cmp_eq_u16_sdwa s[12:13], v7, s4 src0_sel:BYTE_0 src1_sel:DWORD
	s_mov_b64 s[4:5], -1
                                        ; implicit-def: $sgpr10
	s_and_saveexec_b64 s[8:9], s[12:13]
; %bb.2210:
	s_mov_b32 s10, 0x7f800001
	s_xor_b64 s[4:5], exec, -1
; %bb.2211:
	s_or_b64 exec, exec, s[8:9]
	s_and_b64 s[4:5], s[4:5], exec
	s_or_saveexec_b64 s[6:7], s[6:7]
	v_mov_b32_e32 v2, s10
	s_xor_b64 exec, exec, s[6:7]
	s_cbranch_execz .LBB41_162
.LBB41_2212:
	v_mov_b32_e32 v2, 0
	v_cmp_ne_u16_sdwa s[8:9], v7, v2 src0_sel:BYTE_0 src1_sel:DWORD
	s_andn2_b64 s[4:5], s[4:5], exec
	s_and_b64 s[8:9], s[8:9], exec
	s_or_b64 s[4:5], s[4:5], s[8:9]
	s_or_b64 exec, exec, s[6:7]
	s_and_saveexec_b64 s[6:7], s[4:5]
	s_cbranch_execnz .LBB41_163
	s_branch .LBB41_164
.LBB41_2213:
	s_movk_i32 s4, 0x80
	v_cmp_eq_u16_sdwa s[12:13], v3, s4 src0_sel:BYTE_0 src1_sel:DWORD
	s_mov_b64 s[4:5], -1
                                        ; implicit-def: $sgpr10
	s_and_saveexec_b64 s[8:9], s[12:13]
; %bb.2214:
	s_mov_b32 s10, 0x7f800001
	s_xor_b64 s[4:5], exec, -1
; %bb.2215:
	s_or_b64 exec, exec, s[8:9]
	s_and_b64 s[4:5], s[4:5], exec
	s_or_saveexec_b64 s[6:7], s[6:7]
	v_mov_b32_e32 v6, s10
	s_xor_b64 exec, exec, s[6:7]
	s_cbranch_execz .LBB41_166
.LBB41_2216:
	v_mov_b32_e32 v6, 0
	v_cmp_ne_u16_sdwa s[8:9], v3, v6 src0_sel:BYTE_0 src1_sel:DWORD
	s_andn2_b64 s[4:5], s[4:5], exec
	s_and_b64 s[8:9], s[8:9], exec
	s_or_b64 s[4:5], s[4:5], s[8:9]
	s_or_b64 exec, exec, s[6:7]
	s_and_saveexec_b64 s[6:7], s[4:5]
	s_cbranch_execnz .LBB41_167
	s_branch .LBB41_168
.LBB41_2217:
	s_movk_i32 s4, 0x80
	v_cmp_eq_u16_sdwa s[12:13], v6, s4 src0_sel:BYTE_0 src1_sel:DWORD
	s_mov_b64 s[4:5], -1
                                        ; implicit-def: $sgpr10
	s_and_saveexec_b64 s[8:9], s[12:13]
; %bb.2218:
	s_mov_b32 s10, 0x7f800001
	s_xor_b64 s[4:5], exec, -1
; %bb.2219:
	s_or_b64 exec, exec, s[8:9]
	s_and_b64 s[4:5], s[4:5], exec
	s_or_saveexec_b64 s[6:7], s[6:7]
	v_mov_b32_e32 v2, s10
	s_xor_b64 exec, exec, s[6:7]
	s_cbranch_execz .LBB41_170
.LBB41_2220:
	v_mov_b32_e32 v2, 0
	v_cmp_ne_u16_sdwa s[8:9], v6, v2 src0_sel:BYTE_0 src1_sel:DWORD
	s_andn2_b64 s[4:5], s[4:5], exec
	s_and_b64 s[8:9], s[8:9], exec
	s_or_b64 s[4:5], s[4:5], s[8:9]
	s_or_b64 exec, exec, s[6:7]
	s_and_saveexec_b64 s[6:7], s[4:5]
	s_cbranch_execnz .LBB41_171
	s_branch .LBB41_172
.LBB41_2221:
	s_movk_i32 s4, 0x80
	v_cmp_eq_u16_sdwa s[12:13], v6, s4 src0_sel:BYTE_0 src1_sel:DWORD
	s_mov_b64 s[4:5], -1
                                        ; implicit-def: $sgpr10
	s_and_saveexec_b64 s[8:9], s[12:13]
; %bb.2222:
	s_mov_b32 s10, 0x7f800001
	s_xor_b64 s[4:5], exec, -1
; %bb.2223:
	s_or_b64 exec, exec, s[8:9]
	s_and_b64 s[4:5], s[4:5], exec
	s_or_saveexec_b64 s[6:7], s[6:7]
	v_mov_b32_e32 v10, s10
	s_xor_b64 exec, exec, s[6:7]
	s_cbranch_execz .LBB41_174
.LBB41_2224:
	v_mov_b32_e32 v10, 0
	v_cmp_ne_u16_sdwa s[8:9], v6, v10 src0_sel:BYTE_0 src1_sel:DWORD
	s_andn2_b64 s[4:5], s[4:5], exec
	s_and_b64 s[8:9], s[8:9], exec
	s_or_b64 s[4:5], s[4:5], s[8:9]
	s_or_b64 exec, exec, s[6:7]
	s_and_saveexec_b64 s[6:7], s[4:5]
	s_cbranch_execnz .LBB41_175
	s_branch .LBB41_176
.LBB41_2225:
	s_movk_i32 s4, 0x80
	v_cmp_eq_u16_e32 vcc, s4, v6
	s_mov_b64 s[4:5], -1
                                        ; implicit-def: $sgpr10
	s_and_saveexec_b64 s[8:9], vcc
; %bb.2226:
	s_mov_b32 s10, 0x7f800001
	s_xor_b64 s[4:5], exec, -1
; %bb.2227:
	s_or_b64 exec, exec, s[8:9]
	s_and_b64 s[4:5], s[4:5], exec
                                        ; implicit-def: $vgpr6
	s_or_saveexec_b64 s[6:7], s[6:7]
	v_mov_b32_e32 v2, s10
	s_xor_b64 exec, exec, s[6:7]
	s_cbranch_execz .LBB41_178
.LBB41_2228:
	v_cmp_ne_u16_e32 vcc, 0, v6
	s_andn2_b64 s[4:5], s[4:5], exec
	s_and_b64 s[8:9], vcc, exec
	v_mov_b32_e32 v2, 0
	s_or_b64 s[4:5], s[4:5], s[8:9]
	s_or_b64 exec, exec, s[6:7]
	s_and_saveexec_b64 s[6:7], s[4:5]
	s_cbranch_execnz .LBB41_179
	s_branch .LBB41_180
.LBB41_2229:
	s_movk_i32 s4, 0x80
	v_cmp_eq_u16_e32 vcc, s4, v6
	s_mov_b64 s[4:5], -1
                                        ; implicit-def: $sgpr10
	s_and_saveexec_b64 s[8:9], vcc
; %bb.2230:
	s_mov_b32 s10, 0x7f800001
	s_xor_b64 s[4:5], exec, -1
; %bb.2231:
	s_or_b64 exec, exec, s[8:9]
	s_and_b64 s[4:5], s[4:5], exec
                                        ; implicit-def: $vgpr6
	s_or_saveexec_b64 s[6:7], s[6:7]
	v_mov_b32_e32 v10, s10
	s_xor_b64 exec, exec, s[6:7]
	s_cbranch_execz .LBB41_182
.LBB41_2232:
	v_cmp_ne_u16_e32 vcc, 0, v6
	s_andn2_b64 s[4:5], s[4:5], exec
	s_and_b64 s[8:9], vcc, exec
	v_mov_b32_e32 v10, 0
	s_or_b64 s[4:5], s[4:5], s[8:9]
	s_or_b64 exec, exec, s[6:7]
	s_and_saveexec_b64 s[6:7], s[4:5]
	s_cbranch_execnz .LBB41_183
	s_branch .LBB41_184
.LBB41_2233:
	s_movk_i32 s4, 0x80
	v_cmp_eq_u16_sdwa s[12:13], v7, s4 src0_sel:BYTE_3 src1_sel:DWORD
	s_mov_b64 s[4:5], -1
                                        ; implicit-def: $sgpr10
	s_and_saveexec_b64 s[8:9], s[12:13]
; %bb.2234:
	s_mov_b32 s10, 0x7f800001
	s_xor_b64 s[4:5], exec, -1
; %bb.2235:
	s_or_b64 exec, exec, s[8:9]
	s_and_b64 s[4:5], s[4:5], exec
	s_or_saveexec_b64 s[6:7], s[6:7]
	v_mov_b32_e32 v2, s10
	s_xor_b64 exec, exec, s[6:7]
	s_cbranch_execz .LBB41_186
.LBB41_2236:
	v_mov_b32_e32 v2, 0
	v_cmp_ne_u16_sdwa s[8:9], v7, v2 src0_sel:BYTE_3 src1_sel:DWORD
	s_andn2_b64 s[4:5], s[4:5], exec
	s_and_b64 s[8:9], s[8:9], exec
	s_or_b64 s[4:5], s[4:5], s[8:9]
	s_or_b64 exec, exec, s[6:7]
	s_and_saveexec_b64 s[6:7], s[4:5]
	s_cbranch_execnz .LBB41_187
	s_branch .LBB41_188
.LBB41_2237:
	s_movk_i32 s4, 0x80
	v_cmp_eq_u16_sdwa s[12:13], v3, s4 src0_sel:BYTE_3 src1_sel:DWORD
	s_mov_b64 s[4:5], -1
                                        ; implicit-def: $sgpr10
	s_and_saveexec_b64 s[8:9], s[12:13]
; %bb.2238:
	s_mov_b32 s10, 0x7f800001
	s_xor_b64 s[4:5], exec, -1
; %bb.2239:
	s_or_b64 exec, exec, s[8:9]
	s_and_b64 s[4:5], s[4:5], exec
	s_or_saveexec_b64 s[6:7], s[6:7]
	v_mov_b32_e32 v6, s10
	s_xor_b64 exec, exec, s[6:7]
	s_cbranch_execz .LBB41_190
.LBB41_2240:
	v_mov_b32_e32 v6, 0
	v_cmp_ne_u16_sdwa s[8:9], v3, v6 src0_sel:BYTE_3 src1_sel:DWORD
	s_andn2_b64 s[4:5], s[4:5], exec
	s_and_b64 s[8:9], s[8:9], exec
	s_or_b64 s[4:5], s[4:5], s[8:9]
	s_or_b64 exec, exec, s[6:7]
	s_and_saveexec_b64 s[6:7], s[4:5]
	s_cbranch_execnz .LBB41_191
	s_branch .LBB41_192
.LBB41_2241:
	s_movk_i32 s4, 0x80
	v_cmp_eq_u16_sdwa s[12:13], v8, s4 src0_sel:BYTE_0 src1_sel:DWORD
	s_mov_b64 s[4:5], -1
                                        ; implicit-def: $sgpr10
	s_and_saveexec_b64 s[8:9], s[12:13]
; %bb.2242:
	s_mov_b32 s10, 0x7f800001
	s_xor_b64 s[4:5], exec, -1
; %bb.2243:
	s_or_b64 exec, exec, s[8:9]
	s_and_b64 s[4:5], s[4:5], exec
	s_or_saveexec_b64 s[6:7], s[6:7]
	v_mov_b32_e32 v2, s10
	s_xor_b64 exec, exec, s[6:7]
	s_cbranch_execz .LBB41_194
.LBB41_2244:
	v_mov_b32_e32 v2, 0
	v_cmp_ne_u16_sdwa s[8:9], v8, v2 src0_sel:BYTE_0 src1_sel:DWORD
	s_andn2_b64 s[4:5], s[4:5], exec
	s_and_b64 s[8:9], s[8:9], exec
	s_or_b64 s[4:5], s[4:5], s[8:9]
	s_or_b64 exec, exec, s[6:7]
	s_and_saveexec_b64 s[6:7], s[4:5]
	s_cbranch_execnz .LBB41_195
	s_branch .LBB41_196
.LBB41_2245:
	s_movk_i32 s4, 0x80
	v_cmp_eq_u16_sdwa s[12:13], v4, s4 src0_sel:BYTE_0 src1_sel:DWORD
	s_mov_b64 s[4:5], -1
                                        ; implicit-def: $sgpr10
	s_and_saveexec_b64 s[8:9], s[12:13]
; %bb.2246:
	s_mov_b32 s10, 0x7f800001
	s_xor_b64 s[4:5], exec, -1
; %bb.2247:
	s_or_b64 exec, exec, s[8:9]
	s_and_b64 s[4:5], s[4:5], exec
	s_or_saveexec_b64 s[6:7], s[6:7]
	v_mov_b32_e32 v3, s10
	s_xor_b64 exec, exec, s[6:7]
	s_cbranch_execz .LBB41_198
.LBB41_2248:
	v_mov_b32_e32 v3, 0
	v_cmp_ne_u16_sdwa s[8:9], v4, v3 src0_sel:BYTE_0 src1_sel:DWORD
	s_andn2_b64 s[4:5], s[4:5], exec
	s_and_b64 s[8:9], s[8:9], exec
	s_or_b64 s[4:5], s[4:5], s[8:9]
	s_or_b64 exec, exec, s[6:7]
	s_and_saveexec_b64 s[6:7], s[4:5]
	s_cbranch_execnz .LBB41_199
	s_branch .LBB41_200
.LBB41_2249:
	s_movk_i32 s4, 0x80
	v_cmp_eq_u16_sdwa s[12:13], v3, s4 src0_sel:BYTE_0 src1_sel:DWORD
	s_mov_b64 s[4:5], -1
                                        ; implicit-def: $sgpr10
	s_and_saveexec_b64 s[8:9], s[12:13]
; %bb.2250:
	s_mov_b32 s10, 0x7f800001
	s_xor_b64 s[4:5], exec, -1
; %bb.2251:
	s_or_b64 exec, exec, s[8:9]
	s_and_b64 s[4:5], s[4:5], exec
	s_or_saveexec_b64 s[6:7], s[6:7]
	v_mov_b32_e32 v2, s10
	s_xor_b64 exec, exec, s[6:7]
	s_cbranch_execz .LBB41_202
.LBB41_2252:
	v_mov_b32_e32 v2, 0
	v_cmp_ne_u16_sdwa s[8:9], v3, v2 src0_sel:BYTE_0 src1_sel:DWORD
	s_andn2_b64 s[4:5], s[4:5], exec
	s_and_b64 s[8:9], s[8:9], exec
	s_or_b64 s[4:5], s[4:5], s[8:9]
	s_or_b64 exec, exec, s[6:7]
	s_and_saveexec_b64 s[6:7], s[4:5]
	s_cbranch_execnz .LBB41_203
	s_branch .LBB41_204
.LBB41_2253:
	s_movk_i32 s4, 0x80
	v_cmp_eq_u16_sdwa s[12:13], v3, s4 src0_sel:BYTE_0 src1_sel:DWORD
	s_mov_b64 s[4:5], -1
                                        ; implicit-def: $sgpr10
	s_and_saveexec_b64 s[8:9], s[12:13]
; %bb.2254:
	s_mov_b32 s10, 0x7f800001
	s_xor_b64 s[4:5], exec, -1
; %bb.2255:
	s_or_b64 exec, exec, s[8:9]
	s_and_b64 s[4:5], s[4:5], exec
	s_or_saveexec_b64 s[6:7], s[6:7]
	v_mov_b32_e32 v6, s10
	s_xor_b64 exec, exec, s[6:7]
	s_cbranch_execz .LBB41_206
.LBB41_2256:
	v_mov_b32_e32 v6, 0
	v_cmp_ne_u16_sdwa s[8:9], v3, v6 src0_sel:BYTE_0 src1_sel:DWORD
	s_andn2_b64 s[4:5], s[4:5], exec
	s_and_b64 s[8:9], s[8:9], exec
	s_or_b64 s[4:5], s[4:5], s[8:9]
	s_or_b64 exec, exec, s[6:7]
	s_and_saveexec_b64 s[6:7], s[4:5]
	s_cbranch_execnz .LBB41_207
	s_branch .LBB41_208
.LBB41_2257:
	s_movk_i32 s4, 0x80
	v_cmp_eq_u16_e32 vcc, s4, v3
	s_mov_b64 s[4:5], -1
                                        ; implicit-def: $sgpr10
	s_and_saveexec_b64 s[8:9], vcc
; %bb.2258:
	s_mov_b32 s10, 0x7f800001
	s_xor_b64 s[4:5], exec, -1
; %bb.2259:
	s_or_b64 exec, exec, s[8:9]
	s_and_b64 s[4:5], s[4:5], exec
                                        ; implicit-def: $vgpr3
	s_or_saveexec_b64 s[6:7], s[6:7]
	v_mov_b32_e32 v2, s10
	s_xor_b64 exec, exec, s[6:7]
	s_cbranch_execz .LBB41_210
.LBB41_2260:
	v_cmp_ne_u16_e32 vcc, 0, v3
	s_andn2_b64 s[4:5], s[4:5], exec
	s_and_b64 s[8:9], vcc, exec
	v_mov_b32_e32 v2, 0
	s_or_b64 s[4:5], s[4:5], s[8:9]
	s_or_b64 exec, exec, s[6:7]
	s_and_saveexec_b64 s[6:7], s[4:5]
	s_cbranch_execnz .LBB41_211
	s_branch .LBB41_212
.LBB41_2261:
	s_movk_i32 s4, 0x80
	v_cmp_eq_u16_e32 vcc, s4, v3
	s_mov_b64 s[4:5], -1
                                        ; implicit-def: $sgpr10
	s_and_saveexec_b64 s[8:9], vcc
; %bb.2262:
	s_mov_b32 s10, 0x7f800001
	s_xor_b64 s[4:5], exec, -1
; %bb.2263:
	s_or_b64 exec, exec, s[8:9]
	s_and_b64 s[4:5], s[4:5], exec
                                        ; implicit-def: $vgpr3
	s_or_saveexec_b64 s[6:7], s[6:7]
	v_mov_b32_e32 v6, s10
	s_xor_b64 exec, exec, s[6:7]
	s_cbranch_execz .LBB41_214
.LBB41_2264:
	v_cmp_ne_u16_e32 vcc, 0, v3
	s_andn2_b64 s[4:5], s[4:5], exec
	s_and_b64 s[8:9], vcc, exec
	v_mov_b32_e32 v6, 0
	s_or_b64 s[4:5], s[4:5], s[8:9]
	s_or_b64 exec, exec, s[6:7]
	s_and_saveexec_b64 s[6:7], s[4:5]
	s_cbranch_execnz .LBB41_215
	s_branch .LBB41_216
.LBB41_2265:
	s_movk_i32 s4, 0x80
	v_cmp_eq_u16_sdwa s[12:13], v8, s4 src0_sel:BYTE_3 src1_sel:DWORD
	s_mov_b64 s[4:5], -1
                                        ; implicit-def: $sgpr10
	s_and_saveexec_b64 s[8:9], s[12:13]
; %bb.2266:
	s_mov_b32 s10, 0x7f800001
	s_xor_b64 s[4:5], exec, -1
; %bb.2267:
	s_or_b64 exec, exec, s[8:9]
	s_and_b64 s[4:5], s[4:5], exec
	s_or_saveexec_b64 s[6:7], s[6:7]
	v_mov_b32_e32 v2, s10
	s_xor_b64 exec, exec, s[6:7]
	s_cbranch_execz .LBB41_218
.LBB41_2268:
	v_mov_b32_e32 v2, 0
	v_cmp_ne_u16_sdwa s[8:9], v8, v2 src0_sel:BYTE_3 src1_sel:DWORD
	s_andn2_b64 s[4:5], s[4:5], exec
	s_and_b64 s[8:9], s[8:9], exec
	s_or_b64 s[4:5], s[4:5], s[8:9]
	s_or_b64 exec, exec, s[6:7]
	s_and_saveexec_b64 s[6:7], s[4:5]
	s_cbranch_execnz .LBB41_219
	s_branch .LBB41_220
.LBB41_2269:
	s_movk_i32 s4, 0x80
	v_cmp_eq_u16_sdwa s[12:13], v4, s4 src0_sel:BYTE_3 src1_sel:DWORD
	s_mov_b64 s[4:5], -1
                                        ; implicit-def: $sgpr10
	s_and_saveexec_b64 s[8:9], s[12:13]
; %bb.2270:
	s_mov_b32 s10, 0x7f800001
	s_xor_b64 s[4:5], exec, -1
; %bb.2271:
	s_or_b64 exec, exec, s[8:9]
	s_and_b64 s[4:5], s[4:5], exec
	s_or_saveexec_b64 s[6:7], s[6:7]
	v_mov_b32_e32 v3, s10
	s_xor_b64 exec, exec, s[6:7]
	s_cbranch_execz .LBB41_222
.LBB41_2272:
	v_mov_b32_e32 v3, 0
	v_cmp_ne_u16_sdwa s[8:9], v4, v3 src0_sel:BYTE_3 src1_sel:DWORD
	s_andn2_b64 s[4:5], s[4:5], exec
	s_and_b64 s[8:9], s[8:9], exec
	s_or_b64 s[4:5], s[4:5], s[8:9]
	s_or_b64 exec, exec, s[6:7]
	s_and_saveexec_b64 s[6:7], s[4:5]
	s_cbranch_execnz .LBB41_223
	s_branch .LBB41_224
.LBB41_2273:
	s_movk_i32 s4, 0x80
	v_cmp_eq_u16_sdwa s[12:13], v9, s4 src0_sel:BYTE_0 src1_sel:DWORD
	s_mov_b64 s[4:5], -1
                                        ; implicit-def: $sgpr10
	s_and_saveexec_b64 s[8:9], s[12:13]
; %bb.2274:
	s_mov_b32 s10, 0x7f800001
	s_xor_b64 s[4:5], exec, -1
; %bb.2275:
	s_or_b64 exec, exec, s[8:9]
	s_and_b64 s[4:5], s[4:5], exec
	s_or_saveexec_b64 s[6:7], s[6:7]
	v_mov_b32_e32 v2, s10
	s_xor_b64 exec, exec, s[6:7]
	s_cbranch_execz .LBB41_226
.LBB41_2276:
	v_mov_b32_e32 v2, 0
	v_cmp_ne_u16_sdwa s[8:9], v9, v2 src0_sel:BYTE_0 src1_sel:DWORD
	s_andn2_b64 s[4:5], s[4:5], exec
	s_and_b64 s[8:9], s[8:9], exec
	s_or_b64 s[4:5], s[4:5], s[8:9]
	s_or_b64 exec, exec, s[6:7]
	s_and_saveexec_b64 s[6:7], s[4:5]
	s_cbranch_execnz .LBB41_227
	s_branch .LBB41_228
.LBB41_2277:
	s_movk_i32 s4, 0x80
	v_cmp_eq_u16_sdwa s[12:13], v5, s4 src0_sel:BYTE_0 src1_sel:DWORD
	s_mov_b64 s[4:5], -1
                                        ; implicit-def: $sgpr10
	s_and_saveexec_b64 s[8:9], s[12:13]
; %bb.2278:
	s_mov_b32 s10, 0x7f800001
	s_xor_b64 s[4:5], exec, -1
; %bb.2279:
	s_or_b64 exec, exec, s[8:9]
	s_and_b64 s[4:5], s[4:5], exec
	s_or_saveexec_b64 s[6:7], s[6:7]
	v_mov_b32_e32 v3, s10
	s_xor_b64 exec, exec, s[6:7]
	s_cbranch_execz .LBB41_230
.LBB41_2280:
	v_mov_b32_e32 v3, 0
	v_cmp_ne_u16_sdwa s[8:9], v5, v3 src0_sel:BYTE_0 src1_sel:DWORD
	s_andn2_b64 s[4:5], s[4:5], exec
	s_and_b64 s[8:9], s[8:9], exec
	s_or_b64 s[4:5], s[4:5], s[8:9]
	s_or_b64 exec, exec, s[6:7]
	s_and_saveexec_b64 s[6:7], s[4:5]
	s_cbranch_execnz .LBB41_231
	s_branch .LBB41_232
.LBB41_2281:
	s_movk_i32 s4, 0x80
	v_cmp_eq_u16_sdwa s[12:13], v3, s4 src0_sel:BYTE_0 src1_sel:DWORD
	s_mov_b64 s[4:5], -1
                                        ; implicit-def: $sgpr10
	s_and_saveexec_b64 s[8:9], s[12:13]
; %bb.2282:
	s_mov_b32 s10, 0x7f800001
	s_xor_b64 s[4:5], exec, -1
; %bb.2283:
	s_or_b64 exec, exec, s[8:9]
	s_and_b64 s[4:5], s[4:5], exec
	s_or_saveexec_b64 s[6:7], s[6:7]
	v_mov_b32_e32 v2, s10
	s_xor_b64 exec, exec, s[6:7]
	s_cbranch_execz .LBB41_234
.LBB41_2284:
	v_mov_b32_e32 v2, 0
	v_cmp_ne_u16_sdwa s[8:9], v3, v2 src0_sel:BYTE_0 src1_sel:DWORD
	s_andn2_b64 s[4:5], s[4:5], exec
	s_and_b64 s[8:9], s[8:9], exec
	s_or_b64 s[4:5], s[4:5], s[8:9]
	s_or_b64 exec, exec, s[6:7]
	s_and_saveexec_b64 s[6:7], s[4:5]
	s_cbranch_execnz .LBB41_235
	s_branch .LBB41_236
.LBB41_2285:
	s_movk_i32 s4, 0x80
	v_cmp_eq_u16_sdwa s[12:13], v3, s4 src0_sel:BYTE_0 src1_sel:DWORD
	s_mov_b64 s[4:5], -1
                                        ; implicit-def: $sgpr10
	s_and_saveexec_b64 s[8:9], s[12:13]
; %bb.2286:
	s_mov_b32 s10, 0x7f800001
	s_xor_b64 s[4:5], exec, -1
; %bb.2287:
	s_or_b64 exec, exec, s[8:9]
	s_and_b64 s[4:5], s[4:5], exec
	s_or_saveexec_b64 s[6:7], s[6:7]
	v_mov_b32_e32 v4, s10
	s_xor_b64 exec, exec, s[6:7]
	s_cbranch_execz .LBB41_238
.LBB41_2288:
	v_mov_b32_e32 v4, 0
	v_cmp_ne_u16_sdwa s[8:9], v3, v4 src0_sel:BYTE_0 src1_sel:DWORD
	s_andn2_b64 s[4:5], s[4:5], exec
	s_and_b64 s[8:9], s[8:9], exec
	s_or_b64 s[4:5], s[4:5], s[8:9]
	s_or_b64 exec, exec, s[6:7]
	s_and_saveexec_b64 s[6:7], s[4:5]
	s_cbranch_execnz .LBB41_239
	s_branch .LBB41_240
.LBB41_2289:
	s_movk_i32 s4, 0x80
	v_cmp_eq_u16_e32 vcc, s4, v3
	s_mov_b64 s[4:5], -1
                                        ; implicit-def: $sgpr10
	s_and_saveexec_b64 s[8:9], vcc
; %bb.2290:
	s_mov_b32 s10, 0x7f800001
	s_xor_b64 s[4:5], exec, -1
; %bb.2291:
	s_or_b64 exec, exec, s[8:9]
	s_and_b64 s[4:5], s[4:5], exec
                                        ; implicit-def: $vgpr3
	s_or_saveexec_b64 s[6:7], s[6:7]
	v_mov_b32_e32 v2, s10
	s_xor_b64 exec, exec, s[6:7]
	s_cbranch_execz .LBB41_242
.LBB41_2292:
	v_cmp_ne_u16_e32 vcc, 0, v3
	s_andn2_b64 s[4:5], s[4:5], exec
	s_and_b64 s[8:9], vcc, exec
	v_mov_b32_e32 v2, 0
	s_or_b64 s[4:5], s[4:5], s[8:9]
	s_or_b64 exec, exec, s[6:7]
	s_and_saveexec_b64 s[6:7], s[4:5]
	s_cbranch_execnz .LBB41_243
	s_branch .LBB41_244
.LBB41_2293:
	s_movk_i32 s4, 0x80
	v_cmp_eq_u16_e32 vcc, s4, v3
	s_mov_b64 s[4:5], -1
                                        ; implicit-def: $sgpr10
	s_and_saveexec_b64 s[8:9], vcc
; %bb.2294:
	s_mov_b32 s10, 0x7f800001
	s_xor_b64 s[4:5], exec, -1
; %bb.2295:
	s_or_b64 exec, exec, s[8:9]
	s_and_b64 s[4:5], s[4:5], exec
                                        ; implicit-def: $vgpr3
	s_or_saveexec_b64 s[6:7], s[6:7]
	v_mov_b32_e32 v4, s10
	s_xor_b64 exec, exec, s[6:7]
	s_cbranch_execz .LBB41_246
.LBB41_2296:
	v_cmp_ne_u16_e32 vcc, 0, v3
	s_andn2_b64 s[4:5], s[4:5], exec
	s_and_b64 s[8:9], vcc, exec
	v_mov_b32_e32 v4, 0
	s_or_b64 s[4:5], s[4:5], s[8:9]
	s_or_b64 exec, exec, s[6:7]
	s_and_saveexec_b64 s[6:7], s[4:5]
	s_cbranch_execnz .LBB41_247
	s_branch .LBB41_248
.LBB41_2297:
	s_movk_i32 s4, 0x80
	v_cmp_eq_u16_sdwa s[12:13], v9, s4 src0_sel:BYTE_3 src1_sel:DWORD
	s_mov_b64 s[4:5], -1
                                        ; implicit-def: $sgpr10
	s_and_saveexec_b64 s[8:9], s[12:13]
; %bb.2298:
	s_mov_b32 s10, 0x7f800001
	s_xor_b64 s[4:5], exec, -1
; %bb.2299:
	s_or_b64 exec, exec, s[8:9]
	s_and_b64 s[4:5], s[4:5], exec
	s_or_saveexec_b64 s[6:7], s[6:7]
	v_mov_b32_e32 v2, s10
	s_xor_b64 exec, exec, s[6:7]
	s_cbranch_execz .LBB41_250
.LBB41_2300:
	v_mov_b32_e32 v2, 0
	v_cmp_ne_u16_sdwa s[8:9], v9, v2 src0_sel:BYTE_3 src1_sel:DWORD
	s_andn2_b64 s[4:5], s[4:5], exec
	s_and_b64 s[8:9], s[8:9], exec
	s_or_b64 s[4:5], s[4:5], s[8:9]
	s_or_b64 exec, exec, s[6:7]
	s_and_saveexec_b64 s[6:7], s[4:5]
	s_cbranch_execnz .LBB41_251
	s_branch .LBB41_252
.LBB41_2301:
	s_movk_i32 s4, 0x80
	v_cmp_eq_u16_sdwa s[12:13], v5, s4 src0_sel:BYTE_3 src1_sel:DWORD
	s_mov_b64 s[4:5], -1
                                        ; implicit-def: $sgpr10
	s_and_saveexec_b64 s[8:9], s[12:13]
; %bb.2302:
	s_mov_b32 s10, 0x7f800001
	s_xor_b64 s[4:5], exec, -1
; %bb.2303:
	s_or_b64 exec, exec, s[8:9]
	s_and_b64 s[4:5], s[4:5], exec
	s_or_saveexec_b64 s[6:7], s[6:7]
	v_mov_b32_e32 v3, s10
	s_xor_b64 exec, exec, s[6:7]
	s_cbranch_execz .LBB41_254
.LBB41_2304:
	v_mov_b32_e32 v3, 0
	v_cmp_ne_u16_sdwa s[8:9], v5, v3 src0_sel:BYTE_3 src1_sel:DWORD
	s_andn2_b64 s[4:5], s[4:5], exec
	s_and_b64 s[8:9], s[8:9], exec
	s_or_b64 s[4:5], s[4:5], s[8:9]
	s_or_b64 exec, exec, s[6:7]
	s_and_saveexec_b64 s[6:7], s[4:5]
	s_cbranch_execnz .LBB41_255
	s_branch .LBB41_256
.LBB41_2305:
	s_movk_i32 s4, 0x80
	v_cmp_eq_u16_sdwa s[12:13], v14, s4 src0_sel:BYTE_0 src1_sel:DWORD
	s_mov_b64 s[4:5], -1
                                        ; implicit-def: $sgpr10
	s_and_saveexec_b64 s[8:9], s[12:13]
; %bb.2306:
	s_mov_b32 s10, 0x7f800001
	s_xor_b64 s[4:5], exec, -1
; %bb.2307:
	s_or_b64 exec, exec, s[8:9]
	s_and_b64 s[4:5], s[4:5], exec
	s_or_saveexec_b64 s[6:7], s[6:7]
	v_mov_b32_e32 v20, s10
	s_xor_b64 exec, exec, s[6:7]
	s_cbranch_execz .LBB41_258
.LBB41_2308:
	v_mov_b32_e32 v20, 0
	v_cmp_ne_u16_sdwa s[8:9], v14, v20 src0_sel:BYTE_0 src1_sel:DWORD
	s_andn2_b64 s[4:5], s[4:5], exec
	s_and_b64 s[8:9], s[8:9], exec
	s_or_b64 s[4:5], s[4:5], s[8:9]
	s_or_b64 exec, exec, s[6:7]
	s_and_saveexec_b64 s[6:7], s[4:5]
	s_cbranch_execnz .LBB41_259
	s_branch .LBB41_260
.LBB41_2309:
	s_movk_i32 s4, 0x80
	v_cmp_eq_u16_sdwa s[12:13], v10, s4 src0_sel:BYTE_0 src1_sel:DWORD
	s_mov_b64 s[4:5], -1
                                        ; implicit-def: $sgpr10
	s_and_saveexec_b64 s[8:9], s[12:13]
; %bb.2310:
	s_mov_b32 s10, 0x7f800001
	s_xor_b64 s[4:5], exec, -1
; %bb.2311:
	s_or_b64 exec, exec, s[8:9]
	s_and_b64 s[4:5], s[4:5], exec
	s_or_saveexec_b64 s[6:7], s[6:7]
	v_mov_b32_e32 v21, s10
	s_xor_b64 exec, exec, s[6:7]
	s_cbranch_execz .LBB41_262
.LBB41_2312:
	v_mov_b32_e32 v21, 0
	v_cmp_ne_u16_sdwa s[8:9], v10, v21 src0_sel:BYTE_0 src1_sel:DWORD
	s_andn2_b64 s[4:5], s[4:5], exec
	s_and_b64 s[8:9], s[8:9], exec
	s_or_b64 s[4:5], s[4:5], s[8:9]
	s_or_b64 exec, exec, s[6:7]
	s_and_saveexec_b64 s[6:7], s[4:5]
	s_cbranch_execnz .LBB41_263
	s_branch .LBB41_264
.LBB41_2313:
	s_movk_i32 s4, 0x80
	v_cmp_eq_u16_sdwa s[12:13], v21, s4 src0_sel:BYTE_0 src1_sel:DWORD
	s_mov_b64 s[4:5], -1
                                        ; implicit-def: $sgpr10
	s_and_saveexec_b64 s[8:9], s[12:13]
; %bb.2314:
	s_mov_b32 s10, 0x7f800001
	s_xor_b64 s[4:5], exec, -1
; %bb.2315:
	s_or_b64 exec, exec, s[8:9]
	s_and_b64 s[4:5], s[4:5], exec
	s_or_saveexec_b64 s[6:7], s[6:7]
	v_mov_b32_e32 v20, s10
	s_xor_b64 exec, exec, s[6:7]
	s_cbranch_execz .LBB41_266
.LBB41_2316:
	v_mov_b32_e32 v20, 0
	v_cmp_ne_u16_sdwa s[8:9], v21, v20 src0_sel:BYTE_0 src1_sel:DWORD
	s_andn2_b64 s[4:5], s[4:5], exec
	s_and_b64 s[8:9], s[8:9], exec
	s_or_b64 s[4:5], s[4:5], s[8:9]
	s_or_b64 exec, exec, s[6:7]
	s_and_saveexec_b64 s[6:7], s[4:5]
	s_cbranch_execnz .LBB41_267
	s_branch .LBB41_268
.LBB41_2317:
	s_movk_i32 s4, 0x80
	v_cmp_eq_u16_sdwa s[12:13], v21, s4 src0_sel:BYTE_0 src1_sel:DWORD
	s_mov_b64 s[4:5], -1
                                        ; implicit-def: $sgpr10
	s_and_saveexec_b64 s[8:9], s[12:13]
; %bb.2318:
	s_mov_b32 s10, 0x7f800001
	s_xor_b64 s[4:5], exec, -1
; %bb.2319:
	s_or_b64 exec, exec, s[8:9]
	s_and_b64 s[4:5], s[4:5], exec
	s_or_saveexec_b64 s[6:7], s[6:7]
	v_mov_b32_e32 v22, s10
	s_xor_b64 exec, exec, s[6:7]
	s_cbranch_execz .LBB41_270
.LBB41_2320:
	v_mov_b32_e32 v22, 0
	v_cmp_ne_u16_sdwa s[8:9], v21, v22 src0_sel:BYTE_0 src1_sel:DWORD
	s_andn2_b64 s[4:5], s[4:5], exec
	s_and_b64 s[8:9], s[8:9], exec
	s_or_b64 s[4:5], s[4:5], s[8:9]
	s_or_b64 exec, exec, s[6:7]
	s_and_saveexec_b64 s[6:7], s[4:5]
	s_cbranch_execnz .LBB41_271
	s_branch .LBB41_272
.LBB41_2321:
	s_movk_i32 s4, 0x80
	v_cmp_eq_u16_e32 vcc, s4, v21
	s_mov_b64 s[4:5], -1
                                        ; implicit-def: $sgpr10
	s_and_saveexec_b64 s[8:9], vcc
; %bb.2322:
	s_mov_b32 s10, 0x7f800001
	s_xor_b64 s[4:5], exec, -1
; %bb.2323:
	s_or_b64 exec, exec, s[8:9]
	s_and_b64 s[4:5], s[4:5], exec
                                        ; implicit-def: $vgpr21
	s_or_saveexec_b64 s[6:7], s[6:7]
	v_mov_b32_e32 v20, s10
	s_xor_b64 exec, exec, s[6:7]
	s_cbranch_execz .LBB41_274
.LBB41_2324:
	v_cmp_ne_u16_e32 vcc, 0, v21
	s_andn2_b64 s[4:5], s[4:5], exec
	s_and_b64 s[8:9], vcc, exec
	v_mov_b32_e32 v20, 0
	s_or_b64 s[4:5], s[4:5], s[8:9]
	s_or_b64 exec, exec, s[6:7]
	s_and_saveexec_b64 s[6:7], s[4:5]
	s_cbranch_execnz .LBB41_275
	s_branch .LBB41_276
.LBB41_2325:
	s_movk_i32 s4, 0x80
	v_cmp_eq_u16_e32 vcc, s4, v21
	s_mov_b64 s[4:5], -1
                                        ; implicit-def: $sgpr10
	s_and_saveexec_b64 s[8:9], vcc
; %bb.2326:
	s_mov_b32 s10, 0x7f800001
	s_xor_b64 s[4:5], exec, -1
; %bb.2327:
	s_or_b64 exec, exec, s[8:9]
	s_and_b64 s[4:5], s[4:5], exec
                                        ; implicit-def: $vgpr21
	s_or_saveexec_b64 s[6:7], s[6:7]
	v_mov_b32_e32 v22, s10
	s_xor_b64 exec, exec, s[6:7]
	s_cbranch_execz .LBB41_278
.LBB41_2328:
	v_cmp_ne_u16_e32 vcc, 0, v21
	s_andn2_b64 s[4:5], s[4:5], exec
	s_and_b64 s[8:9], vcc, exec
	v_mov_b32_e32 v22, 0
	s_or_b64 s[4:5], s[4:5], s[8:9]
	s_or_b64 exec, exec, s[6:7]
	s_and_saveexec_b64 s[6:7], s[4:5]
	s_cbranch_execnz .LBB41_279
	s_branch .LBB41_280
.LBB41_2329:
	s_movk_i32 s4, 0x80
	v_cmp_eq_u16_sdwa s[12:13], v14, s4 src0_sel:BYTE_3 src1_sel:DWORD
	s_mov_b64 s[4:5], -1
                                        ; implicit-def: $sgpr10
	s_and_saveexec_b64 s[8:9], s[12:13]
; %bb.2330:
	s_mov_b32 s10, 0x7f800001
	s_xor_b64 s[4:5], exec, -1
; %bb.2331:
	s_or_b64 exec, exec, s[8:9]
	s_and_b64 s[4:5], s[4:5], exec
	s_or_saveexec_b64 s[6:7], s[6:7]
	v_mov_b32_e32 v20, s10
	s_xor_b64 exec, exec, s[6:7]
	s_cbranch_execz .LBB41_282
.LBB41_2332:
	v_mov_b32_e32 v20, 0
	v_cmp_ne_u16_sdwa s[8:9], v14, v20 src0_sel:BYTE_3 src1_sel:DWORD
	s_andn2_b64 s[4:5], s[4:5], exec
	s_and_b64 s[8:9], s[8:9], exec
	s_or_b64 s[4:5], s[4:5], s[8:9]
	s_or_b64 exec, exec, s[6:7]
	s_and_saveexec_b64 s[6:7], s[4:5]
	s_cbranch_execnz .LBB41_283
	s_branch .LBB41_284
.LBB41_2333:
	s_movk_i32 s4, 0x80
	v_cmp_eq_u16_sdwa s[12:13], v10, s4 src0_sel:BYTE_3 src1_sel:DWORD
	s_mov_b64 s[4:5], -1
                                        ; implicit-def: $sgpr10
	s_and_saveexec_b64 s[8:9], s[12:13]
; %bb.2334:
	s_mov_b32 s10, 0x7f800001
	s_xor_b64 s[4:5], exec, -1
; %bb.2335:
	s_or_b64 exec, exec, s[8:9]
	s_and_b64 s[4:5], s[4:5], exec
	s_or_saveexec_b64 s[6:7], s[6:7]
	v_mov_b32_e32 v14, s10
	s_xor_b64 exec, exec, s[6:7]
	s_cbranch_execz .LBB41_286
.LBB41_2336:
	v_mov_b32_e32 v14, 0
	v_cmp_ne_u16_sdwa s[8:9], v10, v14 src0_sel:BYTE_3 src1_sel:DWORD
	s_andn2_b64 s[4:5], s[4:5], exec
	s_and_b64 s[8:9], s[8:9], exec
	s_or_b64 s[4:5], s[4:5], s[8:9]
	s_or_b64 exec, exec, s[6:7]
	s_and_saveexec_b64 s[6:7], s[4:5]
	s_cbranch_execnz .LBB41_287
	s_branch .LBB41_288
.LBB41_2337:
	s_movk_i32 s4, 0x80
	v_cmp_eq_u16_sdwa s[12:13], v15, s4 src0_sel:BYTE_0 src1_sel:DWORD
	s_mov_b64 s[4:5], -1
                                        ; implicit-def: $sgpr10
	s_and_saveexec_b64 s[8:9], s[12:13]
; %bb.2338:
	s_mov_b32 s10, 0x7f800001
	s_xor_b64 s[4:5], exec, -1
; %bb.2339:
	s_or_b64 exec, exec, s[8:9]
	s_and_b64 s[4:5], s[4:5], exec
	s_or_saveexec_b64 s[6:7], s[6:7]
	v_mov_b32_e32 v10, s10
	s_xor_b64 exec, exec, s[6:7]
	s_cbranch_execz .LBB41_290
.LBB41_2340:
	v_mov_b32_e32 v10, 0
	v_cmp_ne_u16_sdwa s[8:9], v15, v10 src0_sel:BYTE_0 src1_sel:DWORD
	s_andn2_b64 s[4:5], s[4:5], exec
	s_and_b64 s[8:9], s[8:9], exec
	s_or_b64 s[4:5], s[4:5], s[8:9]
	s_or_b64 exec, exec, s[6:7]
	s_and_saveexec_b64 s[6:7], s[4:5]
	s_cbranch_execnz .LBB41_291
	s_branch .LBB41_292
.LBB41_2341:
	s_movk_i32 s4, 0x80
	v_cmp_eq_u16_sdwa s[12:13], v11, s4 src0_sel:BYTE_0 src1_sel:DWORD
	s_mov_b64 s[4:5], -1
                                        ; implicit-def: $sgpr10
	s_and_saveexec_b64 s[8:9], s[12:13]
; %bb.2342:
	s_mov_b32 s10, 0x7f800001
	s_xor_b64 s[4:5], exec, -1
; %bb.2343:
	s_or_b64 exec, exec, s[8:9]
	s_and_b64 s[4:5], s[4:5], exec
	s_or_saveexec_b64 s[6:7], s[6:7]
	v_mov_b32_e32 v14, s10
	s_xor_b64 exec, exec, s[6:7]
	s_cbranch_execz .LBB41_294
.LBB41_2344:
	v_mov_b32_e32 v14, 0
	v_cmp_ne_u16_sdwa s[8:9], v11, v14 src0_sel:BYTE_0 src1_sel:DWORD
	s_andn2_b64 s[4:5], s[4:5], exec
	s_and_b64 s[8:9], s[8:9], exec
	s_or_b64 s[4:5], s[4:5], s[8:9]
	s_or_b64 exec, exec, s[6:7]
	s_and_saveexec_b64 s[6:7], s[4:5]
	s_cbranch_execnz .LBB41_295
	s_branch .LBB41_296
.LBB41_2345:
	s_movk_i32 s4, 0x80
	v_cmp_eq_u16_sdwa s[12:13], v14, s4 src0_sel:BYTE_0 src1_sel:DWORD
	s_mov_b64 s[4:5], -1
                                        ; implicit-def: $sgpr10
	s_and_saveexec_b64 s[8:9], s[12:13]
; %bb.2346:
	s_mov_b32 s10, 0x7f800001
	s_xor_b64 s[4:5], exec, -1
; %bb.2347:
	s_or_b64 exec, exec, s[8:9]
	s_and_b64 s[4:5], s[4:5], exec
	s_or_saveexec_b64 s[6:7], s[6:7]
	v_mov_b32_e32 v10, s10
	s_xor_b64 exec, exec, s[6:7]
	s_cbranch_execz .LBB41_298
.LBB41_2348:
	v_mov_b32_e32 v10, 0
	v_cmp_ne_u16_sdwa s[8:9], v14, v10 src0_sel:BYTE_0 src1_sel:DWORD
	s_andn2_b64 s[4:5], s[4:5], exec
	s_and_b64 s[8:9], s[8:9], exec
	s_or_b64 s[4:5], s[4:5], s[8:9]
	s_or_b64 exec, exec, s[6:7]
	s_and_saveexec_b64 s[6:7], s[4:5]
	s_cbranch_execnz .LBB41_299
	s_branch .LBB41_300
.LBB41_2349:
	s_movk_i32 s4, 0x80
	v_cmp_eq_u16_sdwa s[12:13], v14, s4 src0_sel:BYTE_0 src1_sel:DWORD
	s_mov_b64 s[4:5], -1
                                        ; implicit-def: $sgpr10
	s_and_saveexec_b64 s[8:9], s[12:13]
; %bb.2350:
	s_mov_b32 s10, 0x7f800001
	s_xor_b64 s[4:5], exec, -1
; %bb.2351:
	s_or_b64 exec, exec, s[8:9]
	s_and_b64 s[4:5], s[4:5], exec
	s_or_saveexec_b64 s[6:7], s[6:7]
	v_mov_b32_e32 v20, s10
	s_xor_b64 exec, exec, s[6:7]
	s_cbranch_execz .LBB41_302
.LBB41_2352:
	v_mov_b32_e32 v20, 0
	v_cmp_ne_u16_sdwa s[8:9], v14, v20 src0_sel:BYTE_0 src1_sel:DWORD
	s_andn2_b64 s[4:5], s[4:5], exec
	s_and_b64 s[8:9], s[8:9], exec
	s_or_b64 s[4:5], s[4:5], s[8:9]
	s_or_b64 exec, exec, s[6:7]
	s_and_saveexec_b64 s[6:7], s[4:5]
	s_cbranch_execnz .LBB41_303
	s_branch .LBB41_304
.LBB41_2353:
	s_movk_i32 s4, 0x80
	v_cmp_eq_u16_e32 vcc, s4, v14
	s_mov_b64 s[4:5], -1
                                        ; implicit-def: $sgpr10
	s_and_saveexec_b64 s[8:9], vcc
; %bb.2354:
	s_mov_b32 s10, 0x7f800001
	s_xor_b64 s[4:5], exec, -1
; %bb.2355:
	s_or_b64 exec, exec, s[8:9]
	s_and_b64 s[4:5], s[4:5], exec
                                        ; implicit-def: $vgpr14
	s_or_saveexec_b64 s[6:7], s[6:7]
	v_mov_b32_e32 v10, s10
	s_xor_b64 exec, exec, s[6:7]
	s_cbranch_execz .LBB41_306
.LBB41_2356:
	v_cmp_ne_u16_e32 vcc, 0, v14
	s_andn2_b64 s[4:5], s[4:5], exec
	s_and_b64 s[8:9], vcc, exec
	v_mov_b32_e32 v10, 0
	s_or_b64 s[4:5], s[4:5], s[8:9]
	s_or_b64 exec, exec, s[6:7]
	s_and_saveexec_b64 s[6:7], s[4:5]
	s_cbranch_execnz .LBB41_307
	s_branch .LBB41_308
.LBB41_2357:
	s_movk_i32 s4, 0x80
	v_cmp_eq_u16_e32 vcc, s4, v14
	s_mov_b64 s[4:5], -1
                                        ; implicit-def: $sgpr10
	s_and_saveexec_b64 s[8:9], vcc
; %bb.2358:
	s_mov_b32 s10, 0x7f800001
	s_xor_b64 s[4:5], exec, -1
; %bb.2359:
	s_or_b64 exec, exec, s[8:9]
	s_and_b64 s[4:5], s[4:5], exec
                                        ; implicit-def: $vgpr14
	s_or_saveexec_b64 s[6:7], s[6:7]
	v_mov_b32_e32 v20, s10
	s_xor_b64 exec, exec, s[6:7]
	s_cbranch_execz .LBB41_310
.LBB41_2360:
	v_cmp_ne_u16_e32 vcc, 0, v14
	s_andn2_b64 s[4:5], s[4:5], exec
	s_and_b64 s[8:9], vcc, exec
	v_mov_b32_e32 v20, 0
	s_or_b64 s[4:5], s[4:5], s[8:9]
	s_or_b64 exec, exec, s[6:7]
	s_and_saveexec_b64 s[6:7], s[4:5]
	s_cbranch_execnz .LBB41_311
	s_branch .LBB41_312
.LBB41_2361:
	s_movk_i32 s4, 0x80
	v_cmp_eq_u16_sdwa s[12:13], v15, s4 src0_sel:BYTE_3 src1_sel:DWORD
	s_mov_b64 s[4:5], -1
                                        ; implicit-def: $sgpr10
	s_and_saveexec_b64 s[8:9], s[12:13]
; %bb.2362:
	s_mov_b32 s10, 0x7f800001
	s_xor_b64 s[4:5], exec, -1
; %bb.2363:
	s_or_b64 exec, exec, s[8:9]
	s_and_b64 s[4:5], s[4:5], exec
	s_or_saveexec_b64 s[6:7], s[6:7]
	v_mov_b32_e32 v10, s10
	s_xor_b64 exec, exec, s[6:7]
	s_cbranch_execz .LBB41_314
.LBB41_2364:
	v_mov_b32_e32 v10, 0
	v_cmp_ne_u16_sdwa s[8:9], v15, v10 src0_sel:BYTE_3 src1_sel:DWORD
	s_andn2_b64 s[4:5], s[4:5], exec
	s_and_b64 s[8:9], s[8:9], exec
	s_or_b64 s[4:5], s[4:5], s[8:9]
	s_or_b64 exec, exec, s[6:7]
	s_and_saveexec_b64 s[6:7], s[4:5]
	s_cbranch_execnz .LBB41_315
	s_branch .LBB41_316
.LBB41_2365:
	s_movk_i32 s4, 0x80
	v_cmp_eq_u16_sdwa s[12:13], v11, s4 src0_sel:BYTE_3 src1_sel:DWORD
	s_mov_b64 s[4:5], -1
                                        ; implicit-def: $sgpr10
	s_and_saveexec_b64 s[8:9], s[12:13]
; %bb.2366:
	s_mov_b32 s10, 0x7f800001
	s_xor_b64 s[4:5], exec, -1
; %bb.2367:
	s_or_b64 exec, exec, s[8:9]
	s_and_b64 s[4:5], s[4:5], exec
	s_or_saveexec_b64 s[6:7], s[6:7]
	v_mov_b32_e32 v14, s10
	s_xor_b64 exec, exec, s[6:7]
	s_cbranch_execz .LBB41_318
.LBB41_2368:
	v_mov_b32_e32 v14, 0
	v_cmp_ne_u16_sdwa s[8:9], v11, v14 src0_sel:BYTE_3 src1_sel:DWORD
	s_andn2_b64 s[4:5], s[4:5], exec
	s_and_b64 s[8:9], s[8:9], exec
	s_or_b64 s[4:5], s[4:5], s[8:9]
	s_or_b64 exec, exec, s[6:7]
	s_and_saveexec_b64 s[6:7], s[4:5]
	s_cbranch_execnz .LBB41_319
	s_branch .LBB41_320
.LBB41_2369:
	s_movk_i32 s4, 0x80
	v_cmp_eq_u16_sdwa s[12:13], v16, s4 src0_sel:BYTE_0 src1_sel:DWORD
	s_mov_b64 s[4:5], -1
                                        ; implicit-def: $sgpr10
	s_and_saveexec_b64 s[8:9], s[12:13]
; %bb.2370:
	s_mov_b32 s10, 0x7f800001
	s_xor_b64 s[4:5], exec, -1
; %bb.2371:
	s_or_b64 exec, exec, s[8:9]
	s_and_b64 s[4:5], s[4:5], exec
	s_or_saveexec_b64 s[6:7], s[6:7]
	v_mov_b32_e32 v10, s10
	s_xor_b64 exec, exec, s[6:7]
	s_cbranch_execz .LBB41_322
.LBB41_2372:
	v_mov_b32_e32 v10, 0
	v_cmp_ne_u16_sdwa s[8:9], v16, v10 src0_sel:BYTE_0 src1_sel:DWORD
	s_andn2_b64 s[4:5], s[4:5], exec
	s_and_b64 s[8:9], s[8:9], exec
	s_or_b64 s[4:5], s[4:5], s[8:9]
	s_or_b64 exec, exec, s[6:7]
	s_and_saveexec_b64 s[6:7], s[4:5]
	s_cbranch_execnz .LBB41_323
	s_branch .LBB41_324
.LBB41_2373:
	s_movk_i32 s4, 0x80
	v_cmp_eq_u16_sdwa s[12:13], v12, s4 src0_sel:BYTE_0 src1_sel:DWORD
	s_mov_b64 s[4:5], -1
                                        ; implicit-def: $sgpr10
	s_and_saveexec_b64 s[8:9], s[12:13]
; %bb.2374:
	s_mov_b32 s10, 0x7f800001
	s_xor_b64 s[4:5], exec, -1
; %bb.2375:
	s_or_b64 exec, exec, s[8:9]
	s_and_b64 s[4:5], s[4:5], exec
	s_or_saveexec_b64 s[6:7], s[6:7]
	v_mov_b32_e32 v11, s10
	s_xor_b64 exec, exec, s[6:7]
	s_cbranch_execz .LBB41_326
.LBB41_2376:
	v_mov_b32_e32 v11, 0
	v_cmp_ne_u16_sdwa s[8:9], v12, v11 src0_sel:BYTE_0 src1_sel:DWORD
	s_andn2_b64 s[4:5], s[4:5], exec
	s_and_b64 s[8:9], s[8:9], exec
	s_or_b64 s[4:5], s[4:5], s[8:9]
	s_or_b64 exec, exec, s[6:7]
	s_and_saveexec_b64 s[6:7], s[4:5]
	s_cbranch_execnz .LBB41_327
	s_branch .LBB41_328
.LBB41_2377:
	s_movk_i32 s4, 0x80
	v_cmp_eq_u16_sdwa s[12:13], v11, s4 src0_sel:BYTE_0 src1_sel:DWORD
	s_mov_b64 s[4:5], -1
                                        ; implicit-def: $sgpr10
	s_and_saveexec_b64 s[8:9], s[12:13]
; %bb.2378:
	s_mov_b32 s10, 0x7f800001
	s_xor_b64 s[4:5], exec, -1
; %bb.2379:
	s_or_b64 exec, exec, s[8:9]
	s_and_b64 s[4:5], s[4:5], exec
	s_or_saveexec_b64 s[6:7], s[6:7]
	v_mov_b32_e32 v10, s10
	s_xor_b64 exec, exec, s[6:7]
	s_cbranch_execz .LBB41_330
.LBB41_2380:
	v_mov_b32_e32 v10, 0
	v_cmp_ne_u16_sdwa s[8:9], v11, v10 src0_sel:BYTE_0 src1_sel:DWORD
	s_andn2_b64 s[4:5], s[4:5], exec
	s_and_b64 s[8:9], s[8:9], exec
	s_or_b64 s[4:5], s[4:5], s[8:9]
	s_or_b64 exec, exec, s[6:7]
	s_and_saveexec_b64 s[6:7], s[4:5]
	s_cbranch_execnz .LBB41_331
	s_branch .LBB41_332
.LBB41_2381:
	s_movk_i32 s4, 0x80
	v_cmp_eq_u16_sdwa s[12:13], v11, s4 src0_sel:BYTE_0 src1_sel:DWORD
	s_mov_b64 s[4:5], -1
                                        ; implicit-def: $sgpr10
	s_and_saveexec_b64 s[8:9], s[12:13]
; %bb.2382:
	s_mov_b32 s10, 0x7f800001
	s_xor_b64 s[4:5], exec, -1
; %bb.2383:
	s_or_b64 exec, exec, s[8:9]
	s_and_b64 s[4:5], s[4:5], exec
	s_or_saveexec_b64 s[6:7], s[6:7]
	v_mov_b32_e32 v14, s10
	s_xor_b64 exec, exec, s[6:7]
	s_cbranch_execz .LBB41_334
.LBB41_2384:
	v_mov_b32_e32 v14, 0
	v_cmp_ne_u16_sdwa s[8:9], v11, v14 src0_sel:BYTE_0 src1_sel:DWORD
	s_andn2_b64 s[4:5], s[4:5], exec
	s_and_b64 s[8:9], s[8:9], exec
	s_or_b64 s[4:5], s[4:5], s[8:9]
	s_or_b64 exec, exec, s[6:7]
	s_and_saveexec_b64 s[6:7], s[4:5]
	s_cbranch_execnz .LBB41_335
	s_branch .LBB41_336
.LBB41_2385:
	s_movk_i32 s4, 0x80
	v_cmp_eq_u16_e32 vcc, s4, v11
	s_mov_b64 s[4:5], -1
                                        ; implicit-def: $sgpr10
	s_and_saveexec_b64 s[8:9], vcc
; %bb.2386:
	s_mov_b32 s10, 0x7f800001
	s_xor_b64 s[4:5], exec, -1
; %bb.2387:
	s_or_b64 exec, exec, s[8:9]
	s_and_b64 s[4:5], s[4:5], exec
                                        ; implicit-def: $vgpr11
	s_or_saveexec_b64 s[6:7], s[6:7]
	v_mov_b32_e32 v10, s10
	s_xor_b64 exec, exec, s[6:7]
	s_cbranch_execz .LBB41_338
.LBB41_2388:
	v_cmp_ne_u16_e32 vcc, 0, v11
	s_andn2_b64 s[4:5], s[4:5], exec
	s_and_b64 s[8:9], vcc, exec
	v_mov_b32_e32 v10, 0
	s_or_b64 s[4:5], s[4:5], s[8:9]
	s_or_b64 exec, exec, s[6:7]
	s_and_saveexec_b64 s[6:7], s[4:5]
	s_cbranch_execnz .LBB41_339
	s_branch .LBB41_340
.LBB41_2389:
	s_movk_i32 s4, 0x80
	v_cmp_eq_u16_e32 vcc, s4, v11
	s_mov_b64 s[4:5], -1
                                        ; implicit-def: $sgpr10
	s_and_saveexec_b64 s[8:9], vcc
; %bb.2390:
	s_mov_b32 s10, 0x7f800001
	s_xor_b64 s[4:5], exec, -1
; %bb.2391:
	s_or_b64 exec, exec, s[8:9]
	s_and_b64 s[4:5], s[4:5], exec
                                        ; implicit-def: $vgpr11
	s_or_saveexec_b64 s[6:7], s[6:7]
	v_mov_b32_e32 v14, s10
	s_xor_b64 exec, exec, s[6:7]
	s_cbranch_execz .LBB41_342
.LBB41_2392:
	v_cmp_ne_u16_e32 vcc, 0, v11
	s_andn2_b64 s[4:5], s[4:5], exec
	s_and_b64 s[8:9], vcc, exec
	v_mov_b32_e32 v14, 0
	s_or_b64 s[4:5], s[4:5], s[8:9]
	s_or_b64 exec, exec, s[6:7]
	s_and_saveexec_b64 s[6:7], s[4:5]
	s_cbranch_execnz .LBB41_343
	s_branch .LBB41_344
.LBB41_2393:
	s_movk_i32 s4, 0x80
	v_cmp_eq_u16_sdwa s[12:13], v16, s4 src0_sel:BYTE_3 src1_sel:DWORD
	s_mov_b64 s[4:5], -1
                                        ; implicit-def: $sgpr10
	s_and_saveexec_b64 s[8:9], s[12:13]
; %bb.2394:
	s_mov_b32 s10, 0x7f800001
	s_xor_b64 s[4:5], exec, -1
; %bb.2395:
	s_or_b64 exec, exec, s[8:9]
	s_and_b64 s[4:5], s[4:5], exec
	s_or_saveexec_b64 s[6:7], s[6:7]
	v_mov_b32_e32 v10, s10
	s_xor_b64 exec, exec, s[6:7]
	s_cbranch_execz .LBB41_346
.LBB41_2396:
	v_mov_b32_e32 v10, 0
	v_cmp_ne_u16_sdwa s[8:9], v16, v10 src0_sel:BYTE_3 src1_sel:DWORD
	s_andn2_b64 s[4:5], s[4:5], exec
	s_and_b64 s[8:9], s[8:9], exec
	s_or_b64 s[4:5], s[4:5], s[8:9]
	s_or_b64 exec, exec, s[6:7]
	s_and_saveexec_b64 s[6:7], s[4:5]
	s_cbranch_execnz .LBB41_347
	s_branch .LBB41_348
.LBB41_2397:
	s_movk_i32 s4, 0x80
	v_cmp_eq_u16_sdwa s[12:13], v12, s4 src0_sel:BYTE_3 src1_sel:DWORD
	s_mov_b64 s[4:5], -1
                                        ; implicit-def: $sgpr10
	s_and_saveexec_b64 s[8:9], s[12:13]
; %bb.2398:
	s_mov_b32 s10, 0x7f800001
	s_xor_b64 s[4:5], exec, -1
; %bb.2399:
	s_or_b64 exec, exec, s[8:9]
	s_and_b64 s[4:5], s[4:5], exec
	s_or_saveexec_b64 s[6:7], s[6:7]
	v_mov_b32_e32 v11, s10
	s_xor_b64 exec, exec, s[6:7]
	s_cbranch_execz .LBB41_350
.LBB41_2400:
	v_mov_b32_e32 v11, 0
	v_cmp_ne_u16_sdwa s[8:9], v12, v11 src0_sel:BYTE_3 src1_sel:DWORD
	s_andn2_b64 s[4:5], s[4:5], exec
	s_and_b64 s[8:9], s[8:9], exec
	s_or_b64 s[4:5], s[4:5], s[8:9]
	s_or_b64 exec, exec, s[6:7]
	s_and_saveexec_b64 s[6:7], s[4:5]
	s_cbranch_execnz .LBB41_351
	s_branch .LBB41_352
.LBB41_2401:
	s_movk_i32 s4, 0x80
	v_cmp_eq_u16_sdwa s[12:13], v17, s4 src0_sel:BYTE_0 src1_sel:DWORD
	s_mov_b64 s[4:5], -1
                                        ; implicit-def: $sgpr10
	s_and_saveexec_b64 s[8:9], s[12:13]
; %bb.2402:
	s_mov_b32 s10, 0x7f800001
	s_xor_b64 s[4:5], exec, -1
; %bb.2403:
	s_or_b64 exec, exec, s[8:9]
	s_and_b64 s[4:5], s[4:5], exec
	s_or_saveexec_b64 s[6:7], s[6:7]
	v_mov_b32_e32 v10, s10
	s_xor_b64 exec, exec, s[6:7]
	s_cbranch_execz .LBB41_354
.LBB41_2404:
	v_mov_b32_e32 v10, 0
	v_cmp_ne_u16_sdwa s[8:9], v17, v10 src0_sel:BYTE_0 src1_sel:DWORD
	s_andn2_b64 s[4:5], s[4:5], exec
	s_and_b64 s[8:9], s[8:9], exec
	s_or_b64 s[4:5], s[4:5], s[8:9]
	s_or_b64 exec, exec, s[6:7]
	s_and_saveexec_b64 s[6:7], s[4:5]
	s_cbranch_execnz .LBB41_355
	s_branch .LBB41_356
.LBB41_2405:
	s_movk_i32 s4, 0x80
	v_cmp_eq_u16_sdwa s[12:13], v13, s4 src0_sel:BYTE_0 src1_sel:DWORD
	s_mov_b64 s[4:5], -1
                                        ; implicit-def: $sgpr10
	s_and_saveexec_b64 s[8:9], s[12:13]
; %bb.2406:
	s_mov_b32 s10, 0x7f800001
	s_xor_b64 s[4:5], exec, -1
; %bb.2407:
	s_or_b64 exec, exec, s[8:9]
	s_and_b64 s[4:5], s[4:5], exec
	s_or_saveexec_b64 s[6:7], s[6:7]
	v_mov_b32_e32 v11, s10
	s_xor_b64 exec, exec, s[6:7]
	s_cbranch_execz .LBB41_358
.LBB41_2408:
	v_mov_b32_e32 v11, 0
	v_cmp_ne_u16_sdwa s[8:9], v13, v11 src0_sel:BYTE_0 src1_sel:DWORD
	s_andn2_b64 s[4:5], s[4:5], exec
	s_and_b64 s[8:9], s[8:9], exec
	s_or_b64 s[4:5], s[4:5], s[8:9]
	s_or_b64 exec, exec, s[6:7]
	s_and_saveexec_b64 s[6:7], s[4:5]
	s_cbranch_execnz .LBB41_359
	s_branch .LBB41_360
.LBB41_2409:
	s_movk_i32 s4, 0x80
	v_cmp_eq_u16_sdwa s[12:13], v11, s4 src0_sel:BYTE_0 src1_sel:DWORD
	s_mov_b64 s[4:5], -1
                                        ; implicit-def: $sgpr10
	s_and_saveexec_b64 s[8:9], s[12:13]
; %bb.2410:
	s_mov_b32 s10, 0x7f800001
	s_xor_b64 s[4:5], exec, -1
; %bb.2411:
	s_or_b64 exec, exec, s[8:9]
	s_and_b64 s[4:5], s[4:5], exec
	s_or_saveexec_b64 s[6:7], s[6:7]
	v_mov_b32_e32 v10, s10
	s_xor_b64 exec, exec, s[6:7]
	s_cbranch_execz .LBB41_362
.LBB41_2412:
	v_mov_b32_e32 v10, 0
	v_cmp_ne_u16_sdwa s[8:9], v11, v10 src0_sel:BYTE_0 src1_sel:DWORD
	s_andn2_b64 s[4:5], s[4:5], exec
	s_and_b64 s[8:9], s[8:9], exec
	s_or_b64 s[4:5], s[4:5], s[8:9]
	s_or_b64 exec, exec, s[6:7]
	s_and_saveexec_b64 s[6:7], s[4:5]
	s_cbranch_execnz .LBB41_363
	s_branch .LBB41_364
.LBB41_2413:
	s_movk_i32 s4, 0x80
	v_cmp_eq_u16_sdwa s[12:13], v11, s4 src0_sel:BYTE_0 src1_sel:DWORD
	s_mov_b64 s[4:5], -1
                                        ; implicit-def: $sgpr10
	s_and_saveexec_b64 s[8:9], s[12:13]
; %bb.2414:
	s_mov_b32 s10, 0x7f800001
	s_xor_b64 s[4:5], exec, -1
; %bb.2415:
	s_or_b64 exec, exec, s[8:9]
	s_and_b64 s[4:5], s[4:5], exec
	s_or_saveexec_b64 s[6:7], s[6:7]
	v_mov_b32_e32 v12, s10
	s_xor_b64 exec, exec, s[6:7]
	s_cbranch_execz .LBB41_366
.LBB41_2416:
	v_mov_b32_e32 v12, 0
	v_cmp_ne_u16_sdwa s[8:9], v11, v12 src0_sel:BYTE_0 src1_sel:DWORD
	s_andn2_b64 s[4:5], s[4:5], exec
	s_and_b64 s[8:9], s[8:9], exec
	s_or_b64 s[4:5], s[4:5], s[8:9]
	s_or_b64 exec, exec, s[6:7]
	s_and_saveexec_b64 s[6:7], s[4:5]
	s_cbranch_execnz .LBB41_367
	s_branch .LBB41_368
.LBB41_2417:
	s_movk_i32 s4, 0x80
	v_cmp_eq_u16_e32 vcc, s4, v11
	s_mov_b64 s[4:5], -1
                                        ; implicit-def: $sgpr10
	s_and_saveexec_b64 s[8:9], vcc
; %bb.2418:
	s_mov_b32 s10, 0x7f800001
	s_xor_b64 s[4:5], exec, -1
; %bb.2419:
	s_or_b64 exec, exec, s[8:9]
	s_and_b64 s[4:5], s[4:5], exec
                                        ; implicit-def: $vgpr11
	s_or_saveexec_b64 s[6:7], s[6:7]
	v_mov_b32_e32 v10, s10
	s_xor_b64 exec, exec, s[6:7]
	s_cbranch_execz .LBB41_370
.LBB41_2420:
	v_cmp_ne_u16_e32 vcc, 0, v11
	s_andn2_b64 s[4:5], s[4:5], exec
	s_and_b64 s[8:9], vcc, exec
	v_mov_b32_e32 v10, 0
	s_or_b64 s[4:5], s[4:5], s[8:9]
	s_or_b64 exec, exec, s[6:7]
	s_and_saveexec_b64 s[6:7], s[4:5]
	s_cbranch_execnz .LBB41_371
	s_branch .LBB41_372
.LBB41_2421:
	s_movk_i32 s4, 0x80
	v_cmp_eq_u16_e32 vcc, s4, v11
	s_mov_b64 s[4:5], -1
                                        ; implicit-def: $sgpr10
	s_and_saveexec_b64 s[8:9], vcc
; %bb.2422:
	s_mov_b32 s10, 0x7f800001
	s_xor_b64 s[4:5], exec, -1
; %bb.2423:
	s_or_b64 exec, exec, s[8:9]
	s_and_b64 s[4:5], s[4:5], exec
                                        ; implicit-def: $vgpr11
	s_or_saveexec_b64 s[6:7], s[6:7]
	v_mov_b32_e32 v12, s10
	s_xor_b64 exec, exec, s[6:7]
	s_cbranch_execz .LBB41_374
.LBB41_2424:
	v_cmp_ne_u16_e32 vcc, 0, v11
	s_andn2_b64 s[4:5], s[4:5], exec
	s_and_b64 s[8:9], vcc, exec
	v_mov_b32_e32 v12, 0
	s_or_b64 s[4:5], s[4:5], s[8:9]
	s_or_b64 exec, exec, s[6:7]
	s_and_saveexec_b64 s[6:7], s[4:5]
	s_cbranch_execnz .LBB41_375
	s_branch .LBB41_376
.LBB41_2425:
	s_movk_i32 s4, 0x80
	v_cmp_eq_u16_sdwa s[12:13], v17, s4 src0_sel:BYTE_3 src1_sel:DWORD
	s_mov_b64 s[4:5], -1
                                        ; implicit-def: $sgpr10
	s_and_saveexec_b64 s[8:9], s[12:13]
; %bb.2426:
	s_mov_b32 s10, 0x7f800001
	s_xor_b64 s[4:5], exec, -1
; %bb.2427:
	s_or_b64 exec, exec, s[8:9]
	s_and_b64 s[4:5], s[4:5], exec
	s_or_saveexec_b64 s[6:7], s[6:7]
	v_mov_b32_e32 v10, s10
	s_xor_b64 exec, exec, s[6:7]
	s_cbranch_execz .LBB41_378
.LBB41_2428:
	v_mov_b32_e32 v10, 0
	v_cmp_ne_u16_sdwa s[8:9], v17, v10 src0_sel:BYTE_3 src1_sel:DWORD
	s_andn2_b64 s[4:5], s[4:5], exec
	s_and_b64 s[8:9], s[8:9], exec
	s_or_b64 s[4:5], s[4:5], s[8:9]
	s_or_b64 exec, exec, s[6:7]
	s_and_saveexec_b64 s[6:7], s[4:5]
	s_cbranch_execnz .LBB41_379
	s_branch .LBB41_380
.LBB41_2429:
	s_movk_i32 s4, 0x80
	v_cmp_eq_u16_sdwa s[12:13], v13, s4 src0_sel:BYTE_3 src1_sel:DWORD
	s_mov_b64 s[4:5], -1
                                        ; implicit-def: $sgpr10
	s_and_saveexec_b64 s[8:9], s[12:13]
; %bb.2430:
	s_mov_b32 s10, 0x7f800001
	s_xor_b64 s[4:5], exec, -1
; %bb.2431:
	s_or_b64 exec, exec, s[8:9]
	s_and_b64 s[4:5], s[4:5], exec
	s_or_saveexec_b64 s[6:7], s[6:7]
	v_mov_b32_e32 v11, s10
	s_xor_b64 exec, exec, s[6:7]
	s_cbranch_execz .LBB41_382
.LBB41_2432:
	v_mov_b32_e32 v11, 0
	v_cmp_ne_u16_sdwa s[8:9], v13, v11 src0_sel:BYTE_3 src1_sel:DWORD
	s_andn2_b64 s[4:5], s[4:5], exec
	s_and_b64 s[8:9], s[8:9], exec
	s_or_b64 s[4:5], s[4:5], s[8:9]
	s_or_b64 exec, exec, s[6:7]
	s_and_saveexec_b64 s[6:7], s[4:5]
	s_cbranch_execnz .LBB41_383
	s_branch .LBB41_384
.LBB41_2433:
	s_movk_i32 s4, 0x80
	v_cmp_eq_u16_sdwa s[12:13], v6, s4 src0_sel:BYTE_0 src1_sel:DWORD
	s_mov_b64 s[4:5], -1
                                        ; implicit-def: $sgpr10
	s_and_saveexec_b64 s[8:9], s[12:13]
; %bb.2434:
	s_mov_b32 s10, 0x7f800001
	s_xor_b64 s[4:5], exec, -1
; %bb.2435:
	s_or_b64 exec, exec, s[8:9]
	s_and_b64 s[4:5], s[4:5], exec
	s_or_saveexec_b64 s[6:7], s[6:7]
	v_mov_b32_e32 v10, s10
	s_xor_b64 exec, exec, s[6:7]
	s_cbranch_execz .LBB41_386
.LBB41_2436:
	v_mov_b32_e32 v10, 0
	v_cmp_ne_u16_sdwa s[8:9], v6, v10 src0_sel:BYTE_0 src1_sel:DWORD
	s_andn2_b64 s[4:5], s[4:5], exec
	s_and_b64 s[8:9], s[8:9], exec
	s_or_b64 s[4:5], s[4:5], s[8:9]
	s_or_b64 exec, exec, s[6:7]
	s_and_saveexec_b64 s[6:7], s[4:5]
	s_cbranch_execnz .LBB41_387
	s_branch .LBB41_388
.LBB41_2437:
	s_movk_i32 s4, 0x80
	v_cmp_eq_u16_sdwa s[12:13], v2, s4 src0_sel:BYTE_0 src1_sel:DWORD
	s_mov_b64 s[4:5], -1
                                        ; implicit-def: $sgpr10
	s_and_saveexec_b64 s[8:9], s[12:13]
; %bb.2438:
	s_mov_b32 s10, 0x7f800001
	s_xor_b64 s[4:5], exec, -1
; %bb.2439:
	s_or_b64 exec, exec, s[8:9]
	s_and_b64 s[4:5], s[4:5], exec
	s_or_saveexec_b64 s[6:7], s[6:7]
	v_mov_b32_e32 v11, s10
	s_xor_b64 exec, exec, s[6:7]
	s_cbranch_execz .LBB41_390
.LBB41_2440:
	v_mov_b32_e32 v11, 0
	v_cmp_ne_u16_sdwa s[8:9], v2, v11 src0_sel:BYTE_0 src1_sel:DWORD
	s_andn2_b64 s[4:5], s[4:5], exec
	s_and_b64 s[8:9], s[8:9], exec
	s_or_b64 s[4:5], s[4:5], s[8:9]
	s_or_b64 exec, exec, s[6:7]
	s_and_saveexec_b64 s[6:7], s[4:5]
	s_cbranch_execnz .LBB41_391
	s_branch .LBB41_392
.LBB41_2441:
	s_movk_i32 s4, 0x80
	v_cmp_eq_u16_sdwa s[12:13], v11, s4 src0_sel:BYTE_0 src1_sel:DWORD
	s_mov_b64 s[4:5], -1
                                        ; implicit-def: $sgpr10
	s_and_saveexec_b64 s[8:9], s[12:13]
; %bb.2442:
	s_mov_b32 s10, 0x7f800001
	s_xor_b64 s[4:5], exec, -1
; %bb.2443:
	s_or_b64 exec, exec, s[8:9]
	s_and_b64 s[4:5], s[4:5], exec
	s_or_saveexec_b64 s[6:7], s[6:7]
	v_mov_b32_e32 v10, s10
	s_xor_b64 exec, exec, s[6:7]
	s_cbranch_execz .LBB41_394
.LBB41_2444:
	v_mov_b32_e32 v10, 0
	v_cmp_ne_u16_sdwa s[8:9], v11, v10 src0_sel:BYTE_0 src1_sel:DWORD
	s_andn2_b64 s[4:5], s[4:5], exec
	s_and_b64 s[8:9], s[8:9], exec
	s_or_b64 s[4:5], s[4:5], s[8:9]
	s_or_b64 exec, exec, s[6:7]
	s_and_saveexec_b64 s[6:7], s[4:5]
	s_cbranch_execnz .LBB41_395
	s_branch .LBB41_396
.LBB41_2445:
	s_movk_i32 s4, 0x80
	v_cmp_eq_u16_sdwa s[12:13], v11, s4 src0_sel:BYTE_0 src1_sel:DWORD
	s_mov_b64 s[4:5], -1
                                        ; implicit-def: $sgpr10
	s_and_saveexec_b64 s[8:9], s[12:13]
; %bb.2446:
	s_mov_b32 s10, 0x7f800001
	s_xor_b64 s[4:5], exec, -1
; %bb.2447:
	s_or_b64 exec, exec, s[8:9]
	s_and_b64 s[4:5], s[4:5], exec
	s_or_saveexec_b64 s[6:7], s[6:7]
	v_mov_b32_e32 v12, s10
	s_xor_b64 exec, exec, s[6:7]
	s_cbranch_execz .LBB41_398
.LBB41_2448:
	v_mov_b32_e32 v12, 0
	v_cmp_ne_u16_sdwa s[8:9], v11, v12 src0_sel:BYTE_0 src1_sel:DWORD
	s_andn2_b64 s[4:5], s[4:5], exec
	s_and_b64 s[8:9], s[8:9], exec
	s_or_b64 s[4:5], s[4:5], s[8:9]
	s_or_b64 exec, exec, s[6:7]
	s_and_saveexec_b64 s[6:7], s[4:5]
	s_cbranch_execnz .LBB41_399
	s_branch .LBB41_400
.LBB41_2449:
	s_movk_i32 s4, 0x80
	v_cmp_eq_u16_e32 vcc, s4, v11
	s_mov_b64 s[4:5], -1
                                        ; implicit-def: $sgpr10
	s_and_saveexec_b64 s[8:9], vcc
; %bb.2450:
	s_mov_b32 s10, 0x7f800001
	s_xor_b64 s[4:5], exec, -1
; %bb.2451:
	s_or_b64 exec, exec, s[8:9]
	s_and_b64 s[4:5], s[4:5], exec
                                        ; implicit-def: $vgpr11
	s_or_saveexec_b64 s[6:7], s[6:7]
	v_mov_b32_e32 v10, s10
	s_xor_b64 exec, exec, s[6:7]
	s_cbranch_execz .LBB41_402
.LBB41_2452:
	v_cmp_ne_u16_e32 vcc, 0, v11
	s_andn2_b64 s[4:5], s[4:5], exec
	s_and_b64 s[8:9], vcc, exec
	v_mov_b32_e32 v10, 0
	s_or_b64 s[4:5], s[4:5], s[8:9]
	s_or_b64 exec, exec, s[6:7]
	s_and_saveexec_b64 s[6:7], s[4:5]
	s_cbranch_execnz .LBB41_403
	s_branch .LBB41_404
.LBB41_2453:
	s_movk_i32 s4, 0x80
	v_cmp_eq_u16_e32 vcc, s4, v11
	s_mov_b64 s[4:5], -1
                                        ; implicit-def: $sgpr10
	s_and_saveexec_b64 s[8:9], vcc
; %bb.2454:
	s_mov_b32 s10, 0x7f800001
	s_xor_b64 s[4:5], exec, -1
; %bb.2455:
	s_or_b64 exec, exec, s[8:9]
	s_and_b64 s[4:5], s[4:5], exec
                                        ; implicit-def: $vgpr11
	s_or_saveexec_b64 s[6:7], s[6:7]
	v_mov_b32_e32 v12, s10
	s_xor_b64 exec, exec, s[6:7]
	s_cbranch_execz .LBB41_406
.LBB41_2456:
	v_cmp_ne_u16_e32 vcc, 0, v11
	s_andn2_b64 s[4:5], s[4:5], exec
	s_and_b64 s[8:9], vcc, exec
	v_mov_b32_e32 v12, 0
	s_or_b64 s[4:5], s[4:5], s[8:9]
	s_or_b64 exec, exec, s[6:7]
	s_and_saveexec_b64 s[6:7], s[4:5]
	s_cbranch_execnz .LBB41_407
	s_branch .LBB41_408
.LBB41_2457:
	s_movk_i32 s4, 0x80
	v_cmp_eq_u16_sdwa s[12:13], v6, s4 src0_sel:BYTE_3 src1_sel:DWORD
	s_mov_b64 s[4:5], -1
                                        ; implicit-def: $sgpr10
	s_and_saveexec_b64 s[8:9], s[12:13]
; %bb.2458:
	s_mov_b32 s10, 0x7f800001
	s_xor_b64 s[4:5], exec, -1
; %bb.2459:
	s_or_b64 exec, exec, s[8:9]
	s_and_b64 s[4:5], s[4:5], exec
	s_or_saveexec_b64 s[6:7], s[6:7]
	v_mov_b32_e32 v10, s10
	s_xor_b64 exec, exec, s[6:7]
	s_cbranch_execz .LBB41_410
.LBB41_2460:
	v_mov_b32_e32 v10, 0
	v_cmp_ne_u16_sdwa s[8:9], v6, v10 src0_sel:BYTE_3 src1_sel:DWORD
	s_andn2_b64 s[4:5], s[4:5], exec
	s_and_b64 s[8:9], s[8:9], exec
	s_or_b64 s[4:5], s[4:5], s[8:9]
	s_or_b64 exec, exec, s[6:7]
	s_and_saveexec_b64 s[6:7], s[4:5]
	s_cbranch_execnz .LBB41_411
	s_branch .LBB41_412
.LBB41_2461:
	s_movk_i32 s4, 0x80
	v_cmp_eq_u16_sdwa s[12:13], v2, s4 src0_sel:BYTE_3 src1_sel:DWORD
	s_mov_b64 s[4:5], -1
                                        ; implicit-def: $sgpr10
	s_and_saveexec_b64 s[8:9], s[12:13]
; %bb.2462:
	s_mov_b32 s10, 0x7f800001
	s_xor_b64 s[4:5], exec, -1
; %bb.2463:
	s_or_b64 exec, exec, s[8:9]
	s_and_b64 s[4:5], s[4:5], exec
	s_or_saveexec_b64 s[6:7], s[6:7]
	v_mov_b32_e32 v6, s10
	s_xor_b64 exec, exec, s[6:7]
	s_cbranch_execz .LBB41_414
.LBB41_2464:
	v_mov_b32_e32 v6, 0
	v_cmp_ne_u16_sdwa s[8:9], v2, v6 src0_sel:BYTE_3 src1_sel:DWORD
	s_andn2_b64 s[4:5], s[4:5], exec
	s_and_b64 s[8:9], s[8:9], exec
	s_or_b64 s[4:5], s[4:5], s[8:9]
	s_or_b64 exec, exec, s[6:7]
	s_and_saveexec_b64 s[6:7], s[4:5]
	s_cbranch_execnz .LBB41_415
	s_branch .LBB41_416
.LBB41_2465:
	s_movk_i32 s4, 0x80
	v_cmp_eq_u16_sdwa s[12:13], v7, s4 src0_sel:BYTE_0 src1_sel:DWORD
	s_mov_b64 s[4:5], -1
                                        ; implicit-def: $sgpr10
	s_and_saveexec_b64 s[8:9], s[12:13]
; %bb.2466:
	s_mov_b32 s10, 0x7f800001
	s_xor_b64 s[4:5], exec, -1
; %bb.2467:
	s_or_b64 exec, exec, s[8:9]
	s_and_b64 s[4:5], s[4:5], exec
	s_or_saveexec_b64 s[6:7], s[6:7]
	v_mov_b32_e32 v2, s10
	s_xor_b64 exec, exec, s[6:7]
	s_cbranch_execz .LBB41_418
.LBB41_2468:
	v_mov_b32_e32 v2, 0
	v_cmp_ne_u16_sdwa s[8:9], v7, v2 src0_sel:BYTE_0 src1_sel:DWORD
	s_andn2_b64 s[4:5], s[4:5], exec
	s_and_b64 s[8:9], s[8:9], exec
	s_or_b64 s[4:5], s[4:5], s[8:9]
	s_or_b64 exec, exec, s[6:7]
	s_and_saveexec_b64 s[6:7], s[4:5]
	s_cbranch_execnz .LBB41_419
	s_branch .LBB41_420
.LBB41_2469:
	s_movk_i32 s4, 0x80
	v_cmp_eq_u16_sdwa s[12:13], v3, s4 src0_sel:BYTE_0 src1_sel:DWORD
	s_mov_b64 s[4:5], -1
                                        ; implicit-def: $sgpr10
	s_and_saveexec_b64 s[8:9], s[12:13]
; %bb.2470:
	s_mov_b32 s10, 0x7f800001
	s_xor_b64 s[4:5], exec, -1
; %bb.2471:
	s_or_b64 exec, exec, s[8:9]
	s_and_b64 s[4:5], s[4:5], exec
	s_or_saveexec_b64 s[6:7], s[6:7]
	v_mov_b32_e32 v6, s10
	s_xor_b64 exec, exec, s[6:7]
	s_cbranch_execz .LBB41_422
.LBB41_2472:
	v_mov_b32_e32 v6, 0
	v_cmp_ne_u16_sdwa s[8:9], v3, v6 src0_sel:BYTE_0 src1_sel:DWORD
	s_andn2_b64 s[4:5], s[4:5], exec
	s_and_b64 s[8:9], s[8:9], exec
	s_or_b64 s[4:5], s[4:5], s[8:9]
	s_or_b64 exec, exec, s[6:7]
	s_and_saveexec_b64 s[6:7], s[4:5]
	s_cbranch_execnz .LBB41_423
	s_branch .LBB41_424
.LBB41_2473:
	s_movk_i32 s4, 0x80
	v_cmp_eq_u16_sdwa s[12:13], v6, s4 src0_sel:BYTE_0 src1_sel:DWORD
	s_mov_b64 s[4:5], -1
                                        ; implicit-def: $sgpr10
	s_and_saveexec_b64 s[8:9], s[12:13]
; %bb.2474:
	s_mov_b32 s10, 0x7f800001
	s_xor_b64 s[4:5], exec, -1
; %bb.2475:
	s_or_b64 exec, exec, s[8:9]
	s_and_b64 s[4:5], s[4:5], exec
	s_or_saveexec_b64 s[6:7], s[6:7]
	v_mov_b32_e32 v2, s10
	s_xor_b64 exec, exec, s[6:7]
	s_cbranch_execz .LBB41_426
.LBB41_2476:
	v_mov_b32_e32 v2, 0
	v_cmp_ne_u16_sdwa s[8:9], v6, v2 src0_sel:BYTE_0 src1_sel:DWORD
	s_andn2_b64 s[4:5], s[4:5], exec
	s_and_b64 s[8:9], s[8:9], exec
	s_or_b64 s[4:5], s[4:5], s[8:9]
	s_or_b64 exec, exec, s[6:7]
	s_and_saveexec_b64 s[6:7], s[4:5]
	s_cbranch_execnz .LBB41_427
	s_branch .LBB41_428
.LBB41_2477:
	s_movk_i32 s4, 0x80
	v_cmp_eq_u16_sdwa s[12:13], v6, s4 src0_sel:BYTE_0 src1_sel:DWORD
	s_mov_b64 s[4:5], -1
                                        ; implicit-def: $sgpr10
	s_and_saveexec_b64 s[8:9], s[12:13]
; %bb.2478:
	s_mov_b32 s10, 0x7f800001
	s_xor_b64 s[4:5], exec, -1
; %bb.2479:
	s_or_b64 exec, exec, s[8:9]
	s_and_b64 s[4:5], s[4:5], exec
	s_or_saveexec_b64 s[6:7], s[6:7]
	v_mov_b32_e32 v10, s10
	s_xor_b64 exec, exec, s[6:7]
	s_cbranch_execz .LBB41_430
.LBB41_2480:
	v_mov_b32_e32 v10, 0
	v_cmp_ne_u16_sdwa s[8:9], v6, v10 src0_sel:BYTE_0 src1_sel:DWORD
	s_andn2_b64 s[4:5], s[4:5], exec
	s_and_b64 s[8:9], s[8:9], exec
	s_or_b64 s[4:5], s[4:5], s[8:9]
	s_or_b64 exec, exec, s[6:7]
	s_and_saveexec_b64 s[6:7], s[4:5]
	s_cbranch_execnz .LBB41_431
	s_branch .LBB41_432
.LBB41_2481:
	s_movk_i32 s4, 0x80
	v_cmp_eq_u16_e32 vcc, s4, v6
	s_mov_b64 s[4:5], -1
                                        ; implicit-def: $sgpr10
	s_and_saveexec_b64 s[8:9], vcc
; %bb.2482:
	s_mov_b32 s10, 0x7f800001
	s_xor_b64 s[4:5], exec, -1
; %bb.2483:
	s_or_b64 exec, exec, s[8:9]
	s_and_b64 s[4:5], s[4:5], exec
                                        ; implicit-def: $vgpr6
	s_or_saveexec_b64 s[6:7], s[6:7]
	v_mov_b32_e32 v2, s10
	s_xor_b64 exec, exec, s[6:7]
	s_cbranch_execz .LBB41_434
.LBB41_2484:
	v_cmp_ne_u16_e32 vcc, 0, v6
	s_andn2_b64 s[4:5], s[4:5], exec
	s_and_b64 s[8:9], vcc, exec
	v_mov_b32_e32 v2, 0
	s_or_b64 s[4:5], s[4:5], s[8:9]
	s_or_b64 exec, exec, s[6:7]
	s_and_saveexec_b64 s[6:7], s[4:5]
	s_cbranch_execnz .LBB41_435
	s_branch .LBB41_436
.LBB41_2485:
	s_movk_i32 s4, 0x80
	v_cmp_eq_u16_e32 vcc, s4, v6
	s_mov_b64 s[4:5], -1
                                        ; implicit-def: $sgpr10
	s_and_saveexec_b64 s[8:9], vcc
; %bb.2486:
	s_mov_b32 s10, 0x7f800001
	s_xor_b64 s[4:5], exec, -1
; %bb.2487:
	s_or_b64 exec, exec, s[8:9]
	s_and_b64 s[4:5], s[4:5], exec
                                        ; implicit-def: $vgpr6
	s_or_saveexec_b64 s[6:7], s[6:7]
	v_mov_b32_e32 v10, s10
	s_xor_b64 exec, exec, s[6:7]
	s_cbranch_execz .LBB41_438
.LBB41_2488:
	v_cmp_ne_u16_e32 vcc, 0, v6
	s_andn2_b64 s[4:5], s[4:5], exec
	s_and_b64 s[8:9], vcc, exec
	v_mov_b32_e32 v10, 0
	s_or_b64 s[4:5], s[4:5], s[8:9]
	s_or_b64 exec, exec, s[6:7]
	s_and_saveexec_b64 s[6:7], s[4:5]
	s_cbranch_execnz .LBB41_439
	s_branch .LBB41_440
.LBB41_2489:
	s_movk_i32 s4, 0x80
	v_cmp_eq_u16_sdwa s[12:13], v7, s4 src0_sel:BYTE_3 src1_sel:DWORD
	s_mov_b64 s[4:5], -1
                                        ; implicit-def: $sgpr10
	s_and_saveexec_b64 s[8:9], s[12:13]
; %bb.2490:
	s_mov_b32 s10, 0x7f800001
	s_xor_b64 s[4:5], exec, -1
; %bb.2491:
	s_or_b64 exec, exec, s[8:9]
	s_and_b64 s[4:5], s[4:5], exec
	s_or_saveexec_b64 s[6:7], s[6:7]
	v_mov_b32_e32 v2, s10
	s_xor_b64 exec, exec, s[6:7]
	s_cbranch_execz .LBB41_442
.LBB41_2492:
	v_mov_b32_e32 v2, 0
	v_cmp_ne_u16_sdwa s[8:9], v7, v2 src0_sel:BYTE_3 src1_sel:DWORD
	s_andn2_b64 s[4:5], s[4:5], exec
	s_and_b64 s[8:9], s[8:9], exec
	s_or_b64 s[4:5], s[4:5], s[8:9]
	s_or_b64 exec, exec, s[6:7]
	s_and_saveexec_b64 s[6:7], s[4:5]
	s_cbranch_execnz .LBB41_443
	s_branch .LBB41_444
.LBB41_2493:
	s_movk_i32 s4, 0x80
	v_cmp_eq_u16_sdwa s[12:13], v3, s4 src0_sel:BYTE_3 src1_sel:DWORD
	s_mov_b64 s[4:5], -1
                                        ; implicit-def: $sgpr10
	s_and_saveexec_b64 s[8:9], s[12:13]
; %bb.2494:
	s_mov_b32 s10, 0x7f800001
	s_xor_b64 s[4:5], exec, -1
; %bb.2495:
	s_or_b64 exec, exec, s[8:9]
	s_and_b64 s[4:5], s[4:5], exec
	s_or_saveexec_b64 s[6:7], s[6:7]
	v_mov_b32_e32 v6, s10
	s_xor_b64 exec, exec, s[6:7]
	s_cbranch_execz .LBB41_446
.LBB41_2496:
	v_mov_b32_e32 v6, 0
	v_cmp_ne_u16_sdwa s[8:9], v3, v6 src0_sel:BYTE_3 src1_sel:DWORD
	s_andn2_b64 s[4:5], s[4:5], exec
	s_and_b64 s[8:9], s[8:9], exec
	s_or_b64 s[4:5], s[4:5], s[8:9]
	s_or_b64 exec, exec, s[6:7]
	s_and_saveexec_b64 s[6:7], s[4:5]
	s_cbranch_execnz .LBB41_447
	s_branch .LBB41_448
.LBB41_2497:
	s_movk_i32 s4, 0x80
	v_cmp_eq_u16_sdwa s[12:13], v8, s4 src0_sel:BYTE_0 src1_sel:DWORD
	s_mov_b64 s[4:5], -1
                                        ; implicit-def: $sgpr10
	s_and_saveexec_b64 s[8:9], s[12:13]
; %bb.2498:
	s_mov_b32 s10, 0x7f800001
	s_xor_b64 s[4:5], exec, -1
; %bb.2499:
	s_or_b64 exec, exec, s[8:9]
	s_and_b64 s[4:5], s[4:5], exec
	s_or_saveexec_b64 s[6:7], s[6:7]
	v_mov_b32_e32 v2, s10
	s_xor_b64 exec, exec, s[6:7]
	s_cbranch_execz .LBB41_450
.LBB41_2500:
	v_mov_b32_e32 v2, 0
	v_cmp_ne_u16_sdwa s[8:9], v8, v2 src0_sel:BYTE_0 src1_sel:DWORD
	s_andn2_b64 s[4:5], s[4:5], exec
	s_and_b64 s[8:9], s[8:9], exec
	s_or_b64 s[4:5], s[4:5], s[8:9]
	s_or_b64 exec, exec, s[6:7]
	s_and_saveexec_b64 s[6:7], s[4:5]
	s_cbranch_execnz .LBB41_451
	s_branch .LBB41_452
.LBB41_2501:
	s_movk_i32 s4, 0x80
	v_cmp_eq_u16_sdwa s[12:13], v4, s4 src0_sel:BYTE_0 src1_sel:DWORD
	s_mov_b64 s[4:5], -1
                                        ; implicit-def: $sgpr10
	s_and_saveexec_b64 s[8:9], s[12:13]
; %bb.2502:
	s_mov_b32 s10, 0x7f800001
	s_xor_b64 s[4:5], exec, -1
; %bb.2503:
	s_or_b64 exec, exec, s[8:9]
	s_and_b64 s[4:5], s[4:5], exec
	s_or_saveexec_b64 s[6:7], s[6:7]
	v_mov_b32_e32 v3, s10
	s_xor_b64 exec, exec, s[6:7]
	s_cbranch_execz .LBB41_454
.LBB41_2504:
	v_mov_b32_e32 v3, 0
	v_cmp_ne_u16_sdwa s[8:9], v4, v3 src0_sel:BYTE_0 src1_sel:DWORD
	s_andn2_b64 s[4:5], s[4:5], exec
	s_and_b64 s[8:9], s[8:9], exec
	s_or_b64 s[4:5], s[4:5], s[8:9]
	s_or_b64 exec, exec, s[6:7]
	s_and_saveexec_b64 s[6:7], s[4:5]
	s_cbranch_execnz .LBB41_455
	s_branch .LBB41_456
.LBB41_2505:
	s_movk_i32 s4, 0x80
	v_cmp_eq_u16_sdwa s[12:13], v3, s4 src0_sel:BYTE_0 src1_sel:DWORD
	s_mov_b64 s[4:5], -1
                                        ; implicit-def: $sgpr10
	s_and_saveexec_b64 s[8:9], s[12:13]
; %bb.2506:
	s_mov_b32 s10, 0x7f800001
	s_xor_b64 s[4:5], exec, -1
; %bb.2507:
	s_or_b64 exec, exec, s[8:9]
	s_and_b64 s[4:5], s[4:5], exec
	s_or_saveexec_b64 s[6:7], s[6:7]
	v_mov_b32_e32 v2, s10
	s_xor_b64 exec, exec, s[6:7]
	s_cbranch_execz .LBB41_458
.LBB41_2508:
	v_mov_b32_e32 v2, 0
	v_cmp_ne_u16_sdwa s[8:9], v3, v2 src0_sel:BYTE_0 src1_sel:DWORD
	s_andn2_b64 s[4:5], s[4:5], exec
	s_and_b64 s[8:9], s[8:9], exec
	s_or_b64 s[4:5], s[4:5], s[8:9]
	s_or_b64 exec, exec, s[6:7]
	s_and_saveexec_b64 s[6:7], s[4:5]
	s_cbranch_execnz .LBB41_459
	s_branch .LBB41_460
.LBB41_2509:
	s_movk_i32 s4, 0x80
	v_cmp_eq_u16_sdwa s[12:13], v3, s4 src0_sel:BYTE_0 src1_sel:DWORD
	s_mov_b64 s[4:5], -1
                                        ; implicit-def: $sgpr10
	s_and_saveexec_b64 s[8:9], s[12:13]
; %bb.2510:
	s_mov_b32 s10, 0x7f800001
	s_xor_b64 s[4:5], exec, -1
; %bb.2511:
	s_or_b64 exec, exec, s[8:9]
	s_and_b64 s[4:5], s[4:5], exec
	s_or_saveexec_b64 s[6:7], s[6:7]
	v_mov_b32_e32 v6, s10
	s_xor_b64 exec, exec, s[6:7]
	s_cbranch_execz .LBB41_462
.LBB41_2512:
	v_mov_b32_e32 v6, 0
	v_cmp_ne_u16_sdwa s[8:9], v3, v6 src0_sel:BYTE_0 src1_sel:DWORD
	s_andn2_b64 s[4:5], s[4:5], exec
	s_and_b64 s[8:9], s[8:9], exec
	s_or_b64 s[4:5], s[4:5], s[8:9]
	s_or_b64 exec, exec, s[6:7]
	s_and_saveexec_b64 s[6:7], s[4:5]
	s_cbranch_execnz .LBB41_463
	s_branch .LBB41_464
.LBB41_2513:
	s_movk_i32 s4, 0x80
	v_cmp_eq_u16_e32 vcc, s4, v3
	s_mov_b64 s[4:5], -1
                                        ; implicit-def: $sgpr10
	s_and_saveexec_b64 s[8:9], vcc
; %bb.2514:
	s_mov_b32 s10, 0x7f800001
	s_xor_b64 s[4:5], exec, -1
; %bb.2515:
	s_or_b64 exec, exec, s[8:9]
	s_and_b64 s[4:5], s[4:5], exec
                                        ; implicit-def: $vgpr3
	s_or_saveexec_b64 s[6:7], s[6:7]
	v_mov_b32_e32 v2, s10
	s_xor_b64 exec, exec, s[6:7]
	s_cbranch_execz .LBB41_466
.LBB41_2516:
	v_cmp_ne_u16_e32 vcc, 0, v3
	s_andn2_b64 s[4:5], s[4:5], exec
	s_and_b64 s[8:9], vcc, exec
	v_mov_b32_e32 v2, 0
	s_or_b64 s[4:5], s[4:5], s[8:9]
	s_or_b64 exec, exec, s[6:7]
	s_and_saveexec_b64 s[6:7], s[4:5]
	s_cbranch_execnz .LBB41_467
	s_branch .LBB41_468
.LBB41_2517:
	s_movk_i32 s4, 0x80
	v_cmp_eq_u16_e32 vcc, s4, v3
	s_mov_b64 s[4:5], -1
                                        ; implicit-def: $sgpr10
	s_and_saveexec_b64 s[8:9], vcc
; %bb.2518:
	s_mov_b32 s10, 0x7f800001
	s_xor_b64 s[4:5], exec, -1
; %bb.2519:
	s_or_b64 exec, exec, s[8:9]
	s_and_b64 s[4:5], s[4:5], exec
                                        ; implicit-def: $vgpr3
	s_or_saveexec_b64 s[6:7], s[6:7]
	v_mov_b32_e32 v6, s10
	s_xor_b64 exec, exec, s[6:7]
	s_cbranch_execz .LBB41_470
.LBB41_2520:
	v_cmp_ne_u16_e32 vcc, 0, v3
	s_andn2_b64 s[4:5], s[4:5], exec
	s_and_b64 s[8:9], vcc, exec
	v_mov_b32_e32 v6, 0
	s_or_b64 s[4:5], s[4:5], s[8:9]
	s_or_b64 exec, exec, s[6:7]
	s_and_saveexec_b64 s[6:7], s[4:5]
	s_cbranch_execnz .LBB41_471
	s_branch .LBB41_472
.LBB41_2521:
	s_movk_i32 s4, 0x80
	v_cmp_eq_u16_sdwa s[12:13], v8, s4 src0_sel:BYTE_3 src1_sel:DWORD
	s_mov_b64 s[4:5], -1
                                        ; implicit-def: $sgpr10
	s_and_saveexec_b64 s[8:9], s[12:13]
; %bb.2522:
	s_mov_b32 s10, 0x7f800001
	s_xor_b64 s[4:5], exec, -1
; %bb.2523:
	s_or_b64 exec, exec, s[8:9]
	s_and_b64 s[4:5], s[4:5], exec
	s_or_saveexec_b64 s[6:7], s[6:7]
	v_mov_b32_e32 v2, s10
	s_xor_b64 exec, exec, s[6:7]
	s_cbranch_execz .LBB41_474
.LBB41_2524:
	v_mov_b32_e32 v2, 0
	v_cmp_ne_u16_sdwa s[8:9], v8, v2 src0_sel:BYTE_3 src1_sel:DWORD
	s_andn2_b64 s[4:5], s[4:5], exec
	s_and_b64 s[8:9], s[8:9], exec
	s_or_b64 s[4:5], s[4:5], s[8:9]
	s_or_b64 exec, exec, s[6:7]
	s_and_saveexec_b64 s[6:7], s[4:5]
	s_cbranch_execnz .LBB41_475
	s_branch .LBB41_476
.LBB41_2525:
	s_movk_i32 s4, 0x80
	v_cmp_eq_u16_sdwa s[12:13], v4, s4 src0_sel:BYTE_3 src1_sel:DWORD
	s_mov_b64 s[4:5], -1
                                        ; implicit-def: $sgpr10
	s_and_saveexec_b64 s[8:9], s[12:13]
; %bb.2526:
	s_mov_b32 s10, 0x7f800001
	s_xor_b64 s[4:5], exec, -1
; %bb.2527:
	s_or_b64 exec, exec, s[8:9]
	s_and_b64 s[4:5], s[4:5], exec
	s_or_saveexec_b64 s[6:7], s[6:7]
	v_mov_b32_e32 v3, s10
	s_xor_b64 exec, exec, s[6:7]
	s_cbranch_execz .LBB41_478
.LBB41_2528:
	v_mov_b32_e32 v3, 0
	v_cmp_ne_u16_sdwa s[8:9], v4, v3 src0_sel:BYTE_3 src1_sel:DWORD
	s_andn2_b64 s[4:5], s[4:5], exec
	s_and_b64 s[8:9], s[8:9], exec
	s_or_b64 s[4:5], s[4:5], s[8:9]
	s_or_b64 exec, exec, s[6:7]
	s_and_saveexec_b64 s[6:7], s[4:5]
	s_cbranch_execnz .LBB41_479
	s_branch .LBB41_480
.LBB41_2529:
	s_movk_i32 s4, 0x80
	v_cmp_eq_u16_sdwa s[12:13], v9, s4 src0_sel:BYTE_0 src1_sel:DWORD
	s_mov_b64 s[4:5], -1
                                        ; implicit-def: $sgpr10
	s_and_saveexec_b64 s[8:9], s[12:13]
; %bb.2530:
	s_mov_b32 s10, 0x7f800001
	s_xor_b64 s[4:5], exec, -1
; %bb.2531:
	s_or_b64 exec, exec, s[8:9]
	s_and_b64 s[4:5], s[4:5], exec
	s_or_saveexec_b64 s[6:7], s[6:7]
	v_mov_b32_e32 v2, s10
	s_xor_b64 exec, exec, s[6:7]
	s_cbranch_execz .LBB41_482
.LBB41_2532:
	v_mov_b32_e32 v2, 0
	v_cmp_ne_u16_sdwa s[8:9], v9, v2 src0_sel:BYTE_0 src1_sel:DWORD
	s_andn2_b64 s[4:5], s[4:5], exec
	s_and_b64 s[8:9], s[8:9], exec
	s_or_b64 s[4:5], s[4:5], s[8:9]
	s_or_b64 exec, exec, s[6:7]
	s_and_saveexec_b64 s[6:7], s[4:5]
	s_cbranch_execnz .LBB41_483
	s_branch .LBB41_484
.LBB41_2533:
	s_movk_i32 s4, 0x80
	v_cmp_eq_u16_sdwa s[12:13], v5, s4 src0_sel:BYTE_0 src1_sel:DWORD
	s_mov_b64 s[4:5], -1
                                        ; implicit-def: $sgpr10
	s_and_saveexec_b64 s[8:9], s[12:13]
; %bb.2534:
	s_mov_b32 s10, 0x7f800001
	s_xor_b64 s[4:5], exec, -1
; %bb.2535:
	s_or_b64 exec, exec, s[8:9]
	s_and_b64 s[4:5], s[4:5], exec
	s_or_saveexec_b64 s[6:7], s[6:7]
	v_mov_b32_e32 v3, s10
	s_xor_b64 exec, exec, s[6:7]
	s_cbranch_execz .LBB41_486
.LBB41_2536:
	v_mov_b32_e32 v3, 0
	v_cmp_ne_u16_sdwa s[8:9], v5, v3 src0_sel:BYTE_0 src1_sel:DWORD
	s_andn2_b64 s[4:5], s[4:5], exec
	s_and_b64 s[8:9], s[8:9], exec
	s_or_b64 s[4:5], s[4:5], s[8:9]
	s_or_b64 exec, exec, s[6:7]
	s_and_saveexec_b64 s[6:7], s[4:5]
	s_cbranch_execnz .LBB41_487
	s_branch .LBB41_488
.LBB41_2537:
	s_movk_i32 s4, 0x80
	v_cmp_eq_u16_sdwa s[12:13], v3, s4 src0_sel:BYTE_0 src1_sel:DWORD
	s_mov_b64 s[4:5], -1
                                        ; implicit-def: $sgpr10
	s_and_saveexec_b64 s[8:9], s[12:13]
; %bb.2538:
	s_mov_b32 s10, 0x7f800001
	s_xor_b64 s[4:5], exec, -1
; %bb.2539:
	s_or_b64 exec, exec, s[8:9]
	s_and_b64 s[4:5], s[4:5], exec
	s_or_saveexec_b64 s[6:7], s[6:7]
	v_mov_b32_e32 v2, s10
	s_xor_b64 exec, exec, s[6:7]
	s_cbranch_execz .LBB41_490
.LBB41_2540:
	v_mov_b32_e32 v2, 0
	v_cmp_ne_u16_sdwa s[8:9], v3, v2 src0_sel:BYTE_0 src1_sel:DWORD
	s_andn2_b64 s[4:5], s[4:5], exec
	s_and_b64 s[8:9], s[8:9], exec
	s_or_b64 s[4:5], s[4:5], s[8:9]
	s_or_b64 exec, exec, s[6:7]
	s_and_saveexec_b64 s[6:7], s[4:5]
	s_cbranch_execnz .LBB41_491
	s_branch .LBB41_492
.LBB41_2541:
	s_movk_i32 s4, 0x80
	v_cmp_eq_u16_sdwa s[12:13], v3, s4 src0_sel:BYTE_0 src1_sel:DWORD
	s_mov_b64 s[4:5], -1
                                        ; implicit-def: $sgpr10
	s_and_saveexec_b64 s[8:9], s[12:13]
; %bb.2542:
	s_mov_b32 s10, 0x7f800001
	s_xor_b64 s[4:5], exec, -1
; %bb.2543:
	s_or_b64 exec, exec, s[8:9]
	s_and_b64 s[4:5], s[4:5], exec
	s_or_saveexec_b64 s[6:7], s[6:7]
	v_mov_b32_e32 v4, s10
	s_xor_b64 exec, exec, s[6:7]
	s_cbranch_execz .LBB41_494
.LBB41_2544:
	v_mov_b32_e32 v4, 0
	v_cmp_ne_u16_sdwa s[8:9], v3, v4 src0_sel:BYTE_0 src1_sel:DWORD
	s_andn2_b64 s[4:5], s[4:5], exec
	s_and_b64 s[8:9], s[8:9], exec
	s_or_b64 s[4:5], s[4:5], s[8:9]
	s_or_b64 exec, exec, s[6:7]
	s_and_saveexec_b64 s[6:7], s[4:5]
	s_cbranch_execnz .LBB41_495
	s_branch .LBB41_496
.LBB41_2545:
	s_movk_i32 s4, 0x80
	v_cmp_eq_u16_e32 vcc, s4, v3
	s_mov_b64 s[4:5], -1
                                        ; implicit-def: $sgpr10
	s_and_saveexec_b64 s[8:9], vcc
; %bb.2546:
	s_mov_b32 s10, 0x7f800001
	s_xor_b64 s[4:5], exec, -1
; %bb.2547:
	s_or_b64 exec, exec, s[8:9]
	s_and_b64 s[4:5], s[4:5], exec
                                        ; implicit-def: $vgpr3
	s_or_saveexec_b64 s[6:7], s[6:7]
	v_mov_b32_e32 v2, s10
	s_xor_b64 exec, exec, s[6:7]
	s_cbranch_execz .LBB41_498
.LBB41_2548:
	v_cmp_ne_u16_e32 vcc, 0, v3
	s_andn2_b64 s[4:5], s[4:5], exec
	s_and_b64 s[8:9], vcc, exec
	v_mov_b32_e32 v2, 0
	s_or_b64 s[4:5], s[4:5], s[8:9]
	s_or_b64 exec, exec, s[6:7]
	s_and_saveexec_b64 s[6:7], s[4:5]
	s_cbranch_execnz .LBB41_499
	s_branch .LBB41_500
.LBB41_2549:
	s_movk_i32 s4, 0x80
	v_cmp_eq_u16_e32 vcc, s4, v3
	s_mov_b64 s[4:5], -1
                                        ; implicit-def: $sgpr10
	s_and_saveexec_b64 s[8:9], vcc
; %bb.2550:
	s_mov_b32 s10, 0x7f800001
	s_xor_b64 s[4:5], exec, -1
; %bb.2551:
	s_or_b64 exec, exec, s[8:9]
	s_and_b64 s[4:5], s[4:5], exec
                                        ; implicit-def: $vgpr3
	s_or_saveexec_b64 s[6:7], s[6:7]
	v_mov_b32_e32 v4, s10
	s_xor_b64 exec, exec, s[6:7]
	s_cbranch_execz .LBB41_502
.LBB41_2552:
	v_cmp_ne_u16_e32 vcc, 0, v3
	s_andn2_b64 s[4:5], s[4:5], exec
	s_and_b64 s[8:9], vcc, exec
	v_mov_b32_e32 v4, 0
	s_or_b64 s[4:5], s[4:5], s[8:9]
	s_or_b64 exec, exec, s[6:7]
	s_and_saveexec_b64 s[6:7], s[4:5]
	s_cbranch_execnz .LBB41_503
	s_branch .LBB41_504
.LBB41_2553:
	s_movk_i32 s4, 0x80
	v_cmp_eq_u16_sdwa s[12:13], v9, s4 src0_sel:BYTE_3 src1_sel:DWORD
	s_mov_b64 s[4:5], -1
                                        ; implicit-def: $sgpr10
	s_and_saveexec_b64 s[8:9], s[12:13]
; %bb.2554:
	s_mov_b32 s10, 0x7f800001
	s_xor_b64 s[4:5], exec, -1
; %bb.2555:
	s_or_b64 exec, exec, s[8:9]
	s_and_b64 s[4:5], s[4:5], exec
	s_or_saveexec_b64 s[6:7], s[6:7]
	v_mov_b32_e32 v2, s10
	s_xor_b64 exec, exec, s[6:7]
	s_cbranch_execz .LBB41_506
.LBB41_2556:
	v_mov_b32_e32 v2, 0
	v_cmp_ne_u16_sdwa s[8:9], v9, v2 src0_sel:BYTE_3 src1_sel:DWORD
	s_andn2_b64 s[4:5], s[4:5], exec
	s_and_b64 s[8:9], s[8:9], exec
	s_or_b64 s[4:5], s[4:5], s[8:9]
	s_or_b64 exec, exec, s[6:7]
	s_and_saveexec_b64 s[6:7], s[4:5]
	s_cbranch_execnz .LBB41_507
	s_branch .LBB41_508
.LBB41_2557:
	s_movk_i32 s4, 0x80
	v_cmp_eq_u16_sdwa s[12:13], v5, s4 src0_sel:BYTE_3 src1_sel:DWORD
	s_mov_b64 s[4:5], -1
                                        ; implicit-def: $sgpr10
	s_and_saveexec_b64 s[8:9], s[12:13]
; %bb.2558:
	s_mov_b32 s10, 0x7f800001
	s_xor_b64 s[4:5], exec, -1
; %bb.2559:
	s_or_b64 exec, exec, s[8:9]
	s_and_b64 s[4:5], s[4:5], exec
	s_or_saveexec_b64 s[6:7], s[6:7]
	v_mov_b32_e32 v3, s10
	s_xor_b64 exec, exec, s[6:7]
	s_cbranch_execz .LBB41_510
.LBB41_2560:
	v_mov_b32_e32 v3, 0
	v_cmp_ne_u16_sdwa s[8:9], v5, v3 src0_sel:BYTE_3 src1_sel:DWORD
	s_andn2_b64 s[4:5], s[4:5], exec
	s_and_b64 s[8:9], s[8:9], exec
	s_or_b64 s[4:5], s[4:5], s[8:9]
	s_or_b64 exec, exec, s[6:7]
	s_and_saveexec_b64 s[6:7], s[4:5]
	s_cbranch_execnz .LBB41_511
	s_branch .LBB41_512
.LBB41_2561:
	s_movk_i32 s4, 0x80
	v_cmp_eq_u16_sdwa s[12:13], v14, s4 src0_sel:BYTE_0 src1_sel:DWORD
	s_mov_b64 s[4:5], -1
                                        ; implicit-def: $sgpr10
	s_and_saveexec_b64 s[8:9], s[12:13]
; %bb.2562:
	s_mov_b32 s10, 0x7f800001
	s_xor_b64 s[4:5], exec, -1
; %bb.2563:
	s_or_b64 exec, exec, s[8:9]
	s_and_b64 s[4:5], s[4:5], exec
	s_or_saveexec_b64 s[6:7], s[6:7]
	v_mov_b32_e32 v20, s10
	s_xor_b64 exec, exec, s[6:7]
	s_cbranch_execz .LBB41_514
.LBB41_2564:
	v_mov_b32_e32 v20, 0
	v_cmp_ne_u16_sdwa s[8:9], v14, v20 src0_sel:BYTE_0 src1_sel:DWORD
	s_andn2_b64 s[4:5], s[4:5], exec
	s_and_b64 s[8:9], s[8:9], exec
	s_or_b64 s[4:5], s[4:5], s[8:9]
	s_or_b64 exec, exec, s[6:7]
	s_and_saveexec_b64 s[6:7], s[4:5]
	s_cbranch_execnz .LBB41_515
	s_branch .LBB41_516
.LBB41_2565:
	s_movk_i32 s4, 0x80
	v_cmp_eq_u16_sdwa s[12:13], v10, s4 src0_sel:BYTE_0 src1_sel:DWORD
	s_mov_b64 s[4:5], -1
                                        ; implicit-def: $sgpr10
	s_and_saveexec_b64 s[8:9], s[12:13]
; %bb.2566:
	s_mov_b32 s10, 0x7f800001
	s_xor_b64 s[4:5], exec, -1
; %bb.2567:
	s_or_b64 exec, exec, s[8:9]
	s_and_b64 s[4:5], s[4:5], exec
	s_or_saveexec_b64 s[6:7], s[6:7]
	v_mov_b32_e32 v21, s10
	s_xor_b64 exec, exec, s[6:7]
	s_cbranch_execz .LBB41_518
.LBB41_2568:
	v_mov_b32_e32 v21, 0
	v_cmp_ne_u16_sdwa s[8:9], v10, v21 src0_sel:BYTE_0 src1_sel:DWORD
	s_andn2_b64 s[4:5], s[4:5], exec
	s_and_b64 s[8:9], s[8:9], exec
	s_or_b64 s[4:5], s[4:5], s[8:9]
	s_or_b64 exec, exec, s[6:7]
	s_and_saveexec_b64 s[6:7], s[4:5]
	s_cbranch_execnz .LBB41_519
	s_branch .LBB41_520
.LBB41_2569:
	s_movk_i32 s4, 0x80
	v_cmp_eq_u16_sdwa s[12:13], v21, s4 src0_sel:BYTE_0 src1_sel:DWORD
	s_mov_b64 s[4:5], -1
                                        ; implicit-def: $sgpr10
	s_and_saveexec_b64 s[8:9], s[12:13]
; %bb.2570:
	s_mov_b32 s10, 0x7f800001
	s_xor_b64 s[4:5], exec, -1
; %bb.2571:
	s_or_b64 exec, exec, s[8:9]
	s_and_b64 s[4:5], s[4:5], exec
	s_or_saveexec_b64 s[6:7], s[6:7]
	v_mov_b32_e32 v20, s10
	s_xor_b64 exec, exec, s[6:7]
	s_cbranch_execz .LBB41_522
.LBB41_2572:
	v_mov_b32_e32 v20, 0
	v_cmp_ne_u16_sdwa s[8:9], v21, v20 src0_sel:BYTE_0 src1_sel:DWORD
	s_andn2_b64 s[4:5], s[4:5], exec
	s_and_b64 s[8:9], s[8:9], exec
	s_or_b64 s[4:5], s[4:5], s[8:9]
	s_or_b64 exec, exec, s[6:7]
	s_and_saveexec_b64 s[6:7], s[4:5]
	s_cbranch_execnz .LBB41_523
	s_branch .LBB41_524
.LBB41_2573:
	s_movk_i32 s4, 0x80
	v_cmp_eq_u16_sdwa s[12:13], v21, s4 src0_sel:BYTE_0 src1_sel:DWORD
	s_mov_b64 s[4:5], -1
                                        ; implicit-def: $sgpr10
	s_and_saveexec_b64 s[8:9], s[12:13]
; %bb.2574:
	s_mov_b32 s10, 0x7f800001
	s_xor_b64 s[4:5], exec, -1
; %bb.2575:
	s_or_b64 exec, exec, s[8:9]
	s_and_b64 s[4:5], s[4:5], exec
	s_or_saveexec_b64 s[6:7], s[6:7]
	v_mov_b32_e32 v22, s10
	s_xor_b64 exec, exec, s[6:7]
	s_cbranch_execz .LBB41_526
.LBB41_2576:
	v_mov_b32_e32 v22, 0
	v_cmp_ne_u16_sdwa s[8:9], v21, v22 src0_sel:BYTE_0 src1_sel:DWORD
	s_andn2_b64 s[4:5], s[4:5], exec
	s_and_b64 s[8:9], s[8:9], exec
	s_or_b64 s[4:5], s[4:5], s[8:9]
	s_or_b64 exec, exec, s[6:7]
	s_and_saveexec_b64 s[6:7], s[4:5]
	s_cbranch_execnz .LBB41_527
	s_branch .LBB41_528
.LBB41_2577:
	s_movk_i32 s4, 0x80
	v_cmp_eq_u16_e32 vcc, s4, v21
	s_mov_b64 s[4:5], -1
                                        ; implicit-def: $sgpr10
	s_and_saveexec_b64 s[8:9], vcc
; %bb.2578:
	s_mov_b32 s10, 0x7f800001
	s_xor_b64 s[4:5], exec, -1
; %bb.2579:
	s_or_b64 exec, exec, s[8:9]
	s_and_b64 s[4:5], s[4:5], exec
                                        ; implicit-def: $vgpr21
	s_or_saveexec_b64 s[6:7], s[6:7]
	v_mov_b32_e32 v20, s10
	s_xor_b64 exec, exec, s[6:7]
	s_cbranch_execz .LBB41_530
.LBB41_2580:
	v_cmp_ne_u16_e32 vcc, 0, v21
	s_andn2_b64 s[4:5], s[4:5], exec
	s_and_b64 s[8:9], vcc, exec
	v_mov_b32_e32 v20, 0
	s_or_b64 s[4:5], s[4:5], s[8:9]
	s_or_b64 exec, exec, s[6:7]
	s_and_saveexec_b64 s[6:7], s[4:5]
	s_cbranch_execnz .LBB41_531
	s_branch .LBB41_532
.LBB41_2581:
	s_movk_i32 s4, 0x80
	v_cmp_eq_u16_e32 vcc, s4, v21
	s_mov_b64 s[4:5], -1
                                        ; implicit-def: $sgpr10
	s_and_saveexec_b64 s[8:9], vcc
; %bb.2582:
	s_mov_b32 s10, 0x7f800001
	s_xor_b64 s[4:5], exec, -1
; %bb.2583:
	s_or_b64 exec, exec, s[8:9]
	s_and_b64 s[4:5], s[4:5], exec
                                        ; implicit-def: $vgpr21
	s_or_saveexec_b64 s[6:7], s[6:7]
	v_mov_b32_e32 v22, s10
	s_xor_b64 exec, exec, s[6:7]
	s_cbranch_execz .LBB41_534
.LBB41_2584:
	v_cmp_ne_u16_e32 vcc, 0, v21
	s_andn2_b64 s[4:5], s[4:5], exec
	s_and_b64 s[8:9], vcc, exec
	v_mov_b32_e32 v22, 0
	s_or_b64 s[4:5], s[4:5], s[8:9]
	s_or_b64 exec, exec, s[6:7]
	s_and_saveexec_b64 s[6:7], s[4:5]
	s_cbranch_execnz .LBB41_535
	s_branch .LBB41_536
.LBB41_2585:
	s_movk_i32 s4, 0x80
	v_cmp_eq_u16_sdwa s[12:13], v14, s4 src0_sel:BYTE_3 src1_sel:DWORD
	s_mov_b64 s[4:5], -1
                                        ; implicit-def: $sgpr10
	s_and_saveexec_b64 s[8:9], s[12:13]
; %bb.2586:
	s_mov_b32 s10, 0x7f800001
	s_xor_b64 s[4:5], exec, -1
; %bb.2587:
	s_or_b64 exec, exec, s[8:9]
	s_and_b64 s[4:5], s[4:5], exec
	s_or_saveexec_b64 s[6:7], s[6:7]
	v_mov_b32_e32 v20, s10
	s_xor_b64 exec, exec, s[6:7]
	s_cbranch_execz .LBB41_538
.LBB41_2588:
	v_mov_b32_e32 v20, 0
	v_cmp_ne_u16_sdwa s[8:9], v14, v20 src0_sel:BYTE_3 src1_sel:DWORD
	s_andn2_b64 s[4:5], s[4:5], exec
	s_and_b64 s[8:9], s[8:9], exec
	s_or_b64 s[4:5], s[4:5], s[8:9]
	s_or_b64 exec, exec, s[6:7]
	s_and_saveexec_b64 s[6:7], s[4:5]
	s_cbranch_execnz .LBB41_539
	s_branch .LBB41_540
.LBB41_2589:
	s_movk_i32 s4, 0x80
	v_cmp_eq_u16_sdwa s[12:13], v10, s4 src0_sel:BYTE_3 src1_sel:DWORD
	s_mov_b64 s[4:5], -1
                                        ; implicit-def: $sgpr10
	s_and_saveexec_b64 s[8:9], s[12:13]
; %bb.2590:
	s_mov_b32 s10, 0x7f800001
	s_xor_b64 s[4:5], exec, -1
; %bb.2591:
	s_or_b64 exec, exec, s[8:9]
	s_and_b64 s[4:5], s[4:5], exec
	s_or_saveexec_b64 s[6:7], s[6:7]
	v_mov_b32_e32 v14, s10
	s_xor_b64 exec, exec, s[6:7]
	s_cbranch_execz .LBB41_542
.LBB41_2592:
	v_mov_b32_e32 v14, 0
	v_cmp_ne_u16_sdwa s[8:9], v10, v14 src0_sel:BYTE_3 src1_sel:DWORD
	s_andn2_b64 s[4:5], s[4:5], exec
	s_and_b64 s[8:9], s[8:9], exec
	s_or_b64 s[4:5], s[4:5], s[8:9]
	s_or_b64 exec, exec, s[6:7]
	s_and_saveexec_b64 s[6:7], s[4:5]
	s_cbranch_execnz .LBB41_543
	s_branch .LBB41_544
.LBB41_2593:
	s_movk_i32 s4, 0x80
	v_cmp_eq_u16_sdwa s[12:13], v15, s4 src0_sel:BYTE_0 src1_sel:DWORD
	s_mov_b64 s[4:5], -1
                                        ; implicit-def: $sgpr10
	s_and_saveexec_b64 s[8:9], s[12:13]
; %bb.2594:
	s_mov_b32 s10, 0x7f800001
	s_xor_b64 s[4:5], exec, -1
; %bb.2595:
	s_or_b64 exec, exec, s[8:9]
	s_and_b64 s[4:5], s[4:5], exec
	s_or_saveexec_b64 s[6:7], s[6:7]
	v_mov_b32_e32 v10, s10
	s_xor_b64 exec, exec, s[6:7]
	s_cbranch_execz .LBB41_546
.LBB41_2596:
	v_mov_b32_e32 v10, 0
	v_cmp_ne_u16_sdwa s[8:9], v15, v10 src0_sel:BYTE_0 src1_sel:DWORD
	s_andn2_b64 s[4:5], s[4:5], exec
	s_and_b64 s[8:9], s[8:9], exec
	s_or_b64 s[4:5], s[4:5], s[8:9]
	s_or_b64 exec, exec, s[6:7]
	s_and_saveexec_b64 s[6:7], s[4:5]
	s_cbranch_execnz .LBB41_547
	s_branch .LBB41_548
.LBB41_2597:
	s_movk_i32 s4, 0x80
	v_cmp_eq_u16_sdwa s[12:13], v11, s4 src0_sel:BYTE_0 src1_sel:DWORD
	s_mov_b64 s[4:5], -1
                                        ; implicit-def: $sgpr10
	s_and_saveexec_b64 s[8:9], s[12:13]
; %bb.2598:
	s_mov_b32 s10, 0x7f800001
	s_xor_b64 s[4:5], exec, -1
; %bb.2599:
	s_or_b64 exec, exec, s[8:9]
	s_and_b64 s[4:5], s[4:5], exec
	s_or_saveexec_b64 s[6:7], s[6:7]
	v_mov_b32_e32 v14, s10
	s_xor_b64 exec, exec, s[6:7]
	s_cbranch_execz .LBB41_550
.LBB41_2600:
	v_mov_b32_e32 v14, 0
	v_cmp_ne_u16_sdwa s[8:9], v11, v14 src0_sel:BYTE_0 src1_sel:DWORD
	s_andn2_b64 s[4:5], s[4:5], exec
	s_and_b64 s[8:9], s[8:9], exec
	s_or_b64 s[4:5], s[4:5], s[8:9]
	s_or_b64 exec, exec, s[6:7]
	s_and_saveexec_b64 s[6:7], s[4:5]
	s_cbranch_execnz .LBB41_551
	s_branch .LBB41_552
.LBB41_2601:
	s_movk_i32 s4, 0x80
	v_cmp_eq_u16_sdwa s[12:13], v14, s4 src0_sel:BYTE_0 src1_sel:DWORD
	s_mov_b64 s[4:5], -1
                                        ; implicit-def: $sgpr10
	s_and_saveexec_b64 s[8:9], s[12:13]
; %bb.2602:
	s_mov_b32 s10, 0x7f800001
	s_xor_b64 s[4:5], exec, -1
; %bb.2603:
	s_or_b64 exec, exec, s[8:9]
	s_and_b64 s[4:5], s[4:5], exec
	s_or_saveexec_b64 s[6:7], s[6:7]
	v_mov_b32_e32 v10, s10
	s_xor_b64 exec, exec, s[6:7]
	s_cbranch_execz .LBB41_554
.LBB41_2604:
	v_mov_b32_e32 v10, 0
	v_cmp_ne_u16_sdwa s[8:9], v14, v10 src0_sel:BYTE_0 src1_sel:DWORD
	s_andn2_b64 s[4:5], s[4:5], exec
	s_and_b64 s[8:9], s[8:9], exec
	s_or_b64 s[4:5], s[4:5], s[8:9]
	s_or_b64 exec, exec, s[6:7]
	s_and_saveexec_b64 s[6:7], s[4:5]
	s_cbranch_execnz .LBB41_555
	s_branch .LBB41_556
.LBB41_2605:
	s_movk_i32 s4, 0x80
	v_cmp_eq_u16_sdwa s[12:13], v14, s4 src0_sel:BYTE_0 src1_sel:DWORD
	s_mov_b64 s[4:5], -1
                                        ; implicit-def: $sgpr10
	s_and_saveexec_b64 s[8:9], s[12:13]
; %bb.2606:
	s_mov_b32 s10, 0x7f800001
	s_xor_b64 s[4:5], exec, -1
; %bb.2607:
	s_or_b64 exec, exec, s[8:9]
	s_and_b64 s[4:5], s[4:5], exec
	s_or_saveexec_b64 s[6:7], s[6:7]
	v_mov_b32_e32 v20, s10
	s_xor_b64 exec, exec, s[6:7]
	s_cbranch_execz .LBB41_558
.LBB41_2608:
	v_mov_b32_e32 v20, 0
	v_cmp_ne_u16_sdwa s[8:9], v14, v20 src0_sel:BYTE_0 src1_sel:DWORD
	s_andn2_b64 s[4:5], s[4:5], exec
	s_and_b64 s[8:9], s[8:9], exec
	s_or_b64 s[4:5], s[4:5], s[8:9]
	s_or_b64 exec, exec, s[6:7]
	s_and_saveexec_b64 s[6:7], s[4:5]
	s_cbranch_execnz .LBB41_559
	s_branch .LBB41_560
.LBB41_2609:
	s_movk_i32 s4, 0x80
	v_cmp_eq_u16_e32 vcc, s4, v14
	s_mov_b64 s[4:5], -1
                                        ; implicit-def: $sgpr10
	s_and_saveexec_b64 s[8:9], vcc
; %bb.2610:
	s_mov_b32 s10, 0x7f800001
	s_xor_b64 s[4:5], exec, -1
; %bb.2611:
	s_or_b64 exec, exec, s[8:9]
	s_and_b64 s[4:5], s[4:5], exec
                                        ; implicit-def: $vgpr14
	s_or_saveexec_b64 s[6:7], s[6:7]
	v_mov_b32_e32 v10, s10
	s_xor_b64 exec, exec, s[6:7]
	s_cbranch_execz .LBB41_562
.LBB41_2612:
	v_cmp_ne_u16_e32 vcc, 0, v14
	s_andn2_b64 s[4:5], s[4:5], exec
	s_and_b64 s[8:9], vcc, exec
	v_mov_b32_e32 v10, 0
	s_or_b64 s[4:5], s[4:5], s[8:9]
	s_or_b64 exec, exec, s[6:7]
	s_and_saveexec_b64 s[6:7], s[4:5]
	s_cbranch_execnz .LBB41_563
	s_branch .LBB41_564
.LBB41_2613:
	s_movk_i32 s4, 0x80
	v_cmp_eq_u16_e32 vcc, s4, v14
	s_mov_b64 s[4:5], -1
                                        ; implicit-def: $sgpr10
	s_and_saveexec_b64 s[8:9], vcc
; %bb.2614:
	s_mov_b32 s10, 0x7f800001
	s_xor_b64 s[4:5], exec, -1
; %bb.2615:
	s_or_b64 exec, exec, s[8:9]
	s_and_b64 s[4:5], s[4:5], exec
                                        ; implicit-def: $vgpr14
	s_or_saveexec_b64 s[6:7], s[6:7]
	v_mov_b32_e32 v20, s10
	s_xor_b64 exec, exec, s[6:7]
	s_cbranch_execz .LBB41_566
.LBB41_2616:
	v_cmp_ne_u16_e32 vcc, 0, v14
	s_andn2_b64 s[4:5], s[4:5], exec
	s_and_b64 s[8:9], vcc, exec
	v_mov_b32_e32 v20, 0
	s_or_b64 s[4:5], s[4:5], s[8:9]
	s_or_b64 exec, exec, s[6:7]
	s_and_saveexec_b64 s[6:7], s[4:5]
	s_cbranch_execnz .LBB41_567
	s_branch .LBB41_568
.LBB41_2617:
	s_movk_i32 s4, 0x80
	v_cmp_eq_u16_sdwa s[12:13], v15, s4 src0_sel:BYTE_3 src1_sel:DWORD
	s_mov_b64 s[4:5], -1
                                        ; implicit-def: $sgpr10
	s_and_saveexec_b64 s[8:9], s[12:13]
; %bb.2618:
	s_mov_b32 s10, 0x7f800001
	s_xor_b64 s[4:5], exec, -1
; %bb.2619:
	s_or_b64 exec, exec, s[8:9]
	s_and_b64 s[4:5], s[4:5], exec
	s_or_saveexec_b64 s[6:7], s[6:7]
	v_mov_b32_e32 v10, s10
	s_xor_b64 exec, exec, s[6:7]
	s_cbranch_execz .LBB41_570
.LBB41_2620:
	v_mov_b32_e32 v10, 0
	v_cmp_ne_u16_sdwa s[8:9], v15, v10 src0_sel:BYTE_3 src1_sel:DWORD
	s_andn2_b64 s[4:5], s[4:5], exec
	s_and_b64 s[8:9], s[8:9], exec
	s_or_b64 s[4:5], s[4:5], s[8:9]
	s_or_b64 exec, exec, s[6:7]
	s_and_saveexec_b64 s[6:7], s[4:5]
	s_cbranch_execnz .LBB41_571
	s_branch .LBB41_572
.LBB41_2621:
	s_movk_i32 s4, 0x80
	v_cmp_eq_u16_sdwa s[12:13], v11, s4 src0_sel:BYTE_3 src1_sel:DWORD
	s_mov_b64 s[4:5], -1
                                        ; implicit-def: $sgpr10
	s_and_saveexec_b64 s[8:9], s[12:13]
; %bb.2622:
	s_mov_b32 s10, 0x7f800001
	s_xor_b64 s[4:5], exec, -1
; %bb.2623:
	s_or_b64 exec, exec, s[8:9]
	s_and_b64 s[4:5], s[4:5], exec
	s_or_saveexec_b64 s[6:7], s[6:7]
	v_mov_b32_e32 v14, s10
	s_xor_b64 exec, exec, s[6:7]
	s_cbranch_execz .LBB41_574
.LBB41_2624:
	v_mov_b32_e32 v14, 0
	v_cmp_ne_u16_sdwa s[8:9], v11, v14 src0_sel:BYTE_3 src1_sel:DWORD
	s_andn2_b64 s[4:5], s[4:5], exec
	s_and_b64 s[8:9], s[8:9], exec
	s_or_b64 s[4:5], s[4:5], s[8:9]
	s_or_b64 exec, exec, s[6:7]
	s_and_saveexec_b64 s[6:7], s[4:5]
	s_cbranch_execnz .LBB41_575
	s_branch .LBB41_576
.LBB41_2625:
	s_movk_i32 s4, 0x80
	v_cmp_eq_u16_sdwa s[12:13], v16, s4 src0_sel:BYTE_0 src1_sel:DWORD
	s_mov_b64 s[4:5], -1
                                        ; implicit-def: $sgpr10
	s_and_saveexec_b64 s[8:9], s[12:13]
; %bb.2626:
	s_mov_b32 s10, 0x7f800001
	s_xor_b64 s[4:5], exec, -1
; %bb.2627:
	s_or_b64 exec, exec, s[8:9]
	s_and_b64 s[4:5], s[4:5], exec
	s_or_saveexec_b64 s[6:7], s[6:7]
	v_mov_b32_e32 v10, s10
	s_xor_b64 exec, exec, s[6:7]
	s_cbranch_execz .LBB41_578
.LBB41_2628:
	v_mov_b32_e32 v10, 0
	v_cmp_ne_u16_sdwa s[8:9], v16, v10 src0_sel:BYTE_0 src1_sel:DWORD
	s_andn2_b64 s[4:5], s[4:5], exec
	s_and_b64 s[8:9], s[8:9], exec
	s_or_b64 s[4:5], s[4:5], s[8:9]
	s_or_b64 exec, exec, s[6:7]
	s_and_saveexec_b64 s[6:7], s[4:5]
	s_cbranch_execnz .LBB41_579
	s_branch .LBB41_580
.LBB41_2629:
	s_movk_i32 s4, 0x80
	v_cmp_eq_u16_sdwa s[12:13], v12, s4 src0_sel:BYTE_0 src1_sel:DWORD
	s_mov_b64 s[4:5], -1
                                        ; implicit-def: $sgpr10
	s_and_saveexec_b64 s[8:9], s[12:13]
; %bb.2630:
	s_mov_b32 s10, 0x7f800001
	s_xor_b64 s[4:5], exec, -1
; %bb.2631:
	s_or_b64 exec, exec, s[8:9]
	s_and_b64 s[4:5], s[4:5], exec
	s_or_saveexec_b64 s[6:7], s[6:7]
	v_mov_b32_e32 v11, s10
	s_xor_b64 exec, exec, s[6:7]
	s_cbranch_execz .LBB41_582
.LBB41_2632:
	v_mov_b32_e32 v11, 0
	v_cmp_ne_u16_sdwa s[8:9], v12, v11 src0_sel:BYTE_0 src1_sel:DWORD
	s_andn2_b64 s[4:5], s[4:5], exec
	s_and_b64 s[8:9], s[8:9], exec
	s_or_b64 s[4:5], s[4:5], s[8:9]
	s_or_b64 exec, exec, s[6:7]
	s_and_saveexec_b64 s[6:7], s[4:5]
	s_cbranch_execnz .LBB41_583
	s_branch .LBB41_584
.LBB41_2633:
	s_movk_i32 s4, 0x80
	v_cmp_eq_u16_sdwa s[12:13], v11, s4 src0_sel:BYTE_0 src1_sel:DWORD
	s_mov_b64 s[4:5], -1
                                        ; implicit-def: $sgpr10
	s_and_saveexec_b64 s[8:9], s[12:13]
; %bb.2634:
	s_mov_b32 s10, 0x7f800001
	s_xor_b64 s[4:5], exec, -1
; %bb.2635:
	s_or_b64 exec, exec, s[8:9]
	s_and_b64 s[4:5], s[4:5], exec
	s_or_saveexec_b64 s[6:7], s[6:7]
	v_mov_b32_e32 v10, s10
	s_xor_b64 exec, exec, s[6:7]
	s_cbranch_execz .LBB41_586
.LBB41_2636:
	v_mov_b32_e32 v10, 0
	v_cmp_ne_u16_sdwa s[8:9], v11, v10 src0_sel:BYTE_0 src1_sel:DWORD
	s_andn2_b64 s[4:5], s[4:5], exec
	s_and_b64 s[8:9], s[8:9], exec
	s_or_b64 s[4:5], s[4:5], s[8:9]
	s_or_b64 exec, exec, s[6:7]
	s_and_saveexec_b64 s[6:7], s[4:5]
	s_cbranch_execnz .LBB41_587
	s_branch .LBB41_588
.LBB41_2637:
	s_movk_i32 s4, 0x80
	v_cmp_eq_u16_sdwa s[12:13], v11, s4 src0_sel:BYTE_0 src1_sel:DWORD
	s_mov_b64 s[4:5], -1
                                        ; implicit-def: $sgpr10
	s_and_saveexec_b64 s[8:9], s[12:13]
; %bb.2638:
	s_mov_b32 s10, 0x7f800001
	s_xor_b64 s[4:5], exec, -1
; %bb.2639:
	s_or_b64 exec, exec, s[8:9]
	s_and_b64 s[4:5], s[4:5], exec
	s_or_saveexec_b64 s[6:7], s[6:7]
	v_mov_b32_e32 v14, s10
	s_xor_b64 exec, exec, s[6:7]
	s_cbranch_execz .LBB41_590
.LBB41_2640:
	v_mov_b32_e32 v14, 0
	v_cmp_ne_u16_sdwa s[8:9], v11, v14 src0_sel:BYTE_0 src1_sel:DWORD
	s_andn2_b64 s[4:5], s[4:5], exec
	s_and_b64 s[8:9], s[8:9], exec
	s_or_b64 s[4:5], s[4:5], s[8:9]
	s_or_b64 exec, exec, s[6:7]
	s_and_saveexec_b64 s[6:7], s[4:5]
	s_cbranch_execnz .LBB41_591
	s_branch .LBB41_592
.LBB41_2641:
	s_movk_i32 s4, 0x80
	v_cmp_eq_u16_e32 vcc, s4, v11
	s_mov_b64 s[4:5], -1
                                        ; implicit-def: $sgpr10
	s_and_saveexec_b64 s[8:9], vcc
; %bb.2642:
	s_mov_b32 s10, 0x7f800001
	s_xor_b64 s[4:5], exec, -1
; %bb.2643:
	s_or_b64 exec, exec, s[8:9]
	s_and_b64 s[4:5], s[4:5], exec
                                        ; implicit-def: $vgpr11
	s_or_saveexec_b64 s[6:7], s[6:7]
	v_mov_b32_e32 v10, s10
	s_xor_b64 exec, exec, s[6:7]
	s_cbranch_execz .LBB41_594
.LBB41_2644:
	v_cmp_ne_u16_e32 vcc, 0, v11
	s_andn2_b64 s[4:5], s[4:5], exec
	s_and_b64 s[8:9], vcc, exec
	v_mov_b32_e32 v10, 0
	s_or_b64 s[4:5], s[4:5], s[8:9]
	s_or_b64 exec, exec, s[6:7]
	s_and_saveexec_b64 s[6:7], s[4:5]
	s_cbranch_execnz .LBB41_595
	s_branch .LBB41_596
.LBB41_2645:
	s_movk_i32 s4, 0x80
	v_cmp_eq_u16_e32 vcc, s4, v11
	s_mov_b64 s[4:5], -1
                                        ; implicit-def: $sgpr10
	s_and_saveexec_b64 s[8:9], vcc
; %bb.2646:
	s_mov_b32 s10, 0x7f800001
	s_xor_b64 s[4:5], exec, -1
; %bb.2647:
	s_or_b64 exec, exec, s[8:9]
	s_and_b64 s[4:5], s[4:5], exec
                                        ; implicit-def: $vgpr11
	s_or_saveexec_b64 s[6:7], s[6:7]
	v_mov_b32_e32 v14, s10
	s_xor_b64 exec, exec, s[6:7]
	s_cbranch_execz .LBB41_598
.LBB41_2648:
	v_cmp_ne_u16_e32 vcc, 0, v11
	s_andn2_b64 s[4:5], s[4:5], exec
	s_and_b64 s[8:9], vcc, exec
	v_mov_b32_e32 v14, 0
	s_or_b64 s[4:5], s[4:5], s[8:9]
	s_or_b64 exec, exec, s[6:7]
	s_and_saveexec_b64 s[6:7], s[4:5]
	s_cbranch_execnz .LBB41_599
	s_branch .LBB41_600
.LBB41_2649:
	s_movk_i32 s4, 0x80
	v_cmp_eq_u16_sdwa s[12:13], v16, s4 src0_sel:BYTE_3 src1_sel:DWORD
	s_mov_b64 s[4:5], -1
                                        ; implicit-def: $sgpr10
	s_and_saveexec_b64 s[8:9], s[12:13]
; %bb.2650:
	s_mov_b32 s10, 0x7f800001
	s_xor_b64 s[4:5], exec, -1
; %bb.2651:
	s_or_b64 exec, exec, s[8:9]
	s_and_b64 s[4:5], s[4:5], exec
	s_or_saveexec_b64 s[6:7], s[6:7]
	v_mov_b32_e32 v10, s10
	s_xor_b64 exec, exec, s[6:7]
	s_cbranch_execz .LBB41_602
.LBB41_2652:
	v_mov_b32_e32 v10, 0
	v_cmp_ne_u16_sdwa s[8:9], v16, v10 src0_sel:BYTE_3 src1_sel:DWORD
	s_andn2_b64 s[4:5], s[4:5], exec
	s_and_b64 s[8:9], s[8:9], exec
	s_or_b64 s[4:5], s[4:5], s[8:9]
	s_or_b64 exec, exec, s[6:7]
	s_and_saveexec_b64 s[6:7], s[4:5]
	s_cbranch_execnz .LBB41_603
	s_branch .LBB41_604
.LBB41_2653:
	s_movk_i32 s4, 0x80
	v_cmp_eq_u16_sdwa s[12:13], v12, s4 src0_sel:BYTE_3 src1_sel:DWORD
	s_mov_b64 s[4:5], -1
                                        ; implicit-def: $sgpr10
	s_and_saveexec_b64 s[8:9], s[12:13]
; %bb.2654:
	s_mov_b32 s10, 0x7f800001
	s_xor_b64 s[4:5], exec, -1
; %bb.2655:
	s_or_b64 exec, exec, s[8:9]
	s_and_b64 s[4:5], s[4:5], exec
	s_or_saveexec_b64 s[6:7], s[6:7]
	v_mov_b32_e32 v11, s10
	s_xor_b64 exec, exec, s[6:7]
	s_cbranch_execz .LBB41_606
.LBB41_2656:
	v_mov_b32_e32 v11, 0
	v_cmp_ne_u16_sdwa s[8:9], v12, v11 src0_sel:BYTE_3 src1_sel:DWORD
	s_andn2_b64 s[4:5], s[4:5], exec
	s_and_b64 s[8:9], s[8:9], exec
	s_or_b64 s[4:5], s[4:5], s[8:9]
	s_or_b64 exec, exec, s[6:7]
	s_and_saveexec_b64 s[6:7], s[4:5]
	s_cbranch_execnz .LBB41_607
	s_branch .LBB41_608
.LBB41_2657:
	s_movk_i32 s4, 0x80
	v_cmp_eq_u16_sdwa s[12:13], v17, s4 src0_sel:BYTE_0 src1_sel:DWORD
	s_mov_b64 s[4:5], -1
                                        ; implicit-def: $sgpr10
	s_and_saveexec_b64 s[8:9], s[12:13]
; %bb.2658:
	s_mov_b32 s10, 0x7f800001
	s_xor_b64 s[4:5], exec, -1
; %bb.2659:
	s_or_b64 exec, exec, s[8:9]
	s_and_b64 s[4:5], s[4:5], exec
	s_or_saveexec_b64 s[6:7], s[6:7]
	v_mov_b32_e32 v10, s10
	s_xor_b64 exec, exec, s[6:7]
	s_cbranch_execz .LBB41_610
.LBB41_2660:
	v_mov_b32_e32 v10, 0
	v_cmp_ne_u16_sdwa s[8:9], v17, v10 src0_sel:BYTE_0 src1_sel:DWORD
	s_andn2_b64 s[4:5], s[4:5], exec
	s_and_b64 s[8:9], s[8:9], exec
	s_or_b64 s[4:5], s[4:5], s[8:9]
	s_or_b64 exec, exec, s[6:7]
	s_and_saveexec_b64 s[6:7], s[4:5]
	s_cbranch_execnz .LBB41_611
	s_branch .LBB41_612
.LBB41_2661:
	s_movk_i32 s4, 0x80
	v_cmp_eq_u16_sdwa s[12:13], v13, s4 src0_sel:BYTE_0 src1_sel:DWORD
	s_mov_b64 s[4:5], -1
                                        ; implicit-def: $sgpr10
	s_and_saveexec_b64 s[8:9], s[12:13]
; %bb.2662:
	s_mov_b32 s10, 0x7f800001
	s_xor_b64 s[4:5], exec, -1
; %bb.2663:
	s_or_b64 exec, exec, s[8:9]
	s_and_b64 s[4:5], s[4:5], exec
	s_or_saveexec_b64 s[6:7], s[6:7]
	v_mov_b32_e32 v11, s10
	s_xor_b64 exec, exec, s[6:7]
	s_cbranch_execz .LBB41_614
.LBB41_2664:
	v_mov_b32_e32 v11, 0
	v_cmp_ne_u16_sdwa s[8:9], v13, v11 src0_sel:BYTE_0 src1_sel:DWORD
	s_andn2_b64 s[4:5], s[4:5], exec
	s_and_b64 s[8:9], s[8:9], exec
	s_or_b64 s[4:5], s[4:5], s[8:9]
	s_or_b64 exec, exec, s[6:7]
	s_and_saveexec_b64 s[6:7], s[4:5]
	s_cbranch_execnz .LBB41_615
	s_branch .LBB41_616
.LBB41_2665:
	s_movk_i32 s4, 0x80
	v_cmp_eq_u16_sdwa s[12:13], v11, s4 src0_sel:BYTE_0 src1_sel:DWORD
	s_mov_b64 s[4:5], -1
                                        ; implicit-def: $sgpr10
	s_and_saveexec_b64 s[8:9], s[12:13]
; %bb.2666:
	s_mov_b32 s10, 0x7f800001
	s_xor_b64 s[4:5], exec, -1
; %bb.2667:
	s_or_b64 exec, exec, s[8:9]
	s_and_b64 s[4:5], s[4:5], exec
	s_or_saveexec_b64 s[6:7], s[6:7]
	v_mov_b32_e32 v10, s10
	s_xor_b64 exec, exec, s[6:7]
	s_cbranch_execz .LBB41_618
.LBB41_2668:
	v_mov_b32_e32 v10, 0
	v_cmp_ne_u16_sdwa s[8:9], v11, v10 src0_sel:BYTE_0 src1_sel:DWORD
	s_andn2_b64 s[4:5], s[4:5], exec
	s_and_b64 s[8:9], s[8:9], exec
	s_or_b64 s[4:5], s[4:5], s[8:9]
	s_or_b64 exec, exec, s[6:7]
	s_and_saveexec_b64 s[6:7], s[4:5]
	s_cbranch_execnz .LBB41_619
	s_branch .LBB41_620
.LBB41_2669:
	s_movk_i32 s4, 0x80
	v_cmp_eq_u16_sdwa s[12:13], v11, s4 src0_sel:BYTE_0 src1_sel:DWORD
	s_mov_b64 s[4:5], -1
                                        ; implicit-def: $sgpr10
	s_and_saveexec_b64 s[8:9], s[12:13]
; %bb.2670:
	s_mov_b32 s10, 0x7f800001
	s_xor_b64 s[4:5], exec, -1
; %bb.2671:
	s_or_b64 exec, exec, s[8:9]
	s_and_b64 s[4:5], s[4:5], exec
	s_or_saveexec_b64 s[6:7], s[6:7]
	v_mov_b32_e32 v12, s10
	s_xor_b64 exec, exec, s[6:7]
	s_cbranch_execz .LBB41_622
.LBB41_2672:
	v_mov_b32_e32 v12, 0
	v_cmp_ne_u16_sdwa s[8:9], v11, v12 src0_sel:BYTE_0 src1_sel:DWORD
	s_andn2_b64 s[4:5], s[4:5], exec
	s_and_b64 s[8:9], s[8:9], exec
	s_or_b64 s[4:5], s[4:5], s[8:9]
	s_or_b64 exec, exec, s[6:7]
	s_and_saveexec_b64 s[6:7], s[4:5]
	s_cbranch_execnz .LBB41_623
	s_branch .LBB41_624
.LBB41_2673:
	s_movk_i32 s4, 0x80
	v_cmp_eq_u16_e32 vcc, s4, v11
	s_mov_b64 s[4:5], -1
                                        ; implicit-def: $sgpr10
	s_and_saveexec_b64 s[8:9], vcc
; %bb.2674:
	s_mov_b32 s10, 0x7f800001
	s_xor_b64 s[4:5], exec, -1
; %bb.2675:
	s_or_b64 exec, exec, s[8:9]
	s_and_b64 s[4:5], s[4:5], exec
                                        ; implicit-def: $vgpr11
	s_or_saveexec_b64 s[6:7], s[6:7]
	v_mov_b32_e32 v10, s10
	s_xor_b64 exec, exec, s[6:7]
	s_cbranch_execz .LBB41_626
.LBB41_2676:
	v_cmp_ne_u16_e32 vcc, 0, v11
	s_andn2_b64 s[4:5], s[4:5], exec
	s_and_b64 s[8:9], vcc, exec
	v_mov_b32_e32 v10, 0
	s_or_b64 s[4:5], s[4:5], s[8:9]
	s_or_b64 exec, exec, s[6:7]
	s_and_saveexec_b64 s[6:7], s[4:5]
	s_cbranch_execnz .LBB41_627
	s_branch .LBB41_628
.LBB41_2677:
	s_movk_i32 s4, 0x80
	v_cmp_eq_u16_e32 vcc, s4, v11
	s_mov_b64 s[4:5], -1
                                        ; implicit-def: $sgpr10
	s_and_saveexec_b64 s[8:9], vcc
; %bb.2678:
	s_mov_b32 s10, 0x7f800001
	s_xor_b64 s[4:5], exec, -1
; %bb.2679:
	s_or_b64 exec, exec, s[8:9]
	s_and_b64 s[4:5], s[4:5], exec
                                        ; implicit-def: $vgpr11
	s_or_saveexec_b64 s[6:7], s[6:7]
	v_mov_b32_e32 v12, s10
	s_xor_b64 exec, exec, s[6:7]
	s_cbranch_execz .LBB41_630
.LBB41_2680:
	v_cmp_ne_u16_e32 vcc, 0, v11
	s_andn2_b64 s[4:5], s[4:5], exec
	s_and_b64 s[8:9], vcc, exec
	v_mov_b32_e32 v12, 0
	s_or_b64 s[4:5], s[4:5], s[8:9]
	s_or_b64 exec, exec, s[6:7]
	s_and_saveexec_b64 s[6:7], s[4:5]
	s_cbranch_execnz .LBB41_631
	s_branch .LBB41_632
.LBB41_2681:
	s_movk_i32 s4, 0x80
	v_cmp_eq_u16_sdwa s[12:13], v17, s4 src0_sel:BYTE_3 src1_sel:DWORD
	s_mov_b64 s[4:5], -1
                                        ; implicit-def: $sgpr10
	s_and_saveexec_b64 s[8:9], s[12:13]
; %bb.2682:
	s_mov_b32 s10, 0x7f800001
	s_xor_b64 s[4:5], exec, -1
; %bb.2683:
	s_or_b64 exec, exec, s[8:9]
	s_and_b64 s[4:5], s[4:5], exec
	s_or_saveexec_b64 s[6:7], s[6:7]
	v_mov_b32_e32 v10, s10
	s_xor_b64 exec, exec, s[6:7]
	s_cbranch_execz .LBB41_634
.LBB41_2684:
	v_mov_b32_e32 v10, 0
	v_cmp_ne_u16_sdwa s[8:9], v17, v10 src0_sel:BYTE_3 src1_sel:DWORD
	s_andn2_b64 s[4:5], s[4:5], exec
	s_and_b64 s[8:9], s[8:9], exec
	s_or_b64 s[4:5], s[4:5], s[8:9]
	s_or_b64 exec, exec, s[6:7]
	s_and_saveexec_b64 s[6:7], s[4:5]
	s_cbranch_execnz .LBB41_635
	s_branch .LBB41_636
.LBB41_2685:
	s_movk_i32 s4, 0x80
	v_cmp_eq_u16_sdwa s[12:13], v13, s4 src0_sel:BYTE_3 src1_sel:DWORD
	s_mov_b64 s[4:5], -1
                                        ; implicit-def: $sgpr10
	s_and_saveexec_b64 s[8:9], s[12:13]
; %bb.2686:
	s_mov_b32 s10, 0x7f800001
	s_xor_b64 s[4:5], exec, -1
; %bb.2687:
	s_or_b64 exec, exec, s[8:9]
	s_and_b64 s[4:5], s[4:5], exec
	s_or_saveexec_b64 s[6:7], s[6:7]
	v_mov_b32_e32 v11, s10
	s_xor_b64 exec, exec, s[6:7]
	s_cbranch_execz .LBB41_638
.LBB41_2688:
	v_mov_b32_e32 v11, 0
	v_cmp_ne_u16_sdwa s[8:9], v13, v11 src0_sel:BYTE_3 src1_sel:DWORD
	s_andn2_b64 s[4:5], s[4:5], exec
	s_and_b64 s[8:9], s[8:9], exec
	s_or_b64 s[4:5], s[4:5], s[8:9]
	s_or_b64 exec, exec, s[6:7]
	s_and_saveexec_b64 s[6:7], s[4:5]
	s_cbranch_execnz .LBB41_639
	s_branch .LBB41_640
.LBB41_2689:
	s_movk_i32 s4, 0x80
	v_cmp_eq_u16_sdwa s[12:13], v6, s4 src0_sel:BYTE_0 src1_sel:DWORD
	s_mov_b64 s[4:5], -1
                                        ; implicit-def: $sgpr10
	s_and_saveexec_b64 s[8:9], s[12:13]
; %bb.2690:
	s_mov_b32 s10, 0x7f800001
	s_xor_b64 s[4:5], exec, -1
; %bb.2691:
	s_or_b64 exec, exec, s[8:9]
	s_and_b64 s[4:5], s[4:5], exec
	s_or_saveexec_b64 s[6:7], s[6:7]
	v_mov_b32_e32 v10, s10
	s_xor_b64 exec, exec, s[6:7]
	s_cbranch_execz .LBB41_642
.LBB41_2692:
	v_mov_b32_e32 v10, 0
	v_cmp_ne_u16_sdwa s[8:9], v6, v10 src0_sel:BYTE_0 src1_sel:DWORD
	s_andn2_b64 s[4:5], s[4:5], exec
	s_and_b64 s[8:9], s[8:9], exec
	s_or_b64 s[4:5], s[4:5], s[8:9]
	s_or_b64 exec, exec, s[6:7]
	s_and_saveexec_b64 s[6:7], s[4:5]
	s_cbranch_execnz .LBB41_643
	s_branch .LBB41_644
.LBB41_2693:
	s_movk_i32 s4, 0x80
	v_cmp_eq_u16_sdwa s[12:13], v2, s4 src0_sel:BYTE_0 src1_sel:DWORD
	s_mov_b64 s[4:5], -1
                                        ; implicit-def: $sgpr10
	s_and_saveexec_b64 s[8:9], s[12:13]
; %bb.2694:
	s_mov_b32 s10, 0x7f800001
	s_xor_b64 s[4:5], exec, -1
; %bb.2695:
	s_or_b64 exec, exec, s[8:9]
	s_and_b64 s[4:5], s[4:5], exec
	s_or_saveexec_b64 s[6:7], s[6:7]
	v_mov_b32_e32 v11, s10
	s_xor_b64 exec, exec, s[6:7]
	s_cbranch_execz .LBB41_646
.LBB41_2696:
	v_mov_b32_e32 v11, 0
	v_cmp_ne_u16_sdwa s[8:9], v2, v11 src0_sel:BYTE_0 src1_sel:DWORD
	s_andn2_b64 s[4:5], s[4:5], exec
	s_and_b64 s[8:9], s[8:9], exec
	s_or_b64 s[4:5], s[4:5], s[8:9]
	s_or_b64 exec, exec, s[6:7]
	s_and_saveexec_b64 s[6:7], s[4:5]
	s_cbranch_execnz .LBB41_647
	s_branch .LBB41_648
.LBB41_2697:
	s_movk_i32 s4, 0x80
	v_cmp_eq_u16_sdwa s[12:13], v11, s4 src0_sel:BYTE_0 src1_sel:DWORD
	s_mov_b64 s[4:5], -1
                                        ; implicit-def: $sgpr10
	s_and_saveexec_b64 s[8:9], s[12:13]
; %bb.2698:
	s_mov_b32 s10, 0x7f800001
	s_xor_b64 s[4:5], exec, -1
; %bb.2699:
	s_or_b64 exec, exec, s[8:9]
	s_and_b64 s[4:5], s[4:5], exec
	s_or_saveexec_b64 s[6:7], s[6:7]
	v_mov_b32_e32 v10, s10
	s_xor_b64 exec, exec, s[6:7]
	s_cbranch_execz .LBB41_650
.LBB41_2700:
	v_mov_b32_e32 v10, 0
	v_cmp_ne_u16_sdwa s[8:9], v11, v10 src0_sel:BYTE_0 src1_sel:DWORD
	s_andn2_b64 s[4:5], s[4:5], exec
	s_and_b64 s[8:9], s[8:9], exec
	s_or_b64 s[4:5], s[4:5], s[8:9]
	s_or_b64 exec, exec, s[6:7]
	s_and_saveexec_b64 s[6:7], s[4:5]
	s_cbranch_execnz .LBB41_651
	s_branch .LBB41_652
.LBB41_2701:
	s_movk_i32 s4, 0x80
	v_cmp_eq_u16_sdwa s[12:13], v11, s4 src0_sel:BYTE_0 src1_sel:DWORD
	s_mov_b64 s[4:5], -1
                                        ; implicit-def: $sgpr10
	s_and_saveexec_b64 s[8:9], s[12:13]
; %bb.2702:
	s_mov_b32 s10, 0x7f800001
	s_xor_b64 s[4:5], exec, -1
; %bb.2703:
	s_or_b64 exec, exec, s[8:9]
	s_and_b64 s[4:5], s[4:5], exec
	s_or_saveexec_b64 s[6:7], s[6:7]
	v_mov_b32_e32 v12, s10
	s_xor_b64 exec, exec, s[6:7]
	s_cbranch_execz .LBB41_654
.LBB41_2704:
	v_mov_b32_e32 v12, 0
	v_cmp_ne_u16_sdwa s[8:9], v11, v12 src0_sel:BYTE_0 src1_sel:DWORD
	s_andn2_b64 s[4:5], s[4:5], exec
	s_and_b64 s[8:9], s[8:9], exec
	s_or_b64 s[4:5], s[4:5], s[8:9]
	s_or_b64 exec, exec, s[6:7]
	s_and_saveexec_b64 s[6:7], s[4:5]
	s_cbranch_execnz .LBB41_655
	s_branch .LBB41_656
.LBB41_2705:
	s_movk_i32 s4, 0x80
	v_cmp_eq_u16_e32 vcc, s4, v11
	s_mov_b64 s[4:5], -1
                                        ; implicit-def: $sgpr10
	s_and_saveexec_b64 s[8:9], vcc
; %bb.2706:
	s_mov_b32 s10, 0x7f800001
	s_xor_b64 s[4:5], exec, -1
; %bb.2707:
	s_or_b64 exec, exec, s[8:9]
	s_and_b64 s[4:5], s[4:5], exec
                                        ; implicit-def: $vgpr11
	s_or_saveexec_b64 s[6:7], s[6:7]
	v_mov_b32_e32 v10, s10
	s_xor_b64 exec, exec, s[6:7]
	s_cbranch_execz .LBB41_658
.LBB41_2708:
	v_cmp_ne_u16_e32 vcc, 0, v11
	s_andn2_b64 s[4:5], s[4:5], exec
	s_and_b64 s[8:9], vcc, exec
	v_mov_b32_e32 v10, 0
	s_or_b64 s[4:5], s[4:5], s[8:9]
	s_or_b64 exec, exec, s[6:7]
	s_and_saveexec_b64 s[6:7], s[4:5]
	s_cbranch_execnz .LBB41_659
	s_branch .LBB41_660
.LBB41_2709:
	s_movk_i32 s4, 0x80
	v_cmp_eq_u16_e32 vcc, s4, v11
	s_mov_b64 s[4:5], -1
                                        ; implicit-def: $sgpr10
	s_and_saveexec_b64 s[8:9], vcc
; %bb.2710:
	s_mov_b32 s10, 0x7f800001
	s_xor_b64 s[4:5], exec, -1
; %bb.2711:
	s_or_b64 exec, exec, s[8:9]
	s_and_b64 s[4:5], s[4:5], exec
                                        ; implicit-def: $vgpr11
	s_or_saveexec_b64 s[6:7], s[6:7]
	v_mov_b32_e32 v12, s10
	s_xor_b64 exec, exec, s[6:7]
	s_cbranch_execz .LBB41_662
.LBB41_2712:
	v_cmp_ne_u16_e32 vcc, 0, v11
	s_andn2_b64 s[4:5], s[4:5], exec
	s_and_b64 s[8:9], vcc, exec
	v_mov_b32_e32 v12, 0
	s_or_b64 s[4:5], s[4:5], s[8:9]
	s_or_b64 exec, exec, s[6:7]
	s_and_saveexec_b64 s[6:7], s[4:5]
	s_cbranch_execnz .LBB41_663
	s_branch .LBB41_664
.LBB41_2713:
	s_movk_i32 s4, 0x80
	v_cmp_eq_u16_sdwa s[12:13], v6, s4 src0_sel:BYTE_3 src1_sel:DWORD
	s_mov_b64 s[4:5], -1
                                        ; implicit-def: $sgpr10
	s_and_saveexec_b64 s[8:9], s[12:13]
; %bb.2714:
	s_mov_b32 s10, 0x7f800001
	s_xor_b64 s[4:5], exec, -1
; %bb.2715:
	s_or_b64 exec, exec, s[8:9]
	s_and_b64 s[4:5], s[4:5], exec
	s_or_saveexec_b64 s[6:7], s[6:7]
	v_mov_b32_e32 v10, s10
	s_xor_b64 exec, exec, s[6:7]
	s_cbranch_execz .LBB41_666
.LBB41_2716:
	v_mov_b32_e32 v10, 0
	v_cmp_ne_u16_sdwa s[8:9], v6, v10 src0_sel:BYTE_3 src1_sel:DWORD
	s_andn2_b64 s[4:5], s[4:5], exec
	s_and_b64 s[8:9], s[8:9], exec
	s_or_b64 s[4:5], s[4:5], s[8:9]
	s_or_b64 exec, exec, s[6:7]
	s_and_saveexec_b64 s[6:7], s[4:5]
	s_cbranch_execnz .LBB41_667
	s_branch .LBB41_668
.LBB41_2717:
	s_movk_i32 s4, 0x80
	v_cmp_eq_u16_sdwa s[12:13], v2, s4 src0_sel:BYTE_3 src1_sel:DWORD
	s_mov_b64 s[4:5], -1
                                        ; implicit-def: $sgpr10
	s_and_saveexec_b64 s[8:9], s[12:13]
; %bb.2718:
	s_mov_b32 s10, 0x7f800001
	s_xor_b64 s[4:5], exec, -1
; %bb.2719:
	s_or_b64 exec, exec, s[8:9]
	s_and_b64 s[4:5], s[4:5], exec
	s_or_saveexec_b64 s[6:7], s[6:7]
	v_mov_b32_e32 v6, s10
	s_xor_b64 exec, exec, s[6:7]
	s_cbranch_execz .LBB41_670
.LBB41_2720:
	v_mov_b32_e32 v6, 0
	v_cmp_ne_u16_sdwa s[8:9], v2, v6 src0_sel:BYTE_3 src1_sel:DWORD
	s_andn2_b64 s[4:5], s[4:5], exec
	s_and_b64 s[8:9], s[8:9], exec
	s_or_b64 s[4:5], s[4:5], s[8:9]
	s_or_b64 exec, exec, s[6:7]
	s_and_saveexec_b64 s[6:7], s[4:5]
	s_cbranch_execnz .LBB41_671
	s_branch .LBB41_672
.LBB41_2721:
	s_movk_i32 s4, 0x80
	v_cmp_eq_u16_sdwa s[12:13], v7, s4 src0_sel:BYTE_0 src1_sel:DWORD
	s_mov_b64 s[4:5], -1
                                        ; implicit-def: $sgpr10
	s_and_saveexec_b64 s[8:9], s[12:13]
; %bb.2722:
	s_mov_b32 s10, 0x7f800001
	s_xor_b64 s[4:5], exec, -1
; %bb.2723:
	s_or_b64 exec, exec, s[8:9]
	s_and_b64 s[4:5], s[4:5], exec
	s_or_saveexec_b64 s[6:7], s[6:7]
	v_mov_b32_e32 v2, s10
	s_xor_b64 exec, exec, s[6:7]
	s_cbranch_execz .LBB41_674
.LBB41_2724:
	v_mov_b32_e32 v2, 0
	v_cmp_ne_u16_sdwa s[8:9], v7, v2 src0_sel:BYTE_0 src1_sel:DWORD
	s_andn2_b64 s[4:5], s[4:5], exec
	s_and_b64 s[8:9], s[8:9], exec
	s_or_b64 s[4:5], s[4:5], s[8:9]
	s_or_b64 exec, exec, s[6:7]
	s_and_saveexec_b64 s[6:7], s[4:5]
	s_cbranch_execnz .LBB41_675
	s_branch .LBB41_676
.LBB41_2725:
	s_movk_i32 s4, 0x80
	v_cmp_eq_u16_sdwa s[12:13], v3, s4 src0_sel:BYTE_0 src1_sel:DWORD
	s_mov_b64 s[4:5], -1
                                        ; implicit-def: $sgpr10
	s_and_saveexec_b64 s[8:9], s[12:13]
; %bb.2726:
	s_mov_b32 s10, 0x7f800001
	s_xor_b64 s[4:5], exec, -1
; %bb.2727:
	s_or_b64 exec, exec, s[8:9]
	s_and_b64 s[4:5], s[4:5], exec
	s_or_saveexec_b64 s[6:7], s[6:7]
	v_mov_b32_e32 v6, s10
	s_xor_b64 exec, exec, s[6:7]
	s_cbranch_execz .LBB41_678
.LBB41_2728:
	v_mov_b32_e32 v6, 0
	v_cmp_ne_u16_sdwa s[8:9], v3, v6 src0_sel:BYTE_0 src1_sel:DWORD
	s_andn2_b64 s[4:5], s[4:5], exec
	s_and_b64 s[8:9], s[8:9], exec
	s_or_b64 s[4:5], s[4:5], s[8:9]
	s_or_b64 exec, exec, s[6:7]
	s_and_saveexec_b64 s[6:7], s[4:5]
	s_cbranch_execnz .LBB41_679
	s_branch .LBB41_680
.LBB41_2729:
	s_movk_i32 s4, 0x80
	v_cmp_eq_u16_sdwa s[12:13], v6, s4 src0_sel:BYTE_0 src1_sel:DWORD
	s_mov_b64 s[4:5], -1
                                        ; implicit-def: $sgpr10
	s_and_saveexec_b64 s[8:9], s[12:13]
; %bb.2730:
	s_mov_b32 s10, 0x7f800001
	s_xor_b64 s[4:5], exec, -1
; %bb.2731:
	s_or_b64 exec, exec, s[8:9]
	s_and_b64 s[4:5], s[4:5], exec
	s_or_saveexec_b64 s[6:7], s[6:7]
	v_mov_b32_e32 v2, s10
	s_xor_b64 exec, exec, s[6:7]
	s_cbranch_execz .LBB41_682
.LBB41_2732:
	v_mov_b32_e32 v2, 0
	v_cmp_ne_u16_sdwa s[8:9], v6, v2 src0_sel:BYTE_0 src1_sel:DWORD
	s_andn2_b64 s[4:5], s[4:5], exec
	s_and_b64 s[8:9], s[8:9], exec
	s_or_b64 s[4:5], s[4:5], s[8:9]
	s_or_b64 exec, exec, s[6:7]
	s_and_saveexec_b64 s[6:7], s[4:5]
	s_cbranch_execnz .LBB41_683
	s_branch .LBB41_684
.LBB41_2733:
	s_movk_i32 s4, 0x80
	v_cmp_eq_u16_sdwa s[12:13], v6, s4 src0_sel:BYTE_0 src1_sel:DWORD
	s_mov_b64 s[4:5], -1
                                        ; implicit-def: $sgpr10
	s_and_saveexec_b64 s[8:9], s[12:13]
; %bb.2734:
	s_mov_b32 s10, 0x7f800001
	s_xor_b64 s[4:5], exec, -1
; %bb.2735:
	s_or_b64 exec, exec, s[8:9]
	s_and_b64 s[4:5], s[4:5], exec
	s_or_saveexec_b64 s[6:7], s[6:7]
	v_mov_b32_e32 v10, s10
	s_xor_b64 exec, exec, s[6:7]
	s_cbranch_execz .LBB41_686
.LBB41_2736:
	v_mov_b32_e32 v10, 0
	v_cmp_ne_u16_sdwa s[8:9], v6, v10 src0_sel:BYTE_0 src1_sel:DWORD
	s_andn2_b64 s[4:5], s[4:5], exec
	s_and_b64 s[8:9], s[8:9], exec
	s_or_b64 s[4:5], s[4:5], s[8:9]
	s_or_b64 exec, exec, s[6:7]
	s_and_saveexec_b64 s[6:7], s[4:5]
	s_cbranch_execnz .LBB41_687
	s_branch .LBB41_688
.LBB41_2737:
	s_movk_i32 s4, 0x80
	v_cmp_eq_u16_e32 vcc, s4, v6
	s_mov_b64 s[4:5], -1
                                        ; implicit-def: $sgpr10
	s_and_saveexec_b64 s[8:9], vcc
; %bb.2738:
	s_mov_b32 s10, 0x7f800001
	s_xor_b64 s[4:5], exec, -1
; %bb.2739:
	s_or_b64 exec, exec, s[8:9]
	s_and_b64 s[4:5], s[4:5], exec
                                        ; implicit-def: $vgpr6
	s_or_saveexec_b64 s[6:7], s[6:7]
	v_mov_b32_e32 v2, s10
	s_xor_b64 exec, exec, s[6:7]
	s_cbranch_execz .LBB41_690
.LBB41_2740:
	v_cmp_ne_u16_e32 vcc, 0, v6
	s_andn2_b64 s[4:5], s[4:5], exec
	s_and_b64 s[8:9], vcc, exec
	v_mov_b32_e32 v2, 0
	s_or_b64 s[4:5], s[4:5], s[8:9]
	s_or_b64 exec, exec, s[6:7]
	s_and_saveexec_b64 s[6:7], s[4:5]
	s_cbranch_execnz .LBB41_691
	s_branch .LBB41_692
.LBB41_2741:
	s_movk_i32 s4, 0x80
	v_cmp_eq_u16_e32 vcc, s4, v6
	s_mov_b64 s[4:5], -1
                                        ; implicit-def: $sgpr10
	s_and_saveexec_b64 s[8:9], vcc
; %bb.2742:
	s_mov_b32 s10, 0x7f800001
	s_xor_b64 s[4:5], exec, -1
; %bb.2743:
	s_or_b64 exec, exec, s[8:9]
	s_and_b64 s[4:5], s[4:5], exec
                                        ; implicit-def: $vgpr6
	s_or_saveexec_b64 s[6:7], s[6:7]
	v_mov_b32_e32 v10, s10
	s_xor_b64 exec, exec, s[6:7]
	s_cbranch_execz .LBB41_694
.LBB41_2744:
	v_cmp_ne_u16_e32 vcc, 0, v6
	s_andn2_b64 s[4:5], s[4:5], exec
	s_and_b64 s[8:9], vcc, exec
	v_mov_b32_e32 v10, 0
	s_or_b64 s[4:5], s[4:5], s[8:9]
	s_or_b64 exec, exec, s[6:7]
	s_and_saveexec_b64 s[6:7], s[4:5]
	s_cbranch_execnz .LBB41_695
	s_branch .LBB41_696
.LBB41_2745:
	s_movk_i32 s4, 0x80
	v_cmp_eq_u16_sdwa s[12:13], v7, s4 src0_sel:BYTE_3 src1_sel:DWORD
	s_mov_b64 s[4:5], -1
                                        ; implicit-def: $sgpr10
	s_and_saveexec_b64 s[8:9], s[12:13]
; %bb.2746:
	s_mov_b32 s10, 0x7f800001
	s_xor_b64 s[4:5], exec, -1
; %bb.2747:
	s_or_b64 exec, exec, s[8:9]
	s_and_b64 s[4:5], s[4:5], exec
	s_or_saveexec_b64 s[6:7], s[6:7]
	v_mov_b32_e32 v2, s10
	s_xor_b64 exec, exec, s[6:7]
	s_cbranch_execz .LBB41_698
.LBB41_2748:
	v_mov_b32_e32 v2, 0
	v_cmp_ne_u16_sdwa s[8:9], v7, v2 src0_sel:BYTE_3 src1_sel:DWORD
	s_andn2_b64 s[4:5], s[4:5], exec
	s_and_b64 s[8:9], s[8:9], exec
	s_or_b64 s[4:5], s[4:5], s[8:9]
	s_or_b64 exec, exec, s[6:7]
	s_and_saveexec_b64 s[6:7], s[4:5]
	s_cbranch_execnz .LBB41_699
	s_branch .LBB41_700
.LBB41_2749:
	s_movk_i32 s4, 0x80
	v_cmp_eq_u16_sdwa s[12:13], v3, s4 src0_sel:BYTE_3 src1_sel:DWORD
	s_mov_b64 s[4:5], -1
                                        ; implicit-def: $sgpr10
	s_and_saveexec_b64 s[8:9], s[12:13]
; %bb.2750:
	s_mov_b32 s10, 0x7f800001
	s_xor_b64 s[4:5], exec, -1
; %bb.2751:
	s_or_b64 exec, exec, s[8:9]
	s_and_b64 s[4:5], s[4:5], exec
	s_or_saveexec_b64 s[6:7], s[6:7]
	v_mov_b32_e32 v6, s10
	s_xor_b64 exec, exec, s[6:7]
	s_cbranch_execz .LBB41_702
.LBB41_2752:
	v_mov_b32_e32 v6, 0
	v_cmp_ne_u16_sdwa s[8:9], v3, v6 src0_sel:BYTE_3 src1_sel:DWORD
	s_andn2_b64 s[4:5], s[4:5], exec
	s_and_b64 s[8:9], s[8:9], exec
	s_or_b64 s[4:5], s[4:5], s[8:9]
	s_or_b64 exec, exec, s[6:7]
	s_and_saveexec_b64 s[6:7], s[4:5]
	s_cbranch_execnz .LBB41_703
	s_branch .LBB41_704
.LBB41_2753:
	s_movk_i32 s4, 0x80
	v_cmp_eq_u16_sdwa s[12:13], v8, s4 src0_sel:BYTE_0 src1_sel:DWORD
	s_mov_b64 s[4:5], -1
                                        ; implicit-def: $sgpr10
	s_and_saveexec_b64 s[8:9], s[12:13]
; %bb.2754:
	s_mov_b32 s10, 0x7f800001
	s_xor_b64 s[4:5], exec, -1
; %bb.2755:
	s_or_b64 exec, exec, s[8:9]
	s_and_b64 s[4:5], s[4:5], exec
	s_or_saveexec_b64 s[6:7], s[6:7]
	v_mov_b32_e32 v2, s10
	s_xor_b64 exec, exec, s[6:7]
	s_cbranch_execz .LBB41_706
.LBB41_2756:
	v_mov_b32_e32 v2, 0
	v_cmp_ne_u16_sdwa s[8:9], v8, v2 src0_sel:BYTE_0 src1_sel:DWORD
	s_andn2_b64 s[4:5], s[4:5], exec
	s_and_b64 s[8:9], s[8:9], exec
	s_or_b64 s[4:5], s[4:5], s[8:9]
	s_or_b64 exec, exec, s[6:7]
	s_and_saveexec_b64 s[6:7], s[4:5]
	s_cbranch_execnz .LBB41_707
	s_branch .LBB41_708
.LBB41_2757:
	s_movk_i32 s4, 0x80
	v_cmp_eq_u16_sdwa s[12:13], v4, s4 src0_sel:BYTE_0 src1_sel:DWORD
	s_mov_b64 s[4:5], -1
                                        ; implicit-def: $sgpr10
	s_and_saveexec_b64 s[8:9], s[12:13]
; %bb.2758:
	s_mov_b32 s10, 0x7f800001
	s_xor_b64 s[4:5], exec, -1
; %bb.2759:
	s_or_b64 exec, exec, s[8:9]
	s_and_b64 s[4:5], s[4:5], exec
	s_or_saveexec_b64 s[6:7], s[6:7]
	v_mov_b32_e32 v3, s10
	s_xor_b64 exec, exec, s[6:7]
	s_cbranch_execz .LBB41_710
.LBB41_2760:
	v_mov_b32_e32 v3, 0
	v_cmp_ne_u16_sdwa s[8:9], v4, v3 src0_sel:BYTE_0 src1_sel:DWORD
	s_andn2_b64 s[4:5], s[4:5], exec
	s_and_b64 s[8:9], s[8:9], exec
	s_or_b64 s[4:5], s[4:5], s[8:9]
	s_or_b64 exec, exec, s[6:7]
	s_and_saveexec_b64 s[6:7], s[4:5]
	s_cbranch_execnz .LBB41_711
	s_branch .LBB41_712
.LBB41_2761:
	s_movk_i32 s4, 0x80
	v_cmp_eq_u16_sdwa s[12:13], v3, s4 src0_sel:BYTE_0 src1_sel:DWORD
	s_mov_b64 s[4:5], -1
                                        ; implicit-def: $sgpr10
	s_and_saveexec_b64 s[8:9], s[12:13]
; %bb.2762:
	s_mov_b32 s10, 0x7f800001
	s_xor_b64 s[4:5], exec, -1
; %bb.2763:
	s_or_b64 exec, exec, s[8:9]
	s_and_b64 s[4:5], s[4:5], exec
	s_or_saveexec_b64 s[6:7], s[6:7]
	v_mov_b32_e32 v2, s10
	s_xor_b64 exec, exec, s[6:7]
	s_cbranch_execz .LBB41_714
.LBB41_2764:
	v_mov_b32_e32 v2, 0
	v_cmp_ne_u16_sdwa s[8:9], v3, v2 src0_sel:BYTE_0 src1_sel:DWORD
	s_andn2_b64 s[4:5], s[4:5], exec
	s_and_b64 s[8:9], s[8:9], exec
	s_or_b64 s[4:5], s[4:5], s[8:9]
	s_or_b64 exec, exec, s[6:7]
	s_and_saveexec_b64 s[6:7], s[4:5]
	s_cbranch_execnz .LBB41_715
	s_branch .LBB41_716
.LBB41_2765:
	s_movk_i32 s4, 0x80
	v_cmp_eq_u16_sdwa s[12:13], v3, s4 src0_sel:BYTE_0 src1_sel:DWORD
	s_mov_b64 s[4:5], -1
                                        ; implicit-def: $sgpr10
	s_and_saveexec_b64 s[8:9], s[12:13]
; %bb.2766:
	s_mov_b32 s10, 0x7f800001
	s_xor_b64 s[4:5], exec, -1
; %bb.2767:
	s_or_b64 exec, exec, s[8:9]
	s_and_b64 s[4:5], s[4:5], exec
	s_or_saveexec_b64 s[6:7], s[6:7]
	v_mov_b32_e32 v6, s10
	s_xor_b64 exec, exec, s[6:7]
	s_cbranch_execz .LBB41_718
.LBB41_2768:
	v_mov_b32_e32 v6, 0
	v_cmp_ne_u16_sdwa s[8:9], v3, v6 src0_sel:BYTE_0 src1_sel:DWORD
	s_andn2_b64 s[4:5], s[4:5], exec
	s_and_b64 s[8:9], s[8:9], exec
	s_or_b64 s[4:5], s[4:5], s[8:9]
	s_or_b64 exec, exec, s[6:7]
	s_and_saveexec_b64 s[6:7], s[4:5]
	s_cbranch_execnz .LBB41_719
	s_branch .LBB41_720
.LBB41_2769:
	s_movk_i32 s4, 0x80
	v_cmp_eq_u16_e32 vcc, s4, v3
	s_mov_b64 s[4:5], -1
                                        ; implicit-def: $sgpr10
	s_and_saveexec_b64 s[8:9], vcc
; %bb.2770:
	s_mov_b32 s10, 0x7f800001
	s_xor_b64 s[4:5], exec, -1
; %bb.2771:
	s_or_b64 exec, exec, s[8:9]
	s_and_b64 s[4:5], s[4:5], exec
                                        ; implicit-def: $vgpr3
	s_or_saveexec_b64 s[6:7], s[6:7]
	v_mov_b32_e32 v2, s10
	s_xor_b64 exec, exec, s[6:7]
	s_cbranch_execz .LBB41_722
.LBB41_2772:
	v_cmp_ne_u16_e32 vcc, 0, v3
	s_andn2_b64 s[4:5], s[4:5], exec
	s_and_b64 s[8:9], vcc, exec
	v_mov_b32_e32 v2, 0
	s_or_b64 s[4:5], s[4:5], s[8:9]
	s_or_b64 exec, exec, s[6:7]
	s_and_saveexec_b64 s[6:7], s[4:5]
	s_cbranch_execnz .LBB41_723
	s_branch .LBB41_724
.LBB41_2773:
	s_movk_i32 s4, 0x80
	v_cmp_eq_u16_e32 vcc, s4, v3
	s_mov_b64 s[4:5], -1
                                        ; implicit-def: $sgpr10
	s_and_saveexec_b64 s[8:9], vcc
; %bb.2774:
	s_mov_b32 s10, 0x7f800001
	s_xor_b64 s[4:5], exec, -1
; %bb.2775:
	s_or_b64 exec, exec, s[8:9]
	s_and_b64 s[4:5], s[4:5], exec
                                        ; implicit-def: $vgpr3
	s_or_saveexec_b64 s[6:7], s[6:7]
	v_mov_b32_e32 v6, s10
	s_xor_b64 exec, exec, s[6:7]
	s_cbranch_execz .LBB41_726
.LBB41_2776:
	v_cmp_ne_u16_e32 vcc, 0, v3
	s_andn2_b64 s[4:5], s[4:5], exec
	s_and_b64 s[8:9], vcc, exec
	v_mov_b32_e32 v6, 0
	s_or_b64 s[4:5], s[4:5], s[8:9]
	s_or_b64 exec, exec, s[6:7]
	s_and_saveexec_b64 s[6:7], s[4:5]
	s_cbranch_execnz .LBB41_727
	s_branch .LBB41_728
.LBB41_2777:
	s_movk_i32 s4, 0x80
	v_cmp_eq_u16_sdwa s[12:13], v8, s4 src0_sel:BYTE_3 src1_sel:DWORD
	s_mov_b64 s[4:5], -1
                                        ; implicit-def: $sgpr10
	s_and_saveexec_b64 s[8:9], s[12:13]
; %bb.2778:
	s_mov_b32 s10, 0x7f800001
	s_xor_b64 s[4:5], exec, -1
; %bb.2779:
	s_or_b64 exec, exec, s[8:9]
	s_and_b64 s[4:5], s[4:5], exec
	s_or_saveexec_b64 s[6:7], s[6:7]
	v_mov_b32_e32 v2, s10
	s_xor_b64 exec, exec, s[6:7]
	s_cbranch_execz .LBB41_730
.LBB41_2780:
	v_mov_b32_e32 v2, 0
	v_cmp_ne_u16_sdwa s[8:9], v8, v2 src0_sel:BYTE_3 src1_sel:DWORD
	s_andn2_b64 s[4:5], s[4:5], exec
	s_and_b64 s[8:9], s[8:9], exec
	s_or_b64 s[4:5], s[4:5], s[8:9]
	s_or_b64 exec, exec, s[6:7]
	s_and_saveexec_b64 s[6:7], s[4:5]
	s_cbranch_execnz .LBB41_731
	s_branch .LBB41_732
.LBB41_2781:
	s_movk_i32 s4, 0x80
	v_cmp_eq_u16_sdwa s[12:13], v4, s4 src0_sel:BYTE_3 src1_sel:DWORD
	s_mov_b64 s[4:5], -1
                                        ; implicit-def: $sgpr10
	s_and_saveexec_b64 s[8:9], s[12:13]
; %bb.2782:
	s_mov_b32 s10, 0x7f800001
	s_xor_b64 s[4:5], exec, -1
; %bb.2783:
	s_or_b64 exec, exec, s[8:9]
	s_and_b64 s[4:5], s[4:5], exec
	s_or_saveexec_b64 s[6:7], s[6:7]
	v_mov_b32_e32 v3, s10
	s_xor_b64 exec, exec, s[6:7]
	s_cbranch_execz .LBB41_734
.LBB41_2784:
	v_mov_b32_e32 v3, 0
	v_cmp_ne_u16_sdwa s[8:9], v4, v3 src0_sel:BYTE_3 src1_sel:DWORD
	s_andn2_b64 s[4:5], s[4:5], exec
	s_and_b64 s[8:9], s[8:9], exec
	s_or_b64 s[4:5], s[4:5], s[8:9]
	s_or_b64 exec, exec, s[6:7]
	s_and_saveexec_b64 s[6:7], s[4:5]
	s_cbranch_execnz .LBB41_735
	s_branch .LBB41_736
.LBB41_2785:
	s_movk_i32 s4, 0x80
	v_cmp_eq_u16_sdwa s[12:13], v9, s4 src0_sel:BYTE_0 src1_sel:DWORD
	s_mov_b64 s[4:5], -1
                                        ; implicit-def: $sgpr10
	s_and_saveexec_b64 s[8:9], s[12:13]
; %bb.2786:
	s_mov_b32 s10, 0x7f800001
	s_xor_b64 s[4:5], exec, -1
; %bb.2787:
	s_or_b64 exec, exec, s[8:9]
	s_and_b64 s[4:5], s[4:5], exec
	s_or_saveexec_b64 s[6:7], s[6:7]
	v_mov_b32_e32 v2, s10
	s_xor_b64 exec, exec, s[6:7]
	s_cbranch_execz .LBB41_738
.LBB41_2788:
	v_mov_b32_e32 v2, 0
	v_cmp_ne_u16_sdwa s[8:9], v9, v2 src0_sel:BYTE_0 src1_sel:DWORD
	s_andn2_b64 s[4:5], s[4:5], exec
	s_and_b64 s[8:9], s[8:9], exec
	s_or_b64 s[4:5], s[4:5], s[8:9]
	s_or_b64 exec, exec, s[6:7]
	s_and_saveexec_b64 s[6:7], s[4:5]
	s_cbranch_execnz .LBB41_739
	s_branch .LBB41_740
.LBB41_2789:
	s_movk_i32 s4, 0x80
	v_cmp_eq_u16_sdwa s[12:13], v5, s4 src0_sel:BYTE_0 src1_sel:DWORD
	s_mov_b64 s[4:5], -1
                                        ; implicit-def: $sgpr10
	s_and_saveexec_b64 s[8:9], s[12:13]
; %bb.2790:
	s_mov_b32 s10, 0x7f800001
	s_xor_b64 s[4:5], exec, -1
; %bb.2791:
	s_or_b64 exec, exec, s[8:9]
	s_and_b64 s[4:5], s[4:5], exec
	s_or_saveexec_b64 s[6:7], s[6:7]
	v_mov_b32_e32 v3, s10
	s_xor_b64 exec, exec, s[6:7]
	s_cbranch_execz .LBB41_742
.LBB41_2792:
	v_mov_b32_e32 v3, 0
	v_cmp_ne_u16_sdwa s[8:9], v5, v3 src0_sel:BYTE_0 src1_sel:DWORD
	s_andn2_b64 s[4:5], s[4:5], exec
	s_and_b64 s[8:9], s[8:9], exec
	s_or_b64 s[4:5], s[4:5], s[8:9]
	s_or_b64 exec, exec, s[6:7]
	s_and_saveexec_b64 s[6:7], s[4:5]
	s_cbranch_execnz .LBB41_743
	s_branch .LBB41_744
.LBB41_2793:
	s_movk_i32 s4, 0x80
	v_cmp_eq_u16_sdwa s[12:13], v3, s4 src0_sel:BYTE_0 src1_sel:DWORD
	s_mov_b64 s[4:5], -1
                                        ; implicit-def: $sgpr10
	s_and_saveexec_b64 s[8:9], s[12:13]
; %bb.2794:
	s_mov_b32 s10, 0x7f800001
	s_xor_b64 s[4:5], exec, -1
; %bb.2795:
	s_or_b64 exec, exec, s[8:9]
	s_and_b64 s[4:5], s[4:5], exec
	s_or_saveexec_b64 s[6:7], s[6:7]
	v_mov_b32_e32 v2, s10
	s_xor_b64 exec, exec, s[6:7]
	s_cbranch_execz .LBB41_746
.LBB41_2796:
	v_mov_b32_e32 v2, 0
	v_cmp_ne_u16_sdwa s[8:9], v3, v2 src0_sel:BYTE_0 src1_sel:DWORD
	s_andn2_b64 s[4:5], s[4:5], exec
	s_and_b64 s[8:9], s[8:9], exec
	s_or_b64 s[4:5], s[4:5], s[8:9]
	s_or_b64 exec, exec, s[6:7]
	s_and_saveexec_b64 s[6:7], s[4:5]
	s_cbranch_execnz .LBB41_747
	s_branch .LBB41_748
.LBB41_2797:
	s_movk_i32 s4, 0x80
	v_cmp_eq_u16_sdwa s[12:13], v3, s4 src0_sel:BYTE_0 src1_sel:DWORD
	s_mov_b64 s[4:5], -1
                                        ; implicit-def: $sgpr10
	s_and_saveexec_b64 s[8:9], s[12:13]
; %bb.2798:
	s_mov_b32 s10, 0x7f800001
	s_xor_b64 s[4:5], exec, -1
; %bb.2799:
	s_or_b64 exec, exec, s[8:9]
	s_and_b64 s[4:5], s[4:5], exec
	s_or_saveexec_b64 s[6:7], s[6:7]
	v_mov_b32_e32 v4, s10
	s_xor_b64 exec, exec, s[6:7]
	s_cbranch_execz .LBB41_750
.LBB41_2800:
	v_mov_b32_e32 v4, 0
	v_cmp_ne_u16_sdwa s[8:9], v3, v4 src0_sel:BYTE_0 src1_sel:DWORD
	s_andn2_b64 s[4:5], s[4:5], exec
	s_and_b64 s[8:9], s[8:9], exec
	s_or_b64 s[4:5], s[4:5], s[8:9]
	s_or_b64 exec, exec, s[6:7]
	s_and_saveexec_b64 s[6:7], s[4:5]
	s_cbranch_execnz .LBB41_751
	s_branch .LBB41_752
.LBB41_2801:
	s_movk_i32 s4, 0x80
	v_cmp_eq_u16_e32 vcc, s4, v3
	s_mov_b64 s[4:5], -1
                                        ; implicit-def: $sgpr10
	s_and_saveexec_b64 s[8:9], vcc
; %bb.2802:
	s_mov_b32 s10, 0x7f800001
	s_xor_b64 s[4:5], exec, -1
; %bb.2803:
	s_or_b64 exec, exec, s[8:9]
	s_and_b64 s[4:5], s[4:5], exec
                                        ; implicit-def: $vgpr3
	s_or_saveexec_b64 s[6:7], s[6:7]
	v_mov_b32_e32 v2, s10
	s_xor_b64 exec, exec, s[6:7]
	s_cbranch_execz .LBB41_754
.LBB41_2804:
	v_cmp_ne_u16_e32 vcc, 0, v3
	s_andn2_b64 s[4:5], s[4:5], exec
	s_and_b64 s[8:9], vcc, exec
	v_mov_b32_e32 v2, 0
	s_or_b64 s[4:5], s[4:5], s[8:9]
	s_or_b64 exec, exec, s[6:7]
	s_and_saveexec_b64 s[6:7], s[4:5]
	s_cbranch_execnz .LBB41_755
	s_branch .LBB41_756
.LBB41_2805:
	s_movk_i32 s4, 0x80
	v_cmp_eq_u16_e32 vcc, s4, v3
	s_mov_b64 s[4:5], -1
                                        ; implicit-def: $sgpr10
	s_and_saveexec_b64 s[8:9], vcc
; %bb.2806:
	s_mov_b32 s10, 0x7f800001
	s_xor_b64 s[4:5], exec, -1
; %bb.2807:
	s_or_b64 exec, exec, s[8:9]
	s_and_b64 s[4:5], s[4:5], exec
                                        ; implicit-def: $vgpr3
	s_or_saveexec_b64 s[6:7], s[6:7]
	v_mov_b32_e32 v4, s10
	s_xor_b64 exec, exec, s[6:7]
	s_cbranch_execz .LBB41_758
.LBB41_2808:
	v_cmp_ne_u16_e32 vcc, 0, v3
	s_andn2_b64 s[4:5], s[4:5], exec
	s_and_b64 s[8:9], vcc, exec
	v_mov_b32_e32 v4, 0
	s_or_b64 s[4:5], s[4:5], s[8:9]
	s_or_b64 exec, exec, s[6:7]
	s_and_saveexec_b64 s[6:7], s[4:5]
	s_cbranch_execnz .LBB41_759
	s_branch .LBB41_760
.LBB41_2809:
	s_movk_i32 s4, 0x80
	v_cmp_eq_u16_sdwa s[12:13], v9, s4 src0_sel:BYTE_3 src1_sel:DWORD
	s_mov_b64 s[4:5], -1
                                        ; implicit-def: $sgpr10
	s_and_saveexec_b64 s[8:9], s[12:13]
; %bb.2810:
	s_mov_b32 s10, 0x7f800001
	s_xor_b64 s[4:5], exec, -1
; %bb.2811:
	s_or_b64 exec, exec, s[8:9]
	s_and_b64 s[4:5], s[4:5], exec
	s_or_saveexec_b64 s[6:7], s[6:7]
	v_mov_b32_e32 v2, s10
	s_xor_b64 exec, exec, s[6:7]
	s_cbranch_execz .LBB41_762
.LBB41_2812:
	v_mov_b32_e32 v2, 0
	v_cmp_ne_u16_sdwa s[8:9], v9, v2 src0_sel:BYTE_3 src1_sel:DWORD
	s_andn2_b64 s[4:5], s[4:5], exec
	s_and_b64 s[8:9], s[8:9], exec
	s_or_b64 s[4:5], s[4:5], s[8:9]
	s_or_b64 exec, exec, s[6:7]
	s_and_saveexec_b64 s[6:7], s[4:5]
	s_cbranch_execnz .LBB41_763
	s_branch .LBB41_764
.LBB41_2813:
	s_movk_i32 s4, 0x80
	v_cmp_eq_u16_sdwa s[12:13], v5, s4 src0_sel:BYTE_3 src1_sel:DWORD
	s_mov_b64 s[4:5], -1
                                        ; implicit-def: $sgpr10
	s_and_saveexec_b64 s[8:9], s[12:13]
; %bb.2814:
	s_mov_b32 s10, 0x7f800001
	s_xor_b64 s[4:5], exec, -1
; %bb.2815:
	s_or_b64 exec, exec, s[8:9]
	s_and_b64 s[4:5], s[4:5], exec
	s_or_saveexec_b64 s[6:7], s[6:7]
	v_mov_b32_e32 v3, s10
	s_xor_b64 exec, exec, s[6:7]
	s_cbranch_execz .LBB41_766
.LBB41_2816:
	v_mov_b32_e32 v3, 0
	v_cmp_ne_u16_sdwa s[8:9], v5, v3 src0_sel:BYTE_3 src1_sel:DWORD
	s_andn2_b64 s[4:5], s[4:5], exec
	s_and_b64 s[8:9], s[8:9], exec
	s_or_b64 s[4:5], s[4:5], s[8:9]
	s_or_b64 exec, exec, s[6:7]
	s_and_saveexec_b64 s[6:7], s[4:5]
	s_cbranch_execnz .LBB41_767
	s_branch .LBB41_768
.LBB41_2817:
	s_movk_i32 s4, 0x80
	v_cmp_eq_u16_sdwa s[12:13], v14, s4 src0_sel:BYTE_0 src1_sel:DWORD
	s_mov_b64 s[4:5], -1
                                        ; implicit-def: $sgpr10
	s_and_saveexec_b64 s[8:9], s[12:13]
; %bb.2818:
	s_mov_b32 s10, 0x7f800001
	s_xor_b64 s[4:5], exec, -1
; %bb.2819:
	s_or_b64 exec, exec, s[8:9]
	s_and_b64 s[4:5], s[4:5], exec
	s_or_saveexec_b64 s[6:7], s[6:7]
	v_mov_b32_e32 v20, s10
	s_xor_b64 exec, exec, s[6:7]
	s_cbranch_execz .LBB41_770
.LBB41_2820:
	v_mov_b32_e32 v20, 0
	v_cmp_ne_u16_sdwa s[8:9], v14, v20 src0_sel:BYTE_0 src1_sel:DWORD
	s_andn2_b64 s[4:5], s[4:5], exec
	s_and_b64 s[8:9], s[8:9], exec
	s_or_b64 s[4:5], s[4:5], s[8:9]
	s_or_b64 exec, exec, s[6:7]
	s_and_saveexec_b64 s[6:7], s[4:5]
	s_cbranch_execnz .LBB41_771
	s_branch .LBB41_772
.LBB41_2821:
	s_movk_i32 s4, 0x80
	v_cmp_eq_u16_sdwa s[12:13], v10, s4 src0_sel:BYTE_0 src1_sel:DWORD
	s_mov_b64 s[4:5], -1
                                        ; implicit-def: $sgpr10
	s_and_saveexec_b64 s[8:9], s[12:13]
; %bb.2822:
	s_mov_b32 s10, 0x7f800001
	s_xor_b64 s[4:5], exec, -1
; %bb.2823:
	s_or_b64 exec, exec, s[8:9]
	s_and_b64 s[4:5], s[4:5], exec
	s_or_saveexec_b64 s[6:7], s[6:7]
	v_mov_b32_e32 v21, s10
	s_xor_b64 exec, exec, s[6:7]
	s_cbranch_execz .LBB41_774
.LBB41_2824:
	v_mov_b32_e32 v21, 0
	v_cmp_ne_u16_sdwa s[8:9], v10, v21 src0_sel:BYTE_0 src1_sel:DWORD
	s_andn2_b64 s[4:5], s[4:5], exec
	s_and_b64 s[8:9], s[8:9], exec
	s_or_b64 s[4:5], s[4:5], s[8:9]
	s_or_b64 exec, exec, s[6:7]
	s_and_saveexec_b64 s[6:7], s[4:5]
	s_cbranch_execnz .LBB41_775
	s_branch .LBB41_776
.LBB41_2825:
	s_movk_i32 s4, 0x80
	v_cmp_eq_u16_sdwa s[12:13], v21, s4 src0_sel:BYTE_0 src1_sel:DWORD
	s_mov_b64 s[4:5], -1
                                        ; implicit-def: $sgpr10
	s_and_saveexec_b64 s[8:9], s[12:13]
; %bb.2826:
	s_mov_b32 s10, 0x7f800001
	s_xor_b64 s[4:5], exec, -1
; %bb.2827:
	s_or_b64 exec, exec, s[8:9]
	s_and_b64 s[4:5], s[4:5], exec
	s_or_saveexec_b64 s[6:7], s[6:7]
	v_mov_b32_e32 v20, s10
	s_xor_b64 exec, exec, s[6:7]
	s_cbranch_execz .LBB41_778
.LBB41_2828:
	v_mov_b32_e32 v20, 0
	v_cmp_ne_u16_sdwa s[8:9], v21, v20 src0_sel:BYTE_0 src1_sel:DWORD
	s_andn2_b64 s[4:5], s[4:5], exec
	s_and_b64 s[8:9], s[8:9], exec
	s_or_b64 s[4:5], s[4:5], s[8:9]
	s_or_b64 exec, exec, s[6:7]
	s_and_saveexec_b64 s[6:7], s[4:5]
	s_cbranch_execnz .LBB41_779
	s_branch .LBB41_780
.LBB41_2829:
	s_movk_i32 s4, 0x80
	v_cmp_eq_u16_sdwa s[12:13], v21, s4 src0_sel:BYTE_0 src1_sel:DWORD
	s_mov_b64 s[4:5], -1
                                        ; implicit-def: $sgpr10
	s_and_saveexec_b64 s[8:9], s[12:13]
; %bb.2830:
	s_mov_b32 s10, 0x7f800001
	s_xor_b64 s[4:5], exec, -1
; %bb.2831:
	s_or_b64 exec, exec, s[8:9]
	s_and_b64 s[4:5], s[4:5], exec
	s_or_saveexec_b64 s[6:7], s[6:7]
	v_mov_b32_e32 v22, s10
	s_xor_b64 exec, exec, s[6:7]
	s_cbranch_execz .LBB41_782
.LBB41_2832:
	v_mov_b32_e32 v22, 0
	v_cmp_ne_u16_sdwa s[8:9], v21, v22 src0_sel:BYTE_0 src1_sel:DWORD
	s_andn2_b64 s[4:5], s[4:5], exec
	s_and_b64 s[8:9], s[8:9], exec
	s_or_b64 s[4:5], s[4:5], s[8:9]
	s_or_b64 exec, exec, s[6:7]
	s_and_saveexec_b64 s[6:7], s[4:5]
	s_cbranch_execnz .LBB41_783
	s_branch .LBB41_784
.LBB41_2833:
	s_movk_i32 s4, 0x80
	v_cmp_eq_u16_e32 vcc, s4, v21
	s_mov_b64 s[4:5], -1
                                        ; implicit-def: $sgpr10
	s_and_saveexec_b64 s[8:9], vcc
; %bb.2834:
	s_mov_b32 s10, 0x7f800001
	s_xor_b64 s[4:5], exec, -1
; %bb.2835:
	s_or_b64 exec, exec, s[8:9]
	s_and_b64 s[4:5], s[4:5], exec
                                        ; implicit-def: $vgpr21
	s_or_saveexec_b64 s[6:7], s[6:7]
	v_mov_b32_e32 v20, s10
	s_xor_b64 exec, exec, s[6:7]
	s_cbranch_execz .LBB41_786
.LBB41_2836:
	v_cmp_ne_u16_e32 vcc, 0, v21
	s_andn2_b64 s[4:5], s[4:5], exec
	s_and_b64 s[8:9], vcc, exec
	v_mov_b32_e32 v20, 0
	s_or_b64 s[4:5], s[4:5], s[8:9]
	s_or_b64 exec, exec, s[6:7]
	s_and_saveexec_b64 s[6:7], s[4:5]
	s_cbranch_execnz .LBB41_787
	s_branch .LBB41_788
.LBB41_2837:
	s_movk_i32 s4, 0x80
	v_cmp_eq_u16_e32 vcc, s4, v21
	s_mov_b64 s[4:5], -1
                                        ; implicit-def: $sgpr10
	s_and_saveexec_b64 s[8:9], vcc
; %bb.2838:
	s_mov_b32 s10, 0x7f800001
	s_xor_b64 s[4:5], exec, -1
; %bb.2839:
	s_or_b64 exec, exec, s[8:9]
	s_and_b64 s[4:5], s[4:5], exec
                                        ; implicit-def: $vgpr21
	s_or_saveexec_b64 s[6:7], s[6:7]
	v_mov_b32_e32 v22, s10
	s_xor_b64 exec, exec, s[6:7]
	s_cbranch_execz .LBB41_790
.LBB41_2840:
	v_cmp_ne_u16_e32 vcc, 0, v21
	s_andn2_b64 s[4:5], s[4:5], exec
	s_and_b64 s[8:9], vcc, exec
	v_mov_b32_e32 v22, 0
	s_or_b64 s[4:5], s[4:5], s[8:9]
	s_or_b64 exec, exec, s[6:7]
	s_and_saveexec_b64 s[6:7], s[4:5]
	s_cbranch_execnz .LBB41_791
	s_branch .LBB41_792
.LBB41_2841:
	s_movk_i32 s4, 0x80
	v_cmp_eq_u16_sdwa s[12:13], v14, s4 src0_sel:BYTE_3 src1_sel:DWORD
	s_mov_b64 s[4:5], -1
                                        ; implicit-def: $sgpr10
	s_and_saveexec_b64 s[8:9], s[12:13]
; %bb.2842:
	s_mov_b32 s10, 0x7f800001
	s_xor_b64 s[4:5], exec, -1
; %bb.2843:
	s_or_b64 exec, exec, s[8:9]
	s_and_b64 s[4:5], s[4:5], exec
	s_or_saveexec_b64 s[6:7], s[6:7]
	v_mov_b32_e32 v20, s10
	s_xor_b64 exec, exec, s[6:7]
	s_cbranch_execz .LBB41_794
.LBB41_2844:
	v_mov_b32_e32 v20, 0
	v_cmp_ne_u16_sdwa s[8:9], v14, v20 src0_sel:BYTE_3 src1_sel:DWORD
	s_andn2_b64 s[4:5], s[4:5], exec
	s_and_b64 s[8:9], s[8:9], exec
	s_or_b64 s[4:5], s[4:5], s[8:9]
	s_or_b64 exec, exec, s[6:7]
	s_and_saveexec_b64 s[6:7], s[4:5]
	s_cbranch_execnz .LBB41_795
	s_branch .LBB41_796
.LBB41_2845:
	s_movk_i32 s4, 0x80
	v_cmp_eq_u16_sdwa s[12:13], v10, s4 src0_sel:BYTE_3 src1_sel:DWORD
	s_mov_b64 s[4:5], -1
                                        ; implicit-def: $sgpr10
	s_and_saveexec_b64 s[8:9], s[12:13]
; %bb.2846:
	s_mov_b32 s10, 0x7f800001
	s_xor_b64 s[4:5], exec, -1
; %bb.2847:
	s_or_b64 exec, exec, s[8:9]
	s_and_b64 s[4:5], s[4:5], exec
	s_or_saveexec_b64 s[6:7], s[6:7]
	v_mov_b32_e32 v14, s10
	s_xor_b64 exec, exec, s[6:7]
	s_cbranch_execz .LBB41_798
.LBB41_2848:
	v_mov_b32_e32 v14, 0
	v_cmp_ne_u16_sdwa s[8:9], v10, v14 src0_sel:BYTE_3 src1_sel:DWORD
	s_andn2_b64 s[4:5], s[4:5], exec
	s_and_b64 s[8:9], s[8:9], exec
	s_or_b64 s[4:5], s[4:5], s[8:9]
	s_or_b64 exec, exec, s[6:7]
	s_and_saveexec_b64 s[6:7], s[4:5]
	s_cbranch_execnz .LBB41_799
	s_branch .LBB41_800
.LBB41_2849:
	s_movk_i32 s4, 0x80
	v_cmp_eq_u16_sdwa s[12:13], v15, s4 src0_sel:BYTE_0 src1_sel:DWORD
	s_mov_b64 s[4:5], -1
                                        ; implicit-def: $sgpr10
	s_and_saveexec_b64 s[8:9], s[12:13]
; %bb.2850:
	s_mov_b32 s10, 0x7f800001
	s_xor_b64 s[4:5], exec, -1
; %bb.2851:
	s_or_b64 exec, exec, s[8:9]
	s_and_b64 s[4:5], s[4:5], exec
	s_or_saveexec_b64 s[6:7], s[6:7]
	v_mov_b32_e32 v10, s10
	s_xor_b64 exec, exec, s[6:7]
	s_cbranch_execz .LBB41_802
.LBB41_2852:
	v_mov_b32_e32 v10, 0
	v_cmp_ne_u16_sdwa s[8:9], v15, v10 src0_sel:BYTE_0 src1_sel:DWORD
	s_andn2_b64 s[4:5], s[4:5], exec
	s_and_b64 s[8:9], s[8:9], exec
	s_or_b64 s[4:5], s[4:5], s[8:9]
	s_or_b64 exec, exec, s[6:7]
	s_and_saveexec_b64 s[6:7], s[4:5]
	s_cbranch_execnz .LBB41_803
	s_branch .LBB41_804
.LBB41_2853:
	s_movk_i32 s4, 0x80
	v_cmp_eq_u16_sdwa s[12:13], v11, s4 src0_sel:BYTE_0 src1_sel:DWORD
	s_mov_b64 s[4:5], -1
                                        ; implicit-def: $sgpr10
	s_and_saveexec_b64 s[8:9], s[12:13]
; %bb.2854:
	s_mov_b32 s10, 0x7f800001
	s_xor_b64 s[4:5], exec, -1
; %bb.2855:
	s_or_b64 exec, exec, s[8:9]
	s_and_b64 s[4:5], s[4:5], exec
	s_or_saveexec_b64 s[6:7], s[6:7]
	v_mov_b32_e32 v14, s10
	s_xor_b64 exec, exec, s[6:7]
	s_cbranch_execz .LBB41_806
.LBB41_2856:
	v_mov_b32_e32 v14, 0
	v_cmp_ne_u16_sdwa s[8:9], v11, v14 src0_sel:BYTE_0 src1_sel:DWORD
	s_andn2_b64 s[4:5], s[4:5], exec
	s_and_b64 s[8:9], s[8:9], exec
	s_or_b64 s[4:5], s[4:5], s[8:9]
	s_or_b64 exec, exec, s[6:7]
	s_and_saveexec_b64 s[6:7], s[4:5]
	s_cbranch_execnz .LBB41_807
	s_branch .LBB41_808
.LBB41_2857:
	s_movk_i32 s4, 0x80
	v_cmp_eq_u16_sdwa s[12:13], v14, s4 src0_sel:BYTE_0 src1_sel:DWORD
	s_mov_b64 s[4:5], -1
                                        ; implicit-def: $sgpr10
	s_and_saveexec_b64 s[8:9], s[12:13]
; %bb.2858:
	s_mov_b32 s10, 0x7f800001
	s_xor_b64 s[4:5], exec, -1
; %bb.2859:
	s_or_b64 exec, exec, s[8:9]
	s_and_b64 s[4:5], s[4:5], exec
	s_or_saveexec_b64 s[6:7], s[6:7]
	v_mov_b32_e32 v10, s10
	s_xor_b64 exec, exec, s[6:7]
	s_cbranch_execz .LBB41_810
.LBB41_2860:
	v_mov_b32_e32 v10, 0
	v_cmp_ne_u16_sdwa s[8:9], v14, v10 src0_sel:BYTE_0 src1_sel:DWORD
	s_andn2_b64 s[4:5], s[4:5], exec
	s_and_b64 s[8:9], s[8:9], exec
	s_or_b64 s[4:5], s[4:5], s[8:9]
	s_or_b64 exec, exec, s[6:7]
	s_and_saveexec_b64 s[6:7], s[4:5]
	s_cbranch_execnz .LBB41_811
	s_branch .LBB41_812
.LBB41_2861:
	s_movk_i32 s4, 0x80
	v_cmp_eq_u16_sdwa s[12:13], v14, s4 src0_sel:BYTE_0 src1_sel:DWORD
	s_mov_b64 s[4:5], -1
                                        ; implicit-def: $sgpr10
	s_and_saveexec_b64 s[8:9], s[12:13]
; %bb.2862:
	s_mov_b32 s10, 0x7f800001
	s_xor_b64 s[4:5], exec, -1
; %bb.2863:
	s_or_b64 exec, exec, s[8:9]
	s_and_b64 s[4:5], s[4:5], exec
	s_or_saveexec_b64 s[6:7], s[6:7]
	v_mov_b32_e32 v20, s10
	s_xor_b64 exec, exec, s[6:7]
	s_cbranch_execz .LBB41_814
.LBB41_2864:
	v_mov_b32_e32 v20, 0
	v_cmp_ne_u16_sdwa s[8:9], v14, v20 src0_sel:BYTE_0 src1_sel:DWORD
	s_andn2_b64 s[4:5], s[4:5], exec
	s_and_b64 s[8:9], s[8:9], exec
	s_or_b64 s[4:5], s[4:5], s[8:9]
	s_or_b64 exec, exec, s[6:7]
	s_and_saveexec_b64 s[6:7], s[4:5]
	s_cbranch_execnz .LBB41_815
	s_branch .LBB41_816
.LBB41_2865:
	s_movk_i32 s4, 0x80
	v_cmp_eq_u16_e32 vcc, s4, v14
	s_mov_b64 s[4:5], -1
                                        ; implicit-def: $sgpr10
	s_and_saveexec_b64 s[8:9], vcc
; %bb.2866:
	s_mov_b32 s10, 0x7f800001
	s_xor_b64 s[4:5], exec, -1
; %bb.2867:
	s_or_b64 exec, exec, s[8:9]
	s_and_b64 s[4:5], s[4:5], exec
                                        ; implicit-def: $vgpr14
	s_or_saveexec_b64 s[6:7], s[6:7]
	v_mov_b32_e32 v10, s10
	s_xor_b64 exec, exec, s[6:7]
	s_cbranch_execz .LBB41_818
.LBB41_2868:
	v_cmp_ne_u16_e32 vcc, 0, v14
	s_andn2_b64 s[4:5], s[4:5], exec
	s_and_b64 s[8:9], vcc, exec
	v_mov_b32_e32 v10, 0
	s_or_b64 s[4:5], s[4:5], s[8:9]
	s_or_b64 exec, exec, s[6:7]
	s_and_saveexec_b64 s[6:7], s[4:5]
	s_cbranch_execnz .LBB41_819
	s_branch .LBB41_820
.LBB41_2869:
	s_movk_i32 s4, 0x80
	v_cmp_eq_u16_e32 vcc, s4, v14
	s_mov_b64 s[4:5], -1
                                        ; implicit-def: $sgpr10
	s_and_saveexec_b64 s[8:9], vcc
; %bb.2870:
	s_mov_b32 s10, 0x7f800001
	s_xor_b64 s[4:5], exec, -1
; %bb.2871:
	s_or_b64 exec, exec, s[8:9]
	s_and_b64 s[4:5], s[4:5], exec
                                        ; implicit-def: $vgpr14
	s_or_saveexec_b64 s[6:7], s[6:7]
	v_mov_b32_e32 v20, s10
	s_xor_b64 exec, exec, s[6:7]
	s_cbranch_execz .LBB41_822
.LBB41_2872:
	v_cmp_ne_u16_e32 vcc, 0, v14
	s_andn2_b64 s[4:5], s[4:5], exec
	s_and_b64 s[8:9], vcc, exec
	v_mov_b32_e32 v20, 0
	s_or_b64 s[4:5], s[4:5], s[8:9]
	s_or_b64 exec, exec, s[6:7]
	s_and_saveexec_b64 s[6:7], s[4:5]
	s_cbranch_execnz .LBB41_823
	s_branch .LBB41_824
.LBB41_2873:
	s_movk_i32 s4, 0x80
	v_cmp_eq_u16_sdwa s[12:13], v15, s4 src0_sel:BYTE_3 src1_sel:DWORD
	s_mov_b64 s[4:5], -1
                                        ; implicit-def: $sgpr10
	s_and_saveexec_b64 s[8:9], s[12:13]
; %bb.2874:
	s_mov_b32 s10, 0x7f800001
	s_xor_b64 s[4:5], exec, -1
; %bb.2875:
	s_or_b64 exec, exec, s[8:9]
	s_and_b64 s[4:5], s[4:5], exec
	s_or_saveexec_b64 s[6:7], s[6:7]
	v_mov_b32_e32 v10, s10
	s_xor_b64 exec, exec, s[6:7]
	s_cbranch_execz .LBB41_826
.LBB41_2876:
	v_mov_b32_e32 v10, 0
	v_cmp_ne_u16_sdwa s[8:9], v15, v10 src0_sel:BYTE_3 src1_sel:DWORD
	s_andn2_b64 s[4:5], s[4:5], exec
	s_and_b64 s[8:9], s[8:9], exec
	s_or_b64 s[4:5], s[4:5], s[8:9]
	s_or_b64 exec, exec, s[6:7]
	s_and_saveexec_b64 s[6:7], s[4:5]
	s_cbranch_execnz .LBB41_827
	s_branch .LBB41_828
.LBB41_2877:
	s_movk_i32 s4, 0x80
	v_cmp_eq_u16_sdwa s[12:13], v11, s4 src0_sel:BYTE_3 src1_sel:DWORD
	s_mov_b64 s[4:5], -1
                                        ; implicit-def: $sgpr10
	s_and_saveexec_b64 s[8:9], s[12:13]
; %bb.2878:
	s_mov_b32 s10, 0x7f800001
	s_xor_b64 s[4:5], exec, -1
; %bb.2879:
	s_or_b64 exec, exec, s[8:9]
	s_and_b64 s[4:5], s[4:5], exec
	s_or_saveexec_b64 s[6:7], s[6:7]
	v_mov_b32_e32 v14, s10
	s_xor_b64 exec, exec, s[6:7]
	s_cbranch_execz .LBB41_830
.LBB41_2880:
	v_mov_b32_e32 v14, 0
	v_cmp_ne_u16_sdwa s[8:9], v11, v14 src0_sel:BYTE_3 src1_sel:DWORD
	s_andn2_b64 s[4:5], s[4:5], exec
	s_and_b64 s[8:9], s[8:9], exec
	s_or_b64 s[4:5], s[4:5], s[8:9]
	s_or_b64 exec, exec, s[6:7]
	s_and_saveexec_b64 s[6:7], s[4:5]
	s_cbranch_execnz .LBB41_831
	s_branch .LBB41_832
.LBB41_2881:
	s_movk_i32 s4, 0x80
	v_cmp_eq_u16_sdwa s[12:13], v16, s4 src0_sel:BYTE_0 src1_sel:DWORD
	s_mov_b64 s[4:5], -1
                                        ; implicit-def: $sgpr10
	s_and_saveexec_b64 s[8:9], s[12:13]
; %bb.2882:
	s_mov_b32 s10, 0x7f800001
	s_xor_b64 s[4:5], exec, -1
; %bb.2883:
	s_or_b64 exec, exec, s[8:9]
	s_and_b64 s[4:5], s[4:5], exec
	s_or_saveexec_b64 s[6:7], s[6:7]
	v_mov_b32_e32 v10, s10
	s_xor_b64 exec, exec, s[6:7]
	s_cbranch_execz .LBB41_834
.LBB41_2884:
	v_mov_b32_e32 v10, 0
	v_cmp_ne_u16_sdwa s[8:9], v16, v10 src0_sel:BYTE_0 src1_sel:DWORD
	s_andn2_b64 s[4:5], s[4:5], exec
	s_and_b64 s[8:9], s[8:9], exec
	s_or_b64 s[4:5], s[4:5], s[8:9]
	s_or_b64 exec, exec, s[6:7]
	s_and_saveexec_b64 s[6:7], s[4:5]
	s_cbranch_execnz .LBB41_835
	s_branch .LBB41_836
.LBB41_2885:
	s_movk_i32 s4, 0x80
	v_cmp_eq_u16_sdwa s[12:13], v12, s4 src0_sel:BYTE_0 src1_sel:DWORD
	s_mov_b64 s[4:5], -1
                                        ; implicit-def: $sgpr10
	s_and_saveexec_b64 s[8:9], s[12:13]
; %bb.2886:
	s_mov_b32 s10, 0x7f800001
	s_xor_b64 s[4:5], exec, -1
; %bb.2887:
	s_or_b64 exec, exec, s[8:9]
	s_and_b64 s[4:5], s[4:5], exec
	s_or_saveexec_b64 s[6:7], s[6:7]
	v_mov_b32_e32 v11, s10
	s_xor_b64 exec, exec, s[6:7]
	s_cbranch_execz .LBB41_838
.LBB41_2888:
	v_mov_b32_e32 v11, 0
	v_cmp_ne_u16_sdwa s[8:9], v12, v11 src0_sel:BYTE_0 src1_sel:DWORD
	s_andn2_b64 s[4:5], s[4:5], exec
	s_and_b64 s[8:9], s[8:9], exec
	s_or_b64 s[4:5], s[4:5], s[8:9]
	s_or_b64 exec, exec, s[6:7]
	s_and_saveexec_b64 s[6:7], s[4:5]
	s_cbranch_execnz .LBB41_839
	s_branch .LBB41_840
.LBB41_2889:
	s_movk_i32 s4, 0x80
	v_cmp_eq_u16_sdwa s[12:13], v11, s4 src0_sel:BYTE_0 src1_sel:DWORD
	s_mov_b64 s[4:5], -1
                                        ; implicit-def: $sgpr10
	s_and_saveexec_b64 s[8:9], s[12:13]
; %bb.2890:
	s_mov_b32 s10, 0x7f800001
	s_xor_b64 s[4:5], exec, -1
; %bb.2891:
	s_or_b64 exec, exec, s[8:9]
	s_and_b64 s[4:5], s[4:5], exec
	s_or_saveexec_b64 s[6:7], s[6:7]
	v_mov_b32_e32 v10, s10
	s_xor_b64 exec, exec, s[6:7]
	s_cbranch_execz .LBB41_842
.LBB41_2892:
	v_mov_b32_e32 v10, 0
	v_cmp_ne_u16_sdwa s[8:9], v11, v10 src0_sel:BYTE_0 src1_sel:DWORD
	s_andn2_b64 s[4:5], s[4:5], exec
	s_and_b64 s[8:9], s[8:9], exec
	s_or_b64 s[4:5], s[4:5], s[8:9]
	s_or_b64 exec, exec, s[6:7]
	s_and_saveexec_b64 s[6:7], s[4:5]
	s_cbranch_execnz .LBB41_843
	s_branch .LBB41_844
.LBB41_2893:
	s_movk_i32 s4, 0x80
	v_cmp_eq_u16_sdwa s[12:13], v11, s4 src0_sel:BYTE_0 src1_sel:DWORD
	s_mov_b64 s[4:5], -1
                                        ; implicit-def: $sgpr10
	s_and_saveexec_b64 s[8:9], s[12:13]
; %bb.2894:
	s_mov_b32 s10, 0x7f800001
	s_xor_b64 s[4:5], exec, -1
; %bb.2895:
	s_or_b64 exec, exec, s[8:9]
	s_and_b64 s[4:5], s[4:5], exec
	s_or_saveexec_b64 s[6:7], s[6:7]
	v_mov_b32_e32 v14, s10
	s_xor_b64 exec, exec, s[6:7]
	s_cbranch_execz .LBB41_846
.LBB41_2896:
	v_mov_b32_e32 v14, 0
	v_cmp_ne_u16_sdwa s[8:9], v11, v14 src0_sel:BYTE_0 src1_sel:DWORD
	s_andn2_b64 s[4:5], s[4:5], exec
	s_and_b64 s[8:9], s[8:9], exec
	s_or_b64 s[4:5], s[4:5], s[8:9]
	s_or_b64 exec, exec, s[6:7]
	s_and_saveexec_b64 s[6:7], s[4:5]
	s_cbranch_execnz .LBB41_847
	s_branch .LBB41_848
.LBB41_2897:
	s_movk_i32 s4, 0x80
	v_cmp_eq_u16_e32 vcc, s4, v11
	s_mov_b64 s[4:5], -1
                                        ; implicit-def: $sgpr10
	s_and_saveexec_b64 s[8:9], vcc
; %bb.2898:
	s_mov_b32 s10, 0x7f800001
	s_xor_b64 s[4:5], exec, -1
; %bb.2899:
	s_or_b64 exec, exec, s[8:9]
	s_and_b64 s[4:5], s[4:5], exec
                                        ; implicit-def: $vgpr11
	s_or_saveexec_b64 s[6:7], s[6:7]
	v_mov_b32_e32 v10, s10
	s_xor_b64 exec, exec, s[6:7]
	s_cbranch_execz .LBB41_850
.LBB41_2900:
	v_cmp_ne_u16_e32 vcc, 0, v11
	s_andn2_b64 s[4:5], s[4:5], exec
	s_and_b64 s[8:9], vcc, exec
	v_mov_b32_e32 v10, 0
	s_or_b64 s[4:5], s[4:5], s[8:9]
	s_or_b64 exec, exec, s[6:7]
	s_and_saveexec_b64 s[6:7], s[4:5]
	s_cbranch_execnz .LBB41_851
	s_branch .LBB41_852
.LBB41_2901:
	s_movk_i32 s4, 0x80
	v_cmp_eq_u16_e32 vcc, s4, v11
	s_mov_b64 s[4:5], -1
                                        ; implicit-def: $sgpr10
	s_and_saveexec_b64 s[8:9], vcc
; %bb.2902:
	s_mov_b32 s10, 0x7f800001
	s_xor_b64 s[4:5], exec, -1
; %bb.2903:
	s_or_b64 exec, exec, s[8:9]
	s_and_b64 s[4:5], s[4:5], exec
                                        ; implicit-def: $vgpr11
	s_or_saveexec_b64 s[6:7], s[6:7]
	v_mov_b32_e32 v14, s10
	s_xor_b64 exec, exec, s[6:7]
	s_cbranch_execz .LBB41_854
.LBB41_2904:
	v_cmp_ne_u16_e32 vcc, 0, v11
	s_andn2_b64 s[4:5], s[4:5], exec
	s_and_b64 s[8:9], vcc, exec
	v_mov_b32_e32 v14, 0
	s_or_b64 s[4:5], s[4:5], s[8:9]
	s_or_b64 exec, exec, s[6:7]
	s_and_saveexec_b64 s[6:7], s[4:5]
	s_cbranch_execnz .LBB41_855
	s_branch .LBB41_856
.LBB41_2905:
	s_movk_i32 s4, 0x80
	v_cmp_eq_u16_sdwa s[12:13], v16, s4 src0_sel:BYTE_3 src1_sel:DWORD
	s_mov_b64 s[4:5], -1
                                        ; implicit-def: $sgpr10
	s_and_saveexec_b64 s[8:9], s[12:13]
; %bb.2906:
	s_mov_b32 s10, 0x7f800001
	s_xor_b64 s[4:5], exec, -1
; %bb.2907:
	s_or_b64 exec, exec, s[8:9]
	s_and_b64 s[4:5], s[4:5], exec
	s_or_saveexec_b64 s[6:7], s[6:7]
	v_mov_b32_e32 v10, s10
	s_xor_b64 exec, exec, s[6:7]
	s_cbranch_execz .LBB41_858
.LBB41_2908:
	v_mov_b32_e32 v10, 0
	v_cmp_ne_u16_sdwa s[8:9], v16, v10 src0_sel:BYTE_3 src1_sel:DWORD
	s_andn2_b64 s[4:5], s[4:5], exec
	s_and_b64 s[8:9], s[8:9], exec
	s_or_b64 s[4:5], s[4:5], s[8:9]
	s_or_b64 exec, exec, s[6:7]
	s_and_saveexec_b64 s[6:7], s[4:5]
	s_cbranch_execnz .LBB41_859
	s_branch .LBB41_860
.LBB41_2909:
	s_movk_i32 s4, 0x80
	v_cmp_eq_u16_sdwa s[12:13], v12, s4 src0_sel:BYTE_3 src1_sel:DWORD
	s_mov_b64 s[4:5], -1
                                        ; implicit-def: $sgpr10
	s_and_saveexec_b64 s[8:9], s[12:13]
; %bb.2910:
	s_mov_b32 s10, 0x7f800001
	s_xor_b64 s[4:5], exec, -1
; %bb.2911:
	s_or_b64 exec, exec, s[8:9]
	s_and_b64 s[4:5], s[4:5], exec
	s_or_saveexec_b64 s[6:7], s[6:7]
	v_mov_b32_e32 v11, s10
	s_xor_b64 exec, exec, s[6:7]
	s_cbranch_execz .LBB41_862
.LBB41_2912:
	v_mov_b32_e32 v11, 0
	v_cmp_ne_u16_sdwa s[8:9], v12, v11 src0_sel:BYTE_3 src1_sel:DWORD
	s_andn2_b64 s[4:5], s[4:5], exec
	s_and_b64 s[8:9], s[8:9], exec
	s_or_b64 s[4:5], s[4:5], s[8:9]
	s_or_b64 exec, exec, s[6:7]
	s_and_saveexec_b64 s[6:7], s[4:5]
	s_cbranch_execnz .LBB41_863
	s_branch .LBB41_864
.LBB41_2913:
	s_movk_i32 s4, 0x80
	v_cmp_eq_u16_sdwa s[12:13], v17, s4 src0_sel:BYTE_0 src1_sel:DWORD
	s_mov_b64 s[4:5], -1
                                        ; implicit-def: $sgpr10
	s_and_saveexec_b64 s[8:9], s[12:13]
; %bb.2914:
	s_mov_b32 s10, 0x7f800001
	s_xor_b64 s[4:5], exec, -1
; %bb.2915:
	s_or_b64 exec, exec, s[8:9]
	s_and_b64 s[4:5], s[4:5], exec
	s_or_saveexec_b64 s[6:7], s[6:7]
	v_mov_b32_e32 v10, s10
	s_xor_b64 exec, exec, s[6:7]
	s_cbranch_execz .LBB41_866
.LBB41_2916:
	v_mov_b32_e32 v10, 0
	v_cmp_ne_u16_sdwa s[8:9], v17, v10 src0_sel:BYTE_0 src1_sel:DWORD
	s_andn2_b64 s[4:5], s[4:5], exec
	s_and_b64 s[8:9], s[8:9], exec
	s_or_b64 s[4:5], s[4:5], s[8:9]
	s_or_b64 exec, exec, s[6:7]
	s_and_saveexec_b64 s[6:7], s[4:5]
	s_cbranch_execnz .LBB41_867
	s_branch .LBB41_868
.LBB41_2917:
	s_movk_i32 s4, 0x80
	v_cmp_eq_u16_sdwa s[12:13], v13, s4 src0_sel:BYTE_0 src1_sel:DWORD
	s_mov_b64 s[4:5], -1
                                        ; implicit-def: $sgpr10
	s_and_saveexec_b64 s[8:9], s[12:13]
; %bb.2918:
	s_mov_b32 s10, 0x7f800001
	s_xor_b64 s[4:5], exec, -1
; %bb.2919:
	s_or_b64 exec, exec, s[8:9]
	s_and_b64 s[4:5], s[4:5], exec
	s_or_saveexec_b64 s[6:7], s[6:7]
	v_mov_b32_e32 v11, s10
	s_xor_b64 exec, exec, s[6:7]
	s_cbranch_execz .LBB41_870
.LBB41_2920:
	v_mov_b32_e32 v11, 0
	v_cmp_ne_u16_sdwa s[8:9], v13, v11 src0_sel:BYTE_0 src1_sel:DWORD
	s_andn2_b64 s[4:5], s[4:5], exec
	s_and_b64 s[8:9], s[8:9], exec
	s_or_b64 s[4:5], s[4:5], s[8:9]
	s_or_b64 exec, exec, s[6:7]
	s_and_saveexec_b64 s[6:7], s[4:5]
	s_cbranch_execnz .LBB41_871
	s_branch .LBB41_872
.LBB41_2921:
	s_movk_i32 s4, 0x80
	v_cmp_eq_u16_sdwa s[12:13], v11, s4 src0_sel:BYTE_0 src1_sel:DWORD
	s_mov_b64 s[4:5], -1
                                        ; implicit-def: $sgpr10
	s_and_saveexec_b64 s[8:9], s[12:13]
; %bb.2922:
	s_mov_b32 s10, 0x7f800001
	s_xor_b64 s[4:5], exec, -1
; %bb.2923:
	s_or_b64 exec, exec, s[8:9]
	s_and_b64 s[4:5], s[4:5], exec
	s_or_saveexec_b64 s[6:7], s[6:7]
	v_mov_b32_e32 v10, s10
	s_xor_b64 exec, exec, s[6:7]
	s_cbranch_execz .LBB41_874
.LBB41_2924:
	v_mov_b32_e32 v10, 0
	v_cmp_ne_u16_sdwa s[8:9], v11, v10 src0_sel:BYTE_0 src1_sel:DWORD
	s_andn2_b64 s[4:5], s[4:5], exec
	s_and_b64 s[8:9], s[8:9], exec
	s_or_b64 s[4:5], s[4:5], s[8:9]
	s_or_b64 exec, exec, s[6:7]
	s_and_saveexec_b64 s[6:7], s[4:5]
	s_cbranch_execnz .LBB41_875
	s_branch .LBB41_876
.LBB41_2925:
	s_movk_i32 s4, 0x80
	v_cmp_eq_u16_sdwa s[12:13], v11, s4 src0_sel:BYTE_0 src1_sel:DWORD
	s_mov_b64 s[4:5], -1
                                        ; implicit-def: $sgpr10
	s_and_saveexec_b64 s[8:9], s[12:13]
; %bb.2926:
	s_mov_b32 s10, 0x7f800001
	s_xor_b64 s[4:5], exec, -1
; %bb.2927:
	s_or_b64 exec, exec, s[8:9]
	s_and_b64 s[4:5], s[4:5], exec
	s_or_saveexec_b64 s[6:7], s[6:7]
	v_mov_b32_e32 v12, s10
	s_xor_b64 exec, exec, s[6:7]
	s_cbranch_execz .LBB41_878
.LBB41_2928:
	v_mov_b32_e32 v12, 0
	v_cmp_ne_u16_sdwa s[8:9], v11, v12 src0_sel:BYTE_0 src1_sel:DWORD
	s_andn2_b64 s[4:5], s[4:5], exec
	s_and_b64 s[8:9], s[8:9], exec
	s_or_b64 s[4:5], s[4:5], s[8:9]
	s_or_b64 exec, exec, s[6:7]
	s_and_saveexec_b64 s[6:7], s[4:5]
	s_cbranch_execnz .LBB41_879
	s_branch .LBB41_880
.LBB41_2929:
	s_movk_i32 s4, 0x80
	v_cmp_eq_u16_e32 vcc, s4, v11
	s_mov_b64 s[4:5], -1
                                        ; implicit-def: $sgpr10
	s_and_saveexec_b64 s[8:9], vcc
; %bb.2930:
	s_mov_b32 s10, 0x7f800001
	s_xor_b64 s[4:5], exec, -1
; %bb.2931:
	s_or_b64 exec, exec, s[8:9]
	s_and_b64 s[4:5], s[4:5], exec
                                        ; implicit-def: $vgpr11
	s_or_saveexec_b64 s[6:7], s[6:7]
	v_mov_b32_e32 v10, s10
	s_xor_b64 exec, exec, s[6:7]
	s_cbranch_execz .LBB41_882
.LBB41_2932:
	v_cmp_ne_u16_e32 vcc, 0, v11
	s_andn2_b64 s[4:5], s[4:5], exec
	s_and_b64 s[8:9], vcc, exec
	v_mov_b32_e32 v10, 0
	s_or_b64 s[4:5], s[4:5], s[8:9]
	s_or_b64 exec, exec, s[6:7]
	s_and_saveexec_b64 s[6:7], s[4:5]
	s_cbranch_execnz .LBB41_883
	s_branch .LBB41_884
.LBB41_2933:
	s_movk_i32 s4, 0x80
	v_cmp_eq_u16_e32 vcc, s4, v11
	s_mov_b64 s[4:5], -1
                                        ; implicit-def: $sgpr10
	s_and_saveexec_b64 s[8:9], vcc
; %bb.2934:
	s_mov_b32 s10, 0x7f800001
	s_xor_b64 s[4:5], exec, -1
; %bb.2935:
	s_or_b64 exec, exec, s[8:9]
	s_and_b64 s[4:5], s[4:5], exec
                                        ; implicit-def: $vgpr11
	s_or_saveexec_b64 s[6:7], s[6:7]
	v_mov_b32_e32 v12, s10
	s_xor_b64 exec, exec, s[6:7]
	s_cbranch_execz .LBB41_886
.LBB41_2936:
	v_cmp_ne_u16_e32 vcc, 0, v11
	s_andn2_b64 s[4:5], s[4:5], exec
	s_and_b64 s[8:9], vcc, exec
	v_mov_b32_e32 v12, 0
	s_or_b64 s[4:5], s[4:5], s[8:9]
	s_or_b64 exec, exec, s[6:7]
	s_and_saveexec_b64 s[6:7], s[4:5]
	s_cbranch_execnz .LBB41_887
	s_branch .LBB41_888
.LBB41_2937:
	s_movk_i32 s4, 0x80
	v_cmp_eq_u16_sdwa s[12:13], v17, s4 src0_sel:BYTE_3 src1_sel:DWORD
	s_mov_b64 s[4:5], -1
                                        ; implicit-def: $sgpr10
	s_and_saveexec_b64 s[8:9], s[12:13]
; %bb.2938:
	s_mov_b32 s10, 0x7f800001
	s_xor_b64 s[4:5], exec, -1
; %bb.2939:
	s_or_b64 exec, exec, s[8:9]
	s_and_b64 s[4:5], s[4:5], exec
	s_or_saveexec_b64 s[6:7], s[6:7]
	v_mov_b32_e32 v10, s10
	s_xor_b64 exec, exec, s[6:7]
	s_cbranch_execz .LBB41_890
.LBB41_2940:
	v_mov_b32_e32 v10, 0
	v_cmp_ne_u16_sdwa s[8:9], v17, v10 src0_sel:BYTE_3 src1_sel:DWORD
	s_andn2_b64 s[4:5], s[4:5], exec
	s_and_b64 s[8:9], s[8:9], exec
	s_or_b64 s[4:5], s[4:5], s[8:9]
	s_or_b64 exec, exec, s[6:7]
	s_and_saveexec_b64 s[6:7], s[4:5]
	s_cbranch_execnz .LBB41_891
	s_branch .LBB41_892
.LBB41_2941:
	s_movk_i32 s4, 0x80
	v_cmp_eq_u16_sdwa s[12:13], v13, s4 src0_sel:BYTE_3 src1_sel:DWORD
	s_mov_b64 s[4:5], -1
                                        ; implicit-def: $sgpr10
	s_and_saveexec_b64 s[8:9], s[12:13]
; %bb.2942:
	s_mov_b32 s10, 0x7f800001
	s_xor_b64 s[4:5], exec, -1
; %bb.2943:
	s_or_b64 exec, exec, s[8:9]
	s_and_b64 s[4:5], s[4:5], exec
	s_or_saveexec_b64 s[6:7], s[6:7]
	v_mov_b32_e32 v11, s10
	s_xor_b64 exec, exec, s[6:7]
	s_cbranch_execz .LBB41_894
.LBB41_2944:
	v_mov_b32_e32 v11, 0
	v_cmp_ne_u16_sdwa s[8:9], v13, v11 src0_sel:BYTE_3 src1_sel:DWORD
	s_andn2_b64 s[4:5], s[4:5], exec
	s_and_b64 s[8:9], s[8:9], exec
	s_or_b64 s[4:5], s[4:5], s[8:9]
	s_or_b64 exec, exec, s[6:7]
	s_and_saveexec_b64 s[6:7], s[4:5]
	s_cbranch_execnz .LBB41_895
	s_branch .LBB41_896
.LBB41_2945:
	s_movk_i32 s4, 0x80
	v_cmp_eq_u16_sdwa s[12:13], v6, s4 src0_sel:BYTE_0 src1_sel:DWORD
	s_mov_b64 s[4:5], -1
                                        ; implicit-def: $sgpr10
	s_and_saveexec_b64 s[8:9], s[12:13]
; %bb.2946:
	s_mov_b32 s10, 0x7f800001
	s_xor_b64 s[4:5], exec, -1
; %bb.2947:
	s_or_b64 exec, exec, s[8:9]
	s_and_b64 s[4:5], s[4:5], exec
	s_or_saveexec_b64 s[6:7], s[6:7]
	v_mov_b32_e32 v10, s10
	s_xor_b64 exec, exec, s[6:7]
	s_cbranch_execz .LBB41_898
.LBB41_2948:
	v_mov_b32_e32 v10, 0
	v_cmp_ne_u16_sdwa s[8:9], v6, v10 src0_sel:BYTE_0 src1_sel:DWORD
	s_andn2_b64 s[4:5], s[4:5], exec
	s_and_b64 s[8:9], s[8:9], exec
	s_or_b64 s[4:5], s[4:5], s[8:9]
	s_or_b64 exec, exec, s[6:7]
	s_and_saveexec_b64 s[6:7], s[4:5]
	s_cbranch_execnz .LBB41_899
	s_branch .LBB41_900
.LBB41_2949:
	s_movk_i32 s4, 0x80
	v_cmp_eq_u16_sdwa s[12:13], v2, s4 src0_sel:BYTE_0 src1_sel:DWORD
	s_mov_b64 s[4:5], -1
                                        ; implicit-def: $sgpr10
	s_and_saveexec_b64 s[8:9], s[12:13]
; %bb.2950:
	s_mov_b32 s10, 0x7f800001
	s_xor_b64 s[4:5], exec, -1
; %bb.2951:
	s_or_b64 exec, exec, s[8:9]
	s_and_b64 s[4:5], s[4:5], exec
	s_or_saveexec_b64 s[6:7], s[6:7]
	v_mov_b32_e32 v11, s10
	s_xor_b64 exec, exec, s[6:7]
	s_cbranch_execz .LBB41_902
.LBB41_2952:
	v_mov_b32_e32 v11, 0
	v_cmp_ne_u16_sdwa s[8:9], v2, v11 src0_sel:BYTE_0 src1_sel:DWORD
	s_andn2_b64 s[4:5], s[4:5], exec
	s_and_b64 s[8:9], s[8:9], exec
	s_or_b64 s[4:5], s[4:5], s[8:9]
	s_or_b64 exec, exec, s[6:7]
	s_and_saveexec_b64 s[6:7], s[4:5]
	s_cbranch_execnz .LBB41_903
	s_branch .LBB41_904
.LBB41_2953:
	s_movk_i32 s4, 0x80
	v_cmp_eq_u16_sdwa s[12:13], v11, s4 src0_sel:BYTE_0 src1_sel:DWORD
	s_mov_b64 s[4:5], -1
                                        ; implicit-def: $sgpr10
	s_and_saveexec_b64 s[8:9], s[12:13]
; %bb.2954:
	s_mov_b32 s10, 0x7f800001
	s_xor_b64 s[4:5], exec, -1
; %bb.2955:
	s_or_b64 exec, exec, s[8:9]
	s_and_b64 s[4:5], s[4:5], exec
	s_or_saveexec_b64 s[6:7], s[6:7]
	v_mov_b32_e32 v10, s10
	s_xor_b64 exec, exec, s[6:7]
	s_cbranch_execz .LBB41_906
.LBB41_2956:
	v_mov_b32_e32 v10, 0
	v_cmp_ne_u16_sdwa s[8:9], v11, v10 src0_sel:BYTE_0 src1_sel:DWORD
	s_andn2_b64 s[4:5], s[4:5], exec
	s_and_b64 s[8:9], s[8:9], exec
	s_or_b64 s[4:5], s[4:5], s[8:9]
	s_or_b64 exec, exec, s[6:7]
	s_and_saveexec_b64 s[6:7], s[4:5]
	s_cbranch_execnz .LBB41_907
	s_branch .LBB41_908
.LBB41_2957:
	s_movk_i32 s4, 0x80
	v_cmp_eq_u16_sdwa s[12:13], v11, s4 src0_sel:BYTE_0 src1_sel:DWORD
	s_mov_b64 s[4:5], -1
                                        ; implicit-def: $sgpr10
	s_and_saveexec_b64 s[8:9], s[12:13]
; %bb.2958:
	s_mov_b32 s10, 0x7f800001
	s_xor_b64 s[4:5], exec, -1
; %bb.2959:
	s_or_b64 exec, exec, s[8:9]
	s_and_b64 s[4:5], s[4:5], exec
	s_or_saveexec_b64 s[6:7], s[6:7]
	v_mov_b32_e32 v12, s10
	s_xor_b64 exec, exec, s[6:7]
	s_cbranch_execz .LBB41_910
.LBB41_2960:
	v_mov_b32_e32 v12, 0
	v_cmp_ne_u16_sdwa s[8:9], v11, v12 src0_sel:BYTE_0 src1_sel:DWORD
	s_andn2_b64 s[4:5], s[4:5], exec
	s_and_b64 s[8:9], s[8:9], exec
	s_or_b64 s[4:5], s[4:5], s[8:9]
	s_or_b64 exec, exec, s[6:7]
	s_and_saveexec_b64 s[6:7], s[4:5]
	s_cbranch_execnz .LBB41_911
	s_branch .LBB41_912
.LBB41_2961:
	s_movk_i32 s4, 0x80
	v_cmp_eq_u16_e32 vcc, s4, v11
	s_mov_b64 s[4:5], -1
                                        ; implicit-def: $sgpr10
	s_and_saveexec_b64 s[8:9], vcc
; %bb.2962:
	s_mov_b32 s10, 0x7f800001
	s_xor_b64 s[4:5], exec, -1
; %bb.2963:
	s_or_b64 exec, exec, s[8:9]
	s_and_b64 s[4:5], s[4:5], exec
                                        ; implicit-def: $vgpr11
	s_or_saveexec_b64 s[6:7], s[6:7]
	v_mov_b32_e32 v10, s10
	s_xor_b64 exec, exec, s[6:7]
	s_cbranch_execz .LBB41_914
.LBB41_2964:
	v_cmp_ne_u16_e32 vcc, 0, v11
	s_andn2_b64 s[4:5], s[4:5], exec
	s_and_b64 s[8:9], vcc, exec
	v_mov_b32_e32 v10, 0
	s_or_b64 s[4:5], s[4:5], s[8:9]
	s_or_b64 exec, exec, s[6:7]
	s_and_saveexec_b64 s[6:7], s[4:5]
	s_cbranch_execnz .LBB41_915
	s_branch .LBB41_916
.LBB41_2965:
	s_movk_i32 s4, 0x80
	v_cmp_eq_u16_e32 vcc, s4, v11
	s_mov_b64 s[4:5], -1
                                        ; implicit-def: $sgpr10
	s_and_saveexec_b64 s[8:9], vcc
; %bb.2966:
	s_mov_b32 s10, 0x7f800001
	s_xor_b64 s[4:5], exec, -1
; %bb.2967:
	s_or_b64 exec, exec, s[8:9]
	s_and_b64 s[4:5], s[4:5], exec
                                        ; implicit-def: $vgpr11
	s_or_saveexec_b64 s[6:7], s[6:7]
	v_mov_b32_e32 v12, s10
	s_xor_b64 exec, exec, s[6:7]
	s_cbranch_execz .LBB41_918
.LBB41_2968:
	v_cmp_ne_u16_e32 vcc, 0, v11
	s_andn2_b64 s[4:5], s[4:5], exec
	s_and_b64 s[8:9], vcc, exec
	v_mov_b32_e32 v12, 0
	s_or_b64 s[4:5], s[4:5], s[8:9]
	s_or_b64 exec, exec, s[6:7]
	s_and_saveexec_b64 s[6:7], s[4:5]
	s_cbranch_execnz .LBB41_919
	s_branch .LBB41_920
.LBB41_2969:
	s_movk_i32 s4, 0x80
	v_cmp_eq_u16_sdwa s[12:13], v6, s4 src0_sel:BYTE_3 src1_sel:DWORD
	s_mov_b64 s[4:5], -1
                                        ; implicit-def: $sgpr10
	s_and_saveexec_b64 s[8:9], s[12:13]
; %bb.2970:
	s_mov_b32 s10, 0x7f800001
	s_xor_b64 s[4:5], exec, -1
; %bb.2971:
	s_or_b64 exec, exec, s[8:9]
	s_and_b64 s[4:5], s[4:5], exec
	s_or_saveexec_b64 s[6:7], s[6:7]
	v_mov_b32_e32 v10, s10
	s_xor_b64 exec, exec, s[6:7]
	s_cbranch_execz .LBB41_922
.LBB41_2972:
	v_mov_b32_e32 v10, 0
	v_cmp_ne_u16_sdwa s[8:9], v6, v10 src0_sel:BYTE_3 src1_sel:DWORD
	s_andn2_b64 s[4:5], s[4:5], exec
	s_and_b64 s[8:9], s[8:9], exec
	s_or_b64 s[4:5], s[4:5], s[8:9]
	s_or_b64 exec, exec, s[6:7]
	s_and_saveexec_b64 s[6:7], s[4:5]
	s_cbranch_execnz .LBB41_923
	s_branch .LBB41_924
.LBB41_2973:
	s_movk_i32 s4, 0x80
	v_cmp_eq_u16_sdwa s[12:13], v2, s4 src0_sel:BYTE_3 src1_sel:DWORD
	s_mov_b64 s[4:5], -1
                                        ; implicit-def: $sgpr10
	s_and_saveexec_b64 s[8:9], s[12:13]
; %bb.2974:
	s_mov_b32 s10, 0x7f800001
	s_xor_b64 s[4:5], exec, -1
; %bb.2975:
	s_or_b64 exec, exec, s[8:9]
	s_and_b64 s[4:5], s[4:5], exec
	s_or_saveexec_b64 s[6:7], s[6:7]
	v_mov_b32_e32 v6, s10
	s_xor_b64 exec, exec, s[6:7]
	s_cbranch_execz .LBB41_926
.LBB41_2976:
	v_mov_b32_e32 v6, 0
	v_cmp_ne_u16_sdwa s[8:9], v2, v6 src0_sel:BYTE_3 src1_sel:DWORD
	s_andn2_b64 s[4:5], s[4:5], exec
	s_and_b64 s[8:9], s[8:9], exec
	s_or_b64 s[4:5], s[4:5], s[8:9]
	s_or_b64 exec, exec, s[6:7]
	s_and_saveexec_b64 s[6:7], s[4:5]
	s_cbranch_execnz .LBB41_927
	s_branch .LBB41_928
.LBB41_2977:
	s_movk_i32 s4, 0x80
	v_cmp_eq_u16_sdwa s[12:13], v7, s4 src0_sel:BYTE_0 src1_sel:DWORD
	s_mov_b64 s[4:5], -1
                                        ; implicit-def: $sgpr10
	s_and_saveexec_b64 s[8:9], s[12:13]
; %bb.2978:
	s_mov_b32 s10, 0x7f800001
	s_xor_b64 s[4:5], exec, -1
; %bb.2979:
	s_or_b64 exec, exec, s[8:9]
	s_and_b64 s[4:5], s[4:5], exec
	s_or_saveexec_b64 s[6:7], s[6:7]
	v_mov_b32_e32 v2, s10
	s_xor_b64 exec, exec, s[6:7]
	s_cbranch_execz .LBB41_930
.LBB41_2980:
	v_mov_b32_e32 v2, 0
	v_cmp_ne_u16_sdwa s[8:9], v7, v2 src0_sel:BYTE_0 src1_sel:DWORD
	s_andn2_b64 s[4:5], s[4:5], exec
	s_and_b64 s[8:9], s[8:9], exec
	s_or_b64 s[4:5], s[4:5], s[8:9]
	s_or_b64 exec, exec, s[6:7]
	s_and_saveexec_b64 s[6:7], s[4:5]
	s_cbranch_execnz .LBB41_931
	s_branch .LBB41_932
.LBB41_2981:
	s_movk_i32 s4, 0x80
	v_cmp_eq_u16_sdwa s[12:13], v3, s4 src0_sel:BYTE_0 src1_sel:DWORD
	s_mov_b64 s[4:5], -1
                                        ; implicit-def: $sgpr10
	s_and_saveexec_b64 s[8:9], s[12:13]
; %bb.2982:
	s_mov_b32 s10, 0x7f800001
	s_xor_b64 s[4:5], exec, -1
; %bb.2983:
	s_or_b64 exec, exec, s[8:9]
	s_and_b64 s[4:5], s[4:5], exec
	s_or_saveexec_b64 s[6:7], s[6:7]
	v_mov_b32_e32 v6, s10
	s_xor_b64 exec, exec, s[6:7]
	s_cbranch_execz .LBB41_934
.LBB41_2984:
	v_mov_b32_e32 v6, 0
	v_cmp_ne_u16_sdwa s[8:9], v3, v6 src0_sel:BYTE_0 src1_sel:DWORD
	s_andn2_b64 s[4:5], s[4:5], exec
	s_and_b64 s[8:9], s[8:9], exec
	s_or_b64 s[4:5], s[4:5], s[8:9]
	s_or_b64 exec, exec, s[6:7]
	s_and_saveexec_b64 s[6:7], s[4:5]
	s_cbranch_execnz .LBB41_935
	s_branch .LBB41_936
.LBB41_2985:
	s_movk_i32 s4, 0x80
	v_cmp_eq_u16_sdwa s[12:13], v6, s4 src0_sel:BYTE_0 src1_sel:DWORD
	s_mov_b64 s[4:5], -1
                                        ; implicit-def: $sgpr10
	s_and_saveexec_b64 s[8:9], s[12:13]
; %bb.2986:
	s_mov_b32 s10, 0x7f800001
	s_xor_b64 s[4:5], exec, -1
; %bb.2987:
	s_or_b64 exec, exec, s[8:9]
	s_and_b64 s[4:5], s[4:5], exec
	s_or_saveexec_b64 s[6:7], s[6:7]
	v_mov_b32_e32 v2, s10
	s_xor_b64 exec, exec, s[6:7]
	s_cbranch_execz .LBB41_938
.LBB41_2988:
	v_mov_b32_e32 v2, 0
	v_cmp_ne_u16_sdwa s[8:9], v6, v2 src0_sel:BYTE_0 src1_sel:DWORD
	s_andn2_b64 s[4:5], s[4:5], exec
	s_and_b64 s[8:9], s[8:9], exec
	s_or_b64 s[4:5], s[4:5], s[8:9]
	s_or_b64 exec, exec, s[6:7]
	s_and_saveexec_b64 s[6:7], s[4:5]
	s_cbranch_execnz .LBB41_939
	s_branch .LBB41_940
.LBB41_2989:
	s_movk_i32 s4, 0x80
	v_cmp_eq_u16_sdwa s[12:13], v6, s4 src0_sel:BYTE_0 src1_sel:DWORD
	s_mov_b64 s[4:5], -1
                                        ; implicit-def: $sgpr10
	s_and_saveexec_b64 s[8:9], s[12:13]
; %bb.2990:
	s_mov_b32 s10, 0x7f800001
	s_xor_b64 s[4:5], exec, -1
; %bb.2991:
	s_or_b64 exec, exec, s[8:9]
	s_and_b64 s[4:5], s[4:5], exec
	s_or_saveexec_b64 s[6:7], s[6:7]
	v_mov_b32_e32 v10, s10
	s_xor_b64 exec, exec, s[6:7]
	s_cbranch_execz .LBB41_942
.LBB41_2992:
	v_mov_b32_e32 v10, 0
	v_cmp_ne_u16_sdwa s[8:9], v6, v10 src0_sel:BYTE_0 src1_sel:DWORD
	s_andn2_b64 s[4:5], s[4:5], exec
	s_and_b64 s[8:9], s[8:9], exec
	s_or_b64 s[4:5], s[4:5], s[8:9]
	s_or_b64 exec, exec, s[6:7]
	s_and_saveexec_b64 s[6:7], s[4:5]
	s_cbranch_execnz .LBB41_943
	s_branch .LBB41_944
.LBB41_2993:
	s_movk_i32 s4, 0x80
	v_cmp_eq_u16_e32 vcc, s4, v6
	s_mov_b64 s[4:5], -1
                                        ; implicit-def: $sgpr10
	s_and_saveexec_b64 s[8:9], vcc
; %bb.2994:
	s_mov_b32 s10, 0x7f800001
	s_xor_b64 s[4:5], exec, -1
; %bb.2995:
	s_or_b64 exec, exec, s[8:9]
	s_and_b64 s[4:5], s[4:5], exec
                                        ; implicit-def: $vgpr6
	s_or_saveexec_b64 s[6:7], s[6:7]
	v_mov_b32_e32 v2, s10
	s_xor_b64 exec, exec, s[6:7]
	s_cbranch_execz .LBB41_946
.LBB41_2996:
	v_cmp_ne_u16_e32 vcc, 0, v6
	s_andn2_b64 s[4:5], s[4:5], exec
	s_and_b64 s[8:9], vcc, exec
	v_mov_b32_e32 v2, 0
	s_or_b64 s[4:5], s[4:5], s[8:9]
	s_or_b64 exec, exec, s[6:7]
	s_and_saveexec_b64 s[6:7], s[4:5]
	s_cbranch_execnz .LBB41_947
	s_branch .LBB41_948
.LBB41_2997:
	s_movk_i32 s4, 0x80
	v_cmp_eq_u16_e32 vcc, s4, v6
	s_mov_b64 s[4:5], -1
                                        ; implicit-def: $sgpr10
	s_and_saveexec_b64 s[8:9], vcc
; %bb.2998:
	s_mov_b32 s10, 0x7f800001
	s_xor_b64 s[4:5], exec, -1
; %bb.2999:
	s_or_b64 exec, exec, s[8:9]
	s_and_b64 s[4:5], s[4:5], exec
                                        ; implicit-def: $vgpr6
	s_or_saveexec_b64 s[6:7], s[6:7]
	v_mov_b32_e32 v10, s10
	s_xor_b64 exec, exec, s[6:7]
	s_cbranch_execz .LBB41_950
.LBB41_3000:
	v_cmp_ne_u16_e32 vcc, 0, v6
	s_andn2_b64 s[4:5], s[4:5], exec
	s_and_b64 s[8:9], vcc, exec
	v_mov_b32_e32 v10, 0
	s_or_b64 s[4:5], s[4:5], s[8:9]
	s_or_b64 exec, exec, s[6:7]
	s_and_saveexec_b64 s[6:7], s[4:5]
	s_cbranch_execnz .LBB41_951
	s_branch .LBB41_952
.LBB41_3001:
	s_movk_i32 s4, 0x80
	v_cmp_eq_u16_sdwa s[12:13], v7, s4 src0_sel:BYTE_3 src1_sel:DWORD
	s_mov_b64 s[4:5], -1
                                        ; implicit-def: $sgpr10
	s_and_saveexec_b64 s[8:9], s[12:13]
; %bb.3002:
	s_mov_b32 s10, 0x7f800001
	s_xor_b64 s[4:5], exec, -1
; %bb.3003:
	s_or_b64 exec, exec, s[8:9]
	s_and_b64 s[4:5], s[4:5], exec
	s_or_saveexec_b64 s[6:7], s[6:7]
	v_mov_b32_e32 v2, s10
	s_xor_b64 exec, exec, s[6:7]
	s_cbranch_execz .LBB41_954
.LBB41_3004:
	v_mov_b32_e32 v2, 0
	v_cmp_ne_u16_sdwa s[8:9], v7, v2 src0_sel:BYTE_3 src1_sel:DWORD
	s_andn2_b64 s[4:5], s[4:5], exec
	s_and_b64 s[8:9], s[8:9], exec
	s_or_b64 s[4:5], s[4:5], s[8:9]
	s_or_b64 exec, exec, s[6:7]
	s_and_saveexec_b64 s[6:7], s[4:5]
	s_cbranch_execnz .LBB41_955
	s_branch .LBB41_956
.LBB41_3005:
	s_movk_i32 s4, 0x80
	v_cmp_eq_u16_sdwa s[12:13], v3, s4 src0_sel:BYTE_3 src1_sel:DWORD
	s_mov_b64 s[4:5], -1
                                        ; implicit-def: $sgpr10
	s_and_saveexec_b64 s[8:9], s[12:13]
; %bb.3006:
	s_mov_b32 s10, 0x7f800001
	s_xor_b64 s[4:5], exec, -1
; %bb.3007:
	s_or_b64 exec, exec, s[8:9]
	s_and_b64 s[4:5], s[4:5], exec
	s_or_saveexec_b64 s[6:7], s[6:7]
	v_mov_b32_e32 v6, s10
	s_xor_b64 exec, exec, s[6:7]
	s_cbranch_execz .LBB41_958
.LBB41_3008:
	v_mov_b32_e32 v6, 0
	v_cmp_ne_u16_sdwa s[8:9], v3, v6 src0_sel:BYTE_3 src1_sel:DWORD
	s_andn2_b64 s[4:5], s[4:5], exec
	s_and_b64 s[8:9], s[8:9], exec
	s_or_b64 s[4:5], s[4:5], s[8:9]
	s_or_b64 exec, exec, s[6:7]
	s_and_saveexec_b64 s[6:7], s[4:5]
	s_cbranch_execnz .LBB41_959
	s_branch .LBB41_960
.LBB41_3009:
	s_movk_i32 s4, 0x80
	v_cmp_eq_u16_sdwa s[12:13], v8, s4 src0_sel:BYTE_0 src1_sel:DWORD
	s_mov_b64 s[4:5], -1
                                        ; implicit-def: $sgpr10
	s_and_saveexec_b64 s[8:9], s[12:13]
; %bb.3010:
	s_mov_b32 s10, 0x7f800001
	s_xor_b64 s[4:5], exec, -1
; %bb.3011:
	s_or_b64 exec, exec, s[8:9]
	s_and_b64 s[4:5], s[4:5], exec
	s_or_saveexec_b64 s[6:7], s[6:7]
	v_mov_b32_e32 v2, s10
	s_xor_b64 exec, exec, s[6:7]
	s_cbranch_execz .LBB41_962
.LBB41_3012:
	v_mov_b32_e32 v2, 0
	v_cmp_ne_u16_sdwa s[8:9], v8, v2 src0_sel:BYTE_0 src1_sel:DWORD
	s_andn2_b64 s[4:5], s[4:5], exec
	s_and_b64 s[8:9], s[8:9], exec
	s_or_b64 s[4:5], s[4:5], s[8:9]
	s_or_b64 exec, exec, s[6:7]
	s_and_saveexec_b64 s[6:7], s[4:5]
	s_cbranch_execnz .LBB41_963
	s_branch .LBB41_964
.LBB41_3013:
	s_movk_i32 s4, 0x80
	v_cmp_eq_u16_sdwa s[12:13], v4, s4 src0_sel:BYTE_0 src1_sel:DWORD
	s_mov_b64 s[4:5], -1
                                        ; implicit-def: $sgpr10
	s_and_saveexec_b64 s[8:9], s[12:13]
; %bb.3014:
	s_mov_b32 s10, 0x7f800001
	s_xor_b64 s[4:5], exec, -1
; %bb.3015:
	s_or_b64 exec, exec, s[8:9]
	s_and_b64 s[4:5], s[4:5], exec
	s_or_saveexec_b64 s[6:7], s[6:7]
	v_mov_b32_e32 v3, s10
	s_xor_b64 exec, exec, s[6:7]
	s_cbranch_execz .LBB41_966
.LBB41_3016:
	v_mov_b32_e32 v3, 0
	v_cmp_ne_u16_sdwa s[8:9], v4, v3 src0_sel:BYTE_0 src1_sel:DWORD
	s_andn2_b64 s[4:5], s[4:5], exec
	s_and_b64 s[8:9], s[8:9], exec
	s_or_b64 s[4:5], s[4:5], s[8:9]
	s_or_b64 exec, exec, s[6:7]
	s_and_saveexec_b64 s[6:7], s[4:5]
	s_cbranch_execnz .LBB41_967
	s_branch .LBB41_968
.LBB41_3017:
	s_movk_i32 s4, 0x80
	v_cmp_eq_u16_sdwa s[12:13], v3, s4 src0_sel:BYTE_0 src1_sel:DWORD
	s_mov_b64 s[4:5], -1
                                        ; implicit-def: $sgpr10
	s_and_saveexec_b64 s[8:9], s[12:13]
; %bb.3018:
	s_mov_b32 s10, 0x7f800001
	s_xor_b64 s[4:5], exec, -1
; %bb.3019:
	s_or_b64 exec, exec, s[8:9]
	s_and_b64 s[4:5], s[4:5], exec
	s_or_saveexec_b64 s[6:7], s[6:7]
	v_mov_b32_e32 v2, s10
	s_xor_b64 exec, exec, s[6:7]
	s_cbranch_execz .LBB41_970
.LBB41_3020:
	v_mov_b32_e32 v2, 0
	v_cmp_ne_u16_sdwa s[8:9], v3, v2 src0_sel:BYTE_0 src1_sel:DWORD
	s_andn2_b64 s[4:5], s[4:5], exec
	s_and_b64 s[8:9], s[8:9], exec
	s_or_b64 s[4:5], s[4:5], s[8:9]
	s_or_b64 exec, exec, s[6:7]
	s_and_saveexec_b64 s[6:7], s[4:5]
	s_cbranch_execnz .LBB41_971
	s_branch .LBB41_972
.LBB41_3021:
	s_movk_i32 s4, 0x80
	v_cmp_eq_u16_sdwa s[12:13], v3, s4 src0_sel:BYTE_0 src1_sel:DWORD
	s_mov_b64 s[4:5], -1
                                        ; implicit-def: $sgpr10
	s_and_saveexec_b64 s[8:9], s[12:13]
; %bb.3022:
	s_mov_b32 s10, 0x7f800001
	s_xor_b64 s[4:5], exec, -1
; %bb.3023:
	s_or_b64 exec, exec, s[8:9]
	s_and_b64 s[4:5], s[4:5], exec
	s_or_saveexec_b64 s[6:7], s[6:7]
	v_mov_b32_e32 v6, s10
	s_xor_b64 exec, exec, s[6:7]
	s_cbranch_execz .LBB41_974
.LBB41_3024:
	v_mov_b32_e32 v6, 0
	v_cmp_ne_u16_sdwa s[8:9], v3, v6 src0_sel:BYTE_0 src1_sel:DWORD
	s_andn2_b64 s[4:5], s[4:5], exec
	s_and_b64 s[8:9], s[8:9], exec
	s_or_b64 s[4:5], s[4:5], s[8:9]
	s_or_b64 exec, exec, s[6:7]
	s_and_saveexec_b64 s[6:7], s[4:5]
	s_cbranch_execnz .LBB41_975
	s_branch .LBB41_976
.LBB41_3025:
	s_movk_i32 s4, 0x80
	v_cmp_eq_u16_e32 vcc, s4, v3
	s_mov_b64 s[4:5], -1
                                        ; implicit-def: $sgpr10
	s_and_saveexec_b64 s[8:9], vcc
; %bb.3026:
	s_mov_b32 s10, 0x7f800001
	s_xor_b64 s[4:5], exec, -1
; %bb.3027:
	s_or_b64 exec, exec, s[8:9]
	s_and_b64 s[4:5], s[4:5], exec
                                        ; implicit-def: $vgpr3
	s_or_saveexec_b64 s[6:7], s[6:7]
	v_mov_b32_e32 v2, s10
	s_xor_b64 exec, exec, s[6:7]
	s_cbranch_execz .LBB41_978
.LBB41_3028:
	v_cmp_ne_u16_e32 vcc, 0, v3
	s_andn2_b64 s[4:5], s[4:5], exec
	s_and_b64 s[8:9], vcc, exec
	v_mov_b32_e32 v2, 0
	s_or_b64 s[4:5], s[4:5], s[8:9]
	s_or_b64 exec, exec, s[6:7]
	s_and_saveexec_b64 s[6:7], s[4:5]
	s_cbranch_execnz .LBB41_979
	s_branch .LBB41_980
.LBB41_3029:
	s_movk_i32 s4, 0x80
	v_cmp_eq_u16_e32 vcc, s4, v3
	s_mov_b64 s[4:5], -1
                                        ; implicit-def: $sgpr10
	s_and_saveexec_b64 s[8:9], vcc
; %bb.3030:
	s_mov_b32 s10, 0x7f800001
	s_xor_b64 s[4:5], exec, -1
; %bb.3031:
	s_or_b64 exec, exec, s[8:9]
	s_and_b64 s[4:5], s[4:5], exec
                                        ; implicit-def: $vgpr3
	s_or_saveexec_b64 s[6:7], s[6:7]
	v_mov_b32_e32 v6, s10
	s_xor_b64 exec, exec, s[6:7]
	s_cbranch_execz .LBB41_982
.LBB41_3032:
	v_cmp_ne_u16_e32 vcc, 0, v3
	s_andn2_b64 s[4:5], s[4:5], exec
	s_and_b64 s[8:9], vcc, exec
	v_mov_b32_e32 v6, 0
	s_or_b64 s[4:5], s[4:5], s[8:9]
	s_or_b64 exec, exec, s[6:7]
	s_and_saveexec_b64 s[6:7], s[4:5]
	s_cbranch_execnz .LBB41_983
	s_branch .LBB41_984
.LBB41_3033:
	s_movk_i32 s4, 0x80
	v_cmp_eq_u16_sdwa s[12:13], v8, s4 src0_sel:BYTE_3 src1_sel:DWORD
	s_mov_b64 s[4:5], -1
                                        ; implicit-def: $sgpr10
	s_and_saveexec_b64 s[8:9], s[12:13]
; %bb.3034:
	s_mov_b32 s10, 0x7f800001
	s_xor_b64 s[4:5], exec, -1
; %bb.3035:
	s_or_b64 exec, exec, s[8:9]
	s_and_b64 s[4:5], s[4:5], exec
	s_or_saveexec_b64 s[6:7], s[6:7]
	v_mov_b32_e32 v2, s10
	s_xor_b64 exec, exec, s[6:7]
	s_cbranch_execz .LBB41_986
.LBB41_3036:
	v_mov_b32_e32 v2, 0
	v_cmp_ne_u16_sdwa s[8:9], v8, v2 src0_sel:BYTE_3 src1_sel:DWORD
	s_andn2_b64 s[4:5], s[4:5], exec
	s_and_b64 s[8:9], s[8:9], exec
	s_or_b64 s[4:5], s[4:5], s[8:9]
	s_or_b64 exec, exec, s[6:7]
	s_and_saveexec_b64 s[6:7], s[4:5]
	s_cbranch_execnz .LBB41_987
	s_branch .LBB41_988
.LBB41_3037:
	s_movk_i32 s4, 0x80
	v_cmp_eq_u16_sdwa s[12:13], v4, s4 src0_sel:BYTE_3 src1_sel:DWORD
	s_mov_b64 s[4:5], -1
                                        ; implicit-def: $sgpr10
	s_and_saveexec_b64 s[8:9], s[12:13]
; %bb.3038:
	s_mov_b32 s10, 0x7f800001
	s_xor_b64 s[4:5], exec, -1
; %bb.3039:
	s_or_b64 exec, exec, s[8:9]
	s_and_b64 s[4:5], s[4:5], exec
	s_or_saveexec_b64 s[6:7], s[6:7]
	v_mov_b32_e32 v3, s10
	s_xor_b64 exec, exec, s[6:7]
	s_cbranch_execz .LBB41_990
.LBB41_3040:
	v_mov_b32_e32 v3, 0
	v_cmp_ne_u16_sdwa s[8:9], v4, v3 src0_sel:BYTE_3 src1_sel:DWORD
	s_andn2_b64 s[4:5], s[4:5], exec
	s_and_b64 s[8:9], s[8:9], exec
	s_or_b64 s[4:5], s[4:5], s[8:9]
	s_or_b64 exec, exec, s[6:7]
	s_and_saveexec_b64 s[6:7], s[4:5]
	s_cbranch_execnz .LBB41_991
	s_branch .LBB41_992
.LBB41_3041:
	s_movk_i32 s4, 0x80
	v_cmp_eq_u16_sdwa s[12:13], v9, s4 src0_sel:BYTE_0 src1_sel:DWORD
	s_mov_b64 s[4:5], -1
                                        ; implicit-def: $sgpr10
	s_and_saveexec_b64 s[8:9], s[12:13]
; %bb.3042:
	s_mov_b32 s10, 0x7f800001
	s_xor_b64 s[4:5], exec, -1
; %bb.3043:
	s_or_b64 exec, exec, s[8:9]
	s_and_b64 s[4:5], s[4:5], exec
	s_or_saveexec_b64 s[6:7], s[6:7]
	v_mov_b32_e32 v2, s10
	s_xor_b64 exec, exec, s[6:7]
	s_cbranch_execz .LBB41_994
.LBB41_3044:
	v_mov_b32_e32 v2, 0
	v_cmp_ne_u16_sdwa s[8:9], v9, v2 src0_sel:BYTE_0 src1_sel:DWORD
	s_andn2_b64 s[4:5], s[4:5], exec
	s_and_b64 s[8:9], s[8:9], exec
	s_or_b64 s[4:5], s[4:5], s[8:9]
	s_or_b64 exec, exec, s[6:7]
	s_and_saveexec_b64 s[6:7], s[4:5]
	s_cbranch_execnz .LBB41_995
	s_branch .LBB41_996
.LBB41_3045:
	s_movk_i32 s4, 0x80
	v_cmp_eq_u16_sdwa s[12:13], v5, s4 src0_sel:BYTE_0 src1_sel:DWORD
	s_mov_b64 s[4:5], -1
                                        ; implicit-def: $sgpr10
	s_and_saveexec_b64 s[8:9], s[12:13]
; %bb.3046:
	s_mov_b32 s10, 0x7f800001
	s_xor_b64 s[4:5], exec, -1
; %bb.3047:
	s_or_b64 exec, exec, s[8:9]
	s_and_b64 s[4:5], s[4:5], exec
	s_or_saveexec_b64 s[6:7], s[6:7]
	v_mov_b32_e32 v3, s10
	s_xor_b64 exec, exec, s[6:7]
	s_cbranch_execz .LBB41_998
.LBB41_3048:
	v_mov_b32_e32 v3, 0
	v_cmp_ne_u16_sdwa s[8:9], v5, v3 src0_sel:BYTE_0 src1_sel:DWORD
	s_andn2_b64 s[4:5], s[4:5], exec
	s_and_b64 s[8:9], s[8:9], exec
	s_or_b64 s[4:5], s[4:5], s[8:9]
	s_or_b64 exec, exec, s[6:7]
	s_and_saveexec_b64 s[6:7], s[4:5]
	s_cbranch_execnz .LBB41_999
	s_branch .LBB41_1000
.LBB41_3049:
	s_movk_i32 s4, 0x80
	v_cmp_eq_u16_sdwa s[12:13], v3, s4 src0_sel:BYTE_0 src1_sel:DWORD
	s_mov_b64 s[4:5], -1
                                        ; implicit-def: $sgpr10
	s_and_saveexec_b64 s[8:9], s[12:13]
; %bb.3050:
	s_mov_b32 s10, 0x7f800001
	s_xor_b64 s[4:5], exec, -1
; %bb.3051:
	s_or_b64 exec, exec, s[8:9]
	s_and_b64 s[4:5], s[4:5], exec
	s_or_saveexec_b64 s[6:7], s[6:7]
	v_mov_b32_e32 v2, s10
	s_xor_b64 exec, exec, s[6:7]
	s_cbranch_execz .LBB41_1002
.LBB41_3052:
	v_mov_b32_e32 v2, 0
	v_cmp_ne_u16_sdwa s[8:9], v3, v2 src0_sel:BYTE_0 src1_sel:DWORD
	s_andn2_b64 s[4:5], s[4:5], exec
	s_and_b64 s[8:9], s[8:9], exec
	s_or_b64 s[4:5], s[4:5], s[8:9]
	s_or_b64 exec, exec, s[6:7]
	s_and_saveexec_b64 s[6:7], s[4:5]
	s_cbranch_execnz .LBB41_1003
	s_branch .LBB41_1004
.LBB41_3053:
	s_movk_i32 s4, 0x80
	v_cmp_eq_u16_sdwa s[12:13], v3, s4 src0_sel:BYTE_0 src1_sel:DWORD
	s_mov_b64 s[4:5], -1
                                        ; implicit-def: $sgpr10
	s_and_saveexec_b64 s[8:9], s[12:13]
; %bb.3054:
	s_mov_b32 s10, 0x7f800001
	s_xor_b64 s[4:5], exec, -1
; %bb.3055:
	s_or_b64 exec, exec, s[8:9]
	s_and_b64 s[4:5], s[4:5], exec
	s_or_saveexec_b64 s[6:7], s[6:7]
	v_mov_b32_e32 v4, s10
	s_xor_b64 exec, exec, s[6:7]
	s_cbranch_execz .LBB41_1006
.LBB41_3056:
	v_mov_b32_e32 v4, 0
	v_cmp_ne_u16_sdwa s[8:9], v3, v4 src0_sel:BYTE_0 src1_sel:DWORD
	s_andn2_b64 s[4:5], s[4:5], exec
	s_and_b64 s[8:9], s[8:9], exec
	s_or_b64 s[4:5], s[4:5], s[8:9]
	s_or_b64 exec, exec, s[6:7]
	s_and_saveexec_b64 s[6:7], s[4:5]
	s_cbranch_execnz .LBB41_1007
	s_branch .LBB41_1008
.LBB41_3057:
	s_movk_i32 s4, 0x80
	v_cmp_eq_u16_e32 vcc, s4, v3
	s_mov_b64 s[4:5], -1
                                        ; implicit-def: $sgpr10
	s_and_saveexec_b64 s[8:9], vcc
; %bb.3058:
	s_mov_b32 s10, 0x7f800001
	s_xor_b64 s[4:5], exec, -1
; %bb.3059:
	s_or_b64 exec, exec, s[8:9]
	s_and_b64 s[4:5], s[4:5], exec
                                        ; implicit-def: $vgpr3
	s_or_saveexec_b64 s[6:7], s[6:7]
	v_mov_b32_e32 v2, s10
	s_xor_b64 exec, exec, s[6:7]
	s_cbranch_execz .LBB41_1010
.LBB41_3060:
	v_cmp_ne_u16_e32 vcc, 0, v3
	s_andn2_b64 s[4:5], s[4:5], exec
	s_and_b64 s[8:9], vcc, exec
	v_mov_b32_e32 v2, 0
	s_or_b64 s[4:5], s[4:5], s[8:9]
	s_or_b64 exec, exec, s[6:7]
	s_and_saveexec_b64 s[6:7], s[4:5]
	s_cbranch_execnz .LBB41_1011
	s_branch .LBB41_1012
.LBB41_3061:
	s_movk_i32 s4, 0x80
	v_cmp_eq_u16_e32 vcc, s4, v3
	s_mov_b64 s[4:5], -1
                                        ; implicit-def: $sgpr10
	s_and_saveexec_b64 s[8:9], vcc
; %bb.3062:
	s_mov_b32 s10, 0x7f800001
	s_xor_b64 s[4:5], exec, -1
; %bb.3063:
	s_or_b64 exec, exec, s[8:9]
	s_and_b64 s[4:5], s[4:5], exec
                                        ; implicit-def: $vgpr3
	s_or_saveexec_b64 s[6:7], s[6:7]
	v_mov_b32_e32 v4, s10
	s_xor_b64 exec, exec, s[6:7]
	s_cbranch_execz .LBB41_1014
.LBB41_3064:
	v_cmp_ne_u16_e32 vcc, 0, v3
	s_andn2_b64 s[4:5], s[4:5], exec
	s_and_b64 s[8:9], vcc, exec
	v_mov_b32_e32 v4, 0
	s_or_b64 s[4:5], s[4:5], s[8:9]
	s_or_b64 exec, exec, s[6:7]
	s_and_saveexec_b64 s[6:7], s[4:5]
	s_cbranch_execnz .LBB41_1015
	s_branch .LBB41_1016
.LBB41_3065:
	s_movk_i32 s4, 0x80
	v_cmp_eq_u16_sdwa s[12:13], v9, s4 src0_sel:BYTE_3 src1_sel:DWORD
	s_mov_b64 s[4:5], -1
                                        ; implicit-def: $sgpr10
	s_and_saveexec_b64 s[8:9], s[12:13]
; %bb.3066:
	s_mov_b32 s10, 0x7f800001
	s_xor_b64 s[4:5], exec, -1
; %bb.3067:
	s_or_b64 exec, exec, s[8:9]
	s_and_b64 s[4:5], s[4:5], exec
	s_or_saveexec_b64 s[6:7], s[6:7]
	v_mov_b32_e32 v2, s10
	s_xor_b64 exec, exec, s[6:7]
	s_cbranch_execz .LBB41_1018
.LBB41_3068:
	v_mov_b32_e32 v2, 0
	v_cmp_ne_u16_sdwa s[8:9], v9, v2 src0_sel:BYTE_3 src1_sel:DWORD
	s_andn2_b64 s[4:5], s[4:5], exec
	s_and_b64 s[8:9], s[8:9], exec
	s_or_b64 s[4:5], s[4:5], s[8:9]
	s_or_b64 exec, exec, s[6:7]
	s_and_saveexec_b64 s[6:7], s[4:5]
	s_cbranch_execnz .LBB41_1019
	s_branch .LBB41_1020
.LBB41_3069:
	s_movk_i32 s4, 0x80
	v_cmp_eq_u16_sdwa s[12:13], v5, s4 src0_sel:BYTE_3 src1_sel:DWORD
	s_mov_b64 s[4:5], -1
                                        ; implicit-def: $sgpr10
	s_and_saveexec_b64 s[8:9], s[12:13]
; %bb.3070:
	s_mov_b32 s10, 0x7f800001
	s_xor_b64 s[4:5], exec, -1
; %bb.3071:
	s_or_b64 exec, exec, s[8:9]
	s_and_b64 s[4:5], s[4:5], exec
	s_or_saveexec_b64 s[6:7], s[6:7]
	v_mov_b32_e32 v3, s10
	s_xor_b64 exec, exec, s[6:7]
	s_cbranch_execz .LBB41_1022
.LBB41_3072:
	v_mov_b32_e32 v3, 0
	v_cmp_ne_u16_sdwa s[8:9], v5, v3 src0_sel:BYTE_3 src1_sel:DWORD
	s_andn2_b64 s[4:5], s[4:5], exec
	s_and_b64 s[8:9], s[8:9], exec
	s_or_b64 s[4:5], s[4:5], s[8:9]
	s_or_b64 exec, exec, s[6:7]
	s_and_saveexec_b64 s[6:7], s[4:5]
	s_cbranch_execnz .LBB41_1023
	s_branch .LBB41_1024
.LBB41_3073:
	s_movk_i32 s4, 0x80
	v_cmp_eq_u16_sdwa s[12:13], v14, s4 src0_sel:BYTE_0 src1_sel:DWORD
	s_mov_b64 s[4:5], -1
                                        ; implicit-def: $sgpr10
	s_and_saveexec_b64 s[8:9], s[12:13]
; %bb.3074:
	s_mov_b32 s10, 0x7f800001
	s_xor_b64 s[4:5], exec, -1
; %bb.3075:
	s_or_b64 exec, exec, s[8:9]
	s_and_b64 s[4:5], s[4:5], exec
	s_or_saveexec_b64 s[6:7], s[6:7]
	v_mov_b32_e32 v20, s10
	s_xor_b64 exec, exec, s[6:7]
	s_cbranch_execz .LBB41_1026
.LBB41_3076:
	v_mov_b32_e32 v20, 0
	v_cmp_ne_u16_sdwa s[8:9], v14, v20 src0_sel:BYTE_0 src1_sel:DWORD
	s_andn2_b64 s[4:5], s[4:5], exec
	s_and_b64 s[8:9], s[8:9], exec
	s_or_b64 s[4:5], s[4:5], s[8:9]
	s_or_b64 exec, exec, s[6:7]
	s_and_saveexec_b64 s[6:7], s[4:5]
	s_cbranch_execnz .LBB41_1027
	s_branch .LBB41_1028
.LBB41_3077:
	s_movk_i32 s4, 0x80
	v_cmp_eq_u16_sdwa s[12:13], v10, s4 src0_sel:BYTE_0 src1_sel:DWORD
	s_mov_b64 s[4:5], -1
                                        ; implicit-def: $sgpr10
	s_and_saveexec_b64 s[8:9], s[12:13]
; %bb.3078:
	s_mov_b32 s10, 0x7f800001
	s_xor_b64 s[4:5], exec, -1
; %bb.3079:
	s_or_b64 exec, exec, s[8:9]
	s_and_b64 s[4:5], s[4:5], exec
	s_or_saveexec_b64 s[6:7], s[6:7]
	v_mov_b32_e32 v21, s10
	s_xor_b64 exec, exec, s[6:7]
	s_cbranch_execz .LBB41_1030
.LBB41_3080:
	v_mov_b32_e32 v21, 0
	v_cmp_ne_u16_sdwa s[8:9], v10, v21 src0_sel:BYTE_0 src1_sel:DWORD
	s_andn2_b64 s[4:5], s[4:5], exec
	s_and_b64 s[8:9], s[8:9], exec
	s_or_b64 s[4:5], s[4:5], s[8:9]
	s_or_b64 exec, exec, s[6:7]
	s_and_saveexec_b64 s[6:7], s[4:5]
	s_cbranch_execnz .LBB41_1031
	s_branch .LBB41_1032
.LBB41_3081:
	s_movk_i32 s4, 0x80
	v_cmp_eq_u16_sdwa s[12:13], v21, s4 src0_sel:BYTE_0 src1_sel:DWORD
	s_mov_b64 s[4:5], -1
                                        ; implicit-def: $sgpr10
	s_and_saveexec_b64 s[8:9], s[12:13]
; %bb.3082:
	s_mov_b32 s10, 0x7f800001
	s_xor_b64 s[4:5], exec, -1
; %bb.3083:
	s_or_b64 exec, exec, s[8:9]
	s_and_b64 s[4:5], s[4:5], exec
	s_or_saveexec_b64 s[6:7], s[6:7]
	v_mov_b32_e32 v20, s10
	s_xor_b64 exec, exec, s[6:7]
	s_cbranch_execz .LBB41_1034
.LBB41_3084:
	v_mov_b32_e32 v20, 0
	v_cmp_ne_u16_sdwa s[8:9], v21, v20 src0_sel:BYTE_0 src1_sel:DWORD
	s_andn2_b64 s[4:5], s[4:5], exec
	s_and_b64 s[8:9], s[8:9], exec
	s_or_b64 s[4:5], s[4:5], s[8:9]
	s_or_b64 exec, exec, s[6:7]
	s_and_saveexec_b64 s[6:7], s[4:5]
	s_cbranch_execnz .LBB41_1035
	s_branch .LBB41_1036
.LBB41_3085:
	s_movk_i32 s4, 0x80
	v_cmp_eq_u16_sdwa s[12:13], v21, s4 src0_sel:BYTE_0 src1_sel:DWORD
	s_mov_b64 s[4:5], -1
                                        ; implicit-def: $sgpr10
	s_and_saveexec_b64 s[8:9], s[12:13]
; %bb.3086:
	s_mov_b32 s10, 0x7f800001
	s_xor_b64 s[4:5], exec, -1
; %bb.3087:
	s_or_b64 exec, exec, s[8:9]
	s_and_b64 s[4:5], s[4:5], exec
	s_or_saveexec_b64 s[6:7], s[6:7]
	v_mov_b32_e32 v22, s10
	s_xor_b64 exec, exec, s[6:7]
	s_cbranch_execz .LBB41_1038
.LBB41_3088:
	v_mov_b32_e32 v22, 0
	v_cmp_ne_u16_sdwa s[8:9], v21, v22 src0_sel:BYTE_0 src1_sel:DWORD
	s_andn2_b64 s[4:5], s[4:5], exec
	s_and_b64 s[8:9], s[8:9], exec
	s_or_b64 s[4:5], s[4:5], s[8:9]
	s_or_b64 exec, exec, s[6:7]
	s_and_saveexec_b64 s[6:7], s[4:5]
	s_cbranch_execnz .LBB41_1039
	s_branch .LBB41_1040
.LBB41_3089:
	s_movk_i32 s4, 0x80
	v_cmp_eq_u16_e32 vcc, s4, v21
	s_mov_b64 s[4:5], -1
                                        ; implicit-def: $sgpr10
	s_and_saveexec_b64 s[8:9], vcc
; %bb.3090:
	s_mov_b32 s10, 0x7f800001
	s_xor_b64 s[4:5], exec, -1
; %bb.3091:
	s_or_b64 exec, exec, s[8:9]
	s_and_b64 s[4:5], s[4:5], exec
                                        ; implicit-def: $vgpr21
	s_or_saveexec_b64 s[6:7], s[6:7]
	v_mov_b32_e32 v20, s10
	s_xor_b64 exec, exec, s[6:7]
	s_cbranch_execz .LBB41_1042
.LBB41_3092:
	v_cmp_ne_u16_e32 vcc, 0, v21
	s_andn2_b64 s[4:5], s[4:5], exec
	s_and_b64 s[8:9], vcc, exec
	v_mov_b32_e32 v20, 0
	s_or_b64 s[4:5], s[4:5], s[8:9]
	s_or_b64 exec, exec, s[6:7]
	s_and_saveexec_b64 s[6:7], s[4:5]
	s_cbranch_execnz .LBB41_1043
	s_branch .LBB41_1044
.LBB41_3093:
	s_movk_i32 s4, 0x80
	v_cmp_eq_u16_e32 vcc, s4, v21
	s_mov_b64 s[4:5], -1
                                        ; implicit-def: $sgpr10
	s_and_saveexec_b64 s[8:9], vcc
; %bb.3094:
	s_mov_b32 s10, 0x7f800001
	s_xor_b64 s[4:5], exec, -1
; %bb.3095:
	s_or_b64 exec, exec, s[8:9]
	s_and_b64 s[4:5], s[4:5], exec
                                        ; implicit-def: $vgpr21
	s_or_saveexec_b64 s[6:7], s[6:7]
	v_mov_b32_e32 v22, s10
	s_xor_b64 exec, exec, s[6:7]
	s_cbranch_execz .LBB41_1046
.LBB41_3096:
	v_cmp_ne_u16_e32 vcc, 0, v21
	s_andn2_b64 s[4:5], s[4:5], exec
	s_and_b64 s[8:9], vcc, exec
	v_mov_b32_e32 v22, 0
	s_or_b64 s[4:5], s[4:5], s[8:9]
	s_or_b64 exec, exec, s[6:7]
	s_and_saveexec_b64 s[6:7], s[4:5]
	s_cbranch_execnz .LBB41_1047
	s_branch .LBB41_1048
.LBB41_3097:
	s_movk_i32 s4, 0x80
	v_cmp_eq_u16_sdwa s[12:13], v14, s4 src0_sel:BYTE_3 src1_sel:DWORD
	s_mov_b64 s[4:5], -1
                                        ; implicit-def: $sgpr10
	s_and_saveexec_b64 s[8:9], s[12:13]
; %bb.3098:
	s_mov_b32 s10, 0x7f800001
	s_xor_b64 s[4:5], exec, -1
; %bb.3099:
	s_or_b64 exec, exec, s[8:9]
	s_and_b64 s[4:5], s[4:5], exec
	s_or_saveexec_b64 s[6:7], s[6:7]
	v_mov_b32_e32 v20, s10
	s_xor_b64 exec, exec, s[6:7]
	s_cbranch_execz .LBB41_1050
.LBB41_3100:
	v_mov_b32_e32 v20, 0
	v_cmp_ne_u16_sdwa s[8:9], v14, v20 src0_sel:BYTE_3 src1_sel:DWORD
	s_andn2_b64 s[4:5], s[4:5], exec
	s_and_b64 s[8:9], s[8:9], exec
	s_or_b64 s[4:5], s[4:5], s[8:9]
	s_or_b64 exec, exec, s[6:7]
	s_and_saveexec_b64 s[6:7], s[4:5]
	s_cbranch_execnz .LBB41_1051
	s_branch .LBB41_1052
.LBB41_3101:
	s_movk_i32 s4, 0x80
	v_cmp_eq_u16_sdwa s[12:13], v10, s4 src0_sel:BYTE_3 src1_sel:DWORD
	s_mov_b64 s[4:5], -1
                                        ; implicit-def: $sgpr10
	s_and_saveexec_b64 s[8:9], s[12:13]
; %bb.3102:
	s_mov_b32 s10, 0x7f800001
	s_xor_b64 s[4:5], exec, -1
; %bb.3103:
	s_or_b64 exec, exec, s[8:9]
	s_and_b64 s[4:5], s[4:5], exec
	s_or_saveexec_b64 s[6:7], s[6:7]
	v_mov_b32_e32 v14, s10
	s_xor_b64 exec, exec, s[6:7]
	s_cbranch_execz .LBB41_1054
.LBB41_3104:
	v_mov_b32_e32 v14, 0
	v_cmp_ne_u16_sdwa s[8:9], v10, v14 src0_sel:BYTE_3 src1_sel:DWORD
	s_andn2_b64 s[4:5], s[4:5], exec
	s_and_b64 s[8:9], s[8:9], exec
	s_or_b64 s[4:5], s[4:5], s[8:9]
	s_or_b64 exec, exec, s[6:7]
	s_and_saveexec_b64 s[6:7], s[4:5]
	s_cbranch_execnz .LBB41_1055
	s_branch .LBB41_1056
.LBB41_3105:
	s_movk_i32 s4, 0x80
	v_cmp_eq_u16_sdwa s[12:13], v15, s4 src0_sel:BYTE_0 src1_sel:DWORD
	s_mov_b64 s[4:5], -1
                                        ; implicit-def: $sgpr10
	s_and_saveexec_b64 s[8:9], s[12:13]
; %bb.3106:
	s_mov_b32 s10, 0x7f800001
	s_xor_b64 s[4:5], exec, -1
; %bb.3107:
	s_or_b64 exec, exec, s[8:9]
	s_and_b64 s[4:5], s[4:5], exec
	s_or_saveexec_b64 s[6:7], s[6:7]
	v_mov_b32_e32 v10, s10
	s_xor_b64 exec, exec, s[6:7]
	s_cbranch_execz .LBB41_1058
.LBB41_3108:
	v_mov_b32_e32 v10, 0
	v_cmp_ne_u16_sdwa s[8:9], v15, v10 src0_sel:BYTE_0 src1_sel:DWORD
	s_andn2_b64 s[4:5], s[4:5], exec
	s_and_b64 s[8:9], s[8:9], exec
	s_or_b64 s[4:5], s[4:5], s[8:9]
	s_or_b64 exec, exec, s[6:7]
	s_and_saveexec_b64 s[6:7], s[4:5]
	s_cbranch_execnz .LBB41_1059
	s_branch .LBB41_1060
.LBB41_3109:
	s_movk_i32 s4, 0x80
	v_cmp_eq_u16_sdwa s[12:13], v11, s4 src0_sel:BYTE_0 src1_sel:DWORD
	s_mov_b64 s[4:5], -1
                                        ; implicit-def: $sgpr10
	s_and_saveexec_b64 s[8:9], s[12:13]
; %bb.3110:
	s_mov_b32 s10, 0x7f800001
	s_xor_b64 s[4:5], exec, -1
; %bb.3111:
	s_or_b64 exec, exec, s[8:9]
	s_and_b64 s[4:5], s[4:5], exec
	s_or_saveexec_b64 s[6:7], s[6:7]
	v_mov_b32_e32 v14, s10
	s_xor_b64 exec, exec, s[6:7]
	s_cbranch_execz .LBB41_1062
.LBB41_3112:
	v_mov_b32_e32 v14, 0
	v_cmp_ne_u16_sdwa s[8:9], v11, v14 src0_sel:BYTE_0 src1_sel:DWORD
	s_andn2_b64 s[4:5], s[4:5], exec
	s_and_b64 s[8:9], s[8:9], exec
	s_or_b64 s[4:5], s[4:5], s[8:9]
	s_or_b64 exec, exec, s[6:7]
	s_and_saveexec_b64 s[6:7], s[4:5]
	s_cbranch_execnz .LBB41_1063
	s_branch .LBB41_1064
.LBB41_3113:
	s_movk_i32 s4, 0x80
	v_cmp_eq_u16_sdwa s[12:13], v14, s4 src0_sel:BYTE_0 src1_sel:DWORD
	s_mov_b64 s[4:5], -1
                                        ; implicit-def: $sgpr10
	s_and_saveexec_b64 s[8:9], s[12:13]
; %bb.3114:
	s_mov_b32 s10, 0x7f800001
	s_xor_b64 s[4:5], exec, -1
; %bb.3115:
	s_or_b64 exec, exec, s[8:9]
	s_and_b64 s[4:5], s[4:5], exec
	s_or_saveexec_b64 s[6:7], s[6:7]
	v_mov_b32_e32 v10, s10
	s_xor_b64 exec, exec, s[6:7]
	s_cbranch_execz .LBB41_1066
.LBB41_3116:
	v_mov_b32_e32 v10, 0
	v_cmp_ne_u16_sdwa s[8:9], v14, v10 src0_sel:BYTE_0 src1_sel:DWORD
	s_andn2_b64 s[4:5], s[4:5], exec
	s_and_b64 s[8:9], s[8:9], exec
	s_or_b64 s[4:5], s[4:5], s[8:9]
	s_or_b64 exec, exec, s[6:7]
	s_and_saveexec_b64 s[6:7], s[4:5]
	s_cbranch_execnz .LBB41_1067
	s_branch .LBB41_1068
.LBB41_3117:
	s_movk_i32 s4, 0x80
	v_cmp_eq_u16_sdwa s[12:13], v14, s4 src0_sel:BYTE_0 src1_sel:DWORD
	s_mov_b64 s[4:5], -1
                                        ; implicit-def: $sgpr10
	s_and_saveexec_b64 s[8:9], s[12:13]
; %bb.3118:
	s_mov_b32 s10, 0x7f800001
	s_xor_b64 s[4:5], exec, -1
; %bb.3119:
	s_or_b64 exec, exec, s[8:9]
	s_and_b64 s[4:5], s[4:5], exec
	s_or_saveexec_b64 s[6:7], s[6:7]
	v_mov_b32_e32 v20, s10
	s_xor_b64 exec, exec, s[6:7]
	s_cbranch_execz .LBB41_1070
.LBB41_3120:
	v_mov_b32_e32 v20, 0
	v_cmp_ne_u16_sdwa s[8:9], v14, v20 src0_sel:BYTE_0 src1_sel:DWORD
	s_andn2_b64 s[4:5], s[4:5], exec
	s_and_b64 s[8:9], s[8:9], exec
	s_or_b64 s[4:5], s[4:5], s[8:9]
	s_or_b64 exec, exec, s[6:7]
	s_and_saveexec_b64 s[6:7], s[4:5]
	s_cbranch_execnz .LBB41_1071
	s_branch .LBB41_1072
.LBB41_3121:
	s_movk_i32 s4, 0x80
	v_cmp_eq_u16_e32 vcc, s4, v14
	s_mov_b64 s[4:5], -1
                                        ; implicit-def: $sgpr10
	s_and_saveexec_b64 s[8:9], vcc
; %bb.3122:
	s_mov_b32 s10, 0x7f800001
	s_xor_b64 s[4:5], exec, -1
; %bb.3123:
	s_or_b64 exec, exec, s[8:9]
	s_and_b64 s[4:5], s[4:5], exec
                                        ; implicit-def: $vgpr14
	s_or_saveexec_b64 s[6:7], s[6:7]
	v_mov_b32_e32 v10, s10
	s_xor_b64 exec, exec, s[6:7]
	s_cbranch_execz .LBB41_1074
.LBB41_3124:
	v_cmp_ne_u16_e32 vcc, 0, v14
	s_andn2_b64 s[4:5], s[4:5], exec
	s_and_b64 s[8:9], vcc, exec
	v_mov_b32_e32 v10, 0
	s_or_b64 s[4:5], s[4:5], s[8:9]
	s_or_b64 exec, exec, s[6:7]
	s_and_saveexec_b64 s[6:7], s[4:5]
	s_cbranch_execnz .LBB41_1075
	s_branch .LBB41_1076
.LBB41_3125:
	s_movk_i32 s4, 0x80
	v_cmp_eq_u16_e32 vcc, s4, v14
	s_mov_b64 s[4:5], -1
                                        ; implicit-def: $sgpr10
	s_and_saveexec_b64 s[8:9], vcc
; %bb.3126:
	s_mov_b32 s10, 0x7f800001
	s_xor_b64 s[4:5], exec, -1
; %bb.3127:
	s_or_b64 exec, exec, s[8:9]
	s_and_b64 s[4:5], s[4:5], exec
                                        ; implicit-def: $vgpr14
	s_or_saveexec_b64 s[6:7], s[6:7]
	v_mov_b32_e32 v20, s10
	s_xor_b64 exec, exec, s[6:7]
	s_cbranch_execz .LBB41_1078
.LBB41_3128:
	v_cmp_ne_u16_e32 vcc, 0, v14
	s_andn2_b64 s[4:5], s[4:5], exec
	s_and_b64 s[8:9], vcc, exec
	v_mov_b32_e32 v20, 0
	s_or_b64 s[4:5], s[4:5], s[8:9]
	s_or_b64 exec, exec, s[6:7]
	s_and_saveexec_b64 s[6:7], s[4:5]
	s_cbranch_execnz .LBB41_1079
	s_branch .LBB41_1080
.LBB41_3129:
	s_movk_i32 s4, 0x80
	v_cmp_eq_u16_sdwa s[12:13], v15, s4 src0_sel:BYTE_3 src1_sel:DWORD
	s_mov_b64 s[4:5], -1
                                        ; implicit-def: $sgpr10
	s_and_saveexec_b64 s[8:9], s[12:13]
; %bb.3130:
	s_mov_b32 s10, 0x7f800001
	s_xor_b64 s[4:5], exec, -1
; %bb.3131:
	s_or_b64 exec, exec, s[8:9]
	s_and_b64 s[4:5], s[4:5], exec
	s_or_saveexec_b64 s[6:7], s[6:7]
	v_mov_b32_e32 v10, s10
	s_xor_b64 exec, exec, s[6:7]
	s_cbranch_execz .LBB41_1082
.LBB41_3132:
	v_mov_b32_e32 v10, 0
	v_cmp_ne_u16_sdwa s[8:9], v15, v10 src0_sel:BYTE_3 src1_sel:DWORD
	s_andn2_b64 s[4:5], s[4:5], exec
	s_and_b64 s[8:9], s[8:9], exec
	s_or_b64 s[4:5], s[4:5], s[8:9]
	s_or_b64 exec, exec, s[6:7]
	s_and_saveexec_b64 s[6:7], s[4:5]
	s_cbranch_execnz .LBB41_1083
	s_branch .LBB41_1084
.LBB41_3133:
	s_movk_i32 s4, 0x80
	v_cmp_eq_u16_sdwa s[12:13], v11, s4 src0_sel:BYTE_3 src1_sel:DWORD
	s_mov_b64 s[4:5], -1
                                        ; implicit-def: $sgpr10
	s_and_saveexec_b64 s[8:9], s[12:13]
; %bb.3134:
	s_mov_b32 s10, 0x7f800001
	s_xor_b64 s[4:5], exec, -1
; %bb.3135:
	s_or_b64 exec, exec, s[8:9]
	s_and_b64 s[4:5], s[4:5], exec
	s_or_saveexec_b64 s[6:7], s[6:7]
	v_mov_b32_e32 v14, s10
	s_xor_b64 exec, exec, s[6:7]
	s_cbranch_execz .LBB41_1086
.LBB41_3136:
	v_mov_b32_e32 v14, 0
	v_cmp_ne_u16_sdwa s[8:9], v11, v14 src0_sel:BYTE_3 src1_sel:DWORD
	s_andn2_b64 s[4:5], s[4:5], exec
	s_and_b64 s[8:9], s[8:9], exec
	s_or_b64 s[4:5], s[4:5], s[8:9]
	s_or_b64 exec, exec, s[6:7]
	s_and_saveexec_b64 s[6:7], s[4:5]
	s_cbranch_execnz .LBB41_1087
	s_branch .LBB41_1088
.LBB41_3137:
	s_movk_i32 s4, 0x80
	v_cmp_eq_u16_sdwa s[12:13], v16, s4 src0_sel:BYTE_0 src1_sel:DWORD
	s_mov_b64 s[4:5], -1
                                        ; implicit-def: $sgpr10
	s_and_saveexec_b64 s[8:9], s[12:13]
; %bb.3138:
	s_mov_b32 s10, 0x7f800001
	s_xor_b64 s[4:5], exec, -1
; %bb.3139:
	s_or_b64 exec, exec, s[8:9]
	s_and_b64 s[4:5], s[4:5], exec
	s_or_saveexec_b64 s[6:7], s[6:7]
	v_mov_b32_e32 v10, s10
	s_xor_b64 exec, exec, s[6:7]
	s_cbranch_execz .LBB41_1090
.LBB41_3140:
	v_mov_b32_e32 v10, 0
	v_cmp_ne_u16_sdwa s[8:9], v16, v10 src0_sel:BYTE_0 src1_sel:DWORD
	s_andn2_b64 s[4:5], s[4:5], exec
	s_and_b64 s[8:9], s[8:9], exec
	s_or_b64 s[4:5], s[4:5], s[8:9]
	s_or_b64 exec, exec, s[6:7]
	s_and_saveexec_b64 s[6:7], s[4:5]
	s_cbranch_execnz .LBB41_1091
	s_branch .LBB41_1092
.LBB41_3141:
	s_movk_i32 s4, 0x80
	v_cmp_eq_u16_sdwa s[12:13], v12, s4 src0_sel:BYTE_0 src1_sel:DWORD
	s_mov_b64 s[4:5], -1
                                        ; implicit-def: $sgpr10
	s_and_saveexec_b64 s[8:9], s[12:13]
; %bb.3142:
	s_mov_b32 s10, 0x7f800001
	s_xor_b64 s[4:5], exec, -1
; %bb.3143:
	s_or_b64 exec, exec, s[8:9]
	s_and_b64 s[4:5], s[4:5], exec
	s_or_saveexec_b64 s[6:7], s[6:7]
	v_mov_b32_e32 v11, s10
	s_xor_b64 exec, exec, s[6:7]
	s_cbranch_execz .LBB41_1094
.LBB41_3144:
	v_mov_b32_e32 v11, 0
	v_cmp_ne_u16_sdwa s[8:9], v12, v11 src0_sel:BYTE_0 src1_sel:DWORD
	s_andn2_b64 s[4:5], s[4:5], exec
	s_and_b64 s[8:9], s[8:9], exec
	s_or_b64 s[4:5], s[4:5], s[8:9]
	s_or_b64 exec, exec, s[6:7]
	s_and_saveexec_b64 s[6:7], s[4:5]
	s_cbranch_execnz .LBB41_1095
	s_branch .LBB41_1096
.LBB41_3145:
	s_movk_i32 s4, 0x80
	v_cmp_eq_u16_sdwa s[12:13], v11, s4 src0_sel:BYTE_0 src1_sel:DWORD
	s_mov_b64 s[4:5], -1
                                        ; implicit-def: $sgpr10
	s_and_saveexec_b64 s[8:9], s[12:13]
; %bb.3146:
	s_mov_b32 s10, 0x7f800001
	s_xor_b64 s[4:5], exec, -1
; %bb.3147:
	s_or_b64 exec, exec, s[8:9]
	s_and_b64 s[4:5], s[4:5], exec
	s_or_saveexec_b64 s[6:7], s[6:7]
	v_mov_b32_e32 v10, s10
	s_xor_b64 exec, exec, s[6:7]
	s_cbranch_execz .LBB41_1098
.LBB41_3148:
	v_mov_b32_e32 v10, 0
	v_cmp_ne_u16_sdwa s[8:9], v11, v10 src0_sel:BYTE_0 src1_sel:DWORD
	s_andn2_b64 s[4:5], s[4:5], exec
	s_and_b64 s[8:9], s[8:9], exec
	s_or_b64 s[4:5], s[4:5], s[8:9]
	s_or_b64 exec, exec, s[6:7]
	s_and_saveexec_b64 s[6:7], s[4:5]
	s_cbranch_execnz .LBB41_1099
	s_branch .LBB41_1100
.LBB41_3149:
	s_movk_i32 s4, 0x80
	v_cmp_eq_u16_sdwa s[12:13], v11, s4 src0_sel:BYTE_0 src1_sel:DWORD
	s_mov_b64 s[4:5], -1
                                        ; implicit-def: $sgpr10
	s_and_saveexec_b64 s[8:9], s[12:13]
; %bb.3150:
	s_mov_b32 s10, 0x7f800001
	s_xor_b64 s[4:5], exec, -1
; %bb.3151:
	s_or_b64 exec, exec, s[8:9]
	s_and_b64 s[4:5], s[4:5], exec
	s_or_saveexec_b64 s[6:7], s[6:7]
	v_mov_b32_e32 v14, s10
	s_xor_b64 exec, exec, s[6:7]
	s_cbranch_execz .LBB41_1102
.LBB41_3152:
	v_mov_b32_e32 v14, 0
	v_cmp_ne_u16_sdwa s[8:9], v11, v14 src0_sel:BYTE_0 src1_sel:DWORD
	s_andn2_b64 s[4:5], s[4:5], exec
	s_and_b64 s[8:9], s[8:9], exec
	s_or_b64 s[4:5], s[4:5], s[8:9]
	s_or_b64 exec, exec, s[6:7]
	s_and_saveexec_b64 s[6:7], s[4:5]
	s_cbranch_execnz .LBB41_1103
	s_branch .LBB41_1104
.LBB41_3153:
	s_movk_i32 s4, 0x80
	v_cmp_eq_u16_e32 vcc, s4, v11
	s_mov_b64 s[4:5], -1
                                        ; implicit-def: $sgpr10
	s_and_saveexec_b64 s[8:9], vcc
; %bb.3154:
	s_mov_b32 s10, 0x7f800001
	s_xor_b64 s[4:5], exec, -1
; %bb.3155:
	s_or_b64 exec, exec, s[8:9]
	s_and_b64 s[4:5], s[4:5], exec
                                        ; implicit-def: $vgpr11
	s_or_saveexec_b64 s[6:7], s[6:7]
	v_mov_b32_e32 v10, s10
	s_xor_b64 exec, exec, s[6:7]
	s_cbranch_execz .LBB41_1106
.LBB41_3156:
	v_cmp_ne_u16_e32 vcc, 0, v11
	s_andn2_b64 s[4:5], s[4:5], exec
	s_and_b64 s[8:9], vcc, exec
	v_mov_b32_e32 v10, 0
	s_or_b64 s[4:5], s[4:5], s[8:9]
	s_or_b64 exec, exec, s[6:7]
	s_and_saveexec_b64 s[6:7], s[4:5]
	s_cbranch_execnz .LBB41_1107
	s_branch .LBB41_1108
.LBB41_3157:
	s_movk_i32 s4, 0x80
	v_cmp_eq_u16_e32 vcc, s4, v11
	s_mov_b64 s[4:5], -1
                                        ; implicit-def: $sgpr10
	s_and_saveexec_b64 s[8:9], vcc
; %bb.3158:
	s_mov_b32 s10, 0x7f800001
	s_xor_b64 s[4:5], exec, -1
; %bb.3159:
	s_or_b64 exec, exec, s[8:9]
	s_and_b64 s[4:5], s[4:5], exec
                                        ; implicit-def: $vgpr11
	s_or_saveexec_b64 s[6:7], s[6:7]
	v_mov_b32_e32 v14, s10
	s_xor_b64 exec, exec, s[6:7]
	s_cbranch_execz .LBB41_1110
.LBB41_3160:
	v_cmp_ne_u16_e32 vcc, 0, v11
	s_andn2_b64 s[4:5], s[4:5], exec
	s_and_b64 s[8:9], vcc, exec
	v_mov_b32_e32 v14, 0
	s_or_b64 s[4:5], s[4:5], s[8:9]
	s_or_b64 exec, exec, s[6:7]
	s_and_saveexec_b64 s[6:7], s[4:5]
	s_cbranch_execnz .LBB41_1111
	s_branch .LBB41_1112
.LBB41_3161:
	s_movk_i32 s4, 0x80
	v_cmp_eq_u16_sdwa s[12:13], v16, s4 src0_sel:BYTE_3 src1_sel:DWORD
	s_mov_b64 s[4:5], -1
                                        ; implicit-def: $sgpr10
	s_and_saveexec_b64 s[8:9], s[12:13]
; %bb.3162:
	s_mov_b32 s10, 0x7f800001
	s_xor_b64 s[4:5], exec, -1
; %bb.3163:
	s_or_b64 exec, exec, s[8:9]
	s_and_b64 s[4:5], s[4:5], exec
	s_or_saveexec_b64 s[6:7], s[6:7]
	v_mov_b32_e32 v10, s10
	s_xor_b64 exec, exec, s[6:7]
	s_cbranch_execz .LBB41_1114
.LBB41_3164:
	v_mov_b32_e32 v10, 0
	v_cmp_ne_u16_sdwa s[8:9], v16, v10 src0_sel:BYTE_3 src1_sel:DWORD
	s_andn2_b64 s[4:5], s[4:5], exec
	s_and_b64 s[8:9], s[8:9], exec
	s_or_b64 s[4:5], s[4:5], s[8:9]
	s_or_b64 exec, exec, s[6:7]
	s_and_saveexec_b64 s[6:7], s[4:5]
	s_cbranch_execnz .LBB41_1115
	s_branch .LBB41_1116
.LBB41_3165:
	s_movk_i32 s4, 0x80
	v_cmp_eq_u16_sdwa s[12:13], v12, s4 src0_sel:BYTE_3 src1_sel:DWORD
	s_mov_b64 s[4:5], -1
                                        ; implicit-def: $sgpr10
	s_and_saveexec_b64 s[8:9], s[12:13]
; %bb.3166:
	s_mov_b32 s10, 0x7f800001
	s_xor_b64 s[4:5], exec, -1
; %bb.3167:
	s_or_b64 exec, exec, s[8:9]
	s_and_b64 s[4:5], s[4:5], exec
	s_or_saveexec_b64 s[6:7], s[6:7]
	v_mov_b32_e32 v11, s10
	s_xor_b64 exec, exec, s[6:7]
	s_cbranch_execz .LBB41_1118
.LBB41_3168:
	v_mov_b32_e32 v11, 0
	v_cmp_ne_u16_sdwa s[8:9], v12, v11 src0_sel:BYTE_3 src1_sel:DWORD
	s_andn2_b64 s[4:5], s[4:5], exec
	s_and_b64 s[8:9], s[8:9], exec
	s_or_b64 s[4:5], s[4:5], s[8:9]
	s_or_b64 exec, exec, s[6:7]
	s_and_saveexec_b64 s[6:7], s[4:5]
	s_cbranch_execnz .LBB41_1119
	s_branch .LBB41_1120
.LBB41_3169:
	s_movk_i32 s4, 0x80
	v_cmp_eq_u16_sdwa s[12:13], v17, s4 src0_sel:BYTE_0 src1_sel:DWORD
	s_mov_b64 s[4:5], -1
                                        ; implicit-def: $sgpr10
	s_and_saveexec_b64 s[8:9], s[12:13]
; %bb.3170:
	s_mov_b32 s10, 0x7f800001
	s_xor_b64 s[4:5], exec, -1
; %bb.3171:
	s_or_b64 exec, exec, s[8:9]
	s_and_b64 s[4:5], s[4:5], exec
	s_or_saveexec_b64 s[6:7], s[6:7]
	v_mov_b32_e32 v10, s10
	s_xor_b64 exec, exec, s[6:7]
	s_cbranch_execz .LBB41_1122
.LBB41_3172:
	v_mov_b32_e32 v10, 0
	v_cmp_ne_u16_sdwa s[8:9], v17, v10 src0_sel:BYTE_0 src1_sel:DWORD
	s_andn2_b64 s[4:5], s[4:5], exec
	s_and_b64 s[8:9], s[8:9], exec
	s_or_b64 s[4:5], s[4:5], s[8:9]
	s_or_b64 exec, exec, s[6:7]
	s_and_saveexec_b64 s[6:7], s[4:5]
	s_cbranch_execnz .LBB41_1123
	s_branch .LBB41_1124
.LBB41_3173:
	s_movk_i32 s4, 0x80
	v_cmp_eq_u16_sdwa s[12:13], v13, s4 src0_sel:BYTE_0 src1_sel:DWORD
	s_mov_b64 s[4:5], -1
                                        ; implicit-def: $sgpr10
	s_and_saveexec_b64 s[8:9], s[12:13]
; %bb.3174:
	s_mov_b32 s10, 0x7f800001
	s_xor_b64 s[4:5], exec, -1
; %bb.3175:
	s_or_b64 exec, exec, s[8:9]
	s_and_b64 s[4:5], s[4:5], exec
	s_or_saveexec_b64 s[6:7], s[6:7]
	v_mov_b32_e32 v11, s10
	s_xor_b64 exec, exec, s[6:7]
	s_cbranch_execz .LBB41_1126
.LBB41_3176:
	v_mov_b32_e32 v11, 0
	v_cmp_ne_u16_sdwa s[8:9], v13, v11 src0_sel:BYTE_0 src1_sel:DWORD
	s_andn2_b64 s[4:5], s[4:5], exec
	s_and_b64 s[8:9], s[8:9], exec
	s_or_b64 s[4:5], s[4:5], s[8:9]
	s_or_b64 exec, exec, s[6:7]
	s_and_saveexec_b64 s[6:7], s[4:5]
	s_cbranch_execnz .LBB41_1127
	s_branch .LBB41_1128
.LBB41_3177:
	s_movk_i32 s4, 0x80
	v_cmp_eq_u16_sdwa s[12:13], v11, s4 src0_sel:BYTE_0 src1_sel:DWORD
	s_mov_b64 s[4:5], -1
                                        ; implicit-def: $sgpr10
	s_and_saveexec_b64 s[8:9], s[12:13]
; %bb.3178:
	s_mov_b32 s10, 0x7f800001
	s_xor_b64 s[4:5], exec, -1
; %bb.3179:
	s_or_b64 exec, exec, s[8:9]
	s_and_b64 s[4:5], s[4:5], exec
	s_or_saveexec_b64 s[6:7], s[6:7]
	v_mov_b32_e32 v10, s10
	s_xor_b64 exec, exec, s[6:7]
	s_cbranch_execz .LBB41_1130
.LBB41_3180:
	v_mov_b32_e32 v10, 0
	v_cmp_ne_u16_sdwa s[8:9], v11, v10 src0_sel:BYTE_0 src1_sel:DWORD
	s_andn2_b64 s[4:5], s[4:5], exec
	s_and_b64 s[8:9], s[8:9], exec
	s_or_b64 s[4:5], s[4:5], s[8:9]
	s_or_b64 exec, exec, s[6:7]
	s_and_saveexec_b64 s[6:7], s[4:5]
	s_cbranch_execnz .LBB41_1131
	s_branch .LBB41_1132
.LBB41_3181:
	s_movk_i32 s4, 0x80
	v_cmp_eq_u16_sdwa s[12:13], v11, s4 src0_sel:BYTE_0 src1_sel:DWORD
	s_mov_b64 s[4:5], -1
                                        ; implicit-def: $sgpr10
	s_and_saveexec_b64 s[8:9], s[12:13]
; %bb.3182:
	s_mov_b32 s10, 0x7f800001
	s_xor_b64 s[4:5], exec, -1
; %bb.3183:
	s_or_b64 exec, exec, s[8:9]
	s_and_b64 s[4:5], s[4:5], exec
	s_or_saveexec_b64 s[6:7], s[6:7]
	v_mov_b32_e32 v12, s10
	s_xor_b64 exec, exec, s[6:7]
	s_cbranch_execz .LBB41_1134
.LBB41_3184:
	v_mov_b32_e32 v12, 0
	v_cmp_ne_u16_sdwa s[8:9], v11, v12 src0_sel:BYTE_0 src1_sel:DWORD
	s_andn2_b64 s[4:5], s[4:5], exec
	s_and_b64 s[8:9], s[8:9], exec
	s_or_b64 s[4:5], s[4:5], s[8:9]
	s_or_b64 exec, exec, s[6:7]
	s_and_saveexec_b64 s[6:7], s[4:5]
	s_cbranch_execnz .LBB41_1135
	s_branch .LBB41_1136
.LBB41_3185:
	s_movk_i32 s4, 0x80
	v_cmp_eq_u16_e32 vcc, s4, v11
	s_mov_b64 s[4:5], -1
                                        ; implicit-def: $sgpr10
	s_and_saveexec_b64 s[8:9], vcc
; %bb.3186:
	s_mov_b32 s10, 0x7f800001
	s_xor_b64 s[4:5], exec, -1
; %bb.3187:
	s_or_b64 exec, exec, s[8:9]
	s_and_b64 s[4:5], s[4:5], exec
                                        ; implicit-def: $vgpr11
	s_or_saveexec_b64 s[6:7], s[6:7]
	v_mov_b32_e32 v10, s10
	s_xor_b64 exec, exec, s[6:7]
	s_cbranch_execz .LBB41_1138
.LBB41_3188:
	v_cmp_ne_u16_e32 vcc, 0, v11
	s_andn2_b64 s[4:5], s[4:5], exec
	s_and_b64 s[8:9], vcc, exec
	v_mov_b32_e32 v10, 0
	s_or_b64 s[4:5], s[4:5], s[8:9]
	s_or_b64 exec, exec, s[6:7]
	s_and_saveexec_b64 s[6:7], s[4:5]
	s_cbranch_execnz .LBB41_1139
	s_branch .LBB41_1140
.LBB41_3189:
	s_movk_i32 s4, 0x80
	v_cmp_eq_u16_e32 vcc, s4, v11
	s_mov_b64 s[4:5], -1
                                        ; implicit-def: $sgpr10
	s_and_saveexec_b64 s[8:9], vcc
; %bb.3190:
	s_mov_b32 s10, 0x7f800001
	s_xor_b64 s[4:5], exec, -1
; %bb.3191:
	s_or_b64 exec, exec, s[8:9]
	s_and_b64 s[4:5], s[4:5], exec
                                        ; implicit-def: $vgpr11
	s_or_saveexec_b64 s[6:7], s[6:7]
	v_mov_b32_e32 v12, s10
	s_xor_b64 exec, exec, s[6:7]
	s_cbranch_execz .LBB41_1142
.LBB41_3192:
	v_cmp_ne_u16_e32 vcc, 0, v11
	s_andn2_b64 s[4:5], s[4:5], exec
	s_and_b64 s[8:9], vcc, exec
	v_mov_b32_e32 v12, 0
	s_or_b64 s[4:5], s[4:5], s[8:9]
	s_or_b64 exec, exec, s[6:7]
	s_and_saveexec_b64 s[6:7], s[4:5]
	s_cbranch_execnz .LBB41_1143
	s_branch .LBB41_1144
.LBB41_3193:
	s_movk_i32 s4, 0x80
	v_cmp_eq_u16_sdwa s[12:13], v17, s4 src0_sel:BYTE_3 src1_sel:DWORD
	s_mov_b64 s[4:5], -1
                                        ; implicit-def: $sgpr10
	s_and_saveexec_b64 s[8:9], s[12:13]
; %bb.3194:
	s_mov_b32 s10, 0x7f800001
	s_xor_b64 s[4:5], exec, -1
; %bb.3195:
	s_or_b64 exec, exec, s[8:9]
	s_and_b64 s[4:5], s[4:5], exec
	s_or_saveexec_b64 s[6:7], s[6:7]
	v_mov_b32_e32 v10, s10
	s_xor_b64 exec, exec, s[6:7]
	s_cbranch_execz .LBB41_1146
.LBB41_3196:
	v_mov_b32_e32 v10, 0
	v_cmp_ne_u16_sdwa s[8:9], v17, v10 src0_sel:BYTE_3 src1_sel:DWORD
	s_andn2_b64 s[4:5], s[4:5], exec
	s_and_b64 s[8:9], s[8:9], exec
	s_or_b64 s[4:5], s[4:5], s[8:9]
	s_or_b64 exec, exec, s[6:7]
	s_and_saveexec_b64 s[6:7], s[4:5]
	s_cbranch_execnz .LBB41_1147
	s_branch .LBB41_1148
.LBB41_3197:
	s_movk_i32 s4, 0x80
	v_cmp_eq_u16_sdwa s[12:13], v13, s4 src0_sel:BYTE_3 src1_sel:DWORD
	s_mov_b64 s[4:5], -1
                                        ; implicit-def: $sgpr10
	s_and_saveexec_b64 s[8:9], s[12:13]
; %bb.3198:
	s_mov_b32 s10, 0x7f800001
	s_xor_b64 s[4:5], exec, -1
; %bb.3199:
	s_or_b64 exec, exec, s[8:9]
	s_and_b64 s[4:5], s[4:5], exec
	s_or_saveexec_b64 s[6:7], s[6:7]
	v_mov_b32_e32 v11, s10
	s_xor_b64 exec, exec, s[6:7]
	s_cbranch_execz .LBB41_1150
.LBB41_3200:
	v_mov_b32_e32 v11, 0
	v_cmp_ne_u16_sdwa s[8:9], v13, v11 src0_sel:BYTE_3 src1_sel:DWORD
	s_andn2_b64 s[4:5], s[4:5], exec
	s_and_b64 s[8:9], s[8:9], exec
	s_or_b64 s[4:5], s[4:5], s[8:9]
	s_or_b64 exec, exec, s[6:7]
	s_and_saveexec_b64 s[6:7], s[4:5]
	s_cbranch_execnz .LBB41_1151
	s_branch .LBB41_1152
.LBB41_3201:
	s_movk_i32 s4, 0x80
	v_cmp_eq_u16_sdwa s[12:13], v6, s4 src0_sel:BYTE_0 src1_sel:DWORD
	s_mov_b64 s[4:5], -1
                                        ; implicit-def: $sgpr10
	s_and_saveexec_b64 s[8:9], s[12:13]
; %bb.3202:
	s_mov_b32 s10, 0x7f800001
	s_xor_b64 s[4:5], exec, -1
; %bb.3203:
	s_or_b64 exec, exec, s[8:9]
	s_and_b64 s[4:5], s[4:5], exec
	s_or_saveexec_b64 s[6:7], s[6:7]
	v_mov_b32_e32 v10, s10
	s_xor_b64 exec, exec, s[6:7]
	s_cbranch_execz .LBB41_1154
.LBB41_3204:
	v_mov_b32_e32 v10, 0
	v_cmp_ne_u16_sdwa s[8:9], v6, v10 src0_sel:BYTE_0 src1_sel:DWORD
	s_andn2_b64 s[4:5], s[4:5], exec
	s_and_b64 s[8:9], s[8:9], exec
	s_or_b64 s[4:5], s[4:5], s[8:9]
	s_or_b64 exec, exec, s[6:7]
	s_and_saveexec_b64 s[6:7], s[4:5]
	s_cbranch_execnz .LBB41_1155
	s_branch .LBB41_1156
.LBB41_3205:
	s_movk_i32 s4, 0x80
	v_cmp_eq_u16_sdwa s[12:13], v2, s4 src0_sel:BYTE_0 src1_sel:DWORD
	s_mov_b64 s[4:5], -1
                                        ; implicit-def: $sgpr10
	s_and_saveexec_b64 s[8:9], s[12:13]
; %bb.3206:
	s_mov_b32 s10, 0x7f800001
	s_xor_b64 s[4:5], exec, -1
; %bb.3207:
	s_or_b64 exec, exec, s[8:9]
	s_and_b64 s[4:5], s[4:5], exec
	s_or_saveexec_b64 s[6:7], s[6:7]
	v_mov_b32_e32 v11, s10
	s_xor_b64 exec, exec, s[6:7]
	s_cbranch_execz .LBB41_1158
.LBB41_3208:
	v_mov_b32_e32 v11, 0
	v_cmp_ne_u16_sdwa s[8:9], v2, v11 src0_sel:BYTE_0 src1_sel:DWORD
	s_andn2_b64 s[4:5], s[4:5], exec
	s_and_b64 s[8:9], s[8:9], exec
	s_or_b64 s[4:5], s[4:5], s[8:9]
	s_or_b64 exec, exec, s[6:7]
	s_and_saveexec_b64 s[6:7], s[4:5]
	s_cbranch_execnz .LBB41_1159
	s_branch .LBB41_1160
.LBB41_3209:
	s_movk_i32 s4, 0x80
	v_cmp_eq_u16_sdwa s[12:13], v11, s4 src0_sel:BYTE_0 src1_sel:DWORD
	s_mov_b64 s[4:5], -1
                                        ; implicit-def: $sgpr10
	s_and_saveexec_b64 s[8:9], s[12:13]
; %bb.3210:
	s_mov_b32 s10, 0x7f800001
	s_xor_b64 s[4:5], exec, -1
; %bb.3211:
	s_or_b64 exec, exec, s[8:9]
	s_and_b64 s[4:5], s[4:5], exec
	s_or_saveexec_b64 s[6:7], s[6:7]
	v_mov_b32_e32 v10, s10
	s_xor_b64 exec, exec, s[6:7]
	s_cbranch_execz .LBB41_1162
.LBB41_3212:
	v_mov_b32_e32 v10, 0
	v_cmp_ne_u16_sdwa s[8:9], v11, v10 src0_sel:BYTE_0 src1_sel:DWORD
	s_andn2_b64 s[4:5], s[4:5], exec
	s_and_b64 s[8:9], s[8:9], exec
	s_or_b64 s[4:5], s[4:5], s[8:9]
	s_or_b64 exec, exec, s[6:7]
	s_and_saveexec_b64 s[6:7], s[4:5]
	s_cbranch_execnz .LBB41_1163
	s_branch .LBB41_1164
.LBB41_3213:
	s_movk_i32 s4, 0x80
	v_cmp_eq_u16_sdwa s[12:13], v11, s4 src0_sel:BYTE_0 src1_sel:DWORD
	s_mov_b64 s[4:5], -1
                                        ; implicit-def: $sgpr10
	s_and_saveexec_b64 s[8:9], s[12:13]
; %bb.3214:
	s_mov_b32 s10, 0x7f800001
	s_xor_b64 s[4:5], exec, -1
; %bb.3215:
	s_or_b64 exec, exec, s[8:9]
	s_and_b64 s[4:5], s[4:5], exec
	s_or_saveexec_b64 s[6:7], s[6:7]
	v_mov_b32_e32 v12, s10
	s_xor_b64 exec, exec, s[6:7]
	s_cbranch_execz .LBB41_1166
.LBB41_3216:
	v_mov_b32_e32 v12, 0
	v_cmp_ne_u16_sdwa s[8:9], v11, v12 src0_sel:BYTE_0 src1_sel:DWORD
	s_andn2_b64 s[4:5], s[4:5], exec
	s_and_b64 s[8:9], s[8:9], exec
	s_or_b64 s[4:5], s[4:5], s[8:9]
	s_or_b64 exec, exec, s[6:7]
	s_and_saveexec_b64 s[6:7], s[4:5]
	s_cbranch_execnz .LBB41_1167
	s_branch .LBB41_1168
.LBB41_3217:
	s_movk_i32 s4, 0x80
	v_cmp_eq_u16_e32 vcc, s4, v11
	s_mov_b64 s[4:5], -1
                                        ; implicit-def: $sgpr10
	s_and_saveexec_b64 s[8:9], vcc
; %bb.3218:
	s_mov_b32 s10, 0x7f800001
	s_xor_b64 s[4:5], exec, -1
; %bb.3219:
	s_or_b64 exec, exec, s[8:9]
	s_and_b64 s[4:5], s[4:5], exec
                                        ; implicit-def: $vgpr11
	s_or_saveexec_b64 s[6:7], s[6:7]
	v_mov_b32_e32 v10, s10
	s_xor_b64 exec, exec, s[6:7]
	s_cbranch_execz .LBB41_1170
.LBB41_3220:
	v_cmp_ne_u16_e32 vcc, 0, v11
	s_andn2_b64 s[4:5], s[4:5], exec
	s_and_b64 s[8:9], vcc, exec
	v_mov_b32_e32 v10, 0
	s_or_b64 s[4:5], s[4:5], s[8:9]
	s_or_b64 exec, exec, s[6:7]
	s_and_saveexec_b64 s[6:7], s[4:5]
	s_cbranch_execnz .LBB41_1171
	s_branch .LBB41_1172
.LBB41_3221:
	s_movk_i32 s4, 0x80
	v_cmp_eq_u16_e32 vcc, s4, v11
	s_mov_b64 s[4:5], -1
                                        ; implicit-def: $sgpr10
	s_and_saveexec_b64 s[8:9], vcc
; %bb.3222:
	s_mov_b32 s10, 0x7f800001
	s_xor_b64 s[4:5], exec, -1
; %bb.3223:
	s_or_b64 exec, exec, s[8:9]
	s_and_b64 s[4:5], s[4:5], exec
                                        ; implicit-def: $vgpr11
	s_or_saveexec_b64 s[6:7], s[6:7]
	v_mov_b32_e32 v12, s10
	s_xor_b64 exec, exec, s[6:7]
	s_cbranch_execz .LBB41_1174
.LBB41_3224:
	v_cmp_ne_u16_e32 vcc, 0, v11
	s_andn2_b64 s[4:5], s[4:5], exec
	s_and_b64 s[8:9], vcc, exec
	v_mov_b32_e32 v12, 0
	s_or_b64 s[4:5], s[4:5], s[8:9]
	s_or_b64 exec, exec, s[6:7]
	s_and_saveexec_b64 s[6:7], s[4:5]
	s_cbranch_execnz .LBB41_1175
	s_branch .LBB41_1176
.LBB41_3225:
	s_movk_i32 s4, 0x80
	v_cmp_eq_u16_sdwa s[12:13], v6, s4 src0_sel:BYTE_3 src1_sel:DWORD
	s_mov_b64 s[4:5], -1
                                        ; implicit-def: $sgpr10
	s_and_saveexec_b64 s[8:9], s[12:13]
; %bb.3226:
	s_mov_b32 s10, 0x7f800001
	s_xor_b64 s[4:5], exec, -1
; %bb.3227:
	s_or_b64 exec, exec, s[8:9]
	s_and_b64 s[4:5], s[4:5], exec
	s_or_saveexec_b64 s[6:7], s[6:7]
	v_mov_b32_e32 v10, s10
	s_xor_b64 exec, exec, s[6:7]
	s_cbranch_execz .LBB41_1178
.LBB41_3228:
	v_mov_b32_e32 v10, 0
	v_cmp_ne_u16_sdwa s[8:9], v6, v10 src0_sel:BYTE_3 src1_sel:DWORD
	s_andn2_b64 s[4:5], s[4:5], exec
	s_and_b64 s[8:9], s[8:9], exec
	s_or_b64 s[4:5], s[4:5], s[8:9]
	s_or_b64 exec, exec, s[6:7]
	s_and_saveexec_b64 s[6:7], s[4:5]
	s_cbranch_execnz .LBB41_1179
	s_branch .LBB41_1180
.LBB41_3229:
	s_movk_i32 s4, 0x80
	v_cmp_eq_u16_sdwa s[12:13], v2, s4 src0_sel:BYTE_3 src1_sel:DWORD
	s_mov_b64 s[4:5], -1
                                        ; implicit-def: $sgpr10
	s_and_saveexec_b64 s[8:9], s[12:13]
; %bb.3230:
	s_mov_b32 s10, 0x7f800001
	s_xor_b64 s[4:5], exec, -1
; %bb.3231:
	s_or_b64 exec, exec, s[8:9]
	s_and_b64 s[4:5], s[4:5], exec
	s_or_saveexec_b64 s[6:7], s[6:7]
	v_mov_b32_e32 v6, s10
	s_xor_b64 exec, exec, s[6:7]
	s_cbranch_execz .LBB41_1182
.LBB41_3232:
	v_mov_b32_e32 v6, 0
	v_cmp_ne_u16_sdwa s[8:9], v2, v6 src0_sel:BYTE_3 src1_sel:DWORD
	s_andn2_b64 s[4:5], s[4:5], exec
	s_and_b64 s[8:9], s[8:9], exec
	s_or_b64 s[4:5], s[4:5], s[8:9]
	s_or_b64 exec, exec, s[6:7]
	s_and_saveexec_b64 s[6:7], s[4:5]
	s_cbranch_execnz .LBB41_1183
	s_branch .LBB41_1184
.LBB41_3233:
	s_movk_i32 s4, 0x80
	v_cmp_eq_u16_sdwa s[12:13], v7, s4 src0_sel:BYTE_0 src1_sel:DWORD
	s_mov_b64 s[4:5], -1
                                        ; implicit-def: $sgpr10
	s_and_saveexec_b64 s[8:9], s[12:13]
; %bb.3234:
	s_mov_b32 s10, 0x7f800001
	s_xor_b64 s[4:5], exec, -1
; %bb.3235:
	s_or_b64 exec, exec, s[8:9]
	s_and_b64 s[4:5], s[4:5], exec
	s_or_saveexec_b64 s[6:7], s[6:7]
	v_mov_b32_e32 v2, s10
	s_xor_b64 exec, exec, s[6:7]
	s_cbranch_execz .LBB41_1186
.LBB41_3236:
	v_mov_b32_e32 v2, 0
	v_cmp_ne_u16_sdwa s[8:9], v7, v2 src0_sel:BYTE_0 src1_sel:DWORD
	s_andn2_b64 s[4:5], s[4:5], exec
	s_and_b64 s[8:9], s[8:9], exec
	s_or_b64 s[4:5], s[4:5], s[8:9]
	s_or_b64 exec, exec, s[6:7]
	s_and_saveexec_b64 s[6:7], s[4:5]
	s_cbranch_execnz .LBB41_1187
	s_branch .LBB41_1188
.LBB41_3237:
	s_movk_i32 s4, 0x80
	v_cmp_eq_u16_sdwa s[12:13], v3, s4 src0_sel:BYTE_0 src1_sel:DWORD
	s_mov_b64 s[4:5], -1
                                        ; implicit-def: $sgpr10
	s_and_saveexec_b64 s[8:9], s[12:13]
; %bb.3238:
	s_mov_b32 s10, 0x7f800001
	s_xor_b64 s[4:5], exec, -1
; %bb.3239:
	s_or_b64 exec, exec, s[8:9]
	s_and_b64 s[4:5], s[4:5], exec
	s_or_saveexec_b64 s[6:7], s[6:7]
	v_mov_b32_e32 v6, s10
	s_xor_b64 exec, exec, s[6:7]
	s_cbranch_execz .LBB41_1190
.LBB41_3240:
	v_mov_b32_e32 v6, 0
	v_cmp_ne_u16_sdwa s[8:9], v3, v6 src0_sel:BYTE_0 src1_sel:DWORD
	s_andn2_b64 s[4:5], s[4:5], exec
	s_and_b64 s[8:9], s[8:9], exec
	s_or_b64 s[4:5], s[4:5], s[8:9]
	s_or_b64 exec, exec, s[6:7]
	s_and_saveexec_b64 s[6:7], s[4:5]
	s_cbranch_execnz .LBB41_1191
	s_branch .LBB41_1192
.LBB41_3241:
	s_movk_i32 s4, 0x80
	v_cmp_eq_u16_sdwa s[12:13], v6, s4 src0_sel:BYTE_0 src1_sel:DWORD
	s_mov_b64 s[4:5], -1
                                        ; implicit-def: $sgpr10
	s_and_saveexec_b64 s[8:9], s[12:13]
; %bb.3242:
	s_mov_b32 s10, 0x7f800001
	s_xor_b64 s[4:5], exec, -1
; %bb.3243:
	s_or_b64 exec, exec, s[8:9]
	s_and_b64 s[4:5], s[4:5], exec
	s_or_saveexec_b64 s[6:7], s[6:7]
	v_mov_b32_e32 v2, s10
	s_xor_b64 exec, exec, s[6:7]
	s_cbranch_execz .LBB41_1194
.LBB41_3244:
	v_mov_b32_e32 v2, 0
	v_cmp_ne_u16_sdwa s[8:9], v6, v2 src0_sel:BYTE_0 src1_sel:DWORD
	s_andn2_b64 s[4:5], s[4:5], exec
	s_and_b64 s[8:9], s[8:9], exec
	s_or_b64 s[4:5], s[4:5], s[8:9]
	s_or_b64 exec, exec, s[6:7]
	s_and_saveexec_b64 s[6:7], s[4:5]
	s_cbranch_execnz .LBB41_1195
	s_branch .LBB41_1196
.LBB41_3245:
	s_movk_i32 s4, 0x80
	v_cmp_eq_u16_sdwa s[12:13], v6, s4 src0_sel:BYTE_0 src1_sel:DWORD
	s_mov_b64 s[4:5], -1
                                        ; implicit-def: $sgpr10
	s_and_saveexec_b64 s[8:9], s[12:13]
; %bb.3246:
	s_mov_b32 s10, 0x7f800001
	s_xor_b64 s[4:5], exec, -1
; %bb.3247:
	s_or_b64 exec, exec, s[8:9]
	s_and_b64 s[4:5], s[4:5], exec
	s_or_saveexec_b64 s[6:7], s[6:7]
	v_mov_b32_e32 v10, s10
	s_xor_b64 exec, exec, s[6:7]
	s_cbranch_execz .LBB41_1198
.LBB41_3248:
	v_mov_b32_e32 v10, 0
	v_cmp_ne_u16_sdwa s[8:9], v6, v10 src0_sel:BYTE_0 src1_sel:DWORD
	s_andn2_b64 s[4:5], s[4:5], exec
	s_and_b64 s[8:9], s[8:9], exec
	s_or_b64 s[4:5], s[4:5], s[8:9]
	s_or_b64 exec, exec, s[6:7]
	s_and_saveexec_b64 s[6:7], s[4:5]
	s_cbranch_execnz .LBB41_1199
	s_branch .LBB41_1200
.LBB41_3249:
	s_movk_i32 s4, 0x80
	v_cmp_eq_u16_e32 vcc, s4, v6
	s_mov_b64 s[4:5], -1
                                        ; implicit-def: $sgpr10
	s_and_saveexec_b64 s[8:9], vcc
; %bb.3250:
	s_mov_b32 s10, 0x7f800001
	s_xor_b64 s[4:5], exec, -1
; %bb.3251:
	s_or_b64 exec, exec, s[8:9]
	s_and_b64 s[4:5], s[4:5], exec
                                        ; implicit-def: $vgpr6
	s_or_saveexec_b64 s[6:7], s[6:7]
	v_mov_b32_e32 v2, s10
	s_xor_b64 exec, exec, s[6:7]
	s_cbranch_execz .LBB41_1202
.LBB41_3252:
	v_cmp_ne_u16_e32 vcc, 0, v6
	s_andn2_b64 s[4:5], s[4:5], exec
	s_and_b64 s[8:9], vcc, exec
	v_mov_b32_e32 v2, 0
	s_or_b64 s[4:5], s[4:5], s[8:9]
	s_or_b64 exec, exec, s[6:7]
	s_and_saveexec_b64 s[6:7], s[4:5]
	s_cbranch_execnz .LBB41_1203
	s_branch .LBB41_1204
.LBB41_3253:
	s_movk_i32 s4, 0x80
	v_cmp_eq_u16_e32 vcc, s4, v6
	s_mov_b64 s[4:5], -1
                                        ; implicit-def: $sgpr10
	s_and_saveexec_b64 s[8:9], vcc
; %bb.3254:
	s_mov_b32 s10, 0x7f800001
	s_xor_b64 s[4:5], exec, -1
; %bb.3255:
	s_or_b64 exec, exec, s[8:9]
	s_and_b64 s[4:5], s[4:5], exec
                                        ; implicit-def: $vgpr6
	s_or_saveexec_b64 s[6:7], s[6:7]
	v_mov_b32_e32 v10, s10
	s_xor_b64 exec, exec, s[6:7]
	s_cbranch_execz .LBB41_1206
.LBB41_3256:
	v_cmp_ne_u16_e32 vcc, 0, v6
	s_andn2_b64 s[4:5], s[4:5], exec
	s_and_b64 s[8:9], vcc, exec
	v_mov_b32_e32 v10, 0
	s_or_b64 s[4:5], s[4:5], s[8:9]
	s_or_b64 exec, exec, s[6:7]
	s_and_saveexec_b64 s[6:7], s[4:5]
	s_cbranch_execnz .LBB41_1207
	s_branch .LBB41_1208
.LBB41_3257:
	s_movk_i32 s4, 0x80
	v_cmp_eq_u16_sdwa s[12:13], v7, s4 src0_sel:BYTE_3 src1_sel:DWORD
	s_mov_b64 s[4:5], -1
                                        ; implicit-def: $sgpr10
	s_and_saveexec_b64 s[8:9], s[12:13]
; %bb.3258:
	s_mov_b32 s10, 0x7f800001
	s_xor_b64 s[4:5], exec, -1
; %bb.3259:
	s_or_b64 exec, exec, s[8:9]
	s_and_b64 s[4:5], s[4:5], exec
	s_or_saveexec_b64 s[6:7], s[6:7]
	v_mov_b32_e32 v2, s10
	s_xor_b64 exec, exec, s[6:7]
	s_cbranch_execz .LBB41_1210
.LBB41_3260:
	v_mov_b32_e32 v2, 0
	v_cmp_ne_u16_sdwa s[8:9], v7, v2 src0_sel:BYTE_3 src1_sel:DWORD
	s_andn2_b64 s[4:5], s[4:5], exec
	s_and_b64 s[8:9], s[8:9], exec
	s_or_b64 s[4:5], s[4:5], s[8:9]
	s_or_b64 exec, exec, s[6:7]
	s_and_saveexec_b64 s[6:7], s[4:5]
	s_cbranch_execnz .LBB41_1211
	s_branch .LBB41_1212
.LBB41_3261:
	s_movk_i32 s4, 0x80
	v_cmp_eq_u16_sdwa s[12:13], v3, s4 src0_sel:BYTE_3 src1_sel:DWORD
	s_mov_b64 s[4:5], -1
                                        ; implicit-def: $sgpr10
	s_and_saveexec_b64 s[8:9], s[12:13]
; %bb.3262:
	s_mov_b32 s10, 0x7f800001
	s_xor_b64 s[4:5], exec, -1
; %bb.3263:
	s_or_b64 exec, exec, s[8:9]
	s_and_b64 s[4:5], s[4:5], exec
	s_or_saveexec_b64 s[6:7], s[6:7]
	v_mov_b32_e32 v6, s10
	s_xor_b64 exec, exec, s[6:7]
	s_cbranch_execz .LBB41_1214
.LBB41_3264:
	v_mov_b32_e32 v6, 0
	v_cmp_ne_u16_sdwa s[8:9], v3, v6 src0_sel:BYTE_3 src1_sel:DWORD
	s_andn2_b64 s[4:5], s[4:5], exec
	s_and_b64 s[8:9], s[8:9], exec
	s_or_b64 s[4:5], s[4:5], s[8:9]
	s_or_b64 exec, exec, s[6:7]
	s_and_saveexec_b64 s[6:7], s[4:5]
	s_cbranch_execnz .LBB41_1215
	s_branch .LBB41_1216
.LBB41_3265:
	s_movk_i32 s4, 0x80
	v_cmp_eq_u16_sdwa s[12:13], v8, s4 src0_sel:BYTE_0 src1_sel:DWORD
	s_mov_b64 s[4:5], -1
                                        ; implicit-def: $sgpr10
	s_and_saveexec_b64 s[8:9], s[12:13]
; %bb.3266:
	s_mov_b32 s10, 0x7f800001
	s_xor_b64 s[4:5], exec, -1
; %bb.3267:
	s_or_b64 exec, exec, s[8:9]
	s_and_b64 s[4:5], s[4:5], exec
	s_or_saveexec_b64 s[6:7], s[6:7]
	v_mov_b32_e32 v2, s10
	s_xor_b64 exec, exec, s[6:7]
	s_cbranch_execz .LBB41_1218
.LBB41_3268:
	v_mov_b32_e32 v2, 0
	v_cmp_ne_u16_sdwa s[8:9], v8, v2 src0_sel:BYTE_0 src1_sel:DWORD
	s_andn2_b64 s[4:5], s[4:5], exec
	s_and_b64 s[8:9], s[8:9], exec
	s_or_b64 s[4:5], s[4:5], s[8:9]
	s_or_b64 exec, exec, s[6:7]
	s_and_saveexec_b64 s[6:7], s[4:5]
	s_cbranch_execnz .LBB41_1219
	s_branch .LBB41_1220
.LBB41_3269:
	s_movk_i32 s4, 0x80
	v_cmp_eq_u16_sdwa s[12:13], v4, s4 src0_sel:BYTE_0 src1_sel:DWORD
	s_mov_b64 s[4:5], -1
                                        ; implicit-def: $sgpr10
	s_and_saveexec_b64 s[8:9], s[12:13]
; %bb.3270:
	s_mov_b32 s10, 0x7f800001
	s_xor_b64 s[4:5], exec, -1
; %bb.3271:
	s_or_b64 exec, exec, s[8:9]
	s_and_b64 s[4:5], s[4:5], exec
	s_or_saveexec_b64 s[6:7], s[6:7]
	v_mov_b32_e32 v3, s10
	s_xor_b64 exec, exec, s[6:7]
	s_cbranch_execz .LBB41_1222
.LBB41_3272:
	v_mov_b32_e32 v3, 0
	v_cmp_ne_u16_sdwa s[8:9], v4, v3 src0_sel:BYTE_0 src1_sel:DWORD
	s_andn2_b64 s[4:5], s[4:5], exec
	s_and_b64 s[8:9], s[8:9], exec
	s_or_b64 s[4:5], s[4:5], s[8:9]
	s_or_b64 exec, exec, s[6:7]
	s_and_saveexec_b64 s[6:7], s[4:5]
	s_cbranch_execnz .LBB41_1223
	s_branch .LBB41_1224
.LBB41_3273:
	s_movk_i32 s4, 0x80
	v_cmp_eq_u16_sdwa s[12:13], v3, s4 src0_sel:BYTE_0 src1_sel:DWORD
	s_mov_b64 s[4:5], -1
                                        ; implicit-def: $sgpr10
	s_and_saveexec_b64 s[8:9], s[12:13]
; %bb.3274:
	s_mov_b32 s10, 0x7f800001
	s_xor_b64 s[4:5], exec, -1
; %bb.3275:
	s_or_b64 exec, exec, s[8:9]
	s_and_b64 s[4:5], s[4:5], exec
	s_or_saveexec_b64 s[6:7], s[6:7]
	v_mov_b32_e32 v2, s10
	s_xor_b64 exec, exec, s[6:7]
	s_cbranch_execz .LBB41_1226
.LBB41_3276:
	v_mov_b32_e32 v2, 0
	v_cmp_ne_u16_sdwa s[8:9], v3, v2 src0_sel:BYTE_0 src1_sel:DWORD
	s_andn2_b64 s[4:5], s[4:5], exec
	s_and_b64 s[8:9], s[8:9], exec
	s_or_b64 s[4:5], s[4:5], s[8:9]
	s_or_b64 exec, exec, s[6:7]
	s_and_saveexec_b64 s[6:7], s[4:5]
	s_cbranch_execnz .LBB41_1227
	s_branch .LBB41_1228
.LBB41_3277:
	s_movk_i32 s4, 0x80
	v_cmp_eq_u16_sdwa s[12:13], v3, s4 src0_sel:BYTE_0 src1_sel:DWORD
	s_mov_b64 s[4:5], -1
                                        ; implicit-def: $sgpr10
	s_and_saveexec_b64 s[8:9], s[12:13]
; %bb.3278:
	s_mov_b32 s10, 0x7f800001
	s_xor_b64 s[4:5], exec, -1
; %bb.3279:
	s_or_b64 exec, exec, s[8:9]
	s_and_b64 s[4:5], s[4:5], exec
	s_or_saveexec_b64 s[6:7], s[6:7]
	v_mov_b32_e32 v6, s10
	s_xor_b64 exec, exec, s[6:7]
	s_cbranch_execz .LBB41_1230
.LBB41_3280:
	v_mov_b32_e32 v6, 0
	v_cmp_ne_u16_sdwa s[8:9], v3, v6 src0_sel:BYTE_0 src1_sel:DWORD
	s_andn2_b64 s[4:5], s[4:5], exec
	s_and_b64 s[8:9], s[8:9], exec
	s_or_b64 s[4:5], s[4:5], s[8:9]
	s_or_b64 exec, exec, s[6:7]
	s_and_saveexec_b64 s[6:7], s[4:5]
	s_cbranch_execnz .LBB41_1231
	s_branch .LBB41_1232
.LBB41_3281:
	s_movk_i32 s4, 0x80
	v_cmp_eq_u16_e32 vcc, s4, v3
	s_mov_b64 s[4:5], -1
                                        ; implicit-def: $sgpr10
	s_and_saveexec_b64 s[8:9], vcc
; %bb.3282:
	s_mov_b32 s10, 0x7f800001
	s_xor_b64 s[4:5], exec, -1
; %bb.3283:
	s_or_b64 exec, exec, s[8:9]
	s_and_b64 s[4:5], s[4:5], exec
                                        ; implicit-def: $vgpr3
	s_or_saveexec_b64 s[6:7], s[6:7]
	v_mov_b32_e32 v2, s10
	s_xor_b64 exec, exec, s[6:7]
	s_cbranch_execz .LBB41_1234
.LBB41_3284:
	v_cmp_ne_u16_e32 vcc, 0, v3
	s_andn2_b64 s[4:5], s[4:5], exec
	s_and_b64 s[8:9], vcc, exec
	v_mov_b32_e32 v2, 0
	s_or_b64 s[4:5], s[4:5], s[8:9]
	s_or_b64 exec, exec, s[6:7]
	s_and_saveexec_b64 s[6:7], s[4:5]
	s_cbranch_execnz .LBB41_1235
	s_branch .LBB41_1236
.LBB41_3285:
	s_movk_i32 s4, 0x80
	v_cmp_eq_u16_e32 vcc, s4, v3
	s_mov_b64 s[4:5], -1
                                        ; implicit-def: $sgpr10
	s_and_saveexec_b64 s[8:9], vcc
; %bb.3286:
	s_mov_b32 s10, 0x7f800001
	s_xor_b64 s[4:5], exec, -1
; %bb.3287:
	s_or_b64 exec, exec, s[8:9]
	s_and_b64 s[4:5], s[4:5], exec
                                        ; implicit-def: $vgpr3
	s_or_saveexec_b64 s[6:7], s[6:7]
	v_mov_b32_e32 v6, s10
	s_xor_b64 exec, exec, s[6:7]
	s_cbranch_execz .LBB41_1238
.LBB41_3288:
	v_cmp_ne_u16_e32 vcc, 0, v3
	s_andn2_b64 s[4:5], s[4:5], exec
	s_and_b64 s[8:9], vcc, exec
	v_mov_b32_e32 v6, 0
	s_or_b64 s[4:5], s[4:5], s[8:9]
	s_or_b64 exec, exec, s[6:7]
	s_and_saveexec_b64 s[6:7], s[4:5]
	s_cbranch_execnz .LBB41_1239
	s_branch .LBB41_1240
.LBB41_3289:
	s_movk_i32 s4, 0x80
	v_cmp_eq_u16_sdwa s[12:13], v8, s4 src0_sel:BYTE_3 src1_sel:DWORD
	s_mov_b64 s[4:5], -1
                                        ; implicit-def: $sgpr10
	s_and_saveexec_b64 s[8:9], s[12:13]
; %bb.3290:
	s_mov_b32 s10, 0x7f800001
	s_xor_b64 s[4:5], exec, -1
; %bb.3291:
	s_or_b64 exec, exec, s[8:9]
	s_and_b64 s[4:5], s[4:5], exec
	s_or_saveexec_b64 s[6:7], s[6:7]
	v_mov_b32_e32 v2, s10
	s_xor_b64 exec, exec, s[6:7]
	s_cbranch_execz .LBB41_1242
.LBB41_3292:
	v_mov_b32_e32 v2, 0
	v_cmp_ne_u16_sdwa s[8:9], v8, v2 src0_sel:BYTE_3 src1_sel:DWORD
	s_andn2_b64 s[4:5], s[4:5], exec
	s_and_b64 s[8:9], s[8:9], exec
	s_or_b64 s[4:5], s[4:5], s[8:9]
	s_or_b64 exec, exec, s[6:7]
	s_and_saveexec_b64 s[6:7], s[4:5]
	s_cbranch_execnz .LBB41_1243
	s_branch .LBB41_1244
.LBB41_3293:
	s_movk_i32 s4, 0x80
	v_cmp_eq_u16_sdwa s[12:13], v4, s4 src0_sel:BYTE_3 src1_sel:DWORD
	s_mov_b64 s[4:5], -1
                                        ; implicit-def: $sgpr10
	s_and_saveexec_b64 s[8:9], s[12:13]
; %bb.3294:
	s_mov_b32 s10, 0x7f800001
	s_xor_b64 s[4:5], exec, -1
; %bb.3295:
	s_or_b64 exec, exec, s[8:9]
	s_and_b64 s[4:5], s[4:5], exec
	s_or_saveexec_b64 s[6:7], s[6:7]
	v_mov_b32_e32 v3, s10
	s_xor_b64 exec, exec, s[6:7]
	s_cbranch_execz .LBB41_1246
.LBB41_3296:
	v_mov_b32_e32 v3, 0
	v_cmp_ne_u16_sdwa s[8:9], v4, v3 src0_sel:BYTE_3 src1_sel:DWORD
	s_andn2_b64 s[4:5], s[4:5], exec
	s_and_b64 s[8:9], s[8:9], exec
	s_or_b64 s[4:5], s[4:5], s[8:9]
	s_or_b64 exec, exec, s[6:7]
	s_and_saveexec_b64 s[6:7], s[4:5]
	s_cbranch_execnz .LBB41_1247
	s_branch .LBB41_1248
.LBB41_3297:
	s_movk_i32 s4, 0x80
	v_cmp_eq_u16_sdwa s[12:13], v9, s4 src0_sel:BYTE_0 src1_sel:DWORD
	s_mov_b64 s[4:5], -1
                                        ; implicit-def: $sgpr10
	s_and_saveexec_b64 s[8:9], s[12:13]
; %bb.3298:
	s_mov_b32 s10, 0x7f800001
	s_xor_b64 s[4:5], exec, -1
; %bb.3299:
	s_or_b64 exec, exec, s[8:9]
	s_and_b64 s[4:5], s[4:5], exec
	s_or_saveexec_b64 s[6:7], s[6:7]
	v_mov_b32_e32 v2, s10
	s_xor_b64 exec, exec, s[6:7]
	s_cbranch_execz .LBB41_1250
.LBB41_3300:
	v_mov_b32_e32 v2, 0
	v_cmp_ne_u16_sdwa s[8:9], v9, v2 src0_sel:BYTE_0 src1_sel:DWORD
	s_andn2_b64 s[4:5], s[4:5], exec
	s_and_b64 s[8:9], s[8:9], exec
	s_or_b64 s[4:5], s[4:5], s[8:9]
	s_or_b64 exec, exec, s[6:7]
	s_and_saveexec_b64 s[6:7], s[4:5]
	s_cbranch_execnz .LBB41_1251
	s_branch .LBB41_1252
.LBB41_3301:
	s_movk_i32 s4, 0x80
	v_cmp_eq_u16_sdwa s[12:13], v5, s4 src0_sel:BYTE_0 src1_sel:DWORD
	s_mov_b64 s[4:5], -1
                                        ; implicit-def: $sgpr10
	s_and_saveexec_b64 s[8:9], s[12:13]
; %bb.3302:
	s_mov_b32 s10, 0x7f800001
	s_xor_b64 s[4:5], exec, -1
; %bb.3303:
	s_or_b64 exec, exec, s[8:9]
	s_and_b64 s[4:5], s[4:5], exec
	s_or_saveexec_b64 s[6:7], s[6:7]
	v_mov_b32_e32 v3, s10
	s_xor_b64 exec, exec, s[6:7]
	s_cbranch_execz .LBB41_1254
.LBB41_3304:
	v_mov_b32_e32 v3, 0
	v_cmp_ne_u16_sdwa s[8:9], v5, v3 src0_sel:BYTE_0 src1_sel:DWORD
	s_andn2_b64 s[4:5], s[4:5], exec
	s_and_b64 s[8:9], s[8:9], exec
	s_or_b64 s[4:5], s[4:5], s[8:9]
	s_or_b64 exec, exec, s[6:7]
	s_and_saveexec_b64 s[6:7], s[4:5]
	s_cbranch_execnz .LBB41_1255
	s_branch .LBB41_1256
.LBB41_3305:
	s_movk_i32 s4, 0x80
	v_cmp_eq_u16_sdwa s[12:13], v3, s4 src0_sel:BYTE_0 src1_sel:DWORD
	s_mov_b64 s[4:5], -1
                                        ; implicit-def: $sgpr10
	s_and_saveexec_b64 s[8:9], s[12:13]
; %bb.3306:
	s_mov_b32 s10, 0x7f800001
	s_xor_b64 s[4:5], exec, -1
; %bb.3307:
	s_or_b64 exec, exec, s[8:9]
	s_and_b64 s[4:5], s[4:5], exec
	s_or_saveexec_b64 s[6:7], s[6:7]
	v_mov_b32_e32 v2, s10
	s_xor_b64 exec, exec, s[6:7]
	s_cbranch_execz .LBB41_1258
.LBB41_3308:
	v_mov_b32_e32 v2, 0
	v_cmp_ne_u16_sdwa s[8:9], v3, v2 src0_sel:BYTE_0 src1_sel:DWORD
	s_andn2_b64 s[4:5], s[4:5], exec
	s_and_b64 s[8:9], s[8:9], exec
	s_or_b64 s[4:5], s[4:5], s[8:9]
	s_or_b64 exec, exec, s[6:7]
	s_and_saveexec_b64 s[6:7], s[4:5]
	s_cbranch_execnz .LBB41_1259
	s_branch .LBB41_1260
.LBB41_3309:
	s_movk_i32 s4, 0x80
	v_cmp_eq_u16_sdwa s[12:13], v3, s4 src0_sel:BYTE_0 src1_sel:DWORD
	s_mov_b64 s[4:5], -1
                                        ; implicit-def: $sgpr10
	s_and_saveexec_b64 s[8:9], s[12:13]
; %bb.3310:
	s_mov_b32 s10, 0x7f800001
	s_xor_b64 s[4:5], exec, -1
; %bb.3311:
	s_or_b64 exec, exec, s[8:9]
	s_and_b64 s[4:5], s[4:5], exec
	s_or_saveexec_b64 s[6:7], s[6:7]
	v_mov_b32_e32 v4, s10
	s_xor_b64 exec, exec, s[6:7]
	s_cbranch_execz .LBB41_1262
.LBB41_3312:
	v_mov_b32_e32 v4, 0
	v_cmp_ne_u16_sdwa s[8:9], v3, v4 src0_sel:BYTE_0 src1_sel:DWORD
	s_andn2_b64 s[4:5], s[4:5], exec
	s_and_b64 s[8:9], s[8:9], exec
	s_or_b64 s[4:5], s[4:5], s[8:9]
	s_or_b64 exec, exec, s[6:7]
	s_and_saveexec_b64 s[6:7], s[4:5]
	s_cbranch_execnz .LBB41_1263
	s_branch .LBB41_1264
.LBB41_3313:
	s_movk_i32 s4, 0x80
	v_cmp_eq_u16_e32 vcc, s4, v3
	s_mov_b64 s[4:5], -1
                                        ; implicit-def: $sgpr10
	s_and_saveexec_b64 s[8:9], vcc
; %bb.3314:
	s_mov_b32 s10, 0x7f800001
	s_xor_b64 s[4:5], exec, -1
; %bb.3315:
	s_or_b64 exec, exec, s[8:9]
	s_and_b64 s[4:5], s[4:5], exec
                                        ; implicit-def: $vgpr3
	s_or_saveexec_b64 s[6:7], s[6:7]
	v_mov_b32_e32 v2, s10
	s_xor_b64 exec, exec, s[6:7]
	s_cbranch_execz .LBB41_1266
.LBB41_3316:
	v_cmp_ne_u16_e32 vcc, 0, v3
	s_andn2_b64 s[4:5], s[4:5], exec
	s_and_b64 s[8:9], vcc, exec
	v_mov_b32_e32 v2, 0
	s_or_b64 s[4:5], s[4:5], s[8:9]
	s_or_b64 exec, exec, s[6:7]
	s_and_saveexec_b64 s[6:7], s[4:5]
	s_cbranch_execnz .LBB41_1267
	s_branch .LBB41_1268
.LBB41_3317:
	s_movk_i32 s4, 0x80
	v_cmp_eq_u16_e32 vcc, s4, v3
	s_mov_b64 s[4:5], -1
                                        ; implicit-def: $sgpr10
	s_and_saveexec_b64 s[8:9], vcc
; %bb.3318:
	s_mov_b32 s10, 0x7f800001
	s_xor_b64 s[4:5], exec, -1
; %bb.3319:
	s_or_b64 exec, exec, s[8:9]
	s_and_b64 s[4:5], s[4:5], exec
                                        ; implicit-def: $vgpr3
	s_or_saveexec_b64 s[6:7], s[6:7]
	v_mov_b32_e32 v4, s10
	s_xor_b64 exec, exec, s[6:7]
	s_cbranch_execz .LBB41_1270
.LBB41_3320:
	v_cmp_ne_u16_e32 vcc, 0, v3
	s_andn2_b64 s[4:5], s[4:5], exec
	s_and_b64 s[8:9], vcc, exec
	v_mov_b32_e32 v4, 0
	s_or_b64 s[4:5], s[4:5], s[8:9]
	s_or_b64 exec, exec, s[6:7]
	s_and_saveexec_b64 s[6:7], s[4:5]
	s_cbranch_execnz .LBB41_1271
	s_branch .LBB41_1272
.LBB41_3321:
	s_movk_i32 s4, 0x80
	v_cmp_eq_u16_sdwa s[12:13], v9, s4 src0_sel:BYTE_3 src1_sel:DWORD
	s_mov_b64 s[4:5], -1
                                        ; implicit-def: $sgpr10
	s_and_saveexec_b64 s[8:9], s[12:13]
; %bb.3322:
	s_mov_b32 s10, 0x7f800001
	s_xor_b64 s[4:5], exec, -1
; %bb.3323:
	s_or_b64 exec, exec, s[8:9]
	s_and_b64 s[4:5], s[4:5], exec
	s_or_saveexec_b64 s[6:7], s[6:7]
	v_mov_b32_e32 v2, s10
	s_xor_b64 exec, exec, s[6:7]
	s_cbranch_execz .LBB41_1274
.LBB41_3324:
	v_mov_b32_e32 v2, 0
	v_cmp_ne_u16_sdwa s[8:9], v9, v2 src0_sel:BYTE_3 src1_sel:DWORD
	s_andn2_b64 s[4:5], s[4:5], exec
	s_and_b64 s[8:9], s[8:9], exec
	s_or_b64 s[4:5], s[4:5], s[8:9]
	s_or_b64 exec, exec, s[6:7]
	s_and_saveexec_b64 s[6:7], s[4:5]
	s_cbranch_execnz .LBB41_1275
	s_branch .LBB41_1276
.LBB41_3325:
	s_movk_i32 s4, 0x80
	v_cmp_eq_u16_sdwa s[12:13], v5, s4 src0_sel:BYTE_3 src1_sel:DWORD
	s_mov_b64 s[4:5], -1
                                        ; implicit-def: $sgpr10
	s_and_saveexec_b64 s[8:9], s[12:13]
; %bb.3326:
	s_mov_b32 s10, 0x7f800001
	s_xor_b64 s[4:5], exec, -1
; %bb.3327:
	s_or_b64 exec, exec, s[8:9]
	s_and_b64 s[4:5], s[4:5], exec
	s_or_saveexec_b64 s[6:7], s[6:7]
	v_mov_b32_e32 v3, s10
	s_xor_b64 exec, exec, s[6:7]
	s_cbranch_execz .LBB41_1278
.LBB41_3328:
	v_mov_b32_e32 v3, 0
	v_cmp_ne_u16_sdwa s[8:9], v5, v3 src0_sel:BYTE_3 src1_sel:DWORD
	s_andn2_b64 s[4:5], s[4:5], exec
	s_and_b64 s[8:9], s[8:9], exec
	s_or_b64 s[4:5], s[4:5], s[8:9]
	s_or_b64 exec, exec, s[6:7]
	s_and_saveexec_b64 s[6:7], s[4:5]
	s_cbranch_execnz .LBB41_1279
	s_branch .LBB41_1280
.LBB41_3329:
	s_movk_i32 s4, 0x80
	v_cmp_eq_u16_sdwa s[12:13], v14, s4 src0_sel:BYTE_0 src1_sel:DWORD
	s_mov_b64 s[4:5], -1
                                        ; implicit-def: $sgpr10
	s_and_saveexec_b64 s[8:9], s[12:13]
; %bb.3330:
	s_mov_b32 s10, 0x7f800001
	s_xor_b64 s[4:5], exec, -1
; %bb.3331:
	s_or_b64 exec, exec, s[8:9]
	s_and_b64 s[4:5], s[4:5], exec
	s_or_saveexec_b64 s[6:7], s[6:7]
	v_mov_b32_e32 v20, s10
	s_xor_b64 exec, exec, s[6:7]
	s_cbranch_execz .LBB41_1282
.LBB41_3332:
	v_mov_b32_e32 v20, 0
	v_cmp_ne_u16_sdwa s[8:9], v14, v20 src0_sel:BYTE_0 src1_sel:DWORD
	s_andn2_b64 s[4:5], s[4:5], exec
	s_and_b64 s[8:9], s[8:9], exec
	s_or_b64 s[4:5], s[4:5], s[8:9]
	s_or_b64 exec, exec, s[6:7]
	s_and_saveexec_b64 s[6:7], s[4:5]
	s_cbranch_execnz .LBB41_1283
	s_branch .LBB41_1284
.LBB41_3333:
	s_movk_i32 s4, 0x80
	v_cmp_eq_u16_sdwa s[12:13], v10, s4 src0_sel:BYTE_0 src1_sel:DWORD
	s_mov_b64 s[4:5], -1
                                        ; implicit-def: $sgpr10
	s_and_saveexec_b64 s[8:9], s[12:13]
; %bb.3334:
	s_mov_b32 s10, 0x7f800001
	s_xor_b64 s[4:5], exec, -1
; %bb.3335:
	s_or_b64 exec, exec, s[8:9]
	s_and_b64 s[4:5], s[4:5], exec
	s_or_saveexec_b64 s[6:7], s[6:7]
	v_mov_b32_e32 v21, s10
	s_xor_b64 exec, exec, s[6:7]
	s_cbranch_execz .LBB41_1286
.LBB41_3336:
	v_mov_b32_e32 v21, 0
	v_cmp_ne_u16_sdwa s[8:9], v10, v21 src0_sel:BYTE_0 src1_sel:DWORD
	s_andn2_b64 s[4:5], s[4:5], exec
	s_and_b64 s[8:9], s[8:9], exec
	s_or_b64 s[4:5], s[4:5], s[8:9]
	s_or_b64 exec, exec, s[6:7]
	s_and_saveexec_b64 s[6:7], s[4:5]
	s_cbranch_execnz .LBB41_1287
	s_branch .LBB41_1288
.LBB41_3337:
	s_movk_i32 s4, 0x80
	v_cmp_eq_u16_sdwa s[12:13], v21, s4 src0_sel:BYTE_0 src1_sel:DWORD
	s_mov_b64 s[4:5], -1
                                        ; implicit-def: $sgpr10
	s_and_saveexec_b64 s[8:9], s[12:13]
; %bb.3338:
	s_mov_b32 s10, 0x7f800001
	s_xor_b64 s[4:5], exec, -1
; %bb.3339:
	s_or_b64 exec, exec, s[8:9]
	s_and_b64 s[4:5], s[4:5], exec
	s_or_saveexec_b64 s[6:7], s[6:7]
	v_mov_b32_e32 v20, s10
	s_xor_b64 exec, exec, s[6:7]
	s_cbranch_execz .LBB41_1290
.LBB41_3340:
	v_mov_b32_e32 v20, 0
	v_cmp_ne_u16_sdwa s[8:9], v21, v20 src0_sel:BYTE_0 src1_sel:DWORD
	s_andn2_b64 s[4:5], s[4:5], exec
	s_and_b64 s[8:9], s[8:9], exec
	s_or_b64 s[4:5], s[4:5], s[8:9]
	s_or_b64 exec, exec, s[6:7]
	s_and_saveexec_b64 s[6:7], s[4:5]
	s_cbranch_execnz .LBB41_1291
	s_branch .LBB41_1292
.LBB41_3341:
	s_movk_i32 s4, 0x80
	v_cmp_eq_u16_sdwa s[12:13], v21, s4 src0_sel:BYTE_0 src1_sel:DWORD
	s_mov_b64 s[4:5], -1
                                        ; implicit-def: $sgpr10
	s_and_saveexec_b64 s[8:9], s[12:13]
; %bb.3342:
	s_mov_b32 s10, 0x7f800001
	s_xor_b64 s[4:5], exec, -1
; %bb.3343:
	s_or_b64 exec, exec, s[8:9]
	s_and_b64 s[4:5], s[4:5], exec
	s_or_saveexec_b64 s[6:7], s[6:7]
	v_mov_b32_e32 v22, s10
	s_xor_b64 exec, exec, s[6:7]
	s_cbranch_execz .LBB41_1294
.LBB41_3344:
	v_mov_b32_e32 v22, 0
	v_cmp_ne_u16_sdwa s[8:9], v21, v22 src0_sel:BYTE_0 src1_sel:DWORD
	s_andn2_b64 s[4:5], s[4:5], exec
	s_and_b64 s[8:9], s[8:9], exec
	s_or_b64 s[4:5], s[4:5], s[8:9]
	s_or_b64 exec, exec, s[6:7]
	s_and_saveexec_b64 s[6:7], s[4:5]
	s_cbranch_execnz .LBB41_1295
	s_branch .LBB41_1296
.LBB41_3345:
	s_movk_i32 s4, 0x80
	v_cmp_eq_u16_e32 vcc, s4, v21
	s_mov_b64 s[4:5], -1
                                        ; implicit-def: $sgpr10
	s_and_saveexec_b64 s[8:9], vcc
; %bb.3346:
	s_mov_b32 s10, 0x7f800001
	s_xor_b64 s[4:5], exec, -1
; %bb.3347:
	s_or_b64 exec, exec, s[8:9]
	s_and_b64 s[4:5], s[4:5], exec
                                        ; implicit-def: $vgpr21
	s_or_saveexec_b64 s[6:7], s[6:7]
	v_mov_b32_e32 v20, s10
	s_xor_b64 exec, exec, s[6:7]
	s_cbranch_execz .LBB41_1298
.LBB41_3348:
	v_cmp_ne_u16_e32 vcc, 0, v21
	s_andn2_b64 s[4:5], s[4:5], exec
	s_and_b64 s[8:9], vcc, exec
	v_mov_b32_e32 v20, 0
	s_or_b64 s[4:5], s[4:5], s[8:9]
	s_or_b64 exec, exec, s[6:7]
	s_and_saveexec_b64 s[6:7], s[4:5]
	s_cbranch_execnz .LBB41_1299
	s_branch .LBB41_1300
.LBB41_3349:
	s_movk_i32 s4, 0x80
	v_cmp_eq_u16_e32 vcc, s4, v21
	s_mov_b64 s[4:5], -1
                                        ; implicit-def: $sgpr10
	s_and_saveexec_b64 s[8:9], vcc
; %bb.3350:
	s_mov_b32 s10, 0x7f800001
	s_xor_b64 s[4:5], exec, -1
; %bb.3351:
	s_or_b64 exec, exec, s[8:9]
	s_and_b64 s[4:5], s[4:5], exec
                                        ; implicit-def: $vgpr21
	s_or_saveexec_b64 s[6:7], s[6:7]
	v_mov_b32_e32 v22, s10
	s_xor_b64 exec, exec, s[6:7]
	s_cbranch_execz .LBB41_1302
.LBB41_3352:
	v_cmp_ne_u16_e32 vcc, 0, v21
	s_andn2_b64 s[4:5], s[4:5], exec
	s_and_b64 s[8:9], vcc, exec
	v_mov_b32_e32 v22, 0
	s_or_b64 s[4:5], s[4:5], s[8:9]
	s_or_b64 exec, exec, s[6:7]
	s_and_saveexec_b64 s[6:7], s[4:5]
	s_cbranch_execnz .LBB41_1303
	s_branch .LBB41_1304
.LBB41_3353:
	s_movk_i32 s4, 0x80
	v_cmp_eq_u16_sdwa s[12:13], v14, s4 src0_sel:BYTE_3 src1_sel:DWORD
	s_mov_b64 s[4:5], -1
                                        ; implicit-def: $sgpr10
	s_and_saveexec_b64 s[8:9], s[12:13]
; %bb.3354:
	s_mov_b32 s10, 0x7f800001
	s_xor_b64 s[4:5], exec, -1
; %bb.3355:
	s_or_b64 exec, exec, s[8:9]
	s_and_b64 s[4:5], s[4:5], exec
	s_or_saveexec_b64 s[6:7], s[6:7]
	v_mov_b32_e32 v20, s10
	s_xor_b64 exec, exec, s[6:7]
	s_cbranch_execz .LBB41_1306
.LBB41_3356:
	v_mov_b32_e32 v20, 0
	v_cmp_ne_u16_sdwa s[8:9], v14, v20 src0_sel:BYTE_3 src1_sel:DWORD
	s_andn2_b64 s[4:5], s[4:5], exec
	s_and_b64 s[8:9], s[8:9], exec
	s_or_b64 s[4:5], s[4:5], s[8:9]
	s_or_b64 exec, exec, s[6:7]
	s_and_saveexec_b64 s[6:7], s[4:5]
	s_cbranch_execnz .LBB41_1307
	s_branch .LBB41_1308
.LBB41_3357:
	s_movk_i32 s4, 0x80
	v_cmp_eq_u16_sdwa s[12:13], v10, s4 src0_sel:BYTE_3 src1_sel:DWORD
	s_mov_b64 s[4:5], -1
                                        ; implicit-def: $sgpr10
	s_and_saveexec_b64 s[8:9], s[12:13]
; %bb.3358:
	s_mov_b32 s10, 0x7f800001
	s_xor_b64 s[4:5], exec, -1
; %bb.3359:
	s_or_b64 exec, exec, s[8:9]
	s_and_b64 s[4:5], s[4:5], exec
	s_or_saveexec_b64 s[6:7], s[6:7]
	v_mov_b32_e32 v14, s10
	s_xor_b64 exec, exec, s[6:7]
	s_cbranch_execz .LBB41_1310
.LBB41_3360:
	v_mov_b32_e32 v14, 0
	v_cmp_ne_u16_sdwa s[8:9], v10, v14 src0_sel:BYTE_3 src1_sel:DWORD
	s_andn2_b64 s[4:5], s[4:5], exec
	s_and_b64 s[8:9], s[8:9], exec
	s_or_b64 s[4:5], s[4:5], s[8:9]
	s_or_b64 exec, exec, s[6:7]
	s_and_saveexec_b64 s[6:7], s[4:5]
	s_cbranch_execnz .LBB41_1311
	s_branch .LBB41_1312
.LBB41_3361:
	s_movk_i32 s4, 0x80
	v_cmp_eq_u16_sdwa s[12:13], v15, s4 src0_sel:BYTE_0 src1_sel:DWORD
	s_mov_b64 s[4:5], -1
                                        ; implicit-def: $sgpr10
	s_and_saveexec_b64 s[8:9], s[12:13]
; %bb.3362:
	s_mov_b32 s10, 0x7f800001
	s_xor_b64 s[4:5], exec, -1
; %bb.3363:
	s_or_b64 exec, exec, s[8:9]
	s_and_b64 s[4:5], s[4:5], exec
	s_or_saveexec_b64 s[6:7], s[6:7]
	v_mov_b32_e32 v10, s10
	s_xor_b64 exec, exec, s[6:7]
	s_cbranch_execz .LBB41_1314
.LBB41_3364:
	v_mov_b32_e32 v10, 0
	v_cmp_ne_u16_sdwa s[8:9], v15, v10 src0_sel:BYTE_0 src1_sel:DWORD
	s_andn2_b64 s[4:5], s[4:5], exec
	s_and_b64 s[8:9], s[8:9], exec
	s_or_b64 s[4:5], s[4:5], s[8:9]
	s_or_b64 exec, exec, s[6:7]
	s_and_saveexec_b64 s[6:7], s[4:5]
	s_cbranch_execnz .LBB41_1315
	s_branch .LBB41_1316
.LBB41_3365:
	s_movk_i32 s4, 0x80
	v_cmp_eq_u16_sdwa s[12:13], v11, s4 src0_sel:BYTE_0 src1_sel:DWORD
	s_mov_b64 s[4:5], -1
                                        ; implicit-def: $sgpr10
	s_and_saveexec_b64 s[8:9], s[12:13]
; %bb.3366:
	s_mov_b32 s10, 0x7f800001
	s_xor_b64 s[4:5], exec, -1
; %bb.3367:
	s_or_b64 exec, exec, s[8:9]
	s_and_b64 s[4:5], s[4:5], exec
	s_or_saveexec_b64 s[6:7], s[6:7]
	v_mov_b32_e32 v14, s10
	s_xor_b64 exec, exec, s[6:7]
	s_cbranch_execz .LBB41_1318
.LBB41_3368:
	v_mov_b32_e32 v14, 0
	v_cmp_ne_u16_sdwa s[8:9], v11, v14 src0_sel:BYTE_0 src1_sel:DWORD
	s_andn2_b64 s[4:5], s[4:5], exec
	s_and_b64 s[8:9], s[8:9], exec
	s_or_b64 s[4:5], s[4:5], s[8:9]
	s_or_b64 exec, exec, s[6:7]
	s_and_saveexec_b64 s[6:7], s[4:5]
	s_cbranch_execnz .LBB41_1319
	s_branch .LBB41_1320
.LBB41_3369:
	s_movk_i32 s4, 0x80
	v_cmp_eq_u16_sdwa s[12:13], v14, s4 src0_sel:BYTE_0 src1_sel:DWORD
	s_mov_b64 s[4:5], -1
                                        ; implicit-def: $sgpr10
	s_and_saveexec_b64 s[8:9], s[12:13]
; %bb.3370:
	s_mov_b32 s10, 0x7f800001
	s_xor_b64 s[4:5], exec, -1
; %bb.3371:
	s_or_b64 exec, exec, s[8:9]
	s_and_b64 s[4:5], s[4:5], exec
	s_or_saveexec_b64 s[6:7], s[6:7]
	v_mov_b32_e32 v10, s10
	s_xor_b64 exec, exec, s[6:7]
	s_cbranch_execz .LBB41_1322
.LBB41_3372:
	v_mov_b32_e32 v10, 0
	v_cmp_ne_u16_sdwa s[8:9], v14, v10 src0_sel:BYTE_0 src1_sel:DWORD
	s_andn2_b64 s[4:5], s[4:5], exec
	s_and_b64 s[8:9], s[8:9], exec
	s_or_b64 s[4:5], s[4:5], s[8:9]
	s_or_b64 exec, exec, s[6:7]
	s_and_saveexec_b64 s[6:7], s[4:5]
	s_cbranch_execnz .LBB41_1323
	s_branch .LBB41_1324
.LBB41_3373:
	s_movk_i32 s4, 0x80
	v_cmp_eq_u16_sdwa s[12:13], v14, s4 src0_sel:BYTE_0 src1_sel:DWORD
	s_mov_b64 s[4:5], -1
                                        ; implicit-def: $sgpr10
	s_and_saveexec_b64 s[8:9], s[12:13]
; %bb.3374:
	s_mov_b32 s10, 0x7f800001
	s_xor_b64 s[4:5], exec, -1
; %bb.3375:
	s_or_b64 exec, exec, s[8:9]
	s_and_b64 s[4:5], s[4:5], exec
	s_or_saveexec_b64 s[6:7], s[6:7]
	v_mov_b32_e32 v20, s10
	s_xor_b64 exec, exec, s[6:7]
	s_cbranch_execz .LBB41_1326
.LBB41_3376:
	v_mov_b32_e32 v20, 0
	v_cmp_ne_u16_sdwa s[8:9], v14, v20 src0_sel:BYTE_0 src1_sel:DWORD
	s_andn2_b64 s[4:5], s[4:5], exec
	s_and_b64 s[8:9], s[8:9], exec
	s_or_b64 s[4:5], s[4:5], s[8:9]
	s_or_b64 exec, exec, s[6:7]
	s_and_saveexec_b64 s[6:7], s[4:5]
	s_cbranch_execnz .LBB41_1327
	s_branch .LBB41_1328
.LBB41_3377:
	s_movk_i32 s4, 0x80
	v_cmp_eq_u16_e32 vcc, s4, v14
	s_mov_b64 s[4:5], -1
                                        ; implicit-def: $sgpr10
	s_and_saveexec_b64 s[8:9], vcc
; %bb.3378:
	s_mov_b32 s10, 0x7f800001
	s_xor_b64 s[4:5], exec, -1
; %bb.3379:
	s_or_b64 exec, exec, s[8:9]
	s_and_b64 s[4:5], s[4:5], exec
                                        ; implicit-def: $vgpr14
	s_or_saveexec_b64 s[6:7], s[6:7]
	v_mov_b32_e32 v10, s10
	s_xor_b64 exec, exec, s[6:7]
	s_cbranch_execz .LBB41_1330
.LBB41_3380:
	v_cmp_ne_u16_e32 vcc, 0, v14
	s_andn2_b64 s[4:5], s[4:5], exec
	s_and_b64 s[8:9], vcc, exec
	v_mov_b32_e32 v10, 0
	s_or_b64 s[4:5], s[4:5], s[8:9]
	s_or_b64 exec, exec, s[6:7]
	s_and_saveexec_b64 s[6:7], s[4:5]
	s_cbranch_execnz .LBB41_1331
	s_branch .LBB41_1332
.LBB41_3381:
	s_movk_i32 s4, 0x80
	v_cmp_eq_u16_e32 vcc, s4, v14
	s_mov_b64 s[4:5], -1
                                        ; implicit-def: $sgpr10
	s_and_saveexec_b64 s[8:9], vcc
; %bb.3382:
	s_mov_b32 s10, 0x7f800001
	s_xor_b64 s[4:5], exec, -1
; %bb.3383:
	s_or_b64 exec, exec, s[8:9]
	s_and_b64 s[4:5], s[4:5], exec
                                        ; implicit-def: $vgpr14
	s_or_saveexec_b64 s[6:7], s[6:7]
	v_mov_b32_e32 v20, s10
	s_xor_b64 exec, exec, s[6:7]
	s_cbranch_execz .LBB41_1334
.LBB41_3384:
	v_cmp_ne_u16_e32 vcc, 0, v14
	s_andn2_b64 s[4:5], s[4:5], exec
	s_and_b64 s[8:9], vcc, exec
	v_mov_b32_e32 v20, 0
	s_or_b64 s[4:5], s[4:5], s[8:9]
	s_or_b64 exec, exec, s[6:7]
	s_and_saveexec_b64 s[6:7], s[4:5]
	s_cbranch_execnz .LBB41_1335
	s_branch .LBB41_1336
.LBB41_3385:
	s_movk_i32 s4, 0x80
	v_cmp_eq_u16_sdwa s[12:13], v15, s4 src0_sel:BYTE_3 src1_sel:DWORD
	s_mov_b64 s[4:5], -1
                                        ; implicit-def: $sgpr10
	s_and_saveexec_b64 s[8:9], s[12:13]
; %bb.3386:
	s_mov_b32 s10, 0x7f800001
	s_xor_b64 s[4:5], exec, -1
; %bb.3387:
	s_or_b64 exec, exec, s[8:9]
	s_and_b64 s[4:5], s[4:5], exec
	s_or_saveexec_b64 s[6:7], s[6:7]
	v_mov_b32_e32 v10, s10
	s_xor_b64 exec, exec, s[6:7]
	s_cbranch_execz .LBB41_1338
.LBB41_3388:
	v_mov_b32_e32 v10, 0
	v_cmp_ne_u16_sdwa s[8:9], v15, v10 src0_sel:BYTE_3 src1_sel:DWORD
	s_andn2_b64 s[4:5], s[4:5], exec
	s_and_b64 s[8:9], s[8:9], exec
	s_or_b64 s[4:5], s[4:5], s[8:9]
	s_or_b64 exec, exec, s[6:7]
	s_and_saveexec_b64 s[6:7], s[4:5]
	s_cbranch_execnz .LBB41_1339
	s_branch .LBB41_1340
.LBB41_3389:
	s_movk_i32 s4, 0x80
	v_cmp_eq_u16_sdwa s[12:13], v11, s4 src0_sel:BYTE_3 src1_sel:DWORD
	s_mov_b64 s[4:5], -1
                                        ; implicit-def: $sgpr10
	s_and_saveexec_b64 s[8:9], s[12:13]
; %bb.3390:
	s_mov_b32 s10, 0x7f800001
	s_xor_b64 s[4:5], exec, -1
; %bb.3391:
	s_or_b64 exec, exec, s[8:9]
	s_and_b64 s[4:5], s[4:5], exec
	s_or_saveexec_b64 s[6:7], s[6:7]
	v_mov_b32_e32 v14, s10
	s_xor_b64 exec, exec, s[6:7]
	s_cbranch_execz .LBB41_1342
.LBB41_3392:
	v_mov_b32_e32 v14, 0
	v_cmp_ne_u16_sdwa s[8:9], v11, v14 src0_sel:BYTE_3 src1_sel:DWORD
	s_andn2_b64 s[4:5], s[4:5], exec
	s_and_b64 s[8:9], s[8:9], exec
	s_or_b64 s[4:5], s[4:5], s[8:9]
	s_or_b64 exec, exec, s[6:7]
	s_and_saveexec_b64 s[6:7], s[4:5]
	s_cbranch_execnz .LBB41_1343
	s_branch .LBB41_1344
.LBB41_3393:
	s_movk_i32 s4, 0x80
	v_cmp_eq_u16_sdwa s[12:13], v16, s4 src0_sel:BYTE_0 src1_sel:DWORD
	s_mov_b64 s[4:5], -1
                                        ; implicit-def: $sgpr10
	s_and_saveexec_b64 s[8:9], s[12:13]
; %bb.3394:
	s_mov_b32 s10, 0x7f800001
	s_xor_b64 s[4:5], exec, -1
; %bb.3395:
	s_or_b64 exec, exec, s[8:9]
	s_and_b64 s[4:5], s[4:5], exec
	s_or_saveexec_b64 s[6:7], s[6:7]
	v_mov_b32_e32 v10, s10
	s_xor_b64 exec, exec, s[6:7]
	s_cbranch_execz .LBB41_1346
.LBB41_3396:
	v_mov_b32_e32 v10, 0
	v_cmp_ne_u16_sdwa s[8:9], v16, v10 src0_sel:BYTE_0 src1_sel:DWORD
	s_andn2_b64 s[4:5], s[4:5], exec
	s_and_b64 s[8:9], s[8:9], exec
	s_or_b64 s[4:5], s[4:5], s[8:9]
	s_or_b64 exec, exec, s[6:7]
	s_and_saveexec_b64 s[6:7], s[4:5]
	s_cbranch_execnz .LBB41_1347
	s_branch .LBB41_1348
.LBB41_3397:
	s_movk_i32 s4, 0x80
	v_cmp_eq_u16_sdwa s[12:13], v12, s4 src0_sel:BYTE_0 src1_sel:DWORD
	s_mov_b64 s[4:5], -1
                                        ; implicit-def: $sgpr10
	s_and_saveexec_b64 s[8:9], s[12:13]
; %bb.3398:
	s_mov_b32 s10, 0x7f800001
	s_xor_b64 s[4:5], exec, -1
; %bb.3399:
	s_or_b64 exec, exec, s[8:9]
	s_and_b64 s[4:5], s[4:5], exec
	s_or_saveexec_b64 s[6:7], s[6:7]
	v_mov_b32_e32 v11, s10
	s_xor_b64 exec, exec, s[6:7]
	s_cbranch_execz .LBB41_1350
.LBB41_3400:
	v_mov_b32_e32 v11, 0
	v_cmp_ne_u16_sdwa s[8:9], v12, v11 src0_sel:BYTE_0 src1_sel:DWORD
	s_andn2_b64 s[4:5], s[4:5], exec
	s_and_b64 s[8:9], s[8:9], exec
	s_or_b64 s[4:5], s[4:5], s[8:9]
	s_or_b64 exec, exec, s[6:7]
	s_and_saveexec_b64 s[6:7], s[4:5]
	s_cbranch_execnz .LBB41_1351
	s_branch .LBB41_1352
.LBB41_3401:
	s_movk_i32 s4, 0x80
	v_cmp_eq_u16_sdwa s[12:13], v11, s4 src0_sel:BYTE_0 src1_sel:DWORD
	s_mov_b64 s[4:5], -1
                                        ; implicit-def: $sgpr10
	s_and_saveexec_b64 s[8:9], s[12:13]
; %bb.3402:
	s_mov_b32 s10, 0x7f800001
	s_xor_b64 s[4:5], exec, -1
; %bb.3403:
	s_or_b64 exec, exec, s[8:9]
	s_and_b64 s[4:5], s[4:5], exec
	s_or_saveexec_b64 s[6:7], s[6:7]
	v_mov_b32_e32 v10, s10
	s_xor_b64 exec, exec, s[6:7]
	s_cbranch_execz .LBB41_1354
.LBB41_3404:
	v_mov_b32_e32 v10, 0
	v_cmp_ne_u16_sdwa s[8:9], v11, v10 src0_sel:BYTE_0 src1_sel:DWORD
	s_andn2_b64 s[4:5], s[4:5], exec
	s_and_b64 s[8:9], s[8:9], exec
	s_or_b64 s[4:5], s[4:5], s[8:9]
	s_or_b64 exec, exec, s[6:7]
	s_and_saveexec_b64 s[6:7], s[4:5]
	s_cbranch_execnz .LBB41_1355
	s_branch .LBB41_1356
.LBB41_3405:
	s_movk_i32 s4, 0x80
	v_cmp_eq_u16_sdwa s[12:13], v11, s4 src0_sel:BYTE_0 src1_sel:DWORD
	s_mov_b64 s[4:5], -1
                                        ; implicit-def: $sgpr10
	s_and_saveexec_b64 s[8:9], s[12:13]
; %bb.3406:
	s_mov_b32 s10, 0x7f800001
	s_xor_b64 s[4:5], exec, -1
; %bb.3407:
	s_or_b64 exec, exec, s[8:9]
	s_and_b64 s[4:5], s[4:5], exec
	s_or_saveexec_b64 s[6:7], s[6:7]
	v_mov_b32_e32 v14, s10
	s_xor_b64 exec, exec, s[6:7]
	s_cbranch_execz .LBB41_1358
.LBB41_3408:
	v_mov_b32_e32 v14, 0
	v_cmp_ne_u16_sdwa s[8:9], v11, v14 src0_sel:BYTE_0 src1_sel:DWORD
	s_andn2_b64 s[4:5], s[4:5], exec
	s_and_b64 s[8:9], s[8:9], exec
	s_or_b64 s[4:5], s[4:5], s[8:9]
	s_or_b64 exec, exec, s[6:7]
	s_and_saveexec_b64 s[6:7], s[4:5]
	s_cbranch_execnz .LBB41_1359
	s_branch .LBB41_1360
.LBB41_3409:
	s_movk_i32 s4, 0x80
	v_cmp_eq_u16_e32 vcc, s4, v11
	s_mov_b64 s[4:5], -1
                                        ; implicit-def: $sgpr10
	s_and_saveexec_b64 s[8:9], vcc
; %bb.3410:
	s_mov_b32 s10, 0x7f800001
	s_xor_b64 s[4:5], exec, -1
; %bb.3411:
	s_or_b64 exec, exec, s[8:9]
	s_and_b64 s[4:5], s[4:5], exec
                                        ; implicit-def: $vgpr11
	s_or_saveexec_b64 s[6:7], s[6:7]
	v_mov_b32_e32 v10, s10
	s_xor_b64 exec, exec, s[6:7]
	s_cbranch_execz .LBB41_1362
.LBB41_3412:
	v_cmp_ne_u16_e32 vcc, 0, v11
	s_andn2_b64 s[4:5], s[4:5], exec
	s_and_b64 s[8:9], vcc, exec
	v_mov_b32_e32 v10, 0
	s_or_b64 s[4:5], s[4:5], s[8:9]
	s_or_b64 exec, exec, s[6:7]
	s_and_saveexec_b64 s[6:7], s[4:5]
	s_cbranch_execnz .LBB41_1363
	s_branch .LBB41_1364
.LBB41_3413:
	s_movk_i32 s4, 0x80
	v_cmp_eq_u16_e32 vcc, s4, v11
	s_mov_b64 s[4:5], -1
                                        ; implicit-def: $sgpr10
	s_and_saveexec_b64 s[8:9], vcc
; %bb.3414:
	s_mov_b32 s10, 0x7f800001
	s_xor_b64 s[4:5], exec, -1
; %bb.3415:
	s_or_b64 exec, exec, s[8:9]
	s_and_b64 s[4:5], s[4:5], exec
                                        ; implicit-def: $vgpr11
	s_or_saveexec_b64 s[6:7], s[6:7]
	v_mov_b32_e32 v14, s10
	s_xor_b64 exec, exec, s[6:7]
	s_cbranch_execz .LBB41_1366
.LBB41_3416:
	v_cmp_ne_u16_e32 vcc, 0, v11
	s_andn2_b64 s[4:5], s[4:5], exec
	s_and_b64 s[8:9], vcc, exec
	v_mov_b32_e32 v14, 0
	s_or_b64 s[4:5], s[4:5], s[8:9]
	s_or_b64 exec, exec, s[6:7]
	s_and_saveexec_b64 s[6:7], s[4:5]
	s_cbranch_execnz .LBB41_1367
	s_branch .LBB41_1368
.LBB41_3417:
	s_movk_i32 s4, 0x80
	v_cmp_eq_u16_sdwa s[12:13], v16, s4 src0_sel:BYTE_3 src1_sel:DWORD
	s_mov_b64 s[4:5], -1
                                        ; implicit-def: $sgpr10
	s_and_saveexec_b64 s[8:9], s[12:13]
; %bb.3418:
	s_mov_b32 s10, 0x7f800001
	s_xor_b64 s[4:5], exec, -1
; %bb.3419:
	s_or_b64 exec, exec, s[8:9]
	s_and_b64 s[4:5], s[4:5], exec
	s_or_saveexec_b64 s[6:7], s[6:7]
	v_mov_b32_e32 v10, s10
	s_xor_b64 exec, exec, s[6:7]
	s_cbranch_execz .LBB41_1370
.LBB41_3420:
	v_mov_b32_e32 v10, 0
	v_cmp_ne_u16_sdwa s[8:9], v16, v10 src0_sel:BYTE_3 src1_sel:DWORD
	s_andn2_b64 s[4:5], s[4:5], exec
	s_and_b64 s[8:9], s[8:9], exec
	s_or_b64 s[4:5], s[4:5], s[8:9]
	s_or_b64 exec, exec, s[6:7]
	s_and_saveexec_b64 s[6:7], s[4:5]
	s_cbranch_execnz .LBB41_1371
	s_branch .LBB41_1372
.LBB41_3421:
	s_movk_i32 s4, 0x80
	v_cmp_eq_u16_sdwa s[12:13], v12, s4 src0_sel:BYTE_3 src1_sel:DWORD
	s_mov_b64 s[4:5], -1
                                        ; implicit-def: $sgpr10
	s_and_saveexec_b64 s[8:9], s[12:13]
; %bb.3422:
	s_mov_b32 s10, 0x7f800001
	s_xor_b64 s[4:5], exec, -1
; %bb.3423:
	s_or_b64 exec, exec, s[8:9]
	s_and_b64 s[4:5], s[4:5], exec
	s_or_saveexec_b64 s[6:7], s[6:7]
	v_mov_b32_e32 v11, s10
	s_xor_b64 exec, exec, s[6:7]
	s_cbranch_execz .LBB41_1374
.LBB41_3424:
	v_mov_b32_e32 v11, 0
	v_cmp_ne_u16_sdwa s[8:9], v12, v11 src0_sel:BYTE_3 src1_sel:DWORD
	s_andn2_b64 s[4:5], s[4:5], exec
	s_and_b64 s[8:9], s[8:9], exec
	s_or_b64 s[4:5], s[4:5], s[8:9]
	s_or_b64 exec, exec, s[6:7]
	s_and_saveexec_b64 s[6:7], s[4:5]
	s_cbranch_execnz .LBB41_1375
	s_branch .LBB41_1376
.LBB41_3425:
	s_movk_i32 s4, 0x80
	v_cmp_eq_u16_sdwa s[12:13], v17, s4 src0_sel:BYTE_0 src1_sel:DWORD
	s_mov_b64 s[4:5], -1
                                        ; implicit-def: $sgpr10
	s_and_saveexec_b64 s[8:9], s[12:13]
; %bb.3426:
	s_mov_b32 s10, 0x7f800001
	s_xor_b64 s[4:5], exec, -1
; %bb.3427:
	s_or_b64 exec, exec, s[8:9]
	s_and_b64 s[4:5], s[4:5], exec
	s_or_saveexec_b64 s[6:7], s[6:7]
	v_mov_b32_e32 v10, s10
	s_xor_b64 exec, exec, s[6:7]
	s_cbranch_execz .LBB41_1378
.LBB41_3428:
	v_mov_b32_e32 v10, 0
	v_cmp_ne_u16_sdwa s[8:9], v17, v10 src0_sel:BYTE_0 src1_sel:DWORD
	s_andn2_b64 s[4:5], s[4:5], exec
	s_and_b64 s[8:9], s[8:9], exec
	s_or_b64 s[4:5], s[4:5], s[8:9]
	s_or_b64 exec, exec, s[6:7]
	s_and_saveexec_b64 s[6:7], s[4:5]
	s_cbranch_execnz .LBB41_1379
	s_branch .LBB41_1380
.LBB41_3429:
	s_movk_i32 s4, 0x80
	v_cmp_eq_u16_sdwa s[12:13], v13, s4 src0_sel:BYTE_0 src1_sel:DWORD
	s_mov_b64 s[4:5], -1
                                        ; implicit-def: $sgpr10
	s_and_saveexec_b64 s[8:9], s[12:13]
; %bb.3430:
	s_mov_b32 s10, 0x7f800001
	s_xor_b64 s[4:5], exec, -1
; %bb.3431:
	s_or_b64 exec, exec, s[8:9]
	s_and_b64 s[4:5], s[4:5], exec
	s_or_saveexec_b64 s[6:7], s[6:7]
	v_mov_b32_e32 v11, s10
	s_xor_b64 exec, exec, s[6:7]
	s_cbranch_execz .LBB41_1382
.LBB41_3432:
	v_mov_b32_e32 v11, 0
	v_cmp_ne_u16_sdwa s[8:9], v13, v11 src0_sel:BYTE_0 src1_sel:DWORD
	s_andn2_b64 s[4:5], s[4:5], exec
	s_and_b64 s[8:9], s[8:9], exec
	s_or_b64 s[4:5], s[4:5], s[8:9]
	s_or_b64 exec, exec, s[6:7]
	s_and_saveexec_b64 s[6:7], s[4:5]
	s_cbranch_execnz .LBB41_1383
	s_branch .LBB41_1384
.LBB41_3433:
	s_movk_i32 s4, 0x80
	v_cmp_eq_u16_sdwa s[12:13], v11, s4 src0_sel:BYTE_0 src1_sel:DWORD
	s_mov_b64 s[4:5], -1
                                        ; implicit-def: $sgpr10
	s_and_saveexec_b64 s[8:9], s[12:13]
; %bb.3434:
	s_mov_b32 s10, 0x7f800001
	s_xor_b64 s[4:5], exec, -1
; %bb.3435:
	s_or_b64 exec, exec, s[8:9]
	s_and_b64 s[4:5], s[4:5], exec
	s_or_saveexec_b64 s[6:7], s[6:7]
	v_mov_b32_e32 v10, s10
	s_xor_b64 exec, exec, s[6:7]
	s_cbranch_execz .LBB41_1386
.LBB41_3436:
	v_mov_b32_e32 v10, 0
	v_cmp_ne_u16_sdwa s[8:9], v11, v10 src0_sel:BYTE_0 src1_sel:DWORD
	s_andn2_b64 s[4:5], s[4:5], exec
	s_and_b64 s[8:9], s[8:9], exec
	s_or_b64 s[4:5], s[4:5], s[8:9]
	s_or_b64 exec, exec, s[6:7]
	s_and_saveexec_b64 s[6:7], s[4:5]
	s_cbranch_execnz .LBB41_1387
	s_branch .LBB41_1388
.LBB41_3437:
	s_movk_i32 s4, 0x80
	v_cmp_eq_u16_sdwa s[12:13], v11, s4 src0_sel:BYTE_0 src1_sel:DWORD
	s_mov_b64 s[4:5], -1
                                        ; implicit-def: $sgpr10
	s_and_saveexec_b64 s[8:9], s[12:13]
; %bb.3438:
	s_mov_b32 s10, 0x7f800001
	s_xor_b64 s[4:5], exec, -1
; %bb.3439:
	s_or_b64 exec, exec, s[8:9]
	s_and_b64 s[4:5], s[4:5], exec
	s_or_saveexec_b64 s[6:7], s[6:7]
	v_mov_b32_e32 v12, s10
	s_xor_b64 exec, exec, s[6:7]
	s_cbranch_execz .LBB41_1390
.LBB41_3440:
	v_mov_b32_e32 v12, 0
	v_cmp_ne_u16_sdwa s[8:9], v11, v12 src0_sel:BYTE_0 src1_sel:DWORD
	s_andn2_b64 s[4:5], s[4:5], exec
	s_and_b64 s[8:9], s[8:9], exec
	s_or_b64 s[4:5], s[4:5], s[8:9]
	s_or_b64 exec, exec, s[6:7]
	s_and_saveexec_b64 s[6:7], s[4:5]
	s_cbranch_execnz .LBB41_1391
	s_branch .LBB41_1392
.LBB41_3441:
	s_movk_i32 s4, 0x80
	v_cmp_eq_u16_e32 vcc, s4, v11
	s_mov_b64 s[4:5], -1
                                        ; implicit-def: $sgpr10
	s_and_saveexec_b64 s[8:9], vcc
; %bb.3442:
	s_mov_b32 s10, 0x7f800001
	s_xor_b64 s[4:5], exec, -1
; %bb.3443:
	s_or_b64 exec, exec, s[8:9]
	s_and_b64 s[4:5], s[4:5], exec
                                        ; implicit-def: $vgpr11
	s_or_saveexec_b64 s[6:7], s[6:7]
	v_mov_b32_e32 v10, s10
	s_xor_b64 exec, exec, s[6:7]
	s_cbranch_execz .LBB41_1394
.LBB41_3444:
	v_cmp_ne_u16_e32 vcc, 0, v11
	s_andn2_b64 s[4:5], s[4:5], exec
	s_and_b64 s[8:9], vcc, exec
	v_mov_b32_e32 v10, 0
	s_or_b64 s[4:5], s[4:5], s[8:9]
	s_or_b64 exec, exec, s[6:7]
	s_and_saveexec_b64 s[6:7], s[4:5]
	s_cbranch_execnz .LBB41_1395
	s_branch .LBB41_1396
.LBB41_3445:
	s_movk_i32 s4, 0x80
	v_cmp_eq_u16_e32 vcc, s4, v11
	s_mov_b64 s[4:5], -1
                                        ; implicit-def: $sgpr10
	s_and_saveexec_b64 s[8:9], vcc
; %bb.3446:
	s_mov_b32 s10, 0x7f800001
	s_xor_b64 s[4:5], exec, -1
; %bb.3447:
	s_or_b64 exec, exec, s[8:9]
	s_and_b64 s[4:5], s[4:5], exec
                                        ; implicit-def: $vgpr11
	s_or_saveexec_b64 s[6:7], s[6:7]
	v_mov_b32_e32 v12, s10
	s_xor_b64 exec, exec, s[6:7]
	s_cbranch_execz .LBB41_1398
.LBB41_3448:
	v_cmp_ne_u16_e32 vcc, 0, v11
	s_andn2_b64 s[4:5], s[4:5], exec
	s_and_b64 s[8:9], vcc, exec
	v_mov_b32_e32 v12, 0
	s_or_b64 s[4:5], s[4:5], s[8:9]
	s_or_b64 exec, exec, s[6:7]
	s_and_saveexec_b64 s[6:7], s[4:5]
	s_cbranch_execnz .LBB41_1399
	s_branch .LBB41_1400
.LBB41_3449:
	s_movk_i32 s4, 0x80
	v_cmp_eq_u16_sdwa s[12:13], v17, s4 src0_sel:BYTE_3 src1_sel:DWORD
	s_mov_b64 s[4:5], -1
                                        ; implicit-def: $sgpr10
	s_and_saveexec_b64 s[8:9], s[12:13]
; %bb.3450:
	s_mov_b32 s10, 0x7f800001
	s_xor_b64 s[4:5], exec, -1
; %bb.3451:
	s_or_b64 exec, exec, s[8:9]
	s_and_b64 s[4:5], s[4:5], exec
	s_or_saveexec_b64 s[6:7], s[6:7]
	v_mov_b32_e32 v10, s10
	s_xor_b64 exec, exec, s[6:7]
	s_cbranch_execz .LBB41_1402
.LBB41_3452:
	v_mov_b32_e32 v10, 0
	v_cmp_ne_u16_sdwa s[8:9], v17, v10 src0_sel:BYTE_3 src1_sel:DWORD
	s_andn2_b64 s[4:5], s[4:5], exec
	s_and_b64 s[8:9], s[8:9], exec
	s_or_b64 s[4:5], s[4:5], s[8:9]
	s_or_b64 exec, exec, s[6:7]
	s_and_saveexec_b64 s[6:7], s[4:5]
	s_cbranch_execnz .LBB41_1403
	s_branch .LBB41_1404
.LBB41_3453:
	s_movk_i32 s4, 0x80
	v_cmp_eq_u16_sdwa s[12:13], v13, s4 src0_sel:BYTE_3 src1_sel:DWORD
	s_mov_b64 s[4:5], -1
                                        ; implicit-def: $sgpr10
	s_and_saveexec_b64 s[8:9], s[12:13]
; %bb.3454:
	s_mov_b32 s10, 0x7f800001
	s_xor_b64 s[4:5], exec, -1
; %bb.3455:
	s_or_b64 exec, exec, s[8:9]
	s_and_b64 s[4:5], s[4:5], exec
	s_or_saveexec_b64 s[6:7], s[6:7]
	v_mov_b32_e32 v11, s10
	s_xor_b64 exec, exec, s[6:7]
	s_cbranch_execz .LBB41_1406
.LBB41_3456:
	v_mov_b32_e32 v11, 0
	v_cmp_ne_u16_sdwa s[8:9], v13, v11 src0_sel:BYTE_3 src1_sel:DWORD
	s_andn2_b64 s[4:5], s[4:5], exec
	s_and_b64 s[8:9], s[8:9], exec
	s_or_b64 s[4:5], s[4:5], s[8:9]
	s_or_b64 exec, exec, s[6:7]
	s_and_saveexec_b64 s[6:7], s[4:5]
	s_cbranch_execnz .LBB41_1407
	s_branch .LBB41_1408
.LBB41_3457:
	s_movk_i32 s4, 0x80
	v_cmp_eq_u16_sdwa s[12:13], v6, s4 src0_sel:BYTE_0 src1_sel:DWORD
	s_mov_b64 s[4:5], -1
                                        ; implicit-def: $sgpr10
	s_and_saveexec_b64 s[8:9], s[12:13]
; %bb.3458:
	s_mov_b32 s10, 0x7f800001
	s_xor_b64 s[4:5], exec, -1
; %bb.3459:
	s_or_b64 exec, exec, s[8:9]
	s_and_b64 s[4:5], s[4:5], exec
	s_or_saveexec_b64 s[6:7], s[6:7]
	v_mov_b32_e32 v10, s10
	s_xor_b64 exec, exec, s[6:7]
	s_cbranch_execz .LBB41_1410
.LBB41_3460:
	v_mov_b32_e32 v10, 0
	v_cmp_ne_u16_sdwa s[8:9], v6, v10 src0_sel:BYTE_0 src1_sel:DWORD
	s_andn2_b64 s[4:5], s[4:5], exec
	s_and_b64 s[8:9], s[8:9], exec
	s_or_b64 s[4:5], s[4:5], s[8:9]
	s_or_b64 exec, exec, s[6:7]
	s_and_saveexec_b64 s[6:7], s[4:5]
	s_cbranch_execnz .LBB41_1411
	s_branch .LBB41_1412
.LBB41_3461:
	s_movk_i32 s4, 0x80
	v_cmp_eq_u16_sdwa s[12:13], v2, s4 src0_sel:BYTE_0 src1_sel:DWORD
	s_mov_b64 s[4:5], -1
                                        ; implicit-def: $sgpr10
	s_and_saveexec_b64 s[8:9], s[12:13]
; %bb.3462:
	s_mov_b32 s10, 0x7f800001
	s_xor_b64 s[4:5], exec, -1
; %bb.3463:
	s_or_b64 exec, exec, s[8:9]
	s_and_b64 s[4:5], s[4:5], exec
	s_or_saveexec_b64 s[6:7], s[6:7]
	v_mov_b32_e32 v11, s10
	s_xor_b64 exec, exec, s[6:7]
	s_cbranch_execz .LBB41_1414
.LBB41_3464:
	v_mov_b32_e32 v11, 0
	v_cmp_ne_u16_sdwa s[8:9], v2, v11 src0_sel:BYTE_0 src1_sel:DWORD
	s_andn2_b64 s[4:5], s[4:5], exec
	s_and_b64 s[8:9], s[8:9], exec
	s_or_b64 s[4:5], s[4:5], s[8:9]
	s_or_b64 exec, exec, s[6:7]
	s_and_saveexec_b64 s[6:7], s[4:5]
	s_cbranch_execnz .LBB41_1415
	s_branch .LBB41_1416
.LBB41_3465:
	s_movk_i32 s4, 0x80
	v_cmp_eq_u16_sdwa s[12:13], v11, s4 src0_sel:BYTE_0 src1_sel:DWORD
	s_mov_b64 s[4:5], -1
                                        ; implicit-def: $sgpr10
	s_and_saveexec_b64 s[8:9], s[12:13]
; %bb.3466:
	s_mov_b32 s10, 0x7f800001
	s_xor_b64 s[4:5], exec, -1
; %bb.3467:
	s_or_b64 exec, exec, s[8:9]
	s_and_b64 s[4:5], s[4:5], exec
	s_or_saveexec_b64 s[6:7], s[6:7]
	v_mov_b32_e32 v10, s10
	s_xor_b64 exec, exec, s[6:7]
	s_cbranch_execz .LBB41_1418
.LBB41_3468:
	v_mov_b32_e32 v10, 0
	v_cmp_ne_u16_sdwa s[8:9], v11, v10 src0_sel:BYTE_0 src1_sel:DWORD
	s_andn2_b64 s[4:5], s[4:5], exec
	s_and_b64 s[8:9], s[8:9], exec
	s_or_b64 s[4:5], s[4:5], s[8:9]
	s_or_b64 exec, exec, s[6:7]
	s_and_saveexec_b64 s[6:7], s[4:5]
	s_cbranch_execnz .LBB41_1419
	s_branch .LBB41_1420
.LBB41_3469:
	s_movk_i32 s4, 0x80
	v_cmp_eq_u16_sdwa s[12:13], v11, s4 src0_sel:BYTE_0 src1_sel:DWORD
	s_mov_b64 s[4:5], -1
                                        ; implicit-def: $sgpr10
	s_and_saveexec_b64 s[8:9], s[12:13]
; %bb.3470:
	s_mov_b32 s10, 0x7f800001
	s_xor_b64 s[4:5], exec, -1
; %bb.3471:
	s_or_b64 exec, exec, s[8:9]
	s_and_b64 s[4:5], s[4:5], exec
	s_or_saveexec_b64 s[6:7], s[6:7]
	v_mov_b32_e32 v12, s10
	s_xor_b64 exec, exec, s[6:7]
	s_cbranch_execz .LBB41_1422
.LBB41_3472:
	v_mov_b32_e32 v12, 0
	v_cmp_ne_u16_sdwa s[8:9], v11, v12 src0_sel:BYTE_0 src1_sel:DWORD
	s_andn2_b64 s[4:5], s[4:5], exec
	s_and_b64 s[8:9], s[8:9], exec
	s_or_b64 s[4:5], s[4:5], s[8:9]
	s_or_b64 exec, exec, s[6:7]
	s_and_saveexec_b64 s[6:7], s[4:5]
	s_cbranch_execnz .LBB41_1423
	s_branch .LBB41_1424
.LBB41_3473:
	s_movk_i32 s4, 0x80
	v_cmp_eq_u16_e32 vcc, s4, v11
	s_mov_b64 s[4:5], -1
                                        ; implicit-def: $sgpr10
	s_and_saveexec_b64 s[8:9], vcc
; %bb.3474:
	s_mov_b32 s10, 0x7f800001
	s_xor_b64 s[4:5], exec, -1
; %bb.3475:
	s_or_b64 exec, exec, s[8:9]
	s_and_b64 s[4:5], s[4:5], exec
                                        ; implicit-def: $vgpr11
	s_or_saveexec_b64 s[6:7], s[6:7]
	v_mov_b32_e32 v10, s10
	s_xor_b64 exec, exec, s[6:7]
	s_cbranch_execz .LBB41_1426
.LBB41_3476:
	v_cmp_ne_u16_e32 vcc, 0, v11
	s_andn2_b64 s[4:5], s[4:5], exec
	s_and_b64 s[8:9], vcc, exec
	v_mov_b32_e32 v10, 0
	s_or_b64 s[4:5], s[4:5], s[8:9]
	s_or_b64 exec, exec, s[6:7]
	s_and_saveexec_b64 s[6:7], s[4:5]
	s_cbranch_execnz .LBB41_1427
	s_branch .LBB41_1428
.LBB41_3477:
	s_movk_i32 s4, 0x80
	v_cmp_eq_u16_e32 vcc, s4, v11
	s_mov_b64 s[4:5], -1
                                        ; implicit-def: $sgpr10
	s_and_saveexec_b64 s[8:9], vcc
; %bb.3478:
	s_mov_b32 s10, 0x7f800001
	s_xor_b64 s[4:5], exec, -1
; %bb.3479:
	s_or_b64 exec, exec, s[8:9]
	s_and_b64 s[4:5], s[4:5], exec
                                        ; implicit-def: $vgpr11
	s_or_saveexec_b64 s[6:7], s[6:7]
	v_mov_b32_e32 v12, s10
	s_xor_b64 exec, exec, s[6:7]
	s_cbranch_execz .LBB41_1430
.LBB41_3480:
	v_cmp_ne_u16_e32 vcc, 0, v11
	s_andn2_b64 s[4:5], s[4:5], exec
	s_and_b64 s[8:9], vcc, exec
	v_mov_b32_e32 v12, 0
	s_or_b64 s[4:5], s[4:5], s[8:9]
	s_or_b64 exec, exec, s[6:7]
	s_and_saveexec_b64 s[6:7], s[4:5]
	s_cbranch_execnz .LBB41_1431
	s_branch .LBB41_1432
.LBB41_3481:
	s_movk_i32 s4, 0x80
	v_cmp_eq_u16_sdwa s[12:13], v6, s4 src0_sel:BYTE_3 src1_sel:DWORD
	s_mov_b64 s[4:5], -1
                                        ; implicit-def: $sgpr10
	s_and_saveexec_b64 s[8:9], s[12:13]
; %bb.3482:
	s_mov_b32 s10, 0x7f800001
	s_xor_b64 s[4:5], exec, -1
; %bb.3483:
	s_or_b64 exec, exec, s[8:9]
	s_and_b64 s[4:5], s[4:5], exec
	s_or_saveexec_b64 s[6:7], s[6:7]
	v_mov_b32_e32 v10, s10
	s_xor_b64 exec, exec, s[6:7]
	s_cbranch_execz .LBB41_1434
.LBB41_3484:
	v_mov_b32_e32 v10, 0
	v_cmp_ne_u16_sdwa s[8:9], v6, v10 src0_sel:BYTE_3 src1_sel:DWORD
	s_andn2_b64 s[4:5], s[4:5], exec
	s_and_b64 s[8:9], s[8:9], exec
	s_or_b64 s[4:5], s[4:5], s[8:9]
	s_or_b64 exec, exec, s[6:7]
	s_and_saveexec_b64 s[6:7], s[4:5]
	s_cbranch_execnz .LBB41_1435
	s_branch .LBB41_1436
.LBB41_3485:
	s_movk_i32 s4, 0x80
	v_cmp_eq_u16_sdwa s[12:13], v2, s4 src0_sel:BYTE_3 src1_sel:DWORD
	s_mov_b64 s[4:5], -1
                                        ; implicit-def: $sgpr10
	s_and_saveexec_b64 s[8:9], s[12:13]
; %bb.3486:
	s_mov_b32 s10, 0x7f800001
	s_xor_b64 s[4:5], exec, -1
; %bb.3487:
	s_or_b64 exec, exec, s[8:9]
	s_and_b64 s[4:5], s[4:5], exec
	s_or_saveexec_b64 s[6:7], s[6:7]
	v_mov_b32_e32 v6, s10
	s_xor_b64 exec, exec, s[6:7]
	s_cbranch_execz .LBB41_1438
.LBB41_3488:
	v_mov_b32_e32 v6, 0
	v_cmp_ne_u16_sdwa s[8:9], v2, v6 src0_sel:BYTE_3 src1_sel:DWORD
	s_andn2_b64 s[4:5], s[4:5], exec
	s_and_b64 s[8:9], s[8:9], exec
	s_or_b64 s[4:5], s[4:5], s[8:9]
	s_or_b64 exec, exec, s[6:7]
	s_and_saveexec_b64 s[6:7], s[4:5]
	s_cbranch_execnz .LBB41_1439
	s_branch .LBB41_1440
.LBB41_3489:
	s_movk_i32 s4, 0x80
	v_cmp_eq_u16_sdwa s[12:13], v7, s4 src0_sel:BYTE_0 src1_sel:DWORD
	s_mov_b64 s[4:5], -1
                                        ; implicit-def: $sgpr10
	s_and_saveexec_b64 s[8:9], s[12:13]
; %bb.3490:
	s_mov_b32 s10, 0x7f800001
	s_xor_b64 s[4:5], exec, -1
; %bb.3491:
	s_or_b64 exec, exec, s[8:9]
	s_and_b64 s[4:5], s[4:5], exec
	s_or_saveexec_b64 s[6:7], s[6:7]
	v_mov_b32_e32 v2, s10
	s_xor_b64 exec, exec, s[6:7]
	s_cbranch_execz .LBB41_1442
.LBB41_3492:
	v_mov_b32_e32 v2, 0
	v_cmp_ne_u16_sdwa s[8:9], v7, v2 src0_sel:BYTE_0 src1_sel:DWORD
	s_andn2_b64 s[4:5], s[4:5], exec
	s_and_b64 s[8:9], s[8:9], exec
	s_or_b64 s[4:5], s[4:5], s[8:9]
	s_or_b64 exec, exec, s[6:7]
	s_and_saveexec_b64 s[6:7], s[4:5]
	s_cbranch_execnz .LBB41_1443
	s_branch .LBB41_1444
.LBB41_3493:
	s_movk_i32 s4, 0x80
	v_cmp_eq_u16_sdwa s[12:13], v3, s4 src0_sel:BYTE_0 src1_sel:DWORD
	s_mov_b64 s[4:5], -1
                                        ; implicit-def: $sgpr10
	s_and_saveexec_b64 s[8:9], s[12:13]
; %bb.3494:
	s_mov_b32 s10, 0x7f800001
	s_xor_b64 s[4:5], exec, -1
; %bb.3495:
	s_or_b64 exec, exec, s[8:9]
	s_and_b64 s[4:5], s[4:5], exec
	s_or_saveexec_b64 s[6:7], s[6:7]
	v_mov_b32_e32 v6, s10
	s_xor_b64 exec, exec, s[6:7]
	s_cbranch_execz .LBB41_1446
.LBB41_3496:
	v_mov_b32_e32 v6, 0
	v_cmp_ne_u16_sdwa s[8:9], v3, v6 src0_sel:BYTE_0 src1_sel:DWORD
	s_andn2_b64 s[4:5], s[4:5], exec
	s_and_b64 s[8:9], s[8:9], exec
	s_or_b64 s[4:5], s[4:5], s[8:9]
	s_or_b64 exec, exec, s[6:7]
	s_and_saveexec_b64 s[6:7], s[4:5]
	s_cbranch_execnz .LBB41_1447
	s_branch .LBB41_1448
.LBB41_3497:
	s_movk_i32 s4, 0x80
	v_cmp_eq_u16_sdwa s[12:13], v6, s4 src0_sel:BYTE_0 src1_sel:DWORD
	s_mov_b64 s[4:5], -1
                                        ; implicit-def: $sgpr10
	s_and_saveexec_b64 s[8:9], s[12:13]
; %bb.3498:
	s_mov_b32 s10, 0x7f800001
	s_xor_b64 s[4:5], exec, -1
; %bb.3499:
	s_or_b64 exec, exec, s[8:9]
	s_and_b64 s[4:5], s[4:5], exec
	s_or_saveexec_b64 s[6:7], s[6:7]
	v_mov_b32_e32 v2, s10
	s_xor_b64 exec, exec, s[6:7]
	s_cbranch_execz .LBB41_1450
.LBB41_3500:
	v_mov_b32_e32 v2, 0
	v_cmp_ne_u16_sdwa s[8:9], v6, v2 src0_sel:BYTE_0 src1_sel:DWORD
	s_andn2_b64 s[4:5], s[4:5], exec
	s_and_b64 s[8:9], s[8:9], exec
	s_or_b64 s[4:5], s[4:5], s[8:9]
	s_or_b64 exec, exec, s[6:7]
	s_and_saveexec_b64 s[6:7], s[4:5]
	s_cbranch_execnz .LBB41_1451
	s_branch .LBB41_1452
.LBB41_3501:
	s_movk_i32 s4, 0x80
	v_cmp_eq_u16_sdwa s[12:13], v6, s4 src0_sel:BYTE_0 src1_sel:DWORD
	s_mov_b64 s[4:5], -1
                                        ; implicit-def: $sgpr10
	s_and_saveexec_b64 s[8:9], s[12:13]
; %bb.3502:
	s_mov_b32 s10, 0x7f800001
	s_xor_b64 s[4:5], exec, -1
; %bb.3503:
	s_or_b64 exec, exec, s[8:9]
	s_and_b64 s[4:5], s[4:5], exec
	s_or_saveexec_b64 s[6:7], s[6:7]
	v_mov_b32_e32 v10, s10
	s_xor_b64 exec, exec, s[6:7]
	s_cbranch_execz .LBB41_1454
.LBB41_3504:
	v_mov_b32_e32 v10, 0
	v_cmp_ne_u16_sdwa s[8:9], v6, v10 src0_sel:BYTE_0 src1_sel:DWORD
	s_andn2_b64 s[4:5], s[4:5], exec
	s_and_b64 s[8:9], s[8:9], exec
	s_or_b64 s[4:5], s[4:5], s[8:9]
	s_or_b64 exec, exec, s[6:7]
	s_and_saveexec_b64 s[6:7], s[4:5]
	s_cbranch_execnz .LBB41_1455
	s_branch .LBB41_1456
.LBB41_3505:
	s_movk_i32 s4, 0x80
	v_cmp_eq_u16_e32 vcc, s4, v6
	s_mov_b64 s[4:5], -1
                                        ; implicit-def: $sgpr10
	s_and_saveexec_b64 s[8:9], vcc
; %bb.3506:
	s_mov_b32 s10, 0x7f800001
	s_xor_b64 s[4:5], exec, -1
; %bb.3507:
	s_or_b64 exec, exec, s[8:9]
	s_and_b64 s[4:5], s[4:5], exec
                                        ; implicit-def: $vgpr6
	s_or_saveexec_b64 s[6:7], s[6:7]
	v_mov_b32_e32 v2, s10
	s_xor_b64 exec, exec, s[6:7]
	s_cbranch_execz .LBB41_1458
.LBB41_3508:
	v_cmp_ne_u16_e32 vcc, 0, v6
	s_andn2_b64 s[4:5], s[4:5], exec
	s_and_b64 s[8:9], vcc, exec
	v_mov_b32_e32 v2, 0
	s_or_b64 s[4:5], s[4:5], s[8:9]
	s_or_b64 exec, exec, s[6:7]
	s_and_saveexec_b64 s[6:7], s[4:5]
	s_cbranch_execnz .LBB41_1459
	s_branch .LBB41_1460
.LBB41_3509:
	s_movk_i32 s4, 0x80
	v_cmp_eq_u16_e32 vcc, s4, v6
	s_mov_b64 s[4:5], -1
                                        ; implicit-def: $sgpr10
	s_and_saveexec_b64 s[8:9], vcc
; %bb.3510:
	s_mov_b32 s10, 0x7f800001
	s_xor_b64 s[4:5], exec, -1
; %bb.3511:
	s_or_b64 exec, exec, s[8:9]
	s_and_b64 s[4:5], s[4:5], exec
                                        ; implicit-def: $vgpr6
	s_or_saveexec_b64 s[6:7], s[6:7]
	v_mov_b32_e32 v10, s10
	s_xor_b64 exec, exec, s[6:7]
	s_cbranch_execz .LBB41_1462
.LBB41_3512:
	v_cmp_ne_u16_e32 vcc, 0, v6
	s_andn2_b64 s[4:5], s[4:5], exec
	s_and_b64 s[8:9], vcc, exec
	v_mov_b32_e32 v10, 0
	s_or_b64 s[4:5], s[4:5], s[8:9]
	s_or_b64 exec, exec, s[6:7]
	s_and_saveexec_b64 s[6:7], s[4:5]
	s_cbranch_execnz .LBB41_1463
	s_branch .LBB41_1464
.LBB41_3513:
	s_movk_i32 s4, 0x80
	v_cmp_eq_u16_sdwa s[12:13], v7, s4 src0_sel:BYTE_3 src1_sel:DWORD
	s_mov_b64 s[4:5], -1
                                        ; implicit-def: $sgpr10
	s_and_saveexec_b64 s[8:9], s[12:13]
; %bb.3514:
	s_mov_b32 s10, 0x7f800001
	s_xor_b64 s[4:5], exec, -1
; %bb.3515:
	s_or_b64 exec, exec, s[8:9]
	s_and_b64 s[4:5], s[4:5], exec
	s_or_saveexec_b64 s[6:7], s[6:7]
	v_mov_b32_e32 v2, s10
	s_xor_b64 exec, exec, s[6:7]
	s_cbranch_execz .LBB41_1466
.LBB41_3516:
	v_mov_b32_e32 v2, 0
	v_cmp_ne_u16_sdwa s[8:9], v7, v2 src0_sel:BYTE_3 src1_sel:DWORD
	s_andn2_b64 s[4:5], s[4:5], exec
	s_and_b64 s[8:9], s[8:9], exec
	s_or_b64 s[4:5], s[4:5], s[8:9]
	s_or_b64 exec, exec, s[6:7]
	s_and_saveexec_b64 s[6:7], s[4:5]
	s_cbranch_execnz .LBB41_1467
	s_branch .LBB41_1468
.LBB41_3517:
	s_movk_i32 s4, 0x80
	v_cmp_eq_u16_sdwa s[12:13], v3, s4 src0_sel:BYTE_3 src1_sel:DWORD
	s_mov_b64 s[4:5], -1
                                        ; implicit-def: $sgpr10
	s_and_saveexec_b64 s[8:9], s[12:13]
; %bb.3518:
	s_mov_b32 s10, 0x7f800001
	s_xor_b64 s[4:5], exec, -1
; %bb.3519:
	s_or_b64 exec, exec, s[8:9]
	s_and_b64 s[4:5], s[4:5], exec
	s_or_saveexec_b64 s[6:7], s[6:7]
	v_mov_b32_e32 v6, s10
	s_xor_b64 exec, exec, s[6:7]
	s_cbranch_execz .LBB41_1470
.LBB41_3520:
	v_mov_b32_e32 v6, 0
	v_cmp_ne_u16_sdwa s[8:9], v3, v6 src0_sel:BYTE_3 src1_sel:DWORD
	s_andn2_b64 s[4:5], s[4:5], exec
	s_and_b64 s[8:9], s[8:9], exec
	s_or_b64 s[4:5], s[4:5], s[8:9]
	s_or_b64 exec, exec, s[6:7]
	s_and_saveexec_b64 s[6:7], s[4:5]
	s_cbranch_execnz .LBB41_1471
	s_branch .LBB41_1472
.LBB41_3521:
	s_movk_i32 s4, 0x80
	v_cmp_eq_u16_sdwa s[12:13], v8, s4 src0_sel:BYTE_0 src1_sel:DWORD
	s_mov_b64 s[4:5], -1
                                        ; implicit-def: $sgpr10
	s_and_saveexec_b64 s[8:9], s[12:13]
; %bb.3522:
	s_mov_b32 s10, 0x7f800001
	s_xor_b64 s[4:5], exec, -1
; %bb.3523:
	s_or_b64 exec, exec, s[8:9]
	s_and_b64 s[4:5], s[4:5], exec
	s_or_saveexec_b64 s[6:7], s[6:7]
	v_mov_b32_e32 v2, s10
	s_xor_b64 exec, exec, s[6:7]
	s_cbranch_execz .LBB41_1474
.LBB41_3524:
	v_mov_b32_e32 v2, 0
	v_cmp_ne_u16_sdwa s[8:9], v8, v2 src0_sel:BYTE_0 src1_sel:DWORD
	s_andn2_b64 s[4:5], s[4:5], exec
	s_and_b64 s[8:9], s[8:9], exec
	s_or_b64 s[4:5], s[4:5], s[8:9]
	s_or_b64 exec, exec, s[6:7]
	s_and_saveexec_b64 s[6:7], s[4:5]
	s_cbranch_execnz .LBB41_1475
	s_branch .LBB41_1476
.LBB41_3525:
	s_movk_i32 s4, 0x80
	v_cmp_eq_u16_sdwa s[12:13], v4, s4 src0_sel:BYTE_0 src1_sel:DWORD
	s_mov_b64 s[4:5], -1
                                        ; implicit-def: $sgpr10
	s_and_saveexec_b64 s[8:9], s[12:13]
; %bb.3526:
	s_mov_b32 s10, 0x7f800001
	s_xor_b64 s[4:5], exec, -1
; %bb.3527:
	s_or_b64 exec, exec, s[8:9]
	s_and_b64 s[4:5], s[4:5], exec
	s_or_saveexec_b64 s[6:7], s[6:7]
	v_mov_b32_e32 v3, s10
	s_xor_b64 exec, exec, s[6:7]
	s_cbranch_execz .LBB41_1478
.LBB41_3528:
	v_mov_b32_e32 v3, 0
	v_cmp_ne_u16_sdwa s[8:9], v4, v3 src0_sel:BYTE_0 src1_sel:DWORD
	s_andn2_b64 s[4:5], s[4:5], exec
	s_and_b64 s[8:9], s[8:9], exec
	s_or_b64 s[4:5], s[4:5], s[8:9]
	s_or_b64 exec, exec, s[6:7]
	s_and_saveexec_b64 s[6:7], s[4:5]
	s_cbranch_execnz .LBB41_1479
	s_branch .LBB41_1480
.LBB41_3529:
	s_movk_i32 s4, 0x80
	v_cmp_eq_u16_sdwa s[12:13], v3, s4 src0_sel:BYTE_0 src1_sel:DWORD
	s_mov_b64 s[4:5], -1
                                        ; implicit-def: $sgpr10
	s_and_saveexec_b64 s[8:9], s[12:13]
; %bb.3530:
	s_mov_b32 s10, 0x7f800001
	s_xor_b64 s[4:5], exec, -1
; %bb.3531:
	s_or_b64 exec, exec, s[8:9]
	s_and_b64 s[4:5], s[4:5], exec
	s_or_saveexec_b64 s[6:7], s[6:7]
	v_mov_b32_e32 v2, s10
	s_xor_b64 exec, exec, s[6:7]
	s_cbranch_execz .LBB41_1482
.LBB41_3532:
	v_mov_b32_e32 v2, 0
	v_cmp_ne_u16_sdwa s[8:9], v3, v2 src0_sel:BYTE_0 src1_sel:DWORD
	s_andn2_b64 s[4:5], s[4:5], exec
	s_and_b64 s[8:9], s[8:9], exec
	s_or_b64 s[4:5], s[4:5], s[8:9]
	s_or_b64 exec, exec, s[6:7]
	s_and_saveexec_b64 s[6:7], s[4:5]
	s_cbranch_execnz .LBB41_1483
	s_branch .LBB41_1484
.LBB41_3533:
	s_movk_i32 s4, 0x80
	v_cmp_eq_u16_sdwa s[12:13], v3, s4 src0_sel:BYTE_0 src1_sel:DWORD
	s_mov_b64 s[4:5], -1
                                        ; implicit-def: $sgpr10
	s_and_saveexec_b64 s[8:9], s[12:13]
; %bb.3534:
	s_mov_b32 s10, 0x7f800001
	s_xor_b64 s[4:5], exec, -1
; %bb.3535:
	s_or_b64 exec, exec, s[8:9]
	s_and_b64 s[4:5], s[4:5], exec
	s_or_saveexec_b64 s[6:7], s[6:7]
	v_mov_b32_e32 v6, s10
	s_xor_b64 exec, exec, s[6:7]
	s_cbranch_execz .LBB41_1486
.LBB41_3536:
	v_mov_b32_e32 v6, 0
	v_cmp_ne_u16_sdwa s[8:9], v3, v6 src0_sel:BYTE_0 src1_sel:DWORD
	s_andn2_b64 s[4:5], s[4:5], exec
	s_and_b64 s[8:9], s[8:9], exec
	s_or_b64 s[4:5], s[4:5], s[8:9]
	s_or_b64 exec, exec, s[6:7]
	s_and_saveexec_b64 s[6:7], s[4:5]
	s_cbranch_execnz .LBB41_1487
	s_branch .LBB41_1488
.LBB41_3537:
	s_movk_i32 s4, 0x80
	v_cmp_eq_u16_e32 vcc, s4, v3
	s_mov_b64 s[4:5], -1
                                        ; implicit-def: $sgpr10
	s_and_saveexec_b64 s[8:9], vcc
; %bb.3538:
	s_mov_b32 s10, 0x7f800001
	s_xor_b64 s[4:5], exec, -1
; %bb.3539:
	s_or_b64 exec, exec, s[8:9]
	s_and_b64 s[4:5], s[4:5], exec
                                        ; implicit-def: $vgpr3
	s_or_saveexec_b64 s[6:7], s[6:7]
	v_mov_b32_e32 v2, s10
	s_xor_b64 exec, exec, s[6:7]
	s_cbranch_execz .LBB41_1490
.LBB41_3540:
	v_cmp_ne_u16_e32 vcc, 0, v3
	s_andn2_b64 s[4:5], s[4:5], exec
	s_and_b64 s[8:9], vcc, exec
	v_mov_b32_e32 v2, 0
	s_or_b64 s[4:5], s[4:5], s[8:9]
	s_or_b64 exec, exec, s[6:7]
	s_and_saveexec_b64 s[6:7], s[4:5]
	s_cbranch_execnz .LBB41_1491
	s_branch .LBB41_1492
.LBB41_3541:
	s_movk_i32 s4, 0x80
	v_cmp_eq_u16_e32 vcc, s4, v3
	s_mov_b64 s[4:5], -1
                                        ; implicit-def: $sgpr10
	s_and_saveexec_b64 s[8:9], vcc
; %bb.3542:
	s_mov_b32 s10, 0x7f800001
	s_xor_b64 s[4:5], exec, -1
; %bb.3543:
	s_or_b64 exec, exec, s[8:9]
	s_and_b64 s[4:5], s[4:5], exec
                                        ; implicit-def: $vgpr3
	s_or_saveexec_b64 s[6:7], s[6:7]
	v_mov_b32_e32 v6, s10
	s_xor_b64 exec, exec, s[6:7]
	s_cbranch_execz .LBB41_1494
.LBB41_3544:
	v_cmp_ne_u16_e32 vcc, 0, v3
	s_andn2_b64 s[4:5], s[4:5], exec
	s_and_b64 s[8:9], vcc, exec
	v_mov_b32_e32 v6, 0
	s_or_b64 s[4:5], s[4:5], s[8:9]
	s_or_b64 exec, exec, s[6:7]
	s_and_saveexec_b64 s[6:7], s[4:5]
	s_cbranch_execnz .LBB41_1495
	s_branch .LBB41_1496
.LBB41_3545:
	s_movk_i32 s4, 0x80
	v_cmp_eq_u16_sdwa s[12:13], v8, s4 src0_sel:BYTE_3 src1_sel:DWORD
	s_mov_b64 s[4:5], -1
                                        ; implicit-def: $sgpr10
	s_and_saveexec_b64 s[8:9], s[12:13]
; %bb.3546:
	s_mov_b32 s10, 0x7f800001
	s_xor_b64 s[4:5], exec, -1
; %bb.3547:
	s_or_b64 exec, exec, s[8:9]
	s_and_b64 s[4:5], s[4:5], exec
	s_or_saveexec_b64 s[6:7], s[6:7]
	v_mov_b32_e32 v2, s10
	s_xor_b64 exec, exec, s[6:7]
	s_cbranch_execz .LBB41_1498
.LBB41_3548:
	v_mov_b32_e32 v2, 0
	v_cmp_ne_u16_sdwa s[8:9], v8, v2 src0_sel:BYTE_3 src1_sel:DWORD
	s_andn2_b64 s[4:5], s[4:5], exec
	s_and_b64 s[8:9], s[8:9], exec
	s_or_b64 s[4:5], s[4:5], s[8:9]
	s_or_b64 exec, exec, s[6:7]
	s_and_saveexec_b64 s[6:7], s[4:5]
	s_cbranch_execnz .LBB41_1499
	s_branch .LBB41_1500
.LBB41_3549:
	s_movk_i32 s4, 0x80
	v_cmp_eq_u16_sdwa s[12:13], v4, s4 src0_sel:BYTE_3 src1_sel:DWORD
	s_mov_b64 s[4:5], -1
                                        ; implicit-def: $sgpr10
	s_and_saveexec_b64 s[8:9], s[12:13]
; %bb.3550:
	s_mov_b32 s10, 0x7f800001
	s_xor_b64 s[4:5], exec, -1
; %bb.3551:
	s_or_b64 exec, exec, s[8:9]
	s_and_b64 s[4:5], s[4:5], exec
	s_or_saveexec_b64 s[6:7], s[6:7]
	v_mov_b32_e32 v3, s10
	s_xor_b64 exec, exec, s[6:7]
	s_cbranch_execz .LBB41_1502
.LBB41_3552:
	v_mov_b32_e32 v3, 0
	v_cmp_ne_u16_sdwa s[8:9], v4, v3 src0_sel:BYTE_3 src1_sel:DWORD
	s_andn2_b64 s[4:5], s[4:5], exec
	s_and_b64 s[8:9], s[8:9], exec
	s_or_b64 s[4:5], s[4:5], s[8:9]
	s_or_b64 exec, exec, s[6:7]
	s_and_saveexec_b64 s[6:7], s[4:5]
	s_cbranch_execnz .LBB41_1503
	s_branch .LBB41_1504
.LBB41_3553:
	s_movk_i32 s4, 0x80
	v_cmp_eq_u16_sdwa s[12:13], v9, s4 src0_sel:BYTE_0 src1_sel:DWORD
	s_mov_b64 s[4:5], -1
                                        ; implicit-def: $sgpr10
	s_and_saveexec_b64 s[8:9], s[12:13]
; %bb.3554:
	s_mov_b32 s10, 0x7f800001
	s_xor_b64 s[4:5], exec, -1
; %bb.3555:
	s_or_b64 exec, exec, s[8:9]
	s_and_b64 s[4:5], s[4:5], exec
	s_or_saveexec_b64 s[6:7], s[6:7]
	v_mov_b32_e32 v2, s10
	s_xor_b64 exec, exec, s[6:7]
	s_cbranch_execz .LBB41_1506
.LBB41_3556:
	v_mov_b32_e32 v2, 0
	v_cmp_ne_u16_sdwa s[8:9], v9, v2 src0_sel:BYTE_0 src1_sel:DWORD
	s_andn2_b64 s[4:5], s[4:5], exec
	s_and_b64 s[8:9], s[8:9], exec
	s_or_b64 s[4:5], s[4:5], s[8:9]
	s_or_b64 exec, exec, s[6:7]
	s_and_saveexec_b64 s[6:7], s[4:5]
	s_cbranch_execnz .LBB41_1507
	s_branch .LBB41_1508
.LBB41_3557:
	s_movk_i32 s4, 0x80
	v_cmp_eq_u16_sdwa s[12:13], v5, s4 src0_sel:BYTE_0 src1_sel:DWORD
	s_mov_b64 s[4:5], -1
                                        ; implicit-def: $sgpr10
	s_and_saveexec_b64 s[8:9], s[12:13]
; %bb.3558:
	s_mov_b32 s10, 0x7f800001
	s_xor_b64 s[4:5], exec, -1
; %bb.3559:
	s_or_b64 exec, exec, s[8:9]
	s_and_b64 s[4:5], s[4:5], exec
	s_or_saveexec_b64 s[6:7], s[6:7]
	v_mov_b32_e32 v3, s10
	s_xor_b64 exec, exec, s[6:7]
	s_cbranch_execz .LBB41_1510
.LBB41_3560:
	v_mov_b32_e32 v3, 0
	v_cmp_ne_u16_sdwa s[8:9], v5, v3 src0_sel:BYTE_0 src1_sel:DWORD
	s_andn2_b64 s[4:5], s[4:5], exec
	s_and_b64 s[8:9], s[8:9], exec
	s_or_b64 s[4:5], s[4:5], s[8:9]
	s_or_b64 exec, exec, s[6:7]
	s_and_saveexec_b64 s[6:7], s[4:5]
	s_cbranch_execnz .LBB41_1511
	s_branch .LBB41_1512
.LBB41_3561:
	s_movk_i32 s4, 0x80
	v_cmp_eq_u16_sdwa s[12:13], v3, s4 src0_sel:BYTE_0 src1_sel:DWORD
	s_mov_b64 s[4:5], -1
                                        ; implicit-def: $sgpr10
	s_and_saveexec_b64 s[8:9], s[12:13]
; %bb.3562:
	s_mov_b32 s10, 0x7f800001
	s_xor_b64 s[4:5], exec, -1
; %bb.3563:
	s_or_b64 exec, exec, s[8:9]
	s_and_b64 s[4:5], s[4:5], exec
	s_or_saveexec_b64 s[6:7], s[6:7]
	v_mov_b32_e32 v2, s10
	s_xor_b64 exec, exec, s[6:7]
	s_cbranch_execz .LBB41_1514
.LBB41_3564:
	v_mov_b32_e32 v2, 0
	v_cmp_ne_u16_sdwa s[8:9], v3, v2 src0_sel:BYTE_0 src1_sel:DWORD
	s_andn2_b64 s[4:5], s[4:5], exec
	s_and_b64 s[8:9], s[8:9], exec
	s_or_b64 s[4:5], s[4:5], s[8:9]
	s_or_b64 exec, exec, s[6:7]
	s_and_saveexec_b64 s[6:7], s[4:5]
	s_cbranch_execnz .LBB41_1515
	s_branch .LBB41_1516
.LBB41_3565:
	s_movk_i32 s4, 0x80
	v_cmp_eq_u16_sdwa s[12:13], v3, s4 src0_sel:BYTE_0 src1_sel:DWORD
	s_mov_b64 s[4:5], -1
                                        ; implicit-def: $sgpr10
	s_and_saveexec_b64 s[8:9], s[12:13]
; %bb.3566:
	s_mov_b32 s10, 0x7f800001
	s_xor_b64 s[4:5], exec, -1
; %bb.3567:
	s_or_b64 exec, exec, s[8:9]
	s_and_b64 s[4:5], s[4:5], exec
	s_or_saveexec_b64 s[6:7], s[6:7]
	v_mov_b32_e32 v4, s10
	s_xor_b64 exec, exec, s[6:7]
	s_cbranch_execz .LBB41_1518
.LBB41_3568:
	v_mov_b32_e32 v4, 0
	v_cmp_ne_u16_sdwa s[8:9], v3, v4 src0_sel:BYTE_0 src1_sel:DWORD
	s_andn2_b64 s[4:5], s[4:5], exec
	s_and_b64 s[8:9], s[8:9], exec
	s_or_b64 s[4:5], s[4:5], s[8:9]
	s_or_b64 exec, exec, s[6:7]
	s_and_saveexec_b64 s[6:7], s[4:5]
	s_cbranch_execnz .LBB41_1519
	s_branch .LBB41_1520
.LBB41_3569:
	s_movk_i32 s4, 0x80
	v_cmp_eq_u16_e32 vcc, s4, v3
	s_mov_b64 s[4:5], -1
                                        ; implicit-def: $sgpr10
	s_and_saveexec_b64 s[8:9], vcc
; %bb.3570:
	s_mov_b32 s10, 0x7f800001
	s_xor_b64 s[4:5], exec, -1
; %bb.3571:
	s_or_b64 exec, exec, s[8:9]
	s_and_b64 s[4:5], s[4:5], exec
                                        ; implicit-def: $vgpr3
	s_or_saveexec_b64 s[6:7], s[6:7]
	v_mov_b32_e32 v2, s10
	s_xor_b64 exec, exec, s[6:7]
	s_cbranch_execz .LBB41_1522
.LBB41_3572:
	v_cmp_ne_u16_e32 vcc, 0, v3
	s_andn2_b64 s[4:5], s[4:5], exec
	s_and_b64 s[8:9], vcc, exec
	v_mov_b32_e32 v2, 0
	s_or_b64 s[4:5], s[4:5], s[8:9]
	s_or_b64 exec, exec, s[6:7]
	s_and_saveexec_b64 s[6:7], s[4:5]
	s_cbranch_execnz .LBB41_1523
	s_branch .LBB41_1524
.LBB41_3573:
	s_movk_i32 s4, 0x80
	v_cmp_eq_u16_e32 vcc, s4, v3
	s_mov_b64 s[4:5], -1
                                        ; implicit-def: $sgpr10
	s_and_saveexec_b64 s[8:9], vcc
; %bb.3574:
	s_mov_b32 s10, 0x7f800001
	s_xor_b64 s[4:5], exec, -1
; %bb.3575:
	s_or_b64 exec, exec, s[8:9]
	s_and_b64 s[4:5], s[4:5], exec
                                        ; implicit-def: $vgpr3
	s_or_saveexec_b64 s[6:7], s[6:7]
	v_mov_b32_e32 v4, s10
	s_xor_b64 exec, exec, s[6:7]
	s_cbranch_execz .LBB41_1526
.LBB41_3576:
	v_cmp_ne_u16_e32 vcc, 0, v3
	s_andn2_b64 s[4:5], s[4:5], exec
	s_and_b64 s[8:9], vcc, exec
	v_mov_b32_e32 v4, 0
	s_or_b64 s[4:5], s[4:5], s[8:9]
	s_or_b64 exec, exec, s[6:7]
	s_and_saveexec_b64 s[6:7], s[4:5]
	s_cbranch_execnz .LBB41_1527
	s_branch .LBB41_1528
.LBB41_3577:
	s_movk_i32 s4, 0x80
	v_cmp_eq_u16_sdwa s[12:13], v9, s4 src0_sel:BYTE_3 src1_sel:DWORD
	s_mov_b64 s[4:5], -1
                                        ; implicit-def: $sgpr10
	s_and_saveexec_b64 s[8:9], s[12:13]
; %bb.3578:
	s_mov_b32 s10, 0x7f800001
	s_xor_b64 s[4:5], exec, -1
; %bb.3579:
	s_or_b64 exec, exec, s[8:9]
	s_and_b64 s[4:5], s[4:5], exec
	s_or_saveexec_b64 s[6:7], s[6:7]
	v_mov_b32_e32 v2, s10
	s_xor_b64 exec, exec, s[6:7]
	s_cbranch_execz .LBB41_1530
.LBB41_3580:
	v_mov_b32_e32 v2, 0
	v_cmp_ne_u16_sdwa s[8:9], v9, v2 src0_sel:BYTE_3 src1_sel:DWORD
	s_andn2_b64 s[4:5], s[4:5], exec
	s_and_b64 s[8:9], s[8:9], exec
	s_or_b64 s[4:5], s[4:5], s[8:9]
	s_or_b64 exec, exec, s[6:7]
	s_and_saveexec_b64 s[6:7], s[4:5]
	s_cbranch_execnz .LBB41_1531
	s_branch .LBB41_1532
.LBB41_3581:
	s_movk_i32 s4, 0x80
	v_cmp_eq_u16_sdwa s[12:13], v5, s4 src0_sel:BYTE_3 src1_sel:DWORD
	s_mov_b64 s[4:5], -1
                                        ; implicit-def: $sgpr10
	s_and_saveexec_b64 s[8:9], s[12:13]
; %bb.3582:
	s_mov_b32 s10, 0x7f800001
	s_xor_b64 s[4:5], exec, -1
; %bb.3583:
	s_or_b64 exec, exec, s[8:9]
	s_and_b64 s[4:5], s[4:5], exec
	s_or_saveexec_b64 s[6:7], s[6:7]
	v_mov_b32_e32 v3, s10
	s_xor_b64 exec, exec, s[6:7]
	s_cbranch_execz .LBB41_1534
.LBB41_3584:
	v_mov_b32_e32 v3, 0
	v_cmp_ne_u16_sdwa s[8:9], v5, v3 src0_sel:BYTE_3 src1_sel:DWORD
	s_andn2_b64 s[4:5], s[4:5], exec
	s_and_b64 s[8:9], s[8:9], exec
	s_or_b64 s[4:5], s[4:5], s[8:9]
	s_or_b64 exec, exec, s[6:7]
	s_and_saveexec_b64 s[6:7], s[4:5]
	s_cbranch_execnz .LBB41_1535
	s_branch .LBB41_1536
.LBB41_3585:
	s_movk_i32 s4, 0x80
	v_cmp_eq_u16_sdwa s[12:13], v14, s4 src0_sel:BYTE_0 src1_sel:DWORD
	s_mov_b64 s[4:5], -1
                                        ; implicit-def: $sgpr10
	s_and_saveexec_b64 s[8:9], s[12:13]
; %bb.3586:
	s_mov_b32 s10, 0x7f800001
	s_xor_b64 s[4:5], exec, -1
; %bb.3587:
	s_or_b64 exec, exec, s[8:9]
	s_and_b64 s[4:5], s[4:5], exec
	s_or_saveexec_b64 s[6:7], s[6:7]
	v_mov_b32_e32 v20, s10
	s_xor_b64 exec, exec, s[6:7]
	s_cbranch_execz .LBB41_1538
.LBB41_3588:
	v_mov_b32_e32 v20, 0
	v_cmp_ne_u16_sdwa s[8:9], v14, v20 src0_sel:BYTE_0 src1_sel:DWORD
	s_andn2_b64 s[4:5], s[4:5], exec
	s_and_b64 s[8:9], s[8:9], exec
	s_or_b64 s[4:5], s[4:5], s[8:9]
	s_or_b64 exec, exec, s[6:7]
	s_and_saveexec_b64 s[6:7], s[4:5]
	s_cbranch_execnz .LBB41_1539
	s_branch .LBB41_1540
.LBB41_3589:
	s_movk_i32 s4, 0x80
	v_cmp_eq_u16_sdwa s[12:13], v10, s4 src0_sel:BYTE_0 src1_sel:DWORD
	s_mov_b64 s[4:5], -1
                                        ; implicit-def: $sgpr10
	s_and_saveexec_b64 s[8:9], s[12:13]
; %bb.3590:
	s_mov_b32 s10, 0x7f800001
	s_xor_b64 s[4:5], exec, -1
; %bb.3591:
	s_or_b64 exec, exec, s[8:9]
	s_and_b64 s[4:5], s[4:5], exec
	s_or_saveexec_b64 s[6:7], s[6:7]
	v_mov_b32_e32 v21, s10
	s_xor_b64 exec, exec, s[6:7]
	s_cbranch_execz .LBB41_1542
.LBB41_3592:
	v_mov_b32_e32 v21, 0
	v_cmp_ne_u16_sdwa s[8:9], v10, v21 src0_sel:BYTE_0 src1_sel:DWORD
	s_andn2_b64 s[4:5], s[4:5], exec
	s_and_b64 s[8:9], s[8:9], exec
	s_or_b64 s[4:5], s[4:5], s[8:9]
	s_or_b64 exec, exec, s[6:7]
	s_and_saveexec_b64 s[6:7], s[4:5]
	s_cbranch_execnz .LBB41_1543
	s_branch .LBB41_1544
.LBB41_3593:
	s_movk_i32 s4, 0x80
	v_cmp_eq_u16_sdwa s[12:13], v21, s4 src0_sel:BYTE_0 src1_sel:DWORD
	s_mov_b64 s[4:5], -1
                                        ; implicit-def: $sgpr10
	s_and_saveexec_b64 s[8:9], s[12:13]
; %bb.3594:
	s_mov_b32 s10, 0x7f800001
	s_xor_b64 s[4:5], exec, -1
; %bb.3595:
	s_or_b64 exec, exec, s[8:9]
	s_and_b64 s[4:5], s[4:5], exec
	s_or_saveexec_b64 s[6:7], s[6:7]
	v_mov_b32_e32 v20, s10
	s_xor_b64 exec, exec, s[6:7]
	s_cbranch_execz .LBB41_1546
.LBB41_3596:
	v_mov_b32_e32 v20, 0
	v_cmp_ne_u16_sdwa s[8:9], v21, v20 src0_sel:BYTE_0 src1_sel:DWORD
	s_andn2_b64 s[4:5], s[4:5], exec
	s_and_b64 s[8:9], s[8:9], exec
	s_or_b64 s[4:5], s[4:5], s[8:9]
	s_or_b64 exec, exec, s[6:7]
	s_and_saveexec_b64 s[6:7], s[4:5]
	s_cbranch_execnz .LBB41_1547
	s_branch .LBB41_1548
.LBB41_3597:
	s_movk_i32 s4, 0x80
	v_cmp_eq_u16_sdwa s[12:13], v21, s4 src0_sel:BYTE_0 src1_sel:DWORD
	s_mov_b64 s[4:5], -1
                                        ; implicit-def: $sgpr10
	s_and_saveexec_b64 s[8:9], s[12:13]
; %bb.3598:
	s_mov_b32 s10, 0x7f800001
	s_xor_b64 s[4:5], exec, -1
; %bb.3599:
	s_or_b64 exec, exec, s[8:9]
	s_and_b64 s[4:5], s[4:5], exec
	s_or_saveexec_b64 s[6:7], s[6:7]
	v_mov_b32_e32 v22, s10
	s_xor_b64 exec, exec, s[6:7]
	s_cbranch_execz .LBB41_1550
.LBB41_3600:
	v_mov_b32_e32 v22, 0
	v_cmp_ne_u16_sdwa s[8:9], v21, v22 src0_sel:BYTE_0 src1_sel:DWORD
	s_andn2_b64 s[4:5], s[4:5], exec
	s_and_b64 s[8:9], s[8:9], exec
	s_or_b64 s[4:5], s[4:5], s[8:9]
	s_or_b64 exec, exec, s[6:7]
	s_and_saveexec_b64 s[6:7], s[4:5]
	s_cbranch_execnz .LBB41_1551
	s_branch .LBB41_1552
.LBB41_3601:
	s_movk_i32 s4, 0x80
	v_cmp_eq_u16_e32 vcc, s4, v21
	s_mov_b64 s[4:5], -1
                                        ; implicit-def: $sgpr10
	s_and_saveexec_b64 s[8:9], vcc
; %bb.3602:
	s_mov_b32 s10, 0x7f800001
	s_xor_b64 s[4:5], exec, -1
; %bb.3603:
	s_or_b64 exec, exec, s[8:9]
	s_and_b64 s[4:5], s[4:5], exec
                                        ; implicit-def: $vgpr21
	s_or_saveexec_b64 s[6:7], s[6:7]
	v_mov_b32_e32 v20, s10
	s_xor_b64 exec, exec, s[6:7]
	s_cbranch_execz .LBB41_1554
.LBB41_3604:
	v_cmp_ne_u16_e32 vcc, 0, v21
	s_andn2_b64 s[4:5], s[4:5], exec
	s_and_b64 s[8:9], vcc, exec
	v_mov_b32_e32 v20, 0
	s_or_b64 s[4:5], s[4:5], s[8:9]
	s_or_b64 exec, exec, s[6:7]
	s_and_saveexec_b64 s[6:7], s[4:5]
	s_cbranch_execnz .LBB41_1555
	s_branch .LBB41_1556
.LBB41_3605:
	s_movk_i32 s4, 0x80
	v_cmp_eq_u16_e32 vcc, s4, v21
	s_mov_b64 s[4:5], -1
                                        ; implicit-def: $sgpr10
	s_and_saveexec_b64 s[8:9], vcc
; %bb.3606:
	s_mov_b32 s10, 0x7f800001
	s_xor_b64 s[4:5], exec, -1
; %bb.3607:
	s_or_b64 exec, exec, s[8:9]
	s_and_b64 s[4:5], s[4:5], exec
                                        ; implicit-def: $vgpr21
	s_or_saveexec_b64 s[6:7], s[6:7]
	v_mov_b32_e32 v22, s10
	s_xor_b64 exec, exec, s[6:7]
	s_cbranch_execz .LBB41_1558
.LBB41_3608:
	v_cmp_ne_u16_e32 vcc, 0, v21
	s_andn2_b64 s[4:5], s[4:5], exec
	s_and_b64 s[8:9], vcc, exec
	v_mov_b32_e32 v22, 0
	s_or_b64 s[4:5], s[4:5], s[8:9]
	s_or_b64 exec, exec, s[6:7]
	s_and_saveexec_b64 s[6:7], s[4:5]
	s_cbranch_execnz .LBB41_1559
	s_branch .LBB41_1560
.LBB41_3609:
	s_movk_i32 s4, 0x80
	v_cmp_eq_u16_sdwa s[12:13], v14, s4 src0_sel:BYTE_3 src1_sel:DWORD
	s_mov_b64 s[4:5], -1
                                        ; implicit-def: $sgpr10
	s_and_saveexec_b64 s[8:9], s[12:13]
; %bb.3610:
	s_mov_b32 s10, 0x7f800001
	s_xor_b64 s[4:5], exec, -1
; %bb.3611:
	s_or_b64 exec, exec, s[8:9]
	s_and_b64 s[4:5], s[4:5], exec
	s_or_saveexec_b64 s[6:7], s[6:7]
	v_mov_b32_e32 v20, s10
	s_xor_b64 exec, exec, s[6:7]
	s_cbranch_execz .LBB41_1562
.LBB41_3612:
	v_mov_b32_e32 v20, 0
	v_cmp_ne_u16_sdwa s[8:9], v14, v20 src0_sel:BYTE_3 src1_sel:DWORD
	s_andn2_b64 s[4:5], s[4:5], exec
	s_and_b64 s[8:9], s[8:9], exec
	s_or_b64 s[4:5], s[4:5], s[8:9]
	s_or_b64 exec, exec, s[6:7]
	s_and_saveexec_b64 s[6:7], s[4:5]
	s_cbranch_execnz .LBB41_1563
	s_branch .LBB41_1564
.LBB41_3613:
	s_movk_i32 s4, 0x80
	v_cmp_eq_u16_sdwa s[12:13], v10, s4 src0_sel:BYTE_3 src1_sel:DWORD
	s_mov_b64 s[4:5], -1
                                        ; implicit-def: $sgpr10
	s_and_saveexec_b64 s[8:9], s[12:13]
; %bb.3614:
	s_mov_b32 s10, 0x7f800001
	s_xor_b64 s[4:5], exec, -1
; %bb.3615:
	s_or_b64 exec, exec, s[8:9]
	s_and_b64 s[4:5], s[4:5], exec
	s_or_saveexec_b64 s[6:7], s[6:7]
	v_mov_b32_e32 v14, s10
	s_xor_b64 exec, exec, s[6:7]
	s_cbranch_execz .LBB41_1566
.LBB41_3616:
	v_mov_b32_e32 v14, 0
	v_cmp_ne_u16_sdwa s[8:9], v10, v14 src0_sel:BYTE_3 src1_sel:DWORD
	s_andn2_b64 s[4:5], s[4:5], exec
	s_and_b64 s[8:9], s[8:9], exec
	s_or_b64 s[4:5], s[4:5], s[8:9]
	s_or_b64 exec, exec, s[6:7]
	s_and_saveexec_b64 s[6:7], s[4:5]
	s_cbranch_execnz .LBB41_1567
	s_branch .LBB41_1568
.LBB41_3617:
	s_movk_i32 s4, 0x80
	v_cmp_eq_u16_sdwa s[12:13], v15, s4 src0_sel:BYTE_0 src1_sel:DWORD
	s_mov_b64 s[4:5], -1
                                        ; implicit-def: $sgpr10
	s_and_saveexec_b64 s[8:9], s[12:13]
; %bb.3618:
	s_mov_b32 s10, 0x7f800001
	s_xor_b64 s[4:5], exec, -1
; %bb.3619:
	s_or_b64 exec, exec, s[8:9]
	s_and_b64 s[4:5], s[4:5], exec
	s_or_saveexec_b64 s[6:7], s[6:7]
	v_mov_b32_e32 v10, s10
	s_xor_b64 exec, exec, s[6:7]
	s_cbranch_execz .LBB41_1570
.LBB41_3620:
	v_mov_b32_e32 v10, 0
	v_cmp_ne_u16_sdwa s[8:9], v15, v10 src0_sel:BYTE_0 src1_sel:DWORD
	s_andn2_b64 s[4:5], s[4:5], exec
	s_and_b64 s[8:9], s[8:9], exec
	s_or_b64 s[4:5], s[4:5], s[8:9]
	s_or_b64 exec, exec, s[6:7]
	s_and_saveexec_b64 s[6:7], s[4:5]
	s_cbranch_execnz .LBB41_1571
	s_branch .LBB41_1572
.LBB41_3621:
	s_movk_i32 s4, 0x80
	v_cmp_eq_u16_sdwa s[12:13], v11, s4 src0_sel:BYTE_0 src1_sel:DWORD
	s_mov_b64 s[4:5], -1
                                        ; implicit-def: $sgpr10
	s_and_saveexec_b64 s[8:9], s[12:13]
; %bb.3622:
	s_mov_b32 s10, 0x7f800001
	s_xor_b64 s[4:5], exec, -1
; %bb.3623:
	s_or_b64 exec, exec, s[8:9]
	s_and_b64 s[4:5], s[4:5], exec
	s_or_saveexec_b64 s[6:7], s[6:7]
	v_mov_b32_e32 v14, s10
	s_xor_b64 exec, exec, s[6:7]
	s_cbranch_execz .LBB41_1574
.LBB41_3624:
	v_mov_b32_e32 v14, 0
	v_cmp_ne_u16_sdwa s[8:9], v11, v14 src0_sel:BYTE_0 src1_sel:DWORD
	s_andn2_b64 s[4:5], s[4:5], exec
	s_and_b64 s[8:9], s[8:9], exec
	s_or_b64 s[4:5], s[4:5], s[8:9]
	s_or_b64 exec, exec, s[6:7]
	s_and_saveexec_b64 s[6:7], s[4:5]
	s_cbranch_execnz .LBB41_1575
	s_branch .LBB41_1576
.LBB41_3625:
	s_movk_i32 s4, 0x80
	v_cmp_eq_u16_sdwa s[12:13], v14, s4 src0_sel:BYTE_0 src1_sel:DWORD
	s_mov_b64 s[4:5], -1
                                        ; implicit-def: $sgpr10
	s_and_saveexec_b64 s[8:9], s[12:13]
; %bb.3626:
	s_mov_b32 s10, 0x7f800001
	s_xor_b64 s[4:5], exec, -1
; %bb.3627:
	s_or_b64 exec, exec, s[8:9]
	s_and_b64 s[4:5], s[4:5], exec
	s_or_saveexec_b64 s[6:7], s[6:7]
	v_mov_b32_e32 v10, s10
	s_xor_b64 exec, exec, s[6:7]
	s_cbranch_execz .LBB41_1578
.LBB41_3628:
	v_mov_b32_e32 v10, 0
	v_cmp_ne_u16_sdwa s[8:9], v14, v10 src0_sel:BYTE_0 src1_sel:DWORD
	s_andn2_b64 s[4:5], s[4:5], exec
	s_and_b64 s[8:9], s[8:9], exec
	s_or_b64 s[4:5], s[4:5], s[8:9]
	s_or_b64 exec, exec, s[6:7]
	s_and_saveexec_b64 s[6:7], s[4:5]
	s_cbranch_execnz .LBB41_1579
	s_branch .LBB41_1580
.LBB41_3629:
	s_movk_i32 s4, 0x80
	v_cmp_eq_u16_sdwa s[12:13], v14, s4 src0_sel:BYTE_0 src1_sel:DWORD
	s_mov_b64 s[4:5], -1
                                        ; implicit-def: $sgpr10
	s_and_saveexec_b64 s[8:9], s[12:13]
; %bb.3630:
	s_mov_b32 s10, 0x7f800001
	s_xor_b64 s[4:5], exec, -1
; %bb.3631:
	s_or_b64 exec, exec, s[8:9]
	s_and_b64 s[4:5], s[4:5], exec
	s_or_saveexec_b64 s[6:7], s[6:7]
	v_mov_b32_e32 v20, s10
	s_xor_b64 exec, exec, s[6:7]
	s_cbranch_execz .LBB41_1582
.LBB41_3632:
	v_mov_b32_e32 v20, 0
	v_cmp_ne_u16_sdwa s[8:9], v14, v20 src0_sel:BYTE_0 src1_sel:DWORD
	s_andn2_b64 s[4:5], s[4:5], exec
	s_and_b64 s[8:9], s[8:9], exec
	s_or_b64 s[4:5], s[4:5], s[8:9]
	s_or_b64 exec, exec, s[6:7]
	s_and_saveexec_b64 s[6:7], s[4:5]
	s_cbranch_execnz .LBB41_1583
	s_branch .LBB41_1584
.LBB41_3633:
	s_movk_i32 s4, 0x80
	v_cmp_eq_u16_e32 vcc, s4, v14
	s_mov_b64 s[4:5], -1
                                        ; implicit-def: $sgpr10
	s_and_saveexec_b64 s[8:9], vcc
; %bb.3634:
	s_mov_b32 s10, 0x7f800001
	s_xor_b64 s[4:5], exec, -1
; %bb.3635:
	s_or_b64 exec, exec, s[8:9]
	s_and_b64 s[4:5], s[4:5], exec
                                        ; implicit-def: $vgpr14
	s_or_saveexec_b64 s[6:7], s[6:7]
	v_mov_b32_e32 v10, s10
	s_xor_b64 exec, exec, s[6:7]
	s_cbranch_execz .LBB41_1586
.LBB41_3636:
	v_cmp_ne_u16_e32 vcc, 0, v14
	s_andn2_b64 s[4:5], s[4:5], exec
	s_and_b64 s[8:9], vcc, exec
	v_mov_b32_e32 v10, 0
	s_or_b64 s[4:5], s[4:5], s[8:9]
	s_or_b64 exec, exec, s[6:7]
	s_and_saveexec_b64 s[6:7], s[4:5]
	s_cbranch_execnz .LBB41_1587
	s_branch .LBB41_1588
.LBB41_3637:
	s_movk_i32 s4, 0x80
	v_cmp_eq_u16_e32 vcc, s4, v14
	s_mov_b64 s[4:5], -1
                                        ; implicit-def: $sgpr10
	s_and_saveexec_b64 s[8:9], vcc
; %bb.3638:
	s_mov_b32 s10, 0x7f800001
	s_xor_b64 s[4:5], exec, -1
; %bb.3639:
	s_or_b64 exec, exec, s[8:9]
	s_and_b64 s[4:5], s[4:5], exec
                                        ; implicit-def: $vgpr14
	s_or_saveexec_b64 s[6:7], s[6:7]
	v_mov_b32_e32 v20, s10
	s_xor_b64 exec, exec, s[6:7]
	s_cbranch_execz .LBB41_1590
.LBB41_3640:
	v_cmp_ne_u16_e32 vcc, 0, v14
	s_andn2_b64 s[4:5], s[4:5], exec
	s_and_b64 s[8:9], vcc, exec
	v_mov_b32_e32 v20, 0
	s_or_b64 s[4:5], s[4:5], s[8:9]
	s_or_b64 exec, exec, s[6:7]
	s_and_saveexec_b64 s[6:7], s[4:5]
	s_cbranch_execnz .LBB41_1591
	s_branch .LBB41_1592
.LBB41_3641:
	s_movk_i32 s4, 0x80
	v_cmp_eq_u16_sdwa s[12:13], v15, s4 src0_sel:BYTE_3 src1_sel:DWORD
	s_mov_b64 s[4:5], -1
                                        ; implicit-def: $sgpr10
	s_and_saveexec_b64 s[8:9], s[12:13]
; %bb.3642:
	s_mov_b32 s10, 0x7f800001
	s_xor_b64 s[4:5], exec, -1
; %bb.3643:
	s_or_b64 exec, exec, s[8:9]
	s_and_b64 s[4:5], s[4:5], exec
	s_or_saveexec_b64 s[6:7], s[6:7]
	v_mov_b32_e32 v10, s10
	s_xor_b64 exec, exec, s[6:7]
	s_cbranch_execz .LBB41_1594
.LBB41_3644:
	v_mov_b32_e32 v10, 0
	v_cmp_ne_u16_sdwa s[8:9], v15, v10 src0_sel:BYTE_3 src1_sel:DWORD
	s_andn2_b64 s[4:5], s[4:5], exec
	s_and_b64 s[8:9], s[8:9], exec
	s_or_b64 s[4:5], s[4:5], s[8:9]
	s_or_b64 exec, exec, s[6:7]
	s_and_saveexec_b64 s[6:7], s[4:5]
	s_cbranch_execnz .LBB41_1595
	s_branch .LBB41_1596
.LBB41_3645:
	s_movk_i32 s4, 0x80
	v_cmp_eq_u16_sdwa s[12:13], v11, s4 src0_sel:BYTE_3 src1_sel:DWORD
	s_mov_b64 s[4:5], -1
                                        ; implicit-def: $sgpr10
	s_and_saveexec_b64 s[8:9], s[12:13]
; %bb.3646:
	s_mov_b32 s10, 0x7f800001
	s_xor_b64 s[4:5], exec, -1
; %bb.3647:
	s_or_b64 exec, exec, s[8:9]
	s_and_b64 s[4:5], s[4:5], exec
	s_or_saveexec_b64 s[6:7], s[6:7]
	v_mov_b32_e32 v14, s10
	s_xor_b64 exec, exec, s[6:7]
	s_cbranch_execz .LBB41_1598
.LBB41_3648:
	v_mov_b32_e32 v14, 0
	v_cmp_ne_u16_sdwa s[8:9], v11, v14 src0_sel:BYTE_3 src1_sel:DWORD
	s_andn2_b64 s[4:5], s[4:5], exec
	s_and_b64 s[8:9], s[8:9], exec
	s_or_b64 s[4:5], s[4:5], s[8:9]
	s_or_b64 exec, exec, s[6:7]
	s_and_saveexec_b64 s[6:7], s[4:5]
	s_cbranch_execnz .LBB41_1599
	s_branch .LBB41_1600
.LBB41_3649:
	s_movk_i32 s4, 0x80
	v_cmp_eq_u16_sdwa s[12:13], v16, s4 src0_sel:BYTE_0 src1_sel:DWORD
	s_mov_b64 s[4:5], -1
                                        ; implicit-def: $sgpr10
	s_and_saveexec_b64 s[8:9], s[12:13]
; %bb.3650:
	s_mov_b32 s10, 0x7f800001
	s_xor_b64 s[4:5], exec, -1
; %bb.3651:
	s_or_b64 exec, exec, s[8:9]
	s_and_b64 s[4:5], s[4:5], exec
	s_or_saveexec_b64 s[6:7], s[6:7]
	v_mov_b32_e32 v10, s10
	s_xor_b64 exec, exec, s[6:7]
	s_cbranch_execz .LBB41_1602
.LBB41_3652:
	v_mov_b32_e32 v10, 0
	v_cmp_ne_u16_sdwa s[8:9], v16, v10 src0_sel:BYTE_0 src1_sel:DWORD
	s_andn2_b64 s[4:5], s[4:5], exec
	s_and_b64 s[8:9], s[8:9], exec
	s_or_b64 s[4:5], s[4:5], s[8:9]
	s_or_b64 exec, exec, s[6:7]
	s_and_saveexec_b64 s[6:7], s[4:5]
	s_cbranch_execnz .LBB41_1603
	s_branch .LBB41_1604
.LBB41_3653:
	s_movk_i32 s4, 0x80
	v_cmp_eq_u16_sdwa s[12:13], v12, s4 src0_sel:BYTE_0 src1_sel:DWORD
	s_mov_b64 s[4:5], -1
                                        ; implicit-def: $sgpr10
	s_and_saveexec_b64 s[8:9], s[12:13]
; %bb.3654:
	s_mov_b32 s10, 0x7f800001
	s_xor_b64 s[4:5], exec, -1
; %bb.3655:
	s_or_b64 exec, exec, s[8:9]
	s_and_b64 s[4:5], s[4:5], exec
	s_or_saveexec_b64 s[6:7], s[6:7]
	v_mov_b32_e32 v11, s10
	s_xor_b64 exec, exec, s[6:7]
	s_cbranch_execz .LBB41_1606
.LBB41_3656:
	v_mov_b32_e32 v11, 0
	v_cmp_ne_u16_sdwa s[8:9], v12, v11 src0_sel:BYTE_0 src1_sel:DWORD
	s_andn2_b64 s[4:5], s[4:5], exec
	s_and_b64 s[8:9], s[8:9], exec
	s_or_b64 s[4:5], s[4:5], s[8:9]
	s_or_b64 exec, exec, s[6:7]
	s_and_saveexec_b64 s[6:7], s[4:5]
	s_cbranch_execnz .LBB41_1607
	s_branch .LBB41_1608
.LBB41_3657:
	s_movk_i32 s4, 0x80
	v_cmp_eq_u16_sdwa s[12:13], v11, s4 src0_sel:BYTE_0 src1_sel:DWORD
	s_mov_b64 s[4:5], -1
                                        ; implicit-def: $sgpr10
	s_and_saveexec_b64 s[8:9], s[12:13]
; %bb.3658:
	s_mov_b32 s10, 0x7f800001
	s_xor_b64 s[4:5], exec, -1
; %bb.3659:
	s_or_b64 exec, exec, s[8:9]
	s_and_b64 s[4:5], s[4:5], exec
	s_or_saveexec_b64 s[6:7], s[6:7]
	v_mov_b32_e32 v10, s10
	s_xor_b64 exec, exec, s[6:7]
	s_cbranch_execz .LBB41_1610
.LBB41_3660:
	v_mov_b32_e32 v10, 0
	v_cmp_ne_u16_sdwa s[8:9], v11, v10 src0_sel:BYTE_0 src1_sel:DWORD
	s_andn2_b64 s[4:5], s[4:5], exec
	s_and_b64 s[8:9], s[8:9], exec
	s_or_b64 s[4:5], s[4:5], s[8:9]
	s_or_b64 exec, exec, s[6:7]
	s_and_saveexec_b64 s[6:7], s[4:5]
	s_cbranch_execnz .LBB41_1611
	s_branch .LBB41_1612
.LBB41_3661:
	s_movk_i32 s4, 0x80
	v_cmp_eq_u16_sdwa s[12:13], v11, s4 src0_sel:BYTE_0 src1_sel:DWORD
	s_mov_b64 s[4:5], -1
                                        ; implicit-def: $sgpr10
	s_and_saveexec_b64 s[8:9], s[12:13]
; %bb.3662:
	s_mov_b32 s10, 0x7f800001
	s_xor_b64 s[4:5], exec, -1
; %bb.3663:
	s_or_b64 exec, exec, s[8:9]
	s_and_b64 s[4:5], s[4:5], exec
	s_or_saveexec_b64 s[6:7], s[6:7]
	v_mov_b32_e32 v14, s10
	s_xor_b64 exec, exec, s[6:7]
	s_cbranch_execz .LBB41_1614
.LBB41_3664:
	v_mov_b32_e32 v14, 0
	v_cmp_ne_u16_sdwa s[8:9], v11, v14 src0_sel:BYTE_0 src1_sel:DWORD
	s_andn2_b64 s[4:5], s[4:5], exec
	s_and_b64 s[8:9], s[8:9], exec
	s_or_b64 s[4:5], s[4:5], s[8:9]
	s_or_b64 exec, exec, s[6:7]
	s_and_saveexec_b64 s[6:7], s[4:5]
	s_cbranch_execnz .LBB41_1615
	s_branch .LBB41_1616
.LBB41_3665:
	s_movk_i32 s4, 0x80
	v_cmp_eq_u16_e32 vcc, s4, v11
	s_mov_b64 s[4:5], -1
                                        ; implicit-def: $sgpr10
	s_and_saveexec_b64 s[8:9], vcc
; %bb.3666:
	s_mov_b32 s10, 0x7f800001
	s_xor_b64 s[4:5], exec, -1
; %bb.3667:
	s_or_b64 exec, exec, s[8:9]
	s_and_b64 s[4:5], s[4:5], exec
                                        ; implicit-def: $vgpr11
	s_or_saveexec_b64 s[6:7], s[6:7]
	v_mov_b32_e32 v10, s10
	s_xor_b64 exec, exec, s[6:7]
	s_cbranch_execz .LBB41_1618
.LBB41_3668:
	v_cmp_ne_u16_e32 vcc, 0, v11
	s_andn2_b64 s[4:5], s[4:5], exec
	s_and_b64 s[8:9], vcc, exec
	v_mov_b32_e32 v10, 0
	s_or_b64 s[4:5], s[4:5], s[8:9]
	s_or_b64 exec, exec, s[6:7]
	s_and_saveexec_b64 s[6:7], s[4:5]
	s_cbranch_execnz .LBB41_1619
	s_branch .LBB41_1620
.LBB41_3669:
	s_movk_i32 s4, 0x80
	v_cmp_eq_u16_e32 vcc, s4, v11
	s_mov_b64 s[4:5], -1
                                        ; implicit-def: $sgpr10
	s_and_saveexec_b64 s[8:9], vcc
; %bb.3670:
	s_mov_b32 s10, 0x7f800001
	s_xor_b64 s[4:5], exec, -1
; %bb.3671:
	s_or_b64 exec, exec, s[8:9]
	s_and_b64 s[4:5], s[4:5], exec
                                        ; implicit-def: $vgpr11
	s_or_saveexec_b64 s[6:7], s[6:7]
	v_mov_b32_e32 v14, s10
	s_xor_b64 exec, exec, s[6:7]
	s_cbranch_execz .LBB41_1622
.LBB41_3672:
	v_cmp_ne_u16_e32 vcc, 0, v11
	s_andn2_b64 s[4:5], s[4:5], exec
	s_and_b64 s[8:9], vcc, exec
	v_mov_b32_e32 v14, 0
	s_or_b64 s[4:5], s[4:5], s[8:9]
	s_or_b64 exec, exec, s[6:7]
	s_and_saveexec_b64 s[6:7], s[4:5]
	s_cbranch_execnz .LBB41_1623
	s_branch .LBB41_1624
.LBB41_3673:
	s_movk_i32 s4, 0x80
	v_cmp_eq_u16_sdwa s[12:13], v16, s4 src0_sel:BYTE_3 src1_sel:DWORD
	s_mov_b64 s[4:5], -1
                                        ; implicit-def: $sgpr10
	s_and_saveexec_b64 s[8:9], s[12:13]
; %bb.3674:
	s_mov_b32 s10, 0x7f800001
	s_xor_b64 s[4:5], exec, -1
; %bb.3675:
	s_or_b64 exec, exec, s[8:9]
	s_and_b64 s[4:5], s[4:5], exec
	s_or_saveexec_b64 s[6:7], s[6:7]
	v_mov_b32_e32 v10, s10
	s_xor_b64 exec, exec, s[6:7]
	s_cbranch_execz .LBB41_1626
.LBB41_3676:
	v_mov_b32_e32 v10, 0
	v_cmp_ne_u16_sdwa s[8:9], v16, v10 src0_sel:BYTE_3 src1_sel:DWORD
	s_andn2_b64 s[4:5], s[4:5], exec
	s_and_b64 s[8:9], s[8:9], exec
	s_or_b64 s[4:5], s[4:5], s[8:9]
	s_or_b64 exec, exec, s[6:7]
	s_and_saveexec_b64 s[6:7], s[4:5]
	s_cbranch_execnz .LBB41_1627
	s_branch .LBB41_1628
.LBB41_3677:
	s_movk_i32 s4, 0x80
	v_cmp_eq_u16_sdwa s[12:13], v12, s4 src0_sel:BYTE_3 src1_sel:DWORD
	s_mov_b64 s[4:5], -1
                                        ; implicit-def: $sgpr10
	s_and_saveexec_b64 s[8:9], s[12:13]
; %bb.3678:
	s_mov_b32 s10, 0x7f800001
	s_xor_b64 s[4:5], exec, -1
; %bb.3679:
	s_or_b64 exec, exec, s[8:9]
	s_and_b64 s[4:5], s[4:5], exec
	s_or_saveexec_b64 s[6:7], s[6:7]
	v_mov_b32_e32 v11, s10
	s_xor_b64 exec, exec, s[6:7]
	s_cbranch_execz .LBB41_1630
.LBB41_3680:
	v_mov_b32_e32 v11, 0
	v_cmp_ne_u16_sdwa s[8:9], v12, v11 src0_sel:BYTE_3 src1_sel:DWORD
	s_andn2_b64 s[4:5], s[4:5], exec
	s_and_b64 s[8:9], s[8:9], exec
	s_or_b64 s[4:5], s[4:5], s[8:9]
	s_or_b64 exec, exec, s[6:7]
	s_and_saveexec_b64 s[6:7], s[4:5]
	s_cbranch_execnz .LBB41_1631
	s_branch .LBB41_1632
.LBB41_3681:
	s_movk_i32 s4, 0x80
	v_cmp_eq_u16_sdwa s[12:13], v17, s4 src0_sel:BYTE_0 src1_sel:DWORD
	s_mov_b64 s[4:5], -1
                                        ; implicit-def: $sgpr10
	s_and_saveexec_b64 s[8:9], s[12:13]
; %bb.3682:
	s_mov_b32 s10, 0x7f800001
	s_xor_b64 s[4:5], exec, -1
; %bb.3683:
	s_or_b64 exec, exec, s[8:9]
	s_and_b64 s[4:5], s[4:5], exec
	s_or_saveexec_b64 s[6:7], s[6:7]
	v_mov_b32_e32 v10, s10
	s_xor_b64 exec, exec, s[6:7]
	s_cbranch_execz .LBB41_1634
.LBB41_3684:
	v_mov_b32_e32 v10, 0
	v_cmp_ne_u16_sdwa s[8:9], v17, v10 src0_sel:BYTE_0 src1_sel:DWORD
	s_andn2_b64 s[4:5], s[4:5], exec
	s_and_b64 s[8:9], s[8:9], exec
	s_or_b64 s[4:5], s[4:5], s[8:9]
	s_or_b64 exec, exec, s[6:7]
	s_and_saveexec_b64 s[6:7], s[4:5]
	s_cbranch_execnz .LBB41_1635
	s_branch .LBB41_1636
.LBB41_3685:
	s_movk_i32 s4, 0x80
	v_cmp_eq_u16_sdwa s[12:13], v13, s4 src0_sel:BYTE_0 src1_sel:DWORD
	s_mov_b64 s[4:5], -1
                                        ; implicit-def: $sgpr10
	s_and_saveexec_b64 s[8:9], s[12:13]
; %bb.3686:
	s_mov_b32 s10, 0x7f800001
	s_xor_b64 s[4:5], exec, -1
; %bb.3687:
	s_or_b64 exec, exec, s[8:9]
	s_and_b64 s[4:5], s[4:5], exec
	s_or_saveexec_b64 s[6:7], s[6:7]
	v_mov_b32_e32 v11, s10
	s_xor_b64 exec, exec, s[6:7]
	s_cbranch_execz .LBB41_1638
.LBB41_3688:
	v_mov_b32_e32 v11, 0
	v_cmp_ne_u16_sdwa s[8:9], v13, v11 src0_sel:BYTE_0 src1_sel:DWORD
	s_andn2_b64 s[4:5], s[4:5], exec
	s_and_b64 s[8:9], s[8:9], exec
	s_or_b64 s[4:5], s[4:5], s[8:9]
	s_or_b64 exec, exec, s[6:7]
	s_and_saveexec_b64 s[6:7], s[4:5]
	s_cbranch_execnz .LBB41_1639
	s_branch .LBB41_1640
.LBB41_3689:
	s_movk_i32 s4, 0x80
	v_cmp_eq_u16_sdwa s[12:13], v11, s4 src0_sel:BYTE_0 src1_sel:DWORD
	s_mov_b64 s[4:5], -1
                                        ; implicit-def: $sgpr10
	s_and_saveexec_b64 s[8:9], s[12:13]
; %bb.3690:
	s_mov_b32 s10, 0x7f800001
	s_xor_b64 s[4:5], exec, -1
; %bb.3691:
	s_or_b64 exec, exec, s[8:9]
	s_and_b64 s[4:5], s[4:5], exec
	s_or_saveexec_b64 s[6:7], s[6:7]
	v_mov_b32_e32 v10, s10
	s_xor_b64 exec, exec, s[6:7]
	s_cbranch_execz .LBB41_1642
.LBB41_3692:
	v_mov_b32_e32 v10, 0
	v_cmp_ne_u16_sdwa s[8:9], v11, v10 src0_sel:BYTE_0 src1_sel:DWORD
	s_andn2_b64 s[4:5], s[4:5], exec
	s_and_b64 s[8:9], s[8:9], exec
	s_or_b64 s[4:5], s[4:5], s[8:9]
	s_or_b64 exec, exec, s[6:7]
	s_and_saveexec_b64 s[6:7], s[4:5]
	s_cbranch_execnz .LBB41_1643
	s_branch .LBB41_1644
.LBB41_3693:
	s_movk_i32 s4, 0x80
	v_cmp_eq_u16_sdwa s[12:13], v11, s4 src0_sel:BYTE_0 src1_sel:DWORD
	s_mov_b64 s[4:5], -1
                                        ; implicit-def: $sgpr10
	s_and_saveexec_b64 s[8:9], s[12:13]
; %bb.3694:
	s_mov_b32 s10, 0x7f800001
	s_xor_b64 s[4:5], exec, -1
; %bb.3695:
	s_or_b64 exec, exec, s[8:9]
	s_and_b64 s[4:5], s[4:5], exec
	s_or_saveexec_b64 s[6:7], s[6:7]
	v_mov_b32_e32 v12, s10
	s_xor_b64 exec, exec, s[6:7]
	s_cbranch_execz .LBB41_1646
.LBB41_3696:
	v_mov_b32_e32 v12, 0
	v_cmp_ne_u16_sdwa s[8:9], v11, v12 src0_sel:BYTE_0 src1_sel:DWORD
	s_andn2_b64 s[4:5], s[4:5], exec
	s_and_b64 s[8:9], s[8:9], exec
	s_or_b64 s[4:5], s[4:5], s[8:9]
	s_or_b64 exec, exec, s[6:7]
	s_and_saveexec_b64 s[6:7], s[4:5]
	s_cbranch_execnz .LBB41_1647
	s_branch .LBB41_1648
.LBB41_3697:
	s_movk_i32 s4, 0x80
	v_cmp_eq_u16_e32 vcc, s4, v11
	s_mov_b64 s[4:5], -1
                                        ; implicit-def: $sgpr10
	s_and_saveexec_b64 s[8:9], vcc
; %bb.3698:
	s_mov_b32 s10, 0x7f800001
	s_xor_b64 s[4:5], exec, -1
; %bb.3699:
	s_or_b64 exec, exec, s[8:9]
	s_and_b64 s[4:5], s[4:5], exec
                                        ; implicit-def: $vgpr11
	s_or_saveexec_b64 s[6:7], s[6:7]
	v_mov_b32_e32 v10, s10
	s_xor_b64 exec, exec, s[6:7]
	s_cbranch_execz .LBB41_1650
.LBB41_3700:
	v_cmp_ne_u16_e32 vcc, 0, v11
	s_andn2_b64 s[4:5], s[4:5], exec
	s_and_b64 s[8:9], vcc, exec
	v_mov_b32_e32 v10, 0
	s_or_b64 s[4:5], s[4:5], s[8:9]
	s_or_b64 exec, exec, s[6:7]
	s_and_saveexec_b64 s[6:7], s[4:5]
	s_cbranch_execnz .LBB41_1651
	s_branch .LBB41_1652
.LBB41_3701:
	s_movk_i32 s4, 0x80
	v_cmp_eq_u16_e32 vcc, s4, v11
	s_mov_b64 s[4:5], -1
                                        ; implicit-def: $sgpr10
	s_and_saveexec_b64 s[8:9], vcc
; %bb.3702:
	s_mov_b32 s10, 0x7f800001
	s_xor_b64 s[4:5], exec, -1
; %bb.3703:
	s_or_b64 exec, exec, s[8:9]
	s_and_b64 s[4:5], s[4:5], exec
                                        ; implicit-def: $vgpr11
	s_or_saveexec_b64 s[6:7], s[6:7]
	v_mov_b32_e32 v12, s10
	s_xor_b64 exec, exec, s[6:7]
	s_cbranch_execz .LBB41_1654
.LBB41_3704:
	v_cmp_ne_u16_e32 vcc, 0, v11
	s_andn2_b64 s[4:5], s[4:5], exec
	s_and_b64 s[8:9], vcc, exec
	v_mov_b32_e32 v12, 0
	s_or_b64 s[4:5], s[4:5], s[8:9]
	s_or_b64 exec, exec, s[6:7]
	s_and_saveexec_b64 s[6:7], s[4:5]
	s_cbranch_execnz .LBB41_1655
	s_branch .LBB41_1656
.LBB41_3705:
	s_movk_i32 s4, 0x80
	v_cmp_eq_u16_sdwa s[12:13], v17, s4 src0_sel:BYTE_3 src1_sel:DWORD
	s_mov_b64 s[4:5], -1
                                        ; implicit-def: $sgpr10
	s_and_saveexec_b64 s[8:9], s[12:13]
; %bb.3706:
	s_mov_b32 s10, 0x7f800001
	s_xor_b64 s[4:5], exec, -1
; %bb.3707:
	s_or_b64 exec, exec, s[8:9]
	s_and_b64 s[4:5], s[4:5], exec
	s_or_saveexec_b64 s[6:7], s[6:7]
	v_mov_b32_e32 v10, s10
	s_xor_b64 exec, exec, s[6:7]
	s_cbranch_execz .LBB41_1658
.LBB41_3708:
	v_mov_b32_e32 v10, 0
	v_cmp_ne_u16_sdwa s[8:9], v17, v10 src0_sel:BYTE_3 src1_sel:DWORD
	s_andn2_b64 s[4:5], s[4:5], exec
	s_and_b64 s[8:9], s[8:9], exec
	s_or_b64 s[4:5], s[4:5], s[8:9]
	s_or_b64 exec, exec, s[6:7]
	s_and_saveexec_b64 s[6:7], s[4:5]
	s_cbranch_execnz .LBB41_1659
	s_branch .LBB41_1660
.LBB41_3709:
	s_movk_i32 s4, 0x80
	v_cmp_eq_u16_sdwa s[12:13], v13, s4 src0_sel:BYTE_3 src1_sel:DWORD
	s_mov_b64 s[4:5], -1
                                        ; implicit-def: $sgpr10
	s_and_saveexec_b64 s[8:9], s[12:13]
; %bb.3710:
	s_mov_b32 s10, 0x7f800001
	s_xor_b64 s[4:5], exec, -1
; %bb.3711:
	s_or_b64 exec, exec, s[8:9]
	s_and_b64 s[4:5], s[4:5], exec
	s_or_saveexec_b64 s[6:7], s[6:7]
	v_mov_b32_e32 v11, s10
	s_xor_b64 exec, exec, s[6:7]
	s_cbranch_execz .LBB41_1662
.LBB41_3712:
	v_mov_b32_e32 v11, 0
	v_cmp_ne_u16_sdwa s[8:9], v13, v11 src0_sel:BYTE_3 src1_sel:DWORD
	s_andn2_b64 s[4:5], s[4:5], exec
	s_and_b64 s[8:9], s[8:9], exec
	s_or_b64 s[4:5], s[4:5], s[8:9]
	s_or_b64 exec, exec, s[6:7]
	s_and_saveexec_b64 s[6:7], s[4:5]
	s_cbranch_execnz .LBB41_1663
	s_branch .LBB41_1664
.LBB41_3713:
	s_movk_i32 s4, 0x80
	v_cmp_eq_u16_sdwa s[12:13], v6, s4 src0_sel:BYTE_0 src1_sel:DWORD
	s_mov_b64 s[4:5], -1
                                        ; implicit-def: $sgpr10
	s_and_saveexec_b64 s[8:9], s[12:13]
; %bb.3714:
	s_mov_b32 s10, 0x7f800001
	s_xor_b64 s[4:5], exec, -1
; %bb.3715:
	s_or_b64 exec, exec, s[8:9]
	s_and_b64 s[4:5], s[4:5], exec
	s_or_saveexec_b64 s[6:7], s[6:7]
	v_mov_b32_e32 v10, s10
	s_xor_b64 exec, exec, s[6:7]
	s_cbranch_execz .LBB41_1666
.LBB41_3716:
	v_mov_b32_e32 v10, 0
	v_cmp_ne_u16_sdwa s[8:9], v6, v10 src0_sel:BYTE_0 src1_sel:DWORD
	s_andn2_b64 s[4:5], s[4:5], exec
	s_and_b64 s[8:9], s[8:9], exec
	s_or_b64 s[4:5], s[4:5], s[8:9]
	s_or_b64 exec, exec, s[6:7]
	s_and_saveexec_b64 s[6:7], s[4:5]
	s_cbranch_execnz .LBB41_1667
	s_branch .LBB41_1668
.LBB41_3717:
	s_movk_i32 s4, 0x80
	v_cmp_eq_u16_sdwa s[12:13], v2, s4 src0_sel:BYTE_0 src1_sel:DWORD
	s_mov_b64 s[4:5], -1
                                        ; implicit-def: $sgpr10
	s_and_saveexec_b64 s[8:9], s[12:13]
; %bb.3718:
	s_mov_b32 s10, 0x7f800001
	s_xor_b64 s[4:5], exec, -1
; %bb.3719:
	s_or_b64 exec, exec, s[8:9]
	s_and_b64 s[4:5], s[4:5], exec
	s_or_saveexec_b64 s[6:7], s[6:7]
	v_mov_b32_e32 v11, s10
	s_xor_b64 exec, exec, s[6:7]
	s_cbranch_execz .LBB41_1670
.LBB41_3720:
	v_mov_b32_e32 v11, 0
	v_cmp_ne_u16_sdwa s[8:9], v2, v11 src0_sel:BYTE_0 src1_sel:DWORD
	s_andn2_b64 s[4:5], s[4:5], exec
	s_and_b64 s[8:9], s[8:9], exec
	s_or_b64 s[4:5], s[4:5], s[8:9]
	s_or_b64 exec, exec, s[6:7]
	s_and_saveexec_b64 s[6:7], s[4:5]
	s_cbranch_execnz .LBB41_1671
	s_branch .LBB41_1672
.LBB41_3721:
	s_movk_i32 s4, 0x80
	v_cmp_eq_u16_sdwa s[12:13], v11, s4 src0_sel:BYTE_0 src1_sel:DWORD
	s_mov_b64 s[4:5], -1
                                        ; implicit-def: $sgpr10
	s_and_saveexec_b64 s[8:9], s[12:13]
; %bb.3722:
	s_mov_b32 s10, 0x7f800001
	s_xor_b64 s[4:5], exec, -1
; %bb.3723:
	s_or_b64 exec, exec, s[8:9]
	s_and_b64 s[4:5], s[4:5], exec
	s_or_saveexec_b64 s[6:7], s[6:7]
	v_mov_b32_e32 v10, s10
	s_xor_b64 exec, exec, s[6:7]
	s_cbranch_execz .LBB41_1674
.LBB41_3724:
	v_mov_b32_e32 v10, 0
	v_cmp_ne_u16_sdwa s[8:9], v11, v10 src0_sel:BYTE_0 src1_sel:DWORD
	s_andn2_b64 s[4:5], s[4:5], exec
	s_and_b64 s[8:9], s[8:9], exec
	s_or_b64 s[4:5], s[4:5], s[8:9]
	s_or_b64 exec, exec, s[6:7]
	s_and_saveexec_b64 s[6:7], s[4:5]
	s_cbranch_execnz .LBB41_1675
	s_branch .LBB41_1676
.LBB41_3725:
	s_movk_i32 s4, 0x80
	v_cmp_eq_u16_sdwa s[12:13], v11, s4 src0_sel:BYTE_0 src1_sel:DWORD
	s_mov_b64 s[4:5], -1
                                        ; implicit-def: $sgpr10
	s_and_saveexec_b64 s[8:9], s[12:13]
; %bb.3726:
	s_mov_b32 s10, 0x7f800001
	s_xor_b64 s[4:5], exec, -1
; %bb.3727:
	s_or_b64 exec, exec, s[8:9]
	s_and_b64 s[4:5], s[4:5], exec
	s_or_saveexec_b64 s[6:7], s[6:7]
	v_mov_b32_e32 v12, s10
	s_xor_b64 exec, exec, s[6:7]
	s_cbranch_execz .LBB41_1678
.LBB41_3728:
	v_mov_b32_e32 v12, 0
	v_cmp_ne_u16_sdwa s[8:9], v11, v12 src0_sel:BYTE_0 src1_sel:DWORD
	s_andn2_b64 s[4:5], s[4:5], exec
	s_and_b64 s[8:9], s[8:9], exec
	s_or_b64 s[4:5], s[4:5], s[8:9]
	s_or_b64 exec, exec, s[6:7]
	s_and_saveexec_b64 s[6:7], s[4:5]
	s_cbranch_execnz .LBB41_1679
	s_branch .LBB41_1680
.LBB41_3729:
	s_movk_i32 s4, 0x80
	v_cmp_eq_u16_e32 vcc, s4, v11
	s_mov_b64 s[4:5], -1
                                        ; implicit-def: $sgpr10
	s_and_saveexec_b64 s[8:9], vcc
; %bb.3730:
	s_mov_b32 s10, 0x7f800001
	s_xor_b64 s[4:5], exec, -1
; %bb.3731:
	s_or_b64 exec, exec, s[8:9]
	s_and_b64 s[4:5], s[4:5], exec
                                        ; implicit-def: $vgpr11
	s_or_saveexec_b64 s[6:7], s[6:7]
	v_mov_b32_e32 v10, s10
	s_xor_b64 exec, exec, s[6:7]
	s_cbranch_execz .LBB41_1682
.LBB41_3732:
	v_cmp_ne_u16_e32 vcc, 0, v11
	s_andn2_b64 s[4:5], s[4:5], exec
	s_and_b64 s[8:9], vcc, exec
	v_mov_b32_e32 v10, 0
	s_or_b64 s[4:5], s[4:5], s[8:9]
	s_or_b64 exec, exec, s[6:7]
	s_and_saveexec_b64 s[6:7], s[4:5]
	s_cbranch_execnz .LBB41_1683
	s_branch .LBB41_1684
.LBB41_3733:
	s_movk_i32 s4, 0x80
	v_cmp_eq_u16_e32 vcc, s4, v11
	s_mov_b64 s[4:5], -1
                                        ; implicit-def: $sgpr10
	s_and_saveexec_b64 s[8:9], vcc
; %bb.3734:
	s_mov_b32 s10, 0x7f800001
	s_xor_b64 s[4:5], exec, -1
; %bb.3735:
	s_or_b64 exec, exec, s[8:9]
	s_and_b64 s[4:5], s[4:5], exec
                                        ; implicit-def: $vgpr11
	s_or_saveexec_b64 s[6:7], s[6:7]
	v_mov_b32_e32 v12, s10
	s_xor_b64 exec, exec, s[6:7]
	s_cbranch_execz .LBB41_1686
.LBB41_3736:
	v_cmp_ne_u16_e32 vcc, 0, v11
	s_andn2_b64 s[4:5], s[4:5], exec
	s_and_b64 s[8:9], vcc, exec
	v_mov_b32_e32 v12, 0
	s_or_b64 s[4:5], s[4:5], s[8:9]
	s_or_b64 exec, exec, s[6:7]
	s_and_saveexec_b64 s[6:7], s[4:5]
	s_cbranch_execnz .LBB41_1687
	s_branch .LBB41_1688
.LBB41_3737:
	s_movk_i32 s4, 0x80
	v_cmp_eq_u16_sdwa s[12:13], v6, s4 src0_sel:BYTE_3 src1_sel:DWORD
	s_mov_b64 s[4:5], -1
                                        ; implicit-def: $sgpr10
	s_and_saveexec_b64 s[8:9], s[12:13]
; %bb.3738:
	s_mov_b32 s10, 0x7f800001
	s_xor_b64 s[4:5], exec, -1
; %bb.3739:
	s_or_b64 exec, exec, s[8:9]
	s_and_b64 s[4:5], s[4:5], exec
	s_or_saveexec_b64 s[6:7], s[6:7]
	v_mov_b32_e32 v10, s10
	s_xor_b64 exec, exec, s[6:7]
	s_cbranch_execz .LBB41_1690
.LBB41_3740:
	v_mov_b32_e32 v10, 0
	v_cmp_ne_u16_sdwa s[8:9], v6, v10 src0_sel:BYTE_3 src1_sel:DWORD
	s_andn2_b64 s[4:5], s[4:5], exec
	s_and_b64 s[8:9], s[8:9], exec
	s_or_b64 s[4:5], s[4:5], s[8:9]
	s_or_b64 exec, exec, s[6:7]
	s_and_saveexec_b64 s[6:7], s[4:5]
	s_cbranch_execnz .LBB41_1691
	s_branch .LBB41_1692
.LBB41_3741:
	s_movk_i32 s4, 0x80
	v_cmp_eq_u16_sdwa s[12:13], v2, s4 src0_sel:BYTE_3 src1_sel:DWORD
	s_mov_b64 s[4:5], -1
                                        ; implicit-def: $sgpr10
	s_and_saveexec_b64 s[8:9], s[12:13]
; %bb.3742:
	s_mov_b32 s10, 0x7f800001
	s_xor_b64 s[4:5], exec, -1
; %bb.3743:
	s_or_b64 exec, exec, s[8:9]
	s_and_b64 s[4:5], s[4:5], exec
	s_or_saveexec_b64 s[6:7], s[6:7]
	v_mov_b32_e32 v6, s10
	s_xor_b64 exec, exec, s[6:7]
	s_cbranch_execz .LBB41_1694
.LBB41_3744:
	v_mov_b32_e32 v6, 0
	v_cmp_ne_u16_sdwa s[8:9], v2, v6 src0_sel:BYTE_3 src1_sel:DWORD
	s_andn2_b64 s[4:5], s[4:5], exec
	s_and_b64 s[8:9], s[8:9], exec
	s_or_b64 s[4:5], s[4:5], s[8:9]
	s_or_b64 exec, exec, s[6:7]
	s_and_saveexec_b64 s[6:7], s[4:5]
	s_cbranch_execnz .LBB41_1695
	s_branch .LBB41_1696
.LBB41_3745:
	s_movk_i32 s4, 0x80
	v_cmp_eq_u16_sdwa s[12:13], v7, s4 src0_sel:BYTE_0 src1_sel:DWORD
	s_mov_b64 s[4:5], -1
                                        ; implicit-def: $sgpr10
	s_and_saveexec_b64 s[8:9], s[12:13]
; %bb.3746:
	s_mov_b32 s10, 0x7f800001
	s_xor_b64 s[4:5], exec, -1
; %bb.3747:
	s_or_b64 exec, exec, s[8:9]
	s_and_b64 s[4:5], s[4:5], exec
	s_or_saveexec_b64 s[6:7], s[6:7]
	v_mov_b32_e32 v2, s10
	s_xor_b64 exec, exec, s[6:7]
	s_cbranch_execz .LBB41_1698
.LBB41_3748:
	v_mov_b32_e32 v2, 0
	v_cmp_ne_u16_sdwa s[8:9], v7, v2 src0_sel:BYTE_0 src1_sel:DWORD
	s_andn2_b64 s[4:5], s[4:5], exec
	s_and_b64 s[8:9], s[8:9], exec
	s_or_b64 s[4:5], s[4:5], s[8:9]
	s_or_b64 exec, exec, s[6:7]
	s_and_saveexec_b64 s[6:7], s[4:5]
	s_cbranch_execnz .LBB41_1699
	s_branch .LBB41_1700
.LBB41_3749:
	s_movk_i32 s4, 0x80
	v_cmp_eq_u16_sdwa s[12:13], v3, s4 src0_sel:BYTE_0 src1_sel:DWORD
	s_mov_b64 s[4:5], -1
                                        ; implicit-def: $sgpr10
	s_and_saveexec_b64 s[8:9], s[12:13]
; %bb.3750:
	s_mov_b32 s10, 0x7f800001
	s_xor_b64 s[4:5], exec, -1
; %bb.3751:
	s_or_b64 exec, exec, s[8:9]
	s_and_b64 s[4:5], s[4:5], exec
	s_or_saveexec_b64 s[6:7], s[6:7]
	v_mov_b32_e32 v6, s10
	s_xor_b64 exec, exec, s[6:7]
	s_cbranch_execz .LBB41_1702
.LBB41_3752:
	v_mov_b32_e32 v6, 0
	v_cmp_ne_u16_sdwa s[8:9], v3, v6 src0_sel:BYTE_0 src1_sel:DWORD
	s_andn2_b64 s[4:5], s[4:5], exec
	s_and_b64 s[8:9], s[8:9], exec
	s_or_b64 s[4:5], s[4:5], s[8:9]
	s_or_b64 exec, exec, s[6:7]
	s_and_saveexec_b64 s[6:7], s[4:5]
	s_cbranch_execnz .LBB41_1703
	s_branch .LBB41_1704
.LBB41_3753:
	s_movk_i32 s4, 0x80
	v_cmp_eq_u16_sdwa s[12:13], v6, s4 src0_sel:BYTE_0 src1_sel:DWORD
	s_mov_b64 s[4:5], -1
                                        ; implicit-def: $sgpr10
	s_and_saveexec_b64 s[8:9], s[12:13]
; %bb.3754:
	s_mov_b32 s10, 0x7f800001
	s_xor_b64 s[4:5], exec, -1
; %bb.3755:
	s_or_b64 exec, exec, s[8:9]
	s_and_b64 s[4:5], s[4:5], exec
	s_or_saveexec_b64 s[6:7], s[6:7]
	v_mov_b32_e32 v2, s10
	s_xor_b64 exec, exec, s[6:7]
	s_cbranch_execz .LBB41_1706
.LBB41_3756:
	v_mov_b32_e32 v2, 0
	v_cmp_ne_u16_sdwa s[8:9], v6, v2 src0_sel:BYTE_0 src1_sel:DWORD
	s_andn2_b64 s[4:5], s[4:5], exec
	s_and_b64 s[8:9], s[8:9], exec
	s_or_b64 s[4:5], s[4:5], s[8:9]
	s_or_b64 exec, exec, s[6:7]
	s_and_saveexec_b64 s[6:7], s[4:5]
	s_cbranch_execnz .LBB41_1707
	s_branch .LBB41_1708
.LBB41_3757:
	s_movk_i32 s4, 0x80
	v_cmp_eq_u16_sdwa s[12:13], v6, s4 src0_sel:BYTE_0 src1_sel:DWORD
	s_mov_b64 s[4:5], -1
                                        ; implicit-def: $sgpr10
	s_and_saveexec_b64 s[8:9], s[12:13]
; %bb.3758:
	s_mov_b32 s10, 0x7f800001
	s_xor_b64 s[4:5], exec, -1
; %bb.3759:
	s_or_b64 exec, exec, s[8:9]
	s_and_b64 s[4:5], s[4:5], exec
	s_or_saveexec_b64 s[6:7], s[6:7]
	v_mov_b32_e32 v10, s10
	s_xor_b64 exec, exec, s[6:7]
	s_cbranch_execz .LBB41_1710
.LBB41_3760:
	v_mov_b32_e32 v10, 0
	v_cmp_ne_u16_sdwa s[8:9], v6, v10 src0_sel:BYTE_0 src1_sel:DWORD
	s_andn2_b64 s[4:5], s[4:5], exec
	s_and_b64 s[8:9], s[8:9], exec
	s_or_b64 s[4:5], s[4:5], s[8:9]
	s_or_b64 exec, exec, s[6:7]
	s_and_saveexec_b64 s[6:7], s[4:5]
	s_cbranch_execnz .LBB41_1711
	s_branch .LBB41_1712
.LBB41_3761:
	s_movk_i32 s4, 0x80
	v_cmp_eq_u16_e32 vcc, s4, v6
	s_mov_b64 s[4:5], -1
                                        ; implicit-def: $sgpr10
	s_and_saveexec_b64 s[8:9], vcc
; %bb.3762:
	s_mov_b32 s10, 0x7f800001
	s_xor_b64 s[4:5], exec, -1
; %bb.3763:
	s_or_b64 exec, exec, s[8:9]
	s_and_b64 s[4:5], s[4:5], exec
                                        ; implicit-def: $vgpr6
	s_or_saveexec_b64 s[6:7], s[6:7]
	v_mov_b32_e32 v2, s10
	s_xor_b64 exec, exec, s[6:7]
	s_cbranch_execz .LBB41_1714
.LBB41_3764:
	v_cmp_ne_u16_e32 vcc, 0, v6
	s_andn2_b64 s[4:5], s[4:5], exec
	s_and_b64 s[8:9], vcc, exec
	v_mov_b32_e32 v2, 0
	s_or_b64 s[4:5], s[4:5], s[8:9]
	s_or_b64 exec, exec, s[6:7]
	s_and_saveexec_b64 s[6:7], s[4:5]
	s_cbranch_execnz .LBB41_1715
	s_branch .LBB41_1716
.LBB41_3765:
	s_movk_i32 s4, 0x80
	v_cmp_eq_u16_e32 vcc, s4, v6
	s_mov_b64 s[4:5], -1
                                        ; implicit-def: $sgpr10
	s_and_saveexec_b64 s[8:9], vcc
; %bb.3766:
	s_mov_b32 s10, 0x7f800001
	s_xor_b64 s[4:5], exec, -1
; %bb.3767:
	s_or_b64 exec, exec, s[8:9]
	s_and_b64 s[4:5], s[4:5], exec
                                        ; implicit-def: $vgpr6
	s_or_saveexec_b64 s[6:7], s[6:7]
	v_mov_b32_e32 v10, s10
	s_xor_b64 exec, exec, s[6:7]
	s_cbranch_execz .LBB41_1718
.LBB41_3768:
	v_cmp_ne_u16_e32 vcc, 0, v6
	s_andn2_b64 s[4:5], s[4:5], exec
	s_and_b64 s[8:9], vcc, exec
	v_mov_b32_e32 v10, 0
	s_or_b64 s[4:5], s[4:5], s[8:9]
	s_or_b64 exec, exec, s[6:7]
	s_and_saveexec_b64 s[6:7], s[4:5]
	s_cbranch_execnz .LBB41_1719
	s_branch .LBB41_1720
.LBB41_3769:
	s_movk_i32 s4, 0x80
	v_cmp_eq_u16_sdwa s[12:13], v7, s4 src0_sel:BYTE_3 src1_sel:DWORD
	s_mov_b64 s[4:5], -1
                                        ; implicit-def: $sgpr10
	s_and_saveexec_b64 s[8:9], s[12:13]
; %bb.3770:
	s_mov_b32 s10, 0x7f800001
	s_xor_b64 s[4:5], exec, -1
; %bb.3771:
	s_or_b64 exec, exec, s[8:9]
	s_and_b64 s[4:5], s[4:5], exec
	s_or_saveexec_b64 s[6:7], s[6:7]
	v_mov_b32_e32 v2, s10
	s_xor_b64 exec, exec, s[6:7]
	s_cbranch_execz .LBB41_1722
.LBB41_3772:
	v_mov_b32_e32 v2, 0
	v_cmp_ne_u16_sdwa s[8:9], v7, v2 src0_sel:BYTE_3 src1_sel:DWORD
	s_andn2_b64 s[4:5], s[4:5], exec
	s_and_b64 s[8:9], s[8:9], exec
	s_or_b64 s[4:5], s[4:5], s[8:9]
	s_or_b64 exec, exec, s[6:7]
	s_and_saveexec_b64 s[6:7], s[4:5]
	s_cbranch_execnz .LBB41_1723
	s_branch .LBB41_1724
.LBB41_3773:
	s_movk_i32 s4, 0x80
	v_cmp_eq_u16_sdwa s[12:13], v3, s4 src0_sel:BYTE_3 src1_sel:DWORD
	s_mov_b64 s[4:5], -1
                                        ; implicit-def: $sgpr10
	s_and_saveexec_b64 s[8:9], s[12:13]
; %bb.3774:
	s_mov_b32 s10, 0x7f800001
	s_xor_b64 s[4:5], exec, -1
; %bb.3775:
	s_or_b64 exec, exec, s[8:9]
	s_and_b64 s[4:5], s[4:5], exec
	s_or_saveexec_b64 s[6:7], s[6:7]
	v_mov_b32_e32 v6, s10
	s_xor_b64 exec, exec, s[6:7]
	s_cbranch_execz .LBB41_1726
.LBB41_3776:
	v_mov_b32_e32 v6, 0
	v_cmp_ne_u16_sdwa s[8:9], v3, v6 src0_sel:BYTE_3 src1_sel:DWORD
	s_andn2_b64 s[4:5], s[4:5], exec
	s_and_b64 s[8:9], s[8:9], exec
	s_or_b64 s[4:5], s[4:5], s[8:9]
	s_or_b64 exec, exec, s[6:7]
	s_and_saveexec_b64 s[6:7], s[4:5]
	s_cbranch_execnz .LBB41_1727
	s_branch .LBB41_1728
.LBB41_3777:
	s_movk_i32 s4, 0x80
	v_cmp_eq_u16_sdwa s[12:13], v8, s4 src0_sel:BYTE_0 src1_sel:DWORD
	s_mov_b64 s[4:5], -1
                                        ; implicit-def: $sgpr10
	s_and_saveexec_b64 s[8:9], s[12:13]
; %bb.3778:
	s_mov_b32 s10, 0x7f800001
	s_xor_b64 s[4:5], exec, -1
; %bb.3779:
	s_or_b64 exec, exec, s[8:9]
	s_and_b64 s[4:5], s[4:5], exec
	s_or_saveexec_b64 s[6:7], s[6:7]
	v_mov_b32_e32 v2, s10
	s_xor_b64 exec, exec, s[6:7]
	s_cbranch_execz .LBB41_1730
.LBB41_3780:
	v_mov_b32_e32 v2, 0
	v_cmp_ne_u16_sdwa s[8:9], v8, v2 src0_sel:BYTE_0 src1_sel:DWORD
	s_andn2_b64 s[4:5], s[4:5], exec
	s_and_b64 s[8:9], s[8:9], exec
	s_or_b64 s[4:5], s[4:5], s[8:9]
	s_or_b64 exec, exec, s[6:7]
	s_and_saveexec_b64 s[6:7], s[4:5]
	s_cbranch_execnz .LBB41_1731
	s_branch .LBB41_1732
.LBB41_3781:
	s_movk_i32 s4, 0x80
	v_cmp_eq_u16_sdwa s[12:13], v4, s4 src0_sel:BYTE_0 src1_sel:DWORD
	s_mov_b64 s[4:5], -1
                                        ; implicit-def: $sgpr10
	s_and_saveexec_b64 s[8:9], s[12:13]
; %bb.3782:
	s_mov_b32 s10, 0x7f800001
	s_xor_b64 s[4:5], exec, -1
; %bb.3783:
	s_or_b64 exec, exec, s[8:9]
	s_and_b64 s[4:5], s[4:5], exec
	s_or_saveexec_b64 s[6:7], s[6:7]
	v_mov_b32_e32 v3, s10
	s_xor_b64 exec, exec, s[6:7]
	s_cbranch_execz .LBB41_1734
.LBB41_3784:
	v_mov_b32_e32 v3, 0
	v_cmp_ne_u16_sdwa s[8:9], v4, v3 src0_sel:BYTE_0 src1_sel:DWORD
	s_andn2_b64 s[4:5], s[4:5], exec
	s_and_b64 s[8:9], s[8:9], exec
	s_or_b64 s[4:5], s[4:5], s[8:9]
	s_or_b64 exec, exec, s[6:7]
	s_and_saveexec_b64 s[6:7], s[4:5]
	s_cbranch_execnz .LBB41_1735
	s_branch .LBB41_1736
.LBB41_3785:
	s_movk_i32 s4, 0x80
	v_cmp_eq_u16_sdwa s[12:13], v3, s4 src0_sel:BYTE_0 src1_sel:DWORD
	s_mov_b64 s[4:5], -1
                                        ; implicit-def: $sgpr10
	s_and_saveexec_b64 s[8:9], s[12:13]
; %bb.3786:
	s_mov_b32 s10, 0x7f800001
	s_xor_b64 s[4:5], exec, -1
; %bb.3787:
	s_or_b64 exec, exec, s[8:9]
	s_and_b64 s[4:5], s[4:5], exec
	s_or_saveexec_b64 s[6:7], s[6:7]
	v_mov_b32_e32 v2, s10
	s_xor_b64 exec, exec, s[6:7]
	s_cbranch_execz .LBB41_1738
.LBB41_3788:
	v_mov_b32_e32 v2, 0
	v_cmp_ne_u16_sdwa s[8:9], v3, v2 src0_sel:BYTE_0 src1_sel:DWORD
	s_andn2_b64 s[4:5], s[4:5], exec
	s_and_b64 s[8:9], s[8:9], exec
	s_or_b64 s[4:5], s[4:5], s[8:9]
	s_or_b64 exec, exec, s[6:7]
	s_and_saveexec_b64 s[6:7], s[4:5]
	s_cbranch_execnz .LBB41_1739
	s_branch .LBB41_1740
.LBB41_3789:
	s_movk_i32 s4, 0x80
	v_cmp_eq_u16_sdwa s[12:13], v3, s4 src0_sel:BYTE_0 src1_sel:DWORD
	s_mov_b64 s[4:5], -1
                                        ; implicit-def: $sgpr10
	s_and_saveexec_b64 s[8:9], s[12:13]
; %bb.3790:
	s_mov_b32 s10, 0x7f800001
	s_xor_b64 s[4:5], exec, -1
; %bb.3791:
	s_or_b64 exec, exec, s[8:9]
	s_and_b64 s[4:5], s[4:5], exec
	s_or_saveexec_b64 s[6:7], s[6:7]
	v_mov_b32_e32 v6, s10
	s_xor_b64 exec, exec, s[6:7]
	s_cbranch_execz .LBB41_1742
.LBB41_3792:
	v_mov_b32_e32 v6, 0
	v_cmp_ne_u16_sdwa s[8:9], v3, v6 src0_sel:BYTE_0 src1_sel:DWORD
	s_andn2_b64 s[4:5], s[4:5], exec
	s_and_b64 s[8:9], s[8:9], exec
	s_or_b64 s[4:5], s[4:5], s[8:9]
	s_or_b64 exec, exec, s[6:7]
	s_and_saveexec_b64 s[6:7], s[4:5]
	s_cbranch_execnz .LBB41_1743
	s_branch .LBB41_1744
.LBB41_3793:
	s_movk_i32 s4, 0x80
	v_cmp_eq_u16_e32 vcc, s4, v3
	s_mov_b64 s[4:5], -1
                                        ; implicit-def: $sgpr10
	s_and_saveexec_b64 s[8:9], vcc
; %bb.3794:
	s_mov_b32 s10, 0x7f800001
	s_xor_b64 s[4:5], exec, -1
; %bb.3795:
	s_or_b64 exec, exec, s[8:9]
	s_and_b64 s[4:5], s[4:5], exec
                                        ; implicit-def: $vgpr3
	s_or_saveexec_b64 s[6:7], s[6:7]
	v_mov_b32_e32 v2, s10
	s_xor_b64 exec, exec, s[6:7]
	s_cbranch_execz .LBB41_1746
.LBB41_3796:
	v_cmp_ne_u16_e32 vcc, 0, v3
	s_andn2_b64 s[4:5], s[4:5], exec
	s_and_b64 s[8:9], vcc, exec
	v_mov_b32_e32 v2, 0
	s_or_b64 s[4:5], s[4:5], s[8:9]
	s_or_b64 exec, exec, s[6:7]
	s_and_saveexec_b64 s[6:7], s[4:5]
	s_cbranch_execnz .LBB41_1747
	s_branch .LBB41_1748
.LBB41_3797:
	s_movk_i32 s4, 0x80
	v_cmp_eq_u16_e32 vcc, s4, v3
	s_mov_b64 s[4:5], -1
                                        ; implicit-def: $sgpr10
	s_and_saveexec_b64 s[8:9], vcc
; %bb.3798:
	s_mov_b32 s10, 0x7f800001
	s_xor_b64 s[4:5], exec, -1
; %bb.3799:
	s_or_b64 exec, exec, s[8:9]
	s_and_b64 s[4:5], s[4:5], exec
                                        ; implicit-def: $vgpr3
	s_or_saveexec_b64 s[6:7], s[6:7]
	v_mov_b32_e32 v6, s10
	s_xor_b64 exec, exec, s[6:7]
	s_cbranch_execz .LBB41_1750
.LBB41_3800:
	v_cmp_ne_u16_e32 vcc, 0, v3
	s_andn2_b64 s[4:5], s[4:5], exec
	s_and_b64 s[8:9], vcc, exec
	v_mov_b32_e32 v6, 0
	s_or_b64 s[4:5], s[4:5], s[8:9]
	s_or_b64 exec, exec, s[6:7]
	s_and_saveexec_b64 s[6:7], s[4:5]
	s_cbranch_execnz .LBB41_1751
	s_branch .LBB41_1752
.LBB41_3801:
	s_movk_i32 s4, 0x80
	v_cmp_eq_u16_sdwa s[12:13], v8, s4 src0_sel:BYTE_3 src1_sel:DWORD
	s_mov_b64 s[4:5], -1
                                        ; implicit-def: $sgpr10
	s_and_saveexec_b64 s[8:9], s[12:13]
; %bb.3802:
	s_mov_b32 s10, 0x7f800001
	s_xor_b64 s[4:5], exec, -1
; %bb.3803:
	s_or_b64 exec, exec, s[8:9]
	s_and_b64 s[4:5], s[4:5], exec
	s_or_saveexec_b64 s[6:7], s[6:7]
	v_mov_b32_e32 v2, s10
	s_xor_b64 exec, exec, s[6:7]
	s_cbranch_execz .LBB41_1754
.LBB41_3804:
	v_mov_b32_e32 v2, 0
	v_cmp_ne_u16_sdwa s[8:9], v8, v2 src0_sel:BYTE_3 src1_sel:DWORD
	s_andn2_b64 s[4:5], s[4:5], exec
	s_and_b64 s[8:9], s[8:9], exec
	s_or_b64 s[4:5], s[4:5], s[8:9]
	s_or_b64 exec, exec, s[6:7]
	s_and_saveexec_b64 s[6:7], s[4:5]
	s_cbranch_execnz .LBB41_1755
	s_branch .LBB41_1756
.LBB41_3805:
	s_movk_i32 s4, 0x80
	v_cmp_eq_u16_sdwa s[12:13], v4, s4 src0_sel:BYTE_3 src1_sel:DWORD
	s_mov_b64 s[4:5], -1
                                        ; implicit-def: $sgpr10
	s_and_saveexec_b64 s[8:9], s[12:13]
; %bb.3806:
	s_mov_b32 s10, 0x7f800001
	s_xor_b64 s[4:5], exec, -1
; %bb.3807:
	s_or_b64 exec, exec, s[8:9]
	s_and_b64 s[4:5], s[4:5], exec
	s_or_saveexec_b64 s[6:7], s[6:7]
	v_mov_b32_e32 v3, s10
	s_xor_b64 exec, exec, s[6:7]
	s_cbranch_execz .LBB41_1758
.LBB41_3808:
	v_mov_b32_e32 v3, 0
	v_cmp_ne_u16_sdwa s[8:9], v4, v3 src0_sel:BYTE_3 src1_sel:DWORD
	s_andn2_b64 s[4:5], s[4:5], exec
	s_and_b64 s[8:9], s[8:9], exec
	s_or_b64 s[4:5], s[4:5], s[8:9]
	s_or_b64 exec, exec, s[6:7]
	s_and_saveexec_b64 s[6:7], s[4:5]
	s_cbranch_execnz .LBB41_1759
	s_branch .LBB41_1760
.LBB41_3809:
	s_movk_i32 s4, 0x80
	v_cmp_eq_u16_sdwa s[12:13], v9, s4 src0_sel:BYTE_0 src1_sel:DWORD
	s_mov_b64 s[4:5], -1
                                        ; implicit-def: $sgpr10
	s_and_saveexec_b64 s[8:9], s[12:13]
; %bb.3810:
	s_mov_b32 s10, 0x7f800001
	s_xor_b64 s[4:5], exec, -1
; %bb.3811:
	s_or_b64 exec, exec, s[8:9]
	s_and_b64 s[4:5], s[4:5], exec
	s_or_saveexec_b64 s[6:7], s[6:7]
	v_mov_b32_e32 v2, s10
	s_xor_b64 exec, exec, s[6:7]
	s_cbranch_execz .LBB41_1762
.LBB41_3812:
	v_mov_b32_e32 v2, 0
	v_cmp_ne_u16_sdwa s[8:9], v9, v2 src0_sel:BYTE_0 src1_sel:DWORD
	s_andn2_b64 s[4:5], s[4:5], exec
	s_and_b64 s[8:9], s[8:9], exec
	s_or_b64 s[4:5], s[4:5], s[8:9]
	s_or_b64 exec, exec, s[6:7]
	s_and_saveexec_b64 s[6:7], s[4:5]
	s_cbranch_execnz .LBB41_1763
	s_branch .LBB41_1764
.LBB41_3813:
	s_movk_i32 s4, 0x80
	v_cmp_eq_u16_sdwa s[12:13], v5, s4 src0_sel:BYTE_0 src1_sel:DWORD
	s_mov_b64 s[4:5], -1
                                        ; implicit-def: $sgpr10
	s_and_saveexec_b64 s[8:9], s[12:13]
; %bb.3814:
	s_mov_b32 s10, 0x7f800001
	s_xor_b64 s[4:5], exec, -1
; %bb.3815:
	s_or_b64 exec, exec, s[8:9]
	s_and_b64 s[4:5], s[4:5], exec
	s_or_saveexec_b64 s[6:7], s[6:7]
	v_mov_b32_e32 v3, s10
	s_xor_b64 exec, exec, s[6:7]
	s_cbranch_execz .LBB41_1766
.LBB41_3816:
	v_mov_b32_e32 v3, 0
	v_cmp_ne_u16_sdwa s[8:9], v5, v3 src0_sel:BYTE_0 src1_sel:DWORD
	s_andn2_b64 s[4:5], s[4:5], exec
	s_and_b64 s[8:9], s[8:9], exec
	s_or_b64 s[4:5], s[4:5], s[8:9]
	s_or_b64 exec, exec, s[6:7]
	s_and_saveexec_b64 s[6:7], s[4:5]
	s_cbranch_execnz .LBB41_1767
	s_branch .LBB41_1768
.LBB41_3817:
	s_movk_i32 s4, 0x80
	v_cmp_eq_u16_sdwa s[12:13], v3, s4 src0_sel:BYTE_0 src1_sel:DWORD
	s_mov_b64 s[4:5], -1
                                        ; implicit-def: $sgpr10
	s_and_saveexec_b64 s[8:9], s[12:13]
; %bb.3818:
	s_mov_b32 s10, 0x7f800001
	s_xor_b64 s[4:5], exec, -1
; %bb.3819:
	s_or_b64 exec, exec, s[8:9]
	s_and_b64 s[4:5], s[4:5], exec
	s_or_saveexec_b64 s[6:7], s[6:7]
	v_mov_b32_e32 v2, s10
	s_xor_b64 exec, exec, s[6:7]
	s_cbranch_execz .LBB41_1770
.LBB41_3820:
	v_mov_b32_e32 v2, 0
	v_cmp_ne_u16_sdwa s[8:9], v3, v2 src0_sel:BYTE_0 src1_sel:DWORD
	s_andn2_b64 s[4:5], s[4:5], exec
	s_and_b64 s[8:9], s[8:9], exec
	s_or_b64 s[4:5], s[4:5], s[8:9]
	s_or_b64 exec, exec, s[6:7]
	s_and_saveexec_b64 s[6:7], s[4:5]
	s_cbranch_execnz .LBB41_1771
	s_branch .LBB41_1772
.LBB41_3821:
	s_movk_i32 s4, 0x80
	v_cmp_eq_u16_sdwa s[12:13], v3, s4 src0_sel:BYTE_0 src1_sel:DWORD
	s_mov_b64 s[4:5], -1
                                        ; implicit-def: $sgpr10
	s_and_saveexec_b64 s[8:9], s[12:13]
; %bb.3822:
	s_mov_b32 s10, 0x7f800001
	s_xor_b64 s[4:5], exec, -1
; %bb.3823:
	s_or_b64 exec, exec, s[8:9]
	s_and_b64 s[4:5], s[4:5], exec
	s_or_saveexec_b64 s[6:7], s[6:7]
	v_mov_b32_e32 v4, s10
	s_xor_b64 exec, exec, s[6:7]
	s_cbranch_execz .LBB41_1774
.LBB41_3824:
	v_mov_b32_e32 v4, 0
	v_cmp_ne_u16_sdwa s[8:9], v3, v4 src0_sel:BYTE_0 src1_sel:DWORD
	s_andn2_b64 s[4:5], s[4:5], exec
	s_and_b64 s[8:9], s[8:9], exec
	s_or_b64 s[4:5], s[4:5], s[8:9]
	s_or_b64 exec, exec, s[6:7]
	s_and_saveexec_b64 s[6:7], s[4:5]
	s_cbranch_execnz .LBB41_1775
	s_branch .LBB41_1776
.LBB41_3825:
	s_movk_i32 s4, 0x80
	v_cmp_eq_u16_e32 vcc, s4, v3
	s_mov_b64 s[4:5], -1
                                        ; implicit-def: $sgpr10
	s_and_saveexec_b64 s[8:9], vcc
; %bb.3826:
	s_mov_b32 s10, 0x7f800001
	s_xor_b64 s[4:5], exec, -1
; %bb.3827:
	s_or_b64 exec, exec, s[8:9]
	s_and_b64 s[4:5], s[4:5], exec
                                        ; implicit-def: $vgpr3
	s_or_saveexec_b64 s[6:7], s[6:7]
	v_mov_b32_e32 v2, s10
	s_xor_b64 exec, exec, s[6:7]
	s_cbranch_execz .LBB41_1778
.LBB41_3828:
	v_cmp_ne_u16_e32 vcc, 0, v3
	s_andn2_b64 s[4:5], s[4:5], exec
	s_and_b64 s[8:9], vcc, exec
	v_mov_b32_e32 v2, 0
	s_or_b64 s[4:5], s[4:5], s[8:9]
	s_or_b64 exec, exec, s[6:7]
	s_and_saveexec_b64 s[6:7], s[4:5]
	s_cbranch_execnz .LBB41_1779
	s_branch .LBB41_1780
.LBB41_3829:
	s_movk_i32 s4, 0x80
	v_cmp_eq_u16_e32 vcc, s4, v3
	s_mov_b64 s[4:5], -1
                                        ; implicit-def: $sgpr10
	s_and_saveexec_b64 s[8:9], vcc
; %bb.3830:
	s_mov_b32 s10, 0x7f800001
	s_xor_b64 s[4:5], exec, -1
; %bb.3831:
	s_or_b64 exec, exec, s[8:9]
	s_and_b64 s[4:5], s[4:5], exec
                                        ; implicit-def: $vgpr3
	s_or_saveexec_b64 s[6:7], s[6:7]
	v_mov_b32_e32 v4, s10
	s_xor_b64 exec, exec, s[6:7]
	s_cbranch_execz .LBB41_1782
.LBB41_3832:
	v_cmp_ne_u16_e32 vcc, 0, v3
	s_andn2_b64 s[4:5], s[4:5], exec
	s_and_b64 s[8:9], vcc, exec
	v_mov_b32_e32 v4, 0
	s_or_b64 s[4:5], s[4:5], s[8:9]
	s_or_b64 exec, exec, s[6:7]
	s_and_saveexec_b64 s[6:7], s[4:5]
	s_cbranch_execnz .LBB41_1783
	s_branch .LBB41_1784
.LBB41_3833:
	s_movk_i32 s4, 0x80
	v_cmp_eq_u16_sdwa s[12:13], v9, s4 src0_sel:BYTE_3 src1_sel:DWORD
	s_mov_b64 s[4:5], -1
                                        ; implicit-def: $sgpr10
	s_and_saveexec_b64 s[8:9], s[12:13]
; %bb.3834:
	s_mov_b32 s10, 0x7f800001
	s_xor_b64 s[4:5], exec, -1
; %bb.3835:
	s_or_b64 exec, exec, s[8:9]
	s_and_b64 s[4:5], s[4:5], exec
	s_or_saveexec_b64 s[6:7], s[6:7]
	v_mov_b32_e32 v2, s10
	s_xor_b64 exec, exec, s[6:7]
	s_cbranch_execz .LBB41_1786
.LBB41_3836:
	v_mov_b32_e32 v2, 0
	v_cmp_ne_u16_sdwa s[8:9], v9, v2 src0_sel:BYTE_3 src1_sel:DWORD
	s_andn2_b64 s[4:5], s[4:5], exec
	s_and_b64 s[8:9], s[8:9], exec
	s_or_b64 s[4:5], s[4:5], s[8:9]
	s_or_b64 exec, exec, s[6:7]
	s_and_saveexec_b64 s[6:7], s[4:5]
	s_cbranch_execnz .LBB41_1787
	s_branch .LBB41_1788
.LBB41_3837:
	s_movk_i32 s4, 0x80
	v_cmp_eq_u16_sdwa s[12:13], v5, s4 src0_sel:BYTE_3 src1_sel:DWORD
	s_mov_b64 s[4:5], -1
                                        ; implicit-def: $sgpr10
	s_and_saveexec_b64 s[8:9], s[12:13]
; %bb.3838:
	s_mov_b32 s10, 0x7f800001
	s_xor_b64 s[4:5], exec, -1
; %bb.3839:
	s_or_b64 exec, exec, s[8:9]
	s_and_b64 s[4:5], s[4:5], exec
	s_or_saveexec_b64 s[6:7], s[6:7]
	v_mov_b32_e32 v3, s10
	s_xor_b64 exec, exec, s[6:7]
	s_cbranch_execz .LBB41_1790
.LBB41_3840:
	v_mov_b32_e32 v3, 0
	v_cmp_ne_u16_sdwa s[8:9], v5, v3 src0_sel:BYTE_3 src1_sel:DWORD
	s_andn2_b64 s[4:5], s[4:5], exec
	s_and_b64 s[8:9], s[8:9], exec
	s_or_b64 s[4:5], s[4:5], s[8:9]
	s_or_b64 exec, exec, s[6:7]
	s_and_saveexec_b64 s[6:7], s[4:5]
	s_cbranch_execnz .LBB41_1791
	s_branch .LBB41_1792
.LBB41_3841:
	s_movk_i32 s4, 0x80
	v_cmp_eq_u16_sdwa s[12:13], v12, s4 src0_sel:BYTE_0 src1_sel:DWORD
	s_mov_b64 s[4:5], -1
                                        ; implicit-def: $sgpr10
	s_and_saveexec_b64 s[8:9], s[12:13]
; %bb.3842:
	s_mov_b32 s10, 0x7f800001
	s_xor_b64 s[4:5], exec, -1
; %bb.3843:
	s_or_b64 exec, exec, s[8:9]
	s_and_b64 s[4:5], s[4:5], exec
	s_or_saveexec_b64 s[6:7], s[6:7]
	v_mov_b32_e32 v18, s10
	s_xor_b64 exec, exec, s[6:7]
	s_cbranch_execz .LBB41_1794
.LBB41_3844:
	v_mov_b32_e32 v18, 0
	v_cmp_ne_u16_sdwa s[8:9], v12, v18 src0_sel:BYTE_0 src1_sel:DWORD
	s_andn2_b64 s[4:5], s[4:5], exec
	s_and_b64 s[8:9], s[8:9], exec
	s_or_b64 s[4:5], s[4:5], s[8:9]
	s_or_b64 exec, exec, s[6:7]
	s_and_saveexec_b64 s[6:7], s[4:5]
	s_cbranch_execnz .LBB41_1795
	s_branch .LBB41_1796
.LBB41_3845:
	s_movk_i32 s4, 0x80
	v_cmp_eq_u16_sdwa s[12:13], v8, s4 src0_sel:BYTE_0 src1_sel:DWORD
	s_mov_b64 s[4:5], -1
                                        ; implicit-def: $sgpr10
	s_and_saveexec_b64 s[8:9], s[12:13]
; %bb.3846:
	s_mov_b32 s10, 0x7f800001
	s_xor_b64 s[4:5], exec, -1
; %bb.3847:
	s_or_b64 exec, exec, s[8:9]
	s_and_b64 s[4:5], s[4:5], exec
	s_or_saveexec_b64 s[6:7], s[6:7]
	v_mov_b32_e32 v19, s10
	s_xor_b64 exec, exec, s[6:7]
	s_cbranch_execz .LBB41_1798
.LBB41_3848:
	v_mov_b32_e32 v19, 0
	v_cmp_ne_u16_sdwa s[8:9], v8, v19 src0_sel:BYTE_0 src1_sel:DWORD
	s_andn2_b64 s[4:5], s[4:5], exec
	s_and_b64 s[8:9], s[8:9], exec
	s_or_b64 s[4:5], s[4:5], s[8:9]
	s_or_b64 exec, exec, s[6:7]
	s_and_saveexec_b64 s[6:7], s[4:5]
	s_cbranch_execnz .LBB41_1799
	s_branch .LBB41_1800
.LBB41_3849:
	s_movk_i32 s4, 0x80
	v_cmp_eq_u16_sdwa s[12:13], v19, s4 src0_sel:BYTE_0 src1_sel:DWORD
	s_mov_b64 s[4:5], -1
                                        ; implicit-def: $sgpr10
	s_and_saveexec_b64 s[8:9], s[12:13]
; %bb.3850:
	s_mov_b32 s10, 0x7f800001
	s_xor_b64 s[4:5], exec, -1
; %bb.3851:
	s_or_b64 exec, exec, s[8:9]
	s_and_b64 s[4:5], s[4:5], exec
	s_or_saveexec_b64 s[6:7], s[6:7]
	v_mov_b32_e32 v18, s10
	s_xor_b64 exec, exec, s[6:7]
	s_cbranch_execz .LBB41_1802
.LBB41_3852:
	v_mov_b32_e32 v18, 0
	v_cmp_ne_u16_sdwa s[8:9], v19, v18 src0_sel:BYTE_0 src1_sel:DWORD
	s_andn2_b64 s[4:5], s[4:5], exec
	s_and_b64 s[8:9], s[8:9], exec
	s_or_b64 s[4:5], s[4:5], s[8:9]
	s_or_b64 exec, exec, s[6:7]
	s_and_saveexec_b64 s[6:7], s[4:5]
	s_cbranch_execnz .LBB41_1803
	s_branch .LBB41_1804
.LBB41_3853:
	s_movk_i32 s4, 0x80
	v_cmp_eq_u16_sdwa s[12:13], v19, s4 src0_sel:BYTE_0 src1_sel:DWORD
	s_mov_b64 s[4:5], -1
                                        ; implicit-def: $sgpr10
	s_and_saveexec_b64 s[8:9], s[12:13]
; %bb.3854:
	s_mov_b32 s10, 0x7f800001
	s_xor_b64 s[4:5], exec, -1
; %bb.3855:
	s_or_b64 exec, exec, s[8:9]
	s_and_b64 s[4:5], s[4:5], exec
	s_or_saveexec_b64 s[6:7], s[6:7]
	v_mov_b32_e32 v20, s10
	s_xor_b64 exec, exec, s[6:7]
	s_cbranch_execz .LBB41_1806
.LBB41_3856:
	v_mov_b32_e32 v20, 0
	v_cmp_ne_u16_sdwa s[8:9], v19, v20 src0_sel:BYTE_0 src1_sel:DWORD
	s_andn2_b64 s[4:5], s[4:5], exec
	s_and_b64 s[8:9], s[8:9], exec
	s_or_b64 s[4:5], s[4:5], s[8:9]
	s_or_b64 exec, exec, s[6:7]
	s_and_saveexec_b64 s[6:7], s[4:5]
	s_cbranch_execnz .LBB41_1807
	s_branch .LBB41_1808
.LBB41_3857:
	s_movk_i32 s4, 0x80
	v_cmp_eq_u16_e32 vcc, s4, v19
	s_mov_b64 s[4:5], -1
                                        ; implicit-def: $sgpr10
	s_and_saveexec_b64 s[8:9], vcc
; %bb.3858:
	s_mov_b32 s10, 0x7f800001
	s_xor_b64 s[4:5], exec, -1
; %bb.3859:
	s_or_b64 exec, exec, s[8:9]
	s_and_b64 s[4:5], s[4:5], exec
                                        ; implicit-def: $vgpr19
	s_or_saveexec_b64 s[6:7], s[6:7]
	v_mov_b32_e32 v18, s10
	s_xor_b64 exec, exec, s[6:7]
	s_cbranch_execz .LBB41_1810
.LBB41_3860:
	v_cmp_ne_u16_e32 vcc, 0, v19
	s_andn2_b64 s[4:5], s[4:5], exec
	s_and_b64 s[8:9], vcc, exec
	v_mov_b32_e32 v18, 0
	s_or_b64 s[4:5], s[4:5], s[8:9]
	s_or_b64 exec, exec, s[6:7]
	s_and_saveexec_b64 s[6:7], s[4:5]
	s_cbranch_execnz .LBB41_1811
	s_branch .LBB41_1812
.LBB41_3861:
	s_movk_i32 s4, 0x80
	v_cmp_eq_u16_e32 vcc, s4, v19
	s_mov_b64 s[4:5], -1
                                        ; implicit-def: $sgpr10
	s_and_saveexec_b64 s[8:9], vcc
; %bb.3862:
	s_mov_b32 s10, 0x7f800001
	s_xor_b64 s[4:5], exec, -1
; %bb.3863:
	s_or_b64 exec, exec, s[8:9]
	s_and_b64 s[4:5], s[4:5], exec
                                        ; implicit-def: $vgpr19
	s_or_saveexec_b64 s[6:7], s[6:7]
	v_mov_b32_e32 v20, s10
	s_xor_b64 exec, exec, s[6:7]
	s_cbranch_execz .LBB41_1814
.LBB41_3864:
	v_cmp_ne_u16_e32 vcc, 0, v19
	s_andn2_b64 s[4:5], s[4:5], exec
	s_and_b64 s[8:9], vcc, exec
	v_mov_b32_e32 v20, 0
	s_or_b64 s[4:5], s[4:5], s[8:9]
	s_or_b64 exec, exec, s[6:7]
	s_and_saveexec_b64 s[6:7], s[4:5]
	s_cbranch_execnz .LBB41_1815
	s_branch .LBB41_1816
.LBB41_3865:
	s_movk_i32 s4, 0x80
	v_cmp_eq_u16_sdwa s[12:13], v12, s4 src0_sel:BYTE_3 src1_sel:DWORD
	s_mov_b64 s[4:5], -1
                                        ; implicit-def: $sgpr10
	s_and_saveexec_b64 s[8:9], s[12:13]
; %bb.3866:
	s_mov_b32 s10, 0x7f800001
	s_xor_b64 s[4:5], exec, -1
; %bb.3867:
	s_or_b64 exec, exec, s[8:9]
	s_and_b64 s[4:5], s[4:5], exec
	s_or_saveexec_b64 s[6:7], s[6:7]
	v_mov_b32_e32 v18, s10
	s_xor_b64 exec, exec, s[6:7]
	s_cbranch_execz .LBB41_1818
.LBB41_3868:
	v_mov_b32_e32 v18, 0
	v_cmp_ne_u16_sdwa s[8:9], v12, v18 src0_sel:BYTE_3 src1_sel:DWORD
	s_andn2_b64 s[4:5], s[4:5], exec
	s_and_b64 s[8:9], s[8:9], exec
	s_or_b64 s[4:5], s[4:5], s[8:9]
	s_or_b64 exec, exec, s[6:7]
	s_and_saveexec_b64 s[6:7], s[4:5]
	s_cbranch_execnz .LBB41_1819
	s_branch .LBB41_1820
.LBB41_3869:
	s_movk_i32 s4, 0x80
	v_cmp_eq_u16_sdwa s[12:13], v8, s4 src0_sel:BYTE_3 src1_sel:DWORD
	s_mov_b64 s[4:5], -1
                                        ; implicit-def: $sgpr10
	s_and_saveexec_b64 s[8:9], s[12:13]
; %bb.3870:
	s_mov_b32 s10, 0x7f800001
	s_xor_b64 s[4:5], exec, -1
; %bb.3871:
	s_or_b64 exec, exec, s[8:9]
	s_and_b64 s[4:5], s[4:5], exec
	s_or_saveexec_b64 s[6:7], s[6:7]
	v_mov_b32_e32 v12, s10
	s_xor_b64 exec, exec, s[6:7]
	s_cbranch_execz .LBB41_1822
.LBB41_3872:
	v_mov_b32_e32 v12, 0
	v_cmp_ne_u16_sdwa s[8:9], v8, v12 src0_sel:BYTE_3 src1_sel:DWORD
	s_andn2_b64 s[4:5], s[4:5], exec
	s_and_b64 s[8:9], s[8:9], exec
	s_or_b64 s[4:5], s[4:5], s[8:9]
	s_or_b64 exec, exec, s[6:7]
	s_and_saveexec_b64 s[6:7], s[4:5]
	s_cbranch_execnz .LBB41_1823
	s_branch .LBB41_1824
.LBB41_3873:
	s_movk_i32 s4, 0x80
	v_cmp_eq_u16_sdwa s[12:13], v13, s4 src0_sel:BYTE_0 src1_sel:DWORD
	s_mov_b64 s[4:5], -1
                                        ; implicit-def: $sgpr10
	s_and_saveexec_b64 s[8:9], s[12:13]
; %bb.3874:
	s_mov_b32 s10, 0x7f800001
	s_xor_b64 s[4:5], exec, -1
; %bb.3875:
	s_or_b64 exec, exec, s[8:9]
	s_and_b64 s[4:5], s[4:5], exec
	s_or_saveexec_b64 s[6:7], s[6:7]
	v_mov_b32_e32 v8, s10
	s_xor_b64 exec, exec, s[6:7]
	s_cbranch_execz .LBB41_1826
.LBB41_3876:
	v_mov_b32_e32 v8, 0
	v_cmp_ne_u16_sdwa s[8:9], v13, v8 src0_sel:BYTE_0 src1_sel:DWORD
	s_andn2_b64 s[4:5], s[4:5], exec
	s_and_b64 s[8:9], s[8:9], exec
	s_or_b64 s[4:5], s[4:5], s[8:9]
	s_or_b64 exec, exec, s[6:7]
	s_and_saveexec_b64 s[6:7], s[4:5]
	s_cbranch_execnz .LBB41_1827
	s_branch .LBB41_1828
.LBB41_3877:
	s_movk_i32 s4, 0x80
	v_cmp_eq_u16_sdwa s[12:13], v9, s4 src0_sel:BYTE_0 src1_sel:DWORD
	s_mov_b64 s[4:5], -1
                                        ; implicit-def: $sgpr10
	s_and_saveexec_b64 s[8:9], s[12:13]
; %bb.3878:
	s_mov_b32 s10, 0x7f800001
	s_xor_b64 s[4:5], exec, -1
; %bb.3879:
	s_or_b64 exec, exec, s[8:9]
	s_and_b64 s[4:5], s[4:5], exec
	s_or_saveexec_b64 s[6:7], s[6:7]
	v_mov_b32_e32 v12, s10
	s_xor_b64 exec, exec, s[6:7]
	s_cbranch_execz .LBB41_1830
.LBB41_3880:
	v_mov_b32_e32 v12, 0
	v_cmp_ne_u16_sdwa s[8:9], v9, v12 src0_sel:BYTE_0 src1_sel:DWORD
	s_andn2_b64 s[4:5], s[4:5], exec
	s_and_b64 s[8:9], s[8:9], exec
	s_or_b64 s[4:5], s[4:5], s[8:9]
	s_or_b64 exec, exec, s[6:7]
	s_and_saveexec_b64 s[6:7], s[4:5]
	s_cbranch_execnz .LBB41_1831
	s_branch .LBB41_1832
.LBB41_3881:
	s_movk_i32 s4, 0x80
	v_cmp_eq_u16_sdwa s[12:13], v12, s4 src0_sel:BYTE_0 src1_sel:DWORD
	s_mov_b64 s[4:5], -1
                                        ; implicit-def: $sgpr10
	s_and_saveexec_b64 s[8:9], s[12:13]
; %bb.3882:
	s_mov_b32 s10, 0x7f800001
	s_xor_b64 s[4:5], exec, -1
; %bb.3883:
	s_or_b64 exec, exec, s[8:9]
	s_and_b64 s[4:5], s[4:5], exec
	s_or_saveexec_b64 s[6:7], s[6:7]
	v_mov_b32_e32 v8, s10
	s_xor_b64 exec, exec, s[6:7]
	s_cbranch_execz .LBB41_1834
.LBB41_3884:
	v_mov_b32_e32 v8, 0
	v_cmp_ne_u16_sdwa s[8:9], v12, v8 src0_sel:BYTE_0 src1_sel:DWORD
	s_andn2_b64 s[4:5], s[4:5], exec
	s_and_b64 s[8:9], s[8:9], exec
	s_or_b64 s[4:5], s[4:5], s[8:9]
	s_or_b64 exec, exec, s[6:7]
	s_and_saveexec_b64 s[6:7], s[4:5]
	s_cbranch_execnz .LBB41_1835
	s_branch .LBB41_1836
.LBB41_3885:
	s_movk_i32 s4, 0x80
	v_cmp_eq_u16_sdwa s[12:13], v12, s4 src0_sel:BYTE_0 src1_sel:DWORD
	s_mov_b64 s[4:5], -1
                                        ; implicit-def: $sgpr10
	s_and_saveexec_b64 s[8:9], s[12:13]
; %bb.3886:
	s_mov_b32 s10, 0x7f800001
	s_xor_b64 s[4:5], exec, -1
; %bb.3887:
	s_or_b64 exec, exec, s[8:9]
	s_and_b64 s[4:5], s[4:5], exec
	s_or_saveexec_b64 s[6:7], s[6:7]
	v_mov_b32_e32 v18, s10
	s_xor_b64 exec, exec, s[6:7]
	s_cbranch_execz .LBB41_1838
.LBB41_3888:
	v_mov_b32_e32 v18, 0
	v_cmp_ne_u16_sdwa s[8:9], v12, v18 src0_sel:BYTE_0 src1_sel:DWORD
	s_andn2_b64 s[4:5], s[4:5], exec
	s_and_b64 s[8:9], s[8:9], exec
	s_or_b64 s[4:5], s[4:5], s[8:9]
	s_or_b64 exec, exec, s[6:7]
	s_and_saveexec_b64 s[6:7], s[4:5]
	s_cbranch_execnz .LBB41_1839
	s_branch .LBB41_1840
.LBB41_3889:
	s_movk_i32 s4, 0x80
	v_cmp_eq_u16_e32 vcc, s4, v12
	s_mov_b64 s[4:5], -1
                                        ; implicit-def: $sgpr10
	s_and_saveexec_b64 s[8:9], vcc
; %bb.3890:
	s_mov_b32 s10, 0x7f800001
	s_xor_b64 s[4:5], exec, -1
; %bb.3891:
	s_or_b64 exec, exec, s[8:9]
	s_and_b64 s[4:5], s[4:5], exec
                                        ; implicit-def: $vgpr12
	s_or_saveexec_b64 s[6:7], s[6:7]
	v_mov_b32_e32 v8, s10
	s_xor_b64 exec, exec, s[6:7]
	s_cbranch_execz .LBB41_1842
.LBB41_3892:
	v_cmp_ne_u16_e32 vcc, 0, v12
	s_andn2_b64 s[4:5], s[4:5], exec
	s_and_b64 s[8:9], vcc, exec
	v_mov_b32_e32 v8, 0
	s_or_b64 s[4:5], s[4:5], s[8:9]
	s_or_b64 exec, exec, s[6:7]
	s_and_saveexec_b64 s[6:7], s[4:5]
	s_cbranch_execnz .LBB41_1843
	s_branch .LBB41_1844
.LBB41_3893:
	s_movk_i32 s4, 0x80
	v_cmp_eq_u16_e32 vcc, s4, v12
	s_mov_b64 s[4:5], -1
                                        ; implicit-def: $sgpr10
	s_and_saveexec_b64 s[8:9], vcc
; %bb.3894:
	s_mov_b32 s10, 0x7f800001
	s_xor_b64 s[4:5], exec, -1
; %bb.3895:
	s_or_b64 exec, exec, s[8:9]
	s_and_b64 s[4:5], s[4:5], exec
                                        ; implicit-def: $vgpr12
	s_or_saveexec_b64 s[6:7], s[6:7]
	v_mov_b32_e32 v18, s10
	s_xor_b64 exec, exec, s[6:7]
	s_cbranch_execz .LBB41_1846
.LBB41_3896:
	v_cmp_ne_u16_e32 vcc, 0, v12
	s_andn2_b64 s[4:5], s[4:5], exec
	s_and_b64 s[8:9], vcc, exec
	v_mov_b32_e32 v18, 0
	s_or_b64 s[4:5], s[4:5], s[8:9]
	s_or_b64 exec, exec, s[6:7]
	s_and_saveexec_b64 s[6:7], s[4:5]
	s_cbranch_execnz .LBB41_1847
	s_branch .LBB41_1848
.LBB41_3897:
	s_movk_i32 s4, 0x80
	v_cmp_eq_u16_sdwa s[12:13], v13, s4 src0_sel:BYTE_3 src1_sel:DWORD
	s_mov_b64 s[4:5], -1
                                        ; implicit-def: $sgpr10
	s_and_saveexec_b64 s[8:9], s[12:13]
; %bb.3898:
	s_mov_b32 s10, 0x7f800001
	s_xor_b64 s[4:5], exec, -1
; %bb.3899:
	s_or_b64 exec, exec, s[8:9]
	s_and_b64 s[4:5], s[4:5], exec
	s_or_saveexec_b64 s[6:7], s[6:7]
	v_mov_b32_e32 v8, s10
	s_xor_b64 exec, exec, s[6:7]
	s_cbranch_execz .LBB41_1850
.LBB41_3900:
	v_mov_b32_e32 v8, 0
	v_cmp_ne_u16_sdwa s[8:9], v13, v8 src0_sel:BYTE_3 src1_sel:DWORD
	s_andn2_b64 s[4:5], s[4:5], exec
	s_and_b64 s[8:9], s[8:9], exec
	s_or_b64 s[4:5], s[4:5], s[8:9]
	s_or_b64 exec, exec, s[6:7]
	s_and_saveexec_b64 s[6:7], s[4:5]
	s_cbranch_execnz .LBB41_1851
	s_branch .LBB41_1852
.LBB41_3901:
	s_movk_i32 s4, 0x80
	v_cmp_eq_u16_sdwa s[12:13], v9, s4 src0_sel:BYTE_3 src1_sel:DWORD
	s_mov_b64 s[4:5], -1
                                        ; implicit-def: $sgpr10
	s_and_saveexec_b64 s[8:9], s[12:13]
; %bb.3902:
	s_mov_b32 s10, 0x7f800001
	s_xor_b64 s[4:5], exec, -1
; %bb.3903:
	s_or_b64 exec, exec, s[8:9]
	s_and_b64 s[4:5], s[4:5], exec
	s_or_saveexec_b64 s[6:7], s[6:7]
	v_mov_b32_e32 v12, s10
	s_xor_b64 exec, exec, s[6:7]
	s_cbranch_execz .LBB41_1854
.LBB41_3904:
	v_mov_b32_e32 v12, 0
	v_cmp_ne_u16_sdwa s[8:9], v9, v12 src0_sel:BYTE_3 src1_sel:DWORD
	s_andn2_b64 s[4:5], s[4:5], exec
	s_and_b64 s[8:9], s[8:9], exec
	s_or_b64 s[4:5], s[4:5], s[8:9]
	s_or_b64 exec, exec, s[6:7]
	s_and_saveexec_b64 s[6:7], s[4:5]
	s_cbranch_execnz .LBB41_1855
	s_branch .LBB41_1856
.LBB41_3905:
	s_movk_i32 s4, 0x80
	v_cmp_eq_u16_sdwa s[12:13], v14, s4 src0_sel:BYTE_0 src1_sel:DWORD
	s_mov_b64 s[4:5], -1
                                        ; implicit-def: $sgpr10
	s_and_saveexec_b64 s[8:9], s[12:13]
; %bb.3906:
	s_mov_b32 s10, 0x7f800001
	s_xor_b64 s[4:5], exec, -1
; %bb.3907:
	s_or_b64 exec, exec, s[8:9]
	s_and_b64 s[4:5], s[4:5], exec
	s_or_saveexec_b64 s[6:7], s[6:7]
	v_mov_b32_e32 v8, s10
	s_xor_b64 exec, exec, s[6:7]
	s_cbranch_execz .LBB41_1858
.LBB41_3908:
	v_mov_b32_e32 v8, 0
	v_cmp_ne_u16_sdwa s[8:9], v14, v8 src0_sel:BYTE_0 src1_sel:DWORD
	s_andn2_b64 s[4:5], s[4:5], exec
	s_and_b64 s[8:9], s[8:9], exec
	s_or_b64 s[4:5], s[4:5], s[8:9]
	s_or_b64 exec, exec, s[6:7]
	s_and_saveexec_b64 s[6:7], s[4:5]
	s_cbranch_execnz .LBB41_1859
	s_branch .LBB41_1860
.LBB41_3909:
	s_movk_i32 s4, 0x80
	v_cmp_eq_u16_sdwa s[12:13], v10, s4 src0_sel:BYTE_0 src1_sel:DWORD
	s_mov_b64 s[4:5], -1
                                        ; implicit-def: $sgpr10
	s_and_saveexec_b64 s[8:9], s[12:13]
; %bb.3910:
	s_mov_b32 s10, 0x7f800001
	s_xor_b64 s[4:5], exec, -1
; %bb.3911:
	s_or_b64 exec, exec, s[8:9]
	s_and_b64 s[4:5], s[4:5], exec
	s_or_saveexec_b64 s[6:7], s[6:7]
	v_mov_b32_e32 v9, s10
	s_xor_b64 exec, exec, s[6:7]
	s_cbranch_execz .LBB41_1862
.LBB41_3912:
	v_mov_b32_e32 v9, 0
	v_cmp_ne_u16_sdwa s[8:9], v10, v9 src0_sel:BYTE_0 src1_sel:DWORD
	s_andn2_b64 s[4:5], s[4:5], exec
	s_and_b64 s[8:9], s[8:9], exec
	s_or_b64 s[4:5], s[4:5], s[8:9]
	s_or_b64 exec, exec, s[6:7]
	s_and_saveexec_b64 s[6:7], s[4:5]
	s_cbranch_execnz .LBB41_1863
	s_branch .LBB41_1864
.LBB41_3913:
	s_movk_i32 s4, 0x80
	v_cmp_eq_u16_sdwa s[12:13], v9, s4 src0_sel:BYTE_0 src1_sel:DWORD
	s_mov_b64 s[4:5], -1
                                        ; implicit-def: $sgpr10
	s_and_saveexec_b64 s[8:9], s[12:13]
; %bb.3914:
	s_mov_b32 s10, 0x7f800001
	s_xor_b64 s[4:5], exec, -1
; %bb.3915:
	s_or_b64 exec, exec, s[8:9]
	s_and_b64 s[4:5], s[4:5], exec
	s_or_saveexec_b64 s[6:7], s[6:7]
	v_mov_b32_e32 v8, s10
	s_xor_b64 exec, exec, s[6:7]
	s_cbranch_execz .LBB41_1866
.LBB41_3916:
	v_mov_b32_e32 v8, 0
	v_cmp_ne_u16_sdwa s[8:9], v9, v8 src0_sel:BYTE_0 src1_sel:DWORD
	s_andn2_b64 s[4:5], s[4:5], exec
	s_and_b64 s[8:9], s[8:9], exec
	s_or_b64 s[4:5], s[4:5], s[8:9]
	s_or_b64 exec, exec, s[6:7]
	s_and_saveexec_b64 s[6:7], s[4:5]
	s_cbranch_execnz .LBB41_1867
	s_branch .LBB41_1868
.LBB41_3917:
	s_movk_i32 s4, 0x80
	v_cmp_eq_u16_sdwa s[12:13], v9, s4 src0_sel:BYTE_0 src1_sel:DWORD
	s_mov_b64 s[4:5], -1
                                        ; implicit-def: $sgpr10
	s_and_saveexec_b64 s[8:9], s[12:13]
; %bb.3918:
	s_mov_b32 s10, 0x7f800001
	s_xor_b64 s[4:5], exec, -1
; %bb.3919:
	s_or_b64 exec, exec, s[8:9]
	s_and_b64 s[4:5], s[4:5], exec
	s_or_saveexec_b64 s[6:7], s[6:7]
	v_mov_b32_e32 v12, s10
	s_xor_b64 exec, exec, s[6:7]
	s_cbranch_execz .LBB41_1870
.LBB41_3920:
	v_mov_b32_e32 v12, 0
	v_cmp_ne_u16_sdwa s[8:9], v9, v12 src0_sel:BYTE_0 src1_sel:DWORD
	s_andn2_b64 s[4:5], s[4:5], exec
	s_and_b64 s[8:9], s[8:9], exec
	s_or_b64 s[4:5], s[4:5], s[8:9]
	s_or_b64 exec, exec, s[6:7]
	s_and_saveexec_b64 s[6:7], s[4:5]
	s_cbranch_execnz .LBB41_1871
	s_branch .LBB41_1872
.LBB41_3921:
	s_movk_i32 s4, 0x80
	v_cmp_eq_u16_e32 vcc, s4, v9
	s_mov_b64 s[4:5], -1
                                        ; implicit-def: $sgpr10
	s_and_saveexec_b64 s[8:9], vcc
; %bb.3922:
	s_mov_b32 s10, 0x7f800001
	s_xor_b64 s[4:5], exec, -1
; %bb.3923:
	s_or_b64 exec, exec, s[8:9]
	s_and_b64 s[4:5], s[4:5], exec
                                        ; implicit-def: $vgpr9
	s_or_saveexec_b64 s[6:7], s[6:7]
	v_mov_b32_e32 v8, s10
	s_xor_b64 exec, exec, s[6:7]
	s_cbranch_execz .LBB41_1874
.LBB41_3924:
	v_cmp_ne_u16_e32 vcc, 0, v9
	s_andn2_b64 s[4:5], s[4:5], exec
	s_and_b64 s[8:9], vcc, exec
	v_mov_b32_e32 v8, 0
	s_or_b64 s[4:5], s[4:5], s[8:9]
	s_or_b64 exec, exec, s[6:7]
	s_and_saveexec_b64 s[6:7], s[4:5]
	s_cbranch_execnz .LBB41_1875
	s_branch .LBB41_1876
.LBB41_3925:
	s_movk_i32 s4, 0x80
	v_cmp_eq_u16_e32 vcc, s4, v9
	s_mov_b64 s[4:5], -1
                                        ; implicit-def: $sgpr10
	s_and_saveexec_b64 s[8:9], vcc
; %bb.3926:
	s_mov_b32 s10, 0x7f800001
	s_xor_b64 s[4:5], exec, -1
; %bb.3927:
	s_or_b64 exec, exec, s[8:9]
	s_and_b64 s[4:5], s[4:5], exec
                                        ; implicit-def: $vgpr9
	s_or_saveexec_b64 s[6:7], s[6:7]
	v_mov_b32_e32 v12, s10
	s_xor_b64 exec, exec, s[6:7]
	s_cbranch_execz .LBB41_1878
.LBB41_3928:
	v_cmp_ne_u16_e32 vcc, 0, v9
	s_andn2_b64 s[4:5], s[4:5], exec
	s_and_b64 s[8:9], vcc, exec
	v_mov_b32_e32 v12, 0
	s_or_b64 s[4:5], s[4:5], s[8:9]
	s_or_b64 exec, exec, s[6:7]
	s_and_saveexec_b64 s[6:7], s[4:5]
	s_cbranch_execnz .LBB41_1879
	s_branch .LBB41_1880
.LBB41_3929:
	s_movk_i32 s4, 0x80
	v_cmp_eq_u16_sdwa s[12:13], v14, s4 src0_sel:BYTE_3 src1_sel:DWORD
	s_mov_b64 s[4:5], -1
                                        ; implicit-def: $sgpr10
	s_and_saveexec_b64 s[8:9], s[12:13]
; %bb.3930:
	s_mov_b32 s10, 0x7f800001
	s_xor_b64 s[4:5], exec, -1
; %bb.3931:
	s_or_b64 exec, exec, s[8:9]
	s_and_b64 s[4:5], s[4:5], exec
	s_or_saveexec_b64 s[6:7], s[6:7]
	v_mov_b32_e32 v8, s10
	s_xor_b64 exec, exec, s[6:7]
	s_cbranch_execz .LBB41_1882
.LBB41_3932:
	v_mov_b32_e32 v8, 0
	v_cmp_ne_u16_sdwa s[8:9], v14, v8 src0_sel:BYTE_3 src1_sel:DWORD
	s_andn2_b64 s[4:5], s[4:5], exec
	s_and_b64 s[8:9], s[8:9], exec
	s_or_b64 s[4:5], s[4:5], s[8:9]
	s_or_b64 exec, exec, s[6:7]
	s_and_saveexec_b64 s[6:7], s[4:5]
	s_cbranch_execnz .LBB41_1883
	s_branch .LBB41_1884
.LBB41_3933:
	s_movk_i32 s4, 0x80
	v_cmp_eq_u16_sdwa s[12:13], v10, s4 src0_sel:BYTE_3 src1_sel:DWORD
	s_mov_b64 s[4:5], -1
                                        ; implicit-def: $sgpr10
	s_and_saveexec_b64 s[8:9], s[12:13]
; %bb.3934:
	s_mov_b32 s10, 0x7f800001
	s_xor_b64 s[4:5], exec, -1
; %bb.3935:
	s_or_b64 exec, exec, s[8:9]
	s_and_b64 s[4:5], s[4:5], exec
	s_or_saveexec_b64 s[6:7], s[6:7]
	v_mov_b32_e32 v9, s10
	s_xor_b64 exec, exec, s[6:7]
	s_cbranch_execz .LBB41_1886
.LBB41_3936:
	v_mov_b32_e32 v9, 0
	v_cmp_ne_u16_sdwa s[8:9], v10, v9 src0_sel:BYTE_3 src1_sel:DWORD
	s_andn2_b64 s[4:5], s[4:5], exec
	s_and_b64 s[8:9], s[8:9], exec
	s_or_b64 s[4:5], s[4:5], s[8:9]
	s_or_b64 exec, exec, s[6:7]
	s_and_saveexec_b64 s[6:7], s[4:5]
	s_cbranch_execnz .LBB41_1887
	s_branch .LBB41_1888
.LBB41_3937:
	s_movk_i32 s4, 0x80
	v_cmp_eq_u16_sdwa s[12:13], v15, s4 src0_sel:BYTE_0 src1_sel:DWORD
	s_mov_b64 s[4:5], -1
                                        ; implicit-def: $sgpr10
	s_and_saveexec_b64 s[8:9], s[12:13]
; %bb.3938:
	s_mov_b32 s10, 0x7f800001
	s_xor_b64 s[4:5], exec, -1
; %bb.3939:
	s_or_b64 exec, exec, s[8:9]
	s_and_b64 s[4:5], s[4:5], exec
	s_or_saveexec_b64 s[6:7], s[6:7]
	v_mov_b32_e32 v8, s10
	s_xor_b64 exec, exec, s[6:7]
	s_cbranch_execz .LBB41_1890
.LBB41_3940:
	v_mov_b32_e32 v8, 0
	v_cmp_ne_u16_sdwa s[8:9], v15, v8 src0_sel:BYTE_0 src1_sel:DWORD
	s_andn2_b64 s[4:5], s[4:5], exec
	s_and_b64 s[8:9], s[8:9], exec
	s_or_b64 s[4:5], s[4:5], s[8:9]
	s_or_b64 exec, exec, s[6:7]
	s_and_saveexec_b64 s[6:7], s[4:5]
	s_cbranch_execnz .LBB41_1891
	s_branch .LBB41_1892
.LBB41_3941:
	s_movk_i32 s4, 0x80
	v_cmp_eq_u16_sdwa s[12:13], v11, s4 src0_sel:BYTE_0 src1_sel:DWORD
	s_mov_b64 s[4:5], -1
                                        ; implicit-def: $sgpr10
	s_and_saveexec_b64 s[8:9], s[12:13]
; %bb.3942:
	s_mov_b32 s10, 0x7f800001
	s_xor_b64 s[4:5], exec, -1
; %bb.3943:
	s_or_b64 exec, exec, s[8:9]
	s_and_b64 s[4:5], s[4:5], exec
	s_or_saveexec_b64 s[6:7], s[6:7]
	v_mov_b32_e32 v9, s10
	s_xor_b64 exec, exec, s[6:7]
	s_cbranch_execz .LBB41_1894
.LBB41_3944:
	v_mov_b32_e32 v9, 0
	v_cmp_ne_u16_sdwa s[8:9], v11, v9 src0_sel:BYTE_0 src1_sel:DWORD
	s_andn2_b64 s[4:5], s[4:5], exec
	s_and_b64 s[8:9], s[8:9], exec
	s_or_b64 s[4:5], s[4:5], s[8:9]
	s_or_b64 exec, exec, s[6:7]
	s_and_saveexec_b64 s[6:7], s[4:5]
	s_cbranch_execnz .LBB41_1895
	s_branch .LBB41_1896
.LBB41_3945:
	s_movk_i32 s4, 0x80
	v_cmp_eq_u16_sdwa s[12:13], v9, s4 src0_sel:BYTE_0 src1_sel:DWORD
	s_mov_b64 s[4:5], -1
                                        ; implicit-def: $sgpr10
	s_and_saveexec_b64 s[8:9], s[12:13]
; %bb.3946:
	s_mov_b32 s10, 0x7f800001
	s_xor_b64 s[4:5], exec, -1
; %bb.3947:
	s_or_b64 exec, exec, s[8:9]
	s_and_b64 s[4:5], s[4:5], exec
	s_or_saveexec_b64 s[6:7], s[6:7]
	v_mov_b32_e32 v8, s10
	s_xor_b64 exec, exec, s[6:7]
	s_cbranch_execz .LBB41_1898
.LBB41_3948:
	v_mov_b32_e32 v8, 0
	v_cmp_ne_u16_sdwa s[8:9], v9, v8 src0_sel:BYTE_0 src1_sel:DWORD
	s_andn2_b64 s[4:5], s[4:5], exec
	s_and_b64 s[8:9], s[8:9], exec
	s_or_b64 s[4:5], s[4:5], s[8:9]
	s_or_b64 exec, exec, s[6:7]
	s_and_saveexec_b64 s[6:7], s[4:5]
	s_cbranch_execnz .LBB41_1899
	s_branch .LBB41_1900
.LBB41_3949:
	s_movk_i32 s4, 0x80
	v_cmp_eq_u16_sdwa s[12:13], v9, s4 src0_sel:BYTE_0 src1_sel:DWORD
	s_mov_b64 s[4:5], -1
                                        ; implicit-def: $sgpr10
	s_and_saveexec_b64 s[8:9], s[12:13]
; %bb.3950:
	s_mov_b32 s10, 0x7f800001
	s_xor_b64 s[4:5], exec, -1
; %bb.3951:
	s_or_b64 exec, exec, s[8:9]
	s_and_b64 s[4:5], s[4:5], exec
	s_or_saveexec_b64 s[6:7], s[6:7]
	v_mov_b32_e32 v10, s10
	s_xor_b64 exec, exec, s[6:7]
	s_cbranch_execz .LBB41_1902
.LBB41_3952:
	v_mov_b32_e32 v10, 0
	v_cmp_ne_u16_sdwa s[8:9], v9, v10 src0_sel:BYTE_0 src1_sel:DWORD
	s_andn2_b64 s[4:5], s[4:5], exec
	s_and_b64 s[8:9], s[8:9], exec
	s_or_b64 s[4:5], s[4:5], s[8:9]
	s_or_b64 exec, exec, s[6:7]
	s_and_saveexec_b64 s[6:7], s[4:5]
	s_cbranch_execnz .LBB41_1903
	s_branch .LBB41_1904
.LBB41_3953:
	s_movk_i32 s4, 0x80
	v_cmp_eq_u16_e32 vcc, s4, v9
	s_mov_b64 s[4:5], -1
                                        ; implicit-def: $sgpr10
	s_and_saveexec_b64 s[8:9], vcc
; %bb.3954:
	s_mov_b32 s10, 0x7f800001
	s_xor_b64 s[4:5], exec, -1
; %bb.3955:
	s_or_b64 exec, exec, s[8:9]
	s_and_b64 s[4:5], s[4:5], exec
                                        ; implicit-def: $vgpr9
	s_or_saveexec_b64 s[6:7], s[6:7]
	v_mov_b32_e32 v8, s10
	s_xor_b64 exec, exec, s[6:7]
	s_cbranch_execz .LBB41_1906
.LBB41_3956:
	v_cmp_ne_u16_e32 vcc, 0, v9
	s_andn2_b64 s[4:5], s[4:5], exec
	s_and_b64 s[8:9], vcc, exec
	v_mov_b32_e32 v8, 0
	s_or_b64 s[4:5], s[4:5], s[8:9]
	s_or_b64 exec, exec, s[6:7]
	s_and_saveexec_b64 s[6:7], s[4:5]
	s_cbranch_execnz .LBB41_1907
	s_branch .LBB41_1908
.LBB41_3957:
	s_movk_i32 s4, 0x80
	v_cmp_eq_u16_e32 vcc, s4, v9
	s_mov_b64 s[4:5], -1
                                        ; implicit-def: $sgpr10
	s_and_saveexec_b64 s[8:9], vcc
; %bb.3958:
	s_mov_b32 s10, 0x7f800001
	s_xor_b64 s[4:5], exec, -1
; %bb.3959:
	s_or_b64 exec, exec, s[8:9]
	s_and_b64 s[4:5], s[4:5], exec
                                        ; implicit-def: $vgpr9
	s_or_saveexec_b64 s[6:7], s[6:7]
	v_mov_b32_e32 v10, s10
	s_xor_b64 exec, exec, s[6:7]
	s_cbranch_execz .LBB41_1910
.LBB41_3960:
	v_cmp_ne_u16_e32 vcc, 0, v9
	s_andn2_b64 s[4:5], s[4:5], exec
	s_and_b64 s[8:9], vcc, exec
	v_mov_b32_e32 v10, 0
	s_or_b64 s[4:5], s[4:5], s[8:9]
	s_or_b64 exec, exec, s[6:7]
	s_and_saveexec_b64 s[6:7], s[4:5]
	s_cbranch_execnz .LBB41_1911
	s_branch .LBB41_1912
.LBB41_3961:
	s_movk_i32 s4, 0x80
	v_cmp_eq_u16_sdwa s[12:13], v15, s4 src0_sel:BYTE_3 src1_sel:DWORD
	s_mov_b64 s[4:5], -1
                                        ; implicit-def: $sgpr10
	s_and_saveexec_b64 s[8:9], s[12:13]
; %bb.3962:
	s_mov_b32 s10, 0x7f800001
	s_xor_b64 s[4:5], exec, -1
; %bb.3963:
	s_or_b64 exec, exec, s[8:9]
	s_and_b64 s[4:5], s[4:5], exec
	s_or_saveexec_b64 s[6:7], s[6:7]
	v_mov_b32_e32 v8, s10
	s_xor_b64 exec, exec, s[6:7]
	s_cbranch_execz .LBB41_1914
.LBB41_3964:
	v_mov_b32_e32 v8, 0
	v_cmp_ne_u16_sdwa s[8:9], v15, v8 src0_sel:BYTE_3 src1_sel:DWORD
	s_andn2_b64 s[4:5], s[4:5], exec
	s_and_b64 s[8:9], s[8:9], exec
	s_or_b64 s[4:5], s[4:5], s[8:9]
	s_or_b64 exec, exec, s[6:7]
	s_and_saveexec_b64 s[6:7], s[4:5]
	s_cbranch_execnz .LBB41_1915
	s_branch .LBB41_1916
.LBB41_3965:
	s_movk_i32 s4, 0x80
	v_cmp_eq_u16_sdwa s[12:13], v11, s4 src0_sel:BYTE_3 src1_sel:DWORD
	s_mov_b64 s[4:5], -1
                                        ; implicit-def: $sgpr10
	s_and_saveexec_b64 s[8:9], s[12:13]
; %bb.3966:
	s_mov_b32 s10, 0x7f800001
	s_xor_b64 s[4:5], exec, -1
; %bb.3967:
	s_or_b64 exec, exec, s[8:9]
	s_and_b64 s[4:5], s[4:5], exec
	s_or_saveexec_b64 s[6:7], s[6:7]
	v_mov_b32_e32 v9, s10
	s_xor_b64 exec, exec, s[6:7]
	s_cbranch_execz .LBB41_1918
.LBB41_3968:
	v_mov_b32_e32 v9, 0
	v_cmp_ne_u16_sdwa s[8:9], v11, v9 src0_sel:BYTE_3 src1_sel:DWORD
	s_andn2_b64 s[4:5], s[4:5], exec
	s_and_b64 s[8:9], s[8:9], exec
	s_or_b64 s[4:5], s[4:5], s[8:9]
	s_or_b64 exec, exec, s[6:7]
	s_and_saveexec_b64 s[6:7], s[4:5]
	s_cbranch_execnz .LBB41_1919
	s_branch .LBB41_1920
.LBB41_3969:
	s_movk_i32 s4, 0x80
	v_cmp_eq_u16_sdwa s[12:13], v4, s4 src0_sel:BYTE_0 src1_sel:DWORD
	s_mov_b64 s[4:5], -1
                                        ; implicit-def: $sgpr10
	s_and_saveexec_b64 s[8:9], s[12:13]
; %bb.3970:
	s_mov_b32 s10, 0x7f800001
	s_xor_b64 s[4:5], exec, -1
; %bb.3971:
	s_or_b64 exec, exec, s[8:9]
	s_and_b64 s[4:5], s[4:5], exec
	s_or_saveexec_b64 s[6:7], s[6:7]
	v_mov_b32_e32 v8, s10
	s_xor_b64 exec, exec, s[6:7]
	s_cbranch_execz .LBB41_1922
.LBB41_3972:
	v_mov_b32_e32 v8, 0
	v_cmp_ne_u16_sdwa s[8:9], v4, v8 src0_sel:BYTE_0 src1_sel:DWORD
	s_andn2_b64 s[4:5], s[4:5], exec
	s_and_b64 s[8:9], s[8:9], exec
	s_or_b64 s[4:5], s[4:5], s[8:9]
	s_or_b64 exec, exec, s[6:7]
	s_and_saveexec_b64 s[6:7], s[4:5]
	s_cbranch_execnz .LBB41_1923
	s_branch .LBB41_1924
.LBB41_3973:
	s_movk_i32 s4, 0x80
	v_cmp_eq_u16_sdwa s[12:13], v0, s4 src0_sel:BYTE_0 src1_sel:DWORD
	s_mov_b64 s[4:5], -1
                                        ; implicit-def: $sgpr10
	s_and_saveexec_b64 s[8:9], s[12:13]
; %bb.3974:
	s_mov_b32 s10, 0x7f800001
	s_xor_b64 s[4:5], exec, -1
; %bb.3975:
	s_or_b64 exec, exec, s[8:9]
	s_and_b64 s[4:5], s[4:5], exec
	s_or_saveexec_b64 s[6:7], s[6:7]
	v_mov_b32_e32 v9, s10
	s_xor_b64 exec, exec, s[6:7]
	s_cbranch_execz .LBB41_1926
.LBB41_3976:
	v_mov_b32_e32 v9, 0
	v_cmp_ne_u16_sdwa s[8:9], v0, v9 src0_sel:BYTE_0 src1_sel:DWORD
	s_andn2_b64 s[4:5], s[4:5], exec
	s_and_b64 s[8:9], s[8:9], exec
	s_or_b64 s[4:5], s[4:5], s[8:9]
	s_or_b64 exec, exec, s[6:7]
	s_and_saveexec_b64 s[6:7], s[4:5]
	s_cbranch_execnz .LBB41_1927
	s_branch .LBB41_1928
.LBB41_3977:
	s_movk_i32 s4, 0x80
	v_cmp_eq_u16_sdwa s[12:13], v9, s4 src0_sel:BYTE_0 src1_sel:DWORD
	s_mov_b64 s[4:5], -1
                                        ; implicit-def: $sgpr10
	s_and_saveexec_b64 s[8:9], s[12:13]
; %bb.3978:
	s_mov_b32 s10, 0x7f800001
	s_xor_b64 s[4:5], exec, -1
; %bb.3979:
	s_or_b64 exec, exec, s[8:9]
	s_and_b64 s[4:5], s[4:5], exec
	s_or_saveexec_b64 s[6:7], s[6:7]
	v_mov_b32_e32 v8, s10
	s_xor_b64 exec, exec, s[6:7]
	s_cbranch_execz .LBB41_1930
.LBB41_3980:
	v_mov_b32_e32 v8, 0
	v_cmp_ne_u16_sdwa s[8:9], v9, v8 src0_sel:BYTE_0 src1_sel:DWORD
	s_andn2_b64 s[4:5], s[4:5], exec
	s_and_b64 s[8:9], s[8:9], exec
	s_or_b64 s[4:5], s[4:5], s[8:9]
	s_or_b64 exec, exec, s[6:7]
	s_and_saveexec_b64 s[6:7], s[4:5]
	s_cbranch_execnz .LBB41_1931
	s_branch .LBB41_1932
.LBB41_3981:
	s_movk_i32 s4, 0x80
	v_cmp_eq_u16_sdwa s[12:13], v9, s4 src0_sel:BYTE_0 src1_sel:DWORD
	s_mov_b64 s[4:5], -1
                                        ; implicit-def: $sgpr10
	s_and_saveexec_b64 s[8:9], s[12:13]
; %bb.3982:
	s_mov_b32 s10, 0x7f800001
	s_xor_b64 s[4:5], exec, -1
; %bb.3983:
	s_or_b64 exec, exec, s[8:9]
	s_and_b64 s[4:5], s[4:5], exec
	s_or_saveexec_b64 s[6:7], s[6:7]
	v_mov_b32_e32 v10, s10
	s_xor_b64 exec, exec, s[6:7]
	s_cbranch_execz .LBB41_1934
.LBB41_3984:
	v_mov_b32_e32 v10, 0
	v_cmp_ne_u16_sdwa s[8:9], v9, v10 src0_sel:BYTE_0 src1_sel:DWORD
	s_andn2_b64 s[4:5], s[4:5], exec
	s_and_b64 s[8:9], s[8:9], exec
	s_or_b64 s[4:5], s[4:5], s[8:9]
	s_or_b64 exec, exec, s[6:7]
	s_and_saveexec_b64 s[6:7], s[4:5]
	s_cbranch_execnz .LBB41_1935
	s_branch .LBB41_1936
.LBB41_3985:
	s_movk_i32 s4, 0x80
	v_cmp_eq_u16_e32 vcc, s4, v9
	s_mov_b64 s[4:5], -1
                                        ; implicit-def: $sgpr10
	s_and_saveexec_b64 s[8:9], vcc
; %bb.3986:
	s_mov_b32 s10, 0x7f800001
	s_xor_b64 s[4:5], exec, -1
; %bb.3987:
	s_or_b64 exec, exec, s[8:9]
	s_and_b64 s[4:5], s[4:5], exec
                                        ; implicit-def: $vgpr9
	s_or_saveexec_b64 s[6:7], s[6:7]
	v_mov_b32_e32 v8, s10
	s_xor_b64 exec, exec, s[6:7]
	s_cbranch_execz .LBB41_1938
.LBB41_3988:
	v_cmp_ne_u16_e32 vcc, 0, v9
	s_andn2_b64 s[4:5], s[4:5], exec
	s_and_b64 s[8:9], vcc, exec
	v_mov_b32_e32 v8, 0
	s_or_b64 s[4:5], s[4:5], s[8:9]
	s_or_b64 exec, exec, s[6:7]
	s_and_saveexec_b64 s[6:7], s[4:5]
	s_cbranch_execnz .LBB41_1939
	s_branch .LBB41_1940
.LBB41_3989:
	s_movk_i32 s4, 0x80
	v_cmp_eq_u16_e32 vcc, s4, v9
	s_mov_b64 s[4:5], -1
                                        ; implicit-def: $sgpr10
	s_and_saveexec_b64 s[8:9], vcc
; %bb.3990:
	s_mov_b32 s10, 0x7f800001
	s_xor_b64 s[4:5], exec, -1
; %bb.3991:
	s_or_b64 exec, exec, s[8:9]
	s_and_b64 s[4:5], s[4:5], exec
                                        ; implicit-def: $vgpr9
	s_or_saveexec_b64 s[6:7], s[6:7]
	v_mov_b32_e32 v10, s10
	s_xor_b64 exec, exec, s[6:7]
	s_cbranch_execz .LBB41_1942
.LBB41_3992:
	v_cmp_ne_u16_e32 vcc, 0, v9
	s_andn2_b64 s[4:5], s[4:5], exec
	s_and_b64 s[8:9], vcc, exec
	v_mov_b32_e32 v10, 0
	s_or_b64 s[4:5], s[4:5], s[8:9]
	s_or_b64 exec, exec, s[6:7]
	s_and_saveexec_b64 s[6:7], s[4:5]
	s_cbranch_execnz .LBB41_1943
	s_branch .LBB41_1944
.LBB41_3993:
	s_movk_i32 s4, 0x80
	v_cmp_eq_u16_sdwa s[12:13], v4, s4 src0_sel:BYTE_3 src1_sel:DWORD
	s_mov_b64 s[4:5], -1
                                        ; implicit-def: $sgpr10
	s_and_saveexec_b64 s[8:9], s[12:13]
; %bb.3994:
	s_mov_b32 s10, 0x7f800001
	s_xor_b64 s[4:5], exec, -1
; %bb.3995:
	s_or_b64 exec, exec, s[8:9]
	s_and_b64 s[4:5], s[4:5], exec
	s_or_saveexec_b64 s[6:7], s[6:7]
	v_mov_b32_e32 v8, s10
	s_xor_b64 exec, exec, s[6:7]
	s_cbranch_execz .LBB41_1946
.LBB41_3996:
	v_mov_b32_e32 v8, 0
	v_cmp_ne_u16_sdwa s[8:9], v4, v8 src0_sel:BYTE_3 src1_sel:DWORD
	s_andn2_b64 s[4:5], s[4:5], exec
	s_and_b64 s[8:9], s[8:9], exec
	s_or_b64 s[4:5], s[4:5], s[8:9]
	s_or_b64 exec, exec, s[6:7]
	s_and_saveexec_b64 s[6:7], s[4:5]
	s_cbranch_execnz .LBB41_1947
	s_branch .LBB41_1948
.LBB41_3997:
	s_movk_i32 s4, 0x80
	v_cmp_eq_u16_sdwa s[12:13], v0, s4 src0_sel:BYTE_3 src1_sel:DWORD
	s_mov_b64 s[4:5], -1
                                        ; implicit-def: $sgpr10
	s_and_saveexec_b64 s[8:9], s[12:13]
; %bb.3998:
	s_mov_b32 s10, 0x7f800001
	s_xor_b64 s[4:5], exec, -1
; %bb.3999:
	s_or_b64 exec, exec, s[8:9]
	s_and_b64 s[4:5], s[4:5], exec
	s_or_saveexec_b64 s[6:7], s[6:7]
	v_mov_b32_e32 v4, s10
	s_xor_b64 exec, exec, s[6:7]
	s_cbranch_execz .LBB41_1950
.LBB41_4000:
	v_mov_b32_e32 v4, 0
	v_cmp_ne_u16_sdwa s[8:9], v0, v4 src0_sel:BYTE_3 src1_sel:DWORD
	s_andn2_b64 s[4:5], s[4:5], exec
	s_and_b64 s[8:9], s[8:9], exec
	s_or_b64 s[4:5], s[4:5], s[8:9]
	s_or_b64 exec, exec, s[6:7]
	s_and_saveexec_b64 s[6:7], s[4:5]
	s_cbranch_execnz .LBB41_1951
	s_branch .LBB41_1952
.LBB41_4001:
	s_movk_i32 s4, 0x80
	v_cmp_eq_u16_sdwa s[12:13], v5, s4 src0_sel:BYTE_0 src1_sel:DWORD
	s_mov_b64 s[4:5], -1
                                        ; implicit-def: $sgpr10
	s_and_saveexec_b64 s[8:9], s[12:13]
; %bb.4002:
	s_mov_b32 s10, 0x7f800001
	s_xor_b64 s[4:5], exec, -1
; %bb.4003:
	s_or_b64 exec, exec, s[8:9]
	s_and_b64 s[4:5], s[4:5], exec
	s_or_saveexec_b64 s[6:7], s[6:7]
	v_mov_b32_e32 v0, s10
	s_xor_b64 exec, exec, s[6:7]
	s_cbranch_execz .LBB41_1954
.LBB41_4004:
	v_mov_b32_e32 v0, 0
	v_cmp_ne_u16_sdwa s[8:9], v5, v0 src0_sel:BYTE_0 src1_sel:DWORD
	s_andn2_b64 s[4:5], s[4:5], exec
	s_and_b64 s[8:9], s[8:9], exec
	s_or_b64 s[4:5], s[4:5], s[8:9]
	s_or_b64 exec, exec, s[6:7]
	s_and_saveexec_b64 s[6:7], s[4:5]
	s_cbranch_execnz .LBB41_1955
	s_branch .LBB41_1956
.LBB41_4005:
	s_movk_i32 s4, 0x80
	v_cmp_eq_u16_sdwa s[12:13], v1, s4 src0_sel:BYTE_0 src1_sel:DWORD
	s_mov_b64 s[4:5], -1
                                        ; implicit-def: $sgpr10
	s_and_saveexec_b64 s[8:9], s[12:13]
; %bb.4006:
	s_mov_b32 s10, 0x7f800001
	s_xor_b64 s[4:5], exec, -1
; %bb.4007:
	s_or_b64 exec, exec, s[8:9]
	s_and_b64 s[4:5], s[4:5], exec
	s_or_saveexec_b64 s[6:7], s[6:7]
	v_mov_b32_e32 v4, s10
	s_xor_b64 exec, exec, s[6:7]
	s_cbranch_execz .LBB41_1958
.LBB41_4008:
	v_mov_b32_e32 v4, 0
	v_cmp_ne_u16_sdwa s[8:9], v1, v4 src0_sel:BYTE_0 src1_sel:DWORD
	s_andn2_b64 s[4:5], s[4:5], exec
	s_and_b64 s[8:9], s[8:9], exec
	s_or_b64 s[4:5], s[4:5], s[8:9]
	s_or_b64 exec, exec, s[6:7]
	s_and_saveexec_b64 s[6:7], s[4:5]
	s_cbranch_execnz .LBB41_1959
	s_branch .LBB41_1960
.LBB41_4009:
	s_movk_i32 s4, 0x80
	v_cmp_eq_u16_sdwa s[12:13], v4, s4 src0_sel:BYTE_0 src1_sel:DWORD
	s_mov_b64 s[4:5], -1
                                        ; implicit-def: $sgpr10
	s_and_saveexec_b64 s[8:9], s[12:13]
; %bb.4010:
	s_mov_b32 s10, 0x7f800001
	s_xor_b64 s[4:5], exec, -1
; %bb.4011:
	s_or_b64 exec, exec, s[8:9]
	s_and_b64 s[4:5], s[4:5], exec
	s_or_saveexec_b64 s[6:7], s[6:7]
	v_mov_b32_e32 v0, s10
	s_xor_b64 exec, exec, s[6:7]
	s_cbranch_execz .LBB41_1962
.LBB41_4012:
	v_mov_b32_e32 v0, 0
	v_cmp_ne_u16_sdwa s[8:9], v4, v0 src0_sel:BYTE_0 src1_sel:DWORD
	s_andn2_b64 s[4:5], s[4:5], exec
	s_and_b64 s[8:9], s[8:9], exec
	s_or_b64 s[4:5], s[4:5], s[8:9]
	s_or_b64 exec, exec, s[6:7]
	s_and_saveexec_b64 s[6:7], s[4:5]
	s_cbranch_execnz .LBB41_1963
	s_branch .LBB41_1964
.LBB41_4013:
	s_movk_i32 s4, 0x80
	v_cmp_eq_u16_sdwa s[12:13], v4, s4 src0_sel:BYTE_0 src1_sel:DWORD
	s_mov_b64 s[4:5], -1
                                        ; implicit-def: $sgpr10
	s_and_saveexec_b64 s[8:9], s[12:13]
; %bb.4014:
	s_mov_b32 s10, 0x7f800001
	s_xor_b64 s[4:5], exec, -1
; %bb.4015:
	s_or_b64 exec, exec, s[8:9]
	s_and_b64 s[4:5], s[4:5], exec
	s_or_saveexec_b64 s[6:7], s[6:7]
	v_mov_b32_e32 v8, s10
	s_xor_b64 exec, exec, s[6:7]
	s_cbranch_execz .LBB41_1966
.LBB41_4016:
	v_mov_b32_e32 v8, 0
	v_cmp_ne_u16_sdwa s[8:9], v4, v8 src0_sel:BYTE_0 src1_sel:DWORD
	s_andn2_b64 s[4:5], s[4:5], exec
	s_and_b64 s[8:9], s[8:9], exec
	s_or_b64 s[4:5], s[4:5], s[8:9]
	s_or_b64 exec, exec, s[6:7]
	s_and_saveexec_b64 s[6:7], s[4:5]
	s_cbranch_execnz .LBB41_1967
	s_branch .LBB41_1968
.LBB41_4017:
	s_movk_i32 s4, 0x80
	v_cmp_eq_u16_e32 vcc, s4, v4
	s_mov_b64 s[4:5], -1
                                        ; implicit-def: $sgpr10
	s_and_saveexec_b64 s[8:9], vcc
; %bb.4018:
	s_mov_b32 s10, 0x7f800001
	s_xor_b64 s[4:5], exec, -1
; %bb.4019:
	s_or_b64 exec, exec, s[8:9]
	s_and_b64 s[4:5], s[4:5], exec
                                        ; implicit-def: $vgpr4
	s_or_saveexec_b64 s[6:7], s[6:7]
	v_mov_b32_e32 v0, s10
	s_xor_b64 exec, exec, s[6:7]
	s_cbranch_execz .LBB41_1970
.LBB41_4020:
	v_cmp_ne_u16_e32 vcc, 0, v4
	s_andn2_b64 s[4:5], s[4:5], exec
	s_and_b64 s[8:9], vcc, exec
	v_mov_b32_e32 v0, 0
	s_or_b64 s[4:5], s[4:5], s[8:9]
	s_or_b64 exec, exec, s[6:7]
	s_and_saveexec_b64 s[6:7], s[4:5]
	s_cbranch_execnz .LBB41_1971
	s_branch .LBB41_1972
.LBB41_4021:
	s_movk_i32 s4, 0x80
	v_cmp_eq_u16_e32 vcc, s4, v4
	s_mov_b64 s[4:5], -1
                                        ; implicit-def: $sgpr10
	s_and_saveexec_b64 s[8:9], vcc
; %bb.4022:
	s_mov_b32 s10, 0x7f800001
	s_xor_b64 s[4:5], exec, -1
; %bb.4023:
	s_or_b64 exec, exec, s[8:9]
	s_and_b64 s[4:5], s[4:5], exec
                                        ; implicit-def: $vgpr4
	s_or_saveexec_b64 s[6:7], s[6:7]
	v_mov_b32_e32 v8, s10
	s_xor_b64 exec, exec, s[6:7]
	s_cbranch_execz .LBB41_1974
.LBB41_4024:
	v_cmp_ne_u16_e32 vcc, 0, v4
	s_andn2_b64 s[4:5], s[4:5], exec
	s_and_b64 s[8:9], vcc, exec
	v_mov_b32_e32 v8, 0
	s_or_b64 s[4:5], s[4:5], s[8:9]
	s_or_b64 exec, exec, s[6:7]
	s_and_saveexec_b64 s[6:7], s[4:5]
	s_cbranch_execnz .LBB41_1975
	s_branch .LBB41_1976
.LBB41_4025:
	s_movk_i32 s4, 0x80
	v_cmp_eq_u16_sdwa s[12:13], v5, s4 src0_sel:BYTE_3 src1_sel:DWORD
	s_mov_b64 s[4:5], -1
                                        ; implicit-def: $sgpr10
	s_and_saveexec_b64 s[8:9], s[12:13]
; %bb.4026:
	s_mov_b32 s10, 0x7f800001
	s_xor_b64 s[4:5], exec, -1
; %bb.4027:
	s_or_b64 exec, exec, s[8:9]
	s_and_b64 s[4:5], s[4:5], exec
	s_or_saveexec_b64 s[6:7], s[6:7]
	v_mov_b32_e32 v0, s10
	s_xor_b64 exec, exec, s[6:7]
	s_cbranch_execz .LBB41_1978
.LBB41_4028:
	v_mov_b32_e32 v0, 0
	v_cmp_ne_u16_sdwa s[8:9], v5, v0 src0_sel:BYTE_3 src1_sel:DWORD
	s_andn2_b64 s[4:5], s[4:5], exec
	s_and_b64 s[8:9], s[8:9], exec
	s_or_b64 s[4:5], s[4:5], s[8:9]
	s_or_b64 exec, exec, s[6:7]
	s_and_saveexec_b64 s[6:7], s[4:5]
	s_cbranch_execnz .LBB41_1979
	s_branch .LBB41_1980
.LBB41_4029:
	s_movk_i32 s4, 0x80
	v_cmp_eq_u16_sdwa s[12:13], v1, s4 src0_sel:BYTE_3 src1_sel:DWORD
	s_mov_b64 s[4:5], -1
                                        ; implicit-def: $sgpr10
	s_and_saveexec_b64 s[8:9], s[12:13]
; %bb.4030:
	s_mov_b32 s10, 0x7f800001
	s_xor_b64 s[4:5], exec, -1
; %bb.4031:
	s_or_b64 exec, exec, s[8:9]
	s_and_b64 s[4:5], s[4:5], exec
	s_or_saveexec_b64 s[6:7], s[6:7]
	v_mov_b32_e32 v4, s10
	s_xor_b64 exec, exec, s[6:7]
	s_cbranch_execz .LBB41_1982
.LBB41_4032:
	v_mov_b32_e32 v4, 0
	v_cmp_ne_u16_sdwa s[8:9], v1, v4 src0_sel:BYTE_3 src1_sel:DWORD
	s_andn2_b64 s[4:5], s[4:5], exec
	s_and_b64 s[8:9], s[8:9], exec
	s_or_b64 s[4:5], s[4:5], s[8:9]
	s_or_b64 exec, exec, s[6:7]
	s_and_saveexec_b64 s[6:7], s[4:5]
	s_cbranch_execnz .LBB41_1983
	s_branch .LBB41_1984
.LBB41_4033:
	s_movk_i32 s4, 0x80
	v_cmp_eq_u16_sdwa s[12:13], v6, s4 src0_sel:BYTE_0 src1_sel:DWORD
	s_mov_b64 s[4:5], -1
                                        ; implicit-def: $sgpr10
	s_and_saveexec_b64 s[8:9], s[12:13]
; %bb.4034:
	s_mov_b32 s10, 0x7f800001
	s_xor_b64 s[4:5], exec, -1
; %bb.4035:
	s_or_b64 exec, exec, s[8:9]
	s_and_b64 s[4:5], s[4:5], exec
	s_or_saveexec_b64 s[6:7], s[6:7]
	v_mov_b32_e32 v0, s10
	s_xor_b64 exec, exec, s[6:7]
	s_cbranch_execz .LBB41_1986
.LBB41_4036:
	v_mov_b32_e32 v0, 0
	v_cmp_ne_u16_sdwa s[8:9], v6, v0 src0_sel:BYTE_0 src1_sel:DWORD
	s_andn2_b64 s[4:5], s[4:5], exec
	s_and_b64 s[8:9], s[8:9], exec
	s_or_b64 s[4:5], s[4:5], s[8:9]
	s_or_b64 exec, exec, s[6:7]
	s_and_saveexec_b64 s[6:7], s[4:5]
	s_cbranch_execnz .LBB41_1987
	s_branch .LBB41_1988
.LBB41_4037:
	s_movk_i32 s4, 0x80
	v_cmp_eq_u16_sdwa s[12:13], v2, s4 src0_sel:BYTE_0 src1_sel:DWORD
	s_mov_b64 s[4:5], -1
                                        ; implicit-def: $sgpr10
	s_and_saveexec_b64 s[8:9], s[12:13]
; %bb.4038:
	s_mov_b32 s10, 0x7f800001
	s_xor_b64 s[4:5], exec, -1
; %bb.4039:
	s_or_b64 exec, exec, s[8:9]
	s_and_b64 s[4:5], s[4:5], exec
	s_or_saveexec_b64 s[6:7], s[6:7]
	v_mov_b32_e32 v1, s10
	s_xor_b64 exec, exec, s[6:7]
	s_cbranch_execz .LBB41_1990
.LBB41_4040:
	v_mov_b32_e32 v1, 0
	v_cmp_ne_u16_sdwa s[8:9], v2, v1 src0_sel:BYTE_0 src1_sel:DWORD
	s_andn2_b64 s[4:5], s[4:5], exec
	s_and_b64 s[8:9], s[8:9], exec
	s_or_b64 s[4:5], s[4:5], s[8:9]
	s_or_b64 exec, exec, s[6:7]
	s_and_saveexec_b64 s[6:7], s[4:5]
	s_cbranch_execnz .LBB41_1991
	s_branch .LBB41_1992
.LBB41_4041:
	s_movk_i32 s4, 0x80
	v_cmp_eq_u16_sdwa s[12:13], v1, s4 src0_sel:BYTE_0 src1_sel:DWORD
	s_mov_b64 s[4:5], -1
                                        ; implicit-def: $sgpr10
	s_and_saveexec_b64 s[8:9], s[12:13]
; %bb.4042:
	s_mov_b32 s10, 0x7f800001
	s_xor_b64 s[4:5], exec, -1
; %bb.4043:
	s_or_b64 exec, exec, s[8:9]
	s_and_b64 s[4:5], s[4:5], exec
	s_or_saveexec_b64 s[6:7], s[6:7]
	v_mov_b32_e32 v0, s10
	s_xor_b64 exec, exec, s[6:7]
	s_cbranch_execz .LBB41_1994
.LBB41_4044:
	v_mov_b32_e32 v0, 0
	v_cmp_ne_u16_sdwa s[8:9], v1, v0 src0_sel:BYTE_0 src1_sel:DWORD
	s_andn2_b64 s[4:5], s[4:5], exec
	s_and_b64 s[8:9], s[8:9], exec
	s_or_b64 s[4:5], s[4:5], s[8:9]
	s_or_b64 exec, exec, s[6:7]
	s_and_saveexec_b64 s[6:7], s[4:5]
	s_cbranch_execnz .LBB41_1995
	s_branch .LBB41_1996
.LBB41_4045:
	s_movk_i32 s4, 0x80
	v_cmp_eq_u16_sdwa s[12:13], v1, s4 src0_sel:BYTE_0 src1_sel:DWORD
	s_mov_b64 s[4:5], -1
                                        ; implicit-def: $sgpr10
	s_and_saveexec_b64 s[8:9], s[12:13]
; %bb.4046:
	s_mov_b32 s10, 0x7f800001
	s_xor_b64 s[4:5], exec, -1
; %bb.4047:
	s_or_b64 exec, exec, s[8:9]
	s_and_b64 s[4:5], s[4:5], exec
	s_or_saveexec_b64 s[6:7], s[6:7]
	v_mov_b32_e32 v4, s10
	s_xor_b64 exec, exec, s[6:7]
	s_cbranch_execz .LBB41_1998
.LBB41_4048:
	v_mov_b32_e32 v4, 0
	v_cmp_ne_u16_sdwa s[8:9], v1, v4 src0_sel:BYTE_0 src1_sel:DWORD
	s_andn2_b64 s[4:5], s[4:5], exec
	s_and_b64 s[8:9], s[8:9], exec
	s_or_b64 s[4:5], s[4:5], s[8:9]
	s_or_b64 exec, exec, s[6:7]
	s_and_saveexec_b64 s[6:7], s[4:5]
	s_cbranch_execnz .LBB41_1999
	s_branch .LBB41_2000
.LBB41_4049:
	s_movk_i32 s4, 0x80
	v_cmp_eq_u16_e32 vcc, s4, v1
	s_mov_b64 s[4:5], -1
                                        ; implicit-def: $sgpr10
	s_and_saveexec_b64 s[8:9], vcc
; %bb.4050:
	s_mov_b32 s10, 0x7f800001
	s_xor_b64 s[4:5], exec, -1
; %bb.4051:
	s_or_b64 exec, exec, s[8:9]
	s_and_b64 s[4:5], s[4:5], exec
                                        ; implicit-def: $vgpr1
	s_or_saveexec_b64 s[6:7], s[6:7]
	v_mov_b32_e32 v0, s10
	s_xor_b64 exec, exec, s[6:7]
	s_cbranch_execz .LBB41_2002
.LBB41_4052:
	v_cmp_ne_u16_e32 vcc, 0, v1
	s_andn2_b64 s[4:5], s[4:5], exec
	s_and_b64 s[8:9], vcc, exec
	v_mov_b32_e32 v0, 0
	s_or_b64 s[4:5], s[4:5], s[8:9]
	s_or_b64 exec, exec, s[6:7]
	s_and_saveexec_b64 s[6:7], s[4:5]
	s_cbranch_execnz .LBB41_2003
	s_branch .LBB41_2004
.LBB41_4053:
	s_movk_i32 s4, 0x80
	v_cmp_eq_u16_e32 vcc, s4, v1
	s_mov_b64 s[4:5], -1
                                        ; implicit-def: $sgpr10
	s_and_saveexec_b64 s[8:9], vcc
; %bb.4054:
	s_mov_b32 s10, 0x7f800001
	s_xor_b64 s[4:5], exec, -1
; %bb.4055:
	s_or_b64 exec, exec, s[8:9]
	s_and_b64 s[4:5], s[4:5], exec
                                        ; implicit-def: $vgpr1
	s_or_saveexec_b64 s[6:7], s[6:7]
	v_mov_b32_e32 v4, s10
	s_xor_b64 exec, exec, s[6:7]
	s_cbranch_execz .LBB41_2006
.LBB41_4056:
	v_cmp_ne_u16_e32 vcc, 0, v1
	s_andn2_b64 s[4:5], s[4:5], exec
	s_and_b64 s[8:9], vcc, exec
	v_mov_b32_e32 v4, 0
	s_or_b64 s[4:5], s[4:5], s[8:9]
	s_or_b64 exec, exec, s[6:7]
	s_and_saveexec_b64 s[6:7], s[4:5]
	s_cbranch_execnz .LBB41_2007
	s_branch .LBB41_2008
.LBB41_4057:
	s_movk_i32 s4, 0x80
	v_cmp_eq_u16_sdwa s[12:13], v6, s4 src0_sel:BYTE_3 src1_sel:DWORD
	s_mov_b64 s[4:5], -1
                                        ; implicit-def: $sgpr10
	s_and_saveexec_b64 s[8:9], s[12:13]
; %bb.4058:
	s_mov_b32 s10, 0x7f800001
	s_xor_b64 s[4:5], exec, -1
; %bb.4059:
	s_or_b64 exec, exec, s[8:9]
	s_and_b64 s[4:5], s[4:5], exec
	s_or_saveexec_b64 s[6:7], s[6:7]
	v_mov_b32_e32 v0, s10
	s_xor_b64 exec, exec, s[6:7]
	s_cbranch_execz .LBB41_2010
.LBB41_4060:
	v_mov_b32_e32 v0, 0
	v_cmp_ne_u16_sdwa s[8:9], v6, v0 src0_sel:BYTE_3 src1_sel:DWORD
	s_andn2_b64 s[4:5], s[4:5], exec
	s_and_b64 s[8:9], s[8:9], exec
	s_or_b64 s[4:5], s[4:5], s[8:9]
	s_or_b64 exec, exec, s[6:7]
	s_and_saveexec_b64 s[6:7], s[4:5]
	s_cbranch_execnz .LBB41_2011
	s_branch .LBB41_2012
.LBB41_4061:
	s_movk_i32 s4, 0x80
	v_cmp_eq_u16_sdwa s[12:13], v2, s4 src0_sel:BYTE_3 src1_sel:DWORD
	s_mov_b64 s[4:5], -1
                                        ; implicit-def: $sgpr10
	s_and_saveexec_b64 s[8:9], s[12:13]
; %bb.4062:
	s_mov_b32 s10, 0x7f800001
	s_xor_b64 s[4:5], exec, -1
; %bb.4063:
	s_or_b64 exec, exec, s[8:9]
	s_and_b64 s[4:5], s[4:5], exec
	s_or_saveexec_b64 s[6:7], s[6:7]
	v_mov_b32_e32 v1, s10
	s_xor_b64 exec, exec, s[6:7]
	s_cbranch_execz .LBB41_2014
.LBB41_4064:
	v_mov_b32_e32 v1, 0
	v_cmp_ne_u16_sdwa s[8:9], v2, v1 src0_sel:BYTE_3 src1_sel:DWORD
	s_andn2_b64 s[4:5], s[4:5], exec
	s_and_b64 s[8:9], s[8:9], exec
	s_or_b64 s[4:5], s[4:5], s[8:9]
	s_or_b64 exec, exec, s[6:7]
	s_and_saveexec_b64 s[6:7], s[4:5]
	s_cbranch_execnz .LBB41_2015
	s_branch .LBB41_2016
.LBB41_4065:
	s_movk_i32 s4, 0x80
	v_cmp_eq_u16_sdwa s[12:13], v7, s4 src0_sel:BYTE_0 src1_sel:DWORD
	s_mov_b64 s[4:5], -1
                                        ; implicit-def: $sgpr10
	s_and_saveexec_b64 s[8:9], s[12:13]
; %bb.4066:
	s_mov_b32 s10, 0x7f800001
	s_xor_b64 s[4:5], exec, -1
; %bb.4067:
	s_or_b64 exec, exec, s[8:9]
	s_and_b64 s[4:5], s[4:5], exec
	s_or_saveexec_b64 s[6:7], s[6:7]
	v_mov_b32_e32 v0, s10
	s_xor_b64 exec, exec, s[6:7]
	s_cbranch_execz .LBB41_2018
.LBB41_4068:
	v_mov_b32_e32 v0, 0
	v_cmp_ne_u16_sdwa s[8:9], v7, v0 src0_sel:BYTE_0 src1_sel:DWORD
	s_andn2_b64 s[4:5], s[4:5], exec
	s_and_b64 s[8:9], s[8:9], exec
	s_or_b64 s[4:5], s[4:5], s[8:9]
	s_or_b64 exec, exec, s[6:7]
	s_and_saveexec_b64 s[6:7], s[4:5]
	s_cbranch_execnz .LBB41_2019
	s_branch .LBB41_2020
.LBB41_4069:
	s_movk_i32 s4, 0x80
	v_cmp_eq_u16_sdwa s[12:13], v3, s4 src0_sel:BYTE_0 src1_sel:DWORD
	s_mov_b64 s[4:5], -1
                                        ; implicit-def: $sgpr10
	s_and_saveexec_b64 s[8:9], s[12:13]
; %bb.4070:
	s_mov_b32 s10, 0x7f800001
	s_xor_b64 s[4:5], exec, -1
; %bb.4071:
	s_or_b64 exec, exec, s[8:9]
	s_and_b64 s[4:5], s[4:5], exec
	s_or_saveexec_b64 s[6:7], s[6:7]
	v_mov_b32_e32 v1, s10
	s_xor_b64 exec, exec, s[6:7]
	s_cbranch_execz .LBB41_2022
.LBB41_4072:
	v_mov_b32_e32 v1, 0
	v_cmp_ne_u16_sdwa s[8:9], v3, v1 src0_sel:BYTE_0 src1_sel:DWORD
	s_andn2_b64 s[4:5], s[4:5], exec
	s_and_b64 s[8:9], s[8:9], exec
	s_or_b64 s[4:5], s[4:5], s[8:9]
	s_or_b64 exec, exec, s[6:7]
	s_and_saveexec_b64 s[6:7], s[4:5]
	s_cbranch_execnz .LBB41_2023
	s_branch .LBB41_2024
.LBB41_4073:
	s_movk_i32 s4, 0x80
	v_cmp_eq_u16_sdwa s[12:13], v1, s4 src0_sel:BYTE_0 src1_sel:DWORD
	s_mov_b64 s[4:5], -1
                                        ; implicit-def: $sgpr10
	s_and_saveexec_b64 s[8:9], s[12:13]
; %bb.4074:
	s_mov_b32 s10, 0x7f800001
	s_xor_b64 s[4:5], exec, -1
; %bb.4075:
	s_or_b64 exec, exec, s[8:9]
	s_and_b64 s[4:5], s[4:5], exec
	s_or_saveexec_b64 s[6:7], s[6:7]
	v_mov_b32_e32 v0, s10
	s_xor_b64 exec, exec, s[6:7]
	s_cbranch_execz .LBB41_2026
.LBB41_4076:
	v_mov_b32_e32 v0, 0
	v_cmp_ne_u16_sdwa s[8:9], v1, v0 src0_sel:BYTE_0 src1_sel:DWORD
	s_andn2_b64 s[4:5], s[4:5], exec
	s_and_b64 s[8:9], s[8:9], exec
	s_or_b64 s[4:5], s[4:5], s[8:9]
	s_or_b64 exec, exec, s[6:7]
	s_and_saveexec_b64 s[6:7], s[4:5]
	s_cbranch_execnz .LBB41_2027
	s_branch .LBB41_2028
.LBB41_4077:
	s_movk_i32 s4, 0x80
	v_cmp_eq_u16_sdwa s[12:13], v1, s4 src0_sel:BYTE_0 src1_sel:DWORD
	s_mov_b64 s[4:5], -1
                                        ; implicit-def: $sgpr10
	s_and_saveexec_b64 s[8:9], s[12:13]
; %bb.4078:
	s_mov_b32 s10, 0x7f800001
	s_xor_b64 s[4:5], exec, -1
; %bb.4079:
	s_or_b64 exec, exec, s[8:9]
	s_and_b64 s[4:5], s[4:5], exec
	s_or_saveexec_b64 s[6:7], s[6:7]
	v_mov_b32_e32 v2, s10
	s_xor_b64 exec, exec, s[6:7]
	s_cbranch_execz .LBB41_2030
.LBB41_4080:
	v_mov_b32_e32 v2, 0
	v_cmp_ne_u16_sdwa s[8:9], v1, v2 src0_sel:BYTE_0 src1_sel:DWORD
	s_andn2_b64 s[4:5], s[4:5], exec
	s_and_b64 s[8:9], s[8:9], exec
	s_or_b64 s[4:5], s[4:5], s[8:9]
	s_or_b64 exec, exec, s[6:7]
	s_and_saveexec_b64 s[6:7], s[4:5]
	s_cbranch_execnz .LBB41_2031
	s_branch .LBB41_2032
.LBB41_4081:
	s_movk_i32 s4, 0x80
	v_cmp_eq_u16_e32 vcc, s4, v1
	s_mov_b64 s[4:5], -1
                                        ; implicit-def: $sgpr10
	s_and_saveexec_b64 s[8:9], vcc
; %bb.4082:
	s_mov_b32 s10, 0x7f800001
	s_xor_b64 s[4:5], exec, -1
; %bb.4083:
	s_or_b64 exec, exec, s[8:9]
	s_and_b64 s[4:5], s[4:5], exec
                                        ; implicit-def: $vgpr1
	s_or_saveexec_b64 s[6:7], s[6:7]
	v_mov_b32_e32 v0, s10
	s_xor_b64 exec, exec, s[6:7]
	s_cbranch_execz .LBB41_2034
.LBB41_4084:
	v_cmp_ne_u16_e32 vcc, 0, v1
	s_andn2_b64 s[4:5], s[4:5], exec
	s_and_b64 s[8:9], vcc, exec
	v_mov_b32_e32 v0, 0
	s_or_b64 s[4:5], s[4:5], s[8:9]
	s_or_b64 exec, exec, s[6:7]
	s_and_saveexec_b64 s[6:7], s[4:5]
	s_cbranch_execnz .LBB41_2035
	s_branch .LBB41_2036
.LBB41_4085:
	s_movk_i32 s4, 0x80
	v_cmp_eq_u16_e32 vcc, s4, v1
	s_mov_b64 s[4:5], -1
                                        ; implicit-def: $sgpr10
	s_and_saveexec_b64 s[8:9], vcc
; %bb.4086:
	s_mov_b32 s10, 0x7f800001
	s_xor_b64 s[4:5], exec, -1
; %bb.4087:
	s_or_b64 exec, exec, s[8:9]
	s_and_b64 s[4:5], s[4:5], exec
                                        ; implicit-def: $vgpr1
	s_or_saveexec_b64 s[6:7], s[6:7]
	v_mov_b32_e32 v2, s10
	s_xor_b64 exec, exec, s[6:7]
	s_cbranch_execz .LBB41_2038
.LBB41_4088:
	v_cmp_ne_u16_e32 vcc, 0, v1
	s_andn2_b64 s[4:5], s[4:5], exec
	s_and_b64 s[8:9], vcc, exec
	v_mov_b32_e32 v2, 0
	s_or_b64 s[4:5], s[4:5], s[8:9]
	s_or_b64 exec, exec, s[6:7]
	s_and_saveexec_b64 s[6:7], s[4:5]
	s_cbranch_execnz .LBB41_2039
	s_branch .LBB41_2040
.LBB41_4089:
	s_movk_i32 s4, 0x80
	v_cmp_eq_u16_sdwa s[12:13], v7, s4 src0_sel:BYTE_3 src1_sel:DWORD
	s_mov_b64 s[4:5], -1
                                        ; implicit-def: $sgpr10
	s_and_saveexec_b64 s[8:9], s[12:13]
; %bb.4090:
	s_mov_b32 s10, 0x7f800001
	s_xor_b64 s[4:5], exec, -1
; %bb.4091:
	s_or_b64 exec, exec, s[8:9]
	s_and_b64 s[4:5], s[4:5], exec
	s_or_saveexec_b64 s[6:7], s[6:7]
	v_mov_b32_e32 v0, s10
	s_xor_b64 exec, exec, s[6:7]
	s_cbranch_execz .LBB41_2042
.LBB41_4092:
	v_mov_b32_e32 v0, 0
	v_cmp_ne_u16_sdwa s[8:9], v7, v0 src0_sel:BYTE_3 src1_sel:DWORD
	s_andn2_b64 s[4:5], s[4:5], exec
	s_and_b64 s[8:9], s[8:9], exec
	s_or_b64 s[4:5], s[4:5], s[8:9]
	s_or_b64 exec, exec, s[6:7]
	s_and_saveexec_b64 s[6:7], s[4:5]
	s_cbranch_execnz .LBB41_2043
	s_branch .LBB41_2044
.LBB41_4093:
	s_movk_i32 s4, 0x80
	v_cmp_eq_u16_sdwa s[12:13], v3, s4 src0_sel:BYTE_3 src1_sel:DWORD
	s_mov_b64 s[4:5], -1
                                        ; implicit-def: $sgpr10
	s_and_saveexec_b64 s[8:9], s[12:13]
; %bb.4094:
	s_mov_b32 s10, 0x7f800001
	s_xor_b64 s[4:5], exec, -1
; %bb.4095:
	s_or_b64 exec, exec, s[8:9]
	s_and_b64 s[4:5], s[4:5], exec
	s_or_saveexec_b64 s[6:7], s[6:7]
	v_mov_b32_e32 v1, s10
	s_xor_b64 exec, exec, s[6:7]
	s_cbranch_execz .LBB41_2046
.LBB41_4096:
	v_mov_b32_e32 v1, 0
	v_cmp_ne_u16_sdwa s[8:9], v3, v1 src0_sel:BYTE_3 src1_sel:DWORD
	s_andn2_b64 s[4:5], s[4:5], exec
	s_and_b64 s[8:9], s[8:9], exec
	s_or_b64 s[4:5], s[4:5], s[8:9]
	s_or_b64 exec, exec, s[6:7]
	s_and_saveexec_b64 s[6:7], s[4:5]
	s_cbranch_execnz .LBB41_2047
	s_branch .LBB41_2048
.Lfunc_end41:
	.size	_ZNK2ck6detail7applierIiJLi0ELi1ELi2ELi3ELi4ELi5ELi6ELi7EEEclIZNKS_11static_fordINS_8SequenceIJLi1ELi8EEEENS5_IJLi0ELi1EEEEEclIZZZNKS_52BlockwiseGemmXdlops_pipeline_bpreshuffle_bdequant_v3ILNS_26BlockGemmPipelineSchedulerE0ELi256ENS_9f8_fnuz_tENS_7pk_i4_tESC_fNS_16TensorDescriptorINS_5TupleIJNS_5EmbedINSF_IJNS_17integral_constantIiLi8EEENSH_IiLi256EEENSH_IiLi16EEEEEENSF_IJSK_NSH_IiLi128EEENSH_IiLi1EEEEEELb0EEENS_3XorINSF_IJSJ_SI_EEELb1EEENS_11PassThroughISK_EENS_7UnMergeINSF_IJSI_SN_EEELb0EEENST_ISJ_EESU_NST_ISI_EENS_21Merge_v3_division_modINSF_IJSJ_SN_EEEEESU_EEENSF_IJNS5_IJLi0EEEENS5_IJLi2ELi1EEEENS5_IJLi3EEEENS5_IJLi5EEEENS5_IJLi4EEEENS5_IJLi6EEEENS5_IJLi7EEEENS5_IJLi9ELi8EEEENS5_IJLi10EEEEEEENSF_IJNS5_IJLi1ELi2ELi3EEEENS5_IJLi4ELi5EEEES19_NS5_IJLi7ELi8EEEENS5_IJLi9EEEES1C_NS5_IJLi11EEEENS5_IJLi12EEEENS5_IJLi13EEEEEEENS5_IJLi11ELi12ELi13EEEENSH_IlLl32768EEEEENSE_INSF_IJNSV_INSF_IJSI_SN_SN_NSH_IiLi32EEEEEELb0EEEEEENSF_IJS14_EEENSF_IJNS5_IJLi1ELi2ELi3ELi4EEEEEEES1U_NSH_IlLl256EEEEENSE_INSF_IJSP_SS_SU_SX_SY_SU_SZ_S12_SU_NS10_INSF_IJSI_SK_EEEEENSV_INSF_IJSI_NSH_IiLi2EEESK_EEELb0EEEEEENSF_IJS14_S15_S16_S17_S18_S19_S1A_S1B_S1C_NS5_IJLi11ELi13EEEES1J_EEENSF_IJS1E_S1F_S19_S1G_S1H_S1C_S1I_S1J_S1K_NS5_IJLi14EEEENS5_IJLi15ELi16ELi17EEEEEEENS5_IJLi15ELi16ELi17ELi14EEEES1N_EENSE_INSF_IJS1R_NS10_ISW_EES22_EEENSF_IJS14_NS5_IJLi1ELi3EEEENS5_IJLi2EEEEEEENSF_IJS1U_S17_NS5_IJLi6ELi7ELi8EEEEEEENS5_IJLi6ELi7ELi8ELi5EEEES1W_EELi16ELi32ELi256ELi256ELi128ELi16ELi16ELi8ELi8ELi32ELb0EE3RunILb1ELNS_10TailNumberE1ENSE_INSF_IJNSG_INSF_IJiiEEENSF_IJiSN_EEELb0EEENSV_IS2N_Lb0EEENST_IiEEEEENSF_IJS14_S2E_NS5_IJLi1EEEEEEENSF_IJNS5_IJLi1ELi2EEEENS5_IJLi3ELi4EEEES17_EEENS5_IJLi3ELi5ELi4EEEElEES1O_NS_35ThreadGroupTensorSliceTransfer_v4r1INS_15ThisThreadBlockILi256EEENS_16tensor_operation12element_wise11PassThroughES35_LNS_25InMemoryDataOperationEnumE0ENS5_IJLi8ELi256ELi16EEEENS5_IJLi8ELi32ELi1EEEENS5_IJLi1ELi0ELi2EEEESC_SC_RKS2Z_KS1O_S39_NS5_IJLi0ELi1ELi2EEEELi2ELi2ELi16ELi16ELi1ELi1ELb0ELb1ELi2EiEENS_13DynamicBufferILNS_16AddressSpaceEnumE1EKSC_lLb1ELNS_22AmdBufferCoherenceEnumE0EiEENSF_IJNS3F_ILS3G_2ESC_S1N_Lb1ELS3I_0EiEES3K_EEENSF_IJiiiEEENSE_INSF_IJNSG_INSF_IJiiiiEEENSF_IJiiiSN_EEELb0EEEEEES1T_S1V_S1U_lEENS_32ThreadwiseTensorSliceTransfer_v2ISD_SD_RKS3R_KS1X_NS5_IJLi8ELi1ELi1ELi32EEEENS5_IJLi1ELi2ELi0ELi3EEEELi3ELi32ELi0ELb1ELb0ELb0EEENS3F_ILS3G_1EKSD_lLb1ELS3I_0EiEENSF_IJNS_12StaticBufferILS3G_4ESD_Li256ELb1EEES42_EEES3N_NS_25StaticBufferTupleOfVectorILS3G_4EfLi64ELi4ELb1ELb0EEEEEvRKT1_RKT2_RT3_RKT4_RT5_RKT6_RKT7_RT8_RKT9_RT10_RKT11_RT12_iENKUlT_T0_E_clISN_NSH_IiLi0EEEEEDaS51_S52_ENKUlS51_E_clINSH_IiLi5EEEEEDaS51_EUlS51_E_EEvS51_EUlS51_E_EEvS51_, .Lfunc_end41-_ZNK2ck6detail7applierIiJLi0ELi1ELi2ELi3ELi4ELi5ELi6ELi7EEEclIZNKS_11static_fordINS_8SequenceIJLi1ELi8EEEENS5_IJLi0ELi1EEEEEclIZZZNKS_52BlockwiseGemmXdlops_pipeline_bpreshuffle_bdequant_v3ILNS_26BlockGemmPipelineSchedulerE0ELi256ENS_9f8_fnuz_tENS_7pk_i4_tESC_fNS_16TensorDescriptorINS_5TupleIJNS_5EmbedINSF_IJNS_17integral_constantIiLi8EEENSH_IiLi256EEENSH_IiLi16EEEEEENSF_IJSK_NSH_IiLi128EEENSH_IiLi1EEEEEELb0EEENS_3XorINSF_IJSJ_SI_EEELb1EEENS_11PassThroughISK_EENS_7UnMergeINSF_IJSI_SN_EEELb0EEENST_ISJ_EESU_NST_ISI_EENS_21Merge_v3_division_modINSF_IJSJ_SN_EEEEESU_EEENSF_IJNS5_IJLi0EEEENS5_IJLi2ELi1EEEENS5_IJLi3EEEENS5_IJLi5EEEENS5_IJLi4EEEENS5_IJLi6EEEENS5_IJLi7EEEENS5_IJLi9ELi8EEEENS5_IJLi10EEEEEEENSF_IJNS5_IJLi1ELi2ELi3EEEENS5_IJLi4ELi5EEEES19_NS5_IJLi7ELi8EEEENS5_IJLi9EEEES1C_NS5_IJLi11EEEENS5_IJLi12EEEENS5_IJLi13EEEEEEENS5_IJLi11ELi12ELi13EEEENSH_IlLl32768EEEEENSE_INSF_IJNSV_INSF_IJSI_SN_SN_NSH_IiLi32EEEEEELb0EEEEEENSF_IJS14_EEENSF_IJNS5_IJLi1ELi2ELi3ELi4EEEEEEES1U_NSH_IlLl256EEEEENSE_INSF_IJSP_SS_SU_SX_SY_SU_SZ_S12_SU_NS10_INSF_IJSI_SK_EEEEENSV_INSF_IJSI_NSH_IiLi2EEESK_EEELb0EEEEEENSF_IJS14_S15_S16_S17_S18_S19_S1A_S1B_S1C_NS5_IJLi11ELi13EEEES1J_EEENSF_IJS1E_S1F_S19_S1G_S1H_S1C_S1I_S1J_S1K_NS5_IJLi14EEEENS5_IJLi15ELi16ELi17EEEEEEENS5_IJLi15ELi16ELi17ELi14EEEES1N_EENSE_INSF_IJS1R_NS10_ISW_EES22_EEENSF_IJS14_NS5_IJLi1ELi3EEEENS5_IJLi2EEEEEEENSF_IJS1U_S17_NS5_IJLi6ELi7ELi8EEEEEEENS5_IJLi6ELi7ELi8ELi5EEEES1W_EELi16ELi32ELi256ELi256ELi128ELi16ELi16ELi8ELi8ELi32ELb0EE3RunILb1ELNS_10TailNumberE1ENSE_INSF_IJNSG_INSF_IJiiEEENSF_IJiSN_EEELb0EEENSV_IS2N_Lb0EEENST_IiEEEEENSF_IJS14_S2E_NS5_IJLi1EEEEEEENSF_IJNS5_IJLi1ELi2EEEENS5_IJLi3ELi4EEEES17_EEENS5_IJLi3ELi5ELi4EEEElEES1O_NS_35ThreadGroupTensorSliceTransfer_v4r1INS_15ThisThreadBlockILi256EEENS_16tensor_operation12element_wise11PassThroughES35_LNS_25InMemoryDataOperationEnumE0ENS5_IJLi8ELi256ELi16EEEENS5_IJLi8ELi32ELi1EEEENS5_IJLi1ELi0ELi2EEEESC_SC_RKS2Z_KS1O_S39_NS5_IJLi0ELi1ELi2EEEELi2ELi2ELi16ELi16ELi1ELi1ELb0ELb1ELi2EiEENS_13DynamicBufferILNS_16AddressSpaceEnumE1EKSC_lLb1ELNS_22AmdBufferCoherenceEnumE0EiEENSF_IJNS3F_ILS3G_2ESC_S1N_Lb1ELS3I_0EiEES3K_EEENSF_IJiiiEEENSE_INSF_IJNSG_INSF_IJiiiiEEENSF_IJiiiSN_EEELb0EEEEEES1T_S1V_S1U_lEENS_32ThreadwiseTensorSliceTransfer_v2ISD_SD_RKS3R_KS1X_NS5_IJLi8ELi1ELi1ELi32EEEENS5_IJLi1ELi2ELi0ELi3EEEELi3ELi32ELi0ELb1ELb0ELb0EEENS3F_ILS3G_1EKSD_lLb1ELS3I_0EiEENSF_IJNS_12StaticBufferILS3G_4ESD_Li256ELb1EEES42_EEES3N_NS_25StaticBufferTupleOfVectorILS3G_4EfLi64ELi4ELb1ELb0EEEEEvRKT1_RKT2_RT3_RKT4_RT5_RKT6_RKT7_RT8_RKT9_RT10_RKT11_RT12_iENKUlT_T0_E_clISN_NSH_IiLi0EEEEEDaS51_S52_ENKUlS51_E_clINSH_IiLi5EEEEEDaS51_EUlS51_E_EEvS51_EUlS51_E_EEvS51_
                                        ; -- End function
	.section	.AMDGPU.csdata,"",@progbits
; Function info:
; codeLenInByte = 133608
; NumSgprs: 36
; NumVgprs: 26
; NumAgprs: 4
; TotalNumVgprs: 32
; ScratchSize: 0
; MemoryBound: 1
	.text
	.p2align	2                               ; -- Begin function _ZNK2ck6detail7applierIiJLi0ELi1ELi2ELi3ELi4ELi5ELi6ELi7EEEclIZNKS_11static_fordINS_8SequenceIJLi1ELi8EEEENS5_IJLi0ELi1EEEEEclIZZZNKS_52BlockwiseGemmXdlops_pipeline_bpreshuffle_bdequant_v3ILNS_26BlockGemmPipelineSchedulerE0ELi256ENS_9f8_fnuz_tENS_7pk_i4_tESC_fNS_16TensorDescriptorINS_5TupleIJNS_5EmbedINSF_IJNS_17integral_constantIiLi8EEENSH_IiLi256EEENSH_IiLi16EEEEEENSF_IJSK_NSH_IiLi128EEENSH_IiLi1EEEEEELb0EEENS_3XorINSF_IJSJ_SI_EEELb1EEENS_11PassThroughISK_EENS_7UnMergeINSF_IJSI_SN_EEELb0EEENST_ISJ_EESU_NST_ISI_EENS_21Merge_v3_division_modINSF_IJSJ_SN_EEEEESU_EEENSF_IJNS5_IJLi0EEEENS5_IJLi2ELi1EEEENS5_IJLi3EEEENS5_IJLi5EEEENS5_IJLi4EEEENS5_IJLi6EEEENS5_IJLi7EEEENS5_IJLi9ELi8EEEENS5_IJLi10EEEEEEENSF_IJNS5_IJLi1ELi2ELi3EEEENS5_IJLi4ELi5EEEES19_NS5_IJLi7ELi8EEEENS5_IJLi9EEEES1C_NS5_IJLi11EEEENS5_IJLi12EEEENS5_IJLi13EEEEEEENS5_IJLi11ELi12ELi13EEEENSH_IlLl32768EEEEENSE_INSF_IJNSV_INSF_IJSI_SN_SN_NSH_IiLi32EEEEEELb0EEEEEENSF_IJS14_EEENSF_IJNS5_IJLi1ELi2ELi3ELi4EEEEEEES1U_NSH_IlLl256EEEEENSE_INSF_IJSP_SS_SU_SX_SY_SU_SZ_S12_SU_NS10_INSF_IJSI_SK_EEEEENSV_INSF_IJSI_NSH_IiLi2EEESK_EEELb0EEEEEENSF_IJS14_S15_S16_S17_S18_S19_S1A_S1B_S1C_NS5_IJLi11ELi13EEEES1J_EEENSF_IJS1E_S1F_S19_S1G_S1H_S1C_S1I_S1J_S1K_NS5_IJLi14EEEENS5_IJLi15ELi16ELi17EEEEEEENS5_IJLi15ELi16ELi17ELi14EEEES1N_EENSE_INSF_IJS1R_NS10_ISW_EES22_EEENSF_IJS14_NS5_IJLi1ELi3EEEENS5_IJLi2EEEEEEENSF_IJS1U_S17_NS5_IJLi6ELi7ELi8EEEEEEENS5_IJLi6ELi7ELi8ELi5EEEES1W_EELi16ELi32ELi256ELi256ELi128ELi16ELi16ELi8ELi8ELi32ELb0EE3RunILb1ELNS_10TailNumberE1ENSE_INSF_IJNSG_INSF_IJiiEEENSF_IJiSN_EEELb0EEENSV_IS2N_Lb0EEENST_IiEEEEENSF_IJS14_S2E_NS5_IJLi1EEEEEEENSF_IJNS5_IJLi1ELi2EEEENS5_IJLi3ELi4EEEES17_EEENS5_IJLi3ELi5ELi4EEEElEES1O_NS_35ThreadGroupTensorSliceTransfer_v4r1INS_15ThisThreadBlockILi256EEENS_16tensor_operation12element_wise11PassThroughES35_LNS_25InMemoryDataOperationEnumE0ENS5_IJLi8ELi256ELi16EEEENS5_IJLi8ELi32ELi1EEEENS5_IJLi1ELi0ELi2EEEESC_SC_RKS2Z_KS1O_S39_NS5_IJLi0ELi1ELi2EEEELi2ELi2ELi16ELi16ELi1ELi1ELb0ELb1ELi2EiEENS_13DynamicBufferILNS_16AddressSpaceEnumE1EKSC_lLb1ELNS_22AmdBufferCoherenceEnumE0EiEENSF_IJNS3F_ILS3G_2ESC_S1N_Lb1ELS3I_0EiEES3K_EEENSF_IJiiiEEENSE_INSF_IJNSG_INSF_IJiiiiEEENSF_IJiiiSN_EEELb0EEEEEES1T_S1V_S1U_lEENS_32ThreadwiseTensorSliceTransfer_v2ISD_SD_RKS3R_KS1X_NS5_IJLi8ELi1ELi1ELi32EEEENS5_IJLi1ELi2ELi0ELi3EEEELi3ELi32ELi0ELb1ELb0ELb0EEENS3F_ILS3G_1EKSD_lLb1ELS3I_0EiEENSF_IJNS_12StaticBufferILS3G_4ESD_Li256ELb1EEES42_EEES3N_NS_25StaticBufferTupleOfVectorILS3G_4EfLi64ELi4ELb1ELb0EEEEEvRKT1_RKT2_RT3_RKT4_RT5_RKT6_RKT7_RT8_RKT9_RT10_RKT11_RT12_iENKUlT_T0_E_clISN_NSH_IiLi0EEEEEDaS51_S52_ENKUlS51_E_clINSH_IiLi6EEEEEDaS51_EUlS51_E_EEvS51_EUlS51_E_EEvS51_
	.type	_ZNK2ck6detail7applierIiJLi0ELi1ELi2ELi3ELi4ELi5ELi6ELi7EEEclIZNKS_11static_fordINS_8SequenceIJLi1ELi8EEEENS5_IJLi0ELi1EEEEEclIZZZNKS_52BlockwiseGemmXdlops_pipeline_bpreshuffle_bdequant_v3ILNS_26BlockGemmPipelineSchedulerE0ELi256ENS_9f8_fnuz_tENS_7pk_i4_tESC_fNS_16TensorDescriptorINS_5TupleIJNS_5EmbedINSF_IJNS_17integral_constantIiLi8EEENSH_IiLi256EEENSH_IiLi16EEEEEENSF_IJSK_NSH_IiLi128EEENSH_IiLi1EEEEEELb0EEENS_3XorINSF_IJSJ_SI_EEELb1EEENS_11PassThroughISK_EENS_7UnMergeINSF_IJSI_SN_EEELb0EEENST_ISJ_EESU_NST_ISI_EENS_21Merge_v3_division_modINSF_IJSJ_SN_EEEEESU_EEENSF_IJNS5_IJLi0EEEENS5_IJLi2ELi1EEEENS5_IJLi3EEEENS5_IJLi5EEEENS5_IJLi4EEEENS5_IJLi6EEEENS5_IJLi7EEEENS5_IJLi9ELi8EEEENS5_IJLi10EEEEEEENSF_IJNS5_IJLi1ELi2ELi3EEEENS5_IJLi4ELi5EEEES19_NS5_IJLi7ELi8EEEENS5_IJLi9EEEES1C_NS5_IJLi11EEEENS5_IJLi12EEEENS5_IJLi13EEEEEEENS5_IJLi11ELi12ELi13EEEENSH_IlLl32768EEEEENSE_INSF_IJNSV_INSF_IJSI_SN_SN_NSH_IiLi32EEEEEELb0EEEEEENSF_IJS14_EEENSF_IJNS5_IJLi1ELi2ELi3ELi4EEEEEEES1U_NSH_IlLl256EEEEENSE_INSF_IJSP_SS_SU_SX_SY_SU_SZ_S12_SU_NS10_INSF_IJSI_SK_EEEEENSV_INSF_IJSI_NSH_IiLi2EEESK_EEELb0EEEEEENSF_IJS14_S15_S16_S17_S18_S19_S1A_S1B_S1C_NS5_IJLi11ELi13EEEES1J_EEENSF_IJS1E_S1F_S19_S1G_S1H_S1C_S1I_S1J_S1K_NS5_IJLi14EEEENS5_IJLi15ELi16ELi17EEEEEEENS5_IJLi15ELi16ELi17ELi14EEEES1N_EENSE_INSF_IJS1R_NS10_ISW_EES22_EEENSF_IJS14_NS5_IJLi1ELi3EEEENS5_IJLi2EEEEEEENSF_IJS1U_S17_NS5_IJLi6ELi7ELi8EEEEEEENS5_IJLi6ELi7ELi8ELi5EEEES1W_EELi16ELi32ELi256ELi256ELi128ELi16ELi16ELi8ELi8ELi32ELb0EE3RunILb1ELNS_10TailNumberE1ENSE_INSF_IJNSG_INSF_IJiiEEENSF_IJiSN_EEELb0EEENSV_IS2N_Lb0EEENST_IiEEEEENSF_IJS14_S2E_NS5_IJLi1EEEEEEENSF_IJNS5_IJLi1ELi2EEEENS5_IJLi3ELi4EEEES17_EEENS5_IJLi3ELi5ELi4EEEElEES1O_NS_35ThreadGroupTensorSliceTransfer_v4r1INS_15ThisThreadBlockILi256EEENS_16tensor_operation12element_wise11PassThroughES35_LNS_25InMemoryDataOperationEnumE0ENS5_IJLi8ELi256ELi16EEEENS5_IJLi8ELi32ELi1EEEENS5_IJLi1ELi0ELi2EEEESC_SC_RKS2Z_KS1O_S39_NS5_IJLi0ELi1ELi2EEEELi2ELi2ELi16ELi16ELi1ELi1ELb0ELb1ELi2EiEENS_13DynamicBufferILNS_16AddressSpaceEnumE1EKSC_lLb1ELNS_22AmdBufferCoherenceEnumE0EiEENSF_IJNS3F_ILS3G_2ESC_S1N_Lb1ELS3I_0EiEES3K_EEENSF_IJiiiEEENSE_INSF_IJNSG_INSF_IJiiiiEEENSF_IJiiiSN_EEELb0EEEEEES1T_S1V_S1U_lEENS_32ThreadwiseTensorSliceTransfer_v2ISD_SD_RKS3R_KS1X_NS5_IJLi8ELi1ELi1ELi32EEEENS5_IJLi1ELi2ELi0ELi3EEEELi3ELi32ELi0ELb1ELb0ELb0EEENS3F_ILS3G_1EKSD_lLb1ELS3I_0EiEENSF_IJNS_12StaticBufferILS3G_4ESD_Li256ELb1EEES42_EEES3N_NS_25StaticBufferTupleOfVectorILS3G_4EfLi64ELi4ELb1ELb0EEEEEvRKT1_RKT2_RT3_RKT4_RT5_RKT6_RKT7_RT8_RKT9_RT10_RKT11_RT12_iENKUlT_T0_E_clISN_NSH_IiLi0EEEEEDaS51_S52_ENKUlS51_E_clINSH_IiLi6EEEEEDaS51_EUlS51_E_EEvS51_EUlS51_E_EEvS51_,@function
_ZNK2ck6detail7applierIiJLi0ELi1ELi2ELi3ELi4ELi5ELi6ELi7EEEclIZNKS_11static_fordINS_8SequenceIJLi1ELi8EEEENS5_IJLi0ELi1EEEEEclIZZZNKS_52BlockwiseGemmXdlops_pipeline_bpreshuffle_bdequant_v3ILNS_26BlockGemmPipelineSchedulerE0ELi256ENS_9f8_fnuz_tENS_7pk_i4_tESC_fNS_16TensorDescriptorINS_5TupleIJNS_5EmbedINSF_IJNS_17integral_constantIiLi8EEENSH_IiLi256EEENSH_IiLi16EEEEEENSF_IJSK_NSH_IiLi128EEENSH_IiLi1EEEEEELb0EEENS_3XorINSF_IJSJ_SI_EEELb1EEENS_11PassThroughISK_EENS_7UnMergeINSF_IJSI_SN_EEELb0EEENST_ISJ_EESU_NST_ISI_EENS_21Merge_v3_division_modINSF_IJSJ_SN_EEEEESU_EEENSF_IJNS5_IJLi0EEEENS5_IJLi2ELi1EEEENS5_IJLi3EEEENS5_IJLi5EEEENS5_IJLi4EEEENS5_IJLi6EEEENS5_IJLi7EEEENS5_IJLi9ELi8EEEENS5_IJLi10EEEEEEENSF_IJNS5_IJLi1ELi2ELi3EEEENS5_IJLi4ELi5EEEES19_NS5_IJLi7ELi8EEEENS5_IJLi9EEEES1C_NS5_IJLi11EEEENS5_IJLi12EEEENS5_IJLi13EEEEEEENS5_IJLi11ELi12ELi13EEEENSH_IlLl32768EEEEENSE_INSF_IJNSV_INSF_IJSI_SN_SN_NSH_IiLi32EEEEEELb0EEEEEENSF_IJS14_EEENSF_IJNS5_IJLi1ELi2ELi3ELi4EEEEEEES1U_NSH_IlLl256EEEEENSE_INSF_IJSP_SS_SU_SX_SY_SU_SZ_S12_SU_NS10_INSF_IJSI_SK_EEEEENSV_INSF_IJSI_NSH_IiLi2EEESK_EEELb0EEEEEENSF_IJS14_S15_S16_S17_S18_S19_S1A_S1B_S1C_NS5_IJLi11ELi13EEEES1J_EEENSF_IJS1E_S1F_S19_S1G_S1H_S1C_S1I_S1J_S1K_NS5_IJLi14EEEENS5_IJLi15ELi16ELi17EEEEEEENS5_IJLi15ELi16ELi17ELi14EEEES1N_EENSE_INSF_IJS1R_NS10_ISW_EES22_EEENSF_IJS14_NS5_IJLi1ELi3EEEENS5_IJLi2EEEEEEENSF_IJS1U_S17_NS5_IJLi6ELi7ELi8EEEEEEENS5_IJLi6ELi7ELi8ELi5EEEES1W_EELi16ELi32ELi256ELi256ELi128ELi16ELi16ELi8ELi8ELi32ELb0EE3RunILb1ELNS_10TailNumberE1ENSE_INSF_IJNSG_INSF_IJiiEEENSF_IJiSN_EEELb0EEENSV_IS2N_Lb0EEENST_IiEEEEENSF_IJS14_S2E_NS5_IJLi1EEEEEEENSF_IJNS5_IJLi1ELi2EEEENS5_IJLi3ELi4EEEES17_EEENS5_IJLi3ELi5ELi4EEEElEES1O_NS_35ThreadGroupTensorSliceTransfer_v4r1INS_15ThisThreadBlockILi256EEENS_16tensor_operation12element_wise11PassThroughES35_LNS_25InMemoryDataOperationEnumE0ENS5_IJLi8ELi256ELi16EEEENS5_IJLi8ELi32ELi1EEEENS5_IJLi1ELi0ELi2EEEESC_SC_RKS2Z_KS1O_S39_NS5_IJLi0ELi1ELi2EEEELi2ELi2ELi16ELi16ELi1ELi1ELb0ELb1ELi2EiEENS_13DynamicBufferILNS_16AddressSpaceEnumE1EKSC_lLb1ELNS_22AmdBufferCoherenceEnumE0EiEENSF_IJNS3F_ILS3G_2ESC_S1N_Lb1ELS3I_0EiEES3K_EEENSF_IJiiiEEENSE_INSF_IJNSG_INSF_IJiiiiEEENSF_IJiiiSN_EEELb0EEEEEES1T_S1V_S1U_lEENS_32ThreadwiseTensorSliceTransfer_v2ISD_SD_RKS3R_KS1X_NS5_IJLi8ELi1ELi1ELi32EEEENS5_IJLi1ELi2ELi0ELi3EEEELi3ELi32ELi0ELb1ELb0ELb0EEENS3F_ILS3G_1EKSD_lLb1ELS3I_0EiEENSF_IJNS_12StaticBufferILS3G_4ESD_Li256ELb1EEES42_EEES3N_NS_25StaticBufferTupleOfVectorILS3G_4EfLi64ELi4ELb1ELb0EEEEEvRKT1_RKT2_RT3_RKT4_RT5_RKT6_RKT7_RT8_RKT9_RT10_RKT11_RT12_iENKUlT_T0_E_clISN_NSH_IiLi0EEEEEDaS51_S52_ENKUlS51_E_clINSH_IiLi6EEEEEDaS51_EUlS51_E_EEvS51_EUlS51_E_EEvS51_: ; @_ZNK2ck6detail7applierIiJLi0ELi1ELi2ELi3ELi4ELi5ELi6ELi7EEEclIZNKS_11static_fordINS_8SequenceIJLi1ELi8EEEENS5_IJLi0ELi1EEEEEclIZZZNKS_52BlockwiseGemmXdlops_pipeline_bpreshuffle_bdequant_v3ILNS_26BlockGemmPipelineSchedulerE0ELi256ENS_9f8_fnuz_tENS_7pk_i4_tESC_fNS_16TensorDescriptorINS_5TupleIJNS_5EmbedINSF_IJNS_17integral_constantIiLi8EEENSH_IiLi256EEENSH_IiLi16EEEEEENSF_IJSK_NSH_IiLi128EEENSH_IiLi1EEEEEELb0EEENS_3XorINSF_IJSJ_SI_EEELb1EEENS_11PassThroughISK_EENS_7UnMergeINSF_IJSI_SN_EEELb0EEENST_ISJ_EESU_NST_ISI_EENS_21Merge_v3_division_modINSF_IJSJ_SN_EEEEESU_EEENSF_IJNS5_IJLi0EEEENS5_IJLi2ELi1EEEENS5_IJLi3EEEENS5_IJLi5EEEENS5_IJLi4EEEENS5_IJLi6EEEENS5_IJLi7EEEENS5_IJLi9ELi8EEEENS5_IJLi10EEEEEEENSF_IJNS5_IJLi1ELi2ELi3EEEENS5_IJLi4ELi5EEEES19_NS5_IJLi7ELi8EEEENS5_IJLi9EEEES1C_NS5_IJLi11EEEENS5_IJLi12EEEENS5_IJLi13EEEEEEENS5_IJLi11ELi12ELi13EEEENSH_IlLl32768EEEEENSE_INSF_IJNSV_INSF_IJSI_SN_SN_NSH_IiLi32EEEEEELb0EEEEEENSF_IJS14_EEENSF_IJNS5_IJLi1ELi2ELi3ELi4EEEEEEES1U_NSH_IlLl256EEEEENSE_INSF_IJSP_SS_SU_SX_SY_SU_SZ_S12_SU_NS10_INSF_IJSI_SK_EEEEENSV_INSF_IJSI_NSH_IiLi2EEESK_EEELb0EEEEEENSF_IJS14_S15_S16_S17_S18_S19_S1A_S1B_S1C_NS5_IJLi11ELi13EEEES1J_EEENSF_IJS1E_S1F_S19_S1G_S1H_S1C_S1I_S1J_S1K_NS5_IJLi14EEEENS5_IJLi15ELi16ELi17EEEEEEENS5_IJLi15ELi16ELi17ELi14EEEES1N_EENSE_INSF_IJS1R_NS10_ISW_EES22_EEENSF_IJS14_NS5_IJLi1ELi3EEEENS5_IJLi2EEEEEEENSF_IJS1U_S17_NS5_IJLi6ELi7ELi8EEEEEEENS5_IJLi6ELi7ELi8ELi5EEEES1W_EELi16ELi32ELi256ELi256ELi128ELi16ELi16ELi8ELi8ELi32ELb0EE3RunILb1ELNS_10TailNumberE1ENSE_INSF_IJNSG_INSF_IJiiEEENSF_IJiSN_EEELb0EEENSV_IS2N_Lb0EEENST_IiEEEEENSF_IJS14_S2E_NS5_IJLi1EEEEEEENSF_IJNS5_IJLi1ELi2EEEENS5_IJLi3ELi4EEEES17_EEENS5_IJLi3ELi5ELi4EEEElEES1O_NS_35ThreadGroupTensorSliceTransfer_v4r1INS_15ThisThreadBlockILi256EEENS_16tensor_operation12element_wise11PassThroughES35_LNS_25InMemoryDataOperationEnumE0ENS5_IJLi8ELi256ELi16EEEENS5_IJLi8ELi32ELi1EEEENS5_IJLi1ELi0ELi2EEEESC_SC_RKS2Z_KS1O_S39_NS5_IJLi0ELi1ELi2EEEELi2ELi2ELi16ELi16ELi1ELi1ELb0ELb1ELi2EiEENS_13DynamicBufferILNS_16AddressSpaceEnumE1EKSC_lLb1ELNS_22AmdBufferCoherenceEnumE0EiEENSF_IJNS3F_ILS3G_2ESC_S1N_Lb1ELS3I_0EiEES3K_EEENSF_IJiiiEEENSE_INSF_IJNSG_INSF_IJiiiiEEENSF_IJiiiSN_EEELb0EEEEEES1T_S1V_S1U_lEENS_32ThreadwiseTensorSliceTransfer_v2ISD_SD_RKS3R_KS1X_NS5_IJLi8ELi1ELi1ELi32EEEENS5_IJLi1ELi2ELi0ELi3EEEELi3ELi32ELi0ELb1ELb0ELb0EEENS3F_ILS3G_1EKSD_lLb1ELS3I_0EiEENSF_IJNS_12StaticBufferILS3G_4ESD_Li256ELb1EEES42_EEES3N_NS_25StaticBufferTupleOfVectorILS3G_4EfLi64ELi4ELb1ELb0EEEEEvRKT1_RKT2_RT3_RKT4_RT5_RKT6_RKT7_RT8_RKT9_RT10_RKT11_RT12_iENKUlT_T0_E_clISN_NSH_IiLi0EEEEEDaS51_S52_ENKUlS51_E_clINSH_IiLi6EEEEEDaS51_EUlS51_E_EEvS51_EUlS51_E_EEvS51_
; %bb.0:
	s_waitcnt vmcnt(0) expcnt(0) lgkmcnt(0)
	flat_load_dwordx4 v[20:23], v[0:1] offset:16
	flat_load_dwordx2 v[18:19], v[0:1] offset:32
	s_movk_i32 s4, 0x7f
                                        ; implicit-def: $sgpr10
	s_waitcnt vmcnt(0) lgkmcnt(0)
	flat_load_dwordx4 v[14:17], v[20:21]
	flat_load_dwordx4 v[6:9], v[20:21] offset:16
	flat_load_dwordx4 v[10:13], v[22:23] offset:256
	;; [unrolled: 1-line block ×3, first 2 shown]
	s_waitcnt vmcnt(0) lgkmcnt(0)
	v_cmp_gt_i16_sdwa s[6:7], v14, s4 src0_sel:BYTE_0 src1_sel:DWORD
	s_mov_b64 s[4:5], 0
	s_and_saveexec_b64 s[8:9], s[6:7]
	s_xor_b64 s[6:7], exec, s[8:9]
	s_cbranch_execnz .LBB42_2049
; %bb.1:
	s_or_saveexec_b64 s[6:7], s[6:7]
	v_mov_b32_e32 v20, s10
	s_xor_b64 exec, exec, s[6:7]
	s_cbranch_execnz .LBB42_2052
.LBB42_2:
	s_or_b64 exec, exec, s[6:7]
	s_and_saveexec_b64 s[6:7], s[4:5]
	s_cbranch_execz .LBB42_4
.LBB42_3:
	v_and_b32_e32 v20, 7, v14
	v_ffbh_u32_e32 v22, v20
	v_min_u32_e32 v22, 32, v22
	v_lshrrev_b16_e32 v21, 3, v14
	v_subrev_u32_e32 v23, 28, v22
	v_and_b32_e32 v21, 15, v21
	v_lshlrev_b32_e32 v23, v23, v14
	v_sub_u32_e32 v22, 29, v22
	v_and_b32_e32 v23, 7, v23
	v_cmp_eq_u16_e32 vcc, 0, v21
	v_cndmask_b32_e32 v20, v20, v23, vcc
	v_cndmask_b32_e32 v21, v21, v22, vcc
	v_lshlrev_b32_e32 v22, 24, v14
	v_mov_b32_e32 v23, 0x3b800000
	v_lshlrev_b32_e32 v20, 20, v20
	v_and_b32_e32 v22, 0x80000000, v22
	v_lshl_add_u32 v21, v21, 23, v23
	v_or3_b32 v20, v22, v21, v20
.LBB42_4:
	s_or_b64 exec, exec, s[6:7]
	s_movk_i32 s4, 0x7f
	v_cmp_gt_i16_sdwa s[6:7], v10, s4 src0_sel:BYTE_0 src1_sel:DWORD
	s_mov_b64 s[4:5], 0
                                        ; implicit-def: $sgpr10
	s_and_saveexec_b64 s[8:9], s[6:7]
	s_xor_b64 s[6:7], exec, s[8:9]
	s_cbranch_execnz .LBB42_2053
; %bb.5:
	s_or_saveexec_b64 s[6:7], s[6:7]
	v_mov_b32_e32 v21, s10
	s_xor_b64 exec, exec, s[6:7]
	s_cbranch_execnz .LBB42_2056
.LBB42_6:
	s_or_b64 exec, exec, s[6:7]
	s_and_saveexec_b64 s[6:7], s[4:5]
	s_cbranch_execz .LBB42_8
.LBB42_7:
	v_and_b32_e32 v21, 7, v10
	v_ffbh_u32_e32 v23, v21
	v_min_u32_e32 v23, 32, v23
	v_lshrrev_b16_e32 v22, 3, v10
	v_subrev_u32_e32 v24, 28, v23
	v_and_b32_e32 v22, 15, v22
	v_lshlrev_b32_e32 v24, v24, v10
	v_sub_u32_e32 v23, 29, v23
	v_and_b32_e32 v24, 7, v24
	v_cmp_eq_u16_e32 vcc, 0, v22
	v_cndmask_b32_e32 v21, v21, v24, vcc
	v_cndmask_b32_e32 v22, v22, v23, vcc
	v_lshlrev_b32_e32 v23, 24, v10
	v_mov_b32_e32 v24, 0x3b800000
	v_lshlrev_b32_e32 v21, 20, v21
	v_and_b32_e32 v23, 0x80000000, v23
	v_lshl_add_u32 v22, v22, 23, v24
	v_or3_b32 v21, v23, v22, v21
.LBB42_8:
	s_or_b64 exec, exec, s[6:7]
	flat_load_dwordx4 a[0:3], v[18:19] offset:768
	s_movk_i32 s4, 0x7f
                                        ; implicit-def: $sgpr10
	s_waitcnt vmcnt(0) lgkmcnt(0)
	v_mfma_f32_16x16x4f32 a[0:3], v20, v21, a[0:3]
	v_lshrrev_b32_e32 v21, 8, v14
	v_cmp_gt_i16_sdwa s[6:7], v21, s4 src0_sel:BYTE_0 src1_sel:DWORD
	s_mov_b64 s[4:5], 0
	s_and_saveexec_b64 s[8:9], s[6:7]
	s_xor_b64 s[6:7], exec, s[8:9]
	s_cbranch_execnz .LBB42_2057
; %bb.9:
	s_or_saveexec_b64 s[6:7], s[6:7]
	v_mov_b32_e32 v20, s10
	s_xor_b64 exec, exec, s[6:7]
	s_cbranch_execnz .LBB42_2060
.LBB42_10:
	s_or_b64 exec, exec, s[6:7]
	s_and_saveexec_b64 s[6:7], s[4:5]
	s_cbranch_execz .LBB42_12
.LBB42_11:
	v_bfe_u32 v20, v14, 8, 3
	v_ffbh_u32_e32 v23, v20
	v_min_u32_e32 v23, 32, v23
	v_lshrrev_b16_e32 v22, 3, v21
	v_subrev_u32_e32 v24, 28, v23
	v_and_b32_e32 v22, 15, v22
	v_lshlrev_b32_e32 v21, v24, v21
	v_sub_u32_e32 v23, 29, v23
	v_and_b32_e32 v21, 7, v21
	v_cmp_eq_u16_e32 vcc, 0, v22
	v_cndmask_b32_e32 v20, v20, v21, vcc
	v_cndmask_b32_e32 v21, v22, v23, vcc
	v_lshlrev_b32_e32 v22, 16, v14
	v_mov_b32_e32 v23, 0x3b800000
	v_lshlrev_b32_e32 v20, 20, v20
	v_and_b32_e32 v22, 0x80000000, v22
	v_lshl_add_u32 v21, v21, 23, v23
	v_or3_b32 v20, v22, v21, v20
.LBB42_12:
	s_or_b64 exec, exec, s[6:7]
	v_lshrrev_b32_e32 v21, 8, v10
	s_movk_i32 s4, 0x7f
	v_cmp_gt_i16_sdwa s[6:7], v21, s4 src0_sel:BYTE_0 src1_sel:DWORD
	s_mov_b64 s[4:5], 0
                                        ; implicit-def: $sgpr10
	s_and_saveexec_b64 s[8:9], s[6:7]
	s_xor_b64 s[6:7], exec, s[8:9]
	s_cbranch_execnz .LBB42_2061
; %bb.13:
	s_or_saveexec_b64 s[6:7], s[6:7]
	v_mov_b32_e32 v22, s10
	s_xor_b64 exec, exec, s[6:7]
	s_cbranch_execnz .LBB42_2064
.LBB42_14:
	s_or_b64 exec, exec, s[6:7]
	s_and_saveexec_b64 s[6:7], s[4:5]
	s_cbranch_execz .LBB42_16
.LBB42_15:
	v_bfe_u32 v22, v10, 8, 3
	v_ffbh_u32_e32 v24, v22
	v_min_u32_e32 v24, 32, v24
	v_lshrrev_b16_e32 v23, 3, v21
	v_subrev_u32_e32 v25, 28, v24
	v_and_b32_e32 v23, 15, v23
	v_lshlrev_b32_e32 v21, v25, v21
	v_sub_u32_e32 v24, 29, v24
	v_and_b32_e32 v21, 7, v21
	v_cmp_eq_u16_e32 vcc, 0, v23
	v_cndmask_b32_e32 v21, v22, v21, vcc
	v_cndmask_b32_e32 v22, v23, v24, vcc
	v_lshlrev_b32_e32 v23, 16, v10
	v_mov_b32_e32 v24, 0x3b800000
	v_lshlrev_b32_e32 v21, 20, v21
	v_and_b32_e32 v23, 0x80000000, v23
	v_lshl_add_u32 v22, v22, 23, v24
	v_or3_b32 v22, v23, v22, v21
.LBB42_16:
	s_or_b64 exec, exec, s[6:7]
	s_nop 0
	v_mfma_f32_16x16x4f32 a[0:3], v20, v22, a[0:3]
	s_movk_i32 s4, 0xff
	v_and_b32_sdwa v21, v14, s4 dst_sel:DWORD dst_unused:UNUSED_PAD src0_sel:WORD_1 src1_sel:DWORD
	s_movk_i32 s4, 0x7f
	v_cmp_lt_i16_e32 vcc, s4, v21
	s_mov_b64 s[4:5], 0
                                        ; implicit-def: $sgpr10
	s_and_saveexec_b64 s[6:7], vcc
	s_xor_b64 s[6:7], exec, s[6:7]
	s_cbranch_execnz .LBB42_2065
; %bb.17:
	s_or_saveexec_b64 s[6:7], s[6:7]
	v_mov_b32_e32 v20, s10
	s_xor_b64 exec, exec, s[6:7]
	s_cbranch_execnz .LBB42_2068
.LBB42_18:
	s_or_b64 exec, exec, s[6:7]
	s_and_saveexec_b64 s[6:7], s[4:5]
	s_cbranch_execz .LBB42_20
.LBB42_19:
	v_bfe_u32 v20, v14, 16, 3
	v_ffbh_u32_e32 v23, v20
	v_min_u32_e32 v23, 32, v23
	v_lshrrev_b32_e32 v21, 19, v14
	v_subrev_u32_e32 v24, 28, v23
	v_and_b32_e32 v21, 15, v21
	v_lshlrev_b32_sdwa v24, v24, v14 dst_sel:DWORD dst_unused:UNUSED_PAD src0_sel:DWORD src1_sel:WORD_1
	v_bfe_u32 v22, v14, 19, 4
	v_sub_u32_e32 v23, 29, v23
	v_and_b32_e32 v24, 7, v24
	v_cmp_eq_u16_e32 vcc, 0, v21
	v_cndmask_b32_e32 v20, v20, v24, vcc
	v_cndmask_b32_e32 v21, v22, v23, vcc
	v_lshlrev_b32_e32 v22, 8, v14
	v_mov_b32_e32 v23, 0x3b800000
	v_lshlrev_b32_e32 v20, 20, v20
	v_and_b32_e32 v22, 0x80000000, v22
	v_lshl_add_u32 v21, v21, 23, v23
	v_or3_b32 v20, v22, v21, v20
.LBB42_20:
	s_or_b64 exec, exec, s[6:7]
	s_movk_i32 s4, 0xff
	v_and_b32_sdwa v21, v10, s4 dst_sel:DWORD dst_unused:UNUSED_PAD src0_sel:WORD_1 src1_sel:DWORD
	s_movk_i32 s4, 0x7f
	v_cmp_lt_i16_e32 vcc, s4, v21
	s_mov_b64 s[4:5], 0
                                        ; implicit-def: $sgpr10
	s_and_saveexec_b64 s[6:7], vcc
	s_xor_b64 s[6:7], exec, s[6:7]
	s_cbranch_execnz .LBB42_2069
; %bb.21:
	s_or_saveexec_b64 s[6:7], s[6:7]
	v_mov_b32_e32 v22, s10
	s_xor_b64 exec, exec, s[6:7]
	s_cbranch_execnz .LBB42_2072
.LBB42_22:
	s_or_b64 exec, exec, s[6:7]
	s_and_saveexec_b64 s[6:7], s[4:5]
	s_cbranch_execz .LBB42_24
.LBB42_23:
	v_bfe_u32 v21, v10, 16, 3
	v_ffbh_u32_e32 v24, v21
	v_min_u32_e32 v24, 32, v24
	v_lshrrev_b32_e32 v22, 19, v10
	v_subrev_u32_e32 v25, 28, v24
	v_and_b32_e32 v22, 15, v22
	v_lshlrev_b32_sdwa v25, v25, v10 dst_sel:DWORD dst_unused:UNUSED_PAD src0_sel:DWORD src1_sel:WORD_1
	v_bfe_u32 v23, v10, 19, 4
	v_sub_u32_e32 v24, 29, v24
	v_and_b32_e32 v25, 7, v25
	v_cmp_eq_u16_e32 vcc, 0, v22
	v_cndmask_b32_e32 v21, v21, v25, vcc
	v_cndmask_b32_e32 v22, v23, v24, vcc
	v_lshlrev_b32_e32 v23, 8, v10
	v_mov_b32_e32 v24, 0x3b800000
	v_lshlrev_b32_e32 v21, 20, v21
	v_and_b32_e32 v23, 0x80000000, v23
	v_lshl_add_u32 v22, v22, 23, v24
	v_or3_b32 v22, v23, v22, v21
.LBB42_24:
	s_or_b64 exec, exec, s[6:7]
	s_nop 0
	v_mfma_f32_16x16x4f32 a[0:3], v20, v22, a[0:3]
	s_movk_i32 s4, 0x7f
	v_cmp_gt_i16_sdwa s[6:7], v14, s4 src0_sel:BYTE_3 src1_sel:DWORD
	s_mov_b64 s[4:5], 0
                                        ; implicit-def: $sgpr10
	s_and_saveexec_b64 s[8:9], s[6:7]
	s_xor_b64 s[6:7], exec, s[8:9]
	s_cbranch_execnz .LBB42_2073
; %bb.25:
	s_or_saveexec_b64 s[6:7], s[6:7]
	v_mov_b32_e32 v20, s10
	s_xor_b64 exec, exec, s[6:7]
	s_cbranch_execnz .LBB42_2076
.LBB42_26:
	s_or_b64 exec, exec, s[6:7]
	s_and_saveexec_b64 s[6:7], s[4:5]
	s_cbranch_execz .LBB42_28
.LBB42_27:
	v_bfe_u32 v20, v14, 24, 3
	v_ffbh_u32_e32 v24, v20
	v_min_u32_e32 v24, 32, v24
	v_lshrrev_b32_e32 v22, 27, v14
	v_subrev_u32_e32 v25, 28, v24
	v_and_b32_e32 v21, 0x80000000, v14
	v_and_b32_e32 v22, 15, v22
	v_bfe_u32 v23, v14, 27, 4
	v_lshlrev_b32_sdwa v14, v25, v14 dst_sel:DWORD dst_unused:UNUSED_PAD src0_sel:DWORD src1_sel:BYTE_3
	v_sub_u32_e32 v24, 29, v24
	v_and_b32_e32 v14, 7, v14
	v_cmp_eq_u16_e32 vcc, 0, v22
	v_cndmask_b32_e32 v14, v20, v14, vcc
	v_cndmask_b32_e32 v20, v23, v24, vcc
	v_mov_b32_e32 v22, 0x3b800000
	v_lshlrev_b32_e32 v14, 20, v14
	v_lshl_add_u32 v20, v20, 23, v22
	v_or3_b32 v20, v21, v20, v14
.LBB42_28:
	s_or_b64 exec, exec, s[6:7]
	s_movk_i32 s4, 0x7f
	v_cmp_gt_i16_sdwa s[6:7], v10, s4 src0_sel:BYTE_3 src1_sel:DWORD
	s_mov_b64 s[4:5], 0
                                        ; implicit-def: $sgpr10
	s_and_saveexec_b64 s[8:9], s[6:7]
	s_xor_b64 s[6:7], exec, s[8:9]
	s_cbranch_execnz .LBB42_2077
; %bb.29:
	s_or_saveexec_b64 s[6:7], s[6:7]
	v_mov_b32_e32 v14, s10
	s_xor_b64 exec, exec, s[6:7]
	s_cbranch_execnz .LBB42_2080
.LBB42_30:
	s_or_b64 exec, exec, s[6:7]
	s_and_saveexec_b64 s[6:7], s[4:5]
	s_cbranch_execz .LBB42_32
.LBB42_31:
	v_bfe_u32 v14, v10, 24, 3
	v_ffbh_u32_e32 v24, v14
	v_min_u32_e32 v24, 32, v24
	v_lshrrev_b32_e32 v22, 27, v10
	v_subrev_u32_e32 v25, 28, v24
	v_and_b32_e32 v21, 0x80000000, v10
	v_and_b32_e32 v22, 15, v22
	v_bfe_u32 v23, v10, 27, 4
	v_lshlrev_b32_sdwa v10, v25, v10 dst_sel:DWORD dst_unused:UNUSED_PAD src0_sel:DWORD src1_sel:BYTE_3
	v_sub_u32_e32 v24, 29, v24
	v_and_b32_e32 v10, 7, v10
	v_cmp_eq_u16_e32 vcc, 0, v22
	v_cndmask_b32_e32 v10, v14, v10, vcc
	v_cndmask_b32_e32 v14, v23, v24, vcc
	v_mov_b32_e32 v22, 0x3b800000
	v_lshlrev_b32_e32 v10, 20, v10
	v_lshl_add_u32 v14, v14, 23, v22
	v_or3_b32 v14, v21, v14, v10
.LBB42_32:
	s_or_b64 exec, exec, s[6:7]
	s_nop 0
	v_mfma_f32_16x16x4f32 a[0:3], v20, v14, a[0:3]
	s_movk_i32 s4, 0x7f
	v_cmp_gt_i16_sdwa s[6:7], v15, s4 src0_sel:BYTE_0 src1_sel:DWORD
	s_mov_b64 s[4:5], 0
                                        ; implicit-def: $sgpr10
	s_and_saveexec_b64 s[8:9], s[6:7]
	s_xor_b64 s[6:7], exec, s[8:9]
	s_cbranch_execnz .LBB42_2081
; %bb.33:
	s_or_saveexec_b64 s[6:7], s[6:7]
	v_mov_b32_e32 v10, s10
	s_xor_b64 exec, exec, s[6:7]
	s_cbranch_execnz .LBB42_2084
.LBB42_34:
	s_or_b64 exec, exec, s[6:7]
	s_and_saveexec_b64 s[6:7], s[4:5]
	s_cbranch_execz .LBB42_36
.LBB42_35:
	v_and_b32_e32 v10, 7, v15
	v_ffbh_u32_e32 v20, v10
	v_min_u32_e32 v20, 32, v20
	v_lshrrev_b16_e32 v14, 3, v15
	v_subrev_u32_e32 v21, 28, v20
	v_and_b32_e32 v14, 15, v14
	v_lshlrev_b32_e32 v21, v21, v15
	v_sub_u32_e32 v20, 29, v20
	v_and_b32_e32 v21, 7, v21
	v_cmp_eq_u16_e32 vcc, 0, v14
	v_cndmask_b32_e32 v10, v10, v21, vcc
	v_cndmask_b32_e32 v14, v14, v20, vcc
	v_lshlrev_b32_e32 v20, 24, v15
	v_mov_b32_e32 v21, 0x3b800000
	v_lshlrev_b32_e32 v10, 20, v10
	v_and_b32_e32 v20, 0x80000000, v20
	v_lshl_add_u32 v14, v14, 23, v21
	v_or3_b32 v10, v20, v14, v10
.LBB42_36:
	s_or_b64 exec, exec, s[6:7]
	s_movk_i32 s4, 0x7f
	v_cmp_gt_i16_sdwa s[6:7], v11, s4 src0_sel:BYTE_0 src1_sel:DWORD
	s_mov_b64 s[4:5], 0
                                        ; implicit-def: $sgpr10
	s_and_saveexec_b64 s[8:9], s[6:7]
	s_xor_b64 s[6:7], exec, s[8:9]
	s_cbranch_execnz .LBB42_2085
; %bb.37:
	s_or_saveexec_b64 s[6:7], s[6:7]
	v_mov_b32_e32 v14, s10
	s_xor_b64 exec, exec, s[6:7]
	s_cbranch_execnz .LBB42_2088
.LBB42_38:
	s_or_b64 exec, exec, s[6:7]
	s_and_saveexec_b64 s[6:7], s[4:5]
	s_cbranch_execz .LBB42_40
.LBB42_39:
	v_and_b32_e32 v14, 7, v11
	v_ffbh_u32_e32 v21, v14
	v_min_u32_e32 v21, 32, v21
	v_lshrrev_b16_e32 v20, 3, v11
	v_subrev_u32_e32 v22, 28, v21
	v_and_b32_e32 v20, 15, v20
	v_lshlrev_b32_e32 v22, v22, v11
	v_sub_u32_e32 v21, 29, v21
	v_and_b32_e32 v22, 7, v22
	v_cmp_eq_u16_e32 vcc, 0, v20
	v_cndmask_b32_e32 v14, v14, v22, vcc
	v_cndmask_b32_e32 v20, v20, v21, vcc
	v_lshlrev_b32_e32 v21, 24, v11
	v_mov_b32_e32 v22, 0x3b800000
	v_lshlrev_b32_e32 v14, 20, v14
	v_and_b32_e32 v21, 0x80000000, v21
	v_lshl_add_u32 v20, v20, 23, v22
	v_or3_b32 v14, v21, v20, v14
.LBB42_40:
	s_or_b64 exec, exec, s[6:7]
	s_nop 0
	v_mfma_f32_16x16x4f32 a[0:3], v10, v14, a[0:3]
	v_lshrrev_b32_e32 v14, 8, v15
	s_movk_i32 s4, 0x7f
	v_cmp_gt_i16_sdwa s[6:7], v14, s4 src0_sel:BYTE_0 src1_sel:DWORD
	s_mov_b64 s[4:5], 0
                                        ; implicit-def: $sgpr10
	s_and_saveexec_b64 s[8:9], s[6:7]
	s_xor_b64 s[6:7], exec, s[8:9]
	s_cbranch_execnz .LBB42_2089
; %bb.41:
	s_or_saveexec_b64 s[6:7], s[6:7]
	v_mov_b32_e32 v10, s10
	s_xor_b64 exec, exec, s[6:7]
	s_cbranch_execnz .LBB42_2092
.LBB42_42:
	s_or_b64 exec, exec, s[6:7]
	s_and_saveexec_b64 s[6:7], s[4:5]
	s_cbranch_execz .LBB42_44
.LBB42_43:
	v_bfe_u32 v10, v15, 8, 3
	v_ffbh_u32_e32 v21, v10
	v_min_u32_e32 v21, 32, v21
	v_lshrrev_b16_e32 v20, 3, v14
	v_subrev_u32_e32 v22, 28, v21
	v_and_b32_e32 v20, 15, v20
	v_lshlrev_b32_e32 v14, v22, v14
	v_sub_u32_e32 v21, 29, v21
	v_and_b32_e32 v14, 7, v14
	v_cmp_eq_u16_e32 vcc, 0, v20
	v_cndmask_b32_e32 v10, v10, v14, vcc
	v_cndmask_b32_e32 v14, v20, v21, vcc
	v_lshlrev_b32_e32 v20, 16, v15
	v_mov_b32_e32 v21, 0x3b800000
	v_lshlrev_b32_e32 v10, 20, v10
	v_and_b32_e32 v20, 0x80000000, v20
	v_lshl_add_u32 v14, v14, 23, v21
	v_or3_b32 v10, v20, v14, v10
.LBB42_44:
	s_or_b64 exec, exec, s[6:7]
	v_lshrrev_b32_e32 v14, 8, v11
	s_movk_i32 s4, 0x7f
	v_cmp_gt_i16_sdwa s[6:7], v14, s4 src0_sel:BYTE_0 src1_sel:DWORD
	s_mov_b64 s[4:5], 0
                                        ; implicit-def: $sgpr10
	s_and_saveexec_b64 s[8:9], s[6:7]
	s_xor_b64 s[6:7], exec, s[8:9]
	s_cbranch_execnz .LBB42_2093
; %bb.45:
	s_or_saveexec_b64 s[6:7], s[6:7]
	v_mov_b32_e32 v20, s10
	s_xor_b64 exec, exec, s[6:7]
	s_cbranch_execnz .LBB42_2096
.LBB42_46:
	s_or_b64 exec, exec, s[6:7]
	s_and_saveexec_b64 s[6:7], s[4:5]
	s_cbranch_execz .LBB42_48
.LBB42_47:
	v_bfe_u32 v20, v11, 8, 3
	v_ffbh_u32_e32 v22, v20
	v_min_u32_e32 v22, 32, v22
	v_lshrrev_b16_e32 v21, 3, v14
	v_subrev_u32_e32 v23, 28, v22
	v_and_b32_e32 v21, 15, v21
	v_lshlrev_b32_e32 v14, v23, v14
	v_sub_u32_e32 v22, 29, v22
	v_and_b32_e32 v14, 7, v14
	v_cmp_eq_u16_e32 vcc, 0, v21
	v_cndmask_b32_e32 v14, v20, v14, vcc
	v_cndmask_b32_e32 v20, v21, v22, vcc
	v_lshlrev_b32_e32 v21, 16, v11
	v_mov_b32_e32 v22, 0x3b800000
	v_lshlrev_b32_e32 v14, 20, v14
	v_and_b32_e32 v21, 0x80000000, v21
	v_lshl_add_u32 v20, v20, 23, v22
	v_or3_b32 v20, v21, v20, v14
.LBB42_48:
	s_or_b64 exec, exec, s[6:7]
	s_nop 0
	v_mfma_f32_16x16x4f32 a[0:3], v10, v20, a[0:3]
	s_movk_i32 s4, 0xff
	v_and_b32_sdwa v14, v15, s4 dst_sel:DWORD dst_unused:UNUSED_PAD src0_sel:WORD_1 src1_sel:DWORD
	s_movk_i32 s4, 0x7f
	v_cmp_lt_i16_e32 vcc, s4, v14
	s_mov_b64 s[4:5], 0
                                        ; implicit-def: $sgpr10
	s_and_saveexec_b64 s[6:7], vcc
	s_xor_b64 s[6:7], exec, s[6:7]
	s_cbranch_execnz .LBB42_2097
; %bb.49:
	s_or_saveexec_b64 s[6:7], s[6:7]
	v_mov_b32_e32 v10, s10
	s_xor_b64 exec, exec, s[6:7]
	s_cbranch_execnz .LBB42_2100
.LBB42_50:
	s_or_b64 exec, exec, s[6:7]
	s_and_saveexec_b64 s[6:7], s[4:5]
	s_cbranch_execz .LBB42_52
.LBB42_51:
	v_bfe_u32 v10, v15, 16, 3
	v_ffbh_u32_e32 v21, v10
	v_min_u32_e32 v21, 32, v21
	v_lshrrev_b32_e32 v14, 19, v15
	v_subrev_u32_e32 v22, 28, v21
	v_and_b32_e32 v14, 15, v14
	v_lshlrev_b32_sdwa v22, v22, v15 dst_sel:DWORD dst_unused:UNUSED_PAD src0_sel:DWORD src1_sel:WORD_1
	v_bfe_u32 v20, v15, 19, 4
	v_sub_u32_e32 v21, 29, v21
	v_and_b32_e32 v22, 7, v22
	v_cmp_eq_u16_e32 vcc, 0, v14
	v_cndmask_b32_e32 v10, v10, v22, vcc
	v_cndmask_b32_e32 v14, v20, v21, vcc
	v_lshlrev_b32_e32 v20, 8, v15
	v_mov_b32_e32 v21, 0x3b800000
	v_lshlrev_b32_e32 v10, 20, v10
	v_and_b32_e32 v20, 0x80000000, v20
	v_lshl_add_u32 v14, v14, 23, v21
	v_or3_b32 v10, v20, v14, v10
.LBB42_52:
	s_or_b64 exec, exec, s[6:7]
	s_movk_i32 s4, 0xff
	v_and_b32_sdwa v14, v11, s4 dst_sel:DWORD dst_unused:UNUSED_PAD src0_sel:WORD_1 src1_sel:DWORD
	s_movk_i32 s4, 0x7f
	v_cmp_lt_i16_e32 vcc, s4, v14
	s_mov_b64 s[4:5], 0
                                        ; implicit-def: $sgpr10
	s_and_saveexec_b64 s[6:7], vcc
	s_xor_b64 s[6:7], exec, s[6:7]
	s_cbranch_execnz .LBB42_2101
; %bb.53:
	s_or_saveexec_b64 s[6:7], s[6:7]
	v_mov_b32_e32 v20, s10
	s_xor_b64 exec, exec, s[6:7]
	s_cbranch_execnz .LBB42_2104
.LBB42_54:
	s_or_b64 exec, exec, s[6:7]
	s_and_saveexec_b64 s[6:7], s[4:5]
	s_cbranch_execz .LBB42_56
.LBB42_55:
	v_bfe_u32 v14, v11, 16, 3
	v_ffbh_u32_e32 v22, v14
	v_min_u32_e32 v22, 32, v22
	v_lshrrev_b32_e32 v20, 19, v11
	v_subrev_u32_e32 v23, 28, v22
	v_and_b32_e32 v20, 15, v20
	v_lshlrev_b32_sdwa v23, v23, v11 dst_sel:DWORD dst_unused:UNUSED_PAD src0_sel:DWORD src1_sel:WORD_1
	v_bfe_u32 v21, v11, 19, 4
	v_sub_u32_e32 v22, 29, v22
	v_and_b32_e32 v23, 7, v23
	v_cmp_eq_u16_e32 vcc, 0, v20
	v_cndmask_b32_e32 v14, v14, v23, vcc
	v_cndmask_b32_e32 v20, v21, v22, vcc
	v_lshlrev_b32_e32 v21, 8, v11
	v_mov_b32_e32 v22, 0x3b800000
	v_lshlrev_b32_e32 v14, 20, v14
	v_and_b32_e32 v21, 0x80000000, v21
	v_lshl_add_u32 v20, v20, 23, v22
	v_or3_b32 v20, v21, v20, v14
.LBB42_56:
	s_or_b64 exec, exec, s[6:7]
	s_nop 0
	v_mfma_f32_16x16x4f32 a[0:3], v10, v20, a[0:3]
	s_movk_i32 s4, 0x7f
	v_cmp_gt_i16_sdwa s[6:7], v15, s4 src0_sel:BYTE_3 src1_sel:DWORD
	s_mov_b64 s[4:5], 0
                                        ; implicit-def: $sgpr10
	s_and_saveexec_b64 s[8:9], s[6:7]
	s_xor_b64 s[6:7], exec, s[8:9]
	s_cbranch_execnz .LBB42_2105
; %bb.57:
	s_or_saveexec_b64 s[6:7], s[6:7]
	v_mov_b32_e32 v10, s10
	s_xor_b64 exec, exec, s[6:7]
	s_cbranch_execnz .LBB42_2108
.LBB42_58:
	s_or_b64 exec, exec, s[6:7]
	s_and_saveexec_b64 s[6:7], s[4:5]
	s_cbranch_execz .LBB42_60
.LBB42_59:
	v_bfe_u32 v10, v15, 24, 3
	v_ffbh_u32_e32 v22, v10
	v_min_u32_e32 v22, 32, v22
	v_lshrrev_b32_e32 v20, 27, v15
	v_subrev_u32_e32 v23, 28, v22
	v_and_b32_e32 v14, 0x80000000, v15
	v_and_b32_e32 v20, 15, v20
	v_bfe_u32 v21, v15, 27, 4
	v_lshlrev_b32_sdwa v15, v23, v15 dst_sel:DWORD dst_unused:UNUSED_PAD src0_sel:DWORD src1_sel:BYTE_3
	v_sub_u32_e32 v22, 29, v22
	v_and_b32_e32 v15, 7, v15
	v_cmp_eq_u16_e32 vcc, 0, v20
	v_cndmask_b32_e32 v10, v10, v15, vcc
	v_cndmask_b32_e32 v15, v21, v22, vcc
	v_mov_b32_e32 v20, 0x3b800000
	v_lshlrev_b32_e32 v10, 20, v10
	v_lshl_add_u32 v15, v15, 23, v20
	v_or3_b32 v10, v14, v15, v10
.LBB42_60:
	s_or_b64 exec, exec, s[6:7]
	s_movk_i32 s4, 0x7f
	v_cmp_gt_i16_sdwa s[6:7], v11, s4 src0_sel:BYTE_3 src1_sel:DWORD
	s_mov_b64 s[4:5], 0
                                        ; implicit-def: $sgpr10
	s_and_saveexec_b64 s[8:9], s[6:7]
	s_xor_b64 s[6:7], exec, s[8:9]
	s_cbranch_execnz .LBB42_2109
; %bb.61:
	s_or_saveexec_b64 s[6:7], s[6:7]
	v_mov_b32_e32 v14, s10
	s_xor_b64 exec, exec, s[6:7]
	s_cbranch_execnz .LBB42_2112
.LBB42_62:
	s_or_b64 exec, exec, s[6:7]
	s_and_saveexec_b64 s[6:7], s[4:5]
	s_cbranch_execz .LBB42_64
.LBB42_63:
	v_bfe_u32 v14, v11, 24, 3
	v_ffbh_u32_e32 v22, v14
	v_min_u32_e32 v22, 32, v22
	v_lshrrev_b32_e32 v20, 27, v11
	v_subrev_u32_e32 v23, 28, v22
	v_and_b32_e32 v15, 0x80000000, v11
	v_and_b32_e32 v20, 15, v20
	v_bfe_u32 v21, v11, 27, 4
	v_lshlrev_b32_sdwa v11, v23, v11 dst_sel:DWORD dst_unused:UNUSED_PAD src0_sel:DWORD src1_sel:BYTE_3
	v_sub_u32_e32 v22, 29, v22
	v_and_b32_e32 v11, 7, v11
	v_cmp_eq_u16_e32 vcc, 0, v20
	v_cndmask_b32_e32 v11, v14, v11, vcc
	v_cndmask_b32_e32 v14, v21, v22, vcc
	v_mov_b32_e32 v20, 0x3b800000
	v_lshlrev_b32_e32 v11, 20, v11
	v_lshl_add_u32 v14, v14, 23, v20
	v_or3_b32 v14, v15, v14, v11
.LBB42_64:
	s_or_b64 exec, exec, s[6:7]
	s_nop 0
	v_mfma_f32_16x16x4f32 a[0:3], v10, v14, a[0:3]
	s_movk_i32 s4, 0x7f
	v_cmp_gt_i16_sdwa s[6:7], v16, s4 src0_sel:BYTE_0 src1_sel:DWORD
	s_mov_b64 s[4:5], 0
                                        ; implicit-def: $sgpr10
	s_and_saveexec_b64 s[8:9], s[6:7]
	s_xor_b64 s[6:7], exec, s[8:9]
	s_cbranch_execnz .LBB42_2113
; %bb.65:
	s_or_saveexec_b64 s[6:7], s[6:7]
	v_mov_b32_e32 v10, s10
	s_xor_b64 exec, exec, s[6:7]
	s_cbranch_execnz .LBB42_2116
.LBB42_66:
	s_or_b64 exec, exec, s[6:7]
	s_and_saveexec_b64 s[6:7], s[4:5]
	s_cbranch_execz .LBB42_68
.LBB42_67:
	v_and_b32_e32 v10, 7, v16
	v_ffbh_u32_e32 v14, v10
	v_min_u32_e32 v14, 32, v14
	v_lshrrev_b16_e32 v11, 3, v16
	v_subrev_u32_e32 v15, 28, v14
	v_and_b32_e32 v11, 15, v11
	v_lshlrev_b32_e32 v15, v15, v16
	v_sub_u32_e32 v14, 29, v14
	v_and_b32_e32 v15, 7, v15
	v_cmp_eq_u16_e32 vcc, 0, v11
	v_cndmask_b32_e32 v10, v10, v15, vcc
	v_cndmask_b32_e32 v11, v11, v14, vcc
	v_lshlrev_b32_e32 v14, 24, v16
	v_mov_b32_e32 v15, 0x3b800000
	v_lshlrev_b32_e32 v10, 20, v10
	v_and_b32_e32 v14, 0x80000000, v14
	v_lshl_add_u32 v11, v11, 23, v15
	v_or3_b32 v10, v14, v11, v10
.LBB42_68:
	s_or_b64 exec, exec, s[6:7]
	s_movk_i32 s4, 0x7f
	v_cmp_gt_i16_sdwa s[6:7], v12, s4 src0_sel:BYTE_0 src1_sel:DWORD
	s_mov_b64 s[4:5], 0
                                        ; implicit-def: $sgpr10
	s_and_saveexec_b64 s[8:9], s[6:7]
	s_xor_b64 s[6:7], exec, s[8:9]
	s_cbranch_execnz .LBB42_2117
; %bb.69:
	s_or_saveexec_b64 s[6:7], s[6:7]
	v_mov_b32_e32 v11, s10
	s_xor_b64 exec, exec, s[6:7]
	s_cbranch_execnz .LBB42_2120
.LBB42_70:
	s_or_b64 exec, exec, s[6:7]
	s_and_saveexec_b64 s[6:7], s[4:5]
	s_cbranch_execz .LBB42_72
.LBB42_71:
	v_and_b32_e32 v11, 7, v12
	v_ffbh_u32_e32 v15, v11
	v_min_u32_e32 v15, 32, v15
	v_lshrrev_b16_e32 v14, 3, v12
	v_subrev_u32_e32 v20, 28, v15
	v_and_b32_e32 v14, 15, v14
	v_lshlrev_b32_e32 v20, v20, v12
	v_sub_u32_e32 v15, 29, v15
	v_and_b32_e32 v20, 7, v20
	v_cmp_eq_u16_e32 vcc, 0, v14
	v_cndmask_b32_e32 v11, v11, v20, vcc
	v_cndmask_b32_e32 v14, v14, v15, vcc
	v_lshlrev_b32_e32 v15, 24, v12
	v_mov_b32_e32 v20, 0x3b800000
	v_lshlrev_b32_e32 v11, 20, v11
	v_and_b32_e32 v15, 0x80000000, v15
	v_lshl_add_u32 v14, v14, 23, v20
	v_or3_b32 v11, v15, v14, v11
.LBB42_72:
	s_or_b64 exec, exec, s[6:7]
	s_nop 0
	v_mfma_f32_16x16x4f32 a[0:3], v10, v11, a[0:3]
	v_lshrrev_b32_e32 v11, 8, v16
	s_movk_i32 s4, 0x7f
	v_cmp_gt_i16_sdwa s[6:7], v11, s4 src0_sel:BYTE_0 src1_sel:DWORD
	s_mov_b64 s[4:5], 0
                                        ; implicit-def: $sgpr10
	s_and_saveexec_b64 s[8:9], s[6:7]
	s_xor_b64 s[6:7], exec, s[8:9]
	s_cbranch_execnz .LBB42_2121
; %bb.73:
	s_or_saveexec_b64 s[6:7], s[6:7]
	v_mov_b32_e32 v10, s10
	s_xor_b64 exec, exec, s[6:7]
	s_cbranch_execnz .LBB42_2124
.LBB42_74:
	s_or_b64 exec, exec, s[6:7]
	s_and_saveexec_b64 s[6:7], s[4:5]
	s_cbranch_execz .LBB42_76
.LBB42_75:
	v_bfe_u32 v10, v16, 8, 3
	v_ffbh_u32_e32 v15, v10
	v_min_u32_e32 v15, 32, v15
	v_lshrrev_b16_e32 v14, 3, v11
	v_subrev_u32_e32 v20, 28, v15
	v_and_b32_e32 v14, 15, v14
	v_lshlrev_b32_e32 v11, v20, v11
	v_sub_u32_e32 v15, 29, v15
	v_and_b32_e32 v11, 7, v11
	v_cmp_eq_u16_e32 vcc, 0, v14
	v_cndmask_b32_e32 v10, v10, v11, vcc
	v_cndmask_b32_e32 v11, v14, v15, vcc
	v_lshlrev_b32_e32 v14, 16, v16
	v_mov_b32_e32 v15, 0x3b800000
	v_lshlrev_b32_e32 v10, 20, v10
	v_and_b32_e32 v14, 0x80000000, v14
	v_lshl_add_u32 v11, v11, 23, v15
	v_or3_b32 v10, v14, v11, v10
.LBB42_76:
	s_or_b64 exec, exec, s[6:7]
	v_lshrrev_b32_e32 v11, 8, v12
	s_movk_i32 s4, 0x7f
	v_cmp_gt_i16_sdwa s[6:7], v11, s4 src0_sel:BYTE_0 src1_sel:DWORD
	s_mov_b64 s[4:5], 0
                                        ; implicit-def: $sgpr10
	s_and_saveexec_b64 s[8:9], s[6:7]
	s_xor_b64 s[6:7], exec, s[8:9]
	s_cbranch_execnz .LBB42_2125
; %bb.77:
	s_or_saveexec_b64 s[6:7], s[6:7]
	v_mov_b32_e32 v14, s10
	s_xor_b64 exec, exec, s[6:7]
	s_cbranch_execnz .LBB42_2128
.LBB42_78:
	s_or_b64 exec, exec, s[6:7]
	s_and_saveexec_b64 s[6:7], s[4:5]
	s_cbranch_execz .LBB42_80
.LBB42_79:
	v_bfe_u32 v14, v12, 8, 3
	v_ffbh_u32_e32 v20, v14
	v_min_u32_e32 v20, 32, v20
	v_lshrrev_b16_e32 v15, 3, v11
	v_subrev_u32_e32 v21, 28, v20
	v_and_b32_e32 v15, 15, v15
	v_lshlrev_b32_e32 v11, v21, v11
	v_sub_u32_e32 v20, 29, v20
	v_and_b32_e32 v11, 7, v11
	v_cmp_eq_u16_e32 vcc, 0, v15
	v_cndmask_b32_e32 v11, v14, v11, vcc
	v_cndmask_b32_e32 v14, v15, v20, vcc
	v_lshlrev_b32_e32 v15, 16, v12
	v_mov_b32_e32 v20, 0x3b800000
	v_lshlrev_b32_e32 v11, 20, v11
	v_and_b32_e32 v15, 0x80000000, v15
	v_lshl_add_u32 v14, v14, 23, v20
	v_or3_b32 v14, v15, v14, v11
.LBB42_80:
	s_or_b64 exec, exec, s[6:7]
	s_nop 0
	v_mfma_f32_16x16x4f32 a[0:3], v10, v14, a[0:3]
	s_movk_i32 s4, 0xff
	v_and_b32_sdwa v11, v16, s4 dst_sel:DWORD dst_unused:UNUSED_PAD src0_sel:WORD_1 src1_sel:DWORD
	s_movk_i32 s4, 0x7f
	v_cmp_lt_i16_e32 vcc, s4, v11
	s_mov_b64 s[4:5], 0
                                        ; implicit-def: $sgpr10
	s_and_saveexec_b64 s[6:7], vcc
	s_xor_b64 s[6:7], exec, s[6:7]
	s_cbranch_execnz .LBB42_2129
; %bb.81:
	s_or_saveexec_b64 s[6:7], s[6:7]
	v_mov_b32_e32 v10, s10
	s_xor_b64 exec, exec, s[6:7]
	s_cbranch_execnz .LBB42_2132
.LBB42_82:
	s_or_b64 exec, exec, s[6:7]
	s_and_saveexec_b64 s[6:7], s[4:5]
	s_cbranch_execz .LBB42_84
.LBB42_83:
	v_bfe_u32 v10, v16, 16, 3
	v_ffbh_u32_e32 v15, v10
	v_min_u32_e32 v15, 32, v15
	v_lshrrev_b32_e32 v11, 19, v16
	v_subrev_u32_e32 v20, 28, v15
	v_and_b32_e32 v11, 15, v11
	v_lshlrev_b32_sdwa v20, v20, v16 dst_sel:DWORD dst_unused:UNUSED_PAD src0_sel:DWORD src1_sel:WORD_1
	v_bfe_u32 v14, v16, 19, 4
	v_sub_u32_e32 v15, 29, v15
	v_and_b32_e32 v20, 7, v20
	v_cmp_eq_u16_e32 vcc, 0, v11
	v_cndmask_b32_e32 v10, v10, v20, vcc
	v_cndmask_b32_e32 v11, v14, v15, vcc
	v_lshlrev_b32_e32 v14, 8, v16
	v_mov_b32_e32 v15, 0x3b800000
	v_lshlrev_b32_e32 v10, 20, v10
	v_and_b32_e32 v14, 0x80000000, v14
	v_lshl_add_u32 v11, v11, 23, v15
	v_or3_b32 v10, v14, v11, v10
.LBB42_84:
	s_or_b64 exec, exec, s[6:7]
	s_movk_i32 s4, 0xff
	v_and_b32_sdwa v11, v12, s4 dst_sel:DWORD dst_unused:UNUSED_PAD src0_sel:WORD_1 src1_sel:DWORD
	s_movk_i32 s4, 0x7f
	v_cmp_lt_i16_e32 vcc, s4, v11
	s_mov_b64 s[4:5], 0
                                        ; implicit-def: $sgpr10
	s_and_saveexec_b64 s[6:7], vcc
	s_xor_b64 s[6:7], exec, s[6:7]
	s_cbranch_execnz .LBB42_2133
; %bb.85:
	s_or_saveexec_b64 s[6:7], s[6:7]
	v_mov_b32_e32 v14, s10
	s_xor_b64 exec, exec, s[6:7]
	s_cbranch_execnz .LBB42_2136
.LBB42_86:
	s_or_b64 exec, exec, s[6:7]
	s_and_saveexec_b64 s[6:7], s[4:5]
	s_cbranch_execz .LBB42_88
.LBB42_87:
	v_bfe_u32 v11, v12, 16, 3
	v_ffbh_u32_e32 v20, v11
	v_min_u32_e32 v20, 32, v20
	v_lshrrev_b32_e32 v14, 19, v12
	v_subrev_u32_e32 v21, 28, v20
	v_and_b32_e32 v14, 15, v14
	v_lshlrev_b32_sdwa v21, v21, v12 dst_sel:DWORD dst_unused:UNUSED_PAD src0_sel:DWORD src1_sel:WORD_1
	v_bfe_u32 v15, v12, 19, 4
	v_sub_u32_e32 v20, 29, v20
	v_and_b32_e32 v21, 7, v21
	v_cmp_eq_u16_e32 vcc, 0, v14
	v_cndmask_b32_e32 v11, v11, v21, vcc
	v_cndmask_b32_e32 v14, v15, v20, vcc
	v_lshlrev_b32_e32 v15, 8, v12
	v_mov_b32_e32 v20, 0x3b800000
	v_lshlrev_b32_e32 v11, 20, v11
	v_and_b32_e32 v15, 0x80000000, v15
	v_lshl_add_u32 v14, v14, 23, v20
	v_or3_b32 v14, v15, v14, v11
.LBB42_88:
	s_or_b64 exec, exec, s[6:7]
	s_nop 0
	v_mfma_f32_16x16x4f32 a[0:3], v10, v14, a[0:3]
	s_movk_i32 s4, 0x7f
	v_cmp_gt_i16_sdwa s[6:7], v16, s4 src0_sel:BYTE_3 src1_sel:DWORD
	s_mov_b64 s[4:5], 0
                                        ; implicit-def: $sgpr10
	s_and_saveexec_b64 s[8:9], s[6:7]
	s_xor_b64 s[6:7], exec, s[8:9]
	s_cbranch_execnz .LBB42_2137
; %bb.89:
	s_or_saveexec_b64 s[6:7], s[6:7]
	v_mov_b32_e32 v10, s10
	s_xor_b64 exec, exec, s[6:7]
	s_cbranch_execnz .LBB42_2140
.LBB42_90:
	s_or_b64 exec, exec, s[6:7]
	s_and_saveexec_b64 s[6:7], s[4:5]
	s_cbranch_execz .LBB42_92
.LBB42_91:
	v_bfe_u32 v10, v16, 24, 3
	v_ffbh_u32_e32 v20, v10
	v_min_u32_e32 v20, 32, v20
	v_lshrrev_b32_e32 v14, 27, v16
	v_subrev_u32_e32 v21, 28, v20
	v_and_b32_e32 v11, 0x80000000, v16
	v_and_b32_e32 v14, 15, v14
	v_bfe_u32 v15, v16, 27, 4
	v_lshlrev_b32_sdwa v16, v21, v16 dst_sel:DWORD dst_unused:UNUSED_PAD src0_sel:DWORD src1_sel:BYTE_3
	v_sub_u32_e32 v20, 29, v20
	v_and_b32_e32 v16, 7, v16
	v_cmp_eq_u16_e32 vcc, 0, v14
	v_cndmask_b32_e32 v10, v10, v16, vcc
	v_cndmask_b32_e32 v14, v15, v20, vcc
	v_mov_b32_e32 v15, 0x3b800000
	v_lshlrev_b32_e32 v10, 20, v10
	v_lshl_add_u32 v14, v14, 23, v15
	v_or3_b32 v10, v11, v14, v10
.LBB42_92:
	s_or_b64 exec, exec, s[6:7]
	s_movk_i32 s4, 0x7f
	v_cmp_gt_i16_sdwa s[6:7], v12, s4 src0_sel:BYTE_3 src1_sel:DWORD
	s_mov_b64 s[4:5], 0
                                        ; implicit-def: $sgpr10
	s_and_saveexec_b64 s[8:9], s[6:7]
	s_xor_b64 s[6:7], exec, s[8:9]
	s_cbranch_execnz .LBB42_2141
; %bb.93:
	s_or_saveexec_b64 s[6:7], s[6:7]
	v_mov_b32_e32 v11, s10
	s_xor_b64 exec, exec, s[6:7]
	s_cbranch_execnz .LBB42_2144
.LBB42_94:
	s_or_b64 exec, exec, s[6:7]
	s_and_saveexec_b64 s[6:7], s[4:5]
	s_cbranch_execz .LBB42_96
.LBB42_95:
	v_bfe_u32 v11, v12, 24, 3
	v_ffbh_u32_e32 v20, v11
	v_min_u32_e32 v20, 32, v20
	v_lshrrev_b32_e32 v15, 27, v12
	v_subrev_u32_e32 v21, 28, v20
	v_and_b32_e32 v14, 0x80000000, v12
	v_and_b32_e32 v15, 15, v15
	v_bfe_u32 v16, v12, 27, 4
	v_lshlrev_b32_sdwa v12, v21, v12 dst_sel:DWORD dst_unused:UNUSED_PAD src0_sel:DWORD src1_sel:BYTE_3
	v_sub_u32_e32 v20, 29, v20
	v_and_b32_e32 v12, 7, v12
	v_cmp_eq_u16_e32 vcc, 0, v15
	v_cndmask_b32_e32 v11, v11, v12, vcc
	v_cndmask_b32_e32 v12, v16, v20, vcc
	v_mov_b32_e32 v15, 0x3b800000
	v_lshlrev_b32_e32 v11, 20, v11
	v_lshl_add_u32 v12, v12, 23, v15
	v_or3_b32 v11, v14, v12, v11
.LBB42_96:
	s_or_b64 exec, exec, s[6:7]
	s_nop 0
	v_mfma_f32_16x16x4f32 a[0:3], v10, v11, a[0:3]
	s_movk_i32 s4, 0x7f
	v_cmp_gt_i16_sdwa s[6:7], v17, s4 src0_sel:BYTE_0 src1_sel:DWORD
	s_mov_b64 s[4:5], 0
                                        ; implicit-def: $sgpr10
	s_and_saveexec_b64 s[8:9], s[6:7]
	s_xor_b64 s[6:7], exec, s[8:9]
	s_cbranch_execnz .LBB42_2145
; %bb.97:
	s_or_saveexec_b64 s[6:7], s[6:7]
	v_mov_b32_e32 v10, s10
	s_xor_b64 exec, exec, s[6:7]
	s_cbranch_execnz .LBB42_2148
.LBB42_98:
	s_or_b64 exec, exec, s[6:7]
	s_and_saveexec_b64 s[6:7], s[4:5]
	s_cbranch_execz .LBB42_100
.LBB42_99:
	v_and_b32_e32 v10, 7, v17
	v_ffbh_u32_e32 v12, v10
	v_min_u32_e32 v12, 32, v12
	v_lshrrev_b16_e32 v11, 3, v17
	v_subrev_u32_e32 v14, 28, v12
	v_and_b32_e32 v11, 15, v11
	v_lshlrev_b32_e32 v14, v14, v17
	v_sub_u32_e32 v12, 29, v12
	v_and_b32_e32 v14, 7, v14
	v_cmp_eq_u16_e32 vcc, 0, v11
	v_cndmask_b32_e32 v10, v10, v14, vcc
	v_cndmask_b32_e32 v11, v11, v12, vcc
	v_lshlrev_b32_e32 v12, 24, v17
	v_mov_b32_e32 v14, 0x3b800000
	v_lshlrev_b32_e32 v10, 20, v10
	v_and_b32_e32 v12, 0x80000000, v12
	v_lshl_add_u32 v11, v11, 23, v14
	v_or3_b32 v10, v12, v11, v10
.LBB42_100:
	s_or_b64 exec, exec, s[6:7]
	s_movk_i32 s4, 0x7f
	v_cmp_gt_i16_sdwa s[6:7], v13, s4 src0_sel:BYTE_0 src1_sel:DWORD
	s_mov_b64 s[4:5], 0
                                        ; implicit-def: $sgpr10
	s_and_saveexec_b64 s[8:9], s[6:7]
	s_xor_b64 s[6:7], exec, s[8:9]
	s_cbranch_execnz .LBB42_2149
; %bb.101:
	s_or_saveexec_b64 s[6:7], s[6:7]
	v_mov_b32_e32 v11, s10
	s_xor_b64 exec, exec, s[6:7]
	s_cbranch_execnz .LBB42_2152
.LBB42_102:
	s_or_b64 exec, exec, s[6:7]
	s_and_saveexec_b64 s[6:7], s[4:5]
	s_cbranch_execz .LBB42_104
.LBB42_103:
	v_and_b32_e32 v11, 7, v13
	v_ffbh_u32_e32 v14, v11
	v_min_u32_e32 v14, 32, v14
	v_lshrrev_b16_e32 v12, 3, v13
	v_subrev_u32_e32 v15, 28, v14
	v_and_b32_e32 v12, 15, v12
	v_lshlrev_b32_e32 v15, v15, v13
	v_sub_u32_e32 v14, 29, v14
	v_and_b32_e32 v15, 7, v15
	v_cmp_eq_u16_e32 vcc, 0, v12
	v_cndmask_b32_e32 v11, v11, v15, vcc
	v_cndmask_b32_e32 v12, v12, v14, vcc
	v_lshlrev_b32_e32 v14, 24, v13
	v_mov_b32_e32 v15, 0x3b800000
	v_lshlrev_b32_e32 v11, 20, v11
	v_and_b32_e32 v14, 0x80000000, v14
	v_lshl_add_u32 v12, v12, 23, v15
	v_or3_b32 v11, v14, v12, v11
.LBB42_104:
	s_or_b64 exec, exec, s[6:7]
	s_nop 0
	v_mfma_f32_16x16x4f32 a[0:3], v10, v11, a[0:3]
	v_lshrrev_b32_e32 v11, 8, v17
	s_movk_i32 s4, 0x7f
	v_cmp_gt_i16_sdwa s[6:7], v11, s4 src0_sel:BYTE_0 src1_sel:DWORD
	s_mov_b64 s[4:5], 0
                                        ; implicit-def: $sgpr10
	s_and_saveexec_b64 s[8:9], s[6:7]
	s_xor_b64 s[6:7], exec, s[8:9]
	s_cbranch_execnz .LBB42_2153
; %bb.105:
	s_or_saveexec_b64 s[6:7], s[6:7]
	v_mov_b32_e32 v10, s10
	s_xor_b64 exec, exec, s[6:7]
	s_cbranch_execnz .LBB42_2156
.LBB42_106:
	s_or_b64 exec, exec, s[6:7]
	s_and_saveexec_b64 s[6:7], s[4:5]
	s_cbranch_execz .LBB42_108
.LBB42_107:
	v_bfe_u32 v10, v17, 8, 3
	v_ffbh_u32_e32 v14, v10
	v_min_u32_e32 v14, 32, v14
	v_lshrrev_b16_e32 v12, 3, v11
	v_subrev_u32_e32 v15, 28, v14
	v_and_b32_e32 v12, 15, v12
	v_lshlrev_b32_e32 v11, v15, v11
	v_sub_u32_e32 v14, 29, v14
	v_and_b32_e32 v11, 7, v11
	v_cmp_eq_u16_e32 vcc, 0, v12
	v_cndmask_b32_e32 v10, v10, v11, vcc
	v_cndmask_b32_e32 v11, v12, v14, vcc
	v_lshlrev_b32_e32 v12, 16, v17
	v_mov_b32_e32 v14, 0x3b800000
	v_lshlrev_b32_e32 v10, 20, v10
	v_and_b32_e32 v12, 0x80000000, v12
	v_lshl_add_u32 v11, v11, 23, v14
	v_or3_b32 v10, v12, v11, v10
.LBB42_108:
	s_or_b64 exec, exec, s[6:7]
	v_lshrrev_b32_e32 v11, 8, v13
	s_movk_i32 s4, 0x7f
	v_cmp_gt_i16_sdwa s[6:7], v11, s4 src0_sel:BYTE_0 src1_sel:DWORD
	s_mov_b64 s[4:5], 0
                                        ; implicit-def: $sgpr10
	s_and_saveexec_b64 s[8:9], s[6:7]
	s_xor_b64 s[6:7], exec, s[8:9]
	s_cbranch_execnz .LBB42_2157
; %bb.109:
	s_or_saveexec_b64 s[6:7], s[6:7]
	v_mov_b32_e32 v12, s10
	s_xor_b64 exec, exec, s[6:7]
	s_cbranch_execnz .LBB42_2160
.LBB42_110:
	s_or_b64 exec, exec, s[6:7]
	s_and_saveexec_b64 s[6:7], s[4:5]
	s_cbranch_execz .LBB42_112
.LBB42_111:
	v_bfe_u32 v12, v13, 8, 3
	v_ffbh_u32_e32 v15, v12
	v_min_u32_e32 v15, 32, v15
	v_lshrrev_b16_e32 v14, 3, v11
	v_subrev_u32_e32 v16, 28, v15
	v_and_b32_e32 v14, 15, v14
	v_lshlrev_b32_e32 v11, v16, v11
	v_sub_u32_e32 v15, 29, v15
	v_and_b32_e32 v11, 7, v11
	v_cmp_eq_u16_e32 vcc, 0, v14
	v_cndmask_b32_e32 v11, v12, v11, vcc
	v_cndmask_b32_e32 v12, v14, v15, vcc
	v_lshlrev_b32_e32 v14, 16, v13
	v_mov_b32_e32 v15, 0x3b800000
	v_lshlrev_b32_e32 v11, 20, v11
	v_and_b32_e32 v14, 0x80000000, v14
	v_lshl_add_u32 v12, v12, 23, v15
	v_or3_b32 v12, v14, v12, v11
.LBB42_112:
	s_or_b64 exec, exec, s[6:7]
	s_nop 0
	v_mfma_f32_16x16x4f32 a[0:3], v10, v12, a[0:3]
	s_movk_i32 s4, 0xff
	v_and_b32_sdwa v11, v17, s4 dst_sel:DWORD dst_unused:UNUSED_PAD src0_sel:WORD_1 src1_sel:DWORD
	s_movk_i32 s4, 0x7f
	v_cmp_lt_i16_e32 vcc, s4, v11
	s_mov_b64 s[4:5], 0
                                        ; implicit-def: $sgpr10
	s_and_saveexec_b64 s[6:7], vcc
	s_xor_b64 s[6:7], exec, s[6:7]
	s_cbranch_execnz .LBB42_2161
; %bb.113:
	s_or_saveexec_b64 s[6:7], s[6:7]
	v_mov_b32_e32 v10, s10
	s_xor_b64 exec, exec, s[6:7]
	s_cbranch_execnz .LBB42_2164
.LBB42_114:
	s_or_b64 exec, exec, s[6:7]
	s_and_saveexec_b64 s[6:7], s[4:5]
	s_cbranch_execz .LBB42_116
.LBB42_115:
	v_bfe_u32 v10, v17, 16, 3
	v_ffbh_u32_e32 v14, v10
	v_min_u32_e32 v14, 32, v14
	v_lshrrev_b32_e32 v11, 19, v17
	v_subrev_u32_e32 v15, 28, v14
	v_and_b32_e32 v11, 15, v11
	v_lshlrev_b32_sdwa v15, v15, v17 dst_sel:DWORD dst_unused:UNUSED_PAD src0_sel:DWORD src1_sel:WORD_1
	v_bfe_u32 v12, v17, 19, 4
	v_sub_u32_e32 v14, 29, v14
	v_and_b32_e32 v15, 7, v15
	v_cmp_eq_u16_e32 vcc, 0, v11
	v_cndmask_b32_e32 v10, v10, v15, vcc
	v_cndmask_b32_e32 v11, v12, v14, vcc
	v_lshlrev_b32_e32 v12, 8, v17
	v_mov_b32_e32 v14, 0x3b800000
	v_lshlrev_b32_e32 v10, 20, v10
	v_and_b32_e32 v12, 0x80000000, v12
	v_lshl_add_u32 v11, v11, 23, v14
	v_or3_b32 v10, v12, v11, v10
.LBB42_116:
	s_or_b64 exec, exec, s[6:7]
	s_movk_i32 s4, 0xff
	v_and_b32_sdwa v11, v13, s4 dst_sel:DWORD dst_unused:UNUSED_PAD src0_sel:WORD_1 src1_sel:DWORD
	s_movk_i32 s4, 0x7f
	v_cmp_lt_i16_e32 vcc, s4, v11
	s_mov_b64 s[4:5], 0
                                        ; implicit-def: $sgpr10
	s_and_saveexec_b64 s[6:7], vcc
	s_xor_b64 s[6:7], exec, s[6:7]
	s_cbranch_execnz .LBB42_2165
; %bb.117:
	s_or_saveexec_b64 s[6:7], s[6:7]
	v_mov_b32_e32 v12, s10
	s_xor_b64 exec, exec, s[6:7]
	s_cbranch_execnz .LBB42_2168
.LBB42_118:
	s_or_b64 exec, exec, s[6:7]
	s_and_saveexec_b64 s[6:7], s[4:5]
	s_cbranch_execz .LBB42_120
.LBB42_119:
	v_bfe_u32 v11, v13, 16, 3
	v_ffbh_u32_e32 v15, v11
	v_min_u32_e32 v15, 32, v15
	v_lshrrev_b32_e32 v12, 19, v13
	v_subrev_u32_e32 v16, 28, v15
	v_and_b32_e32 v12, 15, v12
	v_lshlrev_b32_sdwa v16, v16, v13 dst_sel:DWORD dst_unused:UNUSED_PAD src0_sel:DWORD src1_sel:WORD_1
	v_bfe_u32 v14, v13, 19, 4
	v_sub_u32_e32 v15, 29, v15
	v_and_b32_e32 v16, 7, v16
	v_cmp_eq_u16_e32 vcc, 0, v12
	v_cndmask_b32_e32 v11, v11, v16, vcc
	v_cndmask_b32_e32 v12, v14, v15, vcc
	v_lshlrev_b32_e32 v14, 8, v13
	v_mov_b32_e32 v15, 0x3b800000
	v_lshlrev_b32_e32 v11, 20, v11
	v_and_b32_e32 v14, 0x80000000, v14
	v_lshl_add_u32 v12, v12, 23, v15
	v_or3_b32 v12, v14, v12, v11
.LBB42_120:
	s_or_b64 exec, exec, s[6:7]
	s_nop 0
	v_mfma_f32_16x16x4f32 a[0:3], v10, v12, a[0:3]
	s_movk_i32 s4, 0x7f
	v_cmp_gt_i16_sdwa s[6:7], v17, s4 src0_sel:BYTE_3 src1_sel:DWORD
	s_mov_b64 s[4:5], 0
                                        ; implicit-def: $sgpr10
	s_and_saveexec_b64 s[8:9], s[6:7]
	s_xor_b64 s[6:7], exec, s[8:9]
	s_cbranch_execnz .LBB42_2169
; %bb.121:
	s_or_saveexec_b64 s[6:7], s[6:7]
	v_mov_b32_e32 v10, s10
	s_xor_b64 exec, exec, s[6:7]
	s_cbranch_execnz .LBB42_2172
.LBB42_122:
	s_or_b64 exec, exec, s[6:7]
	s_and_saveexec_b64 s[6:7], s[4:5]
	s_cbranch_execz .LBB42_124
.LBB42_123:
	v_bfe_u32 v10, v17, 24, 3
	v_ffbh_u32_e32 v15, v10
	v_min_u32_e32 v15, 32, v15
	v_lshrrev_b32_e32 v12, 27, v17
	v_subrev_u32_e32 v16, 28, v15
	v_and_b32_e32 v12, 15, v12
	v_lshlrev_b32_sdwa v16, v16, v17 dst_sel:DWORD dst_unused:UNUSED_PAD src0_sel:DWORD src1_sel:BYTE_3
	v_bfe_u32 v14, v17, 27, 4
	v_sub_u32_e32 v15, 29, v15
	v_and_b32_e32 v16, 7, v16
	v_cmp_eq_u16_e32 vcc, 0, v12
	v_cndmask_b32_e32 v10, v10, v16, vcc
	v_cndmask_b32_e32 v12, v14, v15, vcc
	v_mov_b32_e32 v14, 0x3b800000
	v_and_b32_e32 v11, 0x80000000, v17
	v_lshlrev_b32_e32 v10, 20, v10
	v_lshl_add_u32 v12, v12, 23, v14
	v_or3_b32 v10, v11, v12, v10
.LBB42_124:
	s_or_b64 exec, exec, s[6:7]
	s_movk_i32 s4, 0x7f
	v_cmp_gt_i16_sdwa s[6:7], v13, s4 src0_sel:BYTE_3 src1_sel:DWORD
	s_mov_b64 s[4:5], 0
                                        ; implicit-def: $sgpr10
	s_and_saveexec_b64 s[8:9], s[6:7]
	s_xor_b64 s[6:7], exec, s[8:9]
	s_cbranch_execnz .LBB42_2173
; %bb.125:
	s_or_saveexec_b64 s[6:7], s[6:7]
	v_mov_b32_e32 v11, s10
	s_xor_b64 exec, exec, s[6:7]
	s_cbranch_execnz .LBB42_2176
.LBB42_126:
	s_or_b64 exec, exec, s[6:7]
	s_and_saveexec_b64 s[6:7], s[4:5]
	s_cbranch_execz .LBB42_128
.LBB42_127:
	v_bfe_u32 v11, v13, 24, 3
	v_ffbh_u32_e32 v16, v11
	v_min_u32_e32 v16, 32, v16
	v_lshrrev_b32_e32 v14, 27, v13
	v_subrev_u32_e32 v17, 28, v16
	v_and_b32_e32 v12, 0x80000000, v13
	v_and_b32_e32 v14, 15, v14
	v_bfe_u32 v15, v13, 27, 4
	v_lshlrev_b32_sdwa v13, v17, v13 dst_sel:DWORD dst_unused:UNUSED_PAD src0_sel:DWORD src1_sel:BYTE_3
	v_sub_u32_e32 v16, 29, v16
	v_and_b32_e32 v13, 7, v13
	v_cmp_eq_u16_e32 vcc, 0, v14
	v_cndmask_b32_e32 v11, v11, v13, vcc
	v_cndmask_b32_e32 v13, v15, v16, vcc
	v_mov_b32_e32 v14, 0x3b800000
	v_lshlrev_b32_e32 v11, 20, v11
	v_lshl_add_u32 v13, v13, 23, v14
	v_or3_b32 v11, v12, v13, v11
.LBB42_128:
	s_or_b64 exec, exec, s[6:7]
	s_nop 0
	v_mfma_f32_16x16x4f32 a[0:3], v10, v11, a[0:3]
	s_movk_i32 s4, 0x7f
	v_cmp_gt_i16_sdwa s[6:7], v6, s4 src0_sel:BYTE_0 src1_sel:DWORD
	s_mov_b64 s[4:5], 0
                                        ; implicit-def: $sgpr10
	s_and_saveexec_b64 s[8:9], s[6:7]
	s_xor_b64 s[6:7], exec, s[8:9]
	s_cbranch_execnz .LBB42_2177
; %bb.129:
	s_or_saveexec_b64 s[6:7], s[6:7]
	v_mov_b32_e32 v10, s10
	s_xor_b64 exec, exec, s[6:7]
	s_cbranch_execnz .LBB42_2180
.LBB42_130:
	s_or_b64 exec, exec, s[6:7]
	s_and_saveexec_b64 s[6:7], s[4:5]
	s_cbranch_execz .LBB42_132
.LBB42_131:
	v_and_b32_e32 v10, 7, v6
	v_ffbh_u32_e32 v12, v10
	v_min_u32_e32 v12, 32, v12
	v_lshrrev_b16_e32 v11, 3, v6
	v_subrev_u32_e32 v13, 28, v12
	v_and_b32_e32 v11, 15, v11
	v_lshlrev_b32_e32 v13, v13, v6
	v_sub_u32_e32 v12, 29, v12
	v_and_b32_e32 v13, 7, v13
	v_cmp_eq_u16_e32 vcc, 0, v11
	v_cndmask_b32_e32 v10, v10, v13, vcc
	v_cndmask_b32_e32 v11, v11, v12, vcc
	v_lshlrev_b32_e32 v12, 24, v6
	v_mov_b32_e32 v13, 0x3b800000
	v_lshlrev_b32_e32 v10, 20, v10
	v_and_b32_e32 v12, 0x80000000, v12
	v_lshl_add_u32 v11, v11, 23, v13
	v_or3_b32 v10, v12, v11, v10
.LBB42_132:
	s_or_b64 exec, exec, s[6:7]
	s_movk_i32 s4, 0x7f
	v_cmp_gt_i16_sdwa s[6:7], v2, s4 src0_sel:BYTE_0 src1_sel:DWORD
	s_mov_b64 s[4:5], 0
                                        ; implicit-def: $sgpr10
	s_and_saveexec_b64 s[8:9], s[6:7]
	s_xor_b64 s[6:7], exec, s[8:9]
	s_cbranch_execnz .LBB42_2181
; %bb.133:
	s_or_saveexec_b64 s[6:7], s[6:7]
	v_mov_b32_e32 v11, s10
	s_xor_b64 exec, exec, s[6:7]
	s_cbranch_execnz .LBB42_2184
.LBB42_134:
	s_or_b64 exec, exec, s[6:7]
	s_and_saveexec_b64 s[6:7], s[4:5]
	s_cbranch_execz .LBB42_136
.LBB42_135:
	v_and_b32_e32 v11, 7, v2
	v_ffbh_u32_e32 v13, v11
	v_min_u32_e32 v13, 32, v13
	v_lshrrev_b16_e32 v12, 3, v2
	v_subrev_u32_e32 v14, 28, v13
	v_and_b32_e32 v12, 15, v12
	v_lshlrev_b32_e32 v14, v14, v2
	v_sub_u32_e32 v13, 29, v13
	v_and_b32_e32 v14, 7, v14
	v_cmp_eq_u16_e32 vcc, 0, v12
	v_cndmask_b32_e32 v11, v11, v14, vcc
	v_cndmask_b32_e32 v12, v12, v13, vcc
	v_lshlrev_b32_e32 v13, 24, v2
	v_mov_b32_e32 v14, 0x3b800000
	v_lshlrev_b32_e32 v11, 20, v11
	v_and_b32_e32 v13, 0x80000000, v13
	v_lshl_add_u32 v12, v12, 23, v14
	v_or3_b32 v11, v13, v12, v11
.LBB42_136:
	s_or_b64 exec, exec, s[6:7]
	s_nop 0
	v_mfma_f32_16x16x4f32 a[0:3], v10, v11, a[0:3]
	v_lshrrev_b32_e32 v11, 8, v6
	s_movk_i32 s4, 0x7f
	v_cmp_gt_i16_sdwa s[6:7], v11, s4 src0_sel:BYTE_0 src1_sel:DWORD
	s_mov_b64 s[4:5], 0
                                        ; implicit-def: $sgpr10
	s_and_saveexec_b64 s[8:9], s[6:7]
	s_xor_b64 s[6:7], exec, s[8:9]
	s_cbranch_execnz .LBB42_2185
; %bb.137:
	s_or_saveexec_b64 s[6:7], s[6:7]
	v_mov_b32_e32 v10, s10
	s_xor_b64 exec, exec, s[6:7]
	s_cbranch_execnz .LBB42_2188
.LBB42_138:
	s_or_b64 exec, exec, s[6:7]
	s_and_saveexec_b64 s[6:7], s[4:5]
	s_cbranch_execz .LBB42_140
.LBB42_139:
	v_bfe_u32 v10, v6, 8, 3
	v_ffbh_u32_e32 v13, v10
	v_min_u32_e32 v13, 32, v13
	v_lshrrev_b16_e32 v12, 3, v11
	v_subrev_u32_e32 v14, 28, v13
	v_and_b32_e32 v12, 15, v12
	v_lshlrev_b32_e32 v11, v14, v11
	v_sub_u32_e32 v13, 29, v13
	v_and_b32_e32 v11, 7, v11
	v_cmp_eq_u16_e32 vcc, 0, v12
	v_cndmask_b32_e32 v10, v10, v11, vcc
	v_cndmask_b32_e32 v11, v12, v13, vcc
	v_lshlrev_b32_e32 v12, 16, v6
	v_mov_b32_e32 v13, 0x3b800000
	v_lshlrev_b32_e32 v10, 20, v10
	v_and_b32_e32 v12, 0x80000000, v12
	v_lshl_add_u32 v11, v11, 23, v13
	v_or3_b32 v10, v12, v11, v10
.LBB42_140:
	s_or_b64 exec, exec, s[6:7]
	v_lshrrev_b32_e32 v11, 8, v2
	s_movk_i32 s4, 0x7f
	v_cmp_gt_i16_sdwa s[6:7], v11, s4 src0_sel:BYTE_0 src1_sel:DWORD
	s_mov_b64 s[4:5], 0
                                        ; implicit-def: $sgpr10
	s_and_saveexec_b64 s[8:9], s[6:7]
	s_xor_b64 s[6:7], exec, s[8:9]
	s_cbranch_execnz .LBB42_2189
; %bb.141:
	s_or_saveexec_b64 s[6:7], s[6:7]
	v_mov_b32_e32 v12, s10
	s_xor_b64 exec, exec, s[6:7]
	s_cbranch_execnz .LBB42_2192
.LBB42_142:
	s_or_b64 exec, exec, s[6:7]
	s_and_saveexec_b64 s[6:7], s[4:5]
	s_cbranch_execz .LBB42_144
.LBB42_143:
	v_bfe_u32 v12, v2, 8, 3
	v_ffbh_u32_e32 v14, v12
	v_min_u32_e32 v14, 32, v14
	v_lshrrev_b16_e32 v13, 3, v11
	v_subrev_u32_e32 v15, 28, v14
	v_and_b32_e32 v13, 15, v13
	v_lshlrev_b32_e32 v11, v15, v11
	v_sub_u32_e32 v14, 29, v14
	v_and_b32_e32 v11, 7, v11
	v_cmp_eq_u16_e32 vcc, 0, v13
	v_cndmask_b32_e32 v11, v12, v11, vcc
	v_cndmask_b32_e32 v12, v13, v14, vcc
	v_lshlrev_b32_e32 v13, 16, v2
	v_mov_b32_e32 v14, 0x3b800000
	v_lshlrev_b32_e32 v11, 20, v11
	v_and_b32_e32 v13, 0x80000000, v13
	v_lshl_add_u32 v12, v12, 23, v14
	v_or3_b32 v12, v13, v12, v11
.LBB42_144:
	s_or_b64 exec, exec, s[6:7]
	s_nop 0
	v_mfma_f32_16x16x4f32 a[0:3], v10, v12, a[0:3]
	s_movk_i32 s4, 0xff
	v_and_b32_sdwa v11, v6, s4 dst_sel:DWORD dst_unused:UNUSED_PAD src0_sel:WORD_1 src1_sel:DWORD
	s_movk_i32 s4, 0x7f
	v_cmp_lt_i16_e32 vcc, s4, v11
	s_mov_b64 s[4:5], 0
                                        ; implicit-def: $sgpr10
	s_and_saveexec_b64 s[6:7], vcc
	s_xor_b64 s[6:7], exec, s[6:7]
	s_cbranch_execnz .LBB42_2193
; %bb.145:
	s_or_saveexec_b64 s[6:7], s[6:7]
	v_mov_b32_e32 v10, s10
	s_xor_b64 exec, exec, s[6:7]
	s_cbranch_execnz .LBB42_2196
.LBB42_146:
	s_or_b64 exec, exec, s[6:7]
	s_and_saveexec_b64 s[6:7], s[4:5]
	s_cbranch_execz .LBB42_148
.LBB42_147:
	v_bfe_u32 v10, v6, 16, 3
	v_ffbh_u32_e32 v13, v10
	v_min_u32_e32 v13, 32, v13
	v_lshrrev_b32_e32 v11, 19, v6
	v_subrev_u32_e32 v14, 28, v13
	v_and_b32_e32 v11, 15, v11
	v_lshlrev_b32_sdwa v14, v14, v6 dst_sel:DWORD dst_unused:UNUSED_PAD src0_sel:DWORD src1_sel:WORD_1
	v_bfe_u32 v12, v6, 19, 4
	v_sub_u32_e32 v13, 29, v13
	v_and_b32_e32 v14, 7, v14
	v_cmp_eq_u16_e32 vcc, 0, v11
	v_cndmask_b32_e32 v10, v10, v14, vcc
	v_cndmask_b32_e32 v11, v12, v13, vcc
	v_lshlrev_b32_e32 v12, 8, v6
	v_mov_b32_e32 v13, 0x3b800000
	v_lshlrev_b32_e32 v10, 20, v10
	v_and_b32_e32 v12, 0x80000000, v12
	v_lshl_add_u32 v11, v11, 23, v13
	v_or3_b32 v10, v12, v11, v10
.LBB42_148:
	s_or_b64 exec, exec, s[6:7]
	s_movk_i32 s4, 0xff
	v_and_b32_sdwa v11, v2, s4 dst_sel:DWORD dst_unused:UNUSED_PAD src0_sel:WORD_1 src1_sel:DWORD
	s_movk_i32 s4, 0x7f
	v_cmp_lt_i16_e32 vcc, s4, v11
	s_mov_b64 s[4:5], 0
                                        ; implicit-def: $sgpr10
	s_and_saveexec_b64 s[6:7], vcc
	s_xor_b64 s[6:7], exec, s[6:7]
	s_cbranch_execnz .LBB42_2197
; %bb.149:
	s_or_saveexec_b64 s[6:7], s[6:7]
	v_mov_b32_e32 v12, s10
	s_xor_b64 exec, exec, s[6:7]
	s_cbranch_execnz .LBB42_2200
.LBB42_150:
	s_or_b64 exec, exec, s[6:7]
	s_and_saveexec_b64 s[6:7], s[4:5]
	s_cbranch_execz .LBB42_152
.LBB42_151:
	v_bfe_u32 v11, v2, 16, 3
	v_ffbh_u32_e32 v14, v11
	v_min_u32_e32 v14, 32, v14
	v_lshrrev_b32_e32 v12, 19, v2
	v_subrev_u32_e32 v15, 28, v14
	v_and_b32_e32 v12, 15, v12
	v_lshlrev_b32_sdwa v15, v15, v2 dst_sel:DWORD dst_unused:UNUSED_PAD src0_sel:DWORD src1_sel:WORD_1
	v_bfe_u32 v13, v2, 19, 4
	v_sub_u32_e32 v14, 29, v14
	v_and_b32_e32 v15, 7, v15
	v_cmp_eq_u16_e32 vcc, 0, v12
	v_cndmask_b32_e32 v11, v11, v15, vcc
	v_cndmask_b32_e32 v12, v13, v14, vcc
	v_lshlrev_b32_e32 v13, 8, v2
	v_mov_b32_e32 v14, 0x3b800000
	v_lshlrev_b32_e32 v11, 20, v11
	v_and_b32_e32 v13, 0x80000000, v13
	v_lshl_add_u32 v12, v12, 23, v14
	v_or3_b32 v12, v13, v12, v11
.LBB42_152:
	s_or_b64 exec, exec, s[6:7]
	s_nop 0
	v_mfma_f32_16x16x4f32 a[0:3], v10, v12, a[0:3]
	s_movk_i32 s4, 0x7f
	v_cmp_gt_i16_sdwa s[6:7], v6, s4 src0_sel:BYTE_3 src1_sel:DWORD
	s_mov_b64 s[4:5], 0
                                        ; implicit-def: $sgpr10
	s_and_saveexec_b64 s[8:9], s[6:7]
	s_xor_b64 s[6:7], exec, s[8:9]
	s_cbranch_execnz .LBB42_2201
; %bb.153:
	s_or_saveexec_b64 s[6:7], s[6:7]
	v_mov_b32_e32 v10, s10
	s_xor_b64 exec, exec, s[6:7]
	s_cbranch_execnz .LBB42_2204
.LBB42_154:
	s_or_b64 exec, exec, s[6:7]
	s_and_saveexec_b64 s[6:7], s[4:5]
	s_cbranch_execz .LBB42_156
.LBB42_155:
	v_bfe_u32 v10, v6, 24, 3
	v_ffbh_u32_e32 v14, v10
	v_min_u32_e32 v14, 32, v14
	v_lshrrev_b32_e32 v12, 27, v6
	v_subrev_u32_e32 v15, 28, v14
	v_and_b32_e32 v11, 0x80000000, v6
	v_and_b32_e32 v12, 15, v12
	v_bfe_u32 v13, v6, 27, 4
	v_lshlrev_b32_sdwa v6, v15, v6 dst_sel:DWORD dst_unused:UNUSED_PAD src0_sel:DWORD src1_sel:BYTE_3
	v_sub_u32_e32 v14, 29, v14
	v_and_b32_e32 v6, 7, v6
	v_cmp_eq_u16_e32 vcc, 0, v12
	v_cndmask_b32_e32 v6, v10, v6, vcc
	v_cndmask_b32_e32 v10, v13, v14, vcc
	v_mov_b32_e32 v12, 0x3b800000
	v_lshlrev_b32_e32 v6, 20, v6
	v_lshl_add_u32 v10, v10, 23, v12
	v_or3_b32 v10, v11, v10, v6
.LBB42_156:
	s_or_b64 exec, exec, s[6:7]
	s_movk_i32 s4, 0x7f
	v_cmp_gt_i16_sdwa s[6:7], v2, s4 src0_sel:BYTE_3 src1_sel:DWORD
	s_mov_b64 s[4:5], 0
                                        ; implicit-def: $sgpr10
	s_and_saveexec_b64 s[8:9], s[6:7]
	s_xor_b64 s[6:7], exec, s[8:9]
	s_cbranch_execnz .LBB42_2205
; %bb.157:
	s_or_saveexec_b64 s[6:7], s[6:7]
	v_mov_b32_e32 v6, s10
	s_xor_b64 exec, exec, s[6:7]
	s_cbranch_execnz .LBB42_2208
.LBB42_158:
	s_or_b64 exec, exec, s[6:7]
	s_and_saveexec_b64 s[6:7], s[4:5]
	s_cbranch_execz .LBB42_160
.LBB42_159:
	v_bfe_u32 v6, v2, 24, 3
	v_ffbh_u32_e32 v14, v6
	v_min_u32_e32 v14, 32, v14
	v_lshrrev_b32_e32 v12, 27, v2
	v_subrev_u32_e32 v15, 28, v14
	v_and_b32_e32 v11, 0x80000000, v2
	v_and_b32_e32 v12, 15, v12
	v_bfe_u32 v13, v2, 27, 4
	v_lshlrev_b32_sdwa v2, v15, v2 dst_sel:DWORD dst_unused:UNUSED_PAD src0_sel:DWORD src1_sel:BYTE_3
	v_sub_u32_e32 v14, 29, v14
	v_and_b32_e32 v2, 7, v2
	v_cmp_eq_u16_e32 vcc, 0, v12
	v_cndmask_b32_e32 v2, v6, v2, vcc
	v_cndmask_b32_e32 v6, v13, v14, vcc
	v_mov_b32_e32 v12, 0x3b800000
	v_lshlrev_b32_e32 v2, 20, v2
	v_lshl_add_u32 v6, v6, 23, v12
	v_or3_b32 v6, v11, v6, v2
.LBB42_160:
	s_or_b64 exec, exec, s[6:7]
	s_nop 0
	v_mfma_f32_16x16x4f32 a[0:3], v10, v6, a[0:3]
	s_movk_i32 s4, 0x7f
	v_cmp_gt_i16_sdwa s[6:7], v7, s4 src0_sel:BYTE_0 src1_sel:DWORD
	s_mov_b64 s[4:5], 0
                                        ; implicit-def: $sgpr10
	s_and_saveexec_b64 s[8:9], s[6:7]
	s_xor_b64 s[6:7], exec, s[8:9]
	s_cbranch_execnz .LBB42_2209
; %bb.161:
	s_or_saveexec_b64 s[6:7], s[6:7]
	v_mov_b32_e32 v2, s10
	s_xor_b64 exec, exec, s[6:7]
	s_cbranch_execnz .LBB42_2212
.LBB42_162:
	s_or_b64 exec, exec, s[6:7]
	s_and_saveexec_b64 s[6:7], s[4:5]
	s_cbranch_execz .LBB42_164
.LBB42_163:
	v_and_b32_e32 v2, 7, v7
	v_ffbh_u32_e32 v10, v2
	v_min_u32_e32 v10, 32, v10
	v_lshrrev_b16_e32 v6, 3, v7
	v_subrev_u32_e32 v11, 28, v10
	v_and_b32_e32 v6, 15, v6
	v_lshlrev_b32_e32 v11, v11, v7
	v_sub_u32_e32 v10, 29, v10
	v_and_b32_e32 v11, 7, v11
	v_cmp_eq_u16_e32 vcc, 0, v6
	v_cndmask_b32_e32 v2, v2, v11, vcc
	v_cndmask_b32_e32 v6, v6, v10, vcc
	v_lshlrev_b32_e32 v10, 24, v7
	v_mov_b32_e32 v11, 0x3b800000
	v_lshlrev_b32_e32 v2, 20, v2
	v_and_b32_e32 v10, 0x80000000, v10
	v_lshl_add_u32 v6, v6, 23, v11
	v_or3_b32 v2, v10, v6, v2
.LBB42_164:
	s_or_b64 exec, exec, s[6:7]
	s_movk_i32 s4, 0x7f
	v_cmp_gt_i16_sdwa s[6:7], v3, s4 src0_sel:BYTE_0 src1_sel:DWORD
	s_mov_b64 s[4:5], 0
                                        ; implicit-def: $sgpr10
	s_and_saveexec_b64 s[8:9], s[6:7]
	s_xor_b64 s[6:7], exec, s[8:9]
	s_cbranch_execnz .LBB42_2213
; %bb.165:
	s_or_saveexec_b64 s[6:7], s[6:7]
	v_mov_b32_e32 v6, s10
	s_xor_b64 exec, exec, s[6:7]
	s_cbranch_execnz .LBB42_2216
.LBB42_166:
	s_or_b64 exec, exec, s[6:7]
	s_and_saveexec_b64 s[6:7], s[4:5]
	s_cbranch_execz .LBB42_168
.LBB42_167:
	v_and_b32_e32 v6, 7, v3
	v_ffbh_u32_e32 v11, v6
	v_min_u32_e32 v11, 32, v11
	v_lshrrev_b16_e32 v10, 3, v3
	v_subrev_u32_e32 v12, 28, v11
	v_and_b32_e32 v10, 15, v10
	v_lshlrev_b32_e32 v12, v12, v3
	v_sub_u32_e32 v11, 29, v11
	v_and_b32_e32 v12, 7, v12
	v_cmp_eq_u16_e32 vcc, 0, v10
	v_cndmask_b32_e32 v6, v6, v12, vcc
	v_cndmask_b32_e32 v10, v10, v11, vcc
	v_lshlrev_b32_e32 v11, 24, v3
	v_mov_b32_e32 v12, 0x3b800000
	v_lshlrev_b32_e32 v6, 20, v6
	v_and_b32_e32 v11, 0x80000000, v11
	v_lshl_add_u32 v10, v10, 23, v12
	v_or3_b32 v6, v11, v10, v6
.LBB42_168:
	s_or_b64 exec, exec, s[6:7]
	s_nop 0
	v_mfma_f32_16x16x4f32 a[0:3], v2, v6, a[0:3]
	v_lshrrev_b32_e32 v6, 8, v7
	s_movk_i32 s4, 0x7f
	v_cmp_gt_i16_sdwa s[6:7], v6, s4 src0_sel:BYTE_0 src1_sel:DWORD
	s_mov_b64 s[4:5], 0
                                        ; implicit-def: $sgpr10
	s_and_saveexec_b64 s[8:9], s[6:7]
	s_xor_b64 s[6:7], exec, s[8:9]
	s_cbranch_execnz .LBB42_2217
; %bb.169:
	s_or_saveexec_b64 s[6:7], s[6:7]
	v_mov_b32_e32 v2, s10
	s_xor_b64 exec, exec, s[6:7]
	s_cbranch_execnz .LBB42_2220
.LBB42_170:
	s_or_b64 exec, exec, s[6:7]
	s_and_saveexec_b64 s[6:7], s[4:5]
	s_cbranch_execz .LBB42_172
.LBB42_171:
	v_bfe_u32 v2, v7, 8, 3
	v_ffbh_u32_e32 v11, v2
	v_min_u32_e32 v11, 32, v11
	v_lshrrev_b16_e32 v10, 3, v6
	v_subrev_u32_e32 v12, 28, v11
	v_and_b32_e32 v10, 15, v10
	v_lshlrev_b32_e32 v6, v12, v6
	v_sub_u32_e32 v11, 29, v11
	v_and_b32_e32 v6, 7, v6
	v_cmp_eq_u16_e32 vcc, 0, v10
	v_cndmask_b32_e32 v2, v2, v6, vcc
	v_cndmask_b32_e32 v6, v10, v11, vcc
	v_lshlrev_b32_e32 v10, 16, v7
	v_mov_b32_e32 v11, 0x3b800000
	v_lshlrev_b32_e32 v2, 20, v2
	v_and_b32_e32 v10, 0x80000000, v10
	v_lshl_add_u32 v6, v6, 23, v11
	v_or3_b32 v2, v10, v6, v2
.LBB42_172:
	s_or_b64 exec, exec, s[6:7]
	v_lshrrev_b32_e32 v6, 8, v3
	s_movk_i32 s4, 0x7f
	v_cmp_gt_i16_sdwa s[6:7], v6, s4 src0_sel:BYTE_0 src1_sel:DWORD
	s_mov_b64 s[4:5], 0
                                        ; implicit-def: $sgpr10
	s_and_saveexec_b64 s[8:9], s[6:7]
	s_xor_b64 s[6:7], exec, s[8:9]
	s_cbranch_execnz .LBB42_2221
; %bb.173:
	s_or_saveexec_b64 s[6:7], s[6:7]
	v_mov_b32_e32 v10, s10
	s_xor_b64 exec, exec, s[6:7]
	s_cbranch_execnz .LBB42_2224
.LBB42_174:
	s_or_b64 exec, exec, s[6:7]
	s_and_saveexec_b64 s[6:7], s[4:5]
	s_cbranch_execz .LBB42_176
.LBB42_175:
	v_bfe_u32 v10, v3, 8, 3
	v_ffbh_u32_e32 v12, v10
	v_min_u32_e32 v12, 32, v12
	v_lshrrev_b16_e32 v11, 3, v6
	v_subrev_u32_e32 v13, 28, v12
	v_and_b32_e32 v11, 15, v11
	v_lshlrev_b32_e32 v6, v13, v6
	v_sub_u32_e32 v12, 29, v12
	v_and_b32_e32 v6, 7, v6
	v_cmp_eq_u16_e32 vcc, 0, v11
	v_cndmask_b32_e32 v6, v10, v6, vcc
	v_cndmask_b32_e32 v10, v11, v12, vcc
	v_lshlrev_b32_e32 v11, 16, v3
	v_mov_b32_e32 v12, 0x3b800000
	v_lshlrev_b32_e32 v6, 20, v6
	v_and_b32_e32 v11, 0x80000000, v11
	v_lshl_add_u32 v10, v10, 23, v12
	v_or3_b32 v10, v11, v10, v6
.LBB42_176:
	s_or_b64 exec, exec, s[6:7]
	s_nop 0
	v_mfma_f32_16x16x4f32 a[0:3], v2, v10, a[0:3]
	s_movk_i32 s4, 0xff
	v_and_b32_sdwa v6, v7, s4 dst_sel:DWORD dst_unused:UNUSED_PAD src0_sel:WORD_1 src1_sel:DWORD
	s_movk_i32 s4, 0x7f
	v_cmp_lt_i16_e32 vcc, s4, v6
	s_mov_b64 s[4:5], 0
                                        ; implicit-def: $sgpr10
	s_and_saveexec_b64 s[6:7], vcc
	s_xor_b64 s[6:7], exec, s[6:7]
	s_cbranch_execnz .LBB42_2225
; %bb.177:
	s_or_saveexec_b64 s[6:7], s[6:7]
	v_mov_b32_e32 v2, s10
	s_xor_b64 exec, exec, s[6:7]
	s_cbranch_execnz .LBB42_2228
.LBB42_178:
	s_or_b64 exec, exec, s[6:7]
	s_and_saveexec_b64 s[6:7], s[4:5]
	s_cbranch_execz .LBB42_180
.LBB42_179:
	v_bfe_u32 v2, v7, 16, 3
	v_ffbh_u32_e32 v11, v2
	v_min_u32_e32 v11, 32, v11
	v_lshrrev_b32_e32 v6, 19, v7
	v_subrev_u32_e32 v12, 28, v11
	v_and_b32_e32 v6, 15, v6
	v_lshlrev_b32_sdwa v12, v12, v7 dst_sel:DWORD dst_unused:UNUSED_PAD src0_sel:DWORD src1_sel:WORD_1
	v_bfe_u32 v10, v7, 19, 4
	v_sub_u32_e32 v11, 29, v11
	v_and_b32_e32 v12, 7, v12
	v_cmp_eq_u16_e32 vcc, 0, v6
	v_cndmask_b32_e32 v2, v2, v12, vcc
	v_cndmask_b32_e32 v6, v10, v11, vcc
	v_lshlrev_b32_e32 v10, 8, v7
	v_mov_b32_e32 v11, 0x3b800000
	v_lshlrev_b32_e32 v2, 20, v2
	v_and_b32_e32 v10, 0x80000000, v10
	v_lshl_add_u32 v6, v6, 23, v11
	v_or3_b32 v2, v10, v6, v2
.LBB42_180:
	s_or_b64 exec, exec, s[6:7]
	s_movk_i32 s4, 0xff
	v_and_b32_sdwa v6, v3, s4 dst_sel:DWORD dst_unused:UNUSED_PAD src0_sel:WORD_1 src1_sel:DWORD
	s_movk_i32 s4, 0x7f
	v_cmp_lt_i16_e32 vcc, s4, v6
	s_mov_b64 s[4:5], 0
                                        ; implicit-def: $sgpr10
	s_and_saveexec_b64 s[6:7], vcc
	s_xor_b64 s[6:7], exec, s[6:7]
	s_cbranch_execnz .LBB42_2229
; %bb.181:
	s_or_saveexec_b64 s[6:7], s[6:7]
	v_mov_b32_e32 v10, s10
	s_xor_b64 exec, exec, s[6:7]
	s_cbranch_execnz .LBB42_2232
.LBB42_182:
	s_or_b64 exec, exec, s[6:7]
	s_and_saveexec_b64 s[6:7], s[4:5]
	s_cbranch_execz .LBB42_184
.LBB42_183:
	v_bfe_u32 v6, v3, 16, 3
	v_ffbh_u32_e32 v12, v6
	v_min_u32_e32 v12, 32, v12
	v_lshrrev_b32_e32 v10, 19, v3
	v_subrev_u32_e32 v13, 28, v12
	v_and_b32_e32 v10, 15, v10
	v_lshlrev_b32_sdwa v13, v13, v3 dst_sel:DWORD dst_unused:UNUSED_PAD src0_sel:DWORD src1_sel:WORD_1
	v_bfe_u32 v11, v3, 19, 4
	v_sub_u32_e32 v12, 29, v12
	v_and_b32_e32 v13, 7, v13
	v_cmp_eq_u16_e32 vcc, 0, v10
	v_cndmask_b32_e32 v6, v6, v13, vcc
	v_cndmask_b32_e32 v10, v11, v12, vcc
	v_lshlrev_b32_e32 v11, 8, v3
	v_mov_b32_e32 v12, 0x3b800000
	v_lshlrev_b32_e32 v6, 20, v6
	v_and_b32_e32 v11, 0x80000000, v11
	v_lshl_add_u32 v10, v10, 23, v12
	v_or3_b32 v10, v11, v10, v6
.LBB42_184:
	s_or_b64 exec, exec, s[6:7]
	s_nop 0
	v_mfma_f32_16x16x4f32 a[0:3], v2, v10, a[0:3]
	s_movk_i32 s4, 0x7f
	v_cmp_gt_i16_sdwa s[6:7], v7, s4 src0_sel:BYTE_3 src1_sel:DWORD
	s_mov_b64 s[4:5], 0
                                        ; implicit-def: $sgpr10
	s_and_saveexec_b64 s[8:9], s[6:7]
	s_xor_b64 s[6:7], exec, s[8:9]
	s_cbranch_execnz .LBB42_2233
; %bb.185:
	s_or_saveexec_b64 s[6:7], s[6:7]
	v_mov_b32_e32 v2, s10
	s_xor_b64 exec, exec, s[6:7]
	s_cbranch_execnz .LBB42_2236
.LBB42_186:
	s_or_b64 exec, exec, s[6:7]
	s_and_saveexec_b64 s[6:7], s[4:5]
	s_cbranch_execz .LBB42_188
.LBB42_187:
	v_bfe_u32 v2, v7, 24, 3
	v_ffbh_u32_e32 v12, v2
	v_min_u32_e32 v12, 32, v12
	v_lshrrev_b32_e32 v10, 27, v7
	v_subrev_u32_e32 v13, 28, v12
	v_and_b32_e32 v6, 0x80000000, v7
	v_and_b32_e32 v10, 15, v10
	v_bfe_u32 v11, v7, 27, 4
	v_lshlrev_b32_sdwa v7, v13, v7 dst_sel:DWORD dst_unused:UNUSED_PAD src0_sel:DWORD src1_sel:BYTE_3
	v_sub_u32_e32 v12, 29, v12
	v_and_b32_e32 v7, 7, v7
	v_cmp_eq_u16_e32 vcc, 0, v10
	v_cndmask_b32_e32 v2, v2, v7, vcc
	v_cndmask_b32_e32 v7, v11, v12, vcc
	v_mov_b32_e32 v10, 0x3b800000
	v_lshlrev_b32_e32 v2, 20, v2
	v_lshl_add_u32 v7, v7, 23, v10
	v_or3_b32 v2, v6, v7, v2
.LBB42_188:
	s_or_b64 exec, exec, s[6:7]
	s_movk_i32 s4, 0x7f
	v_cmp_gt_i16_sdwa s[6:7], v3, s4 src0_sel:BYTE_3 src1_sel:DWORD
	s_mov_b64 s[4:5], 0
                                        ; implicit-def: $sgpr10
	s_and_saveexec_b64 s[8:9], s[6:7]
	s_xor_b64 s[6:7], exec, s[8:9]
	s_cbranch_execnz .LBB42_2237
; %bb.189:
	s_or_saveexec_b64 s[6:7], s[6:7]
	v_mov_b32_e32 v6, s10
	s_xor_b64 exec, exec, s[6:7]
	s_cbranch_execnz .LBB42_2240
.LBB42_190:
	s_or_b64 exec, exec, s[6:7]
	s_and_saveexec_b64 s[6:7], s[4:5]
	s_cbranch_execz .LBB42_192
.LBB42_191:
	v_bfe_u32 v6, v3, 24, 3
	v_ffbh_u32_e32 v12, v6
	v_min_u32_e32 v12, 32, v12
	v_lshrrev_b32_e32 v10, 27, v3
	v_subrev_u32_e32 v13, 28, v12
	v_and_b32_e32 v7, 0x80000000, v3
	v_and_b32_e32 v10, 15, v10
	v_bfe_u32 v11, v3, 27, 4
	v_lshlrev_b32_sdwa v3, v13, v3 dst_sel:DWORD dst_unused:UNUSED_PAD src0_sel:DWORD src1_sel:BYTE_3
	v_sub_u32_e32 v12, 29, v12
	v_and_b32_e32 v3, 7, v3
	v_cmp_eq_u16_e32 vcc, 0, v10
	v_cndmask_b32_e32 v3, v6, v3, vcc
	v_cndmask_b32_e32 v6, v11, v12, vcc
	v_mov_b32_e32 v10, 0x3b800000
	v_lshlrev_b32_e32 v3, 20, v3
	v_lshl_add_u32 v6, v6, 23, v10
	v_or3_b32 v6, v7, v6, v3
.LBB42_192:
	s_or_b64 exec, exec, s[6:7]
	s_nop 0
	v_mfma_f32_16x16x4f32 a[0:3], v2, v6, a[0:3]
	s_movk_i32 s4, 0x7f
	v_cmp_gt_i16_sdwa s[6:7], v8, s4 src0_sel:BYTE_0 src1_sel:DWORD
	s_mov_b64 s[4:5], 0
                                        ; implicit-def: $sgpr10
	s_and_saveexec_b64 s[8:9], s[6:7]
	s_xor_b64 s[6:7], exec, s[8:9]
	s_cbranch_execnz .LBB42_2241
; %bb.193:
	s_or_saveexec_b64 s[6:7], s[6:7]
	v_mov_b32_e32 v2, s10
	s_xor_b64 exec, exec, s[6:7]
	s_cbranch_execnz .LBB42_2244
.LBB42_194:
	s_or_b64 exec, exec, s[6:7]
	s_and_saveexec_b64 s[6:7], s[4:5]
	s_cbranch_execz .LBB42_196
.LBB42_195:
	v_and_b32_e32 v2, 7, v8
	v_ffbh_u32_e32 v6, v2
	v_min_u32_e32 v6, 32, v6
	v_lshrrev_b16_e32 v3, 3, v8
	v_subrev_u32_e32 v7, 28, v6
	v_and_b32_e32 v3, 15, v3
	v_lshlrev_b32_e32 v7, v7, v8
	v_sub_u32_e32 v6, 29, v6
	v_and_b32_e32 v7, 7, v7
	v_cmp_eq_u16_e32 vcc, 0, v3
	v_cndmask_b32_e32 v2, v2, v7, vcc
	v_cndmask_b32_e32 v3, v3, v6, vcc
	v_lshlrev_b32_e32 v6, 24, v8
	v_mov_b32_e32 v7, 0x3b800000
	v_lshlrev_b32_e32 v2, 20, v2
	v_and_b32_e32 v6, 0x80000000, v6
	v_lshl_add_u32 v3, v3, 23, v7
	v_or3_b32 v2, v6, v3, v2
.LBB42_196:
	s_or_b64 exec, exec, s[6:7]
	s_movk_i32 s4, 0x7f
	v_cmp_gt_i16_sdwa s[6:7], v4, s4 src0_sel:BYTE_0 src1_sel:DWORD
	s_mov_b64 s[4:5], 0
                                        ; implicit-def: $sgpr10
	s_and_saveexec_b64 s[8:9], s[6:7]
	s_xor_b64 s[6:7], exec, s[8:9]
	s_cbranch_execnz .LBB42_2245
; %bb.197:
	s_or_saveexec_b64 s[6:7], s[6:7]
	v_mov_b32_e32 v3, s10
	s_xor_b64 exec, exec, s[6:7]
	s_cbranch_execnz .LBB42_2248
.LBB42_198:
	s_or_b64 exec, exec, s[6:7]
	s_and_saveexec_b64 s[6:7], s[4:5]
	s_cbranch_execz .LBB42_200
.LBB42_199:
	v_and_b32_e32 v3, 7, v4
	v_ffbh_u32_e32 v7, v3
	v_min_u32_e32 v7, 32, v7
	v_lshrrev_b16_e32 v6, 3, v4
	v_subrev_u32_e32 v10, 28, v7
	v_and_b32_e32 v6, 15, v6
	v_lshlrev_b32_e32 v10, v10, v4
	v_sub_u32_e32 v7, 29, v7
	v_and_b32_e32 v10, 7, v10
	v_cmp_eq_u16_e32 vcc, 0, v6
	v_cndmask_b32_e32 v3, v3, v10, vcc
	v_cndmask_b32_e32 v6, v6, v7, vcc
	v_lshlrev_b32_e32 v7, 24, v4
	v_mov_b32_e32 v10, 0x3b800000
	v_lshlrev_b32_e32 v3, 20, v3
	v_and_b32_e32 v7, 0x80000000, v7
	v_lshl_add_u32 v6, v6, 23, v10
	v_or3_b32 v3, v7, v6, v3
.LBB42_200:
	s_or_b64 exec, exec, s[6:7]
	s_nop 0
	v_mfma_f32_16x16x4f32 a[0:3], v2, v3, a[0:3]
	v_lshrrev_b32_e32 v3, 8, v8
	s_movk_i32 s4, 0x7f
	v_cmp_gt_i16_sdwa s[6:7], v3, s4 src0_sel:BYTE_0 src1_sel:DWORD
	s_mov_b64 s[4:5], 0
                                        ; implicit-def: $sgpr10
	s_and_saveexec_b64 s[8:9], s[6:7]
	s_xor_b64 s[6:7], exec, s[8:9]
	s_cbranch_execnz .LBB42_2249
; %bb.201:
	s_or_saveexec_b64 s[6:7], s[6:7]
	v_mov_b32_e32 v2, s10
	s_xor_b64 exec, exec, s[6:7]
	s_cbranch_execnz .LBB42_2252
.LBB42_202:
	s_or_b64 exec, exec, s[6:7]
	s_and_saveexec_b64 s[6:7], s[4:5]
	s_cbranch_execz .LBB42_204
.LBB42_203:
	v_bfe_u32 v2, v8, 8, 3
	v_ffbh_u32_e32 v7, v2
	v_min_u32_e32 v7, 32, v7
	v_lshrrev_b16_e32 v6, 3, v3
	v_subrev_u32_e32 v10, 28, v7
	v_and_b32_e32 v6, 15, v6
	v_lshlrev_b32_e32 v3, v10, v3
	v_sub_u32_e32 v7, 29, v7
	v_and_b32_e32 v3, 7, v3
	v_cmp_eq_u16_e32 vcc, 0, v6
	v_cndmask_b32_e32 v2, v2, v3, vcc
	v_cndmask_b32_e32 v3, v6, v7, vcc
	v_lshlrev_b32_e32 v6, 16, v8
	v_mov_b32_e32 v7, 0x3b800000
	v_lshlrev_b32_e32 v2, 20, v2
	v_and_b32_e32 v6, 0x80000000, v6
	v_lshl_add_u32 v3, v3, 23, v7
	v_or3_b32 v2, v6, v3, v2
.LBB42_204:
	s_or_b64 exec, exec, s[6:7]
	v_lshrrev_b32_e32 v3, 8, v4
	s_movk_i32 s4, 0x7f
	v_cmp_gt_i16_sdwa s[6:7], v3, s4 src0_sel:BYTE_0 src1_sel:DWORD
	s_mov_b64 s[4:5], 0
                                        ; implicit-def: $sgpr10
	s_and_saveexec_b64 s[8:9], s[6:7]
	s_xor_b64 s[6:7], exec, s[8:9]
	s_cbranch_execnz .LBB42_2253
; %bb.205:
	s_or_saveexec_b64 s[6:7], s[6:7]
	v_mov_b32_e32 v6, s10
	s_xor_b64 exec, exec, s[6:7]
	s_cbranch_execnz .LBB42_2256
.LBB42_206:
	s_or_b64 exec, exec, s[6:7]
	s_and_saveexec_b64 s[6:7], s[4:5]
	s_cbranch_execz .LBB42_208
.LBB42_207:
	v_bfe_u32 v6, v4, 8, 3
	v_ffbh_u32_e32 v10, v6
	v_min_u32_e32 v10, 32, v10
	v_lshrrev_b16_e32 v7, 3, v3
	v_subrev_u32_e32 v11, 28, v10
	v_and_b32_e32 v7, 15, v7
	v_lshlrev_b32_e32 v3, v11, v3
	v_sub_u32_e32 v10, 29, v10
	v_and_b32_e32 v3, 7, v3
	v_cmp_eq_u16_e32 vcc, 0, v7
	v_cndmask_b32_e32 v3, v6, v3, vcc
	v_cndmask_b32_e32 v6, v7, v10, vcc
	v_lshlrev_b32_e32 v7, 16, v4
	v_mov_b32_e32 v10, 0x3b800000
	v_lshlrev_b32_e32 v3, 20, v3
	v_and_b32_e32 v7, 0x80000000, v7
	v_lshl_add_u32 v6, v6, 23, v10
	v_or3_b32 v6, v7, v6, v3
.LBB42_208:
	s_or_b64 exec, exec, s[6:7]
	s_nop 0
	v_mfma_f32_16x16x4f32 a[0:3], v2, v6, a[0:3]
	s_movk_i32 s4, 0xff
	v_and_b32_sdwa v3, v8, s4 dst_sel:DWORD dst_unused:UNUSED_PAD src0_sel:WORD_1 src1_sel:DWORD
	s_movk_i32 s4, 0x7f
	v_cmp_lt_i16_e32 vcc, s4, v3
	s_mov_b64 s[4:5], 0
                                        ; implicit-def: $sgpr10
	s_and_saveexec_b64 s[6:7], vcc
	s_xor_b64 s[6:7], exec, s[6:7]
	s_cbranch_execnz .LBB42_2257
; %bb.209:
	s_or_saveexec_b64 s[6:7], s[6:7]
	v_mov_b32_e32 v2, s10
	s_xor_b64 exec, exec, s[6:7]
	s_cbranch_execnz .LBB42_2260
.LBB42_210:
	s_or_b64 exec, exec, s[6:7]
	s_and_saveexec_b64 s[6:7], s[4:5]
	s_cbranch_execz .LBB42_212
.LBB42_211:
	v_bfe_u32 v2, v8, 16, 3
	v_ffbh_u32_e32 v7, v2
	v_min_u32_e32 v7, 32, v7
	v_lshrrev_b32_e32 v3, 19, v8
	v_subrev_u32_e32 v10, 28, v7
	v_and_b32_e32 v3, 15, v3
	v_lshlrev_b32_sdwa v10, v10, v8 dst_sel:DWORD dst_unused:UNUSED_PAD src0_sel:DWORD src1_sel:WORD_1
	v_bfe_u32 v6, v8, 19, 4
	v_sub_u32_e32 v7, 29, v7
	v_and_b32_e32 v10, 7, v10
	v_cmp_eq_u16_e32 vcc, 0, v3
	v_cndmask_b32_e32 v2, v2, v10, vcc
	v_cndmask_b32_e32 v3, v6, v7, vcc
	v_lshlrev_b32_e32 v6, 8, v8
	v_mov_b32_e32 v7, 0x3b800000
	v_lshlrev_b32_e32 v2, 20, v2
	v_and_b32_e32 v6, 0x80000000, v6
	v_lshl_add_u32 v3, v3, 23, v7
	v_or3_b32 v2, v6, v3, v2
.LBB42_212:
	s_or_b64 exec, exec, s[6:7]
	s_movk_i32 s4, 0xff
	v_and_b32_sdwa v3, v4, s4 dst_sel:DWORD dst_unused:UNUSED_PAD src0_sel:WORD_1 src1_sel:DWORD
	s_movk_i32 s4, 0x7f
	v_cmp_lt_i16_e32 vcc, s4, v3
	s_mov_b64 s[4:5], 0
                                        ; implicit-def: $sgpr10
	s_and_saveexec_b64 s[6:7], vcc
	s_xor_b64 s[6:7], exec, s[6:7]
	s_cbranch_execnz .LBB42_2261
; %bb.213:
	s_or_saveexec_b64 s[6:7], s[6:7]
	v_mov_b32_e32 v6, s10
	s_xor_b64 exec, exec, s[6:7]
	s_cbranch_execnz .LBB42_2264
.LBB42_214:
	s_or_b64 exec, exec, s[6:7]
	s_and_saveexec_b64 s[6:7], s[4:5]
	s_cbranch_execz .LBB42_216
.LBB42_215:
	v_bfe_u32 v3, v4, 16, 3
	v_ffbh_u32_e32 v10, v3
	v_min_u32_e32 v10, 32, v10
	v_lshrrev_b32_e32 v6, 19, v4
	v_subrev_u32_e32 v11, 28, v10
	v_and_b32_e32 v6, 15, v6
	v_lshlrev_b32_sdwa v11, v11, v4 dst_sel:DWORD dst_unused:UNUSED_PAD src0_sel:DWORD src1_sel:WORD_1
	v_bfe_u32 v7, v4, 19, 4
	v_sub_u32_e32 v10, 29, v10
	v_and_b32_e32 v11, 7, v11
	v_cmp_eq_u16_e32 vcc, 0, v6
	v_cndmask_b32_e32 v3, v3, v11, vcc
	v_cndmask_b32_e32 v6, v7, v10, vcc
	v_lshlrev_b32_e32 v7, 8, v4
	v_mov_b32_e32 v10, 0x3b800000
	v_lshlrev_b32_e32 v3, 20, v3
	v_and_b32_e32 v7, 0x80000000, v7
	v_lshl_add_u32 v6, v6, 23, v10
	v_or3_b32 v6, v7, v6, v3
.LBB42_216:
	s_or_b64 exec, exec, s[6:7]
	s_nop 0
	v_mfma_f32_16x16x4f32 a[0:3], v2, v6, a[0:3]
	s_movk_i32 s4, 0x7f
	v_cmp_gt_i16_sdwa s[6:7], v8, s4 src0_sel:BYTE_3 src1_sel:DWORD
	s_mov_b64 s[4:5], 0
                                        ; implicit-def: $sgpr10
	s_and_saveexec_b64 s[8:9], s[6:7]
	s_xor_b64 s[6:7], exec, s[8:9]
	s_cbranch_execnz .LBB42_2265
; %bb.217:
	s_or_saveexec_b64 s[6:7], s[6:7]
	v_mov_b32_e32 v2, s10
	s_xor_b64 exec, exec, s[6:7]
	s_cbranch_execnz .LBB42_2268
.LBB42_218:
	s_or_b64 exec, exec, s[6:7]
	s_and_saveexec_b64 s[6:7], s[4:5]
	s_cbranch_execz .LBB42_220
.LBB42_219:
	v_bfe_u32 v2, v8, 24, 3
	v_ffbh_u32_e32 v10, v2
	v_min_u32_e32 v10, 32, v10
	v_lshrrev_b32_e32 v6, 27, v8
	v_subrev_u32_e32 v11, 28, v10
	v_and_b32_e32 v3, 0x80000000, v8
	v_and_b32_e32 v6, 15, v6
	v_bfe_u32 v7, v8, 27, 4
	v_lshlrev_b32_sdwa v8, v11, v8 dst_sel:DWORD dst_unused:UNUSED_PAD src0_sel:DWORD src1_sel:BYTE_3
	v_sub_u32_e32 v10, 29, v10
	v_and_b32_e32 v8, 7, v8
	v_cmp_eq_u16_e32 vcc, 0, v6
	v_cndmask_b32_e32 v2, v2, v8, vcc
	v_cndmask_b32_e32 v6, v7, v10, vcc
	v_mov_b32_e32 v7, 0x3b800000
	v_lshlrev_b32_e32 v2, 20, v2
	v_lshl_add_u32 v6, v6, 23, v7
	v_or3_b32 v2, v3, v6, v2
.LBB42_220:
	s_or_b64 exec, exec, s[6:7]
	s_movk_i32 s4, 0x7f
	v_cmp_gt_i16_sdwa s[6:7], v4, s4 src0_sel:BYTE_3 src1_sel:DWORD
	s_mov_b64 s[4:5], 0
                                        ; implicit-def: $sgpr10
	s_and_saveexec_b64 s[8:9], s[6:7]
	s_xor_b64 s[6:7], exec, s[8:9]
	s_cbranch_execnz .LBB42_2269
; %bb.221:
	s_or_saveexec_b64 s[6:7], s[6:7]
	v_mov_b32_e32 v3, s10
	s_xor_b64 exec, exec, s[6:7]
	s_cbranch_execnz .LBB42_2272
.LBB42_222:
	s_or_b64 exec, exec, s[6:7]
	s_and_saveexec_b64 s[6:7], s[4:5]
	s_cbranch_execz .LBB42_224
.LBB42_223:
	v_bfe_u32 v3, v4, 24, 3
	v_ffbh_u32_e32 v10, v3
	v_min_u32_e32 v10, 32, v10
	v_lshrrev_b32_e32 v7, 27, v4
	v_subrev_u32_e32 v11, 28, v10
	v_and_b32_e32 v6, 0x80000000, v4
	v_and_b32_e32 v7, 15, v7
	v_bfe_u32 v8, v4, 27, 4
	v_lshlrev_b32_sdwa v4, v11, v4 dst_sel:DWORD dst_unused:UNUSED_PAD src0_sel:DWORD src1_sel:BYTE_3
	v_sub_u32_e32 v10, 29, v10
	v_and_b32_e32 v4, 7, v4
	v_cmp_eq_u16_e32 vcc, 0, v7
	v_cndmask_b32_e32 v3, v3, v4, vcc
	v_cndmask_b32_e32 v4, v8, v10, vcc
	v_mov_b32_e32 v7, 0x3b800000
	v_lshlrev_b32_e32 v3, 20, v3
	v_lshl_add_u32 v4, v4, 23, v7
	v_or3_b32 v3, v6, v4, v3
.LBB42_224:
	s_or_b64 exec, exec, s[6:7]
	s_nop 0
	v_mfma_f32_16x16x4f32 a[0:3], v2, v3, a[0:3]
	s_movk_i32 s4, 0x7f
	v_cmp_gt_i16_sdwa s[6:7], v9, s4 src0_sel:BYTE_0 src1_sel:DWORD
	s_mov_b64 s[4:5], 0
                                        ; implicit-def: $sgpr10
	s_and_saveexec_b64 s[8:9], s[6:7]
	s_xor_b64 s[6:7], exec, s[8:9]
	s_cbranch_execnz .LBB42_2273
; %bb.225:
	s_or_saveexec_b64 s[6:7], s[6:7]
	v_mov_b32_e32 v2, s10
	s_xor_b64 exec, exec, s[6:7]
	s_cbranch_execnz .LBB42_2276
.LBB42_226:
	s_or_b64 exec, exec, s[6:7]
	s_and_saveexec_b64 s[6:7], s[4:5]
	s_cbranch_execz .LBB42_228
.LBB42_227:
	v_mov_b32_e32 v2, 8
	v_and_b32_e32 v3, 7, v9
	v_lshrrev_b32_sdwa v2, v2, v9 dst_sel:BYTE_1 dst_unused:UNUSED_PAD src0_sel:DWORD src1_sel:DWORD
	v_ffbh_u32_e32 v4, v3
	v_or_b32_sdwa v2, v9, v2 dst_sel:DWORD dst_unused:UNUSED_PAD src0_sel:BYTE_0 src1_sel:DWORD
	v_min_u32_e32 v4, 32, v4
	v_lshrrev_b16_e32 v2, 3, v2
	v_subrev_u32_e32 v6, 28, v4
	v_and_b32_e32 v2, 15, v2
	v_lshlrev_b32_e32 v6, v6, v9
	v_sub_u32_e32 v4, 29, v4
	v_and_b32_e32 v6, 7, v6
	v_cmp_eq_u16_e32 vcc, 0, v2
	v_cndmask_b32_e32 v3, v3, v6, vcc
	v_cndmask_b32_e32 v2, v2, v4, vcc
	v_lshlrev_b32_e32 v4, 24, v9
	v_mov_b32_e32 v6, 0x3b800000
	v_lshlrev_b32_e32 v3, 20, v3
	v_and_b32_e32 v4, 0x80000000, v4
	v_lshl_add_u32 v2, v2, 23, v6
	v_or3_b32 v2, v4, v2, v3
.LBB42_228:
	s_or_b64 exec, exec, s[6:7]
	s_movk_i32 s4, 0x7f
	v_cmp_gt_i16_sdwa s[6:7], v5, s4 src0_sel:BYTE_0 src1_sel:DWORD
	s_mov_b64 s[4:5], 0
                                        ; implicit-def: $sgpr10
	s_and_saveexec_b64 s[8:9], s[6:7]
	s_xor_b64 s[6:7], exec, s[8:9]
	s_cbranch_execnz .LBB42_2277
; %bb.229:
	s_or_saveexec_b64 s[6:7], s[6:7]
	v_mov_b32_e32 v3, s10
	s_xor_b64 exec, exec, s[6:7]
	s_cbranch_execnz .LBB42_2280
.LBB42_230:
	s_or_b64 exec, exec, s[6:7]
	s_and_saveexec_b64 s[6:7], s[4:5]
	s_cbranch_execz .LBB42_232
.LBB42_231:
	v_mov_b32_e32 v3, 8
	v_and_b32_e32 v4, 7, v5
	v_lshrrev_b32_sdwa v3, v3, v5 dst_sel:BYTE_1 dst_unused:UNUSED_PAD src0_sel:DWORD src1_sel:DWORD
	v_ffbh_u32_e32 v6, v4
	v_or_b32_sdwa v3, v5, v3 dst_sel:DWORD dst_unused:UNUSED_PAD src0_sel:BYTE_0 src1_sel:DWORD
	v_min_u32_e32 v6, 32, v6
	v_lshrrev_b16_e32 v3, 3, v3
	v_subrev_u32_e32 v7, 28, v6
	v_and_b32_e32 v3, 15, v3
	v_lshlrev_b32_e32 v7, v7, v5
	v_sub_u32_e32 v6, 29, v6
	v_and_b32_e32 v7, 7, v7
	v_cmp_eq_u16_e32 vcc, 0, v3
	v_cndmask_b32_e32 v4, v4, v7, vcc
	v_cndmask_b32_e32 v3, v3, v6, vcc
	v_lshlrev_b32_e32 v6, 24, v5
	v_mov_b32_e32 v7, 0x3b800000
	v_lshlrev_b32_e32 v4, 20, v4
	v_and_b32_e32 v6, 0x80000000, v6
	v_lshl_add_u32 v3, v3, 23, v7
	v_or3_b32 v3, v6, v3, v4
.LBB42_232:
	s_or_b64 exec, exec, s[6:7]
	s_nop 0
	v_mfma_f32_16x16x4f32 a[0:3], v2, v3, a[0:3]
	v_lshrrev_b32_e32 v3, 8, v9
	s_movk_i32 s4, 0x7f
	v_cmp_gt_i16_sdwa s[6:7], v3, s4 src0_sel:BYTE_0 src1_sel:DWORD
	s_mov_b64 s[4:5], 0
                                        ; implicit-def: $sgpr10
	s_and_saveexec_b64 s[8:9], s[6:7]
	s_xor_b64 s[6:7], exec, s[8:9]
	s_cbranch_execnz .LBB42_2281
; %bb.233:
	s_or_saveexec_b64 s[6:7], s[6:7]
	v_mov_b32_e32 v2, s10
	s_xor_b64 exec, exec, s[6:7]
	s_cbranch_execnz .LBB42_2284
.LBB42_234:
	s_or_b64 exec, exec, s[6:7]
	s_and_saveexec_b64 s[6:7], s[4:5]
	s_cbranch_execz .LBB42_236
.LBB42_235:
	v_bfe_u32 v2, v9, 8, 3
	v_ffbh_u32_e32 v6, v2
	v_min_u32_e32 v6, 32, v6
	v_lshrrev_b16_e32 v4, 3, v3
	v_subrev_u32_e32 v7, 28, v6
	v_and_b32_e32 v4, 15, v4
	v_lshlrev_b32_e32 v3, v7, v3
	v_sub_u32_e32 v6, 29, v6
	v_and_b32_e32 v3, 7, v3
	v_cmp_eq_u16_e32 vcc, 0, v4
	v_cndmask_b32_e32 v2, v2, v3, vcc
	v_cndmask_b32_e32 v3, v4, v6, vcc
	v_lshlrev_b32_e32 v4, 16, v9
	v_mov_b32_e32 v6, 0x3b800000
	v_lshlrev_b32_e32 v2, 20, v2
	v_and_b32_e32 v4, 0x80000000, v4
	v_lshl_add_u32 v3, v3, 23, v6
	v_or3_b32 v2, v4, v3, v2
.LBB42_236:
	s_or_b64 exec, exec, s[6:7]
	v_lshrrev_b32_e32 v3, 8, v5
	s_movk_i32 s4, 0x7f
	v_cmp_gt_i16_sdwa s[6:7], v3, s4 src0_sel:BYTE_0 src1_sel:DWORD
	s_mov_b64 s[4:5], 0
                                        ; implicit-def: $sgpr10
	s_and_saveexec_b64 s[8:9], s[6:7]
	s_xor_b64 s[6:7], exec, s[8:9]
	s_cbranch_execnz .LBB42_2285
; %bb.237:
	s_or_saveexec_b64 s[6:7], s[6:7]
	v_mov_b32_e32 v4, s10
	s_xor_b64 exec, exec, s[6:7]
	s_cbranch_execnz .LBB42_2288
.LBB42_238:
	s_or_b64 exec, exec, s[6:7]
	s_and_saveexec_b64 s[6:7], s[4:5]
	s_cbranch_execz .LBB42_240
.LBB42_239:
	v_bfe_u32 v4, v5, 8, 3
	v_ffbh_u32_e32 v7, v4
	v_min_u32_e32 v7, 32, v7
	v_lshrrev_b16_e32 v6, 3, v3
	v_subrev_u32_e32 v8, 28, v7
	v_and_b32_e32 v6, 15, v6
	v_lshlrev_b32_e32 v3, v8, v3
	v_sub_u32_e32 v7, 29, v7
	v_and_b32_e32 v3, 7, v3
	v_cmp_eq_u16_e32 vcc, 0, v6
	v_cndmask_b32_e32 v3, v4, v3, vcc
	v_cndmask_b32_e32 v4, v6, v7, vcc
	v_lshlrev_b32_e32 v6, 16, v5
	v_mov_b32_e32 v7, 0x3b800000
	v_lshlrev_b32_e32 v3, 20, v3
	v_and_b32_e32 v6, 0x80000000, v6
	v_lshl_add_u32 v4, v4, 23, v7
	v_or3_b32 v4, v6, v4, v3
.LBB42_240:
	s_or_b64 exec, exec, s[6:7]
	s_nop 0
	v_mfma_f32_16x16x4f32 a[0:3], v2, v4, a[0:3]
	s_movk_i32 s4, 0xff
	v_and_b32_sdwa v3, v9, s4 dst_sel:DWORD dst_unused:UNUSED_PAD src0_sel:WORD_1 src1_sel:DWORD
	s_movk_i32 s4, 0x7f
	v_cmp_lt_i16_e32 vcc, s4, v3
	s_mov_b64 s[4:5], 0
                                        ; implicit-def: $sgpr10
	s_and_saveexec_b64 s[6:7], vcc
	s_xor_b64 s[6:7], exec, s[6:7]
	s_cbranch_execnz .LBB42_2289
; %bb.241:
	s_or_saveexec_b64 s[6:7], s[6:7]
	v_mov_b32_e32 v2, s10
	s_xor_b64 exec, exec, s[6:7]
	s_cbranch_execnz .LBB42_2292
.LBB42_242:
	s_or_b64 exec, exec, s[6:7]
	s_and_saveexec_b64 s[6:7], s[4:5]
	s_cbranch_execz .LBB42_244
.LBB42_243:
	v_bfe_u32 v2, v9, 16, 3
	v_ffbh_u32_e32 v6, v2
	v_min_u32_e32 v6, 32, v6
	v_lshrrev_b32_e32 v3, 19, v9
	v_subrev_u32_e32 v7, 28, v6
	v_and_b32_e32 v3, 15, v3
	v_lshlrev_b32_sdwa v7, v7, v9 dst_sel:DWORD dst_unused:UNUSED_PAD src0_sel:DWORD src1_sel:WORD_1
	v_bfe_u32 v4, v9, 19, 4
	v_sub_u32_e32 v6, 29, v6
	v_and_b32_e32 v7, 7, v7
	v_cmp_eq_u16_e32 vcc, 0, v3
	v_cndmask_b32_e32 v2, v2, v7, vcc
	v_cndmask_b32_e32 v3, v4, v6, vcc
	v_lshlrev_b32_e32 v4, 8, v9
	v_mov_b32_e32 v6, 0x3b800000
	v_lshlrev_b32_e32 v2, 20, v2
	v_and_b32_e32 v4, 0x80000000, v4
	v_lshl_add_u32 v3, v3, 23, v6
	v_or3_b32 v2, v4, v3, v2
.LBB42_244:
	s_or_b64 exec, exec, s[6:7]
	s_movk_i32 s4, 0xff
	v_and_b32_sdwa v3, v5, s4 dst_sel:DWORD dst_unused:UNUSED_PAD src0_sel:WORD_1 src1_sel:DWORD
	s_movk_i32 s4, 0x7f
	v_cmp_lt_i16_e32 vcc, s4, v3
	s_mov_b64 s[4:5], 0
                                        ; implicit-def: $sgpr10
	s_and_saveexec_b64 s[6:7], vcc
	s_xor_b64 s[6:7], exec, s[6:7]
	s_cbranch_execnz .LBB42_2293
; %bb.245:
	s_or_saveexec_b64 s[6:7], s[6:7]
	v_mov_b32_e32 v4, s10
	s_xor_b64 exec, exec, s[6:7]
	s_cbranch_execnz .LBB42_2296
.LBB42_246:
	s_or_b64 exec, exec, s[6:7]
	s_and_saveexec_b64 s[6:7], s[4:5]
	s_cbranch_execz .LBB42_248
.LBB42_247:
	v_bfe_u32 v3, v5, 16, 3
	v_ffbh_u32_e32 v7, v3
	v_min_u32_e32 v7, 32, v7
	v_lshrrev_b32_e32 v4, 19, v5
	v_subrev_u32_e32 v8, 28, v7
	v_and_b32_e32 v4, 15, v4
	v_lshlrev_b32_sdwa v8, v8, v5 dst_sel:DWORD dst_unused:UNUSED_PAD src0_sel:DWORD src1_sel:WORD_1
	v_bfe_u32 v6, v5, 19, 4
	v_sub_u32_e32 v7, 29, v7
	v_and_b32_e32 v8, 7, v8
	v_cmp_eq_u16_e32 vcc, 0, v4
	v_cndmask_b32_e32 v3, v3, v8, vcc
	v_cndmask_b32_e32 v4, v6, v7, vcc
	v_lshlrev_b32_e32 v6, 8, v5
	v_mov_b32_e32 v7, 0x3b800000
	v_lshlrev_b32_e32 v3, 20, v3
	v_and_b32_e32 v6, 0x80000000, v6
	v_lshl_add_u32 v4, v4, 23, v7
	v_or3_b32 v4, v6, v4, v3
.LBB42_248:
	s_or_b64 exec, exec, s[6:7]
	s_nop 0
	v_mfma_f32_16x16x4f32 a[0:3], v2, v4, a[0:3]
	s_movk_i32 s4, 0x7f
	v_cmp_gt_i16_sdwa s[6:7], v9, s4 src0_sel:BYTE_3 src1_sel:DWORD
	s_mov_b64 s[4:5], 0
                                        ; implicit-def: $sgpr10
	s_and_saveexec_b64 s[8:9], s[6:7]
	s_xor_b64 s[6:7], exec, s[8:9]
	s_cbranch_execnz .LBB42_2297
; %bb.249:
	s_or_saveexec_b64 s[6:7], s[6:7]
	v_mov_b32_e32 v2, s10
	s_xor_b64 exec, exec, s[6:7]
	s_cbranch_execnz .LBB42_2300
.LBB42_250:
	s_or_b64 exec, exec, s[6:7]
	s_and_saveexec_b64 s[6:7], s[4:5]
	s_cbranch_execz .LBB42_252
.LBB42_251:
	v_bfe_u32 v2, v9, 24, 3
	v_ffbh_u32_e32 v7, v2
	v_min_u32_e32 v7, 32, v7
	v_lshrrev_b32_e32 v4, 27, v9
	v_subrev_u32_e32 v8, 28, v7
	v_and_b32_e32 v4, 15, v4
	v_lshlrev_b32_sdwa v8, v8, v9 dst_sel:DWORD dst_unused:UNUSED_PAD src0_sel:DWORD src1_sel:BYTE_3
	v_bfe_u32 v6, v9, 27, 4
	v_sub_u32_e32 v7, 29, v7
	v_and_b32_e32 v8, 7, v8
	v_cmp_eq_u16_e32 vcc, 0, v4
	v_cndmask_b32_e32 v2, v2, v8, vcc
	v_cndmask_b32_e32 v4, v6, v7, vcc
	v_mov_b32_e32 v6, 0x3b800000
	v_and_b32_e32 v3, 0x80000000, v9
	v_lshlrev_b32_e32 v2, 20, v2
	v_lshl_add_u32 v4, v4, 23, v6
	v_or3_b32 v2, v3, v4, v2
.LBB42_252:
	s_or_b64 exec, exec, s[6:7]
	s_movk_i32 s4, 0x7f
	v_cmp_gt_i16_sdwa s[6:7], v5, s4 src0_sel:BYTE_3 src1_sel:DWORD
	s_mov_b64 s[4:5], 0
                                        ; implicit-def: $sgpr10
	s_and_saveexec_b64 s[8:9], s[6:7]
	s_xor_b64 s[6:7], exec, s[8:9]
	s_cbranch_execnz .LBB42_2301
; %bb.253:
	s_or_saveexec_b64 s[6:7], s[6:7]
	v_mov_b32_e32 v3, s10
	s_xor_b64 exec, exec, s[6:7]
	s_cbranch_execnz .LBB42_2304
.LBB42_254:
	s_or_b64 exec, exec, s[6:7]
	s_and_saveexec_b64 s[6:7], s[4:5]
	s_cbranch_execz .LBB42_256
.LBB42_255:
	v_bfe_u32 v3, v5, 24, 3
	v_ffbh_u32_e32 v8, v3
	v_min_u32_e32 v8, 32, v8
	v_lshrrev_b32_e32 v6, 27, v5
	v_subrev_u32_e32 v9, 28, v8
	v_and_b32_e32 v4, 0x80000000, v5
	v_and_b32_e32 v6, 15, v6
	v_bfe_u32 v7, v5, 27, 4
	v_lshlrev_b32_sdwa v5, v9, v5 dst_sel:DWORD dst_unused:UNUSED_PAD src0_sel:DWORD src1_sel:BYTE_3
	v_sub_u32_e32 v8, 29, v8
	v_and_b32_e32 v5, 7, v5
	v_cmp_eq_u16_e32 vcc, 0, v6
	v_cndmask_b32_e32 v3, v3, v5, vcc
	v_cndmask_b32_e32 v5, v7, v8, vcc
	v_mov_b32_e32 v6, 0x3b800000
	v_lshlrev_b32_e32 v3, 20, v3
	v_lshl_add_u32 v5, v5, 23, v6
	v_or3_b32 v3, v4, v5, v3
.LBB42_256:
	s_or_b64 exec, exec, s[6:7]
	s_nop 0
	v_mfma_f32_16x16x4f32 a[0:3], v2, v3, a[0:3]
	s_movk_i32 s4, 0x7f
                                        ; implicit-def: $sgpr10
	s_nop 7
	s_nop 1
	flat_store_dwordx4 v[18:19], a[0:3] offset:768
	flat_load_dwordx4 v[20:23], v[0:1] offset:16
	s_nop 0
	flat_load_dwordx2 v[18:19], v[0:1] offset:32
	s_waitcnt vmcnt(0) lgkmcnt(0)
	flat_load_dwordx4 v[14:17], v[20:21]
	flat_load_dwordx4 v[6:9], v[20:21] offset:16
	flat_load_dwordx4 v[10:13], v[22:23] offset:288
	;; [unrolled: 1-line block ×3, first 2 shown]
	s_waitcnt vmcnt(0) lgkmcnt(0)
	v_cmp_gt_i16_sdwa s[6:7], v14, s4 src0_sel:BYTE_0 src1_sel:DWORD
	s_mov_b64 s[4:5], 0
	s_and_saveexec_b64 s[8:9], s[6:7]
	s_xor_b64 s[6:7], exec, s[8:9]
	s_cbranch_execnz .LBB42_2305
; %bb.257:
	s_or_saveexec_b64 s[6:7], s[6:7]
	v_mov_b32_e32 v20, s10
	s_xor_b64 exec, exec, s[6:7]
	s_cbranch_execnz .LBB42_2308
.LBB42_258:
	s_or_b64 exec, exec, s[6:7]
	s_and_saveexec_b64 s[6:7], s[4:5]
	s_cbranch_execz .LBB42_260
.LBB42_259:
	v_and_b32_e32 v20, 7, v14
	v_ffbh_u32_e32 v22, v20
	v_min_u32_e32 v22, 32, v22
	v_lshrrev_b16_e32 v21, 3, v14
	v_subrev_u32_e32 v23, 28, v22
	v_and_b32_e32 v21, 15, v21
	v_lshlrev_b32_e32 v23, v23, v14
	v_sub_u32_e32 v22, 29, v22
	v_and_b32_e32 v23, 7, v23
	v_cmp_eq_u16_e32 vcc, 0, v21
	v_cndmask_b32_e32 v20, v20, v23, vcc
	v_cndmask_b32_e32 v21, v21, v22, vcc
	v_lshlrev_b32_e32 v22, 24, v14
	v_mov_b32_e32 v23, 0x3b800000
	v_lshlrev_b32_e32 v20, 20, v20
	v_and_b32_e32 v22, 0x80000000, v22
	v_lshl_add_u32 v21, v21, 23, v23
	v_or3_b32 v20, v22, v21, v20
.LBB42_260:
	s_or_b64 exec, exec, s[6:7]
	s_movk_i32 s4, 0x7f
	v_cmp_gt_i16_sdwa s[6:7], v10, s4 src0_sel:BYTE_0 src1_sel:DWORD
	s_mov_b64 s[4:5], 0
                                        ; implicit-def: $sgpr10
	s_and_saveexec_b64 s[8:9], s[6:7]
	s_xor_b64 s[6:7], exec, s[8:9]
	s_cbranch_execnz .LBB42_2309
; %bb.261:
	s_or_saveexec_b64 s[6:7], s[6:7]
	v_mov_b32_e32 v21, s10
	s_xor_b64 exec, exec, s[6:7]
	s_cbranch_execnz .LBB42_2312
.LBB42_262:
	s_or_b64 exec, exec, s[6:7]
	s_and_saveexec_b64 s[6:7], s[4:5]
	s_cbranch_execz .LBB42_264
.LBB42_263:
	v_and_b32_e32 v21, 7, v10
	v_ffbh_u32_e32 v23, v21
	v_min_u32_e32 v23, 32, v23
	v_lshrrev_b16_e32 v22, 3, v10
	v_subrev_u32_e32 v24, 28, v23
	v_and_b32_e32 v22, 15, v22
	v_lshlrev_b32_e32 v24, v24, v10
	v_sub_u32_e32 v23, 29, v23
	v_and_b32_e32 v24, 7, v24
	v_cmp_eq_u16_e32 vcc, 0, v22
	v_cndmask_b32_e32 v21, v21, v24, vcc
	v_cndmask_b32_e32 v22, v22, v23, vcc
	v_lshlrev_b32_e32 v23, 24, v10
	v_mov_b32_e32 v24, 0x3b800000
	v_lshlrev_b32_e32 v21, 20, v21
	v_and_b32_e32 v23, 0x80000000, v23
	v_lshl_add_u32 v22, v22, 23, v24
	v_or3_b32 v21, v23, v22, v21
.LBB42_264:
	s_or_b64 exec, exec, s[6:7]
	flat_load_dwordx4 a[0:3], v[18:19] offset:784
	s_movk_i32 s4, 0x7f
                                        ; implicit-def: $sgpr10
	s_waitcnt vmcnt(0) lgkmcnt(0)
	v_mfma_f32_16x16x4f32 a[0:3], v20, v21, a[0:3]
	v_lshrrev_b32_e32 v21, 8, v14
	v_cmp_gt_i16_sdwa s[6:7], v21, s4 src0_sel:BYTE_0 src1_sel:DWORD
	s_mov_b64 s[4:5], 0
	s_and_saveexec_b64 s[8:9], s[6:7]
	s_xor_b64 s[6:7], exec, s[8:9]
	s_cbranch_execnz .LBB42_2313
; %bb.265:
	s_or_saveexec_b64 s[6:7], s[6:7]
	v_mov_b32_e32 v20, s10
	s_xor_b64 exec, exec, s[6:7]
	s_cbranch_execnz .LBB42_2316
.LBB42_266:
	s_or_b64 exec, exec, s[6:7]
	s_and_saveexec_b64 s[6:7], s[4:5]
	s_cbranch_execz .LBB42_268
.LBB42_267:
	v_bfe_u32 v20, v14, 8, 3
	v_ffbh_u32_e32 v23, v20
	v_min_u32_e32 v23, 32, v23
	v_lshrrev_b16_e32 v22, 3, v21
	v_subrev_u32_e32 v24, 28, v23
	v_and_b32_e32 v22, 15, v22
	v_lshlrev_b32_e32 v21, v24, v21
	v_sub_u32_e32 v23, 29, v23
	v_and_b32_e32 v21, 7, v21
	v_cmp_eq_u16_e32 vcc, 0, v22
	v_cndmask_b32_e32 v20, v20, v21, vcc
	v_cndmask_b32_e32 v21, v22, v23, vcc
	v_lshlrev_b32_e32 v22, 16, v14
	v_mov_b32_e32 v23, 0x3b800000
	v_lshlrev_b32_e32 v20, 20, v20
	v_and_b32_e32 v22, 0x80000000, v22
	v_lshl_add_u32 v21, v21, 23, v23
	v_or3_b32 v20, v22, v21, v20
.LBB42_268:
	s_or_b64 exec, exec, s[6:7]
	v_lshrrev_b32_e32 v21, 8, v10
	s_movk_i32 s4, 0x7f
	v_cmp_gt_i16_sdwa s[6:7], v21, s4 src0_sel:BYTE_0 src1_sel:DWORD
	s_mov_b64 s[4:5], 0
                                        ; implicit-def: $sgpr10
	s_and_saveexec_b64 s[8:9], s[6:7]
	s_xor_b64 s[6:7], exec, s[8:9]
	s_cbranch_execnz .LBB42_2317
; %bb.269:
	s_or_saveexec_b64 s[6:7], s[6:7]
	v_mov_b32_e32 v22, s10
	s_xor_b64 exec, exec, s[6:7]
	s_cbranch_execnz .LBB42_2320
.LBB42_270:
	s_or_b64 exec, exec, s[6:7]
	s_and_saveexec_b64 s[6:7], s[4:5]
	s_cbranch_execz .LBB42_272
.LBB42_271:
	v_bfe_u32 v22, v10, 8, 3
	v_ffbh_u32_e32 v24, v22
	v_min_u32_e32 v24, 32, v24
	v_lshrrev_b16_e32 v23, 3, v21
	v_subrev_u32_e32 v25, 28, v24
	v_and_b32_e32 v23, 15, v23
	v_lshlrev_b32_e32 v21, v25, v21
	v_sub_u32_e32 v24, 29, v24
	v_and_b32_e32 v21, 7, v21
	v_cmp_eq_u16_e32 vcc, 0, v23
	v_cndmask_b32_e32 v21, v22, v21, vcc
	v_cndmask_b32_e32 v22, v23, v24, vcc
	v_lshlrev_b32_e32 v23, 16, v10
	v_mov_b32_e32 v24, 0x3b800000
	v_lshlrev_b32_e32 v21, 20, v21
	v_and_b32_e32 v23, 0x80000000, v23
	v_lshl_add_u32 v22, v22, 23, v24
	v_or3_b32 v22, v23, v22, v21
.LBB42_272:
	s_or_b64 exec, exec, s[6:7]
	s_nop 0
	v_mfma_f32_16x16x4f32 a[0:3], v20, v22, a[0:3]
	s_movk_i32 s4, 0xff
	v_and_b32_sdwa v21, v14, s4 dst_sel:DWORD dst_unused:UNUSED_PAD src0_sel:WORD_1 src1_sel:DWORD
	s_movk_i32 s4, 0x7f
	v_cmp_lt_i16_e32 vcc, s4, v21
	s_mov_b64 s[4:5], 0
                                        ; implicit-def: $sgpr10
	s_and_saveexec_b64 s[6:7], vcc
	s_xor_b64 s[6:7], exec, s[6:7]
	s_cbranch_execnz .LBB42_2321
; %bb.273:
	s_or_saveexec_b64 s[6:7], s[6:7]
	v_mov_b32_e32 v20, s10
	s_xor_b64 exec, exec, s[6:7]
	s_cbranch_execnz .LBB42_2324
.LBB42_274:
	s_or_b64 exec, exec, s[6:7]
	s_and_saveexec_b64 s[6:7], s[4:5]
	s_cbranch_execz .LBB42_276
.LBB42_275:
	v_bfe_u32 v20, v14, 16, 3
	v_ffbh_u32_e32 v23, v20
	v_min_u32_e32 v23, 32, v23
	v_lshrrev_b32_e32 v21, 19, v14
	v_subrev_u32_e32 v24, 28, v23
	v_and_b32_e32 v21, 15, v21
	v_lshlrev_b32_sdwa v24, v24, v14 dst_sel:DWORD dst_unused:UNUSED_PAD src0_sel:DWORD src1_sel:WORD_1
	v_bfe_u32 v22, v14, 19, 4
	v_sub_u32_e32 v23, 29, v23
	v_and_b32_e32 v24, 7, v24
	v_cmp_eq_u16_e32 vcc, 0, v21
	v_cndmask_b32_e32 v20, v20, v24, vcc
	v_cndmask_b32_e32 v21, v22, v23, vcc
	v_lshlrev_b32_e32 v22, 8, v14
	v_mov_b32_e32 v23, 0x3b800000
	v_lshlrev_b32_e32 v20, 20, v20
	v_and_b32_e32 v22, 0x80000000, v22
	v_lshl_add_u32 v21, v21, 23, v23
	v_or3_b32 v20, v22, v21, v20
.LBB42_276:
	s_or_b64 exec, exec, s[6:7]
	s_movk_i32 s4, 0xff
	v_and_b32_sdwa v21, v10, s4 dst_sel:DWORD dst_unused:UNUSED_PAD src0_sel:WORD_1 src1_sel:DWORD
	s_movk_i32 s4, 0x7f
	v_cmp_lt_i16_e32 vcc, s4, v21
	s_mov_b64 s[4:5], 0
                                        ; implicit-def: $sgpr10
	s_and_saveexec_b64 s[6:7], vcc
	s_xor_b64 s[6:7], exec, s[6:7]
	s_cbranch_execnz .LBB42_2325
; %bb.277:
	s_or_saveexec_b64 s[6:7], s[6:7]
	v_mov_b32_e32 v22, s10
	s_xor_b64 exec, exec, s[6:7]
	s_cbranch_execnz .LBB42_2328
.LBB42_278:
	s_or_b64 exec, exec, s[6:7]
	s_and_saveexec_b64 s[6:7], s[4:5]
	s_cbranch_execz .LBB42_280
.LBB42_279:
	v_bfe_u32 v21, v10, 16, 3
	v_ffbh_u32_e32 v24, v21
	v_min_u32_e32 v24, 32, v24
	v_lshrrev_b32_e32 v22, 19, v10
	v_subrev_u32_e32 v25, 28, v24
	v_and_b32_e32 v22, 15, v22
	v_lshlrev_b32_sdwa v25, v25, v10 dst_sel:DWORD dst_unused:UNUSED_PAD src0_sel:DWORD src1_sel:WORD_1
	v_bfe_u32 v23, v10, 19, 4
	v_sub_u32_e32 v24, 29, v24
	v_and_b32_e32 v25, 7, v25
	v_cmp_eq_u16_e32 vcc, 0, v22
	v_cndmask_b32_e32 v21, v21, v25, vcc
	v_cndmask_b32_e32 v22, v23, v24, vcc
	v_lshlrev_b32_e32 v23, 8, v10
	v_mov_b32_e32 v24, 0x3b800000
	v_lshlrev_b32_e32 v21, 20, v21
	v_and_b32_e32 v23, 0x80000000, v23
	v_lshl_add_u32 v22, v22, 23, v24
	v_or3_b32 v22, v23, v22, v21
.LBB42_280:
	s_or_b64 exec, exec, s[6:7]
	s_nop 0
	v_mfma_f32_16x16x4f32 a[0:3], v20, v22, a[0:3]
	s_movk_i32 s4, 0x7f
	v_cmp_gt_i16_sdwa s[6:7], v14, s4 src0_sel:BYTE_3 src1_sel:DWORD
	s_mov_b64 s[4:5], 0
                                        ; implicit-def: $sgpr10
	s_and_saveexec_b64 s[8:9], s[6:7]
	s_xor_b64 s[6:7], exec, s[8:9]
	s_cbranch_execnz .LBB42_2329
; %bb.281:
	s_or_saveexec_b64 s[6:7], s[6:7]
	v_mov_b32_e32 v20, s10
	s_xor_b64 exec, exec, s[6:7]
	s_cbranch_execnz .LBB42_2332
.LBB42_282:
	s_or_b64 exec, exec, s[6:7]
	s_and_saveexec_b64 s[6:7], s[4:5]
	s_cbranch_execz .LBB42_284
.LBB42_283:
	v_bfe_u32 v20, v14, 24, 3
	v_ffbh_u32_e32 v24, v20
	v_min_u32_e32 v24, 32, v24
	v_lshrrev_b32_e32 v22, 27, v14
	v_subrev_u32_e32 v25, 28, v24
	v_and_b32_e32 v21, 0x80000000, v14
	v_and_b32_e32 v22, 15, v22
	v_bfe_u32 v23, v14, 27, 4
	v_lshlrev_b32_sdwa v14, v25, v14 dst_sel:DWORD dst_unused:UNUSED_PAD src0_sel:DWORD src1_sel:BYTE_3
	v_sub_u32_e32 v24, 29, v24
	v_and_b32_e32 v14, 7, v14
	v_cmp_eq_u16_e32 vcc, 0, v22
	v_cndmask_b32_e32 v14, v20, v14, vcc
	v_cndmask_b32_e32 v20, v23, v24, vcc
	v_mov_b32_e32 v22, 0x3b800000
	v_lshlrev_b32_e32 v14, 20, v14
	v_lshl_add_u32 v20, v20, 23, v22
	v_or3_b32 v20, v21, v20, v14
.LBB42_284:
	s_or_b64 exec, exec, s[6:7]
	s_movk_i32 s4, 0x7f
	v_cmp_gt_i16_sdwa s[6:7], v10, s4 src0_sel:BYTE_3 src1_sel:DWORD
	s_mov_b64 s[4:5], 0
                                        ; implicit-def: $sgpr10
	s_and_saveexec_b64 s[8:9], s[6:7]
	s_xor_b64 s[6:7], exec, s[8:9]
	s_cbranch_execnz .LBB42_2333
; %bb.285:
	s_or_saveexec_b64 s[6:7], s[6:7]
	v_mov_b32_e32 v14, s10
	s_xor_b64 exec, exec, s[6:7]
	s_cbranch_execnz .LBB42_2336
.LBB42_286:
	s_or_b64 exec, exec, s[6:7]
	s_and_saveexec_b64 s[6:7], s[4:5]
	s_cbranch_execz .LBB42_288
.LBB42_287:
	v_bfe_u32 v14, v10, 24, 3
	v_ffbh_u32_e32 v24, v14
	v_min_u32_e32 v24, 32, v24
	v_lshrrev_b32_e32 v22, 27, v10
	v_subrev_u32_e32 v25, 28, v24
	v_and_b32_e32 v21, 0x80000000, v10
	v_and_b32_e32 v22, 15, v22
	v_bfe_u32 v23, v10, 27, 4
	v_lshlrev_b32_sdwa v10, v25, v10 dst_sel:DWORD dst_unused:UNUSED_PAD src0_sel:DWORD src1_sel:BYTE_3
	v_sub_u32_e32 v24, 29, v24
	v_and_b32_e32 v10, 7, v10
	v_cmp_eq_u16_e32 vcc, 0, v22
	v_cndmask_b32_e32 v10, v14, v10, vcc
	v_cndmask_b32_e32 v14, v23, v24, vcc
	v_mov_b32_e32 v22, 0x3b800000
	v_lshlrev_b32_e32 v10, 20, v10
	v_lshl_add_u32 v14, v14, 23, v22
	v_or3_b32 v14, v21, v14, v10
.LBB42_288:
	s_or_b64 exec, exec, s[6:7]
	s_nop 0
	v_mfma_f32_16x16x4f32 a[0:3], v20, v14, a[0:3]
	s_movk_i32 s4, 0x7f
	v_cmp_gt_i16_sdwa s[6:7], v15, s4 src0_sel:BYTE_0 src1_sel:DWORD
	s_mov_b64 s[4:5], 0
                                        ; implicit-def: $sgpr10
	s_and_saveexec_b64 s[8:9], s[6:7]
	s_xor_b64 s[6:7], exec, s[8:9]
	s_cbranch_execnz .LBB42_2337
; %bb.289:
	s_or_saveexec_b64 s[6:7], s[6:7]
	v_mov_b32_e32 v10, s10
	s_xor_b64 exec, exec, s[6:7]
	s_cbranch_execnz .LBB42_2340
.LBB42_290:
	s_or_b64 exec, exec, s[6:7]
	s_and_saveexec_b64 s[6:7], s[4:5]
	s_cbranch_execz .LBB42_292
.LBB42_291:
	v_and_b32_e32 v10, 7, v15
	v_ffbh_u32_e32 v20, v10
	v_min_u32_e32 v20, 32, v20
	v_lshrrev_b16_e32 v14, 3, v15
	v_subrev_u32_e32 v21, 28, v20
	v_and_b32_e32 v14, 15, v14
	v_lshlrev_b32_e32 v21, v21, v15
	v_sub_u32_e32 v20, 29, v20
	v_and_b32_e32 v21, 7, v21
	v_cmp_eq_u16_e32 vcc, 0, v14
	v_cndmask_b32_e32 v10, v10, v21, vcc
	v_cndmask_b32_e32 v14, v14, v20, vcc
	v_lshlrev_b32_e32 v20, 24, v15
	v_mov_b32_e32 v21, 0x3b800000
	v_lshlrev_b32_e32 v10, 20, v10
	v_and_b32_e32 v20, 0x80000000, v20
	v_lshl_add_u32 v14, v14, 23, v21
	v_or3_b32 v10, v20, v14, v10
.LBB42_292:
	s_or_b64 exec, exec, s[6:7]
	s_movk_i32 s4, 0x7f
	v_cmp_gt_i16_sdwa s[6:7], v11, s4 src0_sel:BYTE_0 src1_sel:DWORD
	s_mov_b64 s[4:5], 0
                                        ; implicit-def: $sgpr10
	s_and_saveexec_b64 s[8:9], s[6:7]
	s_xor_b64 s[6:7], exec, s[8:9]
	s_cbranch_execnz .LBB42_2341
; %bb.293:
	s_or_saveexec_b64 s[6:7], s[6:7]
	v_mov_b32_e32 v14, s10
	s_xor_b64 exec, exec, s[6:7]
	s_cbranch_execnz .LBB42_2344
.LBB42_294:
	s_or_b64 exec, exec, s[6:7]
	s_and_saveexec_b64 s[6:7], s[4:5]
	s_cbranch_execz .LBB42_296
.LBB42_295:
	v_and_b32_e32 v14, 7, v11
	v_ffbh_u32_e32 v21, v14
	v_min_u32_e32 v21, 32, v21
	v_lshrrev_b16_e32 v20, 3, v11
	v_subrev_u32_e32 v22, 28, v21
	v_and_b32_e32 v20, 15, v20
	v_lshlrev_b32_e32 v22, v22, v11
	v_sub_u32_e32 v21, 29, v21
	v_and_b32_e32 v22, 7, v22
	v_cmp_eq_u16_e32 vcc, 0, v20
	v_cndmask_b32_e32 v14, v14, v22, vcc
	v_cndmask_b32_e32 v20, v20, v21, vcc
	v_lshlrev_b32_e32 v21, 24, v11
	v_mov_b32_e32 v22, 0x3b800000
	v_lshlrev_b32_e32 v14, 20, v14
	v_and_b32_e32 v21, 0x80000000, v21
	v_lshl_add_u32 v20, v20, 23, v22
	v_or3_b32 v14, v21, v20, v14
.LBB42_296:
	s_or_b64 exec, exec, s[6:7]
	s_nop 0
	v_mfma_f32_16x16x4f32 a[0:3], v10, v14, a[0:3]
	v_lshrrev_b32_e32 v14, 8, v15
	s_movk_i32 s4, 0x7f
	v_cmp_gt_i16_sdwa s[6:7], v14, s4 src0_sel:BYTE_0 src1_sel:DWORD
	s_mov_b64 s[4:5], 0
                                        ; implicit-def: $sgpr10
	s_and_saveexec_b64 s[8:9], s[6:7]
	s_xor_b64 s[6:7], exec, s[8:9]
	s_cbranch_execnz .LBB42_2345
; %bb.297:
	s_or_saveexec_b64 s[6:7], s[6:7]
	v_mov_b32_e32 v10, s10
	s_xor_b64 exec, exec, s[6:7]
	s_cbranch_execnz .LBB42_2348
.LBB42_298:
	s_or_b64 exec, exec, s[6:7]
	s_and_saveexec_b64 s[6:7], s[4:5]
	s_cbranch_execz .LBB42_300
.LBB42_299:
	v_bfe_u32 v10, v15, 8, 3
	v_ffbh_u32_e32 v21, v10
	v_min_u32_e32 v21, 32, v21
	v_lshrrev_b16_e32 v20, 3, v14
	v_subrev_u32_e32 v22, 28, v21
	v_and_b32_e32 v20, 15, v20
	v_lshlrev_b32_e32 v14, v22, v14
	v_sub_u32_e32 v21, 29, v21
	v_and_b32_e32 v14, 7, v14
	v_cmp_eq_u16_e32 vcc, 0, v20
	v_cndmask_b32_e32 v10, v10, v14, vcc
	v_cndmask_b32_e32 v14, v20, v21, vcc
	v_lshlrev_b32_e32 v20, 16, v15
	v_mov_b32_e32 v21, 0x3b800000
	v_lshlrev_b32_e32 v10, 20, v10
	v_and_b32_e32 v20, 0x80000000, v20
	v_lshl_add_u32 v14, v14, 23, v21
	v_or3_b32 v10, v20, v14, v10
.LBB42_300:
	s_or_b64 exec, exec, s[6:7]
	v_lshrrev_b32_e32 v14, 8, v11
	s_movk_i32 s4, 0x7f
	v_cmp_gt_i16_sdwa s[6:7], v14, s4 src0_sel:BYTE_0 src1_sel:DWORD
	s_mov_b64 s[4:5], 0
                                        ; implicit-def: $sgpr10
	s_and_saveexec_b64 s[8:9], s[6:7]
	s_xor_b64 s[6:7], exec, s[8:9]
	s_cbranch_execnz .LBB42_2349
; %bb.301:
	s_or_saveexec_b64 s[6:7], s[6:7]
	v_mov_b32_e32 v20, s10
	s_xor_b64 exec, exec, s[6:7]
	s_cbranch_execnz .LBB42_2352
.LBB42_302:
	s_or_b64 exec, exec, s[6:7]
	s_and_saveexec_b64 s[6:7], s[4:5]
	s_cbranch_execz .LBB42_304
.LBB42_303:
	v_bfe_u32 v20, v11, 8, 3
	v_ffbh_u32_e32 v22, v20
	v_min_u32_e32 v22, 32, v22
	v_lshrrev_b16_e32 v21, 3, v14
	v_subrev_u32_e32 v23, 28, v22
	v_and_b32_e32 v21, 15, v21
	v_lshlrev_b32_e32 v14, v23, v14
	v_sub_u32_e32 v22, 29, v22
	v_and_b32_e32 v14, 7, v14
	v_cmp_eq_u16_e32 vcc, 0, v21
	v_cndmask_b32_e32 v14, v20, v14, vcc
	v_cndmask_b32_e32 v20, v21, v22, vcc
	v_lshlrev_b32_e32 v21, 16, v11
	v_mov_b32_e32 v22, 0x3b800000
	v_lshlrev_b32_e32 v14, 20, v14
	v_and_b32_e32 v21, 0x80000000, v21
	v_lshl_add_u32 v20, v20, 23, v22
	v_or3_b32 v20, v21, v20, v14
.LBB42_304:
	s_or_b64 exec, exec, s[6:7]
	s_nop 0
	v_mfma_f32_16x16x4f32 a[0:3], v10, v20, a[0:3]
	s_movk_i32 s4, 0xff
	v_and_b32_sdwa v14, v15, s4 dst_sel:DWORD dst_unused:UNUSED_PAD src0_sel:WORD_1 src1_sel:DWORD
	s_movk_i32 s4, 0x7f
	v_cmp_lt_i16_e32 vcc, s4, v14
	s_mov_b64 s[4:5], 0
                                        ; implicit-def: $sgpr10
	s_and_saveexec_b64 s[6:7], vcc
	s_xor_b64 s[6:7], exec, s[6:7]
	s_cbranch_execnz .LBB42_2353
; %bb.305:
	s_or_saveexec_b64 s[6:7], s[6:7]
	v_mov_b32_e32 v10, s10
	s_xor_b64 exec, exec, s[6:7]
	s_cbranch_execnz .LBB42_2356
.LBB42_306:
	s_or_b64 exec, exec, s[6:7]
	s_and_saveexec_b64 s[6:7], s[4:5]
	s_cbranch_execz .LBB42_308
.LBB42_307:
	v_bfe_u32 v10, v15, 16, 3
	v_ffbh_u32_e32 v21, v10
	v_min_u32_e32 v21, 32, v21
	v_lshrrev_b32_e32 v14, 19, v15
	v_subrev_u32_e32 v22, 28, v21
	v_and_b32_e32 v14, 15, v14
	v_lshlrev_b32_sdwa v22, v22, v15 dst_sel:DWORD dst_unused:UNUSED_PAD src0_sel:DWORD src1_sel:WORD_1
	v_bfe_u32 v20, v15, 19, 4
	v_sub_u32_e32 v21, 29, v21
	v_and_b32_e32 v22, 7, v22
	v_cmp_eq_u16_e32 vcc, 0, v14
	v_cndmask_b32_e32 v10, v10, v22, vcc
	v_cndmask_b32_e32 v14, v20, v21, vcc
	v_lshlrev_b32_e32 v20, 8, v15
	v_mov_b32_e32 v21, 0x3b800000
	v_lshlrev_b32_e32 v10, 20, v10
	v_and_b32_e32 v20, 0x80000000, v20
	v_lshl_add_u32 v14, v14, 23, v21
	v_or3_b32 v10, v20, v14, v10
.LBB42_308:
	s_or_b64 exec, exec, s[6:7]
	s_movk_i32 s4, 0xff
	v_and_b32_sdwa v14, v11, s4 dst_sel:DWORD dst_unused:UNUSED_PAD src0_sel:WORD_1 src1_sel:DWORD
	s_movk_i32 s4, 0x7f
	v_cmp_lt_i16_e32 vcc, s4, v14
	s_mov_b64 s[4:5], 0
                                        ; implicit-def: $sgpr10
	s_and_saveexec_b64 s[6:7], vcc
	s_xor_b64 s[6:7], exec, s[6:7]
	s_cbranch_execnz .LBB42_2357
; %bb.309:
	s_or_saveexec_b64 s[6:7], s[6:7]
	v_mov_b32_e32 v20, s10
	s_xor_b64 exec, exec, s[6:7]
	s_cbranch_execnz .LBB42_2360
.LBB42_310:
	s_or_b64 exec, exec, s[6:7]
	s_and_saveexec_b64 s[6:7], s[4:5]
	s_cbranch_execz .LBB42_312
.LBB42_311:
	v_bfe_u32 v14, v11, 16, 3
	v_ffbh_u32_e32 v22, v14
	v_min_u32_e32 v22, 32, v22
	v_lshrrev_b32_e32 v20, 19, v11
	v_subrev_u32_e32 v23, 28, v22
	v_and_b32_e32 v20, 15, v20
	v_lshlrev_b32_sdwa v23, v23, v11 dst_sel:DWORD dst_unused:UNUSED_PAD src0_sel:DWORD src1_sel:WORD_1
	v_bfe_u32 v21, v11, 19, 4
	v_sub_u32_e32 v22, 29, v22
	v_and_b32_e32 v23, 7, v23
	v_cmp_eq_u16_e32 vcc, 0, v20
	v_cndmask_b32_e32 v14, v14, v23, vcc
	v_cndmask_b32_e32 v20, v21, v22, vcc
	v_lshlrev_b32_e32 v21, 8, v11
	v_mov_b32_e32 v22, 0x3b800000
	v_lshlrev_b32_e32 v14, 20, v14
	v_and_b32_e32 v21, 0x80000000, v21
	v_lshl_add_u32 v20, v20, 23, v22
	v_or3_b32 v20, v21, v20, v14
.LBB42_312:
	s_or_b64 exec, exec, s[6:7]
	s_nop 0
	v_mfma_f32_16x16x4f32 a[0:3], v10, v20, a[0:3]
	s_movk_i32 s4, 0x7f
	v_cmp_gt_i16_sdwa s[6:7], v15, s4 src0_sel:BYTE_3 src1_sel:DWORD
	s_mov_b64 s[4:5], 0
                                        ; implicit-def: $sgpr10
	s_and_saveexec_b64 s[8:9], s[6:7]
	s_xor_b64 s[6:7], exec, s[8:9]
	s_cbranch_execnz .LBB42_2361
; %bb.313:
	s_or_saveexec_b64 s[6:7], s[6:7]
	v_mov_b32_e32 v10, s10
	s_xor_b64 exec, exec, s[6:7]
	s_cbranch_execnz .LBB42_2364
.LBB42_314:
	s_or_b64 exec, exec, s[6:7]
	s_and_saveexec_b64 s[6:7], s[4:5]
	s_cbranch_execz .LBB42_316
.LBB42_315:
	v_bfe_u32 v10, v15, 24, 3
	v_ffbh_u32_e32 v22, v10
	v_min_u32_e32 v22, 32, v22
	v_lshrrev_b32_e32 v20, 27, v15
	v_subrev_u32_e32 v23, 28, v22
	v_and_b32_e32 v14, 0x80000000, v15
	v_and_b32_e32 v20, 15, v20
	v_bfe_u32 v21, v15, 27, 4
	v_lshlrev_b32_sdwa v15, v23, v15 dst_sel:DWORD dst_unused:UNUSED_PAD src0_sel:DWORD src1_sel:BYTE_3
	v_sub_u32_e32 v22, 29, v22
	v_and_b32_e32 v15, 7, v15
	v_cmp_eq_u16_e32 vcc, 0, v20
	v_cndmask_b32_e32 v10, v10, v15, vcc
	v_cndmask_b32_e32 v15, v21, v22, vcc
	v_mov_b32_e32 v20, 0x3b800000
	v_lshlrev_b32_e32 v10, 20, v10
	v_lshl_add_u32 v15, v15, 23, v20
	v_or3_b32 v10, v14, v15, v10
.LBB42_316:
	s_or_b64 exec, exec, s[6:7]
	s_movk_i32 s4, 0x7f
	v_cmp_gt_i16_sdwa s[6:7], v11, s4 src0_sel:BYTE_3 src1_sel:DWORD
	s_mov_b64 s[4:5], 0
                                        ; implicit-def: $sgpr10
	s_and_saveexec_b64 s[8:9], s[6:7]
	s_xor_b64 s[6:7], exec, s[8:9]
	s_cbranch_execnz .LBB42_2365
; %bb.317:
	s_or_saveexec_b64 s[6:7], s[6:7]
	v_mov_b32_e32 v14, s10
	s_xor_b64 exec, exec, s[6:7]
	s_cbranch_execnz .LBB42_2368
.LBB42_318:
	s_or_b64 exec, exec, s[6:7]
	s_and_saveexec_b64 s[6:7], s[4:5]
	s_cbranch_execz .LBB42_320
.LBB42_319:
	v_bfe_u32 v14, v11, 24, 3
	v_ffbh_u32_e32 v22, v14
	v_min_u32_e32 v22, 32, v22
	v_lshrrev_b32_e32 v20, 27, v11
	v_subrev_u32_e32 v23, 28, v22
	v_and_b32_e32 v15, 0x80000000, v11
	v_and_b32_e32 v20, 15, v20
	v_bfe_u32 v21, v11, 27, 4
	v_lshlrev_b32_sdwa v11, v23, v11 dst_sel:DWORD dst_unused:UNUSED_PAD src0_sel:DWORD src1_sel:BYTE_3
	v_sub_u32_e32 v22, 29, v22
	v_and_b32_e32 v11, 7, v11
	v_cmp_eq_u16_e32 vcc, 0, v20
	v_cndmask_b32_e32 v11, v14, v11, vcc
	v_cndmask_b32_e32 v14, v21, v22, vcc
	v_mov_b32_e32 v20, 0x3b800000
	v_lshlrev_b32_e32 v11, 20, v11
	v_lshl_add_u32 v14, v14, 23, v20
	v_or3_b32 v14, v15, v14, v11
.LBB42_320:
	s_or_b64 exec, exec, s[6:7]
	s_nop 0
	v_mfma_f32_16x16x4f32 a[0:3], v10, v14, a[0:3]
	s_movk_i32 s4, 0x7f
	v_cmp_gt_i16_sdwa s[6:7], v16, s4 src0_sel:BYTE_0 src1_sel:DWORD
	s_mov_b64 s[4:5], 0
                                        ; implicit-def: $sgpr10
	s_and_saveexec_b64 s[8:9], s[6:7]
	s_xor_b64 s[6:7], exec, s[8:9]
	s_cbranch_execnz .LBB42_2369
; %bb.321:
	s_or_saveexec_b64 s[6:7], s[6:7]
	v_mov_b32_e32 v10, s10
	s_xor_b64 exec, exec, s[6:7]
	s_cbranch_execnz .LBB42_2372
.LBB42_322:
	s_or_b64 exec, exec, s[6:7]
	s_and_saveexec_b64 s[6:7], s[4:5]
	s_cbranch_execz .LBB42_324
.LBB42_323:
	v_and_b32_e32 v10, 7, v16
	v_ffbh_u32_e32 v14, v10
	v_min_u32_e32 v14, 32, v14
	v_lshrrev_b16_e32 v11, 3, v16
	v_subrev_u32_e32 v15, 28, v14
	v_and_b32_e32 v11, 15, v11
	v_lshlrev_b32_e32 v15, v15, v16
	v_sub_u32_e32 v14, 29, v14
	v_and_b32_e32 v15, 7, v15
	v_cmp_eq_u16_e32 vcc, 0, v11
	v_cndmask_b32_e32 v10, v10, v15, vcc
	v_cndmask_b32_e32 v11, v11, v14, vcc
	v_lshlrev_b32_e32 v14, 24, v16
	v_mov_b32_e32 v15, 0x3b800000
	v_lshlrev_b32_e32 v10, 20, v10
	v_and_b32_e32 v14, 0x80000000, v14
	v_lshl_add_u32 v11, v11, 23, v15
	v_or3_b32 v10, v14, v11, v10
.LBB42_324:
	s_or_b64 exec, exec, s[6:7]
	s_movk_i32 s4, 0x7f
	v_cmp_gt_i16_sdwa s[6:7], v12, s4 src0_sel:BYTE_0 src1_sel:DWORD
	s_mov_b64 s[4:5], 0
                                        ; implicit-def: $sgpr10
	s_and_saveexec_b64 s[8:9], s[6:7]
	s_xor_b64 s[6:7], exec, s[8:9]
	s_cbranch_execnz .LBB42_2373
; %bb.325:
	s_or_saveexec_b64 s[6:7], s[6:7]
	v_mov_b32_e32 v11, s10
	s_xor_b64 exec, exec, s[6:7]
	s_cbranch_execnz .LBB42_2376
.LBB42_326:
	s_or_b64 exec, exec, s[6:7]
	s_and_saveexec_b64 s[6:7], s[4:5]
	s_cbranch_execz .LBB42_328
.LBB42_327:
	v_and_b32_e32 v11, 7, v12
	v_ffbh_u32_e32 v15, v11
	v_min_u32_e32 v15, 32, v15
	v_lshrrev_b16_e32 v14, 3, v12
	v_subrev_u32_e32 v20, 28, v15
	v_and_b32_e32 v14, 15, v14
	v_lshlrev_b32_e32 v20, v20, v12
	v_sub_u32_e32 v15, 29, v15
	v_and_b32_e32 v20, 7, v20
	v_cmp_eq_u16_e32 vcc, 0, v14
	v_cndmask_b32_e32 v11, v11, v20, vcc
	v_cndmask_b32_e32 v14, v14, v15, vcc
	v_lshlrev_b32_e32 v15, 24, v12
	v_mov_b32_e32 v20, 0x3b800000
	v_lshlrev_b32_e32 v11, 20, v11
	v_and_b32_e32 v15, 0x80000000, v15
	v_lshl_add_u32 v14, v14, 23, v20
	v_or3_b32 v11, v15, v14, v11
.LBB42_328:
	s_or_b64 exec, exec, s[6:7]
	s_nop 0
	v_mfma_f32_16x16x4f32 a[0:3], v10, v11, a[0:3]
	v_lshrrev_b32_e32 v11, 8, v16
	s_movk_i32 s4, 0x7f
	v_cmp_gt_i16_sdwa s[6:7], v11, s4 src0_sel:BYTE_0 src1_sel:DWORD
	s_mov_b64 s[4:5], 0
                                        ; implicit-def: $sgpr10
	s_and_saveexec_b64 s[8:9], s[6:7]
	s_xor_b64 s[6:7], exec, s[8:9]
	s_cbranch_execnz .LBB42_2377
; %bb.329:
	s_or_saveexec_b64 s[6:7], s[6:7]
	v_mov_b32_e32 v10, s10
	s_xor_b64 exec, exec, s[6:7]
	s_cbranch_execnz .LBB42_2380
.LBB42_330:
	s_or_b64 exec, exec, s[6:7]
	s_and_saveexec_b64 s[6:7], s[4:5]
	s_cbranch_execz .LBB42_332
.LBB42_331:
	v_bfe_u32 v10, v16, 8, 3
	v_ffbh_u32_e32 v15, v10
	v_min_u32_e32 v15, 32, v15
	v_lshrrev_b16_e32 v14, 3, v11
	v_subrev_u32_e32 v20, 28, v15
	v_and_b32_e32 v14, 15, v14
	v_lshlrev_b32_e32 v11, v20, v11
	v_sub_u32_e32 v15, 29, v15
	v_and_b32_e32 v11, 7, v11
	v_cmp_eq_u16_e32 vcc, 0, v14
	v_cndmask_b32_e32 v10, v10, v11, vcc
	v_cndmask_b32_e32 v11, v14, v15, vcc
	v_lshlrev_b32_e32 v14, 16, v16
	v_mov_b32_e32 v15, 0x3b800000
	v_lshlrev_b32_e32 v10, 20, v10
	v_and_b32_e32 v14, 0x80000000, v14
	v_lshl_add_u32 v11, v11, 23, v15
	v_or3_b32 v10, v14, v11, v10
.LBB42_332:
	s_or_b64 exec, exec, s[6:7]
	v_lshrrev_b32_e32 v11, 8, v12
	s_movk_i32 s4, 0x7f
	v_cmp_gt_i16_sdwa s[6:7], v11, s4 src0_sel:BYTE_0 src1_sel:DWORD
	s_mov_b64 s[4:5], 0
                                        ; implicit-def: $sgpr10
	s_and_saveexec_b64 s[8:9], s[6:7]
	s_xor_b64 s[6:7], exec, s[8:9]
	s_cbranch_execnz .LBB42_2381
; %bb.333:
	s_or_saveexec_b64 s[6:7], s[6:7]
	v_mov_b32_e32 v14, s10
	s_xor_b64 exec, exec, s[6:7]
	s_cbranch_execnz .LBB42_2384
.LBB42_334:
	s_or_b64 exec, exec, s[6:7]
	s_and_saveexec_b64 s[6:7], s[4:5]
	s_cbranch_execz .LBB42_336
.LBB42_335:
	v_bfe_u32 v14, v12, 8, 3
	v_ffbh_u32_e32 v20, v14
	v_min_u32_e32 v20, 32, v20
	v_lshrrev_b16_e32 v15, 3, v11
	v_subrev_u32_e32 v21, 28, v20
	v_and_b32_e32 v15, 15, v15
	v_lshlrev_b32_e32 v11, v21, v11
	v_sub_u32_e32 v20, 29, v20
	v_and_b32_e32 v11, 7, v11
	v_cmp_eq_u16_e32 vcc, 0, v15
	v_cndmask_b32_e32 v11, v14, v11, vcc
	v_cndmask_b32_e32 v14, v15, v20, vcc
	v_lshlrev_b32_e32 v15, 16, v12
	v_mov_b32_e32 v20, 0x3b800000
	v_lshlrev_b32_e32 v11, 20, v11
	v_and_b32_e32 v15, 0x80000000, v15
	v_lshl_add_u32 v14, v14, 23, v20
	v_or3_b32 v14, v15, v14, v11
.LBB42_336:
	s_or_b64 exec, exec, s[6:7]
	s_nop 0
	v_mfma_f32_16x16x4f32 a[0:3], v10, v14, a[0:3]
	s_movk_i32 s4, 0xff
	v_and_b32_sdwa v11, v16, s4 dst_sel:DWORD dst_unused:UNUSED_PAD src0_sel:WORD_1 src1_sel:DWORD
	s_movk_i32 s4, 0x7f
	v_cmp_lt_i16_e32 vcc, s4, v11
	s_mov_b64 s[4:5], 0
                                        ; implicit-def: $sgpr10
	s_and_saveexec_b64 s[6:7], vcc
	s_xor_b64 s[6:7], exec, s[6:7]
	s_cbranch_execnz .LBB42_2385
; %bb.337:
	s_or_saveexec_b64 s[6:7], s[6:7]
	v_mov_b32_e32 v10, s10
	s_xor_b64 exec, exec, s[6:7]
	s_cbranch_execnz .LBB42_2388
.LBB42_338:
	s_or_b64 exec, exec, s[6:7]
	s_and_saveexec_b64 s[6:7], s[4:5]
	s_cbranch_execz .LBB42_340
.LBB42_339:
	v_bfe_u32 v10, v16, 16, 3
	v_ffbh_u32_e32 v15, v10
	v_min_u32_e32 v15, 32, v15
	v_lshrrev_b32_e32 v11, 19, v16
	v_subrev_u32_e32 v20, 28, v15
	v_and_b32_e32 v11, 15, v11
	v_lshlrev_b32_sdwa v20, v20, v16 dst_sel:DWORD dst_unused:UNUSED_PAD src0_sel:DWORD src1_sel:WORD_1
	v_bfe_u32 v14, v16, 19, 4
	v_sub_u32_e32 v15, 29, v15
	v_and_b32_e32 v20, 7, v20
	v_cmp_eq_u16_e32 vcc, 0, v11
	v_cndmask_b32_e32 v10, v10, v20, vcc
	v_cndmask_b32_e32 v11, v14, v15, vcc
	v_lshlrev_b32_e32 v14, 8, v16
	v_mov_b32_e32 v15, 0x3b800000
	v_lshlrev_b32_e32 v10, 20, v10
	v_and_b32_e32 v14, 0x80000000, v14
	v_lshl_add_u32 v11, v11, 23, v15
	v_or3_b32 v10, v14, v11, v10
.LBB42_340:
	s_or_b64 exec, exec, s[6:7]
	s_movk_i32 s4, 0xff
	v_and_b32_sdwa v11, v12, s4 dst_sel:DWORD dst_unused:UNUSED_PAD src0_sel:WORD_1 src1_sel:DWORD
	s_movk_i32 s4, 0x7f
	v_cmp_lt_i16_e32 vcc, s4, v11
	s_mov_b64 s[4:5], 0
                                        ; implicit-def: $sgpr10
	s_and_saveexec_b64 s[6:7], vcc
	s_xor_b64 s[6:7], exec, s[6:7]
	s_cbranch_execnz .LBB42_2389
; %bb.341:
	s_or_saveexec_b64 s[6:7], s[6:7]
	v_mov_b32_e32 v14, s10
	s_xor_b64 exec, exec, s[6:7]
	s_cbranch_execnz .LBB42_2392
.LBB42_342:
	s_or_b64 exec, exec, s[6:7]
	s_and_saveexec_b64 s[6:7], s[4:5]
	s_cbranch_execz .LBB42_344
.LBB42_343:
	v_bfe_u32 v11, v12, 16, 3
	v_ffbh_u32_e32 v20, v11
	v_min_u32_e32 v20, 32, v20
	v_lshrrev_b32_e32 v14, 19, v12
	v_subrev_u32_e32 v21, 28, v20
	v_and_b32_e32 v14, 15, v14
	v_lshlrev_b32_sdwa v21, v21, v12 dst_sel:DWORD dst_unused:UNUSED_PAD src0_sel:DWORD src1_sel:WORD_1
	v_bfe_u32 v15, v12, 19, 4
	v_sub_u32_e32 v20, 29, v20
	v_and_b32_e32 v21, 7, v21
	v_cmp_eq_u16_e32 vcc, 0, v14
	v_cndmask_b32_e32 v11, v11, v21, vcc
	v_cndmask_b32_e32 v14, v15, v20, vcc
	v_lshlrev_b32_e32 v15, 8, v12
	v_mov_b32_e32 v20, 0x3b800000
	v_lshlrev_b32_e32 v11, 20, v11
	v_and_b32_e32 v15, 0x80000000, v15
	v_lshl_add_u32 v14, v14, 23, v20
	v_or3_b32 v14, v15, v14, v11
.LBB42_344:
	s_or_b64 exec, exec, s[6:7]
	s_nop 0
	v_mfma_f32_16x16x4f32 a[0:3], v10, v14, a[0:3]
	s_movk_i32 s4, 0x7f
	v_cmp_gt_i16_sdwa s[6:7], v16, s4 src0_sel:BYTE_3 src1_sel:DWORD
	s_mov_b64 s[4:5], 0
                                        ; implicit-def: $sgpr10
	s_and_saveexec_b64 s[8:9], s[6:7]
	s_xor_b64 s[6:7], exec, s[8:9]
	s_cbranch_execnz .LBB42_2393
; %bb.345:
	s_or_saveexec_b64 s[6:7], s[6:7]
	v_mov_b32_e32 v10, s10
	s_xor_b64 exec, exec, s[6:7]
	s_cbranch_execnz .LBB42_2396
.LBB42_346:
	s_or_b64 exec, exec, s[6:7]
	s_and_saveexec_b64 s[6:7], s[4:5]
	s_cbranch_execz .LBB42_348
.LBB42_347:
	v_bfe_u32 v10, v16, 24, 3
	v_ffbh_u32_e32 v20, v10
	v_min_u32_e32 v20, 32, v20
	v_lshrrev_b32_e32 v14, 27, v16
	v_subrev_u32_e32 v21, 28, v20
	v_and_b32_e32 v11, 0x80000000, v16
	v_and_b32_e32 v14, 15, v14
	v_bfe_u32 v15, v16, 27, 4
	v_lshlrev_b32_sdwa v16, v21, v16 dst_sel:DWORD dst_unused:UNUSED_PAD src0_sel:DWORD src1_sel:BYTE_3
	v_sub_u32_e32 v20, 29, v20
	v_and_b32_e32 v16, 7, v16
	v_cmp_eq_u16_e32 vcc, 0, v14
	v_cndmask_b32_e32 v10, v10, v16, vcc
	v_cndmask_b32_e32 v14, v15, v20, vcc
	v_mov_b32_e32 v15, 0x3b800000
	v_lshlrev_b32_e32 v10, 20, v10
	v_lshl_add_u32 v14, v14, 23, v15
	v_or3_b32 v10, v11, v14, v10
.LBB42_348:
	s_or_b64 exec, exec, s[6:7]
	s_movk_i32 s4, 0x7f
	v_cmp_gt_i16_sdwa s[6:7], v12, s4 src0_sel:BYTE_3 src1_sel:DWORD
	s_mov_b64 s[4:5], 0
                                        ; implicit-def: $sgpr10
	s_and_saveexec_b64 s[8:9], s[6:7]
	s_xor_b64 s[6:7], exec, s[8:9]
	s_cbranch_execnz .LBB42_2397
; %bb.349:
	s_or_saveexec_b64 s[6:7], s[6:7]
	v_mov_b32_e32 v11, s10
	s_xor_b64 exec, exec, s[6:7]
	s_cbranch_execnz .LBB42_2400
.LBB42_350:
	s_or_b64 exec, exec, s[6:7]
	s_and_saveexec_b64 s[6:7], s[4:5]
	s_cbranch_execz .LBB42_352
.LBB42_351:
	v_bfe_u32 v11, v12, 24, 3
	v_ffbh_u32_e32 v20, v11
	v_min_u32_e32 v20, 32, v20
	v_lshrrev_b32_e32 v15, 27, v12
	v_subrev_u32_e32 v21, 28, v20
	v_and_b32_e32 v14, 0x80000000, v12
	v_and_b32_e32 v15, 15, v15
	v_bfe_u32 v16, v12, 27, 4
	v_lshlrev_b32_sdwa v12, v21, v12 dst_sel:DWORD dst_unused:UNUSED_PAD src0_sel:DWORD src1_sel:BYTE_3
	v_sub_u32_e32 v20, 29, v20
	v_and_b32_e32 v12, 7, v12
	v_cmp_eq_u16_e32 vcc, 0, v15
	v_cndmask_b32_e32 v11, v11, v12, vcc
	v_cndmask_b32_e32 v12, v16, v20, vcc
	v_mov_b32_e32 v15, 0x3b800000
	v_lshlrev_b32_e32 v11, 20, v11
	v_lshl_add_u32 v12, v12, 23, v15
	v_or3_b32 v11, v14, v12, v11
.LBB42_352:
	s_or_b64 exec, exec, s[6:7]
	s_nop 0
	v_mfma_f32_16x16x4f32 a[0:3], v10, v11, a[0:3]
	s_movk_i32 s4, 0x7f
	v_cmp_gt_i16_sdwa s[6:7], v17, s4 src0_sel:BYTE_0 src1_sel:DWORD
	s_mov_b64 s[4:5], 0
                                        ; implicit-def: $sgpr10
	s_and_saveexec_b64 s[8:9], s[6:7]
	s_xor_b64 s[6:7], exec, s[8:9]
	s_cbranch_execnz .LBB42_2401
; %bb.353:
	s_or_saveexec_b64 s[6:7], s[6:7]
	v_mov_b32_e32 v10, s10
	s_xor_b64 exec, exec, s[6:7]
	s_cbranch_execnz .LBB42_2404
.LBB42_354:
	s_or_b64 exec, exec, s[6:7]
	s_and_saveexec_b64 s[6:7], s[4:5]
	s_cbranch_execz .LBB42_356
.LBB42_355:
	v_and_b32_e32 v10, 7, v17
	v_ffbh_u32_e32 v12, v10
	v_min_u32_e32 v12, 32, v12
	v_lshrrev_b16_e32 v11, 3, v17
	v_subrev_u32_e32 v14, 28, v12
	v_and_b32_e32 v11, 15, v11
	v_lshlrev_b32_e32 v14, v14, v17
	v_sub_u32_e32 v12, 29, v12
	v_and_b32_e32 v14, 7, v14
	v_cmp_eq_u16_e32 vcc, 0, v11
	v_cndmask_b32_e32 v10, v10, v14, vcc
	v_cndmask_b32_e32 v11, v11, v12, vcc
	v_lshlrev_b32_e32 v12, 24, v17
	v_mov_b32_e32 v14, 0x3b800000
	v_lshlrev_b32_e32 v10, 20, v10
	v_and_b32_e32 v12, 0x80000000, v12
	v_lshl_add_u32 v11, v11, 23, v14
	v_or3_b32 v10, v12, v11, v10
.LBB42_356:
	s_or_b64 exec, exec, s[6:7]
	s_movk_i32 s4, 0x7f
	v_cmp_gt_i16_sdwa s[6:7], v13, s4 src0_sel:BYTE_0 src1_sel:DWORD
	s_mov_b64 s[4:5], 0
                                        ; implicit-def: $sgpr10
	s_and_saveexec_b64 s[8:9], s[6:7]
	s_xor_b64 s[6:7], exec, s[8:9]
	s_cbranch_execnz .LBB42_2405
; %bb.357:
	s_or_saveexec_b64 s[6:7], s[6:7]
	v_mov_b32_e32 v11, s10
	s_xor_b64 exec, exec, s[6:7]
	s_cbranch_execnz .LBB42_2408
.LBB42_358:
	s_or_b64 exec, exec, s[6:7]
	s_and_saveexec_b64 s[6:7], s[4:5]
	s_cbranch_execz .LBB42_360
.LBB42_359:
	v_and_b32_e32 v11, 7, v13
	v_ffbh_u32_e32 v14, v11
	v_min_u32_e32 v14, 32, v14
	v_lshrrev_b16_e32 v12, 3, v13
	v_subrev_u32_e32 v15, 28, v14
	v_and_b32_e32 v12, 15, v12
	v_lshlrev_b32_e32 v15, v15, v13
	v_sub_u32_e32 v14, 29, v14
	v_and_b32_e32 v15, 7, v15
	v_cmp_eq_u16_e32 vcc, 0, v12
	v_cndmask_b32_e32 v11, v11, v15, vcc
	v_cndmask_b32_e32 v12, v12, v14, vcc
	v_lshlrev_b32_e32 v14, 24, v13
	v_mov_b32_e32 v15, 0x3b800000
	v_lshlrev_b32_e32 v11, 20, v11
	v_and_b32_e32 v14, 0x80000000, v14
	v_lshl_add_u32 v12, v12, 23, v15
	v_or3_b32 v11, v14, v12, v11
.LBB42_360:
	s_or_b64 exec, exec, s[6:7]
	s_nop 0
	v_mfma_f32_16x16x4f32 a[0:3], v10, v11, a[0:3]
	v_lshrrev_b32_e32 v11, 8, v17
	s_movk_i32 s4, 0x7f
	v_cmp_gt_i16_sdwa s[6:7], v11, s4 src0_sel:BYTE_0 src1_sel:DWORD
	s_mov_b64 s[4:5], 0
                                        ; implicit-def: $sgpr10
	s_and_saveexec_b64 s[8:9], s[6:7]
	s_xor_b64 s[6:7], exec, s[8:9]
	s_cbranch_execnz .LBB42_2409
; %bb.361:
	s_or_saveexec_b64 s[6:7], s[6:7]
	v_mov_b32_e32 v10, s10
	s_xor_b64 exec, exec, s[6:7]
	s_cbranch_execnz .LBB42_2412
.LBB42_362:
	s_or_b64 exec, exec, s[6:7]
	s_and_saveexec_b64 s[6:7], s[4:5]
	s_cbranch_execz .LBB42_364
.LBB42_363:
	v_bfe_u32 v10, v17, 8, 3
	v_ffbh_u32_e32 v14, v10
	v_min_u32_e32 v14, 32, v14
	v_lshrrev_b16_e32 v12, 3, v11
	v_subrev_u32_e32 v15, 28, v14
	v_and_b32_e32 v12, 15, v12
	v_lshlrev_b32_e32 v11, v15, v11
	v_sub_u32_e32 v14, 29, v14
	v_and_b32_e32 v11, 7, v11
	v_cmp_eq_u16_e32 vcc, 0, v12
	v_cndmask_b32_e32 v10, v10, v11, vcc
	v_cndmask_b32_e32 v11, v12, v14, vcc
	v_lshlrev_b32_e32 v12, 16, v17
	v_mov_b32_e32 v14, 0x3b800000
	v_lshlrev_b32_e32 v10, 20, v10
	v_and_b32_e32 v12, 0x80000000, v12
	v_lshl_add_u32 v11, v11, 23, v14
	v_or3_b32 v10, v12, v11, v10
.LBB42_364:
	s_or_b64 exec, exec, s[6:7]
	v_lshrrev_b32_e32 v11, 8, v13
	s_movk_i32 s4, 0x7f
	v_cmp_gt_i16_sdwa s[6:7], v11, s4 src0_sel:BYTE_0 src1_sel:DWORD
	s_mov_b64 s[4:5], 0
                                        ; implicit-def: $sgpr10
	s_and_saveexec_b64 s[8:9], s[6:7]
	s_xor_b64 s[6:7], exec, s[8:9]
	s_cbranch_execnz .LBB42_2413
; %bb.365:
	s_or_saveexec_b64 s[6:7], s[6:7]
	v_mov_b32_e32 v12, s10
	s_xor_b64 exec, exec, s[6:7]
	s_cbranch_execnz .LBB42_2416
.LBB42_366:
	s_or_b64 exec, exec, s[6:7]
	s_and_saveexec_b64 s[6:7], s[4:5]
	s_cbranch_execz .LBB42_368
.LBB42_367:
	v_bfe_u32 v12, v13, 8, 3
	v_ffbh_u32_e32 v15, v12
	v_min_u32_e32 v15, 32, v15
	v_lshrrev_b16_e32 v14, 3, v11
	v_subrev_u32_e32 v16, 28, v15
	v_and_b32_e32 v14, 15, v14
	v_lshlrev_b32_e32 v11, v16, v11
	v_sub_u32_e32 v15, 29, v15
	v_and_b32_e32 v11, 7, v11
	v_cmp_eq_u16_e32 vcc, 0, v14
	v_cndmask_b32_e32 v11, v12, v11, vcc
	v_cndmask_b32_e32 v12, v14, v15, vcc
	v_lshlrev_b32_e32 v14, 16, v13
	v_mov_b32_e32 v15, 0x3b800000
	v_lshlrev_b32_e32 v11, 20, v11
	v_and_b32_e32 v14, 0x80000000, v14
	v_lshl_add_u32 v12, v12, 23, v15
	v_or3_b32 v12, v14, v12, v11
.LBB42_368:
	s_or_b64 exec, exec, s[6:7]
	s_nop 0
	v_mfma_f32_16x16x4f32 a[0:3], v10, v12, a[0:3]
	s_movk_i32 s4, 0xff
	v_and_b32_sdwa v11, v17, s4 dst_sel:DWORD dst_unused:UNUSED_PAD src0_sel:WORD_1 src1_sel:DWORD
	s_movk_i32 s4, 0x7f
	v_cmp_lt_i16_e32 vcc, s4, v11
	s_mov_b64 s[4:5], 0
                                        ; implicit-def: $sgpr10
	s_and_saveexec_b64 s[6:7], vcc
	s_xor_b64 s[6:7], exec, s[6:7]
	s_cbranch_execnz .LBB42_2417
; %bb.369:
	s_or_saveexec_b64 s[6:7], s[6:7]
	v_mov_b32_e32 v10, s10
	s_xor_b64 exec, exec, s[6:7]
	s_cbranch_execnz .LBB42_2420
.LBB42_370:
	s_or_b64 exec, exec, s[6:7]
	s_and_saveexec_b64 s[6:7], s[4:5]
	s_cbranch_execz .LBB42_372
.LBB42_371:
	v_bfe_u32 v10, v17, 16, 3
	v_ffbh_u32_e32 v14, v10
	v_min_u32_e32 v14, 32, v14
	v_lshrrev_b32_e32 v11, 19, v17
	v_subrev_u32_e32 v15, 28, v14
	v_and_b32_e32 v11, 15, v11
	v_lshlrev_b32_sdwa v15, v15, v17 dst_sel:DWORD dst_unused:UNUSED_PAD src0_sel:DWORD src1_sel:WORD_1
	v_bfe_u32 v12, v17, 19, 4
	v_sub_u32_e32 v14, 29, v14
	v_and_b32_e32 v15, 7, v15
	v_cmp_eq_u16_e32 vcc, 0, v11
	v_cndmask_b32_e32 v10, v10, v15, vcc
	v_cndmask_b32_e32 v11, v12, v14, vcc
	v_lshlrev_b32_e32 v12, 8, v17
	v_mov_b32_e32 v14, 0x3b800000
	v_lshlrev_b32_e32 v10, 20, v10
	v_and_b32_e32 v12, 0x80000000, v12
	v_lshl_add_u32 v11, v11, 23, v14
	v_or3_b32 v10, v12, v11, v10
.LBB42_372:
	s_or_b64 exec, exec, s[6:7]
	s_movk_i32 s4, 0xff
	v_and_b32_sdwa v11, v13, s4 dst_sel:DWORD dst_unused:UNUSED_PAD src0_sel:WORD_1 src1_sel:DWORD
	s_movk_i32 s4, 0x7f
	v_cmp_lt_i16_e32 vcc, s4, v11
	s_mov_b64 s[4:5], 0
                                        ; implicit-def: $sgpr10
	s_and_saveexec_b64 s[6:7], vcc
	s_xor_b64 s[6:7], exec, s[6:7]
	s_cbranch_execnz .LBB42_2421
; %bb.373:
	s_or_saveexec_b64 s[6:7], s[6:7]
	v_mov_b32_e32 v12, s10
	s_xor_b64 exec, exec, s[6:7]
	s_cbranch_execnz .LBB42_2424
.LBB42_374:
	s_or_b64 exec, exec, s[6:7]
	s_and_saveexec_b64 s[6:7], s[4:5]
	s_cbranch_execz .LBB42_376
.LBB42_375:
	v_bfe_u32 v11, v13, 16, 3
	v_ffbh_u32_e32 v15, v11
	v_min_u32_e32 v15, 32, v15
	v_lshrrev_b32_e32 v12, 19, v13
	v_subrev_u32_e32 v16, 28, v15
	v_and_b32_e32 v12, 15, v12
	v_lshlrev_b32_sdwa v16, v16, v13 dst_sel:DWORD dst_unused:UNUSED_PAD src0_sel:DWORD src1_sel:WORD_1
	v_bfe_u32 v14, v13, 19, 4
	v_sub_u32_e32 v15, 29, v15
	v_and_b32_e32 v16, 7, v16
	v_cmp_eq_u16_e32 vcc, 0, v12
	v_cndmask_b32_e32 v11, v11, v16, vcc
	v_cndmask_b32_e32 v12, v14, v15, vcc
	v_lshlrev_b32_e32 v14, 8, v13
	v_mov_b32_e32 v15, 0x3b800000
	v_lshlrev_b32_e32 v11, 20, v11
	v_and_b32_e32 v14, 0x80000000, v14
	v_lshl_add_u32 v12, v12, 23, v15
	v_or3_b32 v12, v14, v12, v11
.LBB42_376:
	s_or_b64 exec, exec, s[6:7]
	s_nop 0
	v_mfma_f32_16x16x4f32 a[0:3], v10, v12, a[0:3]
	s_movk_i32 s4, 0x7f
	v_cmp_gt_i16_sdwa s[6:7], v17, s4 src0_sel:BYTE_3 src1_sel:DWORD
	s_mov_b64 s[4:5], 0
                                        ; implicit-def: $sgpr10
	s_and_saveexec_b64 s[8:9], s[6:7]
	s_xor_b64 s[6:7], exec, s[8:9]
	s_cbranch_execnz .LBB42_2425
; %bb.377:
	s_or_saveexec_b64 s[6:7], s[6:7]
	v_mov_b32_e32 v10, s10
	s_xor_b64 exec, exec, s[6:7]
	s_cbranch_execnz .LBB42_2428
.LBB42_378:
	s_or_b64 exec, exec, s[6:7]
	s_and_saveexec_b64 s[6:7], s[4:5]
	s_cbranch_execz .LBB42_380
.LBB42_379:
	v_bfe_u32 v10, v17, 24, 3
	v_ffbh_u32_e32 v15, v10
	v_min_u32_e32 v15, 32, v15
	v_lshrrev_b32_e32 v12, 27, v17
	v_subrev_u32_e32 v16, 28, v15
	v_and_b32_e32 v12, 15, v12
	v_lshlrev_b32_sdwa v16, v16, v17 dst_sel:DWORD dst_unused:UNUSED_PAD src0_sel:DWORD src1_sel:BYTE_3
	v_bfe_u32 v14, v17, 27, 4
	v_sub_u32_e32 v15, 29, v15
	v_and_b32_e32 v16, 7, v16
	v_cmp_eq_u16_e32 vcc, 0, v12
	v_cndmask_b32_e32 v10, v10, v16, vcc
	v_cndmask_b32_e32 v12, v14, v15, vcc
	v_mov_b32_e32 v14, 0x3b800000
	v_and_b32_e32 v11, 0x80000000, v17
	v_lshlrev_b32_e32 v10, 20, v10
	v_lshl_add_u32 v12, v12, 23, v14
	v_or3_b32 v10, v11, v12, v10
.LBB42_380:
	s_or_b64 exec, exec, s[6:7]
	s_movk_i32 s4, 0x7f
	v_cmp_gt_i16_sdwa s[6:7], v13, s4 src0_sel:BYTE_3 src1_sel:DWORD
	s_mov_b64 s[4:5], 0
                                        ; implicit-def: $sgpr10
	s_and_saveexec_b64 s[8:9], s[6:7]
	s_xor_b64 s[6:7], exec, s[8:9]
	s_cbranch_execnz .LBB42_2429
; %bb.381:
	s_or_saveexec_b64 s[6:7], s[6:7]
	v_mov_b32_e32 v11, s10
	s_xor_b64 exec, exec, s[6:7]
	s_cbranch_execnz .LBB42_2432
.LBB42_382:
	s_or_b64 exec, exec, s[6:7]
	s_and_saveexec_b64 s[6:7], s[4:5]
	s_cbranch_execz .LBB42_384
.LBB42_383:
	v_bfe_u32 v11, v13, 24, 3
	v_ffbh_u32_e32 v16, v11
	v_min_u32_e32 v16, 32, v16
	v_lshrrev_b32_e32 v14, 27, v13
	v_subrev_u32_e32 v17, 28, v16
	v_and_b32_e32 v12, 0x80000000, v13
	v_and_b32_e32 v14, 15, v14
	v_bfe_u32 v15, v13, 27, 4
	v_lshlrev_b32_sdwa v13, v17, v13 dst_sel:DWORD dst_unused:UNUSED_PAD src0_sel:DWORD src1_sel:BYTE_3
	v_sub_u32_e32 v16, 29, v16
	v_and_b32_e32 v13, 7, v13
	v_cmp_eq_u16_e32 vcc, 0, v14
	v_cndmask_b32_e32 v11, v11, v13, vcc
	v_cndmask_b32_e32 v13, v15, v16, vcc
	v_mov_b32_e32 v14, 0x3b800000
	v_lshlrev_b32_e32 v11, 20, v11
	v_lshl_add_u32 v13, v13, 23, v14
	v_or3_b32 v11, v12, v13, v11
.LBB42_384:
	s_or_b64 exec, exec, s[6:7]
	s_nop 0
	v_mfma_f32_16x16x4f32 a[0:3], v10, v11, a[0:3]
	s_movk_i32 s4, 0x7f
	v_cmp_gt_i16_sdwa s[6:7], v6, s4 src0_sel:BYTE_0 src1_sel:DWORD
	s_mov_b64 s[4:5], 0
                                        ; implicit-def: $sgpr10
	s_and_saveexec_b64 s[8:9], s[6:7]
	s_xor_b64 s[6:7], exec, s[8:9]
	s_cbranch_execnz .LBB42_2433
; %bb.385:
	s_or_saveexec_b64 s[6:7], s[6:7]
	v_mov_b32_e32 v10, s10
	s_xor_b64 exec, exec, s[6:7]
	s_cbranch_execnz .LBB42_2436
.LBB42_386:
	s_or_b64 exec, exec, s[6:7]
	s_and_saveexec_b64 s[6:7], s[4:5]
	s_cbranch_execz .LBB42_388
.LBB42_387:
	v_and_b32_e32 v10, 7, v6
	v_ffbh_u32_e32 v12, v10
	v_min_u32_e32 v12, 32, v12
	v_lshrrev_b16_e32 v11, 3, v6
	v_subrev_u32_e32 v13, 28, v12
	v_and_b32_e32 v11, 15, v11
	v_lshlrev_b32_e32 v13, v13, v6
	v_sub_u32_e32 v12, 29, v12
	v_and_b32_e32 v13, 7, v13
	v_cmp_eq_u16_e32 vcc, 0, v11
	v_cndmask_b32_e32 v10, v10, v13, vcc
	v_cndmask_b32_e32 v11, v11, v12, vcc
	v_lshlrev_b32_e32 v12, 24, v6
	v_mov_b32_e32 v13, 0x3b800000
	v_lshlrev_b32_e32 v10, 20, v10
	v_and_b32_e32 v12, 0x80000000, v12
	v_lshl_add_u32 v11, v11, 23, v13
	v_or3_b32 v10, v12, v11, v10
.LBB42_388:
	s_or_b64 exec, exec, s[6:7]
	s_movk_i32 s4, 0x7f
	v_cmp_gt_i16_sdwa s[6:7], v2, s4 src0_sel:BYTE_0 src1_sel:DWORD
	s_mov_b64 s[4:5], 0
                                        ; implicit-def: $sgpr10
	s_and_saveexec_b64 s[8:9], s[6:7]
	s_xor_b64 s[6:7], exec, s[8:9]
	s_cbranch_execnz .LBB42_2437
; %bb.389:
	s_or_saveexec_b64 s[6:7], s[6:7]
	v_mov_b32_e32 v11, s10
	s_xor_b64 exec, exec, s[6:7]
	s_cbranch_execnz .LBB42_2440
.LBB42_390:
	s_or_b64 exec, exec, s[6:7]
	s_and_saveexec_b64 s[6:7], s[4:5]
	s_cbranch_execz .LBB42_392
.LBB42_391:
	v_and_b32_e32 v11, 7, v2
	v_ffbh_u32_e32 v13, v11
	v_min_u32_e32 v13, 32, v13
	v_lshrrev_b16_e32 v12, 3, v2
	v_subrev_u32_e32 v14, 28, v13
	v_and_b32_e32 v12, 15, v12
	v_lshlrev_b32_e32 v14, v14, v2
	v_sub_u32_e32 v13, 29, v13
	v_and_b32_e32 v14, 7, v14
	v_cmp_eq_u16_e32 vcc, 0, v12
	v_cndmask_b32_e32 v11, v11, v14, vcc
	v_cndmask_b32_e32 v12, v12, v13, vcc
	v_lshlrev_b32_e32 v13, 24, v2
	v_mov_b32_e32 v14, 0x3b800000
	v_lshlrev_b32_e32 v11, 20, v11
	v_and_b32_e32 v13, 0x80000000, v13
	v_lshl_add_u32 v12, v12, 23, v14
	v_or3_b32 v11, v13, v12, v11
.LBB42_392:
	s_or_b64 exec, exec, s[6:7]
	s_nop 0
	v_mfma_f32_16x16x4f32 a[0:3], v10, v11, a[0:3]
	v_lshrrev_b32_e32 v11, 8, v6
	s_movk_i32 s4, 0x7f
	v_cmp_gt_i16_sdwa s[6:7], v11, s4 src0_sel:BYTE_0 src1_sel:DWORD
	s_mov_b64 s[4:5], 0
                                        ; implicit-def: $sgpr10
	s_and_saveexec_b64 s[8:9], s[6:7]
	s_xor_b64 s[6:7], exec, s[8:9]
	s_cbranch_execnz .LBB42_2441
; %bb.393:
	s_or_saveexec_b64 s[6:7], s[6:7]
	v_mov_b32_e32 v10, s10
	s_xor_b64 exec, exec, s[6:7]
	s_cbranch_execnz .LBB42_2444
.LBB42_394:
	s_or_b64 exec, exec, s[6:7]
	s_and_saveexec_b64 s[6:7], s[4:5]
	s_cbranch_execz .LBB42_396
.LBB42_395:
	v_bfe_u32 v10, v6, 8, 3
	v_ffbh_u32_e32 v13, v10
	v_min_u32_e32 v13, 32, v13
	v_lshrrev_b16_e32 v12, 3, v11
	v_subrev_u32_e32 v14, 28, v13
	v_and_b32_e32 v12, 15, v12
	v_lshlrev_b32_e32 v11, v14, v11
	v_sub_u32_e32 v13, 29, v13
	v_and_b32_e32 v11, 7, v11
	v_cmp_eq_u16_e32 vcc, 0, v12
	v_cndmask_b32_e32 v10, v10, v11, vcc
	v_cndmask_b32_e32 v11, v12, v13, vcc
	v_lshlrev_b32_e32 v12, 16, v6
	v_mov_b32_e32 v13, 0x3b800000
	v_lshlrev_b32_e32 v10, 20, v10
	v_and_b32_e32 v12, 0x80000000, v12
	v_lshl_add_u32 v11, v11, 23, v13
	v_or3_b32 v10, v12, v11, v10
.LBB42_396:
	s_or_b64 exec, exec, s[6:7]
	v_lshrrev_b32_e32 v11, 8, v2
	s_movk_i32 s4, 0x7f
	v_cmp_gt_i16_sdwa s[6:7], v11, s4 src0_sel:BYTE_0 src1_sel:DWORD
	s_mov_b64 s[4:5], 0
                                        ; implicit-def: $sgpr10
	s_and_saveexec_b64 s[8:9], s[6:7]
	s_xor_b64 s[6:7], exec, s[8:9]
	s_cbranch_execnz .LBB42_2445
; %bb.397:
	s_or_saveexec_b64 s[6:7], s[6:7]
	v_mov_b32_e32 v12, s10
	s_xor_b64 exec, exec, s[6:7]
	s_cbranch_execnz .LBB42_2448
.LBB42_398:
	s_or_b64 exec, exec, s[6:7]
	s_and_saveexec_b64 s[6:7], s[4:5]
	s_cbranch_execz .LBB42_400
.LBB42_399:
	v_bfe_u32 v12, v2, 8, 3
	v_ffbh_u32_e32 v14, v12
	v_min_u32_e32 v14, 32, v14
	v_lshrrev_b16_e32 v13, 3, v11
	v_subrev_u32_e32 v15, 28, v14
	v_and_b32_e32 v13, 15, v13
	v_lshlrev_b32_e32 v11, v15, v11
	v_sub_u32_e32 v14, 29, v14
	v_and_b32_e32 v11, 7, v11
	v_cmp_eq_u16_e32 vcc, 0, v13
	v_cndmask_b32_e32 v11, v12, v11, vcc
	v_cndmask_b32_e32 v12, v13, v14, vcc
	v_lshlrev_b32_e32 v13, 16, v2
	v_mov_b32_e32 v14, 0x3b800000
	v_lshlrev_b32_e32 v11, 20, v11
	v_and_b32_e32 v13, 0x80000000, v13
	v_lshl_add_u32 v12, v12, 23, v14
	v_or3_b32 v12, v13, v12, v11
.LBB42_400:
	s_or_b64 exec, exec, s[6:7]
	s_nop 0
	v_mfma_f32_16x16x4f32 a[0:3], v10, v12, a[0:3]
	s_movk_i32 s4, 0xff
	v_and_b32_sdwa v11, v6, s4 dst_sel:DWORD dst_unused:UNUSED_PAD src0_sel:WORD_1 src1_sel:DWORD
	s_movk_i32 s4, 0x7f
	v_cmp_lt_i16_e32 vcc, s4, v11
	s_mov_b64 s[4:5], 0
                                        ; implicit-def: $sgpr10
	s_and_saveexec_b64 s[6:7], vcc
	s_xor_b64 s[6:7], exec, s[6:7]
	s_cbranch_execnz .LBB42_2449
; %bb.401:
	s_or_saveexec_b64 s[6:7], s[6:7]
	v_mov_b32_e32 v10, s10
	s_xor_b64 exec, exec, s[6:7]
	s_cbranch_execnz .LBB42_2452
.LBB42_402:
	s_or_b64 exec, exec, s[6:7]
	s_and_saveexec_b64 s[6:7], s[4:5]
	s_cbranch_execz .LBB42_404
.LBB42_403:
	v_bfe_u32 v10, v6, 16, 3
	v_ffbh_u32_e32 v13, v10
	v_min_u32_e32 v13, 32, v13
	v_lshrrev_b32_e32 v11, 19, v6
	v_subrev_u32_e32 v14, 28, v13
	v_and_b32_e32 v11, 15, v11
	v_lshlrev_b32_sdwa v14, v14, v6 dst_sel:DWORD dst_unused:UNUSED_PAD src0_sel:DWORD src1_sel:WORD_1
	v_bfe_u32 v12, v6, 19, 4
	v_sub_u32_e32 v13, 29, v13
	v_and_b32_e32 v14, 7, v14
	v_cmp_eq_u16_e32 vcc, 0, v11
	v_cndmask_b32_e32 v10, v10, v14, vcc
	v_cndmask_b32_e32 v11, v12, v13, vcc
	v_lshlrev_b32_e32 v12, 8, v6
	v_mov_b32_e32 v13, 0x3b800000
	v_lshlrev_b32_e32 v10, 20, v10
	v_and_b32_e32 v12, 0x80000000, v12
	v_lshl_add_u32 v11, v11, 23, v13
	v_or3_b32 v10, v12, v11, v10
.LBB42_404:
	s_or_b64 exec, exec, s[6:7]
	s_movk_i32 s4, 0xff
	v_and_b32_sdwa v11, v2, s4 dst_sel:DWORD dst_unused:UNUSED_PAD src0_sel:WORD_1 src1_sel:DWORD
	s_movk_i32 s4, 0x7f
	v_cmp_lt_i16_e32 vcc, s4, v11
	s_mov_b64 s[4:5], 0
                                        ; implicit-def: $sgpr10
	s_and_saveexec_b64 s[6:7], vcc
	s_xor_b64 s[6:7], exec, s[6:7]
	s_cbranch_execnz .LBB42_2453
; %bb.405:
	s_or_saveexec_b64 s[6:7], s[6:7]
	v_mov_b32_e32 v12, s10
	s_xor_b64 exec, exec, s[6:7]
	s_cbranch_execnz .LBB42_2456
.LBB42_406:
	s_or_b64 exec, exec, s[6:7]
	s_and_saveexec_b64 s[6:7], s[4:5]
	s_cbranch_execz .LBB42_408
.LBB42_407:
	v_bfe_u32 v11, v2, 16, 3
	v_ffbh_u32_e32 v14, v11
	v_min_u32_e32 v14, 32, v14
	v_lshrrev_b32_e32 v12, 19, v2
	v_subrev_u32_e32 v15, 28, v14
	v_and_b32_e32 v12, 15, v12
	v_lshlrev_b32_sdwa v15, v15, v2 dst_sel:DWORD dst_unused:UNUSED_PAD src0_sel:DWORD src1_sel:WORD_1
	v_bfe_u32 v13, v2, 19, 4
	v_sub_u32_e32 v14, 29, v14
	v_and_b32_e32 v15, 7, v15
	v_cmp_eq_u16_e32 vcc, 0, v12
	v_cndmask_b32_e32 v11, v11, v15, vcc
	v_cndmask_b32_e32 v12, v13, v14, vcc
	v_lshlrev_b32_e32 v13, 8, v2
	v_mov_b32_e32 v14, 0x3b800000
	v_lshlrev_b32_e32 v11, 20, v11
	v_and_b32_e32 v13, 0x80000000, v13
	v_lshl_add_u32 v12, v12, 23, v14
	v_or3_b32 v12, v13, v12, v11
.LBB42_408:
	s_or_b64 exec, exec, s[6:7]
	s_nop 0
	v_mfma_f32_16x16x4f32 a[0:3], v10, v12, a[0:3]
	s_movk_i32 s4, 0x7f
	v_cmp_gt_i16_sdwa s[6:7], v6, s4 src0_sel:BYTE_3 src1_sel:DWORD
	s_mov_b64 s[4:5], 0
                                        ; implicit-def: $sgpr10
	s_and_saveexec_b64 s[8:9], s[6:7]
	s_xor_b64 s[6:7], exec, s[8:9]
	s_cbranch_execnz .LBB42_2457
; %bb.409:
	s_or_saveexec_b64 s[6:7], s[6:7]
	v_mov_b32_e32 v10, s10
	s_xor_b64 exec, exec, s[6:7]
	s_cbranch_execnz .LBB42_2460
.LBB42_410:
	s_or_b64 exec, exec, s[6:7]
	s_and_saveexec_b64 s[6:7], s[4:5]
	s_cbranch_execz .LBB42_412
.LBB42_411:
	v_bfe_u32 v10, v6, 24, 3
	v_ffbh_u32_e32 v14, v10
	v_min_u32_e32 v14, 32, v14
	v_lshrrev_b32_e32 v12, 27, v6
	v_subrev_u32_e32 v15, 28, v14
	v_and_b32_e32 v11, 0x80000000, v6
	v_and_b32_e32 v12, 15, v12
	v_bfe_u32 v13, v6, 27, 4
	v_lshlrev_b32_sdwa v6, v15, v6 dst_sel:DWORD dst_unused:UNUSED_PAD src0_sel:DWORD src1_sel:BYTE_3
	v_sub_u32_e32 v14, 29, v14
	v_and_b32_e32 v6, 7, v6
	v_cmp_eq_u16_e32 vcc, 0, v12
	v_cndmask_b32_e32 v6, v10, v6, vcc
	v_cndmask_b32_e32 v10, v13, v14, vcc
	v_mov_b32_e32 v12, 0x3b800000
	v_lshlrev_b32_e32 v6, 20, v6
	v_lshl_add_u32 v10, v10, 23, v12
	v_or3_b32 v10, v11, v10, v6
.LBB42_412:
	s_or_b64 exec, exec, s[6:7]
	s_movk_i32 s4, 0x7f
	v_cmp_gt_i16_sdwa s[6:7], v2, s4 src0_sel:BYTE_3 src1_sel:DWORD
	s_mov_b64 s[4:5], 0
                                        ; implicit-def: $sgpr10
	s_and_saveexec_b64 s[8:9], s[6:7]
	s_xor_b64 s[6:7], exec, s[8:9]
	s_cbranch_execnz .LBB42_2461
; %bb.413:
	s_or_saveexec_b64 s[6:7], s[6:7]
	v_mov_b32_e32 v6, s10
	s_xor_b64 exec, exec, s[6:7]
	s_cbranch_execnz .LBB42_2464
.LBB42_414:
	s_or_b64 exec, exec, s[6:7]
	s_and_saveexec_b64 s[6:7], s[4:5]
	s_cbranch_execz .LBB42_416
.LBB42_415:
	v_bfe_u32 v6, v2, 24, 3
	v_ffbh_u32_e32 v14, v6
	v_min_u32_e32 v14, 32, v14
	v_lshrrev_b32_e32 v12, 27, v2
	v_subrev_u32_e32 v15, 28, v14
	v_and_b32_e32 v11, 0x80000000, v2
	v_and_b32_e32 v12, 15, v12
	v_bfe_u32 v13, v2, 27, 4
	v_lshlrev_b32_sdwa v2, v15, v2 dst_sel:DWORD dst_unused:UNUSED_PAD src0_sel:DWORD src1_sel:BYTE_3
	v_sub_u32_e32 v14, 29, v14
	v_and_b32_e32 v2, 7, v2
	v_cmp_eq_u16_e32 vcc, 0, v12
	v_cndmask_b32_e32 v2, v6, v2, vcc
	v_cndmask_b32_e32 v6, v13, v14, vcc
	v_mov_b32_e32 v12, 0x3b800000
	v_lshlrev_b32_e32 v2, 20, v2
	v_lshl_add_u32 v6, v6, 23, v12
	v_or3_b32 v6, v11, v6, v2
.LBB42_416:
	s_or_b64 exec, exec, s[6:7]
	s_nop 0
	v_mfma_f32_16x16x4f32 a[0:3], v10, v6, a[0:3]
	s_movk_i32 s4, 0x7f
	v_cmp_gt_i16_sdwa s[6:7], v7, s4 src0_sel:BYTE_0 src1_sel:DWORD
	s_mov_b64 s[4:5], 0
                                        ; implicit-def: $sgpr10
	s_and_saveexec_b64 s[8:9], s[6:7]
	s_xor_b64 s[6:7], exec, s[8:9]
	s_cbranch_execnz .LBB42_2465
; %bb.417:
	s_or_saveexec_b64 s[6:7], s[6:7]
	v_mov_b32_e32 v2, s10
	s_xor_b64 exec, exec, s[6:7]
	s_cbranch_execnz .LBB42_2468
.LBB42_418:
	s_or_b64 exec, exec, s[6:7]
	s_and_saveexec_b64 s[6:7], s[4:5]
	s_cbranch_execz .LBB42_420
.LBB42_419:
	v_and_b32_e32 v2, 7, v7
	v_ffbh_u32_e32 v10, v2
	v_min_u32_e32 v10, 32, v10
	v_lshrrev_b16_e32 v6, 3, v7
	v_subrev_u32_e32 v11, 28, v10
	v_and_b32_e32 v6, 15, v6
	v_lshlrev_b32_e32 v11, v11, v7
	v_sub_u32_e32 v10, 29, v10
	v_and_b32_e32 v11, 7, v11
	v_cmp_eq_u16_e32 vcc, 0, v6
	v_cndmask_b32_e32 v2, v2, v11, vcc
	v_cndmask_b32_e32 v6, v6, v10, vcc
	v_lshlrev_b32_e32 v10, 24, v7
	v_mov_b32_e32 v11, 0x3b800000
	v_lshlrev_b32_e32 v2, 20, v2
	v_and_b32_e32 v10, 0x80000000, v10
	v_lshl_add_u32 v6, v6, 23, v11
	v_or3_b32 v2, v10, v6, v2
.LBB42_420:
	s_or_b64 exec, exec, s[6:7]
	s_movk_i32 s4, 0x7f
	v_cmp_gt_i16_sdwa s[6:7], v3, s4 src0_sel:BYTE_0 src1_sel:DWORD
	s_mov_b64 s[4:5], 0
                                        ; implicit-def: $sgpr10
	s_and_saveexec_b64 s[8:9], s[6:7]
	s_xor_b64 s[6:7], exec, s[8:9]
	s_cbranch_execnz .LBB42_2469
; %bb.421:
	s_or_saveexec_b64 s[6:7], s[6:7]
	v_mov_b32_e32 v6, s10
	s_xor_b64 exec, exec, s[6:7]
	s_cbranch_execnz .LBB42_2472
.LBB42_422:
	s_or_b64 exec, exec, s[6:7]
	s_and_saveexec_b64 s[6:7], s[4:5]
	s_cbranch_execz .LBB42_424
.LBB42_423:
	v_and_b32_e32 v6, 7, v3
	v_ffbh_u32_e32 v11, v6
	v_min_u32_e32 v11, 32, v11
	v_lshrrev_b16_e32 v10, 3, v3
	v_subrev_u32_e32 v12, 28, v11
	v_and_b32_e32 v10, 15, v10
	v_lshlrev_b32_e32 v12, v12, v3
	v_sub_u32_e32 v11, 29, v11
	v_and_b32_e32 v12, 7, v12
	v_cmp_eq_u16_e32 vcc, 0, v10
	v_cndmask_b32_e32 v6, v6, v12, vcc
	v_cndmask_b32_e32 v10, v10, v11, vcc
	v_lshlrev_b32_e32 v11, 24, v3
	v_mov_b32_e32 v12, 0x3b800000
	v_lshlrev_b32_e32 v6, 20, v6
	v_and_b32_e32 v11, 0x80000000, v11
	v_lshl_add_u32 v10, v10, 23, v12
	v_or3_b32 v6, v11, v10, v6
.LBB42_424:
	s_or_b64 exec, exec, s[6:7]
	s_nop 0
	v_mfma_f32_16x16x4f32 a[0:3], v2, v6, a[0:3]
	v_lshrrev_b32_e32 v6, 8, v7
	s_movk_i32 s4, 0x7f
	v_cmp_gt_i16_sdwa s[6:7], v6, s4 src0_sel:BYTE_0 src1_sel:DWORD
	s_mov_b64 s[4:5], 0
                                        ; implicit-def: $sgpr10
	s_and_saveexec_b64 s[8:9], s[6:7]
	s_xor_b64 s[6:7], exec, s[8:9]
	s_cbranch_execnz .LBB42_2473
; %bb.425:
	s_or_saveexec_b64 s[6:7], s[6:7]
	v_mov_b32_e32 v2, s10
	s_xor_b64 exec, exec, s[6:7]
	s_cbranch_execnz .LBB42_2476
.LBB42_426:
	s_or_b64 exec, exec, s[6:7]
	s_and_saveexec_b64 s[6:7], s[4:5]
	s_cbranch_execz .LBB42_428
.LBB42_427:
	v_bfe_u32 v2, v7, 8, 3
	v_ffbh_u32_e32 v11, v2
	v_min_u32_e32 v11, 32, v11
	v_lshrrev_b16_e32 v10, 3, v6
	v_subrev_u32_e32 v12, 28, v11
	v_and_b32_e32 v10, 15, v10
	v_lshlrev_b32_e32 v6, v12, v6
	v_sub_u32_e32 v11, 29, v11
	v_and_b32_e32 v6, 7, v6
	v_cmp_eq_u16_e32 vcc, 0, v10
	v_cndmask_b32_e32 v2, v2, v6, vcc
	v_cndmask_b32_e32 v6, v10, v11, vcc
	v_lshlrev_b32_e32 v10, 16, v7
	v_mov_b32_e32 v11, 0x3b800000
	v_lshlrev_b32_e32 v2, 20, v2
	v_and_b32_e32 v10, 0x80000000, v10
	v_lshl_add_u32 v6, v6, 23, v11
	v_or3_b32 v2, v10, v6, v2
.LBB42_428:
	s_or_b64 exec, exec, s[6:7]
	v_lshrrev_b32_e32 v6, 8, v3
	s_movk_i32 s4, 0x7f
	v_cmp_gt_i16_sdwa s[6:7], v6, s4 src0_sel:BYTE_0 src1_sel:DWORD
	s_mov_b64 s[4:5], 0
                                        ; implicit-def: $sgpr10
	s_and_saveexec_b64 s[8:9], s[6:7]
	s_xor_b64 s[6:7], exec, s[8:9]
	s_cbranch_execnz .LBB42_2477
; %bb.429:
	s_or_saveexec_b64 s[6:7], s[6:7]
	v_mov_b32_e32 v10, s10
	s_xor_b64 exec, exec, s[6:7]
	s_cbranch_execnz .LBB42_2480
.LBB42_430:
	s_or_b64 exec, exec, s[6:7]
	s_and_saveexec_b64 s[6:7], s[4:5]
	s_cbranch_execz .LBB42_432
.LBB42_431:
	v_bfe_u32 v10, v3, 8, 3
	v_ffbh_u32_e32 v12, v10
	v_min_u32_e32 v12, 32, v12
	v_lshrrev_b16_e32 v11, 3, v6
	v_subrev_u32_e32 v13, 28, v12
	v_and_b32_e32 v11, 15, v11
	v_lshlrev_b32_e32 v6, v13, v6
	v_sub_u32_e32 v12, 29, v12
	v_and_b32_e32 v6, 7, v6
	v_cmp_eq_u16_e32 vcc, 0, v11
	v_cndmask_b32_e32 v6, v10, v6, vcc
	v_cndmask_b32_e32 v10, v11, v12, vcc
	v_lshlrev_b32_e32 v11, 16, v3
	v_mov_b32_e32 v12, 0x3b800000
	v_lshlrev_b32_e32 v6, 20, v6
	v_and_b32_e32 v11, 0x80000000, v11
	v_lshl_add_u32 v10, v10, 23, v12
	v_or3_b32 v10, v11, v10, v6
.LBB42_432:
	s_or_b64 exec, exec, s[6:7]
	s_nop 0
	v_mfma_f32_16x16x4f32 a[0:3], v2, v10, a[0:3]
	s_movk_i32 s4, 0xff
	v_and_b32_sdwa v6, v7, s4 dst_sel:DWORD dst_unused:UNUSED_PAD src0_sel:WORD_1 src1_sel:DWORD
	s_movk_i32 s4, 0x7f
	v_cmp_lt_i16_e32 vcc, s4, v6
	s_mov_b64 s[4:5], 0
                                        ; implicit-def: $sgpr10
	s_and_saveexec_b64 s[6:7], vcc
	s_xor_b64 s[6:7], exec, s[6:7]
	s_cbranch_execnz .LBB42_2481
; %bb.433:
	s_or_saveexec_b64 s[6:7], s[6:7]
	v_mov_b32_e32 v2, s10
	s_xor_b64 exec, exec, s[6:7]
	s_cbranch_execnz .LBB42_2484
.LBB42_434:
	s_or_b64 exec, exec, s[6:7]
	s_and_saveexec_b64 s[6:7], s[4:5]
	s_cbranch_execz .LBB42_436
.LBB42_435:
	v_bfe_u32 v2, v7, 16, 3
	v_ffbh_u32_e32 v11, v2
	v_min_u32_e32 v11, 32, v11
	v_lshrrev_b32_e32 v6, 19, v7
	v_subrev_u32_e32 v12, 28, v11
	v_and_b32_e32 v6, 15, v6
	v_lshlrev_b32_sdwa v12, v12, v7 dst_sel:DWORD dst_unused:UNUSED_PAD src0_sel:DWORD src1_sel:WORD_1
	v_bfe_u32 v10, v7, 19, 4
	v_sub_u32_e32 v11, 29, v11
	v_and_b32_e32 v12, 7, v12
	v_cmp_eq_u16_e32 vcc, 0, v6
	v_cndmask_b32_e32 v2, v2, v12, vcc
	v_cndmask_b32_e32 v6, v10, v11, vcc
	v_lshlrev_b32_e32 v10, 8, v7
	v_mov_b32_e32 v11, 0x3b800000
	v_lshlrev_b32_e32 v2, 20, v2
	v_and_b32_e32 v10, 0x80000000, v10
	v_lshl_add_u32 v6, v6, 23, v11
	v_or3_b32 v2, v10, v6, v2
.LBB42_436:
	s_or_b64 exec, exec, s[6:7]
	s_movk_i32 s4, 0xff
	v_and_b32_sdwa v6, v3, s4 dst_sel:DWORD dst_unused:UNUSED_PAD src0_sel:WORD_1 src1_sel:DWORD
	s_movk_i32 s4, 0x7f
	v_cmp_lt_i16_e32 vcc, s4, v6
	s_mov_b64 s[4:5], 0
                                        ; implicit-def: $sgpr10
	s_and_saveexec_b64 s[6:7], vcc
	s_xor_b64 s[6:7], exec, s[6:7]
	s_cbranch_execnz .LBB42_2485
; %bb.437:
	s_or_saveexec_b64 s[6:7], s[6:7]
	v_mov_b32_e32 v10, s10
	s_xor_b64 exec, exec, s[6:7]
	s_cbranch_execnz .LBB42_2488
.LBB42_438:
	s_or_b64 exec, exec, s[6:7]
	s_and_saveexec_b64 s[6:7], s[4:5]
	s_cbranch_execz .LBB42_440
.LBB42_439:
	v_bfe_u32 v6, v3, 16, 3
	v_ffbh_u32_e32 v12, v6
	v_min_u32_e32 v12, 32, v12
	v_lshrrev_b32_e32 v10, 19, v3
	v_subrev_u32_e32 v13, 28, v12
	v_and_b32_e32 v10, 15, v10
	v_lshlrev_b32_sdwa v13, v13, v3 dst_sel:DWORD dst_unused:UNUSED_PAD src0_sel:DWORD src1_sel:WORD_1
	v_bfe_u32 v11, v3, 19, 4
	v_sub_u32_e32 v12, 29, v12
	v_and_b32_e32 v13, 7, v13
	v_cmp_eq_u16_e32 vcc, 0, v10
	v_cndmask_b32_e32 v6, v6, v13, vcc
	v_cndmask_b32_e32 v10, v11, v12, vcc
	v_lshlrev_b32_e32 v11, 8, v3
	v_mov_b32_e32 v12, 0x3b800000
	v_lshlrev_b32_e32 v6, 20, v6
	v_and_b32_e32 v11, 0x80000000, v11
	v_lshl_add_u32 v10, v10, 23, v12
	v_or3_b32 v10, v11, v10, v6
.LBB42_440:
	s_or_b64 exec, exec, s[6:7]
	s_nop 0
	v_mfma_f32_16x16x4f32 a[0:3], v2, v10, a[0:3]
	s_movk_i32 s4, 0x7f
	v_cmp_gt_i16_sdwa s[6:7], v7, s4 src0_sel:BYTE_3 src1_sel:DWORD
	s_mov_b64 s[4:5], 0
                                        ; implicit-def: $sgpr10
	s_and_saveexec_b64 s[8:9], s[6:7]
	s_xor_b64 s[6:7], exec, s[8:9]
	s_cbranch_execnz .LBB42_2489
; %bb.441:
	s_or_saveexec_b64 s[6:7], s[6:7]
	v_mov_b32_e32 v2, s10
	s_xor_b64 exec, exec, s[6:7]
	s_cbranch_execnz .LBB42_2492
.LBB42_442:
	s_or_b64 exec, exec, s[6:7]
	s_and_saveexec_b64 s[6:7], s[4:5]
	s_cbranch_execz .LBB42_444
.LBB42_443:
	v_bfe_u32 v2, v7, 24, 3
	v_ffbh_u32_e32 v12, v2
	v_min_u32_e32 v12, 32, v12
	v_lshrrev_b32_e32 v10, 27, v7
	v_subrev_u32_e32 v13, 28, v12
	v_and_b32_e32 v6, 0x80000000, v7
	v_and_b32_e32 v10, 15, v10
	v_bfe_u32 v11, v7, 27, 4
	v_lshlrev_b32_sdwa v7, v13, v7 dst_sel:DWORD dst_unused:UNUSED_PAD src0_sel:DWORD src1_sel:BYTE_3
	v_sub_u32_e32 v12, 29, v12
	v_and_b32_e32 v7, 7, v7
	v_cmp_eq_u16_e32 vcc, 0, v10
	v_cndmask_b32_e32 v2, v2, v7, vcc
	v_cndmask_b32_e32 v7, v11, v12, vcc
	v_mov_b32_e32 v10, 0x3b800000
	v_lshlrev_b32_e32 v2, 20, v2
	v_lshl_add_u32 v7, v7, 23, v10
	v_or3_b32 v2, v6, v7, v2
.LBB42_444:
	s_or_b64 exec, exec, s[6:7]
	s_movk_i32 s4, 0x7f
	v_cmp_gt_i16_sdwa s[6:7], v3, s4 src0_sel:BYTE_3 src1_sel:DWORD
	s_mov_b64 s[4:5], 0
                                        ; implicit-def: $sgpr10
	s_and_saveexec_b64 s[8:9], s[6:7]
	s_xor_b64 s[6:7], exec, s[8:9]
	s_cbranch_execnz .LBB42_2493
; %bb.445:
	s_or_saveexec_b64 s[6:7], s[6:7]
	v_mov_b32_e32 v6, s10
	s_xor_b64 exec, exec, s[6:7]
	s_cbranch_execnz .LBB42_2496
.LBB42_446:
	s_or_b64 exec, exec, s[6:7]
	s_and_saveexec_b64 s[6:7], s[4:5]
	s_cbranch_execz .LBB42_448
.LBB42_447:
	v_bfe_u32 v6, v3, 24, 3
	v_ffbh_u32_e32 v12, v6
	v_min_u32_e32 v12, 32, v12
	v_lshrrev_b32_e32 v10, 27, v3
	v_subrev_u32_e32 v13, 28, v12
	v_and_b32_e32 v7, 0x80000000, v3
	v_and_b32_e32 v10, 15, v10
	v_bfe_u32 v11, v3, 27, 4
	v_lshlrev_b32_sdwa v3, v13, v3 dst_sel:DWORD dst_unused:UNUSED_PAD src0_sel:DWORD src1_sel:BYTE_3
	v_sub_u32_e32 v12, 29, v12
	v_and_b32_e32 v3, 7, v3
	v_cmp_eq_u16_e32 vcc, 0, v10
	v_cndmask_b32_e32 v3, v6, v3, vcc
	v_cndmask_b32_e32 v6, v11, v12, vcc
	v_mov_b32_e32 v10, 0x3b800000
	v_lshlrev_b32_e32 v3, 20, v3
	v_lshl_add_u32 v6, v6, 23, v10
	v_or3_b32 v6, v7, v6, v3
.LBB42_448:
	s_or_b64 exec, exec, s[6:7]
	s_nop 0
	v_mfma_f32_16x16x4f32 a[0:3], v2, v6, a[0:3]
	s_movk_i32 s4, 0x7f
	v_cmp_gt_i16_sdwa s[6:7], v8, s4 src0_sel:BYTE_0 src1_sel:DWORD
	s_mov_b64 s[4:5], 0
                                        ; implicit-def: $sgpr10
	s_and_saveexec_b64 s[8:9], s[6:7]
	s_xor_b64 s[6:7], exec, s[8:9]
	s_cbranch_execnz .LBB42_2497
; %bb.449:
	s_or_saveexec_b64 s[6:7], s[6:7]
	v_mov_b32_e32 v2, s10
	s_xor_b64 exec, exec, s[6:7]
	s_cbranch_execnz .LBB42_2500
.LBB42_450:
	s_or_b64 exec, exec, s[6:7]
	s_and_saveexec_b64 s[6:7], s[4:5]
	s_cbranch_execz .LBB42_452
.LBB42_451:
	v_and_b32_e32 v2, 7, v8
	v_ffbh_u32_e32 v6, v2
	v_min_u32_e32 v6, 32, v6
	v_lshrrev_b16_e32 v3, 3, v8
	v_subrev_u32_e32 v7, 28, v6
	v_and_b32_e32 v3, 15, v3
	v_lshlrev_b32_e32 v7, v7, v8
	v_sub_u32_e32 v6, 29, v6
	v_and_b32_e32 v7, 7, v7
	v_cmp_eq_u16_e32 vcc, 0, v3
	v_cndmask_b32_e32 v2, v2, v7, vcc
	v_cndmask_b32_e32 v3, v3, v6, vcc
	v_lshlrev_b32_e32 v6, 24, v8
	v_mov_b32_e32 v7, 0x3b800000
	v_lshlrev_b32_e32 v2, 20, v2
	v_and_b32_e32 v6, 0x80000000, v6
	v_lshl_add_u32 v3, v3, 23, v7
	v_or3_b32 v2, v6, v3, v2
.LBB42_452:
	s_or_b64 exec, exec, s[6:7]
	s_movk_i32 s4, 0x7f
	v_cmp_gt_i16_sdwa s[6:7], v4, s4 src0_sel:BYTE_0 src1_sel:DWORD
	s_mov_b64 s[4:5], 0
                                        ; implicit-def: $sgpr10
	s_and_saveexec_b64 s[8:9], s[6:7]
	s_xor_b64 s[6:7], exec, s[8:9]
	s_cbranch_execnz .LBB42_2501
; %bb.453:
	s_or_saveexec_b64 s[6:7], s[6:7]
	v_mov_b32_e32 v3, s10
	s_xor_b64 exec, exec, s[6:7]
	s_cbranch_execnz .LBB42_2504
.LBB42_454:
	s_or_b64 exec, exec, s[6:7]
	s_and_saveexec_b64 s[6:7], s[4:5]
	s_cbranch_execz .LBB42_456
.LBB42_455:
	v_and_b32_e32 v3, 7, v4
	v_ffbh_u32_e32 v7, v3
	v_min_u32_e32 v7, 32, v7
	v_lshrrev_b16_e32 v6, 3, v4
	v_subrev_u32_e32 v10, 28, v7
	v_and_b32_e32 v6, 15, v6
	v_lshlrev_b32_e32 v10, v10, v4
	v_sub_u32_e32 v7, 29, v7
	v_and_b32_e32 v10, 7, v10
	v_cmp_eq_u16_e32 vcc, 0, v6
	v_cndmask_b32_e32 v3, v3, v10, vcc
	v_cndmask_b32_e32 v6, v6, v7, vcc
	v_lshlrev_b32_e32 v7, 24, v4
	v_mov_b32_e32 v10, 0x3b800000
	v_lshlrev_b32_e32 v3, 20, v3
	v_and_b32_e32 v7, 0x80000000, v7
	v_lshl_add_u32 v6, v6, 23, v10
	v_or3_b32 v3, v7, v6, v3
.LBB42_456:
	s_or_b64 exec, exec, s[6:7]
	s_nop 0
	v_mfma_f32_16x16x4f32 a[0:3], v2, v3, a[0:3]
	v_lshrrev_b32_e32 v3, 8, v8
	s_movk_i32 s4, 0x7f
	v_cmp_gt_i16_sdwa s[6:7], v3, s4 src0_sel:BYTE_0 src1_sel:DWORD
	s_mov_b64 s[4:5], 0
                                        ; implicit-def: $sgpr10
	s_and_saveexec_b64 s[8:9], s[6:7]
	s_xor_b64 s[6:7], exec, s[8:9]
	s_cbranch_execnz .LBB42_2505
; %bb.457:
	s_or_saveexec_b64 s[6:7], s[6:7]
	v_mov_b32_e32 v2, s10
	s_xor_b64 exec, exec, s[6:7]
	s_cbranch_execnz .LBB42_2508
.LBB42_458:
	s_or_b64 exec, exec, s[6:7]
	s_and_saveexec_b64 s[6:7], s[4:5]
	s_cbranch_execz .LBB42_460
.LBB42_459:
	v_bfe_u32 v2, v8, 8, 3
	v_ffbh_u32_e32 v7, v2
	v_min_u32_e32 v7, 32, v7
	v_lshrrev_b16_e32 v6, 3, v3
	v_subrev_u32_e32 v10, 28, v7
	v_and_b32_e32 v6, 15, v6
	v_lshlrev_b32_e32 v3, v10, v3
	v_sub_u32_e32 v7, 29, v7
	v_and_b32_e32 v3, 7, v3
	v_cmp_eq_u16_e32 vcc, 0, v6
	v_cndmask_b32_e32 v2, v2, v3, vcc
	v_cndmask_b32_e32 v3, v6, v7, vcc
	v_lshlrev_b32_e32 v6, 16, v8
	v_mov_b32_e32 v7, 0x3b800000
	v_lshlrev_b32_e32 v2, 20, v2
	v_and_b32_e32 v6, 0x80000000, v6
	v_lshl_add_u32 v3, v3, 23, v7
	v_or3_b32 v2, v6, v3, v2
.LBB42_460:
	s_or_b64 exec, exec, s[6:7]
	v_lshrrev_b32_e32 v3, 8, v4
	s_movk_i32 s4, 0x7f
	v_cmp_gt_i16_sdwa s[6:7], v3, s4 src0_sel:BYTE_0 src1_sel:DWORD
	s_mov_b64 s[4:5], 0
                                        ; implicit-def: $sgpr10
	s_and_saveexec_b64 s[8:9], s[6:7]
	s_xor_b64 s[6:7], exec, s[8:9]
	s_cbranch_execnz .LBB42_2509
; %bb.461:
	s_or_saveexec_b64 s[6:7], s[6:7]
	v_mov_b32_e32 v6, s10
	s_xor_b64 exec, exec, s[6:7]
	s_cbranch_execnz .LBB42_2512
.LBB42_462:
	s_or_b64 exec, exec, s[6:7]
	s_and_saveexec_b64 s[6:7], s[4:5]
	s_cbranch_execz .LBB42_464
.LBB42_463:
	v_bfe_u32 v6, v4, 8, 3
	v_ffbh_u32_e32 v10, v6
	v_min_u32_e32 v10, 32, v10
	v_lshrrev_b16_e32 v7, 3, v3
	v_subrev_u32_e32 v11, 28, v10
	v_and_b32_e32 v7, 15, v7
	v_lshlrev_b32_e32 v3, v11, v3
	v_sub_u32_e32 v10, 29, v10
	v_and_b32_e32 v3, 7, v3
	v_cmp_eq_u16_e32 vcc, 0, v7
	v_cndmask_b32_e32 v3, v6, v3, vcc
	v_cndmask_b32_e32 v6, v7, v10, vcc
	v_lshlrev_b32_e32 v7, 16, v4
	v_mov_b32_e32 v10, 0x3b800000
	v_lshlrev_b32_e32 v3, 20, v3
	v_and_b32_e32 v7, 0x80000000, v7
	v_lshl_add_u32 v6, v6, 23, v10
	v_or3_b32 v6, v7, v6, v3
.LBB42_464:
	s_or_b64 exec, exec, s[6:7]
	s_nop 0
	v_mfma_f32_16x16x4f32 a[0:3], v2, v6, a[0:3]
	s_movk_i32 s4, 0xff
	v_and_b32_sdwa v3, v8, s4 dst_sel:DWORD dst_unused:UNUSED_PAD src0_sel:WORD_1 src1_sel:DWORD
	s_movk_i32 s4, 0x7f
	v_cmp_lt_i16_e32 vcc, s4, v3
	s_mov_b64 s[4:5], 0
                                        ; implicit-def: $sgpr10
	s_and_saveexec_b64 s[6:7], vcc
	s_xor_b64 s[6:7], exec, s[6:7]
	s_cbranch_execnz .LBB42_2513
; %bb.465:
	s_or_saveexec_b64 s[6:7], s[6:7]
	v_mov_b32_e32 v2, s10
	s_xor_b64 exec, exec, s[6:7]
	s_cbranch_execnz .LBB42_2516
.LBB42_466:
	s_or_b64 exec, exec, s[6:7]
	s_and_saveexec_b64 s[6:7], s[4:5]
	s_cbranch_execz .LBB42_468
.LBB42_467:
	v_bfe_u32 v2, v8, 16, 3
	v_ffbh_u32_e32 v7, v2
	v_min_u32_e32 v7, 32, v7
	v_lshrrev_b32_e32 v3, 19, v8
	v_subrev_u32_e32 v10, 28, v7
	v_and_b32_e32 v3, 15, v3
	v_lshlrev_b32_sdwa v10, v10, v8 dst_sel:DWORD dst_unused:UNUSED_PAD src0_sel:DWORD src1_sel:WORD_1
	v_bfe_u32 v6, v8, 19, 4
	v_sub_u32_e32 v7, 29, v7
	v_and_b32_e32 v10, 7, v10
	v_cmp_eq_u16_e32 vcc, 0, v3
	v_cndmask_b32_e32 v2, v2, v10, vcc
	v_cndmask_b32_e32 v3, v6, v7, vcc
	v_lshlrev_b32_e32 v6, 8, v8
	v_mov_b32_e32 v7, 0x3b800000
	v_lshlrev_b32_e32 v2, 20, v2
	v_and_b32_e32 v6, 0x80000000, v6
	v_lshl_add_u32 v3, v3, 23, v7
	v_or3_b32 v2, v6, v3, v2
.LBB42_468:
	s_or_b64 exec, exec, s[6:7]
	s_movk_i32 s4, 0xff
	v_and_b32_sdwa v3, v4, s4 dst_sel:DWORD dst_unused:UNUSED_PAD src0_sel:WORD_1 src1_sel:DWORD
	s_movk_i32 s4, 0x7f
	v_cmp_lt_i16_e32 vcc, s4, v3
	s_mov_b64 s[4:5], 0
                                        ; implicit-def: $sgpr10
	s_and_saveexec_b64 s[6:7], vcc
	s_xor_b64 s[6:7], exec, s[6:7]
	s_cbranch_execnz .LBB42_2517
; %bb.469:
	s_or_saveexec_b64 s[6:7], s[6:7]
	v_mov_b32_e32 v6, s10
	s_xor_b64 exec, exec, s[6:7]
	s_cbranch_execnz .LBB42_2520
.LBB42_470:
	s_or_b64 exec, exec, s[6:7]
	s_and_saveexec_b64 s[6:7], s[4:5]
	s_cbranch_execz .LBB42_472
.LBB42_471:
	v_bfe_u32 v3, v4, 16, 3
	v_ffbh_u32_e32 v10, v3
	v_min_u32_e32 v10, 32, v10
	v_lshrrev_b32_e32 v6, 19, v4
	v_subrev_u32_e32 v11, 28, v10
	v_and_b32_e32 v6, 15, v6
	v_lshlrev_b32_sdwa v11, v11, v4 dst_sel:DWORD dst_unused:UNUSED_PAD src0_sel:DWORD src1_sel:WORD_1
	v_bfe_u32 v7, v4, 19, 4
	v_sub_u32_e32 v10, 29, v10
	v_and_b32_e32 v11, 7, v11
	v_cmp_eq_u16_e32 vcc, 0, v6
	v_cndmask_b32_e32 v3, v3, v11, vcc
	v_cndmask_b32_e32 v6, v7, v10, vcc
	v_lshlrev_b32_e32 v7, 8, v4
	v_mov_b32_e32 v10, 0x3b800000
	v_lshlrev_b32_e32 v3, 20, v3
	v_and_b32_e32 v7, 0x80000000, v7
	v_lshl_add_u32 v6, v6, 23, v10
	v_or3_b32 v6, v7, v6, v3
.LBB42_472:
	s_or_b64 exec, exec, s[6:7]
	s_nop 0
	v_mfma_f32_16x16x4f32 a[0:3], v2, v6, a[0:3]
	s_movk_i32 s4, 0x7f
	v_cmp_gt_i16_sdwa s[6:7], v8, s4 src0_sel:BYTE_3 src1_sel:DWORD
	s_mov_b64 s[4:5], 0
                                        ; implicit-def: $sgpr10
	s_and_saveexec_b64 s[8:9], s[6:7]
	s_xor_b64 s[6:7], exec, s[8:9]
	s_cbranch_execnz .LBB42_2521
; %bb.473:
	s_or_saveexec_b64 s[6:7], s[6:7]
	v_mov_b32_e32 v2, s10
	s_xor_b64 exec, exec, s[6:7]
	s_cbranch_execnz .LBB42_2524
.LBB42_474:
	s_or_b64 exec, exec, s[6:7]
	s_and_saveexec_b64 s[6:7], s[4:5]
	s_cbranch_execz .LBB42_476
.LBB42_475:
	v_bfe_u32 v2, v8, 24, 3
	v_ffbh_u32_e32 v10, v2
	v_min_u32_e32 v10, 32, v10
	v_lshrrev_b32_e32 v6, 27, v8
	v_subrev_u32_e32 v11, 28, v10
	v_and_b32_e32 v3, 0x80000000, v8
	v_and_b32_e32 v6, 15, v6
	v_bfe_u32 v7, v8, 27, 4
	v_lshlrev_b32_sdwa v8, v11, v8 dst_sel:DWORD dst_unused:UNUSED_PAD src0_sel:DWORD src1_sel:BYTE_3
	v_sub_u32_e32 v10, 29, v10
	v_and_b32_e32 v8, 7, v8
	v_cmp_eq_u16_e32 vcc, 0, v6
	v_cndmask_b32_e32 v2, v2, v8, vcc
	v_cndmask_b32_e32 v6, v7, v10, vcc
	v_mov_b32_e32 v7, 0x3b800000
	v_lshlrev_b32_e32 v2, 20, v2
	v_lshl_add_u32 v6, v6, 23, v7
	v_or3_b32 v2, v3, v6, v2
.LBB42_476:
	s_or_b64 exec, exec, s[6:7]
	s_movk_i32 s4, 0x7f
	v_cmp_gt_i16_sdwa s[6:7], v4, s4 src0_sel:BYTE_3 src1_sel:DWORD
	s_mov_b64 s[4:5], 0
                                        ; implicit-def: $sgpr10
	s_and_saveexec_b64 s[8:9], s[6:7]
	s_xor_b64 s[6:7], exec, s[8:9]
	s_cbranch_execnz .LBB42_2525
; %bb.477:
	s_or_saveexec_b64 s[6:7], s[6:7]
	v_mov_b32_e32 v3, s10
	s_xor_b64 exec, exec, s[6:7]
	s_cbranch_execnz .LBB42_2528
.LBB42_478:
	s_or_b64 exec, exec, s[6:7]
	s_and_saveexec_b64 s[6:7], s[4:5]
	s_cbranch_execz .LBB42_480
.LBB42_479:
	v_bfe_u32 v3, v4, 24, 3
	v_ffbh_u32_e32 v10, v3
	v_min_u32_e32 v10, 32, v10
	v_lshrrev_b32_e32 v7, 27, v4
	v_subrev_u32_e32 v11, 28, v10
	v_and_b32_e32 v6, 0x80000000, v4
	v_and_b32_e32 v7, 15, v7
	v_bfe_u32 v8, v4, 27, 4
	v_lshlrev_b32_sdwa v4, v11, v4 dst_sel:DWORD dst_unused:UNUSED_PAD src0_sel:DWORD src1_sel:BYTE_3
	v_sub_u32_e32 v10, 29, v10
	v_and_b32_e32 v4, 7, v4
	v_cmp_eq_u16_e32 vcc, 0, v7
	v_cndmask_b32_e32 v3, v3, v4, vcc
	v_cndmask_b32_e32 v4, v8, v10, vcc
	v_mov_b32_e32 v7, 0x3b800000
	v_lshlrev_b32_e32 v3, 20, v3
	v_lshl_add_u32 v4, v4, 23, v7
	v_or3_b32 v3, v6, v4, v3
.LBB42_480:
	s_or_b64 exec, exec, s[6:7]
	s_nop 0
	v_mfma_f32_16x16x4f32 a[0:3], v2, v3, a[0:3]
	s_movk_i32 s4, 0x7f
	v_cmp_gt_i16_sdwa s[6:7], v9, s4 src0_sel:BYTE_0 src1_sel:DWORD
	s_mov_b64 s[4:5], 0
                                        ; implicit-def: $sgpr10
	s_and_saveexec_b64 s[8:9], s[6:7]
	s_xor_b64 s[6:7], exec, s[8:9]
	s_cbranch_execnz .LBB42_2529
; %bb.481:
	s_or_saveexec_b64 s[6:7], s[6:7]
	v_mov_b32_e32 v2, s10
	s_xor_b64 exec, exec, s[6:7]
	s_cbranch_execnz .LBB42_2532
.LBB42_482:
	s_or_b64 exec, exec, s[6:7]
	s_and_saveexec_b64 s[6:7], s[4:5]
	s_cbranch_execz .LBB42_484
.LBB42_483:
	v_mov_b32_e32 v2, 8
	v_and_b32_e32 v3, 7, v9
	v_lshrrev_b32_sdwa v2, v2, v9 dst_sel:BYTE_1 dst_unused:UNUSED_PAD src0_sel:DWORD src1_sel:DWORD
	v_ffbh_u32_e32 v4, v3
	v_or_b32_sdwa v2, v9, v2 dst_sel:DWORD dst_unused:UNUSED_PAD src0_sel:BYTE_0 src1_sel:DWORD
	v_min_u32_e32 v4, 32, v4
	v_lshrrev_b16_e32 v2, 3, v2
	v_subrev_u32_e32 v6, 28, v4
	v_and_b32_e32 v2, 15, v2
	v_lshlrev_b32_e32 v6, v6, v9
	v_sub_u32_e32 v4, 29, v4
	v_and_b32_e32 v6, 7, v6
	v_cmp_eq_u16_e32 vcc, 0, v2
	v_cndmask_b32_e32 v3, v3, v6, vcc
	v_cndmask_b32_e32 v2, v2, v4, vcc
	v_lshlrev_b32_e32 v4, 24, v9
	v_mov_b32_e32 v6, 0x3b800000
	v_lshlrev_b32_e32 v3, 20, v3
	v_and_b32_e32 v4, 0x80000000, v4
	v_lshl_add_u32 v2, v2, 23, v6
	v_or3_b32 v2, v4, v2, v3
.LBB42_484:
	s_or_b64 exec, exec, s[6:7]
	s_movk_i32 s4, 0x7f
	v_cmp_gt_i16_sdwa s[6:7], v5, s4 src0_sel:BYTE_0 src1_sel:DWORD
	s_mov_b64 s[4:5], 0
                                        ; implicit-def: $sgpr10
	s_and_saveexec_b64 s[8:9], s[6:7]
	s_xor_b64 s[6:7], exec, s[8:9]
	s_cbranch_execnz .LBB42_2533
; %bb.485:
	s_or_saveexec_b64 s[6:7], s[6:7]
	v_mov_b32_e32 v3, s10
	s_xor_b64 exec, exec, s[6:7]
	s_cbranch_execnz .LBB42_2536
.LBB42_486:
	s_or_b64 exec, exec, s[6:7]
	s_and_saveexec_b64 s[6:7], s[4:5]
	s_cbranch_execz .LBB42_488
.LBB42_487:
	v_mov_b32_e32 v3, 8
	v_and_b32_e32 v4, 7, v5
	v_lshrrev_b32_sdwa v3, v3, v5 dst_sel:BYTE_1 dst_unused:UNUSED_PAD src0_sel:DWORD src1_sel:DWORD
	v_ffbh_u32_e32 v6, v4
	v_or_b32_sdwa v3, v5, v3 dst_sel:DWORD dst_unused:UNUSED_PAD src0_sel:BYTE_0 src1_sel:DWORD
	v_min_u32_e32 v6, 32, v6
	v_lshrrev_b16_e32 v3, 3, v3
	v_subrev_u32_e32 v7, 28, v6
	v_and_b32_e32 v3, 15, v3
	v_lshlrev_b32_e32 v7, v7, v5
	v_sub_u32_e32 v6, 29, v6
	v_and_b32_e32 v7, 7, v7
	v_cmp_eq_u16_e32 vcc, 0, v3
	v_cndmask_b32_e32 v4, v4, v7, vcc
	v_cndmask_b32_e32 v3, v3, v6, vcc
	v_lshlrev_b32_e32 v6, 24, v5
	v_mov_b32_e32 v7, 0x3b800000
	v_lshlrev_b32_e32 v4, 20, v4
	v_and_b32_e32 v6, 0x80000000, v6
	v_lshl_add_u32 v3, v3, 23, v7
	v_or3_b32 v3, v6, v3, v4
.LBB42_488:
	s_or_b64 exec, exec, s[6:7]
	s_nop 0
	v_mfma_f32_16x16x4f32 a[0:3], v2, v3, a[0:3]
	v_lshrrev_b32_e32 v3, 8, v9
	s_movk_i32 s4, 0x7f
	v_cmp_gt_i16_sdwa s[6:7], v3, s4 src0_sel:BYTE_0 src1_sel:DWORD
	s_mov_b64 s[4:5], 0
                                        ; implicit-def: $sgpr10
	s_and_saveexec_b64 s[8:9], s[6:7]
	s_xor_b64 s[6:7], exec, s[8:9]
	s_cbranch_execnz .LBB42_2537
; %bb.489:
	s_or_saveexec_b64 s[6:7], s[6:7]
	v_mov_b32_e32 v2, s10
	s_xor_b64 exec, exec, s[6:7]
	s_cbranch_execnz .LBB42_2540
.LBB42_490:
	s_or_b64 exec, exec, s[6:7]
	s_and_saveexec_b64 s[6:7], s[4:5]
	s_cbranch_execz .LBB42_492
.LBB42_491:
	v_bfe_u32 v2, v9, 8, 3
	v_ffbh_u32_e32 v6, v2
	v_min_u32_e32 v6, 32, v6
	v_lshrrev_b16_e32 v4, 3, v3
	v_subrev_u32_e32 v7, 28, v6
	v_and_b32_e32 v4, 15, v4
	v_lshlrev_b32_e32 v3, v7, v3
	v_sub_u32_e32 v6, 29, v6
	v_and_b32_e32 v3, 7, v3
	v_cmp_eq_u16_e32 vcc, 0, v4
	v_cndmask_b32_e32 v2, v2, v3, vcc
	v_cndmask_b32_e32 v3, v4, v6, vcc
	v_lshlrev_b32_e32 v4, 16, v9
	v_mov_b32_e32 v6, 0x3b800000
	v_lshlrev_b32_e32 v2, 20, v2
	v_and_b32_e32 v4, 0x80000000, v4
	v_lshl_add_u32 v3, v3, 23, v6
	v_or3_b32 v2, v4, v3, v2
.LBB42_492:
	s_or_b64 exec, exec, s[6:7]
	v_lshrrev_b32_e32 v3, 8, v5
	s_movk_i32 s4, 0x7f
	v_cmp_gt_i16_sdwa s[6:7], v3, s4 src0_sel:BYTE_0 src1_sel:DWORD
	s_mov_b64 s[4:5], 0
                                        ; implicit-def: $sgpr10
	s_and_saveexec_b64 s[8:9], s[6:7]
	s_xor_b64 s[6:7], exec, s[8:9]
	s_cbranch_execnz .LBB42_2541
; %bb.493:
	s_or_saveexec_b64 s[6:7], s[6:7]
	v_mov_b32_e32 v4, s10
	s_xor_b64 exec, exec, s[6:7]
	s_cbranch_execnz .LBB42_2544
.LBB42_494:
	s_or_b64 exec, exec, s[6:7]
	s_and_saveexec_b64 s[6:7], s[4:5]
	s_cbranch_execz .LBB42_496
.LBB42_495:
	v_bfe_u32 v4, v5, 8, 3
	v_ffbh_u32_e32 v7, v4
	v_min_u32_e32 v7, 32, v7
	v_lshrrev_b16_e32 v6, 3, v3
	v_subrev_u32_e32 v8, 28, v7
	v_and_b32_e32 v6, 15, v6
	v_lshlrev_b32_e32 v3, v8, v3
	v_sub_u32_e32 v7, 29, v7
	v_and_b32_e32 v3, 7, v3
	v_cmp_eq_u16_e32 vcc, 0, v6
	v_cndmask_b32_e32 v3, v4, v3, vcc
	v_cndmask_b32_e32 v4, v6, v7, vcc
	v_lshlrev_b32_e32 v6, 16, v5
	v_mov_b32_e32 v7, 0x3b800000
	v_lshlrev_b32_e32 v3, 20, v3
	v_and_b32_e32 v6, 0x80000000, v6
	v_lshl_add_u32 v4, v4, 23, v7
	v_or3_b32 v4, v6, v4, v3
.LBB42_496:
	s_or_b64 exec, exec, s[6:7]
	s_nop 0
	v_mfma_f32_16x16x4f32 a[0:3], v2, v4, a[0:3]
	s_movk_i32 s4, 0xff
	v_and_b32_sdwa v3, v9, s4 dst_sel:DWORD dst_unused:UNUSED_PAD src0_sel:WORD_1 src1_sel:DWORD
	s_movk_i32 s4, 0x7f
	v_cmp_lt_i16_e32 vcc, s4, v3
	s_mov_b64 s[4:5], 0
                                        ; implicit-def: $sgpr10
	s_and_saveexec_b64 s[6:7], vcc
	s_xor_b64 s[6:7], exec, s[6:7]
	s_cbranch_execnz .LBB42_2545
; %bb.497:
	s_or_saveexec_b64 s[6:7], s[6:7]
	v_mov_b32_e32 v2, s10
	s_xor_b64 exec, exec, s[6:7]
	s_cbranch_execnz .LBB42_2548
.LBB42_498:
	s_or_b64 exec, exec, s[6:7]
	s_and_saveexec_b64 s[6:7], s[4:5]
	s_cbranch_execz .LBB42_500
.LBB42_499:
	v_bfe_u32 v2, v9, 16, 3
	v_ffbh_u32_e32 v6, v2
	v_min_u32_e32 v6, 32, v6
	v_lshrrev_b32_e32 v3, 19, v9
	v_subrev_u32_e32 v7, 28, v6
	v_and_b32_e32 v3, 15, v3
	v_lshlrev_b32_sdwa v7, v7, v9 dst_sel:DWORD dst_unused:UNUSED_PAD src0_sel:DWORD src1_sel:WORD_1
	v_bfe_u32 v4, v9, 19, 4
	v_sub_u32_e32 v6, 29, v6
	v_and_b32_e32 v7, 7, v7
	v_cmp_eq_u16_e32 vcc, 0, v3
	v_cndmask_b32_e32 v2, v2, v7, vcc
	v_cndmask_b32_e32 v3, v4, v6, vcc
	v_lshlrev_b32_e32 v4, 8, v9
	v_mov_b32_e32 v6, 0x3b800000
	v_lshlrev_b32_e32 v2, 20, v2
	v_and_b32_e32 v4, 0x80000000, v4
	v_lshl_add_u32 v3, v3, 23, v6
	v_or3_b32 v2, v4, v3, v2
.LBB42_500:
	s_or_b64 exec, exec, s[6:7]
	s_movk_i32 s4, 0xff
	v_and_b32_sdwa v3, v5, s4 dst_sel:DWORD dst_unused:UNUSED_PAD src0_sel:WORD_1 src1_sel:DWORD
	s_movk_i32 s4, 0x7f
	v_cmp_lt_i16_e32 vcc, s4, v3
	s_mov_b64 s[4:5], 0
                                        ; implicit-def: $sgpr10
	s_and_saveexec_b64 s[6:7], vcc
	s_xor_b64 s[6:7], exec, s[6:7]
	s_cbranch_execnz .LBB42_2549
; %bb.501:
	s_or_saveexec_b64 s[6:7], s[6:7]
	v_mov_b32_e32 v4, s10
	s_xor_b64 exec, exec, s[6:7]
	s_cbranch_execnz .LBB42_2552
.LBB42_502:
	s_or_b64 exec, exec, s[6:7]
	s_and_saveexec_b64 s[6:7], s[4:5]
	s_cbranch_execz .LBB42_504
.LBB42_503:
	v_bfe_u32 v3, v5, 16, 3
	v_ffbh_u32_e32 v7, v3
	v_min_u32_e32 v7, 32, v7
	v_lshrrev_b32_e32 v4, 19, v5
	v_subrev_u32_e32 v8, 28, v7
	v_and_b32_e32 v4, 15, v4
	v_lshlrev_b32_sdwa v8, v8, v5 dst_sel:DWORD dst_unused:UNUSED_PAD src0_sel:DWORD src1_sel:WORD_1
	v_bfe_u32 v6, v5, 19, 4
	v_sub_u32_e32 v7, 29, v7
	v_and_b32_e32 v8, 7, v8
	v_cmp_eq_u16_e32 vcc, 0, v4
	v_cndmask_b32_e32 v3, v3, v8, vcc
	v_cndmask_b32_e32 v4, v6, v7, vcc
	v_lshlrev_b32_e32 v6, 8, v5
	v_mov_b32_e32 v7, 0x3b800000
	v_lshlrev_b32_e32 v3, 20, v3
	v_and_b32_e32 v6, 0x80000000, v6
	v_lshl_add_u32 v4, v4, 23, v7
	v_or3_b32 v4, v6, v4, v3
.LBB42_504:
	s_or_b64 exec, exec, s[6:7]
	s_nop 0
	v_mfma_f32_16x16x4f32 a[0:3], v2, v4, a[0:3]
	s_movk_i32 s4, 0x7f
	v_cmp_gt_i16_sdwa s[6:7], v9, s4 src0_sel:BYTE_3 src1_sel:DWORD
	s_mov_b64 s[4:5], 0
                                        ; implicit-def: $sgpr10
	s_and_saveexec_b64 s[8:9], s[6:7]
	s_xor_b64 s[6:7], exec, s[8:9]
	s_cbranch_execnz .LBB42_2553
; %bb.505:
	s_or_saveexec_b64 s[6:7], s[6:7]
	v_mov_b32_e32 v2, s10
	s_xor_b64 exec, exec, s[6:7]
	s_cbranch_execnz .LBB42_2556
.LBB42_506:
	s_or_b64 exec, exec, s[6:7]
	s_and_saveexec_b64 s[6:7], s[4:5]
	s_cbranch_execz .LBB42_508
.LBB42_507:
	v_bfe_u32 v2, v9, 24, 3
	v_ffbh_u32_e32 v7, v2
	v_min_u32_e32 v7, 32, v7
	v_lshrrev_b32_e32 v4, 27, v9
	v_subrev_u32_e32 v8, 28, v7
	v_and_b32_e32 v4, 15, v4
	v_lshlrev_b32_sdwa v8, v8, v9 dst_sel:DWORD dst_unused:UNUSED_PAD src0_sel:DWORD src1_sel:BYTE_3
	v_bfe_u32 v6, v9, 27, 4
	v_sub_u32_e32 v7, 29, v7
	v_and_b32_e32 v8, 7, v8
	v_cmp_eq_u16_e32 vcc, 0, v4
	v_cndmask_b32_e32 v2, v2, v8, vcc
	v_cndmask_b32_e32 v4, v6, v7, vcc
	v_mov_b32_e32 v6, 0x3b800000
	v_and_b32_e32 v3, 0x80000000, v9
	v_lshlrev_b32_e32 v2, 20, v2
	v_lshl_add_u32 v4, v4, 23, v6
	v_or3_b32 v2, v3, v4, v2
.LBB42_508:
	s_or_b64 exec, exec, s[6:7]
	s_movk_i32 s4, 0x7f
	v_cmp_gt_i16_sdwa s[6:7], v5, s4 src0_sel:BYTE_3 src1_sel:DWORD
	s_mov_b64 s[4:5], 0
                                        ; implicit-def: $sgpr10
	s_and_saveexec_b64 s[8:9], s[6:7]
	s_xor_b64 s[6:7], exec, s[8:9]
	s_cbranch_execnz .LBB42_2557
; %bb.509:
	s_or_saveexec_b64 s[6:7], s[6:7]
	v_mov_b32_e32 v3, s10
	s_xor_b64 exec, exec, s[6:7]
	s_cbranch_execnz .LBB42_2560
.LBB42_510:
	s_or_b64 exec, exec, s[6:7]
	s_and_saveexec_b64 s[6:7], s[4:5]
	s_cbranch_execz .LBB42_512
.LBB42_511:
	v_bfe_u32 v3, v5, 24, 3
	v_ffbh_u32_e32 v8, v3
	v_min_u32_e32 v8, 32, v8
	v_lshrrev_b32_e32 v6, 27, v5
	v_subrev_u32_e32 v9, 28, v8
	v_and_b32_e32 v4, 0x80000000, v5
	v_and_b32_e32 v6, 15, v6
	v_bfe_u32 v7, v5, 27, 4
	v_lshlrev_b32_sdwa v5, v9, v5 dst_sel:DWORD dst_unused:UNUSED_PAD src0_sel:DWORD src1_sel:BYTE_3
	v_sub_u32_e32 v8, 29, v8
	v_and_b32_e32 v5, 7, v5
	v_cmp_eq_u16_e32 vcc, 0, v6
	v_cndmask_b32_e32 v3, v3, v5, vcc
	v_cndmask_b32_e32 v5, v7, v8, vcc
	v_mov_b32_e32 v6, 0x3b800000
	v_lshlrev_b32_e32 v3, 20, v3
	v_lshl_add_u32 v5, v5, 23, v6
	v_or3_b32 v3, v4, v5, v3
.LBB42_512:
	s_or_b64 exec, exec, s[6:7]
	s_nop 0
	v_mfma_f32_16x16x4f32 a[0:3], v2, v3, a[0:3]
	s_movk_i32 s4, 0x7f
                                        ; implicit-def: $sgpr10
	s_nop 7
	s_nop 1
	flat_store_dwordx4 v[18:19], a[0:3] offset:784
	flat_load_dwordx4 v[20:23], v[0:1] offset:16
	s_nop 0
	flat_load_dwordx2 v[18:19], v[0:1] offset:32
	s_waitcnt vmcnt(0) lgkmcnt(0)
	flat_load_dwordx4 v[14:17], v[20:21]
	flat_load_dwordx4 v[6:9], v[20:21] offset:16
	flat_load_dwordx4 v[10:13], v[22:23] offset:320
	;; [unrolled: 1-line block ×3, first 2 shown]
	s_waitcnt vmcnt(0) lgkmcnt(0)
	v_cmp_gt_i16_sdwa s[6:7], v14, s4 src0_sel:BYTE_0 src1_sel:DWORD
	s_mov_b64 s[4:5], 0
	s_and_saveexec_b64 s[8:9], s[6:7]
	s_xor_b64 s[6:7], exec, s[8:9]
	s_cbranch_execnz .LBB42_2561
; %bb.513:
	s_or_saveexec_b64 s[6:7], s[6:7]
	v_mov_b32_e32 v20, s10
	s_xor_b64 exec, exec, s[6:7]
	s_cbranch_execnz .LBB42_2564
.LBB42_514:
	s_or_b64 exec, exec, s[6:7]
	s_and_saveexec_b64 s[6:7], s[4:5]
	s_cbranch_execz .LBB42_516
.LBB42_515:
	v_and_b32_e32 v20, 7, v14
	v_ffbh_u32_e32 v22, v20
	v_min_u32_e32 v22, 32, v22
	v_lshrrev_b16_e32 v21, 3, v14
	v_subrev_u32_e32 v23, 28, v22
	v_and_b32_e32 v21, 15, v21
	v_lshlrev_b32_e32 v23, v23, v14
	v_sub_u32_e32 v22, 29, v22
	v_and_b32_e32 v23, 7, v23
	v_cmp_eq_u16_e32 vcc, 0, v21
	v_cndmask_b32_e32 v20, v20, v23, vcc
	v_cndmask_b32_e32 v21, v21, v22, vcc
	v_lshlrev_b32_e32 v22, 24, v14
	v_mov_b32_e32 v23, 0x3b800000
	v_lshlrev_b32_e32 v20, 20, v20
	v_and_b32_e32 v22, 0x80000000, v22
	v_lshl_add_u32 v21, v21, 23, v23
	v_or3_b32 v20, v22, v21, v20
.LBB42_516:
	s_or_b64 exec, exec, s[6:7]
	s_movk_i32 s4, 0x7f
	v_cmp_gt_i16_sdwa s[6:7], v10, s4 src0_sel:BYTE_0 src1_sel:DWORD
	s_mov_b64 s[4:5], 0
                                        ; implicit-def: $sgpr10
	s_and_saveexec_b64 s[8:9], s[6:7]
	s_xor_b64 s[6:7], exec, s[8:9]
	s_cbranch_execnz .LBB42_2565
; %bb.517:
	s_or_saveexec_b64 s[6:7], s[6:7]
	v_mov_b32_e32 v21, s10
	s_xor_b64 exec, exec, s[6:7]
	s_cbranch_execnz .LBB42_2568
.LBB42_518:
	s_or_b64 exec, exec, s[6:7]
	s_and_saveexec_b64 s[6:7], s[4:5]
	s_cbranch_execz .LBB42_520
.LBB42_519:
	v_and_b32_e32 v21, 7, v10
	v_ffbh_u32_e32 v23, v21
	v_min_u32_e32 v23, 32, v23
	v_lshrrev_b16_e32 v22, 3, v10
	v_subrev_u32_e32 v24, 28, v23
	v_and_b32_e32 v22, 15, v22
	v_lshlrev_b32_e32 v24, v24, v10
	v_sub_u32_e32 v23, 29, v23
	v_and_b32_e32 v24, 7, v24
	v_cmp_eq_u16_e32 vcc, 0, v22
	v_cndmask_b32_e32 v21, v21, v24, vcc
	v_cndmask_b32_e32 v22, v22, v23, vcc
	v_lshlrev_b32_e32 v23, 24, v10
	v_mov_b32_e32 v24, 0x3b800000
	v_lshlrev_b32_e32 v21, 20, v21
	v_and_b32_e32 v23, 0x80000000, v23
	v_lshl_add_u32 v22, v22, 23, v24
	v_or3_b32 v21, v23, v22, v21
.LBB42_520:
	s_or_b64 exec, exec, s[6:7]
	flat_load_dwordx4 a[0:3], v[18:19] offset:800
	s_movk_i32 s4, 0x7f
                                        ; implicit-def: $sgpr10
	s_waitcnt vmcnt(0) lgkmcnt(0)
	v_mfma_f32_16x16x4f32 a[0:3], v20, v21, a[0:3]
	v_lshrrev_b32_e32 v21, 8, v14
	v_cmp_gt_i16_sdwa s[6:7], v21, s4 src0_sel:BYTE_0 src1_sel:DWORD
	s_mov_b64 s[4:5], 0
	s_and_saveexec_b64 s[8:9], s[6:7]
	s_xor_b64 s[6:7], exec, s[8:9]
	s_cbranch_execnz .LBB42_2569
; %bb.521:
	s_or_saveexec_b64 s[6:7], s[6:7]
	v_mov_b32_e32 v20, s10
	s_xor_b64 exec, exec, s[6:7]
	s_cbranch_execnz .LBB42_2572
.LBB42_522:
	s_or_b64 exec, exec, s[6:7]
	s_and_saveexec_b64 s[6:7], s[4:5]
	s_cbranch_execz .LBB42_524
.LBB42_523:
	v_bfe_u32 v20, v14, 8, 3
	v_ffbh_u32_e32 v23, v20
	v_min_u32_e32 v23, 32, v23
	v_lshrrev_b16_e32 v22, 3, v21
	v_subrev_u32_e32 v24, 28, v23
	v_and_b32_e32 v22, 15, v22
	v_lshlrev_b32_e32 v21, v24, v21
	v_sub_u32_e32 v23, 29, v23
	v_and_b32_e32 v21, 7, v21
	v_cmp_eq_u16_e32 vcc, 0, v22
	v_cndmask_b32_e32 v20, v20, v21, vcc
	v_cndmask_b32_e32 v21, v22, v23, vcc
	v_lshlrev_b32_e32 v22, 16, v14
	v_mov_b32_e32 v23, 0x3b800000
	v_lshlrev_b32_e32 v20, 20, v20
	v_and_b32_e32 v22, 0x80000000, v22
	v_lshl_add_u32 v21, v21, 23, v23
	v_or3_b32 v20, v22, v21, v20
.LBB42_524:
	s_or_b64 exec, exec, s[6:7]
	v_lshrrev_b32_e32 v21, 8, v10
	s_movk_i32 s4, 0x7f
	v_cmp_gt_i16_sdwa s[6:7], v21, s4 src0_sel:BYTE_0 src1_sel:DWORD
	s_mov_b64 s[4:5], 0
                                        ; implicit-def: $sgpr10
	s_and_saveexec_b64 s[8:9], s[6:7]
	s_xor_b64 s[6:7], exec, s[8:9]
	s_cbranch_execnz .LBB42_2573
; %bb.525:
	s_or_saveexec_b64 s[6:7], s[6:7]
	v_mov_b32_e32 v22, s10
	s_xor_b64 exec, exec, s[6:7]
	s_cbranch_execnz .LBB42_2576
.LBB42_526:
	s_or_b64 exec, exec, s[6:7]
	s_and_saveexec_b64 s[6:7], s[4:5]
	s_cbranch_execz .LBB42_528
.LBB42_527:
	v_bfe_u32 v22, v10, 8, 3
	v_ffbh_u32_e32 v24, v22
	v_min_u32_e32 v24, 32, v24
	v_lshrrev_b16_e32 v23, 3, v21
	v_subrev_u32_e32 v25, 28, v24
	v_and_b32_e32 v23, 15, v23
	v_lshlrev_b32_e32 v21, v25, v21
	v_sub_u32_e32 v24, 29, v24
	v_and_b32_e32 v21, 7, v21
	v_cmp_eq_u16_e32 vcc, 0, v23
	v_cndmask_b32_e32 v21, v22, v21, vcc
	v_cndmask_b32_e32 v22, v23, v24, vcc
	v_lshlrev_b32_e32 v23, 16, v10
	v_mov_b32_e32 v24, 0x3b800000
	v_lshlrev_b32_e32 v21, 20, v21
	v_and_b32_e32 v23, 0x80000000, v23
	v_lshl_add_u32 v22, v22, 23, v24
	v_or3_b32 v22, v23, v22, v21
.LBB42_528:
	s_or_b64 exec, exec, s[6:7]
	s_nop 0
	v_mfma_f32_16x16x4f32 a[0:3], v20, v22, a[0:3]
	s_movk_i32 s4, 0xff
	v_and_b32_sdwa v21, v14, s4 dst_sel:DWORD dst_unused:UNUSED_PAD src0_sel:WORD_1 src1_sel:DWORD
	s_movk_i32 s4, 0x7f
	v_cmp_lt_i16_e32 vcc, s4, v21
	s_mov_b64 s[4:5], 0
                                        ; implicit-def: $sgpr10
	s_and_saveexec_b64 s[6:7], vcc
	s_xor_b64 s[6:7], exec, s[6:7]
	s_cbranch_execnz .LBB42_2577
; %bb.529:
	s_or_saveexec_b64 s[6:7], s[6:7]
	v_mov_b32_e32 v20, s10
	s_xor_b64 exec, exec, s[6:7]
	s_cbranch_execnz .LBB42_2580
.LBB42_530:
	s_or_b64 exec, exec, s[6:7]
	s_and_saveexec_b64 s[6:7], s[4:5]
	s_cbranch_execz .LBB42_532
.LBB42_531:
	v_bfe_u32 v20, v14, 16, 3
	v_ffbh_u32_e32 v23, v20
	v_min_u32_e32 v23, 32, v23
	v_lshrrev_b32_e32 v21, 19, v14
	v_subrev_u32_e32 v24, 28, v23
	v_and_b32_e32 v21, 15, v21
	v_lshlrev_b32_sdwa v24, v24, v14 dst_sel:DWORD dst_unused:UNUSED_PAD src0_sel:DWORD src1_sel:WORD_1
	v_bfe_u32 v22, v14, 19, 4
	v_sub_u32_e32 v23, 29, v23
	v_and_b32_e32 v24, 7, v24
	v_cmp_eq_u16_e32 vcc, 0, v21
	v_cndmask_b32_e32 v20, v20, v24, vcc
	v_cndmask_b32_e32 v21, v22, v23, vcc
	v_lshlrev_b32_e32 v22, 8, v14
	v_mov_b32_e32 v23, 0x3b800000
	v_lshlrev_b32_e32 v20, 20, v20
	v_and_b32_e32 v22, 0x80000000, v22
	v_lshl_add_u32 v21, v21, 23, v23
	v_or3_b32 v20, v22, v21, v20
.LBB42_532:
	s_or_b64 exec, exec, s[6:7]
	s_movk_i32 s4, 0xff
	v_and_b32_sdwa v21, v10, s4 dst_sel:DWORD dst_unused:UNUSED_PAD src0_sel:WORD_1 src1_sel:DWORD
	s_movk_i32 s4, 0x7f
	v_cmp_lt_i16_e32 vcc, s4, v21
	s_mov_b64 s[4:5], 0
                                        ; implicit-def: $sgpr10
	s_and_saveexec_b64 s[6:7], vcc
	s_xor_b64 s[6:7], exec, s[6:7]
	s_cbranch_execnz .LBB42_2581
; %bb.533:
	s_or_saveexec_b64 s[6:7], s[6:7]
	v_mov_b32_e32 v22, s10
	s_xor_b64 exec, exec, s[6:7]
	s_cbranch_execnz .LBB42_2584
.LBB42_534:
	s_or_b64 exec, exec, s[6:7]
	s_and_saveexec_b64 s[6:7], s[4:5]
	s_cbranch_execz .LBB42_536
.LBB42_535:
	v_bfe_u32 v21, v10, 16, 3
	v_ffbh_u32_e32 v24, v21
	v_min_u32_e32 v24, 32, v24
	v_lshrrev_b32_e32 v22, 19, v10
	v_subrev_u32_e32 v25, 28, v24
	v_and_b32_e32 v22, 15, v22
	v_lshlrev_b32_sdwa v25, v25, v10 dst_sel:DWORD dst_unused:UNUSED_PAD src0_sel:DWORD src1_sel:WORD_1
	v_bfe_u32 v23, v10, 19, 4
	v_sub_u32_e32 v24, 29, v24
	v_and_b32_e32 v25, 7, v25
	v_cmp_eq_u16_e32 vcc, 0, v22
	v_cndmask_b32_e32 v21, v21, v25, vcc
	v_cndmask_b32_e32 v22, v23, v24, vcc
	v_lshlrev_b32_e32 v23, 8, v10
	v_mov_b32_e32 v24, 0x3b800000
	v_lshlrev_b32_e32 v21, 20, v21
	v_and_b32_e32 v23, 0x80000000, v23
	v_lshl_add_u32 v22, v22, 23, v24
	v_or3_b32 v22, v23, v22, v21
.LBB42_536:
	s_or_b64 exec, exec, s[6:7]
	s_nop 0
	v_mfma_f32_16x16x4f32 a[0:3], v20, v22, a[0:3]
	s_movk_i32 s4, 0x7f
	v_cmp_gt_i16_sdwa s[6:7], v14, s4 src0_sel:BYTE_3 src1_sel:DWORD
	s_mov_b64 s[4:5], 0
                                        ; implicit-def: $sgpr10
	s_and_saveexec_b64 s[8:9], s[6:7]
	s_xor_b64 s[6:7], exec, s[8:9]
	s_cbranch_execnz .LBB42_2585
; %bb.537:
	s_or_saveexec_b64 s[6:7], s[6:7]
	v_mov_b32_e32 v20, s10
	s_xor_b64 exec, exec, s[6:7]
	s_cbranch_execnz .LBB42_2588
.LBB42_538:
	s_or_b64 exec, exec, s[6:7]
	s_and_saveexec_b64 s[6:7], s[4:5]
	s_cbranch_execz .LBB42_540
.LBB42_539:
	v_bfe_u32 v20, v14, 24, 3
	v_ffbh_u32_e32 v24, v20
	v_min_u32_e32 v24, 32, v24
	v_lshrrev_b32_e32 v22, 27, v14
	v_subrev_u32_e32 v25, 28, v24
	v_and_b32_e32 v21, 0x80000000, v14
	v_and_b32_e32 v22, 15, v22
	v_bfe_u32 v23, v14, 27, 4
	v_lshlrev_b32_sdwa v14, v25, v14 dst_sel:DWORD dst_unused:UNUSED_PAD src0_sel:DWORD src1_sel:BYTE_3
	v_sub_u32_e32 v24, 29, v24
	v_and_b32_e32 v14, 7, v14
	v_cmp_eq_u16_e32 vcc, 0, v22
	v_cndmask_b32_e32 v14, v20, v14, vcc
	v_cndmask_b32_e32 v20, v23, v24, vcc
	v_mov_b32_e32 v22, 0x3b800000
	v_lshlrev_b32_e32 v14, 20, v14
	v_lshl_add_u32 v20, v20, 23, v22
	v_or3_b32 v20, v21, v20, v14
.LBB42_540:
	s_or_b64 exec, exec, s[6:7]
	s_movk_i32 s4, 0x7f
	v_cmp_gt_i16_sdwa s[6:7], v10, s4 src0_sel:BYTE_3 src1_sel:DWORD
	s_mov_b64 s[4:5], 0
                                        ; implicit-def: $sgpr10
	s_and_saveexec_b64 s[8:9], s[6:7]
	s_xor_b64 s[6:7], exec, s[8:9]
	s_cbranch_execnz .LBB42_2589
; %bb.541:
	s_or_saveexec_b64 s[6:7], s[6:7]
	v_mov_b32_e32 v14, s10
	s_xor_b64 exec, exec, s[6:7]
	s_cbranch_execnz .LBB42_2592
.LBB42_542:
	s_or_b64 exec, exec, s[6:7]
	s_and_saveexec_b64 s[6:7], s[4:5]
	s_cbranch_execz .LBB42_544
.LBB42_543:
	v_bfe_u32 v14, v10, 24, 3
	v_ffbh_u32_e32 v24, v14
	v_min_u32_e32 v24, 32, v24
	v_lshrrev_b32_e32 v22, 27, v10
	v_subrev_u32_e32 v25, 28, v24
	v_and_b32_e32 v21, 0x80000000, v10
	v_and_b32_e32 v22, 15, v22
	v_bfe_u32 v23, v10, 27, 4
	v_lshlrev_b32_sdwa v10, v25, v10 dst_sel:DWORD dst_unused:UNUSED_PAD src0_sel:DWORD src1_sel:BYTE_3
	v_sub_u32_e32 v24, 29, v24
	v_and_b32_e32 v10, 7, v10
	v_cmp_eq_u16_e32 vcc, 0, v22
	v_cndmask_b32_e32 v10, v14, v10, vcc
	v_cndmask_b32_e32 v14, v23, v24, vcc
	v_mov_b32_e32 v22, 0x3b800000
	v_lshlrev_b32_e32 v10, 20, v10
	v_lshl_add_u32 v14, v14, 23, v22
	v_or3_b32 v14, v21, v14, v10
.LBB42_544:
	s_or_b64 exec, exec, s[6:7]
	s_nop 0
	v_mfma_f32_16x16x4f32 a[0:3], v20, v14, a[0:3]
	s_movk_i32 s4, 0x7f
	v_cmp_gt_i16_sdwa s[6:7], v15, s4 src0_sel:BYTE_0 src1_sel:DWORD
	s_mov_b64 s[4:5], 0
                                        ; implicit-def: $sgpr10
	s_and_saveexec_b64 s[8:9], s[6:7]
	s_xor_b64 s[6:7], exec, s[8:9]
	s_cbranch_execnz .LBB42_2593
; %bb.545:
	s_or_saveexec_b64 s[6:7], s[6:7]
	v_mov_b32_e32 v10, s10
	s_xor_b64 exec, exec, s[6:7]
	s_cbranch_execnz .LBB42_2596
.LBB42_546:
	s_or_b64 exec, exec, s[6:7]
	s_and_saveexec_b64 s[6:7], s[4:5]
	s_cbranch_execz .LBB42_548
.LBB42_547:
	v_and_b32_e32 v10, 7, v15
	v_ffbh_u32_e32 v20, v10
	v_min_u32_e32 v20, 32, v20
	v_lshrrev_b16_e32 v14, 3, v15
	v_subrev_u32_e32 v21, 28, v20
	v_and_b32_e32 v14, 15, v14
	v_lshlrev_b32_e32 v21, v21, v15
	v_sub_u32_e32 v20, 29, v20
	v_and_b32_e32 v21, 7, v21
	v_cmp_eq_u16_e32 vcc, 0, v14
	v_cndmask_b32_e32 v10, v10, v21, vcc
	v_cndmask_b32_e32 v14, v14, v20, vcc
	v_lshlrev_b32_e32 v20, 24, v15
	v_mov_b32_e32 v21, 0x3b800000
	v_lshlrev_b32_e32 v10, 20, v10
	v_and_b32_e32 v20, 0x80000000, v20
	v_lshl_add_u32 v14, v14, 23, v21
	v_or3_b32 v10, v20, v14, v10
.LBB42_548:
	s_or_b64 exec, exec, s[6:7]
	s_movk_i32 s4, 0x7f
	v_cmp_gt_i16_sdwa s[6:7], v11, s4 src0_sel:BYTE_0 src1_sel:DWORD
	s_mov_b64 s[4:5], 0
                                        ; implicit-def: $sgpr10
	s_and_saveexec_b64 s[8:9], s[6:7]
	s_xor_b64 s[6:7], exec, s[8:9]
	s_cbranch_execnz .LBB42_2597
; %bb.549:
	s_or_saveexec_b64 s[6:7], s[6:7]
	v_mov_b32_e32 v14, s10
	s_xor_b64 exec, exec, s[6:7]
	s_cbranch_execnz .LBB42_2600
.LBB42_550:
	s_or_b64 exec, exec, s[6:7]
	s_and_saveexec_b64 s[6:7], s[4:5]
	s_cbranch_execz .LBB42_552
.LBB42_551:
	v_and_b32_e32 v14, 7, v11
	v_ffbh_u32_e32 v21, v14
	v_min_u32_e32 v21, 32, v21
	v_lshrrev_b16_e32 v20, 3, v11
	v_subrev_u32_e32 v22, 28, v21
	v_and_b32_e32 v20, 15, v20
	v_lshlrev_b32_e32 v22, v22, v11
	v_sub_u32_e32 v21, 29, v21
	v_and_b32_e32 v22, 7, v22
	v_cmp_eq_u16_e32 vcc, 0, v20
	v_cndmask_b32_e32 v14, v14, v22, vcc
	v_cndmask_b32_e32 v20, v20, v21, vcc
	v_lshlrev_b32_e32 v21, 24, v11
	v_mov_b32_e32 v22, 0x3b800000
	v_lshlrev_b32_e32 v14, 20, v14
	v_and_b32_e32 v21, 0x80000000, v21
	v_lshl_add_u32 v20, v20, 23, v22
	v_or3_b32 v14, v21, v20, v14
.LBB42_552:
	s_or_b64 exec, exec, s[6:7]
	s_nop 0
	v_mfma_f32_16x16x4f32 a[0:3], v10, v14, a[0:3]
	v_lshrrev_b32_e32 v14, 8, v15
	s_movk_i32 s4, 0x7f
	v_cmp_gt_i16_sdwa s[6:7], v14, s4 src0_sel:BYTE_0 src1_sel:DWORD
	s_mov_b64 s[4:5], 0
                                        ; implicit-def: $sgpr10
	s_and_saveexec_b64 s[8:9], s[6:7]
	s_xor_b64 s[6:7], exec, s[8:9]
	s_cbranch_execnz .LBB42_2601
; %bb.553:
	s_or_saveexec_b64 s[6:7], s[6:7]
	v_mov_b32_e32 v10, s10
	s_xor_b64 exec, exec, s[6:7]
	s_cbranch_execnz .LBB42_2604
.LBB42_554:
	s_or_b64 exec, exec, s[6:7]
	s_and_saveexec_b64 s[6:7], s[4:5]
	s_cbranch_execz .LBB42_556
.LBB42_555:
	v_bfe_u32 v10, v15, 8, 3
	v_ffbh_u32_e32 v21, v10
	v_min_u32_e32 v21, 32, v21
	v_lshrrev_b16_e32 v20, 3, v14
	v_subrev_u32_e32 v22, 28, v21
	v_and_b32_e32 v20, 15, v20
	v_lshlrev_b32_e32 v14, v22, v14
	v_sub_u32_e32 v21, 29, v21
	v_and_b32_e32 v14, 7, v14
	v_cmp_eq_u16_e32 vcc, 0, v20
	v_cndmask_b32_e32 v10, v10, v14, vcc
	v_cndmask_b32_e32 v14, v20, v21, vcc
	v_lshlrev_b32_e32 v20, 16, v15
	v_mov_b32_e32 v21, 0x3b800000
	v_lshlrev_b32_e32 v10, 20, v10
	v_and_b32_e32 v20, 0x80000000, v20
	v_lshl_add_u32 v14, v14, 23, v21
	v_or3_b32 v10, v20, v14, v10
.LBB42_556:
	s_or_b64 exec, exec, s[6:7]
	v_lshrrev_b32_e32 v14, 8, v11
	s_movk_i32 s4, 0x7f
	v_cmp_gt_i16_sdwa s[6:7], v14, s4 src0_sel:BYTE_0 src1_sel:DWORD
	s_mov_b64 s[4:5], 0
                                        ; implicit-def: $sgpr10
	s_and_saveexec_b64 s[8:9], s[6:7]
	s_xor_b64 s[6:7], exec, s[8:9]
	s_cbranch_execnz .LBB42_2605
; %bb.557:
	s_or_saveexec_b64 s[6:7], s[6:7]
	v_mov_b32_e32 v20, s10
	s_xor_b64 exec, exec, s[6:7]
	s_cbranch_execnz .LBB42_2608
.LBB42_558:
	s_or_b64 exec, exec, s[6:7]
	s_and_saveexec_b64 s[6:7], s[4:5]
	s_cbranch_execz .LBB42_560
.LBB42_559:
	v_bfe_u32 v20, v11, 8, 3
	v_ffbh_u32_e32 v22, v20
	v_min_u32_e32 v22, 32, v22
	v_lshrrev_b16_e32 v21, 3, v14
	v_subrev_u32_e32 v23, 28, v22
	v_and_b32_e32 v21, 15, v21
	v_lshlrev_b32_e32 v14, v23, v14
	v_sub_u32_e32 v22, 29, v22
	v_and_b32_e32 v14, 7, v14
	v_cmp_eq_u16_e32 vcc, 0, v21
	v_cndmask_b32_e32 v14, v20, v14, vcc
	v_cndmask_b32_e32 v20, v21, v22, vcc
	v_lshlrev_b32_e32 v21, 16, v11
	v_mov_b32_e32 v22, 0x3b800000
	v_lshlrev_b32_e32 v14, 20, v14
	v_and_b32_e32 v21, 0x80000000, v21
	v_lshl_add_u32 v20, v20, 23, v22
	v_or3_b32 v20, v21, v20, v14
.LBB42_560:
	s_or_b64 exec, exec, s[6:7]
	s_nop 0
	v_mfma_f32_16x16x4f32 a[0:3], v10, v20, a[0:3]
	s_movk_i32 s4, 0xff
	v_and_b32_sdwa v14, v15, s4 dst_sel:DWORD dst_unused:UNUSED_PAD src0_sel:WORD_1 src1_sel:DWORD
	s_movk_i32 s4, 0x7f
	v_cmp_lt_i16_e32 vcc, s4, v14
	s_mov_b64 s[4:5], 0
                                        ; implicit-def: $sgpr10
	s_and_saveexec_b64 s[6:7], vcc
	s_xor_b64 s[6:7], exec, s[6:7]
	s_cbranch_execnz .LBB42_2609
; %bb.561:
	s_or_saveexec_b64 s[6:7], s[6:7]
	v_mov_b32_e32 v10, s10
	s_xor_b64 exec, exec, s[6:7]
	s_cbranch_execnz .LBB42_2612
.LBB42_562:
	s_or_b64 exec, exec, s[6:7]
	s_and_saveexec_b64 s[6:7], s[4:5]
	s_cbranch_execz .LBB42_564
.LBB42_563:
	v_bfe_u32 v10, v15, 16, 3
	v_ffbh_u32_e32 v21, v10
	v_min_u32_e32 v21, 32, v21
	v_lshrrev_b32_e32 v14, 19, v15
	v_subrev_u32_e32 v22, 28, v21
	v_and_b32_e32 v14, 15, v14
	v_lshlrev_b32_sdwa v22, v22, v15 dst_sel:DWORD dst_unused:UNUSED_PAD src0_sel:DWORD src1_sel:WORD_1
	v_bfe_u32 v20, v15, 19, 4
	v_sub_u32_e32 v21, 29, v21
	v_and_b32_e32 v22, 7, v22
	v_cmp_eq_u16_e32 vcc, 0, v14
	v_cndmask_b32_e32 v10, v10, v22, vcc
	v_cndmask_b32_e32 v14, v20, v21, vcc
	v_lshlrev_b32_e32 v20, 8, v15
	v_mov_b32_e32 v21, 0x3b800000
	v_lshlrev_b32_e32 v10, 20, v10
	v_and_b32_e32 v20, 0x80000000, v20
	v_lshl_add_u32 v14, v14, 23, v21
	v_or3_b32 v10, v20, v14, v10
.LBB42_564:
	s_or_b64 exec, exec, s[6:7]
	s_movk_i32 s4, 0xff
	v_and_b32_sdwa v14, v11, s4 dst_sel:DWORD dst_unused:UNUSED_PAD src0_sel:WORD_1 src1_sel:DWORD
	s_movk_i32 s4, 0x7f
	v_cmp_lt_i16_e32 vcc, s4, v14
	s_mov_b64 s[4:5], 0
                                        ; implicit-def: $sgpr10
	s_and_saveexec_b64 s[6:7], vcc
	s_xor_b64 s[6:7], exec, s[6:7]
	s_cbranch_execnz .LBB42_2613
; %bb.565:
	s_or_saveexec_b64 s[6:7], s[6:7]
	v_mov_b32_e32 v20, s10
	s_xor_b64 exec, exec, s[6:7]
	s_cbranch_execnz .LBB42_2616
.LBB42_566:
	s_or_b64 exec, exec, s[6:7]
	s_and_saveexec_b64 s[6:7], s[4:5]
	s_cbranch_execz .LBB42_568
.LBB42_567:
	v_bfe_u32 v14, v11, 16, 3
	v_ffbh_u32_e32 v22, v14
	v_min_u32_e32 v22, 32, v22
	v_lshrrev_b32_e32 v20, 19, v11
	v_subrev_u32_e32 v23, 28, v22
	v_and_b32_e32 v20, 15, v20
	v_lshlrev_b32_sdwa v23, v23, v11 dst_sel:DWORD dst_unused:UNUSED_PAD src0_sel:DWORD src1_sel:WORD_1
	v_bfe_u32 v21, v11, 19, 4
	v_sub_u32_e32 v22, 29, v22
	v_and_b32_e32 v23, 7, v23
	v_cmp_eq_u16_e32 vcc, 0, v20
	v_cndmask_b32_e32 v14, v14, v23, vcc
	v_cndmask_b32_e32 v20, v21, v22, vcc
	v_lshlrev_b32_e32 v21, 8, v11
	v_mov_b32_e32 v22, 0x3b800000
	v_lshlrev_b32_e32 v14, 20, v14
	v_and_b32_e32 v21, 0x80000000, v21
	v_lshl_add_u32 v20, v20, 23, v22
	v_or3_b32 v20, v21, v20, v14
.LBB42_568:
	s_or_b64 exec, exec, s[6:7]
	s_nop 0
	v_mfma_f32_16x16x4f32 a[0:3], v10, v20, a[0:3]
	s_movk_i32 s4, 0x7f
	v_cmp_gt_i16_sdwa s[6:7], v15, s4 src0_sel:BYTE_3 src1_sel:DWORD
	s_mov_b64 s[4:5], 0
                                        ; implicit-def: $sgpr10
	s_and_saveexec_b64 s[8:9], s[6:7]
	s_xor_b64 s[6:7], exec, s[8:9]
	s_cbranch_execnz .LBB42_2617
; %bb.569:
	s_or_saveexec_b64 s[6:7], s[6:7]
	v_mov_b32_e32 v10, s10
	s_xor_b64 exec, exec, s[6:7]
	s_cbranch_execnz .LBB42_2620
.LBB42_570:
	s_or_b64 exec, exec, s[6:7]
	s_and_saveexec_b64 s[6:7], s[4:5]
	s_cbranch_execz .LBB42_572
.LBB42_571:
	v_bfe_u32 v10, v15, 24, 3
	v_ffbh_u32_e32 v22, v10
	v_min_u32_e32 v22, 32, v22
	v_lshrrev_b32_e32 v20, 27, v15
	v_subrev_u32_e32 v23, 28, v22
	v_and_b32_e32 v14, 0x80000000, v15
	v_and_b32_e32 v20, 15, v20
	v_bfe_u32 v21, v15, 27, 4
	v_lshlrev_b32_sdwa v15, v23, v15 dst_sel:DWORD dst_unused:UNUSED_PAD src0_sel:DWORD src1_sel:BYTE_3
	v_sub_u32_e32 v22, 29, v22
	v_and_b32_e32 v15, 7, v15
	v_cmp_eq_u16_e32 vcc, 0, v20
	v_cndmask_b32_e32 v10, v10, v15, vcc
	v_cndmask_b32_e32 v15, v21, v22, vcc
	v_mov_b32_e32 v20, 0x3b800000
	v_lshlrev_b32_e32 v10, 20, v10
	v_lshl_add_u32 v15, v15, 23, v20
	v_or3_b32 v10, v14, v15, v10
.LBB42_572:
	s_or_b64 exec, exec, s[6:7]
	s_movk_i32 s4, 0x7f
	v_cmp_gt_i16_sdwa s[6:7], v11, s4 src0_sel:BYTE_3 src1_sel:DWORD
	s_mov_b64 s[4:5], 0
                                        ; implicit-def: $sgpr10
	s_and_saveexec_b64 s[8:9], s[6:7]
	s_xor_b64 s[6:7], exec, s[8:9]
	s_cbranch_execnz .LBB42_2621
; %bb.573:
	s_or_saveexec_b64 s[6:7], s[6:7]
	v_mov_b32_e32 v14, s10
	s_xor_b64 exec, exec, s[6:7]
	s_cbranch_execnz .LBB42_2624
.LBB42_574:
	s_or_b64 exec, exec, s[6:7]
	s_and_saveexec_b64 s[6:7], s[4:5]
	s_cbranch_execz .LBB42_576
.LBB42_575:
	v_bfe_u32 v14, v11, 24, 3
	v_ffbh_u32_e32 v22, v14
	v_min_u32_e32 v22, 32, v22
	v_lshrrev_b32_e32 v20, 27, v11
	v_subrev_u32_e32 v23, 28, v22
	v_and_b32_e32 v15, 0x80000000, v11
	v_and_b32_e32 v20, 15, v20
	v_bfe_u32 v21, v11, 27, 4
	v_lshlrev_b32_sdwa v11, v23, v11 dst_sel:DWORD dst_unused:UNUSED_PAD src0_sel:DWORD src1_sel:BYTE_3
	v_sub_u32_e32 v22, 29, v22
	v_and_b32_e32 v11, 7, v11
	v_cmp_eq_u16_e32 vcc, 0, v20
	v_cndmask_b32_e32 v11, v14, v11, vcc
	v_cndmask_b32_e32 v14, v21, v22, vcc
	v_mov_b32_e32 v20, 0x3b800000
	v_lshlrev_b32_e32 v11, 20, v11
	v_lshl_add_u32 v14, v14, 23, v20
	v_or3_b32 v14, v15, v14, v11
.LBB42_576:
	s_or_b64 exec, exec, s[6:7]
	s_nop 0
	v_mfma_f32_16x16x4f32 a[0:3], v10, v14, a[0:3]
	s_movk_i32 s4, 0x7f
	v_cmp_gt_i16_sdwa s[6:7], v16, s4 src0_sel:BYTE_0 src1_sel:DWORD
	s_mov_b64 s[4:5], 0
                                        ; implicit-def: $sgpr10
	s_and_saveexec_b64 s[8:9], s[6:7]
	s_xor_b64 s[6:7], exec, s[8:9]
	s_cbranch_execnz .LBB42_2625
; %bb.577:
	s_or_saveexec_b64 s[6:7], s[6:7]
	v_mov_b32_e32 v10, s10
	s_xor_b64 exec, exec, s[6:7]
	s_cbranch_execnz .LBB42_2628
.LBB42_578:
	s_or_b64 exec, exec, s[6:7]
	s_and_saveexec_b64 s[6:7], s[4:5]
	s_cbranch_execz .LBB42_580
.LBB42_579:
	v_and_b32_e32 v10, 7, v16
	v_ffbh_u32_e32 v14, v10
	v_min_u32_e32 v14, 32, v14
	v_lshrrev_b16_e32 v11, 3, v16
	v_subrev_u32_e32 v15, 28, v14
	v_and_b32_e32 v11, 15, v11
	v_lshlrev_b32_e32 v15, v15, v16
	v_sub_u32_e32 v14, 29, v14
	v_and_b32_e32 v15, 7, v15
	v_cmp_eq_u16_e32 vcc, 0, v11
	v_cndmask_b32_e32 v10, v10, v15, vcc
	v_cndmask_b32_e32 v11, v11, v14, vcc
	v_lshlrev_b32_e32 v14, 24, v16
	v_mov_b32_e32 v15, 0x3b800000
	v_lshlrev_b32_e32 v10, 20, v10
	v_and_b32_e32 v14, 0x80000000, v14
	v_lshl_add_u32 v11, v11, 23, v15
	v_or3_b32 v10, v14, v11, v10
.LBB42_580:
	s_or_b64 exec, exec, s[6:7]
	s_movk_i32 s4, 0x7f
	v_cmp_gt_i16_sdwa s[6:7], v12, s4 src0_sel:BYTE_0 src1_sel:DWORD
	s_mov_b64 s[4:5], 0
                                        ; implicit-def: $sgpr10
	s_and_saveexec_b64 s[8:9], s[6:7]
	s_xor_b64 s[6:7], exec, s[8:9]
	s_cbranch_execnz .LBB42_2629
; %bb.581:
	s_or_saveexec_b64 s[6:7], s[6:7]
	v_mov_b32_e32 v11, s10
	s_xor_b64 exec, exec, s[6:7]
	s_cbranch_execnz .LBB42_2632
.LBB42_582:
	s_or_b64 exec, exec, s[6:7]
	s_and_saveexec_b64 s[6:7], s[4:5]
	s_cbranch_execz .LBB42_584
.LBB42_583:
	v_and_b32_e32 v11, 7, v12
	v_ffbh_u32_e32 v15, v11
	v_min_u32_e32 v15, 32, v15
	v_lshrrev_b16_e32 v14, 3, v12
	v_subrev_u32_e32 v20, 28, v15
	v_and_b32_e32 v14, 15, v14
	v_lshlrev_b32_e32 v20, v20, v12
	v_sub_u32_e32 v15, 29, v15
	v_and_b32_e32 v20, 7, v20
	v_cmp_eq_u16_e32 vcc, 0, v14
	v_cndmask_b32_e32 v11, v11, v20, vcc
	v_cndmask_b32_e32 v14, v14, v15, vcc
	v_lshlrev_b32_e32 v15, 24, v12
	v_mov_b32_e32 v20, 0x3b800000
	v_lshlrev_b32_e32 v11, 20, v11
	v_and_b32_e32 v15, 0x80000000, v15
	v_lshl_add_u32 v14, v14, 23, v20
	v_or3_b32 v11, v15, v14, v11
.LBB42_584:
	s_or_b64 exec, exec, s[6:7]
	s_nop 0
	v_mfma_f32_16x16x4f32 a[0:3], v10, v11, a[0:3]
	v_lshrrev_b32_e32 v11, 8, v16
	s_movk_i32 s4, 0x7f
	v_cmp_gt_i16_sdwa s[6:7], v11, s4 src0_sel:BYTE_0 src1_sel:DWORD
	s_mov_b64 s[4:5], 0
                                        ; implicit-def: $sgpr10
	s_and_saveexec_b64 s[8:9], s[6:7]
	s_xor_b64 s[6:7], exec, s[8:9]
	s_cbranch_execnz .LBB42_2633
; %bb.585:
	s_or_saveexec_b64 s[6:7], s[6:7]
	v_mov_b32_e32 v10, s10
	s_xor_b64 exec, exec, s[6:7]
	s_cbranch_execnz .LBB42_2636
.LBB42_586:
	s_or_b64 exec, exec, s[6:7]
	s_and_saveexec_b64 s[6:7], s[4:5]
	s_cbranch_execz .LBB42_588
.LBB42_587:
	v_bfe_u32 v10, v16, 8, 3
	v_ffbh_u32_e32 v15, v10
	v_min_u32_e32 v15, 32, v15
	v_lshrrev_b16_e32 v14, 3, v11
	v_subrev_u32_e32 v20, 28, v15
	v_and_b32_e32 v14, 15, v14
	v_lshlrev_b32_e32 v11, v20, v11
	v_sub_u32_e32 v15, 29, v15
	v_and_b32_e32 v11, 7, v11
	v_cmp_eq_u16_e32 vcc, 0, v14
	v_cndmask_b32_e32 v10, v10, v11, vcc
	v_cndmask_b32_e32 v11, v14, v15, vcc
	v_lshlrev_b32_e32 v14, 16, v16
	v_mov_b32_e32 v15, 0x3b800000
	v_lshlrev_b32_e32 v10, 20, v10
	v_and_b32_e32 v14, 0x80000000, v14
	v_lshl_add_u32 v11, v11, 23, v15
	v_or3_b32 v10, v14, v11, v10
.LBB42_588:
	s_or_b64 exec, exec, s[6:7]
	v_lshrrev_b32_e32 v11, 8, v12
	s_movk_i32 s4, 0x7f
	v_cmp_gt_i16_sdwa s[6:7], v11, s4 src0_sel:BYTE_0 src1_sel:DWORD
	s_mov_b64 s[4:5], 0
                                        ; implicit-def: $sgpr10
	s_and_saveexec_b64 s[8:9], s[6:7]
	s_xor_b64 s[6:7], exec, s[8:9]
	s_cbranch_execnz .LBB42_2637
; %bb.589:
	s_or_saveexec_b64 s[6:7], s[6:7]
	v_mov_b32_e32 v14, s10
	s_xor_b64 exec, exec, s[6:7]
	s_cbranch_execnz .LBB42_2640
.LBB42_590:
	s_or_b64 exec, exec, s[6:7]
	s_and_saveexec_b64 s[6:7], s[4:5]
	s_cbranch_execz .LBB42_592
.LBB42_591:
	v_bfe_u32 v14, v12, 8, 3
	v_ffbh_u32_e32 v20, v14
	v_min_u32_e32 v20, 32, v20
	v_lshrrev_b16_e32 v15, 3, v11
	v_subrev_u32_e32 v21, 28, v20
	v_and_b32_e32 v15, 15, v15
	v_lshlrev_b32_e32 v11, v21, v11
	v_sub_u32_e32 v20, 29, v20
	v_and_b32_e32 v11, 7, v11
	v_cmp_eq_u16_e32 vcc, 0, v15
	v_cndmask_b32_e32 v11, v14, v11, vcc
	v_cndmask_b32_e32 v14, v15, v20, vcc
	v_lshlrev_b32_e32 v15, 16, v12
	v_mov_b32_e32 v20, 0x3b800000
	v_lshlrev_b32_e32 v11, 20, v11
	v_and_b32_e32 v15, 0x80000000, v15
	v_lshl_add_u32 v14, v14, 23, v20
	v_or3_b32 v14, v15, v14, v11
.LBB42_592:
	s_or_b64 exec, exec, s[6:7]
	s_nop 0
	v_mfma_f32_16x16x4f32 a[0:3], v10, v14, a[0:3]
	s_movk_i32 s4, 0xff
	v_and_b32_sdwa v11, v16, s4 dst_sel:DWORD dst_unused:UNUSED_PAD src0_sel:WORD_1 src1_sel:DWORD
	s_movk_i32 s4, 0x7f
	v_cmp_lt_i16_e32 vcc, s4, v11
	s_mov_b64 s[4:5], 0
                                        ; implicit-def: $sgpr10
	s_and_saveexec_b64 s[6:7], vcc
	s_xor_b64 s[6:7], exec, s[6:7]
	s_cbranch_execnz .LBB42_2641
; %bb.593:
	s_or_saveexec_b64 s[6:7], s[6:7]
	v_mov_b32_e32 v10, s10
	s_xor_b64 exec, exec, s[6:7]
	s_cbranch_execnz .LBB42_2644
.LBB42_594:
	s_or_b64 exec, exec, s[6:7]
	s_and_saveexec_b64 s[6:7], s[4:5]
	s_cbranch_execz .LBB42_596
.LBB42_595:
	v_bfe_u32 v10, v16, 16, 3
	v_ffbh_u32_e32 v15, v10
	v_min_u32_e32 v15, 32, v15
	v_lshrrev_b32_e32 v11, 19, v16
	v_subrev_u32_e32 v20, 28, v15
	v_and_b32_e32 v11, 15, v11
	v_lshlrev_b32_sdwa v20, v20, v16 dst_sel:DWORD dst_unused:UNUSED_PAD src0_sel:DWORD src1_sel:WORD_1
	v_bfe_u32 v14, v16, 19, 4
	v_sub_u32_e32 v15, 29, v15
	v_and_b32_e32 v20, 7, v20
	v_cmp_eq_u16_e32 vcc, 0, v11
	v_cndmask_b32_e32 v10, v10, v20, vcc
	v_cndmask_b32_e32 v11, v14, v15, vcc
	v_lshlrev_b32_e32 v14, 8, v16
	v_mov_b32_e32 v15, 0x3b800000
	v_lshlrev_b32_e32 v10, 20, v10
	v_and_b32_e32 v14, 0x80000000, v14
	v_lshl_add_u32 v11, v11, 23, v15
	v_or3_b32 v10, v14, v11, v10
.LBB42_596:
	s_or_b64 exec, exec, s[6:7]
	s_movk_i32 s4, 0xff
	v_and_b32_sdwa v11, v12, s4 dst_sel:DWORD dst_unused:UNUSED_PAD src0_sel:WORD_1 src1_sel:DWORD
	s_movk_i32 s4, 0x7f
	v_cmp_lt_i16_e32 vcc, s4, v11
	s_mov_b64 s[4:5], 0
                                        ; implicit-def: $sgpr10
	s_and_saveexec_b64 s[6:7], vcc
	s_xor_b64 s[6:7], exec, s[6:7]
	s_cbranch_execnz .LBB42_2645
; %bb.597:
	s_or_saveexec_b64 s[6:7], s[6:7]
	v_mov_b32_e32 v14, s10
	s_xor_b64 exec, exec, s[6:7]
	s_cbranch_execnz .LBB42_2648
.LBB42_598:
	s_or_b64 exec, exec, s[6:7]
	s_and_saveexec_b64 s[6:7], s[4:5]
	s_cbranch_execz .LBB42_600
.LBB42_599:
	v_bfe_u32 v11, v12, 16, 3
	v_ffbh_u32_e32 v20, v11
	v_min_u32_e32 v20, 32, v20
	v_lshrrev_b32_e32 v14, 19, v12
	v_subrev_u32_e32 v21, 28, v20
	v_and_b32_e32 v14, 15, v14
	v_lshlrev_b32_sdwa v21, v21, v12 dst_sel:DWORD dst_unused:UNUSED_PAD src0_sel:DWORD src1_sel:WORD_1
	v_bfe_u32 v15, v12, 19, 4
	v_sub_u32_e32 v20, 29, v20
	v_and_b32_e32 v21, 7, v21
	v_cmp_eq_u16_e32 vcc, 0, v14
	v_cndmask_b32_e32 v11, v11, v21, vcc
	v_cndmask_b32_e32 v14, v15, v20, vcc
	v_lshlrev_b32_e32 v15, 8, v12
	v_mov_b32_e32 v20, 0x3b800000
	v_lshlrev_b32_e32 v11, 20, v11
	v_and_b32_e32 v15, 0x80000000, v15
	v_lshl_add_u32 v14, v14, 23, v20
	v_or3_b32 v14, v15, v14, v11
.LBB42_600:
	s_or_b64 exec, exec, s[6:7]
	s_nop 0
	v_mfma_f32_16x16x4f32 a[0:3], v10, v14, a[0:3]
	s_movk_i32 s4, 0x7f
	v_cmp_gt_i16_sdwa s[6:7], v16, s4 src0_sel:BYTE_3 src1_sel:DWORD
	s_mov_b64 s[4:5], 0
                                        ; implicit-def: $sgpr10
	s_and_saveexec_b64 s[8:9], s[6:7]
	s_xor_b64 s[6:7], exec, s[8:9]
	s_cbranch_execnz .LBB42_2649
; %bb.601:
	s_or_saveexec_b64 s[6:7], s[6:7]
	v_mov_b32_e32 v10, s10
	s_xor_b64 exec, exec, s[6:7]
	s_cbranch_execnz .LBB42_2652
.LBB42_602:
	s_or_b64 exec, exec, s[6:7]
	s_and_saveexec_b64 s[6:7], s[4:5]
	s_cbranch_execz .LBB42_604
.LBB42_603:
	v_bfe_u32 v10, v16, 24, 3
	v_ffbh_u32_e32 v20, v10
	v_min_u32_e32 v20, 32, v20
	v_lshrrev_b32_e32 v14, 27, v16
	v_subrev_u32_e32 v21, 28, v20
	v_and_b32_e32 v11, 0x80000000, v16
	v_and_b32_e32 v14, 15, v14
	v_bfe_u32 v15, v16, 27, 4
	v_lshlrev_b32_sdwa v16, v21, v16 dst_sel:DWORD dst_unused:UNUSED_PAD src0_sel:DWORD src1_sel:BYTE_3
	v_sub_u32_e32 v20, 29, v20
	v_and_b32_e32 v16, 7, v16
	v_cmp_eq_u16_e32 vcc, 0, v14
	v_cndmask_b32_e32 v10, v10, v16, vcc
	v_cndmask_b32_e32 v14, v15, v20, vcc
	v_mov_b32_e32 v15, 0x3b800000
	v_lshlrev_b32_e32 v10, 20, v10
	v_lshl_add_u32 v14, v14, 23, v15
	v_or3_b32 v10, v11, v14, v10
.LBB42_604:
	s_or_b64 exec, exec, s[6:7]
	s_movk_i32 s4, 0x7f
	v_cmp_gt_i16_sdwa s[6:7], v12, s4 src0_sel:BYTE_3 src1_sel:DWORD
	s_mov_b64 s[4:5], 0
                                        ; implicit-def: $sgpr10
	s_and_saveexec_b64 s[8:9], s[6:7]
	s_xor_b64 s[6:7], exec, s[8:9]
	s_cbranch_execnz .LBB42_2653
; %bb.605:
	s_or_saveexec_b64 s[6:7], s[6:7]
	v_mov_b32_e32 v11, s10
	s_xor_b64 exec, exec, s[6:7]
	s_cbranch_execnz .LBB42_2656
.LBB42_606:
	s_or_b64 exec, exec, s[6:7]
	s_and_saveexec_b64 s[6:7], s[4:5]
	s_cbranch_execz .LBB42_608
.LBB42_607:
	v_bfe_u32 v11, v12, 24, 3
	v_ffbh_u32_e32 v20, v11
	v_min_u32_e32 v20, 32, v20
	v_lshrrev_b32_e32 v15, 27, v12
	v_subrev_u32_e32 v21, 28, v20
	v_and_b32_e32 v14, 0x80000000, v12
	v_and_b32_e32 v15, 15, v15
	v_bfe_u32 v16, v12, 27, 4
	v_lshlrev_b32_sdwa v12, v21, v12 dst_sel:DWORD dst_unused:UNUSED_PAD src0_sel:DWORD src1_sel:BYTE_3
	v_sub_u32_e32 v20, 29, v20
	v_and_b32_e32 v12, 7, v12
	v_cmp_eq_u16_e32 vcc, 0, v15
	v_cndmask_b32_e32 v11, v11, v12, vcc
	v_cndmask_b32_e32 v12, v16, v20, vcc
	v_mov_b32_e32 v15, 0x3b800000
	v_lshlrev_b32_e32 v11, 20, v11
	v_lshl_add_u32 v12, v12, 23, v15
	v_or3_b32 v11, v14, v12, v11
.LBB42_608:
	s_or_b64 exec, exec, s[6:7]
	s_nop 0
	v_mfma_f32_16x16x4f32 a[0:3], v10, v11, a[0:3]
	s_movk_i32 s4, 0x7f
	v_cmp_gt_i16_sdwa s[6:7], v17, s4 src0_sel:BYTE_0 src1_sel:DWORD
	s_mov_b64 s[4:5], 0
                                        ; implicit-def: $sgpr10
	s_and_saveexec_b64 s[8:9], s[6:7]
	s_xor_b64 s[6:7], exec, s[8:9]
	s_cbranch_execnz .LBB42_2657
; %bb.609:
	s_or_saveexec_b64 s[6:7], s[6:7]
	v_mov_b32_e32 v10, s10
	s_xor_b64 exec, exec, s[6:7]
	s_cbranch_execnz .LBB42_2660
.LBB42_610:
	s_or_b64 exec, exec, s[6:7]
	s_and_saveexec_b64 s[6:7], s[4:5]
	s_cbranch_execz .LBB42_612
.LBB42_611:
	v_and_b32_e32 v10, 7, v17
	v_ffbh_u32_e32 v12, v10
	v_min_u32_e32 v12, 32, v12
	v_lshrrev_b16_e32 v11, 3, v17
	v_subrev_u32_e32 v14, 28, v12
	v_and_b32_e32 v11, 15, v11
	v_lshlrev_b32_e32 v14, v14, v17
	v_sub_u32_e32 v12, 29, v12
	v_and_b32_e32 v14, 7, v14
	v_cmp_eq_u16_e32 vcc, 0, v11
	v_cndmask_b32_e32 v10, v10, v14, vcc
	v_cndmask_b32_e32 v11, v11, v12, vcc
	v_lshlrev_b32_e32 v12, 24, v17
	v_mov_b32_e32 v14, 0x3b800000
	v_lshlrev_b32_e32 v10, 20, v10
	v_and_b32_e32 v12, 0x80000000, v12
	v_lshl_add_u32 v11, v11, 23, v14
	v_or3_b32 v10, v12, v11, v10
.LBB42_612:
	s_or_b64 exec, exec, s[6:7]
	s_movk_i32 s4, 0x7f
	v_cmp_gt_i16_sdwa s[6:7], v13, s4 src0_sel:BYTE_0 src1_sel:DWORD
	s_mov_b64 s[4:5], 0
                                        ; implicit-def: $sgpr10
	s_and_saveexec_b64 s[8:9], s[6:7]
	s_xor_b64 s[6:7], exec, s[8:9]
	s_cbranch_execnz .LBB42_2661
; %bb.613:
	s_or_saveexec_b64 s[6:7], s[6:7]
	v_mov_b32_e32 v11, s10
	s_xor_b64 exec, exec, s[6:7]
	s_cbranch_execnz .LBB42_2664
.LBB42_614:
	s_or_b64 exec, exec, s[6:7]
	s_and_saveexec_b64 s[6:7], s[4:5]
	s_cbranch_execz .LBB42_616
.LBB42_615:
	v_and_b32_e32 v11, 7, v13
	v_ffbh_u32_e32 v14, v11
	v_min_u32_e32 v14, 32, v14
	v_lshrrev_b16_e32 v12, 3, v13
	v_subrev_u32_e32 v15, 28, v14
	v_and_b32_e32 v12, 15, v12
	v_lshlrev_b32_e32 v15, v15, v13
	v_sub_u32_e32 v14, 29, v14
	v_and_b32_e32 v15, 7, v15
	v_cmp_eq_u16_e32 vcc, 0, v12
	v_cndmask_b32_e32 v11, v11, v15, vcc
	v_cndmask_b32_e32 v12, v12, v14, vcc
	v_lshlrev_b32_e32 v14, 24, v13
	v_mov_b32_e32 v15, 0x3b800000
	v_lshlrev_b32_e32 v11, 20, v11
	v_and_b32_e32 v14, 0x80000000, v14
	v_lshl_add_u32 v12, v12, 23, v15
	v_or3_b32 v11, v14, v12, v11
.LBB42_616:
	s_or_b64 exec, exec, s[6:7]
	s_nop 0
	v_mfma_f32_16x16x4f32 a[0:3], v10, v11, a[0:3]
	v_lshrrev_b32_e32 v11, 8, v17
	s_movk_i32 s4, 0x7f
	v_cmp_gt_i16_sdwa s[6:7], v11, s4 src0_sel:BYTE_0 src1_sel:DWORD
	s_mov_b64 s[4:5], 0
                                        ; implicit-def: $sgpr10
	s_and_saveexec_b64 s[8:9], s[6:7]
	s_xor_b64 s[6:7], exec, s[8:9]
	s_cbranch_execnz .LBB42_2665
; %bb.617:
	s_or_saveexec_b64 s[6:7], s[6:7]
	v_mov_b32_e32 v10, s10
	s_xor_b64 exec, exec, s[6:7]
	s_cbranch_execnz .LBB42_2668
.LBB42_618:
	s_or_b64 exec, exec, s[6:7]
	s_and_saveexec_b64 s[6:7], s[4:5]
	s_cbranch_execz .LBB42_620
.LBB42_619:
	v_bfe_u32 v10, v17, 8, 3
	v_ffbh_u32_e32 v14, v10
	v_min_u32_e32 v14, 32, v14
	v_lshrrev_b16_e32 v12, 3, v11
	v_subrev_u32_e32 v15, 28, v14
	v_and_b32_e32 v12, 15, v12
	v_lshlrev_b32_e32 v11, v15, v11
	v_sub_u32_e32 v14, 29, v14
	v_and_b32_e32 v11, 7, v11
	v_cmp_eq_u16_e32 vcc, 0, v12
	v_cndmask_b32_e32 v10, v10, v11, vcc
	v_cndmask_b32_e32 v11, v12, v14, vcc
	v_lshlrev_b32_e32 v12, 16, v17
	v_mov_b32_e32 v14, 0x3b800000
	v_lshlrev_b32_e32 v10, 20, v10
	v_and_b32_e32 v12, 0x80000000, v12
	v_lshl_add_u32 v11, v11, 23, v14
	v_or3_b32 v10, v12, v11, v10
.LBB42_620:
	s_or_b64 exec, exec, s[6:7]
	v_lshrrev_b32_e32 v11, 8, v13
	s_movk_i32 s4, 0x7f
	v_cmp_gt_i16_sdwa s[6:7], v11, s4 src0_sel:BYTE_0 src1_sel:DWORD
	s_mov_b64 s[4:5], 0
                                        ; implicit-def: $sgpr10
	s_and_saveexec_b64 s[8:9], s[6:7]
	s_xor_b64 s[6:7], exec, s[8:9]
	s_cbranch_execnz .LBB42_2669
; %bb.621:
	s_or_saveexec_b64 s[6:7], s[6:7]
	v_mov_b32_e32 v12, s10
	s_xor_b64 exec, exec, s[6:7]
	s_cbranch_execnz .LBB42_2672
.LBB42_622:
	s_or_b64 exec, exec, s[6:7]
	s_and_saveexec_b64 s[6:7], s[4:5]
	s_cbranch_execz .LBB42_624
.LBB42_623:
	v_bfe_u32 v12, v13, 8, 3
	v_ffbh_u32_e32 v15, v12
	v_min_u32_e32 v15, 32, v15
	v_lshrrev_b16_e32 v14, 3, v11
	v_subrev_u32_e32 v16, 28, v15
	v_and_b32_e32 v14, 15, v14
	v_lshlrev_b32_e32 v11, v16, v11
	v_sub_u32_e32 v15, 29, v15
	v_and_b32_e32 v11, 7, v11
	v_cmp_eq_u16_e32 vcc, 0, v14
	v_cndmask_b32_e32 v11, v12, v11, vcc
	v_cndmask_b32_e32 v12, v14, v15, vcc
	v_lshlrev_b32_e32 v14, 16, v13
	v_mov_b32_e32 v15, 0x3b800000
	v_lshlrev_b32_e32 v11, 20, v11
	v_and_b32_e32 v14, 0x80000000, v14
	v_lshl_add_u32 v12, v12, 23, v15
	v_or3_b32 v12, v14, v12, v11
.LBB42_624:
	s_or_b64 exec, exec, s[6:7]
	s_nop 0
	v_mfma_f32_16x16x4f32 a[0:3], v10, v12, a[0:3]
	s_movk_i32 s4, 0xff
	v_and_b32_sdwa v11, v17, s4 dst_sel:DWORD dst_unused:UNUSED_PAD src0_sel:WORD_1 src1_sel:DWORD
	s_movk_i32 s4, 0x7f
	v_cmp_lt_i16_e32 vcc, s4, v11
	s_mov_b64 s[4:5], 0
                                        ; implicit-def: $sgpr10
	s_and_saveexec_b64 s[6:7], vcc
	s_xor_b64 s[6:7], exec, s[6:7]
	s_cbranch_execnz .LBB42_2673
; %bb.625:
	s_or_saveexec_b64 s[6:7], s[6:7]
	v_mov_b32_e32 v10, s10
	s_xor_b64 exec, exec, s[6:7]
	s_cbranch_execnz .LBB42_2676
.LBB42_626:
	s_or_b64 exec, exec, s[6:7]
	s_and_saveexec_b64 s[6:7], s[4:5]
	s_cbranch_execz .LBB42_628
.LBB42_627:
	v_bfe_u32 v10, v17, 16, 3
	v_ffbh_u32_e32 v14, v10
	v_min_u32_e32 v14, 32, v14
	v_lshrrev_b32_e32 v11, 19, v17
	v_subrev_u32_e32 v15, 28, v14
	v_and_b32_e32 v11, 15, v11
	v_lshlrev_b32_sdwa v15, v15, v17 dst_sel:DWORD dst_unused:UNUSED_PAD src0_sel:DWORD src1_sel:WORD_1
	v_bfe_u32 v12, v17, 19, 4
	v_sub_u32_e32 v14, 29, v14
	v_and_b32_e32 v15, 7, v15
	v_cmp_eq_u16_e32 vcc, 0, v11
	v_cndmask_b32_e32 v10, v10, v15, vcc
	v_cndmask_b32_e32 v11, v12, v14, vcc
	v_lshlrev_b32_e32 v12, 8, v17
	v_mov_b32_e32 v14, 0x3b800000
	v_lshlrev_b32_e32 v10, 20, v10
	v_and_b32_e32 v12, 0x80000000, v12
	v_lshl_add_u32 v11, v11, 23, v14
	v_or3_b32 v10, v12, v11, v10
.LBB42_628:
	s_or_b64 exec, exec, s[6:7]
	s_movk_i32 s4, 0xff
	v_and_b32_sdwa v11, v13, s4 dst_sel:DWORD dst_unused:UNUSED_PAD src0_sel:WORD_1 src1_sel:DWORD
	s_movk_i32 s4, 0x7f
	v_cmp_lt_i16_e32 vcc, s4, v11
	s_mov_b64 s[4:5], 0
                                        ; implicit-def: $sgpr10
	s_and_saveexec_b64 s[6:7], vcc
	s_xor_b64 s[6:7], exec, s[6:7]
	s_cbranch_execnz .LBB42_2677
; %bb.629:
	s_or_saveexec_b64 s[6:7], s[6:7]
	v_mov_b32_e32 v12, s10
	s_xor_b64 exec, exec, s[6:7]
	s_cbranch_execnz .LBB42_2680
.LBB42_630:
	s_or_b64 exec, exec, s[6:7]
	s_and_saveexec_b64 s[6:7], s[4:5]
	s_cbranch_execz .LBB42_632
.LBB42_631:
	v_bfe_u32 v11, v13, 16, 3
	v_ffbh_u32_e32 v15, v11
	v_min_u32_e32 v15, 32, v15
	v_lshrrev_b32_e32 v12, 19, v13
	v_subrev_u32_e32 v16, 28, v15
	v_and_b32_e32 v12, 15, v12
	v_lshlrev_b32_sdwa v16, v16, v13 dst_sel:DWORD dst_unused:UNUSED_PAD src0_sel:DWORD src1_sel:WORD_1
	v_bfe_u32 v14, v13, 19, 4
	v_sub_u32_e32 v15, 29, v15
	v_and_b32_e32 v16, 7, v16
	v_cmp_eq_u16_e32 vcc, 0, v12
	v_cndmask_b32_e32 v11, v11, v16, vcc
	v_cndmask_b32_e32 v12, v14, v15, vcc
	v_lshlrev_b32_e32 v14, 8, v13
	v_mov_b32_e32 v15, 0x3b800000
	v_lshlrev_b32_e32 v11, 20, v11
	v_and_b32_e32 v14, 0x80000000, v14
	v_lshl_add_u32 v12, v12, 23, v15
	v_or3_b32 v12, v14, v12, v11
.LBB42_632:
	s_or_b64 exec, exec, s[6:7]
	s_nop 0
	v_mfma_f32_16x16x4f32 a[0:3], v10, v12, a[0:3]
	s_movk_i32 s4, 0x7f
	v_cmp_gt_i16_sdwa s[6:7], v17, s4 src0_sel:BYTE_3 src1_sel:DWORD
	s_mov_b64 s[4:5], 0
                                        ; implicit-def: $sgpr10
	s_and_saveexec_b64 s[8:9], s[6:7]
	s_xor_b64 s[6:7], exec, s[8:9]
	s_cbranch_execnz .LBB42_2681
; %bb.633:
	s_or_saveexec_b64 s[6:7], s[6:7]
	v_mov_b32_e32 v10, s10
	s_xor_b64 exec, exec, s[6:7]
	s_cbranch_execnz .LBB42_2684
.LBB42_634:
	s_or_b64 exec, exec, s[6:7]
	s_and_saveexec_b64 s[6:7], s[4:5]
	s_cbranch_execz .LBB42_636
.LBB42_635:
	v_bfe_u32 v10, v17, 24, 3
	v_ffbh_u32_e32 v15, v10
	v_min_u32_e32 v15, 32, v15
	v_lshrrev_b32_e32 v12, 27, v17
	v_subrev_u32_e32 v16, 28, v15
	v_and_b32_e32 v12, 15, v12
	v_lshlrev_b32_sdwa v16, v16, v17 dst_sel:DWORD dst_unused:UNUSED_PAD src0_sel:DWORD src1_sel:BYTE_3
	v_bfe_u32 v14, v17, 27, 4
	v_sub_u32_e32 v15, 29, v15
	v_and_b32_e32 v16, 7, v16
	v_cmp_eq_u16_e32 vcc, 0, v12
	v_cndmask_b32_e32 v10, v10, v16, vcc
	v_cndmask_b32_e32 v12, v14, v15, vcc
	v_mov_b32_e32 v14, 0x3b800000
	v_and_b32_e32 v11, 0x80000000, v17
	v_lshlrev_b32_e32 v10, 20, v10
	v_lshl_add_u32 v12, v12, 23, v14
	v_or3_b32 v10, v11, v12, v10
.LBB42_636:
	s_or_b64 exec, exec, s[6:7]
	s_movk_i32 s4, 0x7f
	v_cmp_gt_i16_sdwa s[6:7], v13, s4 src0_sel:BYTE_3 src1_sel:DWORD
	s_mov_b64 s[4:5], 0
                                        ; implicit-def: $sgpr10
	s_and_saveexec_b64 s[8:9], s[6:7]
	s_xor_b64 s[6:7], exec, s[8:9]
	s_cbranch_execnz .LBB42_2685
; %bb.637:
	s_or_saveexec_b64 s[6:7], s[6:7]
	v_mov_b32_e32 v11, s10
	s_xor_b64 exec, exec, s[6:7]
	s_cbranch_execnz .LBB42_2688
.LBB42_638:
	s_or_b64 exec, exec, s[6:7]
	s_and_saveexec_b64 s[6:7], s[4:5]
	s_cbranch_execz .LBB42_640
.LBB42_639:
	v_bfe_u32 v11, v13, 24, 3
	v_ffbh_u32_e32 v16, v11
	v_min_u32_e32 v16, 32, v16
	v_lshrrev_b32_e32 v14, 27, v13
	v_subrev_u32_e32 v17, 28, v16
	v_and_b32_e32 v12, 0x80000000, v13
	v_and_b32_e32 v14, 15, v14
	v_bfe_u32 v15, v13, 27, 4
	v_lshlrev_b32_sdwa v13, v17, v13 dst_sel:DWORD dst_unused:UNUSED_PAD src0_sel:DWORD src1_sel:BYTE_3
	v_sub_u32_e32 v16, 29, v16
	v_and_b32_e32 v13, 7, v13
	v_cmp_eq_u16_e32 vcc, 0, v14
	v_cndmask_b32_e32 v11, v11, v13, vcc
	v_cndmask_b32_e32 v13, v15, v16, vcc
	v_mov_b32_e32 v14, 0x3b800000
	v_lshlrev_b32_e32 v11, 20, v11
	v_lshl_add_u32 v13, v13, 23, v14
	v_or3_b32 v11, v12, v13, v11
.LBB42_640:
	s_or_b64 exec, exec, s[6:7]
	s_nop 0
	v_mfma_f32_16x16x4f32 a[0:3], v10, v11, a[0:3]
	s_movk_i32 s4, 0x7f
	v_cmp_gt_i16_sdwa s[6:7], v6, s4 src0_sel:BYTE_0 src1_sel:DWORD
	s_mov_b64 s[4:5], 0
                                        ; implicit-def: $sgpr10
	s_and_saveexec_b64 s[8:9], s[6:7]
	s_xor_b64 s[6:7], exec, s[8:9]
	s_cbranch_execnz .LBB42_2689
; %bb.641:
	s_or_saveexec_b64 s[6:7], s[6:7]
	v_mov_b32_e32 v10, s10
	s_xor_b64 exec, exec, s[6:7]
	s_cbranch_execnz .LBB42_2692
.LBB42_642:
	s_or_b64 exec, exec, s[6:7]
	s_and_saveexec_b64 s[6:7], s[4:5]
	s_cbranch_execz .LBB42_644
.LBB42_643:
	v_and_b32_e32 v10, 7, v6
	v_ffbh_u32_e32 v12, v10
	v_min_u32_e32 v12, 32, v12
	v_lshrrev_b16_e32 v11, 3, v6
	v_subrev_u32_e32 v13, 28, v12
	v_and_b32_e32 v11, 15, v11
	v_lshlrev_b32_e32 v13, v13, v6
	v_sub_u32_e32 v12, 29, v12
	v_and_b32_e32 v13, 7, v13
	v_cmp_eq_u16_e32 vcc, 0, v11
	v_cndmask_b32_e32 v10, v10, v13, vcc
	v_cndmask_b32_e32 v11, v11, v12, vcc
	v_lshlrev_b32_e32 v12, 24, v6
	v_mov_b32_e32 v13, 0x3b800000
	v_lshlrev_b32_e32 v10, 20, v10
	v_and_b32_e32 v12, 0x80000000, v12
	v_lshl_add_u32 v11, v11, 23, v13
	v_or3_b32 v10, v12, v11, v10
.LBB42_644:
	s_or_b64 exec, exec, s[6:7]
	s_movk_i32 s4, 0x7f
	v_cmp_gt_i16_sdwa s[6:7], v2, s4 src0_sel:BYTE_0 src1_sel:DWORD
	s_mov_b64 s[4:5], 0
                                        ; implicit-def: $sgpr10
	s_and_saveexec_b64 s[8:9], s[6:7]
	s_xor_b64 s[6:7], exec, s[8:9]
	s_cbranch_execnz .LBB42_2693
; %bb.645:
	s_or_saveexec_b64 s[6:7], s[6:7]
	v_mov_b32_e32 v11, s10
	s_xor_b64 exec, exec, s[6:7]
	s_cbranch_execnz .LBB42_2696
.LBB42_646:
	s_or_b64 exec, exec, s[6:7]
	s_and_saveexec_b64 s[6:7], s[4:5]
	s_cbranch_execz .LBB42_648
.LBB42_647:
	v_and_b32_e32 v11, 7, v2
	v_ffbh_u32_e32 v13, v11
	v_min_u32_e32 v13, 32, v13
	v_lshrrev_b16_e32 v12, 3, v2
	v_subrev_u32_e32 v14, 28, v13
	v_and_b32_e32 v12, 15, v12
	v_lshlrev_b32_e32 v14, v14, v2
	v_sub_u32_e32 v13, 29, v13
	v_and_b32_e32 v14, 7, v14
	v_cmp_eq_u16_e32 vcc, 0, v12
	v_cndmask_b32_e32 v11, v11, v14, vcc
	v_cndmask_b32_e32 v12, v12, v13, vcc
	v_lshlrev_b32_e32 v13, 24, v2
	v_mov_b32_e32 v14, 0x3b800000
	v_lshlrev_b32_e32 v11, 20, v11
	v_and_b32_e32 v13, 0x80000000, v13
	v_lshl_add_u32 v12, v12, 23, v14
	v_or3_b32 v11, v13, v12, v11
.LBB42_648:
	s_or_b64 exec, exec, s[6:7]
	s_nop 0
	v_mfma_f32_16x16x4f32 a[0:3], v10, v11, a[0:3]
	v_lshrrev_b32_e32 v11, 8, v6
	s_movk_i32 s4, 0x7f
	v_cmp_gt_i16_sdwa s[6:7], v11, s4 src0_sel:BYTE_0 src1_sel:DWORD
	s_mov_b64 s[4:5], 0
                                        ; implicit-def: $sgpr10
	s_and_saveexec_b64 s[8:9], s[6:7]
	s_xor_b64 s[6:7], exec, s[8:9]
	s_cbranch_execnz .LBB42_2697
; %bb.649:
	s_or_saveexec_b64 s[6:7], s[6:7]
	v_mov_b32_e32 v10, s10
	s_xor_b64 exec, exec, s[6:7]
	s_cbranch_execnz .LBB42_2700
.LBB42_650:
	s_or_b64 exec, exec, s[6:7]
	s_and_saveexec_b64 s[6:7], s[4:5]
	s_cbranch_execz .LBB42_652
.LBB42_651:
	v_bfe_u32 v10, v6, 8, 3
	v_ffbh_u32_e32 v13, v10
	v_min_u32_e32 v13, 32, v13
	v_lshrrev_b16_e32 v12, 3, v11
	v_subrev_u32_e32 v14, 28, v13
	v_and_b32_e32 v12, 15, v12
	v_lshlrev_b32_e32 v11, v14, v11
	v_sub_u32_e32 v13, 29, v13
	v_and_b32_e32 v11, 7, v11
	v_cmp_eq_u16_e32 vcc, 0, v12
	v_cndmask_b32_e32 v10, v10, v11, vcc
	v_cndmask_b32_e32 v11, v12, v13, vcc
	v_lshlrev_b32_e32 v12, 16, v6
	v_mov_b32_e32 v13, 0x3b800000
	v_lshlrev_b32_e32 v10, 20, v10
	v_and_b32_e32 v12, 0x80000000, v12
	v_lshl_add_u32 v11, v11, 23, v13
	v_or3_b32 v10, v12, v11, v10
.LBB42_652:
	s_or_b64 exec, exec, s[6:7]
	v_lshrrev_b32_e32 v11, 8, v2
	s_movk_i32 s4, 0x7f
	v_cmp_gt_i16_sdwa s[6:7], v11, s4 src0_sel:BYTE_0 src1_sel:DWORD
	s_mov_b64 s[4:5], 0
                                        ; implicit-def: $sgpr10
	s_and_saveexec_b64 s[8:9], s[6:7]
	s_xor_b64 s[6:7], exec, s[8:9]
	s_cbranch_execnz .LBB42_2701
; %bb.653:
	s_or_saveexec_b64 s[6:7], s[6:7]
	v_mov_b32_e32 v12, s10
	s_xor_b64 exec, exec, s[6:7]
	s_cbranch_execnz .LBB42_2704
.LBB42_654:
	s_or_b64 exec, exec, s[6:7]
	s_and_saveexec_b64 s[6:7], s[4:5]
	s_cbranch_execz .LBB42_656
.LBB42_655:
	v_bfe_u32 v12, v2, 8, 3
	v_ffbh_u32_e32 v14, v12
	v_min_u32_e32 v14, 32, v14
	v_lshrrev_b16_e32 v13, 3, v11
	v_subrev_u32_e32 v15, 28, v14
	v_and_b32_e32 v13, 15, v13
	v_lshlrev_b32_e32 v11, v15, v11
	v_sub_u32_e32 v14, 29, v14
	v_and_b32_e32 v11, 7, v11
	v_cmp_eq_u16_e32 vcc, 0, v13
	v_cndmask_b32_e32 v11, v12, v11, vcc
	v_cndmask_b32_e32 v12, v13, v14, vcc
	v_lshlrev_b32_e32 v13, 16, v2
	v_mov_b32_e32 v14, 0x3b800000
	v_lshlrev_b32_e32 v11, 20, v11
	v_and_b32_e32 v13, 0x80000000, v13
	v_lshl_add_u32 v12, v12, 23, v14
	v_or3_b32 v12, v13, v12, v11
.LBB42_656:
	s_or_b64 exec, exec, s[6:7]
	s_nop 0
	v_mfma_f32_16x16x4f32 a[0:3], v10, v12, a[0:3]
	s_movk_i32 s4, 0xff
	v_and_b32_sdwa v11, v6, s4 dst_sel:DWORD dst_unused:UNUSED_PAD src0_sel:WORD_1 src1_sel:DWORD
	s_movk_i32 s4, 0x7f
	v_cmp_lt_i16_e32 vcc, s4, v11
	s_mov_b64 s[4:5], 0
                                        ; implicit-def: $sgpr10
	s_and_saveexec_b64 s[6:7], vcc
	s_xor_b64 s[6:7], exec, s[6:7]
	s_cbranch_execnz .LBB42_2705
; %bb.657:
	s_or_saveexec_b64 s[6:7], s[6:7]
	v_mov_b32_e32 v10, s10
	s_xor_b64 exec, exec, s[6:7]
	s_cbranch_execnz .LBB42_2708
.LBB42_658:
	s_or_b64 exec, exec, s[6:7]
	s_and_saveexec_b64 s[6:7], s[4:5]
	s_cbranch_execz .LBB42_660
.LBB42_659:
	v_bfe_u32 v10, v6, 16, 3
	v_ffbh_u32_e32 v13, v10
	v_min_u32_e32 v13, 32, v13
	v_lshrrev_b32_e32 v11, 19, v6
	v_subrev_u32_e32 v14, 28, v13
	v_and_b32_e32 v11, 15, v11
	v_lshlrev_b32_sdwa v14, v14, v6 dst_sel:DWORD dst_unused:UNUSED_PAD src0_sel:DWORD src1_sel:WORD_1
	v_bfe_u32 v12, v6, 19, 4
	v_sub_u32_e32 v13, 29, v13
	v_and_b32_e32 v14, 7, v14
	v_cmp_eq_u16_e32 vcc, 0, v11
	v_cndmask_b32_e32 v10, v10, v14, vcc
	v_cndmask_b32_e32 v11, v12, v13, vcc
	v_lshlrev_b32_e32 v12, 8, v6
	v_mov_b32_e32 v13, 0x3b800000
	v_lshlrev_b32_e32 v10, 20, v10
	v_and_b32_e32 v12, 0x80000000, v12
	v_lshl_add_u32 v11, v11, 23, v13
	v_or3_b32 v10, v12, v11, v10
.LBB42_660:
	s_or_b64 exec, exec, s[6:7]
	s_movk_i32 s4, 0xff
	v_and_b32_sdwa v11, v2, s4 dst_sel:DWORD dst_unused:UNUSED_PAD src0_sel:WORD_1 src1_sel:DWORD
	s_movk_i32 s4, 0x7f
	v_cmp_lt_i16_e32 vcc, s4, v11
	s_mov_b64 s[4:5], 0
                                        ; implicit-def: $sgpr10
	s_and_saveexec_b64 s[6:7], vcc
	s_xor_b64 s[6:7], exec, s[6:7]
	s_cbranch_execnz .LBB42_2709
; %bb.661:
	s_or_saveexec_b64 s[6:7], s[6:7]
	v_mov_b32_e32 v12, s10
	s_xor_b64 exec, exec, s[6:7]
	s_cbranch_execnz .LBB42_2712
.LBB42_662:
	s_or_b64 exec, exec, s[6:7]
	s_and_saveexec_b64 s[6:7], s[4:5]
	s_cbranch_execz .LBB42_664
.LBB42_663:
	v_bfe_u32 v11, v2, 16, 3
	v_ffbh_u32_e32 v14, v11
	v_min_u32_e32 v14, 32, v14
	v_lshrrev_b32_e32 v12, 19, v2
	v_subrev_u32_e32 v15, 28, v14
	v_and_b32_e32 v12, 15, v12
	v_lshlrev_b32_sdwa v15, v15, v2 dst_sel:DWORD dst_unused:UNUSED_PAD src0_sel:DWORD src1_sel:WORD_1
	v_bfe_u32 v13, v2, 19, 4
	v_sub_u32_e32 v14, 29, v14
	v_and_b32_e32 v15, 7, v15
	v_cmp_eq_u16_e32 vcc, 0, v12
	v_cndmask_b32_e32 v11, v11, v15, vcc
	v_cndmask_b32_e32 v12, v13, v14, vcc
	v_lshlrev_b32_e32 v13, 8, v2
	v_mov_b32_e32 v14, 0x3b800000
	v_lshlrev_b32_e32 v11, 20, v11
	v_and_b32_e32 v13, 0x80000000, v13
	v_lshl_add_u32 v12, v12, 23, v14
	v_or3_b32 v12, v13, v12, v11
.LBB42_664:
	s_or_b64 exec, exec, s[6:7]
	s_nop 0
	v_mfma_f32_16x16x4f32 a[0:3], v10, v12, a[0:3]
	s_movk_i32 s4, 0x7f
	v_cmp_gt_i16_sdwa s[6:7], v6, s4 src0_sel:BYTE_3 src1_sel:DWORD
	s_mov_b64 s[4:5], 0
                                        ; implicit-def: $sgpr10
	s_and_saveexec_b64 s[8:9], s[6:7]
	s_xor_b64 s[6:7], exec, s[8:9]
	s_cbranch_execnz .LBB42_2713
; %bb.665:
	s_or_saveexec_b64 s[6:7], s[6:7]
	v_mov_b32_e32 v10, s10
	s_xor_b64 exec, exec, s[6:7]
	s_cbranch_execnz .LBB42_2716
.LBB42_666:
	s_or_b64 exec, exec, s[6:7]
	s_and_saveexec_b64 s[6:7], s[4:5]
	s_cbranch_execz .LBB42_668
.LBB42_667:
	v_bfe_u32 v10, v6, 24, 3
	v_ffbh_u32_e32 v14, v10
	v_min_u32_e32 v14, 32, v14
	v_lshrrev_b32_e32 v12, 27, v6
	v_subrev_u32_e32 v15, 28, v14
	v_and_b32_e32 v11, 0x80000000, v6
	v_and_b32_e32 v12, 15, v12
	v_bfe_u32 v13, v6, 27, 4
	v_lshlrev_b32_sdwa v6, v15, v6 dst_sel:DWORD dst_unused:UNUSED_PAD src0_sel:DWORD src1_sel:BYTE_3
	v_sub_u32_e32 v14, 29, v14
	v_and_b32_e32 v6, 7, v6
	v_cmp_eq_u16_e32 vcc, 0, v12
	v_cndmask_b32_e32 v6, v10, v6, vcc
	v_cndmask_b32_e32 v10, v13, v14, vcc
	v_mov_b32_e32 v12, 0x3b800000
	v_lshlrev_b32_e32 v6, 20, v6
	v_lshl_add_u32 v10, v10, 23, v12
	v_or3_b32 v10, v11, v10, v6
.LBB42_668:
	s_or_b64 exec, exec, s[6:7]
	s_movk_i32 s4, 0x7f
	v_cmp_gt_i16_sdwa s[6:7], v2, s4 src0_sel:BYTE_3 src1_sel:DWORD
	s_mov_b64 s[4:5], 0
                                        ; implicit-def: $sgpr10
	s_and_saveexec_b64 s[8:9], s[6:7]
	s_xor_b64 s[6:7], exec, s[8:9]
	s_cbranch_execnz .LBB42_2717
; %bb.669:
	s_or_saveexec_b64 s[6:7], s[6:7]
	v_mov_b32_e32 v6, s10
	s_xor_b64 exec, exec, s[6:7]
	s_cbranch_execnz .LBB42_2720
.LBB42_670:
	s_or_b64 exec, exec, s[6:7]
	s_and_saveexec_b64 s[6:7], s[4:5]
	s_cbranch_execz .LBB42_672
.LBB42_671:
	v_bfe_u32 v6, v2, 24, 3
	v_ffbh_u32_e32 v14, v6
	v_min_u32_e32 v14, 32, v14
	v_lshrrev_b32_e32 v12, 27, v2
	v_subrev_u32_e32 v15, 28, v14
	v_and_b32_e32 v11, 0x80000000, v2
	v_and_b32_e32 v12, 15, v12
	v_bfe_u32 v13, v2, 27, 4
	v_lshlrev_b32_sdwa v2, v15, v2 dst_sel:DWORD dst_unused:UNUSED_PAD src0_sel:DWORD src1_sel:BYTE_3
	v_sub_u32_e32 v14, 29, v14
	v_and_b32_e32 v2, 7, v2
	v_cmp_eq_u16_e32 vcc, 0, v12
	v_cndmask_b32_e32 v2, v6, v2, vcc
	v_cndmask_b32_e32 v6, v13, v14, vcc
	v_mov_b32_e32 v12, 0x3b800000
	v_lshlrev_b32_e32 v2, 20, v2
	v_lshl_add_u32 v6, v6, 23, v12
	v_or3_b32 v6, v11, v6, v2
.LBB42_672:
	s_or_b64 exec, exec, s[6:7]
	s_nop 0
	v_mfma_f32_16x16x4f32 a[0:3], v10, v6, a[0:3]
	s_movk_i32 s4, 0x7f
	v_cmp_gt_i16_sdwa s[6:7], v7, s4 src0_sel:BYTE_0 src1_sel:DWORD
	s_mov_b64 s[4:5], 0
                                        ; implicit-def: $sgpr10
	s_and_saveexec_b64 s[8:9], s[6:7]
	s_xor_b64 s[6:7], exec, s[8:9]
	s_cbranch_execnz .LBB42_2721
; %bb.673:
	s_or_saveexec_b64 s[6:7], s[6:7]
	v_mov_b32_e32 v2, s10
	s_xor_b64 exec, exec, s[6:7]
	s_cbranch_execnz .LBB42_2724
.LBB42_674:
	s_or_b64 exec, exec, s[6:7]
	s_and_saveexec_b64 s[6:7], s[4:5]
	s_cbranch_execz .LBB42_676
.LBB42_675:
	v_and_b32_e32 v2, 7, v7
	v_ffbh_u32_e32 v10, v2
	v_min_u32_e32 v10, 32, v10
	v_lshrrev_b16_e32 v6, 3, v7
	v_subrev_u32_e32 v11, 28, v10
	v_and_b32_e32 v6, 15, v6
	v_lshlrev_b32_e32 v11, v11, v7
	v_sub_u32_e32 v10, 29, v10
	v_and_b32_e32 v11, 7, v11
	v_cmp_eq_u16_e32 vcc, 0, v6
	v_cndmask_b32_e32 v2, v2, v11, vcc
	v_cndmask_b32_e32 v6, v6, v10, vcc
	v_lshlrev_b32_e32 v10, 24, v7
	v_mov_b32_e32 v11, 0x3b800000
	v_lshlrev_b32_e32 v2, 20, v2
	v_and_b32_e32 v10, 0x80000000, v10
	v_lshl_add_u32 v6, v6, 23, v11
	v_or3_b32 v2, v10, v6, v2
.LBB42_676:
	s_or_b64 exec, exec, s[6:7]
	s_movk_i32 s4, 0x7f
	v_cmp_gt_i16_sdwa s[6:7], v3, s4 src0_sel:BYTE_0 src1_sel:DWORD
	s_mov_b64 s[4:5], 0
                                        ; implicit-def: $sgpr10
	s_and_saveexec_b64 s[8:9], s[6:7]
	s_xor_b64 s[6:7], exec, s[8:9]
	s_cbranch_execnz .LBB42_2725
; %bb.677:
	s_or_saveexec_b64 s[6:7], s[6:7]
	v_mov_b32_e32 v6, s10
	s_xor_b64 exec, exec, s[6:7]
	s_cbranch_execnz .LBB42_2728
.LBB42_678:
	s_or_b64 exec, exec, s[6:7]
	s_and_saveexec_b64 s[6:7], s[4:5]
	s_cbranch_execz .LBB42_680
.LBB42_679:
	v_and_b32_e32 v6, 7, v3
	v_ffbh_u32_e32 v11, v6
	v_min_u32_e32 v11, 32, v11
	v_lshrrev_b16_e32 v10, 3, v3
	v_subrev_u32_e32 v12, 28, v11
	v_and_b32_e32 v10, 15, v10
	v_lshlrev_b32_e32 v12, v12, v3
	v_sub_u32_e32 v11, 29, v11
	v_and_b32_e32 v12, 7, v12
	v_cmp_eq_u16_e32 vcc, 0, v10
	v_cndmask_b32_e32 v6, v6, v12, vcc
	v_cndmask_b32_e32 v10, v10, v11, vcc
	v_lshlrev_b32_e32 v11, 24, v3
	v_mov_b32_e32 v12, 0x3b800000
	v_lshlrev_b32_e32 v6, 20, v6
	v_and_b32_e32 v11, 0x80000000, v11
	v_lshl_add_u32 v10, v10, 23, v12
	v_or3_b32 v6, v11, v10, v6
.LBB42_680:
	s_or_b64 exec, exec, s[6:7]
	s_nop 0
	v_mfma_f32_16x16x4f32 a[0:3], v2, v6, a[0:3]
	v_lshrrev_b32_e32 v6, 8, v7
	s_movk_i32 s4, 0x7f
	v_cmp_gt_i16_sdwa s[6:7], v6, s4 src0_sel:BYTE_0 src1_sel:DWORD
	s_mov_b64 s[4:5], 0
                                        ; implicit-def: $sgpr10
	s_and_saveexec_b64 s[8:9], s[6:7]
	s_xor_b64 s[6:7], exec, s[8:9]
	s_cbranch_execnz .LBB42_2729
; %bb.681:
	s_or_saveexec_b64 s[6:7], s[6:7]
	v_mov_b32_e32 v2, s10
	s_xor_b64 exec, exec, s[6:7]
	s_cbranch_execnz .LBB42_2732
.LBB42_682:
	s_or_b64 exec, exec, s[6:7]
	s_and_saveexec_b64 s[6:7], s[4:5]
	s_cbranch_execz .LBB42_684
.LBB42_683:
	v_bfe_u32 v2, v7, 8, 3
	v_ffbh_u32_e32 v11, v2
	v_min_u32_e32 v11, 32, v11
	v_lshrrev_b16_e32 v10, 3, v6
	v_subrev_u32_e32 v12, 28, v11
	v_and_b32_e32 v10, 15, v10
	v_lshlrev_b32_e32 v6, v12, v6
	v_sub_u32_e32 v11, 29, v11
	v_and_b32_e32 v6, 7, v6
	v_cmp_eq_u16_e32 vcc, 0, v10
	v_cndmask_b32_e32 v2, v2, v6, vcc
	v_cndmask_b32_e32 v6, v10, v11, vcc
	v_lshlrev_b32_e32 v10, 16, v7
	v_mov_b32_e32 v11, 0x3b800000
	v_lshlrev_b32_e32 v2, 20, v2
	v_and_b32_e32 v10, 0x80000000, v10
	v_lshl_add_u32 v6, v6, 23, v11
	v_or3_b32 v2, v10, v6, v2
.LBB42_684:
	s_or_b64 exec, exec, s[6:7]
	v_lshrrev_b32_e32 v6, 8, v3
	s_movk_i32 s4, 0x7f
	v_cmp_gt_i16_sdwa s[6:7], v6, s4 src0_sel:BYTE_0 src1_sel:DWORD
	s_mov_b64 s[4:5], 0
                                        ; implicit-def: $sgpr10
	s_and_saveexec_b64 s[8:9], s[6:7]
	s_xor_b64 s[6:7], exec, s[8:9]
	s_cbranch_execnz .LBB42_2733
; %bb.685:
	s_or_saveexec_b64 s[6:7], s[6:7]
	v_mov_b32_e32 v10, s10
	s_xor_b64 exec, exec, s[6:7]
	s_cbranch_execnz .LBB42_2736
.LBB42_686:
	s_or_b64 exec, exec, s[6:7]
	s_and_saveexec_b64 s[6:7], s[4:5]
	s_cbranch_execz .LBB42_688
.LBB42_687:
	v_bfe_u32 v10, v3, 8, 3
	v_ffbh_u32_e32 v12, v10
	v_min_u32_e32 v12, 32, v12
	v_lshrrev_b16_e32 v11, 3, v6
	v_subrev_u32_e32 v13, 28, v12
	v_and_b32_e32 v11, 15, v11
	v_lshlrev_b32_e32 v6, v13, v6
	v_sub_u32_e32 v12, 29, v12
	v_and_b32_e32 v6, 7, v6
	v_cmp_eq_u16_e32 vcc, 0, v11
	v_cndmask_b32_e32 v6, v10, v6, vcc
	v_cndmask_b32_e32 v10, v11, v12, vcc
	v_lshlrev_b32_e32 v11, 16, v3
	v_mov_b32_e32 v12, 0x3b800000
	v_lshlrev_b32_e32 v6, 20, v6
	v_and_b32_e32 v11, 0x80000000, v11
	v_lshl_add_u32 v10, v10, 23, v12
	v_or3_b32 v10, v11, v10, v6
.LBB42_688:
	s_or_b64 exec, exec, s[6:7]
	s_nop 0
	v_mfma_f32_16x16x4f32 a[0:3], v2, v10, a[0:3]
	s_movk_i32 s4, 0xff
	v_and_b32_sdwa v6, v7, s4 dst_sel:DWORD dst_unused:UNUSED_PAD src0_sel:WORD_1 src1_sel:DWORD
	s_movk_i32 s4, 0x7f
	v_cmp_lt_i16_e32 vcc, s4, v6
	s_mov_b64 s[4:5], 0
                                        ; implicit-def: $sgpr10
	s_and_saveexec_b64 s[6:7], vcc
	s_xor_b64 s[6:7], exec, s[6:7]
	s_cbranch_execnz .LBB42_2737
; %bb.689:
	s_or_saveexec_b64 s[6:7], s[6:7]
	v_mov_b32_e32 v2, s10
	s_xor_b64 exec, exec, s[6:7]
	s_cbranch_execnz .LBB42_2740
.LBB42_690:
	s_or_b64 exec, exec, s[6:7]
	s_and_saveexec_b64 s[6:7], s[4:5]
	s_cbranch_execz .LBB42_692
.LBB42_691:
	v_bfe_u32 v2, v7, 16, 3
	v_ffbh_u32_e32 v11, v2
	v_min_u32_e32 v11, 32, v11
	v_lshrrev_b32_e32 v6, 19, v7
	v_subrev_u32_e32 v12, 28, v11
	v_and_b32_e32 v6, 15, v6
	v_lshlrev_b32_sdwa v12, v12, v7 dst_sel:DWORD dst_unused:UNUSED_PAD src0_sel:DWORD src1_sel:WORD_1
	v_bfe_u32 v10, v7, 19, 4
	v_sub_u32_e32 v11, 29, v11
	v_and_b32_e32 v12, 7, v12
	v_cmp_eq_u16_e32 vcc, 0, v6
	v_cndmask_b32_e32 v2, v2, v12, vcc
	v_cndmask_b32_e32 v6, v10, v11, vcc
	v_lshlrev_b32_e32 v10, 8, v7
	v_mov_b32_e32 v11, 0x3b800000
	v_lshlrev_b32_e32 v2, 20, v2
	v_and_b32_e32 v10, 0x80000000, v10
	v_lshl_add_u32 v6, v6, 23, v11
	v_or3_b32 v2, v10, v6, v2
.LBB42_692:
	s_or_b64 exec, exec, s[6:7]
	s_movk_i32 s4, 0xff
	v_and_b32_sdwa v6, v3, s4 dst_sel:DWORD dst_unused:UNUSED_PAD src0_sel:WORD_1 src1_sel:DWORD
	s_movk_i32 s4, 0x7f
	v_cmp_lt_i16_e32 vcc, s4, v6
	s_mov_b64 s[4:5], 0
                                        ; implicit-def: $sgpr10
	s_and_saveexec_b64 s[6:7], vcc
	s_xor_b64 s[6:7], exec, s[6:7]
	s_cbranch_execnz .LBB42_2741
; %bb.693:
	s_or_saveexec_b64 s[6:7], s[6:7]
	v_mov_b32_e32 v10, s10
	s_xor_b64 exec, exec, s[6:7]
	s_cbranch_execnz .LBB42_2744
.LBB42_694:
	s_or_b64 exec, exec, s[6:7]
	s_and_saveexec_b64 s[6:7], s[4:5]
	s_cbranch_execz .LBB42_696
.LBB42_695:
	v_bfe_u32 v6, v3, 16, 3
	v_ffbh_u32_e32 v12, v6
	v_min_u32_e32 v12, 32, v12
	v_lshrrev_b32_e32 v10, 19, v3
	v_subrev_u32_e32 v13, 28, v12
	v_and_b32_e32 v10, 15, v10
	v_lshlrev_b32_sdwa v13, v13, v3 dst_sel:DWORD dst_unused:UNUSED_PAD src0_sel:DWORD src1_sel:WORD_1
	v_bfe_u32 v11, v3, 19, 4
	v_sub_u32_e32 v12, 29, v12
	v_and_b32_e32 v13, 7, v13
	v_cmp_eq_u16_e32 vcc, 0, v10
	v_cndmask_b32_e32 v6, v6, v13, vcc
	v_cndmask_b32_e32 v10, v11, v12, vcc
	v_lshlrev_b32_e32 v11, 8, v3
	v_mov_b32_e32 v12, 0x3b800000
	v_lshlrev_b32_e32 v6, 20, v6
	v_and_b32_e32 v11, 0x80000000, v11
	v_lshl_add_u32 v10, v10, 23, v12
	v_or3_b32 v10, v11, v10, v6
.LBB42_696:
	s_or_b64 exec, exec, s[6:7]
	s_nop 0
	v_mfma_f32_16x16x4f32 a[0:3], v2, v10, a[0:3]
	s_movk_i32 s4, 0x7f
	v_cmp_gt_i16_sdwa s[6:7], v7, s4 src0_sel:BYTE_3 src1_sel:DWORD
	s_mov_b64 s[4:5], 0
                                        ; implicit-def: $sgpr10
	s_and_saveexec_b64 s[8:9], s[6:7]
	s_xor_b64 s[6:7], exec, s[8:9]
	s_cbranch_execnz .LBB42_2745
; %bb.697:
	s_or_saveexec_b64 s[6:7], s[6:7]
	v_mov_b32_e32 v2, s10
	s_xor_b64 exec, exec, s[6:7]
	s_cbranch_execnz .LBB42_2748
.LBB42_698:
	s_or_b64 exec, exec, s[6:7]
	s_and_saveexec_b64 s[6:7], s[4:5]
	s_cbranch_execz .LBB42_700
.LBB42_699:
	v_bfe_u32 v2, v7, 24, 3
	v_ffbh_u32_e32 v12, v2
	v_min_u32_e32 v12, 32, v12
	v_lshrrev_b32_e32 v10, 27, v7
	v_subrev_u32_e32 v13, 28, v12
	v_and_b32_e32 v6, 0x80000000, v7
	v_and_b32_e32 v10, 15, v10
	v_bfe_u32 v11, v7, 27, 4
	v_lshlrev_b32_sdwa v7, v13, v7 dst_sel:DWORD dst_unused:UNUSED_PAD src0_sel:DWORD src1_sel:BYTE_3
	v_sub_u32_e32 v12, 29, v12
	v_and_b32_e32 v7, 7, v7
	v_cmp_eq_u16_e32 vcc, 0, v10
	v_cndmask_b32_e32 v2, v2, v7, vcc
	v_cndmask_b32_e32 v7, v11, v12, vcc
	v_mov_b32_e32 v10, 0x3b800000
	v_lshlrev_b32_e32 v2, 20, v2
	v_lshl_add_u32 v7, v7, 23, v10
	v_or3_b32 v2, v6, v7, v2
.LBB42_700:
	s_or_b64 exec, exec, s[6:7]
	s_movk_i32 s4, 0x7f
	v_cmp_gt_i16_sdwa s[6:7], v3, s4 src0_sel:BYTE_3 src1_sel:DWORD
	s_mov_b64 s[4:5], 0
                                        ; implicit-def: $sgpr10
	s_and_saveexec_b64 s[8:9], s[6:7]
	s_xor_b64 s[6:7], exec, s[8:9]
	s_cbranch_execnz .LBB42_2749
; %bb.701:
	s_or_saveexec_b64 s[6:7], s[6:7]
	v_mov_b32_e32 v6, s10
	s_xor_b64 exec, exec, s[6:7]
	s_cbranch_execnz .LBB42_2752
.LBB42_702:
	s_or_b64 exec, exec, s[6:7]
	s_and_saveexec_b64 s[6:7], s[4:5]
	s_cbranch_execz .LBB42_704
.LBB42_703:
	v_bfe_u32 v6, v3, 24, 3
	v_ffbh_u32_e32 v12, v6
	v_min_u32_e32 v12, 32, v12
	v_lshrrev_b32_e32 v10, 27, v3
	v_subrev_u32_e32 v13, 28, v12
	v_and_b32_e32 v7, 0x80000000, v3
	v_and_b32_e32 v10, 15, v10
	v_bfe_u32 v11, v3, 27, 4
	v_lshlrev_b32_sdwa v3, v13, v3 dst_sel:DWORD dst_unused:UNUSED_PAD src0_sel:DWORD src1_sel:BYTE_3
	v_sub_u32_e32 v12, 29, v12
	v_and_b32_e32 v3, 7, v3
	v_cmp_eq_u16_e32 vcc, 0, v10
	v_cndmask_b32_e32 v3, v6, v3, vcc
	v_cndmask_b32_e32 v6, v11, v12, vcc
	v_mov_b32_e32 v10, 0x3b800000
	v_lshlrev_b32_e32 v3, 20, v3
	v_lshl_add_u32 v6, v6, 23, v10
	v_or3_b32 v6, v7, v6, v3
.LBB42_704:
	s_or_b64 exec, exec, s[6:7]
	s_nop 0
	v_mfma_f32_16x16x4f32 a[0:3], v2, v6, a[0:3]
	s_movk_i32 s4, 0x7f
	v_cmp_gt_i16_sdwa s[6:7], v8, s4 src0_sel:BYTE_0 src1_sel:DWORD
	s_mov_b64 s[4:5], 0
                                        ; implicit-def: $sgpr10
	s_and_saveexec_b64 s[8:9], s[6:7]
	s_xor_b64 s[6:7], exec, s[8:9]
	s_cbranch_execnz .LBB42_2753
; %bb.705:
	s_or_saveexec_b64 s[6:7], s[6:7]
	v_mov_b32_e32 v2, s10
	s_xor_b64 exec, exec, s[6:7]
	s_cbranch_execnz .LBB42_2756
.LBB42_706:
	s_or_b64 exec, exec, s[6:7]
	s_and_saveexec_b64 s[6:7], s[4:5]
	s_cbranch_execz .LBB42_708
.LBB42_707:
	v_and_b32_e32 v2, 7, v8
	v_ffbh_u32_e32 v6, v2
	v_min_u32_e32 v6, 32, v6
	v_lshrrev_b16_e32 v3, 3, v8
	v_subrev_u32_e32 v7, 28, v6
	v_and_b32_e32 v3, 15, v3
	v_lshlrev_b32_e32 v7, v7, v8
	v_sub_u32_e32 v6, 29, v6
	v_and_b32_e32 v7, 7, v7
	v_cmp_eq_u16_e32 vcc, 0, v3
	v_cndmask_b32_e32 v2, v2, v7, vcc
	v_cndmask_b32_e32 v3, v3, v6, vcc
	v_lshlrev_b32_e32 v6, 24, v8
	v_mov_b32_e32 v7, 0x3b800000
	v_lshlrev_b32_e32 v2, 20, v2
	v_and_b32_e32 v6, 0x80000000, v6
	v_lshl_add_u32 v3, v3, 23, v7
	v_or3_b32 v2, v6, v3, v2
.LBB42_708:
	s_or_b64 exec, exec, s[6:7]
	s_movk_i32 s4, 0x7f
	v_cmp_gt_i16_sdwa s[6:7], v4, s4 src0_sel:BYTE_0 src1_sel:DWORD
	s_mov_b64 s[4:5], 0
                                        ; implicit-def: $sgpr10
	s_and_saveexec_b64 s[8:9], s[6:7]
	s_xor_b64 s[6:7], exec, s[8:9]
	s_cbranch_execnz .LBB42_2757
; %bb.709:
	s_or_saveexec_b64 s[6:7], s[6:7]
	v_mov_b32_e32 v3, s10
	s_xor_b64 exec, exec, s[6:7]
	s_cbranch_execnz .LBB42_2760
.LBB42_710:
	s_or_b64 exec, exec, s[6:7]
	s_and_saveexec_b64 s[6:7], s[4:5]
	s_cbranch_execz .LBB42_712
.LBB42_711:
	v_and_b32_e32 v3, 7, v4
	v_ffbh_u32_e32 v7, v3
	v_min_u32_e32 v7, 32, v7
	v_lshrrev_b16_e32 v6, 3, v4
	v_subrev_u32_e32 v10, 28, v7
	v_and_b32_e32 v6, 15, v6
	v_lshlrev_b32_e32 v10, v10, v4
	v_sub_u32_e32 v7, 29, v7
	v_and_b32_e32 v10, 7, v10
	v_cmp_eq_u16_e32 vcc, 0, v6
	v_cndmask_b32_e32 v3, v3, v10, vcc
	v_cndmask_b32_e32 v6, v6, v7, vcc
	v_lshlrev_b32_e32 v7, 24, v4
	v_mov_b32_e32 v10, 0x3b800000
	v_lshlrev_b32_e32 v3, 20, v3
	v_and_b32_e32 v7, 0x80000000, v7
	v_lshl_add_u32 v6, v6, 23, v10
	v_or3_b32 v3, v7, v6, v3
.LBB42_712:
	s_or_b64 exec, exec, s[6:7]
	s_nop 0
	v_mfma_f32_16x16x4f32 a[0:3], v2, v3, a[0:3]
	v_lshrrev_b32_e32 v3, 8, v8
	s_movk_i32 s4, 0x7f
	v_cmp_gt_i16_sdwa s[6:7], v3, s4 src0_sel:BYTE_0 src1_sel:DWORD
	s_mov_b64 s[4:5], 0
                                        ; implicit-def: $sgpr10
	s_and_saveexec_b64 s[8:9], s[6:7]
	s_xor_b64 s[6:7], exec, s[8:9]
	s_cbranch_execnz .LBB42_2761
; %bb.713:
	s_or_saveexec_b64 s[6:7], s[6:7]
	v_mov_b32_e32 v2, s10
	s_xor_b64 exec, exec, s[6:7]
	s_cbranch_execnz .LBB42_2764
.LBB42_714:
	s_or_b64 exec, exec, s[6:7]
	s_and_saveexec_b64 s[6:7], s[4:5]
	s_cbranch_execz .LBB42_716
.LBB42_715:
	v_bfe_u32 v2, v8, 8, 3
	v_ffbh_u32_e32 v7, v2
	v_min_u32_e32 v7, 32, v7
	v_lshrrev_b16_e32 v6, 3, v3
	v_subrev_u32_e32 v10, 28, v7
	v_and_b32_e32 v6, 15, v6
	v_lshlrev_b32_e32 v3, v10, v3
	v_sub_u32_e32 v7, 29, v7
	v_and_b32_e32 v3, 7, v3
	v_cmp_eq_u16_e32 vcc, 0, v6
	v_cndmask_b32_e32 v2, v2, v3, vcc
	v_cndmask_b32_e32 v3, v6, v7, vcc
	v_lshlrev_b32_e32 v6, 16, v8
	v_mov_b32_e32 v7, 0x3b800000
	v_lshlrev_b32_e32 v2, 20, v2
	v_and_b32_e32 v6, 0x80000000, v6
	v_lshl_add_u32 v3, v3, 23, v7
	v_or3_b32 v2, v6, v3, v2
.LBB42_716:
	s_or_b64 exec, exec, s[6:7]
	v_lshrrev_b32_e32 v3, 8, v4
	s_movk_i32 s4, 0x7f
	v_cmp_gt_i16_sdwa s[6:7], v3, s4 src0_sel:BYTE_0 src1_sel:DWORD
	s_mov_b64 s[4:5], 0
                                        ; implicit-def: $sgpr10
	s_and_saveexec_b64 s[8:9], s[6:7]
	s_xor_b64 s[6:7], exec, s[8:9]
	s_cbranch_execnz .LBB42_2765
; %bb.717:
	s_or_saveexec_b64 s[6:7], s[6:7]
	v_mov_b32_e32 v6, s10
	s_xor_b64 exec, exec, s[6:7]
	s_cbranch_execnz .LBB42_2768
.LBB42_718:
	s_or_b64 exec, exec, s[6:7]
	s_and_saveexec_b64 s[6:7], s[4:5]
	s_cbranch_execz .LBB42_720
.LBB42_719:
	v_bfe_u32 v6, v4, 8, 3
	v_ffbh_u32_e32 v10, v6
	v_min_u32_e32 v10, 32, v10
	v_lshrrev_b16_e32 v7, 3, v3
	v_subrev_u32_e32 v11, 28, v10
	v_and_b32_e32 v7, 15, v7
	v_lshlrev_b32_e32 v3, v11, v3
	v_sub_u32_e32 v10, 29, v10
	v_and_b32_e32 v3, 7, v3
	v_cmp_eq_u16_e32 vcc, 0, v7
	v_cndmask_b32_e32 v3, v6, v3, vcc
	v_cndmask_b32_e32 v6, v7, v10, vcc
	v_lshlrev_b32_e32 v7, 16, v4
	v_mov_b32_e32 v10, 0x3b800000
	v_lshlrev_b32_e32 v3, 20, v3
	v_and_b32_e32 v7, 0x80000000, v7
	v_lshl_add_u32 v6, v6, 23, v10
	v_or3_b32 v6, v7, v6, v3
.LBB42_720:
	s_or_b64 exec, exec, s[6:7]
	s_nop 0
	v_mfma_f32_16x16x4f32 a[0:3], v2, v6, a[0:3]
	s_movk_i32 s4, 0xff
	v_and_b32_sdwa v3, v8, s4 dst_sel:DWORD dst_unused:UNUSED_PAD src0_sel:WORD_1 src1_sel:DWORD
	s_movk_i32 s4, 0x7f
	v_cmp_lt_i16_e32 vcc, s4, v3
	s_mov_b64 s[4:5], 0
                                        ; implicit-def: $sgpr10
	s_and_saveexec_b64 s[6:7], vcc
	s_xor_b64 s[6:7], exec, s[6:7]
	s_cbranch_execnz .LBB42_2769
; %bb.721:
	s_or_saveexec_b64 s[6:7], s[6:7]
	v_mov_b32_e32 v2, s10
	s_xor_b64 exec, exec, s[6:7]
	s_cbranch_execnz .LBB42_2772
.LBB42_722:
	s_or_b64 exec, exec, s[6:7]
	s_and_saveexec_b64 s[6:7], s[4:5]
	s_cbranch_execz .LBB42_724
.LBB42_723:
	v_bfe_u32 v2, v8, 16, 3
	v_ffbh_u32_e32 v7, v2
	v_min_u32_e32 v7, 32, v7
	v_lshrrev_b32_e32 v3, 19, v8
	v_subrev_u32_e32 v10, 28, v7
	v_and_b32_e32 v3, 15, v3
	v_lshlrev_b32_sdwa v10, v10, v8 dst_sel:DWORD dst_unused:UNUSED_PAD src0_sel:DWORD src1_sel:WORD_1
	v_bfe_u32 v6, v8, 19, 4
	v_sub_u32_e32 v7, 29, v7
	v_and_b32_e32 v10, 7, v10
	v_cmp_eq_u16_e32 vcc, 0, v3
	v_cndmask_b32_e32 v2, v2, v10, vcc
	v_cndmask_b32_e32 v3, v6, v7, vcc
	v_lshlrev_b32_e32 v6, 8, v8
	v_mov_b32_e32 v7, 0x3b800000
	v_lshlrev_b32_e32 v2, 20, v2
	v_and_b32_e32 v6, 0x80000000, v6
	v_lshl_add_u32 v3, v3, 23, v7
	v_or3_b32 v2, v6, v3, v2
.LBB42_724:
	s_or_b64 exec, exec, s[6:7]
	s_movk_i32 s4, 0xff
	v_and_b32_sdwa v3, v4, s4 dst_sel:DWORD dst_unused:UNUSED_PAD src0_sel:WORD_1 src1_sel:DWORD
	s_movk_i32 s4, 0x7f
	v_cmp_lt_i16_e32 vcc, s4, v3
	s_mov_b64 s[4:5], 0
                                        ; implicit-def: $sgpr10
	s_and_saveexec_b64 s[6:7], vcc
	s_xor_b64 s[6:7], exec, s[6:7]
	s_cbranch_execnz .LBB42_2773
; %bb.725:
	s_or_saveexec_b64 s[6:7], s[6:7]
	v_mov_b32_e32 v6, s10
	s_xor_b64 exec, exec, s[6:7]
	s_cbranch_execnz .LBB42_2776
.LBB42_726:
	s_or_b64 exec, exec, s[6:7]
	s_and_saveexec_b64 s[6:7], s[4:5]
	s_cbranch_execz .LBB42_728
.LBB42_727:
	v_bfe_u32 v3, v4, 16, 3
	v_ffbh_u32_e32 v10, v3
	v_min_u32_e32 v10, 32, v10
	v_lshrrev_b32_e32 v6, 19, v4
	v_subrev_u32_e32 v11, 28, v10
	v_and_b32_e32 v6, 15, v6
	v_lshlrev_b32_sdwa v11, v11, v4 dst_sel:DWORD dst_unused:UNUSED_PAD src0_sel:DWORD src1_sel:WORD_1
	v_bfe_u32 v7, v4, 19, 4
	v_sub_u32_e32 v10, 29, v10
	v_and_b32_e32 v11, 7, v11
	v_cmp_eq_u16_e32 vcc, 0, v6
	v_cndmask_b32_e32 v3, v3, v11, vcc
	v_cndmask_b32_e32 v6, v7, v10, vcc
	v_lshlrev_b32_e32 v7, 8, v4
	v_mov_b32_e32 v10, 0x3b800000
	v_lshlrev_b32_e32 v3, 20, v3
	v_and_b32_e32 v7, 0x80000000, v7
	v_lshl_add_u32 v6, v6, 23, v10
	v_or3_b32 v6, v7, v6, v3
.LBB42_728:
	s_or_b64 exec, exec, s[6:7]
	s_nop 0
	v_mfma_f32_16x16x4f32 a[0:3], v2, v6, a[0:3]
	s_movk_i32 s4, 0x7f
	v_cmp_gt_i16_sdwa s[6:7], v8, s4 src0_sel:BYTE_3 src1_sel:DWORD
	s_mov_b64 s[4:5], 0
                                        ; implicit-def: $sgpr10
	s_and_saveexec_b64 s[8:9], s[6:7]
	s_xor_b64 s[6:7], exec, s[8:9]
	s_cbranch_execnz .LBB42_2777
; %bb.729:
	s_or_saveexec_b64 s[6:7], s[6:7]
	v_mov_b32_e32 v2, s10
	s_xor_b64 exec, exec, s[6:7]
	s_cbranch_execnz .LBB42_2780
.LBB42_730:
	s_or_b64 exec, exec, s[6:7]
	s_and_saveexec_b64 s[6:7], s[4:5]
	s_cbranch_execz .LBB42_732
.LBB42_731:
	v_bfe_u32 v2, v8, 24, 3
	v_ffbh_u32_e32 v10, v2
	v_min_u32_e32 v10, 32, v10
	v_lshrrev_b32_e32 v6, 27, v8
	v_subrev_u32_e32 v11, 28, v10
	v_and_b32_e32 v3, 0x80000000, v8
	v_and_b32_e32 v6, 15, v6
	v_bfe_u32 v7, v8, 27, 4
	v_lshlrev_b32_sdwa v8, v11, v8 dst_sel:DWORD dst_unused:UNUSED_PAD src0_sel:DWORD src1_sel:BYTE_3
	v_sub_u32_e32 v10, 29, v10
	v_and_b32_e32 v8, 7, v8
	v_cmp_eq_u16_e32 vcc, 0, v6
	v_cndmask_b32_e32 v2, v2, v8, vcc
	v_cndmask_b32_e32 v6, v7, v10, vcc
	v_mov_b32_e32 v7, 0x3b800000
	v_lshlrev_b32_e32 v2, 20, v2
	v_lshl_add_u32 v6, v6, 23, v7
	v_or3_b32 v2, v3, v6, v2
.LBB42_732:
	s_or_b64 exec, exec, s[6:7]
	s_movk_i32 s4, 0x7f
	v_cmp_gt_i16_sdwa s[6:7], v4, s4 src0_sel:BYTE_3 src1_sel:DWORD
	s_mov_b64 s[4:5], 0
                                        ; implicit-def: $sgpr10
	s_and_saveexec_b64 s[8:9], s[6:7]
	s_xor_b64 s[6:7], exec, s[8:9]
	s_cbranch_execnz .LBB42_2781
; %bb.733:
	s_or_saveexec_b64 s[6:7], s[6:7]
	v_mov_b32_e32 v3, s10
	s_xor_b64 exec, exec, s[6:7]
	s_cbranch_execnz .LBB42_2784
.LBB42_734:
	s_or_b64 exec, exec, s[6:7]
	s_and_saveexec_b64 s[6:7], s[4:5]
	s_cbranch_execz .LBB42_736
.LBB42_735:
	v_bfe_u32 v3, v4, 24, 3
	v_ffbh_u32_e32 v10, v3
	v_min_u32_e32 v10, 32, v10
	v_lshrrev_b32_e32 v7, 27, v4
	v_subrev_u32_e32 v11, 28, v10
	v_and_b32_e32 v6, 0x80000000, v4
	v_and_b32_e32 v7, 15, v7
	v_bfe_u32 v8, v4, 27, 4
	v_lshlrev_b32_sdwa v4, v11, v4 dst_sel:DWORD dst_unused:UNUSED_PAD src0_sel:DWORD src1_sel:BYTE_3
	v_sub_u32_e32 v10, 29, v10
	v_and_b32_e32 v4, 7, v4
	v_cmp_eq_u16_e32 vcc, 0, v7
	v_cndmask_b32_e32 v3, v3, v4, vcc
	v_cndmask_b32_e32 v4, v8, v10, vcc
	v_mov_b32_e32 v7, 0x3b800000
	v_lshlrev_b32_e32 v3, 20, v3
	v_lshl_add_u32 v4, v4, 23, v7
	v_or3_b32 v3, v6, v4, v3
.LBB42_736:
	s_or_b64 exec, exec, s[6:7]
	s_nop 0
	v_mfma_f32_16x16x4f32 a[0:3], v2, v3, a[0:3]
	s_movk_i32 s4, 0x7f
	v_cmp_gt_i16_sdwa s[6:7], v9, s4 src0_sel:BYTE_0 src1_sel:DWORD
	s_mov_b64 s[4:5], 0
                                        ; implicit-def: $sgpr10
	s_and_saveexec_b64 s[8:9], s[6:7]
	s_xor_b64 s[6:7], exec, s[8:9]
	s_cbranch_execnz .LBB42_2785
; %bb.737:
	s_or_saveexec_b64 s[6:7], s[6:7]
	v_mov_b32_e32 v2, s10
	s_xor_b64 exec, exec, s[6:7]
	s_cbranch_execnz .LBB42_2788
.LBB42_738:
	s_or_b64 exec, exec, s[6:7]
	s_and_saveexec_b64 s[6:7], s[4:5]
	s_cbranch_execz .LBB42_740
.LBB42_739:
	v_mov_b32_e32 v2, 8
	v_and_b32_e32 v3, 7, v9
	v_lshrrev_b32_sdwa v2, v2, v9 dst_sel:BYTE_1 dst_unused:UNUSED_PAD src0_sel:DWORD src1_sel:DWORD
	v_ffbh_u32_e32 v4, v3
	v_or_b32_sdwa v2, v9, v2 dst_sel:DWORD dst_unused:UNUSED_PAD src0_sel:BYTE_0 src1_sel:DWORD
	v_min_u32_e32 v4, 32, v4
	v_lshrrev_b16_e32 v2, 3, v2
	v_subrev_u32_e32 v6, 28, v4
	v_and_b32_e32 v2, 15, v2
	v_lshlrev_b32_e32 v6, v6, v9
	v_sub_u32_e32 v4, 29, v4
	v_and_b32_e32 v6, 7, v6
	v_cmp_eq_u16_e32 vcc, 0, v2
	v_cndmask_b32_e32 v3, v3, v6, vcc
	v_cndmask_b32_e32 v2, v2, v4, vcc
	v_lshlrev_b32_e32 v4, 24, v9
	v_mov_b32_e32 v6, 0x3b800000
	v_lshlrev_b32_e32 v3, 20, v3
	v_and_b32_e32 v4, 0x80000000, v4
	v_lshl_add_u32 v2, v2, 23, v6
	v_or3_b32 v2, v4, v2, v3
.LBB42_740:
	s_or_b64 exec, exec, s[6:7]
	s_movk_i32 s4, 0x7f
	v_cmp_gt_i16_sdwa s[6:7], v5, s4 src0_sel:BYTE_0 src1_sel:DWORD
	s_mov_b64 s[4:5], 0
                                        ; implicit-def: $sgpr10
	s_and_saveexec_b64 s[8:9], s[6:7]
	s_xor_b64 s[6:7], exec, s[8:9]
	s_cbranch_execnz .LBB42_2789
; %bb.741:
	s_or_saveexec_b64 s[6:7], s[6:7]
	v_mov_b32_e32 v3, s10
	s_xor_b64 exec, exec, s[6:7]
	s_cbranch_execnz .LBB42_2792
.LBB42_742:
	s_or_b64 exec, exec, s[6:7]
	s_and_saveexec_b64 s[6:7], s[4:5]
	s_cbranch_execz .LBB42_744
.LBB42_743:
	v_mov_b32_e32 v3, 8
	v_and_b32_e32 v4, 7, v5
	v_lshrrev_b32_sdwa v3, v3, v5 dst_sel:BYTE_1 dst_unused:UNUSED_PAD src0_sel:DWORD src1_sel:DWORD
	v_ffbh_u32_e32 v6, v4
	v_or_b32_sdwa v3, v5, v3 dst_sel:DWORD dst_unused:UNUSED_PAD src0_sel:BYTE_0 src1_sel:DWORD
	v_min_u32_e32 v6, 32, v6
	v_lshrrev_b16_e32 v3, 3, v3
	v_subrev_u32_e32 v7, 28, v6
	v_and_b32_e32 v3, 15, v3
	v_lshlrev_b32_e32 v7, v7, v5
	v_sub_u32_e32 v6, 29, v6
	v_and_b32_e32 v7, 7, v7
	v_cmp_eq_u16_e32 vcc, 0, v3
	v_cndmask_b32_e32 v4, v4, v7, vcc
	v_cndmask_b32_e32 v3, v3, v6, vcc
	v_lshlrev_b32_e32 v6, 24, v5
	v_mov_b32_e32 v7, 0x3b800000
	v_lshlrev_b32_e32 v4, 20, v4
	v_and_b32_e32 v6, 0x80000000, v6
	v_lshl_add_u32 v3, v3, 23, v7
	v_or3_b32 v3, v6, v3, v4
.LBB42_744:
	s_or_b64 exec, exec, s[6:7]
	s_nop 0
	v_mfma_f32_16x16x4f32 a[0:3], v2, v3, a[0:3]
	v_lshrrev_b32_e32 v3, 8, v9
	s_movk_i32 s4, 0x7f
	v_cmp_gt_i16_sdwa s[6:7], v3, s4 src0_sel:BYTE_0 src1_sel:DWORD
	s_mov_b64 s[4:5], 0
                                        ; implicit-def: $sgpr10
	s_and_saveexec_b64 s[8:9], s[6:7]
	s_xor_b64 s[6:7], exec, s[8:9]
	s_cbranch_execnz .LBB42_2793
; %bb.745:
	s_or_saveexec_b64 s[6:7], s[6:7]
	v_mov_b32_e32 v2, s10
	s_xor_b64 exec, exec, s[6:7]
	s_cbranch_execnz .LBB42_2796
.LBB42_746:
	s_or_b64 exec, exec, s[6:7]
	s_and_saveexec_b64 s[6:7], s[4:5]
	s_cbranch_execz .LBB42_748
.LBB42_747:
	v_bfe_u32 v2, v9, 8, 3
	v_ffbh_u32_e32 v6, v2
	v_min_u32_e32 v6, 32, v6
	v_lshrrev_b16_e32 v4, 3, v3
	v_subrev_u32_e32 v7, 28, v6
	v_and_b32_e32 v4, 15, v4
	v_lshlrev_b32_e32 v3, v7, v3
	v_sub_u32_e32 v6, 29, v6
	v_and_b32_e32 v3, 7, v3
	v_cmp_eq_u16_e32 vcc, 0, v4
	v_cndmask_b32_e32 v2, v2, v3, vcc
	v_cndmask_b32_e32 v3, v4, v6, vcc
	v_lshlrev_b32_e32 v4, 16, v9
	v_mov_b32_e32 v6, 0x3b800000
	v_lshlrev_b32_e32 v2, 20, v2
	v_and_b32_e32 v4, 0x80000000, v4
	v_lshl_add_u32 v3, v3, 23, v6
	v_or3_b32 v2, v4, v3, v2
.LBB42_748:
	s_or_b64 exec, exec, s[6:7]
	v_lshrrev_b32_e32 v3, 8, v5
	s_movk_i32 s4, 0x7f
	v_cmp_gt_i16_sdwa s[6:7], v3, s4 src0_sel:BYTE_0 src1_sel:DWORD
	s_mov_b64 s[4:5], 0
                                        ; implicit-def: $sgpr10
	s_and_saveexec_b64 s[8:9], s[6:7]
	s_xor_b64 s[6:7], exec, s[8:9]
	s_cbranch_execnz .LBB42_2797
; %bb.749:
	s_or_saveexec_b64 s[6:7], s[6:7]
	v_mov_b32_e32 v4, s10
	s_xor_b64 exec, exec, s[6:7]
	s_cbranch_execnz .LBB42_2800
.LBB42_750:
	s_or_b64 exec, exec, s[6:7]
	s_and_saveexec_b64 s[6:7], s[4:5]
	s_cbranch_execz .LBB42_752
.LBB42_751:
	v_bfe_u32 v4, v5, 8, 3
	v_ffbh_u32_e32 v7, v4
	v_min_u32_e32 v7, 32, v7
	v_lshrrev_b16_e32 v6, 3, v3
	v_subrev_u32_e32 v8, 28, v7
	v_and_b32_e32 v6, 15, v6
	v_lshlrev_b32_e32 v3, v8, v3
	v_sub_u32_e32 v7, 29, v7
	v_and_b32_e32 v3, 7, v3
	v_cmp_eq_u16_e32 vcc, 0, v6
	v_cndmask_b32_e32 v3, v4, v3, vcc
	v_cndmask_b32_e32 v4, v6, v7, vcc
	v_lshlrev_b32_e32 v6, 16, v5
	v_mov_b32_e32 v7, 0x3b800000
	v_lshlrev_b32_e32 v3, 20, v3
	v_and_b32_e32 v6, 0x80000000, v6
	v_lshl_add_u32 v4, v4, 23, v7
	v_or3_b32 v4, v6, v4, v3
.LBB42_752:
	s_or_b64 exec, exec, s[6:7]
	s_nop 0
	v_mfma_f32_16x16x4f32 a[0:3], v2, v4, a[0:3]
	s_movk_i32 s4, 0xff
	v_and_b32_sdwa v3, v9, s4 dst_sel:DWORD dst_unused:UNUSED_PAD src0_sel:WORD_1 src1_sel:DWORD
	s_movk_i32 s4, 0x7f
	v_cmp_lt_i16_e32 vcc, s4, v3
	s_mov_b64 s[4:5], 0
                                        ; implicit-def: $sgpr10
	s_and_saveexec_b64 s[6:7], vcc
	s_xor_b64 s[6:7], exec, s[6:7]
	s_cbranch_execnz .LBB42_2801
; %bb.753:
	s_or_saveexec_b64 s[6:7], s[6:7]
	v_mov_b32_e32 v2, s10
	s_xor_b64 exec, exec, s[6:7]
	s_cbranch_execnz .LBB42_2804
.LBB42_754:
	s_or_b64 exec, exec, s[6:7]
	s_and_saveexec_b64 s[6:7], s[4:5]
	s_cbranch_execz .LBB42_756
.LBB42_755:
	v_bfe_u32 v2, v9, 16, 3
	v_ffbh_u32_e32 v6, v2
	v_min_u32_e32 v6, 32, v6
	v_lshrrev_b32_e32 v3, 19, v9
	v_subrev_u32_e32 v7, 28, v6
	v_and_b32_e32 v3, 15, v3
	v_lshlrev_b32_sdwa v7, v7, v9 dst_sel:DWORD dst_unused:UNUSED_PAD src0_sel:DWORD src1_sel:WORD_1
	v_bfe_u32 v4, v9, 19, 4
	v_sub_u32_e32 v6, 29, v6
	v_and_b32_e32 v7, 7, v7
	v_cmp_eq_u16_e32 vcc, 0, v3
	v_cndmask_b32_e32 v2, v2, v7, vcc
	v_cndmask_b32_e32 v3, v4, v6, vcc
	v_lshlrev_b32_e32 v4, 8, v9
	v_mov_b32_e32 v6, 0x3b800000
	v_lshlrev_b32_e32 v2, 20, v2
	v_and_b32_e32 v4, 0x80000000, v4
	v_lshl_add_u32 v3, v3, 23, v6
	v_or3_b32 v2, v4, v3, v2
.LBB42_756:
	s_or_b64 exec, exec, s[6:7]
	s_movk_i32 s4, 0xff
	v_and_b32_sdwa v3, v5, s4 dst_sel:DWORD dst_unused:UNUSED_PAD src0_sel:WORD_1 src1_sel:DWORD
	s_movk_i32 s4, 0x7f
	v_cmp_lt_i16_e32 vcc, s4, v3
	s_mov_b64 s[4:5], 0
                                        ; implicit-def: $sgpr10
	s_and_saveexec_b64 s[6:7], vcc
	s_xor_b64 s[6:7], exec, s[6:7]
	s_cbranch_execnz .LBB42_2805
; %bb.757:
	s_or_saveexec_b64 s[6:7], s[6:7]
	v_mov_b32_e32 v4, s10
	s_xor_b64 exec, exec, s[6:7]
	s_cbranch_execnz .LBB42_2808
.LBB42_758:
	s_or_b64 exec, exec, s[6:7]
	s_and_saveexec_b64 s[6:7], s[4:5]
	s_cbranch_execz .LBB42_760
.LBB42_759:
	v_bfe_u32 v3, v5, 16, 3
	v_ffbh_u32_e32 v7, v3
	v_min_u32_e32 v7, 32, v7
	v_lshrrev_b32_e32 v4, 19, v5
	v_subrev_u32_e32 v8, 28, v7
	v_and_b32_e32 v4, 15, v4
	v_lshlrev_b32_sdwa v8, v8, v5 dst_sel:DWORD dst_unused:UNUSED_PAD src0_sel:DWORD src1_sel:WORD_1
	v_bfe_u32 v6, v5, 19, 4
	v_sub_u32_e32 v7, 29, v7
	v_and_b32_e32 v8, 7, v8
	v_cmp_eq_u16_e32 vcc, 0, v4
	v_cndmask_b32_e32 v3, v3, v8, vcc
	v_cndmask_b32_e32 v4, v6, v7, vcc
	v_lshlrev_b32_e32 v6, 8, v5
	v_mov_b32_e32 v7, 0x3b800000
	v_lshlrev_b32_e32 v3, 20, v3
	v_and_b32_e32 v6, 0x80000000, v6
	v_lshl_add_u32 v4, v4, 23, v7
	v_or3_b32 v4, v6, v4, v3
.LBB42_760:
	s_or_b64 exec, exec, s[6:7]
	s_nop 0
	v_mfma_f32_16x16x4f32 a[0:3], v2, v4, a[0:3]
	s_movk_i32 s4, 0x7f
	v_cmp_gt_i16_sdwa s[6:7], v9, s4 src0_sel:BYTE_3 src1_sel:DWORD
	s_mov_b64 s[4:5], 0
                                        ; implicit-def: $sgpr10
	s_and_saveexec_b64 s[8:9], s[6:7]
	s_xor_b64 s[6:7], exec, s[8:9]
	s_cbranch_execnz .LBB42_2809
; %bb.761:
	s_or_saveexec_b64 s[6:7], s[6:7]
	v_mov_b32_e32 v2, s10
	s_xor_b64 exec, exec, s[6:7]
	s_cbranch_execnz .LBB42_2812
.LBB42_762:
	s_or_b64 exec, exec, s[6:7]
	s_and_saveexec_b64 s[6:7], s[4:5]
	s_cbranch_execz .LBB42_764
.LBB42_763:
	v_bfe_u32 v2, v9, 24, 3
	v_ffbh_u32_e32 v7, v2
	v_min_u32_e32 v7, 32, v7
	v_lshrrev_b32_e32 v4, 27, v9
	v_subrev_u32_e32 v8, 28, v7
	v_and_b32_e32 v4, 15, v4
	v_lshlrev_b32_sdwa v8, v8, v9 dst_sel:DWORD dst_unused:UNUSED_PAD src0_sel:DWORD src1_sel:BYTE_3
	v_bfe_u32 v6, v9, 27, 4
	v_sub_u32_e32 v7, 29, v7
	v_and_b32_e32 v8, 7, v8
	v_cmp_eq_u16_e32 vcc, 0, v4
	v_cndmask_b32_e32 v2, v2, v8, vcc
	v_cndmask_b32_e32 v4, v6, v7, vcc
	v_mov_b32_e32 v6, 0x3b800000
	v_and_b32_e32 v3, 0x80000000, v9
	v_lshlrev_b32_e32 v2, 20, v2
	v_lshl_add_u32 v4, v4, 23, v6
	v_or3_b32 v2, v3, v4, v2
.LBB42_764:
	s_or_b64 exec, exec, s[6:7]
	s_movk_i32 s4, 0x7f
	v_cmp_gt_i16_sdwa s[6:7], v5, s4 src0_sel:BYTE_3 src1_sel:DWORD
	s_mov_b64 s[4:5], 0
                                        ; implicit-def: $sgpr10
	s_and_saveexec_b64 s[8:9], s[6:7]
	s_xor_b64 s[6:7], exec, s[8:9]
	s_cbranch_execnz .LBB42_2813
; %bb.765:
	s_or_saveexec_b64 s[6:7], s[6:7]
	v_mov_b32_e32 v3, s10
	s_xor_b64 exec, exec, s[6:7]
	s_cbranch_execnz .LBB42_2816
.LBB42_766:
	s_or_b64 exec, exec, s[6:7]
	s_and_saveexec_b64 s[6:7], s[4:5]
	s_cbranch_execz .LBB42_768
.LBB42_767:
	v_bfe_u32 v3, v5, 24, 3
	v_ffbh_u32_e32 v8, v3
	v_min_u32_e32 v8, 32, v8
	v_lshrrev_b32_e32 v6, 27, v5
	v_subrev_u32_e32 v9, 28, v8
	v_and_b32_e32 v4, 0x80000000, v5
	v_and_b32_e32 v6, 15, v6
	v_bfe_u32 v7, v5, 27, 4
	v_lshlrev_b32_sdwa v5, v9, v5 dst_sel:DWORD dst_unused:UNUSED_PAD src0_sel:DWORD src1_sel:BYTE_3
	v_sub_u32_e32 v8, 29, v8
	v_and_b32_e32 v5, 7, v5
	v_cmp_eq_u16_e32 vcc, 0, v6
	v_cndmask_b32_e32 v3, v3, v5, vcc
	v_cndmask_b32_e32 v5, v7, v8, vcc
	v_mov_b32_e32 v6, 0x3b800000
	v_lshlrev_b32_e32 v3, 20, v3
	v_lshl_add_u32 v5, v5, 23, v6
	v_or3_b32 v3, v4, v5, v3
.LBB42_768:
	s_or_b64 exec, exec, s[6:7]
	s_nop 0
	v_mfma_f32_16x16x4f32 a[0:3], v2, v3, a[0:3]
	s_movk_i32 s4, 0x7f
                                        ; implicit-def: $sgpr10
	s_nop 7
	s_nop 1
	flat_store_dwordx4 v[18:19], a[0:3] offset:800
	flat_load_dwordx4 v[20:23], v[0:1] offset:16
	s_nop 0
	flat_load_dwordx2 v[18:19], v[0:1] offset:32
	s_waitcnt vmcnt(0) lgkmcnt(0)
	flat_load_dwordx4 v[14:17], v[20:21]
	flat_load_dwordx4 v[6:9], v[20:21] offset:16
	flat_load_dwordx4 v[10:13], v[22:23] offset:352
	;; [unrolled: 1-line block ×3, first 2 shown]
	s_waitcnt vmcnt(0) lgkmcnt(0)
	v_cmp_gt_i16_sdwa s[6:7], v14, s4 src0_sel:BYTE_0 src1_sel:DWORD
	s_mov_b64 s[4:5], 0
	s_and_saveexec_b64 s[8:9], s[6:7]
	s_xor_b64 s[6:7], exec, s[8:9]
	s_cbranch_execnz .LBB42_2817
; %bb.769:
	s_or_saveexec_b64 s[6:7], s[6:7]
	v_mov_b32_e32 v20, s10
	s_xor_b64 exec, exec, s[6:7]
	s_cbranch_execnz .LBB42_2820
.LBB42_770:
	s_or_b64 exec, exec, s[6:7]
	s_and_saveexec_b64 s[6:7], s[4:5]
	s_cbranch_execz .LBB42_772
.LBB42_771:
	v_and_b32_e32 v20, 7, v14
	v_ffbh_u32_e32 v22, v20
	v_min_u32_e32 v22, 32, v22
	v_lshrrev_b16_e32 v21, 3, v14
	v_subrev_u32_e32 v23, 28, v22
	v_and_b32_e32 v21, 15, v21
	v_lshlrev_b32_e32 v23, v23, v14
	v_sub_u32_e32 v22, 29, v22
	v_and_b32_e32 v23, 7, v23
	v_cmp_eq_u16_e32 vcc, 0, v21
	v_cndmask_b32_e32 v20, v20, v23, vcc
	v_cndmask_b32_e32 v21, v21, v22, vcc
	v_lshlrev_b32_e32 v22, 24, v14
	v_mov_b32_e32 v23, 0x3b800000
	v_lshlrev_b32_e32 v20, 20, v20
	v_and_b32_e32 v22, 0x80000000, v22
	v_lshl_add_u32 v21, v21, 23, v23
	v_or3_b32 v20, v22, v21, v20
.LBB42_772:
	s_or_b64 exec, exec, s[6:7]
	s_movk_i32 s4, 0x7f
	v_cmp_gt_i16_sdwa s[6:7], v10, s4 src0_sel:BYTE_0 src1_sel:DWORD
	s_mov_b64 s[4:5], 0
                                        ; implicit-def: $sgpr10
	s_and_saveexec_b64 s[8:9], s[6:7]
	s_xor_b64 s[6:7], exec, s[8:9]
	s_cbranch_execnz .LBB42_2821
; %bb.773:
	s_or_saveexec_b64 s[6:7], s[6:7]
	v_mov_b32_e32 v21, s10
	s_xor_b64 exec, exec, s[6:7]
	s_cbranch_execnz .LBB42_2824
.LBB42_774:
	s_or_b64 exec, exec, s[6:7]
	s_and_saveexec_b64 s[6:7], s[4:5]
	s_cbranch_execz .LBB42_776
.LBB42_775:
	v_and_b32_e32 v21, 7, v10
	v_ffbh_u32_e32 v23, v21
	v_min_u32_e32 v23, 32, v23
	v_lshrrev_b16_e32 v22, 3, v10
	v_subrev_u32_e32 v24, 28, v23
	v_and_b32_e32 v22, 15, v22
	v_lshlrev_b32_e32 v24, v24, v10
	v_sub_u32_e32 v23, 29, v23
	v_and_b32_e32 v24, 7, v24
	v_cmp_eq_u16_e32 vcc, 0, v22
	v_cndmask_b32_e32 v21, v21, v24, vcc
	v_cndmask_b32_e32 v22, v22, v23, vcc
	v_lshlrev_b32_e32 v23, 24, v10
	v_mov_b32_e32 v24, 0x3b800000
	v_lshlrev_b32_e32 v21, 20, v21
	v_and_b32_e32 v23, 0x80000000, v23
	v_lshl_add_u32 v22, v22, 23, v24
	v_or3_b32 v21, v23, v22, v21
.LBB42_776:
	s_or_b64 exec, exec, s[6:7]
	flat_load_dwordx4 a[0:3], v[18:19] offset:816
	s_movk_i32 s4, 0x7f
                                        ; implicit-def: $sgpr10
	s_waitcnt vmcnt(0) lgkmcnt(0)
	v_mfma_f32_16x16x4f32 a[0:3], v20, v21, a[0:3]
	v_lshrrev_b32_e32 v21, 8, v14
	v_cmp_gt_i16_sdwa s[6:7], v21, s4 src0_sel:BYTE_0 src1_sel:DWORD
	s_mov_b64 s[4:5], 0
	s_and_saveexec_b64 s[8:9], s[6:7]
	s_xor_b64 s[6:7], exec, s[8:9]
	s_cbranch_execnz .LBB42_2825
; %bb.777:
	s_or_saveexec_b64 s[6:7], s[6:7]
	v_mov_b32_e32 v20, s10
	s_xor_b64 exec, exec, s[6:7]
	s_cbranch_execnz .LBB42_2828
.LBB42_778:
	s_or_b64 exec, exec, s[6:7]
	s_and_saveexec_b64 s[6:7], s[4:5]
	s_cbranch_execz .LBB42_780
.LBB42_779:
	v_bfe_u32 v20, v14, 8, 3
	v_ffbh_u32_e32 v23, v20
	v_min_u32_e32 v23, 32, v23
	v_lshrrev_b16_e32 v22, 3, v21
	v_subrev_u32_e32 v24, 28, v23
	v_and_b32_e32 v22, 15, v22
	v_lshlrev_b32_e32 v21, v24, v21
	v_sub_u32_e32 v23, 29, v23
	v_and_b32_e32 v21, 7, v21
	v_cmp_eq_u16_e32 vcc, 0, v22
	v_cndmask_b32_e32 v20, v20, v21, vcc
	v_cndmask_b32_e32 v21, v22, v23, vcc
	v_lshlrev_b32_e32 v22, 16, v14
	v_mov_b32_e32 v23, 0x3b800000
	v_lshlrev_b32_e32 v20, 20, v20
	v_and_b32_e32 v22, 0x80000000, v22
	v_lshl_add_u32 v21, v21, 23, v23
	v_or3_b32 v20, v22, v21, v20
.LBB42_780:
	s_or_b64 exec, exec, s[6:7]
	v_lshrrev_b32_e32 v21, 8, v10
	s_movk_i32 s4, 0x7f
	v_cmp_gt_i16_sdwa s[6:7], v21, s4 src0_sel:BYTE_0 src1_sel:DWORD
	s_mov_b64 s[4:5], 0
                                        ; implicit-def: $sgpr10
	s_and_saveexec_b64 s[8:9], s[6:7]
	s_xor_b64 s[6:7], exec, s[8:9]
	s_cbranch_execnz .LBB42_2829
; %bb.781:
	s_or_saveexec_b64 s[6:7], s[6:7]
	v_mov_b32_e32 v22, s10
	s_xor_b64 exec, exec, s[6:7]
	s_cbranch_execnz .LBB42_2832
.LBB42_782:
	s_or_b64 exec, exec, s[6:7]
	s_and_saveexec_b64 s[6:7], s[4:5]
	s_cbranch_execz .LBB42_784
.LBB42_783:
	v_bfe_u32 v22, v10, 8, 3
	v_ffbh_u32_e32 v24, v22
	v_min_u32_e32 v24, 32, v24
	v_lshrrev_b16_e32 v23, 3, v21
	v_subrev_u32_e32 v25, 28, v24
	v_and_b32_e32 v23, 15, v23
	v_lshlrev_b32_e32 v21, v25, v21
	v_sub_u32_e32 v24, 29, v24
	v_and_b32_e32 v21, 7, v21
	v_cmp_eq_u16_e32 vcc, 0, v23
	v_cndmask_b32_e32 v21, v22, v21, vcc
	v_cndmask_b32_e32 v22, v23, v24, vcc
	v_lshlrev_b32_e32 v23, 16, v10
	v_mov_b32_e32 v24, 0x3b800000
	v_lshlrev_b32_e32 v21, 20, v21
	v_and_b32_e32 v23, 0x80000000, v23
	v_lshl_add_u32 v22, v22, 23, v24
	v_or3_b32 v22, v23, v22, v21
.LBB42_784:
	s_or_b64 exec, exec, s[6:7]
	s_nop 0
	v_mfma_f32_16x16x4f32 a[0:3], v20, v22, a[0:3]
	s_movk_i32 s4, 0xff
	v_and_b32_sdwa v21, v14, s4 dst_sel:DWORD dst_unused:UNUSED_PAD src0_sel:WORD_1 src1_sel:DWORD
	s_movk_i32 s4, 0x7f
	v_cmp_lt_i16_e32 vcc, s4, v21
	s_mov_b64 s[4:5], 0
                                        ; implicit-def: $sgpr10
	s_and_saveexec_b64 s[6:7], vcc
	s_xor_b64 s[6:7], exec, s[6:7]
	s_cbranch_execnz .LBB42_2833
; %bb.785:
	s_or_saveexec_b64 s[6:7], s[6:7]
	v_mov_b32_e32 v20, s10
	s_xor_b64 exec, exec, s[6:7]
	s_cbranch_execnz .LBB42_2836
.LBB42_786:
	s_or_b64 exec, exec, s[6:7]
	s_and_saveexec_b64 s[6:7], s[4:5]
	s_cbranch_execz .LBB42_788
.LBB42_787:
	v_bfe_u32 v20, v14, 16, 3
	v_ffbh_u32_e32 v23, v20
	v_min_u32_e32 v23, 32, v23
	v_lshrrev_b32_e32 v21, 19, v14
	v_subrev_u32_e32 v24, 28, v23
	v_and_b32_e32 v21, 15, v21
	v_lshlrev_b32_sdwa v24, v24, v14 dst_sel:DWORD dst_unused:UNUSED_PAD src0_sel:DWORD src1_sel:WORD_1
	v_bfe_u32 v22, v14, 19, 4
	v_sub_u32_e32 v23, 29, v23
	v_and_b32_e32 v24, 7, v24
	v_cmp_eq_u16_e32 vcc, 0, v21
	v_cndmask_b32_e32 v20, v20, v24, vcc
	v_cndmask_b32_e32 v21, v22, v23, vcc
	v_lshlrev_b32_e32 v22, 8, v14
	v_mov_b32_e32 v23, 0x3b800000
	v_lshlrev_b32_e32 v20, 20, v20
	v_and_b32_e32 v22, 0x80000000, v22
	v_lshl_add_u32 v21, v21, 23, v23
	v_or3_b32 v20, v22, v21, v20
.LBB42_788:
	s_or_b64 exec, exec, s[6:7]
	s_movk_i32 s4, 0xff
	v_and_b32_sdwa v21, v10, s4 dst_sel:DWORD dst_unused:UNUSED_PAD src0_sel:WORD_1 src1_sel:DWORD
	s_movk_i32 s4, 0x7f
	v_cmp_lt_i16_e32 vcc, s4, v21
	s_mov_b64 s[4:5], 0
                                        ; implicit-def: $sgpr10
	s_and_saveexec_b64 s[6:7], vcc
	s_xor_b64 s[6:7], exec, s[6:7]
	s_cbranch_execnz .LBB42_2837
; %bb.789:
	s_or_saveexec_b64 s[6:7], s[6:7]
	v_mov_b32_e32 v22, s10
	s_xor_b64 exec, exec, s[6:7]
	s_cbranch_execnz .LBB42_2840
.LBB42_790:
	s_or_b64 exec, exec, s[6:7]
	s_and_saveexec_b64 s[6:7], s[4:5]
	s_cbranch_execz .LBB42_792
.LBB42_791:
	v_bfe_u32 v21, v10, 16, 3
	v_ffbh_u32_e32 v24, v21
	v_min_u32_e32 v24, 32, v24
	v_lshrrev_b32_e32 v22, 19, v10
	v_subrev_u32_e32 v25, 28, v24
	v_and_b32_e32 v22, 15, v22
	v_lshlrev_b32_sdwa v25, v25, v10 dst_sel:DWORD dst_unused:UNUSED_PAD src0_sel:DWORD src1_sel:WORD_1
	v_bfe_u32 v23, v10, 19, 4
	v_sub_u32_e32 v24, 29, v24
	v_and_b32_e32 v25, 7, v25
	v_cmp_eq_u16_e32 vcc, 0, v22
	v_cndmask_b32_e32 v21, v21, v25, vcc
	v_cndmask_b32_e32 v22, v23, v24, vcc
	v_lshlrev_b32_e32 v23, 8, v10
	v_mov_b32_e32 v24, 0x3b800000
	v_lshlrev_b32_e32 v21, 20, v21
	v_and_b32_e32 v23, 0x80000000, v23
	v_lshl_add_u32 v22, v22, 23, v24
	v_or3_b32 v22, v23, v22, v21
.LBB42_792:
	s_or_b64 exec, exec, s[6:7]
	s_nop 0
	v_mfma_f32_16x16x4f32 a[0:3], v20, v22, a[0:3]
	s_movk_i32 s4, 0x7f
	v_cmp_gt_i16_sdwa s[6:7], v14, s4 src0_sel:BYTE_3 src1_sel:DWORD
	s_mov_b64 s[4:5], 0
                                        ; implicit-def: $sgpr10
	s_and_saveexec_b64 s[8:9], s[6:7]
	s_xor_b64 s[6:7], exec, s[8:9]
	s_cbranch_execnz .LBB42_2841
; %bb.793:
	s_or_saveexec_b64 s[6:7], s[6:7]
	v_mov_b32_e32 v20, s10
	s_xor_b64 exec, exec, s[6:7]
	s_cbranch_execnz .LBB42_2844
.LBB42_794:
	s_or_b64 exec, exec, s[6:7]
	s_and_saveexec_b64 s[6:7], s[4:5]
	s_cbranch_execz .LBB42_796
.LBB42_795:
	v_bfe_u32 v20, v14, 24, 3
	v_ffbh_u32_e32 v24, v20
	v_min_u32_e32 v24, 32, v24
	v_lshrrev_b32_e32 v22, 27, v14
	v_subrev_u32_e32 v25, 28, v24
	v_and_b32_e32 v21, 0x80000000, v14
	v_and_b32_e32 v22, 15, v22
	v_bfe_u32 v23, v14, 27, 4
	v_lshlrev_b32_sdwa v14, v25, v14 dst_sel:DWORD dst_unused:UNUSED_PAD src0_sel:DWORD src1_sel:BYTE_3
	v_sub_u32_e32 v24, 29, v24
	v_and_b32_e32 v14, 7, v14
	v_cmp_eq_u16_e32 vcc, 0, v22
	v_cndmask_b32_e32 v14, v20, v14, vcc
	v_cndmask_b32_e32 v20, v23, v24, vcc
	v_mov_b32_e32 v22, 0x3b800000
	v_lshlrev_b32_e32 v14, 20, v14
	v_lshl_add_u32 v20, v20, 23, v22
	v_or3_b32 v20, v21, v20, v14
.LBB42_796:
	s_or_b64 exec, exec, s[6:7]
	s_movk_i32 s4, 0x7f
	v_cmp_gt_i16_sdwa s[6:7], v10, s4 src0_sel:BYTE_3 src1_sel:DWORD
	s_mov_b64 s[4:5], 0
                                        ; implicit-def: $sgpr10
	s_and_saveexec_b64 s[8:9], s[6:7]
	s_xor_b64 s[6:7], exec, s[8:9]
	s_cbranch_execnz .LBB42_2845
; %bb.797:
	s_or_saveexec_b64 s[6:7], s[6:7]
	v_mov_b32_e32 v14, s10
	s_xor_b64 exec, exec, s[6:7]
	s_cbranch_execnz .LBB42_2848
.LBB42_798:
	s_or_b64 exec, exec, s[6:7]
	s_and_saveexec_b64 s[6:7], s[4:5]
	s_cbranch_execz .LBB42_800
.LBB42_799:
	v_bfe_u32 v14, v10, 24, 3
	v_ffbh_u32_e32 v24, v14
	v_min_u32_e32 v24, 32, v24
	v_lshrrev_b32_e32 v22, 27, v10
	v_subrev_u32_e32 v25, 28, v24
	v_and_b32_e32 v21, 0x80000000, v10
	v_and_b32_e32 v22, 15, v22
	v_bfe_u32 v23, v10, 27, 4
	v_lshlrev_b32_sdwa v10, v25, v10 dst_sel:DWORD dst_unused:UNUSED_PAD src0_sel:DWORD src1_sel:BYTE_3
	v_sub_u32_e32 v24, 29, v24
	v_and_b32_e32 v10, 7, v10
	v_cmp_eq_u16_e32 vcc, 0, v22
	v_cndmask_b32_e32 v10, v14, v10, vcc
	v_cndmask_b32_e32 v14, v23, v24, vcc
	v_mov_b32_e32 v22, 0x3b800000
	v_lshlrev_b32_e32 v10, 20, v10
	v_lshl_add_u32 v14, v14, 23, v22
	v_or3_b32 v14, v21, v14, v10
.LBB42_800:
	s_or_b64 exec, exec, s[6:7]
	s_nop 0
	v_mfma_f32_16x16x4f32 a[0:3], v20, v14, a[0:3]
	s_movk_i32 s4, 0x7f
	v_cmp_gt_i16_sdwa s[6:7], v15, s4 src0_sel:BYTE_0 src1_sel:DWORD
	s_mov_b64 s[4:5], 0
                                        ; implicit-def: $sgpr10
	s_and_saveexec_b64 s[8:9], s[6:7]
	s_xor_b64 s[6:7], exec, s[8:9]
	s_cbranch_execnz .LBB42_2849
; %bb.801:
	s_or_saveexec_b64 s[6:7], s[6:7]
	v_mov_b32_e32 v10, s10
	s_xor_b64 exec, exec, s[6:7]
	s_cbranch_execnz .LBB42_2852
.LBB42_802:
	s_or_b64 exec, exec, s[6:7]
	s_and_saveexec_b64 s[6:7], s[4:5]
	s_cbranch_execz .LBB42_804
.LBB42_803:
	v_and_b32_e32 v10, 7, v15
	v_ffbh_u32_e32 v20, v10
	v_min_u32_e32 v20, 32, v20
	v_lshrrev_b16_e32 v14, 3, v15
	v_subrev_u32_e32 v21, 28, v20
	v_and_b32_e32 v14, 15, v14
	v_lshlrev_b32_e32 v21, v21, v15
	v_sub_u32_e32 v20, 29, v20
	v_and_b32_e32 v21, 7, v21
	v_cmp_eq_u16_e32 vcc, 0, v14
	v_cndmask_b32_e32 v10, v10, v21, vcc
	v_cndmask_b32_e32 v14, v14, v20, vcc
	v_lshlrev_b32_e32 v20, 24, v15
	v_mov_b32_e32 v21, 0x3b800000
	v_lshlrev_b32_e32 v10, 20, v10
	v_and_b32_e32 v20, 0x80000000, v20
	v_lshl_add_u32 v14, v14, 23, v21
	v_or3_b32 v10, v20, v14, v10
.LBB42_804:
	s_or_b64 exec, exec, s[6:7]
	s_movk_i32 s4, 0x7f
	v_cmp_gt_i16_sdwa s[6:7], v11, s4 src0_sel:BYTE_0 src1_sel:DWORD
	s_mov_b64 s[4:5], 0
                                        ; implicit-def: $sgpr10
	s_and_saveexec_b64 s[8:9], s[6:7]
	s_xor_b64 s[6:7], exec, s[8:9]
	s_cbranch_execnz .LBB42_2853
; %bb.805:
	s_or_saveexec_b64 s[6:7], s[6:7]
	v_mov_b32_e32 v14, s10
	s_xor_b64 exec, exec, s[6:7]
	s_cbranch_execnz .LBB42_2856
.LBB42_806:
	s_or_b64 exec, exec, s[6:7]
	s_and_saveexec_b64 s[6:7], s[4:5]
	s_cbranch_execz .LBB42_808
.LBB42_807:
	v_and_b32_e32 v14, 7, v11
	v_ffbh_u32_e32 v21, v14
	v_min_u32_e32 v21, 32, v21
	v_lshrrev_b16_e32 v20, 3, v11
	v_subrev_u32_e32 v22, 28, v21
	v_and_b32_e32 v20, 15, v20
	v_lshlrev_b32_e32 v22, v22, v11
	v_sub_u32_e32 v21, 29, v21
	v_and_b32_e32 v22, 7, v22
	v_cmp_eq_u16_e32 vcc, 0, v20
	v_cndmask_b32_e32 v14, v14, v22, vcc
	v_cndmask_b32_e32 v20, v20, v21, vcc
	v_lshlrev_b32_e32 v21, 24, v11
	v_mov_b32_e32 v22, 0x3b800000
	v_lshlrev_b32_e32 v14, 20, v14
	v_and_b32_e32 v21, 0x80000000, v21
	v_lshl_add_u32 v20, v20, 23, v22
	v_or3_b32 v14, v21, v20, v14
.LBB42_808:
	s_or_b64 exec, exec, s[6:7]
	s_nop 0
	v_mfma_f32_16x16x4f32 a[0:3], v10, v14, a[0:3]
	v_lshrrev_b32_e32 v14, 8, v15
	s_movk_i32 s4, 0x7f
	v_cmp_gt_i16_sdwa s[6:7], v14, s4 src0_sel:BYTE_0 src1_sel:DWORD
	s_mov_b64 s[4:5], 0
                                        ; implicit-def: $sgpr10
	s_and_saveexec_b64 s[8:9], s[6:7]
	s_xor_b64 s[6:7], exec, s[8:9]
	s_cbranch_execnz .LBB42_2857
; %bb.809:
	s_or_saveexec_b64 s[6:7], s[6:7]
	v_mov_b32_e32 v10, s10
	s_xor_b64 exec, exec, s[6:7]
	s_cbranch_execnz .LBB42_2860
.LBB42_810:
	s_or_b64 exec, exec, s[6:7]
	s_and_saveexec_b64 s[6:7], s[4:5]
	s_cbranch_execz .LBB42_812
.LBB42_811:
	v_bfe_u32 v10, v15, 8, 3
	v_ffbh_u32_e32 v21, v10
	v_min_u32_e32 v21, 32, v21
	v_lshrrev_b16_e32 v20, 3, v14
	v_subrev_u32_e32 v22, 28, v21
	v_and_b32_e32 v20, 15, v20
	v_lshlrev_b32_e32 v14, v22, v14
	v_sub_u32_e32 v21, 29, v21
	v_and_b32_e32 v14, 7, v14
	v_cmp_eq_u16_e32 vcc, 0, v20
	v_cndmask_b32_e32 v10, v10, v14, vcc
	v_cndmask_b32_e32 v14, v20, v21, vcc
	v_lshlrev_b32_e32 v20, 16, v15
	v_mov_b32_e32 v21, 0x3b800000
	v_lshlrev_b32_e32 v10, 20, v10
	v_and_b32_e32 v20, 0x80000000, v20
	v_lshl_add_u32 v14, v14, 23, v21
	v_or3_b32 v10, v20, v14, v10
.LBB42_812:
	s_or_b64 exec, exec, s[6:7]
	v_lshrrev_b32_e32 v14, 8, v11
	s_movk_i32 s4, 0x7f
	v_cmp_gt_i16_sdwa s[6:7], v14, s4 src0_sel:BYTE_0 src1_sel:DWORD
	s_mov_b64 s[4:5], 0
                                        ; implicit-def: $sgpr10
	s_and_saveexec_b64 s[8:9], s[6:7]
	s_xor_b64 s[6:7], exec, s[8:9]
	s_cbranch_execnz .LBB42_2861
; %bb.813:
	s_or_saveexec_b64 s[6:7], s[6:7]
	v_mov_b32_e32 v20, s10
	s_xor_b64 exec, exec, s[6:7]
	s_cbranch_execnz .LBB42_2864
.LBB42_814:
	s_or_b64 exec, exec, s[6:7]
	s_and_saveexec_b64 s[6:7], s[4:5]
	s_cbranch_execz .LBB42_816
.LBB42_815:
	v_bfe_u32 v20, v11, 8, 3
	v_ffbh_u32_e32 v22, v20
	v_min_u32_e32 v22, 32, v22
	v_lshrrev_b16_e32 v21, 3, v14
	v_subrev_u32_e32 v23, 28, v22
	v_and_b32_e32 v21, 15, v21
	v_lshlrev_b32_e32 v14, v23, v14
	v_sub_u32_e32 v22, 29, v22
	v_and_b32_e32 v14, 7, v14
	v_cmp_eq_u16_e32 vcc, 0, v21
	v_cndmask_b32_e32 v14, v20, v14, vcc
	v_cndmask_b32_e32 v20, v21, v22, vcc
	v_lshlrev_b32_e32 v21, 16, v11
	v_mov_b32_e32 v22, 0x3b800000
	v_lshlrev_b32_e32 v14, 20, v14
	v_and_b32_e32 v21, 0x80000000, v21
	v_lshl_add_u32 v20, v20, 23, v22
	v_or3_b32 v20, v21, v20, v14
.LBB42_816:
	s_or_b64 exec, exec, s[6:7]
	s_nop 0
	v_mfma_f32_16x16x4f32 a[0:3], v10, v20, a[0:3]
	s_movk_i32 s4, 0xff
	v_and_b32_sdwa v14, v15, s4 dst_sel:DWORD dst_unused:UNUSED_PAD src0_sel:WORD_1 src1_sel:DWORD
	s_movk_i32 s4, 0x7f
	v_cmp_lt_i16_e32 vcc, s4, v14
	s_mov_b64 s[4:5], 0
                                        ; implicit-def: $sgpr10
	s_and_saveexec_b64 s[6:7], vcc
	s_xor_b64 s[6:7], exec, s[6:7]
	s_cbranch_execnz .LBB42_2865
; %bb.817:
	s_or_saveexec_b64 s[6:7], s[6:7]
	v_mov_b32_e32 v10, s10
	s_xor_b64 exec, exec, s[6:7]
	s_cbranch_execnz .LBB42_2868
.LBB42_818:
	s_or_b64 exec, exec, s[6:7]
	s_and_saveexec_b64 s[6:7], s[4:5]
	s_cbranch_execz .LBB42_820
.LBB42_819:
	v_bfe_u32 v10, v15, 16, 3
	v_ffbh_u32_e32 v21, v10
	v_min_u32_e32 v21, 32, v21
	v_lshrrev_b32_e32 v14, 19, v15
	v_subrev_u32_e32 v22, 28, v21
	v_and_b32_e32 v14, 15, v14
	v_lshlrev_b32_sdwa v22, v22, v15 dst_sel:DWORD dst_unused:UNUSED_PAD src0_sel:DWORD src1_sel:WORD_1
	v_bfe_u32 v20, v15, 19, 4
	v_sub_u32_e32 v21, 29, v21
	v_and_b32_e32 v22, 7, v22
	v_cmp_eq_u16_e32 vcc, 0, v14
	v_cndmask_b32_e32 v10, v10, v22, vcc
	v_cndmask_b32_e32 v14, v20, v21, vcc
	v_lshlrev_b32_e32 v20, 8, v15
	v_mov_b32_e32 v21, 0x3b800000
	v_lshlrev_b32_e32 v10, 20, v10
	v_and_b32_e32 v20, 0x80000000, v20
	v_lshl_add_u32 v14, v14, 23, v21
	v_or3_b32 v10, v20, v14, v10
.LBB42_820:
	s_or_b64 exec, exec, s[6:7]
	s_movk_i32 s4, 0xff
	v_and_b32_sdwa v14, v11, s4 dst_sel:DWORD dst_unused:UNUSED_PAD src0_sel:WORD_1 src1_sel:DWORD
	s_movk_i32 s4, 0x7f
	v_cmp_lt_i16_e32 vcc, s4, v14
	s_mov_b64 s[4:5], 0
                                        ; implicit-def: $sgpr10
	s_and_saveexec_b64 s[6:7], vcc
	s_xor_b64 s[6:7], exec, s[6:7]
	s_cbranch_execnz .LBB42_2869
; %bb.821:
	s_or_saveexec_b64 s[6:7], s[6:7]
	v_mov_b32_e32 v20, s10
	s_xor_b64 exec, exec, s[6:7]
	s_cbranch_execnz .LBB42_2872
.LBB42_822:
	s_or_b64 exec, exec, s[6:7]
	s_and_saveexec_b64 s[6:7], s[4:5]
	s_cbranch_execz .LBB42_824
.LBB42_823:
	v_bfe_u32 v14, v11, 16, 3
	v_ffbh_u32_e32 v22, v14
	v_min_u32_e32 v22, 32, v22
	v_lshrrev_b32_e32 v20, 19, v11
	v_subrev_u32_e32 v23, 28, v22
	v_and_b32_e32 v20, 15, v20
	v_lshlrev_b32_sdwa v23, v23, v11 dst_sel:DWORD dst_unused:UNUSED_PAD src0_sel:DWORD src1_sel:WORD_1
	v_bfe_u32 v21, v11, 19, 4
	v_sub_u32_e32 v22, 29, v22
	v_and_b32_e32 v23, 7, v23
	v_cmp_eq_u16_e32 vcc, 0, v20
	v_cndmask_b32_e32 v14, v14, v23, vcc
	v_cndmask_b32_e32 v20, v21, v22, vcc
	v_lshlrev_b32_e32 v21, 8, v11
	v_mov_b32_e32 v22, 0x3b800000
	v_lshlrev_b32_e32 v14, 20, v14
	v_and_b32_e32 v21, 0x80000000, v21
	v_lshl_add_u32 v20, v20, 23, v22
	v_or3_b32 v20, v21, v20, v14
.LBB42_824:
	s_or_b64 exec, exec, s[6:7]
	s_nop 0
	v_mfma_f32_16x16x4f32 a[0:3], v10, v20, a[0:3]
	s_movk_i32 s4, 0x7f
	v_cmp_gt_i16_sdwa s[6:7], v15, s4 src0_sel:BYTE_3 src1_sel:DWORD
	s_mov_b64 s[4:5], 0
                                        ; implicit-def: $sgpr10
	s_and_saveexec_b64 s[8:9], s[6:7]
	s_xor_b64 s[6:7], exec, s[8:9]
	s_cbranch_execnz .LBB42_2873
; %bb.825:
	s_or_saveexec_b64 s[6:7], s[6:7]
	v_mov_b32_e32 v10, s10
	s_xor_b64 exec, exec, s[6:7]
	s_cbranch_execnz .LBB42_2876
.LBB42_826:
	s_or_b64 exec, exec, s[6:7]
	s_and_saveexec_b64 s[6:7], s[4:5]
	s_cbranch_execz .LBB42_828
.LBB42_827:
	v_bfe_u32 v10, v15, 24, 3
	v_ffbh_u32_e32 v22, v10
	v_min_u32_e32 v22, 32, v22
	v_lshrrev_b32_e32 v20, 27, v15
	v_subrev_u32_e32 v23, 28, v22
	v_and_b32_e32 v14, 0x80000000, v15
	v_and_b32_e32 v20, 15, v20
	v_bfe_u32 v21, v15, 27, 4
	v_lshlrev_b32_sdwa v15, v23, v15 dst_sel:DWORD dst_unused:UNUSED_PAD src0_sel:DWORD src1_sel:BYTE_3
	v_sub_u32_e32 v22, 29, v22
	v_and_b32_e32 v15, 7, v15
	v_cmp_eq_u16_e32 vcc, 0, v20
	v_cndmask_b32_e32 v10, v10, v15, vcc
	v_cndmask_b32_e32 v15, v21, v22, vcc
	v_mov_b32_e32 v20, 0x3b800000
	v_lshlrev_b32_e32 v10, 20, v10
	v_lshl_add_u32 v15, v15, 23, v20
	v_or3_b32 v10, v14, v15, v10
.LBB42_828:
	s_or_b64 exec, exec, s[6:7]
	s_movk_i32 s4, 0x7f
	v_cmp_gt_i16_sdwa s[6:7], v11, s4 src0_sel:BYTE_3 src1_sel:DWORD
	s_mov_b64 s[4:5], 0
                                        ; implicit-def: $sgpr10
	s_and_saveexec_b64 s[8:9], s[6:7]
	s_xor_b64 s[6:7], exec, s[8:9]
	s_cbranch_execnz .LBB42_2877
; %bb.829:
	s_or_saveexec_b64 s[6:7], s[6:7]
	v_mov_b32_e32 v14, s10
	s_xor_b64 exec, exec, s[6:7]
	s_cbranch_execnz .LBB42_2880
.LBB42_830:
	s_or_b64 exec, exec, s[6:7]
	s_and_saveexec_b64 s[6:7], s[4:5]
	s_cbranch_execz .LBB42_832
.LBB42_831:
	v_bfe_u32 v14, v11, 24, 3
	v_ffbh_u32_e32 v22, v14
	v_min_u32_e32 v22, 32, v22
	v_lshrrev_b32_e32 v20, 27, v11
	v_subrev_u32_e32 v23, 28, v22
	v_and_b32_e32 v15, 0x80000000, v11
	v_and_b32_e32 v20, 15, v20
	v_bfe_u32 v21, v11, 27, 4
	v_lshlrev_b32_sdwa v11, v23, v11 dst_sel:DWORD dst_unused:UNUSED_PAD src0_sel:DWORD src1_sel:BYTE_3
	v_sub_u32_e32 v22, 29, v22
	v_and_b32_e32 v11, 7, v11
	v_cmp_eq_u16_e32 vcc, 0, v20
	v_cndmask_b32_e32 v11, v14, v11, vcc
	v_cndmask_b32_e32 v14, v21, v22, vcc
	v_mov_b32_e32 v20, 0x3b800000
	v_lshlrev_b32_e32 v11, 20, v11
	v_lshl_add_u32 v14, v14, 23, v20
	v_or3_b32 v14, v15, v14, v11
.LBB42_832:
	s_or_b64 exec, exec, s[6:7]
	s_nop 0
	v_mfma_f32_16x16x4f32 a[0:3], v10, v14, a[0:3]
	s_movk_i32 s4, 0x7f
	v_cmp_gt_i16_sdwa s[6:7], v16, s4 src0_sel:BYTE_0 src1_sel:DWORD
	s_mov_b64 s[4:5], 0
                                        ; implicit-def: $sgpr10
	s_and_saveexec_b64 s[8:9], s[6:7]
	s_xor_b64 s[6:7], exec, s[8:9]
	s_cbranch_execnz .LBB42_2881
; %bb.833:
	s_or_saveexec_b64 s[6:7], s[6:7]
	v_mov_b32_e32 v10, s10
	s_xor_b64 exec, exec, s[6:7]
	s_cbranch_execnz .LBB42_2884
.LBB42_834:
	s_or_b64 exec, exec, s[6:7]
	s_and_saveexec_b64 s[6:7], s[4:5]
	s_cbranch_execz .LBB42_836
.LBB42_835:
	v_and_b32_e32 v10, 7, v16
	v_ffbh_u32_e32 v14, v10
	v_min_u32_e32 v14, 32, v14
	v_lshrrev_b16_e32 v11, 3, v16
	v_subrev_u32_e32 v15, 28, v14
	v_and_b32_e32 v11, 15, v11
	v_lshlrev_b32_e32 v15, v15, v16
	v_sub_u32_e32 v14, 29, v14
	v_and_b32_e32 v15, 7, v15
	v_cmp_eq_u16_e32 vcc, 0, v11
	v_cndmask_b32_e32 v10, v10, v15, vcc
	v_cndmask_b32_e32 v11, v11, v14, vcc
	v_lshlrev_b32_e32 v14, 24, v16
	v_mov_b32_e32 v15, 0x3b800000
	v_lshlrev_b32_e32 v10, 20, v10
	v_and_b32_e32 v14, 0x80000000, v14
	v_lshl_add_u32 v11, v11, 23, v15
	v_or3_b32 v10, v14, v11, v10
.LBB42_836:
	s_or_b64 exec, exec, s[6:7]
	s_movk_i32 s4, 0x7f
	v_cmp_gt_i16_sdwa s[6:7], v12, s4 src0_sel:BYTE_0 src1_sel:DWORD
	s_mov_b64 s[4:5], 0
                                        ; implicit-def: $sgpr10
	s_and_saveexec_b64 s[8:9], s[6:7]
	s_xor_b64 s[6:7], exec, s[8:9]
	s_cbranch_execnz .LBB42_2885
; %bb.837:
	s_or_saveexec_b64 s[6:7], s[6:7]
	v_mov_b32_e32 v11, s10
	s_xor_b64 exec, exec, s[6:7]
	s_cbranch_execnz .LBB42_2888
.LBB42_838:
	s_or_b64 exec, exec, s[6:7]
	s_and_saveexec_b64 s[6:7], s[4:5]
	s_cbranch_execz .LBB42_840
.LBB42_839:
	v_and_b32_e32 v11, 7, v12
	v_ffbh_u32_e32 v15, v11
	v_min_u32_e32 v15, 32, v15
	v_lshrrev_b16_e32 v14, 3, v12
	v_subrev_u32_e32 v20, 28, v15
	v_and_b32_e32 v14, 15, v14
	v_lshlrev_b32_e32 v20, v20, v12
	v_sub_u32_e32 v15, 29, v15
	v_and_b32_e32 v20, 7, v20
	v_cmp_eq_u16_e32 vcc, 0, v14
	v_cndmask_b32_e32 v11, v11, v20, vcc
	v_cndmask_b32_e32 v14, v14, v15, vcc
	v_lshlrev_b32_e32 v15, 24, v12
	v_mov_b32_e32 v20, 0x3b800000
	v_lshlrev_b32_e32 v11, 20, v11
	v_and_b32_e32 v15, 0x80000000, v15
	v_lshl_add_u32 v14, v14, 23, v20
	v_or3_b32 v11, v15, v14, v11
.LBB42_840:
	s_or_b64 exec, exec, s[6:7]
	s_nop 0
	v_mfma_f32_16x16x4f32 a[0:3], v10, v11, a[0:3]
	v_lshrrev_b32_e32 v11, 8, v16
	s_movk_i32 s4, 0x7f
	v_cmp_gt_i16_sdwa s[6:7], v11, s4 src0_sel:BYTE_0 src1_sel:DWORD
	s_mov_b64 s[4:5], 0
                                        ; implicit-def: $sgpr10
	s_and_saveexec_b64 s[8:9], s[6:7]
	s_xor_b64 s[6:7], exec, s[8:9]
	s_cbranch_execnz .LBB42_2889
; %bb.841:
	s_or_saveexec_b64 s[6:7], s[6:7]
	v_mov_b32_e32 v10, s10
	s_xor_b64 exec, exec, s[6:7]
	s_cbranch_execnz .LBB42_2892
.LBB42_842:
	s_or_b64 exec, exec, s[6:7]
	s_and_saveexec_b64 s[6:7], s[4:5]
	s_cbranch_execz .LBB42_844
.LBB42_843:
	v_bfe_u32 v10, v16, 8, 3
	v_ffbh_u32_e32 v15, v10
	v_min_u32_e32 v15, 32, v15
	v_lshrrev_b16_e32 v14, 3, v11
	v_subrev_u32_e32 v20, 28, v15
	v_and_b32_e32 v14, 15, v14
	v_lshlrev_b32_e32 v11, v20, v11
	v_sub_u32_e32 v15, 29, v15
	v_and_b32_e32 v11, 7, v11
	v_cmp_eq_u16_e32 vcc, 0, v14
	v_cndmask_b32_e32 v10, v10, v11, vcc
	v_cndmask_b32_e32 v11, v14, v15, vcc
	v_lshlrev_b32_e32 v14, 16, v16
	v_mov_b32_e32 v15, 0x3b800000
	v_lshlrev_b32_e32 v10, 20, v10
	v_and_b32_e32 v14, 0x80000000, v14
	v_lshl_add_u32 v11, v11, 23, v15
	v_or3_b32 v10, v14, v11, v10
.LBB42_844:
	s_or_b64 exec, exec, s[6:7]
	v_lshrrev_b32_e32 v11, 8, v12
	s_movk_i32 s4, 0x7f
	v_cmp_gt_i16_sdwa s[6:7], v11, s4 src0_sel:BYTE_0 src1_sel:DWORD
	s_mov_b64 s[4:5], 0
                                        ; implicit-def: $sgpr10
	s_and_saveexec_b64 s[8:9], s[6:7]
	s_xor_b64 s[6:7], exec, s[8:9]
	s_cbranch_execnz .LBB42_2893
; %bb.845:
	s_or_saveexec_b64 s[6:7], s[6:7]
	v_mov_b32_e32 v14, s10
	s_xor_b64 exec, exec, s[6:7]
	s_cbranch_execnz .LBB42_2896
.LBB42_846:
	s_or_b64 exec, exec, s[6:7]
	s_and_saveexec_b64 s[6:7], s[4:5]
	s_cbranch_execz .LBB42_848
.LBB42_847:
	v_bfe_u32 v14, v12, 8, 3
	v_ffbh_u32_e32 v20, v14
	v_min_u32_e32 v20, 32, v20
	v_lshrrev_b16_e32 v15, 3, v11
	v_subrev_u32_e32 v21, 28, v20
	v_and_b32_e32 v15, 15, v15
	v_lshlrev_b32_e32 v11, v21, v11
	v_sub_u32_e32 v20, 29, v20
	v_and_b32_e32 v11, 7, v11
	v_cmp_eq_u16_e32 vcc, 0, v15
	v_cndmask_b32_e32 v11, v14, v11, vcc
	v_cndmask_b32_e32 v14, v15, v20, vcc
	v_lshlrev_b32_e32 v15, 16, v12
	v_mov_b32_e32 v20, 0x3b800000
	v_lshlrev_b32_e32 v11, 20, v11
	v_and_b32_e32 v15, 0x80000000, v15
	v_lshl_add_u32 v14, v14, 23, v20
	v_or3_b32 v14, v15, v14, v11
.LBB42_848:
	s_or_b64 exec, exec, s[6:7]
	s_nop 0
	v_mfma_f32_16x16x4f32 a[0:3], v10, v14, a[0:3]
	s_movk_i32 s4, 0xff
	v_and_b32_sdwa v11, v16, s4 dst_sel:DWORD dst_unused:UNUSED_PAD src0_sel:WORD_1 src1_sel:DWORD
	s_movk_i32 s4, 0x7f
	v_cmp_lt_i16_e32 vcc, s4, v11
	s_mov_b64 s[4:5], 0
                                        ; implicit-def: $sgpr10
	s_and_saveexec_b64 s[6:7], vcc
	s_xor_b64 s[6:7], exec, s[6:7]
	s_cbranch_execnz .LBB42_2897
; %bb.849:
	s_or_saveexec_b64 s[6:7], s[6:7]
	v_mov_b32_e32 v10, s10
	s_xor_b64 exec, exec, s[6:7]
	s_cbranch_execnz .LBB42_2900
.LBB42_850:
	s_or_b64 exec, exec, s[6:7]
	s_and_saveexec_b64 s[6:7], s[4:5]
	s_cbranch_execz .LBB42_852
.LBB42_851:
	v_bfe_u32 v10, v16, 16, 3
	v_ffbh_u32_e32 v15, v10
	v_min_u32_e32 v15, 32, v15
	v_lshrrev_b32_e32 v11, 19, v16
	v_subrev_u32_e32 v20, 28, v15
	v_and_b32_e32 v11, 15, v11
	v_lshlrev_b32_sdwa v20, v20, v16 dst_sel:DWORD dst_unused:UNUSED_PAD src0_sel:DWORD src1_sel:WORD_1
	v_bfe_u32 v14, v16, 19, 4
	v_sub_u32_e32 v15, 29, v15
	v_and_b32_e32 v20, 7, v20
	v_cmp_eq_u16_e32 vcc, 0, v11
	v_cndmask_b32_e32 v10, v10, v20, vcc
	v_cndmask_b32_e32 v11, v14, v15, vcc
	v_lshlrev_b32_e32 v14, 8, v16
	v_mov_b32_e32 v15, 0x3b800000
	v_lshlrev_b32_e32 v10, 20, v10
	v_and_b32_e32 v14, 0x80000000, v14
	v_lshl_add_u32 v11, v11, 23, v15
	v_or3_b32 v10, v14, v11, v10
.LBB42_852:
	s_or_b64 exec, exec, s[6:7]
	s_movk_i32 s4, 0xff
	v_and_b32_sdwa v11, v12, s4 dst_sel:DWORD dst_unused:UNUSED_PAD src0_sel:WORD_1 src1_sel:DWORD
	s_movk_i32 s4, 0x7f
	v_cmp_lt_i16_e32 vcc, s4, v11
	s_mov_b64 s[4:5], 0
                                        ; implicit-def: $sgpr10
	s_and_saveexec_b64 s[6:7], vcc
	s_xor_b64 s[6:7], exec, s[6:7]
	s_cbranch_execnz .LBB42_2901
; %bb.853:
	s_or_saveexec_b64 s[6:7], s[6:7]
	v_mov_b32_e32 v14, s10
	s_xor_b64 exec, exec, s[6:7]
	s_cbranch_execnz .LBB42_2904
.LBB42_854:
	s_or_b64 exec, exec, s[6:7]
	s_and_saveexec_b64 s[6:7], s[4:5]
	s_cbranch_execz .LBB42_856
.LBB42_855:
	v_bfe_u32 v11, v12, 16, 3
	v_ffbh_u32_e32 v20, v11
	v_min_u32_e32 v20, 32, v20
	v_lshrrev_b32_e32 v14, 19, v12
	v_subrev_u32_e32 v21, 28, v20
	v_and_b32_e32 v14, 15, v14
	v_lshlrev_b32_sdwa v21, v21, v12 dst_sel:DWORD dst_unused:UNUSED_PAD src0_sel:DWORD src1_sel:WORD_1
	v_bfe_u32 v15, v12, 19, 4
	v_sub_u32_e32 v20, 29, v20
	v_and_b32_e32 v21, 7, v21
	v_cmp_eq_u16_e32 vcc, 0, v14
	v_cndmask_b32_e32 v11, v11, v21, vcc
	v_cndmask_b32_e32 v14, v15, v20, vcc
	v_lshlrev_b32_e32 v15, 8, v12
	v_mov_b32_e32 v20, 0x3b800000
	v_lshlrev_b32_e32 v11, 20, v11
	v_and_b32_e32 v15, 0x80000000, v15
	v_lshl_add_u32 v14, v14, 23, v20
	v_or3_b32 v14, v15, v14, v11
.LBB42_856:
	s_or_b64 exec, exec, s[6:7]
	s_nop 0
	v_mfma_f32_16x16x4f32 a[0:3], v10, v14, a[0:3]
	s_movk_i32 s4, 0x7f
	v_cmp_gt_i16_sdwa s[6:7], v16, s4 src0_sel:BYTE_3 src1_sel:DWORD
	s_mov_b64 s[4:5], 0
                                        ; implicit-def: $sgpr10
	s_and_saveexec_b64 s[8:9], s[6:7]
	s_xor_b64 s[6:7], exec, s[8:9]
	s_cbranch_execnz .LBB42_2905
; %bb.857:
	s_or_saveexec_b64 s[6:7], s[6:7]
	v_mov_b32_e32 v10, s10
	s_xor_b64 exec, exec, s[6:7]
	s_cbranch_execnz .LBB42_2908
.LBB42_858:
	s_or_b64 exec, exec, s[6:7]
	s_and_saveexec_b64 s[6:7], s[4:5]
	s_cbranch_execz .LBB42_860
.LBB42_859:
	v_bfe_u32 v10, v16, 24, 3
	v_ffbh_u32_e32 v20, v10
	v_min_u32_e32 v20, 32, v20
	v_lshrrev_b32_e32 v14, 27, v16
	v_subrev_u32_e32 v21, 28, v20
	v_and_b32_e32 v11, 0x80000000, v16
	v_and_b32_e32 v14, 15, v14
	v_bfe_u32 v15, v16, 27, 4
	v_lshlrev_b32_sdwa v16, v21, v16 dst_sel:DWORD dst_unused:UNUSED_PAD src0_sel:DWORD src1_sel:BYTE_3
	v_sub_u32_e32 v20, 29, v20
	v_and_b32_e32 v16, 7, v16
	v_cmp_eq_u16_e32 vcc, 0, v14
	v_cndmask_b32_e32 v10, v10, v16, vcc
	v_cndmask_b32_e32 v14, v15, v20, vcc
	v_mov_b32_e32 v15, 0x3b800000
	v_lshlrev_b32_e32 v10, 20, v10
	v_lshl_add_u32 v14, v14, 23, v15
	v_or3_b32 v10, v11, v14, v10
.LBB42_860:
	s_or_b64 exec, exec, s[6:7]
	s_movk_i32 s4, 0x7f
	v_cmp_gt_i16_sdwa s[6:7], v12, s4 src0_sel:BYTE_3 src1_sel:DWORD
	s_mov_b64 s[4:5], 0
                                        ; implicit-def: $sgpr10
	s_and_saveexec_b64 s[8:9], s[6:7]
	s_xor_b64 s[6:7], exec, s[8:9]
	s_cbranch_execnz .LBB42_2909
; %bb.861:
	s_or_saveexec_b64 s[6:7], s[6:7]
	v_mov_b32_e32 v11, s10
	s_xor_b64 exec, exec, s[6:7]
	s_cbranch_execnz .LBB42_2912
.LBB42_862:
	s_or_b64 exec, exec, s[6:7]
	s_and_saveexec_b64 s[6:7], s[4:5]
	s_cbranch_execz .LBB42_864
.LBB42_863:
	v_bfe_u32 v11, v12, 24, 3
	v_ffbh_u32_e32 v20, v11
	v_min_u32_e32 v20, 32, v20
	v_lshrrev_b32_e32 v15, 27, v12
	v_subrev_u32_e32 v21, 28, v20
	v_and_b32_e32 v14, 0x80000000, v12
	v_and_b32_e32 v15, 15, v15
	v_bfe_u32 v16, v12, 27, 4
	v_lshlrev_b32_sdwa v12, v21, v12 dst_sel:DWORD dst_unused:UNUSED_PAD src0_sel:DWORD src1_sel:BYTE_3
	v_sub_u32_e32 v20, 29, v20
	v_and_b32_e32 v12, 7, v12
	v_cmp_eq_u16_e32 vcc, 0, v15
	v_cndmask_b32_e32 v11, v11, v12, vcc
	v_cndmask_b32_e32 v12, v16, v20, vcc
	v_mov_b32_e32 v15, 0x3b800000
	v_lshlrev_b32_e32 v11, 20, v11
	v_lshl_add_u32 v12, v12, 23, v15
	v_or3_b32 v11, v14, v12, v11
.LBB42_864:
	s_or_b64 exec, exec, s[6:7]
	s_nop 0
	v_mfma_f32_16x16x4f32 a[0:3], v10, v11, a[0:3]
	s_movk_i32 s4, 0x7f
	v_cmp_gt_i16_sdwa s[6:7], v17, s4 src0_sel:BYTE_0 src1_sel:DWORD
	s_mov_b64 s[4:5], 0
                                        ; implicit-def: $sgpr10
	s_and_saveexec_b64 s[8:9], s[6:7]
	s_xor_b64 s[6:7], exec, s[8:9]
	s_cbranch_execnz .LBB42_2913
; %bb.865:
	s_or_saveexec_b64 s[6:7], s[6:7]
	v_mov_b32_e32 v10, s10
	s_xor_b64 exec, exec, s[6:7]
	s_cbranch_execnz .LBB42_2916
.LBB42_866:
	s_or_b64 exec, exec, s[6:7]
	s_and_saveexec_b64 s[6:7], s[4:5]
	s_cbranch_execz .LBB42_868
.LBB42_867:
	v_and_b32_e32 v10, 7, v17
	v_ffbh_u32_e32 v12, v10
	v_min_u32_e32 v12, 32, v12
	v_lshrrev_b16_e32 v11, 3, v17
	v_subrev_u32_e32 v14, 28, v12
	v_and_b32_e32 v11, 15, v11
	v_lshlrev_b32_e32 v14, v14, v17
	v_sub_u32_e32 v12, 29, v12
	v_and_b32_e32 v14, 7, v14
	v_cmp_eq_u16_e32 vcc, 0, v11
	v_cndmask_b32_e32 v10, v10, v14, vcc
	v_cndmask_b32_e32 v11, v11, v12, vcc
	v_lshlrev_b32_e32 v12, 24, v17
	v_mov_b32_e32 v14, 0x3b800000
	v_lshlrev_b32_e32 v10, 20, v10
	v_and_b32_e32 v12, 0x80000000, v12
	v_lshl_add_u32 v11, v11, 23, v14
	v_or3_b32 v10, v12, v11, v10
.LBB42_868:
	s_or_b64 exec, exec, s[6:7]
	s_movk_i32 s4, 0x7f
	v_cmp_gt_i16_sdwa s[6:7], v13, s4 src0_sel:BYTE_0 src1_sel:DWORD
	s_mov_b64 s[4:5], 0
                                        ; implicit-def: $sgpr10
	s_and_saveexec_b64 s[8:9], s[6:7]
	s_xor_b64 s[6:7], exec, s[8:9]
	s_cbranch_execnz .LBB42_2917
; %bb.869:
	s_or_saveexec_b64 s[6:7], s[6:7]
	v_mov_b32_e32 v11, s10
	s_xor_b64 exec, exec, s[6:7]
	s_cbranch_execnz .LBB42_2920
.LBB42_870:
	s_or_b64 exec, exec, s[6:7]
	s_and_saveexec_b64 s[6:7], s[4:5]
	s_cbranch_execz .LBB42_872
.LBB42_871:
	v_and_b32_e32 v11, 7, v13
	v_ffbh_u32_e32 v14, v11
	v_min_u32_e32 v14, 32, v14
	v_lshrrev_b16_e32 v12, 3, v13
	v_subrev_u32_e32 v15, 28, v14
	v_and_b32_e32 v12, 15, v12
	v_lshlrev_b32_e32 v15, v15, v13
	v_sub_u32_e32 v14, 29, v14
	v_and_b32_e32 v15, 7, v15
	v_cmp_eq_u16_e32 vcc, 0, v12
	v_cndmask_b32_e32 v11, v11, v15, vcc
	v_cndmask_b32_e32 v12, v12, v14, vcc
	v_lshlrev_b32_e32 v14, 24, v13
	v_mov_b32_e32 v15, 0x3b800000
	v_lshlrev_b32_e32 v11, 20, v11
	v_and_b32_e32 v14, 0x80000000, v14
	v_lshl_add_u32 v12, v12, 23, v15
	v_or3_b32 v11, v14, v12, v11
.LBB42_872:
	s_or_b64 exec, exec, s[6:7]
	s_nop 0
	v_mfma_f32_16x16x4f32 a[0:3], v10, v11, a[0:3]
	v_lshrrev_b32_e32 v11, 8, v17
	s_movk_i32 s4, 0x7f
	v_cmp_gt_i16_sdwa s[6:7], v11, s4 src0_sel:BYTE_0 src1_sel:DWORD
	s_mov_b64 s[4:5], 0
                                        ; implicit-def: $sgpr10
	s_and_saveexec_b64 s[8:9], s[6:7]
	s_xor_b64 s[6:7], exec, s[8:9]
	s_cbranch_execnz .LBB42_2921
; %bb.873:
	s_or_saveexec_b64 s[6:7], s[6:7]
	v_mov_b32_e32 v10, s10
	s_xor_b64 exec, exec, s[6:7]
	s_cbranch_execnz .LBB42_2924
.LBB42_874:
	s_or_b64 exec, exec, s[6:7]
	s_and_saveexec_b64 s[6:7], s[4:5]
	s_cbranch_execz .LBB42_876
.LBB42_875:
	v_bfe_u32 v10, v17, 8, 3
	v_ffbh_u32_e32 v14, v10
	v_min_u32_e32 v14, 32, v14
	v_lshrrev_b16_e32 v12, 3, v11
	v_subrev_u32_e32 v15, 28, v14
	v_and_b32_e32 v12, 15, v12
	v_lshlrev_b32_e32 v11, v15, v11
	v_sub_u32_e32 v14, 29, v14
	v_and_b32_e32 v11, 7, v11
	v_cmp_eq_u16_e32 vcc, 0, v12
	v_cndmask_b32_e32 v10, v10, v11, vcc
	v_cndmask_b32_e32 v11, v12, v14, vcc
	v_lshlrev_b32_e32 v12, 16, v17
	v_mov_b32_e32 v14, 0x3b800000
	v_lshlrev_b32_e32 v10, 20, v10
	v_and_b32_e32 v12, 0x80000000, v12
	v_lshl_add_u32 v11, v11, 23, v14
	v_or3_b32 v10, v12, v11, v10
.LBB42_876:
	s_or_b64 exec, exec, s[6:7]
	v_lshrrev_b32_e32 v11, 8, v13
	s_movk_i32 s4, 0x7f
	v_cmp_gt_i16_sdwa s[6:7], v11, s4 src0_sel:BYTE_0 src1_sel:DWORD
	s_mov_b64 s[4:5], 0
                                        ; implicit-def: $sgpr10
	s_and_saveexec_b64 s[8:9], s[6:7]
	s_xor_b64 s[6:7], exec, s[8:9]
	s_cbranch_execnz .LBB42_2925
; %bb.877:
	s_or_saveexec_b64 s[6:7], s[6:7]
	v_mov_b32_e32 v12, s10
	s_xor_b64 exec, exec, s[6:7]
	s_cbranch_execnz .LBB42_2928
.LBB42_878:
	s_or_b64 exec, exec, s[6:7]
	s_and_saveexec_b64 s[6:7], s[4:5]
	s_cbranch_execz .LBB42_880
.LBB42_879:
	v_bfe_u32 v12, v13, 8, 3
	v_ffbh_u32_e32 v15, v12
	v_min_u32_e32 v15, 32, v15
	v_lshrrev_b16_e32 v14, 3, v11
	v_subrev_u32_e32 v16, 28, v15
	v_and_b32_e32 v14, 15, v14
	v_lshlrev_b32_e32 v11, v16, v11
	v_sub_u32_e32 v15, 29, v15
	v_and_b32_e32 v11, 7, v11
	v_cmp_eq_u16_e32 vcc, 0, v14
	v_cndmask_b32_e32 v11, v12, v11, vcc
	v_cndmask_b32_e32 v12, v14, v15, vcc
	v_lshlrev_b32_e32 v14, 16, v13
	v_mov_b32_e32 v15, 0x3b800000
	v_lshlrev_b32_e32 v11, 20, v11
	v_and_b32_e32 v14, 0x80000000, v14
	v_lshl_add_u32 v12, v12, 23, v15
	v_or3_b32 v12, v14, v12, v11
.LBB42_880:
	s_or_b64 exec, exec, s[6:7]
	s_nop 0
	v_mfma_f32_16x16x4f32 a[0:3], v10, v12, a[0:3]
	s_movk_i32 s4, 0xff
	v_and_b32_sdwa v11, v17, s4 dst_sel:DWORD dst_unused:UNUSED_PAD src0_sel:WORD_1 src1_sel:DWORD
	s_movk_i32 s4, 0x7f
	v_cmp_lt_i16_e32 vcc, s4, v11
	s_mov_b64 s[4:5], 0
                                        ; implicit-def: $sgpr10
	s_and_saveexec_b64 s[6:7], vcc
	s_xor_b64 s[6:7], exec, s[6:7]
	s_cbranch_execnz .LBB42_2929
; %bb.881:
	s_or_saveexec_b64 s[6:7], s[6:7]
	v_mov_b32_e32 v10, s10
	s_xor_b64 exec, exec, s[6:7]
	s_cbranch_execnz .LBB42_2932
.LBB42_882:
	s_or_b64 exec, exec, s[6:7]
	s_and_saveexec_b64 s[6:7], s[4:5]
	s_cbranch_execz .LBB42_884
.LBB42_883:
	v_bfe_u32 v10, v17, 16, 3
	v_ffbh_u32_e32 v14, v10
	v_min_u32_e32 v14, 32, v14
	v_lshrrev_b32_e32 v11, 19, v17
	v_subrev_u32_e32 v15, 28, v14
	v_and_b32_e32 v11, 15, v11
	v_lshlrev_b32_sdwa v15, v15, v17 dst_sel:DWORD dst_unused:UNUSED_PAD src0_sel:DWORD src1_sel:WORD_1
	v_bfe_u32 v12, v17, 19, 4
	v_sub_u32_e32 v14, 29, v14
	v_and_b32_e32 v15, 7, v15
	v_cmp_eq_u16_e32 vcc, 0, v11
	v_cndmask_b32_e32 v10, v10, v15, vcc
	v_cndmask_b32_e32 v11, v12, v14, vcc
	v_lshlrev_b32_e32 v12, 8, v17
	v_mov_b32_e32 v14, 0x3b800000
	v_lshlrev_b32_e32 v10, 20, v10
	v_and_b32_e32 v12, 0x80000000, v12
	v_lshl_add_u32 v11, v11, 23, v14
	v_or3_b32 v10, v12, v11, v10
.LBB42_884:
	s_or_b64 exec, exec, s[6:7]
	s_movk_i32 s4, 0xff
	v_and_b32_sdwa v11, v13, s4 dst_sel:DWORD dst_unused:UNUSED_PAD src0_sel:WORD_1 src1_sel:DWORD
	s_movk_i32 s4, 0x7f
	v_cmp_lt_i16_e32 vcc, s4, v11
	s_mov_b64 s[4:5], 0
                                        ; implicit-def: $sgpr10
	s_and_saveexec_b64 s[6:7], vcc
	s_xor_b64 s[6:7], exec, s[6:7]
	s_cbranch_execnz .LBB42_2933
; %bb.885:
	s_or_saveexec_b64 s[6:7], s[6:7]
	v_mov_b32_e32 v12, s10
	s_xor_b64 exec, exec, s[6:7]
	s_cbranch_execnz .LBB42_2936
.LBB42_886:
	s_or_b64 exec, exec, s[6:7]
	s_and_saveexec_b64 s[6:7], s[4:5]
	s_cbranch_execz .LBB42_888
.LBB42_887:
	v_bfe_u32 v11, v13, 16, 3
	v_ffbh_u32_e32 v15, v11
	v_min_u32_e32 v15, 32, v15
	v_lshrrev_b32_e32 v12, 19, v13
	v_subrev_u32_e32 v16, 28, v15
	v_and_b32_e32 v12, 15, v12
	v_lshlrev_b32_sdwa v16, v16, v13 dst_sel:DWORD dst_unused:UNUSED_PAD src0_sel:DWORD src1_sel:WORD_1
	v_bfe_u32 v14, v13, 19, 4
	v_sub_u32_e32 v15, 29, v15
	v_and_b32_e32 v16, 7, v16
	v_cmp_eq_u16_e32 vcc, 0, v12
	v_cndmask_b32_e32 v11, v11, v16, vcc
	v_cndmask_b32_e32 v12, v14, v15, vcc
	v_lshlrev_b32_e32 v14, 8, v13
	v_mov_b32_e32 v15, 0x3b800000
	v_lshlrev_b32_e32 v11, 20, v11
	v_and_b32_e32 v14, 0x80000000, v14
	v_lshl_add_u32 v12, v12, 23, v15
	v_or3_b32 v12, v14, v12, v11
.LBB42_888:
	s_or_b64 exec, exec, s[6:7]
	s_nop 0
	v_mfma_f32_16x16x4f32 a[0:3], v10, v12, a[0:3]
	s_movk_i32 s4, 0x7f
	v_cmp_gt_i16_sdwa s[6:7], v17, s4 src0_sel:BYTE_3 src1_sel:DWORD
	s_mov_b64 s[4:5], 0
                                        ; implicit-def: $sgpr10
	s_and_saveexec_b64 s[8:9], s[6:7]
	s_xor_b64 s[6:7], exec, s[8:9]
	s_cbranch_execnz .LBB42_2937
; %bb.889:
	s_or_saveexec_b64 s[6:7], s[6:7]
	v_mov_b32_e32 v10, s10
	s_xor_b64 exec, exec, s[6:7]
	s_cbranch_execnz .LBB42_2940
.LBB42_890:
	s_or_b64 exec, exec, s[6:7]
	s_and_saveexec_b64 s[6:7], s[4:5]
	s_cbranch_execz .LBB42_892
.LBB42_891:
	v_bfe_u32 v10, v17, 24, 3
	v_ffbh_u32_e32 v15, v10
	v_min_u32_e32 v15, 32, v15
	v_lshrrev_b32_e32 v12, 27, v17
	v_subrev_u32_e32 v16, 28, v15
	v_and_b32_e32 v12, 15, v12
	v_lshlrev_b32_sdwa v16, v16, v17 dst_sel:DWORD dst_unused:UNUSED_PAD src0_sel:DWORD src1_sel:BYTE_3
	v_bfe_u32 v14, v17, 27, 4
	v_sub_u32_e32 v15, 29, v15
	v_and_b32_e32 v16, 7, v16
	v_cmp_eq_u16_e32 vcc, 0, v12
	v_cndmask_b32_e32 v10, v10, v16, vcc
	v_cndmask_b32_e32 v12, v14, v15, vcc
	v_mov_b32_e32 v14, 0x3b800000
	v_and_b32_e32 v11, 0x80000000, v17
	v_lshlrev_b32_e32 v10, 20, v10
	v_lshl_add_u32 v12, v12, 23, v14
	v_or3_b32 v10, v11, v12, v10
.LBB42_892:
	s_or_b64 exec, exec, s[6:7]
	s_movk_i32 s4, 0x7f
	v_cmp_gt_i16_sdwa s[6:7], v13, s4 src0_sel:BYTE_3 src1_sel:DWORD
	s_mov_b64 s[4:5], 0
                                        ; implicit-def: $sgpr10
	s_and_saveexec_b64 s[8:9], s[6:7]
	s_xor_b64 s[6:7], exec, s[8:9]
	s_cbranch_execnz .LBB42_2941
; %bb.893:
	s_or_saveexec_b64 s[6:7], s[6:7]
	v_mov_b32_e32 v11, s10
	s_xor_b64 exec, exec, s[6:7]
	s_cbranch_execnz .LBB42_2944
.LBB42_894:
	s_or_b64 exec, exec, s[6:7]
	s_and_saveexec_b64 s[6:7], s[4:5]
	s_cbranch_execz .LBB42_896
.LBB42_895:
	v_bfe_u32 v11, v13, 24, 3
	v_ffbh_u32_e32 v16, v11
	v_min_u32_e32 v16, 32, v16
	v_lshrrev_b32_e32 v14, 27, v13
	v_subrev_u32_e32 v17, 28, v16
	v_and_b32_e32 v12, 0x80000000, v13
	v_and_b32_e32 v14, 15, v14
	v_bfe_u32 v15, v13, 27, 4
	v_lshlrev_b32_sdwa v13, v17, v13 dst_sel:DWORD dst_unused:UNUSED_PAD src0_sel:DWORD src1_sel:BYTE_3
	v_sub_u32_e32 v16, 29, v16
	v_and_b32_e32 v13, 7, v13
	v_cmp_eq_u16_e32 vcc, 0, v14
	v_cndmask_b32_e32 v11, v11, v13, vcc
	v_cndmask_b32_e32 v13, v15, v16, vcc
	v_mov_b32_e32 v14, 0x3b800000
	v_lshlrev_b32_e32 v11, 20, v11
	v_lshl_add_u32 v13, v13, 23, v14
	v_or3_b32 v11, v12, v13, v11
.LBB42_896:
	s_or_b64 exec, exec, s[6:7]
	s_nop 0
	v_mfma_f32_16x16x4f32 a[0:3], v10, v11, a[0:3]
	s_movk_i32 s4, 0x7f
	v_cmp_gt_i16_sdwa s[6:7], v6, s4 src0_sel:BYTE_0 src1_sel:DWORD
	s_mov_b64 s[4:5], 0
                                        ; implicit-def: $sgpr10
	s_and_saveexec_b64 s[8:9], s[6:7]
	s_xor_b64 s[6:7], exec, s[8:9]
	s_cbranch_execnz .LBB42_2945
; %bb.897:
	s_or_saveexec_b64 s[6:7], s[6:7]
	v_mov_b32_e32 v10, s10
	s_xor_b64 exec, exec, s[6:7]
	s_cbranch_execnz .LBB42_2948
.LBB42_898:
	s_or_b64 exec, exec, s[6:7]
	s_and_saveexec_b64 s[6:7], s[4:5]
	s_cbranch_execz .LBB42_900
.LBB42_899:
	v_and_b32_e32 v10, 7, v6
	v_ffbh_u32_e32 v12, v10
	v_min_u32_e32 v12, 32, v12
	v_lshrrev_b16_e32 v11, 3, v6
	v_subrev_u32_e32 v13, 28, v12
	v_and_b32_e32 v11, 15, v11
	v_lshlrev_b32_e32 v13, v13, v6
	v_sub_u32_e32 v12, 29, v12
	v_and_b32_e32 v13, 7, v13
	v_cmp_eq_u16_e32 vcc, 0, v11
	v_cndmask_b32_e32 v10, v10, v13, vcc
	v_cndmask_b32_e32 v11, v11, v12, vcc
	v_lshlrev_b32_e32 v12, 24, v6
	v_mov_b32_e32 v13, 0x3b800000
	v_lshlrev_b32_e32 v10, 20, v10
	v_and_b32_e32 v12, 0x80000000, v12
	v_lshl_add_u32 v11, v11, 23, v13
	v_or3_b32 v10, v12, v11, v10
.LBB42_900:
	s_or_b64 exec, exec, s[6:7]
	s_movk_i32 s4, 0x7f
	v_cmp_gt_i16_sdwa s[6:7], v2, s4 src0_sel:BYTE_0 src1_sel:DWORD
	s_mov_b64 s[4:5], 0
                                        ; implicit-def: $sgpr10
	s_and_saveexec_b64 s[8:9], s[6:7]
	s_xor_b64 s[6:7], exec, s[8:9]
	s_cbranch_execnz .LBB42_2949
; %bb.901:
	s_or_saveexec_b64 s[6:7], s[6:7]
	v_mov_b32_e32 v11, s10
	s_xor_b64 exec, exec, s[6:7]
	s_cbranch_execnz .LBB42_2952
.LBB42_902:
	s_or_b64 exec, exec, s[6:7]
	s_and_saveexec_b64 s[6:7], s[4:5]
	s_cbranch_execz .LBB42_904
.LBB42_903:
	v_and_b32_e32 v11, 7, v2
	v_ffbh_u32_e32 v13, v11
	v_min_u32_e32 v13, 32, v13
	v_lshrrev_b16_e32 v12, 3, v2
	v_subrev_u32_e32 v14, 28, v13
	v_and_b32_e32 v12, 15, v12
	v_lshlrev_b32_e32 v14, v14, v2
	v_sub_u32_e32 v13, 29, v13
	v_and_b32_e32 v14, 7, v14
	v_cmp_eq_u16_e32 vcc, 0, v12
	v_cndmask_b32_e32 v11, v11, v14, vcc
	v_cndmask_b32_e32 v12, v12, v13, vcc
	v_lshlrev_b32_e32 v13, 24, v2
	v_mov_b32_e32 v14, 0x3b800000
	v_lshlrev_b32_e32 v11, 20, v11
	v_and_b32_e32 v13, 0x80000000, v13
	v_lshl_add_u32 v12, v12, 23, v14
	v_or3_b32 v11, v13, v12, v11
.LBB42_904:
	s_or_b64 exec, exec, s[6:7]
	s_nop 0
	v_mfma_f32_16x16x4f32 a[0:3], v10, v11, a[0:3]
	v_lshrrev_b32_e32 v11, 8, v6
	s_movk_i32 s4, 0x7f
	v_cmp_gt_i16_sdwa s[6:7], v11, s4 src0_sel:BYTE_0 src1_sel:DWORD
	s_mov_b64 s[4:5], 0
                                        ; implicit-def: $sgpr10
	s_and_saveexec_b64 s[8:9], s[6:7]
	s_xor_b64 s[6:7], exec, s[8:9]
	s_cbranch_execnz .LBB42_2953
; %bb.905:
	s_or_saveexec_b64 s[6:7], s[6:7]
	v_mov_b32_e32 v10, s10
	s_xor_b64 exec, exec, s[6:7]
	s_cbranch_execnz .LBB42_2956
.LBB42_906:
	s_or_b64 exec, exec, s[6:7]
	s_and_saveexec_b64 s[6:7], s[4:5]
	s_cbranch_execz .LBB42_908
.LBB42_907:
	v_bfe_u32 v10, v6, 8, 3
	v_ffbh_u32_e32 v13, v10
	v_min_u32_e32 v13, 32, v13
	v_lshrrev_b16_e32 v12, 3, v11
	v_subrev_u32_e32 v14, 28, v13
	v_and_b32_e32 v12, 15, v12
	v_lshlrev_b32_e32 v11, v14, v11
	v_sub_u32_e32 v13, 29, v13
	v_and_b32_e32 v11, 7, v11
	v_cmp_eq_u16_e32 vcc, 0, v12
	v_cndmask_b32_e32 v10, v10, v11, vcc
	v_cndmask_b32_e32 v11, v12, v13, vcc
	v_lshlrev_b32_e32 v12, 16, v6
	v_mov_b32_e32 v13, 0x3b800000
	v_lshlrev_b32_e32 v10, 20, v10
	v_and_b32_e32 v12, 0x80000000, v12
	v_lshl_add_u32 v11, v11, 23, v13
	v_or3_b32 v10, v12, v11, v10
.LBB42_908:
	s_or_b64 exec, exec, s[6:7]
	v_lshrrev_b32_e32 v11, 8, v2
	s_movk_i32 s4, 0x7f
	v_cmp_gt_i16_sdwa s[6:7], v11, s4 src0_sel:BYTE_0 src1_sel:DWORD
	s_mov_b64 s[4:5], 0
                                        ; implicit-def: $sgpr10
	s_and_saveexec_b64 s[8:9], s[6:7]
	s_xor_b64 s[6:7], exec, s[8:9]
	s_cbranch_execnz .LBB42_2957
; %bb.909:
	s_or_saveexec_b64 s[6:7], s[6:7]
	v_mov_b32_e32 v12, s10
	s_xor_b64 exec, exec, s[6:7]
	s_cbranch_execnz .LBB42_2960
.LBB42_910:
	s_or_b64 exec, exec, s[6:7]
	s_and_saveexec_b64 s[6:7], s[4:5]
	s_cbranch_execz .LBB42_912
.LBB42_911:
	v_bfe_u32 v12, v2, 8, 3
	v_ffbh_u32_e32 v14, v12
	v_min_u32_e32 v14, 32, v14
	v_lshrrev_b16_e32 v13, 3, v11
	v_subrev_u32_e32 v15, 28, v14
	v_and_b32_e32 v13, 15, v13
	v_lshlrev_b32_e32 v11, v15, v11
	v_sub_u32_e32 v14, 29, v14
	v_and_b32_e32 v11, 7, v11
	v_cmp_eq_u16_e32 vcc, 0, v13
	v_cndmask_b32_e32 v11, v12, v11, vcc
	v_cndmask_b32_e32 v12, v13, v14, vcc
	v_lshlrev_b32_e32 v13, 16, v2
	v_mov_b32_e32 v14, 0x3b800000
	v_lshlrev_b32_e32 v11, 20, v11
	v_and_b32_e32 v13, 0x80000000, v13
	v_lshl_add_u32 v12, v12, 23, v14
	v_or3_b32 v12, v13, v12, v11
.LBB42_912:
	s_or_b64 exec, exec, s[6:7]
	s_nop 0
	v_mfma_f32_16x16x4f32 a[0:3], v10, v12, a[0:3]
	s_movk_i32 s4, 0xff
	v_and_b32_sdwa v11, v6, s4 dst_sel:DWORD dst_unused:UNUSED_PAD src0_sel:WORD_1 src1_sel:DWORD
	s_movk_i32 s4, 0x7f
	v_cmp_lt_i16_e32 vcc, s4, v11
	s_mov_b64 s[4:5], 0
                                        ; implicit-def: $sgpr10
	s_and_saveexec_b64 s[6:7], vcc
	s_xor_b64 s[6:7], exec, s[6:7]
	s_cbranch_execnz .LBB42_2961
; %bb.913:
	s_or_saveexec_b64 s[6:7], s[6:7]
	v_mov_b32_e32 v10, s10
	s_xor_b64 exec, exec, s[6:7]
	s_cbranch_execnz .LBB42_2964
.LBB42_914:
	s_or_b64 exec, exec, s[6:7]
	s_and_saveexec_b64 s[6:7], s[4:5]
	s_cbranch_execz .LBB42_916
.LBB42_915:
	v_bfe_u32 v10, v6, 16, 3
	v_ffbh_u32_e32 v13, v10
	v_min_u32_e32 v13, 32, v13
	v_lshrrev_b32_e32 v11, 19, v6
	v_subrev_u32_e32 v14, 28, v13
	v_and_b32_e32 v11, 15, v11
	v_lshlrev_b32_sdwa v14, v14, v6 dst_sel:DWORD dst_unused:UNUSED_PAD src0_sel:DWORD src1_sel:WORD_1
	v_bfe_u32 v12, v6, 19, 4
	v_sub_u32_e32 v13, 29, v13
	v_and_b32_e32 v14, 7, v14
	v_cmp_eq_u16_e32 vcc, 0, v11
	v_cndmask_b32_e32 v10, v10, v14, vcc
	v_cndmask_b32_e32 v11, v12, v13, vcc
	v_lshlrev_b32_e32 v12, 8, v6
	v_mov_b32_e32 v13, 0x3b800000
	v_lshlrev_b32_e32 v10, 20, v10
	v_and_b32_e32 v12, 0x80000000, v12
	v_lshl_add_u32 v11, v11, 23, v13
	v_or3_b32 v10, v12, v11, v10
.LBB42_916:
	s_or_b64 exec, exec, s[6:7]
	s_movk_i32 s4, 0xff
	v_and_b32_sdwa v11, v2, s4 dst_sel:DWORD dst_unused:UNUSED_PAD src0_sel:WORD_1 src1_sel:DWORD
	s_movk_i32 s4, 0x7f
	v_cmp_lt_i16_e32 vcc, s4, v11
	s_mov_b64 s[4:5], 0
                                        ; implicit-def: $sgpr10
	s_and_saveexec_b64 s[6:7], vcc
	s_xor_b64 s[6:7], exec, s[6:7]
	s_cbranch_execnz .LBB42_2965
; %bb.917:
	s_or_saveexec_b64 s[6:7], s[6:7]
	v_mov_b32_e32 v12, s10
	s_xor_b64 exec, exec, s[6:7]
	s_cbranch_execnz .LBB42_2968
.LBB42_918:
	s_or_b64 exec, exec, s[6:7]
	s_and_saveexec_b64 s[6:7], s[4:5]
	s_cbranch_execz .LBB42_920
.LBB42_919:
	v_bfe_u32 v11, v2, 16, 3
	v_ffbh_u32_e32 v14, v11
	v_min_u32_e32 v14, 32, v14
	v_lshrrev_b32_e32 v12, 19, v2
	v_subrev_u32_e32 v15, 28, v14
	v_and_b32_e32 v12, 15, v12
	v_lshlrev_b32_sdwa v15, v15, v2 dst_sel:DWORD dst_unused:UNUSED_PAD src0_sel:DWORD src1_sel:WORD_1
	v_bfe_u32 v13, v2, 19, 4
	v_sub_u32_e32 v14, 29, v14
	v_and_b32_e32 v15, 7, v15
	v_cmp_eq_u16_e32 vcc, 0, v12
	v_cndmask_b32_e32 v11, v11, v15, vcc
	v_cndmask_b32_e32 v12, v13, v14, vcc
	v_lshlrev_b32_e32 v13, 8, v2
	v_mov_b32_e32 v14, 0x3b800000
	v_lshlrev_b32_e32 v11, 20, v11
	v_and_b32_e32 v13, 0x80000000, v13
	v_lshl_add_u32 v12, v12, 23, v14
	v_or3_b32 v12, v13, v12, v11
.LBB42_920:
	s_or_b64 exec, exec, s[6:7]
	s_nop 0
	v_mfma_f32_16x16x4f32 a[0:3], v10, v12, a[0:3]
	s_movk_i32 s4, 0x7f
	v_cmp_gt_i16_sdwa s[6:7], v6, s4 src0_sel:BYTE_3 src1_sel:DWORD
	s_mov_b64 s[4:5], 0
                                        ; implicit-def: $sgpr10
	s_and_saveexec_b64 s[8:9], s[6:7]
	s_xor_b64 s[6:7], exec, s[8:9]
	s_cbranch_execnz .LBB42_2969
; %bb.921:
	s_or_saveexec_b64 s[6:7], s[6:7]
	v_mov_b32_e32 v10, s10
	s_xor_b64 exec, exec, s[6:7]
	s_cbranch_execnz .LBB42_2972
.LBB42_922:
	s_or_b64 exec, exec, s[6:7]
	s_and_saveexec_b64 s[6:7], s[4:5]
	s_cbranch_execz .LBB42_924
.LBB42_923:
	v_bfe_u32 v10, v6, 24, 3
	v_ffbh_u32_e32 v14, v10
	v_min_u32_e32 v14, 32, v14
	v_lshrrev_b32_e32 v12, 27, v6
	v_subrev_u32_e32 v15, 28, v14
	v_and_b32_e32 v11, 0x80000000, v6
	v_and_b32_e32 v12, 15, v12
	v_bfe_u32 v13, v6, 27, 4
	v_lshlrev_b32_sdwa v6, v15, v6 dst_sel:DWORD dst_unused:UNUSED_PAD src0_sel:DWORD src1_sel:BYTE_3
	v_sub_u32_e32 v14, 29, v14
	v_and_b32_e32 v6, 7, v6
	v_cmp_eq_u16_e32 vcc, 0, v12
	v_cndmask_b32_e32 v6, v10, v6, vcc
	v_cndmask_b32_e32 v10, v13, v14, vcc
	v_mov_b32_e32 v12, 0x3b800000
	v_lshlrev_b32_e32 v6, 20, v6
	v_lshl_add_u32 v10, v10, 23, v12
	v_or3_b32 v10, v11, v10, v6
.LBB42_924:
	s_or_b64 exec, exec, s[6:7]
	s_movk_i32 s4, 0x7f
	v_cmp_gt_i16_sdwa s[6:7], v2, s4 src0_sel:BYTE_3 src1_sel:DWORD
	s_mov_b64 s[4:5], 0
                                        ; implicit-def: $sgpr10
	s_and_saveexec_b64 s[8:9], s[6:7]
	s_xor_b64 s[6:7], exec, s[8:9]
	s_cbranch_execnz .LBB42_2973
; %bb.925:
	s_or_saveexec_b64 s[6:7], s[6:7]
	v_mov_b32_e32 v6, s10
	s_xor_b64 exec, exec, s[6:7]
	s_cbranch_execnz .LBB42_2976
.LBB42_926:
	s_or_b64 exec, exec, s[6:7]
	s_and_saveexec_b64 s[6:7], s[4:5]
	s_cbranch_execz .LBB42_928
.LBB42_927:
	v_bfe_u32 v6, v2, 24, 3
	v_ffbh_u32_e32 v14, v6
	v_min_u32_e32 v14, 32, v14
	v_lshrrev_b32_e32 v12, 27, v2
	v_subrev_u32_e32 v15, 28, v14
	v_and_b32_e32 v11, 0x80000000, v2
	v_and_b32_e32 v12, 15, v12
	v_bfe_u32 v13, v2, 27, 4
	v_lshlrev_b32_sdwa v2, v15, v2 dst_sel:DWORD dst_unused:UNUSED_PAD src0_sel:DWORD src1_sel:BYTE_3
	v_sub_u32_e32 v14, 29, v14
	v_and_b32_e32 v2, 7, v2
	v_cmp_eq_u16_e32 vcc, 0, v12
	v_cndmask_b32_e32 v2, v6, v2, vcc
	v_cndmask_b32_e32 v6, v13, v14, vcc
	v_mov_b32_e32 v12, 0x3b800000
	v_lshlrev_b32_e32 v2, 20, v2
	v_lshl_add_u32 v6, v6, 23, v12
	v_or3_b32 v6, v11, v6, v2
.LBB42_928:
	s_or_b64 exec, exec, s[6:7]
	s_nop 0
	v_mfma_f32_16x16x4f32 a[0:3], v10, v6, a[0:3]
	s_movk_i32 s4, 0x7f
	v_cmp_gt_i16_sdwa s[6:7], v7, s4 src0_sel:BYTE_0 src1_sel:DWORD
	s_mov_b64 s[4:5], 0
                                        ; implicit-def: $sgpr10
	s_and_saveexec_b64 s[8:9], s[6:7]
	s_xor_b64 s[6:7], exec, s[8:9]
	s_cbranch_execnz .LBB42_2977
; %bb.929:
	s_or_saveexec_b64 s[6:7], s[6:7]
	v_mov_b32_e32 v2, s10
	s_xor_b64 exec, exec, s[6:7]
	s_cbranch_execnz .LBB42_2980
.LBB42_930:
	s_or_b64 exec, exec, s[6:7]
	s_and_saveexec_b64 s[6:7], s[4:5]
	s_cbranch_execz .LBB42_932
.LBB42_931:
	v_and_b32_e32 v2, 7, v7
	v_ffbh_u32_e32 v10, v2
	v_min_u32_e32 v10, 32, v10
	v_lshrrev_b16_e32 v6, 3, v7
	v_subrev_u32_e32 v11, 28, v10
	v_and_b32_e32 v6, 15, v6
	v_lshlrev_b32_e32 v11, v11, v7
	v_sub_u32_e32 v10, 29, v10
	v_and_b32_e32 v11, 7, v11
	v_cmp_eq_u16_e32 vcc, 0, v6
	v_cndmask_b32_e32 v2, v2, v11, vcc
	v_cndmask_b32_e32 v6, v6, v10, vcc
	v_lshlrev_b32_e32 v10, 24, v7
	v_mov_b32_e32 v11, 0x3b800000
	v_lshlrev_b32_e32 v2, 20, v2
	v_and_b32_e32 v10, 0x80000000, v10
	v_lshl_add_u32 v6, v6, 23, v11
	v_or3_b32 v2, v10, v6, v2
.LBB42_932:
	s_or_b64 exec, exec, s[6:7]
	s_movk_i32 s4, 0x7f
	v_cmp_gt_i16_sdwa s[6:7], v3, s4 src0_sel:BYTE_0 src1_sel:DWORD
	s_mov_b64 s[4:5], 0
                                        ; implicit-def: $sgpr10
	s_and_saveexec_b64 s[8:9], s[6:7]
	s_xor_b64 s[6:7], exec, s[8:9]
	s_cbranch_execnz .LBB42_2981
; %bb.933:
	s_or_saveexec_b64 s[6:7], s[6:7]
	v_mov_b32_e32 v6, s10
	s_xor_b64 exec, exec, s[6:7]
	s_cbranch_execnz .LBB42_2984
.LBB42_934:
	s_or_b64 exec, exec, s[6:7]
	s_and_saveexec_b64 s[6:7], s[4:5]
	s_cbranch_execz .LBB42_936
.LBB42_935:
	v_and_b32_e32 v6, 7, v3
	v_ffbh_u32_e32 v11, v6
	v_min_u32_e32 v11, 32, v11
	v_lshrrev_b16_e32 v10, 3, v3
	v_subrev_u32_e32 v12, 28, v11
	v_and_b32_e32 v10, 15, v10
	v_lshlrev_b32_e32 v12, v12, v3
	v_sub_u32_e32 v11, 29, v11
	v_and_b32_e32 v12, 7, v12
	v_cmp_eq_u16_e32 vcc, 0, v10
	v_cndmask_b32_e32 v6, v6, v12, vcc
	v_cndmask_b32_e32 v10, v10, v11, vcc
	v_lshlrev_b32_e32 v11, 24, v3
	v_mov_b32_e32 v12, 0x3b800000
	v_lshlrev_b32_e32 v6, 20, v6
	v_and_b32_e32 v11, 0x80000000, v11
	v_lshl_add_u32 v10, v10, 23, v12
	v_or3_b32 v6, v11, v10, v6
.LBB42_936:
	s_or_b64 exec, exec, s[6:7]
	s_nop 0
	v_mfma_f32_16x16x4f32 a[0:3], v2, v6, a[0:3]
	v_lshrrev_b32_e32 v6, 8, v7
	s_movk_i32 s4, 0x7f
	v_cmp_gt_i16_sdwa s[6:7], v6, s4 src0_sel:BYTE_0 src1_sel:DWORD
	s_mov_b64 s[4:5], 0
                                        ; implicit-def: $sgpr10
	s_and_saveexec_b64 s[8:9], s[6:7]
	s_xor_b64 s[6:7], exec, s[8:9]
	s_cbranch_execnz .LBB42_2985
; %bb.937:
	s_or_saveexec_b64 s[6:7], s[6:7]
	v_mov_b32_e32 v2, s10
	s_xor_b64 exec, exec, s[6:7]
	s_cbranch_execnz .LBB42_2988
.LBB42_938:
	s_or_b64 exec, exec, s[6:7]
	s_and_saveexec_b64 s[6:7], s[4:5]
	s_cbranch_execz .LBB42_940
.LBB42_939:
	v_bfe_u32 v2, v7, 8, 3
	v_ffbh_u32_e32 v11, v2
	v_min_u32_e32 v11, 32, v11
	v_lshrrev_b16_e32 v10, 3, v6
	v_subrev_u32_e32 v12, 28, v11
	v_and_b32_e32 v10, 15, v10
	v_lshlrev_b32_e32 v6, v12, v6
	v_sub_u32_e32 v11, 29, v11
	v_and_b32_e32 v6, 7, v6
	v_cmp_eq_u16_e32 vcc, 0, v10
	v_cndmask_b32_e32 v2, v2, v6, vcc
	v_cndmask_b32_e32 v6, v10, v11, vcc
	v_lshlrev_b32_e32 v10, 16, v7
	v_mov_b32_e32 v11, 0x3b800000
	v_lshlrev_b32_e32 v2, 20, v2
	v_and_b32_e32 v10, 0x80000000, v10
	v_lshl_add_u32 v6, v6, 23, v11
	v_or3_b32 v2, v10, v6, v2
.LBB42_940:
	s_or_b64 exec, exec, s[6:7]
	v_lshrrev_b32_e32 v6, 8, v3
	s_movk_i32 s4, 0x7f
	v_cmp_gt_i16_sdwa s[6:7], v6, s4 src0_sel:BYTE_0 src1_sel:DWORD
	s_mov_b64 s[4:5], 0
                                        ; implicit-def: $sgpr10
	s_and_saveexec_b64 s[8:9], s[6:7]
	s_xor_b64 s[6:7], exec, s[8:9]
	s_cbranch_execnz .LBB42_2989
; %bb.941:
	s_or_saveexec_b64 s[6:7], s[6:7]
	v_mov_b32_e32 v10, s10
	s_xor_b64 exec, exec, s[6:7]
	s_cbranch_execnz .LBB42_2992
.LBB42_942:
	s_or_b64 exec, exec, s[6:7]
	s_and_saveexec_b64 s[6:7], s[4:5]
	s_cbranch_execz .LBB42_944
.LBB42_943:
	v_bfe_u32 v10, v3, 8, 3
	v_ffbh_u32_e32 v12, v10
	v_min_u32_e32 v12, 32, v12
	v_lshrrev_b16_e32 v11, 3, v6
	v_subrev_u32_e32 v13, 28, v12
	v_and_b32_e32 v11, 15, v11
	v_lshlrev_b32_e32 v6, v13, v6
	v_sub_u32_e32 v12, 29, v12
	v_and_b32_e32 v6, 7, v6
	v_cmp_eq_u16_e32 vcc, 0, v11
	v_cndmask_b32_e32 v6, v10, v6, vcc
	v_cndmask_b32_e32 v10, v11, v12, vcc
	v_lshlrev_b32_e32 v11, 16, v3
	v_mov_b32_e32 v12, 0x3b800000
	v_lshlrev_b32_e32 v6, 20, v6
	v_and_b32_e32 v11, 0x80000000, v11
	v_lshl_add_u32 v10, v10, 23, v12
	v_or3_b32 v10, v11, v10, v6
.LBB42_944:
	s_or_b64 exec, exec, s[6:7]
	s_nop 0
	v_mfma_f32_16x16x4f32 a[0:3], v2, v10, a[0:3]
	s_movk_i32 s4, 0xff
	v_and_b32_sdwa v6, v7, s4 dst_sel:DWORD dst_unused:UNUSED_PAD src0_sel:WORD_1 src1_sel:DWORD
	s_movk_i32 s4, 0x7f
	v_cmp_lt_i16_e32 vcc, s4, v6
	s_mov_b64 s[4:5], 0
                                        ; implicit-def: $sgpr10
	s_and_saveexec_b64 s[6:7], vcc
	s_xor_b64 s[6:7], exec, s[6:7]
	s_cbranch_execnz .LBB42_2993
; %bb.945:
	s_or_saveexec_b64 s[6:7], s[6:7]
	v_mov_b32_e32 v2, s10
	s_xor_b64 exec, exec, s[6:7]
	s_cbranch_execnz .LBB42_2996
.LBB42_946:
	s_or_b64 exec, exec, s[6:7]
	s_and_saveexec_b64 s[6:7], s[4:5]
	s_cbranch_execz .LBB42_948
.LBB42_947:
	v_bfe_u32 v2, v7, 16, 3
	v_ffbh_u32_e32 v11, v2
	v_min_u32_e32 v11, 32, v11
	v_lshrrev_b32_e32 v6, 19, v7
	v_subrev_u32_e32 v12, 28, v11
	v_and_b32_e32 v6, 15, v6
	v_lshlrev_b32_sdwa v12, v12, v7 dst_sel:DWORD dst_unused:UNUSED_PAD src0_sel:DWORD src1_sel:WORD_1
	v_bfe_u32 v10, v7, 19, 4
	v_sub_u32_e32 v11, 29, v11
	v_and_b32_e32 v12, 7, v12
	v_cmp_eq_u16_e32 vcc, 0, v6
	v_cndmask_b32_e32 v2, v2, v12, vcc
	v_cndmask_b32_e32 v6, v10, v11, vcc
	v_lshlrev_b32_e32 v10, 8, v7
	v_mov_b32_e32 v11, 0x3b800000
	v_lshlrev_b32_e32 v2, 20, v2
	v_and_b32_e32 v10, 0x80000000, v10
	v_lshl_add_u32 v6, v6, 23, v11
	v_or3_b32 v2, v10, v6, v2
.LBB42_948:
	s_or_b64 exec, exec, s[6:7]
	s_movk_i32 s4, 0xff
	v_and_b32_sdwa v6, v3, s4 dst_sel:DWORD dst_unused:UNUSED_PAD src0_sel:WORD_1 src1_sel:DWORD
	s_movk_i32 s4, 0x7f
	v_cmp_lt_i16_e32 vcc, s4, v6
	s_mov_b64 s[4:5], 0
                                        ; implicit-def: $sgpr10
	s_and_saveexec_b64 s[6:7], vcc
	s_xor_b64 s[6:7], exec, s[6:7]
	s_cbranch_execnz .LBB42_2997
; %bb.949:
	s_or_saveexec_b64 s[6:7], s[6:7]
	v_mov_b32_e32 v10, s10
	s_xor_b64 exec, exec, s[6:7]
	s_cbranch_execnz .LBB42_3000
.LBB42_950:
	s_or_b64 exec, exec, s[6:7]
	s_and_saveexec_b64 s[6:7], s[4:5]
	s_cbranch_execz .LBB42_952
.LBB42_951:
	v_bfe_u32 v6, v3, 16, 3
	v_ffbh_u32_e32 v12, v6
	v_min_u32_e32 v12, 32, v12
	v_lshrrev_b32_e32 v10, 19, v3
	v_subrev_u32_e32 v13, 28, v12
	v_and_b32_e32 v10, 15, v10
	v_lshlrev_b32_sdwa v13, v13, v3 dst_sel:DWORD dst_unused:UNUSED_PAD src0_sel:DWORD src1_sel:WORD_1
	v_bfe_u32 v11, v3, 19, 4
	v_sub_u32_e32 v12, 29, v12
	v_and_b32_e32 v13, 7, v13
	v_cmp_eq_u16_e32 vcc, 0, v10
	v_cndmask_b32_e32 v6, v6, v13, vcc
	v_cndmask_b32_e32 v10, v11, v12, vcc
	v_lshlrev_b32_e32 v11, 8, v3
	v_mov_b32_e32 v12, 0x3b800000
	v_lshlrev_b32_e32 v6, 20, v6
	v_and_b32_e32 v11, 0x80000000, v11
	v_lshl_add_u32 v10, v10, 23, v12
	v_or3_b32 v10, v11, v10, v6
.LBB42_952:
	s_or_b64 exec, exec, s[6:7]
	s_nop 0
	v_mfma_f32_16x16x4f32 a[0:3], v2, v10, a[0:3]
	s_movk_i32 s4, 0x7f
	v_cmp_gt_i16_sdwa s[6:7], v7, s4 src0_sel:BYTE_3 src1_sel:DWORD
	s_mov_b64 s[4:5], 0
                                        ; implicit-def: $sgpr10
	s_and_saveexec_b64 s[8:9], s[6:7]
	s_xor_b64 s[6:7], exec, s[8:9]
	s_cbranch_execnz .LBB42_3001
; %bb.953:
	s_or_saveexec_b64 s[6:7], s[6:7]
	v_mov_b32_e32 v2, s10
	s_xor_b64 exec, exec, s[6:7]
	s_cbranch_execnz .LBB42_3004
.LBB42_954:
	s_or_b64 exec, exec, s[6:7]
	s_and_saveexec_b64 s[6:7], s[4:5]
	s_cbranch_execz .LBB42_956
.LBB42_955:
	v_bfe_u32 v2, v7, 24, 3
	v_ffbh_u32_e32 v12, v2
	v_min_u32_e32 v12, 32, v12
	v_lshrrev_b32_e32 v10, 27, v7
	v_subrev_u32_e32 v13, 28, v12
	v_and_b32_e32 v6, 0x80000000, v7
	v_and_b32_e32 v10, 15, v10
	v_bfe_u32 v11, v7, 27, 4
	v_lshlrev_b32_sdwa v7, v13, v7 dst_sel:DWORD dst_unused:UNUSED_PAD src0_sel:DWORD src1_sel:BYTE_3
	v_sub_u32_e32 v12, 29, v12
	v_and_b32_e32 v7, 7, v7
	v_cmp_eq_u16_e32 vcc, 0, v10
	v_cndmask_b32_e32 v2, v2, v7, vcc
	v_cndmask_b32_e32 v7, v11, v12, vcc
	v_mov_b32_e32 v10, 0x3b800000
	v_lshlrev_b32_e32 v2, 20, v2
	v_lshl_add_u32 v7, v7, 23, v10
	v_or3_b32 v2, v6, v7, v2
.LBB42_956:
	s_or_b64 exec, exec, s[6:7]
	s_movk_i32 s4, 0x7f
	v_cmp_gt_i16_sdwa s[6:7], v3, s4 src0_sel:BYTE_3 src1_sel:DWORD
	s_mov_b64 s[4:5], 0
                                        ; implicit-def: $sgpr10
	s_and_saveexec_b64 s[8:9], s[6:7]
	s_xor_b64 s[6:7], exec, s[8:9]
	s_cbranch_execnz .LBB42_3005
; %bb.957:
	s_or_saveexec_b64 s[6:7], s[6:7]
	v_mov_b32_e32 v6, s10
	s_xor_b64 exec, exec, s[6:7]
	s_cbranch_execnz .LBB42_3008
.LBB42_958:
	s_or_b64 exec, exec, s[6:7]
	s_and_saveexec_b64 s[6:7], s[4:5]
	s_cbranch_execz .LBB42_960
.LBB42_959:
	v_bfe_u32 v6, v3, 24, 3
	v_ffbh_u32_e32 v12, v6
	v_min_u32_e32 v12, 32, v12
	v_lshrrev_b32_e32 v10, 27, v3
	v_subrev_u32_e32 v13, 28, v12
	v_and_b32_e32 v7, 0x80000000, v3
	v_and_b32_e32 v10, 15, v10
	v_bfe_u32 v11, v3, 27, 4
	v_lshlrev_b32_sdwa v3, v13, v3 dst_sel:DWORD dst_unused:UNUSED_PAD src0_sel:DWORD src1_sel:BYTE_3
	v_sub_u32_e32 v12, 29, v12
	v_and_b32_e32 v3, 7, v3
	v_cmp_eq_u16_e32 vcc, 0, v10
	v_cndmask_b32_e32 v3, v6, v3, vcc
	v_cndmask_b32_e32 v6, v11, v12, vcc
	v_mov_b32_e32 v10, 0x3b800000
	v_lshlrev_b32_e32 v3, 20, v3
	v_lshl_add_u32 v6, v6, 23, v10
	v_or3_b32 v6, v7, v6, v3
.LBB42_960:
	s_or_b64 exec, exec, s[6:7]
	s_nop 0
	v_mfma_f32_16x16x4f32 a[0:3], v2, v6, a[0:3]
	s_movk_i32 s4, 0x7f
	v_cmp_gt_i16_sdwa s[6:7], v8, s4 src0_sel:BYTE_0 src1_sel:DWORD
	s_mov_b64 s[4:5], 0
                                        ; implicit-def: $sgpr10
	s_and_saveexec_b64 s[8:9], s[6:7]
	s_xor_b64 s[6:7], exec, s[8:9]
	s_cbranch_execnz .LBB42_3009
; %bb.961:
	s_or_saveexec_b64 s[6:7], s[6:7]
	v_mov_b32_e32 v2, s10
	s_xor_b64 exec, exec, s[6:7]
	s_cbranch_execnz .LBB42_3012
.LBB42_962:
	s_or_b64 exec, exec, s[6:7]
	s_and_saveexec_b64 s[6:7], s[4:5]
	s_cbranch_execz .LBB42_964
.LBB42_963:
	v_and_b32_e32 v2, 7, v8
	v_ffbh_u32_e32 v6, v2
	v_min_u32_e32 v6, 32, v6
	v_lshrrev_b16_e32 v3, 3, v8
	v_subrev_u32_e32 v7, 28, v6
	v_and_b32_e32 v3, 15, v3
	v_lshlrev_b32_e32 v7, v7, v8
	v_sub_u32_e32 v6, 29, v6
	v_and_b32_e32 v7, 7, v7
	v_cmp_eq_u16_e32 vcc, 0, v3
	v_cndmask_b32_e32 v2, v2, v7, vcc
	v_cndmask_b32_e32 v3, v3, v6, vcc
	v_lshlrev_b32_e32 v6, 24, v8
	v_mov_b32_e32 v7, 0x3b800000
	v_lshlrev_b32_e32 v2, 20, v2
	v_and_b32_e32 v6, 0x80000000, v6
	v_lshl_add_u32 v3, v3, 23, v7
	v_or3_b32 v2, v6, v3, v2
.LBB42_964:
	s_or_b64 exec, exec, s[6:7]
	s_movk_i32 s4, 0x7f
	v_cmp_gt_i16_sdwa s[6:7], v4, s4 src0_sel:BYTE_0 src1_sel:DWORD
	s_mov_b64 s[4:5], 0
                                        ; implicit-def: $sgpr10
	s_and_saveexec_b64 s[8:9], s[6:7]
	s_xor_b64 s[6:7], exec, s[8:9]
	s_cbranch_execnz .LBB42_3013
; %bb.965:
	s_or_saveexec_b64 s[6:7], s[6:7]
	v_mov_b32_e32 v3, s10
	s_xor_b64 exec, exec, s[6:7]
	s_cbranch_execnz .LBB42_3016
.LBB42_966:
	s_or_b64 exec, exec, s[6:7]
	s_and_saveexec_b64 s[6:7], s[4:5]
	s_cbranch_execz .LBB42_968
.LBB42_967:
	v_and_b32_e32 v3, 7, v4
	v_ffbh_u32_e32 v7, v3
	v_min_u32_e32 v7, 32, v7
	v_lshrrev_b16_e32 v6, 3, v4
	v_subrev_u32_e32 v10, 28, v7
	v_and_b32_e32 v6, 15, v6
	v_lshlrev_b32_e32 v10, v10, v4
	v_sub_u32_e32 v7, 29, v7
	v_and_b32_e32 v10, 7, v10
	v_cmp_eq_u16_e32 vcc, 0, v6
	v_cndmask_b32_e32 v3, v3, v10, vcc
	v_cndmask_b32_e32 v6, v6, v7, vcc
	v_lshlrev_b32_e32 v7, 24, v4
	v_mov_b32_e32 v10, 0x3b800000
	v_lshlrev_b32_e32 v3, 20, v3
	v_and_b32_e32 v7, 0x80000000, v7
	v_lshl_add_u32 v6, v6, 23, v10
	v_or3_b32 v3, v7, v6, v3
.LBB42_968:
	s_or_b64 exec, exec, s[6:7]
	s_nop 0
	v_mfma_f32_16x16x4f32 a[0:3], v2, v3, a[0:3]
	v_lshrrev_b32_e32 v3, 8, v8
	s_movk_i32 s4, 0x7f
	v_cmp_gt_i16_sdwa s[6:7], v3, s4 src0_sel:BYTE_0 src1_sel:DWORD
	s_mov_b64 s[4:5], 0
                                        ; implicit-def: $sgpr10
	s_and_saveexec_b64 s[8:9], s[6:7]
	s_xor_b64 s[6:7], exec, s[8:9]
	s_cbranch_execnz .LBB42_3017
; %bb.969:
	s_or_saveexec_b64 s[6:7], s[6:7]
	v_mov_b32_e32 v2, s10
	s_xor_b64 exec, exec, s[6:7]
	s_cbranch_execnz .LBB42_3020
.LBB42_970:
	s_or_b64 exec, exec, s[6:7]
	s_and_saveexec_b64 s[6:7], s[4:5]
	s_cbranch_execz .LBB42_972
.LBB42_971:
	v_bfe_u32 v2, v8, 8, 3
	v_ffbh_u32_e32 v7, v2
	v_min_u32_e32 v7, 32, v7
	v_lshrrev_b16_e32 v6, 3, v3
	v_subrev_u32_e32 v10, 28, v7
	v_and_b32_e32 v6, 15, v6
	v_lshlrev_b32_e32 v3, v10, v3
	v_sub_u32_e32 v7, 29, v7
	v_and_b32_e32 v3, 7, v3
	v_cmp_eq_u16_e32 vcc, 0, v6
	v_cndmask_b32_e32 v2, v2, v3, vcc
	v_cndmask_b32_e32 v3, v6, v7, vcc
	v_lshlrev_b32_e32 v6, 16, v8
	v_mov_b32_e32 v7, 0x3b800000
	v_lshlrev_b32_e32 v2, 20, v2
	v_and_b32_e32 v6, 0x80000000, v6
	v_lshl_add_u32 v3, v3, 23, v7
	v_or3_b32 v2, v6, v3, v2
.LBB42_972:
	s_or_b64 exec, exec, s[6:7]
	v_lshrrev_b32_e32 v3, 8, v4
	s_movk_i32 s4, 0x7f
	v_cmp_gt_i16_sdwa s[6:7], v3, s4 src0_sel:BYTE_0 src1_sel:DWORD
	s_mov_b64 s[4:5], 0
                                        ; implicit-def: $sgpr10
	s_and_saveexec_b64 s[8:9], s[6:7]
	s_xor_b64 s[6:7], exec, s[8:9]
	s_cbranch_execnz .LBB42_3021
; %bb.973:
	s_or_saveexec_b64 s[6:7], s[6:7]
	v_mov_b32_e32 v6, s10
	s_xor_b64 exec, exec, s[6:7]
	s_cbranch_execnz .LBB42_3024
.LBB42_974:
	s_or_b64 exec, exec, s[6:7]
	s_and_saveexec_b64 s[6:7], s[4:5]
	s_cbranch_execz .LBB42_976
.LBB42_975:
	v_bfe_u32 v6, v4, 8, 3
	v_ffbh_u32_e32 v10, v6
	v_min_u32_e32 v10, 32, v10
	v_lshrrev_b16_e32 v7, 3, v3
	v_subrev_u32_e32 v11, 28, v10
	v_and_b32_e32 v7, 15, v7
	v_lshlrev_b32_e32 v3, v11, v3
	v_sub_u32_e32 v10, 29, v10
	v_and_b32_e32 v3, 7, v3
	v_cmp_eq_u16_e32 vcc, 0, v7
	v_cndmask_b32_e32 v3, v6, v3, vcc
	v_cndmask_b32_e32 v6, v7, v10, vcc
	v_lshlrev_b32_e32 v7, 16, v4
	v_mov_b32_e32 v10, 0x3b800000
	v_lshlrev_b32_e32 v3, 20, v3
	v_and_b32_e32 v7, 0x80000000, v7
	v_lshl_add_u32 v6, v6, 23, v10
	v_or3_b32 v6, v7, v6, v3
.LBB42_976:
	s_or_b64 exec, exec, s[6:7]
	s_nop 0
	v_mfma_f32_16x16x4f32 a[0:3], v2, v6, a[0:3]
	s_movk_i32 s4, 0xff
	v_and_b32_sdwa v3, v8, s4 dst_sel:DWORD dst_unused:UNUSED_PAD src0_sel:WORD_1 src1_sel:DWORD
	s_movk_i32 s4, 0x7f
	v_cmp_lt_i16_e32 vcc, s4, v3
	s_mov_b64 s[4:5], 0
                                        ; implicit-def: $sgpr10
	s_and_saveexec_b64 s[6:7], vcc
	s_xor_b64 s[6:7], exec, s[6:7]
	s_cbranch_execnz .LBB42_3025
; %bb.977:
	s_or_saveexec_b64 s[6:7], s[6:7]
	v_mov_b32_e32 v2, s10
	s_xor_b64 exec, exec, s[6:7]
	s_cbranch_execnz .LBB42_3028
.LBB42_978:
	s_or_b64 exec, exec, s[6:7]
	s_and_saveexec_b64 s[6:7], s[4:5]
	s_cbranch_execz .LBB42_980
.LBB42_979:
	v_bfe_u32 v2, v8, 16, 3
	v_ffbh_u32_e32 v7, v2
	v_min_u32_e32 v7, 32, v7
	v_lshrrev_b32_e32 v3, 19, v8
	v_subrev_u32_e32 v10, 28, v7
	v_and_b32_e32 v3, 15, v3
	v_lshlrev_b32_sdwa v10, v10, v8 dst_sel:DWORD dst_unused:UNUSED_PAD src0_sel:DWORD src1_sel:WORD_1
	v_bfe_u32 v6, v8, 19, 4
	v_sub_u32_e32 v7, 29, v7
	v_and_b32_e32 v10, 7, v10
	v_cmp_eq_u16_e32 vcc, 0, v3
	v_cndmask_b32_e32 v2, v2, v10, vcc
	v_cndmask_b32_e32 v3, v6, v7, vcc
	v_lshlrev_b32_e32 v6, 8, v8
	v_mov_b32_e32 v7, 0x3b800000
	v_lshlrev_b32_e32 v2, 20, v2
	v_and_b32_e32 v6, 0x80000000, v6
	v_lshl_add_u32 v3, v3, 23, v7
	v_or3_b32 v2, v6, v3, v2
.LBB42_980:
	s_or_b64 exec, exec, s[6:7]
	s_movk_i32 s4, 0xff
	v_and_b32_sdwa v3, v4, s4 dst_sel:DWORD dst_unused:UNUSED_PAD src0_sel:WORD_1 src1_sel:DWORD
	s_movk_i32 s4, 0x7f
	v_cmp_lt_i16_e32 vcc, s4, v3
	s_mov_b64 s[4:5], 0
                                        ; implicit-def: $sgpr10
	s_and_saveexec_b64 s[6:7], vcc
	s_xor_b64 s[6:7], exec, s[6:7]
	s_cbranch_execnz .LBB42_3029
; %bb.981:
	s_or_saveexec_b64 s[6:7], s[6:7]
	v_mov_b32_e32 v6, s10
	s_xor_b64 exec, exec, s[6:7]
	s_cbranch_execnz .LBB42_3032
.LBB42_982:
	s_or_b64 exec, exec, s[6:7]
	s_and_saveexec_b64 s[6:7], s[4:5]
	s_cbranch_execz .LBB42_984
.LBB42_983:
	v_bfe_u32 v3, v4, 16, 3
	v_ffbh_u32_e32 v10, v3
	v_min_u32_e32 v10, 32, v10
	v_lshrrev_b32_e32 v6, 19, v4
	v_subrev_u32_e32 v11, 28, v10
	v_and_b32_e32 v6, 15, v6
	v_lshlrev_b32_sdwa v11, v11, v4 dst_sel:DWORD dst_unused:UNUSED_PAD src0_sel:DWORD src1_sel:WORD_1
	v_bfe_u32 v7, v4, 19, 4
	v_sub_u32_e32 v10, 29, v10
	v_and_b32_e32 v11, 7, v11
	v_cmp_eq_u16_e32 vcc, 0, v6
	v_cndmask_b32_e32 v3, v3, v11, vcc
	v_cndmask_b32_e32 v6, v7, v10, vcc
	v_lshlrev_b32_e32 v7, 8, v4
	v_mov_b32_e32 v10, 0x3b800000
	v_lshlrev_b32_e32 v3, 20, v3
	v_and_b32_e32 v7, 0x80000000, v7
	v_lshl_add_u32 v6, v6, 23, v10
	v_or3_b32 v6, v7, v6, v3
.LBB42_984:
	s_or_b64 exec, exec, s[6:7]
	s_nop 0
	v_mfma_f32_16x16x4f32 a[0:3], v2, v6, a[0:3]
	s_movk_i32 s4, 0x7f
	v_cmp_gt_i16_sdwa s[6:7], v8, s4 src0_sel:BYTE_3 src1_sel:DWORD
	s_mov_b64 s[4:5], 0
                                        ; implicit-def: $sgpr10
	s_and_saveexec_b64 s[8:9], s[6:7]
	s_xor_b64 s[6:7], exec, s[8:9]
	s_cbranch_execnz .LBB42_3033
; %bb.985:
	s_or_saveexec_b64 s[6:7], s[6:7]
	v_mov_b32_e32 v2, s10
	s_xor_b64 exec, exec, s[6:7]
	s_cbranch_execnz .LBB42_3036
.LBB42_986:
	s_or_b64 exec, exec, s[6:7]
	s_and_saveexec_b64 s[6:7], s[4:5]
	s_cbranch_execz .LBB42_988
.LBB42_987:
	v_bfe_u32 v2, v8, 24, 3
	v_ffbh_u32_e32 v10, v2
	v_min_u32_e32 v10, 32, v10
	v_lshrrev_b32_e32 v6, 27, v8
	v_subrev_u32_e32 v11, 28, v10
	v_and_b32_e32 v3, 0x80000000, v8
	v_and_b32_e32 v6, 15, v6
	v_bfe_u32 v7, v8, 27, 4
	v_lshlrev_b32_sdwa v8, v11, v8 dst_sel:DWORD dst_unused:UNUSED_PAD src0_sel:DWORD src1_sel:BYTE_3
	v_sub_u32_e32 v10, 29, v10
	v_and_b32_e32 v8, 7, v8
	v_cmp_eq_u16_e32 vcc, 0, v6
	v_cndmask_b32_e32 v2, v2, v8, vcc
	v_cndmask_b32_e32 v6, v7, v10, vcc
	v_mov_b32_e32 v7, 0x3b800000
	v_lshlrev_b32_e32 v2, 20, v2
	v_lshl_add_u32 v6, v6, 23, v7
	v_or3_b32 v2, v3, v6, v2
.LBB42_988:
	s_or_b64 exec, exec, s[6:7]
	s_movk_i32 s4, 0x7f
	v_cmp_gt_i16_sdwa s[6:7], v4, s4 src0_sel:BYTE_3 src1_sel:DWORD
	s_mov_b64 s[4:5], 0
                                        ; implicit-def: $sgpr10
	s_and_saveexec_b64 s[8:9], s[6:7]
	s_xor_b64 s[6:7], exec, s[8:9]
	s_cbranch_execnz .LBB42_3037
; %bb.989:
	s_or_saveexec_b64 s[6:7], s[6:7]
	v_mov_b32_e32 v3, s10
	s_xor_b64 exec, exec, s[6:7]
	s_cbranch_execnz .LBB42_3040
.LBB42_990:
	s_or_b64 exec, exec, s[6:7]
	s_and_saveexec_b64 s[6:7], s[4:5]
	s_cbranch_execz .LBB42_992
.LBB42_991:
	v_bfe_u32 v3, v4, 24, 3
	v_ffbh_u32_e32 v10, v3
	v_min_u32_e32 v10, 32, v10
	v_lshrrev_b32_e32 v7, 27, v4
	v_subrev_u32_e32 v11, 28, v10
	v_and_b32_e32 v6, 0x80000000, v4
	v_and_b32_e32 v7, 15, v7
	v_bfe_u32 v8, v4, 27, 4
	v_lshlrev_b32_sdwa v4, v11, v4 dst_sel:DWORD dst_unused:UNUSED_PAD src0_sel:DWORD src1_sel:BYTE_3
	v_sub_u32_e32 v10, 29, v10
	v_and_b32_e32 v4, 7, v4
	v_cmp_eq_u16_e32 vcc, 0, v7
	v_cndmask_b32_e32 v3, v3, v4, vcc
	v_cndmask_b32_e32 v4, v8, v10, vcc
	v_mov_b32_e32 v7, 0x3b800000
	v_lshlrev_b32_e32 v3, 20, v3
	v_lshl_add_u32 v4, v4, 23, v7
	v_or3_b32 v3, v6, v4, v3
.LBB42_992:
	s_or_b64 exec, exec, s[6:7]
	s_nop 0
	v_mfma_f32_16x16x4f32 a[0:3], v2, v3, a[0:3]
	s_movk_i32 s4, 0x7f
	v_cmp_gt_i16_sdwa s[6:7], v9, s4 src0_sel:BYTE_0 src1_sel:DWORD
	s_mov_b64 s[4:5], 0
                                        ; implicit-def: $sgpr10
	s_and_saveexec_b64 s[8:9], s[6:7]
	s_xor_b64 s[6:7], exec, s[8:9]
	s_cbranch_execnz .LBB42_3041
; %bb.993:
	s_or_saveexec_b64 s[6:7], s[6:7]
	v_mov_b32_e32 v2, s10
	s_xor_b64 exec, exec, s[6:7]
	s_cbranch_execnz .LBB42_3044
.LBB42_994:
	s_or_b64 exec, exec, s[6:7]
	s_and_saveexec_b64 s[6:7], s[4:5]
	s_cbranch_execz .LBB42_996
.LBB42_995:
	v_mov_b32_e32 v2, 8
	v_and_b32_e32 v3, 7, v9
	v_lshrrev_b32_sdwa v2, v2, v9 dst_sel:BYTE_1 dst_unused:UNUSED_PAD src0_sel:DWORD src1_sel:DWORD
	v_ffbh_u32_e32 v4, v3
	v_or_b32_sdwa v2, v9, v2 dst_sel:DWORD dst_unused:UNUSED_PAD src0_sel:BYTE_0 src1_sel:DWORD
	v_min_u32_e32 v4, 32, v4
	v_lshrrev_b16_e32 v2, 3, v2
	v_subrev_u32_e32 v6, 28, v4
	v_and_b32_e32 v2, 15, v2
	v_lshlrev_b32_e32 v6, v6, v9
	v_sub_u32_e32 v4, 29, v4
	v_and_b32_e32 v6, 7, v6
	v_cmp_eq_u16_e32 vcc, 0, v2
	v_cndmask_b32_e32 v3, v3, v6, vcc
	v_cndmask_b32_e32 v2, v2, v4, vcc
	v_lshlrev_b32_e32 v4, 24, v9
	v_mov_b32_e32 v6, 0x3b800000
	v_lshlrev_b32_e32 v3, 20, v3
	v_and_b32_e32 v4, 0x80000000, v4
	v_lshl_add_u32 v2, v2, 23, v6
	v_or3_b32 v2, v4, v2, v3
.LBB42_996:
	s_or_b64 exec, exec, s[6:7]
	s_movk_i32 s4, 0x7f
	v_cmp_gt_i16_sdwa s[6:7], v5, s4 src0_sel:BYTE_0 src1_sel:DWORD
	s_mov_b64 s[4:5], 0
                                        ; implicit-def: $sgpr10
	s_and_saveexec_b64 s[8:9], s[6:7]
	s_xor_b64 s[6:7], exec, s[8:9]
	s_cbranch_execnz .LBB42_3045
; %bb.997:
	s_or_saveexec_b64 s[6:7], s[6:7]
	v_mov_b32_e32 v3, s10
	s_xor_b64 exec, exec, s[6:7]
	s_cbranch_execnz .LBB42_3048
.LBB42_998:
	s_or_b64 exec, exec, s[6:7]
	s_and_saveexec_b64 s[6:7], s[4:5]
	s_cbranch_execz .LBB42_1000
.LBB42_999:
	v_mov_b32_e32 v3, 8
	v_and_b32_e32 v4, 7, v5
	v_lshrrev_b32_sdwa v3, v3, v5 dst_sel:BYTE_1 dst_unused:UNUSED_PAD src0_sel:DWORD src1_sel:DWORD
	v_ffbh_u32_e32 v6, v4
	v_or_b32_sdwa v3, v5, v3 dst_sel:DWORD dst_unused:UNUSED_PAD src0_sel:BYTE_0 src1_sel:DWORD
	v_min_u32_e32 v6, 32, v6
	v_lshrrev_b16_e32 v3, 3, v3
	v_subrev_u32_e32 v7, 28, v6
	v_and_b32_e32 v3, 15, v3
	v_lshlrev_b32_e32 v7, v7, v5
	v_sub_u32_e32 v6, 29, v6
	v_and_b32_e32 v7, 7, v7
	v_cmp_eq_u16_e32 vcc, 0, v3
	v_cndmask_b32_e32 v4, v4, v7, vcc
	v_cndmask_b32_e32 v3, v3, v6, vcc
	v_lshlrev_b32_e32 v6, 24, v5
	v_mov_b32_e32 v7, 0x3b800000
	v_lshlrev_b32_e32 v4, 20, v4
	v_and_b32_e32 v6, 0x80000000, v6
	v_lshl_add_u32 v3, v3, 23, v7
	v_or3_b32 v3, v6, v3, v4
.LBB42_1000:
	s_or_b64 exec, exec, s[6:7]
	s_nop 0
	v_mfma_f32_16x16x4f32 a[0:3], v2, v3, a[0:3]
	v_lshrrev_b32_e32 v3, 8, v9
	s_movk_i32 s4, 0x7f
	v_cmp_gt_i16_sdwa s[6:7], v3, s4 src0_sel:BYTE_0 src1_sel:DWORD
	s_mov_b64 s[4:5], 0
                                        ; implicit-def: $sgpr10
	s_and_saveexec_b64 s[8:9], s[6:7]
	s_xor_b64 s[6:7], exec, s[8:9]
	s_cbranch_execnz .LBB42_3049
; %bb.1001:
	s_or_saveexec_b64 s[6:7], s[6:7]
	v_mov_b32_e32 v2, s10
	s_xor_b64 exec, exec, s[6:7]
	s_cbranch_execnz .LBB42_3052
.LBB42_1002:
	s_or_b64 exec, exec, s[6:7]
	s_and_saveexec_b64 s[6:7], s[4:5]
	s_cbranch_execz .LBB42_1004
.LBB42_1003:
	v_bfe_u32 v2, v9, 8, 3
	v_ffbh_u32_e32 v6, v2
	v_min_u32_e32 v6, 32, v6
	v_lshrrev_b16_e32 v4, 3, v3
	v_subrev_u32_e32 v7, 28, v6
	v_and_b32_e32 v4, 15, v4
	v_lshlrev_b32_e32 v3, v7, v3
	v_sub_u32_e32 v6, 29, v6
	v_and_b32_e32 v3, 7, v3
	v_cmp_eq_u16_e32 vcc, 0, v4
	v_cndmask_b32_e32 v2, v2, v3, vcc
	v_cndmask_b32_e32 v3, v4, v6, vcc
	v_lshlrev_b32_e32 v4, 16, v9
	v_mov_b32_e32 v6, 0x3b800000
	v_lshlrev_b32_e32 v2, 20, v2
	v_and_b32_e32 v4, 0x80000000, v4
	v_lshl_add_u32 v3, v3, 23, v6
	v_or3_b32 v2, v4, v3, v2
.LBB42_1004:
	s_or_b64 exec, exec, s[6:7]
	v_lshrrev_b32_e32 v3, 8, v5
	s_movk_i32 s4, 0x7f
	v_cmp_gt_i16_sdwa s[6:7], v3, s4 src0_sel:BYTE_0 src1_sel:DWORD
	s_mov_b64 s[4:5], 0
                                        ; implicit-def: $sgpr10
	s_and_saveexec_b64 s[8:9], s[6:7]
	s_xor_b64 s[6:7], exec, s[8:9]
	s_cbranch_execnz .LBB42_3053
; %bb.1005:
	s_or_saveexec_b64 s[6:7], s[6:7]
	v_mov_b32_e32 v4, s10
	s_xor_b64 exec, exec, s[6:7]
	s_cbranch_execnz .LBB42_3056
.LBB42_1006:
	s_or_b64 exec, exec, s[6:7]
	s_and_saveexec_b64 s[6:7], s[4:5]
	s_cbranch_execz .LBB42_1008
.LBB42_1007:
	v_bfe_u32 v4, v5, 8, 3
	v_ffbh_u32_e32 v7, v4
	v_min_u32_e32 v7, 32, v7
	v_lshrrev_b16_e32 v6, 3, v3
	v_subrev_u32_e32 v8, 28, v7
	v_and_b32_e32 v6, 15, v6
	v_lshlrev_b32_e32 v3, v8, v3
	v_sub_u32_e32 v7, 29, v7
	v_and_b32_e32 v3, 7, v3
	v_cmp_eq_u16_e32 vcc, 0, v6
	v_cndmask_b32_e32 v3, v4, v3, vcc
	v_cndmask_b32_e32 v4, v6, v7, vcc
	v_lshlrev_b32_e32 v6, 16, v5
	v_mov_b32_e32 v7, 0x3b800000
	v_lshlrev_b32_e32 v3, 20, v3
	v_and_b32_e32 v6, 0x80000000, v6
	v_lshl_add_u32 v4, v4, 23, v7
	v_or3_b32 v4, v6, v4, v3
.LBB42_1008:
	s_or_b64 exec, exec, s[6:7]
	s_nop 0
	v_mfma_f32_16x16x4f32 a[0:3], v2, v4, a[0:3]
	s_movk_i32 s4, 0xff
	v_and_b32_sdwa v3, v9, s4 dst_sel:DWORD dst_unused:UNUSED_PAD src0_sel:WORD_1 src1_sel:DWORD
	s_movk_i32 s4, 0x7f
	v_cmp_lt_i16_e32 vcc, s4, v3
	s_mov_b64 s[4:5], 0
                                        ; implicit-def: $sgpr10
	s_and_saveexec_b64 s[6:7], vcc
	s_xor_b64 s[6:7], exec, s[6:7]
	s_cbranch_execnz .LBB42_3057
; %bb.1009:
	s_or_saveexec_b64 s[6:7], s[6:7]
	v_mov_b32_e32 v2, s10
	s_xor_b64 exec, exec, s[6:7]
	s_cbranch_execnz .LBB42_3060
.LBB42_1010:
	s_or_b64 exec, exec, s[6:7]
	s_and_saveexec_b64 s[6:7], s[4:5]
	s_cbranch_execz .LBB42_1012
.LBB42_1011:
	v_bfe_u32 v2, v9, 16, 3
	v_ffbh_u32_e32 v6, v2
	v_min_u32_e32 v6, 32, v6
	v_lshrrev_b32_e32 v3, 19, v9
	v_subrev_u32_e32 v7, 28, v6
	v_and_b32_e32 v3, 15, v3
	v_lshlrev_b32_sdwa v7, v7, v9 dst_sel:DWORD dst_unused:UNUSED_PAD src0_sel:DWORD src1_sel:WORD_1
	v_bfe_u32 v4, v9, 19, 4
	v_sub_u32_e32 v6, 29, v6
	v_and_b32_e32 v7, 7, v7
	v_cmp_eq_u16_e32 vcc, 0, v3
	v_cndmask_b32_e32 v2, v2, v7, vcc
	v_cndmask_b32_e32 v3, v4, v6, vcc
	v_lshlrev_b32_e32 v4, 8, v9
	v_mov_b32_e32 v6, 0x3b800000
	v_lshlrev_b32_e32 v2, 20, v2
	v_and_b32_e32 v4, 0x80000000, v4
	v_lshl_add_u32 v3, v3, 23, v6
	v_or3_b32 v2, v4, v3, v2
.LBB42_1012:
	s_or_b64 exec, exec, s[6:7]
	s_movk_i32 s4, 0xff
	v_and_b32_sdwa v3, v5, s4 dst_sel:DWORD dst_unused:UNUSED_PAD src0_sel:WORD_1 src1_sel:DWORD
	s_movk_i32 s4, 0x7f
	v_cmp_lt_i16_e32 vcc, s4, v3
	s_mov_b64 s[4:5], 0
                                        ; implicit-def: $sgpr10
	s_and_saveexec_b64 s[6:7], vcc
	s_xor_b64 s[6:7], exec, s[6:7]
	s_cbranch_execnz .LBB42_3061
; %bb.1013:
	s_or_saveexec_b64 s[6:7], s[6:7]
	v_mov_b32_e32 v4, s10
	s_xor_b64 exec, exec, s[6:7]
	s_cbranch_execnz .LBB42_3064
.LBB42_1014:
	s_or_b64 exec, exec, s[6:7]
	s_and_saveexec_b64 s[6:7], s[4:5]
	s_cbranch_execz .LBB42_1016
.LBB42_1015:
	v_bfe_u32 v3, v5, 16, 3
	v_ffbh_u32_e32 v7, v3
	v_min_u32_e32 v7, 32, v7
	v_lshrrev_b32_e32 v4, 19, v5
	v_subrev_u32_e32 v8, 28, v7
	v_and_b32_e32 v4, 15, v4
	v_lshlrev_b32_sdwa v8, v8, v5 dst_sel:DWORD dst_unused:UNUSED_PAD src0_sel:DWORD src1_sel:WORD_1
	v_bfe_u32 v6, v5, 19, 4
	v_sub_u32_e32 v7, 29, v7
	v_and_b32_e32 v8, 7, v8
	v_cmp_eq_u16_e32 vcc, 0, v4
	v_cndmask_b32_e32 v3, v3, v8, vcc
	v_cndmask_b32_e32 v4, v6, v7, vcc
	v_lshlrev_b32_e32 v6, 8, v5
	v_mov_b32_e32 v7, 0x3b800000
	v_lshlrev_b32_e32 v3, 20, v3
	v_and_b32_e32 v6, 0x80000000, v6
	v_lshl_add_u32 v4, v4, 23, v7
	v_or3_b32 v4, v6, v4, v3
.LBB42_1016:
	s_or_b64 exec, exec, s[6:7]
	s_nop 0
	v_mfma_f32_16x16x4f32 a[0:3], v2, v4, a[0:3]
	s_movk_i32 s4, 0x7f
	v_cmp_gt_i16_sdwa s[6:7], v9, s4 src0_sel:BYTE_3 src1_sel:DWORD
	s_mov_b64 s[4:5], 0
                                        ; implicit-def: $sgpr10
	s_and_saveexec_b64 s[8:9], s[6:7]
	s_xor_b64 s[6:7], exec, s[8:9]
	s_cbranch_execnz .LBB42_3065
; %bb.1017:
	s_or_saveexec_b64 s[6:7], s[6:7]
	v_mov_b32_e32 v2, s10
	s_xor_b64 exec, exec, s[6:7]
	s_cbranch_execnz .LBB42_3068
.LBB42_1018:
	s_or_b64 exec, exec, s[6:7]
	s_and_saveexec_b64 s[6:7], s[4:5]
	s_cbranch_execz .LBB42_1020
.LBB42_1019:
	v_bfe_u32 v2, v9, 24, 3
	v_ffbh_u32_e32 v7, v2
	v_min_u32_e32 v7, 32, v7
	v_lshrrev_b32_e32 v4, 27, v9
	v_subrev_u32_e32 v8, 28, v7
	v_and_b32_e32 v4, 15, v4
	v_lshlrev_b32_sdwa v8, v8, v9 dst_sel:DWORD dst_unused:UNUSED_PAD src0_sel:DWORD src1_sel:BYTE_3
	v_bfe_u32 v6, v9, 27, 4
	v_sub_u32_e32 v7, 29, v7
	v_and_b32_e32 v8, 7, v8
	v_cmp_eq_u16_e32 vcc, 0, v4
	v_cndmask_b32_e32 v2, v2, v8, vcc
	v_cndmask_b32_e32 v4, v6, v7, vcc
	v_mov_b32_e32 v6, 0x3b800000
	v_and_b32_e32 v3, 0x80000000, v9
	v_lshlrev_b32_e32 v2, 20, v2
	v_lshl_add_u32 v4, v4, 23, v6
	v_or3_b32 v2, v3, v4, v2
.LBB42_1020:
	s_or_b64 exec, exec, s[6:7]
	s_movk_i32 s4, 0x7f
	v_cmp_gt_i16_sdwa s[6:7], v5, s4 src0_sel:BYTE_3 src1_sel:DWORD
	s_mov_b64 s[4:5], 0
                                        ; implicit-def: $sgpr10
	s_and_saveexec_b64 s[8:9], s[6:7]
	s_xor_b64 s[6:7], exec, s[8:9]
	s_cbranch_execnz .LBB42_3069
; %bb.1021:
	s_or_saveexec_b64 s[6:7], s[6:7]
	v_mov_b32_e32 v3, s10
	s_xor_b64 exec, exec, s[6:7]
	s_cbranch_execnz .LBB42_3072
.LBB42_1022:
	s_or_b64 exec, exec, s[6:7]
	s_and_saveexec_b64 s[6:7], s[4:5]
	s_cbranch_execz .LBB42_1024
.LBB42_1023:
	v_bfe_u32 v3, v5, 24, 3
	v_ffbh_u32_e32 v8, v3
	v_min_u32_e32 v8, 32, v8
	v_lshrrev_b32_e32 v6, 27, v5
	v_subrev_u32_e32 v9, 28, v8
	v_and_b32_e32 v4, 0x80000000, v5
	v_and_b32_e32 v6, 15, v6
	v_bfe_u32 v7, v5, 27, 4
	v_lshlrev_b32_sdwa v5, v9, v5 dst_sel:DWORD dst_unused:UNUSED_PAD src0_sel:DWORD src1_sel:BYTE_3
	v_sub_u32_e32 v8, 29, v8
	v_and_b32_e32 v5, 7, v5
	v_cmp_eq_u16_e32 vcc, 0, v6
	v_cndmask_b32_e32 v3, v3, v5, vcc
	v_cndmask_b32_e32 v5, v7, v8, vcc
	v_mov_b32_e32 v6, 0x3b800000
	v_lshlrev_b32_e32 v3, 20, v3
	v_lshl_add_u32 v5, v5, 23, v6
	v_or3_b32 v3, v4, v5, v3
.LBB42_1024:
	s_or_b64 exec, exec, s[6:7]
	s_nop 0
	v_mfma_f32_16x16x4f32 a[0:3], v2, v3, a[0:3]
	s_movk_i32 s4, 0x7f
                                        ; implicit-def: $sgpr10
	s_nop 7
	s_nop 1
	flat_store_dwordx4 v[18:19], a[0:3] offset:816
	flat_load_dwordx4 v[20:23], v[0:1] offset:16
	s_nop 0
	flat_load_dwordx2 v[18:19], v[0:1] offset:32
	s_waitcnt vmcnt(0) lgkmcnt(0)
	flat_load_dwordx4 v[14:17], v[20:21]
	flat_load_dwordx4 v[6:9], v[20:21] offset:16
	flat_load_dwordx4 v[10:13], v[22:23] offset:384
	flat_load_dwordx4 v[2:5], v[22:23] offset:400
	s_waitcnt vmcnt(0) lgkmcnt(0)
	v_cmp_gt_i16_sdwa s[6:7], v14, s4 src0_sel:BYTE_0 src1_sel:DWORD
	s_mov_b64 s[4:5], 0
	s_and_saveexec_b64 s[8:9], s[6:7]
	s_xor_b64 s[6:7], exec, s[8:9]
	s_cbranch_execnz .LBB42_3073
; %bb.1025:
	s_or_saveexec_b64 s[6:7], s[6:7]
	v_mov_b32_e32 v20, s10
	s_xor_b64 exec, exec, s[6:7]
	s_cbranch_execnz .LBB42_3076
.LBB42_1026:
	s_or_b64 exec, exec, s[6:7]
	s_and_saveexec_b64 s[6:7], s[4:5]
	s_cbranch_execz .LBB42_1028
.LBB42_1027:
	v_and_b32_e32 v20, 7, v14
	v_ffbh_u32_e32 v22, v20
	v_min_u32_e32 v22, 32, v22
	v_lshrrev_b16_e32 v21, 3, v14
	v_subrev_u32_e32 v23, 28, v22
	v_and_b32_e32 v21, 15, v21
	v_lshlrev_b32_e32 v23, v23, v14
	v_sub_u32_e32 v22, 29, v22
	v_and_b32_e32 v23, 7, v23
	v_cmp_eq_u16_e32 vcc, 0, v21
	v_cndmask_b32_e32 v20, v20, v23, vcc
	v_cndmask_b32_e32 v21, v21, v22, vcc
	v_lshlrev_b32_e32 v22, 24, v14
	v_mov_b32_e32 v23, 0x3b800000
	v_lshlrev_b32_e32 v20, 20, v20
	v_and_b32_e32 v22, 0x80000000, v22
	v_lshl_add_u32 v21, v21, 23, v23
	v_or3_b32 v20, v22, v21, v20
.LBB42_1028:
	s_or_b64 exec, exec, s[6:7]
	s_movk_i32 s4, 0x7f
	v_cmp_gt_i16_sdwa s[6:7], v10, s4 src0_sel:BYTE_0 src1_sel:DWORD
	s_mov_b64 s[4:5], 0
                                        ; implicit-def: $sgpr10
	s_and_saveexec_b64 s[8:9], s[6:7]
	s_xor_b64 s[6:7], exec, s[8:9]
	s_cbranch_execnz .LBB42_3077
; %bb.1029:
	s_or_saveexec_b64 s[6:7], s[6:7]
	v_mov_b32_e32 v21, s10
	s_xor_b64 exec, exec, s[6:7]
	s_cbranch_execnz .LBB42_3080
.LBB42_1030:
	s_or_b64 exec, exec, s[6:7]
	s_and_saveexec_b64 s[6:7], s[4:5]
	s_cbranch_execz .LBB42_1032
.LBB42_1031:
	v_and_b32_e32 v21, 7, v10
	v_ffbh_u32_e32 v23, v21
	v_min_u32_e32 v23, 32, v23
	v_lshrrev_b16_e32 v22, 3, v10
	v_subrev_u32_e32 v24, 28, v23
	v_and_b32_e32 v22, 15, v22
	v_lshlrev_b32_e32 v24, v24, v10
	v_sub_u32_e32 v23, 29, v23
	v_and_b32_e32 v24, 7, v24
	v_cmp_eq_u16_e32 vcc, 0, v22
	v_cndmask_b32_e32 v21, v21, v24, vcc
	v_cndmask_b32_e32 v22, v22, v23, vcc
	v_lshlrev_b32_e32 v23, 24, v10
	v_mov_b32_e32 v24, 0x3b800000
	v_lshlrev_b32_e32 v21, 20, v21
	v_and_b32_e32 v23, 0x80000000, v23
	v_lshl_add_u32 v22, v22, 23, v24
	v_or3_b32 v21, v23, v22, v21
.LBB42_1032:
	s_or_b64 exec, exec, s[6:7]
	flat_load_dwordx4 a[0:3], v[18:19] offset:832
	s_movk_i32 s4, 0x7f
                                        ; implicit-def: $sgpr10
	s_waitcnt vmcnt(0) lgkmcnt(0)
	v_mfma_f32_16x16x4f32 a[0:3], v20, v21, a[0:3]
	v_lshrrev_b32_e32 v21, 8, v14
	v_cmp_gt_i16_sdwa s[6:7], v21, s4 src0_sel:BYTE_0 src1_sel:DWORD
	s_mov_b64 s[4:5], 0
	s_and_saveexec_b64 s[8:9], s[6:7]
	s_xor_b64 s[6:7], exec, s[8:9]
	s_cbranch_execnz .LBB42_3081
; %bb.1033:
	s_or_saveexec_b64 s[6:7], s[6:7]
	v_mov_b32_e32 v20, s10
	s_xor_b64 exec, exec, s[6:7]
	s_cbranch_execnz .LBB42_3084
.LBB42_1034:
	s_or_b64 exec, exec, s[6:7]
	s_and_saveexec_b64 s[6:7], s[4:5]
	s_cbranch_execz .LBB42_1036
.LBB42_1035:
	v_bfe_u32 v20, v14, 8, 3
	v_ffbh_u32_e32 v23, v20
	v_min_u32_e32 v23, 32, v23
	v_lshrrev_b16_e32 v22, 3, v21
	v_subrev_u32_e32 v24, 28, v23
	v_and_b32_e32 v22, 15, v22
	v_lshlrev_b32_e32 v21, v24, v21
	v_sub_u32_e32 v23, 29, v23
	v_and_b32_e32 v21, 7, v21
	v_cmp_eq_u16_e32 vcc, 0, v22
	v_cndmask_b32_e32 v20, v20, v21, vcc
	v_cndmask_b32_e32 v21, v22, v23, vcc
	v_lshlrev_b32_e32 v22, 16, v14
	v_mov_b32_e32 v23, 0x3b800000
	v_lshlrev_b32_e32 v20, 20, v20
	v_and_b32_e32 v22, 0x80000000, v22
	v_lshl_add_u32 v21, v21, 23, v23
	v_or3_b32 v20, v22, v21, v20
.LBB42_1036:
	s_or_b64 exec, exec, s[6:7]
	v_lshrrev_b32_e32 v21, 8, v10
	s_movk_i32 s4, 0x7f
	v_cmp_gt_i16_sdwa s[6:7], v21, s4 src0_sel:BYTE_0 src1_sel:DWORD
	s_mov_b64 s[4:5], 0
                                        ; implicit-def: $sgpr10
	s_and_saveexec_b64 s[8:9], s[6:7]
	s_xor_b64 s[6:7], exec, s[8:9]
	s_cbranch_execnz .LBB42_3085
; %bb.1037:
	s_or_saveexec_b64 s[6:7], s[6:7]
	v_mov_b32_e32 v22, s10
	s_xor_b64 exec, exec, s[6:7]
	s_cbranch_execnz .LBB42_3088
.LBB42_1038:
	s_or_b64 exec, exec, s[6:7]
	s_and_saveexec_b64 s[6:7], s[4:5]
	s_cbranch_execz .LBB42_1040
.LBB42_1039:
	v_bfe_u32 v22, v10, 8, 3
	v_ffbh_u32_e32 v24, v22
	v_min_u32_e32 v24, 32, v24
	v_lshrrev_b16_e32 v23, 3, v21
	v_subrev_u32_e32 v25, 28, v24
	v_and_b32_e32 v23, 15, v23
	v_lshlrev_b32_e32 v21, v25, v21
	v_sub_u32_e32 v24, 29, v24
	v_and_b32_e32 v21, 7, v21
	v_cmp_eq_u16_e32 vcc, 0, v23
	v_cndmask_b32_e32 v21, v22, v21, vcc
	v_cndmask_b32_e32 v22, v23, v24, vcc
	v_lshlrev_b32_e32 v23, 16, v10
	v_mov_b32_e32 v24, 0x3b800000
	v_lshlrev_b32_e32 v21, 20, v21
	v_and_b32_e32 v23, 0x80000000, v23
	v_lshl_add_u32 v22, v22, 23, v24
	v_or3_b32 v22, v23, v22, v21
.LBB42_1040:
	s_or_b64 exec, exec, s[6:7]
	s_nop 0
	v_mfma_f32_16x16x4f32 a[0:3], v20, v22, a[0:3]
	s_movk_i32 s4, 0xff
	v_and_b32_sdwa v21, v14, s4 dst_sel:DWORD dst_unused:UNUSED_PAD src0_sel:WORD_1 src1_sel:DWORD
	s_movk_i32 s4, 0x7f
	v_cmp_lt_i16_e32 vcc, s4, v21
	s_mov_b64 s[4:5], 0
                                        ; implicit-def: $sgpr10
	s_and_saveexec_b64 s[6:7], vcc
	s_xor_b64 s[6:7], exec, s[6:7]
	s_cbranch_execnz .LBB42_3089
; %bb.1041:
	s_or_saveexec_b64 s[6:7], s[6:7]
	v_mov_b32_e32 v20, s10
	s_xor_b64 exec, exec, s[6:7]
	s_cbranch_execnz .LBB42_3092
.LBB42_1042:
	s_or_b64 exec, exec, s[6:7]
	s_and_saveexec_b64 s[6:7], s[4:5]
	s_cbranch_execz .LBB42_1044
.LBB42_1043:
	v_bfe_u32 v20, v14, 16, 3
	v_ffbh_u32_e32 v23, v20
	v_min_u32_e32 v23, 32, v23
	v_lshrrev_b32_e32 v21, 19, v14
	v_subrev_u32_e32 v24, 28, v23
	v_and_b32_e32 v21, 15, v21
	v_lshlrev_b32_sdwa v24, v24, v14 dst_sel:DWORD dst_unused:UNUSED_PAD src0_sel:DWORD src1_sel:WORD_1
	v_bfe_u32 v22, v14, 19, 4
	v_sub_u32_e32 v23, 29, v23
	v_and_b32_e32 v24, 7, v24
	v_cmp_eq_u16_e32 vcc, 0, v21
	v_cndmask_b32_e32 v20, v20, v24, vcc
	v_cndmask_b32_e32 v21, v22, v23, vcc
	v_lshlrev_b32_e32 v22, 8, v14
	v_mov_b32_e32 v23, 0x3b800000
	v_lshlrev_b32_e32 v20, 20, v20
	v_and_b32_e32 v22, 0x80000000, v22
	v_lshl_add_u32 v21, v21, 23, v23
	v_or3_b32 v20, v22, v21, v20
.LBB42_1044:
	s_or_b64 exec, exec, s[6:7]
	s_movk_i32 s4, 0xff
	v_and_b32_sdwa v21, v10, s4 dst_sel:DWORD dst_unused:UNUSED_PAD src0_sel:WORD_1 src1_sel:DWORD
	s_movk_i32 s4, 0x7f
	v_cmp_lt_i16_e32 vcc, s4, v21
	s_mov_b64 s[4:5], 0
                                        ; implicit-def: $sgpr10
	s_and_saveexec_b64 s[6:7], vcc
	s_xor_b64 s[6:7], exec, s[6:7]
	s_cbranch_execnz .LBB42_3093
; %bb.1045:
	s_or_saveexec_b64 s[6:7], s[6:7]
	v_mov_b32_e32 v22, s10
	s_xor_b64 exec, exec, s[6:7]
	s_cbranch_execnz .LBB42_3096
.LBB42_1046:
	s_or_b64 exec, exec, s[6:7]
	s_and_saveexec_b64 s[6:7], s[4:5]
	s_cbranch_execz .LBB42_1048
.LBB42_1047:
	v_bfe_u32 v21, v10, 16, 3
	v_ffbh_u32_e32 v24, v21
	v_min_u32_e32 v24, 32, v24
	v_lshrrev_b32_e32 v22, 19, v10
	v_subrev_u32_e32 v25, 28, v24
	v_and_b32_e32 v22, 15, v22
	v_lshlrev_b32_sdwa v25, v25, v10 dst_sel:DWORD dst_unused:UNUSED_PAD src0_sel:DWORD src1_sel:WORD_1
	v_bfe_u32 v23, v10, 19, 4
	v_sub_u32_e32 v24, 29, v24
	v_and_b32_e32 v25, 7, v25
	v_cmp_eq_u16_e32 vcc, 0, v22
	v_cndmask_b32_e32 v21, v21, v25, vcc
	v_cndmask_b32_e32 v22, v23, v24, vcc
	v_lshlrev_b32_e32 v23, 8, v10
	v_mov_b32_e32 v24, 0x3b800000
	v_lshlrev_b32_e32 v21, 20, v21
	v_and_b32_e32 v23, 0x80000000, v23
	v_lshl_add_u32 v22, v22, 23, v24
	v_or3_b32 v22, v23, v22, v21
.LBB42_1048:
	s_or_b64 exec, exec, s[6:7]
	s_nop 0
	v_mfma_f32_16x16x4f32 a[0:3], v20, v22, a[0:3]
	s_movk_i32 s4, 0x7f
	v_cmp_gt_i16_sdwa s[6:7], v14, s4 src0_sel:BYTE_3 src1_sel:DWORD
	s_mov_b64 s[4:5], 0
                                        ; implicit-def: $sgpr10
	s_and_saveexec_b64 s[8:9], s[6:7]
	s_xor_b64 s[6:7], exec, s[8:9]
	s_cbranch_execnz .LBB42_3097
; %bb.1049:
	s_or_saveexec_b64 s[6:7], s[6:7]
	v_mov_b32_e32 v20, s10
	s_xor_b64 exec, exec, s[6:7]
	s_cbranch_execnz .LBB42_3100
.LBB42_1050:
	s_or_b64 exec, exec, s[6:7]
	s_and_saveexec_b64 s[6:7], s[4:5]
	s_cbranch_execz .LBB42_1052
.LBB42_1051:
	v_bfe_u32 v20, v14, 24, 3
	v_ffbh_u32_e32 v24, v20
	v_min_u32_e32 v24, 32, v24
	v_lshrrev_b32_e32 v22, 27, v14
	v_subrev_u32_e32 v25, 28, v24
	v_and_b32_e32 v21, 0x80000000, v14
	v_and_b32_e32 v22, 15, v22
	v_bfe_u32 v23, v14, 27, 4
	v_lshlrev_b32_sdwa v14, v25, v14 dst_sel:DWORD dst_unused:UNUSED_PAD src0_sel:DWORD src1_sel:BYTE_3
	v_sub_u32_e32 v24, 29, v24
	v_and_b32_e32 v14, 7, v14
	v_cmp_eq_u16_e32 vcc, 0, v22
	v_cndmask_b32_e32 v14, v20, v14, vcc
	v_cndmask_b32_e32 v20, v23, v24, vcc
	v_mov_b32_e32 v22, 0x3b800000
	v_lshlrev_b32_e32 v14, 20, v14
	v_lshl_add_u32 v20, v20, 23, v22
	v_or3_b32 v20, v21, v20, v14
.LBB42_1052:
	s_or_b64 exec, exec, s[6:7]
	s_movk_i32 s4, 0x7f
	v_cmp_gt_i16_sdwa s[6:7], v10, s4 src0_sel:BYTE_3 src1_sel:DWORD
	s_mov_b64 s[4:5], 0
                                        ; implicit-def: $sgpr10
	s_and_saveexec_b64 s[8:9], s[6:7]
	s_xor_b64 s[6:7], exec, s[8:9]
	s_cbranch_execnz .LBB42_3101
; %bb.1053:
	s_or_saveexec_b64 s[6:7], s[6:7]
	v_mov_b32_e32 v14, s10
	s_xor_b64 exec, exec, s[6:7]
	s_cbranch_execnz .LBB42_3104
.LBB42_1054:
	s_or_b64 exec, exec, s[6:7]
	s_and_saveexec_b64 s[6:7], s[4:5]
	s_cbranch_execz .LBB42_1056
.LBB42_1055:
	v_bfe_u32 v14, v10, 24, 3
	v_ffbh_u32_e32 v24, v14
	v_min_u32_e32 v24, 32, v24
	v_lshrrev_b32_e32 v22, 27, v10
	v_subrev_u32_e32 v25, 28, v24
	v_and_b32_e32 v21, 0x80000000, v10
	v_and_b32_e32 v22, 15, v22
	v_bfe_u32 v23, v10, 27, 4
	v_lshlrev_b32_sdwa v10, v25, v10 dst_sel:DWORD dst_unused:UNUSED_PAD src0_sel:DWORD src1_sel:BYTE_3
	v_sub_u32_e32 v24, 29, v24
	v_and_b32_e32 v10, 7, v10
	v_cmp_eq_u16_e32 vcc, 0, v22
	v_cndmask_b32_e32 v10, v14, v10, vcc
	v_cndmask_b32_e32 v14, v23, v24, vcc
	v_mov_b32_e32 v22, 0x3b800000
	v_lshlrev_b32_e32 v10, 20, v10
	v_lshl_add_u32 v14, v14, 23, v22
	v_or3_b32 v14, v21, v14, v10
.LBB42_1056:
	s_or_b64 exec, exec, s[6:7]
	s_nop 0
	v_mfma_f32_16x16x4f32 a[0:3], v20, v14, a[0:3]
	s_movk_i32 s4, 0x7f
	v_cmp_gt_i16_sdwa s[6:7], v15, s4 src0_sel:BYTE_0 src1_sel:DWORD
	s_mov_b64 s[4:5], 0
                                        ; implicit-def: $sgpr10
	s_and_saveexec_b64 s[8:9], s[6:7]
	s_xor_b64 s[6:7], exec, s[8:9]
	s_cbranch_execnz .LBB42_3105
; %bb.1057:
	s_or_saveexec_b64 s[6:7], s[6:7]
	v_mov_b32_e32 v10, s10
	s_xor_b64 exec, exec, s[6:7]
	s_cbranch_execnz .LBB42_3108
.LBB42_1058:
	s_or_b64 exec, exec, s[6:7]
	s_and_saveexec_b64 s[6:7], s[4:5]
	s_cbranch_execz .LBB42_1060
.LBB42_1059:
	v_and_b32_e32 v10, 7, v15
	v_ffbh_u32_e32 v20, v10
	v_min_u32_e32 v20, 32, v20
	v_lshrrev_b16_e32 v14, 3, v15
	v_subrev_u32_e32 v21, 28, v20
	v_and_b32_e32 v14, 15, v14
	v_lshlrev_b32_e32 v21, v21, v15
	v_sub_u32_e32 v20, 29, v20
	v_and_b32_e32 v21, 7, v21
	v_cmp_eq_u16_e32 vcc, 0, v14
	v_cndmask_b32_e32 v10, v10, v21, vcc
	v_cndmask_b32_e32 v14, v14, v20, vcc
	v_lshlrev_b32_e32 v20, 24, v15
	v_mov_b32_e32 v21, 0x3b800000
	v_lshlrev_b32_e32 v10, 20, v10
	v_and_b32_e32 v20, 0x80000000, v20
	v_lshl_add_u32 v14, v14, 23, v21
	v_or3_b32 v10, v20, v14, v10
.LBB42_1060:
	s_or_b64 exec, exec, s[6:7]
	s_movk_i32 s4, 0x7f
	v_cmp_gt_i16_sdwa s[6:7], v11, s4 src0_sel:BYTE_0 src1_sel:DWORD
	s_mov_b64 s[4:5], 0
                                        ; implicit-def: $sgpr10
	s_and_saveexec_b64 s[8:9], s[6:7]
	s_xor_b64 s[6:7], exec, s[8:9]
	s_cbranch_execnz .LBB42_3109
; %bb.1061:
	s_or_saveexec_b64 s[6:7], s[6:7]
	v_mov_b32_e32 v14, s10
	s_xor_b64 exec, exec, s[6:7]
	s_cbranch_execnz .LBB42_3112
.LBB42_1062:
	s_or_b64 exec, exec, s[6:7]
	s_and_saveexec_b64 s[6:7], s[4:5]
	s_cbranch_execz .LBB42_1064
.LBB42_1063:
	v_and_b32_e32 v14, 7, v11
	v_ffbh_u32_e32 v21, v14
	v_min_u32_e32 v21, 32, v21
	v_lshrrev_b16_e32 v20, 3, v11
	v_subrev_u32_e32 v22, 28, v21
	v_and_b32_e32 v20, 15, v20
	v_lshlrev_b32_e32 v22, v22, v11
	v_sub_u32_e32 v21, 29, v21
	v_and_b32_e32 v22, 7, v22
	v_cmp_eq_u16_e32 vcc, 0, v20
	v_cndmask_b32_e32 v14, v14, v22, vcc
	v_cndmask_b32_e32 v20, v20, v21, vcc
	v_lshlrev_b32_e32 v21, 24, v11
	v_mov_b32_e32 v22, 0x3b800000
	v_lshlrev_b32_e32 v14, 20, v14
	v_and_b32_e32 v21, 0x80000000, v21
	v_lshl_add_u32 v20, v20, 23, v22
	v_or3_b32 v14, v21, v20, v14
.LBB42_1064:
	s_or_b64 exec, exec, s[6:7]
	s_nop 0
	v_mfma_f32_16x16x4f32 a[0:3], v10, v14, a[0:3]
	v_lshrrev_b32_e32 v14, 8, v15
	s_movk_i32 s4, 0x7f
	v_cmp_gt_i16_sdwa s[6:7], v14, s4 src0_sel:BYTE_0 src1_sel:DWORD
	s_mov_b64 s[4:5], 0
                                        ; implicit-def: $sgpr10
	s_and_saveexec_b64 s[8:9], s[6:7]
	s_xor_b64 s[6:7], exec, s[8:9]
	s_cbranch_execnz .LBB42_3113
; %bb.1065:
	s_or_saveexec_b64 s[6:7], s[6:7]
	v_mov_b32_e32 v10, s10
	s_xor_b64 exec, exec, s[6:7]
	s_cbranch_execnz .LBB42_3116
.LBB42_1066:
	s_or_b64 exec, exec, s[6:7]
	s_and_saveexec_b64 s[6:7], s[4:5]
	s_cbranch_execz .LBB42_1068
.LBB42_1067:
	v_bfe_u32 v10, v15, 8, 3
	v_ffbh_u32_e32 v21, v10
	v_min_u32_e32 v21, 32, v21
	v_lshrrev_b16_e32 v20, 3, v14
	v_subrev_u32_e32 v22, 28, v21
	v_and_b32_e32 v20, 15, v20
	v_lshlrev_b32_e32 v14, v22, v14
	v_sub_u32_e32 v21, 29, v21
	v_and_b32_e32 v14, 7, v14
	v_cmp_eq_u16_e32 vcc, 0, v20
	v_cndmask_b32_e32 v10, v10, v14, vcc
	v_cndmask_b32_e32 v14, v20, v21, vcc
	v_lshlrev_b32_e32 v20, 16, v15
	v_mov_b32_e32 v21, 0x3b800000
	v_lshlrev_b32_e32 v10, 20, v10
	v_and_b32_e32 v20, 0x80000000, v20
	v_lshl_add_u32 v14, v14, 23, v21
	v_or3_b32 v10, v20, v14, v10
.LBB42_1068:
	s_or_b64 exec, exec, s[6:7]
	v_lshrrev_b32_e32 v14, 8, v11
	s_movk_i32 s4, 0x7f
	v_cmp_gt_i16_sdwa s[6:7], v14, s4 src0_sel:BYTE_0 src1_sel:DWORD
	s_mov_b64 s[4:5], 0
                                        ; implicit-def: $sgpr10
	s_and_saveexec_b64 s[8:9], s[6:7]
	s_xor_b64 s[6:7], exec, s[8:9]
	s_cbranch_execnz .LBB42_3117
; %bb.1069:
	s_or_saveexec_b64 s[6:7], s[6:7]
	v_mov_b32_e32 v20, s10
	s_xor_b64 exec, exec, s[6:7]
	s_cbranch_execnz .LBB42_3120
.LBB42_1070:
	s_or_b64 exec, exec, s[6:7]
	s_and_saveexec_b64 s[6:7], s[4:5]
	s_cbranch_execz .LBB42_1072
.LBB42_1071:
	v_bfe_u32 v20, v11, 8, 3
	v_ffbh_u32_e32 v22, v20
	v_min_u32_e32 v22, 32, v22
	v_lshrrev_b16_e32 v21, 3, v14
	v_subrev_u32_e32 v23, 28, v22
	v_and_b32_e32 v21, 15, v21
	v_lshlrev_b32_e32 v14, v23, v14
	v_sub_u32_e32 v22, 29, v22
	v_and_b32_e32 v14, 7, v14
	v_cmp_eq_u16_e32 vcc, 0, v21
	v_cndmask_b32_e32 v14, v20, v14, vcc
	v_cndmask_b32_e32 v20, v21, v22, vcc
	v_lshlrev_b32_e32 v21, 16, v11
	v_mov_b32_e32 v22, 0x3b800000
	v_lshlrev_b32_e32 v14, 20, v14
	v_and_b32_e32 v21, 0x80000000, v21
	v_lshl_add_u32 v20, v20, 23, v22
	v_or3_b32 v20, v21, v20, v14
.LBB42_1072:
	s_or_b64 exec, exec, s[6:7]
	s_nop 0
	v_mfma_f32_16x16x4f32 a[0:3], v10, v20, a[0:3]
	s_movk_i32 s4, 0xff
	v_and_b32_sdwa v14, v15, s4 dst_sel:DWORD dst_unused:UNUSED_PAD src0_sel:WORD_1 src1_sel:DWORD
	s_movk_i32 s4, 0x7f
	v_cmp_lt_i16_e32 vcc, s4, v14
	s_mov_b64 s[4:5], 0
                                        ; implicit-def: $sgpr10
	s_and_saveexec_b64 s[6:7], vcc
	s_xor_b64 s[6:7], exec, s[6:7]
	s_cbranch_execnz .LBB42_3121
; %bb.1073:
	s_or_saveexec_b64 s[6:7], s[6:7]
	v_mov_b32_e32 v10, s10
	s_xor_b64 exec, exec, s[6:7]
	s_cbranch_execnz .LBB42_3124
.LBB42_1074:
	s_or_b64 exec, exec, s[6:7]
	s_and_saveexec_b64 s[6:7], s[4:5]
	s_cbranch_execz .LBB42_1076
.LBB42_1075:
	v_bfe_u32 v10, v15, 16, 3
	v_ffbh_u32_e32 v21, v10
	v_min_u32_e32 v21, 32, v21
	v_lshrrev_b32_e32 v14, 19, v15
	v_subrev_u32_e32 v22, 28, v21
	v_and_b32_e32 v14, 15, v14
	v_lshlrev_b32_sdwa v22, v22, v15 dst_sel:DWORD dst_unused:UNUSED_PAD src0_sel:DWORD src1_sel:WORD_1
	v_bfe_u32 v20, v15, 19, 4
	v_sub_u32_e32 v21, 29, v21
	v_and_b32_e32 v22, 7, v22
	v_cmp_eq_u16_e32 vcc, 0, v14
	v_cndmask_b32_e32 v10, v10, v22, vcc
	v_cndmask_b32_e32 v14, v20, v21, vcc
	v_lshlrev_b32_e32 v20, 8, v15
	v_mov_b32_e32 v21, 0x3b800000
	v_lshlrev_b32_e32 v10, 20, v10
	v_and_b32_e32 v20, 0x80000000, v20
	v_lshl_add_u32 v14, v14, 23, v21
	v_or3_b32 v10, v20, v14, v10
.LBB42_1076:
	s_or_b64 exec, exec, s[6:7]
	s_movk_i32 s4, 0xff
	v_and_b32_sdwa v14, v11, s4 dst_sel:DWORD dst_unused:UNUSED_PAD src0_sel:WORD_1 src1_sel:DWORD
	s_movk_i32 s4, 0x7f
	v_cmp_lt_i16_e32 vcc, s4, v14
	s_mov_b64 s[4:5], 0
                                        ; implicit-def: $sgpr10
	s_and_saveexec_b64 s[6:7], vcc
	s_xor_b64 s[6:7], exec, s[6:7]
	s_cbranch_execnz .LBB42_3125
; %bb.1077:
	s_or_saveexec_b64 s[6:7], s[6:7]
	v_mov_b32_e32 v20, s10
	s_xor_b64 exec, exec, s[6:7]
	s_cbranch_execnz .LBB42_3128
.LBB42_1078:
	s_or_b64 exec, exec, s[6:7]
	s_and_saveexec_b64 s[6:7], s[4:5]
	s_cbranch_execz .LBB42_1080
.LBB42_1079:
	v_bfe_u32 v14, v11, 16, 3
	v_ffbh_u32_e32 v22, v14
	v_min_u32_e32 v22, 32, v22
	v_lshrrev_b32_e32 v20, 19, v11
	v_subrev_u32_e32 v23, 28, v22
	v_and_b32_e32 v20, 15, v20
	v_lshlrev_b32_sdwa v23, v23, v11 dst_sel:DWORD dst_unused:UNUSED_PAD src0_sel:DWORD src1_sel:WORD_1
	v_bfe_u32 v21, v11, 19, 4
	v_sub_u32_e32 v22, 29, v22
	v_and_b32_e32 v23, 7, v23
	v_cmp_eq_u16_e32 vcc, 0, v20
	v_cndmask_b32_e32 v14, v14, v23, vcc
	v_cndmask_b32_e32 v20, v21, v22, vcc
	v_lshlrev_b32_e32 v21, 8, v11
	v_mov_b32_e32 v22, 0x3b800000
	v_lshlrev_b32_e32 v14, 20, v14
	v_and_b32_e32 v21, 0x80000000, v21
	v_lshl_add_u32 v20, v20, 23, v22
	v_or3_b32 v20, v21, v20, v14
.LBB42_1080:
	s_or_b64 exec, exec, s[6:7]
	s_nop 0
	v_mfma_f32_16x16x4f32 a[0:3], v10, v20, a[0:3]
	s_movk_i32 s4, 0x7f
	v_cmp_gt_i16_sdwa s[6:7], v15, s4 src0_sel:BYTE_3 src1_sel:DWORD
	s_mov_b64 s[4:5], 0
                                        ; implicit-def: $sgpr10
	s_and_saveexec_b64 s[8:9], s[6:7]
	s_xor_b64 s[6:7], exec, s[8:9]
	s_cbranch_execnz .LBB42_3129
; %bb.1081:
	s_or_saveexec_b64 s[6:7], s[6:7]
	v_mov_b32_e32 v10, s10
	s_xor_b64 exec, exec, s[6:7]
	s_cbranch_execnz .LBB42_3132
.LBB42_1082:
	s_or_b64 exec, exec, s[6:7]
	s_and_saveexec_b64 s[6:7], s[4:5]
	s_cbranch_execz .LBB42_1084
.LBB42_1083:
	v_bfe_u32 v10, v15, 24, 3
	v_ffbh_u32_e32 v22, v10
	v_min_u32_e32 v22, 32, v22
	v_lshrrev_b32_e32 v20, 27, v15
	v_subrev_u32_e32 v23, 28, v22
	v_and_b32_e32 v14, 0x80000000, v15
	v_and_b32_e32 v20, 15, v20
	v_bfe_u32 v21, v15, 27, 4
	v_lshlrev_b32_sdwa v15, v23, v15 dst_sel:DWORD dst_unused:UNUSED_PAD src0_sel:DWORD src1_sel:BYTE_3
	v_sub_u32_e32 v22, 29, v22
	v_and_b32_e32 v15, 7, v15
	v_cmp_eq_u16_e32 vcc, 0, v20
	v_cndmask_b32_e32 v10, v10, v15, vcc
	v_cndmask_b32_e32 v15, v21, v22, vcc
	v_mov_b32_e32 v20, 0x3b800000
	v_lshlrev_b32_e32 v10, 20, v10
	v_lshl_add_u32 v15, v15, 23, v20
	v_or3_b32 v10, v14, v15, v10
.LBB42_1084:
	s_or_b64 exec, exec, s[6:7]
	s_movk_i32 s4, 0x7f
	v_cmp_gt_i16_sdwa s[6:7], v11, s4 src0_sel:BYTE_3 src1_sel:DWORD
	s_mov_b64 s[4:5], 0
                                        ; implicit-def: $sgpr10
	s_and_saveexec_b64 s[8:9], s[6:7]
	s_xor_b64 s[6:7], exec, s[8:9]
	s_cbranch_execnz .LBB42_3133
; %bb.1085:
	s_or_saveexec_b64 s[6:7], s[6:7]
	v_mov_b32_e32 v14, s10
	s_xor_b64 exec, exec, s[6:7]
	s_cbranch_execnz .LBB42_3136
.LBB42_1086:
	s_or_b64 exec, exec, s[6:7]
	s_and_saveexec_b64 s[6:7], s[4:5]
	s_cbranch_execz .LBB42_1088
.LBB42_1087:
	v_bfe_u32 v14, v11, 24, 3
	v_ffbh_u32_e32 v22, v14
	v_min_u32_e32 v22, 32, v22
	v_lshrrev_b32_e32 v20, 27, v11
	v_subrev_u32_e32 v23, 28, v22
	v_and_b32_e32 v15, 0x80000000, v11
	v_and_b32_e32 v20, 15, v20
	v_bfe_u32 v21, v11, 27, 4
	v_lshlrev_b32_sdwa v11, v23, v11 dst_sel:DWORD dst_unused:UNUSED_PAD src0_sel:DWORD src1_sel:BYTE_3
	v_sub_u32_e32 v22, 29, v22
	v_and_b32_e32 v11, 7, v11
	v_cmp_eq_u16_e32 vcc, 0, v20
	v_cndmask_b32_e32 v11, v14, v11, vcc
	v_cndmask_b32_e32 v14, v21, v22, vcc
	v_mov_b32_e32 v20, 0x3b800000
	v_lshlrev_b32_e32 v11, 20, v11
	v_lshl_add_u32 v14, v14, 23, v20
	v_or3_b32 v14, v15, v14, v11
.LBB42_1088:
	s_or_b64 exec, exec, s[6:7]
	s_nop 0
	v_mfma_f32_16x16x4f32 a[0:3], v10, v14, a[0:3]
	s_movk_i32 s4, 0x7f
	v_cmp_gt_i16_sdwa s[6:7], v16, s4 src0_sel:BYTE_0 src1_sel:DWORD
	s_mov_b64 s[4:5], 0
                                        ; implicit-def: $sgpr10
	s_and_saveexec_b64 s[8:9], s[6:7]
	s_xor_b64 s[6:7], exec, s[8:9]
	s_cbranch_execnz .LBB42_3137
; %bb.1089:
	s_or_saveexec_b64 s[6:7], s[6:7]
	v_mov_b32_e32 v10, s10
	s_xor_b64 exec, exec, s[6:7]
	s_cbranch_execnz .LBB42_3140
.LBB42_1090:
	s_or_b64 exec, exec, s[6:7]
	s_and_saveexec_b64 s[6:7], s[4:5]
	s_cbranch_execz .LBB42_1092
.LBB42_1091:
	v_and_b32_e32 v10, 7, v16
	v_ffbh_u32_e32 v14, v10
	v_min_u32_e32 v14, 32, v14
	v_lshrrev_b16_e32 v11, 3, v16
	v_subrev_u32_e32 v15, 28, v14
	v_and_b32_e32 v11, 15, v11
	v_lshlrev_b32_e32 v15, v15, v16
	v_sub_u32_e32 v14, 29, v14
	v_and_b32_e32 v15, 7, v15
	v_cmp_eq_u16_e32 vcc, 0, v11
	v_cndmask_b32_e32 v10, v10, v15, vcc
	v_cndmask_b32_e32 v11, v11, v14, vcc
	v_lshlrev_b32_e32 v14, 24, v16
	v_mov_b32_e32 v15, 0x3b800000
	v_lshlrev_b32_e32 v10, 20, v10
	v_and_b32_e32 v14, 0x80000000, v14
	v_lshl_add_u32 v11, v11, 23, v15
	v_or3_b32 v10, v14, v11, v10
.LBB42_1092:
	s_or_b64 exec, exec, s[6:7]
	s_movk_i32 s4, 0x7f
	v_cmp_gt_i16_sdwa s[6:7], v12, s4 src0_sel:BYTE_0 src1_sel:DWORD
	s_mov_b64 s[4:5], 0
                                        ; implicit-def: $sgpr10
	s_and_saveexec_b64 s[8:9], s[6:7]
	s_xor_b64 s[6:7], exec, s[8:9]
	s_cbranch_execnz .LBB42_3141
; %bb.1093:
	s_or_saveexec_b64 s[6:7], s[6:7]
	v_mov_b32_e32 v11, s10
	s_xor_b64 exec, exec, s[6:7]
	s_cbranch_execnz .LBB42_3144
.LBB42_1094:
	s_or_b64 exec, exec, s[6:7]
	s_and_saveexec_b64 s[6:7], s[4:5]
	s_cbranch_execz .LBB42_1096
.LBB42_1095:
	v_and_b32_e32 v11, 7, v12
	v_ffbh_u32_e32 v15, v11
	v_min_u32_e32 v15, 32, v15
	v_lshrrev_b16_e32 v14, 3, v12
	v_subrev_u32_e32 v20, 28, v15
	v_and_b32_e32 v14, 15, v14
	v_lshlrev_b32_e32 v20, v20, v12
	v_sub_u32_e32 v15, 29, v15
	v_and_b32_e32 v20, 7, v20
	v_cmp_eq_u16_e32 vcc, 0, v14
	v_cndmask_b32_e32 v11, v11, v20, vcc
	v_cndmask_b32_e32 v14, v14, v15, vcc
	v_lshlrev_b32_e32 v15, 24, v12
	v_mov_b32_e32 v20, 0x3b800000
	v_lshlrev_b32_e32 v11, 20, v11
	v_and_b32_e32 v15, 0x80000000, v15
	v_lshl_add_u32 v14, v14, 23, v20
	v_or3_b32 v11, v15, v14, v11
.LBB42_1096:
	s_or_b64 exec, exec, s[6:7]
	s_nop 0
	v_mfma_f32_16x16x4f32 a[0:3], v10, v11, a[0:3]
	v_lshrrev_b32_e32 v11, 8, v16
	s_movk_i32 s4, 0x7f
	v_cmp_gt_i16_sdwa s[6:7], v11, s4 src0_sel:BYTE_0 src1_sel:DWORD
	s_mov_b64 s[4:5], 0
                                        ; implicit-def: $sgpr10
	s_and_saveexec_b64 s[8:9], s[6:7]
	s_xor_b64 s[6:7], exec, s[8:9]
	s_cbranch_execnz .LBB42_3145
; %bb.1097:
	s_or_saveexec_b64 s[6:7], s[6:7]
	v_mov_b32_e32 v10, s10
	s_xor_b64 exec, exec, s[6:7]
	s_cbranch_execnz .LBB42_3148
.LBB42_1098:
	s_or_b64 exec, exec, s[6:7]
	s_and_saveexec_b64 s[6:7], s[4:5]
	s_cbranch_execz .LBB42_1100
.LBB42_1099:
	v_bfe_u32 v10, v16, 8, 3
	v_ffbh_u32_e32 v15, v10
	v_min_u32_e32 v15, 32, v15
	v_lshrrev_b16_e32 v14, 3, v11
	v_subrev_u32_e32 v20, 28, v15
	v_and_b32_e32 v14, 15, v14
	v_lshlrev_b32_e32 v11, v20, v11
	v_sub_u32_e32 v15, 29, v15
	v_and_b32_e32 v11, 7, v11
	v_cmp_eq_u16_e32 vcc, 0, v14
	v_cndmask_b32_e32 v10, v10, v11, vcc
	v_cndmask_b32_e32 v11, v14, v15, vcc
	v_lshlrev_b32_e32 v14, 16, v16
	v_mov_b32_e32 v15, 0x3b800000
	v_lshlrev_b32_e32 v10, 20, v10
	v_and_b32_e32 v14, 0x80000000, v14
	v_lshl_add_u32 v11, v11, 23, v15
	v_or3_b32 v10, v14, v11, v10
.LBB42_1100:
	s_or_b64 exec, exec, s[6:7]
	v_lshrrev_b32_e32 v11, 8, v12
	s_movk_i32 s4, 0x7f
	v_cmp_gt_i16_sdwa s[6:7], v11, s4 src0_sel:BYTE_0 src1_sel:DWORD
	s_mov_b64 s[4:5], 0
                                        ; implicit-def: $sgpr10
	s_and_saveexec_b64 s[8:9], s[6:7]
	s_xor_b64 s[6:7], exec, s[8:9]
	s_cbranch_execnz .LBB42_3149
; %bb.1101:
	s_or_saveexec_b64 s[6:7], s[6:7]
	v_mov_b32_e32 v14, s10
	s_xor_b64 exec, exec, s[6:7]
	s_cbranch_execnz .LBB42_3152
.LBB42_1102:
	s_or_b64 exec, exec, s[6:7]
	s_and_saveexec_b64 s[6:7], s[4:5]
	s_cbranch_execz .LBB42_1104
.LBB42_1103:
	v_bfe_u32 v14, v12, 8, 3
	v_ffbh_u32_e32 v20, v14
	v_min_u32_e32 v20, 32, v20
	v_lshrrev_b16_e32 v15, 3, v11
	v_subrev_u32_e32 v21, 28, v20
	v_and_b32_e32 v15, 15, v15
	v_lshlrev_b32_e32 v11, v21, v11
	v_sub_u32_e32 v20, 29, v20
	v_and_b32_e32 v11, 7, v11
	v_cmp_eq_u16_e32 vcc, 0, v15
	v_cndmask_b32_e32 v11, v14, v11, vcc
	v_cndmask_b32_e32 v14, v15, v20, vcc
	v_lshlrev_b32_e32 v15, 16, v12
	v_mov_b32_e32 v20, 0x3b800000
	v_lshlrev_b32_e32 v11, 20, v11
	v_and_b32_e32 v15, 0x80000000, v15
	v_lshl_add_u32 v14, v14, 23, v20
	v_or3_b32 v14, v15, v14, v11
.LBB42_1104:
	s_or_b64 exec, exec, s[6:7]
	s_nop 0
	v_mfma_f32_16x16x4f32 a[0:3], v10, v14, a[0:3]
	s_movk_i32 s4, 0xff
	v_and_b32_sdwa v11, v16, s4 dst_sel:DWORD dst_unused:UNUSED_PAD src0_sel:WORD_1 src1_sel:DWORD
	s_movk_i32 s4, 0x7f
	v_cmp_lt_i16_e32 vcc, s4, v11
	s_mov_b64 s[4:5], 0
                                        ; implicit-def: $sgpr10
	s_and_saveexec_b64 s[6:7], vcc
	s_xor_b64 s[6:7], exec, s[6:7]
	s_cbranch_execnz .LBB42_3153
; %bb.1105:
	s_or_saveexec_b64 s[6:7], s[6:7]
	v_mov_b32_e32 v10, s10
	s_xor_b64 exec, exec, s[6:7]
	s_cbranch_execnz .LBB42_3156
.LBB42_1106:
	s_or_b64 exec, exec, s[6:7]
	s_and_saveexec_b64 s[6:7], s[4:5]
	s_cbranch_execz .LBB42_1108
.LBB42_1107:
	v_bfe_u32 v10, v16, 16, 3
	v_ffbh_u32_e32 v15, v10
	v_min_u32_e32 v15, 32, v15
	v_lshrrev_b32_e32 v11, 19, v16
	v_subrev_u32_e32 v20, 28, v15
	v_and_b32_e32 v11, 15, v11
	v_lshlrev_b32_sdwa v20, v20, v16 dst_sel:DWORD dst_unused:UNUSED_PAD src0_sel:DWORD src1_sel:WORD_1
	v_bfe_u32 v14, v16, 19, 4
	v_sub_u32_e32 v15, 29, v15
	v_and_b32_e32 v20, 7, v20
	v_cmp_eq_u16_e32 vcc, 0, v11
	v_cndmask_b32_e32 v10, v10, v20, vcc
	v_cndmask_b32_e32 v11, v14, v15, vcc
	v_lshlrev_b32_e32 v14, 8, v16
	v_mov_b32_e32 v15, 0x3b800000
	v_lshlrev_b32_e32 v10, 20, v10
	v_and_b32_e32 v14, 0x80000000, v14
	v_lshl_add_u32 v11, v11, 23, v15
	v_or3_b32 v10, v14, v11, v10
.LBB42_1108:
	s_or_b64 exec, exec, s[6:7]
	s_movk_i32 s4, 0xff
	v_and_b32_sdwa v11, v12, s4 dst_sel:DWORD dst_unused:UNUSED_PAD src0_sel:WORD_1 src1_sel:DWORD
	s_movk_i32 s4, 0x7f
	v_cmp_lt_i16_e32 vcc, s4, v11
	s_mov_b64 s[4:5], 0
                                        ; implicit-def: $sgpr10
	s_and_saveexec_b64 s[6:7], vcc
	s_xor_b64 s[6:7], exec, s[6:7]
	s_cbranch_execnz .LBB42_3157
; %bb.1109:
	s_or_saveexec_b64 s[6:7], s[6:7]
	v_mov_b32_e32 v14, s10
	s_xor_b64 exec, exec, s[6:7]
	s_cbranch_execnz .LBB42_3160
.LBB42_1110:
	s_or_b64 exec, exec, s[6:7]
	s_and_saveexec_b64 s[6:7], s[4:5]
	s_cbranch_execz .LBB42_1112
.LBB42_1111:
	v_bfe_u32 v11, v12, 16, 3
	v_ffbh_u32_e32 v20, v11
	v_min_u32_e32 v20, 32, v20
	v_lshrrev_b32_e32 v14, 19, v12
	v_subrev_u32_e32 v21, 28, v20
	v_and_b32_e32 v14, 15, v14
	v_lshlrev_b32_sdwa v21, v21, v12 dst_sel:DWORD dst_unused:UNUSED_PAD src0_sel:DWORD src1_sel:WORD_1
	v_bfe_u32 v15, v12, 19, 4
	v_sub_u32_e32 v20, 29, v20
	v_and_b32_e32 v21, 7, v21
	v_cmp_eq_u16_e32 vcc, 0, v14
	v_cndmask_b32_e32 v11, v11, v21, vcc
	v_cndmask_b32_e32 v14, v15, v20, vcc
	v_lshlrev_b32_e32 v15, 8, v12
	v_mov_b32_e32 v20, 0x3b800000
	v_lshlrev_b32_e32 v11, 20, v11
	v_and_b32_e32 v15, 0x80000000, v15
	v_lshl_add_u32 v14, v14, 23, v20
	v_or3_b32 v14, v15, v14, v11
.LBB42_1112:
	s_or_b64 exec, exec, s[6:7]
	s_nop 0
	v_mfma_f32_16x16x4f32 a[0:3], v10, v14, a[0:3]
	s_movk_i32 s4, 0x7f
	v_cmp_gt_i16_sdwa s[6:7], v16, s4 src0_sel:BYTE_3 src1_sel:DWORD
	s_mov_b64 s[4:5], 0
                                        ; implicit-def: $sgpr10
	s_and_saveexec_b64 s[8:9], s[6:7]
	s_xor_b64 s[6:7], exec, s[8:9]
	s_cbranch_execnz .LBB42_3161
; %bb.1113:
	s_or_saveexec_b64 s[6:7], s[6:7]
	v_mov_b32_e32 v10, s10
	s_xor_b64 exec, exec, s[6:7]
	s_cbranch_execnz .LBB42_3164
.LBB42_1114:
	s_or_b64 exec, exec, s[6:7]
	s_and_saveexec_b64 s[6:7], s[4:5]
	s_cbranch_execz .LBB42_1116
.LBB42_1115:
	v_bfe_u32 v10, v16, 24, 3
	v_ffbh_u32_e32 v20, v10
	v_min_u32_e32 v20, 32, v20
	v_lshrrev_b32_e32 v14, 27, v16
	v_subrev_u32_e32 v21, 28, v20
	v_and_b32_e32 v11, 0x80000000, v16
	v_and_b32_e32 v14, 15, v14
	v_bfe_u32 v15, v16, 27, 4
	v_lshlrev_b32_sdwa v16, v21, v16 dst_sel:DWORD dst_unused:UNUSED_PAD src0_sel:DWORD src1_sel:BYTE_3
	v_sub_u32_e32 v20, 29, v20
	v_and_b32_e32 v16, 7, v16
	v_cmp_eq_u16_e32 vcc, 0, v14
	v_cndmask_b32_e32 v10, v10, v16, vcc
	v_cndmask_b32_e32 v14, v15, v20, vcc
	v_mov_b32_e32 v15, 0x3b800000
	v_lshlrev_b32_e32 v10, 20, v10
	v_lshl_add_u32 v14, v14, 23, v15
	v_or3_b32 v10, v11, v14, v10
.LBB42_1116:
	s_or_b64 exec, exec, s[6:7]
	s_movk_i32 s4, 0x7f
	v_cmp_gt_i16_sdwa s[6:7], v12, s4 src0_sel:BYTE_3 src1_sel:DWORD
	s_mov_b64 s[4:5], 0
                                        ; implicit-def: $sgpr10
	s_and_saveexec_b64 s[8:9], s[6:7]
	s_xor_b64 s[6:7], exec, s[8:9]
	s_cbranch_execnz .LBB42_3165
; %bb.1117:
	s_or_saveexec_b64 s[6:7], s[6:7]
	v_mov_b32_e32 v11, s10
	s_xor_b64 exec, exec, s[6:7]
	s_cbranch_execnz .LBB42_3168
.LBB42_1118:
	s_or_b64 exec, exec, s[6:7]
	s_and_saveexec_b64 s[6:7], s[4:5]
	s_cbranch_execz .LBB42_1120
.LBB42_1119:
	v_bfe_u32 v11, v12, 24, 3
	v_ffbh_u32_e32 v20, v11
	v_min_u32_e32 v20, 32, v20
	v_lshrrev_b32_e32 v15, 27, v12
	v_subrev_u32_e32 v21, 28, v20
	v_and_b32_e32 v14, 0x80000000, v12
	v_and_b32_e32 v15, 15, v15
	v_bfe_u32 v16, v12, 27, 4
	v_lshlrev_b32_sdwa v12, v21, v12 dst_sel:DWORD dst_unused:UNUSED_PAD src0_sel:DWORD src1_sel:BYTE_3
	v_sub_u32_e32 v20, 29, v20
	v_and_b32_e32 v12, 7, v12
	v_cmp_eq_u16_e32 vcc, 0, v15
	v_cndmask_b32_e32 v11, v11, v12, vcc
	v_cndmask_b32_e32 v12, v16, v20, vcc
	v_mov_b32_e32 v15, 0x3b800000
	v_lshlrev_b32_e32 v11, 20, v11
	v_lshl_add_u32 v12, v12, 23, v15
	v_or3_b32 v11, v14, v12, v11
.LBB42_1120:
	s_or_b64 exec, exec, s[6:7]
	s_nop 0
	v_mfma_f32_16x16x4f32 a[0:3], v10, v11, a[0:3]
	s_movk_i32 s4, 0x7f
	v_cmp_gt_i16_sdwa s[6:7], v17, s4 src0_sel:BYTE_0 src1_sel:DWORD
	s_mov_b64 s[4:5], 0
                                        ; implicit-def: $sgpr10
	s_and_saveexec_b64 s[8:9], s[6:7]
	s_xor_b64 s[6:7], exec, s[8:9]
	s_cbranch_execnz .LBB42_3169
; %bb.1121:
	s_or_saveexec_b64 s[6:7], s[6:7]
	v_mov_b32_e32 v10, s10
	s_xor_b64 exec, exec, s[6:7]
	s_cbranch_execnz .LBB42_3172
.LBB42_1122:
	s_or_b64 exec, exec, s[6:7]
	s_and_saveexec_b64 s[6:7], s[4:5]
	s_cbranch_execz .LBB42_1124
.LBB42_1123:
	v_and_b32_e32 v10, 7, v17
	v_ffbh_u32_e32 v12, v10
	v_min_u32_e32 v12, 32, v12
	v_lshrrev_b16_e32 v11, 3, v17
	v_subrev_u32_e32 v14, 28, v12
	v_and_b32_e32 v11, 15, v11
	v_lshlrev_b32_e32 v14, v14, v17
	v_sub_u32_e32 v12, 29, v12
	v_and_b32_e32 v14, 7, v14
	v_cmp_eq_u16_e32 vcc, 0, v11
	v_cndmask_b32_e32 v10, v10, v14, vcc
	v_cndmask_b32_e32 v11, v11, v12, vcc
	v_lshlrev_b32_e32 v12, 24, v17
	v_mov_b32_e32 v14, 0x3b800000
	v_lshlrev_b32_e32 v10, 20, v10
	v_and_b32_e32 v12, 0x80000000, v12
	v_lshl_add_u32 v11, v11, 23, v14
	v_or3_b32 v10, v12, v11, v10
.LBB42_1124:
	s_or_b64 exec, exec, s[6:7]
	s_movk_i32 s4, 0x7f
	v_cmp_gt_i16_sdwa s[6:7], v13, s4 src0_sel:BYTE_0 src1_sel:DWORD
	s_mov_b64 s[4:5], 0
                                        ; implicit-def: $sgpr10
	s_and_saveexec_b64 s[8:9], s[6:7]
	s_xor_b64 s[6:7], exec, s[8:9]
	s_cbranch_execnz .LBB42_3173
; %bb.1125:
	s_or_saveexec_b64 s[6:7], s[6:7]
	v_mov_b32_e32 v11, s10
	s_xor_b64 exec, exec, s[6:7]
	s_cbranch_execnz .LBB42_3176
.LBB42_1126:
	s_or_b64 exec, exec, s[6:7]
	s_and_saveexec_b64 s[6:7], s[4:5]
	s_cbranch_execz .LBB42_1128
.LBB42_1127:
	v_and_b32_e32 v11, 7, v13
	v_ffbh_u32_e32 v14, v11
	v_min_u32_e32 v14, 32, v14
	v_lshrrev_b16_e32 v12, 3, v13
	v_subrev_u32_e32 v15, 28, v14
	v_and_b32_e32 v12, 15, v12
	v_lshlrev_b32_e32 v15, v15, v13
	v_sub_u32_e32 v14, 29, v14
	v_and_b32_e32 v15, 7, v15
	v_cmp_eq_u16_e32 vcc, 0, v12
	v_cndmask_b32_e32 v11, v11, v15, vcc
	v_cndmask_b32_e32 v12, v12, v14, vcc
	v_lshlrev_b32_e32 v14, 24, v13
	v_mov_b32_e32 v15, 0x3b800000
	v_lshlrev_b32_e32 v11, 20, v11
	v_and_b32_e32 v14, 0x80000000, v14
	v_lshl_add_u32 v12, v12, 23, v15
	v_or3_b32 v11, v14, v12, v11
.LBB42_1128:
	s_or_b64 exec, exec, s[6:7]
	s_nop 0
	v_mfma_f32_16x16x4f32 a[0:3], v10, v11, a[0:3]
	v_lshrrev_b32_e32 v11, 8, v17
	s_movk_i32 s4, 0x7f
	v_cmp_gt_i16_sdwa s[6:7], v11, s4 src0_sel:BYTE_0 src1_sel:DWORD
	s_mov_b64 s[4:5], 0
                                        ; implicit-def: $sgpr10
	s_and_saveexec_b64 s[8:9], s[6:7]
	s_xor_b64 s[6:7], exec, s[8:9]
	s_cbranch_execnz .LBB42_3177
; %bb.1129:
	s_or_saveexec_b64 s[6:7], s[6:7]
	v_mov_b32_e32 v10, s10
	s_xor_b64 exec, exec, s[6:7]
	s_cbranch_execnz .LBB42_3180
.LBB42_1130:
	s_or_b64 exec, exec, s[6:7]
	s_and_saveexec_b64 s[6:7], s[4:5]
	s_cbranch_execz .LBB42_1132
.LBB42_1131:
	v_bfe_u32 v10, v17, 8, 3
	v_ffbh_u32_e32 v14, v10
	v_min_u32_e32 v14, 32, v14
	v_lshrrev_b16_e32 v12, 3, v11
	v_subrev_u32_e32 v15, 28, v14
	v_and_b32_e32 v12, 15, v12
	v_lshlrev_b32_e32 v11, v15, v11
	v_sub_u32_e32 v14, 29, v14
	v_and_b32_e32 v11, 7, v11
	v_cmp_eq_u16_e32 vcc, 0, v12
	v_cndmask_b32_e32 v10, v10, v11, vcc
	v_cndmask_b32_e32 v11, v12, v14, vcc
	v_lshlrev_b32_e32 v12, 16, v17
	v_mov_b32_e32 v14, 0x3b800000
	v_lshlrev_b32_e32 v10, 20, v10
	v_and_b32_e32 v12, 0x80000000, v12
	v_lshl_add_u32 v11, v11, 23, v14
	v_or3_b32 v10, v12, v11, v10
.LBB42_1132:
	s_or_b64 exec, exec, s[6:7]
	v_lshrrev_b32_e32 v11, 8, v13
	s_movk_i32 s4, 0x7f
	v_cmp_gt_i16_sdwa s[6:7], v11, s4 src0_sel:BYTE_0 src1_sel:DWORD
	s_mov_b64 s[4:5], 0
                                        ; implicit-def: $sgpr10
	s_and_saveexec_b64 s[8:9], s[6:7]
	s_xor_b64 s[6:7], exec, s[8:9]
	s_cbranch_execnz .LBB42_3181
; %bb.1133:
	s_or_saveexec_b64 s[6:7], s[6:7]
	v_mov_b32_e32 v12, s10
	s_xor_b64 exec, exec, s[6:7]
	s_cbranch_execnz .LBB42_3184
.LBB42_1134:
	s_or_b64 exec, exec, s[6:7]
	s_and_saveexec_b64 s[6:7], s[4:5]
	s_cbranch_execz .LBB42_1136
.LBB42_1135:
	v_bfe_u32 v12, v13, 8, 3
	v_ffbh_u32_e32 v15, v12
	v_min_u32_e32 v15, 32, v15
	v_lshrrev_b16_e32 v14, 3, v11
	v_subrev_u32_e32 v16, 28, v15
	v_and_b32_e32 v14, 15, v14
	v_lshlrev_b32_e32 v11, v16, v11
	v_sub_u32_e32 v15, 29, v15
	v_and_b32_e32 v11, 7, v11
	v_cmp_eq_u16_e32 vcc, 0, v14
	v_cndmask_b32_e32 v11, v12, v11, vcc
	v_cndmask_b32_e32 v12, v14, v15, vcc
	v_lshlrev_b32_e32 v14, 16, v13
	v_mov_b32_e32 v15, 0x3b800000
	v_lshlrev_b32_e32 v11, 20, v11
	v_and_b32_e32 v14, 0x80000000, v14
	v_lshl_add_u32 v12, v12, 23, v15
	v_or3_b32 v12, v14, v12, v11
.LBB42_1136:
	s_or_b64 exec, exec, s[6:7]
	s_nop 0
	v_mfma_f32_16x16x4f32 a[0:3], v10, v12, a[0:3]
	s_movk_i32 s4, 0xff
	v_and_b32_sdwa v11, v17, s4 dst_sel:DWORD dst_unused:UNUSED_PAD src0_sel:WORD_1 src1_sel:DWORD
	s_movk_i32 s4, 0x7f
	v_cmp_lt_i16_e32 vcc, s4, v11
	s_mov_b64 s[4:5], 0
                                        ; implicit-def: $sgpr10
	s_and_saveexec_b64 s[6:7], vcc
	s_xor_b64 s[6:7], exec, s[6:7]
	s_cbranch_execnz .LBB42_3185
; %bb.1137:
	s_or_saveexec_b64 s[6:7], s[6:7]
	v_mov_b32_e32 v10, s10
	s_xor_b64 exec, exec, s[6:7]
	s_cbranch_execnz .LBB42_3188
.LBB42_1138:
	s_or_b64 exec, exec, s[6:7]
	s_and_saveexec_b64 s[6:7], s[4:5]
	s_cbranch_execz .LBB42_1140
.LBB42_1139:
	v_bfe_u32 v10, v17, 16, 3
	v_ffbh_u32_e32 v14, v10
	v_min_u32_e32 v14, 32, v14
	v_lshrrev_b32_e32 v11, 19, v17
	v_subrev_u32_e32 v15, 28, v14
	v_and_b32_e32 v11, 15, v11
	v_lshlrev_b32_sdwa v15, v15, v17 dst_sel:DWORD dst_unused:UNUSED_PAD src0_sel:DWORD src1_sel:WORD_1
	v_bfe_u32 v12, v17, 19, 4
	v_sub_u32_e32 v14, 29, v14
	v_and_b32_e32 v15, 7, v15
	v_cmp_eq_u16_e32 vcc, 0, v11
	v_cndmask_b32_e32 v10, v10, v15, vcc
	v_cndmask_b32_e32 v11, v12, v14, vcc
	v_lshlrev_b32_e32 v12, 8, v17
	v_mov_b32_e32 v14, 0x3b800000
	v_lshlrev_b32_e32 v10, 20, v10
	v_and_b32_e32 v12, 0x80000000, v12
	v_lshl_add_u32 v11, v11, 23, v14
	v_or3_b32 v10, v12, v11, v10
.LBB42_1140:
	s_or_b64 exec, exec, s[6:7]
	s_movk_i32 s4, 0xff
	v_and_b32_sdwa v11, v13, s4 dst_sel:DWORD dst_unused:UNUSED_PAD src0_sel:WORD_1 src1_sel:DWORD
	s_movk_i32 s4, 0x7f
	v_cmp_lt_i16_e32 vcc, s4, v11
	s_mov_b64 s[4:5], 0
                                        ; implicit-def: $sgpr10
	s_and_saveexec_b64 s[6:7], vcc
	s_xor_b64 s[6:7], exec, s[6:7]
	s_cbranch_execnz .LBB42_3189
; %bb.1141:
	s_or_saveexec_b64 s[6:7], s[6:7]
	v_mov_b32_e32 v12, s10
	s_xor_b64 exec, exec, s[6:7]
	s_cbranch_execnz .LBB42_3192
.LBB42_1142:
	s_or_b64 exec, exec, s[6:7]
	s_and_saveexec_b64 s[6:7], s[4:5]
	s_cbranch_execz .LBB42_1144
.LBB42_1143:
	v_bfe_u32 v11, v13, 16, 3
	v_ffbh_u32_e32 v15, v11
	v_min_u32_e32 v15, 32, v15
	v_lshrrev_b32_e32 v12, 19, v13
	v_subrev_u32_e32 v16, 28, v15
	v_and_b32_e32 v12, 15, v12
	v_lshlrev_b32_sdwa v16, v16, v13 dst_sel:DWORD dst_unused:UNUSED_PAD src0_sel:DWORD src1_sel:WORD_1
	v_bfe_u32 v14, v13, 19, 4
	v_sub_u32_e32 v15, 29, v15
	v_and_b32_e32 v16, 7, v16
	v_cmp_eq_u16_e32 vcc, 0, v12
	v_cndmask_b32_e32 v11, v11, v16, vcc
	v_cndmask_b32_e32 v12, v14, v15, vcc
	v_lshlrev_b32_e32 v14, 8, v13
	v_mov_b32_e32 v15, 0x3b800000
	v_lshlrev_b32_e32 v11, 20, v11
	v_and_b32_e32 v14, 0x80000000, v14
	v_lshl_add_u32 v12, v12, 23, v15
	v_or3_b32 v12, v14, v12, v11
.LBB42_1144:
	s_or_b64 exec, exec, s[6:7]
	s_nop 0
	v_mfma_f32_16x16x4f32 a[0:3], v10, v12, a[0:3]
	s_movk_i32 s4, 0x7f
	v_cmp_gt_i16_sdwa s[6:7], v17, s4 src0_sel:BYTE_3 src1_sel:DWORD
	s_mov_b64 s[4:5], 0
                                        ; implicit-def: $sgpr10
	s_and_saveexec_b64 s[8:9], s[6:7]
	s_xor_b64 s[6:7], exec, s[8:9]
	s_cbranch_execnz .LBB42_3193
; %bb.1145:
	s_or_saveexec_b64 s[6:7], s[6:7]
	v_mov_b32_e32 v10, s10
	s_xor_b64 exec, exec, s[6:7]
	s_cbranch_execnz .LBB42_3196
.LBB42_1146:
	s_or_b64 exec, exec, s[6:7]
	s_and_saveexec_b64 s[6:7], s[4:5]
	s_cbranch_execz .LBB42_1148
.LBB42_1147:
	v_bfe_u32 v10, v17, 24, 3
	v_ffbh_u32_e32 v15, v10
	v_min_u32_e32 v15, 32, v15
	v_lshrrev_b32_e32 v12, 27, v17
	v_subrev_u32_e32 v16, 28, v15
	v_and_b32_e32 v12, 15, v12
	v_lshlrev_b32_sdwa v16, v16, v17 dst_sel:DWORD dst_unused:UNUSED_PAD src0_sel:DWORD src1_sel:BYTE_3
	v_bfe_u32 v14, v17, 27, 4
	v_sub_u32_e32 v15, 29, v15
	v_and_b32_e32 v16, 7, v16
	v_cmp_eq_u16_e32 vcc, 0, v12
	v_cndmask_b32_e32 v10, v10, v16, vcc
	v_cndmask_b32_e32 v12, v14, v15, vcc
	v_mov_b32_e32 v14, 0x3b800000
	v_and_b32_e32 v11, 0x80000000, v17
	v_lshlrev_b32_e32 v10, 20, v10
	v_lshl_add_u32 v12, v12, 23, v14
	v_or3_b32 v10, v11, v12, v10
.LBB42_1148:
	s_or_b64 exec, exec, s[6:7]
	s_movk_i32 s4, 0x7f
	v_cmp_gt_i16_sdwa s[6:7], v13, s4 src0_sel:BYTE_3 src1_sel:DWORD
	s_mov_b64 s[4:5], 0
                                        ; implicit-def: $sgpr10
	s_and_saveexec_b64 s[8:9], s[6:7]
	s_xor_b64 s[6:7], exec, s[8:9]
	s_cbranch_execnz .LBB42_3197
; %bb.1149:
	s_or_saveexec_b64 s[6:7], s[6:7]
	v_mov_b32_e32 v11, s10
	s_xor_b64 exec, exec, s[6:7]
	s_cbranch_execnz .LBB42_3200
.LBB42_1150:
	s_or_b64 exec, exec, s[6:7]
	s_and_saveexec_b64 s[6:7], s[4:5]
	s_cbranch_execz .LBB42_1152
.LBB42_1151:
	v_bfe_u32 v11, v13, 24, 3
	v_ffbh_u32_e32 v16, v11
	v_min_u32_e32 v16, 32, v16
	v_lshrrev_b32_e32 v14, 27, v13
	v_subrev_u32_e32 v17, 28, v16
	v_and_b32_e32 v12, 0x80000000, v13
	v_and_b32_e32 v14, 15, v14
	v_bfe_u32 v15, v13, 27, 4
	v_lshlrev_b32_sdwa v13, v17, v13 dst_sel:DWORD dst_unused:UNUSED_PAD src0_sel:DWORD src1_sel:BYTE_3
	v_sub_u32_e32 v16, 29, v16
	v_and_b32_e32 v13, 7, v13
	v_cmp_eq_u16_e32 vcc, 0, v14
	v_cndmask_b32_e32 v11, v11, v13, vcc
	v_cndmask_b32_e32 v13, v15, v16, vcc
	v_mov_b32_e32 v14, 0x3b800000
	v_lshlrev_b32_e32 v11, 20, v11
	v_lshl_add_u32 v13, v13, 23, v14
	v_or3_b32 v11, v12, v13, v11
.LBB42_1152:
	s_or_b64 exec, exec, s[6:7]
	s_nop 0
	v_mfma_f32_16x16x4f32 a[0:3], v10, v11, a[0:3]
	s_movk_i32 s4, 0x7f
	v_cmp_gt_i16_sdwa s[6:7], v6, s4 src0_sel:BYTE_0 src1_sel:DWORD
	s_mov_b64 s[4:5], 0
                                        ; implicit-def: $sgpr10
	s_and_saveexec_b64 s[8:9], s[6:7]
	s_xor_b64 s[6:7], exec, s[8:9]
	s_cbranch_execnz .LBB42_3201
; %bb.1153:
	s_or_saveexec_b64 s[6:7], s[6:7]
	v_mov_b32_e32 v10, s10
	s_xor_b64 exec, exec, s[6:7]
	s_cbranch_execnz .LBB42_3204
.LBB42_1154:
	s_or_b64 exec, exec, s[6:7]
	s_and_saveexec_b64 s[6:7], s[4:5]
	s_cbranch_execz .LBB42_1156
.LBB42_1155:
	v_and_b32_e32 v10, 7, v6
	v_ffbh_u32_e32 v12, v10
	v_min_u32_e32 v12, 32, v12
	v_lshrrev_b16_e32 v11, 3, v6
	v_subrev_u32_e32 v13, 28, v12
	v_and_b32_e32 v11, 15, v11
	v_lshlrev_b32_e32 v13, v13, v6
	v_sub_u32_e32 v12, 29, v12
	v_and_b32_e32 v13, 7, v13
	v_cmp_eq_u16_e32 vcc, 0, v11
	v_cndmask_b32_e32 v10, v10, v13, vcc
	v_cndmask_b32_e32 v11, v11, v12, vcc
	v_lshlrev_b32_e32 v12, 24, v6
	v_mov_b32_e32 v13, 0x3b800000
	v_lshlrev_b32_e32 v10, 20, v10
	v_and_b32_e32 v12, 0x80000000, v12
	v_lshl_add_u32 v11, v11, 23, v13
	v_or3_b32 v10, v12, v11, v10
.LBB42_1156:
	s_or_b64 exec, exec, s[6:7]
	s_movk_i32 s4, 0x7f
	v_cmp_gt_i16_sdwa s[6:7], v2, s4 src0_sel:BYTE_0 src1_sel:DWORD
	s_mov_b64 s[4:5], 0
                                        ; implicit-def: $sgpr10
	s_and_saveexec_b64 s[8:9], s[6:7]
	s_xor_b64 s[6:7], exec, s[8:9]
	s_cbranch_execnz .LBB42_3205
; %bb.1157:
	s_or_saveexec_b64 s[6:7], s[6:7]
	v_mov_b32_e32 v11, s10
	s_xor_b64 exec, exec, s[6:7]
	s_cbranch_execnz .LBB42_3208
.LBB42_1158:
	s_or_b64 exec, exec, s[6:7]
	s_and_saveexec_b64 s[6:7], s[4:5]
	s_cbranch_execz .LBB42_1160
.LBB42_1159:
	v_and_b32_e32 v11, 7, v2
	v_ffbh_u32_e32 v13, v11
	v_min_u32_e32 v13, 32, v13
	v_lshrrev_b16_e32 v12, 3, v2
	v_subrev_u32_e32 v14, 28, v13
	v_and_b32_e32 v12, 15, v12
	v_lshlrev_b32_e32 v14, v14, v2
	v_sub_u32_e32 v13, 29, v13
	v_and_b32_e32 v14, 7, v14
	v_cmp_eq_u16_e32 vcc, 0, v12
	v_cndmask_b32_e32 v11, v11, v14, vcc
	v_cndmask_b32_e32 v12, v12, v13, vcc
	v_lshlrev_b32_e32 v13, 24, v2
	v_mov_b32_e32 v14, 0x3b800000
	v_lshlrev_b32_e32 v11, 20, v11
	v_and_b32_e32 v13, 0x80000000, v13
	v_lshl_add_u32 v12, v12, 23, v14
	v_or3_b32 v11, v13, v12, v11
.LBB42_1160:
	s_or_b64 exec, exec, s[6:7]
	s_nop 0
	v_mfma_f32_16x16x4f32 a[0:3], v10, v11, a[0:3]
	v_lshrrev_b32_e32 v11, 8, v6
	s_movk_i32 s4, 0x7f
	v_cmp_gt_i16_sdwa s[6:7], v11, s4 src0_sel:BYTE_0 src1_sel:DWORD
	s_mov_b64 s[4:5], 0
                                        ; implicit-def: $sgpr10
	s_and_saveexec_b64 s[8:9], s[6:7]
	s_xor_b64 s[6:7], exec, s[8:9]
	s_cbranch_execnz .LBB42_3209
; %bb.1161:
	s_or_saveexec_b64 s[6:7], s[6:7]
	v_mov_b32_e32 v10, s10
	s_xor_b64 exec, exec, s[6:7]
	s_cbranch_execnz .LBB42_3212
.LBB42_1162:
	s_or_b64 exec, exec, s[6:7]
	s_and_saveexec_b64 s[6:7], s[4:5]
	s_cbranch_execz .LBB42_1164
.LBB42_1163:
	v_bfe_u32 v10, v6, 8, 3
	v_ffbh_u32_e32 v13, v10
	v_min_u32_e32 v13, 32, v13
	v_lshrrev_b16_e32 v12, 3, v11
	v_subrev_u32_e32 v14, 28, v13
	v_and_b32_e32 v12, 15, v12
	v_lshlrev_b32_e32 v11, v14, v11
	v_sub_u32_e32 v13, 29, v13
	v_and_b32_e32 v11, 7, v11
	v_cmp_eq_u16_e32 vcc, 0, v12
	v_cndmask_b32_e32 v10, v10, v11, vcc
	v_cndmask_b32_e32 v11, v12, v13, vcc
	v_lshlrev_b32_e32 v12, 16, v6
	v_mov_b32_e32 v13, 0x3b800000
	v_lshlrev_b32_e32 v10, 20, v10
	v_and_b32_e32 v12, 0x80000000, v12
	v_lshl_add_u32 v11, v11, 23, v13
	v_or3_b32 v10, v12, v11, v10
.LBB42_1164:
	s_or_b64 exec, exec, s[6:7]
	v_lshrrev_b32_e32 v11, 8, v2
	s_movk_i32 s4, 0x7f
	v_cmp_gt_i16_sdwa s[6:7], v11, s4 src0_sel:BYTE_0 src1_sel:DWORD
	s_mov_b64 s[4:5], 0
                                        ; implicit-def: $sgpr10
	s_and_saveexec_b64 s[8:9], s[6:7]
	s_xor_b64 s[6:7], exec, s[8:9]
	s_cbranch_execnz .LBB42_3213
; %bb.1165:
	s_or_saveexec_b64 s[6:7], s[6:7]
	v_mov_b32_e32 v12, s10
	s_xor_b64 exec, exec, s[6:7]
	s_cbranch_execnz .LBB42_3216
.LBB42_1166:
	s_or_b64 exec, exec, s[6:7]
	s_and_saveexec_b64 s[6:7], s[4:5]
	s_cbranch_execz .LBB42_1168
.LBB42_1167:
	v_bfe_u32 v12, v2, 8, 3
	v_ffbh_u32_e32 v14, v12
	v_min_u32_e32 v14, 32, v14
	v_lshrrev_b16_e32 v13, 3, v11
	v_subrev_u32_e32 v15, 28, v14
	v_and_b32_e32 v13, 15, v13
	v_lshlrev_b32_e32 v11, v15, v11
	v_sub_u32_e32 v14, 29, v14
	v_and_b32_e32 v11, 7, v11
	v_cmp_eq_u16_e32 vcc, 0, v13
	v_cndmask_b32_e32 v11, v12, v11, vcc
	v_cndmask_b32_e32 v12, v13, v14, vcc
	v_lshlrev_b32_e32 v13, 16, v2
	v_mov_b32_e32 v14, 0x3b800000
	v_lshlrev_b32_e32 v11, 20, v11
	v_and_b32_e32 v13, 0x80000000, v13
	v_lshl_add_u32 v12, v12, 23, v14
	v_or3_b32 v12, v13, v12, v11
.LBB42_1168:
	s_or_b64 exec, exec, s[6:7]
	s_nop 0
	v_mfma_f32_16x16x4f32 a[0:3], v10, v12, a[0:3]
	s_movk_i32 s4, 0xff
	v_and_b32_sdwa v11, v6, s4 dst_sel:DWORD dst_unused:UNUSED_PAD src0_sel:WORD_1 src1_sel:DWORD
	s_movk_i32 s4, 0x7f
	v_cmp_lt_i16_e32 vcc, s4, v11
	s_mov_b64 s[4:5], 0
                                        ; implicit-def: $sgpr10
	s_and_saveexec_b64 s[6:7], vcc
	s_xor_b64 s[6:7], exec, s[6:7]
	s_cbranch_execnz .LBB42_3217
; %bb.1169:
	s_or_saveexec_b64 s[6:7], s[6:7]
	v_mov_b32_e32 v10, s10
	s_xor_b64 exec, exec, s[6:7]
	s_cbranch_execnz .LBB42_3220
.LBB42_1170:
	s_or_b64 exec, exec, s[6:7]
	s_and_saveexec_b64 s[6:7], s[4:5]
	s_cbranch_execz .LBB42_1172
.LBB42_1171:
	v_bfe_u32 v10, v6, 16, 3
	v_ffbh_u32_e32 v13, v10
	v_min_u32_e32 v13, 32, v13
	v_lshrrev_b32_e32 v11, 19, v6
	v_subrev_u32_e32 v14, 28, v13
	v_and_b32_e32 v11, 15, v11
	v_lshlrev_b32_sdwa v14, v14, v6 dst_sel:DWORD dst_unused:UNUSED_PAD src0_sel:DWORD src1_sel:WORD_1
	v_bfe_u32 v12, v6, 19, 4
	v_sub_u32_e32 v13, 29, v13
	v_and_b32_e32 v14, 7, v14
	v_cmp_eq_u16_e32 vcc, 0, v11
	v_cndmask_b32_e32 v10, v10, v14, vcc
	v_cndmask_b32_e32 v11, v12, v13, vcc
	v_lshlrev_b32_e32 v12, 8, v6
	v_mov_b32_e32 v13, 0x3b800000
	v_lshlrev_b32_e32 v10, 20, v10
	v_and_b32_e32 v12, 0x80000000, v12
	v_lshl_add_u32 v11, v11, 23, v13
	v_or3_b32 v10, v12, v11, v10
.LBB42_1172:
	s_or_b64 exec, exec, s[6:7]
	s_movk_i32 s4, 0xff
	v_and_b32_sdwa v11, v2, s4 dst_sel:DWORD dst_unused:UNUSED_PAD src0_sel:WORD_1 src1_sel:DWORD
	s_movk_i32 s4, 0x7f
	v_cmp_lt_i16_e32 vcc, s4, v11
	s_mov_b64 s[4:5], 0
                                        ; implicit-def: $sgpr10
	s_and_saveexec_b64 s[6:7], vcc
	s_xor_b64 s[6:7], exec, s[6:7]
	s_cbranch_execnz .LBB42_3221
; %bb.1173:
	s_or_saveexec_b64 s[6:7], s[6:7]
	v_mov_b32_e32 v12, s10
	s_xor_b64 exec, exec, s[6:7]
	s_cbranch_execnz .LBB42_3224
.LBB42_1174:
	s_or_b64 exec, exec, s[6:7]
	s_and_saveexec_b64 s[6:7], s[4:5]
	s_cbranch_execz .LBB42_1176
.LBB42_1175:
	v_bfe_u32 v11, v2, 16, 3
	v_ffbh_u32_e32 v14, v11
	v_min_u32_e32 v14, 32, v14
	v_lshrrev_b32_e32 v12, 19, v2
	v_subrev_u32_e32 v15, 28, v14
	v_and_b32_e32 v12, 15, v12
	v_lshlrev_b32_sdwa v15, v15, v2 dst_sel:DWORD dst_unused:UNUSED_PAD src0_sel:DWORD src1_sel:WORD_1
	v_bfe_u32 v13, v2, 19, 4
	v_sub_u32_e32 v14, 29, v14
	v_and_b32_e32 v15, 7, v15
	v_cmp_eq_u16_e32 vcc, 0, v12
	v_cndmask_b32_e32 v11, v11, v15, vcc
	v_cndmask_b32_e32 v12, v13, v14, vcc
	v_lshlrev_b32_e32 v13, 8, v2
	v_mov_b32_e32 v14, 0x3b800000
	v_lshlrev_b32_e32 v11, 20, v11
	v_and_b32_e32 v13, 0x80000000, v13
	v_lshl_add_u32 v12, v12, 23, v14
	v_or3_b32 v12, v13, v12, v11
.LBB42_1176:
	s_or_b64 exec, exec, s[6:7]
	s_nop 0
	v_mfma_f32_16x16x4f32 a[0:3], v10, v12, a[0:3]
	s_movk_i32 s4, 0x7f
	v_cmp_gt_i16_sdwa s[6:7], v6, s4 src0_sel:BYTE_3 src1_sel:DWORD
	s_mov_b64 s[4:5], 0
                                        ; implicit-def: $sgpr10
	s_and_saveexec_b64 s[8:9], s[6:7]
	s_xor_b64 s[6:7], exec, s[8:9]
	s_cbranch_execnz .LBB42_3225
; %bb.1177:
	s_or_saveexec_b64 s[6:7], s[6:7]
	v_mov_b32_e32 v10, s10
	s_xor_b64 exec, exec, s[6:7]
	s_cbranch_execnz .LBB42_3228
.LBB42_1178:
	s_or_b64 exec, exec, s[6:7]
	s_and_saveexec_b64 s[6:7], s[4:5]
	s_cbranch_execz .LBB42_1180
.LBB42_1179:
	v_bfe_u32 v10, v6, 24, 3
	v_ffbh_u32_e32 v14, v10
	v_min_u32_e32 v14, 32, v14
	v_lshrrev_b32_e32 v12, 27, v6
	v_subrev_u32_e32 v15, 28, v14
	v_and_b32_e32 v11, 0x80000000, v6
	v_and_b32_e32 v12, 15, v12
	v_bfe_u32 v13, v6, 27, 4
	v_lshlrev_b32_sdwa v6, v15, v6 dst_sel:DWORD dst_unused:UNUSED_PAD src0_sel:DWORD src1_sel:BYTE_3
	v_sub_u32_e32 v14, 29, v14
	v_and_b32_e32 v6, 7, v6
	v_cmp_eq_u16_e32 vcc, 0, v12
	v_cndmask_b32_e32 v6, v10, v6, vcc
	v_cndmask_b32_e32 v10, v13, v14, vcc
	v_mov_b32_e32 v12, 0x3b800000
	v_lshlrev_b32_e32 v6, 20, v6
	v_lshl_add_u32 v10, v10, 23, v12
	v_or3_b32 v10, v11, v10, v6
.LBB42_1180:
	s_or_b64 exec, exec, s[6:7]
	s_movk_i32 s4, 0x7f
	v_cmp_gt_i16_sdwa s[6:7], v2, s4 src0_sel:BYTE_3 src1_sel:DWORD
	s_mov_b64 s[4:5], 0
                                        ; implicit-def: $sgpr10
	s_and_saveexec_b64 s[8:9], s[6:7]
	s_xor_b64 s[6:7], exec, s[8:9]
	s_cbranch_execnz .LBB42_3229
; %bb.1181:
	s_or_saveexec_b64 s[6:7], s[6:7]
	v_mov_b32_e32 v6, s10
	s_xor_b64 exec, exec, s[6:7]
	s_cbranch_execnz .LBB42_3232
.LBB42_1182:
	s_or_b64 exec, exec, s[6:7]
	s_and_saveexec_b64 s[6:7], s[4:5]
	s_cbranch_execz .LBB42_1184
.LBB42_1183:
	v_bfe_u32 v6, v2, 24, 3
	v_ffbh_u32_e32 v14, v6
	v_min_u32_e32 v14, 32, v14
	v_lshrrev_b32_e32 v12, 27, v2
	v_subrev_u32_e32 v15, 28, v14
	v_and_b32_e32 v11, 0x80000000, v2
	v_and_b32_e32 v12, 15, v12
	v_bfe_u32 v13, v2, 27, 4
	v_lshlrev_b32_sdwa v2, v15, v2 dst_sel:DWORD dst_unused:UNUSED_PAD src0_sel:DWORD src1_sel:BYTE_3
	v_sub_u32_e32 v14, 29, v14
	v_and_b32_e32 v2, 7, v2
	v_cmp_eq_u16_e32 vcc, 0, v12
	v_cndmask_b32_e32 v2, v6, v2, vcc
	v_cndmask_b32_e32 v6, v13, v14, vcc
	v_mov_b32_e32 v12, 0x3b800000
	v_lshlrev_b32_e32 v2, 20, v2
	v_lshl_add_u32 v6, v6, 23, v12
	v_or3_b32 v6, v11, v6, v2
.LBB42_1184:
	s_or_b64 exec, exec, s[6:7]
	s_nop 0
	v_mfma_f32_16x16x4f32 a[0:3], v10, v6, a[0:3]
	s_movk_i32 s4, 0x7f
	v_cmp_gt_i16_sdwa s[6:7], v7, s4 src0_sel:BYTE_0 src1_sel:DWORD
	s_mov_b64 s[4:5], 0
                                        ; implicit-def: $sgpr10
	s_and_saveexec_b64 s[8:9], s[6:7]
	s_xor_b64 s[6:7], exec, s[8:9]
	s_cbranch_execnz .LBB42_3233
; %bb.1185:
	s_or_saveexec_b64 s[6:7], s[6:7]
	v_mov_b32_e32 v2, s10
	s_xor_b64 exec, exec, s[6:7]
	s_cbranch_execnz .LBB42_3236
.LBB42_1186:
	s_or_b64 exec, exec, s[6:7]
	s_and_saveexec_b64 s[6:7], s[4:5]
	s_cbranch_execz .LBB42_1188
.LBB42_1187:
	v_and_b32_e32 v2, 7, v7
	v_ffbh_u32_e32 v10, v2
	v_min_u32_e32 v10, 32, v10
	v_lshrrev_b16_e32 v6, 3, v7
	v_subrev_u32_e32 v11, 28, v10
	v_and_b32_e32 v6, 15, v6
	v_lshlrev_b32_e32 v11, v11, v7
	v_sub_u32_e32 v10, 29, v10
	v_and_b32_e32 v11, 7, v11
	v_cmp_eq_u16_e32 vcc, 0, v6
	v_cndmask_b32_e32 v2, v2, v11, vcc
	v_cndmask_b32_e32 v6, v6, v10, vcc
	v_lshlrev_b32_e32 v10, 24, v7
	v_mov_b32_e32 v11, 0x3b800000
	v_lshlrev_b32_e32 v2, 20, v2
	v_and_b32_e32 v10, 0x80000000, v10
	v_lshl_add_u32 v6, v6, 23, v11
	v_or3_b32 v2, v10, v6, v2
.LBB42_1188:
	s_or_b64 exec, exec, s[6:7]
	s_movk_i32 s4, 0x7f
	v_cmp_gt_i16_sdwa s[6:7], v3, s4 src0_sel:BYTE_0 src1_sel:DWORD
	s_mov_b64 s[4:5], 0
                                        ; implicit-def: $sgpr10
	s_and_saveexec_b64 s[8:9], s[6:7]
	s_xor_b64 s[6:7], exec, s[8:9]
	s_cbranch_execnz .LBB42_3237
; %bb.1189:
	s_or_saveexec_b64 s[6:7], s[6:7]
	v_mov_b32_e32 v6, s10
	s_xor_b64 exec, exec, s[6:7]
	s_cbranch_execnz .LBB42_3240
.LBB42_1190:
	s_or_b64 exec, exec, s[6:7]
	s_and_saveexec_b64 s[6:7], s[4:5]
	s_cbranch_execz .LBB42_1192
.LBB42_1191:
	v_and_b32_e32 v6, 7, v3
	v_ffbh_u32_e32 v11, v6
	v_min_u32_e32 v11, 32, v11
	v_lshrrev_b16_e32 v10, 3, v3
	v_subrev_u32_e32 v12, 28, v11
	v_and_b32_e32 v10, 15, v10
	v_lshlrev_b32_e32 v12, v12, v3
	v_sub_u32_e32 v11, 29, v11
	v_and_b32_e32 v12, 7, v12
	v_cmp_eq_u16_e32 vcc, 0, v10
	v_cndmask_b32_e32 v6, v6, v12, vcc
	v_cndmask_b32_e32 v10, v10, v11, vcc
	v_lshlrev_b32_e32 v11, 24, v3
	v_mov_b32_e32 v12, 0x3b800000
	v_lshlrev_b32_e32 v6, 20, v6
	v_and_b32_e32 v11, 0x80000000, v11
	v_lshl_add_u32 v10, v10, 23, v12
	v_or3_b32 v6, v11, v10, v6
.LBB42_1192:
	s_or_b64 exec, exec, s[6:7]
	s_nop 0
	v_mfma_f32_16x16x4f32 a[0:3], v2, v6, a[0:3]
	v_lshrrev_b32_e32 v6, 8, v7
	s_movk_i32 s4, 0x7f
	v_cmp_gt_i16_sdwa s[6:7], v6, s4 src0_sel:BYTE_0 src1_sel:DWORD
	s_mov_b64 s[4:5], 0
                                        ; implicit-def: $sgpr10
	s_and_saveexec_b64 s[8:9], s[6:7]
	s_xor_b64 s[6:7], exec, s[8:9]
	s_cbranch_execnz .LBB42_3241
; %bb.1193:
	s_or_saveexec_b64 s[6:7], s[6:7]
	v_mov_b32_e32 v2, s10
	s_xor_b64 exec, exec, s[6:7]
	s_cbranch_execnz .LBB42_3244
.LBB42_1194:
	s_or_b64 exec, exec, s[6:7]
	s_and_saveexec_b64 s[6:7], s[4:5]
	s_cbranch_execz .LBB42_1196
.LBB42_1195:
	v_bfe_u32 v2, v7, 8, 3
	v_ffbh_u32_e32 v11, v2
	v_min_u32_e32 v11, 32, v11
	v_lshrrev_b16_e32 v10, 3, v6
	v_subrev_u32_e32 v12, 28, v11
	v_and_b32_e32 v10, 15, v10
	v_lshlrev_b32_e32 v6, v12, v6
	v_sub_u32_e32 v11, 29, v11
	v_and_b32_e32 v6, 7, v6
	v_cmp_eq_u16_e32 vcc, 0, v10
	v_cndmask_b32_e32 v2, v2, v6, vcc
	v_cndmask_b32_e32 v6, v10, v11, vcc
	v_lshlrev_b32_e32 v10, 16, v7
	v_mov_b32_e32 v11, 0x3b800000
	v_lshlrev_b32_e32 v2, 20, v2
	v_and_b32_e32 v10, 0x80000000, v10
	v_lshl_add_u32 v6, v6, 23, v11
	v_or3_b32 v2, v10, v6, v2
.LBB42_1196:
	s_or_b64 exec, exec, s[6:7]
	v_lshrrev_b32_e32 v6, 8, v3
	s_movk_i32 s4, 0x7f
	v_cmp_gt_i16_sdwa s[6:7], v6, s4 src0_sel:BYTE_0 src1_sel:DWORD
	s_mov_b64 s[4:5], 0
                                        ; implicit-def: $sgpr10
	s_and_saveexec_b64 s[8:9], s[6:7]
	s_xor_b64 s[6:7], exec, s[8:9]
	s_cbranch_execnz .LBB42_3245
; %bb.1197:
	s_or_saveexec_b64 s[6:7], s[6:7]
	v_mov_b32_e32 v10, s10
	s_xor_b64 exec, exec, s[6:7]
	s_cbranch_execnz .LBB42_3248
.LBB42_1198:
	s_or_b64 exec, exec, s[6:7]
	s_and_saveexec_b64 s[6:7], s[4:5]
	s_cbranch_execz .LBB42_1200
.LBB42_1199:
	v_bfe_u32 v10, v3, 8, 3
	v_ffbh_u32_e32 v12, v10
	v_min_u32_e32 v12, 32, v12
	v_lshrrev_b16_e32 v11, 3, v6
	v_subrev_u32_e32 v13, 28, v12
	v_and_b32_e32 v11, 15, v11
	v_lshlrev_b32_e32 v6, v13, v6
	v_sub_u32_e32 v12, 29, v12
	v_and_b32_e32 v6, 7, v6
	v_cmp_eq_u16_e32 vcc, 0, v11
	v_cndmask_b32_e32 v6, v10, v6, vcc
	v_cndmask_b32_e32 v10, v11, v12, vcc
	v_lshlrev_b32_e32 v11, 16, v3
	v_mov_b32_e32 v12, 0x3b800000
	v_lshlrev_b32_e32 v6, 20, v6
	v_and_b32_e32 v11, 0x80000000, v11
	v_lshl_add_u32 v10, v10, 23, v12
	v_or3_b32 v10, v11, v10, v6
.LBB42_1200:
	s_or_b64 exec, exec, s[6:7]
	s_nop 0
	v_mfma_f32_16x16x4f32 a[0:3], v2, v10, a[0:3]
	s_movk_i32 s4, 0xff
	v_and_b32_sdwa v6, v7, s4 dst_sel:DWORD dst_unused:UNUSED_PAD src0_sel:WORD_1 src1_sel:DWORD
	s_movk_i32 s4, 0x7f
	v_cmp_lt_i16_e32 vcc, s4, v6
	s_mov_b64 s[4:5], 0
                                        ; implicit-def: $sgpr10
	s_and_saveexec_b64 s[6:7], vcc
	s_xor_b64 s[6:7], exec, s[6:7]
	s_cbranch_execnz .LBB42_3249
; %bb.1201:
	s_or_saveexec_b64 s[6:7], s[6:7]
	v_mov_b32_e32 v2, s10
	s_xor_b64 exec, exec, s[6:7]
	s_cbranch_execnz .LBB42_3252
.LBB42_1202:
	s_or_b64 exec, exec, s[6:7]
	s_and_saveexec_b64 s[6:7], s[4:5]
	s_cbranch_execz .LBB42_1204
.LBB42_1203:
	v_bfe_u32 v2, v7, 16, 3
	v_ffbh_u32_e32 v11, v2
	v_min_u32_e32 v11, 32, v11
	v_lshrrev_b32_e32 v6, 19, v7
	v_subrev_u32_e32 v12, 28, v11
	v_and_b32_e32 v6, 15, v6
	v_lshlrev_b32_sdwa v12, v12, v7 dst_sel:DWORD dst_unused:UNUSED_PAD src0_sel:DWORD src1_sel:WORD_1
	v_bfe_u32 v10, v7, 19, 4
	v_sub_u32_e32 v11, 29, v11
	v_and_b32_e32 v12, 7, v12
	v_cmp_eq_u16_e32 vcc, 0, v6
	v_cndmask_b32_e32 v2, v2, v12, vcc
	v_cndmask_b32_e32 v6, v10, v11, vcc
	v_lshlrev_b32_e32 v10, 8, v7
	v_mov_b32_e32 v11, 0x3b800000
	v_lshlrev_b32_e32 v2, 20, v2
	v_and_b32_e32 v10, 0x80000000, v10
	v_lshl_add_u32 v6, v6, 23, v11
	v_or3_b32 v2, v10, v6, v2
.LBB42_1204:
	s_or_b64 exec, exec, s[6:7]
	s_movk_i32 s4, 0xff
	v_and_b32_sdwa v6, v3, s4 dst_sel:DWORD dst_unused:UNUSED_PAD src0_sel:WORD_1 src1_sel:DWORD
	s_movk_i32 s4, 0x7f
	v_cmp_lt_i16_e32 vcc, s4, v6
	s_mov_b64 s[4:5], 0
                                        ; implicit-def: $sgpr10
	s_and_saveexec_b64 s[6:7], vcc
	s_xor_b64 s[6:7], exec, s[6:7]
	s_cbranch_execnz .LBB42_3253
; %bb.1205:
	s_or_saveexec_b64 s[6:7], s[6:7]
	v_mov_b32_e32 v10, s10
	s_xor_b64 exec, exec, s[6:7]
	s_cbranch_execnz .LBB42_3256
.LBB42_1206:
	s_or_b64 exec, exec, s[6:7]
	s_and_saveexec_b64 s[6:7], s[4:5]
	s_cbranch_execz .LBB42_1208
.LBB42_1207:
	v_bfe_u32 v6, v3, 16, 3
	v_ffbh_u32_e32 v12, v6
	v_min_u32_e32 v12, 32, v12
	v_lshrrev_b32_e32 v10, 19, v3
	v_subrev_u32_e32 v13, 28, v12
	v_and_b32_e32 v10, 15, v10
	v_lshlrev_b32_sdwa v13, v13, v3 dst_sel:DWORD dst_unused:UNUSED_PAD src0_sel:DWORD src1_sel:WORD_1
	v_bfe_u32 v11, v3, 19, 4
	v_sub_u32_e32 v12, 29, v12
	v_and_b32_e32 v13, 7, v13
	v_cmp_eq_u16_e32 vcc, 0, v10
	v_cndmask_b32_e32 v6, v6, v13, vcc
	v_cndmask_b32_e32 v10, v11, v12, vcc
	v_lshlrev_b32_e32 v11, 8, v3
	v_mov_b32_e32 v12, 0x3b800000
	v_lshlrev_b32_e32 v6, 20, v6
	v_and_b32_e32 v11, 0x80000000, v11
	v_lshl_add_u32 v10, v10, 23, v12
	v_or3_b32 v10, v11, v10, v6
.LBB42_1208:
	s_or_b64 exec, exec, s[6:7]
	s_nop 0
	v_mfma_f32_16x16x4f32 a[0:3], v2, v10, a[0:3]
	s_movk_i32 s4, 0x7f
	v_cmp_gt_i16_sdwa s[6:7], v7, s4 src0_sel:BYTE_3 src1_sel:DWORD
	s_mov_b64 s[4:5], 0
                                        ; implicit-def: $sgpr10
	s_and_saveexec_b64 s[8:9], s[6:7]
	s_xor_b64 s[6:7], exec, s[8:9]
	s_cbranch_execnz .LBB42_3257
; %bb.1209:
	s_or_saveexec_b64 s[6:7], s[6:7]
	v_mov_b32_e32 v2, s10
	s_xor_b64 exec, exec, s[6:7]
	s_cbranch_execnz .LBB42_3260
.LBB42_1210:
	s_or_b64 exec, exec, s[6:7]
	s_and_saveexec_b64 s[6:7], s[4:5]
	s_cbranch_execz .LBB42_1212
.LBB42_1211:
	v_bfe_u32 v2, v7, 24, 3
	v_ffbh_u32_e32 v12, v2
	v_min_u32_e32 v12, 32, v12
	v_lshrrev_b32_e32 v10, 27, v7
	v_subrev_u32_e32 v13, 28, v12
	v_and_b32_e32 v6, 0x80000000, v7
	v_and_b32_e32 v10, 15, v10
	v_bfe_u32 v11, v7, 27, 4
	v_lshlrev_b32_sdwa v7, v13, v7 dst_sel:DWORD dst_unused:UNUSED_PAD src0_sel:DWORD src1_sel:BYTE_3
	v_sub_u32_e32 v12, 29, v12
	v_and_b32_e32 v7, 7, v7
	v_cmp_eq_u16_e32 vcc, 0, v10
	v_cndmask_b32_e32 v2, v2, v7, vcc
	v_cndmask_b32_e32 v7, v11, v12, vcc
	v_mov_b32_e32 v10, 0x3b800000
	v_lshlrev_b32_e32 v2, 20, v2
	v_lshl_add_u32 v7, v7, 23, v10
	v_or3_b32 v2, v6, v7, v2
.LBB42_1212:
	s_or_b64 exec, exec, s[6:7]
	s_movk_i32 s4, 0x7f
	v_cmp_gt_i16_sdwa s[6:7], v3, s4 src0_sel:BYTE_3 src1_sel:DWORD
	s_mov_b64 s[4:5], 0
                                        ; implicit-def: $sgpr10
	s_and_saveexec_b64 s[8:9], s[6:7]
	s_xor_b64 s[6:7], exec, s[8:9]
	s_cbranch_execnz .LBB42_3261
; %bb.1213:
	s_or_saveexec_b64 s[6:7], s[6:7]
	v_mov_b32_e32 v6, s10
	s_xor_b64 exec, exec, s[6:7]
	s_cbranch_execnz .LBB42_3264
.LBB42_1214:
	s_or_b64 exec, exec, s[6:7]
	s_and_saveexec_b64 s[6:7], s[4:5]
	s_cbranch_execz .LBB42_1216
.LBB42_1215:
	v_bfe_u32 v6, v3, 24, 3
	v_ffbh_u32_e32 v12, v6
	v_min_u32_e32 v12, 32, v12
	v_lshrrev_b32_e32 v10, 27, v3
	v_subrev_u32_e32 v13, 28, v12
	v_and_b32_e32 v7, 0x80000000, v3
	v_and_b32_e32 v10, 15, v10
	v_bfe_u32 v11, v3, 27, 4
	v_lshlrev_b32_sdwa v3, v13, v3 dst_sel:DWORD dst_unused:UNUSED_PAD src0_sel:DWORD src1_sel:BYTE_3
	v_sub_u32_e32 v12, 29, v12
	v_and_b32_e32 v3, 7, v3
	v_cmp_eq_u16_e32 vcc, 0, v10
	v_cndmask_b32_e32 v3, v6, v3, vcc
	v_cndmask_b32_e32 v6, v11, v12, vcc
	v_mov_b32_e32 v10, 0x3b800000
	v_lshlrev_b32_e32 v3, 20, v3
	v_lshl_add_u32 v6, v6, 23, v10
	v_or3_b32 v6, v7, v6, v3
.LBB42_1216:
	s_or_b64 exec, exec, s[6:7]
	s_nop 0
	v_mfma_f32_16x16x4f32 a[0:3], v2, v6, a[0:3]
	s_movk_i32 s4, 0x7f
	v_cmp_gt_i16_sdwa s[6:7], v8, s4 src0_sel:BYTE_0 src1_sel:DWORD
	s_mov_b64 s[4:5], 0
                                        ; implicit-def: $sgpr10
	s_and_saveexec_b64 s[8:9], s[6:7]
	s_xor_b64 s[6:7], exec, s[8:9]
	s_cbranch_execnz .LBB42_3265
; %bb.1217:
	s_or_saveexec_b64 s[6:7], s[6:7]
	v_mov_b32_e32 v2, s10
	s_xor_b64 exec, exec, s[6:7]
	s_cbranch_execnz .LBB42_3268
.LBB42_1218:
	s_or_b64 exec, exec, s[6:7]
	s_and_saveexec_b64 s[6:7], s[4:5]
	s_cbranch_execz .LBB42_1220
.LBB42_1219:
	v_and_b32_e32 v2, 7, v8
	v_ffbh_u32_e32 v6, v2
	v_min_u32_e32 v6, 32, v6
	v_lshrrev_b16_e32 v3, 3, v8
	v_subrev_u32_e32 v7, 28, v6
	v_and_b32_e32 v3, 15, v3
	v_lshlrev_b32_e32 v7, v7, v8
	v_sub_u32_e32 v6, 29, v6
	v_and_b32_e32 v7, 7, v7
	v_cmp_eq_u16_e32 vcc, 0, v3
	v_cndmask_b32_e32 v2, v2, v7, vcc
	v_cndmask_b32_e32 v3, v3, v6, vcc
	v_lshlrev_b32_e32 v6, 24, v8
	v_mov_b32_e32 v7, 0x3b800000
	v_lshlrev_b32_e32 v2, 20, v2
	v_and_b32_e32 v6, 0x80000000, v6
	v_lshl_add_u32 v3, v3, 23, v7
	v_or3_b32 v2, v6, v3, v2
.LBB42_1220:
	s_or_b64 exec, exec, s[6:7]
	s_movk_i32 s4, 0x7f
	v_cmp_gt_i16_sdwa s[6:7], v4, s4 src0_sel:BYTE_0 src1_sel:DWORD
	s_mov_b64 s[4:5], 0
                                        ; implicit-def: $sgpr10
	s_and_saveexec_b64 s[8:9], s[6:7]
	s_xor_b64 s[6:7], exec, s[8:9]
	s_cbranch_execnz .LBB42_3269
; %bb.1221:
	s_or_saveexec_b64 s[6:7], s[6:7]
	v_mov_b32_e32 v3, s10
	s_xor_b64 exec, exec, s[6:7]
	s_cbranch_execnz .LBB42_3272
.LBB42_1222:
	s_or_b64 exec, exec, s[6:7]
	s_and_saveexec_b64 s[6:7], s[4:5]
	s_cbranch_execz .LBB42_1224
.LBB42_1223:
	v_and_b32_e32 v3, 7, v4
	v_ffbh_u32_e32 v7, v3
	v_min_u32_e32 v7, 32, v7
	v_lshrrev_b16_e32 v6, 3, v4
	v_subrev_u32_e32 v10, 28, v7
	v_and_b32_e32 v6, 15, v6
	v_lshlrev_b32_e32 v10, v10, v4
	v_sub_u32_e32 v7, 29, v7
	v_and_b32_e32 v10, 7, v10
	v_cmp_eq_u16_e32 vcc, 0, v6
	v_cndmask_b32_e32 v3, v3, v10, vcc
	v_cndmask_b32_e32 v6, v6, v7, vcc
	v_lshlrev_b32_e32 v7, 24, v4
	v_mov_b32_e32 v10, 0x3b800000
	v_lshlrev_b32_e32 v3, 20, v3
	v_and_b32_e32 v7, 0x80000000, v7
	v_lshl_add_u32 v6, v6, 23, v10
	v_or3_b32 v3, v7, v6, v3
.LBB42_1224:
	s_or_b64 exec, exec, s[6:7]
	s_nop 0
	v_mfma_f32_16x16x4f32 a[0:3], v2, v3, a[0:3]
	v_lshrrev_b32_e32 v3, 8, v8
	s_movk_i32 s4, 0x7f
	v_cmp_gt_i16_sdwa s[6:7], v3, s4 src0_sel:BYTE_0 src1_sel:DWORD
	s_mov_b64 s[4:5], 0
                                        ; implicit-def: $sgpr10
	s_and_saveexec_b64 s[8:9], s[6:7]
	s_xor_b64 s[6:7], exec, s[8:9]
	s_cbranch_execnz .LBB42_3273
; %bb.1225:
	s_or_saveexec_b64 s[6:7], s[6:7]
	v_mov_b32_e32 v2, s10
	s_xor_b64 exec, exec, s[6:7]
	s_cbranch_execnz .LBB42_3276
.LBB42_1226:
	s_or_b64 exec, exec, s[6:7]
	s_and_saveexec_b64 s[6:7], s[4:5]
	s_cbranch_execz .LBB42_1228
.LBB42_1227:
	v_bfe_u32 v2, v8, 8, 3
	v_ffbh_u32_e32 v7, v2
	v_min_u32_e32 v7, 32, v7
	v_lshrrev_b16_e32 v6, 3, v3
	v_subrev_u32_e32 v10, 28, v7
	v_and_b32_e32 v6, 15, v6
	v_lshlrev_b32_e32 v3, v10, v3
	v_sub_u32_e32 v7, 29, v7
	v_and_b32_e32 v3, 7, v3
	v_cmp_eq_u16_e32 vcc, 0, v6
	v_cndmask_b32_e32 v2, v2, v3, vcc
	v_cndmask_b32_e32 v3, v6, v7, vcc
	v_lshlrev_b32_e32 v6, 16, v8
	v_mov_b32_e32 v7, 0x3b800000
	v_lshlrev_b32_e32 v2, 20, v2
	v_and_b32_e32 v6, 0x80000000, v6
	v_lshl_add_u32 v3, v3, 23, v7
	v_or3_b32 v2, v6, v3, v2
.LBB42_1228:
	s_or_b64 exec, exec, s[6:7]
	v_lshrrev_b32_e32 v3, 8, v4
	s_movk_i32 s4, 0x7f
	v_cmp_gt_i16_sdwa s[6:7], v3, s4 src0_sel:BYTE_0 src1_sel:DWORD
	s_mov_b64 s[4:5], 0
                                        ; implicit-def: $sgpr10
	s_and_saveexec_b64 s[8:9], s[6:7]
	s_xor_b64 s[6:7], exec, s[8:9]
	s_cbranch_execnz .LBB42_3277
; %bb.1229:
	s_or_saveexec_b64 s[6:7], s[6:7]
	v_mov_b32_e32 v6, s10
	s_xor_b64 exec, exec, s[6:7]
	s_cbranch_execnz .LBB42_3280
.LBB42_1230:
	s_or_b64 exec, exec, s[6:7]
	s_and_saveexec_b64 s[6:7], s[4:5]
	s_cbranch_execz .LBB42_1232
.LBB42_1231:
	v_bfe_u32 v6, v4, 8, 3
	v_ffbh_u32_e32 v10, v6
	v_min_u32_e32 v10, 32, v10
	v_lshrrev_b16_e32 v7, 3, v3
	v_subrev_u32_e32 v11, 28, v10
	v_and_b32_e32 v7, 15, v7
	v_lshlrev_b32_e32 v3, v11, v3
	v_sub_u32_e32 v10, 29, v10
	v_and_b32_e32 v3, 7, v3
	v_cmp_eq_u16_e32 vcc, 0, v7
	v_cndmask_b32_e32 v3, v6, v3, vcc
	v_cndmask_b32_e32 v6, v7, v10, vcc
	v_lshlrev_b32_e32 v7, 16, v4
	v_mov_b32_e32 v10, 0x3b800000
	v_lshlrev_b32_e32 v3, 20, v3
	v_and_b32_e32 v7, 0x80000000, v7
	v_lshl_add_u32 v6, v6, 23, v10
	v_or3_b32 v6, v7, v6, v3
.LBB42_1232:
	s_or_b64 exec, exec, s[6:7]
	s_nop 0
	v_mfma_f32_16x16x4f32 a[0:3], v2, v6, a[0:3]
	s_movk_i32 s4, 0xff
	v_and_b32_sdwa v3, v8, s4 dst_sel:DWORD dst_unused:UNUSED_PAD src0_sel:WORD_1 src1_sel:DWORD
	s_movk_i32 s4, 0x7f
	v_cmp_lt_i16_e32 vcc, s4, v3
	s_mov_b64 s[4:5], 0
                                        ; implicit-def: $sgpr10
	s_and_saveexec_b64 s[6:7], vcc
	s_xor_b64 s[6:7], exec, s[6:7]
	s_cbranch_execnz .LBB42_3281
; %bb.1233:
	s_or_saveexec_b64 s[6:7], s[6:7]
	v_mov_b32_e32 v2, s10
	s_xor_b64 exec, exec, s[6:7]
	s_cbranch_execnz .LBB42_3284
.LBB42_1234:
	s_or_b64 exec, exec, s[6:7]
	s_and_saveexec_b64 s[6:7], s[4:5]
	s_cbranch_execz .LBB42_1236
.LBB42_1235:
	v_bfe_u32 v2, v8, 16, 3
	v_ffbh_u32_e32 v7, v2
	v_min_u32_e32 v7, 32, v7
	v_lshrrev_b32_e32 v3, 19, v8
	v_subrev_u32_e32 v10, 28, v7
	v_and_b32_e32 v3, 15, v3
	v_lshlrev_b32_sdwa v10, v10, v8 dst_sel:DWORD dst_unused:UNUSED_PAD src0_sel:DWORD src1_sel:WORD_1
	v_bfe_u32 v6, v8, 19, 4
	v_sub_u32_e32 v7, 29, v7
	v_and_b32_e32 v10, 7, v10
	v_cmp_eq_u16_e32 vcc, 0, v3
	v_cndmask_b32_e32 v2, v2, v10, vcc
	v_cndmask_b32_e32 v3, v6, v7, vcc
	v_lshlrev_b32_e32 v6, 8, v8
	v_mov_b32_e32 v7, 0x3b800000
	v_lshlrev_b32_e32 v2, 20, v2
	v_and_b32_e32 v6, 0x80000000, v6
	v_lshl_add_u32 v3, v3, 23, v7
	v_or3_b32 v2, v6, v3, v2
.LBB42_1236:
	s_or_b64 exec, exec, s[6:7]
	s_movk_i32 s4, 0xff
	v_and_b32_sdwa v3, v4, s4 dst_sel:DWORD dst_unused:UNUSED_PAD src0_sel:WORD_1 src1_sel:DWORD
	s_movk_i32 s4, 0x7f
	v_cmp_lt_i16_e32 vcc, s4, v3
	s_mov_b64 s[4:5], 0
                                        ; implicit-def: $sgpr10
	s_and_saveexec_b64 s[6:7], vcc
	s_xor_b64 s[6:7], exec, s[6:7]
	s_cbranch_execnz .LBB42_3285
; %bb.1237:
	s_or_saveexec_b64 s[6:7], s[6:7]
	v_mov_b32_e32 v6, s10
	s_xor_b64 exec, exec, s[6:7]
	s_cbranch_execnz .LBB42_3288
.LBB42_1238:
	s_or_b64 exec, exec, s[6:7]
	s_and_saveexec_b64 s[6:7], s[4:5]
	s_cbranch_execz .LBB42_1240
.LBB42_1239:
	v_bfe_u32 v3, v4, 16, 3
	v_ffbh_u32_e32 v10, v3
	v_min_u32_e32 v10, 32, v10
	v_lshrrev_b32_e32 v6, 19, v4
	v_subrev_u32_e32 v11, 28, v10
	v_and_b32_e32 v6, 15, v6
	v_lshlrev_b32_sdwa v11, v11, v4 dst_sel:DWORD dst_unused:UNUSED_PAD src0_sel:DWORD src1_sel:WORD_1
	v_bfe_u32 v7, v4, 19, 4
	v_sub_u32_e32 v10, 29, v10
	v_and_b32_e32 v11, 7, v11
	v_cmp_eq_u16_e32 vcc, 0, v6
	v_cndmask_b32_e32 v3, v3, v11, vcc
	v_cndmask_b32_e32 v6, v7, v10, vcc
	v_lshlrev_b32_e32 v7, 8, v4
	v_mov_b32_e32 v10, 0x3b800000
	v_lshlrev_b32_e32 v3, 20, v3
	v_and_b32_e32 v7, 0x80000000, v7
	v_lshl_add_u32 v6, v6, 23, v10
	v_or3_b32 v6, v7, v6, v3
.LBB42_1240:
	s_or_b64 exec, exec, s[6:7]
	s_nop 0
	v_mfma_f32_16x16x4f32 a[0:3], v2, v6, a[0:3]
	s_movk_i32 s4, 0x7f
	v_cmp_gt_i16_sdwa s[6:7], v8, s4 src0_sel:BYTE_3 src1_sel:DWORD
	s_mov_b64 s[4:5], 0
                                        ; implicit-def: $sgpr10
	s_and_saveexec_b64 s[8:9], s[6:7]
	s_xor_b64 s[6:7], exec, s[8:9]
	s_cbranch_execnz .LBB42_3289
; %bb.1241:
	s_or_saveexec_b64 s[6:7], s[6:7]
	v_mov_b32_e32 v2, s10
	s_xor_b64 exec, exec, s[6:7]
	s_cbranch_execnz .LBB42_3292
.LBB42_1242:
	s_or_b64 exec, exec, s[6:7]
	s_and_saveexec_b64 s[6:7], s[4:5]
	s_cbranch_execz .LBB42_1244
.LBB42_1243:
	v_bfe_u32 v2, v8, 24, 3
	v_ffbh_u32_e32 v10, v2
	v_min_u32_e32 v10, 32, v10
	v_lshrrev_b32_e32 v6, 27, v8
	v_subrev_u32_e32 v11, 28, v10
	v_and_b32_e32 v3, 0x80000000, v8
	v_and_b32_e32 v6, 15, v6
	v_bfe_u32 v7, v8, 27, 4
	v_lshlrev_b32_sdwa v8, v11, v8 dst_sel:DWORD dst_unused:UNUSED_PAD src0_sel:DWORD src1_sel:BYTE_3
	v_sub_u32_e32 v10, 29, v10
	v_and_b32_e32 v8, 7, v8
	v_cmp_eq_u16_e32 vcc, 0, v6
	v_cndmask_b32_e32 v2, v2, v8, vcc
	v_cndmask_b32_e32 v6, v7, v10, vcc
	v_mov_b32_e32 v7, 0x3b800000
	v_lshlrev_b32_e32 v2, 20, v2
	v_lshl_add_u32 v6, v6, 23, v7
	v_or3_b32 v2, v3, v6, v2
.LBB42_1244:
	s_or_b64 exec, exec, s[6:7]
	s_movk_i32 s4, 0x7f
	v_cmp_gt_i16_sdwa s[6:7], v4, s4 src0_sel:BYTE_3 src1_sel:DWORD
	s_mov_b64 s[4:5], 0
                                        ; implicit-def: $sgpr10
	s_and_saveexec_b64 s[8:9], s[6:7]
	s_xor_b64 s[6:7], exec, s[8:9]
	s_cbranch_execnz .LBB42_3293
; %bb.1245:
	s_or_saveexec_b64 s[6:7], s[6:7]
	v_mov_b32_e32 v3, s10
	s_xor_b64 exec, exec, s[6:7]
	s_cbranch_execnz .LBB42_3296
.LBB42_1246:
	s_or_b64 exec, exec, s[6:7]
	s_and_saveexec_b64 s[6:7], s[4:5]
	s_cbranch_execz .LBB42_1248
.LBB42_1247:
	v_bfe_u32 v3, v4, 24, 3
	v_ffbh_u32_e32 v10, v3
	v_min_u32_e32 v10, 32, v10
	v_lshrrev_b32_e32 v7, 27, v4
	v_subrev_u32_e32 v11, 28, v10
	v_and_b32_e32 v6, 0x80000000, v4
	v_and_b32_e32 v7, 15, v7
	v_bfe_u32 v8, v4, 27, 4
	v_lshlrev_b32_sdwa v4, v11, v4 dst_sel:DWORD dst_unused:UNUSED_PAD src0_sel:DWORD src1_sel:BYTE_3
	v_sub_u32_e32 v10, 29, v10
	v_and_b32_e32 v4, 7, v4
	v_cmp_eq_u16_e32 vcc, 0, v7
	v_cndmask_b32_e32 v3, v3, v4, vcc
	v_cndmask_b32_e32 v4, v8, v10, vcc
	v_mov_b32_e32 v7, 0x3b800000
	v_lshlrev_b32_e32 v3, 20, v3
	v_lshl_add_u32 v4, v4, 23, v7
	v_or3_b32 v3, v6, v4, v3
.LBB42_1248:
	s_or_b64 exec, exec, s[6:7]
	s_nop 0
	v_mfma_f32_16x16x4f32 a[0:3], v2, v3, a[0:3]
	s_movk_i32 s4, 0x7f
	v_cmp_gt_i16_sdwa s[6:7], v9, s4 src0_sel:BYTE_0 src1_sel:DWORD
	s_mov_b64 s[4:5], 0
                                        ; implicit-def: $sgpr10
	s_and_saveexec_b64 s[8:9], s[6:7]
	s_xor_b64 s[6:7], exec, s[8:9]
	s_cbranch_execnz .LBB42_3297
; %bb.1249:
	s_or_saveexec_b64 s[6:7], s[6:7]
	v_mov_b32_e32 v2, s10
	s_xor_b64 exec, exec, s[6:7]
	s_cbranch_execnz .LBB42_3300
.LBB42_1250:
	s_or_b64 exec, exec, s[6:7]
	s_and_saveexec_b64 s[6:7], s[4:5]
	s_cbranch_execz .LBB42_1252
.LBB42_1251:
	v_mov_b32_e32 v2, 8
	v_and_b32_e32 v3, 7, v9
	v_lshrrev_b32_sdwa v2, v2, v9 dst_sel:BYTE_1 dst_unused:UNUSED_PAD src0_sel:DWORD src1_sel:DWORD
	v_ffbh_u32_e32 v4, v3
	v_or_b32_sdwa v2, v9, v2 dst_sel:DWORD dst_unused:UNUSED_PAD src0_sel:BYTE_0 src1_sel:DWORD
	v_min_u32_e32 v4, 32, v4
	v_lshrrev_b16_e32 v2, 3, v2
	v_subrev_u32_e32 v6, 28, v4
	v_and_b32_e32 v2, 15, v2
	v_lshlrev_b32_e32 v6, v6, v9
	v_sub_u32_e32 v4, 29, v4
	v_and_b32_e32 v6, 7, v6
	v_cmp_eq_u16_e32 vcc, 0, v2
	v_cndmask_b32_e32 v3, v3, v6, vcc
	v_cndmask_b32_e32 v2, v2, v4, vcc
	v_lshlrev_b32_e32 v4, 24, v9
	v_mov_b32_e32 v6, 0x3b800000
	v_lshlrev_b32_e32 v3, 20, v3
	v_and_b32_e32 v4, 0x80000000, v4
	v_lshl_add_u32 v2, v2, 23, v6
	v_or3_b32 v2, v4, v2, v3
.LBB42_1252:
	s_or_b64 exec, exec, s[6:7]
	s_movk_i32 s4, 0x7f
	v_cmp_gt_i16_sdwa s[6:7], v5, s4 src0_sel:BYTE_0 src1_sel:DWORD
	s_mov_b64 s[4:5], 0
                                        ; implicit-def: $sgpr10
	s_and_saveexec_b64 s[8:9], s[6:7]
	s_xor_b64 s[6:7], exec, s[8:9]
	s_cbranch_execnz .LBB42_3301
; %bb.1253:
	s_or_saveexec_b64 s[6:7], s[6:7]
	v_mov_b32_e32 v3, s10
	s_xor_b64 exec, exec, s[6:7]
	s_cbranch_execnz .LBB42_3304
.LBB42_1254:
	s_or_b64 exec, exec, s[6:7]
	s_and_saveexec_b64 s[6:7], s[4:5]
	s_cbranch_execz .LBB42_1256
.LBB42_1255:
	v_mov_b32_e32 v3, 8
	v_and_b32_e32 v4, 7, v5
	v_lshrrev_b32_sdwa v3, v3, v5 dst_sel:BYTE_1 dst_unused:UNUSED_PAD src0_sel:DWORD src1_sel:DWORD
	v_ffbh_u32_e32 v6, v4
	v_or_b32_sdwa v3, v5, v3 dst_sel:DWORD dst_unused:UNUSED_PAD src0_sel:BYTE_0 src1_sel:DWORD
	v_min_u32_e32 v6, 32, v6
	v_lshrrev_b16_e32 v3, 3, v3
	v_subrev_u32_e32 v7, 28, v6
	v_and_b32_e32 v3, 15, v3
	v_lshlrev_b32_e32 v7, v7, v5
	v_sub_u32_e32 v6, 29, v6
	v_and_b32_e32 v7, 7, v7
	v_cmp_eq_u16_e32 vcc, 0, v3
	v_cndmask_b32_e32 v4, v4, v7, vcc
	v_cndmask_b32_e32 v3, v3, v6, vcc
	v_lshlrev_b32_e32 v6, 24, v5
	v_mov_b32_e32 v7, 0x3b800000
	v_lshlrev_b32_e32 v4, 20, v4
	v_and_b32_e32 v6, 0x80000000, v6
	v_lshl_add_u32 v3, v3, 23, v7
	v_or3_b32 v3, v6, v3, v4
.LBB42_1256:
	s_or_b64 exec, exec, s[6:7]
	s_nop 0
	v_mfma_f32_16x16x4f32 a[0:3], v2, v3, a[0:3]
	v_lshrrev_b32_e32 v3, 8, v9
	s_movk_i32 s4, 0x7f
	v_cmp_gt_i16_sdwa s[6:7], v3, s4 src0_sel:BYTE_0 src1_sel:DWORD
	s_mov_b64 s[4:5], 0
                                        ; implicit-def: $sgpr10
	s_and_saveexec_b64 s[8:9], s[6:7]
	s_xor_b64 s[6:7], exec, s[8:9]
	s_cbranch_execnz .LBB42_3305
; %bb.1257:
	s_or_saveexec_b64 s[6:7], s[6:7]
	v_mov_b32_e32 v2, s10
	s_xor_b64 exec, exec, s[6:7]
	s_cbranch_execnz .LBB42_3308
.LBB42_1258:
	s_or_b64 exec, exec, s[6:7]
	s_and_saveexec_b64 s[6:7], s[4:5]
	s_cbranch_execz .LBB42_1260
.LBB42_1259:
	v_bfe_u32 v2, v9, 8, 3
	v_ffbh_u32_e32 v6, v2
	v_min_u32_e32 v6, 32, v6
	v_lshrrev_b16_e32 v4, 3, v3
	v_subrev_u32_e32 v7, 28, v6
	v_and_b32_e32 v4, 15, v4
	v_lshlrev_b32_e32 v3, v7, v3
	v_sub_u32_e32 v6, 29, v6
	v_and_b32_e32 v3, 7, v3
	v_cmp_eq_u16_e32 vcc, 0, v4
	v_cndmask_b32_e32 v2, v2, v3, vcc
	v_cndmask_b32_e32 v3, v4, v6, vcc
	v_lshlrev_b32_e32 v4, 16, v9
	v_mov_b32_e32 v6, 0x3b800000
	v_lshlrev_b32_e32 v2, 20, v2
	v_and_b32_e32 v4, 0x80000000, v4
	v_lshl_add_u32 v3, v3, 23, v6
	v_or3_b32 v2, v4, v3, v2
.LBB42_1260:
	s_or_b64 exec, exec, s[6:7]
	v_lshrrev_b32_e32 v3, 8, v5
	s_movk_i32 s4, 0x7f
	v_cmp_gt_i16_sdwa s[6:7], v3, s4 src0_sel:BYTE_0 src1_sel:DWORD
	s_mov_b64 s[4:5], 0
                                        ; implicit-def: $sgpr10
	s_and_saveexec_b64 s[8:9], s[6:7]
	s_xor_b64 s[6:7], exec, s[8:9]
	s_cbranch_execnz .LBB42_3309
; %bb.1261:
	s_or_saveexec_b64 s[6:7], s[6:7]
	v_mov_b32_e32 v4, s10
	s_xor_b64 exec, exec, s[6:7]
	s_cbranch_execnz .LBB42_3312
.LBB42_1262:
	s_or_b64 exec, exec, s[6:7]
	s_and_saveexec_b64 s[6:7], s[4:5]
	s_cbranch_execz .LBB42_1264
.LBB42_1263:
	v_bfe_u32 v4, v5, 8, 3
	v_ffbh_u32_e32 v7, v4
	v_min_u32_e32 v7, 32, v7
	v_lshrrev_b16_e32 v6, 3, v3
	v_subrev_u32_e32 v8, 28, v7
	v_and_b32_e32 v6, 15, v6
	v_lshlrev_b32_e32 v3, v8, v3
	v_sub_u32_e32 v7, 29, v7
	v_and_b32_e32 v3, 7, v3
	v_cmp_eq_u16_e32 vcc, 0, v6
	v_cndmask_b32_e32 v3, v4, v3, vcc
	v_cndmask_b32_e32 v4, v6, v7, vcc
	v_lshlrev_b32_e32 v6, 16, v5
	v_mov_b32_e32 v7, 0x3b800000
	v_lshlrev_b32_e32 v3, 20, v3
	v_and_b32_e32 v6, 0x80000000, v6
	v_lshl_add_u32 v4, v4, 23, v7
	v_or3_b32 v4, v6, v4, v3
.LBB42_1264:
	s_or_b64 exec, exec, s[6:7]
	s_nop 0
	v_mfma_f32_16x16x4f32 a[0:3], v2, v4, a[0:3]
	s_movk_i32 s4, 0xff
	v_and_b32_sdwa v3, v9, s4 dst_sel:DWORD dst_unused:UNUSED_PAD src0_sel:WORD_1 src1_sel:DWORD
	s_movk_i32 s4, 0x7f
	v_cmp_lt_i16_e32 vcc, s4, v3
	s_mov_b64 s[4:5], 0
                                        ; implicit-def: $sgpr10
	s_and_saveexec_b64 s[6:7], vcc
	s_xor_b64 s[6:7], exec, s[6:7]
	s_cbranch_execnz .LBB42_3313
; %bb.1265:
	s_or_saveexec_b64 s[6:7], s[6:7]
	v_mov_b32_e32 v2, s10
	s_xor_b64 exec, exec, s[6:7]
	s_cbranch_execnz .LBB42_3316
.LBB42_1266:
	s_or_b64 exec, exec, s[6:7]
	s_and_saveexec_b64 s[6:7], s[4:5]
	s_cbranch_execz .LBB42_1268
.LBB42_1267:
	v_bfe_u32 v2, v9, 16, 3
	v_ffbh_u32_e32 v6, v2
	v_min_u32_e32 v6, 32, v6
	v_lshrrev_b32_e32 v3, 19, v9
	v_subrev_u32_e32 v7, 28, v6
	v_and_b32_e32 v3, 15, v3
	v_lshlrev_b32_sdwa v7, v7, v9 dst_sel:DWORD dst_unused:UNUSED_PAD src0_sel:DWORD src1_sel:WORD_1
	v_bfe_u32 v4, v9, 19, 4
	v_sub_u32_e32 v6, 29, v6
	v_and_b32_e32 v7, 7, v7
	v_cmp_eq_u16_e32 vcc, 0, v3
	v_cndmask_b32_e32 v2, v2, v7, vcc
	v_cndmask_b32_e32 v3, v4, v6, vcc
	v_lshlrev_b32_e32 v4, 8, v9
	v_mov_b32_e32 v6, 0x3b800000
	v_lshlrev_b32_e32 v2, 20, v2
	v_and_b32_e32 v4, 0x80000000, v4
	v_lshl_add_u32 v3, v3, 23, v6
	v_or3_b32 v2, v4, v3, v2
.LBB42_1268:
	s_or_b64 exec, exec, s[6:7]
	s_movk_i32 s4, 0xff
	v_and_b32_sdwa v3, v5, s4 dst_sel:DWORD dst_unused:UNUSED_PAD src0_sel:WORD_1 src1_sel:DWORD
	s_movk_i32 s4, 0x7f
	v_cmp_lt_i16_e32 vcc, s4, v3
	s_mov_b64 s[4:5], 0
                                        ; implicit-def: $sgpr10
	s_and_saveexec_b64 s[6:7], vcc
	s_xor_b64 s[6:7], exec, s[6:7]
	s_cbranch_execnz .LBB42_3317
; %bb.1269:
	s_or_saveexec_b64 s[6:7], s[6:7]
	v_mov_b32_e32 v4, s10
	s_xor_b64 exec, exec, s[6:7]
	s_cbranch_execnz .LBB42_3320
.LBB42_1270:
	s_or_b64 exec, exec, s[6:7]
	s_and_saveexec_b64 s[6:7], s[4:5]
	s_cbranch_execz .LBB42_1272
.LBB42_1271:
	v_bfe_u32 v3, v5, 16, 3
	v_ffbh_u32_e32 v7, v3
	v_min_u32_e32 v7, 32, v7
	v_lshrrev_b32_e32 v4, 19, v5
	v_subrev_u32_e32 v8, 28, v7
	v_and_b32_e32 v4, 15, v4
	v_lshlrev_b32_sdwa v8, v8, v5 dst_sel:DWORD dst_unused:UNUSED_PAD src0_sel:DWORD src1_sel:WORD_1
	v_bfe_u32 v6, v5, 19, 4
	v_sub_u32_e32 v7, 29, v7
	v_and_b32_e32 v8, 7, v8
	v_cmp_eq_u16_e32 vcc, 0, v4
	v_cndmask_b32_e32 v3, v3, v8, vcc
	v_cndmask_b32_e32 v4, v6, v7, vcc
	v_lshlrev_b32_e32 v6, 8, v5
	v_mov_b32_e32 v7, 0x3b800000
	v_lshlrev_b32_e32 v3, 20, v3
	v_and_b32_e32 v6, 0x80000000, v6
	v_lshl_add_u32 v4, v4, 23, v7
	v_or3_b32 v4, v6, v4, v3
.LBB42_1272:
	s_or_b64 exec, exec, s[6:7]
	s_nop 0
	v_mfma_f32_16x16x4f32 a[0:3], v2, v4, a[0:3]
	s_movk_i32 s4, 0x7f
	v_cmp_gt_i16_sdwa s[6:7], v9, s4 src0_sel:BYTE_3 src1_sel:DWORD
	s_mov_b64 s[4:5], 0
                                        ; implicit-def: $sgpr10
	s_and_saveexec_b64 s[8:9], s[6:7]
	s_xor_b64 s[6:7], exec, s[8:9]
	s_cbranch_execnz .LBB42_3321
; %bb.1273:
	s_or_saveexec_b64 s[6:7], s[6:7]
	v_mov_b32_e32 v2, s10
	s_xor_b64 exec, exec, s[6:7]
	s_cbranch_execnz .LBB42_3324
.LBB42_1274:
	s_or_b64 exec, exec, s[6:7]
	s_and_saveexec_b64 s[6:7], s[4:5]
	s_cbranch_execz .LBB42_1276
.LBB42_1275:
	v_bfe_u32 v2, v9, 24, 3
	v_ffbh_u32_e32 v7, v2
	v_min_u32_e32 v7, 32, v7
	v_lshrrev_b32_e32 v4, 27, v9
	v_subrev_u32_e32 v8, 28, v7
	v_and_b32_e32 v4, 15, v4
	v_lshlrev_b32_sdwa v8, v8, v9 dst_sel:DWORD dst_unused:UNUSED_PAD src0_sel:DWORD src1_sel:BYTE_3
	v_bfe_u32 v6, v9, 27, 4
	v_sub_u32_e32 v7, 29, v7
	v_and_b32_e32 v8, 7, v8
	v_cmp_eq_u16_e32 vcc, 0, v4
	v_cndmask_b32_e32 v2, v2, v8, vcc
	v_cndmask_b32_e32 v4, v6, v7, vcc
	v_mov_b32_e32 v6, 0x3b800000
	v_and_b32_e32 v3, 0x80000000, v9
	v_lshlrev_b32_e32 v2, 20, v2
	v_lshl_add_u32 v4, v4, 23, v6
	v_or3_b32 v2, v3, v4, v2
.LBB42_1276:
	s_or_b64 exec, exec, s[6:7]
	s_movk_i32 s4, 0x7f
	v_cmp_gt_i16_sdwa s[6:7], v5, s4 src0_sel:BYTE_3 src1_sel:DWORD
	s_mov_b64 s[4:5], 0
                                        ; implicit-def: $sgpr10
	s_and_saveexec_b64 s[8:9], s[6:7]
	s_xor_b64 s[6:7], exec, s[8:9]
	s_cbranch_execnz .LBB42_3325
; %bb.1277:
	s_or_saveexec_b64 s[6:7], s[6:7]
	v_mov_b32_e32 v3, s10
	s_xor_b64 exec, exec, s[6:7]
	s_cbranch_execnz .LBB42_3328
.LBB42_1278:
	s_or_b64 exec, exec, s[6:7]
	s_and_saveexec_b64 s[6:7], s[4:5]
	s_cbranch_execz .LBB42_1280
.LBB42_1279:
	v_bfe_u32 v3, v5, 24, 3
	v_ffbh_u32_e32 v8, v3
	v_min_u32_e32 v8, 32, v8
	v_lshrrev_b32_e32 v6, 27, v5
	v_subrev_u32_e32 v9, 28, v8
	v_and_b32_e32 v4, 0x80000000, v5
	v_and_b32_e32 v6, 15, v6
	v_bfe_u32 v7, v5, 27, 4
	v_lshlrev_b32_sdwa v5, v9, v5 dst_sel:DWORD dst_unused:UNUSED_PAD src0_sel:DWORD src1_sel:BYTE_3
	v_sub_u32_e32 v8, 29, v8
	v_and_b32_e32 v5, 7, v5
	v_cmp_eq_u16_e32 vcc, 0, v6
	v_cndmask_b32_e32 v3, v3, v5, vcc
	v_cndmask_b32_e32 v5, v7, v8, vcc
	v_mov_b32_e32 v6, 0x3b800000
	v_lshlrev_b32_e32 v3, 20, v3
	v_lshl_add_u32 v5, v5, 23, v6
	v_or3_b32 v3, v4, v5, v3
.LBB42_1280:
	s_or_b64 exec, exec, s[6:7]
	s_nop 0
	v_mfma_f32_16x16x4f32 a[0:3], v2, v3, a[0:3]
	s_movk_i32 s4, 0x7f
                                        ; implicit-def: $sgpr10
	s_nop 7
	s_nop 1
	flat_store_dwordx4 v[18:19], a[0:3] offset:832
	flat_load_dwordx4 v[20:23], v[0:1] offset:16
	s_nop 0
	flat_load_dwordx2 v[18:19], v[0:1] offset:32
	s_waitcnt vmcnt(0) lgkmcnt(0)
	flat_load_dwordx4 v[14:17], v[20:21]
	flat_load_dwordx4 v[6:9], v[20:21] offset:16
	flat_load_dwordx4 v[10:13], v[22:23] offset:416
	;; [unrolled: 1-line block ×3, first 2 shown]
	s_waitcnt vmcnt(0) lgkmcnt(0)
	v_cmp_gt_i16_sdwa s[6:7], v14, s4 src0_sel:BYTE_0 src1_sel:DWORD
	s_mov_b64 s[4:5], 0
	s_and_saveexec_b64 s[8:9], s[6:7]
	s_xor_b64 s[6:7], exec, s[8:9]
	s_cbranch_execnz .LBB42_3329
; %bb.1281:
	s_or_saveexec_b64 s[6:7], s[6:7]
	v_mov_b32_e32 v20, s10
	s_xor_b64 exec, exec, s[6:7]
	s_cbranch_execnz .LBB42_3332
.LBB42_1282:
	s_or_b64 exec, exec, s[6:7]
	s_and_saveexec_b64 s[6:7], s[4:5]
	s_cbranch_execz .LBB42_1284
.LBB42_1283:
	v_and_b32_e32 v20, 7, v14
	v_ffbh_u32_e32 v22, v20
	v_min_u32_e32 v22, 32, v22
	v_lshrrev_b16_e32 v21, 3, v14
	v_subrev_u32_e32 v23, 28, v22
	v_and_b32_e32 v21, 15, v21
	v_lshlrev_b32_e32 v23, v23, v14
	v_sub_u32_e32 v22, 29, v22
	v_and_b32_e32 v23, 7, v23
	v_cmp_eq_u16_e32 vcc, 0, v21
	v_cndmask_b32_e32 v20, v20, v23, vcc
	v_cndmask_b32_e32 v21, v21, v22, vcc
	v_lshlrev_b32_e32 v22, 24, v14
	v_mov_b32_e32 v23, 0x3b800000
	v_lshlrev_b32_e32 v20, 20, v20
	v_and_b32_e32 v22, 0x80000000, v22
	v_lshl_add_u32 v21, v21, 23, v23
	v_or3_b32 v20, v22, v21, v20
.LBB42_1284:
	s_or_b64 exec, exec, s[6:7]
	s_movk_i32 s4, 0x7f
	v_cmp_gt_i16_sdwa s[6:7], v10, s4 src0_sel:BYTE_0 src1_sel:DWORD
	s_mov_b64 s[4:5], 0
                                        ; implicit-def: $sgpr10
	s_and_saveexec_b64 s[8:9], s[6:7]
	s_xor_b64 s[6:7], exec, s[8:9]
	s_cbranch_execnz .LBB42_3333
; %bb.1285:
	s_or_saveexec_b64 s[6:7], s[6:7]
	v_mov_b32_e32 v21, s10
	s_xor_b64 exec, exec, s[6:7]
	s_cbranch_execnz .LBB42_3336
.LBB42_1286:
	s_or_b64 exec, exec, s[6:7]
	s_and_saveexec_b64 s[6:7], s[4:5]
	s_cbranch_execz .LBB42_1288
.LBB42_1287:
	v_and_b32_e32 v21, 7, v10
	v_ffbh_u32_e32 v23, v21
	v_min_u32_e32 v23, 32, v23
	v_lshrrev_b16_e32 v22, 3, v10
	v_subrev_u32_e32 v24, 28, v23
	v_and_b32_e32 v22, 15, v22
	v_lshlrev_b32_e32 v24, v24, v10
	v_sub_u32_e32 v23, 29, v23
	v_and_b32_e32 v24, 7, v24
	v_cmp_eq_u16_e32 vcc, 0, v22
	v_cndmask_b32_e32 v21, v21, v24, vcc
	v_cndmask_b32_e32 v22, v22, v23, vcc
	v_lshlrev_b32_e32 v23, 24, v10
	v_mov_b32_e32 v24, 0x3b800000
	v_lshlrev_b32_e32 v21, 20, v21
	v_and_b32_e32 v23, 0x80000000, v23
	v_lshl_add_u32 v22, v22, 23, v24
	v_or3_b32 v21, v23, v22, v21
.LBB42_1288:
	s_or_b64 exec, exec, s[6:7]
	flat_load_dwordx4 a[0:3], v[18:19] offset:848
	s_movk_i32 s4, 0x7f
                                        ; implicit-def: $sgpr10
	s_waitcnt vmcnt(0) lgkmcnt(0)
	v_mfma_f32_16x16x4f32 a[0:3], v20, v21, a[0:3]
	v_lshrrev_b32_e32 v21, 8, v14
	v_cmp_gt_i16_sdwa s[6:7], v21, s4 src0_sel:BYTE_0 src1_sel:DWORD
	s_mov_b64 s[4:5], 0
	s_and_saveexec_b64 s[8:9], s[6:7]
	s_xor_b64 s[6:7], exec, s[8:9]
	s_cbranch_execnz .LBB42_3337
; %bb.1289:
	s_or_saveexec_b64 s[6:7], s[6:7]
	v_mov_b32_e32 v20, s10
	s_xor_b64 exec, exec, s[6:7]
	s_cbranch_execnz .LBB42_3340
.LBB42_1290:
	s_or_b64 exec, exec, s[6:7]
	s_and_saveexec_b64 s[6:7], s[4:5]
	s_cbranch_execz .LBB42_1292
.LBB42_1291:
	v_bfe_u32 v20, v14, 8, 3
	v_ffbh_u32_e32 v23, v20
	v_min_u32_e32 v23, 32, v23
	v_lshrrev_b16_e32 v22, 3, v21
	v_subrev_u32_e32 v24, 28, v23
	v_and_b32_e32 v22, 15, v22
	v_lshlrev_b32_e32 v21, v24, v21
	v_sub_u32_e32 v23, 29, v23
	v_and_b32_e32 v21, 7, v21
	v_cmp_eq_u16_e32 vcc, 0, v22
	v_cndmask_b32_e32 v20, v20, v21, vcc
	v_cndmask_b32_e32 v21, v22, v23, vcc
	v_lshlrev_b32_e32 v22, 16, v14
	v_mov_b32_e32 v23, 0x3b800000
	v_lshlrev_b32_e32 v20, 20, v20
	v_and_b32_e32 v22, 0x80000000, v22
	v_lshl_add_u32 v21, v21, 23, v23
	v_or3_b32 v20, v22, v21, v20
.LBB42_1292:
	s_or_b64 exec, exec, s[6:7]
	v_lshrrev_b32_e32 v21, 8, v10
	s_movk_i32 s4, 0x7f
	v_cmp_gt_i16_sdwa s[6:7], v21, s4 src0_sel:BYTE_0 src1_sel:DWORD
	s_mov_b64 s[4:5], 0
                                        ; implicit-def: $sgpr10
	s_and_saveexec_b64 s[8:9], s[6:7]
	s_xor_b64 s[6:7], exec, s[8:9]
	s_cbranch_execnz .LBB42_3341
; %bb.1293:
	s_or_saveexec_b64 s[6:7], s[6:7]
	v_mov_b32_e32 v22, s10
	s_xor_b64 exec, exec, s[6:7]
	s_cbranch_execnz .LBB42_3344
.LBB42_1294:
	s_or_b64 exec, exec, s[6:7]
	s_and_saveexec_b64 s[6:7], s[4:5]
	s_cbranch_execz .LBB42_1296
.LBB42_1295:
	v_bfe_u32 v22, v10, 8, 3
	v_ffbh_u32_e32 v24, v22
	v_min_u32_e32 v24, 32, v24
	v_lshrrev_b16_e32 v23, 3, v21
	v_subrev_u32_e32 v25, 28, v24
	v_and_b32_e32 v23, 15, v23
	v_lshlrev_b32_e32 v21, v25, v21
	v_sub_u32_e32 v24, 29, v24
	v_and_b32_e32 v21, 7, v21
	v_cmp_eq_u16_e32 vcc, 0, v23
	v_cndmask_b32_e32 v21, v22, v21, vcc
	v_cndmask_b32_e32 v22, v23, v24, vcc
	v_lshlrev_b32_e32 v23, 16, v10
	v_mov_b32_e32 v24, 0x3b800000
	v_lshlrev_b32_e32 v21, 20, v21
	v_and_b32_e32 v23, 0x80000000, v23
	v_lshl_add_u32 v22, v22, 23, v24
	v_or3_b32 v22, v23, v22, v21
.LBB42_1296:
	s_or_b64 exec, exec, s[6:7]
	s_nop 0
	v_mfma_f32_16x16x4f32 a[0:3], v20, v22, a[0:3]
	s_movk_i32 s4, 0xff
	v_and_b32_sdwa v21, v14, s4 dst_sel:DWORD dst_unused:UNUSED_PAD src0_sel:WORD_1 src1_sel:DWORD
	s_movk_i32 s4, 0x7f
	v_cmp_lt_i16_e32 vcc, s4, v21
	s_mov_b64 s[4:5], 0
                                        ; implicit-def: $sgpr10
	s_and_saveexec_b64 s[6:7], vcc
	s_xor_b64 s[6:7], exec, s[6:7]
	s_cbranch_execnz .LBB42_3345
; %bb.1297:
	s_or_saveexec_b64 s[6:7], s[6:7]
	v_mov_b32_e32 v20, s10
	s_xor_b64 exec, exec, s[6:7]
	s_cbranch_execnz .LBB42_3348
.LBB42_1298:
	s_or_b64 exec, exec, s[6:7]
	s_and_saveexec_b64 s[6:7], s[4:5]
	s_cbranch_execz .LBB42_1300
.LBB42_1299:
	v_bfe_u32 v20, v14, 16, 3
	v_ffbh_u32_e32 v23, v20
	v_min_u32_e32 v23, 32, v23
	v_lshrrev_b32_e32 v21, 19, v14
	v_subrev_u32_e32 v24, 28, v23
	v_and_b32_e32 v21, 15, v21
	v_lshlrev_b32_sdwa v24, v24, v14 dst_sel:DWORD dst_unused:UNUSED_PAD src0_sel:DWORD src1_sel:WORD_1
	v_bfe_u32 v22, v14, 19, 4
	v_sub_u32_e32 v23, 29, v23
	v_and_b32_e32 v24, 7, v24
	v_cmp_eq_u16_e32 vcc, 0, v21
	v_cndmask_b32_e32 v20, v20, v24, vcc
	v_cndmask_b32_e32 v21, v22, v23, vcc
	v_lshlrev_b32_e32 v22, 8, v14
	v_mov_b32_e32 v23, 0x3b800000
	v_lshlrev_b32_e32 v20, 20, v20
	v_and_b32_e32 v22, 0x80000000, v22
	v_lshl_add_u32 v21, v21, 23, v23
	v_or3_b32 v20, v22, v21, v20
.LBB42_1300:
	s_or_b64 exec, exec, s[6:7]
	s_movk_i32 s4, 0xff
	v_and_b32_sdwa v21, v10, s4 dst_sel:DWORD dst_unused:UNUSED_PAD src0_sel:WORD_1 src1_sel:DWORD
	s_movk_i32 s4, 0x7f
	v_cmp_lt_i16_e32 vcc, s4, v21
	s_mov_b64 s[4:5], 0
                                        ; implicit-def: $sgpr10
	s_and_saveexec_b64 s[6:7], vcc
	s_xor_b64 s[6:7], exec, s[6:7]
	s_cbranch_execnz .LBB42_3349
; %bb.1301:
	s_or_saveexec_b64 s[6:7], s[6:7]
	v_mov_b32_e32 v22, s10
	s_xor_b64 exec, exec, s[6:7]
	s_cbranch_execnz .LBB42_3352
.LBB42_1302:
	s_or_b64 exec, exec, s[6:7]
	s_and_saveexec_b64 s[6:7], s[4:5]
	s_cbranch_execz .LBB42_1304
.LBB42_1303:
	v_bfe_u32 v21, v10, 16, 3
	v_ffbh_u32_e32 v24, v21
	v_min_u32_e32 v24, 32, v24
	v_lshrrev_b32_e32 v22, 19, v10
	v_subrev_u32_e32 v25, 28, v24
	v_and_b32_e32 v22, 15, v22
	v_lshlrev_b32_sdwa v25, v25, v10 dst_sel:DWORD dst_unused:UNUSED_PAD src0_sel:DWORD src1_sel:WORD_1
	v_bfe_u32 v23, v10, 19, 4
	v_sub_u32_e32 v24, 29, v24
	v_and_b32_e32 v25, 7, v25
	v_cmp_eq_u16_e32 vcc, 0, v22
	v_cndmask_b32_e32 v21, v21, v25, vcc
	v_cndmask_b32_e32 v22, v23, v24, vcc
	v_lshlrev_b32_e32 v23, 8, v10
	v_mov_b32_e32 v24, 0x3b800000
	v_lshlrev_b32_e32 v21, 20, v21
	v_and_b32_e32 v23, 0x80000000, v23
	v_lshl_add_u32 v22, v22, 23, v24
	v_or3_b32 v22, v23, v22, v21
.LBB42_1304:
	s_or_b64 exec, exec, s[6:7]
	s_nop 0
	v_mfma_f32_16x16x4f32 a[0:3], v20, v22, a[0:3]
	s_movk_i32 s4, 0x7f
	v_cmp_gt_i16_sdwa s[6:7], v14, s4 src0_sel:BYTE_3 src1_sel:DWORD
	s_mov_b64 s[4:5], 0
                                        ; implicit-def: $sgpr10
	s_and_saveexec_b64 s[8:9], s[6:7]
	s_xor_b64 s[6:7], exec, s[8:9]
	s_cbranch_execnz .LBB42_3353
; %bb.1305:
	s_or_saveexec_b64 s[6:7], s[6:7]
	v_mov_b32_e32 v20, s10
	s_xor_b64 exec, exec, s[6:7]
	s_cbranch_execnz .LBB42_3356
.LBB42_1306:
	s_or_b64 exec, exec, s[6:7]
	s_and_saveexec_b64 s[6:7], s[4:5]
	s_cbranch_execz .LBB42_1308
.LBB42_1307:
	v_bfe_u32 v20, v14, 24, 3
	v_ffbh_u32_e32 v24, v20
	v_min_u32_e32 v24, 32, v24
	v_lshrrev_b32_e32 v22, 27, v14
	v_subrev_u32_e32 v25, 28, v24
	v_and_b32_e32 v21, 0x80000000, v14
	v_and_b32_e32 v22, 15, v22
	v_bfe_u32 v23, v14, 27, 4
	v_lshlrev_b32_sdwa v14, v25, v14 dst_sel:DWORD dst_unused:UNUSED_PAD src0_sel:DWORD src1_sel:BYTE_3
	v_sub_u32_e32 v24, 29, v24
	v_and_b32_e32 v14, 7, v14
	v_cmp_eq_u16_e32 vcc, 0, v22
	v_cndmask_b32_e32 v14, v20, v14, vcc
	v_cndmask_b32_e32 v20, v23, v24, vcc
	v_mov_b32_e32 v22, 0x3b800000
	v_lshlrev_b32_e32 v14, 20, v14
	v_lshl_add_u32 v20, v20, 23, v22
	v_or3_b32 v20, v21, v20, v14
.LBB42_1308:
	s_or_b64 exec, exec, s[6:7]
	s_movk_i32 s4, 0x7f
	v_cmp_gt_i16_sdwa s[6:7], v10, s4 src0_sel:BYTE_3 src1_sel:DWORD
	s_mov_b64 s[4:5], 0
                                        ; implicit-def: $sgpr10
	s_and_saveexec_b64 s[8:9], s[6:7]
	s_xor_b64 s[6:7], exec, s[8:9]
	s_cbranch_execnz .LBB42_3357
; %bb.1309:
	s_or_saveexec_b64 s[6:7], s[6:7]
	v_mov_b32_e32 v14, s10
	s_xor_b64 exec, exec, s[6:7]
	s_cbranch_execnz .LBB42_3360
.LBB42_1310:
	s_or_b64 exec, exec, s[6:7]
	s_and_saveexec_b64 s[6:7], s[4:5]
	s_cbranch_execz .LBB42_1312
.LBB42_1311:
	v_bfe_u32 v14, v10, 24, 3
	v_ffbh_u32_e32 v24, v14
	v_min_u32_e32 v24, 32, v24
	v_lshrrev_b32_e32 v22, 27, v10
	v_subrev_u32_e32 v25, 28, v24
	v_and_b32_e32 v21, 0x80000000, v10
	v_and_b32_e32 v22, 15, v22
	v_bfe_u32 v23, v10, 27, 4
	v_lshlrev_b32_sdwa v10, v25, v10 dst_sel:DWORD dst_unused:UNUSED_PAD src0_sel:DWORD src1_sel:BYTE_3
	v_sub_u32_e32 v24, 29, v24
	v_and_b32_e32 v10, 7, v10
	v_cmp_eq_u16_e32 vcc, 0, v22
	v_cndmask_b32_e32 v10, v14, v10, vcc
	v_cndmask_b32_e32 v14, v23, v24, vcc
	v_mov_b32_e32 v22, 0x3b800000
	v_lshlrev_b32_e32 v10, 20, v10
	v_lshl_add_u32 v14, v14, 23, v22
	v_or3_b32 v14, v21, v14, v10
.LBB42_1312:
	s_or_b64 exec, exec, s[6:7]
	s_nop 0
	v_mfma_f32_16x16x4f32 a[0:3], v20, v14, a[0:3]
	s_movk_i32 s4, 0x7f
	v_cmp_gt_i16_sdwa s[6:7], v15, s4 src0_sel:BYTE_0 src1_sel:DWORD
	s_mov_b64 s[4:5], 0
                                        ; implicit-def: $sgpr10
	s_and_saveexec_b64 s[8:9], s[6:7]
	s_xor_b64 s[6:7], exec, s[8:9]
	s_cbranch_execnz .LBB42_3361
; %bb.1313:
	s_or_saveexec_b64 s[6:7], s[6:7]
	v_mov_b32_e32 v10, s10
	s_xor_b64 exec, exec, s[6:7]
	s_cbranch_execnz .LBB42_3364
.LBB42_1314:
	s_or_b64 exec, exec, s[6:7]
	s_and_saveexec_b64 s[6:7], s[4:5]
	s_cbranch_execz .LBB42_1316
.LBB42_1315:
	v_and_b32_e32 v10, 7, v15
	v_ffbh_u32_e32 v20, v10
	v_min_u32_e32 v20, 32, v20
	v_lshrrev_b16_e32 v14, 3, v15
	v_subrev_u32_e32 v21, 28, v20
	v_and_b32_e32 v14, 15, v14
	v_lshlrev_b32_e32 v21, v21, v15
	v_sub_u32_e32 v20, 29, v20
	v_and_b32_e32 v21, 7, v21
	v_cmp_eq_u16_e32 vcc, 0, v14
	v_cndmask_b32_e32 v10, v10, v21, vcc
	v_cndmask_b32_e32 v14, v14, v20, vcc
	v_lshlrev_b32_e32 v20, 24, v15
	v_mov_b32_e32 v21, 0x3b800000
	v_lshlrev_b32_e32 v10, 20, v10
	v_and_b32_e32 v20, 0x80000000, v20
	v_lshl_add_u32 v14, v14, 23, v21
	v_or3_b32 v10, v20, v14, v10
.LBB42_1316:
	s_or_b64 exec, exec, s[6:7]
	s_movk_i32 s4, 0x7f
	v_cmp_gt_i16_sdwa s[6:7], v11, s4 src0_sel:BYTE_0 src1_sel:DWORD
	s_mov_b64 s[4:5], 0
                                        ; implicit-def: $sgpr10
	s_and_saveexec_b64 s[8:9], s[6:7]
	s_xor_b64 s[6:7], exec, s[8:9]
	s_cbranch_execnz .LBB42_3365
; %bb.1317:
	s_or_saveexec_b64 s[6:7], s[6:7]
	v_mov_b32_e32 v14, s10
	s_xor_b64 exec, exec, s[6:7]
	s_cbranch_execnz .LBB42_3368
.LBB42_1318:
	s_or_b64 exec, exec, s[6:7]
	s_and_saveexec_b64 s[6:7], s[4:5]
	s_cbranch_execz .LBB42_1320
.LBB42_1319:
	v_and_b32_e32 v14, 7, v11
	v_ffbh_u32_e32 v21, v14
	v_min_u32_e32 v21, 32, v21
	v_lshrrev_b16_e32 v20, 3, v11
	v_subrev_u32_e32 v22, 28, v21
	v_and_b32_e32 v20, 15, v20
	v_lshlrev_b32_e32 v22, v22, v11
	v_sub_u32_e32 v21, 29, v21
	v_and_b32_e32 v22, 7, v22
	v_cmp_eq_u16_e32 vcc, 0, v20
	v_cndmask_b32_e32 v14, v14, v22, vcc
	v_cndmask_b32_e32 v20, v20, v21, vcc
	v_lshlrev_b32_e32 v21, 24, v11
	v_mov_b32_e32 v22, 0x3b800000
	v_lshlrev_b32_e32 v14, 20, v14
	v_and_b32_e32 v21, 0x80000000, v21
	v_lshl_add_u32 v20, v20, 23, v22
	v_or3_b32 v14, v21, v20, v14
.LBB42_1320:
	s_or_b64 exec, exec, s[6:7]
	s_nop 0
	v_mfma_f32_16x16x4f32 a[0:3], v10, v14, a[0:3]
	v_lshrrev_b32_e32 v14, 8, v15
	s_movk_i32 s4, 0x7f
	v_cmp_gt_i16_sdwa s[6:7], v14, s4 src0_sel:BYTE_0 src1_sel:DWORD
	s_mov_b64 s[4:5], 0
                                        ; implicit-def: $sgpr10
	s_and_saveexec_b64 s[8:9], s[6:7]
	s_xor_b64 s[6:7], exec, s[8:9]
	s_cbranch_execnz .LBB42_3369
; %bb.1321:
	s_or_saveexec_b64 s[6:7], s[6:7]
	v_mov_b32_e32 v10, s10
	s_xor_b64 exec, exec, s[6:7]
	s_cbranch_execnz .LBB42_3372
.LBB42_1322:
	s_or_b64 exec, exec, s[6:7]
	s_and_saveexec_b64 s[6:7], s[4:5]
	s_cbranch_execz .LBB42_1324
.LBB42_1323:
	v_bfe_u32 v10, v15, 8, 3
	v_ffbh_u32_e32 v21, v10
	v_min_u32_e32 v21, 32, v21
	v_lshrrev_b16_e32 v20, 3, v14
	v_subrev_u32_e32 v22, 28, v21
	v_and_b32_e32 v20, 15, v20
	v_lshlrev_b32_e32 v14, v22, v14
	v_sub_u32_e32 v21, 29, v21
	v_and_b32_e32 v14, 7, v14
	v_cmp_eq_u16_e32 vcc, 0, v20
	v_cndmask_b32_e32 v10, v10, v14, vcc
	v_cndmask_b32_e32 v14, v20, v21, vcc
	v_lshlrev_b32_e32 v20, 16, v15
	v_mov_b32_e32 v21, 0x3b800000
	v_lshlrev_b32_e32 v10, 20, v10
	v_and_b32_e32 v20, 0x80000000, v20
	v_lshl_add_u32 v14, v14, 23, v21
	v_or3_b32 v10, v20, v14, v10
.LBB42_1324:
	s_or_b64 exec, exec, s[6:7]
	v_lshrrev_b32_e32 v14, 8, v11
	s_movk_i32 s4, 0x7f
	v_cmp_gt_i16_sdwa s[6:7], v14, s4 src0_sel:BYTE_0 src1_sel:DWORD
	s_mov_b64 s[4:5], 0
                                        ; implicit-def: $sgpr10
	s_and_saveexec_b64 s[8:9], s[6:7]
	s_xor_b64 s[6:7], exec, s[8:9]
	s_cbranch_execnz .LBB42_3373
; %bb.1325:
	s_or_saveexec_b64 s[6:7], s[6:7]
	v_mov_b32_e32 v20, s10
	s_xor_b64 exec, exec, s[6:7]
	s_cbranch_execnz .LBB42_3376
.LBB42_1326:
	s_or_b64 exec, exec, s[6:7]
	s_and_saveexec_b64 s[6:7], s[4:5]
	s_cbranch_execz .LBB42_1328
.LBB42_1327:
	v_bfe_u32 v20, v11, 8, 3
	v_ffbh_u32_e32 v22, v20
	v_min_u32_e32 v22, 32, v22
	v_lshrrev_b16_e32 v21, 3, v14
	v_subrev_u32_e32 v23, 28, v22
	v_and_b32_e32 v21, 15, v21
	v_lshlrev_b32_e32 v14, v23, v14
	v_sub_u32_e32 v22, 29, v22
	v_and_b32_e32 v14, 7, v14
	v_cmp_eq_u16_e32 vcc, 0, v21
	v_cndmask_b32_e32 v14, v20, v14, vcc
	v_cndmask_b32_e32 v20, v21, v22, vcc
	v_lshlrev_b32_e32 v21, 16, v11
	v_mov_b32_e32 v22, 0x3b800000
	v_lshlrev_b32_e32 v14, 20, v14
	v_and_b32_e32 v21, 0x80000000, v21
	v_lshl_add_u32 v20, v20, 23, v22
	v_or3_b32 v20, v21, v20, v14
.LBB42_1328:
	s_or_b64 exec, exec, s[6:7]
	s_nop 0
	v_mfma_f32_16x16x4f32 a[0:3], v10, v20, a[0:3]
	s_movk_i32 s4, 0xff
	v_and_b32_sdwa v14, v15, s4 dst_sel:DWORD dst_unused:UNUSED_PAD src0_sel:WORD_1 src1_sel:DWORD
	s_movk_i32 s4, 0x7f
	v_cmp_lt_i16_e32 vcc, s4, v14
	s_mov_b64 s[4:5], 0
                                        ; implicit-def: $sgpr10
	s_and_saveexec_b64 s[6:7], vcc
	s_xor_b64 s[6:7], exec, s[6:7]
	s_cbranch_execnz .LBB42_3377
; %bb.1329:
	s_or_saveexec_b64 s[6:7], s[6:7]
	v_mov_b32_e32 v10, s10
	s_xor_b64 exec, exec, s[6:7]
	s_cbranch_execnz .LBB42_3380
.LBB42_1330:
	s_or_b64 exec, exec, s[6:7]
	s_and_saveexec_b64 s[6:7], s[4:5]
	s_cbranch_execz .LBB42_1332
.LBB42_1331:
	v_bfe_u32 v10, v15, 16, 3
	v_ffbh_u32_e32 v21, v10
	v_min_u32_e32 v21, 32, v21
	v_lshrrev_b32_e32 v14, 19, v15
	v_subrev_u32_e32 v22, 28, v21
	v_and_b32_e32 v14, 15, v14
	v_lshlrev_b32_sdwa v22, v22, v15 dst_sel:DWORD dst_unused:UNUSED_PAD src0_sel:DWORD src1_sel:WORD_1
	v_bfe_u32 v20, v15, 19, 4
	v_sub_u32_e32 v21, 29, v21
	v_and_b32_e32 v22, 7, v22
	v_cmp_eq_u16_e32 vcc, 0, v14
	v_cndmask_b32_e32 v10, v10, v22, vcc
	v_cndmask_b32_e32 v14, v20, v21, vcc
	v_lshlrev_b32_e32 v20, 8, v15
	v_mov_b32_e32 v21, 0x3b800000
	v_lshlrev_b32_e32 v10, 20, v10
	v_and_b32_e32 v20, 0x80000000, v20
	v_lshl_add_u32 v14, v14, 23, v21
	v_or3_b32 v10, v20, v14, v10
.LBB42_1332:
	s_or_b64 exec, exec, s[6:7]
	s_movk_i32 s4, 0xff
	v_and_b32_sdwa v14, v11, s4 dst_sel:DWORD dst_unused:UNUSED_PAD src0_sel:WORD_1 src1_sel:DWORD
	s_movk_i32 s4, 0x7f
	v_cmp_lt_i16_e32 vcc, s4, v14
	s_mov_b64 s[4:5], 0
                                        ; implicit-def: $sgpr10
	s_and_saveexec_b64 s[6:7], vcc
	s_xor_b64 s[6:7], exec, s[6:7]
	s_cbranch_execnz .LBB42_3381
; %bb.1333:
	s_or_saveexec_b64 s[6:7], s[6:7]
	v_mov_b32_e32 v20, s10
	s_xor_b64 exec, exec, s[6:7]
	s_cbranch_execnz .LBB42_3384
.LBB42_1334:
	s_or_b64 exec, exec, s[6:7]
	s_and_saveexec_b64 s[6:7], s[4:5]
	s_cbranch_execz .LBB42_1336
.LBB42_1335:
	v_bfe_u32 v14, v11, 16, 3
	v_ffbh_u32_e32 v22, v14
	v_min_u32_e32 v22, 32, v22
	v_lshrrev_b32_e32 v20, 19, v11
	v_subrev_u32_e32 v23, 28, v22
	v_and_b32_e32 v20, 15, v20
	v_lshlrev_b32_sdwa v23, v23, v11 dst_sel:DWORD dst_unused:UNUSED_PAD src0_sel:DWORD src1_sel:WORD_1
	v_bfe_u32 v21, v11, 19, 4
	v_sub_u32_e32 v22, 29, v22
	v_and_b32_e32 v23, 7, v23
	v_cmp_eq_u16_e32 vcc, 0, v20
	v_cndmask_b32_e32 v14, v14, v23, vcc
	v_cndmask_b32_e32 v20, v21, v22, vcc
	v_lshlrev_b32_e32 v21, 8, v11
	v_mov_b32_e32 v22, 0x3b800000
	v_lshlrev_b32_e32 v14, 20, v14
	v_and_b32_e32 v21, 0x80000000, v21
	v_lshl_add_u32 v20, v20, 23, v22
	v_or3_b32 v20, v21, v20, v14
.LBB42_1336:
	s_or_b64 exec, exec, s[6:7]
	s_nop 0
	v_mfma_f32_16x16x4f32 a[0:3], v10, v20, a[0:3]
	s_movk_i32 s4, 0x7f
	v_cmp_gt_i16_sdwa s[6:7], v15, s4 src0_sel:BYTE_3 src1_sel:DWORD
	s_mov_b64 s[4:5], 0
                                        ; implicit-def: $sgpr10
	s_and_saveexec_b64 s[8:9], s[6:7]
	s_xor_b64 s[6:7], exec, s[8:9]
	s_cbranch_execnz .LBB42_3385
; %bb.1337:
	s_or_saveexec_b64 s[6:7], s[6:7]
	v_mov_b32_e32 v10, s10
	s_xor_b64 exec, exec, s[6:7]
	s_cbranch_execnz .LBB42_3388
.LBB42_1338:
	s_or_b64 exec, exec, s[6:7]
	s_and_saveexec_b64 s[6:7], s[4:5]
	s_cbranch_execz .LBB42_1340
.LBB42_1339:
	v_bfe_u32 v10, v15, 24, 3
	v_ffbh_u32_e32 v22, v10
	v_min_u32_e32 v22, 32, v22
	v_lshrrev_b32_e32 v20, 27, v15
	v_subrev_u32_e32 v23, 28, v22
	v_and_b32_e32 v14, 0x80000000, v15
	v_and_b32_e32 v20, 15, v20
	v_bfe_u32 v21, v15, 27, 4
	v_lshlrev_b32_sdwa v15, v23, v15 dst_sel:DWORD dst_unused:UNUSED_PAD src0_sel:DWORD src1_sel:BYTE_3
	v_sub_u32_e32 v22, 29, v22
	v_and_b32_e32 v15, 7, v15
	v_cmp_eq_u16_e32 vcc, 0, v20
	v_cndmask_b32_e32 v10, v10, v15, vcc
	v_cndmask_b32_e32 v15, v21, v22, vcc
	v_mov_b32_e32 v20, 0x3b800000
	v_lshlrev_b32_e32 v10, 20, v10
	v_lshl_add_u32 v15, v15, 23, v20
	v_or3_b32 v10, v14, v15, v10
.LBB42_1340:
	s_or_b64 exec, exec, s[6:7]
	s_movk_i32 s4, 0x7f
	v_cmp_gt_i16_sdwa s[6:7], v11, s4 src0_sel:BYTE_3 src1_sel:DWORD
	s_mov_b64 s[4:5], 0
                                        ; implicit-def: $sgpr10
	s_and_saveexec_b64 s[8:9], s[6:7]
	s_xor_b64 s[6:7], exec, s[8:9]
	s_cbranch_execnz .LBB42_3389
; %bb.1341:
	s_or_saveexec_b64 s[6:7], s[6:7]
	v_mov_b32_e32 v14, s10
	s_xor_b64 exec, exec, s[6:7]
	s_cbranch_execnz .LBB42_3392
.LBB42_1342:
	s_or_b64 exec, exec, s[6:7]
	s_and_saveexec_b64 s[6:7], s[4:5]
	s_cbranch_execz .LBB42_1344
.LBB42_1343:
	v_bfe_u32 v14, v11, 24, 3
	v_ffbh_u32_e32 v22, v14
	v_min_u32_e32 v22, 32, v22
	v_lshrrev_b32_e32 v20, 27, v11
	v_subrev_u32_e32 v23, 28, v22
	v_and_b32_e32 v15, 0x80000000, v11
	v_and_b32_e32 v20, 15, v20
	v_bfe_u32 v21, v11, 27, 4
	v_lshlrev_b32_sdwa v11, v23, v11 dst_sel:DWORD dst_unused:UNUSED_PAD src0_sel:DWORD src1_sel:BYTE_3
	v_sub_u32_e32 v22, 29, v22
	v_and_b32_e32 v11, 7, v11
	v_cmp_eq_u16_e32 vcc, 0, v20
	v_cndmask_b32_e32 v11, v14, v11, vcc
	v_cndmask_b32_e32 v14, v21, v22, vcc
	v_mov_b32_e32 v20, 0x3b800000
	v_lshlrev_b32_e32 v11, 20, v11
	v_lshl_add_u32 v14, v14, 23, v20
	v_or3_b32 v14, v15, v14, v11
.LBB42_1344:
	s_or_b64 exec, exec, s[6:7]
	s_nop 0
	v_mfma_f32_16x16x4f32 a[0:3], v10, v14, a[0:3]
	s_movk_i32 s4, 0x7f
	v_cmp_gt_i16_sdwa s[6:7], v16, s4 src0_sel:BYTE_0 src1_sel:DWORD
	s_mov_b64 s[4:5], 0
                                        ; implicit-def: $sgpr10
	s_and_saveexec_b64 s[8:9], s[6:7]
	s_xor_b64 s[6:7], exec, s[8:9]
	s_cbranch_execnz .LBB42_3393
; %bb.1345:
	s_or_saveexec_b64 s[6:7], s[6:7]
	v_mov_b32_e32 v10, s10
	s_xor_b64 exec, exec, s[6:7]
	s_cbranch_execnz .LBB42_3396
.LBB42_1346:
	s_or_b64 exec, exec, s[6:7]
	s_and_saveexec_b64 s[6:7], s[4:5]
	s_cbranch_execz .LBB42_1348
.LBB42_1347:
	v_and_b32_e32 v10, 7, v16
	v_ffbh_u32_e32 v14, v10
	v_min_u32_e32 v14, 32, v14
	v_lshrrev_b16_e32 v11, 3, v16
	v_subrev_u32_e32 v15, 28, v14
	v_and_b32_e32 v11, 15, v11
	v_lshlrev_b32_e32 v15, v15, v16
	v_sub_u32_e32 v14, 29, v14
	v_and_b32_e32 v15, 7, v15
	v_cmp_eq_u16_e32 vcc, 0, v11
	v_cndmask_b32_e32 v10, v10, v15, vcc
	v_cndmask_b32_e32 v11, v11, v14, vcc
	v_lshlrev_b32_e32 v14, 24, v16
	v_mov_b32_e32 v15, 0x3b800000
	v_lshlrev_b32_e32 v10, 20, v10
	v_and_b32_e32 v14, 0x80000000, v14
	v_lshl_add_u32 v11, v11, 23, v15
	v_or3_b32 v10, v14, v11, v10
.LBB42_1348:
	s_or_b64 exec, exec, s[6:7]
	s_movk_i32 s4, 0x7f
	v_cmp_gt_i16_sdwa s[6:7], v12, s4 src0_sel:BYTE_0 src1_sel:DWORD
	s_mov_b64 s[4:5], 0
                                        ; implicit-def: $sgpr10
	s_and_saveexec_b64 s[8:9], s[6:7]
	s_xor_b64 s[6:7], exec, s[8:9]
	s_cbranch_execnz .LBB42_3397
; %bb.1349:
	s_or_saveexec_b64 s[6:7], s[6:7]
	v_mov_b32_e32 v11, s10
	s_xor_b64 exec, exec, s[6:7]
	s_cbranch_execnz .LBB42_3400
.LBB42_1350:
	s_or_b64 exec, exec, s[6:7]
	s_and_saveexec_b64 s[6:7], s[4:5]
	s_cbranch_execz .LBB42_1352
.LBB42_1351:
	v_and_b32_e32 v11, 7, v12
	v_ffbh_u32_e32 v15, v11
	v_min_u32_e32 v15, 32, v15
	v_lshrrev_b16_e32 v14, 3, v12
	v_subrev_u32_e32 v20, 28, v15
	v_and_b32_e32 v14, 15, v14
	v_lshlrev_b32_e32 v20, v20, v12
	v_sub_u32_e32 v15, 29, v15
	v_and_b32_e32 v20, 7, v20
	v_cmp_eq_u16_e32 vcc, 0, v14
	v_cndmask_b32_e32 v11, v11, v20, vcc
	v_cndmask_b32_e32 v14, v14, v15, vcc
	v_lshlrev_b32_e32 v15, 24, v12
	v_mov_b32_e32 v20, 0x3b800000
	v_lshlrev_b32_e32 v11, 20, v11
	v_and_b32_e32 v15, 0x80000000, v15
	v_lshl_add_u32 v14, v14, 23, v20
	v_or3_b32 v11, v15, v14, v11
.LBB42_1352:
	s_or_b64 exec, exec, s[6:7]
	s_nop 0
	v_mfma_f32_16x16x4f32 a[0:3], v10, v11, a[0:3]
	v_lshrrev_b32_e32 v11, 8, v16
	s_movk_i32 s4, 0x7f
	v_cmp_gt_i16_sdwa s[6:7], v11, s4 src0_sel:BYTE_0 src1_sel:DWORD
	s_mov_b64 s[4:5], 0
                                        ; implicit-def: $sgpr10
	s_and_saveexec_b64 s[8:9], s[6:7]
	s_xor_b64 s[6:7], exec, s[8:9]
	s_cbranch_execnz .LBB42_3401
; %bb.1353:
	s_or_saveexec_b64 s[6:7], s[6:7]
	v_mov_b32_e32 v10, s10
	s_xor_b64 exec, exec, s[6:7]
	s_cbranch_execnz .LBB42_3404
.LBB42_1354:
	s_or_b64 exec, exec, s[6:7]
	s_and_saveexec_b64 s[6:7], s[4:5]
	s_cbranch_execz .LBB42_1356
.LBB42_1355:
	v_bfe_u32 v10, v16, 8, 3
	v_ffbh_u32_e32 v15, v10
	v_min_u32_e32 v15, 32, v15
	v_lshrrev_b16_e32 v14, 3, v11
	v_subrev_u32_e32 v20, 28, v15
	v_and_b32_e32 v14, 15, v14
	v_lshlrev_b32_e32 v11, v20, v11
	v_sub_u32_e32 v15, 29, v15
	v_and_b32_e32 v11, 7, v11
	v_cmp_eq_u16_e32 vcc, 0, v14
	v_cndmask_b32_e32 v10, v10, v11, vcc
	v_cndmask_b32_e32 v11, v14, v15, vcc
	v_lshlrev_b32_e32 v14, 16, v16
	v_mov_b32_e32 v15, 0x3b800000
	v_lshlrev_b32_e32 v10, 20, v10
	v_and_b32_e32 v14, 0x80000000, v14
	v_lshl_add_u32 v11, v11, 23, v15
	v_or3_b32 v10, v14, v11, v10
.LBB42_1356:
	s_or_b64 exec, exec, s[6:7]
	v_lshrrev_b32_e32 v11, 8, v12
	s_movk_i32 s4, 0x7f
	v_cmp_gt_i16_sdwa s[6:7], v11, s4 src0_sel:BYTE_0 src1_sel:DWORD
	s_mov_b64 s[4:5], 0
                                        ; implicit-def: $sgpr10
	s_and_saveexec_b64 s[8:9], s[6:7]
	s_xor_b64 s[6:7], exec, s[8:9]
	s_cbranch_execnz .LBB42_3405
; %bb.1357:
	s_or_saveexec_b64 s[6:7], s[6:7]
	v_mov_b32_e32 v14, s10
	s_xor_b64 exec, exec, s[6:7]
	s_cbranch_execnz .LBB42_3408
.LBB42_1358:
	s_or_b64 exec, exec, s[6:7]
	s_and_saveexec_b64 s[6:7], s[4:5]
	s_cbranch_execz .LBB42_1360
.LBB42_1359:
	v_bfe_u32 v14, v12, 8, 3
	v_ffbh_u32_e32 v20, v14
	v_min_u32_e32 v20, 32, v20
	v_lshrrev_b16_e32 v15, 3, v11
	v_subrev_u32_e32 v21, 28, v20
	v_and_b32_e32 v15, 15, v15
	v_lshlrev_b32_e32 v11, v21, v11
	v_sub_u32_e32 v20, 29, v20
	v_and_b32_e32 v11, 7, v11
	v_cmp_eq_u16_e32 vcc, 0, v15
	v_cndmask_b32_e32 v11, v14, v11, vcc
	v_cndmask_b32_e32 v14, v15, v20, vcc
	v_lshlrev_b32_e32 v15, 16, v12
	v_mov_b32_e32 v20, 0x3b800000
	v_lshlrev_b32_e32 v11, 20, v11
	v_and_b32_e32 v15, 0x80000000, v15
	v_lshl_add_u32 v14, v14, 23, v20
	v_or3_b32 v14, v15, v14, v11
.LBB42_1360:
	s_or_b64 exec, exec, s[6:7]
	s_nop 0
	v_mfma_f32_16x16x4f32 a[0:3], v10, v14, a[0:3]
	s_movk_i32 s4, 0xff
	v_and_b32_sdwa v11, v16, s4 dst_sel:DWORD dst_unused:UNUSED_PAD src0_sel:WORD_1 src1_sel:DWORD
	s_movk_i32 s4, 0x7f
	v_cmp_lt_i16_e32 vcc, s4, v11
	s_mov_b64 s[4:5], 0
                                        ; implicit-def: $sgpr10
	s_and_saveexec_b64 s[6:7], vcc
	s_xor_b64 s[6:7], exec, s[6:7]
	s_cbranch_execnz .LBB42_3409
; %bb.1361:
	s_or_saveexec_b64 s[6:7], s[6:7]
	v_mov_b32_e32 v10, s10
	s_xor_b64 exec, exec, s[6:7]
	s_cbranch_execnz .LBB42_3412
.LBB42_1362:
	s_or_b64 exec, exec, s[6:7]
	s_and_saveexec_b64 s[6:7], s[4:5]
	s_cbranch_execz .LBB42_1364
.LBB42_1363:
	v_bfe_u32 v10, v16, 16, 3
	v_ffbh_u32_e32 v15, v10
	v_min_u32_e32 v15, 32, v15
	v_lshrrev_b32_e32 v11, 19, v16
	v_subrev_u32_e32 v20, 28, v15
	v_and_b32_e32 v11, 15, v11
	v_lshlrev_b32_sdwa v20, v20, v16 dst_sel:DWORD dst_unused:UNUSED_PAD src0_sel:DWORD src1_sel:WORD_1
	v_bfe_u32 v14, v16, 19, 4
	v_sub_u32_e32 v15, 29, v15
	v_and_b32_e32 v20, 7, v20
	v_cmp_eq_u16_e32 vcc, 0, v11
	v_cndmask_b32_e32 v10, v10, v20, vcc
	v_cndmask_b32_e32 v11, v14, v15, vcc
	v_lshlrev_b32_e32 v14, 8, v16
	v_mov_b32_e32 v15, 0x3b800000
	v_lshlrev_b32_e32 v10, 20, v10
	v_and_b32_e32 v14, 0x80000000, v14
	v_lshl_add_u32 v11, v11, 23, v15
	v_or3_b32 v10, v14, v11, v10
.LBB42_1364:
	s_or_b64 exec, exec, s[6:7]
	s_movk_i32 s4, 0xff
	v_and_b32_sdwa v11, v12, s4 dst_sel:DWORD dst_unused:UNUSED_PAD src0_sel:WORD_1 src1_sel:DWORD
	s_movk_i32 s4, 0x7f
	v_cmp_lt_i16_e32 vcc, s4, v11
	s_mov_b64 s[4:5], 0
                                        ; implicit-def: $sgpr10
	s_and_saveexec_b64 s[6:7], vcc
	s_xor_b64 s[6:7], exec, s[6:7]
	s_cbranch_execnz .LBB42_3413
; %bb.1365:
	s_or_saveexec_b64 s[6:7], s[6:7]
	v_mov_b32_e32 v14, s10
	s_xor_b64 exec, exec, s[6:7]
	s_cbranch_execnz .LBB42_3416
.LBB42_1366:
	s_or_b64 exec, exec, s[6:7]
	s_and_saveexec_b64 s[6:7], s[4:5]
	s_cbranch_execz .LBB42_1368
.LBB42_1367:
	v_bfe_u32 v11, v12, 16, 3
	v_ffbh_u32_e32 v20, v11
	v_min_u32_e32 v20, 32, v20
	v_lshrrev_b32_e32 v14, 19, v12
	v_subrev_u32_e32 v21, 28, v20
	v_and_b32_e32 v14, 15, v14
	v_lshlrev_b32_sdwa v21, v21, v12 dst_sel:DWORD dst_unused:UNUSED_PAD src0_sel:DWORD src1_sel:WORD_1
	v_bfe_u32 v15, v12, 19, 4
	v_sub_u32_e32 v20, 29, v20
	v_and_b32_e32 v21, 7, v21
	v_cmp_eq_u16_e32 vcc, 0, v14
	v_cndmask_b32_e32 v11, v11, v21, vcc
	v_cndmask_b32_e32 v14, v15, v20, vcc
	v_lshlrev_b32_e32 v15, 8, v12
	v_mov_b32_e32 v20, 0x3b800000
	v_lshlrev_b32_e32 v11, 20, v11
	v_and_b32_e32 v15, 0x80000000, v15
	v_lshl_add_u32 v14, v14, 23, v20
	v_or3_b32 v14, v15, v14, v11
.LBB42_1368:
	s_or_b64 exec, exec, s[6:7]
	s_nop 0
	v_mfma_f32_16x16x4f32 a[0:3], v10, v14, a[0:3]
	s_movk_i32 s4, 0x7f
	v_cmp_gt_i16_sdwa s[6:7], v16, s4 src0_sel:BYTE_3 src1_sel:DWORD
	s_mov_b64 s[4:5], 0
                                        ; implicit-def: $sgpr10
	s_and_saveexec_b64 s[8:9], s[6:7]
	s_xor_b64 s[6:7], exec, s[8:9]
	s_cbranch_execnz .LBB42_3417
; %bb.1369:
	s_or_saveexec_b64 s[6:7], s[6:7]
	v_mov_b32_e32 v10, s10
	s_xor_b64 exec, exec, s[6:7]
	s_cbranch_execnz .LBB42_3420
.LBB42_1370:
	s_or_b64 exec, exec, s[6:7]
	s_and_saveexec_b64 s[6:7], s[4:5]
	s_cbranch_execz .LBB42_1372
.LBB42_1371:
	v_bfe_u32 v10, v16, 24, 3
	v_ffbh_u32_e32 v20, v10
	v_min_u32_e32 v20, 32, v20
	v_lshrrev_b32_e32 v14, 27, v16
	v_subrev_u32_e32 v21, 28, v20
	v_and_b32_e32 v11, 0x80000000, v16
	v_and_b32_e32 v14, 15, v14
	v_bfe_u32 v15, v16, 27, 4
	v_lshlrev_b32_sdwa v16, v21, v16 dst_sel:DWORD dst_unused:UNUSED_PAD src0_sel:DWORD src1_sel:BYTE_3
	v_sub_u32_e32 v20, 29, v20
	v_and_b32_e32 v16, 7, v16
	v_cmp_eq_u16_e32 vcc, 0, v14
	v_cndmask_b32_e32 v10, v10, v16, vcc
	v_cndmask_b32_e32 v14, v15, v20, vcc
	v_mov_b32_e32 v15, 0x3b800000
	v_lshlrev_b32_e32 v10, 20, v10
	v_lshl_add_u32 v14, v14, 23, v15
	v_or3_b32 v10, v11, v14, v10
.LBB42_1372:
	s_or_b64 exec, exec, s[6:7]
	s_movk_i32 s4, 0x7f
	v_cmp_gt_i16_sdwa s[6:7], v12, s4 src0_sel:BYTE_3 src1_sel:DWORD
	s_mov_b64 s[4:5], 0
                                        ; implicit-def: $sgpr10
	s_and_saveexec_b64 s[8:9], s[6:7]
	s_xor_b64 s[6:7], exec, s[8:9]
	s_cbranch_execnz .LBB42_3421
; %bb.1373:
	s_or_saveexec_b64 s[6:7], s[6:7]
	v_mov_b32_e32 v11, s10
	s_xor_b64 exec, exec, s[6:7]
	s_cbranch_execnz .LBB42_3424
.LBB42_1374:
	s_or_b64 exec, exec, s[6:7]
	s_and_saveexec_b64 s[6:7], s[4:5]
	s_cbranch_execz .LBB42_1376
.LBB42_1375:
	v_bfe_u32 v11, v12, 24, 3
	v_ffbh_u32_e32 v20, v11
	v_min_u32_e32 v20, 32, v20
	v_lshrrev_b32_e32 v15, 27, v12
	v_subrev_u32_e32 v21, 28, v20
	v_and_b32_e32 v14, 0x80000000, v12
	v_and_b32_e32 v15, 15, v15
	v_bfe_u32 v16, v12, 27, 4
	v_lshlrev_b32_sdwa v12, v21, v12 dst_sel:DWORD dst_unused:UNUSED_PAD src0_sel:DWORD src1_sel:BYTE_3
	v_sub_u32_e32 v20, 29, v20
	v_and_b32_e32 v12, 7, v12
	v_cmp_eq_u16_e32 vcc, 0, v15
	v_cndmask_b32_e32 v11, v11, v12, vcc
	v_cndmask_b32_e32 v12, v16, v20, vcc
	v_mov_b32_e32 v15, 0x3b800000
	v_lshlrev_b32_e32 v11, 20, v11
	v_lshl_add_u32 v12, v12, 23, v15
	v_or3_b32 v11, v14, v12, v11
.LBB42_1376:
	s_or_b64 exec, exec, s[6:7]
	s_nop 0
	v_mfma_f32_16x16x4f32 a[0:3], v10, v11, a[0:3]
	s_movk_i32 s4, 0x7f
	v_cmp_gt_i16_sdwa s[6:7], v17, s4 src0_sel:BYTE_0 src1_sel:DWORD
	s_mov_b64 s[4:5], 0
                                        ; implicit-def: $sgpr10
	s_and_saveexec_b64 s[8:9], s[6:7]
	s_xor_b64 s[6:7], exec, s[8:9]
	s_cbranch_execnz .LBB42_3425
; %bb.1377:
	s_or_saveexec_b64 s[6:7], s[6:7]
	v_mov_b32_e32 v10, s10
	s_xor_b64 exec, exec, s[6:7]
	s_cbranch_execnz .LBB42_3428
.LBB42_1378:
	s_or_b64 exec, exec, s[6:7]
	s_and_saveexec_b64 s[6:7], s[4:5]
	s_cbranch_execz .LBB42_1380
.LBB42_1379:
	v_and_b32_e32 v10, 7, v17
	v_ffbh_u32_e32 v12, v10
	v_min_u32_e32 v12, 32, v12
	v_lshrrev_b16_e32 v11, 3, v17
	v_subrev_u32_e32 v14, 28, v12
	v_and_b32_e32 v11, 15, v11
	v_lshlrev_b32_e32 v14, v14, v17
	v_sub_u32_e32 v12, 29, v12
	v_and_b32_e32 v14, 7, v14
	v_cmp_eq_u16_e32 vcc, 0, v11
	v_cndmask_b32_e32 v10, v10, v14, vcc
	v_cndmask_b32_e32 v11, v11, v12, vcc
	v_lshlrev_b32_e32 v12, 24, v17
	v_mov_b32_e32 v14, 0x3b800000
	v_lshlrev_b32_e32 v10, 20, v10
	v_and_b32_e32 v12, 0x80000000, v12
	v_lshl_add_u32 v11, v11, 23, v14
	v_or3_b32 v10, v12, v11, v10
.LBB42_1380:
	s_or_b64 exec, exec, s[6:7]
	s_movk_i32 s4, 0x7f
	v_cmp_gt_i16_sdwa s[6:7], v13, s4 src0_sel:BYTE_0 src1_sel:DWORD
	s_mov_b64 s[4:5], 0
                                        ; implicit-def: $sgpr10
	s_and_saveexec_b64 s[8:9], s[6:7]
	s_xor_b64 s[6:7], exec, s[8:9]
	s_cbranch_execnz .LBB42_3429
; %bb.1381:
	s_or_saveexec_b64 s[6:7], s[6:7]
	v_mov_b32_e32 v11, s10
	s_xor_b64 exec, exec, s[6:7]
	s_cbranch_execnz .LBB42_3432
.LBB42_1382:
	s_or_b64 exec, exec, s[6:7]
	s_and_saveexec_b64 s[6:7], s[4:5]
	s_cbranch_execz .LBB42_1384
.LBB42_1383:
	v_and_b32_e32 v11, 7, v13
	v_ffbh_u32_e32 v14, v11
	v_min_u32_e32 v14, 32, v14
	v_lshrrev_b16_e32 v12, 3, v13
	v_subrev_u32_e32 v15, 28, v14
	v_and_b32_e32 v12, 15, v12
	v_lshlrev_b32_e32 v15, v15, v13
	v_sub_u32_e32 v14, 29, v14
	v_and_b32_e32 v15, 7, v15
	v_cmp_eq_u16_e32 vcc, 0, v12
	v_cndmask_b32_e32 v11, v11, v15, vcc
	v_cndmask_b32_e32 v12, v12, v14, vcc
	v_lshlrev_b32_e32 v14, 24, v13
	v_mov_b32_e32 v15, 0x3b800000
	v_lshlrev_b32_e32 v11, 20, v11
	v_and_b32_e32 v14, 0x80000000, v14
	v_lshl_add_u32 v12, v12, 23, v15
	v_or3_b32 v11, v14, v12, v11
.LBB42_1384:
	s_or_b64 exec, exec, s[6:7]
	s_nop 0
	v_mfma_f32_16x16x4f32 a[0:3], v10, v11, a[0:3]
	v_lshrrev_b32_e32 v11, 8, v17
	s_movk_i32 s4, 0x7f
	v_cmp_gt_i16_sdwa s[6:7], v11, s4 src0_sel:BYTE_0 src1_sel:DWORD
	s_mov_b64 s[4:5], 0
                                        ; implicit-def: $sgpr10
	s_and_saveexec_b64 s[8:9], s[6:7]
	s_xor_b64 s[6:7], exec, s[8:9]
	s_cbranch_execnz .LBB42_3433
; %bb.1385:
	s_or_saveexec_b64 s[6:7], s[6:7]
	v_mov_b32_e32 v10, s10
	s_xor_b64 exec, exec, s[6:7]
	s_cbranch_execnz .LBB42_3436
.LBB42_1386:
	s_or_b64 exec, exec, s[6:7]
	s_and_saveexec_b64 s[6:7], s[4:5]
	s_cbranch_execz .LBB42_1388
.LBB42_1387:
	v_bfe_u32 v10, v17, 8, 3
	v_ffbh_u32_e32 v14, v10
	v_min_u32_e32 v14, 32, v14
	v_lshrrev_b16_e32 v12, 3, v11
	v_subrev_u32_e32 v15, 28, v14
	v_and_b32_e32 v12, 15, v12
	v_lshlrev_b32_e32 v11, v15, v11
	v_sub_u32_e32 v14, 29, v14
	v_and_b32_e32 v11, 7, v11
	v_cmp_eq_u16_e32 vcc, 0, v12
	v_cndmask_b32_e32 v10, v10, v11, vcc
	v_cndmask_b32_e32 v11, v12, v14, vcc
	v_lshlrev_b32_e32 v12, 16, v17
	v_mov_b32_e32 v14, 0x3b800000
	v_lshlrev_b32_e32 v10, 20, v10
	v_and_b32_e32 v12, 0x80000000, v12
	v_lshl_add_u32 v11, v11, 23, v14
	v_or3_b32 v10, v12, v11, v10
.LBB42_1388:
	s_or_b64 exec, exec, s[6:7]
	v_lshrrev_b32_e32 v11, 8, v13
	s_movk_i32 s4, 0x7f
	v_cmp_gt_i16_sdwa s[6:7], v11, s4 src0_sel:BYTE_0 src1_sel:DWORD
	s_mov_b64 s[4:5], 0
                                        ; implicit-def: $sgpr10
	s_and_saveexec_b64 s[8:9], s[6:7]
	s_xor_b64 s[6:7], exec, s[8:9]
	s_cbranch_execnz .LBB42_3437
; %bb.1389:
	s_or_saveexec_b64 s[6:7], s[6:7]
	v_mov_b32_e32 v12, s10
	s_xor_b64 exec, exec, s[6:7]
	s_cbranch_execnz .LBB42_3440
.LBB42_1390:
	s_or_b64 exec, exec, s[6:7]
	s_and_saveexec_b64 s[6:7], s[4:5]
	s_cbranch_execz .LBB42_1392
.LBB42_1391:
	v_bfe_u32 v12, v13, 8, 3
	v_ffbh_u32_e32 v15, v12
	v_min_u32_e32 v15, 32, v15
	v_lshrrev_b16_e32 v14, 3, v11
	v_subrev_u32_e32 v16, 28, v15
	v_and_b32_e32 v14, 15, v14
	v_lshlrev_b32_e32 v11, v16, v11
	v_sub_u32_e32 v15, 29, v15
	v_and_b32_e32 v11, 7, v11
	v_cmp_eq_u16_e32 vcc, 0, v14
	v_cndmask_b32_e32 v11, v12, v11, vcc
	v_cndmask_b32_e32 v12, v14, v15, vcc
	v_lshlrev_b32_e32 v14, 16, v13
	v_mov_b32_e32 v15, 0x3b800000
	v_lshlrev_b32_e32 v11, 20, v11
	v_and_b32_e32 v14, 0x80000000, v14
	v_lshl_add_u32 v12, v12, 23, v15
	v_or3_b32 v12, v14, v12, v11
.LBB42_1392:
	s_or_b64 exec, exec, s[6:7]
	s_nop 0
	v_mfma_f32_16x16x4f32 a[0:3], v10, v12, a[0:3]
	s_movk_i32 s4, 0xff
	v_and_b32_sdwa v11, v17, s4 dst_sel:DWORD dst_unused:UNUSED_PAD src0_sel:WORD_1 src1_sel:DWORD
	s_movk_i32 s4, 0x7f
	v_cmp_lt_i16_e32 vcc, s4, v11
	s_mov_b64 s[4:5], 0
                                        ; implicit-def: $sgpr10
	s_and_saveexec_b64 s[6:7], vcc
	s_xor_b64 s[6:7], exec, s[6:7]
	s_cbranch_execnz .LBB42_3441
; %bb.1393:
	s_or_saveexec_b64 s[6:7], s[6:7]
	v_mov_b32_e32 v10, s10
	s_xor_b64 exec, exec, s[6:7]
	s_cbranch_execnz .LBB42_3444
.LBB42_1394:
	s_or_b64 exec, exec, s[6:7]
	s_and_saveexec_b64 s[6:7], s[4:5]
	s_cbranch_execz .LBB42_1396
.LBB42_1395:
	v_bfe_u32 v10, v17, 16, 3
	v_ffbh_u32_e32 v14, v10
	v_min_u32_e32 v14, 32, v14
	v_lshrrev_b32_e32 v11, 19, v17
	v_subrev_u32_e32 v15, 28, v14
	v_and_b32_e32 v11, 15, v11
	v_lshlrev_b32_sdwa v15, v15, v17 dst_sel:DWORD dst_unused:UNUSED_PAD src0_sel:DWORD src1_sel:WORD_1
	v_bfe_u32 v12, v17, 19, 4
	v_sub_u32_e32 v14, 29, v14
	v_and_b32_e32 v15, 7, v15
	v_cmp_eq_u16_e32 vcc, 0, v11
	v_cndmask_b32_e32 v10, v10, v15, vcc
	v_cndmask_b32_e32 v11, v12, v14, vcc
	v_lshlrev_b32_e32 v12, 8, v17
	v_mov_b32_e32 v14, 0x3b800000
	v_lshlrev_b32_e32 v10, 20, v10
	v_and_b32_e32 v12, 0x80000000, v12
	v_lshl_add_u32 v11, v11, 23, v14
	v_or3_b32 v10, v12, v11, v10
.LBB42_1396:
	s_or_b64 exec, exec, s[6:7]
	s_movk_i32 s4, 0xff
	v_and_b32_sdwa v11, v13, s4 dst_sel:DWORD dst_unused:UNUSED_PAD src0_sel:WORD_1 src1_sel:DWORD
	s_movk_i32 s4, 0x7f
	v_cmp_lt_i16_e32 vcc, s4, v11
	s_mov_b64 s[4:5], 0
                                        ; implicit-def: $sgpr10
	s_and_saveexec_b64 s[6:7], vcc
	s_xor_b64 s[6:7], exec, s[6:7]
	s_cbranch_execnz .LBB42_3445
; %bb.1397:
	s_or_saveexec_b64 s[6:7], s[6:7]
	v_mov_b32_e32 v12, s10
	s_xor_b64 exec, exec, s[6:7]
	s_cbranch_execnz .LBB42_3448
.LBB42_1398:
	s_or_b64 exec, exec, s[6:7]
	s_and_saveexec_b64 s[6:7], s[4:5]
	s_cbranch_execz .LBB42_1400
.LBB42_1399:
	v_bfe_u32 v11, v13, 16, 3
	v_ffbh_u32_e32 v15, v11
	v_min_u32_e32 v15, 32, v15
	v_lshrrev_b32_e32 v12, 19, v13
	v_subrev_u32_e32 v16, 28, v15
	v_and_b32_e32 v12, 15, v12
	v_lshlrev_b32_sdwa v16, v16, v13 dst_sel:DWORD dst_unused:UNUSED_PAD src0_sel:DWORD src1_sel:WORD_1
	v_bfe_u32 v14, v13, 19, 4
	v_sub_u32_e32 v15, 29, v15
	v_and_b32_e32 v16, 7, v16
	v_cmp_eq_u16_e32 vcc, 0, v12
	v_cndmask_b32_e32 v11, v11, v16, vcc
	v_cndmask_b32_e32 v12, v14, v15, vcc
	v_lshlrev_b32_e32 v14, 8, v13
	v_mov_b32_e32 v15, 0x3b800000
	v_lshlrev_b32_e32 v11, 20, v11
	v_and_b32_e32 v14, 0x80000000, v14
	v_lshl_add_u32 v12, v12, 23, v15
	v_or3_b32 v12, v14, v12, v11
.LBB42_1400:
	s_or_b64 exec, exec, s[6:7]
	s_nop 0
	v_mfma_f32_16x16x4f32 a[0:3], v10, v12, a[0:3]
	s_movk_i32 s4, 0x7f
	v_cmp_gt_i16_sdwa s[6:7], v17, s4 src0_sel:BYTE_3 src1_sel:DWORD
	s_mov_b64 s[4:5], 0
                                        ; implicit-def: $sgpr10
	s_and_saveexec_b64 s[8:9], s[6:7]
	s_xor_b64 s[6:7], exec, s[8:9]
	s_cbranch_execnz .LBB42_3449
; %bb.1401:
	s_or_saveexec_b64 s[6:7], s[6:7]
	v_mov_b32_e32 v10, s10
	s_xor_b64 exec, exec, s[6:7]
	s_cbranch_execnz .LBB42_3452
.LBB42_1402:
	s_or_b64 exec, exec, s[6:7]
	s_and_saveexec_b64 s[6:7], s[4:5]
	s_cbranch_execz .LBB42_1404
.LBB42_1403:
	v_bfe_u32 v10, v17, 24, 3
	v_ffbh_u32_e32 v15, v10
	v_min_u32_e32 v15, 32, v15
	v_lshrrev_b32_e32 v12, 27, v17
	v_subrev_u32_e32 v16, 28, v15
	v_and_b32_e32 v12, 15, v12
	v_lshlrev_b32_sdwa v16, v16, v17 dst_sel:DWORD dst_unused:UNUSED_PAD src0_sel:DWORD src1_sel:BYTE_3
	v_bfe_u32 v14, v17, 27, 4
	v_sub_u32_e32 v15, 29, v15
	v_and_b32_e32 v16, 7, v16
	v_cmp_eq_u16_e32 vcc, 0, v12
	v_cndmask_b32_e32 v10, v10, v16, vcc
	v_cndmask_b32_e32 v12, v14, v15, vcc
	v_mov_b32_e32 v14, 0x3b800000
	v_and_b32_e32 v11, 0x80000000, v17
	v_lshlrev_b32_e32 v10, 20, v10
	v_lshl_add_u32 v12, v12, 23, v14
	v_or3_b32 v10, v11, v12, v10
.LBB42_1404:
	s_or_b64 exec, exec, s[6:7]
	s_movk_i32 s4, 0x7f
	v_cmp_gt_i16_sdwa s[6:7], v13, s4 src0_sel:BYTE_3 src1_sel:DWORD
	s_mov_b64 s[4:5], 0
                                        ; implicit-def: $sgpr10
	s_and_saveexec_b64 s[8:9], s[6:7]
	s_xor_b64 s[6:7], exec, s[8:9]
	s_cbranch_execnz .LBB42_3453
; %bb.1405:
	s_or_saveexec_b64 s[6:7], s[6:7]
	v_mov_b32_e32 v11, s10
	s_xor_b64 exec, exec, s[6:7]
	s_cbranch_execnz .LBB42_3456
.LBB42_1406:
	s_or_b64 exec, exec, s[6:7]
	s_and_saveexec_b64 s[6:7], s[4:5]
	s_cbranch_execz .LBB42_1408
.LBB42_1407:
	v_bfe_u32 v11, v13, 24, 3
	v_ffbh_u32_e32 v16, v11
	v_min_u32_e32 v16, 32, v16
	v_lshrrev_b32_e32 v14, 27, v13
	v_subrev_u32_e32 v17, 28, v16
	v_and_b32_e32 v12, 0x80000000, v13
	v_and_b32_e32 v14, 15, v14
	v_bfe_u32 v15, v13, 27, 4
	v_lshlrev_b32_sdwa v13, v17, v13 dst_sel:DWORD dst_unused:UNUSED_PAD src0_sel:DWORD src1_sel:BYTE_3
	v_sub_u32_e32 v16, 29, v16
	v_and_b32_e32 v13, 7, v13
	v_cmp_eq_u16_e32 vcc, 0, v14
	v_cndmask_b32_e32 v11, v11, v13, vcc
	v_cndmask_b32_e32 v13, v15, v16, vcc
	v_mov_b32_e32 v14, 0x3b800000
	v_lshlrev_b32_e32 v11, 20, v11
	v_lshl_add_u32 v13, v13, 23, v14
	v_or3_b32 v11, v12, v13, v11
.LBB42_1408:
	s_or_b64 exec, exec, s[6:7]
	s_nop 0
	v_mfma_f32_16x16x4f32 a[0:3], v10, v11, a[0:3]
	s_movk_i32 s4, 0x7f
	v_cmp_gt_i16_sdwa s[6:7], v6, s4 src0_sel:BYTE_0 src1_sel:DWORD
	s_mov_b64 s[4:5], 0
                                        ; implicit-def: $sgpr10
	s_and_saveexec_b64 s[8:9], s[6:7]
	s_xor_b64 s[6:7], exec, s[8:9]
	s_cbranch_execnz .LBB42_3457
; %bb.1409:
	s_or_saveexec_b64 s[6:7], s[6:7]
	v_mov_b32_e32 v10, s10
	s_xor_b64 exec, exec, s[6:7]
	s_cbranch_execnz .LBB42_3460
.LBB42_1410:
	s_or_b64 exec, exec, s[6:7]
	s_and_saveexec_b64 s[6:7], s[4:5]
	s_cbranch_execz .LBB42_1412
.LBB42_1411:
	v_and_b32_e32 v10, 7, v6
	v_ffbh_u32_e32 v12, v10
	v_min_u32_e32 v12, 32, v12
	v_lshrrev_b16_e32 v11, 3, v6
	v_subrev_u32_e32 v13, 28, v12
	v_and_b32_e32 v11, 15, v11
	v_lshlrev_b32_e32 v13, v13, v6
	v_sub_u32_e32 v12, 29, v12
	v_and_b32_e32 v13, 7, v13
	v_cmp_eq_u16_e32 vcc, 0, v11
	v_cndmask_b32_e32 v10, v10, v13, vcc
	v_cndmask_b32_e32 v11, v11, v12, vcc
	v_lshlrev_b32_e32 v12, 24, v6
	v_mov_b32_e32 v13, 0x3b800000
	v_lshlrev_b32_e32 v10, 20, v10
	v_and_b32_e32 v12, 0x80000000, v12
	v_lshl_add_u32 v11, v11, 23, v13
	v_or3_b32 v10, v12, v11, v10
.LBB42_1412:
	s_or_b64 exec, exec, s[6:7]
	s_movk_i32 s4, 0x7f
	v_cmp_gt_i16_sdwa s[6:7], v2, s4 src0_sel:BYTE_0 src1_sel:DWORD
	s_mov_b64 s[4:5], 0
                                        ; implicit-def: $sgpr10
	s_and_saveexec_b64 s[8:9], s[6:7]
	s_xor_b64 s[6:7], exec, s[8:9]
	s_cbranch_execnz .LBB42_3461
; %bb.1413:
	s_or_saveexec_b64 s[6:7], s[6:7]
	v_mov_b32_e32 v11, s10
	s_xor_b64 exec, exec, s[6:7]
	s_cbranch_execnz .LBB42_3464
.LBB42_1414:
	s_or_b64 exec, exec, s[6:7]
	s_and_saveexec_b64 s[6:7], s[4:5]
	s_cbranch_execz .LBB42_1416
.LBB42_1415:
	v_and_b32_e32 v11, 7, v2
	v_ffbh_u32_e32 v13, v11
	v_min_u32_e32 v13, 32, v13
	v_lshrrev_b16_e32 v12, 3, v2
	v_subrev_u32_e32 v14, 28, v13
	v_and_b32_e32 v12, 15, v12
	v_lshlrev_b32_e32 v14, v14, v2
	v_sub_u32_e32 v13, 29, v13
	v_and_b32_e32 v14, 7, v14
	v_cmp_eq_u16_e32 vcc, 0, v12
	v_cndmask_b32_e32 v11, v11, v14, vcc
	v_cndmask_b32_e32 v12, v12, v13, vcc
	v_lshlrev_b32_e32 v13, 24, v2
	v_mov_b32_e32 v14, 0x3b800000
	v_lshlrev_b32_e32 v11, 20, v11
	v_and_b32_e32 v13, 0x80000000, v13
	v_lshl_add_u32 v12, v12, 23, v14
	v_or3_b32 v11, v13, v12, v11
.LBB42_1416:
	s_or_b64 exec, exec, s[6:7]
	s_nop 0
	v_mfma_f32_16x16x4f32 a[0:3], v10, v11, a[0:3]
	v_lshrrev_b32_e32 v11, 8, v6
	s_movk_i32 s4, 0x7f
	v_cmp_gt_i16_sdwa s[6:7], v11, s4 src0_sel:BYTE_0 src1_sel:DWORD
	s_mov_b64 s[4:5], 0
                                        ; implicit-def: $sgpr10
	s_and_saveexec_b64 s[8:9], s[6:7]
	s_xor_b64 s[6:7], exec, s[8:9]
	s_cbranch_execnz .LBB42_3465
; %bb.1417:
	s_or_saveexec_b64 s[6:7], s[6:7]
	v_mov_b32_e32 v10, s10
	s_xor_b64 exec, exec, s[6:7]
	s_cbranch_execnz .LBB42_3468
.LBB42_1418:
	s_or_b64 exec, exec, s[6:7]
	s_and_saveexec_b64 s[6:7], s[4:5]
	s_cbranch_execz .LBB42_1420
.LBB42_1419:
	v_bfe_u32 v10, v6, 8, 3
	v_ffbh_u32_e32 v13, v10
	v_min_u32_e32 v13, 32, v13
	v_lshrrev_b16_e32 v12, 3, v11
	v_subrev_u32_e32 v14, 28, v13
	v_and_b32_e32 v12, 15, v12
	v_lshlrev_b32_e32 v11, v14, v11
	v_sub_u32_e32 v13, 29, v13
	v_and_b32_e32 v11, 7, v11
	v_cmp_eq_u16_e32 vcc, 0, v12
	v_cndmask_b32_e32 v10, v10, v11, vcc
	v_cndmask_b32_e32 v11, v12, v13, vcc
	v_lshlrev_b32_e32 v12, 16, v6
	v_mov_b32_e32 v13, 0x3b800000
	v_lshlrev_b32_e32 v10, 20, v10
	v_and_b32_e32 v12, 0x80000000, v12
	v_lshl_add_u32 v11, v11, 23, v13
	v_or3_b32 v10, v12, v11, v10
.LBB42_1420:
	s_or_b64 exec, exec, s[6:7]
	v_lshrrev_b32_e32 v11, 8, v2
	s_movk_i32 s4, 0x7f
	v_cmp_gt_i16_sdwa s[6:7], v11, s4 src0_sel:BYTE_0 src1_sel:DWORD
	s_mov_b64 s[4:5], 0
                                        ; implicit-def: $sgpr10
	s_and_saveexec_b64 s[8:9], s[6:7]
	s_xor_b64 s[6:7], exec, s[8:9]
	s_cbranch_execnz .LBB42_3469
; %bb.1421:
	s_or_saveexec_b64 s[6:7], s[6:7]
	v_mov_b32_e32 v12, s10
	s_xor_b64 exec, exec, s[6:7]
	s_cbranch_execnz .LBB42_3472
.LBB42_1422:
	s_or_b64 exec, exec, s[6:7]
	s_and_saveexec_b64 s[6:7], s[4:5]
	s_cbranch_execz .LBB42_1424
.LBB42_1423:
	v_bfe_u32 v12, v2, 8, 3
	v_ffbh_u32_e32 v14, v12
	v_min_u32_e32 v14, 32, v14
	v_lshrrev_b16_e32 v13, 3, v11
	v_subrev_u32_e32 v15, 28, v14
	v_and_b32_e32 v13, 15, v13
	v_lshlrev_b32_e32 v11, v15, v11
	v_sub_u32_e32 v14, 29, v14
	v_and_b32_e32 v11, 7, v11
	v_cmp_eq_u16_e32 vcc, 0, v13
	v_cndmask_b32_e32 v11, v12, v11, vcc
	v_cndmask_b32_e32 v12, v13, v14, vcc
	v_lshlrev_b32_e32 v13, 16, v2
	v_mov_b32_e32 v14, 0x3b800000
	v_lshlrev_b32_e32 v11, 20, v11
	v_and_b32_e32 v13, 0x80000000, v13
	v_lshl_add_u32 v12, v12, 23, v14
	v_or3_b32 v12, v13, v12, v11
.LBB42_1424:
	s_or_b64 exec, exec, s[6:7]
	s_nop 0
	v_mfma_f32_16x16x4f32 a[0:3], v10, v12, a[0:3]
	s_movk_i32 s4, 0xff
	v_and_b32_sdwa v11, v6, s4 dst_sel:DWORD dst_unused:UNUSED_PAD src0_sel:WORD_1 src1_sel:DWORD
	s_movk_i32 s4, 0x7f
	v_cmp_lt_i16_e32 vcc, s4, v11
	s_mov_b64 s[4:5], 0
                                        ; implicit-def: $sgpr10
	s_and_saveexec_b64 s[6:7], vcc
	s_xor_b64 s[6:7], exec, s[6:7]
	s_cbranch_execnz .LBB42_3473
; %bb.1425:
	s_or_saveexec_b64 s[6:7], s[6:7]
	v_mov_b32_e32 v10, s10
	s_xor_b64 exec, exec, s[6:7]
	s_cbranch_execnz .LBB42_3476
.LBB42_1426:
	s_or_b64 exec, exec, s[6:7]
	s_and_saveexec_b64 s[6:7], s[4:5]
	s_cbranch_execz .LBB42_1428
.LBB42_1427:
	v_bfe_u32 v10, v6, 16, 3
	v_ffbh_u32_e32 v13, v10
	v_min_u32_e32 v13, 32, v13
	v_lshrrev_b32_e32 v11, 19, v6
	v_subrev_u32_e32 v14, 28, v13
	v_and_b32_e32 v11, 15, v11
	v_lshlrev_b32_sdwa v14, v14, v6 dst_sel:DWORD dst_unused:UNUSED_PAD src0_sel:DWORD src1_sel:WORD_1
	v_bfe_u32 v12, v6, 19, 4
	v_sub_u32_e32 v13, 29, v13
	v_and_b32_e32 v14, 7, v14
	v_cmp_eq_u16_e32 vcc, 0, v11
	v_cndmask_b32_e32 v10, v10, v14, vcc
	v_cndmask_b32_e32 v11, v12, v13, vcc
	v_lshlrev_b32_e32 v12, 8, v6
	v_mov_b32_e32 v13, 0x3b800000
	v_lshlrev_b32_e32 v10, 20, v10
	v_and_b32_e32 v12, 0x80000000, v12
	v_lshl_add_u32 v11, v11, 23, v13
	v_or3_b32 v10, v12, v11, v10
.LBB42_1428:
	s_or_b64 exec, exec, s[6:7]
	s_movk_i32 s4, 0xff
	v_and_b32_sdwa v11, v2, s4 dst_sel:DWORD dst_unused:UNUSED_PAD src0_sel:WORD_1 src1_sel:DWORD
	s_movk_i32 s4, 0x7f
	v_cmp_lt_i16_e32 vcc, s4, v11
	s_mov_b64 s[4:5], 0
                                        ; implicit-def: $sgpr10
	s_and_saveexec_b64 s[6:7], vcc
	s_xor_b64 s[6:7], exec, s[6:7]
	s_cbranch_execnz .LBB42_3477
; %bb.1429:
	s_or_saveexec_b64 s[6:7], s[6:7]
	v_mov_b32_e32 v12, s10
	s_xor_b64 exec, exec, s[6:7]
	s_cbranch_execnz .LBB42_3480
.LBB42_1430:
	s_or_b64 exec, exec, s[6:7]
	s_and_saveexec_b64 s[6:7], s[4:5]
	s_cbranch_execz .LBB42_1432
.LBB42_1431:
	v_bfe_u32 v11, v2, 16, 3
	v_ffbh_u32_e32 v14, v11
	v_min_u32_e32 v14, 32, v14
	v_lshrrev_b32_e32 v12, 19, v2
	v_subrev_u32_e32 v15, 28, v14
	v_and_b32_e32 v12, 15, v12
	v_lshlrev_b32_sdwa v15, v15, v2 dst_sel:DWORD dst_unused:UNUSED_PAD src0_sel:DWORD src1_sel:WORD_1
	v_bfe_u32 v13, v2, 19, 4
	v_sub_u32_e32 v14, 29, v14
	v_and_b32_e32 v15, 7, v15
	v_cmp_eq_u16_e32 vcc, 0, v12
	v_cndmask_b32_e32 v11, v11, v15, vcc
	v_cndmask_b32_e32 v12, v13, v14, vcc
	v_lshlrev_b32_e32 v13, 8, v2
	v_mov_b32_e32 v14, 0x3b800000
	v_lshlrev_b32_e32 v11, 20, v11
	v_and_b32_e32 v13, 0x80000000, v13
	v_lshl_add_u32 v12, v12, 23, v14
	v_or3_b32 v12, v13, v12, v11
.LBB42_1432:
	s_or_b64 exec, exec, s[6:7]
	s_nop 0
	v_mfma_f32_16x16x4f32 a[0:3], v10, v12, a[0:3]
	s_movk_i32 s4, 0x7f
	v_cmp_gt_i16_sdwa s[6:7], v6, s4 src0_sel:BYTE_3 src1_sel:DWORD
	s_mov_b64 s[4:5], 0
                                        ; implicit-def: $sgpr10
	s_and_saveexec_b64 s[8:9], s[6:7]
	s_xor_b64 s[6:7], exec, s[8:9]
	s_cbranch_execnz .LBB42_3481
; %bb.1433:
	s_or_saveexec_b64 s[6:7], s[6:7]
	v_mov_b32_e32 v10, s10
	s_xor_b64 exec, exec, s[6:7]
	s_cbranch_execnz .LBB42_3484
.LBB42_1434:
	s_or_b64 exec, exec, s[6:7]
	s_and_saveexec_b64 s[6:7], s[4:5]
	s_cbranch_execz .LBB42_1436
.LBB42_1435:
	v_bfe_u32 v10, v6, 24, 3
	v_ffbh_u32_e32 v14, v10
	v_min_u32_e32 v14, 32, v14
	v_lshrrev_b32_e32 v12, 27, v6
	v_subrev_u32_e32 v15, 28, v14
	v_and_b32_e32 v11, 0x80000000, v6
	v_and_b32_e32 v12, 15, v12
	v_bfe_u32 v13, v6, 27, 4
	v_lshlrev_b32_sdwa v6, v15, v6 dst_sel:DWORD dst_unused:UNUSED_PAD src0_sel:DWORD src1_sel:BYTE_3
	v_sub_u32_e32 v14, 29, v14
	v_and_b32_e32 v6, 7, v6
	v_cmp_eq_u16_e32 vcc, 0, v12
	v_cndmask_b32_e32 v6, v10, v6, vcc
	v_cndmask_b32_e32 v10, v13, v14, vcc
	v_mov_b32_e32 v12, 0x3b800000
	v_lshlrev_b32_e32 v6, 20, v6
	v_lshl_add_u32 v10, v10, 23, v12
	v_or3_b32 v10, v11, v10, v6
.LBB42_1436:
	s_or_b64 exec, exec, s[6:7]
	s_movk_i32 s4, 0x7f
	v_cmp_gt_i16_sdwa s[6:7], v2, s4 src0_sel:BYTE_3 src1_sel:DWORD
	s_mov_b64 s[4:5], 0
                                        ; implicit-def: $sgpr10
	s_and_saveexec_b64 s[8:9], s[6:7]
	s_xor_b64 s[6:7], exec, s[8:9]
	s_cbranch_execnz .LBB42_3485
; %bb.1437:
	s_or_saveexec_b64 s[6:7], s[6:7]
	v_mov_b32_e32 v6, s10
	s_xor_b64 exec, exec, s[6:7]
	s_cbranch_execnz .LBB42_3488
.LBB42_1438:
	s_or_b64 exec, exec, s[6:7]
	s_and_saveexec_b64 s[6:7], s[4:5]
	s_cbranch_execz .LBB42_1440
.LBB42_1439:
	v_bfe_u32 v6, v2, 24, 3
	v_ffbh_u32_e32 v14, v6
	v_min_u32_e32 v14, 32, v14
	v_lshrrev_b32_e32 v12, 27, v2
	v_subrev_u32_e32 v15, 28, v14
	v_and_b32_e32 v11, 0x80000000, v2
	v_and_b32_e32 v12, 15, v12
	v_bfe_u32 v13, v2, 27, 4
	v_lshlrev_b32_sdwa v2, v15, v2 dst_sel:DWORD dst_unused:UNUSED_PAD src0_sel:DWORD src1_sel:BYTE_3
	v_sub_u32_e32 v14, 29, v14
	v_and_b32_e32 v2, 7, v2
	v_cmp_eq_u16_e32 vcc, 0, v12
	v_cndmask_b32_e32 v2, v6, v2, vcc
	v_cndmask_b32_e32 v6, v13, v14, vcc
	v_mov_b32_e32 v12, 0x3b800000
	v_lshlrev_b32_e32 v2, 20, v2
	v_lshl_add_u32 v6, v6, 23, v12
	v_or3_b32 v6, v11, v6, v2
.LBB42_1440:
	s_or_b64 exec, exec, s[6:7]
	s_nop 0
	v_mfma_f32_16x16x4f32 a[0:3], v10, v6, a[0:3]
	s_movk_i32 s4, 0x7f
	v_cmp_gt_i16_sdwa s[6:7], v7, s4 src0_sel:BYTE_0 src1_sel:DWORD
	s_mov_b64 s[4:5], 0
                                        ; implicit-def: $sgpr10
	s_and_saveexec_b64 s[8:9], s[6:7]
	s_xor_b64 s[6:7], exec, s[8:9]
	s_cbranch_execnz .LBB42_3489
; %bb.1441:
	s_or_saveexec_b64 s[6:7], s[6:7]
	v_mov_b32_e32 v2, s10
	s_xor_b64 exec, exec, s[6:7]
	s_cbranch_execnz .LBB42_3492
.LBB42_1442:
	s_or_b64 exec, exec, s[6:7]
	s_and_saveexec_b64 s[6:7], s[4:5]
	s_cbranch_execz .LBB42_1444
.LBB42_1443:
	v_and_b32_e32 v2, 7, v7
	v_ffbh_u32_e32 v10, v2
	v_min_u32_e32 v10, 32, v10
	v_lshrrev_b16_e32 v6, 3, v7
	v_subrev_u32_e32 v11, 28, v10
	v_and_b32_e32 v6, 15, v6
	v_lshlrev_b32_e32 v11, v11, v7
	v_sub_u32_e32 v10, 29, v10
	v_and_b32_e32 v11, 7, v11
	v_cmp_eq_u16_e32 vcc, 0, v6
	v_cndmask_b32_e32 v2, v2, v11, vcc
	v_cndmask_b32_e32 v6, v6, v10, vcc
	v_lshlrev_b32_e32 v10, 24, v7
	v_mov_b32_e32 v11, 0x3b800000
	v_lshlrev_b32_e32 v2, 20, v2
	v_and_b32_e32 v10, 0x80000000, v10
	v_lshl_add_u32 v6, v6, 23, v11
	v_or3_b32 v2, v10, v6, v2
.LBB42_1444:
	s_or_b64 exec, exec, s[6:7]
	s_movk_i32 s4, 0x7f
	v_cmp_gt_i16_sdwa s[6:7], v3, s4 src0_sel:BYTE_0 src1_sel:DWORD
	s_mov_b64 s[4:5], 0
                                        ; implicit-def: $sgpr10
	s_and_saveexec_b64 s[8:9], s[6:7]
	s_xor_b64 s[6:7], exec, s[8:9]
	s_cbranch_execnz .LBB42_3493
; %bb.1445:
	s_or_saveexec_b64 s[6:7], s[6:7]
	v_mov_b32_e32 v6, s10
	s_xor_b64 exec, exec, s[6:7]
	s_cbranch_execnz .LBB42_3496
.LBB42_1446:
	s_or_b64 exec, exec, s[6:7]
	s_and_saveexec_b64 s[6:7], s[4:5]
	s_cbranch_execz .LBB42_1448
.LBB42_1447:
	v_and_b32_e32 v6, 7, v3
	v_ffbh_u32_e32 v11, v6
	v_min_u32_e32 v11, 32, v11
	v_lshrrev_b16_e32 v10, 3, v3
	v_subrev_u32_e32 v12, 28, v11
	v_and_b32_e32 v10, 15, v10
	v_lshlrev_b32_e32 v12, v12, v3
	v_sub_u32_e32 v11, 29, v11
	v_and_b32_e32 v12, 7, v12
	v_cmp_eq_u16_e32 vcc, 0, v10
	v_cndmask_b32_e32 v6, v6, v12, vcc
	v_cndmask_b32_e32 v10, v10, v11, vcc
	v_lshlrev_b32_e32 v11, 24, v3
	v_mov_b32_e32 v12, 0x3b800000
	v_lshlrev_b32_e32 v6, 20, v6
	v_and_b32_e32 v11, 0x80000000, v11
	v_lshl_add_u32 v10, v10, 23, v12
	v_or3_b32 v6, v11, v10, v6
.LBB42_1448:
	s_or_b64 exec, exec, s[6:7]
	s_nop 0
	v_mfma_f32_16x16x4f32 a[0:3], v2, v6, a[0:3]
	v_lshrrev_b32_e32 v6, 8, v7
	s_movk_i32 s4, 0x7f
	v_cmp_gt_i16_sdwa s[6:7], v6, s4 src0_sel:BYTE_0 src1_sel:DWORD
	s_mov_b64 s[4:5], 0
                                        ; implicit-def: $sgpr10
	s_and_saveexec_b64 s[8:9], s[6:7]
	s_xor_b64 s[6:7], exec, s[8:9]
	s_cbranch_execnz .LBB42_3497
; %bb.1449:
	s_or_saveexec_b64 s[6:7], s[6:7]
	v_mov_b32_e32 v2, s10
	s_xor_b64 exec, exec, s[6:7]
	s_cbranch_execnz .LBB42_3500
.LBB42_1450:
	s_or_b64 exec, exec, s[6:7]
	s_and_saveexec_b64 s[6:7], s[4:5]
	s_cbranch_execz .LBB42_1452
.LBB42_1451:
	v_bfe_u32 v2, v7, 8, 3
	v_ffbh_u32_e32 v11, v2
	v_min_u32_e32 v11, 32, v11
	v_lshrrev_b16_e32 v10, 3, v6
	v_subrev_u32_e32 v12, 28, v11
	v_and_b32_e32 v10, 15, v10
	v_lshlrev_b32_e32 v6, v12, v6
	v_sub_u32_e32 v11, 29, v11
	v_and_b32_e32 v6, 7, v6
	v_cmp_eq_u16_e32 vcc, 0, v10
	v_cndmask_b32_e32 v2, v2, v6, vcc
	v_cndmask_b32_e32 v6, v10, v11, vcc
	v_lshlrev_b32_e32 v10, 16, v7
	v_mov_b32_e32 v11, 0x3b800000
	v_lshlrev_b32_e32 v2, 20, v2
	v_and_b32_e32 v10, 0x80000000, v10
	v_lshl_add_u32 v6, v6, 23, v11
	v_or3_b32 v2, v10, v6, v2
.LBB42_1452:
	s_or_b64 exec, exec, s[6:7]
	v_lshrrev_b32_e32 v6, 8, v3
	s_movk_i32 s4, 0x7f
	v_cmp_gt_i16_sdwa s[6:7], v6, s4 src0_sel:BYTE_0 src1_sel:DWORD
	s_mov_b64 s[4:5], 0
                                        ; implicit-def: $sgpr10
	s_and_saveexec_b64 s[8:9], s[6:7]
	s_xor_b64 s[6:7], exec, s[8:9]
	s_cbranch_execnz .LBB42_3501
; %bb.1453:
	s_or_saveexec_b64 s[6:7], s[6:7]
	v_mov_b32_e32 v10, s10
	s_xor_b64 exec, exec, s[6:7]
	s_cbranch_execnz .LBB42_3504
.LBB42_1454:
	s_or_b64 exec, exec, s[6:7]
	s_and_saveexec_b64 s[6:7], s[4:5]
	s_cbranch_execz .LBB42_1456
.LBB42_1455:
	v_bfe_u32 v10, v3, 8, 3
	v_ffbh_u32_e32 v12, v10
	v_min_u32_e32 v12, 32, v12
	v_lshrrev_b16_e32 v11, 3, v6
	v_subrev_u32_e32 v13, 28, v12
	v_and_b32_e32 v11, 15, v11
	v_lshlrev_b32_e32 v6, v13, v6
	v_sub_u32_e32 v12, 29, v12
	v_and_b32_e32 v6, 7, v6
	v_cmp_eq_u16_e32 vcc, 0, v11
	v_cndmask_b32_e32 v6, v10, v6, vcc
	v_cndmask_b32_e32 v10, v11, v12, vcc
	v_lshlrev_b32_e32 v11, 16, v3
	v_mov_b32_e32 v12, 0x3b800000
	v_lshlrev_b32_e32 v6, 20, v6
	v_and_b32_e32 v11, 0x80000000, v11
	v_lshl_add_u32 v10, v10, 23, v12
	v_or3_b32 v10, v11, v10, v6
.LBB42_1456:
	s_or_b64 exec, exec, s[6:7]
	s_nop 0
	v_mfma_f32_16x16x4f32 a[0:3], v2, v10, a[0:3]
	s_movk_i32 s4, 0xff
	v_and_b32_sdwa v6, v7, s4 dst_sel:DWORD dst_unused:UNUSED_PAD src0_sel:WORD_1 src1_sel:DWORD
	s_movk_i32 s4, 0x7f
	v_cmp_lt_i16_e32 vcc, s4, v6
	s_mov_b64 s[4:5], 0
                                        ; implicit-def: $sgpr10
	s_and_saveexec_b64 s[6:7], vcc
	s_xor_b64 s[6:7], exec, s[6:7]
	s_cbranch_execnz .LBB42_3505
; %bb.1457:
	s_or_saveexec_b64 s[6:7], s[6:7]
	v_mov_b32_e32 v2, s10
	s_xor_b64 exec, exec, s[6:7]
	s_cbranch_execnz .LBB42_3508
.LBB42_1458:
	s_or_b64 exec, exec, s[6:7]
	s_and_saveexec_b64 s[6:7], s[4:5]
	s_cbranch_execz .LBB42_1460
.LBB42_1459:
	v_bfe_u32 v2, v7, 16, 3
	v_ffbh_u32_e32 v11, v2
	v_min_u32_e32 v11, 32, v11
	v_lshrrev_b32_e32 v6, 19, v7
	v_subrev_u32_e32 v12, 28, v11
	v_and_b32_e32 v6, 15, v6
	v_lshlrev_b32_sdwa v12, v12, v7 dst_sel:DWORD dst_unused:UNUSED_PAD src0_sel:DWORD src1_sel:WORD_1
	v_bfe_u32 v10, v7, 19, 4
	v_sub_u32_e32 v11, 29, v11
	v_and_b32_e32 v12, 7, v12
	v_cmp_eq_u16_e32 vcc, 0, v6
	v_cndmask_b32_e32 v2, v2, v12, vcc
	v_cndmask_b32_e32 v6, v10, v11, vcc
	v_lshlrev_b32_e32 v10, 8, v7
	v_mov_b32_e32 v11, 0x3b800000
	v_lshlrev_b32_e32 v2, 20, v2
	v_and_b32_e32 v10, 0x80000000, v10
	v_lshl_add_u32 v6, v6, 23, v11
	v_or3_b32 v2, v10, v6, v2
.LBB42_1460:
	s_or_b64 exec, exec, s[6:7]
	s_movk_i32 s4, 0xff
	v_and_b32_sdwa v6, v3, s4 dst_sel:DWORD dst_unused:UNUSED_PAD src0_sel:WORD_1 src1_sel:DWORD
	s_movk_i32 s4, 0x7f
	v_cmp_lt_i16_e32 vcc, s4, v6
	s_mov_b64 s[4:5], 0
                                        ; implicit-def: $sgpr10
	s_and_saveexec_b64 s[6:7], vcc
	s_xor_b64 s[6:7], exec, s[6:7]
	s_cbranch_execnz .LBB42_3509
; %bb.1461:
	s_or_saveexec_b64 s[6:7], s[6:7]
	v_mov_b32_e32 v10, s10
	s_xor_b64 exec, exec, s[6:7]
	s_cbranch_execnz .LBB42_3512
.LBB42_1462:
	s_or_b64 exec, exec, s[6:7]
	s_and_saveexec_b64 s[6:7], s[4:5]
	s_cbranch_execz .LBB42_1464
.LBB42_1463:
	v_bfe_u32 v6, v3, 16, 3
	v_ffbh_u32_e32 v12, v6
	v_min_u32_e32 v12, 32, v12
	v_lshrrev_b32_e32 v10, 19, v3
	v_subrev_u32_e32 v13, 28, v12
	v_and_b32_e32 v10, 15, v10
	v_lshlrev_b32_sdwa v13, v13, v3 dst_sel:DWORD dst_unused:UNUSED_PAD src0_sel:DWORD src1_sel:WORD_1
	v_bfe_u32 v11, v3, 19, 4
	v_sub_u32_e32 v12, 29, v12
	v_and_b32_e32 v13, 7, v13
	v_cmp_eq_u16_e32 vcc, 0, v10
	v_cndmask_b32_e32 v6, v6, v13, vcc
	v_cndmask_b32_e32 v10, v11, v12, vcc
	v_lshlrev_b32_e32 v11, 8, v3
	v_mov_b32_e32 v12, 0x3b800000
	v_lshlrev_b32_e32 v6, 20, v6
	v_and_b32_e32 v11, 0x80000000, v11
	v_lshl_add_u32 v10, v10, 23, v12
	v_or3_b32 v10, v11, v10, v6
.LBB42_1464:
	s_or_b64 exec, exec, s[6:7]
	s_nop 0
	v_mfma_f32_16x16x4f32 a[0:3], v2, v10, a[0:3]
	s_movk_i32 s4, 0x7f
	v_cmp_gt_i16_sdwa s[6:7], v7, s4 src0_sel:BYTE_3 src1_sel:DWORD
	s_mov_b64 s[4:5], 0
                                        ; implicit-def: $sgpr10
	s_and_saveexec_b64 s[8:9], s[6:7]
	s_xor_b64 s[6:7], exec, s[8:9]
	s_cbranch_execnz .LBB42_3513
; %bb.1465:
	s_or_saveexec_b64 s[6:7], s[6:7]
	v_mov_b32_e32 v2, s10
	s_xor_b64 exec, exec, s[6:7]
	s_cbranch_execnz .LBB42_3516
.LBB42_1466:
	s_or_b64 exec, exec, s[6:7]
	s_and_saveexec_b64 s[6:7], s[4:5]
	s_cbranch_execz .LBB42_1468
.LBB42_1467:
	v_bfe_u32 v2, v7, 24, 3
	v_ffbh_u32_e32 v12, v2
	v_min_u32_e32 v12, 32, v12
	v_lshrrev_b32_e32 v10, 27, v7
	v_subrev_u32_e32 v13, 28, v12
	v_and_b32_e32 v6, 0x80000000, v7
	v_and_b32_e32 v10, 15, v10
	v_bfe_u32 v11, v7, 27, 4
	v_lshlrev_b32_sdwa v7, v13, v7 dst_sel:DWORD dst_unused:UNUSED_PAD src0_sel:DWORD src1_sel:BYTE_3
	v_sub_u32_e32 v12, 29, v12
	v_and_b32_e32 v7, 7, v7
	v_cmp_eq_u16_e32 vcc, 0, v10
	v_cndmask_b32_e32 v2, v2, v7, vcc
	v_cndmask_b32_e32 v7, v11, v12, vcc
	v_mov_b32_e32 v10, 0x3b800000
	v_lshlrev_b32_e32 v2, 20, v2
	v_lshl_add_u32 v7, v7, 23, v10
	v_or3_b32 v2, v6, v7, v2
.LBB42_1468:
	s_or_b64 exec, exec, s[6:7]
	s_movk_i32 s4, 0x7f
	v_cmp_gt_i16_sdwa s[6:7], v3, s4 src0_sel:BYTE_3 src1_sel:DWORD
	s_mov_b64 s[4:5], 0
                                        ; implicit-def: $sgpr10
	s_and_saveexec_b64 s[8:9], s[6:7]
	s_xor_b64 s[6:7], exec, s[8:9]
	s_cbranch_execnz .LBB42_3517
; %bb.1469:
	s_or_saveexec_b64 s[6:7], s[6:7]
	v_mov_b32_e32 v6, s10
	s_xor_b64 exec, exec, s[6:7]
	s_cbranch_execnz .LBB42_3520
.LBB42_1470:
	s_or_b64 exec, exec, s[6:7]
	s_and_saveexec_b64 s[6:7], s[4:5]
	s_cbranch_execz .LBB42_1472
.LBB42_1471:
	v_bfe_u32 v6, v3, 24, 3
	v_ffbh_u32_e32 v12, v6
	v_min_u32_e32 v12, 32, v12
	v_lshrrev_b32_e32 v10, 27, v3
	v_subrev_u32_e32 v13, 28, v12
	v_and_b32_e32 v7, 0x80000000, v3
	v_and_b32_e32 v10, 15, v10
	v_bfe_u32 v11, v3, 27, 4
	v_lshlrev_b32_sdwa v3, v13, v3 dst_sel:DWORD dst_unused:UNUSED_PAD src0_sel:DWORD src1_sel:BYTE_3
	v_sub_u32_e32 v12, 29, v12
	v_and_b32_e32 v3, 7, v3
	v_cmp_eq_u16_e32 vcc, 0, v10
	v_cndmask_b32_e32 v3, v6, v3, vcc
	v_cndmask_b32_e32 v6, v11, v12, vcc
	v_mov_b32_e32 v10, 0x3b800000
	v_lshlrev_b32_e32 v3, 20, v3
	v_lshl_add_u32 v6, v6, 23, v10
	v_or3_b32 v6, v7, v6, v3
.LBB42_1472:
	s_or_b64 exec, exec, s[6:7]
	s_nop 0
	v_mfma_f32_16x16x4f32 a[0:3], v2, v6, a[0:3]
	s_movk_i32 s4, 0x7f
	v_cmp_gt_i16_sdwa s[6:7], v8, s4 src0_sel:BYTE_0 src1_sel:DWORD
	s_mov_b64 s[4:5], 0
                                        ; implicit-def: $sgpr10
	s_and_saveexec_b64 s[8:9], s[6:7]
	s_xor_b64 s[6:7], exec, s[8:9]
	s_cbranch_execnz .LBB42_3521
; %bb.1473:
	s_or_saveexec_b64 s[6:7], s[6:7]
	v_mov_b32_e32 v2, s10
	s_xor_b64 exec, exec, s[6:7]
	s_cbranch_execnz .LBB42_3524
.LBB42_1474:
	s_or_b64 exec, exec, s[6:7]
	s_and_saveexec_b64 s[6:7], s[4:5]
	s_cbranch_execz .LBB42_1476
.LBB42_1475:
	v_and_b32_e32 v2, 7, v8
	v_ffbh_u32_e32 v6, v2
	v_min_u32_e32 v6, 32, v6
	v_lshrrev_b16_e32 v3, 3, v8
	v_subrev_u32_e32 v7, 28, v6
	v_and_b32_e32 v3, 15, v3
	v_lshlrev_b32_e32 v7, v7, v8
	v_sub_u32_e32 v6, 29, v6
	v_and_b32_e32 v7, 7, v7
	v_cmp_eq_u16_e32 vcc, 0, v3
	v_cndmask_b32_e32 v2, v2, v7, vcc
	v_cndmask_b32_e32 v3, v3, v6, vcc
	v_lshlrev_b32_e32 v6, 24, v8
	v_mov_b32_e32 v7, 0x3b800000
	v_lshlrev_b32_e32 v2, 20, v2
	v_and_b32_e32 v6, 0x80000000, v6
	v_lshl_add_u32 v3, v3, 23, v7
	v_or3_b32 v2, v6, v3, v2
.LBB42_1476:
	s_or_b64 exec, exec, s[6:7]
	s_movk_i32 s4, 0x7f
	v_cmp_gt_i16_sdwa s[6:7], v4, s4 src0_sel:BYTE_0 src1_sel:DWORD
	s_mov_b64 s[4:5], 0
                                        ; implicit-def: $sgpr10
	s_and_saveexec_b64 s[8:9], s[6:7]
	s_xor_b64 s[6:7], exec, s[8:9]
	s_cbranch_execnz .LBB42_3525
; %bb.1477:
	s_or_saveexec_b64 s[6:7], s[6:7]
	v_mov_b32_e32 v3, s10
	s_xor_b64 exec, exec, s[6:7]
	s_cbranch_execnz .LBB42_3528
.LBB42_1478:
	s_or_b64 exec, exec, s[6:7]
	s_and_saveexec_b64 s[6:7], s[4:5]
	s_cbranch_execz .LBB42_1480
.LBB42_1479:
	v_and_b32_e32 v3, 7, v4
	v_ffbh_u32_e32 v7, v3
	v_min_u32_e32 v7, 32, v7
	v_lshrrev_b16_e32 v6, 3, v4
	v_subrev_u32_e32 v10, 28, v7
	v_and_b32_e32 v6, 15, v6
	v_lshlrev_b32_e32 v10, v10, v4
	v_sub_u32_e32 v7, 29, v7
	v_and_b32_e32 v10, 7, v10
	v_cmp_eq_u16_e32 vcc, 0, v6
	v_cndmask_b32_e32 v3, v3, v10, vcc
	v_cndmask_b32_e32 v6, v6, v7, vcc
	v_lshlrev_b32_e32 v7, 24, v4
	v_mov_b32_e32 v10, 0x3b800000
	v_lshlrev_b32_e32 v3, 20, v3
	v_and_b32_e32 v7, 0x80000000, v7
	v_lshl_add_u32 v6, v6, 23, v10
	v_or3_b32 v3, v7, v6, v3
.LBB42_1480:
	s_or_b64 exec, exec, s[6:7]
	s_nop 0
	v_mfma_f32_16x16x4f32 a[0:3], v2, v3, a[0:3]
	v_lshrrev_b32_e32 v3, 8, v8
	s_movk_i32 s4, 0x7f
	v_cmp_gt_i16_sdwa s[6:7], v3, s4 src0_sel:BYTE_0 src1_sel:DWORD
	s_mov_b64 s[4:5], 0
                                        ; implicit-def: $sgpr10
	s_and_saveexec_b64 s[8:9], s[6:7]
	s_xor_b64 s[6:7], exec, s[8:9]
	s_cbranch_execnz .LBB42_3529
; %bb.1481:
	s_or_saveexec_b64 s[6:7], s[6:7]
	v_mov_b32_e32 v2, s10
	s_xor_b64 exec, exec, s[6:7]
	s_cbranch_execnz .LBB42_3532
.LBB42_1482:
	s_or_b64 exec, exec, s[6:7]
	s_and_saveexec_b64 s[6:7], s[4:5]
	s_cbranch_execz .LBB42_1484
.LBB42_1483:
	v_bfe_u32 v2, v8, 8, 3
	v_ffbh_u32_e32 v7, v2
	v_min_u32_e32 v7, 32, v7
	v_lshrrev_b16_e32 v6, 3, v3
	v_subrev_u32_e32 v10, 28, v7
	v_and_b32_e32 v6, 15, v6
	v_lshlrev_b32_e32 v3, v10, v3
	v_sub_u32_e32 v7, 29, v7
	v_and_b32_e32 v3, 7, v3
	v_cmp_eq_u16_e32 vcc, 0, v6
	v_cndmask_b32_e32 v2, v2, v3, vcc
	v_cndmask_b32_e32 v3, v6, v7, vcc
	v_lshlrev_b32_e32 v6, 16, v8
	v_mov_b32_e32 v7, 0x3b800000
	v_lshlrev_b32_e32 v2, 20, v2
	v_and_b32_e32 v6, 0x80000000, v6
	v_lshl_add_u32 v3, v3, 23, v7
	v_or3_b32 v2, v6, v3, v2
.LBB42_1484:
	s_or_b64 exec, exec, s[6:7]
	v_lshrrev_b32_e32 v3, 8, v4
	s_movk_i32 s4, 0x7f
	v_cmp_gt_i16_sdwa s[6:7], v3, s4 src0_sel:BYTE_0 src1_sel:DWORD
	s_mov_b64 s[4:5], 0
                                        ; implicit-def: $sgpr10
	s_and_saveexec_b64 s[8:9], s[6:7]
	s_xor_b64 s[6:7], exec, s[8:9]
	s_cbranch_execnz .LBB42_3533
; %bb.1485:
	s_or_saveexec_b64 s[6:7], s[6:7]
	v_mov_b32_e32 v6, s10
	s_xor_b64 exec, exec, s[6:7]
	s_cbranch_execnz .LBB42_3536
.LBB42_1486:
	s_or_b64 exec, exec, s[6:7]
	s_and_saveexec_b64 s[6:7], s[4:5]
	s_cbranch_execz .LBB42_1488
.LBB42_1487:
	v_bfe_u32 v6, v4, 8, 3
	v_ffbh_u32_e32 v10, v6
	v_min_u32_e32 v10, 32, v10
	v_lshrrev_b16_e32 v7, 3, v3
	v_subrev_u32_e32 v11, 28, v10
	v_and_b32_e32 v7, 15, v7
	v_lshlrev_b32_e32 v3, v11, v3
	v_sub_u32_e32 v10, 29, v10
	v_and_b32_e32 v3, 7, v3
	v_cmp_eq_u16_e32 vcc, 0, v7
	v_cndmask_b32_e32 v3, v6, v3, vcc
	v_cndmask_b32_e32 v6, v7, v10, vcc
	v_lshlrev_b32_e32 v7, 16, v4
	v_mov_b32_e32 v10, 0x3b800000
	v_lshlrev_b32_e32 v3, 20, v3
	v_and_b32_e32 v7, 0x80000000, v7
	v_lshl_add_u32 v6, v6, 23, v10
	v_or3_b32 v6, v7, v6, v3
.LBB42_1488:
	s_or_b64 exec, exec, s[6:7]
	s_nop 0
	v_mfma_f32_16x16x4f32 a[0:3], v2, v6, a[0:3]
	s_movk_i32 s4, 0xff
	v_and_b32_sdwa v3, v8, s4 dst_sel:DWORD dst_unused:UNUSED_PAD src0_sel:WORD_1 src1_sel:DWORD
	s_movk_i32 s4, 0x7f
	v_cmp_lt_i16_e32 vcc, s4, v3
	s_mov_b64 s[4:5], 0
                                        ; implicit-def: $sgpr10
	s_and_saveexec_b64 s[6:7], vcc
	s_xor_b64 s[6:7], exec, s[6:7]
	s_cbranch_execnz .LBB42_3537
; %bb.1489:
	s_or_saveexec_b64 s[6:7], s[6:7]
	v_mov_b32_e32 v2, s10
	s_xor_b64 exec, exec, s[6:7]
	s_cbranch_execnz .LBB42_3540
.LBB42_1490:
	s_or_b64 exec, exec, s[6:7]
	s_and_saveexec_b64 s[6:7], s[4:5]
	s_cbranch_execz .LBB42_1492
.LBB42_1491:
	v_bfe_u32 v2, v8, 16, 3
	v_ffbh_u32_e32 v7, v2
	v_min_u32_e32 v7, 32, v7
	v_lshrrev_b32_e32 v3, 19, v8
	v_subrev_u32_e32 v10, 28, v7
	v_and_b32_e32 v3, 15, v3
	v_lshlrev_b32_sdwa v10, v10, v8 dst_sel:DWORD dst_unused:UNUSED_PAD src0_sel:DWORD src1_sel:WORD_1
	v_bfe_u32 v6, v8, 19, 4
	v_sub_u32_e32 v7, 29, v7
	v_and_b32_e32 v10, 7, v10
	v_cmp_eq_u16_e32 vcc, 0, v3
	v_cndmask_b32_e32 v2, v2, v10, vcc
	v_cndmask_b32_e32 v3, v6, v7, vcc
	v_lshlrev_b32_e32 v6, 8, v8
	v_mov_b32_e32 v7, 0x3b800000
	v_lshlrev_b32_e32 v2, 20, v2
	v_and_b32_e32 v6, 0x80000000, v6
	v_lshl_add_u32 v3, v3, 23, v7
	v_or3_b32 v2, v6, v3, v2
.LBB42_1492:
	s_or_b64 exec, exec, s[6:7]
	s_movk_i32 s4, 0xff
	v_and_b32_sdwa v3, v4, s4 dst_sel:DWORD dst_unused:UNUSED_PAD src0_sel:WORD_1 src1_sel:DWORD
	s_movk_i32 s4, 0x7f
	v_cmp_lt_i16_e32 vcc, s4, v3
	s_mov_b64 s[4:5], 0
                                        ; implicit-def: $sgpr10
	s_and_saveexec_b64 s[6:7], vcc
	s_xor_b64 s[6:7], exec, s[6:7]
	s_cbranch_execnz .LBB42_3541
; %bb.1493:
	s_or_saveexec_b64 s[6:7], s[6:7]
	v_mov_b32_e32 v6, s10
	s_xor_b64 exec, exec, s[6:7]
	s_cbranch_execnz .LBB42_3544
.LBB42_1494:
	s_or_b64 exec, exec, s[6:7]
	s_and_saveexec_b64 s[6:7], s[4:5]
	s_cbranch_execz .LBB42_1496
.LBB42_1495:
	v_bfe_u32 v3, v4, 16, 3
	v_ffbh_u32_e32 v10, v3
	v_min_u32_e32 v10, 32, v10
	v_lshrrev_b32_e32 v6, 19, v4
	v_subrev_u32_e32 v11, 28, v10
	v_and_b32_e32 v6, 15, v6
	v_lshlrev_b32_sdwa v11, v11, v4 dst_sel:DWORD dst_unused:UNUSED_PAD src0_sel:DWORD src1_sel:WORD_1
	v_bfe_u32 v7, v4, 19, 4
	v_sub_u32_e32 v10, 29, v10
	v_and_b32_e32 v11, 7, v11
	v_cmp_eq_u16_e32 vcc, 0, v6
	v_cndmask_b32_e32 v3, v3, v11, vcc
	v_cndmask_b32_e32 v6, v7, v10, vcc
	v_lshlrev_b32_e32 v7, 8, v4
	v_mov_b32_e32 v10, 0x3b800000
	v_lshlrev_b32_e32 v3, 20, v3
	v_and_b32_e32 v7, 0x80000000, v7
	v_lshl_add_u32 v6, v6, 23, v10
	v_or3_b32 v6, v7, v6, v3
.LBB42_1496:
	s_or_b64 exec, exec, s[6:7]
	s_nop 0
	v_mfma_f32_16x16x4f32 a[0:3], v2, v6, a[0:3]
	s_movk_i32 s4, 0x7f
	v_cmp_gt_i16_sdwa s[6:7], v8, s4 src0_sel:BYTE_3 src1_sel:DWORD
	s_mov_b64 s[4:5], 0
                                        ; implicit-def: $sgpr10
	s_and_saveexec_b64 s[8:9], s[6:7]
	s_xor_b64 s[6:7], exec, s[8:9]
	s_cbranch_execnz .LBB42_3545
; %bb.1497:
	s_or_saveexec_b64 s[6:7], s[6:7]
	v_mov_b32_e32 v2, s10
	s_xor_b64 exec, exec, s[6:7]
	s_cbranch_execnz .LBB42_3548
.LBB42_1498:
	s_or_b64 exec, exec, s[6:7]
	s_and_saveexec_b64 s[6:7], s[4:5]
	s_cbranch_execz .LBB42_1500
.LBB42_1499:
	v_bfe_u32 v2, v8, 24, 3
	v_ffbh_u32_e32 v10, v2
	v_min_u32_e32 v10, 32, v10
	v_lshrrev_b32_e32 v6, 27, v8
	v_subrev_u32_e32 v11, 28, v10
	v_and_b32_e32 v3, 0x80000000, v8
	v_and_b32_e32 v6, 15, v6
	v_bfe_u32 v7, v8, 27, 4
	v_lshlrev_b32_sdwa v8, v11, v8 dst_sel:DWORD dst_unused:UNUSED_PAD src0_sel:DWORD src1_sel:BYTE_3
	v_sub_u32_e32 v10, 29, v10
	v_and_b32_e32 v8, 7, v8
	v_cmp_eq_u16_e32 vcc, 0, v6
	v_cndmask_b32_e32 v2, v2, v8, vcc
	v_cndmask_b32_e32 v6, v7, v10, vcc
	v_mov_b32_e32 v7, 0x3b800000
	v_lshlrev_b32_e32 v2, 20, v2
	v_lshl_add_u32 v6, v6, 23, v7
	v_or3_b32 v2, v3, v6, v2
.LBB42_1500:
	s_or_b64 exec, exec, s[6:7]
	s_movk_i32 s4, 0x7f
	v_cmp_gt_i16_sdwa s[6:7], v4, s4 src0_sel:BYTE_3 src1_sel:DWORD
	s_mov_b64 s[4:5], 0
                                        ; implicit-def: $sgpr10
	s_and_saveexec_b64 s[8:9], s[6:7]
	s_xor_b64 s[6:7], exec, s[8:9]
	s_cbranch_execnz .LBB42_3549
; %bb.1501:
	s_or_saveexec_b64 s[6:7], s[6:7]
	v_mov_b32_e32 v3, s10
	s_xor_b64 exec, exec, s[6:7]
	s_cbranch_execnz .LBB42_3552
.LBB42_1502:
	s_or_b64 exec, exec, s[6:7]
	s_and_saveexec_b64 s[6:7], s[4:5]
	s_cbranch_execz .LBB42_1504
.LBB42_1503:
	v_bfe_u32 v3, v4, 24, 3
	v_ffbh_u32_e32 v10, v3
	v_min_u32_e32 v10, 32, v10
	v_lshrrev_b32_e32 v7, 27, v4
	v_subrev_u32_e32 v11, 28, v10
	v_and_b32_e32 v6, 0x80000000, v4
	v_and_b32_e32 v7, 15, v7
	v_bfe_u32 v8, v4, 27, 4
	v_lshlrev_b32_sdwa v4, v11, v4 dst_sel:DWORD dst_unused:UNUSED_PAD src0_sel:DWORD src1_sel:BYTE_3
	v_sub_u32_e32 v10, 29, v10
	v_and_b32_e32 v4, 7, v4
	v_cmp_eq_u16_e32 vcc, 0, v7
	v_cndmask_b32_e32 v3, v3, v4, vcc
	v_cndmask_b32_e32 v4, v8, v10, vcc
	v_mov_b32_e32 v7, 0x3b800000
	v_lshlrev_b32_e32 v3, 20, v3
	v_lshl_add_u32 v4, v4, 23, v7
	v_or3_b32 v3, v6, v4, v3
.LBB42_1504:
	s_or_b64 exec, exec, s[6:7]
	s_nop 0
	v_mfma_f32_16x16x4f32 a[0:3], v2, v3, a[0:3]
	s_movk_i32 s4, 0x7f
	v_cmp_gt_i16_sdwa s[6:7], v9, s4 src0_sel:BYTE_0 src1_sel:DWORD
	s_mov_b64 s[4:5], 0
                                        ; implicit-def: $sgpr10
	s_and_saveexec_b64 s[8:9], s[6:7]
	s_xor_b64 s[6:7], exec, s[8:9]
	s_cbranch_execnz .LBB42_3553
; %bb.1505:
	s_or_saveexec_b64 s[6:7], s[6:7]
	v_mov_b32_e32 v2, s10
	s_xor_b64 exec, exec, s[6:7]
	s_cbranch_execnz .LBB42_3556
.LBB42_1506:
	s_or_b64 exec, exec, s[6:7]
	s_and_saveexec_b64 s[6:7], s[4:5]
	s_cbranch_execz .LBB42_1508
.LBB42_1507:
	v_mov_b32_e32 v2, 8
	v_and_b32_e32 v3, 7, v9
	v_lshrrev_b32_sdwa v2, v2, v9 dst_sel:BYTE_1 dst_unused:UNUSED_PAD src0_sel:DWORD src1_sel:DWORD
	v_ffbh_u32_e32 v4, v3
	v_or_b32_sdwa v2, v9, v2 dst_sel:DWORD dst_unused:UNUSED_PAD src0_sel:BYTE_0 src1_sel:DWORD
	v_min_u32_e32 v4, 32, v4
	v_lshrrev_b16_e32 v2, 3, v2
	v_subrev_u32_e32 v6, 28, v4
	v_and_b32_e32 v2, 15, v2
	v_lshlrev_b32_e32 v6, v6, v9
	v_sub_u32_e32 v4, 29, v4
	v_and_b32_e32 v6, 7, v6
	v_cmp_eq_u16_e32 vcc, 0, v2
	v_cndmask_b32_e32 v3, v3, v6, vcc
	v_cndmask_b32_e32 v2, v2, v4, vcc
	v_lshlrev_b32_e32 v4, 24, v9
	v_mov_b32_e32 v6, 0x3b800000
	v_lshlrev_b32_e32 v3, 20, v3
	v_and_b32_e32 v4, 0x80000000, v4
	v_lshl_add_u32 v2, v2, 23, v6
	v_or3_b32 v2, v4, v2, v3
.LBB42_1508:
	s_or_b64 exec, exec, s[6:7]
	s_movk_i32 s4, 0x7f
	v_cmp_gt_i16_sdwa s[6:7], v5, s4 src0_sel:BYTE_0 src1_sel:DWORD
	s_mov_b64 s[4:5], 0
                                        ; implicit-def: $sgpr10
	s_and_saveexec_b64 s[8:9], s[6:7]
	s_xor_b64 s[6:7], exec, s[8:9]
	s_cbranch_execnz .LBB42_3557
; %bb.1509:
	s_or_saveexec_b64 s[6:7], s[6:7]
	v_mov_b32_e32 v3, s10
	s_xor_b64 exec, exec, s[6:7]
	s_cbranch_execnz .LBB42_3560
.LBB42_1510:
	s_or_b64 exec, exec, s[6:7]
	s_and_saveexec_b64 s[6:7], s[4:5]
	s_cbranch_execz .LBB42_1512
.LBB42_1511:
	v_mov_b32_e32 v3, 8
	v_and_b32_e32 v4, 7, v5
	v_lshrrev_b32_sdwa v3, v3, v5 dst_sel:BYTE_1 dst_unused:UNUSED_PAD src0_sel:DWORD src1_sel:DWORD
	v_ffbh_u32_e32 v6, v4
	v_or_b32_sdwa v3, v5, v3 dst_sel:DWORD dst_unused:UNUSED_PAD src0_sel:BYTE_0 src1_sel:DWORD
	v_min_u32_e32 v6, 32, v6
	v_lshrrev_b16_e32 v3, 3, v3
	v_subrev_u32_e32 v7, 28, v6
	v_and_b32_e32 v3, 15, v3
	v_lshlrev_b32_e32 v7, v7, v5
	v_sub_u32_e32 v6, 29, v6
	v_and_b32_e32 v7, 7, v7
	v_cmp_eq_u16_e32 vcc, 0, v3
	v_cndmask_b32_e32 v4, v4, v7, vcc
	v_cndmask_b32_e32 v3, v3, v6, vcc
	v_lshlrev_b32_e32 v6, 24, v5
	v_mov_b32_e32 v7, 0x3b800000
	v_lshlrev_b32_e32 v4, 20, v4
	v_and_b32_e32 v6, 0x80000000, v6
	v_lshl_add_u32 v3, v3, 23, v7
	v_or3_b32 v3, v6, v3, v4
.LBB42_1512:
	s_or_b64 exec, exec, s[6:7]
	s_nop 0
	v_mfma_f32_16x16x4f32 a[0:3], v2, v3, a[0:3]
	v_lshrrev_b32_e32 v3, 8, v9
	s_movk_i32 s4, 0x7f
	v_cmp_gt_i16_sdwa s[6:7], v3, s4 src0_sel:BYTE_0 src1_sel:DWORD
	s_mov_b64 s[4:5], 0
                                        ; implicit-def: $sgpr10
	s_and_saveexec_b64 s[8:9], s[6:7]
	s_xor_b64 s[6:7], exec, s[8:9]
	s_cbranch_execnz .LBB42_3561
; %bb.1513:
	s_or_saveexec_b64 s[6:7], s[6:7]
	v_mov_b32_e32 v2, s10
	s_xor_b64 exec, exec, s[6:7]
	s_cbranch_execnz .LBB42_3564
.LBB42_1514:
	s_or_b64 exec, exec, s[6:7]
	s_and_saveexec_b64 s[6:7], s[4:5]
	s_cbranch_execz .LBB42_1516
.LBB42_1515:
	v_bfe_u32 v2, v9, 8, 3
	v_ffbh_u32_e32 v6, v2
	v_min_u32_e32 v6, 32, v6
	v_lshrrev_b16_e32 v4, 3, v3
	v_subrev_u32_e32 v7, 28, v6
	v_and_b32_e32 v4, 15, v4
	v_lshlrev_b32_e32 v3, v7, v3
	v_sub_u32_e32 v6, 29, v6
	v_and_b32_e32 v3, 7, v3
	v_cmp_eq_u16_e32 vcc, 0, v4
	v_cndmask_b32_e32 v2, v2, v3, vcc
	v_cndmask_b32_e32 v3, v4, v6, vcc
	v_lshlrev_b32_e32 v4, 16, v9
	v_mov_b32_e32 v6, 0x3b800000
	v_lshlrev_b32_e32 v2, 20, v2
	v_and_b32_e32 v4, 0x80000000, v4
	v_lshl_add_u32 v3, v3, 23, v6
	v_or3_b32 v2, v4, v3, v2
.LBB42_1516:
	s_or_b64 exec, exec, s[6:7]
	v_lshrrev_b32_e32 v3, 8, v5
	s_movk_i32 s4, 0x7f
	v_cmp_gt_i16_sdwa s[6:7], v3, s4 src0_sel:BYTE_0 src1_sel:DWORD
	s_mov_b64 s[4:5], 0
                                        ; implicit-def: $sgpr10
	s_and_saveexec_b64 s[8:9], s[6:7]
	s_xor_b64 s[6:7], exec, s[8:9]
	s_cbranch_execnz .LBB42_3565
; %bb.1517:
	s_or_saveexec_b64 s[6:7], s[6:7]
	v_mov_b32_e32 v4, s10
	s_xor_b64 exec, exec, s[6:7]
	s_cbranch_execnz .LBB42_3568
.LBB42_1518:
	s_or_b64 exec, exec, s[6:7]
	s_and_saveexec_b64 s[6:7], s[4:5]
	s_cbranch_execz .LBB42_1520
.LBB42_1519:
	v_bfe_u32 v4, v5, 8, 3
	v_ffbh_u32_e32 v7, v4
	v_min_u32_e32 v7, 32, v7
	v_lshrrev_b16_e32 v6, 3, v3
	v_subrev_u32_e32 v8, 28, v7
	v_and_b32_e32 v6, 15, v6
	v_lshlrev_b32_e32 v3, v8, v3
	v_sub_u32_e32 v7, 29, v7
	v_and_b32_e32 v3, 7, v3
	v_cmp_eq_u16_e32 vcc, 0, v6
	v_cndmask_b32_e32 v3, v4, v3, vcc
	v_cndmask_b32_e32 v4, v6, v7, vcc
	v_lshlrev_b32_e32 v6, 16, v5
	v_mov_b32_e32 v7, 0x3b800000
	v_lshlrev_b32_e32 v3, 20, v3
	v_and_b32_e32 v6, 0x80000000, v6
	v_lshl_add_u32 v4, v4, 23, v7
	v_or3_b32 v4, v6, v4, v3
.LBB42_1520:
	s_or_b64 exec, exec, s[6:7]
	s_nop 0
	v_mfma_f32_16x16x4f32 a[0:3], v2, v4, a[0:3]
	s_movk_i32 s4, 0xff
	v_and_b32_sdwa v3, v9, s4 dst_sel:DWORD dst_unused:UNUSED_PAD src0_sel:WORD_1 src1_sel:DWORD
	s_movk_i32 s4, 0x7f
	v_cmp_lt_i16_e32 vcc, s4, v3
	s_mov_b64 s[4:5], 0
                                        ; implicit-def: $sgpr10
	s_and_saveexec_b64 s[6:7], vcc
	s_xor_b64 s[6:7], exec, s[6:7]
	s_cbranch_execnz .LBB42_3569
; %bb.1521:
	s_or_saveexec_b64 s[6:7], s[6:7]
	v_mov_b32_e32 v2, s10
	s_xor_b64 exec, exec, s[6:7]
	s_cbranch_execnz .LBB42_3572
.LBB42_1522:
	s_or_b64 exec, exec, s[6:7]
	s_and_saveexec_b64 s[6:7], s[4:5]
	s_cbranch_execz .LBB42_1524
.LBB42_1523:
	v_bfe_u32 v2, v9, 16, 3
	v_ffbh_u32_e32 v6, v2
	v_min_u32_e32 v6, 32, v6
	v_lshrrev_b32_e32 v3, 19, v9
	v_subrev_u32_e32 v7, 28, v6
	v_and_b32_e32 v3, 15, v3
	v_lshlrev_b32_sdwa v7, v7, v9 dst_sel:DWORD dst_unused:UNUSED_PAD src0_sel:DWORD src1_sel:WORD_1
	v_bfe_u32 v4, v9, 19, 4
	v_sub_u32_e32 v6, 29, v6
	v_and_b32_e32 v7, 7, v7
	v_cmp_eq_u16_e32 vcc, 0, v3
	v_cndmask_b32_e32 v2, v2, v7, vcc
	v_cndmask_b32_e32 v3, v4, v6, vcc
	v_lshlrev_b32_e32 v4, 8, v9
	v_mov_b32_e32 v6, 0x3b800000
	v_lshlrev_b32_e32 v2, 20, v2
	v_and_b32_e32 v4, 0x80000000, v4
	v_lshl_add_u32 v3, v3, 23, v6
	v_or3_b32 v2, v4, v3, v2
.LBB42_1524:
	s_or_b64 exec, exec, s[6:7]
	s_movk_i32 s4, 0xff
	v_and_b32_sdwa v3, v5, s4 dst_sel:DWORD dst_unused:UNUSED_PAD src0_sel:WORD_1 src1_sel:DWORD
	s_movk_i32 s4, 0x7f
	v_cmp_lt_i16_e32 vcc, s4, v3
	s_mov_b64 s[4:5], 0
                                        ; implicit-def: $sgpr10
	s_and_saveexec_b64 s[6:7], vcc
	s_xor_b64 s[6:7], exec, s[6:7]
	s_cbranch_execnz .LBB42_3573
; %bb.1525:
	s_or_saveexec_b64 s[6:7], s[6:7]
	v_mov_b32_e32 v4, s10
	s_xor_b64 exec, exec, s[6:7]
	s_cbranch_execnz .LBB42_3576
.LBB42_1526:
	s_or_b64 exec, exec, s[6:7]
	s_and_saveexec_b64 s[6:7], s[4:5]
	s_cbranch_execz .LBB42_1528
.LBB42_1527:
	v_bfe_u32 v3, v5, 16, 3
	v_ffbh_u32_e32 v7, v3
	v_min_u32_e32 v7, 32, v7
	v_lshrrev_b32_e32 v4, 19, v5
	v_subrev_u32_e32 v8, 28, v7
	v_and_b32_e32 v4, 15, v4
	v_lshlrev_b32_sdwa v8, v8, v5 dst_sel:DWORD dst_unused:UNUSED_PAD src0_sel:DWORD src1_sel:WORD_1
	v_bfe_u32 v6, v5, 19, 4
	v_sub_u32_e32 v7, 29, v7
	v_and_b32_e32 v8, 7, v8
	v_cmp_eq_u16_e32 vcc, 0, v4
	v_cndmask_b32_e32 v3, v3, v8, vcc
	v_cndmask_b32_e32 v4, v6, v7, vcc
	v_lshlrev_b32_e32 v6, 8, v5
	v_mov_b32_e32 v7, 0x3b800000
	v_lshlrev_b32_e32 v3, 20, v3
	v_and_b32_e32 v6, 0x80000000, v6
	v_lshl_add_u32 v4, v4, 23, v7
	v_or3_b32 v4, v6, v4, v3
.LBB42_1528:
	s_or_b64 exec, exec, s[6:7]
	s_nop 0
	v_mfma_f32_16x16x4f32 a[0:3], v2, v4, a[0:3]
	s_movk_i32 s4, 0x7f
	v_cmp_gt_i16_sdwa s[6:7], v9, s4 src0_sel:BYTE_3 src1_sel:DWORD
	s_mov_b64 s[4:5], 0
                                        ; implicit-def: $sgpr10
	s_and_saveexec_b64 s[8:9], s[6:7]
	s_xor_b64 s[6:7], exec, s[8:9]
	s_cbranch_execnz .LBB42_3577
; %bb.1529:
	s_or_saveexec_b64 s[6:7], s[6:7]
	v_mov_b32_e32 v2, s10
	s_xor_b64 exec, exec, s[6:7]
	s_cbranch_execnz .LBB42_3580
.LBB42_1530:
	s_or_b64 exec, exec, s[6:7]
	s_and_saveexec_b64 s[6:7], s[4:5]
	s_cbranch_execz .LBB42_1532
.LBB42_1531:
	v_bfe_u32 v2, v9, 24, 3
	v_ffbh_u32_e32 v7, v2
	v_min_u32_e32 v7, 32, v7
	v_lshrrev_b32_e32 v4, 27, v9
	v_subrev_u32_e32 v8, 28, v7
	v_and_b32_e32 v4, 15, v4
	v_lshlrev_b32_sdwa v8, v8, v9 dst_sel:DWORD dst_unused:UNUSED_PAD src0_sel:DWORD src1_sel:BYTE_3
	v_bfe_u32 v6, v9, 27, 4
	v_sub_u32_e32 v7, 29, v7
	v_and_b32_e32 v8, 7, v8
	v_cmp_eq_u16_e32 vcc, 0, v4
	v_cndmask_b32_e32 v2, v2, v8, vcc
	v_cndmask_b32_e32 v4, v6, v7, vcc
	v_mov_b32_e32 v6, 0x3b800000
	v_and_b32_e32 v3, 0x80000000, v9
	v_lshlrev_b32_e32 v2, 20, v2
	v_lshl_add_u32 v4, v4, 23, v6
	v_or3_b32 v2, v3, v4, v2
.LBB42_1532:
	s_or_b64 exec, exec, s[6:7]
	s_movk_i32 s4, 0x7f
	v_cmp_gt_i16_sdwa s[6:7], v5, s4 src0_sel:BYTE_3 src1_sel:DWORD
	s_mov_b64 s[4:5], 0
                                        ; implicit-def: $sgpr10
	s_and_saveexec_b64 s[8:9], s[6:7]
	s_xor_b64 s[6:7], exec, s[8:9]
	s_cbranch_execnz .LBB42_3581
; %bb.1533:
	s_or_saveexec_b64 s[6:7], s[6:7]
	v_mov_b32_e32 v3, s10
	s_xor_b64 exec, exec, s[6:7]
	s_cbranch_execnz .LBB42_3584
.LBB42_1534:
	s_or_b64 exec, exec, s[6:7]
	s_and_saveexec_b64 s[6:7], s[4:5]
	s_cbranch_execz .LBB42_1536
.LBB42_1535:
	v_bfe_u32 v3, v5, 24, 3
	v_ffbh_u32_e32 v8, v3
	v_min_u32_e32 v8, 32, v8
	v_lshrrev_b32_e32 v6, 27, v5
	v_subrev_u32_e32 v9, 28, v8
	v_and_b32_e32 v4, 0x80000000, v5
	v_and_b32_e32 v6, 15, v6
	v_bfe_u32 v7, v5, 27, 4
	v_lshlrev_b32_sdwa v5, v9, v5 dst_sel:DWORD dst_unused:UNUSED_PAD src0_sel:DWORD src1_sel:BYTE_3
	v_sub_u32_e32 v8, 29, v8
	v_and_b32_e32 v5, 7, v5
	v_cmp_eq_u16_e32 vcc, 0, v6
	v_cndmask_b32_e32 v3, v3, v5, vcc
	v_cndmask_b32_e32 v5, v7, v8, vcc
	v_mov_b32_e32 v6, 0x3b800000
	v_lshlrev_b32_e32 v3, 20, v3
	v_lshl_add_u32 v5, v5, 23, v6
	v_or3_b32 v3, v4, v5, v3
.LBB42_1536:
	s_or_b64 exec, exec, s[6:7]
	s_nop 0
	v_mfma_f32_16x16x4f32 a[0:3], v2, v3, a[0:3]
	s_movk_i32 s4, 0x7f
                                        ; implicit-def: $sgpr10
	s_nop 7
	s_nop 1
	flat_store_dwordx4 v[18:19], a[0:3] offset:848
	flat_load_dwordx4 v[20:23], v[0:1] offset:16
	s_nop 0
	flat_load_dwordx2 v[18:19], v[0:1] offset:32
	s_waitcnt vmcnt(0) lgkmcnt(0)
	flat_load_dwordx4 v[14:17], v[20:21]
	flat_load_dwordx4 v[6:9], v[20:21] offset:16
	flat_load_dwordx4 v[10:13], v[22:23] offset:448
	flat_load_dwordx4 v[2:5], v[22:23] offset:464
	s_waitcnt vmcnt(0) lgkmcnt(0)
	v_cmp_gt_i16_sdwa s[6:7], v14, s4 src0_sel:BYTE_0 src1_sel:DWORD
	s_mov_b64 s[4:5], 0
	s_and_saveexec_b64 s[8:9], s[6:7]
	s_xor_b64 s[6:7], exec, s[8:9]
	s_cbranch_execnz .LBB42_3585
; %bb.1537:
	s_or_saveexec_b64 s[6:7], s[6:7]
	v_mov_b32_e32 v20, s10
	s_xor_b64 exec, exec, s[6:7]
	s_cbranch_execnz .LBB42_3588
.LBB42_1538:
	s_or_b64 exec, exec, s[6:7]
	s_and_saveexec_b64 s[6:7], s[4:5]
	s_cbranch_execz .LBB42_1540
.LBB42_1539:
	v_and_b32_e32 v20, 7, v14
	v_ffbh_u32_e32 v22, v20
	v_min_u32_e32 v22, 32, v22
	v_lshrrev_b16_e32 v21, 3, v14
	v_subrev_u32_e32 v23, 28, v22
	v_and_b32_e32 v21, 15, v21
	v_lshlrev_b32_e32 v23, v23, v14
	v_sub_u32_e32 v22, 29, v22
	v_and_b32_e32 v23, 7, v23
	v_cmp_eq_u16_e32 vcc, 0, v21
	v_cndmask_b32_e32 v20, v20, v23, vcc
	v_cndmask_b32_e32 v21, v21, v22, vcc
	v_lshlrev_b32_e32 v22, 24, v14
	v_mov_b32_e32 v23, 0x3b800000
	v_lshlrev_b32_e32 v20, 20, v20
	v_and_b32_e32 v22, 0x80000000, v22
	v_lshl_add_u32 v21, v21, 23, v23
	v_or3_b32 v20, v22, v21, v20
.LBB42_1540:
	s_or_b64 exec, exec, s[6:7]
	s_movk_i32 s4, 0x7f
	v_cmp_gt_i16_sdwa s[6:7], v10, s4 src0_sel:BYTE_0 src1_sel:DWORD
	s_mov_b64 s[4:5], 0
                                        ; implicit-def: $sgpr10
	s_and_saveexec_b64 s[8:9], s[6:7]
	s_xor_b64 s[6:7], exec, s[8:9]
	s_cbranch_execnz .LBB42_3589
; %bb.1541:
	s_or_saveexec_b64 s[6:7], s[6:7]
	v_mov_b32_e32 v21, s10
	s_xor_b64 exec, exec, s[6:7]
	s_cbranch_execnz .LBB42_3592
.LBB42_1542:
	s_or_b64 exec, exec, s[6:7]
	s_and_saveexec_b64 s[6:7], s[4:5]
	s_cbranch_execz .LBB42_1544
.LBB42_1543:
	v_and_b32_e32 v21, 7, v10
	v_ffbh_u32_e32 v23, v21
	v_min_u32_e32 v23, 32, v23
	v_lshrrev_b16_e32 v22, 3, v10
	v_subrev_u32_e32 v24, 28, v23
	v_and_b32_e32 v22, 15, v22
	v_lshlrev_b32_e32 v24, v24, v10
	v_sub_u32_e32 v23, 29, v23
	v_and_b32_e32 v24, 7, v24
	v_cmp_eq_u16_e32 vcc, 0, v22
	v_cndmask_b32_e32 v21, v21, v24, vcc
	v_cndmask_b32_e32 v22, v22, v23, vcc
	v_lshlrev_b32_e32 v23, 24, v10
	v_mov_b32_e32 v24, 0x3b800000
	v_lshlrev_b32_e32 v21, 20, v21
	v_and_b32_e32 v23, 0x80000000, v23
	v_lshl_add_u32 v22, v22, 23, v24
	v_or3_b32 v21, v23, v22, v21
.LBB42_1544:
	s_or_b64 exec, exec, s[6:7]
	flat_load_dwordx4 a[0:3], v[18:19] offset:864
	s_movk_i32 s4, 0x7f
                                        ; implicit-def: $sgpr10
	s_waitcnt vmcnt(0) lgkmcnt(0)
	v_mfma_f32_16x16x4f32 a[0:3], v20, v21, a[0:3]
	v_lshrrev_b32_e32 v21, 8, v14
	v_cmp_gt_i16_sdwa s[6:7], v21, s4 src0_sel:BYTE_0 src1_sel:DWORD
	s_mov_b64 s[4:5], 0
	s_and_saveexec_b64 s[8:9], s[6:7]
	s_xor_b64 s[6:7], exec, s[8:9]
	s_cbranch_execnz .LBB42_3593
; %bb.1545:
	s_or_saveexec_b64 s[6:7], s[6:7]
	v_mov_b32_e32 v20, s10
	s_xor_b64 exec, exec, s[6:7]
	s_cbranch_execnz .LBB42_3596
.LBB42_1546:
	s_or_b64 exec, exec, s[6:7]
	s_and_saveexec_b64 s[6:7], s[4:5]
	s_cbranch_execz .LBB42_1548
.LBB42_1547:
	v_bfe_u32 v20, v14, 8, 3
	v_ffbh_u32_e32 v23, v20
	v_min_u32_e32 v23, 32, v23
	v_lshrrev_b16_e32 v22, 3, v21
	v_subrev_u32_e32 v24, 28, v23
	v_and_b32_e32 v22, 15, v22
	v_lshlrev_b32_e32 v21, v24, v21
	v_sub_u32_e32 v23, 29, v23
	v_and_b32_e32 v21, 7, v21
	v_cmp_eq_u16_e32 vcc, 0, v22
	v_cndmask_b32_e32 v20, v20, v21, vcc
	v_cndmask_b32_e32 v21, v22, v23, vcc
	v_lshlrev_b32_e32 v22, 16, v14
	v_mov_b32_e32 v23, 0x3b800000
	v_lshlrev_b32_e32 v20, 20, v20
	v_and_b32_e32 v22, 0x80000000, v22
	v_lshl_add_u32 v21, v21, 23, v23
	v_or3_b32 v20, v22, v21, v20
.LBB42_1548:
	s_or_b64 exec, exec, s[6:7]
	v_lshrrev_b32_e32 v21, 8, v10
	s_movk_i32 s4, 0x7f
	v_cmp_gt_i16_sdwa s[6:7], v21, s4 src0_sel:BYTE_0 src1_sel:DWORD
	s_mov_b64 s[4:5], 0
                                        ; implicit-def: $sgpr10
	s_and_saveexec_b64 s[8:9], s[6:7]
	s_xor_b64 s[6:7], exec, s[8:9]
	s_cbranch_execnz .LBB42_3597
; %bb.1549:
	s_or_saveexec_b64 s[6:7], s[6:7]
	v_mov_b32_e32 v22, s10
	s_xor_b64 exec, exec, s[6:7]
	s_cbranch_execnz .LBB42_3600
.LBB42_1550:
	s_or_b64 exec, exec, s[6:7]
	s_and_saveexec_b64 s[6:7], s[4:5]
	s_cbranch_execz .LBB42_1552
.LBB42_1551:
	v_bfe_u32 v22, v10, 8, 3
	v_ffbh_u32_e32 v24, v22
	v_min_u32_e32 v24, 32, v24
	v_lshrrev_b16_e32 v23, 3, v21
	v_subrev_u32_e32 v25, 28, v24
	v_and_b32_e32 v23, 15, v23
	v_lshlrev_b32_e32 v21, v25, v21
	v_sub_u32_e32 v24, 29, v24
	v_and_b32_e32 v21, 7, v21
	v_cmp_eq_u16_e32 vcc, 0, v23
	v_cndmask_b32_e32 v21, v22, v21, vcc
	v_cndmask_b32_e32 v22, v23, v24, vcc
	v_lshlrev_b32_e32 v23, 16, v10
	v_mov_b32_e32 v24, 0x3b800000
	v_lshlrev_b32_e32 v21, 20, v21
	v_and_b32_e32 v23, 0x80000000, v23
	v_lshl_add_u32 v22, v22, 23, v24
	v_or3_b32 v22, v23, v22, v21
.LBB42_1552:
	s_or_b64 exec, exec, s[6:7]
	s_nop 0
	v_mfma_f32_16x16x4f32 a[0:3], v20, v22, a[0:3]
	s_movk_i32 s4, 0xff
	v_and_b32_sdwa v21, v14, s4 dst_sel:DWORD dst_unused:UNUSED_PAD src0_sel:WORD_1 src1_sel:DWORD
	s_movk_i32 s4, 0x7f
	v_cmp_lt_i16_e32 vcc, s4, v21
	s_mov_b64 s[4:5], 0
                                        ; implicit-def: $sgpr10
	s_and_saveexec_b64 s[6:7], vcc
	s_xor_b64 s[6:7], exec, s[6:7]
	s_cbranch_execnz .LBB42_3601
; %bb.1553:
	s_or_saveexec_b64 s[6:7], s[6:7]
	v_mov_b32_e32 v20, s10
	s_xor_b64 exec, exec, s[6:7]
	s_cbranch_execnz .LBB42_3604
.LBB42_1554:
	s_or_b64 exec, exec, s[6:7]
	s_and_saveexec_b64 s[6:7], s[4:5]
	s_cbranch_execz .LBB42_1556
.LBB42_1555:
	v_bfe_u32 v20, v14, 16, 3
	v_ffbh_u32_e32 v23, v20
	v_min_u32_e32 v23, 32, v23
	v_lshrrev_b32_e32 v21, 19, v14
	v_subrev_u32_e32 v24, 28, v23
	v_and_b32_e32 v21, 15, v21
	v_lshlrev_b32_sdwa v24, v24, v14 dst_sel:DWORD dst_unused:UNUSED_PAD src0_sel:DWORD src1_sel:WORD_1
	v_bfe_u32 v22, v14, 19, 4
	v_sub_u32_e32 v23, 29, v23
	v_and_b32_e32 v24, 7, v24
	v_cmp_eq_u16_e32 vcc, 0, v21
	v_cndmask_b32_e32 v20, v20, v24, vcc
	v_cndmask_b32_e32 v21, v22, v23, vcc
	v_lshlrev_b32_e32 v22, 8, v14
	v_mov_b32_e32 v23, 0x3b800000
	v_lshlrev_b32_e32 v20, 20, v20
	v_and_b32_e32 v22, 0x80000000, v22
	v_lshl_add_u32 v21, v21, 23, v23
	v_or3_b32 v20, v22, v21, v20
.LBB42_1556:
	s_or_b64 exec, exec, s[6:7]
	s_movk_i32 s4, 0xff
	v_and_b32_sdwa v21, v10, s4 dst_sel:DWORD dst_unused:UNUSED_PAD src0_sel:WORD_1 src1_sel:DWORD
	s_movk_i32 s4, 0x7f
	v_cmp_lt_i16_e32 vcc, s4, v21
	s_mov_b64 s[4:5], 0
                                        ; implicit-def: $sgpr10
	s_and_saveexec_b64 s[6:7], vcc
	s_xor_b64 s[6:7], exec, s[6:7]
	s_cbranch_execnz .LBB42_3605
; %bb.1557:
	s_or_saveexec_b64 s[6:7], s[6:7]
	v_mov_b32_e32 v22, s10
	s_xor_b64 exec, exec, s[6:7]
	s_cbranch_execnz .LBB42_3608
.LBB42_1558:
	s_or_b64 exec, exec, s[6:7]
	s_and_saveexec_b64 s[6:7], s[4:5]
	s_cbranch_execz .LBB42_1560
.LBB42_1559:
	v_bfe_u32 v21, v10, 16, 3
	v_ffbh_u32_e32 v24, v21
	v_min_u32_e32 v24, 32, v24
	v_lshrrev_b32_e32 v22, 19, v10
	v_subrev_u32_e32 v25, 28, v24
	v_and_b32_e32 v22, 15, v22
	v_lshlrev_b32_sdwa v25, v25, v10 dst_sel:DWORD dst_unused:UNUSED_PAD src0_sel:DWORD src1_sel:WORD_1
	v_bfe_u32 v23, v10, 19, 4
	v_sub_u32_e32 v24, 29, v24
	v_and_b32_e32 v25, 7, v25
	v_cmp_eq_u16_e32 vcc, 0, v22
	v_cndmask_b32_e32 v21, v21, v25, vcc
	v_cndmask_b32_e32 v22, v23, v24, vcc
	v_lshlrev_b32_e32 v23, 8, v10
	v_mov_b32_e32 v24, 0x3b800000
	v_lshlrev_b32_e32 v21, 20, v21
	v_and_b32_e32 v23, 0x80000000, v23
	v_lshl_add_u32 v22, v22, 23, v24
	v_or3_b32 v22, v23, v22, v21
.LBB42_1560:
	s_or_b64 exec, exec, s[6:7]
	s_nop 0
	v_mfma_f32_16x16x4f32 a[0:3], v20, v22, a[0:3]
	s_movk_i32 s4, 0x7f
	v_cmp_gt_i16_sdwa s[6:7], v14, s4 src0_sel:BYTE_3 src1_sel:DWORD
	s_mov_b64 s[4:5], 0
                                        ; implicit-def: $sgpr10
	s_and_saveexec_b64 s[8:9], s[6:7]
	s_xor_b64 s[6:7], exec, s[8:9]
	s_cbranch_execnz .LBB42_3609
; %bb.1561:
	s_or_saveexec_b64 s[6:7], s[6:7]
	v_mov_b32_e32 v20, s10
	s_xor_b64 exec, exec, s[6:7]
	s_cbranch_execnz .LBB42_3612
.LBB42_1562:
	s_or_b64 exec, exec, s[6:7]
	s_and_saveexec_b64 s[6:7], s[4:5]
	s_cbranch_execz .LBB42_1564
.LBB42_1563:
	v_bfe_u32 v20, v14, 24, 3
	v_ffbh_u32_e32 v24, v20
	v_min_u32_e32 v24, 32, v24
	v_lshrrev_b32_e32 v22, 27, v14
	v_subrev_u32_e32 v25, 28, v24
	v_and_b32_e32 v21, 0x80000000, v14
	v_and_b32_e32 v22, 15, v22
	v_bfe_u32 v23, v14, 27, 4
	v_lshlrev_b32_sdwa v14, v25, v14 dst_sel:DWORD dst_unused:UNUSED_PAD src0_sel:DWORD src1_sel:BYTE_3
	v_sub_u32_e32 v24, 29, v24
	v_and_b32_e32 v14, 7, v14
	v_cmp_eq_u16_e32 vcc, 0, v22
	v_cndmask_b32_e32 v14, v20, v14, vcc
	v_cndmask_b32_e32 v20, v23, v24, vcc
	v_mov_b32_e32 v22, 0x3b800000
	v_lshlrev_b32_e32 v14, 20, v14
	v_lshl_add_u32 v20, v20, 23, v22
	v_or3_b32 v20, v21, v20, v14
.LBB42_1564:
	s_or_b64 exec, exec, s[6:7]
	s_movk_i32 s4, 0x7f
	v_cmp_gt_i16_sdwa s[6:7], v10, s4 src0_sel:BYTE_3 src1_sel:DWORD
	s_mov_b64 s[4:5], 0
                                        ; implicit-def: $sgpr10
	s_and_saveexec_b64 s[8:9], s[6:7]
	s_xor_b64 s[6:7], exec, s[8:9]
	s_cbranch_execnz .LBB42_3613
; %bb.1565:
	s_or_saveexec_b64 s[6:7], s[6:7]
	v_mov_b32_e32 v14, s10
	s_xor_b64 exec, exec, s[6:7]
	s_cbranch_execnz .LBB42_3616
.LBB42_1566:
	s_or_b64 exec, exec, s[6:7]
	s_and_saveexec_b64 s[6:7], s[4:5]
	s_cbranch_execz .LBB42_1568
.LBB42_1567:
	v_bfe_u32 v14, v10, 24, 3
	v_ffbh_u32_e32 v24, v14
	v_min_u32_e32 v24, 32, v24
	v_lshrrev_b32_e32 v22, 27, v10
	v_subrev_u32_e32 v25, 28, v24
	v_and_b32_e32 v21, 0x80000000, v10
	v_and_b32_e32 v22, 15, v22
	v_bfe_u32 v23, v10, 27, 4
	v_lshlrev_b32_sdwa v10, v25, v10 dst_sel:DWORD dst_unused:UNUSED_PAD src0_sel:DWORD src1_sel:BYTE_3
	v_sub_u32_e32 v24, 29, v24
	v_and_b32_e32 v10, 7, v10
	v_cmp_eq_u16_e32 vcc, 0, v22
	v_cndmask_b32_e32 v10, v14, v10, vcc
	v_cndmask_b32_e32 v14, v23, v24, vcc
	v_mov_b32_e32 v22, 0x3b800000
	v_lshlrev_b32_e32 v10, 20, v10
	v_lshl_add_u32 v14, v14, 23, v22
	v_or3_b32 v14, v21, v14, v10
.LBB42_1568:
	s_or_b64 exec, exec, s[6:7]
	s_nop 0
	v_mfma_f32_16x16x4f32 a[0:3], v20, v14, a[0:3]
	s_movk_i32 s4, 0x7f
	v_cmp_gt_i16_sdwa s[6:7], v15, s4 src0_sel:BYTE_0 src1_sel:DWORD
	s_mov_b64 s[4:5], 0
                                        ; implicit-def: $sgpr10
	s_and_saveexec_b64 s[8:9], s[6:7]
	s_xor_b64 s[6:7], exec, s[8:9]
	s_cbranch_execnz .LBB42_3617
; %bb.1569:
	s_or_saveexec_b64 s[6:7], s[6:7]
	v_mov_b32_e32 v10, s10
	s_xor_b64 exec, exec, s[6:7]
	s_cbranch_execnz .LBB42_3620
.LBB42_1570:
	s_or_b64 exec, exec, s[6:7]
	s_and_saveexec_b64 s[6:7], s[4:5]
	s_cbranch_execz .LBB42_1572
.LBB42_1571:
	v_and_b32_e32 v10, 7, v15
	v_ffbh_u32_e32 v20, v10
	v_min_u32_e32 v20, 32, v20
	v_lshrrev_b16_e32 v14, 3, v15
	v_subrev_u32_e32 v21, 28, v20
	v_and_b32_e32 v14, 15, v14
	v_lshlrev_b32_e32 v21, v21, v15
	v_sub_u32_e32 v20, 29, v20
	v_and_b32_e32 v21, 7, v21
	v_cmp_eq_u16_e32 vcc, 0, v14
	v_cndmask_b32_e32 v10, v10, v21, vcc
	v_cndmask_b32_e32 v14, v14, v20, vcc
	v_lshlrev_b32_e32 v20, 24, v15
	v_mov_b32_e32 v21, 0x3b800000
	v_lshlrev_b32_e32 v10, 20, v10
	v_and_b32_e32 v20, 0x80000000, v20
	v_lshl_add_u32 v14, v14, 23, v21
	v_or3_b32 v10, v20, v14, v10
.LBB42_1572:
	s_or_b64 exec, exec, s[6:7]
	s_movk_i32 s4, 0x7f
	v_cmp_gt_i16_sdwa s[6:7], v11, s4 src0_sel:BYTE_0 src1_sel:DWORD
	s_mov_b64 s[4:5], 0
                                        ; implicit-def: $sgpr10
	s_and_saveexec_b64 s[8:9], s[6:7]
	s_xor_b64 s[6:7], exec, s[8:9]
	s_cbranch_execnz .LBB42_3621
; %bb.1573:
	s_or_saveexec_b64 s[6:7], s[6:7]
	v_mov_b32_e32 v14, s10
	s_xor_b64 exec, exec, s[6:7]
	s_cbranch_execnz .LBB42_3624
.LBB42_1574:
	s_or_b64 exec, exec, s[6:7]
	s_and_saveexec_b64 s[6:7], s[4:5]
	s_cbranch_execz .LBB42_1576
.LBB42_1575:
	v_and_b32_e32 v14, 7, v11
	v_ffbh_u32_e32 v21, v14
	v_min_u32_e32 v21, 32, v21
	v_lshrrev_b16_e32 v20, 3, v11
	v_subrev_u32_e32 v22, 28, v21
	v_and_b32_e32 v20, 15, v20
	v_lshlrev_b32_e32 v22, v22, v11
	v_sub_u32_e32 v21, 29, v21
	v_and_b32_e32 v22, 7, v22
	v_cmp_eq_u16_e32 vcc, 0, v20
	v_cndmask_b32_e32 v14, v14, v22, vcc
	v_cndmask_b32_e32 v20, v20, v21, vcc
	v_lshlrev_b32_e32 v21, 24, v11
	v_mov_b32_e32 v22, 0x3b800000
	v_lshlrev_b32_e32 v14, 20, v14
	v_and_b32_e32 v21, 0x80000000, v21
	v_lshl_add_u32 v20, v20, 23, v22
	v_or3_b32 v14, v21, v20, v14
.LBB42_1576:
	s_or_b64 exec, exec, s[6:7]
	s_nop 0
	v_mfma_f32_16x16x4f32 a[0:3], v10, v14, a[0:3]
	v_lshrrev_b32_e32 v14, 8, v15
	s_movk_i32 s4, 0x7f
	v_cmp_gt_i16_sdwa s[6:7], v14, s4 src0_sel:BYTE_0 src1_sel:DWORD
	s_mov_b64 s[4:5], 0
                                        ; implicit-def: $sgpr10
	s_and_saveexec_b64 s[8:9], s[6:7]
	s_xor_b64 s[6:7], exec, s[8:9]
	s_cbranch_execnz .LBB42_3625
; %bb.1577:
	s_or_saveexec_b64 s[6:7], s[6:7]
	v_mov_b32_e32 v10, s10
	s_xor_b64 exec, exec, s[6:7]
	s_cbranch_execnz .LBB42_3628
.LBB42_1578:
	s_or_b64 exec, exec, s[6:7]
	s_and_saveexec_b64 s[6:7], s[4:5]
	s_cbranch_execz .LBB42_1580
.LBB42_1579:
	v_bfe_u32 v10, v15, 8, 3
	v_ffbh_u32_e32 v21, v10
	v_min_u32_e32 v21, 32, v21
	v_lshrrev_b16_e32 v20, 3, v14
	v_subrev_u32_e32 v22, 28, v21
	v_and_b32_e32 v20, 15, v20
	v_lshlrev_b32_e32 v14, v22, v14
	v_sub_u32_e32 v21, 29, v21
	v_and_b32_e32 v14, 7, v14
	v_cmp_eq_u16_e32 vcc, 0, v20
	v_cndmask_b32_e32 v10, v10, v14, vcc
	v_cndmask_b32_e32 v14, v20, v21, vcc
	v_lshlrev_b32_e32 v20, 16, v15
	v_mov_b32_e32 v21, 0x3b800000
	v_lshlrev_b32_e32 v10, 20, v10
	v_and_b32_e32 v20, 0x80000000, v20
	v_lshl_add_u32 v14, v14, 23, v21
	v_or3_b32 v10, v20, v14, v10
.LBB42_1580:
	s_or_b64 exec, exec, s[6:7]
	v_lshrrev_b32_e32 v14, 8, v11
	s_movk_i32 s4, 0x7f
	v_cmp_gt_i16_sdwa s[6:7], v14, s4 src0_sel:BYTE_0 src1_sel:DWORD
	s_mov_b64 s[4:5], 0
                                        ; implicit-def: $sgpr10
	s_and_saveexec_b64 s[8:9], s[6:7]
	s_xor_b64 s[6:7], exec, s[8:9]
	s_cbranch_execnz .LBB42_3629
; %bb.1581:
	s_or_saveexec_b64 s[6:7], s[6:7]
	v_mov_b32_e32 v20, s10
	s_xor_b64 exec, exec, s[6:7]
	s_cbranch_execnz .LBB42_3632
.LBB42_1582:
	s_or_b64 exec, exec, s[6:7]
	s_and_saveexec_b64 s[6:7], s[4:5]
	s_cbranch_execz .LBB42_1584
.LBB42_1583:
	v_bfe_u32 v20, v11, 8, 3
	v_ffbh_u32_e32 v22, v20
	v_min_u32_e32 v22, 32, v22
	v_lshrrev_b16_e32 v21, 3, v14
	v_subrev_u32_e32 v23, 28, v22
	v_and_b32_e32 v21, 15, v21
	v_lshlrev_b32_e32 v14, v23, v14
	v_sub_u32_e32 v22, 29, v22
	v_and_b32_e32 v14, 7, v14
	v_cmp_eq_u16_e32 vcc, 0, v21
	v_cndmask_b32_e32 v14, v20, v14, vcc
	v_cndmask_b32_e32 v20, v21, v22, vcc
	v_lshlrev_b32_e32 v21, 16, v11
	v_mov_b32_e32 v22, 0x3b800000
	v_lshlrev_b32_e32 v14, 20, v14
	v_and_b32_e32 v21, 0x80000000, v21
	v_lshl_add_u32 v20, v20, 23, v22
	v_or3_b32 v20, v21, v20, v14
.LBB42_1584:
	s_or_b64 exec, exec, s[6:7]
	s_nop 0
	v_mfma_f32_16x16x4f32 a[0:3], v10, v20, a[0:3]
	s_movk_i32 s4, 0xff
	v_and_b32_sdwa v14, v15, s4 dst_sel:DWORD dst_unused:UNUSED_PAD src0_sel:WORD_1 src1_sel:DWORD
	s_movk_i32 s4, 0x7f
	v_cmp_lt_i16_e32 vcc, s4, v14
	s_mov_b64 s[4:5], 0
                                        ; implicit-def: $sgpr10
	s_and_saveexec_b64 s[6:7], vcc
	s_xor_b64 s[6:7], exec, s[6:7]
	s_cbranch_execnz .LBB42_3633
; %bb.1585:
	s_or_saveexec_b64 s[6:7], s[6:7]
	v_mov_b32_e32 v10, s10
	s_xor_b64 exec, exec, s[6:7]
	s_cbranch_execnz .LBB42_3636
.LBB42_1586:
	s_or_b64 exec, exec, s[6:7]
	s_and_saveexec_b64 s[6:7], s[4:5]
	s_cbranch_execz .LBB42_1588
.LBB42_1587:
	v_bfe_u32 v10, v15, 16, 3
	v_ffbh_u32_e32 v21, v10
	v_min_u32_e32 v21, 32, v21
	v_lshrrev_b32_e32 v14, 19, v15
	v_subrev_u32_e32 v22, 28, v21
	v_and_b32_e32 v14, 15, v14
	v_lshlrev_b32_sdwa v22, v22, v15 dst_sel:DWORD dst_unused:UNUSED_PAD src0_sel:DWORD src1_sel:WORD_1
	v_bfe_u32 v20, v15, 19, 4
	v_sub_u32_e32 v21, 29, v21
	v_and_b32_e32 v22, 7, v22
	v_cmp_eq_u16_e32 vcc, 0, v14
	v_cndmask_b32_e32 v10, v10, v22, vcc
	v_cndmask_b32_e32 v14, v20, v21, vcc
	v_lshlrev_b32_e32 v20, 8, v15
	v_mov_b32_e32 v21, 0x3b800000
	v_lshlrev_b32_e32 v10, 20, v10
	v_and_b32_e32 v20, 0x80000000, v20
	v_lshl_add_u32 v14, v14, 23, v21
	v_or3_b32 v10, v20, v14, v10
.LBB42_1588:
	s_or_b64 exec, exec, s[6:7]
	s_movk_i32 s4, 0xff
	v_and_b32_sdwa v14, v11, s4 dst_sel:DWORD dst_unused:UNUSED_PAD src0_sel:WORD_1 src1_sel:DWORD
	s_movk_i32 s4, 0x7f
	v_cmp_lt_i16_e32 vcc, s4, v14
	s_mov_b64 s[4:5], 0
                                        ; implicit-def: $sgpr10
	s_and_saveexec_b64 s[6:7], vcc
	s_xor_b64 s[6:7], exec, s[6:7]
	s_cbranch_execnz .LBB42_3637
; %bb.1589:
	s_or_saveexec_b64 s[6:7], s[6:7]
	v_mov_b32_e32 v20, s10
	s_xor_b64 exec, exec, s[6:7]
	s_cbranch_execnz .LBB42_3640
.LBB42_1590:
	s_or_b64 exec, exec, s[6:7]
	s_and_saveexec_b64 s[6:7], s[4:5]
	s_cbranch_execz .LBB42_1592
.LBB42_1591:
	v_bfe_u32 v14, v11, 16, 3
	v_ffbh_u32_e32 v22, v14
	v_min_u32_e32 v22, 32, v22
	v_lshrrev_b32_e32 v20, 19, v11
	v_subrev_u32_e32 v23, 28, v22
	v_and_b32_e32 v20, 15, v20
	v_lshlrev_b32_sdwa v23, v23, v11 dst_sel:DWORD dst_unused:UNUSED_PAD src0_sel:DWORD src1_sel:WORD_1
	v_bfe_u32 v21, v11, 19, 4
	v_sub_u32_e32 v22, 29, v22
	v_and_b32_e32 v23, 7, v23
	v_cmp_eq_u16_e32 vcc, 0, v20
	v_cndmask_b32_e32 v14, v14, v23, vcc
	v_cndmask_b32_e32 v20, v21, v22, vcc
	v_lshlrev_b32_e32 v21, 8, v11
	v_mov_b32_e32 v22, 0x3b800000
	v_lshlrev_b32_e32 v14, 20, v14
	v_and_b32_e32 v21, 0x80000000, v21
	v_lshl_add_u32 v20, v20, 23, v22
	v_or3_b32 v20, v21, v20, v14
.LBB42_1592:
	s_or_b64 exec, exec, s[6:7]
	s_nop 0
	v_mfma_f32_16x16x4f32 a[0:3], v10, v20, a[0:3]
	s_movk_i32 s4, 0x7f
	v_cmp_gt_i16_sdwa s[6:7], v15, s4 src0_sel:BYTE_3 src1_sel:DWORD
	s_mov_b64 s[4:5], 0
                                        ; implicit-def: $sgpr10
	s_and_saveexec_b64 s[8:9], s[6:7]
	s_xor_b64 s[6:7], exec, s[8:9]
	s_cbranch_execnz .LBB42_3641
; %bb.1593:
	s_or_saveexec_b64 s[6:7], s[6:7]
	v_mov_b32_e32 v10, s10
	s_xor_b64 exec, exec, s[6:7]
	s_cbranch_execnz .LBB42_3644
.LBB42_1594:
	s_or_b64 exec, exec, s[6:7]
	s_and_saveexec_b64 s[6:7], s[4:5]
	s_cbranch_execz .LBB42_1596
.LBB42_1595:
	v_bfe_u32 v10, v15, 24, 3
	v_ffbh_u32_e32 v22, v10
	v_min_u32_e32 v22, 32, v22
	v_lshrrev_b32_e32 v20, 27, v15
	v_subrev_u32_e32 v23, 28, v22
	v_and_b32_e32 v14, 0x80000000, v15
	v_and_b32_e32 v20, 15, v20
	v_bfe_u32 v21, v15, 27, 4
	v_lshlrev_b32_sdwa v15, v23, v15 dst_sel:DWORD dst_unused:UNUSED_PAD src0_sel:DWORD src1_sel:BYTE_3
	v_sub_u32_e32 v22, 29, v22
	v_and_b32_e32 v15, 7, v15
	v_cmp_eq_u16_e32 vcc, 0, v20
	v_cndmask_b32_e32 v10, v10, v15, vcc
	v_cndmask_b32_e32 v15, v21, v22, vcc
	v_mov_b32_e32 v20, 0x3b800000
	v_lshlrev_b32_e32 v10, 20, v10
	v_lshl_add_u32 v15, v15, 23, v20
	v_or3_b32 v10, v14, v15, v10
.LBB42_1596:
	s_or_b64 exec, exec, s[6:7]
	s_movk_i32 s4, 0x7f
	v_cmp_gt_i16_sdwa s[6:7], v11, s4 src0_sel:BYTE_3 src1_sel:DWORD
	s_mov_b64 s[4:5], 0
                                        ; implicit-def: $sgpr10
	s_and_saveexec_b64 s[8:9], s[6:7]
	s_xor_b64 s[6:7], exec, s[8:9]
	s_cbranch_execnz .LBB42_3645
; %bb.1597:
	s_or_saveexec_b64 s[6:7], s[6:7]
	v_mov_b32_e32 v14, s10
	s_xor_b64 exec, exec, s[6:7]
	s_cbranch_execnz .LBB42_3648
.LBB42_1598:
	s_or_b64 exec, exec, s[6:7]
	s_and_saveexec_b64 s[6:7], s[4:5]
	s_cbranch_execz .LBB42_1600
.LBB42_1599:
	v_bfe_u32 v14, v11, 24, 3
	v_ffbh_u32_e32 v22, v14
	v_min_u32_e32 v22, 32, v22
	v_lshrrev_b32_e32 v20, 27, v11
	v_subrev_u32_e32 v23, 28, v22
	v_and_b32_e32 v15, 0x80000000, v11
	v_and_b32_e32 v20, 15, v20
	v_bfe_u32 v21, v11, 27, 4
	v_lshlrev_b32_sdwa v11, v23, v11 dst_sel:DWORD dst_unused:UNUSED_PAD src0_sel:DWORD src1_sel:BYTE_3
	v_sub_u32_e32 v22, 29, v22
	v_and_b32_e32 v11, 7, v11
	v_cmp_eq_u16_e32 vcc, 0, v20
	v_cndmask_b32_e32 v11, v14, v11, vcc
	v_cndmask_b32_e32 v14, v21, v22, vcc
	v_mov_b32_e32 v20, 0x3b800000
	v_lshlrev_b32_e32 v11, 20, v11
	v_lshl_add_u32 v14, v14, 23, v20
	v_or3_b32 v14, v15, v14, v11
.LBB42_1600:
	s_or_b64 exec, exec, s[6:7]
	s_nop 0
	v_mfma_f32_16x16x4f32 a[0:3], v10, v14, a[0:3]
	s_movk_i32 s4, 0x7f
	v_cmp_gt_i16_sdwa s[6:7], v16, s4 src0_sel:BYTE_0 src1_sel:DWORD
	s_mov_b64 s[4:5], 0
                                        ; implicit-def: $sgpr10
	s_and_saveexec_b64 s[8:9], s[6:7]
	s_xor_b64 s[6:7], exec, s[8:9]
	s_cbranch_execnz .LBB42_3649
; %bb.1601:
	s_or_saveexec_b64 s[6:7], s[6:7]
	v_mov_b32_e32 v10, s10
	s_xor_b64 exec, exec, s[6:7]
	s_cbranch_execnz .LBB42_3652
.LBB42_1602:
	s_or_b64 exec, exec, s[6:7]
	s_and_saveexec_b64 s[6:7], s[4:5]
	s_cbranch_execz .LBB42_1604
.LBB42_1603:
	v_and_b32_e32 v10, 7, v16
	v_ffbh_u32_e32 v14, v10
	v_min_u32_e32 v14, 32, v14
	v_lshrrev_b16_e32 v11, 3, v16
	v_subrev_u32_e32 v15, 28, v14
	v_and_b32_e32 v11, 15, v11
	v_lshlrev_b32_e32 v15, v15, v16
	v_sub_u32_e32 v14, 29, v14
	v_and_b32_e32 v15, 7, v15
	v_cmp_eq_u16_e32 vcc, 0, v11
	v_cndmask_b32_e32 v10, v10, v15, vcc
	v_cndmask_b32_e32 v11, v11, v14, vcc
	v_lshlrev_b32_e32 v14, 24, v16
	v_mov_b32_e32 v15, 0x3b800000
	v_lshlrev_b32_e32 v10, 20, v10
	v_and_b32_e32 v14, 0x80000000, v14
	v_lshl_add_u32 v11, v11, 23, v15
	v_or3_b32 v10, v14, v11, v10
.LBB42_1604:
	s_or_b64 exec, exec, s[6:7]
	s_movk_i32 s4, 0x7f
	v_cmp_gt_i16_sdwa s[6:7], v12, s4 src0_sel:BYTE_0 src1_sel:DWORD
	s_mov_b64 s[4:5], 0
                                        ; implicit-def: $sgpr10
	s_and_saveexec_b64 s[8:9], s[6:7]
	s_xor_b64 s[6:7], exec, s[8:9]
	s_cbranch_execnz .LBB42_3653
; %bb.1605:
	s_or_saveexec_b64 s[6:7], s[6:7]
	v_mov_b32_e32 v11, s10
	s_xor_b64 exec, exec, s[6:7]
	s_cbranch_execnz .LBB42_3656
.LBB42_1606:
	s_or_b64 exec, exec, s[6:7]
	s_and_saveexec_b64 s[6:7], s[4:5]
	s_cbranch_execz .LBB42_1608
.LBB42_1607:
	v_and_b32_e32 v11, 7, v12
	v_ffbh_u32_e32 v15, v11
	v_min_u32_e32 v15, 32, v15
	v_lshrrev_b16_e32 v14, 3, v12
	v_subrev_u32_e32 v20, 28, v15
	v_and_b32_e32 v14, 15, v14
	v_lshlrev_b32_e32 v20, v20, v12
	v_sub_u32_e32 v15, 29, v15
	v_and_b32_e32 v20, 7, v20
	v_cmp_eq_u16_e32 vcc, 0, v14
	v_cndmask_b32_e32 v11, v11, v20, vcc
	v_cndmask_b32_e32 v14, v14, v15, vcc
	v_lshlrev_b32_e32 v15, 24, v12
	v_mov_b32_e32 v20, 0x3b800000
	v_lshlrev_b32_e32 v11, 20, v11
	v_and_b32_e32 v15, 0x80000000, v15
	v_lshl_add_u32 v14, v14, 23, v20
	v_or3_b32 v11, v15, v14, v11
.LBB42_1608:
	s_or_b64 exec, exec, s[6:7]
	s_nop 0
	v_mfma_f32_16x16x4f32 a[0:3], v10, v11, a[0:3]
	v_lshrrev_b32_e32 v11, 8, v16
	s_movk_i32 s4, 0x7f
	v_cmp_gt_i16_sdwa s[6:7], v11, s4 src0_sel:BYTE_0 src1_sel:DWORD
	s_mov_b64 s[4:5], 0
                                        ; implicit-def: $sgpr10
	s_and_saveexec_b64 s[8:9], s[6:7]
	s_xor_b64 s[6:7], exec, s[8:9]
	s_cbranch_execnz .LBB42_3657
; %bb.1609:
	s_or_saveexec_b64 s[6:7], s[6:7]
	v_mov_b32_e32 v10, s10
	s_xor_b64 exec, exec, s[6:7]
	s_cbranch_execnz .LBB42_3660
.LBB42_1610:
	s_or_b64 exec, exec, s[6:7]
	s_and_saveexec_b64 s[6:7], s[4:5]
	s_cbranch_execz .LBB42_1612
.LBB42_1611:
	v_bfe_u32 v10, v16, 8, 3
	v_ffbh_u32_e32 v15, v10
	v_min_u32_e32 v15, 32, v15
	v_lshrrev_b16_e32 v14, 3, v11
	v_subrev_u32_e32 v20, 28, v15
	v_and_b32_e32 v14, 15, v14
	v_lshlrev_b32_e32 v11, v20, v11
	v_sub_u32_e32 v15, 29, v15
	v_and_b32_e32 v11, 7, v11
	v_cmp_eq_u16_e32 vcc, 0, v14
	v_cndmask_b32_e32 v10, v10, v11, vcc
	v_cndmask_b32_e32 v11, v14, v15, vcc
	v_lshlrev_b32_e32 v14, 16, v16
	v_mov_b32_e32 v15, 0x3b800000
	v_lshlrev_b32_e32 v10, 20, v10
	v_and_b32_e32 v14, 0x80000000, v14
	v_lshl_add_u32 v11, v11, 23, v15
	v_or3_b32 v10, v14, v11, v10
.LBB42_1612:
	s_or_b64 exec, exec, s[6:7]
	v_lshrrev_b32_e32 v11, 8, v12
	s_movk_i32 s4, 0x7f
	v_cmp_gt_i16_sdwa s[6:7], v11, s4 src0_sel:BYTE_0 src1_sel:DWORD
	s_mov_b64 s[4:5], 0
                                        ; implicit-def: $sgpr10
	s_and_saveexec_b64 s[8:9], s[6:7]
	s_xor_b64 s[6:7], exec, s[8:9]
	s_cbranch_execnz .LBB42_3661
; %bb.1613:
	s_or_saveexec_b64 s[6:7], s[6:7]
	v_mov_b32_e32 v14, s10
	s_xor_b64 exec, exec, s[6:7]
	s_cbranch_execnz .LBB42_3664
.LBB42_1614:
	s_or_b64 exec, exec, s[6:7]
	s_and_saveexec_b64 s[6:7], s[4:5]
	s_cbranch_execz .LBB42_1616
.LBB42_1615:
	v_bfe_u32 v14, v12, 8, 3
	v_ffbh_u32_e32 v20, v14
	v_min_u32_e32 v20, 32, v20
	v_lshrrev_b16_e32 v15, 3, v11
	v_subrev_u32_e32 v21, 28, v20
	v_and_b32_e32 v15, 15, v15
	v_lshlrev_b32_e32 v11, v21, v11
	v_sub_u32_e32 v20, 29, v20
	v_and_b32_e32 v11, 7, v11
	v_cmp_eq_u16_e32 vcc, 0, v15
	v_cndmask_b32_e32 v11, v14, v11, vcc
	v_cndmask_b32_e32 v14, v15, v20, vcc
	v_lshlrev_b32_e32 v15, 16, v12
	v_mov_b32_e32 v20, 0x3b800000
	v_lshlrev_b32_e32 v11, 20, v11
	v_and_b32_e32 v15, 0x80000000, v15
	v_lshl_add_u32 v14, v14, 23, v20
	v_or3_b32 v14, v15, v14, v11
.LBB42_1616:
	s_or_b64 exec, exec, s[6:7]
	s_nop 0
	v_mfma_f32_16x16x4f32 a[0:3], v10, v14, a[0:3]
	s_movk_i32 s4, 0xff
	v_and_b32_sdwa v11, v16, s4 dst_sel:DWORD dst_unused:UNUSED_PAD src0_sel:WORD_1 src1_sel:DWORD
	s_movk_i32 s4, 0x7f
	v_cmp_lt_i16_e32 vcc, s4, v11
	s_mov_b64 s[4:5], 0
                                        ; implicit-def: $sgpr10
	s_and_saveexec_b64 s[6:7], vcc
	s_xor_b64 s[6:7], exec, s[6:7]
	s_cbranch_execnz .LBB42_3665
; %bb.1617:
	s_or_saveexec_b64 s[6:7], s[6:7]
	v_mov_b32_e32 v10, s10
	s_xor_b64 exec, exec, s[6:7]
	s_cbranch_execnz .LBB42_3668
.LBB42_1618:
	s_or_b64 exec, exec, s[6:7]
	s_and_saveexec_b64 s[6:7], s[4:5]
	s_cbranch_execz .LBB42_1620
.LBB42_1619:
	v_bfe_u32 v10, v16, 16, 3
	v_ffbh_u32_e32 v15, v10
	v_min_u32_e32 v15, 32, v15
	v_lshrrev_b32_e32 v11, 19, v16
	v_subrev_u32_e32 v20, 28, v15
	v_and_b32_e32 v11, 15, v11
	v_lshlrev_b32_sdwa v20, v20, v16 dst_sel:DWORD dst_unused:UNUSED_PAD src0_sel:DWORD src1_sel:WORD_1
	v_bfe_u32 v14, v16, 19, 4
	v_sub_u32_e32 v15, 29, v15
	v_and_b32_e32 v20, 7, v20
	v_cmp_eq_u16_e32 vcc, 0, v11
	v_cndmask_b32_e32 v10, v10, v20, vcc
	v_cndmask_b32_e32 v11, v14, v15, vcc
	v_lshlrev_b32_e32 v14, 8, v16
	v_mov_b32_e32 v15, 0x3b800000
	v_lshlrev_b32_e32 v10, 20, v10
	v_and_b32_e32 v14, 0x80000000, v14
	v_lshl_add_u32 v11, v11, 23, v15
	v_or3_b32 v10, v14, v11, v10
.LBB42_1620:
	s_or_b64 exec, exec, s[6:7]
	s_movk_i32 s4, 0xff
	v_and_b32_sdwa v11, v12, s4 dst_sel:DWORD dst_unused:UNUSED_PAD src0_sel:WORD_1 src1_sel:DWORD
	s_movk_i32 s4, 0x7f
	v_cmp_lt_i16_e32 vcc, s4, v11
	s_mov_b64 s[4:5], 0
                                        ; implicit-def: $sgpr10
	s_and_saveexec_b64 s[6:7], vcc
	s_xor_b64 s[6:7], exec, s[6:7]
	s_cbranch_execnz .LBB42_3669
; %bb.1621:
	s_or_saveexec_b64 s[6:7], s[6:7]
	v_mov_b32_e32 v14, s10
	s_xor_b64 exec, exec, s[6:7]
	s_cbranch_execnz .LBB42_3672
.LBB42_1622:
	s_or_b64 exec, exec, s[6:7]
	s_and_saveexec_b64 s[6:7], s[4:5]
	s_cbranch_execz .LBB42_1624
.LBB42_1623:
	v_bfe_u32 v11, v12, 16, 3
	v_ffbh_u32_e32 v20, v11
	v_min_u32_e32 v20, 32, v20
	v_lshrrev_b32_e32 v14, 19, v12
	v_subrev_u32_e32 v21, 28, v20
	v_and_b32_e32 v14, 15, v14
	v_lshlrev_b32_sdwa v21, v21, v12 dst_sel:DWORD dst_unused:UNUSED_PAD src0_sel:DWORD src1_sel:WORD_1
	v_bfe_u32 v15, v12, 19, 4
	v_sub_u32_e32 v20, 29, v20
	v_and_b32_e32 v21, 7, v21
	v_cmp_eq_u16_e32 vcc, 0, v14
	v_cndmask_b32_e32 v11, v11, v21, vcc
	v_cndmask_b32_e32 v14, v15, v20, vcc
	v_lshlrev_b32_e32 v15, 8, v12
	v_mov_b32_e32 v20, 0x3b800000
	v_lshlrev_b32_e32 v11, 20, v11
	v_and_b32_e32 v15, 0x80000000, v15
	v_lshl_add_u32 v14, v14, 23, v20
	v_or3_b32 v14, v15, v14, v11
.LBB42_1624:
	s_or_b64 exec, exec, s[6:7]
	s_nop 0
	v_mfma_f32_16x16x4f32 a[0:3], v10, v14, a[0:3]
	s_movk_i32 s4, 0x7f
	v_cmp_gt_i16_sdwa s[6:7], v16, s4 src0_sel:BYTE_3 src1_sel:DWORD
	s_mov_b64 s[4:5], 0
                                        ; implicit-def: $sgpr10
	s_and_saveexec_b64 s[8:9], s[6:7]
	s_xor_b64 s[6:7], exec, s[8:9]
	s_cbranch_execnz .LBB42_3673
; %bb.1625:
	s_or_saveexec_b64 s[6:7], s[6:7]
	v_mov_b32_e32 v10, s10
	s_xor_b64 exec, exec, s[6:7]
	s_cbranch_execnz .LBB42_3676
.LBB42_1626:
	s_or_b64 exec, exec, s[6:7]
	s_and_saveexec_b64 s[6:7], s[4:5]
	s_cbranch_execz .LBB42_1628
.LBB42_1627:
	v_bfe_u32 v10, v16, 24, 3
	v_ffbh_u32_e32 v20, v10
	v_min_u32_e32 v20, 32, v20
	v_lshrrev_b32_e32 v14, 27, v16
	v_subrev_u32_e32 v21, 28, v20
	v_and_b32_e32 v11, 0x80000000, v16
	v_and_b32_e32 v14, 15, v14
	v_bfe_u32 v15, v16, 27, 4
	v_lshlrev_b32_sdwa v16, v21, v16 dst_sel:DWORD dst_unused:UNUSED_PAD src0_sel:DWORD src1_sel:BYTE_3
	v_sub_u32_e32 v20, 29, v20
	v_and_b32_e32 v16, 7, v16
	v_cmp_eq_u16_e32 vcc, 0, v14
	v_cndmask_b32_e32 v10, v10, v16, vcc
	v_cndmask_b32_e32 v14, v15, v20, vcc
	v_mov_b32_e32 v15, 0x3b800000
	v_lshlrev_b32_e32 v10, 20, v10
	v_lshl_add_u32 v14, v14, 23, v15
	v_or3_b32 v10, v11, v14, v10
.LBB42_1628:
	s_or_b64 exec, exec, s[6:7]
	s_movk_i32 s4, 0x7f
	v_cmp_gt_i16_sdwa s[6:7], v12, s4 src0_sel:BYTE_3 src1_sel:DWORD
	s_mov_b64 s[4:5], 0
                                        ; implicit-def: $sgpr10
	s_and_saveexec_b64 s[8:9], s[6:7]
	s_xor_b64 s[6:7], exec, s[8:9]
	s_cbranch_execnz .LBB42_3677
; %bb.1629:
	s_or_saveexec_b64 s[6:7], s[6:7]
	v_mov_b32_e32 v11, s10
	s_xor_b64 exec, exec, s[6:7]
	s_cbranch_execnz .LBB42_3680
.LBB42_1630:
	s_or_b64 exec, exec, s[6:7]
	s_and_saveexec_b64 s[6:7], s[4:5]
	s_cbranch_execz .LBB42_1632
.LBB42_1631:
	v_bfe_u32 v11, v12, 24, 3
	v_ffbh_u32_e32 v20, v11
	v_min_u32_e32 v20, 32, v20
	v_lshrrev_b32_e32 v15, 27, v12
	v_subrev_u32_e32 v21, 28, v20
	v_and_b32_e32 v14, 0x80000000, v12
	v_and_b32_e32 v15, 15, v15
	v_bfe_u32 v16, v12, 27, 4
	v_lshlrev_b32_sdwa v12, v21, v12 dst_sel:DWORD dst_unused:UNUSED_PAD src0_sel:DWORD src1_sel:BYTE_3
	v_sub_u32_e32 v20, 29, v20
	v_and_b32_e32 v12, 7, v12
	v_cmp_eq_u16_e32 vcc, 0, v15
	v_cndmask_b32_e32 v11, v11, v12, vcc
	v_cndmask_b32_e32 v12, v16, v20, vcc
	v_mov_b32_e32 v15, 0x3b800000
	v_lshlrev_b32_e32 v11, 20, v11
	v_lshl_add_u32 v12, v12, 23, v15
	v_or3_b32 v11, v14, v12, v11
.LBB42_1632:
	s_or_b64 exec, exec, s[6:7]
	s_nop 0
	v_mfma_f32_16x16x4f32 a[0:3], v10, v11, a[0:3]
	s_movk_i32 s4, 0x7f
	v_cmp_gt_i16_sdwa s[6:7], v17, s4 src0_sel:BYTE_0 src1_sel:DWORD
	s_mov_b64 s[4:5], 0
                                        ; implicit-def: $sgpr10
	s_and_saveexec_b64 s[8:9], s[6:7]
	s_xor_b64 s[6:7], exec, s[8:9]
	s_cbranch_execnz .LBB42_3681
; %bb.1633:
	s_or_saveexec_b64 s[6:7], s[6:7]
	v_mov_b32_e32 v10, s10
	s_xor_b64 exec, exec, s[6:7]
	s_cbranch_execnz .LBB42_3684
.LBB42_1634:
	s_or_b64 exec, exec, s[6:7]
	s_and_saveexec_b64 s[6:7], s[4:5]
	s_cbranch_execz .LBB42_1636
.LBB42_1635:
	v_and_b32_e32 v10, 7, v17
	v_ffbh_u32_e32 v12, v10
	v_min_u32_e32 v12, 32, v12
	v_lshrrev_b16_e32 v11, 3, v17
	v_subrev_u32_e32 v14, 28, v12
	v_and_b32_e32 v11, 15, v11
	v_lshlrev_b32_e32 v14, v14, v17
	v_sub_u32_e32 v12, 29, v12
	v_and_b32_e32 v14, 7, v14
	v_cmp_eq_u16_e32 vcc, 0, v11
	v_cndmask_b32_e32 v10, v10, v14, vcc
	v_cndmask_b32_e32 v11, v11, v12, vcc
	v_lshlrev_b32_e32 v12, 24, v17
	v_mov_b32_e32 v14, 0x3b800000
	v_lshlrev_b32_e32 v10, 20, v10
	v_and_b32_e32 v12, 0x80000000, v12
	v_lshl_add_u32 v11, v11, 23, v14
	v_or3_b32 v10, v12, v11, v10
.LBB42_1636:
	s_or_b64 exec, exec, s[6:7]
	s_movk_i32 s4, 0x7f
	v_cmp_gt_i16_sdwa s[6:7], v13, s4 src0_sel:BYTE_0 src1_sel:DWORD
	s_mov_b64 s[4:5], 0
                                        ; implicit-def: $sgpr10
	s_and_saveexec_b64 s[8:9], s[6:7]
	s_xor_b64 s[6:7], exec, s[8:9]
	s_cbranch_execnz .LBB42_3685
; %bb.1637:
	s_or_saveexec_b64 s[6:7], s[6:7]
	v_mov_b32_e32 v11, s10
	s_xor_b64 exec, exec, s[6:7]
	s_cbranch_execnz .LBB42_3688
.LBB42_1638:
	s_or_b64 exec, exec, s[6:7]
	s_and_saveexec_b64 s[6:7], s[4:5]
	s_cbranch_execz .LBB42_1640
.LBB42_1639:
	v_and_b32_e32 v11, 7, v13
	v_ffbh_u32_e32 v14, v11
	v_min_u32_e32 v14, 32, v14
	v_lshrrev_b16_e32 v12, 3, v13
	v_subrev_u32_e32 v15, 28, v14
	v_and_b32_e32 v12, 15, v12
	v_lshlrev_b32_e32 v15, v15, v13
	v_sub_u32_e32 v14, 29, v14
	v_and_b32_e32 v15, 7, v15
	v_cmp_eq_u16_e32 vcc, 0, v12
	v_cndmask_b32_e32 v11, v11, v15, vcc
	v_cndmask_b32_e32 v12, v12, v14, vcc
	v_lshlrev_b32_e32 v14, 24, v13
	v_mov_b32_e32 v15, 0x3b800000
	v_lshlrev_b32_e32 v11, 20, v11
	v_and_b32_e32 v14, 0x80000000, v14
	v_lshl_add_u32 v12, v12, 23, v15
	v_or3_b32 v11, v14, v12, v11
.LBB42_1640:
	s_or_b64 exec, exec, s[6:7]
	s_nop 0
	v_mfma_f32_16x16x4f32 a[0:3], v10, v11, a[0:3]
	v_lshrrev_b32_e32 v11, 8, v17
	s_movk_i32 s4, 0x7f
	v_cmp_gt_i16_sdwa s[6:7], v11, s4 src0_sel:BYTE_0 src1_sel:DWORD
	s_mov_b64 s[4:5], 0
                                        ; implicit-def: $sgpr10
	s_and_saveexec_b64 s[8:9], s[6:7]
	s_xor_b64 s[6:7], exec, s[8:9]
	s_cbranch_execnz .LBB42_3689
; %bb.1641:
	s_or_saveexec_b64 s[6:7], s[6:7]
	v_mov_b32_e32 v10, s10
	s_xor_b64 exec, exec, s[6:7]
	s_cbranch_execnz .LBB42_3692
.LBB42_1642:
	s_or_b64 exec, exec, s[6:7]
	s_and_saveexec_b64 s[6:7], s[4:5]
	s_cbranch_execz .LBB42_1644
.LBB42_1643:
	v_bfe_u32 v10, v17, 8, 3
	v_ffbh_u32_e32 v14, v10
	v_min_u32_e32 v14, 32, v14
	v_lshrrev_b16_e32 v12, 3, v11
	v_subrev_u32_e32 v15, 28, v14
	v_and_b32_e32 v12, 15, v12
	v_lshlrev_b32_e32 v11, v15, v11
	v_sub_u32_e32 v14, 29, v14
	v_and_b32_e32 v11, 7, v11
	v_cmp_eq_u16_e32 vcc, 0, v12
	v_cndmask_b32_e32 v10, v10, v11, vcc
	v_cndmask_b32_e32 v11, v12, v14, vcc
	v_lshlrev_b32_e32 v12, 16, v17
	v_mov_b32_e32 v14, 0x3b800000
	v_lshlrev_b32_e32 v10, 20, v10
	v_and_b32_e32 v12, 0x80000000, v12
	v_lshl_add_u32 v11, v11, 23, v14
	v_or3_b32 v10, v12, v11, v10
.LBB42_1644:
	s_or_b64 exec, exec, s[6:7]
	v_lshrrev_b32_e32 v11, 8, v13
	s_movk_i32 s4, 0x7f
	v_cmp_gt_i16_sdwa s[6:7], v11, s4 src0_sel:BYTE_0 src1_sel:DWORD
	s_mov_b64 s[4:5], 0
                                        ; implicit-def: $sgpr10
	s_and_saveexec_b64 s[8:9], s[6:7]
	s_xor_b64 s[6:7], exec, s[8:9]
	s_cbranch_execnz .LBB42_3693
; %bb.1645:
	s_or_saveexec_b64 s[6:7], s[6:7]
	v_mov_b32_e32 v12, s10
	s_xor_b64 exec, exec, s[6:7]
	s_cbranch_execnz .LBB42_3696
.LBB42_1646:
	s_or_b64 exec, exec, s[6:7]
	s_and_saveexec_b64 s[6:7], s[4:5]
	s_cbranch_execz .LBB42_1648
.LBB42_1647:
	v_bfe_u32 v12, v13, 8, 3
	v_ffbh_u32_e32 v15, v12
	v_min_u32_e32 v15, 32, v15
	v_lshrrev_b16_e32 v14, 3, v11
	v_subrev_u32_e32 v16, 28, v15
	v_and_b32_e32 v14, 15, v14
	v_lshlrev_b32_e32 v11, v16, v11
	v_sub_u32_e32 v15, 29, v15
	v_and_b32_e32 v11, 7, v11
	v_cmp_eq_u16_e32 vcc, 0, v14
	v_cndmask_b32_e32 v11, v12, v11, vcc
	v_cndmask_b32_e32 v12, v14, v15, vcc
	v_lshlrev_b32_e32 v14, 16, v13
	v_mov_b32_e32 v15, 0x3b800000
	v_lshlrev_b32_e32 v11, 20, v11
	v_and_b32_e32 v14, 0x80000000, v14
	v_lshl_add_u32 v12, v12, 23, v15
	v_or3_b32 v12, v14, v12, v11
.LBB42_1648:
	s_or_b64 exec, exec, s[6:7]
	s_nop 0
	v_mfma_f32_16x16x4f32 a[0:3], v10, v12, a[0:3]
	s_movk_i32 s4, 0xff
	v_and_b32_sdwa v11, v17, s4 dst_sel:DWORD dst_unused:UNUSED_PAD src0_sel:WORD_1 src1_sel:DWORD
	s_movk_i32 s4, 0x7f
	v_cmp_lt_i16_e32 vcc, s4, v11
	s_mov_b64 s[4:5], 0
                                        ; implicit-def: $sgpr10
	s_and_saveexec_b64 s[6:7], vcc
	s_xor_b64 s[6:7], exec, s[6:7]
	s_cbranch_execnz .LBB42_3697
; %bb.1649:
	s_or_saveexec_b64 s[6:7], s[6:7]
	v_mov_b32_e32 v10, s10
	s_xor_b64 exec, exec, s[6:7]
	s_cbranch_execnz .LBB42_3700
.LBB42_1650:
	s_or_b64 exec, exec, s[6:7]
	s_and_saveexec_b64 s[6:7], s[4:5]
	s_cbranch_execz .LBB42_1652
.LBB42_1651:
	v_bfe_u32 v10, v17, 16, 3
	v_ffbh_u32_e32 v14, v10
	v_min_u32_e32 v14, 32, v14
	v_lshrrev_b32_e32 v11, 19, v17
	v_subrev_u32_e32 v15, 28, v14
	v_and_b32_e32 v11, 15, v11
	v_lshlrev_b32_sdwa v15, v15, v17 dst_sel:DWORD dst_unused:UNUSED_PAD src0_sel:DWORD src1_sel:WORD_1
	v_bfe_u32 v12, v17, 19, 4
	v_sub_u32_e32 v14, 29, v14
	v_and_b32_e32 v15, 7, v15
	v_cmp_eq_u16_e32 vcc, 0, v11
	v_cndmask_b32_e32 v10, v10, v15, vcc
	v_cndmask_b32_e32 v11, v12, v14, vcc
	v_lshlrev_b32_e32 v12, 8, v17
	v_mov_b32_e32 v14, 0x3b800000
	v_lshlrev_b32_e32 v10, 20, v10
	v_and_b32_e32 v12, 0x80000000, v12
	v_lshl_add_u32 v11, v11, 23, v14
	v_or3_b32 v10, v12, v11, v10
.LBB42_1652:
	s_or_b64 exec, exec, s[6:7]
	s_movk_i32 s4, 0xff
	v_and_b32_sdwa v11, v13, s4 dst_sel:DWORD dst_unused:UNUSED_PAD src0_sel:WORD_1 src1_sel:DWORD
	s_movk_i32 s4, 0x7f
	v_cmp_lt_i16_e32 vcc, s4, v11
	s_mov_b64 s[4:5], 0
                                        ; implicit-def: $sgpr10
	s_and_saveexec_b64 s[6:7], vcc
	s_xor_b64 s[6:7], exec, s[6:7]
	s_cbranch_execnz .LBB42_3701
; %bb.1653:
	s_or_saveexec_b64 s[6:7], s[6:7]
	v_mov_b32_e32 v12, s10
	s_xor_b64 exec, exec, s[6:7]
	s_cbranch_execnz .LBB42_3704
.LBB42_1654:
	s_or_b64 exec, exec, s[6:7]
	s_and_saveexec_b64 s[6:7], s[4:5]
	s_cbranch_execz .LBB42_1656
.LBB42_1655:
	v_bfe_u32 v11, v13, 16, 3
	v_ffbh_u32_e32 v15, v11
	v_min_u32_e32 v15, 32, v15
	v_lshrrev_b32_e32 v12, 19, v13
	v_subrev_u32_e32 v16, 28, v15
	v_and_b32_e32 v12, 15, v12
	v_lshlrev_b32_sdwa v16, v16, v13 dst_sel:DWORD dst_unused:UNUSED_PAD src0_sel:DWORD src1_sel:WORD_1
	v_bfe_u32 v14, v13, 19, 4
	v_sub_u32_e32 v15, 29, v15
	v_and_b32_e32 v16, 7, v16
	v_cmp_eq_u16_e32 vcc, 0, v12
	v_cndmask_b32_e32 v11, v11, v16, vcc
	v_cndmask_b32_e32 v12, v14, v15, vcc
	v_lshlrev_b32_e32 v14, 8, v13
	v_mov_b32_e32 v15, 0x3b800000
	v_lshlrev_b32_e32 v11, 20, v11
	v_and_b32_e32 v14, 0x80000000, v14
	v_lshl_add_u32 v12, v12, 23, v15
	v_or3_b32 v12, v14, v12, v11
.LBB42_1656:
	s_or_b64 exec, exec, s[6:7]
	s_nop 0
	v_mfma_f32_16x16x4f32 a[0:3], v10, v12, a[0:3]
	s_movk_i32 s4, 0x7f
	v_cmp_gt_i16_sdwa s[6:7], v17, s4 src0_sel:BYTE_3 src1_sel:DWORD
	s_mov_b64 s[4:5], 0
                                        ; implicit-def: $sgpr10
	s_and_saveexec_b64 s[8:9], s[6:7]
	s_xor_b64 s[6:7], exec, s[8:9]
	s_cbranch_execnz .LBB42_3705
; %bb.1657:
	s_or_saveexec_b64 s[6:7], s[6:7]
	v_mov_b32_e32 v10, s10
	s_xor_b64 exec, exec, s[6:7]
	s_cbranch_execnz .LBB42_3708
.LBB42_1658:
	s_or_b64 exec, exec, s[6:7]
	s_and_saveexec_b64 s[6:7], s[4:5]
	s_cbranch_execz .LBB42_1660
.LBB42_1659:
	v_bfe_u32 v10, v17, 24, 3
	v_ffbh_u32_e32 v15, v10
	v_min_u32_e32 v15, 32, v15
	v_lshrrev_b32_e32 v12, 27, v17
	v_subrev_u32_e32 v16, 28, v15
	v_and_b32_e32 v12, 15, v12
	v_lshlrev_b32_sdwa v16, v16, v17 dst_sel:DWORD dst_unused:UNUSED_PAD src0_sel:DWORD src1_sel:BYTE_3
	v_bfe_u32 v14, v17, 27, 4
	v_sub_u32_e32 v15, 29, v15
	v_and_b32_e32 v16, 7, v16
	v_cmp_eq_u16_e32 vcc, 0, v12
	v_cndmask_b32_e32 v10, v10, v16, vcc
	v_cndmask_b32_e32 v12, v14, v15, vcc
	v_mov_b32_e32 v14, 0x3b800000
	v_and_b32_e32 v11, 0x80000000, v17
	v_lshlrev_b32_e32 v10, 20, v10
	v_lshl_add_u32 v12, v12, 23, v14
	v_or3_b32 v10, v11, v12, v10
.LBB42_1660:
	s_or_b64 exec, exec, s[6:7]
	s_movk_i32 s4, 0x7f
	v_cmp_gt_i16_sdwa s[6:7], v13, s4 src0_sel:BYTE_3 src1_sel:DWORD
	s_mov_b64 s[4:5], 0
                                        ; implicit-def: $sgpr10
	s_and_saveexec_b64 s[8:9], s[6:7]
	s_xor_b64 s[6:7], exec, s[8:9]
	s_cbranch_execnz .LBB42_3709
; %bb.1661:
	s_or_saveexec_b64 s[6:7], s[6:7]
	v_mov_b32_e32 v11, s10
	s_xor_b64 exec, exec, s[6:7]
	s_cbranch_execnz .LBB42_3712
.LBB42_1662:
	s_or_b64 exec, exec, s[6:7]
	s_and_saveexec_b64 s[6:7], s[4:5]
	s_cbranch_execz .LBB42_1664
.LBB42_1663:
	v_bfe_u32 v11, v13, 24, 3
	v_ffbh_u32_e32 v16, v11
	v_min_u32_e32 v16, 32, v16
	v_lshrrev_b32_e32 v14, 27, v13
	v_subrev_u32_e32 v17, 28, v16
	v_and_b32_e32 v12, 0x80000000, v13
	v_and_b32_e32 v14, 15, v14
	v_bfe_u32 v15, v13, 27, 4
	v_lshlrev_b32_sdwa v13, v17, v13 dst_sel:DWORD dst_unused:UNUSED_PAD src0_sel:DWORD src1_sel:BYTE_3
	v_sub_u32_e32 v16, 29, v16
	v_and_b32_e32 v13, 7, v13
	v_cmp_eq_u16_e32 vcc, 0, v14
	v_cndmask_b32_e32 v11, v11, v13, vcc
	v_cndmask_b32_e32 v13, v15, v16, vcc
	v_mov_b32_e32 v14, 0x3b800000
	v_lshlrev_b32_e32 v11, 20, v11
	v_lshl_add_u32 v13, v13, 23, v14
	v_or3_b32 v11, v12, v13, v11
.LBB42_1664:
	s_or_b64 exec, exec, s[6:7]
	s_nop 0
	v_mfma_f32_16x16x4f32 a[0:3], v10, v11, a[0:3]
	s_movk_i32 s4, 0x7f
	v_cmp_gt_i16_sdwa s[6:7], v6, s4 src0_sel:BYTE_0 src1_sel:DWORD
	s_mov_b64 s[4:5], 0
                                        ; implicit-def: $sgpr10
	s_and_saveexec_b64 s[8:9], s[6:7]
	s_xor_b64 s[6:7], exec, s[8:9]
	s_cbranch_execnz .LBB42_3713
; %bb.1665:
	s_or_saveexec_b64 s[6:7], s[6:7]
	v_mov_b32_e32 v10, s10
	s_xor_b64 exec, exec, s[6:7]
	s_cbranch_execnz .LBB42_3716
.LBB42_1666:
	s_or_b64 exec, exec, s[6:7]
	s_and_saveexec_b64 s[6:7], s[4:5]
	s_cbranch_execz .LBB42_1668
.LBB42_1667:
	v_and_b32_e32 v10, 7, v6
	v_ffbh_u32_e32 v12, v10
	v_min_u32_e32 v12, 32, v12
	v_lshrrev_b16_e32 v11, 3, v6
	v_subrev_u32_e32 v13, 28, v12
	v_and_b32_e32 v11, 15, v11
	v_lshlrev_b32_e32 v13, v13, v6
	v_sub_u32_e32 v12, 29, v12
	v_and_b32_e32 v13, 7, v13
	v_cmp_eq_u16_e32 vcc, 0, v11
	v_cndmask_b32_e32 v10, v10, v13, vcc
	v_cndmask_b32_e32 v11, v11, v12, vcc
	v_lshlrev_b32_e32 v12, 24, v6
	v_mov_b32_e32 v13, 0x3b800000
	v_lshlrev_b32_e32 v10, 20, v10
	v_and_b32_e32 v12, 0x80000000, v12
	v_lshl_add_u32 v11, v11, 23, v13
	v_or3_b32 v10, v12, v11, v10
.LBB42_1668:
	s_or_b64 exec, exec, s[6:7]
	s_movk_i32 s4, 0x7f
	v_cmp_gt_i16_sdwa s[6:7], v2, s4 src0_sel:BYTE_0 src1_sel:DWORD
	s_mov_b64 s[4:5], 0
                                        ; implicit-def: $sgpr10
	s_and_saveexec_b64 s[8:9], s[6:7]
	s_xor_b64 s[6:7], exec, s[8:9]
	s_cbranch_execnz .LBB42_3717
; %bb.1669:
	s_or_saveexec_b64 s[6:7], s[6:7]
	v_mov_b32_e32 v11, s10
	s_xor_b64 exec, exec, s[6:7]
	s_cbranch_execnz .LBB42_3720
.LBB42_1670:
	s_or_b64 exec, exec, s[6:7]
	s_and_saveexec_b64 s[6:7], s[4:5]
	s_cbranch_execz .LBB42_1672
.LBB42_1671:
	v_and_b32_e32 v11, 7, v2
	v_ffbh_u32_e32 v13, v11
	v_min_u32_e32 v13, 32, v13
	v_lshrrev_b16_e32 v12, 3, v2
	v_subrev_u32_e32 v14, 28, v13
	v_and_b32_e32 v12, 15, v12
	v_lshlrev_b32_e32 v14, v14, v2
	v_sub_u32_e32 v13, 29, v13
	v_and_b32_e32 v14, 7, v14
	v_cmp_eq_u16_e32 vcc, 0, v12
	v_cndmask_b32_e32 v11, v11, v14, vcc
	v_cndmask_b32_e32 v12, v12, v13, vcc
	v_lshlrev_b32_e32 v13, 24, v2
	v_mov_b32_e32 v14, 0x3b800000
	v_lshlrev_b32_e32 v11, 20, v11
	v_and_b32_e32 v13, 0x80000000, v13
	v_lshl_add_u32 v12, v12, 23, v14
	v_or3_b32 v11, v13, v12, v11
.LBB42_1672:
	s_or_b64 exec, exec, s[6:7]
	s_nop 0
	v_mfma_f32_16x16x4f32 a[0:3], v10, v11, a[0:3]
	v_lshrrev_b32_e32 v11, 8, v6
	s_movk_i32 s4, 0x7f
	v_cmp_gt_i16_sdwa s[6:7], v11, s4 src0_sel:BYTE_0 src1_sel:DWORD
	s_mov_b64 s[4:5], 0
                                        ; implicit-def: $sgpr10
	s_and_saveexec_b64 s[8:9], s[6:7]
	s_xor_b64 s[6:7], exec, s[8:9]
	s_cbranch_execnz .LBB42_3721
; %bb.1673:
	s_or_saveexec_b64 s[6:7], s[6:7]
	v_mov_b32_e32 v10, s10
	s_xor_b64 exec, exec, s[6:7]
	s_cbranch_execnz .LBB42_3724
.LBB42_1674:
	s_or_b64 exec, exec, s[6:7]
	s_and_saveexec_b64 s[6:7], s[4:5]
	s_cbranch_execz .LBB42_1676
.LBB42_1675:
	v_bfe_u32 v10, v6, 8, 3
	v_ffbh_u32_e32 v13, v10
	v_min_u32_e32 v13, 32, v13
	v_lshrrev_b16_e32 v12, 3, v11
	v_subrev_u32_e32 v14, 28, v13
	v_and_b32_e32 v12, 15, v12
	v_lshlrev_b32_e32 v11, v14, v11
	v_sub_u32_e32 v13, 29, v13
	v_and_b32_e32 v11, 7, v11
	v_cmp_eq_u16_e32 vcc, 0, v12
	v_cndmask_b32_e32 v10, v10, v11, vcc
	v_cndmask_b32_e32 v11, v12, v13, vcc
	v_lshlrev_b32_e32 v12, 16, v6
	v_mov_b32_e32 v13, 0x3b800000
	v_lshlrev_b32_e32 v10, 20, v10
	v_and_b32_e32 v12, 0x80000000, v12
	v_lshl_add_u32 v11, v11, 23, v13
	v_or3_b32 v10, v12, v11, v10
.LBB42_1676:
	s_or_b64 exec, exec, s[6:7]
	v_lshrrev_b32_e32 v11, 8, v2
	s_movk_i32 s4, 0x7f
	v_cmp_gt_i16_sdwa s[6:7], v11, s4 src0_sel:BYTE_0 src1_sel:DWORD
	s_mov_b64 s[4:5], 0
                                        ; implicit-def: $sgpr10
	s_and_saveexec_b64 s[8:9], s[6:7]
	s_xor_b64 s[6:7], exec, s[8:9]
	s_cbranch_execnz .LBB42_3725
; %bb.1677:
	s_or_saveexec_b64 s[6:7], s[6:7]
	v_mov_b32_e32 v12, s10
	s_xor_b64 exec, exec, s[6:7]
	s_cbranch_execnz .LBB42_3728
.LBB42_1678:
	s_or_b64 exec, exec, s[6:7]
	s_and_saveexec_b64 s[6:7], s[4:5]
	s_cbranch_execz .LBB42_1680
.LBB42_1679:
	v_bfe_u32 v12, v2, 8, 3
	v_ffbh_u32_e32 v14, v12
	v_min_u32_e32 v14, 32, v14
	v_lshrrev_b16_e32 v13, 3, v11
	v_subrev_u32_e32 v15, 28, v14
	v_and_b32_e32 v13, 15, v13
	v_lshlrev_b32_e32 v11, v15, v11
	v_sub_u32_e32 v14, 29, v14
	v_and_b32_e32 v11, 7, v11
	v_cmp_eq_u16_e32 vcc, 0, v13
	v_cndmask_b32_e32 v11, v12, v11, vcc
	v_cndmask_b32_e32 v12, v13, v14, vcc
	v_lshlrev_b32_e32 v13, 16, v2
	v_mov_b32_e32 v14, 0x3b800000
	v_lshlrev_b32_e32 v11, 20, v11
	v_and_b32_e32 v13, 0x80000000, v13
	v_lshl_add_u32 v12, v12, 23, v14
	v_or3_b32 v12, v13, v12, v11
.LBB42_1680:
	s_or_b64 exec, exec, s[6:7]
	s_nop 0
	v_mfma_f32_16x16x4f32 a[0:3], v10, v12, a[0:3]
	s_movk_i32 s4, 0xff
	v_and_b32_sdwa v11, v6, s4 dst_sel:DWORD dst_unused:UNUSED_PAD src0_sel:WORD_1 src1_sel:DWORD
	s_movk_i32 s4, 0x7f
	v_cmp_lt_i16_e32 vcc, s4, v11
	s_mov_b64 s[4:5], 0
                                        ; implicit-def: $sgpr10
	s_and_saveexec_b64 s[6:7], vcc
	s_xor_b64 s[6:7], exec, s[6:7]
	s_cbranch_execnz .LBB42_3729
; %bb.1681:
	s_or_saveexec_b64 s[6:7], s[6:7]
	v_mov_b32_e32 v10, s10
	s_xor_b64 exec, exec, s[6:7]
	s_cbranch_execnz .LBB42_3732
.LBB42_1682:
	s_or_b64 exec, exec, s[6:7]
	s_and_saveexec_b64 s[6:7], s[4:5]
	s_cbranch_execz .LBB42_1684
.LBB42_1683:
	v_bfe_u32 v10, v6, 16, 3
	v_ffbh_u32_e32 v13, v10
	v_min_u32_e32 v13, 32, v13
	v_lshrrev_b32_e32 v11, 19, v6
	v_subrev_u32_e32 v14, 28, v13
	v_and_b32_e32 v11, 15, v11
	v_lshlrev_b32_sdwa v14, v14, v6 dst_sel:DWORD dst_unused:UNUSED_PAD src0_sel:DWORD src1_sel:WORD_1
	v_bfe_u32 v12, v6, 19, 4
	v_sub_u32_e32 v13, 29, v13
	v_and_b32_e32 v14, 7, v14
	v_cmp_eq_u16_e32 vcc, 0, v11
	v_cndmask_b32_e32 v10, v10, v14, vcc
	v_cndmask_b32_e32 v11, v12, v13, vcc
	v_lshlrev_b32_e32 v12, 8, v6
	v_mov_b32_e32 v13, 0x3b800000
	v_lshlrev_b32_e32 v10, 20, v10
	v_and_b32_e32 v12, 0x80000000, v12
	v_lshl_add_u32 v11, v11, 23, v13
	v_or3_b32 v10, v12, v11, v10
.LBB42_1684:
	s_or_b64 exec, exec, s[6:7]
	s_movk_i32 s4, 0xff
	v_and_b32_sdwa v11, v2, s4 dst_sel:DWORD dst_unused:UNUSED_PAD src0_sel:WORD_1 src1_sel:DWORD
	s_movk_i32 s4, 0x7f
	v_cmp_lt_i16_e32 vcc, s4, v11
	s_mov_b64 s[4:5], 0
                                        ; implicit-def: $sgpr10
	s_and_saveexec_b64 s[6:7], vcc
	s_xor_b64 s[6:7], exec, s[6:7]
	s_cbranch_execnz .LBB42_3733
; %bb.1685:
	s_or_saveexec_b64 s[6:7], s[6:7]
	v_mov_b32_e32 v12, s10
	s_xor_b64 exec, exec, s[6:7]
	s_cbranch_execnz .LBB42_3736
.LBB42_1686:
	s_or_b64 exec, exec, s[6:7]
	s_and_saveexec_b64 s[6:7], s[4:5]
	s_cbranch_execz .LBB42_1688
.LBB42_1687:
	v_bfe_u32 v11, v2, 16, 3
	v_ffbh_u32_e32 v14, v11
	v_min_u32_e32 v14, 32, v14
	v_lshrrev_b32_e32 v12, 19, v2
	v_subrev_u32_e32 v15, 28, v14
	v_and_b32_e32 v12, 15, v12
	v_lshlrev_b32_sdwa v15, v15, v2 dst_sel:DWORD dst_unused:UNUSED_PAD src0_sel:DWORD src1_sel:WORD_1
	v_bfe_u32 v13, v2, 19, 4
	v_sub_u32_e32 v14, 29, v14
	v_and_b32_e32 v15, 7, v15
	v_cmp_eq_u16_e32 vcc, 0, v12
	v_cndmask_b32_e32 v11, v11, v15, vcc
	v_cndmask_b32_e32 v12, v13, v14, vcc
	v_lshlrev_b32_e32 v13, 8, v2
	v_mov_b32_e32 v14, 0x3b800000
	v_lshlrev_b32_e32 v11, 20, v11
	v_and_b32_e32 v13, 0x80000000, v13
	v_lshl_add_u32 v12, v12, 23, v14
	v_or3_b32 v12, v13, v12, v11
.LBB42_1688:
	s_or_b64 exec, exec, s[6:7]
	s_nop 0
	v_mfma_f32_16x16x4f32 a[0:3], v10, v12, a[0:3]
	s_movk_i32 s4, 0x7f
	v_cmp_gt_i16_sdwa s[6:7], v6, s4 src0_sel:BYTE_3 src1_sel:DWORD
	s_mov_b64 s[4:5], 0
                                        ; implicit-def: $sgpr10
	s_and_saveexec_b64 s[8:9], s[6:7]
	s_xor_b64 s[6:7], exec, s[8:9]
	s_cbranch_execnz .LBB42_3737
; %bb.1689:
	s_or_saveexec_b64 s[6:7], s[6:7]
	v_mov_b32_e32 v10, s10
	s_xor_b64 exec, exec, s[6:7]
	s_cbranch_execnz .LBB42_3740
.LBB42_1690:
	s_or_b64 exec, exec, s[6:7]
	s_and_saveexec_b64 s[6:7], s[4:5]
	s_cbranch_execz .LBB42_1692
.LBB42_1691:
	v_bfe_u32 v10, v6, 24, 3
	v_ffbh_u32_e32 v14, v10
	v_min_u32_e32 v14, 32, v14
	v_lshrrev_b32_e32 v12, 27, v6
	v_subrev_u32_e32 v15, 28, v14
	v_and_b32_e32 v11, 0x80000000, v6
	v_and_b32_e32 v12, 15, v12
	v_bfe_u32 v13, v6, 27, 4
	v_lshlrev_b32_sdwa v6, v15, v6 dst_sel:DWORD dst_unused:UNUSED_PAD src0_sel:DWORD src1_sel:BYTE_3
	v_sub_u32_e32 v14, 29, v14
	v_and_b32_e32 v6, 7, v6
	v_cmp_eq_u16_e32 vcc, 0, v12
	v_cndmask_b32_e32 v6, v10, v6, vcc
	v_cndmask_b32_e32 v10, v13, v14, vcc
	v_mov_b32_e32 v12, 0x3b800000
	v_lshlrev_b32_e32 v6, 20, v6
	v_lshl_add_u32 v10, v10, 23, v12
	v_or3_b32 v10, v11, v10, v6
.LBB42_1692:
	s_or_b64 exec, exec, s[6:7]
	s_movk_i32 s4, 0x7f
	v_cmp_gt_i16_sdwa s[6:7], v2, s4 src0_sel:BYTE_3 src1_sel:DWORD
	s_mov_b64 s[4:5], 0
                                        ; implicit-def: $sgpr10
	s_and_saveexec_b64 s[8:9], s[6:7]
	s_xor_b64 s[6:7], exec, s[8:9]
	s_cbranch_execnz .LBB42_3741
; %bb.1693:
	s_or_saveexec_b64 s[6:7], s[6:7]
	v_mov_b32_e32 v6, s10
	s_xor_b64 exec, exec, s[6:7]
	s_cbranch_execnz .LBB42_3744
.LBB42_1694:
	s_or_b64 exec, exec, s[6:7]
	s_and_saveexec_b64 s[6:7], s[4:5]
	s_cbranch_execz .LBB42_1696
.LBB42_1695:
	v_bfe_u32 v6, v2, 24, 3
	v_ffbh_u32_e32 v14, v6
	v_min_u32_e32 v14, 32, v14
	v_lshrrev_b32_e32 v12, 27, v2
	v_subrev_u32_e32 v15, 28, v14
	v_and_b32_e32 v11, 0x80000000, v2
	v_and_b32_e32 v12, 15, v12
	v_bfe_u32 v13, v2, 27, 4
	v_lshlrev_b32_sdwa v2, v15, v2 dst_sel:DWORD dst_unused:UNUSED_PAD src0_sel:DWORD src1_sel:BYTE_3
	v_sub_u32_e32 v14, 29, v14
	v_and_b32_e32 v2, 7, v2
	v_cmp_eq_u16_e32 vcc, 0, v12
	v_cndmask_b32_e32 v2, v6, v2, vcc
	v_cndmask_b32_e32 v6, v13, v14, vcc
	v_mov_b32_e32 v12, 0x3b800000
	v_lshlrev_b32_e32 v2, 20, v2
	v_lshl_add_u32 v6, v6, 23, v12
	v_or3_b32 v6, v11, v6, v2
.LBB42_1696:
	s_or_b64 exec, exec, s[6:7]
	s_nop 0
	v_mfma_f32_16x16x4f32 a[0:3], v10, v6, a[0:3]
	s_movk_i32 s4, 0x7f
	v_cmp_gt_i16_sdwa s[6:7], v7, s4 src0_sel:BYTE_0 src1_sel:DWORD
	s_mov_b64 s[4:5], 0
                                        ; implicit-def: $sgpr10
	s_and_saveexec_b64 s[8:9], s[6:7]
	s_xor_b64 s[6:7], exec, s[8:9]
	s_cbranch_execnz .LBB42_3745
; %bb.1697:
	s_or_saveexec_b64 s[6:7], s[6:7]
	v_mov_b32_e32 v2, s10
	s_xor_b64 exec, exec, s[6:7]
	s_cbranch_execnz .LBB42_3748
.LBB42_1698:
	s_or_b64 exec, exec, s[6:7]
	s_and_saveexec_b64 s[6:7], s[4:5]
	s_cbranch_execz .LBB42_1700
.LBB42_1699:
	v_and_b32_e32 v2, 7, v7
	v_ffbh_u32_e32 v10, v2
	v_min_u32_e32 v10, 32, v10
	v_lshrrev_b16_e32 v6, 3, v7
	v_subrev_u32_e32 v11, 28, v10
	v_and_b32_e32 v6, 15, v6
	v_lshlrev_b32_e32 v11, v11, v7
	v_sub_u32_e32 v10, 29, v10
	v_and_b32_e32 v11, 7, v11
	v_cmp_eq_u16_e32 vcc, 0, v6
	v_cndmask_b32_e32 v2, v2, v11, vcc
	v_cndmask_b32_e32 v6, v6, v10, vcc
	v_lshlrev_b32_e32 v10, 24, v7
	v_mov_b32_e32 v11, 0x3b800000
	v_lshlrev_b32_e32 v2, 20, v2
	v_and_b32_e32 v10, 0x80000000, v10
	v_lshl_add_u32 v6, v6, 23, v11
	v_or3_b32 v2, v10, v6, v2
.LBB42_1700:
	s_or_b64 exec, exec, s[6:7]
	s_movk_i32 s4, 0x7f
	v_cmp_gt_i16_sdwa s[6:7], v3, s4 src0_sel:BYTE_0 src1_sel:DWORD
	s_mov_b64 s[4:5], 0
                                        ; implicit-def: $sgpr10
	s_and_saveexec_b64 s[8:9], s[6:7]
	s_xor_b64 s[6:7], exec, s[8:9]
	s_cbranch_execnz .LBB42_3749
; %bb.1701:
	s_or_saveexec_b64 s[6:7], s[6:7]
	v_mov_b32_e32 v6, s10
	s_xor_b64 exec, exec, s[6:7]
	s_cbranch_execnz .LBB42_3752
.LBB42_1702:
	s_or_b64 exec, exec, s[6:7]
	s_and_saveexec_b64 s[6:7], s[4:5]
	s_cbranch_execz .LBB42_1704
.LBB42_1703:
	v_and_b32_e32 v6, 7, v3
	v_ffbh_u32_e32 v11, v6
	v_min_u32_e32 v11, 32, v11
	v_lshrrev_b16_e32 v10, 3, v3
	v_subrev_u32_e32 v12, 28, v11
	v_and_b32_e32 v10, 15, v10
	v_lshlrev_b32_e32 v12, v12, v3
	v_sub_u32_e32 v11, 29, v11
	v_and_b32_e32 v12, 7, v12
	v_cmp_eq_u16_e32 vcc, 0, v10
	v_cndmask_b32_e32 v6, v6, v12, vcc
	v_cndmask_b32_e32 v10, v10, v11, vcc
	v_lshlrev_b32_e32 v11, 24, v3
	v_mov_b32_e32 v12, 0x3b800000
	v_lshlrev_b32_e32 v6, 20, v6
	v_and_b32_e32 v11, 0x80000000, v11
	v_lshl_add_u32 v10, v10, 23, v12
	v_or3_b32 v6, v11, v10, v6
.LBB42_1704:
	s_or_b64 exec, exec, s[6:7]
	s_nop 0
	v_mfma_f32_16x16x4f32 a[0:3], v2, v6, a[0:3]
	v_lshrrev_b32_e32 v6, 8, v7
	s_movk_i32 s4, 0x7f
	v_cmp_gt_i16_sdwa s[6:7], v6, s4 src0_sel:BYTE_0 src1_sel:DWORD
	s_mov_b64 s[4:5], 0
                                        ; implicit-def: $sgpr10
	s_and_saveexec_b64 s[8:9], s[6:7]
	s_xor_b64 s[6:7], exec, s[8:9]
	s_cbranch_execnz .LBB42_3753
; %bb.1705:
	s_or_saveexec_b64 s[6:7], s[6:7]
	v_mov_b32_e32 v2, s10
	s_xor_b64 exec, exec, s[6:7]
	s_cbranch_execnz .LBB42_3756
.LBB42_1706:
	s_or_b64 exec, exec, s[6:7]
	s_and_saveexec_b64 s[6:7], s[4:5]
	s_cbranch_execz .LBB42_1708
.LBB42_1707:
	v_bfe_u32 v2, v7, 8, 3
	v_ffbh_u32_e32 v11, v2
	v_min_u32_e32 v11, 32, v11
	v_lshrrev_b16_e32 v10, 3, v6
	v_subrev_u32_e32 v12, 28, v11
	v_and_b32_e32 v10, 15, v10
	v_lshlrev_b32_e32 v6, v12, v6
	v_sub_u32_e32 v11, 29, v11
	v_and_b32_e32 v6, 7, v6
	v_cmp_eq_u16_e32 vcc, 0, v10
	v_cndmask_b32_e32 v2, v2, v6, vcc
	v_cndmask_b32_e32 v6, v10, v11, vcc
	v_lshlrev_b32_e32 v10, 16, v7
	v_mov_b32_e32 v11, 0x3b800000
	v_lshlrev_b32_e32 v2, 20, v2
	v_and_b32_e32 v10, 0x80000000, v10
	v_lshl_add_u32 v6, v6, 23, v11
	v_or3_b32 v2, v10, v6, v2
.LBB42_1708:
	s_or_b64 exec, exec, s[6:7]
	v_lshrrev_b32_e32 v6, 8, v3
	s_movk_i32 s4, 0x7f
	v_cmp_gt_i16_sdwa s[6:7], v6, s4 src0_sel:BYTE_0 src1_sel:DWORD
	s_mov_b64 s[4:5], 0
                                        ; implicit-def: $sgpr10
	s_and_saveexec_b64 s[8:9], s[6:7]
	s_xor_b64 s[6:7], exec, s[8:9]
	s_cbranch_execnz .LBB42_3757
; %bb.1709:
	s_or_saveexec_b64 s[6:7], s[6:7]
	v_mov_b32_e32 v10, s10
	s_xor_b64 exec, exec, s[6:7]
	s_cbranch_execnz .LBB42_3760
.LBB42_1710:
	s_or_b64 exec, exec, s[6:7]
	s_and_saveexec_b64 s[6:7], s[4:5]
	s_cbranch_execz .LBB42_1712
.LBB42_1711:
	v_bfe_u32 v10, v3, 8, 3
	v_ffbh_u32_e32 v12, v10
	v_min_u32_e32 v12, 32, v12
	v_lshrrev_b16_e32 v11, 3, v6
	v_subrev_u32_e32 v13, 28, v12
	v_and_b32_e32 v11, 15, v11
	v_lshlrev_b32_e32 v6, v13, v6
	v_sub_u32_e32 v12, 29, v12
	v_and_b32_e32 v6, 7, v6
	v_cmp_eq_u16_e32 vcc, 0, v11
	v_cndmask_b32_e32 v6, v10, v6, vcc
	v_cndmask_b32_e32 v10, v11, v12, vcc
	v_lshlrev_b32_e32 v11, 16, v3
	v_mov_b32_e32 v12, 0x3b800000
	v_lshlrev_b32_e32 v6, 20, v6
	v_and_b32_e32 v11, 0x80000000, v11
	v_lshl_add_u32 v10, v10, 23, v12
	v_or3_b32 v10, v11, v10, v6
.LBB42_1712:
	s_or_b64 exec, exec, s[6:7]
	s_nop 0
	v_mfma_f32_16x16x4f32 a[0:3], v2, v10, a[0:3]
	s_movk_i32 s4, 0xff
	v_and_b32_sdwa v6, v7, s4 dst_sel:DWORD dst_unused:UNUSED_PAD src0_sel:WORD_1 src1_sel:DWORD
	s_movk_i32 s4, 0x7f
	v_cmp_lt_i16_e32 vcc, s4, v6
	s_mov_b64 s[4:5], 0
                                        ; implicit-def: $sgpr10
	s_and_saveexec_b64 s[6:7], vcc
	s_xor_b64 s[6:7], exec, s[6:7]
	s_cbranch_execnz .LBB42_3761
; %bb.1713:
	s_or_saveexec_b64 s[6:7], s[6:7]
	v_mov_b32_e32 v2, s10
	s_xor_b64 exec, exec, s[6:7]
	s_cbranch_execnz .LBB42_3764
.LBB42_1714:
	s_or_b64 exec, exec, s[6:7]
	s_and_saveexec_b64 s[6:7], s[4:5]
	s_cbranch_execz .LBB42_1716
.LBB42_1715:
	v_bfe_u32 v2, v7, 16, 3
	v_ffbh_u32_e32 v11, v2
	v_min_u32_e32 v11, 32, v11
	v_lshrrev_b32_e32 v6, 19, v7
	v_subrev_u32_e32 v12, 28, v11
	v_and_b32_e32 v6, 15, v6
	v_lshlrev_b32_sdwa v12, v12, v7 dst_sel:DWORD dst_unused:UNUSED_PAD src0_sel:DWORD src1_sel:WORD_1
	v_bfe_u32 v10, v7, 19, 4
	v_sub_u32_e32 v11, 29, v11
	v_and_b32_e32 v12, 7, v12
	v_cmp_eq_u16_e32 vcc, 0, v6
	v_cndmask_b32_e32 v2, v2, v12, vcc
	v_cndmask_b32_e32 v6, v10, v11, vcc
	v_lshlrev_b32_e32 v10, 8, v7
	v_mov_b32_e32 v11, 0x3b800000
	v_lshlrev_b32_e32 v2, 20, v2
	v_and_b32_e32 v10, 0x80000000, v10
	v_lshl_add_u32 v6, v6, 23, v11
	v_or3_b32 v2, v10, v6, v2
.LBB42_1716:
	s_or_b64 exec, exec, s[6:7]
	s_movk_i32 s4, 0xff
	v_and_b32_sdwa v6, v3, s4 dst_sel:DWORD dst_unused:UNUSED_PAD src0_sel:WORD_1 src1_sel:DWORD
	s_movk_i32 s4, 0x7f
	v_cmp_lt_i16_e32 vcc, s4, v6
	s_mov_b64 s[4:5], 0
                                        ; implicit-def: $sgpr10
	s_and_saveexec_b64 s[6:7], vcc
	s_xor_b64 s[6:7], exec, s[6:7]
	s_cbranch_execnz .LBB42_3765
; %bb.1717:
	s_or_saveexec_b64 s[6:7], s[6:7]
	v_mov_b32_e32 v10, s10
	s_xor_b64 exec, exec, s[6:7]
	s_cbranch_execnz .LBB42_3768
.LBB42_1718:
	s_or_b64 exec, exec, s[6:7]
	s_and_saveexec_b64 s[6:7], s[4:5]
	s_cbranch_execz .LBB42_1720
.LBB42_1719:
	v_bfe_u32 v6, v3, 16, 3
	v_ffbh_u32_e32 v12, v6
	v_min_u32_e32 v12, 32, v12
	v_lshrrev_b32_e32 v10, 19, v3
	v_subrev_u32_e32 v13, 28, v12
	v_and_b32_e32 v10, 15, v10
	v_lshlrev_b32_sdwa v13, v13, v3 dst_sel:DWORD dst_unused:UNUSED_PAD src0_sel:DWORD src1_sel:WORD_1
	v_bfe_u32 v11, v3, 19, 4
	v_sub_u32_e32 v12, 29, v12
	v_and_b32_e32 v13, 7, v13
	v_cmp_eq_u16_e32 vcc, 0, v10
	v_cndmask_b32_e32 v6, v6, v13, vcc
	v_cndmask_b32_e32 v10, v11, v12, vcc
	v_lshlrev_b32_e32 v11, 8, v3
	v_mov_b32_e32 v12, 0x3b800000
	v_lshlrev_b32_e32 v6, 20, v6
	v_and_b32_e32 v11, 0x80000000, v11
	v_lshl_add_u32 v10, v10, 23, v12
	v_or3_b32 v10, v11, v10, v6
.LBB42_1720:
	s_or_b64 exec, exec, s[6:7]
	s_nop 0
	v_mfma_f32_16x16x4f32 a[0:3], v2, v10, a[0:3]
	s_movk_i32 s4, 0x7f
	v_cmp_gt_i16_sdwa s[6:7], v7, s4 src0_sel:BYTE_3 src1_sel:DWORD
	s_mov_b64 s[4:5], 0
                                        ; implicit-def: $sgpr10
	s_and_saveexec_b64 s[8:9], s[6:7]
	s_xor_b64 s[6:7], exec, s[8:9]
	s_cbranch_execnz .LBB42_3769
; %bb.1721:
	s_or_saveexec_b64 s[6:7], s[6:7]
	v_mov_b32_e32 v2, s10
	s_xor_b64 exec, exec, s[6:7]
	s_cbranch_execnz .LBB42_3772
.LBB42_1722:
	s_or_b64 exec, exec, s[6:7]
	s_and_saveexec_b64 s[6:7], s[4:5]
	s_cbranch_execz .LBB42_1724
.LBB42_1723:
	v_bfe_u32 v2, v7, 24, 3
	v_ffbh_u32_e32 v12, v2
	v_min_u32_e32 v12, 32, v12
	v_lshrrev_b32_e32 v10, 27, v7
	v_subrev_u32_e32 v13, 28, v12
	v_and_b32_e32 v6, 0x80000000, v7
	v_and_b32_e32 v10, 15, v10
	v_bfe_u32 v11, v7, 27, 4
	v_lshlrev_b32_sdwa v7, v13, v7 dst_sel:DWORD dst_unused:UNUSED_PAD src0_sel:DWORD src1_sel:BYTE_3
	v_sub_u32_e32 v12, 29, v12
	v_and_b32_e32 v7, 7, v7
	v_cmp_eq_u16_e32 vcc, 0, v10
	v_cndmask_b32_e32 v2, v2, v7, vcc
	v_cndmask_b32_e32 v7, v11, v12, vcc
	v_mov_b32_e32 v10, 0x3b800000
	v_lshlrev_b32_e32 v2, 20, v2
	v_lshl_add_u32 v7, v7, 23, v10
	v_or3_b32 v2, v6, v7, v2
.LBB42_1724:
	s_or_b64 exec, exec, s[6:7]
	s_movk_i32 s4, 0x7f
	v_cmp_gt_i16_sdwa s[6:7], v3, s4 src0_sel:BYTE_3 src1_sel:DWORD
	s_mov_b64 s[4:5], 0
                                        ; implicit-def: $sgpr10
	s_and_saveexec_b64 s[8:9], s[6:7]
	s_xor_b64 s[6:7], exec, s[8:9]
	s_cbranch_execnz .LBB42_3773
; %bb.1725:
	s_or_saveexec_b64 s[6:7], s[6:7]
	v_mov_b32_e32 v6, s10
	s_xor_b64 exec, exec, s[6:7]
	s_cbranch_execnz .LBB42_3776
.LBB42_1726:
	s_or_b64 exec, exec, s[6:7]
	s_and_saveexec_b64 s[6:7], s[4:5]
	s_cbranch_execz .LBB42_1728
.LBB42_1727:
	v_bfe_u32 v6, v3, 24, 3
	v_ffbh_u32_e32 v12, v6
	v_min_u32_e32 v12, 32, v12
	v_lshrrev_b32_e32 v10, 27, v3
	v_subrev_u32_e32 v13, 28, v12
	v_and_b32_e32 v7, 0x80000000, v3
	v_and_b32_e32 v10, 15, v10
	v_bfe_u32 v11, v3, 27, 4
	v_lshlrev_b32_sdwa v3, v13, v3 dst_sel:DWORD dst_unused:UNUSED_PAD src0_sel:DWORD src1_sel:BYTE_3
	v_sub_u32_e32 v12, 29, v12
	v_and_b32_e32 v3, 7, v3
	v_cmp_eq_u16_e32 vcc, 0, v10
	v_cndmask_b32_e32 v3, v6, v3, vcc
	v_cndmask_b32_e32 v6, v11, v12, vcc
	v_mov_b32_e32 v10, 0x3b800000
	v_lshlrev_b32_e32 v3, 20, v3
	v_lshl_add_u32 v6, v6, 23, v10
	v_or3_b32 v6, v7, v6, v3
.LBB42_1728:
	s_or_b64 exec, exec, s[6:7]
	s_nop 0
	v_mfma_f32_16x16x4f32 a[0:3], v2, v6, a[0:3]
	s_movk_i32 s4, 0x7f
	v_cmp_gt_i16_sdwa s[6:7], v8, s4 src0_sel:BYTE_0 src1_sel:DWORD
	s_mov_b64 s[4:5], 0
                                        ; implicit-def: $sgpr10
	s_and_saveexec_b64 s[8:9], s[6:7]
	s_xor_b64 s[6:7], exec, s[8:9]
	s_cbranch_execnz .LBB42_3777
; %bb.1729:
	s_or_saveexec_b64 s[6:7], s[6:7]
	v_mov_b32_e32 v2, s10
	s_xor_b64 exec, exec, s[6:7]
	s_cbranch_execnz .LBB42_3780
.LBB42_1730:
	s_or_b64 exec, exec, s[6:7]
	s_and_saveexec_b64 s[6:7], s[4:5]
	s_cbranch_execz .LBB42_1732
.LBB42_1731:
	v_and_b32_e32 v2, 7, v8
	v_ffbh_u32_e32 v6, v2
	v_min_u32_e32 v6, 32, v6
	v_lshrrev_b16_e32 v3, 3, v8
	v_subrev_u32_e32 v7, 28, v6
	v_and_b32_e32 v3, 15, v3
	v_lshlrev_b32_e32 v7, v7, v8
	v_sub_u32_e32 v6, 29, v6
	v_and_b32_e32 v7, 7, v7
	v_cmp_eq_u16_e32 vcc, 0, v3
	v_cndmask_b32_e32 v2, v2, v7, vcc
	v_cndmask_b32_e32 v3, v3, v6, vcc
	v_lshlrev_b32_e32 v6, 24, v8
	v_mov_b32_e32 v7, 0x3b800000
	v_lshlrev_b32_e32 v2, 20, v2
	v_and_b32_e32 v6, 0x80000000, v6
	v_lshl_add_u32 v3, v3, 23, v7
	v_or3_b32 v2, v6, v3, v2
.LBB42_1732:
	s_or_b64 exec, exec, s[6:7]
	s_movk_i32 s4, 0x7f
	v_cmp_gt_i16_sdwa s[6:7], v4, s4 src0_sel:BYTE_0 src1_sel:DWORD
	s_mov_b64 s[4:5], 0
                                        ; implicit-def: $sgpr10
	s_and_saveexec_b64 s[8:9], s[6:7]
	s_xor_b64 s[6:7], exec, s[8:9]
	s_cbranch_execnz .LBB42_3781
; %bb.1733:
	s_or_saveexec_b64 s[6:7], s[6:7]
	v_mov_b32_e32 v3, s10
	s_xor_b64 exec, exec, s[6:7]
	s_cbranch_execnz .LBB42_3784
.LBB42_1734:
	s_or_b64 exec, exec, s[6:7]
	s_and_saveexec_b64 s[6:7], s[4:5]
	s_cbranch_execz .LBB42_1736
.LBB42_1735:
	v_and_b32_e32 v3, 7, v4
	v_ffbh_u32_e32 v7, v3
	v_min_u32_e32 v7, 32, v7
	v_lshrrev_b16_e32 v6, 3, v4
	v_subrev_u32_e32 v10, 28, v7
	v_and_b32_e32 v6, 15, v6
	v_lshlrev_b32_e32 v10, v10, v4
	v_sub_u32_e32 v7, 29, v7
	v_and_b32_e32 v10, 7, v10
	v_cmp_eq_u16_e32 vcc, 0, v6
	v_cndmask_b32_e32 v3, v3, v10, vcc
	v_cndmask_b32_e32 v6, v6, v7, vcc
	v_lshlrev_b32_e32 v7, 24, v4
	v_mov_b32_e32 v10, 0x3b800000
	v_lshlrev_b32_e32 v3, 20, v3
	v_and_b32_e32 v7, 0x80000000, v7
	v_lshl_add_u32 v6, v6, 23, v10
	v_or3_b32 v3, v7, v6, v3
.LBB42_1736:
	s_or_b64 exec, exec, s[6:7]
	s_nop 0
	v_mfma_f32_16x16x4f32 a[0:3], v2, v3, a[0:3]
	v_lshrrev_b32_e32 v3, 8, v8
	s_movk_i32 s4, 0x7f
	v_cmp_gt_i16_sdwa s[6:7], v3, s4 src0_sel:BYTE_0 src1_sel:DWORD
	s_mov_b64 s[4:5], 0
                                        ; implicit-def: $sgpr10
	s_and_saveexec_b64 s[8:9], s[6:7]
	s_xor_b64 s[6:7], exec, s[8:9]
	s_cbranch_execnz .LBB42_3785
; %bb.1737:
	s_or_saveexec_b64 s[6:7], s[6:7]
	v_mov_b32_e32 v2, s10
	s_xor_b64 exec, exec, s[6:7]
	s_cbranch_execnz .LBB42_3788
.LBB42_1738:
	s_or_b64 exec, exec, s[6:7]
	s_and_saveexec_b64 s[6:7], s[4:5]
	s_cbranch_execz .LBB42_1740
.LBB42_1739:
	v_bfe_u32 v2, v8, 8, 3
	v_ffbh_u32_e32 v7, v2
	v_min_u32_e32 v7, 32, v7
	v_lshrrev_b16_e32 v6, 3, v3
	v_subrev_u32_e32 v10, 28, v7
	v_and_b32_e32 v6, 15, v6
	v_lshlrev_b32_e32 v3, v10, v3
	v_sub_u32_e32 v7, 29, v7
	v_and_b32_e32 v3, 7, v3
	v_cmp_eq_u16_e32 vcc, 0, v6
	v_cndmask_b32_e32 v2, v2, v3, vcc
	v_cndmask_b32_e32 v3, v6, v7, vcc
	v_lshlrev_b32_e32 v6, 16, v8
	v_mov_b32_e32 v7, 0x3b800000
	v_lshlrev_b32_e32 v2, 20, v2
	v_and_b32_e32 v6, 0x80000000, v6
	v_lshl_add_u32 v3, v3, 23, v7
	v_or3_b32 v2, v6, v3, v2
.LBB42_1740:
	s_or_b64 exec, exec, s[6:7]
	v_lshrrev_b32_e32 v3, 8, v4
	s_movk_i32 s4, 0x7f
	v_cmp_gt_i16_sdwa s[6:7], v3, s4 src0_sel:BYTE_0 src1_sel:DWORD
	s_mov_b64 s[4:5], 0
                                        ; implicit-def: $sgpr10
	s_and_saveexec_b64 s[8:9], s[6:7]
	s_xor_b64 s[6:7], exec, s[8:9]
	s_cbranch_execnz .LBB42_3789
; %bb.1741:
	s_or_saveexec_b64 s[6:7], s[6:7]
	v_mov_b32_e32 v6, s10
	s_xor_b64 exec, exec, s[6:7]
	s_cbranch_execnz .LBB42_3792
.LBB42_1742:
	s_or_b64 exec, exec, s[6:7]
	s_and_saveexec_b64 s[6:7], s[4:5]
	s_cbranch_execz .LBB42_1744
.LBB42_1743:
	v_bfe_u32 v6, v4, 8, 3
	v_ffbh_u32_e32 v10, v6
	v_min_u32_e32 v10, 32, v10
	v_lshrrev_b16_e32 v7, 3, v3
	v_subrev_u32_e32 v11, 28, v10
	v_and_b32_e32 v7, 15, v7
	v_lshlrev_b32_e32 v3, v11, v3
	v_sub_u32_e32 v10, 29, v10
	v_and_b32_e32 v3, 7, v3
	v_cmp_eq_u16_e32 vcc, 0, v7
	v_cndmask_b32_e32 v3, v6, v3, vcc
	v_cndmask_b32_e32 v6, v7, v10, vcc
	v_lshlrev_b32_e32 v7, 16, v4
	v_mov_b32_e32 v10, 0x3b800000
	v_lshlrev_b32_e32 v3, 20, v3
	v_and_b32_e32 v7, 0x80000000, v7
	v_lshl_add_u32 v6, v6, 23, v10
	v_or3_b32 v6, v7, v6, v3
.LBB42_1744:
	s_or_b64 exec, exec, s[6:7]
	s_nop 0
	v_mfma_f32_16x16x4f32 a[0:3], v2, v6, a[0:3]
	s_movk_i32 s4, 0xff
	v_and_b32_sdwa v3, v8, s4 dst_sel:DWORD dst_unused:UNUSED_PAD src0_sel:WORD_1 src1_sel:DWORD
	s_movk_i32 s4, 0x7f
	v_cmp_lt_i16_e32 vcc, s4, v3
	s_mov_b64 s[4:5], 0
                                        ; implicit-def: $sgpr10
	s_and_saveexec_b64 s[6:7], vcc
	s_xor_b64 s[6:7], exec, s[6:7]
	s_cbranch_execnz .LBB42_3793
; %bb.1745:
	s_or_saveexec_b64 s[6:7], s[6:7]
	v_mov_b32_e32 v2, s10
	s_xor_b64 exec, exec, s[6:7]
	s_cbranch_execnz .LBB42_3796
.LBB42_1746:
	s_or_b64 exec, exec, s[6:7]
	s_and_saveexec_b64 s[6:7], s[4:5]
	s_cbranch_execz .LBB42_1748
.LBB42_1747:
	v_bfe_u32 v2, v8, 16, 3
	v_ffbh_u32_e32 v7, v2
	v_min_u32_e32 v7, 32, v7
	v_lshrrev_b32_e32 v3, 19, v8
	v_subrev_u32_e32 v10, 28, v7
	v_and_b32_e32 v3, 15, v3
	v_lshlrev_b32_sdwa v10, v10, v8 dst_sel:DWORD dst_unused:UNUSED_PAD src0_sel:DWORD src1_sel:WORD_1
	v_bfe_u32 v6, v8, 19, 4
	v_sub_u32_e32 v7, 29, v7
	v_and_b32_e32 v10, 7, v10
	v_cmp_eq_u16_e32 vcc, 0, v3
	v_cndmask_b32_e32 v2, v2, v10, vcc
	v_cndmask_b32_e32 v3, v6, v7, vcc
	v_lshlrev_b32_e32 v6, 8, v8
	v_mov_b32_e32 v7, 0x3b800000
	v_lshlrev_b32_e32 v2, 20, v2
	v_and_b32_e32 v6, 0x80000000, v6
	v_lshl_add_u32 v3, v3, 23, v7
	v_or3_b32 v2, v6, v3, v2
.LBB42_1748:
	s_or_b64 exec, exec, s[6:7]
	s_movk_i32 s4, 0xff
	v_and_b32_sdwa v3, v4, s4 dst_sel:DWORD dst_unused:UNUSED_PAD src0_sel:WORD_1 src1_sel:DWORD
	s_movk_i32 s4, 0x7f
	v_cmp_lt_i16_e32 vcc, s4, v3
	s_mov_b64 s[4:5], 0
                                        ; implicit-def: $sgpr10
	s_and_saveexec_b64 s[6:7], vcc
	s_xor_b64 s[6:7], exec, s[6:7]
	s_cbranch_execnz .LBB42_3797
; %bb.1749:
	s_or_saveexec_b64 s[6:7], s[6:7]
	v_mov_b32_e32 v6, s10
	s_xor_b64 exec, exec, s[6:7]
	s_cbranch_execnz .LBB42_3800
.LBB42_1750:
	s_or_b64 exec, exec, s[6:7]
	s_and_saveexec_b64 s[6:7], s[4:5]
	s_cbranch_execz .LBB42_1752
.LBB42_1751:
	v_bfe_u32 v3, v4, 16, 3
	v_ffbh_u32_e32 v10, v3
	v_min_u32_e32 v10, 32, v10
	v_lshrrev_b32_e32 v6, 19, v4
	v_subrev_u32_e32 v11, 28, v10
	v_and_b32_e32 v6, 15, v6
	v_lshlrev_b32_sdwa v11, v11, v4 dst_sel:DWORD dst_unused:UNUSED_PAD src0_sel:DWORD src1_sel:WORD_1
	v_bfe_u32 v7, v4, 19, 4
	v_sub_u32_e32 v10, 29, v10
	v_and_b32_e32 v11, 7, v11
	v_cmp_eq_u16_e32 vcc, 0, v6
	v_cndmask_b32_e32 v3, v3, v11, vcc
	v_cndmask_b32_e32 v6, v7, v10, vcc
	v_lshlrev_b32_e32 v7, 8, v4
	v_mov_b32_e32 v10, 0x3b800000
	v_lshlrev_b32_e32 v3, 20, v3
	v_and_b32_e32 v7, 0x80000000, v7
	v_lshl_add_u32 v6, v6, 23, v10
	v_or3_b32 v6, v7, v6, v3
.LBB42_1752:
	s_or_b64 exec, exec, s[6:7]
	s_nop 0
	v_mfma_f32_16x16x4f32 a[0:3], v2, v6, a[0:3]
	s_movk_i32 s4, 0x7f
	v_cmp_gt_i16_sdwa s[6:7], v8, s4 src0_sel:BYTE_3 src1_sel:DWORD
	s_mov_b64 s[4:5], 0
                                        ; implicit-def: $sgpr10
	s_and_saveexec_b64 s[8:9], s[6:7]
	s_xor_b64 s[6:7], exec, s[8:9]
	s_cbranch_execnz .LBB42_3801
; %bb.1753:
	s_or_saveexec_b64 s[6:7], s[6:7]
	v_mov_b32_e32 v2, s10
	s_xor_b64 exec, exec, s[6:7]
	s_cbranch_execnz .LBB42_3804
.LBB42_1754:
	s_or_b64 exec, exec, s[6:7]
	s_and_saveexec_b64 s[6:7], s[4:5]
	s_cbranch_execz .LBB42_1756
.LBB42_1755:
	v_bfe_u32 v2, v8, 24, 3
	v_ffbh_u32_e32 v10, v2
	v_min_u32_e32 v10, 32, v10
	v_lshrrev_b32_e32 v6, 27, v8
	v_subrev_u32_e32 v11, 28, v10
	v_and_b32_e32 v3, 0x80000000, v8
	v_and_b32_e32 v6, 15, v6
	v_bfe_u32 v7, v8, 27, 4
	v_lshlrev_b32_sdwa v8, v11, v8 dst_sel:DWORD dst_unused:UNUSED_PAD src0_sel:DWORD src1_sel:BYTE_3
	v_sub_u32_e32 v10, 29, v10
	v_and_b32_e32 v8, 7, v8
	v_cmp_eq_u16_e32 vcc, 0, v6
	v_cndmask_b32_e32 v2, v2, v8, vcc
	v_cndmask_b32_e32 v6, v7, v10, vcc
	v_mov_b32_e32 v7, 0x3b800000
	v_lshlrev_b32_e32 v2, 20, v2
	v_lshl_add_u32 v6, v6, 23, v7
	v_or3_b32 v2, v3, v6, v2
.LBB42_1756:
	s_or_b64 exec, exec, s[6:7]
	s_movk_i32 s4, 0x7f
	v_cmp_gt_i16_sdwa s[6:7], v4, s4 src0_sel:BYTE_3 src1_sel:DWORD
	s_mov_b64 s[4:5], 0
                                        ; implicit-def: $sgpr10
	s_and_saveexec_b64 s[8:9], s[6:7]
	s_xor_b64 s[6:7], exec, s[8:9]
	s_cbranch_execnz .LBB42_3805
; %bb.1757:
	s_or_saveexec_b64 s[6:7], s[6:7]
	v_mov_b32_e32 v3, s10
	s_xor_b64 exec, exec, s[6:7]
	s_cbranch_execnz .LBB42_3808
.LBB42_1758:
	s_or_b64 exec, exec, s[6:7]
	s_and_saveexec_b64 s[6:7], s[4:5]
	s_cbranch_execz .LBB42_1760
.LBB42_1759:
	v_bfe_u32 v3, v4, 24, 3
	v_ffbh_u32_e32 v10, v3
	v_min_u32_e32 v10, 32, v10
	v_lshrrev_b32_e32 v7, 27, v4
	v_subrev_u32_e32 v11, 28, v10
	v_and_b32_e32 v6, 0x80000000, v4
	v_and_b32_e32 v7, 15, v7
	v_bfe_u32 v8, v4, 27, 4
	v_lshlrev_b32_sdwa v4, v11, v4 dst_sel:DWORD dst_unused:UNUSED_PAD src0_sel:DWORD src1_sel:BYTE_3
	v_sub_u32_e32 v10, 29, v10
	v_and_b32_e32 v4, 7, v4
	v_cmp_eq_u16_e32 vcc, 0, v7
	v_cndmask_b32_e32 v3, v3, v4, vcc
	v_cndmask_b32_e32 v4, v8, v10, vcc
	v_mov_b32_e32 v7, 0x3b800000
	v_lshlrev_b32_e32 v3, 20, v3
	v_lshl_add_u32 v4, v4, 23, v7
	v_or3_b32 v3, v6, v4, v3
.LBB42_1760:
	s_or_b64 exec, exec, s[6:7]
	s_nop 0
	v_mfma_f32_16x16x4f32 a[0:3], v2, v3, a[0:3]
	s_movk_i32 s4, 0x7f
	v_cmp_gt_i16_sdwa s[6:7], v9, s4 src0_sel:BYTE_0 src1_sel:DWORD
	s_mov_b64 s[4:5], 0
                                        ; implicit-def: $sgpr10
	s_and_saveexec_b64 s[8:9], s[6:7]
	s_xor_b64 s[6:7], exec, s[8:9]
	s_cbranch_execnz .LBB42_3809
; %bb.1761:
	s_or_saveexec_b64 s[6:7], s[6:7]
	v_mov_b32_e32 v2, s10
	s_xor_b64 exec, exec, s[6:7]
	s_cbranch_execnz .LBB42_3812
.LBB42_1762:
	s_or_b64 exec, exec, s[6:7]
	s_and_saveexec_b64 s[6:7], s[4:5]
	s_cbranch_execz .LBB42_1764
.LBB42_1763:
	v_mov_b32_e32 v2, 8
	v_and_b32_e32 v3, 7, v9
	v_lshrrev_b32_sdwa v2, v2, v9 dst_sel:BYTE_1 dst_unused:UNUSED_PAD src0_sel:DWORD src1_sel:DWORD
	v_ffbh_u32_e32 v4, v3
	v_or_b32_sdwa v2, v9, v2 dst_sel:DWORD dst_unused:UNUSED_PAD src0_sel:BYTE_0 src1_sel:DWORD
	v_min_u32_e32 v4, 32, v4
	v_lshrrev_b16_e32 v2, 3, v2
	v_subrev_u32_e32 v6, 28, v4
	v_and_b32_e32 v2, 15, v2
	v_lshlrev_b32_e32 v6, v6, v9
	v_sub_u32_e32 v4, 29, v4
	v_and_b32_e32 v6, 7, v6
	v_cmp_eq_u16_e32 vcc, 0, v2
	v_cndmask_b32_e32 v3, v3, v6, vcc
	v_cndmask_b32_e32 v2, v2, v4, vcc
	v_lshlrev_b32_e32 v4, 24, v9
	v_mov_b32_e32 v6, 0x3b800000
	v_lshlrev_b32_e32 v3, 20, v3
	v_and_b32_e32 v4, 0x80000000, v4
	v_lshl_add_u32 v2, v2, 23, v6
	v_or3_b32 v2, v4, v2, v3
.LBB42_1764:
	s_or_b64 exec, exec, s[6:7]
	s_movk_i32 s4, 0x7f
	v_cmp_gt_i16_sdwa s[6:7], v5, s4 src0_sel:BYTE_0 src1_sel:DWORD
	s_mov_b64 s[4:5], 0
                                        ; implicit-def: $sgpr10
	s_and_saveexec_b64 s[8:9], s[6:7]
	s_xor_b64 s[6:7], exec, s[8:9]
	s_cbranch_execnz .LBB42_3813
; %bb.1765:
	s_or_saveexec_b64 s[6:7], s[6:7]
	v_mov_b32_e32 v3, s10
	s_xor_b64 exec, exec, s[6:7]
	s_cbranch_execnz .LBB42_3816
.LBB42_1766:
	s_or_b64 exec, exec, s[6:7]
	s_and_saveexec_b64 s[6:7], s[4:5]
	s_cbranch_execz .LBB42_1768
.LBB42_1767:
	v_mov_b32_e32 v3, 8
	v_and_b32_e32 v4, 7, v5
	v_lshrrev_b32_sdwa v3, v3, v5 dst_sel:BYTE_1 dst_unused:UNUSED_PAD src0_sel:DWORD src1_sel:DWORD
	v_ffbh_u32_e32 v6, v4
	v_or_b32_sdwa v3, v5, v3 dst_sel:DWORD dst_unused:UNUSED_PAD src0_sel:BYTE_0 src1_sel:DWORD
	v_min_u32_e32 v6, 32, v6
	v_lshrrev_b16_e32 v3, 3, v3
	v_subrev_u32_e32 v7, 28, v6
	v_and_b32_e32 v3, 15, v3
	v_lshlrev_b32_e32 v7, v7, v5
	v_sub_u32_e32 v6, 29, v6
	v_and_b32_e32 v7, 7, v7
	v_cmp_eq_u16_e32 vcc, 0, v3
	v_cndmask_b32_e32 v4, v4, v7, vcc
	v_cndmask_b32_e32 v3, v3, v6, vcc
	v_lshlrev_b32_e32 v6, 24, v5
	v_mov_b32_e32 v7, 0x3b800000
	v_lshlrev_b32_e32 v4, 20, v4
	v_and_b32_e32 v6, 0x80000000, v6
	v_lshl_add_u32 v3, v3, 23, v7
	v_or3_b32 v3, v6, v3, v4
.LBB42_1768:
	s_or_b64 exec, exec, s[6:7]
	s_nop 0
	v_mfma_f32_16x16x4f32 a[0:3], v2, v3, a[0:3]
	v_lshrrev_b32_e32 v3, 8, v9
	s_movk_i32 s4, 0x7f
	v_cmp_gt_i16_sdwa s[6:7], v3, s4 src0_sel:BYTE_0 src1_sel:DWORD
	s_mov_b64 s[4:5], 0
                                        ; implicit-def: $sgpr10
	s_and_saveexec_b64 s[8:9], s[6:7]
	s_xor_b64 s[6:7], exec, s[8:9]
	s_cbranch_execnz .LBB42_3817
; %bb.1769:
	s_or_saveexec_b64 s[6:7], s[6:7]
	v_mov_b32_e32 v2, s10
	s_xor_b64 exec, exec, s[6:7]
	s_cbranch_execnz .LBB42_3820
.LBB42_1770:
	s_or_b64 exec, exec, s[6:7]
	s_and_saveexec_b64 s[6:7], s[4:5]
	s_cbranch_execz .LBB42_1772
.LBB42_1771:
	v_bfe_u32 v2, v9, 8, 3
	v_ffbh_u32_e32 v6, v2
	v_min_u32_e32 v6, 32, v6
	v_lshrrev_b16_e32 v4, 3, v3
	v_subrev_u32_e32 v7, 28, v6
	v_and_b32_e32 v4, 15, v4
	v_lshlrev_b32_e32 v3, v7, v3
	v_sub_u32_e32 v6, 29, v6
	v_and_b32_e32 v3, 7, v3
	v_cmp_eq_u16_e32 vcc, 0, v4
	v_cndmask_b32_e32 v2, v2, v3, vcc
	v_cndmask_b32_e32 v3, v4, v6, vcc
	v_lshlrev_b32_e32 v4, 16, v9
	v_mov_b32_e32 v6, 0x3b800000
	v_lshlrev_b32_e32 v2, 20, v2
	v_and_b32_e32 v4, 0x80000000, v4
	v_lshl_add_u32 v3, v3, 23, v6
	v_or3_b32 v2, v4, v3, v2
.LBB42_1772:
	s_or_b64 exec, exec, s[6:7]
	v_lshrrev_b32_e32 v3, 8, v5
	s_movk_i32 s4, 0x7f
	v_cmp_gt_i16_sdwa s[6:7], v3, s4 src0_sel:BYTE_0 src1_sel:DWORD
	s_mov_b64 s[4:5], 0
                                        ; implicit-def: $sgpr10
	s_and_saveexec_b64 s[8:9], s[6:7]
	s_xor_b64 s[6:7], exec, s[8:9]
	s_cbranch_execnz .LBB42_3821
; %bb.1773:
	s_or_saveexec_b64 s[6:7], s[6:7]
	v_mov_b32_e32 v4, s10
	s_xor_b64 exec, exec, s[6:7]
	s_cbranch_execnz .LBB42_3824
.LBB42_1774:
	s_or_b64 exec, exec, s[6:7]
	s_and_saveexec_b64 s[6:7], s[4:5]
	s_cbranch_execz .LBB42_1776
.LBB42_1775:
	v_bfe_u32 v4, v5, 8, 3
	v_ffbh_u32_e32 v7, v4
	v_min_u32_e32 v7, 32, v7
	v_lshrrev_b16_e32 v6, 3, v3
	v_subrev_u32_e32 v8, 28, v7
	v_and_b32_e32 v6, 15, v6
	v_lshlrev_b32_e32 v3, v8, v3
	v_sub_u32_e32 v7, 29, v7
	v_and_b32_e32 v3, 7, v3
	v_cmp_eq_u16_e32 vcc, 0, v6
	v_cndmask_b32_e32 v3, v4, v3, vcc
	v_cndmask_b32_e32 v4, v6, v7, vcc
	v_lshlrev_b32_e32 v6, 16, v5
	v_mov_b32_e32 v7, 0x3b800000
	v_lshlrev_b32_e32 v3, 20, v3
	v_and_b32_e32 v6, 0x80000000, v6
	v_lshl_add_u32 v4, v4, 23, v7
	v_or3_b32 v4, v6, v4, v3
.LBB42_1776:
	s_or_b64 exec, exec, s[6:7]
	s_nop 0
	v_mfma_f32_16x16x4f32 a[0:3], v2, v4, a[0:3]
	s_movk_i32 s4, 0xff
	v_and_b32_sdwa v3, v9, s4 dst_sel:DWORD dst_unused:UNUSED_PAD src0_sel:WORD_1 src1_sel:DWORD
	s_movk_i32 s4, 0x7f
	v_cmp_lt_i16_e32 vcc, s4, v3
	s_mov_b64 s[4:5], 0
                                        ; implicit-def: $sgpr10
	s_and_saveexec_b64 s[6:7], vcc
	s_xor_b64 s[6:7], exec, s[6:7]
	s_cbranch_execnz .LBB42_3825
; %bb.1777:
	s_or_saveexec_b64 s[6:7], s[6:7]
	v_mov_b32_e32 v2, s10
	s_xor_b64 exec, exec, s[6:7]
	s_cbranch_execnz .LBB42_3828
.LBB42_1778:
	s_or_b64 exec, exec, s[6:7]
	s_and_saveexec_b64 s[6:7], s[4:5]
	s_cbranch_execz .LBB42_1780
.LBB42_1779:
	v_bfe_u32 v2, v9, 16, 3
	v_ffbh_u32_e32 v6, v2
	v_min_u32_e32 v6, 32, v6
	v_lshrrev_b32_e32 v3, 19, v9
	v_subrev_u32_e32 v7, 28, v6
	v_and_b32_e32 v3, 15, v3
	v_lshlrev_b32_sdwa v7, v7, v9 dst_sel:DWORD dst_unused:UNUSED_PAD src0_sel:DWORD src1_sel:WORD_1
	v_bfe_u32 v4, v9, 19, 4
	v_sub_u32_e32 v6, 29, v6
	v_and_b32_e32 v7, 7, v7
	v_cmp_eq_u16_e32 vcc, 0, v3
	v_cndmask_b32_e32 v2, v2, v7, vcc
	v_cndmask_b32_e32 v3, v4, v6, vcc
	v_lshlrev_b32_e32 v4, 8, v9
	v_mov_b32_e32 v6, 0x3b800000
	v_lshlrev_b32_e32 v2, 20, v2
	v_and_b32_e32 v4, 0x80000000, v4
	v_lshl_add_u32 v3, v3, 23, v6
	v_or3_b32 v2, v4, v3, v2
.LBB42_1780:
	s_or_b64 exec, exec, s[6:7]
	s_movk_i32 s4, 0xff
	v_and_b32_sdwa v3, v5, s4 dst_sel:DWORD dst_unused:UNUSED_PAD src0_sel:WORD_1 src1_sel:DWORD
	s_movk_i32 s4, 0x7f
	v_cmp_lt_i16_e32 vcc, s4, v3
	s_mov_b64 s[4:5], 0
                                        ; implicit-def: $sgpr10
	s_and_saveexec_b64 s[6:7], vcc
	s_xor_b64 s[6:7], exec, s[6:7]
	s_cbranch_execnz .LBB42_3829
; %bb.1781:
	s_or_saveexec_b64 s[6:7], s[6:7]
	v_mov_b32_e32 v4, s10
	s_xor_b64 exec, exec, s[6:7]
	s_cbranch_execnz .LBB42_3832
.LBB42_1782:
	s_or_b64 exec, exec, s[6:7]
	s_and_saveexec_b64 s[6:7], s[4:5]
	s_cbranch_execz .LBB42_1784
.LBB42_1783:
	v_bfe_u32 v3, v5, 16, 3
	v_ffbh_u32_e32 v7, v3
	v_min_u32_e32 v7, 32, v7
	v_lshrrev_b32_e32 v4, 19, v5
	v_subrev_u32_e32 v8, 28, v7
	v_and_b32_e32 v4, 15, v4
	v_lshlrev_b32_sdwa v8, v8, v5 dst_sel:DWORD dst_unused:UNUSED_PAD src0_sel:DWORD src1_sel:WORD_1
	v_bfe_u32 v6, v5, 19, 4
	v_sub_u32_e32 v7, 29, v7
	v_and_b32_e32 v8, 7, v8
	v_cmp_eq_u16_e32 vcc, 0, v4
	v_cndmask_b32_e32 v3, v3, v8, vcc
	v_cndmask_b32_e32 v4, v6, v7, vcc
	v_lshlrev_b32_e32 v6, 8, v5
	v_mov_b32_e32 v7, 0x3b800000
	v_lshlrev_b32_e32 v3, 20, v3
	v_and_b32_e32 v6, 0x80000000, v6
	v_lshl_add_u32 v4, v4, 23, v7
	v_or3_b32 v4, v6, v4, v3
.LBB42_1784:
	s_or_b64 exec, exec, s[6:7]
	s_nop 0
	v_mfma_f32_16x16x4f32 a[0:3], v2, v4, a[0:3]
	s_movk_i32 s4, 0x7f
	v_cmp_gt_i16_sdwa s[6:7], v9, s4 src0_sel:BYTE_3 src1_sel:DWORD
	s_mov_b64 s[4:5], 0
                                        ; implicit-def: $sgpr10
	s_and_saveexec_b64 s[8:9], s[6:7]
	s_xor_b64 s[6:7], exec, s[8:9]
	s_cbranch_execnz .LBB42_3833
; %bb.1785:
	s_or_saveexec_b64 s[6:7], s[6:7]
	v_mov_b32_e32 v2, s10
	s_xor_b64 exec, exec, s[6:7]
	s_cbranch_execnz .LBB42_3836
.LBB42_1786:
	s_or_b64 exec, exec, s[6:7]
	s_and_saveexec_b64 s[6:7], s[4:5]
	s_cbranch_execz .LBB42_1788
.LBB42_1787:
	v_bfe_u32 v2, v9, 24, 3
	v_ffbh_u32_e32 v7, v2
	v_min_u32_e32 v7, 32, v7
	v_lshrrev_b32_e32 v4, 27, v9
	v_subrev_u32_e32 v8, 28, v7
	v_and_b32_e32 v4, 15, v4
	v_lshlrev_b32_sdwa v8, v8, v9 dst_sel:DWORD dst_unused:UNUSED_PAD src0_sel:DWORD src1_sel:BYTE_3
	v_bfe_u32 v6, v9, 27, 4
	v_sub_u32_e32 v7, 29, v7
	v_and_b32_e32 v8, 7, v8
	v_cmp_eq_u16_e32 vcc, 0, v4
	v_cndmask_b32_e32 v2, v2, v8, vcc
	v_cndmask_b32_e32 v4, v6, v7, vcc
	v_mov_b32_e32 v6, 0x3b800000
	v_and_b32_e32 v3, 0x80000000, v9
	v_lshlrev_b32_e32 v2, 20, v2
	v_lshl_add_u32 v4, v4, 23, v6
	v_or3_b32 v2, v3, v4, v2
.LBB42_1788:
	s_or_b64 exec, exec, s[6:7]
	s_movk_i32 s4, 0x7f
	v_cmp_gt_i16_sdwa s[6:7], v5, s4 src0_sel:BYTE_3 src1_sel:DWORD
	s_mov_b64 s[4:5], 0
                                        ; implicit-def: $sgpr10
	s_and_saveexec_b64 s[8:9], s[6:7]
	s_xor_b64 s[6:7], exec, s[8:9]
	s_cbranch_execnz .LBB42_3837
; %bb.1789:
	s_or_saveexec_b64 s[6:7], s[6:7]
	v_mov_b32_e32 v3, s10
	s_xor_b64 exec, exec, s[6:7]
	s_cbranch_execnz .LBB42_3840
.LBB42_1790:
	s_or_b64 exec, exec, s[6:7]
	s_and_saveexec_b64 s[6:7], s[4:5]
	s_cbranch_execz .LBB42_1792
.LBB42_1791:
	v_bfe_u32 v3, v5, 24, 3
	v_ffbh_u32_e32 v8, v3
	v_min_u32_e32 v8, 32, v8
	v_lshrrev_b32_e32 v6, 27, v5
	v_subrev_u32_e32 v9, 28, v8
	v_and_b32_e32 v4, 0x80000000, v5
	v_and_b32_e32 v6, 15, v6
	v_bfe_u32 v7, v5, 27, 4
	v_lshlrev_b32_sdwa v5, v9, v5 dst_sel:DWORD dst_unused:UNUSED_PAD src0_sel:DWORD src1_sel:BYTE_3
	v_sub_u32_e32 v8, 29, v8
	v_and_b32_e32 v5, 7, v5
	v_cmp_eq_u16_e32 vcc, 0, v6
	v_cndmask_b32_e32 v3, v3, v5, vcc
	v_cndmask_b32_e32 v5, v7, v8, vcc
	v_mov_b32_e32 v6, 0x3b800000
	v_lshlrev_b32_e32 v3, 20, v3
	v_lshl_add_u32 v5, v5, 23, v6
	v_or3_b32 v3, v4, v5, v3
.LBB42_1792:
	s_or_b64 exec, exec, s[6:7]
	s_nop 0
	v_mfma_f32_16x16x4f32 a[0:3], v2, v3, a[0:3]
	s_movk_i32 s4, 0x7f
                                        ; implicit-def: $sgpr10
	s_nop 7
	s_nop 1
	flat_store_dwordx4 v[18:19], a[0:3] offset:864
	flat_load_dwordx4 v[18:21], v[0:1] offset:16
	s_nop 0
	flat_load_dwordx2 v[16:17], v[0:1] offset:32
	s_waitcnt vmcnt(0) lgkmcnt(0)
	flat_load_dwordx4 v[12:15], v[18:19]
	flat_load_dwordx4 v[4:7], v[18:19] offset:16
	flat_load_dwordx4 v[8:11], v[20:21] offset:480
	;; [unrolled: 1-line block ×3, first 2 shown]
	s_waitcnt vmcnt(0) lgkmcnt(0)
	v_cmp_gt_i16_sdwa s[6:7], v12, s4 src0_sel:BYTE_0 src1_sel:DWORD
	s_mov_b64 s[4:5], 0
	s_and_saveexec_b64 s[8:9], s[6:7]
	s_xor_b64 s[6:7], exec, s[8:9]
	s_cbranch_execnz .LBB42_3841
; %bb.1793:
	s_or_saveexec_b64 s[6:7], s[6:7]
	v_mov_b32_e32 v18, s10
	s_xor_b64 exec, exec, s[6:7]
	s_cbranch_execnz .LBB42_3844
.LBB42_1794:
	s_or_b64 exec, exec, s[6:7]
	s_and_saveexec_b64 s[6:7], s[4:5]
	s_cbranch_execz .LBB42_1796
.LBB42_1795:
	v_and_b32_e32 v18, 7, v12
	v_ffbh_u32_e32 v20, v18
	v_min_u32_e32 v20, 32, v20
	v_lshrrev_b16_e32 v19, 3, v12
	v_subrev_u32_e32 v21, 28, v20
	v_and_b32_e32 v19, 15, v19
	v_lshlrev_b32_e32 v21, v21, v12
	v_sub_u32_e32 v20, 29, v20
	v_and_b32_e32 v21, 7, v21
	v_cmp_eq_u16_e32 vcc, 0, v19
	v_cndmask_b32_e32 v18, v18, v21, vcc
	v_cndmask_b32_e32 v19, v19, v20, vcc
	v_lshlrev_b32_e32 v20, 24, v12
	v_mov_b32_e32 v21, 0x3b800000
	v_lshlrev_b32_e32 v18, 20, v18
	v_and_b32_e32 v20, 0x80000000, v20
	v_lshl_add_u32 v19, v19, 23, v21
	v_or3_b32 v18, v20, v19, v18
.LBB42_1796:
	s_or_b64 exec, exec, s[6:7]
	s_movk_i32 s4, 0x7f
	v_cmp_gt_i16_sdwa s[6:7], v8, s4 src0_sel:BYTE_0 src1_sel:DWORD
	s_mov_b64 s[4:5], 0
                                        ; implicit-def: $sgpr10
	s_and_saveexec_b64 s[8:9], s[6:7]
	s_xor_b64 s[6:7], exec, s[8:9]
	s_cbranch_execnz .LBB42_3845
; %bb.1797:
	s_or_saveexec_b64 s[6:7], s[6:7]
	v_mov_b32_e32 v19, s10
	s_xor_b64 exec, exec, s[6:7]
	s_cbranch_execnz .LBB42_3848
.LBB42_1798:
	s_or_b64 exec, exec, s[6:7]
	s_and_saveexec_b64 s[6:7], s[4:5]
	s_cbranch_execz .LBB42_1800
.LBB42_1799:
	v_and_b32_e32 v19, 7, v8
	v_ffbh_u32_e32 v21, v19
	v_min_u32_e32 v21, 32, v21
	v_lshrrev_b16_e32 v20, 3, v8
	v_subrev_u32_e32 v22, 28, v21
	v_and_b32_e32 v20, 15, v20
	v_lshlrev_b32_e32 v22, v22, v8
	v_sub_u32_e32 v21, 29, v21
	v_and_b32_e32 v22, 7, v22
	v_cmp_eq_u16_e32 vcc, 0, v20
	v_cndmask_b32_e32 v19, v19, v22, vcc
	v_cndmask_b32_e32 v20, v20, v21, vcc
	v_lshlrev_b32_e32 v21, 24, v8
	v_mov_b32_e32 v22, 0x3b800000
	v_lshlrev_b32_e32 v19, 20, v19
	v_and_b32_e32 v21, 0x80000000, v21
	v_lshl_add_u32 v20, v20, 23, v22
	v_or3_b32 v19, v21, v20, v19
.LBB42_1800:
	s_or_b64 exec, exec, s[6:7]
	flat_load_dwordx4 a[0:3], v[16:17] offset:880
	s_movk_i32 s4, 0x7f
                                        ; implicit-def: $sgpr10
	s_waitcnt vmcnt(0) lgkmcnt(0)
	v_mfma_f32_16x16x4f32 a[0:3], v18, v19, a[0:3]
	v_lshrrev_b32_e32 v19, 8, v12
	v_cmp_gt_i16_sdwa s[6:7], v19, s4 src0_sel:BYTE_0 src1_sel:DWORD
	s_mov_b64 s[4:5], 0
	s_and_saveexec_b64 s[8:9], s[6:7]
	s_xor_b64 s[6:7], exec, s[8:9]
	s_cbranch_execnz .LBB42_3849
; %bb.1801:
	s_or_saveexec_b64 s[6:7], s[6:7]
	v_mov_b32_e32 v18, s10
	s_xor_b64 exec, exec, s[6:7]
	s_cbranch_execnz .LBB42_3852
.LBB42_1802:
	s_or_b64 exec, exec, s[6:7]
	s_and_saveexec_b64 s[6:7], s[4:5]
	s_cbranch_execz .LBB42_1804
.LBB42_1803:
	v_bfe_u32 v18, v12, 8, 3
	v_ffbh_u32_e32 v21, v18
	v_min_u32_e32 v21, 32, v21
	v_lshrrev_b16_e32 v20, 3, v19
	v_subrev_u32_e32 v22, 28, v21
	v_and_b32_e32 v20, 15, v20
	v_lshlrev_b32_e32 v19, v22, v19
	v_sub_u32_e32 v21, 29, v21
	v_and_b32_e32 v19, 7, v19
	v_cmp_eq_u16_e32 vcc, 0, v20
	v_cndmask_b32_e32 v18, v18, v19, vcc
	v_cndmask_b32_e32 v19, v20, v21, vcc
	v_lshlrev_b32_e32 v20, 16, v12
	v_mov_b32_e32 v21, 0x3b800000
	v_lshlrev_b32_e32 v18, 20, v18
	v_and_b32_e32 v20, 0x80000000, v20
	v_lshl_add_u32 v19, v19, 23, v21
	v_or3_b32 v18, v20, v19, v18
.LBB42_1804:
	s_or_b64 exec, exec, s[6:7]
	v_lshrrev_b32_e32 v19, 8, v8
	s_movk_i32 s4, 0x7f
	v_cmp_gt_i16_sdwa s[6:7], v19, s4 src0_sel:BYTE_0 src1_sel:DWORD
	s_mov_b64 s[4:5], 0
                                        ; implicit-def: $sgpr10
	s_and_saveexec_b64 s[8:9], s[6:7]
	s_xor_b64 s[6:7], exec, s[8:9]
	s_cbranch_execnz .LBB42_3853
; %bb.1805:
	s_or_saveexec_b64 s[6:7], s[6:7]
	v_mov_b32_e32 v20, s10
	s_xor_b64 exec, exec, s[6:7]
	s_cbranch_execnz .LBB42_3856
.LBB42_1806:
	s_or_b64 exec, exec, s[6:7]
	s_and_saveexec_b64 s[6:7], s[4:5]
	s_cbranch_execz .LBB42_1808
.LBB42_1807:
	v_bfe_u32 v20, v8, 8, 3
	v_ffbh_u32_e32 v22, v20
	v_min_u32_e32 v22, 32, v22
	v_lshrrev_b16_e32 v21, 3, v19
	v_subrev_u32_e32 v23, 28, v22
	v_and_b32_e32 v21, 15, v21
	v_lshlrev_b32_e32 v19, v23, v19
	v_sub_u32_e32 v22, 29, v22
	v_and_b32_e32 v19, 7, v19
	v_cmp_eq_u16_e32 vcc, 0, v21
	v_cndmask_b32_e32 v19, v20, v19, vcc
	v_cndmask_b32_e32 v20, v21, v22, vcc
	v_lshlrev_b32_e32 v21, 16, v8
	v_mov_b32_e32 v22, 0x3b800000
	v_lshlrev_b32_e32 v19, 20, v19
	v_and_b32_e32 v21, 0x80000000, v21
	v_lshl_add_u32 v20, v20, 23, v22
	v_or3_b32 v20, v21, v20, v19
.LBB42_1808:
	s_or_b64 exec, exec, s[6:7]
	s_nop 0
	v_mfma_f32_16x16x4f32 a[0:3], v18, v20, a[0:3]
	s_movk_i32 s4, 0xff
	v_and_b32_sdwa v19, v12, s4 dst_sel:DWORD dst_unused:UNUSED_PAD src0_sel:WORD_1 src1_sel:DWORD
	s_movk_i32 s4, 0x7f
	v_cmp_lt_i16_e32 vcc, s4, v19
	s_mov_b64 s[4:5], 0
                                        ; implicit-def: $sgpr10
	s_and_saveexec_b64 s[6:7], vcc
	s_xor_b64 s[6:7], exec, s[6:7]
	s_cbranch_execnz .LBB42_3857
; %bb.1809:
	s_or_saveexec_b64 s[6:7], s[6:7]
	v_mov_b32_e32 v18, s10
	s_xor_b64 exec, exec, s[6:7]
	s_cbranch_execnz .LBB42_3860
.LBB42_1810:
	s_or_b64 exec, exec, s[6:7]
	s_and_saveexec_b64 s[6:7], s[4:5]
	s_cbranch_execz .LBB42_1812
.LBB42_1811:
	v_bfe_u32 v18, v12, 16, 3
	v_ffbh_u32_e32 v21, v18
	v_min_u32_e32 v21, 32, v21
	v_lshrrev_b32_e32 v19, 19, v12
	v_subrev_u32_e32 v22, 28, v21
	v_and_b32_e32 v19, 15, v19
	v_lshlrev_b32_sdwa v22, v22, v12 dst_sel:DWORD dst_unused:UNUSED_PAD src0_sel:DWORD src1_sel:WORD_1
	v_bfe_u32 v20, v12, 19, 4
	v_sub_u32_e32 v21, 29, v21
	v_and_b32_e32 v22, 7, v22
	v_cmp_eq_u16_e32 vcc, 0, v19
	v_cndmask_b32_e32 v18, v18, v22, vcc
	v_cndmask_b32_e32 v19, v20, v21, vcc
	v_lshlrev_b32_e32 v20, 8, v12
	v_mov_b32_e32 v21, 0x3b800000
	v_lshlrev_b32_e32 v18, 20, v18
	v_and_b32_e32 v20, 0x80000000, v20
	v_lshl_add_u32 v19, v19, 23, v21
	v_or3_b32 v18, v20, v19, v18
.LBB42_1812:
	s_or_b64 exec, exec, s[6:7]
	s_movk_i32 s4, 0xff
	v_and_b32_sdwa v19, v8, s4 dst_sel:DWORD dst_unused:UNUSED_PAD src0_sel:WORD_1 src1_sel:DWORD
	s_movk_i32 s4, 0x7f
	v_cmp_lt_i16_e32 vcc, s4, v19
	s_mov_b64 s[4:5], 0
                                        ; implicit-def: $sgpr10
	s_and_saveexec_b64 s[6:7], vcc
	s_xor_b64 s[6:7], exec, s[6:7]
	s_cbranch_execnz .LBB42_3861
; %bb.1813:
	s_or_saveexec_b64 s[6:7], s[6:7]
	v_mov_b32_e32 v20, s10
	s_xor_b64 exec, exec, s[6:7]
	s_cbranch_execnz .LBB42_3864
.LBB42_1814:
	s_or_b64 exec, exec, s[6:7]
	s_and_saveexec_b64 s[6:7], s[4:5]
	s_cbranch_execz .LBB42_1816
.LBB42_1815:
	v_bfe_u32 v19, v8, 16, 3
	v_ffbh_u32_e32 v22, v19
	v_min_u32_e32 v22, 32, v22
	v_lshrrev_b32_e32 v20, 19, v8
	v_subrev_u32_e32 v23, 28, v22
	v_and_b32_e32 v20, 15, v20
	v_lshlrev_b32_sdwa v23, v23, v8 dst_sel:DWORD dst_unused:UNUSED_PAD src0_sel:DWORD src1_sel:WORD_1
	v_bfe_u32 v21, v8, 19, 4
	v_sub_u32_e32 v22, 29, v22
	v_and_b32_e32 v23, 7, v23
	v_cmp_eq_u16_e32 vcc, 0, v20
	v_cndmask_b32_e32 v19, v19, v23, vcc
	v_cndmask_b32_e32 v20, v21, v22, vcc
	v_lshlrev_b32_e32 v21, 8, v8
	v_mov_b32_e32 v22, 0x3b800000
	v_lshlrev_b32_e32 v19, 20, v19
	v_and_b32_e32 v21, 0x80000000, v21
	v_lshl_add_u32 v20, v20, 23, v22
	v_or3_b32 v20, v21, v20, v19
.LBB42_1816:
	s_or_b64 exec, exec, s[6:7]
	s_nop 0
	v_mfma_f32_16x16x4f32 a[0:3], v18, v20, a[0:3]
	s_movk_i32 s4, 0x7f
	v_cmp_gt_i16_sdwa s[6:7], v12, s4 src0_sel:BYTE_3 src1_sel:DWORD
	s_mov_b64 s[4:5], 0
                                        ; implicit-def: $sgpr10
	s_and_saveexec_b64 s[8:9], s[6:7]
	s_xor_b64 s[6:7], exec, s[8:9]
	s_cbranch_execnz .LBB42_3865
; %bb.1817:
	s_or_saveexec_b64 s[6:7], s[6:7]
	v_mov_b32_e32 v18, s10
	s_xor_b64 exec, exec, s[6:7]
	s_cbranch_execnz .LBB42_3868
.LBB42_1818:
	s_or_b64 exec, exec, s[6:7]
	s_and_saveexec_b64 s[6:7], s[4:5]
	s_cbranch_execz .LBB42_1820
.LBB42_1819:
	v_bfe_u32 v18, v12, 24, 3
	v_ffbh_u32_e32 v22, v18
	v_min_u32_e32 v22, 32, v22
	v_lshrrev_b32_e32 v20, 27, v12
	v_subrev_u32_e32 v23, 28, v22
	v_and_b32_e32 v19, 0x80000000, v12
	v_and_b32_e32 v20, 15, v20
	v_bfe_u32 v21, v12, 27, 4
	v_lshlrev_b32_sdwa v12, v23, v12 dst_sel:DWORD dst_unused:UNUSED_PAD src0_sel:DWORD src1_sel:BYTE_3
	v_sub_u32_e32 v22, 29, v22
	v_and_b32_e32 v12, 7, v12
	v_cmp_eq_u16_e32 vcc, 0, v20
	v_cndmask_b32_e32 v12, v18, v12, vcc
	v_cndmask_b32_e32 v18, v21, v22, vcc
	v_mov_b32_e32 v20, 0x3b800000
	v_lshlrev_b32_e32 v12, 20, v12
	v_lshl_add_u32 v18, v18, 23, v20
	v_or3_b32 v18, v19, v18, v12
.LBB42_1820:
	s_or_b64 exec, exec, s[6:7]
	s_movk_i32 s4, 0x7f
	v_cmp_gt_i16_sdwa s[6:7], v8, s4 src0_sel:BYTE_3 src1_sel:DWORD
	s_mov_b64 s[4:5], 0
                                        ; implicit-def: $sgpr10
	s_and_saveexec_b64 s[8:9], s[6:7]
	s_xor_b64 s[6:7], exec, s[8:9]
	s_cbranch_execnz .LBB42_3869
; %bb.1821:
	s_or_saveexec_b64 s[6:7], s[6:7]
	v_mov_b32_e32 v12, s10
	s_xor_b64 exec, exec, s[6:7]
	s_cbranch_execnz .LBB42_3872
.LBB42_1822:
	s_or_b64 exec, exec, s[6:7]
	s_and_saveexec_b64 s[6:7], s[4:5]
	s_cbranch_execz .LBB42_1824
.LBB42_1823:
	v_bfe_u32 v12, v8, 24, 3
	v_ffbh_u32_e32 v22, v12
	v_min_u32_e32 v22, 32, v22
	v_lshrrev_b32_e32 v20, 27, v8
	v_subrev_u32_e32 v23, 28, v22
	v_and_b32_e32 v19, 0x80000000, v8
	v_and_b32_e32 v20, 15, v20
	v_bfe_u32 v21, v8, 27, 4
	v_lshlrev_b32_sdwa v8, v23, v8 dst_sel:DWORD dst_unused:UNUSED_PAD src0_sel:DWORD src1_sel:BYTE_3
	v_sub_u32_e32 v22, 29, v22
	v_and_b32_e32 v8, 7, v8
	v_cmp_eq_u16_e32 vcc, 0, v20
	v_cndmask_b32_e32 v8, v12, v8, vcc
	v_cndmask_b32_e32 v12, v21, v22, vcc
	v_mov_b32_e32 v20, 0x3b800000
	v_lshlrev_b32_e32 v8, 20, v8
	v_lshl_add_u32 v12, v12, 23, v20
	v_or3_b32 v12, v19, v12, v8
.LBB42_1824:
	s_or_b64 exec, exec, s[6:7]
	s_nop 0
	v_mfma_f32_16x16x4f32 a[0:3], v18, v12, a[0:3]
	s_movk_i32 s4, 0x7f
	v_cmp_gt_i16_sdwa s[6:7], v13, s4 src0_sel:BYTE_0 src1_sel:DWORD
	s_mov_b64 s[4:5], 0
                                        ; implicit-def: $sgpr10
	s_and_saveexec_b64 s[8:9], s[6:7]
	s_xor_b64 s[6:7], exec, s[8:9]
	s_cbranch_execnz .LBB42_3873
; %bb.1825:
	s_or_saveexec_b64 s[6:7], s[6:7]
	v_mov_b32_e32 v8, s10
	s_xor_b64 exec, exec, s[6:7]
	s_cbranch_execnz .LBB42_3876
.LBB42_1826:
	s_or_b64 exec, exec, s[6:7]
	s_and_saveexec_b64 s[6:7], s[4:5]
	s_cbranch_execz .LBB42_1828
.LBB42_1827:
	v_and_b32_e32 v8, 7, v13
	v_ffbh_u32_e32 v18, v8
	v_min_u32_e32 v18, 32, v18
	v_lshrrev_b16_e32 v12, 3, v13
	v_subrev_u32_e32 v19, 28, v18
	v_and_b32_e32 v12, 15, v12
	v_lshlrev_b32_e32 v19, v19, v13
	v_sub_u32_e32 v18, 29, v18
	v_and_b32_e32 v19, 7, v19
	v_cmp_eq_u16_e32 vcc, 0, v12
	v_cndmask_b32_e32 v8, v8, v19, vcc
	v_cndmask_b32_e32 v12, v12, v18, vcc
	v_lshlrev_b32_e32 v18, 24, v13
	v_mov_b32_e32 v19, 0x3b800000
	v_lshlrev_b32_e32 v8, 20, v8
	v_and_b32_e32 v18, 0x80000000, v18
	v_lshl_add_u32 v12, v12, 23, v19
	v_or3_b32 v8, v18, v12, v8
.LBB42_1828:
	s_or_b64 exec, exec, s[6:7]
	s_movk_i32 s4, 0x7f
	v_cmp_gt_i16_sdwa s[6:7], v9, s4 src0_sel:BYTE_0 src1_sel:DWORD
	s_mov_b64 s[4:5], 0
                                        ; implicit-def: $sgpr10
	s_and_saveexec_b64 s[8:9], s[6:7]
	s_xor_b64 s[6:7], exec, s[8:9]
	s_cbranch_execnz .LBB42_3877
; %bb.1829:
	s_or_saveexec_b64 s[6:7], s[6:7]
	v_mov_b32_e32 v12, s10
	s_xor_b64 exec, exec, s[6:7]
	s_cbranch_execnz .LBB42_3880
.LBB42_1830:
	s_or_b64 exec, exec, s[6:7]
	s_and_saveexec_b64 s[6:7], s[4:5]
	s_cbranch_execz .LBB42_1832
.LBB42_1831:
	v_and_b32_e32 v12, 7, v9
	v_ffbh_u32_e32 v19, v12
	v_min_u32_e32 v19, 32, v19
	v_lshrrev_b16_e32 v18, 3, v9
	v_subrev_u32_e32 v20, 28, v19
	v_and_b32_e32 v18, 15, v18
	v_lshlrev_b32_e32 v20, v20, v9
	v_sub_u32_e32 v19, 29, v19
	v_and_b32_e32 v20, 7, v20
	v_cmp_eq_u16_e32 vcc, 0, v18
	v_cndmask_b32_e32 v12, v12, v20, vcc
	v_cndmask_b32_e32 v18, v18, v19, vcc
	v_lshlrev_b32_e32 v19, 24, v9
	v_mov_b32_e32 v20, 0x3b800000
	v_lshlrev_b32_e32 v12, 20, v12
	v_and_b32_e32 v19, 0x80000000, v19
	v_lshl_add_u32 v18, v18, 23, v20
	v_or3_b32 v12, v19, v18, v12
.LBB42_1832:
	s_or_b64 exec, exec, s[6:7]
	s_nop 0
	v_mfma_f32_16x16x4f32 a[0:3], v8, v12, a[0:3]
	v_lshrrev_b32_e32 v12, 8, v13
	s_movk_i32 s4, 0x7f
	v_cmp_gt_i16_sdwa s[6:7], v12, s4 src0_sel:BYTE_0 src1_sel:DWORD
	s_mov_b64 s[4:5], 0
                                        ; implicit-def: $sgpr10
	s_and_saveexec_b64 s[8:9], s[6:7]
	s_xor_b64 s[6:7], exec, s[8:9]
	s_cbranch_execnz .LBB42_3881
; %bb.1833:
	s_or_saveexec_b64 s[6:7], s[6:7]
	v_mov_b32_e32 v8, s10
	s_xor_b64 exec, exec, s[6:7]
	s_cbranch_execnz .LBB42_3884
.LBB42_1834:
	s_or_b64 exec, exec, s[6:7]
	s_and_saveexec_b64 s[6:7], s[4:5]
	s_cbranch_execz .LBB42_1836
.LBB42_1835:
	v_bfe_u32 v8, v13, 8, 3
	v_ffbh_u32_e32 v19, v8
	v_min_u32_e32 v19, 32, v19
	v_lshrrev_b16_e32 v18, 3, v12
	v_subrev_u32_e32 v20, 28, v19
	v_and_b32_e32 v18, 15, v18
	v_lshlrev_b32_e32 v12, v20, v12
	v_sub_u32_e32 v19, 29, v19
	v_and_b32_e32 v12, 7, v12
	v_cmp_eq_u16_e32 vcc, 0, v18
	v_cndmask_b32_e32 v8, v8, v12, vcc
	v_cndmask_b32_e32 v12, v18, v19, vcc
	v_lshlrev_b32_e32 v18, 16, v13
	v_mov_b32_e32 v19, 0x3b800000
	v_lshlrev_b32_e32 v8, 20, v8
	v_and_b32_e32 v18, 0x80000000, v18
	v_lshl_add_u32 v12, v12, 23, v19
	v_or3_b32 v8, v18, v12, v8
.LBB42_1836:
	s_or_b64 exec, exec, s[6:7]
	v_lshrrev_b32_e32 v12, 8, v9
	s_movk_i32 s4, 0x7f
	v_cmp_gt_i16_sdwa s[6:7], v12, s4 src0_sel:BYTE_0 src1_sel:DWORD
	s_mov_b64 s[4:5], 0
                                        ; implicit-def: $sgpr10
	s_and_saveexec_b64 s[8:9], s[6:7]
	s_xor_b64 s[6:7], exec, s[8:9]
	s_cbranch_execnz .LBB42_3885
; %bb.1837:
	s_or_saveexec_b64 s[6:7], s[6:7]
	v_mov_b32_e32 v18, s10
	s_xor_b64 exec, exec, s[6:7]
	s_cbranch_execnz .LBB42_3888
.LBB42_1838:
	s_or_b64 exec, exec, s[6:7]
	s_and_saveexec_b64 s[6:7], s[4:5]
	s_cbranch_execz .LBB42_1840
.LBB42_1839:
	v_bfe_u32 v18, v9, 8, 3
	v_ffbh_u32_e32 v20, v18
	v_min_u32_e32 v20, 32, v20
	v_lshrrev_b16_e32 v19, 3, v12
	v_subrev_u32_e32 v21, 28, v20
	v_and_b32_e32 v19, 15, v19
	v_lshlrev_b32_e32 v12, v21, v12
	v_sub_u32_e32 v20, 29, v20
	v_and_b32_e32 v12, 7, v12
	v_cmp_eq_u16_e32 vcc, 0, v19
	v_cndmask_b32_e32 v12, v18, v12, vcc
	v_cndmask_b32_e32 v18, v19, v20, vcc
	v_lshlrev_b32_e32 v19, 16, v9
	v_mov_b32_e32 v20, 0x3b800000
	v_lshlrev_b32_e32 v12, 20, v12
	v_and_b32_e32 v19, 0x80000000, v19
	v_lshl_add_u32 v18, v18, 23, v20
	v_or3_b32 v18, v19, v18, v12
.LBB42_1840:
	s_or_b64 exec, exec, s[6:7]
	s_nop 0
	v_mfma_f32_16x16x4f32 a[0:3], v8, v18, a[0:3]
	s_movk_i32 s4, 0xff
	v_and_b32_sdwa v12, v13, s4 dst_sel:DWORD dst_unused:UNUSED_PAD src0_sel:WORD_1 src1_sel:DWORD
	s_movk_i32 s4, 0x7f
	v_cmp_lt_i16_e32 vcc, s4, v12
	s_mov_b64 s[4:5], 0
                                        ; implicit-def: $sgpr10
	s_and_saveexec_b64 s[6:7], vcc
	s_xor_b64 s[6:7], exec, s[6:7]
	s_cbranch_execnz .LBB42_3889
; %bb.1841:
	s_or_saveexec_b64 s[6:7], s[6:7]
	v_mov_b32_e32 v8, s10
	s_xor_b64 exec, exec, s[6:7]
	s_cbranch_execnz .LBB42_3892
.LBB42_1842:
	s_or_b64 exec, exec, s[6:7]
	s_and_saveexec_b64 s[6:7], s[4:5]
	s_cbranch_execz .LBB42_1844
.LBB42_1843:
	v_bfe_u32 v8, v13, 16, 3
	v_ffbh_u32_e32 v19, v8
	v_min_u32_e32 v19, 32, v19
	v_lshrrev_b32_e32 v12, 19, v13
	v_subrev_u32_e32 v20, 28, v19
	v_and_b32_e32 v12, 15, v12
	v_lshlrev_b32_sdwa v20, v20, v13 dst_sel:DWORD dst_unused:UNUSED_PAD src0_sel:DWORD src1_sel:WORD_1
	v_bfe_u32 v18, v13, 19, 4
	v_sub_u32_e32 v19, 29, v19
	v_and_b32_e32 v20, 7, v20
	v_cmp_eq_u16_e32 vcc, 0, v12
	v_cndmask_b32_e32 v8, v8, v20, vcc
	v_cndmask_b32_e32 v12, v18, v19, vcc
	v_lshlrev_b32_e32 v18, 8, v13
	v_mov_b32_e32 v19, 0x3b800000
	v_lshlrev_b32_e32 v8, 20, v8
	v_and_b32_e32 v18, 0x80000000, v18
	v_lshl_add_u32 v12, v12, 23, v19
	v_or3_b32 v8, v18, v12, v8
.LBB42_1844:
	s_or_b64 exec, exec, s[6:7]
	s_movk_i32 s4, 0xff
	v_and_b32_sdwa v12, v9, s4 dst_sel:DWORD dst_unused:UNUSED_PAD src0_sel:WORD_1 src1_sel:DWORD
	s_movk_i32 s4, 0x7f
	v_cmp_lt_i16_e32 vcc, s4, v12
	s_mov_b64 s[4:5], 0
                                        ; implicit-def: $sgpr10
	s_and_saveexec_b64 s[6:7], vcc
	s_xor_b64 s[6:7], exec, s[6:7]
	s_cbranch_execnz .LBB42_3893
; %bb.1845:
	s_or_saveexec_b64 s[6:7], s[6:7]
	v_mov_b32_e32 v18, s10
	s_xor_b64 exec, exec, s[6:7]
	s_cbranch_execnz .LBB42_3896
.LBB42_1846:
	s_or_b64 exec, exec, s[6:7]
	s_and_saveexec_b64 s[6:7], s[4:5]
	s_cbranch_execz .LBB42_1848
.LBB42_1847:
	v_bfe_u32 v12, v9, 16, 3
	v_ffbh_u32_e32 v20, v12
	v_min_u32_e32 v20, 32, v20
	v_lshrrev_b32_e32 v18, 19, v9
	v_subrev_u32_e32 v21, 28, v20
	v_and_b32_e32 v18, 15, v18
	v_lshlrev_b32_sdwa v21, v21, v9 dst_sel:DWORD dst_unused:UNUSED_PAD src0_sel:DWORD src1_sel:WORD_1
	v_bfe_u32 v19, v9, 19, 4
	v_sub_u32_e32 v20, 29, v20
	v_and_b32_e32 v21, 7, v21
	v_cmp_eq_u16_e32 vcc, 0, v18
	v_cndmask_b32_e32 v12, v12, v21, vcc
	v_cndmask_b32_e32 v18, v19, v20, vcc
	v_lshlrev_b32_e32 v19, 8, v9
	v_mov_b32_e32 v20, 0x3b800000
	v_lshlrev_b32_e32 v12, 20, v12
	v_and_b32_e32 v19, 0x80000000, v19
	v_lshl_add_u32 v18, v18, 23, v20
	v_or3_b32 v18, v19, v18, v12
.LBB42_1848:
	s_or_b64 exec, exec, s[6:7]
	s_nop 0
	v_mfma_f32_16x16x4f32 a[0:3], v8, v18, a[0:3]
	s_movk_i32 s4, 0x7f
	v_cmp_gt_i16_sdwa s[6:7], v13, s4 src0_sel:BYTE_3 src1_sel:DWORD
	s_mov_b64 s[4:5], 0
                                        ; implicit-def: $sgpr10
	s_and_saveexec_b64 s[8:9], s[6:7]
	s_xor_b64 s[6:7], exec, s[8:9]
	s_cbranch_execnz .LBB42_3897
; %bb.1849:
	s_or_saveexec_b64 s[6:7], s[6:7]
	v_mov_b32_e32 v8, s10
	s_xor_b64 exec, exec, s[6:7]
	s_cbranch_execnz .LBB42_3900
.LBB42_1850:
	s_or_b64 exec, exec, s[6:7]
	s_and_saveexec_b64 s[6:7], s[4:5]
	s_cbranch_execz .LBB42_1852
.LBB42_1851:
	v_bfe_u32 v8, v13, 24, 3
	v_ffbh_u32_e32 v20, v8
	v_min_u32_e32 v20, 32, v20
	v_lshrrev_b32_e32 v18, 27, v13
	v_subrev_u32_e32 v21, 28, v20
	v_and_b32_e32 v12, 0x80000000, v13
	v_and_b32_e32 v18, 15, v18
	v_bfe_u32 v19, v13, 27, 4
	v_lshlrev_b32_sdwa v13, v21, v13 dst_sel:DWORD dst_unused:UNUSED_PAD src0_sel:DWORD src1_sel:BYTE_3
	v_sub_u32_e32 v20, 29, v20
	v_and_b32_e32 v13, 7, v13
	v_cmp_eq_u16_e32 vcc, 0, v18
	v_cndmask_b32_e32 v8, v8, v13, vcc
	v_cndmask_b32_e32 v13, v19, v20, vcc
	v_mov_b32_e32 v18, 0x3b800000
	v_lshlrev_b32_e32 v8, 20, v8
	v_lshl_add_u32 v13, v13, 23, v18
	v_or3_b32 v8, v12, v13, v8
.LBB42_1852:
	s_or_b64 exec, exec, s[6:7]
	s_movk_i32 s4, 0x7f
	v_cmp_gt_i16_sdwa s[6:7], v9, s4 src0_sel:BYTE_3 src1_sel:DWORD
	s_mov_b64 s[4:5], 0
                                        ; implicit-def: $sgpr10
	s_and_saveexec_b64 s[8:9], s[6:7]
	s_xor_b64 s[6:7], exec, s[8:9]
	s_cbranch_execnz .LBB42_3901
; %bb.1853:
	s_or_saveexec_b64 s[6:7], s[6:7]
	v_mov_b32_e32 v12, s10
	s_xor_b64 exec, exec, s[6:7]
	s_cbranch_execnz .LBB42_3904
.LBB42_1854:
	s_or_b64 exec, exec, s[6:7]
	s_and_saveexec_b64 s[6:7], s[4:5]
	s_cbranch_execz .LBB42_1856
.LBB42_1855:
	v_bfe_u32 v12, v9, 24, 3
	v_ffbh_u32_e32 v20, v12
	v_min_u32_e32 v20, 32, v20
	v_lshrrev_b32_e32 v18, 27, v9
	v_subrev_u32_e32 v21, 28, v20
	v_and_b32_e32 v13, 0x80000000, v9
	v_and_b32_e32 v18, 15, v18
	v_bfe_u32 v19, v9, 27, 4
	v_lshlrev_b32_sdwa v9, v21, v9 dst_sel:DWORD dst_unused:UNUSED_PAD src0_sel:DWORD src1_sel:BYTE_3
	v_sub_u32_e32 v20, 29, v20
	v_and_b32_e32 v9, 7, v9
	v_cmp_eq_u16_e32 vcc, 0, v18
	v_cndmask_b32_e32 v9, v12, v9, vcc
	v_cndmask_b32_e32 v12, v19, v20, vcc
	v_mov_b32_e32 v18, 0x3b800000
	v_lshlrev_b32_e32 v9, 20, v9
	v_lshl_add_u32 v12, v12, 23, v18
	v_or3_b32 v12, v13, v12, v9
.LBB42_1856:
	s_or_b64 exec, exec, s[6:7]
	s_nop 0
	v_mfma_f32_16x16x4f32 a[0:3], v8, v12, a[0:3]
	s_movk_i32 s4, 0x7f
	v_cmp_gt_i16_sdwa s[6:7], v14, s4 src0_sel:BYTE_0 src1_sel:DWORD
	s_mov_b64 s[4:5], 0
                                        ; implicit-def: $sgpr10
	s_and_saveexec_b64 s[8:9], s[6:7]
	s_xor_b64 s[6:7], exec, s[8:9]
	s_cbranch_execnz .LBB42_3905
; %bb.1857:
	s_or_saveexec_b64 s[6:7], s[6:7]
	v_mov_b32_e32 v8, s10
	s_xor_b64 exec, exec, s[6:7]
	s_cbranch_execnz .LBB42_3908
.LBB42_1858:
	s_or_b64 exec, exec, s[6:7]
	s_and_saveexec_b64 s[6:7], s[4:5]
	s_cbranch_execz .LBB42_1860
.LBB42_1859:
	v_and_b32_e32 v8, 7, v14
	v_ffbh_u32_e32 v12, v8
	v_min_u32_e32 v12, 32, v12
	v_lshrrev_b16_e32 v9, 3, v14
	v_subrev_u32_e32 v13, 28, v12
	v_and_b32_e32 v9, 15, v9
	v_lshlrev_b32_e32 v13, v13, v14
	v_sub_u32_e32 v12, 29, v12
	v_and_b32_e32 v13, 7, v13
	v_cmp_eq_u16_e32 vcc, 0, v9
	v_cndmask_b32_e32 v8, v8, v13, vcc
	v_cndmask_b32_e32 v9, v9, v12, vcc
	v_lshlrev_b32_e32 v12, 24, v14
	v_mov_b32_e32 v13, 0x3b800000
	v_lshlrev_b32_e32 v8, 20, v8
	v_and_b32_e32 v12, 0x80000000, v12
	v_lshl_add_u32 v9, v9, 23, v13
	v_or3_b32 v8, v12, v9, v8
.LBB42_1860:
	s_or_b64 exec, exec, s[6:7]
	s_movk_i32 s4, 0x7f
	v_cmp_gt_i16_sdwa s[6:7], v10, s4 src0_sel:BYTE_0 src1_sel:DWORD
	s_mov_b64 s[4:5], 0
                                        ; implicit-def: $sgpr10
	s_and_saveexec_b64 s[8:9], s[6:7]
	s_xor_b64 s[6:7], exec, s[8:9]
	s_cbranch_execnz .LBB42_3909
; %bb.1861:
	s_or_saveexec_b64 s[6:7], s[6:7]
	v_mov_b32_e32 v9, s10
	s_xor_b64 exec, exec, s[6:7]
	s_cbranch_execnz .LBB42_3912
.LBB42_1862:
	s_or_b64 exec, exec, s[6:7]
	s_and_saveexec_b64 s[6:7], s[4:5]
	s_cbranch_execz .LBB42_1864
.LBB42_1863:
	v_and_b32_e32 v9, 7, v10
	v_ffbh_u32_e32 v13, v9
	v_min_u32_e32 v13, 32, v13
	v_lshrrev_b16_e32 v12, 3, v10
	v_subrev_u32_e32 v18, 28, v13
	v_and_b32_e32 v12, 15, v12
	v_lshlrev_b32_e32 v18, v18, v10
	v_sub_u32_e32 v13, 29, v13
	v_and_b32_e32 v18, 7, v18
	v_cmp_eq_u16_e32 vcc, 0, v12
	v_cndmask_b32_e32 v9, v9, v18, vcc
	v_cndmask_b32_e32 v12, v12, v13, vcc
	v_lshlrev_b32_e32 v13, 24, v10
	v_mov_b32_e32 v18, 0x3b800000
	v_lshlrev_b32_e32 v9, 20, v9
	v_and_b32_e32 v13, 0x80000000, v13
	v_lshl_add_u32 v12, v12, 23, v18
	v_or3_b32 v9, v13, v12, v9
.LBB42_1864:
	s_or_b64 exec, exec, s[6:7]
	s_nop 0
	v_mfma_f32_16x16x4f32 a[0:3], v8, v9, a[0:3]
	v_lshrrev_b32_e32 v9, 8, v14
	s_movk_i32 s4, 0x7f
	v_cmp_gt_i16_sdwa s[6:7], v9, s4 src0_sel:BYTE_0 src1_sel:DWORD
	s_mov_b64 s[4:5], 0
                                        ; implicit-def: $sgpr10
	s_and_saveexec_b64 s[8:9], s[6:7]
	s_xor_b64 s[6:7], exec, s[8:9]
	s_cbranch_execnz .LBB42_3913
; %bb.1865:
	s_or_saveexec_b64 s[6:7], s[6:7]
	v_mov_b32_e32 v8, s10
	s_xor_b64 exec, exec, s[6:7]
	s_cbranch_execnz .LBB42_3916
.LBB42_1866:
	s_or_b64 exec, exec, s[6:7]
	s_and_saveexec_b64 s[6:7], s[4:5]
	s_cbranch_execz .LBB42_1868
.LBB42_1867:
	v_bfe_u32 v8, v14, 8, 3
	v_ffbh_u32_e32 v13, v8
	v_min_u32_e32 v13, 32, v13
	v_lshrrev_b16_e32 v12, 3, v9
	v_subrev_u32_e32 v18, 28, v13
	v_and_b32_e32 v12, 15, v12
	v_lshlrev_b32_e32 v9, v18, v9
	v_sub_u32_e32 v13, 29, v13
	v_and_b32_e32 v9, 7, v9
	v_cmp_eq_u16_e32 vcc, 0, v12
	v_cndmask_b32_e32 v8, v8, v9, vcc
	v_cndmask_b32_e32 v9, v12, v13, vcc
	v_lshlrev_b32_e32 v12, 16, v14
	v_mov_b32_e32 v13, 0x3b800000
	v_lshlrev_b32_e32 v8, 20, v8
	v_and_b32_e32 v12, 0x80000000, v12
	v_lshl_add_u32 v9, v9, 23, v13
	v_or3_b32 v8, v12, v9, v8
.LBB42_1868:
	s_or_b64 exec, exec, s[6:7]
	v_lshrrev_b32_e32 v9, 8, v10
	s_movk_i32 s4, 0x7f
	v_cmp_gt_i16_sdwa s[6:7], v9, s4 src0_sel:BYTE_0 src1_sel:DWORD
	s_mov_b64 s[4:5], 0
                                        ; implicit-def: $sgpr10
	s_and_saveexec_b64 s[8:9], s[6:7]
	s_xor_b64 s[6:7], exec, s[8:9]
	s_cbranch_execnz .LBB42_3917
; %bb.1869:
	s_or_saveexec_b64 s[6:7], s[6:7]
	v_mov_b32_e32 v12, s10
	s_xor_b64 exec, exec, s[6:7]
	s_cbranch_execnz .LBB42_3920
.LBB42_1870:
	s_or_b64 exec, exec, s[6:7]
	s_and_saveexec_b64 s[6:7], s[4:5]
	s_cbranch_execz .LBB42_1872
.LBB42_1871:
	v_bfe_u32 v12, v10, 8, 3
	v_ffbh_u32_e32 v18, v12
	v_min_u32_e32 v18, 32, v18
	v_lshrrev_b16_e32 v13, 3, v9
	v_subrev_u32_e32 v19, 28, v18
	v_and_b32_e32 v13, 15, v13
	v_lshlrev_b32_e32 v9, v19, v9
	v_sub_u32_e32 v18, 29, v18
	v_and_b32_e32 v9, 7, v9
	v_cmp_eq_u16_e32 vcc, 0, v13
	v_cndmask_b32_e32 v9, v12, v9, vcc
	v_cndmask_b32_e32 v12, v13, v18, vcc
	v_lshlrev_b32_e32 v13, 16, v10
	v_mov_b32_e32 v18, 0x3b800000
	v_lshlrev_b32_e32 v9, 20, v9
	v_and_b32_e32 v13, 0x80000000, v13
	v_lshl_add_u32 v12, v12, 23, v18
	v_or3_b32 v12, v13, v12, v9
.LBB42_1872:
	s_or_b64 exec, exec, s[6:7]
	s_nop 0
	v_mfma_f32_16x16x4f32 a[0:3], v8, v12, a[0:3]
	s_movk_i32 s4, 0xff
	v_and_b32_sdwa v9, v14, s4 dst_sel:DWORD dst_unused:UNUSED_PAD src0_sel:WORD_1 src1_sel:DWORD
	s_movk_i32 s4, 0x7f
	v_cmp_lt_i16_e32 vcc, s4, v9
	s_mov_b64 s[4:5], 0
                                        ; implicit-def: $sgpr10
	s_and_saveexec_b64 s[6:7], vcc
	s_xor_b64 s[6:7], exec, s[6:7]
	s_cbranch_execnz .LBB42_3921
; %bb.1873:
	s_or_saveexec_b64 s[6:7], s[6:7]
	v_mov_b32_e32 v8, s10
	s_xor_b64 exec, exec, s[6:7]
	s_cbranch_execnz .LBB42_3924
.LBB42_1874:
	s_or_b64 exec, exec, s[6:7]
	s_and_saveexec_b64 s[6:7], s[4:5]
	s_cbranch_execz .LBB42_1876
.LBB42_1875:
	v_bfe_u32 v8, v14, 16, 3
	v_ffbh_u32_e32 v13, v8
	v_min_u32_e32 v13, 32, v13
	v_lshrrev_b32_e32 v9, 19, v14
	v_subrev_u32_e32 v18, 28, v13
	v_and_b32_e32 v9, 15, v9
	v_lshlrev_b32_sdwa v18, v18, v14 dst_sel:DWORD dst_unused:UNUSED_PAD src0_sel:DWORD src1_sel:WORD_1
	v_bfe_u32 v12, v14, 19, 4
	v_sub_u32_e32 v13, 29, v13
	v_and_b32_e32 v18, 7, v18
	v_cmp_eq_u16_e32 vcc, 0, v9
	v_cndmask_b32_e32 v8, v8, v18, vcc
	v_cndmask_b32_e32 v9, v12, v13, vcc
	v_lshlrev_b32_e32 v12, 8, v14
	v_mov_b32_e32 v13, 0x3b800000
	v_lshlrev_b32_e32 v8, 20, v8
	v_and_b32_e32 v12, 0x80000000, v12
	v_lshl_add_u32 v9, v9, 23, v13
	v_or3_b32 v8, v12, v9, v8
.LBB42_1876:
	s_or_b64 exec, exec, s[6:7]
	s_movk_i32 s4, 0xff
	v_and_b32_sdwa v9, v10, s4 dst_sel:DWORD dst_unused:UNUSED_PAD src0_sel:WORD_1 src1_sel:DWORD
	s_movk_i32 s4, 0x7f
	v_cmp_lt_i16_e32 vcc, s4, v9
	s_mov_b64 s[4:5], 0
                                        ; implicit-def: $sgpr10
	s_and_saveexec_b64 s[6:7], vcc
	s_xor_b64 s[6:7], exec, s[6:7]
	s_cbranch_execnz .LBB42_3925
; %bb.1877:
	s_or_saveexec_b64 s[6:7], s[6:7]
	v_mov_b32_e32 v12, s10
	s_xor_b64 exec, exec, s[6:7]
	s_cbranch_execnz .LBB42_3928
.LBB42_1878:
	s_or_b64 exec, exec, s[6:7]
	s_and_saveexec_b64 s[6:7], s[4:5]
	s_cbranch_execz .LBB42_1880
.LBB42_1879:
	v_bfe_u32 v9, v10, 16, 3
	v_ffbh_u32_e32 v18, v9
	v_min_u32_e32 v18, 32, v18
	v_lshrrev_b32_e32 v12, 19, v10
	v_subrev_u32_e32 v19, 28, v18
	v_and_b32_e32 v12, 15, v12
	v_lshlrev_b32_sdwa v19, v19, v10 dst_sel:DWORD dst_unused:UNUSED_PAD src0_sel:DWORD src1_sel:WORD_1
	v_bfe_u32 v13, v10, 19, 4
	v_sub_u32_e32 v18, 29, v18
	v_and_b32_e32 v19, 7, v19
	v_cmp_eq_u16_e32 vcc, 0, v12
	v_cndmask_b32_e32 v9, v9, v19, vcc
	v_cndmask_b32_e32 v12, v13, v18, vcc
	v_lshlrev_b32_e32 v13, 8, v10
	v_mov_b32_e32 v18, 0x3b800000
	v_lshlrev_b32_e32 v9, 20, v9
	v_and_b32_e32 v13, 0x80000000, v13
	v_lshl_add_u32 v12, v12, 23, v18
	v_or3_b32 v12, v13, v12, v9
.LBB42_1880:
	s_or_b64 exec, exec, s[6:7]
	s_nop 0
	v_mfma_f32_16x16x4f32 a[0:3], v8, v12, a[0:3]
	s_movk_i32 s4, 0x7f
	v_cmp_gt_i16_sdwa s[6:7], v14, s4 src0_sel:BYTE_3 src1_sel:DWORD
	s_mov_b64 s[4:5], 0
                                        ; implicit-def: $sgpr10
	s_and_saveexec_b64 s[8:9], s[6:7]
	s_xor_b64 s[6:7], exec, s[8:9]
	s_cbranch_execnz .LBB42_3929
; %bb.1881:
	s_or_saveexec_b64 s[6:7], s[6:7]
	v_mov_b32_e32 v8, s10
	s_xor_b64 exec, exec, s[6:7]
	s_cbranch_execnz .LBB42_3932
.LBB42_1882:
	s_or_b64 exec, exec, s[6:7]
	s_and_saveexec_b64 s[6:7], s[4:5]
	s_cbranch_execz .LBB42_1884
.LBB42_1883:
	v_bfe_u32 v8, v14, 24, 3
	v_ffbh_u32_e32 v18, v8
	v_min_u32_e32 v18, 32, v18
	v_lshrrev_b32_e32 v12, 27, v14
	v_subrev_u32_e32 v19, 28, v18
	v_and_b32_e32 v9, 0x80000000, v14
	v_and_b32_e32 v12, 15, v12
	v_bfe_u32 v13, v14, 27, 4
	v_lshlrev_b32_sdwa v14, v19, v14 dst_sel:DWORD dst_unused:UNUSED_PAD src0_sel:DWORD src1_sel:BYTE_3
	v_sub_u32_e32 v18, 29, v18
	v_and_b32_e32 v14, 7, v14
	v_cmp_eq_u16_e32 vcc, 0, v12
	v_cndmask_b32_e32 v8, v8, v14, vcc
	v_cndmask_b32_e32 v12, v13, v18, vcc
	v_mov_b32_e32 v13, 0x3b800000
	v_lshlrev_b32_e32 v8, 20, v8
	v_lshl_add_u32 v12, v12, 23, v13
	v_or3_b32 v8, v9, v12, v8
.LBB42_1884:
	s_or_b64 exec, exec, s[6:7]
	s_movk_i32 s4, 0x7f
	v_cmp_gt_i16_sdwa s[6:7], v10, s4 src0_sel:BYTE_3 src1_sel:DWORD
	s_mov_b64 s[4:5], 0
                                        ; implicit-def: $sgpr10
	s_and_saveexec_b64 s[8:9], s[6:7]
	s_xor_b64 s[6:7], exec, s[8:9]
	s_cbranch_execnz .LBB42_3933
; %bb.1885:
	s_or_saveexec_b64 s[6:7], s[6:7]
	v_mov_b32_e32 v9, s10
	s_xor_b64 exec, exec, s[6:7]
	s_cbranch_execnz .LBB42_3936
.LBB42_1886:
	s_or_b64 exec, exec, s[6:7]
	s_and_saveexec_b64 s[6:7], s[4:5]
	s_cbranch_execz .LBB42_1888
.LBB42_1887:
	v_bfe_u32 v9, v10, 24, 3
	v_ffbh_u32_e32 v18, v9
	v_min_u32_e32 v18, 32, v18
	v_lshrrev_b32_e32 v13, 27, v10
	v_subrev_u32_e32 v19, 28, v18
	v_and_b32_e32 v12, 0x80000000, v10
	v_and_b32_e32 v13, 15, v13
	v_bfe_u32 v14, v10, 27, 4
	v_lshlrev_b32_sdwa v10, v19, v10 dst_sel:DWORD dst_unused:UNUSED_PAD src0_sel:DWORD src1_sel:BYTE_3
	v_sub_u32_e32 v18, 29, v18
	v_and_b32_e32 v10, 7, v10
	v_cmp_eq_u16_e32 vcc, 0, v13
	v_cndmask_b32_e32 v9, v9, v10, vcc
	v_cndmask_b32_e32 v10, v14, v18, vcc
	v_mov_b32_e32 v13, 0x3b800000
	v_lshlrev_b32_e32 v9, 20, v9
	v_lshl_add_u32 v10, v10, 23, v13
	v_or3_b32 v9, v12, v10, v9
.LBB42_1888:
	s_or_b64 exec, exec, s[6:7]
	s_nop 0
	v_mfma_f32_16x16x4f32 a[0:3], v8, v9, a[0:3]
	s_movk_i32 s4, 0x7f
	v_cmp_gt_i16_sdwa s[6:7], v15, s4 src0_sel:BYTE_0 src1_sel:DWORD
	s_mov_b64 s[4:5], 0
                                        ; implicit-def: $sgpr10
	s_and_saveexec_b64 s[8:9], s[6:7]
	s_xor_b64 s[6:7], exec, s[8:9]
	s_cbranch_execnz .LBB42_3937
; %bb.1889:
	s_or_saveexec_b64 s[6:7], s[6:7]
	v_mov_b32_e32 v8, s10
	s_xor_b64 exec, exec, s[6:7]
	s_cbranch_execnz .LBB42_3940
.LBB42_1890:
	s_or_b64 exec, exec, s[6:7]
	s_and_saveexec_b64 s[6:7], s[4:5]
	s_cbranch_execz .LBB42_1892
.LBB42_1891:
	v_and_b32_e32 v8, 7, v15
	v_ffbh_u32_e32 v10, v8
	v_min_u32_e32 v10, 32, v10
	v_lshrrev_b16_e32 v9, 3, v15
	v_subrev_u32_e32 v12, 28, v10
	v_and_b32_e32 v9, 15, v9
	v_lshlrev_b32_e32 v12, v12, v15
	v_sub_u32_e32 v10, 29, v10
	v_and_b32_e32 v12, 7, v12
	v_cmp_eq_u16_e32 vcc, 0, v9
	v_cndmask_b32_e32 v8, v8, v12, vcc
	v_cndmask_b32_e32 v9, v9, v10, vcc
	v_lshlrev_b32_e32 v10, 24, v15
	v_mov_b32_e32 v12, 0x3b800000
	v_lshlrev_b32_e32 v8, 20, v8
	v_and_b32_e32 v10, 0x80000000, v10
	v_lshl_add_u32 v9, v9, 23, v12
	v_or3_b32 v8, v10, v9, v8
.LBB42_1892:
	s_or_b64 exec, exec, s[6:7]
	s_movk_i32 s4, 0x7f
	v_cmp_gt_i16_sdwa s[6:7], v11, s4 src0_sel:BYTE_0 src1_sel:DWORD
	s_mov_b64 s[4:5], 0
                                        ; implicit-def: $sgpr10
	s_and_saveexec_b64 s[8:9], s[6:7]
	s_xor_b64 s[6:7], exec, s[8:9]
	s_cbranch_execnz .LBB42_3941
; %bb.1893:
	s_or_saveexec_b64 s[6:7], s[6:7]
	v_mov_b32_e32 v9, s10
	s_xor_b64 exec, exec, s[6:7]
	s_cbranch_execnz .LBB42_3944
.LBB42_1894:
	s_or_b64 exec, exec, s[6:7]
	s_and_saveexec_b64 s[6:7], s[4:5]
	s_cbranch_execz .LBB42_1896
.LBB42_1895:
	v_and_b32_e32 v9, 7, v11
	v_ffbh_u32_e32 v12, v9
	v_min_u32_e32 v12, 32, v12
	v_lshrrev_b16_e32 v10, 3, v11
	v_subrev_u32_e32 v13, 28, v12
	v_and_b32_e32 v10, 15, v10
	v_lshlrev_b32_e32 v13, v13, v11
	v_sub_u32_e32 v12, 29, v12
	v_and_b32_e32 v13, 7, v13
	v_cmp_eq_u16_e32 vcc, 0, v10
	v_cndmask_b32_e32 v9, v9, v13, vcc
	v_cndmask_b32_e32 v10, v10, v12, vcc
	v_lshlrev_b32_e32 v12, 24, v11
	v_mov_b32_e32 v13, 0x3b800000
	v_lshlrev_b32_e32 v9, 20, v9
	v_and_b32_e32 v12, 0x80000000, v12
	v_lshl_add_u32 v10, v10, 23, v13
	v_or3_b32 v9, v12, v10, v9
.LBB42_1896:
	s_or_b64 exec, exec, s[6:7]
	s_nop 0
	v_mfma_f32_16x16x4f32 a[0:3], v8, v9, a[0:3]
	v_lshrrev_b32_e32 v9, 8, v15
	s_movk_i32 s4, 0x7f
	v_cmp_gt_i16_sdwa s[6:7], v9, s4 src0_sel:BYTE_0 src1_sel:DWORD
	s_mov_b64 s[4:5], 0
                                        ; implicit-def: $sgpr10
	s_and_saveexec_b64 s[8:9], s[6:7]
	s_xor_b64 s[6:7], exec, s[8:9]
	s_cbranch_execnz .LBB42_3945
; %bb.1897:
	s_or_saveexec_b64 s[6:7], s[6:7]
	v_mov_b32_e32 v8, s10
	s_xor_b64 exec, exec, s[6:7]
	s_cbranch_execnz .LBB42_3948
.LBB42_1898:
	s_or_b64 exec, exec, s[6:7]
	s_and_saveexec_b64 s[6:7], s[4:5]
	s_cbranch_execz .LBB42_1900
.LBB42_1899:
	v_bfe_u32 v8, v15, 8, 3
	v_ffbh_u32_e32 v12, v8
	v_min_u32_e32 v12, 32, v12
	v_lshrrev_b16_e32 v10, 3, v9
	v_subrev_u32_e32 v13, 28, v12
	v_and_b32_e32 v10, 15, v10
	v_lshlrev_b32_e32 v9, v13, v9
	v_sub_u32_e32 v12, 29, v12
	v_and_b32_e32 v9, 7, v9
	v_cmp_eq_u16_e32 vcc, 0, v10
	v_cndmask_b32_e32 v8, v8, v9, vcc
	v_cndmask_b32_e32 v9, v10, v12, vcc
	v_lshlrev_b32_e32 v10, 16, v15
	v_mov_b32_e32 v12, 0x3b800000
	v_lshlrev_b32_e32 v8, 20, v8
	v_and_b32_e32 v10, 0x80000000, v10
	v_lshl_add_u32 v9, v9, 23, v12
	v_or3_b32 v8, v10, v9, v8
.LBB42_1900:
	s_or_b64 exec, exec, s[6:7]
	v_lshrrev_b32_e32 v9, 8, v11
	s_movk_i32 s4, 0x7f
	v_cmp_gt_i16_sdwa s[6:7], v9, s4 src0_sel:BYTE_0 src1_sel:DWORD
	s_mov_b64 s[4:5], 0
                                        ; implicit-def: $sgpr10
	s_and_saveexec_b64 s[8:9], s[6:7]
	s_xor_b64 s[6:7], exec, s[8:9]
	s_cbranch_execnz .LBB42_3949
; %bb.1901:
	s_or_saveexec_b64 s[6:7], s[6:7]
	v_mov_b32_e32 v10, s10
	s_xor_b64 exec, exec, s[6:7]
	s_cbranch_execnz .LBB42_3952
.LBB42_1902:
	s_or_b64 exec, exec, s[6:7]
	s_and_saveexec_b64 s[6:7], s[4:5]
	s_cbranch_execz .LBB42_1904
.LBB42_1903:
	v_bfe_u32 v10, v11, 8, 3
	v_ffbh_u32_e32 v13, v10
	v_min_u32_e32 v13, 32, v13
	v_lshrrev_b16_e32 v12, 3, v9
	v_subrev_u32_e32 v14, 28, v13
	v_and_b32_e32 v12, 15, v12
	v_lshlrev_b32_e32 v9, v14, v9
	v_sub_u32_e32 v13, 29, v13
	v_and_b32_e32 v9, 7, v9
	v_cmp_eq_u16_e32 vcc, 0, v12
	v_cndmask_b32_e32 v9, v10, v9, vcc
	v_cndmask_b32_e32 v10, v12, v13, vcc
	v_lshlrev_b32_e32 v12, 16, v11
	v_mov_b32_e32 v13, 0x3b800000
	v_lshlrev_b32_e32 v9, 20, v9
	v_and_b32_e32 v12, 0x80000000, v12
	v_lshl_add_u32 v10, v10, 23, v13
	v_or3_b32 v10, v12, v10, v9
.LBB42_1904:
	s_or_b64 exec, exec, s[6:7]
	s_nop 0
	v_mfma_f32_16x16x4f32 a[0:3], v8, v10, a[0:3]
	s_movk_i32 s4, 0xff
	v_and_b32_sdwa v9, v15, s4 dst_sel:DWORD dst_unused:UNUSED_PAD src0_sel:WORD_1 src1_sel:DWORD
	s_movk_i32 s4, 0x7f
	v_cmp_lt_i16_e32 vcc, s4, v9
	s_mov_b64 s[4:5], 0
                                        ; implicit-def: $sgpr10
	s_and_saveexec_b64 s[6:7], vcc
	s_xor_b64 s[6:7], exec, s[6:7]
	s_cbranch_execnz .LBB42_3953
; %bb.1905:
	s_or_saveexec_b64 s[6:7], s[6:7]
	v_mov_b32_e32 v8, s10
	s_xor_b64 exec, exec, s[6:7]
	s_cbranch_execnz .LBB42_3956
.LBB42_1906:
	s_or_b64 exec, exec, s[6:7]
	s_and_saveexec_b64 s[6:7], s[4:5]
	s_cbranch_execz .LBB42_1908
.LBB42_1907:
	v_bfe_u32 v8, v15, 16, 3
	v_ffbh_u32_e32 v12, v8
	v_min_u32_e32 v12, 32, v12
	v_lshrrev_b32_e32 v9, 19, v15
	v_subrev_u32_e32 v13, 28, v12
	v_and_b32_e32 v9, 15, v9
	v_lshlrev_b32_sdwa v13, v13, v15 dst_sel:DWORD dst_unused:UNUSED_PAD src0_sel:DWORD src1_sel:WORD_1
	v_bfe_u32 v10, v15, 19, 4
	v_sub_u32_e32 v12, 29, v12
	v_and_b32_e32 v13, 7, v13
	v_cmp_eq_u16_e32 vcc, 0, v9
	v_cndmask_b32_e32 v8, v8, v13, vcc
	v_cndmask_b32_e32 v9, v10, v12, vcc
	v_lshlrev_b32_e32 v10, 8, v15
	v_mov_b32_e32 v12, 0x3b800000
	v_lshlrev_b32_e32 v8, 20, v8
	v_and_b32_e32 v10, 0x80000000, v10
	v_lshl_add_u32 v9, v9, 23, v12
	v_or3_b32 v8, v10, v9, v8
.LBB42_1908:
	s_or_b64 exec, exec, s[6:7]
	s_movk_i32 s4, 0xff
	v_and_b32_sdwa v9, v11, s4 dst_sel:DWORD dst_unused:UNUSED_PAD src0_sel:WORD_1 src1_sel:DWORD
	s_movk_i32 s4, 0x7f
	v_cmp_lt_i16_e32 vcc, s4, v9
	s_mov_b64 s[4:5], 0
                                        ; implicit-def: $sgpr10
	s_and_saveexec_b64 s[6:7], vcc
	s_xor_b64 s[6:7], exec, s[6:7]
	s_cbranch_execnz .LBB42_3957
; %bb.1909:
	s_or_saveexec_b64 s[6:7], s[6:7]
	v_mov_b32_e32 v10, s10
	s_xor_b64 exec, exec, s[6:7]
	s_cbranch_execnz .LBB42_3960
.LBB42_1910:
	s_or_b64 exec, exec, s[6:7]
	s_and_saveexec_b64 s[6:7], s[4:5]
	s_cbranch_execz .LBB42_1912
.LBB42_1911:
	v_bfe_u32 v9, v11, 16, 3
	v_ffbh_u32_e32 v13, v9
	v_min_u32_e32 v13, 32, v13
	v_lshrrev_b32_e32 v10, 19, v11
	v_subrev_u32_e32 v14, 28, v13
	v_and_b32_e32 v10, 15, v10
	v_lshlrev_b32_sdwa v14, v14, v11 dst_sel:DWORD dst_unused:UNUSED_PAD src0_sel:DWORD src1_sel:WORD_1
	v_bfe_u32 v12, v11, 19, 4
	v_sub_u32_e32 v13, 29, v13
	v_and_b32_e32 v14, 7, v14
	v_cmp_eq_u16_e32 vcc, 0, v10
	v_cndmask_b32_e32 v9, v9, v14, vcc
	v_cndmask_b32_e32 v10, v12, v13, vcc
	v_lshlrev_b32_e32 v12, 8, v11
	v_mov_b32_e32 v13, 0x3b800000
	v_lshlrev_b32_e32 v9, 20, v9
	v_and_b32_e32 v12, 0x80000000, v12
	v_lshl_add_u32 v10, v10, 23, v13
	v_or3_b32 v10, v12, v10, v9
.LBB42_1912:
	s_or_b64 exec, exec, s[6:7]
	s_nop 0
	v_mfma_f32_16x16x4f32 a[0:3], v8, v10, a[0:3]
	s_movk_i32 s4, 0x7f
	v_cmp_gt_i16_sdwa s[6:7], v15, s4 src0_sel:BYTE_3 src1_sel:DWORD
	s_mov_b64 s[4:5], 0
                                        ; implicit-def: $sgpr10
	s_and_saveexec_b64 s[8:9], s[6:7]
	s_xor_b64 s[6:7], exec, s[8:9]
	s_cbranch_execnz .LBB42_3961
; %bb.1913:
	s_or_saveexec_b64 s[6:7], s[6:7]
	v_mov_b32_e32 v8, s10
	s_xor_b64 exec, exec, s[6:7]
	s_cbranch_execnz .LBB42_3964
.LBB42_1914:
	s_or_b64 exec, exec, s[6:7]
	s_and_saveexec_b64 s[6:7], s[4:5]
	s_cbranch_execz .LBB42_1916
.LBB42_1915:
	v_bfe_u32 v8, v15, 24, 3
	v_ffbh_u32_e32 v13, v8
	v_min_u32_e32 v13, 32, v13
	v_lshrrev_b32_e32 v10, 27, v15
	v_subrev_u32_e32 v14, 28, v13
	v_and_b32_e32 v10, 15, v10
	v_lshlrev_b32_sdwa v14, v14, v15 dst_sel:DWORD dst_unused:UNUSED_PAD src0_sel:DWORD src1_sel:BYTE_3
	v_bfe_u32 v12, v15, 27, 4
	v_sub_u32_e32 v13, 29, v13
	v_and_b32_e32 v14, 7, v14
	v_cmp_eq_u16_e32 vcc, 0, v10
	v_cndmask_b32_e32 v8, v8, v14, vcc
	v_cndmask_b32_e32 v10, v12, v13, vcc
	v_mov_b32_e32 v12, 0x3b800000
	v_and_b32_e32 v9, 0x80000000, v15
	v_lshlrev_b32_e32 v8, 20, v8
	v_lshl_add_u32 v10, v10, 23, v12
	v_or3_b32 v8, v9, v10, v8
.LBB42_1916:
	s_or_b64 exec, exec, s[6:7]
	s_movk_i32 s4, 0x7f
	v_cmp_gt_i16_sdwa s[6:7], v11, s4 src0_sel:BYTE_3 src1_sel:DWORD
	s_mov_b64 s[4:5], 0
                                        ; implicit-def: $sgpr10
	s_and_saveexec_b64 s[8:9], s[6:7]
	s_xor_b64 s[6:7], exec, s[8:9]
	s_cbranch_execnz .LBB42_3965
; %bb.1917:
	s_or_saveexec_b64 s[6:7], s[6:7]
	v_mov_b32_e32 v9, s10
	s_xor_b64 exec, exec, s[6:7]
	s_cbranch_execnz .LBB42_3968
.LBB42_1918:
	s_or_b64 exec, exec, s[6:7]
	s_and_saveexec_b64 s[6:7], s[4:5]
	s_cbranch_execz .LBB42_1920
.LBB42_1919:
	v_bfe_u32 v9, v11, 24, 3
	v_ffbh_u32_e32 v14, v9
	v_min_u32_e32 v14, 32, v14
	v_lshrrev_b32_e32 v12, 27, v11
	v_subrev_u32_e32 v15, 28, v14
	v_and_b32_e32 v10, 0x80000000, v11
	v_and_b32_e32 v12, 15, v12
	v_bfe_u32 v13, v11, 27, 4
	v_lshlrev_b32_sdwa v11, v15, v11 dst_sel:DWORD dst_unused:UNUSED_PAD src0_sel:DWORD src1_sel:BYTE_3
	v_sub_u32_e32 v14, 29, v14
	v_and_b32_e32 v11, 7, v11
	v_cmp_eq_u16_e32 vcc, 0, v12
	v_cndmask_b32_e32 v9, v9, v11, vcc
	v_cndmask_b32_e32 v11, v13, v14, vcc
	v_mov_b32_e32 v12, 0x3b800000
	v_lshlrev_b32_e32 v9, 20, v9
	v_lshl_add_u32 v11, v11, 23, v12
	v_or3_b32 v9, v10, v11, v9
.LBB42_1920:
	s_or_b64 exec, exec, s[6:7]
	s_nop 0
	v_mfma_f32_16x16x4f32 a[0:3], v8, v9, a[0:3]
	s_movk_i32 s4, 0x7f
	v_cmp_gt_i16_sdwa s[6:7], v4, s4 src0_sel:BYTE_0 src1_sel:DWORD
	s_mov_b64 s[4:5], 0
                                        ; implicit-def: $sgpr10
	s_and_saveexec_b64 s[8:9], s[6:7]
	s_xor_b64 s[6:7], exec, s[8:9]
	s_cbranch_execnz .LBB42_3969
; %bb.1921:
	s_or_saveexec_b64 s[6:7], s[6:7]
	v_mov_b32_e32 v8, s10
	s_xor_b64 exec, exec, s[6:7]
	s_cbranch_execnz .LBB42_3972
.LBB42_1922:
	s_or_b64 exec, exec, s[6:7]
	s_and_saveexec_b64 s[6:7], s[4:5]
	s_cbranch_execz .LBB42_1924
.LBB42_1923:
	v_and_b32_e32 v8, 7, v4
	v_ffbh_u32_e32 v10, v8
	v_min_u32_e32 v10, 32, v10
	v_lshrrev_b16_e32 v9, 3, v4
	v_subrev_u32_e32 v11, 28, v10
	v_and_b32_e32 v9, 15, v9
	v_lshlrev_b32_e32 v11, v11, v4
	v_sub_u32_e32 v10, 29, v10
	v_and_b32_e32 v11, 7, v11
	v_cmp_eq_u16_e32 vcc, 0, v9
	v_cndmask_b32_e32 v8, v8, v11, vcc
	v_cndmask_b32_e32 v9, v9, v10, vcc
	v_lshlrev_b32_e32 v10, 24, v4
	v_mov_b32_e32 v11, 0x3b800000
	v_lshlrev_b32_e32 v8, 20, v8
	v_and_b32_e32 v10, 0x80000000, v10
	v_lshl_add_u32 v9, v9, 23, v11
	v_or3_b32 v8, v10, v9, v8
.LBB42_1924:
	s_or_b64 exec, exec, s[6:7]
	s_movk_i32 s4, 0x7f
	v_cmp_gt_i16_sdwa s[6:7], v0, s4 src0_sel:BYTE_0 src1_sel:DWORD
	s_mov_b64 s[4:5], 0
                                        ; implicit-def: $sgpr10
	s_and_saveexec_b64 s[8:9], s[6:7]
	s_xor_b64 s[6:7], exec, s[8:9]
	s_cbranch_execnz .LBB42_3973
; %bb.1925:
	s_or_saveexec_b64 s[6:7], s[6:7]
	v_mov_b32_e32 v9, s10
	s_xor_b64 exec, exec, s[6:7]
	s_cbranch_execnz .LBB42_3976
.LBB42_1926:
	s_or_b64 exec, exec, s[6:7]
	s_and_saveexec_b64 s[6:7], s[4:5]
	s_cbranch_execz .LBB42_1928
.LBB42_1927:
	v_and_b32_e32 v9, 7, v0
	v_ffbh_u32_e32 v11, v9
	v_min_u32_e32 v11, 32, v11
	v_lshrrev_b16_e32 v10, 3, v0
	v_subrev_u32_e32 v12, 28, v11
	v_and_b32_e32 v10, 15, v10
	v_lshlrev_b32_e32 v12, v12, v0
	v_sub_u32_e32 v11, 29, v11
	v_and_b32_e32 v12, 7, v12
	v_cmp_eq_u16_e32 vcc, 0, v10
	v_cndmask_b32_e32 v9, v9, v12, vcc
	v_cndmask_b32_e32 v10, v10, v11, vcc
	v_lshlrev_b32_e32 v11, 24, v0
	v_mov_b32_e32 v12, 0x3b800000
	v_lshlrev_b32_e32 v9, 20, v9
	v_and_b32_e32 v11, 0x80000000, v11
	v_lshl_add_u32 v10, v10, 23, v12
	v_or3_b32 v9, v11, v10, v9
.LBB42_1928:
	s_or_b64 exec, exec, s[6:7]
	s_nop 0
	v_mfma_f32_16x16x4f32 a[0:3], v8, v9, a[0:3]
	v_lshrrev_b32_e32 v9, 8, v4
	s_movk_i32 s4, 0x7f
	v_cmp_gt_i16_sdwa s[6:7], v9, s4 src0_sel:BYTE_0 src1_sel:DWORD
	s_mov_b64 s[4:5], 0
                                        ; implicit-def: $sgpr10
	s_and_saveexec_b64 s[8:9], s[6:7]
	s_xor_b64 s[6:7], exec, s[8:9]
	s_cbranch_execnz .LBB42_3977
; %bb.1929:
	s_or_saveexec_b64 s[6:7], s[6:7]
	v_mov_b32_e32 v8, s10
	s_xor_b64 exec, exec, s[6:7]
	s_cbranch_execnz .LBB42_3980
.LBB42_1930:
	s_or_b64 exec, exec, s[6:7]
	s_and_saveexec_b64 s[6:7], s[4:5]
	s_cbranch_execz .LBB42_1932
.LBB42_1931:
	v_bfe_u32 v8, v4, 8, 3
	v_ffbh_u32_e32 v11, v8
	v_min_u32_e32 v11, 32, v11
	v_lshrrev_b16_e32 v10, 3, v9
	v_subrev_u32_e32 v12, 28, v11
	v_and_b32_e32 v10, 15, v10
	v_lshlrev_b32_e32 v9, v12, v9
	v_sub_u32_e32 v11, 29, v11
	v_and_b32_e32 v9, 7, v9
	v_cmp_eq_u16_e32 vcc, 0, v10
	v_cndmask_b32_e32 v8, v8, v9, vcc
	v_cndmask_b32_e32 v9, v10, v11, vcc
	v_lshlrev_b32_e32 v10, 16, v4
	v_mov_b32_e32 v11, 0x3b800000
	v_lshlrev_b32_e32 v8, 20, v8
	v_and_b32_e32 v10, 0x80000000, v10
	v_lshl_add_u32 v9, v9, 23, v11
	v_or3_b32 v8, v10, v9, v8
.LBB42_1932:
	s_or_b64 exec, exec, s[6:7]
	v_lshrrev_b32_e32 v9, 8, v0
	s_movk_i32 s4, 0x7f
	v_cmp_gt_i16_sdwa s[6:7], v9, s4 src0_sel:BYTE_0 src1_sel:DWORD
	s_mov_b64 s[4:5], 0
                                        ; implicit-def: $sgpr10
	s_and_saveexec_b64 s[8:9], s[6:7]
	s_xor_b64 s[6:7], exec, s[8:9]
	s_cbranch_execnz .LBB42_3981
; %bb.1933:
	s_or_saveexec_b64 s[6:7], s[6:7]
	v_mov_b32_e32 v10, s10
	s_xor_b64 exec, exec, s[6:7]
	s_cbranch_execnz .LBB42_3984
.LBB42_1934:
	s_or_b64 exec, exec, s[6:7]
	s_and_saveexec_b64 s[6:7], s[4:5]
	s_cbranch_execz .LBB42_1936
.LBB42_1935:
	v_bfe_u32 v10, v0, 8, 3
	v_ffbh_u32_e32 v12, v10
	v_min_u32_e32 v12, 32, v12
	v_lshrrev_b16_e32 v11, 3, v9
	v_subrev_u32_e32 v13, 28, v12
	v_and_b32_e32 v11, 15, v11
	v_lshlrev_b32_e32 v9, v13, v9
	v_sub_u32_e32 v12, 29, v12
	v_and_b32_e32 v9, 7, v9
	v_cmp_eq_u16_e32 vcc, 0, v11
	v_cndmask_b32_e32 v9, v10, v9, vcc
	v_cndmask_b32_e32 v10, v11, v12, vcc
	v_lshlrev_b32_e32 v11, 16, v0
	v_mov_b32_e32 v12, 0x3b800000
	v_lshlrev_b32_e32 v9, 20, v9
	v_and_b32_e32 v11, 0x80000000, v11
	v_lshl_add_u32 v10, v10, 23, v12
	v_or3_b32 v10, v11, v10, v9
.LBB42_1936:
	s_or_b64 exec, exec, s[6:7]
	s_nop 0
	v_mfma_f32_16x16x4f32 a[0:3], v8, v10, a[0:3]
	s_movk_i32 s4, 0xff
	v_and_b32_sdwa v9, v4, s4 dst_sel:DWORD dst_unused:UNUSED_PAD src0_sel:WORD_1 src1_sel:DWORD
	s_movk_i32 s4, 0x7f
	v_cmp_lt_i16_e32 vcc, s4, v9
	s_mov_b64 s[4:5], 0
                                        ; implicit-def: $sgpr10
	s_and_saveexec_b64 s[6:7], vcc
	s_xor_b64 s[6:7], exec, s[6:7]
	s_cbranch_execnz .LBB42_3985
; %bb.1937:
	s_or_saveexec_b64 s[6:7], s[6:7]
	v_mov_b32_e32 v8, s10
	s_xor_b64 exec, exec, s[6:7]
	s_cbranch_execnz .LBB42_3988
.LBB42_1938:
	s_or_b64 exec, exec, s[6:7]
	s_and_saveexec_b64 s[6:7], s[4:5]
	s_cbranch_execz .LBB42_1940
.LBB42_1939:
	v_bfe_u32 v8, v4, 16, 3
	v_ffbh_u32_e32 v11, v8
	v_min_u32_e32 v11, 32, v11
	v_lshrrev_b32_e32 v9, 19, v4
	v_subrev_u32_e32 v12, 28, v11
	v_and_b32_e32 v9, 15, v9
	v_lshlrev_b32_sdwa v12, v12, v4 dst_sel:DWORD dst_unused:UNUSED_PAD src0_sel:DWORD src1_sel:WORD_1
	v_bfe_u32 v10, v4, 19, 4
	v_sub_u32_e32 v11, 29, v11
	v_and_b32_e32 v12, 7, v12
	v_cmp_eq_u16_e32 vcc, 0, v9
	v_cndmask_b32_e32 v8, v8, v12, vcc
	v_cndmask_b32_e32 v9, v10, v11, vcc
	v_lshlrev_b32_e32 v10, 8, v4
	v_mov_b32_e32 v11, 0x3b800000
	v_lshlrev_b32_e32 v8, 20, v8
	v_and_b32_e32 v10, 0x80000000, v10
	v_lshl_add_u32 v9, v9, 23, v11
	v_or3_b32 v8, v10, v9, v8
.LBB42_1940:
	s_or_b64 exec, exec, s[6:7]
	s_movk_i32 s4, 0xff
	v_and_b32_sdwa v9, v0, s4 dst_sel:DWORD dst_unused:UNUSED_PAD src0_sel:WORD_1 src1_sel:DWORD
	s_movk_i32 s4, 0x7f
	v_cmp_lt_i16_e32 vcc, s4, v9
	s_mov_b64 s[4:5], 0
                                        ; implicit-def: $sgpr10
	s_and_saveexec_b64 s[6:7], vcc
	s_xor_b64 s[6:7], exec, s[6:7]
	s_cbranch_execnz .LBB42_3989
; %bb.1941:
	s_or_saveexec_b64 s[6:7], s[6:7]
	v_mov_b32_e32 v10, s10
	s_xor_b64 exec, exec, s[6:7]
	s_cbranch_execnz .LBB42_3992
.LBB42_1942:
	s_or_b64 exec, exec, s[6:7]
	s_and_saveexec_b64 s[6:7], s[4:5]
	s_cbranch_execz .LBB42_1944
.LBB42_1943:
	v_bfe_u32 v9, v0, 16, 3
	v_ffbh_u32_e32 v12, v9
	v_min_u32_e32 v12, 32, v12
	v_lshrrev_b32_e32 v10, 19, v0
	v_subrev_u32_e32 v13, 28, v12
	v_and_b32_e32 v10, 15, v10
	v_lshlrev_b32_sdwa v13, v13, v0 dst_sel:DWORD dst_unused:UNUSED_PAD src0_sel:DWORD src1_sel:WORD_1
	v_bfe_u32 v11, v0, 19, 4
	v_sub_u32_e32 v12, 29, v12
	v_and_b32_e32 v13, 7, v13
	v_cmp_eq_u16_e32 vcc, 0, v10
	v_cndmask_b32_e32 v9, v9, v13, vcc
	v_cndmask_b32_e32 v10, v11, v12, vcc
	v_lshlrev_b32_e32 v11, 8, v0
	v_mov_b32_e32 v12, 0x3b800000
	v_lshlrev_b32_e32 v9, 20, v9
	v_and_b32_e32 v11, 0x80000000, v11
	v_lshl_add_u32 v10, v10, 23, v12
	v_or3_b32 v10, v11, v10, v9
.LBB42_1944:
	s_or_b64 exec, exec, s[6:7]
	s_nop 0
	v_mfma_f32_16x16x4f32 a[0:3], v8, v10, a[0:3]
	s_movk_i32 s4, 0x7f
	v_cmp_gt_i16_sdwa s[6:7], v4, s4 src0_sel:BYTE_3 src1_sel:DWORD
	s_mov_b64 s[4:5], 0
                                        ; implicit-def: $sgpr10
	s_and_saveexec_b64 s[8:9], s[6:7]
	s_xor_b64 s[6:7], exec, s[8:9]
	s_cbranch_execnz .LBB42_3993
; %bb.1945:
	s_or_saveexec_b64 s[6:7], s[6:7]
	v_mov_b32_e32 v8, s10
	s_xor_b64 exec, exec, s[6:7]
	s_cbranch_execnz .LBB42_3996
.LBB42_1946:
	s_or_b64 exec, exec, s[6:7]
	s_and_saveexec_b64 s[6:7], s[4:5]
	s_cbranch_execz .LBB42_1948
.LBB42_1947:
	v_bfe_u32 v8, v4, 24, 3
	v_ffbh_u32_e32 v12, v8
	v_min_u32_e32 v12, 32, v12
	v_lshrrev_b32_e32 v10, 27, v4
	v_subrev_u32_e32 v13, 28, v12
	v_and_b32_e32 v9, 0x80000000, v4
	v_and_b32_e32 v10, 15, v10
	v_bfe_u32 v11, v4, 27, 4
	v_lshlrev_b32_sdwa v4, v13, v4 dst_sel:DWORD dst_unused:UNUSED_PAD src0_sel:DWORD src1_sel:BYTE_3
	v_sub_u32_e32 v12, 29, v12
	v_and_b32_e32 v4, 7, v4
	v_cmp_eq_u16_e32 vcc, 0, v10
	v_cndmask_b32_e32 v4, v8, v4, vcc
	v_cndmask_b32_e32 v8, v11, v12, vcc
	v_mov_b32_e32 v10, 0x3b800000
	v_lshlrev_b32_e32 v4, 20, v4
	v_lshl_add_u32 v8, v8, 23, v10
	v_or3_b32 v8, v9, v8, v4
.LBB42_1948:
	s_or_b64 exec, exec, s[6:7]
	s_movk_i32 s4, 0x7f
	v_cmp_gt_i16_sdwa s[6:7], v0, s4 src0_sel:BYTE_3 src1_sel:DWORD
	s_mov_b64 s[4:5], 0
                                        ; implicit-def: $sgpr10
	s_and_saveexec_b64 s[8:9], s[6:7]
	s_xor_b64 s[6:7], exec, s[8:9]
	s_cbranch_execnz .LBB42_3997
; %bb.1949:
	s_or_saveexec_b64 s[6:7], s[6:7]
	v_mov_b32_e32 v4, s10
	s_xor_b64 exec, exec, s[6:7]
	s_cbranch_execnz .LBB42_4000
.LBB42_1950:
	s_or_b64 exec, exec, s[6:7]
	s_and_saveexec_b64 s[6:7], s[4:5]
	s_cbranch_execz .LBB42_1952
.LBB42_1951:
	v_bfe_u32 v4, v0, 24, 3
	v_ffbh_u32_e32 v12, v4
	v_min_u32_e32 v12, 32, v12
	v_lshrrev_b32_e32 v10, 27, v0
	v_subrev_u32_e32 v13, 28, v12
	v_and_b32_e32 v9, 0x80000000, v0
	v_and_b32_e32 v10, 15, v10
	v_bfe_u32 v11, v0, 27, 4
	v_lshlrev_b32_sdwa v0, v13, v0 dst_sel:DWORD dst_unused:UNUSED_PAD src0_sel:DWORD src1_sel:BYTE_3
	v_sub_u32_e32 v12, 29, v12
	v_and_b32_e32 v0, 7, v0
	v_cmp_eq_u16_e32 vcc, 0, v10
	v_cndmask_b32_e32 v0, v4, v0, vcc
	v_cndmask_b32_e32 v4, v11, v12, vcc
	v_mov_b32_e32 v10, 0x3b800000
	v_lshlrev_b32_e32 v0, 20, v0
	v_lshl_add_u32 v4, v4, 23, v10
	v_or3_b32 v4, v9, v4, v0
.LBB42_1952:
	s_or_b64 exec, exec, s[6:7]
	s_nop 0
	v_mfma_f32_16x16x4f32 a[0:3], v8, v4, a[0:3]
	s_movk_i32 s4, 0x7f
	v_cmp_gt_i16_sdwa s[6:7], v5, s4 src0_sel:BYTE_0 src1_sel:DWORD
	s_mov_b64 s[4:5], 0
                                        ; implicit-def: $sgpr10
	s_and_saveexec_b64 s[8:9], s[6:7]
	s_xor_b64 s[6:7], exec, s[8:9]
	s_cbranch_execnz .LBB42_4001
; %bb.1953:
	s_or_saveexec_b64 s[6:7], s[6:7]
	v_mov_b32_e32 v0, s10
	s_xor_b64 exec, exec, s[6:7]
	s_cbranch_execnz .LBB42_4004
.LBB42_1954:
	s_or_b64 exec, exec, s[6:7]
	s_and_saveexec_b64 s[6:7], s[4:5]
	s_cbranch_execz .LBB42_1956
.LBB42_1955:
	v_and_b32_e32 v0, 7, v5
	v_ffbh_u32_e32 v8, v0
	v_min_u32_e32 v8, 32, v8
	v_lshrrev_b16_e32 v4, 3, v5
	v_subrev_u32_e32 v9, 28, v8
	v_and_b32_e32 v4, 15, v4
	v_lshlrev_b32_e32 v9, v9, v5
	v_sub_u32_e32 v8, 29, v8
	v_and_b32_e32 v9, 7, v9
	v_cmp_eq_u16_e32 vcc, 0, v4
	v_cndmask_b32_e32 v0, v0, v9, vcc
	v_cndmask_b32_e32 v4, v4, v8, vcc
	v_lshlrev_b32_e32 v8, 24, v5
	v_mov_b32_e32 v9, 0x3b800000
	v_lshlrev_b32_e32 v0, 20, v0
	v_and_b32_e32 v8, 0x80000000, v8
	v_lshl_add_u32 v4, v4, 23, v9
	v_or3_b32 v0, v8, v4, v0
.LBB42_1956:
	s_or_b64 exec, exec, s[6:7]
	s_movk_i32 s4, 0x7f
	v_cmp_gt_i16_sdwa s[6:7], v1, s4 src0_sel:BYTE_0 src1_sel:DWORD
	s_mov_b64 s[4:5], 0
                                        ; implicit-def: $sgpr10
	s_and_saveexec_b64 s[8:9], s[6:7]
	s_xor_b64 s[6:7], exec, s[8:9]
	s_cbranch_execnz .LBB42_4005
; %bb.1957:
	s_or_saveexec_b64 s[6:7], s[6:7]
	v_mov_b32_e32 v4, s10
	s_xor_b64 exec, exec, s[6:7]
	s_cbranch_execnz .LBB42_4008
.LBB42_1958:
	s_or_b64 exec, exec, s[6:7]
	s_and_saveexec_b64 s[6:7], s[4:5]
	s_cbranch_execz .LBB42_1960
.LBB42_1959:
	v_and_b32_e32 v4, 7, v1
	v_ffbh_u32_e32 v9, v4
	v_min_u32_e32 v9, 32, v9
	v_lshrrev_b16_e32 v8, 3, v1
	v_subrev_u32_e32 v10, 28, v9
	v_and_b32_e32 v8, 15, v8
	v_lshlrev_b32_e32 v10, v10, v1
	v_sub_u32_e32 v9, 29, v9
	v_and_b32_e32 v10, 7, v10
	v_cmp_eq_u16_e32 vcc, 0, v8
	v_cndmask_b32_e32 v4, v4, v10, vcc
	v_cndmask_b32_e32 v8, v8, v9, vcc
	v_lshlrev_b32_e32 v9, 24, v1
	v_mov_b32_e32 v10, 0x3b800000
	v_lshlrev_b32_e32 v4, 20, v4
	v_and_b32_e32 v9, 0x80000000, v9
	v_lshl_add_u32 v8, v8, 23, v10
	v_or3_b32 v4, v9, v8, v4
.LBB42_1960:
	s_or_b64 exec, exec, s[6:7]
	s_nop 0
	v_mfma_f32_16x16x4f32 a[0:3], v0, v4, a[0:3]
	v_lshrrev_b32_e32 v4, 8, v5
	s_movk_i32 s4, 0x7f
	v_cmp_gt_i16_sdwa s[6:7], v4, s4 src0_sel:BYTE_0 src1_sel:DWORD
	s_mov_b64 s[4:5], 0
                                        ; implicit-def: $sgpr10
	s_and_saveexec_b64 s[8:9], s[6:7]
	s_xor_b64 s[6:7], exec, s[8:9]
	s_cbranch_execnz .LBB42_4009
; %bb.1961:
	s_or_saveexec_b64 s[6:7], s[6:7]
	v_mov_b32_e32 v0, s10
	s_xor_b64 exec, exec, s[6:7]
	s_cbranch_execnz .LBB42_4012
.LBB42_1962:
	s_or_b64 exec, exec, s[6:7]
	s_and_saveexec_b64 s[6:7], s[4:5]
	s_cbranch_execz .LBB42_1964
.LBB42_1963:
	v_bfe_u32 v0, v5, 8, 3
	v_ffbh_u32_e32 v9, v0
	v_min_u32_e32 v9, 32, v9
	v_lshrrev_b16_e32 v8, 3, v4
	v_subrev_u32_e32 v10, 28, v9
	v_and_b32_e32 v8, 15, v8
	v_lshlrev_b32_e32 v4, v10, v4
	v_sub_u32_e32 v9, 29, v9
	v_and_b32_e32 v4, 7, v4
	v_cmp_eq_u16_e32 vcc, 0, v8
	v_cndmask_b32_e32 v0, v0, v4, vcc
	v_cndmask_b32_e32 v4, v8, v9, vcc
	v_lshlrev_b32_e32 v8, 16, v5
	v_mov_b32_e32 v9, 0x3b800000
	v_lshlrev_b32_e32 v0, 20, v0
	v_and_b32_e32 v8, 0x80000000, v8
	v_lshl_add_u32 v4, v4, 23, v9
	v_or3_b32 v0, v8, v4, v0
.LBB42_1964:
	s_or_b64 exec, exec, s[6:7]
	v_lshrrev_b32_e32 v4, 8, v1
	s_movk_i32 s4, 0x7f
	v_cmp_gt_i16_sdwa s[6:7], v4, s4 src0_sel:BYTE_0 src1_sel:DWORD
	s_mov_b64 s[4:5], 0
                                        ; implicit-def: $sgpr10
	s_and_saveexec_b64 s[8:9], s[6:7]
	s_xor_b64 s[6:7], exec, s[8:9]
	s_cbranch_execnz .LBB42_4013
; %bb.1965:
	s_or_saveexec_b64 s[6:7], s[6:7]
	v_mov_b32_e32 v8, s10
	s_xor_b64 exec, exec, s[6:7]
	s_cbranch_execnz .LBB42_4016
.LBB42_1966:
	s_or_b64 exec, exec, s[6:7]
	s_and_saveexec_b64 s[6:7], s[4:5]
	s_cbranch_execz .LBB42_1968
.LBB42_1967:
	v_bfe_u32 v8, v1, 8, 3
	v_ffbh_u32_e32 v10, v8
	v_min_u32_e32 v10, 32, v10
	v_lshrrev_b16_e32 v9, 3, v4
	v_subrev_u32_e32 v11, 28, v10
	v_and_b32_e32 v9, 15, v9
	v_lshlrev_b32_e32 v4, v11, v4
	v_sub_u32_e32 v10, 29, v10
	v_and_b32_e32 v4, 7, v4
	v_cmp_eq_u16_e32 vcc, 0, v9
	v_cndmask_b32_e32 v4, v8, v4, vcc
	v_cndmask_b32_e32 v8, v9, v10, vcc
	v_lshlrev_b32_e32 v9, 16, v1
	v_mov_b32_e32 v10, 0x3b800000
	v_lshlrev_b32_e32 v4, 20, v4
	v_and_b32_e32 v9, 0x80000000, v9
	v_lshl_add_u32 v8, v8, 23, v10
	v_or3_b32 v8, v9, v8, v4
.LBB42_1968:
	s_or_b64 exec, exec, s[6:7]
	s_nop 0
	v_mfma_f32_16x16x4f32 a[0:3], v0, v8, a[0:3]
	s_movk_i32 s4, 0xff
	v_and_b32_sdwa v4, v5, s4 dst_sel:DWORD dst_unused:UNUSED_PAD src0_sel:WORD_1 src1_sel:DWORD
	s_movk_i32 s4, 0x7f
	v_cmp_lt_i16_e32 vcc, s4, v4
	s_mov_b64 s[4:5], 0
                                        ; implicit-def: $sgpr10
	s_and_saveexec_b64 s[6:7], vcc
	s_xor_b64 s[6:7], exec, s[6:7]
	s_cbranch_execnz .LBB42_4017
; %bb.1969:
	s_or_saveexec_b64 s[6:7], s[6:7]
	v_mov_b32_e32 v0, s10
	s_xor_b64 exec, exec, s[6:7]
	s_cbranch_execnz .LBB42_4020
.LBB42_1970:
	s_or_b64 exec, exec, s[6:7]
	s_and_saveexec_b64 s[6:7], s[4:5]
	s_cbranch_execz .LBB42_1972
.LBB42_1971:
	v_bfe_u32 v0, v5, 16, 3
	v_ffbh_u32_e32 v9, v0
	v_min_u32_e32 v9, 32, v9
	v_lshrrev_b32_e32 v4, 19, v5
	v_subrev_u32_e32 v10, 28, v9
	v_and_b32_e32 v4, 15, v4
	v_lshlrev_b32_sdwa v10, v10, v5 dst_sel:DWORD dst_unused:UNUSED_PAD src0_sel:DWORD src1_sel:WORD_1
	v_bfe_u32 v8, v5, 19, 4
	v_sub_u32_e32 v9, 29, v9
	v_and_b32_e32 v10, 7, v10
	v_cmp_eq_u16_e32 vcc, 0, v4
	v_cndmask_b32_e32 v0, v0, v10, vcc
	v_cndmask_b32_e32 v4, v8, v9, vcc
	v_lshlrev_b32_e32 v8, 8, v5
	v_mov_b32_e32 v9, 0x3b800000
	v_lshlrev_b32_e32 v0, 20, v0
	v_and_b32_e32 v8, 0x80000000, v8
	v_lshl_add_u32 v4, v4, 23, v9
	v_or3_b32 v0, v8, v4, v0
.LBB42_1972:
	s_or_b64 exec, exec, s[6:7]
	s_movk_i32 s4, 0xff
	v_and_b32_sdwa v4, v1, s4 dst_sel:DWORD dst_unused:UNUSED_PAD src0_sel:WORD_1 src1_sel:DWORD
	s_movk_i32 s4, 0x7f
	v_cmp_lt_i16_e32 vcc, s4, v4
	s_mov_b64 s[4:5], 0
                                        ; implicit-def: $sgpr10
	s_and_saveexec_b64 s[6:7], vcc
	s_xor_b64 s[6:7], exec, s[6:7]
	s_cbranch_execnz .LBB42_4021
; %bb.1973:
	s_or_saveexec_b64 s[6:7], s[6:7]
	v_mov_b32_e32 v8, s10
	s_xor_b64 exec, exec, s[6:7]
	s_cbranch_execnz .LBB42_4024
.LBB42_1974:
	s_or_b64 exec, exec, s[6:7]
	s_and_saveexec_b64 s[6:7], s[4:5]
	s_cbranch_execz .LBB42_1976
.LBB42_1975:
	v_bfe_u32 v4, v1, 16, 3
	v_ffbh_u32_e32 v10, v4
	v_min_u32_e32 v10, 32, v10
	v_lshrrev_b32_e32 v8, 19, v1
	v_subrev_u32_e32 v11, 28, v10
	v_and_b32_e32 v8, 15, v8
	v_lshlrev_b32_sdwa v11, v11, v1 dst_sel:DWORD dst_unused:UNUSED_PAD src0_sel:DWORD src1_sel:WORD_1
	v_bfe_u32 v9, v1, 19, 4
	v_sub_u32_e32 v10, 29, v10
	v_and_b32_e32 v11, 7, v11
	v_cmp_eq_u16_e32 vcc, 0, v8
	v_cndmask_b32_e32 v4, v4, v11, vcc
	v_cndmask_b32_e32 v8, v9, v10, vcc
	v_lshlrev_b32_e32 v9, 8, v1
	v_mov_b32_e32 v10, 0x3b800000
	v_lshlrev_b32_e32 v4, 20, v4
	v_and_b32_e32 v9, 0x80000000, v9
	v_lshl_add_u32 v8, v8, 23, v10
	v_or3_b32 v8, v9, v8, v4
.LBB42_1976:
	s_or_b64 exec, exec, s[6:7]
	s_nop 0
	v_mfma_f32_16x16x4f32 a[0:3], v0, v8, a[0:3]
	s_movk_i32 s4, 0x7f
	v_cmp_gt_i16_sdwa s[6:7], v5, s4 src0_sel:BYTE_3 src1_sel:DWORD
	s_mov_b64 s[4:5], 0
                                        ; implicit-def: $sgpr10
	s_and_saveexec_b64 s[8:9], s[6:7]
	s_xor_b64 s[6:7], exec, s[8:9]
	s_cbranch_execnz .LBB42_4025
; %bb.1977:
	s_or_saveexec_b64 s[6:7], s[6:7]
	v_mov_b32_e32 v0, s10
	s_xor_b64 exec, exec, s[6:7]
	s_cbranch_execnz .LBB42_4028
.LBB42_1978:
	s_or_b64 exec, exec, s[6:7]
	s_and_saveexec_b64 s[6:7], s[4:5]
	s_cbranch_execz .LBB42_1980
.LBB42_1979:
	v_bfe_u32 v0, v5, 24, 3
	v_ffbh_u32_e32 v10, v0
	v_min_u32_e32 v10, 32, v10
	v_lshrrev_b32_e32 v8, 27, v5
	v_subrev_u32_e32 v11, 28, v10
	v_and_b32_e32 v4, 0x80000000, v5
	v_and_b32_e32 v8, 15, v8
	v_bfe_u32 v9, v5, 27, 4
	v_lshlrev_b32_sdwa v5, v11, v5 dst_sel:DWORD dst_unused:UNUSED_PAD src0_sel:DWORD src1_sel:BYTE_3
	v_sub_u32_e32 v10, 29, v10
	v_and_b32_e32 v5, 7, v5
	v_cmp_eq_u16_e32 vcc, 0, v8
	v_cndmask_b32_e32 v0, v0, v5, vcc
	v_cndmask_b32_e32 v5, v9, v10, vcc
	v_mov_b32_e32 v8, 0x3b800000
	v_lshlrev_b32_e32 v0, 20, v0
	v_lshl_add_u32 v5, v5, 23, v8
	v_or3_b32 v0, v4, v5, v0
.LBB42_1980:
	s_or_b64 exec, exec, s[6:7]
	s_movk_i32 s4, 0x7f
	v_cmp_gt_i16_sdwa s[6:7], v1, s4 src0_sel:BYTE_3 src1_sel:DWORD
	s_mov_b64 s[4:5], 0
                                        ; implicit-def: $sgpr10
	s_and_saveexec_b64 s[8:9], s[6:7]
	s_xor_b64 s[6:7], exec, s[8:9]
	s_cbranch_execnz .LBB42_4029
; %bb.1981:
	s_or_saveexec_b64 s[6:7], s[6:7]
	v_mov_b32_e32 v4, s10
	s_xor_b64 exec, exec, s[6:7]
	s_cbranch_execnz .LBB42_4032
.LBB42_1982:
	s_or_b64 exec, exec, s[6:7]
	s_and_saveexec_b64 s[6:7], s[4:5]
	s_cbranch_execz .LBB42_1984
.LBB42_1983:
	v_bfe_u32 v4, v1, 24, 3
	v_ffbh_u32_e32 v10, v4
	v_min_u32_e32 v10, 32, v10
	v_lshrrev_b32_e32 v8, 27, v1
	v_subrev_u32_e32 v11, 28, v10
	v_and_b32_e32 v5, 0x80000000, v1
	v_and_b32_e32 v8, 15, v8
	v_bfe_u32 v9, v1, 27, 4
	v_lshlrev_b32_sdwa v1, v11, v1 dst_sel:DWORD dst_unused:UNUSED_PAD src0_sel:DWORD src1_sel:BYTE_3
	v_sub_u32_e32 v10, 29, v10
	v_and_b32_e32 v1, 7, v1
	v_cmp_eq_u16_e32 vcc, 0, v8
	v_cndmask_b32_e32 v1, v4, v1, vcc
	v_cndmask_b32_e32 v4, v9, v10, vcc
	v_mov_b32_e32 v8, 0x3b800000
	v_lshlrev_b32_e32 v1, 20, v1
	v_lshl_add_u32 v4, v4, 23, v8
	v_or3_b32 v4, v5, v4, v1
.LBB42_1984:
	s_or_b64 exec, exec, s[6:7]
	s_nop 0
	v_mfma_f32_16x16x4f32 a[0:3], v0, v4, a[0:3]
	s_movk_i32 s4, 0x7f
	v_cmp_gt_i16_sdwa s[6:7], v6, s4 src0_sel:BYTE_0 src1_sel:DWORD
	s_mov_b64 s[4:5], 0
                                        ; implicit-def: $sgpr10
	s_and_saveexec_b64 s[8:9], s[6:7]
	s_xor_b64 s[6:7], exec, s[8:9]
	s_cbranch_execnz .LBB42_4033
; %bb.1985:
	s_or_saveexec_b64 s[6:7], s[6:7]
	v_mov_b32_e32 v0, s10
	s_xor_b64 exec, exec, s[6:7]
	s_cbranch_execnz .LBB42_4036
.LBB42_1986:
	s_or_b64 exec, exec, s[6:7]
	s_and_saveexec_b64 s[6:7], s[4:5]
	s_cbranch_execz .LBB42_1988
.LBB42_1987:
	v_and_b32_e32 v0, 7, v6
	v_ffbh_u32_e32 v4, v0
	v_min_u32_e32 v4, 32, v4
	v_lshrrev_b16_e32 v1, 3, v6
	v_subrev_u32_e32 v5, 28, v4
	v_and_b32_e32 v1, 15, v1
	v_lshlrev_b32_e32 v5, v5, v6
	v_sub_u32_e32 v4, 29, v4
	v_and_b32_e32 v5, 7, v5
	v_cmp_eq_u16_e32 vcc, 0, v1
	v_cndmask_b32_e32 v0, v0, v5, vcc
	v_cndmask_b32_e32 v1, v1, v4, vcc
	v_lshlrev_b32_e32 v4, 24, v6
	v_mov_b32_e32 v5, 0x3b800000
	v_lshlrev_b32_e32 v0, 20, v0
	v_and_b32_e32 v4, 0x80000000, v4
	v_lshl_add_u32 v1, v1, 23, v5
	v_or3_b32 v0, v4, v1, v0
.LBB42_1988:
	s_or_b64 exec, exec, s[6:7]
	s_movk_i32 s4, 0x7f
	v_cmp_gt_i16_sdwa s[6:7], v2, s4 src0_sel:BYTE_0 src1_sel:DWORD
	s_mov_b64 s[4:5], 0
                                        ; implicit-def: $sgpr10
	s_and_saveexec_b64 s[8:9], s[6:7]
	s_xor_b64 s[6:7], exec, s[8:9]
	s_cbranch_execnz .LBB42_4037
; %bb.1989:
	s_or_saveexec_b64 s[6:7], s[6:7]
	v_mov_b32_e32 v1, s10
	s_xor_b64 exec, exec, s[6:7]
	s_cbranch_execnz .LBB42_4040
.LBB42_1990:
	s_or_b64 exec, exec, s[6:7]
	s_and_saveexec_b64 s[6:7], s[4:5]
	s_cbranch_execz .LBB42_1992
.LBB42_1991:
	v_and_b32_e32 v1, 7, v2
	v_ffbh_u32_e32 v5, v1
	v_min_u32_e32 v5, 32, v5
	v_lshrrev_b16_e32 v4, 3, v2
	v_subrev_u32_e32 v8, 28, v5
	v_and_b32_e32 v4, 15, v4
	v_lshlrev_b32_e32 v8, v8, v2
	v_sub_u32_e32 v5, 29, v5
	v_and_b32_e32 v8, 7, v8
	v_cmp_eq_u16_e32 vcc, 0, v4
	v_cndmask_b32_e32 v1, v1, v8, vcc
	v_cndmask_b32_e32 v4, v4, v5, vcc
	v_lshlrev_b32_e32 v5, 24, v2
	v_mov_b32_e32 v8, 0x3b800000
	v_lshlrev_b32_e32 v1, 20, v1
	v_and_b32_e32 v5, 0x80000000, v5
	v_lshl_add_u32 v4, v4, 23, v8
	v_or3_b32 v1, v5, v4, v1
.LBB42_1992:
	s_or_b64 exec, exec, s[6:7]
	s_nop 0
	v_mfma_f32_16x16x4f32 a[0:3], v0, v1, a[0:3]
	v_lshrrev_b32_e32 v1, 8, v6
	s_movk_i32 s4, 0x7f
	v_cmp_gt_i16_sdwa s[6:7], v1, s4 src0_sel:BYTE_0 src1_sel:DWORD
	s_mov_b64 s[4:5], 0
                                        ; implicit-def: $sgpr10
	s_and_saveexec_b64 s[8:9], s[6:7]
	s_xor_b64 s[6:7], exec, s[8:9]
	s_cbranch_execnz .LBB42_4041
; %bb.1993:
	s_or_saveexec_b64 s[6:7], s[6:7]
	v_mov_b32_e32 v0, s10
	s_xor_b64 exec, exec, s[6:7]
	s_cbranch_execnz .LBB42_4044
.LBB42_1994:
	s_or_b64 exec, exec, s[6:7]
	s_and_saveexec_b64 s[6:7], s[4:5]
	s_cbranch_execz .LBB42_1996
.LBB42_1995:
	v_bfe_u32 v0, v6, 8, 3
	v_ffbh_u32_e32 v5, v0
	v_min_u32_e32 v5, 32, v5
	v_lshrrev_b16_e32 v4, 3, v1
	v_subrev_u32_e32 v8, 28, v5
	v_and_b32_e32 v4, 15, v4
	v_lshlrev_b32_e32 v1, v8, v1
	v_sub_u32_e32 v5, 29, v5
	v_and_b32_e32 v1, 7, v1
	v_cmp_eq_u16_e32 vcc, 0, v4
	v_cndmask_b32_e32 v0, v0, v1, vcc
	v_cndmask_b32_e32 v1, v4, v5, vcc
	v_lshlrev_b32_e32 v4, 16, v6
	v_mov_b32_e32 v5, 0x3b800000
	v_lshlrev_b32_e32 v0, 20, v0
	v_and_b32_e32 v4, 0x80000000, v4
	v_lshl_add_u32 v1, v1, 23, v5
	v_or3_b32 v0, v4, v1, v0
.LBB42_1996:
	s_or_b64 exec, exec, s[6:7]
	v_lshrrev_b32_e32 v1, 8, v2
	s_movk_i32 s4, 0x7f
	v_cmp_gt_i16_sdwa s[6:7], v1, s4 src0_sel:BYTE_0 src1_sel:DWORD
	s_mov_b64 s[4:5], 0
                                        ; implicit-def: $sgpr10
	s_and_saveexec_b64 s[8:9], s[6:7]
	s_xor_b64 s[6:7], exec, s[8:9]
	s_cbranch_execnz .LBB42_4045
; %bb.1997:
	s_or_saveexec_b64 s[6:7], s[6:7]
	v_mov_b32_e32 v4, s10
	s_xor_b64 exec, exec, s[6:7]
	s_cbranch_execnz .LBB42_4048
.LBB42_1998:
	s_or_b64 exec, exec, s[6:7]
	s_and_saveexec_b64 s[6:7], s[4:5]
	s_cbranch_execz .LBB42_2000
.LBB42_1999:
	v_bfe_u32 v4, v2, 8, 3
	v_ffbh_u32_e32 v8, v4
	v_min_u32_e32 v8, 32, v8
	v_lshrrev_b16_e32 v5, 3, v1
	v_subrev_u32_e32 v9, 28, v8
	v_and_b32_e32 v5, 15, v5
	v_lshlrev_b32_e32 v1, v9, v1
	v_sub_u32_e32 v8, 29, v8
	v_and_b32_e32 v1, 7, v1
	v_cmp_eq_u16_e32 vcc, 0, v5
	v_cndmask_b32_e32 v1, v4, v1, vcc
	v_cndmask_b32_e32 v4, v5, v8, vcc
	v_lshlrev_b32_e32 v5, 16, v2
	v_mov_b32_e32 v8, 0x3b800000
	v_lshlrev_b32_e32 v1, 20, v1
	v_and_b32_e32 v5, 0x80000000, v5
	v_lshl_add_u32 v4, v4, 23, v8
	v_or3_b32 v4, v5, v4, v1
.LBB42_2000:
	s_or_b64 exec, exec, s[6:7]
	s_nop 0
	v_mfma_f32_16x16x4f32 a[0:3], v0, v4, a[0:3]
	s_movk_i32 s4, 0xff
	v_and_b32_sdwa v1, v6, s4 dst_sel:DWORD dst_unused:UNUSED_PAD src0_sel:WORD_1 src1_sel:DWORD
	s_movk_i32 s4, 0x7f
	v_cmp_lt_i16_e32 vcc, s4, v1
	s_mov_b64 s[4:5], 0
                                        ; implicit-def: $sgpr10
	s_and_saveexec_b64 s[6:7], vcc
	s_xor_b64 s[6:7], exec, s[6:7]
	s_cbranch_execnz .LBB42_4049
; %bb.2001:
	s_or_saveexec_b64 s[6:7], s[6:7]
	v_mov_b32_e32 v0, s10
	s_xor_b64 exec, exec, s[6:7]
	s_cbranch_execnz .LBB42_4052
.LBB42_2002:
	s_or_b64 exec, exec, s[6:7]
	s_and_saveexec_b64 s[6:7], s[4:5]
	s_cbranch_execz .LBB42_2004
.LBB42_2003:
	v_bfe_u32 v0, v6, 16, 3
	v_ffbh_u32_e32 v5, v0
	v_min_u32_e32 v5, 32, v5
	v_lshrrev_b32_e32 v1, 19, v6
	v_subrev_u32_e32 v8, 28, v5
	v_and_b32_e32 v1, 15, v1
	v_lshlrev_b32_sdwa v8, v8, v6 dst_sel:DWORD dst_unused:UNUSED_PAD src0_sel:DWORD src1_sel:WORD_1
	v_bfe_u32 v4, v6, 19, 4
	v_sub_u32_e32 v5, 29, v5
	v_and_b32_e32 v8, 7, v8
	v_cmp_eq_u16_e32 vcc, 0, v1
	v_cndmask_b32_e32 v0, v0, v8, vcc
	v_cndmask_b32_e32 v1, v4, v5, vcc
	v_lshlrev_b32_e32 v4, 8, v6
	v_mov_b32_e32 v5, 0x3b800000
	v_lshlrev_b32_e32 v0, 20, v0
	v_and_b32_e32 v4, 0x80000000, v4
	v_lshl_add_u32 v1, v1, 23, v5
	v_or3_b32 v0, v4, v1, v0
.LBB42_2004:
	s_or_b64 exec, exec, s[6:7]
	s_movk_i32 s4, 0xff
	v_and_b32_sdwa v1, v2, s4 dst_sel:DWORD dst_unused:UNUSED_PAD src0_sel:WORD_1 src1_sel:DWORD
	s_movk_i32 s4, 0x7f
	v_cmp_lt_i16_e32 vcc, s4, v1
	s_mov_b64 s[4:5], 0
                                        ; implicit-def: $sgpr10
	s_and_saveexec_b64 s[6:7], vcc
	s_xor_b64 s[6:7], exec, s[6:7]
	s_cbranch_execnz .LBB42_4053
; %bb.2005:
	s_or_saveexec_b64 s[6:7], s[6:7]
	v_mov_b32_e32 v4, s10
	s_xor_b64 exec, exec, s[6:7]
	s_cbranch_execnz .LBB42_4056
.LBB42_2006:
	s_or_b64 exec, exec, s[6:7]
	s_and_saveexec_b64 s[6:7], s[4:5]
	s_cbranch_execz .LBB42_2008
.LBB42_2007:
	v_bfe_u32 v1, v2, 16, 3
	v_ffbh_u32_e32 v8, v1
	v_min_u32_e32 v8, 32, v8
	v_lshrrev_b32_e32 v4, 19, v2
	v_subrev_u32_e32 v9, 28, v8
	v_and_b32_e32 v4, 15, v4
	v_lshlrev_b32_sdwa v9, v9, v2 dst_sel:DWORD dst_unused:UNUSED_PAD src0_sel:DWORD src1_sel:WORD_1
	v_bfe_u32 v5, v2, 19, 4
	v_sub_u32_e32 v8, 29, v8
	v_and_b32_e32 v9, 7, v9
	v_cmp_eq_u16_e32 vcc, 0, v4
	v_cndmask_b32_e32 v1, v1, v9, vcc
	v_cndmask_b32_e32 v4, v5, v8, vcc
	v_lshlrev_b32_e32 v5, 8, v2
	v_mov_b32_e32 v8, 0x3b800000
	v_lshlrev_b32_e32 v1, 20, v1
	v_and_b32_e32 v5, 0x80000000, v5
	v_lshl_add_u32 v4, v4, 23, v8
	v_or3_b32 v4, v5, v4, v1
.LBB42_2008:
	s_or_b64 exec, exec, s[6:7]
	s_nop 0
	v_mfma_f32_16x16x4f32 a[0:3], v0, v4, a[0:3]
	s_movk_i32 s4, 0x7f
	v_cmp_gt_i16_sdwa s[6:7], v6, s4 src0_sel:BYTE_3 src1_sel:DWORD
	s_mov_b64 s[4:5], 0
                                        ; implicit-def: $sgpr10
	s_and_saveexec_b64 s[8:9], s[6:7]
	s_xor_b64 s[6:7], exec, s[8:9]
	s_cbranch_execnz .LBB42_4057
; %bb.2009:
	s_or_saveexec_b64 s[6:7], s[6:7]
	v_mov_b32_e32 v0, s10
	s_xor_b64 exec, exec, s[6:7]
	s_cbranch_execnz .LBB42_4060
.LBB42_2010:
	s_or_b64 exec, exec, s[6:7]
	s_and_saveexec_b64 s[6:7], s[4:5]
	s_cbranch_execz .LBB42_2012
.LBB42_2011:
	v_bfe_u32 v0, v6, 24, 3
	v_ffbh_u32_e32 v8, v0
	v_min_u32_e32 v8, 32, v8
	v_lshrrev_b32_e32 v4, 27, v6
	v_subrev_u32_e32 v9, 28, v8
	v_and_b32_e32 v1, 0x80000000, v6
	v_and_b32_e32 v4, 15, v4
	v_bfe_u32 v5, v6, 27, 4
	v_lshlrev_b32_sdwa v6, v9, v6 dst_sel:DWORD dst_unused:UNUSED_PAD src0_sel:DWORD src1_sel:BYTE_3
	v_sub_u32_e32 v8, 29, v8
	v_and_b32_e32 v6, 7, v6
	v_cmp_eq_u16_e32 vcc, 0, v4
	v_cndmask_b32_e32 v0, v0, v6, vcc
	v_cndmask_b32_e32 v4, v5, v8, vcc
	v_mov_b32_e32 v5, 0x3b800000
	v_lshlrev_b32_e32 v0, 20, v0
	v_lshl_add_u32 v4, v4, 23, v5
	v_or3_b32 v0, v1, v4, v0
.LBB42_2012:
	s_or_b64 exec, exec, s[6:7]
	s_movk_i32 s4, 0x7f
	v_cmp_gt_i16_sdwa s[6:7], v2, s4 src0_sel:BYTE_3 src1_sel:DWORD
	s_mov_b64 s[4:5], 0
                                        ; implicit-def: $sgpr10
	s_and_saveexec_b64 s[8:9], s[6:7]
	s_xor_b64 s[6:7], exec, s[8:9]
	s_cbranch_execnz .LBB42_4061
; %bb.2013:
	s_or_saveexec_b64 s[6:7], s[6:7]
	v_mov_b32_e32 v1, s10
	s_xor_b64 exec, exec, s[6:7]
	s_cbranch_execnz .LBB42_4064
.LBB42_2014:
	s_or_b64 exec, exec, s[6:7]
	s_and_saveexec_b64 s[6:7], s[4:5]
	s_cbranch_execz .LBB42_2016
.LBB42_2015:
	v_bfe_u32 v1, v2, 24, 3
	v_ffbh_u32_e32 v8, v1
	v_min_u32_e32 v8, 32, v8
	v_lshrrev_b32_e32 v5, 27, v2
	v_subrev_u32_e32 v9, 28, v8
	v_and_b32_e32 v4, 0x80000000, v2
	v_and_b32_e32 v5, 15, v5
	v_bfe_u32 v6, v2, 27, 4
	v_lshlrev_b32_sdwa v2, v9, v2 dst_sel:DWORD dst_unused:UNUSED_PAD src0_sel:DWORD src1_sel:BYTE_3
	v_sub_u32_e32 v8, 29, v8
	v_and_b32_e32 v2, 7, v2
	v_cmp_eq_u16_e32 vcc, 0, v5
	v_cndmask_b32_e32 v1, v1, v2, vcc
	v_cndmask_b32_e32 v2, v6, v8, vcc
	v_mov_b32_e32 v5, 0x3b800000
	v_lshlrev_b32_e32 v1, 20, v1
	v_lshl_add_u32 v2, v2, 23, v5
	v_or3_b32 v1, v4, v2, v1
.LBB42_2016:
	s_or_b64 exec, exec, s[6:7]
	s_nop 0
	v_mfma_f32_16x16x4f32 a[0:3], v0, v1, a[0:3]
	s_movk_i32 s4, 0x7f
	v_cmp_gt_i16_sdwa s[6:7], v7, s4 src0_sel:BYTE_0 src1_sel:DWORD
	s_mov_b64 s[4:5], 0
                                        ; implicit-def: $sgpr10
	s_and_saveexec_b64 s[8:9], s[6:7]
	s_xor_b64 s[6:7], exec, s[8:9]
	s_cbranch_execnz .LBB42_4065
; %bb.2017:
	s_or_saveexec_b64 s[6:7], s[6:7]
	v_mov_b32_e32 v0, s10
	s_xor_b64 exec, exec, s[6:7]
	s_cbranch_execnz .LBB42_4068
.LBB42_2018:
	s_or_b64 exec, exec, s[6:7]
	s_and_saveexec_b64 s[6:7], s[4:5]
	s_cbranch_execz .LBB42_2020
.LBB42_2019:
	v_mov_b32_e32 v0, 8
	v_and_b32_e32 v1, 7, v7
	v_lshrrev_b32_sdwa v0, v0, v7 dst_sel:BYTE_1 dst_unused:UNUSED_PAD src0_sel:DWORD src1_sel:DWORD
	v_ffbh_u32_e32 v2, v1
	v_or_b32_sdwa v0, v7, v0 dst_sel:DWORD dst_unused:UNUSED_PAD src0_sel:BYTE_0 src1_sel:DWORD
	v_min_u32_e32 v2, 32, v2
	v_lshrrev_b16_e32 v0, 3, v0
	v_subrev_u32_e32 v4, 28, v2
	v_and_b32_e32 v0, 15, v0
	v_lshlrev_b32_e32 v4, v4, v7
	v_sub_u32_e32 v2, 29, v2
	v_and_b32_e32 v4, 7, v4
	v_cmp_eq_u16_e32 vcc, 0, v0
	v_cndmask_b32_e32 v1, v1, v4, vcc
	v_cndmask_b32_e32 v0, v0, v2, vcc
	v_lshlrev_b32_e32 v2, 24, v7
	v_mov_b32_e32 v4, 0x3b800000
	v_lshlrev_b32_e32 v1, 20, v1
	v_and_b32_e32 v2, 0x80000000, v2
	v_lshl_add_u32 v0, v0, 23, v4
	v_or3_b32 v0, v2, v0, v1
.LBB42_2020:
	s_or_b64 exec, exec, s[6:7]
	s_movk_i32 s4, 0x7f
	v_cmp_gt_i16_sdwa s[6:7], v3, s4 src0_sel:BYTE_0 src1_sel:DWORD
	s_mov_b64 s[4:5], 0
                                        ; implicit-def: $sgpr10
	s_and_saveexec_b64 s[8:9], s[6:7]
	s_xor_b64 s[6:7], exec, s[8:9]
	s_cbranch_execnz .LBB42_4069
; %bb.2021:
	s_or_saveexec_b64 s[6:7], s[6:7]
	v_mov_b32_e32 v1, s10
	s_xor_b64 exec, exec, s[6:7]
	s_cbranch_execnz .LBB42_4072
.LBB42_2022:
	s_or_b64 exec, exec, s[6:7]
	s_and_saveexec_b64 s[6:7], s[4:5]
	s_cbranch_execz .LBB42_2024
.LBB42_2023:
	v_mov_b32_e32 v1, 8
	v_and_b32_e32 v2, 7, v3
	v_lshrrev_b32_sdwa v1, v1, v3 dst_sel:BYTE_1 dst_unused:UNUSED_PAD src0_sel:DWORD src1_sel:DWORD
	v_ffbh_u32_e32 v4, v2
	v_or_b32_sdwa v1, v3, v1 dst_sel:DWORD dst_unused:UNUSED_PAD src0_sel:BYTE_0 src1_sel:DWORD
	v_min_u32_e32 v4, 32, v4
	v_lshrrev_b16_e32 v1, 3, v1
	v_subrev_u32_e32 v5, 28, v4
	v_and_b32_e32 v1, 15, v1
	v_lshlrev_b32_e32 v5, v5, v3
	v_sub_u32_e32 v4, 29, v4
	v_and_b32_e32 v5, 7, v5
	v_cmp_eq_u16_e32 vcc, 0, v1
	v_cndmask_b32_e32 v2, v2, v5, vcc
	v_cndmask_b32_e32 v1, v1, v4, vcc
	v_lshlrev_b32_e32 v4, 24, v3
	v_mov_b32_e32 v5, 0x3b800000
	v_lshlrev_b32_e32 v2, 20, v2
	v_and_b32_e32 v4, 0x80000000, v4
	v_lshl_add_u32 v1, v1, 23, v5
	v_or3_b32 v1, v4, v1, v2
.LBB42_2024:
	s_or_b64 exec, exec, s[6:7]
	s_nop 0
	v_mfma_f32_16x16x4f32 a[0:3], v0, v1, a[0:3]
	v_lshrrev_b32_e32 v1, 8, v7
	s_movk_i32 s4, 0x7f
	v_cmp_gt_i16_sdwa s[6:7], v1, s4 src0_sel:BYTE_0 src1_sel:DWORD
	s_mov_b64 s[4:5], 0
                                        ; implicit-def: $sgpr10
	s_and_saveexec_b64 s[8:9], s[6:7]
	s_xor_b64 s[6:7], exec, s[8:9]
	s_cbranch_execnz .LBB42_4073
; %bb.2025:
	s_or_saveexec_b64 s[6:7], s[6:7]
	v_mov_b32_e32 v0, s10
	s_xor_b64 exec, exec, s[6:7]
	s_cbranch_execnz .LBB42_4076
.LBB42_2026:
	s_or_b64 exec, exec, s[6:7]
	s_and_saveexec_b64 s[6:7], s[4:5]
	s_cbranch_execz .LBB42_2028
.LBB42_2027:
	v_bfe_u32 v0, v7, 8, 3
	v_ffbh_u32_e32 v4, v0
	v_min_u32_e32 v4, 32, v4
	v_lshrrev_b16_e32 v2, 3, v1
	v_subrev_u32_e32 v5, 28, v4
	v_and_b32_e32 v2, 15, v2
	v_lshlrev_b32_e32 v1, v5, v1
	v_sub_u32_e32 v4, 29, v4
	v_and_b32_e32 v1, 7, v1
	v_cmp_eq_u16_e32 vcc, 0, v2
	v_cndmask_b32_e32 v0, v0, v1, vcc
	v_cndmask_b32_e32 v1, v2, v4, vcc
	v_lshlrev_b32_e32 v2, 16, v7
	v_mov_b32_e32 v4, 0x3b800000
	v_lshlrev_b32_e32 v0, 20, v0
	v_and_b32_e32 v2, 0x80000000, v2
	v_lshl_add_u32 v1, v1, 23, v4
	v_or3_b32 v0, v2, v1, v0
.LBB42_2028:
	s_or_b64 exec, exec, s[6:7]
	v_lshrrev_b32_e32 v1, 8, v3
	s_movk_i32 s4, 0x7f
	v_cmp_gt_i16_sdwa s[6:7], v1, s4 src0_sel:BYTE_0 src1_sel:DWORD
	s_mov_b64 s[4:5], 0
                                        ; implicit-def: $sgpr10
	s_and_saveexec_b64 s[8:9], s[6:7]
	s_xor_b64 s[6:7], exec, s[8:9]
	s_cbranch_execnz .LBB42_4077
; %bb.2029:
	s_or_saveexec_b64 s[6:7], s[6:7]
	v_mov_b32_e32 v2, s10
	s_xor_b64 exec, exec, s[6:7]
	s_cbranch_execnz .LBB42_4080
.LBB42_2030:
	s_or_b64 exec, exec, s[6:7]
	s_and_saveexec_b64 s[6:7], s[4:5]
	s_cbranch_execz .LBB42_2032
.LBB42_2031:
	v_bfe_u32 v2, v3, 8, 3
	v_ffbh_u32_e32 v5, v2
	v_min_u32_e32 v5, 32, v5
	v_lshrrev_b16_e32 v4, 3, v1
	v_subrev_u32_e32 v6, 28, v5
	v_and_b32_e32 v4, 15, v4
	v_lshlrev_b32_e32 v1, v6, v1
	v_sub_u32_e32 v5, 29, v5
	v_and_b32_e32 v1, 7, v1
	v_cmp_eq_u16_e32 vcc, 0, v4
	v_cndmask_b32_e32 v1, v2, v1, vcc
	v_cndmask_b32_e32 v2, v4, v5, vcc
	v_lshlrev_b32_e32 v4, 16, v3
	v_mov_b32_e32 v5, 0x3b800000
	v_lshlrev_b32_e32 v1, 20, v1
	v_and_b32_e32 v4, 0x80000000, v4
	v_lshl_add_u32 v2, v2, 23, v5
	v_or3_b32 v2, v4, v2, v1
.LBB42_2032:
	s_or_b64 exec, exec, s[6:7]
	s_nop 0
	v_mfma_f32_16x16x4f32 a[0:3], v0, v2, a[0:3]
	s_movk_i32 s4, 0xff
	v_and_b32_sdwa v1, v7, s4 dst_sel:DWORD dst_unused:UNUSED_PAD src0_sel:WORD_1 src1_sel:DWORD
	s_movk_i32 s4, 0x7f
	v_cmp_lt_i16_e32 vcc, s4, v1
	s_mov_b64 s[4:5], 0
                                        ; implicit-def: $sgpr10
	s_and_saveexec_b64 s[6:7], vcc
	s_xor_b64 s[6:7], exec, s[6:7]
	s_cbranch_execnz .LBB42_4081
; %bb.2033:
	s_or_saveexec_b64 s[6:7], s[6:7]
	v_mov_b32_e32 v0, s10
	s_xor_b64 exec, exec, s[6:7]
	s_cbranch_execnz .LBB42_4084
.LBB42_2034:
	s_or_b64 exec, exec, s[6:7]
	s_and_saveexec_b64 s[6:7], s[4:5]
	s_cbranch_execz .LBB42_2036
.LBB42_2035:
	v_bfe_u32 v0, v7, 16, 3
	v_ffbh_u32_e32 v4, v0
	v_min_u32_e32 v4, 32, v4
	v_lshrrev_b32_e32 v1, 19, v7
	v_subrev_u32_e32 v5, 28, v4
	v_and_b32_e32 v1, 15, v1
	v_lshlrev_b32_sdwa v5, v5, v7 dst_sel:DWORD dst_unused:UNUSED_PAD src0_sel:DWORD src1_sel:WORD_1
	v_bfe_u32 v2, v7, 19, 4
	v_sub_u32_e32 v4, 29, v4
	v_and_b32_e32 v5, 7, v5
	v_cmp_eq_u16_e32 vcc, 0, v1
	v_cndmask_b32_e32 v0, v0, v5, vcc
	v_cndmask_b32_e32 v1, v2, v4, vcc
	v_lshlrev_b32_e32 v2, 8, v7
	v_mov_b32_e32 v4, 0x3b800000
	v_lshlrev_b32_e32 v0, 20, v0
	v_and_b32_e32 v2, 0x80000000, v2
	v_lshl_add_u32 v1, v1, 23, v4
	v_or3_b32 v0, v2, v1, v0
.LBB42_2036:
	s_or_b64 exec, exec, s[6:7]
	s_movk_i32 s4, 0xff
	v_and_b32_sdwa v1, v3, s4 dst_sel:DWORD dst_unused:UNUSED_PAD src0_sel:WORD_1 src1_sel:DWORD
	s_movk_i32 s4, 0x7f
	v_cmp_lt_i16_e32 vcc, s4, v1
	s_mov_b64 s[4:5], 0
                                        ; implicit-def: $sgpr10
	s_and_saveexec_b64 s[6:7], vcc
	s_xor_b64 s[6:7], exec, s[6:7]
	s_cbranch_execnz .LBB42_4085
; %bb.2037:
	s_or_saveexec_b64 s[6:7], s[6:7]
	v_mov_b32_e32 v2, s10
	s_xor_b64 exec, exec, s[6:7]
	s_cbranch_execnz .LBB42_4088
.LBB42_2038:
	s_or_b64 exec, exec, s[6:7]
	s_and_saveexec_b64 s[6:7], s[4:5]
	s_cbranch_execz .LBB42_2040
.LBB42_2039:
	v_bfe_u32 v1, v3, 16, 3
	v_ffbh_u32_e32 v5, v1
	v_min_u32_e32 v5, 32, v5
	v_lshrrev_b32_e32 v2, 19, v3
	v_subrev_u32_e32 v6, 28, v5
	v_and_b32_e32 v2, 15, v2
	v_lshlrev_b32_sdwa v6, v6, v3 dst_sel:DWORD dst_unused:UNUSED_PAD src0_sel:DWORD src1_sel:WORD_1
	v_bfe_u32 v4, v3, 19, 4
	v_sub_u32_e32 v5, 29, v5
	v_and_b32_e32 v6, 7, v6
	v_cmp_eq_u16_e32 vcc, 0, v2
	v_cndmask_b32_e32 v1, v1, v6, vcc
	v_cndmask_b32_e32 v2, v4, v5, vcc
	v_lshlrev_b32_e32 v4, 8, v3
	v_mov_b32_e32 v5, 0x3b800000
	v_lshlrev_b32_e32 v1, 20, v1
	v_and_b32_e32 v4, 0x80000000, v4
	v_lshl_add_u32 v2, v2, 23, v5
	v_or3_b32 v2, v4, v2, v1
.LBB42_2040:
	s_or_b64 exec, exec, s[6:7]
	s_nop 0
	v_mfma_f32_16x16x4f32 a[0:3], v0, v2, a[0:3]
	s_movk_i32 s4, 0x7f
	v_cmp_gt_i16_sdwa s[6:7], v7, s4 src0_sel:BYTE_3 src1_sel:DWORD
	s_mov_b64 s[4:5], 0
                                        ; implicit-def: $sgpr10
	s_and_saveexec_b64 s[8:9], s[6:7]
	s_xor_b64 s[6:7], exec, s[8:9]
	s_cbranch_execnz .LBB42_4089
; %bb.2041:
	s_or_saveexec_b64 s[6:7], s[6:7]
	v_mov_b32_e32 v0, s10
	s_xor_b64 exec, exec, s[6:7]
	s_cbranch_execnz .LBB42_4092
.LBB42_2042:
	s_or_b64 exec, exec, s[6:7]
	s_and_saveexec_b64 s[6:7], s[4:5]
	s_cbranch_execz .LBB42_2044
.LBB42_2043:
	v_bfe_u32 v0, v7, 24, 3
	v_ffbh_u32_e32 v5, v0
	v_min_u32_e32 v5, 32, v5
	v_lshrrev_b32_e32 v2, 27, v7
	v_subrev_u32_e32 v6, 28, v5
	v_and_b32_e32 v2, 15, v2
	v_lshlrev_b32_sdwa v6, v6, v7 dst_sel:DWORD dst_unused:UNUSED_PAD src0_sel:DWORD src1_sel:BYTE_3
	v_bfe_u32 v4, v7, 27, 4
	v_sub_u32_e32 v5, 29, v5
	v_and_b32_e32 v6, 7, v6
	v_cmp_eq_u16_e32 vcc, 0, v2
	v_cndmask_b32_e32 v0, v0, v6, vcc
	v_cndmask_b32_e32 v2, v4, v5, vcc
	v_mov_b32_e32 v4, 0x3b800000
	v_and_b32_e32 v1, 0x80000000, v7
	v_lshlrev_b32_e32 v0, 20, v0
	v_lshl_add_u32 v2, v2, 23, v4
	v_or3_b32 v0, v1, v2, v0
.LBB42_2044:
	s_or_b64 exec, exec, s[6:7]
	s_movk_i32 s4, 0x7f
	v_cmp_gt_i16_sdwa s[6:7], v3, s4 src0_sel:BYTE_3 src1_sel:DWORD
	s_mov_b64 s[4:5], 0
                                        ; implicit-def: $sgpr10
	s_and_saveexec_b64 s[8:9], s[6:7]
	s_xor_b64 s[6:7], exec, s[8:9]
	s_cbranch_execnz .LBB42_4093
; %bb.2045:
	s_or_saveexec_b64 s[6:7], s[6:7]
	v_mov_b32_e32 v1, s10
	s_xor_b64 exec, exec, s[6:7]
	s_cbranch_execnz .LBB42_4096
.LBB42_2046:
	s_or_b64 exec, exec, s[6:7]
	s_and_saveexec_b64 s[6:7], s[4:5]
	s_cbranch_execz .LBB42_2048
.LBB42_2047:
	v_bfe_u32 v1, v3, 24, 3
	v_ffbh_u32_e32 v6, v1
	v_min_u32_e32 v6, 32, v6
	v_lshrrev_b32_e32 v4, 27, v3
	v_subrev_u32_e32 v7, 28, v6
	v_and_b32_e32 v2, 0x80000000, v3
	v_and_b32_e32 v4, 15, v4
	v_bfe_u32 v5, v3, 27, 4
	v_lshlrev_b32_sdwa v3, v7, v3 dst_sel:DWORD dst_unused:UNUSED_PAD src0_sel:DWORD src1_sel:BYTE_3
	v_sub_u32_e32 v6, 29, v6
	v_and_b32_e32 v3, 7, v3
	v_cmp_eq_u16_e32 vcc, 0, v4
	v_cndmask_b32_e32 v1, v1, v3, vcc
	v_cndmask_b32_e32 v3, v5, v6, vcc
	v_mov_b32_e32 v4, 0x3b800000
	v_lshlrev_b32_e32 v1, 20, v1
	v_lshl_add_u32 v3, v3, 23, v4
	v_or3_b32 v1, v2, v3, v1
.LBB42_2048:
	s_or_b64 exec, exec, s[6:7]
	s_nop 0
	v_mfma_f32_16x16x4f32 a[0:3], v0, v1, a[0:3]
	s_nop 7
	s_nop 2
	flat_store_dwordx4 v[16:17], a[0:3] offset:880
	s_waitcnt vmcnt(0) lgkmcnt(0)
	s_setpc_b64 s[30:31]
.LBB42_2049:
	s_movk_i32 s4, 0x80
	v_cmp_eq_u16_sdwa s[12:13], v14, s4 src0_sel:BYTE_0 src1_sel:DWORD
	s_mov_b64 s[4:5], -1
                                        ; implicit-def: $sgpr10
	s_and_saveexec_b64 s[8:9], s[12:13]
; %bb.2050:
	s_mov_b32 s10, 0x7f800001
	s_xor_b64 s[4:5], exec, -1
; %bb.2051:
	s_or_b64 exec, exec, s[8:9]
	s_and_b64 s[4:5], s[4:5], exec
	s_or_saveexec_b64 s[6:7], s[6:7]
	v_mov_b32_e32 v20, s10
	s_xor_b64 exec, exec, s[6:7]
	s_cbranch_execz .LBB42_2
.LBB42_2052:
	v_mov_b32_e32 v20, 0
	v_cmp_ne_u16_sdwa s[8:9], v14, v20 src0_sel:BYTE_0 src1_sel:DWORD
	s_andn2_b64 s[4:5], s[4:5], exec
	s_and_b64 s[8:9], s[8:9], exec
	s_or_b64 s[4:5], s[4:5], s[8:9]
	s_or_b64 exec, exec, s[6:7]
	s_and_saveexec_b64 s[6:7], s[4:5]
	s_cbranch_execnz .LBB42_3
	s_branch .LBB42_4
.LBB42_2053:
	s_movk_i32 s4, 0x80
	v_cmp_eq_u16_sdwa s[12:13], v10, s4 src0_sel:BYTE_0 src1_sel:DWORD
	s_mov_b64 s[4:5], -1
                                        ; implicit-def: $sgpr10
	s_and_saveexec_b64 s[8:9], s[12:13]
; %bb.2054:
	s_mov_b32 s10, 0x7f800001
	s_xor_b64 s[4:5], exec, -1
; %bb.2055:
	s_or_b64 exec, exec, s[8:9]
	s_and_b64 s[4:5], s[4:5], exec
	s_or_saveexec_b64 s[6:7], s[6:7]
	v_mov_b32_e32 v21, s10
	s_xor_b64 exec, exec, s[6:7]
	s_cbranch_execz .LBB42_6
.LBB42_2056:
	v_mov_b32_e32 v21, 0
	v_cmp_ne_u16_sdwa s[8:9], v10, v21 src0_sel:BYTE_0 src1_sel:DWORD
	s_andn2_b64 s[4:5], s[4:5], exec
	s_and_b64 s[8:9], s[8:9], exec
	s_or_b64 s[4:5], s[4:5], s[8:9]
	s_or_b64 exec, exec, s[6:7]
	s_and_saveexec_b64 s[6:7], s[4:5]
	s_cbranch_execnz .LBB42_7
	s_branch .LBB42_8
.LBB42_2057:
	s_movk_i32 s4, 0x80
	v_cmp_eq_u16_sdwa s[12:13], v21, s4 src0_sel:BYTE_0 src1_sel:DWORD
	s_mov_b64 s[4:5], -1
                                        ; implicit-def: $sgpr10
	s_and_saveexec_b64 s[8:9], s[12:13]
; %bb.2058:
	s_mov_b32 s10, 0x7f800001
	s_xor_b64 s[4:5], exec, -1
; %bb.2059:
	s_or_b64 exec, exec, s[8:9]
	s_and_b64 s[4:5], s[4:5], exec
	s_or_saveexec_b64 s[6:7], s[6:7]
	v_mov_b32_e32 v20, s10
	s_xor_b64 exec, exec, s[6:7]
	s_cbranch_execz .LBB42_10
.LBB42_2060:
	v_mov_b32_e32 v20, 0
	v_cmp_ne_u16_sdwa s[8:9], v21, v20 src0_sel:BYTE_0 src1_sel:DWORD
	s_andn2_b64 s[4:5], s[4:5], exec
	s_and_b64 s[8:9], s[8:9], exec
	s_or_b64 s[4:5], s[4:5], s[8:9]
	s_or_b64 exec, exec, s[6:7]
	s_and_saveexec_b64 s[6:7], s[4:5]
	s_cbranch_execnz .LBB42_11
	s_branch .LBB42_12
.LBB42_2061:
	s_movk_i32 s4, 0x80
	v_cmp_eq_u16_sdwa s[12:13], v21, s4 src0_sel:BYTE_0 src1_sel:DWORD
	s_mov_b64 s[4:5], -1
                                        ; implicit-def: $sgpr10
	s_and_saveexec_b64 s[8:9], s[12:13]
; %bb.2062:
	s_mov_b32 s10, 0x7f800001
	s_xor_b64 s[4:5], exec, -1
; %bb.2063:
	s_or_b64 exec, exec, s[8:9]
	s_and_b64 s[4:5], s[4:5], exec
	s_or_saveexec_b64 s[6:7], s[6:7]
	v_mov_b32_e32 v22, s10
	s_xor_b64 exec, exec, s[6:7]
	s_cbranch_execz .LBB42_14
.LBB42_2064:
	v_mov_b32_e32 v22, 0
	v_cmp_ne_u16_sdwa s[8:9], v21, v22 src0_sel:BYTE_0 src1_sel:DWORD
	s_andn2_b64 s[4:5], s[4:5], exec
	s_and_b64 s[8:9], s[8:9], exec
	s_or_b64 s[4:5], s[4:5], s[8:9]
	s_or_b64 exec, exec, s[6:7]
	s_and_saveexec_b64 s[6:7], s[4:5]
	s_cbranch_execnz .LBB42_15
	s_branch .LBB42_16
.LBB42_2065:
	s_movk_i32 s4, 0x80
	v_cmp_eq_u16_e32 vcc, s4, v21
	s_mov_b64 s[4:5], -1
                                        ; implicit-def: $sgpr10
	s_and_saveexec_b64 s[8:9], vcc
; %bb.2066:
	s_mov_b32 s10, 0x7f800001
	s_xor_b64 s[4:5], exec, -1
; %bb.2067:
	s_or_b64 exec, exec, s[8:9]
	s_and_b64 s[4:5], s[4:5], exec
                                        ; implicit-def: $vgpr21
	s_or_saveexec_b64 s[6:7], s[6:7]
	v_mov_b32_e32 v20, s10
	s_xor_b64 exec, exec, s[6:7]
	s_cbranch_execz .LBB42_18
.LBB42_2068:
	v_cmp_ne_u16_e32 vcc, 0, v21
	s_andn2_b64 s[4:5], s[4:5], exec
	s_and_b64 s[8:9], vcc, exec
	v_mov_b32_e32 v20, 0
	s_or_b64 s[4:5], s[4:5], s[8:9]
	s_or_b64 exec, exec, s[6:7]
	s_and_saveexec_b64 s[6:7], s[4:5]
	s_cbranch_execnz .LBB42_19
	s_branch .LBB42_20
.LBB42_2069:
	s_movk_i32 s4, 0x80
	v_cmp_eq_u16_e32 vcc, s4, v21
	s_mov_b64 s[4:5], -1
                                        ; implicit-def: $sgpr10
	s_and_saveexec_b64 s[8:9], vcc
; %bb.2070:
	s_mov_b32 s10, 0x7f800001
	s_xor_b64 s[4:5], exec, -1
; %bb.2071:
	s_or_b64 exec, exec, s[8:9]
	s_and_b64 s[4:5], s[4:5], exec
                                        ; implicit-def: $vgpr21
	s_or_saveexec_b64 s[6:7], s[6:7]
	v_mov_b32_e32 v22, s10
	s_xor_b64 exec, exec, s[6:7]
	s_cbranch_execz .LBB42_22
.LBB42_2072:
	v_cmp_ne_u16_e32 vcc, 0, v21
	s_andn2_b64 s[4:5], s[4:5], exec
	s_and_b64 s[8:9], vcc, exec
	v_mov_b32_e32 v22, 0
	s_or_b64 s[4:5], s[4:5], s[8:9]
	s_or_b64 exec, exec, s[6:7]
	s_and_saveexec_b64 s[6:7], s[4:5]
	s_cbranch_execnz .LBB42_23
	s_branch .LBB42_24
.LBB42_2073:
	s_movk_i32 s4, 0x80
	v_cmp_eq_u16_sdwa s[12:13], v14, s4 src0_sel:BYTE_3 src1_sel:DWORD
	s_mov_b64 s[4:5], -1
                                        ; implicit-def: $sgpr10
	s_and_saveexec_b64 s[8:9], s[12:13]
; %bb.2074:
	s_mov_b32 s10, 0x7f800001
	s_xor_b64 s[4:5], exec, -1
; %bb.2075:
	s_or_b64 exec, exec, s[8:9]
	s_and_b64 s[4:5], s[4:5], exec
	s_or_saveexec_b64 s[6:7], s[6:7]
	v_mov_b32_e32 v20, s10
	s_xor_b64 exec, exec, s[6:7]
	s_cbranch_execz .LBB42_26
.LBB42_2076:
	v_mov_b32_e32 v20, 0
	v_cmp_ne_u16_sdwa s[8:9], v14, v20 src0_sel:BYTE_3 src1_sel:DWORD
	s_andn2_b64 s[4:5], s[4:5], exec
	s_and_b64 s[8:9], s[8:9], exec
	s_or_b64 s[4:5], s[4:5], s[8:9]
	s_or_b64 exec, exec, s[6:7]
	s_and_saveexec_b64 s[6:7], s[4:5]
	s_cbranch_execnz .LBB42_27
	s_branch .LBB42_28
.LBB42_2077:
	s_movk_i32 s4, 0x80
	v_cmp_eq_u16_sdwa s[12:13], v10, s4 src0_sel:BYTE_3 src1_sel:DWORD
	s_mov_b64 s[4:5], -1
                                        ; implicit-def: $sgpr10
	s_and_saveexec_b64 s[8:9], s[12:13]
; %bb.2078:
	s_mov_b32 s10, 0x7f800001
	s_xor_b64 s[4:5], exec, -1
; %bb.2079:
	s_or_b64 exec, exec, s[8:9]
	s_and_b64 s[4:5], s[4:5], exec
	s_or_saveexec_b64 s[6:7], s[6:7]
	v_mov_b32_e32 v14, s10
	s_xor_b64 exec, exec, s[6:7]
	s_cbranch_execz .LBB42_30
.LBB42_2080:
	v_mov_b32_e32 v14, 0
	v_cmp_ne_u16_sdwa s[8:9], v10, v14 src0_sel:BYTE_3 src1_sel:DWORD
	s_andn2_b64 s[4:5], s[4:5], exec
	s_and_b64 s[8:9], s[8:9], exec
	s_or_b64 s[4:5], s[4:5], s[8:9]
	s_or_b64 exec, exec, s[6:7]
	s_and_saveexec_b64 s[6:7], s[4:5]
	s_cbranch_execnz .LBB42_31
	s_branch .LBB42_32
.LBB42_2081:
	s_movk_i32 s4, 0x80
	v_cmp_eq_u16_sdwa s[12:13], v15, s4 src0_sel:BYTE_0 src1_sel:DWORD
	s_mov_b64 s[4:5], -1
                                        ; implicit-def: $sgpr10
	s_and_saveexec_b64 s[8:9], s[12:13]
; %bb.2082:
	s_mov_b32 s10, 0x7f800001
	s_xor_b64 s[4:5], exec, -1
; %bb.2083:
	s_or_b64 exec, exec, s[8:9]
	s_and_b64 s[4:5], s[4:5], exec
	s_or_saveexec_b64 s[6:7], s[6:7]
	v_mov_b32_e32 v10, s10
	s_xor_b64 exec, exec, s[6:7]
	s_cbranch_execz .LBB42_34
.LBB42_2084:
	v_mov_b32_e32 v10, 0
	v_cmp_ne_u16_sdwa s[8:9], v15, v10 src0_sel:BYTE_0 src1_sel:DWORD
	s_andn2_b64 s[4:5], s[4:5], exec
	s_and_b64 s[8:9], s[8:9], exec
	s_or_b64 s[4:5], s[4:5], s[8:9]
	s_or_b64 exec, exec, s[6:7]
	s_and_saveexec_b64 s[6:7], s[4:5]
	s_cbranch_execnz .LBB42_35
	s_branch .LBB42_36
.LBB42_2085:
	s_movk_i32 s4, 0x80
	v_cmp_eq_u16_sdwa s[12:13], v11, s4 src0_sel:BYTE_0 src1_sel:DWORD
	s_mov_b64 s[4:5], -1
                                        ; implicit-def: $sgpr10
	s_and_saveexec_b64 s[8:9], s[12:13]
; %bb.2086:
	s_mov_b32 s10, 0x7f800001
	s_xor_b64 s[4:5], exec, -1
; %bb.2087:
	s_or_b64 exec, exec, s[8:9]
	s_and_b64 s[4:5], s[4:5], exec
	s_or_saveexec_b64 s[6:7], s[6:7]
	v_mov_b32_e32 v14, s10
	s_xor_b64 exec, exec, s[6:7]
	s_cbranch_execz .LBB42_38
.LBB42_2088:
	v_mov_b32_e32 v14, 0
	v_cmp_ne_u16_sdwa s[8:9], v11, v14 src0_sel:BYTE_0 src1_sel:DWORD
	s_andn2_b64 s[4:5], s[4:5], exec
	s_and_b64 s[8:9], s[8:9], exec
	s_or_b64 s[4:5], s[4:5], s[8:9]
	s_or_b64 exec, exec, s[6:7]
	s_and_saveexec_b64 s[6:7], s[4:5]
	s_cbranch_execnz .LBB42_39
	s_branch .LBB42_40
.LBB42_2089:
	s_movk_i32 s4, 0x80
	v_cmp_eq_u16_sdwa s[12:13], v14, s4 src0_sel:BYTE_0 src1_sel:DWORD
	s_mov_b64 s[4:5], -1
                                        ; implicit-def: $sgpr10
	s_and_saveexec_b64 s[8:9], s[12:13]
; %bb.2090:
	s_mov_b32 s10, 0x7f800001
	s_xor_b64 s[4:5], exec, -1
; %bb.2091:
	s_or_b64 exec, exec, s[8:9]
	s_and_b64 s[4:5], s[4:5], exec
	s_or_saveexec_b64 s[6:7], s[6:7]
	v_mov_b32_e32 v10, s10
	s_xor_b64 exec, exec, s[6:7]
	s_cbranch_execz .LBB42_42
.LBB42_2092:
	v_mov_b32_e32 v10, 0
	v_cmp_ne_u16_sdwa s[8:9], v14, v10 src0_sel:BYTE_0 src1_sel:DWORD
	s_andn2_b64 s[4:5], s[4:5], exec
	s_and_b64 s[8:9], s[8:9], exec
	s_or_b64 s[4:5], s[4:5], s[8:9]
	s_or_b64 exec, exec, s[6:7]
	s_and_saveexec_b64 s[6:7], s[4:5]
	s_cbranch_execnz .LBB42_43
	s_branch .LBB42_44
.LBB42_2093:
	s_movk_i32 s4, 0x80
	v_cmp_eq_u16_sdwa s[12:13], v14, s4 src0_sel:BYTE_0 src1_sel:DWORD
	s_mov_b64 s[4:5], -1
                                        ; implicit-def: $sgpr10
	s_and_saveexec_b64 s[8:9], s[12:13]
; %bb.2094:
	s_mov_b32 s10, 0x7f800001
	s_xor_b64 s[4:5], exec, -1
; %bb.2095:
	s_or_b64 exec, exec, s[8:9]
	s_and_b64 s[4:5], s[4:5], exec
	s_or_saveexec_b64 s[6:7], s[6:7]
	v_mov_b32_e32 v20, s10
	s_xor_b64 exec, exec, s[6:7]
	s_cbranch_execz .LBB42_46
.LBB42_2096:
	v_mov_b32_e32 v20, 0
	v_cmp_ne_u16_sdwa s[8:9], v14, v20 src0_sel:BYTE_0 src1_sel:DWORD
	s_andn2_b64 s[4:5], s[4:5], exec
	s_and_b64 s[8:9], s[8:9], exec
	s_or_b64 s[4:5], s[4:5], s[8:9]
	s_or_b64 exec, exec, s[6:7]
	s_and_saveexec_b64 s[6:7], s[4:5]
	s_cbranch_execnz .LBB42_47
	s_branch .LBB42_48
.LBB42_2097:
	s_movk_i32 s4, 0x80
	v_cmp_eq_u16_e32 vcc, s4, v14
	s_mov_b64 s[4:5], -1
                                        ; implicit-def: $sgpr10
	s_and_saveexec_b64 s[8:9], vcc
; %bb.2098:
	s_mov_b32 s10, 0x7f800001
	s_xor_b64 s[4:5], exec, -1
; %bb.2099:
	s_or_b64 exec, exec, s[8:9]
	s_and_b64 s[4:5], s[4:5], exec
                                        ; implicit-def: $vgpr14
	s_or_saveexec_b64 s[6:7], s[6:7]
	v_mov_b32_e32 v10, s10
	s_xor_b64 exec, exec, s[6:7]
	s_cbranch_execz .LBB42_50
.LBB42_2100:
	v_cmp_ne_u16_e32 vcc, 0, v14
	s_andn2_b64 s[4:5], s[4:5], exec
	s_and_b64 s[8:9], vcc, exec
	v_mov_b32_e32 v10, 0
	s_or_b64 s[4:5], s[4:5], s[8:9]
	s_or_b64 exec, exec, s[6:7]
	s_and_saveexec_b64 s[6:7], s[4:5]
	s_cbranch_execnz .LBB42_51
	s_branch .LBB42_52
.LBB42_2101:
	s_movk_i32 s4, 0x80
	v_cmp_eq_u16_e32 vcc, s4, v14
	s_mov_b64 s[4:5], -1
                                        ; implicit-def: $sgpr10
	s_and_saveexec_b64 s[8:9], vcc
; %bb.2102:
	s_mov_b32 s10, 0x7f800001
	s_xor_b64 s[4:5], exec, -1
; %bb.2103:
	s_or_b64 exec, exec, s[8:9]
	s_and_b64 s[4:5], s[4:5], exec
                                        ; implicit-def: $vgpr14
	s_or_saveexec_b64 s[6:7], s[6:7]
	v_mov_b32_e32 v20, s10
	s_xor_b64 exec, exec, s[6:7]
	s_cbranch_execz .LBB42_54
.LBB42_2104:
	v_cmp_ne_u16_e32 vcc, 0, v14
	s_andn2_b64 s[4:5], s[4:5], exec
	s_and_b64 s[8:9], vcc, exec
	v_mov_b32_e32 v20, 0
	s_or_b64 s[4:5], s[4:5], s[8:9]
	s_or_b64 exec, exec, s[6:7]
	s_and_saveexec_b64 s[6:7], s[4:5]
	s_cbranch_execnz .LBB42_55
	s_branch .LBB42_56
.LBB42_2105:
	s_movk_i32 s4, 0x80
	v_cmp_eq_u16_sdwa s[12:13], v15, s4 src0_sel:BYTE_3 src1_sel:DWORD
	s_mov_b64 s[4:5], -1
                                        ; implicit-def: $sgpr10
	s_and_saveexec_b64 s[8:9], s[12:13]
; %bb.2106:
	s_mov_b32 s10, 0x7f800001
	s_xor_b64 s[4:5], exec, -1
; %bb.2107:
	s_or_b64 exec, exec, s[8:9]
	s_and_b64 s[4:5], s[4:5], exec
	s_or_saveexec_b64 s[6:7], s[6:7]
	v_mov_b32_e32 v10, s10
	s_xor_b64 exec, exec, s[6:7]
	s_cbranch_execz .LBB42_58
.LBB42_2108:
	v_mov_b32_e32 v10, 0
	v_cmp_ne_u16_sdwa s[8:9], v15, v10 src0_sel:BYTE_3 src1_sel:DWORD
	s_andn2_b64 s[4:5], s[4:5], exec
	s_and_b64 s[8:9], s[8:9], exec
	s_or_b64 s[4:5], s[4:5], s[8:9]
	s_or_b64 exec, exec, s[6:7]
	s_and_saveexec_b64 s[6:7], s[4:5]
	s_cbranch_execnz .LBB42_59
	s_branch .LBB42_60
.LBB42_2109:
	s_movk_i32 s4, 0x80
	v_cmp_eq_u16_sdwa s[12:13], v11, s4 src0_sel:BYTE_3 src1_sel:DWORD
	s_mov_b64 s[4:5], -1
                                        ; implicit-def: $sgpr10
	s_and_saveexec_b64 s[8:9], s[12:13]
; %bb.2110:
	s_mov_b32 s10, 0x7f800001
	s_xor_b64 s[4:5], exec, -1
; %bb.2111:
	s_or_b64 exec, exec, s[8:9]
	s_and_b64 s[4:5], s[4:5], exec
	s_or_saveexec_b64 s[6:7], s[6:7]
	v_mov_b32_e32 v14, s10
	s_xor_b64 exec, exec, s[6:7]
	s_cbranch_execz .LBB42_62
.LBB42_2112:
	v_mov_b32_e32 v14, 0
	v_cmp_ne_u16_sdwa s[8:9], v11, v14 src0_sel:BYTE_3 src1_sel:DWORD
	s_andn2_b64 s[4:5], s[4:5], exec
	s_and_b64 s[8:9], s[8:9], exec
	s_or_b64 s[4:5], s[4:5], s[8:9]
	s_or_b64 exec, exec, s[6:7]
	s_and_saveexec_b64 s[6:7], s[4:5]
	s_cbranch_execnz .LBB42_63
	s_branch .LBB42_64
.LBB42_2113:
	s_movk_i32 s4, 0x80
	v_cmp_eq_u16_sdwa s[12:13], v16, s4 src0_sel:BYTE_0 src1_sel:DWORD
	s_mov_b64 s[4:5], -1
                                        ; implicit-def: $sgpr10
	s_and_saveexec_b64 s[8:9], s[12:13]
; %bb.2114:
	s_mov_b32 s10, 0x7f800001
	s_xor_b64 s[4:5], exec, -1
; %bb.2115:
	s_or_b64 exec, exec, s[8:9]
	s_and_b64 s[4:5], s[4:5], exec
	s_or_saveexec_b64 s[6:7], s[6:7]
	v_mov_b32_e32 v10, s10
	s_xor_b64 exec, exec, s[6:7]
	s_cbranch_execz .LBB42_66
.LBB42_2116:
	v_mov_b32_e32 v10, 0
	v_cmp_ne_u16_sdwa s[8:9], v16, v10 src0_sel:BYTE_0 src1_sel:DWORD
	s_andn2_b64 s[4:5], s[4:5], exec
	s_and_b64 s[8:9], s[8:9], exec
	s_or_b64 s[4:5], s[4:5], s[8:9]
	s_or_b64 exec, exec, s[6:7]
	s_and_saveexec_b64 s[6:7], s[4:5]
	s_cbranch_execnz .LBB42_67
	s_branch .LBB42_68
.LBB42_2117:
	s_movk_i32 s4, 0x80
	v_cmp_eq_u16_sdwa s[12:13], v12, s4 src0_sel:BYTE_0 src1_sel:DWORD
	s_mov_b64 s[4:5], -1
                                        ; implicit-def: $sgpr10
	s_and_saveexec_b64 s[8:9], s[12:13]
; %bb.2118:
	s_mov_b32 s10, 0x7f800001
	s_xor_b64 s[4:5], exec, -1
; %bb.2119:
	s_or_b64 exec, exec, s[8:9]
	s_and_b64 s[4:5], s[4:5], exec
	s_or_saveexec_b64 s[6:7], s[6:7]
	v_mov_b32_e32 v11, s10
	s_xor_b64 exec, exec, s[6:7]
	s_cbranch_execz .LBB42_70
.LBB42_2120:
	v_mov_b32_e32 v11, 0
	v_cmp_ne_u16_sdwa s[8:9], v12, v11 src0_sel:BYTE_0 src1_sel:DWORD
	s_andn2_b64 s[4:5], s[4:5], exec
	s_and_b64 s[8:9], s[8:9], exec
	s_or_b64 s[4:5], s[4:5], s[8:9]
	s_or_b64 exec, exec, s[6:7]
	s_and_saveexec_b64 s[6:7], s[4:5]
	s_cbranch_execnz .LBB42_71
	s_branch .LBB42_72
.LBB42_2121:
	s_movk_i32 s4, 0x80
	v_cmp_eq_u16_sdwa s[12:13], v11, s4 src0_sel:BYTE_0 src1_sel:DWORD
	s_mov_b64 s[4:5], -1
                                        ; implicit-def: $sgpr10
	s_and_saveexec_b64 s[8:9], s[12:13]
; %bb.2122:
	s_mov_b32 s10, 0x7f800001
	s_xor_b64 s[4:5], exec, -1
; %bb.2123:
	s_or_b64 exec, exec, s[8:9]
	s_and_b64 s[4:5], s[4:5], exec
	s_or_saveexec_b64 s[6:7], s[6:7]
	v_mov_b32_e32 v10, s10
	s_xor_b64 exec, exec, s[6:7]
	s_cbranch_execz .LBB42_74
.LBB42_2124:
	v_mov_b32_e32 v10, 0
	v_cmp_ne_u16_sdwa s[8:9], v11, v10 src0_sel:BYTE_0 src1_sel:DWORD
	s_andn2_b64 s[4:5], s[4:5], exec
	s_and_b64 s[8:9], s[8:9], exec
	s_or_b64 s[4:5], s[4:5], s[8:9]
	s_or_b64 exec, exec, s[6:7]
	s_and_saveexec_b64 s[6:7], s[4:5]
	s_cbranch_execnz .LBB42_75
	s_branch .LBB42_76
.LBB42_2125:
	s_movk_i32 s4, 0x80
	v_cmp_eq_u16_sdwa s[12:13], v11, s4 src0_sel:BYTE_0 src1_sel:DWORD
	s_mov_b64 s[4:5], -1
                                        ; implicit-def: $sgpr10
	s_and_saveexec_b64 s[8:9], s[12:13]
; %bb.2126:
	s_mov_b32 s10, 0x7f800001
	s_xor_b64 s[4:5], exec, -1
; %bb.2127:
	s_or_b64 exec, exec, s[8:9]
	s_and_b64 s[4:5], s[4:5], exec
	s_or_saveexec_b64 s[6:7], s[6:7]
	v_mov_b32_e32 v14, s10
	s_xor_b64 exec, exec, s[6:7]
	s_cbranch_execz .LBB42_78
.LBB42_2128:
	v_mov_b32_e32 v14, 0
	v_cmp_ne_u16_sdwa s[8:9], v11, v14 src0_sel:BYTE_0 src1_sel:DWORD
	s_andn2_b64 s[4:5], s[4:5], exec
	s_and_b64 s[8:9], s[8:9], exec
	s_or_b64 s[4:5], s[4:5], s[8:9]
	s_or_b64 exec, exec, s[6:7]
	s_and_saveexec_b64 s[6:7], s[4:5]
	s_cbranch_execnz .LBB42_79
	s_branch .LBB42_80
.LBB42_2129:
	s_movk_i32 s4, 0x80
	v_cmp_eq_u16_e32 vcc, s4, v11
	s_mov_b64 s[4:5], -1
                                        ; implicit-def: $sgpr10
	s_and_saveexec_b64 s[8:9], vcc
; %bb.2130:
	s_mov_b32 s10, 0x7f800001
	s_xor_b64 s[4:5], exec, -1
; %bb.2131:
	s_or_b64 exec, exec, s[8:9]
	s_and_b64 s[4:5], s[4:5], exec
                                        ; implicit-def: $vgpr11
	s_or_saveexec_b64 s[6:7], s[6:7]
	v_mov_b32_e32 v10, s10
	s_xor_b64 exec, exec, s[6:7]
	s_cbranch_execz .LBB42_82
.LBB42_2132:
	v_cmp_ne_u16_e32 vcc, 0, v11
	s_andn2_b64 s[4:5], s[4:5], exec
	s_and_b64 s[8:9], vcc, exec
	v_mov_b32_e32 v10, 0
	s_or_b64 s[4:5], s[4:5], s[8:9]
	s_or_b64 exec, exec, s[6:7]
	s_and_saveexec_b64 s[6:7], s[4:5]
	s_cbranch_execnz .LBB42_83
	s_branch .LBB42_84
.LBB42_2133:
	s_movk_i32 s4, 0x80
	v_cmp_eq_u16_e32 vcc, s4, v11
	s_mov_b64 s[4:5], -1
                                        ; implicit-def: $sgpr10
	s_and_saveexec_b64 s[8:9], vcc
; %bb.2134:
	s_mov_b32 s10, 0x7f800001
	s_xor_b64 s[4:5], exec, -1
; %bb.2135:
	s_or_b64 exec, exec, s[8:9]
	s_and_b64 s[4:5], s[4:5], exec
                                        ; implicit-def: $vgpr11
	s_or_saveexec_b64 s[6:7], s[6:7]
	v_mov_b32_e32 v14, s10
	s_xor_b64 exec, exec, s[6:7]
	s_cbranch_execz .LBB42_86
.LBB42_2136:
	v_cmp_ne_u16_e32 vcc, 0, v11
	s_andn2_b64 s[4:5], s[4:5], exec
	s_and_b64 s[8:9], vcc, exec
	v_mov_b32_e32 v14, 0
	s_or_b64 s[4:5], s[4:5], s[8:9]
	s_or_b64 exec, exec, s[6:7]
	s_and_saveexec_b64 s[6:7], s[4:5]
	s_cbranch_execnz .LBB42_87
	s_branch .LBB42_88
.LBB42_2137:
	s_movk_i32 s4, 0x80
	v_cmp_eq_u16_sdwa s[12:13], v16, s4 src0_sel:BYTE_3 src1_sel:DWORD
	s_mov_b64 s[4:5], -1
                                        ; implicit-def: $sgpr10
	s_and_saveexec_b64 s[8:9], s[12:13]
; %bb.2138:
	s_mov_b32 s10, 0x7f800001
	s_xor_b64 s[4:5], exec, -1
; %bb.2139:
	s_or_b64 exec, exec, s[8:9]
	s_and_b64 s[4:5], s[4:5], exec
	s_or_saveexec_b64 s[6:7], s[6:7]
	v_mov_b32_e32 v10, s10
	s_xor_b64 exec, exec, s[6:7]
	s_cbranch_execz .LBB42_90
.LBB42_2140:
	v_mov_b32_e32 v10, 0
	v_cmp_ne_u16_sdwa s[8:9], v16, v10 src0_sel:BYTE_3 src1_sel:DWORD
	s_andn2_b64 s[4:5], s[4:5], exec
	s_and_b64 s[8:9], s[8:9], exec
	s_or_b64 s[4:5], s[4:5], s[8:9]
	s_or_b64 exec, exec, s[6:7]
	s_and_saveexec_b64 s[6:7], s[4:5]
	s_cbranch_execnz .LBB42_91
	s_branch .LBB42_92
.LBB42_2141:
	s_movk_i32 s4, 0x80
	v_cmp_eq_u16_sdwa s[12:13], v12, s4 src0_sel:BYTE_3 src1_sel:DWORD
	s_mov_b64 s[4:5], -1
                                        ; implicit-def: $sgpr10
	s_and_saveexec_b64 s[8:9], s[12:13]
; %bb.2142:
	s_mov_b32 s10, 0x7f800001
	s_xor_b64 s[4:5], exec, -1
; %bb.2143:
	s_or_b64 exec, exec, s[8:9]
	s_and_b64 s[4:5], s[4:5], exec
	s_or_saveexec_b64 s[6:7], s[6:7]
	v_mov_b32_e32 v11, s10
	s_xor_b64 exec, exec, s[6:7]
	s_cbranch_execz .LBB42_94
.LBB42_2144:
	v_mov_b32_e32 v11, 0
	v_cmp_ne_u16_sdwa s[8:9], v12, v11 src0_sel:BYTE_3 src1_sel:DWORD
	s_andn2_b64 s[4:5], s[4:5], exec
	s_and_b64 s[8:9], s[8:9], exec
	s_or_b64 s[4:5], s[4:5], s[8:9]
	s_or_b64 exec, exec, s[6:7]
	s_and_saveexec_b64 s[6:7], s[4:5]
	s_cbranch_execnz .LBB42_95
	s_branch .LBB42_96
.LBB42_2145:
	s_movk_i32 s4, 0x80
	v_cmp_eq_u16_sdwa s[12:13], v17, s4 src0_sel:BYTE_0 src1_sel:DWORD
	s_mov_b64 s[4:5], -1
                                        ; implicit-def: $sgpr10
	s_and_saveexec_b64 s[8:9], s[12:13]
; %bb.2146:
	s_mov_b32 s10, 0x7f800001
	s_xor_b64 s[4:5], exec, -1
; %bb.2147:
	s_or_b64 exec, exec, s[8:9]
	s_and_b64 s[4:5], s[4:5], exec
	s_or_saveexec_b64 s[6:7], s[6:7]
	v_mov_b32_e32 v10, s10
	s_xor_b64 exec, exec, s[6:7]
	s_cbranch_execz .LBB42_98
.LBB42_2148:
	v_mov_b32_e32 v10, 0
	v_cmp_ne_u16_sdwa s[8:9], v17, v10 src0_sel:BYTE_0 src1_sel:DWORD
	s_andn2_b64 s[4:5], s[4:5], exec
	s_and_b64 s[8:9], s[8:9], exec
	s_or_b64 s[4:5], s[4:5], s[8:9]
	s_or_b64 exec, exec, s[6:7]
	s_and_saveexec_b64 s[6:7], s[4:5]
	s_cbranch_execnz .LBB42_99
	s_branch .LBB42_100
.LBB42_2149:
	s_movk_i32 s4, 0x80
	v_cmp_eq_u16_sdwa s[12:13], v13, s4 src0_sel:BYTE_0 src1_sel:DWORD
	s_mov_b64 s[4:5], -1
                                        ; implicit-def: $sgpr10
	s_and_saveexec_b64 s[8:9], s[12:13]
; %bb.2150:
	s_mov_b32 s10, 0x7f800001
	s_xor_b64 s[4:5], exec, -1
; %bb.2151:
	s_or_b64 exec, exec, s[8:9]
	s_and_b64 s[4:5], s[4:5], exec
	s_or_saveexec_b64 s[6:7], s[6:7]
	v_mov_b32_e32 v11, s10
	s_xor_b64 exec, exec, s[6:7]
	s_cbranch_execz .LBB42_102
.LBB42_2152:
	v_mov_b32_e32 v11, 0
	v_cmp_ne_u16_sdwa s[8:9], v13, v11 src0_sel:BYTE_0 src1_sel:DWORD
	s_andn2_b64 s[4:5], s[4:5], exec
	s_and_b64 s[8:9], s[8:9], exec
	s_or_b64 s[4:5], s[4:5], s[8:9]
	s_or_b64 exec, exec, s[6:7]
	s_and_saveexec_b64 s[6:7], s[4:5]
	s_cbranch_execnz .LBB42_103
	s_branch .LBB42_104
.LBB42_2153:
	s_movk_i32 s4, 0x80
	v_cmp_eq_u16_sdwa s[12:13], v11, s4 src0_sel:BYTE_0 src1_sel:DWORD
	s_mov_b64 s[4:5], -1
                                        ; implicit-def: $sgpr10
	s_and_saveexec_b64 s[8:9], s[12:13]
; %bb.2154:
	s_mov_b32 s10, 0x7f800001
	s_xor_b64 s[4:5], exec, -1
; %bb.2155:
	s_or_b64 exec, exec, s[8:9]
	s_and_b64 s[4:5], s[4:5], exec
	s_or_saveexec_b64 s[6:7], s[6:7]
	v_mov_b32_e32 v10, s10
	s_xor_b64 exec, exec, s[6:7]
	s_cbranch_execz .LBB42_106
.LBB42_2156:
	v_mov_b32_e32 v10, 0
	v_cmp_ne_u16_sdwa s[8:9], v11, v10 src0_sel:BYTE_0 src1_sel:DWORD
	s_andn2_b64 s[4:5], s[4:5], exec
	s_and_b64 s[8:9], s[8:9], exec
	s_or_b64 s[4:5], s[4:5], s[8:9]
	s_or_b64 exec, exec, s[6:7]
	s_and_saveexec_b64 s[6:7], s[4:5]
	s_cbranch_execnz .LBB42_107
	s_branch .LBB42_108
.LBB42_2157:
	s_movk_i32 s4, 0x80
	v_cmp_eq_u16_sdwa s[12:13], v11, s4 src0_sel:BYTE_0 src1_sel:DWORD
	s_mov_b64 s[4:5], -1
                                        ; implicit-def: $sgpr10
	s_and_saveexec_b64 s[8:9], s[12:13]
; %bb.2158:
	s_mov_b32 s10, 0x7f800001
	s_xor_b64 s[4:5], exec, -1
; %bb.2159:
	s_or_b64 exec, exec, s[8:9]
	s_and_b64 s[4:5], s[4:5], exec
	s_or_saveexec_b64 s[6:7], s[6:7]
	v_mov_b32_e32 v12, s10
	s_xor_b64 exec, exec, s[6:7]
	s_cbranch_execz .LBB42_110
.LBB42_2160:
	v_mov_b32_e32 v12, 0
	v_cmp_ne_u16_sdwa s[8:9], v11, v12 src0_sel:BYTE_0 src1_sel:DWORD
	s_andn2_b64 s[4:5], s[4:5], exec
	s_and_b64 s[8:9], s[8:9], exec
	s_or_b64 s[4:5], s[4:5], s[8:9]
	s_or_b64 exec, exec, s[6:7]
	s_and_saveexec_b64 s[6:7], s[4:5]
	s_cbranch_execnz .LBB42_111
	s_branch .LBB42_112
.LBB42_2161:
	s_movk_i32 s4, 0x80
	v_cmp_eq_u16_e32 vcc, s4, v11
	s_mov_b64 s[4:5], -1
                                        ; implicit-def: $sgpr10
	s_and_saveexec_b64 s[8:9], vcc
; %bb.2162:
	s_mov_b32 s10, 0x7f800001
	s_xor_b64 s[4:5], exec, -1
; %bb.2163:
	s_or_b64 exec, exec, s[8:9]
	s_and_b64 s[4:5], s[4:5], exec
                                        ; implicit-def: $vgpr11
	s_or_saveexec_b64 s[6:7], s[6:7]
	v_mov_b32_e32 v10, s10
	s_xor_b64 exec, exec, s[6:7]
	s_cbranch_execz .LBB42_114
.LBB42_2164:
	v_cmp_ne_u16_e32 vcc, 0, v11
	s_andn2_b64 s[4:5], s[4:5], exec
	s_and_b64 s[8:9], vcc, exec
	v_mov_b32_e32 v10, 0
	s_or_b64 s[4:5], s[4:5], s[8:9]
	s_or_b64 exec, exec, s[6:7]
	s_and_saveexec_b64 s[6:7], s[4:5]
	s_cbranch_execnz .LBB42_115
	s_branch .LBB42_116
.LBB42_2165:
	s_movk_i32 s4, 0x80
	v_cmp_eq_u16_e32 vcc, s4, v11
	s_mov_b64 s[4:5], -1
                                        ; implicit-def: $sgpr10
	s_and_saveexec_b64 s[8:9], vcc
; %bb.2166:
	s_mov_b32 s10, 0x7f800001
	s_xor_b64 s[4:5], exec, -1
; %bb.2167:
	s_or_b64 exec, exec, s[8:9]
	s_and_b64 s[4:5], s[4:5], exec
                                        ; implicit-def: $vgpr11
	s_or_saveexec_b64 s[6:7], s[6:7]
	v_mov_b32_e32 v12, s10
	s_xor_b64 exec, exec, s[6:7]
	s_cbranch_execz .LBB42_118
.LBB42_2168:
	v_cmp_ne_u16_e32 vcc, 0, v11
	s_andn2_b64 s[4:5], s[4:5], exec
	s_and_b64 s[8:9], vcc, exec
	v_mov_b32_e32 v12, 0
	s_or_b64 s[4:5], s[4:5], s[8:9]
	s_or_b64 exec, exec, s[6:7]
	s_and_saveexec_b64 s[6:7], s[4:5]
	s_cbranch_execnz .LBB42_119
	s_branch .LBB42_120
.LBB42_2169:
	s_movk_i32 s4, 0x80
	v_cmp_eq_u16_sdwa s[12:13], v17, s4 src0_sel:BYTE_3 src1_sel:DWORD
	s_mov_b64 s[4:5], -1
                                        ; implicit-def: $sgpr10
	s_and_saveexec_b64 s[8:9], s[12:13]
; %bb.2170:
	s_mov_b32 s10, 0x7f800001
	s_xor_b64 s[4:5], exec, -1
; %bb.2171:
	s_or_b64 exec, exec, s[8:9]
	s_and_b64 s[4:5], s[4:5], exec
	s_or_saveexec_b64 s[6:7], s[6:7]
	v_mov_b32_e32 v10, s10
	s_xor_b64 exec, exec, s[6:7]
	s_cbranch_execz .LBB42_122
.LBB42_2172:
	v_mov_b32_e32 v10, 0
	v_cmp_ne_u16_sdwa s[8:9], v17, v10 src0_sel:BYTE_3 src1_sel:DWORD
	s_andn2_b64 s[4:5], s[4:5], exec
	s_and_b64 s[8:9], s[8:9], exec
	s_or_b64 s[4:5], s[4:5], s[8:9]
	s_or_b64 exec, exec, s[6:7]
	s_and_saveexec_b64 s[6:7], s[4:5]
	s_cbranch_execnz .LBB42_123
	s_branch .LBB42_124
.LBB42_2173:
	s_movk_i32 s4, 0x80
	v_cmp_eq_u16_sdwa s[12:13], v13, s4 src0_sel:BYTE_3 src1_sel:DWORD
	s_mov_b64 s[4:5], -1
                                        ; implicit-def: $sgpr10
	s_and_saveexec_b64 s[8:9], s[12:13]
; %bb.2174:
	s_mov_b32 s10, 0x7f800001
	s_xor_b64 s[4:5], exec, -1
; %bb.2175:
	s_or_b64 exec, exec, s[8:9]
	s_and_b64 s[4:5], s[4:5], exec
	s_or_saveexec_b64 s[6:7], s[6:7]
	v_mov_b32_e32 v11, s10
	s_xor_b64 exec, exec, s[6:7]
	s_cbranch_execz .LBB42_126
.LBB42_2176:
	v_mov_b32_e32 v11, 0
	v_cmp_ne_u16_sdwa s[8:9], v13, v11 src0_sel:BYTE_3 src1_sel:DWORD
	s_andn2_b64 s[4:5], s[4:5], exec
	s_and_b64 s[8:9], s[8:9], exec
	s_or_b64 s[4:5], s[4:5], s[8:9]
	s_or_b64 exec, exec, s[6:7]
	s_and_saveexec_b64 s[6:7], s[4:5]
	s_cbranch_execnz .LBB42_127
	s_branch .LBB42_128
.LBB42_2177:
	s_movk_i32 s4, 0x80
	v_cmp_eq_u16_sdwa s[12:13], v6, s4 src0_sel:BYTE_0 src1_sel:DWORD
	s_mov_b64 s[4:5], -1
                                        ; implicit-def: $sgpr10
	s_and_saveexec_b64 s[8:9], s[12:13]
; %bb.2178:
	s_mov_b32 s10, 0x7f800001
	s_xor_b64 s[4:5], exec, -1
; %bb.2179:
	s_or_b64 exec, exec, s[8:9]
	s_and_b64 s[4:5], s[4:5], exec
	s_or_saveexec_b64 s[6:7], s[6:7]
	v_mov_b32_e32 v10, s10
	s_xor_b64 exec, exec, s[6:7]
	s_cbranch_execz .LBB42_130
.LBB42_2180:
	v_mov_b32_e32 v10, 0
	v_cmp_ne_u16_sdwa s[8:9], v6, v10 src0_sel:BYTE_0 src1_sel:DWORD
	s_andn2_b64 s[4:5], s[4:5], exec
	s_and_b64 s[8:9], s[8:9], exec
	s_or_b64 s[4:5], s[4:5], s[8:9]
	s_or_b64 exec, exec, s[6:7]
	s_and_saveexec_b64 s[6:7], s[4:5]
	s_cbranch_execnz .LBB42_131
	s_branch .LBB42_132
.LBB42_2181:
	s_movk_i32 s4, 0x80
	v_cmp_eq_u16_sdwa s[12:13], v2, s4 src0_sel:BYTE_0 src1_sel:DWORD
	s_mov_b64 s[4:5], -1
                                        ; implicit-def: $sgpr10
	s_and_saveexec_b64 s[8:9], s[12:13]
; %bb.2182:
	s_mov_b32 s10, 0x7f800001
	s_xor_b64 s[4:5], exec, -1
; %bb.2183:
	s_or_b64 exec, exec, s[8:9]
	s_and_b64 s[4:5], s[4:5], exec
	s_or_saveexec_b64 s[6:7], s[6:7]
	v_mov_b32_e32 v11, s10
	s_xor_b64 exec, exec, s[6:7]
	s_cbranch_execz .LBB42_134
.LBB42_2184:
	v_mov_b32_e32 v11, 0
	v_cmp_ne_u16_sdwa s[8:9], v2, v11 src0_sel:BYTE_0 src1_sel:DWORD
	s_andn2_b64 s[4:5], s[4:5], exec
	s_and_b64 s[8:9], s[8:9], exec
	s_or_b64 s[4:5], s[4:5], s[8:9]
	s_or_b64 exec, exec, s[6:7]
	s_and_saveexec_b64 s[6:7], s[4:5]
	s_cbranch_execnz .LBB42_135
	s_branch .LBB42_136
.LBB42_2185:
	s_movk_i32 s4, 0x80
	v_cmp_eq_u16_sdwa s[12:13], v11, s4 src0_sel:BYTE_0 src1_sel:DWORD
	s_mov_b64 s[4:5], -1
                                        ; implicit-def: $sgpr10
	s_and_saveexec_b64 s[8:9], s[12:13]
; %bb.2186:
	s_mov_b32 s10, 0x7f800001
	s_xor_b64 s[4:5], exec, -1
; %bb.2187:
	s_or_b64 exec, exec, s[8:9]
	s_and_b64 s[4:5], s[4:5], exec
	s_or_saveexec_b64 s[6:7], s[6:7]
	v_mov_b32_e32 v10, s10
	s_xor_b64 exec, exec, s[6:7]
	s_cbranch_execz .LBB42_138
.LBB42_2188:
	v_mov_b32_e32 v10, 0
	v_cmp_ne_u16_sdwa s[8:9], v11, v10 src0_sel:BYTE_0 src1_sel:DWORD
	s_andn2_b64 s[4:5], s[4:5], exec
	s_and_b64 s[8:9], s[8:9], exec
	s_or_b64 s[4:5], s[4:5], s[8:9]
	s_or_b64 exec, exec, s[6:7]
	s_and_saveexec_b64 s[6:7], s[4:5]
	s_cbranch_execnz .LBB42_139
	s_branch .LBB42_140
.LBB42_2189:
	s_movk_i32 s4, 0x80
	v_cmp_eq_u16_sdwa s[12:13], v11, s4 src0_sel:BYTE_0 src1_sel:DWORD
	s_mov_b64 s[4:5], -1
                                        ; implicit-def: $sgpr10
	s_and_saveexec_b64 s[8:9], s[12:13]
; %bb.2190:
	s_mov_b32 s10, 0x7f800001
	s_xor_b64 s[4:5], exec, -1
; %bb.2191:
	s_or_b64 exec, exec, s[8:9]
	s_and_b64 s[4:5], s[4:5], exec
	s_or_saveexec_b64 s[6:7], s[6:7]
	v_mov_b32_e32 v12, s10
	s_xor_b64 exec, exec, s[6:7]
	s_cbranch_execz .LBB42_142
.LBB42_2192:
	v_mov_b32_e32 v12, 0
	v_cmp_ne_u16_sdwa s[8:9], v11, v12 src0_sel:BYTE_0 src1_sel:DWORD
	s_andn2_b64 s[4:5], s[4:5], exec
	s_and_b64 s[8:9], s[8:9], exec
	s_or_b64 s[4:5], s[4:5], s[8:9]
	s_or_b64 exec, exec, s[6:7]
	s_and_saveexec_b64 s[6:7], s[4:5]
	s_cbranch_execnz .LBB42_143
	s_branch .LBB42_144
.LBB42_2193:
	s_movk_i32 s4, 0x80
	v_cmp_eq_u16_e32 vcc, s4, v11
	s_mov_b64 s[4:5], -1
                                        ; implicit-def: $sgpr10
	s_and_saveexec_b64 s[8:9], vcc
; %bb.2194:
	s_mov_b32 s10, 0x7f800001
	s_xor_b64 s[4:5], exec, -1
; %bb.2195:
	s_or_b64 exec, exec, s[8:9]
	s_and_b64 s[4:5], s[4:5], exec
                                        ; implicit-def: $vgpr11
	s_or_saveexec_b64 s[6:7], s[6:7]
	v_mov_b32_e32 v10, s10
	s_xor_b64 exec, exec, s[6:7]
	s_cbranch_execz .LBB42_146
.LBB42_2196:
	v_cmp_ne_u16_e32 vcc, 0, v11
	s_andn2_b64 s[4:5], s[4:5], exec
	s_and_b64 s[8:9], vcc, exec
	v_mov_b32_e32 v10, 0
	s_or_b64 s[4:5], s[4:5], s[8:9]
	s_or_b64 exec, exec, s[6:7]
	s_and_saveexec_b64 s[6:7], s[4:5]
	s_cbranch_execnz .LBB42_147
	s_branch .LBB42_148
.LBB42_2197:
	s_movk_i32 s4, 0x80
	v_cmp_eq_u16_e32 vcc, s4, v11
	s_mov_b64 s[4:5], -1
                                        ; implicit-def: $sgpr10
	s_and_saveexec_b64 s[8:9], vcc
; %bb.2198:
	s_mov_b32 s10, 0x7f800001
	s_xor_b64 s[4:5], exec, -1
; %bb.2199:
	s_or_b64 exec, exec, s[8:9]
	s_and_b64 s[4:5], s[4:5], exec
                                        ; implicit-def: $vgpr11
	s_or_saveexec_b64 s[6:7], s[6:7]
	v_mov_b32_e32 v12, s10
	s_xor_b64 exec, exec, s[6:7]
	s_cbranch_execz .LBB42_150
.LBB42_2200:
	v_cmp_ne_u16_e32 vcc, 0, v11
	s_andn2_b64 s[4:5], s[4:5], exec
	s_and_b64 s[8:9], vcc, exec
	v_mov_b32_e32 v12, 0
	s_or_b64 s[4:5], s[4:5], s[8:9]
	s_or_b64 exec, exec, s[6:7]
	s_and_saveexec_b64 s[6:7], s[4:5]
	s_cbranch_execnz .LBB42_151
	s_branch .LBB42_152
.LBB42_2201:
	s_movk_i32 s4, 0x80
	v_cmp_eq_u16_sdwa s[12:13], v6, s4 src0_sel:BYTE_3 src1_sel:DWORD
	s_mov_b64 s[4:5], -1
                                        ; implicit-def: $sgpr10
	s_and_saveexec_b64 s[8:9], s[12:13]
; %bb.2202:
	s_mov_b32 s10, 0x7f800001
	s_xor_b64 s[4:5], exec, -1
; %bb.2203:
	s_or_b64 exec, exec, s[8:9]
	s_and_b64 s[4:5], s[4:5], exec
	s_or_saveexec_b64 s[6:7], s[6:7]
	v_mov_b32_e32 v10, s10
	s_xor_b64 exec, exec, s[6:7]
	s_cbranch_execz .LBB42_154
.LBB42_2204:
	v_mov_b32_e32 v10, 0
	v_cmp_ne_u16_sdwa s[8:9], v6, v10 src0_sel:BYTE_3 src1_sel:DWORD
	s_andn2_b64 s[4:5], s[4:5], exec
	s_and_b64 s[8:9], s[8:9], exec
	s_or_b64 s[4:5], s[4:5], s[8:9]
	s_or_b64 exec, exec, s[6:7]
	s_and_saveexec_b64 s[6:7], s[4:5]
	s_cbranch_execnz .LBB42_155
	s_branch .LBB42_156
.LBB42_2205:
	s_movk_i32 s4, 0x80
	v_cmp_eq_u16_sdwa s[12:13], v2, s4 src0_sel:BYTE_3 src1_sel:DWORD
	s_mov_b64 s[4:5], -1
                                        ; implicit-def: $sgpr10
	s_and_saveexec_b64 s[8:9], s[12:13]
; %bb.2206:
	s_mov_b32 s10, 0x7f800001
	s_xor_b64 s[4:5], exec, -1
; %bb.2207:
	s_or_b64 exec, exec, s[8:9]
	s_and_b64 s[4:5], s[4:5], exec
	s_or_saveexec_b64 s[6:7], s[6:7]
	v_mov_b32_e32 v6, s10
	s_xor_b64 exec, exec, s[6:7]
	s_cbranch_execz .LBB42_158
.LBB42_2208:
	v_mov_b32_e32 v6, 0
	v_cmp_ne_u16_sdwa s[8:9], v2, v6 src0_sel:BYTE_3 src1_sel:DWORD
	s_andn2_b64 s[4:5], s[4:5], exec
	s_and_b64 s[8:9], s[8:9], exec
	s_or_b64 s[4:5], s[4:5], s[8:9]
	s_or_b64 exec, exec, s[6:7]
	s_and_saveexec_b64 s[6:7], s[4:5]
	s_cbranch_execnz .LBB42_159
	s_branch .LBB42_160
.LBB42_2209:
	s_movk_i32 s4, 0x80
	v_cmp_eq_u16_sdwa s[12:13], v7, s4 src0_sel:BYTE_0 src1_sel:DWORD
	s_mov_b64 s[4:5], -1
                                        ; implicit-def: $sgpr10
	s_and_saveexec_b64 s[8:9], s[12:13]
; %bb.2210:
	s_mov_b32 s10, 0x7f800001
	s_xor_b64 s[4:5], exec, -1
; %bb.2211:
	s_or_b64 exec, exec, s[8:9]
	s_and_b64 s[4:5], s[4:5], exec
	s_or_saveexec_b64 s[6:7], s[6:7]
	v_mov_b32_e32 v2, s10
	s_xor_b64 exec, exec, s[6:7]
	s_cbranch_execz .LBB42_162
.LBB42_2212:
	v_mov_b32_e32 v2, 0
	v_cmp_ne_u16_sdwa s[8:9], v7, v2 src0_sel:BYTE_0 src1_sel:DWORD
	s_andn2_b64 s[4:5], s[4:5], exec
	s_and_b64 s[8:9], s[8:9], exec
	s_or_b64 s[4:5], s[4:5], s[8:9]
	s_or_b64 exec, exec, s[6:7]
	s_and_saveexec_b64 s[6:7], s[4:5]
	s_cbranch_execnz .LBB42_163
	s_branch .LBB42_164
.LBB42_2213:
	s_movk_i32 s4, 0x80
	v_cmp_eq_u16_sdwa s[12:13], v3, s4 src0_sel:BYTE_0 src1_sel:DWORD
	s_mov_b64 s[4:5], -1
                                        ; implicit-def: $sgpr10
	s_and_saveexec_b64 s[8:9], s[12:13]
; %bb.2214:
	s_mov_b32 s10, 0x7f800001
	s_xor_b64 s[4:5], exec, -1
; %bb.2215:
	s_or_b64 exec, exec, s[8:9]
	s_and_b64 s[4:5], s[4:5], exec
	s_or_saveexec_b64 s[6:7], s[6:7]
	v_mov_b32_e32 v6, s10
	s_xor_b64 exec, exec, s[6:7]
	s_cbranch_execz .LBB42_166
.LBB42_2216:
	v_mov_b32_e32 v6, 0
	v_cmp_ne_u16_sdwa s[8:9], v3, v6 src0_sel:BYTE_0 src1_sel:DWORD
	s_andn2_b64 s[4:5], s[4:5], exec
	s_and_b64 s[8:9], s[8:9], exec
	s_or_b64 s[4:5], s[4:5], s[8:9]
	s_or_b64 exec, exec, s[6:7]
	s_and_saveexec_b64 s[6:7], s[4:5]
	s_cbranch_execnz .LBB42_167
	s_branch .LBB42_168
.LBB42_2217:
	s_movk_i32 s4, 0x80
	v_cmp_eq_u16_sdwa s[12:13], v6, s4 src0_sel:BYTE_0 src1_sel:DWORD
	s_mov_b64 s[4:5], -1
                                        ; implicit-def: $sgpr10
	s_and_saveexec_b64 s[8:9], s[12:13]
; %bb.2218:
	s_mov_b32 s10, 0x7f800001
	s_xor_b64 s[4:5], exec, -1
; %bb.2219:
	s_or_b64 exec, exec, s[8:9]
	s_and_b64 s[4:5], s[4:5], exec
	s_or_saveexec_b64 s[6:7], s[6:7]
	v_mov_b32_e32 v2, s10
	s_xor_b64 exec, exec, s[6:7]
	s_cbranch_execz .LBB42_170
.LBB42_2220:
	v_mov_b32_e32 v2, 0
	v_cmp_ne_u16_sdwa s[8:9], v6, v2 src0_sel:BYTE_0 src1_sel:DWORD
	s_andn2_b64 s[4:5], s[4:5], exec
	s_and_b64 s[8:9], s[8:9], exec
	s_or_b64 s[4:5], s[4:5], s[8:9]
	s_or_b64 exec, exec, s[6:7]
	s_and_saveexec_b64 s[6:7], s[4:5]
	s_cbranch_execnz .LBB42_171
	s_branch .LBB42_172
.LBB42_2221:
	s_movk_i32 s4, 0x80
	v_cmp_eq_u16_sdwa s[12:13], v6, s4 src0_sel:BYTE_0 src1_sel:DWORD
	s_mov_b64 s[4:5], -1
                                        ; implicit-def: $sgpr10
	s_and_saveexec_b64 s[8:9], s[12:13]
; %bb.2222:
	s_mov_b32 s10, 0x7f800001
	s_xor_b64 s[4:5], exec, -1
; %bb.2223:
	s_or_b64 exec, exec, s[8:9]
	s_and_b64 s[4:5], s[4:5], exec
	s_or_saveexec_b64 s[6:7], s[6:7]
	v_mov_b32_e32 v10, s10
	s_xor_b64 exec, exec, s[6:7]
	s_cbranch_execz .LBB42_174
.LBB42_2224:
	v_mov_b32_e32 v10, 0
	v_cmp_ne_u16_sdwa s[8:9], v6, v10 src0_sel:BYTE_0 src1_sel:DWORD
	s_andn2_b64 s[4:5], s[4:5], exec
	s_and_b64 s[8:9], s[8:9], exec
	s_or_b64 s[4:5], s[4:5], s[8:9]
	s_or_b64 exec, exec, s[6:7]
	s_and_saveexec_b64 s[6:7], s[4:5]
	s_cbranch_execnz .LBB42_175
	s_branch .LBB42_176
.LBB42_2225:
	s_movk_i32 s4, 0x80
	v_cmp_eq_u16_e32 vcc, s4, v6
	s_mov_b64 s[4:5], -1
                                        ; implicit-def: $sgpr10
	s_and_saveexec_b64 s[8:9], vcc
; %bb.2226:
	s_mov_b32 s10, 0x7f800001
	s_xor_b64 s[4:5], exec, -1
; %bb.2227:
	s_or_b64 exec, exec, s[8:9]
	s_and_b64 s[4:5], s[4:5], exec
                                        ; implicit-def: $vgpr6
	s_or_saveexec_b64 s[6:7], s[6:7]
	v_mov_b32_e32 v2, s10
	s_xor_b64 exec, exec, s[6:7]
	s_cbranch_execz .LBB42_178
.LBB42_2228:
	v_cmp_ne_u16_e32 vcc, 0, v6
	s_andn2_b64 s[4:5], s[4:5], exec
	s_and_b64 s[8:9], vcc, exec
	v_mov_b32_e32 v2, 0
	s_or_b64 s[4:5], s[4:5], s[8:9]
	s_or_b64 exec, exec, s[6:7]
	s_and_saveexec_b64 s[6:7], s[4:5]
	s_cbranch_execnz .LBB42_179
	s_branch .LBB42_180
.LBB42_2229:
	s_movk_i32 s4, 0x80
	v_cmp_eq_u16_e32 vcc, s4, v6
	s_mov_b64 s[4:5], -1
                                        ; implicit-def: $sgpr10
	s_and_saveexec_b64 s[8:9], vcc
; %bb.2230:
	s_mov_b32 s10, 0x7f800001
	s_xor_b64 s[4:5], exec, -1
; %bb.2231:
	s_or_b64 exec, exec, s[8:9]
	s_and_b64 s[4:5], s[4:5], exec
                                        ; implicit-def: $vgpr6
	s_or_saveexec_b64 s[6:7], s[6:7]
	v_mov_b32_e32 v10, s10
	s_xor_b64 exec, exec, s[6:7]
	s_cbranch_execz .LBB42_182
.LBB42_2232:
	v_cmp_ne_u16_e32 vcc, 0, v6
	s_andn2_b64 s[4:5], s[4:5], exec
	s_and_b64 s[8:9], vcc, exec
	v_mov_b32_e32 v10, 0
	s_or_b64 s[4:5], s[4:5], s[8:9]
	s_or_b64 exec, exec, s[6:7]
	s_and_saveexec_b64 s[6:7], s[4:5]
	s_cbranch_execnz .LBB42_183
	s_branch .LBB42_184
.LBB42_2233:
	s_movk_i32 s4, 0x80
	v_cmp_eq_u16_sdwa s[12:13], v7, s4 src0_sel:BYTE_3 src1_sel:DWORD
	s_mov_b64 s[4:5], -1
                                        ; implicit-def: $sgpr10
	s_and_saveexec_b64 s[8:9], s[12:13]
; %bb.2234:
	s_mov_b32 s10, 0x7f800001
	s_xor_b64 s[4:5], exec, -1
; %bb.2235:
	s_or_b64 exec, exec, s[8:9]
	s_and_b64 s[4:5], s[4:5], exec
	s_or_saveexec_b64 s[6:7], s[6:7]
	v_mov_b32_e32 v2, s10
	s_xor_b64 exec, exec, s[6:7]
	s_cbranch_execz .LBB42_186
.LBB42_2236:
	v_mov_b32_e32 v2, 0
	v_cmp_ne_u16_sdwa s[8:9], v7, v2 src0_sel:BYTE_3 src1_sel:DWORD
	s_andn2_b64 s[4:5], s[4:5], exec
	s_and_b64 s[8:9], s[8:9], exec
	s_or_b64 s[4:5], s[4:5], s[8:9]
	s_or_b64 exec, exec, s[6:7]
	s_and_saveexec_b64 s[6:7], s[4:5]
	s_cbranch_execnz .LBB42_187
	s_branch .LBB42_188
.LBB42_2237:
	s_movk_i32 s4, 0x80
	v_cmp_eq_u16_sdwa s[12:13], v3, s4 src0_sel:BYTE_3 src1_sel:DWORD
	s_mov_b64 s[4:5], -1
                                        ; implicit-def: $sgpr10
	s_and_saveexec_b64 s[8:9], s[12:13]
; %bb.2238:
	s_mov_b32 s10, 0x7f800001
	s_xor_b64 s[4:5], exec, -1
; %bb.2239:
	s_or_b64 exec, exec, s[8:9]
	s_and_b64 s[4:5], s[4:5], exec
	s_or_saveexec_b64 s[6:7], s[6:7]
	v_mov_b32_e32 v6, s10
	s_xor_b64 exec, exec, s[6:7]
	s_cbranch_execz .LBB42_190
.LBB42_2240:
	v_mov_b32_e32 v6, 0
	v_cmp_ne_u16_sdwa s[8:9], v3, v6 src0_sel:BYTE_3 src1_sel:DWORD
	s_andn2_b64 s[4:5], s[4:5], exec
	s_and_b64 s[8:9], s[8:9], exec
	s_or_b64 s[4:5], s[4:5], s[8:9]
	s_or_b64 exec, exec, s[6:7]
	s_and_saveexec_b64 s[6:7], s[4:5]
	s_cbranch_execnz .LBB42_191
	s_branch .LBB42_192
.LBB42_2241:
	s_movk_i32 s4, 0x80
	v_cmp_eq_u16_sdwa s[12:13], v8, s4 src0_sel:BYTE_0 src1_sel:DWORD
	s_mov_b64 s[4:5], -1
                                        ; implicit-def: $sgpr10
	s_and_saveexec_b64 s[8:9], s[12:13]
; %bb.2242:
	s_mov_b32 s10, 0x7f800001
	s_xor_b64 s[4:5], exec, -1
; %bb.2243:
	s_or_b64 exec, exec, s[8:9]
	s_and_b64 s[4:5], s[4:5], exec
	s_or_saveexec_b64 s[6:7], s[6:7]
	v_mov_b32_e32 v2, s10
	s_xor_b64 exec, exec, s[6:7]
	s_cbranch_execz .LBB42_194
.LBB42_2244:
	v_mov_b32_e32 v2, 0
	v_cmp_ne_u16_sdwa s[8:9], v8, v2 src0_sel:BYTE_0 src1_sel:DWORD
	s_andn2_b64 s[4:5], s[4:5], exec
	s_and_b64 s[8:9], s[8:9], exec
	s_or_b64 s[4:5], s[4:5], s[8:9]
	s_or_b64 exec, exec, s[6:7]
	s_and_saveexec_b64 s[6:7], s[4:5]
	s_cbranch_execnz .LBB42_195
	s_branch .LBB42_196
.LBB42_2245:
	s_movk_i32 s4, 0x80
	v_cmp_eq_u16_sdwa s[12:13], v4, s4 src0_sel:BYTE_0 src1_sel:DWORD
	s_mov_b64 s[4:5], -1
                                        ; implicit-def: $sgpr10
	s_and_saveexec_b64 s[8:9], s[12:13]
; %bb.2246:
	s_mov_b32 s10, 0x7f800001
	s_xor_b64 s[4:5], exec, -1
; %bb.2247:
	s_or_b64 exec, exec, s[8:9]
	s_and_b64 s[4:5], s[4:5], exec
	s_or_saveexec_b64 s[6:7], s[6:7]
	v_mov_b32_e32 v3, s10
	s_xor_b64 exec, exec, s[6:7]
	s_cbranch_execz .LBB42_198
.LBB42_2248:
	v_mov_b32_e32 v3, 0
	v_cmp_ne_u16_sdwa s[8:9], v4, v3 src0_sel:BYTE_0 src1_sel:DWORD
	s_andn2_b64 s[4:5], s[4:5], exec
	s_and_b64 s[8:9], s[8:9], exec
	s_or_b64 s[4:5], s[4:5], s[8:9]
	s_or_b64 exec, exec, s[6:7]
	s_and_saveexec_b64 s[6:7], s[4:5]
	s_cbranch_execnz .LBB42_199
	s_branch .LBB42_200
.LBB42_2249:
	s_movk_i32 s4, 0x80
	v_cmp_eq_u16_sdwa s[12:13], v3, s4 src0_sel:BYTE_0 src1_sel:DWORD
	s_mov_b64 s[4:5], -1
                                        ; implicit-def: $sgpr10
	s_and_saveexec_b64 s[8:9], s[12:13]
; %bb.2250:
	s_mov_b32 s10, 0x7f800001
	s_xor_b64 s[4:5], exec, -1
; %bb.2251:
	s_or_b64 exec, exec, s[8:9]
	s_and_b64 s[4:5], s[4:5], exec
	s_or_saveexec_b64 s[6:7], s[6:7]
	v_mov_b32_e32 v2, s10
	s_xor_b64 exec, exec, s[6:7]
	s_cbranch_execz .LBB42_202
.LBB42_2252:
	v_mov_b32_e32 v2, 0
	v_cmp_ne_u16_sdwa s[8:9], v3, v2 src0_sel:BYTE_0 src1_sel:DWORD
	s_andn2_b64 s[4:5], s[4:5], exec
	s_and_b64 s[8:9], s[8:9], exec
	s_or_b64 s[4:5], s[4:5], s[8:9]
	s_or_b64 exec, exec, s[6:7]
	s_and_saveexec_b64 s[6:7], s[4:5]
	s_cbranch_execnz .LBB42_203
	s_branch .LBB42_204
.LBB42_2253:
	s_movk_i32 s4, 0x80
	v_cmp_eq_u16_sdwa s[12:13], v3, s4 src0_sel:BYTE_0 src1_sel:DWORD
	s_mov_b64 s[4:5], -1
                                        ; implicit-def: $sgpr10
	s_and_saveexec_b64 s[8:9], s[12:13]
; %bb.2254:
	s_mov_b32 s10, 0x7f800001
	s_xor_b64 s[4:5], exec, -1
; %bb.2255:
	s_or_b64 exec, exec, s[8:9]
	s_and_b64 s[4:5], s[4:5], exec
	s_or_saveexec_b64 s[6:7], s[6:7]
	v_mov_b32_e32 v6, s10
	s_xor_b64 exec, exec, s[6:7]
	s_cbranch_execz .LBB42_206
.LBB42_2256:
	v_mov_b32_e32 v6, 0
	v_cmp_ne_u16_sdwa s[8:9], v3, v6 src0_sel:BYTE_0 src1_sel:DWORD
	s_andn2_b64 s[4:5], s[4:5], exec
	s_and_b64 s[8:9], s[8:9], exec
	s_or_b64 s[4:5], s[4:5], s[8:9]
	s_or_b64 exec, exec, s[6:7]
	s_and_saveexec_b64 s[6:7], s[4:5]
	s_cbranch_execnz .LBB42_207
	s_branch .LBB42_208
.LBB42_2257:
	s_movk_i32 s4, 0x80
	v_cmp_eq_u16_e32 vcc, s4, v3
	s_mov_b64 s[4:5], -1
                                        ; implicit-def: $sgpr10
	s_and_saveexec_b64 s[8:9], vcc
; %bb.2258:
	s_mov_b32 s10, 0x7f800001
	s_xor_b64 s[4:5], exec, -1
; %bb.2259:
	s_or_b64 exec, exec, s[8:9]
	s_and_b64 s[4:5], s[4:5], exec
                                        ; implicit-def: $vgpr3
	s_or_saveexec_b64 s[6:7], s[6:7]
	v_mov_b32_e32 v2, s10
	s_xor_b64 exec, exec, s[6:7]
	s_cbranch_execz .LBB42_210
.LBB42_2260:
	v_cmp_ne_u16_e32 vcc, 0, v3
	s_andn2_b64 s[4:5], s[4:5], exec
	s_and_b64 s[8:9], vcc, exec
	v_mov_b32_e32 v2, 0
	s_or_b64 s[4:5], s[4:5], s[8:9]
	s_or_b64 exec, exec, s[6:7]
	s_and_saveexec_b64 s[6:7], s[4:5]
	s_cbranch_execnz .LBB42_211
	s_branch .LBB42_212
.LBB42_2261:
	s_movk_i32 s4, 0x80
	v_cmp_eq_u16_e32 vcc, s4, v3
	s_mov_b64 s[4:5], -1
                                        ; implicit-def: $sgpr10
	s_and_saveexec_b64 s[8:9], vcc
; %bb.2262:
	s_mov_b32 s10, 0x7f800001
	s_xor_b64 s[4:5], exec, -1
; %bb.2263:
	s_or_b64 exec, exec, s[8:9]
	s_and_b64 s[4:5], s[4:5], exec
                                        ; implicit-def: $vgpr3
	s_or_saveexec_b64 s[6:7], s[6:7]
	v_mov_b32_e32 v6, s10
	s_xor_b64 exec, exec, s[6:7]
	s_cbranch_execz .LBB42_214
.LBB42_2264:
	v_cmp_ne_u16_e32 vcc, 0, v3
	s_andn2_b64 s[4:5], s[4:5], exec
	s_and_b64 s[8:9], vcc, exec
	v_mov_b32_e32 v6, 0
	s_or_b64 s[4:5], s[4:5], s[8:9]
	s_or_b64 exec, exec, s[6:7]
	s_and_saveexec_b64 s[6:7], s[4:5]
	s_cbranch_execnz .LBB42_215
	s_branch .LBB42_216
.LBB42_2265:
	s_movk_i32 s4, 0x80
	v_cmp_eq_u16_sdwa s[12:13], v8, s4 src0_sel:BYTE_3 src1_sel:DWORD
	s_mov_b64 s[4:5], -1
                                        ; implicit-def: $sgpr10
	s_and_saveexec_b64 s[8:9], s[12:13]
; %bb.2266:
	s_mov_b32 s10, 0x7f800001
	s_xor_b64 s[4:5], exec, -1
; %bb.2267:
	s_or_b64 exec, exec, s[8:9]
	s_and_b64 s[4:5], s[4:5], exec
	s_or_saveexec_b64 s[6:7], s[6:7]
	v_mov_b32_e32 v2, s10
	s_xor_b64 exec, exec, s[6:7]
	s_cbranch_execz .LBB42_218
.LBB42_2268:
	v_mov_b32_e32 v2, 0
	v_cmp_ne_u16_sdwa s[8:9], v8, v2 src0_sel:BYTE_3 src1_sel:DWORD
	s_andn2_b64 s[4:5], s[4:5], exec
	s_and_b64 s[8:9], s[8:9], exec
	s_or_b64 s[4:5], s[4:5], s[8:9]
	s_or_b64 exec, exec, s[6:7]
	s_and_saveexec_b64 s[6:7], s[4:5]
	s_cbranch_execnz .LBB42_219
	s_branch .LBB42_220
.LBB42_2269:
	s_movk_i32 s4, 0x80
	v_cmp_eq_u16_sdwa s[12:13], v4, s4 src0_sel:BYTE_3 src1_sel:DWORD
	s_mov_b64 s[4:5], -1
                                        ; implicit-def: $sgpr10
	s_and_saveexec_b64 s[8:9], s[12:13]
; %bb.2270:
	s_mov_b32 s10, 0x7f800001
	s_xor_b64 s[4:5], exec, -1
; %bb.2271:
	s_or_b64 exec, exec, s[8:9]
	s_and_b64 s[4:5], s[4:5], exec
	s_or_saveexec_b64 s[6:7], s[6:7]
	v_mov_b32_e32 v3, s10
	s_xor_b64 exec, exec, s[6:7]
	s_cbranch_execz .LBB42_222
.LBB42_2272:
	v_mov_b32_e32 v3, 0
	v_cmp_ne_u16_sdwa s[8:9], v4, v3 src0_sel:BYTE_3 src1_sel:DWORD
	s_andn2_b64 s[4:5], s[4:5], exec
	s_and_b64 s[8:9], s[8:9], exec
	s_or_b64 s[4:5], s[4:5], s[8:9]
	s_or_b64 exec, exec, s[6:7]
	s_and_saveexec_b64 s[6:7], s[4:5]
	s_cbranch_execnz .LBB42_223
	s_branch .LBB42_224
.LBB42_2273:
	s_movk_i32 s4, 0x80
	v_cmp_eq_u16_sdwa s[12:13], v9, s4 src0_sel:BYTE_0 src1_sel:DWORD
	s_mov_b64 s[4:5], -1
                                        ; implicit-def: $sgpr10
	s_and_saveexec_b64 s[8:9], s[12:13]
; %bb.2274:
	s_mov_b32 s10, 0x7f800001
	s_xor_b64 s[4:5], exec, -1
; %bb.2275:
	s_or_b64 exec, exec, s[8:9]
	s_and_b64 s[4:5], s[4:5], exec
	s_or_saveexec_b64 s[6:7], s[6:7]
	v_mov_b32_e32 v2, s10
	s_xor_b64 exec, exec, s[6:7]
	s_cbranch_execz .LBB42_226
.LBB42_2276:
	v_mov_b32_e32 v2, 0
	v_cmp_ne_u16_sdwa s[8:9], v9, v2 src0_sel:BYTE_0 src1_sel:DWORD
	s_andn2_b64 s[4:5], s[4:5], exec
	s_and_b64 s[8:9], s[8:9], exec
	s_or_b64 s[4:5], s[4:5], s[8:9]
	s_or_b64 exec, exec, s[6:7]
	s_and_saveexec_b64 s[6:7], s[4:5]
	s_cbranch_execnz .LBB42_227
	s_branch .LBB42_228
.LBB42_2277:
	s_movk_i32 s4, 0x80
	v_cmp_eq_u16_sdwa s[12:13], v5, s4 src0_sel:BYTE_0 src1_sel:DWORD
	s_mov_b64 s[4:5], -1
                                        ; implicit-def: $sgpr10
	s_and_saveexec_b64 s[8:9], s[12:13]
; %bb.2278:
	s_mov_b32 s10, 0x7f800001
	s_xor_b64 s[4:5], exec, -1
; %bb.2279:
	s_or_b64 exec, exec, s[8:9]
	s_and_b64 s[4:5], s[4:5], exec
	s_or_saveexec_b64 s[6:7], s[6:7]
	v_mov_b32_e32 v3, s10
	s_xor_b64 exec, exec, s[6:7]
	s_cbranch_execz .LBB42_230
.LBB42_2280:
	v_mov_b32_e32 v3, 0
	v_cmp_ne_u16_sdwa s[8:9], v5, v3 src0_sel:BYTE_0 src1_sel:DWORD
	s_andn2_b64 s[4:5], s[4:5], exec
	s_and_b64 s[8:9], s[8:9], exec
	s_or_b64 s[4:5], s[4:5], s[8:9]
	s_or_b64 exec, exec, s[6:7]
	s_and_saveexec_b64 s[6:7], s[4:5]
	s_cbranch_execnz .LBB42_231
	s_branch .LBB42_232
.LBB42_2281:
	s_movk_i32 s4, 0x80
	v_cmp_eq_u16_sdwa s[12:13], v3, s4 src0_sel:BYTE_0 src1_sel:DWORD
	s_mov_b64 s[4:5], -1
                                        ; implicit-def: $sgpr10
	s_and_saveexec_b64 s[8:9], s[12:13]
; %bb.2282:
	s_mov_b32 s10, 0x7f800001
	s_xor_b64 s[4:5], exec, -1
; %bb.2283:
	s_or_b64 exec, exec, s[8:9]
	s_and_b64 s[4:5], s[4:5], exec
	s_or_saveexec_b64 s[6:7], s[6:7]
	v_mov_b32_e32 v2, s10
	s_xor_b64 exec, exec, s[6:7]
	s_cbranch_execz .LBB42_234
.LBB42_2284:
	v_mov_b32_e32 v2, 0
	v_cmp_ne_u16_sdwa s[8:9], v3, v2 src0_sel:BYTE_0 src1_sel:DWORD
	s_andn2_b64 s[4:5], s[4:5], exec
	s_and_b64 s[8:9], s[8:9], exec
	s_or_b64 s[4:5], s[4:5], s[8:9]
	s_or_b64 exec, exec, s[6:7]
	s_and_saveexec_b64 s[6:7], s[4:5]
	s_cbranch_execnz .LBB42_235
	s_branch .LBB42_236
.LBB42_2285:
	s_movk_i32 s4, 0x80
	v_cmp_eq_u16_sdwa s[12:13], v3, s4 src0_sel:BYTE_0 src1_sel:DWORD
	s_mov_b64 s[4:5], -1
                                        ; implicit-def: $sgpr10
	s_and_saveexec_b64 s[8:9], s[12:13]
; %bb.2286:
	s_mov_b32 s10, 0x7f800001
	s_xor_b64 s[4:5], exec, -1
; %bb.2287:
	s_or_b64 exec, exec, s[8:9]
	s_and_b64 s[4:5], s[4:5], exec
	s_or_saveexec_b64 s[6:7], s[6:7]
	v_mov_b32_e32 v4, s10
	s_xor_b64 exec, exec, s[6:7]
	s_cbranch_execz .LBB42_238
.LBB42_2288:
	v_mov_b32_e32 v4, 0
	v_cmp_ne_u16_sdwa s[8:9], v3, v4 src0_sel:BYTE_0 src1_sel:DWORD
	s_andn2_b64 s[4:5], s[4:5], exec
	s_and_b64 s[8:9], s[8:9], exec
	s_or_b64 s[4:5], s[4:5], s[8:9]
	s_or_b64 exec, exec, s[6:7]
	s_and_saveexec_b64 s[6:7], s[4:5]
	s_cbranch_execnz .LBB42_239
	s_branch .LBB42_240
.LBB42_2289:
	s_movk_i32 s4, 0x80
	v_cmp_eq_u16_e32 vcc, s4, v3
	s_mov_b64 s[4:5], -1
                                        ; implicit-def: $sgpr10
	s_and_saveexec_b64 s[8:9], vcc
; %bb.2290:
	s_mov_b32 s10, 0x7f800001
	s_xor_b64 s[4:5], exec, -1
; %bb.2291:
	s_or_b64 exec, exec, s[8:9]
	s_and_b64 s[4:5], s[4:5], exec
                                        ; implicit-def: $vgpr3
	s_or_saveexec_b64 s[6:7], s[6:7]
	v_mov_b32_e32 v2, s10
	s_xor_b64 exec, exec, s[6:7]
	s_cbranch_execz .LBB42_242
.LBB42_2292:
	v_cmp_ne_u16_e32 vcc, 0, v3
	s_andn2_b64 s[4:5], s[4:5], exec
	s_and_b64 s[8:9], vcc, exec
	v_mov_b32_e32 v2, 0
	s_or_b64 s[4:5], s[4:5], s[8:9]
	s_or_b64 exec, exec, s[6:7]
	s_and_saveexec_b64 s[6:7], s[4:5]
	s_cbranch_execnz .LBB42_243
	s_branch .LBB42_244
.LBB42_2293:
	s_movk_i32 s4, 0x80
	v_cmp_eq_u16_e32 vcc, s4, v3
	s_mov_b64 s[4:5], -1
                                        ; implicit-def: $sgpr10
	s_and_saveexec_b64 s[8:9], vcc
; %bb.2294:
	s_mov_b32 s10, 0x7f800001
	s_xor_b64 s[4:5], exec, -1
; %bb.2295:
	s_or_b64 exec, exec, s[8:9]
	s_and_b64 s[4:5], s[4:5], exec
                                        ; implicit-def: $vgpr3
	s_or_saveexec_b64 s[6:7], s[6:7]
	v_mov_b32_e32 v4, s10
	s_xor_b64 exec, exec, s[6:7]
	s_cbranch_execz .LBB42_246
.LBB42_2296:
	v_cmp_ne_u16_e32 vcc, 0, v3
	s_andn2_b64 s[4:5], s[4:5], exec
	s_and_b64 s[8:9], vcc, exec
	v_mov_b32_e32 v4, 0
	s_or_b64 s[4:5], s[4:5], s[8:9]
	s_or_b64 exec, exec, s[6:7]
	s_and_saveexec_b64 s[6:7], s[4:5]
	s_cbranch_execnz .LBB42_247
	s_branch .LBB42_248
.LBB42_2297:
	s_movk_i32 s4, 0x80
	v_cmp_eq_u16_sdwa s[12:13], v9, s4 src0_sel:BYTE_3 src1_sel:DWORD
	s_mov_b64 s[4:5], -1
                                        ; implicit-def: $sgpr10
	s_and_saveexec_b64 s[8:9], s[12:13]
; %bb.2298:
	s_mov_b32 s10, 0x7f800001
	s_xor_b64 s[4:5], exec, -1
; %bb.2299:
	s_or_b64 exec, exec, s[8:9]
	s_and_b64 s[4:5], s[4:5], exec
	s_or_saveexec_b64 s[6:7], s[6:7]
	v_mov_b32_e32 v2, s10
	s_xor_b64 exec, exec, s[6:7]
	s_cbranch_execz .LBB42_250
.LBB42_2300:
	v_mov_b32_e32 v2, 0
	v_cmp_ne_u16_sdwa s[8:9], v9, v2 src0_sel:BYTE_3 src1_sel:DWORD
	s_andn2_b64 s[4:5], s[4:5], exec
	s_and_b64 s[8:9], s[8:9], exec
	s_or_b64 s[4:5], s[4:5], s[8:9]
	s_or_b64 exec, exec, s[6:7]
	s_and_saveexec_b64 s[6:7], s[4:5]
	s_cbranch_execnz .LBB42_251
	s_branch .LBB42_252
.LBB42_2301:
	s_movk_i32 s4, 0x80
	v_cmp_eq_u16_sdwa s[12:13], v5, s4 src0_sel:BYTE_3 src1_sel:DWORD
	s_mov_b64 s[4:5], -1
                                        ; implicit-def: $sgpr10
	s_and_saveexec_b64 s[8:9], s[12:13]
; %bb.2302:
	s_mov_b32 s10, 0x7f800001
	s_xor_b64 s[4:5], exec, -1
; %bb.2303:
	s_or_b64 exec, exec, s[8:9]
	s_and_b64 s[4:5], s[4:5], exec
	s_or_saveexec_b64 s[6:7], s[6:7]
	v_mov_b32_e32 v3, s10
	s_xor_b64 exec, exec, s[6:7]
	s_cbranch_execz .LBB42_254
.LBB42_2304:
	v_mov_b32_e32 v3, 0
	v_cmp_ne_u16_sdwa s[8:9], v5, v3 src0_sel:BYTE_3 src1_sel:DWORD
	s_andn2_b64 s[4:5], s[4:5], exec
	s_and_b64 s[8:9], s[8:9], exec
	s_or_b64 s[4:5], s[4:5], s[8:9]
	s_or_b64 exec, exec, s[6:7]
	s_and_saveexec_b64 s[6:7], s[4:5]
	s_cbranch_execnz .LBB42_255
	s_branch .LBB42_256
.LBB42_2305:
	s_movk_i32 s4, 0x80
	v_cmp_eq_u16_sdwa s[12:13], v14, s4 src0_sel:BYTE_0 src1_sel:DWORD
	s_mov_b64 s[4:5], -1
                                        ; implicit-def: $sgpr10
	s_and_saveexec_b64 s[8:9], s[12:13]
; %bb.2306:
	s_mov_b32 s10, 0x7f800001
	s_xor_b64 s[4:5], exec, -1
; %bb.2307:
	s_or_b64 exec, exec, s[8:9]
	s_and_b64 s[4:5], s[4:5], exec
	s_or_saveexec_b64 s[6:7], s[6:7]
	v_mov_b32_e32 v20, s10
	s_xor_b64 exec, exec, s[6:7]
	s_cbranch_execz .LBB42_258
.LBB42_2308:
	v_mov_b32_e32 v20, 0
	v_cmp_ne_u16_sdwa s[8:9], v14, v20 src0_sel:BYTE_0 src1_sel:DWORD
	s_andn2_b64 s[4:5], s[4:5], exec
	s_and_b64 s[8:9], s[8:9], exec
	s_or_b64 s[4:5], s[4:5], s[8:9]
	s_or_b64 exec, exec, s[6:7]
	s_and_saveexec_b64 s[6:7], s[4:5]
	s_cbranch_execnz .LBB42_259
	s_branch .LBB42_260
.LBB42_2309:
	s_movk_i32 s4, 0x80
	v_cmp_eq_u16_sdwa s[12:13], v10, s4 src0_sel:BYTE_0 src1_sel:DWORD
	s_mov_b64 s[4:5], -1
                                        ; implicit-def: $sgpr10
	s_and_saveexec_b64 s[8:9], s[12:13]
; %bb.2310:
	s_mov_b32 s10, 0x7f800001
	s_xor_b64 s[4:5], exec, -1
; %bb.2311:
	s_or_b64 exec, exec, s[8:9]
	s_and_b64 s[4:5], s[4:5], exec
	s_or_saveexec_b64 s[6:7], s[6:7]
	v_mov_b32_e32 v21, s10
	s_xor_b64 exec, exec, s[6:7]
	s_cbranch_execz .LBB42_262
.LBB42_2312:
	v_mov_b32_e32 v21, 0
	v_cmp_ne_u16_sdwa s[8:9], v10, v21 src0_sel:BYTE_0 src1_sel:DWORD
	s_andn2_b64 s[4:5], s[4:5], exec
	s_and_b64 s[8:9], s[8:9], exec
	s_or_b64 s[4:5], s[4:5], s[8:9]
	s_or_b64 exec, exec, s[6:7]
	s_and_saveexec_b64 s[6:7], s[4:5]
	s_cbranch_execnz .LBB42_263
	s_branch .LBB42_264
.LBB42_2313:
	s_movk_i32 s4, 0x80
	v_cmp_eq_u16_sdwa s[12:13], v21, s4 src0_sel:BYTE_0 src1_sel:DWORD
	s_mov_b64 s[4:5], -1
                                        ; implicit-def: $sgpr10
	s_and_saveexec_b64 s[8:9], s[12:13]
; %bb.2314:
	s_mov_b32 s10, 0x7f800001
	s_xor_b64 s[4:5], exec, -1
; %bb.2315:
	s_or_b64 exec, exec, s[8:9]
	s_and_b64 s[4:5], s[4:5], exec
	s_or_saveexec_b64 s[6:7], s[6:7]
	v_mov_b32_e32 v20, s10
	s_xor_b64 exec, exec, s[6:7]
	s_cbranch_execz .LBB42_266
.LBB42_2316:
	v_mov_b32_e32 v20, 0
	v_cmp_ne_u16_sdwa s[8:9], v21, v20 src0_sel:BYTE_0 src1_sel:DWORD
	s_andn2_b64 s[4:5], s[4:5], exec
	s_and_b64 s[8:9], s[8:9], exec
	s_or_b64 s[4:5], s[4:5], s[8:9]
	s_or_b64 exec, exec, s[6:7]
	s_and_saveexec_b64 s[6:7], s[4:5]
	s_cbranch_execnz .LBB42_267
	s_branch .LBB42_268
.LBB42_2317:
	s_movk_i32 s4, 0x80
	v_cmp_eq_u16_sdwa s[12:13], v21, s4 src0_sel:BYTE_0 src1_sel:DWORD
	s_mov_b64 s[4:5], -1
                                        ; implicit-def: $sgpr10
	s_and_saveexec_b64 s[8:9], s[12:13]
; %bb.2318:
	s_mov_b32 s10, 0x7f800001
	s_xor_b64 s[4:5], exec, -1
; %bb.2319:
	s_or_b64 exec, exec, s[8:9]
	s_and_b64 s[4:5], s[4:5], exec
	s_or_saveexec_b64 s[6:7], s[6:7]
	v_mov_b32_e32 v22, s10
	s_xor_b64 exec, exec, s[6:7]
	s_cbranch_execz .LBB42_270
.LBB42_2320:
	v_mov_b32_e32 v22, 0
	v_cmp_ne_u16_sdwa s[8:9], v21, v22 src0_sel:BYTE_0 src1_sel:DWORD
	s_andn2_b64 s[4:5], s[4:5], exec
	s_and_b64 s[8:9], s[8:9], exec
	s_or_b64 s[4:5], s[4:5], s[8:9]
	s_or_b64 exec, exec, s[6:7]
	s_and_saveexec_b64 s[6:7], s[4:5]
	s_cbranch_execnz .LBB42_271
	s_branch .LBB42_272
.LBB42_2321:
	s_movk_i32 s4, 0x80
	v_cmp_eq_u16_e32 vcc, s4, v21
	s_mov_b64 s[4:5], -1
                                        ; implicit-def: $sgpr10
	s_and_saveexec_b64 s[8:9], vcc
; %bb.2322:
	s_mov_b32 s10, 0x7f800001
	s_xor_b64 s[4:5], exec, -1
; %bb.2323:
	s_or_b64 exec, exec, s[8:9]
	s_and_b64 s[4:5], s[4:5], exec
                                        ; implicit-def: $vgpr21
	s_or_saveexec_b64 s[6:7], s[6:7]
	v_mov_b32_e32 v20, s10
	s_xor_b64 exec, exec, s[6:7]
	s_cbranch_execz .LBB42_274
.LBB42_2324:
	v_cmp_ne_u16_e32 vcc, 0, v21
	s_andn2_b64 s[4:5], s[4:5], exec
	s_and_b64 s[8:9], vcc, exec
	v_mov_b32_e32 v20, 0
	s_or_b64 s[4:5], s[4:5], s[8:9]
	s_or_b64 exec, exec, s[6:7]
	s_and_saveexec_b64 s[6:7], s[4:5]
	s_cbranch_execnz .LBB42_275
	s_branch .LBB42_276
.LBB42_2325:
	s_movk_i32 s4, 0x80
	v_cmp_eq_u16_e32 vcc, s4, v21
	s_mov_b64 s[4:5], -1
                                        ; implicit-def: $sgpr10
	s_and_saveexec_b64 s[8:9], vcc
; %bb.2326:
	s_mov_b32 s10, 0x7f800001
	s_xor_b64 s[4:5], exec, -1
; %bb.2327:
	s_or_b64 exec, exec, s[8:9]
	s_and_b64 s[4:5], s[4:5], exec
                                        ; implicit-def: $vgpr21
	s_or_saveexec_b64 s[6:7], s[6:7]
	v_mov_b32_e32 v22, s10
	s_xor_b64 exec, exec, s[6:7]
	s_cbranch_execz .LBB42_278
.LBB42_2328:
	v_cmp_ne_u16_e32 vcc, 0, v21
	s_andn2_b64 s[4:5], s[4:5], exec
	s_and_b64 s[8:9], vcc, exec
	v_mov_b32_e32 v22, 0
	s_or_b64 s[4:5], s[4:5], s[8:9]
	s_or_b64 exec, exec, s[6:7]
	s_and_saveexec_b64 s[6:7], s[4:5]
	s_cbranch_execnz .LBB42_279
	s_branch .LBB42_280
.LBB42_2329:
	s_movk_i32 s4, 0x80
	v_cmp_eq_u16_sdwa s[12:13], v14, s4 src0_sel:BYTE_3 src1_sel:DWORD
	s_mov_b64 s[4:5], -1
                                        ; implicit-def: $sgpr10
	s_and_saveexec_b64 s[8:9], s[12:13]
; %bb.2330:
	s_mov_b32 s10, 0x7f800001
	s_xor_b64 s[4:5], exec, -1
; %bb.2331:
	s_or_b64 exec, exec, s[8:9]
	s_and_b64 s[4:5], s[4:5], exec
	s_or_saveexec_b64 s[6:7], s[6:7]
	v_mov_b32_e32 v20, s10
	s_xor_b64 exec, exec, s[6:7]
	s_cbranch_execz .LBB42_282
.LBB42_2332:
	v_mov_b32_e32 v20, 0
	v_cmp_ne_u16_sdwa s[8:9], v14, v20 src0_sel:BYTE_3 src1_sel:DWORD
	s_andn2_b64 s[4:5], s[4:5], exec
	s_and_b64 s[8:9], s[8:9], exec
	s_or_b64 s[4:5], s[4:5], s[8:9]
	s_or_b64 exec, exec, s[6:7]
	s_and_saveexec_b64 s[6:7], s[4:5]
	s_cbranch_execnz .LBB42_283
	s_branch .LBB42_284
.LBB42_2333:
	s_movk_i32 s4, 0x80
	v_cmp_eq_u16_sdwa s[12:13], v10, s4 src0_sel:BYTE_3 src1_sel:DWORD
	s_mov_b64 s[4:5], -1
                                        ; implicit-def: $sgpr10
	s_and_saveexec_b64 s[8:9], s[12:13]
; %bb.2334:
	s_mov_b32 s10, 0x7f800001
	s_xor_b64 s[4:5], exec, -1
; %bb.2335:
	s_or_b64 exec, exec, s[8:9]
	s_and_b64 s[4:5], s[4:5], exec
	s_or_saveexec_b64 s[6:7], s[6:7]
	v_mov_b32_e32 v14, s10
	s_xor_b64 exec, exec, s[6:7]
	s_cbranch_execz .LBB42_286
.LBB42_2336:
	v_mov_b32_e32 v14, 0
	v_cmp_ne_u16_sdwa s[8:9], v10, v14 src0_sel:BYTE_3 src1_sel:DWORD
	s_andn2_b64 s[4:5], s[4:5], exec
	s_and_b64 s[8:9], s[8:9], exec
	s_or_b64 s[4:5], s[4:5], s[8:9]
	s_or_b64 exec, exec, s[6:7]
	s_and_saveexec_b64 s[6:7], s[4:5]
	s_cbranch_execnz .LBB42_287
	s_branch .LBB42_288
.LBB42_2337:
	s_movk_i32 s4, 0x80
	v_cmp_eq_u16_sdwa s[12:13], v15, s4 src0_sel:BYTE_0 src1_sel:DWORD
	s_mov_b64 s[4:5], -1
                                        ; implicit-def: $sgpr10
	s_and_saveexec_b64 s[8:9], s[12:13]
; %bb.2338:
	s_mov_b32 s10, 0x7f800001
	s_xor_b64 s[4:5], exec, -1
; %bb.2339:
	s_or_b64 exec, exec, s[8:9]
	s_and_b64 s[4:5], s[4:5], exec
	s_or_saveexec_b64 s[6:7], s[6:7]
	v_mov_b32_e32 v10, s10
	s_xor_b64 exec, exec, s[6:7]
	s_cbranch_execz .LBB42_290
.LBB42_2340:
	v_mov_b32_e32 v10, 0
	v_cmp_ne_u16_sdwa s[8:9], v15, v10 src0_sel:BYTE_0 src1_sel:DWORD
	s_andn2_b64 s[4:5], s[4:5], exec
	s_and_b64 s[8:9], s[8:9], exec
	s_or_b64 s[4:5], s[4:5], s[8:9]
	s_or_b64 exec, exec, s[6:7]
	s_and_saveexec_b64 s[6:7], s[4:5]
	s_cbranch_execnz .LBB42_291
	s_branch .LBB42_292
.LBB42_2341:
	s_movk_i32 s4, 0x80
	v_cmp_eq_u16_sdwa s[12:13], v11, s4 src0_sel:BYTE_0 src1_sel:DWORD
	s_mov_b64 s[4:5], -1
                                        ; implicit-def: $sgpr10
	s_and_saveexec_b64 s[8:9], s[12:13]
; %bb.2342:
	s_mov_b32 s10, 0x7f800001
	s_xor_b64 s[4:5], exec, -1
; %bb.2343:
	s_or_b64 exec, exec, s[8:9]
	s_and_b64 s[4:5], s[4:5], exec
	s_or_saveexec_b64 s[6:7], s[6:7]
	v_mov_b32_e32 v14, s10
	s_xor_b64 exec, exec, s[6:7]
	s_cbranch_execz .LBB42_294
.LBB42_2344:
	v_mov_b32_e32 v14, 0
	v_cmp_ne_u16_sdwa s[8:9], v11, v14 src0_sel:BYTE_0 src1_sel:DWORD
	s_andn2_b64 s[4:5], s[4:5], exec
	s_and_b64 s[8:9], s[8:9], exec
	s_or_b64 s[4:5], s[4:5], s[8:9]
	s_or_b64 exec, exec, s[6:7]
	s_and_saveexec_b64 s[6:7], s[4:5]
	s_cbranch_execnz .LBB42_295
	s_branch .LBB42_296
.LBB42_2345:
	s_movk_i32 s4, 0x80
	v_cmp_eq_u16_sdwa s[12:13], v14, s4 src0_sel:BYTE_0 src1_sel:DWORD
	s_mov_b64 s[4:5], -1
                                        ; implicit-def: $sgpr10
	s_and_saveexec_b64 s[8:9], s[12:13]
; %bb.2346:
	s_mov_b32 s10, 0x7f800001
	s_xor_b64 s[4:5], exec, -1
; %bb.2347:
	s_or_b64 exec, exec, s[8:9]
	s_and_b64 s[4:5], s[4:5], exec
	s_or_saveexec_b64 s[6:7], s[6:7]
	v_mov_b32_e32 v10, s10
	s_xor_b64 exec, exec, s[6:7]
	s_cbranch_execz .LBB42_298
.LBB42_2348:
	v_mov_b32_e32 v10, 0
	v_cmp_ne_u16_sdwa s[8:9], v14, v10 src0_sel:BYTE_0 src1_sel:DWORD
	s_andn2_b64 s[4:5], s[4:5], exec
	s_and_b64 s[8:9], s[8:9], exec
	s_or_b64 s[4:5], s[4:5], s[8:9]
	s_or_b64 exec, exec, s[6:7]
	s_and_saveexec_b64 s[6:7], s[4:5]
	s_cbranch_execnz .LBB42_299
	s_branch .LBB42_300
.LBB42_2349:
	s_movk_i32 s4, 0x80
	v_cmp_eq_u16_sdwa s[12:13], v14, s4 src0_sel:BYTE_0 src1_sel:DWORD
	s_mov_b64 s[4:5], -1
                                        ; implicit-def: $sgpr10
	s_and_saveexec_b64 s[8:9], s[12:13]
; %bb.2350:
	s_mov_b32 s10, 0x7f800001
	s_xor_b64 s[4:5], exec, -1
; %bb.2351:
	s_or_b64 exec, exec, s[8:9]
	s_and_b64 s[4:5], s[4:5], exec
	s_or_saveexec_b64 s[6:7], s[6:7]
	v_mov_b32_e32 v20, s10
	s_xor_b64 exec, exec, s[6:7]
	s_cbranch_execz .LBB42_302
.LBB42_2352:
	v_mov_b32_e32 v20, 0
	v_cmp_ne_u16_sdwa s[8:9], v14, v20 src0_sel:BYTE_0 src1_sel:DWORD
	s_andn2_b64 s[4:5], s[4:5], exec
	s_and_b64 s[8:9], s[8:9], exec
	s_or_b64 s[4:5], s[4:5], s[8:9]
	s_or_b64 exec, exec, s[6:7]
	s_and_saveexec_b64 s[6:7], s[4:5]
	s_cbranch_execnz .LBB42_303
	s_branch .LBB42_304
.LBB42_2353:
	s_movk_i32 s4, 0x80
	v_cmp_eq_u16_e32 vcc, s4, v14
	s_mov_b64 s[4:5], -1
                                        ; implicit-def: $sgpr10
	s_and_saveexec_b64 s[8:9], vcc
; %bb.2354:
	s_mov_b32 s10, 0x7f800001
	s_xor_b64 s[4:5], exec, -1
; %bb.2355:
	s_or_b64 exec, exec, s[8:9]
	s_and_b64 s[4:5], s[4:5], exec
                                        ; implicit-def: $vgpr14
	s_or_saveexec_b64 s[6:7], s[6:7]
	v_mov_b32_e32 v10, s10
	s_xor_b64 exec, exec, s[6:7]
	s_cbranch_execz .LBB42_306
.LBB42_2356:
	v_cmp_ne_u16_e32 vcc, 0, v14
	s_andn2_b64 s[4:5], s[4:5], exec
	s_and_b64 s[8:9], vcc, exec
	v_mov_b32_e32 v10, 0
	s_or_b64 s[4:5], s[4:5], s[8:9]
	s_or_b64 exec, exec, s[6:7]
	s_and_saveexec_b64 s[6:7], s[4:5]
	s_cbranch_execnz .LBB42_307
	s_branch .LBB42_308
.LBB42_2357:
	s_movk_i32 s4, 0x80
	v_cmp_eq_u16_e32 vcc, s4, v14
	s_mov_b64 s[4:5], -1
                                        ; implicit-def: $sgpr10
	s_and_saveexec_b64 s[8:9], vcc
; %bb.2358:
	s_mov_b32 s10, 0x7f800001
	s_xor_b64 s[4:5], exec, -1
; %bb.2359:
	s_or_b64 exec, exec, s[8:9]
	s_and_b64 s[4:5], s[4:5], exec
                                        ; implicit-def: $vgpr14
	s_or_saveexec_b64 s[6:7], s[6:7]
	v_mov_b32_e32 v20, s10
	s_xor_b64 exec, exec, s[6:7]
	s_cbranch_execz .LBB42_310
.LBB42_2360:
	v_cmp_ne_u16_e32 vcc, 0, v14
	s_andn2_b64 s[4:5], s[4:5], exec
	s_and_b64 s[8:9], vcc, exec
	v_mov_b32_e32 v20, 0
	s_or_b64 s[4:5], s[4:5], s[8:9]
	s_or_b64 exec, exec, s[6:7]
	s_and_saveexec_b64 s[6:7], s[4:5]
	s_cbranch_execnz .LBB42_311
	s_branch .LBB42_312
.LBB42_2361:
	s_movk_i32 s4, 0x80
	v_cmp_eq_u16_sdwa s[12:13], v15, s4 src0_sel:BYTE_3 src1_sel:DWORD
	s_mov_b64 s[4:5], -1
                                        ; implicit-def: $sgpr10
	s_and_saveexec_b64 s[8:9], s[12:13]
; %bb.2362:
	s_mov_b32 s10, 0x7f800001
	s_xor_b64 s[4:5], exec, -1
; %bb.2363:
	s_or_b64 exec, exec, s[8:9]
	s_and_b64 s[4:5], s[4:5], exec
	s_or_saveexec_b64 s[6:7], s[6:7]
	v_mov_b32_e32 v10, s10
	s_xor_b64 exec, exec, s[6:7]
	s_cbranch_execz .LBB42_314
.LBB42_2364:
	v_mov_b32_e32 v10, 0
	v_cmp_ne_u16_sdwa s[8:9], v15, v10 src0_sel:BYTE_3 src1_sel:DWORD
	s_andn2_b64 s[4:5], s[4:5], exec
	s_and_b64 s[8:9], s[8:9], exec
	s_or_b64 s[4:5], s[4:5], s[8:9]
	s_or_b64 exec, exec, s[6:7]
	s_and_saveexec_b64 s[6:7], s[4:5]
	s_cbranch_execnz .LBB42_315
	s_branch .LBB42_316
.LBB42_2365:
	s_movk_i32 s4, 0x80
	v_cmp_eq_u16_sdwa s[12:13], v11, s4 src0_sel:BYTE_3 src1_sel:DWORD
	s_mov_b64 s[4:5], -1
                                        ; implicit-def: $sgpr10
	s_and_saveexec_b64 s[8:9], s[12:13]
; %bb.2366:
	s_mov_b32 s10, 0x7f800001
	s_xor_b64 s[4:5], exec, -1
; %bb.2367:
	s_or_b64 exec, exec, s[8:9]
	s_and_b64 s[4:5], s[4:5], exec
	s_or_saveexec_b64 s[6:7], s[6:7]
	v_mov_b32_e32 v14, s10
	s_xor_b64 exec, exec, s[6:7]
	s_cbranch_execz .LBB42_318
.LBB42_2368:
	v_mov_b32_e32 v14, 0
	v_cmp_ne_u16_sdwa s[8:9], v11, v14 src0_sel:BYTE_3 src1_sel:DWORD
	s_andn2_b64 s[4:5], s[4:5], exec
	s_and_b64 s[8:9], s[8:9], exec
	s_or_b64 s[4:5], s[4:5], s[8:9]
	s_or_b64 exec, exec, s[6:7]
	s_and_saveexec_b64 s[6:7], s[4:5]
	s_cbranch_execnz .LBB42_319
	s_branch .LBB42_320
.LBB42_2369:
	s_movk_i32 s4, 0x80
	v_cmp_eq_u16_sdwa s[12:13], v16, s4 src0_sel:BYTE_0 src1_sel:DWORD
	s_mov_b64 s[4:5], -1
                                        ; implicit-def: $sgpr10
	s_and_saveexec_b64 s[8:9], s[12:13]
; %bb.2370:
	s_mov_b32 s10, 0x7f800001
	s_xor_b64 s[4:5], exec, -1
; %bb.2371:
	s_or_b64 exec, exec, s[8:9]
	s_and_b64 s[4:5], s[4:5], exec
	s_or_saveexec_b64 s[6:7], s[6:7]
	v_mov_b32_e32 v10, s10
	s_xor_b64 exec, exec, s[6:7]
	s_cbranch_execz .LBB42_322
.LBB42_2372:
	v_mov_b32_e32 v10, 0
	v_cmp_ne_u16_sdwa s[8:9], v16, v10 src0_sel:BYTE_0 src1_sel:DWORD
	s_andn2_b64 s[4:5], s[4:5], exec
	s_and_b64 s[8:9], s[8:9], exec
	s_or_b64 s[4:5], s[4:5], s[8:9]
	s_or_b64 exec, exec, s[6:7]
	s_and_saveexec_b64 s[6:7], s[4:5]
	s_cbranch_execnz .LBB42_323
	s_branch .LBB42_324
.LBB42_2373:
	s_movk_i32 s4, 0x80
	v_cmp_eq_u16_sdwa s[12:13], v12, s4 src0_sel:BYTE_0 src1_sel:DWORD
	s_mov_b64 s[4:5], -1
                                        ; implicit-def: $sgpr10
	s_and_saveexec_b64 s[8:9], s[12:13]
; %bb.2374:
	s_mov_b32 s10, 0x7f800001
	s_xor_b64 s[4:5], exec, -1
; %bb.2375:
	s_or_b64 exec, exec, s[8:9]
	s_and_b64 s[4:5], s[4:5], exec
	s_or_saveexec_b64 s[6:7], s[6:7]
	v_mov_b32_e32 v11, s10
	s_xor_b64 exec, exec, s[6:7]
	s_cbranch_execz .LBB42_326
.LBB42_2376:
	v_mov_b32_e32 v11, 0
	v_cmp_ne_u16_sdwa s[8:9], v12, v11 src0_sel:BYTE_0 src1_sel:DWORD
	s_andn2_b64 s[4:5], s[4:5], exec
	s_and_b64 s[8:9], s[8:9], exec
	s_or_b64 s[4:5], s[4:5], s[8:9]
	s_or_b64 exec, exec, s[6:7]
	s_and_saveexec_b64 s[6:7], s[4:5]
	s_cbranch_execnz .LBB42_327
	s_branch .LBB42_328
.LBB42_2377:
	s_movk_i32 s4, 0x80
	v_cmp_eq_u16_sdwa s[12:13], v11, s4 src0_sel:BYTE_0 src1_sel:DWORD
	s_mov_b64 s[4:5], -1
                                        ; implicit-def: $sgpr10
	s_and_saveexec_b64 s[8:9], s[12:13]
; %bb.2378:
	s_mov_b32 s10, 0x7f800001
	s_xor_b64 s[4:5], exec, -1
; %bb.2379:
	s_or_b64 exec, exec, s[8:9]
	s_and_b64 s[4:5], s[4:5], exec
	s_or_saveexec_b64 s[6:7], s[6:7]
	v_mov_b32_e32 v10, s10
	s_xor_b64 exec, exec, s[6:7]
	s_cbranch_execz .LBB42_330
.LBB42_2380:
	v_mov_b32_e32 v10, 0
	v_cmp_ne_u16_sdwa s[8:9], v11, v10 src0_sel:BYTE_0 src1_sel:DWORD
	s_andn2_b64 s[4:5], s[4:5], exec
	s_and_b64 s[8:9], s[8:9], exec
	s_or_b64 s[4:5], s[4:5], s[8:9]
	s_or_b64 exec, exec, s[6:7]
	s_and_saveexec_b64 s[6:7], s[4:5]
	s_cbranch_execnz .LBB42_331
	s_branch .LBB42_332
.LBB42_2381:
	s_movk_i32 s4, 0x80
	v_cmp_eq_u16_sdwa s[12:13], v11, s4 src0_sel:BYTE_0 src1_sel:DWORD
	s_mov_b64 s[4:5], -1
                                        ; implicit-def: $sgpr10
	s_and_saveexec_b64 s[8:9], s[12:13]
; %bb.2382:
	s_mov_b32 s10, 0x7f800001
	s_xor_b64 s[4:5], exec, -1
; %bb.2383:
	s_or_b64 exec, exec, s[8:9]
	s_and_b64 s[4:5], s[4:5], exec
	s_or_saveexec_b64 s[6:7], s[6:7]
	v_mov_b32_e32 v14, s10
	s_xor_b64 exec, exec, s[6:7]
	s_cbranch_execz .LBB42_334
.LBB42_2384:
	v_mov_b32_e32 v14, 0
	v_cmp_ne_u16_sdwa s[8:9], v11, v14 src0_sel:BYTE_0 src1_sel:DWORD
	s_andn2_b64 s[4:5], s[4:5], exec
	s_and_b64 s[8:9], s[8:9], exec
	s_or_b64 s[4:5], s[4:5], s[8:9]
	s_or_b64 exec, exec, s[6:7]
	s_and_saveexec_b64 s[6:7], s[4:5]
	s_cbranch_execnz .LBB42_335
	s_branch .LBB42_336
.LBB42_2385:
	s_movk_i32 s4, 0x80
	v_cmp_eq_u16_e32 vcc, s4, v11
	s_mov_b64 s[4:5], -1
                                        ; implicit-def: $sgpr10
	s_and_saveexec_b64 s[8:9], vcc
; %bb.2386:
	s_mov_b32 s10, 0x7f800001
	s_xor_b64 s[4:5], exec, -1
; %bb.2387:
	s_or_b64 exec, exec, s[8:9]
	s_and_b64 s[4:5], s[4:5], exec
                                        ; implicit-def: $vgpr11
	s_or_saveexec_b64 s[6:7], s[6:7]
	v_mov_b32_e32 v10, s10
	s_xor_b64 exec, exec, s[6:7]
	s_cbranch_execz .LBB42_338
.LBB42_2388:
	v_cmp_ne_u16_e32 vcc, 0, v11
	s_andn2_b64 s[4:5], s[4:5], exec
	s_and_b64 s[8:9], vcc, exec
	v_mov_b32_e32 v10, 0
	s_or_b64 s[4:5], s[4:5], s[8:9]
	s_or_b64 exec, exec, s[6:7]
	s_and_saveexec_b64 s[6:7], s[4:5]
	s_cbranch_execnz .LBB42_339
	s_branch .LBB42_340
.LBB42_2389:
	s_movk_i32 s4, 0x80
	v_cmp_eq_u16_e32 vcc, s4, v11
	s_mov_b64 s[4:5], -1
                                        ; implicit-def: $sgpr10
	s_and_saveexec_b64 s[8:9], vcc
; %bb.2390:
	s_mov_b32 s10, 0x7f800001
	s_xor_b64 s[4:5], exec, -1
; %bb.2391:
	s_or_b64 exec, exec, s[8:9]
	s_and_b64 s[4:5], s[4:5], exec
                                        ; implicit-def: $vgpr11
	s_or_saveexec_b64 s[6:7], s[6:7]
	v_mov_b32_e32 v14, s10
	s_xor_b64 exec, exec, s[6:7]
	s_cbranch_execz .LBB42_342
.LBB42_2392:
	v_cmp_ne_u16_e32 vcc, 0, v11
	s_andn2_b64 s[4:5], s[4:5], exec
	s_and_b64 s[8:9], vcc, exec
	v_mov_b32_e32 v14, 0
	s_or_b64 s[4:5], s[4:5], s[8:9]
	s_or_b64 exec, exec, s[6:7]
	s_and_saveexec_b64 s[6:7], s[4:5]
	s_cbranch_execnz .LBB42_343
	s_branch .LBB42_344
.LBB42_2393:
	s_movk_i32 s4, 0x80
	v_cmp_eq_u16_sdwa s[12:13], v16, s4 src0_sel:BYTE_3 src1_sel:DWORD
	s_mov_b64 s[4:5], -1
                                        ; implicit-def: $sgpr10
	s_and_saveexec_b64 s[8:9], s[12:13]
; %bb.2394:
	s_mov_b32 s10, 0x7f800001
	s_xor_b64 s[4:5], exec, -1
; %bb.2395:
	s_or_b64 exec, exec, s[8:9]
	s_and_b64 s[4:5], s[4:5], exec
	s_or_saveexec_b64 s[6:7], s[6:7]
	v_mov_b32_e32 v10, s10
	s_xor_b64 exec, exec, s[6:7]
	s_cbranch_execz .LBB42_346
.LBB42_2396:
	v_mov_b32_e32 v10, 0
	v_cmp_ne_u16_sdwa s[8:9], v16, v10 src0_sel:BYTE_3 src1_sel:DWORD
	s_andn2_b64 s[4:5], s[4:5], exec
	s_and_b64 s[8:9], s[8:9], exec
	s_or_b64 s[4:5], s[4:5], s[8:9]
	s_or_b64 exec, exec, s[6:7]
	s_and_saveexec_b64 s[6:7], s[4:5]
	s_cbranch_execnz .LBB42_347
	s_branch .LBB42_348
.LBB42_2397:
	s_movk_i32 s4, 0x80
	v_cmp_eq_u16_sdwa s[12:13], v12, s4 src0_sel:BYTE_3 src1_sel:DWORD
	s_mov_b64 s[4:5], -1
                                        ; implicit-def: $sgpr10
	s_and_saveexec_b64 s[8:9], s[12:13]
; %bb.2398:
	s_mov_b32 s10, 0x7f800001
	s_xor_b64 s[4:5], exec, -1
; %bb.2399:
	s_or_b64 exec, exec, s[8:9]
	s_and_b64 s[4:5], s[4:5], exec
	s_or_saveexec_b64 s[6:7], s[6:7]
	v_mov_b32_e32 v11, s10
	s_xor_b64 exec, exec, s[6:7]
	s_cbranch_execz .LBB42_350
.LBB42_2400:
	v_mov_b32_e32 v11, 0
	v_cmp_ne_u16_sdwa s[8:9], v12, v11 src0_sel:BYTE_3 src1_sel:DWORD
	s_andn2_b64 s[4:5], s[4:5], exec
	s_and_b64 s[8:9], s[8:9], exec
	s_or_b64 s[4:5], s[4:5], s[8:9]
	s_or_b64 exec, exec, s[6:7]
	s_and_saveexec_b64 s[6:7], s[4:5]
	s_cbranch_execnz .LBB42_351
	s_branch .LBB42_352
.LBB42_2401:
	s_movk_i32 s4, 0x80
	v_cmp_eq_u16_sdwa s[12:13], v17, s4 src0_sel:BYTE_0 src1_sel:DWORD
	s_mov_b64 s[4:5], -1
                                        ; implicit-def: $sgpr10
	s_and_saveexec_b64 s[8:9], s[12:13]
; %bb.2402:
	s_mov_b32 s10, 0x7f800001
	s_xor_b64 s[4:5], exec, -1
; %bb.2403:
	s_or_b64 exec, exec, s[8:9]
	s_and_b64 s[4:5], s[4:5], exec
	s_or_saveexec_b64 s[6:7], s[6:7]
	v_mov_b32_e32 v10, s10
	s_xor_b64 exec, exec, s[6:7]
	s_cbranch_execz .LBB42_354
.LBB42_2404:
	v_mov_b32_e32 v10, 0
	v_cmp_ne_u16_sdwa s[8:9], v17, v10 src0_sel:BYTE_0 src1_sel:DWORD
	s_andn2_b64 s[4:5], s[4:5], exec
	s_and_b64 s[8:9], s[8:9], exec
	s_or_b64 s[4:5], s[4:5], s[8:9]
	s_or_b64 exec, exec, s[6:7]
	s_and_saveexec_b64 s[6:7], s[4:5]
	s_cbranch_execnz .LBB42_355
	s_branch .LBB42_356
.LBB42_2405:
	s_movk_i32 s4, 0x80
	v_cmp_eq_u16_sdwa s[12:13], v13, s4 src0_sel:BYTE_0 src1_sel:DWORD
	s_mov_b64 s[4:5], -1
                                        ; implicit-def: $sgpr10
	s_and_saveexec_b64 s[8:9], s[12:13]
; %bb.2406:
	s_mov_b32 s10, 0x7f800001
	s_xor_b64 s[4:5], exec, -1
; %bb.2407:
	s_or_b64 exec, exec, s[8:9]
	s_and_b64 s[4:5], s[4:5], exec
	s_or_saveexec_b64 s[6:7], s[6:7]
	v_mov_b32_e32 v11, s10
	s_xor_b64 exec, exec, s[6:7]
	s_cbranch_execz .LBB42_358
.LBB42_2408:
	v_mov_b32_e32 v11, 0
	v_cmp_ne_u16_sdwa s[8:9], v13, v11 src0_sel:BYTE_0 src1_sel:DWORD
	s_andn2_b64 s[4:5], s[4:5], exec
	s_and_b64 s[8:9], s[8:9], exec
	s_or_b64 s[4:5], s[4:5], s[8:9]
	s_or_b64 exec, exec, s[6:7]
	s_and_saveexec_b64 s[6:7], s[4:5]
	s_cbranch_execnz .LBB42_359
	s_branch .LBB42_360
.LBB42_2409:
	s_movk_i32 s4, 0x80
	v_cmp_eq_u16_sdwa s[12:13], v11, s4 src0_sel:BYTE_0 src1_sel:DWORD
	s_mov_b64 s[4:5], -1
                                        ; implicit-def: $sgpr10
	s_and_saveexec_b64 s[8:9], s[12:13]
; %bb.2410:
	s_mov_b32 s10, 0x7f800001
	s_xor_b64 s[4:5], exec, -1
; %bb.2411:
	s_or_b64 exec, exec, s[8:9]
	s_and_b64 s[4:5], s[4:5], exec
	s_or_saveexec_b64 s[6:7], s[6:7]
	v_mov_b32_e32 v10, s10
	s_xor_b64 exec, exec, s[6:7]
	s_cbranch_execz .LBB42_362
.LBB42_2412:
	v_mov_b32_e32 v10, 0
	v_cmp_ne_u16_sdwa s[8:9], v11, v10 src0_sel:BYTE_0 src1_sel:DWORD
	s_andn2_b64 s[4:5], s[4:5], exec
	s_and_b64 s[8:9], s[8:9], exec
	s_or_b64 s[4:5], s[4:5], s[8:9]
	s_or_b64 exec, exec, s[6:7]
	s_and_saveexec_b64 s[6:7], s[4:5]
	s_cbranch_execnz .LBB42_363
	s_branch .LBB42_364
.LBB42_2413:
	s_movk_i32 s4, 0x80
	v_cmp_eq_u16_sdwa s[12:13], v11, s4 src0_sel:BYTE_0 src1_sel:DWORD
	s_mov_b64 s[4:5], -1
                                        ; implicit-def: $sgpr10
	s_and_saveexec_b64 s[8:9], s[12:13]
; %bb.2414:
	s_mov_b32 s10, 0x7f800001
	s_xor_b64 s[4:5], exec, -1
; %bb.2415:
	s_or_b64 exec, exec, s[8:9]
	s_and_b64 s[4:5], s[4:5], exec
	s_or_saveexec_b64 s[6:7], s[6:7]
	v_mov_b32_e32 v12, s10
	s_xor_b64 exec, exec, s[6:7]
	s_cbranch_execz .LBB42_366
.LBB42_2416:
	v_mov_b32_e32 v12, 0
	v_cmp_ne_u16_sdwa s[8:9], v11, v12 src0_sel:BYTE_0 src1_sel:DWORD
	s_andn2_b64 s[4:5], s[4:5], exec
	s_and_b64 s[8:9], s[8:9], exec
	s_or_b64 s[4:5], s[4:5], s[8:9]
	s_or_b64 exec, exec, s[6:7]
	s_and_saveexec_b64 s[6:7], s[4:5]
	s_cbranch_execnz .LBB42_367
	s_branch .LBB42_368
.LBB42_2417:
	s_movk_i32 s4, 0x80
	v_cmp_eq_u16_e32 vcc, s4, v11
	s_mov_b64 s[4:5], -1
                                        ; implicit-def: $sgpr10
	s_and_saveexec_b64 s[8:9], vcc
; %bb.2418:
	s_mov_b32 s10, 0x7f800001
	s_xor_b64 s[4:5], exec, -1
; %bb.2419:
	s_or_b64 exec, exec, s[8:9]
	s_and_b64 s[4:5], s[4:5], exec
                                        ; implicit-def: $vgpr11
	s_or_saveexec_b64 s[6:7], s[6:7]
	v_mov_b32_e32 v10, s10
	s_xor_b64 exec, exec, s[6:7]
	s_cbranch_execz .LBB42_370
.LBB42_2420:
	v_cmp_ne_u16_e32 vcc, 0, v11
	s_andn2_b64 s[4:5], s[4:5], exec
	s_and_b64 s[8:9], vcc, exec
	v_mov_b32_e32 v10, 0
	s_or_b64 s[4:5], s[4:5], s[8:9]
	s_or_b64 exec, exec, s[6:7]
	s_and_saveexec_b64 s[6:7], s[4:5]
	s_cbranch_execnz .LBB42_371
	s_branch .LBB42_372
.LBB42_2421:
	s_movk_i32 s4, 0x80
	v_cmp_eq_u16_e32 vcc, s4, v11
	s_mov_b64 s[4:5], -1
                                        ; implicit-def: $sgpr10
	s_and_saveexec_b64 s[8:9], vcc
; %bb.2422:
	s_mov_b32 s10, 0x7f800001
	s_xor_b64 s[4:5], exec, -1
; %bb.2423:
	s_or_b64 exec, exec, s[8:9]
	s_and_b64 s[4:5], s[4:5], exec
                                        ; implicit-def: $vgpr11
	s_or_saveexec_b64 s[6:7], s[6:7]
	v_mov_b32_e32 v12, s10
	s_xor_b64 exec, exec, s[6:7]
	s_cbranch_execz .LBB42_374
.LBB42_2424:
	v_cmp_ne_u16_e32 vcc, 0, v11
	s_andn2_b64 s[4:5], s[4:5], exec
	s_and_b64 s[8:9], vcc, exec
	v_mov_b32_e32 v12, 0
	s_or_b64 s[4:5], s[4:5], s[8:9]
	s_or_b64 exec, exec, s[6:7]
	s_and_saveexec_b64 s[6:7], s[4:5]
	s_cbranch_execnz .LBB42_375
	s_branch .LBB42_376
.LBB42_2425:
	s_movk_i32 s4, 0x80
	v_cmp_eq_u16_sdwa s[12:13], v17, s4 src0_sel:BYTE_3 src1_sel:DWORD
	s_mov_b64 s[4:5], -1
                                        ; implicit-def: $sgpr10
	s_and_saveexec_b64 s[8:9], s[12:13]
; %bb.2426:
	s_mov_b32 s10, 0x7f800001
	s_xor_b64 s[4:5], exec, -1
; %bb.2427:
	s_or_b64 exec, exec, s[8:9]
	s_and_b64 s[4:5], s[4:5], exec
	s_or_saveexec_b64 s[6:7], s[6:7]
	v_mov_b32_e32 v10, s10
	s_xor_b64 exec, exec, s[6:7]
	s_cbranch_execz .LBB42_378
.LBB42_2428:
	v_mov_b32_e32 v10, 0
	v_cmp_ne_u16_sdwa s[8:9], v17, v10 src0_sel:BYTE_3 src1_sel:DWORD
	s_andn2_b64 s[4:5], s[4:5], exec
	s_and_b64 s[8:9], s[8:9], exec
	s_or_b64 s[4:5], s[4:5], s[8:9]
	s_or_b64 exec, exec, s[6:7]
	s_and_saveexec_b64 s[6:7], s[4:5]
	s_cbranch_execnz .LBB42_379
	s_branch .LBB42_380
.LBB42_2429:
	s_movk_i32 s4, 0x80
	v_cmp_eq_u16_sdwa s[12:13], v13, s4 src0_sel:BYTE_3 src1_sel:DWORD
	s_mov_b64 s[4:5], -1
                                        ; implicit-def: $sgpr10
	s_and_saveexec_b64 s[8:9], s[12:13]
; %bb.2430:
	s_mov_b32 s10, 0x7f800001
	s_xor_b64 s[4:5], exec, -1
; %bb.2431:
	s_or_b64 exec, exec, s[8:9]
	s_and_b64 s[4:5], s[4:5], exec
	s_or_saveexec_b64 s[6:7], s[6:7]
	v_mov_b32_e32 v11, s10
	s_xor_b64 exec, exec, s[6:7]
	s_cbranch_execz .LBB42_382
.LBB42_2432:
	v_mov_b32_e32 v11, 0
	v_cmp_ne_u16_sdwa s[8:9], v13, v11 src0_sel:BYTE_3 src1_sel:DWORD
	s_andn2_b64 s[4:5], s[4:5], exec
	s_and_b64 s[8:9], s[8:9], exec
	s_or_b64 s[4:5], s[4:5], s[8:9]
	s_or_b64 exec, exec, s[6:7]
	s_and_saveexec_b64 s[6:7], s[4:5]
	s_cbranch_execnz .LBB42_383
	s_branch .LBB42_384
.LBB42_2433:
	s_movk_i32 s4, 0x80
	v_cmp_eq_u16_sdwa s[12:13], v6, s4 src0_sel:BYTE_0 src1_sel:DWORD
	s_mov_b64 s[4:5], -1
                                        ; implicit-def: $sgpr10
	s_and_saveexec_b64 s[8:9], s[12:13]
; %bb.2434:
	s_mov_b32 s10, 0x7f800001
	s_xor_b64 s[4:5], exec, -1
; %bb.2435:
	s_or_b64 exec, exec, s[8:9]
	s_and_b64 s[4:5], s[4:5], exec
	s_or_saveexec_b64 s[6:7], s[6:7]
	v_mov_b32_e32 v10, s10
	s_xor_b64 exec, exec, s[6:7]
	s_cbranch_execz .LBB42_386
.LBB42_2436:
	v_mov_b32_e32 v10, 0
	v_cmp_ne_u16_sdwa s[8:9], v6, v10 src0_sel:BYTE_0 src1_sel:DWORD
	s_andn2_b64 s[4:5], s[4:5], exec
	s_and_b64 s[8:9], s[8:9], exec
	s_or_b64 s[4:5], s[4:5], s[8:9]
	s_or_b64 exec, exec, s[6:7]
	s_and_saveexec_b64 s[6:7], s[4:5]
	s_cbranch_execnz .LBB42_387
	s_branch .LBB42_388
.LBB42_2437:
	s_movk_i32 s4, 0x80
	v_cmp_eq_u16_sdwa s[12:13], v2, s4 src0_sel:BYTE_0 src1_sel:DWORD
	s_mov_b64 s[4:5], -1
                                        ; implicit-def: $sgpr10
	s_and_saveexec_b64 s[8:9], s[12:13]
; %bb.2438:
	s_mov_b32 s10, 0x7f800001
	s_xor_b64 s[4:5], exec, -1
; %bb.2439:
	s_or_b64 exec, exec, s[8:9]
	s_and_b64 s[4:5], s[4:5], exec
	s_or_saveexec_b64 s[6:7], s[6:7]
	v_mov_b32_e32 v11, s10
	s_xor_b64 exec, exec, s[6:7]
	s_cbranch_execz .LBB42_390
.LBB42_2440:
	v_mov_b32_e32 v11, 0
	v_cmp_ne_u16_sdwa s[8:9], v2, v11 src0_sel:BYTE_0 src1_sel:DWORD
	s_andn2_b64 s[4:5], s[4:5], exec
	s_and_b64 s[8:9], s[8:9], exec
	s_or_b64 s[4:5], s[4:5], s[8:9]
	s_or_b64 exec, exec, s[6:7]
	s_and_saveexec_b64 s[6:7], s[4:5]
	s_cbranch_execnz .LBB42_391
	s_branch .LBB42_392
.LBB42_2441:
	s_movk_i32 s4, 0x80
	v_cmp_eq_u16_sdwa s[12:13], v11, s4 src0_sel:BYTE_0 src1_sel:DWORD
	s_mov_b64 s[4:5], -1
                                        ; implicit-def: $sgpr10
	s_and_saveexec_b64 s[8:9], s[12:13]
; %bb.2442:
	s_mov_b32 s10, 0x7f800001
	s_xor_b64 s[4:5], exec, -1
; %bb.2443:
	s_or_b64 exec, exec, s[8:9]
	s_and_b64 s[4:5], s[4:5], exec
	s_or_saveexec_b64 s[6:7], s[6:7]
	v_mov_b32_e32 v10, s10
	s_xor_b64 exec, exec, s[6:7]
	s_cbranch_execz .LBB42_394
.LBB42_2444:
	v_mov_b32_e32 v10, 0
	v_cmp_ne_u16_sdwa s[8:9], v11, v10 src0_sel:BYTE_0 src1_sel:DWORD
	s_andn2_b64 s[4:5], s[4:5], exec
	s_and_b64 s[8:9], s[8:9], exec
	s_or_b64 s[4:5], s[4:5], s[8:9]
	s_or_b64 exec, exec, s[6:7]
	s_and_saveexec_b64 s[6:7], s[4:5]
	s_cbranch_execnz .LBB42_395
	s_branch .LBB42_396
.LBB42_2445:
	s_movk_i32 s4, 0x80
	v_cmp_eq_u16_sdwa s[12:13], v11, s4 src0_sel:BYTE_0 src1_sel:DWORD
	s_mov_b64 s[4:5], -1
                                        ; implicit-def: $sgpr10
	s_and_saveexec_b64 s[8:9], s[12:13]
; %bb.2446:
	s_mov_b32 s10, 0x7f800001
	s_xor_b64 s[4:5], exec, -1
; %bb.2447:
	s_or_b64 exec, exec, s[8:9]
	s_and_b64 s[4:5], s[4:5], exec
	s_or_saveexec_b64 s[6:7], s[6:7]
	v_mov_b32_e32 v12, s10
	s_xor_b64 exec, exec, s[6:7]
	s_cbranch_execz .LBB42_398
.LBB42_2448:
	v_mov_b32_e32 v12, 0
	v_cmp_ne_u16_sdwa s[8:9], v11, v12 src0_sel:BYTE_0 src1_sel:DWORD
	s_andn2_b64 s[4:5], s[4:5], exec
	s_and_b64 s[8:9], s[8:9], exec
	s_or_b64 s[4:5], s[4:5], s[8:9]
	s_or_b64 exec, exec, s[6:7]
	s_and_saveexec_b64 s[6:7], s[4:5]
	s_cbranch_execnz .LBB42_399
	s_branch .LBB42_400
.LBB42_2449:
	s_movk_i32 s4, 0x80
	v_cmp_eq_u16_e32 vcc, s4, v11
	s_mov_b64 s[4:5], -1
                                        ; implicit-def: $sgpr10
	s_and_saveexec_b64 s[8:9], vcc
; %bb.2450:
	s_mov_b32 s10, 0x7f800001
	s_xor_b64 s[4:5], exec, -1
; %bb.2451:
	s_or_b64 exec, exec, s[8:9]
	s_and_b64 s[4:5], s[4:5], exec
                                        ; implicit-def: $vgpr11
	s_or_saveexec_b64 s[6:7], s[6:7]
	v_mov_b32_e32 v10, s10
	s_xor_b64 exec, exec, s[6:7]
	s_cbranch_execz .LBB42_402
.LBB42_2452:
	v_cmp_ne_u16_e32 vcc, 0, v11
	s_andn2_b64 s[4:5], s[4:5], exec
	s_and_b64 s[8:9], vcc, exec
	v_mov_b32_e32 v10, 0
	s_or_b64 s[4:5], s[4:5], s[8:9]
	s_or_b64 exec, exec, s[6:7]
	s_and_saveexec_b64 s[6:7], s[4:5]
	s_cbranch_execnz .LBB42_403
	s_branch .LBB42_404
.LBB42_2453:
	s_movk_i32 s4, 0x80
	v_cmp_eq_u16_e32 vcc, s4, v11
	s_mov_b64 s[4:5], -1
                                        ; implicit-def: $sgpr10
	s_and_saveexec_b64 s[8:9], vcc
; %bb.2454:
	s_mov_b32 s10, 0x7f800001
	s_xor_b64 s[4:5], exec, -1
; %bb.2455:
	s_or_b64 exec, exec, s[8:9]
	s_and_b64 s[4:5], s[4:5], exec
                                        ; implicit-def: $vgpr11
	s_or_saveexec_b64 s[6:7], s[6:7]
	v_mov_b32_e32 v12, s10
	s_xor_b64 exec, exec, s[6:7]
	s_cbranch_execz .LBB42_406
.LBB42_2456:
	v_cmp_ne_u16_e32 vcc, 0, v11
	s_andn2_b64 s[4:5], s[4:5], exec
	s_and_b64 s[8:9], vcc, exec
	v_mov_b32_e32 v12, 0
	s_or_b64 s[4:5], s[4:5], s[8:9]
	s_or_b64 exec, exec, s[6:7]
	s_and_saveexec_b64 s[6:7], s[4:5]
	s_cbranch_execnz .LBB42_407
	s_branch .LBB42_408
.LBB42_2457:
	s_movk_i32 s4, 0x80
	v_cmp_eq_u16_sdwa s[12:13], v6, s4 src0_sel:BYTE_3 src1_sel:DWORD
	s_mov_b64 s[4:5], -1
                                        ; implicit-def: $sgpr10
	s_and_saveexec_b64 s[8:9], s[12:13]
; %bb.2458:
	s_mov_b32 s10, 0x7f800001
	s_xor_b64 s[4:5], exec, -1
; %bb.2459:
	s_or_b64 exec, exec, s[8:9]
	s_and_b64 s[4:5], s[4:5], exec
	s_or_saveexec_b64 s[6:7], s[6:7]
	v_mov_b32_e32 v10, s10
	s_xor_b64 exec, exec, s[6:7]
	s_cbranch_execz .LBB42_410
.LBB42_2460:
	v_mov_b32_e32 v10, 0
	v_cmp_ne_u16_sdwa s[8:9], v6, v10 src0_sel:BYTE_3 src1_sel:DWORD
	s_andn2_b64 s[4:5], s[4:5], exec
	s_and_b64 s[8:9], s[8:9], exec
	s_or_b64 s[4:5], s[4:5], s[8:9]
	s_or_b64 exec, exec, s[6:7]
	s_and_saveexec_b64 s[6:7], s[4:5]
	s_cbranch_execnz .LBB42_411
	s_branch .LBB42_412
.LBB42_2461:
	s_movk_i32 s4, 0x80
	v_cmp_eq_u16_sdwa s[12:13], v2, s4 src0_sel:BYTE_3 src1_sel:DWORD
	s_mov_b64 s[4:5], -1
                                        ; implicit-def: $sgpr10
	s_and_saveexec_b64 s[8:9], s[12:13]
; %bb.2462:
	s_mov_b32 s10, 0x7f800001
	s_xor_b64 s[4:5], exec, -1
; %bb.2463:
	s_or_b64 exec, exec, s[8:9]
	s_and_b64 s[4:5], s[4:5], exec
	s_or_saveexec_b64 s[6:7], s[6:7]
	v_mov_b32_e32 v6, s10
	s_xor_b64 exec, exec, s[6:7]
	s_cbranch_execz .LBB42_414
.LBB42_2464:
	v_mov_b32_e32 v6, 0
	v_cmp_ne_u16_sdwa s[8:9], v2, v6 src0_sel:BYTE_3 src1_sel:DWORD
	s_andn2_b64 s[4:5], s[4:5], exec
	s_and_b64 s[8:9], s[8:9], exec
	s_or_b64 s[4:5], s[4:5], s[8:9]
	s_or_b64 exec, exec, s[6:7]
	s_and_saveexec_b64 s[6:7], s[4:5]
	s_cbranch_execnz .LBB42_415
	s_branch .LBB42_416
.LBB42_2465:
	s_movk_i32 s4, 0x80
	v_cmp_eq_u16_sdwa s[12:13], v7, s4 src0_sel:BYTE_0 src1_sel:DWORD
	s_mov_b64 s[4:5], -1
                                        ; implicit-def: $sgpr10
	s_and_saveexec_b64 s[8:9], s[12:13]
; %bb.2466:
	s_mov_b32 s10, 0x7f800001
	s_xor_b64 s[4:5], exec, -1
; %bb.2467:
	s_or_b64 exec, exec, s[8:9]
	s_and_b64 s[4:5], s[4:5], exec
	s_or_saveexec_b64 s[6:7], s[6:7]
	v_mov_b32_e32 v2, s10
	s_xor_b64 exec, exec, s[6:7]
	s_cbranch_execz .LBB42_418
.LBB42_2468:
	v_mov_b32_e32 v2, 0
	v_cmp_ne_u16_sdwa s[8:9], v7, v2 src0_sel:BYTE_0 src1_sel:DWORD
	s_andn2_b64 s[4:5], s[4:5], exec
	s_and_b64 s[8:9], s[8:9], exec
	s_or_b64 s[4:5], s[4:5], s[8:9]
	s_or_b64 exec, exec, s[6:7]
	s_and_saveexec_b64 s[6:7], s[4:5]
	s_cbranch_execnz .LBB42_419
	s_branch .LBB42_420
.LBB42_2469:
	s_movk_i32 s4, 0x80
	v_cmp_eq_u16_sdwa s[12:13], v3, s4 src0_sel:BYTE_0 src1_sel:DWORD
	s_mov_b64 s[4:5], -1
                                        ; implicit-def: $sgpr10
	s_and_saveexec_b64 s[8:9], s[12:13]
; %bb.2470:
	s_mov_b32 s10, 0x7f800001
	s_xor_b64 s[4:5], exec, -1
; %bb.2471:
	s_or_b64 exec, exec, s[8:9]
	s_and_b64 s[4:5], s[4:5], exec
	s_or_saveexec_b64 s[6:7], s[6:7]
	v_mov_b32_e32 v6, s10
	s_xor_b64 exec, exec, s[6:7]
	s_cbranch_execz .LBB42_422
.LBB42_2472:
	v_mov_b32_e32 v6, 0
	v_cmp_ne_u16_sdwa s[8:9], v3, v6 src0_sel:BYTE_0 src1_sel:DWORD
	s_andn2_b64 s[4:5], s[4:5], exec
	s_and_b64 s[8:9], s[8:9], exec
	s_or_b64 s[4:5], s[4:5], s[8:9]
	s_or_b64 exec, exec, s[6:7]
	s_and_saveexec_b64 s[6:7], s[4:5]
	s_cbranch_execnz .LBB42_423
	s_branch .LBB42_424
.LBB42_2473:
	s_movk_i32 s4, 0x80
	v_cmp_eq_u16_sdwa s[12:13], v6, s4 src0_sel:BYTE_0 src1_sel:DWORD
	s_mov_b64 s[4:5], -1
                                        ; implicit-def: $sgpr10
	s_and_saveexec_b64 s[8:9], s[12:13]
; %bb.2474:
	s_mov_b32 s10, 0x7f800001
	s_xor_b64 s[4:5], exec, -1
; %bb.2475:
	s_or_b64 exec, exec, s[8:9]
	s_and_b64 s[4:5], s[4:5], exec
	s_or_saveexec_b64 s[6:7], s[6:7]
	v_mov_b32_e32 v2, s10
	s_xor_b64 exec, exec, s[6:7]
	s_cbranch_execz .LBB42_426
.LBB42_2476:
	v_mov_b32_e32 v2, 0
	v_cmp_ne_u16_sdwa s[8:9], v6, v2 src0_sel:BYTE_0 src1_sel:DWORD
	s_andn2_b64 s[4:5], s[4:5], exec
	s_and_b64 s[8:9], s[8:9], exec
	s_or_b64 s[4:5], s[4:5], s[8:9]
	s_or_b64 exec, exec, s[6:7]
	s_and_saveexec_b64 s[6:7], s[4:5]
	s_cbranch_execnz .LBB42_427
	s_branch .LBB42_428
.LBB42_2477:
	s_movk_i32 s4, 0x80
	v_cmp_eq_u16_sdwa s[12:13], v6, s4 src0_sel:BYTE_0 src1_sel:DWORD
	s_mov_b64 s[4:5], -1
                                        ; implicit-def: $sgpr10
	s_and_saveexec_b64 s[8:9], s[12:13]
; %bb.2478:
	s_mov_b32 s10, 0x7f800001
	s_xor_b64 s[4:5], exec, -1
; %bb.2479:
	s_or_b64 exec, exec, s[8:9]
	s_and_b64 s[4:5], s[4:5], exec
	s_or_saveexec_b64 s[6:7], s[6:7]
	v_mov_b32_e32 v10, s10
	s_xor_b64 exec, exec, s[6:7]
	s_cbranch_execz .LBB42_430
.LBB42_2480:
	v_mov_b32_e32 v10, 0
	v_cmp_ne_u16_sdwa s[8:9], v6, v10 src0_sel:BYTE_0 src1_sel:DWORD
	s_andn2_b64 s[4:5], s[4:5], exec
	s_and_b64 s[8:9], s[8:9], exec
	s_or_b64 s[4:5], s[4:5], s[8:9]
	s_or_b64 exec, exec, s[6:7]
	s_and_saveexec_b64 s[6:7], s[4:5]
	s_cbranch_execnz .LBB42_431
	s_branch .LBB42_432
.LBB42_2481:
	s_movk_i32 s4, 0x80
	v_cmp_eq_u16_e32 vcc, s4, v6
	s_mov_b64 s[4:5], -1
                                        ; implicit-def: $sgpr10
	s_and_saveexec_b64 s[8:9], vcc
; %bb.2482:
	s_mov_b32 s10, 0x7f800001
	s_xor_b64 s[4:5], exec, -1
; %bb.2483:
	s_or_b64 exec, exec, s[8:9]
	s_and_b64 s[4:5], s[4:5], exec
                                        ; implicit-def: $vgpr6
	s_or_saveexec_b64 s[6:7], s[6:7]
	v_mov_b32_e32 v2, s10
	s_xor_b64 exec, exec, s[6:7]
	s_cbranch_execz .LBB42_434
.LBB42_2484:
	v_cmp_ne_u16_e32 vcc, 0, v6
	s_andn2_b64 s[4:5], s[4:5], exec
	s_and_b64 s[8:9], vcc, exec
	v_mov_b32_e32 v2, 0
	s_or_b64 s[4:5], s[4:5], s[8:9]
	s_or_b64 exec, exec, s[6:7]
	s_and_saveexec_b64 s[6:7], s[4:5]
	s_cbranch_execnz .LBB42_435
	s_branch .LBB42_436
.LBB42_2485:
	s_movk_i32 s4, 0x80
	v_cmp_eq_u16_e32 vcc, s4, v6
	s_mov_b64 s[4:5], -1
                                        ; implicit-def: $sgpr10
	s_and_saveexec_b64 s[8:9], vcc
; %bb.2486:
	s_mov_b32 s10, 0x7f800001
	s_xor_b64 s[4:5], exec, -1
; %bb.2487:
	s_or_b64 exec, exec, s[8:9]
	s_and_b64 s[4:5], s[4:5], exec
                                        ; implicit-def: $vgpr6
	s_or_saveexec_b64 s[6:7], s[6:7]
	v_mov_b32_e32 v10, s10
	s_xor_b64 exec, exec, s[6:7]
	s_cbranch_execz .LBB42_438
.LBB42_2488:
	v_cmp_ne_u16_e32 vcc, 0, v6
	s_andn2_b64 s[4:5], s[4:5], exec
	s_and_b64 s[8:9], vcc, exec
	v_mov_b32_e32 v10, 0
	s_or_b64 s[4:5], s[4:5], s[8:9]
	s_or_b64 exec, exec, s[6:7]
	s_and_saveexec_b64 s[6:7], s[4:5]
	s_cbranch_execnz .LBB42_439
	s_branch .LBB42_440
.LBB42_2489:
	s_movk_i32 s4, 0x80
	v_cmp_eq_u16_sdwa s[12:13], v7, s4 src0_sel:BYTE_3 src1_sel:DWORD
	s_mov_b64 s[4:5], -1
                                        ; implicit-def: $sgpr10
	s_and_saveexec_b64 s[8:9], s[12:13]
; %bb.2490:
	s_mov_b32 s10, 0x7f800001
	s_xor_b64 s[4:5], exec, -1
; %bb.2491:
	s_or_b64 exec, exec, s[8:9]
	s_and_b64 s[4:5], s[4:5], exec
	s_or_saveexec_b64 s[6:7], s[6:7]
	v_mov_b32_e32 v2, s10
	s_xor_b64 exec, exec, s[6:7]
	s_cbranch_execz .LBB42_442
.LBB42_2492:
	v_mov_b32_e32 v2, 0
	v_cmp_ne_u16_sdwa s[8:9], v7, v2 src0_sel:BYTE_3 src1_sel:DWORD
	s_andn2_b64 s[4:5], s[4:5], exec
	s_and_b64 s[8:9], s[8:9], exec
	s_or_b64 s[4:5], s[4:5], s[8:9]
	s_or_b64 exec, exec, s[6:7]
	s_and_saveexec_b64 s[6:7], s[4:5]
	s_cbranch_execnz .LBB42_443
	s_branch .LBB42_444
.LBB42_2493:
	s_movk_i32 s4, 0x80
	v_cmp_eq_u16_sdwa s[12:13], v3, s4 src0_sel:BYTE_3 src1_sel:DWORD
	s_mov_b64 s[4:5], -1
                                        ; implicit-def: $sgpr10
	s_and_saveexec_b64 s[8:9], s[12:13]
; %bb.2494:
	s_mov_b32 s10, 0x7f800001
	s_xor_b64 s[4:5], exec, -1
; %bb.2495:
	s_or_b64 exec, exec, s[8:9]
	s_and_b64 s[4:5], s[4:5], exec
	s_or_saveexec_b64 s[6:7], s[6:7]
	v_mov_b32_e32 v6, s10
	s_xor_b64 exec, exec, s[6:7]
	s_cbranch_execz .LBB42_446
.LBB42_2496:
	v_mov_b32_e32 v6, 0
	v_cmp_ne_u16_sdwa s[8:9], v3, v6 src0_sel:BYTE_3 src1_sel:DWORD
	s_andn2_b64 s[4:5], s[4:5], exec
	s_and_b64 s[8:9], s[8:9], exec
	s_or_b64 s[4:5], s[4:5], s[8:9]
	s_or_b64 exec, exec, s[6:7]
	s_and_saveexec_b64 s[6:7], s[4:5]
	s_cbranch_execnz .LBB42_447
	s_branch .LBB42_448
.LBB42_2497:
	s_movk_i32 s4, 0x80
	v_cmp_eq_u16_sdwa s[12:13], v8, s4 src0_sel:BYTE_0 src1_sel:DWORD
	s_mov_b64 s[4:5], -1
                                        ; implicit-def: $sgpr10
	s_and_saveexec_b64 s[8:9], s[12:13]
; %bb.2498:
	s_mov_b32 s10, 0x7f800001
	s_xor_b64 s[4:5], exec, -1
; %bb.2499:
	s_or_b64 exec, exec, s[8:9]
	s_and_b64 s[4:5], s[4:5], exec
	s_or_saveexec_b64 s[6:7], s[6:7]
	v_mov_b32_e32 v2, s10
	s_xor_b64 exec, exec, s[6:7]
	s_cbranch_execz .LBB42_450
.LBB42_2500:
	v_mov_b32_e32 v2, 0
	v_cmp_ne_u16_sdwa s[8:9], v8, v2 src0_sel:BYTE_0 src1_sel:DWORD
	s_andn2_b64 s[4:5], s[4:5], exec
	s_and_b64 s[8:9], s[8:9], exec
	s_or_b64 s[4:5], s[4:5], s[8:9]
	s_or_b64 exec, exec, s[6:7]
	s_and_saveexec_b64 s[6:7], s[4:5]
	s_cbranch_execnz .LBB42_451
	s_branch .LBB42_452
.LBB42_2501:
	s_movk_i32 s4, 0x80
	v_cmp_eq_u16_sdwa s[12:13], v4, s4 src0_sel:BYTE_0 src1_sel:DWORD
	s_mov_b64 s[4:5], -1
                                        ; implicit-def: $sgpr10
	s_and_saveexec_b64 s[8:9], s[12:13]
; %bb.2502:
	s_mov_b32 s10, 0x7f800001
	s_xor_b64 s[4:5], exec, -1
; %bb.2503:
	s_or_b64 exec, exec, s[8:9]
	s_and_b64 s[4:5], s[4:5], exec
	s_or_saveexec_b64 s[6:7], s[6:7]
	v_mov_b32_e32 v3, s10
	s_xor_b64 exec, exec, s[6:7]
	s_cbranch_execz .LBB42_454
.LBB42_2504:
	v_mov_b32_e32 v3, 0
	v_cmp_ne_u16_sdwa s[8:9], v4, v3 src0_sel:BYTE_0 src1_sel:DWORD
	s_andn2_b64 s[4:5], s[4:5], exec
	s_and_b64 s[8:9], s[8:9], exec
	s_or_b64 s[4:5], s[4:5], s[8:9]
	s_or_b64 exec, exec, s[6:7]
	s_and_saveexec_b64 s[6:7], s[4:5]
	s_cbranch_execnz .LBB42_455
	s_branch .LBB42_456
.LBB42_2505:
	s_movk_i32 s4, 0x80
	v_cmp_eq_u16_sdwa s[12:13], v3, s4 src0_sel:BYTE_0 src1_sel:DWORD
	s_mov_b64 s[4:5], -1
                                        ; implicit-def: $sgpr10
	s_and_saveexec_b64 s[8:9], s[12:13]
; %bb.2506:
	s_mov_b32 s10, 0x7f800001
	s_xor_b64 s[4:5], exec, -1
; %bb.2507:
	s_or_b64 exec, exec, s[8:9]
	s_and_b64 s[4:5], s[4:5], exec
	s_or_saveexec_b64 s[6:7], s[6:7]
	v_mov_b32_e32 v2, s10
	s_xor_b64 exec, exec, s[6:7]
	s_cbranch_execz .LBB42_458
.LBB42_2508:
	v_mov_b32_e32 v2, 0
	v_cmp_ne_u16_sdwa s[8:9], v3, v2 src0_sel:BYTE_0 src1_sel:DWORD
	s_andn2_b64 s[4:5], s[4:5], exec
	s_and_b64 s[8:9], s[8:9], exec
	s_or_b64 s[4:5], s[4:5], s[8:9]
	s_or_b64 exec, exec, s[6:7]
	s_and_saveexec_b64 s[6:7], s[4:5]
	s_cbranch_execnz .LBB42_459
	s_branch .LBB42_460
.LBB42_2509:
	s_movk_i32 s4, 0x80
	v_cmp_eq_u16_sdwa s[12:13], v3, s4 src0_sel:BYTE_0 src1_sel:DWORD
	s_mov_b64 s[4:5], -1
                                        ; implicit-def: $sgpr10
	s_and_saveexec_b64 s[8:9], s[12:13]
; %bb.2510:
	s_mov_b32 s10, 0x7f800001
	s_xor_b64 s[4:5], exec, -1
; %bb.2511:
	s_or_b64 exec, exec, s[8:9]
	s_and_b64 s[4:5], s[4:5], exec
	s_or_saveexec_b64 s[6:7], s[6:7]
	v_mov_b32_e32 v6, s10
	s_xor_b64 exec, exec, s[6:7]
	s_cbranch_execz .LBB42_462
.LBB42_2512:
	v_mov_b32_e32 v6, 0
	v_cmp_ne_u16_sdwa s[8:9], v3, v6 src0_sel:BYTE_0 src1_sel:DWORD
	s_andn2_b64 s[4:5], s[4:5], exec
	s_and_b64 s[8:9], s[8:9], exec
	s_or_b64 s[4:5], s[4:5], s[8:9]
	s_or_b64 exec, exec, s[6:7]
	s_and_saveexec_b64 s[6:7], s[4:5]
	s_cbranch_execnz .LBB42_463
	s_branch .LBB42_464
.LBB42_2513:
	s_movk_i32 s4, 0x80
	v_cmp_eq_u16_e32 vcc, s4, v3
	s_mov_b64 s[4:5], -1
                                        ; implicit-def: $sgpr10
	s_and_saveexec_b64 s[8:9], vcc
; %bb.2514:
	s_mov_b32 s10, 0x7f800001
	s_xor_b64 s[4:5], exec, -1
; %bb.2515:
	s_or_b64 exec, exec, s[8:9]
	s_and_b64 s[4:5], s[4:5], exec
                                        ; implicit-def: $vgpr3
	s_or_saveexec_b64 s[6:7], s[6:7]
	v_mov_b32_e32 v2, s10
	s_xor_b64 exec, exec, s[6:7]
	s_cbranch_execz .LBB42_466
.LBB42_2516:
	v_cmp_ne_u16_e32 vcc, 0, v3
	s_andn2_b64 s[4:5], s[4:5], exec
	s_and_b64 s[8:9], vcc, exec
	v_mov_b32_e32 v2, 0
	s_or_b64 s[4:5], s[4:5], s[8:9]
	s_or_b64 exec, exec, s[6:7]
	s_and_saveexec_b64 s[6:7], s[4:5]
	s_cbranch_execnz .LBB42_467
	s_branch .LBB42_468
.LBB42_2517:
	s_movk_i32 s4, 0x80
	v_cmp_eq_u16_e32 vcc, s4, v3
	s_mov_b64 s[4:5], -1
                                        ; implicit-def: $sgpr10
	s_and_saveexec_b64 s[8:9], vcc
; %bb.2518:
	s_mov_b32 s10, 0x7f800001
	s_xor_b64 s[4:5], exec, -1
; %bb.2519:
	s_or_b64 exec, exec, s[8:9]
	s_and_b64 s[4:5], s[4:5], exec
                                        ; implicit-def: $vgpr3
	s_or_saveexec_b64 s[6:7], s[6:7]
	v_mov_b32_e32 v6, s10
	s_xor_b64 exec, exec, s[6:7]
	s_cbranch_execz .LBB42_470
.LBB42_2520:
	v_cmp_ne_u16_e32 vcc, 0, v3
	s_andn2_b64 s[4:5], s[4:5], exec
	s_and_b64 s[8:9], vcc, exec
	v_mov_b32_e32 v6, 0
	s_or_b64 s[4:5], s[4:5], s[8:9]
	s_or_b64 exec, exec, s[6:7]
	s_and_saveexec_b64 s[6:7], s[4:5]
	s_cbranch_execnz .LBB42_471
	s_branch .LBB42_472
.LBB42_2521:
	s_movk_i32 s4, 0x80
	v_cmp_eq_u16_sdwa s[12:13], v8, s4 src0_sel:BYTE_3 src1_sel:DWORD
	s_mov_b64 s[4:5], -1
                                        ; implicit-def: $sgpr10
	s_and_saveexec_b64 s[8:9], s[12:13]
; %bb.2522:
	s_mov_b32 s10, 0x7f800001
	s_xor_b64 s[4:5], exec, -1
; %bb.2523:
	s_or_b64 exec, exec, s[8:9]
	s_and_b64 s[4:5], s[4:5], exec
	s_or_saveexec_b64 s[6:7], s[6:7]
	v_mov_b32_e32 v2, s10
	s_xor_b64 exec, exec, s[6:7]
	s_cbranch_execz .LBB42_474
.LBB42_2524:
	v_mov_b32_e32 v2, 0
	v_cmp_ne_u16_sdwa s[8:9], v8, v2 src0_sel:BYTE_3 src1_sel:DWORD
	s_andn2_b64 s[4:5], s[4:5], exec
	s_and_b64 s[8:9], s[8:9], exec
	s_or_b64 s[4:5], s[4:5], s[8:9]
	s_or_b64 exec, exec, s[6:7]
	s_and_saveexec_b64 s[6:7], s[4:5]
	s_cbranch_execnz .LBB42_475
	s_branch .LBB42_476
.LBB42_2525:
	s_movk_i32 s4, 0x80
	v_cmp_eq_u16_sdwa s[12:13], v4, s4 src0_sel:BYTE_3 src1_sel:DWORD
	s_mov_b64 s[4:5], -1
                                        ; implicit-def: $sgpr10
	s_and_saveexec_b64 s[8:9], s[12:13]
; %bb.2526:
	s_mov_b32 s10, 0x7f800001
	s_xor_b64 s[4:5], exec, -1
; %bb.2527:
	s_or_b64 exec, exec, s[8:9]
	s_and_b64 s[4:5], s[4:5], exec
	s_or_saveexec_b64 s[6:7], s[6:7]
	v_mov_b32_e32 v3, s10
	s_xor_b64 exec, exec, s[6:7]
	s_cbranch_execz .LBB42_478
.LBB42_2528:
	v_mov_b32_e32 v3, 0
	v_cmp_ne_u16_sdwa s[8:9], v4, v3 src0_sel:BYTE_3 src1_sel:DWORD
	s_andn2_b64 s[4:5], s[4:5], exec
	s_and_b64 s[8:9], s[8:9], exec
	s_or_b64 s[4:5], s[4:5], s[8:9]
	s_or_b64 exec, exec, s[6:7]
	s_and_saveexec_b64 s[6:7], s[4:5]
	s_cbranch_execnz .LBB42_479
	s_branch .LBB42_480
.LBB42_2529:
	s_movk_i32 s4, 0x80
	v_cmp_eq_u16_sdwa s[12:13], v9, s4 src0_sel:BYTE_0 src1_sel:DWORD
	s_mov_b64 s[4:5], -1
                                        ; implicit-def: $sgpr10
	s_and_saveexec_b64 s[8:9], s[12:13]
; %bb.2530:
	s_mov_b32 s10, 0x7f800001
	s_xor_b64 s[4:5], exec, -1
; %bb.2531:
	s_or_b64 exec, exec, s[8:9]
	s_and_b64 s[4:5], s[4:5], exec
	s_or_saveexec_b64 s[6:7], s[6:7]
	v_mov_b32_e32 v2, s10
	s_xor_b64 exec, exec, s[6:7]
	s_cbranch_execz .LBB42_482
.LBB42_2532:
	v_mov_b32_e32 v2, 0
	v_cmp_ne_u16_sdwa s[8:9], v9, v2 src0_sel:BYTE_0 src1_sel:DWORD
	s_andn2_b64 s[4:5], s[4:5], exec
	s_and_b64 s[8:9], s[8:9], exec
	s_or_b64 s[4:5], s[4:5], s[8:9]
	s_or_b64 exec, exec, s[6:7]
	s_and_saveexec_b64 s[6:7], s[4:5]
	s_cbranch_execnz .LBB42_483
	s_branch .LBB42_484
.LBB42_2533:
	s_movk_i32 s4, 0x80
	v_cmp_eq_u16_sdwa s[12:13], v5, s4 src0_sel:BYTE_0 src1_sel:DWORD
	s_mov_b64 s[4:5], -1
                                        ; implicit-def: $sgpr10
	s_and_saveexec_b64 s[8:9], s[12:13]
; %bb.2534:
	s_mov_b32 s10, 0x7f800001
	s_xor_b64 s[4:5], exec, -1
; %bb.2535:
	s_or_b64 exec, exec, s[8:9]
	s_and_b64 s[4:5], s[4:5], exec
	s_or_saveexec_b64 s[6:7], s[6:7]
	v_mov_b32_e32 v3, s10
	s_xor_b64 exec, exec, s[6:7]
	s_cbranch_execz .LBB42_486
.LBB42_2536:
	v_mov_b32_e32 v3, 0
	v_cmp_ne_u16_sdwa s[8:9], v5, v3 src0_sel:BYTE_0 src1_sel:DWORD
	s_andn2_b64 s[4:5], s[4:5], exec
	s_and_b64 s[8:9], s[8:9], exec
	s_or_b64 s[4:5], s[4:5], s[8:9]
	s_or_b64 exec, exec, s[6:7]
	s_and_saveexec_b64 s[6:7], s[4:5]
	s_cbranch_execnz .LBB42_487
	s_branch .LBB42_488
.LBB42_2537:
	s_movk_i32 s4, 0x80
	v_cmp_eq_u16_sdwa s[12:13], v3, s4 src0_sel:BYTE_0 src1_sel:DWORD
	s_mov_b64 s[4:5], -1
                                        ; implicit-def: $sgpr10
	s_and_saveexec_b64 s[8:9], s[12:13]
; %bb.2538:
	s_mov_b32 s10, 0x7f800001
	s_xor_b64 s[4:5], exec, -1
; %bb.2539:
	s_or_b64 exec, exec, s[8:9]
	s_and_b64 s[4:5], s[4:5], exec
	s_or_saveexec_b64 s[6:7], s[6:7]
	v_mov_b32_e32 v2, s10
	s_xor_b64 exec, exec, s[6:7]
	s_cbranch_execz .LBB42_490
.LBB42_2540:
	v_mov_b32_e32 v2, 0
	v_cmp_ne_u16_sdwa s[8:9], v3, v2 src0_sel:BYTE_0 src1_sel:DWORD
	s_andn2_b64 s[4:5], s[4:5], exec
	s_and_b64 s[8:9], s[8:9], exec
	s_or_b64 s[4:5], s[4:5], s[8:9]
	s_or_b64 exec, exec, s[6:7]
	s_and_saveexec_b64 s[6:7], s[4:5]
	s_cbranch_execnz .LBB42_491
	s_branch .LBB42_492
.LBB42_2541:
	s_movk_i32 s4, 0x80
	v_cmp_eq_u16_sdwa s[12:13], v3, s4 src0_sel:BYTE_0 src1_sel:DWORD
	s_mov_b64 s[4:5], -1
                                        ; implicit-def: $sgpr10
	s_and_saveexec_b64 s[8:9], s[12:13]
; %bb.2542:
	s_mov_b32 s10, 0x7f800001
	s_xor_b64 s[4:5], exec, -1
; %bb.2543:
	s_or_b64 exec, exec, s[8:9]
	s_and_b64 s[4:5], s[4:5], exec
	s_or_saveexec_b64 s[6:7], s[6:7]
	v_mov_b32_e32 v4, s10
	s_xor_b64 exec, exec, s[6:7]
	s_cbranch_execz .LBB42_494
.LBB42_2544:
	v_mov_b32_e32 v4, 0
	v_cmp_ne_u16_sdwa s[8:9], v3, v4 src0_sel:BYTE_0 src1_sel:DWORD
	s_andn2_b64 s[4:5], s[4:5], exec
	s_and_b64 s[8:9], s[8:9], exec
	s_or_b64 s[4:5], s[4:5], s[8:9]
	s_or_b64 exec, exec, s[6:7]
	s_and_saveexec_b64 s[6:7], s[4:5]
	s_cbranch_execnz .LBB42_495
	s_branch .LBB42_496
.LBB42_2545:
	s_movk_i32 s4, 0x80
	v_cmp_eq_u16_e32 vcc, s4, v3
	s_mov_b64 s[4:5], -1
                                        ; implicit-def: $sgpr10
	s_and_saveexec_b64 s[8:9], vcc
; %bb.2546:
	s_mov_b32 s10, 0x7f800001
	s_xor_b64 s[4:5], exec, -1
; %bb.2547:
	s_or_b64 exec, exec, s[8:9]
	s_and_b64 s[4:5], s[4:5], exec
                                        ; implicit-def: $vgpr3
	s_or_saveexec_b64 s[6:7], s[6:7]
	v_mov_b32_e32 v2, s10
	s_xor_b64 exec, exec, s[6:7]
	s_cbranch_execz .LBB42_498
.LBB42_2548:
	v_cmp_ne_u16_e32 vcc, 0, v3
	s_andn2_b64 s[4:5], s[4:5], exec
	s_and_b64 s[8:9], vcc, exec
	v_mov_b32_e32 v2, 0
	s_or_b64 s[4:5], s[4:5], s[8:9]
	s_or_b64 exec, exec, s[6:7]
	s_and_saveexec_b64 s[6:7], s[4:5]
	s_cbranch_execnz .LBB42_499
	s_branch .LBB42_500
.LBB42_2549:
	s_movk_i32 s4, 0x80
	v_cmp_eq_u16_e32 vcc, s4, v3
	s_mov_b64 s[4:5], -1
                                        ; implicit-def: $sgpr10
	s_and_saveexec_b64 s[8:9], vcc
; %bb.2550:
	s_mov_b32 s10, 0x7f800001
	s_xor_b64 s[4:5], exec, -1
; %bb.2551:
	s_or_b64 exec, exec, s[8:9]
	s_and_b64 s[4:5], s[4:5], exec
                                        ; implicit-def: $vgpr3
	s_or_saveexec_b64 s[6:7], s[6:7]
	v_mov_b32_e32 v4, s10
	s_xor_b64 exec, exec, s[6:7]
	s_cbranch_execz .LBB42_502
.LBB42_2552:
	v_cmp_ne_u16_e32 vcc, 0, v3
	s_andn2_b64 s[4:5], s[4:5], exec
	s_and_b64 s[8:9], vcc, exec
	v_mov_b32_e32 v4, 0
	s_or_b64 s[4:5], s[4:5], s[8:9]
	s_or_b64 exec, exec, s[6:7]
	s_and_saveexec_b64 s[6:7], s[4:5]
	s_cbranch_execnz .LBB42_503
	s_branch .LBB42_504
.LBB42_2553:
	s_movk_i32 s4, 0x80
	v_cmp_eq_u16_sdwa s[12:13], v9, s4 src0_sel:BYTE_3 src1_sel:DWORD
	s_mov_b64 s[4:5], -1
                                        ; implicit-def: $sgpr10
	s_and_saveexec_b64 s[8:9], s[12:13]
; %bb.2554:
	s_mov_b32 s10, 0x7f800001
	s_xor_b64 s[4:5], exec, -1
; %bb.2555:
	s_or_b64 exec, exec, s[8:9]
	s_and_b64 s[4:5], s[4:5], exec
	s_or_saveexec_b64 s[6:7], s[6:7]
	v_mov_b32_e32 v2, s10
	s_xor_b64 exec, exec, s[6:7]
	s_cbranch_execz .LBB42_506
.LBB42_2556:
	v_mov_b32_e32 v2, 0
	v_cmp_ne_u16_sdwa s[8:9], v9, v2 src0_sel:BYTE_3 src1_sel:DWORD
	s_andn2_b64 s[4:5], s[4:5], exec
	s_and_b64 s[8:9], s[8:9], exec
	s_or_b64 s[4:5], s[4:5], s[8:9]
	s_or_b64 exec, exec, s[6:7]
	s_and_saveexec_b64 s[6:7], s[4:5]
	s_cbranch_execnz .LBB42_507
	s_branch .LBB42_508
.LBB42_2557:
	s_movk_i32 s4, 0x80
	v_cmp_eq_u16_sdwa s[12:13], v5, s4 src0_sel:BYTE_3 src1_sel:DWORD
	s_mov_b64 s[4:5], -1
                                        ; implicit-def: $sgpr10
	s_and_saveexec_b64 s[8:9], s[12:13]
; %bb.2558:
	s_mov_b32 s10, 0x7f800001
	s_xor_b64 s[4:5], exec, -1
; %bb.2559:
	s_or_b64 exec, exec, s[8:9]
	s_and_b64 s[4:5], s[4:5], exec
	s_or_saveexec_b64 s[6:7], s[6:7]
	v_mov_b32_e32 v3, s10
	s_xor_b64 exec, exec, s[6:7]
	s_cbranch_execz .LBB42_510
.LBB42_2560:
	v_mov_b32_e32 v3, 0
	v_cmp_ne_u16_sdwa s[8:9], v5, v3 src0_sel:BYTE_3 src1_sel:DWORD
	s_andn2_b64 s[4:5], s[4:5], exec
	s_and_b64 s[8:9], s[8:9], exec
	s_or_b64 s[4:5], s[4:5], s[8:9]
	s_or_b64 exec, exec, s[6:7]
	s_and_saveexec_b64 s[6:7], s[4:5]
	s_cbranch_execnz .LBB42_511
	s_branch .LBB42_512
.LBB42_2561:
	s_movk_i32 s4, 0x80
	v_cmp_eq_u16_sdwa s[12:13], v14, s4 src0_sel:BYTE_0 src1_sel:DWORD
	s_mov_b64 s[4:5], -1
                                        ; implicit-def: $sgpr10
	s_and_saveexec_b64 s[8:9], s[12:13]
; %bb.2562:
	s_mov_b32 s10, 0x7f800001
	s_xor_b64 s[4:5], exec, -1
; %bb.2563:
	s_or_b64 exec, exec, s[8:9]
	s_and_b64 s[4:5], s[4:5], exec
	s_or_saveexec_b64 s[6:7], s[6:7]
	v_mov_b32_e32 v20, s10
	s_xor_b64 exec, exec, s[6:7]
	s_cbranch_execz .LBB42_514
.LBB42_2564:
	v_mov_b32_e32 v20, 0
	v_cmp_ne_u16_sdwa s[8:9], v14, v20 src0_sel:BYTE_0 src1_sel:DWORD
	s_andn2_b64 s[4:5], s[4:5], exec
	s_and_b64 s[8:9], s[8:9], exec
	s_or_b64 s[4:5], s[4:5], s[8:9]
	s_or_b64 exec, exec, s[6:7]
	s_and_saveexec_b64 s[6:7], s[4:5]
	s_cbranch_execnz .LBB42_515
	s_branch .LBB42_516
.LBB42_2565:
	s_movk_i32 s4, 0x80
	v_cmp_eq_u16_sdwa s[12:13], v10, s4 src0_sel:BYTE_0 src1_sel:DWORD
	s_mov_b64 s[4:5], -1
                                        ; implicit-def: $sgpr10
	s_and_saveexec_b64 s[8:9], s[12:13]
; %bb.2566:
	s_mov_b32 s10, 0x7f800001
	s_xor_b64 s[4:5], exec, -1
; %bb.2567:
	s_or_b64 exec, exec, s[8:9]
	s_and_b64 s[4:5], s[4:5], exec
	s_or_saveexec_b64 s[6:7], s[6:7]
	v_mov_b32_e32 v21, s10
	s_xor_b64 exec, exec, s[6:7]
	s_cbranch_execz .LBB42_518
.LBB42_2568:
	v_mov_b32_e32 v21, 0
	v_cmp_ne_u16_sdwa s[8:9], v10, v21 src0_sel:BYTE_0 src1_sel:DWORD
	s_andn2_b64 s[4:5], s[4:5], exec
	s_and_b64 s[8:9], s[8:9], exec
	s_or_b64 s[4:5], s[4:5], s[8:9]
	s_or_b64 exec, exec, s[6:7]
	s_and_saveexec_b64 s[6:7], s[4:5]
	s_cbranch_execnz .LBB42_519
	s_branch .LBB42_520
.LBB42_2569:
	s_movk_i32 s4, 0x80
	v_cmp_eq_u16_sdwa s[12:13], v21, s4 src0_sel:BYTE_0 src1_sel:DWORD
	s_mov_b64 s[4:5], -1
                                        ; implicit-def: $sgpr10
	s_and_saveexec_b64 s[8:9], s[12:13]
; %bb.2570:
	s_mov_b32 s10, 0x7f800001
	s_xor_b64 s[4:5], exec, -1
; %bb.2571:
	s_or_b64 exec, exec, s[8:9]
	s_and_b64 s[4:5], s[4:5], exec
	s_or_saveexec_b64 s[6:7], s[6:7]
	v_mov_b32_e32 v20, s10
	s_xor_b64 exec, exec, s[6:7]
	s_cbranch_execz .LBB42_522
.LBB42_2572:
	v_mov_b32_e32 v20, 0
	v_cmp_ne_u16_sdwa s[8:9], v21, v20 src0_sel:BYTE_0 src1_sel:DWORD
	s_andn2_b64 s[4:5], s[4:5], exec
	s_and_b64 s[8:9], s[8:9], exec
	s_or_b64 s[4:5], s[4:5], s[8:9]
	s_or_b64 exec, exec, s[6:7]
	s_and_saveexec_b64 s[6:7], s[4:5]
	s_cbranch_execnz .LBB42_523
	s_branch .LBB42_524
.LBB42_2573:
	s_movk_i32 s4, 0x80
	v_cmp_eq_u16_sdwa s[12:13], v21, s4 src0_sel:BYTE_0 src1_sel:DWORD
	s_mov_b64 s[4:5], -1
                                        ; implicit-def: $sgpr10
	s_and_saveexec_b64 s[8:9], s[12:13]
; %bb.2574:
	s_mov_b32 s10, 0x7f800001
	s_xor_b64 s[4:5], exec, -1
; %bb.2575:
	s_or_b64 exec, exec, s[8:9]
	s_and_b64 s[4:5], s[4:5], exec
	s_or_saveexec_b64 s[6:7], s[6:7]
	v_mov_b32_e32 v22, s10
	s_xor_b64 exec, exec, s[6:7]
	s_cbranch_execz .LBB42_526
.LBB42_2576:
	v_mov_b32_e32 v22, 0
	v_cmp_ne_u16_sdwa s[8:9], v21, v22 src0_sel:BYTE_0 src1_sel:DWORD
	s_andn2_b64 s[4:5], s[4:5], exec
	s_and_b64 s[8:9], s[8:9], exec
	s_or_b64 s[4:5], s[4:5], s[8:9]
	s_or_b64 exec, exec, s[6:7]
	s_and_saveexec_b64 s[6:7], s[4:5]
	s_cbranch_execnz .LBB42_527
	s_branch .LBB42_528
.LBB42_2577:
	s_movk_i32 s4, 0x80
	v_cmp_eq_u16_e32 vcc, s4, v21
	s_mov_b64 s[4:5], -1
                                        ; implicit-def: $sgpr10
	s_and_saveexec_b64 s[8:9], vcc
; %bb.2578:
	s_mov_b32 s10, 0x7f800001
	s_xor_b64 s[4:5], exec, -1
; %bb.2579:
	s_or_b64 exec, exec, s[8:9]
	s_and_b64 s[4:5], s[4:5], exec
                                        ; implicit-def: $vgpr21
	s_or_saveexec_b64 s[6:7], s[6:7]
	v_mov_b32_e32 v20, s10
	s_xor_b64 exec, exec, s[6:7]
	s_cbranch_execz .LBB42_530
.LBB42_2580:
	v_cmp_ne_u16_e32 vcc, 0, v21
	s_andn2_b64 s[4:5], s[4:5], exec
	s_and_b64 s[8:9], vcc, exec
	v_mov_b32_e32 v20, 0
	s_or_b64 s[4:5], s[4:5], s[8:9]
	s_or_b64 exec, exec, s[6:7]
	s_and_saveexec_b64 s[6:7], s[4:5]
	s_cbranch_execnz .LBB42_531
	s_branch .LBB42_532
.LBB42_2581:
	s_movk_i32 s4, 0x80
	v_cmp_eq_u16_e32 vcc, s4, v21
	s_mov_b64 s[4:5], -1
                                        ; implicit-def: $sgpr10
	s_and_saveexec_b64 s[8:9], vcc
; %bb.2582:
	s_mov_b32 s10, 0x7f800001
	s_xor_b64 s[4:5], exec, -1
; %bb.2583:
	s_or_b64 exec, exec, s[8:9]
	s_and_b64 s[4:5], s[4:5], exec
                                        ; implicit-def: $vgpr21
	s_or_saveexec_b64 s[6:7], s[6:7]
	v_mov_b32_e32 v22, s10
	s_xor_b64 exec, exec, s[6:7]
	s_cbranch_execz .LBB42_534
.LBB42_2584:
	v_cmp_ne_u16_e32 vcc, 0, v21
	s_andn2_b64 s[4:5], s[4:5], exec
	s_and_b64 s[8:9], vcc, exec
	v_mov_b32_e32 v22, 0
	s_or_b64 s[4:5], s[4:5], s[8:9]
	s_or_b64 exec, exec, s[6:7]
	s_and_saveexec_b64 s[6:7], s[4:5]
	s_cbranch_execnz .LBB42_535
	s_branch .LBB42_536
.LBB42_2585:
	s_movk_i32 s4, 0x80
	v_cmp_eq_u16_sdwa s[12:13], v14, s4 src0_sel:BYTE_3 src1_sel:DWORD
	s_mov_b64 s[4:5], -1
                                        ; implicit-def: $sgpr10
	s_and_saveexec_b64 s[8:9], s[12:13]
; %bb.2586:
	s_mov_b32 s10, 0x7f800001
	s_xor_b64 s[4:5], exec, -1
; %bb.2587:
	s_or_b64 exec, exec, s[8:9]
	s_and_b64 s[4:5], s[4:5], exec
	s_or_saveexec_b64 s[6:7], s[6:7]
	v_mov_b32_e32 v20, s10
	s_xor_b64 exec, exec, s[6:7]
	s_cbranch_execz .LBB42_538
.LBB42_2588:
	v_mov_b32_e32 v20, 0
	v_cmp_ne_u16_sdwa s[8:9], v14, v20 src0_sel:BYTE_3 src1_sel:DWORD
	s_andn2_b64 s[4:5], s[4:5], exec
	s_and_b64 s[8:9], s[8:9], exec
	s_or_b64 s[4:5], s[4:5], s[8:9]
	s_or_b64 exec, exec, s[6:7]
	s_and_saveexec_b64 s[6:7], s[4:5]
	s_cbranch_execnz .LBB42_539
	s_branch .LBB42_540
.LBB42_2589:
	s_movk_i32 s4, 0x80
	v_cmp_eq_u16_sdwa s[12:13], v10, s4 src0_sel:BYTE_3 src1_sel:DWORD
	s_mov_b64 s[4:5], -1
                                        ; implicit-def: $sgpr10
	s_and_saveexec_b64 s[8:9], s[12:13]
; %bb.2590:
	s_mov_b32 s10, 0x7f800001
	s_xor_b64 s[4:5], exec, -1
; %bb.2591:
	s_or_b64 exec, exec, s[8:9]
	s_and_b64 s[4:5], s[4:5], exec
	s_or_saveexec_b64 s[6:7], s[6:7]
	v_mov_b32_e32 v14, s10
	s_xor_b64 exec, exec, s[6:7]
	s_cbranch_execz .LBB42_542
.LBB42_2592:
	v_mov_b32_e32 v14, 0
	v_cmp_ne_u16_sdwa s[8:9], v10, v14 src0_sel:BYTE_3 src1_sel:DWORD
	s_andn2_b64 s[4:5], s[4:5], exec
	s_and_b64 s[8:9], s[8:9], exec
	s_or_b64 s[4:5], s[4:5], s[8:9]
	s_or_b64 exec, exec, s[6:7]
	s_and_saveexec_b64 s[6:7], s[4:5]
	s_cbranch_execnz .LBB42_543
	s_branch .LBB42_544
.LBB42_2593:
	s_movk_i32 s4, 0x80
	v_cmp_eq_u16_sdwa s[12:13], v15, s4 src0_sel:BYTE_0 src1_sel:DWORD
	s_mov_b64 s[4:5], -1
                                        ; implicit-def: $sgpr10
	s_and_saveexec_b64 s[8:9], s[12:13]
; %bb.2594:
	s_mov_b32 s10, 0x7f800001
	s_xor_b64 s[4:5], exec, -1
; %bb.2595:
	s_or_b64 exec, exec, s[8:9]
	s_and_b64 s[4:5], s[4:5], exec
	s_or_saveexec_b64 s[6:7], s[6:7]
	v_mov_b32_e32 v10, s10
	s_xor_b64 exec, exec, s[6:7]
	s_cbranch_execz .LBB42_546
.LBB42_2596:
	v_mov_b32_e32 v10, 0
	v_cmp_ne_u16_sdwa s[8:9], v15, v10 src0_sel:BYTE_0 src1_sel:DWORD
	s_andn2_b64 s[4:5], s[4:5], exec
	s_and_b64 s[8:9], s[8:9], exec
	s_or_b64 s[4:5], s[4:5], s[8:9]
	s_or_b64 exec, exec, s[6:7]
	s_and_saveexec_b64 s[6:7], s[4:5]
	s_cbranch_execnz .LBB42_547
	s_branch .LBB42_548
.LBB42_2597:
	s_movk_i32 s4, 0x80
	v_cmp_eq_u16_sdwa s[12:13], v11, s4 src0_sel:BYTE_0 src1_sel:DWORD
	s_mov_b64 s[4:5], -1
                                        ; implicit-def: $sgpr10
	s_and_saveexec_b64 s[8:9], s[12:13]
; %bb.2598:
	s_mov_b32 s10, 0x7f800001
	s_xor_b64 s[4:5], exec, -1
; %bb.2599:
	s_or_b64 exec, exec, s[8:9]
	s_and_b64 s[4:5], s[4:5], exec
	s_or_saveexec_b64 s[6:7], s[6:7]
	v_mov_b32_e32 v14, s10
	s_xor_b64 exec, exec, s[6:7]
	s_cbranch_execz .LBB42_550
.LBB42_2600:
	v_mov_b32_e32 v14, 0
	v_cmp_ne_u16_sdwa s[8:9], v11, v14 src0_sel:BYTE_0 src1_sel:DWORD
	s_andn2_b64 s[4:5], s[4:5], exec
	s_and_b64 s[8:9], s[8:9], exec
	s_or_b64 s[4:5], s[4:5], s[8:9]
	s_or_b64 exec, exec, s[6:7]
	s_and_saveexec_b64 s[6:7], s[4:5]
	s_cbranch_execnz .LBB42_551
	s_branch .LBB42_552
.LBB42_2601:
	s_movk_i32 s4, 0x80
	v_cmp_eq_u16_sdwa s[12:13], v14, s4 src0_sel:BYTE_0 src1_sel:DWORD
	s_mov_b64 s[4:5], -1
                                        ; implicit-def: $sgpr10
	s_and_saveexec_b64 s[8:9], s[12:13]
; %bb.2602:
	s_mov_b32 s10, 0x7f800001
	s_xor_b64 s[4:5], exec, -1
; %bb.2603:
	s_or_b64 exec, exec, s[8:9]
	s_and_b64 s[4:5], s[4:5], exec
	s_or_saveexec_b64 s[6:7], s[6:7]
	v_mov_b32_e32 v10, s10
	s_xor_b64 exec, exec, s[6:7]
	s_cbranch_execz .LBB42_554
.LBB42_2604:
	v_mov_b32_e32 v10, 0
	v_cmp_ne_u16_sdwa s[8:9], v14, v10 src0_sel:BYTE_0 src1_sel:DWORD
	s_andn2_b64 s[4:5], s[4:5], exec
	s_and_b64 s[8:9], s[8:9], exec
	s_or_b64 s[4:5], s[4:5], s[8:9]
	s_or_b64 exec, exec, s[6:7]
	s_and_saveexec_b64 s[6:7], s[4:5]
	s_cbranch_execnz .LBB42_555
	s_branch .LBB42_556
.LBB42_2605:
	s_movk_i32 s4, 0x80
	v_cmp_eq_u16_sdwa s[12:13], v14, s4 src0_sel:BYTE_0 src1_sel:DWORD
	s_mov_b64 s[4:5], -1
                                        ; implicit-def: $sgpr10
	s_and_saveexec_b64 s[8:9], s[12:13]
; %bb.2606:
	s_mov_b32 s10, 0x7f800001
	s_xor_b64 s[4:5], exec, -1
; %bb.2607:
	s_or_b64 exec, exec, s[8:9]
	s_and_b64 s[4:5], s[4:5], exec
	s_or_saveexec_b64 s[6:7], s[6:7]
	v_mov_b32_e32 v20, s10
	s_xor_b64 exec, exec, s[6:7]
	s_cbranch_execz .LBB42_558
.LBB42_2608:
	v_mov_b32_e32 v20, 0
	v_cmp_ne_u16_sdwa s[8:9], v14, v20 src0_sel:BYTE_0 src1_sel:DWORD
	s_andn2_b64 s[4:5], s[4:5], exec
	s_and_b64 s[8:9], s[8:9], exec
	s_or_b64 s[4:5], s[4:5], s[8:9]
	s_or_b64 exec, exec, s[6:7]
	s_and_saveexec_b64 s[6:7], s[4:5]
	s_cbranch_execnz .LBB42_559
	s_branch .LBB42_560
.LBB42_2609:
	s_movk_i32 s4, 0x80
	v_cmp_eq_u16_e32 vcc, s4, v14
	s_mov_b64 s[4:5], -1
                                        ; implicit-def: $sgpr10
	s_and_saveexec_b64 s[8:9], vcc
; %bb.2610:
	s_mov_b32 s10, 0x7f800001
	s_xor_b64 s[4:5], exec, -1
; %bb.2611:
	s_or_b64 exec, exec, s[8:9]
	s_and_b64 s[4:5], s[4:5], exec
                                        ; implicit-def: $vgpr14
	s_or_saveexec_b64 s[6:7], s[6:7]
	v_mov_b32_e32 v10, s10
	s_xor_b64 exec, exec, s[6:7]
	s_cbranch_execz .LBB42_562
.LBB42_2612:
	v_cmp_ne_u16_e32 vcc, 0, v14
	s_andn2_b64 s[4:5], s[4:5], exec
	s_and_b64 s[8:9], vcc, exec
	v_mov_b32_e32 v10, 0
	s_or_b64 s[4:5], s[4:5], s[8:9]
	s_or_b64 exec, exec, s[6:7]
	s_and_saveexec_b64 s[6:7], s[4:5]
	s_cbranch_execnz .LBB42_563
	s_branch .LBB42_564
.LBB42_2613:
	s_movk_i32 s4, 0x80
	v_cmp_eq_u16_e32 vcc, s4, v14
	s_mov_b64 s[4:5], -1
                                        ; implicit-def: $sgpr10
	s_and_saveexec_b64 s[8:9], vcc
; %bb.2614:
	s_mov_b32 s10, 0x7f800001
	s_xor_b64 s[4:5], exec, -1
; %bb.2615:
	s_or_b64 exec, exec, s[8:9]
	s_and_b64 s[4:5], s[4:5], exec
                                        ; implicit-def: $vgpr14
	s_or_saveexec_b64 s[6:7], s[6:7]
	v_mov_b32_e32 v20, s10
	s_xor_b64 exec, exec, s[6:7]
	s_cbranch_execz .LBB42_566
.LBB42_2616:
	v_cmp_ne_u16_e32 vcc, 0, v14
	s_andn2_b64 s[4:5], s[4:5], exec
	s_and_b64 s[8:9], vcc, exec
	v_mov_b32_e32 v20, 0
	s_or_b64 s[4:5], s[4:5], s[8:9]
	s_or_b64 exec, exec, s[6:7]
	s_and_saveexec_b64 s[6:7], s[4:5]
	s_cbranch_execnz .LBB42_567
	s_branch .LBB42_568
.LBB42_2617:
	s_movk_i32 s4, 0x80
	v_cmp_eq_u16_sdwa s[12:13], v15, s4 src0_sel:BYTE_3 src1_sel:DWORD
	s_mov_b64 s[4:5], -1
                                        ; implicit-def: $sgpr10
	s_and_saveexec_b64 s[8:9], s[12:13]
; %bb.2618:
	s_mov_b32 s10, 0x7f800001
	s_xor_b64 s[4:5], exec, -1
; %bb.2619:
	s_or_b64 exec, exec, s[8:9]
	s_and_b64 s[4:5], s[4:5], exec
	s_or_saveexec_b64 s[6:7], s[6:7]
	v_mov_b32_e32 v10, s10
	s_xor_b64 exec, exec, s[6:7]
	s_cbranch_execz .LBB42_570
.LBB42_2620:
	v_mov_b32_e32 v10, 0
	v_cmp_ne_u16_sdwa s[8:9], v15, v10 src0_sel:BYTE_3 src1_sel:DWORD
	s_andn2_b64 s[4:5], s[4:5], exec
	s_and_b64 s[8:9], s[8:9], exec
	s_or_b64 s[4:5], s[4:5], s[8:9]
	s_or_b64 exec, exec, s[6:7]
	s_and_saveexec_b64 s[6:7], s[4:5]
	s_cbranch_execnz .LBB42_571
	s_branch .LBB42_572
.LBB42_2621:
	s_movk_i32 s4, 0x80
	v_cmp_eq_u16_sdwa s[12:13], v11, s4 src0_sel:BYTE_3 src1_sel:DWORD
	s_mov_b64 s[4:5], -1
                                        ; implicit-def: $sgpr10
	s_and_saveexec_b64 s[8:9], s[12:13]
; %bb.2622:
	s_mov_b32 s10, 0x7f800001
	s_xor_b64 s[4:5], exec, -1
; %bb.2623:
	s_or_b64 exec, exec, s[8:9]
	s_and_b64 s[4:5], s[4:5], exec
	s_or_saveexec_b64 s[6:7], s[6:7]
	v_mov_b32_e32 v14, s10
	s_xor_b64 exec, exec, s[6:7]
	s_cbranch_execz .LBB42_574
.LBB42_2624:
	v_mov_b32_e32 v14, 0
	v_cmp_ne_u16_sdwa s[8:9], v11, v14 src0_sel:BYTE_3 src1_sel:DWORD
	s_andn2_b64 s[4:5], s[4:5], exec
	s_and_b64 s[8:9], s[8:9], exec
	s_or_b64 s[4:5], s[4:5], s[8:9]
	s_or_b64 exec, exec, s[6:7]
	s_and_saveexec_b64 s[6:7], s[4:5]
	s_cbranch_execnz .LBB42_575
	s_branch .LBB42_576
.LBB42_2625:
	s_movk_i32 s4, 0x80
	v_cmp_eq_u16_sdwa s[12:13], v16, s4 src0_sel:BYTE_0 src1_sel:DWORD
	s_mov_b64 s[4:5], -1
                                        ; implicit-def: $sgpr10
	s_and_saveexec_b64 s[8:9], s[12:13]
; %bb.2626:
	s_mov_b32 s10, 0x7f800001
	s_xor_b64 s[4:5], exec, -1
; %bb.2627:
	s_or_b64 exec, exec, s[8:9]
	s_and_b64 s[4:5], s[4:5], exec
	s_or_saveexec_b64 s[6:7], s[6:7]
	v_mov_b32_e32 v10, s10
	s_xor_b64 exec, exec, s[6:7]
	s_cbranch_execz .LBB42_578
.LBB42_2628:
	v_mov_b32_e32 v10, 0
	v_cmp_ne_u16_sdwa s[8:9], v16, v10 src0_sel:BYTE_0 src1_sel:DWORD
	s_andn2_b64 s[4:5], s[4:5], exec
	s_and_b64 s[8:9], s[8:9], exec
	s_or_b64 s[4:5], s[4:5], s[8:9]
	s_or_b64 exec, exec, s[6:7]
	s_and_saveexec_b64 s[6:7], s[4:5]
	s_cbranch_execnz .LBB42_579
	s_branch .LBB42_580
.LBB42_2629:
	s_movk_i32 s4, 0x80
	v_cmp_eq_u16_sdwa s[12:13], v12, s4 src0_sel:BYTE_0 src1_sel:DWORD
	s_mov_b64 s[4:5], -1
                                        ; implicit-def: $sgpr10
	s_and_saveexec_b64 s[8:9], s[12:13]
; %bb.2630:
	s_mov_b32 s10, 0x7f800001
	s_xor_b64 s[4:5], exec, -1
; %bb.2631:
	s_or_b64 exec, exec, s[8:9]
	s_and_b64 s[4:5], s[4:5], exec
	s_or_saveexec_b64 s[6:7], s[6:7]
	v_mov_b32_e32 v11, s10
	s_xor_b64 exec, exec, s[6:7]
	s_cbranch_execz .LBB42_582
.LBB42_2632:
	v_mov_b32_e32 v11, 0
	v_cmp_ne_u16_sdwa s[8:9], v12, v11 src0_sel:BYTE_0 src1_sel:DWORD
	s_andn2_b64 s[4:5], s[4:5], exec
	s_and_b64 s[8:9], s[8:9], exec
	s_or_b64 s[4:5], s[4:5], s[8:9]
	s_or_b64 exec, exec, s[6:7]
	s_and_saveexec_b64 s[6:7], s[4:5]
	s_cbranch_execnz .LBB42_583
	s_branch .LBB42_584
.LBB42_2633:
	s_movk_i32 s4, 0x80
	v_cmp_eq_u16_sdwa s[12:13], v11, s4 src0_sel:BYTE_0 src1_sel:DWORD
	s_mov_b64 s[4:5], -1
                                        ; implicit-def: $sgpr10
	s_and_saveexec_b64 s[8:9], s[12:13]
; %bb.2634:
	s_mov_b32 s10, 0x7f800001
	s_xor_b64 s[4:5], exec, -1
; %bb.2635:
	s_or_b64 exec, exec, s[8:9]
	s_and_b64 s[4:5], s[4:5], exec
	s_or_saveexec_b64 s[6:7], s[6:7]
	v_mov_b32_e32 v10, s10
	s_xor_b64 exec, exec, s[6:7]
	s_cbranch_execz .LBB42_586
.LBB42_2636:
	v_mov_b32_e32 v10, 0
	v_cmp_ne_u16_sdwa s[8:9], v11, v10 src0_sel:BYTE_0 src1_sel:DWORD
	s_andn2_b64 s[4:5], s[4:5], exec
	s_and_b64 s[8:9], s[8:9], exec
	s_or_b64 s[4:5], s[4:5], s[8:9]
	s_or_b64 exec, exec, s[6:7]
	s_and_saveexec_b64 s[6:7], s[4:5]
	s_cbranch_execnz .LBB42_587
	s_branch .LBB42_588
.LBB42_2637:
	s_movk_i32 s4, 0x80
	v_cmp_eq_u16_sdwa s[12:13], v11, s4 src0_sel:BYTE_0 src1_sel:DWORD
	s_mov_b64 s[4:5], -1
                                        ; implicit-def: $sgpr10
	s_and_saveexec_b64 s[8:9], s[12:13]
; %bb.2638:
	s_mov_b32 s10, 0x7f800001
	s_xor_b64 s[4:5], exec, -1
; %bb.2639:
	s_or_b64 exec, exec, s[8:9]
	s_and_b64 s[4:5], s[4:5], exec
	s_or_saveexec_b64 s[6:7], s[6:7]
	v_mov_b32_e32 v14, s10
	s_xor_b64 exec, exec, s[6:7]
	s_cbranch_execz .LBB42_590
.LBB42_2640:
	v_mov_b32_e32 v14, 0
	v_cmp_ne_u16_sdwa s[8:9], v11, v14 src0_sel:BYTE_0 src1_sel:DWORD
	s_andn2_b64 s[4:5], s[4:5], exec
	s_and_b64 s[8:9], s[8:9], exec
	s_or_b64 s[4:5], s[4:5], s[8:9]
	s_or_b64 exec, exec, s[6:7]
	s_and_saveexec_b64 s[6:7], s[4:5]
	s_cbranch_execnz .LBB42_591
	s_branch .LBB42_592
.LBB42_2641:
	s_movk_i32 s4, 0x80
	v_cmp_eq_u16_e32 vcc, s4, v11
	s_mov_b64 s[4:5], -1
                                        ; implicit-def: $sgpr10
	s_and_saveexec_b64 s[8:9], vcc
; %bb.2642:
	s_mov_b32 s10, 0x7f800001
	s_xor_b64 s[4:5], exec, -1
; %bb.2643:
	s_or_b64 exec, exec, s[8:9]
	s_and_b64 s[4:5], s[4:5], exec
                                        ; implicit-def: $vgpr11
	s_or_saveexec_b64 s[6:7], s[6:7]
	v_mov_b32_e32 v10, s10
	s_xor_b64 exec, exec, s[6:7]
	s_cbranch_execz .LBB42_594
.LBB42_2644:
	v_cmp_ne_u16_e32 vcc, 0, v11
	s_andn2_b64 s[4:5], s[4:5], exec
	s_and_b64 s[8:9], vcc, exec
	v_mov_b32_e32 v10, 0
	s_or_b64 s[4:5], s[4:5], s[8:9]
	s_or_b64 exec, exec, s[6:7]
	s_and_saveexec_b64 s[6:7], s[4:5]
	s_cbranch_execnz .LBB42_595
	s_branch .LBB42_596
.LBB42_2645:
	s_movk_i32 s4, 0x80
	v_cmp_eq_u16_e32 vcc, s4, v11
	s_mov_b64 s[4:5], -1
                                        ; implicit-def: $sgpr10
	s_and_saveexec_b64 s[8:9], vcc
; %bb.2646:
	s_mov_b32 s10, 0x7f800001
	s_xor_b64 s[4:5], exec, -1
; %bb.2647:
	s_or_b64 exec, exec, s[8:9]
	s_and_b64 s[4:5], s[4:5], exec
                                        ; implicit-def: $vgpr11
	s_or_saveexec_b64 s[6:7], s[6:7]
	v_mov_b32_e32 v14, s10
	s_xor_b64 exec, exec, s[6:7]
	s_cbranch_execz .LBB42_598
.LBB42_2648:
	v_cmp_ne_u16_e32 vcc, 0, v11
	s_andn2_b64 s[4:5], s[4:5], exec
	s_and_b64 s[8:9], vcc, exec
	v_mov_b32_e32 v14, 0
	s_or_b64 s[4:5], s[4:5], s[8:9]
	s_or_b64 exec, exec, s[6:7]
	s_and_saveexec_b64 s[6:7], s[4:5]
	s_cbranch_execnz .LBB42_599
	s_branch .LBB42_600
.LBB42_2649:
	s_movk_i32 s4, 0x80
	v_cmp_eq_u16_sdwa s[12:13], v16, s4 src0_sel:BYTE_3 src1_sel:DWORD
	s_mov_b64 s[4:5], -1
                                        ; implicit-def: $sgpr10
	s_and_saveexec_b64 s[8:9], s[12:13]
; %bb.2650:
	s_mov_b32 s10, 0x7f800001
	s_xor_b64 s[4:5], exec, -1
; %bb.2651:
	s_or_b64 exec, exec, s[8:9]
	s_and_b64 s[4:5], s[4:5], exec
	s_or_saveexec_b64 s[6:7], s[6:7]
	v_mov_b32_e32 v10, s10
	s_xor_b64 exec, exec, s[6:7]
	s_cbranch_execz .LBB42_602
.LBB42_2652:
	v_mov_b32_e32 v10, 0
	v_cmp_ne_u16_sdwa s[8:9], v16, v10 src0_sel:BYTE_3 src1_sel:DWORD
	s_andn2_b64 s[4:5], s[4:5], exec
	s_and_b64 s[8:9], s[8:9], exec
	s_or_b64 s[4:5], s[4:5], s[8:9]
	s_or_b64 exec, exec, s[6:7]
	s_and_saveexec_b64 s[6:7], s[4:5]
	s_cbranch_execnz .LBB42_603
	s_branch .LBB42_604
.LBB42_2653:
	s_movk_i32 s4, 0x80
	v_cmp_eq_u16_sdwa s[12:13], v12, s4 src0_sel:BYTE_3 src1_sel:DWORD
	s_mov_b64 s[4:5], -1
                                        ; implicit-def: $sgpr10
	s_and_saveexec_b64 s[8:9], s[12:13]
; %bb.2654:
	s_mov_b32 s10, 0x7f800001
	s_xor_b64 s[4:5], exec, -1
; %bb.2655:
	s_or_b64 exec, exec, s[8:9]
	s_and_b64 s[4:5], s[4:5], exec
	s_or_saveexec_b64 s[6:7], s[6:7]
	v_mov_b32_e32 v11, s10
	s_xor_b64 exec, exec, s[6:7]
	s_cbranch_execz .LBB42_606
.LBB42_2656:
	v_mov_b32_e32 v11, 0
	v_cmp_ne_u16_sdwa s[8:9], v12, v11 src0_sel:BYTE_3 src1_sel:DWORD
	s_andn2_b64 s[4:5], s[4:5], exec
	s_and_b64 s[8:9], s[8:9], exec
	s_or_b64 s[4:5], s[4:5], s[8:9]
	s_or_b64 exec, exec, s[6:7]
	s_and_saveexec_b64 s[6:7], s[4:5]
	s_cbranch_execnz .LBB42_607
	s_branch .LBB42_608
.LBB42_2657:
	s_movk_i32 s4, 0x80
	v_cmp_eq_u16_sdwa s[12:13], v17, s4 src0_sel:BYTE_0 src1_sel:DWORD
	s_mov_b64 s[4:5], -1
                                        ; implicit-def: $sgpr10
	s_and_saveexec_b64 s[8:9], s[12:13]
; %bb.2658:
	s_mov_b32 s10, 0x7f800001
	s_xor_b64 s[4:5], exec, -1
; %bb.2659:
	s_or_b64 exec, exec, s[8:9]
	s_and_b64 s[4:5], s[4:5], exec
	s_or_saveexec_b64 s[6:7], s[6:7]
	v_mov_b32_e32 v10, s10
	s_xor_b64 exec, exec, s[6:7]
	s_cbranch_execz .LBB42_610
.LBB42_2660:
	v_mov_b32_e32 v10, 0
	v_cmp_ne_u16_sdwa s[8:9], v17, v10 src0_sel:BYTE_0 src1_sel:DWORD
	s_andn2_b64 s[4:5], s[4:5], exec
	s_and_b64 s[8:9], s[8:9], exec
	s_or_b64 s[4:5], s[4:5], s[8:9]
	s_or_b64 exec, exec, s[6:7]
	s_and_saveexec_b64 s[6:7], s[4:5]
	s_cbranch_execnz .LBB42_611
	s_branch .LBB42_612
.LBB42_2661:
	s_movk_i32 s4, 0x80
	v_cmp_eq_u16_sdwa s[12:13], v13, s4 src0_sel:BYTE_0 src1_sel:DWORD
	s_mov_b64 s[4:5], -1
                                        ; implicit-def: $sgpr10
	s_and_saveexec_b64 s[8:9], s[12:13]
; %bb.2662:
	s_mov_b32 s10, 0x7f800001
	s_xor_b64 s[4:5], exec, -1
; %bb.2663:
	s_or_b64 exec, exec, s[8:9]
	s_and_b64 s[4:5], s[4:5], exec
	s_or_saveexec_b64 s[6:7], s[6:7]
	v_mov_b32_e32 v11, s10
	s_xor_b64 exec, exec, s[6:7]
	s_cbranch_execz .LBB42_614
.LBB42_2664:
	v_mov_b32_e32 v11, 0
	v_cmp_ne_u16_sdwa s[8:9], v13, v11 src0_sel:BYTE_0 src1_sel:DWORD
	s_andn2_b64 s[4:5], s[4:5], exec
	s_and_b64 s[8:9], s[8:9], exec
	s_or_b64 s[4:5], s[4:5], s[8:9]
	s_or_b64 exec, exec, s[6:7]
	s_and_saveexec_b64 s[6:7], s[4:5]
	s_cbranch_execnz .LBB42_615
	s_branch .LBB42_616
.LBB42_2665:
	s_movk_i32 s4, 0x80
	v_cmp_eq_u16_sdwa s[12:13], v11, s4 src0_sel:BYTE_0 src1_sel:DWORD
	s_mov_b64 s[4:5], -1
                                        ; implicit-def: $sgpr10
	s_and_saveexec_b64 s[8:9], s[12:13]
; %bb.2666:
	s_mov_b32 s10, 0x7f800001
	s_xor_b64 s[4:5], exec, -1
; %bb.2667:
	s_or_b64 exec, exec, s[8:9]
	s_and_b64 s[4:5], s[4:5], exec
	s_or_saveexec_b64 s[6:7], s[6:7]
	v_mov_b32_e32 v10, s10
	s_xor_b64 exec, exec, s[6:7]
	s_cbranch_execz .LBB42_618
.LBB42_2668:
	v_mov_b32_e32 v10, 0
	v_cmp_ne_u16_sdwa s[8:9], v11, v10 src0_sel:BYTE_0 src1_sel:DWORD
	s_andn2_b64 s[4:5], s[4:5], exec
	s_and_b64 s[8:9], s[8:9], exec
	s_or_b64 s[4:5], s[4:5], s[8:9]
	s_or_b64 exec, exec, s[6:7]
	s_and_saveexec_b64 s[6:7], s[4:5]
	s_cbranch_execnz .LBB42_619
	s_branch .LBB42_620
.LBB42_2669:
	s_movk_i32 s4, 0x80
	v_cmp_eq_u16_sdwa s[12:13], v11, s4 src0_sel:BYTE_0 src1_sel:DWORD
	s_mov_b64 s[4:5], -1
                                        ; implicit-def: $sgpr10
	s_and_saveexec_b64 s[8:9], s[12:13]
; %bb.2670:
	s_mov_b32 s10, 0x7f800001
	s_xor_b64 s[4:5], exec, -1
; %bb.2671:
	s_or_b64 exec, exec, s[8:9]
	s_and_b64 s[4:5], s[4:5], exec
	s_or_saveexec_b64 s[6:7], s[6:7]
	v_mov_b32_e32 v12, s10
	s_xor_b64 exec, exec, s[6:7]
	s_cbranch_execz .LBB42_622
.LBB42_2672:
	v_mov_b32_e32 v12, 0
	v_cmp_ne_u16_sdwa s[8:9], v11, v12 src0_sel:BYTE_0 src1_sel:DWORD
	s_andn2_b64 s[4:5], s[4:5], exec
	s_and_b64 s[8:9], s[8:9], exec
	s_or_b64 s[4:5], s[4:5], s[8:9]
	s_or_b64 exec, exec, s[6:7]
	s_and_saveexec_b64 s[6:7], s[4:5]
	s_cbranch_execnz .LBB42_623
	s_branch .LBB42_624
.LBB42_2673:
	s_movk_i32 s4, 0x80
	v_cmp_eq_u16_e32 vcc, s4, v11
	s_mov_b64 s[4:5], -1
                                        ; implicit-def: $sgpr10
	s_and_saveexec_b64 s[8:9], vcc
; %bb.2674:
	s_mov_b32 s10, 0x7f800001
	s_xor_b64 s[4:5], exec, -1
; %bb.2675:
	s_or_b64 exec, exec, s[8:9]
	s_and_b64 s[4:5], s[4:5], exec
                                        ; implicit-def: $vgpr11
	s_or_saveexec_b64 s[6:7], s[6:7]
	v_mov_b32_e32 v10, s10
	s_xor_b64 exec, exec, s[6:7]
	s_cbranch_execz .LBB42_626
.LBB42_2676:
	v_cmp_ne_u16_e32 vcc, 0, v11
	s_andn2_b64 s[4:5], s[4:5], exec
	s_and_b64 s[8:9], vcc, exec
	v_mov_b32_e32 v10, 0
	s_or_b64 s[4:5], s[4:5], s[8:9]
	s_or_b64 exec, exec, s[6:7]
	s_and_saveexec_b64 s[6:7], s[4:5]
	s_cbranch_execnz .LBB42_627
	s_branch .LBB42_628
.LBB42_2677:
	s_movk_i32 s4, 0x80
	v_cmp_eq_u16_e32 vcc, s4, v11
	s_mov_b64 s[4:5], -1
                                        ; implicit-def: $sgpr10
	s_and_saveexec_b64 s[8:9], vcc
; %bb.2678:
	s_mov_b32 s10, 0x7f800001
	s_xor_b64 s[4:5], exec, -1
; %bb.2679:
	s_or_b64 exec, exec, s[8:9]
	s_and_b64 s[4:5], s[4:5], exec
                                        ; implicit-def: $vgpr11
	s_or_saveexec_b64 s[6:7], s[6:7]
	v_mov_b32_e32 v12, s10
	s_xor_b64 exec, exec, s[6:7]
	s_cbranch_execz .LBB42_630
.LBB42_2680:
	v_cmp_ne_u16_e32 vcc, 0, v11
	s_andn2_b64 s[4:5], s[4:5], exec
	s_and_b64 s[8:9], vcc, exec
	v_mov_b32_e32 v12, 0
	s_or_b64 s[4:5], s[4:5], s[8:9]
	s_or_b64 exec, exec, s[6:7]
	s_and_saveexec_b64 s[6:7], s[4:5]
	s_cbranch_execnz .LBB42_631
	s_branch .LBB42_632
.LBB42_2681:
	s_movk_i32 s4, 0x80
	v_cmp_eq_u16_sdwa s[12:13], v17, s4 src0_sel:BYTE_3 src1_sel:DWORD
	s_mov_b64 s[4:5], -1
                                        ; implicit-def: $sgpr10
	s_and_saveexec_b64 s[8:9], s[12:13]
; %bb.2682:
	s_mov_b32 s10, 0x7f800001
	s_xor_b64 s[4:5], exec, -1
; %bb.2683:
	s_or_b64 exec, exec, s[8:9]
	s_and_b64 s[4:5], s[4:5], exec
	s_or_saveexec_b64 s[6:7], s[6:7]
	v_mov_b32_e32 v10, s10
	s_xor_b64 exec, exec, s[6:7]
	s_cbranch_execz .LBB42_634
.LBB42_2684:
	v_mov_b32_e32 v10, 0
	v_cmp_ne_u16_sdwa s[8:9], v17, v10 src0_sel:BYTE_3 src1_sel:DWORD
	s_andn2_b64 s[4:5], s[4:5], exec
	s_and_b64 s[8:9], s[8:9], exec
	s_or_b64 s[4:5], s[4:5], s[8:9]
	s_or_b64 exec, exec, s[6:7]
	s_and_saveexec_b64 s[6:7], s[4:5]
	s_cbranch_execnz .LBB42_635
	s_branch .LBB42_636
.LBB42_2685:
	s_movk_i32 s4, 0x80
	v_cmp_eq_u16_sdwa s[12:13], v13, s4 src0_sel:BYTE_3 src1_sel:DWORD
	s_mov_b64 s[4:5], -1
                                        ; implicit-def: $sgpr10
	s_and_saveexec_b64 s[8:9], s[12:13]
; %bb.2686:
	s_mov_b32 s10, 0x7f800001
	s_xor_b64 s[4:5], exec, -1
; %bb.2687:
	s_or_b64 exec, exec, s[8:9]
	s_and_b64 s[4:5], s[4:5], exec
	s_or_saveexec_b64 s[6:7], s[6:7]
	v_mov_b32_e32 v11, s10
	s_xor_b64 exec, exec, s[6:7]
	s_cbranch_execz .LBB42_638
.LBB42_2688:
	v_mov_b32_e32 v11, 0
	v_cmp_ne_u16_sdwa s[8:9], v13, v11 src0_sel:BYTE_3 src1_sel:DWORD
	s_andn2_b64 s[4:5], s[4:5], exec
	s_and_b64 s[8:9], s[8:9], exec
	s_or_b64 s[4:5], s[4:5], s[8:9]
	s_or_b64 exec, exec, s[6:7]
	s_and_saveexec_b64 s[6:7], s[4:5]
	s_cbranch_execnz .LBB42_639
	s_branch .LBB42_640
.LBB42_2689:
	s_movk_i32 s4, 0x80
	v_cmp_eq_u16_sdwa s[12:13], v6, s4 src0_sel:BYTE_0 src1_sel:DWORD
	s_mov_b64 s[4:5], -1
                                        ; implicit-def: $sgpr10
	s_and_saveexec_b64 s[8:9], s[12:13]
; %bb.2690:
	s_mov_b32 s10, 0x7f800001
	s_xor_b64 s[4:5], exec, -1
; %bb.2691:
	s_or_b64 exec, exec, s[8:9]
	s_and_b64 s[4:5], s[4:5], exec
	s_or_saveexec_b64 s[6:7], s[6:7]
	v_mov_b32_e32 v10, s10
	s_xor_b64 exec, exec, s[6:7]
	s_cbranch_execz .LBB42_642
.LBB42_2692:
	v_mov_b32_e32 v10, 0
	v_cmp_ne_u16_sdwa s[8:9], v6, v10 src0_sel:BYTE_0 src1_sel:DWORD
	s_andn2_b64 s[4:5], s[4:5], exec
	s_and_b64 s[8:9], s[8:9], exec
	s_or_b64 s[4:5], s[4:5], s[8:9]
	s_or_b64 exec, exec, s[6:7]
	s_and_saveexec_b64 s[6:7], s[4:5]
	s_cbranch_execnz .LBB42_643
	s_branch .LBB42_644
.LBB42_2693:
	s_movk_i32 s4, 0x80
	v_cmp_eq_u16_sdwa s[12:13], v2, s4 src0_sel:BYTE_0 src1_sel:DWORD
	s_mov_b64 s[4:5], -1
                                        ; implicit-def: $sgpr10
	s_and_saveexec_b64 s[8:9], s[12:13]
; %bb.2694:
	s_mov_b32 s10, 0x7f800001
	s_xor_b64 s[4:5], exec, -1
; %bb.2695:
	s_or_b64 exec, exec, s[8:9]
	s_and_b64 s[4:5], s[4:5], exec
	s_or_saveexec_b64 s[6:7], s[6:7]
	v_mov_b32_e32 v11, s10
	s_xor_b64 exec, exec, s[6:7]
	s_cbranch_execz .LBB42_646
.LBB42_2696:
	v_mov_b32_e32 v11, 0
	v_cmp_ne_u16_sdwa s[8:9], v2, v11 src0_sel:BYTE_0 src1_sel:DWORD
	s_andn2_b64 s[4:5], s[4:5], exec
	s_and_b64 s[8:9], s[8:9], exec
	s_or_b64 s[4:5], s[4:5], s[8:9]
	s_or_b64 exec, exec, s[6:7]
	s_and_saveexec_b64 s[6:7], s[4:5]
	s_cbranch_execnz .LBB42_647
	s_branch .LBB42_648
.LBB42_2697:
	s_movk_i32 s4, 0x80
	v_cmp_eq_u16_sdwa s[12:13], v11, s4 src0_sel:BYTE_0 src1_sel:DWORD
	s_mov_b64 s[4:5], -1
                                        ; implicit-def: $sgpr10
	s_and_saveexec_b64 s[8:9], s[12:13]
; %bb.2698:
	s_mov_b32 s10, 0x7f800001
	s_xor_b64 s[4:5], exec, -1
; %bb.2699:
	s_or_b64 exec, exec, s[8:9]
	s_and_b64 s[4:5], s[4:5], exec
	s_or_saveexec_b64 s[6:7], s[6:7]
	v_mov_b32_e32 v10, s10
	s_xor_b64 exec, exec, s[6:7]
	s_cbranch_execz .LBB42_650
.LBB42_2700:
	v_mov_b32_e32 v10, 0
	v_cmp_ne_u16_sdwa s[8:9], v11, v10 src0_sel:BYTE_0 src1_sel:DWORD
	s_andn2_b64 s[4:5], s[4:5], exec
	s_and_b64 s[8:9], s[8:9], exec
	s_or_b64 s[4:5], s[4:5], s[8:9]
	s_or_b64 exec, exec, s[6:7]
	s_and_saveexec_b64 s[6:7], s[4:5]
	s_cbranch_execnz .LBB42_651
	s_branch .LBB42_652
.LBB42_2701:
	s_movk_i32 s4, 0x80
	v_cmp_eq_u16_sdwa s[12:13], v11, s4 src0_sel:BYTE_0 src1_sel:DWORD
	s_mov_b64 s[4:5], -1
                                        ; implicit-def: $sgpr10
	s_and_saveexec_b64 s[8:9], s[12:13]
; %bb.2702:
	s_mov_b32 s10, 0x7f800001
	s_xor_b64 s[4:5], exec, -1
; %bb.2703:
	s_or_b64 exec, exec, s[8:9]
	s_and_b64 s[4:5], s[4:5], exec
	s_or_saveexec_b64 s[6:7], s[6:7]
	v_mov_b32_e32 v12, s10
	s_xor_b64 exec, exec, s[6:7]
	s_cbranch_execz .LBB42_654
.LBB42_2704:
	v_mov_b32_e32 v12, 0
	v_cmp_ne_u16_sdwa s[8:9], v11, v12 src0_sel:BYTE_0 src1_sel:DWORD
	s_andn2_b64 s[4:5], s[4:5], exec
	s_and_b64 s[8:9], s[8:9], exec
	s_or_b64 s[4:5], s[4:5], s[8:9]
	s_or_b64 exec, exec, s[6:7]
	s_and_saveexec_b64 s[6:7], s[4:5]
	s_cbranch_execnz .LBB42_655
	s_branch .LBB42_656
.LBB42_2705:
	s_movk_i32 s4, 0x80
	v_cmp_eq_u16_e32 vcc, s4, v11
	s_mov_b64 s[4:5], -1
                                        ; implicit-def: $sgpr10
	s_and_saveexec_b64 s[8:9], vcc
; %bb.2706:
	s_mov_b32 s10, 0x7f800001
	s_xor_b64 s[4:5], exec, -1
; %bb.2707:
	s_or_b64 exec, exec, s[8:9]
	s_and_b64 s[4:5], s[4:5], exec
                                        ; implicit-def: $vgpr11
	s_or_saveexec_b64 s[6:7], s[6:7]
	v_mov_b32_e32 v10, s10
	s_xor_b64 exec, exec, s[6:7]
	s_cbranch_execz .LBB42_658
.LBB42_2708:
	v_cmp_ne_u16_e32 vcc, 0, v11
	s_andn2_b64 s[4:5], s[4:5], exec
	s_and_b64 s[8:9], vcc, exec
	v_mov_b32_e32 v10, 0
	s_or_b64 s[4:5], s[4:5], s[8:9]
	s_or_b64 exec, exec, s[6:7]
	s_and_saveexec_b64 s[6:7], s[4:5]
	s_cbranch_execnz .LBB42_659
	s_branch .LBB42_660
.LBB42_2709:
	s_movk_i32 s4, 0x80
	v_cmp_eq_u16_e32 vcc, s4, v11
	s_mov_b64 s[4:5], -1
                                        ; implicit-def: $sgpr10
	s_and_saveexec_b64 s[8:9], vcc
; %bb.2710:
	s_mov_b32 s10, 0x7f800001
	s_xor_b64 s[4:5], exec, -1
; %bb.2711:
	s_or_b64 exec, exec, s[8:9]
	s_and_b64 s[4:5], s[4:5], exec
                                        ; implicit-def: $vgpr11
	s_or_saveexec_b64 s[6:7], s[6:7]
	v_mov_b32_e32 v12, s10
	s_xor_b64 exec, exec, s[6:7]
	s_cbranch_execz .LBB42_662
.LBB42_2712:
	v_cmp_ne_u16_e32 vcc, 0, v11
	s_andn2_b64 s[4:5], s[4:5], exec
	s_and_b64 s[8:9], vcc, exec
	v_mov_b32_e32 v12, 0
	s_or_b64 s[4:5], s[4:5], s[8:9]
	s_or_b64 exec, exec, s[6:7]
	s_and_saveexec_b64 s[6:7], s[4:5]
	s_cbranch_execnz .LBB42_663
	s_branch .LBB42_664
.LBB42_2713:
	s_movk_i32 s4, 0x80
	v_cmp_eq_u16_sdwa s[12:13], v6, s4 src0_sel:BYTE_3 src1_sel:DWORD
	s_mov_b64 s[4:5], -1
                                        ; implicit-def: $sgpr10
	s_and_saveexec_b64 s[8:9], s[12:13]
; %bb.2714:
	s_mov_b32 s10, 0x7f800001
	s_xor_b64 s[4:5], exec, -1
; %bb.2715:
	s_or_b64 exec, exec, s[8:9]
	s_and_b64 s[4:5], s[4:5], exec
	s_or_saveexec_b64 s[6:7], s[6:7]
	v_mov_b32_e32 v10, s10
	s_xor_b64 exec, exec, s[6:7]
	s_cbranch_execz .LBB42_666
.LBB42_2716:
	v_mov_b32_e32 v10, 0
	v_cmp_ne_u16_sdwa s[8:9], v6, v10 src0_sel:BYTE_3 src1_sel:DWORD
	s_andn2_b64 s[4:5], s[4:5], exec
	s_and_b64 s[8:9], s[8:9], exec
	s_or_b64 s[4:5], s[4:5], s[8:9]
	s_or_b64 exec, exec, s[6:7]
	s_and_saveexec_b64 s[6:7], s[4:5]
	s_cbranch_execnz .LBB42_667
	s_branch .LBB42_668
.LBB42_2717:
	s_movk_i32 s4, 0x80
	v_cmp_eq_u16_sdwa s[12:13], v2, s4 src0_sel:BYTE_3 src1_sel:DWORD
	s_mov_b64 s[4:5], -1
                                        ; implicit-def: $sgpr10
	s_and_saveexec_b64 s[8:9], s[12:13]
; %bb.2718:
	s_mov_b32 s10, 0x7f800001
	s_xor_b64 s[4:5], exec, -1
; %bb.2719:
	s_or_b64 exec, exec, s[8:9]
	s_and_b64 s[4:5], s[4:5], exec
	s_or_saveexec_b64 s[6:7], s[6:7]
	v_mov_b32_e32 v6, s10
	s_xor_b64 exec, exec, s[6:7]
	s_cbranch_execz .LBB42_670
.LBB42_2720:
	v_mov_b32_e32 v6, 0
	v_cmp_ne_u16_sdwa s[8:9], v2, v6 src0_sel:BYTE_3 src1_sel:DWORD
	s_andn2_b64 s[4:5], s[4:5], exec
	s_and_b64 s[8:9], s[8:9], exec
	s_or_b64 s[4:5], s[4:5], s[8:9]
	s_or_b64 exec, exec, s[6:7]
	s_and_saveexec_b64 s[6:7], s[4:5]
	s_cbranch_execnz .LBB42_671
	s_branch .LBB42_672
.LBB42_2721:
	s_movk_i32 s4, 0x80
	v_cmp_eq_u16_sdwa s[12:13], v7, s4 src0_sel:BYTE_0 src1_sel:DWORD
	s_mov_b64 s[4:5], -1
                                        ; implicit-def: $sgpr10
	s_and_saveexec_b64 s[8:9], s[12:13]
; %bb.2722:
	s_mov_b32 s10, 0x7f800001
	s_xor_b64 s[4:5], exec, -1
; %bb.2723:
	s_or_b64 exec, exec, s[8:9]
	s_and_b64 s[4:5], s[4:5], exec
	s_or_saveexec_b64 s[6:7], s[6:7]
	v_mov_b32_e32 v2, s10
	s_xor_b64 exec, exec, s[6:7]
	s_cbranch_execz .LBB42_674
.LBB42_2724:
	v_mov_b32_e32 v2, 0
	v_cmp_ne_u16_sdwa s[8:9], v7, v2 src0_sel:BYTE_0 src1_sel:DWORD
	s_andn2_b64 s[4:5], s[4:5], exec
	s_and_b64 s[8:9], s[8:9], exec
	s_or_b64 s[4:5], s[4:5], s[8:9]
	s_or_b64 exec, exec, s[6:7]
	s_and_saveexec_b64 s[6:7], s[4:5]
	s_cbranch_execnz .LBB42_675
	s_branch .LBB42_676
.LBB42_2725:
	s_movk_i32 s4, 0x80
	v_cmp_eq_u16_sdwa s[12:13], v3, s4 src0_sel:BYTE_0 src1_sel:DWORD
	s_mov_b64 s[4:5], -1
                                        ; implicit-def: $sgpr10
	s_and_saveexec_b64 s[8:9], s[12:13]
; %bb.2726:
	s_mov_b32 s10, 0x7f800001
	s_xor_b64 s[4:5], exec, -1
; %bb.2727:
	s_or_b64 exec, exec, s[8:9]
	s_and_b64 s[4:5], s[4:5], exec
	s_or_saveexec_b64 s[6:7], s[6:7]
	v_mov_b32_e32 v6, s10
	s_xor_b64 exec, exec, s[6:7]
	s_cbranch_execz .LBB42_678
.LBB42_2728:
	v_mov_b32_e32 v6, 0
	v_cmp_ne_u16_sdwa s[8:9], v3, v6 src0_sel:BYTE_0 src1_sel:DWORD
	s_andn2_b64 s[4:5], s[4:5], exec
	s_and_b64 s[8:9], s[8:9], exec
	s_or_b64 s[4:5], s[4:5], s[8:9]
	s_or_b64 exec, exec, s[6:7]
	s_and_saveexec_b64 s[6:7], s[4:5]
	s_cbranch_execnz .LBB42_679
	s_branch .LBB42_680
.LBB42_2729:
	s_movk_i32 s4, 0x80
	v_cmp_eq_u16_sdwa s[12:13], v6, s4 src0_sel:BYTE_0 src1_sel:DWORD
	s_mov_b64 s[4:5], -1
                                        ; implicit-def: $sgpr10
	s_and_saveexec_b64 s[8:9], s[12:13]
; %bb.2730:
	s_mov_b32 s10, 0x7f800001
	s_xor_b64 s[4:5], exec, -1
; %bb.2731:
	s_or_b64 exec, exec, s[8:9]
	s_and_b64 s[4:5], s[4:5], exec
	s_or_saveexec_b64 s[6:7], s[6:7]
	v_mov_b32_e32 v2, s10
	s_xor_b64 exec, exec, s[6:7]
	s_cbranch_execz .LBB42_682
.LBB42_2732:
	v_mov_b32_e32 v2, 0
	v_cmp_ne_u16_sdwa s[8:9], v6, v2 src0_sel:BYTE_0 src1_sel:DWORD
	s_andn2_b64 s[4:5], s[4:5], exec
	s_and_b64 s[8:9], s[8:9], exec
	s_or_b64 s[4:5], s[4:5], s[8:9]
	s_or_b64 exec, exec, s[6:7]
	s_and_saveexec_b64 s[6:7], s[4:5]
	s_cbranch_execnz .LBB42_683
	s_branch .LBB42_684
.LBB42_2733:
	s_movk_i32 s4, 0x80
	v_cmp_eq_u16_sdwa s[12:13], v6, s4 src0_sel:BYTE_0 src1_sel:DWORD
	s_mov_b64 s[4:5], -1
                                        ; implicit-def: $sgpr10
	s_and_saveexec_b64 s[8:9], s[12:13]
; %bb.2734:
	s_mov_b32 s10, 0x7f800001
	s_xor_b64 s[4:5], exec, -1
; %bb.2735:
	s_or_b64 exec, exec, s[8:9]
	s_and_b64 s[4:5], s[4:5], exec
	s_or_saveexec_b64 s[6:7], s[6:7]
	v_mov_b32_e32 v10, s10
	s_xor_b64 exec, exec, s[6:7]
	s_cbranch_execz .LBB42_686
.LBB42_2736:
	v_mov_b32_e32 v10, 0
	v_cmp_ne_u16_sdwa s[8:9], v6, v10 src0_sel:BYTE_0 src1_sel:DWORD
	s_andn2_b64 s[4:5], s[4:5], exec
	s_and_b64 s[8:9], s[8:9], exec
	s_or_b64 s[4:5], s[4:5], s[8:9]
	s_or_b64 exec, exec, s[6:7]
	s_and_saveexec_b64 s[6:7], s[4:5]
	s_cbranch_execnz .LBB42_687
	s_branch .LBB42_688
.LBB42_2737:
	s_movk_i32 s4, 0x80
	v_cmp_eq_u16_e32 vcc, s4, v6
	s_mov_b64 s[4:5], -1
                                        ; implicit-def: $sgpr10
	s_and_saveexec_b64 s[8:9], vcc
; %bb.2738:
	s_mov_b32 s10, 0x7f800001
	s_xor_b64 s[4:5], exec, -1
; %bb.2739:
	s_or_b64 exec, exec, s[8:9]
	s_and_b64 s[4:5], s[4:5], exec
                                        ; implicit-def: $vgpr6
	s_or_saveexec_b64 s[6:7], s[6:7]
	v_mov_b32_e32 v2, s10
	s_xor_b64 exec, exec, s[6:7]
	s_cbranch_execz .LBB42_690
.LBB42_2740:
	v_cmp_ne_u16_e32 vcc, 0, v6
	s_andn2_b64 s[4:5], s[4:5], exec
	s_and_b64 s[8:9], vcc, exec
	v_mov_b32_e32 v2, 0
	s_or_b64 s[4:5], s[4:5], s[8:9]
	s_or_b64 exec, exec, s[6:7]
	s_and_saveexec_b64 s[6:7], s[4:5]
	s_cbranch_execnz .LBB42_691
	s_branch .LBB42_692
.LBB42_2741:
	s_movk_i32 s4, 0x80
	v_cmp_eq_u16_e32 vcc, s4, v6
	s_mov_b64 s[4:5], -1
                                        ; implicit-def: $sgpr10
	s_and_saveexec_b64 s[8:9], vcc
; %bb.2742:
	s_mov_b32 s10, 0x7f800001
	s_xor_b64 s[4:5], exec, -1
; %bb.2743:
	s_or_b64 exec, exec, s[8:9]
	s_and_b64 s[4:5], s[4:5], exec
                                        ; implicit-def: $vgpr6
	s_or_saveexec_b64 s[6:7], s[6:7]
	v_mov_b32_e32 v10, s10
	s_xor_b64 exec, exec, s[6:7]
	s_cbranch_execz .LBB42_694
.LBB42_2744:
	v_cmp_ne_u16_e32 vcc, 0, v6
	s_andn2_b64 s[4:5], s[4:5], exec
	s_and_b64 s[8:9], vcc, exec
	v_mov_b32_e32 v10, 0
	s_or_b64 s[4:5], s[4:5], s[8:9]
	s_or_b64 exec, exec, s[6:7]
	s_and_saveexec_b64 s[6:7], s[4:5]
	s_cbranch_execnz .LBB42_695
	s_branch .LBB42_696
.LBB42_2745:
	s_movk_i32 s4, 0x80
	v_cmp_eq_u16_sdwa s[12:13], v7, s4 src0_sel:BYTE_3 src1_sel:DWORD
	s_mov_b64 s[4:5], -1
                                        ; implicit-def: $sgpr10
	s_and_saveexec_b64 s[8:9], s[12:13]
; %bb.2746:
	s_mov_b32 s10, 0x7f800001
	s_xor_b64 s[4:5], exec, -1
; %bb.2747:
	s_or_b64 exec, exec, s[8:9]
	s_and_b64 s[4:5], s[4:5], exec
	s_or_saveexec_b64 s[6:7], s[6:7]
	v_mov_b32_e32 v2, s10
	s_xor_b64 exec, exec, s[6:7]
	s_cbranch_execz .LBB42_698
.LBB42_2748:
	v_mov_b32_e32 v2, 0
	v_cmp_ne_u16_sdwa s[8:9], v7, v2 src0_sel:BYTE_3 src1_sel:DWORD
	s_andn2_b64 s[4:5], s[4:5], exec
	s_and_b64 s[8:9], s[8:9], exec
	s_or_b64 s[4:5], s[4:5], s[8:9]
	s_or_b64 exec, exec, s[6:7]
	s_and_saveexec_b64 s[6:7], s[4:5]
	s_cbranch_execnz .LBB42_699
	s_branch .LBB42_700
.LBB42_2749:
	s_movk_i32 s4, 0x80
	v_cmp_eq_u16_sdwa s[12:13], v3, s4 src0_sel:BYTE_3 src1_sel:DWORD
	s_mov_b64 s[4:5], -1
                                        ; implicit-def: $sgpr10
	s_and_saveexec_b64 s[8:9], s[12:13]
; %bb.2750:
	s_mov_b32 s10, 0x7f800001
	s_xor_b64 s[4:5], exec, -1
; %bb.2751:
	s_or_b64 exec, exec, s[8:9]
	s_and_b64 s[4:5], s[4:5], exec
	s_or_saveexec_b64 s[6:7], s[6:7]
	v_mov_b32_e32 v6, s10
	s_xor_b64 exec, exec, s[6:7]
	s_cbranch_execz .LBB42_702
.LBB42_2752:
	v_mov_b32_e32 v6, 0
	v_cmp_ne_u16_sdwa s[8:9], v3, v6 src0_sel:BYTE_3 src1_sel:DWORD
	s_andn2_b64 s[4:5], s[4:5], exec
	s_and_b64 s[8:9], s[8:9], exec
	s_or_b64 s[4:5], s[4:5], s[8:9]
	s_or_b64 exec, exec, s[6:7]
	s_and_saveexec_b64 s[6:7], s[4:5]
	s_cbranch_execnz .LBB42_703
	s_branch .LBB42_704
.LBB42_2753:
	s_movk_i32 s4, 0x80
	v_cmp_eq_u16_sdwa s[12:13], v8, s4 src0_sel:BYTE_0 src1_sel:DWORD
	s_mov_b64 s[4:5], -1
                                        ; implicit-def: $sgpr10
	s_and_saveexec_b64 s[8:9], s[12:13]
; %bb.2754:
	s_mov_b32 s10, 0x7f800001
	s_xor_b64 s[4:5], exec, -1
; %bb.2755:
	s_or_b64 exec, exec, s[8:9]
	s_and_b64 s[4:5], s[4:5], exec
	s_or_saveexec_b64 s[6:7], s[6:7]
	v_mov_b32_e32 v2, s10
	s_xor_b64 exec, exec, s[6:7]
	s_cbranch_execz .LBB42_706
.LBB42_2756:
	v_mov_b32_e32 v2, 0
	v_cmp_ne_u16_sdwa s[8:9], v8, v2 src0_sel:BYTE_0 src1_sel:DWORD
	s_andn2_b64 s[4:5], s[4:5], exec
	s_and_b64 s[8:9], s[8:9], exec
	s_or_b64 s[4:5], s[4:5], s[8:9]
	s_or_b64 exec, exec, s[6:7]
	s_and_saveexec_b64 s[6:7], s[4:5]
	s_cbranch_execnz .LBB42_707
	s_branch .LBB42_708
.LBB42_2757:
	s_movk_i32 s4, 0x80
	v_cmp_eq_u16_sdwa s[12:13], v4, s4 src0_sel:BYTE_0 src1_sel:DWORD
	s_mov_b64 s[4:5], -1
                                        ; implicit-def: $sgpr10
	s_and_saveexec_b64 s[8:9], s[12:13]
; %bb.2758:
	s_mov_b32 s10, 0x7f800001
	s_xor_b64 s[4:5], exec, -1
; %bb.2759:
	s_or_b64 exec, exec, s[8:9]
	s_and_b64 s[4:5], s[4:5], exec
	s_or_saveexec_b64 s[6:7], s[6:7]
	v_mov_b32_e32 v3, s10
	s_xor_b64 exec, exec, s[6:7]
	s_cbranch_execz .LBB42_710
.LBB42_2760:
	v_mov_b32_e32 v3, 0
	v_cmp_ne_u16_sdwa s[8:9], v4, v3 src0_sel:BYTE_0 src1_sel:DWORD
	s_andn2_b64 s[4:5], s[4:5], exec
	s_and_b64 s[8:9], s[8:9], exec
	s_or_b64 s[4:5], s[4:5], s[8:9]
	s_or_b64 exec, exec, s[6:7]
	s_and_saveexec_b64 s[6:7], s[4:5]
	s_cbranch_execnz .LBB42_711
	s_branch .LBB42_712
.LBB42_2761:
	s_movk_i32 s4, 0x80
	v_cmp_eq_u16_sdwa s[12:13], v3, s4 src0_sel:BYTE_0 src1_sel:DWORD
	s_mov_b64 s[4:5], -1
                                        ; implicit-def: $sgpr10
	s_and_saveexec_b64 s[8:9], s[12:13]
; %bb.2762:
	s_mov_b32 s10, 0x7f800001
	s_xor_b64 s[4:5], exec, -1
; %bb.2763:
	s_or_b64 exec, exec, s[8:9]
	s_and_b64 s[4:5], s[4:5], exec
	s_or_saveexec_b64 s[6:7], s[6:7]
	v_mov_b32_e32 v2, s10
	s_xor_b64 exec, exec, s[6:7]
	s_cbranch_execz .LBB42_714
.LBB42_2764:
	v_mov_b32_e32 v2, 0
	v_cmp_ne_u16_sdwa s[8:9], v3, v2 src0_sel:BYTE_0 src1_sel:DWORD
	s_andn2_b64 s[4:5], s[4:5], exec
	s_and_b64 s[8:9], s[8:9], exec
	s_or_b64 s[4:5], s[4:5], s[8:9]
	s_or_b64 exec, exec, s[6:7]
	s_and_saveexec_b64 s[6:7], s[4:5]
	s_cbranch_execnz .LBB42_715
	s_branch .LBB42_716
.LBB42_2765:
	s_movk_i32 s4, 0x80
	v_cmp_eq_u16_sdwa s[12:13], v3, s4 src0_sel:BYTE_0 src1_sel:DWORD
	s_mov_b64 s[4:5], -1
                                        ; implicit-def: $sgpr10
	s_and_saveexec_b64 s[8:9], s[12:13]
; %bb.2766:
	s_mov_b32 s10, 0x7f800001
	s_xor_b64 s[4:5], exec, -1
; %bb.2767:
	s_or_b64 exec, exec, s[8:9]
	s_and_b64 s[4:5], s[4:5], exec
	s_or_saveexec_b64 s[6:7], s[6:7]
	v_mov_b32_e32 v6, s10
	s_xor_b64 exec, exec, s[6:7]
	s_cbranch_execz .LBB42_718
.LBB42_2768:
	v_mov_b32_e32 v6, 0
	v_cmp_ne_u16_sdwa s[8:9], v3, v6 src0_sel:BYTE_0 src1_sel:DWORD
	s_andn2_b64 s[4:5], s[4:5], exec
	s_and_b64 s[8:9], s[8:9], exec
	s_or_b64 s[4:5], s[4:5], s[8:9]
	s_or_b64 exec, exec, s[6:7]
	s_and_saveexec_b64 s[6:7], s[4:5]
	s_cbranch_execnz .LBB42_719
	s_branch .LBB42_720
.LBB42_2769:
	s_movk_i32 s4, 0x80
	v_cmp_eq_u16_e32 vcc, s4, v3
	s_mov_b64 s[4:5], -1
                                        ; implicit-def: $sgpr10
	s_and_saveexec_b64 s[8:9], vcc
; %bb.2770:
	s_mov_b32 s10, 0x7f800001
	s_xor_b64 s[4:5], exec, -1
; %bb.2771:
	s_or_b64 exec, exec, s[8:9]
	s_and_b64 s[4:5], s[4:5], exec
                                        ; implicit-def: $vgpr3
	s_or_saveexec_b64 s[6:7], s[6:7]
	v_mov_b32_e32 v2, s10
	s_xor_b64 exec, exec, s[6:7]
	s_cbranch_execz .LBB42_722
.LBB42_2772:
	v_cmp_ne_u16_e32 vcc, 0, v3
	s_andn2_b64 s[4:5], s[4:5], exec
	s_and_b64 s[8:9], vcc, exec
	v_mov_b32_e32 v2, 0
	s_or_b64 s[4:5], s[4:5], s[8:9]
	s_or_b64 exec, exec, s[6:7]
	s_and_saveexec_b64 s[6:7], s[4:5]
	s_cbranch_execnz .LBB42_723
	s_branch .LBB42_724
.LBB42_2773:
	s_movk_i32 s4, 0x80
	v_cmp_eq_u16_e32 vcc, s4, v3
	s_mov_b64 s[4:5], -1
                                        ; implicit-def: $sgpr10
	s_and_saveexec_b64 s[8:9], vcc
; %bb.2774:
	s_mov_b32 s10, 0x7f800001
	s_xor_b64 s[4:5], exec, -1
; %bb.2775:
	s_or_b64 exec, exec, s[8:9]
	s_and_b64 s[4:5], s[4:5], exec
                                        ; implicit-def: $vgpr3
	s_or_saveexec_b64 s[6:7], s[6:7]
	v_mov_b32_e32 v6, s10
	s_xor_b64 exec, exec, s[6:7]
	s_cbranch_execz .LBB42_726
.LBB42_2776:
	v_cmp_ne_u16_e32 vcc, 0, v3
	s_andn2_b64 s[4:5], s[4:5], exec
	s_and_b64 s[8:9], vcc, exec
	v_mov_b32_e32 v6, 0
	s_or_b64 s[4:5], s[4:5], s[8:9]
	s_or_b64 exec, exec, s[6:7]
	s_and_saveexec_b64 s[6:7], s[4:5]
	s_cbranch_execnz .LBB42_727
	s_branch .LBB42_728
.LBB42_2777:
	s_movk_i32 s4, 0x80
	v_cmp_eq_u16_sdwa s[12:13], v8, s4 src0_sel:BYTE_3 src1_sel:DWORD
	s_mov_b64 s[4:5], -1
                                        ; implicit-def: $sgpr10
	s_and_saveexec_b64 s[8:9], s[12:13]
; %bb.2778:
	s_mov_b32 s10, 0x7f800001
	s_xor_b64 s[4:5], exec, -1
; %bb.2779:
	s_or_b64 exec, exec, s[8:9]
	s_and_b64 s[4:5], s[4:5], exec
	s_or_saveexec_b64 s[6:7], s[6:7]
	v_mov_b32_e32 v2, s10
	s_xor_b64 exec, exec, s[6:7]
	s_cbranch_execz .LBB42_730
.LBB42_2780:
	v_mov_b32_e32 v2, 0
	v_cmp_ne_u16_sdwa s[8:9], v8, v2 src0_sel:BYTE_3 src1_sel:DWORD
	s_andn2_b64 s[4:5], s[4:5], exec
	s_and_b64 s[8:9], s[8:9], exec
	s_or_b64 s[4:5], s[4:5], s[8:9]
	s_or_b64 exec, exec, s[6:7]
	s_and_saveexec_b64 s[6:7], s[4:5]
	s_cbranch_execnz .LBB42_731
	s_branch .LBB42_732
.LBB42_2781:
	s_movk_i32 s4, 0x80
	v_cmp_eq_u16_sdwa s[12:13], v4, s4 src0_sel:BYTE_3 src1_sel:DWORD
	s_mov_b64 s[4:5], -1
                                        ; implicit-def: $sgpr10
	s_and_saveexec_b64 s[8:9], s[12:13]
; %bb.2782:
	s_mov_b32 s10, 0x7f800001
	s_xor_b64 s[4:5], exec, -1
; %bb.2783:
	s_or_b64 exec, exec, s[8:9]
	s_and_b64 s[4:5], s[4:5], exec
	s_or_saveexec_b64 s[6:7], s[6:7]
	v_mov_b32_e32 v3, s10
	s_xor_b64 exec, exec, s[6:7]
	s_cbranch_execz .LBB42_734
.LBB42_2784:
	v_mov_b32_e32 v3, 0
	v_cmp_ne_u16_sdwa s[8:9], v4, v3 src0_sel:BYTE_3 src1_sel:DWORD
	s_andn2_b64 s[4:5], s[4:5], exec
	s_and_b64 s[8:9], s[8:9], exec
	s_or_b64 s[4:5], s[4:5], s[8:9]
	s_or_b64 exec, exec, s[6:7]
	s_and_saveexec_b64 s[6:7], s[4:5]
	s_cbranch_execnz .LBB42_735
	s_branch .LBB42_736
.LBB42_2785:
	s_movk_i32 s4, 0x80
	v_cmp_eq_u16_sdwa s[12:13], v9, s4 src0_sel:BYTE_0 src1_sel:DWORD
	s_mov_b64 s[4:5], -1
                                        ; implicit-def: $sgpr10
	s_and_saveexec_b64 s[8:9], s[12:13]
; %bb.2786:
	s_mov_b32 s10, 0x7f800001
	s_xor_b64 s[4:5], exec, -1
; %bb.2787:
	s_or_b64 exec, exec, s[8:9]
	s_and_b64 s[4:5], s[4:5], exec
	s_or_saveexec_b64 s[6:7], s[6:7]
	v_mov_b32_e32 v2, s10
	s_xor_b64 exec, exec, s[6:7]
	s_cbranch_execz .LBB42_738
.LBB42_2788:
	v_mov_b32_e32 v2, 0
	v_cmp_ne_u16_sdwa s[8:9], v9, v2 src0_sel:BYTE_0 src1_sel:DWORD
	s_andn2_b64 s[4:5], s[4:5], exec
	s_and_b64 s[8:9], s[8:9], exec
	s_or_b64 s[4:5], s[4:5], s[8:9]
	s_or_b64 exec, exec, s[6:7]
	s_and_saveexec_b64 s[6:7], s[4:5]
	s_cbranch_execnz .LBB42_739
	s_branch .LBB42_740
.LBB42_2789:
	s_movk_i32 s4, 0x80
	v_cmp_eq_u16_sdwa s[12:13], v5, s4 src0_sel:BYTE_0 src1_sel:DWORD
	s_mov_b64 s[4:5], -1
                                        ; implicit-def: $sgpr10
	s_and_saveexec_b64 s[8:9], s[12:13]
; %bb.2790:
	s_mov_b32 s10, 0x7f800001
	s_xor_b64 s[4:5], exec, -1
; %bb.2791:
	s_or_b64 exec, exec, s[8:9]
	s_and_b64 s[4:5], s[4:5], exec
	s_or_saveexec_b64 s[6:7], s[6:7]
	v_mov_b32_e32 v3, s10
	s_xor_b64 exec, exec, s[6:7]
	s_cbranch_execz .LBB42_742
.LBB42_2792:
	v_mov_b32_e32 v3, 0
	v_cmp_ne_u16_sdwa s[8:9], v5, v3 src0_sel:BYTE_0 src1_sel:DWORD
	s_andn2_b64 s[4:5], s[4:5], exec
	s_and_b64 s[8:9], s[8:9], exec
	s_or_b64 s[4:5], s[4:5], s[8:9]
	s_or_b64 exec, exec, s[6:7]
	s_and_saveexec_b64 s[6:7], s[4:5]
	s_cbranch_execnz .LBB42_743
	s_branch .LBB42_744
.LBB42_2793:
	s_movk_i32 s4, 0x80
	v_cmp_eq_u16_sdwa s[12:13], v3, s4 src0_sel:BYTE_0 src1_sel:DWORD
	s_mov_b64 s[4:5], -1
                                        ; implicit-def: $sgpr10
	s_and_saveexec_b64 s[8:9], s[12:13]
; %bb.2794:
	s_mov_b32 s10, 0x7f800001
	s_xor_b64 s[4:5], exec, -1
; %bb.2795:
	s_or_b64 exec, exec, s[8:9]
	s_and_b64 s[4:5], s[4:5], exec
	s_or_saveexec_b64 s[6:7], s[6:7]
	v_mov_b32_e32 v2, s10
	s_xor_b64 exec, exec, s[6:7]
	s_cbranch_execz .LBB42_746
.LBB42_2796:
	v_mov_b32_e32 v2, 0
	v_cmp_ne_u16_sdwa s[8:9], v3, v2 src0_sel:BYTE_0 src1_sel:DWORD
	s_andn2_b64 s[4:5], s[4:5], exec
	s_and_b64 s[8:9], s[8:9], exec
	s_or_b64 s[4:5], s[4:5], s[8:9]
	s_or_b64 exec, exec, s[6:7]
	s_and_saveexec_b64 s[6:7], s[4:5]
	s_cbranch_execnz .LBB42_747
	s_branch .LBB42_748
.LBB42_2797:
	s_movk_i32 s4, 0x80
	v_cmp_eq_u16_sdwa s[12:13], v3, s4 src0_sel:BYTE_0 src1_sel:DWORD
	s_mov_b64 s[4:5], -1
                                        ; implicit-def: $sgpr10
	s_and_saveexec_b64 s[8:9], s[12:13]
; %bb.2798:
	s_mov_b32 s10, 0x7f800001
	s_xor_b64 s[4:5], exec, -1
; %bb.2799:
	s_or_b64 exec, exec, s[8:9]
	s_and_b64 s[4:5], s[4:5], exec
	s_or_saveexec_b64 s[6:7], s[6:7]
	v_mov_b32_e32 v4, s10
	s_xor_b64 exec, exec, s[6:7]
	s_cbranch_execz .LBB42_750
.LBB42_2800:
	v_mov_b32_e32 v4, 0
	v_cmp_ne_u16_sdwa s[8:9], v3, v4 src0_sel:BYTE_0 src1_sel:DWORD
	s_andn2_b64 s[4:5], s[4:5], exec
	s_and_b64 s[8:9], s[8:9], exec
	s_or_b64 s[4:5], s[4:5], s[8:9]
	s_or_b64 exec, exec, s[6:7]
	s_and_saveexec_b64 s[6:7], s[4:5]
	s_cbranch_execnz .LBB42_751
	s_branch .LBB42_752
.LBB42_2801:
	s_movk_i32 s4, 0x80
	v_cmp_eq_u16_e32 vcc, s4, v3
	s_mov_b64 s[4:5], -1
                                        ; implicit-def: $sgpr10
	s_and_saveexec_b64 s[8:9], vcc
; %bb.2802:
	s_mov_b32 s10, 0x7f800001
	s_xor_b64 s[4:5], exec, -1
; %bb.2803:
	s_or_b64 exec, exec, s[8:9]
	s_and_b64 s[4:5], s[4:5], exec
                                        ; implicit-def: $vgpr3
	s_or_saveexec_b64 s[6:7], s[6:7]
	v_mov_b32_e32 v2, s10
	s_xor_b64 exec, exec, s[6:7]
	s_cbranch_execz .LBB42_754
.LBB42_2804:
	v_cmp_ne_u16_e32 vcc, 0, v3
	s_andn2_b64 s[4:5], s[4:5], exec
	s_and_b64 s[8:9], vcc, exec
	v_mov_b32_e32 v2, 0
	s_or_b64 s[4:5], s[4:5], s[8:9]
	s_or_b64 exec, exec, s[6:7]
	s_and_saveexec_b64 s[6:7], s[4:5]
	s_cbranch_execnz .LBB42_755
	s_branch .LBB42_756
.LBB42_2805:
	s_movk_i32 s4, 0x80
	v_cmp_eq_u16_e32 vcc, s4, v3
	s_mov_b64 s[4:5], -1
                                        ; implicit-def: $sgpr10
	s_and_saveexec_b64 s[8:9], vcc
; %bb.2806:
	s_mov_b32 s10, 0x7f800001
	s_xor_b64 s[4:5], exec, -1
; %bb.2807:
	s_or_b64 exec, exec, s[8:9]
	s_and_b64 s[4:5], s[4:5], exec
                                        ; implicit-def: $vgpr3
	s_or_saveexec_b64 s[6:7], s[6:7]
	v_mov_b32_e32 v4, s10
	s_xor_b64 exec, exec, s[6:7]
	s_cbranch_execz .LBB42_758
.LBB42_2808:
	v_cmp_ne_u16_e32 vcc, 0, v3
	s_andn2_b64 s[4:5], s[4:5], exec
	s_and_b64 s[8:9], vcc, exec
	v_mov_b32_e32 v4, 0
	s_or_b64 s[4:5], s[4:5], s[8:9]
	s_or_b64 exec, exec, s[6:7]
	s_and_saveexec_b64 s[6:7], s[4:5]
	s_cbranch_execnz .LBB42_759
	s_branch .LBB42_760
.LBB42_2809:
	s_movk_i32 s4, 0x80
	v_cmp_eq_u16_sdwa s[12:13], v9, s4 src0_sel:BYTE_3 src1_sel:DWORD
	s_mov_b64 s[4:5], -1
                                        ; implicit-def: $sgpr10
	s_and_saveexec_b64 s[8:9], s[12:13]
; %bb.2810:
	s_mov_b32 s10, 0x7f800001
	s_xor_b64 s[4:5], exec, -1
; %bb.2811:
	s_or_b64 exec, exec, s[8:9]
	s_and_b64 s[4:5], s[4:5], exec
	s_or_saveexec_b64 s[6:7], s[6:7]
	v_mov_b32_e32 v2, s10
	s_xor_b64 exec, exec, s[6:7]
	s_cbranch_execz .LBB42_762
.LBB42_2812:
	v_mov_b32_e32 v2, 0
	v_cmp_ne_u16_sdwa s[8:9], v9, v2 src0_sel:BYTE_3 src1_sel:DWORD
	s_andn2_b64 s[4:5], s[4:5], exec
	s_and_b64 s[8:9], s[8:9], exec
	s_or_b64 s[4:5], s[4:5], s[8:9]
	s_or_b64 exec, exec, s[6:7]
	s_and_saveexec_b64 s[6:7], s[4:5]
	s_cbranch_execnz .LBB42_763
	s_branch .LBB42_764
.LBB42_2813:
	s_movk_i32 s4, 0x80
	v_cmp_eq_u16_sdwa s[12:13], v5, s4 src0_sel:BYTE_3 src1_sel:DWORD
	s_mov_b64 s[4:5], -1
                                        ; implicit-def: $sgpr10
	s_and_saveexec_b64 s[8:9], s[12:13]
; %bb.2814:
	s_mov_b32 s10, 0x7f800001
	s_xor_b64 s[4:5], exec, -1
; %bb.2815:
	s_or_b64 exec, exec, s[8:9]
	s_and_b64 s[4:5], s[4:5], exec
	s_or_saveexec_b64 s[6:7], s[6:7]
	v_mov_b32_e32 v3, s10
	s_xor_b64 exec, exec, s[6:7]
	s_cbranch_execz .LBB42_766
.LBB42_2816:
	v_mov_b32_e32 v3, 0
	v_cmp_ne_u16_sdwa s[8:9], v5, v3 src0_sel:BYTE_3 src1_sel:DWORD
	s_andn2_b64 s[4:5], s[4:5], exec
	s_and_b64 s[8:9], s[8:9], exec
	s_or_b64 s[4:5], s[4:5], s[8:9]
	s_or_b64 exec, exec, s[6:7]
	s_and_saveexec_b64 s[6:7], s[4:5]
	s_cbranch_execnz .LBB42_767
	s_branch .LBB42_768
.LBB42_2817:
	s_movk_i32 s4, 0x80
	v_cmp_eq_u16_sdwa s[12:13], v14, s4 src0_sel:BYTE_0 src1_sel:DWORD
	s_mov_b64 s[4:5], -1
                                        ; implicit-def: $sgpr10
	s_and_saveexec_b64 s[8:9], s[12:13]
; %bb.2818:
	s_mov_b32 s10, 0x7f800001
	s_xor_b64 s[4:5], exec, -1
; %bb.2819:
	s_or_b64 exec, exec, s[8:9]
	s_and_b64 s[4:5], s[4:5], exec
	s_or_saveexec_b64 s[6:7], s[6:7]
	v_mov_b32_e32 v20, s10
	s_xor_b64 exec, exec, s[6:7]
	s_cbranch_execz .LBB42_770
.LBB42_2820:
	v_mov_b32_e32 v20, 0
	v_cmp_ne_u16_sdwa s[8:9], v14, v20 src0_sel:BYTE_0 src1_sel:DWORD
	s_andn2_b64 s[4:5], s[4:5], exec
	s_and_b64 s[8:9], s[8:9], exec
	s_or_b64 s[4:5], s[4:5], s[8:9]
	s_or_b64 exec, exec, s[6:7]
	s_and_saveexec_b64 s[6:7], s[4:5]
	s_cbranch_execnz .LBB42_771
	s_branch .LBB42_772
.LBB42_2821:
	s_movk_i32 s4, 0x80
	v_cmp_eq_u16_sdwa s[12:13], v10, s4 src0_sel:BYTE_0 src1_sel:DWORD
	s_mov_b64 s[4:5], -1
                                        ; implicit-def: $sgpr10
	s_and_saveexec_b64 s[8:9], s[12:13]
; %bb.2822:
	s_mov_b32 s10, 0x7f800001
	s_xor_b64 s[4:5], exec, -1
; %bb.2823:
	s_or_b64 exec, exec, s[8:9]
	s_and_b64 s[4:5], s[4:5], exec
	s_or_saveexec_b64 s[6:7], s[6:7]
	v_mov_b32_e32 v21, s10
	s_xor_b64 exec, exec, s[6:7]
	s_cbranch_execz .LBB42_774
.LBB42_2824:
	v_mov_b32_e32 v21, 0
	v_cmp_ne_u16_sdwa s[8:9], v10, v21 src0_sel:BYTE_0 src1_sel:DWORD
	s_andn2_b64 s[4:5], s[4:5], exec
	s_and_b64 s[8:9], s[8:9], exec
	s_or_b64 s[4:5], s[4:5], s[8:9]
	s_or_b64 exec, exec, s[6:7]
	s_and_saveexec_b64 s[6:7], s[4:5]
	s_cbranch_execnz .LBB42_775
	s_branch .LBB42_776
.LBB42_2825:
	s_movk_i32 s4, 0x80
	v_cmp_eq_u16_sdwa s[12:13], v21, s4 src0_sel:BYTE_0 src1_sel:DWORD
	s_mov_b64 s[4:5], -1
                                        ; implicit-def: $sgpr10
	s_and_saveexec_b64 s[8:9], s[12:13]
; %bb.2826:
	s_mov_b32 s10, 0x7f800001
	s_xor_b64 s[4:5], exec, -1
; %bb.2827:
	s_or_b64 exec, exec, s[8:9]
	s_and_b64 s[4:5], s[4:5], exec
	s_or_saveexec_b64 s[6:7], s[6:7]
	v_mov_b32_e32 v20, s10
	s_xor_b64 exec, exec, s[6:7]
	s_cbranch_execz .LBB42_778
.LBB42_2828:
	v_mov_b32_e32 v20, 0
	v_cmp_ne_u16_sdwa s[8:9], v21, v20 src0_sel:BYTE_0 src1_sel:DWORD
	s_andn2_b64 s[4:5], s[4:5], exec
	s_and_b64 s[8:9], s[8:9], exec
	s_or_b64 s[4:5], s[4:5], s[8:9]
	s_or_b64 exec, exec, s[6:7]
	s_and_saveexec_b64 s[6:7], s[4:5]
	s_cbranch_execnz .LBB42_779
	s_branch .LBB42_780
.LBB42_2829:
	s_movk_i32 s4, 0x80
	v_cmp_eq_u16_sdwa s[12:13], v21, s4 src0_sel:BYTE_0 src1_sel:DWORD
	s_mov_b64 s[4:5], -1
                                        ; implicit-def: $sgpr10
	s_and_saveexec_b64 s[8:9], s[12:13]
; %bb.2830:
	s_mov_b32 s10, 0x7f800001
	s_xor_b64 s[4:5], exec, -1
; %bb.2831:
	s_or_b64 exec, exec, s[8:9]
	s_and_b64 s[4:5], s[4:5], exec
	s_or_saveexec_b64 s[6:7], s[6:7]
	v_mov_b32_e32 v22, s10
	s_xor_b64 exec, exec, s[6:7]
	s_cbranch_execz .LBB42_782
.LBB42_2832:
	v_mov_b32_e32 v22, 0
	v_cmp_ne_u16_sdwa s[8:9], v21, v22 src0_sel:BYTE_0 src1_sel:DWORD
	s_andn2_b64 s[4:5], s[4:5], exec
	s_and_b64 s[8:9], s[8:9], exec
	s_or_b64 s[4:5], s[4:5], s[8:9]
	s_or_b64 exec, exec, s[6:7]
	s_and_saveexec_b64 s[6:7], s[4:5]
	s_cbranch_execnz .LBB42_783
	s_branch .LBB42_784
.LBB42_2833:
	s_movk_i32 s4, 0x80
	v_cmp_eq_u16_e32 vcc, s4, v21
	s_mov_b64 s[4:5], -1
                                        ; implicit-def: $sgpr10
	s_and_saveexec_b64 s[8:9], vcc
; %bb.2834:
	s_mov_b32 s10, 0x7f800001
	s_xor_b64 s[4:5], exec, -1
; %bb.2835:
	s_or_b64 exec, exec, s[8:9]
	s_and_b64 s[4:5], s[4:5], exec
                                        ; implicit-def: $vgpr21
	s_or_saveexec_b64 s[6:7], s[6:7]
	v_mov_b32_e32 v20, s10
	s_xor_b64 exec, exec, s[6:7]
	s_cbranch_execz .LBB42_786
.LBB42_2836:
	v_cmp_ne_u16_e32 vcc, 0, v21
	s_andn2_b64 s[4:5], s[4:5], exec
	s_and_b64 s[8:9], vcc, exec
	v_mov_b32_e32 v20, 0
	s_or_b64 s[4:5], s[4:5], s[8:9]
	s_or_b64 exec, exec, s[6:7]
	s_and_saveexec_b64 s[6:7], s[4:5]
	s_cbranch_execnz .LBB42_787
	s_branch .LBB42_788
.LBB42_2837:
	s_movk_i32 s4, 0x80
	v_cmp_eq_u16_e32 vcc, s4, v21
	s_mov_b64 s[4:5], -1
                                        ; implicit-def: $sgpr10
	s_and_saveexec_b64 s[8:9], vcc
; %bb.2838:
	s_mov_b32 s10, 0x7f800001
	s_xor_b64 s[4:5], exec, -1
; %bb.2839:
	s_or_b64 exec, exec, s[8:9]
	s_and_b64 s[4:5], s[4:5], exec
                                        ; implicit-def: $vgpr21
	s_or_saveexec_b64 s[6:7], s[6:7]
	v_mov_b32_e32 v22, s10
	s_xor_b64 exec, exec, s[6:7]
	s_cbranch_execz .LBB42_790
.LBB42_2840:
	v_cmp_ne_u16_e32 vcc, 0, v21
	s_andn2_b64 s[4:5], s[4:5], exec
	s_and_b64 s[8:9], vcc, exec
	v_mov_b32_e32 v22, 0
	s_or_b64 s[4:5], s[4:5], s[8:9]
	s_or_b64 exec, exec, s[6:7]
	s_and_saveexec_b64 s[6:7], s[4:5]
	s_cbranch_execnz .LBB42_791
	s_branch .LBB42_792
.LBB42_2841:
	s_movk_i32 s4, 0x80
	v_cmp_eq_u16_sdwa s[12:13], v14, s4 src0_sel:BYTE_3 src1_sel:DWORD
	s_mov_b64 s[4:5], -1
                                        ; implicit-def: $sgpr10
	s_and_saveexec_b64 s[8:9], s[12:13]
; %bb.2842:
	s_mov_b32 s10, 0x7f800001
	s_xor_b64 s[4:5], exec, -1
; %bb.2843:
	s_or_b64 exec, exec, s[8:9]
	s_and_b64 s[4:5], s[4:5], exec
	s_or_saveexec_b64 s[6:7], s[6:7]
	v_mov_b32_e32 v20, s10
	s_xor_b64 exec, exec, s[6:7]
	s_cbranch_execz .LBB42_794
.LBB42_2844:
	v_mov_b32_e32 v20, 0
	v_cmp_ne_u16_sdwa s[8:9], v14, v20 src0_sel:BYTE_3 src1_sel:DWORD
	s_andn2_b64 s[4:5], s[4:5], exec
	s_and_b64 s[8:9], s[8:9], exec
	s_or_b64 s[4:5], s[4:5], s[8:9]
	s_or_b64 exec, exec, s[6:7]
	s_and_saveexec_b64 s[6:7], s[4:5]
	s_cbranch_execnz .LBB42_795
	s_branch .LBB42_796
.LBB42_2845:
	s_movk_i32 s4, 0x80
	v_cmp_eq_u16_sdwa s[12:13], v10, s4 src0_sel:BYTE_3 src1_sel:DWORD
	s_mov_b64 s[4:5], -1
                                        ; implicit-def: $sgpr10
	s_and_saveexec_b64 s[8:9], s[12:13]
; %bb.2846:
	s_mov_b32 s10, 0x7f800001
	s_xor_b64 s[4:5], exec, -1
; %bb.2847:
	s_or_b64 exec, exec, s[8:9]
	s_and_b64 s[4:5], s[4:5], exec
	s_or_saveexec_b64 s[6:7], s[6:7]
	v_mov_b32_e32 v14, s10
	s_xor_b64 exec, exec, s[6:7]
	s_cbranch_execz .LBB42_798
.LBB42_2848:
	v_mov_b32_e32 v14, 0
	v_cmp_ne_u16_sdwa s[8:9], v10, v14 src0_sel:BYTE_3 src1_sel:DWORD
	s_andn2_b64 s[4:5], s[4:5], exec
	s_and_b64 s[8:9], s[8:9], exec
	s_or_b64 s[4:5], s[4:5], s[8:9]
	s_or_b64 exec, exec, s[6:7]
	s_and_saveexec_b64 s[6:7], s[4:5]
	s_cbranch_execnz .LBB42_799
	s_branch .LBB42_800
.LBB42_2849:
	s_movk_i32 s4, 0x80
	v_cmp_eq_u16_sdwa s[12:13], v15, s4 src0_sel:BYTE_0 src1_sel:DWORD
	s_mov_b64 s[4:5], -1
                                        ; implicit-def: $sgpr10
	s_and_saveexec_b64 s[8:9], s[12:13]
; %bb.2850:
	s_mov_b32 s10, 0x7f800001
	s_xor_b64 s[4:5], exec, -1
; %bb.2851:
	s_or_b64 exec, exec, s[8:9]
	s_and_b64 s[4:5], s[4:5], exec
	s_or_saveexec_b64 s[6:7], s[6:7]
	v_mov_b32_e32 v10, s10
	s_xor_b64 exec, exec, s[6:7]
	s_cbranch_execz .LBB42_802
.LBB42_2852:
	v_mov_b32_e32 v10, 0
	v_cmp_ne_u16_sdwa s[8:9], v15, v10 src0_sel:BYTE_0 src1_sel:DWORD
	s_andn2_b64 s[4:5], s[4:5], exec
	s_and_b64 s[8:9], s[8:9], exec
	s_or_b64 s[4:5], s[4:5], s[8:9]
	s_or_b64 exec, exec, s[6:7]
	s_and_saveexec_b64 s[6:7], s[4:5]
	s_cbranch_execnz .LBB42_803
	s_branch .LBB42_804
.LBB42_2853:
	s_movk_i32 s4, 0x80
	v_cmp_eq_u16_sdwa s[12:13], v11, s4 src0_sel:BYTE_0 src1_sel:DWORD
	s_mov_b64 s[4:5], -1
                                        ; implicit-def: $sgpr10
	s_and_saveexec_b64 s[8:9], s[12:13]
; %bb.2854:
	s_mov_b32 s10, 0x7f800001
	s_xor_b64 s[4:5], exec, -1
; %bb.2855:
	s_or_b64 exec, exec, s[8:9]
	s_and_b64 s[4:5], s[4:5], exec
	s_or_saveexec_b64 s[6:7], s[6:7]
	v_mov_b32_e32 v14, s10
	s_xor_b64 exec, exec, s[6:7]
	s_cbranch_execz .LBB42_806
.LBB42_2856:
	v_mov_b32_e32 v14, 0
	v_cmp_ne_u16_sdwa s[8:9], v11, v14 src0_sel:BYTE_0 src1_sel:DWORD
	s_andn2_b64 s[4:5], s[4:5], exec
	s_and_b64 s[8:9], s[8:9], exec
	s_or_b64 s[4:5], s[4:5], s[8:9]
	s_or_b64 exec, exec, s[6:7]
	s_and_saveexec_b64 s[6:7], s[4:5]
	s_cbranch_execnz .LBB42_807
	s_branch .LBB42_808
.LBB42_2857:
	s_movk_i32 s4, 0x80
	v_cmp_eq_u16_sdwa s[12:13], v14, s4 src0_sel:BYTE_0 src1_sel:DWORD
	s_mov_b64 s[4:5], -1
                                        ; implicit-def: $sgpr10
	s_and_saveexec_b64 s[8:9], s[12:13]
; %bb.2858:
	s_mov_b32 s10, 0x7f800001
	s_xor_b64 s[4:5], exec, -1
; %bb.2859:
	s_or_b64 exec, exec, s[8:9]
	s_and_b64 s[4:5], s[4:5], exec
	s_or_saveexec_b64 s[6:7], s[6:7]
	v_mov_b32_e32 v10, s10
	s_xor_b64 exec, exec, s[6:7]
	s_cbranch_execz .LBB42_810
.LBB42_2860:
	v_mov_b32_e32 v10, 0
	v_cmp_ne_u16_sdwa s[8:9], v14, v10 src0_sel:BYTE_0 src1_sel:DWORD
	s_andn2_b64 s[4:5], s[4:5], exec
	s_and_b64 s[8:9], s[8:9], exec
	s_or_b64 s[4:5], s[4:5], s[8:9]
	s_or_b64 exec, exec, s[6:7]
	s_and_saveexec_b64 s[6:7], s[4:5]
	s_cbranch_execnz .LBB42_811
	s_branch .LBB42_812
.LBB42_2861:
	s_movk_i32 s4, 0x80
	v_cmp_eq_u16_sdwa s[12:13], v14, s4 src0_sel:BYTE_0 src1_sel:DWORD
	s_mov_b64 s[4:5], -1
                                        ; implicit-def: $sgpr10
	s_and_saveexec_b64 s[8:9], s[12:13]
; %bb.2862:
	s_mov_b32 s10, 0x7f800001
	s_xor_b64 s[4:5], exec, -1
; %bb.2863:
	s_or_b64 exec, exec, s[8:9]
	s_and_b64 s[4:5], s[4:5], exec
	s_or_saveexec_b64 s[6:7], s[6:7]
	v_mov_b32_e32 v20, s10
	s_xor_b64 exec, exec, s[6:7]
	s_cbranch_execz .LBB42_814
.LBB42_2864:
	v_mov_b32_e32 v20, 0
	v_cmp_ne_u16_sdwa s[8:9], v14, v20 src0_sel:BYTE_0 src1_sel:DWORD
	s_andn2_b64 s[4:5], s[4:5], exec
	s_and_b64 s[8:9], s[8:9], exec
	s_or_b64 s[4:5], s[4:5], s[8:9]
	s_or_b64 exec, exec, s[6:7]
	s_and_saveexec_b64 s[6:7], s[4:5]
	s_cbranch_execnz .LBB42_815
	s_branch .LBB42_816
.LBB42_2865:
	s_movk_i32 s4, 0x80
	v_cmp_eq_u16_e32 vcc, s4, v14
	s_mov_b64 s[4:5], -1
                                        ; implicit-def: $sgpr10
	s_and_saveexec_b64 s[8:9], vcc
; %bb.2866:
	s_mov_b32 s10, 0x7f800001
	s_xor_b64 s[4:5], exec, -1
; %bb.2867:
	s_or_b64 exec, exec, s[8:9]
	s_and_b64 s[4:5], s[4:5], exec
                                        ; implicit-def: $vgpr14
	s_or_saveexec_b64 s[6:7], s[6:7]
	v_mov_b32_e32 v10, s10
	s_xor_b64 exec, exec, s[6:7]
	s_cbranch_execz .LBB42_818
.LBB42_2868:
	v_cmp_ne_u16_e32 vcc, 0, v14
	s_andn2_b64 s[4:5], s[4:5], exec
	s_and_b64 s[8:9], vcc, exec
	v_mov_b32_e32 v10, 0
	s_or_b64 s[4:5], s[4:5], s[8:9]
	s_or_b64 exec, exec, s[6:7]
	s_and_saveexec_b64 s[6:7], s[4:5]
	s_cbranch_execnz .LBB42_819
	s_branch .LBB42_820
.LBB42_2869:
	s_movk_i32 s4, 0x80
	v_cmp_eq_u16_e32 vcc, s4, v14
	s_mov_b64 s[4:5], -1
                                        ; implicit-def: $sgpr10
	s_and_saveexec_b64 s[8:9], vcc
; %bb.2870:
	s_mov_b32 s10, 0x7f800001
	s_xor_b64 s[4:5], exec, -1
; %bb.2871:
	s_or_b64 exec, exec, s[8:9]
	s_and_b64 s[4:5], s[4:5], exec
                                        ; implicit-def: $vgpr14
	s_or_saveexec_b64 s[6:7], s[6:7]
	v_mov_b32_e32 v20, s10
	s_xor_b64 exec, exec, s[6:7]
	s_cbranch_execz .LBB42_822
.LBB42_2872:
	v_cmp_ne_u16_e32 vcc, 0, v14
	s_andn2_b64 s[4:5], s[4:5], exec
	s_and_b64 s[8:9], vcc, exec
	v_mov_b32_e32 v20, 0
	s_or_b64 s[4:5], s[4:5], s[8:9]
	s_or_b64 exec, exec, s[6:7]
	s_and_saveexec_b64 s[6:7], s[4:5]
	s_cbranch_execnz .LBB42_823
	s_branch .LBB42_824
.LBB42_2873:
	s_movk_i32 s4, 0x80
	v_cmp_eq_u16_sdwa s[12:13], v15, s4 src0_sel:BYTE_3 src1_sel:DWORD
	s_mov_b64 s[4:5], -1
                                        ; implicit-def: $sgpr10
	s_and_saveexec_b64 s[8:9], s[12:13]
; %bb.2874:
	s_mov_b32 s10, 0x7f800001
	s_xor_b64 s[4:5], exec, -1
; %bb.2875:
	s_or_b64 exec, exec, s[8:9]
	s_and_b64 s[4:5], s[4:5], exec
	s_or_saveexec_b64 s[6:7], s[6:7]
	v_mov_b32_e32 v10, s10
	s_xor_b64 exec, exec, s[6:7]
	s_cbranch_execz .LBB42_826
.LBB42_2876:
	v_mov_b32_e32 v10, 0
	v_cmp_ne_u16_sdwa s[8:9], v15, v10 src0_sel:BYTE_3 src1_sel:DWORD
	s_andn2_b64 s[4:5], s[4:5], exec
	s_and_b64 s[8:9], s[8:9], exec
	s_or_b64 s[4:5], s[4:5], s[8:9]
	s_or_b64 exec, exec, s[6:7]
	s_and_saveexec_b64 s[6:7], s[4:5]
	s_cbranch_execnz .LBB42_827
	s_branch .LBB42_828
.LBB42_2877:
	s_movk_i32 s4, 0x80
	v_cmp_eq_u16_sdwa s[12:13], v11, s4 src0_sel:BYTE_3 src1_sel:DWORD
	s_mov_b64 s[4:5], -1
                                        ; implicit-def: $sgpr10
	s_and_saveexec_b64 s[8:9], s[12:13]
; %bb.2878:
	s_mov_b32 s10, 0x7f800001
	s_xor_b64 s[4:5], exec, -1
; %bb.2879:
	s_or_b64 exec, exec, s[8:9]
	s_and_b64 s[4:5], s[4:5], exec
	s_or_saveexec_b64 s[6:7], s[6:7]
	v_mov_b32_e32 v14, s10
	s_xor_b64 exec, exec, s[6:7]
	s_cbranch_execz .LBB42_830
.LBB42_2880:
	v_mov_b32_e32 v14, 0
	v_cmp_ne_u16_sdwa s[8:9], v11, v14 src0_sel:BYTE_3 src1_sel:DWORD
	s_andn2_b64 s[4:5], s[4:5], exec
	s_and_b64 s[8:9], s[8:9], exec
	s_or_b64 s[4:5], s[4:5], s[8:9]
	s_or_b64 exec, exec, s[6:7]
	s_and_saveexec_b64 s[6:7], s[4:5]
	s_cbranch_execnz .LBB42_831
	s_branch .LBB42_832
.LBB42_2881:
	s_movk_i32 s4, 0x80
	v_cmp_eq_u16_sdwa s[12:13], v16, s4 src0_sel:BYTE_0 src1_sel:DWORD
	s_mov_b64 s[4:5], -1
                                        ; implicit-def: $sgpr10
	s_and_saveexec_b64 s[8:9], s[12:13]
; %bb.2882:
	s_mov_b32 s10, 0x7f800001
	s_xor_b64 s[4:5], exec, -1
; %bb.2883:
	s_or_b64 exec, exec, s[8:9]
	s_and_b64 s[4:5], s[4:5], exec
	s_or_saveexec_b64 s[6:7], s[6:7]
	v_mov_b32_e32 v10, s10
	s_xor_b64 exec, exec, s[6:7]
	s_cbranch_execz .LBB42_834
.LBB42_2884:
	v_mov_b32_e32 v10, 0
	v_cmp_ne_u16_sdwa s[8:9], v16, v10 src0_sel:BYTE_0 src1_sel:DWORD
	s_andn2_b64 s[4:5], s[4:5], exec
	s_and_b64 s[8:9], s[8:9], exec
	s_or_b64 s[4:5], s[4:5], s[8:9]
	s_or_b64 exec, exec, s[6:7]
	s_and_saveexec_b64 s[6:7], s[4:5]
	s_cbranch_execnz .LBB42_835
	s_branch .LBB42_836
.LBB42_2885:
	s_movk_i32 s4, 0x80
	v_cmp_eq_u16_sdwa s[12:13], v12, s4 src0_sel:BYTE_0 src1_sel:DWORD
	s_mov_b64 s[4:5], -1
                                        ; implicit-def: $sgpr10
	s_and_saveexec_b64 s[8:9], s[12:13]
; %bb.2886:
	s_mov_b32 s10, 0x7f800001
	s_xor_b64 s[4:5], exec, -1
; %bb.2887:
	s_or_b64 exec, exec, s[8:9]
	s_and_b64 s[4:5], s[4:5], exec
	s_or_saveexec_b64 s[6:7], s[6:7]
	v_mov_b32_e32 v11, s10
	s_xor_b64 exec, exec, s[6:7]
	s_cbranch_execz .LBB42_838
.LBB42_2888:
	v_mov_b32_e32 v11, 0
	v_cmp_ne_u16_sdwa s[8:9], v12, v11 src0_sel:BYTE_0 src1_sel:DWORD
	s_andn2_b64 s[4:5], s[4:5], exec
	s_and_b64 s[8:9], s[8:9], exec
	s_or_b64 s[4:5], s[4:5], s[8:9]
	s_or_b64 exec, exec, s[6:7]
	s_and_saveexec_b64 s[6:7], s[4:5]
	s_cbranch_execnz .LBB42_839
	s_branch .LBB42_840
.LBB42_2889:
	s_movk_i32 s4, 0x80
	v_cmp_eq_u16_sdwa s[12:13], v11, s4 src0_sel:BYTE_0 src1_sel:DWORD
	s_mov_b64 s[4:5], -1
                                        ; implicit-def: $sgpr10
	s_and_saveexec_b64 s[8:9], s[12:13]
; %bb.2890:
	s_mov_b32 s10, 0x7f800001
	s_xor_b64 s[4:5], exec, -1
; %bb.2891:
	s_or_b64 exec, exec, s[8:9]
	s_and_b64 s[4:5], s[4:5], exec
	s_or_saveexec_b64 s[6:7], s[6:7]
	v_mov_b32_e32 v10, s10
	s_xor_b64 exec, exec, s[6:7]
	s_cbranch_execz .LBB42_842
.LBB42_2892:
	v_mov_b32_e32 v10, 0
	v_cmp_ne_u16_sdwa s[8:9], v11, v10 src0_sel:BYTE_0 src1_sel:DWORD
	s_andn2_b64 s[4:5], s[4:5], exec
	s_and_b64 s[8:9], s[8:9], exec
	s_or_b64 s[4:5], s[4:5], s[8:9]
	s_or_b64 exec, exec, s[6:7]
	s_and_saveexec_b64 s[6:7], s[4:5]
	s_cbranch_execnz .LBB42_843
	s_branch .LBB42_844
.LBB42_2893:
	s_movk_i32 s4, 0x80
	v_cmp_eq_u16_sdwa s[12:13], v11, s4 src0_sel:BYTE_0 src1_sel:DWORD
	s_mov_b64 s[4:5], -1
                                        ; implicit-def: $sgpr10
	s_and_saveexec_b64 s[8:9], s[12:13]
; %bb.2894:
	s_mov_b32 s10, 0x7f800001
	s_xor_b64 s[4:5], exec, -1
; %bb.2895:
	s_or_b64 exec, exec, s[8:9]
	s_and_b64 s[4:5], s[4:5], exec
	s_or_saveexec_b64 s[6:7], s[6:7]
	v_mov_b32_e32 v14, s10
	s_xor_b64 exec, exec, s[6:7]
	s_cbranch_execz .LBB42_846
.LBB42_2896:
	v_mov_b32_e32 v14, 0
	v_cmp_ne_u16_sdwa s[8:9], v11, v14 src0_sel:BYTE_0 src1_sel:DWORD
	s_andn2_b64 s[4:5], s[4:5], exec
	s_and_b64 s[8:9], s[8:9], exec
	s_or_b64 s[4:5], s[4:5], s[8:9]
	s_or_b64 exec, exec, s[6:7]
	s_and_saveexec_b64 s[6:7], s[4:5]
	s_cbranch_execnz .LBB42_847
	s_branch .LBB42_848
.LBB42_2897:
	s_movk_i32 s4, 0x80
	v_cmp_eq_u16_e32 vcc, s4, v11
	s_mov_b64 s[4:5], -1
                                        ; implicit-def: $sgpr10
	s_and_saveexec_b64 s[8:9], vcc
; %bb.2898:
	s_mov_b32 s10, 0x7f800001
	s_xor_b64 s[4:5], exec, -1
; %bb.2899:
	s_or_b64 exec, exec, s[8:9]
	s_and_b64 s[4:5], s[4:5], exec
                                        ; implicit-def: $vgpr11
	s_or_saveexec_b64 s[6:7], s[6:7]
	v_mov_b32_e32 v10, s10
	s_xor_b64 exec, exec, s[6:7]
	s_cbranch_execz .LBB42_850
.LBB42_2900:
	v_cmp_ne_u16_e32 vcc, 0, v11
	s_andn2_b64 s[4:5], s[4:5], exec
	s_and_b64 s[8:9], vcc, exec
	v_mov_b32_e32 v10, 0
	s_or_b64 s[4:5], s[4:5], s[8:9]
	s_or_b64 exec, exec, s[6:7]
	s_and_saveexec_b64 s[6:7], s[4:5]
	s_cbranch_execnz .LBB42_851
	s_branch .LBB42_852
.LBB42_2901:
	s_movk_i32 s4, 0x80
	v_cmp_eq_u16_e32 vcc, s4, v11
	s_mov_b64 s[4:5], -1
                                        ; implicit-def: $sgpr10
	s_and_saveexec_b64 s[8:9], vcc
; %bb.2902:
	s_mov_b32 s10, 0x7f800001
	s_xor_b64 s[4:5], exec, -1
; %bb.2903:
	s_or_b64 exec, exec, s[8:9]
	s_and_b64 s[4:5], s[4:5], exec
                                        ; implicit-def: $vgpr11
	s_or_saveexec_b64 s[6:7], s[6:7]
	v_mov_b32_e32 v14, s10
	s_xor_b64 exec, exec, s[6:7]
	s_cbranch_execz .LBB42_854
.LBB42_2904:
	v_cmp_ne_u16_e32 vcc, 0, v11
	s_andn2_b64 s[4:5], s[4:5], exec
	s_and_b64 s[8:9], vcc, exec
	v_mov_b32_e32 v14, 0
	s_or_b64 s[4:5], s[4:5], s[8:9]
	s_or_b64 exec, exec, s[6:7]
	s_and_saveexec_b64 s[6:7], s[4:5]
	s_cbranch_execnz .LBB42_855
	s_branch .LBB42_856
.LBB42_2905:
	s_movk_i32 s4, 0x80
	v_cmp_eq_u16_sdwa s[12:13], v16, s4 src0_sel:BYTE_3 src1_sel:DWORD
	s_mov_b64 s[4:5], -1
                                        ; implicit-def: $sgpr10
	s_and_saveexec_b64 s[8:9], s[12:13]
; %bb.2906:
	s_mov_b32 s10, 0x7f800001
	s_xor_b64 s[4:5], exec, -1
; %bb.2907:
	s_or_b64 exec, exec, s[8:9]
	s_and_b64 s[4:5], s[4:5], exec
	s_or_saveexec_b64 s[6:7], s[6:7]
	v_mov_b32_e32 v10, s10
	s_xor_b64 exec, exec, s[6:7]
	s_cbranch_execz .LBB42_858
.LBB42_2908:
	v_mov_b32_e32 v10, 0
	v_cmp_ne_u16_sdwa s[8:9], v16, v10 src0_sel:BYTE_3 src1_sel:DWORD
	s_andn2_b64 s[4:5], s[4:5], exec
	s_and_b64 s[8:9], s[8:9], exec
	s_or_b64 s[4:5], s[4:5], s[8:9]
	s_or_b64 exec, exec, s[6:7]
	s_and_saveexec_b64 s[6:7], s[4:5]
	s_cbranch_execnz .LBB42_859
	s_branch .LBB42_860
.LBB42_2909:
	s_movk_i32 s4, 0x80
	v_cmp_eq_u16_sdwa s[12:13], v12, s4 src0_sel:BYTE_3 src1_sel:DWORD
	s_mov_b64 s[4:5], -1
                                        ; implicit-def: $sgpr10
	s_and_saveexec_b64 s[8:9], s[12:13]
; %bb.2910:
	s_mov_b32 s10, 0x7f800001
	s_xor_b64 s[4:5], exec, -1
; %bb.2911:
	s_or_b64 exec, exec, s[8:9]
	s_and_b64 s[4:5], s[4:5], exec
	s_or_saveexec_b64 s[6:7], s[6:7]
	v_mov_b32_e32 v11, s10
	s_xor_b64 exec, exec, s[6:7]
	s_cbranch_execz .LBB42_862
.LBB42_2912:
	v_mov_b32_e32 v11, 0
	v_cmp_ne_u16_sdwa s[8:9], v12, v11 src0_sel:BYTE_3 src1_sel:DWORD
	s_andn2_b64 s[4:5], s[4:5], exec
	s_and_b64 s[8:9], s[8:9], exec
	s_or_b64 s[4:5], s[4:5], s[8:9]
	s_or_b64 exec, exec, s[6:7]
	s_and_saveexec_b64 s[6:7], s[4:5]
	s_cbranch_execnz .LBB42_863
	s_branch .LBB42_864
.LBB42_2913:
	s_movk_i32 s4, 0x80
	v_cmp_eq_u16_sdwa s[12:13], v17, s4 src0_sel:BYTE_0 src1_sel:DWORD
	s_mov_b64 s[4:5], -1
                                        ; implicit-def: $sgpr10
	s_and_saveexec_b64 s[8:9], s[12:13]
; %bb.2914:
	s_mov_b32 s10, 0x7f800001
	s_xor_b64 s[4:5], exec, -1
; %bb.2915:
	s_or_b64 exec, exec, s[8:9]
	s_and_b64 s[4:5], s[4:5], exec
	s_or_saveexec_b64 s[6:7], s[6:7]
	v_mov_b32_e32 v10, s10
	s_xor_b64 exec, exec, s[6:7]
	s_cbranch_execz .LBB42_866
.LBB42_2916:
	v_mov_b32_e32 v10, 0
	v_cmp_ne_u16_sdwa s[8:9], v17, v10 src0_sel:BYTE_0 src1_sel:DWORD
	s_andn2_b64 s[4:5], s[4:5], exec
	s_and_b64 s[8:9], s[8:9], exec
	s_or_b64 s[4:5], s[4:5], s[8:9]
	s_or_b64 exec, exec, s[6:7]
	s_and_saveexec_b64 s[6:7], s[4:5]
	s_cbranch_execnz .LBB42_867
	s_branch .LBB42_868
.LBB42_2917:
	s_movk_i32 s4, 0x80
	v_cmp_eq_u16_sdwa s[12:13], v13, s4 src0_sel:BYTE_0 src1_sel:DWORD
	s_mov_b64 s[4:5], -1
                                        ; implicit-def: $sgpr10
	s_and_saveexec_b64 s[8:9], s[12:13]
; %bb.2918:
	s_mov_b32 s10, 0x7f800001
	s_xor_b64 s[4:5], exec, -1
; %bb.2919:
	s_or_b64 exec, exec, s[8:9]
	s_and_b64 s[4:5], s[4:5], exec
	s_or_saveexec_b64 s[6:7], s[6:7]
	v_mov_b32_e32 v11, s10
	s_xor_b64 exec, exec, s[6:7]
	s_cbranch_execz .LBB42_870
.LBB42_2920:
	v_mov_b32_e32 v11, 0
	v_cmp_ne_u16_sdwa s[8:9], v13, v11 src0_sel:BYTE_0 src1_sel:DWORD
	s_andn2_b64 s[4:5], s[4:5], exec
	s_and_b64 s[8:9], s[8:9], exec
	s_or_b64 s[4:5], s[4:5], s[8:9]
	s_or_b64 exec, exec, s[6:7]
	s_and_saveexec_b64 s[6:7], s[4:5]
	s_cbranch_execnz .LBB42_871
	s_branch .LBB42_872
.LBB42_2921:
	s_movk_i32 s4, 0x80
	v_cmp_eq_u16_sdwa s[12:13], v11, s4 src0_sel:BYTE_0 src1_sel:DWORD
	s_mov_b64 s[4:5], -1
                                        ; implicit-def: $sgpr10
	s_and_saveexec_b64 s[8:9], s[12:13]
; %bb.2922:
	s_mov_b32 s10, 0x7f800001
	s_xor_b64 s[4:5], exec, -1
; %bb.2923:
	s_or_b64 exec, exec, s[8:9]
	s_and_b64 s[4:5], s[4:5], exec
	s_or_saveexec_b64 s[6:7], s[6:7]
	v_mov_b32_e32 v10, s10
	s_xor_b64 exec, exec, s[6:7]
	s_cbranch_execz .LBB42_874
.LBB42_2924:
	v_mov_b32_e32 v10, 0
	v_cmp_ne_u16_sdwa s[8:9], v11, v10 src0_sel:BYTE_0 src1_sel:DWORD
	s_andn2_b64 s[4:5], s[4:5], exec
	s_and_b64 s[8:9], s[8:9], exec
	s_or_b64 s[4:5], s[4:5], s[8:9]
	s_or_b64 exec, exec, s[6:7]
	s_and_saveexec_b64 s[6:7], s[4:5]
	s_cbranch_execnz .LBB42_875
	s_branch .LBB42_876
.LBB42_2925:
	s_movk_i32 s4, 0x80
	v_cmp_eq_u16_sdwa s[12:13], v11, s4 src0_sel:BYTE_0 src1_sel:DWORD
	s_mov_b64 s[4:5], -1
                                        ; implicit-def: $sgpr10
	s_and_saveexec_b64 s[8:9], s[12:13]
; %bb.2926:
	s_mov_b32 s10, 0x7f800001
	s_xor_b64 s[4:5], exec, -1
; %bb.2927:
	s_or_b64 exec, exec, s[8:9]
	s_and_b64 s[4:5], s[4:5], exec
	s_or_saveexec_b64 s[6:7], s[6:7]
	v_mov_b32_e32 v12, s10
	s_xor_b64 exec, exec, s[6:7]
	s_cbranch_execz .LBB42_878
.LBB42_2928:
	v_mov_b32_e32 v12, 0
	v_cmp_ne_u16_sdwa s[8:9], v11, v12 src0_sel:BYTE_0 src1_sel:DWORD
	s_andn2_b64 s[4:5], s[4:5], exec
	s_and_b64 s[8:9], s[8:9], exec
	s_or_b64 s[4:5], s[4:5], s[8:9]
	s_or_b64 exec, exec, s[6:7]
	s_and_saveexec_b64 s[6:7], s[4:5]
	s_cbranch_execnz .LBB42_879
	s_branch .LBB42_880
.LBB42_2929:
	s_movk_i32 s4, 0x80
	v_cmp_eq_u16_e32 vcc, s4, v11
	s_mov_b64 s[4:5], -1
                                        ; implicit-def: $sgpr10
	s_and_saveexec_b64 s[8:9], vcc
; %bb.2930:
	s_mov_b32 s10, 0x7f800001
	s_xor_b64 s[4:5], exec, -1
; %bb.2931:
	s_or_b64 exec, exec, s[8:9]
	s_and_b64 s[4:5], s[4:5], exec
                                        ; implicit-def: $vgpr11
	s_or_saveexec_b64 s[6:7], s[6:7]
	v_mov_b32_e32 v10, s10
	s_xor_b64 exec, exec, s[6:7]
	s_cbranch_execz .LBB42_882
.LBB42_2932:
	v_cmp_ne_u16_e32 vcc, 0, v11
	s_andn2_b64 s[4:5], s[4:5], exec
	s_and_b64 s[8:9], vcc, exec
	v_mov_b32_e32 v10, 0
	s_or_b64 s[4:5], s[4:5], s[8:9]
	s_or_b64 exec, exec, s[6:7]
	s_and_saveexec_b64 s[6:7], s[4:5]
	s_cbranch_execnz .LBB42_883
	s_branch .LBB42_884
.LBB42_2933:
	s_movk_i32 s4, 0x80
	v_cmp_eq_u16_e32 vcc, s4, v11
	s_mov_b64 s[4:5], -1
                                        ; implicit-def: $sgpr10
	s_and_saveexec_b64 s[8:9], vcc
; %bb.2934:
	s_mov_b32 s10, 0x7f800001
	s_xor_b64 s[4:5], exec, -1
; %bb.2935:
	s_or_b64 exec, exec, s[8:9]
	s_and_b64 s[4:5], s[4:5], exec
                                        ; implicit-def: $vgpr11
	s_or_saveexec_b64 s[6:7], s[6:7]
	v_mov_b32_e32 v12, s10
	s_xor_b64 exec, exec, s[6:7]
	s_cbranch_execz .LBB42_886
.LBB42_2936:
	v_cmp_ne_u16_e32 vcc, 0, v11
	s_andn2_b64 s[4:5], s[4:5], exec
	s_and_b64 s[8:9], vcc, exec
	v_mov_b32_e32 v12, 0
	s_or_b64 s[4:5], s[4:5], s[8:9]
	s_or_b64 exec, exec, s[6:7]
	s_and_saveexec_b64 s[6:7], s[4:5]
	s_cbranch_execnz .LBB42_887
	s_branch .LBB42_888
.LBB42_2937:
	s_movk_i32 s4, 0x80
	v_cmp_eq_u16_sdwa s[12:13], v17, s4 src0_sel:BYTE_3 src1_sel:DWORD
	s_mov_b64 s[4:5], -1
                                        ; implicit-def: $sgpr10
	s_and_saveexec_b64 s[8:9], s[12:13]
; %bb.2938:
	s_mov_b32 s10, 0x7f800001
	s_xor_b64 s[4:5], exec, -1
; %bb.2939:
	s_or_b64 exec, exec, s[8:9]
	s_and_b64 s[4:5], s[4:5], exec
	s_or_saveexec_b64 s[6:7], s[6:7]
	v_mov_b32_e32 v10, s10
	s_xor_b64 exec, exec, s[6:7]
	s_cbranch_execz .LBB42_890
.LBB42_2940:
	v_mov_b32_e32 v10, 0
	v_cmp_ne_u16_sdwa s[8:9], v17, v10 src0_sel:BYTE_3 src1_sel:DWORD
	s_andn2_b64 s[4:5], s[4:5], exec
	s_and_b64 s[8:9], s[8:9], exec
	s_or_b64 s[4:5], s[4:5], s[8:9]
	s_or_b64 exec, exec, s[6:7]
	s_and_saveexec_b64 s[6:7], s[4:5]
	s_cbranch_execnz .LBB42_891
	s_branch .LBB42_892
.LBB42_2941:
	s_movk_i32 s4, 0x80
	v_cmp_eq_u16_sdwa s[12:13], v13, s4 src0_sel:BYTE_3 src1_sel:DWORD
	s_mov_b64 s[4:5], -1
                                        ; implicit-def: $sgpr10
	s_and_saveexec_b64 s[8:9], s[12:13]
; %bb.2942:
	s_mov_b32 s10, 0x7f800001
	s_xor_b64 s[4:5], exec, -1
; %bb.2943:
	s_or_b64 exec, exec, s[8:9]
	s_and_b64 s[4:5], s[4:5], exec
	s_or_saveexec_b64 s[6:7], s[6:7]
	v_mov_b32_e32 v11, s10
	s_xor_b64 exec, exec, s[6:7]
	s_cbranch_execz .LBB42_894
.LBB42_2944:
	v_mov_b32_e32 v11, 0
	v_cmp_ne_u16_sdwa s[8:9], v13, v11 src0_sel:BYTE_3 src1_sel:DWORD
	s_andn2_b64 s[4:5], s[4:5], exec
	s_and_b64 s[8:9], s[8:9], exec
	s_or_b64 s[4:5], s[4:5], s[8:9]
	s_or_b64 exec, exec, s[6:7]
	s_and_saveexec_b64 s[6:7], s[4:5]
	s_cbranch_execnz .LBB42_895
	s_branch .LBB42_896
.LBB42_2945:
	s_movk_i32 s4, 0x80
	v_cmp_eq_u16_sdwa s[12:13], v6, s4 src0_sel:BYTE_0 src1_sel:DWORD
	s_mov_b64 s[4:5], -1
                                        ; implicit-def: $sgpr10
	s_and_saveexec_b64 s[8:9], s[12:13]
; %bb.2946:
	s_mov_b32 s10, 0x7f800001
	s_xor_b64 s[4:5], exec, -1
; %bb.2947:
	s_or_b64 exec, exec, s[8:9]
	s_and_b64 s[4:5], s[4:5], exec
	s_or_saveexec_b64 s[6:7], s[6:7]
	v_mov_b32_e32 v10, s10
	s_xor_b64 exec, exec, s[6:7]
	s_cbranch_execz .LBB42_898
.LBB42_2948:
	v_mov_b32_e32 v10, 0
	v_cmp_ne_u16_sdwa s[8:9], v6, v10 src0_sel:BYTE_0 src1_sel:DWORD
	s_andn2_b64 s[4:5], s[4:5], exec
	s_and_b64 s[8:9], s[8:9], exec
	s_or_b64 s[4:5], s[4:5], s[8:9]
	s_or_b64 exec, exec, s[6:7]
	s_and_saveexec_b64 s[6:7], s[4:5]
	s_cbranch_execnz .LBB42_899
	s_branch .LBB42_900
.LBB42_2949:
	s_movk_i32 s4, 0x80
	v_cmp_eq_u16_sdwa s[12:13], v2, s4 src0_sel:BYTE_0 src1_sel:DWORD
	s_mov_b64 s[4:5], -1
                                        ; implicit-def: $sgpr10
	s_and_saveexec_b64 s[8:9], s[12:13]
; %bb.2950:
	s_mov_b32 s10, 0x7f800001
	s_xor_b64 s[4:5], exec, -1
; %bb.2951:
	s_or_b64 exec, exec, s[8:9]
	s_and_b64 s[4:5], s[4:5], exec
	s_or_saveexec_b64 s[6:7], s[6:7]
	v_mov_b32_e32 v11, s10
	s_xor_b64 exec, exec, s[6:7]
	s_cbranch_execz .LBB42_902
.LBB42_2952:
	v_mov_b32_e32 v11, 0
	v_cmp_ne_u16_sdwa s[8:9], v2, v11 src0_sel:BYTE_0 src1_sel:DWORD
	s_andn2_b64 s[4:5], s[4:5], exec
	s_and_b64 s[8:9], s[8:9], exec
	s_or_b64 s[4:5], s[4:5], s[8:9]
	s_or_b64 exec, exec, s[6:7]
	s_and_saveexec_b64 s[6:7], s[4:5]
	s_cbranch_execnz .LBB42_903
	s_branch .LBB42_904
.LBB42_2953:
	s_movk_i32 s4, 0x80
	v_cmp_eq_u16_sdwa s[12:13], v11, s4 src0_sel:BYTE_0 src1_sel:DWORD
	s_mov_b64 s[4:5], -1
                                        ; implicit-def: $sgpr10
	s_and_saveexec_b64 s[8:9], s[12:13]
; %bb.2954:
	s_mov_b32 s10, 0x7f800001
	s_xor_b64 s[4:5], exec, -1
; %bb.2955:
	s_or_b64 exec, exec, s[8:9]
	s_and_b64 s[4:5], s[4:5], exec
	s_or_saveexec_b64 s[6:7], s[6:7]
	v_mov_b32_e32 v10, s10
	s_xor_b64 exec, exec, s[6:7]
	s_cbranch_execz .LBB42_906
.LBB42_2956:
	v_mov_b32_e32 v10, 0
	v_cmp_ne_u16_sdwa s[8:9], v11, v10 src0_sel:BYTE_0 src1_sel:DWORD
	s_andn2_b64 s[4:5], s[4:5], exec
	s_and_b64 s[8:9], s[8:9], exec
	s_or_b64 s[4:5], s[4:5], s[8:9]
	s_or_b64 exec, exec, s[6:7]
	s_and_saveexec_b64 s[6:7], s[4:5]
	s_cbranch_execnz .LBB42_907
	s_branch .LBB42_908
.LBB42_2957:
	s_movk_i32 s4, 0x80
	v_cmp_eq_u16_sdwa s[12:13], v11, s4 src0_sel:BYTE_0 src1_sel:DWORD
	s_mov_b64 s[4:5], -1
                                        ; implicit-def: $sgpr10
	s_and_saveexec_b64 s[8:9], s[12:13]
; %bb.2958:
	s_mov_b32 s10, 0x7f800001
	s_xor_b64 s[4:5], exec, -1
; %bb.2959:
	s_or_b64 exec, exec, s[8:9]
	s_and_b64 s[4:5], s[4:5], exec
	s_or_saveexec_b64 s[6:7], s[6:7]
	v_mov_b32_e32 v12, s10
	s_xor_b64 exec, exec, s[6:7]
	s_cbranch_execz .LBB42_910
.LBB42_2960:
	v_mov_b32_e32 v12, 0
	v_cmp_ne_u16_sdwa s[8:9], v11, v12 src0_sel:BYTE_0 src1_sel:DWORD
	s_andn2_b64 s[4:5], s[4:5], exec
	s_and_b64 s[8:9], s[8:9], exec
	s_or_b64 s[4:5], s[4:5], s[8:9]
	s_or_b64 exec, exec, s[6:7]
	s_and_saveexec_b64 s[6:7], s[4:5]
	s_cbranch_execnz .LBB42_911
	s_branch .LBB42_912
.LBB42_2961:
	s_movk_i32 s4, 0x80
	v_cmp_eq_u16_e32 vcc, s4, v11
	s_mov_b64 s[4:5], -1
                                        ; implicit-def: $sgpr10
	s_and_saveexec_b64 s[8:9], vcc
; %bb.2962:
	s_mov_b32 s10, 0x7f800001
	s_xor_b64 s[4:5], exec, -1
; %bb.2963:
	s_or_b64 exec, exec, s[8:9]
	s_and_b64 s[4:5], s[4:5], exec
                                        ; implicit-def: $vgpr11
	s_or_saveexec_b64 s[6:7], s[6:7]
	v_mov_b32_e32 v10, s10
	s_xor_b64 exec, exec, s[6:7]
	s_cbranch_execz .LBB42_914
.LBB42_2964:
	v_cmp_ne_u16_e32 vcc, 0, v11
	s_andn2_b64 s[4:5], s[4:5], exec
	s_and_b64 s[8:9], vcc, exec
	v_mov_b32_e32 v10, 0
	s_or_b64 s[4:5], s[4:5], s[8:9]
	s_or_b64 exec, exec, s[6:7]
	s_and_saveexec_b64 s[6:7], s[4:5]
	s_cbranch_execnz .LBB42_915
	s_branch .LBB42_916
.LBB42_2965:
	s_movk_i32 s4, 0x80
	v_cmp_eq_u16_e32 vcc, s4, v11
	s_mov_b64 s[4:5], -1
                                        ; implicit-def: $sgpr10
	s_and_saveexec_b64 s[8:9], vcc
; %bb.2966:
	s_mov_b32 s10, 0x7f800001
	s_xor_b64 s[4:5], exec, -1
; %bb.2967:
	s_or_b64 exec, exec, s[8:9]
	s_and_b64 s[4:5], s[4:5], exec
                                        ; implicit-def: $vgpr11
	s_or_saveexec_b64 s[6:7], s[6:7]
	v_mov_b32_e32 v12, s10
	s_xor_b64 exec, exec, s[6:7]
	s_cbranch_execz .LBB42_918
.LBB42_2968:
	v_cmp_ne_u16_e32 vcc, 0, v11
	s_andn2_b64 s[4:5], s[4:5], exec
	s_and_b64 s[8:9], vcc, exec
	v_mov_b32_e32 v12, 0
	s_or_b64 s[4:5], s[4:5], s[8:9]
	s_or_b64 exec, exec, s[6:7]
	s_and_saveexec_b64 s[6:7], s[4:5]
	s_cbranch_execnz .LBB42_919
	s_branch .LBB42_920
.LBB42_2969:
	s_movk_i32 s4, 0x80
	v_cmp_eq_u16_sdwa s[12:13], v6, s4 src0_sel:BYTE_3 src1_sel:DWORD
	s_mov_b64 s[4:5], -1
                                        ; implicit-def: $sgpr10
	s_and_saveexec_b64 s[8:9], s[12:13]
; %bb.2970:
	s_mov_b32 s10, 0x7f800001
	s_xor_b64 s[4:5], exec, -1
; %bb.2971:
	s_or_b64 exec, exec, s[8:9]
	s_and_b64 s[4:5], s[4:5], exec
	s_or_saveexec_b64 s[6:7], s[6:7]
	v_mov_b32_e32 v10, s10
	s_xor_b64 exec, exec, s[6:7]
	s_cbranch_execz .LBB42_922
.LBB42_2972:
	v_mov_b32_e32 v10, 0
	v_cmp_ne_u16_sdwa s[8:9], v6, v10 src0_sel:BYTE_3 src1_sel:DWORD
	s_andn2_b64 s[4:5], s[4:5], exec
	s_and_b64 s[8:9], s[8:9], exec
	s_or_b64 s[4:5], s[4:5], s[8:9]
	s_or_b64 exec, exec, s[6:7]
	s_and_saveexec_b64 s[6:7], s[4:5]
	s_cbranch_execnz .LBB42_923
	s_branch .LBB42_924
.LBB42_2973:
	s_movk_i32 s4, 0x80
	v_cmp_eq_u16_sdwa s[12:13], v2, s4 src0_sel:BYTE_3 src1_sel:DWORD
	s_mov_b64 s[4:5], -1
                                        ; implicit-def: $sgpr10
	s_and_saveexec_b64 s[8:9], s[12:13]
; %bb.2974:
	s_mov_b32 s10, 0x7f800001
	s_xor_b64 s[4:5], exec, -1
; %bb.2975:
	s_or_b64 exec, exec, s[8:9]
	s_and_b64 s[4:5], s[4:5], exec
	s_or_saveexec_b64 s[6:7], s[6:7]
	v_mov_b32_e32 v6, s10
	s_xor_b64 exec, exec, s[6:7]
	s_cbranch_execz .LBB42_926
.LBB42_2976:
	v_mov_b32_e32 v6, 0
	v_cmp_ne_u16_sdwa s[8:9], v2, v6 src0_sel:BYTE_3 src1_sel:DWORD
	s_andn2_b64 s[4:5], s[4:5], exec
	s_and_b64 s[8:9], s[8:9], exec
	s_or_b64 s[4:5], s[4:5], s[8:9]
	s_or_b64 exec, exec, s[6:7]
	s_and_saveexec_b64 s[6:7], s[4:5]
	s_cbranch_execnz .LBB42_927
	s_branch .LBB42_928
.LBB42_2977:
	s_movk_i32 s4, 0x80
	v_cmp_eq_u16_sdwa s[12:13], v7, s4 src0_sel:BYTE_0 src1_sel:DWORD
	s_mov_b64 s[4:5], -1
                                        ; implicit-def: $sgpr10
	s_and_saveexec_b64 s[8:9], s[12:13]
; %bb.2978:
	s_mov_b32 s10, 0x7f800001
	s_xor_b64 s[4:5], exec, -1
; %bb.2979:
	s_or_b64 exec, exec, s[8:9]
	s_and_b64 s[4:5], s[4:5], exec
	s_or_saveexec_b64 s[6:7], s[6:7]
	v_mov_b32_e32 v2, s10
	s_xor_b64 exec, exec, s[6:7]
	s_cbranch_execz .LBB42_930
.LBB42_2980:
	v_mov_b32_e32 v2, 0
	v_cmp_ne_u16_sdwa s[8:9], v7, v2 src0_sel:BYTE_0 src1_sel:DWORD
	s_andn2_b64 s[4:5], s[4:5], exec
	s_and_b64 s[8:9], s[8:9], exec
	s_or_b64 s[4:5], s[4:5], s[8:9]
	s_or_b64 exec, exec, s[6:7]
	s_and_saveexec_b64 s[6:7], s[4:5]
	s_cbranch_execnz .LBB42_931
	s_branch .LBB42_932
.LBB42_2981:
	s_movk_i32 s4, 0x80
	v_cmp_eq_u16_sdwa s[12:13], v3, s4 src0_sel:BYTE_0 src1_sel:DWORD
	s_mov_b64 s[4:5], -1
                                        ; implicit-def: $sgpr10
	s_and_saveexec_b64 s[8:9], s[12:13]
; %bb.2982:
	s_mov_b32 s10, 0x7f800001
	s_xor_b64 s[4:5], exec, -1
; %bb.2983:
	s_or_b64 exec, exec, s[8:9]
	s_and_b64 s[4:5], s[4:5], exec
	s_or_saveexec_b64 s[6:7], s[6:7]
	v_mov_b32_e32 v6, s10
	s_xor_b64 exec, exec, s[6:7]
	s_cbranch_execz .LBB42_934
.LBB42_2984:
	v_mov_b32_e32 v6, 0
	v_cmp_ne_u16_sdwa s[8:9], v3, v6 src0_sel:BYTE_0 src1_sel:DWORD
	s_andn2_b64 s[4:5], s[4:5], exec
	s_and_b64 s[8:9], s[8:9], exec
	s_or_b64 s[4:5], s[4:5], s[8:9]
	s_or_b64 exec, exec, s[6:7]
	s_and_saveexec_b64 s[6:7], s[4:5]
	s_cbranch_execnz .LBB42_935
	s_branch .LBB42_936
.LBB42_2985:
	s_movk_i32 s4, 0x80
	v_cmp_eq_u16_sdwa s[12:13], v6, s4 src0_sel:BYTE_0 src1_sel:DWORD
	s_mov_b64 s[4:5], -1
                                        ; implicit-def: $sgpr10
	s_and_saveexec_b64 s[8:9], s[12:13]
; %bb.2986:
	s_mov_b32 s10, 0x7f800001
	s_xor_b64 s[4:5], exec, -1
; %bb.2987:
	s_or_b64 exec, exec, s[8:9]
	s_and_b64 s[4:5], s[4:5], exec
	s_or_saveexec_b64 s[6:7], s[6:7]
	v_mov_b32_e32 v2, s10
	s_xor_b64 exec, exec, s[6:7]
	s_cbranch_execz .LBB42_938
.LBB42_2988:
	v_mov_b32_e32 v2, 0
	v_cmp_ne_u16_sdwa s[8:9], v6, v2 src0_sel:BYTE_0 src1_sel:DWORD
	s_andn2_b64 s[4:5], s[4:5], exec
	s_and_b64 s[8:9], s[8:9], exec
	s_or_b64 s[4:5], s[4:5], s[8:9]
	s_or_b64 exec, exec, s[6:7]
	s_and_saveexec_b64 s[6:7], s[4:5]
	s_cbranch_execnz .LBB42_939
	s_branch .LBB42_940
.LBB42_2989:
	s_movk_i32 s4, 0x80
	v_cmp_eq_u16_sdwa s[12:13], v6, s4 src0_sel:BYTE_0 src1_sel:DWORD
	s_mov_b64 s[4:5], -1
                                        ; implicit-def: $sgpr10
	s_and_saveexec_b64 s[8:9], s[12:13]
; %bb.2990:
	s_mov_b32 s10, 0x7f800001
	s_xor_b64 s[4:5], exec, -1
; %bb.2991:
	s_or_b64 exec, exec, s[8:9]
	s_and_b64 s[4:5], s[4:5], exec
	s_or_saveexec_b64 s[6:7], s[6:7]
	v_mov_b32_e32 v10, s10
	s_xor_b64 exec, exec, s[6:7]
	s_cbranch_execz .LBB42_942
.LBB42_2992:
	v_mov_b32_e32 v10, 0
	v_cmp_ne_u16_sdwa s[8:9], v6, v10 src0_sel:BYTE_0 src1_sel:DWORD
	s_andn2_b64 s[4:5], s[4:5], exec
	s_and_b64 s[8:9], s[8:9], exec
	s_or_b64 s[4:5], s[4:5], s[8:9]
	s_or_b64 exec, exec, s[6:7]
	s_and_saveexec_b64 s[6:7], s[4:5]
	s_cbranch_execnz .LBB42_943
	s_branch .LBB42_944
.LBB42_2993:
	s_movk_i32 s4, 0x80
	v_cmp_eq_u16_e32 vcc, s4, v6
	s_mov_b64 s[4:5], -1
                                        ; implicit-def: $sgpr10
	s_and_saveexec_b64 s[8:9], vcc
; %bb.2994:
	s_mov_b32 s10, 0x7f800001
	s_xor_b64 s[4:5], exec, -1
; %bb.2995:
	s_or_b64 exec, exec, s[8:9]
	s_and_b64 s[4:5], s[4:5], exec
                                        ; implicit-def: $vgpr6
	s_or_saveexec_b64 s[6:7], s[6:7]
	v_mov_b32_e32 v2, s10
	s_xor_b64 exec, exec, s[6:7]
	s_cbranch_execz .LBB42_946
.LBB42_2996:
	v_cmp_ne_u16_e32 vcc, 0, v6
	s_andn2_b64 s[4:5], s[4:5], exec
	s_and_b64 s[8:9], vcc, exec
	v_mov_b32_e32 v2, 0
	s_or_b64 s[4:5], s[4:5], s[8:9]
	s_or_b64 exec, exec, s[6:7]
	s_and_saveexec_b64 s[6:7], s[4:5]
	s_cbranch_execnz .LBB42_947
	s_branch .LBB42_948
.LBB42_2997:
	s_movk_i32 s4, 0x80
	v_cmp_eq_u16_e32 vcc, s4, v6
	s_mov_b64 s[4:5], -1
                                        ; implicit-def: $sgpr10
	s_and_saveexec_b64 s[8:9], vcc
; %bb.2998:
	s_mov_b32 s10, 0x7f800001
	s_xor_b64 s[4:5], exec, -1
; %bb.2999:
	s_or_b64 exec, exec, s[8:9]
	s_and_b64 s[4:5], s[4:5], exec
                                        ; implicit-def: $vgpr6
	s_or_saveexec_b64 s[6:7], s[6:7]
	v_mov_b32_e32 v10, s10
	s_xor_b64 exec, exec, s[6:7]
	s_cbranch_execz .LBB42_950
.LBB42_3000:
	v_cmp_ne_u16_e32 vcc, 0, v6
	s_andn2_b64 s[4:5], s[4:5], exec
	s_and_b64 s[8:9], vcc, exec
	v_mov_b32_e32 v10, 0
	s_or_b64 s[4:5], s[4:5], s[8:9]
	s_or_b64 exec, exec, s[6:7]
	s_and_saveexec_b64 s[6:7], s[4:5]
	s_cbranch_execnz .LBB42_951
	s_branch .LBB42_952
.LBB42_3001:
	s_movk_i32 s4, 0x80
	v_cmp_eq_u16_sdwa s[12:13], v7, s4 src0_sel:BYTE_3 src1_sel:DWORD
	s_mov_b64 s[4:5], -1
                                        ; implicit-def: $sgpr10
	s_and_saveexec_b64 s[8:9], s[12:13]
; %bb.3002:
	s_mov_b32 s10, 0x7f800001
	s_xor_b64 s[4:5], exec, -1
; %bb.3003:
	s_or_b64 exec, exec, s[8:9]
	s_and_b64 s[4:5], s[4:5], exec
	s_or_saveexec_b64 s[6:7], s[6:7]
	v_mov_b32_e32 v2, s10
	s_xor_b64 exec, exec, s[6:7]
	s_cbranch_execz .LBB42_954
.LBB42_3004:
	v_mov_b32_e32 v2, 0
	v_cmp_ne_u16_sdwa s[8:9], v7, v2 src0_sel:BYTE_3 src1_sel:DWORD
	s_andn2_b64 s[4:5], s[4:5], exec
	s_and_b64 s[8:9], s[8:9], exec
	s_or_b64 s[4:5], s[4:5], s[8:9]
	s_or_b64 exec, exec, s[6:7]
	s_and_saveexec_b64 s[6:7], s[4:5]
	s_cbranch_execnz .LBB42_955
	s_branch .LBB42_956
.LBB42_3005:
	s_movk_i32 s4, 0x80
	v_cmp_eq_u16_sdwa s[12:13], v3, s4 src0_sel:BYTE_3 src1_sel:DWORD
	s_mov_b64 s[4:5], -1
                                        ; implicit-def: $sgpr10
	s_and_saveexec_b64 s[8:9], s[12:13]
; %bb.3006:
	s_mov_b32 s10, 0x7f800001
	s_xor_b64 s[4:5], exec, -1
; %bb.3007:
	s_or_b64 exec, exec, s[8:9]
	s_and_b64 s[4:5], s[4:5], exec
	s_or_saveexec_b64 s[6:7], s[6:7]
	v_mov_b32_e32 v6, s10
	s_xor_b64 exec, exec, s[6:7]
	s_cbranch_execz .LBB42_958
.LBB42_3008:
	v_mov_b32_e32 v6, 0
	v_cmp_ne_u16_sdwa s[8:9], v3, v6 src0_sel:BYTE_3 src1_sel:DWORD
	s_andn2_b64 s[4:5], s[4:5], exec
	s_and_b64 s[8:9], s[8:9], exec
	s_or_b64 s[4:5], s[4:5], s[8:9]
	s_or_b64 exec, exec, s[6:7]
	s_and_saveexec_b64 s[6:7], s[4:5]
	s_cbranch_execnz .LBB42_959
	s_branch .LBB42_960
.LBB42_3009:
	s_movk_i32 s4, 0x80
	v_cmp_eq_u16_sdwa s[12:13], v8, s4 src0_sel:BYTE_0 src1_sel:DWORD
	s_mov_b64 s[4:5], -1
                                        ; implicit-def: $sgpr10
	s_and_saveexec_b64 s[8:9], s[12:13]
; %bb.3010:
	s_mov_b32 s10, 0x7f800001
	s_xor_b64 s[4:5], exec, -1
; %bb.3011:
	s_or_b64 exec, exec, s[8:9]
	s_and_b64 s[4:5], s[4:5], exec
	s_or_saveexec_b64 s[6:7], s[6:7]
	v_mov_b32_e32 v2, s10
	s_xor_b64 exec, exec, s[6:7]
	s_cbranch_execz .LBB42_962
.LBB42_3012:
	v_mov_b32_e32 v2, 0
	v_cmp_ne_u16_sdwa s[8:9], v8, v2 src0_sel:BYTE_0 src1_sel:DWORD
	s_andn2_b64 s[4:5], s[4:5], exec
	s_and_b64 s[8:9], s[8:9], exec
	s_or_b64 s[4:5], s[4:5], s[8:9]
	s_or_b64 exec, exec, s[6:7]
	s_and_saveexec_b64 s[6:7], s[4:5]
	s_cbranch_execnz .LBB42_963
	s_branch .LBB42_964
.LBB42_3013:
	s_movk_i32 s4, 0x80
	v_cmp_eq_u16_sdwa s[12:13], v4, s4 src0_sel:BYTE_0 src1_sel:DWORD
	s_mov_b64 s[4:5], -1
                                        ; implicit-def: $sgpr10
	s_and_saveexec_b64 s[8:9], s[12:13]
; %bb.3014:
	s_mov_b32 s10, 0x7f800001
	s_xor_b64 s[4:5], exec, -1
; %bb.3015:
	s_or_b64 exec, exec, s[8:9]
	s_and_b64 s[4:5], s[4:5], exec
	s_or_saveexec_b64 s[6:7], s[6:7]
	v_mov_b32_e32 v3, s10
	s_xor_b64 exec, exec, s[6:7]
	s_cbranch_execz .LBB42_966
.LBB42_3016:
	v_mov_b32_e32 v3, 0
	v_cmp_ne_u16_sdwa s[8:9], v4, v3 src0_sel:BYTE_0 src1_sel:DWORD
	s_andn2_b64 s[4:5], s[4:5], exec
	s_and_b64 s[8:9], s[8:9], exec
	s_or_b64 s[4:5], s[4:5], s[8:9]
	s_or_b64 exec, exec, s[6:7]
	s_and_saveexec_b64 s[6:7], s[4:5]
	s_cbranch_execnz .LBB42_967
	s_branch .LBB42_968
.LBB42_3017:
	s_movk_i32 s4, 0x80
	v_cmp_eq_u16_sdwa s[12:13], v3, s4 src0_sel:BYTE_0 src1_sel:DWORD
	s_mov_b64 s[4:5], -1
                                        ; implicit-def: $sgpr10
	s_and_saveexec_b64 s[8:9], s[12:13]
; %bb.3018:
	s_mov_b32 s10, 0x7f800001
	s_xor_b64 s[4:5], exec, -1
; %bb.3019:
	s_or_b64 exec, exec, s[8:9]
	s_and_b64 s[4:5], s[4:5], exec
	s_or_saveexec_b64 s[6:7], s[6:7]
	v_mov_b32_e32 v2, s10
	s_xor_b64 exec, exec, s[6:7]
	s_cbranch_execz .LBB42_970
.LBB42_3020:
	v_mov_b32_e32 v2, 0
	v_cmp_ne_u16_sdwa s[8:9], v3, v2 src0_sel:BYTE_0 src1_sel:DWORD
	s_andn2_b64 s[4:5], s[4:5], exec
	s_and_b64 s[8:9], s[8:9], exec
	s_or_b64 s[4:5], s[4:5], s[8:9]
	s_or_b64 exec, exec, s[6:7]
	s_and_saveexec_b64 s[6:7], s[4:5]
	s_cbranch_execnz .LBB42_971
	s_branch .LBB42_972
.LBB42_3021:
	s_movk_i32 s4, 0x80
	v_cmp_eq_u16_sdwa s[12:13], v3, s4 src0_sel:BYTE_0 src1_sel:DWORD
	s_mov_b64 s[4:5], -1
                                        ; implicit-def: $sgpr10
	s_and_saveexec_b64 s[8:9], s[12:13]
; %bb.3022:
	s_mov_b32 s10, 0x7f800001
	s_xor_b64 s[4:5], exec, -1
; %bb.3023:
	s_or_b64 exec, exec, s[8:9]
	s_and_b64 s[4:5], s[4:5], exec
	s_or_saveexec_b64 s[6:7], s[6:7]
	v_mov_b32_e32 v6, s10
	s_xor_b64 exec, exec, s[6:7]
	s_cbranch_execz .LBB42_974
.LBB42_3024:
	v_mov_b32_e32 v6, 0
	v_cmp_ne_u16_sdwa s[8:9], v3, v6 src0_sel:BYTE_0 src1_sel:DWORD
	s_andn2_b64 s[4:5], s[4:5], exec
	s_and_b64 s[8:9], s[8:9], exec
	s_or_b64 s[4:5], s[4:5], s[8:9]
	s_or_b64 exec, exec, s[6:7]
	s_and_saveexec_b64 s[6:7], s[4:5]
	s_cbranch_execnz .LBB42_975
	s_branch .LBB42_976
.LBB42_3025:
	s_movk_i32 s4, 0x80
	v_cmp_eq_u16_e32 vcc, s4, v3
	s_mov_b64 s[4:5], -1
                                        ; implicit-def: $sgpr10
	s_and_saveexec_b64 s[8:9], vcc
; %bb.3026:
	s_mov_b32 s10, 0x7f800001
	s_xor_b64 s[4:5], exec, -1
; %bb.3027:
	s_or_b64 exec, exec, s[8:9]
	s_and_b64 s[4:5], s[4:5], exec
                                        ; implicit-def: $vgpr3
	s_or_saveexec_b64 s[6:7], s[6:7]
	v_mov_b32_e32 v2, s10
	s_xor_b64 exec, exec, s[6:7]
	s_cbranch_execz .LBB42_978
.LBB42_3028:
	v_cmp_ne_u16_e32 vcc, 0, v3
	s_andn2_b64 s[4:5], s[4:5], exec
	s_and_b64 s[8:9], vcc, exec
	v_mov_b32_e32 v2, 0
	s_or_b64 s[4:5], s[4:5], s[8:9]
	s_or_b64 exec, exec, s[6:7]
	s_and_saveexec_b64 s[6:7], s[4:5]
	s_cbranch_execnz .LBB42_979
	s_branch .LBB42_980
.LBB42_3029:
	s_movk_i32 s4, 0x80
	v_cmp_eq_u16_e32 vcc, s4, v3
	s_mov_b64 s[4:5], -1
                                        ; implicit-def: $sgpr10
	s_and_saveexec_b64 s[8:9], vcc
; %bb.3030:
	s_mov_b32 s10, 0x7f800001
	s_xor_b64 s[4:5], exec, -1
; %bb.3031:
	s_or_b64 exec, exec, s[8:9]
	s_and_b64 s[4:5], s[4:5], exec
                                        ; implicit-def: $vgpr3
	s_or_saveexec_b64 s[6:7], s[6:7]
	v_mov_b32_e32 v6, s10
	s_xor_b64 exec, exec, s[6:7]
	s_cbranch_execz .LBB42_982
.LBB42_3032:
	v_cmp_ne_u16_e32 vcc, 0, v3
	s_andn2_b64 s[4:5], s[4:5], exec
	s_and_b64 s[8:9], vcc, exec
	v_mov_b32_e32 v6, 0
	s_or_b64 s[4:5], s[4:5], s[8:9]
	s_or_b64 exec, exec, s[6:7]
	s_and_saveexec_b64 s[6:7], s[4:5]
	s_cbranch_execnz .LBB42_983
	s_branch .LBB42_984
.LBB42_3033:
	s_movk_i32 s4, 0x80
	v_cmp_eq_u16_sdwa s[12:13], v8, s4 src0_sel:BYTE_3 src1_sel:DWORD
	s_mov_b64 s[4:5], -1
                                        ; implicit-def: $sgpr10
	s_and_saveexec_b64 s[8:9], s[12:13]
; %bb.3034:
	s_mov_b32 s10, 0x7f800001
	s_xor_b64 s[4:5], exec, -1
; %bb.3035:
	s_or_b64 exec, exec, s[8:9]
	s_and_b64 s[4:5], s[4:5], exec
	s_or_saveexec_b64 s[6:7], s[6:7]
	v_mov_b32_e32 v2, s10
	s_xor_b64 exec, exec, s[6:7]
	s_cbranch_execz .LBB42_986
.LBB42_3036:
	v_mov_b32_e32 v2, 0
	v_cmp_ne_u16_sdwa s[8:9], v8, v2 src0_sel:BYTE_3 src1_sel:DWORD
	s_andn2_b64 s[4:5], s[4:5], exec
	s_and_b64 s[8:9], s[8:9], exec
	s_or_b64 s[4:5], s[4:5], s[8:9]
	s_or_b64 exec, exec, s[6:7]
	s_and_saveexec_b64 s[6:7], s[4:5]
	s_cbranch_execnz .LBB42_987
	s_branch .LBB42_988
.LBB42_3037:
	s_movk_i32 s4, 0x80
	v_cmp_eq_u16_sdwa s[12:13], v4, s4 src0_sel:BYTE_3 src1_sel:DWORD
	s_mov_b64 s[4:5], -1
                                        ; implicit-def: $sgpr10
	s_and_saveexec_b64 s[8:9], s[12:13]
; %bb.3038:
	s_mov_b32 s10, 0x7f800001
	s_xor_b64 s[4:5], exec, -1
; %bb.3039:
	s_or_b64 exec, exec, s[8:9]
	s_and_b64 s[4:5], s[4:5], exec
	s_or_saveexec_b64 s[6:7], s[6:7]
	v_mov_b32_e32 v3, s10
	s_xor_b64 exec, exec, s[6:7]
	s_cbranch_execz .LBB42_990
.LBB42_3040:
	v_mov_b32_e32 v3, 0
	v_cmp_ne_u16_sdwa s[8:9], v4, v3 src0_sel:BYTE_3 src1_sel:DWORD
	s_andn2_b64 s[4:5], s[4:5], exec
	s_and_b64 s[8:9], s[8:9], exec
	s_or_b64 s[4:5], s[4:5], s[8:9]
	s_or_b64 exec, exec, s[6:7]
	s_and_saveexec_b64 s[6:7], s[4:5]
	s_cbranch_execnz .LBB42_991
	s_branch .LBB42_992
.LBB42_3041:
	s_movk_i32 s4, 0x80
	v_cmp_eq_u16_sdwa s[12:13], v9, s4 src0_sel:BYTE_0 src1_sel:DWORD
	s_mov_b64 s[4:5], -1
                                        ; implicit-def: $sgpr10
	s_and_saveexec_b64 s[8:9], s[12:13]
; %bb.3042:
	s_mov_b32 s10, 0x7f800001
	s_xor_b64 s[4:5], exec, -1
; %bb.3043:
	s_or_b64 exec, exec, s[8:9]
	s_and_b64 s[4:5], s[4:5], exec
	s_or_saveexec_b64 s[6:7], s[6:7]
	v_mov_b32_e32 v2, s10
	s_xor_b64 exec, exec, s[6:7]
	s_cbranch_execz .LBB42_994
.LBB42_3044:
	v_mov_b32_e32 v2, 0
	v_cmp_ne_u16_sdwa s[8:9], v9, v2 src0_sel:BYTE_0 src1_sel:DWORD
	s_andn2_b64 s[4:5], s[4:5], exec
	s_and_b64 s[8:9], s[8:9], exec
	s_or_b64 s[4:5], s[4:5], s[8:9]
	s_or_b64 exec, exec, s[6:7]
	s_and_saveexec_b64 s[6:7], s[4:5]
	s_cbranch_execnz .LBB42_995
	s_branch .LBB42_996
.LBB42_3045:
	s_movk_i32 s4, 0x80
	v_cmp_eq_u16_sdwa s[12:13], v5, s4 src0_sel:BYTE_0 src1_sel:DWORD
	s_mov_b64 s[4:5], -1
                                        ; implicit-def: $sgpr10
	s_and_saveexec_b64 s[8:9], s[12:13]
; %bb.3046:
	s_mov_b32 s10, 0x7f800001
	s_xor_b64 s[4:5], exec, -1
; %bb.3047:
	s_or_b64 exec, exec, s[8:9]
	s_and_b64 s[4:5], s[4:5], exec
	s_or_saveexec_b64 s[6:7], s[6:7]
	v_mov_b32_e32 v3, s10
	s_xor_b64 exec, exec, s[6:7]
	s_cbranch_execz .LBB42_998
.LBB42_3048:
	v_mov_b32_e32 v3, 0
	v_cmp_ne_u16_sdwa s[8:9], v5, v3 src0_sel:BYTE_0 src1_sel:DWORD
	s_andn2_b64 s[4:5], s[4:5], exec
	s_and_b64 s[8:9], s[8:9], exec
	s_or_b64 s[4:5], s[4:5], s[8:9]
	s_or_b64 exec, exec, s[6:7]
	s_and_saveexec_b64 s[6:7], s[4:5]
	s_cbranch_execnz .LBB42_999
	s_branch .LBB42_1000
.LBB42_3049:
	s_movk_i32 s4, 0x80
	v_cmp_eq_u16_sdwa s[12:13], v3, s4 src0_sel:BYTE_0 src1_sel:DWORD
	s_mov_b64 s[4:5], -1
                                        ; implicit-def: $sgpr10
	s_and_saveexec_b64 s[8:9], s[12:13]
; %bb.3050:
	s_mov_b32 s10, 0x7f800001
	s_xor_b64 s[4:5], exec, -1
; %bb.3051:
	s_or_b64 exec, exec, s[8:9]
	s_and_b64 s[4:5], s[4:5], exec
	s_or_saveexec_b64 s[6:7], s[6:7]
	v_mov_b32_e32 v2, s10
	s_xor_b64 exec, exec, s[6:7]
	s_cbranch_execz .LBB42_1002
.LBB42_3052:
	v_mov_b32_e32 v2, 0
	v_cmp_ne_u16_sdwa s[8:9], v3, v2 src0_sel:BYTE_0 src1_sel:DWORD
	s_andn2_b64 s[4:5], s[4:5], exec
	s_and_b64 s[8:9], s[8:9], exec
	s_or_b64 s[4:5], s[4:5], s[8:9]
	s_or_b64 exec, exec, s[6:7]
	s_and_saveexec_b64 s[6:7], s[4:5]
	s_cbranch_execnz .LBB42_1003
	s_branch .LBB42_1004
.LBB42_3053:
	s_movk_i32 s4, 0x80
	v_cmp_eq_u16_sdwa s[12:13], v3, s4 src0_sel:BYTE_0 src1_sel:DWORD
	s_mov_b64 s[4:5], -1
                                        ; implicit-def: $sgpr10
	s_and_saveexec_b64 s[8:9], s[12:13]
; %bb.3054:
	s_mov_b32 s10, 0x7f800001
	s_xor_b64 s[4:5], exec, -1
; %bb.3055:
	s_or_b64 exec, exec, s[8:9]
	s_and_b64 s[4:5], s[4:5], exec
	s_or_saveexec_b64 s[6:7], s[6:7]
	v_mov_b32_e32 v4, s10
	s_xor_b64 exec, exec, s[6:7]
	s_cbranch_execz .LBB42_1006
.LBB42_3056:
	v_mov_b32_e32 v4, 0
	v_cmp_ne_u16_sdwa s[8:9], v3, v4 src0_sel:BYTE_0 src1_sel:DWORD
	s_andn2_b64 s[4:5], s[4:5], exec
	s_and_b64 s[8:9], s[8:9], exec
	s_or_b64 s[4:5], s[4:5], s[8:9]
	s_or_b64 exec, exec, s[6:7]
	s_and_saveexec_b64 s[6:7], s[4:5]
	s_cbranch_execnz .LBB42_1007
	s_branch .LBB42_1008
.LBB42_3057:
	s_movk_i32 s4, 0x80
	v_cmp_eq_u16_e32 vcc, s4, v3
	s_mov_b64 s[4:5], -1
                                        ; implicit-def: $sgpr10
	s_and_saveexec_b64 s[8:9], vcc
; %bb.3058:
	s_mov_b32 s10, 0x7f800001
	s_xor_b64 s[4:5], exec, -1
; %bb.3059:
	s_or_b64 exec, exec, s[8:9]
	s_and_b64 s[4:5], s[4:5], exec
                                        ; implicit-def: $vgpr3
	s_or_saveexec_b64 s[6:7], s[6:7]
	v_mov_b32_e32 v2, s10
	s_xor_b64 exec, exec, s[6:7]
	s_cbranch_execz .LBB42_1010
.LBB42_3060:
	v_cmp_ne_u16_e32 vcc, 0, v3
	s_andn2_b64 s[4:5], s[4:5], exec
	s_and_b64 s[8:9], vcc, exec
	v_mov_b32_e32 v2, 0
	s_or_b64 s[4:5], s[4:5], s[8:9]
	s_or_b64 exec, exec, s[6:7]
	s_and_saveexec_b64 s[6:7], s[4:5]
	s_cbranch_execnz .LBB42_1011
	s_branch .LBB42_1012
.LBB42_3061:
	s_movk_i32 s4, 0x80
	v_cmp_eq_u16_e32 vcc, s4, v3
	s_mov_b64 s[4:5], -1
                                        ; implicit-def: $sgpr10
	s_and_saveexec_b64 s[8:9], vcc
; %bb.3062:
	s_mov_b32 s10, 0x7f800001
	s_xor_b64 s[4:5], exec, -1
; %bb.3063:
	s_or_b64 exec, exec, s[8:9]
	s_and_b64 s[4:5], s[4:5], exec
                                        ; implicit-def: $vgpr3
	s_or_saveexec_b64 s[6:7], s[6:7]
	v_mov_b32_e32 v4, s10
	s_xor_b64 exec, exec, s[6:7]
	s_cbranch_execz .LBB42_1014
.LBB42_3064:
	v_cmp_ne_u16_e32 vcc, 0, v3
	s_andn2_b64 s[4:5], s[4:5], exec
	s_and_b64 s[8:9], vcc, exec
	v_mov_b32_e32 v4, 0
	s_or_b64 s[4:5], s[4:5], s[8:9]
	s_or_b64 exec, exec, s[6:7]
	s_and_saveexec_b64 s[6:7], s[4:5]
	s_cbranch_execnz .LBB42_1015
	s_branch .LBB42_1016
.LBB42_3065:
	s_movk_i32 s4, 0x80
	v_cmp_eq_u16_sdwa s[12:13], v9, s4 src0_sel:BYTE_3 src1_sel:DWORD
	s_mov_b64 s[4:5], -1
                                        ; implicit-def: $sgpr10
	s_and_saveexec_b64 s[8:9], s[12:13]
; %bb.3066:
	s_mov_b32 s10, 0x7f800001
	s_xor_b64 s[4:5], exec, -1
; %bb.3067:
	s_or_b64 exec, exec, s[8:9]
	s_and_b64 s[4:5], s[4:5], exec
	s_or_saveexec_b64 s[6:7], s[6:7]
	v_mov_b32_e32 v2, s10
	s_xor_b64 exec, exec, s[6:7]
	s_cbranch_execz .LBB42_1018
.LBB42_3068:
	v_mov_b32_e32 v2, 0
	v_cmp_ne_u16_sdwa s[8:9], v9, v2 src0_sel:BYTE_3 src1_sel:DWORD
	s_andn2_b64 s[4:5], s[4:5], exec
	s_and_b64 s[8:9], s[8:9], exec
	s_or_b64 s[4:5], s[4:5], s[8:9]
	s_or_b64 exec, exec, s[6:7]
	s_and_saveexec_b64 s[6:7], s[4:5]
	s_cbranch_execnz .LBB42_1019
	s_branch .LBB42_1020
.LBB42_3069:
	s_movk_i32 s4, 0x80
	v_cmp_eq_u16_sdwa s[12:13], v5, s4 src0_sel:BYTE_3 src1_sel:DWORD
	s_mov_b64 s[4:5], -1
                                        ; implicit-def: $sgpr10
	s_and_saveexec_b64 s[8:9], s[12:13]
; %bb.3070:
	s_mov_b32 s10, 0x7f800001
	s_xor_b64 s[4:5], exec, -1
; %bb.3071:
	s_or_b64 exec, exec, s[8:9]
	s_and_b64 s[4:5], s[4:5], exec
	s_or_saveexec_b64 s[6:7], s[6:7]
	v_mov_b32_e32 v3, s10
	s_xor_b64 exec, exec, s[6:7]
	s_cbranch_execz .LBB42_1022
.LBB42_3072:
	v_mov_b32_e32 v3, 0
	v_cmp_ne_u16_sdwa s[8:9], v5, v3 src0_sel:BYTE_3 src1_sel:DWORD
	s_andn2_b64 s[4:5], s[4:5], exec
	s_and_b64 s[8:9], s[8:9], exec
	s_or_b64 s[4:5], s[4:5], s[8:9]
	s_or_b64 exec, exec, s[6:7]
	s_and_saveexec_b64 s[6:7], s[4:5]
	s_cbranch_execnz .LBB42_1023
	s_branch .LBB42_1024
.LBB42_3073:
	s_movk_i32 s4, 0x80
	v_cmp_eq_u16_sdwa s[12:13], v14, s4 src0_sel:BYTE_0 src1_sel:DWORD
	s_mov_b64 s[4:5], -1
                                        ; implicit-def: $sgpr10
	s_and_saveexec_b64 s[8:9], s[12:13]
; %bb.3074:
	s_mov_b32 s10, 0x7f800001
	s_xor_b64 s[4:5], exec, -1
; %bb.3075:
	s_or_b64 exec, exec, s[8:9]
	s_and_b64 s[4:5], s[4:5], exec
	s_or_saveexec_b64 s[6:7], s[6:7]
	v_mov_b32_e32 v20, s10
	s_xor_b64 exec, exec, s[6:7]
	s_cbranch_execz .LBB42_1026
.LBB42_3076:
	v_mov_b32_e32 v20, 0
	v_cmp_ne_u16_sdwa s[8:9], v14, v20 src0_sel:BYTE_0 src1_sel:DWORD
	s_andn2_b64 s[4:5], s[4:5], exec
	s_and_b64 s[8:9], s[8:9], exec
	s_or_b64 s[4:5], s[4:5], s[8:9]
	s_or_b64 exec, exec, s[6:7]
	s_and_saveexec_b64 s[6:7], s[4:5]
	s_cbranch_execnz .LBB42_1027
	s_branch .LBB42_1028
.LBB42_3077:
	s_movk_i32 s4, 0x80
	v_cmp_eq_u16_sdwa s[12:13], v10, s4 src0_sel:BYTE_0 src1_sel:DWORD
	s_mov_b64 s[4:5], -1
                                        ; implicit-def: $sgpr10
	s_and_saveexec_b64 s[8:9], s[12:13]
; %bb.3078:
	s_mov_b32 s10, 0x7f800001
	s_xor_b64 s[4:5], exec, -1
; %bb.3079:
	s_or_b64 exec, exec, s[8:9]
	s_and_b64 s[4:5], s[4:5], exec
	s_or_saveexec_b64 s[6:7], s[6:7]
	v_mov_b32_e32 v21, s10
	s_xor_b64 exec, exec, s[6:7]
	s_cbranch_execz .LBB42_1030
.LBB42_3080:
	v_mov_b32_e32 v21, 0
	v_cmp_ne_u16_sdwa s[8:9], v10, v21 src0_sel:BYTE_0 src1_sel:DWORD
	s_andn2_b64 s[4:5], s[4:5], exec
	s_and_b64 s[8:9], s[8:9], exec
	s_or_b64 s[4:5], s[4:5], s[8:9]
	s_or_b64 exec, exec, s[6:7]
	s_and_saveexec_b64 s[6:7], s[4:5]
	s_cbranch_execnz .LBB42_1031
	s_branch .LBB42_1032
.LBB42_3081:
	s_movk_i32 s4, 0x80
	v_cmp_eq_u16_sdwa s[12:13], v21, s4 src0_sel:BYTE_0 src1_sel:DWORD
	s_mov_b64 s[4:5], -1
                                        ; implicit-def: $sgpr10
	s_and_saveexec_b64 s[8:9], s[12:13]
; %bb.3082:
	s_mov_b32 s10, 0x7f800001
	s_xor_b64 s[4:5], exec, -1
; %bb.3083:
	s_or_b64 exec, exec, s[8:9]
	s_and_b64 s[4:5], s[4:5], exec
	s_or_saveexec_b64 s[6:7], s[6:7]
	v_mov_b32_e32 v20, s10
	s_xor_b64 exec, exec, s[6:7]
	s_cbranch_execz .LBB42_1034
.LBB42_3084:
	v_mov_b32_e32 v20, 0
	v_cmp_ne_u16_sdwa s[8:9], v21, v20 src0_sel:BYTE_0 src1_sel:DWORD
	s_andn2_b64 s[4:5], s[4:5], exec
	s_and_b64 s[8:9], s[8:9], exec
	s_or_b64 s[4:5], s[4:5], s[8:9]
	s_or_b64 exec, exec, s[6:7]
	s_and_saveexec_b64 s[6:7], s[4:5]
	s_cbranch_execnz .LBB42_1035
	s_branch .LBB42_1036
.LBB42_3085:
	s_movk_i32 s4, 0x80
	v_cmp_eq_u16_sdwa s[12:13], v21, s4 src0_sel:BYTE_0 src1_sel:DWORD
	s_mov_b64 s[4:5], -1
                                        ; implicit-def: $sgpr10
	s_and_saveexec_b64 s[8:9], s[12:13]
; %bb.3086:
	s_mov_b32 s10, 0x7f800001
	s_xor_b64 s[4:5], exec, -1
; %bb.3087:
	s_or_b64 exec, exec, s[8:9]
	s_and_b64 s[4:5], s[4:5], exec
	s_or_saveexec_b64 s[6:7], s[6:7]
	v_mov_b32_e32 v22, s10
	s_xor_b64 exec, exec, s[6:7]
	s_cbranch_execz .LBB42_1038
.LBB42_3088:
	v_mov_b32_e32 v22, 0
	v_cmp_ne_u16_sdwa s[8:9], v21, v22 src0_sel:BYTE_0 src1_sel:DWORD
	s_andn2_b64 s[4:5], s[4:5], exec
	s_and_b64 s[8:9], s[8:9], exec
	s_or_b64 s[4:5], s[4:5], s[8:9]
	s_or_b64 exec, exec, s[6:7]
	s_and_saveexec_b64 s[6:7], s[4:5]
	s_cbranch_execnz .LBB42_1039
	s_branch .LBB42_1040
.LBB42_3089:
	s_movk_i32 s4, 0x80
	v_cmp_eq_u16_e32 vcc, s4, v21
	s_mov_b64 s[4:5], -1
                                        ; implicit-def: $sgpr10
	s_and_saveexec_b64 s[8:9], vcc
; %bb.3090:
	s_mov_b32 s10, 0x7f800001
	s_xor_b64 s[4:5], exec, -1
; %bb.3091:
	s_or_b64 exec, exec, s[8:9]
	s_and_b64 s[4:5], s[4:5], exec
                                        ; implicit-def: $vgpr21
	s_or_saveexec_b64 s[6:7], s[6:7]
	v_mov_b32_e32 v20, s10
	s_xor_b64 exec, exec, s[6:7]
	s_cbranch_execz .LBB42_1042
.LBB42_3092:
	v_cmp_ne_u16_e32 vcc, 0, v21
	s_andn2_b64 s[4:5], s[4:5], exec
	s_and_b64 s[8:9], vcc, exec
	v_mov_b32_e32 v20, 0
	s_or_b64 s[4:5], s[4:5], s[8:9]
	s_or_b64 exec, exec, s[6:7]
	s_and_saveexec_b64 s[6:7], s[4:5]
	s_cbranch_execnz .LBB42_1043
	s_branch .LBB42_1044
.LBB42_3093:
	s_movk_i32 s4, 0x80
	v_cmp_eq_u16_e32 vcc, s4, v21
	s_mov_b64 s[4:5], -1
                                        ; implicit-def: $sgpr10
	s_and_saveexec_b64 s[8:9], vcc
; %bb.3094:
	s_mov_b32 s10, 0x7f800001
	s_xor_b64 s[4:5], exec, -1
; %bb.3095:
	s_or_b64 exec, exec, s[8:9]
	s_and_b64 s[4:5], s[4:5], exec
                                        ; implicit-def: $vgpr21
	s_or_saveexec_b64 s[6:7], s[6:7]
	v_mov_b32_e32 v22, s10
	s_xor_b64 exec, exec, s[6:7]
	s_cbranch_execz .LBB42_1046
.LBB42_3096:
	v_cmp_ne_u16_e32 vcc, 0, v21
	s_andn2_b64 s[4:5], s[4:5], exec
	s_and_b64 s[8:9], vcc, exec
	v_mov_b32_e32 v22, 0
	s_or_b64 s[4:5], s[4:5], s[8:9]
	s_or_b64 exec, exec, s[6:7]
	s_and_saveexec_b64 s[6:7], s[4:5]
	s_cbranch_execnz .LBB42_1047
	s_branch .LBB42_1048
.LBB42_3097:
	s_movk_i32 s4, 0x80
	v_cmp_eq_u16_sdwa s[12:13], v14, s4 src0_sel:BYTE_3 src1_sel:DWORD
	s_mov_b64 s[4:5], -1
                                        ; implicit-def: $sgpr10
	s_and_saveexec_b64 s[8:9], s[12:13]
; %bb.3098:
	s_mov_b32 s10, 0x7f800001
	s_xor_b64 s[4:5], exec, -1
; %bb.3099:
	s_or_b64 exec, exec, s[8:9]
	s_and_b64 s[4:5], s[4:5], exec
	s_or_saveexec_b64 s[6:7], s[6:7]
	v_mov_b32_e32 v20, s10
	s_xor_b64 exec, exec, s[6:7]
	s_cbranch_execz .LBB42_1050
.LBB42_3100:
	v_mov_b32_e32 v20, 0
	v_cmp_ne_u16_sdwa s[8:9], v14, v20 src0_sel:BYTE_3 src1_sel:DWORD
	s_andn2_b64 s[4:5], s[4:5], exec
	s_and_b64 s[8:9], s[8:9], exec
	s_or_b64 s[4:5], s[4:5], s[8:9]
	s_or_b64 exec, exec, s[6:7]
	s_and_saveexec_b64 s[6:7], s[4:5]
	s_cbranch_execnz .LBB42_1051
	s_branch .LBB42_1052
.LBB42_3101:
	s_movk_i32 s4, 0x80
	v_cmp_eq_u16_sdwa s[12:13], v10, s4 src0_sel:BYTE_3 src1_sel:DWORD
	s_mov_b64 s[4:5], -1
                                        ; implicit-def: $sgpr10
	s_and_saveexec_b64 s[8:9], s[12:13]
; %bb.3102:
	s_mov_b32 s10, 0x7f800001
	s_xor_b64 s[4:5], exec, -1
; %bb.3103:
	s_or_b64 exec, exec, s[8:9]
	s_and_b64 s[4:5], s[4:5], exec
	s_or_saveexec_b64 s[6:7], s[6:7]
	v_mov_b32_e32 v14, s10
	s_xor_b64 exec, exec, s[6:7]
	s_cbranch_execz .LBB42_1054
.LBB42_3104:
	v_mov_b32_e32 v14, 0
	v_cmp_ne_u16_sdwa s[8:9], v10, v14 src0_sel:BYTE_3 src1_sel:DWORD
	s_andn2_b64 s[4:5], s[4:5], exec
	s_and_b64 s[8:9], s[8:9], exec
	s_or_b64 s[4:5], s[4:5], s[8:9]
	s_or_b64 exec, exec, s[6:7]
	s_and_saveexec_b64 s[6:7], s[4:5]
	s_cbranch_execnz .LBB42_1055
	s_branch .LBB42_1056
.LBB42_3105:
	s_movk_i32 s4, 0x80
	v_cmp_eq_u16_sdwa s[12:13], v15, s4 src0_sel:BYTE_0 src1_sel:DWORD
	s_mov_b64 s[4:5], -1
                                        ; implicit-def: $sgpr10
	s_and_saveexec_b64 s[8:9], s[12:13]
; %bb.3106:
	s_mov_b32 s10, 0x7f800001
	s_xor_b64 s[4:5], exec, -1
; %bb.3107:
	s_or_b64 exec, exec, s[8:9]
	s_and_b64 s[4:5], s[4:5], exec
	s_or_saveexec_b64 s[6:7], s[6:7]
	v_mov_b32_e32 v10, s10
	s_xor_b64 exec, exec, s[6:7]
	s_cbranch_execz .LBB42_1058
.LBB42_3108:
	v_mov_b32_e32 v10, 0
	v_cmp_ne_u16_sdwa s[8:9], v15, v10 src0_sel:BYTE_0 src1_sel:DWORD
	s_andn2_b64 s[4:5], s[4:5], exec
	s_and_b64 s[8:9], s[8:9], exec
	s_or_b64 s[4:5], s[4:5], s[8:9]
	s_or_b64 exec, exec, s[6:7]
	s_and_saveexec_b64 s[6:7], s[4:5]
	s_cbranch_execnz .LBB42_1059
	s_branch .LBB42_1060
.LBB42_3109:
	s_movk_i32 s4, 0x80
	v_cmp_eq_u16_sdwa s[12:13], v11, s4 src0_sel:BYTE_0 src1_sel:DWORD
	s_mov_b64 s[4:5], -1
                                        ; implicit-def: $sgpr10
	s_and_saveexec_b64 s[8:9], s[12:13]
; %bb.3110:
	s_mov_b32 s10, 0x7f800001
	s_xor_b64 s[4:5], exec, -1
; %bb.3111:
	s_or_b64 exec, exec, s[8:9]
	s_and_b64 s[4:5], s[4:5], exec
	s_or_saveexec_b64 s[6:7], s[6:7]
	v_mov_b32_e32 v14, s10
	s_xor_b64 exec, exec, s[6:7]
	s_cbranch_execz .LBB42_1062
.LBB42_3112:
	v_mov_b32_e32 v14, 0
	v_cmp_ne_u16_sdwa s[8:9], v11, v14 src0_sel:BYTE_0 src1_sel:DWORD
	s_andn2_b64 s[4:5], s[4:5], exec
	s_and_b64 s[8:9], s[8:9], exec
	s_or_b64 s[4:5], s[4:5], s[8:9]
	s_or_b64 exec, exec, s[6:7]
	s_and_saveexec_b64 s[6:7], s[4:5]
	s_cbranch_execnz .LBB42_1063
	s_branch .LBB42_1064
.LBB42_3113:
	s_movk_i32 s4, 0x80
	v_cmp_eq_u16_sdwa s[12:13], v14, s4 src0_sel:BYTE_0 src1_sel:DWORD
	s_mov_b64 s[4:5], -1
                                        ; implicit-def: $sgpr10
	s_and_saveexec_b64 s[8:9], s[12:13]
; %bb.3114:
	s_mov_b32 s10, 0x7f800001
	s_xor_b64 s[4:5], exec, -1
; %bb.3115:
	s_or_b64 exec, exec, s[8:9]
	s_and_b64 s[4:5], s[4:5], exec
	s_or_saveexec_b64 s[6:7], s[6:7]
	v_mov_b32_e32 v10, s10
	s_xor_b64 exec, exec, s[6:7]
	s_cbranch_execz .LBB42_1066
.LBB42_3116:
	v_mov_b32_e32 v10, 0
	v_cmp_ne_u16_sdwa s[8:9], v14, v10 src0_sel:BYTE_0 src1_sel:DWORD
	s_andn2_b64 s[4:5], s[4:5], exec
	s_and_b64 s[8:9], s[8:9], exec
	s_or_b64 s[4:5], s[4:5], s[8:9]
	s_or_b64 exec, exec, s[6:7]
	s_and_saveexec_b64 s[6:7], s[4:5]
	s_cbranch_execnz .LBB42_1067
	s_branch .LBB42_1068
.LBB42_3117:
	s_movk_i32 s4, 0x80
	v_cmp_eq_u16_sdwa s[12:13], v14, s4 src0_sel:BYTE_0 src1_sel:DWORD
	s_mov_b64 s[4:5], -1
                                        ; implicit-def: $sgpr10
	s_and_saveexec_b64 s[8:9], s[12:13]
; %bb.3118:
	s_mov_b32 s10, 0x7f800001
	s_xor_b64 s[4:5], exec, -1
; %bb.3119:
	s_or_b64 exec, exec, s[8:9]
	s_and_b64 s[4:5], s[4:5], exec
	s_or_saveexec_b64 s[6:7], s[6:7]
	v_mov_b32_e32 v20, s10
	s_xor_b64 exec, exec, s[6:7]
	s_cbranch_execz .LBB42_1070
.LBB42_3120:
	v_mov_b32_e32 v20, 0
	v_cmp_ne_u16_sdwa s[8:9], v14, v20 src0_sel:BYTE_0 src1_sel:DWORD
	s_andn2_b64 s[4:5], s[4:5], exec
	s_and_b64 s[8:9], s[8:9], exec
	s_or_b64 s[4:5], s[4:5], s[8:9]
	s_or_b64 exec, exec, s[6:7]
	s_and_saveexec_b64 s[6:7], s[4:5]
	s_cbranch_execnz .LBB42_1071
	s_branch .LBB42_1072
.LBB42_3121:
	s_movk_i32 s4, 0x80
	v_cmp_eq_u16_e32 vcc, s4, v14
	s_mov_b64 s[4:5], -1
                                        ; implicit-def: $sgpr10
	s_and_saveexec_b64 s[8:9], vcc
; %bb.3122:
	s_mov_b32 s10, 0x7f800001
	s_xor_b64 s[4:5], exec, -1
; %bb.3123:
	s_or_b64 exec, exec, s[8:9]
	s_and_b64 s[4:5], s[4:5], exec
                                        ; implicit-def: $vgpr14
	s_or_saveexec_b64 s[6:7], s[6:7]
	v_mov_b32_e32 v10, s10
	s_xor_b64 exec, exec, s[6:7]
	s_cbranch_execz .LBB42_1074
.LBB42_3124:
	v_cmp_ne_u16_e32 vcc, 0, v14
	s_andn2_b64 s[4:5], s[4:5], exec
	s_and_b64 s[8:9], vcc, exec
	v_mov_b32_e32 v10, 0
	s_or_b64 s[4:5], s[4:5], s[8:9]
	s_or_b64 exec, exec, s[6:7]
	s_and_saveexec_b64 s[6:7], s[4:5]
	s_cbranch_execnz .LBB42_1075
	s_branch .LBB42_1076
.LBB42_3125:
	s_movk_i32 s4, 0x80
	v_cmp_eq_u16_e32 vcc, s4, v14
	s_mov_b64 s[4:5], -1
                                        ; implicit-def: $sgpr10
	s_and_saveexec_b64 s[8:9], vcc
; %bb.3126:
	s_mov_b32 s10, 0x7f800001
	s_xor_b64 s[4:5], exec, -1
; %bb.3127:
	s_or_b64 exec, exec, s[8:9]
	s_and_b64 s[4:5], s[4:5], exec
                                        ; implicit-def: $vgpr14
	s_or_saveexec_b64 s[6:7], s[6:7]
	v_mov_b32_e32 v20, s10
	s_xor_b64 exec, exec, s[6:7]
	s_cbranch_execz .LBB42_1078
.LBB42_3128:
	v_cmp_ne_u16_e32 vcc, 0, v14
	s_andn2_b64 s[4:5], s[4:5], exec
	s_and_b64 s[8:9], vcc, exec
	v_mov_b32_e32 v20, 0
	s_or_b64 s[4:5], s[4:5], s[8:9]
	s_or_b64 exec, exec, s[6:7]
	s_and_saveexec_b64 s[6:7], s[4:5]
	s_cbranch_execnz .LBB42_1079
	s_branch .LBB42_1080
.LBB42_3129:
	s_movk_i32 s4, 0x80
	v_cmp_eq_u16_sdwa s[12:13], v15, s4 src0_sel:BYTE_3 src1_sel:DWORD
	s_mov_b64 s[4:5], -1
                                        ; implicit-def: $sgpr10
	s_and_saveexec_b64 s[8:9], s[12:13]
; %bb.3130:
	s_mov_b32 s10, 0x7f800001
	s_xor_b64 s[4:5], exec, -1
; %bb.3131:
	s_or_b64 exec, exec, s[8:9]
	s_and_b64 s[4:5], s[4:5], exec
	s_or_saveexec_b64 s[6:7], s[6:7]
	v_mov_b32_e32 v10, s10
	s_xor_b64 exec, exec, s[6:7]
	s_cbranch_execz .LBB42_1082
.LBB42_3132:
	v_mov_b32_e32 v10, 0
	v_cmp_ne_u16_sdwa s[8:9], v15, v10 src0_sel:BYTE_3 src1_sel:DWORD
	s_andn2_b64 s[4:5], s[4:5], exec
	s_and_b64 s[8:9], s[8:9], exec
	s_or_b64 s[4:5], s[4:5], s[8:9]
	s_or_b64 exec, exec, s[6:7]
	s_and_saveexec_b64 s[6:7], s[4:5]
	s_cbranch_execnz .LBB42_1083
	s_branch .LBB42_1084
.LBB42_3133:
	s_movk_i32 s4, 0x80
	v_cmp_eq_u16_sdwa s[12:13], v11, s4 src0_sel:BYTE_3 src1_sel:DWORD
	s_mov_b64 s[4:5], -1
                                        ; implicit-def: $sgpr10
	s_and_saveexec_b64 s[8:9], s[12:13]
; %bb.3134:
	s_mov_b32 s10, 0x7f800001
	s_xor_b64 s[4:5], exec, -1
; %bb.3135:
	s_or_b64 exec, exec, s[8:9]
	s_and_b64 s[4:5], s[4:5], exec
	s_or_saveexec_b64 s[6:7], s[6:7]
	v_mov_b32_e32 v14, s10
	s_xor_b64 exec, exec, s[6:7]
	s_cbranch_execz .LBB42_1086
.LBB42_3136:
	v_mov_b32_e32 v14, 0
	v_cmp_ne_u16_sdwa s[8:9], v11, v14 src0_sel:BYTE_3 src1_sel:DWORD
	s_andn2_b64 s[4:5], s[4:5], exec
	s_and_b64 s[8:9], s[8:9], exec
	s_or_b64 s[4:5], s[4:5], s[8:9]
	s_or_b64 exec, exec, s[6:7]
	s_and_saveexec_b64 s[6:7], s[4:5]
	s_cbranch_execnz .LBB42_1087
	s_branch .LBB42_1088
.LBB42_3137:
	s_movk_i32 s4, 0x80
	v_cmp_eq_u16_sdwa s[12:13], v16, s4 src0_sel:BYTE_0 src1_sel:DWORD
	s_mov_b64 s[4:5], -1
                                        ; implicit-def: $sgpr10
	s_and_saveexec_b64 s[8:9], s[12:13]
; %bb.3138:
	s_mov_b32 s10, 0x7f800001
	s_xor_b64 s[4:5], exec, -1
; %bb.3139:
	s_or_b64 exec, exec, s[8:9]
	s_and_b64 s[4:5], s[4:5], exec
	s_or_saveexec_b64 s[6:7], s[6:7]
	v_mov_b32_e32 v10, s10
	s_xor_b64 exec, exec, s[6:7]
	s_cbranch_execz .LBB42_1090
.LBB42_3140:
	v_mov_b32_e32 v10, 0
	v_cmp_ne_u16_sdwa s[8:9], v16, v10 src0_sel:BYTE_0 src1_sel:DWORD
	s_andn2_b64 s[4:5], s[4:5], exec
	s_and_b64 s[8:9], s[8:9], exec
	s_or_b64 s[4:5], s[4:5], s[8:9]
	s_or_b64 exec, exec, s[6:7]
	s_and_saveexec_b64 s[6:7], s[4:5]
	s_cbranch_execnz .LBB42_1091
	s_branch .LBB42_1092
.LBB42_3141:
	s_movk_i32 s4, 0x80
	v_cmp_eq_u16_sdwa s[12:13], v12, s4 src0_sel:BYTE_0 src1_sel:DWORD
	s_mov_b64 s[4:5], -1
                                        ; implicit-def: $sgpr10
	s_and_saveexec_b64 s[8:9], s[12:13]
; %bb.3142:
	s_mov_b32 s10, 0x7f800001
	s_xor_b64 s[4:5], exec, -1
; %bb.3143:
	s_or_b64 exec, exec, s[8:9]
	s_and_b64 s[4:5], s[4:5], exec
	s_or_saveexec_b64 s[6:7], s[6:7]
	v_mov_b32_e32 v11, s10
	s_xor_b64 exec, exec, s[6:7]
	s_cbranch_execz .LBB42_1094
.LBB42_3144:
	v_mov_b32_e32 v11, 0
	v_cmp_ne_u16_sdwa s[8:9], v12, v11 src0_sel:BYTE_0 src1_sel:DWORD
	s_andn2_b64 s[4:5], s[4:5], exec
	s_and_b64 s[8:9], s[8:9], exec
	s_or_b64 s[4:5], s[4:5], s[8:9]
	s_or_b64 exec, exec, s[6:7]
	s_and_saveexec_b64 s[6:7], s[4:5]
	s_cbranch_execnz .LBB42_1095
	s_branch .LBB42_1096
.LBB42_3145:
	s_movk_i32 s4, 0x80
	v_cmp_eq_u16_sdwa s[12:13], v11, s4 src0_sel:BYTE_0 src1_sel:DWORD
	s_mov_b64 s[4:5], -1
                                        ; implicit-def: $sgpr10
	s_and_saveexec_b64 s[8:9], s[12:13]
; %bb.3146:
	s_mov_b32 s10, 0x7f800001
	s_xor_b64 s[4:5], exec, -1
; %bb.3147:
	s_or_b64 exec, exec, s[8:9]
	s_and_b64 s[4:5], s[4:5], exec
	s_or_saveexec_b64 s[6:7], s[6:7]
	v_mov_b32_e32 v10, s10
	s_xor_b64 exec, exec, s[6:7]
	s_cbranch_execz .LBB42_1098
.LBB42_3148:
	v_mov_b32_e32 v10, 0
	v_cmp_ne_u16_sdwa s[8:9], v11, v10 src0_sel:BYTE_0 src1_sel:DWORD
	s_andn2_b64 s[4:5], s[4:5], exec
	s_and_b64 s[8:9], s[8:9], exec
	s_or_b64 s[4:5], s[4:5], s[8:9]
	s_or_b64 exec, exec, s[6:7]
	s_and_saveexec_b64 s[6:7], s[4:5]
	s_cbranch_execnz .LBB42_1099
	s_branch .LBB42_1100
.LBB42_3149:
	s_movk_i32 s4, 0x80
	v_cmp_eq_u16_sdwa s[12:13], v11, s4 src0_sel:BYTE_0 src1_sel:DWORD
	s_mov_b64 s[4:5], -1
                                        ; implicit-def: $sgpr10
	s_and_saveexec_b64 s[8:9], s[12:13]
; %bb.3150:
	s_mov_b32 s10, 0x7f800001
	s_xor_b64 s[4:5], exec, -1
; %bb.3151:
	s_or_b64 exec, exec, s[8:9]
	s_and_b64 s[4:5], s[4:5], exec
	s_or_saveexec_b64 s[6:7], s[6:7]
	v_mov_b32_e32 v14, s10
	s_xor_b64 exec, exec, s[6:7]
	s_cbranch_execz .LBB42_1102
.LBB42_3152:
	v_mov_b32_e32 v14, 0
	v_cmp_ne_u16_sdwa s[8:9], v11, v14 src0_sel:BYTE_0 src1_sel:DWORD
	s_andn2_b64 s[4:5], s[4:5], exec
	s_and_b64 s[8:9], s[8:9], exec
	s_or_b64 s[4:5], s[4:5], s[8:9]
	s_or_b64 exec, exec, s[6:7]
	s_and_saveexec_b64 s[6:7], s[4:5]
	s_cbranch_execnz .LBB42_1103
	s_branch .LBB42_1104
.LBB42_3153:
	s_movk_i32 s4, 0x80
	v_cmp_eq_u16_e32 vcc, s4, v11
	s_mov_b64 s[4:5], -1
                                        ; implicit-def: $sgpr10
	s_and_saveexec_b64 s[8:9], vcc
; %bb.3154:
	s_mov_b32 s10, 0x7f800001
	s_xor_b64 s[4:5], exec, -1
; %bb.3155:
	s_or_b64 exec, exec, s[8:9]
	s_and_b64 s[4:5], s[4:5], exec
                                        ; implicit-def: $vgpr11
	s_or_saveexec_b64 s[6:7], s[6:7]
	v_mov_b32_e32 v10, s10
	s_xor_b64 exec, exec, s[6:7]
	s_cbranch_execz .LBB42_1106
.LBB42_3156:
	v_cmp_ne_u16_e32 vcc, 0, v11
	s_andn2_b64 s[4:5], s[4:5], exec
	s_and_b64 s[8:9], vcc, exec
	v_mov_b32_e32 v10, 0
	s_or_b64 s[4:5], s[4:5], s[8:9]
	s_or_b64 exec, exec, s[6:7]
	s_and_saveexec_b64 s[6:7], s[4:5]
	s_cbranch_execnz .LBB42_1107
	s_branch .LBB42_1108
.LBB42_3157:
	s_movk_i32 s4, 0x80
	v_cmp_eq_u16_e32 vcc, s4, v11
	s_mov_b64 s[4:5], -1
                                        ; implicit-def: $sgpr10
	s_and_saveexec_b64 s[8:9], vcc
; %bb.3158:
	s_mov_b32 s10, 0x7f800001
	s_xor_b64 s[4:5], exec, -1
; %bb.3159:
	s_or_b64 exec, exec, s[8:9]
	s_and_b64 s[4:5], s[4:5], exec
                                        ; implicit-def: $vgpr11
	s_or_saveexec_b64 s[6:7], s[6:7]
	v_mov_b32_e32 v14, s10
	s_xor_b64 exec, exec, s[6:7]
	s_cbranch_execz .LBB42_1110
.LBB42_3160:
	v_cmp_ne_u16_e32 vcc, 0, v11
	s_andn2_b64 s[4:5], s[4:5], exec
	s_and_b64 s[8:9], vcc, exec
	v_mov_b32_e32 v14, 0
	s_or_b64 s[4:5], s[4:5], s[8:9]
	s_or_b64 exec, exec, s[6:7]
	s_and_saveexec_b64 s[6:7], s[4:5]
	s_cbranch_execnz .LBB42_1111
	s_branch .LBB42_1112
.LBB42_3161:
	s_movk_i32 s4, 0x80
	v_cmp_eq_u16_sdwa s[12:13], v16, s4 src0_sel:BYTE_3 src1_sel:DWORD
	s_mov_b64 s[4:5], -1
                                        ; implicit-def: $sgpr10
	s_and_saveexec_b64 s[8:9], s[12:13]
; %bb.3162:
	s_mov_b32 s10, 0x7f800001
	s_xor_b64 s[4:5], exec, -1
; %bb.3163:
	s_or_b64 exec, exec, s[8:9]
	s_and_b64 s[4:5], s[4:5], exec
	s_or_saveexec_b64 s[6:7], s[6:7]
	v_mov_b32_e32 v10, s10
	s_xor_b64 exec, exec, s[6:7]
	s_cbranch_execz .LBB42_1114
.LBB42_3164:
	v_mov_b32_e32 v10, 0
	v_cmp_ne_u16_sdwa s[8:9], v16, v10 src0_sel:BYTE_3 src1_sel:DWORD
	s_andn2_b64 s[4:5], s[4:5], exec
	s_and_b64 s[8:9], s[8:9], exec
	s_or_b64 s[4:5], s[4:5], s[8:9]
	s_or_b64 exec, exec, s[6:7]
	s_and_saveexec_b64 s[6:7], s[4:5]
	s_cbranch_execnz .LBB42_1115
	s_branch .LBB42_1116
.LBB42_3165:
	s_movk_i32 s4, 0x80
	v_cmp_eq_u16_sdwa s[12:13], v12, s4 src0_sel:BYTE_3 src1_sel:DWORD
	s_mov_b64 s[4:5], -1
                                        ; implicit-def: $sgpr10
	s_and_saveexec_b64 s[8:9], s[12:13]
; %bb.3166:
	s_mov_b32 s10, 0x7f800001
	s_xor_b64 s[4:5], exec, -1
; %bb.3167:
	s_or_b64 exec, exec, s[8:9]
	s_and_b64 s[4:5], s[4:5], exec
	s_or_saveexec_b64 s[6:7], s[6:7]
	v_mov_b32_e32 v11, s10
	s_xor_b64 exec, exec, s[6:7]
	s_cbranch_execz .LBB42_1118
.LBB42_3168:
	v_mov_b32_e32 v11, 0
	v_cmp_ne_u16_sdwa s[8:9], v12, v11 src0_sel:BYTE_3 src1_sel:DWORD
	s_andn2_b64 s[4:5], s[4:5], exec
	s_and_b64 s[8:9], s[8:9], exec
	s_or_b64 s[4:5], s[4:5], s[8:9]
	s_or_b64 exec, exec, s[6:7]
	s_and_saveexec_b64 s[6:7], s[4:5]
	s_cbranch_execnz .LBB42_1119
	s_branch .LBB42_1120
.LBB42_3169:
	s_movk_i32 s4, 0x80
	v_cmp_eq_u16_sdwa s[12:13], v17, s4 src0_sel:BYTE_0 src1_sel:DWORD
	s_mov_b64 s[4:5], -1
                                        ; implicit-def: $sgpr10
	s_and_saveexec_b64 s[8:9], s[12:13]
; %bb.3170:
	s_mov_b32 s10, 0x7f800001
	s_xor_b64 s[4:5], exec, -1
; %bb.3171:
	s_or_b64 exec, exec, s[8:9]
	s_and_b64 s[4:5], s[4:5], exec
	s_or_saveexec_b64 s[6:7], s[6:7]
	v_mov_b32_e32 v10, s10
	s_xor_b64 exec, exec, s[6:7]
	s_cbranch_execz .LBB42_1122
.LBB42_3172:
	v_mov_b32_e32 v10, 0
	v_cmp_ne_u16_sdwa s[8:9], v17, v10 src0_sel:BYTE_0 src1_sel:DWORD
	s_andn2_b64 s[4:5], s[4:5], exec
	s_and_b64 s[8:9], s[8:9], exec
	s_or_b64 s[4:5], s[4:5], s[8:9]
	s_or_b64 exec, exec, s[6:7]
	s_and_saveexec_b64 s[6:7], s[4:5]
	s_cbranch_execnz .LBB42_1123
	s_branch .LBB42_1124
.LBB42_3173:
	s_movk_i32 s4, 0x80
	v_cmp_eq_u16_sdwa s[12:13], v13, s4 src0_sel:BYTE_0 src1_sel:DWORD
	s_mov_b64 s[4:5], -1
                                        ; implicit-def: $sgpr10
	s_and_saveexec_b64 s[8:9], s[12:13]
; %bb.3174:
	s_mov_b32 s10, 0x7f800001
	s_xor_b64 s[4:5], exec, -1
; %bb.3175:
	s_or_b64 exec, exec, s[8:9]
	s_and_b64 s[4:5], s[4:5], exec
	s_or_saveexec_b64 s[6:7], s[6:7]
	v_mov_b32_e32 v11, s10
	s_xor_b64 exec, exec, s[6:7]
	s_cbranch_execz .LBB42_1126
.LBB42_3176:
	v_mov_b32_e32 v11, 0
	v_cmp_ne_u16_sdwa s[8:9], v13, v11 src0_sel:BYTE_0 src1_sel:DWORD
	s_andn2_b64 s[4:5], s[4:5], exec
	s_and_b64 s[8:9], s[8:9], exec
	s_or_b64 s[4:5], s[4:5], s[8:9]
	s_or_b64 exec, exec, s[6:7]
	s_and_saveexec_b64 s[6:7], s[4:5]
	s_cbranch_execnz .LBB42_1127
	s_branch .LBB42_1128
.LBB42_3177:
	s_movk_i32 s4, 0x80
	v_cmp_eq_u16_sdwa s[12:13], v11, s4 src0_sel:BYTE_0 src1_sel:DWORD
	s_mov_b64 s[4:5], -1
                                        ; implicit-def: $sgpr10
	s_and_saveexec_b64 s[8:9], s[12:13]
; %bb.3178:
	s_mov_b32 s10, 0x7f800001
	s_xor_b64 s[4:5], exec, -1
; %bb.3179:
	s_or_b64 exec, exec, s[8:9]
	s_and_b64 s[4:5], s[4:5], exec
	s_or_saveexec_b64 s[6:7], s[6:7]
	v_mov_b32_e32 v10, s10
	s_xor_b64 exec, exec, s[6:7]
	s_cbranch_execz .LBB42_1130
.LBB42_3180:
	v_mov_b32_e32 v10, 0
	v_cmp_ne_u16_sdwa s[8:9], v11, v10 src0_sel:BYTE_0 src1_sel:DWORD
	s_andn2_b64 s[4:5], s[4:5], exec
	s_and_b64 s[8:9], s[8:9], exec
	s_or_b64 s[4:5], s[4:5], s[8:9]
	s_or_b64 exec, exec, s[6:7]
	s_and_saveexec_b64 s[6:7], s[4:5]
	s_cbranch_execnz .LBB42_1131
	s_branch .LBB42_1132
.LBB42_3181:
	s_movk_i32 s4, 0x80
	v_cmp_eq_u16_sdwa s[12:13], v11, s4 src0_sel:BYTE_0 src1_sel:DWORD
	s_mov_b64 s[4:5], -1
                                        ; implicit-def: $sgpr10
	s_and_saveexec_b64 s[8:9], s[12:13]
; %bb.3182:
	s_mov_b32 s10, 0x7f800001
	s_xor_b64 s[4:5], exec, -1
; %bb.3183:
	s_or_b64 exec, exec, s[8:9]
	s_and_b64 s[4:5], s[4:5], exec
	s_or_saveexec_b64 s[6:7], s[6:7]
	v_mov_b32_e32 v12, s10
	s_xor_b64 exec, exec, s[6:7]
	s_cbranch_execz .LBB42_1134
.LBB42_3184:
	v_mov_b32_e32 v12, 0
	v_cmp_ne_u16_sdwa s[8:9], v11, v12 src0_sel:BYTE_0 src1_sel:DWORD
	s_andn2_b64 s[4:5], s[4:5], exec
	s_and_b64 s[8:9], s[8:9], exec
	s_or_b64 s[4:5], s[4:5], s[8:9]
	s_or_b64 exec, exec, s[6:7]
	s_and_saveexec_b64 s[6:7], s[4:5]
	s_cbranch_execnz .LBB42_1135
	s_branch .LBB42_1136
.LBB42_3185:
	s_movk_i32 s4, 0x80
	v_cmp_eq_u16_e32 vcc, s4, v11
	s_mov_b64 s[4:5], -1
                                        ; implicit-def: $sgpr10
	s_and_saveexec_b64 s[8:9], vcc
; %bb.3186:
	s_mov_b32 s10, 0x7f800001
	s_xor_b64 s[4:5], exec, -1
; %bb.3187:
	s_or_b64 exec, exec, s[8:9]
	s_and_b64 s[4:5], s[4:5], exec
                                        ; implicit-def: $vgpr11
	s_or_saveexec_b64 s[6:7], s[6:7]
	v_mov_b32_e32 v10, s10
	s_xor_b64 exec, exec, s[6:7]
	s_cbranch_execz .LBB42_1138
.LBB42_3188:
	v_cmp_ne_u16_e32 vcc, 0, v11
	s_andn2_b64 s[4:5], s[4:5], exec
	s_and_b64 s[8:9], vcc, exec
	v_mov_b32_e32 v10, 0
	s_or_b64 s[4:5], s[4:5], s[8:9]
	s_or_b64 exec, exec, s[6:7]
	s_and_saveexec_b64 s[6:7], s[4:5]
	s_cbranch_execnz .LBB42_1139
	s_branch .LBB42_1140
.LBB42_3189:
	s_movk_i32 s4, 0x80
	v_cmp_eq_u16_e32 vcc, s4, v11
	s_mov_b64 s[4:5], -1
                                        ; implicit-def: $sgpr10
	s_and_saveexec_b64 s[8:9], vcc
; %bb.3190:
	s_mov_b32 s10, 0x7f800001
	s_xor_b64 s[4:5], exec, -1
; %bb.3191:
	s_or_b64 exec, exec, s[8:9]
	s_and_b64 s[4:5], s[4:5], exec
                                        ; implicit-def: $vgpr11
	s_or_saveexec_b64 s[6:7], s[6:7]
	v_mov_b32_e32 v12, s10
	s_xor_b64 exec, exec, s[6:7]
	s_cbranch_execz .LBB42_1142
.LBB42_3192:
	v_cmp_ne_u16_e32 vcc, 0, v11
	s_andn2_b64 s[4:5], s[4:5], exec
	s_and_b64 s[8:9], vcc, exec
	v_mov_b32_e32 v12, 0
	s_or_b64 s[4:5], s[4:5], s[8:9]
	s_or_b64 exec, exec, s[6:7]
	s_and_saveexec_b64 s[6:7], s[4:5]
	s_cbranch_execnz .LBB42_1143
	s_branch .LBB42_1144
.LBB42_3193:
	s_movk_i32 s4, 0x80
	v_cmp_eq_u16_sdwa s[12:13], v17, s4 src0_sel:BYTE_3 src1_sel:DWORD
	s_mov_b64 s[4:5], -1
                                        ; implicit-def: $sgpr10
	s_and_saveexec_b64 s[8:9], s[12:13]
; %bb.3194:
	s_mov_b32 s10, 0x7f800001
	s_xor_b64 s[4:5], exec, -1
; %bb.3195:
	s_or_b64 exec, exec, s[8:9]
	s_and_b64 s[4:5], s[4:5], exec
	s_or_saveexec_b64 s[6:7], s[6:7]
	v_mov_b32_e32 v10, s10
	s_xor_b64 exec, exec, s[6:7]
	s_cbranch_execz .LBB42_1146
.LBB42_3196:
	v_mov_b32_e32 v10, 0
	v_cmp_ne_u16_sdwa s[8:9], v17, v10 src0_sel:BYTE_3 src1_sel:DWORD
	s_andn2_b64 s[4:5], s[4:5], exec
	s_and_b64 s[8:9], s[8:9], exec
	s_or_b64 s[4:5], s[4:5], s[8:9]
	s_or_b64 exec, exec, s[6:7]
	s_and_saveexec_b64 s[6:7], s[4:5]
	s_cbranch_execnz .LBB42_1147
	s_branch .LBB42_1148
.LBB42_3197:
	s_movk_i32 s4, 0x80
	v_cmp_eq_u16_sdwa s[12:13], v13, s4 src0_sel:BYTE_3 src1_sel:DWORD
	s_mov_b64 s[4:5], -1
                                        ; implicit-def: $sgpr10
	s_and_saveexec_b64 s[8:9], s[12:13]
; %bb.3198:
	s_mov_b32 s10, 0x7f800001
	s_xor_b64 s[4:5], exec, -1
; %bb.3199:
	s_or_b64 exec, exec, s[8:9]
	s_and_b64 s[4:5], s[4:5], exec
	s_or_saveexec_b64 s[6:7], s[6:7]
	v_mov_b32_e32 v11, s10
	s_xor_b64 exec, exec, s[6:7]
	s_cbranch_execz .LBB42_1150
.LBB42_3200:
	v_mov_b32_e32 v11, 0
	v_cmp_ne_u16_sdwa s[8:9], v13, v11 src0_sel:BYTE_3 src1_sel:DWORD
	s_andn2_b64 s[4:5], s[4:5], exec
	s_and_b64 s[8:9], s[8:9], exec
	s_or_b64 s[4:5], s[4:5], s[8:9]
	s_or_b64 exec, exec, s[6:7]
	s_and_saveexec_b64 s[6:7], s[4:5]
	s_cbranch_execnz .LBB42_1151
	s_branch .LBB42_1152
.LBB42_3201:
	s_movk_i32 s4, 0x80
	v_cmp_eq_u16_sdwa s[12:13], v6, s4 src0_sel:BYTE_0 src1_sel:DWORD
	s_mov_b64 s[4:5], -1
                                        ; implicit-def: $sgpr10
	s_and_saveexec_b64 s[8:9], s[12:13]
; %bb.3202:
	s_mov_b32 s10, 0x7f800001
	s_xor_b64 s[4:5], exec, -1
; %bb.3203:
	s_or_b64 exec, exec, s[8:9]
	s_and_b64 s[4:5], s[4:5], exec
	s_or_saveexec_b64 s[6:7], s[6:7]
	v_mov_b32_e32 v10, s10
	s_xor_b64 exec, exec, s[6:7]
	s_cbranch_execz .LBB42_1154
.LBB42_3204:
	v_mov_b32_e32 v10, 0
	v_cmp_ne_u16_sdwa s[8:9], v6, v10 src0_sel:BYTE_0 src1_sel:DWORD
	s_andn2_b64 s[4:5], s[4:5], exec
	s_and_b64 s[8:9], s[8:9], exec
	s_or_b64 s[4:5], s[4:5], s[8:9]
	s_or_b64 exec, exec, s[6:7]
	s_and_saveexec_b64 s[6:7], s[4:5]
	s_cbranch_execnz .LBB42_1155
	s_branch .LBB42_1156
.LBB42_3205:
	s_movk_i32 s4, 0x80
	v_cmp_eq_u16_sdwa s[12:13], v2, s4 src0_sel:BYTE_0 src1_sel:DWORD
	s_mov_b64 s[4:5], -1
                                        ; implicit-def: $sgpr10
	s_and_saveexec_b64 s[8:9], s[12:13]
; %bb.3206:
	s_mov_b32 s10, 0x7f800001
	s_xor_b64 s[4:5], exec, -1
; %bb.3207:
	s_or_b64 exec, exec, s[8:9]
	s_and_b64 s[4:5], s[4:5], exec
	s_or_saveexec_b64 s[6:7], s[6:7]
	v_mov_b32_e32 v11, s10
	s_xor_b64 exec, exec, s[6:7]
	s_cbranch_execz .LBB42_1158
.LBB42_3208:
	v_mov_b32_e32 v11, 0
	v_cmp_ne_u16_sdwa s[8:9], v2, v11 src0_sel:BYTE_0 src1_sel:DWORD
	s_andn2_b64 s[4:5], s[4:5], exec
	s_and_b64 s[8:9], s[8:9], exec
	s_or_b64 s[4:5], s[4:5], s[8:9]
	s_or_b64 exec, exec, s[6:7]
	s_and_saveexec_b64 s[6:7], s[4:5]
	s_cbranch_execnz .LBB42_1159
	s_branch .LBB42_1160
.LBB42_3209:
	s_movk_i32 s4, 0x80
	v_cmp_eq_u16_sdwa s[12:13], v11, s4 src0_sel:BYTE_0 src1_sel:DWORD
	s_mov_b64 s[4:5], -1
                                        ; implicit-def: $sgpr10
	s_and_saveexec_b64 s[8:9], s[12:13]
; %bb.3210:
	s_mov_b32 s10, 0x7f800001
	s_xor_b64 s[4:5], exec, -1
; %bb.3211:
	s_or_b64 exec, exec, s[8:9]
	s_and_b64 s[4:5], s[4:5], exec
	s_or_saveexec_b64 s[6:7], s[6:7]
	v_mov_b32_e32 v10, s10
	s_xor_b64 exec, exec, s[6:7]
	s_cbranch_execz .LBB42_1162
.LBB42_3212:
	v_mov_b32_e32 v10, 0
	v_cmp_ne_u16_sdwa s[8:9], v11, v10 src0_sel:BYTE_0 src1_sel:DWORD
	s_andn2_b64 s[4:5], s[4:5], exec
	s_and_b64 s[8:9], s[8:9], exec
	s_or_b64 s[4:5], s[4:5], s[8:9]
	s_or_b64 exec, exec, s[6:7]
	s_and_saveexec_b64 s[6:7], s[4:5]
	s_cbranch_execnz .LBB42_1163
	s_branch .LBB42_1164
.LBB42_3213:
	s_movk_i32 s4, 0x80
	v_cmp_eq_u16_sdwa s[12:13], v11, s4 src0_sel:BYTE_0 src1_sel:DWORD
	s_mov_b64 s[4:5], -1
                                        ; implicit-def: $sgpr10
	s_and_saveexec_b64 s[8:9], s[12:13]
; %bb.3214:
	s_mov_b32 s10, 0x7f800001
	s_xor_b64 s[4:5], exec, -1
; %bb.3215:
	s_or_b64 exec, exec, s[8:9]
	s_and_b64 s[4:5], s[4:5], exec
	s_or_saveexec_b64 s[6:7], s[6:7]
	v_mov_b32_e32 v12, s10
	s_xor_b64 exec, exec, s[6:7]
	s_cbranch_execz .LBB42_1166
.LBB42_3216:
	v_mov_b32_e32 v12, 0
	v_cmp_ne_u16_sdwa s[8:9], v11, v12 src0_sel:BYTE_0 src1_sel:DWORD
	s_andn2_b64 s[4:5], s[4:5], exec
	s_and_b64 s[8:9], s[8:9], exec
	s_or_b64 s[4:5], s[4:5], s[8:9]
	s_or_b64 exec, exec, s[6:7]
	s_and_saveexec_b64 s[6:7], s[4:5]
	s_cbranch_execnz .LBB42_1167
	s_branch .LBB42_1168
.LBB42_3217:
	s_movk_i32 s4, 0x80
	v_cmp_eq_u16_e32 vcc, s4, v11
	s_mov_b64 s[4:5], -1
                                        ; implicit-def: $sgpr10
	s_and_saveexec_b64 s[8:9], vcc
; %bb.3218:
	s_mov_b32 s10, 0x7f800001
	s_xor_b64 s[4:5], exec, -1
; %bb.3219:
	s_or_b64 exec, exec, s[8:9]
	s_and_b64 s[4:5], s[4:5], exec
                                        ; implicit-def: $vgpr11
	s_or_saveexec_b64 s[6:7], s[6:7]
	v_mov_b32_e32 v10, s10
	s_xor_b64 exec, exec, s[6:7]
	s_cbranch_execz .LBB42_1170
.LBB42_3220:
	v_cmp_ne_u16_e32 vcc, 0, v11
	s_andn2_b64 s[4:5], s[4:5], exec
	s_and_b64 s[8:9], vcc, exec
	v_mov_b32_e32 v10, 0
	s_or_b64 s[4:5], s[4:5], s[8:9]
	s_or_b64 exec, exec, s[6:7]
	s_and_saveexec_b64 s[6:7], s[4:5]
	s_cbranch_execnz .LBB42_1171
	s_branch .LBB42_1172
.LBB42_3221:
	s_movk_i32 s4, 0x80
	v_cmp_eq_u16_e32 vcc, s4, v11
	s_mov_b64 s[4:5], -1
                                        ; implicit-def: $sgpr10
	s_and_saveexec_b64 s[8:9], vcc
; %bb.3222:
	s_mov_b32 s10, 0x7f800001
	s_xor_b64 s[4:5], exec, -1
; %bb.3223:
	s_or_b64 exec, exec, s[8:9]
	s_and_b64 s[4:5], s[4:5], exec
                                        ; implicit-def: $vgpr11
	s_or_saveexec_b64 s[6:7], s[6:7]
	v_mov_b32_e32 v12, s10
	s_xor_b64 exec, exec, s[6:7]
	s_cbranch_execz .LBB42_1174
.LBB42_3224:
	v_cmp_ne_u16_e32 vcc, 0, v11
	s_andn2_b64 s[4:5], s[4:5], exec
	s_and_b64 s[8:9], vcc, exec
	v_mov_b32_e32 v12, 0
	s_or_b64 s[4:5], s[4:5], s[8:9]
	s_or_b64 exec, exec, s[6:7]
	s_and_saveexec_b64 s[6:7], s[4:5]
	s_cbranch_execnz .LBB42_1175
	s_branch .LBB42_1176
.LBB42_3225:
	s_movk_i32 s4, 0x80
	v_cmp_eq_u16_sdwa s[12:13], v6, s4 src0_sel:BYTE_3 src1_sel:DWORD
	s_mov_b64 s[4:5], -1
                                        ; implicit-def: $sgpr10
	s_and_saveexec_b64 s[8:9], s[12:13]
; %bb.3226:
	s_mov_b32 s10, 0x7f800001
	s_xor_b64 s[4:5], exec, -1
; %bb.3227:
	s_or_b64 exec, exec, s[8:9]
	s_and_b64 s[4:5], s[4:5], exec
	s_or_saveexec_b64 s[6:7], s[6:7]
	v_mov_b32_e32 v10, s10
	s_xor_b64 exec, exec, s[6:7]
	s_cbranch_execz .LBB42_1178
.LBB42_3228:
	v_mov_b32_e32 v10, 0
	v_cmp_ne_u16_sdwa s[8:9], v6, v10 src0_sel:BYTE_3 src1_sel:DWORD
	s_andn2_b64 s[4:5], s[4:5], exec
	s_and_b64 s[8:9], s[8:9], exec
	s_or_b64 s[4:5], s[4:5], s[8:9]
	s_or_b64 exec, exec, s[6:7]
	s_and_saveexec_b64 s[6:7], s[4:5]
	s_cbranch_execnz .LBB42_1179
	s_branch .LBB42_1180
.LBB42_3229:
	s_movk_i32 s4, 0x80
	v_cmp_eq_u16_sdwa s[12:13], v2, s4 src0_sel:BYTE_3 src1_sel:DWORD
	s_mov_b64 s[4:5], -1
                                        ; implicit-def: $sgpr10
	s_and_saveexec_b64 s[8:9], s[12:13]
; %bb.3230:
	s_mov_b32 s10, 0x7f800001
	s_xor_b64 s[4:5], exec, -1
; %bb.3231:
	s_or_b64 exec, exec, s[8:9]
	s_and_b64 s[4:5], s[4:5], exec
	s_or_saveexec_b64 s[6:7], s[6:7]
	v_mov_b32_e32 v6, s10
	s_xor_b64 exec, exec, s[6:7]
	s_cbranch_execz .LBB42_1182
.LBB42_3232:
	v_mov_b32_e32 v6, 0
	v_cmp_ne_u16_sdwa s[8:9], v2, v6 src0_sel:BYTE_3 src1_sel:DWORD
	s_andn2_b64 s[4:5], s[4:5], exec
	s_and_b64 s[8:9], s[8:9], exec
	s_or_b64 s[4:5], s[4:5], s[8:9]
	s_or_b64 exec, exec, s[6:7]
	s_and_saveexec_b64 s[6:7], s[4:5]
	s_cbranch_execnz .LBB42_1183
	s_branch .LBB42_1184
.LBB42_3233:
	s_movk_i32 s4, 0x80
	v_cmp_eq_u16_sdwa s[12:13], v7, s4 src0_sel:BYTE_0 src1_sel:DWORD
	s_mov_b64 s[4:5], -1
                                        ; implicit-def: $sgpr10
	s_and_saveexec_b64 s[8:9], s[12:13]
; %bb.3234:
	s_mov_b32 s10, 0x7f800001
	s_xor_b64 s[4:5], exec, -1
; %bb.3235:
	s_or_b64 exec, exec, s[8:9]
	s_and_b64 s[4:5], s[4:5], exec
	s_or_saveexec_b64 s[6:7], s[6:7]
	v_mov_b32_e32 v2, s10
	s_xor_b64 exec, exec, s[6:7]
	s_cbranch_execz .LBB42_1186
.LBB42_3236:
	v_mov_b32_e32 v2, 0
	v_cmp_ne_u16_sdwa s[8:9], v7, v2 src0_sel:BYTE_0 src1_sel:DWORD
	s_andn2_b64 s[4:5], s[4:5], exec
	s_and_b64 s[8:9], s[8:9], exec
	s_or_b64 s[4:5], s[4:5], s[8:9]
	s_or_b64 exec, exec, s[6:7]
	s_and_saveexec_b64 s[6:7], s[4:5]
	s_cbranch_execnz .LBB42_1187
	s_branch .LBB42_1188
.LBB42_3237:
	s_movk_i32 s4, 0x80
	v_cmp_eq_u16_sdwa s[12:13], v3, s4 src0_sel:BYTE_0 src1_sel:DWORD
	s_mov_b64 s[4:5], -1
                                        ; implicit-def: $sgpr10
	s_and_saveexec_b64 s[8:9], s[12:13]
; %bb.3238:
	s_mov_b32 s10, 0x7f800001
	s_xor_b64 s[4:5], exec, -1
; %bb.3239:
	s_or_b64 exec, exec, s[8:9]
	s_and_b64 s[4:5], s[4:5], exec
	s_or_saveexec_b64 s[6:7], s[6:7]
	v_mov_b32_e32 v6, s10
	s_xor_b64 exec, exec, s[6:7]
	s_cbranch_execz .LBB42_1190
.LBB42_3240:
	v_mov_b32_e32 v6, 0
	v_cmp_ne_u16_sdwa s[8:9], v3, v6 src0_sel:BYTE_0 src1_sel:DWORD
	s_andn2_b64 s[4:5], s[4:5], exec
	s_and_b64 s[8:9], s[8:9], exec
	s_or_b64 s[4:5], s[4:5], s[8:9]
	s_or_b64 exec, exec, s[6:7]
	s_and_saveexec_b64 s[6:7], s[4:5]
	s_cbranch_execnz .LBB42_1191
	s_branch .LBB42_1192
.LBB42_3241:
	s_movk_i32 s4, 0x80
	v_cmp_eq_u16_sdwa s[12:13], v6, s4 src0_sel:BYTE_0 src1_sel:DWORD
	s_mov_b64 s[4:5], -1
                                        ; implicit-def: $sgpr10
	s_and_saveexec_b64 s[8:9], s[12:13]
; %bb.3242:
	s_mov_b32 s10, 0x7f800001
	s_xor_b64 s[4:5], exec, -1
; %bb.3243:
	s_or_b64 exec, exec, s[8:9]
	s_and_b64 s[4:5], s[4:5], exec
	s_or_saveexec_b64 s[6:7], s[6:7]
	v_mov_b32_e32 v2, s10
	s_xor_b64 exec, exec, s[6:7]
	s_cbranch_execz .LBB42_1194
.LBB42_3244:
	v_mov_b32_e32 v2, 0
	v_cmp_ne_u16_sdwa s[8:9], v6, v2 src0_sel:BYTE_0 src1_sel:DWORD
	s_andn2_b64 s[4:5], s[4:5], exec
	s_and_b64 s[8:9], s[8:9], exec
	s_or_b64 s[4:5], s[4:5], s[8:9]
	s_or_b64 exec, exec, s[6:7]
	s_and_saveexec_b64 s[6:7], s[4:5]
	s_cbranch_execnz .LBB42_1195
	s_branch .LBB42_1196
.LBB42_3245:
	s_movk_i32 s4, 0x80
	v_cmp_eq_u16_sdwa s[12:13], v6, s4 src0_sel:BYTE_0 src1_sel:DWORD
	s_mov_b64 s[4:5], -1
                                        ; implicit-def: $sgpr10
	s_and_saveexec_b64 s[8:9], s[12:13]
; %bb.3246:
	s_mov_b32 s10, 0x7f800001
	s_xor_b64 s[4:5], exec, -1
; %bb.3247:
	s_or_b64 exec, exec, s[8:9]
	s_and_b64 s[4:5], s[4:5], exec
	s_or_saveexec_b64 s[6:7], s[6:7]
	v_mov_b32_e32 v10, s10
	s_xor_b64 exec, exec, s[6:7]
	s_cbranch_execz .LBB42_1198
.LBB42_3248:
	v_mov_b32_e32 v10, 0
	v_cmp_ne_u16_sdwa s[8:9], v6, v10 src0_sel:BYTE_0 src1_sel:DWORD
	s_andn2_b64 s[4:5], s[4:5], exec
	s_and_b64 s[8:9], s[8:9], exec
	s_or_b64 s[4:5], s[4:5], s[8:9]
	s_or_b64 exec, exec, s[6:7]
	s_and_saveexec_b64 s[6:7], s[4:5]
	s_cbranch_execnz .LBB42_1199
	s_branch .LBB42_1200
.LBB42_3249:
	s_movk_i32 s4, 0x80
	v_cmp_eq_u16_e32 vcc, s4, v6
	s_mov_b64 s[4:5], -1
                                        ; implicit-def: $sgpr10
	s_and_saveexec_b64 s[8:9], vcc
; %bb.3250:
	s_mov_b32 s10, 0x7f800001
	s_xor_b64 s[4:5], exec, -1
; %bb.3251:
	s_or_b64 exec, exec, s[8:9]
	s_and_b64 s[4:5], s[4:5], exec
                                        ; implicit-def: $vgpr6
	s_or_saveexec_b64 s[6:7], s[6:7]
	v_mov_b32_e32 v2, s10
	s_xor_b64 exec, exec, s[6:7]
	s_cbranch_execz .LBB42_1202
.LBB42_3252:
	v_cmp_ne_u16_e32 vcc, 0, v6
	s_andn2_b64 s[4:5], s[4:5], exec
	s_and_b64 s[8:9], vcc, exec
	v_mov_b32_e32 v2, 0
	s_or_b64 s[4:5], s[4:5], s[8:9]
	s_or_b64 exec, exec, s[6:7]
	s_and_saveexec_b64 s[6:7], s[4:5]
	s_cbranch_execnz .LBB42_1203
	s_branch .LBB42_1204
.LBB42_3253:
	s_movk_i32 s4, 0x80
	v_cmp_eq_u16_e32 vcc, s4, v6
	s_mov_b64 s[4:5], -1
                                        ; implicit-def: $sgpr10
	s_and_saveexec_b64 s[8:9], vcc
; %bb.3254:
	s_mov_b32 s10, 0x7f800001
	s_xor_b64 s[4:5], exec, -1
; %bb.3255:
	s_or_b64 exec, exec, s[8:9]
	s_and_b64 s[4:5], s[4:5], exec
                                        ; implicit-def: $vgpr6
	s_or_saveexec_b64 s[6:7], s[6:7]
	v_mov_b32_e32 v10, s10
	s_xor_b64 exec, exec, s[6:7]
	s_cbranch_execz .LBB42_1206
.LBB42_3256:
	v_cmp_ne_u16_e32 vcc, 0, v6
	s_andn2_b64 s[4:5], s[4:5], exec
	s_and_b64 s[8:9], vcc, exec
	v_mov_b32_e32 v10, 0
	s_or_b64 s[4:5], s[4:5], s[8:9]
	s_or_b64 exec, exec, s[6:7]
	s_and_saveexec_b64 s[6:7], s[4:5]
	s_cbranch_execnz .LBB42_1207
	s_branch .LBB42_1208
.LBB42_3257:
	s_movk_i32 s4, 0x80
	v_cmp_eq_u16_sdwa s[12:13], v7, s4 src0_sel:BYTE_3 src1_sel:DWORD
	s_mov_b64 s[4:5], -1
                                        ; implicit-def: $sgpr10
	s_and_saveexec_b64 s[8:9], s[12:13]
; %bb.3258:
	s_mov_b32 s10, 0x7f800001
	s_xor_b64 s[4:5], exec, -1
; %bb.3259:
	s_or_b64 exec, exec, s[8:9]
	s_and_b64 s[4:5], s[4:5], exec
	s_or_saveexec_b64 s[6:7], s[6:7]
	v_mov_b32_e32 v2, s10
	s_xor_b64 exec, exec, s[6:7]
	s_cbranch_execz .LBB42_1210
.LBB42_3260:
	v_mov_b32_e32 v2, 0
	v_cmp_ne_u16_sdwa s[8:9], v7, v2 src0_sel:BYTE_3 src1_sel:DWORD
	s_andn2_b64 s[4:5], s[4:5], exec
	s_and_b64 s[8:9], s[8:9], exec
	s_or_b64 s[4:5], s[4:5], s[8:9]
	s_or_b64 exec, exec, s[6:7]
	s_and_saveexec_b64 s[6:7], s[4:5]
	s_cbranch_execnz .LBB42_1211
	s_branch .LBB42_1212
.LBB42_3261:
	s_movk_i32 s4, 0x80
	v_cmp_eq_u16_sdwa s[12:13], v3, s4 src0_sel:BYTE_3 src1_sel:DWORD
	s_mov_b64 s[4:5], -1
                                        ; implicit-def: $sgpr10
	s_and_saveexec_b64 s[8:9], s[12:13]
; %bb.3262:
	s_mov_b32 s10, 0x7f800001
	s_xor_b64 s[4:5], exec, -1
; %bb.3263:
	s_or_b64 exec, exec, s[8:9]
	s_and_b64 s[4:5], s[4:5], exec
	s_or_saveexec_b64 s[6:7], s[6:7]
	v_mov_b32_e32 v6, s10
	s_xor_b64 exec, exec, s[6:7]
	s_cbranch_execz .LBB42_1214
.LBB42_3264:
	v_mov_b32_e32 v6, 0
	v_cmp_ne_u16_sdwa s[8:9], v3, v6 src0_sel:BYTE_3 src1_sel:DWORD
	s_andn2_b64 s[4:5], s[4:5], exec
	s_and_b64 s[8:9], s[8:9], exec
	s_or_b64 s[4:5], s[4:5], s[8:9]
	s_or_b64 exec, exec, s[6:7]
	s_and_saveexec_b64 s[6:7], s[4:5]
	s_cbranch_execnz .LBB42_1215
	s_branch .LBB42_1216
.LBB42_3265:
	s_movk_i32 s4, 0x80
	v_cmp_eq_u16_sdwa s[12:13], v8, s4 src0_sel:BYTE_0 src1_sel:DWORD
	s_mov_b64 s[4:5], -1
                                        ; implicit-def: $sgpr10
	s_and_saveexec_b64 s[8:9], s[12:13]
; %bb.3266:
	s_mov_b32 s10, 0x7f800001
	s_xor_b64 s[4:5], exec, -1
; %bb.3267:
	s_or_b64 exec, exec, s[8:9]
	s_and_b64 s[4:5], s[4:5], exec
	s_or_saveexec_b64 s[6:7], s[6:7]
	v_mov_b32_e32 v2, s10
	s_xor_b64 exec, exec, s[6:7]
	s_cbranch_execz .LBB42_1218
.LBB42_3268:
	v_mov_b32_e32 v2, 0
	v_cmp_ne_u16_sdwa s[8:9], v8, v2 src0_sel:BYTE_0 src1_sel:DWORD
	s_andn2_b64 s[4:5], s[4:5], exec
	s_and_b64 s[8:9], s[8:9], exec
	s_or_b64 s[4:5], s[4:5], s[8:9]
	s_or_b64 exec, exec, s[6:7]
	s_and_saveexec_b64 s[6:7], s[4:5]
	s_cbranch_execnz .LBB42_1219
	s_branch .LBB42_1220
.LBB42_3269:
	s_movk_i32 s4, 0x80
	v_cmp_eq_u16_sdwa s[12:13], v4, s4 src0_sel:BYTE_0 src1_sel:DWORD
	s_mov_b64 s[4:5], -1
                                        ; implicit-def: $sgpr10
	s_and_saveexec_b64 s[8:9], s[12:13]
; %bb.3270:
	s_mov_b32 s10, 0x7f800001
	s_xor_b64 s[4:5], exec, -1
; %bb.3271:
	s_or_b64 exec, exec, s[8:9]
	s_and_b64 s[4:5], s[4:5], exec
	s_or_saveexec_b64 s[6:7], s[6:7]
	v_mov_b32_e32 v3, s10
	s_xor_b64 exec, exec, s[6:7]
	s_cbranch_execz .LBB42_1222
.LBB42_3272:
	v_mov_b32_e32 v3, 0
	v_cmp_ne_u16_sdwa s[8:9], v4, v3 src0_sel:BYTE_0 src1_sel:DWORD
	s_andn2_b64 s[4:5], s[4:5], exec
	s_and_b64 s[8:9], s[8:9], exec
	s_or_b64 s[4:5], s[4:5], s[8:9]
	s_or_b64 exec, exec, s[6:7]
	s_and_saveexec_b64 s[6:7], s[4:5]
	s_cbranch_execnz .LBB42_1223
	s_branch .LBB42_1224
.LBB42_3273:
	s_movk_i32 s4, 0x80
	v_cmp_eq_u16_sdwa s[12:13], v3, s4 src0_sel:BYTE_0 src1_sel:DWORD
	s_mov_b64 s[4:5], -1
                                        ; implicit-def: $sgpr10
	s_and_saveexec_b64 s[8:9], s[12:13]
; %bb.3274:
	s_mov_b32 s10, 0x7f800001
	s_xor_b64 s[4:5], exec, -1
; %bb.3275:
	s_or_b64 exec, exec, s[8:9]
	s_and_b64 s[4:5], s[4:5], exec
	s_or_saveexec_b64 s[6:7], s[6:7]
	v_mov_b32_e32 v2, s10
	s_xor_b64 exec, exec, s[6:7]
	s_cbranch_execz .LBB42_1226
.LBB42_3276:
	v_mov_b32_e32 v2, 0
	v_cmp_ne_u16_sdwa s[8:9], v3, v2 src0_sel:BYTE_0 src1_sel:DWORD
	s_andn2_b64 s[4:5], s[4:5], exec
	s_and_b64 s[8:9], s[8:9], exec
	s_or_b64 s[4:5], s[4:5], s[8:9]
	s_or_b64 exec, exec, s[6:7]
	s_and_saveexec_b64 s[6:7], s[4:5]
	s_cbranch_execnz .LBB42_1227
	s_branch .LBB42_1228
.LBB42_3277:
	s_movk_i32 s4, 0x80
	v_cmp_eq_u16_sdwa s[12:13], v3, s4 src0_sel:BYTE_0 src1_sel:DWORD
	s_mov_b64 s[4:5], -1
                                        ; implicit-def: $sgpr10
	s_and_saveexec_b64 s[8:9], s[12:13]
; %bb.3278:
	s_mov_b32 s10, 0x7f800001
	s_xor_b64 s[4:5], exec, -1
; %bb.3279:
	s_or_b64 exec, exec, s[8:9]
	s_and_b64 s[4:5], s[4:5], exec
	s_or_saveexec_b64 s[6:7], s[6:7]
	v_mov_b32_e32 v6, s10
	s_xor_b64 exec, exec, s[6:7]
	s_cbranch_execz .LBB42_1230
.LBB42_3280:
	v_mov_b32_e32 v6, 0
	v_cmp_ne_u16_sdwa s[8:9], v3, v6 src0_sel:BYTE_0 src1_sel:DWORD
	s_andn2_b64 s[4:5], s[4:5], exec
	s_and_b64 s[8:9], s[8:9], exec
	s_or_b64 s[4:5], s[4:5], s[8:9]
	s_or_b64 exec, exec, s[6:7]
	s_and_saveexec_b64 s[6:7], s[4:5]
	s_cbranch_execnz .LBB42_1231
	s_branch .LBB42_1232
.LBB42_3281:
	s_movk_i32 s4, 0x80
	v_cmp_eq_u16_e32 vcc, s4, v3
	s_mov_b64 s[4:5], -1
                                        ; implicit-def: $sgpr10
	s_and_saveexec_b64 s[8:9], vcc
; %bb.3282:
	s_mov_b32 s10, 0x7f800001
	s_xor_b64 s[4:5], exec, -1
; %bb.3283:
	s_or_b64 exec, exec, s[8:9]
	s_and_b64 s[4:5], s[4:5], exec
                                        ; implicit-def: $vgpr3
	s_or_saveexec_b64 s[6:7], s[6:7]
	v_mov_b32_e32 v2, s10
	s_xor_b64 exec, exec, s[6:7]
	s_cbranch_execz .LBB42_1234
.LBB42_3284:
	v_cmp_ne_u16_e32 vcc, 0, v3
	s_andn2_b64 s[4:5], s[4:5], exec
	s_and_b64 s[8:9], vcc, exec
	v_mov_b32_e32 v2, 0
	s_or_b64 s[4:5], s[4:5], s[8:9]
	s_or_b64 exec, exec, s[6:7]
	s_and_saveexec_b64 s[6:7], s[4:5]
	s_cbranch_execnz .LBB42_1235
	s_branch .LBB42_1236
.LBB42_3285:
	s_movk_i32 s4, 0x80
	v_cmp_eq_u16_e32 vcc, s4, v3
	s_mov_b64 s[4:5], -1
                                        ; implicit-def: $sgpr10
	s_and_saveexec_b64 s[8:9], vcc
; %bb.3286:
	s_mov_b32 s10, 0x7f800001
	s_xor_b64 s[4:5], exec, -1
; %bb.3287:
	s_or_b64 exec, exec, s[8:9]
	s_and_b64 s[4:5], s[4:5], exec
                                        ; implicit-def: $vgpr3
	s_or_saveexec_b64 s[6:7], s[6:7]
	v_mov_b32_e32 v6, s10
	s_xor_b64 exec, exec, s[6:7]
	s_cbranch_execz .LBB42_1238
.LBB42_3288:
	v_cmp_ne_u16_e32 vcc, 0, v3
	s_andn2_b64 s[4:5], s[4:5], exec
	s_and_b64 s[8:9], vcc, exec
	v_mov_b32_e32 v6, 0
	s_or_b64 s[4:5], s[4:5], s[8:9]
	s_or_b64 exec, exec, s[6:7]
	s_and_saveexec_b64 s[6:7], s[4:5]
	s_cbranch_execnz .LBB42_1239
	s_branch .LBB42_1240
.LBB42_3289:
	s_movk_i32 s4, 0x80
	v_cmp_eq_u16_sdwa s[12:13], v8, s4 src0_sel:BYTE_3 src1_sel:DWORD
	s_mov_b64 s[4:5], -1
                                        ; implicit-def: $sgpr10
	s_and_saveexec_b64 s[8:9], s[12:13]
; %bb.3290:
	s_mov_b32 s10, 0x7f800001
	s_xor_b64 s[4:5], exec, -1
; %bb.3291:
	s_or_b64 exec, exec, s[8:9]
	s_and_b64 s[4:5], s[4:5], exec
	s_or_saveexec_b64 s[6:7], s[6:7]
	v_mov_b32_e32 v2, s10
	s_xor_b64 exec, exec, s[6:7]
	s_cbranch_execz .LBB42_1242
.LBB42_3292:
	v_mov_b32_e32 v2, 0
	v_cmp_ne_u16_sdwa s[8:9], v8, v2 src0_sel:BYTE_3 src1_sel:DWORD
	s_andn2_b64 s[4:5], s[4:5], exec
	s_and_b64 s[8:9], s[8:9], exec
	s_or_b64 s[4:5], s[4:5], s[8:9]
	s_or_b64 exec, exec, s[6:7]
	s_and_saveexec_b64 s[6:7], s[4:5]
	s_cbranch_execnz .LBB42_1243
	s_branch .LBB42_1244
.LBB42_3293:
	s_movk_i32 s4, 0x80
	v_cmp_eq_u16_sdwa s[12:13], v4, s4 src0_sel:BYTE_3 src1_sel:DWORD
	s_mov_b64 s[4:5], -1
                                        ; implicit-def: $sgpr10
	s_and_saveexec_b64 s[8:9], s[12:13]
; %bb.3294:
	s_mov_b32 s10, 0x7f800001
	s_xor_b64 s[4:5], exec, -1
; %bb.3295:
	s_or_b64 exec, exec, s[8:9]
	s_and_b64 s[4:5], s[4:5], exec
	s_or_saveexec_b64 s[6:7], s[6:7]
	v_mov_b32_e32 v3, s10
	s_xor_b64 exec, exec, s[6:7]
	s_cbranch_execz .LBB42_1246
.LBB42_3296:
	v_mov_b32_e32 v3, 0
	v_cmp_ne_u16_sdwa s[8:9], v4, v3 src0_sel:BYTE_3 src1_sel:DWORD
	s_andn2_b64 s[4:5], s[4:5], exec
	s_and_b64 s[8:9], s[8:9], exec
	s_or_b64 s[4:5], s[4:5], s[8:9]
	s_or_b64 exec, exec, s[6:7]
	s_and_saveexec_b64 s[6:7], s[4:5]
	s_cbranch_execnz .LBB42_1247
	s_branch .LBB42_1248
.LBB42_3297:
	s_movk_i32 s4, 0x80
	v_cmp_eq_u16_sdwa s[12:13], v9, s4 src0_sel:BYTE_0 src1_sel:DWORD
	s_mov_b64 s[4:5], -1
                                        ; implicit-def: $sgpr10
	s_and_saveexec_b64 s[8:9], s[12:13]
; %bb.3298:
	s_mov_b32 s10, 0x7f800001
	s_xor_b64 s[4:5], exec, -1
; %bb.3299:
	s_or_b64 exec, exec, s[8:9]
	s_and_b64 s[4:5], s[4:5], exec
	s_or_saveexec_b64 s[6:7], s[6:7]
	v_mov_b32_e32 v2, s10
	s_xor_b64 exec, exec, s[6:7]
	s_cbranch_execz .LBB42_1250
.LBB42_3300:
	v_mov_b32_e32 v2, 0
	v_cmp_ne_u16_sdwa s[8:9], v9, v2 src0_sel:BYTE_0 src1_sel:DWORD
	s_andn2_b64 s[4:5], s[4:5], exec
	s_and_b64 s[8:9], s[8:9], exec
	s_or_b64 s[4:5], s[4:5], s[8:9]
	s_or_b64 exec, exec, s[6:7]
	s_and_saveexec_b64 s[6:7], s[4:5]
	s_cbranch_execnz .LBB42_1251
	s_branch .LBB42_1252
.LBB42_3301:
	s_movk_i32 s4, 0x80
	v_cmp_eq_u16_sdwa s[12:13], v5, s4 src0_sel:BYTE_0 src1_sel:DWORD
	s_mov_b64 s[4:5], -1
                                        ; implicit-def: $sgpr10
	s_and_saveexec_b64 s[8:9], s[12:13]
; %bb.3302:
	s_mov_b32 s10, 0x7f800001
	s_xor_b64 s[4:5], exec, -1
; %bb.3303:
	s_or_b64 exec, exec, s[8:9]
	s_and_b64 s[4:5], s[4:5], exec
	s_or_saveexec_b64 s[6:7], s[6:7]
	v_mov_b32_e32 v3, s10
	s_xor_b64 exec, exec, s[6:7]
	s_cbranch_execz .LBB42_1254
.LBB42_3304:
	v_mov_b32_e32 v3, 0
	v_cmp_ne_u16_sdwa s[8:9], v5, v3 src0_sel:BYTE_0 src1_sel:DWORD
	s_andn2_b64 s[4:5], s[4:5], exec
	s_and_b64 s[8:9], s[8:9], exec
	s_or_b64 s[4:5], s[4:5], s[8:9]
	s_or_b64 exec, exec, s[6:7]
	s_and_saveexec_b64 s[6:7], s[4:5]
	s_cbranch_execnz .LBB42_1255
	s_branch .LBB42_1256
.LBB42_3305:
	s_movk_i32 s4, 0x80
	v_cmp_eq_u16_sdwa s[12:13], v3, s4 src0_sel:BYTE_0 src1_sel:DWORD
	s_mov_b64 s[4:5], -1
                                        ; implicit-def: $sgpr10
	s_and_saveexec_b64 s[8:9], s[12:13]
; %bb.3306:
	s_mov_b32 s10, 0x7f800001
	s_xor_b64 s[4:5], exec, -1
; %bb.3307:
	s_or_b64 exec, exec, s[8:9]
	s_and_b64 s[4:5], s[4:5], exec
	s_or_saveexec_b64 s[6:7], s[6:7]
	v_mov_b32_e32 v2, s10
	s_xor_b64 exec, exec, s[6:7]
	s_cbranch_execz .LBB42_1258
.LBB42_3308:
	v_mov_b32_e32 v2, 0
	v_cmp_ne_u16_sdwa s[8:9], v3, v2 src0_sel:BYTE_0 src1_sel:DWORD
	s_andn2_b64 s[4:5], s[4:5], exec
	s_and_b64 s[8:9], s[8:9], exec
	s_or_b64 s[4:5], s[4:5], s[8:9]
	s_or_b64 exec, exec, s[6:7]
	s_and_saveexec_b64 s[6:7], s[4:5]
	s_cbranch_execnz .LBB42_1259
	s_branch .LBB42_1260
.LBB42_3309:
	s_movk_i32 s4, 0x80
	v_cmp_eq_u16_sdwa s[12:13], v3, s4 src0_sel:BYTE_0 src1_sel:DWORD
	s_mov_b64 s[4:5], -1
                                        ; implicit-def: $sgpr10
	s_and_saveexec_b64 s[8:9], s[12:13]
; %bb.3310:
	s_mov_b32 s10, 0x7f800001
	s_xor_b64 s[4:5], exec, -1
; %bb.3311:
	s_or_b64 exec, exec, s[8:9]
	s_and_b64 s[4:5], s[4:5], exec
	s_or_saveexec_b64 s[6:7], s[6:7]
	v_mov_b32_e32 v4, s10
	s_xor_b64 exec, exec, s[6:7]
	s_cbranch_execz .LBB42_1262
.LBB42_3312:
	v_mov_b32_e32 v4, 0
	v_cmp_ne_u16_sdwa s[8:9], v3, v4 src0_sel:BYTE_0 src1_sel:DWORD
	s_andn2_b64 s[4:5], s[4:5], exec
	s_and_b64 s[8:9], s[8:9], exec
	s_or_b64 s[4:5], s[4:5], s[8:9]
	s_or_b64 exec, exec, s[6:7]
	s_and_saveexec_b64 s[6:7], s[4:5]
	s_cbranch_execnz .LBB42_1263
	s_branch .LBB42_1264
.LBB42_3313:
	s_movk_i32 s4, 0x80
	v_cmp_eq_u16_e32 vcc, s4, v3
	s_mov_b64 s[4:5], -1
                                        ; implicit-def: $sgpr10
	s_and_saveexec_b64 s[8:9], vcc
; %bb.3314:
	s_mov_b32 s10, 0x7f800001
	s_xor_b64 s[4:5], exec, -1
; %bb.3315:
	s_or_b64 exec, exec, s[8:9]
	s_and_b64 s[4:5], s[4:5], exec
                                        ; implicit-def: $vgpr3
	s_or_saveexec_b64 s[6:7], s[6:7]
	v_mov_b32_e32 v2, s10
	s_xor_b64 exec, exec, s[6:7]
	s_cbranch_execz .LBB42_1266
.LBB42_3316:
	v_cmp_ne_u16_e32 vcc, 0, v3
	s_andn2_b64 s[4:5], s[4:5], exec
	s_and_b64 s[8:9], vcc, exec
	v_mov_b32_e32 v2, 0
	s_or_b64 s[4:5], s[4:5], s[8:9]
	s_or_b64 exec, exec, s[6:7]
	s_and_saveexec_b64 s[6:7], s[4:5]
	s_cbranch_execnz .LBB42_1267
	s_branch .LBB42_1268
.LBB42_3317:
	s_movk_i32 s4, 0x80
	v_cmp_eq_u16_e32 vcc, s4, v3
	s_mov_b64 s[4:5], -1
                                        ; implicit-def: $sgpr10
	s_and_saveexec_b64 s[8:9], vcc
; %bb.3318:
	s_mov_b32 s10, 0x7f800001
	s_xor_b64 s[4:5], exec, -1
; %bb.3319:
	s_or_b64 exec, exec, s[8:9]
	s_and_b64 s[4:5], s[4:5], exec
                                        ; implicit-def: $vgpr3
	s_or_saveexec_b64 s[6:7], s[6:7]
	v_mov_b32_e32 v4, s10
	s_xor_b64 exec, exec, s[6:7]
	s_cbranch_execz .LBB42_1270
.LBB42_3320:
	v_cmp_ne_u16_e32 vcc, 0, v3
	s_andn2_b64 s[4:5], s[4:5], exec
	s_and_b64 s[8:9], vcc, exec
	v_mov_b32_e32 v4, 0
	s_or_b64 s[4:5], s[4:5], s[8:9]
	s_or_b64 exec, exec, s[6:7]
	s_and_saveexec_b64 s[6:7], s[4:5]
	s_cbranch_execnz .LBB42_1271
	s_branch .LBB42_1272
.LBB42_3321:
	s_movk_i32 s4, 0x80
	v_cmp_eq_u16_sdwa s[12:13], v9, s4 src0_sel:BYTE_3 src1_sel:DWORD
	s_mov_b64 s[4:5], -1
                                        ; implicit-def: $sgpr10
	s_and_saveexec_b64 s[8:9], s[12:13]
; %bb.3322:
	s_mov_b32 s10, 0x7f800001
	s_xor_b64 s[4:5], exec, -1
; %bb.3323:
	s_or_b64 exec, exec, s[8:9]
	s_and_b64 s[4:5], s[4:5], exec
	s_or_saveexec_b64 s[6:7], s[6:7]
	v_mov_b32_e32 v2, s10
	s_xor_b64 exec, exec, s[6:7]
	s_cbranch_execz .LBB42_1274
.LBB42_3324:
	v_mov_b32_e32 v2, 0
	v_cmp_ne_u16_sdwa s[8:9], v9, v2 src0_sel:BYTE_3 src1_sel:DWORD
	s_andn2_b64 s[4:5], s[4:5], exec
	s_and_b64 s[8:9], s[8:9], exec
	s_or_b64 s[4:5], s[4:5], s[8:9]
	s_or_b64 exec, exec, s[6:7]
	s_and_saveexec_b64 s[6:7], s[4:5]
	s_cbranch_execnz .LBB42_1275
	s_branch .LBB42_1276
.LBB42_3325:
	s_movk_i32 s4, 0x80
	v_cmp_eq_u16_sdwa s[12:13], v5, s4 src0_sel:BYTE_3 src1_sel:DWORD
	s_mov_b64 s[4:5], -1
                                        ; implicit-def: $sgpr10
	s_and_saveexec_b64 s[8:9], s[12:13]
; %bb.3326:
	s_mov_b32 s10, 0x7f800001
	s_xor_b64 s[4:5], exec, -1
; %bb.3327:
	s_or_b64 exec, exec, s[8:9]
	s_and_b64 s[4:5], s[4:5], exec
	s_or_saveexec_b64 s[6:7], s[6:7]
	v_mov_b32_e32 v3, s10
	s_xor_b64 exec, exec, s[6:7]
	s_cbranch_execz .LBB42_1278
.LBB42_3328:
	v_mov_b32_e32 v3, 0
	v_cmp_ne_u16_sdwa s[8:9], v5, v3 src0_sel:BYTE_3 src1_sel:DWORD
	s_andn2_b64 s[4:5], s[4:5], exec
	s_and_b64 s[8:9], s[8:9], exec
	s_or_b64 s[4:5], s[4:5], s[8:9]
	s_or_b64 exec, exec, s[6:7]
	s_and_saveexec_b64 s[6:7], s[4:5]
	s_cbranch_execnz .LBB42_1279
	s_branch .LBB42_1280
.LBB42_3329:
	s_movk_i32 s4, 0x80
	v_cmp_eq_u16_sdwa s[12:13], v14, s4 src0_sel:BYTE_0 src1_sel:DWORD
	s_mov_b64 s[4:5], -1
                                        ; implicit-def: $sgpr10
	s_and_saveexec_b64 s[8:9], s[12:13]
; %bb.3330:
	s_mov_b32 s10, 0x7f800001
	s_xor_b64 s[4:5], exec, -1
; %bb.3331:
	s_or_b64 exec, exec, s[8:9]
	s_and_b64 s[4:5], s[4:5], exec
	s_or_saveexec_b64 s[6:7], s[6:7]
	v_mov_b32_e32 v20, s10
	s_xor_b64 exec, exec, s[6:7]
	s_cbranch_execz .LBB42_1282
.LBB42_3332:
	v_mov_b32_e32 v20, 0
	v_cmp_ne_u16_sdwa s[8:9], v14, v20 src0_sel:BYTE_0 src1_sel:DWORD
	s_andn2_b64 s[4:5], s[4:5], exec
	s_and_b64 s[8:9], s[8:9], exec
	s_or_b64 s[4:5], s[4:5], s[8:9]
	s_or_b64 exec, exec, s[6:7]
	s_and_saveexec_b64 s[6:7], s[4:5]
	s_cbranch_execnz .LBB42_1283
	s_branch .LBB42_1284
.LBB42_3333:
	s_movk_i32 s4, 0x80
	v_cmp_eq_u16_sdwa s[12:13], v10, s4 src0_sel:BYTE_0 src1_sel:DWORD
	s_mov_b64 s[4:5], -1
                                        ; implicit-def: $sgpr10
	s_and_saveexec_b64 s[8:9], s[12:13]
; %bb.3334:
	s_mov_b32 s10, 0x7f800001
	s_xor_b64 s[4:5], exec, -1
; %bb.3335:
	s_or_b64 exec, exec, s[8:9]
	s_and_b64 s[4:5], s[4:5], exec
	s_or_saveexec_b64 s[6:7], s[6:7]
	v_mov_b32_e32 v21, s10
	s_xor_b64 exec, exec, s[6:7]
	s_cbranch_execz .LBB42_1286
.LBB42_3336:
	v_mov_b32_e32 v21, 0
	v_cmp_ne_u16_sdwa s[8:9], v10, v21 src0_sel:BYTE_0 src1_sel:DWORD
	s_andn2_b64 s[4:5], s[4:5], exec
	s_and_b64 s[8:9], s[8:9], exec
	s_or_b64 s[4:5], s[4:5], s[8:9]
	s_or_b64 exec, exec, s[6:7]
	s_and_saveexec_b64 s[6:7], s[4:5]
	s_cbranch_execnz .LBB42_1287
	s_branch .LBB42_1288
.LBB42_3337:
	s_movk_i32 s4, 0x80
	v_cmp_eq_u16_sdwa s[12:13], v21, s4 src0_sel:BYTE_0 src1_sel:DWORD
	s_mov_b64 s[4:5], -1
                                        ; implicit-def: $sgpr10
	s_and_saveexec_b64 s[8:9], s[12:13]
; %bb.3338:
	s_mov_b32 s10, 0x7f800001
	s_xor_b64 s[4:5], exec, -1
; %bb.3339:
	s_or_b64 exec, exec, s[8:9]
	s_and_b64 s[4:5], s[4:5], exec
	s_or_saveexec_b64 s[6:7], s[6:7]
	v_mov_b32_e32 v20, s10
	s_xor_b64 exec, exec, s[6:7]
	s_cbranch_execz .LBB42_1290
.LBB42_3340:
	v_mov_b32_e32 v20, 0
	v_cmp_ne_u16_sdwa s[8:9], v21, v20 src0_sel:BYTE_0 src1_sel:DWORD
	s_andn2_b64 s[4:5], s[4:5], exec
	s_and_b64 s[8:9], s[8:9], exec
	s_or_b64 s[4:5], s[4:5], s[8:9]
	s_or_b64 exec, exec, s[6:7]
	s_and_saveexec_b64 s[6:7], s[4:5]
	s_cbranch_execnz .LBB42_1291
	s_branch .LBB42_1292
.LBB42_3341:
	s_movk_i32 s4, 0x80
	v_cmp_eq_u16_sdwa s[12:13], v21, s4 src0_sel:BYTE_0 src1_sel:DWORD
	s_mov_b64 s[4:5], -1
                                        ; implicit-def: $sgpr10
	s_and_saveexec_b64 s[8:9], s[12:13]
; %bb.3342:
	s_mov_b32 s10, 0x7f800001
	s_xor_b64 s[4:5], exec, -1
; %bb.3343:
	s_or_b64 exec, exec, s[8:9]
	s_and_b64 s[4:5], s[4:5], exec
	s_or_saveexec_b64 s[6:7], s[6:7]
	v_mov_b32_e32 v22, s10
	s_xor_b64 exec, exec, s[6:7]
	s_cbranch_execz .LBB42_1294
.LBB42_3344:
	v_mov_b32_e32 v22, 0
	v_cmp_ne_u16_sdwa s[8:9], v21, v22 src0_sel:BYTE_0 src1_sel:DWORD
	s_andn2_b64 s[4:5], s[4:5], exec
	s_and_b64 s[8:9], s[8:9], exec
	s_or_b64 s[4:5], s[4:5], s[8:9]
	s_or_b64 exec, exec, s[6:7]
	s_and_saveexec_b64 s[6:7], s[4:5]
	s_cbranch_execnz .LBB42_1295
	s_branch .LBB42_1296
.LBB42_3345:
	s_movk_i32 s4, 0x80
	v_cmp_eq_u16_e32 vcc, s4, v21
	s_mov_b64 s[4:5], -1
                                        ; implicit-def: $sgpr10
	s_and_saveexec_b64 s[8:9], vcc
; %bb.3346:
	s_mov_b32 s10, 0x7f800001
	s_xor_b64 s[4:5], exec, -1
; %bb.3347:
	s_or_b64 exec, exec, s[8:9]
	s_and_b64 s[4:5], s[4:5], exec
                                        ; implicit-def: $vgpr21
	s_or_saveexec_b64 s[6:7], s[6:7]
	v_mov_b32_e32 v20, s10
	s_xor_b64 exec, exec, s[6:7]
	s_cbranch_execz .LBB42_1298
.LBB42_3348:
	v_cmp_ne_u16_e32 vcc, 0, v21
	s_andn2_b64 s[4:5], s[4:5], exec
	s_and_b64 s[8:9], vcc, exec
	v_mov_b32_e32 v20, 0
	s_or_b64 s[4:5], s[4:5], s[8:9]
	s_or_b64 exec, exec, s[6:7]
	s_and_saveexec_b64 s[6:7], s[4:5]
	s_cbranch_execnz .LBB42_1299
	s_branch .LBB42_1300
.LBB42_3349:
	s_movk_i32 s4, 0x80
	v_cmp_eq_u16_e32 vcc, s4, v21
	s_mov_b64 s[4:5], -1
                                        ; implicit-def: $sgpr10
	s_and_saveexec_b64 s[8:9], vcc
; %bb.3350:
	s_mov_b32 s10, 0x7f800001
	s_xor_b64 s[4:5], exec, -1
; %bb.3351:
	s_or_b64 exec, exec, s[8:9]
	s_and_b64 s[4:5], s[4:5], exec
                                        ; implicit-def: $vgpr21
	s_or_saveexec_b64 s[6:7], s[6:7]
	v_mov_b32_e32 v22, s10
	s_xor_b64 exec, exec, s[6:7]
	s_cbranch_execz .LBB42_1302
.LBB42_3352:
	v_cmp_ne_u16_e32 vcc, 0, v21
	s_andn2_b64 s[4:5], s[4:5], exec
	s_and_b64 s[8:9], vcc, exec
	v_mov_b32_e32 v22, 0
	s_or_b64 s[4:5], s[4:5], s[8:9]
	s_or_b64 exec, exec, s[6:7]
	s_and_saveexec_b64 s[6:7], s[4:5]
	s_cbranch_execnz .LBB42_1303
	s_branch .LBB42_1304
.LBB42_3353:
	s_movk_i32 s4, 0x80
	v_cmp_eq_u16_sdwa s[12:13], v14, s4 src0_sel:BYTE_3 src1_sel:DWORD
	s_mov_b64 s[4:5], -1
                                        ; implicit-def: $sgpr10
	s_and_saveexec_b64 s[8:9], s[12:13]
; %bb.3354:
	s_mov_b32 s10, 0x7f800001
	s_xor_b64 s[4:5], exec, -1
; %bb.3355:
	s_or_b64 exec, exec, s[8:9]
	s_and_b64 s[4:5], s[4:5], exec
	s_or_saveexec_b64 s[6:7], s[6:7]
	v_mov_b32_e32 v20, s10
	s_xor_b64 exec, exec, s[6:7]
	s_cbranch_execz .LBB42_1306
.LBB42_3356:
	v_mov_b32_e32 v20, 0
	v_cmp_ne_u16_sdwa s[8:9], v14, v20 src0_sel:BYTE_3 src1_sel:DWORD
	s_andn2_b64 s[4:5], s[4:5], exec
	s_and_b64 s[8:9], s[8:9], exec
	s_or_b64 s[4:5], s[4:5], s[8:9]
	s_or_b64 exec, exec, s[6:7]
	s_and_saveexec_b64 s[6:7], s[4:5]
	s_cbranch_execnz .LBB42_1307
	s_branch .LBB42_1308
.LBB42_3357:
	s_movk_i32 s4, 0x80
	v_cmp_eq_u16_sdwa s[12:13], v10, s4 src0_sel:BYTE_3 src1_sel:DWORD
	s_mov_b64 s[4:5], -1
                                        ; implicit-def: $sgpr10
	s_and_saveexec_b64 s[8:9], s[12:13]
; %bb.3358:
	s_mov_b32 s10, 0x7f800001
	s_xor_b64 s[4:5], exec, -1
; %bb.3359:
	s_or_b64 exec, exec, s[8:9]
	s_and_b64 s[4:5], s[4:5], exec
	s_or_saveexec_b64 s[6:7], s[6:7]
	v_mov_b32_e32 v14, s10
	s_xor_b64 exec, exec, s[6:7]
	s_cbranch_execz .LBB42_1310
.LBB42_3360:
	v_mov_b32_e32 v14, 0
	v_cmp_ne_u16_sdwa s[8:9], v10, v14 src0_sel:BYTE_3 src1_sel:DWORD
	s_andn2_b64 s[4:5], s[4:5], exec
	s_and_b64 s[8:9], s[8:9], exec
	s_or_b64 s[4:5], s[4:5], s[8:9]
	s_or_b64 exec, exec, s[6:7]
	s_and_saveexec_b64 s[6:7], s[4:5]
	s_cbranch_execnz .LBB42_1311
	s_branch .LBB42_1312
.LBB42_3361:
	s_movk_i32 s4, 0x80
	v_cmp_eq_u16_sdwa s[12:13], v15, s4 src0_sel:BYTE_0 src1_sel:DWORD
	s_mov_b64 s[4:5], -1
                                        ; implicit-def: $sgpr10
	s_and_saveexec_b64 s[8:9], s[12:13]
; %bb.3362:
	s_mov_b32 s10, 0x7f800001
	s_xor_b64 s[4:5], exec, -1
; %bb.3363:
	s_or_b64 exec, exec, s[8:9]
	s_and_b64 s[4:5], s[4:5], exec
	s_or_saveexec_b64 s[6:7], s[6:7]
	v_mov_b32_e32 v10, s10
	s_xor_b64 exec, exec, s[6:7]
	s_cbranch_execz .LBB42_1314
.LBB42_3364:
	v_mov_b32_e32 v10, 0
	v_cmp_ne_u16_sdwa s[8:9], v15, v10 src0_sel:BYTE_0 src1_sel:DWORD
	s_andn2_b64 s[4:5], s[4:5], exec
	s_and_b64 s[8:9], s[8:9], exec
	s_or_b64 s[4:5], s[4:5], s[8:9]
	s_or_b64 exec, exec, s[6:7]
	s_and_saveexec_b64 s[6:7], s[4:5]
	s_cbranch_execnz .LBB42_1315
	s_branch .LBB42_1316
.LBB42_3365:
	s_movk_i32 s4, 0x80
	v_cmp_eq_u16_sdwa s[12:13], v11, s4 src0_sel:BYTE_0 src1_sel:DWORD
	s_mov_b64 s[4:5], -1
                                        ; implicit-def: $sgpr10
	s_and_saveexec_b64 s[8:9], s[12:13]
; %bb.3366:
	s_mov_b32 s10, 0x7f800001
	s_xor_b64 s[4:5], exec, -1
; %bb.3367:
	s_or_b64 exec, exec, s[8:9]
	s_and_b64 s[4:5], s[4:5], exec
	s_or_saveexec_b64 s[6:7], s[6:7]
	v_mov_b32_e32 v14, s10
	s_xor_b64 exec, exec, s[6:7]
	s_cbranch_execz .LBB42_1318
.LBB42_3368:
	v_mov_b32_e32 v14, 0
	v_cmp_ne_u16_sdwa s[8:9], v11, v14 src0_sel:BYTE_0 src1_sel:DWORD
	s_andn2_b64 s[4:5], s[4:5], exec
	s_and_b64 s[8:9], s[8:9], exec
	s_or_b64 s[4:5], s[4:5], s[8:9]
	s_or_b64 exec, exec, s[6:7]
	s_and_saveexec_b64 s[6:7], s[4:5]
	s_cbranch_execnz .LBB42_1319
	s_branch .LBB42_1320
.LBB42_3369:
	s_movk_i32 s4, 0x80
	v_cmp_eq_u16_sdwa s[12:13], v14, s4 src0_sel:BYTE_0 src1_sel:DWORD
	s_mov_b64 s[4:5], -1
                                        ; implicit-def: $sgpr10
	s_and_saveexec_b64 s[8:9], s[12:13]
; %bb.3370:
	s_mov_b32 s10, 0x7f800001
	s_xor_b64 s[4:5], exec, -1
; %bb.3371:
	s_or_b64 exec, exec, s[8:9]
	s_and_b64 s[4:5], s[4:5], exec
	s_or_saveexec_b64 s[6:7], s[6:7]
	v_mov_b32_e32 v10, s10
	s_xor_b64 exec, exec, s[6:7]
	s_cbranch_execz .LBB42_1322
.LBB42_3372:
	v_mov_b32_e32 v10, 0
	v_cmp_ne_u16_sdwa s[8:9], v14, v10 src0_sel:BYTE_0 src1_sel:DWORD
	s_andn2_b64 s[4:5], s[4:5], exec
	s_and_b64 s[8:9], s[8:9], exec
	s_or_b64 s[4:5], s[4:5], s[8:9]
	s_or_b64 exec, exec, s[6:7]
	s_and_saveexec_b64 s[6:7], s[4:5]
	s_cbranch_execnz .LBB42_1323
	s_branch .LBB42_1324
.LBB42_3373:
	s_movk_i32 s4, 0x80
	v_cmp_eq_u16_sdwa s[12:13], v14, s4 src0_sel:BYTE_0 src1_sel:DWORD
	s_mov_b64 s[4:5], -1
                                        ; implicit-def: $sgpr10
	s_and_saveexec_b64 s[8:9], s[12:13]
; %bb.3374:
	s_mov_b32 s10, 0x7f800001
	s_xor_b64 s[4:5], exec, -1
; %bb.3375:
	s_or_b64 exec, exec, s[8:9]
	s_and_b64 s[4:5], s[4:5], exec
	s_or_saveexec_b64 s[6:7], s[6:7]
	v_mov_b32_e32 v20, s10
	s_xor_b64 exec, exec, s[6:7]
	s_cbranch_execz .LBB42_1326
.LBB42_3376:
	v_mov_b32_e32 v20, 0
	v_cmp_ne_u16_sdwa s[8:9], v14, v20 src0_sel:BYTE_0 src1_sel:DWORD
	s_andn2_b64 s[4:5], s[4:5], exec
	s_and_b64 s[8:9], s[8:9], exec
	s_or_b64 s[4:5], s[4:5], s[8:9]
	s_or_b64 exec, exec, s[6:7]
	s_and_saveexec_b64 s[6:7], s[4:5]
	s_cbranch_execnz .LBB42_1327
	s_branch .LBB42_1328
.LBB42_3377:
	s_movk_i32 s4, 0x80
	v_cmp_eq_u16_e32 vcc, s4, v14
	s_mov_b64 s[4:5], -1
                                        ; implicit-def: $sgpr10
	s_and_saveexec_b64 s[8:9], vcc
; %bb.3378:
	s_mov_b32 s10, 0x7f800001
	s_xor_b64 s[4:5], exec, -1
; %bb.3379:
	s_or_b64 exec, exec, s[8:9]
	s_and_b64 s[4:5], s[4:5], exec
                                        ; implicit-def: $vgpr14
	s_or_saveexec_b64 s[6:7], s[6:7]
	v_mov_b32_e32 v10, s10
	s_xor_b64 exec, exec, s[6:7]
	s_cbranch_execz .LBB42_1330
.LBB42_3380:
	v_cmp_ne_u16_e32 vcc, 0, v14
	s_andn2_b64 s[4:5], s[4:5], exec
	s_and_b64 s[8:9], vcc, exec
	v_mov_b32_e32 v10, 0
	s_or_b64 s[4:5], s[4:5], s[8:9]
	s_or_b64 exec, exec, s[6:7]
	s_and_saveexec_b64 s[6:7], s[4:5]
	s_cbranch_execnz .LBB42_1331
	s_branch .LBB42_1332
.LBB42_3381:
	s_movk_i32 s4, 0x80
	v_cmp_eq_u16_e32 vcc, s4, v14
	s_mov_b64 s[4:5], -1
                                        ; implicit-def: $sgpr10
	s_and_saveexec_b64 s[8:9], vcc
; %bb.3382:
	s_mov_b32 s10, 0x7f800001
	s_xor_b64 s[4:5], exec, -1
; %bb.3383:
	s_or_b64 exec, exec, s[8:9]
	s_and_b64 s[4:5], s[4:5], exec
                                        ; implicit-def: $vgpr14
	s_or_saveexec_b64 s[6:7], s[6:7]
	v_mov_b32_e32 v20, s10
	s_xor_b64 exec, exec, s[6:7]
	s_cbranch_execz .LBB42_1334
.LBB42_3384:
	v_cmp_ne_u16_e32 vcc, 0, v14
	s_andn2_b64 s[4:5], s[4:5], exec
	s_and_b64 s[8:9], vcc, exec
	v_mov_b32_e32 v20, 0
	s_or_b64 s[4:5], s[4:5], s[8:9]
	s_or_b64 exec, exec, s[6:7]
	s_and_saveexec_b64 s[6:7], s[4:5]
	s_cbranch_execnz .LBB42_1335
	s_branch .LBB42_1336
.LBB42_3385:
	s_movk_i32 s4, 0x80
	v_cmp_eq_u16_sdwa s[12:13], v15, s4 src0_sel:BYTE_3 src1_sel:DWORD
	s_mov_b64 s[4:5], -1
                                        ; implicit-def: $sgpr10
	s_and_saveexec_b64 s[8:9], s[12:13]
; %bb.3386:
	s_mov_b32 s10, 0x7f800001
	s_xor_b64 s[4:5], exec, -1
; %bb.3387:
	s_or_b64 exec, exec, s[8:9]
	s_and_b64 s[4:5], s[4:5], exec
	s_or_saveexec_b64 s[6:7], s[6:7]
	v_mov_b32_e32 v10, s10
	s_xor_b64 exec, exec, s[6:7]
	s_cbranch_execz .LBB42_1338
.LBB42_3388:
	v_mov_b32_e32 v10, 0
	v_cmp_ne_u16_sdwa s[8:9], v15, v10 src0_sel:BYTE_3 src1_sel:DWORD
	s_andn2_b64 s[4:5], s[4:5], exec
	s_and_b64 s[8:9], s[8:9], exec
	s_or_b64 s[4:5], s[4:5], s[8:9]
	s_or_b64 exec, exec, s[6:7]
	s_and_saveexec_b64 s[6:7], s[4:5]
	s_cbranch_execnz .LBB42_1339
	s_branch .LBB42_1340
.LBB42_3389:
	s_movk_i32 s4, 0x80
	v_cmp_eq_u16_sdwa s[12:13], v11, s4 src0_sel:BYTE_3 src1_sel:DWORD
	s_mov_b64 s[4:5], -1
                                        ; implicit-def: $sgpr10
	s_and_saveexec_b64 s[8:9], s[12:13]
; %bb.3390:
	s_mov_b32 s10, 0x7f800001
	s_xor_b64 s[4:5], exec, -1
; %bb.3391:
	s_or_b64 exec, exec, s[8:9]
	s_and_b64 s[4:5], s[4:5], exec
	s_or_saveexec_b64 s[6:7], s[6:7]
	v_mov_b32_e32 v14, s10
	s_xor_b64 exec, exec, s[6:7]
	s_cbranch_execz .LBB42_1342
.LBB42_3392:
	v_mov_b32_e32 v14, 0
	v_cmp_ne_u16_sdwa s[8:9], v11, v14 src0_sel:BYTE_3 src1_sel:DWORD
	s_andn2_b64 s[4:5], s[4:5], exec
	s_and_b64 s[8:9], s[8:9], exec
	s_or_b64 s[4:5], s[4:5], s[8:9]
	s_or_b64 exec, exec, s[6:7]
	s_and_saveexec_b64 s[6:7], s[4:5]
	s_cbranch_execnz .LBB42_1343
	s_branch .LBB42_1344
.LBB42_3393:
	s_movk_i32 s4, 0x80
	v_cmp_eq_u16_sdwa s[12:13], v16, s4 src0_sel:BYTE_0 src1_sel:DWORD
	s_mov_b64 s[4:5], -1
                                        ; implicit-def: $sgpr10
	s_and_saveexec_b64 s[8:9], s[12:13]
; %bb.3394:
	s_mov_b32 s10, 0x7f800001
	s_xor_b64 s[4:5], exec, -1
; %bb.3395:
	s_or_b64 exec, exec, s[8:9]
	s_and_b64 s[4:5], s[4:5], exec
	s_or_saveexec_b64 s[6:7], s[6:7]
	v_mov_b32_e32 v10, s10
	s_xor_b64 exec, exec, s[6:7]
	s_cbranch_execz .LBB42_1346
.LBB42_3396:
	v_mov_b32_e32 v10, 0
	v_cmp_ne_u16_sdwa s[8:9], v16, v10 src0_sel:BYTE_0 src1_sel:DWORD
	s_andn2_b64 s[4:5], s[4:5], exec
	s_and_b64 s[8:9], s[8:9], exec
	s_or_b64 s[4:5], s[4:5], s[8:9]
	s_or_b64 exec, exec, s[6:7]
	s_and_saveexec_b64 s[6:7], s[4:5]
	s_cbranch_execnz .LBB42_1347
	s_branch .LBB42_1348
.LBB42_3397:
	s_movk_i32 s4, 0x80
	v_cmp_eq_u16_sdwa s[12:13], v12, s4 src0_sel:BYTE_0 src1_sel:DWORD
	s_mov_b64 s[4:5], -1
                                        ; implicit-def: $sgpr10
	s_and_saveexec_b64 s[8:9], s[12:13]
; %bb.3398:
	s_mov_b32 s10, 0x7f800001
	s_xor_b64 s[4:5], exec, -1
; %bb.3399:
	s_or_b64 exec, exec, s[8:9]
	s_and_b64 s[4:5], s[4:5], exec
	s_or_saveexec_b64 s[6:7], s[6:7]
	v_mov_b32_e32 v11, s10
	s_xor_b64 exec, exec, s[6:7]
	s_cbranch_execz .LBB42_1350
.LBB42_3400:
	v_mov_b32_e32 v11, 0
	v_cmp_ne_u16_sdwa s[8:9], v12, v11 src0_sel:BYTE_0 src1_sel:DWORD
	s_andn2_b64 s[4:5], s[4:5], exec
	s_and_b64 s[8:9], s[8:9], exec
	s_or_b64 s[4:5], s[4:5], s[8:9]
	s_or_b64 exec, exec, s[6:7]
	s_and_saveexec_b64 s[6:7], s[4:5]
	s_cbranch_execnz .LBB42_1351
	s_branch .LBB42_1352
.LBB42_3401:
	s_movk_i32 s4, 0x80
	v_cmp_eq_u16_sdwa s[12:13], v11, s4 src0_sel:BYTE_0 src1_sel:DWORD
	s_mov_b64 s[4:5], -1
                                        ; implicit-def: $sgpr10
	s_and_saveexec_b64 s[8:9], s[12:13]
; %bb.3402:
	s_mov_b32 s10, 0x7f800001
	s_xor_b64 s[4:5], exec, -1
; %bb.3403:
	s_or_b64 exec, exec, s[8:9]
	s_and_b64 s[4:5], s[4:5], exec
	s_or_saveexec_b64 s[6:7], s[6:7]
	v_mov_b32_e32 v10, s10
	s_xor_b64 exec, exec, s[6:7]
	s_cbranch_execz .LBB42_1354
.LBB42_3404:
	v_mov_b32_e32 v10, 0
	v_cmp_ne_u16_sdwa s[8:9], v11, v10 src0_sel:BYTE_0 src1_sel:DWORD
	s_andn2_b64 s[4:5], s[4:5], exec
	s_and_b64 s[8:9], s[8:9], exec
	s_or_b64 s[4:5], s[4:5], s[8:9]
	s_or_b64 exec, exec, s[6:7]
	s_and_saveexec_b64 s[6:7], s[4:5]
	s_cbranch_execnz .LBB42_1355
	s_branch .LBB42_1356
.LBB42_3405:
	s_movk_i32 s4, 0x80
	v_cmp_eq_u16_sdwa s[12:13], v11, s4 src0_sel:BYTE_0 src1_sel:DWORD
	s_mov_b64 s[4:5], -1
                                        ; implicit-def: $sgpr10
	s_and_saveexec_b64 s[8:9], s[12:13]
; %bb.3406:
	s_mov_b32 s10, 0x7f800001
	s_xor_b64 s[4:5], exec, -1
; %bb.3407:
	s_or_b64 exec, exec, s[8:9]
	s_and_b64 s[4:5], s[4:5], exec
	s_or_saveexec_b64 s[6:7], s[6:7]
	v_mov_b32_e32 v14, s10
	s_xor_b64 exec, exec, s[6:7]
	s_cbranch_execz .LBB42_1358
.LBB42_3408:
	v_mov_b32_e32 v14, 0
	v_cmp_ne_u16_sdwa s[8:9], v11, v14 src0_sel:BYTE_0 src1_sel:DWORD
	s_andn2_b64 s[4:5], s[4:5], exec
	s_and_b64 s[8:9], s[8:9], exec
	s_or_b64 s[4:5], s[4:5], s[8:9]
	s_or_b64 exec, exec, s[6:7]
	s_and_saveexec_b64 s[6:7], s[4:5]
	s_cbranch_execnz .LBB42_1359
	s_branch .LBB42_1360
.LBB42_3409:
	s_movk_i32 s4, 0x80
	v_cmp_eq_u16_e32 vcc, s4, v11
	s_mov_b64 s[4:5], -1
                                        ; implicit-def: $sgpr10
	s_and_saveexec_b64 s[8:9], vcc
; %bb.3410:
	s_mov_b32 s10, 0x7f800001
	s_xor_b64 s[4:5], exec, -1
; %bb.3411:
	s_or_b64 exec, exec, s[8:9]
	s_and_b64 s[4:5], s[4:5], exec
                                        ; implicit-def: $vgpr11
	s_or_saveexec_b64 s[6:7], s[6:7]
	v_mov_b32_e32 v10, s10
	s_xor_b64 exec, exec, s[6:7]
	s_cbranch_execz .LBB42_1362
.LBB42_3412:
	v_cmp_ne_u16_e32 vcc, 0, v11
	s_andn2_b64 s[4:5], s[4:5], exec
	s_and_b64 s[8:9], vcc, exec
	v_mov_b32_e32 v10, 0
	s_or_b64 s[4:5], s[4:5], s[8:9]
	s_or_b64 exec, exec, s[6:7]
	s_and_saveexec_b64 s[6:7], s[4:5]
	s_cbranch_execnz .LBB42_1363
	s_branch .LBB42_1364
.LBB42_3413:
	s_movk_i32 s4, 0x80
	v_cmp_eq_u16_e32 vcc, s4, v11
	s_mov_b64 s[4:5], -1
                                        ; implicit-def: $sgpr10
	s_and_saveexec_b64 s[8:9], vcc
; %bb.3414:
	s_mov_b32 s10, 0x7f800001
	s_xor_b64 s[4:5], exec, -1
; %bb.3415:
	s_or_b64 exec, exec, s[8:9]
	s_and_b64 s[4:5], s[4:5], exec
                                        ; implicit-def: $vgpr11
	s_or_saveexec_b64 s[6:7], s[6:7]
	v_mov_b32_e32 v14, s10
	s_xor_b64 exec, exec, s[6:7]
	s_cbranch_execz .LBB42_1366
.LBB42_3416:
	v_cmp_ne_u16_e32 vcc, 0, v11
	s_andn2_b64 s[4:5], s[4:5], exec
	s_and_b64 s[8:9], vcc, exec
	v_mov_b32_e32 v14, 0
	s_or_b64 s[4:5], s[4:5], s[8:9]
	s_or_b64 exec, exec, s[6:7]
	s_and_saveexec_b64 s[6:7], s[4:5]
	s_cbranch_execnz .LBB42_1367
	s_branch .LBB42_1368
.LBB42_3417:
	s_movk_i32 s4, 0x80
	v_cmp_eq_u16_sdwa s[12:13], v16, s4 src0_sel:BYTE_3 src1_sel:DWORD
	s_mov_b64 s[4:5], -1
                                        ; implicit-def: $sgpr10
	s_and_saveexec_b64 s[8:9], s[12:13]
; %bb.3418:
	s_mov_b32 s10, 0x7f800001
	s_xor_b64 s[4:5], exec, -1
; %bb.3419:
	s_or_b64 exec, exec, s[8:9]
	s_and_b64 s[4:5], s[4:5], exec
	s_or_saveexec_b64 s[6:7], s[6:7]
	v_mov_b32_e32 v10, s10
	s_xor_b64 exec, exec, s[6:7]
	s_cbranch_execz .LBB42_1370
.LBB42_3420:
	v_mov_b32_e32 v10, 0
	v_cmp_ne_u16_sdwa s[8:9], v16, v10 src0_sel:BYTE_3 src1_sel:DWORD
	s_andn2_b64 s[4:5], s[4:5], exec
	s_and_b64 s[8:9], s[8:9], exec
	s_or_b64 s[4:5], s[4:5], s[8:9]
	s_or_b64 exec, exec, s[6:7]
	s_and_saveexec_b64 s[6:7], s[4:5]
	s_cbranch_execnz .LBB42_1371
	s_branch .LBB42_1372
.LBB42_3421:
	s_movk_i32 s4, 0x80
	v_cmp_eq_u16_sdwa s[12:13], v12, s4 src0_sel:BYTE_3 src1_sel:DWORD
	s_mov_b64 s[4:5], -1
                                        ; implicit-def: $sgpr10
	s_and_saveexec_b64 s[8:9], s[12:13]
; %bb.3422:
	s_mov_b32 s10, 0x7f800001
	s_xor_b64 s[4:5], exec, -1
; %bb.3423:
	s_or_b64 exec, exec, s[8:9]
	s_and_b64 s[4:5], s[4:5], exec
	s_or_saveexec_b64 s[6:7], s[6:7]
	v_mov_b32_e32 v11, s10
	s_xor_b64 exec, exec, s[6:7]
	s_cbranch_execz .LBB42_1374
.LBB42_3424:
	v_mov_b32_e32 v11, 0
	v_cmp_ne_u16_sdwa s[8:9], v12, v11 src0_sel:BYTE_3 src1_sel:DWORD
	s_andn2_b64 s[4:5], s[4:5], exec
	s_and_b64 s[8:9], s[8:9], exec
	s_or_b64 s[4:5], s[4:5], s[8:9]
	s_or_b64 exec, exec, s[6:7]
	s_and_saveexec_b64 s[6:7], s[4:5]
	s_cbranch_execnz .LBB42_1375
	s_branch .LBB42_1376
.LBB42_3425:
	s_movk_i32 s4, 0x80
	v_cmp_eq_u16_sdwa s[12:13], v17, s4 src0_sel:BYTE_0 src1_sel:DWORD
	s_mov_b64 s[4:5], -1
                                        ; implicit-def: $sgpr10
	s_and_saveexec_b64 s[8:9], s[12:13]
; %bb.3426:
	s_mov_b32 s10, 0x7f800001
	s_xor_b64 s[4:5], exec, -1
; %bb.3427:
	s_or_b64 exec, exec, s[8:9]
	s_and_b64 s[4:5], s[4:5], exec
	s_or_saveexec_b64 s[6:7], s[6:7]
	v_mov_b32_e32 v10, s10
	s_xor_b64 exec, exec, s[6:7]
	s_cbranch_execz .LBB42_1378
.LBB42_3428:
	v_mov_b32_e32 v10, 0
	v_cmp_ne_u16_sdwa s[8:9], v17, v10 src0_sel:BYTE_0 src1_sel:DWORD
	s_andn2_b64 s[4:5], s[4:5], exec
	s_and_b64 s[8:9], s[8:9], exec
	s_or_b64 s[4:5], s[4:5], s[8:9]
	s_or_b64 exec, exec, s[6:7]
	s_and_saveexec_b64 s[6:7], s[4:5]
	s_cbranch_execnz .LBB42_1379
	s_branch .LBB42_1380
.LBB42_3429:
	s_movk_i32 s4, 0x80
	v_cmp_eq_u16_sdwa s[12:13], v13, s4 src0_sel:BYTE_0 src1_sel:DWORD
	s_mov_b64 s[4:5], -1
                                        ; implicit-def: $sgpr10
	s_and_saveexec_b64 s[8:9], s[12:13]
; %bb.3430:
	s_mov_b32 s10, 0x7f800001
	s_xor_b64 s[4:5], exec, -1
; %bb.3431:
	s_or_b64 exec, exec, s[8:9]
	s_and_b64 s[4:5], s[4:5], exec
	s_or_saveexec_b64 s[6:7], s[6:7]
	v_mov_b32_e32 v11, s10
	s_xor_b64 exec, exec, s[6:7]
	s_cbranch_execz .LBB42_1382
.LBB42_3432:
	v_mov_b32_e32 v11, 0
	v_cmp_ne_u16_sdwa s[8:9], v13, v11 src0_sel:BYTE_0 src1_sel:DWORD
	s_andn2_b64 s[4:5], s[4:5], exec
	s_and_b64 s[8:9], s[8:9], exec
	s_or_b64 s[4:5], s[4:5], s[8:9]
	s_or_b64 exec, exec, s[6:7]
	s_and_saveexec_b64 s[6:7], s[4:5]
	s_cbranch_execnz .LBB42_1383
	s_branch .LBB42_1384
.LBB42_3433:
	s_movk_i32 s4, 0x80
	v_cmp_eq_u16_sdwa s[12:13], v11, s4 src0_sel:BYTE_0 src1_sel:DWORD
	s_mov_b64 s[4:5], -1
                                        ; implicit-def: $sgpr10
	s_and_saveexec_b64 s[8:9], s[12:13]
; %bb.3434:
	s_mov_b32 s10, 0x7f800001
	s_xor_b64 s[4:5], exec, -1
; %bb.3435:
	s_or_b64 exec, exec, s[8:9]
	s_and_b64 s[4:5], s[4:5], exec
	s_or_saveexec_b64 s[6:7], s[6:7]
	v_mov_b32_e32 v10, s10
	s_xor_b64 exec, exec, s[6:7]
	s_cbranch_execz .LBB42_1386
.LBB42_3436:
	v_mov_b32_e32 v10, 0
	v_cmp_ne_u16_sdwa s[8:9], v11, v10 src0_sel:BYTE_0 src1_sel:DWORD
	s_andn2_b64 s[4:5], s[4:5], exec
	s_and_b64 s[8:9], s[8:9], exec
	s_or_b64 s[4:5], s[4:5], s[8:9]
	s_or_b64 exec, exec, s[6:7]
	s_and_saveexec_b64 s[6:7], s[4:5]
	s_cbranch_execnz .LBB42_1387
	s_branch .LBB42_1388
.LBB42_3437:
	s_movk_i32 s4, 0x80
	v_cmp_eq_u16_sdwa s[12:13], v11, s4 src0_sel:BYTE_0 src1_sel:DWORD
	s_mov_b64 s[4:5], -1
                                        ; implicit-def: $sgpr10
	s_and_saveexec_b64 s[8:9], s[12:13]
; %bb.3438:
	s_mov_b32 s10, 0x7f800001
	s_xor_b64 s[4:5], exec, -1
; %bb.3439:
	s_or_b64 exec, exec, s[8:9]
	s_and_b64 s[4:5], s[4:5], exec
	s_or_saveexec_b64 s[6:7], s[6:7]
	v_mov_b32_e32 v12, s10
	s_xor_b64 exec, exec, s[6:7]
	s_cbranch_execz .LBB42_1390
.LBB42_3440:
	v_mov_b32_e32 v12, 0
	v_cmp_ne_u16_sdwa s[8:9], v11, v12 src0_sel:BYTE_0 src1_sel:DWORD
	s_andn2_b64 s[4:5], s[4:5], exec
	s_and_b64 s[8:9], s[8:9], exec
	s_or_b64 s[4:5], s[4:5], s[8:9]
	s_or_b64 exec, exec, s[6:7]
	s_and_saveexec_b64 s[6:7], s[4:5]
	s_cbranch_execnz .LBB42_1391
	s_branch .LBB42_1392
.LBB42_3441:
	s_movk_i32 s4, 0x80
	v_cmp_eq_u16_e32 vcc, s4, v11
	s_mov_b64 s[4:5], -1
                                        ; implicit-def: $sgpr10
	s_and_saveexec_b64 s[8:9], vcc
; %bb.3442:
	s_mov_b32 s10, 0x7f800001
	s_xor_b64 s[4:5], exec, -1
; %bb.3443:
	s_or_b64 exec, exec, s[8:9]
	s_and_b64 s[4:5], s[4:5], exec
                                        ; implicit-def: $vgpr11
	s_or_saveexec_b64 s[6:7], s[6:7]
	v_mov_b32_e32 v10, s10
	s_xor_b64 exec, exec, s[6:7]
	s_cbranch_execz .LBB42_1394
.LBB42_3444:
	v_cmp_ne_u16_e32 vcc, 0, v11
	s_andn2_b64 s[4:5], s[4:5], exec
	s_and_b64 s[8:9], vcc, exec
	v_mov_b32_e32 v10, 0
	s_or_b64 s[4:5], s[4:5], s[8:9]
	s_or_b64 exec, exec, s[6:7]
	s_and_saveexec_b64 s[6:7], s[4:5]
	s_cbranch_execnz .LBB42_1395
	s_branch .LBB42_1396
.LBB42_3445:
	s_movk_i32 s4, 0x80
	v_cmp_eq_u16_e32 vcc, s4, v11
	s_mov_b64 s[4:5], -1
                                        ; implicit-def: $sgpr10
	s_and_saveexec_b64 s[8:9], vcc
; %bb.3446:
	s_mov_b32 s10, 0x7f800001
	s_xor_b64 s[4:5], exec, -1
; %bb.3447:
	s_or_b64 exec, exec, s[8:9]
	s_and_b64 s[4:5], s[4:5], exec
                                        ; implicit-def: $vgpr11
	s_or_saveexec_b64 s[6:7], s[6:7]
	v_mov_b32_e32 v12, s10
	s_xor_b64 exec, exec, s[6:7]
	s_cbranch_execz .LBB42_1398
.LBB42_3448:
	v_cmp_ne_u16_e32 vcc, 0, v11
	s_andn2_b64 s[4:5], s[4:5], exec
	s_and_b64 s[8:9], vcc, exec
	v_mov_b32_e32 v12, 0
	s_or_b64 s[4:5], s[4:5], s[8:9]
	s_or_b64 exec, exec, s[6:7]
	s_and_saveexec_b64 s[6:7], s[4:5]
	s_cbranch_execnz .LBB42_1399
	s_branch .LBB42_1400
.LBB42_3449:
	s_movk_i32 s4, 0x80
	v_cmp_eq_u16_sdwa s[12:13], v17, s4 src0_sel:BYTE_3 src1_sel:DWORD
	s_mov_b64 s[4:5], -1
                                        ; implicit-def: $sgpr10
	s_and_saveexec_b64 s[8:9], s[12:13]
; %bb.3450:
	s_mov_b32 s10, 0x7f800001
	s_xor_b64 s[4:5], exec, -1
; %bb.3451:
	s_or_b64 exec, exec, s[8:9]
	s_and_b64 s[4:5], s[4:5], exec
	s_or_saveexec_b64 s[6:7], s[6:7]
	v_mov_b32_e32 v10, s10
	s_xor_b64 exec, exec, s[6:7]
	s_cbranch_execz .LBB42_1402
.LBB42_3452:
	v_mov_b32_e32 v10, 0
	v_cmp_ne_u16_sdwa s[8:9], v17, v10 src0_sel:BYTE_3 src1_sel:DWORD
	s_andn2_b64 s[4:5], s[4:5], exec
	s_and_b64 s[8:9], s[8:9], exec
	s_or_b64 s[4:5], s[4:5], s[8:9]
	s_or_b64 exec, exec, s[6:7]
	s_and_saveexec_b64 s[6:7], s[4:5]
	s_cbranch_execnz .LBB42_1403
	s_branch .LBB42_1404
.LBB42_3453:
	s_movk_i32 s4, 0x80
	v_cmp_eq_u16_sdwa s[12:13], v13, s4 src0_sel:BYTE_3 src1_sel:DWORD
	s_mov_b64 s[4:5], -1
                                        ; implicit-def: $sgpr10
	s_and_saveexec_b64 s[8:9], s[12:13]
; %bb.3454:
	s_mov_b32 s10, 0x7f800001
	s_xor_b64 s[4:5], exec, -1
; %bb.3455:
	s_or_b64 exec, exec, s[8:9]
	s_and_b64 s[4:5], s[4:5], exec
	s_or_saveexec_b64 s[6:7], s[6:7]
	v_mov_b32_e32 v11, s10
	s_xor_b64 exec, exec, s[6:7]
	s_cbranch_execz .LBB42_1406
.LBB42_3456:
	v_mov_b32_e32 v11, 0
	v_cmp_ne_u16_sdwa s[8:9], v13, v11 src0_sel:BYTE_3 src1_sel:DWORD
	s_andn2_b64 s[4:5], s[4:5], exec
	s_and_b64 s[8:9], s[8:9], exec
	s_or_b64 s[4:5], s[4:5], s[8:9]
	s_or_b64 exec, exec, s[6:7]
	s_and_saveexec_b64 s[6:7], s[4:5]
	s_cbranch_execnz .LBB42_1407
	s_branch .LBB42_1408
.LBB42_3457:
	s_movk_i32 s4, 0x80
	v_cmp_eq_u16_sdwa s[12:13], v6, s4 src0_sel:BYTE_0 src1_sel:DWORD
	s_mov_b64 s[4:5], -1
                                        ; implicit-def: $sgpr10
	s_and_saveexec_b64 s[8:9], s[12:13]
; %bb.3458:
	s_mov_b32 s10, 0x7f800001
	s_xor_b64 s[4:5], exec, -1
; %bb.3459:
	s_or_b64 exec, exec, s[8:9]
	s_and_b64 s[4:5], s[4:5], exec
	s_or_saveexec_b64 s[6:7], s[6:7]
	v_mov_b32_e32 v10, s10
	s_xor_b64 exec, exec, s[6:7]
	s_cbranch_execz .LBB42_1410
.LBB42_3460:
	v_mov_b32_e32 v10, 0
	v_cmp_ne_u16_sdwa s[8:9], v6, v10 src0_sel:BYTE_0 src1_sel:DWORD
	s_andn2_b64 s[4:5], s[4:5], exec
	s_and_b64 s[8:9], s[8:9], exec
	s_or_b64 s[4:5], s[4:5], s[8:9]
	s_or_b64 exec, exec, s[6:7]
	s_and_saveexec_b64 s[6:7], s[4:5]
	s_cbranch_execnz .LBB42_1411
	s_branch .LBB42_1412
.LBB42_3461:
	s_movk_i32 s4, 0x80
	v_cmp_eq_u16_sdwa s[12:13], v2, s4 src0_sel:BYTE_0 src1_sel:DWORD
	s_mov_b64 s[4:5], -1
                                        ; implicit-def: $sgpr10
	s_and_saveexec_b64 s[8:9], s[12:13]
; %bb.3462:
	s_mov_b32 s10, 0x7f800001
	s_xor_b64 s[4:5], exec, -1
; %bb.3463:
	s_or_b64 exec, exec, s[8:9]
	s_and_b64 s[4:5], s[4:5], exec
	s_or_saveexec_b64 s[6:7], s[6:7]
	v_mov_b32_e32 v11, s10
	s_xor_b64 exec, exec, s[6:7]
	s_cbranch_execz .LBB42_1414
.LBB42_3464:
	v_mov_b32_e32 v11, 0
	v_cmp_ne_u16_sdwa s[8:9], v2, v11 src0_sel:BYTE_0 src1_sel:DWORD
	s_andn2_b64 s[4:5], s[4:5], exec
	s_and_b64 s[8:9], s[8:9], exec
	s_or_b64 s[4:5], s[4:5], s[8:9]
	s_or_b64 exec, exec, s[6:7]
	s_and_saveexec_b64 s[6:7], s[4:5]
	s_cbranch_execnz .LBB42_1415
	s_branch .LBB42_1416
.LBB42_3465:
	s_movk_i32 s4, 0x80
	v_cmp_eq_u16_sdwa s[12:13], v11, s4 src0_sel:BYTE_0 src1_sel:DWORD
	s_mov_b64 s[4:5], -1
                                        ; implicit-def: $sgpr10
	s_and_saveexec_b64 s[8:9], s[12:13]
; %bb.3466:
	s_mov_b32 s10, 0x7f800001
	s_xor_b64 s[4:5], exec, -1
; %bb.3467:
	s_or_b64 exec, exec, s[8:9]
	s_and_b64 s[4:5], s[4:5], exec
	s_or_saveexec_b64 s[6:7], s[6:7]
	v_mov_b32_e32 v10, s10
	s_xor_b64 exec, exec, s[6:7]
	s_cbranch_execz .LBB42_1418
.LBB42_3468:
	v_mov_b32_e32 v10, 0
	v_cmp_ne_u16_sdwa s[8:9], v11, v10 src0_sel:BYTE_0 src1_sel:DWORD
	s_andn2_b64 s[4:5], s[4:5], exec
	s_and_b64 s[8:9], s[8:9], exec
	s_or_b64 s[4:5], s[4:5], s[8:9]
	s_or_b64 exec, exec, s[6:7]
	s_and_saveexec_b64 s[6:7], s[4:5]
	s_cbranch_execnz .LBB42_1419
	s_branch .LBB42_1420
.LBB42_3469:
	s_movk_i32 s4, 0x80
	v_cmp_eq_u16_sdwa s[12:13], v11, s4 src0_sel:BYTE_0 src1_sel:DWORD
	s_mov_b64 s[4:5], -1
                                        ; implicit-def: $sgpr10
	s_and_saveexec_b64 s[8:9], s[12:13]
; %bb.3470:
	s_mov_b32 s10, 0x7f800001
	s_xor_b64 s[4:5], exec, -1
; %bb.3471:
	s_or_b64 exec, exec, s[8:9]
	s_and_b64 s[4:5], s[4:5], exec
	s_or_saveexec_b64 s[6:7], s[6:7]
	v_mov_b32_e32 v12, s10
	s_xor_b64 exec, exec, s[6:7]
	s_cbranch_execz .LBB42_1422
.LBB42_3472:
	v_mov_b32_e32 v12, 0
	v_cmp_ne_u16_sdwa s[8:9], v11, v12 src0_sel:BYTE_0 src1_sel:DWORD
	s_andn2_b64 s[4:5], s[4:5], exec
	s_and_b64 s[8:9], s[8:9], exec
	s_or_b64 s[4:5], s[4:5], s[8:9]
	s_or_b64 exec, exec, s[6:7]
	s_and_saveexec_b64 s[6:7], s[4:5]
	s_cbranch_execnz .LBB42_1423
	s_branch .LBB42_1424
.LBB42_3473:
	s_movk_i32 s4, 0x80
	v_cmp_eq_u16_e32 vcc, s4, v11
	s_mov_b64 s[4:5], -1
                                        ; implicit-def: $sgpr10
	s_and_saveexec_b64 s[8:9], vcc
; %bb.3474:
	s_mov_b32 s10, 0x7f800001
	s_xor_b64 s[4:5], exec, -1
; %bb.3475:
	s_or_b64 exec, exec, s[8:9]
	s_and_b64 s[4:5], s[4:5], exec
                                        ; implicit-def: $vgpr11
	s_or_saveexec_b64 s[6:7], s[6:7]
	v_mov_b32_e32 v10, s10
	s_xor_b64 exec, exec, s[6:7]
	s_cbranch_execz .LBB42_1426
.LBB42_3476:
	v_cmp_ne_u16_e32 vcc, 0, v11
	s_andn2_b64 s[4:5], s[4:5], exec
	s_and_b64 s[8:9], vcc, exec
	v_mov_b32_e32 v10, 0
	s_or_b64 s[4:5], s[4:5], s[8:9]
	s_or_b64 exec, exec, s[6:7]
	s_and_saveexec_b64 s[6:7], s[4:5]
	s_cbranch_execnz .LBB42_1427
	s_branch .LBB42_1428
.LBB42_3477:
	s_movk_i32 s4, 0x80
	v_cmp_eq_u16_e32 vcc, s4, v11
	s_mov_b64 s[4:5], -1
                                        ; implicit-def: $sgpr10
	s_and_saveexec_b64 s[8:9], vcc
; %bb.3478:
	s_mov_b32 s10, 0x7f800001
	s_xor_b64 s[4:5], exec, -1
; %bb.3479:
	s_or_b64 exec, exec, s[8:9]
	s_and_b64 s[4:5], s[4:5], exec
                                        ; implicit-def: $vgpr11
	s_or_saveexec_b64 s[6:7], s[6:7]
	v_mov_b32_e32 v12, s10
	s_xor_b64 exec, exec, s[6:7]
	s_cbranch_execz .LBB42_1430
.LBB42_3480:
	v_cmp_ne_u16_e32 vcc, 0, v11
	s_andn2_b64 s[4:5], s[4:5], exec
	s_and_b64 s[8:9], vcc, exec
	v_mov_b32_e32 v12, 0
	s_or_b64 s[4:5], s[4:5], s[8:9]
	s_or_b64 exec, exec, s[6:7]
	s_and_saveexec_b64 s[6:7], s[4:5]
	s_cbranch_execnz .LBB42_1431
	s_branch .LBB42_1432
.LBB42_3481:
	s_movk_i32 s4, 0x80
	v_cmp_eq_u16_sdwa s[12:13], v6, s4 src0_sel:BYTE_3 src1_sel:DWORD
	s_mov_b64 s[4:5], -1
                                        ; implicit-def: $sgpr10
	s_and_saveexec_b64 s[8:9], s[12:13]
; %bb.3482:
	s_mov_b32 s10, 0x7f800001
	s_xor_b64 s[4:5], exec, -1
; %bb.3483:
	s_or_b64 exec, exec, s[8:9]
	s_and_b64 s[4:5], s[4:5], exec
	s_or_saveexec_b64 s[6:7], s[6:7]
	v_mov_b32_e32 v10, s10
	s_xor_b64 exec, exec, s[6:7]
	s_cbranch_execz .LBB42_1434
.LBB42_3484:
	v_mov_b32_e32 v10, 0
	v_cmp_ne_u16_sdwa s[8:9], v6, v10 src0_sel:BYTE_3 src1_sel:DWORD
	s_andn2_b64 s[4:5], s[4:5], exec
	s_and_b64 s[8:9], s[8:9], exec
	s_or_b64 s[4:5], s[4:5], s[8:9]
	s_or_b64 exec, exec, s[6:7]
	s_and_saveexec_b64 s[6:7], s[4:5]
	s_cbranch_execnz .LBB42_1435
	s_branch .LBB42_1436
.LBB42_3485:
	s_movk_i32 s4, 0x80
	v_cmp_eq_u16_sdwa s[12:13], v2, s4 src0_sel:BYTE_3 src1_sel:DWORD
	s_mov_b64 s[4:5], -1
                                        ; implicit-def: $sgpr10
	s_and_saveexec_b64 s[8:9], s[12:13]
; %bb.3486:
	s_mov_b32 s10, 0x7f800001
	s_xor_b64 s[4:5], exec, -1
; %bb.3487:
	s_or_b64 exec, exec, s[8:9]
	s_and_b64 s[4:5], s[4:5], exec
	s_or_saveexec_b64 s[6:7], s[6:7]
	v_mov_b32_e32 v6, s10
	s_xor_b64 exec, exec, s[6:7]
	s_cbranch_execz .LBB42_1438
.LBB42_3488:
	v_mov_b32_e32 v6, 0
	v_cmp_ne_u16_sdwa s[8:9], v2, v6 src0_sel:BYTE_3 src1_sel:DWORD
	s_andn2_b64 s[4:5], s[4:5], exec
	s_and_b64 s[8:9], s[8:9], exec
	s_or_b64 s[4:5], s[4:5], s[8:9]
	s_or_b64 exec, exec, s[6:7]
	s_and_saveexec_b64 s[6:7], s[4:5]
	s_cbranch_execnz .LBB42_1439
	s_branch .LBB42_1440
.LBB42_3489:
	s_movk_i32 s4, 0x80
	v_cmp_eq_u16_sdwa s[12:13], v7, s4 src0_sel:BYTE_0 src1_sel:DWORD
	s_mov_b64 s[4:5], -1
                                        ; implicit-def: $sgpr10
	s_and_saveexec_b64 s[8:9], s[12:13]
; %bb.3490:
	s_mov_b32 s10, 0x7f800001
	s_xor_b64 s[4:5], exec, -1
; %bb.3491:
	s_or_b64 exec, exec, s[8:9]
	s_and_b64 s[4:5], s[4:5], exec
	s_or_saveexec_b64 s[6:7], s[6:7]
	v_mov_b32_e32 v2, s10
	s_xor_b64 exec, exec, s[6:7]
	s_cbranch_execz .LBB42_1442
.LBB42_3492:
	v_mov_b32_e32 v2, 0
	v_cmp_ne_u16_sdwa s[8:9], v7, v2 src0_sel:BYTE_0 src1_sel:DWORD
	s_andn2_b64 s[4:5], s[4:5], exec
	s_and_b64 s[8:9], s[8:9], exec
	s_or_b64 s[4:5], s[4:5], s[8:9]
	s_or_b64 exec, exec, s[6:7]
	s_and_saveexec_b64 s[6:7], s[4:5]
	s_cbranch_execnz .LBB42_1443
	s_branch .LBB42_1444
.LBB42_3493:
	s_movk_i32 s4, 0x80
	v_cmp_eq_u16_sdwa s[12:13], v3, s4 src0_sel:BYTE_0 src1_sel:DWORD
	s_mov_b64 s[4:5], -1
                                        ; implicit-def: $sgpr10
	s_and_saveexec_b64 s[8:9], s[12:13]
; %bb.3494:
	s_mov_b32 s10, 0x7f800001
	s_xor_b64 s[4:5], exec, -1
; %bb.3495:
	s_or_b64 exec, exec, s[8:9]
	s_and_b64 s[4:5], s[4:5], exec
	s_or_saveexec_b64 s[6:7], s[6:7]
	v_mov_b32_e32 v6, s10
	s_xor_b64 exec, exec, s[6:7]
	s_cbranch_execz .LBB42_1446
.LBB42_3496:
	v_mov_b32_e32 v6, 0
	v_cmp_ne_u16_sdwa s[8:9], v3, v6 src0_sel:BYTE_0 src1_sel:DWORD
	s_andn2_b64 s[4:5], s[4:5], exec
	s_and_b64 s[8:9], s[8:9], exec
	s_or_b64 s[4:5], s[4:5], s[8:9]
	s_or_b64 exec, exec, s[6:7]
	s_and_saveexec_b64 s[6:7], s[4:5]
	s_cbranch_execnz .LBB42_1447
	s_branch .LBB42_1448
.LBB42_3497:
	s_movk_i32 s4, 0x80
	v_cmp_eq_u16_sdwa s[12:13], v6, s4 src0_sel:BYTE_0 src1_sel:DWORD
	s_mov_b64 s[4:5], -1
                                        ; implicit-def: $sgpr10
	s_and_saveexec_b64 s[8:9], s[12:13]
; %bb.3498:
	s_mov_b32 s10, 0x7f800001
	s_xor_b64 s[4:5], exec, -1
; %bb.3499:
	s_or_b64 exec, exec, s[8:9]
	s_and_b64 s[4:5], s[4:5], exec
	s_or_saveexec_b64 s[6:7], s[6:7]
	v_mov_b32_e32 v2, s10
	s_xor_b64 exec, exec, s[6:7]
	s_cbranch_execz .LBB42_1450
.LBB42_3500:
	v_mov_b32_e32 v2, 0
	v_cmp_ne_u16_sdwa s[8:9], v6, v2 src0_sel:BYTE_0 src1_sel:DWORD
	s_andn2_b64 s[4:5], s[4:5], exec
	s_and_b64 s[8:9], s[8:9], exec
	s_or_b64 s[4:5], s[4:5], s[8:9]
	s_or_b64 exec, exec, s[6:7]
	s_and_saveexec_b64 s[6:7], s[4:5]
	s_cbranch_execnz .LBB42_1451
	s_branch .LBB42_1452
.LBB42_3501:
	s_movk_i32 s4, 0x80
	v_cmp_eq_u16_sdwa s[12:13], v6, s4 src0_sel:BYTE_0 src1_sel:DWORD
	s_mov_b64 s[4:5], -1
                                        ; implicit-def: $sgpr10
	s_and_saveexec_b64 s[8:9], s[12:13]
; %bb.3502:
	s_mov_b32 s10, 0x7f800001
	s_xor_b64 s[4:5], exec, -1
; %bb.3503:
	s_or_b64 exec, exec, s[8:9]
	s_and_b64 s[4:5], s[4:5], exec
	s_or_saveexec_b64 s[6:7], s[6:7]
	v_mov_b32_e32 v10, s10
	s_xor_b64 exec, exec, s[6:7]
	s_cbranch_execz .LBB42_1454
.LBB42_3504:
	v_mov_b32_e32 v10, 0
	v_cmp_ne_u16_sdwa s[8:9], v6, v10 src0_sel:BYTE_0 src1_sel:DWORD
	s_andn2_b64 s[4:5], s[4:5], exec
	s_and_b64 s[8:9], s[8:9], exec
	s_or_b64 s[4:5], s[4:5], s[8:9]
	s_or_b64 exec, exec, s[6:7]
	s_and_saveexec_b64 s[6:7], s[4:5]
	s_cbranch_execnz .LBB42_1455
	s_branch .LBB42_1456
.LBB42_3505:
	s_movk_i32 s4, 0x80
	v_cmp_eq_u16_e32 vcc, s4, v6
	s_mov_b64 s[4:5], -1
                                        ; implicit-def: $sgpr10
	s_and_saveexec_b64 s[8:9], vcc
; %bb.3506:
	s_mov_b32 s10, 0x7f800001
	s_xor_b64 s[4:5], exec, -1
; %bb.3507:
	s_or_b64 exec, exec, s[8:9]
	s_and_b64 s[4:5], s[4:5], exec
                                        ; implicit-def: $vgpr6
	s_or_saveexec_b64 s[6:7], s[6:7]
	v_mov_b32_e32 v2, s10
	s_xor_b64 exec, exec, s[6:7]
	s_cbranch_execz .LBB42_1458
.LBB42_3508:
	v_cmp_ne_u16_e32 vcc, 0, v6
	s_andn2_b64 s[4:5], s[4:5], exec
	s_and_b64 s[8:9], vcc, exec
	v_mov_b32_e32 v2, 0
	s_or_b64 s[4:5], s[4:5], s[8:9]
	s_or_b64 exec, exec, s[6:7]
	s_and_saveexec_b64 s[6:7], s[4:5]
	s_cbranch_execnz .LBB42_1459
	s_branch .LBB42_1460
.LBB42_3509:
	s_movk_i32 s4, 0x80
	v_cmp_eq_u16_e32 vcc, s4, v6
	s_mov_b64 s[4:5], -1
                                        ; implicit-def: $sgpr10
	s_and_saveexec_b64 s[8:9], vcc
; %bb.3510:
	s_mov_b32 s10, 0x7f800001
	s_xor_b64 s[4:5], exec, -1
; %bb.3511:
	s_or_b64 exec, exec, s[8:9]
	s_and_b64 s[4:5], s[4:5], exec
                                        ; implicit-def: $vgpr6
	s_or_saveexec_b64 s[6:7], s[6:7]
	v_mov_b32_e32 v10, s10
	s_xor_b64 exec, exec, s[6:7]
	s_cbranch_execz .LBB42_1462
.LBB42_3512:
	v_cmp_ne_u16_e32 vcc, 0, v6
	s_andn2_b64 s[4:5], s[4:5], exec
	s_and_b64 s[8:9], vcc, exec
	v_mov_b32_e32 v10, 0
	s_or_b64 s[4:5], s[4:5], s[8:9]
	s_or_b64 exec, exec, s[6:7]
	s_and_saveexec_b64 s[6:7], s[4:5]
	s_cbranch_execnz .LBB42_1463
	s_branch .LBB42_1464
.LBB42_3513:
	s_movk_i32 s4, 0x80
	v_cmp_eq_u16_sdwa s[12:13], v7, s4 src0_sel:BYTE_3 src1_sel:DWORD
	s_mov_b64 s[4:5], -1
                                        ; implicit-def: $sgpr10
	s_and_saveexec_b64 s[8:9], s[12:13]
; %bb.3514:
	s_mov_b32 s10, 0x7f800001
	s_xor_b64 s[4:5], exec, -1
; %bb.3515:
	s_or_b64 exec, exec, s[8:9]
	s_and_b64 s[4:5], s[4:5], exec
	s_or_saveexec_b64 s[6:7], s[6:7]
	v_mov_b32_e32 v2, s10
	s_xor_b64 exec, exec, s[6:7]
	s_cbranch_execz .LBB42_1466
.LBB42_3516:
	v_mov_b32_e32 v2, 0
	v_cmp_ne_u16_sdwa s[8:9], v7, v2 src0_sel:BYTE_3 src1_sel:DWORD
	s_andn2_b64 s[4:5], s[4:5], exec
	s_and_b64 s[8:9], s[8:9], exec
	s_or_b64 s[4:5], s[4:5], s[8:9]
	s_or_b64 exec, exec, s[6:7]
	s_and_saveexec_b64 s[6:7], s[4:5]
	s_cbranch_execnz .LBB42_1467
	s_branch .LBB42_1468
.LBB42_3517:
	s_movk_i32 s4, 0x80
	v_cmp_eq_u16_sdwa s[12:13], v3, s4 src0_sel:BYTE_3 src1_sel:DWORD
	s_mov_b64 s[4:5], -1
                                        ; implicit-def: $sgpr10
	s_and_saveexec_b64 s[8:9], s[12:13]
; %bb.3518:
	s_mov_b32 s10, 0x7f800001
	s_xor_b64 s[4:5], exec, -1
; %bb.3519:
	s_or_b64 exec, exec, s[8:9]
	s_and_b64 s[4:5], s[4:5], exec
	s_or_saveexec_b64 s[6:7], s[6:7]
	v_mov_b32_e32 v6, s10
	s_xor_b64 exec, exec, s[6:7]
	s_cbranch_execz .LBB42_1470
.LBB42_3520:
	v_mov_b32_e32 v6, 0
	v_cmp_ne_u16_sdwa s[8:9], v3, v6 src0_sel:BYTE_3 src1_sel:DWORD
	s_andn2_b64 s[4:5], s[4:5], exec
	s_and_b64 s[8:9], s[8:9], exec
	s_or_b64 s[4:5], s[4:5], s[8:9]
	s_or_b64 exec, exec, s[6:7]
	s_and_saveexec_b64 s[6:7], s[4:5]
	s_cbranch_execnz .LBB42_1471
	s_branch .LBB42_1472
.LBB42_3521:
	s_movk_i32 s4, 0x80
	v_cmp_eq_u16_sdwa s[12:13], v8, s4 src0_sel:BYTE_0 src1_sel:DWORD
	s_mov_b64 s[4:5], -1
                                        ; implicit-def: $sgpr10
	s_and_saveexec_b64 s[8:9], s[12:13]
; %bb.3522:
	s_mov_b32 s10, 0x7f800001
	s_xor_b64 s[4:5], exec, -1
; %bb.3523:
	s_or_b64 exec, exec, s[8:9]
	s_and_b64 s[4:5], s[4:5], exec
	s_or_saveexec_b64 s[6:7], s[6:7]
	v_mov_b32_e32 v2, s10
	s_xor_b64 exec, exec, s[6:7]
	s_cbranch_execz .LBB42_1474
.LBB42_3524:
	v_mov_b32_e32 v2, 0
	v_cmp_ne_u16_sdwa s[8:9], v8, v2 src0_sel:BYTE_0 src1_sel:DWORD
	s_andn2_b64 s[4:5], s[4:5], exec
	s_and_b64 s[8:9], s[8:9], exec
	s_or_b64 s[4:5], s[4:5], s[8:9]
	s_or_b64 exec, exec, s[6:7]
	s_and_saveexec_b64 s[6:7], s[4:5]
	s_cbranch_execnz .LBB42_1475
	s_branch .LBB42_1476
.LBB42_3525:
	s_movk_i32 s4, 0x80
	v_cmp_eq_u16_sdwa s[12:13], v4, s4 src0_sel:BYTE_0 src1_sel:DWORD
	s_mov_b64 s[4:5], -1
                                        ; implicit-def: $sgpr10
	s_and_saveexec_b64 s[8:9], s[12:13]
; %bb.3526:
	s_mov_b32 s10, 0x7f800001
	s_xor_b64 s[4:5], exec, -1
; %bb.3527:
	s_or_b64 exec, exec, s[8:9]
	s_and_b64 s[4:5], s[4:5], exec
	s_or_saveexec_b64 s[6:7], s[6:7]
	v_mov_b32_e32 v3, s10
	s_xor_b64 exec, exec, s[6:7]
	s_cbranch_execz .LBB42_1478
.LBB42_3528:
	v_mov_b32_e32 v3, 0
	v_cmp_ne_u16_sdwa s[8:9], v4, v3 src0_sel:BYTE_0 src1_sel:DWORD
	s_andn2_b64 s[4:5], s[4:5], exec
	s_and_b64 s[8:9], s[8:9], exec
	s_or_b64 s[4:5], s[4:5], s[8:9]
	s_or_b64 exec, exec, s[6:7]
	s_and_saveexec_b64 s[6:7], s[4:5]
	s_cbranch_execnz .LBB42_1479
	s_branch .LBB42_1480
.LBB42_3529:
	s_movk_i32 s4, 0x80
	v_cmp_eq_u16_sdwa s[12:13], v3, s4 src0_sel:BYTE_0 src1_sel:DWORD
	s_mov_b64 s[4:5], -1
                                        ; implicit-def: $sgpr10
	s_and_saveexec_b64 s[8:9], s[12:13]
; %bb.3530:
	s_mov_b32 s10, 0x7f800001
	s_xor_b64 s[4:5], exec, -1
; %bb.3531:
	s_or_b64 exec, exec, s[8:9]
	s_and_b64 s[4:5], s[4:5], exec
	s_or_saveexec_b64 s[6:7], s[6:7]
	v_mov_b32_e32 v2, s10
	s_xor_b64 exec, exec, s[6:7]
	s_cbranch_execz .LBB42_1482
.LBB42_3532:
	v_mov_b32_e32 v2, 0
	v_cmp_ne_u16_sdwa s[8:9], v3, v2 src0_sel:BYTE_0 src1_sel:DWORD
	s_andn2_b64 s[4:5], s[4:5], exec
	s_and_b64 s[8:9], s[8:9], exec
	s_or_b64 s[4:5], s[4:5], s[8:9]
	s_or_b64 exec, exec, s[6:7]
	s_and_saveexec_b64 s[6:7], s[4:5]
	s_cbranch_execnz .LBB42_1483
	s_branch .LBB42_1484
.LBB42_3533:
	s_movk_i32 s4, 0x80
	v_cmp_eq_u16_sdwa s[12:13], v3, s4 src0_sel:BYTE_0 src1_sel:DWORD
	s_mov_b64 s[4:5], -1
                                        ; implicit-def: $sgpr10
	s_and_saveexec_b64 s[8:9], s[12:13]
; %bb.3534:
	s_mov_b32 s10, 0x7f800001
	s_xor_b64 s[4:5], exec, -1
; %bb.3535:
	s_or_b64 exec, exec, s[8:9]
	s_and_b64 s[4:5], s[4:5], exec
	s_or_saveexec_b64 s[6:7], s[6:7]
	v_mov_b32_e32 v6, s10
	s_xor_b64 exec, exec, s[6:7]
	s_cbranch_execz .LBB42_1486
.LBB42_3536:
	v_mov_b32_e32 v6, 0
	v_cmp_ne_u16_sdwa s[8:9], v3, v6 src0_sel:BYTE_0 src1_sel:DWORD
	s_andn2_b64 s[4:5], s[4:5], exec
	s_and_b64 s[8:9], s[8:9], exec
	s_or_b64 s[4:5], s[4:5], s[8:9]
	s_or_b64 exec, exec, s[6:7]
	s_and_saveexec_b64 s[6:7], s[4:5]
	s_cbranch_execnz .LBB42_1487
	s_branch .LBB42_1488
.LBB42_3537:
	s_movk_i32 s4, 0x80
	v_cmp_eq_u16_e32 vcc, s4, v3
	s_mov_b64 s[4:5], -1
                                        ; implicit-def: $sgpr10
	s_and_saveexec_b64 s[8:9], vcc
; %bb.3538:
	s_mov_b32 s10, 0x7f800001
	s_xor_b64 s[4:5], exec, -1
; %bb.3539:
	s_or_b64 exec, exec, s[8:9]
	s_and_b64 s[4:5], s[4:5], exec
                                        ; implicit-def: $vgpr3
	s_or_saveexec_b64 s[6:7], s[6:7]
	v_mov_b32_e32 v2, s10
	s_xor_b64 exec, exec, s[6:7]
	s_cbranch_execz .LBB42_1490
.LBB42_3540:
	v_cmp_ne_u16_e32 vcc, 0, v3
	s_andn2_b64 s[4:5], s[4:5], exec
	s_and_b64 s[8:9], vcc, exec
	v_mov_b32_e32 v2, 0
	s_or_b64 s[4:5], s[4:5], s[8:9]
	s_or_b64 exec, exec, s[6:7]
	s_and_saveexec_b64 s[6:7], s[4:5]
	s_cbranch_execnz .LBB42_1491
	s_branch .LBB42_1492
.LBB42_3541:
	s_movk_i32 s4, 0x80
	v_cmp_eq_u16_e32 vcc, s4, v3
	s_mov_b64 s[4:5], -1
                                        ; implicit-def: $sgpr10
	s_and_saveexec_b64 s[8:9], vcc
; %bb.3542:
	s_mov_b32 s10, 0x7f800001
	s_xor_b64 s[4:5], exec, -1
; %bb.3543:
	s_or_b64 exec, exec, s[8:9]
	s_and_b64 s[4:5], s[4:5], exec
                                        ; implicit-def: $vgpr3
	s_or_saveexec_b64 s[6:7], s[6:7]
	v_mov_b32_e32 v6, s10
	s_xor_b64 exec, exec, s[6:7]
	s_cbranch_execz .LBB42_1494
.LBB42_3544:
	v_cmp_ne_u16_e32 vcc, 0, v3
	s_andn2_b64 s[4:5], s[4:5], exec
	s_and_b64 s[8:9], vcc, exec
	v_mov_b32_e32 v6, 0
	s_or_b64 s[4:5], s[4:5], s[8:9]
	s_or_b64 exec, exec, s[6:7]
	s_and_saveexec_b64 s[6:7], s[4:5]
	s_cbranch_execnz .LBB42_1495
	s_branch .LBB42_1496
.LBB42_3545:
	s_movk_i32 s4, 0x80
	v_cmp_eq_u16_sdwa s[12:13], v8, s4 src0_sel:BYTE_3 src1_sel:DWORD
	s_mov_b64 s[4:5], -1
                                        ; implicit-def: $sgpr10
	s_and_saveexec_b64 s[8:9], s[12:13]
; %bb.3546:
	s_mov_b32 s10, 0x7f800001
	s_xor_b64 s[4:5], exec, -1
; %bb.3547:
	s_or_b64 exec, exec, s[8:9]
	s_and_b64 s[4:5], s[4:5], exec
	s_or_saveexec_b64 s[6:7], s[6:7]
	v_mov_b32_e32 v2, s10
	s_xor_b64 exec, exec, s[6:7]
	s_cbranch_execz .LBB42_1498
.LBB42_3548:
	v_mov_b32_e32 v2, 0
	v_cmp_ne_u16_sdwa s[8:9], v8, v2 src0_sel:BYTE_3 src1_sel:DWORD
	s_andn2_b64 s[4:5], s[4:5], exec
	s_and_b64 s[8:9], s[8:9], exec
	s_or_b64 s[4:5], s[4:5], s[8:9]
	s_or_b64 exec, exec, s[6:7]
	s_and_saveexec_b64 s[6:7], s[4:5]
	s_cbranch_execnz .LBB42_1499
	s_branch .LBB42_1500
.LBB42_3549:
	s_movk_i32 s4, 0x80
	v_cmp_eq_u16_sdwa s[12:13], v4, s4 src0_sel:BYTE_3 src1_sel:DWORD
	s_mov_b64 s[4:5], -1
                                        ; implicit-def: $sgpr10
	s_and_saveexec_b64 s[8:9], s[12:13]
; %bb.3550:
	s_mov_b32 s10, 0x7f800001
	s_xor_b64 s[4:5], exec, -1
; %bb.3551:
	s_or_b64 exec, exec, s[8:9]
	s_and_b64 s[4:5], s[4:5], exec
	s_or_saveexec_b64 s[6:7], s[6:7]
	v_mov_b32_e32 v3, s10
	s_xor_b64 exec, exec, s[6:7]
	s_cbranch_execz .LBB42_1502
.LBB42_3552:
	v_mov_b32_e32 v3, 0
	v_cmp_ne_u16_sdwa s[8:9], v4, v3 src0_sel:BYTE_3 src1_sel:DWORD
	s_andn2_b64 s[4:5], s[4:5], exec
	s_and_b64 s[8:9], s[8:9], exec
	s_or_b64 s[4:5], s[4:5], s[8:9]
	s_or_b64 exec, exec, s[6:7]
	s_and_saveexec_b64 s[6:7], s[4:5]
	s_cbranch_execnz .LBB42_1503
	s_branch .LBB42_1504
.LBB42_3553:
	s_movk_i32 s4, 0x80
	v_cmp_eq_u16_sdwa s[12:13], v9, s4 src0_sel:BYTE_0 src1_sel:DWORD
	s_mov_b64 s[4:5], -1
                                        ; implicit-def: $sgpr10
	s_and_saveexec_b64 s[8:9], s[12:13]
; %bb.3554:
	s_mov_b32 s10, 0x7f800001
	s_xor_b64 s[4:5], exec, -1
; %bb.3555:
	s_or_b64 exec, exec, s[8:9]
	s_and_b64 s[4:5], s[4:5], exec
	s_or_saveexec_b64 s[6:7], s[6:7]
	v_mov_b32_e32 v2, s10
	s_xor_b64 exec, exec, s[6:7]
	s_cbranch_execz .LBB42_1506
.LBB42_3556:
	v_mov_b32_e32 v2, 0
	v_cmp_ne_u16_sdwa s[8:9], v9, v2 src0_sel:BYTE_0 src1_sel:DWORD
	s_andn2_b64 s[4:5], s[4:5], exec
	s_and_b64 s[8:9], s[8:9], exec
	s_or_b64 s[4:5], s[4:5], s[8:9]
	s_or_b64 exec, exec, s[6:7]
	s_and_saveexec_b64 s[6:7], s[4:5]
	s_cbranch_execnz .LBB42_1507
	s_branch .LBB42_1508
.LBB42_3557:
	s_movk_i32 s4, 0x80
	v_cmp_eq_u16_sdwa s[12:13], v5, s4 src0_sel:BYTE_0 src1_sel:DWORD
	s_mov_b64 s[4:5], -1
                                        ; implicit-def: $sgpr10
	s_and_saveexec_b64 s[8:9], s[12:13]
; %bb.3558:
	s_mov_b32 s10, 0x7f800001
	s_xor_b64 s[4:5], exec, -1
; %bb.3559:
	s_or_b64 exec, exec, s[8:9]
	s_and_b64 s[4:5], s[4:5], exec
	s_or_saveexec_b64 s[6:7], s[6:7]
	v_mov_b32_e32 v3, s10
	s_xor_b64 exec, exec, s[6:7]
	s_cbranch_execz .LBB42_1510
.LBB42_3560:
	v_mov_b32_e32 v3, 0
	v_cmp_ne_u16_sdwa s[8:9], v5, v3 src0_sel:BYTE_0 src1_sel:DWORD
	s_andn2_b64 s[4:5], s[4:5], exec
	s_and_b64 s[8:9], s[8:9], exec
	s_or_b64 s[4:5], s[4:5], s[8:9]
	s_or_b64 exec, exec, s[6:7]
	s_and_saveexec_b64 s[6:7], s[4:5]
	s_cbranch_execnz .LBB42_1511
	s_branch .LBB42_1512
.LBB42_3561:
	s_movk_i32 s4, 0x80
	v_cmp_eq_u16_sdwa s[12:13], v3, s4 src0_sel:BYTE_0 src1_sel:DWORD
	s_mov_b64 s[4:5], -1
                                        ; implicit-def: $sgpr10
	s_and_saveexec_b64 s[8:9], s[12:13]
; %bb.3562:
	s_mov_b32 s10, 0x7f800001
	s_xor_b64 s[4:5], exec, -1
; %bb.3563:
	s_or_b64 exec, exec, s[8:9]
	s_and_b64 s[4:5], s[4:5], exec
	s_or_saveexec_b64 s[6:7], s[6:7]
	v_mov_b32_e32 v2, s10
	s_xor_b64 exec, exec, s[6:7]
	s_cbranch_execz .LBB42_1514
.LBB42_3564:
	v_mov_b32_e32 v2, 0
	v_cmp_ne_u16_sdwa s[8:9], v3, v2 src0_sel:BYTE_0 src1_sel:DWORD
	s_andn2_b64 s[4:5], s[4:5], exec
	s_and_b64 s[8:9], s[8:9], exec
	s_or_b64 s[4:5], s[4:5], s[8:9]
	s_or_b64 exec, exec, s[6:7]
	s_and_saveexec_b64 s[6:7], s[4:5]
	s_cbranch_execnz .LBB42_1515
	s_branch .LBB42_1516
.LBB42_3565:
	s_movk_i32 s4, 0x80
	v_cmp_eq_u16_sdwa s[12:13], v3, s4 src0_sel:BYTE_0 src1_sel:DWORD
	s_mov_b64 s[4:5], -1
                                        ; implicit-def: $sgpr10
	s_and_saveexec_b64 s[8:9], s[12:13]
; %bb.3566:
	s_mov_b32 s10, 0x7f800001
	s_xor_b64 s[4:5], exec, -1
; %bb.3567:
	s_or_b64 exec, exec, s[8:9]
	s_and_b64 s[4:5], s[4:5], exec
	s_or_saveexec_b64 s[6:7], s[6:7]
	v_mov_b32_e32 v4, s10
	s_xor_b64 exec, exec, s[6:7]
	s_cbranch_execz .LBB42_1518
.LBB42_3568:
	v_mov_b32_e32 v4, 0
	v_cmp_ne_u16_sdwa s[8:9], v3, v4 src0_sel:BYTE_0 src1_sel:DWORD
	s_andn2_b64 s[4:5], s[4:5], exec
	s_and_b64 s[8:9], s[8:9], exec
	s_or_b64 s[4:5], s[4:5], s[8:9]
	s_or_b64 exec, exec, s[6:7]
	s_and_saveexec_b64 s[6:7], s[4:5]
	s_cbranch_execnz .LBB42_1519
	s_branch .LBB42_1520
.LBB42_3569:
	s_movk_i32 s4, 0x80
	v_cmp_eq_u16_e32 vcc, s4, v3
	s_mov_b64 s[4:5], -1
                                        ; implicit-def: $sgpr10
	s_and_saveexec_b64 s[8:9], vcc
; %bb.3570:
	s_mov_b32 s10, 0x7f800001
	s_xor_b64 s[4:5], exec, -1
; %bb.3571:
	s_or_b64 exec, exec, s[8:9]
	s_and_b64 s[4:5], s[4:5], exec
                                        ; implicit-def: $vgpr3
	s_or_saveexec_b64 s[6:7], s[6:7]
	v_mov_b32_e32 v2, s10
	s_xor_b64 exec, exec, s[6:7]
	s_cbranch_execz .LBB42_1522
.LBB42_3572:
	v_cmp_ne_u16_e32 vcc, 0, v3
	s_andn2_b64 s[4:5], s[4:5], exec
	s_and_b64 s[8:9], vcc, exec
	v_mov_b32_e32 v2, 0
	s_or_b64 s[4:5], s[4:5], s[8:9]
	s_or_b64 exec, exec, s[6:7]
	s_and_saveexec_b64 s[6:7], s[4:5]
	s_cbranch_execnz .LBB42_1523
	s_branch .LBB42_1524
.LBB42_3573:
	s_movk_i32 s4, 0x80
	v_cmp_eq_u16_e32 vcc, s4, v3
	s_mov_b64 s[4:5], -1
                                        ; implicit-def: $sgpr10
	s_and_saveexec_b64 s[8:9], vcc
; %bb.3574:
	s_mov_b32 s10, 0x7f800001
	s_xor_b64 s[4:5], exec, -1
; %bb.3575:
	s_or_b64 exec, exec, s[8:9]
	s_and_b64 s[4:5], s[4:5], exec
                                        ; implicit-def: $vgpr3
	s_or_saveexec_b64 s[6:7], s[6:7]
	v_mov_b32_e32 v4, s10
	s_xor_b64 exec, exec, s[6:7]
	s_cbranch_execz .LBB42_1526
.LBB42_3576:
	v_cmp_ne_u16_e32 vcc, 0, v3
	s_andn2_b64 s[4:5], s[4:5], exec
	s_and_b64 s[8:9], vcc, exec
	v_mov_b32_e32 v4, 0
	s_or_b64 s[4:5], s[4:5], s[8:9]
	s_or_b64 exec, exec, s[6:7]
	s_and_saveexec_b64 s[6:7], s[4:5]
	s_cbranch_execnz .LBB42_1527
	s_branch .LBB42_1528
.LBB42_3577:
	s_movk_i32 s4, 0x80
	v_cmp_eq_u16_sdwa s[12:13], v9, s4 src0_sel:BYTE_3 src1_sel:DWORD
	s_mov_b64 s[4:5], -1
                                        ; implicit-def: $sgpr10
	s_and_saveexec_b64 s[8:9], s[12:13]
; %bb.3578:
	s_mov_b32 s10, 0x7f800001
	s_xor_b64 s[4:5], exec, -1
; %bb.3579:
	s_or_b64 exec, exec, s[8:9]
	s_and_b64 s[4:5], s[4:5], exec
	s_or_saveexec_b64 s[6:7], s[6:7]
	v_mov_b32_e32 v2, s10
	s_xor_b64 exec, exec, s[6:7]
	s_cbranch_execz .LBB42_1530
.LBB42_3580:
	v_mov_b32_e32 v2, 0
	v_cmp_ne_u16_sdwa s[8:9], v9, v2 src0_sel:BYTE_3 src1_sel:DWORD
	s_andn2_b64 s[4:5], s[4:5], exec
	s_and_b64 s[8:9], s[8:9], exec
	s_or_b64 s[4:5], s[4:5], s[8:9]
	s_or_b64 exec, exec, s[6:7]
	s_and_saveexec_b64 s[6:7], s[4:5]
	s_cbranch_execnz .LBB42_1531
	s_branch .LBB42_1532
.LBB42_3581:
	s_movk_i32 s4, 0x80
	v_cmp_eq_u16_sdwa s[12:13], v5, s4 src0_sel:BYTE_3 src1_sel:DWORD
	s_mov_b64 s[4:5], -1
                                        ; implicit-def: $sgpr10
	s_and_saveexec_b64 s[8:9], s[12:13]
; %bb.3582:
	s_mov_b32 s10, 0x7f800001
	s_xor_b64 s[4:5], exec, -1
; %bb.3583:
	s_or_b64 exec, exec, s[8:9]
	s_and_b64 s[4:5], s[4:5], exec
	s_or_saveexec_b64 s[6:7], s[6:7]
	v_mov_b32_e32 v3, s10
	s_xor_b64 exec, exec, s[6:7]
	s_cbranch_execz .LBB42_1534
.LBB42_3584:
	v_mov_b32_e32 v3, 0
	v_cmp_ne_u16_sdwa s[8:9], v5, v3 src0_sel:BYTE_3 src1_sel:DWORD
	s_andn2_b64 s[4:5], s[4:5], exec
	s_and_b64 s[8:9], s[8:9], exec
	s_or_b64 s[4:5], s[4:5], s[8:9]
	s_or_b64 exec, exec, s[6:7]
	s_and_saveexec_b64 s[6:7], s[4:5]
	s_cbranch_execnz .LBB42_1535
	s_branch .LBB42_1536
.LBB42_3585:
	s_movk_i32 s4, 0x80
	v_cmp_eq_u16_sdwa s[12:13], v14, s4 src0_sel:BYTE_0 src1_sel:DWORD
	s_mov_b64 s[4:5], -1
                                        ; implicit-def: $sgpr10
	s_and_saveexec_b64 s[8:9], s[12:13]
; %bb.3586:
	s_mov_b32 s10, 0x7f800001
	s_xor_b64 s[4:5], exec, -1
; %bb.3587:
	s_or_b64 exec, exec, s[8:9]
	s_and_b64 s[4:5], s[4:5], exec
	s_or_saveexec_b64 s[6:7], s[6:7]
	v_mov_b32_e32 v20, s10
	s_xor_b64 exec, exec, s[6:7]
	s_cbranch_execz .LBB42_1538
.LBB42_3588:
	v_mov_b32_e32 v20, 0
	v_cmp_ne_u16_sdwa s[8:9], v14, v20 src0_sel:BYTE_0 src1_sel:DWORD
	s_andn2_b64 s[4:5], s[4:5], exec
	s_and_b64 s[8:9], s[8:9], exec
	s_or_b64 s[4:5], s[4:5], s[8:9]
	s_or_b64 exec, exec, s[6:7]
	s_and_saveexec_b64 s[6:7], s[4:5]
	s_cbranch_execnz .LBB42_1539
	s_branch .LBB42_1540
.LBB42_3589:
	s_movk_i32 s4, 0x80
	v_cmp_eq_u16_sdwa s[12:13], v10, s4 src0_sel:BYTE_0 src1_sel:DWORD
	s_mov_b64 s[4:5], -1
                                        ; implicit-def: $sgpr10
	s_and_saveexec_b64 s[8:9], s[12:13]
; %bb.3590:
	s_mov_b32 s10, 0x7f800001
	s_xor_b64 s[4:5], exec, -1
; %bb.3591:
	s_or_b64 exec, exec, s[8:9]
	s_and_b64 s[4:5], s[4:5], exec
	s_or_saveexec_b64 s[6:7], s[6:7]
	v_mov_b32_e32 v21, s10
	s_xor_b64 exec, exec, s[6:7]
	s_cbranch_execz .LBB42_1542
.LBB42_3592:
	v_mov_b32_e32 v21, 0
	v_cmp_ne_u16_sdwa s[8:9], v10, v21 src0_sel:BYTE_0 src1_sel:DWORD
	s_andn2_b64 s[4:5], s[4:5], exec
	s_and_b64 s[8:9], s[8:9], exec
	s_or_b64 s[4:5], s[4:5], s[8:9]
	s_or_b64 exec, exec, s[6:7]
	s_and_saveexec_b64 s[6:7], s[4:5]
	s_cbranch_execnz .LBB42_1543
	s_branch .LBB42_1544
.LBB42_3593:
	s_movk_i32 s4, 0x80
	v_cmp_eq_u16_sdwa s[12:13], v21, s4 src0_sel:BYTE_0 src1_sel:DWORD
	s_mov_b64 s[4:5], -1
                                        ; implicit-def: $sgpr10
	s_and_saveexec_b64 s[8:9], s[12:13]
; %bb.3594:
	s_mov_b32 s10, 0x7f800001
	s_xor_b64 s[4:5], exec, -1
; %bb.3595:
	s_or_b64 exec, exec, s[8:9]
	s_and_b64 s[4:5], s[4:5], exec
	s_or_saveexec_b64 s[6:7], s[6:7]
	v_mov_b32_e32 v20, s10
	s_xor_b64 exec, exec, s[6:7]
	s_cbranch_execz .LBB42_1546
.LBB42_3596:
	v_mov_b32_e32 v20, 0
	v_cmp_ne_u16_sdwa s[8:9], v21, v20 src0_sel:BYTE_0 src1_sel:DWORD
	s_andn2_b64 s[4:5], s[4:5], exec
	s_and_b64 s[8:9], s[8:9], exec
	s_or_b64 s[4:5], s[4:5], s[8:9]
	s_or_b64 exec, exec, s[6:7]
	s_and_saveexec_b64 s[6:7], s[4:5]
	s_cbranch_execnz .LBB42_1547
	s_branch .LBB42_1548
.LBB42_3597:
	s_movk_i32 s4, 0x80
	v_cmp_eq_u16_sdwa s[12:13], v21, s4 src0_sel:BYTE_0 src1_sel:DWORD
	s_mov_b64 s[4:5], -1
                                        ; implicit-def: $sgpr10
	s_and_saveexec_b64 s[8:9], s[12:13]
; %bb.3598:
	s_mov_b32 s10, 0x7f800001
	s_xor_b64 s[4:5], exec, -1
; %bb.3599:
	s_or_b64 exec, exec, s[8:9]
	s_and_b64 s[4:5], s[4:5], exec
	s_or_saveexec_b64 s[6:7], s[6:7]
	v_mov_b32_e32 v22, s10
	s_xor_b64 exec, exec, s[6:7]
	s_cbranch_execz .LBB42_1550
.LBB42_3600:
	v_mov_b32_e32 v22, 0
	v_cmp_ne_u16_sdwa s[8:9], v21, v22 src0_sel:BYTE_0 src1_sel:DWORD
	s_andn2_b64 s[4:5], s[4:5], exec
	s_and_b64 s[8:9], s[8:9], exec
	s_or_b64 s[4:5], s[4:5], s[8:9]
	s_or_b64 exec, exec, s[6:7]
	s_and_saveexec_b64 s[6:7], s[4:5]
	s_cbranch_execnz .LBB42_1551
	s_branch .LBB42_1552
.LBB42_3601:
	s_movk_i32 s4, 0x80
	v_cmp_eq_u16_e32 vcc, s4, v21
	s_mov_b64 s[4:5], -1
                                        ; implicit-def: $sgpr10
	s_and_saveexec_b64 s[8:9], vcc
; %bb.3602:
	s_mov_b32 s10, 0x7f800001
	s_xor_b64 s[4:5], exec, -1
; %bb.3603:
	s_or_b64 exec, exec, s[8:9]
	s_and_b64 s[4:5], s[4:5], exec
                                        ; implicit-def: $vgpr21
	s_or_saveexec_b64 s[6:7], s[6:7]
	v_mov_b32_e32 v20, s10
	s_xor_b64 exec, exec, s[6:7]
	s_cbranch_execz .LBB42_1554
.LBB42_3604:
	v_cmp_ne_u16_e32 vcc, 0, v21
	s_andn2_b64 s[4:5], s[4:5], exec
	s_and_b64 s[8:9], vcc, exec
	v_mov_b32_e32 v20, 0
	s_or_b64 s[4:5], s[4:5], s[8:9]
	s_or_b64 exec, exec, s[6:7]
	s_and_saveexec_b64 s[6:7], s[4:5]
	s_cbranch_execnz .LBB42_1555
	s_branch .LBB42_1556
.LBB42_3605:
	s_movk_i32 s4, 0x80
	v_cmp_eq_u16_e32 vcc, s4, v21
	s_mov_b64 s[4:5], -1
                                        ; implicit-def: $sgpr10
	s_and_saveexec_b64 s[8:9], vcc
; %bb.3606:
	s_mov_b32 s10, 0x7f800001
	s_xor_b64 s[4:5], exec, -1
; %bb.3607:
	s_or_b64 exec, exec, s[8:9]
	s_and_b64 s[4:5], s[4:5], exec
                                        ; implicit-def: $vgpr21
	s_or_saveexec_b64 s[6:7], s[6:7]
	v_mov_b32_e32 v22, s10
	s_xor_b64 exec, exec, s[6:7]
	s_cbranch_execz .LBB42_1558
.LBB42_3608:
	v_cmp_ne_u16_e32 vcc, 0, v21
	s_andn2_b64 s[4:5], s[4:5], exec
	s_and_b64 s[8:9], vcc, exec
	v_mov_b32_e32 v22, 0
	s_or_b64 s[4:5], s[4:5], s[8:9]
	s_or_b64 exec, exec, s[6:7]
	s_and_saveexec_b64 s[6:7], s[4:5]
	s_cbranch_execnz .LBB42_1559
	s_branch .LBB42_1560
.LBB42_3609:
	s_movk_i32 s4, 0x80
	v_cmp_eq_u16_sdwa s[12:13], v14, s4 src0_sel:BYTE_3 src1_sel:DWORD
	s_mov_b64 s[4:5], -1
                                        ; implicit-def: $sgpr10
	s_and_saveexec_b64 s[8:9], s[12:13]
; %bb.3610:
	s_mov_b32 s10, 0x7f800001
	s_xor_b64 s[4:5], exec, -1
; %bb.3611:
	s_or_b64 exec, exec, s[8:9]
	s_and_b64 s[4:5], s[4:5], exec
	s_or_saveexec_b64 s[6:7], s[6:7]
	v_mov_b32_e32 v20, s10
	s_xor_b64 exec, exec, s[6:7]
	s_cbranch_execz .LBB42_1562
.LBB42_3612:
	v_mov_b32_e32 v20, 0
	v_cmp_ne_u16_sdwa s[8:9], v14, v20 src0_sel:BYTE_3 src1_sel:DWORD
	s_andn2_b64 s[4:5], s[4:5], exec
	s_and_b64 s[8:9], s[8:9], exec
	s_or_b64 s[4:5], s[4:5], s[8:9]
	s_or_b64 exec, exec, s[6:7]
	s_and_saveexec_b64 s[6:7], s[4:5]
	s_cbranch_execnz .LBB42_1563
	s_branch .LBB42_1564
.LBB42_3613:
	s_movk_i32 s4, 0x80
	v_cmp_eq_u16_sdwa s[12:13], v10, s4 src0_sel:BYTE_3 src1_sel:DWORD
	s_mov_b64 s[4:5], -1
                                        ; implicit-def: $sgpr10
	s_and_saveexec_b64 s[8:9], s[12:13]
; %bb.3614:
	s_mov_b32 s10, 0x7f800001
	s_xor_b64 s[4:5], exec, -1
; %bb.3615:
	s_or_b64 exec, exec, s[8:9]
	s_and_b64 s[4:5], s[4:5], exec
	s_or_saveexec_b64 s[6:7], s[6:7]
	v_mov_b32_e32 v14, s10
	s_xor_b64 exec, exec, s[6:7]
	s_cbranch_execz .LBB42_1566
.LBB42_3616:
	v_mov_b32_e32 v14, 0
	v_cmp_ne_u16_sdwa s[8:9], v10, v14 src0_sel:BYTE_3 src1_sel:DWORD
	s_andn2_b64 s[4:5], s[4:5], exec
	s_and_b64 s[8:9], s[8:9], exec
	s_or_b64 s[4:5], s[4:5], s[8:9]
	s_or_b64 exec, exec, s[6:7]
	s_and_saveexec_b64 s[6:7], s[4:5]
	s_cbranch_execnz .LBB42_1567
	s_branch .LBB42_1568
.LBB42_3617:
	s_movk_i32 s4, 0x80
	v_cmp_eq_u16_sdwa s[12:13], v15, s4 src0_sel:BYTE_0 src1_sel:DWORD
	s_mov_b64 s[4:5], -1
                                        ; implicit-def: $sgpr10
	s_and_saveexec_b64 s[8:9], s[12:13]
; %bb.3618:
	s_mov_b32 s10, 0x7f800001
	s_xor_b64 s[4:5], exec, -1
; %bb.3619:
	s_or_b64 exec, exec, s[8:9]
	s_and_b64 s[4:5], s[4:5], exec
	s_or_saveexec_b64 s[6:7], s[6:7]
	v_mov_b32_e32 v10, s10
	s_xor_b64 exec, exec, s[6:7]
	s_cbranch_execz .LBB42_1570
.LBB42_3620:
	v_mov_b32_e32 v10, 0
	v_cmp_ne_u16_sdwa s[8:9], v15, v10 src0_sel:BYTE_0 src1_sel:DWORD
	s_andn2_b64 s[4:5], s[4:5], exec
	s_and_b64 s[8:9], s[8:9], exec
	s_or_b64 s[4:5], s[4:5], s[8:9]
	s_or_b64 exec, exec, s[6:7]
	s_and_saveexec_b64 s[6:7], s[4:5]
	s_cbranch_execnz .LBB42_1571
	s_branch .LBB42_1572
.LBB42_3621:
	s_movk_i32 s4, 0x80
	v_cmp_eq_u16_sdwa s[12:13], v11, s4 src0_sel:BYTE_0 src1_sel:DWORD
	s_mov_b64 s[4:5], -1
                                        ; implicit-def: $sgpr10
	s_and_saveexec_b64 s[8:9], s[12:13]
; %bb.3622:
	s_mov_b32 s10, 0x7f800001
	s_xor_b64 s[4:5], exec, -1
; %bb.3623:
	s_or_b64 exec, exec, s[8:9]
	s_and_b64 s[4:5], s[4:5], exec
	s_or_saveexec_b64 s[6:7], s[6:7]
	v_mov_b32_e32 v14, s10
	s_xor_b64 exec, exec, s[6:7]
	s_cbranch_execz .LBB42_1574
.LBB42_3624:
	v_mov_b32_e32 v14, 0
	v_cmp_ne_u16_sdwa s[8:9], v11, v14 src0_sel:BYTE_0 src1_sel:DWORD
	s_andn2_b64 s[4:5], s[4:5], exec
	s_and_b64 s[8:9], s[8:9], exec
	s_or_b64 s[4:5], s[4:5], s[8:9]
	s_or_b64 exec, exec, s[6:7]
	s_and_saveexec_b64 s[6:7], s[4:5]
	s_cbranch_execnz .LBB42_1575
	s_branch .LBB42_1576
.LBB42_3625:
	s_movk_i32 s4, 0x80
	v_cmp_eq_u16_sdwa s[12:13], v14, s4 src0_sel:BYTE_0 src1_sel:DWORD
	s_mov_b64 s[4:5], -1
                                        ; implicit-def: $sgpr10
	s_and_saveexec_b64 s[8:9], s[12:13]
; %bb.3626:
	s_mov_b32 s10, 0x7f800001
	s_xor_b64 s[4:5], exec, -1
; %bb.3627:
	s_or_b64 exec, exec, s[8:9]
	s_and_b64 s[4:5], s[4:5], exec
	s_or_saveexec_b64 s[6:7], s[6:7]
	v_mov_b32_e32 v10, s10
	s_xor_b64 exec, exec, s[6:7]
	s_cbranch_execz .LBB42_1578
.LBB42_3628:
	v_mov_b32_e32 v10, 0
	v_cmp_ne_u16_sdwa s[8:9], v14, v10 src0_sel:BYTE_0 src1_sel:DWORD
	s_andn2_b64 s[4:5], s[4:5], exec
	s_and_b64 s[8:9], s[8:9], exec
	s_or_b64 s[4:5], s[4:5], s[8:9]
	s_or_b64 exec, exec, s[6:7]
	s_and_saveexec_b64 s[6:7], s[4:5]
	s_cbranch_execnz .LBB42_1579
	s_branch .LBB42_1580
.LBB42_3629:
	s_movk_i32 s4, 0x80
	v_cmp_eq_u16_sdwa s[12:13], v14, s4 src0_sel:BYTE_0 src1_sel:DWORD
	s_mov_b64 s[4:5], -1
                                        ; implicit-def: $sgpr10
	s_and_saveexec_b64 s[8:9], s[12:13]
; %bb.3630:
	s_mov_b32 s10, 0x7f800001
	s_xor_b64 s[4:5], exec, -1
; %bb.3631:
	s_or_b64 exec, exec, s[8:9]
	s_and_b64 s[4:5], s[4:5], exec
	s_or_saveexec_b64 s[6:7], s[6:7]
	v_mov_b32_e32 v20, s10
	s_xor_b64 exec, exec, s[6:7]
	s_cbranch_execz .LBB42_1582
.LBB42_3632:
	v_mov_b32_e32 v20, 0
	v_cmp_ne_u16_sdwa s[8:9], v14, v20 src0_sel:BYTE_0 src1_sel:DWORD
	s_andn2_b64 s[4:5], s[4:5], exec
	s_and_b64 s[8:9], s[8:9], exec
	s_or_b64 s[4:5], s[4:5], s[8:9]
	s_or_b64 exec, exec, s[6:7]
	s_and_saveexec_b64 s[6:7], s[4:5]
	s_cbranch_execnz .LBB42_1583
	s_branch .LBB42_1584
.LBB42_3633:
	s_movk_i32 s4, 0x80
	v_cmp_eq_u16_e32 vcc, s4, v14
	s_mov_b64 s[4:5], -1
                                        ; implicit-def: $sgpr10
	s_and_saveexec_b64 s[8:9], vcc
; %bb.3634:
	s_mov_b32 s10, 0x7f800001
	s_xor_b64 s[4:5], exec, -1
; %bb.3635:
	s_or_b64 exec, exec, s[8:9]
	s_and_b64 s[4:5], s[4:5], exec
                                        ; implicit-def: $vgpr14
	s_or_saveexec_b64 s[6:7], s[6:7]
	v_mov_b32_e32 v10, s10
	s_xor_b64 exec, exec, s[6:7]
	s_cbranch_execz .LBB42_1586
.LBB42_3636:
	v_cmp_ne_u16_e32 vcc, 0, v14
	s_andn2_b64 s[4:5], s[4:5], exec
	s_and_b64 s[8:9], vcc, exec
	v_mov_b32_e32 v10, 0
	s_or_b64 s[4:5], s[4:5], s[8:9]
	s_or_b64 exec, exec, s[6:7]
	s_and_saveexec_b64 s[6:7], s[4:5]
	s_cbranch_execnz .LBB42_1587
	s_branch .LBB42_1588
.LBB42_3637:
	s_movk_i32 s4, 0x80
	v_cmp_eq_u16_e32 vcc, s4, v14
	s_mov_b64 s[4:5], -1
                                        ; implicit-def: $sgpr10
	s_and_saveexec_b64 s[8:9], vcc
; %bb.3638:
	s_mov_b32 s10, 0x7f800001
	s_xor_b64 s[4:5], exec, -1
; %bb.3639:
	s_or_b64 exec, exec, s[8:9]
	s_and_b64 s[4:5], s[4:5], exec
                                        ; implicit-def: $vgpr14
	s_or_saveexec_b64 s[6:7], s[6:7]
	v_mov_b32_e32 v20, s10
	s_xor_b64 exec, exec, s[6:7]
	s_cbranch_execz .LBB42_1590
.LBB42_3640:
	v_cmp_ne_u16_e32 vcc, 0, v14
	s_andn2_b64 s[4:5], s[4:5], exec
	s_and_b64 s[8:9], vcc, exec
	v_mov_b32_e32 v20, 0
	s_or_b64 s[4:5], s[4:5], s[8:9]
	s_or_b64 exec, exec, s[6:7]
	s_and_saveexec_b64 s[6:7], s[4:5]
	s_cbranch_execnz .LBB42_1591
	s_branch .LBB42_1592
.LBB42_3641:
	s_movk_i32 s4, 0x80
	v_cmp_eq_u16_sdwa s[12:13], v15, s4 src0_sel:BYTE_3 src1_sel:DWORD
	s_mov_b64 s[4:5], -1
                                        ; implicit-def: $sgpr10
	s_and_saveexec_b64 s[8:9], s[12:13]
; %bb.3642:
	s_mov_b32 s10, 0x7f800001
	s_xor_b64 s[4:5], exec, -1
; %bb.3643:
	s_or_b64 exec, exec, s[8:9]
	s_and_b64 s[4:5], s[4:5], exec
	s_or_saveexec_b64 s[6:7], s[6:7]
	v_mov_b32_e32 v10, s10
	s_xor_b64 exec, exec, s[6:7]
	s_cbranch_execz .LBB42_1594
.LBB42_3644:
	v_mov_b32_e32 v10, 0
	v_cmp_ne_u16_sdwa s[8:9], v15, v10 src0_sel:BYTE_3 src1_sel:DWORD
	s_andn2_b64 s[4:5], s[4:5], exec
	s_and_b64 s[8:9], s[8:9], exec
	s_or_b64 s[4:5], s[4:5], s[8:9]
	s_or_b64 exec, exec, s[6:7]
	s_and_saveexec_b64 s[6:7], s[4:5]
	s_cbranch_execnz .LBB42_1595
	s_branch .LBB42_1596
.LBB42_3645:
	s_movk_i32 s4, 0x80
	v_cmp_eq_u16_sdwa s[12:13], v11, s4 src0_sel:BYTE_3 src1_sel:DWORD
	s_mov_b64 s[4:5], -1
                                        ; implicit-def: $sgpr10
	s_and_saveexec_b64 s[8:9], s[12:13]
; %bb.3646:
	s_mov_b32 s10, 0x7f800001
	s_xor_b64 s[4:5], exec, -1
; %bb.3647:
	s_or_b64 exec, exec, s[8:9]
	s_and_b64 s[4:5], s[4:5], exec
	s_or_saveexec_b64 s[6:7], s[6:7]
	v_mov_b32_e32 v14, s10
	s_xor_b64 exec, exec, s[6:7]
	s_cbranch_execz .LBB42_1598
.LBB42_3648:
	v_mov_b32_e32 v14, 0
	v_cmp_ne_u16_sdwa s[8:9], v11, v14 src0_sel:BYTE_3 src1_sel:DWORD
	s_andn2_b64 s[4:5], s[4:5], exec
	s_and_b64 s[8:9], s[8:9], exec
	s_or_b64 s[4:5], s[4:5], s[8:9]
	s_or_b64 exec, exec, s[6:7]
	s_and_saveexec_b64 s[6:7], s[4:5]
	s_cbranch_execnz .LBB42_1599
	s_branch .LBB42_1600
.LBB42_3649:
	s_movk_i32 s4, 0x80
	v_cmp_eq_u16_sdwa s[12:13], v16, s4 src0_sel:BYTE_0 src1_sel:DWORD
	s_mov_b64 s[4:5], -1
                                        ; implicit-def: $sgpr10
	s_and_saveexec_b64 s[8:9], s[12:13]
; %bb.3650:
	s_mov_b32 s10, 0x7f800001
	s_xor_b64 s[4:5], exec, -1
; %bb.3651:
	s_or_b64 exec, exec, s[8:9]
	s_and_b64 s[4:5], s[4:5], exec
	s_or_saveexec_b64 s[6:7], s[6:7]
	v_mov_b32_e32 v10, s10
	s_xor_b64 exec, exec, s[6:7]
	s_cbranch_execz .LBB42_1602
.LBB42_3652:
	v_mov_b32_e32 v10, 0
	v_cmp_ne_u16_sdwa s[8:9], v16, v10 src0_sel:BYTE_0 src1_sel:DWORD
	s_andn2_b64 s[4:5], s[4:5], exec
	s_and_b64 s[8:9], s[8:9], exec
	s_or_b64 s[4:5], s[4:5], s[8:9]
	s_or_b64 exec, exec, s[6:7]
	s_and_saveexec_b64 s[6:7], s[4:5]
	s_cbranch_execnz .LBB42_1603
	s_branch .LBB42_1604
.LBB42_3653:
	s_movk_i32 s4, 0x80
	v_cmp_eq_u16_sdwa s[12:13], v12, s4 src0_sel:BYTE_0 src1_sel:DWORD
	s_mov_b64 s[4:5], -1
                                        ; implicit-def: $sgpr10
	s_and_saveexec_b64 s[8:9], s[12:13]
; %bb.3654:
	s_mov_b32 s10, 0x7f800001
	s_xor_b64 s[4:5], exec, -1
; %bb.3655:
	s_or_b64 exec, exec, s[8:9]
	s_and_b64 s[4:5], s[4:5], exec
	s_or_saveexec_b64 s[6:7], s[6:7]
	v_mov_b32_e32 v11, s10
	s_xor_b64 exec, exec, s[6:7]
	s_cbranch_execz .LBB42_1606
.LBB42_3656:
	v_mov_b32_e32 v11, 0
	v_cmp_ne_u16_sdwa s[8:9], v12, v11 src0_sel:BYTE_0 src1_sel:DWORD
	s_andn2_b64 s[4:5], s[4:5], exec
	s_and_b64 s[8:9], s[8:9], exec
	s_or_b64 s[4:5], s[4:5], s[8:9]
	s_or_b64 exec, exec, s[6:7]
	s_and_saveexec_b64 s[6:7], s[4:5]
	s_cbranch_execnz .LBB42_1607
	s_branch .LBB42_1608
.LBB42_3657:
	s_movk_i32 s4, 0x80
	v_cmp_eq_u16_sdwa s[12:13], v11, s4 src0_sel:BYTE_0 src1_sel:DWORD
	s_mov_b64 s[4:5], -1
                                        ; implicit-def: $sgpr10
	s_and_saveexec_b64 s[8:9], s[12:13]
; %bb.3658:
	s_mov_b32 s10, 0x7f800001
	s_xor_b64 s[4:5], exec, -1
; %bb.3659:
	s_or_b64 exec, exec, s[8:9]
	s_and_b64 s[4:5], s[4:5], exec
	s_or_saveexec_b64 s[6:7], s[6:7]
	v_mov_b32_e32 v10, s10
	s_xor_b64 exec, exec, s[6:7]
	s_cbranch_execz .LBB42_1610
.LBB42_3660:
	v_mov_b32_e32 v10, 0
	v_cmp_ne_u16_sdwa s[8:9], v11, v10 src0_sel:BYTE_0 src1_sel:DWORD
	s_andn2_b64 s[4:5], s[4:5], exec
	s_and_b64 s[8:9], s[8:9], exec
	s_or_b64 s[4:5], s[4:5], s[8:9]
	s_or_b64 exec, exec, s[6:7]
	s_and_saveexec_b64 s[6:7], s[4:5]
	s_cbranch_execnz .LBB42_1611
	s_branch .LBB42_1612
.LBB42_3661:
	s_movk_i32 s4, 0x80
	v_cmp_eq_u16_sdwa s[12:13], v11, s4 src0_sel:BYTE_0 src1_sel:DWORD
	s_mov_b64 s[4:5], -1
                                        ; implicit-def: $sgpr10
	s_and_saveexec_b64 s[8:9], s[12:13]
; %bb.3662:
	s_mov_b32 s10, 0x7f800001
	s_xor_b64 s[4:5], exec, -1
; %bb.3663:
	s_or_b64 exec, exec, s[8:9]
	s_and_b64 s[4:5], s[4:5], exec
	s_or_saveexec_b64 s[6:7], s[6:7]
	v_mov_b32_e32 v14, s10
	s_xor_b64 exec, exec, s[6:7]
	s_cbranch_execz .LBB42_1614
.LBB42_3664:
	v_mov_b32_e32 v14, 0
	v_cmp_ne_u16_sdwa s[8:9], v11, v14 src0_sel:BYTE_0 src1_sel:DWORD
	s_andn2_b64 s[4:5], s[4:5], exec
	s_and_b64 s[8:9], s[8:9], exec
	s_or_b64 s[4:5], s[4:5], s[8:9]
	s_or_b64 exec, exec, s[6:7]
	s_and_saveexec_b64 s[6:7], s[4:5]
	s_cbranch_execnz .LBB42_1615
	s_branch .LBB42_1616
.LBB42_3665:
	s_movk_i32 s4, 0x80
	v_cmp_eq_u16_e32 vcc, s4, v11
	s_mov_b64 s[4:5], -1
                                        ; implicit-def: $sgpr10
	s_and_saveexec_b64 s[8:9], vcc
; %bb.3666:
	s_mov_b32 s10, 0x7f800001
	s_xor_b64 s[4:5], exec, -1
; %bb.3667:
	s_or_b64 exec, exec, s[8:9]
	s_and_b64 s[4:5], s[4:5], exec
                                        ; implicit-def: $vgpr11
	s_or_saveexec_b64 s[6:7], s[6:7]
	v_mov_b32_e32 v10, s10
	s_xor_b64 exec, exec, s[6:7]
	s_cbranch_execz .LBB42_1618
.LBB42_3668:
	v_cmp_ne_u16_e32 vcc, 0, v11
	s_andn2_b64 s[4:5], s[4:5], exec
	s_and_b64 s[8:9], vcc, exec
	v_mov_b32_e32 v10, 0
	s_or_b64 s[4:5], s[4:5], s[8:9]
	s_or_b64 exec, exec, s[6:7]
	s_and_saveexec_b64 s[6:7], s[4:5]
	s_cbranch_execnz .LBB42_1619
	s_branch .LBB42_1620
.LBB42_3669:
	s_movk_i32 s4, 0x80
	v_cmp_eq_u16_e32 vcc, s4, v11
	s_mov_b64 s[4:5], -1
                                        ; implicit-def: $sgpr10
	s_and_saveexec_b64 s[8:9], vcc
; %bb.3670:
	s_mov_b32 s10, 0x7f800001
	s_xor_b64 s[4:5], exec, -1
; %bb.3671:
	s_or_b64 exec, exec, s[8:9]
	s_and_b64 s[4:5], s[4:5], exec
                                        ; implicit-def: $vgpr11
	s_or_saveexec_b64 s[6:7], s[6:7]
	v_mov_b32_e32 v14, s10
	s_xor_b64 exec, exec, s[6:7]
	s_cbranch_execz .LBB42_1622
.LBB42_3672:
	v_cmp_ne_u16_e32 vcc, 0, v11
	s_andn2_b64 s[4:5], s[4:5], exec
	s_and_b64 s[8:9], vcc, exec
	v_mov_b32_e32 v14, 0
	s_or_b64 s[4:5], s[4:5], s[8:9]
	s_or_b64 exec, exec, s[6:7]
	s_and_saveexec_b64 s[6:7], s[4:5]
	s_cbranch_execnz .LBB42_1623
	s_branch .LBB42_1624
.LBB42_3673:
	s_movk_i32 s4, 0x80
	v_cmp_eq_u16_sdwa s[12:13], v16, s4 src0_sel:BYTE_3 src1_sel:DWORD
	s_mov_b64 s[4:5], -1
                                        ; implicit-def: $sgpr10
	s_and_saveexec_b64 s[8:9], s[12:13]
; %bb.3674:
	s_mov_b32 s10, 0x7f800001
	s_xor_b64 s[4:5], exec, -1
; %bb.3675:
	s_or_b64 exec, exec, s[8:9]
	s_and_b64 s[4:5], s[4:5], exec
	s_or_saveexec_b64 s[6:7], s[6:7]
	v_mov_b32_e32 v10, s10
	s_xor_b64 exec, exec, s[6:7]
	s_cbranch_execz .LBB42_1626
.LBB42_3676:
	v_mov_b32_e32 v10, 0
	v_cmp_ne_u16_sdwa s[8:9], v16, v10 src0_sel:BYTE_3 src1_sel:DWORD
	s_andn2_b64 s[4:5], s[4:5], exec
	s_and_b64 s[8:9], s[8:9], exec
	s_or_b64 s[4:5], s[4:5], s[8:9]
	s_or_b64 exec, exec, s[6:7]
	s_and_saveexec_b64 s[6:7], s[4:5]
	s_cbranch_execnz .LBB42_1627
	s_branch .LBB42_1628
.LBB42_3677:
	s_movk_i32 s4, 0x80
	v_cmp_eq_u16_sdwa s[12:13], v12, s4 src0_sel:BYTE_3 src1_sel:DWORD
	s_mov_b64 s[4:5], -1
                                        ; implicit-def: $sgpr10
	s_and_saveexec_b64 s[8:9], s[12:13]
; %bb.3678:
	s_mov_b32 s10, 0x7f800001
	s_xor_b64 s[4:5], exec, -1
; %bb.3679:
	s_or_b64 exec, exec, s[8:9]
	s_and_b64 s[4:5], s[4:5], exec
	s_or_saveexec_b64 s[6:7], s[6:7]
	v_mov_b32_e32 v11, s10
	s_xor_b64 exec, exec, s[6:7]
	s_cbranch_execz .LBB42_1630
.LBB42_3680:
	v_mov_b32_e32 v11, 0
	v_cmp_ne_u16_sdwa s[8:9], v12, v11 src0_sel:BYTE_3 src1_sel:DWORD
	s_andn2_b64 s[4:5], s[4:5], exec
	s_and_b64 s[8:9], s[8:9], exec
	s_or_b64 s[4:5], s[4:5], s[8:9]
	s_or_b64 exec, exec, s[6:7]
	s_and_saveexec_b64 s[6:7], s[4:5]
	s_cbranch_execnz .LBB42_1631
	s_branch .LBB42_1632
.LBB42_3681:
	s_movk_i32 s4, 0x80
	v_cmp_eq_u16_sdwa s[12:13], v17, s4 src0_sel:BYTE_0 src1_sel:DWORD
	s_mov_b64 s[4:5], -1
                                        ; implicit-def: $sgpr10
	s_and_saveexec_b64 s[8:9], s[12:13]
; %bb.3682:
	s_mov_b32 s10, 0x7f800001
	s_xor_b64 s[4:5], exec, -1
; %bb.3683:
	s_or_b64 exec, exec, s[8:9]
	s_and_b64 s[4:5], s[4:5], exec
	s_or_saveexec_b64 s[6:7], s[6:7]
	v_mov_b32_e32 v10, s10
	s_xor_b64 exec, exec, s[6:7]
	s_cbranch_execz .LBB42_1634
.LBB42_3684:
	v_mov_b32_e32 v10, 0
	v_cmp_ne_u16_sdwa s[8:9], v17, v10 src0_sel:BYTE_0 src1_sel:DWORD
	s_andn2_b64 s[4:5], s[4:5], exec
	s_and_b64 s[8:9], s[8:9], exec
	s_or_b64 s[4:5], s[4:5], s[8:9]
	s_or_b64 exec, exec, s[6:7]
	s_and_saveexec_b64 s[6:7], s[4:5]
	s_cbranch_execnz .LBB42_1635
	s_branch .LBB42_1636
.LBB42_3685:
	s_movk_i32 s4, 0x80
	v_cmp_eq_u16_sdwa s[12:13], v13, s4 src0_sel:BYTE_0 src1_sel:DWORD
	s_mov_b64 s[4:5], -1
                                        ; implicit-def: $sgpr10
	s_and_saveexec_b64 s[8:9], s[12:13]
; %bb.3686:
	s_mov_b32 s10, 0x7f800001
	s_xor_b64 s[4:5], exec, -1
; %bb.3687:
	s_or_b64 exec, exec, s[8:9]
	s_and_b64 s[4:5], s[4:5], exec
	s_or_saveexec_b64 s[6:7], s[6:7]
	v_mov_b32_e32 v11, s10
	s_xor_b64 exec, exec, s[6:7]
	s_cbranch_execz .LBB42_1638
.LBB42_3688:
	v_mov_b32_e32 v11, 0
	v_cmp_ne_u16_sdwa s[8:9], v13, v11 src0_sel:BYTE_0 src1_sel:DWORD
	s_andn2_b64 s[4:5], s[4:5], exec
	s_and_b64 s[8:9], s[8:9], exec
	s_or_b64 s[4:5], s[4:5], s[8:9]
	s_or_b64 exec, exec, s[6:7]
	s_and_saveexec_b64 s[6:7], s[4:5]
	s_cbranch_execnz .LBB42_1639
	s_branch .LBB42_1640
.LBB42_3689:
	s_movk_i32 s4, 0x80
	v_cmp_eq_u16_sdwa s[12:13], v11, s4 src0_sel:BYTE_0 src1_sel:DWORD
	s_mov_b64 s[4:5], -1
                                        ; implicit-def: $sgpr10
	s_and_saveexec_b64 s[8:9], s[12:13]
; %bb.3690:
	s_mov_b32 s10, 0x7f800001
	s_xor_b64 s[4:5], exec, -1
; %bb.3691:
	s_or_b64 exec, exec, s[8:9]
	s_and_b64 s[4:5], s[4:5], exec
	s_or_saveexec_b64 s[6:7], s[6:7]
	v_mov_b32_e32 v10, s10
	s_xor_b64 exec, exec, s[6:7]
	s_cbranch_execz .LBB42_1642
.LBB42_3692:
	v_mov_b32_e32 v10, 0
	v_cmp_ne_u16_sdwa s[8:9], v11, v10 src0_sel:BYTE_0 src1_sel:DWORD
	s_andn2_b64 s[4:5], s[4:5], exec
	s_and_b64 s[8:9], s[8:9], exec
	s_or_b64 s[4:5], s[4:5], s[8:9]
	s_or_b64 exec, exec, s[6:7]
	s_and_saveexec_b64 s[6:7], s[4:5]
	s_cbranch_execnz .LBB42_1643
	s_branch .LBB42_1644
.LBB42_3693:
	s_movk_i32 s4, 0x80
	v_cmp_eq_u16_sdwa s[12:13], v11, s4 src0_sel:BYTE_0 src1_sel:DWORD
	s_mov_b64 s[4:5], -1
                                        ; implicit-def: $sgpr10
	s_and_saveexec_b64 s[8:9], s[12:13]
; %bb.3694:
	s_mov_b32 s10, 0x7f800001
	s_xor_b64 s[4:5], exec, -1
; %bb.3695:
	s_or_b64 exec, exec, s[8:9]
	s_and_b64 s[4:5], s[4:5], exec
	s_or_saveexec_b64 s[6:7], s[6:7]
	v_mov_b32_e32 v12, s10
	s_xor_b64 exec, exec, s[6:7]
	s_cbranch_execz .LBB42_1646
.LBB42_3696:
	v_mov_b32_e32 v12, 0
	v_cmp_ne_u16_sdwa s[8:9], v11, v12 src0_sel:BYTE_0 src1_sel:DWORD
	s_andn2_b64 s[4:5], s[4:5], exec
	s_and_b64 s[8:9], s[8:9], exec
	s_or_b64 s[4:5], s[4:5], s[8:9]
	s_or_b64 exec, exec, s[6:7]
	s_and_saveexec_b64 s[6:7], s[4:5]
	s_cbranch_execnz .LBB42_1647
	s_branch .LBB42_1648
.LBB42_3697:
	s_movk_i32 s4, 0x80
	v_cmp_eq_u16_e32 vcc, s4, v11
	s_mov_b64 s[4:5], -1
                                        ; implicit-def: $sgpr10
	s_and_saveexec_b64 s[8:9], vcc
; %bb.3698:
	s_mov_b32 s10, 0x7f800001
	s_xor_b64 s[4:5], exec, -1
; %bb.3699:
	s_or_b64 exec, exec, s[8:9]
	s_and_b64 s[4:5], s[4:5], exec
                                        ; implicit-def: $vgpr11
	s_or_saveexec_b64 s[6:7], s[6:7]
	v_mov_b32_e32 v10, s10
	s_xor_b64 exec, exec, s[6:7]
	s_cbranch_execz .LBB42_1650
.LBB42_3700:
	v_cmp_ne_u16_e32 vcc, 0, v11
	s_andn2_b64 s[4:5], s[4:5], exec
	s_and_b64 s[8:9], vcc, exec
	v_mov_b32_e32 v10, 0
	s_or_b64 s[4:5], s[4:5], s[8:9]
	s_or_b64 exec, exec, s[6:7]
	s_and_saveexec_b64 s[6:7], s[4:5]
	s_cbranch_execnz .LBB42_1651
	s_branch .LBB42_1652
.LBB42_3701:
	s_movk_i32 s4, 0x80
	v_cmp_eq_u16_e32 vcc, s4, v11
	s_mov_b64 s[4:5], -1
                                        ; implicit-def: $sgpr10
	s_and_saveexec_b64 s[8:9], vcc
; %bb.3702:
	s_mov_b32 s10, 0x7f800001
	s_xor_b64 s[4:5], exec, -1
; %bb.3703:
	s_or_b64 exec, exec, s[8:9]
	s_and_b64 s[4:5], s[4:5], exec
                                        ; implicit-def: $vgpr11
	s_or_saveexec_b64 s[6:7], s[6:7]
	v_mov_b32_e32 v12, s10
	s_xor_b64 exec, exec, s[6:7]
	s_cbranch_execz .LBB42_1654
.LBB42_3704:
	v_cmp_ne_u16_e32 vcc, 0, v11
	s_andn2_b64 s[4:5], s[4:5], exec
	s_and_b64 s[8:9], vcc, exec
	v_mov_b32_e32 v12, 0
	s_or_b64 s[4:5], s[4:5], s[8:9]
	s_or_b64 exec, exec, s[6:7]
	s_and_saveexec_b64 s[6:7], s[4:5]
	s_cbranch_execnz .LBB42_1655
	s_branch .LBB42_1656
.LBB42_3705:
	s_movk_i32 s4, 0x80
	v_cmp_eq_u16_sdwa s[12:13], v17, s4 src0_sel:BYTE_3 src1_sel:DWORD
	s_mov_b64 s[4:5], -1
                                        ; implicit-def: $sgpr10
	s_and_saveexec_b64 s[8:9], s[12:13]
; %bb.3706:
	s_mov_b32 s10, 0x7f800001
	s_xor_b64 s[4:5], exec, -1
; %bb.3707:
	s_or_b64 exec, exec, s[8:9]
	s_and_b64 s[4:5], s[4:5], exec
	s_or_saveexec_b64 s[6:7], s[6:7]
	v_mov_b32_e32 v10, s10
	s_xor_b64 exec, exec, s[6:7]
	s_cbranch_execz .LBB42_1658
.LBB42_3708:
	v_mov_b32_e32 v10, 0
	v_cmp_ne_u16_sdwa s[8:9], v17, v10 src0_sel:BYTE_3 src1_sel:DWORD
	s_andn2_b64 s[4:5], s[4:5], exec
	s_and_b64 s[8:9], s[8:9], exec
	s_or_b64 s[4:5], s[4:5], s[8:9]
	s_or_b64 exec, exec, s[6:7]
	s_and_saveexec_b64 s[6:7], s[4:5]
	s_cbranch_execnz .LBB42_1659
	s_branch .LBB42_1660
.LBB42_3709:
	s_movk_i32 s4, 0x80
	v_cmp_eq_u16_sdwa s[12:13], v13, s4 src0_sel:BYTE_3 src1_sel:DWORD
	s_mov_b64 s[4:5], -1
                                        ; implicit-def: $sgpr10
	s_and_saveexec_b64 s[8:9], s[12:13]
; %bb.3710:
	s_mov_b32 s10, 0x7f800001
	s_xor_b64 s[4:5], exec, -1
; %bb.3711:
	s_or_b64 exec, exec, s[8:9]
	s_and_b64 s[4:5], s[4:5], exec
	s_or_saveexec_b64 s[6:7], s[6:7]
	v_mov_b32_e32 v11, s10
	s_xor_b64 exec, exec, s[6:7]
	s_cbranch_execz .LBB42_1662
.LBB42_3712:
	v_mov_b32_e32 v11, 0
	v_cmp_ne_u16_sdwa s[8:9], v13, v11 src0_sel:BYTE_3 src1_sel:DWORD
	s_andn2_b64 s[4:5], s[4:5], exec
	s_and_b64 s[8:9], s[8:9], exec
	s_or_b64 s[4:5], s[4:5], s[8:9]
	s_or_b64 exec, exec, s[6:7]
	s_and_saveexec_b64 s[6:7], s[4:5]
	s_cbranch_execnz .LBB42_1663
	s_branch .LBB42_1664
.LBB42_3713:
	s_movk_i32 s4, 0x80
	v_cmp_eq_u16_sdwa s[12:13], v6, s4 src0_sel:BYTE_0 src1_sel:DWORD
	s_mov_b64 s[4:5], -1
                                        ; implicit-def: $sgpr10
	s_and_saveexec_b64 s[8:9], s[12:13]
; %bb.3714:
	s_mov_b32 s10, 0x7f800001
	s_xor_b64 s[4:5], exec, -1
; %bb.3715:
	s_or_b64 exec, exec, s[8:9]
	s_and_b64 s[4:5], s[4:5], exec
	s_or_saveexec_b64 s[6:7], s[6:7]
	v_mov_b32_e32 v10, s10
	s_xor_b64 exec, exec, s[6:7]
	s_cbranch_execz .LBB42_1666
.LBB42_3716:
	v_mov_b32_e32 v10, 0
	v_cmp_ne_u16_sdwa s[8:9], v6, v10 src0_sel:BYTE_0 src1_sel:DWORD
	s_andn2_b64 s[4:5], s[4:5], exec
	s_and_b64 s[8:9], s[8:9], exec
	s_or_b64 s[4:5], s[4:5], s[8:9]
	s_or_b64 exec, exec, s[6:7]
	s_and_saveexec_b64 s[6:7], s[4:5]
	s_cbranch_execnz .LBB42_1667
	s_branch .LBB42_1668
.LBB42_3717:
	s_movk_i32 s4, 0x80
	v_cmp_eq_u16_sdwa s[12:13], v2, s4 src0_sel:BYTE_0 src1_sel:DWORD
	s_mov_b64 s[4:5], -1
                                        ; implicit-def: $sgpr10
	s_and_saveexec_b64 s[8:9], s[12:13]
; %bb.3718:
	s_mov_b32 s10, 0x7f800001
	s_xor_b64 s[4:5], exec, -1
; %bb.3719:
	s_or_b64 exec, exec, s[8:9]
	s_and_b64 s[4:5], s[4:5], exec
	s_or_saveexec_b64 s[6:7], s[6:7]
	v_mov_b32_e32 v11, s10
	s_xor_b64 exec, exec, s[6:7]
	s_cbranch_execz .LBB42_1670
.LBB42_3720:
	v_mov_b32_e32 v11, 0
	v_cmp_ne_u16_sdwa s[8:9], v2, v11 src0_sel:BYTE_0 src1_sel:DWORD
	s_andn2_b64 s[4:5], s[4:5], exec
	s_and_b64 s[8:9], s[8:9], exec
	s_or_b64 s[4:5], s[4:5], s[8:9]
	s_or_b64 exec, exec, s[6:7]
	s_and_saveexec_b64 s[6:7], s[4:5]
	s_cbranch_execnz .LBB42_1671
	s_branch .LBB42_1672
.LBB42_3721:
	s_movk_i32 s4, 0x80
	v_cmp_eq_u16_sdwa s[12:13], v11, s4 src0_sel:BYTE_0 src1_sel:DWORD
	s_mov_b64 s[4:5], -1
                                        ; implicit-def: $sgpr10
	s_and_saveexec_b64 s[8:9], s[12:13]
; %bb.3722:
	s_mov_b32 s10, 0x7f800001
	s_xor_b64 s[4:5], exec, -1
; %bb.3723:
	s_or_b64 exec, exec, s[8:9]
	s_and_b64 s[4:5], s[4:5], exec
	s_or_saveexec_b64 s[6:7], s[6:7]
	v_mov_b32_e32 v10, s10
	s_xor_b64 exec, exec, s[6:7]
	s_cbranch_execz .LBB42_1674
.LBB42_3724:
	v_mov_b32_e32 v10, 0
	v_cmp_ne_u16_sdwa s[8:9], v11, v10 src0_sel:BYTE_0 src1_sel:DWORD
	s_andn2_b64 s[4:5], s[4:5], exec
	s_and_b64 s[8:9], s[8:9], exec
	s_or_b64 s[4:5], s[4:5], s[8:9]
	s_or_b64 exec, exec, s[6:7]
	s_and_saveexec_b64 s[6:7], s[4:5]
	s_cbranch_execnz .LBB42_1675
	s_branch .LBB42_1676
.LBB42_3725:
	s_movk_i32 s4, 0x80
	v_cmp_eq_u16_sdwa s[12:13], v11, s4 src0_sel:BYTE_0 src1_sel:DWORD
	s_mov_b64 s[4:5], -1
                                        ; implicit-def: $sgpr10
	s_and_saveexec_b64 s[8:9], s[12:13]
; %bb.3726:
	s_mov_b32 s10, 0x7f800001
	s_xor_b64 s[4:5], exec, -1
; %bb.3727:
	s_or_b64 exec, exec, s[8:9]
	s_and_b64 s[4:5], s[4:5], exec
	s_or_saveexec_b64 s[6:7], s[6:7]
	v_mov_b32_e32 v12, s10
	s_xor_b64 exec, exec, s[6:7]
	s_cbranch_execz .LBB42_1678
.LBB42_3728:
	v_mov_b32_e32 v12, 0
	v_cmp_ne_u16_sdwa s[8:9], v11, v12 src0_sel:BYTE_0 src1_sel:DWORD
	s_andn2_b64 s[4:5], s[4:5], exec
	s_and_b64 s[8:9], s[8:9], exec
	s_or_b64 s[4:5], s[4:5], s[8:9]
	s_or_b64 exec, exec, s[6:7]
	s_and_saveexec_b64 s[6:7], s[4:5]
	s_cbranch_execnz .LBB42_1679
	s_branch .LBB42_1680
.LBB42_3729:
	s_movk_i32 s4, 0x80
	v_cmp_eq_u16_e32 vcc, s4, v11
	s_mov_b64 s[4:5], -1
                                        ; implicit-def: $sgpr10
	s_and_saveexec_b64 s[8:9], vcc
; %bb.3730:
	s_mov_b32 s10, 0x7f800001
	s_xor_b64 s[4:5], exec, -1
; %bb.3731:
	s_or_b64 exec, exec, s[8:9]
	s_and_b64 s[4:5], s[4:5], exec
                                        ; implicit-def: $vgpr11
	s_or_saveexec_b64 s[6:7], s[6:7]
	v_mov_b32_e32 v10, s10
	s_xor_b64 exec, exec, s[6:7]
	s_cbranch_execz .LBB42_1682
.LBB42_3732:
	v_cmp_ne_u16_e32 vcc, 0, v11
	s_andn2_b64 s[4:5], s[4:5], exec
	s_and_b64 s[8:9], vcc, exec
	v_mov_b32_e32 v10, 0
	s_or_b64 s[4:5], s[4:5], s[8:9]
	s_or_b64 exec, exec, s[6:7]
	s_and_saveexec_b64 s[6:7], s[4:5]
	s_cbranch_execnz .LBB42_1683
	s_branch .LBB42_1684
.LBB42_3733:
	s_movk_i32 s4, 0x80
	v_cmp_eq_u16_e32 vcc, s4, v11
	s_mov_b64 s[4:5], -1
                                        ; implicit-def: $sgpr10
	s_and_saveexec_b64 s[8:9], vcc
; %bb.3734:
	s_mov_b32 s10, 0x7f800001
	s_xor_b64 s[4:5], exec, -1
; %bb.3735:
	s_or_b64 exec, exec, s[8:9]
	s_and_b64 s[4:5], s[4:5], exec
                                        ; implicit-def: $vgpr11
	s_or_saveexec_b64 s[6:7], s[6:7]
	v_mov_b32_e32 v12, s10
	s_xor_b64 exec, exec, s[6:7]
	s_cbranch_execz .LBB42_1686
.LBB42_3736:
	v_cmp_ne_u16_e32 vcc, 0, v11
	s_andn2_b64 s[4:5], s[4:5], exec
	s_and_b64 s[8:9], vcc, exec
	v_mov_b32_e32 v12, 0
	s_or_b64 s[4:5], s[4:5], s[8:9]
	s_or_b64 exec, exec, s[6:7]
	s_and_saveexec_b64 s[6:7], s[4:5]
	s_cbranch_execnz .LBB42_1687
	s_branch .LBB42_1688
.LBB42_3737:
	s_movk_i32 s4, 0x80
	v_cmp_eq_u16_sdwa s[12:13], v6, s4 src0_sel:BYTE_3 src1_sel:DWORD
	s_mov_b64 s[4:5], -1
                                        ; implicit-def: $sgpr10
	s_and_saveexec_b64 s[8:9], s[12:13]
; %bb.3738:
	s_mov_b32 s10, 0x7f800001
	s_xor_b64 s[4:5], exec, -1
; %bb.3739:
	s_or_b64 exec, exec, s[8:9]
	s_and_b64 s[4:5], s[4:5], exec
	s_or_saveexec_b64 s[6:7], s[6:7]
	v_mov_b32_e32 v10, s10
	s_xor_b64 exec, exec, s[6:7]
	s_cbranch_execz .LBB42_1690
.LBB42_3740:
	v_mov_b32_e32 v10, 0
	v_cmp_ne_u16_sdwa s[8:9], v6, v10 src0_sel:BYTE_3 src1_sel:DWORD
	s_andn2_b64 s[4:5], s[4:5], exec
	s_and_b64 s[8:9], s[8:9], exec
	s_or_b64 s[4:5], s[4:5], s[8:9]
	s_or_b64 exec, exec, s[6:7]
	s_and_saveexec_b64 s[6:7], s[4:5]
	s_cbranch_execnz .LBB42_1691
	s_branch .LBB42_1692
.LBB42_3741:
	s_movk_i32 s4, 0x80
	v_cmp_eq_u16_sdwa s[12:13], v2, s4 src0_sel:BYTE_3 src1_sel:DWORD
	s_mov_b64 s[4:5], -1
                                        ; implicit-def: $sgpr10
	s_and_saveexec_b64 s[8:9], s[12:13]
; %bb.3742:
	s_mov_b32 s10, 0x7f800001
	s_xor_b64 s[4:5], exec, -1
; %bb.3743:
	s_or_b64 exec, exec, s[8:9]
	s_and_b64 s[4:5], s[4:5], exec
	s_or_saveexec_b64 s[6:7], s[6:7]
	v_mov_b32_e32 v6, s10
	s_xor_b64 exec, exec, s[6:7]
	s_cbranch_execz .LBB42_1694
.LBB42_3744:
	v_mov_b32_e32 v6, 0
	v_cmp_ne_u16_sdwa s[8:9], v2, v6 src0_sel:BYTE_3 src1_sel:DWORD
	s_andn2_b64 s[4:5], s[4:5], exec
	s_and_b64 s[8:9], s[8:9], exec
	s_or_b64 s[4:5], s[4:5], s[8:9]
	s_or_b64 exec, exec, s[6:7]
	s_and_saveexec_b64 s[6:7], s[4:5]
	s_cbranch_execnz .LBB42_1695
	s_branch .LBB42_1696
.LBB42_3745:
	s_movk_i32 s4, 0x80
	v_cmp_eq_u16_sdwa s[12:13], v7, s4 src0_sel:BYTE_0 src1_sel:DWORD
	s_mov_b64 s[4:5], -1
                                        ; implicit-def: $sgpr10
	s_and_saveexec_b64 s[8:9], s[12:13]
; %bb.3746:
	s_mov_b32 s10, 0x7f800001
	s_xor_b64 s[4:5], exec, -1
; %bb.3747:
	s_or_b64 exec, exec, s[8:9]
	s_and_b64 s[4:5], s[4:5], exec
	s_or_saveexec_b64 s[6:7], s[6:7]
	v_mov_b32_e32 v2, s10
	s_xor_b64 exec, exec, s[6:7]
	s_cbranch_execz .LBB42_1698
.LBB42_3748:
	v_mov_b32_e32 v2, 0
	v_cmp_ne_u16_sdwa s[8:9], v7, v2 src0_sel:BYTE_0 src1_sel:DWORD
	s_andn2_b64 s[4:5], s[4:5], exec
	s_and_b64 s[8:9], s[8:9], exec
	s_or_b64 s[4:5], s[4:5], s[8:9]
	s_or_b64 exec, exec, s[6:7]
	s_and_saveexec_b64 s[6:7], s[4:5]
	s_cbranch_execnz .LBB42_1699
	s_branch .LBB42_1700
.LBB42_3749:
	s_movk_i32 s4, 0x80
	v_cmp_eq_u16_sdwa s[12:13], v3, s4 src0_sel:BYTE_0 src1_sel:DWORD
	s_mov_b64 s[4:5], -1
                                        ; implicit-def: $sgpr10
	s_and_saveexec_b64 s[8:9], s[12:13]
; %bb.3750:
	s_mov_b32 s10, 0x7f800001
	s_xor_b64 s[4:5], exec, -1
; %bb.3751:
	s_or_b64 exec, exec, s[8:9]
	s_and_b64 s[4:5], s[4:5], exec
	s_or_saveexec_b64 s[6:7], s[6:7]
	v_mov_b32_e32 v6, s10
	s_xor_b64 exec, exec, s[6:7]
	s_cbranch_execz .LBB42_1702
.LBB42_3752:
	v_mov_b32_e32 v6, 0
	v_cmp_ne_u16_sdwa s[8:9], v3, v6 src0_sel:BYTE_0 src1_sel:DWORD
	s_andn2_b64 s[4:5], s[4:5], exec
	s_and_b64 s[8:9], s[8:9], exec
	s_or_b64 s[4:5], s[4:5], s[8:9]
	s_or_b64 exec, exec, s[6:7]
	s_and_saveexec_b64 s[6:7], s[4:5]
	s_cbranch_execnz .LBB42_1703
	s_branch .LBB42_1704
.LBB42_3753:
	s_movk_i32 s4, 0x80
	v_cmp_eq_u16_sdwa s[12:13], v6, s4 src0_sel:BYTE_0 src1_sel:DWORD
	s_mov_b64 s[4:5], -1
                                        ; implicit-def: $sgpr10
	s_and_saveexec_b64 s[8:9], s[12:13]
; %bb.3754:
	s_mov_b32 s10, 0x7f800001
	s_xor_b64 s[4:5], exec, -1
; %bb.3755:
	s_or_b64 exec, exec, s[8:9]
	s_and_b64 s[4:5], s[4:5], exec
	s_or_saveexec_b64 s[6:7], s[6:7]
	v_mov_b32_e32 v2, s10
	s_xor_b64 exec, exec, s[6:7]
	s_cbranch_execz .LBB42_1706
.LBB42_3756:
	v_mov_b32_e32 v2, 0
	v_cmp_ne_u16_sdwa s[8:9], v6, v2 src0_sel:BYTE_0 src1_sel:DWORD
	s_andn2_b64 s[4:5], s[4:5], exec
	s_and_b64 s[8:9], s[8:9], exec
	s_or_b64 s[4:5], s[4:5], s[8:9]
	s_or_b64 exec, exec, s[6:7]
	s_and_saveexec_b64 s[6:7], s[4:5]
	s_cbranch_execnz .LBB42_1707
	s_branch .LBB42_1708
.LBB42_3757:
	s_movk_i32 s4, 0x80
	v_cmp_eq_u16_sdwa s[12:13], v6, s4 src0_sel:BYTE_0 src1_sel:DWORD
	s_mov_b64 s[4:5], -1
                                        ; implicit-def: $sgpr10
	s_and_saveexec_b64 s[8:9], s[12:13]
; %bb.3758:
	s_mov_b32 s10, 0x7f800001
	s_xor_b64 s[4:5], exec, -1
; %bb.3759:
	s_or_b64 exec, exec, s[8:9]
	s_and_b64 s[4:5], s[4:5], exec
	s_or_saveexec_b64 s[6:7], s[6:7]
	v_mov_b32_e32 v10, s10
	s_xor_b64 exec, exec, s[6:7]
	s_cbranch_execz .LBB42_1710
.LBB42_3760:
	v_mov_b32_e32 v10, 0
	v_cmp_ne_u16_sdwa s[8:9], v6, v10 src0_sel:BYTE_0 src1_sel:DWORD
	s_andn2_b64 s[4:5], s[4:5], exec
	s_and_b64 s[8:9], s[8:9], exec
	s_or_b64 s[4:5], s[4:5], s[8:9]
	s_or_b64 exec, exec, s[6:7]
	s_and_saveexec_b64 s[6:7], s[4:5]
	s_cbranch_execnz .LBB42_1711
	s_branch .LBB42_1712
.LBB42_3761:
	s_movk_i32 s4, 0x80
	v_cmp_eq_u16_e32 vcc, s4, v6
	s_mov_b64 s[4:5], -1
                                        ; implicit-def: $sgpr10
	s_and_saveexec_b64 s[8:9], vcc
; %bb.3762:
	s_mov_b32 s10, 0x7f800001
	s_xor_b64 s[4:5], exec, -1
; %bb.3763:
	s_or_b64 exec, exec, s[8:9]
	s_and_b64 s[4:5], s[4:5], exec
                                        ; implicit-def: $vgpr6
	s_or_saveexec_b64 s[6:7], s[6:7]
	v_mov_b32_e32 v2, s10
	s_xor_b64 exec, exec, s[6:7]
	s_cbranch_execz .LBB42_1714
.LBB42_3764:
	v_cmp_ne_u16_e32 vcc, 0, v6
	s_andn2_b64 s[4:5], s[4:5], exec
	s_and_b64 s[8:9], vcc, exec
	v_mov_b32_e32 v2, 0
	s_or_b64 s[4:5], s[4:5], s[8:9]
	s_or_b64 exec, exec, s[6:7]
	s_and_saveexec_b64 s[6:7], s[4:5]
	s_cbranch_execnz .LBB42_1715
	s_branch .LBB42_1716
.LBB42_3765:
	s_movk_i32 s4, 0x80
	v_cmp_eq_u16_e32 vcc, s4, v6
	s_mov_b64 s[4:5], -1
                                        ; implicit-def: $sgpr10
	s_and_saveexec_b64 s[8:9], vcc
; %bb.3766:
	s_mov_b32 s10, 0x7f800001
	s_xor_b64 s[4:5], exec, -1
; %bb.3767:
	s_or_b64 exec, exec, s[8:9]
	s_and_b64 s[4:5], s[4:5], exec
                                        ; implicit-def: $vgpr6
	s_or_saveexec_b64 s[6:7], s[6:7]
	v_mov_b32_e32 v10, s10
	s_xor_b64 exec, exec, s[6:7]
	s_cbranch_execz .LBB42_1718
.LBB42_3768:
	v_cmp_ne_u16_e32 vcc, 0, v6
	s_andn2_b64 s[4:5], s[4:5], exec
	s_and_b64 s[8:9], vcc, exec
	v_mov_b32_e32 v10, 0
	s_or_b64 s[4:5], s[4:5], s[8:9]
	s_or_b64 exec, exec, s[6:7]
	s_and_saveexec_b64 s[6:7], s[4:5]
	s_cbranch_execnz .LBB42_1719
	s_branch .LBB42_1720
.LBB42_3769:
	s_movk_i32 s4, 0x80
	v_cmp_eq_u16_sdwa s[12:13], v7, s4 src0_sel:BYTE_3 src1_sel:DWORD
	s_mov_b64 s[4:5], -1
                                        ; implicit-def: $sgpr10
	s_and_saveexec_b64 s[8:9], s[12:13]
; %bb.3770:
	s_mov_b32 s10, 0x7f800001
	s_xor_b64 s[4:5], exec, -1
; %bb.3771:
	s_or_b64 exec, exec, s[8:9]
	s_and_b64 s[4:5], s[4:5], exec
	s_or_saveexec_b64 s[6:7], s[6:7]
	v_mov_b32_e32 v2, s10
	s_xor_b64 exec, exec, s[6:7]
	s_cbranch_execz .LBB42_1722
.LBB42_3772:
	v_mov_b32_e32 v2, 0
	v_cmp_ne_u16_sdwa s[8:9], v7, v2 src0_sel:BYTE_3 src1_sel:DWORD
	s_andn2_b64 s[4:5], s[4:5], exec
	s_and_b64 s[8:9], s[8:9], exec
	s_or_b64 s[4:5], s[4:5], s[8:9]
	s_or_b64 exec, exec, s[6:7]
	s_and_saveexec_b64 s[6:7], s[4:5]
	s_cbranch_execnz .LBB42_1723
	s_branch .LBB42_1724
.LBB42_3773:
	s_movk_i32 s4, 0x80
	v_cmp_eq_u16_sdwa s[12:13], v3, s4 src0_sel:BYTE_3 src1_sel:DWORD
	s_mov_b64 s[4:5], -1
                                        ; implicit-def: $sgpr10
	s_and_saveexec_b64 s[8:9], s[12:13]
; %bb.3774:
	s_mov_b32 s10, 0x7f800001
	s_xor_b64 s[4:5], exec, -1
; %bb.3775:
	s_or_b64 exec, exec, s[8:9]
	s_and_b64 s[4:5], s[4:5], exec
	s_or_saveexec_b64 s[6:7], s[6:7]
	v_mov_b32_e32 v6, s10
	s_xor_b64 exec, exec, s[6:7]
	s_cbranch_execz .LBB42_1726
.LBB42_3776:
	v_mov_b32_e32 v6, 0
	v_cmp_ne_u16_sdwa s[8:9], v3, v6 src0_sel:BYTE_3 src1_sel:DWORD
	s_andn2_b64 s[4:5], s[4:5], exec
	s_and_b64 s[8:9], s[8:9], exec
	s_or_b64 s[4:5], s[4:5], s[8:9]
	s_or_b64 exec, exec, s[6:7]
	s_and_saveexec_b64 s[6:7], s[4:5]
	s_cbranch_execnz .LBB42_1727
	s_branch .LBB42_1728
.LBB42_3777:
	s_movk_i32 s4, 0x80
	v_cmp_eq_u16_sdwa s[12:13], v8, s4 src0_sel:BYTE_0 src1_sel:DWORD
	s_mov_b64 s[4:5], -1
                                        ; implicit-def: $sgpr10
	s_and_saveexec_b64 s[8:9], s[12:13]
; %bb.3778:
	s_mov_b32 s10, 0x7f800001
	s_xor_b64 s[4:5], exec, -1
; %bb.3779:
	s_or_b64 exec, exec, s[8:9]
	s_and_b64 s[4:5], s[4:5], exec
	s_or_saveexec_b64 s[6:7], s[6:7]
	v_mov_b32_e32 v2, s10
	s_xor_b64 exec, exec, s[6:7]
	s_cbranch_execz .LBB42_1730
.LBB42_3780:
	v_mov_b32_e32 v2, 0
	v_cmp_ne_u16_sdwa s[8:9], v8, v2 src0_sel:BYTE_0 src1_sel:DWORD
	s_andn2_b64 s[4:5], s[4:5], exec
	s_and_b64 s[8:9], s[8:9], exec
	s_or_b64 s[4:5], s[4:5], s[8:9]
	s_or_b64 exec, exec, s[6:7]
	s_and_saveexec_b64 s[6:7], s[4:5]
	s_cbranch_execnz .LBB42_1731
	s_branch .LBB42_1732
.LBB42_3781:
	s_movk_i32 s4, 0x80
	v_cmp_eq_u16_sdwa s[12:13], v4, s4 src0_sel:BYTE_0 src1_sel:DWORD
	s_mov_b64 s[4:5], -1
                                        ; implicit-def: $sgpr10
	s_and_saveexec_b64 s[8:9], s[12:13]
; %bb.3782:
	s_mov_b32 s10, 0x7f800001
	s_xor_b64 s[4:5], exec, -1
; %bb.3783:
	s_or_b64 exec, exec, s[8:9]
	s_and_b64 s[4:5], s[4:5], exec
	s_or_saveexec_b64 s[6:7], s[6:7]
	v_mov_b32_e32 v3, s10
	s_xor_b64 exec, exec, s[6:7]
	s_cbranch_execz .LBB42_1734
.LBB42_3784:
	v_mov_b32_e32 v3, 0
	v_cmp_ne_u16_sdwa s[8:9], v4, v3 src0_sel:BYTE_0 src1_sel:DWORD
	s_andn2_b64 s[4:5], s[4:5], exec
	s_and_b64 s[8:9], s[8:9], exec
	s_or_b64 s[4:5], s[4:5], s[8:9]
	s_or_b64 exec, exec, s[6:7]
	s_and_saveexec_b64 s[6:7], s[4:5]
	s_cbranch_execnz .LBB42_1735
	s_branch .LBB42_1736
.LBB42_3785:
	s_movk_i32 s4, 0x80
	v_cmp_eq_u16_sdwa s[12:13], v3, s4 src0_sel:BYTE_0 src1_sel:DWORD
	s_mov_b64 s[4:5], -1
                                        ; implicit-def: $sgpr10
	s_and_saveexec_b64 s[8:9], s[12:13]
; %bb.3786:
	s_mov_b32 s10, 0x7f800001
	s_xor_b64 s[4:5], exec, -1
; %bb.3787:
	s_or_b64 exec, exec, s[8:9]
	s_and_b64 s[4:5], s[4:5], exec
	s_or_saveexec_b64 s[6:7], s[6:7]
	v_mov_b32_e32 v2, s10
	s_xor_b64 exec, exec, s[6:7]
	s_cbranch_execz .LBB42_1738
.LBB42_3788:
	v_mov_b32_e32 v2, 0
	v_cmp_ne_u16_sdwa s[8:9], v3, v2 src0_sel:BYTE_0 src1_sel:DWORD
	s_andn2_b64 s[4:5], s[4:5], exec
	s_and_b64 s[8:9], s[8:9], exec
	s_or_b64 s[4:5], s[4:5], s[8:9]
	s_or_b64 exec, exec, s[6:7]
	s_and_saveexec_b64 s[6:7], s[4:5]
	s_cbranch_execnz .LBB42_1739
	s_branch .LBB42_1740
.LBB42_3789:
	s_movk_i32 s4, 0x80
	v_cmp_eq_u16_sdwa s[12:13], v3, s4 src0_sel:BYTE_0 src1_sel:DWORD
	s_mov_b64 s[4:5], -1
                                        ; implicit-def: $sgpr10
	s_and_saveexec_b64 s[8:9], s[12:13]
; %bb.3790:
	s_mov_b32 s10, 0x7f800001
	s_xor_b64 s[4:5], exec, -1
; %bb.3791:
	s_or_b64 exec, exec, s[8:9]
	s_and_b64 s[4:5], s[4:5], exec
	s_or_saveexec_b64 s[6:7], s[6:7]
	v_mov_b32_e32 v6, s10
	s_xor_b64 exec, exec, s[6:7]
	s_cbranch_execz .LBB42_1742
.LBB42_3792:
	v_mov_b32_e32 v6, 0
	v_cmp_ne_u16_sdwa s[8:9], v3, v6 src0_sel:BYTE_0 src1_sel:DWORD
	s_andn2_b64 s[4:5], s[4:5], exec
	s_and_b64 s[8:9], s[8:9], exec
	s_or_b64 s[4:5], s[4:5], s[8:9]
	s_or_b64 exec, exec, s[6:7]
	s_and_saveexec_b64 s[6:7], s[4:5]
	s_cbranch_execnz .LBB42_1743
	s_branch .LBB42_1744
.LBB42_3793:
	s_movk_i32 s4, 0x80
	v_cmp_eq_u16_e32 vcc, s4, v3
	s_mov_b64 s[4:5], -1
                                        ; implicit-def: $sgpr10
	s_and_saveexec_b64 s[8:9], vcc
; %bb.3794:
	s_mov_b32 s10, 0x7f800001
	s_xor_b64 s[4:5], exec, -1
; %bb.3795:
	s_or_b64 exec, exec, s[8:9]
	s_and_b64 s[4:5], s[4:5], exec
                                        ; implicit-def: $vgpr3
	s_or_saveexec_b64 s[6:7], s[6:7]
	v_mov_b32_e32 v2, s10
	s_xor_b64 exec, exec, s[6:7]
	s_cbranch_execz .LBB42_1746
.LBB42_3796:
	v_cmp_ne_u16_e32 vcc, 0, v3
	s_andn2_b64 s[4:5], s[4:5], exec
	s_and_b64 s[8:9], vcc, exec
	v_mov_b32_e32 v2, 0
	s_or_b64 s[4:5], s[4:5], s[8:9]
	s_or_b64 exec, exec, s[6:7]
	s_and_saveexec_b64 s[6:7], s[4:5]
	s_cbranch_execnz .LBB42_1747
	s_branch .LBB42_1748
.LBB42_3797:
	s_movk_i32 s4, 0x80
	v_cmp_eq_u16_e32 vcc, s4, v3
	s_mov_b64 s[4:5], -1
                                        ; implicit-def: $sgpr10
	s_and_saveexec_b64 s[8:9], vcc
; %bb.3798:
	s_mov_b32 s10, 0x7f800001
	s_xor_b64 s[4:5], exec, -1
; %bb.3799:
	s_or_b64 exec, exec, s[8:9]
	s_and_b64 s[4:5], s[4:5], exec
                                        ; implicit-def: $vgpr3
	s_or_saveexec_b64 s[6:7], s[6:7]
	v_mov_b32_e32 v6, s10
	s_xor_b64 exec, exec, s[6:7]
	s_cbranch_execz .LBB42_1750
.LBB42_3800:
	v_cmp_ne_u16_e32 vcc, 0, v3
	s_andn2_b64 s[4:5], s[4:5], exec
	s_and_b64 s[8:9], vcc, exec
	v_mov_b32_e32 v6, 0
	s_or_b64 s[4:5], s[4:5], s[8:9]
	s_or_b64 exec, exec, s[6:7]
	s_and_saveexec_b64 s[6:7], s[4:5]
	s_cbranch_execnz .LBB42_1751
	s_branch .LBB42_1752
.LBB42_3801:
	s_movk_i32 s4, 0x80
	v_cmp_eq_u16_sdwa s[12:13], v8, s4 src0_sel:BYTE_3 src1_sel:DWORD
	s_mov_b64 s[4:5], -1
                                        ; implicit-def: $sgpr10
	s_and_saveexec_b64 s[8:9], s[12:13]
; %bb.3802:
	s_mov_b32 s10, 0x7f800001
	s_xor_b64 s[4:5], exec, -1
; %bb.3803:
	s_or_b64 exec, exec, s[8:9]
	s_and_b64 s[4:5], s[4:5], exec
	s_or_saveexec_b64 s[6:7], s[6:7]
	v_mov_b32_e32 v2, s10
	s_xor_b64 exec, exec, s[6:7]
	s_cbranch_execz .LBB42_1754
.LBB42_3804:
	v_mov_b32_e32 v2, 0
	v_cmp_ne_u16_sdwa s[8:9], v8, v2 src0_sel:BYTE_3 src1_sel:DWORD
	s_andn2_b64 s[4:5], s[4:5], exec
	s_and_b64 s[8:9], s[8:9], exec
	s_or_b64 s[4:5], s[4:5], s[8:9]
	s_or_b64 exec, exec, s[6:7]
	s_and_saveexec_b64 s[6:7], s[4:5]
	s_cbranch_execnz .LBB42_1755
	s_branch .LBB42_1756
.LBB42_3805:
	s_movk_i32 s4, 0x80
	v_cmp_eq_u16_sdwa s[12:13], v4, s4 src0_sel:BYTE_3 src1_sel:DWORD
	s_mov_b64 s[4:5], -1
                                        ; implicit-def: $sgpr10
	s_and_saveexec_b64 s[8:9], s[12:13]
; %bb.3806:
	s_mov_b32 s10, 0x7f800001
	s_xor_b64 s[4:5], exec, -1
; %bb.3807:
	s_or_b64 exec, exec, s[8:9]
	s_and_b64 s[4:5], s[4:5], exec
	s_or_saveexec_b64 s[6:7], s[6:7]
	v_mov_b32_e32 v3, s10
	s_xor_b64 exec, exec, s[6:7]
	s_cbranch_execz .LBB42_1758
.LBB42_3808:
	v_mov_b32_e32 v3, 0
	v_cmp_ne_u16_sdwa s[8:9], v4, v3 src0_sel:BYTE_3 src1_sel:DWORD
	s_andn2_b64 s[4:5], s[4:5], exec
	s_and_b64 s[8:9], s[8:9], exec
	s_or_b64 s[4:5], s[4:5], s[8:9]
	s_or_b64 exec, exec, s[6:7]
	s_and_saveexec_b64 s[6:7], s[4:5]
	s_cbranch_execnz .LBB42_1759
	s_branch .LBB42_1760
.LBB42_3809:
	s_movk_i32 s4, 0x80
	v_cmp_eq_u16_sdwa s[12:13], v9, s4 src0_sel:BYTE_0 src1_sel:DWORD
	s_mov_b64 s[4:5], -1
                                        ; implicit-def: $sgpr10
	s_and_saveexec_b64 s[8:9], s[12:13]
; %bb.3810:
	s_mov_b32 s10, 0x7f800001
	s_xor_b64 s[4:5], exec, -1
; %bb.3811:
	s_or_b64 exec, exec, s[8:9]
	s_and_b64 s[4:5], s[4:5], exec
	s_or_saveexec_b64 s[6:7], s[6:7]
	v_mov_b32_e32 v2, s10
	s_xor_b64 exec, exec, s[6:7]
	s_cbranch_execz .LBB42_1762
.LBB42_3812:
	v_mov_b32_e32 v2, 0
	v_cmp_ne_u16_sdwa s[8:9], v9, v2 src0_sel:BYTE_0 src1_sel:DWORD
	s_andn2_b64 s[4:5], s[4:5], exec
	s_and_b64 s[8:9], s[8:9], exec
	s_or_b64 s[4:5], s[4:5], s[8:9]
	s_or_b64 exec, exec, s[6:7]
	s_and_saveexec_b64 s[6:7], s[4:5]
	s_cbranch_execnz .LBB42_1763
	s_branch .LBB42_1764
.LBB42_3813:
	s_movk_i32 s4, 0x80
	v_cmp_eq_u16_sdwa s[12:13], v5, s4 src0_sel:BYTE_0 src1_sel:DWORD
	s_mov_b64 s[4:5], -1
                                        ; implicit-def: $sgpr10
	s_and_saveexec_b64 s[8:9], s[12:13]
; %bb.3814:
	s_mov_b32 s10, 0x7f800001
	s_xor_b64 s[4:5], exec, -1
; %bb.3815:
	s_or_b64 exec, exec, s[8:9]
	s_and_b64 s[4:5], s[4:5], exec
	s_or_saveexec_b64 s[6:7], s[6:7]
	v_mov_b32_e32 v3, s10
	s_xor_b64 exec, exec, s[6:7]
	s_cbranch_execz .LBB42_1766
.LBB42_3816:
	v_mov_b32_e32 v3, 0
	v_cmp_ne_u16_sdwa s[8:9], v5, v3 src0_sel:BYTE_0 src1_sel:DWORD
	s_andn2_b64 s[4:5], s[4:5], exec
	s_and_b64 s[8:9], s[8:9], exec
	s_or_b64 s[4:5], s[4:5], s[8:9]
	s_or_b64 exec, exec, s[6:7]
	s_and_saveexec_b64 s[6:7], s[4:5]
	s_cbranch_execnz .LBB42_1767
	s_branch .LBB42_1768
.LBB42_3817:
	s_movk_i32 s4, 0x80
	v_cmp_eq_u16_sdwa s[12:13], v3, s4 src0_sel:BYTE_0 src1_sel:DWORD
	s_mov_b64 s[4:5], -1
                                        ; implicit-def: $sgpr10
	s_and_saveexec_b64 s[8:9], s[12:13]
; %bb.3818:
	s_mov_b32 s10, 0x7f800001
	s_xor_b64 s[4:5], exec, -1
; %bb.3819:
	s_or_b64 exec, exec, s[8:9]
	s_and_b64 s[4:5], s[4:5], exec
	s_or_saveexec_b64 s[6:7], s[6:7]
	v_mov_b32_e32 v2, s10
	s_xor_b64 exec, exec, s[6:7]
	s_cbranch_execz .LBB42_1770
.LBB42_3820:
	v_mov_b32_e32 v2, 0
	v_cmp_ne_u16_sdwa s[8:9], v3, v2 src0_sel:BYTE_0 src1_sel:DWORD
	s_andn2_b64 s[4:5], s[4:5], exec
	s_and_b64 s[8:9], s[8:9], exec
	s_or_b64 s[4:5], s[4:5], s[8:9]
	s_or_b64 exec, exec, s[6:7]
	s_and_saveexec_b64 s[6:7], s[4:5]
	s_cbranch_execnz .LBB42_1771
	s_branch .LBB42_1772
.LBB42_3821:
	s_movk_i32 s4, 0x80
	v_cmp_eq_u16_sdwa s[12:13], v3, s4 src0_sel:BYTE_0 src1_sel:DWORD
	s_mov_b64 s[4:5], -1
                                        ; implicit-def: $sgpr10
	s_and_saveexec_b64 s[8:9], s[12:13]
; %bb.3822:
	s_mov_b32 s10, 0x7f800001
	s_xor_b64 s[4:5], exec, -1
; %bb.3823:
	s_or_b64 exec, exec, s[8:9]
	s_and_b64 s[4:5], s[4:5], exec
	s_or_saveexec_b64 s[6:7], s[6:7]
	v_mov_b32_e32 v4, s10
	s_xor_b64 exec, exec, s[6:7]
	s_cbranch_execz .LBB42_1774
.LBB42_3824:
	v_mov_b32_e32 v4, 0
	v_cmp_ne_u16_sdwa s[8:9], v3, v4 src0_sel:BYTE_0 src1_sel:DWORD
	s_andn2_b64 s[4:5], s[4:5], exec
	s_and_b64 s[8:9], s[8:9], exec
	s_or_b64 s[4:5], s[4:5], s[8:9]
	s_or_b64 exec, exec, s[6:7]
	s_and_saveexec_b64 s[6:7], s[4:5]
	s_cbranch_execnz .LBB42_1775
	s_branch .LBB42_1776
.LBB42_3825:
	s_movk_i32 s4, 0x80
	v_cmp_eq_u16_e32 vcc, s4, v3
	s_mov_b64 s[4:5], -1
                                        ; implicit-def: $sgpr10
	s_and_saveexec_b64 s[8:9], vcc
; %bb.3826:
	s_mov_b32 s10, 0x7f800001
	s_xor_b64 s[4:5], exec, -1
; %bb.3827:
	s_or_b64 exec, exec, s[8:9]
	s_and_b64 s[4:5], s[4:5], exec
                                        ; implicit-def: $vgpr3
	s_or_saveexec_b64 s[6:7], s[6:7]
	v_mov_b32_e32 v2, s10
	s_xor_b64 exec, exec, s[6:7]
	s_cbranch_execz .LBB42_1778
.LBB42_3828:
	v_cmp_ne_u16_e32 vcc, 0, v3
	s_andn2_b64 s[4:5], s[4:5], exec
	s_and_b64 s[8:9], vcc, exec
	v_mov_b32_e32 v2, 0
	s_or_b64 s[4:5], s[4:5], s[8:9]
	s_or_b64 exec, exec, s[6:7]
	s_and_saveexec_b64 s[6:7], s[4:5]
	s_cbranch_execnz .LBB42_1779
	s_branch .LBB42_1780
.LBB42_3829:
	s_movk_i32 s4, 0x80
	v_cmp_eq_u16_e32 vcc, s4, v3
	s_mov_b64 s[4:5], -1
                                        ; implicit-def: $sgpr10
	s_and_saveexec_b64 s[8:9], vcc
; %bb.3830:
	s_mov_b32 s10, 0x7f800001
	s_xor_b64 s[4:5], exec, -1
; %bb.3831:
	s_or_b64 exec, exec, s[8:9]
	s_and_b64 s[4:5], s[4:5], exec
                                        ; implicit-def: $vgpr3
	s_or_saveexec_b64 s[6:7], s[6:7]
	v_mov_b32_e32 v4, s10
	s_xor_b64 exec, exec, s[6:7]
	s_cbranch_execz .LBB42_1782
.LBB42_3832:
	v_cmp_ne_u16_e32 vcc, 0, v3
	s_andn2_b64 s[4:5], s[4:5], exec
	s_and_b64 s[8:9], vcc, exec
	v_mov_b32_e32 v4, 0
	s_or_b64 s[4:5], s[4:5], s[8:9]
	s_or_b64 exec, exec, s[6:7]
	s_and_saveexec_b64 s[6:7], s[4:5]
	s_cbranch_execnz .LBB42_1783
	s_branch .LBB42_1784
.LBB42_3833:
	s_movk_i32 s4, 0x80
	v_cmp_eq_u16_sdwa s[12:13], v9, s4 src0_sel:BYTE_3 src1_sel:DWORD
	s_mov_b64 s[4:5], -1
                                        ; implicit-def: $sgpr10
	s_and_saveexec_b64 s[8:9], s[12:13]
; %bb.3834:
	s_mov_b32 s10, 0x7f800001
	s_xor_b64 s[4:5], exec, -1
; %bb.3835:
	s_or_b64 exec, exec, s[8:9]
	s_and_b64 s[4:5], s[4:5], exec
	s_or_saveexec_b64 s[6:7], s[6:7]
	v_mov_b32_e32 v2, s10
	s_xor_b64 exec, exec, s[6:7]
	s_cbranch_execz .LBB42_1786
.LBB42_3836:
	v_mov_b32_e32 v2, 0
	v_cmp_ne_u16_sdwa s[8:9], v9, v2 src0_sel:BYTE_3 src1_sel:DWORD
	s_andn2_b64 s[4:5], s[4:5], exec
	s_and_b64 s[8:9], s[8:9], exec
	s_or_b64 s[4:5], s[4:5], s[8:9]
	s_or_b64 exec, exec, s[6:7]
	s_and_saveexec_b64 s[6:7], s[4:5]
	s_cbranch_execnz .LBB42_1787
	s_branch .LBB42_1788
.LBB42_3837:
	s_movk_i32 s4, 0x80
	v_cmp_eq_u16_sdwa s[12:13], v5, s4 src0_sel:BYTE_3 src1_sel:DWORD
	s_mov_b64 s[4:5], -1
                                        ; implicit-def: $sgpr10
	s_and_saveexec_b64 s[8:9], s[12:13]
; %bb.3838:
	s_mov_b32 s10, 0x7f800001
	s_xor_b64 s[4:5], exec, -1
; %bb.3839:
	s_or_b64 exec, exec, s[8:9]
	s_and_b64 s[4:5], s[4:5], exec
	s_or_saveexec_b64 s[6:7], s[6:7]
	v_mov_b32_e32 v3, s10
	s_xor_b64 exec, exec, s[6:7]
	s_cbranch_execz .LBB42_1790
.LBB42_3840:
	v_mov_b32_e32 v3, 0
	v_cmp_ne_u16_sdwa s[8:9], v5, v3 src0_sel:BYTE_3 src1_sel:DWORD
	s_andn2_b64 s[4:5], s[4:5], exec
	s_and_b64 s[8:9], s[8:9], exec
	s_or_b64 s[4:5], s[4:5], s[8:9]
	s_or_b64 exec, exec, s[6:7]
	s_and_saveexec_b64 s[6:7], s[4:5]
	s_cbranch_execnz .LBB42_1791
	s_branch .LBB42_1792
.LBB42_3841:
	s_movk_i32 s4, 0x80
	v_cmp_eq_u16_sdwa s[12:13], v12, s4 src0_sel:BYTE_0 src1_sel:DWORD
	s_mov_b64 s[4:5], -1
                                        ; implicit-def: $sgpr10
	s_and_saveexec_b64 s[8:9], s[12:13]
; %bb.3842:
	s_mov_b32 s10, 0x7f800001
	s_xor_b64 s[4:5], exec, -1
; %bb.3843:
	s_or_b64 exec, exec, s[8:9]
	s_and_b64 s[4:5], s[4:5], exec
	s_or_saveexec_b64 s[6:7], s[6:7]
	v_mov_b32_e32 v18, s10
	s_xor_b64 exec, exec, s[6:7]
	s_cbranch_execz .LBB42_1794
.LBB42_3844:
	v_mov_b32_e32 v18, 0
	v_cmp_ne_u16_sdwa s[8:9], v12, v18 src0_sel:BYTE_0 src1_sel:DWORD
	s_andn2_b64 s[4:5], s[4:5], exec
	s_and_b64 s[8:9], s[8:9], exec
	s_or_b64 s[4:5], s[4:5], s[8:9]
	s_or_b64 exec, exec, s[6:7]
	s_and_saveexec_b64 s[6:7], s[4:5]
	s_cbranch_execnz .LBB42_1795
	s_branch .LBB42_1796
.LBB42_3845:
	s_movk_i32 s4, 0x80
	v_cmp_eq_u16_sdwa s[12:13], v8, s4 src0_sel:BYTE_0 src1_sel:DWORD
	s_mov_b64 s[4:5], -1
                                        ; implicit-def: $sgpr10
	s_and_saveexec_b64 s[8:9], s[12:13]
; %bb.3846:
	s_mov_b32 s10, 0x7f800001
	s_xor_b64 s[4:5], exec, -1
; %bb.3847:
	s_or_b64 exec, exec, s[8:9]
	s_and_b64 s[4:5], s[4:5], exec
	s_or_saveexec_b64 s[6:7], s[6:7]
	v_mov_b32_e32 v19, s10
	s_xor_b64 exec, exec, s[6:7]
	s_cbranch_execz .LBB42_1798
.LBB42_3848:
	v_mov_b32_e32 v19, 0
	v_cmp_ne_u16_sdwa s[8:9], v8, v19 src0_sel:BYTE_0 src1_sel:DWORD
	s_andn2_b64 s[4:5], s[4:5], exec
	s_and_b64 s[8:9], s[8:9], exec
	s_or_b64 s[4:5], s[4:5], s[8:9]
	s_or_b64 exec, exec, s[6:7]
	s_and_saveexec_b64 s[6:7], s[4:5]
	s_cbranch_execnz .LBB42_1799
	s_branch .LBB42_1800
.LBB42_3849:
	s_movk_i32 s4, 0x80
	v_cmp_eq_u16_sdwa s[12:13], v19, s4 src0_sel:BYTE_0 src1_sel:DWORD
	s_mov_b64 s[4:5], -1
                                        ; implicit-def: $sgpr10
	s_and_saveexec_b64 s[8:9], s[12:13]
; %bb.3850:
	s_mov_b32 s10, 0x7f800001
	s_xor_b64 s[4:5], exec, -1
; %bb.3851:
	s_or_b64 exec, exec, s[8:9]
	s_and_b64 s[4:5], s[4:5], exec
	s_or_saveexec_b64 s[6:7], s[6:7]
	v_mov_b32_e32 v18, s10
	s_xor_b64 exec, exec, s[6:7]
	s_cbranch_execz .LBB42_1802
.LBB42_3852:
	v_mov_b32_e32 v18, 0
	v_cmp_ne_u16_sdwa s[8:9], v19, v18 src0_sel:BYTE_0 src1_sel:DWORD
	s_andn2_b64 s[4:5], s[4:5], exec
	s_and_b64 s[8:9], s[8:9], exec
	s_or_b64 s[4:5], s[4:5], s[8:9]
	s_or_b64 exec, exec, s[6:7]
	s_and_saveexec_b64 s[6:7], s[4:5]
	s_cbranch_execnz .LBB42_1803
	s_branch .LBB42_1804
.LBB42_3853:
	s_movk_i32 s4, 0x80
	v_cmp_eq_u16_sdwa s[12:13], v19, s4 src0_sel:BYTE_0 src1_sel:DWORD
	s_mov_b64 s[4:5], -1
                                        ; implicit-def: $sgpr10
	s_and_saveexec_b64 s[8:9], s[12:13]
; %bb.3854:
	s_mov_b32 s10, 0x7f800001
	s_xor_b64 s[4:5], exec, -1
; %bb.3855:
	s_or_b64 exec, exec, s[8:9]
	s_and_b64 s[4:5], s[4:5], exec
	s_or_saveexec_b64 s[6:7], s[6:7]
	v_mov_b32_e32 v20, s10
	s_xor_b64 exec, exec, s[6:7]
	s_cbranch_execz .LBB42_1806
.LBB42_3856:
	v_mov_b32_e32 v20, 0
	v_cmp_ne_u16_sdwa s[8:9], v19, v20 src0_sel:BYTE_0 src1_sel:DWORD
	s_andn2_b64 s[4:5], s[4:5], exec
	s_and_b64 s[8:9], s[8:9], exec
	s_or_b64 s[4:5], s[4:5], s[8:9]
	s_or_b64 exec, exec, s[6:7]
	s_and_saveexec_b64 s[6:7], s[4:5]
	s_cbranch_execnz .LBB42_1807
	s_branch .LBB42_1808
.LBB42_3857:
	s_movk_i32 s4, 0x80
	v_cmp_eq_u16_e32 vcc, s4, v19
	s_mov_b64 s[4:5], -1
                                        ; implicit-def: $sgpr10
	s_and_saveexec_b64 s[8:9], vcc
; %bb.3858:
	s_mov_b32 s10, 0x7f800001
	s_xor_b64 s[4:5], exec, -1
; %bb.3859:
	s_or_b64 exec, exec, s[8:9]
	s_and_b64 s[4:5], s[4:5], exec
                                        ; implicit-def: $vgpr19
	s_or_saveexec_b64 s[6:7], s[6:7]
	v_mov_b32_e32 v18, s10
	s_xor_b64 exec, exec, s[6:7]
	s_cbranch_execz .LBB42_1810
.LBB42_3860:
	v_cmp_ne_u16_e32 vcc, 0, v19
	s_andn2_b64 s[4:5], s[4:5], exec
	s_and_b64 s[8:9], vcc, exec
	v_mov_b32_e32 v18, 0
	s_or_b64 s[4:5], s[4:5], s[8:9]
	s_or_b64 exec, exec, s[6:7]
	s_and_saveexec_b64 s[6:7], s[4:5]
	s_cbranch_execnz .LBB42_1811
	s_branch .LBB42_1812
.LBB42_3861:
	s_movk_i32 s4, 0x80
	v_cmp_eq_u16_e32 vcc, s4, v19
	s_mov_b64 s[4:5], -1
                                        ; implicit-def: $sgpr10
	s_and_saveexec_b64 s[8:9], vcc
; %bb.3862:
	s_mov_b32 s10, 0x7f800001
	s_xor_b64 s[4:5], exec, -1
; %bb.3863:
	s_or_b64 exec, exec, s[8:9]
	s_and_b64 s[4:5], s[4:5], exec
                                        ; implicit-def: $vgpr19
	s_or_saveexec_b64 s[6:7], s[6:7]
	v_mov_b32_e32 v20, s10
	s_xor_b64 exec, exec, s[6:7]
	s_cbranch_execz .LBB42_1814
.LBB42_3864:
	v_cmp_ne_u16_e32 vcc, 0, v19
	s_andn2_b64 s[4:5], s[4:5], exec
	s_and_b64 s[8:9], vcc, exec
	v_mov_b32_e32 v20, 0
	s_or_b64 s[4:5], s[4:5], s[8:9]
	s_or_b64 exec, exec, s[6:7]
	s_and_saveexec_b64 s[6:7], s[4:5]
	s_cbranch_execnz .LBB42_1815
	s_branch .LBB42_1816
.LBB42_3865:
	s_movk_i32 s4, 0x80
	v_cmp_eq_u16_sdwa s[12:13], v12, s4 src0_sel:BYTE_3 src1_sel:DWORD
	s_mov_b64 s[4:5], -1
                                        ; implicit-def: $sgpr10
	s_and_saveexec_b64 s[8:9], s[12:13]
; %bb.3866:
	s_mov_b32 s10, 0x7f800001
	s_xor_b64 s[4:5], exec, -1
; %bb.3867:
	s_or_b64 exec, exec, s[8:9]
	s_and_b64 s[4:5], s[4:5], exec
	s_or_saveexec_b64 s[6:7], s[6:7]
	v_mov_b32_e32 v18, s10
	s_xor_b64 exec, exec, s[6:7]
	s_cbranch_execz .LBB42_1818
.LBB42_3868:
	v_mov_b32_e32 v18, 0
	v_cmp_ne_u16_sdwa s[8:9], v12, v18 src0_sel:BYTE_3 src1_sel:DWORD
	s_andn2_b64 s[4:5], s[4:5], exec
	s_and_b64 s[8:9], s[8:9], exec
	s_or_b64 s[4:5], s[4:5], s[8:9]
	s_or_b64 exec, exec, s[6:7]
	s_and_saveexec_b64 s[6:7], s[4:5]
	s_cbranch_execnz .LBB42_1819
	s_branch .LBB42_1820
.LBB42_3869:
	s_movk_i32 s4, 0x80
	v_cmp_eq_u16_sdwa s[12:13], v8, s4 src0_sel:BYTE_3 src1_sel:DWORD
	s_mov_b64 s[4:5], -1
                                        ; implicit-def: $sgpr10
	s_and_saveexec_b64 s[8:9], s[12:13]
; %bb.3870:
	s_mov_b32 s10, 0x7f800001
	s_xor_b64 s[4:5], exec, -1
; %bb.3871:
	s_or_b64 exec, exec, s[8:9]
	s_and_b64 s[4:5], s[4:5], exec
	s_or_saveexec_b64 s[6:7], s[6:7]
	v_mov_b32_e32 v12, s10
	s_xor_b64 exec, exec, s[6:7]
	s_cbranch_execz .LBB42_1822
.LBB42_3872:
	v_mov_b32_e32 v12, 0
	v_cmp_ne_u16_sdwa s[8:9], v8, v12 src0_sel:BYTE_3 src1_sel:DWORD
	s_andn2_b64 s[4:5], s[4:5], exec
	s_and_b64 s[8:9], s[8:9], exec
	s_or_b64 s[4:5], s[4:5], s[8:9]
	s_or_b64 exec, exec, s[6:7]
	s_and_saveexec_b64 s[6:7], s[4:5]
	s_cbranch_execnz .LBB42_1823
	s_branch .LBB42_1824
.LBB42_3873:
	s_movk_i32 s4, 0x80
	v_cmp_eq_u16_sdwa s[12:13], v13, s4 src0_sel:BYTE_0 src1_sel:DWORD
	s_mov_b64 s[4:5], -1
                                        ; implicit-def: $sgpr10
	s_and_saveexec_b64 s[8:9], s[12:13]
; %bb.3874:
	s_mov_b32 s10, 0x7f800001
	s_xor_b64 s[4:5], exec, -1
; %bb.3875:
	s_or_b64 exec, exec, s[8:9]
	s_and_b64 s[4:5], s[4:5], exec
	s_or_saveexec_b64 s[6:7], s[6:7]
	v_mov_b32_e32 v8, s10
	s_xor_b64 exec, exec, s[6:7]
	s_cbranch_execz .LBB42_1826
.LBB42_3876:
	v_mov_b32_e32 v8, 0
	v_cmp_ne_u16_sdwa s[8:9], v13, v8 src0_sel:BYTE_0 src1_sel:DWORD
	s_andn2_b64 s[4:5], s[4:5], exec
	s_and_b64 s[8:9], s[8:9], exec
	s_or_b64 s[4:5], s[4:5], s[8:9]
	s_or_b64 exec, exec, s[6:7]
	s_and_saveexec_b64 s[6:7], s[4:5]
	s_cbranch_execnz .LBB42_1827
	s_branch .LBB42_1828
.LBB42_3877:
	s_movk_i32 s4, 0x80
	v_cmp_eq_u16_sdwa s[12:13], v9, s4 src0_sel:BYTE_0 src1_sel:DWORD
	s_mov_b64 s[4:5], -1
                                        ; implicit-def: $sgpr10
	s_and_saveexec_b64 s[8:9], s[12:13]
; %bb.3878:
	s_mov_b32 s10, 0x7f800001
	s_xor_b64 s[4:5], exec, -1
; %bb.3879:
	s_or_b64 exec, exec, s[8:9]
	s_and_b64 s[4:5], s[4:5], exec
	s_or_saveexec_b64 s[6:7], s[6:7]
	v_mov_b32_e32 v12, s10
	s_xor_b64 exec, exec, s[6:7]
	s_cbranch_execz .LBB42_1830
.LBB42_3880:
	v_mov_b32_e32 v12, 0
	v_cmp_ne_u16_sdwa s[8:9], v9, v12 src0_sel:BYTE_0 src1_sel:DWORD
	s_andn2_b64 s[4:5], s[4:5], exec
	s_and_b64 s[8:9], s[8:9], exec
	s_or_b64 s[4:5], s[4:5], s[8:9]
	s_or_b64 exec, exec, s[6:7]
	s_and_saveexec_b64 s[6:7], s[4:5]
	s_cbranch_execnz .LBB42_1831
	s_branch .LBB42_1832
.LBB42_3881:
	s_movk_i32 s4, 0x80
	v_cmp_eq_u16_sdwa s[12:13], v12, s4 src0_sel:BYTE_0 src1_sel:DWORD
	s_mov_b64 s[4:5], -1
                                        ; implicit-def: $sgpr10
	s_and_saveexec_b64 s[8:9], s[12:13]
; %bb.3882:
	s_mov_b32 s10, 0x7f800001
	s_xor_b64 s[4:5], exec, -1
; %bb.3883:
	s_or_b64 exec, exec, s[8:9]
	s_and_b64 s[4:5], s[4:5], exec
	s_or_saveexec_b64 s[6:7], s[6:7]
	v_mov_b32_e32 v8, s10
	s_xor_b64 exec, exec, s[6:7]
	s_cbranch_execz .LBB42_1834
.LBB42_3884:
	v_mov_b32_e32 v8, 0
	v_cmp_ne_u16_sdwa s[8:9], v12, v8 src0_sel:BYTE_0 src1_sel:DWORD
	s_andn2_b64 s[4:5], s[4:5], exec
	s_and_b64 s[8:9], s[8:9], exec
	s_or_b64 s[4:5], s[4:5], s[8:9]
	s_or_b64 exec, exec, s[6:7]
	s_and_saveexec_b64 s[6:7], s[4:5]
	s_cbranch_execnz .LBB42_1835
	s_branch .LBB42_1836
.LBB42_3885:
	s_movk_i32 s4, 0x80
	v_cmp_eq_u16_sdwa s[12:13], v12, s4 src0_sel:BYTE_0 src1_sel:DWORD
	s_mov_b64 s[4:5], -1
                                        ; implicit-def: $sgpr10
	s_and_saveexec_b64 s[8:9], s[12:13]
; %bb.3886:
	s_mov_b32 s10, 0x7f800001
	s_xor_b64 s[4:5], exec, -1
; %bb.3887:
	s_or_b64 exec, exec, s[8:9]
	s_and_b64 s[4:5], s[4:5], exec
	s_or_saveexec_b64 s[6:7], s[6:7]
	v_mov_b32_e32 v18, s10
	s_xor_b64 exec, exec, s[6:7]
	s_cbranch_execz .LBB42_1838
.LBB42_3888:
	v_mov_b32_e32 v18, 0
	v_cmp_ne_u16_sdwa s[8:9], v12, v18 src0_sel:BYTE_0 src1_sel:DWORD
	s_andn2_b64 s[4:5], s[4:5], exec
	s_and_b64 s[8:9], s[8:9], exec
	s_or_b64 s[4:5], s[4:5], s[8:9]
	s_or_b64 exec, exec, s[6:7]
	s_and_saveexec_b64 s[6:7], s[4:5]
	s_cbranch_execnz .LBB42_1839
	s_branch .LBB42_1840
.LBB42_3889:
	s_movk_i32 s4, 0x80
	v_cmp_eq_u16_e32 vcc, s4, v12
	s_mov_b64 s[4:5], -1
                                        ; implicit-def: $sgpr10
	s_and_saveexec_b64 s[8:9], vcc
; %bb.3890:
	s_mov_b32 s10, 0x7f800001
	s_xor_b64 s[4:5], exec, -1
; %bb.3891:
	s_or_b64 exec, exec, s[8:9]
	s_and_b64 s[4:5], s[4:5], exec
                                        ; implicit-def: $vgpr12
	s_or_saveexec_b64 s[6:7], s[6:7]
	v_mov_b32_e32 v8, s10
	s_xor_b64 exec, exec, s[6:7]
	s_cbranch_execz .LBB42_1842
.LBB42_3892:
	v_cmp_ne_u16_e32 vcc, 0, v12
	s_andn2_b64 s[4:5], s[4:5], exec
	s_and_b64 s[8:9], vcc, exec
	v_mov_b32_e32 v8, 0
	s_or_b64 s[4:5], s[4:5], s[8:9]
	s_or_b64 exec, exec, s[6:7]
	s_and_saveexec_b64 s[6:7], s[4:5]
	s_cbranch_execnz .LBB42_1843
	s_branch .LBB42_1844
.LBB42_3893:
	s_movk_i32 s4, 0x80
	v_cmp_eq_u16_e32 vcc, s4, v12
	s_mov_b64 s[4:5], -1
                                        ; implicit-def: $sgpr10
	s_and_saveexec_b64 s[8:9], vcc
; %bb.3894:
	s_mov_b32 s10, 0x7f800001
	s_xor_b64 s[4:5], exec, -1
; %bb.3895:
	s_or_b64 exec, exec, s[8:9]
	s_and_b64 s[4:5], s[4:5], exec
                                        ; implicit-def: $vgpr12
	s_or_saveexec_b64 s[6:7], s[6:7]
	v_mov_b32_e32 v18, s10
	s_xor_b64 exec, exec, s[6:7]
	s_cbranch_execz .LBB42_1846
.LBB42_3896:
	v_cmp_ne_u16_e32 vcc, 0, v12
	s_andn2_b64 s[4:5], s[4:5], exec
	s_and_b64 s[8:9], vcc, exec
	v_mov_b32_e32 v18, 0
	s_or_b64 s[4:5], s[4:5], s[8:9]
	s_or_b64 exec, exec, s[6:7]
	s_and_saveexec_b64 s[6:7], s[4:5]
	s_cbranch_execnz .LBB42_1847
	s_branch .LBB42_1848
.LBB42_3897:
	s_movk_i32 s4, 0x80
	v_cmp_eq_u16_sdwa s[12:13], v13, s4 src0_sel:BYTE_3 src1_sel:DWORD
	s_mov_b64 s[4:5], -1
                                        ; implicit-def: $sgpr10
	s_and_saveexec_b64 s[8:9], s[12:13]
; %bb.3898:
	s_mov_b32 s10, 0x7f800001
	s_xor_b64 s[4:5], exec, -1
; %bb.3899:
	s_or_b64 exec, exec, s[8:9]
	s_and_b64 s[4:5], s[4:5], exec
	s_or_saveexec_b64 s[6:7], s[6:7]
	v_mov_b32_e32 v8, s10
	s_xor_b64 exec, exec, s[6:7]
	s_cbranch_execz .LBB42_1850
.LBB42_3900:
	v_mov_b32_e32 v8, 0
	v_cmp_ne_u16_sdwa s[8:9], v13, v8 src0_sel:BYTE_3 src1_sel:DWORD
	s_andn2_b64 s[4:5], s[4:5], exec
	s_and_b64 s[8:9], s[8:9], exec
	s_or_b64 s[4:5], s[4:5], s[8:9]
	s_or_b64 exec, exec, s[6:7]
	s_and_saveexec_b64 s[6:7], s[4:5]
	s_cbranch_execnz .LBB42_1851
	s_branch .LBB42_1852
.LBB42_3901:
	s_movk_i32 s4, 0x80
	v_cmp_eq_u16_sdwa s[12:13], v9, s4 src0_sel:BYTE_3 src1_sel:DWORD
	s_mov_b64 s[4:5], -1
                                        ; implicit-def: $sgpr10
	s_and_saveexec_b64 s[8:9], s[12:13]
; %bb.3902:
	s_mov_b32 s10, 0x7f800001
	s_xor_b64 s[4:5], exec, -1
; %bb.3903:
	s_or_b64 exec, exec, s[8:9]
	s_and_b64 s[4:5], s[4:5], exec
	s_or_saveexec_b64 s[6:7], s[6:7]
	v_mov_b32_e32 v12, s10
	s_xor_b64 exec, exec, s[6:7]
	s_cbranch_execz .LBB42_1854
.LBB42_3904:
	v_mov_b32_e32 v12, 0
	v_cmp_ne_u16_sdwa s[8:9], v9, v12 src0_sel:BYTE_3 src1_sel:DWORD
	s_andn2_b64 s[4:5], s[4:5], exec
	s_and_b64 s[8:9], s[8:9], exec
	s_or_b64 s[4:5], s[4:5], s[8:9]
	s_or_b64 exec, exec, s[6:7]
	s_and_saveexec_b64 s[6:7], s[4:5]
	s_cbranch_execnz .LBB42_1855
	s_branch .LBB42_1856
.LBB42_3905:
	s_movk_i32 s4, 0x80
	v_cmp_eq_u16_sdwa s[12:13], v14, s4 src0_sel:BYTE_0 src1_sel:DWORD
	s_mov_b64 s[4:5], -1
                                        ; implicit-def: $sgpr10
	s_and_saveexec_b64 s[8:9], s[12:13]
; %bb.3906:
	s_mov_b32 s10, 0x7f800001
	s_xor_b64 s[4:5], exec, -1
; %bb.3907:
	s_or_b64 exec, exec, s[8:9]
	s_and_b64 s[4:5], s[4:5], exec
	s_or_saveexec_b64 s[6:7], s[6:7]
	v_mov_b32_e32 v8, s10
	s_xor_b64 exec, exec, s[6:7]
	s_cbranch_execz .LBB42_1858
.LBB42_3908:
	v_mov_b32_e32 v8, 0
	v_cmp_ne_u16_sdwa s[8:9], v14, v8 src0_sel:BYTE_0 src1_sel:DWORD
	s_andn2_b64 s[4:5], s[4:5], exec
	s_and_b64 s[8:9], s[8:9], exec
	s_or_b64 s[4:5], s[4:5], s[8:9]
	s_or_b64 exec, exec, s[6:7]
	s_and_saveexec_b64 s[6:7], s[4:5]
	s_cbranch_execnz .LBB42_1859
	s_branch .LBB42_1860
.LBB42_3909:
	s_movk_i32 s4, 0x80
	v_cmp_eq_u16_sdwa s[12:13], v10, s4 src0_sel:BYTE_0 src1_sel:DWORD
	s_mov_b64 s[4:5], -1
                                        ; implicit-def: $sgpr10
	s_and_saveexec_b64 s[8:9], s[12:13]
; %bb.3910:
	s_mov_b32 s10, 0x7f800001
	s_xor_b64 s[4:5], exec, -1
; %bb.3911:
	s_or_b64 exec, exec, s[8:9]
	s_and_b64 s[4:5], s[4:5], exec
	s_or_saveexec_b64 s[6:7], s[6:7]
	v_mov_b32_e32 v9, s10
	s_xor_b64 exec, exec, s[6:7]
	s_cbranch_execz .LBB42_1862
.LBB42_3912:
	v_mov_b32_e32 v9, 0
	v_cmp_ne_u16_sdwa s[8:9], v10, v9 src0_sel:BYTE_0 src1_sel:DWORD
	s_andn2_b64 s[4:5], s[4:5], exec
	s_and_b64 s[8:9], s[8:9], exec
	s_or_b64 s[4:5], s[4:5], s[8:9]
	s_or_b64 exec, exec, s[6:7]
	s_and_saveexec_b64 s[6:7], s[4:5]
	s_cbranch_execnz .LBB42_1863
	s_branch .LBB42_1864
.LBB42_3913:
	s_movk_i32 s4, 0x80
	v_cmp_eq_u16_sdwa s[12:13], v9, s4 src0_sel:BYTE_0 src1_sel:DWORD
	s_mov_b64 s[4:5], -1
                                        ; implicit-def: $sgpr10
	s_and_saveexec_b64 s[8:9], s[12:13]
; %bb.3914:
	s_mov_b32 s10, 0x7f800001
	s_xor_b64 s[4:5], exec, -1
; %bb.3915:
	s_or_b64 exec, exec, s[8:9]
	s_and_b64 s[4:5], s[4:5], exec
	s_or_saveexec_b64 s[6:7], s[6:7]
	v_mov_b32_e32 v8, s10
	s_xor_b64 exec, exec, s[6:7]
	s_cbranch_execz .LBB42_1866
.LBB42_3916:
	v_mov_b32_e32 v8, 0
	v_cmp_ne_u16_sdwa s[8:9], v9, v8 src0_sel:BYTE_0 src1_sel:DWORD
	s_andn2_b64 s[4:5], s[4:5], exec
	s_and_b64 s[8:9], s[8:9], exec
	s_or_b64 s[4:5], s[4:5], s[8:9]
	s_or_b64 exec, exec, s[6:7]
	s_and_saveexec_b64 s[6:7], s[4:5]
	s_cbranch_execnz .LBB42_1867
	s_branch .LBB42_1868
.LBB42_3917:
	s_movk_i32 s4, 0x80
	v_cmp_eq_u16_sdwa s[12:13], v9, s4 src0_sel:BYTE_0 src1_sel:DWORD
	s_mov_b64 s[4:5], -1
                                        ; implicit-def: $sgpr10
	s_and_saveexec_b64 s[8:9], s[12:13]
; %bb.3918:
	s_mov_b32 s10, 0x7f800001
	s_xor_b64 s[4:5], exec, -1
; %bb.3919:
	s_or_b64 exec, exec, s[8:9]
	s_and_b64 s[4:5], s[4:5], exec
	s_or_saveexec_b64 s[6:7], s[6:7]
	v_mov_b32_e32 v12, s10
	s_xor_b64 exec, exec, s[6:7]
	s_cbranch_execz .LBB42_1870
.LBB42_3920:
	v_mov_b32_e32 v12, 0
	v_cmp_ne_u16_sdwa s[8:9], v9, v12 src0_sel:BYTE_0 src1_sel:DWORD
	s_andn2_b64 s[4:5], s[4:5], exec
	s_and_b64 s[8:9], s[8:9], exec
	s_or_b64 s[4:5], s[4:5], s[8:9]
	s_or_b64 exec, exec, s[6:7]
	s_and_saveexec_b64 s[6:7], s[4:5]
	s_cbranch_execnz .LBB42_1871
	s_branch .LBB42_1872
.LBB42_3921:
	s_movk_i32 s4, 0x80
	v_cmp_eq_u16_e32 vcc, s4, v9
	s_mov_b64 s[4:5], -1
                                        ; implicit-def: $sgpr10
	s_and_saveexec_b64 s[8:9], vcc
; %bb.3922:
	s_mov_b32 s10, 0x7f800001
	s_xor_b64 s[4:5], exec, -1
; %bb.3923:
	s_or_b64 exec, exec, s[8:9]
	s_and_b64 s[4:5], s[4:5], exec
                                        ; implicit-def: $vgpr9
	s_or_saveexec_b64 s[6:7], s[6:7]
	v_mov_b32_e32 v8, s10
	s_xor_b64 exec, exec, s[6:7]
	s_cbranch_execz .LBB42_1874
.LBB42_3924:
	v_cmp_ne_u16_e32 vcc, 0, v9
	s_andn2_b64 s[4:5], s[4:5], exec
	s_and_b64 s[8:9], vcc, exec
	v_mov_b32_e32 v8, 0
	s_or_b64 s[4:5], s[4:5], s[8:9]
	s_or_b64 exec, exec, s[6:7]
	s_and_saveexec_b64 s[6:7], s[4:5]
	s_cbranch_execnz .LBB42_1875
	s_branch .LBB42_1876
.LBB42_3925:
	s_movk_i32 s4, 0x80
	v_cmp_eq_u16_e32 vcc, s4, v9
	s_mov_b64 s[4:5], -1
                                        ; implicit-def: $sgpr10
	s_and_saveexec_b64 s[8:9], vcc
; %bb.3926:
	s_mov_b32 s10, 0x7f800001
	s_xor_b64 s[4:5], exec, -1
; %bb.3927:
	s_or_b64 exec, exec, s[8:9]
	s_and_b64 s[4:5], s[4:5], exec
                                        ; implicit-def: $vgpr9
	s_or_saveexec_b64 s[6:7], s[6:7]
	v_mov_b32_e32 v12, s10
	s_xor_b64 exec, exec, s[6:7]
	s_cbranch_execz .LBB42_1878
.LBB42_3928:
	v_cmp_ne_u16_e32 vcc, 0, v9
	s_andn2_b64 s[4:5], s[4:5], exec
	s_and_b64 s[8:9], vcc, exec
	v_mov_b32_e32 v12, 0
	s_or_b64 s[4:5], s[4:5], s[8:9]
	s_or_b64 exec, exec, s[6:7]
	s_and_saveexec_b64 s[6:7], s[4:5]
	s_cbranch_execnz .LBB42_1879
	s_branch .LBB42_1880
.LBB42_3929:
	s_movk_i32 s4, 0x80
	v_cmp_eq_u16_sdwa s[12:13], v14, s4 src0_sel:BYTE_3 src1_sel:DWORD
	s_mov_b64 s[4:5], -1
                                        ; implicit-def: $sgpr10
	s_and_saveexec_b64 s[8:9], s[12:13]
; %bb.3930:
	s_mov_b32 s10, 0x7f800001
	s_xor_b64 s[4:5], exec, -1
; %bb.3931:
	s_or_b64 exec, exec, s[8:9]
	s_and_b64 s[4:5], s[4:5], exec
	s_or_saveexec_b64 s[6:7], s[6:7]
	v_mov_b32_e32 v8, s10
	s_xor_b64 exec, exec, s[6:7]
	s_cbranch_execz .LBB42_1882
.LBB42_3932:
	v_mov_b32_e32 v8, 0
	v_cmp_ne_u16_sdwa s[8:9], v14, v8 src0_sel:BYTE_3 src1_sel:DWORD
	s_andn2_b64 s[4:5], s[4:5], exec
	s_and_b64 s[8:9], s[8:9], exec
	s_or_b64 s[4:5], s[4:5], s[8:9]
	s_or_b64 exec, exec, s[6:7]
	s_and_saveexec_b64 s[6:7], s[4:5]
	s_cbranch_execnz .LBB42_1883
	s_branch .LBB42_1884
.LBB42_3933:
	s_movk_i32 s4, 0x80
	v_cmp_eq_u16_sdwa s[12:13], v10, s4 src0_sel:BYTE_3 src1_sel:DWORD
	s_mov_b64 s[4:5], -1
                                        ; implicit-def: $sgpr10
	s_and_saveexec_b64 s[8:9], s[12:13]
; %bb.3934:
	s_mov_b32 s10, 0x7f800001
	s_xor_b64 s[4:5], exec, -1
; %bb.3935:
	s_or_b64 exec, exec, s[8:9]
	s_and_b64 s[4:5], s[4:5], exec
	s_or_saveexec_b64 s[6:7], s[6:7]
	v_mov_b32_e32 v9, s10
	s_xor_b64 exec, exec, s[6:7]
	s_cbranch_execz .LBB42_1886
.LBB42_3936:
	v_mov_b32_e32 v9, 0
	v_cmp_ne_u16_sdwa s[8:9], v10, v9 src0_sel:BYTE_3 src1_sel:DWORD
	s_andn2_b64 s[4:5], s[4:5], exec
	s_and_b64 s[8:9], s[8:9], exec
	s_or_b64 s[4:5], s[4:5], s[8:9]
	s_or_b64 exec, exec, s[6:7]
	s_and_saveexec_b64 s[6:7], s[4:5]
	s_cbranch_execnz .LBB42_1887
	s_branch .LBB42_1888
.LBB42_3937:
	s_movk_i32 s4, 0x80
	v_cmp_eq_u16_sdwa s[12:13], v15, s4 src0_sel:BYTE_0 src1_sel:DWORD
	s_mov_b64 s[4:5], -1
                                        ; implicit-def: $sgpr10
	s_and_saveexec_b64 s[8:9], s[12:13]
; %bb.3938:
	s_mov_b32 s10, 0x7f800001
	s_xor_b64 s[4:5], exec, -1
; %bb.3939:
	s_or_b64 exec, exec, s[8:9]
	s_and_b64 s[4:5], s[4:5], exec
	s_or_saveexec_b64 s[6:7], s[6:7]
	v_mov_b32_e32 v8, s10
	s_xor_b64 exec, exec, s[6:7]
	s_cbranch_execz .LBB42_1890
.LBB42_3940:
	v_mov_b32_e32 v8, 0
	v_cmp_ne_u16_sdwa s[8:9], v15, v8 src0_sel:BYTE_0 src1_sel:DWORD
	s_andn2_b64 s[4:5], s[4:5], exec
	s_and_b64 s[8:9], s[8:9], exec
	s_or_b64 s[4:5], s[4:5], s[8:9]
	s_or_b64 exec, exec, s[6:7]
	s_and_saveexec_b64 s[6:7], s[4:5]
	s_cbranch_execnz .LBB42_1891
	s_branch .LBB42_1892
.LBB42_3941:
	s_movk_i32 s4, 0x80
	v_cmp_eq_u16_sdwa s[12:13], v11, s4 src0_sel:BYTE_0 src1_sel:DWORD
	s_mov_b64 s[4:5], -1
                                        ; implicit-def: $sgpr10
	s_and_saveexec_b64 s[8:9], s[12:13]
; %bb.3942:
	s_mov_b32 s10, 0x7f800001
	s_xor_b64 s[4:5], exec, -1
; %bb.3943:
	s_or_b64 exec, exec, s[8:9]
	s_and_b64 s[4:5], s[4:5], exec
	s_or_saveexec_b64 s[6:7], s[6:7]
	v_mov_b32_e32 v9, s10
	s_xor_b64 exec, exec, s[6:7]
	s_cbranch_execz .LBB42_1894
.LBB42_3944:
	v_mov_b32_e32 v9, 0
	v_cmp_ne_u16_sdwa s[8:9], v11, v9 src0_sel:BYTE_0 src1_sel:DWORD
	s_andn2_b64 s[4:5], s[4:5], exec
	s_and_b64 s[8:9], s[8:9], exec
	s_or_b64 s[4:5], s[4:5], s[8:9]
	s_or_b64 exec, exec, s[6:7]
	s_and_saveexec_b64 s[6:7], s[4:5]
	s_cbranch_execnz .LBB42_1895
	s_branch .LBB42_1896
.LBB42_3945:
	s_movk_i32 s4, 0x80
	v_cmp_eq_u16_sdwa s[12:13], v9, s4 src0_sel:BYTE_0 src1_sel:DWORD
	s_mov_b64 s[4:5], -1
                                        ; implicit-def: $sgpr10
	s_and_saveexec_b64 s[8:9], s[12:13]
; %bb.3946:
	s_mov_b32 s10, 0x7f800001
	s_xor_b64 s[4:5], exec, -1
; %bb.3947:
	s_or_b64 exec, exec, s[8:9]
	s_and_b64 s[4:5], s[4:5], exec
	s_or_saveexec_b64 s[6:7], s[6:7]
	v_mov_b32_e32 v8, s10
	s_xor_b64 exec, exec, s[6:7]
	s_cbranch_execz .LBB42_1898
.LBB42_3948:
	v_mov_b32_e32 v8, 0
	v_cmp_ne_u16_sdwa s[8:9], v9, v8 src0_sel:BYTE_0 src1_sel:DWORD
	s_andn2_b64 s[4:5], s[4:5], exec
	s_and_b64 s[8:9], s[8:9], exec
	s_or_b64 s[4:5], s[4:5], s[8:9]
	s_or_b64 exec, exec, s[6:7]
	s_and_saveexec_b64 s[6:7], s[4:5]
	s_cbranch_execnz .LBB42_1899
	s_branch .LBB42_1900
.LBB42_3949:
	s_movk_i32 s4, 0x80
	v_cmp_eq_u16_sdwa s[12:13], v9, s4 src0_sel:BYTE_0 src1_sel:DWORD
	s_mov_b64 s[4:5], -1
                                        ; implicit-def: $sgpr10
	s_and_saveexec_b64 s[8:9], s[12:13]
; %bb.3950:
	s_mov_b32 s10, 0x7f800001
	s_xor_b64 s[4:5], exec, -1
; %bb.3951:
	s_or_b64 exec, exec, s[8:9]
	s_and_b64 s[4:5], s[4:5], exec
	s_or_saveexec_b64 s[6:7], s[6:7]
	v_mov_b32_e32 v10, s10
	s_xor_b64 exec, exec, s[6:7]
	s_cbranch_execz .LBB42_1902
.LBB42_3952:
	v_mov_b32_e32 v10, 0
	v_cmp_ne_u16_sdwa s[8:9], v9, v10 src0_sel:BYTE_0 src1_sel:DWORD
	s_andn2_b64 s[4:5], s[4:5], exec
	s_and_b64 s[8:9], s[8:9], exec
	s_or_b64 s[4:5], s[4:5], s[8:9]
	s_or_b64 exec, exec, s[6:7]
	s_and_saveexec_b64 s[6:7], s[4:5]
	s_cbranch_execnz .LBB42_1903
	s_branch .LBB42_1904
.LBB42_3953:
	s_movk_i32 s4, 0x80
	v_cmp_eq_u16_e32 vcc, s4, v9
	s_mov_b64 s[4:5], -1
                                        ; implicit-def: $sgpr10
	s_and_saveexec_b64 s[8:9], vcc
; %bb.3954:
	s_mov_b32 s10, 0x7f800001
	s_xor_b64 s[4:5], exec, -1
; %bb.3955:
	s_or_b64 exec, exec, s[8:9]
	s_and_b64 s[4:5], s[4:5], exec
                                        ; implicit-def: $vgpr9
	s_or_saveexec_b64 s[6:7], s[6:7]
	v_mov_b32_e32 v8, s10
	s_xor_b64 exec, exec, s[6:7]
	s_cbranch_execz .LBB42_1906
.LBB42_3956:
	v_cmp_ne_u16_e32 vcc, 0, v9
	s_andn2_b64 s[4:5], s[4:5], exec
	s_and_b64 s[8:9], vcc, exec
	v_mov_b32_e32 v8, 0
	s_or_b64 s[4:5], s[4:5], s[8:9]
	s_or_b64 exec, exec, s[6:7]
	s_and_saveexec_b64 s[6:7], s[4:5]
	s_cbranch_execnz .LBB42_1907
	s_branch .LBB42_1908
.LBB42_3957:
	s_movk_i32 s4, 0x80
	v_cmp_eq_u16_e32 vcc, s4, v9
	s_mov_b64 s[4:5], -1
                                        ; implicit-def: $sgpr10
	s_and_saveexec_b64 s[8:9], vcc
; %bb.3958:
	s_mov_b32 s10, 0x7f800001
	s_xor_b64 s[4:5], exec, -1
; %bb.3959:
	s_or_b64 exec, exec, s[8:9]
	s_and_b64 s[4:5], s[4:5], exec
                                        ; implicit-def: $vgpr9
	s_or_saveexec_b64 s[6:7], s[6:7]
	v_mov_b32_e32 v10, s10
	s_xor_b64 exec, exec, s[6:7]
	s_cbranch_execz .LBB42_1910
.LBB42_3960:
	v_cmp_ne_u16_e32 vcc, 0, v9
	s_andn2_b64 s[4:5], s[4:5], exec
	s_and_b64 s[8:9], vcc, exec
	v_mov_b32_e32 v10, 0
	s_or_b64 s[4:5], s[4:5], s[8:9]
	s_or_b64 exec, exec, s[6:7]
	s_and_saveexec_b64 s[6:7], s[4:5]
	s_cbranch_execnz .LBB42_1911
	s_branch .LBB42_1912
.LBB42_3961:
	s_movk_i32 s4, 0x80
	v_cmp_eq_u16_sdwa s[12:13], v15, s4 src0_sel:BYTE_3 src1_sel:DWORD
	s_mov_b64 s[4:5], -1
                                        ; implicit-def: $sgpr10
	s_and_saveexec_b64 s[8:9], s[12:13]
; %bb.3962:
	s_mov_b32 s10, 0x7f800001
	s_xor_b64 s[4:5], exec, -1
; %bb.3963:
	s_or_b64 exec, exec, s[8:9]
	s_and_b64 s[4:5], s[4:5], exec
	s_or_saveexec_b64 s[6:7], s[6:7]
	v_mov_b32_e32 v8, s10
	s_xor_b64 exec, exec, s[6:7]
	s_cbranch_execz .LBB42_1914
.LBB42_3964:
	v_mov_b32_e32 v8, 0
	v_cmp_ne_u16_sdwa s[8:9], v15, v8 src0_sel:BYTE_3 src1_sel:DWORD
	s_andn2_b64 s[4:5], s[4:5], exec
	s_and_b64 s[8:9], s[8:9], exec
	s_or_b64 s[4:5], s[4:5], s[8:9]
	s_or_b64 exec, exec, s[6:7]
	s_and_saveexec_b64 s[6:7], s[4:5]
	s_cbranch_execnz .LBB42_1915
	s_branch .LBB42_1916
.LBB42_3965:
	s_movk_i32 s4, 0x80
	v_cmp_eq_u16_sdwa s[12:13], v11, s4 src0_sel:BYTE_3 src1_sel:DWORD
	s_mov_b64 s[4:5], -1
                                        ; implicit-def: $sgpr10
	s_and_saveexec_b64 s[8:9], s[12:13]
; %bb.3966:
	s_mov_b32 s10, 0x7f800001
	s_xor_b64 s[4:5], exec, -1
; %bb.3967:
	s_or_b64 exec, exec, s[8:9]
	s_and_b64 s[4:5], s[4:5], exec
	s_or_saveexec_b64 s[6:7], s[6:7]
	v_mov_b32_e32 v9, s10
	s_xor_b64 exec, exec, s[6:7]
	s_cbranch_execz .LBB42_1918
.LBB42_3968:
	v_mov_b32_e32 v9, 0
	v_cmp_ne_u16_sdwa s[8:9], v11, v9 src0_sel:BYTE_3 src1_sel:DWORD
	s_andn2_b64 s[4:5], s[4:5], exec
	s_and_b64 s[8:9], s[8:9], exec
	s_or_b64 s[4:5], s[4:5], s[8:9]
	s_or_b64 exec, exec, s[6:7]
	s_and_saveexec_b64 s[6:7], s[4:5]
	s_cbranch_execnz .LBB42_1919
	s_branch .LBB42_1920
.LBB42_3969:
	s_movk_i32 s4, 0x80
	v_cmp_eq_u16_sdwa s[12:13], v4, s4 src0_sel:BYTE_0 src1_sel:DWORD
	s_mov_b64 s[4:5], -1
                                        ; implicit-def: $sgpr10
	s_and_saveexec_b64 s[8:9], s[12:13]
; %bb.3970:
	s_mov_b32 s10, 0x7f800001
	s_xor_b64 s[4:5], exec, -1
; %bb.3971:
	s_or_b64 exec, exec, s[8:9]
	s_and_b64 s[4:5], s[4:5], exec
	s_or_saveexec_b64 s[6:7], s[6:7]
	v_mov_b32_e32 v8, s10
	s_xor_b64 exec, exec, s[6:7]
	s_cbranch_execz .LBB42_1922
.LBB42_3972:
	v_mov_b32_e32 v8, 0
	v_cmp_ne_u16_sdwa s[8:9], v4, v8 src0_sel:BYTE_0 src1_sel:DWORD
	s_andn2_b64 s[4:5], s[4:5], exec
	s_and_b64 s[8:9], s[8:9], exec
	s_or_b64 s[4:5], s[4:5], s[8:9]
	s_or_b64 exec, exec, s[6:7]
	s_and_saveexec_b64 s[6:7], s[4:5]
	s_cbranch_execnz .LBB42_1923
	s_branch .LBB42_1924
.LBB42_3973:
	s_movk_i32 s4, 0x80
	v_cmp_eq_u16_sdwa s[12:13], v0, s4 src0_sel:BYTE_0 src1_sel:DWORD
	s_mov_b64 s[4:5], -1
                                        ; implicit-def: $sgpr10
	s_and_saveexec_b64 s[8:9], s[12:13]
; %bb.3974:
	s_mov_b32 s10, 0x7f800001
	s_xor_b64 s[4:5], exec, -1
; %bb.3975:
	s_or_b64 exec, exec, s[8:9]
	s_and_b64 s[4:5], s[4:5], exec
	s_or_saveexec_b64 s[6:7], s[6:7]
	v_mov_b32_e32 v9, s10
	s_xor_b64 exec, exec, s[6:7]
	s_cbranch_execz .LBB42_1926
.LBB42_3976:
	v_mov_b32_e32 v9, 0
	v_cmp_ne_u16_sdwa s[8:9], v0, v9 src0_sel:BYTE_0 src1_sel:DWORD
	s_andn2_b64 s[4:5], s[4:5], exec
	s_and_b64 s[8:9], s[8:9], exec
	s_or_b64 s[4:5], s[4:5], s[8:9]
	s_or_b64 exec, exec, s[6:7]
	s_and_saveexec_b64 s[6:7], s[4:5]
	s_cbranch_execnz .LBB42_1927
	s_branch .LBB42_1928
.LBB42_3977:
	s_movk_i32 s4, 0x80
	v_cmp_eq_u16_sdwa s[12:13], v9, s4 src0_sel:BYTE_0 src1_sel:DWORD
	s_mov_b64 s[4:5], -1
                                        ; implicit-def: $sgpr10
	s_and_saveexec_b64 s[8:9], s[12:13]
; %bb.3978:
	s_mov_b32 s10, 0x7f800001
	s_xor_b64 s[4:5], exec, -1
; %bb.3979:
	s_or_b64 exec, exec, s[8:9]
	s_and_b64 s[4:5], s[4:5], exec
	s_or_saveexec_b64 s[6:7], s[6:7]
	v_mov_b32_e32 v8, s10
	s_xor_b64 exec, exec, s[6:7]
	s_cbranch_execz .LBB42_1930
.LBB42_3980:
	v_mov_b32_e32 v8, 0
	v_cmp_ne_u16_sdwa s[8:9], v9, v8 src0_sel:BYTE_0 src1_sel:DWORD
	s_andn2_b64 s[4:5], s[4:5], exec
	s_and_b64 s[8:9], s[8:9], exec
	s_or_b64 s[4:5], s[4:5], s[8:9]
	s_or_b64 exec, exec, s[6:7]
	s_and_saveexec_b64 s[6:7], s[4:5]
	s_cbranch_execnz .LBB42_1931
	s_branch .LBB42_1932
.LBB42_3981:
	s_movk_i32 s4, 0x80
	v_cmp_eq_u16_sdwa s[12:13], v9, s4 src0_sel:BYTE_0 src1_sel:DWORD
	s_mov_b64 s[4:5], -1
                                        ; implicit-def: $sgpr10
	s_and_saveexec_b64 s[8:9], s[12:13]
; %bb.3982:
	s_mov_b32 s10, 0x7f800001
	s_xor_b64 s[4:5], exec, -1
; %bb.3983:
	s_or_b64 exec, exec, s[8:9]
	s_and_b64 s[4:5], s[4:5], exec
	s_or_saveexec_b64 s[6:7], s[6:7]
	v_mov_b32_e32 v10, s10
	s_xor_b64 exec, exec, s[6:7]
	s_cbranch_execz .LBB42_1934
.LBB42_3984:
	v_mov_b32_e32 v10, 0
	v_cmp_ne_u16_sdwa s[8:9], v9, v10 src0_sel:BYTE_0 src1_sel:DWORD
	s_andn2_b64 s[4:5], s[4:5], exec
	s_and_b64 s[8:9], s[8:9], exec
	s_or_b64 s[4:5], s[4:5], s[8:9]
	s_or_b64 exec, exec, s[6:7]
	s_and_saveexec_b64 s[6:7], s[4:5]
	s_cbranch_execnz .LBB42_1935
	s_branch .LBB42_1936
.LBB42_3985:
	s_movk_i32 s4, 0x80
	v_cmp_eq_u16_e32 vcc, s4, v9
	s_mov_b64 s[4:5], -1
                                        ; implicit-def: $sgpr10
	s_and_saveexec_b64 s[8:9], vcc
; %bb.3986:
	s_mov_b32 s10, 0x7f800001
	s_xor_b64 s[4:5], exec, -1
; %bb.3987:
	s_or_b64 exec, exec, s[8:9]
	s_and_b64 s[4:5], s[4:5], exec
                                        ; implicit-def: $vgpr9
	s_or_saveexec_b64 s[6:7], s[6:7]
	v_mov_b32_e32 v8, s10
	s_xor_b64 exec, exec, s[6:7]
	s_cbranch_execz .LBB42_1938
.LBB42_3988:
	v_cmp_ne_u16_e32 vcc, 0, v9
	s_andn2_b64 s[4:5], s[4:5], exec
	s_and_b64 s[8:9], vcc, exec
	v_mov_b32_e32 v8, 0
	s_or_b64 s[4:5], s[4:5], s[8:9]
	s_or_b64 exec, exec, s[6:7]
	s_and_saveexec_b64 s[6:7], s[4:5]
	s_cbranch_execnz .LBB42_1939
	s_branch .LBB42_1940
.LBB42_3989:
	s_movk_i32 s4, 0x80
	v_cmp_eq_u16_e32 vcc, s4, v9
	s_mov_b64 s[4:5], -1
                                        ; implicit-def: $sgpr10
	s_and_saveexec_b64 s[8:9], vcc
; %bb.3990:
	s_mov_b32 s10, 0x7f800001
	s_xor_b64 s[4:5], exec, -1
; %bb.3991:
	s_or_b64 exec, exec, s[8:9]
	s_and_b64 s[4:5], s[4:5], exec
                                        ; implicit-def: $vgpr9
	s_or_saveexec_b64 s[6:7], s[6:7]
	v_mov_b32_e32 v10, s10
	s_xor_b64 exec, exec, s[6:7]
	s_cbranch_execz .LBB42_1942
.LBB42_3992:
	v_cmp_ne_u16_e32 vcc, 0, v9
	s_andn2_b64 s[4:5], s[4:5], exec
	s_and_b64 s[8:9], vcc, exec
	v_mov_b32_e32 v10, 0
	s_or_b64 s[4:5], s[4:5], s[8:9]
	s_or_b64 exec, exec, s[6:7]
	s_and_saveexec_b64 s[6:7], s[4:5]
	s_cbranch_execnz .LBB42_1943
	s_branch .LBB42_1944
.LBB42_3993:
	s_movk_i32 s4, 0x80
	v_cmp_eq_u16_sdwa s[12:13], v4, s4 src0_sel:BYTE_3 src1_sel:DWORD
	s_mov_b64 s[4:5], -1
                                        ; implicit-def: $sgpr10
	s_and_saveexec_b64 s[8:9], s[12:13]
; %bb.3994:
	s_mov_b32 s10, 0x7f800001
	s_xor_b64 s[4:5], exec, -1
; %bb.3995:
	s_or_b64 exec, exec, s[8:9]
	s_and_b64 s[4:5], s[4:5], exec
	s_or_saveexec_b64 s[6:7], s[6:7]
	v_mov_b32_e32 v8, s10
	s_xor_b64 exec, exec, s[6:7]
	s_cbranch_execz .LBB42_1946
.LBB42_3996:
	v_mov_b32_e32 v8, 0
	v_cmp_ne_u16_sdwa s[8:9], v4, v8 src0_sel:BYTE_3 src1_sel:DWORD
	s_andn2_b64 s[4:5], s[4:5], exec
	s_and_b64 s[8:9], s[8:9], exec
	s_or_b64 s[4:5], s[4:5], s[8:9]
	s_or_b64 exec, exec, s[6:7]
	s_and_saveexec_b64 s[6:7], s[4:5]
	s_cbranch_execnz .LBB42_1947
	s_branch .LBB42_1948
.LBB42_3997:
	s_movk_i32 s4, 0x80
	v_cmp_eq_u16_sdwa s[12:13], v0, s4 src0_sel:BYTE_3 src1_sel:DWORD
	s_mov_b64 s[4:5], -1
                                        ; implicit-def: $sgpr10
	s_and_saveexec_b64 s[8:9], s[12:13]
; %bb.3998:
	s_mov_b32 s10, 0x7f800001
	s_xor_b64 s[4:5], exec, -1
; %bb.3999:
	s_or_b64 exec, exec, s[8:9]
	s_and_b64 s[4:5], s[4:5], exec
	s_or_saveexec_b64 s[6:7], s[6:7]
	v_mov_b32_e32 v4, s10
	s_xor_b64 exec, exec, s[6:7]
	s_cbranch_execz .LBB42_1950
.LBB42_4000:
	v_mov_b32_e32 v4, 0
	v_cmp_ne_u16_sdwa s[8:9], v0, v4 src0_sel:BYTE_3 src1_sel:DWORD
	s_andn2_b64 s[4:5], s[4:5], exec
	s_and_b64 s[8:9], s[8:9], exec
	s_or_b64 s[4:5], s[4:5], s[8:9]
	s_or_b64 exec, exec, s[6:7]
	s_and_saveexec_b64 s[6:7], s[4:5]
	s_cbranch_execnz .LBB42_1951
	s_branch .LBB42_1952
.LBB42_4001:
	s_movk_i32 s4, 0x80
	v_cmp_eq_u16_sdwa s[12:13], v5, s4 src0_sel:BYTE_0 src1_sel:DWORD
	s_mov_b64 s[4:5], -1
                                        ; implicit-def: $sgpr10
	s_and_saveexec_b64 s[8:9], s[12:13]
; %bb.4002:
	s_mov_b32 s10, 0x7f800001
	s_xor_b64 s[4:5], exec, -1
; %bb.4003:
	s_or_b64 exec, exec, s[8:9]
	s_and_b64 s[4:5], s[4:5], exec
	s_or_saveexec_b64 s[6:7], s[6:7]
	v_mov_b32_e32 v0, s10
	s_xor_b64 exec, exec, s[6:7]
	s_cbranch_execz .LBB42_1954
.LBB42_4004:
	v_mov_b32_e32 v0, 0
	v_cmp_ne_u16_sdwa s[8:9], v5, v0 src0_sel:BYTE_0 src1_sel:DWORD
	s_andn2_b64 s[4:5], s[4:5], exec
	s_and_b64 s[8:9], s[8:9], exec
	s_or_b64 s[4:5], s[4:5], s[8:9]
	s_or_b64 exec, exec, s[6:7]
	s_and_saveexec_b64 s[6:7], s[4:5]
	s_cbranch_execnz .LBB42_1955
	s_branch .LBB42_1956
.LBB42_4005:
	s_movk_i32 s4, 0x80
	v_cmp_eq_u16_sdwa s[12:13], v1, s4 src0_sel:BYTE_0 src1_sel:DWORD
	s_mov_b64 s[4:5], -1
                                        ; implicit-def: $sgpr10
	s_and_saveexec_b64 s[8:9], s[12:13]
; %bb.4006:
	s_mov_b32 s10, 0x7f800001
	s_xor_b64 s[4:5], exec, -1
; %bb.4007:
	s_or_b64 exec, exec, s[8:9]
	s_and_b64 s[4:5], s[4:5], exec
	s_or_saveexec_b64 s[6:7], s[6:7]
	v_mov_b32_e32 v4, s10
	s_xor_b64 exec, exec, s[6:7]
	s_cbranch_execz .LBB42_1958
.LBB42_4008:
	v_mov_b32_e32 v4, 0
	v_cmp_ne_u16_sdwa s[8:9], v1, v4 src0_sel:BYTE_0 src1_sel:DWORD
	s_andn2_b64 s[4:5], s[4:5], exec
	s_and_b64 s[8:9], s[8:9], exec
	s_or_b64 s[4:5], s[4:5], s[8:9]
	s_or_b64 exec, exec, s[6:7]
	s_and_saveexec_b64 s[6:7], s[4:5]
	s_cbranch_execnz .LBB42_1959
	s_branch .LBB42_1960
.LBB42_4009:
	s_movk_i32 s4, 0x80
	v_cmp_eq_u16_sdwa s[12:13], v4, s4 src0_sel:BYTE_0 src1_sel:DWORD
	s_mov_b64 s[4:5], -1
                                        ; implicit-def: $sgpr10
	s_and_saveexec_b64 s[8:9], s[12:13]
; %bb.4010:
	s_mov_b32 s10, 0x7f800001
	s_xor_b64 s[4:5], exec, -1
; %bb.4011:
	s_or_b64 exec, exec, s[8:9]
	s_and_b64 s[4:5], s[4:5], exec
	s_or_saveexec_b64 s[6:7], s[6:7]
	v_mov_b32_e32 v0, s10
	s_xor_b64 exec, exec, s[6:7]
	s_cbranch_execz .LBB42_1962
.LBB42_4012:
	v_mov_b32_e32 v0, 0
	v_cmp_ne_u16_sdwa s[8:9], v4, v0 src0_sel:BYTE_0 src1_sel:DWORD
	s_andn2_b64 s[4:5], s[4:5], exec
	s_and_b64 s[8:9], s[8:9], exec
	s_or_b64 s[4:5], s[4:5], s[8:9]
	s_or_b64 exec, exec, s[6:7]
	s_and_saveexec_b64 s[6:7], s[4:5]
	s_cbranch_execnz .LBB42_1963
	s_branch .LBB42_1964
.LBB42_4013:
	s_movk_i32 s4, 0x80
	v_cmp_eq_u16_sdwa s[12:13], v4, s4 src0_sel:BYTE_0 src1_sel:DWORD
	s_mov_b64 s[4:5], -1
                                        ; implicit-def: $sgpr10
	s_and_saveexec_b64 s[8:9], s[12:13]
; %bb.4014:
	s_mov_b32 s10, 0x7f800001
	s_xor_b64 s[4:5], exec, -1
; %bb.4015:
	s_or_b64 exec, exec, s[8:9]
	s_and_b64 s[4:5], s[4:5], exec
	s_or_saveexec_b64 s[6:7], s[6:7]
	v_mov_b32_e32 v8, s10
	s_xor_b64 exec, exec, s[6:7]
	s_cbranch_execz .LBB42_1966
.LBB42_4016:
	v_mov_b32_e32 v8, 0
	v_cmp_ne_u16_sdwa s[8:9], v4, v8 src0_sel:BYTE_0 src1_sel:DWORD
	s_andn2_b64 s[4:5], s[4:5], exec
	s_and_b64 s[8:9], s[8:9], exec
	s_or_b64 s[4:5], s[4:5], s[8:9]
	s_or_b64 exec, exec, s[6:7]
	s_and_saveexec_b64 s[6:7], s[4:5]
	s_cbranch_execnz .LBB42_1967
	s_branch .LBB42_1968
.LBB42_4017:
	s_movk_i32 s4, 0x80
	v_cmp_eq_u16_e32 vcc, s4, v4
	s_mov_b64 s[4:5], -1
                                        ; implicit-def: $sgpr10
	s_and_saveexec_b64 s[8:9], vcc
; %bb.4018:
	s_mov_b32 s10, 0x7f800001
	s_xor_b64 s[4:5], exec, -1
; %bb.4019:
	s_or_b64 exec, exec, s[8:9]
	s_and_b64 s[4:5], s[4:5], exec
                                        ; implicit-def: $vgpr4
	s_or_saveexec_b64 s[6:7], s[6:7]
	v_mov_b32_e32 v0, s10
	s_xor_b64 exec, exec, s[6:7]
	s_cbranch_execz .LBB42_1970
.LBB42_4020:
	v_cmp_ne_u16_e32 vcc, 0, v4
	s_andn2_b64 s[4:5], s[4:5], exec
	s_and_b64 s[8:9], vcc, exec
	v_mov_b32_e32 v0, 0
	s_or_b64 s[4:5], s[4:5], s[8:9]
	s_or_b64 exec, exec, s[6:7]
	s_and_saveexec_b64 s[6:7], s[4:5]
	s_cbranch_execnz .LBB42_1971
	s_branch .LBB42_1972
.LBB42_4021:
	s_movk_i32 s4, 0x80
	v_cmp_eq_u16_e32 vcc, s4, v4
	s_mov_b64 s[4:5], -1
                                        ; implicit-def: $sgpr10
	s_and_saveexec_b64 s[8:9], vcc
; %bb.4022:
	s_mov_b32 s10, 0x7f800001
	s_xor_b64 s[4:5], exec, -1
; %bb.4023:
	s_or_b64 exec, exec, s[8:9]
	s_and_b64 s[4:5], s[4:5], exec
                                        ; implicit-def: $vgpr4
	s_or_saveexec_b64 s[6:7], s[6:7]
	v_mov_b32_e32 v8, s10
	s_xor_b64 exec, exec, s[6:7]
	s_cbranch_execz .LBB42_1974
.LBB42_4024:
	v_cmp_ne_u16_e32 vcc, 0, v4
	s_andn2_b64 s[4:5], s[4:5], exec
	s_and_b64 s[8:9], vcc, exec
	v_mov_b32_e32 v8, 0
	s_or_b64 s[4:5], s[4:5], s[8:9]
	s_or_b64 exec, exec, s[6:7]
	s_and_saveexec_b64 s[6:7], s[4:5]
	s_cbranch_execnz .LBB42_1975
	s_branch .LBB42_1976
.LBB42_4025:
	s_movk_i32 s4, 0x80
	v_cmp_eq_u16_sdwa s[12:13], v5, s4 src0_sel:BYTE_3 src1_sel:DWORD
	s_mov_b64 s[4:5], -1
                                        ; implicit-def: $sgpr10
	s_and_saveexec_b64 s[8:9], s[12:13]
; %bb.4026:
	s_mov_b32 s10, 0x7f800001
	s_xor_b64 s[4:5], exec, -1
; %bb.4027:
	s_or_b64 exec, exec, s[8:9]
	s_and_b64 s[4:5], s[4:5], exec
	s_or_saveexec_b64 s[6:7], s[6:7]
	v_mov_b32_e32 v0, s10
	s_xor_b64 exec, exec, s[6:7]
	s_cbranch_execz .LBB42_1978
.LBB42_4028:
	v_mov_b32_e32 v0, 0
	v_cmp_ne_u16_sdwa s[8:9], v5, v0 src0_sel:BYTE_3 src1_sel:DWORD
	s_andn2_b64 s[4:5], s[4:5], exec
	s_and_b64 s[8:9], s[8:9], exec
	s_or_b64 s[4:5], s[4:5], s[8:9]
	s_or_b64 exec, exec, s[6:7]
	s_and_saveexec_b64 s[6:7], s[4:5]
	s_cbranch_execnz .LBB42_1979
	s_branch .LBB42_1980
.LBB42_4029:
	s_movk_i32 s4, 0x80
	v_cmp_eq_u16_sdwa s[12:13], v1, s4 src0_sel:BYTE_3 src1_sel:DWORD
	s_mov_b64 s[4:5], -1
                                        ; implicit-def: $sgpr10
	s_and_saveexec_b64 s[8:9], s[12:13]
; %bb.4030:
	s_mov_b32 s10, 0x7f800001
	s_xor_b64 s[4:5], exec, -1
; %bb.4031:
	s_or_b64 exec, exec, s[8:9]
	s_and_b64 s[4:5], s[4:5], exec
	s_or_saveexec_b64 s[6:7], s[6:7]
	v_mov_b32_e32 v4, s10
	s_xor_b64 exec, exec, s[6:7]
	s_cbranch_execz .LBB42_1982
.LBB42_4032:
	v_mov_b32_e32 v4, 0
	v_cmp_ne_u16_sdwa s[8:9], v1, v4 src0_sel:BYTE_3 src1_sel:DWORD
	s_andn2_b64 s[4:5], s[4:5], exec
	s_and_b64 s[8:9], s[8:9], exec
	s_or_b64 s[4:5], s[4:5], s[8:9]
	s_or_b64 exec, exec, s[6:7]
	s_and_saveexec_b64 s[6:7], s[4:5]
	s_cbranch_execnz .LBB42_1983
	s_branch .LBB42_1984
.LBB42_4033:
	s_movk_i32 s4, 0x80
	v_cmp_eq_u16_sdwa s[12:13], v6, s4 src0_sel:BYTE_0 src1_sel:DWORD
	s_mov_b64 s[4:5], -1
                                        ; implicit-def: $sgpr10
	s_and_saveexec_b64 s[8:9], s[12:13]
; %bb.4034:
	s_mov_b32 s10, 0x7f800001
	s_xor_b64 s[4:5], exec, -1
; %bb.4035:
	s_or_b64 exec, exec, s[8:9]
	s_and_b64 s[4:5], s[4:5], exec
	s_or_saveexec_b64 s[6:7], s[6:7]
	v_mov_b32_e32 v0, s10
	s_xor_b64 exec, exec, s[6:7]
	s_cbranch_execz .LBB42_1986
.LBB42_4036:
	v_mov_b32_e32 v0, 0
	v_cmp_ne_u16_sdwa s[8:9], v6, v0 src0_sel:BYTE_0 src1_sel:DWORD
	s_andn2_b64 s[4:5], s[4:5], exec
	s_and_b64 s[8:9], s[8:9], exec
	s_or_b64 s[4:5], s[4:5], s[8:9]
	s_or_b64 exec, exec, s[6:7]
	s_and_saveexec_b64 s[6:7], s[4:5]
	s_cbranch_execnz .LBB42_1987
	s_branch .LBB42_1988
.LBB42_4037:
	s_movk_i32 s4, 0x80
	v_cmp_eq_u16_sdwa s[12:13], v2, s4 src0_sel:BYTE_0 src1_sel:DWORD
	s_mov_b64 s[4:5], -1
                                        ; implicit-def: $sgpr10
	s_and_saveexec_b64 s[8:9], s[12:13]
; %bb.4038:
	s_mov_b32 s10, 0x7f800001
	s_xor_b64 s[4:5], exec, -1
; %bb.4039:
	s_or_b64 exec, exec, s[8:9]
	s_and_b64 s[4:5], s[4:5], exec
	s_or_saveexec_b64 s[6:7], s[6:7]
	v_mov_b32_e32 v1, s10
	s_xor_b64 exec, exec, s[6:7]
	s_cbranch_execz .LBB42_1990
.LBB42_4040:
	v_mov_b32_e32 v1, 0
	v_cmp_ne_u16_sdwa s[8:9], v2, v1 src0_sel:BYTE_0 src1_sel:DWORD
	s_andn2_b64 s[4:5], s[4:5], exec
	s_and_b64 s[8:9], s[8:9], exec
	s_or_b64 s[4:5], s[4:5], s[8:9]
	s_or_b64 exec, exec, s[6:7]
	s_and_saveexec_b64 s[6:7], s[4:5]
	s_cbranch_execnz .LBB42_1991
	s_branch .LBB42_1992
.LBB42_4041:
	s_movk_i32 s4, 0x80
	v_cmp_eq_u16_sdwa s[12:13], v1, s4 src0_sel:BYTE_0 src1_sel:DWORD
	s_mov_b64 s[4:5], -1
                                        ; implicit-def: $sgpr10
	s_and_saveexec_b64 s[8:9], s[12:13]
; %bb.4042:
	s_mov_b32 s10, 0x7f800001
	s_xor_b64 s[4:5], exec, -1
; %bb.4043:
	s_or_b64 exec, exec, s[8:9]
	s_and_b64 s[4:5], s[4:5], exec
	s_or_saveexec_b64 s[6:7], s[6:7]
	v_mov_b32_e32 v0, s10
	s_xor_b64 exec, exec, s[6:7]
	s_cbranch_execz .LBB42_1994
.LBB42_4044:
	v_mov_b32_e32 v0, 0
	v_cmp_ne_u16_sdwa s[8:9], v1, v0 src0_sel:BYTE_0 src1_sel:DWORD
	s_andn2_b64 s[4:5], s[4:5], exec
	s_and_b64 s[8:9], s[8:9], exec
	s_or_b64 s[4:5], s[4:5], s[8:9]
	s_or_b64 exec, exec, s[6:7]
	s_and_saveexec_b64 s[6:7], s[4:5]
	s_cbranch_execnz .LBB42_1995
	s_branch .LBB42_1996
.LBB42_4045:
	s_movk_i32 s4, 0x80
	v_cmp_eq_u16_sdwa s[12:13], v1, s4 src0_sel:BYTE_0 src1_sel:DWORD
	s_mov_b64 s[4:5], -1
                                        ; implicit-def: $sgpr10
	s_and_saveexec_b64 s[8:9], s[12:13]
; %bb.4046:
	s_mov_b32 s10, 0x7f800001
	s_xor_b64 s[4:5], exec, -1
; %bb.4047:
	s_or_b64 exec, exec, s[8:9]
	s_and_b64 s[4:5], s[4:5], exec
	s_or_saveexec_b64 s[6:7], s[6:7]
	v_mov_b32_e32 v4, s10
	s_xor_b64 exec, exec, s[6:7]
	s_cbranch_execz .LBB42_1998
.LBB42_4048:
	v_mov_b32_e32 v4, 0
	v_cmp_ne_u16_sdwa s[8:9], v1, v4 src0_sel:BYTE_0 src1_sel:DWORD
	s_andn2_b64 s[4:5], s[4:5], exec
	s_and_b64 s[8:9], s[8:9], exec
	s_or_b64 s[4:5], s[4:5], s[8:9]
	s_or_b64 exec, exec, s[6:7]
	s_and_saveexec_b64 s[6:7], s[4:5]
	s_cbranch_execnz .LBB42_1999
	s_branch .LBB42_2000
.LBB42_4049:
	s_movk_i32 s4, 0x80
	v_cmp_eq_u16_e32 vcc, s4, v1
	s_mov_b64 s[4:5], -1
                                        ; implicit-def: $sgpr10
	s_and_saveexec_b64 s[8:9], vcc
; %bb.4050:
	s_mov_b32 s10, 0x7f800001
	s_xor_b64 s[4:5], exec, -1
; %bb.4051:
	s_or_b64 exec, exec, s[8:9]
	s_and_b64 s[4:5], s[4:5], exec
                                        ; implicit-def: $vgpr1
	s_or_saveexec_b64 s[6:7], s[6:7]
	v_mov_b32_e32 v0, s10
	s_xor_b64 exec, exec, s[6:7]
	s_cbranch_execz .LBB42_2002
.LBB42_4052:
	v_cmp_ne_u16_e32 vcc, 0, v1
	s_andn2_b64 s[4:5], s[4:5], exec
	s_and_b64 s[8:9], vcc, exec
	v_mov_b32_e32 v0, 0
	s_or_b64 s[4:5], s[4:5], s[8:9]
	s_or_b64 exec, exec, s[6:7]
	s_and_saveexec_b64 s[6:7], s[4:5]
	s_cbranch_execnz .LBB42_2003
	s_branch .LBB42_2004
.LBB42_4053:
	s_movk_i32 s4, 0x80
	v_cmp_eq_u16_e32 vcc, s4, v1
	s_mov_b64 s[4:5], -1
                                        ; implicit-def: $sgpr10
	s_and_saveexec_b64 s[8:9], vcc
; %bb.4054:
	s_mov_b32 s10, 0x7f800001
	s_xor_b64 s[4:5], exec, -1
; %bb.4055:
	s_or_b64 exec, exec, s[8:9]
	s_and_b64 s[4:5], s[4:5], exec
                                        ; implicit-def: $vgpr1
	s_or_saveexec_b64 s[6:7], s[6:7]
	v_mov_b32_e32 v4, s10
	s_xor_b64 exec, exec, s[6:7]
	s_cbranch_execz .LBB42_2006
.LBB42_4056:
	v_cmp_ne_u16_e32 vcc, 0, v1
	s_andn2_b64 s[4:5], s[4:5], exec
	s_and_b64 s[8:9], vcc, exec
	v_mov_b32_e32 v4, 0
	s_or_b64 s[4:5], s[4:5], s[8:9]
	s_or_b64 exec, exec, s[6:7]
	s_and_saveexec_b64 s[6:7], s[4:5]
	s_cbranch_execnz .LBB42_2007
	s_branch .LBB42_2008
.LBB42_4057:
	s_movk_i32 s4, 0x80
	v_cmp_eq_u16_sdwa s[12:13], v6, s4 src0_sel:BYTE_3 src1_sel:DWORD
	s_mov_b64 s[4:5], -1
                                        ; implicit-def: $sgpr10
	s_and_saveexec_b64 s[8:9], s[12:13]
; %bb.4058:
	s_mov_b32 s10, 0x7f800001
	s_xor_b64 s[4:5], exec, -1
; %bb.4059:
	s_or_b64 exec, exec, s[8:9]
	s_and_b64 s[4:5], s[4:5], exec
	s_or_saveexec_b64 s[6:7], s[6:7]
	v_mov_b32_e32 v0, s10
	s_xor_b64 exec, exec, s[6:7]
	s_cbranch_execz .LBB42_2010
.LBB42_4060:
	v_mov_b32_e32 v0, 0
	v_cmp_ne_u16_sdwa s[8:9], v6, v0 src0_sel:BYTE_3 src1_sel:DWORD
	s_andn2_b64 s[4:5], s[4:5], exec
	s_and_b64 s[8:9], s[8:9], exec
	s_or_b64 s[4:5], s[4:5], s[8:9]
	s_or_b64 exec, exec, s[6:7]
	s_and_saveexec_b64 s[6:7], s[4:5]
	s_cbranch_execnz .LBB42_2011
	s_branch .LBB42_2012
.LBB42_4061:
	s_movk_i32 s4, 0x80
	v_cmp_eq_u16_sdwa s[12:13], v2, s4 src0_sel:BYTE_3 src1_sel:DWORD
	s_mov_b64 s[4:5], -1
                                        ; implicit-def: $sgpr10
	s_and_saveexec_b64 s[8:9], s[12:13]
; %bb.4062:
	s_mov_b32 s10, 0x7f800001
	s_xor_b64 s[4:5], exec, -1
; %bb.4063:
	s_or_b64 exec, exec, s[8:9]
	s_and_b64 s[4:5], s[4:5], exec
	s_or_saveexec_b64 s[6:7], s[6:7]
	v_mov_b32_e32 v1, s10
	s_xor_b64 exec, exec, s[6:7]
	s_cbranch_execz .LBB42_2014
.LBB42_4064:
	v_mov_b32_e32 v1, 0
	v_cmp_ne_u16_sdwa s[8:9], v2, v1 src0_sel:BYTE_3 src1_sel:DWORD
	s_andn2_b64 s[4:5], s[4:5], exec
	s_and_b64 s[8:9], s[8:9], exec
	s_or_b64 s[4:5], s[4:5], s[8:9]
	s_or_b64 exec, exec, s[6:7]
	s_and_saveexec_b64 s[6:7], s[4:5]
	s_cbranch_execnz .LBB42_2015
	s_branch .LBB42_2016
.LBB42_4065:
	s_movk_i32 s4, 0x80
	v_cmp_eq_u16_sdwa s[12:13], v7, s4 src0_sel:BYTE_0 src1_sel:DWORD
	s_mov_b64 s[4:5], -1
                                        ; implicit-def: $sgpr10
	s_and_saveexec_b64 s[8:9], s[12:13]
; %bb.4066:
	s_mov_b32 s10, 0x7f800001
	s_xor_b64 s[4:5], exec, -1
; %bb.4067:
	s_or_b64 exec, exec, s[8:9]
	s_and_b64 s[4:5], s[4:5], exec
	s_or_saveexec_b64 s[6:7], s[6:7]
	v_mov_b32_e32 v0, s10
	s_xor_b64 exec, exec, s[6:7]
	s_cbranch_execz .LBB42_2018
.LBB42_4068:
	v_mov_b32_e32 v0, 0
	v_cmp_ne_u16_sdwa s[8:9], v7, v0 src0_sel:BYTE_0 src1_sel:DWORD
	s_andn2_b64 s[4:5], s[4:5], exec
	s_and_b64 s[8:9], s[8:9], exec
	s_or_b64 s[4:5], s[4:5], s[8:9]
	s_or_b64 exec, exec, s[6:7]
	s_and_saveexec_b64 s[6:7], s[4:5]
	s_cbranch_execnz .LBB42_2019
	s_branch .LBB42_2020
.LBB42_4069:
	s_movk_i32 s4, 0x80
	v_cmp_eq_u16_sdwa s[12:13], v3, s4 src0_sel:BYTE_0 src1_sel:DWORD
	s_mov_b64 s[4:5], -1
                                        ; implicit-def: $sgpr10
	s_and_saveexec_b64 s[8:9], s[12:13]
; %bb.4070:
	s_mov_b32 s10, 0x7f800001
	s_xor_b64 s[4:5], exec, -1
; %bb.4071:
	s_or_b64 exec, exec, s[8:9]
	s_and_b64 s[4:5], s[4:5], exec
	s_or_saveexec_b64 s[6:7], s[6:7]
	v_mov_b32_e32 v1, s10
	s_xor_b64 exec, exec, s[6:7]
	s_cbranch_execz .LBB42_2022
.LBB42_4072:
	v_mov_b32_e32 v1, 0
	v_cmp_ne_u16_sdwa s[8:9], v3, v1 src0_sel:BYTE_0 src1_sel:DWORD
	s_andn2_b64 s[4:5], s[4:5], exec
	s_and_b64 s[8:9], s[8:9], exec
	s_or_b64 s[4:5], s[4:5], s[8:9]
	s_or_b64 exec, exec, s[6:7]
	s_and_saveexec_b64 s[6:7], s[4:5]
	s_cbranch_execnz .LBB42_2023
	s_branch .LBB42_2024
.LBB42_4073:
	s_movk_i32 s4, 0x80
	v_cmp_eq_u16_sdwa s[12:13], v1, s4 src0_sel:BYTE_0 src1_sel:DWORD
	s_mov_b64 s[4:5], -1
                                        ; implicit-def: $sgpr10
	s_and_saveexec_b64 s[8:9], s[12:13]
; %bb.4074:
	s_mov_b32 s10, 0x7f800001
	s_xor_b64 s[4:5], exec, -1
; %bb.4075:
	s_or_b64 exec, exec, s[8:9]
	s_and_b64 s[4:5], s[4:5], exec
	s_or_saveexec_b64 s[6:7], s[6:7]
	v_mov_b32_e32 v0, s10
	s_xor_b64 exec, exec, s[6:7]
	s_cbranch_execz .LBB42_2026
.LBB42_4076:
	v_mov_b32_e32 v0, 0
	v_cmp_ne_u16_sdwa s[8:9], v1, v0 src0_sel:BYTE_0 src1_sel:DWORD
	s_andn2_b64 s[4:5], s[4:5], exec
	s_and_b64 s[8:9], s[8:9], exec
	s_or_b64 s[4:5], s[4:5], s[8:9]
	s_or_b64 exec, exec, s[6:7]
	s_and_saveexec_b64 s[6:7], s[4:5]
	s_cbranch_execnz .LBB42_2027
	s_branch .LBB42_2028
.LBB42_4077:
	s_movk_i32 s4, 0x80
	v_cmp_eq_u16_sdwa s[12:13], v1, s4 src0_sel:BYTE_0 src1_sel:DWORD
	s_mov_b64 s[4:5], -1
                                        ; implicit-def: $sgpr10
	s_and_saveexec_b64 s[8:9], s[12:13]
; %bb.4078:
	s_mov_b32 s10, 0x7f800001
	s_xor_b64 s[4:5], exec, -1
; %bb.4079:
	s_or_b64 exec, exec, s[8:9]
	s_and_b64 s[4:5], s[4:5], exec
	s_or_saveexec_b64 s[6:7], s[6:7]
	v_mov_b32_e32 v2, s10
	s_xor_b64 exec, exec, s[6:7]
	s_cbranch_execz .LBB42_2030
.LBB42_4080:
	v_mov_b32_e32 v2, 0
	v_cmp_ne_u16_sdwa s[8:9], v1, v2 src0_sel:BYTE_0 src1_sel:DWORD
	s_andn2_b64 s[4:5], s[4:5], exec
	s_and_b64 s[8:9], s[8:9], exec
	s_or_b64 s[4:5], s[4:5], s[8:9]
	s_or_b64 exec, exec, s[6:7]
	s_and_saveexec_b64 s[6:7], s[4:5]
	s_cbranch_execnz .LBB42_2031
	s_branch .LBB42_2032
.LBB42_4081:
	s_movk_i32 s4, 0x80
	v_cmp_eq_u16_e32 vcc, s4, v1
	s_mov_b64 s[4:5], -1
                                        ; implicit-def: $sgpr10
	s_and_saveexec_b64 s[8:9], vcc
; %bb.4082:
	s_mov_b32 s10, 0x7f800001
	s_xor_b64 s[4:5], exec, -1
; %bb.4083:
	s_or_b64 exec, exec, s[8:9]
	s_and_b64 s[4:5], s[4:5], exec
                                        ; implicit-def: $vgpr1
	s_or_saveexec_b64 s[6:7], s[6:7]
	v_mov_b32_e32 v0, s10
	s_xor_b64 exec, exec, s[6:7]
	s_cbranch_execz .LBB42_2034
.LBB42_4084:
	v_cmp_ne_u16_e32 vcc, 0, v1
	s_andn2_b64 s[4:5], s[4:5], exec
	s_and_b64 s[8:9], vcc, exec
	v_mov_b32_e32 v0, 0
	s_or_b64 s[4:5], s[4:5], s[8:9]
	s_or_b64 exec, exec, s[6:7]
	s_and_saveexec_b64 s[6:7], s[4:5]
	s_cbranch_execnz .LBB42_2035
	s_branch .LBB42_2036
.LBB42_4085:
	s_movk_i32 s4, 0x80
	v_cmp_eq_u16_e32 vcc, s4, v1
	s_mov_b64 s[4:5], -1
                                        ; implicit-def: $sgpr10
	s_and_saveexec_b64 s[8:9], vcc
; %bb.4086:
	s_mov_b32 s10, 0x7f800001
	s_xor_b64 s[4:5], exec, -1
; %bb.4087:
	s_or_b64 exec, exec, s[8:9]
	s_and_b64 s[4:5], s[4:5], exec
                                        ; implicit-def: $vgpr1
	s_or_saveexec_b64 s[6:7], s[6:7]
	v_mov_b32_e32 v2, s10
	s_xor_b64 exec, exec, s[6:7]
	s_cbranch_execz .LBB42_2038
.LBB42_4088:
	v_cmp_ne_u16_e32 vcc, 0, v1
	s_andn2_b64 s[4:5], s[4:5], exec
	s_and_b64 s[8:9], vcc, exec
	v_mov_b32_e32 v2, 0
	s_or_b64 s[4:5], s[4:5], s[8:9]
	s_or_b64 exec, exec, s[6:7]
	s_and_saveexec_b64 s[6:7], s[4:5]
	s_cbranch_execnz .LBB42_2039
	s_branch .LBB42_2040
.LBB42_4089:
	s_movk_i32 s4, 0x80
	v_cmp_eq_u16_sdwa s[12:13], v7, s4 src0_sel:BYTE_3 src1_sel:DWORD
	s_mov_b64 s[4:5], -1
                                        ; implicit-def: $sgpr10
	s_and_saveexec_b64 s[8:9], s[12:13]
; %bb.4090:
	s_mov_b32 s10, 0x7f800001
	s_xor_b64 s[4:5], exec, -1
; %bb.4091:
	s_or_b64 exec, exec, s[8:9]
	s_and_b64 s[4:5], s[4:5], exec
	s_or_saveexec_b64 s[6:7], s[6:7]
	v_mov_b32_e32 v0, s10
	s_xor_b64 exec, exec, s[6:7]
	s_cbranch_execz .LBB42_2042
.LBB42_4092:
	v_mov_b32_e32 v0, 0
	v_cmp_ne_u16_sdwa s[8:9], v7, v0 src0_sel:BYTE_3 src1_sel:DWORD
	s_andn2_b64 s[4:5], s[4:5], exec
	s_and_b64 s[8:9], s[8:9], exec
	s_or_b64 s[4:5], s[4:5], s[8:9]
	s_or_b64 exec, exec, s[6:7]
	s_and_saveexec_b64 s[6:7], s[4:5]
	s_cbranch_execnz .LBB42_2043
	s_branch .LBB42_2044
.LBB42_4093:
	s_movk_i32 s4, 0x80
	v_cmp_eq_u16_sdwa s[12:13], v3, s4 src0_sel:BYTE_3 src1_sel:DWORD
	s_mov_b64 s[4:5], -1
                                        ; implicit-def: $sgpr10
	s_and_saveexec_b64 s[8:9], s[12:13]
; %bb.4094:
	s_mov_b32 s10, 0x7f800001
	s_xor_b64 s[4:5], exec, -1
; %bb.4095:
	s_or_b64 exec, exec, s[8:9]
	s_and_b64 s[4:5], s[4:5], exec
	s_or_saveexec_b64 s[6:7], s[6:7]
	v_mov_b32_e32 v1, s10
	s_xor_b64 exec, exec, s[6:7]
	s_cbranch_execz .LBB42_2046
.LBB42_4096:
	v_mov_b32_e32 v1, 0
	v_cmp_ne_u16_sdwa s[8:9], v3, v1 src0_sel:BYTE_3 src1_sel:DWORD
	s_andn2_b64 s[4:5], s[4:5], exec
	s_and_b64 s[8:9], s[8:9], exec
	s_or_b64 s[4:5], s[4:5], s[8:9]
	s_or_b64 exec, exec, s[6:7]
	s_and_saveexec_b64 s[6:7], s[4:5]
	s_cbranch_execnz .LBB42_2047
	s_branch .LBB42_2048
.Lfunc_end42:
	.size	_ZNK2ck6detail7applierIiJLi0ELi1ELi2ELi3ELi4ELi5ELi6ELi7EEEclIZNKS_11static_fordINS_8SequenceIJLi1ELi8EEEENS5_IJLi0ELi1EEEEEclIZZZNKS_52BlockwiseGemmXdlops_pipeline_bpreshuffle_bdequant_v3ILNS_26BlockGemmPipelineSchedulerE0ELi256ENS_9f8_fnuz_tENS_7pk_i4_tESC_fNS_16TensorDescriptorINS_5TupleIJNS_5EmbedINSF_IJNS_17integral_constantIiLi8EEENSH_IiLi256EEENSH_IiLi16EEEEEENSF_IJSK_NSH_IiLi128EEENSH_IiLi1EEEEEELb0EEENS_3XorINSF_IJSJ_SI_EEELb1EEENS_11PassThroughISK_EENS_7UnMergeINSF_IJSI_SN_EEELb0EEENST_ISJ_EESU_NST_ISI_EENS_21Merge_v3_division_modINSF_IJSJ_SN_EEEEESU_EEENSF_IJNS5_IJLi0EEEENS5_IJLi2ELi1EEEENS5_IJLi3EEEENS5_IJLi5EEEENS5_IJLi4EEEENS5_IJLi6EEEENS5_IJLi7EEEENS5_IJLi9ELi8EEEENS5_IJLi10EEEEEEENSF_IJNS5_IJLi1ELi2ELi3EEEENS5_IJLi4ELi5EEEES19_NS5_IJLi7ELi8EEEENS5_IJLi9EEEES1C_NS5_IJLi11EEEENS5_IJLi12EEEENS5_IJLi13EEEEEEENS5_IJLi11ELi12ELi13EEEENSH_IlLl32768EEEEENSE_INSF_IJNSV_INSF_IJSI_SN_SN_NSH_IiLi32EEEEEELb0EEEEEENSF_IJS14_EEENSF_IJNS5_IJLi1ELi2ELi3ELi4EEEEEEES1U_NSH_IlLl256EEEEENSE_INSF_IJSP_SS_SU_SX_SY_SU_SZ_S12_SU_NS10_INSF_IJSI_SK_EEEEENSV_INSF_IJSI_NSH_IiLi2EEESK_EEELb0EEEEEENSF_IJS14_S15_S16_S17_S18_S19_S1A_S1B_S1C_NS5_IJLi11ELi13EEEES1J_EEENSF_IJS1E_S1F_S19_S1G_S1H_S1C_S1I_S1J_S1K_NS5_IJLi14EEEENS5_IJLi15ELi16ELi17EEEEEEENS5_IJLi15ELi16ELi17ELi14EEEES1N_EENSE_INSF_IJS1R_NS10_ISW_EES22_EEENSF_IJS14_NS5_IJLi1ELi3EEEENS5_IJLi2EEEEEEENSF_IJS1U_S17_NS5_IJLi6ELi7ELi8EEEEEEENS5_IJLi6ELi7ELi8ELi5EEEES1W_EELi16ELi32ELi256ELi256ELi128ELi16ELi16ELi8ELi8ELi32ELb0EE3RunILb1ELNS_10TailNumberE1ENSE_INSF_IJNSG_INSF_IJiiEEENSF_IJiSN_EEELb0EEENSV_IS2N_Lb0EEENST_IiEEEEENSF_IJS14_S2E_NS5_IJLi1EEEEEEENSF_IJNS5_IJLi1ELi2EEEENS5_IJLi3ELi4EEEES17_EEENS5_IJLi3ELi5ELi4EEEElEES1O_NS_35ThreadGroupTensorSliceTransfer_v4r1INS_15ThisThreadBlockILi256EEENS_16tensor_operation12element_wise11PassThroughES35_LNS_25InMemoryDataOperationEnumE0ENS5_IJLi8ELi256ELi16EEEENS5_IJLi8ELi32ELi1EEEENS5_IJLi1ELi0ELi2EEEESC_SC_RKS2Z_KS1O_S39_NS5_IJLi0ELi1ELi2EEEELi2ELi2ELi16ELi16ELi1ELi1ELb0ELb1ELi2EiEENS_13DynamicBufferILNS_16AddressSpaceEnumE1EKSC_lLb1ELNS_22AmdBufferCoherenceEnumE0EiEENSF_IJNS3F_ILS3G_2ESC_S1N_Lb1ELS3I_0EiEES3K_EEENSF_IJiiiEEENSE_INSF_IJNSG_INSF_IJiiiiEEENSF_IJiiiSN_EEELb0EEEEEES1T_S1V_S1U_lEENS_32ThreadwiseTensorSliceTransfer_v2ISD_SD_RKS3R_KS1X_NS5_IJLi8ELi1ELi1ELi32EEEENS5_IJLi1ELi2ELi0ELi3EEEELi3ELi32ELi0ELb1ELb0ELb0EEENS3F_ILS3G_1EKSD_lLb1ELS3I_0EiEENSF_IJNS_12StaticBufferILS3G_4ESD_Li256ELb1EEES42_EEES3N_NS_25StaticBufferTupleOfVectorILS3G_4EfLi64ELi4ELb1ELb0EEEEEvRKT1_RKT2_RT3_RKT4_RT5_RKT6_RKT7_RT8_RKT9_RT10_RKT11_RT12_iENKUlT_T0_E_clISN_NSH_IiLi0EEEEEDaS51_S52_ENKUlS51_E_clINSH_IiLi6EEEEEDaS51_EUlS51_E_EEvS51_EUlS51_E_EEvS51_, .Lfunc_end42-_ZNK2ck6detail7applierIiJLi0ELi1ELi2ELi3ELi4ELi5ELi6ELi7EEEclIZNKS_11static_fordINS_8SequenceIJLi1ELi8EEEENS5_IJLi0ELi1EEEEEclIZZZNKS_52BlockwiseGemmXdlops_pipeline_bpreshuffle_bdequant_v3ILNS_26BlockGemmPipelineSchedulerE0ELi256ENS_9f8_fnuz_tENS_7pk_i4_tESC_fNS_16TensorDescriptorINS_5TupleIJNS_5EmbedINSF_IJNS_17integral_constantIiLi8EEENSH_IiLi256EEENSH_IiLi16EEEEEENSF_IJSK_NSH_IiLi128EEENSH_IiLi1EEEEEELb0EEENS_3XorINSF_IJSJ_SI_EEELb1EEENS_11PassThroughISK_EENS_7UnMergeINSF_IJSI_SN_EEELb0EEENST_ISJ_EESU_NST_ISI_EENS_21Merge_v3_division_modINSF_IJSJ_SN_EEEEESU_EEENSF_IJNS5_IJLi0EEEENS5_IJLi2ELi1EEEENS5_IJLi3EEEENS5_IJLi5EEEENS5_IJLi4EEEENS5_IJLi6EEEENS5_IJLi7EEEENS5_IJLi9ELi8EEEENS5_IJLi10EEEEEEENSF_IJNS5_IJLi1ELi2ELi3EEEENS5_IJLi4ELi5EEEES19_NS5_IJLi7ELi8EEEENS5_IJLi9EEEES1C_NS5_IJLi11EEEENS5_IJLi12EEEENS5_IJLi13EEEEEEENS5_IJLi11ELi12ELi13EEEENSH_IlLl32768EEEEENSE_INSF_IJNSV_INSF_IJSI_SN_SN_NSH_IiLi32EEEEEELb0EEEEEENSF_IJS14_EEENSF_IJNS5_IJLi1ELi2ELi3ELi4EEEEEEES1U_NSH_IlLl256EEEEENSE_INSF_IJSP_SS_SU_SX_SY_SU_SZ_S12_SU_NS10_INSF_IJSI_SK_EEEEENSV_INSF_IJSI_NSH_IiLi2EEESK_EEELb0EEEEEENSF_IJS14_S15_S16_S17_S18_S19_S1A_S1B_S1C_NS5_IJLi11ELi13EEEES1J_EEENSF_IJS1E_S1F_S19_S1G_S1H_S1C_S1I_S1J_S1K_NS5_IJLi14EEEENS5_IJLi15ELi16ELi17EEEEEEENS5_IJLi15ELi16ELi17ELi14EEEES1N_EENSE_INSF_IJS1R_NS10_ISW_EES22_EEENSF_IJS14_NS5_IJLi1ELi3EEEENS5_IJLi2EEEEEEENSF_IJS1U_S17_NS5_IJLi6ELi7ELi8EEEEEEENS5_IJLi6ELi7ELi8ELi5EEEES1W_EELi16ELi32ELi256ELi256ELi128ELi16ELi16ELi8ELi8ELi32ELb0EE3RunILb1ELNS_10TailNumberE1ENSE_INSF_IJNSG_INSF_IJiiEEENSF_IJiSN_EEELb0EEENSV_IS2N_Lb0EEENST_IiEEEEENSF_IJS14_S2E_NS5_IJLi1EEEEEEENSF_IJNS5_IJLi1ELi2EEEENS5_IJLi3ELi4EEEES17_EEENS5_IJLi3ELi5ELi4EEEElEES1O_NS_35ThreadGroupTensorSliceTransfer_v4r1INS_15ThisThreadBlockILi256EEENS_16tensor_operation12element_wise11PassThroughES35_LNS_25InMemoryDataOperationEnumE0ENS5_IJLi8ELi256ELi16EEEENS5_IJLi8ELi32ELi1EEEENS5_IJLi1ELi0ELi2EEEESC_SC_RKS2Z_KS1O_S39_NS5_IJLi0ELi1ELi2EEEELi2ELi2ELi16ELi16ELi1ELi1ELb0ELb1ELi2EiEENS_13DynamicBufferILNS_16AddressSpaceEnumE1EKSC_lLb1ELNS_22AmdBufferCoherenceEnumE0EiEENSF_IJNS3F_ILS3G_2ESC_S1N_Lb1ELS3I_0EiEES3K_EEENSF_IJiiiEEENSE_INSF_IJNSG_INSF_IJiiiiEEENSF_IJiiiSN_EEELb0EEEEEES1T_S1V_S1U_lEENS_32ThreadwiseTensorSliceTransfer_v2ISD_SD_RKS3R_KS1X_NS5_IJLi8ELi1ELi1ELi32EEEENS5_IJLi1ELi2ELi0ELi3EEEELi3ELi32ELi0ELb1ELb0ELb0EEENS3F_ILS3G_1EKSD_lLb1ELS3I_0EiEENSF_IJNS_12StaticBufferILS3G_4ESD_Li256ELb1EEES42_EEES3N_NS_25StaticBufferTupleOfVectorILS3G_4EfLi64ELi4ELb1ELb0EEEEEvRKT1_RKT2_RT3_RKT4_RT5_RKT6_RKT7_RT8_RKT9_RT10_RKT11_RT12_iENKUlT_T0_E_clISN_NSH_IiLi0EEEEEDaS51_S52_ENKUlS51_E_clINSH_IiLi6EEEEEDaS51_EUlS51_E_EEvS51_EUlS51_E_EEvS51_
                                        ; -- End function
	.section	.AMDGPU.csdata,"",@progbits
; Function info:
; codeLenInByte = 133608
; NumSgprs: 36
; NumVgprs: 26
; NumAgprs: 4
; TotalNumVgprs: 32
; ScratchSize: 0
; MemoryBound: 1
	.text
	.p2align	2                               ; -- Begin function _ZNK2ck6detail7applierIiJLi0ELi1ELi2ELi3ELi4ELi5ELi6ELi7EEEclIZNKS_11static_fordINS_8SequenceIJLi1ELi8EEEENS5_IJLi0ELi1EEEEEclIZZZNKS_52BlockwiseGemmXdlops_pipeline_bpreshuffle_bdequant_v3ILNS_26BlockGemmPipelineSchedulerE0ELi256ENS_9f8_fnuz_tENS_7pk_i4_tESC_fNS_16TensorDescriptorINS_5TupleIJNS_5EmbedINSF_IJNS_17integral_constantIiLi8EEENSH_IiLi256EEENSH_IiLi16EEEEEENSF_IJSK_NSH_IiLi128EEENSH_IiLi1EEEEEELb0EEENS_3XorINSF_IJSJ_SI_EEELb1EEENS_11PassThroughISK_EENS_7UnMergeINSF_IJSI_SN_EEELb0EEENST_ISJ_EESU_NST_ISI_EENS_21Merge_v3_division_modINSF_IJSJ_SN_EEEEESU_EEENSF_IJNS5_IJLi0EEEENS5_IJLi2ELi1EEEENS5_IJLi3EEEENS5_IJLi5EEEENS5_IJLi4EEEENS5_IJLi6EEEENS5_IJLi7EEEENS5_IJLi9ELi8EEEENS5_IJLi10EEEEEEENSF_IJNS5_IJLi1ELi2ELi3EEEENS5_IJLi4ELi5EEEES19_NS5_IJLi7ELi8EEEENS5_IJLi9EEEES1C_NS5_IJLi11EEEENS5_IJLi12EEEENS5_IJLi13EEEEEEENS5_IJLi11ELi12ELi13EEEENSH_IlLl32768EEEEENSE_INSF_IJNSV_INSF_IJSI_SN_SN_NSH_IiLi32EEEEEELb0EEEEEENSF_IJS14_EEENSF_IJNS5_IJLi1ELi2ELi3ELi4EEEEEEES1U_NSH_IlLl256EEEEENSE_INSF_IJSP_SS_SU_SX_SY_SU_SZ_S12_SU_NS10_INSF_IJSI_SK_EEEEENSV_INSF_IJSI_NSH_IiLi2EEESK_EEELb0EEEEEENSF_IJS14_S15_S16_S17_S18_S19_S1A_S1B_S1C_NS5_IJLi11ELi13EEEES1J_EEENSF_IJS1E_S1F_S19_S1G_S1H_S1C_S1I_S1J_S1K_NS5_IJLi14EEEENS5_IJLi15ELi16ELi17EEEEEEENS5_IJLi15ELi16ELi17ELi14EEEES1N_EENSE_INSF_IJS1R_NS10_ISW_EES22_EEENSF_IJS14_NS5_IJLi1ELi3EEEENS5_IJLi2EEEEEEENSF_IJS1U_S17_NS5_IJLi6ELi7ELi8EEEEEEENS5_IJLi6ELi7ELi8ELi5EEEES1W_EELi16ELi32ELi256ELi256ELi128ELi16ELi16ELi8ELi8ELi32ELb0EE3RunILb1ELNS_10TailNumberE1ENSE_INSF_IJNSG_INSF_IJiiEEENSF_IJiSN_EEELb0EEENSV_IS2N_Lb0EEENST_IiEEEEENSF_IJS14_S2E_NS5_IJLi1EEEEEEENSF_IJNS5_IJLi1ELi2EEEENS5_IJLi3ELi4EEEES17_EEENS5_IJLi3ELi5ELi4EEEElEES1O_NS_35ThreadGroupTensorSliceTransfer_v4r1INS_15ThisThreadBlockILi256EEENS_16tensor_operation12element_wise11PassThroughES35_LNS_25InMemoryDataOperationEnumE0ENS5_IJLi8ELi256ELi16EEEENS5_IJLi8ELi32ELi1EEEENS5_IJLi1ELi0ELi2EEEESC_SC_RKS2Z_KS1O_S39_NS5_IJLi0ELi1ELi2EEEELi2ELi2ELi16ELi16ELi1ELi1ELb0ELb1ELi2EiEENS_13DynamicBufferILNS_16AddressSpaceEnumE1EKSC_lLb1ELNS_22AmdBufferCoherenceEnumE0EiEENSF_IJNS3F_ILS3G_2ESC_S1N_Lb1ELS3I_0EiEES3K_EEENSF_IJiiiEEENSE_INSF_IJNSG_INSF_IJiiiiEEENSF_IJiiiSN_EEELb0EEEEEES1T_S1V_S1U_lEENS_32ThreadwiseTensorSliceTransfer_v2ISD_SD_RKS3R_KS1X_NS5_IJLi8ELi1ELi1ELi32EEEENS5_IJLi1ELi2ELi0ELi3EEEELi3ELi32ELi0ELb1ELb0ELb0EEENS3F_ILS3G_1EKSD_lLb1ELS3I_0EiEENSF_IJNS_12StaticBufferILS3G_4ESD_Li256ELb1EEES42_EEES3N_NS_25StaticBufferTupleOfVectorILS3G_4EfLi64ELi4ELb1ELb0EEEEEvRKT1_RKT2_RT3_RKT4_RT5_RKT6_RKT7_RT8_RKT9_RT10_RKT11_RT12_iENKUlT_T0_E_clISN_NSH_IiLi0EEEEEDaS51_S52_ENKUlS51_E_clINSH_IiLi7EEEEEDaS51_EUlS51_E_EEvS51_EUlS51_E_EEvS51_
	.type	_ZNK2ck6detail7applierIiJLi0ELi1ELi2ELi3ELi4ELi5ELi6ELi7EEEclIZNKS_11static_fordINS_8SequenceIJLi1ELi8EEEENS5_IJLi0ELi1EEEEEclIZZZNKS_52BlockwiseGemmXdlops_pipeline_bpreshuffle_bdequant_v3ILNS_26BlockGemmPipelineSchedulerE0ELi256ENS_9f8_fnuz_tENS_7pk_i4_tESC_fNS_16TensorDescriptorINS_5TupleIJNS_5EmbedINSF_IJNS_17integral_constantIiLi8EEENSH_IiLi256EEENSH_IiLi16EEEEEENSF_IJSK_NSH_IiLi128EEENSH_IiLi1EEEEEELb0EEENS_3XorINSF_IJSJ_SI_EEELb1EEENS_11PassThroughISK_EENS_7UnMergeINSF_IJSI_SN_EEELb0EEENST_ISJ_EESU_NST_ISI_EENS_21Merge_v3_division_modINSF_IJSJ_SN_EEEEESU_EEENSF_IJNS5_IJLi0EEEENS5_IJLi2ELi1EEEENS5_IJLi3EEEENS5_IJLi5EEEENS5_IJLi4EEEENS5_IJLi6EEEENS5_IJLi7EEEENS5_IJLi9ELi8EEEENS5_IJLi10EEEEEEENSF_IJNS5_IJLi1ELi2ELi3EEEENS5_IJLi4ELi5EEEES19_NS5_IJLi7ELi8EEEENS5_IJLi9EEEES1C_NS5_IJLi11EEEENS5_IJLi12EEEENS5_IJLi13EEEEEEENS5_IJLi11ELi12ELi13EEEENSH_IlLl32768EEEEENSE_INSF_IJNSV_INSF_IJSI_SN_SN_NSH_IiLi32EEEEEELb0EEEEEENSF_IJS14_EEENSF_IJNS5_IJLi1ELi2ELi3ELi4EEEEEEES1U_NSH_IlLl256EEEEENSE_INSF_IJSP_SS_SU_SX_SY_SU_SZ_S12_SU_NS10_INSF_IJSI_SK_EEEEENSV_INSF_IJSI_NSH_IiLi2EEESK_EEELb0EEEEEENSF_IJS14_S15_S16_S17_S18_S19_S1A_S1B_S1C_NS5_IJLi11ELi13EEEES1J_EEENSF_IJS1E_S1F_S19_S1G_S1H_S1C_S1I_S1J_S1K_NS5_IJLi14EEEENS5_IJLi15ELi16ELi17EEEEEEENS5_IJLi15ELi16ELi17ELi14EEEES1N_EENSE_INSF_IJS1R_NS10_ISW_EES22_EEENSF_IJS14_NS5_IJLi1ELi3EEEENS5_IJLi2EEEEEEENSF_IJS1U_S17_NS5_IJLi6ELi7ELi8EEEEEEENS5_IJLi6ELi7ELi8ELi5EEEES1W_EELi16ELi32ELi256ELi256ELi128ELi16ELi16ELi8ELi8ELi32ELb0EE3RunILb1ELNS_10TailNumberE1ENSE_INSF_IJNSG_INSF_IJiiEEENSF_IJiSN_EEELb0EEENSV_IS2N_Lb0EEENST_IiEEEEENSF_IJS14_S2E_NS5_IJLi1EEEEEEENSF_IJNS5_IJLi1ELi2EEEENS5_IJLi3ELi4EEEES17_EEENS5_IJLi3ELi5ELi4EEEElEES1O_NS_35ThreadGroupTensorSliceTransfer_v4r1INS_15ThisThreadBlockILi256EEENS_16tensor_operation12element_wise11PassThroughES35_LNS_25InMemoryDataOperationEnumE0ENS5_IJLi8ELi256ELi16EEEENS5_IJLi8ELi32ELi1EEEENS5_IJLi1ELi0ELi2EEEESC_SC_RKS2Z_KS1O_S39_NS5_IJLi0ELi1ELi2EEEELi2ELi2ELi16ELi16ELi1ELi1ELb0ELb1ELi2EiEENS_13DynamicBufferILNS_16AddressSpaceEnumE1EKSC_lLb1ELNS_22AmdBufferCoherenceEnumE0EiEENSF_IJNS3F_ILS3G_2ESC_S1N_Lb1ELS3I_0EiEES3K_EEENSF_IJiiiEEENSE_INSF_IJNSG_INSF_IJiiiiEEENSF_IJiiiSN_EEELb0EEEEEES1T_S1V_S1U_lEENS_32ThreadwiseTensorSliceTransfer_v2ISD_SD_RKS3R_KS1X_NS5_IJLi8ELi1ELi1ELi32EEEENS5_IJLi1ELi2ELi0ELi3EEEELi3ELi32ELi0ELb1ELb0ELb0EEENS3F_ILS3G_1EKSD_lLb1ELS3I_0EiEENSF_IJNS_12StaticBufferILS3G_4ESD_Li256ELb1EEES42_EEES3N_NS_25StaticBufferTupleOfVectorILS3G_4EfLi64ELi4ELb1ELb0EEEEEvRKT1_RKT2_RT3_RKT4_RT5_RKT6_RKT7_RT8_RKT9_RT10_RKT11_RT12_iENKUlT_T0_E_clISN_NSH_IiLi0EEEEEDaS51_S52_ENKUlS51_E_clINSH_IiLi7EEEEEDaS51_EUlS51_E_EEvS51_EUlS51_E_EEvS51_,@function
_ZNK2ck6detail7applierIiJLi0ELi1ELi2ELi3ELi4ELi5ELi6ELi7EEEclIZNKS_11static_fordINS_8SequenceIJLi1ELi8EEEENS5_IJLi0ELi1EEEEEclIZZZNKS_52BlockwiseGemmXdlops_pipeline_bpreshuffle_bdequant_v3ILNS_26BlockGemmPipelineSchedulerE0ELi256ENS_9f8_fnuz_tENS_7pk_i4_tESC_fNS_16TensorDescriptorINS_5TupleIJNS_5EmbedINSF_IJNS_17integral_constantIiLi8EEENSH_IiLi256EEENSH_IiLi16EEEEEENSF_IJSK_NSH_IiLi128EEENSH_IiLi1EEEEEELb0EEENS_3XorINSF_IJSJ_SI_EEELb1EEENS_11PassThroughISK_EENS_7UnMergeINSF_IJSI_SN_EEELb0EEENST_ISJ_EESU_NST_ISI_EENS_21Merge_v3_division_modINSF_IJSJ_SN_EEEEESU_EEENSF_IJNS5_IJLi0EEEENS5_IJLi2ELi1EEEENS5_IJLi3EEEENS5_IJLi5EEEENS5_IJLi4EEEENS5_IJLi6EEEENS5_IJLi7EEEENS5_IJLi9ELi8EEEENS5_IJLi10EEEEEEENSF_IJNS5_IJLi1ELi2ELi3EEEENS5_IJLi4ELi5EEEES19_NS5_IJLi7ELi8EEEENS5_IJLi9EEEES1C_NS5_IJLi11EEEENS5_IJLi12EEEENS5_IJLi13EEEEEEENS5_IJLi11ELi12ELi13EEEENSH_IlLl32768EEEEENSE_INSF_IJNSV_INSF_IJSI_SN_SN_NSH_IiLi32EEEEEELb0EEEEEENSF_IJS14_EEENSF_IJNS5_IJLi1ELi2ELi3ELi4EEEEEEES1U_NSH_IlLl256EEEEENSE_INSF_IJSP_SS_SU_SX_SY_SU_SZ_S12_SU_NS10_INSF_IJSI_SK_EEEEENSV_INSF_IJSI_NSH_IiLi2EEESK_EEELb0EEEEEENSF_IJS14_S15_S16_S17_S18_S19_S1A_S1B_S1C_NS5_IJLi11ELi13EEEES1J_EEENSF_IJS1E_S1F_S19_S1G_S1H_S1C_S1I_S1J_S1K_NS5_IJLi14EEEENS5_IJLi15ELi16ELi17EEEEEEENS5_IJLi15ELi16ELi17ELi14EEEES1N_EENSE_INSF_IJS1R_NS10_ISW_EES22_EEENSF_IJS14_NS5_IJLi1ELi3EEEENS5_IJLi2EEEEEEENSF_IJS1U_S17_NS5_IJLi6ELi7ELi8EEEEEEENS5_IJLi6ELi7ELi8ELi5EEEES1W_EELi16ELi32ELi256ELi256ELi128ELi16ELi16ELi8ELi8ELi32ELb0EE3RunILb1ELNS_10TailNumberE1ENSE_INSF_IJNSG_INSF_IJiiEEENSF_IJiSN_EEELb0EEENSV_IS2N_Lb0EEENST_IiEEEEENSF_IJS14_S2E_NS5_IJLi1EEEEEEENSF_IJNS5_IJLi1ELi2EEEENS5_IJLi3ELi4EEEES17_EEENS5_IJLi3ELi5ELi4EEEElEES1O_NS_35ThreadGroupTensorSliceTransfer_v4r1INS_15ThisThreadBlockILi256EEENS_16tensor_operation12element_wise11PassThroughES35_LNS_25InMemoryDataOperationEnumE0ENS5_IJLi8ELi256ELi16EEEENS5_IJLi8ELi32ELi1EEEENS5_IJLi1ELi0ELi2EEEESC_SC_RKS2Z_KS1O_S39_NS5_IJLi0ELi1ELi2EEEELi2ELi2ELi16ELi16ELi1ELi1ELb0ELb1ELi2EiEENS_13DynamicBufferILNS_16AddressSpaceEnumE1EKSC_lLb1ELNS_22AmdBufferCoherenceEnumE0EiEENSF_IJNS3F_ILS3G_2ESC_S1N_Lb1ELS3I_0EiEES3K_EEENSF_IJiiiEEENSE_INSF_IJNSG_INSF_IJiiiiEEENSF_IJiiiSN_EEELb0EEEEEES1T_S1V_S1U_lEENS_32ThreadwiseTensorSliceTransfer_v2ISD_SD_RKS3R_KS1X_NS5_IJLi8ELi1ELi1ELi32EEEENS5_IJLi1ELi2ELi0ELi3EEEELi3ELi32ELi0ELb1ELb0ELb0EEENS3F_ILS3G_1EKSD_lLb1ELS3I_0EiEENSF_IJNS_12StaticBufferILS3G_4ESD_Li256ELb1EEES42_EEES3N_NS_25StaticBufferTupleOfVectorILS3G_4EfLi64ELi4ELb1ELb0EEEEEvRKT1_RKT2_RT3_RKT4_RT5_RKT6_RKT7_RT8_RKT9_RT10_RKT11_RT12_iENKUlT_T0_E_clISN_NSH_IiLi0EEEEEDaS51_S52_ENKUlS51_E_clINSH_IiLi7EEEEEDaS51_EUlS51_E_EEvS51_EUlS51_E_EEvS51_: ; @_ZNK2ck6detail7applierIiJLi0ELi1ELi2ELi3ELi4ELi5ELi6ELi7EEEclIZNKS_11static_fordINS_8SequenceIJLi1ELi8EEEENS5_IJLi0ELi1EEEEEclIZZZNKS_52BlockwiseGemmXdlops_pipeline_bpreshuffle_bdequant_v3ILNS_26BlockGemmPipelineSchedulerE0ELi256ENS_9f8_fnuz_tENS_7pk_i4_tESC_fNS_16TensorDescriptorINS_5TupleIJNS_5EmbedINSF_IJNS_17integral_constantIiLi8EEENSH_IiLi256EEENSH_IiLi16EEEEEENSF_IJSK_NSH_IiLi128EEENSH_IiLi1EEEEEELb0EEENS_3XorINSF_IJSJ_SI_EEELb1EEENS_11PassThroughISK_EENS_7UnMergeINSF_IJSI_SN_EEELb0EEENST_ISJ_EESU_NST_ISI_EENS_21Merge_v3_division_modINSF_IJSJ_SN_EEEEESU_EEENSF_IJNS5_IJLi0EEEENS5_IJLi2ELi1EEEENS5_IJLi3EEEENS5_IJLi5EEEENS5_IJLi4EEEENS5_IJLi6EEEENS5_IJLi7EEEENS5_IJLi9ELi8EEEENS5_IJLi10EEEEEEENSF_IJNS5_IJLi1ELi2ELi3EEEENS5_IJLi4ELi5EEEES19_NS5_IJLi7ELi8EEEENS5_IJLi9EEEES1C_NS5_IJLi11EEEENS5_IJLi12EEEENS5_IJLi13EEEEEEENS5_IJLi11ELi12ELi13EEEENSH_IlLl32768EEEEENSE_INSF_IJNSV_INSF_IJSI_SN_SN_NSH_IiLi32EEEEEELb0EEEEEENSF_IJS14_EEENSF_IJNS5_IJLi1ELi2ELi3ELi4EEEEEEES1U_NSH_IlLl256EEEEENSE_INSF_IJSP_SS_SU_SX_SY_SU_SZ_S12_SU_NS10_INSF_IJSI_SK_EEEEENSV_INSF_IJSI_NSH_IiLi2EEESK_EEELb0EEEEEENSF_IJS14_S15_S16_S17_S18_S19_S1A_S1B_S1C_NS5_IJLi11ELi13EEEES1J_EEENSF_IJS1E_S1F_S19_S1G_S1H_S1C_S1I_S1J_S1K_NS5_IJLi14EEEENS5_IJLi15ELi16ELi17EEEEEEENS5_IJLi15ELi16ELi17ELi14EEEES1N_EENSE_INSF_IJS1R_NS10_ISW_EES22_EEENSF_IJS14_NS5_IJLi1ELi3EEEENS5_IJLi2EEEEEEENSF_IJS1U_S17_NS5_IJLi6ELi7ELi8EEEEEEENS5_IJLi6ELi7ELi8ELi5EEEES1W_EELi16ELi32ELi256ELi256ELi128ELi16ELi16ELi8ELi8ELi32ELb0EE3RunILb1ELNS_10TailNumberE1ENSE_INSF_IJNSG_INSF_IJiiEEENSF_IJiSN_EEELb0EEENSV_IS2N_Lb0EEENST_IiEEEEENSF_IJS14_S2E_NS5_IJLi1EEEEEEENSF_IJNS5_IJLi1ELi2EEEENS5_IJLi3ELi4EEEES17_EEENS5_IJLi3ELi5ELi4EEEElEES1O_NS_35ThreadGroupTensorSliceTransfer_v4r1INS_15ThisThreadBlockILi256EEENS_16tensor_operation12element_wise11PassThroughES35_LNS_25InMemoryDataOperationEnumE0ENS5_IJLi8ELi256ELi16EEEENS5_IJLi8ELi32ELi1EEEENS5_IJLi1ELi0ELi2EEEESC_SC_RKS2Z_KS1O_S39_NS5_IJLi0ELi1ELi2EEEELi2ELi2ELi16ELi16ELi1ELi1ELb0ELb1ELi2EiEENS_13DynamicBufferILNS_16AddressSpaceEnumE1EKSC_lLb1ELNS_22AmdBufferCoherenceEnumE0EiEENSF_IJNS3F_ILS3G_2ESC_S1N_Lb1ELS3I_0EiEES3K_EEENSF_IJiiiEEENSE_INSF_IJNSG_INSF_IJiiiiEEENSF_IJiiiSN_EEELb0EEEEEES1T_S1V_S1U_lEENS_32ThreadwiseTensorSliceTransfer_v2ISD_SD_RKS3R_KS1X_NS5_IJLi8ELi1ELi1ELi32EEEENS5_IJLi1ELi2ELi0ELi3EEEELi3ELi32ELi0ELb1ELb0ELb0EEENS3F_ILS3G_1EKSD_lLb1ELS3I_0EiEENSF_IJNS_12StaticBufferILS3G_4ESD_Li256ELb1EEES42_EEES3N_NS_25StaticBufferTupleOfVectorILS3G_4EfLi64ELi4ELb1ELb0EEEEEvRKT1_RKT2_RT3_RKT4_RT5_RKT6_RKT7_RT8_RKT9_RT10_RKT11_RT12_iENKUlT_T0_E_clISN_NSH_IiLi0EEEEEDaS51_S52_ENKUlS51_E_clINSH_IiLi7EEEEEDaS51_EUlS51_E_EEvS51_EUlS51_E_EEvS51_
; %bb.0:
	s_waitcnt vmcnt(0) expcnt(0) lgkmcnt(0)
	flat_load_dwordx4 v[20:23], v[0:1] offset:16
	flat_load_dwordx2 v[18:19], v[0:1] offset:32
	s_movk_i32 s4, 0x7f
                                        ; implicit-def: $sgpr10
	s_waitcnt vmcnt(0) lgkmcnt(0)
	flat_load_dwordx4 v[14:17], v[20:21] offset:32
	flat_load_dwordx4 v[6:9], v[20:21] offset:48
	;; [unrolled: 1-line block ×4, first 2 shown]
	s_waitcnt vmcnt(0) lgkmcnt(0)
	v_cmp_gt_i16_sdwa s[6:7], v14, s4 src0_sel:BYTE_0 src1_sel:DWORD
	s_mov_b64 s[4:5], 0
	s_and_saveexec_b64 s[8:9], s[6:7]
	s_xor_b64 s[6:7], exec, s[8:9]
	s_cbranch_execnz .LBB43_2049
; %bb.1:
	s_or_saveexec_b64 s[6:7], s[6:7]
	v_mov_b32_e32 v20, s10
	s_xor_b64 exec, exec, s[6:7]
	s_cbranch_execnz .LBB43_2052
.LBB43_2:
	s_or_b64 exec, exec, s[6:7]
	s_and_saveexec_b64 s[6:7], s[4:5]
	s_cbranch_execz .LBB43_4
.LBB43_3:
	v_and_b32_e32 v20, 7, v14
	v_ffbh_u32_e32 v22, v20
	v_min_u32_e32 v22, 32, v22
	v_lshrrev_b16_e32 v21, 3, v14
	v_subrev_u32_e32 v23, 28, v22
	v_and_b32_e32 v21, 15, v21
	v_lshlrev_b32_e32 v23, v23, v14
	v_sub_u32_e32 v22, 29, v22
	v_and_b32_e32 v23, 7, v23
	v_cmp_eq_u16_e32 vcc, 0, v21
	v_cndmask_b32_e32 v20, v20, v23, vcc
	v_cndmask_b32_e32 v21, v21, v22, vcc
	v_lshlrev_b32_e32 v22, 24, v14
	v_mov_b32_e32 v23, 0x3b800000
	v_lshlrev_b32_e32 v20, 20, v20
	v_and_b32_e32 v22, 0x80000000, v22
	v_lshl_add_u32 v21, v21, 23, v23
	v_or3_b32 v20, v22, v21, v20
.LBB43_4:
	s_or_b64 exec, exec, s[6:7]
	s_movk_i32 s4, 0x7f
	v_cmp_gt_i16_sdwa s[6:7], v10, s4 src0_sel:BYTE_0 src1_sel:DWORD
	s_mov_b64 s[4:5], 0
                                        ; implicit-def: $sgpr10
	s_and_saveexec_b64 s[8:9], s[6:7]
	s_xor_b64 s[6:7], exec, s[8:9]
	s_cbranch_execnz .LBB43_2053
; %bb.5:
	s_or_saveexec_b64 s[6:7], s[6:7]
	v_mov_b32_e32 v21, s10
	s_xor_b64 exec, exec, s[6:7]
	s_cbranch_execnz .LBB43_2056
.LBB43_6:
	s_or_b64 exec, exec, s[6:7]
	s_and_saveexec_b64 s[6:7], s[4:5]
	s_cbranch_execz .LBB43_8
.LBB43_7:
	v_and_b32_e32 v21, 7, v10
	v_ffbh_u32_e32 v23, v21
	v_min_u32_e32 v23, 32, v23
	v_lshrrev_b16_e32 v22, 3, v10
	v_subrev_u32_e32 v24, 28, v23
	v_and_b32_e32 v22, 15, v22
	v_lshlrev_b32_e32 v24, v24, v10
	v_sub_u32_e32 v23, 29, v23
	v_and_b32_e32 v24, 7, v24
	v_cmp_eq_u16_e32 vcc, 0, v22
	v_cndmask_b32_e32 v21, v21, v24, vcc
	v_cndmask_b32_e32 v22, v22, v23, vcc
	v_lshlrev_b32_e32 v23, 24, v10
	v_mov_b32_e32 v24, 0x3b800000
	v_lshlrev_b32_e32 v21, 20, v21
	v_and_b32_e32 v23, 0x80000000, v23
	v_lshl_add_u32 v22, v22, 23, v24
	v_or3_b32 v21, v23, v22, v21
.LBB43_8:
	s_or_b64 exec, exec, s[6:7]
	flat_load_dwordx4 a[0:3], v[18:19] offset:896
	s_movk_i32 s4, 0x7f
                                        ; implicit-def: $sgpr10
	s_waitcnt vmcnt(0) lgkmcnt(0)
	v_mfma_f32_16x16x4f32 a[0:3], v20, v21, a[0:3]
	v_lshrrev_b32_e32 v21, 8, v14
	v_cmp_gt_i16_sdwa s[6:7], v21, s4 src0_sel:BYTE_0 src1_sel:DWORD
	s_mov_b64 s[4:5], 0
	s_and_saveexec_b64 s[8:9], s[6:7]
	s_xor_b64 s[6:7], exec, s[8:9]
	s_cbranch_execnz .LBB43_2057
; %bb.9:
	s_or_saveexec_b64 s[6:7], s[6:7]
	v_mov_b32_e32 v20, s10
	s_xor_b64 exec, exec, s[6:7]
	s_cbranch_execnz .LBB43_2060
.LBB43_10:
	s_or_b64 exec, exec, s[6:7]
	s_and_saveexec_b64 s[6:7], s[4:5]
	s_cbranch_execz .LBB43_12
.LBB43_11:
	v_bfe_u32 v20, v14, 8, 3
	v_ffbh_u32_e32 v23, v20
	v_min_u32_e32 v23, 32, v23
	v_lshrrev_b16_e32 v22, 3, v21
	v_subrev_u32_e32 v24, 28, v23
	v_and_b32_e32 v22, 15, v22
	v_lshlrev_b32_e32 v21, v24, v21
	v_sub_u32_e32 v23, 29, v23
	v_and_b32_e32 v21, 7, v21
	v_cmp_eq_u16_e32 vcc, 0, v22
	v_cndmask_b32_e32 v20, v20, v21, vcc
	v_cndmask_b32_e32 v21, v22, v23, vcc
	v_lshlrev_b32_e32 v22, 16, v14
	v_mov_b32_e32 v23, 0x3b800000
	v_lshlrev_b32_e32 v20, 20, v20
	v_and_b32_e32 v22, 0x80000000, v22
	v_lshl_add_u32 v21, v21, 23, v23
	v_or3_b32 v20, v22, v21, v20
.LBB43_12:
	s_or_b64 exec, exec, s[6:7]
	v_lshrrev_b32_e32 v21, 8, v10
	s_movk_i32 s4, 0x7f
	v_cmp_gt_i16_sdwa s[6:7], v21, s4 src0_sel:BYTE_0 src1_sel:DWORD
	s_mov_b64 s[4:5], 0
                                        ; implicit-def: $sgpr10
	s_and_saveexec_b64 s[8:9], s[6:7]
	s_xor_b64 s[6:7], exec, s[8:9]
	s_cbranch_execnz .LBB43_2061
; %bb.13:
	s_or_saveexec_b64 s[6:7], s[6:7]
	v_mov_b32_e32 v22, s10
	s_xor_b64 exec, exec, s[6:7]
	s_cbranch_execnz .LBB43_2064
.LBB43_14:
	s_or_b64 exec, exec, s[6:7]
	s_and_saveexec_b64 s[6:7], s[4:5]
	s_cbranch_execz .LBB43_16
.LBB43_15:
	v_bfe_u32 v22, v10, 8, 3
	v_ffbh_u32_e32 v24, v22
	v_min_u32_e32 v24, 32, v24
	v_lshrrev_b16_e32 v23, 3, v21
	v_subrev_u32_e32 v25, 28, v24
	v_and_b32_e32 v23, 15, v23
	v_lshlrev_b32_e32 v21, v25, v21
	v_sub_u32_e32 v24, 29, v24
	v_and_b32_e32 v21, 7, v21
	v_cmp_eq_u16_e32 vcc, 0, v23
	v_cndmask_b32_e32 v21, v22, v21, vcc
	v_cndmask_b32_e32 v22, v23, v24, vcc
	v_lshlrev_b32_e32 v23, 16, v10
	v_mov_b32_e32 v24, 0x3b800000
	v_lshlrev_b32_e32 v21, 20, v21
	v_and_b32_e32 v23, 0x80000000, v23
	v_lshl_add_u32 v22, v22, 23, v24
	v_or3_b32 v22, v23, v22, v21
.LBB43_16:
	s_or_b64 exec, exec, s[6:7]
	s_nop 0
	v_mfma_f32_16x16x4f32 a[0:3], v20, v22, a[0:3]
	s_movk_i32 s4, 0xff
	v_and_b32_sdwa v21, v14, s4 dst_sel:DWORD dst_unused:UNUSED_PAD src0_sel:WORD_1 src1_sel:DWORD
	s_movk_i32 s4, 0x7f
	v_cmp_lt_i16_e32 vcc, s4, v21
	s_mov_b64 s[4:5], 0
                                        ; implicit-def: $sgpr10
	s_and_saveexec_b64 s[6:7], vcc
	s_xor_b64 s[6:7], exec, s[6:7]
	s_cbranch_execnz .LBB43_2065
; %bb.17:
	s_or_saveexec_b64 s[6:7], s[6:7]
	v_mov_b32_e32 v20, s10
	s_xor_b64 exec, exec, s[6:7]
	s_cbranch_execnz .LBB43_2068
.LBB43_18:
	s_or_b64 exec, exec, s[6:7]
	s_and_saveexec_b64 s[6:7], s[4:5]
	s_cbranch_execz .LBB43_20
.LBB43_19:
	v_bfe_u32 v20, v14, 16, 3
	v_ffbh_u32_e32 v23, v20
	v_min_u32_e32 v23, 32, v23
	v_lshrrev_b32_e32 v21, 19, v14
	v_subrev_u32_e32 v24, 28, v23
	v_and_b32_e32 v21, 15, v21
	v_lshlrev_b32_sdwa v24, v24, v14 dst_sel:DWORD dst_unused:UNUSED_PAD src0_sel:DWORD src1_sel:WORD_1
	v_bfe_u32 v22, v14, 19, 4
	v_sub_u32_e32 v23, 29, v23
	v_and_b32_e32 v24, 7, v24
	v_cmp_eq_u16_e32 vcc, 0, v21
	v_cndmask_b32_e32 v20, v20, v24, vcc
	v_cndmask_b32_e32 v21, v22, v23, vcc
	v_lshlrev_b32_e32 v22, 8, v14
	v_mov_b32_e32 v23, 0x3b800000
	v_lshlrev_b32_e32 v20, 20, v20
	v_and_b32_e32 v22, 0x80000000, v22
	v_lshl_add_u32 v21, v21, 23, v23
	v_or3_b32 v20, v22, v21, v20
.LBB43_20:
	s_or_b64 exec, exec, s[6:7]
	s_movk_i32 s4, 0xff
	v_and_b32_sdwa v21, v10, s4 dst_sel:DWORD dst_unused:UNUSED_PAD src0_sel:WORD_1 src1_sel:DWORD
	s_movk_i32 s4, 0x7f
	v_cmp_lt_i16_e32 vcc, s4, v21
	s_mov_b64 s[4:5], 0
                                        ; implicit-def: $sgpr10
	s_and_saveexec_b64 s[6:7], vcc
	s_xor_b64 s[6:7], exec, s[6:7]
	s_cbranch_execnz .LBB43_2069
; %bb.21:
	s_or_saveexec_b64 s[6:7], s[6:7]
	v_mov_b32_e32 v22, s10
	s_xor_b64 exec, exec, s[6:7]
	s_cbranch_execnz .LBB43_2072
.LBB43_22:
	s_or_b64 exec, exec, s[6:7]
	s_and_saveexec_b64 s[6:7], s[4:5]
	s_cbranch_execz .LBB43_24
.LBB43_23:
	v_bfe_u32 v21, v10, 16, 3
	v_ffbh_u32_e32 v24, v21
	v_min_u32_e32 v24, 32, v24
	v_lshrrev_b32_e32 v22, 19, v10
	v_subrev_u32_e32 v25, 28, v24
	v_and_b32_e32 v22, 15, v22
	v_lshlrev_b32_sdwa v25, v25, v10 dst_sel:DWORD dst_unused:UNUSED_PAD src0_sel:DWORD src1_sel:WORD_1
	v_bfe_u32 v23, v10, 19, 4
	v_sub_u32_e32 v24, 29, v24
	v_and_b32_e32 v25, 7, v25
	v_cmp_eq_u16_e32 vcc, 0, v22
	v_cndmask_b32_e32 v21, v21, v25, vcc
	v_cndmask_b32_e32 v22, v23, v24, vcc
	v_lshlrev_b32_e32 v23, 8, v10
	v_mov_b32_e32 v24, 0x3b800000
	v_lshlrev_b32_e32 v21, 20, v21
	v_and_b32_e32 v23, 0x80000000, v23
	v_lshl_add_u32 v22, v22, 23, v24
	v_or3_b32 v22, v23, v22, v21
.LBB43_24:
	s_or_b64 exec, exec, s[6:7]
	s_nop 0
	v_mfma_f32_16x16x4f32 a[0:3], v20, v22, a[0:3]
	s_movk_i32 s4, 0x7f
	v_cmp_gt_i16_sdwa s[6:7], v14, s4 src0_sel:BYTE_3 src1_sel:DWORD
	s_mov_b64 s[4:5], 0
                                        ; implicit-def: $sgpr10
	s_and_saveexec_b64 s[8:9], s[6:7]
	s_xor_b64 s[6:7], exec, s[8:9]
	s_cbranch_execnz .LBB43_2073
; %bb.25:
	s_or_saveexec_b64 s[6:7], s[6:7]
	v_mov_b32_e32 v20, s10
	s_xor_b64 exec, exec, s[6:7]
	s_cbranch_execnz .LBB43_2076
.LBB43_26:
	s_or_b64 exec, exec, s[6:7]
	s_and_saveexec_b64 s[6:7], s[4:5]
	s_cbranch_execz .LBB43_28
.LBB43_27:
	v_bfe_u32 v20, v14, 24, 3
	v_ffbh_u32_e32 v24, v20
	v_min_u32_e32 v24, 32, v24
	v_lshrrev_b32_e32 v22, 27, v14
	v_subrev_u32_e32 v25, 28, v24
	v_and_b32_e32 v21, 0x80000000, v14
	v_and_b32_e32 v22, 15, v22
	v_bfe_u32 v23, v14, 27, 4
	v_lshlrev_b32_sdwa v14, v25, v14 dst_sel:DWORD dst_unused:UNUSED_PAD src0_sel:DWORD src1_sel:BYTE_3
	v_sub_u32_e32 v24, 29, v24
	v_and_b32_e32 v14, 7, v14
	v_cmp_eq_u16_e32 vcc, 0, v22
	v_cndmask_b32_e32 v14, v20, v14, vcc
	v_cndmask_b32_e32 v20, v23, v24, vcc
	v_mov_b32_e32 v22, 0x3b800000
	v_lshlrev_b32_e32 v14, 20, v14
	v_lshl_add_u32 v20, v20, 23, v22
	v_or3_b32 v20, v21, v20, v14
.LBB43_28:
	s_or_b64 exec, exec, s[6:7]
	s_movk_i32 s4, 0x7f
	v_cmp_gt_i16_sdwa s[6:7], v10, s4 src0_sel:BYTE_3 src1_sel:DWORD
	s_mov_b64 s[4:5], 0
                                        ; implicit-def: $sgpr10
	s_and_saveexec_b64 s[8:9], s[6:7]
	s_xor_b64 s[6:7], exec, s[8:9]
	s_cbranch_execnz .LBB43_2077
; %bb.29:
	s_or_saveexec_b64 s[6:7], s[6:7]
	v_mov_b32_e32 v14, s10
	s_xor_b64 exec, exec, s[6:7]
	s_cbranch_execnz .LBB43_2080
.LBB43_30:
	s_or_b64 exec, exec, s[6:7]
	s_and_saveexec_b64 s[6:7], s[4:5]
	s_cbranch_execz .LBB43_32
.LBB43_31:
	v_bfe_u32 v14, v10, 24, 3
	v_ffbh_u32_e32 v24, v14
	v_min_u32_e32 v24, 32, v24
	v_lshrrev_b32_e32 v22, 27, v10
	v_subrev_u32_e32 v25, 28, v24
	v_and_b32_e32 v21, 0x80000000, v10
	v_and_b32_e32 v22, 15, v22
	v_bfe_u32 v23, v10, 27, 4
	v_lshlrev_b32_sdwa v10, v25, v10 dst_sel:DWORD dst_unused:UNUSED_PAD src0_sel:DWORD src1_sel:BYTE_3
	v_sub_u32_e32 v24, 29, v24
	v_and_b32_e32 v10, 7, v10
	v_cmp_eq_u16_e32 vcc, 0, v22
	v_cndmask_b32_e32 v10, v14, v10, vcc
	v_cndmask_b32_e32 v14, v23, v24, vcc
	v_mov_b32_e32 v22, 0x3b800000
	v_lshlrev_b32_e32 v10, 20, v10
	v_lshl_add_u32 v14, v14, 23, v22
	v_or3_b32 v14, v21, v14, v10
.LBB43_32:
	s_or_b64 exec, exec, s[6:7]
	s_nop 0
	v_mfma_f32_16x16x4f32 a[0:3], v20, v14, a[0:3]
	s_movk_i32 s4, 0x7f
	v_cmp_gt_i16_sdwa s[6:7], v15, s4 src0_sel:BYTE_0 src1_sel:DWORD
	s_mov_b64 s[4:5], 0
                                        ; implicit-def: $sgpr10
	s_and_saveexec_b64 s[8:9], s[6:7]
	s_xor_b64 s[6:7], exec, s[8:9]
	s_cbranch_execnz .LBB43_2081
; %bb.33:
	s_or_saveexec_b64 s[6:7], s[6:7]
	v_mov_b32_e32 v10, s10
	s_xor_b64 exec, exec, s[6:7]
	s_cbranch_execnz .LBB43_2084
.LBB43_34:
	s_or_b64 exec, exec, s[6:7]
	s_and_saveexec_b64 s[6:7], s[4:5]
	s_cbranch_execz .LBB43_36
.LBB43_35:
	v_and_b32_e32 v10, 7, v15
	v_ffbh_u32_e32 v20, v10
	v_min_u32_e32 v20, 32, v20
	v_lshrrev_b16_e32 v14, 3, v15
	v_subrev_u32_e32 v21, 28, v20
	v_and_b32_e32 v14, 15, v14
	v_lshlrev_b32_e32 v21, v21, v15
	v_sub_u32_e32 v20, 29, v20
	v_and_b32_e32 v21, 7, v21
	v_cmp_eq_u16_e32 vcc, 0, v14
	v_cndmask_b32_e32 v10, v10, v21, vcc
	v_cndmask_b32_e32 v14, v14, v20, vcc
	v_lshlrev_b32_e32 v20, 24, v15
	v_mov_b32_e32 v21, 0x3b800000
	v_lshlrev_b32_e32 v10, 20, v10
	v_and_b32_e32 v20, 0x80000000, v20
	v_lshl_add_u32 v14, v14, 23, v21
	v_or3_b32 v10, v20, v14, v10
.LBB43_36:
	s_or_b64 exec, exec, s[6:7]
	s_movk_i32 s4, 0x7f
	v_cmp_gt_i16_sdwa s[6:7], v11, s4 src0_sel:BYTE_0 src1_sel:DWORD
	s_mov_b64 s[4:5], 0
                                        ; implicit-def: $sgpr10
	s_and_saveexec_b64 s[8:9], s[6:7]
	s_xor_b64 s[6:7], exec, s[8:9]
	s_cbranch_execnz .LBB43_2085
; %bb.37:
	s_or_saveexec_b64 s[6:7], s[6:7]
	v_mov_b32_e32 v14, s10
	s_xor_b64 exec, exec, s[6:7]
	s_cbranch_execnz .LBB43_2088
.LBB43_38:
	s_or_b64 exec, exec, s[6:7]
	s_and_saveexec_b64 s[6:7], s[4:5]
	s_cbranch_execz .LBB43_40
.LBB43_39:
	v_and_b32_e32 v14, 7, v11
	v_ffbh_u32_e32 v21, v14
	v_min_u32_e32 v21, 32, v21
	v_lshrrev_b16_e32 v20, 3, v11
	v_subrev_u32_e32 v22, 28, v21
	v_and_b32_e32 v20, 15, v20
	v_lshlrev_b32_e32 v22, v22, v11
	v_sub_u32_e32 v21, 29, v21
	v_and_b32_e32 v22, 7, v22
	v_cmp_eq_u16_e32 vcc, 0, v20
	v_cndmask_b32_e32 v14, v14, v22, vcc
	v_cndmask_b32_e32 v20, v20, v21, vcc
	v_lshlrev_b32_e32 v21, 24, v11
	v_mov_b32_e32 v22, 0x3b800000
	v_lshlrev_b32_e32 v14, 20, v14
	v_and_b32_e32 v21, 0x80000000, v21
	v_lshl_add_u32 v20, v20, 23, v22
	v_or3_b32 v14, v21, v20, v14
.LBB43_40:
	s_or_b64 exec, exec, s[6:7]
	s_nop 0
	v_mfma_f32_16x16x4f32 a[0:3], v10, v14, a[0:3]
	v_lshrrev_b32_e32 v14, 8, v15
	s_movk_i32 s4, 0x7f
	v_cmp_gt_i16_sdwa s[6:7], v14, s4 src0_sel:BYTE_0 src1_sel:DWORD
	s_mov_b64 s[4:5], 0
                                        ; implicit-def: $sgpr10
	s_and_saveexec_b64 s[8:9], s[6:7]
	s_xor_b64 s[6:7], exec, s[8:9]
	s_cbranch_execnz .LBB43_2089
; %bb.41:
	s_or_saveexec_b64 s[6:7], s[6:7]
	v_mov_b32_e32 v10, s10
	s_xor_b64 exec, exec, s[6:7]
	s_cbranch_execnz .LBB43_2092
.LBB43_42:
	s_or_b64 exec, exec, s[6:7]
	s_and_saveexec_b64 s[6:7], s[4:5]
	s_cbranch_execz .LBB43_44
.LBB43_43:
	v_bfe_u32 v10, v15, 8, 3
	v_ffbh_u32_e32 v21, v10
	v_min_u32_e32 v21, 32, v21
	v_lshrrev_b16_e32 v20, 3, v14
	v_subrev_u32_e32 v22, 28, v21
	v_and_b32_e32 v20, 15, v20
	v_lshlrev_b32_e32 v14, v22, v14
	v_sub_u32_e32 v21, 29, v21
	v_and_b32_e32 v14, 7, v14
	v_cmp_eq_u16_e32 vcc, 0, v20
	v_cndmask_b32_e32 v10, v10, v14, vcc
	v_cndmask_b32_e32 v14, v20, v21, vcc
	v_lshlrev_b32_e32 v20, 16, v15
	v_mov_b32_e32 v21, 0x3b800000
	v_lshlrev_b32_e32 v10, 20, v10
	v_and_b32_e32 v20, 0x80000000, v20
	v_lshl_add_u32 v14, v14, 23, v21
	v_or3_b32 v10, v20, v14, v10
.LBB43_44:
	s_or_b64 exec, exec, s[6:7]
	v_lshrrev_b32_e32 v14, 8, v11
	s_movk_i32 s4, 0x7f
	v_cmp_gt_i16_sdwa s[6:7], v14, s4 src0_sel:BYTE_0 src1_sel:DWORD
	s_mov_b64 s[4:5], 0
                                        ; implicit-def: $sgpr10
	s_and_saveexec_b64 s[8:9], s[6:7]
	s_xor_b64 s[6:7], exec, s[8:9]
	s_cbranch_execnz .LBB43_2093
; %bb.45:
	s_or_saveexec_b64 s[6:7], s[6:7]
	v_mov_b32_e32 v20, s10
	s_xor_b64 exec, exec, s[6:7]
	s_cbranch_execnz .LBB43_2096
.LBB43_46:
	s_or_b64 exec, exec, s[6:7]
	s_and_saveexec_b64 s[6:7], s[4:5]
	s_cbranch_execz .LBB43_48
.LBB43_47:
	v_bfe_u32 v20, v11, 8, 3
	v_ffbh_u32_e32 v22, v20
	v_min_u32_e32 v22, 32, v22
	v_lshrrev_b16_e32 v21, 3, v14
	v_subrev_u32_e32 v23, 28, v22
	v_and_b32_e32 v21, 15, v21
	v_lshlrev_b32_e32 v14, v23, v14
	v_sub_u32_e32 v22, 29, v22
	v_and_b32_e32 v14, 7, v14
	v_cmp_eq_u16_e32 vcc, 0, v21
	v_cndmask_b32_e32 v14, v20, v14, vcc
	v_cndmask_b32_e32 v20, v21, v22, vcc
	v_lshlrev_b32_e32 v21, 16, v11
	v_mov_b32_e32 v22, 0x3b800000
	v_lshlrev_b32_e32 v14, 20, v14
	v_and_b32_e32 v21, 0x80000000, v21
	v_lshl_add_u32 v20, v20, 23, v22
	v_or3_b32 v20, v21, v20, v14
.LBB43_48:
	s_or_b64 exec, exec, s[6:7]
	s_nop 0
	v_mfma_f32_16x16x4f32 a[0:3], v10, v20, a[0:3]
	s_movk_i32 s4, 0xff
	v_and_b32_sdwa v14, v15, s4 dst_sel:DWORD dst_unused:UNUSED_PAD src0_sel:WORD_1 src1_sel:DWORD
	s_movk_i32 s4, 0x7f
	v_cmp_lt_i16_e32 vcc, s4, v14
	s_mov_b64 s[4:5], 0
                                        ; implicit-def: $sgpr10
	s_and_saveexec_b64 s[6:7], vcc
	s_xor_b64 s[6:7], exec, s[6:7]
	s_cbranch_execnz .LBB43_2097
; %bb.49:
	s_or_saveexec_b64 s[6:7], s[6:7]
	v_mov_b32_e32 v10, s10
	s_xor_b64 exec, exec, s[6:7]
	s_cbranch_execnz .LBB43_2100
.LBB43_50:
	s_or_b64 exec, exec, s[6:7]
	s_and_saveexec_b64 s[6:7], s[4:5]
	s_cbranch_execz .LBB43_52
.LBB43_51:
	v_bfe_u32 v10, v15, 16, 3
	v_ffbh_u32_e32 v21, v10
	v_min_u32_e32 v21, 32, v21
	v_lshrrev_b32_e32 v14, 19, v15
	v_subrev_u32_e32 v22, 28, v21
	v_and_b32_e32 v14, 15, v14
	v_lshlrev_b32_sdwa v22, v22, v15 dst_sel:DWORD dst_unused:UNUSED_PAD src0_sel:DWORD src1_sel:WORD_1
	v_bfe_u32 v20, v15, 19, 4
	v_sub_u32_e32 v21, 29, v21
	v_and_b32_e32 v22, 7, v22
	v_cmp_eq_u16_e32 vcc, 0, v14
	v_cndmask_b32_e32 v10, v10, v22, vcc
	v_cndmask_b32_e32 v14, v20, v21, vcc
	v_lshlrev_b32_e32 v20, 8, v15
	v_mov_b32_e32 v21, 0x3b800000
	v_lshlrev_b32_e32 v10, 20, v10
	v_and_b32_e32 v20, 0x80000000, v20
	v_lshl_add_u32 v14, v14, 23, v21
	v_or3_b32 v10, v20, v14, v10
.LBB43_52:
	s_or_b64 exec, exec, s[6:7]
	s_movk_i32 s4, 0xff
	v_and_b32_sdwa v14, v11, s4 dst_sel:DWORD dst_unused:UNUSED_PAD src0_sel:WORD_1 src1_sel:DWORD
	s_movk_i32 s4, 0x7f
	v_cmp_lt_i16_e32 vcc, s4, v14
	s_mov_b64 s[4:5], 0
                                        ; implicit-def: $sgpr10
	s_and_saveexec_b64 s[6:7], vcc
	s_xor_b64 s[6:7], exec, s[6:7]
	s_cbranch_execnz .LBB43_2101
; %bb.53:
	s_or_saveexec_b64 s[6:7], s[6:7]
	v_mov_b32_e32 v20, s10
	s_xor_b64 exec, exec, s[6:7]
	s_cbranch_execnz .LBB43_2104
.LBB43_54:
	s_or_b64 exec, exec, s[6:7]
	s_and_saveexec_b64 s[6:7], s[4:5]
	s_cbranch_execz .LBB43_56
.LBB43_55:
	v_bfe_u32 v14, v11, 16, 3
	v_ffbh_u32_e32 v22, v14
	v_min_u32_e32 v22, 32, v22
	v_lshrrev_b32_e32 v20, 19, v11
	v_subrev_u32_e32 v23, 28, v22
	v_and_b32_e32 v20, 15, v20
	v_lshlrev_b32_sdwa v23, v23, v11 dst_sel:DWORD dst_unused:UNUSED_PAD src0_sel:DWORD src1_sel:WORD_1
	v_bfe_u32 v21, v11, 19, 4
	v_sub_u32_e32 v22, 29, v22
	v_and_b32_e32 v23, 7, v23
	v_cmp_eq_u16_e32 vcc, 0, v20
	v_cndmask_b32_e32 v14, v14, v23, vcc
	v_cndmask_b32_e32 v20, v21, v22, vcc
	v_lshlrev_b32_e32 v21, 8, v11
	v_mov_b32_e32 v22, 0x3b800000
	v_lshlrev_b32_e32 v14, 20, v14
	v_and_b32_e32 v21, 0x80000000, v21
	v_lshl_add_u32 v20, v20, 23, v22
	v_or3_b32 v20, v21, v20, v14
.LBB43_56:
	s_or_b64 exec, exec, s[6:7]
	s_nop 0
	v_mfma_f32_16x16x4f32 a[0:3], v10, v20, a[0:3]
	s_movk_i32 s4, 0x7f
	v_cmp_gt_i16_sdwa s[6:7], v15, s4 src0_sel:BYTE_3 src1_sel:DWORD
	s_mov_b64 s[4:5], 0
                                        ; implicit-def: $sgpr10
	s_and_saveexec_b64 s[8:9], s[6:7]
	s_xor_b64 s[6:7], exec, s[8:9]
	s_cbranch_execnz .LBB43_2105
; %bb.57:
	s_or_saveexec_b64 s[6:7], s[6:7]
	v_mov_b32_e32 v10, s10
	s_xor_b64 exec, exec, s[6:7]
	s_cbranch_execnz .LBB43_2108
.LBB43_58:
	s_or_b64 exec, exec, s[6:7]
	s_and_saveexec_b64 s[6:7], s[4:5]
	s_cbranch_execz .LBB43_60
.LBB43_59:
	v_bfe_u32 v10, v15, 24, 3
	v_ffbh_u32_e32 v22, v10
	v_min_u32_e32 v22, 32, v22
	v_lshrrev_b32_e32 v20, 27, v15
	v_subrev_u32_e32 v23, 28, v22
	v_and_b32_e32 v14, 0x80000000, v15
	v_and_b32_e32 v20, 15, v20
	v_bfe_u32 v21, v15, 27, 4
	v_lshlrev_b32_sdwa v15, v23, v15 dst_sel:DWORD dst_unused:UNUSED_PAD src0_sel:DWORD src1_sel:BYTE_3
	v_sub_u32_e32 v22, 29, v22
	v_and_b32_e32 v15, 7, v15
	v_cmp_eq_u16_e32 vcc, 0, v20
	v_cndmask_b32_e32 v10, v10, v15, vcc
	v_cndmask_b32_e32 v15, v21, v22, vcc
	v_mov_b32_e32 v20, 0x3b800000
	v_lshlrev_b32_e32 v10, 20, v10
	v_lshl_add_u32 v15, v15, 23, v20
	v_or3_b32 v10, v14, v15, v10
.LBB43_60:
	s_or_b64 exec, exec, s[6:7]
	s_movk_i32 s4, 0x7f
	v_cmp_gt_i16_sdwa s[6:7], v11, s4 src0_sel:BYTE_3 src1_sel:DWORD
	s_mov_b64 s[4:5], 0
                                        ; implicit-def: $sgpr10
	s_and_saveexec_b64 s[8:9], s[6:7]
	s_xor_b64 s[6:7], exec, s[8:9]
	s_cbranch_execnz .LBB43_2109
; %bb.61:
	s_or_saveexec_b64 s[6:7], s[6:7]
	v_mov_b32_e32 v14, s10
	s_xor_b64 exec, exec, s[6:7]
	s_cbranch_execnz .LBB43_2112
.LBB43_62:
	s_or_b64 exec, exec, s[6:7]
	s_and_saveexec_b64 s[6:7], s[4:5]
	s_cbranch_execz .LBB43_64
.LBB43_63:
	v_bfe_u32 v14, v11, 24, 3
	v_ffbh_u32_e32 v22, v14
	v_min_u32_e32 v22, 32, v22
	v_lshrrev_b32_e32 v20, 27, v11
	v_subrev_u32_e32 v23, 28, v22
	v_and_b32_e32 v15, 0x80000000, v11
	v_and_b32_e32 v20, 15, v20
	v_bfe_u32 v21, v11, 27, 4
	v_lshlrev_b32_sdwa v11, v23, v11 dst_sel:DWORD dst_unused:UNUSED_PAD src0_sel:DWORD src1_sel:BYTE_3
	v_sub_u32_e32 v22, 29, v22
	v_and_b32_e32 v11, 7, v11
	v_cmp_eq_u16_e32 vcc, 0, v20
	v_cndmask_b32_e32 v11, v14, v11, vcc
	v_cndmask_b32_e32 v14, v21, v22, vcc
	v_mov_b32_e32 v20, 0x3b800000
	v_lshlrev_b32_e32 v11, 20, v11
	v_lshl_add_u32 v14, v14, 23, v20
	v_or3_b32 v14, v15, v14, v11
.LBB43_64:
	s_or_b64 exec, exec, s[6:7]
	s_nop 0
	v_mfma_f32_16x16x4f32 a[0:3], v10, v14, a[0:3]
	s_movk_i32 s4, 0x7f
	v_cmp_gt_i16_sdwa s[6:7], v16, s4 src0_sel:BYTE_0 src1_sel:DWORD
	s_mov_b64 s[4:5], 0
                                        ; implicit-def: $sgpr10
	s_and_saveexec_b64 s[8:9], s[6:7]
	s_xor_b64 s[6:7], exec, s[8:9]
	s_cbranch_execnz .LBB43_2113
; %bb.65:
	s_or_saveexec_b64 s[6:7], s[6:7]
	v_mov_b32_e32 v10, s10
	s_xor_b64 exec, exec, s[6:7]
	s_cbranch_execnz .LBB43_2116
.LBB43_66:
	s_or_b64 exec, exec, s[6:7]
	s_and_saveexec_b64 s[6:7], s[4:5]
	s_cbranch_execz .LBB43_68
.LBB43_67:
	v_and_b32_e32 v10, 7, v16
	v_ffbh_u32_e32 v14, v10
	v_min_u32_e32 v14, 32, v14
	v_lshrrev_b16_e32 v11, 3, v16
	v_subrev_u32_e32 v15, 28, v14
	v_and_b32_e32 v11, 15, v11
	v_lshlrev_b32_e32 v15, v15, v16
	v_sub_u32_e32 v14, 29, v14
	v_and_b32_e32 v15, 7, v15
	v_cmp_eq_u16_e32 vcc, 0, v11
	v_cndmask_b32_e32 v10, v10, v15, vcc
	v_cndmask_b32_e32 v11, v11, v14, vcc
	v_lshlrev_b32_e32 v14, 24, v16
	v_mov_b32_e32 v15, 0x3b800000
	v_lshlrev_b32_e32 v10, 20, v10
	v_and_b32_e32 v14, 0x80000000, v14
	v_lshl_add_u32 v11, v11, 23, v15
	v_or3_b32 v10, v14, v11, v10
.LBB43_68:
	s_or_b64 exec, exec, s[6:7]
	s_movk_i32 s4, 0x7f
	v_cmp_gt_i16_sdwa s[6:7], v12, s4 src0_sel:BYTE_0 src1_sel:DWORD
	s_mov_b64 s[4:5], 0
                                        ; implicit-def: $sgpr10
	s_and_saveexec_b64 s[8:9], s[6:7]
	s_xor_b64 s[6:7], exec, s[8:9]
	s_cbranch_execnz .LBB43_2117
; %bb.69:
	s_or_saveexec_b64 s[6:7], s[6:7]
	v_mov_b32_e32 v11, s10
	s_xor_b64 exec, exec, s[6:7]
	s_cbranch_execnz .LBB43_2120
.LBB43_70:
	s_or_b64 exec, exec, s[6:7]
	s_and_saveexec_b64 s[6:7], s[4:5]
	s_cbranch_execz .LBB43_72
.LBB43_71:
	v_and_b32_e32 v11, 7, v12
	v_ffbh_u32_e32 v15, v11
	v_min_u32_e32 v15, 32, v15
	v_lshrrev_b16_e32 v14, 3, v12
	v_subrev_u32_e32 v20, 28, v15
	v_and_b32_e32 v14, 15, v14
	v_lshlrev_b32_e32 v20, v20, v12
	v_sub_u32_e32 v15, 29, v15
	v_and_b32_e32 v20, 7, v20
	v_cmp_eq_u16_e32 vcc, 0, v14
	v_cndmask_b32_e32 v11, v11, v20, vcc
	v_cndmask_b32_e32 v14, v14, v15, vcc
	v_lshlrev_b32_e32 v15, 24, v12
	v_mov_b32_e32 v20, 0x3b800000
	v_lshlrev_b32_e32 v11, 20, v11
	v_and_b32_e32 v15, 0x80000000, v15
	v_lshl_add_u32 v14, v14, 23, v20
	v_or3_b32 v11, v15, v14, v11
.LBB43_72:
	s_or_b64 exec, exec, s[6:7]
	s_nop 0
	v_mfma_f32_16x16x4f32 a[0:3], v10, v11, a[0:3]
	v_lshrrev_b32_e32 v11, 8, v16
	s_movk_i32 s4, 0x7f
	v_cmp_gt_i16_sdwa s[6:7], v11, s4 src0_sel:BYTE_0 src1_sel:DWORD
	s_mov_b64 s[4:5], 0
                                        ; implicit-def: $sgpr10
	s_and_saveexec_b64 s[8:9], s[6:7]
	s_xor_b64 s[6:7], exec, s[8:9]
	s_cbranch_execnz .LBB43_2121
; %bb.73:
	s_or_saveexec_b64 s[6:7], s[6:7]
	v_mov_b32_e32 v10, s10
	s_xor_b64 exec, exec, s[6:7]
	s_cbranch_execnz .LBB43_2124
.LBB43_74:
	s_or_b64 exec, exec, s[6:7]
	s_and_saveexec_b64 s[6:7], s[4:5]
	s_cbranch_execz .LBB43_76
.LBB43_75:
	v_bfe_u32 v10, v16, 8, 3
	v_ffbh_u32_e32 v15, v10
	v_min_u32_e32 v15, 32, v15
	v_lshrrev_b16_e32 v14, 3, v11
	v_subrev_u32_e32 v20, 28, v15
	v_and_b32_e32 v14, 15, v14
	v_lshlrev_b32_e32 v11, v20, v11
	v_sub_u32_e32 v15, 29, v15
	v_and_b32_e32 v11, 7, v11
	v_cmp_eq_u16_e32 vcc, 0, v14
	v_cndmask_b32_e32 v10, v10, v11, vcc
	v_cndmask_b32_e32 v11, v14, v15, vcc
	v_lshlrev_b32_e32 v14, 16, v16
	v_mov_b32_e32 v15, 0x3b800000
	v_lshlrev_b32_e32 v10, 20, v10
	v_and_b32_e32 v14, 0x80000000, v14
	v_lshl_add_u32 v11, v11, 23, v15
	v_or3_b32 v10, v14, v11, v10
.LBB43_76:
	s_or_b64 exec, exec, s[6:7]
	v_lshrrev_b32_e32 v11, 8, v12
	s_movk_i32 s4, 0x7f
	v_cmp_gt_i16_sdwa s[6:7], v11, s4 src0_sel:BYTE_0 src1_sel:DWORD
	s_mov_b64 s[4:5], 0
                                        ; implicit-def: $sgpr10
	s_and_saveexec_b64 s[8:9], s[6:7]
	s_xor_b64 s[6:7], exec, s[8:9]
	s_cbranch_execnz .LBB43_2125
; %bb.77:
	s_or_saveexec_b64 s[6:7], s[6:7]
	v_mov_b32_e32 v14, s10
	s_xor_b64 exec, exec, s[6:7]
	s_cbranch_execnz .LBB43_2128
.LBB43_78:
	s_or_b64 exec, exec, s[6:7]
	s_and_saveexec_b64 s[6:7], s[4:5]
	s_cbranch_execz .LBB43_80
.LBB43_79:
	v_bfe_u32 v14, v12, 8, 3
	v_ffbh_u32_e32 v20, v14
	v_min_u32_e32 v20, 32, v20
	v_lshrrev_b16_e32 v15, 3, v11
	v_subrev_u32_e32 v21, 28, v20
	v_and_b32_e32 v15, 15, v15
	v_lshlrev_b32_e32 v11, v21, v11
	v_sub_u32_e32 v20, 29, v20
	v_and_b32_e32 v11, 7, v11
	v_cmp_eq_u16_e32 vcc, 0, v15
	v_cndmask_b32_e32 v11, v14, v11, vcc
	v_cndmask_b32_e32 v14, v15, v20, vcc
	v_lshlrev_b32_e32 v15, 16, v12
	v_mov_b32_e32 v20, 0x3b800000
	v_lshlrev_b32_e32 v11, 20, v11
	v_and_b32_e32 v15, 0x80000000, v15
	v_lshl_add_u32 v14, v14, 23, v20
	v_or3_b32 v14, v15, v14, v11
.LBB43_80:
	s_or_b64 exec, exec, s[6:7]
	s_nop 0
	v_mfma_f32_16x16x4f32 a[0:3], v10, v14, a[0:3]
	s_movk_i32 s4, 0xff
	v_and_b32_sdwa v11, v16, s4 dst_sel:DWORD dst_unused:UNUSED_PAD src0_sel:WORD_1 src1_sel:DWORD
	s_movk_i32 s4, 0x7f
	v_cmp_lt_i16_e32 vcc, s4, v11
	s_mov_b64 s[4:5], 0
                                        ; implicit-def: $sgpr10
	s_and_saveexec_b64 s[6:7], vcc
	s_xor_b64 s[6:7], exec, s[6:7]
	s_cbranch_execnz .LBB43_2129
; %bb.81:
	s_or_saveexec_b64 s[6:7], s[6:7]
	v_mov_b32_e32 v10, s10
	s_xor_b64 exec, exec, s[6:7]
	s_cbranch_execnz .LBB43_2132
.LBB43_82:
	s_or_b64 exec, exec, s[6:7]
	s_and_saveexec_b64 s[6:7], s[4:5]
	s_cbranch_execz .LBB43_84
.LBB43_83:
	v_bfe_u32 v10, v16, 16, 3
	v_ffbh_u32_e32 v15, v10
	v_min_u32_e32 v15, 32, v15
	v_lshrrev_b32_e32 v11, 19, v16
	v_subrev_u32_e32 v20, 28, v15
	v_and_b32_e32 v11, 15, v11
	v_lshlrev_b32_sdwa v20, v20, v16 dst_sel:DWORD dst_unused:UNUSED_PAD src0_sel:DWORD src1_sel:WORD_1
	v_bfe_u32 v14, v16, 19, 4
	v_sub_u32_e32 v15, 29, v15
	v_and_b32_e32 v20, 7, v20
	v_cmp_eq_u16_e32 vcc, 0, v11
	v_cndmask_b32_e32 v10, v10, v20, vcc
	v_cndmask_b32_e32 v11, v14, v15, vcc
	v_lshlrev_b32_e32 v14, 8, v16
	v_mov_b32_e32 v15, 0x3b800000
	v_lshlrev_b32_e32 v10, 20, v10
	v_and_b32_e32 v14, 0x80000000, v14
	v_lshl_add_u32 v11, v11, 23, v15
	v_or3_b32 v10, v14, v11, v10
.LBB43_84:
	s_or_b64 exec, exec, s[6:7]
	s_movk_i32 s4, 0xff
	v_and_b32_sdwa v11, v12, s4 dst_sel:DWORD dst_unused:UNUSED_PAD src0_sel:WORD_1 src1_sel:DWORD
	s_movk_i32 s4, 0x7f
	v_cmp_lt_i16_e32 vcc, s4, v11
	s_mov_b64 s[4:5], 0
                                        ; implicit-def: $sgpr10
	s_and_saveexec_b64 s[6:7], vcc
	s_xor_b64 s[6:7], exec, s[6:7]
	s_cbranch_execnz .LBB43_2133
; %bb.85:
	s_or_saveexec_b64 s[6:7], s[6:7]
	v_mov_b32_e32 v14, s10
	s_xor_b64 exec, exec, s[6:7]
	s_cbranch_execnz .LBB43_2136
.LBB43_86:
	s_or_b64 exec, exec, s[6:7]
	s_and_saveexec_b64 s[6:7], s[4:5]
	s_cbranch_execz .LBB43_88
.LBB43_87:
	v_bfe_u32 v11, v12, 16, 3
	v_ffbh_u32_e32 v20, v11
	v_min_u32_e32 v20, 32, v20
	v_lshrrev_b32_e32 v14, 19, v12
	v_subrev_u32_e32 v21, 28, v20
	v_and_b32_e32 v14, 15, v14
	v_lshlrev_b32_sdwa v21, v21, v12 dst_sel:DWORD dst_unused:UNUSED_PAD src0_sel:DWORD src1_sel:WORD_1
	v_bfe_u32 v15, v12, 19, 4
	v_sub_u32_e32 v20, 29, v20
	v_and_b32_e32 v21, 7, v21
	v_cmp_eq_u16_e32 vcc, 0, v14
	v_cndmask_b32_e32 v11, v11, v21, vcc
	v_cndmask_b32_e32 v14, v15, v20, vcc
	v_lshlrev_b32_e32 v15, 8, v12
	v_mov_b32_e32 v20, 0x3b800000
	v_lshlrev_b32_e32 v11, 20, v11
	v_and_b32_e32 v15, 0x80000000, v15
	v_lshl_add_u32 v14, v14, 23, v20
	v_or3_b32 v14, v15, v14, v11
.LBB43_88:
	s_or_b64 exec, exec, s[6:7]
	s_nop 0
	v_mfma_f32_16x16x4f32 a[0:3], v10, v14, a[0:3]
	s_movk_i32 s4, 0x7f
	v_cmp_gt_i16_sdwa s[6:7], v16, s4 src0_sel:BYTE_3 src1_sel:DWORD
	s_mov_b64 s[4:5], 0
                                        ; implicit-def: $sgpr10
	s_and_saveexec_b64 s[8:9], s[6:7]
	s_xor_b64 s[6:7], exec, s[8:9]
	s_cbranch_execnz .LBB43_2137
; %bb.89:
	s_or_saveexec_b64 s[6:7], s[6:7]
	v_mov_b32_e32 v10, s10
	s_xor_b64 exec, exec, s[6:7]
	s_cbranch_execnz .LBB43_2140
.LBB43_90:
	s_or_b64 exec, exec, s[6:7]
	s_and_saveexec_b64 s[6:7], s[4:5]
	s_cbranch_execz .LBB43_92
.LBB43_91:
	v_bfe_u32 v10, v16, 24, 3
	v_ffbh_u32_e32 v20, v10
	v_min_u32_e32 v20, 32, v20
	v_lshrrev_b32_e32 v14, 27, v16
	v_subrev_u32_e32 v21, 28, v20
	v_and_b32_e32 v11, 0x80000000, v16
	v_and_b32_e32 v14, 15, v14
	v_bfe_u32 v15, v16, 27, 4
	v_lshlrev_b32_sdwa v16, v21, v16 dst_sel:DWORD dst_unused:UNUSED_PAD src0_sel:DWORD src1_sel:BYTE_3
	v_sub_u32_e32 v20, 29, v20
	v_and_b32_e32 v16, 7, v16
	v_cmp_eq_u16_e32 vcc, 0, v14
	v_cndmask_b32_e32 v10, v10, v16, vcc
	v_cndmask_b32_e32 v14, v15, v20, vcc
	v_mov_b32_e32 v15, 0x3b800000
	v_lshlrev_b32_e32 v10, 20, v10
	v_lshl_add_u32 v14, v14, 23, v15
	v_or3_b32 v10, v11, v14, v10
.LBB43_92:
	s_or_b64 exec, exec, s[6:7]
	s_movk_i32 s4, 0x7f
	v_cmp_gt_i16_sdwa s[6:7], v12, s4 src0_sel:BYTE_3 src1_sel:DWORD
	s_mov_b64 s[4:5], 0
                                        ; implicit-def: $sgpr10
	s_and_saveexec_b64 s[8:9], s[6:7]
	s_xor_b64 s[6:7], exec, s[8:9]
	s_cbranch_execnz .LBB43_2141
; %bb.93:
	s_or_saveexec_b64 s[6:7], s[6:7]
	v_mov_b32_e32 v11, s10
	s_xor_b64 exec, exec, s[6:7]
	s_cbranch_execnz .LBB43_2144
.LBB43_94:
	s_or_b64 exec, exec, s[6:7]
	s_and_saveexec_b64 s[6:7], s[4:5]
	s_cbranch_execz .LBB43_96
.LBB43_95:
	v_bfe_u32 v11, v12, 24, 3
	v_ffbh_u32_e32 v20, v11
	v_min_u32_e32 v20, 32, v20
	v_lshrrev_b32_e32 v15, 27, v12
	v_subrev_u32_e32 v21, 28, v20
	v_and_b32_e32 v14, 0x80000000, v12
	v_and_b32_e32 v15, 15, v15
	v_bfe_u32 v16, v12, 27, 4
	v_lshlrev_b32_sdwa v12, v21, v12 dst_sel:DWORD dst_unused:UNUSED_PAD src0_sel:DWORD src1_sel:BYTE_3
	v_sub_u32_e32 v20, 29, v20
	v_and_b32_e32 v12, 7, v12
	v_cmp_eq_u16_e32 vcc, 0, v15
	v_cndmask_b32_e32 v11, v11, v12, vcc
	v_cndmask_b32_e32 v12, v16, v20, vcc
	v_mov_b32_e32 v15, 0x3b800000
	v_lshlrev_b32_e32 v11, 20, v11
	v_lshl_add_u32 v12, v12, 23, v15
	v_or3_b32 v11, v14, v12, v11
.LBB43_96:
	s_or_b64 exec, exec, s[6:7]
	s_nop 0
	v_mfma_f32_16x16x4f32 a[0:3], v10, v11, a[0:3]
	s_movk_i32 s4, 0x7f
	v_cmp_gt_i16_sdwa s[6:7], v17, s4 src0_sel:BYTE_0 src1_sel:DWORD
	s_mov_b64 s[4:5], 0
                                        ; implicit-def: $sgpr10
	s_and_saveexec_b64 s[8:9], s[6:7]
	s_xor_b64 s[6:7], exec, s[8:9]
	s_cbranch_execnz .LBB43_2145
; %bb.97:
	s_or_saveexec_b64 s[6:7], s[6:7]
	v_mov_b32_e32 v10, s10
	s_xor_b64 exec, exec, s[6:7]
	s_cbranch_execnz .LBB43_2148
.LBB43_98:
	s_or_b64 exec, exec, s[6:7]
	s_and_saveexec_b64 s[6:7], s[4:5]
	s_cbranch_execz .LBB43_100
.LBB43_99:
	v_and_b32_e32 v10, 7, v17
	v_ffbh_u32_e32 v12, v10
	v_min_u32_e32 v12, 32, v12
	v_lshrrev_b16_e32 v11, 3, v17
	v_subrev_u32_e32 v14, 28, v12
	v_and_b32_e32 v11, 15, v11
	v_lshlrev_b32_e32 v14, v14, v17
	v_sub_u32_e32 v12, 29, v12
	v_and_b32_e32 v14, 7, v14
	v_cmp_eq_u16_e32 vcc, 0, v11
	v_cndmask_b32_e32 v10, v10, v14, vcc
	v_cndmask_b32_e32 v11, v11, v12, vcc
	v_lshlrev_b32_e32 v12, 24, v17
	v_mov_b32_e32 v14, 0x3b800000
	v_lshlrev_b32_e32 v10, 20, v10
	v_and_b32_e32 v12, 0x80000000, v12
	v_lshl_add_u32 v11, v11, 23, v14
	v_or3_b32 v10, v12, v11, v10
.LBB43_100:
	s_or_b64 exec, exec, s[6:7]
	s_movk_i32 s4, 0x7f
	v_cmp_gt_i16_sdwa s[6:7], v13, s4 src0_sel:BYTE_0 src1_sel:DWORD
	s_mov_b64 s[4:5], 0
                                        ; implicit-def: $sgpr10
	s_and_saveexec_b64 s[8:9], s[6:7]
	s_xor_b64 s[6:7], exec, s[8:9]
	s_cbranch_execnz .LBB43_2149
; %bb.101:
	s_or_saveexec_b64 s[6:7], s[6:7]
	v_mov_b32_e32 v11, s10
	s_xor_b64 exec, exec, s[6:7]
	s_cbranch_execnz .LBB43_2152
.LBB43_102:
	s_or_b64 exec, exec, s[6:7]
	s_and_saveexec_b64 s[6:7], s[4:5]
	s_cbranch_execz .LBB43_104
.LBB43_103:
	v_and_b32_e32 v11, 7, v13
	v_ffbh_u32_e32 v14, v11
	v_min_u32_e32 v14, 32, v14
	v_lshrrev_b16_e32 v12, 3, v13
	v_subrev_u32_e32 v15, 28, v14
	v_and_b32_e32 v12, 15, v12
	v_lshlrev_b32_e32 v15, v15, v13
	v_sub_u32_e32 v14, 29, v14
	v_and_b32_e32 v15, 7, v15
	v_cmp_eq_u16_e32 vcc, 0, v12
	v_cndmask_b32_e32 v11, v11, v15, vcc
	v_cndmask_b32_e32 v12, v12, v14, vcc
	v_lshlrev_b32_e32 v14, 24, v13
	v_mov_b32_e32 v15, 0x3b800000
	v_lshlrev_b32_e32 v11, 20, v11
	v_and_b32_e32 v14, 0x80000000, v14
	v_lshl_add_u32 v12, v12, 23, v15
	v_or3_b32 v11, v14, v12, v11
.LBB43_104:
	s_or_b64 exec, exec, s[6:7]
	s_nop 0
	v_mfma_f32_16x16x4f32 a[0:3], v10, v11, a[0:3]
	v_lshrrev_b32_e32 v11, 8, v17
	s_movk_i32 s4, 0x7f
	v_cmp_gt_i16_sdwa s[6:7], v11, s4 src0_sel:BYTE_0 src1_sel:DWORD
	s_mov_b64 s[4:5], 0
                                        ; implicit-def: $sgpr10
	s_and_saveexec_b64 s[8:9], s[6:7]
	s_xor_b64 s[6:7], exec, s[8:9]
	s_cbranch_execnz .LBB43_2153
; %bb.105:
	s_or_saveexec_b64 s[6:7], s[6:7]
	v_mov_b32_e32 v10, s10
	s_xor_b64 exec, exec, s[6:7]
	s_cbranch_execnz .LBB43_2156
.LBB43_106:
	s_or_b64 exec, exec, s[6:7]
	s_and_saveexec_b64 s[6:7], s[4:5]
	s_cbranch_execz .LBB43_108
.LBB43_107:
	v_bfe_u32 v10, v17, 8, 3
	v_ffbh_u32_e32 v14, v10
	v_min_u32_e32 v14, 32, v14
	v_lshrrev_b16_e32 v12, 3, v11
	v_subrev_u32_e32 v15, 28, v14
	v_and_b32_e32 v12, 15, v12
	v_lshlrev_b32_e32 v11, v15, v11
	v_sub_u32_e32 v14, 29, v14
	v_and_b32_e32 v11, 7, v11
	v_cmp_eq_u16_e32 vcc, 0, v12
	v_cndmask_b32_e32 v10, v10, v11, vcc
	v_cndmask_b32_e32 v11, v12, v14, vcc
	v_lshlrev_b32_e32 v12, 16, v17
	v_mov_b32_e32 v14, 0x3b800000
	v_lshlrev_b32_e32 v10, 20, v10
	v_and_b32_e32 v12, 0x80000000, v12
	v_lshl_add_u32 v11, v11, 23, v14
	v_or3_b32 v10, v12, v11, v10
.LBB43_108:
	s_or_b64 exec, exec, s[6:7]
	v_lshrrev_b32_e32 v11, 8, v13
	s_movk_i32 s4, 0x7f
	v_cmp_gt_i16_sdwa s[6:7], v11, s4 src0_sel:BYTE_0 src1_sel:DWORD
	s_mov_b64 s[4:5], 0
                                        ; implicit-def: $sgpr10
	s_and_saveexec_b64 s[8:9], s[6:7]
	s_xor_b64 s[6:7], exec, s[8:9]
	s_cbranch_execnz .LBB43_2157
; %bb.109:
	s_or_saveexec_b64 s[6:7], s[6:7]
	v_mov_b32_e32 v12, s10
	s_xor_b64 exec, exec, s[6:7]
	s_cbranch_execnz .LBB43_2160
.LBB43_110:
	s_or_b64 exec, exec, s[6:7]
	s_and_saveexec_b64 s[6:7], s[4:5]
	s_cbranch_execz .LBB43_112
.LBB43_111:
	v_bfe_u32 v12, v13, 8, 3
	v_ffbh_u32_e32 v15, v12
	v_min_u32_e32 v15, 32, v15
	v_lshrrev_b16_e32 v14, 3, v11
	v_subrev_u32_e32 v16, 28, v15
	v_and_b32_e32 v14, 15, v14
	v_lshlrev_b32_e32 v11, v16, v11
	v_sub_u32_e32 v15, 29, v15
	v_and_b32_e32 v11, 7, v11
	v_cmp_eq_u16_e32 vcc, 0, v14
	v_cndmask_b32_e32 v11, v12, v11, vcc
	v_cndmask_b32_e32 v12, v14, v15, vcc
	v_lshlrev_b32_e32 v14, 16, v13
	v_mov_b32_e32 v15, 0x3b800000
	v_lshlrev_b32_e32 v11, 20, v11
	v_and_b32_e32 v14, 0x80000000, v14
	v_lshl_add_u32 v12, v12, 23, v15
	v_or3_b32 v12, v14, v12, v11
.LBB43_112:
	s_or_b64 exec, exec, s[6:7]
	s_nop 0
	v_mfma_f32_16x16x4f32 a[0:3], v10, v12, a[0:3]
	s_movk_i32 s4, 0xff
	v_and_b32_sdwa v11, v17, s4 dst_sel:DWORD dst_unused:UNUSED_PAD src0_sel:WORD_1 src1_sel:DWORD
	s_movk_i32 s4, 0x7f
	v_cmp_lt_i16_e32 vcc, s4, v11
	s_mov_b64 s[4:5], 0
                                        ; implicit-def: $sgpr10
	s_and_saveexec_b64 s[6:7], vcc
	s_xor_b64 s[6:7], exec, s[6:7]
	s_cbranch_execnz .LBB43_2161
; %bb.113:
	s_or_saveexec_b64 s[6:7], s[6:7]
	v_mov_b32_e32 v10, s10
	s_xor_b64 exec, exec, s[6:7]
	s_cbranch_execnz .LBB43_2164
.LBB43_114:
	s_or_b64 exec, exec, s[6:7]
	s_and_saveexec_b64 s[6:7], s[4:5]
	s_cbranch_execz .LBB43_116
.LBB43_115:
	v_bfe_u32 v10, v17, 16, 3
	v_ffbh_u32_e32 v14, v10
	v_min_u32_e32 v14, 32, v14
	v_lshrrev_b32_e32 v11, 19, v17
	v_subrev_u32_e32 v15, 28, v14
	v_and_b32_e32 v11, 15, v11
	v_lshlrev_b32_sdwa v15, v15, v17 dst_sel:DWORD dst_unused:UNUSED_PAD src0_sel:DWORD src1_sel:WORD_1
	v_bfe_u32 v12, v17, 19, 4
	v_sub_u32_e32 v14, 29, v14
	v_and_b32_e32 v15, 7, v15
	v_cmp_eq_u16_e32 vcc, 0, v11
	v_cndmask_b32_e32 v10, v10, v15, vcc
	v_cndmask_b32_e32 v11, v12, v14, vcc
	v_lshlrev_b32_e32 v12, 8, v17
	v_mov_b32_e32 v14, 0x3b800000
	v_lshlrev_b32_e32 v10, 20, v10
	v_and_b32_e32 v12, 0x80000000, v12
	v_lshl_add_u32 v11, v11, 23, v14
	v_or3_b32 v10, v12, v11, v10
.LBB43_116:
	s_or_b64 exec, exec, s[6:7]
	s_movk_i32 s4, 0xff
	v_and_b32_sdwa v11, v13, s4 dst_sel:DWORD dst_unused:UNUSED_PAD src0_sel:WORD_1 src1_sel:DWORD
	s_movk_i32 s4, 0x7f
	v_cmp_lt_i16_e32 vcc, s4, v11
	s_mov_b64 s[4:5], 0
                                        ; implicit-def: $sgpr10
	s_and_saveexec_b64 s[6:7], vcc
	s_xor_b64 s[6:7], exec, s[6:7]
	s_cbranch_execnz .LBB43_2165
; %bb.117:
	s_or_saveexec_b64 s[6:7], s[6:7]
	v_mov_b32_e32 v12, s10
	s_xor_b64 exec, exec, s[6:7]
	s_cbranch_execnz .LBB43_2168
.LBB43_118:
	s_or_b64 exec, exec, s[6:7]
	s_and_saveexec_b64 s[6:7], s[4:5]
	s_cbranch_execz .LBB43_120
.LBB43_119:
	v_bfe_u32 v11, v13, 16, 3
	v_ffbh_u32_e32 v15, v11
	v_min_u32_e32 v15, 32, v15
	v_lshrrev_b32_e32 v12, 19, v13
	v_subrev_u32_e32 v16, 28, v15
	v_and_b32_e32 v12, 15, v12
	v_lshlrev_b32_sdwa v16, v16, v13 dst_sel:DWORD dst_unused:UNUSED_PAD src0_sel:DWORD src1_sel:WORD_1
	v_bfe_u32 v14, v13, 19, 4
	v_sub_u32_e32 v15, 29, v15
	v_and_b32_e32 v16, 7, v16
	v_cmp_eq_u16_e32 vcc, 0, v12
	v_cndmask_b32_e32 v11, v11, v16, vcc
	v_cndmask_b32_e32 v12, v14, v15, vcc
	v_lshlrev_b32_e32 v14, 8, v13
	v_mov_b32_e32 v15, 0x3b800000
	v_lshlrev_b32_e32 v11, 20, v11
	v_and_b32_e32 v14, 0x80000000, v14
	v_lshl_add_u32 v12, v12, 23, v15
	v_or3_b32 v12, v14, v12, v11
.LBB43_120:
	s_or_b64 exec, exec, s[6:7]
	s_nop 0
	v_mfma_f32_16x16x4f32 a[0:3], v10, v12, a[0:3]
	s_movk_i32 s4, 0x7f
	v_cmp_gt_i16_sdwa s[6:7], v17, s4 src0_sel:BYTE_3 src1_sel:DWORD
	s_mov_b64 s[4:5], 0
                                        ; implicit-def: $sgpr10
	s_and_saveexec_b64 s[8:9], s[6:7]
	s_xor_b64 s[6:7], exec, s[8:9]
	s_cbranch_execnz .LBB43_2169
; %bb.121:
	s_or_saveexec_b64 s[6:7], s[6:7]
	v_mov_b32_e32 v10, s10
	s_xor_b64 exec, exec, s[6:7]
	s_cbranch_execnz .LBB43_2172
.LBB43_122:
	s_or_b64 exec, exec, s[6:7]
	s_and_saveexec_b64 s[6:7], s[4:5]
	s_cbranch_execz .LBB43_124
.LBB43_123:
	v_bfe_u32 v10, v17, 24, 3
	v_ffbh_u32_e32 v15, v10
	v_min_u32_e32 v15, 32, v15
	v_lshrrev_b32_e32 v12, 27, v17
	v_subrev_u32_e32 v16, 28, v15
	v_and_b32_e32 v12, 15, v12
	v_lshlrev_b32_sdwa v16, v16, v17 dst_sel:DWORD dst_unused:UNUSED_PAD src0_sel:DWORD src1_sel:BYTE_3
	v_bfe_u32 v14, v17, 27, 4
	v_sub_u32_e32 v15, 29, v15
	v_and_b32_e32 v16, 7, v16
	v_cmp_eq_u16_e32 vcc, 0, v12
	v_cndmask_b32_e32 v10, v10, v16, vcc
	v_cndmask_b32_e32 v12, v14, v15, vcc
	v_mov_b32_e32 v14, 0x3b800000
	v_and_b32_e32 v11, 0x80000000, v17
	v_lshlrev_b32_e32 v10, 20, v10
	v_lshl_add_u32 v12, v12, 23, v14
	v_or3_b32 v10, v11, v12, v10
.LBB43_124:
	s_or_b64 exec, exec, s[6:7]
	s_movk_i32 s4, 0x7f
	v_cmp_gt_i16_sdwa s[6:7], v13, s4 src0_sel:BYTE_3 src1_sel:DWORD
	s_mov_b64 s[4:5], 0
                                        ; implicit-def: $sgpr10
	s_and_saveexec_b64 s[8:9], s[6:7]
	s_xor_b64 s[6:7], exec, s[8:9]
	s_cbranch_execnz .LBB43_2173
; %bb.125:
	s_or_saveexec_b64 s[6:7], s[6:7]
	v_mov_b32_e32 v11, s10
	s_xor_b64 exec, exec, s[6:7]
	s_cbranch_execnz .LBB43_2176
.LBB43_126:
	s_or_b64 exec, exec, s[6:7]
	s_and_saveexec_b64 s[6:7], s[4:5]
	s_cbranch_execz .LBB43_128
.LBB43_127:
	v_bfe_u32 v11, v13, 24, 3
	v_ffbh_u32_e32 v16, v11
	v_min_u32_e32 v16, 32, v16
	v_lshrrev_b32_e32 v14, 27, v13
	v_subrev_u32_e32 v17, 28, v16
	v_and_b32_e32 v12, 0x80000000, v13
	v_and_b32_e32 v14, 15, v14
	v_bfe_u32 v15, v13, 27, 4
	v_lshlrev_b32_sdwa v13, v17, v13 dst_sel:DWORD dst_unused:UNUSED_PAD src0_sel:DWORD src1_sel:BYTE_3
	v_sub_u32_e32 v16, 29, v16
	v_and_b32_e32 v13, 7, v13
	v_cmp_eq_u16_e32 vcc, 0, v14
	v_cndmask_b32_e32 v11, v11, v13, vcc
	v_cndmask_b32_e32 v13, v15, v16, vcc
	v_mov_b32_e32 v14, 0x3b800000
	v_lshlrev_b32_e32 v11, 20, v11
	v_lshl_add_u32 v13, v13, 23, v14
	v_or3_b32 v11, v12, v13, v11
.LBB43_128:
	s_or_b64 exec, exec, s[6:7]
	s_nop 0
	v_mfma_f32_16x16x4f32 a[0:3], v10, v11, a[0:3]
	s_movk_i32 s4, 0x7f
	v_cmp_gt_i16_sdwa s[6:7], v6, s4 src0_sel:BYTE_0 src1_sel:DWORD
	s_mov_b64 s[4:5], 0
                                        ; implicit-def: $sgpr10
	s_and_saveexec_b64 s[8:9], s[6:7]
	s_xor_b64 s[6:7], exec, s[8:9]
	s_cbranch_execnz .LBB43_2177
; %bb.129:
	s_or_saveexec_b64 s[6:7], s[6:7]
	v_mov_b32_e32 v10, s10
	s_xor_b64 exec, exec, s[6:7]
	s_cbranch_execnz .LBB43_2180
.LBB43_130:
	s_or_b64 exec, exec, s[6:7]
	s_and_saveexec_b64 s[6:7], s[4:5]
	s_cbranch_execz .LBB43_132
.LBB43_131:
	v_and_b32_e32 v10, 7, v6
	v_ffbh_u32_e32 v12, v10
	v_min_u32_e32 v12, 32, v12
	v_lshrrev_b16_e32 v11, 3, v6
	v_subrev_u32_e32 v13, 28, v12
	v_and_b32_e32 v11, 15, v11
	v_lshlrev_b32_e32 v13, v13, v6
	v_sub_u32_e32 v12, 29, v12
	v_and_b32_e32 v13, 7, v13
	v_cmp_eq_u16_e32 vcc, 0, v11
	v_cndmask_b32_e32 v10, v10, v13, vcc
	v_cndmask_b32_e32 v11, v11, v12, vcc
	v_lshlrev_b32_e32 v12, 24, v6
	v_mov_b32_e32 v13, 0x3b800000
	v_lshlrev_b32_e32 v10, 20, v10
	v_and_b32_e32 v12, 0x80000000, v12
	v_lshl_add_u32 v11, v11, 23, v13
	v_or3_b32 v10, v12, v11, v10
.LBB43_132:
	s_or_b64 exec, exec, s[6:7]
	s_movk_i32 s4, 0x7f
	v_cmp_gt_i16_sdwa s[6:7], v2, s4 src0_sel:BYTE_0 src1_sel:DWORD
	s_mov_b64 s[4:5], 0
                                        ; implicit-def: $sgpr10
	s_and_saveexec_b64 s[8:9], s[6:7]
	s_xor_b64 s[6:7], exec, s[8:9]
	s_cbranch_execnz .LBB43_2181
; %bb.133:
	s_or_saveexec_b64 s[6:7], s[6:7]
	v_mov_b32_e32 v11, s10
	s_xor_b64 exec, exec, s[6:7]
	s_cbranch_execnz .LBB43_2184
.LBB43_134:
	s_or_b64 exec, exec, s[6:7]
	s_and_saveexec_b64 s[6:7], s[4:5]
	s_cbranch_execz .LBB43_136
.LBB43_135:
	v_and_b32_e32 v11, 7, v2
	v_ffbh_u32_e32 v13, v11
	v_min_u32_e32 v13, 32, v13
	v_lshrrev_b16_e32 v12, 3, v2
	v_subrev_u32_e32 v14, 28, v13
	v_and_b32_e32 v12, 15, v12
	v_lshlrev_b32_e32 v14, v14, v2
	v_sub_u32_e32 v13, 29, v13
	v_and_b32_e32 v14, 7, v14
	v_cmp_eq_u16_e32 vcc, 0, v12
	v_cndmask_b32_e32 v11, v11, v14, vcc
	v_cndmask_b32_e32 v12, v12, v13, vcc
	v_lshlrev_b32_e32 v13, 24, v2
	v_mov_b32_e32 v14, 0x3b800000
	v_lshlrev_b32_e32 v11, 20, v11
	v_and_b32_e32 v13, 0x80000000, v13
	v_lshl_add_u32 v12, v12, 23, v14
	v_or3_b32 v11, v13, v12, v11
.LBB43_136:
	s_or_b64 exec, exec, s[6:7]
	s_nop 0
	v_mfma_f32_16x16x4f32 a[0:3], v10, v11, a[0:3]
	v_lshrrev_b32_e32 v11, 8, v6
	s_movk_i32 s4, 0x7f
	v_cmp_gt_i16_sdwa s[6:7], v11, s4 src0_sel:BYTE_0 src1_sel:DWORD
	s_mov_b64 s[4:5], 0
                                        ; implicit-def: $sgpr10
	s_and_saveexec_b64 s[8:9], s[6:7]
	s_xor_b64 s[6:7], exec, s[8:9]
	s_cbranch_execnz .LBB43_2185
; %bb.137:
	s_or_saveexec_b64 s[6:7], s[6:7]
	v_mov_b32_e32 v10, s10
	s_xor_b64 exec, exec, s[6:7]
	s_cbranch_execnz .LBB43_2188
.LBB43_138:
	s_or_b64 exec, exec, s[6:7]
	s_and_saveexec_b64 s[6:7], s[4:5]
	s_cbranch_execz .LBB43_140
.LBB43_139:
	v_bfe_u32 v10, v6, 8, 3
	v_ffbh_u32_e32 v13, v10
	v_min_u32_e32 v13, 32, v13
	v_lshrrev_b16_e32 v12, 3, v11
	v_subrev_u32_e32 v14, 28, v13
	v_and_b32_e32 v12, 15, v12
	v_lshlrev_b32_e32 v11, v14, v11
	v_sub_u32_e32 v13, 29, v13
	v_and_b32_e32 v11, 7, v11
	v_cmp_eq_u16_e32 vcc, 0, v12
	v_cndmask_b32_e32 v10, v10, v11, vcc
	v_cndmask_b32_e32 v11, v12, v13, vcc
	v_lshlrev_b32_e32 v12, 16, v6
	v_mov_b32_e32 v13, 0x3b800000
	v_lshlrev_b32_e32 v10, 20, v10
	v_and_b32_e32 v12, 0x80000000, v12
	v_lshl_add_u32 v11, v11, 23, v13
	v_or3_b32 v10, v12, v11, v10
.LBB43_140:
	s_or_b64 exec, exec, s[6:7]
	v_lshrrev_b32_e32 v11, 8, v2
	s_movk_i32 s4, 0x7f
	v_cmp_gt_i16_sdwa s[6:7], v11, s4 src0_sel:BYTE_0 src1_sel:DWORD
	s_mov_b64 s[4:5], 0
                                        ; implicit-def: $sgpr10
	s_and_saveexec_b64 s[8:9], s[6:7]
	s_xor_b64 s[6:7], exec, s[8:9]
	s_cbranch_execnz .LBB43_2189
; %bb.141:
	s_or_saveexec_b64 s[6:7], s[6:7]
	v_mov_b32_e32 v12, s10
	s_xor_b64 exec, exec, s[6:7]
	s_cbranch_execnz .LBB43_2192
.LBB43_142:
	s_or_b64 exec, exec, s[6:7]
	s_and_saveexec_b64 s[6:7], s[4:5]
	s_cbranch_execz .LBB43_144
.LBB43_143:
	v_bfe_u32 v12, v2, 8, 3
	v_ffbh_u32_e32 v14, v12
	v_min_u32_e32 v14, 32, v14
	v_lshrrev_b16_e32 v13, 3, v11
	v_subrev_u32_e32 v15, 28, v14
	v_and_b32_e32 v13, 15, v13
	v_lshlrev_b32_e32 v11, v15, v11
	v_sub_u32_e32 v14, 29, v14
	v_and_b32_e32 v11, 7, v11
	v_cmp_eq_u16_e32 vcc, 0, v13
	v_cndmask_b32_e32 v11, v12, v11, vcc
	v_cndmask_b32_e32 v12, v13, v14, vcc
	v_lshlrev_b32_e32 v13, 16, v2
	v_mov_b32_e32 v14, 0x3b800000
	v_lshlrev_b32_e32 v11, 20, v11
	v_and_b32_e32 v13, 0x80000000, v13
	v_lshl_add_u32 v12, v12, 23, v14
	v_or3_b32 v12, v13, v12, v11
.LBB43_144:
	s_or_b64 exec, exec, s[6:7]
	s_nop 0
	v_mfma_f32_16x16x4f32 a[0:3], v10, v12, a[0:3]
	s_movk_i32 s4, 0xff
	v_and_b32_sdwa v11, v6, s4 dst_sel:DWORD dst_unused:UNUSED_PAD src0_sel:WORD_1 src1_sel:DWORD
	s_movk_i32 s4, 0x7f
	v_cmp_lt_i16_e32 vcc, s4, v11
	s_mov_b64 s[4:5], 0
                                        ; implicit-def: $sgpr10
	s_and_saveexec_b64 s[6:7], vcc
	s_xor_b64 s[6:7], exec, s[6:7]
	s_cbranch_execnz .LBB43_2193
; %bb.145:
	s_or_saveexec_b64 s[6:7], s[6:7]
	v_mov_b32_e32 v10, s10
	s_xor_b64 exec, exec, s[6:7]
	s_cbranch_execnz .LBB43_2196
.LBB43_146:
	s_or_b64 exec, exec, s[6:7]
	s_and_saveexec_b64 s[6:7], s[4:5]
	s_cbranch_execz .LBB43_148
.LBB43_147:
	v_bfe_u32 v10, v6, 16, 3
	v_ffbh_u32_e32 v13, v10
	v_min_u32_e32 v13, 32, v13
	v_lshrrev_b32_e32 v11, 19, v6
	v_subrev_u32_e32 v14, 28, v13
	v_and_b32_e32 v11, 15, v11
	v_lshlrev_b32_sdwa v14, v14, v6 dst_sel:DWORD dst_unused:UNUSED_PAD src0_sel:DWORD src1_sel:WORD_1
	v_bfe_u32 v12, v6, 19, 4
	v_sub_u32_e32 v13, 29, v13
	v_and_b32_e32 v14, 7, v14
	v_cmp_eq_u16_e32 vcc, 0, v11
	v_cndmask_b32_e32 v10, v10, v14, vcc
	v_cndmask_b32_e32 v11, v12, v13, vcc
	v_lshlrev_b32_e32 v12, 8, v6
	v_mov_b32_e32 v13, 0x3b800000
	v_lshlrev_b32_e32 v10, 20, v10
	v_and_b32_e32 v12, 0x80000000, v12
	v_lshl_add_u32 v11, v11, 23, v13
	v_or3_b32 v10, v12, v11, v10
.LBB43_148:
	s_or_b64 exec, exec, s[6:7]
	s_movk_i32 s4, 0xff
	v_and_b32_sdwa v11, v2, s4 dst_sel:DWORD dst_unused:UNUSED_PAD src0_sel:WORD_1 src1_sel:DWORD
	s_movk_i32 s4, 0x7f
	v_cmp_lt_i16_e32 vcc, s4, v11
	s_mov_b64 s[4:5], 0
                                        ; implicit-def: $sgpr10
	s_and_saveexec_b64 s[6:7], vcc
	s_xor_b64 s[6:7], exec, s[6:7]
	s_cbranch_execnz .LBB43_2197
; %bb.149:
	s_or_saveexec_b64 s[6:7], s[6:7]
	v_mov_b32_e32 v12, s10
	s_xor_b64 exec, exec, s[6:7]
	s_cbranch_execnz .LBB43_2200
.LBB43_150:
	s_or_b64 exec, exec, s[6:7]
	s_and_saveexec_b64 s[6:7], s[4:5]
	s_cbranch_execz .LBB43_152
.LBB43_151:
	v_bfe_u32 v11, v2, 16, 3
	v_ffbh_u32_e32 v14, v11
	v_min_u32_e32 v14, 32, v14
	v_lshrrev_b32_e32 v12, 19, v2
	v_subrev_u32_e32 v15, 28, v14
	v_and_b32_e32 v12, 15, v12
	v_lshlrev_b32_sdwa v15, v15, v2 dst_sel:DWORD dst_unused:UNUSED_PAD src0_sel:DWORD src1_sel:WORD_1
	v_bfe_u32 v13, v2, 19, 4
	v_sub_u32_e32 v14, 29, v14
	v_and_b32_e32 v15, 7, v15
	v_cmp_eq_u16_e32 vcc, 0, v12
	v_cndmask_b32_e32 v11, v11, v15, vcc
	v_cndmask_b32_e32 v12, v13, v14, vcc
	v_lshlrev_b32_e32 v13, 8, v2
	v_mov_b32_e32 v14, 0x3b800000
	v_lshlrev_b32_e32 v11, 20, v11
	v_and_b32_e32 v13, 0x80000000, v13
	v_lshl_add_u32 v12, v12, 23, v14
	v_or3_b32 v12, v13, v12, v11
.LBB43_152:
	s_or_b64 exec, exec, s[6:7]
	s_nop 0
	v_mfma_f32_16x16x4f32 a[0:3], v10, v12, a[0:3]
	s_movk_i32 s4, 0x7f
	v_cmp_gt_i16_sdwa s[6:7], v6, s4 src0_sel:BYTE_3 src1_sel:DWORD
	s_mov_b64 s[4:5], 0
                                        ; implicit-def: $sgpr10
	s_and_saveexec_b64 s[8:9], s[6:7]
	s_xor_b64 s[6:7], exec, s[8:9]
	s_cbranch_execnz .LBB43_2201
; %bb.153:
	s_or_saveexec_b64 s[6:7], s[6:7]
	v_mov_b32_e32 v10, s10
	s_xor_b64 exec, exec, s[6:7]
	s_cbranch_execnz .LBB43_2204
.LBB43_154:
	s_or_b64 exec, exec, s[6:7]
	s_and_saveexec_b64 s[6:7], s[4:5]
	s_cbranch_execz .LBB43_156
.LBB43_155:
	v_bfe_u32 v10, v6, 24, 3
	v_ffbh_u32_e32 v14, v10
	v_min_u32_e32 v14, 32, v14
	v_lshrrev_b32_e32 v12, 27, v6
	v_subrev_u32_e32 v15, 28, v14
	v_and_b32_e32 v11, 0x80000000, v6
	v_and_b32_e32 v12, 15, v12
	v_bfe_u32 v13, v6, 27, 4
	v_lshlrev_b32_sdwa v6, v15, v6 dst_sel:DWORD dst_unused:UNUSED_PAD src0_sel:DWORD src1_sel:BYTE_3
	v_sub_u32_e32 v14, 29, v14
	v_and_b32_e32 v6, 7, v6
	v_cmp_eq_u16_e32 vcc, 0, v12
	v_cndmask_b32_e32 v6, v10, v6, vcc
	v_cndmask_b32_e32 v10, v13, v14, vcc
	v_mov_b32_e32 v12, 0x3b800000
	v_lshlrev_b32_e32 v6, 20, v6
	v_lshl_add_u32 v10, v10, 23, v12
	v_or3_b32 v10, v11, v10, v6
.LBB43_156:
	s_or_b64 exec, exec, s[6:7]
	s_movk_i32 s4, 0x7f
	v_cmp_gt_i16_sdwa s[6:7], v2, s4 src0_sel:BYTE_3 src1_sel:DWORD
	s_mov_b64 s[4:5], 0
                                        ; implicit-def: $sgpr10
	s_and_saveexec_b64 s[8:9], s[6:7]
	s_xor_b64 s[6:7], exec, s[8:9]
	s_cbranch_execnz .LBB43_2205
; %bb.157:
	s_or_saveexec_b64 s[6:7], s[6:7]
	v_mov_b32_e32 v6, s10
	s_xor_b64 exec, exec, s[6:7]
	s_cbranch_execnz .LBB43_2208
.LBB43_158:
	s_or_b64 exec, exec, s[6:7]
	s_and_saveexec_b64 s[6:7], s[4:5]
	s_cbranch_execz .LBB43_160
.LBB43_159:
	v_bfe_u32 v6, v2, 24, 3
	v_ffbh_u32_e32 v14, v6
	v_min_u32_e32 v14, 32, v14
	v_lshrrev_b32_e32 v12, 27, v2
	v_subrev_u32_e32 v15, 28, v14
	v_and_b32_e32 v11, 0x80000000, v2
	v_and_b32_e32 v12, 15, v12
	v_bfe_u32 v13, v2, 27, 4
	v_lshlrev_b32_sdwa v2, v15, v2 dst_sel:DWORD dst_unused:UNUSED_PAD src0_sel:DWORD src1_sel:BYTE_3
	v_sub_u32_e32 v14, 29, v14
	v_and_b32_e32 v2, 7, v2
	v_cmp_eq_u16_e32 vcc, 0, v12
	v_cndmask_b32_e32 v2, v6, v2, vcc
	v_cndmask_b32_e32 v6, v13, v14, vcc
	v_mov_b32_e32 v12, 0x3b800000
	v_lshlrev_b32_e32 v2, 20, v2
	v_lshl_add_u32 v6, v6, 23, v12
	v_or3_b32 v6, v11, v6, v2
.LBB43_160:
	s_or_b64 exec, exec, s[6:7]
	s_nop 0
	v_mfma_f32_16x16x4f32 a[0:3], v10, v6, a[0:3]
	s_movk_i32 s4, 0x7f
	v_cmp_gt_i16_sdwa s[6:7], v7, s4 src0_sel:BYTE_0 src1_sel:DWORD
	s_mov_b64 s[4:5], 0
                                        ; implicit-def: $sgpr10
	s_and_saveexec_b64 s[8:9], s[6:7]
	s_xor_b64 s[6:7], exec, s[8:9]
	s_cbranch_execnz .LBB43_2209
; %bb.161:
	s_or_saveexec_b64 s[6:7], s[6:7]
	v_mov_b32_e32 v2, s10
	s_xor_b64 exec, exec, s[6:7]
	s_cbranch_execnz .LBB43_2212
.LBB43_162:
	s_or_b64 exec, exec, s[6:7]
	s_and_saveexec_b64 s[6:7], s[4:5]
	s_cbranch_execz .LBB43_164
.LBB43_163:
	v_and_b32_e32 v2, 7, v7
	v_ffbh_u32_e32 v10, v2
	v_min_u32_e32 v10, 32, v10
	v_lshrrev_b16_e32 v6, 3, v7
	v_subrev_u32_e32 v11, 28, v10
	v_and_b32_e32 v6, 15, v6
	v_lshlrev_b32_e32 v11, v11, v7
	v_sub_u32_e32 v10, 29, v10
	v_and_b32_e32 v11, 7, v11
	v_cmp_eq_u16_e32 vcc, 0, v6
	v_cndmask_b32_e32 v2, v2, v11, vcc
	v_cndmask_b32_e32 v6, v6, v10, vcc
	v_lshlrev_b32_e32 v10, 24, v7
	v_mov_b32_e32 v11, 0x3b800000
	v_lshlrev_b32_e32 v2, 20, v2
	v_and_b32_e32 v10, 0x80000000, v10
	v_lshl_add_u32 v6, v6, 23, v11
	v_or3_b32 v2, v10, v6, v2
.LBB43_164:
	s_or_b64 exec, exec, s[6:7]
	s_movk_i32 s4, 0x7f
	v_cmp_gt_i16_sdwa s[6:7], v3, s4 src0_sel:BYTE_0 src1_sel:DWORD
	s_mov_b64 s[4:5], 0
                                        ; implicit-def: $sgpr10
	s_and_saveexec_b64 s[8:9], s[6:7]
	s_xor_b64 s[6:7], exec, s[8:9]
	s_cbranch_execnz .LBB43_2213
; %bb.165:
	s_or_saveexec_b64 s[6:7], s[6:7]
	v_mov_b32_e32 v6, s10
	s_xor_b64 exec, exec, s[6:7]
	s_cbranch_execnz .LBB43_2216
.LBB43_166:
	s_or_b64 exec, exec, s[6:7]
	s_and_saveexec_b64 s[6:7], s[4:5]
	s_cbranch_execz .LBB43_168
.LBB43_167:
	v_and_b32_e32 v6, 7, v3
	v_ffbh_u32_e32 v11, v6
	v_min_u32_e32 v11, 32, v11
	v_lshrrev_b16_e32 v10, 3, v3
	v_subrev_u32_e32 v12, 28, v11
	v_and_b32_e32 v10, 15, v10
	v_lshlrev_b32_e32 v12, v12, v3
	v_sub_u32_e32 v11, 29, v11
	v_and_b32_e32 v12, 7, v12
	v_cmp_eq_u16_e32 vcc, 0, v10
	v_cndmask_b32_e32 v6, v6, v12, vcc
	v_cndmask_b32_e32 v10, v10, v11, vcc
	v_lshlrev_b32_e32 v11, 24, v3
	v_mov_b32_e32 v12, 0x3b800000
	v_lshlrev_b32_e32 v6, 20, v6
	v_and_b32_e32 v11, 0x80000000, v11
	v_lshl_add_u32 v10, v10, 23, v12
	v_or3_b32 v6, v11, v10, v6
.LBB43_168:
	s_or_b64 exec, exec, s[6:7]
	s_nop 0
	v_mfma_f32_16x16x4f32 a[0:3], v2, v6, a[0:3]
	v_lshrrev_b32_e32 v6, 8, v7
	s_movk_i32 s4, 0x7f
	v_cmp_gt_i16_sdwa s[6:7], v6, s4 src0_sel:BYTE_0 src1_sel:DWORD
	s_mov_b64 s[4:5], 0
                                        ; implicit-def: $sgpr10
	s_and_saveexec_b64 s[8:9], s[6:7]
	s_xor_b64 s[6:7], exec, s[8:9]
	s_cbranch_execnz .LBB43_2217
; %bb.169:
	s_or_saveexec_b64 s[6:7], s[6:7]
	v_mov_b32_e32 v2, s10
	s_xor_b64 exec, exec, s[6:7]
	s_cbranch_execnz .LBB43_2220
.LBB43_170:
	s_or_b64 exec, exec, s[6:7]
	s_and_saveexec_b64 s[6:7], s[4:5]
	s_cbranch_execz .LBB43_172
.LBB43_171:
	v_bfe_u32 v2, v7, 8, 3
	v_ffbh_u32_e32 v11, v2
	v_min_u32_e32 v11, 32, v11
	v_lshrrev_b16_e32 v10, 3, v6
	v_subrev_u32_e32 v12, 28, v11
	v_and_b32_e32 v10, 15, v10
	v_lshlrev_b32_e32 v6, v12, v6
	v_sub_u32_e32 v11, 29, v11
	v_and_b32_e32 v6, 7, v6
	v_cmp_eq_u16_e32 vcc, 0, v10
	v_cndmask_b32_e32 v2, v2, v6, vcc
	v_cndmask_b32_e32 v6, v10, v11, vcc
	v_lshlrev_b32_e32 v10, 16, v7
	v_mov_b32_e32 v11, 0x3b800000
	v_lshlrev_b32_e32 v2, 20, v2
	v_and_b32_e32 v10, 0x80000000, v10
	v_lshl_add_u32 v6, v6, 23, v11
	v_or3_b32 v2, v10, v6, v2
.LBB43_172:
	s_or_b64 exec, exec, s[6:7]
	v_lshrrev_b32_e32 v6, 8, v3
	s_movk_i32 s4, 0x7f
	v_cmp_gt_i16_sdwa s[6:7], v6, s4 src0_sel:BYTE_0 src1_sel:DWORD
	s_mov_b64 s[4:5], 0
                                        ; implicit-def: $sgpr10
	s_and_saveexec_b64 s[8:9], s[6:7]
	s_xor_b64 s[6:7], exec, s[8:9]
	s_cbranch_execnz .LBB43_2221
; %bb.173:
	s_or_saveexec_b64 s[6:7], s[6:7]
	v_mov_b32_e32 v10, s10
	s_xor_b64 exec, exec, s[6:7]
	s_cbranch_execnz .LBB43_2224
.LBB43_174:
	s_or_b64 exec, exec, s[6:7]
	s_and_saveexec_b64 s[6:7], s[4:5]
	s_cbranch_execz .LBB43_176
.LBB43_175:
	v_bfe_u32 v10, v3, 8, 3
	v_ffbh_u32_e32 v12, v10
	v_min_u32_e32 v12, 32, v12
	v_lshrrev_b16_e32 v11, 3, v6
	v_subrev_u32_e32 v13, 28, v12
	v_and_b32_e32 v11, 15, v11
	v_lshlrev_b32_e32 v6, v13, v6
	v_sub_u32_e32 v12, 29, v12
	v_and_b32_e32 v6, 7, v6
	v_cmp_eq_u16_e32 vcc, 0, v11
	v_cndmask_b32_e32 v6, v10, v6, vcc
	v_cndmask_b32_e32 v10, v11, v12, vcc
	v_lshlrev_b32_e32 v11, 16, v3
	v_mov_b32_e32 v12, 0x3b800000
	v_lshlrev_b32_e32 v6, 20, v6
	v_and_b32_e32 v11, 0x80000000, v11
	v_lshl_add_u32 v10, v10, 23, v12
	v_or3_b32 v10, v11, v10, v6
.LBB43_176:
	s_or_b64 exec, exec, s[6:7]
	s_nop 0
	v_mfma_f32_16x16x4f32 a[0:3], v2, v10, a[0:3]
	s_movk_i32 s4, 0xff
	v_and_b32_sdwa v6, v7, s4 dst_sel:DWORD dst_unused:UNUSED_PAD src0_sel:WORD_1 src1_sel:DWORD
	s_movk_i32 s4, 0x7f
	v_cmp_lt_i16_e32 vcc, s4, v6
	s_mov_b64 s[4:5], 0
                                        ; implicit-def: $sgpr10
	s_and_saveexec_b64 s[6:7], vcc
	s_xor_b64 s[6:7], exec, s[6:7]
	s_cbranch_execnz .LBB43_2225
; %bb.177:
	s_or_saveexec_b64 s[6:7], s[6:7]
	v_mov_b32_e32 v2, s10
	s_xor_b64 exec, exec, s[6:7]
	s_cbranch_execnz .LBB43_2228
.LBB43_178:
	s_or_b64 exec, exec, s[6:7]
	s_and_saveexec_b64 s[6:7], s[4:5]
	s_cbranch_execz .LBB43_180
.LBB43_179:
	v_bfe_u32 v2, v7, 16, 3
	v_ffbh_u32_e32 v11, v2
	v_min_u32_e32 v11, 32, v11
	v_lshrrev_b32_e32 v6, 19, v7
	v_subrev_u32_e32 v12, 28, v11
	v_and_b32_e32 v6, 15, v6
	v_lshlrev_b32_sdwa v12, v12, v7 dst_sel:DWORD dst_unused:UNUSED_PAD src0_sel:DWORD src1_sel:WORD_1
	v_bfe_u32 v10, v7, 19, 4
	v_sub_u32_e32 v11, 29, v11
	v_and_b32_e32 v12, 7, v12
	v_cmp_eq_u16_e32 vcc, 0, v6
	v_cndmask_b32_e32 v2, v2, v12, vcc
	v_cndmask_b32_e32 v6, v10, v11, vcc
	v_lshlrev_b32_e32 v10, 8, v7
	v_mov_b32_e32 v11, 0x3b800000
	v_lshlrev_b32_e32 v2, 20, v2
	v_and_b32_e32 v10, 0x80000000, v10
	v_lshl_add_u32 v6, v6, 23, v11
	v_or3_b32 v2, v10, v6, v2
.LBB43_180:
	s_or_b64 exec, exec, s[6:7]
	s_movk_i32 s4, 0xff
	v_and_b32_sdwa v6, v3, s4 dst_sel:DWORD dst_unused:UNUSED_PAD src0_sel:WORD_1 src1_sel:DWORD
	s_movk_i32 s4, 0x7f
	v_cmp_lt_i16_e32 vcc, s4, v6
	s_mov_b64 s[4:5], 0
                                        ; implicit-def: $sgpr10
	s_and_saveexec_b64 s[6:7], vcc
	s_xor_b64 s[6:7], exec, s[6:7]
	s_cbranch_execnz .LBB43_2229
; %bb.181:
	s_or_saveexec_b64 s[6:7], s[6:7]
	v_mov_b32_e32 v10, s10
	s_xor_b64 exec, exec, s[6:7]
	s_cbranch_execnz .LBB43_2232
.LBB43_182:
	s_or_b64 exec, exec, s[6:7]
	s_and_saveexec_b64 s[6:7], s[4:5]
	s_cbranch_execz .LBB43_184
.LBB43_183:
	v_bfe_u32 v6, v3, 16, 3
	v_ffbh_u32_e32 v12, v6
	v_min_u32_e32 v12, 32, v12
	v_lshrrev_b32_e32 v10, 19, v3
	v_subrev_u32_e32 v13, 28, v12
	v_and_b32_e32 v10, 15, v10
	v_lshlrev_b32_sdwa v13, v13, v3 dst_sel:DWORD dst_unused:UNUSED_PAD src0_sel:DWORD src1_sel:WORD_1
	v_bfe_u32 v11, v3, 19, 4
	v_sub_u32_e32 v12, 29, v12
	v_and_b32_e32 v13, 7, v13
	v_cmp_eq_u16_e32 vcc, 0, v10
	v_cndmask_b32_e32 v6, v6, v13, vcc
	v_cndmask_b32_e32 v10, v11, v12, vcc
	v_lshlrev_b32_e32 v11, 8, v3
	v_mov_b32_e32 v12, 0x3b800000
	v_lshlrev_b32_e32 v6, 20, v6
	v_and_b32_e32 v11, 0x80000000, v11
	v_lshl_add_u32 v10, v10, 23, v12
	v_or3_b32 v10, v11, v10, v6
.LBB43_184:
	s_or_b64 exec, exec, s[6:7]
	s_nop 0
	v_mfma_f32_16x16x4f32 a[0:3], v2, v10, a[0:3]
	s_movk_i32 s4, 0x7f
	v_cmp_gt_i16_sdwa s[6:7], v7, s4 src0_sel:BYTE_3 src1_sel:DWORD
	s_mov_b64 s[4:5], 0
                                        ; implicit-def: $sgpr10
	s_and_saveexec_b64 s[8:9], s[6:7]
	s_xor_b64 s[6:7], exec, s[8:9]
	s_cbranch_execnz .LBB43_2233
; %bb.185:
	s_or_saveexec_b64 s[6:7], s[6:7]
	v_mov_b32_e32 v2, s10
	s_xor_b64 exec, exec, s[6:7]
	s_cbranch_execnz .LBB43_2236
.LBB43_186:
	s_or_b64 exec, exec, s[6:7]
	s_and_saveexec_b64 s[6:7], s[4:5]
	s_cbranch_execz .LBB43_188
.LBB43_187:
	v_bfe_u32 v2, v7, 24, 3
	v_ffbh_u32_e32 v12, v2
	v_min_u32_e32 v12, 32, v12
	v_lshrrev_b32_e32 v10, 27, v7
	v_subrev_u32_e32 v13, 28, v12
	v_and_b32_e32 v6, 0x80000000, v7
	v_and_b32_e32 v10, 15, v10
	v_bfe_u32 v11, v7, 27, 4
	v_lshlrev_b32_sdwa v7, v13, v7 dst_sel:DWORD dst_unused:UNUSED_PAD src0_sel:DWORD src1_sel:BYTE_3
	v_sub_u32_e32 v12, 29, v12
	v_and_b32_e32 v7, 7, v7
	v_cmp_eq_u16_e32 vcc, 0, v10
	v_cndmask_b32_e32 v2, v2, v7, vcc
	v_cndmask_b32_e32 v7, v11, v12, vcc
	v_mov_b32_e32 v10, 0x3b800000
	v_lshlrev_b32_e32 v2, 20, v2
	v_lshl_add_u32 v7, v7, 23, v10
	v_or3_b32 v2, v6, v7, v2
.LBB43_188:
	s_or_b64 exec, exec, s[6:7]
	s_movk_i32 s4, 0x7f
	v_cmp_gt_i16_sdwa s[6:7], v3, s4 src0_sel:BYTE_3 src1_sel:DWORD
	s_mov_b64 s[4:5], 0
                                        ; implicit-def: $sgpr10
	s_and_saveexec_b64 s[8:9], s[6:7]
	s_xor_b64 s[6:7], exec, s[8:9]
	s_cbranch_execnz .LBB43_2237
; %bb.189:
	s_or_saveexec_b64 s[6:7], s[6:7]
	v_mov_b32_e32 v6, s10
	s_xor_b64 exec, exec, s[6:7]
	s_cbranch_execnz .LBB43_2240
.LBB43_190:
	s_or_b64 exec, exec, s[6:7]
	s_and_saveexec_b64 s[6:7], s[4:5]
	s_cbranch_execz .LBB43_192
.LBB43_191:
	v_bfe_u32 v6, v3, 24, 3
	v_ffbh_u32_e32 v12, v6
	v_min_u32_e32 v12, 32, v12
	v_lshrrev_b32_e32 v10, 27, v3
	v_subrev_u32_e32 v13, 28, v12
	v_and_b32_e32 v7, 0x80000000, v3
	v_and_b32_e32 v10, 15, v10
	v_bfe_u32 v11, v3, 27, 4
	v_lshlrev_b32_sdwa v3, v13, v3 dst_sel:DWORD dst_unused:UNUSED_PAD src0_sel:DWORD src1_sel:BYTE_3
	v_sub_u32_e32 v12, 29, v12
	v_and_b32_e32 v3, 7, v3
	v_cmp_eq_u16_e32 vcc, 0, v10
	v_cndmask_b32_e32 v3, v6, v3, vcc
	v_cndmask_b32_e32 v6, v11, v12, vcc
	v_mov_b32_e32 v10, 0x3b800000
	v_lshlrev_b32_e32 v3, 20, v3
	v_lshl_add_u32 v6, v6, 23, v10
	v_or3_b32 v6, v7, v6, v3
.LBB43_192:
	s_or_b64 exec, exec, s[6:7]
	s_nop 0
	v_mfma_f32_16x16x4f32 a[0:3], v2, v6, a[0:3]
	s_movk_i32 s4, 0x7f
	v_cmp_gt_i16_sdwa s[6:7], v8, s4 src0_sel:BYTE_0 src1_sel:DWORD
	s_mov_b64 s[4:5], 0
                                        ; implicit-def: $sgpr10
	s_and_saveexec_b64 s[8:9], s[6:7]
	s_xor_b64 s[6:7], exec, s[8:9]
	s_cbranch_execnz .LBB43_2241
; %bb.193:
	s_or_saveexec_b64 s[6:7], s[6:7]
	v_mov_b32_e32 v2, s10
	s_xor_b64 exec, exec, s[6:7]
	s_cbranch_execnz .LBB43_2244
.LBB43_194:
	s_or_b64 exec, exec, s[6:7]
	s_and_saveexec_b64 s[6:7], s[4:5]
	s_cbranch_execz .LBB43_196
.LBB43_195:
	v_and_b32_e32 v2, 7, v8
	v_ffbh_u32_e32 v6, v2
	v_min_u32_e32 v6, 32, v6
	v_lshrrev_b16_e32 v3, 3, v8
	v_subrev_u32_e32 v7, 28, v6
	v_and_b32_e32 v3, 15, v3
	v_lshlrev_b32_e32 v7, v7, v8
	v_sub_u32_e32 v6, 29, v6
	v_and_b32_e32 v7, 7, v7
	v_cmp_eq_u16_e32 vcc, 0, v3
	v_cndmask_b32_e32 v2, v2, v7, vcc
	v_cndmask_b32_e32 v3, v3, v6, vcc
	v_lshlrev_b32_e32 v6, 24, v8
	v_mov_b32_e32 v7, 0x3b800000
	v_lshlrev_b32_e32 v2, 20, v2
	v_and_b32_e32 v6, 0x80000000, v6
	v_lshl_add_u32 v3, v3, 23, v7
	v_or3_b32 v2, v6, v3, v2
.LBB43_196:
	s_or_b64 exec, exec, s[6:7]
	s_movk_i32 s4, 0x7f
	v_cmp_gt_i16_sdwa s[6:7], v4, s4 src0_sel:BYTE_0 src1_sel:DWORD
	s_mov_b64 s[4:5], 0
                                        ; implicit-def: $sgpr10
	s_and_saveexec_b64 s[8:9], s[6:7]
	s_xor_b64 s[6:7], exec, s[8:9]
	s_cbranch_execnz .LBB43_2245
; %bb.197:
	s_or_saveexec_b64 s[6:7], s[6:7]
	v_mov_b32_e32 v3, s10
	s_xor_b64 exec, exec, s[6:7]
	s_cbranch_execnz .LBB43_2248
.LBB43_198:
	s_or_b64 exec, exec, s[6:7]
	s_and_saveexec_b64 s[6:7], s[4:5]
	s_cbranch_execz .LBB43_200
.LBB43_199:
	v_and_b32_e32 v3, 7, v4
	v_ffbh_u32_e32 v7, v3
	v_min_u32_e32 v7, 32, v7
	v_lshrrev_b16_e32 v6, 3, v4
	v_subrev_u32_e32 v10, 28, v7
	v_and_b32_e32 v6, 15, v6
	v_lshlrev_b32_e32 v10, v10, v4
	v_sub_u32_e32 v7, 29, v7
	v_and_b32_e32 v10, 7, v10
	v_cmp_eq_u16_e32 vcc, 0, v6
	v_cndmask_b32_e32 v3, v3, v10, vcc
	v_cndmask_b32_e32 v6, v6, v7, vcc
	v_lshlrev_b32_e32 v7, 24, v4
	v_mov_b32_e32 v10, 0x3b800000
	v_lshlrev_b32_e32 v3, 20, v3
	v_and_b32_e32 v7, 0x80000000, v7
	v_lshl_add_u32 v6, v6, 23, v10
	v_or3_b32 v3, v7, v6, v3
.LBB43_200:
	s_or_b64 exec, exec, s[6:7]
	s_nop 0
	v_mfma_f32_16x16x4f32 a[0:3], v2, v3, a[0:3]
	v_lshrrev_b32_e32 v3, 8, v8
	s_movk_i32 s4, 0x7f
	v_cmp_gt_i16_sdwa s[6:7], v3, s4 src0_sel:BYTE_0 src1_sel:DWORD
	s_mov_b64 s[4:5], 0
                                        ; implicit-def: $sgpr10
	s_and_saveexec_b64 s[8:9], s[6:7]
	s_xor_b64 s[6:7], exec, s[8:9]
	s_cbranch_execnz .LBB43_2249
; %bb.201:
	s_or_saveexec_b64 s[6:7], s[6:7]
	v_mov_b32_e32 v2, s10
	s_xor_b64 exec, exec, s[6:7]
	s_cbranch_execnz .LBB43_2252
.LBB43_202:
	s_or_b64 exec, exec, s[6:7]
	s_and_saveexec_b64 s[6:7], s[4:5]
	s_cbranch_execz .LBB43_204
.LBB43_203:
	v_bfe_u32 v2, v8, 8, 3
	v_ffbh_u32_e32 v7, v2
	v_min_u32_e32 v7, 32, v7
	v_lshrrev_b16_e32 v6, 3, v3
	v_subrev_u32_e32 v10, 28, v7
	v_and_b32_e32 v6, 15, v6
	v_lshlrev_b32_e32 v3, v10, v3
	v_sub_u32_e32 v7, 29, v7
	v_and_b32_e32 v3, 7, v3
	v_cmp_eq_u16_e32 vcc, 0, v6
	v_cndmask_b32_e32 v2, v2, v3, vcc
	v_cndmask_b32_e32 v3, v6, v7, vcc
	v_lshlrev_b32_e32 v6, 16, v8
	v_mov_b32_e32 v7, 0x3b800000
	v_lshlrev_b32_e32 v2, 20, v2
	v_and_b32_e32 v6, 0x80000000, v6
	v_lshl_add_u32 v3, v3, 23, v7
	v_or3_b32 v2, v6, v3, v2
.LBB43_204:
	s_or_b64 exec, exec, s[6:7]
	v_lshrrev_b32_e32 v3, 8, v4
	s_movk_i32 s4, 0x7f
	v_cmp_gt_i16_sdwa s[6:7], v3, s4 src0_sel:BYTE_0 src1_sel:DWORD
	s_mov_b64 s[4:5], 0
                                        ; implicit-def: $sgpr10
	s_and_saveexec_b64 s[8:9], s[6:7]
	s_xor_b64 s[6:7], exec, s[8:9]
	s_cbranch_execnz .LBB43_2253
; %bb.205:
	s_or_saveexec_b64 s[6:7], s[6:7]
	v_mov_b32_e32 v6, s10
	s_xor_b64 exec, exec, s[6:7]
	s_cbranch_execnz .LBB43_2256
.LBB43_206:
	s_or_b64 exec, exec, s[6:7]
	s_and_saveexec_b64 s[6:7], s[4:5]
	s_cbranch_execz .LBB43_208
.LBB43_207:
	v_bfe_u32 v6, v4, 8, 3
	v_ffbh_u32_e32 v10, v6
	v_min_u32_e32 v10, 32, v10
	v_lshrrev_b16_e32 v7, 3, v3
	v_subrev_u32_e32 v11, 28, v10
	v_and_b32_e32 v7, 15, v7
	v_lshlrev_b32_e32 v3, v11, v3
	v_sub_u32_e32 v10, 29, v10
	v_and_b32_e32 v3, 7, v3
	v_cmp_eq_u16_e32 vcc, 0, v7
	v_cndmask_b32_e32 v3, v6, v3, vcc
	v_cndmask_b32_e32 v6, v7, v10, vcc
	v_lshlrev_b32_e32 v7, 16, v4
	v_mov_b32_e32 v10, 0x3b800000
	v_lshlrev_b32_e32 v3, 20, v3
	v_and_b32_e32 v7, 0x80000000, v7
	v_lshl_add_u32 v6, v6, 23, v10
	v_or3_b32 v6, v7, v6, v3
.LBB43_208:
	s_or_b64 exec, exec, s[6:7]
	s_nop 0
	v_mfma_f32_16x16x4f32 a[0:3], v2, v6, a[0:3]
	s_movk_i32 s4, 0xff
	v_and_b32_sdwa v3, v8, s4 dst_sel:DWORD dst_unused:UNUSED_PAD src0_sel:WORD_1 src1_sel:DWORD
	s_movk_i32 s4, 0x7f
	v_cmp_lt_i16_e32 vcc, s4, v3
	s_mov_b64 s[4:5], 0
                                        ; implicit-def: $sgpr10
	s_and_saveexec_b64 s[6:7], vcc
	s_xor_b64 s[6:7], exec, s[6:7]
	s_cbranch_execnz .LBB43_2257
; %bb.209:
	s_or_saveexec_b64 s[6:7], s[6:7]
	v_mov_b32_e32 v2, s10
	s_xor_b64 exec, exec, s[6:7]
	s_cbranch_execnz .LBB43_2260
.LBB43_210:
	s_or_b64 exec, exec, s[6:7]
	s_and_saveexec_b64 s[6:7], s[4:5]
	s_cbranch_execz .LBB43_212
.LBB43_211:
	v_bfe_u32 v2, v8, 16, 3
	v_ffbh_u32_e32 v7, v2
	v_min_u32_e32 v7, 32, v7
	v_lshrrev_b32_e32 v3, 19, v8
	v_subrev_u32_e32 v10, 28, v7
	v_and_b32_e32 v3, 15, v3
	v_lshlrev_b32_sdwa v10, v10, v8 dst_sel:DWORD dst_unused:UNUSED_PAD src0_sel:DWORD src1_sel:WORD_1
	v_bfe_u32 v6, v8, 19, 4
	v_sub_u32_e32 v7, 29, v7
	v_and_b32_e32 v10, 7, v10
	v_cmp_eq_u16_e32 vcc, 0, v3
	v_cndmask_b32_e32 v2, v2, v10, vcc
	v_cndmask_b32_e32 v3, v6, v7, vcc
	v_lshlrev_b32_e32 v6, 8, v8
	v_mov_b32_e32 v7, 0x3b800000
	v_lshlrev_b32_e32 v2, 20, v2
	v_and_b32_e32 v6, 0x80000000, v6
	v_lshl_add_u32 v3, v3, 23, v7
	v_or3_b32 v2, v6, v3, v2
.LBB43_212:
	s_or_b64 exec, exec, s[6:7]
	s_movk_i32 s4, 0xff
	v_and_b32_sdwa v3, v4, s4 dst_sel:DWORD dst_unused:UNUSED_PAD src0_sel:WORD_1 src1_sel:DWORD
	s_movk_i32 s4, 0x7f
	v_cmp_lt_i16_e32 vcc, s4, v3
	s_mov_b64 s[4:5], 0
                                        ; implicit-def: $sgpr10
	s_and_saveexec_b64 s[6:7], vcc
	s_xor_b64 s[6:7], exec, s[6:7]
	s_cbranch_execnz .LBB43_2261
; %bb.213:
	s_or_saveexec_b64 s[6:7], s[6:7]
	v_mov_b32_e32 v6, s10
	s_xor_b64 exec, exec, s[6:7]
	s_cbranch_execnz .LBB43_2264
.LBB43_214:
	s_or_b64 exec, exec, s[6:7]
	s_and_saveexec_b64 s[6:7], s[4:5]
	s_cbranch_execz .LBB43_216
.LBB43_215:
	v_bfe_u32 v3, v4, 16, 3
	v_ffbh_u32_e32 v10, v3
	v_min_u32_e32 v10, 32, v10
	v_lshrrev_b32_e32 v6, 19, v4
	v_subrev_u32_e32 v11, 28, v10
	v_and_b32_e32 v6, 15, v6
	v_lshlrev_b32_sdwa v11, v11, v4 dst_sel:DWORD dst_unused:UNUSED_PAD src0_sel:DWORD src1_sel:WORD_1
	v_bfe_u32 v7, v4, 19, 4
	v_sub_u32_e32 v10, 29, v10
	v_and_b32_e32 v11, 7, v11
	v_cmp_eq_u16_e32 vcc, 0, v6
	v_cndmask_b32_e32 v3, v3, v11, vcc
	v_cndmask_b32_e32 v6, v7, v10, vcc
	v_lshlrev_b32_e32 v7, 8, v4
	v_mov_b32_e32 v10, 0x3b800000
	v_lshlrev_b32_e32 v3, 20, v3
	v_and_b32_e32 v7, 0x80000000, v7
	v_lshl_add_u32 v6, v6, 23, v10
	v_or3_b32 v6, v7, v6, v3
.LBB43_216:
	s_or_b64 exec, exec, s[6:7]
	s_nop 0
	v_mfma_f32_16x16x4f32 a[0:3], v2, v6, a[0:3]
	s_movk_i32 s4, 0x7f
	v_cmp_gt_i16_sdwa s[6:7], v8, s4 src0_sel:BYTE_3 src1_sel:DWORD
	s_mov_b64 s[4:5], 0
                                        ; implicit-def: $sgpr10
	s_and_saveexec_b64 s[8:9], s[6:7]
	s_xor_b64 s[6:7], exec, s[8:9]
	s_cbranch_execnz .LBB43_2265
; %bb.217:
	s_or_saveexec_b64 s[6:7], s[6:7]
	v_mov_b32_e32 v2, s10
	s_xor_b64 exec, exec, s[6:7]
	s_cbranch_execnz .LBB43_2268
.LBB43_218:
	s_or_b64 exec, exec, s[6:7]
	s_and_saveexec_b64 s[6:7], s[4:5]
	s_cbranch_execz .LBB43_220
.LBB43_219:
	v_bfe_u32 v2, v8, 24, 3
	v_ffbh_u32_e32 v10, v2
	v_min_u32_e32 v10, 32, v10
	v_lshrrev_b32_e32 v6, 27, v8
	v_subrev_u32_e32 v11, 28, v10
	v_and_b32_e32 v3, 0x80000000, v8
	v_and_b32_e32 v6, 15, v6
	v_bfe_u32 v7, v8, 27, 4
	v_lshlrev_b32_sdwa v8, v11, v8 dst_sel:DWORD dst_unused:UNUSED_PAD src0_sel:DWORD src1_sel:BYTE_3
	v_sub_u32_e32 v10, 29, v10
	v_and_b32_e32 v8, 7, v8
	v_cmp_eq_u16_e32 vcc, 0, v6
	v_cndmask_b32_e32 v2, v2, v8, vcc
	v_cndmask_b32_e32 v6, v7, v10, vcc
	v_mov_b32_e32 v7, 0x3b800000
	v_lshlrev_b32_e32 v2, 20, v2
	v_lshl_add_u32 v6, v6, 23, v7
	v_or3_b32 v2, v3, v6, v2
.LBB43_220:
	s_or_b64 exec, exec, s[6:7]
	s_movk_i32 s4, 0x7f
	v_cmp_gt_i16_sdwa s[6:7], v4, s4 src0_sel:BYTE_3 src1_sel:DWORD
	s_mov_b64 s[4:5], 0
                                        ; implicit-def: $sgpr10
	s_and_saveexec_b64 s[8:9], s[6:7]
	s_xor_b64 s[6:7], exec, s[8:9]
	s_cbranch_execnz .LBB43_2269
; %bb.221:
	s_or_saveexec_b64 s[6:7], s[6:7]
	v_mov_b32_e32 v3, s10
	s_xor_b64 exec, exec, s[6:7]
	s_cbranch_execnz .LBB43_2272
.LBB43_222:
	s_or_b64 exec, exec, s[6:7]
	s_and_saveexec_b64 s[6:7], s[4:5]
	s_cbranch_execz .LBB43_224
.LBB43_223:
	v_bfe_u32 v3, v4, 24, 3
	v_ffbh_u32_e32 v10, v3
	v_min_u32_e32 v10, 32, v10
	v_lshrrev_b32_e32 v7, 27, v4
	v_subrev_u32_e32 v11, 28, v10
	v_and_b32_e32 v6, 0x80000000, v4
	v_and_b32_e32 v7, 15, v7
	v_bfe_u32 v8, v4, 27, 4
	v_lshlrev_b32_sdwa v4, v11, v4 dst_sel:DWORD dst_unused:UNUSED_PAD src0_sel:DWORD src1_sel:BYTE_3
	v_sub_u32_e32 v10, 29, v10
	v_and_b32_e32 v4, 7, v4
	v_cmp_eq_u16_e32 vcc, 0, v7
	v_cndmask_b32_e32 v3, v3, v4, vcc
	v_cndmask_b32_e32 v4, v8, v10, vcc
	v_mov_b32_e32 v7, 0x3b800000
	v_lshlrev_b32_e32 v3, 20, v3
	v_lshl_add_u32 v4, v4, 23, v7
	v_or3_b32 v3, v6, v4, v3
.LBB43_224:
	s_or_b64 exec, exec, s[6:7]
	s_nop 0
	v_mfma_f32_16x16x4f32 a[0:3], v2, v3, a[0:3]
	s_movk_i32 s4, 0x7f
	v_cmp_gt_i16_sdwa s[6:7], v9, s4 src0_sel:BYTE_0 src1_sel:DWORD
	s_mov_b64 s[4:5], 0
                                        ; implicit-def: $sgpr10
	s_and_saveexec_b64 s[8:9], s[6:7]
	s_xor_b64 s[6:7], exec, s[8:9]
	s_cbranch_execnz .LBB43_2273
; %bb.225:
	s_or_saveexec_b64 s[6:7], s[6:7]
	v_mov_b32_e32 v2, s10
	s_xor_b64 exec, exec, s[6:7]
	s_cbranch_execnz .LBB43_2276
.LBB43_226:
	s_or_b64 exec, exec, s[6:7]
	s_and_saveexec_b64 s[6:7], s[4:5]
	s_cbranch_execz .LBB43_228
.LBB43_227:
	v_mov_b32_e32 v2, 8
	v_and_b32_e32 v3, 7, v9
	v_lshrrev_b32_sdwa v2, v2, v9 dst_sel:BYTE_1 dst_unused:UNUSED_PAD src0_sel:DWORD src1_sel:DWORD
	v_ffbh_u32_e32 v4, v3
	v_or_b32_sdwa v2, v9, v2 dst_sel:DWORD dst_unused:UNUSED_PAD src0_sel:BYTE_0 src1_sel:DWORD
	v_min_u32_e32 v4, 32, v4
	v_lshrrev_b16_e32 v2, 3, v2
	v_subrev_u32_e32 v6, 28, v4
	v_and_b32_e32 v2, 15, v2
	v_lshlrev_b32_e32 v6, v6, v9
	v_sub_u32_e32 v4, 29, v4
	v_and_b32_e32 v6, 7, v6
	v_cmp_eq_u16_e32 vcc, 0, v2
	v_cndmask_b32_e32 v3, v3, v6, vcc
	v_cndmask_b32_e32 v2, v2, v4, vcc
	v_lshlrev_b32_e32 v4, 24, v9
	v_mov_b32_e32 v6, 0x3b800000
	v_lshlrev_b32_e32 v3, 20, v3
	v_and_b32_e32 v4, 0x80000000, v4
	v_lshl_add_u32 v2, v2, 23, v6
	v_or3_b32 v2, v4, v2, v3
.LBB43_228:
	s_or_b64 exec, exec, s[6:7]
	s_movk_i32 s4, 0x7f
	v_cmp_gt_i16_sdwa s[6:7], v5, s4 src0_sel:BYTE_0 src1_sel:DWORD
	s_mov_b64 s[4:5], 0
                                        ; implicit-def: $sgpr10
	s_and_saveexec_b64 s[8:9], s[6:7]
	s_xor_b64 s[6:7], exec, s[8:9]
	s_cbranch_execnz .LBB43_2277
; %bb.229:
	s_or_saveexec_b64 s[6:7], s[6:7]
	v_mov_b32_e32 v3, s10
	s_xor_b64 exec, exec, s[6:7]
	s_cbranch_execnz .LBB43_2280
.LBB43_230:
	s_or_b64 exec, exec, s[6:7]
	s_and_saveexec_b64 s[6:7], s[4:5]
	s_cbranch_execz .LBB43_232
.LBB43_231:
	v_mov_b32_e32 v3, 8
	v_and_b32_e32 v4, 7, v5
	v_lshrrev_b32_sdwa v3, v3, v5 dst_sel:BYTE_1 dst_unused:UNUSED_PAD src0_sel:DWORD src1_sel:DWORD
	v_ffbh_u32_e32 v6, v4
	v_or_b32_sdwa v3, v5, v3 dst_sel:DWORD dst_unused:UNUSED_PAD src0_sel:BYTE_0 src1_sel:DWORD
	v_min_u32_e32 v6, 32, v6
	v_lshrrev_b16_e32 v3, 3, v3
	v_subrev_u32_e32 v7, 28, v6
	v_and_b32_e32 v3, 15, v3
	v_lshlrev_b32_e32 v7, v7, v5
	v_sub_u32_e32 v6, 29, v6
	v_and_b32_e32 v7, 7, v7
	v_cmp_eq_u16_e32 vcc, 0, v3
	v_cndmask_b32_e32 v4, v4, v7, vcc
	v_cndmask_b32_e32 v3, v3, v6, vcc
	v_lshlrev_b32_e32 v6, 24, v5
	v_mov_b32_e32 v7, 0x3b800000
	v_lshlrev_b32_e32 v4, 20, v4
	v_and_b32_e32 v6, 0x80000000, v6
	v_lshl_add_u32 v3, v3, 23, v7
	v_or3_b32 v3, v6, v3, v4
.LBB43_232:
	s_or_b64 exec, exec, s[6:7]
	s_nop 0
	v_mfma_f32_16x16x4f32 a[0:3], v2, v3, a[0:3]
	v_lshrrev_b32_e32 v3, 8, v9
	s_movk_i32 s4, 0x7f
	v_cmp_gt_i16_sdwa s[6:7], v3, s4 src0_sel:BYTE_0 src1_sel:DWORD
	s_mov_b64 s[4:5], 0
                                        ; implicit-def: $sgpr10
	s_and_saveexec_b64 s[8:9], s[6:7]
	s_xor_b64 s[6:7], exec, s[8:9]
	s_cbranch_execnz .LBB43_2281
; %bb.233:
	s_or_saveexec_b64 s[6:7], s[6:7]
	v_mov_b32_e32 v2, s10
	s_xor_b64 exec, exec, s[6:7]
	s_cbranch_execnz .LBB43_2284
.LBB43_234:
	s_or_b64 exec, exec, s[6:7]
	s_and_saveexec_b64 s[6:7], s[4:5]
	s_cbranch_execz .LBB43_236
.LBB43_235:
	v_bfe_u32 v2, v9, 8, 3
	v_ffbh_u32_e32 v6, v2
	v_min_u32_e32 v6, 32, v6
	v_lshrrev_b16_e32 v4, 3, v3
	v_subrev_u32_e32 v7, 28, v6
	v_and_b32_e32 v4, 15, v4
	v_lshlrev_b32_e32 v3, v7, v3
	v_sub_u32_e32 v6, 29, v6
	v_and_b32_e32 v3, 7, v3
	v_cmp_eq_u16_e32 vcc, 0, v4
	v_cndmask_b32_e32 v2, v2, v3, vcc
	v_cndmask_b32_e32 v3, v4, v6, vcc
	v_lshlrev_b32_e32 v4, 16, v9
	v_mov_b32_e32 v6, 0x3b800000
	v_lshlrev_b32_e32 v2, 20, v2
	v_and_b32_e32 v4, 0x80000000, v4
	v_lshl_add_u32 v3, v3, 23, v6
	v_or3_b32 v2, v4, v3, v2
.LBB43_236:
	s_or_b64 exec, exec, s[6:7]
	v_lshrrev_b32_e32 v3, 8, v5
	s_movk_i32 s4, 0x7f
	v_cmp_gt_i16_sdwa s[6:7], v3, s4 src0_sel:BYTE_0 src1_sel:DWORD
	s_mov_b64 s[4:5], 0
                                        ; implicit-def: $sgpr10
	s_and_saveexec_b64 s[8:9], s[6:7]
	s_xor_b64 s[6:7], exec, s[8:9]
	s_cbranch_execnz .LBB43_2285
; %bb.237:
	s_or_saveexec_b64 s[6:7], s[6:7]
	v_mov_b32_e32 v4, s10
	s_xor_b64 exec, exec, s[6:7]
	s_cbranch_execnz .LBB43_2288
.LBB43_238:
	s_or_b64 exec, exec, s[6:7]
	s_and_saveexec_b64 s[6:7], s[4:5]
	s_cbranch_execz .LBB43_240
.LBB43_239:
	v_bfe_u32 v4, v5, 8, 3
	v_ffbh_u32_e32 v7, v4
	v_min_u32_e32 v7, 32, v7
	v_lshrrev_b16_e32 v6, 3, v3
	v_subrev_u32_e32 v8, 28, v7
	v_and_b32_e32 v6, 15, v6
	v_lshlrev_b32_e32 v3, v8, v3
	v_sub_u32_e32 v7, 29, v7
	v_and_b32_e32 v3, 7, v3
	v_cmp_eq_u16_e32 vcc, 0, v6
	v_cndmask_b32_e32 v3, v4, v3, vcc
	v_cndmask_b32_e32 v4, v6, v7, vcc
	v_lshlrev_b32_e32 v6, 16, v5
	v_mov_b32_e32 v7, 0x3b800000
	v_lshlrev_b32_e32 v3, 20, v3
	v_and_b32_e32 v6, 0x80000000, v6
	v_lshl_add_u32 v4, v4, 23, v7
	v_or3_b32 v4, v6, v4, v3
.LBB43_240:
	s_or_b64 exec, exec, s[6:7]
	s_nop 0
	v_mfma_f32_16x16x4f32 a[0:3], v2, v4, a[0:3]
	s_movk_i32 s4, 0xff
	v_and_b32_sdwa v3, v9, s4 dst_sel:DWORD dst_unused:UNUSED_PAD src0_sel:WORD_1 src1_sel:DWORD
	s_movk_i32 s4, 0x7f
	v_cmp_lt_i16_e32 vcc, s4, v3
	s_mov_b64 s[4:5], 0
                                        ; implicit-def: $sgpr10
	s_and_saveexec_b64 s[6:7], vcc
	s_xor_b64 s[6:7], exec, s[6:7]
	s_cbranch_execnz .LBB43_2289
; %bb.241:
	s_or_saveexec_b64 s[6:7], s[6:7]
	v_mov_b32_e32 v2, s10
	s_xor_b64 exec, exec, s[6:7]
	s_cbranch_execnz .LBB43_2292
.LBB43_242:
	s_or_b64 exec, exec, s[6:7]
	s_and_saveexec_b64 s[6:7], s[4:5]
	s_cbranch_execz .LBB43_244
.LBB43_243:
	v_bfe_u32 v2, v9, 16, 3
	v_ffbh_u32_e32 v6, v2
	v_min_u32_e32 v6, 32, v6
	v_lshrrev_b32_e32 v3, 19, v9
	v_subrev_u32_e32 v7, 28, v6
	v_and_b32_e32 v3, 15, v3
	v_lshlrev_b32_sdwa v7, v7, v9 dst_sel:DWORD dst_unused:UNUSED_PAD src0_sel:DWORD src1_sel:WORD_1
	v_bfe_u32 v4, v9, 19, 4
	v_sub_u32_e32 v6, 29, v6
	v_and_b32_e32 v7, 7, v7
	v_cmp_eq_u16_e32 vcc, 0, v3
	v_cndmask_b32_e32 v2, v2, v7, vcc
	v_cndmask_b32_e32 v3, v4, v6, vcc
	v_lshlrev_b32_e32 v4, 8, v9
	v_mov_b32_e32 v6, 0x3b800000
	v_lshlrev_b32_e32 v2, 20, v2
	v_and_b32_e32 v4, 0x80000000, v4
	v_lshl_add_u32 v3, v3, 23, v6
	v_or3_b32 v2, v4, v3, v2
.LBB43_244:
	s_or_b64 exec, exec, s[6:7]
	s_movk_i32 s4, 0xff
	v_and_b32_sdwa v3, v5, s4 dst_sel:DWORD dst_unused:UNUSED_PAD src0_sel:WORD_1 src1_sel:DWORD
	s_movk_i32 s4, 0x7f
	v_cmp_lt_i16_e32 vcc, s4, v3
	s_mov_b64 s[4:5], 0
                                        ; implicit-def: $sgpr10
	s_and_saveexec_b64 s[6:7], vcc
	s_xor_b64 s[6:7], exec, s[6:7]
	s_cbranch_execnz .LBB43_2293
; %bb.245:
	s_or_saveexec_b64 s[6:7], s[6:7]
	v_mov_b32_e32 v4, s10
	s_xor_b64 exec, exec, s[6:7]
	s_cbranch_execnz .LBB43_2296
.LBB43_246:
	s_or_b64 exec, exec, s[6:7]
	s_and_saveexec_b64 s[6:7], s[4:5]
	s_cbranch_execz .LBB43_248
.LBB43_247:
	v_bfe_u32 v3, v5, 16, 3
	v_ffbh_u32_e32 v7, v3
	v_min_u32_e32 v7, 32, v7
	v_lshrrev_b32_e32 v4, 19, v5
	v_subrev_u32_e32 v8, 28, v7
	v_and_b32_e32 v4, 15, v4
	v_lshlrev_b32_sdwa v8, v8, v5 dst_sel:DWORD dst_unused:UNUSED_PAD src0_sel:DWORD src1_sel:WORD_1
	v_bfe_u32 v6, v5, 19, 4
	v_sub_u32_e32 v7, 29, v7
	v_and_b32_e32 v8, 7, v8
	v_cmp_eq_u16_e32 vcc, 0, v4
	v_cndmask_b32_e32 v3, v3, v8, vcc
	v_cndmask_b32_e32 v4, v6, v7, vcc
	v_lshlrev_b32_e32 v6, 8, v5
	v_mov_b32_e32 v7, 0x3b800000
	v_lshlrev_b32_e32 v3, 20, v3
	v_and_b32_e32 v6, 0x80000000, v6
	v_lshl_add_u32 v4, v4, 23, v7
	v_or3_b32 v4, v6, v4, v3
.LBB43_248:
	s_or_b64 exec, exec, s[6:7]
	s_nop 0
	v_mfma_f32_16x16x4f32 a[0:3], v2, v4, a[0:3]
	s_movk_i32 s4, 0x7f
	v_cmp_gt_i16_sdwa s[6:7], v9, s4 src0_sel:BYTE_3 src1_sel:DWORD
	s_mov_b64 s[4:5], 0
                                        ; implicit-def: $sgpr10
	s_and_saveexec_b64 s[8:9], s[6:7]
	s_xor_b64 s[6:7], exec, s[8:9]
	s_cbranch_execnz .LBB43_2297
; %bb.249:
	s_or_saveexec_b64 s[6:7], s[6:7]
	v_mov_b32_e32 v2, s10
	s_xor_b64 exec, exec, s[6:7]
	s_cbranch_execnz .LBB43_2300
.LBB43_250:
	s_or_b64 exec, exec, s[6:7]
	s_and_saveexec_b64 s[6:7], s[4:5]
	s_cbranch_execz .LBB43_252
.LBB43_251:
	v_bfe_u32 v2, v9, 24, 3
	v_ffbh_u32_e32 v7, v2
	v_min_u32_e32 v7, 32, v7
	v_lshrrev_b32_e32 v4, 27, v9
	v_subrev_u32_e32 v8, 28, v7
	v_and_b32_e32 v4, 15, v4
	v_lshlrev_b32_sdwa v8, v8, v9 dst_sel:DWORD dst_unused:UNUSED_PAD src0_sel:DWORD src1_sel:BYTE_3
	v_bfe_u32 v6, v9, 27, 4
	v_sub_u32_e32 v7, 29, v7
	v_and_b32_e32 v8, 7, v8
	v_cmp_eq_u16_e32 vcc, 0, v4
	v_cndmask_b32_e32 v2, v2, v8, vcc
	v_cndmask_b32_e32 v4, v6, v7, vcc
	v_mov_b32_e32 v6, 0x3b800000
	v_and_b32_e32 v3, 0x80000000, v9
	v_lshlrev_b32_e32 v2, 20, v2
	v_lshl_add_u32 v4, v4, 23, v6
	v_or3_b32 v2, v3, v4, v2
.LBB43_252:
	s_or_b64 exec, exec, s[6:7]
	s_movk_i32 s4, 0x7f
	v_cmp_gt_i16_sdwa s[6:7], v5, s4 src0_sel:BYTE_3 src1_sel:DWORD
	s_mov_b64 s[4:5], 0
                                        ; implicit-def: $sgpr10
	s_and_saveexec_b64 s[8:9], s[6:7]
	s_xor_b64 s[6:7], exec, s[8:9]
	s_cbranch_execnz .LBB43_2301
; %bb.253:
	s_or_saveexec_b64 s[6:7], s[6:7]
	v_mov_b32_e32 v3, s10
	s_xor_b64 exec, exec, s[6:7]
	s_cbranch_execnz .LBB43_2304
.LBB43_254:
	s_or_b64 exec, exec, s[6:7]
	s_and_saveexec_b64 s[6:7], s[4:5]
	s_cbranch_execz .LBB43_256
.LBB43_255:
	v_bfe_u32 v3, v5, 24, 3
	v_ffbh_u32_e32 v8, v3
	v_min_u32_e32 v8, 32, v8
	v_lshrrev_b32_e32 v6, 27, v5
	v_subrev_u32_e32 v9, 28, v8
	v_and_b32_e32 v4, 0x80000000, v5
	v_and_b32_e32 v6, 15, v6
	v_bfe_u32 v7, v5, 27, 4
	v_lshlrev_b32_sdwa v5, v9, v5 dst_sel:DWORD dst_unused:UNUSED_PAD src0_sel:DWORD src1_sel:BYTE_3
	v_sub_u32_e32 v8, 29, v8
	v_and_b32_e32 v5, 7, v5
	v_cmp_eq_u16_e32 vcc, 0, v6
	v_cndmask_b32_e32 v3, v3, v5, vcc
	v_cndmask_b32_e32 v5, v7, v8, vcc
	v_mov_b32_e32 v6, 0x3b800000
	v_lshlrev_b32_e32 v3, 20, v3
	v_lshl_add_u32 v5, v5, 23, v6
	v_or3_b32 v3, v4, v5, v3
.LBB43_256:
	s_or_b64 exec, exec, s[6:7]
	s_nop 0
	v_mfma_f32_16x16x4f32 a[0:3], v2, v3, a[0:3]
	s_movk_i32 s4, 0x7f
                                        ; implicit-def: $sgpr10
	s_nop 7
	s_nop 1
	flat_store_dwordx4 v[18:19], a[0:3] offset:896
	flat_load_dwordx4 v[20:23], v[0:1] offset:16
	s_nop 0
	flat_load_dwordx2 v[18:19], v[0:1] offset:32
	s_waitcnt vmcnt(0) lgkmcnt(0)
	flat_load_dwordx4 v[14:17], v[20:21] offset:32
	flat_load_dwordx4 v[6:9], v[20:21] offset:48
	;; [unrolled: 1-line block ×4, first 2 shown]
	s_waitcnt vmcnt(0) lgkmcnt(0)
	v_cmp_gt_i16_sdwa s[6:7], v14, s4 src0_sel:BYTE_0 src1_sel:DWORD
	s_mov_b64 s[4:5], 0
	s_and_saveexec_b64 s[8:9], s[6:7]
	s_xor_b64 s[6:7], exec, s[8:9]
	s_cbranch_execnz .LBB43_2305
; %bb.257:
	s_or_saveexec_b64 s[6:7], s[6:7]
	v_mov_b32_e32 v20, s10
	s_xor_b64 exec, exec, s[6:7]
	s_cbranch_execnz .LBB43_2308
.LBB43_258:
	s_or_b64 exec, exec, s[6:7]
	s_and_saveexec_b64 s[6:7], s[4:5]
	s_cbranch_execz .LBB43_260
.LBB43_259:
	v_and_b32_e32 v20, 7, v14
	v_ffbh_u32_e32 v22, v20
	v_min_u32_e32 v22, 32, v22
	v_lshrrev_b16_e32 v21, 3, v14
	v_subrev_u32_e32 v23, 28, v22
	v_and_b32_e32 v21, 15, v21
	v_lshlrev_b32_e32 v23, v23, v14
	v_sub_u32_e32 v22, 29, v22
	v_and_b32_e32 v23, 7, v23
	v_cmp_eq_u16_e32 vcc, 0, v21
	v_cndmask_b32_e32 v20, v20, v23, vcc
	v_cndmask_b32_e32 v21, v21, v22, vcc
	v_lshlrev_b32_e32 v22, 24, v14
	v_mov_b32_e32 v23, 0x3b800000
	v_lshlrev_b32_e32 v20, 20, v20
	v_and_b32_e32 v22, 0x80000000, v22
	v_lshl_add_u32 v21, v21, 23, v23
	v_or3_b32 v20, v22, v21, v20
.LBB43_260:
	s_or_b64 exec, exec, s[6:7]
	s_movk_i32 s4, 0x7f
	v_cmp_gt_i16_sdwa s[6:7], v10, s4 src0_sel:BYTE_0 src1_sel:DWORD
	s_mov_b64 s[4:5], 0
                                        ; implicit-def: $sgpr10
	s_and_saveexec_b64 s[8:9], s[6:7]
	s_xor_b64 s[6:7], exec, s[8:9]
	s_cbranch_execnz .LBB43_2309
; %bb.261:
	s_or_saveexec_b64 s[6:7], s[6:7]
	v_mov_b32_e32 v21, s10
	s_xor_b64 exec, exec, s[6:7]
	s_cbranch_execnz .LBB43_2312
.LBB43_262:
	s_or_b64 exec, exec, s[6:7]
	s_and_saveexec_b64 s[6:7], s[4:5]
	s_cbranch_execz .LBB43_264
.LBB43_263:
	v_and_b32_e32 v21, 7, v10
	v_ffbh_u32_e32 v23, v21
	v_min_u32_e32 v23, 32, v23
	v_lshrrev_b16_e32 v22, 3, v10
	v_subrev_u32_e32 v24, 28, v23
	v_and_b32_e32 v22, 15, v22
	v_lshlrev_b32_e32 v24, v24, v10
	v_sub_u32_e32 v23, 29, v23
	v_and_b32_e32 v24, 7, v24
	v_cmp_eq_u16_e32 vcc, 0, v22
	v_cndmask_b32_e32 v21, v21, v24, vcc
	v_cndmask_b32_e32 v22, v22, v23, vcc
	v_lshlrev_b32_e32 v23, 24, v10
	v_mov_b32_e32 v24, 0x3b800000
	v_lshlrev_b32_e32 v21, 20, v21
	v_and_b32_e32 v23, 0x80000000, v23
	v_lshl_add_u32 v22, v22, 23, v24
	v_or3_b32 v21, v23, v22, v21
.LBB43_264:
	s_or_b64 exec, exec, s[6:7]
	flat_load_dwordx4 a[0:3], v[18:19] offset:912
	s_movk_i32 s4, 0x7f
                                        ; implicit-def: $sgpr10
	s_waitcnt vmcnt(0) lgkmcnt(0)
	v_mfma_f32_16x16x4f32 a[0:3], v20, v21, a[0:3]
	v_lshrrev_b32_e32 v21, 8, v14
	v_cmp_gt_i16_sdwa s[6:7], v21, s4 src0_sel:BYTE_0 src1_sel:DWORD
	s_mov_b64 s[4:5], 0
	s_and_saveexec_b64 s[8:9], s[6:7]
	s_xor_b64 s[6:7], exec, s[8:9]
	s_cbranch_execnz .LBB43_2313
; %bb.265:
	s_or_saveexec_b64 s[6:7], s[6:7]
	v_mov_b32_e32 v20, s10
	s_xor_b64 exec, exec, s[6:7]
	s_cbranch_execnz .LBB43_2316
.LBB43_266:
	s_or_b64 exec, exec, s[6:7]
	s_and_saveexec_b64 s[6:7], s[4:5]
	s_cbranch_execz .LBB43_268
.LBB43_267:
	v_bfe_u32 v20, v14, 8, 3
	v_ffbh_u32_e32 v23, v20
	v_min_u32_e32 v23, 32, v23
	v_lshrrev_b16_e32 v22, 3, v21
	v_subrev_u32_e32 v24, 28, v23
	v_and_b32_e32 v22, 15, v22
	v_lshlrev_b32_e32 v21, v24, v21
	v_sub_u32_e32 v23, 29, v23
	v_and_b32_e32 v21, 7, v21
	v_cmp_eq_u16_e32 vcc, 0, v22
	v_cndmask_b32_e32 v20, v20, v21, vcc
	v_cndmask_b32_e32 v21, v22, v23, vcc
	v_lshlrev_b32_e32 v22, 16, v14
	v_mov_b32_e32 v23, 0x3b800000
	v_lshlrev_b32_e32 v20, 20, v20
	v_and_b32_e32 v22, 0x80000000, v22
	v_lshl_add_u32 v21, v21, 23, v23
	v_or3_b32 v20, v22, v21, v20
.LBB43_268:
	s_or_b64 exec, exec, s[6:7]
	v_lshrrev_b32_e32 v21, 8, v10
	s_movk_i32 s4, 0x7f
	v_cmp_gt_i16_sdwa s[6:7], v21, s4 src0_sel:BYTE_0 src1_sel:DWORD
	s_mov_b64 s[4:5], 0
                                        ; implicit-def: $sgpr10
	s_and_saveexec_b64 s[8:9], s[6:7]
	s_xor_b64 s[6:7], exec, s[8:9]
	s_cbranch_execnz .LBB43_2317
; %bb.269:
	s_or_saveexec_b64 s[6:7], s[6:7]
	v_mov_b32_e32 v22, s10
	s_xor_b64 exec, exec, s[6:7]
	s_cbranch_execnz .LBB43_2320
.LBB43_270:
	s_or_b64 exec, exec, s[6:7]
	s_and_saveexec_b64 s[6:7], s[4:5]
	s_cbranch_execz .LBB43_272
.LBB43_271:
	v_bfe_u32 v22, v10, 8, 3
	v_ffbh_u32_e32 v24, v22
	v_min_u32_e32 v24, 32, v24
	v_lshrrev_b16_e32 v23, 3, v21
	v_subrev_u32_e32 v25, 28, v24
	v_and_b32_e32 v23, 15, v23
	v_lshlrev_b32_e32 v21, v25, v21
	v_sub_u32_e32 v24, 29, v24
	v_and_b32_e32 v21, 7, v21
	v_cmp_eq_u16_e32 vcc, 0, v23
	v_cndmask_b32_e32 v21, v22, v21, vcc
	v_cndmask_b32_e32 v22, v23, v24, vcc
	v_lshlrev_b32_e32 v23, 16, v10
	v_mov_b32_e32 v24, 0x3b800000
	v_lshlrev_b32_e32 v21, 20, v21
	v_and_b32_e32 v23, 0x80000000, v23
	v_lshl_add_u32 v22, v22, 23, v24
	v_or3_b32 v22, v23, v22, v21
.LBB43_272:
	s_or_b64 exec, exec, s[6:7]
	s_nop 0
	v_mfma_f32_16x16x4f32 a[0:3], v20, v22, a[0:3]
	s_movk_i32 s4, 0xff
	v_and_b32_sdwa v21, v14, s4 dst_sel:DWORD dst_unused:UNUSED_PAD src0_sel:WORD_1 src1_sel:DWORD
	s_movk_i32 s4, 0x7f
	v_cmp_lt_i16_e32 vcc, s4, v21
	s_mov_b64 s[4:5], 0
                                        ; implicit-def: $sgpr10
	s_and_saveexec_b64 s[6:7], vcc
	s_xor_b64 s[6:7], exec, s[6:7]
	s_cbranch_execnz .LBB43_2321
; %bb.273:
	s_or_saveexec_b64 s[6:7], s[6:7]
	v_mov_b32_e32 v20, s10
	s_xor_b64 exec, exec, s[6:7]
	s_cbranch_execnz .LBB43_2324
.LBB43_274:
	s_or_b64 exec, exec, s[6:7]
	s_and_saveexec_b64 s[6:7], s[4:5]
	s_cbranch_execz .LBB43_276
.LBB43_275:
	v_bfe_u32 v20, v14, 16, 3
	v_ffbh_u32_e32 v23, v20
	v_min_u32_e32 v23, 32, v23
	v_lshrrev_b32_e32 v21, 19, v14
	v_subrev_u32_e32 v24, 28, v23
	v_and_b32_e32 v21, 15, v21
	v_lshlrev_b32_sdwa v24, v24, v14 dst_sel:DWORD dst_unused:UNUSED_PAD src0_sel:DWORD src1_sel:WORD_1
	v_bfe_u32 v22, v14, 19, 4
	v_sub_u32_e32 v23, 29, v23
	v_and_b32_e32 v24, 7, v24
	v_cmp_eq_u16_e32 vcc, 0, v21
	v_cndmask_b32_e32 v20, v20, v24, vcc
	v_cndmask_b32_e32 v21, v22, v23, vcc
	v_lshlrev_b32_e32 v22, 8, v14
	v_mov_b32_e32 v23, 0x3b800000
	v_lshlrev_b32_e32 v20, 20, v20
	v_and_b32_e32 v22, 0x80000000, v22
	v_lshl_add_u32 v21, v21, 23, v23
	v_or3_b32 v20, v22, v21, v20
.LBB43_276:
	s_or_b64 exec, exec, s[6:7]
	s_movk_i32 s4, 0xff
	v_and_b32_sdwa v21, v10, s4 dst_sel:DWORD dst_unused:UNUSED_PAD src0_sel:WORD_1 src1_sel:DWORD
	s_movk_i32 s4, 0x7f
	v_cmp_lt_i16_e32 vcc, s4, v21
	s_mov_b64 s[4:5], 0
                                        ; implicit-def: $sgpr10
	s_and_saveexec_b64 s[6:7], vcc
	s_xor_b64 s[6:7], exec, s[6:7]
	s_cbranch_execnz .LBB43_2325
; %bb.277:
	s_or_saveexec_b64 s[6:7], s[6:7]
	v_mov_b32_e32 v22, s10
	s_xor_b64 exec, exec, s[6:7]
	s_cbranch_execnz .LBB43_2328
.LBB43_278:
	s_or_b64 exec, exec, s[6:7]
	s_and_saveexec_b64 s[6:7], s[4:5]
	s_cbranch_execz .LBB43_280
.LBB43_279:
	v_bfe_u32 v21, v10, 16, 3
	v_ffbh_u32_e32 v24, v21
	v_min_u32_e32 v24, 32, v24
	v_lshrrev_b32_e32 v22, 19, v10
	v_subrev_u32_e32 v25, 28, v24
	v_and_b32_e32 v22, 15, v22
	v_lshlrev_b32_sdwa v25, v25, v10 dst_sel:DWORD dst_unused:UNUSED_PAD src0_sel:DWORD src1_sel:WORD_1
	v_bfe_u32 v23, v10, 19, 4
	v_sub_u32_e32 v24, 29, v24
	v_and_b32_e32 v25, 7, v25
	v_cmp_eq_u16_e32 vcc, 0, v22
	v_cndmask_b32_e32 v21, v21, v25, vcc
	v_cndmask_b32_e32 v22, v23, v24, vcc
	v_lshlrev_b32_e32 v23, 8, v10
	v_mov_b32_e32 v24, 0x3b800000
	v_lshlrev_b32_e32 v21, 20, v21
	v_and_b32_e32 v23, 0x80000000, v23
	v_lshl_add_u32 v22, v22, 23, v24
	v_or3_b32 v22, v23, v22, v21
.LBB43_280:
	s_or_b64 exec, exec, s[6:7]
	s_nop 0
	v_mfma_f32_16x16x4f32 a[0:3], v20, v22, a[0:3]
	s_movk_i32 s4, 0x7f
	v_cmp_gt_i16_sdwa s[6:7], v14, s4 src0_sel:BYTE_3 src1_sel:DWORD
	s_mov_b64 s[4:5], 0
                                        ; implicit-def: $sgpr10
	s_and_saveexec_b64 s[8:9], s[6:7]
	s_xor_b64 s[6:7], exec, s[8:9]
	s_cbranch_execnz .LBB43_2329
; %bb.281:
	s_or_saveexec_b64 s[6:7], s[6:7]
	v_mov_b32_e32 v20, s10
	s_xor_b64 exec, exec, s[6:7]
	s_cbranch_execnz .LBB43_2332
.LBB43_282:
	s_or_b64 exec, exec, s[6:7]
	s_and_saveexec_b64 s[6:7], s[4:5]
	s_cbranch_execz .LBB43_284
.LBB43_283:
	v_bfe_u32 v20, v14, 24, 3
	v_ffbh_u32_e32 v24, v20
	v_min_u32_e32 v24, 32, v24
	v_lshrrev_b32_e32 v22, 27, v14
	v_subrev_u32_e32 v25, 28, v24
	v_and_b32_e32 v21, 0x80000000, v14
	v_and_b32_e32 v22, 15, v22
	v_bfe_u32 v23, v14, 27, 4
	v_lshlrev_b32_sdwa v14, v25, v14 dst_sel:DWORD dst_unused:UNUSED_PAD src0_sel:DWORD src1_sel:BYTE_3
	v_sub_u32_e32 v24, 29, v24
	v_and_b32_e32 v14, 7, v14
	v_cmp_eq_u16_e32 vcc, 0, v22
	v_cndmask_b32_e32 v14, v20, v14, vcc
	v_cndmask_b32_e32 v20, v23, v24, vcc
	v_mov_b32_e32 v22, 0x3b800000
	v_lshlrev_b32_e32 v14, 20, v14
	v_lshl_add_u32 v20, v20, 23, v22
	v_or3_b32 v20, v21, v20, v14
.LBB43_284:
	s_or_b64 exec, exec, s[6:7]
	s_movk_i32 s4, 0x7f
	v_cmp_gt_i16_sdwa s[6:7], v10, s4 src0_sel:BYTE_3 src1_sel:DWORD
	s_mov_b64 s[4:5], 0
                                        ; implicit-def: $sgpr10
	s_and_saveexec_b64 s[8:9], s[6:7]
	s_xor_b64 s[6:7], exec, s[8:9]
	s_cbranch_execnz .LBB43_2333
; %bb.285:
	s_or_saveexec_b64 s[6:7], s[6:7]
	v_mov_b32_e32 v14, s10
	s_xor_b64 exec, exec, s[6:7]
	s_cbranch_execnz .LBB43_2336
.LBB43_286:
	s_or_b64 exec, exec, s[6:7]
	s_and_saveexec_b64 s[6:7], s[4:5]
	s_cbranch_execz .LBB43_288
.LBB43_287:
	v_bfe_u32 v14, v10, 24, 3
	v_ffbh_u32_e32 v24, v14
	v_min_u32_e32 v24, 32, v24
	v_lshrrev_b32_e32 v22, 27, v10
	v_subrev_u32_e32 v25, 28, v24
	v_and_b32_e32 v21, 0x80000000, v10
	v_and_b32_e32 v22, 15, v22
	v_bfe_u32 v23, v10, 27, 4
	v_lshlrev_b32_sdwa v10, v25, v10 dst_sel:DWORD dst_unused:UNUSED_PAD src0_sel:DWORD src1_sel:BYTE_3
	v_sub_u32_e32 v24, 29, v24
	v_and_b32_e32 v10, 7, v10
	v_cmp_eq_u16_e32 vcc, 0, v22
	v_cndmask_b32_e32 v10, v14, v10, vcc
	v_cndmask_b32_e32 v14, v23, v24, vcc
	v_mov_b32_e32 v22, 0x3b800000
	v_lshlrev_b32_e32 v10, 20, v10
	v_lshl_add_u32 v14, v14, 23, v22
	v_or3_b32 v14, v21, v14, v10
.LBB43_288:
	s_or_b64 exec, exec, s[6:7]
	s_nop 0
	v_mfma_f32_16x16x4f32 a[0:3], v20, v14, a[0:3]
	s_movk_i32 s4, 0x7f
	v_cmp_gt_i16_sdwa s[6:7], v15, s4 src0_sel:BYTE_0 src1_sel:DWORD
	s_mov_b64 s[4:5], 0
                                        ; implicit-def: $sgpr10
	s_and_saveexec_b64 s[8:9], s[6:7]
	s_xor_b64 s[6:7], exec, s[8:9]
	s_cbranch_execnz .LBB43_2337
; %bb.289:
	s_or_saveexec_b64 s[6:7], s[6:7]
	v_mov_b32_e32 v10, s10
	s_xor_b64 exec, exec, s[6:7]
	s_cbranch_execnz .LBB43_2340
.LBB43_290:
	s_or_b64 exec, exec, s[6:7]
	s_and_saveexec_b64 s[6:7], s[4:5]
	s_cbranch_execz .LBB43_292
.LBB43_291:
	v_and_b32_e32 v10, 7, v15
	v_ffbh_u32_e32 v20, v10
	v_min_u32_e32 v20, 32, v20
	v_lshrrev_b16_e32 v14, 3, v15
	v_subrev_u32_e32 v21, 28, v20
	v_and_b32_e32 v14, 15, v14
	v_lshlrev_b32_e32 v21, v21, v15
	v_sub_u32_e32 v20, 29, v20
	v_and_b32_e32 v21, 7, v21
	v_cmp_eq_u16_e32 vcc, 0, v14
	v_cndmask_b32_e32 v10, v10, v21, vcc
	v_cndmask_b32_e32 v14, v14, v20, vcc
	v_lshlrev_b32_e32 v20, 24, v15
	v_mov_b32_e32 v21, 0x3b800000
	v_lshlrev_b32_e32 v10, 20, v10
	v_and_b32_e32 v20, 0x80000000, v20
	v_lshl_add_u32 v14, v14, 23, v21
	v_or3_b32 v10, v20, v14, v10
.LBB43_292:
	s_or_b64 exec, exec, s[6:7]
	s_movk_i32 s4, 0x7f
	v_cmp_gt_i16_sdwa s[6:7], v11, s4 src0_sel:BYTE_0 src1_sel:DWORD
	s_mov_b64 s[4:5], 0
                                        ; implicit-def: $sgpr10
	s_and_saveexec_b64 s[8:9], s[6:7]
	s_xor_b64 s[6:7], exec, s[8:9]
	s_cbranch_execnz .LBB43_2341
; %bb.293:
	s_or_saveexec_b64 s[6:7], s[6:7]
	v_mov_b32_e32 v14, s10
	s_xor_b64 exec, exec, s[6:7]
	s_cbranch_execnz .LBB43_2344
.LBB43_294:
	s_or_b64 exec, exec, s[6:7]
	s_and_saveexec_b64 s[6:7], s[4:5]
	s_cbranch_execz .LBB43_296
.LBB43_295:
	v_and_b32_e32 v14, 7, v11
	v_ffbh_u32_e32 v21, v14
	v_min_u32_e32 v21, 32, v21
	v_lshrrev_b16_e32 v20, 3, v11
	v_subrev_u32_e32 v22, 28, v21
	v_and_b32_e32 v20, 15, v20
	v_lshlrev_b32_e32 v22, v22, v11
	v_sub_u32_e32 v21, 29, v21
	v_and_b32_e32 v22, 7, v22
	v_cmp_eq_u16_e32 vcc, 0, v20
	v_cndmask_b32_e32 v14, v14, v22, vcc
	v_cndmask_b32_e32 v20, v20, v21, vcc
	v_lshlrev_b32_e32 v21, 24, v11
	v_mov_b32_e32 v22, 0x3b800000
	v_lshlrev_b32_e32 v14, 20, v14
	v_and_b32_e32 v21, 0x80000000, v21
	v_lshl_add_u32 v20, v20, 23, v22
	v_or3_b32 v14, v21, v20, v14
.LBB43_296:
	s_or_b64 exec, exec, s[6:7]
	s_nop 0
	v_mfma_f32_16x16x4f32 a[0:3], v10, v14, a[0:3]
	v_lshrrev_b32_e32 v14, 8, v15
	s_movk_i32 s4, 0x7f
	v_cmp_gt_i16_sdwa s[6:7], v14, s4 src0_sel:BYTE_0 src1_sel:DWORD
	s_mov_b64 s[4:5], 0
                                        ; implicit-def: $sgpr10
	s_and_saveexec_b64 s[8:9], s[6:7]
	s_xor_b64 s[6:7], exec, s[8:9]
	s_cbranch_execnz .LBB43_2345
; %bb.297:
	s_or_saveexec_b64 s[6:7], s[6:7]
	v_mov_b32_e32 v10, s10
	s_xor_b64 exec, exec, s[6:7]
	s_cbranch_execnz .LBB43_2348
.LBB43_298:
	s_or_b64 exec, exec, s[6:7]
	s_and_saveexec_b64 s[6:7], s[4:5]
	s_cbranch_execz .LBB43_300
.LBB43_299:
	v_bfe_u32 v10, v15, 8, 3
	v_ffbh_u32_e32 v21, v10
	v_min_u32_e32 v21, 32, v21
	v_lshrrev_b16_e32 v20, 3, v14
	v_subrev_u32_e32 v22, 28, v21
	v_and_b32_e32 v20, 15, v20
	v_lshlrev_b32_e32 v14, v22, v14
	v_sub_u32_e32 v21, 29, v21
	v_and_b32_e32 v14, 7, v14
	v_cmp_eq_u16_e32 vcc, 0, v20
	v_cndmask_b32_e32 v10, v10, v14, vcc
	v_cndmask_b32_e32 v14, v20, v21, vcc
	v_lshlrev_b32_e32 v20, 16, v15
	v_mov_b32_e32 v21, 0x3b800000
	v_lshlrev_b32_e32 v10, 20, v10
	v_and_b32_e32 v20, 0x80000000, v20
	v_lshl_add_u32 v14, v14, 23, v21
	v_or3_b32 v10, v20, v14, v10
.LBB43_300:
	s_or_b64 exec, exec, s[6:7]
	v_lshrrev_b32_e32 v14, 8, v11
	s_movk_i32 s4, 0x7f
	v_cmp_gt_i16_sdwa s[6:7], v14, s4 src0_sel:BYTE_0 src1_sel:DWORD
	s_mov_b64 s[4:5], 0
                                        ; implicit-def: $sgpr10
	s_and_saveexec_b64 s[8:9], s[6:7]
	s_xor_b64 s[6:7], exec, s[8:9]
	s_cbranch_execnz .LBB43_2349
; %bb.301:
	s_or_saveexec_b64 s[6:7], s[6:7]
	v_mov_b32_e32 v20, s10
	s_xor_b64 exec, exec, s[6:7]
	s_cbranch_execnz .LBB43_2352
.LBB43_302:
	s_or_b64 exec, exec, s[6:7]
	s_and_saveexec_b64 s[6:7], s[4:5]
	s_cbranch_execz .LBB43_304
.LBB43_303:
	v_bfe_u32 v20, v11, 8, 3
	v_ffbh_u32_e32 v22, v20
	v_min_u32_e32 v22, 32, v22
	v_lshrrev_b16_e32 v21, 3, v14
	v_subrev_u32_e32 v23, 28, v22
	v_and_b32_e32 v21, 15, v21
	v_lshlrev_b32_e32 v14, v23, v14
	v_sub_u32_e32 v22, 29, v22
	v_and_b32_e32 v14, 7, v14
	v_cmp_eq_u16_e32 vcc, 0, v21
	v_cndmask_b32_e32 v14, v20, v14, vcc
	v_cndmask_b32_e32 v20, v21, v22, vcc
	v_lshlrev_b32_e32 v21, 16, v11
	v_mov_b32_e32 v22, 0x3b800000
	v_lshlrev_b32_e32 v14, 20, v14
	v_and_b32_e32 v21, 0x80000000, v21
	v_lshl_add_u32 v20, v20, 23, v22
	v_or3_b32 v20, v21, v20, v14
.LBB43_304:
	s_or_b64 exec, exec, s[6:7]
	s_nop 0
	v_mfma_f32_16x16x4f32 a[0:3], v10, v20, a[0:3]
	s_movk_i32 s4, 0xff
	v_and_b32_sdwa v14, v15, s4 dst_sel:DWORD dst_unused:UNUSED_PAD src0_sel:WORD_1 src1_sel:DWORD
	s_movk_i32 s4, 0x7f
	v_cmp_lt_i16_e32 vcc, s4, v14
	s_mov_b64 s[4:5], 0
                                        ; implicit-def: $sgpr10
	s_and_saveexec_b64 s[6:7], vcc
	s_xor_b64 s[6:7], exec, s[6:7]
	s_cbranch_execnz .LBB43_2353
; %bb.305:
	s_or_saveexec_b64 s[6:7], s[6:7]
	v_mov_b32_e32 v10, s10
	s_xor_b64 exec, exec, s[6:7]
	s_cbranch_execnz .LBB43_2356
.LBB43_306:
	s_or_b64 exec, exec, s[6:7]
	s_and_saveexec_b64 s[6:7], s[4:5]
	s_cbranch_execz .LBB43_308
.LBB43_307:
	v_bfe_u32 v10, v15, 16, 3
	v_ffbh_u32_e32 v21, v10
	v_min_u32_e32 v21, 32, v21
	v_lshrrev_b32_e32 v14, 19, v15
	v_subrev_u32_e32 v22, 28, v21
	v_and_b32_e32 v14, 15, v14
	v_lshlrev_b32_sdwa v22, v22, v15 dst_sel:DWORD dst_unused:UNUSED_PAD src0_sel:DWORD src1_sel:WORD_1
	v_bfe_u32 v20, v15, 19, 4
	v_sub_u32_e32 v21, 29, v21
	v_and_b32_e32 v22, 7, v22
	v_cmp_eq_u16_e32 vcc, 0, v14
	v_cndmask_b32_e32 v10, v10, v22, vcc
	v_cndmask_b32_e32 v14, v20, v21, vcc
	v_lshlrev_b32_e32 v20, 8, v15
	v_mov_b32_e32 v21, 0x3b800000
	v_lshlrev_b32_e32 v10, 20, v10
	v_and_b32_e32 v20, 0x80000000, v20
	v_lshl_add_u32 v14, v14, 23, v21
	v_or3_b32 v10, v20, v14, v10
.LBB43_308:
	s_or_b64 exec, exec, s[6:7]
	s_movk_i32 s4, 0xff
	v_and_b32_sdwa v14, v11, s4 dst_sel:DWORD dst_unused:UNUSED_PAD src0_sel:WORD_1 src1_sel:DWORD
	s_movk_i32 s4, 0x7f
	v_cmp_lt_i16_e32 vcc, s4, v14
	s_mov_b64 s[4:5], 0
                                        ; implicit-def: $sgpr10
	s_and_saveexec_b64 s[6:7], vcc
	s_xor_b64 s[6:7], exec, s[6:7]
	s_cbranch_execnz .LBB43_2357
; %bb.309:
	s_or_saveexec_b64 s[6:7], s[6:7]
	v_mov_b32_e32 v20, s10
	s_xor_b64 exec, exec, s[6:7]
	s_cbranch_execnz .LBB43_2360
.LBB43_310:
	s_or_b64 exec, exec, s[6:7]
	s_and_saveexec_b64 s[6:7], s[4:5]
	s_cbranch_execz .LBB43_312
.LBB43_311:
	v_bfe_u32 v14, v11, 16, 3
	v_ffbh_u32_e32 v22, v14
	v_min_u32_e32 v22, 32, v22
	v_lshrrev_b32_e32 v20, 19, v11
	v_subrev_u32_e32 v23, 28, v22
	v_and_b32_e32 v20, 15, v20
	v_lshlrev_b32_sdwa v23, v23, v11 dst_sel:DWORD dst_unused:UNUSED_PAD src0_sel:DWORD src1_sel:WORD_1
	v_bfe_u32 v21, v11, 19, 4
	v_sub_u32_e32 v22, 29, v22
	v_and_b32_e32 v23, 7, v23
	v_cmp_eq_u16_e32 vcc, 0, v20
	v_cndmask_b32_e32 v14, v14, v23, vcc
	v_cndmask_b32_e32 v20, v21, v22, vcc
	v_lshlrev_b32_e32 v21, 8, v11
	v_mov_b32_e32 v22, 0x3b800000
	v_lshlrev_b32_e32 v14, 20, v14
	v_and_b32_e32 v21, 0x80000000, v21
	v_lshl_add_u32 v20, v20, 23, v22
	v_or3_b32 v20, v21, v20, v14
.LBB43_312:
	s_or_b64 exec, exec, s[6:7]
	s_nop 0
	v_mfma_f32_16x16x4f32 a[0:3], v10, v20, a[0:3]
	s_movk_i32 s4, 0x7f
	v_cmp_gt_i16_sdwa s[6:7], v15, s4 src0_sel:BYTE_3 src1_sel:DWORD
	s_mov_b64 s[4:5], 0
                                        ; implicit-def: $sgpr10
	s_and_saveexec_b64 s[8:9], s[6:7]
	s_xor_b64 s[6:7], exec, s[8:9]
	s_cbranch_execnz .LBB43_2361
; %bb.313:
	s_or_saveexec_b64 s[6:7], s[6:7]
	v_mov_b32_e32 v10, s10
	s_xor_b64 exec, exec, s[6:7]
	s_cbranch_execnz .LBB43_2364
.LBB43_314:
	s_or_b64 exec, exec, s[6:7]
	s_and_saveexec_b64 s[6:7], s[4:5]
	s_cbranch_execz .LBB43_316
.LBB43_315:
	v_bfe_u32 v10, v15, 24, 3
	v_ffbh_u32_e32 v22, v10
	v_min_u32_e32 v22, 32, v22
	v_lshrrev_b32_e32 v20, 27, v15
	v_subrev_u32_e32 v23, 28, v22
	v_and_b32_e32 v14, 0x80000000, v15
	v_and_b32_e32 v20, 15, v20
	v_bfe_u32 v21, v15, 27, 4
	v_lshlrev_b32_sdwa v15, v23, v15 dst_sel:DWORD dst_unused:UNUSED_PAD src0_sel:DWORD src1_sel:BYTE_3
	v_sub_u32_e32 v22, 29, v22
	v_and_b32_e32 v15, 7, v15
	v_cmp_eq_u16_e32 vcc, 0, v20
	v_cndmask_b32_e32 v10, v10, v15, vcc
	v_cndmask_b32_e32 v15, v21, v22, vcc
	v_mov_b32_e32 v20, 0x3b800000
	v_lshlrev_b32_e32 v10, 20, v10
	v_lshl_add_u32 v15, v15, 23, v20
	v_or3_b32 v10, v14, v15, v10
.LBB43_316:
	s_or_b64 exec, exec, s[6:7]
	s_movk_i32 s4, 0x7f
	v_cmp_gt_i16_sdwa s[6:7], v11, s4 src0_sel:BYTE_3 src1_sel:DWORD
	s_mov_b64 s[4:5], 0
                                        ; implicit-def: $sgpr10
	s_and_saveexec_b64 s[8:9], s[6:7]
	s_xor_b64 s[6:7], exec, s[8:9]
	s_cbranch_execnz .LBB43_2365
; %bb.317:
	s_or_saveexec_b64 s[6:7], s[6:7]
	v_mov_b32_e32 v14, s10
	s_xor_b64 exec, exec, s[6:7]
	s_cbranch_execnz .LBB43_2368
.LBB43_318:
	s_or_b64 exec, exec, s[6:7]
	s_and_saveexec_b64 s[6:7], s[4:5]
	s_cbranch_execz .LBB43_320
.LBB43_319:
	v_bfe_u32 v14, v11, 24, 3
	v_ffbh_u32_e32 v22, v14
	v_min_u32_e32 v22, 32, v22
	v_lshrrev_b32_e32 v20, 27, v11
	v_subrev_u32_e32 v23, 28, v22
	v_and_b32_e32 v15, 0x80000000, v11
	v_and_b32_e32 v20, 15, v20
	v_bfe_u32 v21, v11, 27, 4
	v_lshlrev_b32_sdwa v11, v23, v11 dst_sel:DWORD dst_unused:UNUSED_PAD src0_sel:DWORD src1_sel:BYTE_3
	v_sub_u32_e32 v22, 29, v22
	v_and_b32_e32 v11, 7, v11
	v_cmp_eq_u16_e32 vcc, 0, v20
	v_cndmask_b32_e32 v11, v14, v11, vcc
	v_cndmask_b32_e32 v14, v21, v22, vcc
	v_mov_b32_e32 v20, 0x3b800000
	v_lshlrev_b32_e32 v11, 20, v11
	v_lshl_add_u32 v14, v14, 23, v20
	v_or3_b32 v14, v15, v14, v11
.LBB43_320:
	s_or_b64 exec, exec, s[6:7]
	s_nop 0
	v_mfma_f32_16x16x4f32 a[0:3], v10, v14, a[0:3]
	s_movk_i32 s4, 0x7f
	v_cmp_gt_i16_sdwa s[6:7], v16, s4 src0_sel:BYTE_0 src1_sel:DWORD
	s_mov_b64 s[4:5], 0
                                        ; implicit-def: $sgpr10
	s_and_saveexec_b64 s[8:9], s[6:7]
	s_xor_b64 s[6:7], exec, s[8:9]
	s_cbranch_execnz .LBB43_2369
; %bb.321:
	s_or_saveexec_b64 s[6:7], s[6:7]
	v_mov_b32_e32 v10, s10
	s_xor_b64 exec, exec, s[6:7]
	s_cbranch_execnz .LBB43_2372
.LBB43_322:
	s_or_b64 exec, exec, s[6:7]
	s_and_saveexec_b64 s[6:7], s[4:5]
	s_cbranch_execz .LBB43_324
.LBB43_323:
	v_and_b32_e32 v10, 7, v16
	v_ffbh_u32_e32 v14, v10
	v_min_u32_e32 v14, 32, v14
	v_lshrrev_b16_e32 v11, 3, v16
	v_subrev_u32_e32 v15, 28, v14
	v_and_b32_e32 v11, 15, v11
	v_lshlrev_b32_e32 v15, v15, v16
	v_sub_u32_e32 v14, 29, v14
	v_and_b32_e32 v15, 7, v15
	v_cmp_eq_u16_e32 vcc, 0, v11
	v_cndmask_b32_e32 v10, v10, v15, vcc
	v_cndmask_b32_e32 v11, v11, v14, vcc
	v_lshlrev_b32_e32 v14, 24, v16
	v_mov_b32_e32 v15, 0x3b800000
	v_lshlrev_b32_e32 v10, 20, v10
	v_and_b32_e32 v14, 0x80000000, v14
	v_lshl_add_u32 v11, v11, 23, v15
	v_or3_b32 v10, v14, v11, v10
.LBB43_324:
	s_or_b64 exec, exec, s[6:7]
	s_movk_i32 s4, 0x7f
	v_cmp_gt_i16_sdwa s[6:7], v12, s4 src0_sel:BYTE_0 src1_sel:DWORD
	s_mov_b64 s[4:5], 0
                                        ; implicit-def: $sgpr10
	s_and_saveexec_b64 s[8:9], s[6:7]
	s_xor_b64 s[6:7], exec, s[8:9]
	s_cbranch_execnz .LBB43_2373
; %bb.325:
	s_or_saveexec_b64 s[6:7], s[6:7]
	v_mov_b32_e32 v11, s10
	s_xor_b64 exec, exec, s[6:7]
	s_cbranch_execnz .LBB43_2376
.LBB43_326:
	s_or_b64 exec, exec, s[6:7]
	s_and_saveexec_b64 s[6:7], s[4:5]
	s_cbranch_execz .LBB43_328
.LBB43_327:
	v_and_b32_e32 v11, 7, v12
	v_ffbh_u32_e32 v15, v11
	v_min_u32_e32 v15, 32, v15
	v_lshrrev_b16_e32 v14, 3, v12
	v_subrev_u32_e32 v20, 28, v15
	v_and_b32_e32 v14, 15, v14
	v_lshlrev_b32_e32 v20, v20, v12
	v_sub_u32_e32 v15, 29, v15
	v_and_b32_e32 v20, 7, v20
	v_cmp_eq_u16_e32 vcc, 0, v14
	v_cndmask_b32_e32 v11, v11, v20, vcc
	v_cndmask_b32_e32 v14, v14, v15, vcc
	v_lshlrev_b32_e32 v15, 24, v12
	v_mov_b32_e32 v20, 0x3b800000
	v_lshlrev_b32_e32 v11, 20, v11
	v_and_b32_e32 v15, 0x80000000, v15
	v_lshl_add_u32 v14, v14, 23, v20
	v_or3_b32 v11, v15, v14, v11
.LBB43_328:
	s_or_b64 exec, exec, s[6:7]
	s_nop 0
	v_mfma_f32_16x16x4f32 a[0:3], v10, v11, a[0:3]
	v_lshrrev_b32_e32 v11, 8, v16
	s_movk_i32 s4, 0x7f
	v_cmp_gt_i16_sdwa s[6:7], v11, s4 src0_sel:BYTE_0 src1_sel:DWORD
	s_mov_b64 s[4:5], 0
                                        ; implicit-def: $sgpr10
	s_and_saveexec_b64 s[8:9], s[6:7]
	s_xor_b64 s[6:7], exec, s[8:9]
	s_cbranch_execnz .LBB43_2377
; %bb.329:
	s_or_saveexec_b64 s[6:7], s[6:7]
	v_mov_b32_e32 v10, s10
	s_xor_b64 exec, exec, s[6:7]
	s_cbranch_execnz .LBB43_2380
.LBB43_330:
	s_or_b64 exec, exec, s[6:7]
	s_and_saveexec_b64 s[6:7], s[4:5]
	s_cbranch_execz .LBB43_332
.LBB43_331:
	v_bfe_u32 v10, v16, 8, 3
	v_ffbh_u32_e32 v15, v10
	v_min_u32_e32 v15, 32, v15
	v_lshrrev_b16_e32 v14, 3, v11
	v_subrev_u32_e32 v20, 28, v15
	v_and_b32_e32 v14, 15, v14
	v_lshlrev_b32_e32 v11, v20, v11
	v_sub_u32_e32 v15, 29, v15
	v_and_b32_e32 v11, 7, v11
	v_cmp_eq_u16_e32 vcc, 0, v14
	v_cndmask_b32_e32 v10, v10, v11, vcc
	v_cndmask_b32_e32 v11, v14, v15, vcc
	v_lshlrev_b32_e32 v14, 16, v16
	v_mov_b32_e32 v15, 0x3b800000
	v_lshlrev_b32_e32 v10, 20, v10
	v_and_b32_e32 v14, 0x80000000, v14
	v_lshl_add_u32 v11, v11, 23, v15
	v_or3_b32 v10, v14, v11, v10
.LBB43_332:
	s_or_b64 exec, exec, s[6:7]
	v_lshrrev_b32_e32 v11, 8, v12
	s_movk_i32 s4, 0x7f
	v_cmp_gt_i16_sdwa s[6:7], v11, s4 src0_sel:BYTE_0 src1_sel:DWORD
	s_mov_b64 s[4:5], 0
                                        ; implicit-def: $sgpr10
	s_and_saveexec_b64 s[8:9], s[6:7]
	s_xor_b64 s[6:7], exec, s[8:9]
	s_cbranch_execnz .LBB43_2381
; %bb.333:
	s_or_saveexec_b64 s[6:7], s[6:7]
	v_mov_b32_e32 v14, s10
	s_xor_b64 exec, exec, s[6:7]
	s_cbranch_execnz .LBB43_2384
.LBB43_334:
	s_or_b64 exec, exec, s[6:7]
	s_and_saveexec_b64 s[6:7], s[4:5]
	s_cbranch_execz .LBB43_336
.LBB43_335:
	v_bfe_u32 v14, v12, 8, 3
	v_ffbh_u32_e32 v20, v14
	v_min_u32_e32 v20, 32, v20
	v_lshrrev_b16_e32 v15, 3, v11
	v_subrev_u32_e32 v21, 28, v20
	v_and_b32_e32 v15, 15, v15
	v_lshlrev_b32_e32 v11, v21, v11
	v_sub_u32_e32 v20, 29, v20
	v_and_b32_e32 v11, 7, v11
	v_cmp_eq_u16_e32 vcc, 0, v15
	v_cndmask_b32_e32 v11, v14, v11, vcc
	v_cndmask_b32_e32 v14, v15, v20, vcc
	v_lshlrev_b32_e32 v15, 16, v12
	v_mov_b32_e32 v20, 0x3b800000
	v_lshlrev_b32_e32 v11, 20, v11
	v_and_b32_e32 v15, 0x80000000, v15
	v_lshl_add_u32 v14, v14, 23, v20
	v_or3_b32 v14, v15, v14, v11
.LBB43_336:
	s_or_b64 exec, exec, s[6:7]
	s_nop 0
	v_mfma_f32_16x16x4f32 a[0:3], v10, v14, a[0:3]
	s_movk_i32 s4, 0xff
	v_and_b32_sdwa v11, v16, s4 dst_sel:DWORD dst_unused:UNUSED_PAD src0_sel:WORD_1 src1_sel:DWORD
	s_movk_i32 s4, 0x7f
	v_cmp_lt_i16_e32 vcc, s4, v11
	s_mov_b64 s[4:5], 0
                                        ; implicit-def: $sgpr10
	s_and_saveexec_b64 s[6:7], vcc
	s_xor_b64 s[6:7], exec, s[6:7]
	s_cbranch_execnz .LBB43_2385
; %bb.337:
	s_or_saveexec_b64 s[6:7], s[6:7]
	v_mov_b32_e32 v10, s10
	s_xor_b64 exec, exec, s[6:7]
	s_cbranch_execnz .LBB43_2388
.LBB43_338:
	s_or_b64 exec, exec, s[6:7]
	s_and_saveexec_b64 s[6:7], s[4:5]
	s_cbranch_execz .LBB43_340
.LBB43_339:
	v_bfe_u32 v10, v16, 16, 3
	v_ffbh_u32_e32 v15, v10
	v_min_u32_e32 v15, 32, v15
	v_lshrrev_b32_e32 v11, 19, v16
	v_subrev_u32_e32 v20, 28, v15
	v_and_b32_e32 v11, 15, v11
	v_lshlrev_b32_sdwa v20, v20, v16 dst_sel:DWORD dst_unused:UNUSED_PAD src0_sel:DWORD src1_sel:WORD_1
	v_bfe_u32 v14, v16, 19, 4
	v_sub_u32_e32 v15, 29, v15
	v_and_b32_e32 v20, 7, v20
	v_cmp_eq_u16_e32 vcc, 0, v11
	v_cndmask_b32_e32 v10, v10, v20, vcc
	v_cndmask_b32_e32 v11, v14, v15, vcc
	v_lshlrev_b32_e32 v14, 8, v16
	v_mov_b32_e32 v15, 0x3b800000
	v_lshlrev_b32_e32 v10, 20, v10
	v_and_b32_e32 v14, 0x80000000, v14
	v_lshl_add_u32 v11, v11, 23, v15
	v_or3_b32 v10, v14, v11, v10
.LBB43_340:
	s_or_b64 exec, exec, s[6:7]
	s_movk_i32 s4, 0xff
	v_and_b32_sdwa v11, v12, s4 dst_sel:DWORD dst_unused:UNUSED_PAD src0_sel:WORD_1 src1_sel:DWORD
	s_movk_i32 s4, 0x7f
	v_cmp_lt_i16_e32 vcc, s4, v11
	s_mov_b64 s[4:5], 0
                                        ; implicit-def: $sgpr10
	s_and_saveexec_b64 s[6:7], vcc
	s_xor_b64 s[6:7], exec, s[6:7]
	s_cbranch_execnz .LBB43_2389
; %bb.341:
	s_or_saveexec_b64 s[6:7], s[6:7]
	v_mov_b32_e32 v14, s10
	s_xor_b64 exec, exec, s[6:7]
	s_cbranch_execnz .LBB43_2392
.LBB43_342:
	s_or_b64 exec, exec, s[6:7]
	s_and_saveexec_b64 s[6:7], s[4:5]
	s_cbranch_execz .LBB43_344
.LBB43_343:
	v_bfe_u32 v11, v12, 16, 3
	v_ffbh_u32_e32 v20, v11
	v_min_u32_e32 v20, 32, v20
	v_lshrrev_b32_e32 v14, 19, v12
	v_subrev_u32_e32 v21, 28, v20
	v_and_b32_e32 v14, 15, v14
	v_lshlrev_b32_sdwa v21, v21, v12 dst_sel:DWORD dst_unused:UNUSED_PAD src0_sel:DWORD src1_sel:WORD_1
	v_bfe_u32 v15, v12, 19, 4
	v_sub_u32_e32 v20, 29, v20
	v_and_b32_e32 v21, 7, v21
	v_cmp_eq_u16_e32 vcc, 0, v14
	v_cndmask_b32_e32 v11, v11, v21, vcc
	v_cndmask_b32_e32 v14, v15, v20, vcc
	v_lshlrev_b32_e32 v15, 8, v12
	v_mov_b32_e32 v20, 0x3b800000
	v_lshlrev_b32_e32 v11, 20, v11
	v_and_b32_e32 v15, 0x80000000, v15
	v_lshl_add_u32 v14, v14, 23, v20
	v_or3_b32 v14, v15, v14, v11
.LBB43_344:
	s_or_b64 exec, exec, s[6:7]
	s_nop 0
	v_mfma_f32_16x16x4f32 a[0:3], v10, v14, a[0:3]
	s_movk_i32 s4, 0x7f
	v_cmp_gt_i16_sdwa s[6:7], v16, s4 src0_sel:BYTE_3 src1_sel:DWORD
	s_mov_b64 s[4:5], 0
                                        ; implicit-def: $sgpr10
	s_and_saveexec_b64 s[8:9], s[6:7]
	s_xor_b64 s[6:7], exec, s[8:9]
	s_cbranch_execnz .LBB43_2393
; %bb.345:
	s_or_saveexec_b64 s[6:7], s[6:7]
	v_mov_b32_e32 v10, s10
	s_xor_b64 exec, exec, s[6:7]
	s_cbranch_execnz .LBB43_2396
.LBB43_346:
	s_or_b64 exec, exec, s[6:7]
	s_and_saveexec_b64 s[6:7], s[4:5]
	s_cbranch_execz .LBB43_348
.LBB43_347:
	v_bfe_u32 v10, v16, 24, 3
	v_ffbh_u32_e32 v20, v10
	v_min_u32_e32 v20, 32, v20
	v_lshrrev_b32_e32 v14, 27, v16
	v_subrev_u32_e32 v21, 28, v20
	v_and_b32_e32 v11, 0x80000000, v16
	v_and_b32_e32 v14, 15, v14
	v_bfe_u32 v15, v16, 27, 4
	v_lshlrev_b32_sdwa v16, v21, v16 dst_sel:DWORD dst_unused:UNUSED_PAD src0_sel:DWORD src1_sel:BYTE_3
	v_sub_u32_e32 v20, 29, v20
	v_and_b32_e32 v16, 7, v16
	v_cmp_eq_u16_e32 vcc, 0, v14
	v_cndmask_b32_e32 v10, v10, v16, vcc
	v_cndmask_b32_e32 v14, v15, v20, vcc
	v_mov_b32_e32 v15, 0x3b800000
	v_lshlrev_b32_e32 v10, 20, v10
	v_lshl_add_u32 v14, v14, 23, v15
	v_or3_b32 v10, v11, v14, v10
.LBB43_348:
	s_or_b64 exec, exec, s[6:7]
	s_movk_i32 s4, 0x7f
	v_cmp_gt_i16_sdwa s[6:7], v12, s4 src0_sel:BYTE_3 src1_sel:DWORD
	s_mov_b64 s[4:5], 0
                                        ; implicit-def: $sgpr10
	s_and_saveexec_b64 s[8:9], s[6:7]
	s_xor_b64 s[6:7], exec, s[8:9]
	s_cbranch_execnz .LBB43_2397
; %bb.349:
	s_or_saveexec_b64 s[6:7], s[6:7]
	v_mov_b32_e32 v11, s10
	s_xor_b64 exec, exec, s[6:7]
	s_cbranch_execnz .LBB43_2400
.LBB43_350:
	s_or_b64 exec, exec, s[6:7]
	s_and_saveexec_b64 s[6:7], s[4:5]
	s_cbranch_execz .LBB43_352
.LBB43_351:
	v_bfe_u32 v11, v12, 24, 3
	v_ffbh_u32_e32 v20, v11
	v_min_u32_e32 v20, 32, v20
	v_lshrrev_b32_e32 v15, 27, v12
	v_subrev_u32_e32 v21, 28, v20
	v_and_b32_e32 v14, 0x80000000, v12
	v_and_b32_e32 v15, 15, v15
	v_bfe_u32 v16, v12, 27, 4
	v_lshlrev_b32_sdwa v12, v21, v12 dst_sel:DWORD dst_unused:UNUSED_PAD src0_sel:DWORD src1_sel:BYTE_3
	v_sub_u32_e32 v20, 29, v20
	v_and_b32_e32 v12, 7, v12
	v_cmp_eq_u16_e32 vcc, 0, v15
	v_cndmask_b32_e32 v11, v11, v12, vcc
	v_cndmask_b32_e32 v12, v16, v20, vcc
	v_mov_b32_e32 v15, 0x3b800000
	v_lshlrev_b32_e32 v11, 20, v11
	v_lshl_add_u32 v12, v12, 23, v15
	v_or3_b32 v11, v14, v12, v11
.LBB43_352:
	s_or_b64 exec, exec, s[6:7]
	s_nop 0
	v_mfma_f32_16x16x4f32 a[0:3], v10, v11, a[0:3]
	s_movk_i32 s4, 0x7f
	v_cmp_gt_i16_sdwa s[6:7], v17, s4 src0_sel:BYTE_0 src1_sel:DWORD
	s_mov_b64 s[4:5], 0
                                        ; implicit-def: $sgpr10
	s_and_saveexec_b64 s[8:9], s[6:7]
	s_xor_b64 s[6:7], exec, s[8:9]
	s_cbranch_execnz .LBB43_2401
; %bb.353:
	s_or_saveexec_b64 s[6:7], s[6:7]
	v_mov_b32_e32 v10, s10
	s_xor_b64 exec, exec, s[6:7]
	s_cbranch_execnz .LBB43_2404
.LBB43_354:
	s_or_b64 exec, exec, s[6:7]
	s_and_saveexec_b64 s[6:7], s[4:5]
	s_cbranch_execz .LBB43_356
.LBB43_355:
	v_and_b32_e32 v10, 7, v17
	v_ffbh_u32_e32 v12, v10
	v_min_u32_e32 v12, 32, v12
	v_lshrrev_b16_e32 v11, 3, v17
	v_subrev_u32_e32 v14, 28, v12
	v_and_b32_e32 v11, 15, v11
	v_lshlrev_b32_e32 v14, v14, v17
	v_sub_u32_e32 v12, 29, v12
	v_and_b32_e32 v14, 7, v14
	v_cmp_eq_u16_e32 vcc, 0, v11
	v_cndmask_b32_e32 v10, v10, v14, vcc
	v_cndmask_b32_e32 v11, v11, v12, vcc
	v_lshlrev_b32_e32 v12, 24, v17
	v_mov_b32_e32 v14, 0x3b800000
	v_lshlrev_b32_e32 v10, 20, v10
	v_and_b32_e32 v12, 0x80000000, v12
	v_lshl_add_u32 v11, v11, 23, v14
	v_or3_b32 v10, v12, v11, v10
.LBB43_356:
	s_or_b64 exec, exec, s[6:7]
	s_movk_i32 s4, 0x7f
	v_cmp_gt_i16_sdwa s[6:7], v13, s4 src0_sel:BYTE_0 src1_sel:DWORD
	s_mov_b64 s[4:5], 0
                                        ; implicit-def: $sgpr10
	s_and_saveexec_b64 s[8:9], s[6:7]
	s_xor_b64 s[6:7], exec, s[8:9]
	s_cbranch_execnz .LBB43_2405
; %bb.357:
	s_or_saveexec_b64 s[6:7], s[6:7]
	v_mov_b32_e32 v11, s10
	s_xor_b64 exec, exec, s[6:7]
	s_cbranch_execnz .LBB43_2408
.LBB43_358:
	s_or_b64 exec, exec, s[6:7]
	s_and_saveexec_b64 s[6:7], s[4:5]
	s_cbranch_execz .LBB43_360
.LBB43_359:
	v_and_b32_e32 v11, 7, v13
	v_ffbh_u32_e32 v14, v11
	v_min_u32_e32 v14, 32, v14
	v_lshrrev_b16_e32 v12, 3, v13
	v_subrev_u32_e32 v15, 28, v14
	v_and_b32_e32 v12, 15, v12
	v_lshlrev_b32_e32 v15, v15, v13
	v_sub_u32_e32 v14, 29, v14
	v_and_b32_e32 v15, 7, v15
	v_cmp_eq_u16_e32 vcc, 0, v12
	v_cndmask_b32_e32 v11, v11, v15, vcc
	v_cndmask_b32_e32 v12, v12, v14, vcc
	v_lshlrev_b32_e32 v14, 24, v13
	v_mov_b32_e32 v15, 0x3b800000
	v_lshlrev_b32_e32 v11, 20, v11
	v_and_b32_e32 v14, 0x80000000, v14
	v_lshl_add_u32 v12, v12, 23, v15
	v_or3_b32 v11, v14, v12, v11
.LBB43_360:
	s_or_b64 exec, exec, s[6:7]
	s_nop 0
	v_mfma_f32_16x16x4f32 a[0:3], v10, v11, a[0:3]
	v_lshrrev_b32_e32 v11, 8, v17
	s_movk_i32 s4, 0x7f
	v_cmp_gt_i16_sdwa s[6:7], v11, s4 src0_sel:BYTE_0 src1_sel:DWORD
	s_mov_b64 s[4:5], 0
                                        ; implicit-def: $sgpr10
	s_and_saveexec_b64 s[8:9], s[6:7]
	s_xor_b64 s[6:7], exec, s[8:9]
	s_cbranch_execnz .LBB43_2409
; %bb.361:
	s_or_saveexec_b64 s[6:7], s[6:7]
	v_mov_b32_e32 v10, s10
	s_xor_b64 exec, exec, s[6:7]
	s_cbranch_execnz .LBB43_2412
.LBB43_362:
	s_or_b64 exec, exec, s[6:7]
	s_and_saveexec_b64 s[6:7], s[4:5]
	s_cbranch_execz .LBB43_364
.LBB43_363:
	v_bfe_u32 v10, v17, 8, 3
	v_ffbh_u32_e32 v14, v10
	v_min_u32_e32 v14, 32, v14
	v_lshrrev_b16_e32 v12, 3, v11
	v_subrev_u32_e32 v15, 28, v14
	v_and_b32_e32 v12, 15, v12
	v_lshlrev_b32_e32 v11, v15, v11
	v_sub_u32_e32 v14, 29, v14
	v_and_b32_e32 v11, 7, v11
	v_cmp_eq_u16_e32 vcc, 0, v12
	v_cndmask_b32_e32 v10, v10, v11, vcc
	v_cndmask_b32_e32 v11, v12, v14, vcc
	v_lshlrev_b32_e32 v12, 16, v17
	v_mov_b32_e32 v14, 0x3b800000
	v_lshlrev_b32_e32 v10, 20, v10
	v_and_b32_e32 v12, 0x80000000, v12
	v_lshl_add_u32 v11, v11, 23, v14
	v_or3_b32 v10, v12, v11, v10
.LBB43_364:
	s_or_b64 exec, exec, s[6:7]
	v_lshrrev_b32_e32 v11, 8, v13
	s_movk_i32 s4, 0x7f
	v_cmp_gt_i16_sdwa s[6:7], v11, s4 src0_sel:BYTE_0 src1_sel:DWORD
	s_mov_b64 s[4:5], 0
                                        ; implicit-def: $sgpr10
	s_and_saveexec_b64 s[8:9], s[6:7]
	s_xor_b64 s[6:7], exec, s[8:9]
	s_cbranch_execnz .LBB43_2413
; %bb.365:
	s_or_saveexec_b64 s[6:7], s[6:7]
	v_mov_b32_e32 v12, s10
	s_xor_b64 exec, exec, s[6:7]
	s_cbranch_execnz .LBB43_2416
.LBB43_366:
	s_or_b64 exec, exec, s[6:7]
	s_and_saveexec_b64 s[6:7], s[4:5]
	s_cbranch_execz .LBB43_368
.LBB43_367:
	v_bfe_u32 v12, v13, 8, 3
	v_ffbh_u32_e32 v15, v12
	v_min_u32_e32 v15, 32, v15
	v_lshrrev_b16_e32 v14, 3, v11
	v_subrev_u32_e32 v16, 28, v15
	v_and_b32_e32 v14, 15, v14
	v_lshlrev_b32_e32 v11, v16, v11
	v_sub_u32_e32 v15, 29, v15
	v_and_b32_e32 v11, 7, v11
	v_cmp_eq_u16_e32 vcc, 0, v14
	v_cndmask_b32_e32 v11, v12, v11, vcc
	v_cndmask_b32_e32 v12, v14, v15, vcc
	v_lshlrev_b32_e32 v14, 16, v13
	v_mov_b32_e32 v15, 0x3b800000
	v_lshlrev_b32_e32 v11, 20, v11
	v_and_b32_e32 v14, 0x80000000, v14
	v_lshl_add_u32 v12, v12, 23, v15
	v_or3_b32 v12, v14, v12, v11
.LBB43_368:
	s_or_b64 exec, exec, s[6:7]
	s_nop 0
	v_mfma_f32_16x16x4f32 a[0:3], v10, v12, a[0:3]
	s_movk_i32 s4, 0xff
	v_and_b32_sdwa v11, v17, s4 dst_sel:DWORD dst_unused:UNUSED_PAD src0_sel:WORD_1 src1_sel:DWORD
	s_movk_i32 s4, 0x7f
	v_cmp_lt_i16_e32 vcc, s4, v11
	s_mov_b64 s[4:5], 0
                                        ; implicit-def: $sgpr10
	s_and_saveexec_b64 s[6:7], vcc
	s_xor_b64 s[6:7], exec, s[6:7]
	s_cbranch_execnz .LBB43_2417
; %bb.369:
	s_or_saveexec_b64 s[6:7], s[6:7]
	v_mov_b32_e32 v10, s10
	s_xor_b64 exec, exec, s[6:7]
	s_cbranch_execnz .LBB43_2420
.LBB43_370:
	s_or_b64 exec, exec, s[6:7]
	s_and_saveexec_b64 s[6:7], s[4:5]
	s_cbranch_execz .LBB43_372
.LBB43_371:
	v_bfe_u32 v10, v17, 16, 3
	v_ffbh_u32_e32 v14, v10
	v_min_u32_e32 v14, 32, v14
	v_lshrrev_b32_e32 v11, 19, v17
	v_subrev_u32_e32 v15, 28, v14
	v_and_b32_e32 v11, 15, v11
	v_lshlrev_b32_sdwa v15, v15, v17 dst_sel:DWORD dst_unused:UNUSED_PAD src0_sel:DWORD src1_sel:WORD_1
	v_bfe_u32 v12, v17, 19, 4
	v_sub_u32_e32 v14, 29, v14
	v_and_b32_e32 v15, 7, v15
	v_cmp_eq_u16_e32 vcc, 0, v11
	v_cndmask_b32_e32 v10, v10, v15, vcc
	v_cndmask_b32_e32 v11, v12, v14, vcc
	v_lshlrev_b32_e32 v12, 8, v17
	v_mov_b32_e32 v14, 0x3b800000
	v_lshlrev_b32_e32 v10, 20, v10
	v_and_b32_e32 v12, 0x80000000, v12
	v_lshl_add_u32 v11, v11, 23, v14
	v_or3_b32 v10, v12, v11, v10
.LBB43_372:
	s_or_b64 exec, exec, s[6:7]
	s_movk_i32 s4, 0xff
	v_and_b32_sdwa v11, v13, s4 dst_sel:DWORD dst_unused:UNUSED_PAD src0_sel:WORD_1 src1_sel:DWORD
	s_movk_i32 s4, 0x7f
	v_cmp_lt_i16_e32 vcc, s4, v11
	s_mov_b64 s[4:5], 0
                                        ; implicit-def: $sgpr10
	s_and_saveexec_b64 s[6:7], vcc
	s_xor_b64 s[6:7], exec, s[6:7]
	s_cbranch_execnz .LBB43_2421
; %bb.373:
	s_or_saveexec_b64 s[6:7], s[6:7]
	v_mov_b32_e32 v12, s10
	s_xor_b64 exec, exec, s[6:7]
	s_cbranch_execnz .LBB43_2424
.LBB43_374:
	s_or_b64 exec, exec, s[6:7]
	s_and_saveexec_b64 s[6:7], s[4:5]
	s_cbranch_execz .LBB43_376
.LBB43_375:
	v_bfe_u32 v11, v13, 16, 3
	v_ffbh_u32_e32 v15, v11
	v_min_u32_e32 v15, 32, v15
	v_lshrrev_b32_e32 v12, 19, v13
	v_subrev_u32_e32 v16, 28, v15
	v_and_b32_e32 v12, 15, v12
	v_lshlrev_b32_sdwa v16, v16, v13 dst_sel:DWORD dst_unused:UNUSED_PAD src0_sel:DWORD src1_sel:WORD_1
	v_bfe_u32 v14, v13, 19, 4
	v_sub_u32_e32 v15, 29, v15
	v_and_b32_e32 v16, 7, v16
	v_cmp_eq_u16_e32 vcc, 0, v12
	v_cndmask_b32_e32 v11, v11, v16, vcc
	v_cndmask_b32_e32 v12, v14, v15, vcc
	v_lshlrev_b32_e32 v14, 8, v13
	v_mov_b32_e32 v15, 0x3b800000
	v_lshlrev_b32_e32 v11, 20, v11
	v_and_b32_e32 v14, 0x80000000, v14
	v_lshl_add_u32 v12, v12, 23, v15
	v_or3_b32 v12, v14, v12, v11
.LBB43_376:
	s_or_b64 exec, exec, s[6:7]
	s_nop 0
	v_mfma_f32_16x16x4f32 a[0:3], v10, v12, a[0:3]
	s_movk_i32 s4, 0x7f
	v_cmp_gt_i16_sdwa s[6:7], v17, s4 src0_sel:BYTE_3 src1_sel:DWORD
	s_mov_b64 s[4:5], 0
                                        ; implicit-def: $sgpr10
	s_and_saveexec_b64 s[8:9], s[6:7]
	s_xor_b64 s[6:7], exec, s[8:9]
	s_cbranch_execnz .LBB43_2425
; %bb.377:
	s_or_saveexec_b64 s[6:7], s[6:7]
	v_mov_b32_e32 v10, s10
	s_xor_b64 exec, exec, s[6:7]
	s_cbranch_execnz .LBB43_2428
.LBB43_378:
	s_or_b64 exec, exec, s[6:7]
	s_and_saveexec_b64 s[6:7], s[4:5]
	s_cbranch_execz .LBB43_380
.LBB43_379:
	v_bfe_u32 v10, v17, 24, 3
	v_ffbh_u32_e32 v15, v10
	v_min_u32_e32 v15, 32, v15
	v_lshrrev_b32_e32 v12, 27, v17
	v_subrev_u32_e32 v16, 28, v15
	v_and_b32_e32 v12, 15, v12
	v_lshlrev_b32_sdwa v16, v16, v17 dst_sel:DWORD dst_unused:UNUSED_PAD src0_sel:DWORD src1_sel:BYTE_3
	v_bfe_u32 v14, v17, 27, 4
	v_sub_u32_e32 v15, 29, v15
	v_and_b32_e32 v16, 7, v16
	v_cmp_eq_u16_e32 vcc, 0, v12
	v_cndmask_b32_e32 v10, v10, v16, vcc
	v_cndmask_b32_e32 v12, v14, v15, vcc
	v_mov_b32_e32 v14, 0x3b800000
	v_and_b32_e32 v11, 0x80000000, v17
	v_lshlrev_b32_e32 v10, 20, v10
	v_lshl_add_u32 v12, v12, 23, v14
	v_or3_b32 v10, v11, v12, v10
.LBB43_380:
	s_or_b64 exec, exec, s[6:7]
	s_movk_i32 s4, 0x7f
	v_cmp_gt_i16_sdwa s[6:7], v13, s4 src0_sel:BYTE_3 src1_sel:DWORD
	s_mov_b64 s[4:5], 0
                                        ; implicit-def: $sgpr10
	s_and_saveexec_b64 s[8:9], s[6:7]
	s_xor_b64 s[6:7], exec, s[8:9]
	s_cbranch_execnz .LBB43_2429
; %bb.381:
	s_or_saveexec_b64 s[6:7], s[6:7]
	v_mov_b32_e32 v11, s10
	s_xor_b64 exec, exec, s[6:7]
	s_cbranch_execnz .LBB43_2432
.LBB43_382:
	s_or_b64 exec, exec, s[6:7]
	s_and_saveexec_b64 s[6:7], s[4:5]
	s_cbranch_execz .LBB43_384
.LBB43_383:
	v_bfe_u32 v11, v13, 24, 3
	v_ffbh_u32_e32 v16, v11
	v_min_u32_e32 v16, 32, v16
	v_lshrrev_b32_e32 v14, 27, v13
	v_subrev_u32_e32 v17, 28, v16
	v_and_b32_e32 v12, 0x80000000, v13
	v_and_b32_e32 v14, 15, v14
	v_bfe_u32 v15, v13, 27, 4
	v_lshlrev_b32_sdwa v13, v17, v13 dst_sel:DWORD dst_unused:UNUSED_PAD src0_sel:DWORD src1_sel:BYTE_3
	v_sub_u32_e32 v16, 29, v16
	v_and_b32_e32 v13, 7, v13
	v_cmp_eq_u16_e32 vcc, 0, v14
	v_cndmask_b32_e32 v11, v11, v13, vcc
	v_cndmask_b32_e32 v13, v15, v16, vcc
	v_mov_b32_e32 v14, 0x3b800000
	v_lshlrev_b32_e32 v11, 20, v11
	v_lshl_add_u32 v13, v13, 23, v14
	v_or3_b32 v11, v12, v13, v11
.LBB43_384:
	s_or_b64 exec, exec, s[6:7]
	s_nop 0
	v_mfma_f32_16x16x4f32 a[0:3], v10, v11, a[0:3]
	s_movk_i32 s4, 0x7f
	v_cmp_gt_i16_sdwa s[6:7], v6, s4 src0_sel:BYTE_0 src1_sel:DWORD
	s_mov_b64 s[4:5], 0
                                        ; implicit-def: $sgpr10
	s_and_saveexec_b64 s[8:9], s[6:7]
	s_xor_b64 s[6:7], exec, s[8:9]
	s_cbranch_execnz .LBB43_2433
; %bb.385:
	s_or_saveexec_b64 s[6:7], s[6:7]
	v_mov_b32_e32 v10, s10
	s_xor_b64 exec, exec, s[6:7]
	s_cbranch_execnz .LBB43_2436
.LBB43_386:
	s_or_b64 exec, exec, s[6:7]
	s_and_saveexec_b64 s[6:7], s[4:5]
	s_cbranch_execz .LBB43_388
.LBB43_387:
	v_and_b32_e32 v10, 7, v6
	v_ffbh_u32_e32 v12, v10
	v_min_u32_e32 v12, 32, v12
	v_lshrrev_b16_e32 v11, 3, v6
	v_subrev_u32_e32 v13, 28, v12
	v_and_b32_e32 v11, 15, v11
	v_lshlrev_b32_e32 v13, v13, v6
	v_sub_u32_e32 v12, 29, v12
	v_and_b32_e32 v13, 7, v13
	v_cmp_eq_u16_e32 vcc, 0, v11
	v_cndmask_b32_e32 v10, v10, v13, vcc
	v_cndmask_b32_e32 v11, v11, v12, vcc
	v_lshlrev_b32_e32 v12, 24, v6
	v_mov_b32_e32 v13, 0x3b800000
	v_lshlrev_b32_e32 v10, 20, v10
	v_and_b32_e32 v12, 0x80000000, v12
	v_lshl_add_u32 v11, v11, 23, v13
	v_or3_b32 v10, v12, v11, v10
.LBB43_388:
	s_or_b64 exec, exec, s[6:7]
	s_movk_i32 s4, 0x7f
	v_cmp_gt_i16_sdwa s[6:7], v2, s4 src0_sel:BYTE_0 src1_sel:DWORD
	s_mov_b64 s[4:5], 0
                                        ; implicit-def: $sgpr10
	s_and_saveexec_b64 s[8:9], s[6:7]
	s_xor_b64 s[6:7], exec, s[8:9]
	s_cbranch_execnz .LBB43_2437
; %bb.389:
	s_or_saveexec_b64 s[6:7], s[6:7]
	v_mov_b32_e32 v11, s10
	s_xor_b64 exec, exec, s[6:7]
	s_cbranch_execnz .LBB43_2440
.LBB43_390:
	s_or_b64 exec, exec, s[6:7]
	s_and_saveexec_b64 s[6:7], s[4:5]
	s_cbranch_execz .LBB43_392
.LBB43_391:
	v_and_b32_e32 v11, 7, v2
	v_ffbh_u32_e32 v13, v11
	v_min_u32_e32 v13, 32, v13
	v_lshrrev_b16_e32 v12, 3, v2
	v_subrev_u32_e32 v14, 28, v13
	v_and_b32_e32 v12, 15, v12
	v_lshlrev_b32_e32 v14, v14, v2
	v_sub_u32_e32 v13, 29, v13
	v_and_b32_e32 v14, 7, v14
	v_cmp_eq_u16_e32 vcc, 0, v12
	v_cndmask_b32_e32 v11, v11, v14, vcc
	v_cndmask_b32_e32 v12, v12, v13, vcc
	v_lshlrev_b32_e32 v13, 24, v2
	v_mov_b32_e32 v14, 0x3b800000
	v_lshlrev_b32_e32 v11, 20, v11
	v_and_b32_e32 v13, 0x80000000, v13
	v_lshl_add_u32 v12, v12, 23, v14
	v_or3_b32 v11, v13, v12, v11
.LBB43_392:
	s_or_b64 exec, exec, s[6:7]
	s_nop 0
	v_mfma_f32_16x16x4f32 a[0:3], v10, v11, a[0:3]
	v_lshrrev_b32_e32 v11, 8, v6
	s_movk_i32 s4, 0x7f
	v_cmp_gt_i16_sdwa s[6:7], v11, s4 src0_sel:BYTE_0 src1_sel:DWORD
	s_mov_b64 s[4:5], 0
                                        ; implicit-def: $sgpr10
	s_and_saveexec_b64 s[8:9], s[6:7]
	s_xor_b64 s[6:7], exec, s[8:9]
	s_cbranch_execnz .LBB43_2441
; %bb.393:
	s_or_saveexec_b64 s[6:7], s[6:7]
	v_mov_b32_e32 v10, s10
	s_xor_b64 exec, exec, s[6:7]
	s_cbranch_execnz .LBB43_2444
.LBB43_394:
	s_or_b64 exec, exec, s[6:7]
	s_and_saveexec_b64 s[6:7], s[4:5]
	s_cbranch_execz .LBB43_396
.LBB43_395:
	v_bfe_u32 v10, v6, 8, 3
	v_ffbh_u32_e32 v13, v10
	v_min_u32_e32 v13, 32, v13
	v_lshrrev_b16_e32 v12, 3, v11
	v_subrev_u32_e32 v14, 28, v13
	v_and_b32_e32 v12, 15, v12
	v_lshlrev_b32_e32 v11, v14, v11
	v_sub_u32_e32 v13, 29, v13
	v_and_b32_e32 v11, 7, v11
	v_cmp_eq_u16_e32 vcc, 0, v12
	v_cndmask_b32_e32 v10, v10, v11, vcc
	v_cndmask_b32_e32 v11, v12, v13, vcc
	v_lshlrev_b32_e32 v12, 16, v6
	v_mov_b32_e32 v13, 0x3b800000
	v_lshlrev_b32_e32 v10, 20, v10
	v_and_b32_e32 v12, 0x80000000, v12
	v_lshl_add_u32 v11, v11, 23, v13
	v_or3_b32 v10, v12, v11, v10
.LBB43_396:
	s_or_b64 exec, exec, s[6:7]
	v_lshrrev_b32_e32 v11, 8, v2
	s_movk_i32 s4, 0x7f
	v_cmp_gt_i16_sdwa s[6:7], v11, s4 src0_sel:BYTE_0 src1_sel:DWORD
	s_mov_b64 s[4:5], 0
                                        ; implicit-def: $sgpr10
	s_and_saveexec_b64 s[8:9], s[6:7]
	s_xor_b64 s[6:7], exec, s[8:9]
	s_cbranch_execnz .LBB43_2445
; %bb.397:
	s_or_saveexec_b64 s[6:7], s[6:7]
	v_mov_b32_e32 v12, s10
	s_xor_b64 exec, exec, s[6:7]
	s_cbranch_execnz .LBB43_2448
.LBB43_398:
	s_or_b64 exec, exec, s[6:7]
	s_and_saveexec_b64 s[6:7], s[4:5]
	s_cbranch_execz .LBB43_400
.LBB43_399:
	v_bfe_u32 v12, v2, 8, 3
	v_ffbh_u32_e32 v14, v12
	v_min_u32_e32 v14, 32, v14
	v_lshrrev_b16_e32 v13, 3, v11
	v_subrev_u32_e32 v15, 28, v14
	v_and_b32_e32 v13, 15, v13
	v_lshlrev_b32_e32 v11, v15, v11
	v_sub_u32_e32 v14, 29, v14
	v_and_b32_e32 v11, 7, v11
	v_cmp_eq_u16_e32 vcc, 0, v13
	v_cndmask_b32_e32 v11, v12, v11, vcc
	v_cndmask_b32_e32 v12, v13, v14, vcc
	v_lshlrev_b32_e32 v13, 16, v2
	v_mov_b32_e32 v14, 0x3b800000
	v_lshlrev_b32_e32 v11, 20, v11
	v_and_b32_e32 v13, 0x80000000, v13
	v_lshl_add_u32 v12, v12, 23, v14
	v_or3_b32 v12, v13, v12, v11
.LBB43_400:
	s_or_b64 exec, exec, s[6:7]
	s_nop 0
	v_mfma_f32_16x16x4f32 a[0:3], v10, v12, a[0:3]
	s_movk_i32 s4, 0xff
	v_and_b32_sdwa v11, v6, s4 dst_sel:DWORD dst_unused:UNUSED_PAD src0_sel:WORD_1 src1_sel:DWORD
	s_movk_i32 s4, 0x7f
	v_cmp_lt_i16_e32 vcc, s4, v11
	s_mov_b64 s[4:5], 0
                                        ; implicit-def: $sgpr10
	s_and_saveexec_b64 s[6:7], vcc
	s_xor_b64 s[6:7], exec, s[6:7]
	s_cbranch_execnz .LBB43_2449
; %bb.401:
	s_or_saveexec_b64 s[6:7], s[6:7]
	v_mov_b32_e32 v10, s10
	s_xor_b64 exec, exec, s[6:7]
	s_cbranch_execnz .LBB43_2452
.LBB43_402:
	s_or_b64 exec, exec, s[6:7]
	s_and_saveexec_b64 s[6:7], s[4:5]
	s_cbranch_execz .LBB43_404
.LBB43_403:
	v_bfe_u32 v10, v6, 16, 3
	v_ffbh_u32_e32 v13, v10
	v_min_u32_e32 v13, 32, v13
	v_lshrrev_b32_e32 v11, 19, v6
	v_subrev_u32_e32 v14, 28, v13
	v_and_b32_e32 v11, 15, v11
	v_lshlrev_b32_sdwa v14, v14, v6 dst_sel:DWORD dst_unused:UNUSED_PAD src0_sel:DWORD src1_sel:WORD_1
	v_bfe_u32 v12, v6, 19, 4
	v_sub_u32_e32 v13, 29, v13
	v_and_b32_e32 v14, 7, v14
	v_cmp_eq_u16_e32 vcc, 0, v11
	v_cndmask_b32_e32 v10, v10, v14, vcc
	v_cndmask_b32_e32 v11, v12, v13, vcc
	v_lshlrev_b32_e32 v12, 8, v6
	v_mov_b32_e32 v13, 0x3b800000
	v_lshlrev_b32_e32 v10, 20, v10
	v_and_b32_e32 v12, 0x80000000, v12
	v_lshl_add_u32 v11, v11, 23, v13
	v_or3_b32 v10, v12, v11, v10
.LBB43_404:
	s_or_b64 exec, exec, s[6:7]
	s_movk_i32 s4, 0xff
	v_and_b32_sdwa v11, v2, s4 dst_sel:DWORD dst_unused:UNUSED_PAD src0_sel:WORD_1 src1_sel:DWORD
	s_movk_i32 s4, 0x7f
	v_cmp_lt_i16_e32 vcc, s4, v11
	s_mov_b64 s[4:5], 0
                                        ; implicit-def: $sgpr10
	s_and_saveexec_b64 s[6:7], vcc
	s_xor_b64 s[6:7], exec, s[6:7]
	s_cbranch_execnz .LBB43_2453
; %bb.405:
	s_or_saveexec_b64 s[6:7], s[6:7]
	v_mov_b32_e32 v12, s10
	s_xor_b64 exec, exec, s[6:7]
	s_cbranch_execnz .LBB43_2456
.LBB43_406:
	s_or_b64 exec, exec, s[6:7]
	s_and_saveexec_b64 s[6:7], s[4:5]
	s_cbranch_execz .LBB43_408
.LBB43_407:
	v_bfe_u32 v11, v2, 16, 3
	v_ffbh_u32_e32 v14, v11
	v_min_u32_e32 v14, 32, v14
	v_lshrrev_b32_e32 v12, 19, v2
	v_subrev_u32_e32 v15, 28, v14
	v_and_b32_e32 v12, 15, v12
	v_lshlrev_b32_sdwa v15, v15, v2 dst_sel:DWORD dst_unused:UNUSED_PAD src0_sel:DWORD src1_sel:WORD_1
	v_bfe_u32 v13, v2, 19, 4
	v_sub_u32_e32 v14, 29, v14
	v_and_b32_e32 v15, 7, v15
	v_cmp_eq_u16_e32 vcc, 0, v12
	v_cndmask_b32_e32 v11, v11, v15, vcc
	v_cndmask_b32_e32 v12, v13, v14, vcc
	v_lshlrev_b32_e32 v13, 8, v2
	v_mov_b32_e32 v14, 0x3b800000
	v_lshlrev_b32_e32 v11, 20, v11
	v_and_b32_e32 v13, 0x80000000, v13
	v_lshl_add_u32 v12, v12, 23, v14
	v_or3_b32 v12, v13, v12, v11
.LBB43_408:
	s_or_b64 exec, exec, s[6:7]
	s_nop 0
	v_mfma_f32_16x16x4f32 a[0:3], v10, v12, a[0:3]
	s_movk_i32 s4, 0x7f
	v_cmp_gt_i16_sdwa s[6:7], v6, s4 src0_sel:BYTE_3 src1_sel:DWORD
	s_mov_b64 s[4:5], 0
                                        ; implicit-def: $sgpr10
	s_and_saveexec_b64 s[8:9], s[6:7]
	s_xor_b64 s[6:7], exec, s[8:9]
	s_cbranch_execnz .LBB43_2457
; %bb.409:
	s_or_saveexec_b64 s[6:7], s[6:7]
	v_mov_b32_e32 v10, s10
	s_xor_b64 exec, exec, s[6:7]
	s_cbranch_execnz .LBB43_2460
.LBB43_410:
	s_or_b64 exec, exec, s[6:7]
	s_and_saveexec_b64 s[6:7], s[4:5]
	s_cbranch_execz .LBB43_412
.LBB43_411:
	v_bfe_u32 v10, v6, 24, 3
	v_ffbh_u32_e32 v14, v10
	v_min_u32_e32 v14, 32, v14
	v_lshrrev_b32_e32 v12, 27, v6
	v_subrev_u32_e32 v15, 28, v14
	v_and_b32_e32 v11, 0x80000000, v6
	v_and_b32_e32 v12, 15, v12
	v_bfe_u32 v13, v6, 27, 4
	v_lshlrev_b32_sdwa v6, v15, v6 dst_sel:DWORD dst_unused:UNUSED_PAD src0_sel:DWORD src1_sel:BYTE_3
	v_sub_u32_e32 v14, 29, v14
	v_and_b32_e32 v6, 7, v6
	v_cmp_eq_u16_e32 vcc, 0, v12
	v_cndmask_b32_e32 v6, v10, v6, vcc
	v_cndmask_b32_e32 v10, v13, v14, vcc
	v_mov_b32_e32 v12, 0x3b800000
	v_lshlrev_b32_e32 v6, 20, v6
	v_lshl_add_u32 v10, v10, 23, v12
	v_or3_b32 v10, v11, v10, v6
.LBB43_412:
	s_or_b64 exec, exec, s[6:7]
	s_movk_i32 s4, 0x7f
	v_cmp_gt_i16_sdwa s[6:7], v2, s4 src0_sel:BYTE_3 src1_sel:DWORD
	s_mov_b64 s[4:5], 0
                                        ; implicit-def: $sgpr10
	s_and_saveexec_b64 s[8:9], s[6:7]
	s_xor_b64 s[6:7], exec, s[8:9]
	s_cbranch_execnz .LBB43_2461
; %bb.413:
	s_or_saveexec_b64 s[6:7], s[6:7]
	v_mov_b32_e32 v6, s10
	s_xor_b64 exec, exec, s[6:7]
	s_cbranch_execnz .LBB43_2464
.LBB43_414:
	s_or_b64 exec, exec, s[6:7]
	s_and_saveexec_b64 s[6:7], s[4:5]
	s_cbranch_execz .LBB43_416
.LBB43_415:
	v_bfe_u32 v6, v2, 24, 3
	v_ffbh_u32_e32 v14, v6
	v_min_u32_e32 v14, 32, v14
	v_lshrrev_b32_e32 v12, 27, v2
	v_subrev_u32_e32 v15, 28, v14
	v_and_b32_e32 v11, 0x80000000, v2
	v_and_b32_e32 v12, 15, v12
	v_bfe_u32 v13, v2, 27, 4
	v_lshlrev_b32_sdwa v2, v15, v2 dst_sel:DWORD dst_unused:UNUSED_PAD src0_sel:DWORD src1_sel:BYTE_3
	v_sub_u32_e32 v14, 29, v14
	v_and_b32_e32 v2, 7, v2
	v_cmp_eq_u16_e32 vcc, 0, v12
	v_cndmask_b32_e32 v2, v6, v2, vcc
	v_cndmask_b32_e32 v6, v13, v14, vcc
	v_mov_b32_e32 v12, 0x3b800000
	v_lshlrev_b32_e32 v2, 20, v2
	v_lshl_add_u32 v6, v6, 23, v12
	v_or3_b32 v6, v11, v6, v2
.LBB43_416:
	s_or_b64 exec, exec, s[6:7]
	s_nop 0
	v_mfma_f32_16x16x4f32 a[0:3], v10, v6, a[0:3]
	s_movk_i32 s4, 0x7f
	v_cmp_gt_i16_sdwa s[6:7], v7, s4 src0_sel:BYTE_0 src1_sel:DWORD
	s_mov_b64 s[4:5], 0
                                        ; implicit-def: $sgpr10
	s_and_saveexec_b64 s[8:9], s[6:7]
	s_xor_b64 s[6:7], exec, s[8:9]
	s_cbranch_execnz .LBB43_2465
; %bb.417:
	s_or_saveexec_b64 s[6:7], s[6:7]
	v_mov_b32_e32 v2, s10
	s_xor_b64 exec, exec, s[6:7]
	s_cbranch_execnz .LBB43_2468
.LBB43_418:
	s_or_b64 exec, exec, s[6:7]
	s_and_saveexec_b64 s[6:7], s[4:5]
	s_cbranch_execz .LBB43_420
.LBB43_419:
	v_and_b32_e32 v2, 7, v7
	v_ffbh_u32_e32 v10, v2
	v_min_u32_e32 v10, 32, v10
	v_lshrrev_b16_e32 v6, 3, v7
	v_subrev_u32_e32 v11, 28, v10
	v_and_b32_e32 v6, 15, v6
	v_lshlrev_b32_e32 v11, v11, v7
	v_sub_u32_e32 v10, 29, v10
	v_and_b32_e32 v11, 7, v11
	v_cmp_eq_u16_e32 vcc, 0, v6
	v_cndmask_b32_e32 v2, v2, v11, vcc
	v_cndmask_b32_e32 v6, v6, v10, vcc
	v_lshlrev_b32_e32 v10, 24, v7
	v_mov_b32_e32 v11, 0x3b800000
	v_lshlrev_b32_e32 v2, 20, v2
	v_and_b32_e32 v10, 0x80000000, v10
	v_lshl_add_u32 v6, v6, 23, v11
	v_or3_b32 v2, v10, v6, v2
.LBB43_420:
	s_or_b64 exec, exec, s[6:7]
	s_movk_i32 s4, 0x7f
	v_cmp_gt_i16_sdwa s[6:7], v3, s4 src0_sel:BYTE_0 src1_sel:DWORD
	s_mov_b64 s[4:5], 0
                                        ; implicit-def: $sgpr10
	s_and_saveexec_b64 s[8:9], s[6:7]
	s_xor_b64 s[6:7], exec, s[8:9]
	s_cbranch_execnz .LBB43_2469
; %bb.421:
	s_or_saveexec_b64 s[6:7], s[6:7]
	v_mov_b32_e32 v6, s10
	s_xor_b64 exec, exec, s[6:7]
	s_cbranch_execnz .LBB43_2472
.LBB43_422:
	s_or_b64 exec, exec, s[6:7]
	s_and_saveexec_b64 s[6:7], s[4:5]
	s_cbranch_execz .LBB43_424
.LBB43_423:
	v_and_b32_e32 v6, 7, v3
	v_ffbh_u32_e32 v11, v6
	v_min_u32_e32 v11, 32, v11
	v_lshrrev_b16_e32 v10, 3, v3
	v_subrev_u32_e32 v12, 28, v11
	v_and_b32_e32 v10, 15, v10
	v_lshlrev_b32_e32 v12, v12, v3
	v_sub_u32_e32 v11, 29, v11
	v_and_b32_e32 v12, 7, v12
	v_cmp_eq_u16_e32 vcc, 0, v10
	v_cndmask_b32_e32 v6, v6, v12, vcc
	v_cndmask_b32_e32 v10, v10, v11, vcc
	v_lshlrev_b32_e32 v11, 24, v3
	v_mov_b32_e32 v12, 0x3b800000
	v_lshlrev_b32_e32 v6, 20, v6
	v_and_b32_e32 v11, 0x80000000, v11
	v_lshl_add_u32 v10, v10, 23, v12
	v_or3_b32 v6, v11, v10, v6
.LBB43_424:
	s_or_b64 exec, exec, s[6:7]
	s_nop 0
	v_mfma_f32_16x16x4f32 a[0:3], v2, v6, a[0:3]
	v_lshrrev_b32_e32 v6, 8, v7
	s_movk_i32 s4, 0x7f
	v_cmp_gt_i16_sdwa s[6:7], v6, s4 src0_sel:BYTE_0 src1_sel:DWORD
	s_mov_b64 s[4:5], 0
                                        ; implicit-def: $sgpr10
	s_and_saveexec_b64 s[8:9], s[6:7]
	s_xor_b64 s[6:7], exec, s[8:9]
	s_cbranch_execnz .LBB43_2473
; %bb.425:
	s_or_saveexec_b64 s[6:7], s[6:7]
	v_mov_b32_e32 v2, s10
	s_xor_b64 exec, exec, s[6:7]
	s_cbranch_execnz .LBB43_2476
.LBB43_426:
	s_or_b64 exec, exec, s[6:7]
	s_and_saveexec_b64 s[6:7], s[4:5]
	s_cbranch_execz .LBB43_428
.LBB43_427:
	v_bfe_u32 v2, v7, 8, 3
	v_ffbh_u32_e32 v11, v2
	v_min_u32_e32 v11, 32, v11
	v_lshrrev_b16_e32 v10, 3, v6
	v_subrev_u32_e32 v12, 28, v11
	v_and_b32_e32 v10, 15, v10
	v_lshlrev_b32_e32 v6, v12, v6
	v_sub_u32_e32 v11, 29, v11
	v_and_b32_e32 v6, 7, v6
	v_cmp_eq_u16_e32 vcc, 0, v10
	v_cndmask_b32_e32 v2, v2, v6, vcc
	v_cndmask_b32_e32 v6, v10, v11, vcc
	v_lshlrev_b32_e32 v10, 16, v7
	v_mov_b32_e32 v11, 0x3b800000
	v_lshlrev_b32_e32 v2, 20, v2
	v_and_b32_e32 v10, 0x80000000, v10
	v_lshl_add_u32 v6, v6, 23, v11
	v_or3_b32 v2, v10, v6, v2
.LBB43_428:
	s_or_b64 exec, exec, s[6:7]
	v_lshrrev_b32_e32 v6, 8, v3
	s_movk_i32 s4, 0x7f
	v_cmp_gt_i16_sdwa s[6:7], v6, s4 src0_sel:BYTE_0 src1_sel:DWORD
	s_mov_b64 s[4:5], 0
                                        ; implicit-def: $sgpr10
	s_and_saveexec_b64 s[8:9], s[6:7]
	s_xor_b64 s[6:7], exec, s[8:9]
	s_cbranch_execnz .LBB43_2477
; %bb.429:
	s_or_saveexec_b64 s[6:7], s[6:7]
	v_mov_b32_e32 v10, s10
	s_xor_b64 exec, exec, s[6:7]
	s_cbranch_execnz .LBB43_2480
.LBB43_430:
	s_or_b64 exec, exec, s[6:7]
	s_and_saveexec_b64 s[6:7], s[4:5]
	s_cbranch_execz .LBB43_432
.LBB43_431:
	v_bfe_u32 v10, v3, 8, 3
	v_ffbh_u32_e32 v12, v10
	v_min_u32_e32 v12, 32, v12
	v_lshrrev_b16_e32 v11, 3, v6
	v_subrev_u32_e32 v13, 28, v12
	v_and_b32_e32 v11, 15, v11
	v_lshlrev_b32_e32 v6, v13, v6
	v_sub_u32_e32 v12, 29, v12
	v_and_b32_e32 v6, 7, v6
	v_cmp_eq_u16_e32 vcc, 0, v11
	v_cndmask_b32_e32 v6, v10, v6, vcc
	v_cndmask_b32_e32 v10, v11, v12, vcc
	v_lshlrev_b32_e32 v11, 16, v3
	v_mov_b32_e32 v12, 0x3b800000
	v_lshlrev_b32_e32 v6, 20, v6
	v_and_b32_e32 v11, 0x80000000, v11
	v_lshl_add_u32 v10, v10, 23, v12
	v_or3_b32 v10, v11, v10, v6
.LBB43_432:
	s_or_b64 exec, exec, s[6:7]
	s_nop 0
	v_mfma_f32_16x16x4f32 a[0:3], v2, v10, a[0:3]
	s_movk_i32 s4, 0xff
	v_and_b32_sdwa v6, v7, s4 dst_sel:DWORD dst_unused:UNUSED_PAD src0_sel:WORD_1 src1_sel:DWORD
	s_movk_i32 s4, 0x7f
	v_cmp_lt_i16_e32 vcc, s4, v6
	s_mov_b64 s[4:5], 0
                                        ; implicit-def: $sgpr10
	s_and_saveexec_b64 s[6:7], vcc
	s_xor_b64 s[6:7], exec, s[6:7]
	s_cbranch_execnz .LBB43_2481
; %bb.433:
	s_or_saveexec_b64 s[6:7], s[6:7]
	v_mov_b32_e32 v2, s10
	s_xor_b64 exec, exec, s[6:7]
	s_cbranch_execnz .LBB43_2484
.LBB43_434:
	s_or_b64 exec, exec, s[6:7]
	s_and_saveexec_b64 s[6:7], s[4:5]
	s_cbranch_execz .LBB43_436
.LBB43_435:
	v_bfe_u32 v2, v7, 16, 3
	v_ffbh_u32_e32 v11, v2
	v_min_u32_e32 v11, 32, v11
	v_lshrrev_b32_e32 v6, 19, v7
	v_subrev_u32_e32 v12, 28, v11
	v_and_b32_e32 v6, 15, v6
	v_lshlrev_b32_sdwa v12, v12, v7 dst_sel:DWORD dst_unused:UNUSED_PAD src0_sel:DWORD src1_sel:WORD_1
	v_bfe_u32 v10, v7, 19, 4
	v_sub_u32_e32 v11, 29, v11
	v_and_b32_e32 v12, 7, v12
	v_cmp_eq_u16_e32 vcc, 0, v6
	v_cndmask_b32_e32 v2, v2, v12, vcc
	v_cndmask_b32_e32 v6, v10, v11, vcc
	v_lshlrev_b32_e32 v10, 8, v7
	v_mov_b32_e32 v11, 0x3b800000
	v_lshlrev_b32_e32 v2, 20, v2
	v_and_b32_e32 v10, 0x80000000, v10
	v_lshl_add_u32 v6, v6, 23, v11
	v_or3_b32 v2, v10, v6, v2
.LBB43_436:
	s_or_b64 exec, exec, s[6:7]
	s_movk_i32 s4, 0xff
	v_and_b32_sdwa v6, v3, s4 dst_sel:DWORD dst_unused:UNUSED_PAD src0_sel:WORD_1 src1_sel:DWORD
	s_movk_i32 s4, 0x7f
	v_cmp_lt_i16_e32 vcc, s4, v6
	s_mov_b64 s[4:5], 0
                                        ; implicit-def: $sgpr10
	s_and_saveexec_b64 s[6:7], vcc
	s_xor_b64 s[6:7], exec, s[6:7]
	s_cbranch_execnz .LBB43_2485
; %bb.437:
	s_or_saveexec_b64 s[6:7], s[6:7]
	v_mov_b32_e32 v10, s10
	s_xor_b64 exec, exec, s[6:7]
	s_cbranch_execnz .LBB43_2488
.LBB43_438:
	s_or_b64 exec, exec, s[6:7]
	s_and_saveexec_b64 s[6:7], s[4:5]
	s_cbranch_execz .LBB43_440
.LBB43_439:
	v_bfe_u32 v6, v3, 16, 3
	v_ffbh_u32_e32 v12, v6
	v_min_u32_e32 v12, 32, v12
	v_lshrrev_b32_e32 v10, 19, v3
	v_subrev_u32_e32 v13, 28, v12
	v_and_b32_e32 v10, 15, v10
	v_lshlrev_b32_sdwa v13, v13, v3 dst_sel:DWORD dst_unused:UNUSED_PAD src0_sel:DWORD src1_sel:WORD_1
	v_bfe_u32 v11, v3, 19, 4
	v_sub_u32_e32 v12, 29, v12
	v_and_b32_e32 v13, 7, v13
	v_cmp_eq_u16_e32 vcc, 0, v10
	v_cndmask_b32_e32 v6, v6, v13, vcc
	v_cndmask_b32_e32 v10, v11, v12, vcc
	v_lshlrev_b32_e32 v11, 8, v3
	v_mov_b32_e32 v12, 0x3b800000
	v_lshlrev_b32_e32 v6, 20, v6
	v_and_b32_e32 v11, 0x80000000, v11
	v_lshl_add_u32 v10, v10, 23, v12
	v_or3_b32 v10, v11, v10, v6
.LBB43_440:
	s_or_b64 exec, exec, s[6:7]
	s_nop 0
	v_mfma_f32_16x16x4f32 a[0:3], v2, v10, a[0:3]
	s_movk_i32 s4, 0x7f
	v_cmp_gt_i16_sdwa s[6:7], v7, s4 src0_sel:BYTE_3 src1_sel:DWORD
	s_mov_b64 s[4:5], 0
                                        ; implicit-def: $sgpr10
	s_and_saveexec_b64 s[8:9], s[6:7]
	s_xor_b64 s[6:7], exec, s[8:9]
	s_cbranch_execnz .LBB43_2489
; %bb.441:
	s_or_saveexec_b64 s[6:7], s[6:7]
	v_mov_b32_e32 v2, s10
	s_xor_b64 exec, exec, s[6:7]
	s_cbranch_execnz .LBB43_2492
.LBB43_442:
	s_or_b64 exec, exec, s[6:7]
	s_and_saveexec_b64 s[6:7], s[4:5]
	s_cbranch_execz .LBB43_444
.LBB43_443:
	v_bfe_u32 v2, v7, 24, 3
	v_ffbh_u32_e32 v12, v2
	v_min_u32_e32 v12, 32, v12
	v_lshrrev_b32_e32 v10, 27, v7
	v_subrev_u32_e32 v13, 28, v12
	v_and_b32_e32 v6, 0x80000000, v7
	v_and_b32_e32 v10, 15, v10
	v_bfe_u32 v11, v7, 27, 4
	v_lshlrev_b32_sdwa v7, v13, v7 dst_sel:DWORD dst_unused:UNUSED_PAD src0_sel:DWORD src1_sel:BYTE_3
	v_sub_u32_e32 v12, 29, v12
	v_and_b32_e32 v7, 7, v7
	v_cmp_eq_u16_e32 vcc, 0, v10
	v_cndmask_b32_e32 v2, v2, v7, vcc
	v_cndmask_b32_e32 v7, v11, v12, vcc
	v_mov_b32_e32 v10, 0x3b800000
	v_lshlrev_b32_e32 v2, 20, v2
	v_lshl_add_u32 v7, v7, 23, v10
	v_or3_b32 v2, v6, v7, v2
.LBB43_444:
	s_or_b64 exec, exec, s[6:7]
	s_movk_i32 s4, 0x7f
	v_cmp_gt_i16_sdwa s[6:7], v3, s4 src0_sel:BYTE_3 src1_sel:DWORD
	s_mov_b64 s[4:5], 0
                                        ; implicit-def: $sgpr10
	s_and_saveexec_b64 s[8:9], s[6:7]
	s_xor_b64 s[6:7], exec, s[8:9]
	s_cbranch_execnz .LBB43_2493
; %bb.445:
	s_or_saveexec_b64 s[6:7], s[6:7]
	v_mov_b32_e32 v6, s10
	s_xor_b64 exec, exec, s[6:7]
	s_cbranch_execnz .LBB43_2496
.LBB43_446:
	s_or_b64 exec, exec, s[6:7]
	s_and_saveexec_b64 s[6:7], s[4:5]
	s_cbranch_execz .LBB43_448
.LBB43_447:
	v_bfe_u32 v6, v3, 24, 3
	v_ffbh_u32_e32 v12, v6
	v_min_u32_e32 v12, 32, v12
	v_lshrrev_b32_e32 v10, 27, v3
	v_subrev_u32_e32 v13, 28, v12
	v_and_b32_e32 v7, 0x80000000, v3
	v_and_b32_e32 v10, 15, v10
	v_bfe_u32 v11, v3, 27, 4
	v_lshlrev_b32_sdwa v3, v13, v3 dst_sel:DWORD dst_unused:UNUSED_PAD src0_sel:DWORD src1_sel:BYTE_3
	v_sub_u32_e32 v12, 29, v12
	v_and_b32_e32 v3, 7, v3
	v_cmp_eq_u16_e32 vcc, 0, v10
	v_cndmask_b32_e32 v3, v6, v3, vcc
	v_cndmask_b32_e32 v6, v11, v12, vcc
	v_mov_b32_e32 v10, 0x3b800000
	v_lshlrev_b32_e32 v3, 20, v3
	v_lshl_add_u32 v6, v6, 23, v10
	v_or3_b32 v6, v7, v6, v3
.LBB43_448:
	s_or_b64 exec, exec, s[6:7]
	s_nop 0
	v_mfma_f32_16x16x4f32 a[0:3], v2, v6, a[0:3]
	s_movk_i32 s4, 0x7f
	v_cmp_gt_i16_sdwa s[6:7], v8, s4 src0_sel:BYTE_0 src1_sel:DWORD
	s_mov_b64 s[4:5], 0
                                        ; implicit-def: $sgpr10
	s_and_saveexec_b64 s[8:9], s[6:7]
	s_xor_b64 s[6:7], exec, s[8:9]
	s_cbranch_execnz .LBB43_2497
; %bb.449:
	s_or_saveexec_b64 s[6:7], s[6:7]
	v_mov_b32_e32 v2, s10
	s_xor_b64 exec, exec, s[6:7]
	s_cbranch_execnz .LBB43_2500
.LBB43_450:
	s_or_b64 exec, exec, s[6:7]
	s_and_saveexec_b64 s[6:7], s[4:5]
	s_cbranch_execz .LBB43_452
.LBB43_451:
	v_and_b32_e32 v2, 7, v8
	v_ffbh_u32_e32 v6, v2
	v_min_u32_e32 v6, 32, v6
	v_lshrrev_b16_e32 v3, 3, v8
	v_subrev_u32_e32 v7, 28, v6
	v_and_b32_e32 v3, 15, v3
	v_lshlrev_b32_e32 v7, v7, v8
	v_sub_u32_e32 v6, 29, v6
	v_and_b32_e32 v7, 7, v7
	v_cmp_eq_u16_e32 vcc, 0, v3
	v_cndmask_b32_e32 v2, v2, v7, vcc
	v_cndmask_b32_e32 v3, v3, v6, vcc
	v_lshlrev_b32_e32 v6, 24, v8
	v_mov_b32_e32 v7, 0x3b800000
	v_lshlrev_b32_e32 v2, 20, v2
	v_and_b32_e32 v6, 0x80000000, v6
	v_lshl_add_u32 v3, v3, 23, v7
	v_or3_b32 v2, v6, v3, v2
.LBB43_452:
	s_or_b64 exec, exec, s[6:7]
	s_movk_i32 s4, 0x7f
	v_cmp_gt_i16_sdwa s[6:7], v4, s4 src0_sel:BYTE_0 src1_sel:DWORD
	s_mov_b64 s[4:5], 0
                                        ; implicit-def: $sgpr10
	s_and_saveexec_b64 s[8:9], s[6:7]
	s_xor_b64 s[6:7], exec, s[8:9]
	s_cbranch_execnz .LBB43_2501
; %bb.453:
	s_or_saveexec_b64 s[6:7], s[6:7]
	v_mov_b32_e32 v3, s10
	s_xor_b64 exec, exec, s[6:7]
	s_cbranch_execnz .LBB43_2504
.LBB43_454:
	s_or_b64 exec, exec, s[6:7]
	s_and_saveexec_b64 s[6:7], s[4:5]
	s_cbranch_execz .LBB43_456
.LBB43_455:
	v_and_b32_e32 v3, 7, v4
	v_ffbh_u32_e32 v7, v3
	v_min_u32_e32 v7, 32, v7
	v_lshrrev_b16_e32 v6, 3, v4
	v_subrev_u32_e32 v10, 28, v7
	v_and_b32_e32 v6, 15, v6
	v_lshlrev_b32_e32 v10, v10, v4
	v_sub_u32_e32 v7, 29, v7
	v_and_b32_e32 v10, 7, v10
	v_cmp_eq_u16_e32 vcc, 0, v6
	v_cndmask_b32_e32 v3, v3, v10, vcc
	v_cndmask_b32_e32 v6, v6, v7, vcc
	v_lshlrev_b32_e32 v7, 24, v4
	v_mov_b32_e32 v10, 0x3b800000
	v_lshlrev_b32_e32 v3, 20, v3
	v_and_b32_e32 v7, 0x80000000, v7
	v_lshl_add_u32 v6, v6, 23, v10
	v_or3_b32 v3, v7, v6, v3
.LBB43_456:
	s_or_b64 exec, exec, s[6:7]
	s_nop 0
	v_mfma_f32_16x16x4f32 a[0:3], v2, v3, a[0:3]
	v_lshrrev_b32_e32 v3, 8, v8
	s_movk_i32 s4, 0x7f
	v_cmp_gt_i16_sdwa s[6:7], v3, s4 src0_sel:BYTE_0 src1_sel:DWORD
	s_mov_b64 s[4:5], 0
                                        ; implicit-def: $sgpr10
	s_and_saveexec_b64 s[8:9], s[6:7]
	s_xor_b64 s[6:7], exec, s[8:9]
	s_cbranch_execnz .LBB43_2505
; %bb.457:
	s_or_saveexec_b64 s[6:7], s[6:7]
	v_mov_b32_e32 v2, s10
	s_xor_b64 exec, exec, s[6:7]
	s_cbranch_execnz .LBB43_2508
.LBB43_458:
	s_or_b64 exec, exec, s[6:7]
	s_and_saveexec_b64 s[6:7], s[4:5]
	s_cbranch_execz .LBB43_460
.LBB43_459:
	v_bfe_u32 v2, v8, 8, 3
	v_ffbh_u32_e32 v7, v2
	v_min_u32_e32 v7, 32, v7
	v_lshrrev_b16_e32 v6, 3, v3
	v_subrev_u32_e32 v10, 28, v7
	v_and_b32_e32 v6, 15, v6
	v_lshlrev_b32_e32 v3, v10, v3
	v_sub_u32_e32 v7, 29, v7
	v_and_b32_e32 v3, 7, v3
	v_cmp_eq_u16_e32 vcc, 0, v6
	v_cndmask_b32_e32 v2, v2, v3, vcc
	v_cndmask_b32_e32 v3, v6, v7, vcc
	v_lshlrev_b32_e32 v6, 16, v8
	v_mov_b32_e32 v7, 0x3b800000
	v_lshlrev_b32_e32 v2, 20, v2
	v_and_b32_e32 v6, 0x80000000, v6
	v_lshl_add_u32 v3, v3, 23, v7
	v_or3_b32 v2, v6, v3, v2
.LBB43_460:
	s_or_b64 exec, exec, s[6:7]
	v_lshrrev_b32_e32 v3, 8, v4
	s_movk_i32 s4, 0x7f
	v_cmp_gt_i16_sdwa s[6:7], v3, s4 src0_sel:BYTE_0 src1_sel:DWORD
	s_mov_b64 s[4:5], 0
                                        ; implicit-def: $sgpr10
	s_and_saveexec_b64 s[8:9], s[6:7]
	s_xor_b64 s[6:7], exec, s[8:9]
	s_cbranch_execnz .LBB43_2509
; %bb.461:
	s_or_saveexec_b64 s[6:7], s[6:7]
	v_mov_b32_e32 v6, s10
	s_xor_b64 exec, exec, s[6:7]
	s_cbranch_execnz .LBB43_2512
.LBB43_462:
	s_or_b64 exec, exec, s[6:7]
	s_and_saveexec_b64 s[6:7], s[4:5]
	s_cbranch_execz .LBB43_464
.LBB43_463:
	v_bfe_u32 v6, v4, 8, 3
	v_ffbh_u32_e32 v10, v6
	v_min_u32_e32 v10, 32, v10
	v_lshrrev_b16_e32 v7, 3, v3
	v_subrev_u32_e32 v11, 28, v10
	v_and_b32_e32 v7, 15, v7
	v_lshlrev_b32_e32 v3, v11, v3
	v_sub_u32_e32 v10, 29, v10
	v_and_b32_e32 v3, 7, v3
	v_cmp_eq_u16_e32 vcc, 0, v7
	v_cndmask_b32_e32 v3, v6, v3, vcc
	v_cndmask_b32_e32 v6, v7, v10, vcc
	v_lshlrev_b32_e32 v7, 16, v4
	v_mov_b32_e32 v10, 0x3b800000
	v_lshlrev_b32_e32 v3, 20, v3
	v_and_b32_e32 v7, 0x80000000, v7
	v_lshl_add_u32 v6, v6, 23, v10
	v_or3_b32 v6, v7, v6, v3
.LBB43_464:
	s_or_b64 exec, exec, s[6:7]
	s_nop 0
	v_mfma_f32_16x16x4f32 a[0:3], v2, v6, a[0:3]
	s_movk_i32 s4, 0xff
	v_and_b32_sdwa v3, v8, s4 dst_sel:DWORD dst_unused:UNUSED_PAD src0_sel:WORD_1 src1_sel:DWORD
	s_movk_i32 s4, 0x7f
	v_cmp_lt_i16_e32 vcc, s4, v3
	s_mov_b64 s[4:5], 0
                                        ; implicit-def: $sgpr10
	s_and_saveexec_b64 s[6:7], vcc
	s_xor_b64 s[6:7], exec, s[6:7]
	s_cbranch_execnz .LBB43_2513
; %bb.465:
	s_or_saveexec_b64 s[6:7], s[6:7]
	v_mov_b32_e32 v2, s10
	s_xor_b64 exec, exec, s[6:7]
	s_cbranch_execnz .LBB43_2516
.LBB43_466:
	s_or_b64 exec, exec, s[6:7]
	s_and_saveexec_b64 s[6:7], s[4:5]
	s_cbranch_execz .LBB43_468
.LBB43_467:
	v_bfe_u32 v2, v8, 16, 3
	v_ffbh_u32_e32 v7, v2
	v_min_u32_e32 v7, 32, v7
	v_lshrrev_b32_e32 v3, 19, v8
	v_subrev_u32_e32 v10, 28, v7
	v_and_b32_e32 v3, 15, v3
	v_lshlrev_b32_sdwa v10, v10, v8 dst_sel:DWORD dst_unused:UNUSED_PAD src0_sel:DWORD src1_sel:WORD_1
	v_bfe_u32 v6, v8, 19, 4
	v_sub_u32_e32 v7, 29, v7
	v_and_b32_e32 v10, 7, v10
	v_cmp_eq_u16_e32 vcc, 0, v3
	v_cndmask_b32_e32 v2, v2, v10, vcc
	v_cndmask_b32_e32 v3, v6, v7, vcc
	v_lshlrev_b32_e32 v6, 8, v8
	v_mov_b32_e32 v7, 0x3b800000
	v_lshlrev_b32_e32 v2, 20, v2
	v_and_b32_e32 v6, 0x80000000, v6
	v_lshl_add_u32 v3, v3, 23, v7
	v_or3_b32 v2, v6, v3, v2
.LBB43_468:
	s_or_b64 exec, exec, s[6:7]
	s_movk_i32 s4, 0xff
	v_and_b32_sdwa v3, v4, s4 dst_sel:DWORD dst_unused:UNUSED_PAD src0_sel:WORD_1 src1_sel:DWORD
	s_movk_i32 s4, 0x7f
	v_cmp_lt_i16_e32 vcc, s4, v3
	s_mov_b64 s[4:5], 0
                                        ; implicit-def: $sgpr10
	s_and_saveexec_b64 s[6:7], vcc
	s_xor_b64 s[6:7], exec, s[6:7]
	s_cbranch_execnz .LBB43_2517
; %bb.469:
	s_or_saveexec_b64 s[6:7], s[6:7]
	v_mov_b32_e32 v6, s10
	s_xor_b64 exec, exec, s[6:7]
	s_cbranch_execnz .LBB43_2520
.LBB43_470:
	s_or_b64 exec, exec, s[6:7]
	s_and_saveexec_b64 s[6:7], s[4:5]
	s_cbranch_execz .LBB43_472
.LBB43_471:
	v_bfe_u32 v3, v4, 16, 3
	v_ffbh_u32_e32 v10, v3
	v_min_u32_e32 v10, 32, v10
	v_lshrrev_b32_e32 v6, 19, v4
	v_subrev_u32_e32 v11, 28, v10
	v_and_b32_e32 v6, 15, v6
	v_lshlrev_b32_sdwa v11, v11, v4 dst_sel:DWORD dst_unused:UNUSED_PAD src0_sel:DWORD src1_sel:WORD_1
	v_bfe_u32 v7, v4, 19, 4
	v_sub_u32_e32 v10, 29, v10
	v_and_b32_e32 v11, 7, v11
	v_cmp_eq_u16_e32 vcc, 0, v6
	v_cndmask_b32_e32 v3, v3, v11, vcc
	v_cndmask_b32_e32 v6, v7, v10, vcc
	v_lshlrev_b32_e32 v7, 8, v4
	v_mov_b32_e32 v10, 0x3b800000
	v_lshlrev_b32_e32 v3, 20, v3
	v_and_b32_e32 v7, 0x80000000, v7
	v_lshl_add_u32 v6, v6, 23, v10
	v_or3_b32 v6, v7, v6, v3
.LBB43_472:
	s_or_b64 exec, exec, s[6:7]
	s_nop 0
	v_mfma_f32_16x16x4f32 a[0:3], v2, v6, a[0:3]
	s_movk_i32 s4, 0x7f
	v_cmp_gt_i16_sdwa s[6:7], v8, s4 src0_sel:BYTE_3 src1_sel:DWORD
	s_mov_b64 s[4:5], 0
                                        ; implicit-def: $sgpr10
	s_and_saveexec_b64 s[8:9], s[6:7]
	s_xor_b64 s[6:7], exec, s[8:9]
	s_cbranch_execnz .LBB43_2521
; %bb.473:
	s_or_saveexec_b64 s[6:7], s[6:7]
	v_mov_b32_e32 v2, s10
	s_xor_b64 exec, exec, s[6:7]
	s_cbranch_execnz .LBB43_2524
.LBB43_474:
	s_or_b64 exec, exec, s[6:7]
	s_and_saveexec_b64 s[6:7], s[4:5]
	s_cbranch_execz .LBB43_476
.LBB43_475:
	v_bfe_u32 v2, v8, 24, 3
	v_ffbh_u32_e32 v10, v2
	v_min_u32_e32 v10, 32, v10
	v_lshrrev_b32_e32 v6, 27, v8
	v_subrev_u32_e32 v11, 28, v10
	v_and_b32_e32 v3, 0x80000000, v8
	v_and_b32_e32 v6, 15, v6
	v_bfe_u32 v7, v8, 27, 4
	v_lshlrev_b32_sdwa v8, v11, v8 dst_sel:DWORD dst_unused:UNUSED_PAD src0_sel:DWORD src1_sel:BYTE_3
	v_sub_u32_e32 v10, 29, v10
	v_and_b32_e32 v8, 7, v8
	v_cmp_eq_u16_e32 vcc, 0, v6
	v_cndmask_b32_e32 v2, v2, v8, vcc
	v_cndmask_b32_e32 v6, v7, v10, vcc
	v_mov_b32_e32 v7, 0x3b800000
	v_lshlrev_b32_e32 v2, 20, v2
	v_lshl_add_u32 v6, v6, 23, v7
	v_or3_b32 v2, v3, v6, v2
.LBB43_476:
	s_or_b64 exec, exec, s[6:7]
	s_movk_i32 s4, 0x7f
	v_cmp_gt_i16_sdwa s[6:7], v4, s4 src0_sel:BYTE_3 src1_sel:DWORD
	s_mov_b64 s[4:5], 0
                                        ; implicit-def: $sgpr10
	s_and_saveexec_b64 s[8:9], s[6:7]
	s_xor_b64 s[6:7], exec, s[8:9]
	s_cbranch_execnz .LBB43_2525
; %bb.477:
	s_or_saveexec_b64 s[6:7], s[6:7]
	v_mov_b32_e32 v3, s10
	s_xor_b64 exec, exec, s[6:7]
	s_cbranch_execnz .LBB43_2528
.LBB43_478:
	s_or_b64 exec, exec, s[6:7]
	s_and_saveexec_b64 s[6:7], s[4:5]
	s_cbranch_execz .LBB43_480
.LBB43_479:
	v_bfe_u32 v3, v4, 24, 3
	v_ffbh_u32_e32 v10, v3
	v_min_u32_e32 v10, 32, v10
	v_lshrrev_b32_e32 v7, 27, v4
	v_subrev_u32_e32 v11, 28, v10
	v_and_b32_e32 v6, 0x80000000, v4
	v_and_b32_e32 v7, 15, v7
	v_bfe_u32 v8, v4, 27, 4
	v_lshlrev_b32_sdwa v4, v11, v4 dst_sel:DWORD dst_unused:UNUSED_PAD src0_sel:DWORD src1_sel:BYTE_3
	v_sub_u32_e32 v10, 29, v10
	v_and_b32_e32 v4, 7, v4
	v_cmp_eq_u16_e32 vcc, 0, v7
	v_cndmask_b32_e32 v3, v3, v4, vcc
	v_cndmask_b32_e32 v4, v8, v10, vcc
	v_mov_b32_e32 v7, 0x3b800000
	v_lshlrev_b32_e32 v3, 20, v3
	v_lshl_add_u32 v4, v4, 23, v7
	v_or3_b32 v3, v6, v4, v3
.LBB43_480:
	s_or_b64 exec, exec, s[6:7]
	s_nop 0
	v_mfma_f32_16x16x4f32 a[0:3], v2, v3, a[0:3]
	s_movk_i32 s4, 0x7f
	v_cmp_gt_i16_sdwa s[6:7], v9, s4 src0_sel:BYTE_0 src1_sel:DWORD
	s_mov_b64 s[4:5], 0
                                        ; implicit-def: $sgpr10
	s_and_saveexec_b64 s[8:9], s[6:7]
	s_xor_b64 s[6:7], exec, s[8:9]
	s_cbranch_execnz .LBB43_2529
; %bb.481:
	s_or_saveexec_b64 s[6:7], s[6:7]
	v_mov_b32_e32 v2, s10
	s_xor_b64 exec, exec, s[6:7]
	s_cbranch_execnz .LBB43_2532
.LBB43_482:
	s_or_b64 exec, exec, s[6:7]
	s_and_saveexec_b64 s[6:7], s[4:5]
	s_cbranch_execz .LBB43_484
.LBB43_483:
	v_mov_b32_e32 v2, 8
	v_and_b32_e32 v3, 7, v9
	v_lshrrev_b32_sdwa v2, v2, v9 dst_sel:BYTE_1 dst_unused:UNUSED_PAD src0_sel:DWORD src1_sel:DWORD
	v_ffbh_u32_e32 v4, v3
	v_or_b32_sdwa v2, v9, v2 dst_sel:DWORD dst_unused:UNUSED_PAD src0_sel:BYTE_0 src1_sel:DWORD
	v_min_u32_e32 v4, 32, v4
	v_lshrrev_b16_e32 v2, 3, v2
	v_subrev_u32_e32 v6, 28, v4
	v_and_b32_e32 v2, 15, v2
	v_lshlrev_b32_e32 v6, v6, v9
	v_sub_u32_e32 v4, 29, v4
	v_and_b32_e32 v6, 7, v6
	v_cmp_eq_u16_e32 vcc, 0, v2
	v_cndmask_b32_e32 v3, v3, v6, vcc
	v_cndmask_b32_e32 v2, v2, v4, vcc
	v_lshlrev_b32_e32 v4, 24, v9
	v_mov_b32_e32 v6, 0x3b800000
	v_lshlrev_b32_e32 v3, 20, v3
	v_and_b32_e32 v4, 0x80000000, v4
	v_lshl_add_u32 v2, v2, 23, v6
	v_or3_b32 v2, v4, v2, v3
.LBB43_484:
	s_or_b64 exec, exec, s[6:7]
	s_movk_i32 s4, 0x7f
	v_cmp_gt_i16_sdwa s[6:7], v5, s4 src0_sel:BYTE_0 src1_sel:DWORD
	s_mov_b64 s[4:5], 0
                                        ; implicit-def: $sgpr10
	s_and_saveexec_b64 s[8:9], s[6:7]
	s_xor_b64 s[6:7], exec, s[8:9]
	s_cbranch_execnz .LBB43_2533
; %bb.485:
	s_or_saveexec_b64 s[6:7], s[6:7]
	v_mov_b32_e32 v3, s10
	s_xor_b64 exec, exec, s[6:7]
	s_cbranch_execnz .LBB43_2536
.LBB43_486:
	s_or_b64 exec, exec, s[6:7]
	s_and_saveexec_b64 s[6:7], s[4:5]
	s_cbranch_execz .LBB43_488
.LBB43_487:
	v_mov_b32_e32 v3, 8
	v_and_b32_e32 v4, 7, v5
	v_lshrrev_b32_sdwa v3, v3, v5 dst_sel:BYTE_1 dst_unused:UNUSED_PAD src0_sel:DWORD src1_sel:DWORD
	v_ffbh_u32_e32 v6, v4
	v_or_b32_sdwa v3, v5, v3 dst_sel:DWORD dst_unused:UNUSED_PAD src0_sel:BYTE_0 src1_sel:DWORD
	v_min_u32_e32 v6, 32, v6
	v_lshrrev_b16_e32 v3, 3, v3
	v_subrev_u32_e32 v7, 28, v6
	v_and_b32_e32 v3, 15, v3
	v_lshlrev_b32_e32 v7, v7, v5
	v_sub_u32_e32 v6, 29, v6
	v_and_b32_e32 v7, 7, v7
	v_cmp_eq_u16_e32 vcc, 0, v3
	v_cndmask_b32_e32 v4, v4, v7, vcc
	v_cndmask_b32_e32 v3, v3, v6, vcc
	v_lshlrev_b32_e32 v6, 24, v5
	v_mov_b32_e32 v7, 0x3b800000
	v_lshlrev_b32_e32 v4, 20, v4
	v_and_b32_e32 v6, 0x80000000, v6
	v_lshl_add_u32 v3, v3, 23, v7
	v_or3_b32 v3, v6, v3, v4
.LBB43_488:
	s_or_b64 exec, exec, s[6:7]
	s_nop 0
	v_mfma_f32_16x16x4f32 a[0:3], v2, v3, a[0:3]
	v_lshrrev_b32_e32 v3, 8, v9
	s_movk_i32 s4, 0x7f
	v_cmp_gt_i16_sdwa s[6:7], v3, s4 src0_sel:BYTE_0 src1_sel:DWORD
	s_mov_b64 s[4:5], 0
                                        ; implicit-def: $sgpr10
	s_and_saveexec_b64 s[8:9], s[6:7]
	s_xor_b64 s[6:7], exec, s[8:9]
	s_cbranch_execnz .LBB43_2537
; %bb.489:
	s_or_saveexec_b64 s[6:7], s[6:7]
	v_mov_b32_e32 v2, s10
	s_xor_b64 exec, exec, s[6:7]
	s_cbranch_execnz .LBB43_2540
.LBB43_490:
	s_or_b64 exec, exec, s[6:7]
	s_and_saveexec_b64 s[6:7], s[4:5]
	s_cbranch_execz .LBB43_492
.LBB43_491:
	v_bfe_u32 v2, v9, 8, 3
	v_ffbh_u32_e32 v6, v2
	v_min_u32_e32 v6, 32, v6
	v_lshrrev_b16_e32 v4, 3, v3
	v_subrev_u32_e32 v7, 28, v6
	v_and_b32_e32 v4, 15, v4
	v_lshlrev_b32_e32 v3, v7, v3
	v_sub_u32_e32 v6, 29, v6
	v_and_b32_e32 v3, 7, v3
	v_cmp_eq_u16_e32 vcc, 0, v4
	v_cndmask_b32_e32 v2, v2, v3, vcc
	v_cndmask_b32_e32 v3, v4, v6, vcc
	v_lshlrev_b32_e32 v4, 16, v9
	v_mov_b32_e32 v6, 0x3b800000
	v_lshlrev_b32_e32 v2, 20, v2
	v_and_b32_e32 v4, 0x80000000, v4
	v_lshl_add_u32 v3, v3, 23, v6
	v_or3_b32 v2, v4, v3, v2
.LBB43_492:
	s_or_b64 exec, exec, s[6:7]
	v_lshrrev_b32_e32 v3, 8, v5
	s_movk_i32 s4, 0x7f
	v_cmp_gt_i16_sdwa s[6:7], v3, s4 src0_sel:BYTE_0 src1_sel:DWORD
	s_mov_b64 s[4:5], 0
                                        ; implicit-def: $sgpr10
	s_and_saveexec_b64 s[8:9], s[6:7]
	s_xor_b64 s[6:7], exec, s[8:9]
	s_cbranch_execnz .LBB43_2541
; %bb.493:
	s_or_saveexec_b64 s[6:7], s[6:7]
	v_mov_b32_e32 v4, s10
	s_xor_b64 exec, exec, s[6:7]
	s_cbranch_execnz .LBB43_2544
.LBB43_494:
	s_or_b64 exec, exec, s[6:7]
	s_and_saveexec_b64 s[6:7], s[4:5]
	s_cbranch_execz .LBB43_496
.LBB43_495:
	v_bfe_u32 v4, v5, 8, 3
	v_ffbh_u32_e32 v7, v4
	v_min_u32_e32 v7, 32, v7
	v_lshrrev_b16_e32 v6, 3, v3
	v_subrev_u32_e32 v8, 28, v7
	v_and_b32_e32 v6, 15, v6
	v_lshlrev_b32_e32 v3, v8, v3
	v_sub_u32_e32 v7, 29, v7
	v_and_b32_e32 v3, 7, v3
	v_cmp_eq_u16_e32 vcc, 0, v6
	v_cndmask_b32_e32 v3, v4, v3, vcc
	v_cndmask_b32_e32 v4, v6, v7, vcc
	v_lshlrev_b32_e32 v6, 16, v5
	v_mov_b32_e32 v7, 0x3b800000
	v_lshlrev_b32_e32 v3, 20, v3
	v_and_b32_e32 v6, 0x80000000, v6
	v_lshl_add_u32 v4, v4, 23, v7
	v_or3_b32 v4, v6, v4, v3
.LBB43_496:
	s_or_b64 exec, exec, s[6:7]
	s_nop 0
	v_mfma_f32_16x16x4f32 a[0:3], v2, v4, a[0:3]
	s_movk_i32 s4, 0xff
	v_and_b32_sdwa v3, v9, s4 dst_sel:DWORD dst_unused:UNUSED_PAD src0_sel:WORD_1 src1_sel:DWORD
	s_movk_i32 s4, 0x7f
	v_cmp_lt_i16_e32 vcc, s4, v3
	s_mov_b64 s[4:5], 0
                                        ; implicit-def: $sgpr10
	s_and_saveexec_b64 s[6:7], vcc
	s_xor_b64 s[6:7], exec, s[6:7]
	s_cbranch_execnz .LBB43_2545
; %bb.497:
	s_or_saveexec_b64 s[6:7], s[6:7]
	v_mov_b32_e32 v2, s10
	s_xor_b64 exec, exec, s[6:7]
	s_cbranch_execnz .LBB43_2548
.LBB43_498:
	s_or_b64 exec, exec, s[6:7]
	s_and_saveexec_b64 s[6:7], s[4:5]
	s_cbranch_execz .LBB43_500
.LBB43_499:
	v_bfe_u32 v2, v9, 16, 3
	v_ffbh_u32_e32 v6, v2
	v_min_u32_e32 v6, 32, v6
	v_lshrrev_b32_e32 v3, 19, v9
	v_subrev_u32_e32 v7, 28, v6
	v_and_b32_e32 v3, 15, v3
	v_lshlrev_b32_sdwa v7, v7, v9 dst_sel:DWORD dst_unused:UNUSED_PAD src0_sel:DWORD src1_sel:WORD_1
	v_bfe_u32 v4, v9, 19, 4
	v_sub_u32_e32 v6, 29, v6
	v_and_b32_e32 v7, 7, v7
	v_cmp_eq_u16_e32 vcc, 0, v3
	v_cndmask_b32_e32 v2, v2, v7, vcc
	v_cndmask_b32_e32 v3, v4, v6, vcc
	v_lshlrev_b32_e32 v4, 8, v9
	v_mov_b32_e32 v6, 0x3b800000
	v_lshlrev_b32_e32 v2, 20, v2
	v_and_b32_e32 v4, 0x80000000, v4
	v_lshl_add_u32 v3, v3, 23, v6
	v_or3_b32 v2, v4, v3, v2
.LBB43_500:
	s_or_b64 exec, exec, s[6:7]
	s_movk_i32 s4, 0xff
	v_and_b32_sdwa v3, v5, s4 dst_sel:DWORD dst_unused:UNUSED_PAD src0_sel:WORD_1 src1_sel:DWORD
	s_movk_i32 s4, 0x7f
	v_cmp_lt_i16_e32 vcc, s4, v3
	s_mov_b64 s[4:5], 0
                                        ; implicit-def: $sgpr10
	s_and_saveexec_b64 s[6:7], vcc
	s_xor_b64 s[6:7], exec, s[6:7]
	s_cbranch_execnz .LBB43_2549
; %bb.501:
	s_or_saveexec_b64 s[6:7], s[6:7]
	v_mov_b32_e32 v4, s10
	s_xor_b64 exec, exec, s[6:7]
	s_cbranch_execnz .LBB43_2552
.LBB43_502:
	s_or_b64 exec, exec, s[6:7]
	s_and_saveexec_b64 s[6:7], s[4:5]
	s_cbranch_execz .LBB43_504
.LBB43_503:
	v_bfe_u32 v3, v5, 16, 3
	v_ffbh_u32_e32 v7, v3
	v_min_u32_e32 v7, 32, v7
	v_lshrrev_b32_e32 v4, 19, v5
	v_subrev_u32_e32 v8, 28, v7
	v_and_b32_e32 v4, 15, v4
	v_lshlrev_b32_sdwa v8, v8, v5 dst_sel:DWORD dst_unused:UNUSED_PAD src0_sel:DWORD src1_sel:WORD_1
	v_bfe_u32 v6, v5, 19, 4
	v_sub_u32_e32 v7, 29, v7
	v_and_b32_e32 v8, 7, v8
	v_cmp_eq_u16_e32 vcc, 0, v4
	v_cndmask_b32_e32 v3, v3, v8, vcc
	v_cndmask_b32_e32 v4, v6, v7, vcc
	v_lshlrev_b32_e32 v6, 8, v5
	v_mov_b32_e32 v7, 0x3b800000
	v_lshlrev_b32_e32 v3, 20, v3
	v_and_b32_e32 v6, 0x80000000, v6
	v_lshl_add_u32 v4, v4, 23, v7
	v_or3_b32 v4, v6, v4, v3
.LBB43_504:
	s_or_b64 exec, exec, s[6:7]
	s_nop 0
	v_mfma_f32_16x16x4f32 a[0:3], v2, v4, a[0:3]
	s_movk_i32 s4, 0x7f
	v_cmp_gt_i16_sdwa s[6:7], v9, s4 src0_sel:BYTE_3 src1_sel:DWORD
	s_mov_b64 s[4:5], 0
                                        ; implicit-def: $sgpr10
	s_and_saveexec_b64 s[8:9], s[6:7]
	s_xor_b64 s[6:7], exec, s[8:9]
	s_cbranch_execnz .LBB43_2553
; %bb.505:
	s_or_saveexec_b64 s[6:7], s[6:7]
	v_mov_b32_e32 v2, s10
	s_xor_b64 exec, exec, s[6:7]
	s_cbranch_execnz .LBB43_2556
.LBB43_506:
	s_or_b64 exec, exec, s[6:7]
	s_and_saveexec_b64 s[6:7], s[4:5]
	s_cbranch_execz .LBB43_508
.LBB43_507:
	v_bfe_u32 v2, v9, 24, 3
	v_ffbh_u32_e32 v7, v2
	v_min_u32_e32 v7, 32, v7
	v_lshrrev_b32_e32 v4, 27, v9
	v_subrev_u32_e32 v8, 28, v7
	v_and_b32_e32 v4, 15, v4
	v_lshlrev_b32_sdwa v8, v8, v9 dst_sel:DWORD dst_unused:UNUSED_PAD src0_sel:DWORD src1_sel:BYTE_3
	v_bfe_u32 v6, v9, 27, 4
	v_sub_u32_e32 v7, 29, v7
	v_and_b32_e32 v8, 7, v8
	v_cmp_eq_u16_e32 vcc, 0, v4
	v_cndmask_b32_e32 v2, v2, v8, vcc
	v_cndmask_b32_e32 v4, v6, v7, vcc
	v_mov_b32_e32 v6, 0x3b800000
	v_and_b32_e32 v3, 0x80000000, v9
	v_lshlrev_b32_e32 v2, 20, v2
	v_lshl_add_u32 v4, v4, 23, v6
	v_or3_b32 v2, v3, v4, v2
.LBB43_508:
	s_or_b64 exec, exec, s[6:7]
	s_movk_i32 s4, 0x7f
	v_cmp_gt_i16_sdwa s[6:7], v5, s4 src0_sel:BYTE_3 src1_sel:DWORD
	s_mov_b64 s[4:5], 0
                                        ; implicit-def: $sgpr10
	s_and_saveexec_b64 s[8:9], s[6:7]
	s_xor_b64 s[6:7], exec, s[8:9]
	s_cbranch_execnz .LBB43_2557
; %bb.509:
	s_or_saveexec_b64 s[6:7], s[6:7]
	v_mov_b32_e32 v3, s10
	s_xor_b64 exec, exec, s[6:7]
	s_cbranch_execnz .LBB43_2560
.LBB43_510:
	s_or_b64 exec, exec, s[6:7]
	s_and_saveexec_b64 s[6:7], s[4:5]
	s_cbranch_execz .LBB43_512
.LBB43_511:
	v_bfe_u32 v3, v5, 24, 3
	v_ffbh_u32_e32 v8, v3
	v_min_u32_e32 v8, 32, v8
	v_lshrrev_b32_e32 v6, 27, v5
	v_subrev_u32_e32 v9, 28, v8
	v_and_b32_e32 v4, 0x80000000, v5
	v_and_b32_e32 v6, 15, v6
	v_bfe_u32 v7, v5, 27, 4
	v_lshlrev_b32_sdwa v5, v9, v5 dst_sel:DWORD dst_unused:UNUSED_PAD src0_sel:DWORD src1_sel:BYTE_3
	v_sub_u32_e32 v8, 29, v8
	v_and_b32_e32 v5, 7, v5
	v_cmp_eq_u16_e32 vcc, 0, v6
	v_cndmask_b32_e32 v3, v3, v5, vcc
	v_cndmask_b32_e32 v5, v7, v8, vcc
	v_mov_b32_e32 v6, 0x3b800000
	v_lshlrev_b32_e32 v3, 20, v3
	v_lshl_add_u32 v5, v5, 23, v6
	v_or3_b32 v3, v4, v5, v3
.LBB43_512:
	s_or_b64 exec, exec, s[6:7]
	s_nop 0
	v_mfma_f32_16x16x4f32 a[0:3], v2, v3, a[0:3]
	s_movk_i32 s4, 0x7f
                                        ; implicit-def: $sgpr10
	s_nop 7
	s_nop 1
	flat_store_dwordx4 v[18:19], a[0:3] offset:912
	flat_load_dwordx4 v[20:23], v[0:1] offset:16
	s_nop 0
	flat_load_dwordx2 v[18:19], v[0:1] offset:32
	s_waitcnt vmcnt(0) lgkmcnt(0)
	flat_load_dwordx4 v[14:17], v[20:21] offset:32
	flat_load_dwordx4 v[6:9], v[20:21] offset:48
	;; [unrolled: 1-line block ×4, first 2 shown]
	s_waitcnt vmcnt(0) lgkmcnt(0)
	v_cmp_gt_i16_sdwa s[6:7], v14, s4 src0_sel:BYTE_0 src1_sel:DWORD
	s_mov_b64 s[4:5], 0
	s_and_saveexec_b64 s[8:9], s[6:7]
	s_xor_b64 s[6:7], exec, s[8:9]
	s_cbranch_execnz .LBB43_2561
; %bb.513:
	s_or_saveexec_b64 s[6:7], s[6:7]
	v_mov_b32_e32 v20, s10
	s_xor_b64 exec, exec, s[6:7]
	s_cbranch_execnz .LBB43_2564
.LBB43_514:
	s_or_b64 exec, exec, s[6:7]
	s_and_saveexec_b64 s[6:7], s[4:5]
	s_cbranch_execz .LBB43_516
.LBB43_515:
	v_and_b32_e32 v20, 7, v14
	v_ffbh_u32_e32 v22, v20
	v_min_u32_e32 v22, 32, v22
	v_lshrrev_b16_e32 v21, 3, v14
	v_subrev_u32_e32 v23, 28, v22
	v_and_b32_e32 v21, 15, v21
	v_lshlrev_b32_e32 v23, v23, v14
	v_sub_u32_e32 v22, 29, v22
	v_and_b32_e32 v23, 7, v23
	v_cmp_eq_u16_e32 vcc, 0, v21
	v_cndmask_b32_e32 v20, v20, v23, vcc
	v_cndmask_b32_e32 v21, v21, v22, vcc
	v_lshlrev_b32_e32 v22, 24, v14
	v_mov_b32_e32 v23, 0x3b800000
	v_lshlrev_b32_e32 v20, 20, v20
	v_and_b32_e32 v22, 0x80000000, v22
	v_lshl_add_u32 v21, v21, 23, v23
	v_or3_b32 v20, v22, v21, v20
.LBB43_516:
	s_or_b64 exec, exec, s[6:7]
	s_movk_i32 s4, 0x7f
	v_cmp_gt_i16_sdwa s[6:7], v10, s4 src0_sel:BYTE_0 src1_sel:DWORD
	s_mov_b64 s[4:5], 0
                                        ; implicit-def: $sgpr10
	s_and_saveexec_b64 s[8:9], s[6:7]
	s_xor_b64 s[6:7], exec, s[8:9]
	s_cbranch_execnz .LBB43_2565
; %bb.517:
	s_or_saveexec_b64 s[6:7], s[6:7]
	v_mov_b32_e32 v21, s10
	s_xor_b64 exec, exec, s[6:7]
	s_cbranch_execnz .LBB43_2568
.LBB43_518:
	s_or_b64 exec, exec, s[6:7]
	s_and_saveexec_b64 s[6:7], s[4:5]
	s_cbranch_execz .LBB43_520
.LBB43_519:
	v_and_b32_e32 v21, 7, v10
	v_ffbh_u32_e32 v23, v21
	v_min_u32_e32 v23, 32, v23
	v_lshrrev_b16_e32 v22, 3, v10
	v_subrev_u32_e32 v24, 28, v23
	v_and_b32_e32 v22, 15, v22
	v_lshlrev_b32_e32 v24, v24, v10
	v_sub_u32_e32 v23, 29, v23
	v_and_b32_e32 v24, 7, v24
	v_cmp_eq_u16_e32 vcc, 0, v22
	v_cndmask_b32_e32 v21, v21, v24, vcc
	v_cndmask_b32_e32 v22, v22, v23, vcc
	v_lshlrev_b32_e32 v23, 24, v10
	v_mov_b32_e32 v24, 0x3b800000
	v_lshlrev_b32_e32 v21, 20, v21
	v_and_b32_e32 v23, 0x80000000, v23
	v_lshl_add_u32 v22, v22, 23, v24
	v_or3_b32 v21, v23, v22, v21
.LBB43_520:
	s_or_b64 exec, exec, s[6:7]
	flat_load_dwordx4 a[0:3], v[18:19] offset:928
	s_movk_i32 s4, 0x7f
                                        ; implicit-def: $sgpr10
	s_waitcnt vmcnt(0) lgkmcnt(0)
	v_mfma_f32_16x16x4f32 a[0:3], v20, v21, a[0:3]
	v_lshrrev_b32_e32 v21, 8, v14
	v_cmp_gt_i16_sdwa s[6:7], v21, s4 src0_sel:BYTE_0 src1_sel:DWORD
	s_mov_b64 s[4:5], 0
	s_and_saveexec_b64 s[8:9], s[6:7]
	s_xor_b64 s[6:7], exec, s[8:9]
	s_cbranch_execnz .LBB43_2569
; %bb.521:
	s_or_saveexec_b64 s[6:7], s[6:7]
	v_mov_b32_e32 v20, s10
	s_xor_b64 exec, exec, s[6:7]
	s_cbranch_execnz .LBB43_2572
.LBB43_522:
	s_or_b64 exec, exec, s[6:7]
	s_and_saveexec_b64 s[6:7], s[4:5]
	s_cbranch_execz .LBB43_524
.LBB43_523:
	v_bfe_u32 v20, v14, 8, 3
	v_ffbh_u32_e32 v23, v20
	v_min_u32_e32 v23, 32, v23
	v_lshrrev_b16_e32 v22, 3, v21
	v_subrev_u32_e32 v24, 28, v23
	v_and_b32_e32 v22, 15, v22
	v_lshlrev_b32_e32 v21, v24, v21
	v_sub_u32_e32 v23, 29, v23
	v_and_b32_e32 v21, 7, v21
	v_cmp_eq_u16_e32 vcc, 0, v22
	v_cndmask_b32_e32 v20, v20, v21, vcc
	v_cndmask_b32_e32 v21, v22, v23, vcc
	v_lshlrev_b32_e32 v22, 16, v14
	v_mov_b32_e32 v23, 0x3b800000
	v_lshlrev_b32_e32 v20, 20, v20
	v_and_b32_e32 v22, 0x80000000, v22
	v_lshl_add_u32 v21, v21, 23, v23
	v_or3_b32 v20, v22, v21, v20
.LBB43_524:
	s_or_b64 exec, exec, s[6:7]
	v_lshrrev_b32_e32 v21, 8, v10
	s_movk_i32 s4, 0x7f
	v_cmp_gt_i16_sdwa s[6:7], v21, s4 src0_sel:BYTE_0 src1_sel:DWORD
	s_mov_b64 s[4:5], 0
                                        ; implicit-def: $sgpr10
	s_and_saveexec_b64 s[8:9], s[6:7]
	s_xor_b64 s[6:7], exec, s[8:9]
	s_cbranch_execnz .LBB43_2573
; %bb.525:
	s_or_saveexec_b64 s[6:7], s[6:7]
	v_mov_b32_e32 v22, s10
	s_xor_b64 exec, exec, s[6:7]
	s_cbranch_execnz .LBB43_2576
.LBB43_526:
	s_or_b64 exec, exec, s[6:7]
	s_and_saveexec_b64 s[6:7], s[4:5]
	s_cbranch_execz .LBB43_528
.LBB43_527:
	v_bfe_u32 v22, v10, 8, 3
	v_ffbh_u32_e32 v24, v22
	v_min_u32_e32 v24, 32, v24
	v_lshrrev_b16_e32 v23, 3, v21
	v_subrev_u32_e32 v25, 28, v24
	v_and_b32_e32 v23, 15, v23
	v_lshlrev_b32_e32 v21, v25, v21
	v_sub_u32_e32 v24, 29, v24
	v_and_b32_e32 v21, 7, v21
	v_cmp_eq_u16_e32 vcc, 0, v23
	v_cndmask_b32_e32 v21, v22, v21, vcc
	v_cndmask_b32_e32 v22, v23, v24, vcc
	v_lshlrev_b32_e32 v23, 16, v10
	v_mov_b32_e32 v24, 0x3b800000
	v_lshlrev_b32_e32 v21, 20, v21
	v_and_b32_e32 v23, 0x80000000, v23
	v_lshl_add_u32 v22, v22, 23, v24
	v_or3_b32 v22, v23, v22, v21
.LBB43_528:
	s_or_b64 exec, exec, s[6:7]
	s_nop 0
	v_mfma_f32_16x16x4f32 a[0:3], v20, v22, a[0:3]
	s_movk_i32 s4, 0xff
	v_and_b32_sdwa v21, v14, s4 dst_sel:DWORD dst_unused:UNUSED_PAD src0_sel:WORD_1 src1_sel:DWORD
	s_movk_i32 s4, 0x7f
	v_cmp_lt_i16_e32 vcc, s4, v21
	s_mov_b64 s[4:5], 0
                                        ; implicit-def: $sgpr10
	s_and_saveexec_b64 s[6:7], vcc
	s_xor_b64 s[6:7], exec, s[6:7]
	s_cbranch_execnz .LBB43_2577
; %bb.529:
	s_or_saveexec_b64 s[6:7], s[6:7]
	v_mov_b32_e32 v20, s10
	s_xor_b64 exec, exec, s[6:7]
	s_cbranch_execnz .LBB43_2580
.LBB43_530:
	s_or_b64 exec, exec, s[6:7]
	s_and_saveexec_b64 s[6:7], s[4:5]
	s_cbranch_execz .LBB43_532
.LBB43_531:
	v_bfe_u32 v20, v14, 16, 3
	v_ffbh_u32_e32 v23, v20
	v_min_u32_e32 v23, 32, v23
	v_lshrrev_b32_e32 v21, 19, v14
	v_subrev_u32_e32 v24, 28, v23
	v_and_b32_e32 v21, 15, v21
	v_lshlrev_b32_sdwa v24, v24, v14 dst_sel:DWORD dst_unused:UNUSED_PAD src0_sel:DWORD src1_sel:WORD_1
	v_bfe_u32 v22, v14, 19, 4
	v_sub_u32_e32 v23, 29, v23
	v_and_b32_e32 v24, 7, v24
	v_cmp_eq_u16_e32 vcc, 0, v21
	v_cndmask_b32_e32 v20, v20, v24, vcc
	v_cndmask_b32_e32 v21, v22, v23, vcc
	v_lshlrev_b32_e32 v22, 8, v14
	v_mov_b32_e32 v23, 0x3b800000
	v_lshlrev_b32_e32 v20, 20, v20
	v_and_b32_e32 v22, 0x80000000, v22
	v_lshl_add_u32 v21, v21, 23, v23
	v_or3_b32 v20, v22, v21, v20
.LBB43_532:
	s_or_b64 exec, exec, s[6:7]
	s_movk_i32 s4, 0xff
	v_and_b32_sdwa v21, v10, s4 dst_sel:DWORD dst_unused:UNUSED_PAD src0_sel:WORD_1 src1_sel:DWORD
	s_movk_i32 s4, 0x7f
	v_cmp_lt_i16_e32 vcc, s4, v21
	s_mov_b64 s[4:5], 0
                                        ; implicit-def: $sgpr10
	s_and_saveexec_b64 s[6:7], vcc
	s_xor_b64 s[6:7], exec, s[6:7]
	s_cbranch_execnz .LBB43_2581
; %bb.533:
	s_or_saveexec_b64 s[6:7], s[6:7]
	v_mov_b32_e32 v22, s10
	s_xor_b64 exec, exec, s[6:7]
	s_cbranch_execnz .LBB43_2584
.LBB43_534:
	s_or_b64 exec, exec, s[6:7]
	s_and_saveexec_b64 s[6:7], s[4:5]
	s_cbranch_execz .LBB43_536
.LBB43_535:
	v_bfe_u32 v21, v10, 16, 3
	v_ffbh_u32_e32 v24, v21
	v_min_u32_e32 v24, 32, v24
	v_lshrrev_b32_e32 v22, 19, v10
	v_subrev_u32_e32 v25, 28, v24
	v_and_b32_e32 v22, 15, v22
	v_lshlrev_b32_sdwa v25, v25, v10 dst_sel:DWORD dst_unused:UNUSED_PAD src0_sel:DWORD src1_sel:WORD_1
	v_bfe_u32 v23, v10, 19, 4
	v_sub_u32_e32 v24, 29, v24
	v_and_b32_e32 v25, 7, v25
	v_cmp_eq_u16_e32 vcc, 0, v22
	v_cndmask_b32_e32 v21, v21, v25, vcc
	v_cndmask_b32_e32 v22, v23, v24, vcc
	v_lshlrev_b32_e32 v23, 8, v10
	v_mov_b32_e32 v24, 0x3b800000
	v_lshlrev_b32_e32 v21, 20, v21
	v_and_b32_e32 v23, 0x80000000, v23
	v_lshl_add_u32 v22, v22, 23, v24
	v_or3_b32 v22, v23, v22, v21
.LBB43_536:
	s_or_b64 exec, exec, s[6:7]
	s_nop 0
	v_mfma_f32_16x16x4f32 a[0:3], v20, v22, a[0:3]
	s_movk_i32 s4, 0x7f
	v_cmp_gt_i16_sdwa s[6:7], v14, s4 src0_sel:BYTE_3 src1_sel:DWORD
	s_mov_b64 s[4:5], 0
                                        ; implicit-def: $sgpr10
	s_and_saveexec_b64 s[8:9], s[6:7]
	s_xor_b64 s[6:7], exec, s[8:9]
	s_cbranch_execnz .LBB43_2585
; %bb.537:
	s_or_saveexec_b64 s[6:7], s[6:7]
	v_mov_b32_e32 v20, s10
	s_xor_b64 exec, exec, s[6:7]
	s_cbranch_execnz .LBB43_2588
.LBB43_538:
	s_or_b64 exec, exec, s[6:7]
	s_and_saveexec_b64 s[6:7], s[4:5]
	s_cbranch_execz .LBB43_540
.LBB43_539:
	v_bfe_u32 v20, v14, 24, 3
	v_ffbh_u32_e32 v24, v20
	v_min_u32_e32 v24, 32, v24
	v_lshrrev_b32_e32 v22, 27, v14
	v_subrev_u32_e32 v25, 28, v24
	v_and_b32_e32 v21, 0x80000000, v14
	v_and_b32_e32 v22, 15, v22
	v_bfe_u32 v23, v14, 27, 4
	v_lshlrev_b32_sdwa v14, v25, v14 dst_sel:DWORD dst_unused:UNUSED_PAD src0_sel:DWORD src1_sel:BYTE_3
	v_sub_u32_e32 v24, 29, v24
	v_and_b32_e32 v14, 7, v14
	v_cmp_eq_u16_e32 vcc, 0, v22
	v_cndmask_b32_e32 v14, v20, v14, vcc
	v_cndmask_b32_e32 v20, v23, v24, vcc
	v_mov_b32_e32 v22, 0x3b800000
	v_lshlrev_b32_e32 v14, 20, v14
	v_lshl_add_u32 v20, v20, 23, v22
	v_or3_b32 v20, v21, v20, v14
.LBB43_540:
	s_or_b64 exec, exec, s[6:7]
	s_movk_i32 s4, 0x7f
	v_cmp_gt_i16_sdwa s[6:7], v10, s4 src0_sel:BYTE_3 src1_sel:DWORD
	s_mov_b64 s[4:5], 0
                                        ; implicit-def: $sgpr10
	s_and_saveexec_b64 s[8:9], s[6:7]
	s_xor_b64 s[6:7], exec, s[8:9]
	s_cbranch_execnz .LBB43_2589
; %bb.541:
	s_or_saveexec_b64 s[6:7], s[6:7]
	v_mov_b32_e32 v14, s10
	s_xor_b64 exec, exec, s[6:7]
	s_cbranch_execnz .LBB43_2592
.LBB43_542:
	s_or_b64 exec, exec, s[6:7]
	s_and_saveexec_b64 s[6:7], s[4:5]
	s_cbranch_execz .LBB43_544
.LBB43_543:
	v_bfe_u32 v14, v10, 24, 3
	v_ffbh_u32_e32 v24, v14
	v_min_u32_e32 v24, 32, v24
	v_lshrrev_b32_e32 v22, 27, v10
	v_subrev_u32_e32 v25, 28, v24
	v_and_b32_e32 v21, 0x80000000, v10
	v_and_b32_e32 v22, 15, v22
	v_bfe_u32 v23, v10, 27, 4
	v_lshlrev_b32_sdwa v10, v25, v10 dst_sel:DWORD dst_unused:UNUSED_PAD src0_sel:DWORD src1_sel:BYTE_3
	v_sub_u32_e32 v24, 29, v24
	v_and_b32_e32 v10, 7, v10
	v_cmp_eq_u16_e32 vcc, 0, v22
	v_cndmask_b32_e32 v10, v14, v10, vcc
	v_cndmask_b32_e32 v14, v23, v24, vcc
	v_mov_b32_e32 v22, 0x3b800000
	v_lshlrev_b32_e32 v10, 20, v10
	v_lshl_add_u32 v14, v14, 23, v22
	v_or3_b32 v14, v21, v14, v10
.LBB43_544:
	s_or_b64 exec, exec, s[6:7]
	s_nop 0
	v_mfma_f32_16x16x4f32 a[0:3], v20, v14, a[0:3]
	s_movk_i32 s4, 0x7f
	v_cmp_gt_i16_sdwa s[6:7], v15, s4 src0_sel:BYTE_0 src1_sel:DWORD
	s_mov_b64 s[4:5], 0
                                        ; implicit-def: $sgpr10
	s_and_saveexec_b64 s[8:9], s[6:7]
	s_xor_b64 s[6:7], exec, s[8:9]
	s_cbranch_execnz .LBB43_2593
; %bb.545:
	s_or_saveexec_b64 s[6:7], s[6:7]
	v_mov_b32_e32 v10, s10
	s_xor_b64 exec, exec, s[6:7]
	s_cbranch_execnz .LBB43_2596
.LBB43_546:
	s_or_b64 exec, exec, s[6:7]
	s_and_saveexec_b64 s[6:7], s[4:5]
	s_cbranch_execz .LBB43_548
.LBB43_547:
	v_and_b32_e32 v10, 7, v15
	v_ffbh_u32_e32 v20, v10
	v_min_u32_e32 v20, 32, v20
	v_lshrrev_b16_e32 v14, 3, v15
	v_subrev_u32_e32 v21, 28, v20
	v_and_b32_e32 v14, 15, v14
	v_lshlrev_b32_e32 v21, v21, v15
	v_sub_u32_e32 v20, 29, v20
	v_and_b32_e32 v21, 7, v21
	v_cmp_eq_u16_e32 vcc, 0, v14
	v_cndmask_b32_e32 v10, v10, v21, vcc
	v_cndmask_b32_e32 v14, v14, v20, vcc
	v_lshlrev_b32_e32 v20, 24, v15
	v_mov_b32_e32 v21, 0x3b800000
	v_lshlrev_b32_e32 v10, 20, v10
	v_and_b32_e32 v20, 0x80000000, v20
	v_lshl_add_u32 v14, v14, 23, v21
	v_or3_b32 v10, v20, v14, v10
.LBB43_548:
	s_or_b64 exec, exec, s[6:7]
	s_movk_i32 s4, 0x7f
	v_cmp_gt_i16_sdwa s[6:7], v11, s4 src0_sel:BYTE_0 src1_sel:DWORD
	s_mov_b64 s[4:5], 0
                                        ; implicit-def: $sgpr10
	s_and_saveexec_b64 s[8:9], s[6:7]
	s_xor_b64 s[6:7], exec, s[8:9]
	s_cbranch_execnz .LBB43_2597
; %bb.549:
	s_or_saveexec_b64 s[6:7], s[6:7]
	v_mov_b32_e32 v14, s10
	s_xor_b64 exec, exec, s[6:7]
	s_cbranch_execnz .LBB43_2600
.LBB43_550:
	s_or_b64 exec, exec, s[6:7]
	s_and_saveexec_b64 s[6:7], s[4:5]
	s_cbranch_execz .LBB43_552
.LBB43_551:
	v_and_b32_e32 v14, 7, v11
	v_ffbh_u32_e32 v21, v14
	v_min_u32_e32 v21, 32, v21
	v_lshrrev_b16_e32 v20, 3, v11
	v_subrev_u32_e32 v22, 28, v21
	v_and_b32_e32 v20, 15, v20
	v_lshlrev_b32_e32 v22, v22, v11
	v_sub_u32_e32 v21, 29, v21
	v_and_b32_e32 v22, 7, v22
	v_cmp_eq_u16_e32 vcc, 0, v20
	v_cndmask_b32_e32 v14, v14, v22, vcc
	v_cndmask_b32_e32 v20, v20, v21, vcc
	v_lshlrev_b32_e32 v21, 24, v11
	v_mov_b32_e32 v22, 0x3b800000
	v_lshlrev_b32_e32 v14, 20, v14
	v_and_b32_e32 v21, 0x80000000, v21
	v_lshl_add_u32 v20, v20, 23, v22
	v_or3_b32 v14, v21, v20, v14
.LBB43_552:
	s_or_b64 exec, exec, s[6:7]
	s_nop 0
	v_mfma_f32_16x16x4f32 a[0:3], v10, v14, a[0:3]
	v_lshrrev_b32_e32 v14, 8, v15
	s_movk_i32 s4, 0x7f
	v_cmp_gt_i16_sdwa s[6:7], v14, s4 src0_sel:BYTE_0 src1_sel:DWORD
	s_mov_b64 s[4:5], 0
                                        ; implicit-def: $sgpr10
	s_and_saveexec_b64 s[8:9], s[6:7]
	s_xor_b64 s[6:7], exec, s[8:9]
	s_cbranch_execnz .LBB43_2601
; %bb.553:
	s_or_saveexec_b64 s[6:7], s[6:7]
	v_mov_b32_e32 v10, s10
	s_xor_b64 exec, exec, s[6:7]
	s_cbranch_execnz .LBB43_2604
.LBB43_554:
	s_or_b64 exec, exec, s[6:7]
	s_and_saveexec_b64 s[6:7], s[4:5]
	s_cbranch_execz .LBB43_556
.LBB43_555:
	v_bfe_u32 v10, v15, 8, 3
	v_ffbh_u32_e32 v21, v10
	v_min_u32_e32 v21, 32, v21
	v_lshrrev_b16_e32 v20, 3, v14
	v_subrev_u32_e32 v22, 28, v21
	v_and_b32_e32 v20, 15, v20
	v_lshlrev_b32_e32 v14, v22, v14
	v_sub_u32_e32 v21, 29, v21
	v_and_b32_e32 v14, 7, v14
	v_cmp_eq_u16_e32 vcc, 0, v20
	v_cndmask_b32_e32 v10, v10, v14, vcc
	v_cndmask_b32_e32 v14, v20, v21, vcc
	v_lshlrev_b32_e32 v20, 16, v15
	v_mov_b32_e32 v21, 0x3b800000
	v_lshlrev_b32_e32 v10, 20, v10
	v_and_b32_e32 v20, 0x80000000, v20
	v_lshl_add_u32 v14, v14, 23, v21
	v_or3_b32 v10, v20, v14, v10
.LBB43_556:
	s_or_b64 exec, exec, s[6:7]
	v_lshrrev_b32_e32 v14, 8, v11
	s_movk_i32 s4, 0x7f
	v_cmp_gt_i16_sdwa s[6:7], v14, s4 src0_sel:BYTE_0 src1_sel:DWORD
	s_mov_b64 s[4:5], 0
                                        ; implicit-def: $sgpr10
	s_and_saveexec_b64 s[8:9], s[6:7]
	s_xor_b64 s[6:7], exec, s[8:9]
	s_cbranch_execnz .LBB43_2605
; %bb.557:
	s_or_saveexec_b64 s[6:7], s[6:7]
	v_mov_b32_e32 v20, s10
	s_xor_b64 exec, exec, s[6:7]
	s_cbranch_execnz .LBB43_2608
.LBB43_558:
	s_or_b64 exec, exec, s[6:7]
	s_and_saveexec_b64 s[6:7], s[4:5]
	s_cbranch_execz .LBB43_560
.LBB43_559:
	v_bfe_u32 v20, v11, 8, 3
	v_ffbh_u32_e32 v22, v20
	v_min_u32_e32 v22, 32, v22
	v_lshrrev_b16_e32 v21, 3, v14
	v_subrev_u32_e32 v23, 28, v22
	v_and_b32_e32 v21, 15, v21
	v_lshlrev_b32_e32 v14, v23, v14
	v_sub_u32_e32 v22, 29, v22
	v_and_b32_e32 v14, 7, v14
	v_cmp_eq_u16_e32 vcc, 0, v21
	v_cndmask_b32_e32 v14, v20, v14, vcc
	v_cndmask_b32_e32 v20, v21, v22, vcc
	v_lshlrev_b32_e32 v21, 16, v11
	v_mov_b32_e32 v22, 0x3b800000
	v_lshlrev_b32_e32 v14, 20, v14
	v_and_b32_e32 v21, 0x80000000, v21
	v_lshl_add_u32 v20, v20, 23, v22
	v_or3_b32 v20, v21, v20, v14
.LBB43_560:
	s_or_b64 exec, exec, s[6:7]
	s_nop 0
	v_mfma_f32_16x16x4f32 a[0:3], v10, v20, a[0:3]
	s_movk_i32 s4, 0xff
	v_and_b32_sdwa v14, v15, s4 dst_sel:DWORD dst_unused:UNUSED_PAD src0_sel:WORD_1 src1_sel:DWORD
	s_movk_i32 s4, 0x7f
	v_cmp_lt_i16_e32 vcc, s4, v14
	s_mov_b64 s[4:5], 0
                                        ; implicit-def: $sgpr10
	s_and_saveexec_b64 s[6:7], vcc
	s_xor_b64 s[6:7], exec, s[6:7]
	s_cbranch_execnz .LBB43_2609
; %bb.561:
	s_or_saveexec_b64 s[6:7], s[6:7]
	v_mov_b32_e32 v10, s10
	s_xor_b64 exec, exec, s[6:7]
	s_cbranch_execnz .LBB43_2612
.LBB43_562:
	s_or_b64 exec, exec, s[6:7]
	s_and_saveexec_b64 s[6:7], s[4:5]
	s_cbranch_execz .LBB43_564
.LBB43_563:
	v_bfe_u32 v10, v15, 16, 3
	v_ffbh_u32_e32 v21, v10
	v_min_u32_e32 v21, 32, v21
	v_lshrrev_b32_e32 v14, 19, v15
	v_subrev_u32_e32 v22, 28, v21
	v_and_b32_e32 v14, 15, v14
	v_lshlrev_b32_sdwa v22, v22, v15 dst_sel:DWORD dst_unused:UNUSED_PAD src0_sel:DWORD src1_sel:WORD_1
	v_bfe_u32 v20, v15, 19, 4
	v_sub_u32_e32 v21, 29, v21
	v_and_b32_e32 v22, 7, v22
	v_cmp_eq_u16_e32 vcc, 0, v14
	v_cndmask_b32_e32 v10, v10, v22, vcc
	v_cndmask_b32_e32 v14, v20, v21, vcc
	v_lshlrev_b32_e32 v20, 8, v15
	v_mov_b32_e32 v21, 0x3b800000
	v_lshlrev_b32_e32 v10, 20, v10
	v_and_b32_e32 v20, 0x80000000, v20
	v_lshl_add_u32 v14, v14, 23, v21
	v_or3_b32 v10, v20, v14, v10
.LBB43_564:
	s_or_b64 exec, exec, s[6:7]
	s_movk_i32 s4, 0xff
	v_and_b32_sdwa v14, v11, s4 dst_sel:DWORD dst_unused:UNUSED_PAD src0_sel:WORD_1 src1_sel:DWORD
	s_movk_i32 s4, 0x7f
	v_cmp_lt_i16_e32 vcc, s4, v14
	s_mov_b64 s[4:5], 0
                                        ; implicit-def: $sgpr10
	s_and_saveexec_b64 s[6:7], vcc
	s_xor_b64 s[6:7], exec, s[6:7]
	s_cbranch_execnz .LBB43_2613
; %bb.565:
	s_or_saveexec_b64 s[6:7], s[6:7]
	v_mov_b32_e32 v20, s10
	s_xor_b64 exec, exec, s[6:7]
	s_cbranch_execnz .LBB43_2616
.LBB43_566:
	s_or_b64 exec, exec, s[6:7]
	s_and_saveexec_b64 s[6:7], s[4:5]
	s_cbranch_execz .LBB43_568
.LBB43_567:
	v_bfe_u32 v14, v11, 16, 3
	v_ffbh_u32_e32 v22, v14
	v_min_u32_e32 v22, 32, v22
	v_lshrrev_b32_e32 v20, 19, v11
	v_subrev_u32_e32 v23, 28, v22
	v_and_b32_e32 v20, 15, v20
	v_lshlrev_b32_sdwa v23, v23, v11 dst_sel:DWORD dst_unused:UNUSED_PAD src0_sel:DWORD src1_sel:WORD_1
	v_bfe_u32 v21, v11, 19, 4
	v_sub_u32_e32 v22, 29, v22
	v_and_b32_e32 v23, 7, v23
	v_cmp_eq_u16_e32 vcc, 0, v20
	v_cndmask_b32_e32 v14, v14, v23, vcc
	v_cndmask_b32_e32 v20, v21, v22, vcc
	v_lshlrev_b32_e32 v21, 8, v11
	v_mov_b32_e32 v22, 0x3b800000
	v_lshlrev_b32_e32 v14, 20, v14
	v_and_b32_e32 v21, 0x80000000, v21
	v_lshl_add_u32 v20, v20, 23, v22
	v_or3_b32 v20, v21, v20, v14
.LBB43_568:
	s_or_b64 exec, exec, s[6:7]
	s_nop 0
	v_mfma_f32_16x16x4f32 a[0:3], v10, v20, a[0:3]
	s_movk_i32 s4, 0x7f
	v_cmp_gt_i16_sdwa s[6:7], v15, s4 src0_sel:BYTE_3 src1_sel:DWORD
	s_mov_b64 s[4:5], 0
                                        ; implicit-def: $sgpr10
	s_and_saveexec_b64 s[8:9], s[6:7]
	s_xor_b64 s[6:7], exec, s[8:9]
	s_cbranch_execnz .LBB43_2617
; %bb.569:
	s_or_saveexec_b64 s[6:7], s[6:7]
	v_mov_b32_e32 v10, s10
	s_xor_b64 exec, exec, s[6:7]
	s_cbranch_execnz .LBB43_2620
.LBB43_570:
	s_or_b64 exec, exec, s[6:7]
	s_and_saveexec_b64 s[6:7], s[4:5]
	s_cbranch_execz .LBB43_572
.LBB43_571:
	v_bfe_u32 v10, v15, 24, 3
	v_ffbh_u32_e32 v22, v10
	v_min_u32_e32 v22, 32, v22
	v_lshrrev_b32_e32 v20, 27, v15
	v_subrev_u32_e32 v23, 28, v22
	v_and_b32_e32 v14, 0x80000000, v15
	v_and_b32_e32 v20, 15, v20
	v_bfe_u32 v21, v15, 27, 4
	v_lshlrev_b32_sdwa v15, v23, v15 dst_sel:DWORD dst_unused:UNUSED_PAD src0_sel:DWORD src1_sel:BYTE_3
	v_sub_u32_e32 v22, 29, v22
	v_and_b32_e32 v15, 7, v15
	v_cmp_eq_u16_e32 vcc, 0, v20
	v_cndmask_b32_e32 v10, v10, v15, vcc
	v_cndmask_b32_e32 v15, v21, v22, vcc
	v_mov_b32_e32 v20, 0x3b800000
	v_lshlrev_b32_e32 v10, 20, v10
	v_lshl_add_u32 v15, v15, 23, v20
	v_or3_b32 v10, v14, v15, v10
.LBB43_572:
	s_or_b64 exec, exec, s[6:7]
	s_movk_i32 s4, 0x7f
	v_cmp_gt_i16_sdwa s[6:7], v11, s4 src0_sel:BYTE_3 src1_sel:DWORD
	s_mov_b64 s[4:5], 0
                                        ; implicit-def: $sgpr10
	s_and_saveexec_b64 s[8:9], s[6:7]
	s_xor_b64 s[6:7], exec, s[8:9]
	s_cbranch_execnz .LBB43_2621
; %bb.573:
	s_or_saveexec_b64 s[6:7], s[6:7]
	v_mov_b32_e32 v14, s10
	s_xor_b64 exec, exec, s[6:7]
	s_cbranch_execnz .LBB43_2624
.LBB43_574:
	s_or_b64 exec, exec, s[6:7]
	s_and_saveexec_b64 s[6:7], s[4:5]
	s_cbranch_execz .LBB43_576
.LBB43_575:
	v_bfe_u32 v14, v11, 24, 3
	v_ffbh_u32_e32 v22, v14
	v_min_u32_e32 v22, 32, v22
	v_lshrrev_b32_e32 v20, 27, v11
	v_subrev_u32_e32 v23, 28, v22
	v_and_b32_e32 v15, 0x80000000, v11
	v_and_b32_e32 v20, 15, v20
	v_bfe_u32 v21, v11, 27, 4
	v_lshlrev_b32_sdwa v11, v23, v11 dst_sel:DWORD dst_unused:UNUSED_PAD src0_sel:DWORD src1_sel:BYTE_3
	v_sub_u32_e32 v22, 29, v22
	v_and_b32_e32 v11, 7, v11
	v_cmp_eq_u16_e32 vcc, 0, v20
	v_cndmask_b32_e32 v11, v14, v11, vcc
	v_cndmask_b32_e32 v14, v21, v22, vcc
	v_mov_b32_e32 v20, 0x3b800000
	v_lshlrev_b32_e32 v11, 20, v11
	v_lshl_add_u32 v14, v14, 23, v20
	v_or3_b32 v14, v15, v14, v11
.LBB43_576:
	s_or_b64 exec, exec, s[6:7]
	s_nop 0
	v_mfma_f32_16x16x4f32 a[0:3], v10, v14, a[0:3]
	s_movk_i32 s4, 0x7f
	v_cmp_gt_i16_sdwa s[6:7], v16, s4 src0_sel:BYTE_0 src1_sel:DWORD
	s_mov_b64 s[4:5], 0
                                        ; implicit-def: $sgpr10
	s_and_saveexec_b64 s[8:9], s[6:7]
	s_xor_b64 s[6:7], exec, s[8:9]
	s_cbranch_execnz .LBB43_2625
; %bb.577:
	s_or_saveexec_b64 s[6:7], s[6:7]
	v_mov_b32_e32 v10, s10
	s_xor_b64 exec, exec, s[6:7]
	s_cbranch_execnz .LBB43_2628
.LBB43_578:
	s_or_b64 exec, exec, s[6:7]
	s_and_saveexec_b64 s[6:7], s[4:5]
	s_cbranch_execz .LBB43_580
.LBB43_579:
	v_and_b32_e32 v10, 7, v16
	v_ffbh_u32_e32 v14, v10
	v_min_u32_e32 v14, 32, v14
	v_lshrrev_b16_e32 v11, 3, v16
	v_subrev_u32_e32 v15, 28, v14
	v_and_b32_e32 v11, 15, v11
	v_lshlrev_b32_e32 v15, v15, v16
	v_sub_u32_e32 v14, 29, v14
	v_and_b32_e32 v15, 7, v15
	v_cmp_eq_u16_e32 vcc, 0, v11
	v_cndmask_b32_e32 v10, v10, v15, vcc
	v_cndmask_b32_e32 v11, v11, v14, vcc
	v_lshlrev_b32_e32 v14, 24, v16
	v_mov_b32_e32 v15, 0x3b800000
	v_lshlrev_b32_e32 v10, 20, v10
	v_and_b32_e32 v14, 0x80000000, v14
	v_lshl_add_u32 v11, v11, 23, v15
	v_or3_b32 v10, v14, v11, v10
.LBB43_580:
	s_or_b64 exec, exec, s[6:7]
	s_movk_i32 s4, 0x7f
	v_cmp_gt_i16_sdwa s[6:7], v12, s4 src0_sel:BYTE_0 src1_sel:DWORD
	s_mov_b64 s[4:5], 0
                                        ; implicit-def: $sgpr10
	s_and_saveexec_b64 s[8:9], s[6:7]
	s_xor_b64 s[6:7], exec, s[8:9]
	s_cbranch_execnz .LBB43_2629
; %bb.581:
	s_or_saveexec_b64 s[6:7], s[6:7]
	v_mov_b32_e32 v11, s10
	s_xor_b64 exec, exec, s[6:7]
	s_cbranch_execnz .LBB43_2632
.LBB43_582:
	s_or_b64 exec, exec, s[6:7]
	s_and_saveexec_b64 s[6:7], s[4:5]
	s_cbranch_execz .LBB43_584
.LBB43_583:
	v_and_b32_e32 v11, 7, v12
	v_ffbh_u32_e32 v15, v11
	v_min_u32_e32 v15, 32, v15
	v_lshrrev_b16_e32 v14, 3, v12
	v_subrev_u32_e32 v20, 28, v15
	v_and_b32_e32 v14, 15, v14
	v_lshlrev_b32_e32 v20, v20, v12
	v_sub_u32_e32 v15, 29, v15
	v_and_b32_e32 v20, 7, v20
	v_cmp_eq_u16_e32 vcc, 0, v14
	v_cndmask_b32_e32 v11, v11, v20, vcc
	v_cndmask_b32_e32 v14, v14, v15, vcc
	v_lshlrev_b32_e32 v15, 24, v12
	v_mov_b32_e32 v20, 0x3b800000
	v_lshlrev_b32_e32 v11, 20, v11
	v_and_b32_e32 v15, 0x80000000, v15
	v_lshl_add_u32 v14, v14, 23, v20
	v_or3_b32 v11, v15, v14, v11
.LBB43_584:
	s_or_b64 exec, exec, s[6:7]
	s_nop 0
	v_mfma_f32_16x16x4f32 a[0:3], v10, v11, a[0:3]
	v_lshrrev_b32_e32 v11, 8, v16
	s_movk_i32 s4, 0x7f
	v_cmp_gt_i16_sdwa s[6:7], v11, s4 src0_sel:BYTE_0 src1_sel:DWORD
	s_mov_b64 s[4:5], 0
                                        ; implicit-def: $sgpr10
	s_and_saveexec_b64 s[8:9], s[6:7]
	s_xor_b64 s[6:7], exec, s[8:9]
	s_cbranch_execnz .LBB43_2633
; %bb.585:
	s_or_saveexec_b64 s[6:7], s[6:7]
	v_mov_b32_e32 v10, s10
	s_xor_b64 exec, exec, s[6:7]
	s_cbranch_execnz .LBB43_2636
.LBB43_586:
	s_or_b64 exec, exec, s[6:7]
	s_and_saveexec_b64 s[6:7], s[4:5]
	s_cbranch_execz .LBB43_588
.LBB43_587:
	v_bfe_u32 v10, v16, 8, 3
	v_ffbh_u32_e32 v15, v10
	v_min_u32_e32 v15, 32, v15
	v_lshrrev_b16_e32 v14, 3, v11
	v_subrev_u32_e32 v20, 28, v15
	v_and_b32_e32 v14, 15, v14
	v_lshlrev_b32_e32 v11, v20, v11
	v_sub_u32_e32 v15, 29, v15
	v_and_b32_e32 v11, 7, v11
	v_cmp_eq_u16_e32 vcc, 0, v14
	v_cndmask_b32_e32 v10, v10, v11, vcc
	v_cndmask_b32_e32 v11, v14, v15, vcc
	v_lshlrev_b32_e32 v14, 16, v16
	v_mov_b32_e32 v15, 0x3b800000
	v_lshlrev_b32_e32 v10, 20, v10
	v_and_b32_e32 v14, 0x80000000, v14
	v_lshl_add_u32 v11, v11, 23, v15
	v_or3_b32 v10, v14, v11, v10
.LBB43_588:
	s_or_b64 exec, exec, s[6:7]
	v_lshrrev_b32_e32 v11, 8, v12
	s_movk_i32 s4, 0x7f
	v_cmp_gt_i16_sdwa s[6:7], v11, s4 src0_sel:BYTE_0 src1_sel:DWORD
	s_mov_b64 s[4:5], 0
                                        ; implicit-def: $sgpr10
	s_and_saveexec_b64 s[8:9], s[6:7]
	s_xor_b64 s[6:7], exec, s[8:9]
	s_cbranch_execnz .LBB43_2637
; %bb.589:
	s_or_saveexec_b64 s[6:7], s[6:7]
	v_mov_b32_e32 v14, s10
	s_xor_b64 exec, exec, s[6:7]
	s_cbranch_execnz .LBB43_2640
.LBB43_590:
	s_or_b64 exec, exec, s[6:7]
	s_and_saveexec_b64 s[6:7], s[4:5]
	s_cbranch_execz .LBB43_592
.LBB43_591:
	v_bfe_u32 v14, v12, 8, 3
	v_ffbh_u32_e32 v20, v14
	v_min_u32_e32 v20, 32, v20
	v_lshrrev_b16_e32 v15, 3, v11
	v_subrev_u32_e32 v21, 28, v20
	v_and_b32_e32 v15, 15, v15
	v_lshlrev_b32_e32 v11, v21, v11
	v_sub_u32_e32 v20, 29, v20
	v_and_b32_e32 v11, 7, v11
	v_cmp_eq_u16_e32 vcc, 0, v15
	v_cndmask_b32_e32 v11, v14, v11, vcc
	v_cndmask_b32_e32 v14, v15, v20, vcc
	v_lshlrev_b32_e32 v15, 16, v12
	v_mov_b32_e32 v20, 0x3b800000
	v_lshlrev_b32_e32 v11, 20, v11
	v_and_b32_e32 v15, 0x80000000, v15
	v_lshl_add_u32 v14, v14, 23, v20
	v_or3_b32 v14, v15, v14, v11
.LBB43_592:
	s_or_b64 exec, exec, s[6:7]
	s_nop 0
	v_mfma_f32_16x16x4f32 a[0:3], v10, v14, a[0:3]
	s_movk_i32 s4, 0xff
	v_and_b32_sdwa v11, v16, s4 dst_sel:DWORD dst_unused:UNUSED_PAD src0_sel:WORD_1 src1_sel:DWORD
	s_movk_i32 s4, 0x7f
	v_cmp_lt_i16_e32 vcc, s4, v11
	s_mov_b64 s[4:5], 0
                                        ; implicit-def: $sgpr10
	s_and_saveexec_b64 s[6:7], vcc
	s_xor_b64 s[6:7], exec, s[6:7]
	s_cbranch_execnz .LBB43_2641
; %bb.593:
	s_or_saveexec_b64 s[6:7], s[6:7]
	v_mov_b32_e32 v10, s10
	s_xor_b64 exec, exec, s[6:7]
	s_cbranch_execnz .LBB43_2644
.LBB43_594:
	s_or_b64 exec, exec, s[6:7]
	s_and_saveexec_b64 s[6:7], s[4:5]
	s_cbranch_execz .LBB43_596
.LBB43_595:
	v_bfe_u32 v10, v16, 16, 3
	v_ffbh_u32_e32 v15, v10
	v_min_u32_e32 v15, 32, v15
	v_lshrrev_b32_e32 v11, 19, v16
	v_subrev_u32_e32 v20, 28, v15
	v_and_b32_e32 v11, 15, v11
	v_lshlrev_b32_sdwa v20, v20, v16 dst_sel:DWORD dst_unused:UNUSED_PAD src0_sel:DWORD src1_sel:WORD_1
	v_bfe_u32 v14, v16, 19, 4
	v_sub_u32_e32 v15, 29, v15
	v_and_b32_e32 v20, 7, v20
	v_cmp_eq_u16_e32 vcc, 0, v11
	v_cndmask_b32_e32 v10, v10, v20, vcc
	v_cndmask_b32_e32 v11, v14, v15, vcc
	v_lshlrev_b32_e32 v14, 8, v16
	v_mov_b32_e32 v15, 0x3b800000
	v_lshlrev_b32_e32 v10, 20, v10
	v_and_b32_e32 v14, 0x80000000, v14
	v_lshl_add_u32 v11, v11, 23, v15
	v_or3_b32 v10, v14, v11, v10
.LBB43_596:
	s_or_b64 exec, exec, s[6:7]
	s_movk_i32 s4, 0xff
	v_and_b32_sdwa v11, v12, s4 dst_sel:DWORD dst_unused:UNUSED_PAD src0_sel:WORD_1 src1_sel:DWORD
	s_movk_i32 s4, 0x7f
	v_cmp_lt_i16_e32 vcc, s4, v11
	s_mov_b64 s[4:5], 0
                                        ; implicit-def: $sgpr10
	s_and_saveexec_b64 s[6:7], vcc
	s_xor_b64 s[6:7], exec, s[6:7]
	s_cbranch_execnz .LBB43_2645
; %bb.597:
	s_or_saveexec_b64 s[6:7], s[6:7]
	v_mov_b32_e32 v14, s10
	s_xor_b64 exec, exec, s[6:7]
	s_cbranch_execnz .LBB43_2648
.LBB43_598:
	s_or_b64 exec, exec, s[6:7]
	s_and_saveexec_b64 s[6:7], s[4:5]
	s_cbranch_execz .LBB43_600
.LBB43_599:
	v_bfe_u32 v11, v12, 16, 3
	v_ffbh_u32_e32 v20, v11
	v_min_u32_e32 v20, 32, v20
	v_lshrrev_b32_e32 v14, 19, v12
	v_subrev_u32_e32 v21, 28, v20
	v_and_b32_e32 v14, 15, v14
	v_lshlrev_b32_sdwa v21, v21, v12 dst_sel:DWORD dst_unused:UNUSED_PAD src0_sel:DWORD src1_sel:WORD_1
	v_bfe_u32 v15, v12, 19, 4
	v_sub_u32_e32 v20, 29, v20
	v_and_b32_e32 v21, 7, v21
	v_cmp_eq_u16_e32 vcc, 0, v14
	v_cndmask_b32_e32 v11, v11, v21, vcc
	v_cndmask_b32_e32 v14, v15, v20, vcc
	v_lshlrev_b32_e32 v15, 8, v12
	v_mov_b32_e32 v20, 0x3b800000
	v_lshlrev_b32_e32 v11, 20, v11
	v_and_b32_e32 v15, 0x80000000, v15
	v_lshl_add_u32 v14, v14, 23, v20
	v_or3_b32 v14, v15, v14, v11
.LBB43_600:
	s_or_b64 exec, exec, s[6:7]
	s_nop 0
	v_mfma_f32_16x16x4f32 a[0:3], v10, v14, a[0:3]
	s_movk_i32 s4, 0x7f
	v_cmp_gt_i16_sdwa s[6:7], v16, s4 src0_sel:BYTE_3 src1_sel:DWORD
	s_mov_b64 s[4:5], 0
                                        ; implicit-def: $sgpr10
	s_and_saveexec_b64 s[8:9], s[6:7]
	s_xor_b64 s[6:7], exec, s[8:9]
	s_cbranch_execnz .LBB43_2649
; %bb.601:
	s_or_saveexec_b64 s[6:7], s[6:7]
	v_mov_b32_e32 v10, s10
	s_xor_b64 exec, exec, s[6:7]
	s_cbranch_execnz .LBB43_2652
.LBB43_602:
	s_or_b64 exec, exec, s[6:7]
	s_and_saveexec_b64 s[6:7], s[4:5]
	s_cbranch_execz .LBB43_604
.LBB43_603:
	v_bfe_u32 v10, v16, 24, 3
	v_ffbh_u32_e32 v20, v10
	v_min_u32_e32 v20, 32, v20
	v_lshrrev_b32_e32 v14, 27, v16
	v_subrev_u32_e32 v21, 28, v20
	v_and_b32_e32 v11, 0x80000000, v16
	v_and_b32_e32 v14, 15, v14
	v_bfe_u32 v15, v16, 27, 4
	v_lshlrev_b32_sdwa v16, v21, v16 dst_sel:DWORD dst_unused:UNUSED_PAD src0_sel:DWORD src1_sel:BYTE_3
	v_sub_u32_e32 v20, 29, v20
	v_and_b32_e32 v16, 7, v16
	v_cmp_eq_u16_e32 vcc, 0, v14
	v_cndmask_b32_e32 v10, v10, v16, vcc
	v_cndmask_b32_e32 v14, v15, v20, vcc
	v_mov_b32_e32 v15, 0x3b800000
	v_lshlrev_b32_e32 v10, 20, v10
	v_lshl_add_u32 v14, v14, 23, v15
	v_or3_b32 v10, v11, v14, v10
.LBB43_604:
	s_or_b64 exec, exec, s[6:7]
	s_movk_i32 s4, 0x7f
	v_cmp_gt_i16_sdwa s[6:7], v12, s4 src0_sel:BYTE_3 src1_sel:DWORD
	s_mov_b64 s[4:5], 0
                                        ; implicit-def: $sgpr10
	s_and_saveexec_b64 s[8:9], s[6:7]
	s_xor_b64 s[6:7], exec, s[8:9]
	s_cbranch_execnz .LBB43_2653
; %bb.605:
	s_or_saveexec_b64 s[6:7], s[6:7]
	v_mov_b32_e32 v11, s10
	s_xor_b64 exec, exec, s[6:7]
	s_cbranch_execnz .LBB43_2656
.LBB43_606:
	s_or_b64 exec, exec, s[6:7]
	s_and_saveexec_b64 s[6:7], s[4:5]
	s_cbranch_execz .LBB43_608
.LBB43_607:
	v_bfe_u32 v11, v12, 24, 3
	v_ffbh_u32_e32 v20, v11
	v_min_u32_e32 v20, 32, v20
	v_lshrrev_b32_e32 v15, 27, v12
	v_subrev_u32_e32 v21, 28, v20
	v_and_b32_e32 v14, 0x80000000, v12
	v_and_b32_e32 v15, 15, v15
	v_bfe_u32 v16, v12, 27, 4
	v_lshlrev_b32_sdwa v12, v21, v12 dst_sel:DWORD dst_unused:UNUSED_PAD src0_sel:DWORD src1_sel:BYTE_3
	v_sub_u32_e32 v20, 29, v20
	v_and_b32_e32 v12, 7, v12
	v_cmp_eq_u16_e32 vcc, 0, v15
	v_cndmask_b32_e32 v11, v11, v12, vcc
	v_cndmask_b32_e32 v12, v16, v20, vcc
	v_mov_b32_e32 v15, 0x3b800000
	v_lshlrev_b32_e32 v11, 20, v11
	v_lshl_add_u32 v12, v12, 23, v15
	v_or3_b32 v11, v14, v12, v11
.LBB43_608:
	s_or_b64 exec, exec, s[6:7]
	s_nop 0
	v_mfma_f32_16x16x4f32 a[0:3], v10, v11, a[0:3]
	s_movk_i32 s4, 0x7f
	v_cmp_gt_i16_sdwa s[6:7], v17, s4 src0_sel:BYTE_0 src1_sel:DWORD
	s_mov_b64 s[4:5], 0
                                        ; implicit-def: $sgpr10
	s_and_saveexec_b64 s[8:9], s[6:7]
	s_xor_b64 s[6:7], exec, s[8:9]
	s_cbranch_execnz .LBB43_2657
; %bb.609:
	s_or_saveexec_b64 s[6:7], s[6:7]
	v_mov_b32_e32 v10, s10
	s_xor_b64 exec, exec, s[6:7]
	s_cbranch_execnz .LBB43_2660
.LBB43_610:
	s_or_b64 exec, exec, s[6:7]
	s_and_saveexec_b64 s[6:7], s[4:5]
	s_cbranch_execz .LBB43_612
.LBB43_611:
	v_and_b32_e32 v10, 7, v17
	v_ffbh_u32_e32 v12, v10
	v_min_u32_e32 v12, 32, v12
	v_lshrrev_b16_e32 v11, 3, v17
	v_subrev_u32_e32 v14, 28, v12
	v_and_b32_e32 v11, 15, v11
	v_lshlrev_b32_e32 v14, v14, v17
	v_sub_u32_e32 v12, 29, v12
	v_and_b32_e32 v14, 7, v14
	v_cmp_eq_u16_e32 vcc, 0, v11
	v_cndmask_b32_e32 v10, v10, v14, vcc
	v_cndmask_b32_e32 v11, v11, v12, vcc
	v_lshlrev_b32_e32 v12, 24, v17
	v_mov_b32_e32 v14, 0x3b800000
	v_lshlrev_b32_e32 v10, 20, v10
	v_and_b32_e32 v12, 0x80000000, v12
	v_lshl_add_u32 v11, v11, 23, v14
	v_or3_b32 v10, v12, v11, v10
.LBB43_612:
	s_or_b64 exec, exec, s[6:7]
	s_movk_i32 s4, 0x7f
	v_cmp_gt_i16_sdwa s[6:7], v13, s4 src0_sel:BYTE_0 src1_sel:DWORD
	s_mov_b64 s[4:5], 0
                                        ; implicit-def: $sgpr10
	s_and_saveexec_b64 s[8:9], s[6:7]
	s_xor_b64 s[6:7], exec, s[8:9]
	s_cbranch_execnz .LBB43_2661
; %bb.613:
	s_or_saveexec_b64 s[6:7], s[6:7]
	v_mov_b32_e32 v11, s10
	s_xor_b64 exec, exec, s[6:7]
	s_cbranch_execnz .LBB43_2664
.LBB43_614:
	s_or_b64 exec, exec, s[6:7]
	s_and_saveexec_b64 s[6:7], s[4:5]
	s_cbranch_execz .LBB43_616
.LBB43_615:
	v_and_b32_e32 v11, 7, v13
	v_ffbh_u32_e32 v14, v11
	v_min_u32_e32 v14, 32, v14
	v_lshrrev_b16_e32 v12, 3, v13
	v_subrev_u32_e32 v15, 28, v14
	v_and_b32_e32 v12, 15, v12
	v_lshlrev_b32_e32 v15, v15, v13
	v_sub_u32_e32 v14, 29, v14
	v_and_b32_e32 v15, 7, v15
	v_cmp_eq_u16_e32 vcc, 0, v12
	v_cndmask_b32_e32 v11, v11, v15, vcc
	v_cndmask_b32_e32 v12, v12, v14, vcc
	v_lshlrev_b32_e32 v14, 24, v13
	v_mov_b32_e32 v15, 0x3b800000
	v_lshlrev_b32_e32 v11, 20, v11
	v_and_b32_e32 v14, 0x80000000, v14
	v_lshl_add_u32 v12, v12, 23, v15
	v_or3_b32 v11, v14, v12, v11
.LBB43_616:
	s_or_b64 exec, exec, s[6:7]
	s_nop 0
	v_mfma_f32_16x16x4f32 a[0:3], v10, v11, a[0:3]
	v_lshrrev_b32_e32 v11, 8, v17
	s_movk_i32 s4, 0x7f
	v_cmp_gt_i16_sdwa s[6:7], v11, s4 src0_sel:BYTE_0 src1_sel:DWORD
	s_mov_b64 s[4:5], 0
                                        ; implicit-def: $sgpr10
	s_and_saveexec_b64 s[8:9], s[6:7]
	s_xor_b64 s[6:7], exec, s[8:9]
	s_cbranch_execnz .LBB43_2665
; %bb.617:
	s_or_saveexec_b64 s[6:7], s[6:7]
	v_mov_b32_e32 v10, s10
	s_xor_b64 exec, exec, s[6:7]
	s_cbranch_execnz .LBB43_2668
.LBB43_618:
	s_or_b64 exec, exec, s[6:7]
	s_and_saveexec_b64 s[6:7], s[4:5]
	s_cbranch_execz .LBB43_620
.LBB43_619:
	v_bfe_u32 v10, v17, 8, 3
	v_ffbh_u32_e32 v14, v10
	v_min_u32_e32 v14, 32, v14
	v_lshrrev_b16_e32 v12, 3, v11
	v_subrev_u32_e32 v15, 28, v14
	v_and_b32_e32 v12, 15, v12
	v_lshlrev_b32_e32 v11, v15, v11
	v_sub_u32_e32 v14, 29, v14
	v_and_b32_e32 v11, 7, v11
	v_cmp_eq_u16_e32 vcc, 0, v12
	v_cndmask_b32_e32 v10, v10, v11, vcc
	v_cndmask_b32_e32 v11, v12, v14, vcc
	v_lshlrev_b32_e32 v12, 16, v17
	v_mov_b32_e32 v14, 0x3b800000
	v_lshlrev_b32_e32 v10, 20, v10
	v_and_b32_e32 v12, 0x80000000, v12
	v_lshl_add_u32 v11, v11, 23, v14
	v_or3_b32 v10, v12, v11, v10
.LBB43_620:
	s_or_b64 exec, exec, s[6:7]
	v_lshrrev_b32_e32 v11, 8, v13
	s_movk_i32 s4, 0x7f
	v_cmp_gt_i16_sdwa s[6:7], v11, s4 src0_sel:BYTE_0 src1_sel:DWORD
	s_mov_b64 s[4:5], 0
                                        ; implicit-def: $sgpr10
	s_and_saveexec_b64 s[8:9], s[6:7]
	s_xor_b64 s[6:7], exec, s[8:9]
	s_cbranch_execnz .LBB43_2669
; %bb.621:
	s_or_saveexec_b64 s[6:7], s[6:7]
	v_mov_b32_e32 v12, s10
	s_xor_b64 exec, exec, s[6:7]
	s_cbranch_execnz .LBB43_2672
.LBB43_622:
	s_or_b64 exec, exec, s[6:7]
	s_and_saveexec_b64 s[6:7], s[4:5]
	s_cbranch_execz .LBB43_624
.LBB43_623:
	v_bfe_u32 v12, v13, 8, 3
	v_ffbh_u32_e32 v15, v12
	v_min_u32_e32 v15, 32, v15
	v_lshrrev_b16_e32 v14, 3, v11
	v_subrev_u32_e32 v16, 28, v15
	v_and_b32_e32 v14, 15, v14
	v_lshlrev_b32_e32 v11, v16, v11
	v_sub_u32_e32 v15, 29, v15
	v_and_b32_e32 v11, 7, v11
	v_cmp_eq_u16_e32 vcc, 0, v14
	v_cndmask_b32_e32 v11, v12, v11, vcc
	v_cndmask_b32_e32 v12, v14, v15, vcc
	v_lshlrev_b32_e32 v14, 16, v13
	v_mov_b32_e32 v15, 0x3b800000
	v_lshlrev_b32_e32 v11, 20, v11
	v_and_b32_e32 v14, 0x80000000, v14
	v_lshl_add_u32 v12, v12, 23, v15
	v_or3_b32 v12, v14, v12, v11
.LBB43_624:
	s_or_b64 exec, exec, s[6:7]
	s_nop 0
	v_mfma_f32_16x16x4f32 a[0:3], v10, v12, a[0:3]
	s_movk_i32 s4, 0xff
	v_and_b32_sdwa v11, v17, s4 dst_sel:DWORD dst_unused:UNUSED_PAD src0_sel:WORD_1 src1_sel:DWORD
	s_movk_i32 s4, 0x7f
	v_cmp_lt_i16_e32 vcc, s4, v11
	s_mov_b64 s[4:5], 0
                                        ; implicit-def: $sgpr10
	s_and_saveexec_b64 s[6:7], vcc
	s_xor_b64 s[6:7], exec, s[6:7]
	s_cbranch_execnz .LBB43_2673
; %bb.625:
	s_or_saveexec_b64 s[6:7], s[6:7]
	v_mov_b32_e32 v10, s10
	s_xor_b64 exec, exec, s[6:7]
	s_cbranch_execnz .LBB43_2676
.LBB43_626:
	s_or_b64 exec, exec, s[6:7]
	s_and_saveexec_b64 s[6:7], s[4:5]
	s_cbranch_execz .LBB43_628
.LBB43_627:
	v_bfe_u32 v10, v17, 16, 3
	v_ffbh_u32_e32 v14, v10
	v_min_u32_e32 v14, 32, v14
	v_lshrrev_b32_e32 v11, 19, v17
	v_subrev_u32_e32 v15, 28, v14
	v_and_b32_e32 v11, 15, v11
	v_lshlrev_b32_sdwa v15, v15, v17 dst_sel:DWORD dst_unused:UNUSED_PAD src0_sel:DWORD src1_sel:WORD_1
	v_bfe_u32 v12, v17, 19, 4
	v_sub_u32_e32 v14, 29, v14
	v_and_b32_e32 v15, 7, v15
	v_cmp_eq_u16_e32 vcc, 0, v11
	v_cndmask_b32_e32 v10, v10, v15, vcc
	v_cndmask_b32_e32 v11, v12, v14, vcc
	v_lshlrev_b32_e32 v12, 8, v17
	v_mov_b32_e32 v14, 0x3b800000
	v_lshlrev_b32_e32 v10, 20, v10
	v_and_b32_e32 v12, 0x80000000, v12
	v_lshl_add_u32 v11, v11, 23, v14
	v_or3_b32 v10, v12, v11, v10
.LBB43_628:
	s_or_b64 exec, exec, s[6:7]
	s_movk_i32 s4, 0xff
	v_and_b32_sdwa v11, v13, s4 dst_sel:DWORD dst_unused:UNUSED_PAD src0_sel:WORD_1 src1_sel:DWORD
	s_movk_i32 s4, 0x7f
	v_cmp_lt_i16_e32 vcc, s4, v11
	s_mov_b64 s[4:5], 0
                                        ; implicit-def: $sgpr10
	s_and_saveexec_b64 s[6:7], vcc
	s_xor_b64 s[6:7], exec, s[6:7]
	s_cbranch_execnz .LBB43_2677
; %bb.629:
	s_or_saveexec_b64 s[6:7], s[6:7]
	v_mov_b32_e32 v12, s10
	s_xor_b64 exec, exec, s[6:7]
	s_cbranch_execnz .LBB43_2680
.LBB43_630:
	s_or_b64 exec, exec, s[6:7]
	s_and_saveexec_b64 s[6:7], s[4:5]
	s_cbranch_execz .LBB43_632
.LBB43_631:
	v_bfe_u32 v11, v13, 16, 3
	v_ffbh_u32_e32 v15, v11
	v_min_u32_e32 v15, 32, v15
	v_lshrrev_b32_e32 v12, 19, v13
	v_subrev_u32_e32 v16, 28, v15
	v_and_b32_e32 v12, 15, v12
	v_lshlrev_b32_sdwa v16, v16, v13 dst_sel:DWORD dst_unused:UNUSED_PAD src0_sel:DWORD src1_sel:WORD_1
	v_bfe_u32 v14, v13, 19, 4
	v_sub_u32_e32 v15, 29, v15
	v_and_b32_e32 v16, 7, v16
	v_cmp_eq_u16_e32 vcc, 0, v12
	v_cndmask_b32_e32 v11, v11, v16, vcc
	v_cndmask_b32_e32 v12, v14, v15, vcc
	v_lshlrev_b32_e32 v14, 8, v13
	v_mov_b32_e32 v15, 0x3b800000
	v_lshlrev_b32_e32 v11, 20, v11
	v_and_b32_e32 v14, 0x80000000, v14
	v_lshl_add_u32 v12, v12, 23, v15
	v_or3_b32 v12, v14, v12, v11
.LBB43_632:
	s_or_b64 exec, exec, s[6:7]
	s_nop 0
	v_mfma_f32_16x16x4f32 a[0:3], v10, v12, a[0:3]
	s_movk_i32 s4, 0x7f
	v_cmp_gt_i16_sdwa s[6:7], v17, s4 src0_sel:BYTE_3 src1_sel:DWORD
	s_mov_b64 s[4:5], 0
                                        ; implicit-def: $sgpr10
	s_and_saveexec_b64 s[8:9], s[6:7]
	s_xor_b64 s[6:7], exec, s[8:9]
	s_cbranch_execnz .LBB43_2681
; %bb.633:
	s_or_saveexec_b64 s[6:7], s[6:7]
	v_mov_b32_e32 v10, s10
	s_xor_b64 exec, exec, s[6:7]
	s_cbranch_execnz .LBB43_2684
.LBB43_634:
	s_or_b64 exec, exec, s[6:7]
	s_and_saveexec_b64 s[6:7], s[4:5]
	s_cbranch_execz .LBB43_636
.LBB43_635:
	v_bfe_u32 v10, v17, 24, 3
	v_ffbh_u32_e32 v15, v10
	v_min_u32_e32 v15, 32, v15
	v_lshrrev_b32_e32 v12, 27, v17
	v_subrev_u32_e32 v16, 28, v15
	v_and_b32_e32 v12, 15, v12
	v_lshlrev_b32_sdwa v16, v16, v17 dst_sel:DWORD dst_unused:UNUSED_PAD src0_sel:DWORD src1_sel:BYTE_3
	v_bfe_u32 v14, v17, 27, 4
	v_sub_u32_e32 v15, 29, v15
	v_and_b32_e32 v16, 7, v16
	v_cmp_eq_u16_e32 vcc, 0, v12
	v_cndmask_b32_e32 v10, v10, v16, vcc
	v_cndmask_b32_e32 v12, v14, v15, vcc
	v_mov_b32_e32 v14, 0x3b800000
	v_and_b32_e32 v11, 0x80000000, v17
	v_lshlrev_b32_e32 v10, 20, v10
	v_lshl_add_u32 v12, v12, 23, v14
	v_or3_b32 v10, v11, v12, v10
.LBB43_636:
	s_or_b64 exec, exec, s[6:7]
	s_movk_i32 s4, 0x7f
	v_cmp_gt_i16_sdwa s[6:7], v13, s4 src0_sel:BYTE_3 src1_sel:DWORD
	s_mov_b64 s[4:5], 0
                                        ; implicit-def: $sgpr10
	s_and_saveexec_b64 s[8:9], s[6:7]
	s_xor_b64 s[6:7], exec, s[8:9]
	s_cbranch_execnz .LBB43_2685
; %bb.637:
	s_or_saveexec_b64 s[6:7], s[6:7]
	v_mov_b32_e32 v11, s10
	s_xor_b64 exec, exec, s[6:7]
	s_cbranch_execnz .LBB43_2688
.LBB43_638:
	s_or_b64 exec, exec, s[6:7]
	s_and_saveexec_b64 s[6:7], s[4:5]
	s_cbranch_execz .LBB43_640
.LBB43_639:
	v_bfe_u32 v11, v13, 24, 3
	v_ffbh_u32_e32 v16, v11
	v_min_u32_e32 v16, 32, v16
	v_lshrrev_b32_e32 v14, 27, v13
	v_subrev_u32_e32 v17, 28, v16
	v_and_b32_e32 v12, 0x80000000, v13
	v_and_b32_e32 v14, 15, v14
	v_bfe_u32 v15, v13, 27, 4
	v_lshlrev_b32_sdwa v13, v17, v13 dst_sel:DWORD dst_unused:UNUSED_PAD src0_sel:DWORD src1_sel:BYTE_3
	v_sub_u32_e32 v16, 29, v16
	v_and_b32_e32 v13, 7, v13
	v_cmp_eq_u16_e32 vcc, 0, v14
	v_cndmask_b32_e32 v11, v11, v13, vcc
	v_cndmask_b32_e32 v13, v15, v16, vcc
	v_mov_b32_e32 v14, 0x3b800000
	v_lshlrev_b32_e32 v11, 20, v11
	v_lshl_add_u32 v13, v13, 23, v14
	v_or3_b32 v11, v12, v13, v11
.LBB43_640:
	s_or_b64 exec, exec, s[6:7]
	s_nop 0
	v_mfma_f32_16x16x4f32 a[0:3], v10, v11, a[0:3]
	s_movk_i32 s4, 0x7f
	v_cmp_gt_i16_sdwa s[6:7], v6, s4 src0_sel:BYTE_0 src1_sel:DWORD
	s_mov_b64 s[4:5], 0
                                        ; implicit-def: $sgpr10
	s_and_saveexec_b64 s[8:9], s[6:7]
	s_xor_b64 s[6:7], exec, s[8:9]
	s_cbranch_execnz .LBB43_2689
; %bb.641:
	s_or_saveexec_b64 s[6:7], s[6:7]
	v_mov_b32_e32 v10, s10
	s_xor_b64 exec, exec, s[6:7]
	s_cbranch_execnz .LBB43_2692
.LBB43_642:
	s_or_b64 exec, exec, s[6:7]
	s_and_saveexec_b64 s[6:7], s[4:5]
	s_cbranch_execz .LBB43_644
.LBB43_643:
	v_and_b32_e32 v10, 7, v6
	v_ffbh_u32_e32 v12, v10
	v_min_u32_e32 v12, 32, v12
	v_lshrrev_b16_e32 v11, 3, v6
	v_subrev_u32_e32 v13, 28, v12
	v_and_b32_e32 v11, 15, v11
	v_lshlrev_b32_e32 v13, v13, v6
	v_sub_u32_e32 v12, 29, v12
	v_and_b32_e32 v13, 7, v13
	v_cmp_eq_u16_e32 vcc, 0, v11
	v_cndmask_b32_e32 v10, v10, v13, vcc
	v_cndmask_b32_e32 v11, v11, v12, vcc
	v_lshlrev_b32_e32 v12, 24, v6
	v_mov_b32_e32 v13, 0x3b800000
	v_lshlrev_b32_e32 v10, 20, v10
	v_and_b32_e32 v12, 0x80000000, v12
	v_lshl_add_u32 v11, v11, 23, v13
	v_or3_b32 v10, v12, v11, v10
.LBB43_644:
	s_or_b64 exec, exec, s[6:7]
	s_movk_i32 s4, 0x7f
	v_cmp_gt_i16_sdwa s[6:7], v2, s4 src0_sel:BYTE_0 src1_sel:DWORD
	s_mov_b64 s[4:5], 0
                                        ; implicit-def: $sgpr10
	s_and_saveexec_b64 s[8:9], s[6:7]
	s_xor_b64 s[6:7], exec, s[8:9]
	s_cbranch_execnz .LBB43_2693
; %bb.645:
	s_or_saveexec_b64 s[6:7], s[6:7]
	v_mov_b32_e32 v11, s10
	s_xor_b64 exec, exec, s[6:7]
	s_cbranch_execnz .LBB43_2696
.LBB43_646:
	s_or_b64 exec, exec, s[6:7]
	s_and_saveexec_b64 s[6:7], s[4:5]
	s_cbranch_execz .LBB43_648
.LBB43_647:
	v_and_b32_e32 v11, 7, v2
	v_ffbh_u32_e32 v13, v11
	v_min_u32_e32 v13, 32, v13
	v_lshrrev_b16_e32 v12, 3, v2
	v_subrev_u32_e32 v14, 28, v13
	v_and_b32_e32 v12, 15, v12
	v_lshlrev_b32_e32 v14, v14, v2
	v_sub_u32_e32 v13, 29, v13
	v_and_b32_e32 v14, 7, v14
	v_cmp_eq_u16_e32 vcc, 0, v12
	v_cndmask_b32_e32 v11, v11, v14, vcc
	v_cndmask_b32_e32 v12, v12, v13, vcc
	v_lshlrev_b32_e32 v13, 24, v2
	v_mov_b32_e32 v14, 0x3b800000
	v_lshlrev_b32_e32 v11, 20, v11
	v_and_b32_e32 v13, 0x80000000, v13
	v_lshl_add_u32 v12, v12, 23, v14
	v_or3_b32 v11, v13, v12, v11
.LBB43_648:
	s_or_b64 exec, exec, s[6:7]
	s_nop 0
	v_mfma_f32_16x16x4f32 a[0:3], v10, v11, a[0:3]
	v_lshrrev_b32_e32 v11, 8, v6
	s_movk_i32 s4, 0x7f
	v_cmp_gt_i16_sdwa s[6:7], v11, s4 src0_sel:BYTE_0 src1_sel:DWORD
	s_mov_b64 s[4:5], 0
                                        ; implicit-def: $sgpr10
	s_and_saveexec_b64 s[8:9], s[6:7]
	s_xor_b64 s[6:7], exec, s[8:9]
	s_cbranch_execnz .LBB43_2697
; %bb.649:
	s_or_saveexec_b64 s[6:7], s[6:7]
	v_mov_b32_e32 v10, s10
	s_xor_b64 exec, exec, s[6:7]
	s_cbranch_execnz .LBB43_2700
.LBB43_650:
	s_or_b64 exec, exec, s[6:7]
	s_and_saveexec_b64 s[6:7], s[4:5]
	s_cbranch_execz .LBB43_652
.LBB43_651:
	v_bfe_u32 v10, v6, 8, 3
	v_ffbh_u32_e32 v13, v10
	v_min_u32_e32 v13, 32, v13
	v_lshrrev_b16_e32 v12, 3, v11
	v_subrev_u32_e32 v14, 28, v13
	v_and_b32_e32 v12, 15, v12
	v_lshlrev_b32_e32 v11, v14, v11
	v_sub_u32_e32 v13, 29, v13
	v_and_b32_e32 v11, 7, v11
	v_cmp_eq_u16_e32 vcc, 0, v12
	v_cndmask_b32_e32 v10, v10, v11, vcc
	v_cndmask_b32_e32 v11, v12, v13, vcc
	v_lshlrev_b32_e32 v12, 16, v6
	v_mov_b32_e32 v13, 0x3b800000
	v_lshlrev_b32_e32 v10, 20, v10
	v_and_b32_e32 v12, 0x80000000, v12
	v_lshl_add_u32 v11, v11, 23, v13
	v_or3_b32 v10, v12, v11, v10
.LBB43_652:
	s_or_b64 exec, exec, s[6:7]
	v_lshrrev_b32_e32 v11, 8, v2
	s_movk_i32 s4, 0x7f
	v_cmp_gt_i16_sdwa s[6:7], v11, s4 src0_sel:BYTE_0 src1_sel:DWORD
	s_mov_b64 s[4:5], 0
                                        ; implicit-def: $sgpr10
	s_and_saveexec_b64 s[8:9], s[6:7]
	s_xor_b64 s[6:7], exec, s[8:9]
	s_cbranch_execnz .LBB43_2701
; %bb.653:
	s_or_saveexec_b64 s[6:7], s[6:7]
	v_mov_b32_e32 v12, s10
	s_xor_b64 exec, exec, s[6:7]
	s_cbranch_execnz .LBB43_2704
.LBB43_654:
	s_or_b64 exec, exec, s[6:7]
	s_and_saveexec_b64 s[6:7], s[4:5]
	s_cbranch_execz .LBB43_656
.LBB43_655:
	v_bfe_u32 v12, v2, 8, 3
	v_ffbh_u32_e32 v14, v12
	v_min_u32_e32 v14, 32, v14
	v_lshrrev_b16_e32 v13, 3, v11
	v_subrev_u32_e32 v15, 28, v14
	v_and_b32_e32 v13, 15, v13
	v_lshlrev_b32_e32 v11, v15, v11
	v_sub_u32_e32 v14, 29, v14
	v_and_b32_e32 v11, 7, v11
	v_cmp_eq_u16_e32 vcc, 0, v13
	v_cndmask_b32_e32 v11, v12, v11, vcc
	v_cndmask_b32_e32 v12, v13, v14, vcc
	v_lshlrev_b32_e32 v13, 16, v2
	v_mov_b32_e32 v14, 0x3b800000
	v_lshlrev_b32_e32 v11, 20, v11
	v_and_b32_e32 v13, 0x80000000, v13
	v_lshl_add_u32 v12, v12, 23, v14
	v_or3_b32 v12, v13, v12, v11
.LBB43_656:
	s_or_b64 exec, exec, s[6:7]
	s_nop 0
	v_mfma_f32_16x16x4f32 a[0:3], v10, v12, a[0:3]
	s_movk_i32 s4, 0xff
	v_and_b32_sdwa v11, v6, s4 dst_sel:DWORD dst_unused:UNUSED_PAD src0_sel:WORD_1 src1_sel:DWORD
	s_movk_i32 s4, 0x7f
	v_cmp_lt_i16_e32 vcc, s4, v11
	s_mov_b64 s[4:5], 0
                                        ; implicit-def: $sgpr10
	s_and_saveexec_b64 s[6:7], vcc
	s_xor_b64 s[6:7], exec, s[6:7]
	s_cbranch_execnz .LBB43_2705
; %bb.657:
	s_or_saveexec_b64 s[6:7], s[6:7]
	v_mov_b32_e32 v10, s10
	s_xor_b64 exec, exec, s[6:7]
	s_cbranch_execnz .LBB43_2708
.LBB43_658:
	s_or_b64 exec, exec, s[6:7]
	s_and_saveexec_b64 s[6:7], s[4:5]
	s_cbranch_execz .LBB43_660
.LBB43_659:
	v_bfe_u32 v10, v6, 16, 3
	v_ffbh_u32_e32 v13, v10
	v_min_u32_e32 v13, 32, v13
	v_lshrrev_b32_e32 v11, 19, v6
	v_subrev_u32_e32 v14, 28, v13
	v_and_b32_e32 v11, 15, v11
	v_lshlrev_b32_sdwa v14, v14, v6 dst_sel:DWORD dst_unused:UNUSED_PAD src0_sel:DWORD src1_sel:WORD_1
	v_bfe_u32 v12, v6, 19, 4
	v_sub_u32_e32 v13, 29, v13
	v_and_b32_e32 v14, 7, v14
	v_cmp_eq_u16_e32 vcc, 0, v11
	v_cndmask_b32_e32 v10, v10, v14, vcc
	v_cndmask_b32_e32 v11, v12, v13, vcc
	v_lshlrev_b32_e32 v12, 8, v6
	v_mov_b32_e32 v13, 0x3b800000
	v_lshlrev_b32_e32 v10, 20, v10
	v_and_b32_e32 v12, 0x80000000, v12
	v_lshl_add_u32 v11, v11, 23, v13
	v_or3_b32 v10, v12, v11, v10
.LBB43_660:
	s_or_b64 exec, exec, s[6:7]
	s_movk_i32 s4, 0xff
	v_and_b32_sdwa v11, v2, s4 dst_sel:DWORD dst_unused:UNUSED_PAD src0_sel:WORD_1 src1_sel:DWORD
	s_movk_i32 s4, 0x7f
	v_cmp_lt_i16_e32 vcc, s4, v11
	s_mov_b64 s[4:5], 0
                                        ; implicit-def: $sgpr10
	s_and_saveexec_b64 s[6:7], vcc
	s_xor_b64 s[6:7], exec, s[6:7]
	s_cbranch_execnz .LBB43_2709
; %bb.661:
	s_or_saveexec_b64 s[6:7], s[6:7]
	v_mov_b32_e32 v12, s10
	s_xor_b64 exec, exec, s[6:7]
	s_cbranch_execnz .LBB43_2712
.LBB43_662:
	s_or_b64 exec, exec, s[6:7]
	s_and_saveexec_b64 s[6:7], s[4:5]
	s_cbranch_execz .LBB43_664
.LBB43_663:
	v_bfe_u32 v11, v2, 16, 3
	v_ffbh_u32_e32 v14, v11
	v_min_u32_e32 v14, 32, v14
	v_lshrrev_b32_e32 v12, 19, v2
	v_subrev_u32_e32 v15, 28, v14
	v_and_b32_e32 v12, 15, v12
	v_lshlrev_b32_sdwa v15, v15, v2 dst_sel:DWORD dst_unused:UNUSED_PAD src0_sel:DWORD src1_sel:WORD_1
	v_bfe_u32 v13, v2, 19, 4
	v_sub_u32_e32 v14, 29, v14
	v_and_b32_e32 v15, 7, v15
	v_cmp_eq_u16_e32 vcc, 0, v12
	v_cndmask_b32_e32 v11, v11, v15, vcc
	v_cndmask_b32_e32 v12, v13, v14, vcc
	v_lshlrev_b32_e32 v13, 8, v2
	v_mov_b32_e32 v14, 0x3b800000
	v_lshlrev_b32_e32 v11, 20, v11
	v_and_b32_e32 v13, 0x80000000, v13
	v_lshl_add_u32 v12, v12, 23, v14
	v_or3_b32 v12, v13, v12, v11
.LBB43_664:
	s_or_b64 exec, exec, s[6:7]
	s_nop 0
	v_mfma_f32_16x16x4f32 a[0:3], v10, v12, a[0:3]
	s_movk_i32 s4, 0x7f
	v_cmp_gt_i16_sdwa s[6:7], v6, s4 src0_sel:BYTE_3 src1_sel:DWORD
	s_mov_b64 s[4:5], 0
                                        ; implicit-def: $sgpr10
	s_and_saveexec_b64 s[8:9], s[6:7]
	s_xor_b64 s[6:7], exec, s[8:9]
	s_cbranch_execnz .LBB43_2713
; %bb.665:
	s_or_saveexec_b64 s[6:7], s[6:7]
	v_mov_b32_e32 v10, s10
	s_xor_b64 exec, exec, s[6:7]
	s_cbranch_execnz .LBB43_2716
.LBB43_666:
	s_or_b64 exec, exec, s[6:7]
	s_and_saveexec_b64 s[6:7], s[4:5]
	s_cbranch_execz .LBB43_668
.LBB43_667:
	v_bfe_u32 v10, v6, 24, 3
	v_ffbh_u32_e32 v14, v10
	v_min_u32_e32 v14, 32, v14
	v_lshrrev_b32_e32 v12, 27, v6
	v_subrev_u32_e32 v15, 28, v14
	v_and_b32_e32 v11, 0x80000000, v6
	v_and_b32_e32 v12, 15, v12
	v_bfe_u32 v13, v6, 27, 4
	v_lshlrev_b32_sdwa v6, v15, v6 dst_sel:DWORD dst_unused:UNUSED_PAD src0_sel:DWORD src1_sel:BYTE_3
	v_sub_u32_e32 v14, 29, v14
	v_and_b32_e32 v6, 7, v6
	v_cmp_eq_u16_e32 vcc, 0, v12
	v_cndmask_b32_e32 v6, v10, v6, vcc
	v_cndmask_b32_e32 v10, v13, v14, vcc
	v_mov_b32_e32 v12, 0x3b800000
	v_lshlrev_b32_e32 v6, 20, v6
	v_lshl_add_u32 v10, v10, 23, v12
	v_or3_b32 v10, v11, v10, v6
.LBB43_668:
	s_or_b64 exec, exec, s[6:7]
	s_movk_i32 s4, 0x7f
	v_cmp_gt_i16_sdwa s[6:7], v2, s4 src0_sel:BYTE_3 src1_sel:DWORD
	s_mov_b64 s[4:5], 0
                                        ; implicit-def: $sgpr10
	s_and_saveexec_b64 s[8:9], s[6:7]
	s_xor_b64 s[6:7], exec, s[8:9]
	s_cbranch_execnz .LBB43_2717
; %bb.669:
	s_or_saveexec_b64 s[6:7], s[6:7]
	v_mov_b32_e32 v6, s10
	s_xor_b64 exec, exec, s[6:7]
	s_cbranch_execnz .LBB43_2720
.LBB43_670:
	s_or_b64 exec, exec, s[6:7]
	s_and_saveexec_b64 s[6:7], s[4:5]
	s_cbranch_execz .LBB43_672
.LBB43_671:
	v_bfe_u32 v6, v2, 24, 3
	v_ffbh_u32_e32 v14, v6
	v_min_u32_e32 v14, 32, v14
	v_lshrrev_b32_e32 v12, 27, v2
	v_subrev_u32_e32 v15, 28, v14
	v_and_b32_e32 v11, 0x80000000, v2
	v_and_b32_e32 v12, 15, v12
	v_bfe_u32 v13, v2, 27, 4
	v_lshlrev_b32_sdwa v2, v15, v2 dst_sel:DWORD dst_unused:UNUSED_PAD src0_sel:DWORD src1_sel:BYTE_3
	v_sub_u32_e32 v14, 29, v14
	v_and_b32_e32 v2, 7, v2
	v_cmp_eq_u16_e32 vcc, 0, v12
	v_cndmask_b32_e32 v2, v6, v2, vcc
	v_cndmask_b32_e32 v6, v13, v14, vcc
	v_mov_b32_e32 v12, 0x3b800000
	v_lshlrev_b32_e32 v2, 20, v2
	v_lshl_add_u32 v6, v6, 23, v12
	v_or3_b32 v6, v11, v6, v2
.LBB43_672:
	s_or_b64 exec, exec, s[6:7]
	s_nop 0
	v_mfma_f32_16x16x4f32 a[0:3], v10, v6, a[0:3]
	s_movk_i32 s4, 0x7f
	v_cmp_gt_i16_sdwa s[6:7], v7, s4 src0_sel:BYTE_0 src1_sel:DWORD
	s_mov_b64 s[4:5], 0
                                        ; implicit-def: $sgpr10
	s_and_saveexec_b64 s[8:9], s[6:7]
	s_xor_b64 s[6:7], exec, s[8:9]
	s_cbranch_execnz .LBB43_2721
; %bb.673:
	s_or_saveexec_b64 s[6:7], s[6:7]
	v_mov_b32_e32 v2, s10
	s_xor_b64 exec, exec, s[6:7]
	s_cbranch_execnz .LBB43_2724
.LBB43_674:
	s_or_b64 exec, exec, s[6:7]
	s_and_saveexec_b64 s[6:7], s[4:5]
	s_cbranch_execz .LBB43_676
.LBB43_675:
	v_and_b32_e32 v2, 7, v7
	v_ffbh_u32_e32 v10, v2
	v_min_u32_e32 v10, 32, v10
	v_lshrrev_b16_e32 v6, 3, v7
	v_subrev_u32_e32 v11, 28, v10
	v_and_b32_e32 v6, 15, v6
	v_lshlrev_b32_e32 v11, v11, v7
	v_sub_u32_e32 v10, 29, v10
	v_and_b32_e32 v11, 7, v11
	v_cmp_eq_u16_e32 vcc, 0, v6
	v_cndmask_b32_e32 v2, v2, v11, vcc
	v_cndmask_b32_e32 v6, v6, v10, vcc
	v_lshlrev_b32_e32 v10, 24, v7
	v_mov_b32_e32 v11, 0x3b800000
	v_lshlrev_b32_e32 v2, 20, v2
	v_and_b32_e32 v10, 0x80000000, v10
	v_lshl_add_u32 v6, v6, 23, v11
	v_or3_b32 v2, v10, v6, v2
.LBB43_676:
	s_or_b64 exec, exec, s[6:7]
	s_movk_i32 s4, 0x7f
	v_cmp_gt_i16_sdwa s[6:7], v3, s4 src0_sel:BYTE_0 src1_sel:DWORD
	s_mov_b64 s[4:5], 0
                                        ; implicit-def: $sgpr10
	s_and_saveexec_b64 s[8:9], s[6:7]
	s_xor_b64 s[6:7], exec, s[8:9]
	s_cbranch_execnz .LBB43_2725
; %bb.677:
	s_or_saveexec_b64 s[6:7], s[6:7]
	v_mov_b32_e32 v6, s10
	s_xor_b64 exec, exec, s[6:7]
	s_cbranch_execnz .LBB43_2728
.LBB43_678:
	s_or_b64 exec, exec, s[6:7]
	s_and_saveexec_b64 s[6:7], s[4:5]
	s_cbranch_execz .LBB43_680
.LBB43_679:
	v_and_b32_e32 v6, 7, v3
	v_ffbh_u32_e32 v11, v6
	v_min_u32_e32 v11, 32, v11
	v_lshrrev_b16_e32 v10, 3, v3
	v_subrev_u32_e32 v12, 28, v11
	v_and_b32_e32 v10, 15, v10
	v_lshlrev_b32_e32 v12, v12, v3
	v_sub_u32_e32 v11, 29, v11
	v_and_b32_e32 v12, 7, v12
	v_cmp_eq_u16_e32 vcc, 0, v10
	v_cndmask_b32_e32 v6, v6, v12, vcc
	v_cndmask_b32_e32 v10, v10, v11, vcc
	v_lshlrev_b32_e32 v11, 24, v3
	v_mov_b32_e32 v12, 0x3b800000
	v_lshlrev_b32_e32 v6, 20, v6
	v_and_b32_e32 v11, 0x80000000, v11
	v_lshl_add_u32 v10, v10, 23, v12
	v_or3_b32 v6, v11, v10, v6
.LBB43_680:
	s_or_b64 exec, exec, s[6:7]
	s_nop 0
	v_mfma_f32_16x16x4f32 a[0:3], v2, v6, a[0:3]
	v_lshrrev_b32_e32 v6, 8, v7
	s_movk_i32 s4, 0x7f
	v_cmp_gt_i16_sdwa s[6:7], v6, s4 src0_sel:BYTE_0 src1_sel:DWORD
	s_mov_b64 s[4:5], 0
                                        ; implicit-def: $sgpr10
	s_and_saveexec_b64 s[8:9], s[6:7]
	s_xor_b64 s[6:7], exec, s[8:9]
	s_cbranch_execnz .LBB43_2729
; %bb.681:
	s_or_saveexec_b64 s[6:7], s[6:7]
	v_mov_b32_e32 v2, s10
	s_xor_b64 exec, exec, s[6:7]
	s_cbranch_execnz .LBB43_2732
.LBB43_682:
	s_or_b64 exec, exec, s[6:7]
	s_and_saveexec_b64 s[6:7], s[4:5]
	s_cbranch_execz .LBB43_684
.LBB43_683:
	v_bfe_u32 v2, v7, 8, 3
	v_ffbh_u32_e32 v11, v2
	v_min_u32_e32 v11, 32, v11
	v_lshrrev_b16_e32 v10, 3, v6
	v_subrev_u32_e32 v12, 28, v11
	v_and_b32_e32 v10, 15, v10
	v_lshlrev_b32_e32 v6, v12, v6
	v_sub_u32_e32 v11, 29, v11
	v_and_b32_e32 v6, 7, v6
	v_cmp_eq_u16_e32 vcc, 0, v10
	v_cndmask_b32_e32 v2, v2, v6, vcc
	v_cndmask_b32_e32 v6, v10, v11, vcc
	v_lshlrev_b32_e32 v10, 16, v7
	v_mov_b32_e32 v11, 0x3b800000
	v_lshlrev_b32_e32 v2, 20, v2
	v_and_b32_e32 v10, 0x80000000, v10
	v_lshl_add_u32 v6, v6, 23, v11
	v_or3_b32 v2, v10, v6, v2
.LBB43_684:
	s_or_b64 exec, exec, s[6:7]
	v_lshrrev_b32_e32 v6, 8, v3
	s_movk_i32 s4, 0x7f
	v_cmp_gt_i16_sdwa s[6:7], v6, s4 src0_sel:BYTE_0 src1_sel:DWORD
	s_mov_b64 s[4:5], 0
                                        ; implicit-def: $sgpr10
	s_and_saveexec_b64 s[8:9], s[6:7]
	s_xor_b64 s[6:7], exec, s[8:9]
	s_cbranch_execnz .LBB43_2733
; %bb.685:
	s_or_saveexec_b64 s[6:7], s[6:7]
	v_mov_b32_e32 v10, s10
	s_xor_b64 exec, exec, s[6:7]
	s_cbranch_execnz .LBB43_2736
.LBB43_686:
	s_or_b64 exec, exec, s[6:7]
	s_and_saveexec_b64 s[6:7], s[4:5]
	s_cbranch_execz .LBB43_688
.LBB43_687:
	v_bfe_u32 v10, v3, 8, 3
	v_ffbh_u32_e32 v12, v10
	v_min_u32_e32 v12, 32, v12
	v_lshrrev_b16_e32 v11, 3, v6
	v_subrev_u32_e32 v13, 28, v12
	v_and_b32_e32 v11, 15, v11
	v_lshlrev_b32_e32 v6, v13, v6
	v_sub_u32_e32 v12, 29, v12
	v_and_b32_e32 v6, 7, v6
	v_cmp_eq_u16_e32 vcc, 0, v11
	v_cndmask_b32_e32 v6, v10, v6, vcc
	v_cndmask_b32_e32 v10, v11, v12, vcc
	v_lshlrev_b32_e32 v11, 16, v3
	v_mov_b32_e32 v12, 0x3b800000
	v_lshlrev_b32_e32 v6, 20, v6
	v_and_b32_e32 v11, 0x80000000, v11
	v_lshl_add_u32 v10, v10, 23, v12
	v_or3_b32 v10, v11, v10, v6
.LBB43_688:
	s_or_b64 exec, exec, s[6:7]
	s_nop 0
	v_mfma_f32_16x16x4f32 a[0:3], v2, v10, a[0:3]
	s_movk_i32 s4, 0xff
	v_and_b32_sdwa v6, v7, s4 dst_sel:DWORD dst_unused:UNUSED_PAD src0_sel:WORD_1 src1_sel:DWORD
	s_movk_i32 s4, 0x7f
	v_cmp_lt_i16_e32 vcc, s4, v6
	s_mov_b64 s[4:5], 0
                                        ; implicit-def: $sgpr10
	s_and_saveexec_b64 s[6:7], vcc
	s_xor_b64 s[6:7], exec, s[6:7]
	s_cbranch_execnz .LBB43_2737
; %bb.689:
	s_or_saveexec_b64 s[6:7], s[6:7]
	v_mov_b32_e32 v2, s10
	s_xor_b64 exec, exec, s[6:7]
	s_cbranch_execnz .LBB43_2740
.LBB43_690:
	s_or_b64 exec, exec, s[6:7]
	s_and_saveexec_b64 s[6:7], s[4:5]
	s_cbranch_execz .LBB43_692
.LBB43_691:
	v_bfe_u32 v2, v7, 16, 3
	v_ffbh_u32_e32 v11, v2
	v_min_u32_e32 v11, 32, v11
	v_lshrrev_b32_e32 v6, 19, v7
	v_subrev_u32_e32 v12, 28, v11
	v_and_b32_e32 v6, 15, v6
	v_lshlrev_b32_sdwa v12, v12, v7 dst_sel:DWORD dst_unused:UNUSED_PAD src0_sel:DWORD src1_sel:WORD_1
	v_bfe_u32 v10, v7, 19, 4
	v_sub_u32_e32 v11, 29, v11
	v_and_b32_e32 v12, 7, v12
	v_cmp_eq_u16_e32 vcc, 0, v6
	v_cndmask_b32_e32 v2, v2, v12, vcc
	v_cndmask_b32_e32 v6, v10, v11, vcc
	v_lshlrev_b32_e32 v10, 8, v7
	v_mov_b32_e32 v11, 0x3b800000
	v_lshlrev_b32_e32 v2, 20, v2
	v_and_b32_e32 v10, 0x80000000, v10
	v_lshl_add_u32 v6, v6, 23, v11
	v_or3_b32 v2, v10, v6, v2
.LBB43_692:
	s_or_b64 exec, exec, s[6:7]
	s_movk_i32 s4, 0xff
	v_and_b32_sdwa v6, v3, s4 dst_sel:DWORD dst_unused:UNUSED_PAD src0_sel:WORD_1 src1_sel:DWORD
	s_movk_i32 s4, 0x7f
	v_cmp_lt_i16_e32 vcc, s4, v6
	s_mov_b64 s[4:5], 0
                                        ; implicit-def: $sgpr10
	s_and_saveexec_b64 s[6:7], vcc
	s_xor_b64 s[6:7], exec, s[6:7]
	s_cbranch_execnz .LBB43_2741
; %bb.693:
	s_or_saveexec_b64 s[6:7], s[6:7]
	v_mov_b32_e32 v10, s10
	s_xor_b64 exec, exec, s[6:7]
	s_cbranch_execnz .LBB43_2744
.LBB43_694:
	s_or_b64 exec, exec, s[6:7]
	s_and_saveexec_b64 s[6:7], s[4:5]
	s_cbranch_execz .LBB43_696
.LBB43_695:
	v_bfe_u32 v6, v3, 16, 3
	v_ffbh_u32_e32 v12, v6
	v_min_u32_e32 v12, 32, v12
	v_lshrrev_b32_e32 v10, 19, v3
	v_subrev_u32_e32 v13, 28, v12
	v_and_b32_e32 v10, 15, v10
	v_lshlrev_b32_sdwa v13, v13, v3 dst_sel:DWORD dst_unused:UNUSED_PAD src0_sel:DWORD src1_sel:WORD_1
	v_bfe_u32 v11, v3, 19, 4
	v_sub_u32_e32 v12, 29, v12
	v_and_b32_e32 v13, 7, v13
	v_cmp_eq_u16_e32 vcc, 0, v10
	v_cndmask_b32_e32 v6, v6, v13, vcc
	v_cndmask_b32_e32 v10, v11, v12, vcc
	v_lshlrev_b32_e32 v11, 8, v3
	v_mov_b32_e32 v12, 0x3b800000
	v_lshlrev_b32_e32 v6, 20, v6
	v_and_b32_e32 v11, 0x80000000, v11
	v_lshl_add_u32 v10, v10, 23, v12
	v_or3_b32 v10, v11, v10, v6
.LBB43_696:
	s_or_b64 exec, exec, s[6:7]
	s_nop 0
	v_mfma_f32_16x16x4f32 a[0:3], v2, v10, a[0:3]
	s_movk_i32 s4, 0x7f
	v_cmp_gt_i16_sdwa s[6:7], v7, s4 src0_sel:BYTE_3 src1_sel:DWORD
	s_mov_b64 s[4:5], 0
                                        ; implicit-def: $sgpr10
	s_and_saveexec_b64 s[8:9], s[6:7]
	s_xor_b64 s[6:7], exec, s[8:9]
	s_cbranch_execnz .LBB43_2745
; %bb.697:
	s_or_saveexec_b64 s[6:7], s[6:7]
	v_mov_b32_e32 v2, s10
	s_xor_b64 exec, exec, s[6:7]
	s_cbranch_execnz .LBB43_2748
.LBB43_698:
	s_or_b64 exec, exec, s[6:7]
	s_and_saveexec_b64 s[6:7], s[4:5]
	s_cbranch_execz .LBB43_700
.LBB43_699:
	v_bfe_u32 v2, v7, 24, 3
	v_ffbh_u32_e32 v12, v2
	v_min_u32_e32 v12, 32, v12
	v_lshrrev_b32_e32 v10, 27, v7
	v_subrev_u32_e32 v13, 28, v12
	v_and_b32_e32 v6, 0x80000000, v7
	v_and_b32_e32 v10, 15, v10
	v_bfe_u32 v11, v7, 27, 4
	v_lshlrev_b32_sdwa v7, v13, v7 dst_sel:DWORD dst_unused:UNUSED_PAD src0_sel:DWORD src1_sel:BYTE_3
	v_sub_u32_e32 v12, 29, v12
	v_and_b32_e32 v7, 7, v7
	v_cmp_eq_u16_e32 vcc, 0, v10
	v_cndmask_b32_e32 v2, v2, v7, vcc
	v_cndmask_b32_e32 v7, v11, v12, vcc
	v_mov_b32_e32 v10, 0x3b800000
	v_lshlrev_b32_e32 v2, 20, v2
	v_lshl_add_u32 v7, v7, 23, v10
	v_or3_b32 v2, v6, v7, v2
.LBB43_700:
	s_or_b64 exec, exec, s[6:7]
	s_movk_i32 s4, 0x7f
	v_cmp_gt_i16_sdwa s[6:7], v3, s4 src0_sel:BYTE_3 src1_sel:DWORD
	s_mov_b64 s[4:5], 0
                                        ; implicit-def: $sgpr10
	s_and_saveexec_b64 s[8:9], s[6:7]
	s_xor_b64 s[6:7], exec, s[8:9]
	s_cbranch_execnz .LBB43_2749
; %bb.701:
	s_or_saveexec_b64 s[6:7], s[6:7]
	v_mov_b32_e32 v6, s10
	s_xor_b64 exec, exec, s[6:7]
	s_cbranch_execnz .LBB43_2752
.LBB43_702:
	s_or_b64 exec, exec, s[6:7]
	s_and_saveexec_b64 s[6:7], s[4:5]
	s_cbranch_execz .LBB43_704
.LBB43_703:
	v_bfe_u32 v6, v3, 24, 3
	v_ffbh_u32_e32 v12, v6
	v_min_u32_e32 v12, 32, v12
	v_lshrrev_b32_e32 v10, 27, v3
	v_subrev_u32_e32 v13, 28, v12
	v_and_b32_e32 v7, 0x80000000, v3
	v_and_b32_e32 v10, 15, v10
	v_bfe_u32 v11, v3, 27, 4
	v_lshlrev_b32_sdwa v3, v13, v3 dst_sel:DWORD dst_unused:UNUSED_PAD src0_sel:DWORD src1_sel:BYTE_3
	v_sub_u32_e32 v12, 29, v12
	v_and_b32_e32 v3, 7, v3
	v_cmp_eq_u16_e32 vcc, 0, v10
	v_cndmask_b32_e32 v3, v6, v3, vcc
	v_cndmask_b32_e32 v6, v11, v12, vcc
	v_mov_b32_e32 v10, 0x3b800000
	v_lshlrev_b32_e32 v3, 20, v3
	v_lshl_add_u32 v6, v6, 23, v10
	v_or3_b32 v6, v7, v6, v3
.LBB43_704:
	s_or_b64 exec, exec, s[6:7]
	s_nop 0
	v_mfma_f32_16x16x4f32 a[0:3], v2, v6, a[0:3]
	s_movk_i32 s4, 0x7f
	v_cmp_gt_i16_sdwa s[6:7], v8, s4 src0_sel:BYTE_0 src1_sel:DWORD
	s_mov_b64 s[4:5], 0
                                        ; implicit-def: $sgpr10
	s_and_saveexec_b64 s[8:9], s[6:7]
	s_xor_b64 s[6:7], exec, s[8:9]
	s_cbranch_execnz .LBB43_2753
; %bb.705:
	s_or_saveexec_b64 s[6:7], s[6:7]
	v_mov_b32_e32 v2, s10
	s_xor_b64 exec, exec, s[6:7]
	s_cbranch_execnz .LBB43_2756
.LBB43_706:
	s_or_b64 exec, exec, s[6:7]
	s_and_saveexec_b64 s[6:7], s[4:5]
	s_cbranch_execz .LBB43_708
.LBB43_707:
	v_and_b32_e32 v2, 7, v8
	v_ffbh_u32_e32 v6, v2
	v_min_u32_e32 v6, 32, v6
	v_lshrrev_b16_e32 v3, 3, v8
	v_subrev_u32_e32 v7, 28, v6
	v_and_b32_e32 v3, 15, v3
	v_lshlrev_b32_e32 v7, v7, v8
	v_sub_u32_e32 v6, 29, v6
	v_and_b32_e32 v7, 7, v7
	v_cmp_eq_u16_e32 vcc, 0, v3
	v_cndmask_b32_e32 v2, v2, v7, vcc
	v_cndmask_b32_e32 v3, v3, v6, vcc
	v_lshlrev_b32_e32 v6, 24, v8
	v_mov_b32_e32 v7, 0x3b800000
	v_lshlrev_b32_e32 v2, 20, v2
	v_and_b32_e32 v6, 0x80000000, v6
	v_lshl_add_u32 v3, v3, 23, v7
	v_or3_b32 v2, v6, v3, v2
.LBB43_708:
	s_or_b64 exec, exec, s[6:7]
	s_movk_i32 s4, 0x7f
	v_cmp_gt_i16_sdwa s[6:7], v4, s4 src0_sel:BYTE_0 src1_sel:DWORD
	s_mov_b64 s[4:5], 0
                                        ; implicit-def: $sgpr10
	s_and_saveexec_b64 s[8:9], s[6:7]
	s_xor_b64 s[6:7], exec, s[8:9]
	s_cbranch_execnz .LBB43_2757
; %bb.709:
	s_or_saveexec_b64 s[6:7], s[6:7]
	v_mov_b32_e32 v3, s10
	s_xor_b64 exec, exec, s[6:7]
	s_cbranch_execnz .LBB43_2760
.LBB43_710:
	s_or_b64 exec, exec, s[6:7]
	s_and_saveexec_b64 s[6:7], s[4:5]
	s_cbranch_execz .LBB43_712
.LBB43_711:
	v_and_b32_e32 v3, 7, v4
	v_ffbh_u32_e32 v7, v3
	v_min_u32_e32 v7, 32, v7
	v_lshrrev_b16_e32 v6, 3, v4
	v_subrev_u32_e32 v10, 28, v7
	v_and_b32_e32 v6, 15, v6
	v_lshlrev_b32_e32 v10, v10, v4
	v_sub_u32_e32 v7, 29, v7
	v_and_b32_e32 v10, 7, v10
	v_cmp_eq_u16_e32 vcc, 0, v6
	v_cndmask_b32_e32 v3, v3, v10, vcc
	v_cndmask_b32_e32 v6, v6, v7, vcc
	v_lshlrev_b32_e32 v7, 24, v4
	v_mov_b32_e32 v10, 0x3b800000
	v_lshlrev_b32_e32 v3, 20, v3
	v_and_b32_e32 v7, 0x80000000, v7
	v_lshl_add_u32 v6, v6, 23, v10
	v_or3_b32 v3, v7, v6, v3
.LBB43_712:
	s_or_b64 exec, exec, s[6:7]
	s_nop 0
	v_mfma_f32_16x16x4f32 a[0:3], v2, v3, a[0:3]
	v_lshrrev_b32_e32 v3, 8, v8
	s_movk_i32 s4, 0x7f
	v_cmp_gt_i16_sdwa s[6:7], v3, s4 src0_sel:BYTE_0 src1_sel:DWORD
	s_mov_b64 s[4:5], 0
                                        ; implicit-def: $sgpr10
	s_and_saveexec_b64 s[8:9], s[6:7]
	s_xor_b64 s[6:7], exec, s[8:9]
	s_cbranch_execnz .LBB43_2761
; %bb.713:
	s_or_saveexec_b64 s[6:7], s[6:7]
	v_mov_b32_e32 v2, s10
	s_xor_b64 exec, exec, s[6:7]
	s_cbranch_execnz .LBB43_2764
.LBB43_714:
	s_or_b64 exec, exec, s[6:7]
	s_and_saveexec_b64 s[6:7], s[4:5]
	s_cbranch_execz .LBB43_716
.LBB43_715:
	v_bfe_u32 v2, v8, 8, 3
	v_ffbh_u32_e32 v7, v2
	v_min_u32_e32 v7, 32, v7
	v_lshrrev_b16_e32 v6, 3, v3
	v_subrev_u32_e32 v10, 28, v7
	v_and_b32_e32 v6, 15, v6
	v_lshlrev_b32_e32 v3, v10, v3
	v_sub_u32_e32 v7, 29, v7
	v_and_b32_e32 v3, 7, v3
	v_cmp_eq_u16_e32 vcc, 0, v6
	v_cndmask_b32_e32 v2, v2, v3, vcc
	v_cndmask_b32_e32 v3, v6, v7, vcc
	v_lshlrev_b32_e32 v6, 16, v8
	v_mov_b32_e32 v7, 0x3b800000
	v_lshlrev_b32_e32 v2, 20, v2
	v_and_b32_e32 v6, 0x80000000, v6
	v_lshl_add_u32 v3, v3, 23, v7
	v_or3_b32 v2, v6, v3, v2
.LBB43_716:
	s_or_b64 exec, exec, s[6:7]
	v_lshrrev_b32_e32 v3, 8, v4
	s_movk_i32 s4, 0x7f
	v_cmp_gt_i16_sdwa s[6:7], v3, s4 src0_sel:BYTE_0 src1_sel:DWORD
	s_mov_b64 s[4:5], 0
                                        ; implicit-def: $sgpr10
	s_and_saveexec_b64 s[8:9], s[6:7]
	s_xor_b64 s[6:7], exec, s[8:9]
	s_cbranch_execnz .LBB43_2765
; %bb.717:
	s_or_saveexec_b64 s[6:7], s[6:7]
	v_mov_b32_e32 v6, s10
	s_xor_b64 exec, exec, s[6:7]
	s_cbranch_execnz .LBB43_2768
.LBB43_718:
	s_or_b64 exec, exec, s[6:7]
	s_and_saveexec_b64 s[6:7], s[4:5]
	s_cbranch_execz .LBB43_720
.LBB43_719:
	v_bfe_u32 v6, v4, 8, 3
	v_ffbh_u32_e32 v10, v6
	v_min_u32_e32 v10, 32, v10
	v_lshrrev_b16_e32 v7, 3, v3
	v_subrev_u32_e32 v11, 28, v10
	v_and_b32_e32 v7, 15, v7
	v_lshlrev_b32_e32 v3, v11, v3
	v_sub_u32_e32 v10, 29, v10
	v_and_b32_e32 v3, 7, v3
	v_cmp_eq_u16_e32 vcc, 0, v7
	v_cndmask_b32_e32 v3, v6, v3, vcc
	v_cndmask_b32_e32 v6, v7, v10, vcc
	v_lshlrev_b32_e32 v7, 16, v4
	v_mov_b32_e32 v10, 0x3b800000
	v_lshlrev_b32_e32 v3, 20, v3
	v_and_b32_e32 v7, 0x80000000, v7
	v_lshl_add_u32 v6, v6, 23, v10
	v_or3_b32 v6, v7, v6, v3
.LBB43_720:
	s_or_b64 exec, exec, s[6:7]
	s_nop 0
	v_mfma_f32_16x16x4f32 a[0:3], v2, v6, a[0:3]
	s_movk_i32 s4, 0xff
	v_and_b32_sdwa v3, v8, s4 dst_sel:DWORD dst_unused:UNUSED_PAD src0_sel:WORD_1 src1_sel:DWORD
	s_movk_i32 s4, 0x7f
	v_cmp_lt_i16_e32 vcc, s4, v3
	s_mov_b64 s[4:5], 0
                                        ; implicit-def: $sgpr10
	s_and_saveexec_b64 s[6:7], vcc
	s_xor_b64 s[6:7], exec, s[6:7]
	s_cbranch_execnz .LBB43_2769
; %bb.721:
	s_or_saveexec_b64 s[6:7], s[6:7]
	v_mov_b32_e32 v2, s10
	s_xor_b64 exec, exec, s[6:7]
	s_cbranch_execnz .LBB43_2772
.LBB43_722:
	s_or_b64 exec, exec, s[6:7]
	s_and_saveexec_b64 s[6:7], s[4:5]
	s_cbranch_execz .LBB43_724
.LBB43_723:
	v_bfe_u32 v2, v8, 16, 3
	v_ffbh_u32_e32 v7, v2
	v_min_u32_e32 v7, 32, v7
	v_lshrrev_b32_e32 v3, 19, v8
	v_subrev_u32_e32 v10, 28, v7
	v_and_b32_e32 v3, 15, v3
	v_lshlrev_b32_sdwa v10, v10, v8 dst_sel:DWORD dst_unused:UNUSED_PAD src0_sel:DWORD src1_sel:WORD_1
	v_bfe_u32 v6, v8, 19, 4
	v_sub_u32_e32 v7, 29, v7
	v_and_b32_e32 v10, 7, v10
	v_cmp_eq_u16_e32 vcc, 0, v3
	v_cndmask_b32_e32 v2, v2, v10, vcc
	v_cndmask_b32_e32 v3, v6, v7, vcc
	v_lshlrev_b32_e32 v6, 8, v8
	v_mov_b32_e32 v7, 0x3b800000
	v_lshlrev_b32_e32 v2, 20, v2
	v_and_b32_e32 v6, 0x80000000, v6
	v_lshl_add_u32 v3, v3, 23, v7
	v_or3_b32 v2, v6, v3, v2
.LBB43_724:
	s_or_b64 exec, exec, s[6:7]
	s_movk_i32 s4, 0xff
	v_and_b32_sdwa v3, v4, s4 dst_sel:DWORD dst_unused:UNUSED_PAD src0_sel:WORD_1 src1_sel:DWORD
	s_movk_i32 s4, 0x7f
	v_cmp_lt_i16_e32 vcc, s4, v3
	s_mov_b64 s[4:5], 0
                                        ; implicit-def: $sgpr10
	s_and_saveexec_b64 s[6:7], vcc
	s_xor_b64 s[6:7], exec, s[6:7]
	s_cbranch_execnz .LBB43_2773
; %bb.725:
	s_or_saveexec_b64 s[6:7], s[6:7]
	v_mov_b32_e32 v6, s10
	s_xor_b64 exec, exec, s[6:7]
	s_cbranch_execnz .LBB43_2776
.LBB43_726:
	s_or_b64 exec, exec, s[6:7]
	s_and_saveexec_b64 s[6:7], s[4:5]
	s_cbranch_execz .LBB43_728
.LBB43_727:
	v_bfe_u32 v3, v4, 16, 3
	v_ffbh_u32_e32 v10, v3
	v_min_u32_e32 v10, 32, v10
	v_lshrrev_b32_e32 v6, 19, v4
	v_subrev_u32_e32 v11, 28, v10
	v_and_b32_e32 v6, 15, v6
	v_lshlrev_b32_sdwa v11, v11, v4 dst_sel:DWORD dst_unused:UNUSED_PAD src0_sel:DWORD src1_sel:WORD_1
	v_bfe_u32 v7, v4, 19, 4
	v_sub_u32_e32 v10, 29, v10
	v_and_b32_e32 v11, 7, v11
	v_cmp_eq_u16_e32 vcc, 0, v6
	v_cndmask_b32_e32 v3, v3, v11, vcc
	v_cndmask_b32_e32 v6, v7, v10, vcc
	v_lshlrev_b32_e32 v7, 8, v4
	v_mov_b32_e32 v10, 0x3b800000
	v_lshlrev_b32_e32 v3, 20, v3
	v_and_b32_e32 v7, 0x80000000, v7
	v_lshl_add_u32 v6, v6, 23, v10
	v_or3_b32 v6, v7, v6, v3
.LBB43_728:
	s_or_b64 exec, exec, s[6:7]
	s_nop 0
	v_mfma_f32_16x16x4f32 a[0:3], v2, v6, a[0:3]
	s_movk_i32 s4, 0x7f
	v_cmp_gt_i16_sdwa s[6:7], v8, s4 src0_sel:BYTE_3 src1_sel:DWORD
	s_mov_b64 s[4:5], 0
                                        ; implicit-def: $sgpr10
	s_and_saveexec_b64 s[8:9], s[6:7]
	s_xor_b64 s[6:7], exec, s[8:9]
	s_cbranch_execnz .LBB43_2777
; %bb.729:
	s_or_saveexec_b64 s[6:7], s[6:7]
	v_mov_b32_e32 v2, s10
	s_xor_b64 exec, exec, s[6:7]
	s_cbranch_execnz .LBB43_2780
.LBB43_730:
	s_or_b64 exec, exec, s[6:7]
	s_and_saveexec_b64 s[6:7], s[4:5]
	s_cbranch_execz .LBB43_732
.LBB43_731:
	v_bfe_u32 v2, v8, 24, 3
	v_ffbh_u32_e32 v10, v2
	v_min_u32_e32 v10, 32, v10
	v_lshrrev_b32_e32 v6, 27, v8
	v_subrev_u32_e32 v11, 28, v10
	v_and_b32_e32 v3, 0x80000000, v8
	v_and_b32_e32 v6, 15, v6
	v_bfe_u32 v7, v8, 27, 4
	v_lshlrev_b32_sdwa v8, v11, v8 dst_sel:DWORD dst_unused:UNUSED_PAD src0_sel:DWORD src1_sel:BYTE_3
	v_sub_u32_e32 v10, 29, v10
	v_and_b32_e32 v8, 7, v8
	v_cmp_eq_u16_e32 vcc, 0, v6
	v_cndmask_b32_e32 v2, v2, v8, vcc
	v_cndmask_b32_e32 v6, v7, v10, vcc
	v_mov_b32_e32 v7, 0x3b800000
	v_lshlrev_b32_e32 v2, 20, v2
	v_lshl_add_u32 v6, v6, 23, v7
	v_or3_b32 v2, v3, v6, v2
.LBB43_732:
	s_or_b64 exec, exec, s[6:7]
	s_movk_i32 s4, 0x7f
	v_cmp_gt_i16_sdwa s[6:7], v4, s4 src0_sel:BYTE_3 src1_sel:DWORD
	s_mov_b64 s[4:5], 0
                                        ; implicit-def: $sgpr10
	s_and_saveexec_b64 s[8:9], s[6:7]
	s_xor_b64 s[6:7], exec, s[8:9]
	s_cbranch_execnz .LBB43_2781
; %bb.733:
	s_or_saveexec_b64 s[6:7], s[6:7]
	v_mov_b32_e32 v3, s10
	s_xor_b64 exec, exec, s[6:7]
	s_cbranch_execnz .LBB43_2784
.LBB43_734:
	s_or_b64 exec, exec, s[6:7]
	s_and_saveexec_b64 s[6:7], s[4:5]
	s_cbranch_execz .LBB43_736
.LBB43_735:
	v_bfe_u32 v3, v4, 24, 3
	v_ffbh_u32_e32 v10, v3
	v_min_u32_e32 v10, 32, v10
	v_lshrrev_b32_e32 v7, 27, v4
	v_subrev_u32_e32 v11, 28, v10
	v_and_b32_e32 v6, 0x80000000, v4
	v_and_b32_e32 v7, 15, v7
	v_bfe_u32 v8, v4, 27, 4
	v_lshlrev_b32_sdwa v4, v11, v4 dst_sel:DWORD dst_unused:UNUSED_PAD src0_sel:DWORD src1_sel:BYTE_3
	v_sub_u32_e32 v10, 29, v10
	v_and_b32_e32 v4, 7, v4
	v_cmp_eq_u16_e32 vcc, 0, v7
	v_cndmask_b32_e32 v3, v3, v4, vcc
	v_cndmask_b32_e32 v4, v8, v10, vcc
	v_mov_b32_e32 v7, 0x3b800000
	v_lshlrev_b32_e32 v3, 20, v3
	v_lshl_add_u32 v4, v4, 23, v7
	v_or3_b32 v3, v6, v4, v3
.LBB43_736:
	s_or_b64 exec, exec, s[6:7]
	s_nop 0
	v_mfma_f32_16x16x4f32 a[0:3], v2, v3, a[0:3]
	s_movk_i32 s4, 0x7f
	v_cmp_gt_i16_sdwa s[6:7], v9, s4 src0_sel:BYTE_0 src1_sel:DWORD
	s_mov_b64 s[4:5], 0
                                        ; implicit-def: $sgpr10
	s_and_saveexec_b64 s[8:9], s[6:7]
	s_xor_b64 s[6:7], exec, s[8:9]
	s_cbranch_execnz .LBB43_2785
; %bb.737:
	s_or_saveexec_b64 s[6:7], s[6:7]
	v_mov_b32_e32 v2, s10
	s_xor_b64 exec, exec, s[6:7]
	s_cbranch_execnz .LBB43_2788
.LBB43_738:
	s_or_b64 exec, exec, s[6:7]
	s_and_saveexec_b64 s[6:7], s[4:5]
	s_cbranch_execz .LBB43_740
.LBB43_739:
	v_mov_b32_e32 v2, 8
	v_and_b32_e32 v3, 7, v9
	v_lshrrev_b32_sdwa v2, v2, v9 dst_sel:BYTE_1 dst_unused:UNUSED_PAD src0_sel:DWORD src1_sel:DWORD
	v_ffbh_u32_e32 v4, v3
	v_or_b32_sdwa v2, v9, v2 dst_sel:DWORD dst_unused:UNUSED_PAD src0_sel:BYTE_0 src1_sel:DWORD
	v_min_u32_e32 v4, 32, v4
	v_lshrrev_b16_e32 v2, 3, v2
	v_subrev_u32_e32 v6, 28, v4
	v_and_b32_e32 v2, 15, v2
	v_lshlrev_b32_e32 v6, v6, v9
	v_sub_u32_e32 v4, 29, v4
	v_and_b32_e32 v6, 7, v6
	v_cmp_eq_u16_e32 vcc, 0, v2
	v_cndmask_b32_e32 v3, v3, v6, vcc
	v_cndmask_b32_e32 v2, v2, v4, vcc
	v_lshlrev_b32_e32 v4, 24, v9
	v_mov_b32_e32 v6, 0x3b800000
	v_lshlrev_b32_e32 v3, 20, v3
	v_and_b32_e32 v4, 0x80000000, v4
	v_lshl_add_u32 v2, v2, 23, v6
	v_or3_b32 v2, v4, v2, v3
.LBB43_740:
	s_or_b64 exec, exec, s[6:7]
	s_movk_i32 s4, 0x7f
	v_cmp_gt_i16_sdwa s[6:7], v5, s4 src0_sel:BYTE_0 src1_sel:DWORD
	s_mov_b64 s[4:5], 0
                                        ; implicit-def: $sgpr10
	s_and_saveexec_b64 s[8:9], s[6:7]
	s_xor_b64 s[6:7], exec, s[8:9]
	s_cbranch_execnz .LBB43_2789
; %bb.741:
	s_or_saveexec_b64 s[6:7], s[6:7]
	v_mov_b32_e32 v3, s10
	s_xor_b64 exec, exec, s[6:7]
	s_cbranch_execnz .LBB43_2792
.LBB43_742:
	s_or_b64 exec, exec, s[6:7]
	s_and_saveexec_b64 s[6:7], s[4:5]
	s_cbranch_execz .LBB43_744
.LBB43_743:
	v_mov_b32_e32 v3, 8
	v_and_b32_e32 v4, 7, v5
	v_lshrrev_b32_sdwa v3, v3, v5 dst_sel:BYTE_1 dst_unused:UNUSED_PAD src0_sel:DWORD src1_sel:DWORD
	v_ffbh_u32_e32 v6, v4
	v_or_b32_sdwa v3, v5, v3 dst_sel:DWORD dst_unused:UNUSED_PAD src0_sel:BYTE_0 src1_sel:DWORD
	v_min_u32_e32 v6, 32, v6
	v_lshrrev_b16_e32 v3, 3, v3
	v_subrev_u32_e32 v7, 28, v6
	v_and_b32_e32 v3, 15, v3
	v_lshlrev_b32_e32 v7, v7, v5
	v_sub_u32_e32 v6, 29, v6
	v_and_b32_e32 v7, 7, v7
	v_cmp_eq_u16_e32 vcc, 0, v3
	v_cndmask_b32_e32 v4, v4, v7, vcc
	v_cndmask_b32_e32 v3, v3, v6, vcc
	v_lshlrev_b32_e32 v6, 24, v5
	v_mov_b32_e32 v7, 0x3b800000
	v_lshlrev_b32_e32 v4, 20, v4
	v_and_b32_e32 v6, 0x80000000, v6
	v_lshl_add_u32 v3, v3, 23, v7
	v_or3_b32 v3, v6, v3, v4
.LBB43_744:
	s_or_b64 exec, exec, s[6:7]
	s_nop 0
	v_mfma_f32_16x16x4f32 a[0:3], v2, v3, a[0:3]
	v_lshrrev_b32_e32 v3, 8, v9
	s_movk_i32 s4, 0x7f
	v_cmp_gt_i16_sdwa s[6:7], v3, s4 src0_sel:BYTE_0 src1_sel:DWORD
	s_mov_b64 s[4:5], 0
                                        ; implicit-def: $sgpr10
	s_and_saveexec_b64 s[8:9], s[6:7]
	s_xor_b64 s[6:7], exec, s[8:9]
	s_cbranch_execnz .LBB43_2793
; %bb.745:
	s_or_saveexec_b64 s[6:7], s[6:7]
	v_mov_b32_e32 v2, s10
	s_xor_b64 exec, exec, s[6:7]
	s_cbranch_execnz .LBB43_2796
.LBB43_746:
	s_or_b64 exec, exec, s[6:7]
	s_and_saveexec_b64 s[6:7], s[4:5]
	s_cbranch_execz .LBB43_748
.LBB43_747:
	v_bfe_u32 v2, v9, 8, 3
	v_ffbh_u32_e32 v6, v2
	v_min_u32_e32 v6, 32, v6
	v_lshrrev_b16_e32 v4, 3, v3
	v_subrev_u32_e32 v7, 28, v6
	v_and_b32_e32 v4, 15, v4
	v_lshlrev_b32_e32 v3, v7, v3
	v_sub_u32_e32 v6, 29, v6
	v_and_b32_e32 v3, 7, v3
	v_cmp_eq_u16_e32 vcc, 0, v4
	v_cndmask_b32_e32 v2, v2, v3, vcc
	v_cndmask_b32_e32 v3, v4, v6, vcc
	v_lshlrev_b32_e32 v4, 16, v9
	v_mov_b32_e32 v6, 0x3b800000
	v_lshlrev_b32_e32 v2, 20, v2
	v_and_b32_e32 v4, 0x80000000, v4
	v_lshl_add_u32 v3, v3, 23, v6
	v_or3_b32 v2, v4, v3, v2
.LBB43_748:
	s_or_b64 exec, exec, s[6:7]
	v_lshrrev_b32_e32 v3, 8, v5
	s_movk_i32 s4, 0x7f
	v_cmp_gt_i16_sdwa s[6:7], v3, s4 src0_sel:BYTE_0 src1_sel:DWORD
	s_mov_b64 s[4:5], 0
                                        ; implicit-def: $sgpr10
	s_and_saveexec_b64 s[8:9], s[6:7]
	s_xor_b64 s[6:7], exec, s[8:9]
	s_cbranch_execnz .LBB43_2797
; %bb.749:
	s_or_saveexec_b64 s[6:7], s[6:7]
	v_mov_b32_e32 v4, s10
	s_xor_b64 exec, exec, s[6:7]
	s_cbranch_execnz .LBB43_2800
.LBB43_750:
	s_or_b64 exec, exec, s[6:7]
	s_and_saveexec_b64 s[6:7], s[4:5]
	s_cbranch_execz .LBB43_752
.LBB43_751:
	v_bfe_u32 v4, v5, 8, 3
	v_ffbh_u32_e32 v7, v4
	v_min_u32_e32 v7, 32, v7
	v_lshrrev_b16_e32 v6, 3, v3
	v_subrev_u32_e32 v8, 28, v7
	v_and_b32_e32 v6, 15, v6
	v_lshlrev_b32_e32 v3, v8, v3
	v_sub_u32_e32 v7, 29, v7
	v_and_b32_e32 v3, 7, v3
	v_cmp_eq_u16_e32 vcc, 0, v6
	v_cndmask_b32_e32 v3, v4, v3, vcc
	v_cndmask_b32_e32 v4, v6, v7, vcc
	v_lshlrev_b32_e32 v6, 16, v5
	v_mov_b32_e32 v7, 0x3b800000
	v_lshlrev_b32_e32 v3, 20, v3
	v_and_b32_e32 v6, 0x80000000, v6
	v_lshl_add_u32 v4, v4, 23, v7
	v_or3_b32 v4, v6, v4, v3
.LBB43_752:
	s_or_b64 exec, exec, s[6:7]
	s_nop 0
	v_mfma_f32_16x16x4f32 a[0:3], v2, v4, a[0:3]
	s_movk_i32 s4, 0xff
	v_and_b32_sdwa v3, v9, s4 dst_sel:DWORD dst_unused:UNUSED_PAD src0_sel:WORD_1 src1_sel:DWORD
	s_movk_i32 s4, 0x7f
	v_cmp_lt_i16_e32 vcc, s4, v3
	s_mov_b64 s[4:5], 0
                                        ; implicit-def: $sgpr10
	s_and_saveexec_b64 s[6:7], vcc
	s_xor_b64 s[6:7], exec, s[6:7]
	s_cbranch_execnz .LBB43_2801
; %bb.753:
	s_or_saveexec_b64 s[6:7], s[6:7]
	v_mov_b32_e32 v2, s10
	s_xor_b64 exec, exec, s[6:7]
	s_cbranch_execnz .LBB43_2804
.LBB43_754:
	s_or_b64 exec, exec, s[6:7]
	s_and_saveexec_b64 s[6:7], s[4:5]
	s_cbranch_execz .LBB43_756
.LBB43_755:
	v_bfe_u32 v2, v9, 16, 3
	v_ffbh_u32_e32 v6, v2
	v_min_u32_e32 v6, 32, v6
	v_lshrrev_b32_e32 v3, 19, v9
	v_subrev_u32_e32 v7, 28, v6
	v_and_b32_e32 v3, 15, v3
	v_lshlrev_b32_sdwa v7, v7, v9 dst_sel:DWORD dst_unused:UNUSED_PAD src0_sel:DWORD src1_sel:WORD_1
	v_bfe_u32 v4, v9, 19, 4
	v_sub_u32_e32 v6, 29, v6
	v_and_b32_e32 v7, 7, v7
	v_cmp_eq_u16_e32 vcc, 0, v3
	v_cndmask_b32_e32 v2, v2, v7, vcc
	v_cndmask_b32_e32 v3, v4, v6, vcc
	v_lshlrev_b32_e32 v4, 8, v9
	v_mov_b32_e32 v6, 0x3b800000
	v_lshlrev_b32_e32 v2, 20, v2
	v_and_b32_e32 v4, 0x80000000, v4
	v_lshl_add_u32 v3, v3, 23, v6
	v_or3_b32 v2, v4, v3, v2
.LBB43_756:
	s_or_b64 exec, exec, s[6:7]
	s_movk_i32 s4, 0xff
	v_and_b32_sdwa v3, v5, s4 dst_sel:DWORD dst_unused:UNUSED_PAD src0_sel:WORD_1 src1_sel:DWORD
	s_movk_i32 s4, 0x7f
	v_cmp_lt_i16_e32 vcc, s4, v3
	s_mov_b64 s[4:5], 0
                                        ; implicit-def: $sgpr10
	s_and_saveexec_b64 s[6:7], vcc
	s_xor_b64 s[6:7], exec, s[6:7]
	s_cbranch_execnz .LBB43_2805
; %bb.757:
	s_or_saveexec_b64 s[6:7], s[6:7]
	v_mov_b32_e32 v4, s10
	s_xor_b64 exec, exec, s[6:7]
	s_cbranch_execnz .LBB43_2808
.LBB43_758:
	s_or_b64 exec, exec, s[6:7]
	s_and_saveexec_b64 s[6:7], s[4:5]
	s_cbranch_execz .LBB43_760
.LBB43_759:
	v_bfe_u32 v3, v5, 16, 3
	v_ffbh_u32_e32 v7, v3
	v_min_u32_e32 v7, 32, v7
	v_lshrrev_b32_e32 v4, 19, v5
	v_subrev_u32_e32 v8, 28, v7
	v_and_b32_e32 v4, 15, v4
	v_lshlrev_b32_sdwa v8, v8, v5 dst_sel:DWORD dst_unused:UNUSED_PAD src0_sel:DWORD src1_sel:WORD_1
	v_bfe_u32 v6, v5, 19, 4
	v_sub_u32_e32 v7, 29, v7
	v_and_b32_e32 v8, 7, v8
	v_cmp_eq_u16_e32 vcc, 0, v4
	v_cndmask_b32_e32 v3, v3, v8, vcc
	v_cndmask_b32_e32 v4, v6, v7, vcc
	v_lshlrev_b32_e32 v6, 8, v5
	v_mov_b32_e32 v7, 0x3b800000
	v_lshlrev_b32_e32 v3, 20, v3
	v_and_b32_e32 v6, 0x80000000, v6
	v_lshl_add_u32 v4, v4, 23, v7
	v_or3_b32 v4, v6, v4, v3
.LBB43_760:
	s_or_b64 exec, exec, s[6:7]
	s_nop 0
	v_mfma_f32_16x16x4f32 a[0:3], v2, v4, a[0:3]
	s_movk_i32 s4, 0x7f
	v_cmp_gt_i16_sdwa s[6:7], v9, s4 src0_sel:BYTE_3 src1_sel:DWORD
	s_mov_b64 s[4:5], 0
                                        ; implicit-def: $sgpr10
	s_and_saveexec_b64 s[8:9], s[6:7]
	s_xor_b64 s[6:7], exec, s[8:9]
	s_cbranch_execnz .LBB43_2809
; %bb.761:
	s_or_saveexec_b64 s[6:7], s[6:7]
	v_mov_b32_e32 v2, s10
	s_xor_b64 exec, exec, s[6:7]
	s_cbranch_execnz .LBB43_2812
.LBB43_762:
	s_or_b64 exec, exec, s[6:7]
	s_and_saveexec_b64 s[6:7], s[4:5]
	s_cbranch_execz .LBB43_764
.LBB43_763:
	v_bfe_u32 v2, v9, 24, 3
	v_ffbh_u32_e32 v7, v2
	v_min_u32_e32 v7, 32, v7
	v_lshrrev_b32_e32 v4, 27, v9
	v_subrev_u32_e32 v8, 28, v7
	v_and_b32_e32 v4, 15, v4
	v_lshlrev_b32_sdwa v8, v8, v9 dst_sel:DWORD dst_unused:UNUSED_PAD src0_sel:DWORD src1_sel:BYTE_3
	v_bfe_u32 v6, v9, 27, 4
	v_sub_u32_e32 v7, 29, v7
	v_and_b32_e32 v8, 7, v8
	v_cmp_eq_u16_e32 vcc, 0, v4
	v_cndmask_b32_e32 v2, v2, v8, vcc
	v_cndmask_b32_e32 v4, v6, v7, vcc
	v_mov_b32_e32 v6, 0x3b800000
	v_and_b32_e32 v3, 0x80000000, v9
	v_lshlrev_b32_e32 v2, 20, v2
	v_lshl_add_u32 v4, v4, 23, v6
	v_or3_b32 v2, v3, v4, v2
.LBB43_764:
	s_or_b64 exec, exec, s[6:7]
	s_movk_i32 s4, 0x7f
	v_cmp_gt_i16_sdwa s[6:7], v5, s4 src0_sel:BYTE_3 src1_sel:DWORD
	s_mov_b64 s[4:5], 0
                                        ; implicit-def: $sgpr10
	s_and_saveexec_b64 s[8:9], s[6:7]
	s_xor_b64 s[6:7], exec, s[8:9]
	s_cbranch_execnz .LBB43_2813
; %bb.765:
	s_or_saveexec_b64 s[6:7], s[6:7]
	v_mov_b32_e32 v3, s10
	s_xor_b64 exec, exec, s[6:7]
	s_cbranch_execnz .LBB43_2816
.LBB43_766:
	s_or_b64 exec, exec, s[6:7]
	s_and_saveexec_b64 s[6:7], s[4:5]
	s_cbranch_execz .LBB43_768
.LBB43_767:
	v_bfe_u32 v3, v5, 24, 3
	v_ffbh_u32_e32 v8, v3
	v_min_u32_e32 v8, 32, v8
	v_lshrrev_b32_e32 v6, 27, v5
	v_subrev_u32_e32 v9, 28, v8
	v_and_b32_e32 v4, 0x80000000, v5
	v_and_b32_e32 v6, 15, v6
	v_bfe_u32 v7, v5, 27, 4
	v_lshlrev_b32_sdwa v5, v9, v5 dst_sel:DWORD dst_unused:UNUSED_PAD src0_sel:DWORD src1_sel:BYTE_3
	v_sub_u32_e32 v8, 29, v8
	v_and_b32_e32 v5, 7, v5
	v_cmp_eq_u16_e32 vcc, 0, v6
	v_cndmask_b32_e32 v3, v3, v5, vcc
	v_cndmask_b32_e32 v5, v7, v8, vcc
	v_mov_b32_e32 v6, 0x3b800000
	v_lshlrev_b32_e32 v3, 20, v3
	v_lshl_add_u32 v5, v5, 23, v6
	v_or3_b32 v3, v4, v5, v3
.LBB43_768:
	s_or_b64 exec, exec, s[6:7]
	s_nop 0
	v_mfma_f32_16x16x4f32 a[0:3], v2, v3, a[0:3]
	s_movk_i32 s4, 0x7f
                                        ; implicit-def: $sgpr10
	s_nop 7
	s_nop 1
	flat_store_dwordx4 v[18:19], a[0:3] offset:928
	flat_load_dwordx4 v[20:23], v[0:1] offset:16
	s_nop 0
	flat_load_dwordx2 v[18:19], v[0:1] offset:32
	s_waitcnt vmcnt(0) lgkmcnt(0)
	flat_load_dwordx4 v[14:17], v[20:21] offset:32
	flat_load_dwordx4 v[6:9], v[20:21] offset:48
	;; [unrolled: 1-line block ×4, first 2 shown]
	s_waitcnt vmcnt(0) lgkmcnt(0)
	v_cmp_gt_i16_sdwa s[6:7], v14, s4 src0_sel:BYTE_0 src1_sel:DWORD
	s_mov_b64 s[4:5], 0
	s_and_saveexec_b64 s[8:9], s[6:7]
	s_xor_b64 s[6:7], exec, s[8:9]
	s_cbranch_execnz .LBB43_2817
; %bb.769:
	s_or_saveexec_b64 s[6:7], s[6:7]
	v_mov_b32_e32 v20, s10
	s_xor_b64 exec, exec, s[6:7]
	s_cbranch_execnz .LBB43_2820
.LBB43_770:
	s_or_b64 exec, exec, s[6:7]
	s_and_saveexec_b64 s[6:7], s[4:5]
	s_cbranch_execz .LBB43_772
.LBB43_771:
	v_and_b32_e32 v20, 7, v14
	v_ffbh_u32_e32 v22, v20
	v_min_u32_e32 v22, 32, v22
	v_lshrrev_b16_e32 v21, 3, v14
	v_subrev_u32_e32 v23, 28, v22
	v_and_b32_e32 v21, 15, v21
	v_lshlrev_b32_e32 v23, v23, v14
	v_sub_u32_e32 v22, 29, v22
	v_and_b32_e32 v23, 7, v23
	v_cmp_eq_u16_e32 vcc, 0, v21
	v_cndmask_b32_e32 v20, v20, v23, vcc
	v_cndmask_b32_e32 v21, v21, v22, vcc
	v_lshlrev_b32_e32 v22, 24, v14
	v_mov_b32_e32 v23, 0x3b800000
	v_lshlrev_b32_e32 v20, 20, v20
	v_and_b32_e32 v22, 0x80000000, v22
	v_lshl_add_u32 v21, v21, 23, v23
	v_or3_b32 v20, v22, v21, v20
.LBB43_772:
	s_or_b64 exec, exec, s[6:7]
	s_movk_i32 s4, 0x7f
	v_cmp_gt_i16_sdwa s[6:7], v10, s4 src0_sel:BYTE_0 src1_sel:DWORD
	s_mov_b64 s[4:5], 0
                                        ; implicit-def: $sgpr10
	s_and_saveexec_b64 s[8:9], s[6:7]
	s_xor_b64 s[6:7], exec, s[8:9]
	s_cbranch_execnz .LBB43_2821
; %bb.773:
	s_or_saveexec_b64 s[6:7], s[6:7]
	v_mov_b32_e32 v21, s10
	s_xor_b64 exec, exec, s[6:7]
	s_cbranch_execnz .LBB43_2824
.LBB43_774:
	s_or_b64 exec, exec, s[6:7]
	s_and_saveexec_b64 s[6:7], s[4:5]
	s_cbranch_execz .LBB43_776
.LBB43_775:
	v_and_b32_e32 v21, 7, v10
	v_ffbh_u32_e32 v23, v21
	v_min_u32_e32 v23, 32, v23
	v_lshrrev_b16_e32 v22, 3, v10
	v_subrev_u32_e32 v24, 28, v23
	v_and_b32_e32 v22, 15, v22
	v_lshlrev_b32_e32 v24, v24, v10
	v_sub_u32_e32 v23, 29, v23
	v_and_b32_e32 v24, 7, v24
	v_cmp_eq_u16_e32 vcc, 0, v22
	v_cndmask_b32_e32 v21, v21, v24, vcc
	v_cndmask_b32_e32 v22, v22, v23, vcc
	v_lshlrev_b32_e32 v23, 24, v10
	v_mov_b32_e32 v24, 0x3b800000
	v_lshlrev_b32_e32 v21, 20, v21
	v_and_b32_e32 v23, 0x80000000, v23
	v_lshl_add_u32 v22, v22, 23, v24
	v_or3_b32 v21, v23, v22, v21
.LBB43_776:
	s_or_b64 exec, exec, s[6:7]
	flat_load_dwordx4 a[0:3], v[18:19] offset:944
	s_movk_i32 s4, 0x7f
                                        ; implicit-def: $sgpr10
	s_waitcnt vmcnt(0) lgkmcnt(0)
	v_mfma_f32_16x16x4f32 a[0:3], v20, v21, a[0:3]
	v_lshrrev_b32_e32 v21, 8, v14
	v_cmp_gt_i16_sdwa s[6:7], v21, s4 src0_sel:BYTE_0 src1_sel:DWORD
	s_mov_b64 s[4:5], 0
	s_and_saveexec_b64 s[8:9], s[6:7]
	s_xor_b64 s[6:7], exec, s[8:9]
	s_cbranch_execnz .LBB43_2825
; %bb.777:
	s_or_saveexec_b64 s[6:7], s[6:7]
	v_mov_b32_e32 v20, s10
	s_xor_b64 exec, exec, s[6:7]
	s_cbranch_execnz .LBB43_2828
.LBB43_778:
	s_or_b64 exec, exec, s[6:7]
	s_and_saveexec_b64 s[6:7], s[4:5]
	s_cbranch_execz .LBB43_780
.LBB43_779:
	v_bfe_u32 v20, v14, 8, 3
	v_ffbh_u32_e32 v23, v20
	v_min_u32_e32 v23, 32, v23
	v_lshrrev_b16_e32 v22, 3, v21
	v_subrev_u32_e32 v24, 28, v23
	v_and_b32_e32 v22, 15, v22
	v_lshlrev_b32_e32 v21, v24, v21
	v_sub_u32_e32 v23, 29, v23
	v_and_b32_e32 v21, 7, v21
	v_cmp_eq_u16_e32 vcc, 0, v22
	v_cndmask_b32_e32 v20, v20, v21, vcc
	v_cndmask_b32_e32 v21, v22, v23, vcc
	v_lshlrev_b32_e32 v22, 16, v14
	v_mov_b32_e32 v23, 0x3b800000
	v_lshlrev_b32_e32 v20, 20, v20
	v_and_b32_e32 v22, 0x80000000, v22
	v_lshl_add_u32 v21, v21, 23, v23
	v_or3_b32 v20, v22, v21, v20
.LBB43_780:
	s_or_b64 exec, exec, s[6:7]
	v_lshrrev_b32_e32 v21, 8, v10
	s_movk_i32 s4, 0x7f
	v_cmp_gt_i16_sdwa s[6:7], v21, s4 src0_sel:BYTE_0 src1_sel:DWORD
	s_mov_b64 s[4:5], 0
                                        ; implicit-def: $sgpr10
	s_and_saveexec_b64 s[8:9], s[6:7]
	s_xor_b64 s[6:7], exec, s[8:9]
	s_cbranch_execnz .LBB43_2829
; %bb.781:
	s_or_saveexec_b64 s[6:7], s[6:7]
	v_mov_b32_e32 v22, s10
	s_xor_b64 exec, exec, s[6:7]
	s_cbranch_execnz .LBB43_2832
.LBB43_782:
	s_or_b64 exec, exec, s[6:7]
	s_and_saveexec_b64 s[6:7], s[4:5]
	s_cbranch_execz .LBB43_784
.LBB43_783:
	v_bfe_u32 v22, v10, 8, 3
	v_ffbh_u32_e32 v24, v22
	v_min_u32_e32 v24, 32, v24
	v_lshrrev_b16_e32 v23, 3, v21
	v_subrev_u32_e32 v25, 28, v24
	v_and_b32_e32 v23, 15, v23
	v_lshlrev_b32_e32 v21, v25, v21
	v_sub_u32_e32 v24, 29, v24
	v_and_b32_e32 v21, 7, v21
	v_cmp_eq_u16_e32 vcc, 0, v23
	v_cndmask_b32_e32 v21, v22, v21, vcc
	v_cndmask_b32_e32 v22, v23, v24, vcc
	v_lshlrev_b32_e32 v23, 16, v10
	v_mov_b32_e32 v24, 0x3b800000
	v_lshlrev_b32_e32 v21, 20, v21
	v_and_b32_e32 v23, 0x80000000, v23
	v_lshl_add_u32 v22, v22, 23, v24
	v_or3_b32 v22, v23, v22, v21
.LBB43_784:
	s_or_b64 exec, exec, s[6:7]
	s_nop 0
	v_mfma_f32_16x16x4f32 a[0:3], v20, v22, a[0:3]
	s_movk_i32 s4, 0xff
	v_and_b32_sdwa v21, v14, s4 dst_sel:DWORD dst_unused:UNUSED_PAD src0_sel:WORD_1 src1_sel:DWORD
	s_movk_i32 s4, 0x7f
	v_cmp_lt_i16_e32 vcc, s4, v21
	s_mov_b64 s[4:5], 0
                                        ; implicit-def: $sgpr10
	s_and_saveexec_b64 s[6:7], vcc
	s_xor_b64 s[6:7], exec, s[6:7]
	s_cbranch_execnz .LBB43_2833
; %bb.785:
	s_or_saveexec_b64 s[6:7], s[6:7]
	v_mov_b32_e32 v20, s10
	s_xor_b64 exec, exec, s[6:7]
	s_cbranch_execnz .LBB43_2836
.LBB43_786:
	s_or_b64 exec, exec, s[6:7]
	s_and_saveexec_b64 s[6:7], s[4:5]
	s_cbranch_execz .LBB43_788
.LBB43_787:
	v_bfe_u32 v20, v14, 16, 3
	v_ffbh_u32_e32 v23, v20
	v_min_u32_e32 v23, 32, v23
	v_lshrrev_b32_e32 v21, 19, v14
	v_subrev_u32_e32 v24, 28, v23
	v_and_b32_e32 v21, 15, v21
	v_lshlrev_b32_sdwa v24, v24, v14 dst_sel:DWORD dst_unused:UNUSED_PAD src0_sel:DWORD src1_sel:WORD_1
	v_bfe_u32 v22, v14, 19, 4
	v_sub_u32_e32 v23, 29, v23
	v_and_b32_e32 v24, 7, v24
	v_cmp_eq_u16_e32 vcc, 0, v21
	v_cndmask_b32_e32 v20, v20, v24, vcc
	v_cndmask_b32_e32 v21, v22, v23, vcc
	v_lshlrev_b32_e32 v22, 8, v14
	v_mov_b32_e32 v23, 0x3b800000
	v_lshlrev_b32_e32 v20, 20, v20
	v_and_b32_e32 v22, 0x80000000, v22
	v_lshl_add_u32 v21, v21, 23, v23
	v_or3_b32 v20, v22, v21, v20
.LBB43_788:
	s_or_b64 exec, exec, s[6:7]
	s_movk_i32 s4, 0xff
	v_and_b32_sdwa v21, v10, s4 dst_sel:DWORD dst_unused:UNUSED_PAD src0_sel:WORD_1 src1_sel:DWORD
	s_movk_i32 s4, 0x7f
	v_cmp_lt_i16_e32 vcc, s4, v21
	s_mov_b64 s[4:5], 0
                                        ; implicit-def: $sgpr10
	s_and_saveexec_b64 s[6:7], vcc
	s_xor_b64 s[6:7], exec, s[6:7]
	s_cbranch_execnz .LBB43_2837
; %bb.789:
	s_or_saveexec_b64 s[6:7], s[6:7]
	v_mov_b32_e32 v22, s10
	s_xor_b64 exec, exec, s[6:7]
	s_cbranch_execnz .LBB43_2840
.LBB43_790:
	s_or_b64 exec, exec, s[6:7]
	s_and_saveexec_b64 s[6:7], s[4:5]
	s_cbranch_execz .LBB43_792
.LBB43_791:
	v_bfe_u32 v21, v10, 16, 3
	v_ffbh_u32_e32 v24, v21
	v_min_u32_e32 v24, 32, v24
	v_lshrrev_b32_e32 v22, 19, v10
	v_subrev_u32_e32 v25, 28, v24
	v_and_b32_e32 v22, 15, v22
	v_lshlrev_b32_sdwa v25, v25, v10 dst_sel:DWORD dst_unused:UNUSED_PAD src0_sel:DWORD src1_sel:WORD_1
	v_bfe_u32 v23, v10, 19, 4
	v_sub_u32_e32 v24, 29, v24
	v_and_b32_e32 v25, 7, v25
	v_cmp_eq_u16_e32 vcc, 0, v22
	v_cndmask_b32_e32 v21, v21, v25, vcc
	v_cndmask_b32_e32 v22, v23, v24, vcc
	v_lshlrev_b32_e32 v23, 8, v10
	v_mov_b32_e32 v24, 0x3b800000
	v_lshlrev_b32_e32 v21, 20, v21
	v_and_b32_e32 v23, 0x80000000, v23
	v_lshl_add_u32 v22, v22, 23, v24
	v_or3_b32 v22, v23, v22, v21
.LBB43_792:
	s_or_b64 exec, exec, s[6:7]
	s_nop 0
	v_mfma_f32_16x16x4f32 a[0:3], v20, v22, a[0:3]
	s_movk_i32 s4, 0x7f
	v_cmp_gt_i16_sdwa s[6:7], v14, s4 src0_sel:BYTE_3 src1_sel:DWORD
	s_mov_b64 s[4:5], 0
                                        ; implicit-def: $sgpr10
	s_and_saveexec_b64 s[8:9], s[6:7]
	s_xor_b64 s[6:7], exec, s[8:9]
	s_cbranch_execnz .LBB43_2841
; %bb.793:
	s_or_saveexec_b64 s[6:7], s[6:7]
	v_mov_b32_e32 v20, s10
	s_xor_b64 exec, exec, s[6:7]
	s_cbranch_execnz .LBB43_2844
.LBB43_794:
	s_or_b64 exec, exec, s[6:7]
	s_and_saveexec_b64 s[6:7], s[4:5]
	s_cbranch_execz .LBB43_796
.LBB43_795:
	v_bfe_u32 v20, v14, 24, 3
	v_ffbh_u32_e32 v24, v20
	v_min_u32_e32 v24, 32, v24
	v_lshrrev_b32_e32 v22, 27, v14
	v_subrev_u32_e32 v25, 28, v24
	v_and_b32_e32 v21, 0x80000000, v14
	v_and_b32_e32 v22, 15, v22
	v_bfe_u32 v23, v14, 27, 4
	v_lshlrev_b32_sdwa v14, v25, v14 dst_sel:DWORD dst_unused:UNUSED_PAD src0_sel:DWORD src1_sel:BYTE_3
	v_sub_u32_e32 v24, 29, v24
	v_and_b32_e32 v14, 7, v14
	v_cmp_eq_u16_e32 vcc, 0, v22
	v_cndmask_b32_e32 v14, v20, v14, vcc
	v_cndmask_b32_e32 v20, v23, v24, vcc
	v_mov_b32_e32 v22, 0x3b800000
	v_lshlrev_b32_e32 v14, 20, v14
	v_lshl_add_u32 v20, v20, 23, v22
	v_or3_b32 v20, v21, v20, v14
.LBB43_796:
	s_or_b64 exec, exec, s[6:7]
	s_movk_i32 s4, 0x7f
	v_cmp_gt_i16_sdwa s[6:7], v10, s4 src0_sel:BYTE_3 src1_sel:DWORD
	s_mov_b64 s[4:5], 0
                                        ; implicit-def: $sgpr10
	s_and_saveexec_b64 s[8:9], s[6:7]
	s_xor_b64 s[6:7], exec, s[8:9]
	s_cbranch_execnz .LBB43_2845
; %bb.797:
	s_or_saveexec_b64 s[6:7], s[6:7]
	v_mov_b32_e32 v14, s10
	s_xor_b64 exec, exec, s[6:7]
	s_cbranch_execnz .LBB43_2848
.LBB43_798:
	s_or_b64 exec, exec, s[6:7]
	s_and_saveexec_b64 s[6:7], s[4:5]
	s_cbranch_execz .LBB43_800
.LBB43_799:
	v_bfe_u32 v14, v10, 24, 3
	v_ffbh_u32_e32 v24, v14
	v_min_u32_e32 v24, 32, v24
	v_lshrrev_b32_e32 v22, 27, v10
	v_subrev_u32_e32 v25, 28, v24
	v_and_b32_e32 v21, 0x80000000, v10
	v_and_b32_e32 v22, 15, v22
	v_bfe_u32 v23, v10, 27, 4
	v_lshlrev_b32_sdwa v10, v25, v10 dst_sel:DWORD dst_unused:UNUSED_PAD src0_sel:DWORD src1_sel:BYTE_3
	v_sub_u32_e32 v24, 29, v24
	v_and_b32_e32 v10, 7, v10
	v_cmp_eq_u16_e32 vcc, 0, v22
	v_cndmask_b32_e32 v10, v14, v10, vcc
	v_cndmask_b32_e32 v14, v23, v24, vcc
	v_mov_b32_e32 v22, 0x3b800000
	v_lshlrev_b32_e32 v10, 20, v10
	v_lshl_add_u32 v14, v14, 23, v22
	v_or3_b32 v14, v21, v14, v10
.LBB43_800:
	s_or_b64 exec, exec, s[6:7]
	s_nop 0
	v_mfma_f32_16x16x4f32 a[0:3], v20, v14, a[0:3]
	s_movk_i32 s4, 0x7f
	v_cmp_gt_i16_sdwa s[6:7], v15, s4 src0_sel:BYTE_0 src1_sel:DWORD
	s_mov_b64 s[4:5], 0
                                        ; implicit-def: $sgpr10
	s_and_saveexec_b64 s[8:9], s[6:7]
	s_xor_b64 s[6:7], exec, s[8:9]
	s_cbranch_execnz .LBB43_2849
; %bb.801:
	s_or_saveexec_b64 s[6:7], s[6:7]
	v_mov_b32_e32 v10, s10
	s_xor_b64 exec, exec, s[6:7]
	s_cbranch_execnz .LBB43_2852
.LBB43_802:
	s_or_b64 exec, exec, s[6:7]
	s_and_saveexec_b64 s[6:7], s[4:5]
	s_cbranch_execz .LBB43_804
.LBB43_803:
	v_and_b32_e32 v10, 7, v15
	v_ffbh_u32_e32 v20, v10
	v_min_u32_e32 v20, 32, v20
	v_lshrrev_b16_e32 v14, 3, v15
	v_subrev_u32_e32 v21, 28, v20
	v_and_b32_e32 v14, 15, v14
	v_lshlrev_b32_e32 v21, v21, v15
	v_sub_u32_e32 v20, 29, v20
	v_and_b32_e32 v21, 7, v21
	v_cmp_eq_u16_e32 vcc, 0, v14
	v_cndmask_b32_e32 v10, v10, v21, vcc
	v_cndmask_b32_e32 v14, v14, v20, vcc
	v_lshlrev_b32_e32 v20, 24, v15
	v_mov_b32_e32 v21, 0x3b800000
	v_lshlrev_b32_e32 v10, 20, v10
	v_and_b32_e32 v20, 0x80000000, v20
	v_lshl_add_u32 v14, v14, 23, v21
	v_or3_b32 v10, v20, v14, v10
.LBB43_804:
	s_or_b64 exec, exec, s[6:7]
	s_movk_i32 s4, 0x7f
	v_cmp_gt_i16_sdwa s[6:7], v11, s4 src0_sel:BYTE_0 src1_sel:DWORD
	s_mov_b64 s[4:5], 0
                                        ; implicit-def: $sgpr10
	s_and_saveexec_b64 s[8:9], s[6:7]
	s_xor_b64 s[6:7], exec, s[8:9]
	s_cbranch_execnz .LBB43_2853
; %bb.805:
	s_or_saveexec_b64 s[6:7], s[6:7]
	v_mov_b32_e32 v14, s10
	s_xor_b64 exec, exec, s[6:7]
	s_cbranch_execnz .LBB43_2856
.LBB43_806:
	s_or_b64 exec, exec, s[6:7]
	s_and_saveexec_b64 s[6:7], s[4:5]
	s_cbranch_execz .LBB43_808
.LBB43_807:
	v_and_b32_e32 v14, 7, v11
	v_ffbh_u32_e32 v21, v14
	v_min_u32_e32 v21, 32, v21
	v_lshrrev_b16_e32 v20, 3, v11
	v_subrev_u32_e32 v22, 28, v21
	v_and_b32_e32 v20, 15, v20
	v_lshlrev_b32_e32 v22, v22, v11
	v_sub_u32_e32 v21, 29, v21
	v_and_b32_e32 v22, 7, v22
	v_cmp_eq_u16_e32 vcc, 0, v20
	v_cndmask_b32_e32 v14, v14, v22, vcc
	v_cndmask_b32_e32 v20, v20, v21, vcc
	v_lshlrev_b32_e32 v21, 24, v11
	v_mov_b32_e32 v22, 0x3b800000
	v_lshlrev_b32_e32 v14, 20, v14
	v_and_b32_e32 v21, 0x80000000, v21
	v_lshl_add_u32 v20, v20, 23, v22
	v_or3_b32 v14, v21, v20, v14
.LBB43_808:
	s_or_b64 exec, exec, s[6:7]
	s_nop 0
	v_mfma_f32_16x16x4f32 a[0:3], v10, v14, a[0:3]
	v_lshrrev_b32_e32 v14, 8, v15
	s_movk_i32 s4, 0x7f
	v_cmp_gt_i16_sdwa s[6:7], v14, s4 src0_sel:BYTE_0 src1_sel:DWORD
	s_mov_b64 s[4:5], 0
                                        ; implicit-def: $sgpr10
	s_and_saveexec_b64 s[8:9], s[6:7]
	s_xor_b64 s[6:7], exec, s[8:9]
	s_cbranch_execnz .LBB43_2857
; %bb.809:
	s_or_saveexec_b64 s[6:7], s[6:7]
	v_mov_b32_e32 v10, s10
	s_xor_b64 exec, exec, s[6:7]
	s_cbranch_execnz .LBB43_2860
.LBB43_810:
	s_or_b64 exec, exec, s[6:7]
	s_and_saveexec_b64 s[6:7], s[4:5]
	s_cbranch_execz .LBB43_812
.LBB43_811:
	v_bfe_u32 v10, v15, 8, 3
	v_ffbh_u32_e32 v21, v10
	v_min_u32_e32 v21, 32, v21
	v_lshrrev_b16_e32 v20, 3, v14
	v_subrev_u32_e32 v22, 28, v21
	v_and_b32_e32 v20, 15, v20
	v_lshlrev_b32_e32 v14, v22, v14
	v_sub_u32_e32 v21, 29, v21
	v_and_b32_e32 v14, 7, v14
	v_cmp_eq_u16_e32 vcc, 0, v20
	v_cndmask_b32_e32 v10, v10, v14, vcc
	v_cndmask_b32_e32 v14, v20, v21, vcc
	v_lshlrev_b32_e32 v20, 16, v15
	v_mov_b32_e32 v21, 0x3b800000
	v_lshlrev_b32_e32 v10, 20, v10
	v_and_b32_e32 v20, 0x80000000, v20
	v_lshl_add_u32 v14, v14, 23, v21
	v_or3_b32 v10, v20, v14, v10
.LBB43_812:
	s_or_b64 exec, exec, s[6:7]
	v_lshrrev_b32_e32 v14, 8, v11
	s_movk_i32 s4, 0x7f
	v_cmp_gt_i16_sdwa s[6:7], v14, s4 src0_sel:BYTE_0 src1_sel:DWORD
	s_mov_b64 s[4:5], 0
                                        ; implicit-def: $sgpr10
	s_and_saveexec_b64 s[8:9], s[6:7]
	s_xor_b64 s[6:7], exec, s[8:9]
	s_cbranch_execnz .LBB43_2861
; %bb.813:
	s_or_saveexec_b64 s[6:7], s[6:7]
	v_mov_b32_e32 v20, s10
	s_xor_b64 exec, exec, s[6:7]
	s_cbranch_execnz .LBB43_2864
.LBB43_814:
	s_or_b64 exec, exec, s[6:7]
	s_and_saveexec_b64 s[6:7], s[4:5]
	s_cbranch_execz .LBB43_816
.LBB43_815:
	v_bfe_u32 v20, v11, 8, 3
	v_ffbh_u32_e32 v22, v20
	v_min_u32_e32 v22, 32, v22
	v_lshrrev_b16_e32 v21, 3, v14
	v_subrev_u32_e32 v23, 28, v22
	v_and_b32_e32 v21, 15, v21
	v_lshlrev_b32_e32 v14, v23, v14
	v_sub_u32_e32 v22, 29, v22
	v_and_b32_e32 v14, 7, v14
	v_cmp_eq_u16_e32 vcc, 0, v21
	v_cndmask_b32_e32 v14, v20, v14, vcc
	v_cndmask_b32_e32 v20, v21, v22, vcc
	v_lshlrev_b32_e32 v21, 16, v11
	v_mov_b32_e32 v22, 0x3b800000
	v_lshlrev_b32_e32 v14, 20, v14
	v_and_b32_e32 v21, 0x80000000, v21
	v_lshl_add_u32 v20, v20, 23, v22
	v_or3_b32 v20, v21, v20, v14
.LBB43_816:
	s_or_b64 exec, exec, s[6:7]
	s_nop 0
	v_mfma_f32_16x16x4f32 a[0:3], v10, v20, a[0:3]
	s_movk_i32 s4, 0xff
	v_and_b32_sdwa v14, v15, s4 dst_sel:DWORD dst_unused:UNUSED_PAD src0_sel:WORD_1 src1_sel:DWORD
	s_movk_i32 s4, 0x7f
	v_cmp_lt_i16_e32 vcc, s4, v14
	s_mov_b64 s[4:5], 0
                                        ; implicit-def: $sgpr10
	s_and_saveexec_b64 s[6:7], vcc
	s_xor_b64 s[6:7], exec, s[6:7]
	s_cbranch_execnz .LBB43_2865
; %bb.817:
	s_or_saveexec_b64 s[6:7], s[6:7]
	v_mov_b32_e32 v10, s10
	s_xor_b64 exec, exec, s[6:7]
	s_cbranch_execnz .LBB43_2868
.LBB43_818:
	s_or_b64 exec, exec, s[6:7]
	s_and_saveexec_b64 s[6:7], s[4:5]
	s_cbranch_execz .LBB43_820
.LBB43_819:
	v_bfe_u32 v10, v15, 16, 3
	v_ffbh_u32_e32 v21, v10
	v_min_u32_e32 v21, 32, v21
	v_lshrrev_b32_e32 v14, 19, v15
	v_subrev_u32_e32 v22, 28, v21
	v_and_b32_e32 v14, 15, v14
	v_lshlrev_b32_sdwa v22, v22, v15 dst_sel:DWORD dst_unused:UNUSED_PAD src0_sel:DWORD src1_sel:WORD_1
	v_bfe_u32 v20, v15, 19, 4
	v_sub_u32_e32 v21, 29, v21
	v_and_b32_e32 v22, 7, v22
	v_cmp_eq_u16_e32 vcc, 0, v14
	v_cndmask_b32_e32 v10, v10, v22, vcc
	v_cndmask_b32_e32 v14, v20, v21, vcc
	v_lshlrev_b32_e32 v20, 8, v15
	v_mov_b32_e32 v21, 0x3b800000
	v_lshlrev_b32_e32 v10, 20, v10
	v_and_b32_e32 v20, 0x80000000, v20
	v_lshl_add_u32 v14, v14, 23, v21
	v_or3_b32 v10, v20, v14, v10
.LBB43_820:
	s_or_b64 exec, exec, s[6:7]
	s_movk_i32 s4, 0xff
	v_and_b32_sdwa v14, v11, s4 dst_sel:DWORD dst_unused:UNUSED_PAD src0_sel:WORD_1 src1_sel:DWORD
	s_movk_i32 s4, 0x7f
	v_cmp_lt_i16_e32 vcc, s4, v14
	s_mov_b64 s[4:5], 0
                                        ; implicit-def: $sgpr10
	s_and_saveexec_b64 s[6:7], vcc
	s_xor_b64 s[6:7], exec, s[6:7]
	s_cbranch_execnz .LBB43_2869
; %bb.821:
	s_or_saveexec_b64 s[6:7], s[6:7]
	v_mov_b32_e32 v20, s10
	s_xor_b64 exec, exec, s[6:7]
	s_cbranch_execnz .LBB43_2872
.LBB43_822:
	s_or_b64 exec, exec, s[6:7]
	s_and_saveexec_b64 s[6:7], s[4:5]
	s_cbranch_execz .LBB43_824
.LBB43_823:
	v_bfe_u32 v14, v11, 16, 3
	v_ffbh_u32_e32 v22, v14
	v_min_u32_e32 v22, 32, v22
	v_lshrrev_b32_e32 v20, 19, v11
	v_subrev_u32_e32 v23, 28, v22
	v_and_b32_e32 v20, 15, v20
	v_lshlrev_b32_sdwa v23, v23, v11 dst_sel:DWORD dst_unused:UNUSED_PAD src0_sel:DWORD src1_sel:WORD_1
	v_bfe_u32 v21, v11, 19, 4
	v_sub_u32_e32 v22, 29, v22
	v_and_b32_e32 v23, 7, v23
	v_cmp_eq_u16_e32 vcc, 0, v20
	v_cndmask_b32_e32 v14, v14, v23, vcc
	v_cndmask_b32_e32 v20, v21, v22, vcc
	v_lshlrev_b32_e32 v21, 8, v11
	v_mov_b32_e32 v22, 0x3b800000
	v_lshlrev_b32_e32 v14, 20, v14
	v_and_b32_e32 v21, 0x80000000, v21
	v_lshl_add_u32 v20, v20, 23, v22
	v_or3_b32 v20, v21, v20, v14
.LBB43_824:
	s_or_b64 exec, exec, s[6:7]
	s_nop 0
	v_mfma_f32_16x16x4f32 a[0:3], v10, v20, a[0:3]
	s_movk_i32 s4, 0x7f
	v_cmp_gt_i16_sdwa s[6:7], v15, s4 src0_sel:BYTE_3 src1_sel:DWORD
	s_mov_b64 s[4:5], 0
                                        ; implicit-def: $sgpr10
	s_and_saveexec_b64 s[8:9], s[6:7]
	s_xor_b64 s[6:7], exec, s[8:9]
	s_cbranch_execnz .LBB43_2873
; %bb.825:
	s_or_saveexec_b64 s[6:7], s[6:7]
	v_mov_b32_e32 v10, s10
	s_xor_b64 exec, exec, s[6:7]
	s_cbranch_execnz .LBB43_2876
.LBB43_826:
	s_or_b64 exec, exec, s[6:7]
	s_and_saveexec_b64 s[6:7], s[4:5]
	s_cbranch_execz .LBB43_828
.LBB43_827:
	v_bfe_u32 v10, v15, 24, 3
	v_ffbh_u32_e32 v22, v10
	v_min_u32_e32 v22, 32, v22
	v_lshrrev_b32_e32 v20, 27, v15
	v_subrev_u32_e32 v23, 28, v22
	v_and_b32_e32 v14, 0x80000000, v15
	v_and_b32_e32 v20, 15, v20
	v_bfe_u32 v21, v15, 27, 4
	v_lshlrev_b32_sdwa v15, v23, v15 dst_sel:DWORD dst_unused:UNUSED_PAD src0_sel:DWORD src1_sel:BYTE_3
	v_sub_u32_e32 v22, 29, v22
	v_and_b32_e32 v15, 7, v15
	v_cmp_eq_u16_e32 vcc, 0, v20
	v_cndmask_b32_e32 v10, v10, v15, vcc
	v_cndmask_b32_e32 v15, v21, v22, vcc
	v_mov_b32_e32 v20, 0x3b800000
	v_lshlrev_b32_e32 v10, 20, v10
	v_lshl_add_u32 v15, v15, 23, v20
	v_or3_b32 v10, v14, v15, v10
.LBB43_828:
	s_or_b64 exec, exec, s[6:7]
	s_movk_i32 s4, 0x7f
	v_cmp_gt_i16_sdwa s[6:7], v11, s4 src0_sel:BYTE_3 src1_sel:DWORD
	s_mov_b64 s[4:5], 0
                                        ; implicit-def: $sgpr10
	s_and_saveexec_b64 s[8:9], s[6:7]
	s_xor_b64 s[6:7], exec, s[8:9]
	s_cbranch_execnz .LBB43_2877
; %bb.829:
	s_or_saveexec_b64 s[6:7], s[6:7]
	v_mov_b32_e32 v14, s10
	s_xor_b64 exec, exec, s[6:7]
	s_cbranch_execnz .LBB43_2880
.LBB43_830:
	s_or_b64 exec, exec, s[6:7]
	s_and_saveexec_b64 s[6:7], s[4:5]
	s_cbranch_execz .LBB43_832
.LBB43_831:
	v_bfe_u32 v14, v11, 24, 3
	v_ffbh_u32_e32 v22, v14
	v_min_u32_e32 v22, 32, v22
	v_lshrrev_b32_e32 v20, 27, v11
	v_subrev_u32_e32 v23, 28, v22
	v_and_b32_e32 v15, 0x80000000, v11
	v_and_b32_e32 v20, 15, v20
	v_bfe_u32 v21, v11, 27, 4
	v_lshlrev_b32_sdwa v11, v23, v11 dst_sel:DWORD dst_unused:UNUSED_PAD src0_sel:DWORD src1_sel:BYTE_3
	v_sub_u32_e32 v22, 29, v22
	v_and_b32_e32 v11, 7, v11
	v_cmp_eq_u16_e32 vcc, 0, v20
	v_cndmask_b32_e32 v11, v14, v11, vcc
	v_cndmask_b32_e32 v14, v21, v22, vcc
	v_mov_b32_e32 v20, 0x3b800000
	v_lshlrev_b32_e32 v11, 20, v11
	v_lshl_add_u32 v14, v14, 23, v20
	v_or3_b32 v14, v15, v14, v11
.LBB43_832:
	s_or_b64 exec, exec, s[6:7]
	s_nop 0
	v_mfma_f32_16x16x4f32 a[0:3], v10, v14, a[0:3]
	s_movk_i32 s4, 0x7f
	v_cmp_gt_i16_sdwa s[6:7], v16, s4 src0_sel:BYTE_0 src1_sel:DWORD
	s_mov_b64 s[4:5], 0
                                        ; implicit-def: $sgpr10
	s_and_saveexec_b64 s[8:9], s[6:7]
	s_xor_b64 s[6:7], exec, s[8:9]
	s_cbranch_execnz .LBB43_2881
; %bb.833:
	s_or_saveexec_b64 s[6:7], s[6:7]
	v_mov_b32_e32 v10, s10
	s_xor_b64 exec, exec, s[6:7]
	s_cbranch_execnz .LBB43_2884
.LBB43_834:
	s_or_b64 exec, exec, s[6:7]
	s_and_saveexec_b64 s[6:7], s[4:5]
	s_cbranch_execz .LBB43_836
.LBB43_835:
	v_and_b32_e32 v10, 7, v16
	v_ffbh_u32_e32 v14, v10
	v_min_u32_e32 v14, 32, v14
	v_lshrrev_b16_e32 v11, 3, v16
	v_subrev_u32_e32 v15, 28, v14
	v_and_b32_e32 v11, 15, v11
	v_lshlrev_b32_e32 v15, v15, v16
	v_sub_u32_e32 v14, 29, v14
	v_and_b32_e32 v15, 7, v15
	v_cmp_eq_u16_e32 vcc, 0, v11
	v_cndmask_b32_e32 v10, v10, v15, vcc
	v_cndmask_b32_e32 v11, v11, v14, vcc
	v_lshlrev_b32_e32 v14, 24, v16
	v_mov_b32_e32 v15, 0x3b800000
	v_lshlrev_b32_e32 v10, 20, v10
	v_and_b32_e32 v14, 0x80000000, v14
	v_lshl_add_u32 v11, v11, 23, v15
	v_or3_b32 v10, v14, v11, v10
.LBB43_836:
	s_or_b64 exec, exec, s[6:7]
	s_movk_i32 s4, 0x7f
	v_cmp_gt_i16_sdwa s[6:7], v12, s4 src0_sel:BYTE_0 src1_sel:DWORD
	s_mov_b64 s[4:5], 0
                                        ; implicit-def: $sgpr10
	s_and_saveexec_b64 s[8:9], s[6:7]
	s_xor_b64 s[6:7], exec, s[8:9]
	s_cbranch_execnz .LBB43_2885
; %bb.837:
	s_or_saveexec_b64 s[6:7], s[6:7]
	v_mov_b32_e32 v11, s10
	s_xor_b64 exec, exec, s[6:7]
	s_cbranch_execnz .LBB43_2888
.LBB43_838:
	s_or_b64 exec, exec, s[6:7]
	s_and_saveexec_b64 s[6:7], s[4:5]
	s_cbranch_execz .LBB43_840
.LBB43_839:
	v_and_b32_e32 v11, 7, v12
	v_ffbh_u32_e32 v15, v11
	v_min_u32_e32 v15, 32, v15
	v_lshrrev_b16_e32 v14, 3, v12
	v_subrev_u32_e32 v20, 28, v15
	v_and_b32_e32 v14, 15, v14
	v_lshlrev_b32_e32 v20, v20, v12
	v_sub_u32_e32 v15, 29, v15
	v_and_b32_e32 v20, 7, v20
	v_cmp_eq_u16_e32 vcc, 0, v14
	v_cndmask_b32_e32 v11, v11, v20, vcc
	v_cndmask_b32_e32 v14, v14, v15, vcc
	v_lshlrev_b32_e32 v15, 24, v12
	v_mov_b32_e32 v20, 0x3b800000
	v_lshlrev_b32_e32 v11, 20, v11
	v_and_b32_e32 v15, 0x80000000, v15
	v_lshl_add_u32 v14, v14, 23, v20
	v_or3_b32 v11, v15, v14, v11
.LBB43_840:
	s_or_b64 exec, exec, s[6:7]
	s_nop 0
	v_mfma_f32_16x16x4f32 a[0:3], v10, v11, a[0:3]
	v_lshrrev_b32_e32 v11, 8, v16
	s_movk_i32 s4, 0x7f
	v_cmp_gt_i16_sdwa s[6:7], v11, s4 src0_sel:BYTE_0 src1_sel:DWORD
	s_mov_b64 s[4:5], 0
                                        ; implicit-def: $sgpr10
	s_and_saveexec_b64 s[8:9], s[6:7]
	s_xor_b64 s[6:7], exec, s[8:9]
	s_cbranch_execnz .LBB43_2889
; %bb.841:
	s_or_saveexec_b64 s[6:7], s[6:7]
	v_mov_b32_e32 v10, s10
	s_xor_b64 exec, exec, s[6:7]
	s_cbranch_execnz .LBB43_2892
.LBB43_842:
	s_or_b64 exec, exec, s[6:7]
	s_and_saveexec_b64 s[6:7], s[4:5]
	s_cbranch_execz .LBB43_844
.LBB43_843:
	v_bfe_u32 v10, v16, 8, 3
	v_ffbh_u32_e32 v15, v10
	v_min_u32_e32 v15, 32, v15
	v_lshrrev_b16_e32 v14, 3, v11
	v_subrev_u32_e32 v20, 28, v15
	v_and_b32_e32 v14, 15, v14
	v_lshlrev_b32_e32 v11, v20, v11
	v_sub_u32_e32 v15, 29, v15
	v_and_b32_e32 v11, 7, v11
	v_cmp_eq_u16_e32 vcc, 0, v14
	v_cndmask_b32_e32 v10, v10, v11, vcc
	v_cndmask_b32_e32 v11, v14, v15, vcc
	v_lshlrev_b32_e32 v14, 16, v16
	v_mov_b32_e32 v15, 0x3b800000
	v_lshlrev_b32_e32 v10, 20, v10
	v_and_b32_e32 v14, 0x80000000, v14
	v_lshl_add_u32 v11, v11, 23, v15
	v_or3_b32 v10, v14, v11, v10
.LBB43_844:
	s_or_b64 exec, exec, s[6:7]
	v_lshrrev_b32_e32 v11, 8, v12
	s_movk_i32 s4, 0x7f
	v_cmp_gt_i16_sdwa s[6:7], v11, s4 src0_sel:BYTE_0 src1_sel:DWORD
	s_mov_b64 s[4:5], 0
                                        ; implicit-def: $sgpr10
	s_and_saveexec_b64 s[8:9], s[6:7]
	s_xor_b64 s[6:7], exec, s[8:9]
	s_cbranch_execnz .LBB43_2893
; %bb.845:
	s_or_saveexec_b64 s[6:7], s[6:7]
	v_mov_b32_e32 v14, s10
	s_xor_b64 exec, exec, s[6:7]
	s_cbranch_execnz .LBB43_2896
.LBB43_846:
	s_or_b64 exec, exec, s[6:7]
	s_and_saveexec_b64 s[6:7], s[4:5]
	s_cbranch_execz .LBB43_848
.LBB43_847:
	v_bfe_u32 v14, v12, 8, 3
	v_ffbh_u32_e32 v20, v14
	v_min_u32_e32 v20, 32, v20
	v_lshrrev_b16_e32 v15, 3, v11
	v_subrev_u32_e32 v21, 28, v20
	v_and_b32_e32 v15, 15, v15
	v_lshlrev_b32_e32 v11, v21, v11
	v_sub_u32_e32 v20, 29, v20
	v_and_b32_e32 v11, 7, v11
	v_cmp_eq_u16_e32 vcc, 0, v15
	v_cndmask_b32_e32 v11, v14, v11, vcc
	v_cndmask_b32_e32 v14, v15, v20, vcc
	v_lshlrev_b32_e32 v15, 16, v12
	v_mov_b32_e32 v20, 0x3b800000
	v_lshlrev_b32_e32 v11, 20, v11
	v_and_b32_e32 v15, 0x80000000, v15
	v_lshl_add_u32 v14, v14, 23, v20
	v_or3_b32 v14, v15, v14, v11
.LBB43_848:
	s_or_b64 exec, exec, s[6:7]
	s_nop 0
	v_mfma_f32_16x16x4f32 a[0:3], v10, v14, a[0:3]
	s_movk_i32 s4, 0xff
	v_and_b32_sdwa v11, v16, s4 dst_sel:DWORD dst_unused:UNUSED_PAD src0_sel:WORD_1 src1_sel:DWORD
	s_movk_i32 s4, 0x7f
	v_cmp_lt_i16_e32 vcc, s4, v11
	s_mov_b64 s[4:5], 0
                                        ; implicit-def: $sgpr10
	s_and_saveexec_b64 s[6:7], vcc
	s_xor_b64 s[6:7], exec, s[6:7]
	s_cbranch_execnz .LBB43_2897
; %bb.849:
	s_or_saveexec_b64 s[6:7], s[6:7]
	v_mov_b32_e32 v10, s10
	s_xor_b64 exec, exec, s[6:7]
	s_cbranch_execnz .LBB43_2900
.LBB43_850:
	s_or_b64 exec, exec, s[6:7]
	s_and_saveexec_b64 s[6:7], s[4:5]
	s_cbranch_execz .LBB43_852
.LBB43_851:
	v_bfe_u32 v10, v16, 16, 3
	v_ffbh_u32_e32 v15, v10
	v_min_u32_e32 v15, 32, v15
	v_lshrrev_b32_e32 v11, 19, v16
	v_subrev_u32_e32 v20, 28, v15
	v_and_b32_e32 v11, 15, v11
	v_lshlrev_b32_sdwa v20, v20, v16 dst_sel:DWORD dst_unused:UNUSED_PAD src0_sel:DWORD src1_sel:WORD_1
	v_bfe_u32 v14, v16, 19, 4
	v_sub_u32_e32 v15, 29, v15
	v_and_b32_e32 v20, 7, v20
	v_cmp_eq_u16_e32 vcc, 0, v11
	v_cndmask_b32_e32 v10, v10, v20, vcc
	v_cndmask_b32_e32 v11, v14, v15, vcc
	v_lshlrev_b32_e32 v14, 8, v16
	v_mov_b32_e32 v15, 0x3b800000
	v_lshlrev_b32_e32 v10, 20, v10
	v_and_b32_e32 v14, 0x80000000, v14
	v_lshl_add_u32 v11, v11, 23, v15
	v_or3_b32 v10, v14, v11, v10
.LBB43_852:
	s_or_b64 exec, exec, s[6:7]
	s_movk_i32 s4, 0xff
	v_and_b32_sdwa v11, v12, s4 dst_sel:DWORD dst_unused:UNUSED_PAD src0_sel:WORD_1 src1_sel:DWORD
	s_movk_i32 s4, 0x7f
	v_cmp_lt_i16_e32 vcc, s4, v11
	s_mov_b64 s[4:5], 0
                                        ; implicit-def: $sgpr10
	s_and_saveexec_b64 s[6:7], vcc
	s_xor_b64 s[6:7], exec, s[6:7]
	s_cbranch_execnz .LBB43_2901
; %bb.853:
	s_or_saveexec_b64 s[6:7], s[6:7]
	v_mov_b32_e32 v14, s10
	s_xor_b64 exec, exec, s[6:7]
	s_cbranch_execnz .LBB43_2904
.LBB43_854:
	s_or_b64 exec, exec, s[6:7]
	s_and_saveexec_b64 s[6:7], s[4:5]
	s_cbranch_execz .LBB43_856
.LBB43_855:
	v_bfe_u32 v11, v12, 16, 3
	v_ffbh_u32_e32 v20, v11
	v_min_u32_e32 v20, 32, v20
	v_lshrrev_b32_e32 v14, 19, v12
	v_subrev_u32_e32 v21, 28, v20
	v_and_b32_e32 v14, 15, v14
	v_lshlrev_b32_sdwa v21, v21, v12 dst_sel:DWORD dst_unused:UNUSED_PAD src0_sel:DWORD src1_sel:WORD_1
	v_bfe_u32 v15, v12, 19, 4
	v_sub_u32_e32 v20, 29, v20
	v_and_b32_e32 v21, 7, v21
	v_cmp_eq_u16_e32 vcc, 0, v14
	v_cndmask_b32_e32 v11, v11, v21, vcc
	v_cndmask_b32_e32 v14, v15, v20, vcc
	v_lshlrev_b32_e32 v15, 8, v12
	v_mov_b32_e32 v20, 0x3b800000
	v_lshlrev_b32_e32 v11, 20, v11
	v_and_b32_e32 v15, 0x80000000, v15
	v_lshl_add_u32 v14, v14, 23, v20
	v_or3_b32 v14, v15, v14, v11
.LBB43_856:
	s_or_b64 exec, exec, s[6:7]
	s_nop 0
	v_mfma_f32_16x16x4f32 a[0:3], v10, v14, a[0:3]
	s_movk_i32 s4, 0x7f
	v_cmp_gt_i16_sdwa s[6:7], v16, s4 src0_sel:BYTE_3 src1_sel:DWORD
	s_mov_b64 s[4:5], 0
                                        ; implicit-def: $sgpr10
	s_and_saveexec_b64 s[8:9], s[6:7]
	s_xor_b64 s[6:7], exec, s[8:9]
	s_cbranch_execnz .LBB43_2905
; %bb.857:
	s_or_saveexec_b64 s[6:7], s[6:7]
	v_mov_b32_e32 v10, s10
	s_xor_b64 exec, exec, s[6:7]
	s_cbranch_execnz .LBB43_2908
.LBB43_858:
	s_or_b64 exec, exec, s[6:7]
	s_and_saveexec_b64 s[6:7], s[4:5]
	s_cbranch_execz .LBB43_860
.LBB43_859:
	v_bfe_u32 v10, v16, 24, 3
	v_ffbh_u32_e32 v20, v10
	v_min_u32_e32 v20, 32, v20
	v_lshrrev_b32_e32 v14, 27, v16
	v_subrev_u32_e32 v21, 28, v20
	v_and_b32_e32 v11, 0x80000000, v16
	v_and_b32_e32 v14, 15, v14
	v_bfe_u32 v15, v16, 27, 4
	v_lshlrev_b32_sdwa v16, v21, v16 dst_sel:DWORD dst_unused:UNUSED_PAD src0_sel:DWORD src1_sel:BYTE_3
	v_sub_u32_e32 v20, 29, v20
	v_and_b32_e32 v16, 7, v16
	v_cmp_eq_u16_e32 vcc, 0, v14
	v_cndmask_b32_e32 v10, v10, v16, vcc
	v_cndmask_b32_e32 v14, v15, v20, vcc
	v_mov_b32_e32 v15, 0x3b800000
	v_lshlrev_b32_e32 v10, 20, v10
	v_lshl_add_u32 v14, v14, 23, v15
	v_or3_b32 v10, v11, v14, v10
.LBB43_860:
	s_or_b64 exec, exec, s[6:7]
	s_movk_i32 s4, 0x7f
	v_cmp_gt_i16_sdwa s[6:7], v12, s4 src0_sel:BYTE_3 src1_sel:DWORD
	s_mov_b64 s[4:5], 0
                                        ; implicit-def: $sgpr10
	s_and_saveexec_b64 s[8:9], s[6:7]
	s_xor_b64 s[6:7], exec, s[8:9]
	s_cbranch_execnz .LBB43_2909
; %bb.861:
	s_or_saveexec_b64 s[6:7], s[6:7]
	v_mov_b32_e32 v11, s10
	s_xor_b64 exec, exec, s[6:7]
	s_cbranch_execnz .LBB43_2912
.LBB43_862:
	s_or_b64 exec, exec, s[6:7]
	s_and_saveexec_b64 s[6:7], s[4:5]
	s_cbranch_execz .LBB43_864
.LBB43_863:
	v_bfe_u32 v11, v12, 24, 3
	v_ffbh_u32_e32 v20, v11
	v_min_u32_e32 v20, 32, v20
	v_lshrrev_b32_e32 v15, 27, v12
	v_subrev_u32_e32 v21, 28, v20
	v_and_b32_e32 v14, 0x80000000, v12
	v_and_b32_e32 v15, 15, v15
	v_bfe_u32 v16, v12, 27, 4
	v_lshlrev_b32_sdwa v12, v21, v12 dst_sel:DWORD dst_unused:UNUSED_PAD src0_sel:DWORD src1_sel:BYTE_3
	v_sub_u32_e32 v20, 29, v20
	v_and_b32_e32 v12, 7, v12
	v_cmp_eq_u16_e32 vcc, 0, v15
	v_cndmask_b32_e32 v11, v11, v12, vcc
	v_cndmask_b32_e32 v12, v16, v20, vcc
	v_mov_b32_e32 v15, 0x3b800000
	v_lshlrev_b32_e32 v11, 20, v11
	v_lshl_add_u32 v12, v12, 23, v15
	v_or3_b32 v11, v14, v12, v11
.LBB43_864:
	s_or_b64 exec, exec, s[6:7]
	s_nop 0
	v_mfma_f32_16x16x4f32 a[0:3], v10, v11, a[0:3]
	s_movk_i32 s4, 0x7f
	v_cmp_gt_i16_sdwa s[6:7], v17, s4 src0_sel:BYTE_0 src1_sel:DWORD
	s_mov_b64 s[4:5], 0
                                        ; implicit-def: $sgpr10
	s_and_saveexec_b64 s[8:9], s[6:7]
	s_xor_b64 s[6:7], exec, s[8:9]
	s_cbranch_execnz .LBB43_2913
; %bb.865:
	s_or_saveexec_b64 s[6:7], s[6:7]
	v_mov_b32_e32 v10, s10
	s_xor_b64 exec, exec, s[6:7]
	s_cbranch_execnz .LBB43_2916
.LBB43_866:
	s_or_b64 exec, exec, s[6:7]
	s_and_saveexec_b64 s[6:7], s[4:5]
	s_cbranch_execz .LBB43_868
.LBB43_867:
	v_and_b32_e32 v10, 7, v17
	v_ffbh_u32_e32 v12, v10
	v_min_u32_e32 v12, 32, v12
	v_lshrrev_b16_e32 v11, 3, v17
	v_subrev_u32_e32 v14, 28, v12
	v_and_b32_e32 v11, 15, v11
	v_lshlrev_b32_e32 v14, v14, v17
	v_sub_u32_e32 v12, 29, v12
	v_and_b32_e32 v14, 7, v14
	v_cmp_eq_u16_e32 vcc, 0, v11
	v_cndmask_b32_e32 v10, v10, v14, vcc
	v_cndmask_b32_e32 v11, v11, v12, vcc
	v_lshlrev_b32_e32 v12, 24, v17
	v_mov_b32_e32 v14, 0x3b800000
	v_lshlrev_b32_e32 v10, 20, v10
	v_and_b32_e32 v12, 0x80000000, v12
	v_lshl_add_u32 v11, v11, 23, v14
	v_or3_b32 v10, v12, v11, v10
.LBB43_868:
	s_or_b64 exec, exec, s[6:7]
	s_movk_i32 s4, 0x7f
	v_cmp_gt_i16_sdwa s[6:7], v13, s4 src0_sel:BYTE_0 src1_sel:DWORD
	s_mov_b64 s[4:5], 0
                                        ; implicit-def: $sgpr10
	s_and_saveexec_b64 s[8:9], s[6:7]
	s_xor_b64 s[6:7], exec, s[8:9]
	s_cbranch_execnz .LBB43_2917
; %bb.869:
	s_or_saveexec_b64 s[6:7], s[6:7]
	v_mov_b32_e32 v11, s10
	s_xor_b64 exec, exec, s[6:7]
	s_cbranch_execnz .LBB43_2920
.LBB43_870:
	s_or_b64 exec, exec, s[6:7]
	s_and_saveexec_b64 s[6:7], s[4:5]
	s_cbranch_execz .LBB43_872
.LBB43_871:
	v_and_b32_e32 v11, 7, v13
	v_ffbh_u32_e32 v14, v11
	v_min_u32_e32 v14, 32, v14
	v_lshrrev_b16_e32 v12, 3, v13
	v_subrev_u32_e32 v15, 28, v14
	v_and_b32_e32 v12, 15, v12
	v_lshlrev_b32_e32 v15, v15, v13
	v_sub_u32_e32 v14, 29, v14
	v_and_b32_e32 v15, 7, v15
	v_cmp_eq_u16_e32 vcc, 0, v12
	v_cndmask_b32_e32 v11, v11, v15, vcc
	v_cndmask_b32_e32 v12, v12, v14, vcc
	v_lshlrev_b32_e32 v14, 24, v13
	v_mov_b32_e32 v15, 0x3b800000
	v_lshlrev_b32_e32 v11, 20, v11
	v_and_b32_e32 v14, 0x80000000, v14
	v_lshl_add_u32 v12, v12, 23, v15
	v_or3_b32 v11, v14, v12, v11
.LBB43_872:
	s_or_b64 exec, exec, s[6:7]
	s_nop 0
	v_mfma_f32_16x16x4f32 a[0:3], v10, v11, a[0:3]
	v_lshrrev_b32_e32 v11, 8, v17
	s_movk_i32 s4, 0x7f
	v_cmp_gt_i16_sdwa s[6:7], v11, s4 src0_sel:BYTE_0 src1_sel:DWORD
	s_mov_b64 s[4:5], 0
                                        ; implicit-def: $sgpr10
	s_and_saveexec_b64 s[8:9], s[6:7]
	s_xor_b64 s[6:7], exec, s[8:9]
	s_cbranch_execnz .LBB43_2921
; %bb.873:
	s_or_saveexec_b64 s[6:7], s[6:7]
	v_mov_b32_e32 v10, s10
	s_xor_b64 exec, exec, s[6:7]
	s_cbranch_execnz .LBB43_2924
.LBB43_874:
	s_or_b64 exec, exec, s[6:7]
	s_and_saveexec_b64 s[6:7], s[4:5]
	s_cbranch_execz .LBB43_876
.LBB43_875:
	v_bfe_u32 v10, v17, 8, 3
	v_ffbh_u32_e32 v14, v10
	v_min_u32_e32 v14, 32, v14
	v_lshrrev_b16_e32 v12, 3, v11
	v_subrev_u32_e32 v15, 28, v14
	v_and_b32_e32 v12, 15, v12
	v_lshlrev_b32_e32 v11, v15, v11
	v_sub_u32_e32 v14, 29, v14
	v_and_b32_e32 v11, 7, v11
	v_cmp_eq_u16_e32 vcc, 0, v12
	v_cndmask_b32_e32 v10, v10, v11, vcc
	v_cndmask_b32_e32 v11, v12, v14, vcc
	v_lshlrev_b32_e32 v12, 16, v17
	v_mov_b32_e32 v14, 0x3b800000
	v_lshlrev_b32_e32 v10, 20, v10
	v_and_b32_e32 v12, 0x80000000, v12
	v_lshl_add_u32 v11, v11, 23, v14
	v_or3_b32 v10, v12, v11, v10
.LBB43_876:
	s_or_b64 exec, exec, s[6:7]
	v_lshrrev_b32_e32 v11, 8, v13
	s_movk_i32 s4, 0x7f
	v_cmp_gt_i16_sdwa s[6:7], v11, s4 src0_sel:BYTE_0 src1_sel:DWORD
	s_mov_b64 s[4:5], 0
                                        ; implicit-def: $sgpr10
	s_and_saveexec_b64 s[8:9], s[6:7]
	s_xor_b64 s[6:7], exec, s[8:9]
	s_cbranch_execnz .LBB43_2925
; %bb.877:
	s_or_saveexec_b64 s[6:7], s[6:7]
	v_mov_b32_e32 v12, s10
	s_xor_b64 exec, exec, s[6:7]
	s_cbranch_execnz .LBB43_2928
.LBB43_878:
	s_or_b64 exec, exec, s[6:7]
	s_and_saveexec_b64 s[6:7], s[4:5]
	s_cbranch_execz .LBB43_880
.LBB43_879:
	v_bfe_u32 v12, v13, 8, 3
	v_ffbh_u32_e32 v15, v12
	v_min_u32_e32 v15, 32, v15
	v_lshrrev_b16_e32 v14, 3, v11
	v_subrev_u32_e32 v16, 28, v15
	v_and_b32_e32 v14, 15, v14
	v_lshlrev_b32_e32 v11, v16, v11
	v_sub_u32_e32 v15, 29, v15
	v_and_b32_e32 v11, 7, v11
	v_cmp_eq_u16_e32 vcc, 0, v14
	v_cndmask_b32_e32 v11, v12, v11, vcc
	v_cndmask_b32_e32 v12, v14, v15, vcc
	v_lshlrev_b32_e32 v14, 16, v13
	v_mov_b32_e32 v15, 0x3b800000
	v_lshlrev_b32_e32 v11, 20, v11
	v_and_b32_e32 v14, 0x80000000, v14
	v_lshl_add_u32 v12, v12, 23, v15
	v_or3_b32 v12, v14, v12, v11
.LBB43_880:
	s_or_b64 exec, exec, s[6:7]
	s_nop 0
	v_mfma_f32_16x16x4f32 a[0:3], v10, v12, a[0:3]
	s_movk_i32 s4, 0xff
	v_and_b32_sdwa v11, v17, s4 dst_sel:DWORD dst_unused:UNUSED_PAD src0_sel:WORD_1 src1_sel:DWORD
	s_movk_i32 s4, 0x7f
	v_cmp_lt_i16_e32 vcc, s4, v11
	s_mov_b64 s[4:5], 0
                                        ; implicit-def: $sgpr10
	s_and_saveexec_b64 s[6:7], vcc
	s_xor_b64 s[6:7], exec, s[6:7]
	s_cbranch_execnz .LBB43_2929
; %bb.881:
	s_or_saveexec_b64 s[6:7], s[6:7]
	v_mov_b32_e32 v10, s10
	s_xor_b64 exec, exec, s[6:7]
	s_cbranch_execnz .LBB43_2932
.LBB43_882:
	s_or_b64 exec, exec, s[6:7]
	s_and_saveexec_b64 s[6:7], s[4:5]
	s_cbranch_execz .LBB43_884
.LBB43_883:
	v_bfe_u32 v10, v17, 16, 3
	v_ffbh_u32_e32 v14, v10
	v_min_u32_e32 v14, 32, v14
	v_lshrrev_b32_e32 v11, 19, v17
	v_subrev_u32_e32 v15, 28, v14
	v_and_b32_e32 v11, 15, v11
	v_lshlrev_b32_sdwa v15, v15, v17 dst_sel:DWORD dst_unused:UNUSED_PAD src0_sel:DWORD src1_sel:WORD_1
	v_bfe_u32 v12, v17, 19, 4
	v_sub_u32_e32 v14, 29, v14
	v_and_b32_e32 v15, 7, v15
	v_cmp_eq_u16_e32 vcc, 0, v11
	v_cndmask_b32_e32 v10, v10, v15, vcc
	v_cndmask_b32_e32 v11, v12, v14, vcc
	v_lshlrev_b32_e32 v12, 8, v17
	v_mov_b32_e32 v14, 0x3b800000
	v_lshlrev_b32_e32 v10, 20, v10
	v_and_b32_e32 v12, 0x80000000, v12
	v_lshl_add_u32 v11, v11, 23, v14
	v_or3_b32 v10, v12, v11, v10
.LBB43_884:
	s_or_b64 exec, exec, s[6:7]
	s_movk_i32 s4, 0xff
	v_and_b32_sdwa v11, v13, s4 dst_sel:DWORD dst_unused:UNUSED_PAD src0_sel:WORD_1 src1_sel:DWORD
	s_movk_i32 s4, 0x7f
	v_cmp_lt_i16_e32 vcc, s4, v11
	s_mov_b64 s[4:5], 0
                                        ; implicit-def: $sgpr10
	s_and_saveexec_b64 s[6:7], vcc
	s_xor_b64 s[6:7], exec, s[6:7]
	s_cbranch_execnz .LBB43_2933
; %bb.885:
	s_or_saveexec_b64 s[6:7], s[6:7]
	v_mov_b32_e32 v12, s10
	s_xor_b64 exec, exec, s[6:7]
	s_cbranch_execnz .LBB43_2936
.LBB43_886:
	s_or_b64 exec, exec, s[6:7]
	s_and_saveexec_b64 s[6:7], s[4:5]
	s_cbranch_execz .LBB43_888
.LBB43_887:
	v_bfe_u32 v11, v13, 16, 3
	v_ffbh_u32_e32 v15, v11
	v_min_u32_e32 v15, 32, v15
	v_lshrrev_b32_e32 v12, 19, v13
	v_subrev_u32_e32 v16, 28, v15
	v_and_b32_e32 v12, 15, v12
	v_lshlrev_b32_sdwa v16, v16, v13 dst_sel:DWORD dst_unused:UNUSED_PAD src0_sel:DWORD src1_sel:WORD_1
	v_bfe_u32 v14, v13, 19, 4
	v_sub_u32_e32 v15, 29, v15
	v_and_b32_e32 v16, 7, v16
	v_cmp_eq_u16_e32 vcc, 0, v12
	v_cndmask_b32_e32 v11, v11, v16, vcc
	v_cndmask_b32_e32 v12, v14, v15, vcc
	v_lshlrev_b32_e32 v14, 8, v13
	v_mov_b32_e32 v15, 0x3b800000
	v_lshlrev_b32_e32 v11, 20, v11
	v_and_b32_e32 v14, 0x80000000, v14
	v_lshl_add_u32 v12, v12, 23, v15
	v_or3_b32 v12, v14, v12, v11
.LBB43_888:
	s_or_b64 exec, exec, s[6:7]
	s_nop 0
	v_mfma_f32_16x16x4f32 a[0:3], v10, v12, a[0:3]
	s_movk_i32 s4, 0x7f
	v_cmp_gt_i16_sdwa s[6:7], v17, s4 src0_sel:BYTE_3 src1_sel:DWORD
	s_mov_b64 s[4:5], 0
                                        ; implicit-def: $sgpr10
	s_and_saveexec_b64 s[8:9], s[6:7]
	s_xor_b64 s[6:7], exec, s[8:9]
	s_cbranch_execnz .LBB43_2937
; %bb.889:
	s_or_saveexec_b64 s[6:7], s[6:7]
	v_mov_b32_e32 v10, s10
	s_xor_b64 exec, exec, s[6:7]
	s_cbranch_execnz .LBB43_2940
.LBB43_890:
	s_or_b64 exec, exec, s[6:7]
	s_and_saveexec_b64 s[6:7], s[4:5]
	s_cbranch_execz .LBB43_892
.LBB43_891:
	v_bfe_u32 v10, v17, 24, 3
	v_ffbh_u32_e32 v15, v10
	v_min_u32_e32 v15, 32, v15
	v_lshrrev_b32_e32 v12, 27, v17
	v_subrev_u32_e32 v16, 28, v15
	v_and_b32_e32 v12, 15, v12
	v_lshlrev_b32_sdwa v16, v16, v17 dst_sel:DWORD dst_unused:UNUSED_PAD src0_sel:DWORD src1_sel:BYTE_3
	v_bfe_u32 v14, v17, 27, 4
	v_sub_u32_e32 v15, 29, v15
	v_and_b32_e32 v16, 7, v16
	v_cmp_eq_u16_e32 vcc, 0, v12
	v_cndmask_b32_e32 v10, v10, v16, vcc
	v_cndmask_b32_e32 v12, v14, v15, vcc
	v_mov_b32_e32 v14, 0x3b800000
	v_and_b32_e32 v11, 0x80000000, v17
	v_lshlrev_b32_e32 v10, 20, v10
	v_lshl_add_u32 v12, v12, 23, v14
	v_or3_b32 v10, v11, v12, v10
.LBB43_892:
	s_or_b64 exec, exec, s[6:7]
	s_movk_i32 s4, 0x7f
	v_cmp_gt_i16_sdwa s[6:7], v13, s4 src0_sel:BYTE_3 src1_sel:DWORD
	s_mov_b64 s[4:5], 0
                                        ; implicit-def: $sgpr10
	s_and_saveexec_b64 s[8:9], s[6:7]
	s_xor_b64 s[6:7], exec, s[8:9]
	s_cbranch_execnz .LBB43_2941
; %bb.893:
	s_or_saveexec_b64 s[6:7], s[6:7]
	v_mov_b32_e32 v11, s10
	s_xor_b64 exec, exec, s[6:7]
	s_cbranch_execnz .LBB43_2944
.LBB43_894:
	s_or_b64 exec, exec, s[6:7]
	s_and_saveexec_b64 s[6:7], s[4:5]
	s_cbranch_execz .LBB43_896
.LBB43_895:
	v_bfe_u32 v11, v13, 24, 3
	v_ffbh_u32_e32 v16, v11
	v_min_u32_e32 v16, 32, v16
	v_lshrrev_b32_e32 v14, 27, v13
	v_subrev_u32_e32 v17, 28, v16
	v_and_b32_e32 v12, 0x80000000, v13
	v_and_b32_e32 v14, 15, v14
	v_bfe_u32 v15, v13, 27, 4
	v_lshlrev_b32_sdwa v13, v17, v13 dst_sel:DWORD dst_unused:UNUSED_PAD src0_sel:DWORD src1_sel:BYTE_3
	v_sub_u32_e32 v16, 29, v16
	v_and_b32_e32 v13, 7, v13
	v_cmp_eq_u16_e32 vcc, 0, v14
	v_cndmask_b32_e32 v11, v11, v13, vcc
	v_cndmask_b32_e32 v13, v15, v16, vcc
	v_mov_b32_e32 v14, 0x3b800000
	v_lshlrev_b32_e32 v11, 20, v11
	v_lshl_add_u32 v13, v13, 23, v14
	v_or3_b32 v11, v12, v13, v11
.LBB43_896:
	s_or_b64 exec, exec, s[6:7]
	s_nop 0
	v_mfma_f32_16x16x4f32 a[0:3], v10, v11, a[0:3]
	s_movk_i32 s4, 0x7f
	v_cmp_gt_i16_sdwa s[6:7], v6, s4 src0_sel:BYTE_0 src1_sel:DWORD
	s_mov_b64 s[4:5], 0
                                        ; implicit-def: $sgpr10
	s_and_saveexec_b64 s[8:9], s[6:7]
	s_xor_b64 s[6:7], exec, s[8:9]
	s_cbranch_execnz .LBB43_2945
; %bb.897:
	s_or_saveexec_b64 s[6:7], s[6:7]
	v_mov_b32_e32 v10, s10
	s_xor_b64 exec, exec, s[6:7]
	s_cbranch_execnz .LBB43_2948
.LBB43_898:
	s_or_b64 exec, exec, s[6:7]
	s_and_saveexec_b64 s[6:7], s[4:5]
	s_cbranch_execz .LBB43_900
.LBB43_899:
	v_and_b32_e32 v10, 7, v6
	v_ffbh_u32_e32 v12, v10
	v_min_u32_e32 v12, 32, v12
	v_lshrrev_b16_e32 v11, 3, v6
	v_subrev_u32_e32 v13, 28, v12
	v_and_b32_e32 v11, 15, v11
	v_lshlrev_b32_e32 v13, v13, v6
	v_sub_u32_e32 v12, 29, v12
	v_and_b32_e32 v13, 7, v13
	v_cmp_eq_u16_e32 vcc, 0, v11
	v_cndmask_b32_e32 v10, v10, v13, vcc
	v_cndmask_b32_e32 v11, v11, v12, vcc
	v_lshlrev_b32_e32 v12, 24, v6
	v_mov_b32_e32 v13, 0x3b800000
	v_lshlrev_b32_e32 v10, 20, v10
	v_and_b32_e32 v12, 0x80000000, v12
	v_lshl_add_u32 v11, v11, 23, v13
	v_or3_b32 v10, v12, v11, v10
.LBB43_900:
	s_or_b64 exec, exec, s[6:7]
	s_movk_i32 s4, 0x7f
	v_cmp_gt_i16_sdwa s[6:7], v2, s4 src0_sel:BYTE_0 src1_sel:DWORD
	s_mov_b64 s[4:5], 0
                                        ; implicit-def: $sgpr10
	s_and_saveexec_b64 s[8:9], s[6:7]
	s_xor_b64 s[6:7], exec, s[8:9]
	s_cbranch_execnz .LBB43_2949
; %bb.901:
	s_or_saveexec_b64 s[6:7], s[6:7]
	v_mov_b32_e32 v11, s10
	s_xor_b64 exec, exec, s[6:7]
	s_cbranch_execnz .LBB43_2952
.LBB43_902:
	s_or_b64 exec, exec, s[6:7]
	s_and_saveexec_b64 s[6:7], s[4:5]
	s_cbranch_execz .LBB43_904
.LBB43_903:
	v_and_b32_e32 v11, 7, v2
	v_ffbh_u32_e32 v13, v11
	v_min_u32_e32 v13, 32, v13
	v_lshrrev_b16_e32 v12, 3, v2
	v_subrev_u32_e32 v14, 28, v13
	v_and_b32_e32 v12, 15, v12
	v_lshlrev_b32_e32 v14, v14, v2
	v_sub_u32_e32 v13, 29, v13
	v_and_b32_e32 v14, 7, v14
	v_cmp_eq_u16_e32 vcc, 0, v12
	v_cndmask_b32_e32 v11, v11, v14, vcc
	v_cndmask_b32_e32 v12, v12, v13, vcc
	v_lshlrev_b32_e32 v13, 24, v2
	v_mov_b32_e32 v14, 0x3b800000
	v_lshlrev_b32_e32 v11, 20, v11
	v_and_b32_e32 v13, 0x80000000, v13
	v_lshl_add_u32 v12, v12, 23, v14
	v_or3_b32 v11, v13, v12, v11
.LBB43_904:
	s_or_b64 exec, exec, s[6:7]
	s_nop 0
	v_mfma_f32_16x16x4f32 a[0:3], v10, v11, a[0:3]
	v_lshrrev_b32_e32 v11, 8, v6
	s_movk_i32 s4, 0x7f
	v_cmp_gt_i16_sdwa s[6:7], v11, s4 src0_sel:BYTE_0 src1_sel:DWORD
	s_mov_b64 s[4:5], 0
                                        ; implicit-def: $sgpr10
	s_and_saveexec_b64 s[8:9], s[6:7]
	s_xor_b64 s[6:7], exec, s[8:9]
	s_cbranch_execnz .LBB43_2953
; %bb.905:
	s_or_saveexec_b64 s[6:7], s[6:7]
	v_mov_b32_e32 v10, s10
	s_xor_b64 exec, exec, s[6:7]
	s_cbranch_execnz .LBB43_2956
.LBB43_906:
	s_or_b64 exec, exec, s[6:7]
	s_and_saveexec_b64 s[6:7], s[4:5]
	s_cbranch_execz .LBB43_908
.LBB43_907:
	v_bfe_u32 v10, v6, 8, 3
	v_ffbh_u32_e32 v13, v10
	v_min_u32_e32 v13, 32, v13
	v_lshrrev_b16_e32 v12, 3, v11
	v_subrev_u32_e32 v14, 28, v13
	v_and_b32_e32 v12, 15, v12
	v_lshlrev_b32_e32 v11, v14, v11
	v_sub_u32_e32 v13, 29, v13
	v_and_b32_e32 v11, 7, v11
	v_cmp_eq_u16_e32 vcc, 0, v12
	v_cndmask_b32_e32 v10, v10, v11, vcc
	v_cndmask_b32_e32 v11, v12, v13, vcc
	v_lshlrev_b32_e32 v12, 16, v6
	v_mov_b32_e32 v13, 0x3b800000
	v_lshlrev_b32_e32 v10, 20, v10
	v_and_b32_e32 v12, 0x80000000, v12
	v_lshl_add_u32 v11, v11, 23, v13
	v_or3_b32 v10, v12, v11, v10
.LBB43_908:
	s_or_b64 exec, exec, s[6:7]
	v_lshrrev_b32_e32 v11, 8, v2
	s_movk_i32 s4, 0x7f
	v_cmp_gt_i16_sdwa s[6:7], v11, s4 src0_sel:BYTE_0 src1_sel:DWORD
	s_mov_b64 s[4:5], 0
                                        ; implicit-def: $sgpr10
	s_and_saveexec_b64 s[8:9], s[6:7]
	s_xor_b64 s[6:7], exec, s[8:9]
	s_cbranch_execnz .LBB43_2957
; %bb.909:
	s_or_saveexec_b64 s[6:7], s[6:7]
	v_mov_b32_e32 v12, s10
	s_xor_b64 exec, exec, s[6:7]
	s_cbranch_execnz .LBB43_2960
.LBB43_910:
	s_or_b64 exec, exec, s[6:7]
	s_and_saveexec_b64 s[6:7], s[4:5]
	s_cbranch_execz .LBB43_912
.LBB43_911:
	v_bfe_u32 v12, v2, 8, 3
	v_ffbh_u32_e32 v14, v12
	v_min_u32_e32 v14, 32, v14
	v_lshrrev_b16_e32 v13, 3, v11
	v_subrev_u32_e32 v15, 28, v14
	v_and_b32_e32 v13, 15, v13
	v_lshlrev_b32_e32 v11, v15, v11
	v_sub_u32_e32 v14, 29, v14
	v_and_b32_e32 v11, 7, v11
	v_cmp_eq_u16_e32 vcc, 0, v13
	v_cndmask_b32_e32 v11, v12, v11, vcc
	v_cndmask_b32_e32 v12, v13, v14, vcc
	v_lshlrev_b32_e32 v13, 16, v2
	v_mov_b32_e32 v14, 0x3b800000
	v_lshlrev_b32_e32 v11, 20, v11
	v_and_b32_e32 v13, 0x80000000, v13
	v_lshl_add_u32 v12, v12, 23, v14
	v_or3_b32 v12, v13, v12, v11
.LBB43_912:
	s_or_b64 exec, exec, s[6:7]
	s_nop 0
	v_mfma_f32_16x16x4f32 a[0:3], v10, v12, a[0:3]
	s_movk_i32 s4, 0xff
	v_and_b32_sdwa v11, v6, s4 dst_sel:DWORD dst_unused:UNUSED_PAD src0_sel:WORD_1 src1_sel:DWORD
	s_movk_i32 s4, 0x7f
	v_cmp_lt_i16_e32 vcc, s4, v11
	s_mov_b64 s[4:5], 0
                                        ; implicit-def: $sgpr10
	s_and_saveexec_b64 s[6:7], vcc
	s_xor_b64 s[6:7], exec, s[6:7]
	s_cbranch_execnz .LBB43_2961
; %bb.913:
	s_or_saveexec_b64 s[6:7], s[6:7]
	v_mov_b32_e32 v10, s10
	s_xor_b64 exec, exec, s[6:7]
	s_cbranch_execnz .LBB43_2964
.LBB43_914:
	s_or_b64 exec, exec, s[6:7]
	s_and_saveexec_b64 s[6:7], s[4:5]
	s_cbranch_execz .LBB43_916
.LBB43_915:
	v_bfe_u32 v10, v6, 16, 3
	v_ffbh_u32_e32 v13, v10
	v_min_u32_e32 v13, 32, v13
	v_lshrrev_b32_e32 v11, 19, v6
	v_subrev_u32_e32 v14, 28, v13
	v_and_b32_e32 v11, 15, v11
	v_lshlrev_b32_sdwa v14, v14, v6 dst_sel:DWORD dst_unused:UNUSED_PAD src0_sel:DWORD src1_sel:WORD_1
	v_bfe_u32 v12, v6, 19, 4
	v_sub_u32_e32 v13, 29, v13
	v_and_b32_e32 v14, 7, v14
	v_cmp_eq_u16_e32 vcc, 0, v11
	v_cndmask_b32_e32 v10, v10, v14, vcc
	v_cndmask_b32_e32 v11, v12, v13, vcc
	v_lshlrev_b32_e32 v12, 8, v6
	v_mov_b32_e32 v13, 0x3b800000
	v_lshlrev_b32_e32 v10, 20, v10
	v_and_b32_e32 v12, 0x80000000, v12
	v_lshl_add_u32 v11, v11, 23, v13
	v_or3_b32 v10, v12, v11, v10
.LBB43_916:
	s_or_b64 exec, exec, s[6:7]
	s_movk_i32 s4, 0xff
	v_and_b32_sdwa v11, v2, s4 dst_sel:DWORD dst_unused:UNUSED_PAD src0_sel:WORD_1 src1_sel:DWORD
	s_movk_i32 s4, 0x7f
	v_cmp_lt_i16_e32 vcc, s4, v11
	s_mov_b64 s[4:5], 0
                                        ; implicit-def: $sgpr10
	s_and_saveexec_b64 s[6:7], vcc
	s_xor_b64 s[6:7], exec, s[6:7]
	s_cbranch_execnz .LBB43_2965
; %bb.917:
	s_or_saveexec_b64 s[6:7], s[6:7]
	v_mov_b32_e32 v12, s10
	s_xor_b64 exec, exec, s[6:7]
	s_cbranch_execnz .LBB43_2968
.LBB43_918:
	s_or_b64 exec, exec, s[6:7]
	s_and_saveexec_b64 s[6:7], s[4:5]
	s_cbranch_execz .LBB43_920
.LBB43_919:
	v_bfe_u32 v11, v2, 16, 3
	v_ffbh_u32_e32 v14, v11
	v_min_u32_e32 v14, 32, v14
	v_lshrrev_b32_e32 v12, 19, v2
	v_subrev_u32_e32 v15, 28, v14
	v_and_b32_e32 v12, 15, v12
	v_lshlrev_b32_sdwa v15, v15, v2 dst_sel:DWORD dst_unused:UNUSED_PAD src0_sel:DWORD src1_sel:WORD_1
	v_bfe_u32 v13, v2, 19, 4
	v_sub_u32_e32 v14, 29, v14
	v_and_b32_e32 v15, 7, v15
	v_cmp_eq_u16_e32 vcc, 0, v12
	v_cndmask_b32_e32 v11, v11, v15, vcc
	v_cndmask_b32_e32 v12, v13, v14, vcc
	v_lshlrev_b32_e32 v13, 8, v2
	v_mov_b32_e32 v14, 0x3b800000
	v_lshlrev_b32_e32 v11, 20, v11
	v_and_b32_e32 v13, 0x80000000, v13
	v_lshl_add_u32 v12, v12, 23, v14
	v_or3_b32 v12, v13, v12, v11
.LBB43_920:
	s_or_b64 exec, exec, s[6:7]
	s_nop 0
	v_mfma_f32_16x16x4f32 a[0:3], v10, v12, a[0:3]
	s_movk_i32 s4, 0x7f
	v_cmp_gt_i16_sdwa s[6:7], v6, s4 src0_sel:BYTE_3 src1_sel:DWORD
	s_mov_b64 s[4:5], 0
                                        ; implicit-def: $sgpr10
	s_and_saveexec_b64 s[8:9], s[6:7]
	s_xor_b64 s[6:7], exec, s[8:9]
	s_cbranch_execnz .LBB43_2969
; %bb.921:
	s_or_saveexec_b64 s[6:7], s[6:7]
	v_mov_b32_e32 v10, s10
	s_xor_b64 exec, exec, s[6:7]
	s_cbranch_execnz .LBB43_2972
.LBB43_922:
	s_or_b64 exec, exec, s[6:7]
	s_and_saveexec_b64 s[6:7], s[4:5]
	s_cbranch_execz .LBB43_924
.LBB43_923:
	v_bfe_u32 v10, v6, 24, 3
	v_ffbh_u32_e32 v14, v10
	v_min_u32_e32 v14, 32, v14
	v_lshrrev_b32_e32 v12, 27, v6
	v_subrev_u32_e32 v15, 28, v14
	v_and_b32_e32 v11, 0x80000000, v6
	v_and_b32_e32 v12, 15, v12
	v_bfe_u32 v13, v6, 27, 4
	v_lshlrev_b32_sdwa v6, v15, v6 dst_sel:DWORD dst_unused:UNUSED_PAD src0_sel:DWORD src1_sel:BYTE_3
	v_sub_u32_e32 v14, 29, v14
	v_and_b32_e32 v6, 7, v6
	v_cmp_eq_u16_e32 vcc, 0, v12
	v_cndmask_b32_e32 v6, v10, v6, vcc
	v_cndmask_b32_e32 v10, v13, v14, vcc
	v_mov_b32_e32 v12, 0x3b800000
	v_lshlrev_b32_e32 v6, 20, v6
	v_lshl_add_u32 v10, v10, 23, v12
	v_or3_b32 v10, v11, v10, v6
.LBB43_924:
	s_or_b64 exec, exec, s[6:7]
	s_movk_i32 s4, 0x7f
	v_cmp_gt_i16_sdwa s[6:7], v2, s4 src0_sel:BYTE_3 src1_sel:DWORD
	s_mov_b64 s[4:5], 0
                                        ; implicit-def: $sgpr10
	s_and_saveexec_b64 s[8:9], s[6:7]
	s_xor_b64 s[6:7], exec, s[8:9]
	s_cbranch_execnz .LBB43_2973
; %bb.925:
	s_or_saveexec_b64 s[6:7], s[6:7]
	v_mov_b32_e32 v6, s10
	s_xor_b64 exec, exec, s[6:7]
	s_cbranch_execnz .LBB43_2976
.LBB43_926:
	s_or_b64 exec, exec, s[6:7]
	s_and_saveexec_b64 s[6:7], s[4:5]
	s_cbranch_execz .LBB43_928
.LBB43_927:
	v_bfe_u32 v6, v2, 24, 3
	v_ffbh_u32_e32 v14, v6
	v_min_u32_e32 v14, 32, v14
	v_lshrrev_b32_e32 v12, 27, v2
	v_subrev_u32_e32 v15, 28, v14
	v_and_b32_e32 v11, 0x80000000, v2
	v_and_b32_e32 v12, 15, v12
	v_bfe_u32 v13, v2, 27, 4
	v_lshlrev_b32_sdwa v2, v15, v2 dst_sel:DWORD dst_unused:UNUSED_PAD src0_sel:DWORD src1_sel:BYTE_3
	v_sub_u32_e32 v14, 29, v14
	v_and_b32_e32 v2, 7, v2
	v_cmp_eq_u16_e32 vcc, 0, v12
	v_cndmask_b32_e32 v2, v6, v2, vcc
	v_cndmask_b32_e32 v6, v13, v14, vcc
	v_mov_b32_e32 v12, 0x3b800000
	v_lshlrev_b32_e32 v2, 20, v2
	v_lshl_add_u32 v6, v6, 23, v12
	v_or3_b32 v6, v11, v6, v2
.LBB43_928:
	s_or_b64 exec, exec, s[6:7]
	s_nop 0
	v_mfma_f32_16x16x4f32 a[0:3], v10, v6, a[0:3]
	s_movk_i32 s4, 0x7f
	v_cmp_gt_i16_sdwa s[6:7], v7, s4 src0_sel:BYTE_0 src1_sel:DWORD
	s_mov_b64 s[4:5], 0
                                        ; implicit-def: $sgpr10
	s_and_saveexec_b64 s[8:9], s[6:7]
	s_xor_b64 s[6:7], exec, s[8:9]
	s_cbranch_execnz .LBB43_2977
; %bb.929:
	s_or_saveexec_b64 s[6:7], s[6:7]
	v_mov_b32_e32 v2, s10
	s_xor_b64 exec, exec, s[6:7]
	s_cbranch_execnz .LBB43_2980
.LBB43_930:
	s_or_b64 exec, exec, s[6:7]
	s_and_saveexec_b64 s[6:7], s[4:5]
	s_cbranch_execz .LBB43_932
.LBB43_931:
	v_and_b32_e32 v2, 7, v7
	v_ffbh_u32_e32 v10, v2
	v_min_u32_e32 v10, 32, v10
	v_lshrrev_b16_e32 v6, 3, v7
	v_subrev_u32_e32 v11, 28, v10
	v_and_b32_e32 v6, 15, v6
	v_lshlrev_b32_e32 v11, v11, v7
	v_sub_u32_e32 v10, 29, v10
	v_and_b32_e32 v11, 7, v11
	v_cmp_eq_u16_e32 vcc, 0, v6
	v_cndmask_b32_e32 v2, v2, v11, vcc
	v_cndmask_b32_e32 v6, v6, v10, vcc
	v_lshlrev_b32_e32 v10, 24, v7
	v_mov_b32_e32 v11, 0x3b800000
	v_lshlrev_b32_e32 v2, 20, v2
	v_and_b32_e32 v10, 0x80000000, v10
	v_lshl_add_u32 v6, v6, 23, v11
	v_or3_b32 v2, v10, v6, v2
.LBB43_932:
	s_or_b64 exec, exec, s[6:7]
	s_movk_i32 s4, 0x7f
	v_cmp_gt_i16_sdwa s[6:7], v3, s4 src0_sel:BYTE_0 src1_sel:DWORD
	s_mov_b64 s[4:5], 0
                                        ; implicit-def: $sgpr10
	s_and_saveexec_b64 s[8:9], s[6:7]
	s_xor_b64 s[6:7], exec, s[8:9]
	s_cbranch_execnz .LBB43_2981
; %bb.933:
	s_or_saveexec_b64 s[6:7], s[6:7]
	v_mov_b32_e32 v6, s10
	s_xor_b64 exec, exec, s[6:7]
	s_cbranch_execnz .LBB43_2984
.LBB43_934:
	s_or_b64 exec, exec, s[6:7]
	s_and_saveexec_b64 s[6:7], s[4:5]
	s_cbranch_execz .LBB43_936
.LBB43_935:
	v_and_b32_e32 v6, 7, v3
	v_ffbh_u32_e32 v11, v6
	v_min_u32_e32 v11, 32, v11
	v_lshrrev_b16_e32 v10, 3, v3
	v_subrev_u32_e32 v12, 28, v11
	v_and_b32_e32 v10, 15, v10
	v_lshlrev_b32_e32 v12, v12, v3
	v_sub_u32_e32 v11, 29, v11
	v_and_b32_e32 v12, 7, v12
	v_cmp_eq_u16_e32 vcc, 0, v10
	v_cndmask_b32_e32 v6, v6, v12, vcc
	v_cndmask_b32_e32 v10, v10, v11, vcc
	v_lshlrev_b32_e32 v11, 24, v3
	v_mov_b32_e32 v12, 0x3b800000
	v_lshlrev_b32_e32 v6, 20, v6
	v_and_b32_e32 v11, 0x80000000, v11
	v_lshl_add_u32 v10, v10, 23, v12
	v_or3_b32 v6, v11, v10, v6
.LBB43_936:
	s_or_b64 exec, exec, s[6:7]
	s_nop 0
	v_mfma_f32_16x16x4f32 a[0:3], v2, v6, a[0:3]
	v_lshrrev_b32_e32 v6, 8, v7
	s_movk_i32 s4, 0x7f
	v_cmp_gt_i16_sdwa s[6:7], v6, s4 src0_sel:BYTE_0 src1_sel:DWORD
	s_mov_b64 s[4:5], 0
                                        ; implicit-def: $sgpr10
	s_and_saveexec_b64 s[8:9], s[6:7]
	s_xor_b64 s[6:7], exec, s[8:9]
	s_cbranch_execnz .LBB43_2985
; %bb.937:
	s_or_saveexec_b64 s[6:7], s[6:7]
	v_mov_b32_e32 v2, s10
	s_xor_b64 exec, exec, s[6:7]
	s_cbranch_execnz .LBB43_2988
.LBB43_938:
	s_or_b64 exec, exec, s[6:7]
	s_and_saveexec_b64 s[6:7], s[4:5]
	s_cbranch_execz .LBB43_940
.LBB43_939:
	v_bfe_u32 v2, v7, 8, 3
	v_ffbh_u32_e32 v11, v2
	v_min_u32_e32 v11, 32, v11
	v_lshrrev_b16_e32 v10, 3, v6
	v_subrev_u32_e32 v12, 28, v11
	v_and_b32_e32 v10, 15, v10
	v_lshlrev_b32_e32 v6, v12, v6
	v_sub_u32_e32 v11, 29, v11
	v_and_b32_e32 v6, 7, v6
	v_cmp_eq_u16_e32 vcc, 0, v10
	v_cndmask_b32_e32 v2, v2, v6, vcc
	v_cndmask_b32_e32 v6, v10, v11, vcc
	v_lshlrev_b32_e32 v10, 16, v7
	v_mov_b32_e32 v11, 0x3b800000
	v_lshlrev_b32_e32 v2, 20, v2
	v_and_b32_e32 v10, 0x80000000, v10
	v_lshl_add_u32 v6, v6, 23, v11
	v_or3_b32 v2, v10, v6, v2
.LBB43_940:
	s_or_b64 exec, exec, s[6:7]
	v_lshrrev_b32_e32 v6, 8, v3
	s_movk_i32 s4, 0x7f
	v_cmp_gt_i16_sdwa s[6:7], v6, s4 src0_sel:BYTE_0 src1_sel:DWORD
	s_mov_b64 s[4:5], 0
                                        ; implicit-def: $sgpr10
	s_and_saveexec_b64 s[8:9], s[6:7]
	s_xor_b64 s[6:7], exec, s[8:9]
	s_cbranch_execnz .LBB43_2989
; %bb.941:
	s_or_saveexec_b64 s[6:7], s[6:7]
	v_mov_b32_e32 v10, s10
	s_xor_b64 exec, exec, s[6:7]
	s_cbranch_execnz .LBB43_2992
.LBB43_942:
	s_or_b64 exec, exec, s[6:7]
	s_and_saveexec_b64 s[6:7], s[4:5]
	s_cbranch_execz .LBB43_944
.LBB43_943:
	v_bfe_u32 v10, v3, 8, 3
	v_ffbh_u32_e32 v12, v10
	v_min_u32_e32 v12, 32, v12
	v_lshrrev_b16_e32 v11, 3, v6
	v_subrev_u32_e32 v13, 28, v12
	v_and_b32_e32 v11, 15, v11
	v_lshlrev_b32_e32 v6, v13, v6
	v_sub_u32_e32 v12, 29, v12
	v_and_b32_e32 v6, 7, v6
	v_cmp_eq_u16_e32 vcc, 0, v11
	v_cndmask_b32_e32 v6, v10, v6, vcc
	v_cndmask_b32_e32 v10, v11, v12, vcc
	v_lshlrev_b32_e32 v11, 16, v3
	v_mov_b32_e32 v12, 0x3b800000
	v_lshlrev_b32_e32 v6, 20, v6
	v_and_b32_e32 v11, 0x80000000, v11
	v_lshl_add_u32 v10, v10, 23, v12
	v_or3_b32 v10, v11, v10, v6
.LBB43_944:
	s_or_b64 exec, exec, s[6:7]
	s_nop 0
	v_mfma_f32_16x16x4f32 a[0:3], v2, v10, a[0:3]
	s_movk_i32 s4, 0xff
	v_and_b32_sdwa v6, v7, s4 dst_sel:DWORD dst_unused:UNUSED_PAD src0_sel:WORD_1 src1_sel:DWORD
	s_movk_i32 s4, 0x7f
	v_cmp_lt_i16_e32 vcc, s4, v6
	s_mov_b64 s[4:5], 0
                                        ; implicit-def: $sgpr10
	s_and_saveexec_b64 s[6:7], vcc
	s_xor_b64 s[6:7], exec, s[6:7]
	s_cbranch_execnz .LBB43_2993
; %bb.945:
	s_or_saveexec_b64 s[6:7], s[6:7]
	v_mov_b32_e32 v2, s10
	s_xor_b64 exec, exec, s[6:7]
	s_cbranch_execnz .LBB43_2996
.LBB43_946:
	s_or_b64 exec, exec, s[6:7]
	s_and_saveexec_b64 s[6:7], s[4:5]
	s_cbranch_execz .LBB43_948
.LBB43_947:
	v_bfe_u32 v2, v7, 16, 3
	v_ffbh_u32_e32 v11, v2
	v_min_u32_e32 v11, 32, v11
	v_lshrrev_b32_e32 v6, 19, v7
	v_subrev_u32_e32 v12, 28, v11
	v_and_b32_e32 v6, 15, v6
	v_lshlrev_b32_sdwa v12, v12, v7 dst_sel:DWORD dst_unused:UNUSED_PAD src0_sel:DWORD src1_sel:WORD_1
	v_bfe_u32 v10, v7, 19, 4
	v_sub_u32_e32 v11, 29, v11
	v_and_b32_e32 v12, 7, v12
	v_cmp_eq_u16_e32 vcc, 0, v6
	v_cndmask_b32_e32 v2, v2, v12, vcc
	v_cndmask_b32_e32 v6, v10, v11, vcc
	v_lshlrev_b32_e32 v10, 8, v7
	v_mov_b32_e32 v11, 0x3b800000
	v_lshlrev_b32_e32 v2, 20, v2
	v_and_b32_e32 v10, 0x80000000, v10
	v_lshl_add_u32 v6, v6, 23, v11
	v_or3_b32 v2, v10, v6, v2
.LBB43_948:
	s_or_b64 exec, exec, s[6:7]
	s_movk_i32 s4, 0xff
	v_and_b32_sdwa v6, v3, s4 dst_sel:DWORD dst_unused:UNUSED_PAD src0_sel:WORD_1 src1_sel:DWORD
	s_movk_i32 s4, 0x7f
	v_cmp_lt_i16_e32 vcc, s4, v6
	s_mov_b64 s[4:5], 0
                                        ; implicit-def: $sgpr10
	s_and_saveexec_b64 s[6:7], vcc
	s_xor_b64 s[6:7], exec, s[6:7]
	s_cbranch_execnz .LBB43_2997
; %bb.949:
	s_or_saveexec_b64 s[6:7], s[6:7]
	v_mov_b32_e32 v10, s10
	s_xor_b64 exec, exec, s[6:7]
	s_cbranch_execnz .LBB43_3000
.LBB43_950:
	s_or_b64 exec, exec, s[6:7]
	s_and_saveexec_b64 s[6:7], s[4:5]
	s_cbranch_execz .LBB43_952
.LBB43_951:
	v_bfe_u32 v6, v3, 16, 3
	v_ffbh_u32_e32 v12, v6
	v_min_u32_e32 v12, 32, v12
	v_lshrrev_b32_e32 v10, 19, v3
	v_subrev_u32_e32 v13, 28, v12
	v_and_b32_e32 v10, 15, v10
	v_lshlrev_b32_sdwa v13, v13, v3 dst_sel:DWORD dst_unused:UNUSED_PAD src0_sel:DWORD src1_sel:WORD_1
	v_bfe_u32 v11, v3, 19, 4
	v_sub_u32_e32 v12, 29, v12
	v_and_b32_e32 v13, 7, v13
	v_cmp_eq_u16_e32 vcc, 0, v10
	v_cndmask_b32_e32 v6, v6, v13, vcc
	v_cndmask_b32_e32 v10, v11, v12, vcc
	v_lshlrev_b32_e32 v11, 8, v3
	v_mov_b32_e32 v12, 0x3b800000
	v_lshlrev_b32_e32 v6, 20, v6
	v_and_b32_e32 v11, 0x80000000, v11
	v_lshl_add_u32 v10, v10, 23, v12
	v_or3_b32 v10, v11, v10, v6
.LBB43_952:
	s_or_b64 exec, exec, s[6:7]
	s_nop 0
	v_mfma_f32_16x16x4f32 a[0:3], v2, v10, a[0:3]
	s_movk_i32 s4, 0x7f
	v_cmp_gt_i16_sdwa s[6:7], v7, s4 src0_sel:BYTE_3 src1_sel:DWORD
	s_mov_b64 s[4:5], 0
                                        ; implicit-def: $sgpr10
	s_and_saveexec_b64 s[8:9], s[6:7]
	s_xor_b64 s[6:7], exec, s[8:9]
	s_cbranch_execnz .LBB43_3001
; %bb.953:
	s_or_saveexec_b64 s[6:7], s[6:7]
	v_mov_b32_e32 v2, s10
	s_xor_b64 exec, exec, s[6:7]
	s_cbranch_execnz .LBB43_3004
.LBB43_954:
	s_or_b64 exec, exec, s[6:7]
	s_and_saveexec_b64 s[6:7], s[4:5]
	s_cbranch_execz .LBB43_956
.LBB43_955:
	v_bfe_u32 v2, v7, 24, 3
	v_ffbh_u32_e32 v12, v2
	v_min_u32_e32 v12, 32, v12
	v_lshrrev_b32_e32 v10, 27, v7
	v_subrev_u32_e32 v13, 28, v12
	v_and_b32_e32 v6, 0x80000000, v7
	v_and_b32_e32 v10, 15, v10
	v_bfe_u32 v11, v7, 27, 4
	v_lshlrev_b32_sdwa v7, v13, v7 dst_sel:DWORD dst_unused:UNUSED_PAD src0_sel:DWORD src1_sel:BYTE_3
	v_sub_u32_e32 v12, 29, v12
	v_and_b32_e32 v7, 7, v7
	v_cmp_eq_u16_e32 vcc, 0, v10
	v_cndmask_b32_e32 v2, v2, v7, vcc
	v_cndmask_b32_e32 v7, v11, v12, vcc
	v_mov_b32_e32 v10, 0x3b800000
	v_lshlrev_b32_e32 v2, 20, v2
	v_lshl_add_u32 v7, v7, 23, v10
	v_or3_b32 v2, v6, v7, v2
.LBB43_956:
	s_or_b64 exec, exec, s[6:7]
	s_movk_i32 s4, 0x7f
	v_cmp_gt_i16_sdwa s[6:7], v3, s4 src0_sel:BYTE_3 src1_sel:DWORD
	s_mov_b64 s[4:5], 0
                                        ; implicit-def: $sgpr10
	s_and_saveexec_b64 s[8:9], s[6:7]
	s_xor_b64 s[6:7], exec, s[8:9]
	s_cbranch_execnz .LBB43_3005
; %bb.957:
	s_or_saveexec_b64 s[6:7], s[6:7]
	v_mov_b32_e32 v6, s10
	s_xor_b64 exec, exec, s[6:7]
	s_cbranch_execnz .LBB43_3008
.LBB43_958:
	s_or_b64 exec, exec, s[6:7]
	s_and_saveexec_b64 s[6:7], s[4:5]
	s_cbranch_execz .LBB43_960
.LBB43_959:
	v_bfe_u32 v6, v3, 24, 3
	v_ffbh_u32_e32 v12, v6
	v_min_u32_e32 v12, 32, v12
	v_lshrrev_b32_e32 v10, 27, v3
	v_subrev_u32_e32 v13, 28, v12
	v_and_b32_e32 v7, 0x80000000, v3
	v_and_b32_e32 v10, 15, v10
	v_bfe_u32 v11, v3, 27, 4
	v_lshlrev_b32_sdwa v3, v13, v3 dst_sel:DWORD dst_unused:UNUSED_PAD src0_sel:DWORD src1_sel:BYTE_3
	v_sub_u32_e32 v12, 29, v12
	v_and_b32_e32 v3, 7, v3
	v_cmp_eq_u16_e32 vcc, 0, v10
	v_cndmask_b32_e32 v3, v6, v3, vcc
	v_cndmask_b32_e32 v6, v11, v12, vcc
	v_mov_b32_e32 v10, 0x3b800000
	v_lshlrev_b32_e32 v3, 20, v3
	v_lshl_add_u32 v6, v6, 23, v10
	v_or3_b32 v6, v7, v6, v3
.LBB43_960:
	s_or_b64 exec, exec, s[6:7]
	s_nop 0
	v_mfma_f32_16x16x4f32 a[0:3], v2, v6, a[0:3]
	s_movk_i32 s4, 0x7f
	v_cmp_gt_i16_sdwa s[6:7], v8, s4 src0_sel:BYTE_0 src1_sel:DWORD
	s_mov_b64 s[4:5], 0
                                        ; implicit-def: $sgpr10
	s_and_saveexec_b64 s[8:9], s[6:7]
	s_xor_b64 s[6:7], exec, s[8:9]
	s_cbranch_execnz .LBB43_3009
; %bb.961:
	s_or_saveexec_b64 s[6:7], s[6:7]
	v_mov_b32_e32 v2, s10
	s_xor_b64 exec, exec, s[6:7]
	s_cbranch_execnz .LBB43_3012
.LBB43_962:
	s_or_b64 exec, exec, s[6:7]
	s_and_saveexec_b64 s[6:7], s[4:5]
	s_cbranch_execz .LBB43_964
.LBB43_963:
	v_and_b32_e32 v2, 7, v8
	v_ffbh_u32_e32 v6, v2
	v_min_u32_e32 v6, 32, v6
	v_lshrrev_b16_e32 v3, 3, v8
	v_subrev_u32_e32 v7, 28, v6
	v_and_b32_e32 v3, 15, v3
	v_lshlrev_b32_e32 v7, v7, v8
	v_sub_u32_e32 v6, 29, v6
	v_and_b32_e32 v7, 7, v7
	v_cmp_eq_u16_e32 vcc, 0, v3
	v_cndmask_b32_e32 v2, v2, v7, vcc
	v_cndmask_b32_e32 v3, v3, v6, vcc
	v_lshlrev_b32_e32 v6, 24, v8
	v_mov_b32_e32 v7, 0x3b800000
	v_lshlrev_b32_e32 v2, 20, v2
	v_and_b32_e32 v6, 0x80000000, v6
	v_lshl_add_u32 v3, v3, 23, v7
	v_or3_b32 v2, v6, v3, v2
.LBB43_964:
	s_or_b64 exec, exec, s[6:7]
	s_movk_i32 s4, 0x7f
	v_cmp_gt_i16_sdwa s[6:7], v4, s4 src0_sel:BYTE_0 src1_sel:DWORD
	s_mov_b64 s[4:5], 0
                                        ; implicit-def: $sgpr10
	s_and_saveexec_b64 s[8:9], s[6:7]
	s_xor_b64 s[6:7], exec, s[8:9]
	s_cbranch_execnz .LBB43_3013
; %bb.965:
	s_or_saveexec_b64 s[6:7], s[6:7]
	v_mov_b32_e32 v3, s10
	s_xor_b64 exec, exec, s[6:7]
	s_cbranch_execnz .LBB43_3016
.LBB43_966:
	s_or_b64 exec, exec, s[6:7]
	s_and_saveexec_b64 s[6:7], s[4:5]
	s_cbranch_execz .LBB43_968
.LBB43_967:
	v_and_b32_e32 v3, 7, v4
	v_ffbh_u32_e32 v7, v3
	v_min_u32_e32 v7, 32, v7
	v_lshrrev_b16_e32 v6, 3, v4
	v_subrev_u32_e32 v10, 28, v7
	v_and_b32_e32 v6, 15, v6
	v_lshlrev_b32_e32 v10, v10, v4
	v_sub_u32_e32 v7, 29, v7
	v_and_b32_e32 v10, 7, v10
	v_cmp_eq_u16_e32 vcc, 0, v6
	v_cndmask_b32_e32 v3, v3, v10, vcc
	v_cndmask_b32_e32 v6, v6, v7, vcc
	v_lshlrev_b32_e32 v7, 24, v4
	v_mov_b32_e32 v10, 0x3b800000
	v_lshlrev_b32_e32 v3, 20, v3
	v_and_b32_e32 v7, 0x80000000, v7
	v_lshl_add_u32 v6, v6, 23, v10
	v_or3_b32 v3, v7, v6, v3
.LBB43_968:
	s_or_b64 exec, exec, s[6:7]
	s_nop 0
	v_mfma_f32_16x16x4f32 a[0:3], v2, v3, a[0:3]
	v_lshrrev_b32_e32 v3, 8, v8
	s_movk_i32 s4, 0x7f
	v_cmp_gt_i16_sdwa s[6:7], v3, s4 src0_sel:BYTE_0 src1_sel:DWORD
	s_mov_b64 s[4:5], 0
                                        ; implicit-def: $sgpr10
	s_and_saveexec_b64 s[8:9], s[6:7]
	s_xor_b64 s[6:7], exec, s[8:9]
	s_cbranch_execnz .LBB43_3017
; %bb.969:
	s_or_saveexec_b64 s[6:7], s[6:7]
	v_mov_b32_e32 v2, s10
	s_xor_b64 exec, exec, s[6:7]
	s_cbranch_execnz .LBB43_3020
.LBB43_970:
	s_or_b64 exec, exec, s[6:7]
	s_and_saveexec_b64 s[6:7], s[4:5]
	s_cbranch_execz .LBB43_972
.LBB43_971:
	v_bfe_u32 v2, v8, 8, 3
	v_ffbh_u32_e32 v7, v2
	v_min_u32_e32 v7, 32, v7
	v_lshrrev_b16_e32 v6, 3, v3
	v_subrev_u32_e32 v10, 28, v7
	v_and_b32_e32 v6, 15, v6
	v_lshlrev_b32_e32 v3, v10, v3
	v_sub_u32_e32 v7, 29, v7
	v_and_b32_e32 v3, 7, v3
	v_cmp_eq_u16_e32 vcc, 0, v6
	v_cndmask_b32_e32 v2, v2, v3, vcc
	v_cndmask_b32_e32 v3, v6, v7, vcc
	v_lshlrev_b32_e32 v6, 16, v8
	v_mov_b32_e32 v7, 0x3b800000
	v_lshlrev_b32_e32 v2, 20, v2
	v_and_b32_e32 v6, 0x80000000, v6
	v_lshl_add_u32 v3, v3, 23, v7
	v_or3_b32 v2, v6, v3, v2
.LBB43_972:
	s_or_b64 exec, exec, s[6:7]
	v_lshrrev_b32_e32 v3, 8, v4
	s_movk_i32 s4, 0x7f
	v_cmp_gt_i16_sdwa s[6:7], v3, s4 src0_sel:BYTE_0 src1_sel:DWORD
	s_mov_b64 s[4:5], 0
                                        ; implicit-def: $sgpr10
	s_and_saveexec_b64 s[8:9], s[6:7]
	s_xor_b64 s[6:7], exec, s[8:9]
	s_cbranch_execnz .LBB43_3021
; %bb.973:
	s_or_saveexec_b64 s[6:7], s[6:7]
	v_mov_b32_e32 v6, s10
	s_xor_b64 exec, exec, s[6:7]
	s_cbranch_execnz .LBB43_3024
.LBB43_974:
	s_or_b64 exec, exec, s[6:7]
	s_and_saveexec_b64 s[6:7], s[4:5]
	s_cbranch_execz .LBB43_976
.LBB43_975:
	v_bfe_u32 v6, v4, 8, 3
	v_ffbh_u32_e32 v10, v6
	v_min_u32_e32 v10, 32, v10
	v_lshrrev_b16_e32 v7, 3, v3
	v_subrev_u32_e32 v11, 28, v10
	v_and_b32_e32 v7, 15, v7
	v_lshlrev_b32_e32 v3, v11, v3
	v_sub_u32_e32 v10, 29, v10
	v_and_b32_e32 v3, 7, v3
	v_cmp_eq_u16_e32 vcc, 0, v7
	v_cndmask_b32_e32 v3, v6, v3, vcc
	v_cndmask_b32_e32 v6, v7, v10, vcc
	v_lshlrev_b32_e32 v7, 16, v4
	v_mov_b32_e32 v10, 0x3b800000
	v_lshlrev_b32_e32 v3, 20, v3
	v_and_b32_e32 v7, 0x80000000, v7
	v_lshl_add_u32 v6, v6, 23, v10
	v_or3_b32 v6, v7, v6, v3
.LBB43_976:
	s_or_b64 exec, exec, s[6:7]
	s_nop 0
	v_mfma_f32_16x16x4f32 a[0:3], v2, v6, a[0:3]
	s_movk_i32 s4, 0xff
	v_and_b32_sdwa v3, v8, s4 dst_sel:DWORD dst_unused:UNUSED_PAD src0_sel:WORD_1 src1_sel:DWORD
	s_movk_i32 s4, 0x7f
	v_cmp_lt_i16_e32 vcc, s4, v3
	s_mov_b64 s[4:5], 0
                                        ; implicit-def: $sgpr10
	s_and_saveexec_b64 s[6:7], vcc
	s_xor_b64 s[6:7], exec, s[6:7]
	s_cbranch_execnz .LBB43_3025
; %bb.977:
	s_or_saveexec_b64 s[6:7], s[6:7]
	v_mov_b32_e32 v2, s10
	s_xor_b64 exec, exec, s[6:7]
	s_cbranch_execnz .LBB43_3028
.LBB43_978:
	s_or_b64 exec, exec, s[6:7]
	s_and_saveexec_b64 s[6:7], s[4:5]
	s_cbranch_execz .LBB43_980
.LBB43_979:
	v_bfe_u32 v2, v8, 16, 3
	v_ffbh_u32_e32 v7, v2
	v_min_u32_e32 v7, 32, v7
	v_lshrrev_b32_e32 v3, 19, v8
	v_subrev_u32_e32 v10, 28, v7
	v_and_b32_e32 v3, 15, v3
	v_lshlrev_b32_sdwa v10, v10, v8 dst_sel:DWORD dst_unused:UNUSED_PAD src0_sel:DWORD src1_sel:WORD_1
	v_bfe_u32 v6, v8, 19, 4
	v_sub_u32_e32 v7, 29, v7
	v_and_b32_e32 v10, 7, v10
	v_cmp_eq_u16_e32 vcc, 0, v3
	v_cndmask_b32_e32 v2, v2, v10, vcc
	v_cndmask_b32_e32 v3, v6, v7, vcc
	v_lshlrev_b32_e32 v6, 8, v8
	v_mov_b32_e32 v7, 0x3b800000
	v_lshlrev_b32_e32 v2, 20, v2
	v_and_b32_e32 v6, 0x80000000, v6
	v_lshl_add_u32 v3, v3, 23, v7
	v_or3_b32 v2, v6, v3, v2
.LBB43_980:
	s_or_b64 exec, exec, s[6:7]
	s_movk_i32 s4, 0xff
	v_and_b32_sdwa v3, v4, s4 dst_sel:DWORD dst_unused:UNUSED_PAD src0_sel:WORD_1 src1_sel:DWORD
	s_movk_i32 s4, 0x7f
	v_cmp_lt_i16_e32 vcc, s4, v3
	s_mov_b64 s[4:5], 0
                                        ; implicit-def: $sgpr10
	s_and_saveexec_b64 s[6:7], vcc
	s_xor_b64 s[6:7], exec, s[6:7]
	s_cbranch_execnz .LBB43_3029
; %bb.981:
	s_or_saveexec_b64 s[6:7], s[6:7]
	v_mov_b32_e32 v6, s10
	s_xor_b64 exec, exec, s[6:7]
	s_cbranch_execnz .LBB43_3032
.LBB43_982:
	s_or_b64 exec, exec, s[6:7]
	s_and_saveexec_b64 s[6:7], s[4:5]
	s_cbranch_execz .LBB43_984
.LBB43_983:
	v_bfe_u32 v3, v4, 16, 3
	v_ffbh_u32_e32 v10, v3
	v_min_u32_e32 v10, 32, v10
	v_lshrrev_b32_e32 v6, 19, v4
	v_subrev_u32_e32 v11, 28, v10
	v_and_b32_e32 v6, 15, v6
	v_lshlrev_b32_sdwa v11, v11, v4 dst_sel:DWORD dst_unused:UNUSED_PAD src0_sel:DWORD src1_sel:WORD_1
	v_bfe_u32 v7, v4, 19, 4
	v_sub_u32_e32 v10, 29, v10
	v_and_b32_e32 v11, 7, v11
	v_cmp_eq_u16_e32 vcc, 0, v6
	v_cndmask_b32_e32 v3, v3, v11, vcc
	v_cndmask_b32_e32 v6, v7, v10, vcc
	v_lshlrev_b32_e32 v7, 8, v4
	v_mov_b32_e32 v10, 0x3b800000
	v_lshlrev_b32_e32 v3, 20, v3
	v_and_b32_e32 v7, 0x80000000, v7
	v_lshl_add_u32 v6, v6, 23, v10
	v_or3_b32 v6, v7, v6, v3
.LBB43_984:
	s_or_b64 exec, exec, s[6:7]
	s_nop 0
	v_mfma_f32_16x16x4f32 a[0:3], v2, v6, a[0:3]
	s_movk_i32 s4, 0x7f
	v_cmp_gt_i16_sdwa s[6:7], v8, s4 src0_sel:BYTE_3 src1_sel:DWORD
	s_mov_b64 s[4:5], 0
                                        ; implicit-def: $sgpr10
	s_and_saveexec_b64 s[8:9], s[6:7]
	s_xor_b64 s[6:7], exec, s[8:9]
	s_cbranch_execnz .LBB43_3033
; %bb.985:
	s_or_saveexec_b64 s[6:7], s[6:7]
	v_mov_b32_e32 v2, s10
	s_xor_b64 exec, exec, s[6:7]
	s_cbranch_execnz .LBB43_3036
.LBB43_986:
	s_or_b64 exec, exec, s[6:7]
	s_and_saveexec_b64 s[6:7], s[4:5]
	s_cbranch_execz .LBB43_988
.LBB43_987:
	v_bfe_u32 v2, v8, 24, 3
	v_ffbh_u32_e32 v10, v2
	v_min_u32_e32 v10, 32, v10
	v_lshrrev_b32_e32 v6, 27, v8
	v_subrev_u32_e32 v11, 28, v10
	v_and_b32_e32 v3, 0x80000000, v8
	v_and_b32_e32 v6, 15, v6
	v_bfe_u32 v7, v8, 27, 4
	v_lshlrev_b32_sdwa v8, v11, v8 dst_sel:DWORD dst_unused:UNUSED_PAD src0_sel:DWORD src1_sel:BYTE_3
	v_sub_u32_e32 v10, 29, v10
	v_and_b32_e32 v8, 7, v8
	v_cmp_eq_u16_e32 vcc, 0, v6
	v_cndmask_b32_e32 v2, v2, v8, vcc
	v_cndmask_b32_e32 v6, v7, v10, vcc
	v_mov_b32_e32 v7, 0x3b800000
	v_lshlrev_b32_e32 v2, 20, v2
	v_lshl_add_u32 v6, v6, 23, v7
	v_or3_b32 v2, v3, v6, v2
.LBB43_988:
	s_or_b64 exec, exec, s[6:7]
	s_movk_i32 s4, 0x7f
	v_cmp_gt_i16_sdwa s[6:7], v4, s4 src0_sel:BYTE_3 src1_sel:DWORD
	s_mov_b64 s[4:5], 0
                                        ; implicit-def: $sgpr10
	s_and_saveexec_b64 s[8:9], s[6:7]
	s_xor_b64 s[6:7], exec, s[8:9]
	s_cbranch_execnz .LBB43_3037
; %bb.989:
	s_or_saveexec_b64 s[6:7], s[6:7]
	v_mov_b32_e32 v3, s10
	s_xor_b64 exec, exec, s[6:7]
	s_cbranch_execnz .LBB43_3040
.LBB43_990:
	s_or_b64 exec, exec, s[6:7]
	s_and_saveexec_b64 s[6:7], s[4:5]
	s_cbranch_execz .LBB43_992
.LBB43_991:
	v_bfe_u32 v3, v4, 24, 3
	v_ffbh_u32_e32 v10, v3
	v_min_u32_e32 v10, 32, v10
	v_lshrrev_b32_e32 v7, 27, v4
	v_subrev_u32_e32 v11, 28, v10
	v_and_b32_e32 v6, 0x80000000, v4
	v_and_b32_e32 v7, 15, v7
	v_bfe_u32 v8, v4, 27, 4
	v_lshlrev_b32_sdwa v4, v11, v4 dst_sel:DWORD dst_unused:UNUSED_PAD src0_sel:DWORD src1_sel:BYTE_3
	v_sub_u32_e32 v10, 29, v10
	v_and_b32_e32 v4, 7, v4
	v_cmp_eq_u16_e32 vcc, 0, v7
	v_cndmask_b32_e32 v3, v3, v4, vcc
	v_cndmask_b32_e32 v4, v8, v10, vcc
	v_mov_b32_e32 v7, 0x3b800000
	v_lshlrev_b32_e32 v3, 20, v3
	v_lshl_add_u32 v4, v4, 23, v7
	v_or3_b32 v3, v6, v4, v3
.LBB43_992:
	s_or_b64 exec, exec, s[6:7]
	s_nop 0
	v_mfma_f32_16x16x4f32 a[0:3], v2, v3, a[0:3]
	s_movk_i32 s4, 0x7f
	v_cmp_gt_i16_sdwa s[6:7], v9, s4 src0_sel:BYTE_0 src1_sel:DWORD
	s_mov_b64 s[4:5], 0
                                        ; implicit-def: $sgpr10
	s_and_saveexec_b64 s[8:9], s[6:7]
	s_xor_b64 s[6:7], exec, s[8:9]
	s_cbranch_execnz .LBB43_3041
; %bb.993:
	s_or_saveexec_b64 s[6:7], s[6:7]
	v_mov_b32_e32 v2, s10
	s_xor_b64 exec, exec, s[6:7]
	s_cbranch_execnz .LBB43_3044
.LBB43_994:
	s_or_b64 exec, exec, s[6:7]
	s_and_saveexec_b64 s[6:7], s[4:5]
	s_cbranch_execz .LBB43_996
.LBB43_995:
	v_mov_b32_e32 v2, 8
	v_and_b32_e32 v3, 7, v9
	v_lshrrev_b32_sdwa v2, v2, v9 dst_sel:BYTE_1 dst_unused:UNUSED_PAD src0_sel:DWORD src1_sel:DWORD
	v_ffbh_u32_e32 v4, v3
	v_or_b32_sdwa v2, v9, v2 dst_sel:DWORD dst_unused:UNUSED_PAD src0_sel:BYTE_0 src1_sel:DWORD
	v_min_u32_e32 v4, 32, v4
	v_lshrrev_b16_e32 v2, 3, v2
	v_subrev_u32_e32 v6, 28, v4
	v_and_b32_e32 v2, 15, v2
	v_lshlrev_b32_e32 v6, v6, v9
	v_sub_u32_e32 v4, 29, v4
	v_and_b32_e32 v6, 7, v6
	v_cmp_eq_u16_e32 vcc, 0, v2
	v_cndmask_b32_e32 v3, v3, v6, vcc
	v_cndmask_b32_e32 v2, v2, v4, vcc
	v_lshlrev_b32_e32 v4, 24, v9
	v_mov_b32_e32 v6, 0x3b800000
	v_lshlrev_b32_e32 v3, 20, v3
	v_and_b32_e32 v4, 0x80000000, v4
	v_lshl_add_u32 v2, v2, 23, v6
	v_or3_b32 v2, v4, v2, v3
.LBB43_996:
	s_or_b64 exec, exec, s[6:7]
	s_movk_i32 s4, 0x7f
	v_cmp_gt_i16_sdwa s[6:7], v5, s4 src0_sel:BYTE_0 src1_sel:DWORD
	s_mov_b64 s[4:5], 0
                                        ; implicit-def: $sgpr10
	s_and_saveexec_b64 s[8:9], s[6:7]
	s_xor_b64 s[6:7], exec, s[8:9]
	s_cbranch_execnz .LBB43_3045
; %bb.997:
	s_or_saveexec_b64 s[6:7], s[6:7]
	v_mov_b32_e32 v3, s10
	s_xor_b64 exec, exec, s[6:7]
	s_cbranch_execnz .LBB43_3048
.LBB43_998:
	s_or_b64 exec, exec, s[6:7]
	s_and_saveexec_b64 s[6:7], s[4:5]
	s_cbranch_execz .LBB43_1000
.LBB43_999:
	v_mov_b32_e32 v3, 8
	v_and_b32_e32 v4, 7, v5
	v_lshrrev_b32_sdwa v3, v3, v5 dst_sel:BYTE_1 dst_unused:UNUSED_PAD src0_sel:DWORD src1_sel:DWORD
	v_ffbh_u32_e32 v6, v4
	v_or_b32_sdwa v3, v5, v3 dst_sel:DWORD dst_unused:UNUSED_PAD src0_sel:BYTE_0 src1_sel:DWORD
	v_min_u32_e32 v6, 32, v6
	v_lshrrev_b16_e32 v3, 3, v3
	v_subrev_u32_e32 v7, 28, v6
	v_and_b32_e32 v3, 15, v3
	v_lshlrev_b32_e32 v7, v7, v5
	v_sub_u32_e32 v6, 29, v6
	v_and_b32_e32 v7, 7, v7
	v_cmp_eq_u16_e32 vcc, 0, v3
	v_cndmask_b32_e32 v4, v4, v7, vcc
	v_cndmask_b32_e32 v3, v3, v6, vcc
	v_lshlrev_b32_e32 v6, 24, v5
	v_mov_b32_e32 v7, 0x3b800000
	v_lshlrev_b32_e32 v4, 20, v4
	v_and_b32_e32 v6, 0x80000000, v6
	v_lshl_add_u32 v3, v3, 23, v7
	v_or3_b32 v3, v6, v3, v4
.LBB43_1000:
	s_or_b64 exec, exec, s[6:7]
	s_nop 0
	v_mfma_f32_16x16x4f32 a[0:3], v2, v3, a[0:3]
	v_lshrrev_b32_e32 v3, 8, v9
	s_movk_i32 s4, 0x7f
	v_cmp_gt_i16_sdwa s[6:7], v3, s4 src0_sel:BYTE_0 src1_sel:DWORD
	s_mov_b64 s[4:5], 0
                                        ; implicit-def: $sgpr10
	s_and_saveexec_b64 s[8:9], s[6:7]
	s_xor_b64 s[6:7], exec, s[8:9]
	s_cbranch_execnz .LBB43_3049
; %bb.1001:
	s_or_saveexec_b64 s[6:7], s[6:7]
	v_mov_b32_e32 v2, s10
	s_xor_b64 exec, exec, s[6:7]
	s_cbranch_execnz .LBB43_3052
.LBB43_1002:
	s_or_b64 exec, exec, s[6:7]
	s_and_saveexec_b64 s[6:7], s[4:5]
	s_cbranch_execz .LBB43_1004
.LBB43_1003:
	v_bfe_u32 v2, v9, 8, 3
	v_ffbh_u32_e32 v6, v2
	v_min_u32_e32 v6, 32, v6
	v_lshrrev_b16_e32 v4, 3, v3
	v_subrev_u32_e32 v7, 28, v6
	v_and_b32_e32 v4, 15, v4
	v_lshlrev_b32_e32 v3, v7, v3
	v_sub_u32_e32 v6, 29, v6
	v_and_b32_e32 v3, 7, v3
	v_cmp_eq_u16_e32 vcc, 0, v4
	v_cndmask_b32_e32 v2, v2, v3, vcc
	v_cndmask_b32_e32 v3, v4, v6, vcc
	v_lshlrev_b32_e32 v4, 16, v9
	v_mov_b32_e32 v6, 0x3b800000
	v_lshlrev_b32_e32 v2, 20, v2
	v_and_b32_e32 v4, 0x80000000, v4
	v_lshl_add_u32 v3, v3, 23, v6
	v_or3_b32 v2, v4, v3, v2
.LBB43_1004:
	s_or_b64 exec, exec, s[6:7]
	v_lshrrev_b32_e32 v3, 8, v5
	s_movk_i32 s4, 0x7f
	v_cmp_gt_i16_sdwa s[6:7], v3, s4 src0_sel:BYTE_0 src1_sel:DWORD
	s_mov_b64 s[4:5], 0
                                        ; implicit-def: $sgpr10
	s_and_saveexec_b64 s[8:9], s[6:7]
	s_xor_b64 s[6:7], exec, s[8:9]
	s_cbranch_execnz .LBB43_3053
; %bb.1005:
	s_or_saveexec_b64 s[6:7], s[6:7]
	v_mov_b32_e32 v4, s10
	s_xor_b64 exec, exec, s[6:7]
	s_cbranch_execnz .LBB43_3056
.LBB43_1006:
	s_or_b64 exec, exec, s[6:7]
	s_and_saveexec_b64 s[6:7], s[4:5]
	s_cbranch_execz .LBB43_1008
.LBB43_1007:
	v_bfe_u32 v4, v5, 8, 3
	v_ffbh_u32_e32 v7, v4
	v_min_u32_e32 v7, 32, v7
	v_lshrrev_b16_e32 v6, 3, v3
	v_subrev_u32_e32 v8, 28, v7
	v_and_b32_e32 v6, 15, v6
	v_lshlrev_b32_e32 v3, v8, v3
	v_sub_u32_e32 v7, 29, v7
	v_and_b32_e32 v3, 7, v3
	v_cmp_eq_u16_e32 vcc, 0, v6
	v_cndmask_b32_e32 v3, v4, v3, vcc
	v_cndmask_b32_e32 v4, v6, v7, vcc
	v_lshlrev_b32_e32 v6, 16, v5
	v_mov_b32_e32 v7, 0x3b800000
	v_lshlrev_b32_e32 v3, 20, v3
	v_and_b32_e32 v6, 0x80000000, v6
	v_lshl_add_u32 v4, v4, 23, v7
	v_or3_b32 v4, v6, v4, v3
.LBB43_1008:
	s_or_b64 exec, exec, s[6:7]
	s_nop 0
	v_mfma_f32_16x16x4f32 a[0:3], v2, v4, a[0:3]
	s_movk_i32 s4, 0xff
	v_and_b32_sdwa v3, v9, s4 dst_sel:DWORD dst_unused:UNUSED_PAD src0_sel:WORD_1 src1_sel:DWORD
	s_movk_i32 s4, 0x7f
	v_cmp_lt_i16_e32 vcc, s4, v3
	s_mov_b64 s[4:5], 0
                                        ; implicit-def: $sgpr10
	s_and_saveexec_b64 s[6:7], vcc
	s_xor_b64 s[6:7], exec, s[6:7]
	s_cbranch_execnz .LBB43_3057
; %bb.1009:
	s_or_saveexec_b64 s[6:7], s[6:7]
	v_mov_b32_e32 v2, s10
	s_xor_b64 exec, exec, s[6:7]
	s_cbranch_execnz .LBB43_3060
.LBB43_1010:
	s_or_b64 exec, exec, s[6:7]
	s_and_saveexec_b64 s[6:7], s[4:5]
	s_cbranch_execz .LBB43_1012
.LBB43_1011:
	v_bfe_u32 v2, v9, 16, 3
	v_ffbh_u32_e32 v6, v2
	v_min_u32_e32 v6, 32, v6
	v_lshrrev_b32_e32 v3, 19, v9
	v_subrev_u32_e32 v7, 28, v6
	v_and_b32_e32 v3, 15, v3
	v_lshlrev_b32_sdwa v7, v7, v9 dst_sel:DWORD dst_unused:UNUSED_PAD src0_sel:DWORD src1_sel:WORD_1
	v_bfe_u32 v4, v9, 19, 4
	v_sub_u32_e32 v6, 29, v6
	v_and_b32_e32 v7, 7, v7
	v_cmp_eq_u16_e32 vcc, 0, v3
	v_cndmask_b32_e32 v2, v2, v7, vcc
	v_cndmask_b32_e32 v3, v4, v6, vcc
	v_lshlrev_b32_e32 v4, 8, v9
	v_mov_b32_e32 v6, 0x3b800000
	v_lshlrev_b32_e32 v2, 20, v2
	v_and_b32_e32 v4, 0x80000000, v4
	v_lshl_add_u32 v3, v3, 23, v6
	v_or3_b32 v2, v4, v3, v2
.LBB43_1012:
	s_or_b64 exec, exec, s[6:7]
	s_movk_i32 s4, 0xff
	v_and_b32_sdwa v3, v5, s4 dst_sel:DWORD dst_unused:UNUSED_PAD src0_sel:WORD_1 src1_sel:DWORD
	s_movk_i32 s4, 0x7f
	v_cmp_lt_i16_e32 vcc, s4, v3
	s_mov_b64 s[4:5], 0
                                        ; implicit-def: $sgpr10
	s_and_saveexec_b64 s[6:7], vcc
	s_xor_b64 s[6:7], exec, s[6:7]
	s_cbranch_execnz .LBB43_3061
; %bb.1013:
	s_or_saveexec_b64 s[6:7], s[6:7]
	v_mov_b32_e32 v4, s10
	s_xor_b64 exec, exec, s[6:7]
	s_cbranch_execnz .LBB43_3064
.LBB43_1014:
	s_or_b64 exec, exec, s[6:7]
	s_and_saveexec_b64 s[6:7], s[4:5]
	s_cbranch_execz .LBB43_1016
.LBB43_1015:
	v_bfe_u32 v3, v5, 16, 3
	v_ffbh_u32_e32 v7, v3
	v_min_u32_e32 v7, 32, v7
	v_lshrrev_b32_e32 v4, 19, v5
	v_subrev_u32_e32 v8, 28, v7
	v_and_b32_e32 v4, 15, v4
	v_lshlrev_b32_sdwa v8, v8, v5 dst_sel:DWORD dst_unused:UNUSED_PAD src0_sel:DWORD src1_sel:WORD_1
	v_bfe_u32 v6, v5, 19, 4
	v_sub_u32_e32 v7, 29, v7
	v_and_b32_e32 v8, 7, v8
	v_cmp_eq_u16_e32 vcc, 0, v4
	v_cndmask_b32_e32 v3, v3, v8, vcc
	v_cndmask_b32_e32 v4, v6, v7, vcc
	v_lshlrev_b32_e32 v6, 8, v5
	v_mov_b32_e32 v7, 0x3b800000
	v_lshlrev_b32_e32 v3, 20, v3
	v_and_b32_e32 v6, 0x80000000, v6
	v_lshl_add_u32 v4, v4, 23, v7
	v_or3_b32 v4, v6, v4, v3
.LBB43_1016:
	s_or_b64 exec, exec, s[6:7]
	s_nop 0
	v_mfma_f32_16x16x4f32 a[0:3], v2, v4, a[0:3]
	s_movk_i32 s4, 0x7f
	v_cmp_gt_i16_sdwa s[6:7], v9, s4 src0_sel:BYTE_3 src1_sel:DWORD
	s_mov_b64 s[4:5], 0
                                        ; implicit-def: $sgpr10
	s_and_saveexec_b64 s[8:9], s[6:7]
	s_xor_b64 s[6:7], exec, s[8:9]
	s_cbranch_execnz .LBB43_3065
; %bb.1017:
	s_or_saveexec_b64 s[6:7], s[6:7]
	v_mov_b32_e32 v2, s10
	s_xor_b64 exec, exec, s[6:7]
	s_cbranch_execnz .LBB43_3068
.LBB43_1018:
	s_or_b64 exec, exec, s[6:7]
	s_and_saveexec_b64 s[6:7], s[4:5]
	s_cbranch_execz .LBB43_1020
.LBB43_1019:
	v_bfe_u32 v2, v9, 24, 3
	v_ffbh_u32_e32 v7, v2
	v_min_u32_e32 v7, 32, v7
	v_lshrrev_b32_e32 v4, 27, v9
	v_subrev_u32_e32 v8, 28, v7
	v_and_b32_e32 v4, 15, v4
	v_lshlrev_b32_sdwa v8, v8, v9 dst_sel:DWORD dst_unused:UNUSED_PAD src0_sel:DWORD src1_sel:BYTE_3
	v_bfe_u32 v6, v9, 27, 4
	v_sub_u32_e32 v7, 29, v7
	v_and_b32_e32 v8, 7, v8
	v_cmp_eq_u16_e32 vcc, 0, v4
	v_cndmask_b32_e32 v2, v2, v8, vcc
	v_cndmask_b32_e32 v4, v6, v7, vcc
	v_mov_b32_e32 v6, 0x3b800000
	v_and_b32_e32 v3, 0x80000000, v9
	v_lshlrev_b32_e32 v2, 20, v2
	v_lshl_add_u32 v4, v4, 23, v6
	v_or3_b32 v2, v3, v4, v2
.LBB43_1020:
	s_or_b64 exec, exec, s[6:7]
	s_movk_i32 s4, 0x7f
	v_cmp_gt_i16_sdwa s[6:7], v5, s4 src0_sel:BYTE_3 src1_sel:DWORD
	s_mov_b64 s[4:5], 0
                                        ; implicit-def: $sgpr10
	s_and_saveexec_b64 s[8:9], s[6:7]
	s_xor_b64 s[6:7], exec, s[8:9]
	s_cbranch_execnz .LBB43_3069
; %bb.1021:
	s_or_saveexec_b64 s[6:7], s[6:7]
	v_mov_b32_e32 v3, s10
	s_xor_b64 exec, exec, s[6:7]
	s_cbranch_execnz .LBB43_3072
.LBB43_1022:
	s_or_b64 exec, exec, s[6:7]
	s_and_saveexec_b64 s[6:7], s[4:5]
	s_cbranch_execz .LBB43_1024
.LBB43_1023:
	v_bfe_u32 v3, v5, 24, 3
	v_ffbh_u32_e32 v8, v3
	v_min_u32_e32 v8, 32, v8
	v_lshrrev_b32_e32 v6, 27, v5
	v_subrev_u32_e32 v9, 28, v8
	v_and_b32_e32 v4, 0x80000000, v5
	v_and_b32_e32 v6, 15, v6
	v_bfe_u32 v7, v5, 27, 4
	v_lshlrev_b32_sdwa v5, v9, v5 dst_sel:DWORD dst_unused:UNUSED_PAD src0_sel:DWORD src1_sel:BYTE_3
	v_sub_u32_e32 v8, 29, v8
	v_and_b32_e32 v5, 7, v5
	v_cmp_eq_u16_e32 vcc, 0, v6
	v_cndmask_b32_e32 v3, v3, v5, vcc
	v_cndmask_b32_e32 v5, v7, v8, vcc
	v_mov_b32_e32 v6, 0x3b800000
	v_lshlrev_b32_e32 v3, 20, v3
	v_lshl_add_u32 v5, v5, 23, v6
	v_or3_b32 v3, v4, v5, v3
.LBB43_1024:
	s_or_b64 exec, exec, s[6:7]
	s_nop 0
	v_mfma_f32_16x16x4f32 a[0:3], v2, v3, a[0:3]
	s_movk_i32 s4, 0x7f
                                        ; implicit-def: $sgpr10
	s_nop 7
	s_nop 1
	flat_store_dwordx4 v[18:19], a[0:3] offset:944
	flat_load_dwordx4 v[20:23], v[0:1] offset:16
	s_nop 0
	flat_load_dwordx2 v[18:19], v[0:1] offset:32
	s_waitcnt vmcnt(0) lgkmcnt(0)
	flat_load_dwordx4 v[14:17], v[20:21] offset:32
	flat_load_dwordx4 v[6:9], v[20:21] offset:48
	;; [unrolled: 1-line block ×4, first 2 shown]
	s_waitcnt vmcnt(0) lgkmcnt(0)
	v_cmp_gt_i16_sdwa s[6:7], v14, s4 src0_sel:BYTE_0 src1_sel:DWORD
	s_mov_b64 s[4:5], 0
	s_and_saveexec_b64 s[8:9], s[6:7]
	s_xor_b64 s[6:7], exec, s[8:9]
	s_cbranch_execnz .LBB43_3073
; %bb.1025:
	s_or_saveexec_b64 s[6:7], s[6:7]
	v_mov_b32_e32 v20, s10
	s_xor_b64 exec, exec, s[6:7]
	s_cbranch_execnz .LBB43_3076
.LBB43_1026:
	s_or_b64 exec, exec, s[6:7]
	s_and_saveexec_b64 s[6:7], s[4:5]
	s_cbranch_execz .LBB43_1028
.LBB43_1027:
	v_and_b32_e32 v20, 7, v14
	v_ffbh_u32_e32 v22, v20
	v_min_u32_e32 v22, 32, v22
	v_lshrrev_b16_e32 v21, 3, v14
	v_subrev_u32_e32 v23, 28, v22
	v_and_b32_e32 v21, 15, v21
	v_lshlrev_b32_e32 v23, v23, v14
	v_sub_u32_e32 v22, 29, v22
	v_and_b32_e32 v23, 7, v23
	v_cmp_eq_u16_e32 vcc, 0, v21
	v_cndmask_b32_e32 v20, v20, v23, vcc
	v_cndmask_b32_e32 v21, v21, v22, vcc
	v_lshlrev_b32_e32 v22, 24, v14
	v_mov_b32_e32 v23, 0x3b800000
	v_lshlrev_b32_e32 v20, 20, v20
	v_and_b32_e32 v22, 0x80000000, v22
	v_lshl_add_u32 v21, v21, 23, v23
	v_or3_b32 v20, v22, v21, v20
.LBB43_1028:
	s_or_b64 exec, exec, s[6:7]
	s_movk_i32 s4, 0x7f
	v_cmp_gt_i16_sdwa s[6:7], v10, s4 src0_sel:BYTE_0 src1_sel:DWORD
	s_mov_b64 s[4:5], 0
                                        ; implicit-def: $sgpr10
	s_and_saveexec_b64 s[8:9], s[6:7]
	s_xor_b64 s[6:7], exec, s[8:9]
	s_cbranch_execnz .LBB43_3077
; %bb.1029:
	s_or_saveexec_b64 s[6:7], s[6:7]
	v_mov_b32_e32 v21, s10
	s_xor_b64 exec, exec, s[6:7]
	s_cbranch_execnz .LBB43_3080
.LBB43_1030:
	s_or_b64 exec, exec, s[6:7]
	s_and_saveexec_b64 s[6:7], s[4:5]
	s_cbranch_execz .LBB43_1032
.LBB43_1031:
	v_and_b32_e32 v21, 7, v10
	v_ffbh_u32_e32 v23, v21
	v_min_u32_e32 v23, 32, v23
	v_lshrrev_b16_e32 v22, 3, v10
	v_subrev_u32_e32 v24, 28, v23
	v_and_b32_e32 v22, 15, v22
	v_lshlrev_b32_e32 v24, v24, v10
	v_sub_u32_e32 v23, 29, v23
	v_and_b32_e32 v24, 7, v24
	v_cmp_eq_u16_e32 vcc, 0, v22
	v_cndmask_b32_e32 v21, v21, v24, vcc
	v_cndmask_b32_e32 v22, v22, v23, vcc
	v_lshlrev_b32_e32 v23, 24, v10
	v_mov_b32_e32 v24, 0x3b800000
	v_lshlrev_b32_e32 v21, 20, v21
	v_and_b32_e32 v23, 0x80000000, v23
	v_lshl_add_u32 v22, v22, 23, v24
	v_or3_b32 v21, v23, v22, v21
.LBB43_1032:
	s_or_b64 exec, exec, s[6:7]
	flat_load_dwordx4 a[0:3], v[18:19] offset:960
	s_movk_i32 s4, 0x7f
                                        ; implicit-def: $sgpr10
	s_waitcnt vmcnt(0) lgkmcnt(0)
	v_mfma_f32_16x16x4f32 a[0:3], v20, v21, a[0:3]
	v_lshrrev_b32_e32 v21, 8, v14
	v_cmp_gt_i16_sdwa s[6:7], v21, s4 src0_sel:BYTE_0 src1_sel:DWORD
	s_mov_b64 s[4:5], 0
	s_and_saveexec_b64 s[8:9], s[6:7]
	s_xor_b64 s[6:7], exec, s[8:9]
	s_cbranch_execnz .LBB43_3081
; %bb.1033:
	s_or_saveexec_b64 s[6:7], s[6:7]
	v_mov_b32_e32 v20, s10
	s_xor_b64 exec, exec, s[6:7]
	s_cbranch_execnz .LBB43_3084
.LBB43_1034:
	s_or_b64 exec, exec, s[6:7]
	s_and_saveexec_b64 s[6:7], s[4:5]
	s_cbranch_execz .LBB43_1036
.LBB43_1035:
	v_bfe_u32 v20, v14, 8, 3
	v_ffbh_u32_e32 v23, v20
	v_min_u32_e32 v23, 32, v23
	v_lshrrev_b16_e32 v22, 3, v21
	v_subrev_u32_e32 v24, 28, v23
	v_and_b32_e32 v22, 15, v22
	v_lshlrev_b32_e32 v21, v24, v21
	v_sub_u32_e32 v23, 29, v23
	v_and_b32_e32 v21, 7, v21
	v_cmp_eq_u16_e32 vcc, 0, v22
	v_cndmask_b32_e32 v20, v20, v21, vcc
	v_cndmask_b32_e32 v21, v22, v23, vcc
	v_lshlrev_b32_e32 v22, 16, v14
	v_mov_b32_e32 v23, 0x3b800000
	v_lshlrev_b32_e32 v20, 20, v20
	v_and_b32_e32 v22, 0x80000000, v22
	v_lshl_add_u32 v21, v21, 23, v23
	v_or3_b32 v20, v22, v21, v20
.LBB43_1036:
	s_or_b64 exec, exec, s[6:7]
	v_lshrrev_b32_e32 v21, 8, v10
	s_movk_i32 s4, 0x7f
	v_cmp_gt_i16_sdwa s[6:7], v21, s4 src0_sel:BYTE_0 src1_sel:DWORD
	s_mov_b64 s[4:5], 0
                                        ; implicit-def: $sgpr10
	s_and_saveexec_b64 s[8:9], s[6:7]
	s_xor_b64 s[6:7], exec, s[8:9]
	s_cbranch_execnz .LBB43_3085
; %bb.1037:
	s_or_saveexec_b64 s[6:7], s[6:7]
	v_mov_b32_e32 v22, s10
	s_xor_b64 exec, exec, s[6:7]
	s_cbranch_execnz .LBB43_3088
.LBB43_1038:
	s_or_b64 exec, exec, s[6:7]
	s_and_saveexec_b64 s[6:7], s[4:5]
	s_cbranch_execz .LBB43_1040
.LBB43_1039:
	v_bfe_u32 v22, v10, 8, 3
	v_ffbh_u32_e32 v24, v22
	v_min_u32_e32 v24, 32, v24
	v_lshrrev_b16_e32 v23, 3, v21
	v_subrev_u32_e32 v25, 28, v24
	v_and_b32_e32 v23, 15, v23
	v_lshlrev_b32_e32 v21, v25, v21
	v_sub_u32_e32 v24, 29, v24
	v_and_b32_e32 v21, 7, v21
	v_cmp_eq_u16_e32 vcc, 0, v23
	v_cndmask_b32_e32 v21, v22, v21, vcc
	v_cndmask_b32_e32 v22, v23, v24, vcc
	v_lshlrev_b32_e32 v23, 16, v10
	v_mov_b32_e32 v24, 0x3b800000
	v_lshlrev_b32_e32 v21, 20, v21
	v_and_b32_e32 v23, 0x80000000, v23
	v_lshl_add_u32 v22, v22, 23, v24
	v_or3_b32 v22, v23, v22, v21
.LBB43_1040:
	s_or_b64 exec, exec, s[6:7]
	s_nop 0
	v_mfma_f32_16x16x4f32 a[0:3], v20, v22, a[0:3]
	s_movk_i32 s4, 0xff
	v_and_b32_sdwa v21, v14, s4 dst_sel:DWORD dst_unused:UNUSED_PAD src0_sel:WORD_1 src1_sel:DWORD
	s_movk_i32 s4, 0x7f
	v_cmp_lt_i16_e32 vcc, s4, v21
	s_mov_b64 s[4:5], 0
                                        ; implicit-def: $sgpr10
	s_and_saveexec_b64 s[6:7], vcc
	s_xor_b64 s[6:7], exec, s[6:7]
	s_cbranch_execnz .LBB43_3089
; %bb.1041:
	s_or_saveexec_b64 s[6:7], s[6:7]
	v_mov_b32_e32 v20, s10
	s_xor_b64 exec, exec, s[6:7]
	s_cbranch_execnz .LBB43_3092
.LBB43_1042:
	s_or_b64 exec, exec, s[6:7]
	s_and_saveexec_b64 s[6:7], s[4:5]
	s_cbranch_execz .LBB43_1044
.LBB43_1043:
	v_bfe_u32 v20, v14, 16, 3
	v_ffbh_u32_e32 v23, v20
	v_min_u32_e32 v23, 32, v23
	v_lshrrev_b32_e32 v21, 19, v14
	v_subrev_u32_e32 v24, 28, v23
	v_and_b32_e32 v21, 15, v21
	v_lshlrev_b32_sdwa v24, v24, v14 dst_sel:DWORD dst_unused:UNUSED_PAD src0_sel:DWORD src1_sel:WORD_1
	v_bfe_u32 v22, v14, 19, 4
	v_sub_u32_e32 v23, 29, v23
	v_and_b32_e32 v24, 7, v24
	v_cmp_eq_u16_e32 vcc, 0, v21
	v_cndmask_b32_e32 v20, v20, v24, vcc
	v_cndmask_b32_e32 v21, v22, v23, vcc
	v_lshlrev_b32_e32 v22, 8, v14
	v_mov_b32_e32 v23, 0x3b800000
	v_lshlrev_b32_e32 v20, 20, v20
	v_and_b32_e32 v22, 0x80000000, v22
	v_lshl_add_u32 v21, v21, 23, v23
	v_or3_b32 v20, v22, v21, v20
.LBB43_1044:
	s_or_b64 exec, exec, s[6:7]
	s_movk_i32 s4, 0xff
	v_and_b32_sdwa v21, v10, s4 dst_sel:DWORD dst_unused:UNUSED_PAD src0_sel:WORD_1 src1_sel:DWORD
	s_movk_i32 s4, 0x7f
	v_cmp_lt_i16_e32 vcc, s4, v21
	s_mov_b64 s[4:5], 0
                                        ; implicit-def: $sgpr10
	s_and_saveexec_b64 s[6:7], vcc
	s_xor_b64 s[6:7], exec, s[6:7]
	s_cbranch_execnz .LBB43_3093
; %bb.1045:
	s_or_saveexec_b64 s[6:7], s[6:7]
	v_mov_b32_e32 v22, s10
	s_xor_b64 exec, exec, s[6:7]
	s_cbranch_execnz .LBB43_3096
.LBB43_1046:
	s_or_b64 exec, exec, s[6:7]
	s_and_saveexec_b64 s[6:7], s[4:5]
	s_cbranch_execz .LBB43_1048
.LBB43_1047:
	v_bfe_u32 v21, v10, 16, 3
	v_ffbh_u32_e32 v24, v21
	v_min_u32_e32 v24, 32, v24
	v_lshrrev_b32_e32 v22, 19, v10
	v_subrev_u32_e32 v25, 28, v24
	v_and_b32_e32 v22, 15, v22
	v_lshlrev_b32_sdwa v25, v25, v10 dst_sel:DWORD dst_unused:UNUSED_PAD src0_sel:DWORD src1_sel:WORD_1
	v_bfe_u32 v23, v10, 19, 4
	v_sub_u32_e32 v24, 29, v24
	v_and_b32_e32 v25, 7, v25
	v_cmp_eq_u16_e32 vcc, 0, v22
	v_cndmask_b32_e32 v21, v21, v25, vcc
	v_cndmask_b32_e32 v22, v23, v24, vcc
	v_lshlrev_b32_e32 v23, 8, v10
	v_mov_b32_e32 v24, 0x3b800000
	v_lshlrev_b32_e32 v21, 20, v21
	v_and_b32_e32 v23, 0x80000000, v23
	v_lshl_add_u32 v22, v22, 23, v24
	v_or3_b32 v22, v23, v22, v21
.LBB43_1048:
	s_or_b64 exec, exec, s[6:7]
	s_nop 0
	v_mfma_f32_16x16x4f32 a[0:3], v20, v22, a[0:3]
	s_movk_i32 s4, 0x7f
	v_cmp_gt_i16_sdwa s[6:7], v14, s4 src0_sel:BYTE_3 src1_sel:DWORD
	s_mov_b64 s[4:5], 0
                                        ; implicit-def: $sgpr10
	s_and_saveexec_b64 s[8:9], s[6:7]
	s_xor_b64 s[6:7], exec, s[8:9]
	s_cbranch_execnz .LBB43_3097
; %bb.1049:
	s_or_saveexec_b64 s[6:7], s[6:7]
	v_mov_b32_e32 v20, s10
	s_xor_b64 exec, exec, s[6:7]
	s_cbranch_execnz .LBB43_3100
.LBB43_1050:
	s_or_b64 exec, exec, s[6:7]
	s_and_saveexec_b64 s[6:7], s[4:5]
	s_cbranch_execz .LBB43_1052
.LBB43_1051:
	v_bfe_u32 v20, v14, 24, 3
	v_ffbh_u32_e32 v24, v20
	v_min_u32_e32 v24, 32, v24
	v_lshrrev_b32_e32 v22, 27, v14
	v_subrev_u32_e32 v25, 28, v24
	v_and_b32_e32 v21, 0x80000000, v14
	v_and_b32_e32 v22, 15, v22
	v_bfe_u32 v23, v14, 27, 4
	v_lshlrev_b32_sdwa v14, v25, v14 dst_sel:DWORD dst_unused:UNUSED_PAD src0_sel:DWORD src1_sel:BYTE_3
	v_sub_u32_e32 v24, 29, v24
	v_and_b32_e32 v14, 7, v14
	v_cmp_eq_u16_e32 vcc, 0, v22
	v_cndmask_b32_e32 v14, v20, v14, vcc
	v_cndmask_b32_e32 v20, v23, v24, vcc
	v_mov_b32_e32 v22, 0x3b800000
	v_lshlrev_b32_e32 v14, 20, v14
	v_lshl_add_u32 v20, v20, 23, v22
	v_or3_b32 v20, v21, v20, v14
.LBB43_1052:
	s_or_b64 exec, exec, s[6:7]
	s_movk_i32 s4, 0x7f
	v_cmp_gt_i16_sdwa s[6:7], v10, s4 src0_sel:BYTE_3 src1_sel:DWORD
	s_mov_b64 s[4:5], 0
                                        ; implicit-def: $sgpr10
	s_and_saveexec_b64 s[8:9], s[6:7]
	s_xor_b64 s[6:7], exec, s[8:9]
	s_cbranch_execnz .LBB43_3101
; %bb.1053:
	s_or_saveexec_b64 s[6:7], s[6:7]
	v_mov_b32_e32 v14, s10
	s_xor_b64 exec, exec, s[6:7]
	s_cbranch_execnz .LBB43_3104
.LBB43_1054:
	s_or_b64 exec, exec, s[6:7]
	s_and_saveexec_b64 s[6:7], s[4:5]
	s_cbranch_execz .LBB43_1056
.LBB43_1055:
	v_bfe_u32 v14, v10, 24, 3
	v_ffbh_u32_e32 v24, v14
	v_min_u32_e32 v24, 32, v24
	v_lshrrev_b32_e32 v22, 27, v10
	v_subrev_u32_e32 v25, 28, v24
	v_and_b32_e32 v21, 0x80000000, v10
	v_and_b32_e32 v22, 15, v22
	v_bfe_u32 v23, v10, 27, 4
	v_lshlrev_b32_sdwa v10, v25, v10 dst_sel:DWORD dst_unused:UNUSED_PAD src0_sel:DWORD src1_sel:BYTE_3
	v_sub_u32_e32 v24, 29, v24
	v_and_b32_e32 v10, 7, v10
	v_cmp_eq_u16_e32 vcc, 0, v22
	v_cndmask_b32_e32 v10, v14, v10, vcc
	v_cndmask_b32_e32 v14, v23, v24, vcc
	v_mov_b32_e32 v22, 0x3b800000
	v_lshlrev_b32_e32 v10, 20, v10
	v_lshl_add_u32 v14, v14, 23, v22
	v_or3_b32 v14, v21, v14, v10
.LBB43_1056:
	s_or_b64 exec, exec, s[6:7]
	s_nop 0
	v_mfma_f32_16x16x4f32 a[0:3], v20, v14, a[0:3]
	s_movk_i32 s4, 0x7f
	v_cmp_gt_i16_sdwa s[6:7], v15, s4 src0_sel:BYTE_0 src1_sel:DWORD
	s_mov_b64 s[4:5], 0
                                        ; implicit-def: $sgpr10
	s_and_saveexec_b64 s[8:9], s[6:7]
	s_xor_b64 s[6:7], exec, s[8:9]
	s_cbranch_execnz .LBB43_3105
; %bb.1057:
	s_or_saveexec_b64 s[6:7], s[6:7]
	v_mov_b32_e32 v10, s10
	s_xor_b64 exec, exec, s[6:7]
	s_cbranch_execnz .LBB43_3108
.LBB43_1058:
	s_or_b64 exec, exec, s[6:7]
	s_and_saveexec_b64 s[6:7], s[4:5]
	s_cbranch_execz .LBB43_1060
.LBB43_1059:
	v_and_b32_e32 v10, 7, v15
	v_ffbh_u32_e32 v20, v10
	v_min_u32_e32 v20, 32, v20
	v_lshrrev_b16_e32 v14, 3, v15
	v_subrev_u32_e32 v21, 28, v20
	v_and_b32_e32 v14, 15, v14
	v_lshlrev_b32_e32 v21, v21, v15
	v_sub_u32_e32 v20, 29, v20
	v_and_b32_e32 v21, 7, v21
	v_cmp_eq_u16_e32 vcc, 0, v14
	v_cndmask_b32_e32 v10, v10, v21, vcc
	v_cndmask_b32_e32 v14, v14, v20, vcc
	v_lshlrev_b32_e32 v20, 24, v15
	v_mov_b32_e32 v21, 0x3b800000
	v_lshlrev_b32_e32 v10, 20, v10
	v_and_b32_e32 v20, 0x80000000, v20
	v_lshl_add_u32 v14, v14, 23, v21
	v_or3_b32 v10, v20, v14, v10
.LBB43_1060:
	s_or_b64 exec, exec, s[6:7]
	s_movk_i32 s4, 0x7f
	v_cmp_gt_i16_sdwa s[6:7], v11, s4 src0_sel:BYTE_0 src1_sel:DWORD
	s_mov_b64 s[4:5], 0
                                        ; implicit-def: $sgpr10
	s_and_saveexec_b64 s[8:9], s[6:7]
	s_xor_b64 s[6:7], exec, s[8:9]
	s_cbranch_execnz .LBB43_3109
; %bb.1061:
	s_or_saveexec_b64 s[6:7], s[6:7]
	v_mov_b32_e32 v14, s10
	s_xor_b64 exec, exec, s[6:7]
	s_cbranch_execnz .LBB43_3112
.LBB43_1062:
	s_or_b64 exec, exec, s[6:7]
	s_and_saveexec_b64 s[6:7], s[4:5]
	s_cbranch_execz .LBB43_1064
.LBB43_1063:
	v_and_b32_e32 v14, 7, v11
	v_ffbh_u32_e32 v21, v14
	v_min_u32_e32 v21, 32, v21
	v_lshrrev_b16_e32 v20, 3, v11
	v_subrev_u32_e32 v22, 28, v21
	v_and_b32_e32 v20, 15, v20
	v_lshlrev_b32_e32 v22, v22, v11
	v_sub_u32_e32 v21, 29, v21
	v_and_b32_e32 v22, 7, v22
	v_cmp_eq_u16_e32 vcc, 0, v20
	v_cndmask_b32_e32 v14, v14, v22, vcc
	v_cndmask_b32_e32 v20, v20, v21, vcc
	v_lshlrev_b32_e32 v21, 24, v11
	v_mov_b32_e32 v22, 0x3b800000
	v_lshlrev_b32_e32 v14, 20, v14
	v_and_b32_e32 v21, 0x80000000, v21
	v_lshl_add_u32 v20, v20, 23, v22
	v_or3_b32 v14, v21, v20, v14
.LBB43_1064:
	s_or_b64 exec, exec, s[6:7]
	s_nop 0
	v_mfma_f32_16x16x4f32 a[0:3], v10, v14, a[0:3]
	v_lshrrev_b32_e32 v14, 8, v15
	s_movk_i32 s4, 0x7f
	v_cmp_gt_i16_sdwa s[6:7], v14, s4 src0_sel:BYTE_0 src1_sel:DWORD
	s_mov_b64 s[4:5], 0
                                        ; implicit-def: $sgpr10
	s_and_saveexec_b64 s[8:9], s[6:7]
	s_xor_b64 s[6:7], exec, s[8:9]
	s_cbranch_execnz .LBB43_3113
; %bb.1065:
	s_or_saveexec_b64 s[6:7], s[6:7]
	v_mov_b32_e32 v10, s10
	s_xor_b64 exec, exec, s[6:7]
	s_cbranch_execnz .LBB43_3116
.LBB43_1066:
	s_or_b64 exec, exec, s[6:7]
	s_and_saveexec_b64 s[6:7], s[4:5]
	s_cbranch_execz .LBB43_1068
.LBB43_1067:
	v_bfe_u32 v10, v15, 8, 3
	v_ffbh_u32_e32 v21, v10
	v_min_u32_e32 v21, 32, v21
	v_lshrrev_b16_e32 v20, 3, v14
	v_subrev_u32_e32 v22, 28, v21
	v_and_b32_e32 v20, 15, v20
	v_lshlrev_b32_e32 v14, v22, v14
	v_sub_u32_e32 v21, 29, v21
	v_and_b32_e32 v14, 7, v14
	v_cmp_eq_u16_e32 vcc, 0, v20
	v_cndmask_b32_e32 v10, v10, v14, vcc
	v_cndmask_b32_e32 v14, v20, v21, vcc
	v_lshlrev_b32_e32 v20, 16, v15
	v_mov_b32_e32 v21, 0x3b800000
	v_lshlrev_b32_e32 v10, 20, v10
	v_and_b32_e32 v20, 0x80000000, v20
	v_lshl_add_u32 v14, v14, 23, v21
	v_or3_b32 v10, v20, v14, v10
.LBB43_1068:
	s_or_b64 exec, exec, s[6:7]
	v_lshrrev_b32_e32 v14, 8, v11
	s_movk_i32 s4, 0x7f
	v_cmp_gt_i16_sdwa s[6:7], v14, s4 src0_sel:BYTE_0 src1_sel:DWORD
	s_mov_b64 s[4:5], 0
                                        ; implicit-def: $sgpr10
	s_and_saveexec_b64 s[8:9], s[6:7]
	s_xor_b64 s[6:7], exec, s[8:9]
	s_cbranch_execnz .LBB43_3117
; %bb.1069:
	s_or_saveexec_b64 s[6:7], s[6:7]
	v_mov_b32_e32 v20, s10
	s_xor_b64 exec, exec, s[6:7]
	s_cbranch_execnz .LBB43_3120
.LBB43_1070:
	s_or_b64 exec, exec, s[6:7]
	s_and_saveexec_b64 s[6:7], s[4:5]
	s_cbranch_execz .LBB43_1072
.LBB43_1071:
	v_bfe_u32 v20, v11, 8, 3
	v_ffbh_u32_e32 v22, v20
	v_min_u32_e32 v22, 32, v22
	v_lshrrev_b16_e32 v21, 3, v14
	v_subrev_u32_e32 v23, 28, v22
	v_and_b32_e32 v21, 15, v21
	v_lshlrev_b32_e32 v14, v23, v14
	v_sub_u32_e32 v22, 29, v22
	v_and_b32_e32 v14, 7, v14
	v_cmp_eq_u16_e32 vcc, 0, v21
	v_cndmask_b32_e32 v14, v20, v14, vcc
	v_cndmask_b32_e32 v20, v21, v22, vcc
	v_lshlrev_b32_e32 v21, 16, v11
	v_mov_b32_e32 v22, 0x3b800000
	v_lshlrev_b32_e32 v14, 20, v14
	v_and_b32_e32 v21, 0x80000000, v21
	v_lshl_add_u32 v20, v20, 23, v22
	v_or3_b32 v20, v21, v20, v14
.LBB43_1072:
	s_or_b64 exec, exec, s[6:7]
	s_nop 0
	v_mfma_f32_16x16x4f32 a[0:3], v10, v20, a[0:3]
	s_movk_i32 s4, 0xff
	v_and_b32_sdwa v14, v15, s4 dst_sel:DWORD dst_unused:UNUSED_PAD src0_sel:WORD_1 src1_sel:DWORD
	s_movk_i32 s4, 0x7f
	v_cmp_lt_i16_e32 vcc, s4, v14
	s_mov_b64 s[4:5], 0
                                        ; implicit-def: $sgpr10
	s_and_saveexec_b64 s[6:7], vcc
	s_xor_b64 s[6:7], exec, s[6:7]
	s_cbranch_execnz .LBB43_3121
; %bb.1073:
	s_or_saveexec_b64 s[6:7], s[6:7]
	v_mov_b32_e32 v10, s10
	s_xor_b64 exec, exec, s[6:7]
	s_cbranch_execnz .LBB43_3124
.LBB43_1074:
	s_or_b64 exec, exec, s[6:7]
	s_and_saveexec_b64 s[6:7], s[4:5]
	s_cbranch_execz .LBB43_1076
.LBB43_1075:
	v_bfe_u32 v10, v15, 16, 3
	v_ffbh_u32_e32 v21, v10
	v_min_u32_e32 v21, 32, v21
	v_lshrrev_b32_e32 v14, 19, v15
	v_subrev_u32_e32 v22, 28, v21
	v_and_b32_e32 v14, 15, v14
	v_lshlrev_b32_sdwa v22, v22, v15 dst_sel:DWORD dst_unused:UNUSED_PAD src0_sel:DWORD src1_sel:WORD_1
	v_bfe_u32 v20, v15, 19, 4
	v_sub_u32_e32 v21, 29, v21
	v_and_b32_e32 v22, 7, v22
	v_cmp_eq_u16_e32 vcc, 0, v14
	v_cndmask_b32_e32 v10, v10, v22, vcc
	v_cndmask_b32_e32 v14, v20, v21, vcc
	v_lshlrev_b32_e32 v20, 8, v15
	v_mov_b32_e32 v21, 0x3b800000
	v_lshlrev_b32_e32 v10, 20, v10
	v_and_b32_e32 v20, 0x80000000, v20
	v_lshl_add_u32 v14, v14, 23, v21
	v_or3_b32 v10, v20, v14, v10
.LBB43_1076:
	s_or_b64 exec, exec, s[6:7]
	s_movk_i32 s4, 0xff
	v_and_b32_sdwa v14, v11, s4 dst_sel:DWORD dst_unused:UNUSED_PAD src0_sel:WORD_1 src1_sel:DWORD
	s_movk_i32 s4, 0x7f
	v_cmp_lt_i16_e32 vcc, s4, v14
	s_mov_b64 s[4:5], 0
                                        ; implicit-def: $sgpr10
	s_and_saveexec_b64 s[6:7], vcc
	s_xor_b64 s[6:7], exec, s[6:7]
	s_cbranch_execnz .LBB43_3125
; %bb.1077:
	s_or_saveexec_b64 s[6:7], s[6:7]
	v_mov_b32_e32 v20, s10
	s_xor_b64 exec, exec, s[6:7]
	s_cbranch_execnz .LBB43_3128
.LBB43_1078:
	s_or_b64 exec, exec, s[6:7]
	s_and_saveexec_b64 s[6:7], s[4:5]
	s_cbranch_execz .LBB43_1080
.LBB43_1079:
	v_bfe_u32 v14, v11, 16, 3
	v_ffbh_u32_e32 v22, v14
	v_min_u32_e32 v22, 32, v22
	v_lshrrev_b32_e32 v20, 19, v11
	v_subrev_u32_e32 v23, 28, v22
	v_and_b32_e32 v20, 15, v20
	v_lshlrev_b32_sdwa v23, v23, v11 dst_sel:DWORD dst_unused:UNUSED_PAD src0_sel:DWORD src1_sel:WORD_1
	v_bfe_u32 v21, v11, 19, 4
	v_sub_u32_e32 v22, 29, v22
	v_and_b32_e32 v23, 7, v23
	v_cmp_eq_u16_e32 vcc, 0, v20
	v_cndmask_b32_e32 v14, v14, v23, vcc
	v_cndmask_b32_e32 v20, v21, v22, vcc
	v_lshlrev_b32_e32 v21, 8, v11
	v_mov_b32_e32 v22, 0x3b800000
	v_lshlrev_b32_e32 v14, 20, v14
	v_and_b32_e32 v21, 0x80000000, v21
	v_lshl_add_u32 v20, v20, 23, v22
	v_or3_b32 v20, v21, v20, v14
.LBB43_1080:
	s_or_b64 exec, exec, s[6:7]
	s_nop 0
	v_mfma_f32_16x16x4f32 a[0:3], v10, v20, a[0:3]
	s_movk_i32 s4, 0x7f
	v_cmp_gt_i16_sdwa s[6:7], v15, s4 src0_sel:BYTE_3 src1_sel:DWORD
	s_mov_b64 s[4:5], 0
                                        ; implicit-def: $sgpr10
	s_and_saveexec_b64 s[8:9], s[6:7]
	s_xor_b64 s[6:7], exec, s[8:9]
	s_cbranch_execnz .LBB43_3129
; %bb.1081:
	s_or_saveexec_b64 s[6:7], s[6:7]
	v_mov_b32_e32 v10, s10
	s_xor_b64 exec, exec, s[6:7]
	s_cbranch_execnz .LBB43_3132
.LBB43_1082:
	s_or_b64 exec, exec, s[6:7]
	s_and_saveexec_b64 s[6:7], s[4:5]
	s_cbranch_execz .LBB43_1084
.LBB43_1083:
	v_bfe_u32 v10, v15, 24, 3
	v_ffbh_u32_e32 v22, v10
	v_min_u32_e32 v22, 32, v22
	v_lshrrev_b32_e32 v20, 27, v15
	v_subrev_u32_e32 v23, 28, v22
	v_and_b32_e32 v14, 0x80000000, v15
	v_and_b32_e32 v20, 15, v20
	v_bfe_u32 v21, v15, 27, 4
	v_lshlrev_b32_sdwa v15, v23, v15 dst_sel:DWORD dst_unused:UNUSED_PAD src0_sel:DWORD src1_sel:BYTE_3
	v_sub_u32_e32 v22, 29, v22
	v_and_b32_e32 v15, 7, v15
	v_cmp_eq_u16_e32 vcc, 0, v20
	v_cndmask_b32_e32 v10, v10, v15, vcc
	v_cndmask_b32_e32 v15, v21, v22, vcc
	v_mov_b32_e32 v20, 0x3b800000
	v_lshlrev_b32_e32 v10, 20, v10
	v_lshl_add_u32 v15, v15, 23, v20
	v_or3_b32 v10, v14, v15, v10
.LBB43_1084:
	s_or_b64 exec, exec, s[6:7]
	s_movk_i32 s4, 0x7f
	v_cmp_gt_i16_sdwa s[6:7], v11, s4 src0_sel:BYTE_3 src1_sel:DWORD
	s_mov_b64 s[4:5], 0
                                        ; implicit-def: $sgpr10
	s_and_saveexec_b64 s[8:9], s[6:7]
	s_xor_b64 s[6:7], exec, s[8:9]
	s_cbranch_execnz .LBB43_3133
; %bb.1085:
	s_or_saveexec_b64 s[6:7], s[6:7]
	v_mov_b32_e32 v14, s10
	s_xor_b64 exec, exec, s[6:7]
	s_cbranch_execnz .LBB43_3136
.LBB43_1086:
	s_or_b64 exec, exec, s[6:7]
	s_and_saveexec_b64 s[6:7], s[4:5]
	s_cbranch_execz .LBB43_1088
.LBB43_1087:
	v_bfe_u32 v14, v11, 24, 3
	v_ffbh_u32_e32 v22, v14
	v_min_u32_e32 v22, 32, v22
	v_lshrrev_b32_e32 v20, 27, v11
	v_subrev_u32_e32 v23, 28, v22
	v_and_b32_e32 v15, 0x80000000, v11
	v_and_b32_e32 v20, 15, v20
	v_bfe_u32 v21, v11, 27, 4
	v_lshlrev_b32_sdwa v11, v23, v11 dst_sel:DWORD dst_unused:UNUSED_PAD src0_sel:DWORD src1_sel:BYTE_3
	v_sub_u32_e32 v22, 29, v22
	v_and_b32_e32 v11, 7, v11
	v_cmp_eq_u16_e32 vcc, 0, v20
	v_cndmask_b32_e32 v11, v14, v11, vcc
	v_cndmask_b32_e32 v14, v21, v22, vcc
	v_mov_b32_e32 v20, 0x3b800000
	v_lshlrev_b32_e32 v11, 20, v11
	v_lshl_add_u32 v14, v14, 23, v20
	v_or3_b32 v14, v15, v14, v11
.LBB43_1088:
	s_or_b64 exec, exec, s[6:7]
	s_nop 0
	v_mfma_f32_16x16x4f32 a[0:3], v10, v14, a[0:3]
	s_movk_i32 s4, 0x7f
	v_cmp_gt_i16_sdwa s[6:7], v16, s4 src0_sel:BYTE_0 src1_sel:DWORD
	s_mov_b64 s[4:5], 0
                                        ; implicit-def: $sgpr10
	s_and_saveexec_b64 s[8:9], s[6:7]
	s_xor_b64 s[6:7], exec, s[8:9]
	s_cbranch_execnz .LBB43_3137
; %bb.1089:
	s_or_saveexec_b64 s[6:7], s[6:7]
	v_mov_b32_e32 v10, s10
	s_xor_b64 exec, exec, s[6:7]
	s_cbranch_execnz .LBB43_3140
.LBB43_1090:
	s_or_b64 exec, exec, s[6:7]
	s_and_saveexec_b64 s[6:7], s[4:5]
	s_cbranch_execz .LBB43_1092
.LBB43_1091:
	v_and_b32_e32 v10, 7, v16
	v_ffbh_u32_e32 v14, v10
	v_min_u32_e32 v14, 32, v14
	v_lshrrev_b16_e32 v11, 3, v16
	v_subrev_u32_e32 v15, 28, v14
	v_and_b32_e32 v11, 15, v11
	v_lshlrev_b32_e32 v15, v15, v16
	v_sub_u32_e32 v14, 29, v14
	v_and_b32_e32 v15, 7, v15
	v_cmp_eq_u16_e32 vcc, 0, v11
	v_cndmask_b32_e32 v10, v10, v15, vcc
	v_cndmask_b32_e32 v11, v11, v14, vcc
	v_lshlrev_b32_e32 v14, 24, v16
	v_mov_b32_e32 v15, 0x3b800000
	v_lshlrev_b32_e32 v10, 20, v10
	v_and_b32_e32 v14, 0x80000000, v14
	v_lshl_add_u32 v11, v11, 23, v15
	v_or3_b32 v10, v14, v11, v10
.LBB43_1092:
	s_or_b64 exec, exec, s[6:7]
	s_movk_i32 s4, 0x7f
	v_cmp_gt_i16_sdwa s[6:7], v12, s4 src0_sel:BYTE_0 src1_sel:DWORD
	s_mov_b64 s[4:5], 0
                                        ; implicit-def: $sgpr10
	s_and_saveexec_b64 s[8:9], s[6:7]
	s_xor_b64 s[6:7], exec, s[8:9]
	s_cbranch_execnz .LBB43_3141
; %bb.1093:
	s_or_saveexec_b64 s[6:7], s[6:7]
	v_mov_b32_e32 v11, s10
	s_xor_b64 exec, exec, s[6:7]
	s_cbranch_execnz .LBB43_3144
.LBB43_1094:
	s_or_b64 exec, exec, s[6:7]
	s_and_saveexec_b64 s[6:7], s[4:5]
	s_cbranch_execz .LBB43_1096
.LBB43_1095:
	v_and_b32_e32 v11, 7, v12
	v_ffbh_u32_e32 v15, v11
	v_min_u32_e32 v15, 32, v15
	v_lshrrev_b16_e32 v14, 3, v12
	v_subrev_u32_e32 v20, 28, v15
	v_and_b32_e32 v14, 15, v14
	v_lshlrev_b32_e32 v20, v20, v12
	v_sub_u32_e32 v15, 29, v15
	v_and_b32_e32 v20, 7, v20
	v_cmp_eq_u16_e32 vcc, 0, v14
	v_cndmask_b32_e32 v11, v11, v20, vcc
	v_cndmask_b32_e32 v14, v14, v15, vcc
	v_lshlrev_b32_e32 v15, 24, v12
	v_mov_b32_e32 v20, 0x3b800000
	v_lshlrev_b32_e32 v11, 20, v11
	v_and_b32_e32 v15, 0x80000000, v15
	v_lshl_add_u32 v14, v14, 23, v20
	v_or3_b32 v11, v15, v14, v11
.LBB43_1096:
	s_or_b64 exec, exec, s[6:7]
	s_nop 0
	v_mfma_f32_16x16x4f32 a[0:3], v10, v11, a[0:3]
	v_lshrrev_b32_e32 v11, 8, v16
	s_movk_i32 s4, 0x7f
	v_cmp_gt_i16_sdwa s[6:7], v11, s4 src0_sel:BYTE_0 src1_sel:DWORD
	s_mov_b64 s[4:5], 0
                                        ; implicit-def: $sgpr10
	s_and_saveexec_b64 s[8:9], s[6:7]
	s_xor_b64 s[6:7], exec, s[8:9]
	s_cbranch_execnz .LBB43_3145
; %bb.1097:
	s_or_saveexec_b64 s[6:7], s[6:7]
	v_mov_b32_e32 v10, s10
	s_xor_b64 exec, exec, s[6:7]
	s_cbranch_execnz .LBB43_3148
.LBB43_1098:
	s_or_b64 exec, exec, s[6:7]
	s_and_saveexec_b64 s[6:7], s[4:5]
	s_cbranch_execz .LBB43_1100
.LBB43_1099:
	v_bfe_u32 v10, v16, 8, 3
	v_ffbh_u32_e32 v15, v10
	v_min_u32_e32 v15, 32, v15
	v_lshrrev_b16_e32 v14, 3, v11
	v_subrev_u32_e32 v20, 28, v15
	v_and_b32_e32 v14, 15, v14
	v_lshlrev_b32_e32 v11, v20, v11
	v_sub_u32_e32 v15, 29, v15
	v_and_b32_e32 v11, 7, v11
	v_cmp_eq_u16_e32 vcc, 0, v14
	v_cndmask_b32_e32 v10, v10, v11, vcc
	v_cndmask_b32_e32 v11, v14, v15, vcc
	v_lshlrev_b32_e32 v14, 16, v16
	v_mov_b32_e32 v15, 0x3b800000
	v_lshlrev_b32_e32 v10, 20, v10
	v_and_b32_e32 v14, 0x80000000, v14
	v_lshl_add_u32 v11, v11, 23, v15
	v_or3_b32 v10, v14, v11, v10
.LBB43_1100:
	s_or_b64 exec, exec, s[6:7]
	v_lshrrev_b32_e32 v11, 8, v12
	s_movk_i32 s4, 0x7f
	v_cmp_gt_i16_sdwa s[6:7], v11, s4 src0_sel:BYTE_0 src1_sel:DWORD
	s_mov_b64 s[4:5], 0
                                        ; implicit-def: $sgpr10
	s_and_saveexec_b64 s[8:9], s[6:7]
	s_xor_b64 s[6:7], exec, s[8:9]
	s_cbranch_execnz .LBB43_3149
; %bb.1101:
	s_or_saveexec_b64 s[6:7], s[6:7]
	v_mov_b32_e32 v14, s10
	s_xor_b64 exec, exec, s[6:7]
	s_cbranch_execnz .LBB43_3152
.LBB43_1102:
	s_or_b64 exec, exec, s[6:7]
	s_and_saveexec_b64 s[6:7], s[4:5]
	s_cbranch_execz .LBB43_1104
.LBB43_1103:
	v_bfe_u32 v14, v12, 8, 3
	v_ffbh_u32_e32 v20, v14
	v_min_u32_e32 v20, 32, v20
	v_lshrrev_b16_e32 v15, 3, v11
	v_subrev_u32_e32 v21, 28, v20
	v_and_b32_e32 v15, 15, v15
	v_lshlrev_b32_e32 v11, v21, v11
	v_sub_u32_e32 v20, 29, v20
	v_and_b32_e32 v11, 7, v11
	v_cmp_eq_u16_e32 vcc, 0, v15
	v_cndmask_b32_e32 v11, v14, v11, vcc
	v_cndmask_b32_e32 v14, v15, v20, vcc
	v_lshlrev_b32_e32 v15, 16, v12
	v_mov_b32_e32 v20, 0x3b800000
	v_lshlrev_b32_e32 v11, 20, v11
	v_and_b32_e32 v15, 0x80000000, v15
	v_lshl_add_u32 v14, v14, 23, v20
	v_or3_b32 v14, v15, v14, v11
.LBB43_1104:
	s_or_b64 exec, exec, s[6:7]
	s_nop 0
	v_mfma_f32_16x16x4f32 a[0:3], v10, v14, a[0:3]
	s_movk_i32 s4, 0xff
	v_and_b32_sdwa v11, v16, s4 dst_sel:DWORD dst_unused:UNUSED_PAD src0_sel:WORD_1 src1_sel:DWORD
	s_movk_i32 s4, 0x7f
	v_cmp_lt_i16_e32 vcc, s4, v11
	s_mov_b64 s[4:5], 0
                                        ; implicit-def: $sgpr10
	s_and_saveexec_b64 s[6:7], vcc
	s_xor_b64 s[6:7], exec, s[6:7]
	s_cbranch_execnz .LBB43_3153
; %bb.1105:
	s_or_saveexec_b64 s[6:7], s[6:7]
	v_mov_b32_e32 v10, s10
	s_xor_b64 exec, exec, s[6:7]
	s_cbranch_execnz .LBB43_3156
.LBB43_1106:
	s_or_b64 exec, exec, s[6:7]
	s_and_saveexec_b64 s[6:7], s[4:5]
	s_cbranch_execz .LBB43_1108
.LBB43_1107:
	v_bfe_u32 v10, v16, 16, 3
	v_ffbh_u32_e32 v15, v10
	v_min_u32_e32 v15, 32, v15
	v_lshrrev_b32_e32 v11, 19, v16
	v_subrev_u32_e32 v20, 28, v15
	v_and_b32_e32 v11, 15, v11
	v_lshlrev_b32_sdwa v20, v20, v16 dst_sel:DWORD dst_unused:UNUSED_PAD src0_sel:DWORD src1_sel:WORD_1
	v_bfe_u32 v14, v16, 19, 4
	v_sub_u32_e32 v15, 29, v15
	v_and_b32_e32 v20, 7, v20
	v_cmp_eq_u16_e32 vcc, 0, v11
	v_cndmask_b32_e32 v10, v10, v20, vcc
	v_cndmask_b32_e32 v11, v14, v15, vcc
	v_lshlrev_b32_e32 v14, 8, v16
	v_mov_b32_e32 v15, 0x3b800000
	v_lshlrev_b32_e32 v10, 20, v10
	v_and_b32_e32 v14, 0x80000000, v14
	v_lshl_add_u32 v11, v11, 23, v15
	v_or3_b32 v10, v14, v11, v10
.LBB43_1108:
	s_or_b64 exec, exec, s[6:7]
	s_movk_i32 s4, 0xff
	v_and_b32_sdwa v11, v12, s4 dst_sel:DWORD dst_unused:UNUSED_PAD src0_sel:WORD_1 src1_sel:DWORD
	s_movk_i32 s4, 0x7f
	v_cmp_lt_i16_e32 vcc, s4, v11
	s_mov_b64 s[4:5], 0
                                        ; implicit-def: $sgpr10
	s_and_saveexec_b64 s[6:7], vcc
	s_xor_b64 s[6:7], exec, s[6:7]
	s_cbranch_execnz .LBB43_3157
; %bb.1109:
	s_or_saveexec_b64 s[6:7], s[6:7]
	v_mov_b32_e32 v14, s10
	s_xor_b64 exec, exec, s[6:7]
	s_cbranch_execnz .LBB43_3160
.LBB43_1110:
	s_or_b64 exec, exec, s[6:7]
	s_and_saveexec_b64 s[6:7], s[4:5]
	s_cbranch_execz .LBB43_1112
.LBB43_1111:
	v_bfe_u32 v11, v12, 16, 3
	v_ffbh_u32_e32 v20, v11
	v_min_u32_e32 v20, 32, v20
	v_lshrrev_b32_e32 v14, 19, v12
	v_subrev_u32_e32 v21, 28, v20
	v_and_b32_e32 v14, 15, v14
	v_lshlrev_b32_sdwa v21, v21, v12 dst_sel:DWORD dst_unused:UNUSED_PAD src0_sel:DWORD src1_sel:WORD_1
	v_bfe_u32 v15, v12, 19, 4
	v_sub_u32_e32 v20, 29, v20
	v_and_b32_e32 v21, 7, v21
	v_cmp_eq_u16_e32 vcc, 0, v14
	v_cndmask_b32_e32 v11, v11, v21, vcc
	v_cndmask_b32_e32 v14, v15, v20, vcc
	v_lshlrev_b32_e32 v15, 8, v12
	v_mov_b32_e32 v20, 0x3b800000
	v_lshlrev_b32_e32 v11, 20, v11
	v_and_b32_e32 v15, 0x80000000, v15
	v_lshl_add_u32 v14, v14, 23, v20
	v_or3_b32 v14, v15, v14, v11
.LBB43_1112:
	s_or_b64 exec, exec, s[6:7]
	s_nop 0
	v_mfma_f32_16x16x4f32 a[0:3], v10, v14, a[0:3]
	s_movk_i32 s4, 0x7f
	v_cmp_gt_i16_sdwa s[6:7], v16, s4 src0_sel:BYTE_3 src1_sel:DWORD
	s_mov_b64 s[4:5], 0
                                        ; implicit-def: $sgpr10
	s_and_saveexec_b64 s[8:9], s[6:7]
	s_xor_b64 s[6:7], exec, s[8:9]
	s_cbranch_execnz .LBB43_3161
; %bb.1113:
	s_or_saveexec_b64 s[6:7], s[6:7]
	v_mov_b32_e32 v10, s10
	s_xor_b64 exec, exec, s[6:7]
	s_cbranch_execnz .LBB43_3164
.LBB43_1114:
	s_or_b64 exec, exec, s[6:7]
	s_and_saveexec_b64 s[6:7], s[4:5]
	s_cbranch_execz .LBB43_1116
.LBB43_1115:
	v_bfe_u32 v10, v16, 24, 3
	v_ffbh_u32_e32 v20, v10
	v_min_u32_e32 v20, 32, v20
	v_lshrrev_b32_e32 v14, 27, v16
	v_subrev_u32_e32 v21, 28, v20
	v_and_b32_e32 v11, 0x80000000, v16
	v_and_b32_e32 v14, 15, v14
	v_bfe_u32 v15, v16, 27, 4
	v_lshlrev_b32_sdwa v16, v21, v16 dst_sel:DWORD dst_unused:UNUSED_PAD src0_sel:DWORD src1_sel:BYTE_3
	v_sub_u32_e32 v20, 29, v20
	v_and_b32_e32 v16, 7, v16
	v_cmp_eq_u16_e32 vcc, 0, v14
	v_cndmask_b32_e32 v10, v10, v16, vcc
	v_cndmask_b32_e32 v14, v15, v20, vcc
	v_mov_b32_e32 v15, 0x3b800000
	v_lshlrev_b32_e32 v10, 20, v10
	v_lshl_add_u32 v14, v14, 23, v15
	v_or3_b32 v10, v11, v14, v10
.LBB43_1116:
	s_or_b64 exec, exec, s[6:7]
	s_movk_i32 s4, 0x7f
	v_cmp_gt_i16_sdwa s[6:7], v12, s4 src0_sel:BYTE_3 src1_sel:DWORD
	s_mov_b64 s[4:5], 0
                                        ; implicit-def: $sgpr10
	s_and_saveexec_b64 s[8:9], s[6:7]
	s_xor_b64 s[6:7], exec, s[8:9]
	s_cbranch_execnz .LBB43_3165
; %bb.1117:
	s_or_saveexec_b64 s[6:7], s[6:7]
	v_mov_b32_e32 v11, s10
	s_xor_b64 exec, exec, s[6:7]
	s_cbranch_execnz .LBB43_3168
.LBB43_1118:
	s_or_b64 exec, exec, s[6:7]
	s_and_saveexec_b64 s[6:7], s[4:5]
	s_cbranch_execz .LBB43_1120
.LBB43_1119:
	v_bfe_u32 v11, v12, 24, 3
	v_ffbh_u32_e32 v20, v11
	v_min_u32_e32 v20, 32, v20
	v_lshrrev_b32_e32 v15, 27, v12
	v_subrev_u32_e32 v21, 28, v20
	v_and_b32_e32 v14, 0x80000000, v12
	v_and_b32_e32 v15, 15, v15
	v_bfe_u32 v16, v12, 27, 4
	v_lshlrev_b32_sdwa v12, v21, v12 dst_sel:DWORD dst_unused:UNUSED_PAD src0_sel:DWORD src1_sel:BYTE_3
	v_sub_u32_e32 v20, 29, v20
	v_and_b32_e32 v12, 7, v12
	v_cmp_eq_u16_e32 vcc, 0, v15
	v_cndmask_b32_e32 v11, v11, v12, vcc
	v_cndmask_b32_e32 v12, v16, v20, vcc
	v_mov_b32_e32 v15, 0x3b800000
	v_lshlrev_b32_e32 v11, 20, v11
	v_lshl_add_u32 v12, v12, 23, v15
	v_or3_b32 v11, v14, v12, v11
.LBB43_1120:
	s_or_b64 exec, exec, s[6:7]
	s_nop 0
	v_mfma_f32_16x16x4f32 a[0:3], v10, v11, a[0:3]
	s_movk_i32 s4, 0x7f
	v_cmp_gt_i16_sdwa s[6:7], v17, s4 src0_sel:BYTE_0 src1_sel:DWORD
	s_mov_b64 s[4:5], 0
                                        ; implicit-def: $sgpr10
	s_and_saveexec_b64 s[8:9], s[6:7]
	s_xor_b64 s[6:7], exec, s[8:9]
	s_cbranch_execnz .LBB43_3169
; %bb.1121:
	s_or_saveexec_b64 s[6:7], s[6:7]
	v_mov_b32_e32 v10, s10
	s_xor_b64 exec, exec, s[6:7]
	s_cbranch_execnz .LBB43_3172
.LBB43_1122:
	s_or_b64 exec, exec, s[6:7]
	s_and_saveexec_b64 s[6:7], s[4:5]
	s_cbranch_execz .LBB43_1124
.LBB43_1123:
	v_and_b32_e32 v10, 7, v17
	v_ffbh_u32_e32 v12, v10
	v_min_u32_e32 v12, 32, v12
	v_lshrrev_b16_e32 v11, 3, v17
	v_subrev_u32_e32 v14, 28, v12
	v_and_b32_e32 v11, 15, v11
	v_lshlrev_b32_e32 v14, v14, v17
	v_sub_u32_e32 v12, 29, v12
	v_and_b32_e32 v14, 7, v14
	v_cmp_eq_u16_e32 vcc, 0, v11
	v_cndmask_b32_e32 v10, v10, v14, vcc
	v_cndmask_b32_e32 v11, v11, v12, vcc
	v_lshlrev_b32_e32 v12, 24, v17
	v_mov_b32_e32 v14, 0x3b800000
	v_lshlrev_b32_e32 v10, 20, v10
	v_and_b32_e32 v12, 0x80000000, v12
	v_lshl_add_u32 v11, v11, 23, v14
	v_or3_b32 v10, v12, v11, v10
.LBB43_1124:
	s_or_b64 exec, exec, s[6:7]
	s_movk_i32 s4, 0x7f
	v_cmp_gt_i16_sdwa s[6:7], v13, s4 src0_sel:BYTE_0 src1_sel:DWORD
	s_mov_b64 s[4:5], 0
                                        ; implicit-def: $sgpr10
	s_and_saveexec_b64 s[8:9], s[6:7]
	s_xor_b64 s[6:7], exec, s[8:9]
	s_cbranch_execnz .LBB43_3173
; %bb.1125:
	s_or_saveexec_b64 s[6:7], s[6:7]
	v_mov_b32_e32 v11, s10
	s_xor_b64 exec, exec, s[6:7]
	s_cbranch_execnz .LBB43_3176
.LBB43_1126:
	s_or_b64 exec, exec, s[6:7]
	s_and_saveexec_b64 s[6:7], s[4:5]
	s_cbranch_execz .LBB43_1128
.LBB43_1127:
	v_and_b32_e32 v11, 7, v13
	v_ffbh_u32_e32 v14, v11
	v_min_u32_e32 v14, 32, v14
	v_lshrrev_b16_e32 v12, 3, v13
	v_subrev_u32_e32 v15, 28, v14
	v_and_b32_e32 v12, 15, v12
	v_lshlrev_b32_e32 v15, v15, v13
	v_sub_u32_e32 v14, 29, v14
	v_and_b32_e32 v15, 7, v15
	v_cmp_eq_u16_e32 vcc, 0, v12
	v_cndmask_b32_e32 v11, v11, v15, vcc
	v_cndmask_b32_e32 v12, v12, v14, vcc
	v_lshlrev_b32_e32 v14, 24, v13
	v_mov_b32_e32 v15, 0x3b800000
	v_lshlrev_b32_e32 v11, 20, v11
	v_and_b32_e32 v14, 0x80000000, v14
	v_lshl_add_u32 v12, v12, 23, v15
	v_or3_b32 v11, v14, v12, v11
.LBB43_1128:
	s_or_b64 exec, exec, s[6:7]
	s_nop 0
	v_mfma_f32_16x16x4f32 a[0:3], v10, v11, a[0:3]
	v_lshrrev_b32_e32 v11, 8, v17
	s_movk_i32 s4, 0x7f
	v_cmp_gt_i16_sdwa s[6:7], v11, s4 src0_sel:BYTE_0 src1_sel:DWORD
	s_mov_b64 s[4:5], 0
                                        ; implicit-def: $sgpr10
	s_and_saveexec_b64 s[8:9], s[6:7]
	s_xor_b64 s[6:7], exec, s[8:9]
	s_cbranch_execnz .LBB43_3177
; %bb.1129:
	s_or_saveexec_b64 s[6:7], s[6:7]
	v_mov_b32_e32 v10, s10
	s_xor_b64 exec, exec, s[6:7]
	s_cbranch_execnz .LBB43_3180
.LBB43_1130:
	s_or_b64 exec, exec, s[6:7]
	s_and_saveexec_b64 s[6:7], s[4:5]
	s_cbranch_execz .LBB43_1132
.LBB43_1131:
	v_bfe_u32 v10, v17, 8, 3
	v_ffbh_u32_e32 v14, v10
	v_min_u32_e32 v14, 32, v14
	v_lshrrev_b16_e32 v12, 3, v11
	v_subrev_u32_e32 v15, 28, v14
	v_and_b32_e32 v12, 15, v12
	v_lshlrev_b32_e32 v11, v15, v11
	v_sub_u32_e32 v14, 29, v14
	v_and_b32_e32 v11, 7, v11
	v_cmp_eq_u16_e32 vcc, 0, v12
	v_cndmask_b32_e32 v10, v10, v11, vcc
	v_cndmask_b32_e32 v11, v12, v14, vcc
	v_lshlrev_b32_e32 v12, 16, v17
	v_mov_b32_e32 v14, 0x3b800000
	v_lshlrev_b32_e32 v10, 20, v10
	v_and_b32_e32 v12, 0x80000000, v12
	v_lshl_add_u32 v11, v11, 23, v14
	v_or3_b32 v10, v12, v11, v10
.LBB43_1132:
	s_or_b64 exec, exec, s[6:7]
	v_lshrrev_b32_e32 v11, 8, v13
	s_movk_i32 s4, 0x7f
	v_cmp_gt_i16_sdwa s[6:7], v11, s4 src0_sel:BYTE_0 src1_sel:DWORD
	s_mov_b64 s[4:5], 0
                                        ; implicit-def: $sgpr10
	s_and_saveexec_b64 s[8:9], s[6:7]
	s_xor_b64 s[6:7], exec, s[8:9]
	s_cbranch_execnz .LBB43_3181
; %bb.1133:
	s_or_saveexec_b64 s[6:7], s[6:7]
	v_mov_b32_e32 v12, s10
	s_xor_b64 exec, exec, s[6:7]
	s_cbranch_execnz .LBB43_3184
.LBB43_1134:
	s_or_b64 exec, exec, s[6:7]
	s_and_saveexec_b64 s[6:7], s[4:5]
	s_cbranch_execz .LBB43_1136
.LBB43_1135:
	v_bfe_u32 v12, v13, 8, 3
	v_ffbh_u32_e32 v15, v12
	v_min_u32_e32 v15, 32, v15
	v_lshrrev_b16_e32 v14, 3, v11
	v_subrev_u32_e32 v16, 28, v15
	v_and_b32_e32 v14, 15, v14
	v_lshlrev_b32_e32 v11, v16, v11
	v_sub_u32_e32 v15, 29, v15
	v_and_b32_e32 v11, 7, v11
	v_cmp_eq_u16_e32 vcc, 0, v14
	v_cndmask_b32_e32 v11, v12, v11, vcc
	v_cndmask_b32_e32 v12, v14, v15, vcc
	v_lshlrev_b32_e32 v14, 16, v13
	v_mov_b32_e32 v15, 0x3b800000
	v_lshlrev_b32_e32 v11, 20, v11
	v_and_b32_e32 v14, 0x80000000, v14
	v_lshl_add_u32 v12, v12, 23, v15
	v_or3_b32 v12, v14, v12, v11
.LBB43_1136:
	s_or_b64 exec, exec, s[6:7]
	s_nop 0
	v_mfma_f32_16x16x4f32 a[0:3], v10, v12, a[0:3]
	s_movk_i32 s4, 0xff
	v_and_b32_sdwa v11, v17, s4 dst_sel:DWORD dst_unused:UNUSED_PAD src0_sel:WORD_1 src1_sel:DWORD
	s_movk_i32 s4, 0x7f
	v_cmp_lt_i16_e32 vcc, s4, v11
	s_mov_b64 s[4:5], 0
                                        ; implicit-def: $sgpr10
	s_and_saveexec_b64 s[6:7], vcc
	s_xor_b64 s[6:7], exec, s[6:7]
	s_cbranch_execnz .LBB43_3185
; %bb.1137:
	s_or_saveexec_b64 s[6:7], s[6:7]
	v_mov_b32_e32 v10, s10
	s_xor_b64 exec, exec, s[6:7]
	s_cbranch_execnz .LBB43_3188
.LBB43_1138:
	s_or_b64 exec, exec, s[6:7]
	s_and_saveexec_b64 s[6:7], s[4:5]
	s_cbranch_execz .LBB43_1140
.LBB43_1139:
	v_bfe_u32 v10, v17, 16, 3
	v_ffbh_u32_e32 v14, v10
	v_min_u32_e32 v14, 32, v14
	v_lshrrev_b32_e32 v11, 19, v17
	v_subrev_u32_e32 v15, 28, v14
	v_and_b32_e32 v11, 15, v11
	v_lshlrev_b32_sdwa v15, v15, v17 dst_sel:DWORD dst_unused:UNUSED_PAD src0_sel:DWORD src1_sel:WORD_1
	v_bfe_u32 v12, v17, 19, 4
	v_sub_u32_e32 v14, 29, v14
	v_and_b32_e32 v15, 7, v15
	v_cmp_eq_u16_e32 vcc, 0, v11
	v_cndmask_b32_e32 v10, v10, v15, vcc
	v_cndmask_b32_e32 v11, v12, v14, vcc
	v_lshlrev_b32_e32 v12, 8, v17
	v_mov_b32_e32 v14, 0x3b800000
	v_lshlrev_b32_e32 v10, 20, v10
	v_and_b32_e32 v12, 0x80000000, v12
	v_lshl_add_u32 v11, v11, 23, v14
	v_or3_b32 v10, v12, v11, v10
.LBB43_1140:
	s_or_b64 exec, exec, s[6:7]
	s_movk_i32 s4, 0xff
	v_and_b32_sdwa v11, v13, s4 dst_sel:DWORD dst_unused:UNUSED_PAD src0_sel:WORD_1 src1_sel:DWORD
	s_movk_i32 s4, 0x7f
	v_cmp_lt_i16_e32 vcc, s4, v11
	s_mov_b64 s[4:5], 0
                                        ; implicit-def: $sgpr10
	s_and_saveexec_b64 s[6:7], vcc
	s_xor_b64 s[6:7], exec, s[6:7]
	s_cbranch_execnz .LBB43_3189
; %bb.1141:
	s_or_saveexec_b64 s[6:7], s[6:7]
	v_mov_b32_e32 v12, s10
	s_xor_b64 exec, exec, s[6:7]
	s_cbranch_execnz .LBB43_3192
.LBB43_1142:
	s_or_b64 exec, exec, s[6:7]
	s_and_saveexec_b64 s[6:7], s[4:5]
	s_cbranch_execz .LBB43_1144
.LBB43_1143:
	v_bfe_u32 v11, v13, 16, 3
	v_ffbh_u32_e32 v15, v11
	v_min_u32_e32 v15, 32, v15
	v_lshrrev_b32_e32 v12, 19, v13
	v_subrev_u32_e32 v16, 28, v15
	v_and_b32_e32 v12, 15, v12
	v_lshlrev_b32_sdwa v16, v16, v13 dst_sel:DWORD dst_unused:UNUSED_PAD src0_sel:DWORD src1_sel:WORD_1
	v_bfe_u32 v14, v13, 19, 4
	v_sub_u32_e32 v15, 29, v15
	v_and_b32_e32 v16, 7, v16
	v_cmp_eq_u16_e32 vcc, 0, v12
	v_cndmask_b32_e32 v11, v11, v16, vcc
	v_cndmask_b32_e32 v12, v14, v15, vcc
	v_lshlrev_b32_e32 v14, 8, v13
	v_mov_b32_e32 v15, 0x3b800000
	v_lshlrev_b32_e32 v11, 20, v11
	v_and_b32_e32 v14, 0x80000000, v14
	v_lshl_add_u32 v12, v12, 23, v15
	v_or3_b32 v12, v14, v12, v11
.LBB43_1144:
	s_or_b64 exec, exec, s[6:7]
	s_nop 0
	v_mfma_f32_16x16x4f32 a[0:3], v10, v12, a[0:3]
	s_movk_i32 s4, 0x7f
	v_cmp_gt_i16_sdwa s[6:7], v17, s4 src0_sel:BYTE_3 src1_sel:DWORD
	s_mov_b64 s[4:5], 0
                                        ; implicit-def: $sgpr10
	s_and_saveexec_b64 s[8:9], s[6:7]
	s_xor_b64 s[6:7], exec, s[8:9]
	s_cbranch_execnz .LBB43_3193
; %bb.1145:
	s_or_saveexec_b64 s[6:7], s[6:7]
	v_mov_b32_e32 v10, s10
	s_xor_b64 exec, exec, s[6:7]
	s_cbranch_execnz .LBB43_3196
.LBB43_1146:
	s_or_b64 exec, exec, s[6:7]
	s_and_saveexec_b64 s[6:7], s[4:5]
	s_cbranch_execz .LBB43_1148
.LBB43_1147:
	v_bfe_u32 v10, v17, 24, 3
	v_ffbh_u32_e32 v15, v10
	v_min_u32_e32 v15, 32, v15
	v_lshrrev_b32_e32 v12, 27, v17
	v_subrev_u32_e32 v16, 28, v15
	v_and_b32_e32 v12, 15, v12
	v_lshlrev_b32_sdwa v16, v16, v17 dst_sel:DWORD dst_unused:UNUSED_PAD src0_sel:DWORD src1_sel:BYTE_3
	v_bfe_u32 v14, v17, 27, 4
	v_sub_u32_e32 v15, 29, v15
	v_and_b32_e32 v16, 7, v16
	v_cmp_eq_u16_e32 vcc, 0, v12
	v_cndmask_b32_e32 v10, v10, v16, vcc
	v_cndmask_b32_e32 v12, v14, v15, vcc
	v_mov_b32_e32 v14, 0x3b800000
	v_and_b32_e32 v11, 0x80000000, v17
	v_lshlrev_b32_e32 v10, 20, v10
	v_lshl_add_u32 v12, v12, 23, v14
	v_or3_b32 v10, v11, v12, v10
.LBB43_1148:
	s_or_b64 exec, exec, s[6:7]
	s_movk_i32 s4, 0x7f
	v_cmp_gt_i16_sdwa s[6:7], v13, s4 src0_sel:BYTE_3 src1_sel:DWORD
	s_mov_b64 s[4:5], 0
                                        ; implicit-def: $sgpr10
	s_and_saveexec_b64 s[8:9], s[6:7]
	s_xor_b64 s[6:7], exec, s[8:9]
	s_cbranch_execnz .LBB43_3197
; %bb.1149:
	s_or_saveexec_b64 s[6:7], s[6:7]
	v_mov_b32_e32 v11, s10
	s_xor_b64 exec, exec, s[6:7]
	s_cbranch_execnz .LBB43_3200
.LBB43_1150:
	s_or_b64 exec, exec, s[6:7]
	s_and_saveexec_b64 s[6:7], s[4:5]
	s_cbranch_execz .LBB43_1152
.LBB43_1151:
	v_bfe_u32 v11, v13, 24, 3
	v_ffbh_u32_e32 v16, v11
	v_min_u32_e32 v16, 32, v16
	v_lshrrev_b32_e32 v14, 27, v13
	v_subrev_u32_e32 v17, 28, v16
	v_and_b32_e32 v12, 0x80000000, v13
	v_and_b32_e32 v14, 15, v14
	v_bfe_u32 v15, v13, 27, 4
	v_lshlrev_b32_sdwa v13, v17, v13 dst_sel:DWORD dst_unused:UNUSED_PAD src0_sel:DWORD src1_sel:BYTE_3
	v_sub_u32_e32 v16, 29, v16
	v_and_b32_e32 v13, 7, v13
	v_cmp_eq_u16_e32 vcc, 0, v14
	v_cndmask_b32_e32 v11, v11, v13, vcc
	v_cndmask_b32_e32 v13, v15, v16, vcc
	v_mov_b32_e32 v14, 0x3b800000
	v_lshlrev_b32_e32 v11, 20, v11
	v_lshl_add_u32 v13, v13, 23, v14
	v_or3_b32 v11, v12, v13, v11
.LBB43_1152:
	s_or_b64 exec, exec, s[6:7]
	s_nop 0
	v_mfma_f32_16x16x4f32 a[0:3], v10, v11, a[0:3]
	s_movk_i32 s4, 0x7f
	v_cmp_gt_i16_sdwa s[6:7], v6, s4 src0_sel:BYTE_0 src1_sel:DWORD
	s_mov_b64 s[4:5], 0
                                        ; implicit-def: $sgpr10
	s_and_saveexec_b64 s[8:9], s[6:7]
	s_xor_b64 s[6:7], exec, s[8:9]
	s_cbranch_execnz .LBB43_3201
; %bb.1153:
	s_or_saveexec_b64 s[6:7], s[6:7]
	v_mov_b32_e32 v10, s10
	s_xor_b64 exec, exec, s[6:7]
	s_cbranch_execnz .LBB43_3204
.LBB43_1154:
	s_or_b64 exec, exec, s[6:7]
	s_and_saveexec_b64 s[6:7], s[4:5]
	s_cbranch_execz .LBB43_1156
.LBB43_1155:
	v_and_b32_e32 v10, 7, v6
	v_ffbh_u32_e32 v12, v10
	v_min_u32_e32 v12, 32, v12
	v_lshrrev_b16_e32 v11, 3, v6
	v_subrev_u32_e32 v13, 28, v12
	v_and_b32_e32 v11, 15, v11
	v_lshlrev_b32_e32 v13, v13, v6
	v_sub_u32_e32 v12, 29, v12
	v_and_b32_e32 v13, 7, v13
	v_cmp_eq_u16_e32 vcc, 0, v11
	v_cndmask_b32_e32 v10, v10, v13, vcc
	v_cndmask_b32_e32 v11, v11, v12, vcc
	v_lshlrev_b32_e32 v12, 24, v6
	v_mov_b32_e32 v13, 0x3b800000
	v_lshlrev_b32_e32 v10, 20, v10
	v_and_b32_e32 v12, 0x80000000, v12
	v_lshl_add_u32 v11, v11, 23, v13
	v_or3_b32 v10, v12, v11, v10
.LBB43_1156:
	s_or_b64 exec, exec, s[6:7]
	s_movk_i32 s4, 0x7f
	v_cmp_gt_i16_sdwa s[6:7], v2, s4 src0_sel:BYTE_0 src1_sel:DWORD
	s_mov_b64 s[4:5], 0
                                        ; implicit-def: $sgpr10
	s_and_saveexec_b64 s[8:9], s[6:7]
	s_xor_b64 s[6:7], exec, s[8:9]
	s_cbranch_execnz .LBB43_3205
; %bb.1157:
	s_or_saveexec_b64 s[6:7], s[6:7]
	v_mov_b32_e32 v11, s10
	s_xor_b64 exec, exec, s[6:7]
	s_cbranch_execnz .LBB43_3208
.LBB43_1158:
	s_or_b64 exec, exec, s[6:7]
	s_and_saveexec_b64 s[6:7], s[4:5]
	s_cbranch_execz .LBB43_1160
.LBB43_1159:
	v_and_b32_e32 v11, 7, v2
	v_ffbh_u32_e32 v13, v11
	v_min_u32_e32 v13, 32, v13
	v_lshrrev_b16_e32 v12, 3, v2
	v_subrev_u32_e32 v14, 28, v13
	v_and_b32_e32 v12, 15, v12
	v_lshlrev_b32_e32 v14, v14, v2
	v_sub_u32_e32 v13, 29, v13
	v_and_b32_e32 v14, 7, v14
	v_cmp_eq_u16_e32 vcc, 0, v12
	v_cndmask_b32_e32 v11, v11, v14, vcc
	v_cndmask_b32_e32 v12, v12, v13, vcc
	v_lshlrev_b32_e32 v13, 24, v2
	v_mov_b32_e32 v14, 0x3b800000
	v_lshlrev_b32_e32 v11, 20, v11
	v_and_b32_e32 v13, 0x80000000, v13
	v_lshl_add_u32 v12, v12, 23, v14
	v_or3_b32 v11, v13, v12, v11
.LBB43_1160:
	s_or_b64 exec, exec, s[6:7]
	s_nop 0
	v_mfma_f32_16x16x4f32 a[0:3], v10, v11, a[0:3]
	v_lshrrev_b32_e32 v11, 8, v6
	s_movk_i32 s4, 0x7f
	v_cmp_gt_i16_sdwa s[6:7], v11, s4 src0_sel:BYTE_0 src1_sel:DWORD
	s_mov_b64 s[4:5], 0
                                        ; implicit-def: $sgpr10
	s_and_saveexec_b64 s[8:9], s[6:7]
	s_xor_b64 s[6:7], exec, s[8:9]
	s_cbranch_execnz .LBB43_3209
; %bb.1161:
	s_or_saveexec_b64 s[6:7], s[6:7]
	v_mov_b32_e32 v10, s10
	s_xor_b64 exec, exec, s[6:7]
	s_cbranch_execnz .LBB43_3212
.LBB43_1162:
	s_or_b64 exec, exec, s[6:7]
	s_and_saveexec_b64 s[6:7], s[4:5]
	s_cbranch_execz .LBB43_1164
.LBB43_1163:
	v_bfe_u32 v10, v6, 8, 3
	v_ffbh_u32_e32 v13, v10
	v_min_u32_e32 v13, 32, v13
	v_lshrrev_b16_e32 v12, 3, v11
	v_subrev_u32_e32 v14, 28, v13
	v_and_b32_e32 v12, 15, v12
	v_lshlrev_b32_e32 v11, v14, v11
	v_sub_u32_e32 v13, 29, v13
	v_and_b32_e32 v11, 7, v11
	v_cmp_eq_u16_e32 vcc, 0, v12
	v_cndmask_b32_e32 v10, v10, v11, vcc
	v_cndmask_b32_e32 v11, v12, v13, vcc
	v_lshlrev_b32_e32 v12, 16, v6
	v_mov_b32_e32 v13, 0x3b800000
	v_lshlrev_b32_e32 v10, 20, v10
	v_and_b32_e32 v12, 0x80000000, v12
	v_lshl_add_u32 v11, v11, 23, v13
	v_or3_b32 v10, v12, v11, v10
.LBB43_1164:
	s_or_b64 exec, exec, s[6:7]
	v_lshrrev_b32_e32 v11, 8, v2
	s_movk_i32 s4, 0x7f
	v_cmp_gt_i16_sdwa s[6:7], v11, s4 src0_sel:BYTE_0 src1_sel:DWORD
	s_mov_b64 s[4:5], 0
                                        ; implicit-def: $sgpr10
	s_and_saveexec_b64 s[8:9], s[6:7]
	s_xor_b64 s[6:7], exec, s[8:9]
	s_cbranch_execnz .LBB43_3213
; %bb.1165:
	s_or_saveexec_b64 s[6:7], s[6:7]
	v_mov_b32_e32 v12, s10
	s_xor_b64 exec, exec, s[6:7]
	s_cbranch_execnz .LBB43_3216
.LBB43_1166:
	s_or_b64 exec, exec, s[6:7]
	s_and_saveexec_b64 s[6:7], s[4:5]
	s_cbranch_execz .LBB43_1168
.LBB43_1167:
	v_bfe_u32 v12, v2, 8, 3
	v_ffbh_u32_e32 v14, v12
	v_min_u32_e32 v14, 32, v14
	v_lshrrev_b16_e32 v13, 3, v11
	v_subrev_u32_e32 v15, 28, v14
	v_and_b32_e32 v13, 15, v13
	v_lshlrev_b32_e32 v11, v15, v11
	v_sub_u32_e32 v14, 29, v14
	v_and_b32_e32 v11, 7, v11
	v_cmp_eq_u16_e32 vcc, 0, v13
	v_cndmask_b32_e32 v11, v12, v11, vcc
	v_cndmask_b32_e32 v12, v13, v14, vcc
	v_lshlrev_b32_e32 v13, 16, v2
	v_mov_b32_e32 v14, 0x3b800000
	v_lshlrev_b32_e32 v11, 20, v11
	v_and_b32_e32 v13, 0x80000000, v13
	v_lshl_add_u32 v12, v12, 23, v14
	v_or3_b32 v12, v13, v12, v11
.LBB43_1168:
	s_or_b64 exec, exec, s[6:7]
	s_nop 0
	v_mfma_f32_16x16x4f32 a[0:3], v10, v12, a[0:3]
	s_movk_i32 s4, 0xff
	v_and_b32_sdwa v11, v6, s4 dst_sel:DWORD dst_unused:UNUSED_PAD src0_sel:WORD_1 src1_sel:DWORD
	s_movk_i32 s4, 0x7f
	v_cmp_lt_i16_e32 vcc, s4, v11
	s_mov_b64 s[4:5], 0
                                        ; implicit-def: $sgpr10
	s_and_saveexec_b64 s[6:7], vcc
	s_xor_b64 s[6:7], exec, s[6:7]
	s_cbranch_execnz .LBB43_3217
; %bb.1169:
	s_or_saveexec_b64 s[6:7], s[6:7]
	v_mov_b32_e32 v10, s10
	s_xor_b64 exec, exec, s[6:7]
	s_cbranch_execnz .LBB43_3220
.LBB43_1170:
	s_or_b64 exec, exec, s[6:7]
	s_and_saveexec_b64 s[6:7], s[4:5]
	s_cbranch_execz .LBB43_1172
.LBB43_1171:
	v_bfe_u32 v10, v6, 16, 3
	v_ffbh_u32_e32 v13, v10
	v_min_u32_e32 v13, 32, v13
	v_lshrrev_b32_e32 v11, 19, v6
	v_subrev_u32_e32 v14, 28, v13
	v_and_b32_e32 v11, 15, v11
	v_lshlrev_b32_sdwa v14, v14, v6 dst_sel:DWORD dst_unused:UNUSED_PAD src0_sel:DWORD src1_sel:WORD_1
	v_bfe_u32 v12, v6, 19, 4
	v_sub_u32_e32 v13, 29, v13
	v_and_b32_e32 v14, 7, v14
	v_cmp_eq_u16_e32 vcc, 0, v11
	v_cndmask_b32_e32 v10, v10, v14, vcc
	v_cndmask_b32_e32 v11, v12, v13, vcc
	v_lshlrev_b32_e32 v12, 8, v6
	v_mov_b32_e32 v13, 0x3b800000
	v_lshlrev_b32_e32 v10, 20, v10
	v_and_b32_e32 v12, 0x80000000, v12
	v_lshl_add_u32 v11, v11, 23, v13
	v_or3_b32 v10, v12, v11, v10
.LBB43_1172:
	s_or_b64 exec, exec, s[6:7]
	s_movk_i32 s4, 0xff
	v_and_b32_sdwa v11, v2, s4 dst_sel:DWORD dst_unused:UNUSED_PAD src0_sel:WORD_1 src1_sel:DWORD
	s_movk_i32 s4, 0x7f
	v_cmp_lt_i16_e32 vcc, s4, v11
	s_mov_b64 s[4:5], 0
                                        ; implicit-def: $sgpr10
	s_and_saveexec_b64 s[6:7], vcc
	s_xor_b64 s[6:7], exec, s[6:7]
	s_cbranch_execnz .LBB43_3221
; %bb.1173:
	s_or_saveexec_b64 s[6:7], s[6:7]
	v_mov_b32_e32 v12, s10
	s_xor_b64 exec, exec, s[6:7]
	s_cbranch_execnz .LBB43_3224
.LBB43_1174:
	s_or_b64 exec, exec, s[6:7]
	s_and_saveexec_b64 s[6:7], s[4:5]
	s_cbranch_execz .LBB43_1176
.LBB43_1175:
	v_bfe_u32 v11, v2, 16, 3
	v_ffbh_u32_e32 v14, v11
	v_min_u32_e32 v14, 32, v14
	v_lshrrev_b32_e32 v12, 19, v2
	v_subrev_u32_e32 v15, 28, v14
	v_and_b32_e32 v12, 15, v12
	v_lshlrev_b32_sdwa v15, v15, v2 dst_sel:DWORD dst_unused:UNUSED_PAD src0_sel:DWORD src1_sel:WORD_1
	v_bfe_u32 v13, v2, 19, 4
	v_sub_u32_e32 v14, 29, v14
	v_and_b32_e32 v15, 7, v15
	v_cmp_eq_u16_e32 vcc, 0, v12
	v_cndmask_b32_e32 v11, v11, v15, vcc
	v_cndmask_b32_e32 v12, v13, v14, vcc
	v_lshlrev_b32_e32 v13, 8, v2
	v_mov_b32_e32 v14, 0x3b800000
	v_lshlrev_b32_e32 v11, 20, v11
	v_and_b32_e32 v13, 0x80000000, v13
	v_lshl_add_u32 v12, v12, 23, v14
	v_or3_b32 v12, v13, v12, v11
.LBB43_1176:
	s_or_b64 exec, exec, s[6:7]
	s_nop 0
	v_mfma_f32_16x16x4f32 a[0:3], v10, v12, a[0:3]
	s_movk_i32 s4, 0x7f
	v_cmp_gt_i16_sdwa s[6:7], v6, s4 src0_sel:BYTE_3 src1_sel:DWORD
	s_mov_b64 s[4:5], 0
                                        ; implicit-def: $sgpr10
	s_and_saveexec_b64 s[8:9], s[6:7]
	s_xor_b64 s[6:7], exec, s[8:9]
	s_cbranch_execnz .LBB43_3225
; %bb.1177:
	s_or_saveexec_b64 s[6:7], s[6:7]
	v_mov_b32_e32 v10, s10
	s_xor_b64 exec, exec, s[6:7]
	s_cbranch_execnz .LBB43_3228
.LBB43_1178:
	s_or_b64 exec, exec, s[6:7]
	s_and_saveexec_b64 s[6:7], s[4:5]
	s_cbranch_execz .LBB43_1180
.LBB43_1179:
	v_bfe_u32 v10, v6, 24, 3
	v_ffbh_u32_e32 v14, v10
	v_min_u32_e32 v14, 32, v14
	v_lshrrev_b32_e32 v12, 27, v6
	v_subrev_u32_e32 v15, 28, v14
	v_and_b32_e32 v11, 0x80000000, v6
	v_and_b32_e32 v12, 15, v12
	v_bfe_u32 v13, v6, 27, 4
	v_lshlrev_b32_sdwa v6, v15, v6 dst_sel:DWORD dst_unused:UNUSED_PAD src0_sel:DWORD src1_sel:BYTE_3
	v_sub_u32_e32 v14, 29, v14
	v_and_b32_e32 v6, 7, v6
	v_cmp_eq_u16_e32 vcc, 0, v12
	v_cndmask_b32_e32 v6, v10, v6, vcc
	v_cndmask_b32_e32 v10, v13, v14, vcc
	v_mov_b32_e32 v12, 0x3b800000
	v_lshlrev_b32_e32 v6, 20, v6
	v_lshl_add_u32 v10, v10, 23, v12
	v_or3_b32 v10, v11, v10, v6
.LBB43_1180:
	s_or_b64 exec, exec, s[6:7]
	s_movk_i32 s4, 0x7f
	v_cmp_gt_i16_sdwa s[6:7], v2, s4 src0_sel:BYTE_3 src1_sel:DWORD
	s_mov_b64 s[4:5], 0
                                        ; implicit-def: $sgpr10
	s_and_saveexec_b64 s[8:9], s[6:7]
	s_xor_b64 s[6:7], exec, s[8:9]
	s_cbranch_execnz .LBB43_3229
; %bb.1181:
	s_or_saveexec_b64 s[6:7], s[6:7]
	v_mov_b32_e32 v6, s10
	s_xor_b64 exec, exec, s[6:7]
	s_cbranch_execnz .LBB43_3232
.LBB43_1182:
	s_or_b64 exec, exec, s[6:7]
	s_and_saveexec_b64 s[6:7], s[4:5]
	s_cbranch_execz .LBB43_1184
.LBB43_1183:
	v_bfe_u32 v6, v2, 24, 3
	v_ffbh_u32_e32 v14, v6
	v_min_u32_e32 v14, 32, v14
	v_lshrrev_b32_e32 v12, 27, v2
	v_subrev_u32_e32 v15, 28, v14
	v_and_b32_e32 v11, 0x80000000, v2
	v_and_b32_e32 v12, 15, v12
	v_bfe_u32 v13, v2, 27, 4
	v_lshlrev_b32_sdwa v2, v15, v2 dst_sel:DWORD dst_unused:UNUSED_PAD src0_sel:DWORD src1_sel:BYTE_3
	v_sub_u32_e32 v14, 29, v14
	v_and_b32_e32 v2, 7, v2
	v_cmp_eq_u16_e32 vcc, 0, v12
	v_cndmask_b32_e32 v2, v6, v2, vcc
	v_cndmask_b32_e32 v6, v13, v14, vcc
	v_mov_b32_e32 v12, 0x3b800000
	v_lshlrev_b32_e32 v2, 20, v2
	v_lshl_add_u32 v6, v6, 23, v12
	v_or3_b32 v6, v11, v6, v2
.LBB43_1184:
	s_or_b64 exec, exec, s[6:7]
	s_nop 0
	v_mfma_f32_16x16x4f32 a[0:3], v10, v6, a[0:3]
	s_movk_i32 s4, 0x7f
	v_cmp_gt_i16_sdwa s[6:7], v7, s4 src0_sel:BYTE_0 src1_sel:DWORD
	s_mov_b64 s[4:5], 0
                                        ; implicit-def: $sgpr10
	s_and_saveexec_b64 s[8:9], s[6:7]
	s_xor_b64 s[6:7], exec, s[8:9]
	s_cbranch_execnz .LBB43_3233
; %bb.1185:
	s_or_saveexec_b64 s[6:7], s[6:7]
	v_mov_b32_e32 v2, s10
	s_xor_b64 exec, exec, s[6:7]
	s_cbranch_execnz .LBB43_3236
.LBB43_1186:
	s_or_b64 exec, exec, s[6:7]
	s_and_saveexec_b64 s[6:7], s[4:5]
	s_cbranch_execz .LBB43_1188
.LBB43_1187:
	v_and_b32_e32 v2, 7, v7
	v_ffbh_u32_e32 v10, v2
	v_min_u32_e32 v10, 32, v10
	v_lshrrev_b16_e32 v6, 3, v7
	v_subrev_u32_e32 v11, 28, v10
	v_and_b32_e32 v6, 15, v6
	v_lshlrev_b32_e32 v11, v11, v7
	v_sub_u32_e32 v10, 29, v10
	v_and_b32_e32 v11, 7, v11
	v_cmp_eq_u16_e32 vcc, 0, v6
	v_cndmask_b32_e32 v2, v2, v11, vcc
	v_cndmask_b32_e32 v6, v6, v10, vcc
	v_lshlrev_b32_e32 v10, 24, v7
	v_mov_b32_e32 v11, 0x3b800000
	v_lshlrev_b32_e32 v2, 20, v2
	v_and_b32_e32 v10, 0x80000000, v10
	v_lshl_add_u32 v6, v6, 23, v11
	v_or3_b32 v2, v10, v6, v2
.LBB43_1188:
	s_or_b64 exec, exec, s[6:7]
	s_movk_i32 s4, 0x7f
	v_cmp_gt_i16_sdwa s[6:7], v3, s4 src0_sel:BYTE_0 src1_sel:DWORD
	s_mov_b64 s[4:5], 0
                                        ; implicit-def: $sgpr10
	s_and_saveexec_b64 s[8:9], s[6:7]
	s_xor_b64 s[6:7], exec, s[8:9]
	s_cbranch_execnz .LBB43_3237
; %bb.1189:
	s_or_saveexec_b64 s[6:7], s[6:7]
	v_mov_b32_e32 v6, s10
	s_xor_b64 exec, exec, s[6:7]
	s_cbranch_execnz .LBB43_3240
.LBB43_1190:
	s_or_b64 exec, exec, s[6:7]
	s_and_saveexec_b64 s[6:7], s[4:5]
	s_cbranch_execz .LBB43_1192
.LBB43_1191:
	v_and_b32_e32 v6, 7, v3
	v_ffbh_u32_e32 v11, v6
	v_min_u32_e32 v11, 32, v11
	v_lshrrev_b16_e32 v10, 3, v3
	v_subrev_u32_e32 v12, 28, v11
	v_and_b32_e32 v10, 15, v10
	v_lshlrev_b32_e32 v12, v12, v3
	v_sub_u32_e32 v11, 29, v11
	v_and_b32_e32 v12, 7, v12
	v_cmp_eq_u16_e32 vcc, 0, v10
	v_cndmask_b32_e32 v6, v6, v12, vcc
	v_cndmask_b32_e32 v10, v10, v11, vcc
	v_lshlrev_b32_e32 v11, 24, v3
	v_mov_b32_e32 v12, 0x3b800000
	v_lshlrev_b32_e32 v6, 20, v6
	v_and_b32_e32 v11, 0x80000000, v11
	v_lshl_add_u32 v10, v10, 23, v12
	v_or3_b32 v6, v11, v10, v6
.LBB43_1192:
	s_or_b64 exec, exec, s[6:7]
	s_nop 0
	v_mfma_f32_16x16x4f32 a[0:3], v2, v6, a[0:3]
	v_lshrrev_b32_e32 v6, 8, v7
	s_movk_i32 s4, 0x7f
	v_cmp_gt_i16_sdwa s[6:7], v6, s4 src0_sel:BYTE_0 src1_sel:DWORD
	s_mov_b64 s[4:5], 0
                                        ; implicit-def: $sgpr10
	s_and_saveexec_b64 s[8:9], s[6:7]
	s_xor_b64 s[6:7], exec, s[8:9]
	s_cbranch_execnz .LBB43_3241
; %bb.1193:
	s_or_saveexec_b64 s[6:7], s[6:7]
	v_mov_b32_e32 v2, s10
	s_xor_b64 exec, exec, s[6:7]
	s_cbranch_execnz .LBB43_3244
.LBB43_1194:
	s_or_b64 exec, exec, s[6:7]
	s_and_saveexec_b64 s[6:7], s[4:5]
	s_cbranch_execz .LBB43_1196
.LBB43_1195:
	v_bfe_u32 v2, v7, 8, 3
	v_ffbh_u32_e32 v11, v2
	v_min_u32_e32 v11, 32, v11
	v_lshrrev_b16_e32 v10, 3, v6
	v_subrev_u32_e32 v12, 28, v11
	v_and_b32_e32 v10, 15, v10
	v_lshlrev_b32_e32 v6, v12, v6
	v_sub_u32_e32 v11, 29, v11
	v_and_b32_e32 v6, 7, v6
	v_cmp_eq_u16_e32 vcc, 0, v10
	v_cndmask_b32_e32 v2, v2, v6, vcc
	v_cndmask_b32_e32 v6, v10, v11, vcc
	v_lshlrev_b32_e32 v10, 16, v7
	v_mov_b32_e32 v11, 0x3b800000
	v_lshlrev_b32_e32 v2, 20, v2
	v_and_b32_e32 v10, 0x80000000, v10
	v_lshl_add_u32 v6, v6, 23, v11
	v_or3_b32 v2, v10, v6, v2
.LBB43_1196:
	s_or_b64 exec, exec, s[6:7]
	v_lshrrev_b32_e32 v6, 8, v3
	s_movk_i32 s4, 0x7f
	v_cmp_gt_i16_sdwa s[6:7], v6, s4 src0_sel:BYTE_0 src1_sel:DWORD
	s_mov_b64 s[4:5], 0
                                        ; implicit-def: $sgpr10
	s_and_saveexec_b64 s[8:9], s[6:7]
	s_xor_b64 s[6:7], exec, s[8:9]
	s_cbranch_execnz .LBB43_3245
; %bb.1197:
	s_or_saveexec_b64 s[6:7], s[6:7]
	v_mov_b32_e32 v10, s10
	s_xor_b64 exec, exec, s[6:7]
	s_cbranch_execnz .LBB43_3248
.LBB43_1198:
	s_or_b64 exec, exec, s[6:7]
	s_and_saveexec_b64 s[6:7], s[4:5]
	s_cbranch_execz .LBB43_1200
.LBB43_1199:
	v_bfe_u32 v10, v3, 8, 3
	v_ffbh_u32_e32 v12, v10
	v_min_u32_e32 v12, 32, v12
	v_lshrrev_b16_e32 v11, 3, v6
	v_subrev_u32_e32 v13, 28, v12
	v_and_b32_e32 v11, 15, v11
	v_lshlrev_b32_e32 v6, v13, v6
	v_sub_u32_e32 v12, 29, v12
	v_and_b32_e32 v6, 7, v6
	v_cmp_eq_u16_e32 vcc, 0, v11
	v_cndmask_b32_e32 v6, v10, v6, vcc
	v_cndmask_b32_e32 v10, v11, v12, vcc
	v_lshlrev_b32_e32 v11, 16, v3
	v_mov_b32_e32 v12, 0x3b800000
	v_lshlrev_b32_e32 v6, 20, v6
	v_and_b32_e32 v11, 0x80000000, v11
	v_lshl_add_u32 v10, v10, 23, v12
	v_or3_b32 v10, v11, v10, v6
.LBB43_1200:
	s_or_b64 exec, exec, s[6:7]
	s_nop 0
	v_mfma_f32_16x16x4f32 a[0:3], v2, v10, a[0:3]
	s_movk_i32 s4, 0xff
	v_and_b32_sdwa v6, v7, s4 dst_sel:DWORD dst_unused:UNUSED_PAD src0_sel:WORD_1 src1_sel:DWORD
	s_movk_i32 s4, 0x7f
	v_cmp_lt_i16_e32 vcc, s4, v6
	s_mov_b64 s[4:5], 0
                                        ; implicit-def: $sgpr10
	s_and_saveexec_b64 s[6:7], vcc
	s_xor_b64 s[6:7], exec, s[6:7]
	s_cbranch_execnz .LBB43_3249
; %bb.1201:
	s_or_saveexec_b64 s[6:7], s[6:7]
	v_mov_b32_e32 v2, s10
	s_xor_b64 exec, exec, s[6:7]
	s_cbranch_execnz .LBB43_3252
.LBB43_1202:
	s_or_b64 exec, exec, s[6:7]
	s_and_saveexec_b64 s[6:7], s[4:5]
	s_cbranch_execz .LBB43_1204
.LBB43_1203:
	v_bfe_u32 v2, v7, 16, 3
	v_ffbh_u32_e32 v11, v2
	v_min_u32_e32 v11, 32, v11
	v_lshrrev_b32_e32 v6, 19, v7
	v_subrev_u32_e32 v12, 28, v11
	v_and_b32_e32 v6, 15, v6
	v_lshlrev_b32_sdwa v12, v12, v7 dst_sel:DWORD dst_unused:UNUSED_PAD src0_sel:DWORD src1_sel:WORD_1
	v_bfe_u32 v10, v7, 19, 4
	v_sub_u32_e32 v11, 29, v11
	v_and_b32_e32 v12, 7, v12
	v_cmp_eq_u16_e32 vcc, 0, v6
	v_cndmask_b32_e32 v2, v2, v12, vcc
	v_cndmask_b32_e32 v6, v10, v11, vcc
	v_lshlrev_b32_e32 v10, 8, v7
	v_mov_b32_e32 v11, 0x3b800000
	v_lshlrev_b32_e32 v2, 20, v2
	v_and_b32_e32 v10, 0x80000000, v10
	v_lshl_add_u32 v6, v6, 23, v11
	v_or3_b32 v2, v10, v6, v2
.LBB43_1204:
	s_or_b64 exec, exec, s[6:7]
	s_movk_i32 s4, 0xff
	v_and_b32_sdwa v6, v3, s4 dst_sel:DWORD dst_unused:UNUSED_PAD src0_sel:WORD_1 src1_sel:DWORD
	s_movk_i32 s4, 0x7f
	v_cmp_lt_i16_e32 vcc, s4, v6
	s_mov_b64 s[4:5], 0
                                        ; implicit-def: $sgpr10
	s_and_saveexec_b64 s[6:7], vcc
	s_xor_b64 s[6:7], exec, s[6:7]
	s_cbranch_execnz .LBB43_3253
; %bb.1205:
	s_or_saveexec_b64 s[6:7], s[6:7]
	v_mov_b32_e32 v10, s10
	s_xor_b64 exec, exec, s[6:7]
	s_cbranch_execnz .LBB43_3256
.LBB43_1206:
	s_or_b64 exec, exec, s[6:7]
	s_and_saveexec_b64 s[6:7], s[4:5]
	s_cbranch_execz .LBB43_1208
.LBB43_1207:
	v_bfe_u32 v6, v3, 16, 3
	v_ffbh_u32_e32 v12, v6
	v_min_u32_e32 v12, 32, v12
	v_lshrrev_b32_e32 v10, 19, v3
	v_subrev_u32_e32 v13, 28, v12
	v_and_b32_e32 v10, 15, v10
	v_lshlrev_b32_sdwa v13, v13, v3 dst_sel:DWORD dst_unused:UNUSED_PAD src0_sel:DWORD src1_sel:WORD_1
	v_bfe_u32 v11, v3, 19, 4
	v_sub_u32_e32 v12, 29, v12
	v_and_b32_e32 v13, 7, v13
	v_cmp_eq_u16_e32 vcc, 0, v10
	v_cndmask_b32_e32 v6, v6, v13, vcc
	v_cndmask_b32_e32 v10, v11, v12, vcc
	v_lshlrev_b32_e32 v11, 8, v3
	v_mov_b32_e32 v12, 0x3b800000
	v_lshlrev_b32_e32 v6, 20, v6
	v_and_b32_e32 v11, 0x80000000, v11
	v_lshl_add_u32 v10, v10, 23, v12
	v_or3_b32 v10, v11, v10, v6
.LBB43_1208:
	s_or_b64 exec, exec, s[6:7]
	s_nop 0
	v_mfma_f32_16x16x4f32 a[0:3], v2, v10, a[0:3]
	s_movk_i32 s4, 0x7f
	v_cmp_gt_i16_sdwa s[6:7], v7, s4 src0_sel:BYTE_3 src1_sel:DWORD
	s_mov_b64 s[4:5], 0
                                        ; implicit-def: $sgpr10
	s_and_saveexec_b64 s[8:9], s[6:7]
	s_xor_b64 s[6:7], exec, s[8:9]
	s_cbranch_execnz .LBB43_3257
; %bb.1209:
	s_or_saveexec_b64 s[6:7], s[6:7]
	v_mov_b32_e32 v2, s10
	s_xor_b64 exec, exec, s[6:7]
	s_cbranch_execnz .LBB43_3260
.LBB43_1210:
	s_or_b64 exec, exec, s[6:7]
	s_and_saveexec_b64 s[6:7], s[4:5]
	s_cbranch_execz .LBB43_1212
.LBB43_1211:
	v_bfe_u32 v2, v7, 24, 3
	v_ffbh_u32_e32 v12, v2
	v_min_u32_e32 v12, 32, v12
	v_lshrrev_b32_e32 v10, 27, v7
	v_subrev_u32_e32 v13, 28, v12
	v_and_b32_e32 v6, 0x80000000, v7
	v_and_b32_e32 v10, 15, v10
	v_bfe_u32 v11, v7, 27, 4
	v_lshlrev_b32_sdwa v7, v13, v7 dst_sel:DWORD dst_unused:UNUSED_PAD src0_sel:DWORD src1_sel:BYTE_3
	v_sub_u32_e32 v12, 29, v12
	v_and_b32_e32 v7, 7, v7
	v_cmp_eq_u16_e32 vcc, 0, v10
	v_cndmask_b32_e32 v2, v2, v7, vcc
	v_cndmask_b32_e32 v7, v11, v12, vcc
	v_mov_b32_e32 v10, 0x3b800000
	v_lshlrev_b32_e32 v2, 20, v2
	v_lshl_add_u32 v7, v7, 23, v10
	v_or3_b32 v2, v6, v7, v2
.LBB43_1212:
	s_or_b64 exec, exec, s[6:7]
	s_movk_i32 s4, 0x7f
	v_cmp_gt_i16_sdwa s[6:7], v3, s4 src0_sel:BYTE_3 src1_sel:DWORD
	s_mov_b64 s[4:5], 0
                                        ; implicit-def: $sgpr10
	s_and_saveexec_b64 s[8:9], s[6:7]
	s_xor_b64 s[6:7], exec, s[8:9]
	s_cbranch_execnz .LBB43_3261
; %bb.1213:
	s_or_saveexec_b64 s[6:7], s[6:7]
	v_mov_b32_e32 v6, s10
	s_xor_b64 exec, exec, s[6:7]
	s_cbranch_execnz .LBB43_3264
.LBB43_1214:
	s_or_b64 exec, exec, s[6:7]
	s_and_saveexec_b64 s[6:7], s[4:5]
	s_cbranch_execz .LBB43_1216
.LBB43_1215:
	v_bfe_u32 v6, v3, 24, 3
	v_ffbh_u32_e32 v12, v6
	v_min_u32_e32 v12, 32, v12
	v_lshrrev_b32_e32 v10, 27, v3
	v_subrev_u32_e32 v13, 28, v12
	v_and_b32_e32 v7, 0x80000000, v3
	v_and_b32_e32 v10, 15, v10
	v_bfe_u32 v11, v3, 27, 4
	v_lshlrev_b32_sdwa v3, v13, v3 dst_sel:DWORD dst_unused:UNUSED_PAD src0_sel:DWORD src1_sel:BYTE_3
	v_sub_u32_e32 v12, 29, v12
	v_and_b32_e32 v3, 7, v3
	v_cmp_eq_u16_e32 vcc, 0, v10
	v_cndmask_b32_e32 v3, v6, v3, vcc
	v_cndmask_b32_e32 v6, v11, v12, vcc
	v_mov_b32_e32 v10, 0x3b800000
	v_lshlrev_b32_e32 v3, 20, v3
	v_lshl_add_u32 v6, v6, 23, v10
	v_or3_b32 v6, v7, v6, v3
.LBB43_1216:
	s_or_b64 exec, exec, s[6:7]
	s_nop 0
	v_mfma_f32_16x16x4f32 a[0:3], v2, v6, a[0:3]
	s_movk_i32 s4, 0x7f
	v_cmp_gt_i16_sdwa s[6:7], v8, s4 src0_sel:BYTE_0 src1_sel:DWORD
	s_mov_b64 s[4:5], 0
                                        ; implicit-def: $sgpr10
	s_and_saveexec_b64 s[8:9], s[6:7]
	s_xor_b64 s[6:7], exec, s[8:9]
	s_cbranch_execnz .LBB43_3265
; %bb.1217:
	s_or_saveexec_b64 s[6:7], s[6:7]
	v_mov_b32_e32 v2, s10
	s_xor_b64 exec, exec, s[6:7]
	s_cbranch_execnz .LBB43_3268
.LBB43_1218:
	s_or_b64 exec, exec, s[6:7]
	s_and_saveexec_b64 s[6:7], s[4:5]
	s_cbranch_execz .LBB43_1220
.LBB43_1219:
	v_and_b32_e32 v2, 7, v8
	v_ffbh_u32_e32 v6, v2
	v_min_u32_e32 v6, 32, v6
	v_lshrrev_b16_e32 v3, 3, v8
	v_subrev_u32_e32 v7, 28, v6
	v_and_b32_e32 v3, 15, v3
	v_lshlrev_b32_e32 v7, v7, v8
	v_sub_u32_e32 v6, 29, v6
	v_and_b32_e32 v7, 7, v7
	v_cmp_eq_u16_e32 vcc, 0, v3
	v_cndmask_b32_e32 v2, v2, v7, vcc
	v_cndmask_b32_e32 v3, v3, v6, vcc
	v_lshlrev_b32_e32 v6, 24, v8
	v_mov_b32_e32 v7, 0x3b800000
	v_lshlrev_b32_e32 v2, 20, v2
	v_and_b32_e32 v6, 0x80000000, v6
	v_lshl_add_u32 v3, v3, 23, v7
	v_or3_b32 v2, v6, v3, v2
.LBB43_1220:
	s_or_b64 exec, exec, s[6:7]
	s_movk_i32 s4, 0x7f
	v_cmp_gt_i16_sdwa s[6:7], v4, s4 src0_sel:BYTE_0 src1_sel:DWORD
	s_mov_b64 s[4:5], 0
                                        ; implicit-def: $sgpr10
	s_and_saveexec_b64 s[8:9], s[6:7]
	s_xor_b64 s[6:7], exec, s[8:9]
	s_cbranch_execnz .LBB43_3269
; %bb.1221:
	s_or_saveexec_b64 s[6:7], s[6:7]
	v_mov_b32_e32 v3, s10
	s_xor_b64 exec, exec, s[6:7]
	s_cbranch_execnz .LBB43_3272
.LBB43_1222:
	s_or_b64 exec, exec, s[6:7]
	s_and_saveexec_b64 s[6:7], s[4:5]
	s_cbranch_execz .LBB43_1224
.LBB43_1223:
	v_and_b32_e32 v3, 7, v4
	v_ffbh_u32_e32 v7, v3
	v_min_u32_e32 v7, 32, v7
	v_lshrrev_b16_e32 v6, 3, v4
	v_subrev_u32_e32 v10, 28, v7
	v_and_b32_e32 v6, 15, v6
	v_lshlrev_b32_e32 v10, v10, v4
	v_sub_u32_e32 v7, 29, v7
	v_and_b32_e32 v10, 7, v10
	v_cmp_eq_u16_e32 vcc, 0, v6
	v_cndmask_b32_e32 v3, v3, v10, vcc
	v_cndmask_b32_e32 v6, v6, v7, vcc
	v_lshlrev_b32_e32 v7, 24, v4
	v_mov_b32_e32 v10, 0x3b800000
	v_lshlrev_b32_e32 v3, 20, v3
	v_and_b32_e32 v7, 0x80000000, v7
	v_lshl_add_u32 v6, v6, 23, v10
	v_or3_b32 v3, v7, v6, v3
.LBB43_1224:
	s_or_b64 exec, exec, s[6:7]
	s_nop 0
	v_mfma_f32_16x16x4f32 a[0:3], v2, v3, a[0:3]
	v_lshrrev_b32_e32 v3, 8, v8
	s_movk_i32 s4, 0x7f
	v_cmp_gt_i16_sdwa s[6:7], v3, s4 src0_sel:BYTE_0 src1_sel:DWORD
	s_mov_b64 s[4:5], 0
                                        ; implicit-def: $sgpr10
	s_and_saveexec_b64 s[8:9], s[6:7]
	s_xor_b64 s[6:7], exec, s[8:9]
	s_cbranch_execnz .LBB43_3273
; %bb.1225:
	s_or_saveexec_b64 s[6:7], s[6:7]
	v_mov_b32_e32 v2, s10
	s_xor_b64 exec, exec, s[6:7]
	s_cbranch_execnz .LBB43_3276
.LBB43_1226:
	s_or_b64 exec, exec, s[6:7]
	s_and_saveexec_b64 s[6:7], s[4:5]
	s_cbranch_execz .LBB43_1228
.LBB43_1227:
	v_bfe_u32 v2, v8, 8, 3
	v_ffbh_u32_e32 v7, v2
	v_min_u32_e32 v7, 32, v7
	v_lshrrev_b16_e32 v6, 3, v3
	v_subrev_u32_e32 v10, 28, v7
	v_and_b32_e32 v6, 15, v6
	v_lshlrev_b32_e32 v3, v10, v3
	v_sub_u32_e32 v7, 29, v7
	v_and_b32_e32 v3, 7, v3
	v_cmp_eq_u16_e32 vcc, 0, v6
	v_cndmask_b32_e32 v2, v2, v3, vcc
	v_cndmask_b32_e32 v3, v6, v7, vcc
	v_lshlrev_b32_e32 v6, 16, v8
	v_mov_b32_e32 v7, 0x3b800000
	v_lshlrev_b32_e32 v2, 20, v2
	v_and_b32_e32 v6, 0x80000000, v6
	v_lshl_add_u32 v3, v3, 23, v7
	v_or3_b32 v2, v6, v3, v2
.LBB43_1228:
	s_or_b64 exec, exec, s[6:7]
	v_lshrrev_b32_e32 v3, 8, v4
	s_movk_i32 s4, 0x7f
	v_cmp_gt_i16_sdwa s[6:7], v3, s4 src0_sel:BYTE_0 src1_sel:DWORD
	s_mov_b64 s[4:5], 0
                                        ; implicit-def: $sgpr10
	s_and_saveexec_b64 s[8:9], s[6:7]
	s_xor_b64 s[6:7], exec, s[8:9]
	s_cbranch_execnz .LBB43_3277
; %bb.1229:
	s_or_saveexec_b64 s[6:7], s[6:7]
	v_mov_b32_e32 v6, s10
	s_xor_b64 exec, exec, s[6:7]
	s_cbranch_execnz .LBB43_3280
.LBB43_1230:
	s_or_b64 exec, exec, s[6:7]
	s_and_saveexec_b64 s[6:7], s[4:5]
	s_cbranch_execz .LBB43_1232
.LBB43_1231:
	v_bfe_u32 v6, v4, 8, 3
	v_ffbh_u32_e32 v10, v6
	v_min_u32_e32 v10, 32, v10
	v_lshrrev_b16_e32 v7, 3, v3
	v_subrev_u32_e32 v11, 28, v10
	v_and_b32_e32 v7, 15, v7
	v_lshlrev_b32_e32 v3, v11, v3
	v_sub_u32_e32 v10, 29, v10
	v_and_b32_e32 v3, 7, v3
	v_cmp_eq_u16_e32 vcc, 0, v7
	v_cndmask_b32_e32 v3, v6, v3, vcc
	v_cndmask_b32_e32 v6, v7, v10, vcc
	v_lshlrev_b32_e32 v7, 16, v4
	v_mov_b32_e32 v10, 0x3b800000
	v_lshlrev_b32_e32 v3, 20, v3
	v_and_b32_e32 v7, 0x80000000, v7
	v_lshl_add_u32 v6, v6, 23, v10
	v_or3_b32 v6, v7, v6, v3
.LBB43_1232:
	s_or_b64 exec, exec, s[6:7]
	s_nop 0
	v_mfma_f32_16x16x4f32 a[0:3], v2, v6, a[0:3]
	s_movk_i32 s4, 0xff
	v_and_b32_sdwa v3, v8, s4 dst_sel:DWORD dst_unused:UNUSED_PAD src0_sel:WORD_1 src1_sel:DWORD
	s_movk_i32 s4, 0x7f
	v_cmp_lt_i16_e32 vcc, s4, v3
	s_mov_b64 s[4:5], 0
                                        ; implicit-def: $sgpr10
	s_and_saveexec_b64 s[6:7], vcc
	s_xor_b64 s[6:7], exec, s[6:7]
	s_cbranch_execnz .LBB43_3281
; %bb.1233:
	s_or_saveexec_b64 s[6:7], s[6:7]
	v_mov_b32_e32 v2, s10
	s_xor_b64 exec, exec, s[6:7]
	s_cbranch_execnz .LBB43_3284
.LBB43_1234:
	s_or_b64 exec, exec, s[6:7]
	s_and_saveexec_b64 s[6:7], s[4:5]
	s_cbranch_execz .LBB43_1236
.LBB43_1235:
	v_bfe_u32 v2, v8, 16, 3
	v_ffbh_u32_e32 v7, v2
	v_min_u32_e32 v7, 32, v7
	v_lshrrev_b32_e32 v3, 19, v8
	v_subrev_u32_e32 v10, 28, v7
	v_and_b32_e32 v3, 15, v3
	v_lshlrev_b32_sdwa v10, v10, v8 dst_sel:DWORD dst_unused:UNUSED_PAD src0_sel:DWORD src1_sel:WORD_1
	v_bfe_u32 v6, v8, 19, 4
	v_sub_u32_e32 v7, 29, v7
	v_and_b32_e32 v10, 7, v10
	v_cmp_eq_u16_e32 vcc, 0, v3
	v_cndmask_b32_e32 v2, v2, v10, vcc
	v_cndmask_b32_e32 v3, v6, v7, vcc
	v_lshlrev_b32_e32 v6, 8, v8
	v_mov_b32_e32 v7, 0x3b800000
	v_lshlrev_b32_e32 v2, 20, v2
	v_and_b32_e32 v6, 0x80000000, v6
	v_lshl_add_u32 v3, v3, 23, v7
	v_or3_b32 v2, v6, v3, v2
.LBB43_1236:
	s_or_b64 exec, exec, s[6:7]
	s_movk_i32 s4, 0xff
	v_and_b32_sdwa v3, v4, s4 dst_sel:DWORD dst_unused:UNUSED_PAD src0_sel:WORD_1 src1_sel:DWORD
	s_movk_i32 s4, 0x7f
	v_cmp_lt_i16_e32 vcc, s4, v3
	s_mov_b64 s[4:5], 0
                                        ; implicit-def: $sgpr10
	s_and_saveexec_b64 s[6:7], vcc
	s_xor_b64 s[6:7], exec, s[6:7]
	s_cbranch_execnz .LBB43_3285
; %bb.1237:
	s_or_saveexec_b64 s[6:7], s[6:7]
	v_mov_b32_e32 v6, s10
	s_xor_b64 exec, exec, s[6:7]
	s_cbranch_execnz .LBB43_3288
.LBB43_1238:
	s_or_b64 exec, exec, s[6:7]
	s_and_saveexec_b64 s[6:7], s[4:5]
	s_cbranch_execz .LBB43_1240
.LBB43_1239:
	v_bfe_u32 v3, v4, 16, 3
	v_ffbh_u32_e32 v10, v3
	v_min_u32_e32 v10, 32, v10
	v_lshrrev_b32_e32 v6, 19, v4
	v_subrev_u32_e32 v11, 28, v10
	v_and_b32_e32 v6, 15, v6
	v_lshlrev_b32_sdwa v11, v11, v4 dst_sel:DWORD dst_unused:UNUSED_PAD src0_sel:DWORD src1_sel:WORD_1
	v_bfe_u32 v7, v4, 19, 4
	v_sub_u32_e32 v10, 29, v10
	v_and_b32_e32 v11, 7, v11
	v_cmp_eq_u16_e32 vcc, 0, v6
	v_cndmask_b32_e32 v3, v3, v11, vcc
	v_cndmask_b32_e32 v6, v7, v10, vcc
	v_lshlrev_b32_e32 v7, 8, v4
	v_mov_b32_e32 v10, 0x3b800000
	v_lshlrev_b32_e32 v3, 20, v3
	v_and_b32_e32 v7, 0x80000000, v7
	v_lshl_add_u32 v6, v6, 23, v10
	v_or3_b32 v6, v7, v6, v3
.LBB43_1240:
	s_or_b64 exec, exec, s[6:7]
	s_nop 0
	v_mfma_f32_16x16x4f32 a[0:3], v2, v6, a[0:3]
	s_movk_i32 s4, 0x7f
	v_cmp_gt_i16_sdwa s[6:7], v8, s4 src0_sel:BYTE_3 src1_sel:DWORD
	s_mov_b64 s[4:5], 0
                                        ; implicit-def: $sgpr10
	s_and_saveexec_b64 s[8:9], s[6:7]
	s_xor_b64 s[6:7], exec, s[8:9]
	s_cbranch_execnz .LBB43_3289
; %bb.1241:
	s_or_saveexec_b64 s[6:7], s[6:7]
	v_mov_b32_e32 v2, s10
	s_xor_b64 exec, exec, s[6:7]
	s_cbranch_execnz .LBB43_3292
.LBB43_1242:
	s_or_b64 exec, exec, s[6:7]
	s_and_saveexec_b64 s[6:7], s[4:5]
	s_cbranch_execz .LBB43_1244
.LBB43_1243:
	v_bfe_u32 v2, v8, 24, 3
	v_ffbh_u32_e32 v10, v2
	v_min_u32_e32 v10, 32, v10
	v_lshrrev_b32_e32 v6, 27, v8
	v_subrev_u32_e32 v11, 28, v10
	v_and_b32_e32 v3, 0x80000000, v8
	v_and_b32_e32 v6, 15, v6
	v_bfe_u32 v7, v8, 27, 4
	v_lshlrev_b32_sdwa v8, v11, v8 dst_sel:DWORD dst_unused:UNUSED_PAD src0_sel:DWORD src1_sel:BYTE_3
	v_sub_u32_e32 v10, 29, v10
	v_and_b32_e32 v8, 7, v8
	v_cmp_eq_u16_e32 vcc, 0, v6
	v_cndmask_b32_e32 v2, v2, v8, vcc
	v_cndmask_b32_e32 v6, v7, v10, vcc
	v_mov_b32_e32 v7, 0x3b800000
	v_lshlrev_b32_e32 v2, 20, v2
	v_lshl_add_u32 v6, v6, 23, v7
	v_or3_b32 v2, v3, v6, v2
.LBB43_1244:
	s_or_b64 exec, exec, s[6:7]
	s_movk_i32 s4, 0x7f
	v_cmp_gt_i16_sdwa s[6:7], v4, s4 src0_sel:BYTE_3 src1_sel:DWORD
	s_mov_b64 s[4:5], 0
                                        ; implicit-def: $sgpr10
	s_and_saveexec_b64 s[8:9], s[6:7]
	s_xor_b64 s[6:7], exec, s[8:9]
	s_cbranch_execnz .LBB43_3293
; %bb.1245:
	s_or_saveexec_b64 s[6:7], s[6:7]
	v_mov_b32_e32 v3, s10
	s_xor_b64 exec, exec, s[6:7]
	s_cbranch_execnz .LBB43_3296
.LBB43_1246:
	s_or_b64 exec, exec, s[6:7]
	s_and_saveexec_b64 s[6:7], s[4:5]
	s_cbranch_execz .LBB43_1248
.LBB43_1247:
	v_bfe_u32 v3, v4, 24, 3
	v_ffbh_u32_e32 v10, v3
	v_min_u32_e32 v10, 32, v10
	v_lshrrev_b32_e32 v7, 27, v4
	v_subrev_u32_e32 v11, 28, v10
	v_and_b32_e32 v6, 0x80000000, v4
	v_and_b32_e32 v7, 15, v7
	v_bfe_u32 v8, v4, 27, 4
	v_lshlrev_b32_sdwa v4, v11, v4 dst_sel:DWORD dst_unused:UNUSED_PAD src0_sel:DWORD src1_sel:BYTE_3
	v_sub_u32_e32 v10, 29, v10
	v_and_b32_e32 v4, 7, v4
	v_cmp_eq_u16_e32 vcc, 0, v7
	v_cndmask_b32_e32 v3, v3, v4, vcc
	v_cndmask_b32_e32 v4, v8, v10, vcc
	v_mov_b32_e32 v7, 0x3b800000
	v_lshlrev_b32_e32 v3, 20, v3
	v_lshl_add_u32 v4, v4, 23, v7
	v_or3_b32 v3, v6, v4, v3
.LBB43_1248:
	s_or_b64 exec, exec, s[6:7]
	s_nop 0
	v_mfma_f32_16x16x4f32 a[0:3], v2, v3, a[0:3]
	s_movk_i32 s4, 0x7f
	v_cmp_gt_i16_sdwa s[6:7], v9, s4 src0_sel:BYTE_0 src1_sel:DWORD
	s_mov_b64 s[4:5], 0
                                        ; implicit-def: $sgpr10
	s_and_saveexec_b64 s[8:9], s[6:7]
	s_xor_b64 s[6:7], exec, s[8:9]
	s_cbranch_execnz .LBB43_3297
; %bb.1249:
	s_or_saveexec_b64 s[6:7], s[6:7]
	v_mov_b32_e32 v2, s10
	s_xor_b64 exec, exec, s[6:7]
	s_cbranch_execnz .LBB43_3300
.LBB43_1250:
	s_or_b64 exec, exec, s[6:7]
	s_and_saveexec_b64 s[6:7], s[4:5]
	s_cbranch_execz .LBB43_1252
.LBB43_1251:
	v_mov_b32_e32 v2, 8
	v_and_b32_e32 v3, 7, v9
	v_lshrrev_b32_sdwa v2, v2, v9 dst_sel:BYTE_1 dst_unused:UNUSED_PAD src0_sel:DWORD src1_sel:DWORD
	v_ffbh_u32_e32 v4, v3
	v_or_b32_sdwa v2, v9, v2 dst_sel:DWORD dst_unused:UNUSED_PAD src0_sel:BYTE_0 src1_sel:DWORD
	v_min_u32_e32 v4, 32, v4
	v_lshrrev_b16_e32 v2, 3, v2
	v_subrev_u32_e32 v6, 28, v4
	v_and_b32_e32 v2, 15, v2
	v_lshlrev_b32_e32 v6, v6, v9
	v_sub_u32_e32 v4, 29, v4
	v_and_b32_e32 v6, 7, v6
	v_cmp_eq_u16_e32 vcc, 0, v2
	v_cndmask_b32_e32 v3, v3, v6, vcc
	v_cndmask_b32_e32 v2, v2, v4, vcc
	v_lshlrev_b32_e32 v4, 24, v9
	v_mov_b32_e32 v6, 0x3b800000
	v_lshlrev_b32_e32 v3, 20, v3
	v_and_b32_e32 v4, 0x80000000, v4
	v_lshl_add_u32 v2, v2, 23, v6
	v_or3_b32 v2, v4, v2, v3
.LBB43_1252:
	s_or_b64 exec, exec, s[6:7]
	s_movk_i32 s4, 0x7f
	v_cmp_gt_i16_sdwa s[6:7], v5, s4 src0_sel:BYTE_0 src1_sel:DWORD
	s_mov_b64 s[4:5], 0
                                        ; implicit-def: $sgpr10
	s_and_saveexec_b64 s[8:9], s[6:7]
	s_xor_b64 s[6:7], exec, s[8:9]
	s_cbranch_execnz .LBB43_3301
; %bb.1253:
	s_or_saveexec_b64 s[6:7], s[6:7]
	v_mov_b32_e32 v3, s10
	s_xor_b64 exec, exec, s[6:7]
	s_cbranch_execnz .LBB43_3304
.LBB43_1254:
	s_or_b64 exec, exec, s[6:7]
	s_and_saveexec_b64 s[6:7], s[4:5]
	s_cbranch_execz .LBB43_1256
.LBB43_1255:
	v_mov_b32_e32 v3, 8
	v_and_b32_e32 v4, 7, v5
	v_lshrrev_b32_sdwa v3, v3, v5 dst_sel:BYTE_1 dst_unused:UNUSED_PAD src0_sel:DWORD src1_sel:DWORD
	v_ffbh_u32_e32 v6, v4
	v_or_b32_sdwa v3, v5, v3 dst_sel:DWORD dst_unused:UNUSED_PAD src0_sel:BYTE_0 src1_sel:DWORD
	v_min_u32_e32 v6, 32, v6
	v_lshrrev_b16_e32 v3, 3, v3
	v_subrev_u32_e32 v7, 28, v6
	v_and_b32_e32 v3, 15, v3
	v_lshlrev_b32_e32 v7, v7, v5
	v_sub_u32_e32 v6, 29, v6
	v_and_b32_e32 v7, 7, v7
	v_cmp_eq_u16_e32 vcc, 0, v3
	v_cndmask_b32_e32 v4, v4, v7, vcc
	v_cndmask_b32_e32 v3, v3, v6, vcc
	v_lshlrev_b32_e32 v6, 24, v5
	v_mov_b32_e32 v7, 0x3b800000
	v_lshlrev_b32_e32 v4, 20, v4
	v_and_b32_e32 v6, 0x80000000, v6
	v_lshl_add_u32 v3, v3, 23, v7
	v_or3_b32 v3, v6, v3, v4
.LBB43_1256:
	s_or_b64 exec, exec, s[6:7]
	s_nop 0
	v_mfma_f32_16x16x4f32 a[0:3], v2, v3, a[0:3]
	v_lshrrev_b32_e32 v3, 8, v9
	s_movk_i32 s4, 0x7f
	v_cmp_gt_i16_sdwa s[6:7], v3, s4 src0_sel:BYTE_0 src1_sel:DWORD
	s_mov_b64 s[4:5], 0
                                        ; implicit-def: $sgpr10
	s_and_saveexec_b64 s[8:9], s[6:7]
	s_xor_b64 s[6:7], exec, s[8:9]
	s_cbranch_execnz .LBB43_3305
; %bb.1257:
	s_or_saveexec_b64 s[6:7], s[6:7]
	v_mov_b32_e32 v2, s10
	s_xor_b64 exec, exec, s[6:7]
	s_cbranch_execnz .LBB43_3308
.LBB43_1258:
	s_or_b64 exec, exec, s[6:7]
	s_and_saveexec_b64 s[6:7], s[4:5]
	s_cbranch_execz .LBB43_1260
.LBB43_1259:
	v_bfe_u32 v2, v9, 8, 3
	v_ffbh_u32_e32 v6, v2
	v_min_u32_e32 v6, 32, v6
	v_lshrrev_b16_e32 v4, 3, v3
	v_subrev_u32_e32 v7, 28, v6
	v_and_b32_e32 v4, 15, v4
	v_lshlrev_b32_e32 v3, v7, v3
	v_sub_u32_e32 v6, 29, v6
	v_and_b32_e32 v3, 7, v3
	v_cmp_eq_u16_e32 vcc, 0, v4
	v_cndmask_b32_e32 v2, v2, v3, vcc
	v_cndmask_b32_e32 v3, v4, v6, vcc
	v_lshlrev_b32_e32 v4, 16, v9
	v_mov_b32_e32 v6, 0x3b800000
	v_lshlrev_b32_e32 v2, 20, v2
	v_and_b32_e32 v4, 0x80000000, v4
	v_lshl_add_u32 v3, v3, 23, v6
	v_or3_b32 v2, v4, v3, v2
.LBB43_1260:
	s_or_b64 exec, exec, s[6:7]
	v_lshrrev_b32_e32 v3, 8, v5
	s_movk_i32 s4, 0x7f
	v_cmp_gt_i16_sdwa s[6:7], v3, s4 src0_sel:BYTE_0 src1_sel:DWORD
	s_mov_b64 s[4:5], 0
                                        ; implicit-def: $sgpr10
	s_and_saveexec_b64 s[8:9], s[6:7]
	s_xor_b64 s[6:7], exec, s[8:9]
	s_cbranch_execnz .LBB43_3309
; %bb.1261:
	s_or_saveexec_b64 s[6:7], s[6:7]
	v_mov_b32_e32 v4, s10
	s_xor_b64 exec, exec, s[6:7]
	s_cbranch_execnz .LBB43_3312
.LBB43_1262:
	s_or_b64 exec, exec, s[6:7]
	s_and_saveexec_b64 s[6:7], s[4:5]
	s_cbranch_execz .LBB43_1264
.LBB43_1263:
	v_bfe_u32 v4, v5, 8, 3
	v_ffbh_u32_e32 v7, v4
	v_min_u32_e32 v7, 32, v7
	v_lshrrev_b16_e32 v6, 3, v3
	v_subrev_u32_e32 v8, 28, v7
	v_and_b32_e32 v6, 15, v6
	v_lshlrev_b32_e32 v3, v8, v3
	v_sub_u32_e32 v7, 29, v7
	v_and_b32_e32 v3, 7, v3
	v_cmp_eq_u16_e32 vcc, 0, v6
	v_cndmask_b32_e32 v3, v4, v3, vcc
	v_cndmask_b32_e32 v4, v6, v7, vcc
	v_lshlrev_b32_e32 v6, 16, v5
	v_mov_b32_e32 v7, 0x3b800000
	v_lshlrev_b32_e32 v3, 20, v3
	v_and_b32_e32 v6, 0x80000000, v6
	v_lshl_add_u32 v4, v4, 23, v7
	v_or3_b32 v4, v6, v4, v3
.LBB43_1264:
	s_or_b64 exec, exec, s[6:7]
	s_nop 0
	v_mfma_f32_16x16x4f32 a[0:3], v2, v4, a[0:3]
	s_movk_i32 s4, 0xff
	v_and_b32_sdwa v3, v9, s4 dst_sel:DWORD dst_unused:UNUSED_PAD src0_sel:WORD_1 src1_sel:DWORD
	s_movk_i32 s4, 0x7f
	v_cmp_lt_i16_e32 vcc, s4, v3
	s_mov_b64 s[4:5], 0
                                        ; implicit-def: $sgpr10
	s_and_saveexec_b64 s[6:7], vcc
	s_xor_b64 s[6:7], exec, s[6:7]
	s_cbranch_execnz .LBB43_3313
; %bb.1265:
	s_or_saveexec_b64 s[6:7], s[6:7]
	v_mov_b32_e32 v2, s10
	s_xor_b64 exec, exec, s[6:7]
	s_cbranch_execnz .LBB43_3316
.LBB43_1266:
	s_or_b64 exec, exec, s[6:7]
	s_and_saveexec_b64 s[6:7], s[4:5]
	s_cbranch_execz .LBB43_1268
.LBB43_1267:
	v_bfe_u32 v2, v9, 16, 3
	v_ffbh_u32_e32 v6, v2
	v_min_u32_e32 v6, 32, v6
	v_lshrrev_b32_e32 v3, 19, v9
	v_subrev_u32_e32 v7, 28, v6
	v_and_b32_e32 v3, 15, v3
	v_lshlrev_b32_sdwa v7, v7, v9 dst_sel:DWORD dst_unused:UNUSED_PAD src0_sel:DWORD src1_sel:WORD_1
	v_bfe_u32 v4, v9, 19, 4
	v_sub_u32_e32 v6, 29, v6
	v_and_b32_e32 v7, 7, v7
	v_cmp_eq_u16_e32 vcc, 0, v3
	v_cndmask_b32_e32 v2, v2, v7, vcc
	v_cndmask_b32_e32 v3, v4, v6, vcc
	v_lshlrev_b32_e32 v4, 8, v9
	v_mov_b32_e32 v6, 0x3b800000
	v_lshlrev_b32_e32 v2, 20, v2
	v_and_b32_e32 v4, 0x80000000, v4
	v_lshl_add_u32 v3, v3, 23, v6
	v_or3_b32 v2, v4, v3, v2
.LBB43_1268:
	s_or_b64 exec, exec, s[6:7]
	s_movk_i32 s4, 0xff
	v_and_b32_sdwa v3, v5, s4 dst_sel:DWORD dst_unused:UNUSED_PAD src0_sel:WORD_1 src1_sel:DWORD
	s_movk_i32 s4, 0x7f
	v_cmp_lt_i16_e32 vcc, s4, v3
	s_mov_b64 s[4:5], 0
                                        ; implicit-def: $sgpr10
	s_and_saveexec_b64 s[6:7], vcc
	s_xor_b64 s[6:7], exec, s[6:7]
	s_cbranch_execnz .LBB43_3317
; %bb.1269:
	s_or_saveexec_b64 s[6:7], s[6:7]
	v_mov_b32_e32 v4, s10
	s_xor_b64 exec, exec, s[6:7]
	s_cbranch_execnz .LBB43_3320
.LBB43_1270:
	s_or_b64 exec, exec, s[6:7]
	s_and_saveexec_b64 s[6:7], s[4:5]
	s_cbranch_execz .LBB43_1272
.LBB43_1271:
	v_bfe_u32 v3, v5, 16, 3
	v_ffbh_u32_e32 v7, v3
	v_min_u32_e32 v7, 32, v7
	v_lshrrev_b32_e32 v4, 19, v5
	v_subrev_u32_e32 v8, 28, v7
	v_and_b32_e32 v4, 15, v4
	v_lshlrev_b32_sdwa v8, v8, v5 dst_sel:DWORD dst_unused:UNUSED_PAD src0_sel:DWORD src1_sel:WORD_1
	v_bfe_u32 v6, v5, 19, 4
	v_sub_u32_e32 v7, 29, v7
	v_and_b32_e32 v8, 7, v8
	v_cmp_eq_u16_e32 vcc, 0, v4
	v_cndmask_b32_e32 v3, v3, v8, vcc
	v_cndmask_b32_e32 v4, v6, v7, vcc
	v_lshlrev_b32_e32 v6, 8, v5
	v_mov_b32_e32 v7, 0x3b800000
	v_lshlrev_b32_e32 v3, 20, v3
	v_and_b32_e32 v6, 0x80000000, v6
	v_lshl_add_u32 v4, v4, 23, v7
	v_or3_b32 v4, v6, v4, v3
.LBB43_1272:
	s_or_b64 exec, exec, s[6:7]
	s_nop 0
	v_mfma_f32_16x16x4f32 a[0:3], v2, v4, a[0:3]
	s_movk_i32 s4, 0x7f
	v_cmp_gt_i16_sdwa s[6:7], v9, s4 src0_sel:BYTE_3 src1_sel:DWORD
	s_mov_b64 s[4:5], 0
                                        ; implicit-def: $sgpr10
	s_and_saveexec_b64 s[8:9], s[6:7]
	s_xor_b64 s[6:7], exec, s[8:9]
	s_cbranch_execnz .LBB43_3321
; %bb.1273:
	s_or_saveexec_b64 s[6:7], s[6:7]
	v_mov_b32_e32 v2, s10
	s_xor_b64 exec, exec, s[6:7]
	s_cbranch_execnz .LBB43_3324
.LBB43_1274:
	s_or_b64 exec, exec, s[6:7]
	s_and_saveexec_b64 s[6:7], s[4:5]
	s_cbranch_execz .LBB43_1276
.LBB43_1275:
	v_bfe_u32 v2, v9, 24, 3
	v_ffbh_u32_e32 v7, v2
	v_min_u32_e32 v7, 32, v7
	v_lshrrev_b32_e32 v4, 27, v9
	v_subrev_u32_e32 v8, 28, v7
	v_and_b32_e32 v4, 15, v4
	v_lshlrev_b32_sdwa v8, v8, v9 dst_sel:DWORD dst_unused:UNUSED_PAD src0_sel:DWORD src1_sel:BYTE_3
	v_bfe_u32 v6, v9, 27, 4
	v_sub_u32_e32 v7, 29, v7
	v_and_b32_e32 v8, 7, v8
	v_cmp_eq_u16_e32 vcc, 0, v4
	v_cndmask_b32_e32 v2, v2, v8, vcc
	v_cndmask_b32_e32 v4, v6, v7, vcc
	v_mov_b32_e32 v6, 0x3b800000
	v_and_b32_e32 v3, 0x80000000, v9
	v_lshlrev_b32_e32 v2, 20, v2
	v_lshl_add_u32 v4, v4, 23, v6
	v_or3_b32 v2, v3, v4, v2
.LBB43_1276:
	s_or_b64 exec, exec, s[6:7]
	s_movk_i32 s4, 0x7f
	v_cmp_gt_i16_sdwa s[6:7], v5, s4 src0_sel:BYTE_3 src1_sel:DWORD
	s_mov_b64 s[4:5], 0
                                        ; implicit-def: $sgpr10
	s_and_saveexec_b64 s[8:9], s[6:7]
	s_xor_b64 s[6:7], exec, s[8:9]
	s_cbranch_execnz .LBB43_3325
; %bb.1277:
	s_or_saveexec_b64 s[6:7], s[6:7]
	v_mov_b32_e32 v3, s10
	s_xor_b64 exec, exec, s[6:7]
	s_cbranch_execnz .LBB43_3328
.LBB43_1278:
	s_or_b64 exec, exec, s[6:7]
	s_and_saveexec_b64 s[6:7], s[4:5]
	s_cbranch_execz .LBB43_1280
.LBB43_1279:
	v_bfe_u32 v3, v5, 24, 3
	v_ffbh_u32_e32 v8, v3
	v_min_u32_e32 v8, 32, v8
	v_lshrrev_b32_e32 v6, 27, v5
	v_subrev_u32_e32 v9, 28, v8
	v_and_b32_e32 v4, 0x80000000, v5
	v_and_b32_e32 v6, 15, v6
	v_bfe_u32 v7, v5, 27, 4
	v_lshlrev_b32_sdwa v5, v9, v5 dst_sel:DWORD dst_unused:UNUSED_PAD src0_sel:DWORD src1_sel:BYTE_3
	v_sub_u32_e32 v8, 29, v8
	v_and_b32_e32 v5, 7, v5
	v_cmp_eq_u16_e32 vcc, 0, v6
	v_cndmask_b32_e32 v3, v3, v5, vcc
	v_cndmask_b32_e32 v5, v7, v8, vcc
	v_mov_b32_e32 v6, 0x3b800000
	v_lshlrev_b32_e32 v3, 20, v3
	v_lshl_add_u32 v5, v5, 23, v6
	v_or3_b32 v3, v4, v5, v3
.LBB43_1280:
	s_or_b64 exec, exec, s[6:7]
	s_nop 0
	v_mfma_f32_16x16x4f32 a[0:3], v2, v3, a[0:3]
	s_movk_i32 s4, 0x7f
                                        ; implicit-def: $sgpr10
	s_nop 7
	s_nop 1
	flat_store_dwordx4 v[18:19], a[0:3] offset:960
	flat_load_dwordx4 v[20:23], v[0:1] offset:16
	s_nop 0
	flat_load_dwordx2 v[18:19], v[0:1] offset:32
	s_waitcnt vmcnt(0) lgkmcnt(0)
	flat_load_dwordx4 v[14:17], v[20:21] offset:32
	flat_load_dwordx4 v[6:9], v[20:21] offset:48
	;; [unrolled: 1-line block ×4, first 2 shown]
	s_waitcnt vmcnt(0) lgkmcnt(0)
	v_cmp_gt_i16_sdwa s[6:7], v14, s4 src0_sel:BYTE_0 src1_sel:DWORD
	s_mov_b64 s[4:5], 0
	s_and_saveexec_b64 s[8:9], s[6:7]
	s_xor_b64 s[6:7], exec, s[8:9]
	s_cbranch_execnz .LBB43_3329
; %bb.1281:
	s_or_saveexec_b64 s[6:7], s[6:7]
	v_mov_b32_e32 v20, s10
	s_xor_b64 exec, exec, s[6:7]
	s_cbranch_execnz .LBB43_3332
.LBB43_1282:
	s_or_b64 exec, exec, s[6:7]
	s_and_saveexec_b64 s[6:7], s[4:5]
	s_cbranch_execz .LBB43_1284
.LBB43_1283:
	v_and_b32_e32 v20, 7, v14
	v_ffbh_u32_e32 v22, v20
	v_min_u32_e32 v22, 32, v22
	v_lshrrev_b16_e32 v21, 3, v14
	v_subrev_u32_e32 v23, 28, v22
	v_and_b32_e32 v21, 15, v21
	v_lshlrev_b32_e32 v23, v23, v14
	v_sub_u32_e32 v22, 29, v22
	v_and_b32_e32 v23, 7, v23
	v_cmp_eq_u16_e32 vcc, 0, v21
	v_cndmask_b32_e32 v20, v20, v23, vcc
	v_cndmask_b32_e32 v21, v21, v22, vcc
	v_lshlrev_b32_e32 v22, 24, v14
	v_mov_b32_e32 v23, 0x3b800000
	v_lshlrev_b32_e32 v20, 20, v20
	v_and_b32_e32 v22, 0x80000000, v22
	v_lshl_add_u32 v21, v21, 23, v23
	v_or3_b32 v20, v22, v21, v20
.LBB43_1284:
	s_or_b64 exec, exec, s[6:7]
	s_movk_i32 s4, 0x7f
	v_cmp_gt_i16_sdwa s[6:7], v10, s4 src0_sel:BYTE_0 src1_sel:DWORD
	s_mov_b64 s[4:5], 0
                                        ; implicit-def: $sgpr10
	s_and_saveexec_b64 s[8:9], s[6:7]
	s_xor_b64 s[6:7], exec, s[8:9]
	s_cbranch_execnz .LBB43_3333
; %bb.1285:
	s_or_saveexec_b64 s[6:7], s[6:7]
	v_mov_b32_e32 v21, s10
	s_xor_b64 exec, exec, s[6:7]
	s_cbranch_execnz .LBB43_3336
.LBB43_1286:
	s_or_b64 exec, exec, s[6:7]
	s_and_saveexec_b64 s[6:7], s[4:5]
	s_cbranch_execz .LBB43_1288
.LBB43_1287:
	v_and_b32_e32 v21, 7, v10
	v_ffbh_u32_e32 v23, v21
	v_min_u32_e32 v23, 32, v23
	v_lshrrev_b16_e32 v22, 3, v10
	v_subrev_u32_e32 v24, 28, v23
	v_and_b32_e32 v22, 15, v22
	v_lshlrev_b32_e32 v24, v24, v10
	v_sub_u32_e32 v23, 29, v23
	v_and_b32_e32 v24, 7, v24
	v_cmp_eq_u16_e32 vcc, 0, v22
	v_cndmask_b32_e32 v21, v21, v24, vcc
	v_cndmask_b32_e32 v22, v22, v23, vcc
	v_lshlrev_b32_e32 v23, 24, v10
	v_mov_b32_e32 v24, 0x3b800000
	v_lshlrev_b32_e32 v21, 20, v21
	v_and_b32_e32 v23, 0x80000000, v23
	v_lshl_add_u32 v22, v22, 23, v24
	v_or3_b32 v21, v23, v22, v21
.LBB43_1288:
	s_or_b64 exec, exec, s[6:7]
	flat_load_dwordx4 a[0:3], v[18:19] offset:976
	s_movk_i32 s4, 0x7f
                                        ; implicit-def: $sgpr10
	s_waitcnt vmcnt(0) lgkmcnt(0)
	v_mfma_f32_16x16x4f32 a[0:3], v20, v21, a[0:3]
	v_lshrrev_b32_e32 v21, 8, v14
	v_cmp_gt_i16_sdwa s[6:7], v21, s4 src0_sel:BYTE_0 src1_sel:DWORD
	s_mov_b64 s[4:5], 0
	s_and_saveexec_b64 s[8:9], s[6:7]
	s_xor_b64 s[6:7], exec, s[8:9]
	s_cbranch_execnz .LBB43_3337
; %bb.1289:
	s_or_saveexec_b64 s[6:7], s[6:7]
	v_mov_b32_e32 v20, s10
	s_xor_b64 exec, exec, s[6:7]
	s_cbranch_execnz .LBB43_3340
.LBB43_1290:
	s_or_b64 exec, exec, s[6:7]
	s_and_saveexec_b64 s[6:7], s[4:5]
	s_cbranch_execz .LBB43_1292
.LBB43_1291:
	v_bfe_u32 v20, v14, 8, 3
	v_ffbh_u32_e32 v23, v20
	v_min_u32_e32 v23, 32, v23
	v_lshrrev_b16_e32 v22, 3, v21
	v_subrev_u32_e32 v24, 28, v23
	v_and_b32_e32 v22, 15, v22
	v_lshlrev_b32_e32 v21, v24, v21
	v_sub_u32_e32 v23, 29, v23
	v_and_b32_e32 v21, 7, v21
	v_cmp_eq_u16_e32 vcc, 0, v22
	v_cndmask_b32_e32 v20, v20, v21, vcc
	v_cndmask_b32_e32 v21, v22, v23, vcc
	v_lshlrev_b32_e32 v22, 16, v14
	v_mov_b32_e32 v23, 0x3b800000
	v_lshlrev_b32_e32 v20, 20, v20
	v_and_b32_e32 v22, 0x80000000, v22
	v_lshl_add_u32 v21, v21, 23, v23
	v_or3_b32 v20, v22, v21, v20
.LBB43_1292:
	s_or_b64 exec, exec, s[6:7]
	v_lshrrev_b32_e32 v21, 8, v10
	s_movk_i32 s4, 0x7f
	v_cmp_gt_i16_sdwa s[6:7], v21, s4 src0_sel:BYTE_0 src1_sel:DWORD
	s_mov_b64 s[4:5], 0
                                        ; implicit-def: $sgpr10
	s_and_saveexec_b64 s[8:9], s[6:7]
	s_xor_b64 s[6:7], exec, s[8:9]
	s_cbranch_execnz .LBB43_3341
; %bb.1293:
	s_or_saveexec_b64 s[6:7], s[6:7]
	v_mov_b32_e32 v22, s10
	s_xor_b64 exec, exec, s[6:7]
	s_cbranch_execnz .LBB43_3344
.LBB43_1294:
	s_or_b64 exec, exec, s[6:7]
	s_and_saveexec_b64 s[6:7], s[4:5]
	s_cbranch_execz .LBB43_1296
.LBB43_1295:
	v_bfe_u32 v22, v10, 8, 3
	v_ffbh_u32_e32 v24, v22
	v_min_u32_e32 v24, 32, v24
	v_lshrrev_b16_e32 v23, 3, v21
	v_subrev_u32_e32 v25, 28, v24
	v_and_b32_e32 v23, 15, v23
	v_lshlrev_b32_e32 v21, v25, v21
	v_sub_u32_e32 v24, 29, v24
	v_and_b32_e32 v21, 7, v21
	v_cmp_eq_u16_e32 vcc, 0, v23
	v_cndmask_b32_e32 v21, v22, v21, vcc
	v_cndmask_b32_e32 v22, v23, v24, vcc
	v_lshlrev_b32_e32 v23, 16, v10
	v_mov_b32_e32 v24, 0x3b800000
	v_lshlrev_b32_e32 v21, 20, v21
	v_and_b32_e32 v23, 0x80000000, v23
	v_lshl_add_u32 v22, v22, 23, v24
	v_or3_b32 v22, v23, v22, v21
.LBB43_1296:
	s_or_b64 exec, exec, s[6:7]
	s_nop 0
	v_mfma_f32_16x16x4f32 a[0:3], v20, v22, a[0:3]
	s_movk_i32 s4, 0xff
	v_and_b32_sdwa v21, v14, s4 dst_sel:DWORD dst_unused:UNUSED_PAD src0_sel:WORD_1 src1_sel:DWORD
	s_movk_i32 s4, 0x7f
	v_cmp_lt_i16_e32 vcc, s4, v21
	s_mov_b64 s[4:5], 0
                                        ; implicit-def: $sgpr10
	s_and_saveexec_b64 s[6:7], vcc
	s_xor_b64 s[6:7], exec, s[6:7]
	s_cbranch_execnz .LBB43_3345
; %bb.1297:
	s_or_saveexec_b64 s[6:7], s[6:7]
	v_mov_b32_e32 v20, s10
	s_xor_b64 exec, exec, s[6:7]
	s_cbranch_execnz .LBB43_3348
.LBB43_1298:
	s_or_b64 exec, exec, s[6:7]
	s_and_saveexec_b64 s[6:7], s[4:5]
	s_cbranch_execz .LBB43_1300
.LBB43_1299:
	v_bfe_u32 v20, v14, 16, 3
	v_ffbh_u32_e32 v23, v20
	v_min_u32_e32 v23, 32, v23
	v_lshrrev_b32_e32 v21, 19, v14
	v_subrev_u32_e32 v24, 28, v23
	v_and_b32_e32 v21, 15, v21
	v_lshlrev_b32_sdwa v24, v24, v14 dst_sel:DWORD dst_unused:UNUSED_PAD src0_sel:DWORD src1_sel:WORD_1
	v_bfe_u32 v22, v14, 19, 4
	v_sub_u32_e32 v23, 29, v23
	v_and_b32_e32 v24, 7, v24
	v_cmp_eq_u16_e32 vcc, 0, v21
	v_cndmask_b32_e32 v20, v20, v24, vcc
	v_cndmask_b32_e32 v21, v22, v23, vcc
	v_lshlrev_b32_e32 v22, 8, v14
	v_mov_b32_e32 v23, 0x3b800000
	v_lshlrev_b32_e32 v20, 20, v20
	v_and_b32_e32 v22, 0x80000000, v22
	v_lshl_add_u32 v21, v21, 23, v23
	v_or3_b32 v20, v22, v21, v20
.LBB43_1300:
	s_or_b64 exec, exec, s[6:7]
	s_movk_i32 s4, 0xff
	v_and_b32_sdwa v21, v10, s4 dst_sel:DWORD dst_unused:UNUSED_PAD src0_sel:WORD_1 src1_sel:DWORD
	s_movk_i32 s4, 0x7f
	v_cmp_lt_i16_e32 vcc, s4, v21
	s_mov_b64 s[4:5], 0
                                        ; implicit-def: $sgpr10
	s_and_saveexec_b64 s[6:7], vcc
	s_xor_b64 s[6:7], exec, s[6:7]
	s_cbranch_execnz .LBB43_3349
; %bb.1301:
	s_or_saveexec_b64 s[6:7], s[6:7]
	v_mov_b32_e32 v22, s10
	s_xor_b64 exec, exec, s[6:7]
	s_cbranch_execnz .LBB43_3352
.LBB43_1302:
	s_or_b64 exec, exec, s[6:7]
	s_and_saveexec_b64 s[6:7], s[4:5]
	s_cbranch_execz .LBB43_1304
.LBB43_1303:
	v_bfe_u32 v21, v10, 16, 3
	v_ffbh_u32_e32 v24, v21
	v_min_u32_e32 v24, 32, v24
	v_lshrrev_b32_e32 v22, 19, v10
	v_subrev_u32_e32 v25, 28, v24
	v_and_b32_e32 v22, 15, v22
	v_lshlrev_b32_sdwa v25, v25, v10 dst_sel:DWORD dst_unused:UNUSED_PAD src0_sel:DWORD src1_sel:WORD_1
	v_bfe_u32 v23, v10, 19, 4
	v_sub_u32_e32 v24, 29, v24
	v_and_b32_e32 v25, 7, v25
	v_cmp_eq_u16_e32 vcc, 0, v22
	v_cndmask_b32_e32 v21, v21, v25, vcc
	v_cndmask_b32_e32 v22, v23, v24, vcc
	v_lshlrev_b32_e32 v23, 8, v10
	v_mov_b32_e32 v24, 0x3b800000
	v_lshlrev_b32_e32 v21, 20, v21
	v_and_b32_e32 v23, 0x80000000, v23
	v_lshl_add_u32 v22, v22, 23, v24
	v_or3_b32 v22, v23, v22, v21
.LBB43_1304:
	s_or_b64 exec, exec, s[6:7]
	s_nop 0
	v_mfma_f32_16x16x4f32 a[0:3], v20, v22, a[0:3]
	s_movk_i32 s4, 0x7f
	v_cmp_gt_i16_sdwa s[6:7], v14, s4 src0_sel:BYTE_3 src1_sel:DWORD
	s_mov_b64 s[4:5], 0
                                        ; implicit-def: $sgpr10
	s_and_saveexec_b64 s[8:9], s[6:7]
	s_xor_b64 s[6:7], exec, s[8:9]
	s_cbranch_execnz .LBB43_3353
; %bb.1305:
	s_or_saveexec_b64 s[6:7], s[6:7]
	v_mov_b32_e32 v20, s10
	s_xor_b64 exec, exec, s[6:7]
	s_cbranch_execnz .LBB43_3356
.LBB43_1306:
	s_or_b64 exec, exec, s[6:7]
	s_and_saveexec_b64 s[6:7], s[4:5]
	s_cbranch_execz .LBB43_1308
.LBB43_1307:
	v_bfe_u32 v20, v14, 24, 3
	v_ffbh_u32_e32 v24, v20
	v_min_u32_e32 v24, 32, v24
	v_lshrrev_b32_e32 v22, 27, v14
	v_subrev_u32_e32 v25, 28, v24
	v_and_b32_e32 v21, 0x80000000, v14
	v_and_b32_e32 v22, 15, v22
	v_bfe_u32 v23, v14, 27, 4
	v_lshlrev_b32_sdwa v14, v25, v14 dst_sel:DWORD dst_unused:UNUSED_PAD src0_sel:DWORD src1_sel:BYTE_3
	v_sub_u32_e32 v24, 29, v24
	v_and_b32_e32 v14, 7, v14
	v_cmp_eq_u16_e32 vcc, 0, v22
	v_cndmask_b32_e32 v14, v20, v14, vcc
	v_cndmask_b32_e32 v20, v23, v24, vcc
	v_mov_b32_e32 v22, 0x3b800000
	v_lshlrev_b32_e32 v14, 20, v14
	v_lshl_add_u32 v20, v20, 23, v22
	v_or3_b32 v20, v21, v20, v14
.LBB43_1308:
	s_or_b64 exec, exec, s[6:7]
	s_movk_i32 s4, 0x7f
	v_cmp_gt_i16_sdwa s[6:7], v10, s4 src0_sel:BYTE_3 src1_sel:DWORD
	s_mov_b64 s[4:5], 0
                                        ; implicit-def: $sgpr10
	s_and_saveexec_b64 s[8:9], s[6:7]
	s_xor_b64 s[6:7], exec, s[8:9]
	s_cbranch_execnz .LBB43_3357
; %bb.1309:
	s_or_saveexec_b64 s[6:7], s[6:7]
	v_mov_b32_e32 v14, s10
	s_xor_b64 exec, exec, s[6:7]
	s_cbranch_execnz .LBB43_3360
.LBB43_1310:
	s_or_b64 exec, exec, s[6:7]
	s_and_saveexec_b64 s[6:7], s[4:5]
	s_cbranch_execz .LBB43_1312
.LBB43_1311:
	v_bfe_u32 v14, v10, 24, 3
	v_ffbh_u32_e32 v24, v14
	v_min_u32_e32 v24, 32, v24
	v_lshrrev_b32_e32 v22, 27, v10
	v_subrev_u32_e32 v25, 28, v24
	v_and_b32_e32 v21, 0x80000000, v10
	v_and_b32_e32 v22, 15, v22
	v_bfe_u32 v23, v10, 27, 4
	v_lshlrev_b32_sdwa v10, v25, v10 dst_sel:DWORD dst_unused:UNUSED_PAD src0_sel:DWORD src1_sel:BYTE_3
	v_sub_u32_e32 v24, 29, v24
	v_and_b32_e32 v10, 7, v10
	v_cmp_eq_u16_e32 vcc, 0, v22
	v_cndmask_b32_e32 v10, v14, v10, vcc
	v_cndmask_b32_e32 v14, v23, v24, vcc
	v_mov_b32_e32 v22, 0x3b800000
	v_lshlrev_b32_e32 v10, 20, v10
	v_lshl_add_u32 v14, v14, 23, v22
	v_or3_b32 v14, v21, v14, v10
.LBB43_1312:
	s_or_b64 exec, exec, s[6:7]
	s_nop 0
	v_mfma_f32_16x16x4f32 a[0:3], v20, v14, a[0:3]
	s_movk_i32 s4, 0x7f
	v_cmp_gt_i16_sdwa s[6:7], v15, s4 src0_sel:BYTE_0 src1_sel:DWORD
	s_mov_b64 s[4:5], 0
                                        ; implicit-def: $sgpr10
	s_and_saveexec_b64 s[8:9], s[6:7]
	s_xor_b64 s[6:7], exec, s[8:9]
	s_cbranch_execnz .LBB43_3361
; %bb.1313:
	s_or_saveexec_b64 s[6:7], s[6:7]
	v_mov_b32_e32 v10, s10
	s_xor_b64 exec, exec, s[6:7]
	s_cbranch_execnz .LBB43_3364
.LBB43_1314:
	s_or_b64 exec, exec, s[6:7]
	s_and_saveexec_b64 s[6:7], s[4:5]
	s_cbranch_execz .LBB43_1316
.LBB43_1315:
	v_and_b32_e32 v10, 7, v15
	v_ffbh_u32_e32 v20, v10
	v_min_u32_e32 v20, 32, v20
	v_lshrrev_b16_e32 v14, 3, v15
	v_subrev_u32_e32 v21, 28, v20
	v_and_b32_e32 v14, 15, v14
	v_lshlrev_b32_e32 v21, v21, v15
	v_sub_u32_e32 v20, 29, v20
	v_and_b32_e32 v21, 7, v21
	v_cmp_eq_u16_e32 vcc, 0, v14
	v_cndmask_b32_e32 v10, v10, v21, vcc
	v_cndmask_b32_e32 v14, v14, v20, vcc
	v_lshlrev_b32_e32 v20, 24, v15
	v_mov_b32_e32 v21, 0x3b800000
	v_lshlrev_b32_e32 v10, 20, v10
	v_and_b32_e32 v20, 0x80000000, v20
	v_lshl_add_u32 v14, v14, 23, v21
	v_or3_b32 v10, v20, v14, v10
.LBB43_1316:
	s_or_b64 exec, exec, s[6:7]
	s_movk_i32 s4, 0x7f
	v_cmp_gt_i16_sdwa s[6:7], v11, s4 src0_sel:BYTE_0 src1_sel:DWORD
	s_mov_b64 s[4:5], 0
                                        ; implicit-def: $sgpr10
	s_and_saveexec_b64 s[8:9], s[6:7]
	s_xor_b64 s[6:7], exec, s[8:9]
	s_cbranch_execnz .LBB43_3365
; %bb.1317:
	s_or_saveexec_b64 s[6:7], s[6:7]
	v_mov_b32_e32 v14, s10
	s_xor_b64 exec, exec, s[6:7]
	s_cbranch_execnz .LBB43_3368
.LBB43_1318:
	s_or_b64 exec, exec, s[6:7]
	s_and_saveexec_b64 s[6:7], s[4:5]
	s_cbranch_execz .LBB43_1320
.LBB43_1319:
	v_and_b32_e32 v14, 7, v11
	v_ffbh_u32_e32 v21, v14
	v_min_u32_e32 v21, 32, v21
	v_lshrrev_b16_e32 v20, 3, v11
	v_subrev_u32_e32 v22, 28, v21
	v_and_b32_e32 v20, 15, v20
	v_lshlrev_b32_e32 v22, v22, v11
	v_sub_u32_e32 v21, 29, v21
	v_and_b32_e32 v22, 7, v22
	v_cmp_eq_u16_e32 vcc, 0, v20
	v_cndmask_b32_e32 v14, v14, v22, vcc
	v_cndmask_b32_e32 v20, v20, v21, vcc
	v_lshlrev_b32_e32 v21, 24, v11
	v_mov_b32_e32 v22, 0x3b800000
	v_lshlrev_b32_e32 v14, 20, v14
	v_and_b32_e32 v21, 0x80000000, v21
	v_lshl_add_u32 v20, v20, 23, v22
	v_or3_b32 v14, v21, v20, v14
.LBB43_1320:
	s_or_b64 exec, exec, s[6:7]
	s_nop 0
	v_mfma_f32_16x16x4f32 a[0:3], v10, v14, a[0:3]
	v_lshrrev_b32_e32 v14, 8, v15
	s_movk_i32 s4, 0x7f
	v_cmp_gt_i16_sdwa s[6:7], v14, s4 src0_sel:BYTE_0 src1_sel:DWORD
	s_mov_b64 s[4:5], 0
                                        ; implicit-def: $sgpr10
	s_and_saveexec_b64 s[8:9], s[6:7]
	s_xor_b64 s[6:7], exec, s[8:9]
	s_cbranch_execnz .LBB43_3369
; %bb.1321:
	s_or_saveexec_b64 s[6:7], s[6:7]
	v_mov_b32_e32 v10, s10
	s_xor_b64 exec, exec, s[6:7]
	s_cbranch_execnz .LBB43_3372
.LBB43_1322:
	s_or_b64 exec, exec, s[6:7]
	s_and_saveexec_b64 s[6:7], s[4:5]
	s_cbranch_execz .LBB43_1324
.LBB43_1323:
	v_bfe_u32 v10, v15, 8, 3
	v_ffbh_u32_e32 v21, v10
	v_min_u32_e32 v21, 32, v21
	v_lshrrev_b16_e32 v20, 3, v14
	v_subrev_u32_e32 v22, 28, v21
	v_and_b32_e32 v20, 15, v20
	v_lshlrev_b32_e32 v14, v22, v14
	v_sub_u32_e32 v21, 29, v21
	v_and_b32_e32 v14, 7, v14
	v_cmp_eq_u16_e32 vcc, 0, v20
	v_cndmask_b32_e32 v10, v10, v14, vcc
	v_cndmask_b32_e32 v14, v20, v21, vcc
	v_lshlrev_b32_e32 v20, 16, v15
	v_mov_b32_e32 v21, 0x3b800000
	v_lshlrev_b32_e32 v10, 20, v10
	v_and_b32_e32 v20, 0x80000000, v20
	v_lshl_add_u32 v14, v14, 23, v21
	v_or3_b32 v10, v20, v14, v10
.LBB43_1324:
	s_or_b64 exec, exec, s[6:7]
	v_lshrrev_b32_e32 v14, 8, v11
	s_movk_i32 s4, 0x7f
	v_cmp_gt_i16_sdwa s[6:7], v14, s4 src0_sel:BYTE_0 src1_sel:DWORD
	s_mov_b64 s[4:5], 0
                                        ; implicit-def: $sgpr10
	s_and_saveexec_b64 s[8:9], s[6:7]
	s_xor_b64 s[6:7], exec, s[8:9]
	s_cbranch_execnz .LBB43_3373
; %bb.1325:
	s_or_saveexec_b64 s[6:7], s[6:7]
	v_mov_b32_e32 v20, s10
	s_xor_b64 exec, exec, s[6:7]
	s_cbranch_execnz .LBB43_3376
.LBB43_1326:
	s_or_b64 exec, exec, s[6:7]
	s_and_saveexec_b64 s[6:7], s[4:5]
	s_cbranch_execz .LBB43_1328
.LBB43_1327:
	v_bfe_u32 v20, v11, 8, 3
	v_ffbh_u32_e32 v22, v20
	v_min_u32_e32 v22, 32, v22
	v_lshrrev_b16_e32 v21, 3, v14
	v_subrev_u32_e32 v23, 28, v22
	v_and_b32_e32 v21, 15, v21
	v_lshlrev_b32_e32 v14, v23, v14
	v_sub_u32_e32 v22, 29, v22
	v_and_b32_e32 v14, 7, v14
	v_cmp_eq_u16_e32 vcc, 0, v21
	v_cndmask_b32_e32 v14, v20, v14, vcc
	v_cndmask_b32_e32 v20, v21, v22, vcc
	v_lshlrev_b32_e32 v21, 16, v11
	v_mov_b32_e32 v22, 0x3b800000
	v_lshlrev_b32_e32 v14, 20, v14
	v_and_b32_e32 v21, 0x80000000, v21
	v_lshl_add_u32 v20, v20, 23, v22
	v_or3_b32 v20, v21, v20, v14
.LBB43_1328:
	s_or_b64 exec, exec, s[6:7]
	s_nop 0
	v_mfma_f32_16x16x4f32 a[0:3], v10, v20, a[0:3]
	s_movk_i32 s4, 0xff
	v_and_b32_sdwa v14, v15, s4 dst_sel:DWORD dst_unused:UNUSED_PAD src0_sel:WORD_1 src1_sel:DWORD
	s_movk_i32 s4, 0x7f
	v_cmp_lt_i16_e32 vcc, s4, v14
	s_mov_b64 s[4:5], 0
                                        ; implicit-def: $sgpr10
	s_and_saveexec_b64 s[6:7], vcc
	s_xor_b64 s[6:7], exec, s[6:7]
	s_cbranch_execnz .LBB43_3377
; %bb.1329:
	s_or_saveexec_b64 s[6:7], s[6:7]
	v_mov_b32_e32 v10, s10
	s_xor_b64 exec, exec, s[6:7]
	s_cbranch_execnz .LBB43_3380
.LBB43_1330:
	s_or_b64 exec, exec, s[6:7]
	s_and_saveexec_b64 s[6:7], s[4:5]
	s_cbranch_execz .LBB43_1332
.LBB43_1331:
	v_bfe_u32 v10, v15, 16, 3
	v_ffbh_u32_e32 v21, v10
	v_min_u32_e32 v21, 32, v21
	v_lshrrev_b32_e32 v14, 19, v15
	v_subrev_u32_e32 v22, 28, v21
	v_and_b32_e32 v14, 15, v14
	v_lshlrev_b32_sdwa v22, v22, v15 dst_sel:DWORD dst_unused:UNUSED_PAD src0_sel:DWORD src1_sel:WORD_1
	v_bfe_u32 v20, v15, 19, 4
	v_sub_u32_e32 v21, 29, v21
	v_and_b32_e32 v22, 7, v22
	v_cmp_eq_u16_e32 vcc, 0, v14
	v_cndmask_b32_e32 v10, v10, v22, vcc
	v_cndmask_b32_e32 v14, v20, v21, vcc
	v_lshlrev_b32_e32 v20, 8, v15
	v_mov_b32_e32 v21, 0x3b800000
	v_lshlrev_b32_e32 v10, 20, v10
	v_and_b32_e32 v20, 0x80000000, v20
	v_lshl_add_u32 v14, v14, 23, v21
	v_or3_b32 v10, v20, v14, v10
.LBB43_1332:
	s_or_b64 exec, exec, s[6:7]
	s_movk_i32 s4, 0xff
	v_and_b32_sdwa v14, v11, s4 dst_sel:DWORD dst_unused:UNUSED_PAD src0_sel:WORD_1 src1_sel:DWORD
	s_movk_i32 s4, 0x7f
	v_cmp_lt_i16_e32 vcc, s4, v14
	s_mov_b64 s[4:5], 0
                                        ; implicit-def: $sgpr10
	s_and_saveexec_b64 s[6:7], vcc
	s_xor_b64 s[6:7], exec, s[6:7]
	s_cbranch_execnz .LBB43_3381
; %bb.1333:
	s_or_saveexec_b64 s[6:7], s[6:7]
	v_mov_b32_e32 v20, s10
	s_xor_b64 exec, exec, s[6:7]
	s_cbranch_execnz .LBB43_3384
.LBB43_1334:
	s_or_b64 exec, exec, s[6:7]
	s_and_saveexec_b64 s[6:7], s[4:5]
	s_cbranch_execz .LBB43_1336
.LBB43_1335:
	v_bfe_u32 v14, v11, 16, 3
	v_ffbh_u32_e32 v22, v14
	v_min_u32_e32 v22, 32, v22
	v_lshrrev_b32_e32 v20, 19, v11
	v_subrev_u32_e32 v23, 28, v22
	v_and_b32_e32 v20, 15, v20
	v_lshlrev_b32_sdwa v23, v23, v11 dst_sel:DWORD dst_unused:UNUSED_PAD src0_sel:DWORD src1_sel:WORD_1
	v_bfe_u32 v21, v11, 19, 4
	v_sub_u32_e32 v22, 29, v22
	v_and_b32_e32 v23, 7, v23
	v_cmp_eq_u16_e32 vcc, 0, v20
	v_cndmask_b32_e32 v14, v14, v23, vcc
	v_cndmask_b32_e32 v20, v21, v22, vcc
	v_lshlrev_b32_e32 v21, 8, v11
	v_mov_b32_e32 v22, 0x3b800000
	v_lshlrev_b32_e32 v14, 20, v14
	v_and_b32_e32 v21, 0x80000000, v21
	v_lshl_add_u32 v20, v20, 23, v22
	v_or3_b32 v20, v21, v20, v14
.LBB43_1336:
	s_or_b64 exec, exec, s[6:7]
	s_nop 0
	v_mfma_f32_16x16x4f32 a[0:3], v10, v20, a[0:3]
	s_movk_i32 s4, 0x7f
	v_cmp_gt_i16_sdwa s[6:7], v15, s4 src0_sel:BYTE_3 src1_sel:DWORD
	s_mov_b64 s[4:5], 0
                                        ; implicit-def: $sgpr10
	s_and_saveexec_b64 s[8:9], s[6:7]
	s_xor_b64 s[6:7], exec, s[8:9]
	s_cbranch_execnz .LBB43_3385
; %bb.1337:
	s_or_saveexec_b64 s[6:7], s[6:7]
	v_mov_b32_e32 v10, s10
	s_xor_b64 exec, exec, s[6:7]
	s_cbranch_execnz .LBB43_3388
.LBB43_1338:
	s_or_b64 exec, exec, s[6:7]
	s_and_saveexec_b64 s[6:7], s[4:5]
	s_cbranch_execz .LBB43_1340
.LBB43_1339:
	v_bfe_u32 v10, v15, 24, 3
	v_ffbh_u32_e32 v22, v10
	v_min_u32_e32 v22, 32, v22
	v_lshrrev_b32_e32 v20, 27, v15
	v_subrev_u32_e32 v23, 28, v22
	v_and_b32_e32 v14, 0x80000000, v15
	v_and_b32_e32 v20, 15, v20
	v_bfe_u32 v21, v15, 27, 4
	v_lshlrev_b32_sdwa v15, v23, v15 dst_sel:DWORD dst_unused:UNUSED_PAD src0_sel:DWORD src1_sel:BYTE_3
	v_sub_u32_e32 v22, 29, v22
	v_and_b32_e32 v15, 7, v15
	v_cmp_eq_u16_e32 vcc, 0, v20
	v_cndmask_b32_e32 v10, v10, v15, vcc
	v_cndmask_b32_e32 v15, v21, v22, vcc
	v_mov_b32_e32 v20, 0x3b800000
	v_lshlrev_b32_e32 v10, 20, v10
	v_lshl_add_u32 v15, v15, 23, v20
	v_or3_b32 v10, v14, v15, v10
.LBB43_1340:
	s_or_b64 exec, exec, s[6:7]
	s_movk_i32 s4, 0x7f
	v_cmp_gt_i16_sdwa s[6:7], v11, s4 src0_sel:BYTE_3 src1_sel:DWORD
	s_mov_b64 s[4:5], 0
                                        ; implicit-def: $sgpr10
	s_and_saveexec_b64 s[8:9], s[6:7]
	s_xor_b64 s[6:7], exec, s[8:9]
	s_cbranch_execnz .LBB43_3389
; %bb.1341:
	s_or_saveexec_b64 s[6:7], s[6:7]
	v_mov_b32_e32 v14, s10
	s_xor_b64 exec, exec, s[6:7]
	s_cbranch_execnz .LBB43_3392
.LBB43_1342:
	s_or_b64 exec, exec, s[6:7]
	s_and_saveexec_b64 s[6:7], s[4:5]
	s_cbranch_execz .LBB43_1344
.LBB43_1343:
	v_bfe_u32 v14, v11, 24, 3
	v_ffbh_u32_e32 v22, v14
	v_min_u32_e32 v22, 32, v22
	v_lshrrev_b32_e32 v20, 27, v11
	v_subrev_u32_e32 v23, 28, v22
	v_and_b32_e32 v15, 0x80000000, v11
	v_and_b32_e32 v20, 15, v20
	v_bfe_u32 v21, v11, 27, 4
	v_lshlrev_b32_sdwa v11, v23, v11 dst_sel:DWORD dst_unused:UNUSED_PAD src0_sel:DWORD src1_sel:BYTE_3
	v_sub_u32_e32 v22, 29, v22
	v_and_b32_e32 v11, 7, v11
	v_cmp_eq_u16_e32 vcc, 0, v20
	v_cndmask_b32_e32 v11, v14, v11, vcc
	v_cndmask_b32_e32 v14, v21, v22, vcc
	v_mov_b32_e32 v20, 0x3b800000
	v_lshlrev_b32_e32 v11, 20, v11
	v_lshl_add_u32 v14, v14, 23, v20
	v_or3_b32 v14, v15, v14, v11
.LBB43_1344:
	s_or_b64 exec, exec, s[6:7]
	s_nop 0
	v_mfma_f32_16x16x4f32 a[0:3], v10, v14, a[0:3]
	s_movk_i32 s4, 0x7f
	v_cmp_gt_i16_sdwa s[6:7], v16, s4 src0_sel:BYTE_0 src1_sel:DWORD
	s_mov_b64 s[4:5], 0
                                        ; implicit-def: $sgpr10
	s_and_saveexec_b64 s[8:9], s[6:7]
	s_xor_b64 s[6:7], exec, s[8:9]
	s_cbranch_execnz .LBB43_3393
; %bb.1345:
	s_or_saveexec_b64 s[6:7], s[6:7]
	v_mov_b32_e32 v10, s10
	s_xor_b64 exec, exec, s[6:7]
	s_cbranch_execnz .LBB43_3396
.LBB43_1346:
	s_or_b64 exec, exec, s[6:7]
	s_and_saveexec_b64 s[6:7], s[4:5]
	s_cbranch_execz .LBB43_1348
.LBB43_1347:
	v_and_b32_e32 v10, 7, v16
	v_ffbh_u32_e32 v14, v10
	v_min_u32_e32 v14, 32, v14
	v_lshrrev_b16_e32 v11, 3, v16
	v_subrev_u32_e32 v15, 28, v14
	v_and_b32_e32 v11, 15, v11
	v_lshlrev_b32_e32 v15, v15, v16
	v_sub_u32_e32 v14, 29, v14
	v_and_b32_e32 v15, 7, v15
	v_cmp_eq_u16_e32 vcc, 0, v11
	v_cndmask_b32_e32 v10, v10, v15, vcc
	v_cndmask_b32_e32 v11, v11, v14, vcc
	v_lshlrev_b32_e32 v14, 24, v16
	v_mov_b32_e32 v15, 0x3b800000
	v_lshlrev_b32_e32 v10, 20, v10
	v_and_b32_e32 v14, 0x80000000, v14
	v_lshl_add_u32 v11, v11, 23, v15
	v_or3_b32 v10, v14, v11, v10
.LBB43_1348:
	s_or_b64 exec, exec, s[6:7]
	s_movk_i32 s4, 0x7f
	v_cmp_gt_i16_sdwa s[6:7], v12, s4 src0_sel:BYTE_0 src1_sel:DWORD
	s_mov_b64 s[4:5], 0
                                        ; implicit-def: $sgpr10
	s_and_saveexec_b64 s[8:9], s[6:7]
	s_xor_b64 s[6:7], exec, s[8:9]
	s_cbranch_execnz .LBB43_3397
; %bb.1349:
	s_or_saveexec_b64 s[6:7], s[6:7]
	v_mov_b32_e32 v11, s10
	s_xor_b64 exec, exec, s[6:7]
	s_cbranch_execnz .LBB43_3400
.LBB43_1350:
	s_or_b64 exec, exec, s[6:7]
	s_and_saveexec_b64 s[6:7], s[4:5]
	s_cbranch_execz .LBB43_1352
.LBB43_1351:
	v_and_b32_e32 v11, 7, v12
	v_ffbh_u32_e32 v15, v11
	v_min_u32_e32 v15, 32, v15
	v_lshrrev_b16_e32 v14, 3, v12
	v_subrev_u32_e32 v20, 28, v15
	v_and_b32_e32 v14, 15, v14
	v_lshlrev_b32_e32 v20, v20, v12
	v_sub_u32_e32 v15, 29, v15
	v_and_b32_e32 v20, 7, v20
	v_cmp_eq_u16_e32 vcc, 0, v14
	v_cndmask_b32_e32 v11, v11, v20, vcc
	v_cndmask_b32_e32 v14, v14, v15, vcc
	v_lshlrev_b32_e32 v15, 24, v12
	v_mov_b32_e32 v20, 0x3b800000
	v_lshlrev_b32_e32 v11, 20, v11
	v_and_b32_e32 v15, 0x80000000, v15
	v_lshl_add_u32 v14, v14, 23, v20
	v_or3_b32 v11, v15, v14, v11
.LBB43_1352:
	s_or_b64 exec, exec, s[6:7]
	s_nop 0
	v_mfma_f32_16x16x4f32 a[0:3], v10, v11, a[0:3]
	v_lshrrev_b32_e32 v11, 8, v16
	s_movk_i32 s4, 0x7f
	v_cmp_gt_i16_sdwa s[6:7], v11, s4 src0_sel:BYTE_0 src1_sel:DWORD
	s_mov_b64 s[4:5], 0
                                        ; implicit-def: $sgpr10
	s_and_saveexec_b64 s[8:9], s[6:7]
	s_xor_b64 s[6:7], exec, s[8:9]
	s_cbranch_execnz .LBB43_3401
; %bb.1353:
	s_or_saveexec_b64 s[6:7], s[6:7]
	v_mov_b32_e32 v10, s10
	s_xor_b64 exec, exec, s[6:7]
	s_cbranch_execnz .LBB43_3404
.LBB43_1354:
	s_or_b64 exec, exec, s[6:7]
	s_and_saveexec_b64 s[6:7], s[4:5]
	s_cbranch_execz .LBB43_1356
.LBB43_1355:
	v_bfe_u32 v10, v16, 8, 3
	v_ffbh_u32_e32 v15, v10
	v_min_u32_e32 v15, 32, v15
	v_lshrrev_b16_e32 v14, 3, v11
	v_subrev_u32_e32 v20, 28, v15
	v_and_b32_e32 v14, 15, v14
	v_lshlrev_b32_e32 v11, v20, v11
	v_sub_u32_e32 v15, 29, v15
	v_and_b32_e32 v11, 7, v11
	v_cmp_eq_u16_e32 vcc, 0, v14
	v_cndmask_b32_e32 v10, v10, v11, vcc
	v_cndmask_b32_e32 v11, v14, v15, vcc
	v_lshlrev_b32_e32 v14, 16, v16
	v_mov_b32_e32 v15, 0x3b800000
	v_lshlrev_b32_e32 v10, 20, v10
	v_and_b32_e32 v14, 0x80000000, v14
	v_lshl_add_u32 v11, v11, 23, v15
	v_or3_b32 v10, v14, v11, v10
.LBB43_1356:
	s_or_b64 exec, exec, s[6:7]
	v_lshrrev_b32_e32 v11, 8, v12
	s_movk_i32 s4, 0x7f
	v_cmp_gt_i16_sdwa s[6:7], v11, s4 src0_sel:BYTE_0 src1_sel:DWORD
	s_mov_b64 s[4:5], 0
                                        ; implicit-def: $sgpr10
	s_and_saveexec_b64 s[8:9], s[6:7]
	s_xor_b64 s[6:7], exec, s[8:9]
	s_cbranch_execnz .LBB43_3405
; %bb.1357:
	s_or_saveexec_b64 s[6:7], s[6:7]
	v_mov_b32_e32 v14, s10
	s_xor_b64 exec, exec, s[6:7]
	s_cbranch_execnz .LBB43_3408
.LBB43_1358:
	s_or_b64 exec, exec, s[6:7]
	s_and_saveexec_b64 s[6:7], s[4:5]
	s_cbranch_execz .LBB43_1360
.LBB43_1359:
	v_bfe_u32 v14, v12, 8, 3
	v_ffbh_u32_e32 v20, v14
	v_min_u32_e32 v20, 32, v20
	v_lshrrev_b16_e32 v15, 3, v11
	v_subrev_u32_e32 v21, 28, v20
	v_and_b32_e32 v15, 15, v15
	v_lshlrev_b32_e32 v11, v21, v11
	v_sub_u32_e32 v20, 29, v20
	v_and_b32_e32 v11, 7, v11
	v_cmp_eq_u16_e32 vcc, 0, v15
	v_cndmask_b32_e32 v11, v14, v11, vcc
	v_cndmask_b32_e32 v14, v15, v20, vcc
	v_lshlrev_b32_e32 v15, 16, v12
	v_mov_b32_e32 v20, 0x3b800000
	v_lshlrev_b32_e32 v11, 20, v11
	v_and_b32_e32 v15, 0x80000000, v15
	v_lshl_add_u32 v14, v14, 23, v20
	v_or3_b32 v14, v15, v14, v11
.LBB43_1360:
	s_or_b64 exec, exec, s[6:7]
	s_nop 0
	v_mfma_f32_16x16x4f32 a[0:3], v10, v14, a[0:3]
	s_movk_i32 s4, 0xff
	v_and_b32_sdwa v11, v16, s4 dst_sel:DWORD dst_unused:UNUSED_PAD src0_sel:WORD_1 src1_sel:DWORD
	s_movk_i32 s4, 0x7f
	v_cmp_lt_i16_e32 vcc, s4, v11
	s_mov_b64 s[4:5], 0
                                        ; implicit-def: $sgpr10
	s_and_saveexec_b64 s[6:7], vcc
	s_xor_b64 s[6:7], exec, s[6:7]
	s_cbranch_execnz .LBB43_3409
; %bb.1361:
	s_or_saveexec_b64 s[6:7], s[6:7]
	v_mov_b32_e32 v10, s10
	s_xor_b64 exec, exec, s[6:7]
	s_cbranch_execnz .LBB43_3412
.LBB43_1362:
	s_or_b64 exec, exec, s[6:7]
	s_and_saveexec_b64 s[6:7], s[4:5]
	s_cbranch_execz .LBB43_1364
.LBB43_1363:
	v_bfe_u32 v10, v16, 16, 3
	v_ffbh_u32_e32 v15, v10
	v_min_u32_e32 v15, 32, v15
	v_lshrrev_b32_e32 v11, 19, v16
	v_subrev_u32_e32 v20, 28, v15
	v_and_b32_e32 v11, 15, v11
	v_lshlrev_b32_sdwa v20, v20, v16 dst_sel:DWORD dst_unused:UNUSED_PAD src0_sel:DWORD src1_sel:WORD_1
	v_bfe_u32 v14, v16, 19, 4
	v_sub_u32_e32 v15, 29, v15
	v_and_b32_e32 v20, 7, v20
	v_cmp_eq_u16_e32 vcc, 0, v11
	v_cndmask_b32_e32 v10, v10, v20, vcc
	v_cndmask_b32_e32 v11, v14, v15, vcc
	v_lshlrev_b32_e32 v14, 8, v16
	v_mov_b32_e32 v15, 0x3b800000
	v_lshlrev_b32_e32 v10, 20, v10
	v_and_b32_e32 v14, 0x80000000, v14
	v_lshl_add_u32 v11, v11, 23, v15
	v_or3_b32 v10, v14, v11, v10
.LBB43_1364:
	s_or_b64 exec, exec, s[6:7]
	s_movk_i32 s4, 0xff
	v_and_b32_sdwa v11, v12, s4 dst_sel:DWORD dst_unused:UNUSED_PAD src0_sel:WORD_1 src1_sel:DWORD
	s_movk_i32 s4, 0x7f
	v_cmp_lt_i16_e32 vcc, s4, v11
	s_mov_b64 s[4:5], 0
                                        ; implicit-def: $sgpr10
	s_and_saveexec_b64 s[6:7], vcc
	s_xor_b64 s[6:7], exec, s[6:7]
	s_cbranch_execnz .LBB43_3413
; %bb.1365:
	s_or_saveexec_b64 s[6:7], s[6:7]
	v_mov_b32_e32 v14, s10
	s_xor_b64 exec, exec, s[6:7]
	s_cbranch_execnz .LBB43_3416
.LBB43_1366:
	s_or_b64 exec, exec, s[6:7]
	s_and_saveexec_b64 s[6:7], s[4:5]
	s_cbranch_execz .LBB43_1368
.LBB43_1367:
	v_bfe_u32 v11, v12, 16, 3
	v_ffbh_u32_e32 v20, v11
	v_min_u32_e32 v20, 32, v20
	v_lshrrev_b32_e32 v14, 19, v12
	v_subrev_u32_e32 v21, 28, v20
	v_and_b32_e32 v14, 15, v14
	v_lshlrev_b32_sdwa v21, v21, v12 dst_sel:DWORD dst_unused:UNUSED_PAD src0_sel:DWORD src1_sel:WORD_1
	v_bfe_u32 v15, v12, 19, 4
	v_sub_u32_e32 v20, 29, v20
	v_and_b32_e32 v21, 7, v21
	v_cmp_eq_u16_e32 vcc, 0, v14
	v_cndmask_b32_e32 v11, v11, v21, vcc
	v_cndmask_b32_e32 v14, v15, v20, vcc
	v_lshlrev_b32_e32 v15, 8, v12
	v_mov_b32_e32 v20, 0x3b800000
	v_lshlrev_b32_e32 v11, 20, v11
	v_and_b32_e32 v15, 0x80000000, v15
	v_lshl_add_u32 v14, v14, 23, v20
	v_or3_b32 v14, v15, v14, v11
.LBB43_1368:
	s_or_b64 exec, exec, s[6:7]
	s_nop 0
	v_mfma_f32_16x16x4f32 a[0:3], v10, v14, a[0:3]
	s_movk_i32 s4, 0x7f
	v_cmp_gt_i16_sdwa s[6:7], v16, s4 src0_sel:BYTE_3 src1_sel:DWORD
	s_mov_b64 s[4:5], 0
                                        ; implicit-def: $sgpr10
	s_and_saveexec_b64 s[8:9], s[6:7]
	s_xor_b64 s[6:7], exec, s[8:9]
	s_cbranch_execnz .LBB43_3417
; %bb.1369:
	s_or_saveexec_b64 s[6:7], s[6:7]
	v_mov_b32_e32 v10, s10
	s_xor_b64 exec, exec, s[6:7]
	s_cbranch_execnz .LBB43_3420
.LBB43_1370:
	s_or_b64 exec, exec, s[6:7]
	s_and_saveexec_b64 s[6:7], s[4:5]
	s_cbranch_execz .LBB43_1372
.LBB43_1371:
	v_bfe_u32 v10, v16, 24, 3
	v_ffbh_u32_e32 v20, v10
	v_min_u32_e32 v20, 32, v20
	v_lshrrev_b32_e32 v14, 27, v16
	v_subrev_u32_e32 v21, 28, v20
	v_and_b32_e32 v11, 0x80000000, v16
	v_and_b32_e32 v14, 15, v14
	v_bfe_u32 v15, v16, 27, 4
	v_lshlrev_b32_sdwa v16, v21, v16 dst_sel:DWORD dst_unused:UNUSED_PAD src0_sel:DWORD src1_sel:BYTE_3
	v_sub_u32_e32 v20, 29, v20
	v_and_b32_e32 v16, 7, v16
	v_cmp_eq_u16_e32 vcc, 0, v14
	v_cndmask_b32_e32 v10, v10, v16, vcc
	v_cndmask_b32_e32 v14, v15, v20, vcc
	v_mov_b32_e32 v15, 0x3b800000
	v_lshlrev_b32_e32 v10, 20, v10
	v_lshl_add_u32 v14, v14, 23, v15
	v_or3_b32 v10, v11, v14, v10
.LBB43_1372:
	s_or_b64 exec, exec, s[6:7]
	s_movk_i32 s4, 0x7f
	v_cmp_gt_i16_sdwa s[6:7], v12, s4 src0_sel:BYTE_3 src1_sel:DWORD
	s_mov_b64 s[4:5], 0
                                        ; implicit-def: $sgpr10
	s_and_saveexec_b64 s[8:9], s[6:7]
	s_xor_b64 s[6:7], exec, s[8:9]
	s_cbranch_execnz .LBB43_3421
; %bb.1373:
	s_or_saveexec_b64 s[6:7], s[6:7]
	v_mov_b32_e32 v11, s10
	s_xor_b64 exec, exec, s[6:7]
	s_cbranch_execnz .LBB43_3424
.LBB43_1374:
	s_or_b64 exec, exec, s[6:7]
	s_and_saveexec_b64 s[6:7], s[4:5]
	s_cbranch_execz .LBB43_1376
.LBB43_1375:
	v_bfe_u32 v11, v12, 24, 3
	v_ffbh_u32_e32 v20, v11
	v_min_u32_e32 v20, 32, v20
	v_lshrrev_b32_e32 v15, 27, v12
	v_subrev_u32_e32 v21, 28, v20
	v_and_b32_e32 v14, 0x80000000, v12
	v_and_b32_e32 v15, 15, v15
	v_bfe_u32 v16, v12, 27, 4
	v_lshlrev_b32_sdwa v12, v21, v12 dst_sel:DWORD dst_unused:UNUSED_PAD src0_sel:DWORD src1_sel:BYTE_3
	v_sub_u32_e32 v20, 29, v20
	v_and_b32_e32 v12, 7, v12
	v_cmp_eq_u16_e32 vcc, 0, v15
	v_cndmask_b32_e32 v11, v11, v12, vcc
	v_cndmask_b32_e32 v12, v16, v20, vcc
	v_mov_b32_e32 v15, 0x3b800000
	v_lshlrev_b32_e32 v11, 20, v11
	v_lshl_add_u32 v12, v12, 23, v15
	v_or3_b32 v11, v14, v12, v11
.LBB43_1376:
	s_or_b64 exec, exec, s[6:7]
	s_nop 0
	v_mfma_f32_16x16x4f32 a[0:3], v10, v11, a[0:3]
	s_movk_i32 s4, 0x7f
	v_cmp_gt_i16_sdwa s[6:7], v17, s4 src0_sel:BYTE_0 src1_sel:DWORD
	s_mov_b64 s[4:5], 0
                                        ; implicit-def: $sgpr10
	s_and_saveexec_b64 s[8:9], s[6:7]
	s_xor_b64 s[6:7], exec, s[8:9]
	s_cbranch_execnz .LBB43_3425
; %bb.1377:
	s_or_saveexec_b64 s[6:7], s[6:7]
	v_mov_b32_e32 v10, s10
	s_xor_b64 exec, exec, s[6:7]
	s_cbranch_execnz .LBB43_3428
.LBB43_1378:
	s_or_b64 exec, exec, s[6:7]
	s_and_saveexec_b64 s[6:7], s[4:5]
	s_cbranch_execz .LBB43_1380
.LBB43_1379:
	v_and_b32_e32 v10, 7, v17
	v_ffbh_u32_e32 v12, v10
	v_min_u32_e32 v12, 32, v12
	v_lshrrev_b16_e32 v11, 3, v17
	v_subrev_u32_e32 v14, 28, v12
	v_and_b32_e32 v11, 15, v11
	v_lshlrev_b32_e32 v14, v14, v17
	v_sub_u32_e32 v12, 29, v12
	v_and_b32_e32 v14, 7, v14
	v_cmp_eq_u16_e32 vcc, 0, v11
	v_cndmask_b32_e32 v10, v10, v14, vcc
	v_cndmask_b32_e32 v11, v11, v12, vcc
	v_lshlrev_b32_e32 v12, 24, v17
	v_mov_b32_e32 v14, 0x3b800000
	v_lshlrev_b32_e32 v10, 20, v10
	v_and_b32_e32 v12, 0x80000000, v12
	v_lshl_add_u32 v11, v11, 23, v14
	v_or3_b32 v10, v12, v11, v10
.LBB43_1380:
	s_or_b64 exec, exec, s[6:7]
	s_movk_i32 s4, 0x7f
	v_cmp_gt_i16_sdwa s[6:7], v13, s4 src0_sel:BYTE_0 src1_sel:DWORD
	s_mov_b64 s[4:5], 0
                                        ; implicit-def: $sgpr10
	s_and_saveexec_b64 s[8:9], s[6:7]
	s_xor_b64 s[6:7], exec, s[8:9]
	s_cbranch_execnz .LBB43_3429
; %bb.1381:
	s_or_saveexec_b64 s[6:7], s[6:7]
	v_mov_b32_e32 v11, s10
	s_xor_b64 exec, exec, s[6:7]
	s_cbranch_execnz .LBB43_3432
.LBB43_1382:
	s_or_b64 exec, exec, s[6:7]
	s_and_saveexec_b64 s[6:7], s[4:5]
	s_cbranch_execz .LBB43_1384
.LBB43_1383:
	v_and_b32_e32 v11, 7, v13
	v_ffbh_u32_e32 v14, v11
	v_min_u32_e32 v14, 32, v14
	v_lshrrev_b16_e32 v12, 3, v13
	v_subrev_u32_e32 v15, 28, v14
	v_and_b32_e32 v12, 15, v12
	v_lshlrev_b32_e32 v15, v15, v13
	v_sub_u32_e32 v14, 29, v14
	v_and_b32_e32 v15, 7, v15
	v_cmp_eq_u16_e32 vcc, 0, v12
	v_cndmask_b32_e32 v11, v11, v15, vcc
	v_cndmask_b32_e32 v12, v12, v14, vcc
	v_lshlrev_b32_e32 v14, 24, v13
	v_mov_b32_e32 v15, 0x3b800000
	v_lshlrev_b32_e32 v11, 20, v11
	v_and_b32_e32 v14, 0x80000000, v14
	v_lshl_add_u32 v12, v12, 23, v15
	v_or3_b32 v11, v14, v12, v11
.LBB43_1384:
	s_or_b64 exec, exec, s[6:7]
	s_nop 0
	v_mfma_f32_16x16x4f32 a[0:3], v10, v11, a[0:3]
	v_lshrrev_b32_e32 v11, 8, v17
	s_movk_i32 s4, 0x7f
	v_cmp_gt_i16_sdwa s[6:7], v11, s4 src0_sel:BYTE_0 src1_sel:DWORD
	s_mov_b64 s[4:5], 0
                                        ; implicit-def: $sgpr10
	s_and_saveexec_b64 s[8:9], s[6:7]
	s_xor_b64 s[6:7], exec, s[8:9]
	s_cbranch_execnz .LBB43_3433
; %bb.1385:
	s_or_saveexec_b64 s[6:7], s[6:7]
	v_mov_b32_e32 v10, s10
	s_xor_b64 exec, exec, s[6:7]
	s_cbranch_execnz .LBB43_3436
.LBB43_1386:
	s_or_b64 exec, exec, s[6:7]
	s_and_saveexec_b64 s[6:7], s[4:5]
	s_cbranch_execz .LBB43_1388
.LBB43_1387:
	v_bfe_u32 v10, v17, 8, 3
	v_ffbh_u32_e32 v14, v10
	v_min_u32_e32 v14, 32, v14
	v_lshrrev_b16_e32 v12, 3, v11
	v_subrev_u32_e32 v15, 28, v14
	v_and_b32_e32 v12, 15, v12
	v_lshlrev_b32_e32 v11, v15, v11
	v_sub_u32_e32 v14, 29, v14
	v_and_b32_e32 v11, 7, v11
	v_cmp_eq_u16_e32 vcc, 0, v12
	v_cndmask_b32_e32 v10, v10, v11, vcc
	v_cndmask_b32_e32 v11, v12, v14, vcc
	v_lshlrev_b32_e32 v12, 16, v17
	v_mov_b32_e32 v14, 0x3b800000
	v_lshlrev_b32_e32 v10, 20, v10
	v_and_b32_e32 v12, 0x80000000, v12
	v_lshl_add_u32 v11, v11, 23, v14
	v_or3_b32 v10, v12, v11, v10
.LBB43_1388:
	s_or_b64 exec, exec, s[6:7]
	v_lshrrev_b32_e32 v11, 8, v13
	s_movk_i32 s4, 0x7f
	v_cmp_gt_i16_sdwa s[6:7], v11, s4 src0_sel:BYTE_0 src1_sel:DWORD
	s_mov_b64 s[4:5], 0
                                        ; implicit-def: $sgpr10
	s_and_saveexec_b64 s[8:9], s[6:7]
	s_xor_b64 s[6:7], exec, s[8:9]
	s_cbranch_execnz .LBB43_3437
; %bb.1389:
	s_or_saveexec_b64 s[6:7], s[6:7]
	v_mov_b32_e32 v12, s10
	s_xor_b64 exec, exec, s[6:7]
	s_cbranch_execnz .LBB43_3440
.LBB43_1390:
	s_or_b64 exec, exec, s[6:7]
	s_and_saveexec_b64 s[6:7], s[4:5]
	s_cbranch_execz .LBB43_1392
.LBB43_1391:
	v_bfe_u32 v12, v13, 8, 3
	v_ffbh_u32_e32 v15, v12
	v_min_u32_e32 v15, 32, v15
	v_lshrrev_b16_e32 v14, 3, v11
	v_subrev_u32_e32 v16, 28, v15
	v_and_b32_e32 v14, 15, v14
	v_lshlrev_b32_e32 v11, v16, v11
	v_sub_u32_e32 v15, 29, v15
	v_and_b32_e32 v11, 7, v11
	v_cmp_eq_u16_e32 vcc, 0, v14
	v_cndmask_b32_e32 v11, v12, v11, vcc
	v_cndmask_b32_e32 v12, v14, v15, vcc
	v_lshlrev_b32_e32 v14, 16, v13
	v_mov_b32_e32 v15, 0x3b800000
	v_lshlrev_b32_e32 v11, 20, v11
	v_and_b32_e32 v14, 0x80000000, v14
	v_lshl_add_u32 v12, v12, 23, v15
	v_or3_b32 v12, v14, v12, v11
.LBB43_1392:
	s_or_b64 exec, exec, s[6:7]
	s_nop 0
	v_mfma_f32_16x16x4f32 a[0:3], v10, v12, a[0:3]
	s_movk_i32 s4, 0xff
	v_and_b32_sdwa v11, v17, s4 dst_sel:DWORD dst_unused:UNUSED_PAD src0_sel:WORD_1 src1_sel:DWORD
	s_movk_i32 s4, 0x7f
	v_cmp_lt_i16_e32 vcc, s4, v11
	s_mov_b64 s[4:5], 0
                                        ; implicit-def: $sgpr10
	s_and_saveexec_b64 s[6:7], vcc
	s_xor_b64 s[6:7], exec, s[6:7]
	s_cbranch_execnz .LBB43_3441
; %bb.1393:
	s_or_saveexec_b64 s[6:7], s[6:7]
	v_mov_b32_e32 v10, s10
	s_xor_b64 exec, exec, s[6:7]
	s_cbranch_execnz .LBB43_3444
.LBB43_1394:
	s_or_b64 exec, exec, s[6:7]
	s_and_saveexec_b64 s[6:7], s[4:5]
	s_cbranch_execz .LBB43_1396
.LBB43_1395:
	v_bfe_u32 v10, v17, 16, 3
	v_ffbh_u32_e32 v14, v10
	v_min_u32_e32 v14, 32, v14
	v_lshrrev_b32_e32 v11, 19, v17
	v_subrev_u32_e32 v15, 28, v14
	v_and_b32_e32 v11, 15, v11
	v_lshlrev_b32_sdwa v15, v15, v17 dst_sel:DWORD dst_unused:UNUSED_PAD src0_sel:DWORD src1_sel:WORD_1
	v_bfe_u32 v12, v17, 19, 4
	v_sub_u32_e32 v14, 29, v14
	v_and_b32_e32 v15, 7, v15
	v_cmp_eq_u16_e32 vcc, 0, v11
	v_cndmask_b32_e32 v10, v10, v15, vcc
	v_cndmask_b32_e32 v11, v12, v14, vcc
	v_lshlrev_b32_e32 v12, 8, v17
	v_mov_b32_e32 v14, 0x3b800000
	v_lshlrev_b32_e32 v10, 20, v10
	v_and_b32_e32 v12, 0x80000000, v12
	v_lshl_add_u32 v11, v11, 23, v14
	v_or3_b32 v10, v12, v11, v10
.LBB43_1396:
	s_or_b64 exec, exec, s[6:7]
	s_movk_i32 s4, 0xff
	v_and_b32_sdwa v11, v13, s4 dst_sel:DWORD dst_unused:UNUSED_PAD src0_sel:WORD_1 src1_sel:DWORD
	s_movk_i32 s4, 0x7f
	v_cmp_lt_i16_e32 vcc, s4, v11
	s_mov_b64 s[4:5], 0
                                        ; implicit-def: $sgpr10
	s_and_saveexec_b64 s[6:7], vcc
	s_xor_b64 s[6:7], exec, s[6:7]
	s_cbranch_execnz .LBB43_3445
; %bb.1397:
	s_or_saveexec_b64 s[6:7], s[6:7]
	v_mov_b32_e32 v12, s10
	s_xor_b64 exec, exec, s[6:7]
	s_cbranch_execnz .LBB43_3448
.LBB43_1398:
	s_or_b64 exec, exec, s[6:7]
	s_and_saveexec_b64 s[6:7], s[4:5]
	s_cbranch_execz .LBB43_1400
.LBB43_1399:
	v_bfe_u32 v11, v13, 16, 3
	v_ffbh_u32_e32 v15, v11
	v_min_u32_e32 v15, 32, v15
	v_lshrrev_b32_e32 v12, 19, v13
	v_subrev_u32_e32 v16, 28, v15
	v_and_b32_e32 v12, 15, v12
	v_lshlrev_b32_sdwa v16, v16, v13 dst_sel:DWORD dst_unused:UNUSED_PAD src0_sel:DWORD src1_sel:WORD_1
	v_bfe_u32 v14, v13, 19, 4
	v_sub_u32_e32 v15, 29, v15
	v_and_b32_e32 v16, 7, v16
	v_cmp_eq_u16_e32 vcc, 0, v12
	v_cndmask_b32_e32 v11, v11, v16, vcc
	v_cndmask_b32_e32 v12, v14, v15, vcc
	v_lshlrev_b32_e32 v14, 8, v13
	v_mov_b32_e32 v15, 0x3b800000
	v_lshlrev_b32_e32 v11, 20, v11
	v_and_b32_e32 v14, 0x80000000, v14
	v_lshl_add_u32 v12, v12, 23, v15
	v_or3_b32 v12, v14, v12, v11
.LBB43_1400:
	s_or_b64 exec, exec, s[6:7]
	s_nop 0
	v_mfma_f32_16x16x4f32 a[0:3], v10, v12, a[0:3]
	s_movk_i32 s4, 0x7f
	v_cmp_gt_i16_sdwa s[6:7], v17, s4 src0_sel:BYTE_3 src1_sel:DWORD
	s_mov_b64 s[4:5], 0
                                        ; implicit-def: $sgpr10
	s_and_saveexec_b64 s[8:9], s[6:7]
	s_xor_b64 s[6:7], exec, s[8:9]
	s_cbranch_execnz .LBB43_3449
; %bb.1401:
	s_or_saveexec_b64 s[6:7], s[6:7]
	v_mov_b32_e32 v10, s10
	s_xor_b64 exec, exec, s[6:7]
	s_cbranch_execnz .LBB43_3452
.LBB43_1402:
	s_or_b64 exec, exec, s[6:7]
	s_and_saveexec_b64 s[6:7], s[4:5]
	s_cbranch_execz .LBB43_1404
.LBB43_1403:
	v_bfe_u32 v10, v17, 24, 3
	v_ffbh_u32_e32 v15, v10
	v_min_u32_e32 v15, 32, v15
	v_lshrrev_b32_e32 v12, 27, v17
	v_subrev_u32_e32 v16, 28, v15
	v_and_b32_e32 v12, 15, v12
	v_lshlrev_b32_sdwa v16, v16, v17 dst_sel:DWORD dst_unused:UNUSED_PAD src0_sel:DWORD src1_sel:BYTE_3
	v_bfe_u32 v14, v17, 27, 4
	v_sub_u32_e32 v15, 29, v15
	v_and_b32_e32 v16, 7, v16
	v_cmp_eq_u16_e32 vcc, 0, v12
	v_cndmask_b32_e32 v10, v10, v16, vcc
	v_cndmask_b32_e32 v12, v14, v15, vcc
	v_mov_b32_e32 v14, 0x3b800000
	v_and_b32_e32 v11, 0x80000000, v17
	v_lshlrev_b32_e32 v10, 20, v10
	v_lshl_add_u32 v12, v12, 23, v14
	v_or3_b32 v10, v11, v12, v10
.LBB43_1404:
	s_or_b64 exec, exec, s[6:7]
	s_movk_i32 s4, 0x7f
	v_cmp_gt_i16_sdwa s[6:7], v13, s4 src0_sel:BYTE_3 src1_sel:DWORD
	s_mov_b64 s[4:5], 0
                                        ; implicit-def: $sgpr10
	s_and_saveexec_b64 s[8:9], s[6:7]
	s_xor_b64 s[6:7], exec, s[8:9]
	s_cbranch_execnz .LBB43_3453
; %bb.1405:
	s_or_saveexec_b64 s[6:7], s[6:7]
	v_mov_b32_e32 v11, s10
	s_xor_b64 exec, exec, s[6:7]
	s_cbranch_execnz .LBB43_3456
.LBB43_1406:
	s_or_b64 exec, exec, s[6:7]
	s_and_saveexec_b64 s[6:7], s[4:5]
	s_cbranch_execz .LBB43_1408
.LBB43_1407:
	v_bfe_u32 v11, v13, 24, 3
	v_ffbh_u32_e32 v16, v11
	v_min_u32_e32 v16, 32, v16
	v_lshrrev_b32_e32 v14, 27, v13
	v_subrev_u32_e32 v17, 28, v16
	v_and_b32_e32 v12, 0x80000000, v13
	v_and_b32_e32 v14, 15, v14
	v_bfe_u32 v15, v13, 27, 4
	v_lshlrev_b32_sdwa v13, v17, v13 dst_sel:DWORD dst_unused:UNUSED_PAD src0_sel:DWORD src1_sel:BYTE_3
	v_sub_u32_e32 v16, 29, v16
	v_and_b32_e32 v13, 7, v13
	v_cmp_eq_u16_e32 vcc, 0, v14
	v_cndmask_b32_e32 v11, v11, v13, vcc
	v_cndmask_b32_e32 v13, v15, v16, vcc
	v_mov_b32_e32 v14, 0x3b800000
	v_lshlrev_b32_e32 v11, 20, v11
	v_lshl_add_u32 v13, v13, 23, v14
	v_or3_b32 v11, v12, v13, v11
.LBB43_1408:
	s_or_b64 exec, exec, s[6:7]
	s_nop 0
	v_mfma_f32_16x16x4f32 a[0:3], v10, v11, a[0:3]
	s_movk_i32 s4, 0x7f
	v_cmp_gt_i16_sdwa s[6:7], v6, s4 src0_sel:BYTE_0 src1_sel:DWORD
	s_mov_b64 s[4:5], 0
                                        ; implicit-def: $sgpr10
	s_and_saveexec_b64 s[8:9], s[6:7]
	s_xor_b64 s[6:7], exec, s[8:9]
	s_cbranch_execnz .LBB43_3457
; %bb.1409:
	s_or_saveexec_b64 s[6:7], s[6:7]
	v_mov_b32_e32 v10, s10
	s_xor_b64 exec, exec, s[6:7]
	s_cbranch_execnz .LBB43_3460
.LBB43_1410:
	s_or_b64 exec, exec, s[6:7]
	s_and_saveexec_b64 s[6:7], s[4:5]
	s_cbranch_execz .LBB43_1412
.LBB43_1411:
	v_and_b32_e32 v10, 7, v6
	v_ffbh_u32_e32 v12, v10
	v_min_u32_e32 v12, 32, v12
	v_lshrrev_b16_e32 v11, 3, v6
	v_subrev_u32_e32 v13, 28, v12
	v_and_b32_e32 v11, 15, v11
	v_lshlrev_b32_e32 v13, v13, v6
	v_sub_u32_e32 v12, 29, v12
	v_and_b32_e32 v13, 7, v13
	v_cmp_eq_u16_e32 vcc, 0, v11
	v_cndmask_b32_e32 v10, v10, v13, vcc
	v_cndmask_b32_e32 v11, v11, v12, vcc
	v_lshlrev_b32_e32 v12, 24, v6
	v_mov_b32_e32 v13, 0x3b800000
	v_lshlrev_b32_e32 v10, 20, v10
	v_and_b32_e32 v12, 0x80000000, v12
	v_lshl_add_u32 v11, v11, 23, v13
	v_or3_b32 v10, v12, v11, v10
.LBB43_1412:
	s_or_b64 exec, exec, s[6:7]
	s_movk_i32 s4, 0x7f
	v_cmp_gt_i16_sdwa s[6:7], v2, s4 src0_sel:BYTE_0 src1_sel:DWORD
	s_mov_b64 s[4:5], 0
                                        ; implicit-def: $sgpr10
	s_and_saveexec_b64 s[8:9], s[6:7]
	s_xor_b64 s[6:7], exec, s[8:9]
	s_cbranch_execnz .LBB43_3461
; %bb.1413:
	s_or_saveexec_b64 s[6:7], s[6:7]
	v_mov_b32_e32 v11, s10
	s_xor_b64 exec, exec, s[6:7]
	s_cbranch_execnz .LBB43_3464
.LBB43_1414:
	s_or_b64 exec, exec, s[6:7]
	s_and_saveexec_b64 s[6:7], s[4:5]
	s_cbranch_execz .LBB43_1416
.LBB43_1415:
	v_and_b32_e32 v11, 7, v2
	v_ffbh_u32_e32 v13, v11
	v_min_u32_e32 v13, 32, v13
	v_lshrrev_b16_e32 v12, 3, v2
	v_subrev_u32_e32 v14, 28, v13
	v_and_b32_e32 v12, 15, v12
	v_lshlrev_b32_e32 v14, v14, v2
	v_sub_u32_e32 v13, 29, v13
	v_and_b32_e32 v14, 7, v14
	v_cmp_eq_u16_e32 vcc, 0, v12
	v_cndmask_b32_e32 v11, v11, v14, vcc
	v_cndmask_b32_e32 v12, v12, v13, vcc
	v_lshlrev_b32_e32 v13, 24, v2
	v_mov_b32_e32 v14, 0x3b800000
	v_lshlrev_b32_e32 v11, 20, v11
	v_and_b32_e32 v13, 0x80000000, v13
	v_lshl_add_u32 v12, v12, 23, v14
	v_or3_b32 v11, v13, v12, v11
.LBB43_1416:
	s_or_b64 exec, exec, s[6:7]
	s_nop 0
	v_mfma_f32_16x16x4f32 a[0:3], v10, v11, a[0:3]
	v_lshrrev_b32_e32 v11, 8, v6
	s_movk_i32 s4, 0x7f
	v_cmp_gt_i16_sdwa s[6:7], v11, s4 src0_sel:BYTE_0 src1_sel:DWORD
	s_mov_b64 s[4:5], 0
                                        ; implicit-def: $sgpr10
	s_and_saveexec_b64 s[8:9], s[6:7]
	s_xor_b64 s[6:7], exec, s[8:9]
	s_cbranch_execnz .LBB43_3465
; %bb.1417:
	s_or_saveexec_b64 s[6:7], s[6:7]
	v_mov_b32_e32 v10, s10
	s_xor_b64 exec, exec, s[6:7]
	s_cbranch_execnz .LBB43_3468
.LBB43_1418:
	s_or_b64 exec, exec, s[6:7]
	s_and_saveexec_b64 s[6:7], s[4:5]
	s_cbranch_execz .LBB43_1420
.LBB43_1419:
	v_bfe_u32 v10, v6, 8, 3
	v_ffbh_u32_e32 v13, v10
	v_min_u32_e32 v13, 32, v13
	v_lshrrev_b16_e32 v12, 3, v11
	v_subrev_u32_e32 v14, 28, v13
	v_and_b32_e32 v12, 15, v12
	v_lshlrev_b32_e32 v11, v14, v11
	v_sub_u32_e32 v13, 29, v13
	v_and_b32_e32 v11, 7, v11
	v_cmp_eq_u16_e32 vcc, 0, v12
	v_cndmask_b32_e32 v10, v10, v11, vcc
	v_cndmask_b32_e32 v11, v12, v13, vcc
	v_lshlrev_b32_e32 v12, 16, v6
	v_mov_b32_e32 v13, 0x3b800000
	v_lshlrev_b32_e32 v10, 20, v10
	v_and_b32_e32 v12, 0x80000000, v12
	v_lshl_add_u32 v11, v11, 23, v13
	v_or3_b32 v10, v12, v11, v10
.LBB43_1420:
	s_or_b64 exec, exec, s[6:7]
	v_lshrrev_b32_e32 v11, 8, v2
	s_movk_i32 s4, 0x7f
	v_cmp_gt_i16_sdwa s[6:7], v11, s4 src0_sel:BYTE_0 src1_sel:DWORD
	s_mov_b64 s[4:5], 0
                                        ; implicit-def: $sgpr10
	s_and_saveexec_b64 s[8:9], s[6:7]
	s_xor_b64 s[6:7], exec, s[8:9]
	s_cbranch_execnz .LBB43_3469
; %bb.1421:
	s_or_saveexec_b64 s[6:7], s[6:7]
	v_mov_b32_e32 v12, s10
	s_xor_b64 exec, exec, s[6:7]
	s_cbranch_execnz .LBB43_3472
.LBB43_1422:
	s_or_b64 exec, exec, s[6:7]
	s_and_saveexec_b64 s[6:7], s[4:5]
	s_cbranch_execz .LBB43_1424
.LBB43_1423:
	v_bfe_u32 v12, v2, 8, 3
	v_ffbh_u32_e32 v14, v12
	v_min_u32_e32 v14, 32, v14
	v_lshrrev_b16_e32 v13, 3, v11
	v_subrev_u32_e32 v15, 28, v14
	v_and_b32_e32 v13, 15, v13
	v_lshlrev_b32_e32 v11, v15, v11
	v_sub_u32_e32 v14, 29, v14
	v_and_b32_e32 v11, 7, v11
	v_cmp_eq_u16_e32 vcc, 0, v13
	v_cndmask_b32_e32 v11, v12, v11, vcc
	v_cndmask_b32_e32 v12, v13, v14, vcc
	v_lshlrev_b32_e32 v13, 16, v2
	v_mov_b32_e32 v14, 0x3b800000
	v_lshlrev_b32_e32 v11, 20, v11
	v_and_b32_e32 v13, 0x80000000, v13
	v_lshl_add_u32 v12, v12, 23, v14
	v_or3_b32 v12, v13, v12, v11
.LBB43_1424:
	s_or_b64 exec, exec, s[6:7]
	s_nop 0
	v_mfma_f32_16x16x4f32 a[0:3], v10, v12, a[0:3]
	s_movk_i32 s4, 0xff
	v_and_b32_sdwa v11, v6, s4 dst_sel:DWORD dst_unused:UNUSED_PAD src0_sel:WORD_1 src1_sel:DWORD
	s_movk_i32 s4, 0x7f
	v_cmp_lt_i16_e32 vcc, s4, v11
	s_mov_b64 s[4:5], 0
                                        ; implicit-def: $sgpr10
	s_and_saveexec_b64 s[6:7], vcc
	s_xor_b64 s[6:7], exec, s[6:7]
	s_cbranch_execnz .LBB43_3473
; %bb.1425:
	s_or_saveexec_b64 s[6:7], s[6:7]
	v_mov_b32_e32 v10, s10
	s_xor_b64 exec, exec, s[6:7]
	s_cbranch_execnz .LBB43_3476
.LBB43_1426:
	s_or_b64 exec, exec, s[6:7]
	s_and_saveexec_b64 s[6:7], s[4:5]
	s_cbranch_execz .LBB43_1428
.LBB43_1427:
	v_bfe_u32 v10, v6, 16, 3
	v_ffbh_u32_e32 v13, v10
	v_min_u32_e32 v13, 32, v13
	v_lshrrev_b32_e32 v11, 19, v6
	v_subrev_u32_e32 v14, 28, v13
	v_and_b32_e32 v11, 15, v11
	v_lshlrev_b32_sdwa v14, v14, v6 dst_sel:DWORD dst_unused:UNUSED_PAD src0_sel:DWORD src1_sel:WORD_1
	v_bfe_u32 v12, v6, 19, 4
	v_sub_u32_e32 v13, 29, v13
	v_and_b32_e32 v14, 7, v14
	v_cmp_eq_u16_e32 vcc, 0, v11
	v_cndmask_b32_e32 v10, v10, v14, vcc
	v_cndmask_b32_e32 v11, v12, v13, vcc
	v_lshlrev_b32_e32 v12, 8, v6
	v_mov_b32_e32 v13, 0x3b800000
	v_lshlrev_b32_e32 v10, 20, v10
	v_and_b32_e32 v12, 0x80000000, v12
	v_lshl_add_u32 v11, v11, 23, v13
	v_or3_b32 v10, v12, v11, v10
.LBB43_1428:
	s_or_b64 exec, exec, s[6:7]
	s_movk_i32 s4, 0xff
	v_and_b32_sdwa v11, v2, s4 dst_sel:DWORD dst_unused:UNUSED_PAD src0_sel:WORD_1 src1_sel:DWORD
	s_movk_i32 s4, 0x7f
	v_cmp_lt_i16_e32 vcc, s4, v11
	s_mov_b64 s[4:5], 0
                                        ; implicit-def: $sgpr10
	s_and_saveexec_b64 s[6:7], vcc
	s_xor_b64 s[6:7], exec, s[6:7]
	s_cbranch_execnz .LBB43_3477
; %bb.1429:
	s_or_saveexec_b64 s[6:7], s[6:7]
	v_mov_b32_e32 v12, s10
	s_xor_b64 exec, exec, s[6:7]
	s_cbranch_execnz .LBB43_3480
.LBB43_1430:
	s_or_b64 exec, exec, s[6:7]
	s_and_saveexec_b64 s[6:7], s[4:5]
	s_cbranch_execz .LBB43_1432
.LBB43_1431:
	v_bfe_u32 v11, v2, 16, 3
	v_ffbh_u32_e32 v14, v11
	v_min_u32_e32 v14, 32, v14
	v_lshrrev_b32_e32 v12, 19, v2
	v_subrev_u32_e32 v15, 28, v14
	v_and_b32_e32 v12, 15, v12
	v_lshlrev_b32_sdwa v15, v15, v2 dst_sel:DWORD dst_unused:UNUSED_PAD src0_sel:DWORD src1_sel:WORD_1
	v_bfe_u32 v13, v2, 19, 4
	v_sub_u32_e32 v14, 29, v14
	v_and_b32_e32 v15, 7, v15
	v_cmp_eq_u16_e32 vcc, 0, v12
	v_cndmask_b32_e32 v11, v11, v15, vcc
	v_cndmask_b32_e32 v12, v13, v14, vcc
	v_lshlrev_b32_e32 v13, 8, v2
	v_mov_b32_e32 v14, 0x3b800000
	v_lshlrev_b32_e32 v11, 20, v11
	v_and_b32_e32 v13, 0x80000000, v13
	v_lshl_add_u32 v12, v12, 23, v14
	v_or3_b32 v12, v13, v12, v11
.LBB43_1432:
	s_or_b64 exec, exec, s[6:7]
	s_nop 0
	v_mfma_f32_16x16x4f32 a[0:3], v10, v12, a[0:3]
	s_movk_i32 s4, 0x7f
	v_cmp_gt_i16_sdwa s[6:7], v6, s4 src0_sel:BYTE_3 src1_sel:DWORD
	s_mov_b64 s[4:5], 0
                                        ; implicit-def: $sgpr10
	s_and_saveexec_b64 s[8:9], s[6:7]
	s_xor_b64 s[6:7], exec, s[8:9]
	s_cbranch_execnz .LBB43_3481
; %bb.1433:
	s_or_saveexec_b64 s[6:7], s[6:7]
	v_mov_b32_e32 v10, s10
	s_xor_b64 exec, exec, s[6:7]
	s_cbranch_execnz .LBB43_3484
.LBB43_1434:
	s_or_b64 exec, exec, s[6:7]
	s_and_saveexec_b64 s[6:7], s[4:5]
	s_cbranch_execz .LBB43_1436
.LBB43_1435:
	v_bfe_u32 v10, v6, 24, 3
	v_ffbh_u32_e32 v14, v10
	v_min_u32_e32 v14, 32, v14
	v_lshrrev_b32_e32 v12, 27, v6
	v_subrev_u32_e32 v15, 28, v14
	v_and_b32_e32 v11, 0x80000000, v6
	v_and_b32_e32 v12, 15, v12
	v_bfe_u32 v13, v6, 27, 4
	v_lshlrev_b32_sdwa v6, v15, v6 dst_sel:DWORD dst_unused:UNUSED_PAD src0_sel:DWORD src1_sel:BYTE_3
	v_sub_u32_e32 v14, 29, v14
	v_and_b32_e32 v6, 7, v6
	v_cmp_eq_u16_e32 vcc, 0, v12
	v_cndmask_b32_e32 v6, v10, v6, vcc
	v_cndmask_b32_e32 v10, v13, v14, vcc
	v_mov_b32_e32 v12, 0x3b800000
	v_lshlrev_b32_e32 v6, 20, v6
	v_lshl_add_u32 v10, v10, 23, v12
	v_or3_b32 v10, v11, v10, v6
.LBB43_1436:
	s_or_b64 exec, exec, s[6:7]
	s_movk_i32 s4, 0x7f
	v_cmp_gt_i16_sdwa s[6:7], v2, s4 src0_sel:BYTE_3 src1_sel:DWORD
	s_mov_b64 s[4:5], 0
                                        ; implicit-def: $sgpr10
	s_and_saveexec_b64 s[8:9], s[6:7]
	s_xor_b64 s[6:7], exec, s[8:9]
	s_cbranch_execnz .LBB43_3485
; %bb.1437:
	s_or_saveexec_b64 s[6:7], s[6:7]
	v_mov_b32_e32 v6, s10
	s_xor_b64 exec, exec, s[6:7]
	s_cbranch_execnz .LBB43_3488
.LBB43_1438:
	s_or_b64 exec, exec, s[6:7]
	s_and_saveexec_b64 s[6:7], s[4:5]
	s_cbranch_execz .LBB43_1440
.LBB43_1439:
	v_bfe_u32 v6, v2, 24, 3
	v_ffbh_u32_e32 v14, v6
	v_min_u32_e32 v14, 32, v14
	v_lshrrev_b32_e32 v12, 27, v2
	v_subrev_u32_e32 v15, 28, v14
	v_and_b32_e32 v11, 0x80000000, v2
	v_and_b32_e32 v12, 15, v12
	v_bfe_u32 v13, v2, 27, 4
	v_lshlrev_b32_sdwa v2, v15, v2 dst_sel:DWORD dst_unused:UNUSED_PAD src0_sel:DWORD src1_sel:BYTE_3
	v_sub_u32_e32 v14, 29, v14
	v_and_b32_e32 v2, 7, v2
	v_cmp_eq_u16_e32 vcc, 0, v12
	v_cndmask_b32_e32 v2, v6, v2, vcc
	v_cndmask_b32_e32 v6, v13, v14, vcc
	v_mov_b32_e32 v12, 0x3b800000
	v_lshlrev_b32_e32 v2, 20, v2
	v_lshl_add_u32 v6, v6, 23, v12
	v_or3_b32 v6, v11, v6, v2
.LBB43_1440:
	s_or_b64 exec, exec, s[6:7]
	s_nop 0
	v_mfma_f32_16x16x4f32 a[0:3], v10, v6, a[0:3]
	s_movk_i32 s4, 0x7f
	v_cmp_gt_i16_sdwa s[6:7], v7, s4 src0_sel:BYTE_0 src1_sel:DWORD
	s_mov_b64 s[4:5], 0
                                        ; implicit-def: $sgpr10
	s_and_saveexec_b64 s[8:9], s[6:7]
	s_xor_b64 s[6:7], exec, s[8:9]
	s_cbranch_execnz .LBB43_3489
; %bb.1441:
	s_or_saveexec_b64 s[6:7], s[6:7]
	v_mov_b32_e32 v2, s10
	s_xor_b64 exec, exec, s[6:7]
	s_cbranch_execnz .LBB43_3492
.LBB43_1442:
	s_or_b64 exec, exec, s[6:7]
	s_and_saveexec_b64 s[6:7], s[4:5]
	s_cbranch_execz .LBB43_1444
.LBB43_1443:
	v_and_b32_e32 v2, 7, v7
	v_ffbh_u32_e32 v10, v2
	v_min_u32_e32 v10, 32, v10
	v_lshrrev_b16_e32 v6, 3, v7
	v_subrev_u32_e32 v11, 28, v10
	v_and_b32_e32 v6, 15, v6
	v_lshlrev_b32_e32 v11, v11, v7
	v_sub_u32_e32 v10, 29, v10
	v_and_b32_e32 v11, 7, v11
	v_cmp_eq_u16_e32 vcc, 0, v6
	v_cndmask_b32_e32 v2, v2, v11, vcc
	v_cndmask_b32_e32 v6, v6, v10, vcc
	v_lshlrev_b32_e32 v10, 24, v7
	v_mov_b32_e32 v11, 0x3b800000
	v_lshlrev_b32_e32 v2, 20, v2
	v_and_b32_e32 v10, 0x80000000, v10
	v_lshl_add_u32 v6, v6, 23, v11
	v_or3_b32 v2, v10, v6, v2
.LBB43_1444:
	s_or_b64 exec, exec, s[6:7]
	s_movk_i32 s4, 0x7f
	v_cmp_gt_i16_sdwa s[6:7], v3, s4 src0_sel:BYTE_0 src1_sel:DWORD
	s_mov_b64 s[4:5], 0
                                        ; implicit-def: $sgpr10
	s_and_saveexec_b64 s[8:9], s[6:7]
	s_xor_b64 s[6:7], exec, s[8:9]
	s_cbranch_execnz .LBB43_3493
; %bb.1445:
	s_or_saveexec_b64 s[6:7], s[6:7]
	v_mov_b32_e32 v6, s10
	s_xor_b64 exec, exec, s[6:7]
	s_cbranch_execnz .LBB43_3496
.LBB43_1446:
	s_or_b64 exec, exec, s[6:7]
	s_and_saveexec_b64 s[6:7], s[4:5]
	s_cbranch_execz .LBB43_1448
.LBB43_1447:
	v_and_b32_e32 v6, 7, v3
	v_ffbh_u32_e32 v11, v6
	v_min_u32_e32 v11, 32, v11
	v_lshrrev_b16_e32 v10, 3, v3
	v_subrev_u32_e32 v12, 28, v11
	v_and_b32_e32 v10, 15, v10
	v_lshlrev_b32_e32 v12, v12, v3
	v_sub_u32_e32 v11, 29, v11
	v_and_b32_e32 v12, 7, v12
	v_cmp_eq_u16_e32 vcc, 0, v10
	v_cndmask_b32_e32 v6, v6, v12, vcc
	v_cndmask_b32_e32 v10, v10, v11, vcc
	v_lshlrev_b32_e32 v11, 24, v3
	v_mov_b32_e32 v12, 0x3b800000
	v_lshlrev_b32_e32 v6, 20, v6
	v_and_b32_e32 v11, 0x80000000, v11
	v_lshl_add_u32 v10, v10, 23, v12
	v_or3_b32 v6, v11, v10, v6
.LBB43_1448:
	s_or_b64 exec, exec, s[6:7]
	s_nop 0
	v_mfma_f32_16x16x4f32 a[0:3], v2, v6, a[0:3]
	v_lshrrev_b32_e32 v6, 8, v7
	s_movk_i32 s4, 0x7f
	v_cmp_gt_i16_sdwa s[6:7], v6, s4 src0_sel:BYTE_0 src1_sel:DWORD
	s_mov_b64 s[4:5], 0
                                        ; implicit-def: $sgpr10
	s_and_saveexec_b64 s[8:9], s[6:7]
	s_xor_b64 s[6:7], exec, s[8:9]
	s_cbranch_execnz .LBB43_3497
; %bb.1449:
	s_or_saveexec_b64 s[6:7], s[6:7]
	v_mov_b32_e32 v2, s10
	s_xor_b64 exec, exec, s[6:7]
	s_cbranch_execnz .LBB43_3500
.LBB43_1450:
	s_or_b64 exec, exec, s[6:7]
	s_and_saveexec_b64 s[6:7], s[4:5]
	s_cbranch_execz .LBB43_1452
.LBB43_1451:
	v_bfe_u32 v2, v7, 8, 3
	v_ffbh_u32_e32 v11, v2
	v_min_u32_e32 v11, 32, v11
	v_lshrrev_b16_e32 v10, 3, v6
	v_subrev_u32_e32 v12, 28, v11
	v_and_b32_e32 v10, 15, v10
	v_lshlrev_b32_e32 v6, v12, v6
	v_sub_u32_e32 v11, 29, v11
	v_and_b32_e32 v6, 7, v6
	v_cmp_eq_u16_e32 vcc, 0, v10
	v_cndmask_b32_e32 v2, v2, v6, vcc
	v_cndmask_b32_e32 v6, v10, v11, vcc
	v_lshlrev_b32_e32 v10, 16, v7
	v_mov_b32_e32 v11, 0x3b800000
	v_lshlrev_b32_e32 v2, 20, v2
	v_and_b32_e32 v10, 0x80000000, v10
	v_lshl_add_u32 v6, v6, 23, v11
	v_or3_b32 v2, v10, v6, v2
.LBB43_1452:
	s_or_b64 exec, exec, s[6:7]
	v_lshrrev_b32_e32 v6, 8, v3
	s_movk_i32 s4, 0x7f
	v_cmp_gt_i16_sdwa s[6:7], v6, s4 src0_sel:BYTE_0 src1_sel:DWORD
	s_mov_b64 s[4:5], 0
                                        ; implicit-def: $sgpr10
	s_and_saveexec_b64 s[8:9], s[6:7]
	s_xor_b64 s[6:7], exec, s[8:9]
	s_cbranch_execnz .LBB43_3501
; %bb.1453:
	s_or_saveexec_b64 s[6:7], s[6:7]
	v_mov_b32_e32 v10, s10
	s_xor_b64 exec, exec, s[6:7]
	s_cbranch_execnz .LBB43_3504
.LBB43_1454:
	s_or_b64 exec, exec, s[6:7]
	s_and_saveexec_b64 s[6:7], s[4:5]
	s_cbranch_execz .LBB43_1456
.LBB43_1455:
	v_bfe_u32 v10, v3, 8, 3
	v_ffbh_u32_e32 v12, v10
	v_min_u32_e32 v12, 32, v12
	v_lshrrev_b16_e32 v11, 3, v6
	v_subrev_u32_e32 v13, 28, v12
	v_and_b32_e32 v11, 15, v11
	v_lshlrev_b32_e32 v6, v13, v6
	v_sub_u32_e32 v12, 29, v12
	v_and_b32_e32 v6, 7, v6
	v_cmp_eq_u16_e32 vcc, 0, v11
	v_cndmask_b32_e32 v6, v10, v6, vcc
	v_cndmask_b32_e32 v10, v11, v12, vcc
	v_lshlrev_b32_e32 v11, 16, v3
	v_mov_b32_e32 v12, 0x3b800000
	v_lshlrev_b32_e32 v6, 20, v6
	v_and_b32_e32 v11, 0x80000000, v11
	v_lshl_add_u32 v10, v10, 23, v12
	v_or3_b32 v10, v11, v10, v6
.LBB43_1456:
	s_or_b64 exec, exec, s[6:7]
	s_nop 0
	v_mfma_f32_16x16x4f32 a[0:3], v2, v10, a[0:3]
	s_movk_i32 s4, 0xff
	v_and_b32_sdwa v6, v7, s4 dst_sel:DWORD dst_unused:UNUSED_PAD src0_sel:WORD_1 src1_sel:DWORD
	s_movk_i32 s4, 0x7f
	v_cmp_lt_i16_e32 vcc, s4, v6
	s_mov_b64 s[4:5], 0
                                        ; implicit-def: $sgpr10
	s_and_saveexec_b64 s[6:7], vcc
	s_xor_b64 s[6:7], exec, s[6:7]
	s_cbranch_execnz .LBB43_3505
; %bb.1457:
	s_or_saveexec_b64 s[6:7], s[6:7]
	v_mov_b32_e32 v2, s10
	s_xor_b64 exec, exec, s[6:7]
	s_cbranch_execnz .LBB43_3508
.LBB43_1458:
	s_or_b64 exec, exec, s[6:7]
	s_and_saveexec_b64 s[6:7], s[4:5]
	s_cbranch_execz .LBB43_1460
.LBB43_1459:
	v_bfe_u32 v2, v7, 16, 3
	v_ffbh_u32_e32 v11, v2
	v_min_u32_e32 v11, 32, v11
	v_lshrrev_b32_e32 v6, 19, v7
	v_subrev_u32_e32 v12, 28, v11
	v_and_b32_e32 v6, 15, v6
	v_lshlrev_b32_sdwa v12, v12, v7 dst_sel:DWORD dst_unused:UNUSED_PAD src0_sel:DWORD src1_sel:WORD_1
	v_bfe_u32 v10, v7, 19, 4
	v_sub_u32_e32 v11, 29, v11
	v_and_b32_e32 v12, 7, v12
	v_cmp_eq_u16_e32 vcc, 0, v6
	v_cndmask_b32_e32 v2, v2, v12, vcc
	v_cndmask_b32_e32 v6, v10, v11, vcc
	v_lshlrev_b32_e32 v10, 8, v7
	v_mov_b32_e32 v11, 0x3b800000
	v_lshlrev_b32_e32 v2, 20, v2
	v_and_b32_e32 v10, 0x80000000, v10
	v_lshl_add_u32 v6, v6, 23, v11
	v_or3_b32 v2, v10, v6, v2
.LBB43_1460:
	s_or_b64 exec, exec, s[6:7]
	s_movk_i32 s4, 0xff
	v_and_b32_sdwa v6, v3, s4 dst_sel:DWORD dst_unused:UNUSED_PAD src0_sel:WORD_1 src1_sel:DWORD
	s_movk_i32 s4, 0x7f
	v_cmp_lt_i16_e32 vcc, s4, v6
	s_mov_b64 s[4:5], 0
                                        ; implicit-def: $sgpr10
	s_and_saveexec_b64 s[6:7], vcc
	s_xor_b64 s[6:7], exec, s[6:7]
	s_cbranch_execnz .LBB43_3509
; %bb.1461:
	s_or_saveexec_b64 s[6:7], s[6:7]
	v_mov_b32_e32 v10, s10
	s_xor_b64 exec, exec, s[6:7]
	s_cbranch_execnz .LBB43_3512
.LBB43_1462:
	s_or_b64 exec, exec, s[6:7]
	s_and_saveexec_b64 s[6:7], s[4:5]
	s_cbranch_execz .LBB43_1464
.LBB43_1463:
	v_bfe_u32 v6, v3, 16, 3
	v_ffbh_u32_e32 v12, v6
	v_min_u32_e32 v12, 32, v12
	v_lshrrev_b32_e32 v10, 19, v3
	v_subrev_u32_e32 v13, 28, v12
	v_and_b32_e32 v10, 15, v10
	v_lshlrev_b32_sdwa v13, v13, v3 dst_sel:DWORD dst_unused:UNUSED_PAD src0_sel:DWORD src1_sel:WORD_1
	v_bfe_u32 v11, v3, 19, 4
	v_sub_u32_e32 v12, 29, v12
	v_and_b32_e32 v13, 7, v13
	v_cmp_eq_u16_e32 vcc, 0, v10
	v_cndmask_b32_e32 v6, v6, v13, vcc
	v_cndmask_b32_e32 v10, v11, v12, vcc
	v_lshlrev_b32_e32 v11, 8, v3
	v_mov_b32_e32 v12, 0x3b800000
	v_lshlrev_b32_e32 v6, 20, v6
	v_and_b32_e32 v11, 0x80000000, v11
	v_lshl_add_u32 v10, v10, 23, v12
	v_or3_b32 v10, v11, v10, v6
.LBB43_1464:
	s_or_b64 exec, exec, s[6:7]
	s_nop 0
	v_mfma_f32_16x16x4f32 a[0:3], v2, v10, a[0:3]
	s_movk_i32 s4, 0x7f
	v_cmp_gt_i16_sdwa s[6:7], v7, s4 src0_sel:BYTE_3 src1_sel:DWORD
	s_mov_b64 s[4:5], 0
                                        ; implicit-def: $sgpr10
	s_and_saveexec_b64 s[8:9], s[6:7]
	s_xor_b64 s[6:7], exec, s[8:9]
	s_cbranch_execnz .LBB43_3513
; %bb.1465:
	s_or_saveexec_b64 s[6:7], s[6:7]
	v_mov_b32_e32 v2, s10
	s_xor_b64 exec, exec, s[6:7]
	s_cbranch_execnz .LBB43_3516
.LBB43_1466:
	s_or_b64 exec, exec, s[6:7]
	s_and_saveexec_b64 s[6:7], s[4:5]
	s_cbranch_execz .LBB43_1468
.LBB43_1467:
	v_bfe_u32 v2, v7, 24, 3
	v_ffbh_u32_e32 v12, v2
	v_min_u32_e32 v12, 32, v12
	v_lshrrev_b32_e32 v10, 27, v7
	v_subrev_u32_e32 v13, 28, v12
	v_and_b32_e32 v6, 0x80000000, v7
	v_and_b32_e32 v10, 15, v10
	v_bfe_u32 v11, v7, 27, 4
	v_lshlrev_b32_sdwa v7, v13, v7 dst_sel:DWORD dst_unused:UNUSED_PAD src0_sel:DWORD src1_sel:BYTE_3
	v_sub_u32_e32 v12, 29, v12
	v_and_b32_e32 v7, 7, v7
	v_cmp_eq_u16_e32 vcc, 0, v10
	v_cndmask_b32_e32 v2, v2, v7, vcc
	v_cndmask_b32_e32 v7, v11, v12, vcc
	v_mov_b32_e32 v10, 0x3b800000
	v_lshlrev_b32_e32 v2, 20, v2
	v_lshl_add_u32 v7, v7, 23, v10
	v_or3_b32 v2, v6, v7, v2
.LBB43_1468:
	s_or_b64 exec, exec, s[6:7]
	s_movk_i32 s4, 0x7f
	v_cmp_gt_i16_sdwa s[6:7], v3, s4 src0_sel:BYTE_3 src1_sel:DWORD
	s_mov_b64 s[4:5], 0
                                        ; implicit-def: $sgpr10
	s_and_saveexec_b64 s[8:9], s[6:7]
	s_xor_b64 s[6:7], exec, s[8:9]
	s_cbranch_execnz .LBB43_3517
; %bb.1469:
	s_or_saveexec_b64 s[6:7], s[6:7]
	v_mov_b32_e32 v6, s10
	s_xor_b64 exec, exec, s[6:7]
	s_cbranch_execnz .LBB43_3520
.LBB43_1470:
	s_or_b64 exec, exec, s[6:7]
	s_and_saveexec_b64 s[6:7], s[4:5]
	s_cbranch_execz .LBB43_1472
.LBB43_1471:
	v_bfe_u32 v6, v3, 24, 3
	v_ffbh_u32_e32 v12, v6
	v_min_u32_e32 v12, 32, v12
	v_lshrrev_b32_e32 v10, 27, v3
	v_subrev_u32_e32 v13, 28, v12
	v_and_b32_e32 v7, 0x80000000, v3
	v_and_b32_e32 v10, 15, v10
	v_bfe_u32 v11, v3, 27, 4
	v_lshlrev_b32_sdwa v3, v13, v3 dst_sel:DWORD dst_unused:UNUSED_PAD src0_sel:DWORD src1_sel:BYTE_3
	v_sub_u32_e32 v12, 29, v12
	v_and_b32_e32 v3, 7, v3
	v_cmp_eq_u16_e32 vcc, 0, v10
	v_cndmask_b32_e32 v3, v6, v3, vcc
	v_cndmask_b32_e32 v6, v11, v12, vcc
	v_mov_b32_e32 v10, 0x3b800000
	v_lshlrev_b32_e32 v3, 20, v3
	v_lshl_add_u32 v6, v6, 23, v10
	v_or3_b32 v6, v7, v6, v3
.LBB43_1472:
	s_or_b64 exec, exec, s[6:7]
	s_nop 0
	v_mfma_f32_16x16x4f32 a[0:3], v2, v6, a[0:3]
	s_movk_i32 s4, 0x7f
	v_cmp_gt_i16_sdwa s[6:7], v8, s4 src0_sel:BYTE_0 src1_sel:DWORD
	s_mov_b64 s[4:5], 0
                                        ; implicit-def: $sgpr10
	s_and_saveexec_b64 s[8:9], s[6:7]
	s_xor_b64 s[6:7], exec, s[8:9]
	s_cbranch_execnz .LBB43_3521
; %bb.1473:
	s_or_saveexec_b64 s[6:7], s[6:7]
	v_mov_b32_e32 v2, s10
	s_xor_b64 exec, exec, s[6:7]
	s_cbranch_execnz .LBB43_3524
.LBB43_1474:
	s_or_b64 exec, exec, s[6:7]
	s_and_saveexec_b64 s[6:7], s[4:5]
	s_cbranch_execz .LBB43_1476
.LBB43_1475:
	v_and_b32_e32 v2, 7, v8
	v_ffbh_u32_e32 v6, v2
	v_min_u32_e32 v6, 32, v6
	v_lshrrev_b16_e32 v3, 3, v8
	v_subrev_u32_e32 v7, 28, v6
	v_and_b32_e32 v3, 15, v3
	v_lshlrev_b32_e32 v7, v7, v8
	v_sub_u32_e32 v6, 29, v6
	v_and_b32_e32 v7, 7, v7
	v_cmp_eq_u16_e32 vcc, 0, v3
	v_cndmask_b32_e32 v2, v2, v7, vcc
	v_cndmask_b32_e32 v3, v3, v6, vcc
	v_lshlrev_b32_e32 v6, 24, v8
	v_mov_b32_e32 v7, 0x3b800000
	v_lshlrev_b32_e32 v2, 20, v2
	v_and_b32_e32 v6, 0x80000000, v6
	v_lshl_add_u32 v3, v3, 23, v7
	v_or3_b32 v2, v6, v3, v2
.LBB43_1476:
	s_or_b64 exec, exec, s[6:7]
	s_movk_i32 s4, 0x7f
	v_cmp_gt_i16_sdwa s[6:7], v4, s4 src0_sel:BYTE_0 src1_sel:DWORD
	s_mov_b64 s[4:5], 0
                                        ; implicit-def: $sgpr10
	s_and_saveexec_b64 s[8:9], s[6:7]
	s_xor_b64 s[6:7], exec, s[8:9]
	s_cbranch_execnz .LBB43_3525
; %bb.1477:
	s_or_saveexec_b64 s[6:7], s[6:7]
	v_mov_b32_e32 v3, s10
	s_xor_b64 exec, exec, s[6:7]
	s_cbranch_execnz .LBB43_3528
.LBB43_1478:
	s_or_b64 exec, exec, s[6:7]
	s_and_saveexec_b64 s[6:7], s[4:5]
	s_cbranch_execz .LBB43_1480
.LBB43_1479:
	v_and_b32_e32 v3, 7, v4
	v_ffbh_u32_e32 v7, v3
	v_min_u32_e32 v7, 32, v7
	v_lshrrev_b16_e32 v6, 3, v4
	v_subrev_u32_e32 v10, 28, v7
	v_and_b32_e32 v6, 15, v6
	v_lshlrev_b32_e32 v10, v10, v4
	v_sub_u32_e32 v7, 29, v7
	v_and_b32_e32 v10, 7, v10
	v_cmp_eq_u16_e32 vcc, 0, v6
	v_cndmask_b32_e32 v3, v3, v10, vcc
	v_cndmask_b32_e32 v6, v6, v7, vcc
	v_lshlrev_b32_e32 v7, 24, v4
	v_mov_b32_e32 v10, 0x3b800000
	v_lshlrev_b32_e32 v3, 20, v3
	v_and_b32_e32 v7, 0x80000000, v7
	v_lshl_add_u32 v6, v6, 23, v10
	v_or3_b32 v3, v7, v6, v3
.LBB43_1480:
	s_or_b64 exec, exec, s[6:7]
	s_nop 0
	v_mfma_f32_16x16x4f32 a[0:3], v2, v3, a[0:3]
	v_lshrrev_b32_e32 v3, 8, v8
	s_movk_i32 s4, 0x7f
	v_cmp_gt_i16_sdwa s[6:7], v3, s4 src0_sel:BYTE_0 src1_sel:DWORD
	s_mov_b64 s[4:5], 0
                                        ; implicit-def: $sgpr10
	s_and_saveexec_b64 s[8:9], s[6:7]
	s_xor_b64 s[6:7], exec, s[8:9]
	s_cbranch_execnz .LBB43_3529
; %bb.1481:
	s_or_saveexec_b64 s[6:7], s[6:7]
	v_mov_b32_e32 v2, s10
	s_xor_b64 exec, exec, s[6:7]
	s_cbranch_execnz .LBB43_3532
.LBB43_1482:
	s_or_b64 exec, exec, s[6:7]
	s_and_saveexec_b64 s[6:7], s[4:5]
	s_cbranch_execz .LBB43_1484
.LBB43_1483:
	v_bfe_u32 v2, v8, 8, 3
	v_ffbh_u32_e32 v7, v2
	v_min_u32_e32 v7, 32, v7
	v_lshrrev_b16_e32 v6, 3, v3
	v_subrev_u32_e32 v10, 28, v7
	v_and_b32_e32 v6, 15, v6
	v_lshlrev_b32_e32 v3, v10, v3
	v_sub_u32_e32 v7, 29, v7
	v_and_b32_e32 v3, 7, v3
	v_cmp_eq_u16_e32 vcc, 0, v6
	v_cndmask_b32_e32 v2, v2, v3, vcc
	v_cndmask_b32_e32 v3, v6, v7, vcc
	v_lshlrev_b32_e32 v6, 16, v8
	v_mov_b32_e32 v7, 0x3b800000
	v_lshlrev_b32_e32 v2, 20, v2
	v_and_b32_e32 v6, 0x80000000, v6
	v_lshl_add_u32 v3, v3, 23, v7
	v_or3_b32 v2, v6, v3, v2
.LBB43_1484:
	s_or_b64 exec, exec, s[6:7]
	v_lshrrev_b32_e32 v3, 8, v4
	s_movk_i32 s4, 0x7f
	v_cmp_gt_i16_sdwa s[6:7], v3, s4 src0_sel:BYTE_0 src1_sel:DWORD
	s_mov_b64 s[4:5], 0
                                        ; implicit-def: $sgpr10
	s_and_saveexec_b64 s[8:9], s[6:7]
	s_xor_b64 s[6:7], exec, s[8:9]
	s_cbranch_execnz .LBB43_3533
; %bb.1485:
	s_or_saveexec_b64 s[6:7], s[6:7]
	v_mov_b32_e32 v6, s10
	s_xor_b64 exec, exec, s[6:7]
	s_cbranch_execnz .LBB43_3536
.LBB43_1486:
	s_or_b64 exec, exec, s[6:7]
	s_and_saveexec_b64 s[6:7], s[4:5]
	s_cbranch_execz .LBB43_1488
.LBB43_1487:
	v_bfe_u32 v6, v4, 8, 3
	v_ffbh_u32_e32 v10, v6
	v_min_u32_e32 v10, 32, v10
	v_lshrrev_b16_e32 v7, 3, v3
	v_subrev_u32_e32 v11, 28, v10
	v_and_b32_e32 v7, 15, v7
	v_lshlrev_b32_e32 v3, v11, v3
	v_sub_u32_e32 v10, 29, v10
	v_and_b32_e32 v3, 7, v3
	v_cmp_eq_u16_e32 vcc, 0, v7
	v_cndmask_b32_e32 v3, v6, v3, vcc
	v_cndmask_b32_e32 v6, v7, v10, vcc
	v_lshlrev_b32_e32 v7, 16, v4
	v_mov_b32_e32 v10, 0x3b800000
	v_lshlrev_b32_e32 v3, 20, v3
	v_and_b32_e32 v7, 0x80000000, v7
	v_lshl_add_u32 v6, v6, 23, v10
	v_or3_b32 v6, v7, v6, v3
.LBB43_1488:
	s_or_b64 exec, exec, s[6:7]
	s_nop 0
	v_mfma_f32_16x16x4f32 a[0:3], v2, v6, a[0:3]
	s_movk_i32 s4, 0xff
	v_and_b32_sdwa v3, v8, s4 dst_sel:DWORD dst_unused:UNUSED_PAD src0_sel:WORD_1 src1_sel:DWORD
	s_movk_i32 s4, 0x7f
	v_cmp_lt_i16_e32 vcc, s4, v3
	s_mov_b64 s[4:5], 0
                                        ; implicit-def: $sgpr10
	s_and_saveexec_b64 s[6:7], vcc
	s_xor_b64 s[6:7], exec, s[6:7]
	s_cbranch_execnz .LBB43_3537
; %bb.1489:
	s_or_saveexec_b64 s[6:7], s[6:7]
	v_mov_b32_e32 v2, s10
	s_xor_b64 exec, exec, s[6:7]
	s_cbranch_execnz .LBB43_3540
.LBB43_1490:
	s_or_b64 exec, exec, s[6:7]
	s_and_saveexec_b64 s[6:7], s[4:5]
	s_cbranch_execz .LBB43_1492
.LBB43_1491:
	v_bfe_u32 v2, v8, 16, 3
	v_ffbh_u32_e32 v7, v2
	v_min_u32_e32 v7, 32, v7
	v_lshrrev_b32_e32 v3, 19, v8
	v_subrev_u32_e32 v10, 28, v7
	v_and_b32_e32 v3, 15, v3
	v_lshlrev_b32_sdwa v10, v10, v8 dst_sel:DWORD dst_unused:UNUSED_PAD src0_sel:DWORD src1_sel:WORD_1
	v_bfe_u32 v6, v8, 19, 4
	v_sub_u32_e32 v7, 29, v7
	v_and_b32_e32 v10, 7, v10
	v_cmp_eq_u16_e32 vcc, 0, v3
	v_cndmask_b32_e32 v2, v2, v10, vcc
	v_cndmask_b32_e32 v3, v6, v7, vcc
	v_lshlrev_b32_e32 v6, 8, v8
	v_mov_b32_e32 v7, 0x3b800000
	v_lshlrev_b32_e32 v2, 20, v2
	v_and_b32_e32 v6, 0x80000000, v6
	v_lshl_add_u32 v3, v3, 23, v7
	v_or3_b32 v2, v6, v3, v2
.LBB43_1492:
	s_or_b64 exec, exec, s[6:7]
	s_movk_i32 s4, 0xff
	v_and_b32_sdwa v3, v4, s4 dst_sel:DWORD dst_unused:UNUSED_PAD src0_sel:WORD_1 src1_sel:DWORD
	s_movk_i32 s4, 0x7f
	v_cmp_lt_i16_e32 vcc, s4, v3
	s_mov_b64 s[4:5], 0
                                        ; implicit-def: $sgpr10
	s_and_saveexec_b64 s[6:7], vcc
	s_xor_b64 s[6:7], exec, s[6:7]
	s_cbranch_execnz .LBB43_3541
; %bb.1493:
	s_or_saveexec_b64 s[6:7], s[6:7]
	v_mov_b32_e32 v6, s10
	s_xor_b64 exec, exec, s[6:7]
	s_cbranch_execnz .LBB43_3544
.LBB43_1494:
	s_or_b64 exec, exec, s[6:7]
	s_and_saveexec_b64 s[6:7], s[4:5]
	s_cbranch_execz .LBB43_1496
.LBB43_1495:
	v_bfe_u32 v3, v4, 16, 3
	v_ffbh_u32_e32 v10, v3
	v_min_u32_e32 v10, 32, v10
	v_lshrrev_b32_e32 v6, 19, v4
	v_subrev_u32_e32 v11, 28, v10
	v_and_b32_e32 v6, 15, v6
	v_lshlrev_b32_sdwa v11, v11, v4 dst_sel:DWORD dst_unused:UNUSED_PAD src0_sel:DWORD src1_sel:WORD_1
	v_bfe_u32 v7, v4, 19, 4
	v_sub_u32_e32 v10, 29, v10
	v_and_b32_e32 v11, 7, v11
	v_cmp_eq_u16_e32 vcc, 0, v6
	v_cndmask_b32_e32 v3, v3, v11, vcc
	v_cndmask_b32_e32 v6, v7, v10, vcc
	v_lshlrev_b32_e32 v7, 8, v4
	v_mov_b32_e32 v10, 0x3b800000
	v_lshlrev_b32_e32 v3, 20, v3
	v_and_b32_e32 v7, 0x80000000, v7
	v_lshl_add_u32 v6, v6, 23, v10
	v_or3_b32 v6, v7, v6, v3
.LBB43_1496:
	s_or_b64 exec, exec, s[6:7]
	s_nop 0
	v_mfma_f32_16x16x4f32 a[0:3], v2, v6, a[0:3]
	s_movk_i32 s4, 0x7f
	v_cmp_gt_i16_sdwa s[6:7], v8, s4 src0_sel:BYTE_3 src1_sel:DWORD
	s_mov_b64 s[4:5], 0
                                        ; implicit-def: $sgpr10
	s_and_saveexec_b64 s[8:9], s[6:7]
	s_xor_b64 s[6:7], exec, s[8:9]
	s_cbranch_execnz .LBB43_3545
; %bb.1497:
	s_or_saveexec_b64 s[6:7], s[6:7]
	v_mov_b32_e32 v2, s10
	s_xor_b64 exec, exec, s[6:7]
	s_cbranch_execnz .LBB43_3548
.LBB43_1498:
	s_or_b64 exec, exec, s[6:7]
	s_and_saveexec_b64 s[6:7], s[4:5]
	s_cbranch_execz .LBB43_1500
.LBB43_1499:
	v_bfe_u32 v2, v8, 24, 3
	v_ffbh_u32_e32 v10, v2
	v_min_u32_e32 v10, 32, v10
	v_lshrrev_b32_e32 v6, 27, v8
	v_subrev_u32_e32 v11, 28, v10
	v_and_b32_e32 v3, 0x80000000, v8
	v_and_b32_e32 v6, 15, v6
	v_bfe_u32 v7, v8, 27, 4
	v_lshlrev_b32_sdwa v8, v11, v8 dst_sel:DWORD dst_unused:UNUSED_PAD src0_sel:DWORD src1_sel:BYTE_3
	v_sub_u32_e32 v10, 29, v10
	v_and_b32_e32 v8, 7, v8
	v_cmp_eq_u16_e32 vcc, 0, v6
	v_cndmask_b32_e32 v2, v2, v8, vcc
	v_cndmask_b32_e32 v6, v7, v10, vcc
	v_mov_b32_e32 v7, 0x3b800000
	v_lshlrev_b32_e32 v2, 20, v2
	v_lshl_add_u32 v6, v6, 23, v7
	v_or3_b32 v2, v3, v6, v2
.LBB43_1500:
	s_or_b64 exec, exec, s[6:7]
	s_movk_i32 s4, 0x7f
	v_cmp_gt_i16_sdwa s[6:7], v4, s4 src0_sel:BYTE_3 src1_sel:DWORD
	s_mov_b64 s[4:5], 0
                                        ; implicit-def: $sgpr10
	s_and_saveexec_b64 s[8:9], s[6:7]
	s_xor_b64 s[6:7], exec, s[8:9]
	s_cbranch_execnz .LBB43_3549
; %bb.1501:
	s_or_saveexec_b64 s[6:7], s[6:7]
	v_mov_b32_e32 v3, s10
	s_xor_b64 exec, exec, s[6:7]
	s_cbranch_execnz .LBB43_3552
.LBB43_1502:
	s_or_b64 exec, exec, s[6:7]
	s_and_saveexec_b64 s[6:7], s[4:5]
	s_cbranch_execz .LBB43_1504
.LBB43_1503:
	v_bfe_u32 v3, v4, 24, 3
	v_ffbh_u32_e32 v10, v3
	v_min_u32_e32 v10, 32, v10
	v_lshrrev_b32_e32 v7, 27, v4
	v_subrev_u32_e32 v11, 28, v10
	v_and_b32_e32 v6, 0x80000000, v4
	v_and_b32_e32 v7, 15, v7
	v_bfe_u32 v8, v4, 27, 4
	v_lshlrev_b32_sdwa v4, v11, v4 dst_sel:DWORD dst_unused:UNUSED_PAD src0_sel:DWORD src1_sel:BYTE_3
	v_sub_u32_e32 v10, 29, v10
	v_and_b32_e32 v4, 7, v4
	v_cmp_eq_u16_e32 vcc, 0, v7
	v_cndmask_b32_e32 v3, v3, v4, vcc
	v_cndmask_b32_e32 v4, v8, v10, vcc
	v_mov_b32_e32 v7, 0x3b800000
	v_lshlrev_b32_e32 v3, 20, v3
	v_lshl_add_u32 v4, v4, 23, v7
	v_or3_b32 v3, v6, v4, v3
.LBB43_1504:
	s_or_b64 exec, exec, s[6:7]
	s_nop 0
	v_mfma_f32_16x16x4f32 a[0:3], v2, v3, a[0:3]
	s_movk_i32 s4, 0x7f
	v_cmp_gt_i16_sdwa s[6:7], v9, s4 src0_sel:BYTE_0 src1_sel:DWORD
	s_mov_b64 s[4:5], 0
                                        ; implicit-def: $sgpr10
	s_and_saveexec_b64 s[8:9], s[6:7]
	s_xor_b64 s[6:7], exec, s[8:9]
	s_cbranch_execnz .LBB43_3553
; %bb.1505:
	s_or_saveexec_b64 s[6:7], s[6:7]
	v_mov_b32_e32 v2, s10
	s_xor_b64 exec, exec, s[6:7]
	s_cbranch_execnz .LBB43_3556
.LBB43_1506:
	s_or_b64 exec, exec, s[6:7]
	s_and_saveexec_b64 s[6:7], s[4:5]
	s_cbranch_execz .LBB43_1508
.LBB43_1507:
	v_mov_b32_e32 v2, 8
	v_and_b32_e32 v3, 7, v9
	v_lshrrev_b32_sdwa v2, v2, v9 dst_sel:BYTE_1 dst_unused:UNUSED_PAD src0_sel:DWORD src1_sel:DWORD
	v_ffbh_u32_e32 v4, v3
	v_or_b32_sdwa v2, v9, v2 dst_sel:DWORD dst_unused:UNUSED_PAD src0_sel:BYTE_0 src1_sel:DWORD
	v_min_u32_e32 v4, 32, v4
	v_lshrrev_b16_e32 v2, 3, v2
	v_subrev_u32_e32 v6, 28, v4
	v_and_b32_e32 v2, 15, v2
	v_lshlrev_b32_e32 v6, v6, v9
	v_sub_u32_e32 v4, 29, v4
	v_and_b32_e32 v6, 7, v6
	v_cmp_eq_u16_e32 vcc, 0, v2
	v_cndmask_b32_e32 v3, v3, v6, vcc
	v_cndmask_b32_e32 v2, v2, v4, vcc
	v_lshlrev_b32_e32 v4, 24, v9
	v_mov_b32_e32 v6, 0x3b800000
	v_lshlrev_b32_e32 v3, 20, v3
	v_and_b32_e32 v4, 0x80000000, v4
	v_lshl_add_u32 v2, v2, 23, v6
	v_or3_b32 v2, v4, v2, v3
.LBB43_1508:
	s_or_b64 exec, exec, s[6:7]
	s_movk_i32 s4, 0x7f
	v_cmp_gt_i16_sdwa s[6:7], v5, s4 src0_sel:BYTE_0 src1_sel:DWORD
	s_mov_b64 s[4:5], 0
                                        ; implicit-def: $sgpr10
	s_and_saveexec_b64 s[8:9], s[6:7]
	s_xor_b64 s[6:7], exec, s[8:9]
	s_cbranch_execnz .LBB43_3557
; %bb.1509:
	s_or_saveexec_b64 s[6:7], s[6:7]
	v_mov_b32_e32 v3, s10
	s_xor_b64 exec, exec, s[6:7]
	s_cbranch_execnz .LBB43_3560
.LBB43_1510:
	s_or_b64 exec, exec, s[6:7]
	s_and_saveexec_b64 s[6:7], s[4:5]
	s_cbranch_execz .LBB43_1512
.LBB43_1511:
	v_mov_b32_e32 v3, 8
	v_and_b32_e32 v4, 7, v5
	v_lshrrev_b32_sdwa v3, v3, v5 dst_sel:BYTE_1 dst_unused:UNUSED_PAD src0_sel:DWORD src1_sel:DWORD
	v_ffbh_u32_e32 v6, v4
	v_or_b32_sdwa v3, v5, v3 dst_sel:DWORD dst_unused:UNUSED_PAD src0_sel:BYTE_0 src1_sel:DWORD
	v_min_u32_e32 v6, 32, v6
	v_lshrrev_b16_e32 v3, 3, v3
	v_subrev_u32_e32 v7, 28, v6
	v_and_b32_e32 v3, 15, v3
	v_lshlrev_b32_e32 v7, v7, v5
	v_sub_u32_e32 v6, 29, v6
	v_and_b32_e32 v7, 7, v7
	v_cmp_eq_u16_e32 vcc, 0, v3
	v_cndmask_b32_e32 v4, v4, v7, vcc
	v_cndmask_b32_e32 v3, v3, v6, vcc
	v_lshlrev_b32_e32 v6, 24, v5
	v_mov_b32_e32 v7, 0x3b800000
	v_lshlrev_b32_e32 v4, 20, v4
	v_and_b32_e32 v6, 0x80000000, v6
	v_lshl_add_u32 v3, v3, 23, v7
	v_or3_b32 v3, v6, v3, v4
.LBB43_1512:
	s_or_b64 exec, exec, s[6:7]
	s_nop 0
	v_mfma_f32_16x16x4f32 a[0:3], v2, v3, a[0:3]
	v_lshrrev_b32_e32 v3, 8, v9
	s_movk_i32 s4, 0x7f
	v_cmp_gt_i16_sdwa s[6:7], v3, s4 src0_sel:BYTE_0 src1_sel:DWORD
	s_mov_b64 s[4:5], 0
                                        ; implicit-def: $sgpr10
	s_and_saveexec_b64 s[8:9], s[6:7]
	s_xor_b64 s[6:7], exec, s[8:9]
	s_cbranch_execnz .LBB43_3561
; %bb.1513:
	s_or_saveexec_b64 s[6:7], s[6:7]
	v_mov_b32_e32 v2, s10
	s_xor_b64 exec, exec, s[6:7]
	s_cbranch_execnz .LBB43_3564
.LBB43_1514:
	s_or_b64 exec, exec, s[6:7]
	s_and_saveexec_b64 s[6:7], s[4:5]
	s_cbranch_execz .LBB43_1516
.LBB43_1515:
	v_bfe_u32 v2, v9, 8, 3
	v_ffbh_u32_e32 v6, v2
	v_min_u32_e32 v6, 32, v6
	v_lshrrev_b16_e32 v4, 3, v3
	v_subrev_u32_e32 v7, 28, v6
	v_and_b32_e32 v4, 15, v4
	v_lshlrev_b32_e32 v3, v7, v3
	v_sub_u32_e32 v6, 29, v6
	v_and_b32_e32 v3, 7, v3
	v_cmp_eq_u16_e32 vcc, 0, v4
	v_cndmask_b32_e32 v2, v2, v3, vcc
	v_cndmask_b32_e32 v3, v4, v6, vcc
	v_lshlrev_b32_e32 v4, 16, v9
	v_mov_b32_e32 v6, 0x3b800000
	v_lshlrev_b32_e32 v2, 20, v2
	v_and_b32_e32 v4, 0x80000000, v4
	v_lshl_add_u32 v3, v3, 23, v6
	v_or3_b32 v2, v4, v3, v2
.LBB43_1516:
	s_or_b64 exec, exec, s[6:7]
	v_lshrrev_b32_e32 v3, 8, v5
	s_movk_i32 s4, 0x7f
	v_cmp_gt_i16_sdwa s[6:7], v3, s4 src0_sel:BYTE_0 src1_sel:DWORD
	s_mov_b64 s[4:5], 0
                                        ; implicit-def: $sgpr10
	s_and_saveexec_b64 s[8:9], s[6:7]
	s_xor_b64 s[6:7], exec, s[8:9]
	s_cbranch_execnz .LBB43_3565
; %bb.1517:
	s_or_saveexec_b64 s[6:7], s[6:7]
	v_mov_b32_e32 v4, s10
	s_xor_b64 exec, exec, s[6:7]
	s_cbranch_execnz .LBB43_3568
.LBB43_1518:
	s_or_b64 exec, exec, s[6:7]
	s_and_saveexec_b64 s[6:7], s[4:5]
	s_cbranch_execz .LBB43_1520
.LBB43_1519:
	v_bfe_u32 v4, v5, 8, 3
	v_ffbh_u32_e32 v7, v4
	v_min_u32_e32 v7, 32, v7
	v_lshrrev_b16_e32 v6, 3, v3
	v_subrev_u32_e32 v8, 28, v7
	v_and_b32_e32 v6, 15, v6
	v_lshlrev_b32_e32 v3, v8, v3
	v_sub_u32_e32 v7, 29, v7
	v_and_b32_e32 v3, 7, v3
	v_cmp_eq_u16_e32 vcc, 0, v6
	v_cndmask_b32_e32 v3, v4, v3, vcc
	v_cndmask_b32_e32 v4, v6, v7, vcc
	v_lshlrev_b32_e32 v6, 16, v5
	v_mov_b32_e32 v7, 0x3b800000
	v_lshlrev_b32_e32 v3, 20, v3
	v_and_b32_e32 v6, 0x80000000, v6
	v_lshl_add_u32 v4, v4, 23, v7
	v_or3_b32 v4, v6, v4, v3
.LBB43_1520:
	s_or_b64 exec, exec, s[6:7]
	s_nop 0
	v_mfma_f32_16x16x4f32 a[0:3], v2, v4, a[0:3]
	s_movk_i32 s4, 0xff
	v_and_b32_sdwa v3, v9, s4 dst_sel:DWORD dst_unused:UNUSED_PAD src0_sel:WORD_1 src1_sel:DWORD
	s_movk_i32 s4, 0x7f
	v_cmp_lt_i16_e32 vcc, s4, v3
	s_mov_b64 s[4:5], 0
                                        ; implicit-def: $sgpr10
	s_and_saveexec_b64 s[6:7], vcc
	s_xor_b64 s[6:7], exec, s[6:7]
	s_cbranch_execnz .LBB43_3569
; %bb.1521:
	s_or_saveexec_b64 s[6:7], s[6:7]
	v_mov_b32_e32 v2, s10
	s_xor_b64 exec, exec, s[6:7]
	s_cbranch_execnz .LBB43_3572
.LBB43_1522:
	s_or_b64 exec, exec, s[6:7]
	s_and_saveexec_b64 s[6:7], s[4:5]
	s_cbranch_execz .LBB43_1524
.LBB43_1523:
	v_bfe_u32 v2, v9, 16, 3
	v_ffbh_u32_e32 v6, v2
	v_min_u32_e32 v6, 32, v6
	v_lshrrev_b32_e32 v3, 19, v9
	v_subrev_u32_e32 v7, 28, v6
	v_and_b32_e32 v3, 15, v3
	v_lshlrev_b32_sdwa v7, v7, v9 dst_sel:DWORD dst_unused:UNUSED_PAD src0_sel:DWORD src1_sel:WORD_1
	v_bfe_u32 v4, v9, 19, 4
	v_sub_u32_e32 v6, 29, v6
	v_and_b32_e32 v7, 7, v7
	v_cmp_eq_u16_e32 vcc, 0, v3
	v_cndmask_b32_e32 v2, v2, v7, vcc
	v_cndmask_b32_e32 v3, v4, v6, vcc
	v_lshlrev_b32_e32 v4, 8, v9
	v_mov_b32_e32 v6, 0x3b800000
	v_lshlrev_b32_e32 v2, 20, v2
	v_and_b32_e32 v4, 0x80000000, v4
	v_lshl_add_u32 v3, v3, 23, v6
	v_or3_b32 v2, v4, v3, v2
.LBB43_1524:
	s_or_b64 exec, exec, s[6:7]
	s_movk_i32 s4, 0xff
	v_and_b32_sdwa v3, v5, s4 dst_sel:DWORD dst_unused:UNUSED_PAD src0_sel:WORD_1 src1_sel:DWORD
	s_movk_i32 s4, 0x7f
	v_cmp_lt_i16_e32 vcc, s4, v3
	s_mov_b64 s[4:5], 0
                                        ; implicit-def: $sgpr10
	s_and_saveexec_b64 s[6:7], vcc
	s_xor_b64 s[6:7], exec, s[6:7]
	s_cbranch_execnz .LBB43_3573
; %bb.1525:
	s_or_saveexec_b64 s[6:7], s[6:7]
	v_mov_b32_e32 v4, s10
	s_xor_b64 exec, exec, s[6:7]
	s_cbranch_execnz .LBB43_3576
.LBB43_1526:
	s_or_b64 exec, exec, s[6:7]
	s_and_saveexec_b64 s[6:7], s[4:5]
	s_cbranch_execz .LBB43_1528
.LBB43_1527:
	v_bfe_u32 v3, v5, 16, 3
	v_ffbh_u32_e32 v7, v3
	v_min_u32_e32 v7, 32, v7
	v_lshrrev_b32_e32 v4, 19, v5
	v_subrev_u32_e32 v8, 28, v7
	v_and_b32_e32 v4, 15, v4
	v_lshlrev_b32_sdwa v8, v8, v5 dst_sel:DWORD dst_unused:UNUSED_PAD src0_sel:DWORD src1_sel:WORD_1
	v_bfe_u32 v6, v5, 19, 4
	v_sub_u32_e32 v7, 29, v7
	v_and_b32_e32 v8, 7, v8
	v_cmp_eq_u16_e32 vcc, 0, v4
	v_cndmask_b32_e32 v3, v3, v8, vcc
	v_cndmask_b32_e32 v4, v6, v7, vcc
	v_lshlrev_b32_e32 v6, 8, v5
	v_mov_b32_e32 v7, 0x3b800000
	v_lshlrev_b32_e32 v3, 20, v3
	v_and_b32_e32 v6, 0x80000000, v6
	v_lshl_add_u32 v4, v4, 23, v7
	v_or3_b32 v4, v6, v4, v3
.LBB43_1528:
	s_or_b64 exec, exec, s[6:7]
	s_nop 0
	v_mfma_f32_16x16x4f32 a[0:3], v2, v4, a[0:3]
	s_movk_i32 s4, 0x7f
	v_cmp_gt_i16_sdwa s[6:7], v9, s4 src0_sel:BYTE_3 src1_sel:DWORD
	s_mov_b64 s[4:5], 0
                                        ; implicit-def: $sgpr10
	s_and_saveexec_b64 s[8:9], s[6:7]
	s_xor_b64 s[6:7], exec, s[8:9]
	s_cbranch_execnz .LBB43_3577
; %bb.1529:
	s_or_saveexec_b64 s[6:7], s[6:7]
	v_mov_b32_e32 v2, s10
	s_xor_b64 exec, exec, s[6:7]
	s_cbranch_execnz .LBB43_3580
.LBB43_1530:
	s_or_b64 exec, exec, s[6:7]
	s_and_saveexec_b64 s[6:7], s[4:5]
	s_cbranch_execz .LBB43_1532
.LBB43_1531:
	v_bfe_u32 v2, v9, 24, 3
	v_ffbh_u32_e32 v7, v2
	v_min_u32_e32 v7, 32, v7
	v_lshrrev_b32_e32 v4, 27, v9
	v_subrev_u32_e32 v8, 28, v7
	v_and_b32_e32 v4, 15, v4
	v_lshlrev_b32_sdwa v8, v8, v9 dst_sel:DWORD dst_unused:UNUSED_PAD src0_sel:DWORD src1_sel:BYTE_3
	v_bfe_u32 v6, v9, 27, 4
	v_sub_u32_e32 v7, 29, v7
	v_and_b32_e32 v8, 7, v8
	v_cmp_eq_u16_e32 vcc, 0, v4
	v_cndmask_b32_e32 v2, v2, v8, vcc
	v_cndmask_b32_e32 v4, v6, v7, vcc
	v_mov_b32_e32 v6, 0x3b800000
	v_and_b32_e32 v3, 0x80000000, v9
	v_lshlrev_b32_e32 v2, 20, v2
	v_lshl_add_u32 v4, v4, 23, v6
	v_or3_b32 v2, v3, v4, v2
.LBB43_1532:
	s_or_b64 exec, exec, s[6:7]
	s_movk_i32 s4, 0x7f
	v_cmp_gt_i16_sdwa s[6:7], v5, s4 src0_sel:BYTE_3 src1_sel:DWORD
	s_mov_b64 s[4:5], 0
                                        ; implicit-def: $sgpr10
	s_and_saveexec_b64 s[8:9], s[6:7]
	s_xor_b64 s[6:7], exec, s[8:9]
	s_cbranch_execnz .LBB43_3581
; %bb.1533:
	s_or_saveexec_b64 s[6:7], s[6:7]
	v_mov_b32_e32 v3, s10
	s_xor_b64 exec, exec, s[6:7]
	s_cbranch_execnz .LBB43_3584
.LBB43_1534:
	s_or_b64 exec, exec, s[6:7]
	s_and_saveexec_b64 s[6:7], s[4:5]
	s_cbranch_execz .LBB43_1536
.LBB43_1535:
	v_bfe_u32 v3, v5, 24, 3
	v_ffbh_u32_e32 v8, v3
	v_min_u32_e32 v8, 32, v8
	v_lshrrev_b32_e32 v6, 27, v5
	v_subrev_u32_e32 v9, 28, v8
	v_and_b32_e32 v4, 0x80000000, v5
	v_and_b32_e32 v6, 15, v6
	v_bfe_u32 v7, v5, 27, 4
	v_lshlrev_b32_sdwa v5, v9, v5 dst_sel:DWORD dst_unused:UNUSED_PAD src0_sel:DWORD src1_sel:BYTE_3
	v_sub_u32_e32 v8, 29, v8
	v_and_b32_e32 v5, 7, v5
	v_cmp_eq_u16_e32 vcc, 0, v6
	v_cndmask_b32_e32 v3, v3, v5, vcc
	v_cndmask_b32_e32 v5, v7, v8, vcc
	v_mov_b32_e32 v6, 0x3b800000
	v_lshlrev_b32_e32 v3, 20, v3
	v_lshl_add_u32 v5, v5, 23, v6
	v_or3_b32 v3, v4, v5, v3
.LBB43_1536:
	s_or_b64 exec, exec, s[6:7]
	s_nop 0
	v_mfma_f32_16x16x4f32 a[0:3], v2, v3, a[0:3]
	s_movk_i32 s4, 0x7f
                                        ; implicit-def: $sgpr10
	s_nop 7
	s_nop 1
	flat_store_dwordx4 v[18:19], a[0:3] offset:976
	flat_load_dwordx4 v[20:23], v[0:1] offset:16
	s_nop 0
	flat_load_dwordx2 v[18:19], v[0:1] offset:32
	s_waitcnt vmcnt(0) lgkmcnt(0)
	flat_load_dwordx4 v[14:17], v[20:21] offset:32
	flat_load_dwordx4 v[6:9], v[20:21] offset:48
	;; [unrolled: 1-line block ×4, first 2 shown]
	s_waitcnt vmcnt(0) lgkmcnt(0)
	v_cmp_gt_i16_sdwa s[6:7], v14, s4 src0_sel:BYTE_0 src1_sel:DWORD
	s_mov_b64 s[4:5], 0
	s_and_saveexec_b64 s[8:9], s[6:7]
	s_xor_b64 s[6:7], exec, s[8:9]
	s_cbranch_execnz .LBB43_3585
; %bb.1537:
	s_or_saveexec_b64 s[6:7], s[6:7]
	v_mov_b32_e32 v20, s10
	s_xor_b64 exec, exec, s[6:7]
	s_cbranch_execnz .LBB43_3588
.LBB43_1538:
	s_or_b64 exec, exec, s[6:7]
	s_and_saveexec_b64 s[6:7], s[4:5]
	s_cbranch_execz .LBB43_1540
.LBB43_1539:
	v_and_b32_e32 v20, 7, v14
	v_ffbh_u32_e32 v22, v20
	v_min_u32_e32 v22, 32, v22
	v_lshrrev_b16_e32 v21, 3, v14
	v_subrev_u32_e32 v23, 28, v22
	v_and_b32_e32 v21, 15, v21
	v_lshlrev_b32_e32 v23, v23, v14
	v_sub_u32_e32 v22, 29, v22
	v_and_b32_e32 v23, 7, v23
	v_cmp_eq_u16_e32 vcc, 0, v21
	v_cndmask_b32_e32 v20, v20, v23, vcc
	v_cndmask_b32_e32 v21, v21, v22, vcc
	v_lshlrev_b32_e32 v22, 24, v14
	v_mov_b32_e32 v23, 0x3b800000
	v_lshlrev_b32_e32 v20, 20, v20
	v_and_b32_e32 v22, 0x80000000, v22
	v_lshl_add_u32 v21, v21, 23, v23
	v_or3_b32 v20, v22, v21, v20
.LBB43_1540:
	s_or_b64 exec, exec, s[6:7]
	s_movk_i32 s4, 0x7f
	v_cmp_gt_i16_sdwa s[6:7], v10, s4 src0_sel:BYTE_0 src1_sel:DWORD
	s_mov_b64 s[4:5], 0
                                        ; implicit-def: $sgpr10
	s_and_saveexec_b64 s[8:9], s[6:7]
	s_xor_b64 s[6:7], exec, s[8:9]
	s_cbranch_execnz .LBB43_3589
; %bb.1541:
	s_or_saveexec_b64 s[6:7], s[6:7]
	v_mov_b32_e32 v21, s10
	s_xor_b64 exec, exec, s[6:7]
	s_cbranch_execnz .LBB43_3592
.LBB43_1542:
	s_or_b64 exec, exec, s[6:7]
	s_and_saveexec_b64 s[6:7], s[4:5]
	s_cbranch_execz .LBB43_1544
.LBB43_1543:
	v_and_b32_e32 v21, 7, v10
	v_ffbh_u32_e32 v23, v21
	v_min_u32_e32 v23, 32, v23
	v_lshrrev_b16_e32 v22, 3, v10
	v_subrev_u32_e32 v24, 28, v23
	v_and_b32_e32 v22, 15, v22
	v_lshlrev_b32_e32 v24, v24, v10
	v_sub_u32_e32 v23, 29, v23
	v_and_b32_e32 v24, 7, v24
	v_cmp_eq_u16_e32 vcc, 0, v22
	v_cndmask_b32_e32 v21, v21, v24, vcc
	v_cndmask_b32_e32 v22, v22, v23, vcc
	v_lshlrev_b32_e32 v23, 24, v10
	v_mov_b32_e32 v24, 0x3b800000
	v_lshlrev_b32_e32 v21, 20, v21
	v_and_b32_e32 v23, 0x80000000, v23
	v_lshl_add_u32 v22, v22, 23, v24
	v_or3_b32 v21, v23, v22, v21
.LBB43_1544:
	s_or_b64 exec, exec, s[6:7]
	flat_load_dwordx4 a[0:3], v[18:19] offset:992
	s_movk_i32 s4, 0x7f
                                        ; implicit-def: $sgpr10
	s_waitcnt vmcnt(0) lgkmcnt(0)
	v_mfma_f32_16x16x4f32 a[0:3], v20, v21, a[0:3]
	v_lshrrev_b32_e32 v21, 8, v14
	v_cmp_gt_i16_sdwa s[6:7], v21, s4 src0_sel:BYTE_0 src1_sel:DWORD
	s_mov_b64 s[4:5], 0
	s_and_saveexec_b64 s[8:9], s[6:7]
	s_xor_b64 s[6:7], exec, s[8:9]
	s_cbranch_execnz .LBB43_3593
; %bb.1545:
	s_or_saveexec_b64 s[6:7], s[6:7]
	v_mov_b32_e32 v20, s10
	s_xor_b64 exec, exec, s[6:7]
	s_cbranch_execnz .LBB43_3596
.LBB43_1546:
	s_or_b64 exec, exec, s[6:7]
	s_and_saveexec_b64 s[6:7], s[4:5]
	s_cbranch_execz .LBB43_1548
.LBB43_1547:
	v_bfe_u32 v20, v14, 8, 3
	v_ffbh_u32_e32 v23, v20
	v_min_u32_e32 v23, 32, v23
	v_lshrrev_b16_e32 v22, 3, v21
	v_subrev_u32_e32 v24, 28, v23
	v_and_b32_e32 v22, 15, v22
	v_lshlrev_b32_e32 v21, v24, v21
	v_sub_u32_e32 v23, 29, v23
	v_and_b32_e32 v21, 7, v21
	v_cmp_eq_u16_e32 vcc, 0, v22
	v_cndmask_b32_e32 v20, v20, v21, vcc
	v_cndmask_b32_e32 v21, v22, v23, vcc
	v_lshlrev_b32_e32 v22, 16, v14
	v_mov_b32_e32 v23, 0x3b800000
	v_lshlrev_b32_e32 v20, 20, v20
	v_and_b32_e32 v22, 0x80000000, v22
	v_lshl_add_u32 v21, v21, 23, v23
	v_or3_b32 v20, v22, v21, v20
.LBB43_1548:
	s_or_b64 exec, exec, s[6:7]
	v_lshrrev_b32_e32 v21, 8, v10
	s_movk_i32 s4, 0x7f
	v_cmp_gt_i16_sdwa s[6:7], v21, s4 src0_sel:BYTE_0 src1_sel:DWORD
	s_mov_b64 s[4:5], 0
                                        ; implicit-def: $sgpr10
	s_and_saveexec_b64 s[8:9], s[6:7]
	s_xor_b64 s[6:7], exec, s[8:9]
	s_cbranch_execnz .LBB43_3597
; %bb.1549:
	s_or_saveexec_b64 s[6:7], s[6:7]
	v_mov_b32_e32 v22, s10
	s_xor_b64 exec, exec, s[6:7]
	s_cbranch_execnz .LBB43_3600
.LBB43_1550:
	s_or_b64 exec, exec, s[6:7]
	s_and_saveexec_b64 s[6:7], s[4:5]
	s_cbranch_execz .LBB43_1552
.LBB43_1551:
	v_bfe_u32 v22, v10, 8, 3
	v_ffbh_u32_e32 v24, v22
	v_min_u32_e32 v24, 32, v24
	v_lshrrev_b16_e32 v23, 3, v21
	v_subrev_u32_e32 v25, 28, v24
	v_and_b32_e32 v23, 15, v23
	v_lshlrev_b32_e32 v21, v25, v21
	v_sub_u32_e32 v24, 29, v24
	v_and_b32_e32 v21, 7, v21
	v_cmp_eq_u16_e32 vcc, 0, v23
	v_cndmask_b32_e32 v21, v22, v21, vcc
	v_cndmask_b32_e32 v22, v23, v24, vcc
	v_lshlrev_b32_e32 v23, 16, v10
	v_mov_b32_e32 v24, 0x3b800000
	v_lshlrev_b32_e32 v21, 20, v21
	v_and_b32_e32 v23, 0x80000000, v23
	v_lshl_add_u32 v22, v22, 23, v24
	v_or3_b32 v22, v23, v22, v21
.LBB43_1552:
	s_or_b64 exec, exec, s[6:7]
	s_nop 0
	v_mfma_f32_16x16x4f32 a[0:3], v20, v22, a[0:3]
	s_movk_i32 s4, 0xff
	v_and_b32_sdwa v21, v14, s4 dst_sel:DWORD dst_unused:UNUSED_PAD src0_sel:WORD_1 src1_sel:DWORD
	s_movk_i32 s4, 0x7f
	v_cmp_lt_i16_e32 vcc, s4, v21
	s_mov_b64 s[4:5], 0
                                        ; implicit-def: $sgpr10
	s_and_saveexec_b64 s[6:7], vcc
	s_xor_b64 s[6:7], exec, s[6:7]
	s_cbranch_execnz .LBB43_3601
; %bb.1553:
	s_or_saveexec_b64 s[6:7], s[6:7]
	v_mov_b32_e32 v20, s10
	s_xor_b64 exec, exec, s[6:7]
	s_cbranch_execnz .LBB43_3604
.LBB43_1554:
	s_or_b64 exec, exec, s[6:7]
	s_and_saveexec_b64 s[6:7], s[4:5]
	s_cbranch_execz .LBB43_1556
.LBB43_1555:
	v_bfe_u32 v20, v14, 16, 3
	v_ffbh_u32_e32 v23, v20
	v_min_u32_e32 v23, 32, v23
	v_lshrrev_b32_e32 v21, 19, v14
	v_subrev_u32_e32 v24, 28, v23
	v_and_b32_e32 v21, 15, v21
	v_lshlrev_b32_sdwa v24, v24, v14 dst_sel:DWORD dst_unused:UNUSED_PAD src0_sel:DWORD src1_sel:WORD_1
	v_bfe_u32 v22, v14, 19, 4
	v_sub_u32_e32 v23, 29, v23
	v_and_b32_e32 v24, 7, v24
	v_cmp_eq_u16_e32 vcc, 0, v21
	v_cndmask_b32_e32 v20, v20, v24, vcc
	v_cndmask_b32_e32 v21, v22, v23, vcc
	v_lshlrev_b32_e32 v22, 8, v14
	v_mov_b32_e32 v23, 0x3b800000
	v_lshlrev_b32_e32 v20, 20, v20
	v_and_b32_e32 v22, 0x80000000, v22
	v_lshl_add_u32 v21, v21, 23, v23
	v_or3_b32 v20, v22, v21, v20
.LBB43_1556:
	s_or_b64 exec, exec, s[6:7]
	s_movk_i32 s4, 0xff
	v_and_b32_sdwa v21, v10, s4 dst_sel:DWORD dst_unused:UNUSED_PAD src0_sel:WORD_1 src1_sel:DWORD
	s_movk_i32 s4, 0x7f
	v_cmp_lt_i16_e32 vcc, s4, v21
	s_mov_b64 s[4:5], 0
                                        ; implicit-def: $sgpr10
	s_and_saveexec_b64 s[6:7], vcc
	s_xor_b64 s[6:7], exec, s[6:7]
	s_cbranch_execnz .LBB43_3605
; %bb.1557:
	s_or_saveexec_b64 s[6:7], s[6:7]
	v_mov_b32_e32 v22, s10
	s_xor_b64 exec, exec, s[6:7]
	s_cbranch_execnz .LBB43_3608
.LBB43_1558:
	s_or_b64 exec, exec, s[6:7]
	s_and_saveexec_b64 s[6:7], s[4:5]
	s_cbranch_execz .LBB43_1560
.LBB43_1559:
	v_bfe_u32 v21, v10, 16, 3
	v_ffbh_u32_e32 v24, v21
	v_min_u32_e32 v24, 32, v24
	v_lshrrev_b32_e32 v22, 19, v10
	v_subrev_u32_e32 v25, 28, v24
	v_and_b32_e32 v22, 15, v22
	v_lshlrev_b32_sdwa v25, v25, v10 dst_sel:DWORD dst_unused:UNUSED_PAD src0_sel:DWORD src1_sel:WORD_1
	v_bfe_u32 v23, v10, 19, 4
	v_sub_u32_e32 v24, 29, v24
	v_and_b32_e32 v25, 7, v25
	v_cmp_eq_u16_e32 vcc, 0, v22
	v_cndmask_b32_e32 v21, v21, v25, vcc
	v_cndmask_b32_e32 v22, v23, v24, vcc
	v_lshlrev_b32_e32 v23, 8, v10
	v_mov_b32_e32 v24, 0x3b800000
	v_lshlrev_b32_e32 v21, 20, v21
	v_and_b32_e32 v23, 0x80000000, v23
	v_lshl_add_u32 v22, v22, 23, v24
	v_or3_b32 v22, v23, v22, v21
.LBB43_1560:
	s_or_b64 exec, exec, s[6:7]
	s_nop 0
	v_mfma_f32_16x16x4f32 a[0:3], v20, v22, a[0:3]
	s_movk_i32 s4, 0x7f
	v_cmp_gt_i16_sdwa s[6:7], v14, s4 src0_sel:BYTE_3 src1_sel:DWORD
	s_mov_b64 s[4:5], 0
                                        ; implicit-def: $sgpr10
	s_and_saveexec_b64 s[8:9], s[6:7]
	s_xor_b64 s[6:7], exec, s[8:9]
	s_cbranch_execnz .LBB43_3609
; %bb.1561:
	s_or_saveexec_b64 s[6:7], s[6:7]
	v_mov_b32_e32 v20, s10
	s_xor_b64 exec, exec, s[6:7]
	s_cbranch_execnz .LBB43_3612
.LBB43_1562:
	s_or_b64 exec, exec, s[6:7]
	s_and_saveexec_b64 s[6:7], s[4:5]
	s_cbranch_execz .LBB43_1564
.LBB43_1563:
	v_bfe_u32 v20, v14, 24, 3
	v_ffbh_u32_e32 v24, v20
	v_min_u32_e32 v24, 32, v24
	v_lshrrev_b32_e32 v22, 27, v14
	v_subrev_u32_e32 v25, 28, v24
	v_and_b32_e32 v21, 0x80000000, v14
	v_and_b32_e32 v22, 15, v22
	v_bfe_u32 v23, v14, 27, 4
	v_lshlrev_b32_sdwa v14, v25, v14 dst_sel:DWORD dst_unused:UNUSED_PAD src0_sel:DWORD src1_sel:BYTE_3
	v_sub_u32_e32 v24, 29, v24
	v_and_b32_e32 v14, 7, v14
	v_cmp_eq_u16_e32 vcc, 0, v22
	v_cndmask_b32_e32 v14, v20, v14, vcc
	v_cndmask_b32_e32 v20, v23, v24, vcc
	v_mov_b32_e32 v22, 0x3b800000
	v_lshlrev_b32_e32 v14, 20, v14
	v_lshl_add_u32 v20, v20, 23, v22
	v_or3_b32 v20, v21, v20, v14
.LBB43_1564:
	s_or_b64 exec, exec, s[6:7]
	s_movk_i32 s4, 0x7f
	v_cmp_gt_i16_sdwa s[6:7], v10, s4 src0_sel:BYTE_3 src1_sel:DWORD
	s_mov_b64 s[4:5], 0
                                        ; implicit-def: $sgpr10
	s_and_saveexec_b64 s[8:9], s[6:7]
	s_xor_b64 s[6:7], exec, s[8:9]
	s_cbranch_execnz .LBB43_3613
; %bb.1565:
	s_or_saveexec_b64 s[6:7], s[6:7]
	v_mov_b32_e32 v14, s10
	s_xor_b64 exec, exec, s[6:7]
	s_cbranch_execnz .LBB43_3616
.LBB43_1566:
	s_or_b64 exec, exec, s[6:7]
	s_and_saveexec_b64 s[6:7], s[4:5]
	s_cbranch_execz .LBB43_1568
.LBB43_1567:
	v_bfe_u32 v14, v10, 24, 3
	v_ffbh_u32_e32 v24, v14
	v_min_u32_e32 v24, 32, v24
	v_lshrrev_b32_e32 v22, 27, v10
	v_subrev_u32_e32 v25, 28, v24
	v_and_b32_e32 v21, 0x80000000, v10
	v_and_b32_e32 v22, 15, v22
	v_bfe_u32 v23, v10, 27, 4
	v_lshlrev_b32_sdwa v10, v25, v10 dst_sel:DWORD dst_unused:UNUSED_PAD src0_sel:DWORD src1_sel:BYTE_3
	v_sub_u32_e32 v24, 29, v24
	v_and_b32_e32 v10, 7, v10
	v_cmp_eq_u16_e32 vcc, 0, v22
	v_cndmask_b32_e32 v10, v14, v10, vcc
	v_cndmask_b32_e32 v14, v23, v24, vcc
	v_mov_b32_e32 v22, 0x3b800000
	v_lshlrev_b32_e32 v10, 20, v10
	v_lshl_add_u32 v14, v14, 23, v22
	v_or3_b32 v14, v21, v14, v10
.LBB43_1568:
	s_or_b64 exec, exec, s[6:7]
	s_nop 0
	v_mfma_f32_16x16x4f32 a[0:3], v20, v14, a[0:3]
	s_movk_i32 s4, 0x7f
	v_cmp_gt_i16_sdwa s[6:7], v15, s4 src0_sel:BYTE_0 src1_sel:DWORD
	s_mov_b64 s[4:5], 0
                                        ; implicit-def: $sgpr10
	s_and_saveexec_b64 s[8:9], s[6:7]
	s_xor_b64 s[6:7], exec, s[8:9]
	s_cbranch_execnz .LBB43_3617
; %bb.1569:
	s_or_saveexec_b64 s[6:7], s[6:7]
	v_mov_b32_e32 v10, s10
	s_xor_b64 exec, exec, s[6:7]
	s_cbranch_execnz .LBB43_3620
.LBB43_1570:
	s_or_b64 exec, exec, s[6:7]
	s_and_saveexec_b64 s[6:7], s[4:5]
	s_cbranch_execz .LBB43_1572
.LBB43_1571:
	v_and_b32_e32 v10, 7, v15
	v_ffbh_u32_e32 v20, v10
	v_min_u32_e32 v20, 32, v20
	v_lshrrev_b16_e32 v14, 3, v15
	v_subrev_u32_e32 v21, 28, v20
	v_and_b32_e32 v14, 15, v14
	v_lshlrev_b32_e32 v21, v21, v15
	v_sub_u32_e32 v20, 29, v20
	v_and_b32_e32 v21, 7, v21
	v_cmp_eq_u16_e32 vcc, 0, v14
	v_cndmask_b32_e32 v10, v10, v21, vcc
	v_cndmask_b32_e32 v14, v14, v20, vcc
	v_lshlrev_b32_e32 v20, 24, v15
	v_mov_b32_e32 v21, 0x3b800000
	v_lshlrev_b32_e32 v10, 20, v10
	v_and_b32_e32 v20, 0x80000000, v20
	v_lshl_add_u32 v14, v14, 23, v21
	v_or3_b32 v10, v20, v14, v10
.LBB43_1572:
	s_or_b64 exec, exec, s[6:7]
	s_movk_i32 s4, 0x7f
	v_cmp_gt_i16_sdwa s[6:7], v11, s4 src0_sel:BYTE_0 src1_sel:DWORD
	s_mov_b64 s[4:5], 0
                                        ; implicit-def: $sgpr10
	s_and_saveexec_b64 s[8:9], s[6:7]
	s_xor_b64 s[6:7], exec, s[8:9]
	s_cbranch_execnz .LBB43_3621
; %bb.1573:
	s_or_saveexec_b64 s[6:7], s[6:7]
	v_mov_b32_e32 v14, s10
	s_xor_b64 exec, exec, s[6:7]
	s_cbranch_execnz .LBB43_3624
.LBB43_1574:
	s_or_b64 exec, exec, s[6:7]
	s_and_saveexec_b64 s[6:7], s[4:5]
	s_cbranch_execz .LBB43_1576
.LBB43_1575:
	v_and_b32_e32 v14, 7, v11
	v_ffbh_u32_e32 v21, v14
	v_min_u32_e32 v21, 32, v21
	v_lshrrev_b16_e32 v20, 3, v11
	v_subrev_u32_e32 v22, 28, v21
	v_and_b32_e32 v20, 15, v20
	v_lshlrev_b32_e32 v22, v22, v11
	v_sub_u32_e32 v21, 29, v21
	v_and_b32_e32 v22, 7, v22
	v_cmp_eq_u16_e32 vcc, 0, v20
	v_cndmask_b32_e32 v14, v14, v22, vcc
	v_cndmask_b32_e32 v20, v20, v21, vcc
	v_lshlrev_b32_e32 v21, 24, v11
	v_mov_b32_e32 v22, 0x3b800000
	v_lshlrev_b32_e32 v14, 20, v14
	v_and_b32_e32 v21, 0x80000000, v21
	v_lshl_add_u32 v20, v20, 23, v22
	v_or3_b32 v14, v21, v20, v14
.LBB43_1576:
	s_or_b64 exec, exec, s[6:7]
	s_nop 0
	v_mfma_f32_16x16x4f32 a[0:3], v10, v14, a[0:3]
	v_lshrrev_b32_e32 v14, 8, v15
	s_movk_i32 s4, 0x7f
	v_cmp_gt_i16_sdwa s[6:7], v14, s4 src0_sel:BYTE_0 src1_sel:DWORD
	s_mov_b64 s[4:5], 0
                                        ; implicit-def: $sgpr10
	s_and_saveexec_b64 s[8:9], s[6:7]
	s_xor_b64 s[6:7], exec, s[8:9]
	s_cbranch_execnz .LBB43_3625
; %bb.1577:
	s_or_saveexec_b64 s[6:7], s[6:7]
	v_mov_b32_e32 v10, s10
	s_xor_b64 exec, exec, s[6:7]
	s_cbranch_execnz .LBB43_3628
.LBB43_1578:
	s_or_b64 exec, exec, s[6:7]
	s_and_saveexec_b64 s[6:7], s[4:5]
	s_cbranch_execz .LBB43_1580
.LBB43_1579:
	v_bfe_u32 v10, v15, 8, 3
	v_ffbh_u32_e32 v21, v10
	v_min_u32_e32 v21, 32, v21
	v_lshrrev_b16_e32 v20, 3, v14
	v_subrev_u32_e32 v22, 28, v21
	v_and_b32_e32 v20, 15, v20
	v_lshlrev_b32_e32 v14, v22, v14
	v_sub_u32_e32 v21, 29, v21
	v_and_b32_e32 v14, 7, v14
	v_cmp_eq_u16_e32 vcc, 0, v20
	v_cndmask_b32_e32 v10, v10, v14, vcc
	v_cndmask_b32_e32 v14, v20, v21, vcc
	v_lshlrev_b32_e32 v20, 16, v15
	v_mov_b32_e32 v21, 0x3b800000
	v_lshlrev_b32_e32 v10, 20, v10
	v_and_b32_e32 v20, 0x80000000, v20
	v_lshl_add_u32 v14, v14, 23, v21
	v_or3_b32 v10, v20, v14, v10
.LBB43_1580:
	s_or_b64 exec, exec, s[6:7]
	v_lshrrev_b32_e32 v14, 8, v11
	s_movk_i32 s4, 0x7f
	v_cmp_gt_i16_sdwa s[6:7], v14, s4 src0_sel:BYTE_0 src1_sel:DWORD
	s_mov_b64 s[4:5], 0
                                        ; implicit-def: $sgpr10
	s_and_saveexec_b64 s[8:9], s[6:7]
	s_xor_b64 s[6:7], exec, s[8:9]
	s_cbranch_execnz .LBB43_3629
; %bb.1581:
	s_or_saveexec_b64 s[6:7], s[6:7]
	v_mov_b32_e32 v20, s10
	s_xor_b64 exec, exec, s[6:7]
	s_cbranch_execnz .LBB43_3632
.LBB43_1582:
	s_or_b64 exec, exec, s[6:7]
	s_and_saveexec_b64 s[6:7], s[4:5]
	s_cbranch_execz .LBB43_1584
.LBB43_1583:
	v_bfe_u32 v20, v11, 8, 3
	v_ffbh_u32_e32 v22, v20
	v_min_u32_e32 v22, 32, v22
	v_lshrrev_b16_e32 v21, 3, v14
	v_subrev_u32_e32 v23, 28, v22
	v_and_b32_e32 v21, 15, v21
	v_lshlrev_b32_e32 v14, v23, v14
	v_sub_u32_e32 v22, 29, v22
	v_and_b32_e32 v14, 7, v14
	v_cmp_eq_u16_e32 vcc, 0, v21
	v_cndmask_b32_e32 v14, v20, v14, vcc
	v_cndmask_b32_e32 v20, v21, v22, vcc
	v_lshlrev_b32_e32 v21, 16, v11
	v_mov_b32_e32 v22, 0x3b800000
	v_lshlrev_b32_e32 v14, 20, v14
	v_and_b32_e32 v21, 0x80000000, v21
	v_lshl_add_u32 v20, v20, 23, v22
	v_or3_b32 v20, v21, v20, v14
.LBB43_1584:
	s_or_b64 exec, exec, s[6:7]
	s_nop 0
	v_mfma_f32_16x16x4f32 a[0:3], v10, v20, a[0:3]
	s_movk_i32 s4, 0xff
	v_and_b32_sdwa v14, v15, s4 dst_sel:DWORD dst_unused:UNUSED_PAD src0_sel:WORD_1 src1_sel:DWORD
	s_movk_i32 s4, 0x7f
	v_cmp_lt_i16_e32 vcc, s4, v14
	s_mov_b64 s[4:5], 0
                                        ; implicit-def: $sgpr10
	s_and_saveexec_b64 s[6:7], vcc
	s_xor_b64 s[6:7], exec, s[6:7]
	s_cbranch_execnz .LBB43_3633
; %bb.1585:
	s_or_saveexec_b64 s[6:7], s[6:7]
	v_mov_b32_e32 v10, s10
	s_xor_b64 exec, exec, s[6:7]
	s_cbranch_execnz .LBB43_3636
.LBB43_1586:
	s_or_b64 exec, exec, s[6:7]
	s_and_saveexec_b64 s[6:7], s[4:5]
	s_cbranch_execz .LBB43_1588
.LBB43_1587:
	v_bfe_u32 v10, v15, 16, 3
	v_ffbh_u32_e32 v21, v10
	v_min_u32_e32 v21, 32, v21
	v_lshrrev_b32_e32 v14, 19, v15
	v_subrev_u32_e32 v22, 28, v21
	v_and_b32_e32 v14, 15, v14
	v_lshlrev_b32_sdwa v22, v22, v15 dst_sel:DWORD dst_unused:UNUSED_PAD src0_sel:DWORD src1_sel:WORD_1
	v_bfe_u32 v20, v15, 19, 4
	v_sub_u32_e32 v21, 29, v21
	v_and_b32_e32 v22, 7, v22
	v_cmp_eq_u16_e32 vcc, 0, v14
	v_cndmask_b32_e32 v10, v10, v22, vcc
	v_cndmask_b32_e32 v14, v20, v21, vcc
	v_lshlrev_b32_e32 v20, 8, v15
	v_mov_b32_e32 v21, 0x3b800000
	v_lshlrev_b32_e32 v10, 20, v10
	v_and_b32_e32 v20, 0x80000000, v20
	v_lshl_add_u32 v14, v14, 23, v21
	v_or3_b32 v10, v20, v14, v10
.LBB43_1588:
	s_or_b64 exec, exec, s[6:7]
	s_movk_i32 s4, 0xff
	v_and_b32_sdwa v14, v11, s4 dst_sel:DWORD dst_unused:UNUSED_PAD src0_sel:WORD_1 src1_sel:DWORD
	s_movk_i32 s4, 0x7f
	v_cmp_lt_i16_e32 vcc, s4, v14
	s_mov_b64 s[4:5], 0
                                        ; implicit-def: $sgpr10
	s_and_saveexec_b64 s[6:7], vcc
	s_xor_b64 s[6:7], exec, s[6:7]
	s_cbranch_execnz .LBB43_3637
; %bb.1589:
	s_or_saveexec_b64 s[6:7], s[6:7]
	v_mov_b32_e32 v20, s10
	s_xor_b64 exec, exec, s[6:7]
	s_cbranch_execnz .LBB43_3640
.LBB43_1590:
	s_or_b64 exec, exec, s[6:7]
	s_and_saveexec_b64 s[6:7], s[4:5]
	s_cbranch_execz .LBB43_1592
.LBB43_1591:
	v_bfe_u32 v14, v11, 16, 3
	v_ffbh_u32_e32 v22, v14
	v_min_u32_e32 v22, 32, v22
	v_lshrrev_b32_e32 v20, 19, v11
	v_subrev_u32_e32 v23, 28, v22
	v_and_b32_e32 v20, 15, v20
	v_lshlrev_b32_sdwa v23, v23, v11 dst_sel:DWORD dst_unused:UNUSED_PAD src0_sel:DWORD src1_sel:WORD_1
	v_bfe_u32 v21, v11, 19, 4
	v_sub_u32_e32 v22, 29, v22
	v_and_b32_e32 v23, 7, v23
	v_cmp_eq_u16_e32 vcc, 0, v20
	v_cndmask_b32_e32 v14, v14, v23, vcc
	v_cndmask_b32_e32 v20, v21, v22, vcc
	v_lshlrev_b32_e32 v21, 8, v11
	v_mov_b32_e32 v22, 0x3b800000
	v_lshlrev_b32_e32 v14, 20, v14
	v_and_b32_e32 v21, 0x80000000, v21
	v_lshl_add_u32 v20, v20, 23, v22
	v_or3_b32 v20, v21, v20, v14
.LBB43_1592:
	s_or_b64 exec, exec, s[6:7]
	s_nop 0
	v_mfma_f32_16x16x4f32 a[0:3], v10, v20, a[0:3]
	s_movk_i32 s4, 0x7f
	v_cmp_gt_i16_sdwa s[6:7], v15, s4 src0_sel:BYTE_3 src1_sel:DWORD
	s_mov_b64 s[4:5], 0
                                        ; implicit-def: $sgpr10
	s_and_saveexec_b64 s[8:9], s[6:7]
	s_xor_b64 s[6:7], exec, s[8:9]
	s_cbranch_execnz .LBB43_3641
; %bb.1593:
	s_or_saveexec_b64 s[6:7], s[6:7]
	v_mov_b32_e32 v10, s10
	s_xor_b64 exec, exec, s[6:7]
	s_cbranch_execnz .LBB43_3644
.LBB43_1594:
	s_or_b64 exec, exec, s[6:7]
	s_and_saveexec_b64 s[6:7], s[4:5]
	s_cbranch_execz .LBB43_1596
.LBB43_1595:
	v_bfe_u32 v10, v15, 24, 3
	v_ffbh_u32_e32 v22, v10
	v_min_u32_e32 v22, 32, v22
	v_lshrrev_b32_e32 v20, 27, v15
	v_subrev_u32_e32 v23, 28, v22
	v_and_b32_e32 v14, 0x80000000, v15
	v_and_b32_e32 v20, 15, v20
	v_bfe_u32 v21, v15, 27, 4
	v_lshlrev_b32_sdwa v15, v23, v15 dst_sel:DWORD dst_unused:UNUSED_PAD src0_sel:DWORD src1_sel:BYTE_3
	v_sub_u32_e32 v22, 29, v22
	v_and_b32_e32 v15, 7, v15
	v_cmp_eq_u16_e32 vcc, 0, v20
	v_cndmask_b32_e32 v10, v10, v15, vcc
	v_cndmask_b32_e32 v15, v21, v22, vcc
	v_mov_b32_e32 v20, 0x3b800000
	v_lshlrev_b32_e32 v10, 20, v10
	v_lshl_add_u32 v15, v15, 23, v20
	v_or3_b32 v10, v14, v15, v10
.LBB43_1596:
	s_or_b64 exec, exec, s[6:7]
	s_movk_i32 s4, 0x7f
	v_cmp_gt_i16_sdwa s[6:7], v11, s4 src0_sel:BYTE_3 src1_sel:DWORD
	s_mov_b64 s[4:5], 0
                                        ; implicit-def: $sgpr10
	s_and_saveexec_b64 s[8:9], s[6:7]
	s_xor_b64 s[6:7], exec, s[8:9]
	s_cbranch_execnz .LBB43_3645
; %bb.1597:
	s_or_saveexec_b64 s[6:7], s[6:7]
	v_mov_b32_e32 v14, s10
	s_xor_b64 exec, exec, s[6:7]
	s_cbranch_execnz .LBB43_3648
.LBB43_1598:
	s_or_b64 exec, exec, s[6:7]
	s_and_saveexec_b64 s[6:7], s[4:5]
	s_cbranch_execz .LBB43_1600
.LBB43_1599:
	v_bfe_u32 v14, v11, 24, 3
	v_ffbh_u32_e32 v22, v14
	v_min_u32_e32 v22, 32, v22
	v_lshrrev_b32_e32 v20, 27, v11
	v_subrev_u32_e32 v23, 28, v22
	v_and_b32_e32 v15, 0x80000000, v11
	v_and_b32_e32 v20, 15, v20
	v_bfe_u32 v21, v11, 27, 4
	v_lshlrev_b32_sdwa v11, v23, v11 dst_sel:DWORD dst_unused:UNUSED_PAD src0_sel:DWORD src1_sel:BYTE_3
	v_sub_u32_e32 v22, 29, v22
	v_and_b32_e32 v11, 7, v11
	v_cmp_eq_u16_e32 vcc, 0, v20
	v_cndmask_b32_e32 v11, v14, v11, vcc
	v_cndmask_b32_e32 v14, v21, v22, vcc
	v_mov_b32_e32 v20, 0x3b800000
	v_lshlrev_b32_e32 v11, 20, v11
	v_lshl_add_u32 v14, v14, 23, v20
	v_or3_b32 v14, v15, v14, v11
.LBB43_1600:
	s_or_b64 exec, exec, s[6:7]
	s_nop 0
	v_mfma_f32_16x16x4f32 a[0:3], v10, v14, a[0:3]
	s_movk_i32 s4, 0x7f
	v_cmp_gt_i16_sdwa s[6:7], v16, s4 src0_sel:BYTE_0 src1_sel:DWORD
	s_mov_b64 s[4:5], 0
                                        ; implicit-def: $sgpr10
	s_and_saveexec_b64 s[8:9], s[6:7]
	s_xor_b64 s[6:7], exec, s[8:9]
	s_cbranch_execnz .LBB43_3649
; %bb.1601:
	s_or_saveexec_b64 s[6:7], s[6:7]
	v_mov_b32_e32 v10, s10
	s_xor_b64 exec, exec, s[6:7]
	s_cbranch_execnz .LBB43_3652
.LBB43_1602:
	s_or_b64 exec, exec, s[6:7]
	s_and_saveexec_b64 s[6:7], s[4:5]
	s_cbranch_execz .LBB43_1604
.LBB43_1603:
	v_and_b32_e32 v10, 7, v16
	v_ffbh_u32_e32 v14, v10
	v_min_u32_e32 v14, 32, v14
	v_lshrrev_b16_e32 v11, 3, v16
	v_subrev_u32_e32 v15, 28, v14
	v_and_b32_e32 v11, 15, v11
	v_lshlrev_b32_e32 v15, v15, v16
	v_sub_u32_e32 v14, 29, v14
	v_and_b32_e32 v15, 7, v15
	v_cmp_eq_u16_e32 vcc, 0, v11
	v_cndmask_b32_e32 v10, v10, v15, vcc
	v_cndmask_b32_e32 v11, v11, v14, vcc
	v_lshlrev_b32_e32 v14, 24, v16
	v_mov_b32_e32 v15, 0x3b800000
	v_lshlrev_b32_e32 v10, 20, v10
	v_and_b32_e32 v14, 0x80000000, v14
	v_lshl_add_u32 v11, v11, 23, v15
	v_or3_b32 v10, v14, v11, v10
.LBB43_1604:
	s_or_b64 exec, exec, s[6:7]
	s_movk_i32 s4, 0x7f
	v_cmp_gt_i16_sdwa s[6:7], v12, s4 src0_sel:BYTE_0 src1_sel:DWORD
	s_mov_b64 s[4:5], 0
                                        ; implicit-def: $sgpr10
	s_and_saveexec_b64 s[8:9], s[6:7]
	s_xor_b64 s[6:7], exec, s[8:9]
	s_cbranch_execnz .LBB43_3653
; %bb.1605:
	s_or_saveexec_b64 s[6:7], s[6:7]
	v_mov_b32_e32 v11, s10
	s_xor_b64 exec, exec, s[6:7]
	s_cbranch_execnz .LBB43_3656
.LBB43_1606:
	s_or_b64 exec, exec, s[6:7]
	s_and_saveexec_b64 s[6:7], s[4:5]
	s_cbranch_execz .LBB43_1608
.LBB43_1607:
	v_and_b32_e32 v11, 7, v12
	v_ffbh_u32_e32 v15, v11
	v_min_u32_e32 v15, 32, v15
	v_lshrrev_b16_e32 v14, 3, v12
	v_subrev_u32_e32 v20, 28, v15
	v_and_b32_e32 v14, 15, v14
	v_lshlrev_b32_e32 v20, v20, v12
	v_sub_u32_e32 v15, 29, v15
	v_and_b32_e32 v20, 7, v20
	v_cmp_eq_u16_e32 vcc, 0, v14
	v_cndmask_b32_e32 v11, v11, v20, vcc
	v_cndmask_b32_e32 v14, v14, v15, vcc
	v_lshlrev_b32_e32 v15, 24, v12
	v_mov_b32_e32 v20, 0x3b800000
	v_lshlrev_b32_e32 v11, 20, v11
	v_and_b32_e32 v15, 0x80000000, v15
	v_lshl_add_u32 v14, v14, 23, v20
	v_or3_b32 v11, v15, v14, v11
.LBB43_1608:
	s_or_b64 exec, exec, s[6:7]
	s_nop 0
	v_mfma_f32_16x16x4f32 a[0:3], v10, v11, a[0:3]
	v_lshrrev_b32_e32 v11, 8, v16
	s_movk_i32 s4, 0x7f
	v_cmp_gt_i16_sdwa s[6:7], v11, s4 src0_sel:BYTE_0 src1_sel:DWORD
	s_mov_b64 s[4:5], 0
                                        ; implicit-def: $sgpr10
	s_and_saveexec_b64 s[8:9], s[6:7]
	s_xor_b64 s[6:7], exec, s[8:9]
	s_cbranch_execnz .LBB43_3657
; %bb.1609:
	s_or_saveexec_b64 s[6:7], s[6:7]
	v_mov_b32_e32 v10, s10
	s_xor_b64 exec, exec, s[6:7]
	s_cbranch_execnz .LBB43_3660
.LBB43_1610:
	s_or_b64 exec, exec, s[6:7]
	s_and_saveexec_b64 s[6:7], s[4:5]
	s_cbranch_execz .LBB43_1612
.LBB43_1611:
	v_bfe_u32 v10, v16, 8, 3
	v_ffbh_u32_e32 v15, v10
	v_min_u32_e32 v15, 32, v15
	v_lshrrev_b16_e32 v14, 3, v11
	v_subrev_u32_e32 v20, 28, v15
	v_and_b32_e32 v14, 15, v14
	v_lshlrev_b32_e32 v11, v20, v11
	v_sub_u32_e32 v15, 29, v15
	v_and_b32_e32 v11, 7, v11
	v_cmp_eq_u16_e32 vcc, 0, v14
	v_cndmask_b32_e32 v10, v10, v11, vcc
	v_cndmask_b32_e32 v11, v14, v15, vcc
	v_lshlrev_b32_e32 v14, 16, v16
	v_mov_b32_e32 v15, 0x3b800000
	v_lshlrev_b32_e32 v10, 20, v10
	v_and_b32_e32 v14, 0x80000000, v14
	v_lshl_add_u32 v11, v11, 23, v15
	v_or3_b32 v10, v14, v11, v10
.LBB43_1612:
	s_or_b64 exec, exec, s[6:7]
	v_lshrrev_b32_e32 v11, 8, v12
	s_movk_i32 s4, 0x7f
	v_cmp_gt_i16_sdwa s[6:7], v11, s4 src0_sel:BYTE_0 src1_sel:DWORD
	s_mov_b64 s[4:5], 0
                                        ; implicit-def: $sgpr10
	s_and_saveexec_b64 s[8:9], s[6:7]
	s_xor_b64 s[6:7], exec, s[8:9]
	s_cbranch_execnz .LBB43_3661
; %bb.1613:
	s_or_saveexec_b64 s[6:7], s[6:7]
	v_mov_b32_e32 v14, s10
	s_xor_b64 exec, exec, s[6:7]
	s_cbranch_execnz .LBB43_3664
.LBB43_1614:
	s_or_b64 exec, exec, s[6:7]
	s_and_saveexec_b64 s[6:7], s[4:5]
	s_cbranch_execz .LBB43_1616
.LBB43_1615:
	v_bfe_u32 v14, v12, 8, 3
	v_ffbh_u32_e32 v20, v14
	v_min_u32_e32 v20, 32, v20
	v_lshrrev_b16_e32 v15, 3, v11
	v_subrev_u32_e32 v21, 28, v20
	v_and_b32_e32 v15, 15, v15
	v_lshlrev_b32_e32 v11, v21, v11
	v_sub_u32_e32 v20, 29, v20
	v_and_b32_e32 v11, 7, v11
	v_cmp_eq_u16_e32 vcc, 0, v15
	v_cndmask_b32_e32 v11, v14, v11, vcc
	v_cndmask_b32_e32 v14, v15, v20, vcc
	v_lshlrev_b32_e32 v15, 16, v12
	v_mov_b32_e32 v20, 0x3b800000
	v_lshlrev_b32_e32 v11, 20, v11
	v_and_b32_e32 v15, 0x80000000, v15
	v_lshl_add_u32 v14, v14, 23, v20
	v_or3_b32 v14, v15, v14, v11
.LBB43_1616:
	s_or_b64 exec, exec, s[6:7]
	s_nop 0
	v_mfma_f32_16x16x4f32 a[0:3], v10, v14, a[0:3]
	s_movk_i32 s4, 0xff
	v_and_b32_sdwa v11, v16, s4 dst_sel:DWORD dst_unused:UNUSED_PAD src0_sel:WORD_1 src1_sel:DWORD
	s_movk_i32 s4, 0x7f
	v_cmp_lt_i16_e32 vcc, s4, v11
	s_mov_b64 s[4:5], 0
                                        ; implicit-def: $sgpr10
	s_and_saveexec_b64 s[6:7], vcc
	s_xor_b64 s[6:7], exec, s[6:7]
	s_cbranch_execnz .LBB43_3665
; %bb.1617:
	s_or_saveexec_b64 s[6:7], s[6:7]
	v_mov_b32_e32 v10, s10
	s_xor_b64 exec, exec, s[6:7]
	s_cbranch_execnz .LBB43_3668
.LBB43_1618:
	s_or_b64 exec, exec, s[6:7]
	s_and_saveexec_b64 s[6:7], s[4:5]
	s_cbranch_execz .LBB43_1620
.LBB43_1619:
	v_bfe_u32 v10, v16, 16, 3
	v_ffbh_u32_e32 v15, v10
	v_min_u32_e32 v15, 32, v15
	v_lshrrev_b32_e32 v11, 19, v16
	v_subrev_u32_e32 v20, 28, v15
	v_and_b32_e32 v11, 15, v11
	v_lshlrev_b32_sdwa v20, v20, v16 dst_sel:DWORD dst_unused:UNUSED_PAD src0_sel:DWORD src1_sel:WORD_1
	v_bfe_u32 v14, v16, 19, 4
	v_sub_u32_e32 v15, 29, v15
	v_and_b32_e32 v20, 7, v20
	v_cmp_eq_u16_e32 vcc, 0, v11
	v_cndmask_b32_e32 v10, v10, v20, vcc
	v_cndmask_b32_e32 v11, v14, v15, vcc
	v_lshlrev_b32_e32 v14, 8, v16
	v_mov_b32_e32 v15, 0x3b800000
	v_lshlrev_b32_e32 v10, 20, v10
	v_and_b32_e32 v14, 0x80000000, v14
	v_lshl_add_u32 v11, v11, 23, v15
	v_or3_b32 v10, v14, v11, v10
.LBB43_1620:
	s_or_b64 exec, exec, s[6:7]
	s_movk_i32 s4, 0xff
	v_and_b32_sdwa v11, v12, s4 dst_sel:DWORD dst_unused:UNUSED_PAD src0_sel:WORD_1 src1_sel:DWORD
	s_movk_i32 s4, 0x7f
	v_cmp_lt_i16_e32 vcc, s4, v11
	s_mov_b64 s[4:5], 0
                                        ; implicit-def: $sgpr10
	s_and_saveexec_b64 s[6:7], vcc
	s_xor_b64 s[6:7], exec, s[6:7]
	s_cbranch_execnz .LBB43_3669
; %bb.1621:
	s_or_saveexec_b64 s[6:7], s[6:7]
	v_mov_b32_e32 v14, s10
	s_xor_b64 exec, exec, s[6:7]
	s_cbranch_execnz .LBB43_3672
.LBB43_1622:
	s_or_b64 exec, exec, s[6:7]
	s_and_saveexec_b64 s[6:7], s[4:5]
	s_cbranch_execz .LBB43_1624
.LBB43_1623:
	v_bfe_u32 v11, v12, 16, 3
	v_ffbh_u32_e32 v20, v11
	v_min_u32_e32 v20, 32, v20
	v_lshrrev_b32_e32 v14, 19, v12
	v_subrev_u32_e32 v21, 28, v20
	v_and_b32_e32 v14, 15, v14
	v_lshlrev_b32_sdwa v21, v21, v12 dst_sel:DWORD dst_unused:UNUSED_PAD src0_sel:DWORD src1_sel:WORD_1
	v_bfe_u32 v15, v12, 19, 4
	v_sub_u32_e32 v20, 29, v20
	v_and_b32_e32 v21, 7, v21
	v_cmp_eq_u16_e32 vcc, 0, v14
	v_cndmask_b32_e32 v11, v11, v21, vcc
	v_cndmask_b32_e32 v14, v15, v20, vcc
	v_lshlrev_b32_e32 v15, 8, v12
	v_mov_b32_e32 v20, 0x3b800000
	v_lshlrev_b32_e32 v11, 20, v11
	v_and_b32_e32 v15, 0x80000000, v15
	v_lshl_add_u32 v14, v14, 23, v20
	v_or3_b32 v14, v15, v14, v11
.LBB43_1624:
	s_or_b64 exec, exec, s[6:7]
	s_nop 0
	v_mfma_f32_16x16x4f32 a[0:3], v10, v14, a[0:3]
	s_movk_i32 s4, 0x7f
	v_cmp_gt_i16_sdwa s[6:7], v16, s4 src0_sel:BYTE_3 src1_sel:DWORD
	s_mov_b64 s[4:5], 0
                                        ; implicit-def: $sgpr10
	s_and_saveexec_b64 s[8:9], s[6:7]
	s_xor_b64 s[6:7], exec, s[8:9]
	s_cbranch_execnz .LBB43_3673
; %bb.1625:
	s_or_saveexec_b64 s[6:7], s[6:7]
	v_mov_b32_e32 v10, s10
	s_xor_b64 exec, exec, s[6:7]
	s_cbranch_execnz .LBB43_3676
.LBB43_1626:
	s_or_b64 exec, exec, s[6:7]
	s_and_saveexec_b64 s[6:7], s[4:5]
	s_cbranch_execz .LBB43_1628
.LBB43_1627:
	v_bfe_u32 v10, v16, 24, 3
	v_ffbh_u32_e32 v20, v10
	v_min_u32_e32 v20, 32, v20
	v_lshrrev_b32_e32 v14, 27, v16
	v_subrev_u32_e32 v21, 28, v20
	v_and_b32_e32 v11, 0x80000000, v16
	v_and_b32_e32 v14, 15, v14
	v_bfe_u32 v15, v16, 27, 4
	v_lshlrev_b32_sdwa v16, v21, v16 dst_sel:DWORD dst_unused:UNUSED_PAD src0_sel:DWORD src1_sel:BYTE_3
	v_sub_u32_e32 v20, 29, v20
	v_and_b32_e32 v16, 7, v16
	v_cmp_eq_u16_e32 vcc, 0, v14
	v_cndmask_b32_e32 v10, v10, v16, vcc
	v_cndmask_b32_e32 v14, v15, v20, vcc
	v_mov_b32_e32 v15, 0x3b800000
	v_lshlrev_b32_e32 v10, 20, v10
	v_lshl_add_u32 v14, v14, 23, v15
	v_or3_b32 v10, v11, v14, v10
.LBB43_1628:
	s_or_b64 exec, exec, s[6:7]
	s_movk_i32 s4, 0x7f
	v_cmp_gt_i16_sdwa s[6:7], v12, s4 src0_sel:BYTE_3 src1_sel:DWORD
	s_mov_b64 s[4:5], 0
                                        ; implicit-def: $sgpr10
	s_and_saveexec_b64 s[8:9], s[6:7]
	s_xor_b64 s[6:7], exec, s[8:9]
	s_cbranch_execnz .LBB43_3677
; %bb.1629:
	s_or_saveexec_b64 s[6:7], s[6:7]
	v_mov_b32_e32 v11, s10
	s_xor_b64 exec, exec, s[6:7]
	s_cbranch_execnz .LBB43_3680
.LBB43_1630:
	s_or_b64 exec, exec, s[6:7]
	s_and_saveexec_b64 s[6:7], s[4:5]
	s_cbranch_execz .LBB43_1632
.LBB43_1631:
	v_bfe_u32 v11, v12, 24, 3
	v_ffbh_u32_e32 v20, v11
	v_min_u32_e32 v20, 32, v20
	v_lshrrev_b32_e32 v15, 27, v12
	v_subrev_u32_e32 v21, 28, v20
	v_and_b32_e32 v14, 0x80000000, v12
	v_and_b32_e32 v15, 15, v15
	v_bfe_u32 v16, v12, 27, 4
	v_lshlrev_b32_sdwa v12, v21, v12 dst_sel:DWORD dst_unused:UNUSED_PAD src0_sel:DWORD src1_sel:BYTE_3
	v_sub_u32_e32 v20, 29, v20
	v_and_b32_e32 v12, 7, v12
	v_cmp_eq_u16_e32 vcc, 0, v15
	v_cndmask_b32_e32 v11, v11, v12, vcc
	v_cndmask_b32_e32 v12, v16, v20, vcc
	v_mov_b32_e32 v15, 0x3b800000
	v_lshlrev_b32_e32 v11, 20, v11
	v_lshl_add_u32 v12, v12, 23, v15
	v_or3_b32 v11, v14, v12, v11
.LBB43_1632:
	s_or_b64 exec, exec, s[6:7]
	s_nop 0
	v_mfma_f32_16x16x4f32 a[0:3], v10, v11, a[0:3]
	s_movk_i32 s4, 0x7f
	v_cmp_gt_i16_sdwa s[6:7], v17, s4 src0_sel:BYTE_0 src1_sel:DWORD
	s_mov_b64 s[4:5], 0
                                        ; implicit-def: $sgpr10
	s_and_saveexec_b64 s[8:9], s[6:7]
	s_xor_b64 s[6:7], exec, s[8:9]
	s_cbranch_execnz .LBB43_3681
; %bb.1633:
	s_or_saveexec_b64 s[6:7], s[6:7]
	v_mov_b32_e32 v10, s10
	s_xor_b64 exec, exec, s[6:7]
	s_cbranch_execnz .LBB43_3684
.LBB43_1634:
	s_or_b64 exec, exec, s[6:7]
	s_and_saveexec_b64 s[6:7], s[4:5]
	s_cbranch_execz .LBB43_1636
.LBB43_1635:
	v_and_b32_e32 v10, 7, v17
	v_ffbh_u32_e32 v12, v10
	v_min_u32_e32 v12, 32, v12
	v_lshrrev_b16_e32 v11, 3, v17
	v_subrev_u32_e32 v14, 28, v12
	v_and_b32_e32 v11, 15, v11
	v_lshlrev_b32_e32 v14, v14, v17
	v_sub_u32_e32 v12, 29, v12
	v_and_b32_e32 v14, 7, v14
	v_cmp_eq_u16_e32 vcc, 0, v11
	v_cndmask_b32_e32 v10, v10, v14, vcc
	v_cndmask_b32_e32 v11, v11, v12, vcc
	v_lshlrev_b32_e32 v12, 24, v17
	v_mov_b32_e32 v14, 0x3b800000
	v_lshlrev_b32_e32 v10, 20, v10
	v_and_b32_e32 v12, 0x80000000, v12
	v_lshl_add_u32 v11, v11, 23, v14
	v_or3_b32 v10, v12, v11, v10
.LBB43_1636:
	s_or_b64 exec, exec, s[6:7]
	s_movk_i32 s4, 0x7f
	v_cmp_gt_i16_sdwa s[6:7], v13, s4 src0_sel:BYTE_0 src1_sel:DWORD
	s_mov_b64 s[4:5], 0
                                        ; implicit-def: $sgpr10
	s_and_saveexec_b64 s[8:9], s[6:7]
	s_xor_b64 s[6:7], exec, s[8:9]
	s_cbranch_execnz .LBB43_3685
; %bb.1637:
	s_or_saveexec_b64 s[6:7], s[6:7]
	v_mov_b32_e32 v11, s10
	s_xor_b64 exec, exec, s[6:7]
	s_cbranch_execnz .LBB43_3688
.LBB43_1638:
	s_or_b64 exec, exec, s[6:7]
	s_and_saveexec_b64 s[6:7], s[4:5]
	s_cbranch_execz .LBB43_1640
.LBB43_1639:
	v_and_b32_e32 v11, 7, v13
	v_ffbh_u32_e32 v14, v11
	v_min_u32_e32 v14, 32, v14
	v_lshrrev_b16_e32 v12, 3, v13
	v_subrev_u32_e32 v15, 28, v14
	v_and_b32_e32 v12, 15, v12
	v_lshlrev_b32_e32 v15, v15, v13
	v_sub_u32_e32 v14, 29, v14
	v_and_b32_e32 v15, 7, v15
	v_cmp_eq_u16_e32 vcc, 0, v12
	v_cndmask_b32_e32 v11, v11, v15, vcc
	v_cndmask_b32_e32 v12, v12, v14, vcc
	v_lshlrev_b32_e32 v14, 24, v13
	v_mov_b32_e32 v15, 0x3b800000
	v_lshlrev_b32_e32 v11, 20, v11
	v_and_b32_e32 v14, 0x80000000, v14
	v_lshl_add_u32 v12, v12, 23, v15
	v_or3_b32 v11, v14, v12, v11
.LBB43_1640:
	s_or_b64 exec, exec, s[6:7]
	s_nop 0
	v_mfma_f32_16x16x4f32 a[0:3], v10, v11, a[0:3]
	v_lshrrev_b32_e32 v11, 8, v17
	s_movk_i32 s4, 0x7f
	v_cmp_gt_i16_sdwa s[6:7], v11, s4 src0_sel:BYTE_0 src1_sel:DWORD
	s_mov_b64 s[4:5], 0
                                        ; implicit-def: $sgpr10
	s_and_saveexec_b64 s[8:9], s[6:7]
	s_xor_b64 s[6:7], exec, s[8:9]
	s_cbranch_execnz .LBB43_3689
; %bb.1641:
	s_or_saveexec_b64 s[6:7], s[6:7]
	v_mov_b32_e32 v10, s10
	s_xor_b64 exec, exec, s[6:7]
	s_cbranch_execnz .LBB43_3692
.LBB43_1642:
	s_or_b64 exec, exec, s[6:7]
	s_and_saveexec_b64 s[6:7], s[4:5]
	s_cbranch_execz .LBB43_1644
.LBB43_1643:
	v_bfe_u32 v10, v17, 8, 3
	v_ffbh_u32_e32 v14, v10
	v_min_u32_e32 v14, 32, v14
	v_lshrrev_b16_e32 v12, 3, v11
	v_subrev_u32_e32 v15, 28, v14
	v_and_b32_e32 v12, 15, v12
	v_lshlrev_b32_e32 v11, v15, v11
	v_sub_u32_e32 v14, 29, v14
	v_and_b32_e32 v11, 7, v11
	v_cmp_eq_u16_e32 vcc, 0, v12
	v_cndmask_b32_e32 v10, v10, v11, vcc
	v_cndmask_b32_e32 v11, v12, v14, vcc
	v_lshlrev_b32_e32 v12, 16, v17
	v_mov_b32_e32 v14, 0x3b800000
	v_lshlrev_b32_e32 v10, 20, v10
	v_and_b32_e32 v12, 0x80000000, v12
	v_lshl_add_u32 v11, v11, 23, v14
	v_or3_b32 v10, v12, v11, v10
.LBB43_1644:
	s_or_b64 exec, exec, s[6:7]
	v_lshrrev_b32_e32 v11, 8, v13
	s_movk_i32 s4, 0x7f
	v_cmp_gt_i16_sdwa s[6:7], v11, s4 src0_sel:BYTE_0 src1_sel:DWORD
	s_mov_b64 s[4:5], 0
                                        ; implicit-def: $sgpr10
	s_and_saveexec_b64 s[8:9], s[6:7]
	s_xor_b64 s[6:7], exec, s[8:9]
	s_cbranch_execnz .LBB43_3693
; %bb.1645:
	s_or_saveexec_b64 s[6:7], s[6:7]
	v_mov_b32_e32 v12, s10
	s_xor_b64 exec, exec, s[6:7]
	s_cbranch_execnz .LBB43_3696
.LBB43_1646:
	s_or_b64 exec, exec, s[6:7]
	s_and_saveexec_b64 s[6:7], s[4:5]
	s_cbranch_execz .LBB43_1648
.LBB43_1647:
	v_bfe_u32 v12, v13, 8, 3
	v_ffbh_u32_e32 v15, v12
	v_min_u32_e32 v15, 32, v15
	v_lshrrev_b16_e32 v14, 3, v11
	v_subrev_u32_e32 v16, 28, v15
	v_and_b32_e32 v14, 15, v14
	v_lshlrev_b32_e32 v11, v16, v11
	v_sub_u32_e32 v15, 29, v15
	v_and_b32_e32 v11, 7, v11
	v_cmp_eq_u16_e32 vcc, 0, v14
	v_cndmask_b32_e32 v11, v12, v11, vcc
	v_cndmask_b32_e32 v12, v14, v15, vcc
	v_lshlrev_b32_e32 v14, 16, v13
	v_mov_b32_e32 v15, 0x3b800000
	v_lshlrev_b32_e32 v11, 20, v11
	v_and_b32_e32 v14, 0x80000000, v14
	v_lshl_add_u32 v12, v12, 23, v15
	v_or3_b32 v12, v14, v12, v11
.LBB43_1648:
	s_or_b64 exec, exec, s[6:7]
	s_nop 0
	v_mfma_f32_16x16x4f32 a[0:3], v10, v12, a[0:3]
	s_movk_i32 s4, 0xff
	v_and_b32_sdwa v11, v17, s4 dst_sel:DWORD dst_unused:UNUSED_PAD src0_sel:WORD_1 src1_sel:DWORD
	s_movk_i32 s4, 0x7f
	v_cmp_lt_i16_e32 vcc, s4, v11
	s_mov_b64 s[4:5], 0
                                        ; implicit-def: $sgpr10
	s_and_saveexec_b64 s[6:7], vcc
	s_xor_b64 s[6:7], exec, s[6:7]
	s_cbranch_execnz .LBB43_3697
; %bb.1649:
	s_or_saveexec_b64 s[6:7], s[6:7]
	v_mov_b32_e32 v10, s10
	s_xor_b64 exec, exec, s[6:7]
	s_cbranch_execnz .LBB43_3700
.LBB43_1650:
	s_or_b64 exec, exec, s[6:7]
	s_and_saveexec_b64 s[6:7], s[4:5]
	s_cbranch_execz .LBB43_1652
.LBB43_1651:
	v_bfe_u32 v10, v17, 16, 3
	v_ffbh_u32_e32 v14, v10
	v_min_u32_e32 v14, 32, v14
	v_lshrrev_b32_e32 v11, 19, v17
	v_subrev_u32_e32 v15, 28, v14
	v_and_b32_e32 v11, 15, v11
	v_lshlrev_b32_sdwa v15, v15, v17 dst_sel:DWORD dst_unused:UNUSED_PAD src0_sel:DWORD src1_sel:WORD_1
	v_bfe_u32 v12, v17, 19, 4
	v_sub_u32_e32 v14, 29, v14
	v_and_b32_e32 v15, 7, v15
	v_cmp_eq_u16_e32 vcc, 0, v11
	v_cndmask_b32_e32 v10, v10, v15, vcc
	v_cndmask_b32_e32 v11, v12, v14, vcc
	v_lshlrev_b32_e32 v12, 8, v17
	v_mov_b32_e32 v14, 0x3b800000
	v_lshlrev_b32_e32 v10, 20, v10
	v_and_b32_e32 v12, 0x80000000, v12
	v_lshl_add_u32 v11, v11, 23, v14
	v_or3_b32 v10, v12, v11, v10
.LBB43_1652:
	s_or_b64 exec, exec, s[6:7]
	s_movk_i32 s4, 0xff
	v_and_b32_sdwa v11, v13, s4 dst_sel:DWORD dst_unused:UNUSED_PAD src0_sel:WORD_1 src1_sel:DWORD
	s_movk_i32 s4, 0x7f
	v_cmp_lt_i16_e32 vcc, s4, v11
	s_mov_b64 s[4:5], 0
                                        ; implicit-def: $sgpr10
	s_and_saveexec_b64 s[6:7], vcc
	s_xor_b64 s[6:7], exec, s[6:7]
	s_cbranch_execnz .LBB43_3701
; %bb.1653:
	s_or_saveexec_b64 s[6:7], s[6:7]
	v_mov_b32_e32 v12, s10
	s_xor_b64 exec, exec, s[6:7]
	s_cbranch_execnz .LBB43_3704
.LBB43_1654:
	s_or_b64 exec, exec, s[6:7]
	s_and_saveexec_b64 s[6:7], s[4:5]
	s_cbranch_execz .LBB43_1656
.LBB43_1655:
	v_bfe_u32 v11, v13, 16, 3
	v_ffbh_u32_e32 v15, v11
	v_min_u32_e32 v15, 32, v15
	v_lshrrev_b32_e32 v12, 19, v13
	v_subrev_u32_e32 v16, 28, v15
	v_and_b32_e32 v12, 15, v12
	v_lshlrev_b32_sdwa v16, v16, v13 dst_sel:DWORD dst_unused:UNUSED_PAD src0_sel:DWORD src1_sel:WORD_1
	v_bfe_u32 v14, v13, 19, 4
	v_sub_u32_e32 v15, 29, v15
	v_and_b32_e32 v16, 7, v16
	v_cmp_eq_u16_e32 vcc, 0, v12
	v_cndmask_b32_e32 v11, v11, v16, vcc
	v_cndmask_b32_e32 v12, v14, v15, vcc
	v_lshlrev_b32_e32 v14, 8, v13
	v_mov_b32_e32 v15, 0x3b800000
	v_lshlrev_b32_e32 v11, 20, v11
	v_and_b32_e32 v14, 0x80000000, v14
	v_lshl_add_u32 v12, v12, 23, v15
	v_or3_b32 v12, v14, v12, v11
.LBB43_1656:
	s_or_b64 exec, exec, s[6:7]
	s_nop 0
	v_mfma_f32_16x16x4f32 a[0:3], v10, v12, a[0:3]
	s_movk_i32 s4, 0x7f
	v_cmp_gt_i16_sdwa s[6:7], v17, s4 src0_sel:BYTE_3 src1_sel:DWORD
	s_mov_b64 s[4:5], 0
                                        ; implicit-def: $sgpr10
	s_and_saveexec_b64 s[8:9], s[6:7]
	s_xor_b64 s[6:7], exec, s[8:9]
	s_cbranch_execnz .LBB43_3705
; %bb.1657:
	s_or_saveexec_b64 s[6:7], s[6:7]
	v_mov_b32_e32 v10, s10
	s_xor_b64 exec, exec, s[6:7]
	s_cbranch_execnz .LBB43_3708
.LBB43_1658:
	s_or_b64 exec, exec, s[6:7]
	s_and_saveexec_b64 s[6:7], s[4:5]
	s_cbranch_execz .LBB43_1660
.LBB43_1659:
	v_bfe_u32 v10, v17, 24, 3
	v_ffbh_u32_e32 v15, v10
	v_min_u32_e32 v15, 32, v15
	v_lshrrev_b32_e32 v12, 27, v17
	v_subrev_u32_e32 v16, 28, v15
	v_and_b32_e32 v12, 15, v12
	v_lshlrev_b32_sdwa v16, v16, v17 dst_sel:DWORD dst_unused:UNUSED_PAD src0_sel:DWORD src1_sel:BYTE_3
	v_bfe_u32 v14, v17, 27, 4
	v_sub_u32_e32 v15, 29, v15
	v_and_b32_e32 v16, 7, v16
	v_cmp_eq_u16_e32 vcc, 0, v12
	v_cndmask_b32_e32 v10, v10, v16, vcc
	v_cndmask_b32_e32 v12, v14, v15, vcc
	v_mov_b32_e32 v14, 0x3b800000
	v_and_b32_e32 v11, 0x80000000, v17
	v_lshlrev_b32_e32 v10, 20, v10
	v_lshl_add_u32 v12, v12, 23, v14
	v_or3_b32 v10, v11, v12, v10
.LBB43_1660:
	s_or_b64 exec, exec, s[6:7]
	s_movk_i32 s4, 0x7f
	v_cmp_gt_i16_sdwa s[6:7], v13, s4 src0_sel:BYTE_3 src1_sel:DWORD
	s_mov_b64 s[4:5], 0
                                        ; implicit-def: $sgpr10
	s_and_saveexec_b64 s[8:9], s[6:7]
	s_xor_b64 s[6:7], exec, s[8:9]
	s_cbranch_execnz .LBB43_3709
; %bb.1661:
	s_or_saveexec_b64 s[6:7], s[6:7]
	v_mov_b32_e32 v11, s10
	s_xor_b64 exec, exec, s[6:7]
	s_cbranch_execnz .LBB43_3712
.LBB43_1662:
	s_or_b64 exec, exec, s[6:7]
	s_and_saveexec_b64 s[6:7], s[4:5]
	s_cbranch_execz .LBB43_1664
.LBB43_1663:
	v_bfe_u32 v11, v13, 24, 3
	v_ffbh_u32_e32 v16, v11
	v_min_u32_e32 v16, 32, v16
	v_lshrrev_b32_e32 v14, 27, v13
	v_subrev_u32_e32 v17, 28, v16
	v_and_b32_e32 v12, 0x80000000, v13
	v_and_b32_e32 v14, 15, v14
	v_bfe_u32 v15, v13, 27, 4
	v_lshlrev_b32_sdwa v13, v17, v13 dst_sel:DWORD dst_unused:UNUSED_PAD src0_sel:DWORD src1_sel:BYTE_3
	v_sub_u32_e32 v16, 29, v16
	v_and_b32_e32 v13, 7, v13
	v_cmp_eq_u16_e32 vcc, 0, v14
	v_cndmask_b32_e32 v11, v11, v13, vcc
	v_cndmask_b32_e32 v13, v15, v16, vcc
	v_mov_b32_e32 v14, 0x3b800000
	v_lshlrev_b32_e32 v11, 20, v11
	v_lshl_add_u32 v13, v13, 23, v14
	v_or3_b32 v11, v12, v13, v11
.LBB43_1664:
	s_or_b64 exec, exec, s[6:7]
	s_nop 0
	v_mfma_f32_16x16x4f32 a[0:3], v10, v11, a[0:3]
	s_movk_i32 s4, 0x7f
	v_cmp_gt_i16_sdwa s[6:7], v6, s4 src0_sel:BYTE_0 src1_sel:DWORD
	s_mov_b64 s[4:5], 0
                                        ; implicit-def: $sgpr10
	s_and_saveexec_b64 s[8:9], s[6:7]
	s_xor_b64 s[6:7], exec, s[8:9]
	s_cbranch_execnz .LBB43_3713
; %bb.1665:
	s_or_saveexec_b64 s[6:7], s[6:7]
	v_mov_b32_e32 v10, s10
	s_xor_b64 exec, exec, s[6:7]
	s_cbranch_execnz .LBB43_3716
.LBB43_1666:
	s_or_b64 exec, exec, s[6:7]
	s_and_saveexec_b64 s[6:7], s[4:5]
	s_cbranch_execz .LBB43_1668
.LBB43_1667:
	v_and_b32_e32 v10, 7, v6
	v_ffbh_u32_e32 v12, v10
	v_min_u32_e32 v12, 32, v12
	v_lshrrev_b16_e32 v11, 3, v6
	v_subrev_u32_e32 v13, 28, v12
	v_and_b32_e32 v11, 15, v11
	v_lshlrev_b32_e32 v13, v13, v6
	v_sub_u32_e32 v12, 29, v12
	v_and_b32_e32 v13, 7, v13
	v_cmp_eq_u16_e32 vcc, 0, v11
	v_cndmask_b32_e32 v10, v10, v13, vcc
	v_cndmask_b32_e32 v11, v11, v12, vcc
	v_lshlrev_b32_e32 v12, 24, v6
	v_mov_b32_e32 v13, 0x3b800000
	v_lshlrev_b32_e32 v10, 20, v10
	v_and_b32_e32 v12, 0x80000000, v12
	v_lshl_add_u32 v11, v11, 23, v13
	v_or3_b32 v10, v12, v11, v10
.LBB43_1668:
	s_or_b64 exec, exec, s[6:7]
	s_movk_i32 s4, 0x7f
	v_cmp_gt_i16_sdwa s[6:7], v2, s4 src0_sel:BYTE_0 src1_sel:DWORD
	s_mov_b64 s[4:5], 0
                                        ; implicit-def: $sgpr10
	s_and_saveexec_b64 s[8:9], s[6:7]
	s_xor_b64 s[6:7], exec, s[8:9]
	s_cbranch_execnz .LBB43_3717
; %bb.1669:
	s_or_saveexec_b64 s[6:7], s[6:7]
	v_mov_b32_e32 v11, s10
	s_xor_b64 exec, exec, s[6:7]
	s_cbranch_execnz .LBB43_3720
.LBB43_1670:
	s_or_b64 exec, exec, s[6:7]
	s_and_saveexec_b64 s[6:7], s[4:5]
	s_cbranch_execz .LBB43_1672
.LBB43_1671:
	v_and_b32_e32 v11, 7, v2
	v_ffbh_u32_e32 v13, v11
	v_min_u32_e32 v13, 32, v13
	v_lshrrev_b16_e32 v12, 3, v2
	v_subrev_u32_e32 v14, 28, v13
	v_and_b32_e32 v12, 15, v12
	v_lshlrev_b32_e32 v14, v14, v2
	v_sub_u32_e32 v13, 29, v13
	v_and_b32_e32 v14, 7, v14
	v_cmp_eq_u16_e32 vcc, 0, v12
	v_cndmask_b32_e32 v11, v11, v14, vcc
	v_cndmask_b32_e32 v12, v12, v13, vcc
	v_lshlrev_b32_e32 v13, 24, v2
	v_mov_b32_e32 v14, 0x3b800000
	v_lshlrev_b32_e32 v11, 20, v11
	v_and_b32_e32 v13, 0x80000000, v13
	v_lshl_add_u32 v12, v12, 23, v14
	v_or3_b32 v11, v13, v12, v11
.LBB43_1672:
	s_or_b64 exec, exec, s[6:7]
	s_nop 0
	v_mfma_f32_16x16x4f32 a[0:3], v10, v11, a[0:3]
	v_lshrrev_b32_e32 v11, 8, v6
	s_movk_i32 s4, 0x7f
	v_cmp_gt_i16_sdwa s[6:7], v11, s4 src0_sel:BYTE_0 src1_sel:DWORD
	s_mov_b64 s[4:5], 0
                                        ; implicit-def: $sgpr10
	s_and_saveexec_b64 s[8:9], s[6:7]
	s_xor_b64 s[6:7], exec, s[8:9]
	s_cbranch_execnz .LBB43_3721
; %bb.1673:
	s_or_saveexec_b64 s[6:7], s[6:7]
	v_mov_b32_e32 v10, s10
	s_xor_b64 exec, exec, s[6:7]
	s_cbranch_execnz .LBB43_3724
.LBB43_1674:
	s_or_b64 exec, exec, s[6:7]
	s_and_saveexec_b64 s[6:7], s[4:5]
	s_cbranch_execz .LBB43_1676
.LBB43_1675:
	v_bfe_u32 v10, v6, 8, 3
	v_ffbh_u32_e32 v13, v10
	v_min_u32_e32 v13, 32, v13
	v_lshrrev_b16_e32 v12, 3, v11
	v_subrev_u32_e32 v14, 28, v13
	v_and_b32_e32 v12, 15, v12
	v_lshlrev_b32_e32 v11, v14, v11
	v_sub_u32_e32 v13, 29, v13
	v_and_b32_e32 v11, 7, v11
	v_cmp_eq_u16_e32 vcc, 0, v12
	v_cndmask_b32_e32 v10, v10, v11, vcc
	v_cndmask_b32_e32 v11, v12, v13, vcc
	v_lshlrev_b32_e32 v12, 16, v6
	v_mov_b32_e32 v13, 0x3b800000
	v_lshlrev_b32_e32 v10, 20, v10
	v_and_b32_e32 v12, 0x80000000, v12
	v_lshl_add_u32 v11, v11, 23, v13
	v_or3_b32 v10, v12, v11, v10
.LBB43_1676:
	s_or_b64 exec, exec, s[6:7]
	v_lshrrev_b32_e32 v11, 8, v2
	s_movk_i32 s4, 0x7f
	v_cmp_gt_i16_sdwa s[6:7], v11, s4 src0_sel:BYTE_0 src1_sel:DWORD
	s_mov_b64 s[4:5], 0
                                        ; implicit-def: $sgpr10
	s_and_saveexec_b64 s[8:9], s[6:7]
	s_xor_b64 s[6:7], exec, s[8:9]
	s_cbranch_execnz .LBB43_3725
; %bb.1677:
	s_or_saveexec_b64 s[6:7], s[6:7]
	v_mov_b32_e32 v12, s10
	s_xor_b64 exec, exec, s[6:7]
	s_cbranch_execnz .LBB43_3728
.LBB43_1678:
	s_or_b64 exec, exec, s[6:7]
	s_and_saveexec_b64 s[6:7], s[4:5]
	s_cbranch_execz .LBB43_1680
.LBB43_1679:
	v_bfe_u32 v12, v2, 8, 3
	v_ffbh_u32_e32 v14, v12
	v_min_u32_e32 v14, 32, v14
	v_lshrrev_b16_e32 v13, 3, v11
	v_subrev_u32_e32 v15, 28, v14
	v_and_b32_e32 v13, 15, v13
	v_lshlrev_b32_e32 v11, v15, v11
	v_sub_u32_e32 v14, 29, v14
	v_and_b32_e32 v11, 7, v11
	v_cmp_eq_u16_e32 vcc, 0, v13
	v_cndmask_b32_e32 v11, v12, v11, vcc
	v_cndmask_b32_e32 v12, v13, v14, vcc
	v_lshlrev_b32_e32 v13, 16, v2
	v_mov_b32_e32 v14, 0x3b800000
	v_lshlrev_b32_e32 v11, 20, v11
	v_and_b32_e32 v13, 0x80000000, v13
	v_lshl_add_u32 v12, v12, 23, v14
	v_or3_b32 v12, v13, v12, v11
.LBB43_1680:
	s_or_b64 exec, exec, s[6:7]
	s_nop 0
	v_mfma_f32_16x16x4f32 a[0:3], v10, v12, a[0:3]
	s_movk_i32 s4, 0xff
	v_and_b32_sdwa v11, v6, s4 dst_sel:DWORD dst_unused:UNUSED_PAD src0_sel:WORD_1 src1_sel:DWORD
	s_movk_i32 s4, 0x7f
	v_cmp_lt_i16_e32 vcc, s4, v11
	s_mov_b64 s[4:5], 0
                                        ; implicit-def: $sgpr10
	s_and_saveexec_b64 s[6:7], vcc
	s_xor_b64 s[6:7], exec, s[6:7]
	s_cbranch_execnz .LBB43_3729
; %bb.1681:
	s_or_saveexec_b64 s[6:7], s[6:7]
	v_mov_b32_e32 v10, s10
	s_xor_b64 exec, exec, s[6:7]
	s_cbranch_execnz .LBB43_3732
.LBB43_1682:
	s_or_b64 exec, exec, s[6:7]
	s_and_saveexec_b64 s[6:7], s[4:5]
	s_cbranch_execz .LBB43_1684
.LBB43_1683:
	v_bfe_u32 v10, v6, 16, 3
	v_ffbh_u32_e32 v13, v10
	v_min_u32_e32 v13, 32, v13
	v_lshrrev_b32_e32 v11, 19, v6
	v_subrev_u32_e32 v14, 28, v13
	v_and_b32_e32 v11, 15, v11
	v_lshlrev_b32_sdwa v14, v14, v6 dst_sel:DWORD dst_unused:UNUSED_PAD src0_sel:DWORD src1_sel:WORD_1
	v_bfe_u32 v12, v6, 19, 4
	v_sub_u32_e32 v13, 29, v13
	v_and_b32_e32 v14, 7, v14
	v_cmp_eq_u16_e32 vcc, 0, v11
	v_cndmask_b32_e32 v10, v10, v14, vcc
	v_cndmask_b32_e32 v11, v12, v13, vcc
	v_lshlrev_b32_e32 v12, 8, v6
	v_mov_b32_e32 v13, 0x3b800000
	v_lshlrev_b32_e32 v10, 20, v10
	v_and_b32_e32 v12, 0x80000000, v12
	v_lshl_add_u32 v11, v11, 23, v13
	v_or3_b32 v10, v12, v11, v10
.LBB43_1684:
	s_or_b64 exec, exec, s[6:7]
	s_movk_i32 s4, 0xff
	v_and_b32_sdwa v11, v2, s4 dst_sel:DWORD dst_unused:UNUSED_PAD src0_sel:WORD_1 src1_sel:DWORD
	s_movk_i32 s4, 0x7f
	v_cmp_lt_i16_e32 vcc, s4, v11
	s_mov_b64 s[4:5], 0
                                        ; implicit-def: $sgpr10
	s_and_saveexec_b64 s[6:7], vcc
	s_xor_b64 s[6:7], exec, s[6:7]
	s_cbranch_execnz .LBB43_3733
; %bb.1685:
	s_or_saveexec_b64 s[6:7], s[6:7]
	v_mov_b32_e32 v12, s10
	s_xor_b64 exec, exec, s[6:7]
	s_cbranch_execnz .LBB43_3736
.LBB43_1686:
	s_or_b64 exec, exec, s[6:7]
	s_and_saveexec_b64 s[6:7], s[4:5]
	s_cbranch_execz .LBB43_1688
.LBB43_1687:
	v_bfe_u32 v11, v2, 16, 3
	v_ffbh_u32_e32 v14, v11
	v_min_u32_e32 v14, 32, v14
	v_lshrrev_b32_e32 v12, 19, v2
	v_subrev_u32_e32 v15, 28, v14
	v_and_b32_e32 v12, 15, v12
	v_lshlrev_b32_sdwa v15, v15, v2 dst_sel:DWORD dst_unused:UNUSED_PAD src0_sel:DWORD src1_sel:WORD_1
	v_bfe_u32 v13, v2, 19, 4
	v_sub_u32_e32 v14, 29, v14
	v_and_b32_e32 v15, 7, v15
	v_cmp_eq_u16_e32 vcc, 0, v12
	v_cndmask_b32_e32 v11, v11, v15, vcc
	v_cndmask_b32_e32 v12, v13, v14, vcc
	v_lshlrev_b32_e32 v13, 8, v2
	v_mov_b32_e32 v14, 0x3b800000
	v_lshlrev_b32_e32 v11, 20, v11
	v_and_b32_e32 v13, 0x80000000, v13
	v_lshl_add_u32 v12, v12, 23, v14
	v_or3_b32 v12, v13, v12, v11
.LBB43_1688:
	s_or_b64 exec, exec, s[6:7]
	s_nop 0
	v_mfma_f32_16x16x4f32 a[0:3], v10, v12, a[0:3]
	s_movk_i32 s4, 0x7f
	v_cmp_gt_i16_sdwa s[6:7], v6, s4 src0_sel:BYTE_3 src1_sel:DWORD
	s_mov_b64 s[4:5], 0
                                        ; implicit-def: $sgpr10
	s_and_saveexec_b64 s[8:9], s[6:7]
	s_xor_b64 s[6:7], exec, s[8:9]
	s_cbranch_execnz .LBB43_3737
; %bb.1689:
	s_or_saveexec_b64 s[6:7], s[6:7]
	v_mov_b32_e32 v10, s10
	s_xor_b64 exec, exec, s[6:7]
	s_cbranch_execnz .LBB43_3740
.LBB43_1690:
	s_or_b64 exec, exec, s[6:7]
	s_and_saveexec_b64 s[6:7], s[4:5]
	s_cbranch_execz .LBB43_1692
.LBB43_1691:
	v_bfe_u32 v10, v6, 24, 3
	v_ffbh_u32_e32 v14, v10
	v_min_u32_e32 v14, 32, v14
	v_lshrrev_b32_e32 v12, 27, v6
	v_subrev_u32_e32 v15, 28, v14
	v_and_b32_e32 v11, 0x80000000, v6
	v_and_b32_e32 v12, 15, v12
	v_bfe_u32 v13, v6, 27, 4
	v_lshlrev_b32_sdwa v6, v15, v6 dst_sel:DWORD dst_unused:UNUSED_PAD src0_sel:DWORD src1_sel:BYTE_3
	v_sub_u32_e32 v14, 29, v14
	v_and_b32_e32 v6, 7, v6
	v_cmp_eq_u16_e32 vcc, 0, v12
	v_cndmask_b32_e32 v6, v10, v6, vcc
	v_cndmask_b32_e32 v10, v13, v14, vcc
	v_mov_b32_e32 v12, 0x3b800000
	v_lshlrev_b32_e32 v6, 20, v6
	v_lshl_add_u32 v10, v10, 23, v12
	v_or3_b32 v10, v11, v10, v6
.LBB43_1692:
	s_or_b64 exec, exec, s[6:7]
	s_movk_i32 s4, 0x7f
	v_cmp_gt_i16_sdwa s[6:7], v2, s4 src0_sel:BYTE_3 src1_sel:DWORD
	s_mov_b64 s[4:5], 0
                                        ; implicit-def: $sgpr10
	s_and_saveexec_b64 s[8:9], s[6:7]
	s_xor_b64 s[6:7], exec, s[8:9]
	s_cbranch_execnz .LBB43_3741
; %bb.1693:
	s_or_saveexec_b64 s[6:7], s[6:7]
	v_mov_b32_e32 v6, s10
	s_xor_b64 exec, exec, s[6:7]
	s_cbranch_execnz .LBB43_3744
.LBB43_1694:
	s_or_b64 exec, exec, s[6:7]
	s_and_saveexec_b64 s[6:7], s[4:5]
	s_cbranch_execz .LBB43_1696
.LBB43_1695:
	v_bfe_u32 v6, v2, 24, 3
	v_ffbh_u32_e32 v14, v6
	v_min_u32_e32 v14, 32, v14
	v_lshrrev_b32_e32 v12, 27, v2
	v_subrev_u32_e32 v15, 28, v14
	v_and_b32_e32 v11, 0x80000000, v2
	v_and_b32_e32 v12, 15, v12
	v_bfe_u32 v13, v2, 27, 4
	v_lshlrev_b32_sdwa v2, v15, v2 dst_sel:DWORD dst_unused:UNUSED_PAD src0_sel:DWORD src1_sel:BYTE_3
	v_sub_u32_e32 v14, 29, v14
	v_and_b32_e32 v2, 7, v2
	v_cmp_eq_u16_e32 vcc, 0, v12
	v_cndmask_b32_e32 v2, v6, v2, vcc
	v_cndmask_b32_e32 v6, v13, v14, vcc
	v_mov_b32_e32 v12, 0x3b800000
	v_lshlrev_b32_e32 v2, 20, v2
	v_lshl_add_u32 v6, v6, 23, v12
	v_or3_b32 v6, v11, v6, v2
.LBB43_1696:
	s_or_b64 exec, exec, s[6:7]
	s_nop 0
	v_mfma_f32_16x16x4f32 a[0:3], v10, v6, a[0:3]
	s_movk_i32 s4, 0x7f
	v_cmp_gt_i16_sdwa s[6:7], v7, s4 src0_sel:BYTE_0 src1_sel:DWORD
	s_mov_b64 s[4:5], 0
                                        ; implicit-def: $sgpr10
	s_and_saveexec_b64 s[8:9], s[6:7]
	s_xor_b64 s[6:7], exec, s[8:9]
	s_cbranch_execnz .LBB43_3745
; %bb.1697:
	s_or_saveexec_b64 s[6:7], s[6:7]
	v_mov_b32_e32 v2, s10
	s_xor_b64 exec, exec, s[6:7]
	s_cbranch_execnz .LBB43_3748
.LBB43_1698:
	s_or_b64 exec, exec, s[6:7]
	s_and_saveexec_b64 s[6:7], s[4:5]
	s_cbranch_execz .LBB43_1700
.LBB43_1699:
	v_and_b32_e32 v2, 7, v7
	v_ffbh_u32_e32 v10, v2
	v_min_u32_e32 v10, 32, v10
	v_lshrrev_b16_e32 v6, 3, v7
	v_subrev_u32_e32 v11, 28, v10
	v_and_b32_e32 v6, 15, v6
	v_lshlrev_b32_e32 v11, v11, v7
	v_sub_u32_e32 v10, 29, v10
	v_and_b32_e32 v11, 7, v11
	v_cmp_eq_u16_e32 vcc, 0, v6
	v_cndmask_b32_e32 v2, v2, v11, vcc
	v_cndmask_b32_e32 v6, v6, v10, vcc
	v_lshlrev_b32_e32 v10, 24, v7
	v_mov_b32_e32 v11, 0x3b800000
	v_lshlrev_b32_e32 v2, 20, v2
	v_and_b32_e32 v10, 0x80000000, v10
	v_lshl_add_u32 v6, v6, 23, v11
	v_or3_b32 v2, v10, v6, v2
.LBB43_1700:
	s_or_b64 exec, exec, s[6:7]
	s_movk_i32 s4, 0x7f
	v_cmp_gt_i16_sdwa s[6:7], v3, s4 src0_sel:BYTE_0 src1_sel:DWORD
	s_mov_b64 s[4:5], 0
                                        ; implicit-def: $sgpr10
	s_and_saveexec_b64 s[8:9], s[6:7]
	s_xor_b64 s[6:7], exec, s[8:9]
	s_cbranch_execnz .LBB43_3749
; %bb.1701:
	s_or_saveexec_b64 s[6:7], s[6:7]
	v_mov_b32_e32 v6, s10
	s_xor_b64 exec, exec, s[6:7]
	s_cbranch_execnz .LBB43_3752
.LBB43_1702:
	s_or_b64 exec, exec, s[6:7]
	s_and_saveexec_b64 s[6:7], s[4:5]
	s_cbranch_execz .LBB43_1704
.LBB43_1703:
	v_and_b32_e32 v6, 7, v3
	v_ffbh_u32_e32 v11, v6
	v_min_u32_e32 v11, 32, v11
	v_lshrrev_b16_e32 v10, 3, v3
	v_subrev_u32_e32 v12, 28, v11
	v_and_b32_e32 v10, 15, v10
	v_lshlrev_b32_e32 v12, v12, v3
	v_sub_u32_e32 v11, 29, v11
	v_and_b32_e32 v12, 7, v12
	v_cmp_eq_u16_e32 vcc, 0, v10
	v_cndmask_b32_e32 v6, v6, v12, vcc
	v_cndmask_b32_e32 v10, v10, v11, vcc
	v_lshlrev_b32_e32 v11, 24, v3
	v_mov_b32_e32 v12, 0x3b800000
	v_lshlrev_b32_e32 v6, 20, v6
	v_and_b32_e32 v11, 0x80000000, v11
	v_lshl_add_u32 v10, v10, 23, v12
	v_or3_b32 v6, v11, v10, v6
.LBB43_1704:
	s_or_b64 exec, exec, s[6:7]
	s_nop 0
	v_mfma_f32_16x16x4f32 a[0:3], v2, v6, a[0:3]
	v_lshrrev_b32_e32 v6, 8, v7
	s_movk_i32 s4, 0x7f
	v_cmp_gt_i16_sdwa s[6:7], v6, s4 src0_sel:BYTE_0 src1_sel:DWORD
	s_mov_b64 s[4:5], 0
                                        ; implicit-def: $sgpr10
	s_and_saveexec_b64 s[8:9], s[6:7]
	s_xor_b64 s[6:7], exec, s[8:9]
	s_cbranch_execnz .LBB43_3753
; %bb.1705:
	s_or_saveexec_b64 s[6:7], s[6:7]
	v_mov_b32_e32 v2, s10
	s_xor_b64 exec, exec, s[6:7]
	s_cbranch_execnz .LBB43_3756
.LBB43_1706:
	s_or_b64 exec, exec, s[6:7]
	s_and_saveexec_b64 s[6:7], s[4:5]
	s_cbranch_execz .LBB43_1708
.LBB43_1707:
	v_bfe_u32 v2, v7, 8, 3
	v_ffbh_u32_e32 v11, v2
	v_min_u32_e32 v11, 32, v11
	v_lshrrev_b16_e32 v10, 3, v6
	v_subrev_u32_e32 v12, 28, v11
	v_and_b32_e32 v10, 15, v10
	v_lshlrev_b32_e32 v6, v12, v6
	v_sub_u32_e32 v11, 29, v11
	v_and_b32_e32 v6, 7, v6
	v_cmp_eq_u16_e32 vcc, 0, v10
	v_cndmask_b32_e32 v2, v2, v6, vcc
	v_cndmask_b32_e32 v6, v10, v11, vcc
	v_lshlrev_b32_e32 v10, 16, v7
	v_mov_b32_e32 v11, 0x3b800000
	v_lshlrev_b32_e32 v2, 20, v2
	v_and_b32_e32 v10, 0x80000000, v10
	v_lshl_add_u32 v6, v6, 23, v11
	v_or3_b32 v2, v10, v6, v2
.LBB43_1708:
	s_or_b64 exec, exec, s[6:7]
	v_lshrrev_b32_e32 v6, 8, v3
	s_movk_i32 s4, 0x7f
	v_cmp_gt_i16_sdwa s[6:7], v6, s4 src0_sel:BYTE_0 src1_sel:DWORD
	s_mov_b64 s[4:5], 0
                                        ; implicit-def: $sgpr10
	s_and_saveexec_b64 s[8:9], s[6:7]
	s_xor_b64 s[6:7], exec, s[8:9]
	s_cbranch_execnz .LBB43_3757
; %bb.1709:
	s_or_saveexec_b64 s[6:7], s[6:7]
	v_mov_b32_e32 v10, s10
	s_xor_b64 exec, exec, s[6:7]
	s_cbranch_execnz .LBB43_3760
.LBB43_1710:
	s_or_b64 exec, exec, s[6:7]
	s_and_saveexec_b64 s[6:7], s[4:5]
	s_cbranch_execz .LBB43_1712
.LBB43_1711:
	v_bfe_u32 v10, v3, 8, 3
	v_ffbh_u32_e32 v12, v10
	v_min_u32_e32 v12, 32, v12
	v_lshrrev_b16_e32 v11, 3, v6
	v_subrev_u32_e32 v13, 28, v12
	v_and_b32_e32 v11, 15, v11
	v_lshlrev_b32_e32 v6, v13, v6
	v_sub_u32_e32 v12, 29, v12
	v_and_b32_e32 v6, 7, v6
	v_cmp_eq_u16_e32 vcc, 0, v11
	v_cndmask_b32_e32 v6, v10, v6, vcc
	v_cndmask_b32_e32 v10, v11, v12, vcc
	v_lshlrev_b32_e32 v11, 16, v3
	v_mov_b32_e32 v12, 0x3b800000
	v_lshlrev_b32_e32 v6, 20, v6
	v_and_b32_e32 v11, 0x80000000, v11
	v_lshl_add_u32 v10, v10, 23, v12
	v_or3_b32 v10, v11, v10, v6
.LBB43_1712:
	s_or_b64 exec, exec, s[6:7]
	s_nop 0
	v_mfma_f32_16x16x4f32 a[0:3], v2, v10, a[0:3]
	s_movk_i32 s4, 0xff
	v_and_b32_sdwa v6, v7, s4 dst_sel:DWORD dst_unused:UNUSED_PAD src0_sel:WORD_1 src1_sel:DWORD
	s_movk_i32 s4, 0x7f
	v_cmp_lt_i16_e32 vcc, s4, v6
	s_mov_b64 s[4:5], 0
                                        ; implicit-def: $sgpr10
	s_and_saveexec_b64 s[6:7], vcc
	s_xor_b64 s[6:7], exec, s[6:7]
	s_cbranch_execnz .LBB43_3761
; %bb.1713:
	s_or_saveexec_b64 s[6:7], s[6:7]
	v_mov_b32_e32 v2, s10
	s_xor_b64 exec, exec, s[6:7]
	s_cbranch_execnz .LBB43_3764
.LBB43_1714:
	s_or_b64 exec, exec, s[6:7]
	s_and_saveexec_b64 s[6:7], s[4:5]
	s_cbranch_execz .LBB43_1716
.LBB43_1715:
	v_bfe_u32 v2, v7, 16, 3
	v_ffbh_u32_e32 v11, v2
	v_min_u32_e32 v11, 32, v11
	v_lshrrev_b32_e32 v6, 19, v7
	v_subrev_u32_e32 v12, 28, v11
	v_and_b32_e32 v6, 15, v6
	v_lshlrev_b32_sdwa v12, v12, v7 dst_sel:DWORD dst_unused:UNUSED_PAD src0_sel:DWORD src1_sel:WORD_1
	v_bfe_u32 v10, v7, 19, 4
	v_sub_u32_e32 v11, 29, v11
	v_and_b32_e32 v12, 7, v12
	v_cmp_eq_u16_e32 vcc, 0, v6
	v_cndmask_b32_e32 v2, v2, v12, vcc
	v_cndmask_b32_e32 v6, v10, v11, vcc
	v_lshlrev_b32_e32 v10, 8, v7
	v_mov_b32_e32 v11, 0x3b800000
	v_lshlrev_b32_e32 v2, 20, v2
	v_and_b32_e32 v10, 0x80000000, v10
	v_lshl_add_u32 v6, v6, 23, v11
	v_or3_b32 v2, v10, v6, v2
.LBB43_1716:
	s_or_b64 exec, exec, s[6:7]
	s_movk_i32 s4, 0xff
	v_and_b32_sdwa v6, v3, s4 dst_sel:DWORD dst_unused:UNUSED_PAD src0_sel:WORD_1 src1_sel:DWORD
	s_movk_i32 s4, 0x7f
	v_cmp_lt_i16_e32 vcc, s4, v6
	s_mov_b64 s[4:5], 0
                                        ; implicit-def: $sgpr10
	s_and_saveexec_b64 s[6:7], vcc
	s_xor_b64 s[6:7], exec, s[6:7]
	s_cbranch_execnz .LBB43_3765
; %bb.1717:
	s_or_saveexec_b64 s[6:7], s[6:7]
	v_mov_b32_e32 v10, s10
	s_xor_b64 exec, exec, s[6:7]
	s_cbranch_execnz .LBB43_3768
.LBB43_1718:
	s_or_b64 exec, exec, s[6:7]
	s_and_saveexec_b64 s[6:7], s[4:5]
	s_cbranch_execz .LBB43_1720
.LBB43_1719:
	v_bfe_u32 v6, v3, 16, 3
	v_ffbh_u32_e32 v12, v6
	v_min_u32_e32 v12, 32, v12
	v_lshrrev_b32_e32 v10, 19, v3
	v_subrev_u32_e32 v13, 28, v12
	v_and_b32_e32 v10, 15, v10
	v_lshlrev_b32_sdwa v13, v13, v3 dst_sel:DWORD dst_unused:UNUSED_PAD src0_sel:DWORD src1_sel:WORD_1
	v_bfe_u32 v11, v3, 19, 4
	v_sub_u32_e32 v12, 29, v12
	v_and_b32_e32 v13, 7, v13
	v_cmp_eq_u16_e32 vcc, 0, v10
	v_cndmask_b32_e32 v6, v6, v13, vcc
	v_cndmask_b32_e32 v10, v11, v12, vcc
	v_lshlrev_b32_e32 v11, 8, v3
	v_mov_b32_e32 v12, 0x3b800000
	v_lshlrev_b32_e32 v6, 20, v6
	v_and_b32_e32 v11, 0x80000000, v11
	v_lshl_add_u32 v10, v10, 23, v12
	v_or3_b32 v10, v11, v10, v6
.LBB43_1720:
	s_or_b64 exec, exec, s[6:7]
	s_nop 0
	v_mfma_f32_16x16x4f32 a[0:3], v2, v10, a[0:3]
	s_movk_i32 s4, 0x7f
	v_cmp_gt_i16_sdwa s[6:7], v7, s4 src0_sel:BYTE_3 src1_sel:DWORD
	s_mov_b64 s[4:5], 0
                                        ; implicit-def: $sgpr10
	s_and_saveexec_b64 s[8:9], s[6:7]
	s_xor_b64 s[6:7], exec, s[8:9]
	s_cbranch_execnz .LBB43_3769
; %bb.1721:
	s_or_saveexec_b64 s[6:7], s[6:7]
	v_mov_b32_e32 v2, s10
	s_xor_b64 exec, exec, s[6:7]
	s_cbranch_execnz .LBB43_3772
.LBB43_1722:
	s_or_b64 exec, exec, s[6:7]
	s_and_saveexec_b64 s[6:7], s[4:5]
	s_cbranch_execz .LBB43_1724
.LBB43_1723:
	v_bfe_u32 v2, v7, 24, 3
	v_ffbh_u32_e32 v12, v2
	v_min_u32_e32 v12, 32, v12
	v_lshrrev_b32_e32 v10, 27, v7
	v_subrev_u32_e32 v13, 28, v12
	v_and_b32_e32 v6, 0x80000000, v7
	v_and_b32_e32 v10, 15, v10
	v_bfe_u32 v11, v7, 27, 4
	v_lshlrev_b32_sdwa v7, v13, v7 dst_sel:DWORD dst_unused:UNUSED_PAD src0_sel:DWORD src1_sel:BYTE_3
	v_sub_u32_e32 v12, 29, v12
	v_and_b32_e32 v7, 7, v7
	v_cmp_eq_u16_e32 vcc, 0, v10
	v_cndmask_b32_e32 v2, v2, v7, vcc
	v_cndmask_b32_e32 v7, v11, v12, vcc
	v_mov_b32_e32 v10, 0x3b800000
	v_lshlrev_b32_e32 v2, 20, v2
	v_lshl_add_u32 v7, v7, 23, v10
	v_or3_b32 v2, v6, v7, v2
.LBB43_1724:
	s_or_b64 exec, exec, s[6:7]
	s_movk_i32 s4, 0x7f
	v_cmp_gt_i16_sdwa s[6:7], v3, s4 src0_sel:BYTE_3 src1_sel:DWORD
	s_mov_b64 s[4:5], 0
                                        ; implicit-def: $sgpr10
	s_and_saveexec_b64 s[8:9], s[6:7]
	s_xor_b64 s[6:7], exec, s[8:9]
	s_cbranch_execnz .LBB43_3773
; %bb.1725:
	s_or_saveexec_b64 s[6:7], s[6:7]
	v_mov_b32_e32 v6, s10
	s_xor_b64 exec, exec, s[6:7]
	s_cbranch_execnz .LBB43_3776
.LBB43_1726:
	s_or_b64 exec, exec, s[6:7]
	s_and_saveexec_b64 s[6:7], s[4:5]
	s_cbranch_execz .LBB43_1728
.LBB43_1727:
	v_bfe_u32 v6, v3, 24, 3
	v_ffbh_u32_e32 v12, v6
	v_min_u32_e32 v12, 32, v12
	v_lshrrev_b32_e32 v10, 27, v3
	v_subrev_u32_e32 v13, 28, v12
	v_and_b32_e32 v7, 0x80000000, v3
	v_and_b32_e32 v10, 15, v10
	v_bfe_u32 v11, v3, 27, 4
	v_lshlrev_b32_sdwa v3, v13, v3 dst_sel:DWORD dst_unused:UNUSED_PAD src0_sel:DWORD src1_sel:BYTE_3
	v_sub_u32_e32 v12, 29, v12
	v_and_b32_e32 v3, 7, v3
	v_cmp_eq_u16_e32 vcc, 0, v10
	v_cndmask_b32_e32 v3, v6, v3, vcc
	v_cndmask_b32_e32 v6, v11, v12, vcc
	v_mov_b32_e32 v10, 0x3b800000
	v_lshlrev_b32_e32 v3, 20, v3
	v_lshl_add_u32 v6, v6, 23, v10
	v_or3_b32 v6, v7, v6, v3
.LBB43_1728:
	s_or_b64 exec, exec, s[6:7]
	s_nop 0
	v_mfma_f32_16x16x4f32 a[0:3], v2, v6, a[0:3]
	s_movk_i32 s4, 0x7f
	v_cmp_gt_i16_sdwa s[6:7], v8, s4 src0_sel:BYTE_0 src1_sel:DWORD
	s_mov_b64 s[4:5], 0
                                        ; implicit-def: $sgpr10
	s_and_saveexec_b64 s[8:9], s[6:7]
	s_xor_b64 s[6:7], exec, s[8:9]
	s_cbranch_execnz .LBB43_3777
; %bb.1729:
	s_or_saveexec_b64 s[6:7], s[6:7]
	v_mov_b32_e32 v2, s10
	s_xor_b64 exec, exec, s[6:7]
	s_cbranch_execnz .LBB43_3780
.LBB43_1730:
	s_or_b64 exec, exec, s[6:7]
	s_and_saveexec_b64 s[6:7], s[4:5]
	s_cbranch_execz .LBB43_1732
.LBB43_1731:
	v_and_b32_e32 v2, 7, v8
	v_ffbh_u32_e32 v6, v2
	v_min_u32_e32 v6, 32, v6
	v_lshrrev_b16_e32 v3, 3, v8
	v_subrev_u32_e32 v7, 28, v6
	v_and_b32_e32 v3, 15, v3
	v_lshlrev_b32_e32 v7, v7, v8
	v_sub_u32_e32 v6, 29, v6
	v_and_b32_e32 v7, 7, v7
	v_cmp_eq_u16_e32 vcc, 0, v3
	v_cndmask_b32_e32 v2, v2, v7, vcc
	v_cndmask_b32_e32 v3, v3, v6, vcc
	v_lshlrev_b32_e32 v6, 24, v8
	v_mov_b32_e32 v7, 0x3b800000
	v_lshlrev_b32_e32 v2, 20, v2
	v_and_b32_e32 v6, 0x80000000, v6
	v_lshl_add_u32 v3, v3, 23, v7
	v_or3_b32 v2, v6, v3, v2
.LBB43_1732:
	s_or_b64 exec, exec, s[6:7]
	s_movk_i32 s4, 0x7f
	v_cmp_gt_i16_sdwa s[6:7], v4, s4 src0_sel:BYTE_0 src1_sel:DWORD
	s_mov_b64 s[4:5], 0
                                        ; implicit-def: $sgpr10
	s_and_saveexec_b64 s[8:9], s[6:7]
	s_xor_b64 s[6:7], exec, s[8:9]
	s_cbranch_execnz .LBB43_3781
; %bb.1733:
	s_or_saveexec_b64 s[6:7], s[6:7]
	v_mov_b32_e32 v3, s10
	s_xor_b64 exec, exec, s[6:7]
	s_cbranch_execnz .LBB43_3784
.LBB43_1734:
	s_or_b64 exec, exec, s[6:7]
	s_and_saveexec_b64 s[6:7], s[4:5]
	s_cbranch_execz .LBB43_1736
.LBB43_1735:
	v_and_b32_e32 v3, 7, v4
	v_ffbh_u32_e32 v7, v3
	v_min_u32_e32 v7, 32, v7
	v_lshrrev_b16_e32 v6, 3, v4
	v_subrev_u32_e32 v10, 28, v7
	v_and_b32_e32 v6, 15, v6
	v_lshlrev_b32_e32 v10, v10, v4
	v_sub_u32_e32 v7, 29, v7
	v_and_b32_e32 v10, 7, v10
	v_cmp_eq_u16_e32 vcc, 0, v6
	v_cndmask_b32_e32 v3, v3, v10, vcc
	v_cndmask_b32_e32 v6, v6, v7, vcc
	v_lshlrev_b32_e32 v7, 24, v4
	v_mov_b32_e32 v10, 0x3b800000
	v_lshlrev_b32_e32 v3, 20, v3
	v_and_b32_e32 v7, 0x80000000, v7
	v_lshl_add_u32 v6, v6, 23, v10
	v_or3_b32 v3, v7, v6, v3
.LBB43_1736:
	s_or_b64 exec, exec, s[6:7]
	s_nop 0
	v_mfma_f32_16x16x4f32 a[0:3], v2, v3, a[0:3]
	v_lshrrev_b32_e32 v3, 8, v8
	s_movk_i32 s4, 0x7f
	v_cmp_gt_i16_sdwa s[6:7], v3, s4 src0_sel:BYTE_0 src1_sel:DWORD
	s_mov_b64 s[4:5], 0
                                        ; implicit-def: $sgpr10
	s_and_saveexec_b64 s[8:9], s[6:7]
	s_xor_b64 s[6:7], exec, s[8:9]
	s_cbranch_execnz .LBB43_3785
; %bb.1737:
	s_or_saveexec_b64 s[6:7], s[6:7]
	v_mov_b32_e32 v2, s10
	s_xor_b64 exec, exec, s[6:7]
	s_cbranch_execnz .LBB43_3788
.LBB43_1738:
	s_or_b64 exec, exec, s[6:7]
	s_and_saveexec_b64 s[6:7], s[4:5]
	s_cbranch_execz .LBB43_1740
.LBB43_1739:
	v_bfe_u32 v2, v8, 8, 3
	v_ffbh_u32_e32 v7, v2
	v_min_u32_e32 v7, 32, v7
	v_lshrrev_b16_e32 v6, 3, v3
	v_subrev_u32_e32 v10, 28, v7
	v_and_b32_e32 v6, 15, v6
	v_lshlrev_b32_e32 v3, v10, v3
	v_sub_u32_e32 v7, 29, v7
	v_and_b32_e32 v3, 7, v3
	v_cmp_eq_u16_e32 vcc, 0, v6
	v_cndmask_b32_e32 v2, v2, v3, vcc
	v_cndmask_b32_e32 v3, v6, v7, vcc
	v_lshlrev_b32_e32 v6, 16, v8
	v_mov_b32_e32 v7, 0x3b800000
	v_lshlrev_b32_e32 v2, 20, v2
	v_and_b32_e32 v6, 0x80000000, v6
	v_lshl_add_u32 v3, v3, 23, v7
	v_or3_b32 v2, v6, v3, v2
.LBB43_1740:
	s_or_b64 exec, exec, s[6:7]
	v_lshrrev_b32_e32 v3, 8, v4
	s_movk_i32 s4, 0x7f
	v_cmp_gt_i16_sdwa s[6:7], v3, s4 src0_sel:BYTE_0 src1_sel:DWORD
	s_mov_b64 s[4:5], 0
                                        ; implicit-def: $sgpr10
	s_and_saveexec_b64 s[8:9], s[6:7]
	s_xor_b64 s[6:7], exec, s[8:9]
	s_cbranch_execnz .LBB43_3789
; %bb.1741:
	s_or_saveexec_b64 s[6:7], s[6:7]
	v_mov_b32_e32 v6, s10
	s_xor_b64 exec, exec, s[6:7]
	s_cbranch_execnz .LBB43_3792
.LBB43_1742:
	s_or_b64 exec, exec, s[6:7]
	s_and_saveexec_b64 s[6:7], s[4:5]
	s_cbranch_execz .LBB43_1744
.LBB43_1743:
	v_bfe_u32 v6, v4, 8, 3
	v_ffbh_u32_e32 v10, v6
	v_min_u32_e32 v10, 32, v10
	v_lshrrev_b16_e32 v7, 3, v3
	v_subrev_u32_e32 v11, 28, v10
	v_and_b32_e32 v7, 15, v7
	v_lshlrev_b32_e32 v3, v11, v3
	v_sub_u32_e32 v10, 29, v10
	v_and_b32_e32 v3, 7, v3
	v_cmp_eq_u16_e32 vcc, 0, v7
	v_cndmask_b32_e32 v3, v6, v3, vcc
	v_cndmask_b32_e32 v6, v7, v10, vcc
	v_lshlrev_b32_e32 v7, 16, v4
	v_mov_b32_e32 v10, 0x3b800000
	v_lshlrev_b32_e32 v3, 20, v3
	v_and_b32_e32 v7, 0x80000000, v7
	v_lshl_add_u32 v6, v6, 23, v10
	v_or3_b32 v6, v7, v6, v3
.LBB43_1744:
	s_or_b64 exec, exec, s[6:7]
	s_nop 0
	v_mfma_f32_16x16x4f32 a[0:3], v2, v6, a[0:3]
	s_movk_i32 s4, 0xff
	v_and_b32_sdwa v3, v8, s4 dst_sel:DWORD dst_unused:UNUSED_PAD src0_sel:WORD_1 src1_sel:DWORD
	s_movk_i32 s4, 0x7f
	v_cmp_lt_i16_e32 vcc, s4, v3
	s_mov_b64 s[4:5], 0
                                        ; implicit-def: $sgpr10
	s_and_saveexec_b64 s[6:7], vcc
	s_xor_b64 s[6:7], exec, s[6:7]
	s_cbranch_execnz .LBB43_3793
; %bb.1745:
	s_or_saveexec_b64 s[6:7], s[6:7]
	v_mov_b32_e32 v2, s10
	s_xor_b64 exec, exec, s[6:7]
	s_cbranch_execnz .LBB43_3796
.LBB43_1746:
	s_or_b64 exec, exec, s[6:7]
	s_and_saveexec_b64 s[6:7], s[4:5]
	s_cbranch_execz .LBB43_1748
.LBB43_1747:
	v_bfe_u32 v2, v8, 16, 3
	v_ffbh_u32_e32 v7, v2
	v_min_u32_e32 v7, 32, v7
	v_lshrrev_b32_e32 v3, 19, v8
	v_subrev_u32_e32 v10, 28, v7
	v_and_b32_e32 v3, 15, v3
	v_lshlrev_b32_sdwa v10, v10, v8 dst_sel:DWORD dst_unused:UNUSED_PAD src0_sel:DWORD src1_sel:WORD_1
	v_bfe_u32 v6, v8, 19, 4
	v_sub_u32_e32 v7, 29, v7
	v_and_b32_e32 v10, 7, v10
	v_cmp_eq_u16_e32 vcc, 0, v3
	v_cndmask_b32_e32 v2, v2, v10, vcc
	v_cndmask_b32_e32 v3, v6, v7, vcc
	v_lshlrev_b32_e32 v6, 8, v8
	v_mov_b32_e32 v7, 0x3b800000
	v_lshlrev_b32_e32 v2, 20, v2
	v_and_b32_e32 v6, 0x80000000, v6
	v_lshl_add_u32 v3, v3, 23, v7
	v_or3_b32 v2, v6, v3, v2
.LBB43_1748:
	s_or_b64 exec, exec, s[6:7]
	s_movk_i32 s4, 0xff
	v_and_b32_sdwa v3, v4, s4 dst_sel:DWORD dst_unused:UNUSED_PAD src0_sel:WORD_1 src1_sel:DWORD
	s_movk_i32 s4, 0x7f
	v_cmp_lt_i16_e32 vcc, s4, v3
	s_mov_b64 s[4:5], 0
                                        ; implicit-def: $sgpr10
	s_and_saveexec_b64 s[6:7], vcc
	s_xor_b64 s[6:7], exec, s[6:7]
	s_cbranch_execnz .LBB43_3797
; %bb.1749:
	s_or_saveexec_b64 s[6:7], s[6:7]
	v_mov_b32_e32 v6, s10
	s_xor_b64 exec, exec, s[6:7]
	s_cbranch_execnz .LBB43_3800
.LBB43_1750:
	s_or_b64 exec, exec, s[6:7]
	s_and_saveexec_b64 s[6:7], s[4:5]
	s_cbranch_execz .LBB43_1752
.LBB43_1751:
	v_bfe_u32 v3, v4, 16, 3
	v_ffbh_u32_e32 v10, v3
	v_min_u32_e32 v10, 32, v10
	v_lshrrev_b32_e32 v6, 19, v4
	v_subrev_u32_e32 v11, 28, v10
	v_and_b32_e32 v6, 15, v6
	v_lshlrev_b32_sdwa v11, v11, v4 dst_sel:DWORD dst_unused:UNUSED_PAD src0_sel:DWORD src1_sel:WORD_1
	v_bfe_u32 v7, v4, 19, 4
	v_sub_u32_e32 v10, 29, v10
	v_and_b32_e32 v11, 7, v11
	v_cmp_eq_u16_e32 vcc, 0, v6
	v_cndmask_b32_e32 v3, v3, v11, vcc
	v_cndmask_b32_e32 v6, v7, v10, vcc
	v_lshlrev_b32_e32 v7, 8, v4
	v_mov_b32_e32 v10, 0x3b800000
	v_lshlrev_b32_e32 v3, 20, v3
	v_and_b32_e32 v7, 0x80000000, v7
	v_lshl_add_u32 v6, v6, 23, v10
	v_or3_b32 v6, v7, v6, v3
.LBB43_1752:
	s_or_b64 exec, exec, s[6:7]
	s_nop 0
	v_mfma_f32_16x16x4f32 a[0:3], v2, v6, a[0:3]
	s_movk_i32 s4, 0x7f
	v_cmp_gt_i16_sdwa s[6:7], v8, s4 src0_sel:BYTE_3 src1_sel:DWORD
	s_mov_b64 s[4:5], 0
                                        ; implicit-def: $sgpr10
	s_and_saveexec_b64 s[8:9], s[6:7]
	s_xor_b64 s[6:7], exec, s[8:9]
	s_cbranch_execnz .LBB43_3801
; %bb.1753:
	s_or_saveexec_b64 s[6:7], s[6:7]
	v_mov_b32_e32 v2, s10
	s_xor_b64 exec, exec, s[6:7]
	s_cbranch_execnz .LBB43_3804
.LBB43_1754:
	s_or_b64 exec, exec, s[6:7]
	s_and_saveexec_b64 s[6:7], s[4:5]
	s_cbranch_execz .LBB43_1756
.LBB43_1755:
	v_bfe_u32 v2, v8, 24, 3
	v_ffbh_u32_e32 v10, v2
	v_min_u32_e32 v10, 32, v10
	v_lshrrev_b32_e32 v6, 27, v8
	v_subrev_u32_e32 v11, 28, v10
	v_and_b32_e32 v3, 0x80000000, v8
	v_and_b32_e32 v6, 15, v6
	v_bfe_u32 v7, v8, 27, 4
	v_lshlrev_b32_sdwa v8, v11, v8 dst_sel:DWORD dst_unused:UNUSED_PAD src0_sel:DWORD src1_sel:BYTE_3
	v_sub_u32_e32 v10, 29, v10
	v_and_b32_e32 v8, 7, v8
	v_cmp_eq_u16_e32 vcc, 0, v6
	v_cndmask_b32_e32 v2, v2, v8, vcc
	v_cndmask_b32_e32 v6, v7, v10, vcc
	v_mov_b32_e32 v7, 0x3b800000
	v_lshlrev_b32_e32 v2, 20, v2
	v_lshl_add_u32 v6, v6, 23, v7
	v_or3_b32 v2, v3, v6, v2
.LBB43_1756:
	s_or_b64 exec, exec, s[6:7]
	s_movk_i32 s4, 0x7f
	v_cmp_gt_i16_sdwa s[6:7], v4, s4 src0_sel:BYTE_3 src1_sel:DWORD
	s_mov_b64 s[4:5], 0
                                        ; implicit-def: $sgpr10
	s_and_saveexec_b64 s[8:9], s[6:7]
	s_xor_b64 s[6:7], exec, s[8:9]
	s_cbranch_execnz .LBB43_3805
; %bb.1757:
	s_or_saveexec_b64 s[6:7], s[6:7]
	v_mov_b32_e32 v3, s10
	s_xor_b64 exec, exec, s[6:7]
	s_cbranch_execnz .LBB43_3808
.LBB43_1758:
	s_or_b64 exec, exec, s[6:7]
	s_and_saveexec_b64 s[6:7], s[4:5]
	s_cbranch_execz .LBB43_1760
.LBB43_1759:
	v_bfe_u32 v3, v4, 24, 3
	v_ffbh_u32_e32 v10, v3
	v_min_u32_e32 v10, 32, v10
	v_lshrrev_b32_e32 v7, 27, v4
	v_subrev_u32_e32 v11, 28, v10
	v_and_b32_e32 v6, 0x80000000, v4
	v_and_b32_e32 v7, 15, v7
	v_bfe_u32 v8, v4, 27, 4
	v_lshlrev_b32_sdwa v4, v11, v4 dst_sel:DWORD dst_unused:UNUSED_PAD src0_sel:DWORD src1_sel:BYTE_3
	v_sub_u32_e32 v10, 29, v10
	v_and_b32_e32 v4, 7, v4
	v_cmp_eq_u16_e32 vcc, 0, v7
	v_cndmask_b32_e32 v3, v3, v4, vcc
	v_cndmask_b32_e32 v4, v8, v10, vcc
	v_mov_b32_e32 v7, 0x3b800000
	v_lshlrev_b32_e32 v3, 20, v3
	v_lshl_add_u32 v4, v4, 23, v7
	v_or3_b32 v3, v6, v4, v3
.LBB43_1760:
	s_or_b64 exec, exec, s[6:7]
	s_nop 0
	v_mfma_f32_16x16x4f32 a[0:3], v2, v3, a[0:3]
	s_movk_i32 s4, 0x7f
	v_cmp_gt_i16_sdwa s[6:7], v9, s4 src0_sel:BYTE_0 src1_sel:DWORD
	s_mov_b64 s[4:5], 0
                                        ; implicit-def: $sgpr10
	s_and_saveexec_b64 s[8:9], s[6:7]
	s_xor_b64 s[6:7], exec, s[8:9]
	s_cbranch_execnz .LBB43_3809
; %bb.1761:
	s_or_saveexec_b64 s[6:7], s[6:7]
	v_mov_b32_e32 v2, s10
	s_xor_b64 exec, exec, s[6:7]
	s_cbranch_execnz .LBB43_3812
.LBB43_1762:
	s_or_b64 exec, exec, s[6:7]
	s_and_saveexec_b64 s[6:7], s[4:5]
	s_cbranch_execz .LBB43_1764
.LBB43_1763:
	v_mov_b32_e32 v2, 8
	v_and_b32_e32 v3, 7, v9
	v_lshrrev_b32_sdwa v2, v2, v9 dst_sel:BYTE_1 dst_unused:UNUSED_PAD src0_sel:DWORD src1_sel:DWORD
	v_ffbh_u32_e32 v4, v3
	v_or_b32_sdwa v2, v9, v2 dst_sel:DWORD dst_unused:UNUSED_PAD src0_sel:BYTE_0 src1_sel:DWORD
	v_min_u32_e32 v4, 32, v4
	v_lshrrev_b16_e32 v2, 3, v2
	v_subrev_u32_e32 v6, 28, v4
	v_and_b32_e32 v2, 15, v2
	v_lshlrev_b32_e32 v6, v6, v9
	v_sub_u32_e32 v4, 29, v4
	v_and_b32_e32 v6, 7, v6
	v_cmp_eq_u16_e32 vcc, 0, v2
	v_cndmask_b32_e32 v3, v3, v6, vcc
	v_cndmask_b32_e32 v2, v2, v4, vcc
	v_lshlrev_b32_e32 v4, 24, v9
	v_mov_b32_e32 v6, 0x3b800000
	v_lshlrev_b32_e32 v3, 20, v3
	v_and_b32_e32 v4, 0x80000000, v4
	v_lshl_add_u32 v2, v2, 23, v6
	v_or3_b32 v2, v4, v2, v3
.LBB43_1764:
	s_or_b64 exec, exec, s[6:7]
	s_movk_i32 s4, 0x7f
	v_cmp_gt_i16_sdwa s[6:7], v5, s4 src0_sel:BYTE_0 src1_sel:DWORD
	s_mov_b64 s[4:5], 0
                                        ; implicit-def: $sgpr10
	s_and_saveexec_b64 s[8:9], s[6:7]
	s_xor_b64 s[6:7], exec, s[8:9]
	s_cbranch_execnz .LBB43_3813
; %bb.1765:
	s_or_saveexec_b64 s[6:7], s[6:7]
	v_mov_b32_e32 v3, s10
	s_xor_b64 exec, exec, s[6:7]
	s_cbranch_execnz .LBB43_3816
.LBB43_1766:
	s_or_b64 exec, exec, s[6:7]
	s_and_saveexec_b64 s[6:7], s[4:5]
	s_cbranch_execz .LBB43_1768
.LBB43_1767:
	v_mov_b32_e32 v3, 8
	v_and_b32_e32 v4, 7, v5
	v_lshrrev_b32_sdwa v3, v3, v5 dst_sel:BYTE_1 dst_unused:UNUSED_PAD src0_sel:DWORD src1_sel:DWORD
	v_ffbh_u32_e32 v6, v4
	v_or_b32_sdwa v3, v5, v3 dst_sel:DWORD dst_unused:UNUSED_PAD src0_sel:BYTE_0 src1_sel:DWORD
	v_min_u32_e32 v6, 32, v6
	v_lshrrev_b16_e32 v3, 3, v3
	v_subrev_u32_e32 v7, 28, v6
	v_and_b32_e32 v3, 15, v3
	v_lshlrev_b32_e32 v7, v7, v5
	v_sub_u32_e32 v6, 29, v6
	v_and_b32_e32 v7, 7, v7
	v_cmp_eq_u16_e32 vcc, 0, v3
	v_cndmask_b32_e32 v4, v4, v7, vcc
	v_cndmask_b32_e32 v3, v3, v6, vcc
	v_lshlrev_b32_e32 v6, 24, v5
	v_mov_b32_e32 v7, 0x3b800000
	v_lshlrev_b32_e32 v4, 20, v4
	v_and_b32_e32 v6, 0x80000000, v6
	v_lshl_add_u32 v3, v3, 23, v7
	v_or3_b32 v3, v6, v3, v4
.LBB43_1768:
	s_or_b64 exec, exec, s[6:7]
	s_nop 0
	v_mfma_f32_16x16x4f32 a[0:3], v2, v3, a[0:3]
	v_lshrrev_b32_e32 v3, 8, v9
	s_movk_i32 s4, 0x7f
	v_cmp_gt_i16_sdwa s[6:7], v3, s4 src0_sel:BYTE_0 src1_sel:DWORD
	s_mov_b64 s[4:5], 0
                                        ; implicit-def: $sgpr10
	s_and_saveexec_b64 s[8:9], s[6:7]
	s_xor_b64 s[6:7], exec, s[8:9]
	s_cbranch_execnz .LBB43_3817
; %bb.1769:
	s_or_saveexec_b64 s[6:7], s[6:7]
	v_mov_b32_e32 v2, s10
	s_xor_b64 exec, exec, s[6:7]
	s_cbranch_execnz .LBB43_3820
.LBB43_1770:
	s_or_b64 exec, exec, s[6:7]
	s_and_saveexec_b64 s[6:7], s[4:5]
	s_cbranch_execz .LBB43_1772
.LBB43_1771:
	v_bfe_u32 v2, v9, 8, 3
	v_ffbh_u32_e32 v6, v2
	v_min_u32_e32 v6, 32, v6
	v_lshrrev_b16_e32 v4, 3, v3
	v_subrev_u32_e32 v7, 28, v6
	v_and_b32_e32 v4, 15, v4
	v_lshlrev_b32_e32 v3, v7, v3
	v_sub_u32_e32 v6, 29, v6
	v_and_b32_e32 v3, 7, v3
	v_cmp_eq_u16_e32 vcc, 0, v4
	v_cndmask_b32_e32 v2, v2, v3, vcc
	v_cndmask_b32_e32 v3, v4, v6, vcc
	v_lshlrev_b32_e32 v4, 16, v9
	v_mov_b32_e32 v6, 0x3b800000
	v_lshlrev_b32_e32 v2, 20, v2
	v_and_b32_e32 v4, 0x80000000, v4
	v_lshl_add_u32 v3, v3, 23, v6
	v_or3_b32 v2, v4, v3, v2
.LBB43_1772:
	s_or_b64 exec, exec, s[6:7]
	v_lshrrev_b32_e32 v3, 8, v5
	s_movk_i32 s4, 0x7f
	v_cmp_gt_i16_sdwa s[6:7], v3, s4 src0_sel:BYTE_0 src1_sel:DWORD
	s_mov_b64 s[4:5], 0
                                        ; implicit-def: $sgpr10
	s_and_saveexec_b64 s[8:9], s[6:7]
	s_xor_b64 s[6:7], exec, s[8:9]
	s_cbranch_execnz .LBB43_3821
; %bb.1773:
	s_or_saveexec_b64 s[6:7], s[6:7]
	v_mov_b32_e32 v4, s10
	s_xor_b64 exec, exec, s[6:7]
	s_cbranch_execnz .LBB43_3824
.LBB43_1774:
	s_or_b64 exec, exec, s[6:7]
	s_and_saveexec_b64 s[6:7], s[4:5]
	s_cbranch_execz .LBB43_1776
.LBB43_1775:
	v_bfe_u32 v4, v5, 8, 3
	v_ffbh_u32_e32 v7, v4
	v_min_u32_e32 v7, 32, v7
	v_lshrrev_b16_e32 v6, 3, v3
	v_subrev_u32_e32 v8, 28, v7
	v_and_b32_e32 v6, 15, v6
	v_lshlrev_b32_e32 v3, v8, v3
	v_sub_u32_e32 v7, 29, v7
	v_and_b32_e32 v3, 7, v3
	v_cmp_eq_u16_e32 vcc, 0, v6
	v_cndmask_b32_e32 v3, v4, v3, vcc
	v_cndmask_b32_e32 v4, v6, v7, vcc
	v_lshlrev_b32_e32 v6, 16, v5
	v_mov_b32_e32 v7, 0x3b800000
	v_lshlrev_b32_e32 v3, 20, v3
	v_and_b32_e32 v6, 0x80000000, v6
	v_lshl_add_u32 v4, v4, 23, v7
	v_or3_b32 v4, v6, v4, v3
.LBB43_1776:
	s_or_b64 exec, exec, s[6:7]
	s_nop 0
	v_mfma_f32_16x16x4f32 a[0:3], v2, v4, a[0:3]
	s_movk_i32 s4, 0xff
	v_and_b32_sdwa v3, v9, s4 dst_sel:DWORD dst_unused:UNUSED_PAD src0_sel:WORD_1 src1_sel:DWORD
	s_movk_i32 s4, 0x7f
	v_cmp_lt_i16_e32 vcc, s4, v3
	s_mov_b64 s[4:5], 0
                                        ; implicit-def: $sgpr10
	s_and_saveexec_b64 s[6:7], vcc
	s_xor_b64 s[6:7], exec, s[6:7]
	s_cbranch_execnz .LBB43_3825
; %bb.1777:
	s_or_saveexec_b64 s[6:7], s[6:7]
	v_mov_b32_e32 v2, s10
	s_xor_b64 exec, exec, s[6:7]
	s_cbranch_execnz .LBB43_3828
.LBB43_1778:
	s_or_b64 exec, exec, s[6:7]
	s_and_saveexec_b64 s[6:7], s[4:5]
	s_cbranch_execz .LBB43_1780
.LBB43_1779:
	v_bfe_u32 v2, v9, 16, 3
	v_ffbh_u32_e32 v6, v2
	v_min_u32_e32 v6, 32, v6
	v_lshrrev_b32_e32 v3, 19, v9
	v_subrev_u32_e32 v7, 28, v6
	v_and_b32_e32 v3, 15, v3
	v_lshlrev_b32_sdwa v7, v7, v9 dst_sel:DWORD dst_unused:UNUSED_PAD src0_sel:DWORD src1_sel:WORD_1
	v_bfe_u32 v4, v9, 19, 4
	v_sub_u32_e32 v6, 29, v6
	v_and_b32_e32 v7, 7, v7
	v_cmp_eq_u16_e32 vcc, 0, v3
	v_cndmask_b32_e32 v2, v2, v7, vcc
	v_cndmask_b32_e32 v3, v4, v6, vcc
	v_lshlrev_b32_e32 v4, 8, v9
	v_mov_b32_e32 v6, 0x3b800000
	v_lshlrev_b32_e32 v2, 20, v2
	v_and_b32_e32 v4, 0x80000000, v4
	v_lshl_add_u32 v3, v3, 23, v6
	v_or3_b32 v2, v4, v3, v2
.LBB43_1780:
	s_or_b64 exec, exec, s[6:7]
	s_movk_i32 s4, 0xff
	v_and_b32_sdwa v3, v5, s4 dst_sel:DWORD dst_unused:UNUSED_PAD src0_sel:WORD_1 src1_sel:DWORD
	s_movk_i32 s4, 0x7f
	v_cmp_lt_i16_e32 vcc, s4, v3
	s_mov_b64 s[4:5], 0
                                        ; implicit-def: $sgpr10
	s_and_saveexec_b64 s[6:7], vcc
	s_xor_b64 s[6:7], exec, s[6:7]
	s_cbranch_execnz .LBB43_3829
; %bb.1781:
	s_or_saveexec_b64 s[6:7], s[6:7]
	v_mov_b32_e32 v4, s10
	s_xor_b64 exec, exec, s[6:7]
	s_cbranch_execnz .LBB43_3832
.LBB43_1782:
	s_or_b64 exec, exec, s[6:7]
	s_and_saveexec_b64 s[6:7], s[4:5]
	s_cbranch_execz .LBB43_1784
.LBB43_1783:
	v_bfe_u32 v3, v5, 16, 3
	v_ffbh_u32_e32 v7, v3
	v_min_u32_e32 v7, 32, v7
	v_lshrrev_b32_e32 v4, 19, v5
	v_subrev_u32_e32 v8, 28, v7
	v_and_b32_e32 v4, 15, v4
	v_lshlrev_b32_sdwa v8, v8, v5 dst_sel:DWORD dst_unused:UNUSED_PAD src0_sel:DWORD src1_sel:WORD_1
	v_bfe_u32 v6, v5, 19, 4
	v_sub_u32_e32 v7, 29, v7
	v_and_b32_e32 v8, 7, v8
	v_cmp_eq_u16_e32 vcc, 0, v4
	v_cndmask_b32_e32 v3, v3, v8, vcc
	v_cndmask_b32_e32 v4, v6, v7, vcc
	v_lshlrev_b32_e32 v6, 8, v5
	v_mov_b32_e32 v7, 0x3b800000
	v_lshlrev_b32_e32 v3, 20, v3
	v_and_b32_e32 v6, 0x80000000, v6
	v_lshl_add_u32 v4, v4, 23, v7
	v_or3_b32 v4, v6, v4, v3
.LBB43_1784:
	s_or_b64 exec, exec, s[6:7]
	s_nop 0
	v_mfma_f32_16x16x4f32 a[0:3], v2, v4, a[0:3]
	s_movk_i32 s4, 0x7f
	v_cmp_gt_i16_sdwa s[6:7], v9, s4 src0_sel:BYTE_3 src1_sel:DWORD
	s_mov_b64 s[4:5], 0
                                        ; implicit-def: $sgpr10
	s_and_saveexec_b64 s[8:9], s[6:7]
	s_xor_b64 s[6:7], exec, s[8:9]
	s_cbranch_execnz .LBB43_3833
; %bb.1785:
	s_or_saveexec_b64 s[6:7], s[6:7]
	v_mov_b32_e32 v2, s10
	s_xor_b64 exec, exec, s[6:7]
	s_cbranch_execnz .LBB43_3836
.LBB43_1786:
	s_or_b64 exec, exec, s[6:7]
	s_and_saveexec_b64 s[6:7], s[4:5]
	s_cbranch_execz .LBB43_1788
.LBB43_1787:
	v_bfe_u32 v2, v9, 24, 3
	v_ffbh_u32_e32 v7, v2
	v_min_u32_e32 v7, 32, v7
	v_lshrrev_b32_e32 v4, 27, v9
	v_subrev_u32_e32 v8, 28, v7
	v_and_b32_e32 v4, 15, v4
	v_lshlrev_b32_sdwa v8, v8, v9 dst_sel:DWORD dst_unused:UNUSED_PAD src0_sel:DWORD src1_sel:BYTE_3
	v_bfe_u32 v6, v9, 27, 4
	v_sub_u32_e32 v7, 29, v7
	v_and_b32_e32 v8, 7, v8
	v_cmp_eq_u16_e32 vcc, 0, v4
	v_cndmask_b32_e32 v2, v2, v8, vcc
	v_cndmask_b32_e32 v4, v6, v7, vcc
	v_mov_b32_e32 v6, 0x3b800000
	v_and_b32_e32 v3, 0x80000000, v9
	v_lshlrev_b32_e32 v2, 20, v2
	v_lshl_add_u32 v4, v4, 23, v6
	v_or3_b32 v2, v3, v4, v2
.LBB43_1788:
	s_or_b64 exec, exec, s[6:7]
	s_movk_i32 s4, 0x7f
	v_cmp_gt_i16_sdwa s[6:7], v5, s4 src0_sel:BYTE_3 src1_sel:DWORD
	s_mov_b64 s[4:5], 0
                                        ; implicit-def: $sgpr10
	s_and_saveexec_b64 s[8:9], s[6:7]
	s_xor_b64 s[6:7], exec, s[8:9]
	s_cbranch_execnz .LBB43_3837
; %bb.1789:
	s_or_saveexec_b64 s[6:7], s[6:7]
	v_mov_b32_e32 v3, s10
	s_xor_b64 exec, exec, s[6:7]
	s_cbranch_execnz .LBB43_3840
.LBB43_1790:
	s_or_b64 exec, exec, s[6:7]
	s_and_saveexec_b64 s[6:7], s[4:5]
	s_cbranch_execz .LBB43_1792
.LBB43_1791:
	v_bfe_u32 v3, v5, 24, 3
	v_ffbh_u32_e32 v8, v3
	v_min_u32_e32 v8, 32, v8
	v_lshrrev_b32_e32 v6, 27, v5
	v_subrev_u32_e32 v9, 28, v8
	v_and_b32_e32 v4, 0x80000000, v5
	v_and_b32_e32 v6, 15, v6
	v_bfe_u32 v7, v5, 27, 4
	v_lshlrev_b32_sdwa v5, v9, v5 dst_sel:DWORD dst_unused:UNUSED_PAD src0_sel:DWORD src1_sel:BYTE_3
	v_sub_u32_e32 v8, 29, v8
	v_and_b32_e32 v5, 7, v5
	v_cmp_eq_u16_e32 vcc, 0, v6
	v_cndmask_b32_e32 v3, v3, v5, vcc
	v_cndmask_b32_e32 v5, v7, v8, vcc
	v_mov_b32_e32 v6, 0x3b800000
	v_lshlrev_b32_e32 v3, 20, v3
	v_lshl_add_u32 v5, v5, 23, v6
	v_or3_b32 v3, v4, v5, v3
.LBB43_1792:
	s_or_b64 exec, exec, s[6:7]
	s_nop 0
	v_mfma_f32_16x16x4f32 a[0:3], v2, v3, a[0:3]
	s_movk_i32 s4, 0x7f
                                        ; implicit-def: $sgpr10
	s_nop 7
	s_nop 1
	flat_store_dwordx4 v[18:19], a[0:3] offset:992
	flat_load_dwordx4 v[18:21], v[0:1] offset:16
	s_nop 0
	flat_load_dwordx2 v[16:17], v[0:1] offset:32
	s_waitcnt vmcnt(0) lgkmcnt(0)
	flat_load_dwordx4 v[12:15], v[18:19] offset:32
	flat_load_dwordx4 v[4:7], v[18:19] offset:48
	flat_load_dwordx4 v[8:11], v[20:21] offset:480
	flat_load_dwordx4 v[0:3], v[20:21] offset:496
	s_waitcnt vmcnt(0) lgkmcnt(0)
	v_cmp_gt_i16_sdwa s[6:7], v12, s4 src0_sel:BYTE_0 src1_sel:DWORD
	s_mov_b64 s[4:5], 0
	s_and_saveexec_b64 s[8:9], s[6:7]
	s_xor_b64 s[6:7], exec, s[8:9]
	s_cbranch_execnz .LBB43_3841
; %bb.1793:
	s_or_saveexec_b64 s[6:7], s[6:7]
	v_mov_b32_e32 v18, s10
	s_xor_b64 exec, exec, s[6:7]
	s_cbranch_execnz .LBB43_3844
.LBB43_1794:
	s_or_b64 exec, exec, s[6:7]
	s_and_saveexec_b64 s[6:7], s[4:5]
	s_cbranch_execz .LBB43_1796
.LBB43_1795:
	v_and_b32_e32 v18, 7, v12
	v_ffbh_u32_e32 v20, v18
	v_min_u32_e32 v20, 32, v20
	v_lshrrev_b16_e32 v19, 3, v12
	v_subrev_u32_e32 v21, 28, v20
	v_and_b32_e32 v19, 15, v19
	v_lshlrev_b32_e32 v21, v21, v12
	v_sub_u32_e32 v20, 29, v20
	v_and_b32_e32 v21, 7, v21
	v_cmp_eq_u16_e32 vcc, 0, v19
	v_cndmask_b32_e32 v18, v18, v21, vcc
	v_cndmask_b32_e32 v19, v19, v20, vcc
	v_lshlrev_b32_e32 v20, 24, v12
	v_mov_b32_e32 v21, 0x3b800000
	v_lshlrev_b32_e32 v18, 20, v18
	v_and_b32_e32 v20, 0x80000000, v20
	v_lshl_add_u32 v19, v19, 23, v21
	v_or3_b32 v18, v20, v19, v18
.LBB43_1796:
	s_or_b64 exec, exec, s[6:7]
	s_movk_i32 s4, 0x7f
	v_cmp_gt_i16_sdwa s[6:7], v8, s4 src0_sel:BYTE_0 src1_sel:DWORD
	s_mov_b64 s[4:5], 0
                                        ; implicit-def: $sgpr10
	s_and_saveexec_b64 s[8:9], s[6:7]
	s_xor_b64 s[6:7], exec, s[8:9]
	s_cbranch_execnz .LBB43_3845
; %bb.1797:
	s_or_saveexec_b64 s[6:7], s[6:7]
	v_mov_b32_e32 v19, s10
	s_xor_b64 exec, exec, s[6:7]
	s_cbranch_execnz .LBB43_3848
.LBB43_1798:
	s_or_b64 exec, exec, s[6:7]
	s_and_saveexec_b64 s[6:7], s[4:5]
	s_cbranch_execz .LBB43_1800
.LBB43_1799:
	v_and_b32_e32 v19, 7, v8
	v_ffbh_u32_e32 v21, v19
	v_min_u32_e32 v21, 32, v21
	v_lshrrev_b16_e32 v20, 3, v8
	v_subrev_u32_e32 v22, 28, v21
	v_and_b32_e32 v20, 15, v20
	v_lshlrev_b32_e32 v22, v22, v8
	v_sub_u32_e32 v21, 29, v21
	v_and_b32_e32 v22, 7, v22
	v_cmp_eq_u16_e32 vcc, 0, v20
	v_cndmask_b32_e32 v19, v19, v22, vcc
	v_cndmask_b32_e32 v20, v20, v21, vcc
	v_lshlrev_b32_e32 v21, 24, v8
	v_mov_b32_e32 v22, 0x3b800000
	v_lshlrev_b32_e32 v19, 20, v19
	v_and_b32_e32 v21, 0x80000000, v21
	v_lshl_add_u32 v20, v20, 23, v22
	v_or3_b32 v19, v21, v20, v19
.LBB43_1800:
	s_or_b64 exec, exec, s[6:7]
	flat_load_dwordx4 a[0:3], v[16:17] offset:1008
	s_movk_i32 s4, 0x7f
                                        ; implicit-def: $sgpr10
	s_waitcnt vmcnt(0) lgkmcnt(0)
	v_mfma_f32_16x16x4f32 a[0:3], v18, v19, a[0:3]
	v_lshrrev_b32_e32 v19, 8, v12
	v_cmp_gt_i16_sdwa s[6:7], v19, s4 src0_sel:BYTE_0 src1_sel:DWORD
	s_mov_b64 s[4:5], 0
	s_and_saveexec_b64 s[8:9], s[6:7]
	s_xor_b64 s[6:7], exec, s[8:9]
	s_cbranch_execnz .LBB43_3849
; %bb.1801:
	s_or_saveexec_b64 s[6:7], s[6:7]
	v_mov_b32_e32 v18, s10
	s_xor_b64 exec, exec, s[6:7]
	s_cbranch_execnz .LBB43_3852
.LBB43_1802:
	s_or_b64 exec, exec, s[6:7]
	s_and_saveexec_b64 s[6:7], s[4:5]
	s_cbranch_execz .LBB43_1804
.LBB43_1803:
	v_bfe_u32 v18, v12, 8, 3
	v_ffbh_u32_e32 v21, v18
	v_min_u32_e32 v21, 32, v21
	v_lshrrev_b16_e32 v20, 3, v19
	v_subrev_u32_e32 v22, 28, v21
	v_and_b32_e32 v20, 15, v20
	v_lshlrev_b32_e32 v19, v22, v19
	v_sub_u32_e32 v21, 29, v21
	v_and_b32_e32 v19, 7, v19
	v_cmp_eq_u16_e32 vcc, 0, v20
	v_cndmask_b32_e32 v18, v18, v19, vcc
	v_cndmask_b32_e32 v19, v20, v21, vcc
	v_lshlrev_b32_e32 v20, 16, v12
	v_mov_b32_e32 v21, 0x3b800000
	v_lshlrev_b32_e32 v18, 20, v18
	v_and_b32_e32 v20, 0x80000000, v20
	v_lshl_add_u32 v19, v19, 23, v21
	v_or3_b32 v18, v20, v19, v18
.LBB43_1804:
	s_or_b64 exec, exec, s[6:7]
	v_lshrrev_b32_e32 v19, 8, v8
	s_movk_i32 s4, 0x7f
	v_cmp_gt_i16_sdwa s[6:7], v19, s4 src0_sel:BYTE_0 src1_sel:DWORD
	s_mov_b64 s[4:5], 0
                                        ; implicit-def: $sgpr10
	s_and_saveexec_b64 s[8:9], s[6:7]
	s_xor_b64 s[6:7], exec, s[8:9]
	s_cbranch_execnz .LBB43_3853
; %bb.1805:
	s_or_saveexec_b64 s[6:7], s[6:7]
	v_mov_b32_e32 v20, s10
	s_xor_b64 exec, exec, s[6:7]
	s_cbranch_execnz .LBB43_3856
.LBB43_1806:
	s_or_b64 exec, exec, s[6:7]
	s_and_saveexec_b64 s[6:7], s[4:5]
	s_cbranch_execz .LBB43_1808
.LBB43_1807:
	v_bfe_u32 v20, v8, 8, 3
	v_ffbh_u32_e32 v22, v20
	v_min_u32_e32 v22, 32, v22
	v_lshrrev_b16_e32 v21, 3, v19
	v_subrev_u32_e32 v23, 28, v22
	v_and_b32_e32 v21, 15, v21
	v_lshlrev_b32_e32 v19, v23, v19
	v_sub_u32_e32 v22, 29, v22
	v_and_b32_e32 v19, 7, v19
	v_cmp_eq_u16_e32 vcc, 0, v21
	v_cndmask_b32_e32 v19, v20, v19, vcc
	v_cndmask_b32_e32 v20, v21, v22, vcc
	v_lshlrev_b32_e32 v21, 16, v8
	v_mov_b32_e32 v22, 0x3b800000
	v_lshlrev_b32_e32 v19, 20, v19
	v_and_b32_e32 v21, 0x80000000, v21
	v_lshl_add_u32 v20, v20, 23, v22
	v_or3_b32 v20, v21, v20, v19
.LBB43_1808:
	s_or_b64 exec, exec, s[6:7]
	s_nop 0
	v_mfma_f32_16x16x4f32 a[0:3], v18, v20, a[0:3]
	s_movk_i32 s4, 0xff
	v_and_b32_sdwa v19, v12, s4 dst_sel:DWORD dst_unused:UNUSED_PAD src0_sel:WORD_1 src1_sel:DWORD
	s_movk_i32 s4, 0x7f
	v_cmp_lt_i16_e32 vcc, s4, v19
	s_mov_b64 s[4:5], 0
                                        ; implicit-def: $sgpr10
	s_and_saveexec_b64 s[6:7], vcc
	s_xor_b64 s[6:7], exec, s[6:7]
	s_cbranch_execnz .LBB43_3857
; %bb.1809:
	s_or_saveexec_b64 s[6:7], s[6:7]
	v_mov_b32_e32 v18, s10
	s_xor_b64 exec, exec, s[6:7]
	s_cbranch_execnz .LBB43_3860
.LBB43_1810:
	s_or_b64 exec, exec, s[6:7]
	s_and_saveexec_b64 s[6:7], s[4:5]
	s_cbranch_execz .LBB43_1812
.LBB43_1811:
	v_bfe_u32 v18, v12, 16, 3
	v_ffbh_u32_e32 v21, v18
	v_min_u32_e32 v21, 32, v21
	v_lshrrev_b32_e32 v19, 19, v12
	v_subrev_u32_e32 v22, 28, v21
	v_and_b32_e32 v19, 15, v19
	v_lshlrev_b32_sdwa v22, v22, v12 dst_sel:DWORD dst_unused:UNUSED_PAD src0_sel:DWORD src1_sel:WORD_1
	v_bfe_u32 v20, v12, 19, 4
	v_sub_u32_e32 v21, 29, v21
	v_and_b32_e32 v22, 7, v22
	v_cmp_eq_u16_e32 vcc, 0, v19
	v_cndmask_b32_e32 v18, v18, v22, vcc
	v_cndmask_b32_e32 v19, v20, v21, vcc
	v_lshlrev_b32_e32 v20, 8, v12
	v_mov_b32_e32 v21, 0x3b800000
	v_lshlrev_b32_e32 v18, 20, v18
	v_and_b32_e32 v20, 0x80000000, v20
	v_lshl_add_u32 v19, v19, 23, v21
	v_or3_b32 v18, v20, v19, v18
.LBB43_1812:
	s_or_b64 exec, exec, s[6:7]
	s_movk_i32 s4, 0xff
	v_and_b32_sdwa v19, v8, s4 dst_sel:DWORD dst_unused:UNUSED_PAD src0_sel:WORD_1 src1_sel:DWORD
	s_movk_i32 s4, 0x7f
	v_cmp_lt_i16_e32 vcc, s4, v19
	s_mov_b64 s[4:5], 0
                                        ; implicit-def: $sgpr10
	s_and_saveexec_b64 s[6:7], vcc
	s_xor_b64 s[6:7], exec, s[6:7]
	s_cbranch_execnz .LBB43_3861
; %bb.1813:
	s_or_saveexec_b64 s[6:7], s[6:7]
	v_mov_b32_e32 v20, s10
	s_xor_b64 exec, exec, s[6:7]
	s_cbranch_execnz .LBB43_3864
.LBB43_1814:
	s_or_b64 exec, exec, s[6:7]
	s_and_saveexec_b64 s[6:7], s[4:5]
	s_cbranch_execz .LBB43_1816
.LBB43_1815:
	v_bfe_u32 v19, v8, 16, 3
	v_ffbh_u32_e32 v22, v19
	v_min_u32_e32 v22, 32, v22
	v_lshrrev_b32_e32 v20, 19, v8
	v_subrev_u32_e32 v23, 28, v22
	v_and_b32_e32 v20, 15, v20
	v_lshlrev_b32_sdwa v23, v23, v8 dst_sel:DWORD dst_unused:UNUSED_PAD src0_sel:DWORD src1_sel:WORD_1
	v_bfe_u32 v21, v8, 19, 4
	v_sub_u32_e32 v22, 29, v22
	v_and_b32_e32 v23, 7, v23
	v_cmp_eq_u16_e32 vcc, 0, v20
	v_cndmask_b32_e32 v19, v19, v23, vcc
	v_cndmask_b32_e32 v20, v21, v22, vcc
	v_lshlrev_b32_e32 v21, 8, v8
	v_mov_b32_e32 v22, 0x3b800000
	v_lshlrev_b32_e32 v19, 20, v19
	v_and_b32_e32 v21, 0x80000000, v21
	v_lshl_add_u32 v20, v20, 23, v22
	v_or3_b32 v20, v21, v20, v19
.LBB43_1816:
	s_or_b64 exec, exec, s[6:7]
	s_nop 0
	v_mfma_f32_16x16x4f32 a[0:3], v18, v20, a[0:3]
	s_movk_i32 s4, 0x7f
	v_cmp_gt_i16_sdwa s[6:7], v12, s4 src0_sel:BYTE_3 src1_sel:DWORD
	s_mov_b64 s[4:5], 0
                                        ; implicit-def: $sgpr10
	s_and_saveexec_b64 s[8:9], s[6:7]
	s_xor_b64 s[6:7], exec, s[8:9]
	s_cbranch_execnz .LBB43_3865
; %bb.1817:
	s_or_saveexec_b64 s[6:7], s[6:7]
	v_mov_b32_e32 v18, s10
	s_xor_b64 exec, exec, s[6:7]
	s_cbranch_execnz .LBB43_3868
.LBB43_1818:
	s_or_b64 exec, exec, s[6:7]
	s_and_saveexec_b64 s[6:7], s[4:5]
	s_cbranch_execz .LBB43_1820
.LBB43_1819:
	v_bfe_u32 v18, v12, 24, 3
	v_ffbh_u32_e32 v22, v18
	v_min_u32_e32 v22, 32, v22
	v_lshrrev_b32_e32 v20, 27, v12
	v_subrev_u32_e32 v23, 28, v22
	v_and_b32_e32 v19, 0x80000000, v12
	v_and_b32_e32 v20, 15, v20
	v_bfe_u32 v21, v12, 27, 4
	v_lshlrev_b32_sdwa v12, v23, v12 dst_sel:DWORD dst_unused:UNUSED_PAD src0_sel:DWORD src1_sel:BYTE_3
	v_sub_u32_e32 v22, 29, v22
	v_and_b32_e32 v12, 7, v12
	v_cmp_eq_u16_e32 vcc, 0, v20
	v_cndmask_b32_e32 v12, v18, v12, vcc
	v_cndmask_b32_e32 v18, v21, v22, vcc
	v_mov_b32_e32 v20, 0x3b800000
	v_lshlrev_b32_e32 v12, 20, v12
	v_lshl_add_u32 v18, v18, 23, v20
	v_or3_b32 v18, v19, v18, v12
.LBB43_1820:
	s_or_b64 exec, exec, s[6:7]
	s_movk_i32 s4, 0x7f
	v_cmp_gt_i16_sdwa s[6:7], v8, s4 src0_sel:BYTE_3 src1_sel:DWORD
	s_mov_b64 s[4:5], 0
                                        ; implicit-def: $sgpr10
	s_and_saveexec_b64 s[8:9], s[6:7]
	s_xor_b64 s[6:7], exec, s[8:9]
	s_cbranch_execnz .LBB43_3869
; %bb.1821:
	s_or_saveexec_b64 s[6:7], s[6:7]
	v_mov_b32_e32 v12, s10
	s_xor_b64 exec, exec, s[6:7]
	s_cbranch_execnz .LBB43_3872
.LBB43_1822:
	s_or_b64 exec, exec, s[6:7]
	s_and_saveexec_b64 s[6:7], s[4:5]
	s_cbranch_execz .LBB43_1824
.LBB43_1823:
	v_bfe_u32 v12, v8, 24, 3
	v_ffbh_u32_e32 v22, v12
	v_min_u32_e32 v22, 32, v22
	v_lshrrev_b32_e32 v20, 27, v8
	v_subrev_u32_e32 v23, 28, v22
	v_and_b32_e32 v19, 0x80000000, v8
	v_and_b32_e32 v20, 15, v20
	v_bfe_u32 v21, v8, 27, 4
	v_lshlrev_b32_sdwa v8, v23, v8 dst_sel:DWORD dst_unused:UNUSED_PAD src0_sel:DWORD src1_sel:BYTE_3
	v_sub_u32_e32 v22, 29, v22
	v_and_b32_e32 v8, 7, v8
	v_cmp_eq_u16_e32 vcc, 0, v20
	v_cndmask_b32_e32 v8, v12, v8, vcc
	v_cndmask_b32_e32 v12, v21, v22, vcc
	v_mov_b32_e32 v20, 0x3b800000
	v_lshlrev_b32_e32 v8, 20, v8
	v_lshl_add_u32 v12, v12, 23, v20
	v_or3_b32 v12, v19, v12, v8
.LBB43_1824:
	s_or_b64 exec, exec, s[6:7]
	s_nop 0
	v_mfma_f32_16x16x4f32 a[0:3], v18, v12, a[0:3]
	s_movk_i32 s4, 0x7f
	v_cmp_gt_i16_sdwa s[6:7], v13, s4 src0_sel:BYTE_0 src1_sel:DWORD
	s_mov_b64 s[4:5], 0
                                        ; implicit-def: $sgpr10
	s_and_saveexec_b64 s[8:9], s[6:7]
	s_xor_b64 s[6:7], exec, s[8:9]
	s_cbranch_execnz .LBB43_3873
; %bb.1825:
	s_or_saveexec_b64 s[6:7], s[6:7]
	v_mov_b32_e32 v8, s10
	s_xor_b64 exec, exec, s[6:7]
	s_cbranch_execnz .LBB43_3876
.LBB43_1826:
	s_or_b64 exec, exec, s[6:7]
	s_and_saveexec_b64 s[6:7], s[4:5]
	s_cbranch_execz .LBB43_1828
.LBB43_1827:
	v_and_b32_e32 v8, 7, v13
	v_ffbh_u32_e32 v18, v8
	v_min_u32_e32 v18, 32, v18
	v_lshrrev_b16_e32 v12, 3, v13
	v_subrev_u32_e32 v19, 28, v18
	v_and_b32_e32 v12, 15, v12
	v_lshlrev_b32_e32 v19, v19, v13
	v_sub_u32_e32 v18, 29, v18
	v_and_b32_e32 v19, 7, v19
	v_cmp_eq_u16_e32 vcc, 0, v12
	v_cndmask_b32_e32 v8, v8, v19, vcc
	v_cndmask_b32_e32 v12, v12, v18, vcc
	v_lshlrev_b32_e32 v18, 24, v13
	v_mov_b32_e32 v19, 0x3b800000
	v_lshlrev_b32_e32 v8, 20, v8
	v_and_b32_e32 v18, 0x80000000, v18
	v_lshl_add_u32 v12, v12, 23, v19
	v_or3_b32 v8, v18, v12, v8
.LBB43_1828:
	s_or_b64 exec, exec, s[6:7]
	s_movk_i32 s4, 0x7f
	v_cmp_gt_i16_sdwa s[6:7], v9, s4 src0_sel:BYTE_0 src1_sel:DWORD
	s_mov_b64 s[4:5], 0
                                        ; implicit-def: $sgpr10
	s_and_saveexec_b64 s[8:9], s[6:7]
	s_xor_b64 s[6:7], exec, s[8:9]
	s_cbranch_execnz .LBB43_3877
; %bb.1829:
	s_or_saveexec_b64 s[6:7], s[6:7]
	v_mov_b32_e32 v12, s10
	s_xor_b64 exec, exec, s[6:7]
	s_cbranch_execnz .LBB43_3880
.LBB43_1830:
	s_or_b64 exec, exec, s[6:7]
	s_and_saveexec_b64 s[6:7], s[4:5]
	s_cbranch_execz .LBB43_1832
.LBB43_1831:
	v_and_b32_e32 v12, 7, v9
	v_ffbh_u32_e32 v19, v12
	v_min_u32_e32 v19, 32, v19
	v_lshrrev_b16_e32 v18, 3, v9
	v_subrev_u32_e32 v20, 28, v19
	v_and_b32_e32 v18, 15, v18
	v_lshlrev_b32_e32 v20, v20, v9
	v_sub_u32_e32 v19, 29, v19
	v_and_b32_e32 v20, 7, v20
	v_cmp_eq_u16_e32 vcc, 0, v18
	v_cndmask_b32_e32 v12, v12, v20, vcc
	v_cndmask_b32_e32 v18, v18, v19, vcc
	v_lshlrev_b32_e32 v19, 24, v9
	v_mov_b32_e32 v20, 0x3b800000
	v_lshlrev_b32_e32 v12, 20, v12
	v_and_b32_e32 v19, 0x80000000, v19
	v_lshl_add_u32 v18, v18, 23, v20
	v_or3_b32 v12, v19, v18, v12
.LBB43_1832:
	s_or_b64 exec, exec, s[6:7]
	s_nop 0
	v_mfma_f32_16x16x4f32 a[0:3], v8, v12, a[0:3]
	v_lshrrev_b32_e32 v12, 8, v13
	s_movk_i32 s4, 0x7f
	v_cmp_gt_i16_sdwa s[6:7], v12, s4 src0_sel:BYTE_0 src1_sel:DWORD
	s_mov_b64 s[4:5], 0
                                        ; implicit-def: $sgpr10
	s_and_saveexec_b64 s[8:9], s[6:7]
	s_xor_b64 s[6:7], exec, s[8:9]
	s_cbranch_execnz .LBB43_3881
; %bb.1833:
	s_or_saveexec_b64 s[6:7], s[6:7]
	v_mov_b32_e32 v8, s10
	s_xor_b64 exec, exec, s[6:7]
	s_cbranch_execnz .LBB43_3884
.LBB43_1834:
	s_or_b64 exec, exec, s[6:7]
	s_and_saveexec_b64 s[6:7], s[4:5]
	s_cbranch_execz .LBB43_1836
.LBB43_1835:
	v_bfe_u32 v8, v13, 8, 3
	v_ffbh_u32_e32 v19, v8
	v_min_u32_e32 v19, 32, v19
	v_lshrrev_b16_e32 v18, 3, v12
	v_subrev_u32_e32 v20, 28, v19
	v_and_b32_e32 v18, 15, v18
	v_lshlrev_b32_e32 v12, v20, v12
	v_sub_u32_e32 v19, 29, v19
	v_and_b32_e32 v12, 7, v12
	v_cmp_eq_u16_e32 vcc, 0, v18
	v_cndmask_b32_e32 v8, v8, v12, vcc
	v_cndmask_b32_e32 v12, v18, v19, vcc
	v_lshlrev_b32_e32 v18, 16, v13
	v_mov_b32_e32 v19, 0x3b800000
	v_lshlrev_b32_e32 v8, 20, v8
	v_and_b32_e32 v18, 0x80000000, v18
	v_lshl_add_u32 v12, v12, 23, v19
	v_or3_b32 v8, v18, v12, v8
.LBB43_1836:
	s_or_b64 exec, exec, s[6:7]
	v_lshrrev_b32_e32 v12, 8, v9
	s_movk_i32 s4, 0x7f
	v_cmp_gt_i16_sdwa s[6:7], v12, s4 src0_sel:BYTE_0 src1_sel:DWORD
	s_mov_b64 s[4:5], 0
                                        ; implicit-def: $sgpr10
	s_and_saveexec_b64 s[8:9], s[6:7]
	s_xor_b64 s[6:7], exec, s[8:9]
	s_cbranch_execnz .LBB43_3885
; %bb.1837:
	s_or_saveexec_b64 s[6:7], s[6:7]
	v_mov_b32_e32 v18, s10
	s_xor_b64 exec, exec, s[6:7]
	s_cbranch_execnz .LBB43_3888
.LBB43_1838:
	s_or_b64 exec, exec, s[6:7]
	s_and_saveexec_b64 s[6:7], s[4:5]
	s_cbranch_execz .LBB43_1840
.LBB43_1839:
	v_bfe_u32 v18, v9, 8, 3
	v_ffbh_u32_e32 v20, v18
	v_min_u32_e32 v20, 32, v20
	v_lshrrev_b16_e32 v19, 3, v12
	v_subrev_u32_e32 v21, 28, v20
	v_and_b32_e32 v19, 15, v19
	v_lshlrev_b32_e32 v12, v21, v12
	v_sub_u32_e32 v20, 29, v20
	v_and_b32_e32 v12, 7, v12
	v_cmp_eq_u16_e32 vcc, 0, v19
	v_cndmask_b32_e32 v12, v18, v12, vcc
	v_cndmask_b32_e32 v18, v19, v20, vcc
	v_lshlrev_b32_e32 v19, 16, v9
	v_mov_b32_e32 v20, 0x3b800000
	v_lshlrev_b32_e32 v12, 20, v12
	v_and_b32_e32 v19, 0x80000000, v19
	v_lshl_add_u32 v18, v18, 23, v20
	v_or3_b32 v18, v19, v18, v12
.LBB43_1840:
	s_or_b64 exec, exec, s[6:7]
	s_nop 0
	v_mfma_f32_16x16x4f32 a[0:3], v8, v18, a[0:3]
	s_movk_i32 s4, 0xff
	v_and_b32_sdwa v12, v13, s4 dst_sel:DWORD dst_unused:UNUSED_PAD src0_sel:WORD_1 src1_sel:DWORD
	s_movk_i32 s4, 0x7f
	v_cmp_lt_i16_e32 vcc, s4, v12
	s_mov_b64 s[4:5], 0
                                        ; implicit-def: $sgpr10
	s_and_saveexec_b64 s[6:7], vcc
	s_xor_b64 s[6:7], exec, s[6:7]
	s_cbranch_execnz .LBB43_3889
; %bb.1841:
	s_or_saveexec_b64 s[6:7], s[6:7]
	v_mov_b32_e32 v8, s10
	s_xor_b64 exec, exec, s[6:7]
	s_cbranch_execnz .LBB43_3892
.LBB43_1842:
	s_or_b64 exec, exec, s[6:7]
	s_and_saveexec_b64 s[6:7], s[4:5]
	s_cbranch_execz .LBB43_1844
.LBB43_1843:
	v_bfe_u32 v8, v13, 16, 3
	v_ffbh_u32_e32 v19, v8
	v_min_u32_e32 v19, 32, v19
	v_lshrrev_b32_e32 v12, 19, v13
	v_subrev_u32_e32 v20, 28, v19
	v_and_b32_e32 v12, 15, v12
	v_lshlrev_b32_sdwa v20, v20, v13 dst_sel:DWORD dst_unused:UNUSED_PAD src0_sel:DWORD src1_sel:WORD_1
	v_bfe_u32 v18, v13, 19, 4
	v_sub_u32_e32 v19, 29, v19
	v_and_b32_e32 v20, 7, v20
	v_cmp_eq_u16_e32 vcc, 0, v12
	v_cndmask_b32_e32 v8, v8, v20, vcc
	v_cndmask_b32_e32 v12, v18, v19, vcc
	v_lshlrev_b32_e32 v18, 8, v13
	v_mov_b32_e32 v19, 0x3b800000
	v_lshlrev_b32_e32 v8, 20, v8
	v_and_b32_e32 v18, 0x80000000, v18
	v_lshl_add_u32 v12, v12, 23, v19
	v_or3_b32 v8, v18, v12, v8
.LBB43_1844:
	s_or_b64 exec, exec, s[6:7]
	s_movk_i32 s4, 0xff
	v_and_b32_sdwa v12, v9, s4 dst_sel:DWORD dst_unused:UNUSED_PAD src0_sel:WORD_1 src1_sel:DWORD
	s_movk_i32 s4, 0x7f
	v_cmp_lt_i16_e32 vcc, s4, v12
	s_mov_b64 s[4:5], 0
                                        ; implicit-def: $sgpr10
	s_and_saveexec_b64 s[6:7], vcc
	s_xor_b64 s[6:7], exec, s[6:7]
	s_cbranch_execnz .LBB43_3893
; %bb.1845:
	s_or_saveexec_b64 s[6:7], s[6:7]
	v_mov_b32_e32 v18, s10
	s_xor_b64 exec, exec, s[6:7]
	s_cbranch_execnz .LBB43_3896
.LBB43_1846:
	s_or_b64 exec, exec, s[6:7]
	s_and_saveexec_b64 s[6:7], s[4:5]
	s_cbranch_execz .LBB43_1848
.LBB43_1847:
	v_bfe_u32 v12, v9, 16, 3
	v_ffbh_u32_e32 v20, v12
	v_min_u32_e32 v20, 32, v20
	v_lshrrev_b32_e32 v18, 19, v9
	v_subrev_u32_e32 v21, 28, v20
	v_and_b32_e32 v18, 15, v18
	v_lshlrev_b32_sdwa v21, v21, v9 dst_sel:DWORD dst_unused:UNUSED_PAD src0_sel:DWORD src1_sel:WORD_1
	v_bfe_u32 v19, v9, 19, 4
	v_sub_u32_e32 v20, 29, v20
	v_and_b32_e32 v21, 7, v21
	v_cmp_eq_u16_e32 vcc, 0, v18
	v_cndmask_b32_e32 v12, v12, v21, vcc
	v_cndmask_b32_e32 v18, v19, v20, vcc
	v_lshlrev_b32_e32 v19, 8, v9
	v_mov_b32_e32 v20, 0x3b800000
	v_lshlrev_b32_e32 v12, 20, v12
	v_and_b32_e32 v19, 0x80000000, v19
	v_lshl_add_u32 v18, v18, 23, v20
	v_or3_b32 v18, v19, v18, v12
.LBB43_1848:
	s_or_b64 exec, exec, s[6:7]
	s_nop 0
	v_mfma_f32_16x16x4f32 a[0:3], v8, v18, a[0:3]
	s_movk_i32 s4, 0x7f
	v_cmp_gt_i16_sdwa s[6:7], v13, s4 src0_sel:BYTE_3 src1_sel:DWORD
	s_mov_b64 s[4:5], 0
                                        ; implicit-def: $sgpr10
	s_and_saveexec_b64 s[8:9], s[6:7]
	s_xor_b64 s[6:7], exec, s[8:9]
	s_cbranch_execnz .LBB43_3897
; %bb.1849:
	s_or_saveexec_b64 s[6:7], s[6:7]
	v_mov_b32_e32 v8, s10
	s_xor_b64 exec, exec, s[6:7]
	s_cbranch_execnz .LBB43_3900
.LBB43_1850:
	s_or_b64 exec, exec, s[6:7]
	s_and_saveexec_b64 s[6:7], s[4:5]
	s_cbranch_execz .LBB43_1852
.LBB43_1851:
	v_bfe_u32 v8, v13, 24, 3
	v_ffbh_u32_e32 v20, v8
	v_min_u32_e32 v20, 32, v20
	v_lshrrev_b32_e32 v18, 27, v13
	v_subrev_u32_e32 v21, 28, v20
	v_and_b32_e32 v12, 0x80000000, v13
	v_and_b32_e32 v18, 15, v18
	v_bfe_u32 v19, v13, 27, 4
	v_lshlrev_b32_sdwa v13, v21, v13 dst_sel:DWORD dst_unused:UNUSED_PAD src0_sel:DWORD src1_sel:BYTE_3
	v_sub_u32_e32 v20, 29, v20
	v_and_b32_e32 v13, 7, v13
	v_cmp_eq_u16_e32 vcc, 0, v18
	v_cndmask_b32_e32 v8, v8, v13, vcc
	v_cndmask_b32_e32 v13, v19, v20, vcc
	v_mov_b32_e32 v18, 0x3b800000
	v_lshlrev_b32_e32 v8, 20, v8
	v_lshl_add_u32 v13, v13, 23, v18
	v_or3_b32 v8, v12, v13, v8
.LBB43_1852:
	s_or_b64 exec, exec, s[6:7]
	s_movk_i32 s4, 0x7f
	v_cmp_gt_i16_sdwa s[6:7], v9, s4 src0_sel:BYTE_3 src1_sel:DWORD
	s_mov_b64 s[4:5], 0
                                        ; implicit-def: $sgpr10
	s_and_saveexec_b64 s[8:9], s[6:7]
	s_xor_b64 s[6:7], exec, s[8:9]
	s_cbranch_execnz .LBB43_3901
; %bb.1853:
	s_or_saveexec_b64 s[6:7], s[6:7]
	v_mov_b32_e32 v12, s10
	s_xor_b64 exec, exec, s[6:7]
	s_cbranch_execnz .LBB43_3904
.LBB43_1854:
	s_or_b64 exec, exec, s[6:7]
	s_and_saveexec_b64 s[6:7], s[4:5]
	s_cbranch_execz .LBB43_1856
.LBB43_1855:
	v_bfe_u32 v12, v9, 24, 3
	v_ffbh_u32_e32 v20, v12
	v_min_u32_e32 v20, 32, v20
	v_lshrrev_b32_e32 v18, 27, v9
	v_subrev_u32_e32 v21, 28, v20
	v_and_b32_e32 v13, 0x80000000, v9
	v_and_b32_e32 v18, 15, v18
	v_bfe_u32 v19, v9, 27, 4
	v_lshlrev_b32_sdwa v9, v21, v9 dst_sel:DWORD dst_unused:UNUSED_PAD src0_sel:DWORD src1_sel:BYTE_3
	v_sub_u32_e32 v20, 29, v20
	v_and_b32_e32 v9, 7, v9
	v_cmp_eq_u16_e32 vcc, 0, v18
	v_cndmask_b32_e32 v9, v12, v9, vcc
	v_cndmask_b32_e32 v12, v19, v20, vcc
	v_mov_b32_e32 v18, 0x3b800000
	v_lshlrev_b32_e32 v9, 20, v9
	v_lshl_add_u32 v12, v12, 23, v18
	v_or3_b32 v12, v13, v12, v9
.LBB43_1856:
	s_or_b64 exec, exec, s[6:7]
	s_nop 0
	v_mfma_f32_16x16x4f32 a[0:3], v8, v12, a[0:3]
	s_movk_i32 s4, 0x7f
	v_cmp_gt_i16_sdwa s[6:7], v14, s4 src0_sel:BYTE_0 src1_sel:DWORD
	s_mov_b64 s[4:5], 0
                                        ; implicit-def: $sgpr10
	s_and_saveexec_b64 s[8:9], s[6:7]
	s_xor_b64 s[6:7], exec, s[8:9]
	s_cbranch_execnz .LBB43_3905
; %bb.1857:
	s_or_saveexec_b64 s[6:7], s[6:7]
	v_mov_b32_e32 v8, s10
	s_xor_b64 exec, exec, s[6:7]
	s_cbranch_execnz .LBB43_3908
.LBB43_1858:
	s_or_b64 exec, exec, s[6:7]
	s_and_saveexec_b64 s[6:7], s[4:5]
	s_cbranch_execz .LBB43_1860
.LBB43_1859:
	v_and_b32_e32 v8, 7, v14
	v_ffbh_u32_e32 v12, v8
	v_min_u32_e32 v12, 32, v12
	v_lshrrev_b16_e32 v9, 3, v14
	v_subrev_u32_e32 v13, 28, v12
	v_and_b32_e32 v9, 15, v9
	v_lshlrev_b32_e32 v13, v13, v14
	v_sub_u32_e32 v12, 29, v12
	v_and_b32_e32 v13, 7, v13
	v_cmp_eq_u16_e32 vcc, 0, v9
	v_cndmask_b32_e32 v8, v8, v13, vcc
	v_cndmask_b32_e32 v9, v9, v12, vcc
	v_lshlrev_b32_e32 v12, 24, v14
	v_mov_b32_e32 v13, 0x3b800000
	v_lshlrev_b32_e32 v8, 20, v8
	v_and_b32_e32 v12, 0x80000000, v12
	v_lshl_add_u32 v9, v9, 23, v13
	v_or3_b32 v8, v12, v9, v8
.LBB43_1860:
	s_or_b64 exec, exec, s[6:7]
	s_movk_i32 s4, 0x7f
	v_cmp_gt_i16_sdwa s[6:7], v10, s4 src0_sel:BYTE_0 src1_sel:DWORD
	s_mov_b64 s[4:5], 0
                                        ; implicit-def: $sgpr10
	s_and_saveexec_b64 s[8:9], s[6:7]
	s_xor_b64 s[6:7], exec, s[8:9]
	s_cbranch_execnz .LBB43_3909
; %bb.1861:
	s_or_saveexec_b64 s[6:7], s[6:7]
	v_mov_b32_e32 v9, s10
	s_xor_b64 exec, exec, s[6:7]
	s_cbranch_execnz .LBB43_3912
.LBB43_1862:
	s_or_b64 exec, exec, s[6:7]
	s_and_saveexec_b64 s[6:7], s[4:5]
	s_cbranch_execz .LBB43_1864
.LBB43_1863:
	v_and_b32_e32 v9, 7, v10
	v_ffbh_u32_e32 v13, v9
	v_min_u32_e32 v13, 32, v13
	v_lshrrev_b16_e32 v12, 3, v10
	v_subrev_u32_e32 v18, 28, v13
	v_and_b32_e32 v12, 15, v12
	v_lshlrev_b32_e32 v18, v18, v10
	v_sub_u32_e32 v13, 29, v13
	v_and_b32_e32 v18, 7, v18
	v_cmp_eq_u16_e32 vcc, 0, v12
	v_cndmask_b32_e32 v9, v9, v18, vcc
	v_cndmask_b32_e32 v12, v12, v13, vcc
	v_lshlrev_b32_e32 v13, 24, v10
	v_mov_b32_e32 v18, 0x3b800000
	v_lshlrev_b32_e32 v9, 20, v9
	v_and_b32_e32 v13, 0x80000000, v13
	v_lshl_add_u32 v12, v12, 23, v18
	v_or3_b32 v9, v13, v12, v9
.LBB43_1864:
	s_or_b64 exec, exec, s[6:7]
	s_nop 0
	v_mfma_f32_16x16x4f32 a[0:3], v8, v9, a[0:3]
	v_lshrrev_b32_e32 v9, 8, v14
	s_movk_i32 s4, 0x7f
	v_cmp_gt_i16_sdwa s[6:7], v9, s4 src0_sel:BYTE_0 src1_sel:DWORD
	s_mov_b64 s[4:5], 0
                                        ; implicit-def: $sgpr10
	s_and_saveexec_b64 s[8:9], s[6:7]
	s_xor_b64 s[6:7], exec, s[8:9]
	s_cbranch_execnz .LBB43_3913
; %bb.1865:
	s_or_saveexec_b64 s[6:7], s[6:7]
	v_mov_b32_e32 v8, s10
	s_xor_b64 exec, exec, s[6:7]
	s_cbranch_execnz .LBB43_3916
.LBB43_1866:
	s_or_b64 exec, exec, s[6:7]
	s_and_saveexec_b64 s[6:7], s[4:5]
	s_cbranch_execz .LBB43_1868
.LBB43_1867:
	v_bfe_u32 v8, v14, 8, 3
	v_ffbh_u32_e32 v13, v8
	v_min_u32_e32 v13, 32, v13
	v_lshrrev_b16_e32 v12, 3, v9
	v_subrev_u32_e32 v18, 28, v13
	v_and_b32_e32 v12, 15, v12
	v_lshlrev_b32_e32 v9, v18, v9
	v_sub_u32_e32 v13, 29, v13
	v_and_b32_e32 v9, 7, v9
	v_cmp_eq_u16_e32 vcc, 0, v12
	v_cndmask_b32_e32 v8, v8, v9, vcc
	v_cndmask_b32_e32 v9, v12, v13, vcc
	v_lshlrev_b32_e32 v12, 16, v14
	v_mov_b32_e32 v13, 0x3b800000
	v_lshlrev_b32_e32 v8, 20, v8
	v_and_b32_e32 v12, 0x80000000, v12
	v_lshl_add_u32 v9, v9, 23, v13
	v_or3_b32 v8, v12, v9, v8
.LBB43_1868:
	s_or_b64 exec, exec, s[6:7]
	v_lshrrev_b32_e32 v9, 8, v10
	s_movk_i32 s4, 0x7f
	v_cmp_gt_i16_sdwa s[6:7], v9, s4 src0_sel:BYTE_0 src1_sel:DWORD
	s_mov_b64 s[4:5], 0
                                        ; implicit-def: $sgpr10
	s_and_saveexec_b64 s[8:9], s[6:7]
	s_xor_b64 s[6:7], exec, s[8:9]
	s_cbranch_execnz .LBB43_3917
; %bb.1869:
	s_or_saveexec_b64 s[6:7], s[6:7]
	v_mov_b32_e32 v12, s10
	s_xor_b64 exec, exec, s[6:7]
	s_cbranch_execnz .LBB43_3920
.LBB43_1870:
	s_or_b64 exec, exec, s[6:7]
	s_and_saveexec_b64 s[6:7], s[4:5]
	s_cbranch_execz .LBB43_1872
.LBB43_1871:
	v_bfe_u32 v12, v10, 8, 3
	v_ffbh_u32_e32 v18, v12
	v_min_u32_e32 v18, 32, v18
	v_lshrrev_b16_e32 v13, 3, v9
	v_subrev_u32_e32 v19, 28, v18
	v_and_b32_e32 v13, 15, v13
	v_lshlrev_b32_e32 v9, v19, v9
	v_sub_u32_e32 v18, 29, v18
	v_and_b32_e32 v9, 7, v9
	v_cmp_eq_u16_e32 vcc, 0, v13
	v_cndmask_b32_e32 v9, v12, v9, vcc
	v_cndmask_b32_e32 v12, v13, v18, vcc
	v_lshlrev_b32_e32 v13, 16, v10
	v_mov_b32_e32 v18, 0x3b800000
	v_lshlrev_b32_e32 v9, 20, v9
	v_and_b32_e32 v13, 0x80000000, v13
	v_lshl_add_u32 v12, v12, 23, v18
	v_or3_b32 v12, v13, v12, v9
.LBB43_1872:
	s_or_b64 exec, exec, s[6:7]
	s_nop 0
	v_mfma_f32_16x16x4f32 a[0:3], v8, v12, a[0:3]
	s_movk_i32 s4, 0xff
	v_and_b32_sdwa v9, v14, s4 dst_sel:DWORD dst_unused:UNUSED_PAD src0_sel:WORD_1 src1_sel:DWORD
	s_movk_i32 s4, 0x7f
	v_cmp_lt_i16_e32 vcc, s4, v9
	s_mov_b64 s[4:5], 0
                                        ; implicit-def: $sgpr10
	s_and_saveexec_b64 s[6:7], vcc
	s_xor_b64 s[6:7], exec, s[6:7]
	s_cbranch_execnz .LBB43_3921
; %bb.1873:
	s_or_saveexec_b64 s[6:7], s[6:7]
	v_mov_b32_e32 v8, s10
	s_xor_b64 exec, exec, s[6:7]
	s_cbranch_execnz .LBB43_3924
.LBB43_1874:
	s_or_b64 exec, exec, s[6:7]
	s_and_saveexec_b64 s[6:7], s[4:5]
	s_cbranch_execz .LBB43_1876
.LBB43_1875:
	v_bfe_u32 v8, v14, 16, 3
	v_ffbh_u32_e32 v13, v8
	v_min_u32_e32 v13, 32, v13
	v_lshrrev_b32_e32 v9, 19, v14
	v_subrev_u32_e32 v18, 28, v13
	v_and_b32_e32 v9, 15, v9
	v_lshlrev_b32_sdwa v18, v18, v14 dst_sel:DWORD dst_unused:UNUSED_PAD src0_sel:DWORD src1_sel:WORD_1
	v_bfe_u32 v12, v14, 19, 4
	v_sub_u32_e32 v13, 29, v13
	v_and_b32_e32 v18, 7, v18
	v_cmp_eq_u16_e32 vcc, 0, v9
	v_cndmask_b32_e32 v8, v8, v18, vcc
	v_cndmask_b32_e32 v9, v12, v13, vcc
	v_lshlrev_b32_e32 v12, 8, v14
	v_mov_b32_e32 v13, 0x3b800000
	v_lshlrev_b32_e32 v8, 20, v8
	v_and_b32_e32 v12, 0x80000000, v12
	v_lshl_add_u32 v9, v9, 23, v13
	v_or3_b32 v8, v12, v9, v8
.LBB43_1876:
	s_or_b64 exec, exec, s[6:7]
	s_movk_i32 s4, 0xff
	v_and_b32_sdwa v9, v10, s4 dst_sel:DWORD dst_unused:UNUSED_PAD src0_sel:WORD_1 src1_sel:DWORD
	s_movk_i32 s4, 0x7f
	v_cmp_lt_i16_e32 vcc, s4, v9
	s_mov_b64 s[4:5], 0
                                        ; implicit-def: $sgpr10
	s_and_saveexec_b64 s[6:7], vcc
	s_xor_b64 s[6:7], exec, s[6:7]
	s_cbranch_execnz .LBB43_3925
; %bb.1877:
	s_or_saveexec_b64 s[6:7], s[6:7]
	v_mov_b32_e32 v12, s10
	s_xor_b64 exec, exec, s[6:7]
	s_cbranch_execnz .LBB43_3928
.LBB43_1878:
	s_or_b64 exec, exec, s[6:7]
	s_and_saveexec_b64 s[6:7], s[4:5]
	s_cbranch_execz .LBB43_1880
.LBB43_1879:
	v_bfe_u32 v9, v10, 16, 3
	v_ffbh_u32_e32 v18, v9
	v_min_u32_e32 v18, 32, v18
	v_lshrrev_b32_e32 v12, 19, v10
	v_subrev_u32_e32 v19, 28, v18
	v_and_b32_e32 v12, 15, v12
	v_lshlrev_b32_sdwa v19, v19, v10 dst_sel:DWORD dst_unused:UNUSED_PAD src0_sel:DWORD src1_sel:WORD_1
	v_bfe_u32 v13, v10, 19, 4
	v_sub_u32_e32 v18, 29, v18
	v_and_b32_e32 v19, 7, v19
	v_cmp_eq_u16_e32 vcc, 0, v12
	v_cndmask_b32_e32 v9, v9, v19, vcc
	v_cndmask_b32_e32 v12, v13, v18, vcc
	v_lshlrev_b32_e32 v13, 8, v10
	v_mov_b32_e32 v18, 0x3b800000
	v_lshlrev_b32_e32 v9, 20, v9
	v_and_b32_e32 v13, 0x80000000, v13
	v_lshl_add_u32 v12, v12, 23, v18
	v_or3_b32 v12, v13, v12, v9
.LBB43_1880:
	s_or_b64 exec, exec, s[6:7]
	s_nop 0
	v_mfma_f32_16x16x4f32 a[0:3], v8, v12, a[0:3]
	s_movk_i32 s4, 0x7f
	v_cmp_gt_i16_sdwa s[6:7], v14, s4 src0_sel:BYTE_3 src1_sel:DWORD
	s_mov_b64 s[4:5], 0
                                        ; implicit-def: $sgpr10
	s_and_saveexec_b64 s[8:9], s[6:7]
	s_xor_b64 s[6:7], exec, s[8:9]
	s_cbranch_execnz .LBB43_3929
; %bb.1881:
	s_or_saveexec_b64 s[6:7], s[6:7]
	v_mov_b32_e32 v8, s10
	s_xor_b64 exec, exec, s[6:7]
	s_cbranch_execnz .LBB43_3932
.LBB43_1882:
	s_or_b64 exec, exec, s[6:7]
	s_and_saveexec_b64 s[6:7], s[4:5]
	s_cbranch_execz .LBB43_1884
.LBB43_1883:
	v_bfe_u32 v8, v14, 24, 3
	v_ffbh_u32_e32 v18, v8
	v_min_u32_e32 v18, 32, v18
	v_lshrrev_b32_e32 v12, 27, v14
	v_subrev_u32_e32 v19, 28, v18
	v_and_b32_e32 v9, 0x80000000, v14
	v_and_b32_e32 v12, 15, v12
	v_bfe_u32 v13, v14, 27, 4
	v_lshlrev_b32_sdwa v14, v19, v14 dst_sel:DWORD dst_unused:UNUSED_PAD src0_sel:DWORD src1_sel:BYTE_3
	v_sub_u32_e32 v18, 29, v18
	v_and_b32_e32 v14, 7, v14
	v_cmp_eq_u16_e32 vcc, 0, v12
	v_cndmask_b32_e32 v8, v8, v14, vcc
	v_cndmask_b32_e32 v12, v13, v18, vcc
	v_mov_b32_e32 v13, 0x3b800000
	v_lshlrev_b32_e32 v8, 20, v8
	v_lshl_add_u32 v12, v12, 23, v13
	v_or3_b32 v8, v9, v12, v8
.LBB43_1884:
	s_or_b64 exec, exec, s[6:7]
	s_movk_i32 s4, 0x7f
	v_cmp_gt_i16_sdwa s[6:7], v10, s4 src0_sel:BYTE_3 src1_sel:DWORD
	s_mov_b64 s[4:5], 0
                                        ; implicit-def: $sgpr10
	s_and_saveexec_b64 s[8:9], s[6:7]
	s_xor_b64 s[6:7], exec, s[8:9]
	s_cbranch_execnz .LBB43_3933
; %bb.1885:
	s_or_saveexec_b64 s[6:7], s[6:7]
	v_mov_b32_e32 v9, s10
	s_xor_b64 exec, exec, s[6:7]
	s_cbranch_execnz .LBB43_3936
.LBB43_1886:
	s_or_b64 exec, exec, s[6:7]
	s_and_saveexec_b64 s[6:7], s[4:5]
	s_cbranch_execz .LBB43_1888
.LBB43_1887:
	v_bfe_u32 v9, v10, 24, 3
	v_ffbh_u32_e32 v18, v9
	v_min_u32_e32 v18, 32, v18
	v_lshrrev_b32_e32 v13, 27, v10
	v_subrev_u32_e32 v19, 28, v18
	v_and_b32_e32 v12, 0x80000000, v10
	v_and_b32_e32 v13, 15, v13
	v_bfe_u32 v14, v10, 27, 4
	v_lshlrev_b32_sdwa v10, v19, v10 dst_sel:DWORD dst_unused:UNUSED_PAD src0_sel:DWORD src1_sel:BYTE_3
	v_sub_u32_e32 v18, 29, v18
	v_and_b32_e32 v10, 7, v10
	v_cmp_eq_u16_e32 vcc, 0, v13
	v_cndmask_b32_e32 v9, v9, v10, vcc
	v_cndmask_b32_e32 v10, v14, v18, vcc
	v_mov_b32_e32 v13, 0x3b800000
	v_lshlrev_b32_e32 v9, 20, v9
	v_lshl_add_u32 v10, v10, 23, v13
	v_or3_b32 v9, v12, v10, v9
.LBB43_1888:
	s_or_b64 exec, exec, s[6:7]
	s_nop 0
	v_mfma_f32_16x16x4f32 a[0:3], v8, v9, a[0:3]
	s_movk_i32 s4, 0x7f
	v_cmp_gt_i16_sdwa s[6:7], v15, s4 src0_sel:BYTE_0 src1_sel:DWORD
	s_mov_b64 s[4:5], 0
                                        ; implicit-def: $sgpr10
	s_and_saveexec_b64 s[8:9], s[6:7]
	s_xor_b64 s[6:7], exec, s[8:9]
	s_cbranch_execnz .LBB43_3937
; %bb.1889:
	s_or_saveexec_b64 s[6:7], s[6:7]
	v_mov_b32_e32 v8, s10
	s_xor_b64 exec, exec, s[6:7]
	s_cbranch_execnz .LBB43_3940
.LBB43_1890:
	s_or_b64 exec, exec, s[6:7]
	s_and_saveexec_b64 s[6:7], s[4:5]
	s_cbranch_execz .LBB43_1892
.LBB43_1891:
	v_and_b32_e32 v8, 7, v15
	v_ffbh_u32_e32 v10, v8
	v_min_u32_e32 v10, 32, v10
	v_lshrrev_b16_e32 v9, 3, v15
	v_subrev_u32_e32 v12, 28, v10
	v_and_b32_e32 v9, 15, v9
	v_lshlrev_b32_e32 v12, v12, v15
	v_sub_u32_e32 v10, 29, v10
	v_and_b32_e32 v12, 7, v12
	v_cmp_eq_u16_e32 vcc, 0, v9
	v_cndmask_b32_e32 v8, v8, v12, vcc
	v_cndmask_b32_e32 v9, v9, v10, vcc
	v_lshlrev_b32_e32 v10, 24, v15
	v_mov_b32_e32 v12, 0x3b800000
	v_lshlrev_b32_e32 v8, 20, v8
	v_and_b32_e32 v10, 0x80000000, v10
	v_lshl_add_u32 v9, v9, 23, v12
	v_or3_b32 v8, v10, v9, v8
.LBB43_1892:
	s_or_b64 exec, exec, s[6:7]
	s_movk_i32 s4, 0x7f
	v_cmp_gt_i16_sdwa s[6:7], v11, s4 src0_sel:BYTE_0 src1_sel:DWORD
	s_mov_b64 s[4:5], 0
                                        ; implicit-def: $sgpr10
	s_and_saveexec_b64 s[8:9], s[6:7]
	s_xor_b64 s[6:7], exec, s[8:9]
	s_cbranch_execnz .LBB43_3941
; %bb.1893:
	s_or_saveexec_b64 s[6:7], s[6:7]
	v_mov_b32_e32 v9, s10
	s_xor_b64 exec, exec, s[6:7]
	s_cbranch_execnz .LBB43_3944
.LBB43_1894:
	s_or_b64 exec, exec, s[6:7]
	s_and_saveexec_b64 s[6:7], s[4:5]
	s_cbranch_execz .LBB43_1896
.LBB43_1895:
	v_and_b32_e32 v9, 7, v11
	v_ffbh_u32_e32 v12, v9
	v_min_u32_e32 v12, 32, v12
	v_lshrrev_b16_e32 v10, 3, v11
	v_subrev_u32_e32 v13, 28, v12
	v_and_b32_e32 v10, 15, v10
	v_lshlrev_b32_e32 v13, v13, v11
	v_sub_u32_e32 v12, 29, v12
	v_and_b32_e32 v13, 7, v13
	v_cmp_eq_u16_e32 vcc, 0, v10
	v_cndmask_b32_e32 v9, v9, v13, vcc
	v_cndmask_b32_e32 v10, v10, v12, vcc
	v_lshlrev_b32_e32 v12, 24, v11
	v_mov_b32_e32 v13, 0x3b800000
	v_lshlrev_b32_e32 v9, 20, v9
	v_and_b32_e32 v12, 0x80000000, v12
	v_lshl_add_u32 v10, v10, 23, v13
	v_or3_b32 v9, v12, v10, v9
.LBB43_1896:
	s_or_b64 exec, exec, s[6:7]
	s_nop 0
	v_mfma_f32_16x16x4f32 a[0:3], v8, v9, a[0:3]
	v_lshrrev_b32_e32 v9, 8, v15
	s_movk_i32 s4, 0x7f
	v_cmp_gt_i16_sdwa s[6:7], v9, s4 src0_sel:BYTE_0 src1_sel:DWORD
	s_mov_b64 s[4:5], 0
                                        ; implicit-def: $sgpr10
	s_and_saveexec_b64 s[8:9], s[6:7]
	s_xor_b64 s[6:7], exec, s[8:9]
	s_cbranch_execnz .LBB43_3945
; %bb.1897:
	s_or_saveexec_b64 s[6:7], s[6:7]
	v_mov_b32_e32 v8, s10
	s_xor_b64 exec, exec, s[6:7]
	s_cbranch_execnz .LBB43_3948
.LBB43_1898:
	s_or_b64 exec, exec, s[6:7]
	s_and_saveexec_b64 s[6:7], s[4:5]
	s_cbranch_execz .LBB43_1900
.LBB43_1899:
	v_bfe_u32 v8, v15, 8, 3
	v_ffbh_u32_e32 v12, v8
	v_min_u32_e32 v12, 32, v12
	v_lshrrev_b16_e32 v10, 3, v9
	v_subrev_u32_e32 v13, 28, v12
	v_and_b32_e32 v10, 15, v10
	v_lshlrev_b32_e32 v9, v13, v9
	v_sub_u32_e32 v12, 29, v12
	v_and_b32_e32 v9, 7, v9
	v_cmp_eq_u16_e32 vcc, 0, v10
	v_cndmask_b32_e32 v8, v8, v9, vcc
	v_cndmask_b32_e32 v9, v10, v12, vcc
	v_lshlrev_b32_e32 v10, 16, v15
	v_mov_b32_e32 v12, 0x3b800000
	v_lshlrev_b32_e32 v8, 20, v8
	v_and_b32_e32 v10, 0x80000000, v10
	v_lshl_add_u32 v9, v9, 23, v12
	v_or3_b32 v8, v10, v9, v8
.LBB43_1900:
	s_or_b64 exec, exec, s[6:7]
	v_lshrrev_b32_e32 v9, 8, v11
	s_movk_i32 s4, 0x7f
	v_cmp_gt_i16_sdwa s[6:7], v9, s4 src0_sel:BYTE_0 src1_sel:DWORD
	s_mov_b64 s[4:5], 0
                                        ; implicit-def: $sgpr10
	s_and_saveexec_b64 s[8:9], s[6:7]
	s_xor_b64 s[6:7], exec, s[8:9]
	s_cbranch_execnz .LBB43_3949
; %bb.1901:
	s_or_saveexec_b64 s[6:7], s[6:7]
	v_mov_b32_e32 v10, s10
	s_xor_b64 exec, exec, s[6:7]
	s_cbranch_execnz .LBB43_3952
.LBB43_1902:
	s_or_b64 exec, exec, s[6:7]
	s_and_saveexec_b64 s[6:7], s[4:5]
	s_cbranch_execz .LBB43_1904
.LBB43_1903:
	v_bfe_u32 v10, v11, 8, 3
	v_ffbh_u32_e32 v13, v10
	v_min_u32_e32 v13, 32, v13
	v_lshrrev_b16_e32 v12, 3, v9
	v_subrev_u32_e32 v14, 28, v13
	v_and_b32_e32 v12, 15, v12
	v_lshlrev_b32_e32 v9, v14, v9
	v_sub_u32_e32 v13, 29, v13
	v_and_b32_e32 v9, 7, v9
	v_cmp_eq_u16_e32 vcc, 0, v12
	v_cndmask_b32_e32 v9, v10, v9, vcc
	v_cndmask_b32_e32 v10, v12, v13, vcc
	v_lshlrev_b32_e32 v12, 16, v11
	v_mov_b32_e32 v13, 0x3b800000
	v_lshlrev_b32_e32 v9, 20, v9
	v_and_b32_e32 v12, 0x80000000, v12
	v_lshl_add_u32 v10, v10, 23, v13
	v_or3_b32 v10, v12, v10, v9
.LBB43_1904:
	s_or_b64 exec, exec, s[6:7]
	s_nop 0
	v_mfma_f32_16x16x4f32 a[0:3], v8, v10, a[0:3]
	s_movk_i32 s4, 0xff
	v_and_b32_sdwa v9, v15, s4 dst_sel:DWORD dst_unused:UNUSED_PAD src0_sel:WORD_1 src1_sel:DWORD
	s_movk_i32 s4, 0x7f
	v_cmp_lt_i16_e32 vcc, s4, v9
	s_mov_b64 s[4:5], 0
                                        ; implicit-def: $sgpr10
	s_and_saveexec_b64 s[6:7], vcc
	s_xor_b64 s[6:7], exec, s[6:7]
	s_cbranch_execnz .LBB43_3953
; %bb.1905:
	s_or_saveexec_b64 s[6:7], s[6:7]
	v_mov_b32_e32 v8, s10
	s_xor_b64 exec, exec, s[6:7]
	s_cbranch_execnz .LBB43_3956
.LBB43_1906:
	s_or_b64 exec, exec, s[6:7]
	s_and_saveexec_b64 s[6:7], s[4:5]
	s_cbranch_execz .LBB43_1908
.LBB43_1907:
	v_bfe_u32 v8, v15, 16, 3
	v_ffbh_u32_e32 v12, v8
	v_min_u32_e32 v12, 32, v12
	v_lshrrev_b32_e32 v9, 19, v15
	v_subrev_u32_e32 v13, 28, v12
	v_and_b32_e32 v9, 15, v9
	v_lshlrev_b32_sdwa v13, v13, v15 dst_sel:DWORD dst_unused:UNUSED_PAD src0_sel:DWORD src1_sel:WORD_1
	v_bfe_u32 v10, v15, 19, 4
	v_sub_u32_e32 v12, 29, v12
	v_and_b32_e32 v13, 7, v13
	v_cmp_eq_u16_e32 vcc, 0, v9
	v_cndmask_b32_e32 v8, v8, v13, vcc
	v_cndmask_b32_e32 v9, v10, v12, vcc
	v_lshlrev_b32_e32 v10, 8, v15
	v_mov_b32_e32 v12, 0x3b800000
	v_lshlrev_b32_e32 v8, 20, v8
	v_and_b32_e32 v10, 0x80000000, v10
	v_lshl_add_u32 v9, v9, 23, v12
	v_or3_b32 v8, v10, v9, v8
.LBB43_1908:
	s_or_b64 exec, exec, s[6:7]
	s_movk_i32 s4, 0xff
	v_and_b32_sdwa v9, v11, s4 dst_sel:DWORD dst_unused:UNUSED_PAD src0_sel:WORD_1 src1_sel:DWORD
	s_movk_i32 s4, 0x7f
	v_cmp_lt_i16_e32 vcc, s4, v9
	s_mov_b64 s[4:5], 0
                                        ; implicit-def: $sgpr10
	s_and_saveexec_b64 s[6:7], vcc
	s_xor_b64 s[6:7], exec, s[6:7]
	s_cbranch_execnz .LBB43_3957
; %bb.1909:
	s_or_saveexec_b64 s[6:7], s[6:7]
	v_mov_b32_e32 v10, s10
	s_xor_b64 exec, exec, s[6:7]
	s_cbranch_execnz .LBB43_3960
.LBB43_1910:
	s_or_b64 exec, exec, s[6:7]
	s_and_saveexec_b64 s[6:7], s[4:5]
	s_cbranch_execz .LBB43_1912
.LBB43_1911:
	v_bfe_u32 v9, v11, 16, 3
	v_ffbh_u32_e32 v13, v9
	v_min_u32_e32 v13, 32, v13
	v_lshrrev_b32_e32 v10, 19, v11
	v_subrev_u32_e32 v14, 28, v13
	v_and_b32_e32 v10, 15, v10
	v_lshlrev_b32_sdwa v14, v14, v11 dst_sel:DWORD dst_unused:UNUSED_PAD src0_sel:DWORD src1_sel:WORD_1
	v_bfe_u32 v12, v11, 19, 4
	v_sub_u32_e32 v13, 29, v13
	v_and_b32_e32 v14, 7, v14
	v_cmp_eq_u16_e32 vcc, 0, v10
	v_cndmask_b32_e32 v9, v9, v14, vcc
	v_cndmask_b32_e32 v10, v12, v13, vcc
	v_lshlrev_b32_e32 v12, 8, v11
	v_mov_b32_e32 v13, 0x3b800000
	v_lshlrev_b32_e32 v9, 20, v9
	v_and_b32_e32 v12, 0x80000000, v12
	v_lshl_add_u32 v10, v10, 23, v13
	v_or3_b32 v10, v12, v10, v9
.LBB43_1912:
	s_or_b64 exec, exec, s[6:7]
	s_nop 0
	v_mfma_f32_16x16x4f32 a[0:3], v8, v10, a[0:3]
	s_movk_i32 s4, 0x7f
	v_cmp_gt_i16_sdwa s[6:7], v15, s4 src0_sel:BYTE_3 src1_sel:DWORD
	s_mov_b64 s[4:5], 0
                                        ; implicit-def: $sgpr10
	s_and_saveexec_b64 s[8:9], s[6:7]
	s_xor_b64 s[6:7], exec, s[8:9]
	s_cbranch_execnz .LBB43_3961
; %bb.1913:
	s_or_saveexec_b64 s[6:7], s[6:7]
	v_mov_b32_e32 v8, s10
	s_xor_b64 exec, exec, s[6:7]
	s_cbranch_execnz .LBB43_3964
.LBB43_1914:
	s_or_b64 exec, exec, s[6:7]
	s_and_saveexec_b64 s[6:7], s[4:5]
	s_cbranch_execz .LBB43_1916
.LBB43_1915:
	v_bfe_u32 v8, v15, 24, 3
	v_ffbh_u32_e32 v13, v8
	v_min_u32_e32 v13, 32, v13
	v_lshrrev_b32_e32 v10, 27, v15
	v_subrev_u32_e32 v14, 28, v13
	v_and_b32_e32 v10, 15, v10
	v_lshlrev_b32_sdwa v14, v14, v15 dst_sel:DWORD dst_unused:UNUSED_PAD src0_sel:DWORD src1_sel:BYTE_3
	v_bfe_u32 v12, v15, 27, 4
	v_sub_u32_e32 v13, 29, v13
	v_and_b32_e32 v14, 7, v14
	v_cmp_eq_u16_e32 vcc, 0, v10
	v_cndmask_b32_e32 v8, v8, v14, vcc
	v_cndmask_b32_e32 v10, v12, v13, vcc
	v_mov_b32_e32 v12, 0x3b800000
	v_and_b32_e32 v9, 0x80000000, v15
	v_lshlrev_b32_e32 v8, 20, v8
	v_lshl_add_u32 v10, v10, 23, v12
	v_or3_b32 v8, v9, v10, v8
.LBB43_1916:
	s_or_b64 exec, exec, s[6:7]
	s_movk_i32 s4, 0x7f
	v_cmp_gt_i16_sdwa s[6:7], v11, s4 src0_sel:BYTE_3 src1_sel:DWORD
	s_mov_b64 s[4:5], 0
                                        ; implicit-def: $sgpr10
	s_and_saveexec_b64 s[8:9], s[6:7]
	s_xor_b64 s[6:7], exec, s[8:9]
	s_cbranch_execnz .LBB43_3965
; %bb.1917:
	s_or_saveexec_b64 s[6:7], s[6:7]
	v_mov_b32_e32 v9, s10
	s_xor_b64 exec, exec, s[6:7]
	s_cbranch_execnz .LBB43_3968
.LBB43_1918:
	s_or_b64 exec, exec, s[6:7]
	s_and_saveexec_b64 s[6:7], s[4:5]
	s_cbranch_execz .LBB43_1920
.LBB43_1919:
	v_bfe_u32 v9, v11, 24, 3
	v_ffbh_u32_e32 v14, v9
	v_min_u32_e32 v14, 32, v14
	v_lshrrev_b32_e32 v12, 27, v11
	v_subrev_u32_e32 v15, 28, v14
	v_and_b32_e32 v10, 0x80000000, v11
	v_and_b32_e32 v12, 15, v12
	v_bfe_u32 v13, v11, 27, 4
	v_lshlrev_b32_sdwa v11, v15, v11 dst_sel:DWORD dst_unused:UNUSED_PAD src0_sel:DWORD src1_sel:BYTE_3
	v_sub_u32_e32 v14, 29, v14
	v_and_b32_e32 v11, 7, v11
	v_cmp_eq_u16_e32 vcc, 0, v12
	v_cndmask_b32_e32 v9, v9, v11, vcc
	v_cndmask_b32_e32 v11, v13, v14, vcc
	v_mov_b32_e32 v12, 0x3b800000
	v_lshlrev_b32_e32 v9, 20, v9
	v_lshl_add_u32 v11, v11, 23, v12
	v_or3_b32 v9, v10, v11, v9
.LBB43_1920:
	s_or_b64 exec, exec, s[6:7]
	s_nop 0
	v_mfma_f32_16x16x4f32 a[0:3], v8, v9, a[0:3]
	s_movk_i32 s4, 0x7f
	v_cmp_gt_i16_sdwa s[6:7], v4, s4 src0_sel:BYTE_0 src1_sel:DWORD
	s_mov_b64 s[4:5], 0
                                        ; implicit-def: $sgpr10
	s_and_saveexec_b64 s[8:9], s[6:7]
	s_xor_b64 s[6:7], exec, s[8:9]
	s_cbranch_execnz .LBB43_3969
; %bb.1921:
	s_or_saveexec_b64 s[6:7], s[6:7]
	v_mov_b32_e32 v8, s10
	s_xor_b64 exec, exec, s[6:7]
	s_cbranch_execnz .LBB43_3972
.LBB43_1922:
	s_or_b64 exec, exec, s[6:7]
	s_and_saveexec_b64 s[6:7], s[4:5]
	s_cbranch_execz .LBB43_1924
.LBB43_1923:
	v_and_b32_e32 v8, 7, v4
	v_ffbh_u32_e32 v10, v8
	v_min_u32_e32 v10, 32, v10
	v_lshrrev_b16_e32 v9, 3, v4
	v_subrev_u32_e32 v11, 28, v10
	v_and_b32_e32 v9, 15, v9
	v_lshlrev_b32_e32 v11, v11, v4
	v_sub_u32_e32 v10, 29, v10
	v_and_b32_e32 v11, 7, v11
	v_cmp_eq_u16_e32 vcc, 0, v9
	v_cndmask_b32_e32 v8, v8, v11, vcc
	v_cndmask_b32_e32 v9, v9, v10, vcc
	v_lshlrev_b32_e32 v10, 24, v4
	v_mov_b32_e32 v11, 0x3b800000
	v_lshlrev_b32_e32 v8, 20, v8
	v_and_b32_e32 v10, 0x80000000, v10
	v_lshl_add_u32 v9, v9, 23, v11
	v_or3_b32 v8, v10, v9, v8
.LBB43_1924:
	s_or_b64 exec, exec, s[6:7]
	s_movk_i32 s4, 0x7f
	v_cmp_gt_i16_sdwa s[6:7], v0, s4 src0_sel:BYTE_0 src1_sel:DWORD
	s_mov_b64 s[4:5], 0
                                        ; implicit-def: $sgpr10
	s_and_saveexec_b64 s[8:9], s[6:7]
	s_xor_b64 s[6:7], exec, s[8:9]
	s_cbranch_execnz .LBB43_3973
; %bb.1925:
	s_or_saveexec_b64 s[6:7], s[6:7]
	v_mov_b32_e32 v9, s10
	s_xor_b64 exec, exec, s[6:7]
	s_cbranch_execnz .LBB43_3976
.LBB43_1926:
	s_or_b64 exec, exec, s[6:7]
	s_and_saveexec_b64 s[6:7], s[4:5]
	s_cbranch_execz .LBB43_1928
.LBB43_1927:
	v_and_b32_e32 v9, 7, v0
	v_ffbh_u32_e32 v11, v9
	v_min_u32_e32 v11, 32, v11
	v_lshrrev_b16_e32 v10, 3, v0
	v_subrev_u32_e32 v12, 28, v11
	v_and_b32_e32 v10, 15, v10
	v_lshlrev_b32_e32 v12, v12, v0
	v_sub_u32_e32 v11, 29, v11
	v_and_b32_e32 v12, 7, v12
	v_cmp_eq_u16_e32 vcc, 0, v10
	v_cndmask_b32_e32 v9, v9, v12, vcc
	v_cndmask_b32_e32 v10, v10, v11, vcc
	v_lshlrev_b32_e32 v11, 24, v0
	v_mov_b32_e32 v12, 0x3b800000
	v_lshlrev_b32_e32 v9, 20, v9
	v_and_b32_e32 v11, 0x80000000, v11
	v_lshl_add_u32 v10, v10, 23, v12
	v_or3_b32 v9, v11, v10, v9
.LBB43_1928:
	s_or_b64 exec, exec, s[6:7]
	s_nop 0
	v_mfma_f32_16x16x4f32 a[0:3], v8, v9, a[0:3]
	v_lshrrev_b32_e32 v9, 8, v4
	s_movk_i32 s4, 0x7f
	v_cmp_gt_i16_sdwa s[6:7], v9, s4 src0_sel:BYTE_0 src1_sel:DWORD
	s_mov_b64 s[4:5], 0
                                        ; implicit-def: $sgpr10
	s_and_saveexec_b64 s[8:9], s[6:7]
	s_xor_b64 s[6:7], exec, s[8:9]
	s_cbranch_execnz .LBB43_3977
; %bb.1929:
	s_or_saveexec_b64 s[6:7], s[6:7]
	v_mov_b32_e32 v8, s10
	s_xor_b64 exec, exec, s[6:7]
	s_cbranch_execnz .LBB43_3980
.LBB43_1930:
	s_or_b64 exec, exec, s[6:7]
	s_and_saveexec_b64 s[6:7], s[4:5]
	s_cbranch_execz .LBB43_1932
.LBB43_1931:
	v_bfe_u32 v8, v4, 8, 3
	v_ffbh_u32_e32 v11, v8
	v_min_u32_e32 v11, 32, v11
	v_lshrrev_b16_e32 v10, 3, v9
	v_subrev_u32_e32 v12, 28, v11
	v_and_b32_e32 v10, 15, v10
	v_lshlrev_b32_e32 v9, v12, v9
	v_sub_u32_e32 v11, 29, v11
	v_and_b32_e32 v9, 7, v9
	v_cmp_eq_u16_e32 vcc, 0, v10
	v_cndmask_b32_e32 v8, v8, v9, vcc
	v_cndmask_b32_e32 v9, v10, v11, vcc
	v_lshlrev_b32_e32 v10, 16, v4
	v_mov_b32_e32 v11, 0x3b800000
	v_lshlrev_b32_e32 v8, 20, v8
	v_and_b32_e32 v10, 0x80000000, v10
	v_lshl_add_u32 v9, v9, 23, v11
	v_or3_b32 v8, v10, v9, v8
.LBB43_1932:
	s_or_b64 exec, exec, s[6:7]
	v_lshrrev_b32_e32 v9, 8, v0
	s_movk_i32 s4, 0x7f
	v_cmp_gt_i16_sdwa s[6:7], v9, s4 src0_sel:BYTE_0 src1_sel:DWORD
	s_mov_b64 s[4:5], 0
                                        ; implicit-def: $sgpr10
	s_and_saveexec_b64 s[8:9], s[6:7]
	s_xor_b64 s[6:7], exec, s[8:9]
	s_cbranch_execnz .LBB43_3981
; %bb.1933:
	s_or_saveexec_b64 s[6:7], s[6:7]
	v_mov_b32_e32 v10, s10
	s_xor_b64 exec, exec, s[6:7]
	s_cbranch_execnz .LBB43_3984
.LBB43_1934:
	s_or_b64 exec, exec, s[6:7]
	s_and_saveexec_b64 s[6:7], s[4:5]
	s_cbranch_execz .LBB43_1936
.LBB43_1935:
	v_bfe_u32 v10, v0, 8, 3
	v_ffbh_u32_e32 v12, v10
	v_min_u32_e32 v12, 32, v12
	v_lshrrev_b16_e32 v11, 3, v9
	v_subrev_u32_e32 v13, 28, v12
	v_and_b32_e32 v11, 15, v11
	v_lshlrev_b32_e32 v9, v13, v9
	v_sub_u32_e32 v12, 29, v12
	v_and_b32_e32 v9, 7, v9
	v_cmp_eq_u16_e32 vcc, 0, v11
	v_cndmask_b32_e32 v9, v10, v9, vcc
	v_cndmask_b32_e32 v10, v11, v12, vcc
	v_lshlrev_b32_e32 v11, 16, v0
	v_mov_b32_e32 v12, 0x3b800000
	v_lshlrev_b32_e32 v9, 20, v9
	v_and_b32_e32 v11, 0x80000000, v11
	v_lshl_add_u32 v10, v10, 23, v12
	v_or3_b32 v10, v11, v10, v9
.LBB43_1936:
	s_or_b64 exec, exec, s[6:7]
	s_nop 0
	v_mfma_f32_16x16x4f32 a[0:3], v8, v10, a[0:3]
	s_movk_i32 s4, 0xff
	v_and_b32_sdwa v9, v4, s4 dst_sel:DWORD dst_unused:UNUSED_PAD src0_sel:WORD_1 src1_sel:DWORD
	s_movk_i32 s4, 0x7f
	v_cmp_lt_i16_e32 vcc, s4, v9
	s_mov_b64 s[4:5], 0
                                        ; implicit-def: $sgpr10
	s_and_saveexec_b64 s[6:7], vcc
	s_xor_b64 s[6:7], exec, s[6:7]
	s_cbranch_execnz .LBB43_3985
; %bb.1937:
	s_or_saveexec_b64 s[6:7], s[6:7]
	v_mov_b32_e32 v8, s10
	s_xor_b64 exec, exec, s[6:7]
	s_cbranch_execnz .LBB43_3988
.LBB43_1938:
	s_or_b64 exec, exec, s[6:7]
	s_and_saveexec_b64 s[6:7], s[4:5]
	s_cbranch_execz .LBB43_1940
.LBB43_1939:
	v_bfe_u32 v8, v4, 16, 3
	v_ffbh_u32_e32 v11, v8
	v_min_u32_e32 v11, 32, v11
	v_lshrrev_b32_e32 v9, 19, v4
	v_subrev_u32_e32 v12, 28, v11
	v_and_b32_e32 v9, 15, v9
	v_lshlrev_b32_sdwa v12, v12, v4 dst_sel:DWORD dst_unused:UNUSED_PAD src0_sel:DWORD src1_sel:WORD_1
	v_bfe_u32 v10, v4, 19, 4
	v_sub_u32_e32 v11, 29, v11
	v_and_b32_e32 v12, 7, v12
	v_cmp_eq_u16_e32 vcc, 0, v9
	v_cndmask_b32_e32 v8, v8, v12, vcc
	v_cndmask_b32_e32 v9, v10, v11, vcc
	v_lshlrev_b32_e32 v10, 8, v4
	v_mov_b32_e32 v11, 0x3b800000
	v_lshlrev_b32_e32 v8, 20, v8
	v_and_b32_e32 v10, 0x80000000, v10
	v_lshl_add_u32 v9, v9, 23, v11
	v_or3_b32 v8, v10, v9, v8
.LBB43_1940:
	s_or_b64 exec, exec, s[6:7]
	s_movk_i32 s4, 0xff
	v_and_b32_sdwa v9, v0, s4 dst_sel:DWORD dst_unused:UNUSED_PAD src0_sel:WORD_1 src1_sel:DWORD
	s_movk_i32 s4, 0x7f
	v_cmp_lt_i16_e32 vcc, s4, v9
	s_mov_b64 s[4:5], 0
                                        ; implicit-def: $sgpr10
	s_and_saveexec_b64 s[6:7], vcc
	s_xor_b64 s[6:7], exec, s[6:7]
	s_cbranch_execnz .LBB43_3989
; %bb.1941:
	s_or_saveexec_b64 s[6:7], s[6:7]
	v_mov_b32_e32 v10, s10
	s_xor_b64 exec, exec, s[6:7]
	s_cbranch_execnz .LBB43_3992
.LBB43_1942:
	s_or_b64 exec, exec, s[6:7]
	s_and_saveexec_b64 s[6:7], s[4:5]
	s_cbranch_execz .LBB43_1944
.LBB43_1943:
	v_bfe_u32 v9, v0, 16, 3
	v_ffbh_u32_e32 v12, v9
	v_min_u32_e32 v12, 32, v12
	v_lshrrev_b32_e32 v10, 19, v0
	v_subrev_u32_e32 v13, 28, v12
	v_and_b32_e32 v10, 15, v10
	v_lshlrev_b32_sdwa v13, v13, v0 dst_sel:DWORD dst_unused:UNUSED_PAD src0_sel:DWORD src1_sel:WORD_1
	v_bfe_u32 v11, v0, 19, 4
	v_sub_u32_e32 v12, 29, v12
	v_and_b32_e32 v13, 7, v13
	v_cmp_eq_u16_e32 vcc, 0, v10
	v_cndmask_b32_e32 v9, v9, v13, vcc
	v_cndmask_b32_e32 v10, v11, v12, vcc
	v_lshlrev_b32_e32 v11, 8, v0
	v_mov_b32_e32 v12, 0x3b800000
	v_lshlrev_b32_e32 v9, 20, v9
	v_and_b32_e32 v11, 0x80000000, v11
	v_lshl_add_u32 v10, v10, 23, v12
	v_or3_b32 v10, v11, v10, v9
.LBB43_1944:
	s_or_b64 exec, exec, s[6:7]
	s_nop 0
	v_mfma_f32_16x16x4f32 a[0:3], v8, v10, a[0:3]
	s_movk_i32 s4, 0x7f
	v_cmp_gt_i16_sdwa s[6:7], v4, s4 src0_sel:BYTE_3 src1_sel:DWORD
	s_mov_b64 s[4:5], 0
                                        ; implicit-def: $sgpr10
	s_and_saveexec_b64 s[8:9], s[6:7]
	s_xor_b64 s[6:7], exec, s[8:9]
	s_cbranch_execnz .LBB43_3993
; %bb.1945:
	s_or_saveexec_b64 s[6:7], s[6:7]
	v_mov_b32_e32 v8, s10
	s_xor_b64 exec, exec, s[6:7]
	s_cbranch_execnz .LBB43_3996
.LBB43_1946:
	s_or_b64 exec, exec, s[6:7]
	s_and_saveexec_b64 s[6:7], s[4:5]
	s_cbranch_execz .LBB43_1948
.LBB43_1947:
	v_bfe_u32 v8, v4, 24, 3
	v_ffbh_u32_e32 v12, v8
	v_min_u32_e32 v12, 32, v12
	v_lshrrev_b32_e32 v10, 27, v4
	v_subrev_u32_e32 v13, 28, v12
	v_and_b32_e32 v9, 0x80000000, v4
	v_and_b32_e32 v10, 15, v10
	v_bfe_u32 v11, v4, 27, 4
	v_lshlrev_b32_sdwa v4, v13, v4 dst_sel:DWORD dst_unused:UNUSED_PAD src0_sel:DWORD src1_sel:BYTE_3
	v_sub_u32_e32 v12, 29, v12
	v_and_b32_e32 v4, 7, v4
	v_cmp_eq_u16_e32 vcc, 0, v10
	v_cndmask_b32_e32 v4, v8, v4, vcc
	v_cndmask_b32_e32 v8, v11, v12, vcc
	v_mov_b32_e32 v10, 0x3b800000
	v_lshlrev_b32_e32 v4, 20, v4
	v_lshl_add_u32 v8, v8, 23, v10
	v_or3_b32 v8, v9, v8, v4
.LBB43_1948:
	s_or_b64 exec, exec, s[6:7]
	s_movk_i32 s4, 0x7f
	v_cmp_gt_i16_sdwa s[6:7], v0, s4 src0_sel:BYTE_3 src1_sel:DWORD
	s_mov_b64 s[4:5], 0
                                        ; implicit-def: $sgpr10
	s_and_saveexec_b64 s[8:9], s[6:7]
	s_xor_b64 s[6:7], exec, s[8:9]
	s_cbranch_execnz .LBB43_3997
; %bb.1949:
	s_or_saveexec_b64 s[6:7], s[6:7]
	v_mov_b32_e32 v4, s10
	s_xor_b64 exec, exec, s[6:7]
	s_cbranch_execnz .LBB43_4000
.LBB43_1950:
	s_or_b64 exec, exec, s[6:7]
	s_and_saveexec_b64 s[6:7], s[4:5]
	s_cbranch_execz .LBB43_1952
.LBB43_1951:
	v_bfe_u32 v4, v0, 24, 3
	v_ffbh_u32_e32 v12, v4
	v_min_u32_e32 v12, 32, v12
	v_lshrrev_b32_e32 v10, 27, v0
	v_subrev_u32_e32 v13, 28, v12
	v_and_b32_e32 v9, 0x80000000, v0
	v_and_b32_e32 v10, 15, v10
	v_bfe_u32 v11, v0, 27, 4
	v_lshlrev_b32_sdwa v0, v13, v0 dst_sel:DWORD dst_unused:UNUSED_PAD src0_sel:DWORD src1_sel:BYTE_3
	v_sub_u32_e32 v12, 29, v12
	v_and_b32_e32 v0, 7, v0
	v_cmp_eq_u16_e32 vcc, 0, v10
	v_cndmask_b32_e32 v0, v4, v0, vcc
	v_cndmask_b32_e32 v4, v11, v12, vcc
	v_mov_b32_e32 v10, 0x3b800000
	v_lshlrev_b32_e32 v0, 20, v0
	v_lshl_add_u32 v4, v4, 23, v10
	v_or3_b32 v4, v9, v4, v0
.LBB43_1952:
	s_or_b64 exec, exec, s[6:7]
	s_nop 0
	v_mfma_f32_16x16x4f32 a[0:3], v8, v4, a[0:3]
	s_movk_i32 s4, 0x7f
	v_cmp_gt_i16_sdwa s[6:7], v5, s4 src0_sel:BYTE_0 src1_sel:DWORD
	s_mov_b64 s[4:5], 0
                                        ; implicit-def: $sgpr10
	s_and_saveexec_b64 s[8:9], s[6:7]
	s_xor_b64 s[6:7], exec, s[8:9]
	s_cbranch_execnz .LBB43_4001
; %bb.1953:
	s_or_saveexec_b64 s[6:7], s[6:7]
	v_mov_b32_e32 v0, s10
	s_xor_b64 exec, exec, s[6:7]
	s_cbranch_execnz .LBB43_4004
.LBB43_1954:
	s_or_b64 exec, exec, s[6:7]
	s_and_saveexec_b64 s[6:7], s[4:5]
	s_cbranch_execz .LBB43_1956
.LBB43_1955:
	v_and_b32_e32 v0, 7, v5
	v_ffbh_u32_e32 v8, v0
	v_min_u32_e32 v8, 32, v8
	v_lshrrev_b16_e32 v4, 3, v5
	v_subrev_u32_e32 v9, 28, v8
	v_and_b32_e32 v4, 15, v4
	v_lshlrev_b32_e32 v9, v9, v5
	v_sub_u32_e32 v8, 29, v8
	v_and_b32_e32 v9, 7, v9
	v_cmp_eq_u16_e32 vcc, 0, v4
	v_cndmask_b32_e32 v0, v0, v9, vcc
	v_cndmask_b32_e32 v4, v4, v8, vcc
	v_lshlrev_b32_e32 v8, 24, v5
	v_mov_b32_e32 v9, 0x3b800000
	v_lshlrev_b32_e32 v0, 20, v0
	v_and_b32_e32 v8, 0x80000000, v8
	v_lshl_add_u32 v4, v4, 23, v9
	v_or3_b32 v0, v8, v4, v0
.LBB43_1956:
	s_or_b64 exec, exec, s[6:7]
	s_movk_i32 s4, 0x7f
	v_cmp_gt_i16_sdwa s[6:7], v1, s4 src0_sel:BYTE_0 src1_sel:DWORD
	s_mov_b64 s[4:5], 0
                                        ; implicit-def: $sgpr10
	s_and_saveexec_b64 s[8:9], s[6:7]
	s_xor_b64 s[6:7], exec, s[8:9]
	s_cbranch_execnz .LBB43_4005
; %bb.1957:
	s_or_saveexec_b64 s[6:7], s[6:7]
	v_mov_b32_e32 v4, s10
	s_xor_b64 exec, exec, s[6:7]
	s_cbranch_execnz .LBB43_4008
.LBB43_1958:
	s_or_b64 exec, exec, s[6:7]
	s_and_saveexec_b64 s[6:7], s[4:5]
	s_cbranch_execz .LBB43_1960
.LBB43_1959:
	v_and_b32_e32 v4, 7, v1
	v_ffbh_u32_e32 v9, v4
	v_min_u32_e32 v9, 32, v9
	v_lshrrev_b16_e32 v8, 3, v1
	v_subrev_u32_e32 v10, 28, v9
	v_and_b32_e32 v8, 15, v8
	v_lshlrev_b32_e32 v10, v10, v1
	v_sub_u32_e32 v9, 29, v9
	v_and_b32_e32 v10, 7, v10
	v_cmp_eq_u16_e32 vcc, 0, v8
	v_cndmask_b32_e32 v4, v4, v10, vcc
	v_cndmask_b32_e32 v8, v8, v9, vcc
	v_lshlrev_b32_e32 v9, 24, v1
	v_mov_b32_e32 v10, 0x3b800000
	v_lshlrev_b32_e32 v4, 20, v4
	v_and_b32_e32 v9, 0x80000000, v9
	v_lshl_add_u32 v8, v8, 23, v10
	v_or3_b32 v4, v9, v8, v4
.LBB43_1960:
	s_or_b64 exec, exec, s[6:7]
	s_nop 0
	v_mfma_f32_16x16x4f32 a[0:3], v0, v4, a[0:3]
	v_lshrrev_b32_e32 v4, 8, v5
	s_movk_i32 s4, 0x7f
	v_cmp_gt_i16_sdwa s[6:7], v4, s4 src0_sel:BYTE_0 src1_sel:DWORD
	s_mov_b64 s[4:5], 0
                                        ; implicit-def: $sgpr10
	s_and_saveexec_b64 s[8:9], s[6:7]
	s_xor_b64 s[6:7], exec, s[8:9]
	s_cbranch_execnz .LBB43_4009
; %bb.1961:
	s_or_saveexec_b64 s[6:7], s[6:7]
	v_mov_b32_e32 v0, s10
	s_xor_b64 exec, exec, s[6:7]
	s_cbranch_execnz .LBB43_4012
.LBB43_1962:
	s_or_b64 exec, exec, s[6:7]
	s_and_saveexec_b64 s[6:7], s[4:5]
	s_cbranch_execz .LBB43_1964
.LBB43_1963:
	v_bfe_u32 v0, v5, 8, 3
	v_ffbh_u32_e32 v9, v0
	v_min_u32_e32 v9, 32, v9
	v_lshrrev_b16_e32 v8, 3, v4
	v_subrev_u32_e32 v10, 28, v9
	v_and_b32_e32 v8, 15, v8
	v_lshlrev_b32_e32 v4, v10, v4
	v_sub_u32_e32 v9, 29, v9
	v_and_b32_e32 v4, 7, v4
	v_cmp_eq_u16_e32 vcc, 0, v8
	v_cndmask_b32_e32 v0, v0, v4, vcc
	v_cndmask_b32_e32 v4, v8, v9, vcc
	v_lshlrev_b32_e32 v8, 16, v5
	v_mov_b32_e32 v9, 0x3b800000
	v_lshlrev_b32_e32 v0, 20, v0
	v_and_b32_e32 v8, 0x80000000, v8
	v_lshl_add_u32 v4, v4, 23, v9
	v_or3_b32 v0, v8, v4, v0
.LBB43_1964:
	s_or_b64 exec, exec, s[6:7]
	v_lshrrev_b32_e32 v4, 8, v1
	s_movk_i32 s4, 0x7f
	v_cmp_gt_i16_sdwa s[6:7], v4, s4 src0_sel:BYTE_0 src1_sel:DWORD
	s_mov_b64 s[4:5], 0
                                        ; implicit-def: $sgpr10
	s_and_saveexec_b64 s[8:9], s[6:7]
	s_xor_b64 s[6:7], exec, s[8:9]
	s_cbranch_execnz .LBB43_4013
; %bb.1965:
	s_or_saveexec_b64 s[6:7], s[6:7]
	v_mov_b32_e32 v8, s10
	s_xor_b64 exec, exec, s[6:7]
	s_cbranch_execnz .LBB43_4016
.LBB43_1966:
	s_or_b64 exec, exec, s[6:7]
	s_and_saveexec_b64 s[6:7], s[4:5]
	s_cbranch_execz .LBB43_1968
.LBB43_1967:
	v_bfe_u32 v8, v1, 8, 3
	v_ffbh_u32_e32 v10, v8
	v_min_u32_e32 v10, 32, v10
	v_lshrrev_b16_e32 v9, 3, v4
	v_subrev_u32_e32 v11, 28, v10
	v_and_b32_e32 v9, 15, v9
	v_lshlrev_b32_e32 v4, v11, v4
	v_sub_u32_e32 v10, 29, v10
	v_and_b32_e32 v4, 7, v4
	v_cmp_eq_u16_e32 vcc, 0, v9
	v_cndmask_b32_e32 v4, v8, v4, vcc
	v_cndmask_b32_e32 v8, v9, v10, vcc
	v_lshlrev_b32_e32 v9, 16, v1
	v_mov_b32_e32 v10, 0x3b800000
	v_lshlrev_b32_e32 v4, 20, v4
	v_and_b32_e32 v9, 0x80000000, v9
	v_lshl_add_u32 v8, v8, 23, v10
	v_or3_b32 v8, v9, v8, v4
.LBB43_1968:
	s_or_b64 exec, exec, s[6:7]
	s_nop 0
	v_mfma_f32_16x16x4f32 a[0:3], v0, v8, a[0:3]
	s_movk_i32 s4, 0xff
	v_and_b32_sdwa v4, v5, s4 dst_sel:DWORD dst_unused:UNUSED_PAD src0_sel:WORD_1 src1_sel:DWORD
	s_movk_i32 s4, 0x7f
	v_cmp_lt_i16_e32 vcc, s4, v4
	s_mov_b64 s[4:5], 0
                                        ; implicit-def: $sgpr10
	s_and_saveexec_b64 s[6:7], vcc
	s_xor_b64 s[6:7], exec, s[6:7]
	s_cbranch_execnz .LBB43_4017
; %bb.1969:
	s_or_saveexec_b64 s[6:7], s[6:7]
	v_mov_b32_e32 v0, s10
	s_xor_b64 exec, exec, s[6:7]
	s_cbranch_execnz .LBB43_4020
.LBB43_1970:
	s_or_b64 exec, exec, s[6:7]
	s_and_saveexec_b64 s[6:7], s[4:5]
	s_cbranch_execz .LBB43_1972
.LBB43_1971:
	v_bfe_u32 v0, v5, 16, 3
	v_ffbh_u32_e32 v9, v0
	v_min_u32_e32 v9, 32, v9
	v_lshrrev_b32_e32 v4, 19, v5
	v_subrev_u32_e32 v10, 28, v9
	v_and_b32_e32 v4, 15, v4
	v_lshlrev_b32_sdwa v10, v10, v5 dst_sel:DWORD dst_unused:UNUSED_PAD src0_sel:DWORD src1_sel:WORD_1
	v_bfe_u32 v8, v5, 19, 4
	v_sub_u32_e32 v9, 29, v9
	v_and_b32_e32 v10, 7, v10
	v_cmp_eq_u16_e32 vcc, 0, v4
	v_cndmask_b32_e32 v0, v0, v10, vcc
	v_cndmask_b32_e32 v4, v8, v9, vcc
	v_lshlrev_b32_e32 v8, 8, v5
	v_mov_b32_e32 v9, 0x3b800000
	v_lshlrev_b32_e32 v0, 20, v0
	v_and_b32_e32 v8, 0x80000000, v8
	v_lshl_add_u32 v4, v4, 23, v9
	v_or3_b32 v0, v8, v4, v0
.LBB43_1972:
	s_or_b64 exec, exec, s[6:7]
	s_movk_i32 s4, 0xff
	v_and_b32_sdwa v4, v1, s4 dst_sel:DWORD dst_unused:UNUSED_PAD src0_sel:WORD_1 src1_sel:DWORD
	s_movk_i32 s4, 0x7f
	v_cmp_lt_i16_e32 vcc, s4, v4
	s_mov_b64 s[4:5], 0
                                        ; implicit-def: $sgpr10
	s_and_saveexec_b64 s[6:7], vcc
	s_xor_b64 s[6:7], exec, s[6:7]
	s_cbranch_execnz .LBB43_4021
; %bb.1973:
	s_or_saveexec_b64 s[6:7], s[6:7]
	v_mov_b32_e32 v8, s10
	s_xor_b64 exec, exec, s[6:7]
	s_cbranch_execnz .LBB43_4024
.LBB43_1974:
	s_or_b64 exec, exec, s[6:7]
	s_and_saveexec_b64 s[6:7], s[4:5]
	s_cbranch_execz .LBB43_1976
.LBB43_1975:
	v_bfe_u32 v4, v1, 16, 3
	v_ffbh_u32_e32 v10, v4
	v_min_u32_e32 v10, 32, v10
	v_lshrrev_b32_e32 v8, 19, v1
	v_subrev_u32_e32 v11, 28, v10
	v_and_b32_e32 v8, 15, v8
	v_lshlrev_b32_sdwa v11, v11, v1 dst_sel:DWORD dst_unused:UNUSED_PAD src0_sel:DWORD src1_sel:WORD_1
	v_bfe_u32 v9, v1, 19, 4
	v_sub_u32_e32 v10, 29, v10
	v_and_b32_e32 v11, 7, v11
	v_cmp_eq_u16_e32 vcc, 0, v8
	v_cndmask_b32_e32 v4, v4, v11, vcc
	v_cndmask_b32_e32 v8, v9, v10, vcc
	v_lshlrev_b32_e32 v9, 8, v1
	v_mov_b32_e32 v10, 0x3b800000
	v_lshlrev_b32_e32 v4, 20, v4
	v_and_b32_e32 v9, 0x80000000, v9
	v_lshl_add_u32 v8, v8, 23, v10
	v_or3_b32 v8, v9, v8, v4
.LBB43_1976:
	s_or_b64 exec, exec, s[6:7]
	s_nop 0
	v_mfma_f32_16x16x4f32 a[0:3], v0, v8, a[0:3]
	s_movk_i32 s4, 0x7f
	v_cmp_gt_i16_sdwa s[6:7], v5, s4 src0_sel:BYTE_3 src1_sel:DWORD
	s_mov_b64 s[4:5], 0
                                        ; implicit-def: $sgpr10
	s_and_saveexec_b64 s[8:9], s[6:7]
	s_xor_b64 s[6:7], exec, s[8:9]
	s_cbranch_execnz .LBB43_4025
; %bb.1977:
	s_or_saveexec_b64 s[6:7], s[6:7]
	v_mov_b32_e32 v0, s10
	s_xor_b64 exec, exec, s[6:7]
	s_cbranch_execnz .LBB43_4028
.LBB43_1978:
	s_or_b64 exec, exec, s[6:7]
	s_and_saveexec_b64 s[6:7], s[4:5]
	s_cbranch_execz .LBB43_1980
.LBB43_1979:
	v_bfe_u32 v0, v5, 24, 3
	v_ffbh_u32_e32 v10, v0
	v_min_u32_e32 v10, 32, v10
	v_lshrrev_b32_e32 v8, 27, v5
	v_subrev_u32_e32 v11, 28, v10
	v_and_b32_e32 v4, 0x80000000, v5
	v_and_b32_e32 v8, 15, v8
	v_bfe_u32 v9, v5, 27, 4
	v_lshlrev_b32_sdwa v5, v11, v5 dst_sel:DWORD dst_unused:UNUSED_PAD src0_sel:DWORD src1_sel:BYTE_3
	v_sub_u32_e32 v10, 29, v10
	v_and_b32_e32 v5, 7, v5
	v_cmp_eq_u16_e32 vcc, 0, v8
	v_cndmask_b32_e32 v0, v0, v5, vcc
	v_cndmask_b32_e32 v5, v9, v10, vcc
	v_mov_b32_e32 v8, 0x3b800000
	v_lshlrev_b32_e32 v0, 20, v0
	v_lshl_add_u32 v5, v5, 23, v8
	v_or3_b32 v0, v4, v5, v0
.LBB43_1980:
	s_or_b64 exec, exec, s[6:7]
	s_movk_i32 s4, 0x7f
	v_cmp_gt_i16_sdwa s[6:7], v1, s4 src0_sel:BYTE_3 src1_sel:DWORD
	s_mov_b64 s[4:5], 0
                                        ; implicit-def: $sgpr10
	s_and_saveexec_b64 s[8:9], s[6:7]
	s_xor_b64 s[6:7], exec, s[8:9]
	s_cbranch_execnz .LBB43_4029
; %bb.1981:
	s_or_saveexec_b64 s[6:7], s[6:7]
	v_mov_b32_e32 v4, s10
	s_xor_b64 exec, exec, s[6:7]
	s_cbranch_execnz .LBB43_4032
.LBB43_1982:
	s_or_b64 exec, exec, s[6:7]
	s_and_saveexec_b64 s[6:7], s[4:5]
	s_cbranch_execz .LBB43_1984
.LBB43_1983:
	v_bfe_u32 v4, v1, 24, 3
	v_ffbh_u32_e32 v10, v4
	v_min_u32_e32 v10, 32, v10
	v_lshrrev_b32_e32 v8, 27, v1
	v_subrev_u32_e32 v11, 28, v10
	v_and_b32_e32 v5, 0x80000000, v1
	v_and_b32_e32 v8, 15, v8
	v_bfe_u32 v9, v1, 27, 4
	v_lshlrev_b32_sdwa v1, v11, v1 dst_sel:DWORD dst_unused:UNUSED_PAD src0_sel:DWORD src1_sel:BYTE_3
	v_sub_u32_e32 v10, 29, v10
	v_and_b32_e32 v1, 7, v1
	v_cmp_eq_u16_e32 vcc, 0, v8
	v_cndmask_b32_e32 v1, v4, v1, vcc
	v_cndmask_b32_e32 v4, v9, v10, vcc
	v_mov_b32_e32 v8, 0x3b800000
	v_lshlrev_b32_e32 v1, 20, v1
	v_lshl_add_u32 v4, v4, 23, v8
	v_or3_b32 v4, v5, v4, v1
.LBB43_1984:
	s_or_b64 exec, exec, s[6:7]
	s_nop 0
	v_mfma_f32_16x16x4f32 a[0:3], v0, v4, a[0:3]
	s_movk_i32 s4, 0x7f
	v_cmp_gt_i16_sdwa s[6:7], v6, s4 src0_sel:BYTE_0 src1_sel:DWORD
	s_mov_b64 s[4:5], 0
                                        ; implicit-def: $sgpr10
	s_and_saveexec_b64 s[8:9], s[6:7]
	s_xor_b64 s[6:7], exec, s[8:9]
	s_cbranch_execnz .LBB43_4033
; %bb.1985:
	s_or_saveexec_b64 s[6:7], s[6:7]
	v_mov_b32_e32 v0, s10
	s_xor_b64 exec, exec, s[6:7]
	s_cbranch_execnz .LBB43_4036
.LBB43_1986:
	s_or_b64 exec, exec, s[6:7]
	s_and_saveexec_b64 s[6:7], s[4:5]
	s_cbranch_execz .LBB43_1988
.LBB43_1987:
	v_and_b32_e32 v0, 7, v6
	v_ffbh_u32_e32 v4, v0
	v_min_u32_e32 v4, 32, v4
	v_lshrrev_b16_e32 v1, 3, v6
	v_subrev_u32_e32 v5, 28, v4
	v_and_b32_e32 v1, 15, v1
	v_lshlrev_b32_e32 v5, v5, v6
	v_sub_u32_e32 v4, 29, v4
	v_and_b32_e32 v5, 7, v5
	v_cmp_eq_u16_e32 vcc, 0, v1
	v_cndmask_b32_e32 v0, v0, v5, vcc
	v_cndmask_b32_e32 v1, v1, v4, vcc
	v_lshlrev_b32_e32 v4, 24, v6
	v_mov_b32_e32 v5, 0x3b800000
	v_lshlrev_b32_e32 v0, 20, v0
	v_and_b32_e32 v4, 0x80000000, v4
	v_lshl_add_u32 v1, v1, 23, v5
	v_or3_b32 v0, v4, v1, v0
.LBB43_1988:
	s_or_b64 exec, exec, s[6:7]
	s_movk_i32 s4, 0x7f
	v_cmp_gt_i16_sdwa s[6:7], v2, s4 src0_sel:BYTE_0 src1_sel:DWORD
	s_mov_b64 s[4:5], 0
                                        ; implicit-def: $sgpr10
	s_and_saveexec_b64 s[8:9], s[6:7]
	s_xor_b64 s[6:7], exec, s[8:9]
	s_cbranch_execnz .LBB43_4037
; %bb.1989:
	s_or_saveexec_b64 s[6:7], s[6:7]
	v_mov_b32_e32 v1, s10
	s_xor_b64 exec, exec, s[6:7]
	s_cbranch_execnz .LBB43_4040
.LBB43_1990:
	s_or_b64 exec, exec, s[6:7]
	s_and_saveexec_b64 s[6:7], s[4:5]
	s_cbranch_execz .LBB43_1992
.LBB43_1991:
	v_and_b32_e32 v1, 7, v2
	v_ffbh_u32_e32 v5, v1
	v_min_u32_e32 v5, 32, v5
	v_lshrrev_b16_e32 v4, 3, v2
	v_subrev_u32_e32 v8, 28, v5
	v_and_b32_e32 v4, 15, v4
	v_lshlrev_b32_e32 v8, v8, v2
	v_sub_u32_e32 v5, 29, v5
	v_and_b32_e32 v8, 7, v8
	v_cmp_eq_u16_e32 vcc, 0, v4
	v_cndmask_b32_e32 v1, v1, v8, vcc
	v_cndmask_b32_e32 v4, v4, v5, vcc
	v_lshlrev_b32_e32 v5, 24, v2
	v_mov_b32_e32 v8, 0x3b800000
	v_lshlrev_b32_e32 v1, 20, v1
	v_and_b32_e32 v5, 0x80000000, v5
	v_lshl_add_u32 v4, v4, 23, v8
	v_or3_b32 v1, v5, v4, v1
.LBB43_1992:
	s_or_b64 exec, exec, s[6:7]
	s_nop 0
	v_mfma_f32_16x16x4f32 a[0:3], v0, v1, a[0:3]
	v_lshrrev_b32_e32 v1, 8, v6
	s_movk_i32 s4, 0x7f
	v_cmp_gt_i16_sdwa s[6:7], v1, s4 src0_sel:BYTE_0 src1_sel:DWORD
	s_mov_b64 s[4:5], 0
                                        ; implicit-def: $sgpr10
	s_and_saveexec_b64 s[8:9], s[6:7]
	s_xor_b64 s[6:7], exec, s[8:9]
	s_cbranch_execnz .LBB43_4041
; %bb.1993:
	s_or_saveexec_b64 s[6:7], s[6:7]
	v_mov_b32_e32 v0, s10
	s_xor_b64 exec, exec, s[6:7]
	s_cbranch_execnz .LBB43_4044
.LBB43_1994:
	s_or_b64 exec, exec, s[6:7]
	s_and_saveexec_b64 s[6:7], s[4:5]
	s_cbranch_execz .LBB43_1996
.LBB43_1995:
	v_bfe_u32 v0, v6, 8, 3
	v_ffbh_u32_e32 v5, v0
	v_min_u32_e32 v5, 32, v5
	v_lshrrev_b16_e32 v4, 3, v1
	v_subrev_u32_e32 v8, 28, v5
	v_and_b32_e32 v4, 15, v4
	v_lshlrev_b32_e32 v1, v8, v1
	v_sub_u32_e32 v5, 29, v5
	v_and_b32_e32 v1, 7, v1
	v_cmp_eq_u16_e32 vcc, 0, v4
	v_cndmask_b32_e32 v0, v0, v1, vcc
	v_cndmask_b32_e32 v1, v4, v5, vcc
	v_lshlrev_b32_e32 v4, 16, v6
	v_mov_b32_e32 v5, 0x3b800000
	v_lshlrev_b32_e32 v0, 20, v0
	v_and_b32_e32 v4, 0x80000000, v4
	v_lshl_add_u32 v1, v1, 23, v5
	v_or3_b32 v0, v4, v1, v0
.LBB43_1996:
	s_or_b64 exec, exec, s[6:7]
	v_lshrrev_b32_e32 v1, 8, v2
	s_movk_i32 s4, 0x7f
	v_cmp_gt_i16_sdwa s[6:7], v1, s4 src0_sel:BYTE_0 src1_sel:DWORD
	s_mov_b64 s[4:5], 0
                                        ; implicit-def: $sgpr10
	s_and_saveexec_b64 s[8:9], s[6:7]
	s_xor_b64 s[6:7], exec, s[8:9]
	s_cbranch_execnz .LBB43_4045
; %bb.1997:
	s_or_saveexec_b64 s[6:7], s[6:7]
	v_mov_b32_e32 v4, s10
	s_xor_b64 exec, exec, s[6:7]
	s_cbranch_execnz .LBB43_4048
.LBB43_1998:
	s_or_b64 exec, exec, s[6:7]
	s_and_saveexec_b64 s[6:7], s[4:5]
	s_cbranch_execz .LBB43_2000
.LBB43_1999:
	v_bfe_u32 v4, v2, 8, 3
	v_ffbh_u32_e32 v8, v4
	v_min_u32_e32 v8, 32, v8
	v_lshrrev_b16_e32 v5, 3, v1
	v_subrev_u32_e32 v9, 28, v8
	v_and_b32_e32 v5, 15, v5
	v_lshlrev_b32_e32 v1, v9, v1
	v_sub_u32_e32 v8, 29, v8
	v_and_b32_e32 v1, 7, v1
	v_cmp_eq_u16_e32 vcc, 0, v5
	v_cndmask_b32_e32 v1, v4, v1, vcc
	v_cndmask_b32_e32 v4, v5, v8, vcc
	v_lshlrev_b32_e32 v5, 16, v2
	v_mov_b32_e32 v8, 0x3b800000
	v_lshlrev_b32_e32 v1, 20, v1
	v_and_b32_e32 v5, 0x80000000, v5
	v_lshl_add_u32 v4, v4, 23, v8
	v_or3_b32 v4, v5, v4, v1
.LBB43_2000:
	s_or_b64 exec, exec, s[6:7]
	s_nop 0
	v_mfma_f32_16x16x4f32 a[0:3], v0, v4, a[0:3]
	s_movk_i32 s4, 0xff
	v_and_b32_sdwa v1, v6, s4 dst_sel:DWORD dst_unused:UNUSED_PAD src0_sel:WORD_1 src1_sel:DWORD
	s_movk_i32 s4, 0x7f
	v_cmp_lt_i16_e32 vcc, s4, v1
	s_mov_b64 s[4:5], 0
                                        ; implicit-def: $sgpr10
	s_and_saveexec_b64 s[6:7], vcc
	s_xor_b64 s[6:7], exec, s[6:7]
	s_cbranch_execnz .LBB43_4049
; %bb.2001:
	s_or_saveexec_b64 s[6:7], s[6:7]
	v_mov_b32_e32 v0, s10
	s_xor_b64 exec, exec, s[6:7]
	s_cbranch_execnz .LBB43_4052
.LBB43_2002:
	s_or_b64 exec, exec, s[6:7]
	s_and_saveexec_b64 s[6:7], s[4:5]
	s_cbranch_execz .LBB43_2004
.LBB43_2003:
	v_bfe_u32 v0, v6, 16, 3
	v_ffbh_u32_e32 v5, v0
	v_min_u32_e32 v5, 32, v5
	v_lshrrev_b32_e32 v1, 19, v6
	v_subrev_u32_e32 v8, 28, v5
	v_and_b32_e32 v1, 15, v1
	v_lshlrev_b32_sdwa v8, v8, v6 dst_sel:DWORD dst_unused:UNUSED_PAD src0_sel:DWORD src1_sel:WORD_1
	v_bfe_u32 v4, v6, 19, 4
	v_sub_u32_e32 v5, 29, v5
	v_and_b32_e32 v8, 7, v8
	v_cmp_eq_u16_e32 vcc, 0, v1
	v_cndmask_b32_e32 v0, v0, v8, vcc
	v_cndmask_b32_e32 v1, v4, v5, vcc
	v_lshlrev_b32_e32 v4, 8, v6
	v_mov_b32_e32 v5, 0x3b800000
	v_lshlrev_b32_e32 v0, 20, v0
	v_and_b32_e32 v4, 0x80000000, v4
	v_lshl_add_u32 v1, v1, 23, v5
	v_or3_b32 v0, v4, v1, v0
.LBB43_2004:
	s_or_b64 exec, exec, s[6:7]
	s_movk_i32 s4, 0xff
	v_and_b32_sdwa v1, v2, s4 dst_sel:DWORD dst_unused:UNUSED_PAD src0_sel:WORD_1 src1_sel:DWORD
	s_movk_i32 s4, 0x7f
	v_cmp_lt_i16_e32 vcc, s4, v1
	s_mov_b64 s[4:5], 0
                                        ; implicit-def: $sgpr10
	s_and_saveexec_b64 s[6:7], vcc
	s_xor_b64 s[6:7], exec, s[6:7]
	s_cbranch_execnz .LBB43_4053
; %bb.2005:
	s_or_saveexec_b64 s[6:7], s[6:7]
	v_mov_b32_e32 v4, s10
	s_xor_b64 exec, exec, s[6:7]
	s_cbranch_execnz .LBB43_4056
.LBB43_2006:
	s_or_b64 exec, exec, s[6:7]
	s_and_saveexec_b64 s[6:7], s[4:5]
	s_cbranch_execz .LBB43_2008
.LBB43_2007:
	v_bfe_u32 v1, v2, 16, 3
	v_ffbh_u32_e32 v8, v1
	v_min_u32_e32 v8, 32, v8
	v_lshrrev_b32_e32 v4, 19, v2
	v_subrev_u32_e32 v9, 28, v8
	v_and_b32_e32 v4, 15, v4
	v_lshlrev_b32_sdwa v9, v9, v2 dst_sel:DWORD dst_unused:UNUSED_PAD src0_sel:DWORD src1_sel:WORD_1
	v_bfe_u32 v5, v2, 19, 4
	v_sub_u32_e32 v8, 29, v8
	v_and_b32_e32 v9, 7, v9
	v_cmp_eq_u16_e32 vcc, 0, v4
	v_cndmask_b32_e32 v1, v1, v9, vcc
	v_cndmask_b32_e32 v4, v5, v8, vcc
	v_lshlrev_b32_e32 v5, 8, v2
	v_mov_b32_e32 v8, 0x3b800000
	v_lshlrev_b32_e32 v1, 20, v1
	v_and_b32_e32 v5, 0x80000000, v5
	v_lshl_add_u32 v4, v4, 23, v8
	v_or3_b32 v4, v5, v4, v1
.LBB43_2008:
	s_or_b64 exec, exec, s[6:7]
	s_nop 0
	v_mfma_f32_16x16x4f32 a[0:3], v0, v4, a[0:3]
	s_movk_i32 s4, 0x7f
	v_cmp_gt_i16_sdwa s[6:7], v6, s4 src0_sel:BYTE_3 src1_sel:DWORD
	s_mov_b64 s[4:5], 0
                                        ; implicit-def: $sgpr10
	s_and_saveexec_b64 s[8:9], s[6:7]
	s_xor_b64 s[6:7], exec, s[8:9]
	s_cbranch_execnz .LBB43_4057
; %bb.2009:
	s_or_saveexec_b64 s[6:7], s[6:7]
	v_mov_b32_e32 v0, s10
	s_xor_b64 exec, exec, s[6:7]
	s_cbranch_execnz .LBB43_4060
.LBB43_2010:
	s_or_b64 exec, exec, s[6:7]
	s_and_saveexec_b64 s[6:7], s[4:5]
	s_cbranch_execz .LBB43_2012
.LBB43_2011:
	v_bfe_u32 v0, v6, 24, 3
	v_ffbh_u32_e32 v8, v0
	v_min_u32_e32 v8, 32, v8
	v_lshrrev_b32_e32 v4, 27, v6
	v_subrev_u32_e32 v9, 28, v8
	v_and_b32_e32 v1, 0x80000000, v6
	v_and_b32_e32 v4, 15, v4
	v_bfe_u32 v5, v6, 27, 4
	v_lshlrev_b32_sdwa v6, v9, v6 dst_sel:DWORD dst_unused:UNUSED_PAD src0_sel:DWORD src1_sel:BYTE_3
	v_sub_u32_e32 v8, 29, v8
	v_and_b32_e32 v6, 7, v6
	v_cmp_eq_u16_e32 vcc, 0, v4
	v_cndmask_b32_e32 v0, v0, v6, vcc
	v_cndmask_b32_e32 v4, v5, v8, vcc
	v_mov_b32_e32 v5, 0x3b800000
	v_lshlrev_b32_e32 v0, 20, v0
	v_lshl_add_u32 v4, v4, 23, v5
	v_or3_b32 v0, v1, v4, v0
.LBB43_2012:
	s_or_b64 exec, exec, s[6:7]
	s_movk_i32 s4, 0x7f
	v_cmp_gt_i16_sdwa s[6:7], v2, s4 src0_sel:BYTE_3 src1_sel:DWORD
	s_mov_b64 s[4:5], 0
                                        ; implicit-def: $sgpr10
	s_and_saveexec_b64 s[8:9], s[6:7]
	s_xor_b64 s[6:7], exec, s[8:9]
	s_cbranch_execnz .LBB43_4061
; %bb.2013:
	s_or_saveexec_b64 s[6:7], s[6:7]
	v_mov_b32_e32 v1, s10
	s_xor_b64 exec, exec, s[6:7]
	s_cbranch_execnz .LBB43_4064
.LBB43_2014:
	s_or_b64 exec, exec, s[6:7]
	s_and_saveexec_b64 s[6:7], s[4:5]
	s_cbranch_execz .LBB43_2016
.LBB43_2015:
	v_bfe_u32 v1, v2, 24, 3
	v_ffbh_u32_e32 v8, v1
	v_min_u32_e32 v8, 32, v8
	v_lshrrev_b32_e32 v5, 27, v2
	v_subrev_u32_e32 v9, 28, v8
	v_and_b32_e32 v4, 0x80000000, v2
	v_and_b32_e32 v5, 15, v5
	v_bfe_u32 v6, v2, 27, 4
	v_lshlrev_b32_sdwa v2, v9, v2 dst_sel:DWORD dst_unused:UNUSED_PAD src0_sel:DWORD src1_sel:BYTE_3
	v_sub_u32_e32 v8, 29, v8
	v_and_b32_e32 v2, 7, v2
	v_cmp_eq_u16_e32 vcc, 0, v5
	v_cndmask_b32_e32 v1, v1, v2, vcc
	v_cndmask_b32_e32 v2, v6, v8, vcc
	v_mov_b32_e32 v5, 0x3b800000
	v_lshlrev_b32_e32 v1, 20, v1
	v_lshl_add_u32 v2, v2, 23, v5
	v_or3_b32 v1, v4, v2, v1
.LBB43_2016:
	s_or_b64 exec, exec, s[6:7]
	s_nop 0
	v_mfma_f32_16x16x4f32 a[0:3], v0, v1, a[0:3]
	s_movk_i32 s4, 0x7f
	v_cmp_gt_i16_sdwa s[6:7], v7, s4 src0_sel:BYTE_0 src1_sel:DWORD
	s_mov_b64 s[4:5], 0
                                        ; implicit-def: $sgpr10
	s_and_saveexec_b64 s[8:9], s[6:7]
	s_xor_b64 s[6:7], exec, s[8:9]
	s_cbranch_execnz .LBB43_4065
; %bb.2017:
	s_or_saveexec_b64 s[6:7], s[6:7]
	v_mov_b32_e32 v0, s10
	s_xor_b64 exec, exec, s[6:7]
	s_cbranch_execnz .LBB43_4068
.LBB43_2018:
	s_or_b64 exec, exec, s[6:7]
	s_and_saveexec_b64 s[6:7], s[4:5]
	s_cbranch_execz .LBB43_2020
.LBB43_2019:
	v_mov_b32_e32 v0, 8
	v_and_b32_e32 v1, 7, v7
	v_lshrrev_b32_sdwa v0, v0, v7 dst_sel:BYTE_1 dst_unused:UNUSED_PAD src0_sel:DWORD src1_sel:DWORD
	v_ffbh_u32_e32 v2, v1
	v_or_b32_sdwa v0, v7, v0 dst_sel:DWORD dst_unused:UNUSED_PAD src0_sel:BYTE_0 src1_sel:DWORD
	v_min_u32_e32 v2, 32, v2
	v_lshrrev_b16_e32 v0, 3, v0
	v_subrev_u32_e32 v4, 28, v2
	v_and_b32_e32 v0, 15, v0
	v_lshlrev_b32_e32 v4, v4, v7
	v_sub_u32_e32 v2, 29, v2
	v_and_b32_e32 v4, 7, v4
	v_cmp_eq_u16_e32 vcc, 0, v0
	v_cndmask_b32_e32 v1, v1, v4, vcc
	v_cndmask_b32_e32 v0, v0, v2, vcc
	v_lshlrev_b32_e32 v2, 24, v7
	v_mov_b32_e32 v4, 0x3b800000
	v_lshlrev_b32_e32 v1, 20, v1
	v_and_b32_e32 v2, 0x80000000, v2
	v_lshl_add_u32 v0, v0, 23, v4
	v_or3_b32 v0, v2, v0, v1
.LBB43_2020:
	s_or_b64 exec, exec, s[6:7]
	s_movk_i32 s4, 0x7f
	v_cmp_gt_i16_sdwa s[6:7], v3, s4 src0_sel:BYTE_0 src1_sel:DWORD
	s_mov_b64 s[4:5], 0
                                        ; implicit-def: $sgpr10
	s_and_saveexec_b64 s[8:9], s[6:7]
	s_xor_b64 s[6:7], exec, s[8:9]
	s_cbranch_execnz .LBB43_4069
; %bb.2021:
	s_or_saveexec_b64 s[6:7], s[6:7]
	v_mov_b32_e32 v1, s10
	s_xor_b64 exec, exec, s[6:7]
	s_cbranch_execnz .LBB43_4072
.LBB43_2022:
	s_or_b64 exec, exec, s[6:7]
	s_and_saveexec_b64 s[6:7], s[4:5]
	s_cbranch_execz .LBB43_2024
.LBB43_2023:
	v_mov_b32_e32 v1, 8
	v_and_b32_e32 v2, 7, v3
	v_lshrrev_b32_sdwa v1, v1, v3 dst_sel:BYTE_1 dst_unused:UNUSED_PAD src0_sel:DWORD src1_sel:DWORD
	v_ffbh_u32_e32 v4, v2
	v_or_b32_sdwa v1, v3, v1 dst_sel:DWORD dst_unused:UNUSED_PAD src0_sel:BYTE_0 src1_sel:DWORD
	v_min_u32_e32 v4, 32, v4
	v_lshrrev_b16_e32 v1, 3, v1
	v_subrev_u32_e32 v5, 28, v4
	v_and_b32_e32 v1, 15, v1
	v_lshlrev_b32_e32 v5, v5, v3
	v_sub_u32_e32 v4, 29, v4
	v_and_b32_e32 v5, 7, v5
	v_cmp_eq_u16_e32 vcc, 0, v1
	v_cndmask_b32_e32 v2, v2, v5, vcc
	v_cndmask_b32_e32 v1, v1, v4, vcc
	v_lshlrev_b32_e32 v4, 24, v3
	v_mov_b32_e32 v5, 0x3b800000
	v_lshlrev_b32_e32 v2, 20, v2
	v_and_b32_e32 v4, 0x80000000, v4
	v_lshl_add_u32 v1, v1, 23, v5
	v_or3_b32 v1, v4, v1, v2
.LBB43_2024:
	s_or_b64 exec, exec, s[6:7]
	s_nop 0
	v_mfma_f32_16x16x4f32 a[0:3], v0, v1, a[0:3]
	v_lshrrev_b32_e32 v1, 8, v7
	s_movk_i32 s4, 0x7f
	v_cmp_gt_i16_sdwa s[6:7], v1, s4 src0_sel:BYTE_0 src1_sel:DWORD
	s_mov_b64 s[4:5], 0
                                        ; implicit-def: $sgpr10
	s_and_saveexec_b64 s[8:9], s[6:7]
	s_xor_b64 s[6:7], exec, s[8:9]
	s_cbranch_execnz .LBB43_4073
; %bb.2025:
	s_or_saveexec_b64 s[6:7], s[6:7]
	v_mov_b32_e32 v0, s10
	s_xor_b64 exec, exec, s[6:7]
	s_cbranch_execnz .LBB43_4076
.LBB43_2026:
	s_or_b64 exec, exec, s[6:7]
	s_and_saveexec_b64 s[6:7], s[4:5]
	s_cbranch_execz .LBB43_2028
.LBB43_2027:
	v_bfe_u32 v0, v7, 8, 3
	v_ffbh_u32_e32 v4, v0
	v_min_u32_e32 v4, 32, v4
	v_lshrrev_b16_e32 v2, 3, v1
	v_subrev_u32_e32 v5, 28, v4
	v_and_b32_e32 v2, 15, v2
	v_lshlrev_b32_e32 v1, v5, v1
	v_sub_u32_e32 v4, 29, v4
	v_and_b32_e32 v1, 7, v1
	v_cmp_eq_u16_e32 vcc, 0, v2
	v_cndmask_b32_e32 v0, v0, v1, vcc
	v_cndmask_b32_e32 v1, v2, v4, vcc
	v_lshlrev_b32_e32 v2, 16, v7
	v_mov_b32_e32 v4, 0x3b800000
	v_lshlrev_b32_e32 v0, 20, v0
	v_and_b32_e32 v2, 0x80000000, v2
	v_lshl_add_u32 v1, v1, 23, v4
	v_or3_b32 v0, v2, v1, v0
.LBB43_2028:
	s_or_b64 exec, exec, s[6:7]
	v_lshrrev_b32_e32 v1, 8, v3
	s_movk_i32 s4, 0x7f
	v_cmp_gt_i16_sdwa s[6:7], v1, s4 src0_sel:BYTE_0 src1_sel:DWORD
	s_mov_b64 s[4:5], 0
                                        ; implicit-def: $sgpr10
	s_and_saveexec_b64 s[8:9], s[6:7]
	s_xor_b64 s[6:7], exec, s[8:9]
	s_cbranch_execnz .LBB43_4077
; %bb.2029:
	s_or_saveexec_b64 s[6:7], s[6:7]
	v_mov_b32_e32 v2, s10
	s_xor_b64 exec, exec, s[6:7]
	s_cbranch_execnz .LBB43_4080
.LBB43_2030:
	s_or_b64 exec, exec, s[6:7]
	s_and_saveexec_b64 s[6:7], s[4:5]
	s_cbranch_execz .LBB43_2032
.LBB43_2031:
	v_bfe_u32 v2, v3, 8, 3
	v_ffbh_u32_e32 v5, v2
	v_min_u32_e32 v5, 32, v5
	v_lshrrev_b16_e32 v4, 3, v1
	v_subrev_u32_e32 v6, 28, v5
	v_and_b32_e32 v4, 15, v4
	v_lshlrev_b32_e32 v1, v6, v1
	v_sub_u32_e32 v5, 29, v5
	v_and_b32_e32 v1, 7, v1
	v_cmp_eq_u16_e32 vcc, 0, v4
	v_cndmask_b32_e32 v1, v2, v1, vcc
	v_cndmask_b32_e32 v2, v4, v5, vcc
	v_lshlrev_b32_e32 v4, 16, v3
	v_mov_b32_e32 v5, 0x3b800000
	v_lshlrev_b32_e32 v1, 20, v1
	v_and_b32_e32 v4, 0x80000000, v4
	v_lshl_add_u32 v2, v2, 23, v5
	v_or3_b32 v2, v4, v2, v1
.LBB43_2032:
	s_or_b64 exec, exec, s[6:7]
	s_nop 0
	v_mfma_f32_16x16x4f32 a[0:3], v0, v2, a[0:3]
	s_movk_i32 s4, 0xff
	v_and_b32_sdwa v1, v7, s4 dst_sel:DWORD dst_unused:UNUSED_PAD src0_sel:WORD_1 src1_sel:DWORD
	s_movk_i32 s4, 0x7f
	v_cmp_lt_i16_e32 vcc, s4, v1
	s_mov_b64 s[4:5], 0
                                        ; implicit-def: $sgpr10
	s_and_saveexec_b64 s[6:7], vcc
	s_xor_b64 s[6:7], exec, s[6:7]
	s_cbranch_execnz .LBB43_4081
; %bb.2033:
	s_or_saveexec_b64 s[6:7], s[6:7]
	v_mov_b32_e32 v0, s10
	s_xor_b64 exec, exec, s[6:7]
	s_cbranch_execnz .LBB43_4084
.LBB43_2034:
	s_or_b64 exec, exec, s[6:7]
	s_and_saveexec_b64 s[6:7], s[4:5]
	s_cbranch_execz .LBB43_2036
.LBB43_2035:
	v_bfe_u32 v0, v7, 16, 3
	v_ffbh_u32_e32 v4, v0
	v_min_u32_e32 v4, 32, v4
	v_lshrrev_b32_e32 v1, 19, v7
	v_subrev_u32_e32 v5, 28, v4
	v_and_b32_e32 v1, 15, v1
	v_lshlrev_b32_sdwa v5, v5, v7 dst_sel:DWORD dst_unused:UNUSED_PAD src0_sel:DWORD src1_sel:WORD_1
	v_bfe_u32 v2, v7, 19, 4
	v_sub_u32_e32 v4, 29, v4
	v_and_b32_e32 v5, 7, v5
	v_cmp_eq_u16_e32 vcc, 0, v1
	v_cndmask_b32_e32 v0, v0, v5, vcc
	v_cndmask_b32_e32 v1, v2, v4, vcc
	v_lshlrev_b32_e32 v2, 8, v7
	v_mov_b32_e32 v4, 0x3b800000
	v_lshlrev_b32_e32 v0, 20, v0
	v_and_b32_e32 v2, 0x80000000, v2
	v_lshl_add_u32 v1, v1, 23, v4
	v_or3_b32 v0, v2, v1, v0
.LBB43_2036:
	s_or_b64 exec, exec, s[6:7]
	s_movk_i32 s4, 0xff
	v_and_b32_sdwa v1, v3, s4 dst_sel:DWORD dst_unused:UNUSED_PAD src0_sel:WORD_1 src1_sel:DWORD
	s_movk_i32 s4, 0x7f
	v_cmp_lt_i16_e32 vcc, s4, v1
	s_mov_b64 s[4:5], 0
                                        ; implicit-def: $sgpr10
	s_and_saveexec_b64 s[6:7], vcc
	s_xor_b64 s[6:7], exec, s[6:7]
	s_cbranch_execnz .LBB43_4085
; %bb.2037:
	s_or_saveexec_b64 s[6:7], s[6:7]
	v_mov_b32_e32 v2, s10
	s_xor_b64 exec, exec, s[6:7]
	s_cbranch_execnz .LBB43_4088
.LBB43_2038:
	s_or_b64 exec, exec, s[6:7]
	s_and_saveexec_b64 s[6:7], s[4:5]
	s_cbranch_execz .LBB43_2040
.LBB43_2039:
	v_bfe_u32 v1, v3, 16, 3
	v_ffbh_u32_e32 v5, v1
	v_min_u32_e32 v5, 32, v5
	v_lshrrev_b32_e32 v2, 19, v3
	v_subrev_u32_e32 v6, 28, v5
	v_and_b32_e32 v2, 15, v2
	v_lshlrev_b32_sdwa v6, v6, v3 dst_sel:DWORD dst_unused:UNUSED_PAD src0_sel:DWORD src1_sel:WORD_1
	v_bfe_u32 v4, v3, 19, 4
	v_sub_u32_e32 v5, 29, v5
	v_and_b32_e32 v6, 7, v6
	v_cmp_eq_u16_e32 vcc, 0, v2
	v_cndmask_b32_e32 v1, v1, v6, vcc
	v_cndmask_b32_e32 v2, v4, v5, vcc
	v_lshlrev_b32_e32 v4, 8, v3
	v_mov_b32_e32 v5, 0x3b800000
	v_lshlrev_b32_e32 v1, 20, v1
	v_and_b32_e32 v4, 0x80000000, v4
	v_lshl_add_u32 v2, v2, 23, v5
	v_or3_b32 v2, v4, v2, v1
.LBB43_2040:
	s_or_b64 exec, exec, s[6:7]
	s_nop 0
	v_mfma_f32_16x16x4f32 a[0:3], v0, v2, a[0:3]
	s_movk_i32 s4, 0x7f
	v_cmp_gt_i16_sdwa s[6:7], v7, s4 src0_sel:BYTE_3 src1_sel:DWORD
	s_mov_b64 s[4:5], 0
                                        ; implicit-def: $sgpr10
	s_and_saveexec_b64 s[8:9], s[6:7]
	s_xor_b64 s[6:7], exec, s[8:9]
	s_cbranch_execnz .LBB43_4089
; %bb.2041:
	s_or_saveexec_b64 s[6:7], s[6:7]
	v_mov_b32_e32 v0, s10
	s_xor_b64 exec, exec, s[6:7]
	s_cbranch_execnz .LBB43_4092
.LBB43_2042:
	s_or_b64 exec, exec, s[6:7]
	s_and_saveexec_b64 s[6:7], s[4:5]
	s_cbranch_execz .LBB43_2044
.LBB43_2043:
	v_bfe_u32 v0, v7, 24, 3
	v_ffbh_u32_e32 v5, v0
	v_min_u32_e32 v5, 32, v5
	v_lshrrev_b32_e32 v2, 27, v7
	v_subrev_u32_e32 v6, 28, v5
	v_and_b32_e32 v2, 15, v2
	v_lshlrev_b32_sdwa v6, v6, v7 dst_sel:DWORD dst_unused:UNUSED_PAD src0_sel:DWORD src1_sel:BYTE_3
	v_bfe_u32 v4, v7, 27, 4
	v_sub_u32_e32 v5, 29, v5
	v_and_b32_e32 v6, 7, v6
	v_cmp_eq_u16_e32 vcc, 0, v2
	v_cndmask_b32_e32 v0, v0, v6, vcc
	v_cndmask_b32_e32 v2, v4, v5, vcc
	v_mov_b32_e32 v4, 0x3b800000
	v_and_b32_e32 v1, 0x80000000, v7
	v_lshlrev_b32_e32 v0, 20, v0
	v_lshl_add_u32 v2, v2, 23, v4
	v_or3_b32 v0, v1, v2, v0
.LBB43_2044:
	s_or_b64 exec, exec, s[6:7]
	s_movk_i32 s4, 0x7f
	v_cmp_gt_i16_sdwa s[6:7], v3, s4 src0_sel:BYTE_3 src1_sel:DWORD
	s_mov_b64 s[4:5], 0
                                        ; implicit-def: $sgpr10
	s_and_saveexec_b64 s[8:9], s[6:7]
	s_xor_b64 s[6:7], exec, s[8:9]
	s_cbranch_execnz .LBB43_4093
; %bb.2045:
	s_or_saveexec_b64 s[6:7], s[6:7]
	v_mov_b32_e32 v1, s10
	s_xor_b64 exec, exec, s[6:7]
	s_cbranch_execnz .LBB43_4096
.LBB43_2046:
	s_or_b64 exec, exec, s[6:7]
	s_and_saveexec_b64 s[6:7], s[4:5]
	s_cbranch_execz .LBB43_2048
.LBB43_2047:
	v_bfe_u32 v1, v3, 24, 3
	v_ffbh_u32_e32 v6, v1
	v_min_u32_e32 v6, 32, v6
	v_lshrrev_b32_e32 v4, 27, v3
	v_subrev_u32_e32 v7, 28, v6
	v_and_b32_e32 v2, 0x80000000, v3
	v_and_b32_e32 v4, 15, v4
	v_bfe_u32 v5, v3, 27, 4
	v_lshlrev_b32_sdwa v3, v7, v3 dst_sel:DWORD dst_unused:UNUSED_PAD src0_sel:DWORD src1_sel:BYTE_3
	v_sub_u32_e32 v6, 29, v6
	v_and_b32_e32 v3, 7, v3
	v_cmp_eq_u16_e32 vcc, 0, v4
	v_cndmask_b32_e32 v1, v1, v3, vcc
	v_cndmask_b32_e32 v3, v5, v6, vcc
	v_mov_b32_e32 v4, 0x3b800000
	v_lshlrev_b32_e32 v1, 20, v1
	v_lshl_add_u32 v3, v3, 23, v4
	v_or3_b32 v1, v2, v3, v1
.LBB43_2048:
	s_or_b64 exec, exec, s[6:7]
	s_nop 0
	v_mfma_f32_16x16x4f32 a[0:3], v0, v1, a[0:3]
	s_nop 7
	s_nop 2
	flat_store_dwordx4 v[16:17], a[0:3] offset:1008
	s_waitcnt vmcnt(0) lgkmcnt(0)
	s_setpc_b64 s[30:31]
.LBB43_2049:
	s_movk_i32 s4, 0x80
	v_cmp_eq_u16_sdwa s[12:13], v14, s4 src0_sel:BYTE_0 src1_sel:DWORD
	s_mov_b64 s[4:5], -1
                                        ; implicit-def: $sgpr10
	s_and_saveexec_b64 s[8:9], s[12:13]
; %bb.2050:
	s_mov_b32 s10, 0x7f800001
	s_xor_b64 s[4:5], exec, -1
; %bb.2051:
	s_or_b64 exec, exec, s[8:9]
	s_and_b64 s[4:5], s[4:5], exec
	s_or_saveexec_b64 s[6:7], s[6:7]
	v_mov_b32_e32 v20, s10
	s_xor_b64 exec, exec, s[6:7]
	s_cbranch_execz .LBB43_2
.LBB43_2052:
	v_mov_b32_e32 v20, 0
	v_cmp_ne_u16_sdwa s[8:9], v14, v20 src0_sel:BYTE_0 src1_sel:DWORD
	s_andn2_b64 s[4:5], s[4:5], exec
	s_and_b64 s[8:9], s[8:9], exec
	s_or_b64 s[4:5], s[4:5], s[8:9]
	s_or_b64 exec, exec, s[6:7]
	s_and_saveexec_b64 s[6:7], s[4:5]
	s_cbranch_execnz .LBB43_3
	s_branch .LBB43_4
.LBB43_2053:
	s_movk_i32 s4, 0x80
	v_cmp_eq_u16_sdwa s[12:13], v10, s4 src0_sel:BYTE_0 src1_sel:DWORD
	s_mov_b64 s[4:5], -1
                                        ; implicit-def: $sgpr10
	s_and_saveexec_b64 s[8:9], s[12:13]
; %bb.2054:
	s_mov_b32 s10, 0x7f800001
	s_xor_b64 s[4:5], exec, -1
; %bb.2055:
	s_or_b64 exec, exec, s[8:9]
	s_and_b64 s[4:5], s[4:5], exec
	s_or_saveexec_b64 s[6:7], s[6:7]
	v_mov_b32_e32 v21, s10
	s_xor_b64 exec, exec, s[6:7]
	s_cbranch_execz .LBB43_6
.LBB43_2056:
	v_mov_b32_e32 v21, 0
	v_cmp_ne_u16_sdwa s[8:9], v10, v21 src0_sel:BYTE_0 src1_sel:DWORD
	s_andn2_b64 s[4:5], s[4:5], exec
	s_and_b64 s[8:9], s[8:9], exec
	s_or_b64 s[4:5], s[4:5], s[8:9]
	s_or_b64 exec, exec, s[6:7]
	s_and_saveexec_b64 s[6:7], s[4:5]
	s_cbranch_execnz .LBB43_7
	s_branch .LBB43_8
.LBB43_2057:
	s_movk_i32 s4, 0x80
	v_cmp_eq_u16_sdwa s[12:13], v21, s4 src0_sel:BYTE_0 src1_sel:DWORD
	s_mov_b64 s[4:5], -1
                                        ; implicit-def: $sgpr10
	s_and_saveexec_b64 s[8:9], s[12:13]
; %bb.2058:
	s_mov_b32 s10, 0x7f800001
	s_xor_b64 s[4:5], exec, -1
; %bb.2059:
	s_or_b64 exec, exec, s[8:9]
	s_and_b64 s[4:5], s[4:5], exec
	s_or_saveexec_b64 s[6:7], s[6:7]
	v_mov_b32_e32 v20, s10
	s_xor_b64 exec, exec, s[6:7]
	s_cbranch_execz .LBB43_10
.LBB43_2060:
	v_mov_b32_e32 v20, 0
	v_cmp_ne_u16_sdwa s[8:9], v21, v20 src0_sel:BYTE_0 src1_sel:DWORD
	s_andn2_b64 s[4:5], s[4:5], exec
	s_and_b64 s[8:9], s[8:9], exec
	s_or_b64 s[4:5], s[4:5], s[8:9]
	s_or_b64 exec, exec, s[6:7]
	s_and_saveexec_b64 s[6:7], s[4:5]
	s_cbranch_execnz .LBB43_11
	s_branch .LBB43_12
.LBB43_2061:
	s_movk_i32 s4, 0x80
	v_cmp_eq_u16_sdwa s[12:13], v21, s4 src0_sel:BYTE_0 src1_sel:DWORD
	s_mov_b64 s[4:5], -1
                                        ; implicit-def: $sgpr10
	s_and_saveexec_b64 s[8:9], s[12:13]
; %bb.2062:
	s_mov_b32 s10, 0x7f800001
	s_xor_b64 s[4:5], exec, -1
; %bb.2063:
	s_or_b64 exec, exec, s[8:9]
	s_and_b64 s[4:5], s[4:5], exec
	s_or_saveexec_b64 s[6:7], s[6:7]
	v_mov_b32_e32 v22, s10
	s_xor_b64 exec, exec, s[6:7]
	s_cbranch_execz .LBB43_14
.LBB43_2064:
	v_mov_b32_e32 v22, 0
	v_cmp_ne_u16_sdwa s[8:9], v21, v22 src0_sel:BYTE_0 src1_sel:DWORD
	s_andn2_b64 s[4:5], s[4:5], exec
	s_and_b64 s[8:9], s[8:9], exec
	s_or_b64 s[4:5], s[4:5], s[8:9]
	s_or_b64 exec, exec, s[6:7]
	s_and_saveexec_b64 s[6:7], s[4:5]
	s_cbranch_execnz .LBB43_15
	s_branch .LBB43_16
.LBB43_2065:
	s_movk_i32 s4, 0x80
	v_cmp_eq_u16_e32 vcc, s4, v21
	s_mov_b64 s[4:5], -1
                                        ; implicit-def: $sgpr10
	s_and_saveexec_b64 s[8:9], vcc
; %bb.2066:
	s_mov_b32 s10, 0x7f800001
	s_xor_b64 s[4:5], exec, -1
; %bb.2067:
	s_or_b64 exec, exec, s[8:9]
	s_and_b64 s[4:5], s[4:5], exec
                                        ; implicit-def: $vgpr21
	s_or_saveexec_b64 s[6:7], s[6:7]
	v_mov_b32_e32 v20, s10
	s_xor_b64 exec, exec, s[6:7]
	s_cbranch_execz .LBB43_18
.LBB43_2068:
	v_cmp_ne_u16_e32 vcc, 0, v21
	s_andn2_b64 s[4:5], s[4:5], exec
	s_and_b64 s[8:9], vcc, exec
	v_mov_b32_e32 v20, 0
	s_or_b64 s[4:5], s[4:5], s[8:9]
	s_or_b64 exec, exec, s[6:7]
	s_and_saveexec_b64 s[6:7], s[4:5]
	s_cbranch_execnz .LBB43_19
	s_branch .LBB43_20
.LBB43_2069:
	s_movk_i32 s4, 0x80
	v_cmp_eq_u16_e32 vcc, s4, v21
	s_mov_b64 s[4:5], -1
                                        ; implicit-def: $sgpr10
	s_and_saveexec_b64 s[8:9], vcc
; %bb.2070:
	s_mov_b32 s10, 0x7f800001
	s_xor_b64 s[4:5], exec, -1
; %bb.2071:
	s_or_b64 exec, exec, s[8:9]
	s_and_b64 s[4:5], s[4:5], exec
                                        ; implicit-def: $vgpr21
	s_or_saveexec_b64 s[6:7], s[6:7]
	v_mov_b32_e32 v22, s10
	s_xor_b64 exec, exec, s[6:7]
	s_cbranch_execz .LBB43_22
.LBB43_2072:
	v_cmp_ne_u16_e32 vcc, 0, v21
	s_andn2_b64 s[4:5], s[4:5], exec
	s_and_b64 s[8:9], vcc, exec
	v_mov_b32_e32 v22, 0
	s_or_b64 s[4:5], s[4:5], s[8:9]
	s_or_b64 exec, exec, s[6:7]
	s_and_saveexec_b64 s[6:7], s[4:5]
	s_cbranch_execnz .LBB43_23
	s_branch .LBB43_24
.LBB43_2073:
	s_movk_i32 s4, 0x80
	v_cmp_eq_u16_sdwa s[12:13], v14, s4 src0_sel:BYTE_3 src1_sel:DWORD
	s_mov_b64 s[4:5], -1
                                        ; implicit-def: $sgpr10
	s_and_saveexec_b64 s[8:9], s[12:13]
; %bb.2074:
	s_mov_b32 s10, 0x7f800001
	s_xor_b64 s[4:5], exec, -1
; %bb.2075:
	s_or_b64 exec, exec, s[8:9]
	s_and_b64 s[4:5], s[4:5], exec
	s_or_saveexec_b64 s[6:7], s[6:7]
	v_mov_b32_e32 v20, s10
	s_xor_b64 exec, exec, s[6:7]
	s_cbranch_execz .LBB43_26
.LBB43_2076:
	v_mov_b32_e32 v20, 0
	v_cmp_ne_u16_sdwa s[8:9], v14, v20 src0_sel:BYTE_3 src1_sel:DWORD
	s_andn2_b64 s[4:5], s[4:5], exec
	s_and_b64 s[8:9], s[8:9], exec
	s_or_b64 s[4:5], s[4:5], s[8:9]
	s_or_b64 exec, exec, s[6:7]
	s_and_saveexec_b64 s[6:7], s[4:5]
	s_cbranch_execnz .LBB43_27
	s_branch .LBB43_28
.LBB43_2077:
	s_movk_i32 s4, 0x80
	v_cmp_eq_u16_sdwa s[12:13], v10, s4 src0_sel:BYTE_3 src1_sel:DWORD
	s_mov_b64 s[4:5], -1
                                        ; implicit-def: $sgpr10
	s_and_saveexec_b64 s[8:9], s[12:13]
; %bb.2078:
	s_mov_b32 s10, 0x7f800001
	s_xor_b64 s[4:5], exec, -1
; %bb.2079:
	s_or_b64 exec, exec, s[8:9]
	s_and_b64 s[4:5], s[4:5], exec
	s_or_saveexec_b64 s[6:7], s[6:7]
	v_mov_b32_e32 v14, s10
	s_xor_b64 exec, exec, s[6:7]
	s_cbranch_execz .LBB43_30
.LBB43_2080:
	v_mov_b32_e32 v14, 0
	v_cmp_ne_u16_sdwa s[8:9], v10, v14 src0_sel:BYTE_3 src1_sel:DWORD
	s_andn2_b64 s[4:5], s[4:5], exec
	s_and_b64 s[8:9], s[8:9], exec
	s_or_b64 s[4:5], s[4:5], s[8:9]
	s_or_b64 exec, exec, s[6:7]
	s_and_saveexec_b64 s[6:7], s[4:5]
	s_cbranch_execnz .LBB43_31
	s_branch .LBB43_32
.LBB43_2081:
	s_movk_i32 s4, 0x80
	v_cmp_eq_u16_sdwa s[12:13], v15, s4 src0_sel:BYTE_0 src1_sel:DWORD
	s_mov_b64 s[4:5], -1
                                        ; implicit-def: $sgpr10
	s_and_saveexec_b64 s[8:9], s[12:13]
; %bb.2082:
	s_mov_b32 s10, 0x7f800001
	s_xor_b64 s[4:5], exec, -1
; %bb.2083:
	s_or_b64 exec, exec, s[8:9]
	s_and_b64 s[4:5], s[4:5], exec
	s_or_saveexec_b64 s[6:7], s[6:7]
	v_mov_b32_e32 v10, s10
	s_xor_b64 exec, exec, s[6:7]
	s_cbranch_execz .LBB43_34
.LBB43_2084:
	v_mov_b32_e32 v10, 0
	v_cmp_ne_u16_sdwa s[8:9], v15, v10 src0_sel:BYTE_0 src1_sel:DWORD
	s_andn2_b64 s[4:5], s[4:5], exec
	s_and_b64 s[8:9], s[8:9], exec
	s_or_b64 s[4:5], s[4:5], s[8:9]
	s_or_b64 exec, exec, s[6:7]
	s_and_saveexec_b64 s[6:7], s[4:5]
	s_cbranch_execnz .LBB43_35
	s_branch .LBB43_36
.LBB43_2085:
	s_movk_i32 s4, 0x80
	v_cmp_eq_u16_sdwa s[12:13], v11, s4 src0_sel:BYTE_0 src1_sel:DWORD
	s_mov_b64 s[4:5], -1
                                        ; implicit-def: $sgpr10
	s_and_saveexec_b64 s[8:9], s[12:13]
; %bb.2086:
	s_mov_b32 s10, 0x7f800001
	s_xor_b64 s[4:5], exec, -1
; %bb.2087:
	s_or_b64 exec, exec, s[8:9]
	s_and_b64 s[4:5], s[4:5], exec
	s_or_saveexec_b64 s[6:7], s[6:7]
	v_mov_b32_e32 v14, s10
	s_xor_b64 exec, exec, s[6:7]
	s_cbranch_execz .LBB43_38
.LBB43_2088:
	v_mov_b32_e32 v14, 0
	v_cmp_ne_u16_sdwa s[8:9], v11, v14 src0_sel:BYTE_0 src1_sel:DWORD
	s_andn2_b64 s[4:5], s[4:5], exec
	s_and_b64 s[8:9], s[8:9], exec
	s_or_b64 s[4:5], s[4:5], s[8:9]
	s_or_b64 exec, exec, s[6:7]
	s_and_saveexec_b64 s[6:7], s[4:5]
	s_cbranch_execnz .LBB43_39
	s_branch .LBB43_40
.LBB43_2089:
	s_movk_i32 s4, 0x80
	v_cmp_eq_u16_sdwa s[12:13], v14, s4 src0_sel:BYTE_0 src1_sel:DWORD
	s_mov_b64 s[4:5], -1
                                        ; implicit-def: $sgpr10
	s_and_saveexec_b64 s[8:9], s[12:13]
; %bb.2090:
	s_mov_b32 s10, 0x7f800001
	s_xor_b64 s[4:5], exec, -1
; %bb.2091:
	s_or_b64 exec, exec, s[8:9]
	s_and_b64 s[4:5], s[4:5], exec
	s_or_saveexec_b64 s[6:7], s[6:7]
	v_mov_b32_e32 v10, s10
	s_xor_b64 exec, exec, s[6:7]
	s_cbranch_execz .LBB43_42
.LBB43_2092:
	v_mov_b32_e32 v10, 0
	v_cmp_ne_u16_sdwa s[8:9], v14, v10 src0_sel:BYTE_0 src1_sel:DWORD
	s_andn2_b64 s[4:5], s[4:5], exec
	s_and_b64 s[8:9], s[8:9], exec
	s_or_b64 s[4:5], s[4:5], s[8:9]
	s_or_b64 exec, exec, s[6:7]
	s_and_saveexec_b64 s[6:7], s[4:5]
	s_cbranch_execnz .LBB43_43
	s_branch .LBB43_44
.LBB43_2093:
	s_movk_i32 s4, 0x80
	v_cmp_eq_u16_sdwa s[12:13], v14, s4 src0_sel:BYTE_0 src1_sel:DWORD
	s_mov_b64 s[4:5], -1
                                        ; implicit-def: $sgpr10
	s_and_saveexec_b64 s[8:9], s[12:13]
; %bb.2094:
	s_mov_b32 s10, 0x7f800001
	s_xor_b64 s[4:5], exec, -1
; %bb.2095:
	s_or_b64 exec, exec, s[8:9]
	s_and_b64 s[4:5], s[4:5], exec
	s_or_saveexec_b64 s[6:7], s[6:7]
	v_mov_b32_e32 v20, s10
	s_xor_b64 exec, exec, s[6:7]
	s_cbranch_execz .LBB43_46
.LBB43_2096:
	v_mov_b32_e32 v20, 0
	v_cmp_ne_u16_sdwa s[8:9], v14, v20 src0_sel:BYTE_0 src1_sel:DWORD
	s_andn2_b64 s[4:5], s[4:5], exec
	s_and_b64 s[8:9], s[8:9], exec
	s_or_b64 s[4:5], s[4:5], s[8:9]
	s_or_b64 exec, exec, s[6:7]
	s_and_saveexec_b64 s[6:7], s[4:5]
	s_cbranch_execnz .LBB43_47
	s_branch .LBB43_48
.LBB43_2097:
	s_movk_i32 s4, 0x80
	v_cmp_eq_u16_e32 vcc, s4, v14
	s_mov_b64 s[4:5], -1
                                        ; implicit-def: $sgpr10
	s_and_saveexec_b64 s[8:9], vcc
; %bb.2098:
	s_mov_b32 s10, 0x7f800001
	s_xor_b64 s[4:5], exec, -1
; %bb.2099:
	s_or_b64 exec, exec, s[8:9]
	s_and_b64 s[4:5], s[4:5], exec
                                        ; implicit-def: $vgpr14
	s_or_saveexec_b64 s[6:7], s[6:7]
	v_mov_b32_e32 v10, s10
	s_xor_b64 exec, exec, s[6:7]
	s_cbranch_execz .LBB43_50
.LBB43_2100:
	v_cmp_ne_u16_e32 vcc, 0, v14
	s_andn2_b64 s[4:5], s[4:5], exec
	s_and_b64 s[8:9], vcc, exec
	v_mov_b32_e32 v10, 0
	s_or_b64 s[4:5], s[4:5], s[8:9]
	s_or_b64 exec, exec, s[6:7]
	s_and_saveexec_b64 s[6:7], s[4:5]
	s_cbranch_execnz .LBB43_51
	s_branch .LBB43_52
.LBB43_2101:
	s_movk_i32 s4, 0x80
	v_cmp_eq_u16_e32 vcc, s4, v14
	s_mov_b64 s[4:5], -1
                                        ; implicit-def: $sgpr10
	s_and_saveexec_b64 s[8:9], vcc
; %bb.2102:
	s_mov_b32 s10, 0x7f800001
	s_xor_b64 s[4:5], exec, -1
; %bb.2103:
	s_or_b64 exec, exec, s[8:9]
	s_and_b64 s[4:5], s[4:5], exec
                                        ; implicit-def: $vgpr14
	s_or_saveexec_b64 s[6:7], s[6:7]
	v_mov_b32_e32 v20, s10
	s_xor_b64 exec, exec, s[6:7]
	s_cbranch_execz .LBB43_54
.LBB43_2104:
	v_cmp_ne_u16_e32 vcc, 0, v14
	s_andn2_b64 s[4:5], s[4:5], exec
	s_and_b64 s[8:9], vcc, exec
	v_mov_b32_e32 v20, 0
	s_or_b64 s[4:5], s[4:5], s[8:9]
	s_or_b64 exec, exec, s[6:7]
	s_and_saveexec_b64 s[6:7], s[4:5]
	s_cbranch_execnz .LBB43_55
	s_branch .LBB43_56
.LBB43_2105:
	s_movk_i32 s4, 0x80
	v_cmp_eq_u16_sdwa s[12:13], v15, s4 src0_sel:BYTE_3 src1_sel:DWORD
	s_mov_b64 s[4:5], -1
                                        ; implicit-def: $sgpr10
	s_and_saveexec_b64 s[8:9], s[12:13]
; %bb.2106:
	s_mov_b32 s10, 0x7f800001
	s_xor_b64 s[4:5], exec, -1
; %bb.2107:
	s_or_b64 exec, exec, s[8:9]
	s_and_b64 s[4:5], s[4:5], exec
	s_or_saveexec_b64 s[6:7], s[6:7]
	v_mov_b32_e32 v10, s10
	s_xor_b64 exec, exec, s[6:7]
	s_cbranch_execz .LBB43_58
.LBB43_2108:
	v_mov_b32_e32 v10, 0
	v_cmp_ne_u16_sdwa s[8:9], v15, v10 src0_sel:BYTE_3 src1_sel:DWORD
	s_andn2_b64 s[4:5], s[4:5], exec
	s_and_b64 s[8:9], s[8:9], exec
	s_or_b64 s[4:5], s[4:5], s[8:9]
	s_or_b64 exec, exec, s[6:7]
	s_and_saveexec_b64 s[6:7], s[4:5]
	s_cbranch_execnz .LBB43_59
	s_branch .LBB43_60
.LBB43_2109:
	s_movk_i32 s4, 0x80
	v_cmp_eq_u16_sdwa s[12:13], v11, s4 src0_sel:BYTE_3 src1_sel:DWORD
	s_mov_b64 s[4:5], -1
                                        ; implicit-def: $sgpr10
	s_and_saveexec_b64 s[8:9], s[12:13]
; %bb.2110:
	s_mov_b32 s10, 0x7f800001
	s_xor_b64 s[4:5], exec, -1
; %bb.2111:
	s_or_b64 exec, exec, s[8:9]
	s_and_b64 s[4:5], s[4:5], exec
	s_or_saveexec_b64 s[6:7], s[6:7]
	v_mov_b32_e32 v14, s10
	s_xor_b64 exec, exec, s[6:7]
	s_cbranch_execz .LBB43_62
.LBB43_2112:
	v_mov_b32_e32 v14, 0
	v_cmp_ne_u16_sdwa s[8:9], v11, v14 src0_sel:BYTE_3 src1_sel:DWORD
	s_andn2_b64 s[4:5], s[4:5], exec
	s_and_b64 s[8:9], s[8:9], exec
	s_or_b64 s[4:5], s[4:5], s[8:9]
	s_or_b64 exec, exec, s[6:7]
	s_and_saveexec_b64 s[6:7], s[4:5]
	s_cbranch_execnz .LBB43_63
	s_branch .LBB43_64
.LBB43_2113:
	s_movk_i32 s4, 0x80
	v_cmp_eq_u16_sdwa s[12:13], v16, s4 src0_sel:BYTE_0 src1_sel:DWORD
	s_mov_b64 s[4:5], -1
                                        ; implicit-def: $sgpr10
	s_and_saveexec_b64 s[8:9], s[12:13]
; %bb.2114:
	s_mov_b32 s10, 0x7f800001
	s_xor_b64 s[4:5], exec, -1
; %bb.2115:
	s_or_b64 exec, exec, s[8:9]
	s_and_b64 s[4:5], s[4:5], exec
	s_or_saveexec_b64 s[6:7], s[6:7]
	v_mov_b32_e32 v10, s10
	s_xor_b64 exec, exec, s[6:7]
	s_cbranch_execz .LBB43_66
.LBB43_2116:
	v_mov_b32_e32 v10, 0
	v_cmp_ne_u16_sdwa s[8:9], v16, v10 src0_sel:BYTE_0 src1_sel:DWORD
	s_andn2_b64 s[4:5], s[4:5], exec
	s_and_b64 s[8:9], s[8:9], exec
	s_or_b64 s[4:5], s[4:5], s[8:9]
	s_or_b64 exec, exec, s[6:7]
	s_and_saveexec_b64 s[6:7], s[4:5]
	s_cbranch_execnz .LBB43_67
	s_branch .LBB43_68
.LBB43_2117:
	s_movk_i32 s4, 0x80
	v_cmp_eq_u16_sdwa s[12:13], v12, s4 src0_sel:BYTE_0 src1_sel:DWORD
	s_mov_b64 s[4:5], -1
                                        ; implicit-def: $sgpr10
	s_and_saveexec_b64 s[8:9], s[12:13]
; %bb.2118:
	s_mov_b32 s10, 0x7f800001
	s_xor_b64 s[4:5], exec, -1
; %bb.2119:
	s_or_b64 exec, exec, s[8:9]
	s_and_b64 s[4:5], s[4:5], exec
	s_or_saveexec_b64 s[6:7], s[6:7]
	v_mov_b32_e32 v11, s10
	s_xor_b64 exec, exec, s[6:7]
	s_cbranch_execz .LBB43_70
.LBB43_2120:
	v_mov_b32_e32 v11, 0
	v_cmp_ne_u16_sdwa s[8:9], v12, v11 src0_sel:BYTE_0 src1_sel:DWORD
	s_andn2_b64 s[4:5], s[4:5], exec
	s_and_b64 s[8:9], s[8:9], exec
	s_or_b64 s[4:5], s[4:5], s[8:9]
	s_or_b64 exec, exec, s[6:7]
	s_and_saveexec_b64 s[6:7], s[4:5]
	s_cbranch_execnz .LBB43_71
	s_branch .LBB43_72
.LBB43_2121:
	s_movk_i32 s4, 0x80
	v_cmp_eq_u16_sdwa s[12:13], v11, s4 src0_sel:BYTE_0 src1_sel:DWORD
	s_mov_b64 s[4:5], -1
                                        ; implicit-def: $sgpr10
	s_and_saveexec_b64 s[8:9], s[12:13]
; %bb.2122:
	s_mov_b32 s10, 0x7f800001
	s_xor_b64 s[4:5], exec, -1
; %bb.2123:
	s_or_b64 exec, exec, s[8:9]
	s_and_b64 s[4:5], s[4:5], exec
	s_or_saveexec_b64 s[6:7], s[6:7]
	v_mov_b32_e32 v10, s10
	s_xor_b64 exec, exec, s[6:7]
	s_cbranch_execz .LBB43_74
.LBB43_2124:
	v_mov_b32_e32 v10, 0
	v_cmp_ne_u16_sdwa s[8:9], v11, v10 src0_sel:BYTE_0 src1_sel:DWORD
	s_andn2_b64 s[4:5], s[4:5], exec
	s_and_b64 s[8:9], s[8:9], exec
	s_or_b64 s[4:5], s[4:5], s[8:9]
	s_or_b64 exec, exec, s[6:7]
	s_and_saveexec_b64 s[6:7], s[4:5]
	s_cbranch_execnz .LBB43_75
	s_branch .LBB43_76
.LBB43_2125:
	s_movk_i32 s4, 0x80
	v_cmp_eq_u16_sdwa s[12:13], v11, s4 src0_sel:BYTE_0 src1_sel:DWORD
	s_mov_b64 s[4:5], -1
                                        ; implicit-def: $sgpr10
	s_and_saveexec_b64 s[8:9], s[12:13]
; %bb.2126:
	s_mov_b32 s10, 0x7f800001
	s_xor_b64 s[4:5], exec, -1
; %bb.2127:
	s_or_b64 exec, exec, s[8:9]
	s_and_b64 s[4:5], s[4:5], exec
	s_or_saveexec_b64 s[6:7], s[6:7]
	v_mov_b32_e32 v14, s10
	s_xor_b64 exec, exec, s[6:7]
	s_cbranch_execz .LBB43_78
.LBB43_2128:
	v_mov_b32_e32 v14, 0
	v_cmp_ne_u16_sdwa s[8:9], v11, v14 src0_sel:BYTE_0 src1_sel:DWORD
	s_andn2_b64 s[4:5], s[4:5], exec
	s_and_b64 s[8:9], s[8:9], exec
	s_or_b64 s[4:5], s[4:5], s[8:9]
	s_or_b64 exec, exec, s[6:7]
	s_and_saveexec_b64 s[6:7], s[4:5]
	s_cbranch_execnz .LBB43_79
	s_branch .LBB43_80
.LBB43_2129:
	s_movk_i32 s4, 0x80
	v_cmp_eq_u16_e32 vcc, s4, v11
	s_mov_b64 s[4:5], -1
                                        ; implicit-def: $sgpr10
	s_and_saveexec_b64 s[8:9], vcc
; %bb.2130:
	s_mov_b32 s10, 0x7f800001
	s_xor_b64 s[4:5], exec, -1
; %bb.2131:
	s_or_b64 exec, exec, s[8:9]
	s_and_b64 s[4:5], s[4:5], exec
                                        ; implicit-def: $vgpr11
	s_or_saveexec_b64 s[6:7], s[6:7]
	v_mov_b32_e32 v10, s10
	s_xor_b64 exec, exec, s[6:7]
	s_cbranch_execz .LBB43_82
.LBB43_2132:
	v_cmp_ne_u16_e32 vcc, 0, v11
	s_andn2_b64 s[4:5], s[4:5], exec
	s_and_b64 s[8:9], vcc, exec
	v_mov_b32_e32 v10, 0
	s_or_b64 s[4:5], s[4:5], s[8:9]
	s_or_b64 exec, exec, s[6:7]
	s_and_saveexec_b64 s[6:7], s[4:5]
	s_cbranch_execnz .LBB43_83
	s_branch .LBB43_84
.LBB43_2133:
	s_movk_i32 s4, 0x80
	v_cmp_eq_u16_e32 vcc, s4, v11
	s_mov_b64 s[4:5], -1
                                        ; implicit-def: $sgpr10
	s_and_saveexec_b64 s[8:9], vcc
; %bb.2134:
	s_mov_b32 s10, 0x7f800001
	s_xor_b64 s[4:5], exec, -1
; %bb.2135:
	s_or_b64 exec, exec, s[8:9]
	s_and_b64 s[4:5], s[4:5], exec
                                        ; implicit-def: $vgpr11
	s_or_saveexec_b64 s[6:7], s[6:7]
	v_mov_b32_e32 v14, s10
	s_xor_b64 exec, exec, s[6:7]
	s_cbranch_execz .LBB43_86
.LBB43_2136:
	v_cmp_ne_u16_e32 vcc, 0, v11
	s_andn2_b64 s[4:5], s[4:5], exec
	s_and_b64 s[8:9], vcc, exec
	v_mov_b32_e32 v14, 0
	s_or_b64 s[4:5], s[4:5], s[8:9]
	s_or_b64 exec, exec, s[6:7]
	s_and_saveexec_b64 s[6:7], s[4:5]
	s_cbranch_execnz .LBB43_87
	s_branch .LBB43_88
.LBB43_2137:
	s_movk_i32 s4, 0x80
	v_cmp_eq_u16_sdwa s[12:13], v16, s4 src0_sel:BYTE_3 src1_sel:DWORD
	s_mov_b64 s[4:5], -1
                                        ; implicit-def: $sgpr10
	s_and_saveexec_b64 s[8:9], s[12:13]
; %bb.2138:
	s_mov_b32 s10, 0x7f800001
	s_xor_b64 s[4:5], exec, -1
; %bb.2139:
	s_or_b64 exec, exec, s[8:9]
	s_and_b64 s[4:5], s[4:5], exec
	s_or_saveexec_b64 s[6:7], s[6:7]
	v_mov_b32_e32 v10, s10
	s_xor_b64 exec, exec, s[6:7]
	s_cbranch_execz .LBB43_90
.LBB43_2140:
	v_mov_b32_e32 v10, 0
	v_cmp_ne_u16_sdwa s[8:9], v16, v10 src0_sel:BYTE_3 src1_sel:DWORD
	s_andn2_b64 s[4:5], s[4:5], exec
	s_and_b64 s[8:9], s[8:9], exec
	s_or_b64 s[4:5], s[4:5], s[8:9]
	s_or_b64 exec, exec, s[6:7]
	s_and_saveexec_b64 s[6:7], s[4:5]
	s_cbranch_execnz .LBB43_91
	s_branch .LBB43_92
.LBB43_2141:
	s_movk_i32 s4, 0x80
	v_cmp_eq_u16_sdwa s[12:13], v12, s4 src0_sel:BYTE_3 src1_sel:DWORD
	s_mov_b64 s[4:5], -1
                                        ; implicit-def: $sgpr10
	s_and_saveexec_b64 s[8:9], s[12:13]
; %bb.2142:
	s_mov_b32 s10, 0x7f800001
	s_xor_b64 s[4:5], exec, -1
; %bb.2143:
	s_or_b64 exec, exec, s[8:9]
	s_and_b64 s[4:5], s[4:5], exec
	s_or_saveexec_b64 s[6:7], s[6:7]
	v_mov_b32_e32 v11, s10
	s_xor_b64 exec, exec, s[6:7]
	s_cbranch_execz .LBB43_94
.LBB43_2144:
	v_mov_b32_e32 v11, 0
	v_cmp_ne_u16_sdwa s[8:9], v12, v11 src0_sel:BYTE_3 src1_sel:DWORD
	s_andn2_b64 s[4:5], s[4:5], exec
	s_and_b64 s[8:9], s[8:9], exec
	s_or_b64 s[4:5], s[4:5], s[8:9]
	s_or_b64 exec, exec, s[6:7]
	s_and_saveexec_b64 s[6:7], s[4:5]
	s_cbranch_execnz .LBB43_95
	s_branch .LBB43_96
.LBB43_2145:
	s_movk_i32 s4, 0x80
	v_cmp_eq_u16_sdwa s[12:13], v17, s4 src0_sel:BYTE_0 src1_sel:DWORD
	s_mov_b64 s[4:5], -1
                                        ; implicit-def: $sgpr10
	s_and_saveexec_b64 s[8:9], s[12:13]
; %bb.2146:
	s_mov_b32 s10, 0x7f800001
	s_xor_b64 s[4:5], exec, -1
; %bb.2147:
	s_or_b64 exec, exec, s[8:9]
	s_and_b64 s[4:5], s[4:5], exec
	s_or_saveexec_b64 s[6:7], s[6:7]
	v_mov_b32_e32 v10, s10
	s_xor_b64 exec, exec, s[6:7]
	s_cbranch_execz .LBB43_98
.LBB43_2148:
	v_mov_b32_e32 v10, 0
	v_cmp_ne_u16_sdwa s[8:9], v17, v10 src0_sel:BYTE_0 src1_sel:DWORD
	s_andn2_b64 s[4:5], s[4:5], exec
	s_and_b64 s[8:9], s[8:9], exec
	s_or_b64 s[4:5], s[4:5], s[8:9]
	s_or_b64 exec, exec, s[6:7]
	s_and_saveexec_b64 s[6:7], s[4:5]
	s_cbranch_execnz .LBB43_99
	s_branch .LBB43_100
.LBB43_2149:
	s_movk_i32 s4, 0x80
	v_cmp_eq_u16_sdwa s[12:13], v13, s4 src0_sel:BYTE_0 src1_sel:DWORD
	s_mov_b64 s[4:5], -1
                                        ; implicit-def: $sgpr10
	s_and_saveexec_b64 s[8:9], s[12:13]
; %bb.2150:
	s_mov_b32 s10, 0x7f800001
	s_xor_b64 s[4:5], exec, -1
; %bb.2151:
	s_or_b64 exec, exec, s[8:9]
	s_and_b64 s[4:5], s[4:5], exec
	s_or_saveexec_b64 s[6:7], s[6:7]
	v_mov_b32_e32 v11, s10
	s_xor_b64 exec, exec, s[6:7]
	s_cbranch_execz .LBB43_102
.LBB43_2152:
	v_mov_b32_e32 v11, 0
	v_cmp_ne_u16_sdwa s[8:9], v13, v11 src0_sel:BYTE_0 src1_sel:DWORD
	s_andn2_b64 s[4:5], s[4:5], exec
	s_and_b64 s[8:9], s[8:9], exec
	s_or_b64 s[4:5], s[4:5], s[8:9]
	s_or_b64 exec, exec, s[6:7]
	s_and_saveexec_b64 s[6:7], s[4:5]
	s_cbranch_execnz .LBB43_103
	s_branch .LBB43_104
.LBB43_2153:
	s_movk_i32 s4, 0x80
	v_cmp_eq_u16_sdwa s[12:13], v11, s4 src0_sel:BYTE_0 src1_sel:DWORD
	s_mov_b64 s[4:5], -1
                                        ; implicit-def: $sgpr10
	s_and_saveexec_b64 s[8:9], s[12:13]
; %bb.2154:
	s_mov_b32 s10, 0x7f800001
	s_xor_b64 s[4:5], exec, -1
; %bb.2155:
	s_or_b64 exec, exec, s[8:9]
	s_and_b64 s[4:5], s[4:5], exec
	s_or_saveexec_b64 s[6:7], s[6:7]
	v_mov_b32_e32 v10, s10
	s_xor_b64 exec, exec, s[6:7]
	s_cbranch_execz .LBB43_106
.LBB43_2156:
	v_mov_b32_e32 v10, 0
	v_cmp_ne_u16_sdwa s[8:9], v11, v10 src0_sel:BYTE_0 src1_sel:DWORD
	s_andn2_b64 s[4:5], s[4:5], exec
	s_and_b64 s[8:9], s[8:9], exec
	s_or_b64 s[4:5], s[4:5], s[8:9]
	s_or_b64 exec, exec, s[6:7]
	s_and_saveexec_b64 s[6:7], s[4:5]
	s_cbranch_execnz .LBB43_107
	s_branch .LBB43_108
.LBB43_2157:
	s_movk_i32 s4, 0x80
	v_cmp_eq_u16_sdwa s[12:13], v11, s4 src0_sel:BYTE_0 src1_sel:DWORD
	s_mov_b64 s[4:5], -1
                                        ; implicit-def: $sgpr10
	s_and_saveexec_b64 s[8:9], s[12:13]
; %bb.2158:
	s_mov_b32 s10, 0x7f800001
	s_xor_b64 s[4:5], exec, -1
; %bb.2159:
	s_or_b64 exec, exec, s[8:9]
	s_and_b64 s[4:5], s[4:5], exec
	s_or_saveexec_b64 s[6:7], s[6:7]
	v_mov_b32_e32 v12, s10
	s_xor_b64 exec, exec, s[6:7]
	s_cbranch_execz .LBB43_110
.LBB43_2160:
	v_mov_b32_e32 v12, 0
	v_cmp_ne_u16_sdwa s[8:9], v11, v12 src0_sel:BYTE_0 src1_sel:DWORD
	s_andn2_b64 s[4:5], s[4:5], exec
	s_and_b64 s[8:9], s[8:9], exec
	s_or_b64 s[4:5], s[4:5], s[8:9]
	s_or_b64 exec, exec, s[6:7]
	s_and_saveexec_b64 s[6:7], s[4:5]
	s_cbranch_execnz .LBB43_111
	s_branch .LBB43_112
.LBB43_2161:
	s_movk_i32 s4, 0x80
	v_cmp_eq_u16_e32 vcc, s4, v11
	s_mov_b64 s[4:5], -1
                                        ; implicit-def: $sgpr10
	s_and_saveexec_b64 s[8:9], vcc
; %bb.2162:
	s_mov_b32 s10, 0x7f800001
	s_xor_b64 s[4:5], exec, -1
; %bb.2163:
	s_or_b64 exec, exec, s[8:9]
	s_and_b64 s[4:5], s[4:5], exec
                                        ; implicit-def: $vgpr11
	s_or_saveexec_b64 s[6:7], s[6:7]
	v_mov_b32_e32 v10, s10
	s_xor_b64 exec, exec, s[6:7]
	s_cbranch_execz .LBB43_114
.LBB43_2164:
	v_cmp_ne_u16_e32 vcc, 0, v11
	s_andn2_b64 s[4:5], s[4:5], exec
	s_and_b64 s[8:9], vcc, exec
	v_mov_b32_e32 v10, 0
	s_or_b64 s[4:5], s[4:5], s[8:9]
	s_or_b64 exec, exec, s[6:7]
	s_and_saveexec_b64 s[6:7], s[4:5]
	s_cbranch_execnz .LBB43_115
	s_branch .LBB43_116
.LBB43_2165:
	s_movk_i32 s4, 0x80
	v_cmp_eq_u16_e32 vcc, s4, v11
	s_mov_b64 s[4:5], -1
                                        ; implicit-def: $sgpr10
	s_and_saveexec_b64 s[8:9], vcc
; %bb.2166:
	s_mov_b32 s10, 0x7f800001
	s_xor_b64 s[4:5], exec, -1
; %bb.2167:
	s_or_b64 exec, exec, s[8:9]
	s_and_b64 s[4:5], s[4:5], exec
                                        ; implicit-def: $vgpr11
	s_or_saveexec_b64 s[6:7], s[6:7]
	v_mov_b32_e32 v12, s10
	s_xor_b64 exec, exec, s[6:7]
	s_cbranch_execz .LBB43_118
.LBB43_2168:
	v_cmp_ne_u16_e32 vcc, 0, v11
	s_andn2_b64 s[4:5], s[4:5], exec
	s_and_b64 s[8:9], vcc, exec
	v_mov_b32_e32 v12, 0
	s_or_b64 s[4:5], s[4:5], s[8:9]
	s_or_b64 exec, exec, s[6:7]
	s_and_saveexec_b64 s[6:7], s[4:5]
	s_cbranch_execnz .LBB43_119
	s_branch .LBB43_120
.LBB43_2169:
	s_movk_i32 s4, 0x80
	v_cmp_eq_u16_sdwa s[12:13], v17, s4 src0_sel:BYTE_3 src1_sel:DWORD
	s_mov_b64 s[4:5], -1
                                        ; implicit-def: $sgpr10
	s_and_saveexec_b64 s[8:9], s[12:13]
; %bb.2170:
	s_mov_b32 s10, 0x7f800001
	s_xor_b64 s[4:5], exec, -1
; %bb.2171:
	s_or_b64 exec, exec, s[8:9]
	s_and_b64 s[4:5], s[4:5], exec
	s_or_saveexec_b64 s[6:7], s[6:7]
	v_mov_b32_e32 v10, s10
	s_xor_b64 exec, exec, s[6:7]
	s_cbranch_execz .LBB43_122
.LBB43_2172:
	v_mov_b32_e32 v10, 0
	v_cmp_ne_u16_sdwa s[8:9], v17, v10 src0_sel:BYTE_3 src1_sel:DWORD
	s_andn2_b64 s[4:5], s[4:5], exec
	s_and_b64 s[8:9], s[8:9], exec
	s_or_b64 s[4:5], s[4:5], s[8:9]
	s_or_b64 exec, exec, s[6:7]
	s_and_saveexec_b64 s[6:7], s[4:5]
	s_cbranch_execnz .LBB43_123
	s_branch .LBB43_124
.LBB43_2173:
	s_movk_i32 s4, 0x80
	v_cmp_eq_u16_sdwa s[12:13], v13, s4 src0_sel:BYTE_3 src1_sel:DWORD
	s_mov_b64 s[4:5], -1
                                        ; implicit-def: $sgpr10
	s_and_saveexec_b64 s[8:9], s[12:13]
; %bb.2174:
	s_mov_b32 s10, 0x7f800001
	s_xor_b64 s[4:5], exec, -1
; %bb.2175:
	s_or_b64 exec, exec, s[8:9]
	s_and_b64 s[4:5], s[4:5], exec
	s_or_saveexec_b64 s[6:7], s[6:7]
	v_mov_b32_e32 v11, s10
	s_xor_b64 exec, exec, s[6:7]
	s_cbranch_execz .LBB43_126
.LBB43_2176:
	v_mov_b32_e32 v11, 0
	v_cmp_ne_u16_sdwa s[8:9], v13, v11 src0_sel:BYTE_3 src1_sel:DWORD
	s_andn2_b64 s[4:5], s[4:5], exec
	s_and_b64 s[8:9], s[8:9], exec
	s_or_b64 s[4:5], s[4:5], s[8:9]
	s_or_b64 exec, exec, s[6:7]
	s_and_saveexec_b64 s[6:7], s[4:5]
	s_cbranch_execnz .LBB43_127
	s_branch .LBB43_128
.LBB43_2177:
	s_movk_i32 s4, 0x80
	v_cmp_eq_u16_sdwa s[12:13], v6, s4 src0_sel:BYTE_0 src1_sel:DWORD
	s_mov_b64 s[4:5], -1
                                        ; implicit-def: $sgpr10
	s_and_saveexec_b64 s[8:9], s[12:13]
; %bb.2178:
	s_mov_b32 s10, 0x7f800001
	s_xor_b64 s[4:5], exec, -1
; %bb.2179:
	s_or_b64 exec, exec, s[8:9]
	s_and_b64 s[4:5], s[4:5], exec
	s_or_saveexec_b64 s[6:7], s[6:7]
	v_mov_b32_e32 v10, s10
	s_xor_b64 exec, exec, s[6:7]
	s_cbranch_execz .LBB43_130
.LBB43_2180:
	v_mov_b32_e32 v10, 0
	v_cmp_ne_u16_sdwa s[8:9], v6, v10 src0_sel:BYTE_0 src1_sel:DWORD
	s_andn2_b64 s[4:5], s[4:5], exec
	s_and_b64 s[8:9], s[8:9], exec
	s_or_b64 s[4:5], s[4:5], s[8:9]
	s_or_b64 exec, exec, s[6:7]
	s_and_saveexec_b64 s[6:7], s[4:5]
	s_cbranch_execnz .LBB43_131
	s_branch .LBB43_132
.LBB43_2181:
	s_movk_i32 s4, 0x80
	v_cmp_eq_u16_sdwa s[12:13], v2, s4 src0_sel:BYTE_0 src1_sel:DWORD
	s_mov_b64 s[4:5], -1
                                        ; implicit-def: $sgpr10
	s_and_saveexec_b64 s[8:9], s[12:13]
; %bb.2182:
	s_mov_b32 s10, 0x7f800001
	s_xor_b64 s[4:5], exec, -1
; %bb.2183:
	s_or_b64 exec, exec, s[8:9]
	s_and_b64 s[4:5], s[4:5], exec
	s_or_saveexec_b64 s[6:7], s[6:7]
	v_mov_b32_e32 v11, s10
	s_xor_b64 exec, exec, s[6:7]
	s_cbranch_execz .LBB43_134
.LBB43_2184:
	v_mov_b32_e32 v11, 0
	v_cmp_ne_u16_sdwa s[8:9], v2, v11 src0_sel:BYTE_0 src1_sel:DWORD
	s_andn2_b64 s[4:5], s[4:5], exec
	s_and_b64 s[8:9], s[8:9], exec
	s_or_b64 s[4:5], s[4:5], s[8:9]
	s_or_b64 exec, exec, s[6:7]
	s_and_saveexec_b64 s[6:7], s[4:5]
	s_cbranch_execnz .LBB43_135
	s_branch .LBB43_136
.LBB43_2185:
	s_movk_i32 s4, 0x80
	v_cmp_eq_u16_sdwa s[12:13], v11, s4 src0_sel:BYTE_0 src1_sel:DWORD
	s_mov_b64 s[4:5], -1
                                        ; implicit-def: $sgpr10
	s_and_saveexec_b64 s[8:9], s[12:13]
; %bb.2186:
	s_mov_b32 s10, 0x7f800001
	s_xor_b64 s[4:5], exec, -1
; %bb.2187:
	s_or_b64 exec, exec, s[8:9]
	s_and_b64 s[4:5], s[4:5], exec
	s_or_saveexec_b64 s[6:7], s[6:7]
	v_mov_b32_e32 v10, s10
	s_xor_b64 exec, exec, s[6:7]
	s_cbranch_execz .LBB43_138
.LBB43_2188:
	v_mov_b32_e32 v10, 0
	v_cmp_ne_u16_sdwa s[8:9], v11, v10 src0_sel:BYTE_0 src1_sel:DWORD
	s_andn2_b64 s[4:5], s[4:5], exec
	s_and_b64 s[8:9], s[8:9], exec
	s_or_b64 s[4:5], s[4:5], s[8:9]
	s_or_b64 exec, exec, s[6:7]
	s_and_saveexec_b64 s[6:7], s[4:5]
	s_cbranch_execnz .LBB43_139
	s_branch .LBB43_140
.LBB43_2189:
	s_movk_i32 s4, 0x80
	v_cmp_eq_u16_sdwa s[12:13], v11, s4 src0_sel:BYTE_0 src1_sel:DWORD
	s_mov_b64 s[4:5], -1
                                        ; implicit-def: $sgpr10
	s_and_saveexec_b64 s[8:9], s[12:13]
; %bb.2190:
	s_mov_b32 s10, 0x7f800001
	s_xor_b64 s[4:5], exec, -1
; %bb.2191:
	s_or_b64 exec, exec, s[8:9]
	s_and_b64 s[4:5], s[4:5], exec
	s_or_saveexec_b64 s[6:7], s[6:7]
	v_mov_b32_e32 v12, s10
	s_xor_b64 exec, exec, s[6:7]
	s_cbranch_execz .LBB43_142
.LBB43_2192:
	v_mov_b32_e32 v12, 0
	v_cmp_ne_u16_sdwa s[8:9], v11, v12 src0_sel:BYTE_0 src1_sel:DWORD
	s_andn2_b64 s[4:5], s[4:5], exec
	s_and_b64 s[8:9], s[8:9], exec
	s_or_b64 s[4:5], s[4:5], s[8:9]
	s_or_b64 exec, exec, s[6:7]
	s_and_saveexec_b64 s[6:7], s[4:5]
	s_cbranch_execnz .LBB43_143
	s_branch .LBB43_144
.LBB43_2193:
	s_movk_i32 s4, 0x80
	v_cmp_eq_u16_e32 vcc, s4, v11
	s_mov_b64 s[4:5], -1
                                        ; implicit-def: $sgpr10
	s_and_saveexec_b64 s[8:9], vcc
; %bb.2194:
	s_mov_b32 s10, 0x7f800001
	s_xor_b64 s[4:5], exec, -1
; %bb.2195:
	s_or_b64 exec, exec, s[8:9]
	s_and_b64 s[4:5], s[4:5], exec
                                        ; implicit-def: $vgpr11
	s_or_saveexec_b64 s[6:7], s[6:7]
	v_mov_b32_e32 v10, s10
	s_xor_b64 exec, exec, s[6:7]
	s_cbranch_execz .LBB43_146
.LBB43_2196:
	v_cmp_ne_u16_e32 vcc, 0, v11
	s_andn2_b64 s[4:5], s[4:5], exec
	s_and_b64 s[8:9], vcc, exec
	v_mov_b32_e32 v10, 0
	s_or_b64 s[4:5], s[4:5], s[8:9]
	s_or_b64 exec, exec, s[6:7]
	s_and_saveexec_b64 s[6:7], s[4:5]
	s_cbranch_execnz .LBB43_147
	s_branch .LBB43_148
.LBB43_2197:
	s_movk_i32 s4, 0x80
	v_cmp_eq_u16_e32 vcc, s4, v11
	s_mov_b64 s[4:5], -1
                                        ; implicit-def: $sgpr10
	s_and_saveexec_b64 s[8:9], vcc
; %bb.2198:
	s_mov_b32 s10, 0x7f800001
	s_xor_b64 s[4:5], exec, -1
; %bb.2199:
	s_or_b64 exec, exec, s[8:9]
	s_and_b64 s[4:5], s[4:5], exec
                                        ; implicit-def: $vgpr11
	s_or_saveexec_b64 s[6:7], s[6:7]
	v_mov_b32_e32 v12, s10
	s_xor_b64 exec, exec, s[6:7]
	s_cbranch_execz .LBB43_150
.LBB43_2200:
	v_cmp_ne_u16_e32 vcc, 0, v11
	s_andn2_b64 s[4:5], s[4:5], exec
	s_and_b64 s[8:9], vcc, exec
	v_mov_b32_e32 v12, 0
	s_or_b64 s[4:5], s[4:5], s[8:9]
	s_or_b64 exec, exec, s[6:7]
	s_and_saveexec_b64 s[6:7], s[4:5]
	s_cbranch_execnz .LBB43_151
	s_branch .LBB43_152
.LBB43_2201:
	s_movk_i32 s4, 0x80
	v_cmp_eq_u16_sdwa s[12:13], v6, s4 src0_sel:BYTE_3 src1_sel:DWORD
	s_mov_b64 s[4:5], -1
                                        ; implicit-def: $sgpr10
	s_and_saveexec_b64 s[8:9], s[12:13]
; %bb.2202:
	s_mov_b32 s10, 0x7f800001
	s_xor_b64 s[4:5], exec, -1
; %bb.2203:
	s_or_b64 exec, exec, s[8:9]
	s_and_b64 s[4:5], s[4:5], exec
	s_or_saveexec_b64 s[6:7], s[6:7]
	v_mov_b32_e32 v10, s10
	s_xor_b64 exec, exec, s[6:7]
	s_cbranch_execz .LBB43_154
.LBB43_2204:
	v_mov_b32_e32 v10, 0
	v_cmp_ne_u16_sdwa s[8:9], v6, v10 src0_sel:BYTE_3 src1_sel:DWORD
	s_andn2_b64 s[4:5], s[4:5], exec
	s_and_b64 s[8:9], s[8:9], exec
	s_or_b64 s[4:5], s[4:5], s[8:9]
	s_or_b64 exec, exec, s[6:7]
	s_and_saveexec_b64 s[6:7], s[4:5]
	s_cbranch_execnz .LBB43_155
	s_branch .LBB43_156
.LBB43_2205:
	s_movk_i32 s4, 0x80
	v_cmp_eq_u16_sdwa s[12:13], v2, s4 src0_sel:BYTE_3 src1_sel:DWORD
	s_mov_b64 s[4:5], -1
                                        ; implicit-def: $sgpr10
	s_and_saveexec_b64 s[8:9], s[12:13]
; %bb.2206:
	s_mov_b32 s10, 0x7f800001
	s_xor_b64 s[4:5], exec, -1
; %bb.2207:
	s_or_b64 exec, exec, s[8:9]
	s_and_b64 s[4:5], s[4:5], exec
	s_or_saveexec_b64 s[6:7], s[6:7]
	v_mov_b32_e32 v6, s10
	s_xor_b64 exec, exec, s[6:7]
	s_cbranch_execz .LBB43_158
.LBB43_2208:
	v_mov_b32_e32 v6, 0
	v_cmp_ne_u16_sdwa s[8:9], v2, v6 src0_sel:BYTE_3 src1_sel:DWORD
	s_andn2_b64 s[4:5], s[4:5], exec
	s_and_b64 s[8:9], s[8:9], exec
	s_or_b64 s[4:5], s[4:5], s[8:9]
	s_or_b64 exec, exec, s[6:7]
	s_and_saveexec_b64 s[6:7], s[4:5]
	s_cbranch_execnz .LBB43_159
	s_branch .LBB43_160
.LBB43_2209:
	s_movk_i32 s4, 0x80
	v_cmp_eq_u16_sdwa s[12:13], v7, s4 src0_sel:BYTE_0 src1_sel:DWORD
	s_mov_b64 s[4:5], -1
                                        ; implicit-def: $sgpr10
	s_and_saveexec_b64 s[8:9], s[12:13]
; %bb.2210:
	s_mov_b32 s10, 0x7f800001
	s_xor_b64 s[4:5], exec, -1
; %bb.2211:
	s_or_b64 exec, exec, s[8:9]
	s_and_b64 s[4:5], s[4:5], exec
	s_or_saveexec_b64 s[6:7], s[6:7]
	v_mov_b32_e32 v2, s10
	s_xor_b64 exec, exec, s[6:7]
	s_cbranch_execz .LBB43_162
.LBB43_2212:
	v_mov_b32_e32 v2, 0
	v_cmp_ne_u16_sdwa s[8:9], v7, v2 src0_sel:BYTE_0 src1_sel:DWORD
	s_andn2_b64 s[4:5], s[4:5], exec
	s_and_b64 s[8:9], s[8:9], exec
	s_or_b64 s[4:5], s[4:5], s[8:9]
	s_or_b64 exec, exec, s[6:7]
	s_and_saveexec_b64 s[6:7], s[4:5]
	s_cbranch_execnz .LBB43_163
	s_branch .LBB43_164
.LBB43_2213:
	s_movk_i32 s4, 0x80
	v_cmp_eq_u16_sdwa s[12:13], v3, s4 src0_sel:BYTE_0 src1_sel:DWORD
	s_mov_b64 s[4:5], -1
                                        ; implicit-def: $sgpr10
	s_and_saveexec_b64 s[8:9], s[12:13]
; %bb.2214:
	s_mov_b32 s10, 0x7f800001
	s_xor_b64 s[4:5], exec, -1
; %bb.2215:
	s_or_b64 exec, exec, s[8:9]
	s_and_b64 s[4:5], s[4:5], exec
	s_or_saveexec_b64 s[6:7], s[6:7]
	v_mov_b32_e32 v6, s10
	s_xor_b64 exec, exec, s[6:7]
	s_cbranch_execz .LBB43_166
.LBB43_2216:
	v_mov_b32_e32 v6, 0
	v_cmp_ne_u16_sdwa s[8:9], v3, v6 src0_sel:BYTE_0 src1_sel:DWORD
	s_andn2_b64 s[4:5], s[4:5], exec
	s_and_b64 s[8:9], s[8:9], exec
	s_or_b64 s[4:5], s[4:5], s[8:9]
	s_or_b64 exec, exec, s[6:7]
	s_and_saveexec_b64 s[6:7], s[4:5]
	s_cbranch_execnz .LBB43_167
	s_branch .LBB43_168
.LBB43_2217:
	s_movk_i32 s4, 0x80
	v_cmp_eq_u16_sdwa s[12:13], v6, s4 src0_sel:BYTE_0 src1_sel:DWORD
	s_mov_b64 s[4:5], -1
                                        ; implicit-def: $sgpr10
	s_and_saveexec_b64 s[8:9], s[12:13]
; %bb.2218:
	s_mov_b32 s10, 0x7f800001
	s_xor_b64 s[4:5], exec, -1
; %bb.2219:
	s_or_b64 exec, exec, s[8:9]
	s_and_b64 s[4:5], s[4:5], exec
	s_or_saveexec_b64 s[6:7], s[6:7]
	v_mov_b32_e32 v2, s10
	s_xor_b64 exec, exec, s[6:7]
	s_cbranch_execz .LBB43_170
.LBB43_2220:
	v_mov_b32_e32 v2, 0
	v_cmp_ne_u16_sdwa s[8:9], v6, v2 src0_sel:BYTE_0 src1_sel:DWORD
	s_andn2_b64 s[4:5], s[4:5], exec
	s_and_b64 s[8:9], s[8:9], exec
	s_or_b64 s[4:5], s[4:5], s[8:9]
	s_or_b64 exec, exec, s[6:7]
	s_and_saveexec_b64 s[6:7], s[4:5]
	s_cbranch_execnz .LBB43_171
	s_branch .LBB43_172
.LBB43_2221:
	s_movk_i32 s4, 0x80
	v_cmp_eq_u16_sdwa s[12:13], v6, s4 src0_sel:BYTE_0 src1_sel:DWORD
	s_mov_b64 s[4:5], -1
                                        ; implicit-def: $sgpr10
	s_and_saveexec_b64 s[8:9], s[12:13]
; %bb.2222:
	s_mov_b32 s10, 0x7f800001
	s_xor_b64 s[4:5], exec, -1
; %bb.2223:
	s_or_b64 exec, exec, s[8:9]
	s_and_b64 s[4:5], s[4:5], exec
	s_or_saveexec_b64 s[6:7], s[6:7]
	v_mov_b32_e32 v10, s10
	s_xor_b64 exec, exec, s[6:7]
	s_cbranch_execz .LBB43_174
.LBB43_2224:
	v_mov_b32_e32 v10, 0
	v_cmp_ne_u16_sdwa s[8:9], v6, v10 src0_sel:BYTE_0 src1_sel:DWORD
	s_andn2_b64 s[4:5], s[4:5], exec
	s_and_b64 s[8:9], s[8:9], exec
	s_or_b64 s[4:5], s[4:5], s[8:9]
	s_or_b64 exec, exec, s[6:7]
	s_and_saveexec_b64 s[6:7], s[4:5]
	s_cbranch_execnz .LBB43_175
	s_branch .LBB43_176
.LBB43_2225:
	s_movk_i32 s4, 0x80
	v_cmp_eq_u16_e32 vcc, s4, v6
	s_mov_b64 s[4:5], -1
                                        ; implicit-def: $sgpr10
	s_and_saveexec_b64 s[8:9], vcc
; %bb.2226:
	s_mov_b32 s10, 0x7f800001
	s_xor_b64 s[4:5], exec, -1
; %bb.2227:
	s_or_b64 exec, exec, s[8:9]
	s_and_b64 s[4:5], s[4:5], exec
                                        ; implicit-def: $vgpr6
	s_or_saveexec_b64 s[6:7], s[6:7]
	v_mov_b32_e32 v2, s10
	s_xor_b64 exec, exec, s[6:7]
	s_cbranch_execz .LBB43_178
.LBB43_2228:
	v_cmp_ne_u16_e32 vcc, 0, v6
	s_andn2_b64 s[4:5], s[4:5], exec
	s_and_b64 s[8:9], vcc, exec
	v_mov_b32_e32 v2, 0
	s_or_b64 s[4:5], s[4:5], s[8:9]
	s_or_b64 exec, exec, s[6:7]
	s_and_saveexec_b64 s[6:7], s[4:5]
	s_cbranch_execnz .LBB43_179
	s_branch .LBB43_180
.LBB43_2229:
	s_movk_i32 s4, 0x80
	v_cmp_eq_u16_e32 vcc, s4, v6
	s_mov_b64 s[4:5], -1
                                        ; implicit-def: $sgpr10
	s_and_saveexec_b64 s[8:9], vcc
; %bb.2230:
	s_mov_b32 s10, 0x7f800001
	s_xor_b64 s[4:5], exec, -1
; %bb.2231:
	s_or_b64 exec, exec, s[8:9]
	s_and_b64 s[4:5], s[4:5], exec
                                        ; implicit-def: $vgpr6
	s_or_saveexec_b64 s[6:7], s[6:7]
	v_mov_b32_e32 v10, s10
	s_xor_b64 exec, exec, s[6:7]
	s_cbranch_execz .LBB43_182
.LBB43_2232:
	v_cmp_ne_u16_e32 vcc, 0, v6
	s_andn2_b64 s[4:5], s[4:5], exec
	s_and_b64 s[8:9], vcc, exec
	v_mov_b32_e32 v10, 0
	s_or_b64 s[4:5], s[4:5], s[8:9]
	s_or_b64 exec, exec, s[6:7]
	s_and_saveexec_b64 s[6:7], s[4:5]
	s_cbranch_execnz .LBB43_183
	s_branch .LBB43_184
.LBB43_2233:
	s_movk_i32 s4, 0x80
	v_cmp_eq_u16_sdwa s[12:13], v7, s4 src0_sel:BYTE_3 src1_sel:DWORD
	s_mov_b64 s[4:5], -1
                                        ; implicit-def: $sgpr10
	s_and_saveexec_b64 s[8:9], s[12:13]
; %bb.2234:
	s_mov_b32 s10, 0x7f800001
	s_xor_b64 s[4:5], exec, -1
; %bb.2235:
	s_or_b64 exec, exec, s[8:9]
	s_and_b64 s[4:5], s[4:5], exec
	s_or_saveexec_b64 s[6:7], s[6:7]
	v_mov_b32_e32 v2, s10
	s_xor_b64 exec, exec, s[6:7]
	s_cbranch_execz .LBB43_186
.LBB43_2236:
	v_mov_b32_e32 v2, 0
	v_cmp_ne_u16_sdwa s[8:9], v7, v2 src0_sel:BYTE_3 src1_sel:DWORD
	s_andn2_b64 s[4:5], s[4:5], exec
	s_and_b64 s[8:9], s[8:9], exec
	s_or_b64 s[4:5], s[4:5], s[8:9]
	s_or_b64 exec, exec, s[6:7]
	s_and_saveexec_b64 s[6:7], s[4:5]
	s_cbranch_execnz .LBB43_187
	s_branch .LBB43_188
.LBB43_2237:
	s_movk_i32 s4, 0x80
	v_cmp_eq_u16_sdwa s[12:13], v3, s4 src0_sel:BYTE_3 src1_sel:DWORD
	s_mov_b64 s[4:5], -1
                                        ; implicit-def: $sgpr10
	s_and_saveexec_b64 s[8:9], s[12:13]
; %bb.2238:
	s_mov_b32 s10, 0x7f800001
	s_xor_b64 s[4:5], exec, -1
; %bb.2239:
	s_or_b64 exec, exec, s[8:9]
	s_and_b64 s[4:5], s[4:5], exec
	s_or_saveexec_b64 s[6:7], s[6:7]
	v_mov_b32_e32 v6, s10
	s_xor_b64 exec, exec, s[6:7]
	s_cbranch_execz .LBB43_190
.LBB43_2240:
	v_mov_b32_e32 v6, 0
	v_cmp_ne_u16_sdwa s[8:9], v3, v6 src0_sel:BYTE_3 src1_sel:DWORD
	s_andn2_b64 s[4:5], s[4:5], exec
	s_and_b64 s[8:9], s[8:9], exec
	s_or_b64 s[4:5], s[4:5], s[8:9]
	s_or_b64 exec, exec, s[6:7]
	s_and_saveexec_b64 s[6:7], s[4:5]
	s_cbranch_execnz .LBB43_191
	s_branch .LBB43_192
.LBB43_2241:
	s_movk_i32 s4, 0x80
	v_cmp_eq_u16_sdwa s[12:13], v8, s4 src0_sel:BYTE_0 src1_sel:DWORD
	s_mov_b64 s[4:5], -1
                                        ; implicit-def: $sgpr10
	s_and_saveexec_b64 s[8:9], s[12:13]
; %bb.2242:
	s_mov_b32 s10, 0x7f800001
	s_xor_b64 s[4:5], exec, -1
; %bb.2243:
	s_or_b64 exec, exec, s[8:9]
	s_and_b64 s[4:5], s[4:5], exec
	s_or_saveexec_b64 s[6:7], s[6:7]
	v_mov_b32_e32 v2, s10
	s_xor_b64 exec, exec, s[6:7]
	s_cbranch_execz .LBB43_194
.LBB43_2244:
	v_mov_b32_e32 v2, 0
	v_cmp_ne_u16_sdwa s[8:9], v8, v2 src0_sel:BYTE_0 src1_sel:DWORD
	s_andn2_b64 s[4:5], s[4:5], exec
	s_and_b64 s[8:9], s[8:9], exec
	s_or_b64 s[4:5], s[4:5], s[8:9]
	s_or_b64 exec, exec, s[6:7]
	s_and_saveexec_b64 s[6:7], s[4:5]
	s_cbranch_execnz .LBB43_195
	s_branch .LBB43_196
.LBB43_2245:
	s_movk_i32 s4, 0x80
	v_cmp_eq_u16_sdwa s[12:13], v4, s4 src0_sel:BYTE_0 src1_sel:DWORD
	s_mov_b64 s[4:5], -1
                                        ; implicit-def: $sgpr10
	s_and_saveexec_b64 s[8:9], s[12:13]
; %bb.2246:
	s_mov_b32 s10, 0x7f800001
	s_xor_b64 s[4:5], exec, -1
; %bb.2247:
	s_or_b64 exec, exec, s[8:9]
	s_and_b64 s[4:5], s[4:5], exec
	s_or_saveexec_b64 s[6:7], s[6:7]
	v_mov_b32_e32 v3, s10
	s_xor_b64 exec, exec, s[6:7]
	s_cbranch_execz .LBB43_198
.LBB43_2248:
	v_mov_b32_e32 v3, 0
	v_cmp_ne_u16_sdwa s[8:9], v4, v3 src0_sel:BYTE_0 src1_sel:DWORD
	s_andn2_b64 s[4:5], s[4:5], exec
	s_and_b64 s[8:9], s[8:9], exec
	s_or_b64 s[4:5], s[4:5], s[8:9]
	s_or_b64 exec, exec, s[6:7]
	s_and_saveexec_b64 s[6:7], s[4:5]
	s_cbranch_execnz .LBB43_199
	s_branch .LBB43_200
.LBB43_2249:
	s_movk_i32 s4, 0x80
	v_cmp_eq_u16_sdwa s[12:13], v3, s4 src0_sel:BYTE_0 src1_sel:DWORD
	s_mov_b64 s[4:5], -1
                                        ; implicit-def: $sgpr10
	s_and_saveexec_b64 s[8:9], s[12:13]
; %bb.2250:
	s_mov_b32 s10, 0x7f800001
	s_xor_b64 s[4:5], exec, -1
; %bb.2251:
	s_or_b64 exec, exec, s[8:9]
	s_and_b64 s[4:5], s[4:5], exec
	s_or_saveexec_b64 s[6:7], s[6:7]
	v_mov_b32_e32 v2, s10
	s_xor_b64 exec, exec, s[6:7]
	s_cbranch_execz .LBB43_202
.LBB43_2252:
	v_mov_b32_e32 v2, 0
	v_cmp_ne_u16_sdwa s[8:9], v3, v2 src0_sel:BYTE_0 src1_sel:DWORD
	s_andn2_b64 s[4:5], s[4:5], exec
	s_and_b64 s[8:9], s[8:9], exec
	s_or_b64 s[4:5], s[4:5], s[8:9]
	s_or_b64 exec, exec, s[6:7]
	s_and_saveexec_b64 s[6:7], s[4:5]
	s_cbranch_execnz .LBB43_203
	s_branch .LBB43_204
.LBB43_2253:
	s_movk_i32 s4, 0x80
	v_cmp_eq_u16_sdwa s[12:13], v3, s4 src0_sel:BYTE_0 src1_sel:DWORD
	s_mov_b64 s[4:5], -1
                                        ; implicit-def: $sgpr10
	s_and_saveexec_b64 s[8:9], s[12:13]
; %bb.2254:
	s_mov_b32 s10, 0x7f800001
	s_xor_b64 s[4:5], exec, -1
; %bb.2255:
	s_or_b64 exec, exec, s[8:9]
	s_and_b64 s[4:5], s[4:5], exec
	s_or_saveexec_b64 s[6:7], s[6:7]
	v_mov_b32_e32 v6, s10
	s_xor_b64 exec, exec, s[6:7]
	s_cbranch_execz .LBB43_206
.LBB43_2256:
	v_mov_b32_e32 v6, 0
	v_cmp_ne_u16_sdwa s[8:9], v3, v6 src0_sel:BYTE_0 src1_sel:DWORD
	s_andn2_b64 s[4:5], s[4:5], exec
	s_and_b64 s[8:9], s[8:9], exec
	s_or_b64 s[4:5], s[4:5], s[8:9]
	s_or_b64 exec, exec, s[6:7]
	s_and_saveexec_b64 s[6:7], s[4:5]
	s_cbranch_execnz .LBB43_207
	s_branch .LBB43_208
.LBB43_2257:
	s_movk_i32 s4, 0x80
	v_cmp_eq_u16_e32 vcc, s4, v3
	s_mov_b64 s[4:5], -1
                                        ; implicit-def: $sgpr10
	s_and_saveexec_b64 s[8:9], vcc
; %bb.2258:
	s_mov_b32 s10, 0x7f800001
	s_xor_b64 s[4:5], exec, -1
; %bb.2259:
	s_or_b64 exec, exec, s[8:9]
	s_and_b64 s[4:5], s[4:5], exec
                                        ; implicit-def: $vgpr3
	s_or_saveexec_b64 s[6:7], s[6:7]
	v_mov_b32_e32 v2, s10
	s_xor_b64 exec, exec, s[6:7]
	s_cbranch_execz .LBB43_210
.LBB43_2260:
	v_cmp_ne_u16_e32 vcc, 0, v3
	s_andn2_b64 s[4:5], s[4:5], exec
	s_and_b64 s[8:9], vcc, exec
	v_mov_b32_e32 v2, 0
	s_or_b64 s[4:5], s[4:5], s[8:9]
	s_or_b64 exec, exec, s[6:7]
	s_and_saveexec_b64 s[6:7], s[4:5]
	s_cbranch_execnz .LBB43_211
	s_branch .LBB43_212
.LBB43_2261:
	s_movk_i32 s4, 0x80
	v_cmp_eq_u16_e32 vcc, s4, v3
	s_mov_b64 s[4:5], -1
                                        ; implicit-def: $sgpr10
	s_and_saveexec_b64 s[8:9], vcc
; %bb.2262:
	s_mov_b32 s10, 0x7f800001
	s_xor_b64 s[4:5], exec, -1
; %bb.2263:
	s_or_b64 exec, exec, s[8:9]
	s_and_b64 s[4:5], s[4:5], exec
                                        ; implicit-def: $vgpr3
	s_or_saveexec_b64 s[6:7], s[6:7]
	v_mov_b32_e32 v6, s10
	s_xor_b64 exec, exec, s[6:7]
	s_cbranch_execz .LBB43_214
.LBB43_2264:
	v_cmp_ne_u16_e32 vcc, 0, v3
	s_andn2_b64 s[4:5], s[4:5], exec
	s_and_b64 s[8:9], vcc, exec
	v_mov_b32_e32 v6, 0
	s_or_b64 s[4:5], s[4:5], s[8:9]
	s_or_b64 exec, exec, s[6:7]
	s_and_saveexec_b64 s[6:7], s[4:5]
	s_cbranch_execnz .LBB43_215
	s_branch .LBB43_216
.LBB43_2265:
	s_movk_i32 s4, 0x80
	v_cmp_eq_u16_sdwa s[12:13], v8, s4 src0_sel:BYTE_3 src1_sel:DWORD
	s_mov_b64 s[4:5], -1
                                        ; implicit-def: $sgpr10
	s_and_saveexec_b64 s[8:9], s[12:13]
; %bb.2266:
	s_mov_b32 s10, 0x7f800001
	s_xor_b64 s[4:5], exec, -1
; %bb.2267:
	s_or_b64 exec, exec, s[8:9]
	s_and_b64 s[4:5], s[4:5], exec
	s_or_saveexec_b64 s[6:7], s[6:7]
	v_mov_b32_e32 v2, s10
	s_xor_b64 exec, exec, s[6:7]
	s_cbranch_execz .LBB43_218
.LBB43_2268:
	v_mov_b32_e32 v2, 0
	v_cmp_ne_u16_sdwa s[8:9], v8, v2 src0_sel:BYTE_3 src1_sel:DWORD
	s_andn2_b64 s[4:5], s[4:5], exec
	s_and_b64 s[8:9], s[8:9], exec
	s_or_b64 s[4:5], s[4:5], s[8:9]
	s_or_b64 exec, exec, s[6:7]
	s_and_saveexec_b64 s[6:7], s[4:5]
	s_cbranch_execnz .LBB43_219
	s_branch .LBB43_220
.LBB43_2269:
	s_movk_i32 s4, 0x80
	v_cmp_eq_u16_sdwa s[12:13], v4, s4 src0_sel:BYTE_3 src1_sel:DWORD
	s_mov_b64 s[4:5], -1
                                        ; implicit-def: $sgpr10
	s_and_saveexec_b64 s[8:9], s[12:13]
; %bb.2270:
	s_mov_b32 s10, 0x7f800001
	s_xor_b64 s[4:5], exec, -1
; %bb.2271:
	s_or_b64 exec, exec, s[8:9]
	s_and_b64 s[4:5], s[4:5], exec
	s_or_saveexec_b64 s[6:7], s[6:7]
	v_mov_b32_e32 v3, s10
	s_xor_b64 exec, exec, s[6:7]
	s_cbranch_execz .LBB43_222
.LBB43_2272:
	v_mov_b32_e32 v3, 0
	v_cmp_ne_u16_sdwa s[8:9], v4, v3 src0_sel:BYTE_3 src1_sel:DWORD
	s_andn2_b64 s[4:5], s[4:5], exec
	s_and_b64 s[8:9], s[8:9], exec
	s_or_b64 s[4:5], s[4:5], s[8:9]
	s_or_b64 exec, exec, s[6:7]
	s_and_saveexec_b64 s[6:7], s[4:5]
	s_cbranch_execnz .LBB43_223
	s_branch .LBB43_224
.LBB43_2273:
	s_movk_i32 s4, 0x80
	v_cmp_eq_u16_sdwa s[12:13], v9, s4 src0_sel:BYTE_0 src1_sel:DWORD
	s_mov_b64 s[4:5], -1
                                        ; implicit-def: $sgpr10
	s_and_saveexec_b64 s[8:9], s[12:13]
; %bb.2274:
	s_mov_b32 s10, 0x7f800001
	s_xor_b64 s[4:5], exec, -1
; %bb.2275:
	s_or_b64 exec, exec, s[8:9]
	s_and_b64 s[4:5], s[4:5], exec
	s_or_saveexec_b64 s[6:7], s[6:7]
	v_mov_b32_e32 v2, s10
	s_xor_b64 exec, exec, s[6:7]
	s_cbranch_execz .LBB43_226
.LBB43_2276:
	v_mov_b32_e32 v2, 0
	v_cmp_ne_u16_sdwa s[8:9], v9, v2 src0_sel:BYTE_0 src1_sel:DWORD
	s_andn2_b64 s[4:5], s[4:5], exec
	s_and_b64 s[8:9], s[8:9], exec
	s_or_b64 s[4:5], s[4:5], s[8:9]
	s_or_b64 exec, exec, s[6:7]
	s_and_saveexec_b64 s[6:7], s[4:5]
	s_cbranch_execnz .LBB43_227
	s_branch .LBB43_228
.LBB43_2277:
	s_movk_i32 s4, 0x80
	v_cmp_eq_u16_sdwa s[12:13], v5, s4 src0_sel:BYTE_0 src1_sel:DWORD
	s_mov_b64 s[4:5], -1
                                        ; implicit-def: $sgpr10
	s_and_saveexec_b64 s[8:9], s[12:13]
; %bb.2278:
	s_mov_b32 s10, 0x7f800001
	s_xor_b64 s[4:5], exec, -1
; %bb.2279:
	s_or_b64 exec, exec, s[8:9]
	s_and_b64 s[4:5], s[4:5], exec
	s_or_saveexec_b64 s[6:7], s[6:7]
	v_mov_b32_e32 v3, s10
	s_xor_b64 exec, exec, s[6:7]
	s_cbranch_execz .LBB43_230
.LBB43_2280:
	v_mov_b32_e32 v3, 0
	v_cmp_ne_u16_sdwa s[8:9], v5, v3 src0_sel:BYTE_0 src1_sel:DWORD
	s_andn2_b64 s[4:5], s[4:5], exec
	s_and_b64 s[8:9], s[8:9], exec
	s_or_b64 s[4:5], s[4:5], s[8:9]
	s_or_b64 exec, exec, s[6:7]
	s_and_saveexec_b64 s[6:7], s[4:5]
	s_cbranch_execnz .LBB43_231
	s_branch .LBB43_232
.LBB43_2281:
	s_movk_i32 s4, 0x80
	v_cmp_eq_u16_sdwa s[12:13], v3, s4 src0_sel:BYTE_0 src1_sel:DWORD
	s_mov_b64 s[4:5], -1
                                        ; implicit-def: $sgpr10
	s_and_saveexec_b64 s[8:9], s[12:13]
; %bb.2282:
	s_mov_b32 s10, 0x7f800001
	s_xor_b64 s[4:5], exec, -1
; %bb.2283:
	s_or_b64 exec, exec, s[8:9]
	s_and_b64 s[4:5], s[4:5], exec
	s_or_saveexec_b64 s[6:7], s[6:7]
	v_mov_b32_e32 v2, s10
	s_xor_b64 exec, exec, s[6:7]
	s_cbranch_execz .LBB43_234
.LBB43_2284:
	v_mov_b32_e32 v2, 0
	v_cmp_ne_u16_sdwa s[8:9], v3, v2 src0_sel:BYTE_0 src1_sel:DWORD
	s_andn2_b64 s[4:5], s[4:5], exec
	s_and_b64 s[8:9], s[8:9], exec
	s_or_b64 s[4:5], s[4:5], s[8:9]
	s_or_b64 exec, exec, s[6:7]
	s_and_saveexec_b64 s[6:7], s[4:5]
	s_cbranch_execnz .LBB43_235
	s_branch .LBB43_236
.LBB43_2285:
	s_movk_i32 s4, 0x80
	v_cmp_eq_u16_sdwa s[12:13], v3, s4 src0_sel:BYTE_0 src1_sel:DWORD
	s_mov_b64 s[4:5], -1
                                        ; implicit-def: $sgpr10
	s_and_saveexec_b64 s[8:9], s[12:13]
; %bb.2286:
	s_mov_b32 s10, 0x7f800001
	s_xor_b64 s[4:5], exec, -1
; %bb.2287:
	s_or_b64 exec, exec, s[8:9]
	s_and_b64 s[4:5], s[4:5], exec
	s_or_saveexec_b64 s[6:7], s[6:7]
	v_mov_b32_e32 v4, s10
	s_xor_b64 exec, exec, s[6:7]
	s_cbranch_execz .LBB43_238
.LBB43_2288:
	v_mov_b32_e32 v4, 0
	v_cmp_ne_u16_sdwa s[8:9], v3, v4 src0_sel:BYTE_0 src1_sel:DWORD
	s_andn2_b64 s[4:5], s[4:5], exec
	s_and_b64 s[8:9], s[8:9], exec
	s_or_b64 s[4:5], s[4:5], s[8:9]
	s_or_b64 exec, exec, s[6:7]
	s_and_saveexec_b64 s[6:7], s[4:5]
	s_cbranch_execnz .LBB43_239
	s_branch .LBB43_240
.LBB43_2289:
	s_movk_i32 s4, 0x80
	v_cmp_eq_u16_e32 vcc, s4, v3
	s_mov_b64 s[4:5], -1
                                        ; implicit-def: $sgpr10
	s_and_saveexec_b64 s[8:9], vcc
; %bb.2290:
	s_mov_b32 s10, 0x7f800001
	s_xor_b64 s[4:5], exec, -1
; %bb.2291:
	s_or_b64 exec, exec, s[8:9]
	s_and_b64 s[4:5], s[4:5], exec
                                        ; implicit-def: $vgpr3
	s_or_saveexec_b64 s[6:7], s[6:7]
	v_mov_b32_e32 v2, s10
	s_xor_b64 exec, exec, s[6:7]
	s_cbranch_execz .LBB43_242
.LBB43_2292:
	v_cmp_ne_u16_e32 vcc, 0, v3
	s_andn2_b64 s[4:5], s[4:5], exec
	s_and_b64 s[8:9], vcc, exec
	v_mov_b32_e32 v2, 0
	s_or_b64 s[4:5], s[4:5], s[8:9]
	s_or_b64 exec, exec, s[6:7]
	s_and_saveexec_b64 s[6:7], s[4:5]
	s_cbranch_execnz .LBB43_243
	s_branch .LBB43_244
.LBB43_2293:
	s_movk_i32 s4, 0x80
	v_cmp_eq_u16_e32 vcc, s4, v3
	s_mov_b64 s[4:5], -1
                                        ; implicit-def: $sgpr10
	s_and_saveexec_b64 s[8:9], vcc
; %bb.2294:
	s_mov_b32 s10, 0x7f800001
	s_xor_b64 s[4:5], exec, -1
; %bb.2295:
	s_or_b64 exec, exec, s[8:9]
	s_and_b64 s[4:5], s[4:5], exec
                                        ; implicit-def: $vgpr3
	s_or_saveexec_b64 s[6:7], s[6:7]
	v_mov_b32_e32 v4, s10
	s_xor_b64 exec, exec, s[6:7]
	s_cbranch_execz .LBB43_246
.LBB43_2296:
	v_cmp_ne_u16_e32 vcc, 0, v3
	s_andn2_b64 s[4:5], s[4:5], exec
	s_and_b64 s[8:9], vcc, exec
	v_mov_b32_e32 v4, 0
	s_or_b64 s[4:5], s[4:5], s[8:9]
	s_or_b64 exec, exec, s[6:7]
	s_and_saveexec_b64 s[6:7], s[4:5]
	s_cbranch_execnz .LBB43_247
	s_branch .LBB43_248
.LBB43_2297:
	s_movk_i32 s4, 0x80
	v_cmp_eq_u16_sdwa s[12:13], v9, s4 src0_sel:BYTE_3 src1_sel:DWORD
	s_mov_b64 s[4:5], -1
                                        ; implicit-def: $sgpr10
	s_and_saveexec_b64 s[8:9], s[12:13]
; %bb.2298:
	s_mov_b32 s10, 0x7f800001
	s_xor_b64 s[4:5], exec, -1
; %bb.2299:
	s_or_b64 exec, exec, s[8:9]
	s_and_b64 s[4:5], s[4:5], exec
	s_or_saveexec_b64 s[6:7], s[6:7]
	v_mov_b32_e32 v2, s10
	s_xor_b64 exec, exec, s[6:7]
	s_cbranch_execz .LBB43_250
.LBB43_2300:
	v_mov_b32_e32 v2, 0
	v_cmp_ne_u16_sdwa s[8:9], v9, v2 src0_sel:BYTE_3 src1_sel:DWORD
	s_andn2_b64 s[4:5], s[4:5], exec
	s_and_b64 s[8:9], s[8:9], exec
	s_or_b64 s[4:5], s[4:5], s[8:9]
	s_or_b64 exec, exec, s[6:7]
	s_and_saveexec_b64 s[6:7], s[4:5]
	s_cbranch_execnz .LBB43_251
	s_branch .LBB43_252
.LBB43_2301:
	s_movk_i32 s4, 0x80
	v_cmp_eq_u16_sdwa s[12:13], v5, s4 src0_sel:BYTE_3 src1_sel:DWORD
	s_mov_b64 s[4:5], -1
                                        ; implicit-def: $sgpr10
	s_and_saveexec_b64 s[8:9], s[12:13]
; %bb.2302:
	s_mov_b32 s10, 0x7f800001
	s_xor_b64 s[4:5], exec, -1
; %bb.2303:
	s_or_b64 exec, exec, s[8:9]
	s_and_b64 s[4:5], s[4:5], exec
	s_or_saveexec_b64 s[6:7], s[6:7]
	v_mov_b32_e32 v3, s10
	s_xor_b64 exec, exec, s[6:7]
	s_cbranch_execz .LBB43_254
.LBB43_2304:
	v_mov_b32_e32 v3, 0
	v_cmp_ne_u16_sdwa s[8:9], v5, v3 src0_sel:BYTE_3 src1_sel:DWORD
	s_andn2_b64 s[4:5], s[4:5], exec
	s_and_b64 s[8:9], s[8:9], exec
	s_or_b64 s[4:5], s[4:5], s[8:9]
	s_or_b64 exec, exec, s[6:7]
	s_and_saveexec_b64 s[6:7], s[4:5]
	s_cbranch_execnz .LBB43_255
	s_branch .LBB43_256
.LBB43_2305:
	s_movk_i32 s4, 0x80
	v_cmp_eq_u16_sdwa s[12:13], v14, s4 src0_sel:BYTE_0 src1_sel:DWORD
	s_mov_b64 s[4:5], -1
                                        ; implicit-def: $sgpr10
	s_and_saveexec_b64 s[8:9], s[12:13]
; %bb.2306:
	s_mov_b32 s10, 0x7f800001
	s_xor_b64 s[4:5], exec, -1
; %bb.2307:
	s_or_b64 exec, exec, s[8:9]
	s_and_b64 s[4:5], s[4:5], exec
	s_or_saveexec_b64 s[6:7], s[6:7]
	v_mov_b32_e32 v20, s10
	s_xor_b64 exec, exec, s[6:7]
	s_cbranch_execz .LBB43_258
.LBB43_2308:
	v_mov_b32_e32 v20, 0
	v_cmp_ne_u16_sdwa s[8:9], v14, v20 src0_sel:BYTE_0 src1_sel:DWORD
	s_andn2_b64 s[4:5], s[4:5], exec
	s_and_b64 s[8:9], s[8:9], exec
	s_or_b64 s[4:5], s[4:5], s[8:9]
	s_or_b64 exec, exec, s[6:7]
	s_and_saveexec_b64 s[6:7], s[4:5]
	s_cbranch_execnz .LBB43_259
	s_branch .LBB43_260
.LBB43_2309:
	s_movk_i32 s4, 0x80
	v_cmp_eq_u16_sdwa s[12:13], v10, s4 src0_sel:BYTE_0 src1_sel:DWORD
	s_mov_b64 s[4:5], -1
                                        ; implicit-def: $sgpr10
	s_and_saveexec_b64 s[8:9], s[12:13]
; %bb.2310:
	s_mov_b32 s10, 0x7f800001
	s_xor_b64 s[4:5], exec, -1
; %bb.2311:
	s_or_b64 exec, exec, s[8:9]
	s_and_b64 s[4:5], s[4:5], exec
	s_or_saveexec_b64 s[6:7], s[6:7]
	v_mov_b32_e32 v21, s10
	s_xor_b64 exec, exec, s[6:7]
	s_cbranch_execz .LBB43_262
.LBB43_2312:
	v_mov_b32_e32 v21, 0
	v_cmp_ne_u16_sdwa s[8:9], v10, v21 src0_sel:BYTE_0 src1_sel:DWORD
	s_andn2_b64 s[4:5], s[4:5], exec
	s_and_b64 s[8:9], s[8:9], exec
	s_or_b64 s[4:5], s[4:5], s[8:9]
	s_or_b64 exec, exec, s[6:7]
	s_and_saveexec_b64 s[6:7], s[4:5]
	s_cbranch_execnz .LBB43_263
	s_branch .LBB43_264
.LBB43_2313:
	s_movk_i32 s4, 0x80
	v_cmp_eq_u16_sdwa s[12:13], v21, s4 src0_sel:BYTE_0 src1_sel:DWORD
	s_mov_b64 s[4:5], -1
                                        ; implicit-def: $sgpr10
	s_and_saveexec_b64 s[8:9], s[12:13]
; %bb.2314:
	s_mov_b32 s10, 0x7f800001
	s_xor_b64 s[4:5], exec, -1
; %bb.2315:
	s_or_b64 exec, exec, s[8:9]
	s_and_b64 s[4:5], s[4:5], exec
	s_or_saveexec_b64 s[6:7], s[6:7]
	v_mov_b32_e32 v20, s10
	s_xor_b64 exec, exec, s[6:7]
	s_cbranch_execz .LBB43_266
.LBB43_2316:
	v_mov_b32_e32 v20, 0
	v_cmp_ne_u16_sdwa s[8:9], v21, v20 src0_sel:BYTE_0 src1_sel:DWORD
	s_andn2_b64 s[4:5], s[4:5], exec
	s_and_b64 s[8:9], s[8:9], exec
	s_or_b64 s[4:5], s[4:5], s[8:9]
	s_or_b64 exec, exec, s[6:7]
	s_and_saveexec_b64 s[6:7], s[4:5]
	s_cbranch_execnz .LBB43_267
	s_branch .LBB43_268
.LBB43_2317:
	s_movk_i32 s4, 0x80
	v_cmp_eq_u16_sdwa s[12:13], v21, s4 src0_sel:BYTE_0 src1_sel:DWORD
	s_mov_b64 s[4:5], -1
                                        ; implicit-def: $sgpr10
	s_and_saveexec_b64 s[8:9], s[12:13]
; %bb.2318:
	s_mov_b32 s10, 0x7f800001
	s_xor_b64 s[4:5], exec, -1
; %bb.2319:
	s_or_b64 exec, exec, s[8:9]
	s_and_b64 s[4:5], s[4:5], exec
	s_or_saveexec_b64 s[6:7], s[6:7]
	v_mov_b32_e32 v22, s10
	s_xor_b64 exec, exec, s[6:7]
	s_cbranch_execz .LBB43_270
.LBB43_2320:
	v_mov_b32_e32 v22, 0
	v_cmp_ne_u16_sdwa s[8:9], v21, v22 src0_sel:BYTE_0 src1_sel:DWORD
	s_andn2_b64 s[4:5], s[4:5], exec
	s_and_b64 s[8:9], s[8:9], exec
	s_or_b64 s[4:5], s[4:5], s[8:9]
	s_or_b64 exec, exec, s[6:7]
	s_and_saveexec_b64 s[6:7], s[4:5]
	s_cbranch_execnz .LBB43_271
	s_branch .LBB43_272
.LBB43_2321:
	s_movk_i32 s4, 0x80
	v_cmp_eq_u16_e32 vcc, s4, v21
	s_mov_b64 s[4:5], -1
                                        ; implicit-def: $sgpr10
	s_and_saveexec_b64 s[8:9], vcc
; %bb.2322:
	s_mov_b32 s10, 0x7f800001
	s_xor_b64 s[4:5], exec, -1
; %bb.2323:
	s_or_b64 exec, exec, s[8:9]
	s_and_b64 s[4:5], s[4:5], exec
                                        ; implicit-def: $vgpr21
	s_or_saveexec_b64 s[6:7], s[6:7]
	v_mov_b32_e32 v20, s10
	s_xor_b64 exec, exec, s[6:7]
	s_cbranch_execz .LBB43_274
.LBB43_2324:
	v_cmp_ne_u16_e32 vcc, 0, v21
	s_andn2_b64 s[4:5], s[4:5], exec
	s_and_b64 s[8:9], vcc, exec
	v_mov_b32_e32 v20, 0
	s_or_b64 s[4:5], s[4:5], s[8:9]
	s_or_b64 exec, exec, s[6:7]
	s_and_saveexec_b64 s[6:7], s[4:5]
	s_cbranch_execnz .LBB43_275
	s_branch .LBB43_276
.LBB43_2325:
	s_movk_i32 s4, 0x80
	v_cmp_eq_u16_e32 vcc, s4, v21
	s_mov_b64 s[4:5], -1
                                        ; implicit-def: $sgpr10
	s_and_saveexec_b64 s[8:9], vcc
; %bb.2326:
	s_mov_b32 s10, 0x7f800001
	s_xor_b64 s[4:5], exec, -1
; %bb.2327:
	s_or_b64 exec, exec, s[8:9]
	s_and_b64 s[4:5], s[4:5], exec
                                        ; implicit-def: $vgpr21
	s_or_saveexec_b64 s[6:7], s[6:7]
	v_mov_b32_e32 v22, s10
	s_xor_b64 exec, exec, s[6:7]
	s_cbranch_execz .LBB43_278
.LBB43_2328:
	v_cmp_ne_u16_e32 vcc, 0, v21
	s_andn2_b64 s[4:5], s[4:5], exec
	s_and_b64 s[8:9], vcc, exec
	v_mov_b32_e32 v22, 0
	s_or_b64 s[4:5], s[4:5], s[8:9]
	s_or_b64 exec, exec, s[6:7]
	s_and_saveexec_b64 s[6:7], s[4:5]
	s_cbranch_execnz .LBB43_279
	s_branch .LBB43_280
.LBB43_2329:
	s_movk_i32 s4, 0x80
	v_cmp_eq_u16_sdwa s[12:13], v14, s4 src0_sel:BYTE_3 src1_sel:DWORD
	s_mov_b64 s[4:5], -1
                                        ; implicit-def: $sgpr10
	s_and_saveexec_b64 s[8:9], s[12:13]
; %bb.2330:
	s_mov_b32 s10, 0x7f800001
	s_xor_b64 s[4:5], exec, -1
; %bb.2331:
	s_or_b64 exec, exec, s[8:9]
	s_and_b64 s[4:5], s[4:5], exec
	s_or_saveexec_b64 s[6:7], s[6:7]
	v_mov_b32_e32 v20, s10
	s_xor_b64 exec, exec, s[6:7]
	s_cbranch_execz .LBB43_282
.LBB43_2332:
	v_mov_b32_e32 v20, 0
	v_cmp_ne_u16_sdwa s[8:9], v14, v20 src0_sel:BYTE_3 src1_sel:DWORD
	s_andn2_b64 s[4:5], s[4:5], exec
	s_and_b64 s[8:9], s[8:9], exec
	s_or_b64 s[4:5], s[4:5], s[8:9]
	s_or_b64 exec, exec, s[6:7]
	s_and_saveexec_b64 s[6:7], s[4:5]
	s_cbranch_execnz .LBB43_283
	s_branch .LBB43_284
.LBB43_2333:
	s_movk_i32 s4, 0x80
	v_cmp_eq_u16_sdwa s[12:13], v10, s4 src0_sel:BYTE_3 src1_sel:DWORD
	s_mov_b64 s[4:5], -1
                                        ; implicit-def: $sgpr10
	s_and_saveexec_b64 s[8:9], s[12:13]
; %bb.2334:
	s_mov_b32 s10, 0x7f800001
	s_xor_b64 s[4:5], exec, -1
; %bb.2335:
	s_or_b64 exec, exec, s[8:9]
	s_and_b64 s[4:5], s[4:5], exec
	s_or_saveexec_b64 s[6:7], s[6:7]
	v_mov_b32_e32 v14, s10
	s_xor_b64 exec, exec, s[6:7]
	s_cbranch_execz .LBB43_286
.LBB43_2336:
	v_mov_b32_e32 v14, 0
	v_cmp_ne_u16_sdwa s[8:9], v10, v14 src0_sel:BYTE_3 src1_sel:DWORD
	s_andn2_b64 s[4:5], s[4:5], exec
	s_and_b64 s[8:9], s[8:9], exec
	s_or_b64 s[4:5], s[4:5], s[8:9]
	s_or_b64 exec, exec, s[6:7]
	s_and_saveexec_b64 s[6:7], s[4:5]
	s_cbranch_execnz .LBB43_287
	s_branch .LBB43_288
.LBB43_2337:
	s_movk_i32 s4, 0x80
	v_cmp_eq_u16_sdwa s[12:13], v15, s4 src0_sel:BYTE_0 src1_sel:DWORD
	s_mov_b64 s[4:5], -1
                                        ; implicit-def: $sgpr10
	s_and_saveexec_b64 s[8:9], s[12:13]
; %bb.2338:
	s_mov_b32 s10, 0x7f800001
	s_xor_b64 s[4:5], exec, -1
; %bb.2339:
	s_or_b64 exec, exec, s[8:9]
	s_and_b64 s[4:5], s[4:5], exec
	s_or_saveexec_b64 s[6:7], s[6:7]
	v_mov_b32_e32 v10, s10
	s_xor_b64 exec, exec, s[6:7]
	s_cbranch_execz .LBB43_290
.LBB43_2340:
	v_mov_b32_e32 v10, 0
	v_cmp_ne_u16_sdwa s[8:9], v15, v10 src0_sel:BYTE_0 src1_sel:DWORD
	s_andn2_b64 s[4:5], s[4:5], exec
	s_and_b64 s[8:9], s[8:9], exec
	s_or_b64 s[4:5], s[4:5], s[8:9]
	s_or_b64 exec, exec, s[6:7]
	s_and_saveexec_b64 s[6:7], s[4:5]
	s_cbranch_execnz .LBB43_291
	s_branch .LBB43_292
.LBB43_2341:
	s_movk_i32 s4, 0x80
	v_cmp_eq_u16_sdwa s[12:13], v11, s4 src0_sel:BYTE_0 src1_sel:DWORD
	s_mov_b64 s[4:5], -1
                                        ; implicit-def: $sgpr10
	s_and_saveexec_b64 s[8:9], s[12:13]
; %bb.2342:
	s_mov_b32 s10, 0x7f800001
	s_xor_b64 s[4:5], exec, -1
; %bb.2343:
	s_or_b64 exec, exec, s[8:9]
	s_and_b64 s[4:5], s[4:5], exec
	s_or_saveexec_b64 s[6:7], s[6:7]
	v_mov_b32_e32 v14, s10
	s_xor_b64 exec, exec, s[6:7]
	s_cbranch_execz .LBB43_294
.LBB43_2344:
	v_mov_b32_e32 v14, 0
	v_cmp_ne_u16_sdwa s[8:9], v11, v14 src0_sel:BYTE_0 src1_sel:DWORD
	s_andn2_b64 s[4:5], s[4:5], exec
	s_and_b64 s[8:9], s[8:9], exec
	s_or_b64 s[4:5], s[4:5], s[8:9]
	s_or_b64 exec, exec, s[6:7]
	s_and_saveexec_b64 s[6:7], s[4:5]
	s_cbranch_execnz .LBB43_295
	s_branch .LBB43_296
.LBB43_2345:
	s_movk_i32 s4, 0x80
	v_cmp_eq_u16_sdwa s[12:13], v14, s4 src0_sel:BYTE_0 src1_sel:DWORD
	s_mov_b64 s[4:5], -1
                                        ; implicit-def: $sgpr10
	s_and_saveexec_b64 s[8:9], s[12:13]
; %bb.2346:
	s_mov_b32 s10, 0x7f800001
	s_xor_b64 s[4:5], exec, -1
; %bb.2347:
	s_or_b64 exec, exec, s[8:9]
	s_and_b64 s[4:5], s[4:5], exec
	s_or_saveexec_b64 s[6:7], s[6:7]
	v_mov_b32_e32 v10, s10
	s_xor_b64 exec, exec, s[6:7]
	s_cbranch_execz .LBB43_298
.LBB43_2348:
	v_mov_b32_e32 v10, 0
	v_cmp_ne_u16_sdwa s[8:9], v14, v10 src0_sel:BYTE_0 src1_sel:DWORD
	s_andn2_b64 s[4:5], s[4:5], exec
	s_and_b64 s[8:9], s[8:9], exec
	s_or_b64 s[4:5], s[4:5], s[8:9]
	s_or_b64 exec, exec, s[6:7]
	s_and_saveexec_b64 s[6:7], s[4:5]
	s_cbranch_execnz .LBB43_299
	s_branch .LBB43_300
.LBB43_2349:
	s_movk_i32 s4, 0x80
	v_cmp_eq_u16_sdwa s[12:13], v14, s4 src0_sel:BYTE_0 src1_sel:DWORD
	s_mov_b64 s[4:5], -1
                                        ; implicit-def: $sgpr10
	s_and_saveexec_b64 s[8:9], s[12:13]
; %bb.2350:
	s_mov_b32 s10, 0x7f800001
	s_xor_b64 s[4:5], exec, -1
; %bb.2351:
	s_or_b64 exec, exec, s[8:9]
	s_and_b64 s[4:5], s[4:5], exec
	s_or_saveexec_b64 s[6:7], s[6:7]
	v_mov_b32_e32 v20, s10
	s_xor_b64 exec, exec, s[6:7]
	s_cbranch_execz .LBB43_302
.LBB43_2352:
	v_mov_b32_e32 v20, 0
	v_cmp_ne_u16_sdwa s[8:9], v14, v20 src0_sel:BYTE_0 src1_sel:DWORD
	s_andn2_b64 s[4:5], s[4:5], exec
	s_and_b64 s[8:9], s[8:9], exec
	s_or_b64 s[4:5], s[4:5], s[8:9]
	s_or_b64 exec, exec, s[6:7]
	s_and_saveexec_b64 s[6:7], s[4:5]
	s_cbranch_execnz .LBB43_303
	s_branch .LBB43_304
.LBB43_2353:
	s_movk_i32 s4, 0x80
	v_cmp_eq_u16_e32 vcc, s4, v14
	s_mov_b64 s[4:5], -1
                                        ; implicit-def: $sgpr10
	s_and_saveexec_b64 s[8:9], vcc
; %bb.2354:
	s_mov_b32 s10, 0x7f800001
	s_xor_b64 s[4:5], exec, -1
; %bb.2355:
	s_or_b64 exec, exec, s[8:9]
	s_and_b64 s[4:5], s[4:5], exec
                                        ; implicit-def: $vgpr14
	s_or_saveexec_b64 s[6:7], s[6:7]
	v_mov_b32_e32 v10, s10
	s_xor_b64 exec, exec, s[6:7]
	s_cbranch_execz .LBB43_306
.LBB43_2356:
	v_cmp_ne_u16_e32 vcc, 0, v14
	s_andn2_b64 s[4:5], s[4:5], exec
	s_and_b64 s[8:9], vcc, exec
	v_mov_b32_e32 v10, 0
	s_or_b64 s[4:5], s[4:5], s[8:9]
	s_or_b64 exec, exec, s[6:7]
	s_and_saveexec_b64 s[6:7], s[4:5]
	s_cbranch_execnz .LBB43_307
	s_branch .LBB43_308
.LBB43_2357:
	s_movk_i32 s4, 0x80
	v_cmp_eq_u16_e32 vcc, s4, v14
	s_mov_b64 s[4:5], -1
                                        ; implicit-def: $sgpr10
	s_and_saveexec_b64 s[8:9], vcc
; %bb.2358:
	s_mov_b32 s10, 0x7f800001
	s_xor_b64 s[4:5], exec, -1
; %bb.2359:
	s_or_b64 exec, exec, s[8:9]
	s_and_b64 s[4:5], s[4:5], exec
                                        ; implicit-def: $vgpr14
	s_or_saveexec_b64 s[6:7], s[6:7]
	v_mov_b32_e32 v20, s10
	s_xor_b64 exec, exec, s[6:7]
	s_cbranch_execz .LBB43_310
.LBB43_2360:
	v_cmp_ne_u16_e32 vcc, 0, v14
	s_andn2_b64 s[4:5], s[4:5], exec
	s_and_b64 s[8:9], vcc, exec
	v_mov_b32_e32 v20, 0
	s_or_b64 s[4:5], s[4:5], s[8:9]
	s_or_b64 exec, exec, s[6:7]
	s_and_saveexec_b64 s[6:7], s[4:5]
	s_cbranch_execnz .LBB43_311
	s_branch .LBB43_312
.LBB43_2361:
	s_movk_i32 s4, 0x80
	v_cmp_eq_u16_sdwa s[12:13], v15, s4 src0_sel:BYTE_3 src1_sel:DWORD
	s_mov_b64 s[4:5], -1
                                        ; implicit-def: $sgpr10
	s_and_saveexec_b64 s[8:9], s[12:13]
; %bb.2362:
	s_mov_b32 s10, 0x7f800001
	s_xor_b64 s[4:5], exec, -1
; %bb.2363:
	s_or_b64 exec, exec, s[8:9]
	s_and_b64 s[4:5], s[4:5], exec
	s_or_saveexec_b64 s[6:7], s[6:7]
	v_mov_b32_e32 v10, s10
	s_xor_b64 exec, exec, s[6:7]
	s_cbranch_execz .LBB43_314
.LBB43_2364:
	v_mov_b32_e32 v10, 0
	v_cmp_ne_u16_sdwa s[8:9], v15, v10 src0_sel:BYTE_3 src1_sel:DWORD
	s_andn2_b64 s[4:5], s[4:5], exec
	s_and_b64 s[8:9], s[8:9], exec
	s_or_b64 s[4:5], s[4:5], s[8:9]
	s_or_b64 exec, exec, s[6:7]
	s_and_saveexec_b64 s[6:7], s[4:5]
	s_cbranch_execnz .LBB43_315
	s_branch .LBB43_316
.LBB43_2365:
	s_movk_i32 s4, 0x80
	v_cmp_eq_u16_sdwa s[12:13], v11, s4 src0_sel:BYTE_3 src1_sel:DWORD
	s_mov_b64 s[4:5], -1
                                        ; implicit-def: $sgpr10
	s_and_saveexec_b64 s[8:9], s[12:13]
; %bb.2366:
	s_mov_b32 s10, 0x7f800001
	s_xor_b64 s[4:5], exec, -1
; %bb.2367:
	s_or_b64 exec, exec, s[8:9]
	s_and_b64 s[4:5], s[4:5], exec
	s_or_saveexec_b64 s[6:7], s[6:7]
	v_mov_b32_e32 v14, s10
	s_xor_b64 exec, exec, s[6:7]
	s_cbranch_execz .LBB43_318
.LBB43_2368:
	v_mov_b32_e32 v14, 0
	v_cmp_ne_u16_sdwa s[8:9], v11, v14 src0_sel:BYTE_3 src1_sel:DWORD
	s_andn2_b64 s[4:5], s[4:5], exec
	s_and_b64 s[8:9], s[8:9], exec
	s_or_b64 s[4:5], s[4:5], s[8:9]
	s_or_b64 exec, exec, s[6:7]
	s_and_saveexec_b64 s[6:7], s[4:5]
	s_cbranch_execnz .LBB43_319
	s_branch .LBB43_320
.LBB43_2369:
	s_movk_i32 s4, 0x80
	v_cmp_eq_u16_sdwa s[12:13], v16, s4 src0_sel:BYTE_0 src1_sel:DWORD
	s_mov_b64 s[4:5], -1
                                        ; implicit-def: $sgpr10
	s_and_saveexec_b64 s[8:9], s[12:13]
; %bb.2370:
	s_mov_b32 s10, 0x7f800001
	s_xor_b64 s[4:5], exec, -1
; %bb.2371:
	s_or_b64 exec, exec, s[8:9]
	s_and_b64 s[4:5], s[4:5], exec
	s_or_saveexec_b64 s[6:7], s[6:7]
	v_mov_b32_e32 v10, s10
	s_xor_b64 exec, exec, s[6:7]
	s_cbranch_execz .LBB43_322
.LBB43_2372:
	v_mov_b32_e32 v10, 0
	v_cmp_ne_u16_sdwa s[8:9], v16, v10 src0_sel:BYTE_0 src1_sel:DWORD
	s_andn2_b64 s[4:5], s[4:5], exec
	s_and_b64 s[8:9], s[8:9], exec
	s_or_b64 s[4:5], s[4:5], s[8:9]
	s_or_b64 exec, exec, s[6:7]
	s_and_saveexec_b64 s[6:7], s[4:5]
	s_cbranch_execnz .LBB43_323
	s_branch .LBB43_324
.LBB43_2373:
	s_movk_i32 s4, 0x80
	v_cmp_eq_u16_sdwa s[12:13], v12, s4 src0_sel:BYTE_0 src1_sel:DWORD
	s_mov_b64 s[4:5], -1
                                        ; implicit-def: $sgpr10
	s_and_saveexec_b64 s[8:9], s[12:13]
; %bb.2374:
	s_mov_b32 s10, 0x7f800001
	s_xor_b64 s[4:5], exec, -1
; %bb.2375:
	s_or_b64 exec, exec, s[8:9]
	s_and_b64 s[4:5], s[4:5], exec
	s_or_saveexec_b64 s[6:7], s[6:7]
	v_mov_b32_e32 v11, s10
	s_xor_b64 exec, exec, s[6:7]
	s_cbranch_execz .LBB43_326
.LBB43_2376:
	v_mov_b32_e32 v11, 0
	v_cmp_ne_u16_sdwa s[8:9], v12, v11 src0_sel:BYTE_0 src1_sel:DWORD
	s_andn2_b64 s[4:5], s[4:5], exec
	s_and_b64 s[8:9], s[8:9], exec
	s_or_b64 s[4:5], s[4:5], s[8:9]
	s_or_b64 exec, exec, s[6:7]
	s_and_saveexec_b64 s[6:7], s[4:5]
	s_cbranch_execnz .LBB43_327
	s_branch .LBB43_328
.LBB43_2377:
	s_movk_i32 s4, 0x80
	v_cmp_eq_u16_sdwa s[12:13], v11, s4 src0_sel:BYTE_0 src1_sel:DWORD
	s_mov_b64 s[4:5], -1
                                        ; implicit-def: $sgpr10
	s_and_saveexec_b64 s[8:9], s[12:13]
; %bb.2378:
	s_mov_b32 s10, 0x7f800001
	s_xor_b64 s[4:5], exec, -1
; %bb.2379:
	s_or_b64 exec, exec, s[8:9]
	s_and_b64 s[4:5], s[4:5], exec
	s_or_saveexec_b64 s[6:7], s[6:7]
	v_mov_b32_e32 v10, s10
	s_xor_b64 exec, exec, s[6:7]
	s_cbranch_execz .LBB43_330
.LBB43_2380:
	v_mov_b32_e32 v10, 0
	v_cmp_ne_u16_sdwa s[8:9], v11, v10 src0_sel:BYTE_0 src1_sel:DWORD
	s_andn2_b64 s[4:5], s[4:5], exec
	s_and_b64 s[8:9], s[8:9], exec
	s_or_b64 s[4:5], s[4:5], s[8:9]
	s_or_b64 exec, exec, s[6:7]
	s_and_saveexec_b64 s[6:7], s[4:5]
	s_cbranch_execnz .LBB43_331
	s_branch .LBB43_332
.LBB43_2381:
	s_movk_i32 s4, 0x80
	v_cmp_eq_u16_sdwa s[12:13], v11, s4 src0_sel:BYTE_0 src1_sel:DWORD
	s_mov_b64 s[4:5], -1
                                        ; implicit-def: $sgpr10
	s_and_saveexec_b64 s[8:9], s[12:13]
; %bb.2382:
	s_mov_b32 s10, 0x7f800001
	s_xor_b64 s[4:5], exec, -1
; %bb.2383:
	s_or_b64 exec, exec, s[8:9]
	s_and_b64 s[4:5], s[4:5], exec
	s_or_saveexec_b64 s[6:7], s[6:7]
	v_mov_b32_e32 v14, s10
	s_xor_b64 exec, exec, s[6:7]
	s_cbranch_execz .LBB43_334
.LBB43_2384:
	v_mov_b32_e32 v14, 0
	v_cmp_ne_u16_sdwa s[8:9], v11, v14 src0_sel:BYTE_0 src1_sel:DWORD
	s_andn2_b64 s[4:5], s[4:5], exec
	s_and_b64 s[8:9], s[8:9], exec
	s_or_b64 s[4:5], s[4:5], s[8:9]
	s_or_b64 exec, exec, s[6:7]
	s_and_saveexec_b64 s[6:7], s[4:5]
	s_cbranch_execnz .LBB43_335
	s_branch .LBB43_336
.LBB43_2385:
	s_movk_i32 s4, 0x80
	v_cmp_eq_u16_e32 vcc, s4, v11
	s_mov_b64 s[4:5], -1
                                        ; implicit-def: $sgpr10
	s_and_saveexec_b64 s[8:9], vcc
; %bb.2386:
	s_mov_b32 s10, 0x7f800001
	s_xor_b64 s[4:5], exec, -1
; %bb.2387:
	s_or_b64 exec, exec, s[8:9]
	s_and_b64 s[4:5], s[4:5], exec
                                        ; implicit-def: $vgpr11
	s_or_saveexec_b64 s[6:7], s[6:7]
	v_mov_b32_e32 v10, s10
	s_xor_b64 exec, exec, s[6:7]
	s_cbranch_execz .LBB43_338
.LBB43_2388:
	v_cmp_ne_u16_e32 vcc, 0, v11
	s_andn2_b64 s[4:5], s[4:5], exec
	s_and_b64 s[8:9], vcc, exec
	v_mov_b32_e32 v10, 0
	s_or_b64 s[4:5], s[4:5], s[8:9]
	s_or_b64 exec, exec, s[6:7]
	s_and_saveexec_b64 s[6:7], s[4:5]
	s_cbranch_execnz .LBB43_339
	s_branch .LBB43_340
.LBB43_2389:
	s_movk_i32 s4, 0x80
	v_cmp_eq_u16_e32 vcc, s4, v11
	s_mov_b64 s[4:5], -1
                                        ; implicit-def: $sgpr10
	s_and_saveexec_b64 s[8:9], vcc
; %bb.2390:
	s_mov_b32 s10, 0x7f800001
	s_xor_b64 s[4:5], exec, -1
; %bb.2391:
	s_or_b64 exec, exec, s[8:9]
	s_and_b64 s[4:5], s[4:5], exec
                                        ; implicit-def: $vgpr11
	s_or_saveexec_b64 s[6:7], s[6:7]
	v_mov_b32_e32 v14, s10
	s_xor_b64 exec, exec, s[6:7]
	s_cbranch_execz .LBB43_342
.LBB43_2392:
	v_cmp_ne_u16_e32 vcc, 0, v11
	s_andn2_b64 s[4:5], s[4:5], exec
	s_and_b64 s[8:9], vcc, exec
	v_mov_b32_e32 v14, 0
	s_or_b64 s[4:5], s[4:5], s[8:9]
	s_or_b64 exec, exec, s[6:7]
	s_and_saveexec_b64 s[6:7], s[4:5]
	s_cbranch_execnz .LBB43_343
	s_branch .LBB43_344
.LBB43_2393:
	s_movk_i32 s4, 0x80
	v_cmp_eq_u16_sdwa s[12:13], v16, s4 src0_sel:BYTE_3 src1_sel:DWORD
	s_mov_b64 s[4:5], -1
                                        ; implicit-def: $sgpr10
	s_and_saveexec_b64 s[8:9], s[12:13]
; %bb.2394:
	s_mov_b32 s10, 0x7f800001
	s_xor_b64 s[4:5], exec, -1
; %bb.2395:
	s_or_b64 exec, exec, s[8:9]
	s_and_b64 s[4:5], s[4:5], exec
	s_or_saveexec_b64 s[6:7], s[6:7]
	v_mov_b32_e32 v10, s10
	s_xor_b64 exec, exec, s[6:7]
	s_cbranch_execz .LBB43_346
.LBB43_2396:
	v_mov_b32_e32 v10, 0
	v_cmp_ne_u16_sdwa s[8:9], v16, v10 src0_sel:BYTE_3 src1_sel:DWORD
	s_andn2_b64 s[4:5], s[4:5], exec
	s_and_b64 s[8:9], s[8:9], exec
	s_or_b64 s[4:5], s[4:5], s[8:9]
	s_or_b64 exec, exec, s[6:7]
	s_and_saveexec_b64 s[6:7], s[4:5]
	s_cbranch_execnz .LBB43_347
	s_branch .LBB43_348
.LBB43_2397:
	s_movk_i32 s4, 0x80
	v_cmp_eq_u16_sdwa s[12:13], v12, s4 src0_sel:BYTE_3 src1_sel:DWORD
	s_mov_b64 s[4:5], -1
                                        ; implicit-def: $sgpr10
	s_and_saveexec_b64 s[8:9], s[12:13]
; %bb.2398:
	s_mov_b32 s10, 0x7f800001
	s_xor_b64 s[4:5], exec, -1
; %bb.2399:
	s_or_b64 exec, exec, s[8:9]
	s_and_b64 s[4:5], s[4:5], exec
	s_or_saveexec_b64 s[6:7], s[6:7]
	v_mov_b32_e32 v11, s10
	s_xor_b64 exec, exec, s[6:7]
	s_cbranch_execz .LBB43_350
.LBB43_2400:
	v_mov_b32_e32 v11, 0
	v_cmp_ne_u16_sdwa s[8:9], v12, v11 src0_sel:BYTE_3 src1_sel:DWORD
	s_andn2_b64 s[4:5], s[4:5], exec
	s_and_b64 s[8:9], s[8:9], exec
	s_or_b64 s[4:5], s[4:5], s[8:9]
	s_or_b64 exec, exec, s[6:7]
	s_and_saveexec_b64 s[6:7], s[4:5]
	s_cbranch_execnz .LBB43_351
	s_branch .LBB43_352
.LBB43_2401:
	s_movk_i32 s4, 0x80
	v_cmp_eq_u16_sdwa s[12:13], v17, s4 src0_sel:BYTE_0 src1_sel:DWORD
	s_mov_b64 s[4:5], -1
                                        ; implicit-def: $sgpr10
	s_and_saveexec_b64 s[8:9], s[12:13]
; %bb.2402:
	s_mov_b32 s10, 0x7f800001
	s_xor_b64 s[4:5], exec, -1
; %bb.2403:
	s_or_b64 exec, exec, s[8:9]
	s_and_b64 s[4:5], s[4:5], exec
	s_or_saveexec_b64 s[6:7], s[6:7]
	v_mov_b32_e32 v10, s10
	s_xor_b64 exec, exec, s[6:7]
	s_cbranch_execz .LBB43_354
.LBB43_2404:
	v_mov_b32_e32 v10, 0
	v_cmp_ne_u16_sdwa s[8:9], v17, v10 src0_sel:BYTE_0 src1_sel:DWORD
	s_andn2_b64 s[4:5], s[4:5], exec
	s_and_b64 s[8:9], s[8:9], exec
	s_or_b64 s[4:5], s[4:5], s[8:9]
	s_or_b64 exec, exec, s[6:7]
	s_and_saveexec_b64 s[6:7], s[4:5]
	s_cbranch_execnz .LBB43_355
	s_branch .LBB43_356
.LBB43_2405:
	s_movk_i32 s4, 0x80
	v_cmp_eq_u16_sdwa s[12:13], v13, s4 src0_sel:BYTE_0 src1_sel:DWORD
	s_mov_b64 s[4:5], -1
                                        ; implicit-def: $sgpr10
	s_and_saveexec_b64 s[8:9], s[12:13]
; %bb.2406:
	s_mov_b32 s10, 0x7f800001
	s_xor_b64 s[4:5], exec, -1
; %bb.2407:
	s_or_b64 exec, exec, s[8:9]
	s_and_b64 s[4:5], s[4:5], exec
	s_or_saveexec_b64 s[6:7], s[6:7]
	v_mov_b32_e32 v11, s10
	s_xor_b64 exec, exec, s[6:7]
	s_cbranch_execz .LBB43_358
.LBB43_2408:
	v_mov_b32_e32 v11, 0
	v_cmp_ne_u16_sdwa s[8:9], v13, v11 src0_sel:BYTE_0 src1_sel:DWORD
	s_andn2_b64 s[4:5], s[4:5], exec
	s_and_b64 s[8:9], s[8:9], exec
	s_or_b64 s[4:5], s[4:5], s[8:9]
	s_or_b64 exec, exec, s[6:7]
	s_and_saveexec_b64 s[6:7], s[4:5]
	s_cbranch_execnz .LBB43_359
	s_branch .LBB43_360
.LBB43_2409:
	s_movk_i32 s4, 0x80
	v_cmp_eq_u16_sdwa s[12:13], v11, s4 src0_sel:BYTE_0 src1_sel:DWORD
	s_mov_b64 s[4:5], -1
                                        ; implicit-def: $sgpr10
	s_and_saveexec_b64 s[8:9], s[12:13]
; %bb.2410:
	s_mov_b32 s10, 0x7f800001
	s_xor_b64 s[4:5], exec, -1
; %bb.2411:
	s_or_b64 exec, exec, s[8:9]
	s_and_b64 s[4:5], s[4:5], exec
	s_or_saveexec_b64 s[6:7], s[6:7]
	v_mov_b32_e32 v10, s10
	s_xor_b64 exec, exec, s[6:7]
	s_cbranch_execz .LBB43_362
.LBB43_2412:
	v_mov_b32_e32 v10, 0
	v_cmp_ne_u16_sdwa s[8:9], v11, v10 src0_sel:BYTE_0 src1_sel:DWORD
	s_andn2_b64 s[4:5], s[4:5], exec
	s_and_b64 s[8:9], s[8:9], exec
	s_or_b64 s[4:5], s[4:5], s[8:9]
	s_or_b64 exec, exec, s[6:7]
	s_and_saveexec_b64 s[6:7], s[4:5]
	s_cbranch_execnz .LBB43_363
	s_branch .LBB43_364
.LBB43_2413:
	s_movk_i32 s4, 0x80
	v_cmp_eq_u16_sdwa s[12:13], v11, s4 src0_sel:BYTE_0 src1_sel:DWORD
	s_mov_b64 s[4:5], -1
                                        ; implicit-def: $sgpr10
	s_and_saveexec_b64 s[8:9], s[12:13]
; %bb.2414:
	s_mov_b32 s10, 0x7f800001
	s_xor_b64 s[4:5], exec, -1
; %bb.2415:
	s_or_b64 exec, exec, s[8:9]
	s_and_b64 s[4:5], s[4:5], exec
	s_or_saveexec_b64 s[6:7], s[6:7]
	v_mov_b32_e32 v12, s10
	s_xor_b64 exec, exec, s[6:7]
	s_cbranch_execz .LBB43_366
.LBB43_2416:
	v_mov_b32_e32 v12, 0
	v_cmp_ne_u16_sdwa s[8:9], v11, v12 src0_sel:BYTE_0 src1_sel:DWORD
	s_andn2_b64 s[4:5], s[4:5], exec
	s_and_b64 s[8:9], s[8:9], exec
	s_or_b64 s[4:5], s[4:5], s[8:9]
	s_or_b64 exec, exec, s[6:7]
	s_and_saveexec_b64 s[6:7], s[4:5]
	s_cbranch_execnz .LBB43_367
	s_branch .LBB43_368
.LBB43_2417:
	s_movk_i32 s4, 0x80
	v_cmp_eq_u16_e32 vcc, s4, v11
	s_mov_b64 s[4:5], -1
                                        ; implicit-def: $sgpr10
	s_and_saveexec_b64 s[8:9], vcc
; %bb.2418:
	s_mov_b32 s10, 0x7f800001
	s_xor_b64 s[4:5], exec, -1
; %bb.2419:
	s_or_b64 exec, exec, s[8:9]
	s_and_b64 s[4:5], s[4:5], exec
                                        ; implicit-def: $vgpr11
	s_or_saveexec_b64 s[6:7], s[6:7]
	v_mov_b32_e32 v10, s10
	s_xor_b64 exec, exec, s[6:7]
	s_cbranch_execz .LBB43_370
.LBB43_2420:
	v_cmp_ne_u16_e32 vcc, 0, v11
	s_andn2_b64 s[4:5], s[4:5], exec
	s_and_b64 s[8:9], vcc, exec
	v_mov_b32_e32 v10, 0
	s_or_b64 s[4:5], s[4:5], s[8:9]
	s_or_b64 exec, exec, s[6:7]
	s_and_saveexec_b64 s[6:7], s[4:5]
	s_cbranch_execnz .LBB43_371
	s_branch .LBB43_372
.LBB43_2421:
	s_movk_i32 s4, 0x80
	v_cmp_eq_u16_e32 vcc, s4, v11
	s_mov_b64 s[4:5], -1
                                        ; implicit-def: $sgpr10
	s_and_saveexec_b64 s[8:9], vcc
; %bb.2422:
	s_mov_b32 s10, 0x7f800001
	s_xor_b64 s[4:5], exec, -1
; %bb.2423:
	s_or_b64 exec, exec, s[8:9]
	s_and_b64 s[4:5], s[4:5], exec
                                        ; implicit-def: $vgpr11
	s_or_saveexec_b64 s[6:7], s[6:7]
	v_mov_b32_e32 v12, s10
	s_xor_b64 exec, exec, s[6:7]
	s_cbranch_execz .LBB43_374
.LBB43_2424:
	v_cmp_ne_u16_e32 vcc, 0, v11
	s_andn2_b64 s[4:5], s[4:5], exec
	s_and_b64 s[8:9], vcc, exec
	v_mov_b32_e32 v12, 0
	s_or_b64 s[4:5], s[4:5], s[8:9]
	s_or_b64 exec, exec, s[6:7]
	s_and_saveexec_b64 s[6:7], s[4:5]
	s_cbranch_execnz .LBB43_375
	s_branch .LBB43_376
.LBB43_2425:
	s_movk_i32 s4, 0x80
	v_cmp_eq_u16_sdwa s[12:13], v17, s4 src0_sel:BYTE_3 src1_sel:DWORD
	s_mov_b64 s[4:5], -1
                                        ; implicit-def: $sgpr10
	s_and_saveexec_b64 s[8:9], s[12:13]
; %bb.2426:
	s_mov_b32 s10, 0x7f800001
	s_xor_b64 s[4:5], exec, -1
; %bb.2427:
	s_or_b64 exec, exec, s[8:9]
	s_and_b64 s[4:5], s[4:5], exec
	s_or_saveexec_b64 s[6:7], s[6:7]
	v_mov_b32_e32 v10, s10
	s_xor_b64 exec, exec, s[6:7]
	s_cbranch_execz .LBB43_378
.LBB43_2428:
	v_mov_b32_e32 v10, 0
	v_cmp_ne_u16_sdwa s[8:9], v17, v10 src0_sel:BYTE_3 src1_sel:DWORD
	s_andn2_b64 s[4:5], s[4:5], exec
	s_and_b64 s[8:9], s[8:9], exec
	s_or_b64 s[4:5], s[4:5], s[8:9]
	s_or_b64 exec, exec, s[6:7]
	s_and_saveexec_b64 s[6:7], s[4:5]
	s_cbranch_execnz .LBB43_379
	s_branch .LBB43_380
.LBB43_2429:
	s_movk_i32 s4, 0x80
	v_cmp_eq_u16_sdwa s[12:13], v13, s4 src0_sel:BYTE_3 src1_sel:DWORD
	s_mov_b64 s[4:5], -1
                                        ; implicit-def: $sgpr10
	s_and_saveexec_b64 s[8:9], s[12:13]
; %bb.2430:
	s_mov_b32 s10, 0x7f800001
	s_xor_b64 s[4:5], exec, -1
; %bb.2431:
	s_or_b64 exec, exec, s[8:9]
	s_and_b64 s[4:5], s[4:5], exec
	s_or_saveexec_b64 s[6:7], s[6:7]
	v_mov_b32_e32 v11, s10
	s_xor_b64 exec, exec, s[6:7]
	s_cbranch_execz .LBB43_382
.LBB43_2432:
	v_mov_b32_e32 v11, 0
	v_cmp_ne_u16_sdwa s[8:9], v13, v11 src0_sel:BYTE_3 src1_sel:DWORD
	s_andn2_b64 s[4:5], s[4:5], exec
	s_and_b64 s[8:9], s[8:9], exec
	s_or_b64 s[4:5], s[4:5], s[8:9]
	s_or_b64 exec, exec, s[6:7]
	s_and_saveexec_b64 s[6:7], s[4:5]
	s_cbranch_execnz .LBB43_383
	s_branch .LBB43_384
.LBB43_2433:
	s_movk_i32 s4, 0x80
	v_cmp_eq_u16_sdwa s[12:13], v6, s4 src0_sel:BYTE_0 src1_sel:DWORD
	s_mov_b64 s[4:5], -1
                                        ; implicit-def: $sgpr10
	s_and_saveexec_b64 s[8:9], s[12:13]
; %bb.2434:
	s_mov_b32 s10, 0x7f800001
	s_xor_b64 s[4:5], exec, -1
; %bb.2435:
	s_or_b64 exec, exec, s[8:9]
	s_and_b64 s[4:5], s[4:5], exec
	s_or_saveexec_b64 s[6:7], s[6:7]
	v_mov_b32_e32 v10, s10
	s_xor_b64 exec, exec, s[6:7]
	s_cbranch_execz .LBB43_386
.LBB43_2436:
	v_mov_b32_e32 v10, 0
	v_cmp_ne_u16_sdwa s[8:9], v6, v10 src0_sel:BYTE_0 src1_sel:DWORD
	s_andn2_b64 s[4:5], s[4:5], exec
	s_and_b64 s[8:9], s[8:9], exec
	s_or_b64 s[4:5], s[4:5], s[8:9]
	s_or_b64 exec, exec, s[6:7]
	s_and_saveexec_b64 s[6:7], s[4:5]
	s_cbranch_execnz .LBB43_387
	s_branch .LBB43_388
.LBB43_2437:
	s_movk_i32 s4, 0x80
	v_cmp_eq_u16_sdwa s[12:13], v2, s4 src0_sel:BYTE_0 src1_sel:DWORD
	s_mov_b64 s[4:5], -1
                                        ; implicit-def: $sgpr10
	s_and_saveexec_b64 s[8:9], s[12:13]
; %bb.2438:
	s_mov_b32 s10, 0x7f800001
	s_xor_b64 s[4:5], exec, -1
; %bb.2439:
	s_or_b64 exec, exec, s[8:9]
	s_and_b64 s[4:5], s[4:5], exec
	s_or_saveexec_b64 s[6:7], s[6:7]
	v_mov_b32_e32 v11, s10
	s_xor_b64 exec, exec, s[6:7]
	s_cbranch_execz .LBB43_390
.LBB43_2440:
	v_mov_b32_e32 v11, 0
	v_cmp_ne_u16_sdwa s[8:9], v2, v11 src0_sel:BYTE_0 src1_sel:DWORD
	s_andn2_b64 s[4:5], s[4:5], exec
	s_and_b64 s[8:9], s[8:9], exec
	s_or_b64 s[4:5], s[4:5], s[8:9]
	s_or_b64 exec, exec, s[6:7]
	s_and_saveexec_b64 s[6:7], s[4:5]
	s_cbranch_execnz .LBB43_391
	s_branch .LBB43_392
.LBB43_2441:
	s_movk_i32 s4, 0x80
	v_cmp_eq_u16_sdwa s[12:13], v11, s4 src0_sel:BYTE_0 src1_sel:DWORD
	s_mov_b64 s[4:5], -1
                                        ; implicit-def: $sgpr10
	s_and_saveexec_b64 s[8:9], s[12:13]
; %bb.2442:
	s_mov_b32 s10, 0x7f800001
	s_xor_b64 s[4:5], exec, -1
; %bb.2443:
	s_or_b64 exec, exec, s[8:9]
	s_and_b64 s[4:5], s[4:5], exec
	s_or_saveexec_b64 s[6:7], s[6:7]
	v_mov_b32_e32 v10, s10
	s_xor_b64 exec, exec, s[6:7]
	s_cbranch_execz .LBB43_394
.LBB43_2444:
	v_mov_b32_e32 v10, 0
	v_cmp_ne_u16_sdwa s[8:9], v11, v10 src0_sel:BYTE_0 src1_sel:DWORD
	s_andn2_b64 s[4:5], s[4:5], exec
	s_and_b64 s[8:9], s[8:9], exec
	s_or_b64 s[4:5], s[4:5], s[8:9]
	s_or_b64 exec, exec, s[6:7]
	s_and_saveexec_b64 s[6:7], s[4:5]
	s_cbranch_execnz .LBB43_395
	s_branch .LBB43_396
.LBB43_2445:
	s_movk_i32 s4, 0x80
	v_cmp_eq_u16_sdwa s[12:13], v11, s4 src0_sel:BYTE_0 src1_sel:DWORD
	s_mov_b64 s[4:5], -1
                                        ; implicit-def: $sgpr10
	s_and_saveexec_b64 s[8:9], s[12:13]
; %bb.2446:
	s_mov_b32 s10, 0x7f800001
	s_xor_b64 s[4:5], exec, -1
; %bb.2447:
	s_or_b64 exec, exec, s[8:9]
	s_and_b64 s[4:5], s[4:5], exec
	s_or_saveexec_b64 s[6:7], s[6:7]
	v_mov_b32_e32 v12, s10
	s_xor_b64 exec, exec, s[6:7]
	s_cbranch_execz .LBB43_398
.LBB43_2448:
	v_mov_b32_e32 v12, 0
	v_cmp_ne_u16_sdwa s[8:9], v11, v12 src0_sel:BYTE_0 src1_sel:DWORD
	s_andn2_b64 s[4:5], s[4:5], exec
	s_and_b64 s[8:9], s[8:9], exec
	s_or_b64 s[4:5], s[4:5], s[8:9]
	s_or_b64 exec, exec, s[6:7]
	s_and_saveexec_b64 s[6:7], s[4:5]
	s_cbranch_execnz .LBB43_399
	s_branch .LBB43_400
.LBB43_2449:
	s_movk_i32 s4, 0x80
	v_cmp_eq_u16_e32 vcc, s4, v11
	s_mov_b64 s[4:5], -1
                                        ; implicit-def: $sgpr10
	s_and_saveexec_b64 s[8:9], vcc
; %bb.2450:
	s_mov_b32 s10, 0x7f800001
	s_xor_b64 s[4:5], exec, -1
; %bb.2451:
	s_or_b64 exec, exec, s[8:9]
	s_and_b64 s[4:5], s[4:5], exec
                                        ; implicit-def: $vgpr11
	s_or_saveexec_b64 s[6:7], s[6:7]
	v_mov_b32_e32 v10, s10
	s_xor_b64 exec, exec, s[6:7]
	s_cbranch_execz .LBB43_402
.LBB43_2452:
	v_cmp_ne_u16_e32 vcc, 0, v11
	s_andn2_b64 s[4:5], s[4:5], exec
	s_and_b64 s[8:9], vcc, exec
	v_mov_b32_e32 v10, 0
	s_or_b64 s[4:5], s[4:5], s[8:9]
	s_or_b64 exec, exec, s[6:7]
	s_and_saveexec_b64 s[6:7], s[4:5]
	s_cbranch_execnz .LBB43_403
	s_branch .LBB43_404
.LBB43_2453:
	s_movk_i32 s4, 0x80
	v_cmp_eq_u16_e32 vcc, s4, v11
	s_mov_b64 s[4:5], -1
                                        ; implicit-def: $sgpr10
	s_and_saveexec_b64 s[8:9], vcc
; %bb.2454:
	s_mov_b32 s10, 0x7f800001
	s_xor_b64 s[4:5], exec, -1
; %bb.2455:
	s_or_b64 exec, exec, s[8:9]
	s_and_b64 s[4:5], s[4:5], exec
                                        ; implicit-def: $vgpr11
	s_or_saveexec_b64 s[6:7], s[6:7]
	v_mov_b32_e32 v12, s10
	s_xor_b64 exec, exec, s[6:7]
	s_cbranch_execz .LBB43_406
.LBB43_2456:
	v_cmp_ne_u16_e32 vcc, 0, v11
	s_andn2_b64 s[4:5], s[4:5], exec
	s_and_b64 s[8:9], vcc, exec
	v_mov_b32_e32 v12, 0
	s_or_b64 s[4:5], s[4:5], s[8:9]
	s_or_b64 exec, exec, s[6:7]
	s_and_saveexec_b64 s[6:7], s[4:5]
	s_cbranch_execnz .LBB43_407
	s_branch .LBB43_408
.LBB43_2457:
	s_movk_i32 s4, 0x80
	v_cmp_eq_u16_sdwa s[12:13], v6, s4 src0_sel:BYTE_3 src1_sel:DWORD
	s_mov_b64 s[4:5], -1
                                        ; implicit-def: $sgpr10
	s_and_saveexec_b64 s[8:9], s[12:13]
; %bb.2458:
	s_mov_b32 s10, 0x7f800001
	s_xor_b64 s[4:5], exec, -1
; %bb.2459:
	s_or_b64 exec, exec, s[8:9]
	s_and_b64 s[4:5], s[4:5], exec
	s_or_saveexec_b64 s[6:7], s[6:7]
	v_mov_b32_e32 v10, s10
	s_xor_b64 exec, exec, s[6:7]
	s_cbranch_execz .LBB43_410
.LBB43_2460:
	v_mov_b32_e32 v10, 0
	v_cmp_ne_u16_sdwa s[8:9], v6, v10 src0_sel:BYTE_3 src1_sel:DWORD
	s_andn2_b64 s[4:5], s[4:5], exec
	s_and_b64 s[8:9], s[8:9], exec
	s_or_b64 s[4:5], s[4:5], s[8:9]
	s_or_b64 exec, exec, s[6:7]
	s_and_saveexec_b64 s[6:7], s[4:5]
	s_cbranch_execnz .LBB43_411
	s_branch .LBB43_412
.LBB43_2461:
	s_movk_i32 s4, 0x80
	v_cmp_eq_u16_sdwa s[12:13], v2, s4 src0_sel:BYTE_3 src1_sel:DWORD
	s_mov_b64 s[4:5], -1
                                        ; implicit-def: $sgpr10
	s_and_saveexec_b64 s[8:9], s[12:13]
; %bb.2462:
	s_mov_b32 s10, 0x7f800001
	s_xor_b64 s[4:5], exec, -1
; %bb.2463:
	s_or_b64 exec, exec, s[8:9]
	s_and_b64 s[4:5], s[4:5], exec
	s_or_saveexec_b64 s[6:7], s[6:7]
	v_mov_b32_e32 v6, s10
	s_xor_b64 exec, exec, s[6:7]
	s_cbranch_execz .LBB43_414
.LBB43_2464:
	v_mov_b32_e32 v6, 0
	v_cmp_ne_u16_sdwa s[8:9], v2, v6 src0_sel:BYTE_3 src1_sel:DWORD
	s_andn2_b64 s[4:5], s[4:5], exec
	s_and_b64 s[8:9], s[8:9], exec
	s_or_b64 s[4:5], s[4:5], s[8:9]
	s_or_b64 exec, exec, s[6:7]
	s_and_saveexec_b64 s[6:7], s[4:5]
	s_cbranch_execnz .LBB43_415
	s_branch .LBB43_416
.LBB43_2465:
	s_movk_i32 s4, 0x80
	v_cmp_eq_u16_sdwa s[12:13], v7, s4 src0_sel:BYTE_0 src1_sel:DWORD
	s_mov_b64 s[4:5], -1
                                        ; implicit-def: $sgpr10
	s_and_saveexec_b64 s[8:9], s[12:13]
; %bb.2466:
	s_mov_b32 s10, 0x7f800001
	s_xor_b64 s[4:5], exec, -1
; %bb.2467:
	s_or_b64 exec, exec, s[8:9]
	s_and_b64 s[4:5], s[4:5], exec
	s_or_saveexec_b64 s[6:7], s[6:7]
	v_mov_b32_e32 v2, s10
	s_xor_b64 exec, exec, s[6:7]
	s_cbranch_execz .LBB43_418
.LBB43_2468:
	v_mov_b32_e32 v2, 0
	v_cmp_ne_u16_sdwa s[8:9], v7, v2 src0_sel:BYTE_0 src1_sel:DWORD
	s_andn2_b64 s[4:5], s[4:5], exec
	s_and_b64 s[8:9], s[8:9], exec
	s_or_b64 s[4:5], s[4:5], s[8:9]
	s_or_b64 exec, exec, s[6:7]
	s_and_saveexec_b64 s[6:7], s[4:5]
	s_cbranch_execnz .LBB43_419
	s_branch .LBB43_420
.LBB43_2469:
	s_movk_i32 s4, 0x80
	v_cmp_eq_u16_sdwa s[12:13], v3, s4 src0_sel:BYTE_0 src1_sel:DWORD
	s_mov_b64 s[4:5], -1
                                        ; implicit-def: $sgpr10
	s_and_saveexec_b64 s[8:9], s[12:13]
; %bb.2470:
	s_mov_b32 s10, 0x7f800001
	s_xor_b64 s[4:5], exec, -1
; %bb.2471:
	s_or_b64 exec, exec, s[8:9]
	s_and_b64 s[4:5], s[4:5], exec
	s_or_saveexec_b64 s[6:7], s[6:7]
	v_mov_b32_e32 v6, s10
	s_xor_b64 exec, exec, s[6:7]
	s_cbranch_execz .LBB43_422
.LBB43_2472:
	v_mov_b32_e32 v6, 0
	v_cmp_ne_u16_sdwa s[8:9], v3, v6 src0_sel:BYTE_0 src1_sel:DWORD
	s_andn2_b64 s[4:5], s[4:5], exec
	s_and_b64 s[8:9], s[8:9], exec
	s_or_b64 s[4:5], s[4:5], s[8:9]
	s_or_b64 exec, exec, s[6:7]
	s_and_saveexec_b64 s[6:7], s[4:5]
	s_cbranch_execnz .LBB43_423
	s_branch .LBB43_424
.LBB43_2473:
	s_movk_i32 s4, 0x80
	v_cmp_eq_u16_sdwa s[12:13], v6, s4 src0_sel:BYTE_0 src1_sel:DWORD
	s_mov_b64 s[4:5], -1
                                        ; implicit-def: $sgpr10
	s_and_saveexec_b64 s[8:9], s[12:13]
; %bb.2474:
	s_mov_b32 s10, 0x7f800001
	s_xor_b64 s[4:5], exec, -1
; %bb.2475:
	s_or_b64 exec, exec, s[8:9]
	s_and_b64 s[4:5], s[4:5], exec
	s_or_saveexec_b64 s[6:7], s[6:7]
	v_mov_b32_e32 v2, s10
	s_xor_b64 exec, exec, s[6:7]
	s_cbranch_execz .LBB43_426
.LBB43_2476:
	v_mov_b32_e32 v2, 0
	v_cmp_ne_u16_sdwa s[8:9], v6, v2 src0_sel:BYTE_0 src1_sel:DWORD
	s_andn2_b64 s[4:5], s[4:5], exec
	s_and_b64 s[8:9], s[8:9], exec
	s_or_b64 s[4:5], s[4:5], s[8:9]
	s_or_b64 exec, exec, s[6:7]
	s_and_saveexec_b64 s[6:7], s[4:5]
	s_cbranch_execnz .LBB43_427
	s_branch .LBB43_428
.LBB43_2477:
	s_movk_i32 s4, 0x80
	v_cmp_eq_u16_sdwa s[12:13], v6, s4 src0_sel:BYTE_0 src1_sel:DWORD
	s_mov_b64 s[4:5], -1
                                        ; implicit-def: $sgpr10
	s_and_saveexec_b64 s[8:9], s[12:13]
; %bb.2478:
	s_mov_b32 s10, 0x7f800001
	s_xor_b64 s[4:5], exec, -1
; %bb.2479:
	s_or_b64 exec, exec, s[8:9]
	s_and_b64 s[4:5], s[4:5], exec
	s_or_saveexec_b64 s[6:7], s[6:7]
	v_mov_b32_e32 v10, s10
	s_xor_b64 exec, exec, s[6:7]
	s_cbranch_execz .LBB43_430
.LBB43_2480:
	v_mov_b32_e32 v10, 0
	v_cmp_ne_u16_sdwa s[8:9], v6, v10 src0_sel:BYTE_0 src1_sel:DWORD
	s_andn2_b64 s[4:5], s[4:5], exec
	s_and_b64 s[8:9], s[8:9], exec
	s_or_b64 s[4:5], s[4:5], s[8:9]
	s_or_b64 exec, exec, s[6:7]
	s_and_saveexec_b64 s[6:7], s[4:5]
	s_cbranch_execnz .LBB43_431
	s_branch .LBB43_432
.LBB43_2481:
	s_movk_i32 s4, 0x80
	v_cmp_eq_u16_e32 vcc, s4, v6
	s_mov_b64 s[4:5], -1
                                        ; implicit-def: $sgpr10
	s_and_saveexec_b64 s[8:9], vcc
; %bb.2482:
	s_mov_b32 s10, 0x7f800001
	s_xor_b64 s[4:5], exec, -1
; %bb.2483:
	s_or_b64 exec, exec, s[8:9]
	s_and_b64 s[4:5], s[4:5], exec
                                        ; implicit-def: $vgpr6
	s_or_saveexec_b64 s[6:7], s[6:7]
	v_mov_b32_e32 v2, s10
	s_xor_b64 exec, exec, s[6:7]
	s_cbranch_execz .LBB43_434
.LBB43_2484:
	v_cmp_ne_u16_e32 vcc, 0, v6
	s_andn2_b64 s[4:5], s[4:5], exec
	s_and_b64 s[8:9], vcc, exec
	v_mov_b32_e32 v2, 0
	s_or_b64 s[4:5], s[4:5], s[8:9]
	s_or_b64 exec, exec, s[6:7]
	s_and_saveexec_b64 s[6:7], s[4:5]
	s_cbranch_execnz .LBB43_435
	s_branch .LBB43_436
.LBB43_2485:
	s_movk_i32 s4, 0x80
	v_cmp_eq_u16_e32 vcc, s4, v6
	s_mov_b64 s[4:5], -1
                                        ; implicit-def: $sgpr10
	s_and_saveexec_b64 s[8:9], vcc
; %bb.2486:
	s_mov_b32 s10, 0x7f800001
	s_xor_b64 s[4:5], exec, -1
; %bb.2487:
	s_or_b64 exec, exec, s[8:9]
	s_and_b64 s[4:5], s[4:5], exec
                                        ; implicit-def: $vgpr6
	s_or_saveexec_b64 s[6:7], s[6:7]
	v_mov_b32_e32 v10, s10
	s_xor_b64 exec, exec, s[6:7]
	s_cbranch_execz .LBB43_438
.LBB43_2488:
	v_cmp_ne_u16_e32 vcc, 0, v6
	s_andn2_b64 s[4:5], s[4:5], exec
	s_and_b64 s[8:9], vcc, exec
	v_mov_b32_e32 v10, 0
	s_or_b64 s[4:5], s[4:5], s[8:9]
	s_or_b64 exec, exec, s[6:7]
	s_and_saveexec_b64 s[6:7], s[4:5]
	s_cbranch_execnz .LBB43_439
	s_branch .LBB43_440
.LBB43_2489:
	s_movk_i32 s4, 0x80
	v_cmp_eq_u16_sdwa s[12:13], v7, s4 src0_sel:BYTE_3 src1_sel:DWORD
	s_mov_b64 s[4:5], -1
                                        ; implicit-def: $sgpr10
	s_and_saveexec_b64 s[8:9], s[12:13]
; %bb.2490:
	s_mov_b32 s10, 0x7f800001
	s_xor_b64 s[4:5], exec, -1
; %bb.2491:
	s_or_b64 exec, exec, s[8:9]
	s_and_b64 s[4:5], s[4:5], exec
	s_or_saveexec_b64 s[6:7], s[6:7]
	v_mov_b32_e32 v2, s10
	s_xor_b64 exec, exec, s[6:7]
	s_cbranch_execz .LBB43_442
.LBB43_2492:
	v_mov_b32_e32 v2, 0
	v_cmp_ne_u16_sdwa s[8:9], v7, v2 src0_sel:BYTE_3 src1_sel:DWORD
	s_andn2_b64 s[4:5], s[4:5], exec
	s_and_b64 s[8:9], s[8:9], exec
	s_or_b64 s[4:5], s[4:5], s[8:9]
	s_or_b64 exec, exec, s[6:7]
	s_and_saveexec_b64 s[6:7], s[4:5]
	s_cbranch_execnz .LBB43_443
	s_branch .LBB43_444
.LBB43_2493:
	s_movk_i32 s4, 0x80
	v_cmp_eq_u16_sdwa s[12:13], v3, s4 src0_sel:BYTE_3 src1_sel:DWORD
	s_mov_b64 s[4:5], -1
                                        ; implicit-def: $sgpr10
	s_and_saveexec_b64 s[8:9], s[12:13]
; %bb.2494:
	s_mov_b32 s10, 0x7f800001
	s_xor_b64 s[4:5], exec, -1
; %bb.2495:
	s_or_b64 exec, exec, s[8:9]
	s_and_b64 s[4:5], s[4:5], exec
	s_or_saveexec_b64 s[6:7], s[6:7]
	v_mov_b32_e32 v6, s10
	s_xor_b64 exec, exec, s[6:7]
	s_cbranch_execz .LBB43_446
.LBB43_2496:
	v_mov_b32_e32 v6, 0
	v_cmp_ne_u16_sdwa s[8:9], v3, v6 src0_sel:BYTE_3 src1_sel:DWORD
	s_andn2_b64 s[4:5], s[4:5], exec
	s_and_b64 s[8:9], s[8:9], exec
	s_or_b64 s[4:5], s[4:5], s[8:9]
	s_or_b64 exec, exec, s[6:7]
	s_and_saveexec_b64 s[6:7], s[4:5]
	s_cbranch_execnz .LBB43_447
	s_branch .LBB43_448
.LBB43_2497:
	s_movk_i32 s4, 0x80
	v_cmp_eq_u16_sdwa s[12:13], v8, s4 src0_sel:BYTE_0 src1_sel:DWORD
	s_mov_b64 s[4:5], -1
                                        ; implicit-def: $sgpr10
	s_and_saveexec_b64 s[8:9], s[12:13]
; %bb.2498:
	s_mov_b32 s10, 0x7f800001
	s_xor_b64 s[4:5], exec, -1
; %bb.2499:
	s_or_b64 exec, exec, s[8:9]
	s_and_b64 s[4:5], s[4:5], exec
	s_or_saveexec_b64 s[6:7], s[6:7]
	v_mov_b32_e32 v2, s10
	s_xor_b64 exec, exec, s[6:7]
	s_cbranch_execz .LBB43_450
.LBB43_2500:
	v_mov_b32_e32 v2, 0
	v_cmp_ne_u16_sdwa s[8:9], v8, v2 src0_sel:BYTE_0 src1_sel:DWORD
	s_andn2_b64 s[4:5], s[4:5], exec
	s_and_b64 s[8:9], s[8:9], exec
	s_or_b64 s[4:5], s[4:5], s[8:9]
	s_or_b64 exec, exec, s[6:7]
	s_and_saveexec_b64 s[6:7], s[4:5]
	s_cbranch_execnz .LBB43_451
	s_branch .LBB43_452
.LBB43_2501:
	s_movk_i32 s4, 0x80
	v_cmp_eq_u16_sdwa s[12:13], v4, s4 src0_sel:BYTE_0 src1_sel:DWORD
	s_mov_b64 s[4:5], -1
                                        ; implicit-def: $sgpr10
	s_and_saveexec_b64 s[8:9], s[12:13]
; %bb.2502:
	s_mov_b32 s10, 0x7f800001
	s_xor_b64 s[4:5], exec, -1
; %bb.2503:
	s_or_b64 exec, exec, s[8:9]
	s_and_b64 s[4:5], s[4:5], exec
	s_or_saveexec_b64 s[6:7], s[6:7]
	v_mov_b32_e32 v3, s10
	s_xor_b64 exec, exec, s[6:7]
	s_cbranch_execz .LBB43_454
.LBB43_2504:
	v_mov_b32_e32 v3, 0
	v_cmp_ne_u16_sdwa s[8:9], v4, v3 src0_sel:BYTE_0 src1_sel:DWORD
	s_andn2_b64 s[4:5], s[4:5], exec
	s_and_b64 s[8:9], s[8:9], exec
	s_or_b64 s[4:5], s[4:5], s[8:9]
	s_or_b64 exec, exec, s[6:7]
	s_and_saveexec_b64 s[6:7], s[4:5]
	s_cbranch_execnz .LBB43_455
	s_branch .LBB43_456
.LBB43_2505:
	s_movk_i32 s4, 0x80
	v_cmp_eq_u16_sdwa s[12:13], v3, s4 src0_sel:BYTE_0 src1_sel:DWORD
	s_mov_b64 s[4:5], -1
                                        ; implicit-def: $sgpr10
	s_and_saveexec_b64 s[8:9], s[12:13]
; %bb.2506:
	s_mov_b32 s10, 0x7f800001
	s_xor_b64 s[4:5], exec, -1
; %bb.2507:
	s_or_b64 exec, exec, s[8:9]
	s_and_b64 s[4:5], s[4:5], exec
	s_or_saveexec_b64 s[6:7], s[6:7]
	v_mov_b32_e32 v2, s10
	s_xor_b64 exec, exec, s[6:7]
	s_cbranch_execz .LBB43_458
.LBB43_2508:
	v_mov_b32_e32 v2, 0
	v_cmp_ne_u16_sdwa s[8:9], v3, v2 src0_sel:BYTE_0 src1_sel:DWORD
	s_andn2_b64 s[4:5], s[4:5], exec
	s_and_b64 s[8:9], s[8:9], exec
	s_or_b64 s[4:5], s[4:5], s[8:9]
	s_or_b64 exec, exec, s[6:7]
	s_and_saveexec_b64 s[6:7], s[4:5]
	s_cbranch_execnz .LBB43_459
	s_branch .LBB43_460
.LBB43_2509:
	s_movk_i32 s4, 0x80
	v_cmp_eq_u16_sdwa s[12:13], v3, s4 src0_sel:BYTE_0 src1_sel:DWORD
	s_mov_b64 s[4:5], -1
                                        ; implicit-def: $sgpr10
	s_and_saveexec_b64 s[8:9], s[12:13]
; %bb.2510:
	s_mov_b32 s10, 0x7f800001
	s_xor_b64 s[4:5], exec, -1
; %bb.2511:
	s_or_b64 exec, exec, s[8:9]
	s_and_b64 s[4:5], s[4:5], exec
	s_or_saveexec_b64 s[6:7], s[6:7]
	v_mov_b32_e32 v6, s10
	s_xor_b64 exec, exec, s[6:7]
	s_cbranch_execz .LBB43_462
.LBB43_2512:
	v_mov_b32_e32 v6, 0
	v_cmp_ne_u16_sdwa s[8:9], v3, v6 src0_sel:BYTE_0 src1_sel:DWORD
	s_andn2_b64 s[4:5], s[4:5], exec
	s_and_b64 s[8:9], s[8:9], exec
	s_or_b64 s[4:5], s[4:5], s[8:9]
	s_or_b64 exec, exec, s[6:7]
	s_and_saveexec_b64 s[6:7], s[4:5]
	s_cbranch_execnz .LBB43_463
	s_branch .LBB43_464
.LBB43_2513:
	s_movk_i32 s4, 0x80
	v_cmp_eq_u16_e32 vcc, s4, v3
	s_mov_b64 s[4:5], -1
                                        ; implicit-def: $sgpr10
	s_and_saveexec_b64 s[8:9], vcc
; %bb.2514:
	s_mov_b32 s10, 0x7f800001
	s_xor_b64 s[4:5], exec, -1
; %bb.2515:
	s_or_b64 exec, exec, s[8:9]
	s_and_b64 s[4:5], s[4:5], exec
                                        ; implicit-def: $vgpr3
	s_or_saveexec_b64 s[6:7], s[6:7]
	v_mov_b32_e32 v2, s10
	s_xor_b64 exec, exec, s[6:7]
	s_cbranch_execz .LBB43_466
.LBB43_2516:
	v_cmp_ne_u16_e32 vcc, 0, v3
	s_andn2_b64 s[4:5], s[4:5], exec
	s_and_b64 s[8:9], vcc, exec
	v_mov_b32_e32 v2, 0
	s_or_b64 s[4:5], s[4:5], s[8:9]
	s_or_b64 exec, exec, s[6:7]
	s_and_saveexec_b64 s[6:7], s[4:5]
	s_cbranch_execnz .LBB43_467
	s_branch .LBB43_468
.LBB43_2517:
	s_movk_i32 s4, 0x80
	v_cmp_eq_u16_e32 vcc, s4, v3
	s_mov_b64 s[4:5], -1
                                        ; implicit-def: $sgpr10
	s_and_saveexec_b64 s[8:9], vcc
; %bb.2518:
	s_mov_b32 s10, 0x7f800001
	s_xor_b64 s[4:5], exec, -1
; %bb.2519:
	s_or_b64 exec, exec, s[8:9]
	s_and_b64 s[4:5], s[4:5], exec
                                        ; implicit-def: $vgpr3
	s_or_saveexec_b64 s[6:7], s[6:7]
	v_mov_b32_e32 v6, s10
	s_xor_b64 exec, exec, s[6:7]
	s_cbranch_execz .LBB43_470
.LBB43_2520:
	v_cmp_ne_u16_e32 vcc, 0, v3
	s_andn2_b64 s[4:5], s[4:5], exec
	s_and_b64 s[8:9], vcc, exec
	v_mov_b32_e32 v6, 0
	s_or_b64 s[4:5], s[4:5], s[8:9]
	s_or_b64 exec, exec, s[6:7]
	s_and_saveexec_b64 s[6:7], s[4:5]
	s_cbranch_execnz .LBB43_471
	s_branch .LBB43_472
.LBB43_2521:
	s_movk_i32 s4, 0x80
	v_cmp_eq_u16_sdwa s[12:13], v8, s4 src0_sel:BYTE_3 src1_sel:DWORD
	s_mov_b64 s[4:5], -1
                                        ; implicit-def: $sgpr10
	s_and_saveexec_b64 s[8:9], s[12:13]
; %bb.2522:
	s_mov_b32 s10, 0x7f800001
	s_xor_b64 s[4:5], exec, -1
; %bb.2523:
	s_or_b64 exec, exec, s[8:9]
	s_and_b64 s[4:5], s[4:5], exec
	s_or_saveexec_b64 s[6:7], s[6:7]
	v_mov_b32_e32 v2, s10
	s_xor_b64 exec, exec, s[6:7]
	s_cbranch_execz .LBB43_474
.LBB43_2524:
	v_mov_b32_e32 v2, 0
	v_cmp_ne_u16_sdwa s[8:9], v8, v2 src0_sel:BYTE_3 src1_sel:DWORD
	s_andn2_b64 s[4:5], s[4:5], exec
	s_and_b64 s[8:9], s[8:9], exec
	s_or_b64 s[4:5], s[4:5], s[8:9]
	s_or_b64 exec, exec, s[6:7]
	s_and_saveexec_b64 s[6:7], s[4:5]
	s_cbranch_execnz .LBB43_475
	s_branch .LBB43_476
.LBB43_2525:
	s_movk_i32 s4, 0x80
	v_cmp_eq_u16_sdwa s[12:13], v4, s4 src0_sel:BYTE_3 src1_sel:DWORD
	s_mov_b64 s[4:5], -1
                                        ; implicit-def: $sgpr10
	s_and_saveexec_b64 s[8:9], s[12:13]
; %bb.2526:
	s_mov_b32 s10, 0x7f800001
	s_xor_b64 s[4:5], exec, -1
; %bb.2527:
	s_or_b64 exec, exec, s[8:9]
	s_and_b64 s[4:5], s[4:5], exec
	s_or_saveexec_b64 s[6:7], s[6:7]
	v_mov_b32_e32 v3, s10
	s_xor_b64 exec, exec, s[6:7]
	s_cbranch_execz .LBB43_478
.LBB43_2528:
	v_mov_b32_e32 v3, 0
	v_cmp_ne_u16_sdwa s[8:9], v4, v3 src0_sel:BYTE_3 src1_sel:DWORD
	s_andn2_b64 s[4:5], s[4:5], exec
	s_and_b64 s[8:9], s[8:9], exec
	s_or_b64 s[4:5], s[4:5], s[8:9]
	s_or_b64 exec, exec, s[6:7]
	s_and_saveexec_b64 s[6:7], s[4:5]
	s_cbranch_execnz .LBB43_479
	s_branch .LBB43_480
.LBB43_2529:
	s_movk_i32 s4, 0x80
	v_cmp_eq_u16_sdwa s[12:13], v9, s4 src0_sel:BYTE_0 src1_sel:DWORD
	s_mov_b64 s[4:5], -1
                                        ; implicit-def: $sgpr10
	s_and_saveexec_b64 s[8:9], s[12:13]
; %bb.2530:
	s_mov_b32 s10, 0x7f800001
	s_xor_b64 s[4:5], exec, -1
; %bb.2531:
	s_or_b64 exec, exec, s[8:9]
	s_and_b64 s[4:5], s[4:5], exec
	s_or_saveexec_b64 s[6:7], s[6:7]
	v_mov_b32_e32 v2, s10
	s_xor_b64 exec, exec, s[6:7]
	s_cbranch_execz .LBB43_482
.LBB43_2532:
	v_mov_b32_e32 v2, 0
	v_cmp_ne_u16_sdwa s[8:9], v9, v2 src0_sel:BYTE_0 src1_sel:DWORD
	s_andn2_b64 s[4:5], s[4:5], exec
	s_and_b64 s[8:9], s[8:9], exec
	s_or_b64 s[4:5], s[4:5], s[8:9]
	s_or_b64 exec, exec, s[6:7]
	s_and_saveexec_b64 s[6:7], s[4:5]
	s_cbranch_execnz .LBB43_483
	s_branch .LBB43_484
.LBB43_2533:
	s_movk_i32 s4, 0x80
	v_cmp_eq_u16_sdwa s[12:13], v5, s4 src0_sel:BYTE_0 src1_sel:DWORD
	s_mov_b64 s[4:5], -1
                                        ; implicit-def: $sgpr10
	s_and_saveexec_b64 s[8:9], s[12:13]
; %bb.2534:
	s_mov_b32 s10, 0x7f800001
	s_xor_b64 s[4:5], exec, -1
; %bb.2535:
	s_or_b64 exec, exec, s[8:9]
	s_and_b64 s[4:5], s[4:5], exec
	s_or_saveexec_b64 s[6:7], s[6:7]
	v_mov_b32_e32 v3, s10
	s_xor_b64 exec, exec, s[6:7]
	s_cbranch_execz .LBB43_486
.LBB43_2536:
	v_mov_b32_e32 v3, 0
	v_cmp_ne_u16_sdwa s[8:9], v5, v3 src0_sel:BYTE_0 src1_sel:DWORD
	s_andn2_b64 s[4:5], s[4:5], exec
	s_and_b64 s[8:9], s[8:9], exec
	s_or_b64 s[4:5], s[4:5], s[8:9]
	s_or_b64 exec, exec, s[6:7]
	s_and_saveexec_b64 s[6:7], s[4:5]
	s_cbranch_execnz .LBB43_487
	s_branch .LBB43_488
.LBB43_2537:
	s_movk_i32 s4, 0x80
	v_cmp_eq_u16_sdwa s[12:13], v3, s4 src0_sel:BYTE_0 src1_sel:DWORD
	s_mov_b64 s[4:5], -1
                                        ; implicit-def: $sgpr10
	s_and_saveexec_b64 s[8:9], s[12:13]
; %bb.2538:
	s_mov_b32 s10, 0x7f800001
	s_xor_b64 s[4:5], exec, -1
; %bb.2539:
	s_or_b64 exec, exec, s[8:9]
	s_and_b64 s[4:5], s[4:5], exec
	s_or_saveexec_b64 s[6:7], s[6:7]
	v_mov_b32_e32 v2, s10
	s_xor_b64 exec, exec, s[6:7]
	s_cbranch_execz .LBB43_490
.LBB43_2540:
	v_mov_b32_e32 v2, 0
	v_cmp_ne_u16_sdwa s[8:9], v3, v2 src0_sel:BYTE_0 src1_sel:DWORD
	s_andn2_b64 s[4:5], s[4:5], exec
	s_and_b64 s[8:9], s[8:9], exec
	s_or_b64 s[4:5], s[4:5], s[8:9]
	s_or_b64 exec, exec, s[6:7]
	s_and_saveexec_b64 s[6:7], s[4:5]
	s_cbranch_execnz .LBB43_491
	s_branch .LBB43_492
.LBB43_2541:
	s_movk_i32 s4, 0x80
	v_cmp_eq_u16_sdwa s[12:13], v3, s4 src0_sel:BYTE_0 src1_sel:DWORD
	s_mov_b64 s[4:5], -1
                                        ; implicit-def: $sgpr10
	s_and_saveexec_b64 s[8:9], s[12:13]
; %bb.2542:
	s_mov_b32 s10, 0x7f800001
	s_xor_b64 s[4:5], exec, -1
; %bb.2543:
	s_or_b64 exec, exec, s[8:9]
	s_and_b64 s[4:5], s[4:5], exec
	s_or_saveexec_b64 s[6:7], s[6:7]
	v_mov_b32_e32 v4, s10
	s_xor_b64 exec, exec, s[6:7]
	s_cbranch_execz .LBB43_494
.LBB43_2544:
	v_mov_b32_e32 v4, 0
	v_cmp_ne_u16_sdwa s[8:9], v3, v4 src0_sel:BYTE_0 src1_sel:DWORD
	s_andn2_b64 s[4:5], s[4:5], exec
	s_and_b64 s[8:9], s[8:9], exec
	s_or_b64 s[4:5], s[4:5], s[8:9]
	s_or_b64 exec, exec, s[6:7]
	s_and_saveexec_b64 s[6:7], s[4:5]
	s_cbranch_execnz .LBB43_495
	s_branch .LBB43_496
.LBB43_2545:
	s_movk_i32 s4, 0x80
	v_cmp_eq_u16_e32 vcc, s4, v3
	s_mov_b64 s[4:5], -1
                                        ; implicit-def: $sgpr10
	s_and_saveexec_b64 s[8:9], vcc
; %bb.2546:
	s_mov_b32 s10, 0x7f800001
	s_xor_b64 s[4:5], exec, -1
; %bb.2547:
	s_or_b64 exec, exec, s[8:9]
	s_and_b64 s[4:5], s[4:5], exec
                                        ; implicit-def: $vgpr3
	s_or_saveexec_b64 s[6:7], s[6:7]
	v_mov_b32_e32 v2, s10
	s_xor_b64 exec, exec, s[6:7]
	s_cbranch_execz .LBB43_498
.LBB43_2548:
	v_cmp_ne_u16_e32 vcc, 0, v3
	s_andn2_b64 s[4:5], s[4:5], exec
	s_and_b64 s[8:9], vcc, exec
	v_mov_b32_e32 v2, 0
	s_or_b64 s[4:5], s[4:5], s[8:9]
	s_or_b64 exec, exec, s[6:7]
	s_and_saveexec_b64 s[6:7], s[4:5]
	s_cbranch_execnz .LBB43_499
	s_branch .LBB43_500
.LBB43_2549:
	s_movk_i32 s4, 0x80
	v_cmp_eq_u16_e32 vcc, s4, v3
	s_mov_b64 s[4:5], -1
                                        ; implicit-def: $sgpr10
	s_and_saveexec_b64 s[8:9], vcc
; %bb.2550:
	s_mov_b32 s10, 0x7f800001
	s_xor_b64 s[4:5], exec, -1
; %bb.2551:
	s_or_b64 exec, exec, s[8:9]
	s_and_b64 s[4:5], s[4:5], exec
                                        ; implicit-def: $vgpr3
	s_or_saveexec_b64 s[6:7], s[6:7]
	v_mov_b32_e32 v4, s10
	s_xor_b64 exec, exec, s[6:7]
	s_cbranch_execz .LBB43_502
.LBB43_2552:
	v_cmp_ne_u16_e32 vcc, 0, v3
	s_andn2_b64 s[4:5], s[4:5], exec
	s_and_b64 s[8:9], vcc, exec
	v_mov_b32_e32 v4, 0
	s_or_b64 s[4:5], s[4:5], s[8:9]
	s_or_b64 exec, exec, s[6:7]
	s_and_saveexec_b64 s[6:7], s[4:5]
	s_cbranch_execnz .LBB43_503
	s_branch .LBB43_504
.LBB43_2553:
	s_movk_i32 s4, 0x80
	v_cmp_eq_u16_sdwa s[12:13], v9, s4 src0_sel:BYTE_3 src1_sel:DWORD
	s_mov_b64 s[4:5], -1
                                        ; implicit-def: $sgpr10
	s_and_saveexec_b64 s[8:9], s[12:13]
; %bb.2554:
	s_mov_b32 s10, 0x7f800001
	s_xor_b64 s[4:5], exec, -1
; %bb.2555:
	s_or_b64 exec, exec, s[8:9]
	s_and_b64 s[4:5], s[4:5], exec
	s_or_saveexec_b64 s[6:7], s[6:7]
	v_mov_b32_e32 v2, s10
	s_xor_b64 exec, exec, s[6:7]
	s_cbranch_execz .LBB43_506
.LBB43_2556:
	v_mov_b32_e32 v2, 0
	v_cmp_ne_u16_sdwa s[8:9], v9, v2 src0_sel:BYTE_3 src1_sel:DWORD
	s_andn2_b64 s[4:5], s[4:5], exec
	s_and_b64 s[8:9], s[8:9], exec
	s_or_b64 s[4:5], s[4:5], s[8:9]
	s_or_b64 exec, exec, s[6:7]
	s_and_saveexec_b64 s[6:7], s[4:5]
	s_cbranch_execnz .LBB43_507
	s_branch .LBB43_508
.LBB43_2557:
	s_movk_i32 s4, 0x80
	v_cmp_eq_u16_sdwa s[12:13], v5, s4 src0_sel:BYTE_3 src1_sel:DWORD
	s_mov_b64 s[4:5], -1
                                        ; implicit-def: $sgpr10
	s_and_saveexec_b64 s[8:9], s[12:13]
; %bb.2558:
	s_mov_b32 s10, 0x7f800001
	s_xor_b64 s[4:5], exec, -1
; %bb.2559:
	s_or_b64 exec, exec, s[8:9]
	s_and_b64 s[4:5], s[4:5], exec
	s_or_saveexec_b64 s[6:7], s[6:7]
	v_mov_b32_e32 v3, s10
	s_xor_b64 exec, exec, s[6:7]
	s_cbranch_execz .LBB43_510
.LBB43_2560:
	v_mov_b32_e32 v3, 0
	v_cmp_ne_u16_sdwa s[8:9], v5, v3 src0_sel:BYTE_3 src1_sel:DWORD
	s_andn2_b64 s[4:5], s[4:5], exec
	s_and_b64 s[8:9], s[8:9], exec
	s_or_b64 s[4:5], s[4:5], s[8:9]
	s_or_b64 exec, exec, s[6:7]
	s_and_saveexec_b64 s[6:7], s[4:5]
	s_cbranch_execnz .LBB43_511
	s_branch .LBB43_512
.LBB43_2561:
	s_movk_i32 s4, 0x80
	v_cmp_eq_u16_sdwa s[12:13], v14, s4 src0_sel:BYTE_0 src1_sel:DWORD
	s_mov_b64 s[4:5], -1
                                        ; implicit-def: $sgpr10
	s_and_saveexec_b64 s[8:9], s[12:13]
; %bb.2562:
	s_mov_b32 s10, 0x7f800001
	s_xor_b64 s[4:5], exec, -1
; %bb.2563:
	s_or_b64 exec, exec, s[8:9]
	s_and_b64 s[4:5], s[4:5], exec
	s_or_saveexec_b64 s[6:7], s[6:7]
	v_mov_b32_e32 v20, s10
	s_xor_b64 exec, exec, s[6:7]
	s_cbranch_execz .LBB43_514
.LBB43_2564:
	v_mov_b32_e32 v20, 0
	v_cmp_ne_u16_sdwa s[8:9], v14, v20 src0_sel:BYTE_0 src1_sel:DWORD
	s_andn2_b64 s[4:5], s[4:5], exec
	s_and_b64 s[8:9], s[8:9], exec
	s_or_b64 s[4:5], s[4:5], s[8:9]
	s_or_b64 exec, exec, s[6:7]
	s_and_saveexec_b64 s[6:7], s[4:5]
	s_cbranch_execnz .LBB43_515
	s_branch .LBB43_516
.LBB43_2565:
	s_movk_i32 s4, 0x80
	v_cmp_eq_u16_sdwa s[12:13], v10, s4 src0_sel:BYTE_0 src1_sel:DWORD
	s_mov_b64 s[4:5], -1
                                        ; implicit-def: $sgpr10
	s_and_saveexec_b64 s[8:9], s[12:13]
; %bb.2566:
	s_mov_b32 s10, 0x7f800001
	s_xor_b64 s[4:5], exec, -1
; %bb.2567:
	s_or_b64 exec, exec, s[8:9]
	s_and_b64 s[4:5], s[4:5], exec
	s_or_saveexec_b64 s[6:7], s[6:7]
	v_mov_b32_e32 v21, s10
	s_xor_b64 exec, exec, s[6:7]
	s_cbranch_execz .LBB43_518
.LBB43_2568:
	v_mov_b32_e32 v21, 0
	v_cmp_ne_u16_sdwa s[8:9], v10, v21 src0_sel:BYTE_0 src1_sel:DWORD
	s_andn2_b64 s[4:5], s[4:5], exec
	s_and_b64 s[8:9], s[8:9], exec
	s_or_b64 s[4:5], s[4:5], s[8:9]
	s_or_b64 exec, exec, s[6:7]
	s_and_saveexec_b64 s[6:7], s[4:5]
	s_cbranch_execnz .LBB43_519
	s_branch .LBB43_520
.LBB43_2569:
	s_movk_i32 s4, 0x80
	v_cmp_eq_u16_sdwa s[12:13], v21, s4 src0_sel:BYTE_0 src1_sel:DWORD
	s_mov_b64 s[4:5], -1
                                        ; implicit-def: $sgpr10
	s_and_saveexec_b64 s[8:9], s[12:13]
; %bb.2570:
	s_mov_b32 s10, 0x7f800001
	s_xor_b64 s[4:5], exec, -1
; %bb.2571:
	s_or_b64 exec, exec, s[8:9]
	s_and_b64 s[4:5], s[4:5], exec
	s_or_saveexec_b64 s[6:7], s[6:7]
	v_mov_b32_e32 v20, s10
	s_xor_b64 exec, exec, s[6:7]
	s_cbranch_execz .LBB43_522
.LBB43_2572:
	v_mov_b32_e32 v20, 0
	v_cmp_ne_u16_sdwa s[8:9], v21, v20 src0_sel:BYTE_0 src1_sel:DWORD
	s_andn2_b64 s[4:5], s[4:5], exec
	s_and_b64 s[8:9], s[8:9], exec
	s_or_b64 s[4:5], s[4:5], s[8:9]
	s_or_b64 exec, exec, s[6:7]
	s_and_saveexec_b64 s[6:7], s[4:5]
	s_cbranch_execnz .LBB43_523
	s_branch .LBB43_524
.LBB43_2573:
	s_movk_i32 s4, 0x80
	v_cmp_eq_u16_sdwa s[12:13], v21, s4 src0_sel:BYTE_0 src1_sel:DWORD
	s_mov_b64 s[4:5], -1
                                        ; implicit-def: $sgpr10
	s_and_saveexec_b64 s[8:9], s[12:13]
; %bb.2574:
	s_mov_b32 s10, 0x7f800001
	s_xor_b64 s[4:5], exec, -1
; %bb.2575:
	s_or_b64 exec, exec, s[8:9]
	s_and_b64 s[4:5], s[4:5], exec
	s_or_saveexec_b64 s[6:7], s[6:7]
	v_mov_b32_e32 v22, s10
	s_xor_b64 exec, exec, s[6:7]
	s_cbranch_execz .LBB43_526
.LBB43_2576:
	v_mov_b32_e32 v22, 0
	v_cmp_ne_u16_sdwa s[8:9], v21, v22 src0_sel:BYTE_0 src1_sel:DWORD
	s_andn2_b64 s[4:5], s[4:5], exec
	s_and_b64 s[8:9], s[8:9], exec
	s_or_b64 s[4:5], s[4:5], s[8:9]
	s_or_b64 exec, exec, s[6:7]
	s_and_saveexec_b64 s[6:7], s[4:5]
	s_cbranch_execnz .LBB43_527
	s_branch .LBB43_528
.LBB43_2577:
	s_movk_i32 s4, 0x80
	v_cmp_eq_u16_e32 vcc, s4, v21
	s_mov_b64 s[4:5], -1
                                        ; implicit-def: $sgpr10
	s_and_saveexec_b64 s[8:9], vcc
; %bb.2578:
	s_mov_b32 s10, 0x7f800001
	s_xor_b64 s[4:5], exec, -1
; %bb.2579:
	s_or_b64 exec, exec, s[8:9]
	s_and_b64 s[4:5], s[4:5], exec
                                        ; implicit-def: $vgpr21
	s_or_saveexec_b64 s[6:7], s[6:7]
	v_mov_b32_e32 v20, s10
	s_xor_b64 exec, exec, s[6:7]
	s_cbranch_execz .LBB43_530
.LBB43_2580:
	v_cmp_ne_u16_e32 vcc, 0, v21
	s_andn2_b64 s[4:5], s[4:5], exec
	s_and_b64 s[8:9], vcc, exec
	v_mov_b32_e32 v20, 0
	s_or_b64 s[4:5], s[4:5], s[8:9]
	s_or_b64 exec, exec, s[6:7]
	s_and_saveexec_b64 s[6:7], s[4:5]
	s_cbranch_execnz .LBB43_531
	s_branch .LBB43_532
.LBB43_2581:
	s_movk_i32 s4, 0x80
	v_cmp_eq_u16_e32 vcc, s4, v21
	s_mov_b64 s[4:5], -1
                                        ; implicit-def: $sgpr10
	s_and_saveexec_b64 s[8:9], vcc
; %bb.2582:
	s_mov_b32 s10, 0x7f800001
	s_xor_b64 s[4:5], exec, -1
; %bb.2583:
	s_or_b64 exec, exec, s[8:9]
	s_and_b64 s[4:5], s[4:5], exec
                                        ; implicit-def: $vgpr21
	s_or_saveexec_b64 s[6:7], s[6:7]
	v_mov_b32_e32 v22, s10
	s_xor_b64 exec, exec, s[6:7]
	s_cbranch_execz .LBB43_534
.LBB43_2584:
	v_cmp_ne_u16_e32 vcc, 0, v21
	s_andn2_b64 s[4:5], s[4:5], exec
	s_and_b64 s[8:9], vcc, exec
	v_mov_b32_e32 v22, 0
	s_or_b64 s[4:5], s[4:5], s[8:9]
	s_or_b64 exec, exec, s[6:7]
	s_and_saveexec_b64 s[6:7], s[4:5]
	s_cbranch_execnz .LBB43_535
	s_branch .LBB43_536
.LBB43_2585:
	s_movk_i32 s4, 0x80
	v_cmp_eq_u16_sdwa s[12:13], v14, s4 src0_sel:BYTE_3 src1_sel:DWORD
	s_mov_b64 s[4:5], -1
                                        ; implicit-def: $sgpr10
	s_and_saveexec_b64 s[8:9], s[12:13]
; %bb.2586:
	s_mov_b32 s10, 0x7f800001
	s_xor_b64 s[4:5], exec, -1
; %bb.2587:
	s_or_b64 exec, exec, s[8:9]
	s_and_b64 s[4:5], s[4:5], exec
	s_or_saveexec_b64 s[6:7], s[6:7]
	v_mov_b32_e32 v20, s10
	s_xor_b64 exec, exec, s[6:7]
	s_cbranch_execz .LBB43_538
.LBB43_2588:
	v_mov_b32_e32 v20, 0
	v_cmp_ne_u16_sdwa s[8:9], v14, v20 src0_sel:BYTE_3 src1_sel:DWORD
	s_andn2_b64 s[4:5], s[4:5], exec
	s_and_b64 s[8:9], s[8:9], exec
	s_or_b64 s[4:5], s[4:5], s[8:9]
	s_or_b64 exec, exec, s[6:7]
	s_and_saveexec_b64 s[6:7], s[4:5]
	s_cbranch_execnz .LBB43_539
	s_branch .LBB43_540
.LBB43_2589:
	s_movk_i32 s4, 0x80
	v_cmp_eq_u16_sdwa s[12:13], v10, s4 src0_sel:BYTE_3 src1_sel:DWORD
	s_mov_b64 s[4:5], -1
                                        ; implicit-def: $sgpr10
	s_and_saveexec_b64 s[8:9], s[12:13]
; %bb.2590:
	s_mov_b32 s10, 0x7f800001
	s_xor_b64 s[4:5], exec, -1
; %bb.2591:
	s_or_b64 exec, exec, s[8:9]
	s_and_b64 s[4:5], s[4:5], exec
	s_or_saveexec_b64 s[6:7], s[6:7]
	v_mov_b32_e32 v14, s10
	s_xor_b64 exec, exec, s[6:7]
	s_cbranch_execz .LBB43_542
.LBB43_2592:
	v_mov_b32_e32 v14, 0
	v_cmp_ne_u16_sdwa s[8:9], v10, v14 src0_sel:BYTE_3 src1_sel:DWORD
	s_andn2_b64 s[4:5], s[4:5], exec
	s_and_b64 s[8:9], s[8:9], exec
	s_or_b64 s[4:5], s[4:5], s[8:9]
	s_or_b64 exec, exec, s[6:7]
	s_and_saveexec_b64 s[6:7], s[4:5]
	s_cbranch_execnz .LBB43_543
	s_branch .LBB43_544
.LBB43_2593:
	s_movk_i32 s4, 0x80
	v_cmp_eq_u16_sdwa s[12:13], v15, s4 src0_sel:BYTE_0 src1_sel:DWORD
	s_mov_b64 s[4:5], -1
                                        ; implicit-def: $sgpr10
	s_and_saveexec_b64 s[8:9], s[12:13]
; %bb.2594:
	s_mov_b32 s10, 0x7f800001
	s_xor_b64 s[4:5], exec, -1
; %bb.2595:
	s_or_b64 exec, exec, s[8:9]
	s_and_b64 s[4:5], s[4:5], exec
	s_or_saveexec_b64 s[6:7], s[6:7]
	v_mov_b32_e32 v10, s10
	s_xor_b64 exec, exec, s[6:7]
	s_cbranch_execz .LBB43_546
.LBB43_2596:
	v_mov_b32_e32 v10, 0
	v_cmp_ne_u16_sdwa s[8:9], v15, v10 src0_sel:BYTE_0 src1_sel:DWORD
	s_andn2_b64 s[4:5], s[4:5], exec
	s_and_b64 s[8:9], s[8:9], exec
	s_or_b64 s[4:5], s[4:5], s[8:9]
	s_or_b64 exec, exec, s[6:7]
	s_and_saveexec_b64 s[6:7], s[4:5]
	s_cbranch_execnz .LBB43_547
	s_branch .LBB43_548
.LBB43_2597:
	s_movk_i32 s4, 0x80
	v_cmp_eq_u16_sdwa s[12:13], v11, s4 src0_sel:BYTE_0 src1_sel:DWORD
	s_mov_b64 s[4:5], -1
                                        ; implicit-def: $sgpr10
	s_and_saveexec_b64 s[8:9], s[12:13]
; %bb.2598:
	s_mov_b32 s10, 0x7f800001
	s_xor_b64 s[4:5], exec, -1
; %bb.2599:
	s_or_b64 exec, exec, s[8:9]
	s_and_b64 s[4:5], s[4:5], exec
	s_or_saveexec_b64 s[6:7], s[6:7]
	v_mov_b32_e32 v14, s10
	s_xor_b64 exec, exec, s[6:7]
	s_cbranch_execz .LBB43_550
.LBB43_2600:
	v_mov_b32_e32 v14, 0
	v_cmp_ne_u16_sdwa s[8:9], v11, v14 src0_sel:BYTE_0 src1_sel:DWORD
	s_andn2_b64 s[4:5], s[4:5], exec
	s_and_b64 s[8:9], s[8:9], exec
	s_or_b64 s[4:5], s[4:5], s[8:9]
	s_or_b64 exec, exec, s[6:7]
	s_and_saveexec_b64 s[6:7], s[4:5]
	s_cbranch_execnz .LBB43_551
	s_branch .LBB43_552
.LBB43_2601:
	s_movk_i32 s4, 0x80
	v_cmp_eq_u16_sdwa s[12:13], v14, s4 src0_sel:BYTE_0 src1_sel:DWORD
	s_mov_b64 s[4:5], -1
                                        ; implicit-def: $sgpr10
	s_and_saveexec_b64 s[8:9], s[12:13]
; %bb.2602:
	s_mov_b32 s10, 0x7f800001
	s_xor_b64 s[4:5], exec, -1
; %bb.2603:
	s_or_b64 exec, exec, s[8:9]
	s_and_b64 s[4:5], s[4:5], exec
	s_or_saveexec_b64 s[6:7], s[6:7]
	v_mov_b32_e32 v10, s10
	s_xor_b64 exec, exec, s[6:7]
	s_cbranch_execz .LBB43_554
.LBB43_2604:
	v_mov_b32_e32 v10, 0
	v_cmp_ne_u16_sdwa s[8:9], v14, v10 src0_sel:BYTE_0 src1_sel:DWORD
	s_andn2_b64 s[4:5], s[4:5], exec
	s_and_b64 s[8:9], s[8:9], exec
	s_or_b64 s[4:5], s[4:5], s[8:9]
	s_or_b64 exec, exec, s[6:7]
	s_and_saveexec_b64 s[6:7], s[4:5]
	s_cbranch_execnz .LBB43_555
	s_branch .LBB43_556
.LBB43_2605:
	s_movk_i32 s4, 0x80
	v_cmp_eq_u16_sdwa s[12:13], v14, s4 src0_sel:BYTE_0 src1_sel:DWORD
	s_mov_b64 s[4:5], -1
                                        ; implicit-def: $sgpr10
	s_and_saveexec_b64 s[8:9], s[12:13]
; %bb.2606:
	s_mov_b32 s10, 0x7f800001
	s_xor_b64 s[4:5], exec, -1
; %bb.2607:
	s_or_b64 exec, exec, s[8:9]
	s_and_b64 s[4:5], s[4:5], exec
	s_or_saveexec_b64 s[6:7], s[6:7]
	v_mov_b32_e32 v20, s10
	s_xor_b64 exec, exec, s[6:7]
	s_cbranch_execz .LBB43_558
.LBB43_2608:
	v_mov_b32_e32 v20, 0
	v_cmp_ne_u16_sdwa s[8:9], v14, v20 src0_sel:BYTE_0 src1_sel:DWORD
	s_andn2_b64 s[4:5], s[4:5], exec
	s_and_b64 s[8:9], s[8:9], exec
	s_or_b64 s[4:5], s[4:5], s[8:9]
	s_or_b64 exec, exec, s[6:7]
	s_and_saveexec_b64 s[6:7], s[4:5]
	s_cbranch_execnz .LBB43_559
	s_branch .LBB43_560
.LBB43_2609:
	s_movk_i32 s4, 0x80
	v_cmp_eq_u16_e32 vcc, s4, v14
	s_mov_b64 s[4:5], -1
                                        ; implicit-def: $sgpr10
	s_and_saveexec_b64 s[8:9], vcc
; %bb.2610:
	s_mov_b32 s10, 0x7f800001
	s_xor_b64 s[4:5], exec, -1
; %bb.2611:
	s_or_b64 exec, exec, s[8:9]
	s_and_b64 s[4:5], s[4:5], exec
                                        ; implicit-def: $vgpr14
	s_or_saveexec_b64 s[6:7], s[6:7]
	v_mov_b32_e32 v10, s10
	s_xor_b64 exec, exec, s[6:7]
	s_cbranch_execz .LBB43_562
.LBB43_2612:
	v_cmp_ne_u16_e32 vcc, 0, v14
	s_andn2_b64 s[4:5], s[4:5], exec
	s_and_b64 s[8:9], vcc, exec
	v_mov_b32_e32 v10, 0
	s_or_b64 s[4:5], s[4:5], s[8:9]
	s_or_b64 exec, exec, s[6:7]
	s_and_saveexec_b64 s[6:7], s[4:5]
	s_cbranch_execnz .LBB43_563
	s_branch .LBB43_564
.LBB43_2613:
	s_movk_i32 s4, 0x80
	v_cmp_eq_u16_e32 vcc, s4, v14
	s_mov_b64 s[4:5], -1
                                        ; implicit-def: $sgpr10
	s_and_saveexec_b64 s[8:9], vcc
; %bb.2614:
	s_mov_b32 s10, 0x7f800001
	s_xor_b64 s[4:5], exec, -1
; %bb.2615:
	s_or_b64 exec, exec, s[8:9]
	s_and_b64 s[4:5], s[4:5], exec
                                        ; implicit-def: $vgpr14
	s_or_saveexec_b64 s[6:7], s[6:7]
	v_mov_b32_e32 v20, s10
	s_xor_b64 exec, exec, s[6:7]
	s_cbranch_execz .LBB43_566
.LBB43_2616:
	v_cmp_ne_u16_e32 vcc, 0, v14
	s_andn2_b64 s[4:5], s[4:5], exec
	s_and_b64 s[8:9], vcc, exec
	v_mov_b32_e32 v20, 0
	s_or_b64 s[4:5], s[4:5], s[8:9]
	s_or_b64 exec, exec, s[6:7]
	s_and_saveexec_b64 s[6:7], s[4:5]
	s_cbranch_execnz .LBB43_567
	s_branch .LBB43_568
.LBB43_2617:
	s_movk_i32 s4, 0x80
	v_cmp_eq_u16_sdwa s[12:13], v15, s4 src0_sel:BYTE_3 src1_sel:DWORD
	s_mov_b64 s[4:5], -1
                                        ; implicit-def: $sgpr10
	s_and_saveexec_b64 s[8:9], s[12:13]
; %bb.2618:
	s_mov_b32 s10, 0x7f800001
	s_xor_b64 s[4:5], exec, -1
; %bb.2619:
	s_or_b64 exec, exec, s[8:9]
	s_and_b64 s[4:5], s[4:5], exec
	s_or_saveexec_b64 s[6:7], s[6:7]
	v_mov_b32_e32 v10, s10
	s_xor_b64 exec, exec, s[6:7]
	s_cbranch_execz .LBB43_570
.LBB43_2620:
	v_mov_b32_e32 v10, 0
	v_cmp_ne_u16_sdwa s[8:9], v15, v10 src0_sel:BYTE_3 src1_sel:DWORD
	s_andn2_b64 s[4:5], s[4:5], exec
	s_and_b64 s[8:9], s[8:9], exec
	s_or_b64 s[4:5], s[4:5], s[8:9]
	s_or_b64 exec, exec, s[6:7]
	s_and_saveexec_b64 s[6:7], s[4:5]
	s_cbranch_execnz .LBB43_571
	s_branch .LBB43_572
.LBB43_2621:
	s_movk_i32 s4, 0x80
	v_cmp_eq_u16_sdwa s[12:13], v11, s4 src0_sel:BYTE_3 src1_sel:DWORD
	s_mov_b64 s[4:5], -1
                                        ; implicit-def: $sgpr10
	s_and_saveexec_b64 s[8:9], s[12:13]
; %bb.2622:
	s_mov_b32 s10, 0x7f800001
	s_xor_b64 s[4:5], exec, -1
; %bb.2623:
	s_or_b64 exec, exec, s[8:9]
	s_and_b64 s[4:5], s[4:5], exec
	s_or_saveexec_b64 s[6:7], s[6:7]
	v_mov_b32_e32 v14, s10
	s_xor_b64 exec, exec, s[6:7]
	s_cbranch_execz .LBB43_574
.LBB43_2624:
	v_mov_b32_e32 v14, 0
	v_cmp_ne_u16_sdwa s[8:9], v11, v14 src0_sel:BYTE_3 src1_sel:DWORD
	s_andn2_b64 s[4:5], s[4:5], exec
	s_and_b64 s[8:9], s[8:9], exec
	s_or_b64 s[4:5], s[4:5], s[8:9]
	s_or_b64 exec, exec, s[6:7]
	s_and_saveexec_b64 s[6:7], s[4:5]
	s_cbranch_execnz .LBB43_575
	s_branch .LBB43_576
.LBB43_2625:
	s_movk_i32 s4, 0x80
	v_cmp_eq_u16_sdwa s[12:13], v16, s4 src0_sel:BYTE_0 src1_sel:DWORD
	s_mov_b64 s[4:5], -1
                                        ; implicit-def: $sgpr10
	s_and_saveexec_b64 s[8:9], s[12:13]
; %bb.2626:
	s_mov_b32 s10, 0x7f800001
	s_xor_b64 s[4:5], exec, -1
; %bb.2627:
	s_or_b64 exec, exec, s[8:9]
	s_and_b64 s[4:5], s[4:5], exec
	s_or_saveexec_b64 s[6:7], s[6:7]
	v_mov_b32_e32 v10, s10
	s_xor_b64 exec, exec, s[6:7]
	s_cbranch_execz .LBB43_578
.LBB43_2628:
	v_mov_b32_e32 v10, 0
	v_cmp_ne_u16_sdwa s[8:9], v16, v10 src0_sel:BYTE_0 src1_sel:DWORD
	s_andn2_b64 s[4:5], s[4:5], exec
	s_and_b64 s[8:9], s[8:9], exec
	s_or_b64 s[4:5], s[4:5], s[8:9]
	s_or_b64 exec, exec, s[6:7]
	s_and_saveexec_b64 s[6:7], s[4:5]
	s_cbranch_execnz .LBB43_579
	s_branch .LBB43_580
.LBB43_2629:
	s_movk_i32 s4, 0x80
	v_cmp_eq_u16_sdwa s[12:13], v12, s4 src0_sel:BYTE_0 src1_sel:DWORD
	s_mov_b64 s[4:5], -1
                                        ; implicit-def: $sgpr10
	s_and_saveexec_b64 s[8:9], s[12:13]
; %bb.2630:
	s_mov_b32 s10, 0x7f800001
	s_xor_b64 s[4:5], exec, -1
; %bb.2631:
	s_or_b64 exec, exec, s[8:9]
	s_and_b64 s[4:5], s[4:5], exec
	s_or_saveexec_b64 s[6:7], s[6:7]
	v_mov_b32_e32 v11, s10
	s_xor_b64 exec, exec, s[6:7]
	s_cbranch_execz .LBB43_582
.LBB43_2632:
	v_mov_b32_e32 v11, 0
	v_cmp_ne_u16_sdwa s[8:9], v12, v11 src0_sel:BYTE_0 src1_sel:DWORD
	s_andn2_b64 s[4:5], s[4:5], exec
	s_and_b64 s[8:9], s[8:9], exec
	s_or_b64 s[4:5], s[4:5], s[8:9]
	s_or_b64 exec, exec, s[6:7]
	s_and_saveexec_b64 s[6:7], s[4:5]
	s_cbranch_execnz .LBB43_583
	s_branch .LBB43_584
.LBB43_2633:
	s_movk_i32 s4, 0x80
	v_cmp_eq_u16_sdwa s[12:13], v11, s4 src0_sel:BYTE_0 src1_sel:DWORD
	s_mov_b64 s[4:5], -1
                                        ; implicit-def: $sgpr10
	s_and_saveexec_b64 s[8:9], s[12:13]
; %bb.2634:
	s_mov_b32 s10, 0x7f800001
	s_xor_b64 s[4:5], exec, -1
; %bb.2635:
	s_or_b64 exec, exec, s[8:9]
	s_and_b64 s[4:5], s[4:5], exec
	s_or_saveexec_b64 s[6:7], s[6:7]
	v_mov_b32_e32 v10, s10
	s_xor_b64 exec, exec, s[6:7]
	s_cbranch_execz .LBB43_586
.LBB43_2636:
	v_mov_b32_e32 v10, 0
	v_cmp_ne_u16_sdwa s[8:9], v11, v10 src0_sel:BYTE_0 src1_sel:DWORD
	s_andn2_b64 s[4:5], s[4:5], exec
	s_and_b64 s[8:9], s[8:9], exec
	s_or_b64 s[4:5], s[4:5], s[8:9]
	s_or_b64 exec, exec, s[6:7]
	s_and_saveexec_b64 s[6:7], s[4:5]
	s_cbranch_execnz .LBB43_587
	s_branch .LBB43_588
.LBB43_2637:
	s_movk_i32 s4, 0x80
	v_cmp_eq_u16_sdwa s[12:13], v11, s4 src0_sel:BYTE_0 src1_sel:DWORD
	s_mov_b64 s[4:5], -1
                                        ; implicit-def: $sgpr10
	s_and_saveexec_b64 s[8:9], s[12:13]
; %bb.2638:
	s_mov_b32 s10, 0x7f800001
	s_xor_b64 s[4:5], exec, -1
; %bb.2639:
	s_or_b64 exec, exec, s[8:9]
	s_and_b64 s[4:5], s[4:5], exec
	s_or_saveexec_b64 s[6:7], s[6:7]
	v_mov_b32_e32 v14, s10
	s_xor_b64 exec, exec, s[6:7]
	s_cbranch_execz .LBB43_590
.LBB43_2640:
	v_mov_b32_e32 v14, 0
	v_cmp_ne_u16_sdwa s[8:9], v11, v14 src0_sel:BYTE_0 src1_sel:DWORD
	s_andn2_b64 s[4:5], s[4:5], exec
	s_and_b64 s[8:9], s[8:9], exec
	s_or_b64 s[4:5], s[4:5], s[8:9]
	s_or_b64 exec, exec, s[6:7]
	s_and_saveexec_b64 s[6:7], s[4:5]
	s_cbranch_execnz .LBB43_591
	s_branch .LBB43_592
.LBB43_2641:
	s_movk_i32 s4, 0x80
	v_cmp_eq_u16_e32 vcc, s4, v11
	s_mov_b64 s[4:5], -1
                                        ; implicit-def: $sgpr10
	s_and_saveexec_b64 s[8:9], vcc
; %bb.2642:
	s_mov_b32 s10, 0x7f800001
	s_xor_b64 s[4:5], exec, -1
; %bb.2643:
	s_or_b64 exec, exec, s[8:9]
	s_and_b64 s[4:5], s[4:5], exec
                                        ; implicit-def: $vgpr11
	s_or_saveexec_b64 s[6:7], s[6:7]
	v_mov_b32_e32 v10, s10
	s_xor_b64 exec, exec, s[6:7]
	s_cbranch_execz .LBB43_594
.LBB43_2644:
	v_cmp_ne_u16_e32 vcc, 0, v11
	s_andn2_b64 s[4:5], s[4:5], exec
	s_and_b64 s[8:9], vcc, exec
	v_mov_b32_e32 v10, 0
	s_or_b64 s[4:5], s[4:5], s[8:9]
	s_or_b64 exec, exec, s[6:7]
	s_and_saveexec_b64 s[6:7], s[4:5]
	s_cbranch_execnz .LBB43_595
	s_branch .LBB43_596
.LBB43_2645:
	s_movk_i32 s4, 0x80
	v_cmp_eq_u16_e32 vcc, s4, v11
	s_mov_b64 s[4:5], -1
                                        ; implicit-def: $sgpr10
	s_and_saveexec_b64 s[8:9], vcc
; %bb.2646:
	s_mov_b32 s10, 0x7f800001
	s_xor_b64 s[4:5], exec, -1
; %bb.2647:
	s_or_b64 exec, exec, s[8:9]
	s_and_b64 s[4:5], s[4:5], exec
                                        ; implicit-def: $vgpr11
	s_or_saveexec_b64 s[6:7], s[6:7]
	v_mov_b32_e32 v14, s10
	s_xor_b64 exec, exec, s[6:7]
	s_cbranch_execz .LBB43_598
.LBB43_2648:
	v_cmp_ne_u16_e32 vcc, 0, v11
	s_andn2_b64 s[4:5], s[4:5], exec
	s_and_b64 s[8:9], vcc, exec
	v_mov_b32_e32 v14, 0
	s_or_b64 s[4:5], s[4:5], s[8:9]
	s_or_b64 exec, exec, s[6:7]
	s_and_saveexec_b64 s[6:7], s[4:5]
	s_cbranch_execnz .LBB43_599
	s_branch .LBB43_600
.LBB43_2649:
	s_movk_i32 s4, 0x80
	v_cmp_eq_u16_sdwa s[12:13], v16, s4 src0_sel:BYTE_3 src1_sel:DWORD
	s_mov_b64 s[4:5], -1
                                        ; implicit-def: $sgpr10
	s_and_saveexec_b64 s[8:9], s[12:13]
; %bb.2650:
	s_mov_b32 s10, 0x7f800001
	s_xor_b64 s[4:5], exec, -1
; %bb.2651:
	s_or_b64 exec, exec, s[8:9]
	s_and_b64 s[4:5], s[4:5], exec
	s_or_saveexec_b64 s[6:7], s[6:7]
	v_mov_b32_e32 v10, s10
	s_xor_b64 exec, exec, s[6:7]
	s_cbranch_execz .LBB43_602
.LBB43_2652:
	v_mov_b32_e32 v10, 0
	v_cmp_ne_u16_sdwa s[8:9], v16, v10 src0_sel:BYTE_3 src1_sel:DWORD
	s_andn2_b64 s[4:5], s[4:5], exec
	s_and_b64 s[8:9], s[8:9], exec
	s_or_b64 s[4:5], s[4:5], s[8:9]
	s_or_b64 exec, exec, s[6:7]
	s_and_saveexec_b64 s[6:7], s[4:5]
	s_cbranch_execnz .LBB43_603
	s_branch .LBB43_604
.LBB43_2653:
	s_movk_i32 s4, 0x80
	v_cmp_eq_u16_sdwa s[12:13], v12, s4 src0_sel:BYTE_3 src1_sel:DWORD
	s_mov_b64 s[4:5], -1
                                        ; implicit-def: $sgpr10
	s_and_saveexec_b64 s[8:9], s[12:13]
; %bb.2654:
	s_mov_b32 s10, 0x7f800001
	s_xor_b64 s[4:5], exec, -1
; %bb.2655:
	s_or_b64 exec, exec, s[8:9]
	s_and_b64 s[4:5], s[4:5], exec
	s_or_saveexec_b64 s[6:7], s[6:7]
	v_mov_b32_e32 v11, s10
	s_xor_b64 exec, exec, s[6:7]
	s_cbranch_execz .LBB43_606
.LBB43_2656:
	v_mov_b32_e32 v11, 0
	v_cmp_ne_u16_sdwa s[8:9], v12, v11 src0_sel:BYTE_3 src1_sel:DWORD
	s_andn2_b64 s[4:5], s[4:5], exec
	s_and_b64 s[8:9], s[8:9], exec
	s_or_b64 s[4:5], s[4:5], s[8:9]
	s_or_b64 exec, exec, s[6:7]
	s_and_saveexec_b64 s[6:7], s[4:5]
	s_cbranch_execnz .LBB43_607
	s_branch .LBB43_608
.LBB43_2657:
	s_movk_i32 s4, 0x80
	v_cmp_eq_u16_sdwa s[12:13], v17, s4 src0_sel:BYTE_0 src1_sel:DWORD
	s_mov_b64 s[4:5], -1
                                        ; implicit-def: $sgpr10
	s_and_saveexec_b64 s[8:9], s[12:13]
; %bb.2658:
	s_mov_b32 s10, 0x7f800001
	s_xor_b64 s[4:5], exec, -1
; %bb.2659:
	s_or_b64 exec, exec, s[8:9]
	s_and_b64 s[4:5], s[4:5], exec
	s_or_saveexec_b64 s[6:7], s[6:7]
	v_mov_b32_e32 v10, s10
	s_xor_b64 exec, exec, s[6:7]
	s_cbranch_execz .LBB43_610
.LBB43_2660:
	v_mov_b32_e32 v10, 0
	v_cmp_ne_u16_sdwa s[8:9], v17, v10 src0_sel:BYTE_0 src1_sel:DWORD
	s_andn2_b64 s[4:5], s[4:5], exec
	s_and_b64 s[8:9], s[8:9], exec
	s_or_b64 s[4:5], s[4:5], s[8:9]
	s_or_b64 exec, exec, s[6:7]
	s_and_saveexec_b64 s[6:7], s[4:5]
	s_cbranch_execnz .LBB43_611
	s_branch .LBB43_612
.LBB43_2661:
	s_movk_i32 s4, 0x80
	v_cmp_eq_u16_sdwa s[12:13], v13, s4 src0_sel:BYTE_0 src1_sel:DWORD
	s_mov_b64 s[4:5], -1
                                        ; implicit-def: $sgpr10
	s_and_saveexec_b64 s[8:9], s[12:13]
; %bb.2662:
	s_mov_b32 s10, 0x7f800001
	s_xor_b64 s[4:5], exec, -1
; %bb.2663:
	s_or_b64 exec, exec, s[8:9]
	s_and_b64 s[4:5], s[4:5], exec
	s_or_saveexec_b64 s[6:7], s[6:7]
	v_mov_b32_e32 v11, s10
	s_xor_b64 exec, exec, s[6:7]
	s_cbranch_execz .LBB43_614
.LBB43_2664:
	v_mov_b32_e32 v11, 0
	v_cmp_ne_u16_sdwa s[8:9], v13, v11 src0_sel:BYTE_0 src1_sel:DWORD
	s_andn2_b64 s[4:5], s[4:5], exec
	s_and_b64 s[8:9], s[8:9], exec
	s_or_b64 s[4:5], s[4:5], s[8:9]
	s_or_b64 exec, exec, s[6:7]
	s_and_saveexec_b64 s[6:7], s[4:5]
	s_cbranch_execnz .LBB43_615
	s_branch .LBB43_616
.LBB43_2665:
	s_movk_i32 s4, 0x80
	v_cmp_eq_u16_sdwa s[12:13], v11, s4 src0_sel:BYTE_0 src1_sel:DWORD
	s_mov_b64 s[4:5], -1
                                        ; implicit-def: $sgpr10
	s_and_saveexec_b64 s[8:9], s[12:13]
; %bb.2666:
	s_mov_b32 s10, 0x7f800001
	s_xor_b64 s[4:5], exec, -1
; %bb.2667:
	s_or_b64 exec, exec, s[8:9]
	s_and_b64 s[4:5], s[4:5], exec
	s_or_saveexec_b64 s[6:7], s[6:7]
	v_mov_b32_e32 v10, s10
	s_xor_b64 exec, exec, s[6:7]
	s_cbranch_execz .LBB43_618
.LBB43_2668:
	v_mov_b32_e32 v10, 0
	v_cmp_ne_u16_sdwa s[8:9], v11, v10 src0_sel:BYTE_0 src1_sel:DWORD
	s_andn2_b64 s[4:5], s[4:5], exec
	s_and_b64 s[8:9], s[8:9], exec
	s_or_b64 s[4:5], s[4:5], s[8:9]
	s_or_b64 exec, exec, s[6:7]
	s_and_saveexec_b64 s[6:7], s[4:5]
	s_cbranch_execnz .LBB43_619
	s_branch .LBB43_620
.LBB43_2669:
	s_movk_i32 s4, 0x80
	v_cmp_eq_u16_sdwa s[12:13], v11, s4 src0_sel:BYTE_0 src1_sel:DWORD
	s_mov_b64 s[4:5], -1
                                        ; implicit-def: $sgpr10
	s_and_saveexec_b64 s[8:9], s[12:13]
; %bb.2670:
	s_mov_b32 s10, 0x7f800001
	s_xor_b64 s[4:5], exec, -1
; %bb.2671:
	s_or_b64 exec, exec, s[8:9]
	s_and_b64 s[4:5], s[4:5], exec
	s_or_saveexec_b64 s[6:7], s[6:7]
	v_mov_b32_e32 v12, s10
	s_xor_b64 exec, exec, s[6:7]
	s_cbranch_execz .LBB43_622
.LBB43_2672:
	v_mov_b32_e32 v12, 0
	v_cmp_ne_u16_sdwa s[8:9], v11, v12 src0_sel:BYTE_0 src1_sel:DWORD
	s_andn2_b64 s[4:5], s[4:5], exec
	s_and_b64 s[8:9], s[8:9], exec
	s_or_b64 s[4:5], s[4:5], s[8:9]
	s_or_b64 exec, exec, s[6:7]
	s_and_saveexec_b64 s[6:7], s[4:5]
	s_cbranch_execnz .LBB43_623
	s_branch .LBB43_624
.LBB43_2673:
	s_movk_i32 s4, 0x80
	v_cmp_eq_u16_e32 vcc, s4, v11
	s_mov_b64 s[4:5], -1
                                        ; implicit-def: $sgpr10
	s_and_saveexec_b64 s[8:9], vcc
; %bb.2674:
	s_mov_b32 s10, 0x7f800001
	s_xor_b64 s[4:5], exec, -1
; %bb.2675:
	s_or_b64 exec, exec, s[8:9]
	s_and_b64 s[4:5], s[4:5], exec
                                        ; implicit-def: $vgpr11
	s_or_saveexec_b64 s[6:7], s[6:7]
	v_mov_b32_e32 v10, s10
	s_xor_b64 exec, exec, s[6:7]
	s_cbranch_execz .LBB43_626
.LBB43_2676:
	v_cmp_ne_u16_e32 vcc, 0, v11
	s_andn2_b64 s[4:5], s[4:5], exec
	s_and_b64 s[8:9], vcc, exec
	v_mov_b32_e32 v10, 0
	s_or_b64 s[4:5], s[4:5], s[8:9]
	s_or_b64 exec, exec, s[6:7]
	s_and_saveexec_b64 s[6:7], s[4:5]
	s_cbranch_execnz .LBB43_627
	s_branch .LBB43_628
.LBB43_2677:
	s_movk_i32 s4, 0x80
	v_cmp_eq_u16_e32 vcc, s4, v11
	s_mov_b64 s[4:5], -1
                                        ; implicit-def: $sgpr10
	s_and_saveexec_b64 s[8:9], vcc
; %bb.2678:
	s_mov_b32 s10, 0x7f800001
	s_xor_b64 s[4:5], exec, -1
; %bb.2679:
	s_or_b64 exec, exec, s[8:9]
	s_and_b64 s[4:5], s[4:5], exec
                                        ; implicit-def: $vgpr11
	s_or_saveexec_b64 s[6:7], s[6:7]
	v_mov_b32_e32 v12, s10
	s_xor_b64 exec, exec, s[6:7]
	s_cbranch_execz .LBB43_630
.LBB43_2680:
	v_cmp_ne_u16_e32 vcc, 0, v11
	s_andn2_b64 s[4:5], s[4:5], exec
	s_and_b64 s[8:9], vcc, exec
	v_mov_b32_e32 v12, 0
	s_or_b64 s[4:5], s[4:5], s[8:9]
	s_or_b64 exec, exec, s[6:7]
	s_and_saveexec_b64 s[6:7], s[4:5]
	s_cbranch_execnz .LBB43_631
	s_branch .LBB43_632
.LBB43_2681:
	s_movk_i32 s4, 0x80
	v_cmp_eq_u16_sdwa s[12:13], v17, s4 src0_sel:BYTE_3 src1_sel:DWORD
	s_mov_b64 s[4:5], -1
                                        ; implicit-def: $sgpr10
	s_and_saveexec_b64 s[8:9], s[12:13]
; %bb.2682:
	s_mov_b32 s10, 0x7f800001
	s_xor_b64 s[4:5], exec, -1
; %bb.2683:
	s_or_b64 exec, exec, s[8:9]
	s_and_b64 s[4:5], s[4:5], exec
	s_or_saveexec_b64 s[6:7], s[6:7]
	v_mov_b32_e32 v10, s10
	s_xor_b64 exec, exec, s[6:7]
	s_cbranch_execz .LBB43_634
.LBB43_2684:
	v_mov_b32_e32 v10, 0
	v_cmp_ne_u16_sdwa s[8:9], v17, v10 src0_sel:BYTE_3 src1_sel:DWORD
	s_andn2_b64 s[4:5], s[4:5], exec
	s_and_b64 s[8:9], s[8:9], exec
	s_or_b64 s[4:5], s[4:5], s[8:9]
	s_or_b64 exec, exec, s[6:7]
	s_and_saveexec_b64 s[6:7], s[4:5]
	s_cbranch_execnz .LBB43_635
	s_branch .LBB43_636
.LBB43_2685:
	s_movk_i32 s4, 0x80
	v_cmp_eq_u16_sdwa s[12:13], v13, s4 src0_sel:BYTE_3 src1_sel:DWORD
	s_mov_b64 s[4:5], -1
                                        ; implicit-def: $sgpr10
	s_and_saveexec_b64 s[8:9], s[12:13]
; %bb.2686:
	s_mov_b32 s10, 0x7f800001
	s_xor_b64 s[4:5], exec, -1
; %bb.2687:
	s_or_b64 exec, exec, s[8:9]
	s_and_b64 s[4:5], s[4:5], exec
	s_or_saveexec_b64 s[6:7], s[6:7]
	v_mov_b32_e32 v11, s10
	s_xor_b64 exec, exec, s[6:7]
	s_cbranch_execz .LBB43_638
.LBB43_2688:
	v_mov_b32_e32 v11, 0
	v_cmp_ne_u16_sdwa s[8:9], v13, v11 src0_sel:BYTE_3 src1_sel:DWORD
	s_andn2_b64 s[4:5], s[4:5], exec
	s_and_b64 s[8:9], s[8:9], exec
	s_or_b64 s[4:5], s[4:5], s[8:9]
	s_or_b64 exec, exec, s[6:7]
	s_and_saveexec_b64 s[6:7], s[4:5]
	s_cbranch_execnz .LBB43_639
	s_branch .LBB43_640
.LBB43_2689:
	s_movk_i32 s4, 0x80
	v_cmp_eq_u16_sdwa s[12:13], v6, s4 src0_sel:BYTE_0 src1_sel:DWORD
	s_mov_b64 s[4:5], -1
                                        ; implicit-def: $sgpr10
	s_and_saveexec_b64 s[8:9], s[12:13]
; %bb.2690:
	s_mov_b32 s10, 0x7f800001
	s_xor_b64 s[4:5], exec, -1
; %bb.2691:
	s_or_b64 exec, exec, s[8:9]
	s_and_b64 s[4:5], s[4:5], exec
	s_or_saveexec_b64 s[6:7], s[6:7]
	v_mov_b32_e32 v10, s10
	s_xor_b64 exec, exec, s[6:7]
	s_cbranch_execz .LBB43_642
.LBB43_2692:
	v_mov_b32_e32 v10, 0
	v_cmp_ne_u16_sdwa s[8:9], v6, v10 src0_sel:BYTE_0 src1_sel:DWORD
	s_andn2_b64 s[4:5], s[4:5], exec
	s_and_b64 s[8:9], s[8:9], exec
	s_or_b64 s[4:5], s[4:5], s[8:9]
	s_or_b64 exec, exec, s[6:7]
	s_and_saveexec_b64 s[6:7], s[4:5]
	s_cbranch_execnz .LBB43_643
	s_branch .LBB43_644
.LBB43_2693:
	s_movk_i32 s4, 0x80
	v_cmp_eq_u16_sdwa s[12:13], v2, s4 src0_sel:BYTE_0 src1_sel:DWORD
	s_mov_b64 s[4:5], -1
                                        ; implicit-def: $sgpr10
	s_and_saveexec_b64 s[8:9], s[12:13]
; %bb.2694:
	s_mov_b32 s10, 0x7f800001
	s_xor_b64 s[4:5], exec, -1
; %bb.2695:
	s_or_b64 exec, exec, s[8:9]
	s_and_b64 s[4:5], s[4:5], exec
	s_or_saveexec_b64 s[6:7], s[6:7]
	v_mov_b32_e32 v11, s10
	s_xor_b64 exec, exec, s[6:7]
	s_cbranch_execz .LBB43_646
.LBB43_2696:
	v_mov_b32_e32 v11, 0
	v_cmp_ne_u16_sdwa s[8:9], v2, v11 src0_sel:BYTE_0 src1_sel:DWORD
	s_andn2_b64 s[4:5], s[4:5], exec
	s_and_b64 s[8:9], s[8:9], exec
	s_or_b64 s[4:5], s[4:5], s[8:9]
	s_or_b64 exec, exec, s[6:7]
	s_and_saveexec_b64 s[6:7], s[4:5]
	s_cbranch_execnz .LBB43_647
	s_branch .LBB43_648
.LBB43_2697:
	s_movk_i32 s4, 0x80
	v_cmp_eq_u16_sdwa s[12:13], v11, s4 src0_sel:BYTE_0 src1_sel:DWORD
	s_mov_b64 s[4:5], -1
                                        ; implicit-def: $sgpr10
	s_and_saveexec_b64 s[8:9], s[12:13]
; %bb.2698:
	s_mov_b32 s10, 0x7f800001
	s_xor_b64 s[4:5], exec, -1
; %bb.2699:
	s_or_b64 exec, exec, s[8:9]
	s_and_b64 s[4:5], s[4:5], exec
	s_or_saveexec_b64 s[6:7], s[6:7]
	v_mov_b32_e32 v10, s10
	s_xor_b64 exec, exec, s[6:7]
	s_cbranch_execz .LBB43_650
.LBB43_2700:
	v_mov_b32_e32 v10, 0
	v_cmp_ne_u16_sdwa s[8:9], v11, v10 src0_sel:BYTE_0 src1_sel:DWORD
	s_andn2_b64 s[4:5], s[4:5], exec
	s_and_b64 s[8:9], s[8:9], exec
	s_or_b64 s[4:5], s[4:5], s[8:9]
	s_or_b64 exec, exec, s[6:7]
	s_and_saveexec_b64 s[6:7], s[4:5]
	s_cbranch_execnz .LBB43_651
	s_branch .LBB43_652
.LBB43_2701:
	s_movk_i32 s4, 0x80
	v_cmp_eq_u16_sdwa s[12:13], v11, s4 src0_sel:BYTE_0 src1_sel:DWORD
	s_mov_b64 s[4:5], -1
                                        ; implicit-def: $sgpr10
	s_and_saveexec_b64 s[8:9], s[12:13]
; %bb.2702:
	s_mov_b32 s10, 0x7f800001
	s_xor_b64 s[4:5], exec, -1
; %bb.2703:
	s_or_b64 exec, exec, s[8:9]
	s_and_b64 s[4:5], s[4:5], exec
	s_or_saveexec_b64 s[6:7], s[6:7]
	v_mov_b32_e32 v12, s10
	s_xor_b64 exec, exec, s[6:7]
	s_cbranch_execz .LBB43_654
.LBB43_2704:
	v_mov_b32_e32 v12, 0
	v_cmp_ne_u16_sdwa s[8:9], v11, v12 src0_sel:BYTE_0 src1_sel:DWORD
	s_andn2_b64 s[4:5], s[4:5], exec
	s_and_b64 s[8:9], s[8:9], exec
	s_or_b64 s[4:5], s[4:5], s[8:9]
	s_or_b64 exec, exec, s[6:7]
	s_and_saveexec_b64 s[6:7], s[4:5]
	s_cbranch_execnz .LBB43_655
	s_branch .LBB43_656
.LBB43_2705:
	s_movk_i32 s4, 0x80
	v_cmp_eq_u16_e32 vcc, s4, v11
	s_mov_b64 s[4:5], -1
                                        ; implicit-def: $sgpr10
	s_and_saveexec_b64 s[8:9], vcc
; %bb.2706:
	s_mov_b32 s10, 0x7f800001
	s_xor_b64 s[4:5], exec, -1
; %bb.2707:
	s_or_b64 exec, exec, s[8:9]
	s_and_b64 s[4:5], s[4:5], exec
                                        ; implicit-def: $vgpr11
	s_or_saveexec_b64 s[6:7], s[6:7]
	v_mov_b32_e32 v10, s10
	s_xor_b64 exec, exec, s[6:7]
	s_cbranch_execz .LBB43_658
.LBB43_2708:
	v_cmp_ne_u16_e32 vcc, 0, v11
	s_andn2_b64 s[4:5], s[4:5], exec
	s_and_b64 s[8:9], vcc, exec
	v_mov_b32_e32 v10, 0
	s_or_b64 s[4:5], s[4:5], s[8:9]
	s_or_b64 exec, exec, s[6:7]
	s_and_saveexec_b64 s[6:7], s[4:5]
	s_cbranch_execnz .LBB43_659
	s_branch .LBB43_660
.LBB43_2709:
	s_movk_i32 s4, 0x80
	v_cmp_eq_u16_e32 vcc, s4, v11
	s_mov_b64 s[4:5], -1
                                        ; implicit-def: $sgpr10
	s_and_saveexec_b64 s[8:9], vcc
; %bb.2710:
	s_mov_b32 s10, 0x7f800001
	s_xor_b64 s[4:5], exec, -1
; %bb.2711:
	s_or_b64 exec, exec, s[8:9]
	s_and_b64 s[4:5], s[4:5], exec
                                        ; implicit-def: $vgpr11
	s_or_saveexec_b64 s[6:7], s[6:7]
	v_mov_b32_e32 v12, s10
	s_xor_b64 exec, exec, s[6:7]
	s_cbranch_execz .LBB43_662
.LBB43_2712:
	v_cmp_ne_u16_e32 vcc, 0, v11
	s_andn2_b64 s[4:5], s[4:5], exec
	s_and_b64 s[8:9], vcc, exec
	v_mov_b32_e32 v12, 0
	s_or_b64 s[4:5], s[4:5], s[8:9]
	s_or_b64 exec, exec, s[6:7]
	s_and_saveexec_b64 s[6:7], s[4:5]
	s_cbranch_execnz .LBB43_663
	s_branch .LBB43_664
.LBB43_2713:
	s_movk_i32 s4, 0x80
	v_cmp_eq_u16_sdwa s[12:13], v6, s4 src0_sel:BYTE_3 src1_sel:DWORD
	s_mov_b64 s[4:5], -1
                                        ; implicit-def: $sgpr10
	s_and_saveexec_b64 s[8:9], s[12:13]
; %bb.2714:
	s_mov_b32 s10, 0x7f800001
	s_xor_b64 s[4:5], exec, -1
; %bb.2715:
	s_or_b64 exec, exec, s[8:9]
	s_and_b64 s[4:5], s[4:5], exec
	s_or_saveexec_b64 s[6:7], s[6:7]
	v_mov_b32_e32 v10, s10
	s_xor_b64 exec, exec, s[6:7]
	s_cbranch_execz .LBB43_666
.LBB43_2716:
	v_mov_b32_e32 v10, 0
	v_cmp_ne_u16_sdwa s[8:9], v6, v10 src0_sel:BYTE_3 src1_sel:DWORD
	s_andn2_b64 s[4:5], s[4:5], exec
	s_and_b64 s[8:9], s[8:9], exec
	s_or_b64 s[4:5], s[4:5], s[8:9]
	s_or_b64 exec, exec, s[6:7]
	s_and_saveexec_b64 s[6:7], s[4:5]
	s_cbranch_execnz .LBB43_667
	s_branch .LBB43_668
.LBB43_2717:
	s_movk_i32 s4, 0x80
	v_cmp_eq_u16_sdwa s[12:13], v2, s4 src0_sel:BYTE_3 src1_sel:DWORD
	s_mov_b64 s[4:5], -1
                                        ; implicit-def: $sgpr10
	s_and_saveexec_b64 s[8:9], s[12:13]
; %bb.2718:
	s_mov_b32 s10, 0x7f800001
	s_xor_b64 s[4:5], exec, -1
; %bb.2719:
	s_or_b64 exec, exec, s[8:9]
	s_and_b64 s[4:5], s[4:5], exec
	s_or_saveexec_b64 s[6:7], s[6:7]
	v_mov_b32_e32 v6, s10
	s_xor_b64 exec, exec, s[6:7]
	s_cbranch_execz .LBB43_670
.LBB43_2720:
	v_mov_b32_e32 v6, 0
	v_cmp_ne_u16_sdwa s[8:9], v2, v6 src0_sel:BYTE_3 src1_sel:DWORD
	s_andn2_b64 s[4:5], s[4:5], exec
	s_and_b64 s[8:9], s[8:9], exec
	s_or_b64 s[4:5], s[4:5], s[8:9]
	s_or_b64 exec, exec, s[6:7]
	s_and_saveexec_b64 s[6:7], s[4:5]
	s_cbranch_execnz .LBB43_671
	s_branch .LBB43_672
.LBB43_2721:
	s_movk_i32 s4, 0x80
	v_cmp_eq_u16_sdwa s[12:13], v7, s4 src0_sel:BYTE_0 src1_sel:DWORD
	s_mov_b64 s[4:5], -1
                                        ; implicit-def: $sgpr10
	s_and_saveexec_b64 s[8:9], s[12:13]
; %bb.2722:
	s_mov_b32 s10, 0x7f800001
	s_xor_b64 s[4:5], exec, -1
; %bb.2723:
	s_or_b64 exec, exec, s[8:9]
	s_and_b64 s[4:5], s[4:5], exec
	s_or_saveexec_b64 s[6:7], s[6:7]
	v_mov_b32_e32 v2, s10
	s_xor_b64 exec, exec, s[6:7]
	s_cbranch_execz .LBB43_674
.LBB43_2724:
	v_mov_b32_e32 v2, 0
	v_cmp_ne_u16_sdwa s[8:9], v7, v2 src0_sel:BYTE_0 src1_sel:DWORD
	s_andn2_b64 s[4:5], s[4:5], exec
	s_and_b64 s[8:9], s[8:9], exec
	s_or_b64 s[4:5], s[4:5], s[8:9]
	s_or_b64 exec, exec, s[6:7]
	s_and_saveexec_b64 s[6:7], s[4:5]
	s_cbranch_execnz .LBB43_675
	s_branch .LBB43_676
.LBB43_2725:
	s_movk_i32 s4, 0x80
	v_cmp_eq_u16_sdwa s[12:13], v3, s4 src0_sel:BYTE_0 src1_sel:DWORD
	s_mov_b64 s[4:5], -1
                                        ; implicit-def: $sgpr10
	s_and_saveexec_b64 s[8:9], s[12:13]
; %bb.2726:
	s_mov_b32 s10, 0x7f800001
	s_xor_b64 s[4:5], exec, -1
; %bb.2727:
	s_or_b64 exec, exec, s[8:9]
	s_and_b64 s[4:5], s[4:5], exec
	s_or_saveexec_b64 s[6:7], s[6:7]
	v_mov_b32_e32 v6, s10
	s_xor_b64 exec, exec, s[6:7]
	s_cbranch_execz .LBB43_678
.LBB43_2728:
	v_mov_b32_e32 v6, 0
	v_cmp_ne_u16_sdwa s[8:9], v3, v6 src0_sel:BYTE_0 src1_sel:DWORD
	s_andn2_b64 s[4:5], s[4:5], exec
	s_and_b64 s[8:9], s[8:9], exec
	s_or_b64 s[4:5], s[4:5], s[8:9]
	s_or_b64 exec, exec, s[6:7]
	s_and_saveexec_b64 s[6:7], s[4:5]
	s_cbranch_execnz .LBB43_679
	s_branch .LBB43_680
.LBB43_2729:
	s_movk_i32 s4, 0x80
	v_cmp_eq_u16_sdwa s[12:13], v6, s4 src0_sel:BYTE_0 src1_sel:DWORD
	s_mov_b64 s[4:5], -1
                                        ; implicit-def: $sgpr10
	s_and_saveexec_b64 s[8:9], s[12:13]
; %bb.2730:
	s_mov_b32 s10, 0x7f800001
	s_xor_b64 s[4:5], exec, -1
; %bb.2731:
	s_or_b64 exec, exec, s[8:9]
	s_and_b64 s[4:5], s[4:5], exec
	s_or_saveexec_b64 s[6:7], s[6:7]
	v_mov_b32_e32 v2, s10
	s_xor_b64 exec, exec, s[6:7]
	s_cbranch_execz .LBB43_682
.LBB43_2732:
	v_mov_b32_e32 v2, 0
	v_cmp_ne_u16_sdwa s[8:9], v6, v2 src0_sel:BYTE_0 src1_sel:DWORD
	s_andn2_b64 s[4:5], s[4:5], exec
	s_and_b64 s[8:9], s[8:9], exec
	s_or_b64 s[4:5], s[4:5], s[8:9]
	s_or_b64 exec, exec, s[6:7]
	s_and_saveexec_b64 s[6:7], s[4:5]
	s_cbranch_execnz .LBB43_683
	s_branch .LBB43_684
.LBB43_2733:
	s_movk_i32 s4, 0x80
	v_cmp_eq_u16_sdwa s[12:13], v6, s4 src0_sel:BYTE_0 src1_sel:DWORD
	s_mov_b64 s[4:5], -1
                                        ; implicit-def: $sgpr10
	s_and_saveexec_b64 s[8:9], s[12:13]
; %bb.2734:
	s_mov_b32 s10, 0x7f800001
	s_xor_b64 s[4:5], exec, -1
; %bb.2735:
	s_or_b64 exec, exec, s[8:9]
	s_and_b64 s[4:5], s[4:5], exec
	s_or_saveexec_b64 s[6:7], s[6:7]
	v_mov_b32_e32 v10, s10
	s_xor_b64 exec, exec, s[6:7]
	s_cbranch_execz .LBB43_686
.LBB43_2736:
	v_mov_b32_e32 v10, 0
	v_cmp_ne_u16_sdwa s[8:9], v6, v10 src0_sel:BYTE_0 src1_sel:DWORD
	s_andn2_b64 s[4:5], s[4:5], exec
	s_and_b64 s[8:9], s[8:9], exec
	s_or_b64 s[4:5], s[4:5], s[8:9]
	s_or_b64 exec, exec, s[6:7]
	s_and_saveexec_b64 s[6:7], s[4:5]
	s_cbranch_execnz .LBB43_687
	s_branch .LBB43_688
.LBB43_2737:
	s_movk_i32 s4, 0x80
	v_cmp_eq_u16_e32 vcc, s4, v6
	s_mov_b64 s[4:5], -1
                                        ; implicit-def: $sgpr10
	s_and_saveexec_b64 s[8:9], vcc
; %bb.2738:
	s_mov_b32 s10, 0x7f800001
	s_xor_b64 s[4:5], exec, -1
; %bb.2739:
	s_or_b64 exec, exec, s[8:9]
	s_and_b64 s[4:5], s[4:5], exec
                                        ; implicit-def: $vgpr6
	s_or_saveexec_b64 s[6:7], s[6:7]
	v_mov_b32_e32 v2, s10
	s_xor_b64 exec, exec, s[6:7]
	s_cbranch_execz .LBB43_690
.LBB43_2740:
	v_cmp_ne_u16_e32 vcc, 0, v6
	s_andn2_b64 s[4:5], s[4:5], exec
	s_and_b64 s[8:9], vcc, exec
	v_mov_b32_e32 v2, 0
	s_or_b64 s[4:5], s[4:5], s[8:9]
	s_or_b64 exec, exec, s[6:7]
	s_and_saveexec_b64 s[6:7], s[4:5]
	s_cbranch_execnz .LBB43_691
	s_branch .LBB43_692
.LBB43_2741:
	s_movk_i32 s4, 0x80
	v_cmp_eq_u16_e32 vcc, s4, v6
	s_mov_b64 s[4:5], -1
                                        ; implicit-def: $sgpr10
	s_and_saveexec_b64 s[8:9], vcc
; %bb.2742:
	s_mov_b32 s10, 0x7f800001
	s_xor_b64 s[4:5], exec, -1
; %bb.2743:
	s_or_b64 exec, exec, s[8:9]
	s_and_b64 s[4:5], s[4:5], exec
                                        ; implicit-def: $vgpr6
	s_or_saveexec_b64 s[6:7], s[6:7]
	v_mov_b32_e32 v10, s10
	s_xor_b64 exec, exec, s[6:7]
	s_cbranch_execz .LBB43_694
.LBB43_2744:
	v_cmp_ne_u16_e32 vcc, 0, v6
	s_andn2_b64 s[4:5], s[4:5], exec
	s_and_b64 s[8:9], vcc, exec
	v_mov_b32_e32 v10, 0
	s_or_b64 s[4:5], s[4:5], s[8:9]
	s_or_b64 exec, exec, s[6:7]
	s_and_saveexec_b64 s[6:7], s[4:5]
	s_cbranch_execnz .LBB43_695
	s_branch .LBB43_696
.LBB43_2745:
	s_movk_i32 s4, 0x80
	v_cmp_eq_u16_sdwa s[12:13], v7, s4 src0_sel:BYTE_3 src1_sel:DWORD
	s_mov_b64 s[4:5], -1
                                        ; implicit-def: $sgpr10
	s_and_saveexec_b64 s[8:9], s[12:13]
; %bb.2746:
	s_mov_b32 s10, 0x7f800001
	s_xor_b64 s[4:5], exec, -1
; %bb.2747:
	s_or_b64 exec, exec, s[8:9]
	s_and_b64 s[4:5], s[4:5], exec
	s_or_saveexec_b64 s[6:7], s[6:7]
	v_mov_b32_e32 v2, s10
	s_xor_b64 exec, exec, s[6:7]
	s_cbranch_execz .LBB43_698
.LBB43_2748:
	v_mov_b32_e32 v2, 0
	v_cmp_ne_u16_sdwa s[8:9], v7, v2 src0_sel:BYTE_3 src1_sel:DWORD
	s_andn2_b64 s[4:5], s[4:5], exec
	s_and_b64 s[8:9], s[8:9], exec
	s_or_b64 s[4:5], s[4:5], s[8:9]
	s_or_b64 exec, exec, s[6:7]
	s_and_saveexec_b64 s[6:7], s[4:5]
	s_cbranch_execnz .LBB43_699
	s_branch .LBB43_700
.LBB43_2749:
	s_movk_i32 s4, 0x80
	v_cmp_eq_u16_sdwa s[12:13], v3, s4 src0_sel:BYTE_3 src1_sel:DWORD
	s_mov_b64 s[4:5], -1
                                        ; implicit-def: $sgpr10
	s_and_saveexec_b64 s[8:9], s[12:13]
; %bb.2750:
	s_mov_b32 s10, 0x7f800001
	s_xor_b64 s[4:5], exec, -1
; %bb.2751:
	s_or_b64 exec, exec, s[8:9]
	s_and_b64 s[4:5], s[4:5], exec
	s_or_saveexec_b64 s[6:7], s[6:7]
	v_mov_b32_e32 v6, s10
	s_xor_b64 exec, exec, s[6:7]
	s_cbranch_execz .LBB43_702
.LBB43_2752:
	v_mov_b32_e32 v6, 0
	v_cmp_ne_u16_sdwa s[8:9], v3, v6 src0_sel:BYTE_3 src1_sel:DWORD
	s_andn2_b64 s[4:5], s[4:5], exec
	s_and_b64 s[8:9], s[8:9], exec
	s_or_b64 s[4:5], s[4:5], s[8:9]
	s_or_b64 exec, exec, s[6:7]
	s_and_saveexec_b64 s[6:7], s[4:5]
	s_cbranch_execnz .LBB43_703
	s_branch .LBB43_704
.LBB43_2753:
	s_movk_i32 s4, 0x80
	v_cmp_eq_u16_sdwa s[12:13], v8, s4 src0_sel:BYTE_0 src1_sel:DWORD
	s_mov_b64 s[4:5], -1
                                        ; implicit-def: $sgpr10
	s_and_saveexec_b64 s[8:9], s[12:13]
; %bb.2754:
	s_mov_b32 s10, 0x7f800001
	s_xor_b64 s[4:5], exec, -1
; %bb.2755:
	s_or_b64 exec, exec, s[8:9]
	s_and_b64 s[4:5], s[4:5], exec
	s_or_saveexec_b64 s[6:7], s[6:7]
	v_mov_b32_e32 v2, s10
	s_xor_b64 exec, exec, s[6:7]
	s_cbranch_execz .LBB43_706
.LBB43_2756:
	v_mov_b32_e32 v2, 0
	v_cmp_ne_u16_sdwa s[8:9], v8, v2 src0_sel:BYTE_0 src1_sel:DWORD
	s_andn2_b64 s[4:5], s[4:5], exec
	s_and_b64 s[8:9], s[8:9], exec
	s_or_b64 s[4:5], s[4:5], s[8:9]
	s_or_b64 exec, exec, s[6:7]
	s_and_saveexec_b64 s[6:7], s[4:5]
	s_cbranch_execnz .LBB43_707
	s_branch .LBB43_708
.LBB43_2757:
	s_movk_i32 s4, 0x80
	v_cmp_eq_u16_sdwa s[12:13], v4, s4 src0_sel:BYTE_0 src1_sel:DWORD
	s_mov_b64 s[4:5], -1
                                        ; implicit-def: $sgpr10
	s_and_saveexec_b64 s[8:9], s[12:13]
; %bb.2758:
	s_mov_b32 s10, 0x7f800001
	s_xor_b64 s[4:5], exec, -1
; %bb.2759:
	s_or_b64 exec, exec, s[8:9]
	s_and_b64 s[4:5], s[4:5], exec
	s_or_saveexec_b64 s[6:7], s[6:7]
	v_mov_b32_e32 v3, s10
	s_xor_b64 exec, exec, s[6:7]
	s_cbranch_execz .LBB43_710
.LBB43_2760:
	v_mov_b32_e32 v3, 0
	v_cmp_ne_u16_sdwa s[8:9], v4, v3 src0_sel:BYTE_0 src1_sel:DWORD
	s_andn2_b64 s[4:5], s[4:5], exec
	s_and_b64 s[8:9], s[8:9], exec
	s_or_b64 s[4:5], s[4:5], s[8:9]
	s_or_b64 exec, exec, s[6:7]
	s_and_saveexec_b64 s[6:7], s[4:5]
	s_cbranch_execnz .LBB43_711
	s_branch .LBB43_712
.LBB43_2761:
	s_movk_i32 s4, 0x80
	v_cmp_eq_u16_sdwa s[12:13], v3, s4 src0_sel:BYTE_0 src1_sel:DWORD
	s_mov_b64 s[4:5], -1
                                        ; implicit-def: $sgpr10
	s_and_saveexec_b64 s[8:9], s[12:13]
; %bb.2762:
	s_mov_b32 s10, 0x7f800001
	s_xor_b64 s[4:5], exec, -1
; %bb.2763:
	s_or_b64 exec, exec, s[8:9]
	s_and_b64 s[4:5], s[4:5], exec
	s_or_saveexec_b64 s[6:7], s[6:7]
	v_mov_b32_e32 v2, s10
	s_xor_b64 exec, exec, s[6:7]
	s_cbranch_execz .LBB43_714
.LBB43_2764:
	v_mov_b32_e32 v2, 0
	v_cmp_ne_u16_sdwa s[8:9], v3, v2 src0_sel:BYTE_0 src1_sel:DWORD
	s_andn2_b64 s[4:5], s[4:5], exec
	s_and_b64 s[8:9], s[8:9], exec
	s_or_b64 s[4:5], s[4:5], s[8:9]
	s_or_b64 exec, exec, s[6:7]
	s_and_saveexec_b64 s[6:7], s[4:5]
	s_cbranch_execnz .LBB43_715
	s_branch .LBB43_716
.LBB43_2765:
	s_movk_i32 s4, 0x80
	v_cmp_eq_u16_sdwa s[12:13], v3, s4 src0_sel:BYTE_0 src1_sel:DWORD
	s_mov_b64 s[4:5], -1
                                        ; implicit-def: $sgpr10
	s_and_saveexec_b64 s[8:9], s[12:13]
; %bb.2766:
	s_mov_b32 s10, 0x7f800001
	s_xor_b64 s[4:5], exec, -1
; %bb.2767:
	s_or_b64 exec, exec, s[8:9]
	s_and_b64 s[4:5], s[4:5], exec
	s_or_saveexec_b64 s[6:7], s[6:7]
	v_mov_b32_e32 v6, s10
	s_xor_b64 exec, exec, s[6:7]
	s_cbranch_execz .LBB43_718
.LBB43_2768:
	v_mov_b32_e32 v6, 0
	v_cmp_ne_u16_sdwa s[8:9], v3, v6 src0_sel:BYTE_0 src1_sel:DWORD
	s_andn2_b64 s[4:5], s[4:5], exec
	s_and_b64 s[8:9], s[8:9], exec
	s_or_b64 s[4:5], s[4:5], s[8:9]
	s_or_b64 exec, exec, s[6:7]
	s_and_saveexec_b64 s[6:7], s[4:5]
	s_cbranch_execnz .LBB43_719
	s_branch .LBB43_720
.LBB43_2769:
	s_movk_i32 s4, 0x80
	v_cmp_eq_u16_e32 vcc, s4, v3
	s_mov_b64 s[4:5], -1
                                        ; implicit-def: $sgpr10
	s_and_saveexec_b64 s[8:9], vcc
; %bb.2770:
	s_mov_b32 s10, 0x7f800001
	s_xor_b64 s[4:5], exec, -1
; %bb.2771:
	s_or_b64 exec, exec, s[8:9]
	s_and_b64 s[4:5], s[4:5], exec
                                        ; implicit-def: $vgpr3
	s_or_saveexec_b64 s[6:7], s[6:7]
	v_mov_b32_e32 v2, s10
	s_xor_b64 exec, exec, s[6:7]
	s_cbranch_execz .LBB43_722
.LBB43_2772:
	v_cmp_ne_u16_e32 vcc, 0, v3
	s_andn2_b64 s[4:5], s[4:5], exec
	s_and_b64 s[8:9], vcc, exec
	v_mov_b32_e32 v2, 0
	s_or_b64 s[4:5], s[4:5], s[8:9]
	s_or_b64 exec, exec, s[6:7]
	s_and_saveexec_b64 s[6:7], s[4:5]
	s_cbranch_execnz .LBB43_723
	s_branch .LBB43_724
.LBB43_2773:
	s_movk_i32 s4, 0x80
	v_cmp_eq_u16_e32 vcc, s4, v3
	s_mov_b64 s[4:5], -1
                                        ; implicit-def: $sgpr10
	s_and_saveexec_b64 s[8:9], vcc
; %bb.2774:
	s_mov_b32 s10, 0x7f800001
	s_xor_b64 s[4:5], exec, -1
; %bb.2775:
	s_or_b64 exec, exec, s[8:9]
	s_and_b64 s[4:5], s[4:5], exec
                                        ; implicit-def: $vgpr3
	s_or_saveexec_b64 s[6:7], s[6:7]
	v_mov_b32_e32 v6, s10
	s_xor_b64 exec, exec, s[6:7]
	s_cbranch_execz .LBB43_726
.LBB43_2776:
	v_cmp_ne_u16_e32 vcc, 0, v3
	s_andn2_b64 s[4:5], s[4:5], exec
	s_and_b64 s[8:9], vcc, exec
	v_mov_b32_e32 v6, 0
	s_or_b64 s[4:5], s[4:5], s[8:9]
	s_or_b64 exec, exec, s[6:7]
	s_and_saveexec_b64 s[6:7], s[4:5]
	s_cbranch_execnz .LBB43_727
	s_branch .LBB43_728
.LBB43_2777:
	s_movk_i32 s4, 0x80
	v_cmp_eq_u16_sdwa s[12:13], v8, s4 src0_sel:BYTE_3 src1_sel:DWORD
	s_mov_b64 s[4:5], -1
                                        ; implicit-def: $sgpr10
	s_and_saveexec_b64 s[8:9], s[12:13]
; %bb.2778:
	s_mov_b32 s10, 0x7f800001
	s_xor_b64 s[4:5], exec, -1
; %bb.2779:
	s_or_b64 exec, exec, s[8:9]
	s_and_b64 s[4:5], s[4:5], exec
	s_or_saveexec_b64 s[6:7], s[6:7]
	v_mov_b32_e32 v2, s10
	s_xor_b64 exec, exec, s[6:7]
	s_cbranch_execz .LBB43_730
.LBB43_2780:
	v_mov_b32_e32 v2, 0
	v_cmp_ne_u16_sdwa s[8:9], v8, v2 src0_sel:BYTE_3 src1_sel:DWORD
	s_andn2_b64 s[4:5], s[4:5], exec
	s_and_b64 s[8:9], s[8:9], exec
	s_or_b64 s[4:5], s[4:5], s[8:9]
	s_or_b64 exec, exec, s[6:7]
	s_and_saveexec_b64 s[6:7], s[4:5]
	s_cbranch_execnz .LBB43_731
	s_branch .LBB43_732
.LBB43_2781:
	s_movk_i32 s4, 0x80
	v_cmp_eq_u16_sdwa s[12:13], v4, s4 src0_sel:BYTE_3 src1_sel:DWORD
	s_mov_b64 s[4:5], -1
                                        ; implicit-def: $sgpr10
	s_and_saveexec_b64 s[8:9], s[12:13]
; %bb.2782:
	s_mov_b32 s10, 0x7f800001
	s_xor_b64 s[4:5], exec, -1
; %bb.2783:
	s_or_b64 exec, exec, s[8:9]
	s_and_b64 s[4:5], s[4:5], exec
	s_or_saveexec_b64 s[6:7], s[6:7]
	v_mov_b32_e32 v3, s10
	s_xor_b64 exec, exec, s[6:7]
	s_cbranch_execz .LBB43_734
.LBB43_2784:
	v_mov_b32_e32 v3, 0
	v_cmp_ne_u16_sdwa s[8:9], v4, v3 src0_sel:BYTE_3 src1_sel:DWORD
	s_andn2_b64 s[4:5], s[4:5], exec
	s_and_b64 s[8:9], s[8:9], exec
	s_or_b64 s[4:5], s[4:5], s[8:9]
	s_or_b64 exec, exec, s[6:7]
	s_and_saveexec_b64 s[6:7], s[4:5]
	s_cbranch_execnz .LBB43_735
	s_branch .LBB43_736
.LBB43_2785:
	s_movk_i32 s4, 0x80
	v_cmp_eq_u16_sdwa s[12:13], v9, s4 src0_sel:BYTE_0 src1_sel:DWORD
	s_mov_b64 s[4:5], -1
                                        ; implicit-def: $sgpr10
	s_and_saveexec_b64 s[8:9], s[12:13]
; %bb.2786:
	s_mov_b32 s10, 0x7f800001
	s_xor_b64 s[4:5], exec, -1
; %bb.2787:
	s_or_b64 exec, exec, s[8:9]
	s_and_b64 s[4:5], s[4:5], exec
	s_or_saveexec_b64 s[6:7], s[6:7]
	v_mov_b32_e32 v2, s10
	s_xor_b64 exec, exec, s[6:7]
	s_cbranch_execz .LBB43_738
.LBB43_2788:
	v_mov_b32_e32 v2, 0
	v_cmp_ne_u16_sdwa s[8:9], v9, v2 src0_sel:BYTE_0 src1_sel:DWORD
	s_andn2_b64 s[4:5], s[4:5], exec
	s_and_b64 s[8:9], s[8:9], exec
	s_or_b64 s[4:5], s[4:5], s[8:9]
	s_or_b64 exec, exec, s[6:7]
	s_and_saveexec_b64 s[6:7], s[4:5]
	s_cbranch_execnz .LBB43_739
	s_branch .LBB43_740
.LBB43_2789:
	s_movk_i32 s4, 0x80
	v_cmp_eq_u16_sdwa s[12:13], v5, s4 src0_sel:BYTE_0 src1_sel:DWORD
	s_mov_b64 s[4:5], -1
                                        ; implicit-def: $sgpr10
	s_and_saveexec_b64 s[8:9], s[12:13]
; %bb.2790:
	s_mov_b32 s10, 0x7f800001
	s_xor_b64 s[4:5], exec, -1
; %bb.2791:
	s_or_b64 exec, exec, s[8:9]
	s_and_b64 s[4:5], s[4:5], exec
	s_or_saveexec_b64 s[6:7], s[6:7]
	v_mov_b32_e32 v3, s10
	s_xor_b64 exec, exec, s[6:7]
	s_cbranch_execz .LBB43_742
.LBB43_2792:
	v_mov_b32_e32 v3, 0
	v_cmp_ne_u16_sdwa s[8:9], v5, v3 src0_sel:BYTE_0 src1_sel:DWORD
	s_andn2_b64 s[4:5], s[4:5], exec
	s_and_b64 s[8:9], s[8:9], exec
	s_or_b64 s[4:5], s[4:5], s[8:9]
	s_or_b64 exec, exec, s[6:7]
	s_and_saveexec_b64 s[6:7], s[4:5]
	s_cbranch_execnz .LBB43_743
	s_branch .LBB43_744
.LBB43_2793:
	s_movk_i32 s4, 0x80
	v_cmp_eq_u16_sdwa s[12:13], v3, s4 src0_sel:BYTE_0 src1_sel:DWORD
	s_mov_b64 s[4:5], -1
                                        ; implicit-def: $sgpr10
	s_and_saveexec_b64 s[8:9], s[12:13]
; %bb.2794:
	s_mov_b32 s10, 0x7f800001
	s_xor_b64 s[4:5], exec, -1
; %bb.2795:
	s_or_b64 exec, exec, s[8:9]
	s_and_b64 s[4:5], s[4:5], exec
	s_or_saveexec_b64 s[6:7], s[6:7]
	v_mov_b32_e32 v2, s10
	s_xor_b64 exec, exec, s[6:7]
	s_cbranch_execz .LBB43_746
.LBB43_2796:
	v_mov_b32_e32 v2, 0
	v_cmp_ne_u16_sdwa s[8:9], v3, v2 src0_sel:BYTE_0 src1_sel:DWORD
	s_andn2_b64 s[4:5], s[4:5], exec
	s_and_b64 s[8:9], s[8:9], exec
	s_or_b64 s[4:5], s[4:5], s[8:9]
	s_or_b64 exec, exec, s[6:7]
	s_and_saveexec_b64 s[6:7], s[4:5]
	s_cbranch_execnz .LBB43_747
	s_branch .LBB43_748
.LBB43_2797:
	s_movk_i32 s4, 0x80
	v_cmp_eq_u16_sdwa s[12:13], v3, s4 src0_sel:BYTE_0 src1_sel:DWORD
	s_mov_b64 s[4:5], -1
                                        ; implicit-def: $sgpr10
	s_and_saveexec_b64 s[8:9], s[12:13]
; %bb.2798:
	s_mov_b32 s10, 0x7f800001
	s_xor_b64 s[4:5], exec, -1
; %bb.2799:
	s_or_b64 exec, exec, s[8:9]
	s_and_b64 s[4:5], s[4:5], exec
	s_or_saveexec_b64 s[6:7], s[6:7]
	v_mov_b32_e32 v4, s10
	s_xor_b64 exec, exec, s[6:7]
	s_cbranch_execz .LBB43_750
.LBB43_2800:
	v_mov_b32_e32 v4, 0
	v_cmp_ne_u16_sdwa s[8:9], v3, v4 src0_sel:BYTE_0 src1_sel:DWORD
	s_andn2_b64 s[4:5], s[4:5], exec
	s_and_b64 s[8:9], s[8:9], exec
	s_or_b64 s[4:5], s[4:5], s[8:9]
	s_or_b64 exec, exec, s[6:7]
	s_and_saveexec_b64 s[6:7], s[4:5]
	s_cbranch_execnz .LBB43_751
	s_branch .LBB43_752
.LBB43_2801:
	s_movk_i32 s4, 0x80
	v_cmp_eq_u16_e32 vcc, s4, v3
	s_mov_b64 s[4:5], -1
                                        ; implicit-def: $sgpr10
	s_and_saveexec_b64 s[8:9], vcc
; %bb.2802:
	s_mov_b32 s10, 0x7f800001
	s_xor_b64 s[4:5], exec, -1
; %bb.2803:
	s_or_b64 exec, exec, s[8:9]
	s_and_b64 s[4:5], s[4:5], exec
                                        ; implicit-def: $vgpr3
	s_or_saveexec_b64 s[6:7], s[6:7]
	v_mov_b32_e32 v2, s10
	s_xor_b64 exec, exec, s[6:7]
	s_cbranch_execz .LBB43_754
.LBB43_2804:
	v_cmp_ne_u16_e32 vcc, 0, v3
	s_andn2_b64 s[4:5], s[4:5], exec
	s_and_b64 s[8:9], vcc, exec
	v_mov_b32_e32 v2, 0
	s_or_b64 s[4:5], s[4:5], s[8:9]
	s_or_b64 exec, exec, s[6:7]
	s_and_saveexec_b64 s[6:7], s[4:5]
	s_cbranch_execnz .LBB43_755
	s_branch .LBB43_756
.LBB43_2805:
	s_movk_i32 s4, 0x80
	v_cmp_eq_u16_e32 vcc, s4, v3
	s_mov_b64 s[4:5], -1
                                        ; implicit-def: $sgpr10
	s_and_saveexec_b64 s[8:9], vcc
; %bb.2806:
	s_mov_b32 s10, 0x7f800001
	s_xor_b64 s[4:5], exec, -1
; %bb.2807:
	s_or_b64 exec, exec, s[8:9]
	s_and_b64 s[4:5], s[4:5], exec
                                        ; implicit-def: $vgpr3
	s_or_saveexec_b64 s[6:7], s[6:7]
	v_mov_b32_e32 v4, s10
	s_xor_b64 exec, exec, s[6:7]
	s_cbranch_execz .LBB43_758
.LBB43_2808:
	v_cmp_ne_u16_e32 vcc, 0, v3
	s_andn2_b64 s[4:5], s[4:5], exec
	s_and_b64 s[8:9], vcc, exec
	v_mov_b32_e32 v4, 0
	s_or_b64 s[4:5], s[4:5], s[8:9]
	s_or_b64 exec, exec, s[6:7]
	s_and_saveexec_b64 s[6:7], s[4:5]
	s_cbranch_execnz .LBB43_759
	s_branch .LBB43_760
.LBB43_2809:
	s_movk_i32 s4, 0x80
	v_cmp_eq_u16_sdwa s[12:13], v9, s4 src0_sel:BYTE_3 src1_sel:DWORD
	s_mov_b64 s[4:5], -1
                                        ; implicit-def: $sgpr10
	s_and_saveexec_b64 s[8:9], s[12:13]
; %bb.2810:
	s_mov_b32 s10, 0x7f800001
	s_xor_b64 s[4:5], exec, -1
; %bb.2811:
	s_or_b64 exec, exec, s[8:9]
	s_and_b64 s[4:5], s[4:5], exec
	s_or_saveexec_b64 s[6:7], s[6:7]
	v_mov_b32_e32 v2, s10
	s_xor_b64 exec, exec, s[6:7]
	s_cbranch_execz .LBB43_762
.LBB43_2812:
	v_mov_b32_e32 v2, 0
	v_cmp_ne_u16_sdwa s[8:9], v9, v2 src0_sel:BYTE_3 src1_sel:DWORD
	s_andn2_b64 s[4:5], s[4:5], exec
	s_and_b64 s[8:9], s[8:9], exec
	s_or_b64 s[4:5], s[4:5], s[8:9]
	s_or_b64 exec, exec, s[6:7]
	s_and_saveexec_b64 s[6:7], s[4:5]
	s_cbranch_execnz .LBB43_763
	s_branch .LBB43_764
.LBB43_2813:
	s_movk_i32 s4, 0x80
	v_cmp_eq_u16_sdwa s[12:13], v5, s4 src0_sel:BYTE_3 src1_sel:DWORD
	s_mov_b64 s[4:5], -1
                                        ; implicit-def: $sgpr10
	s_and_saveexec_b64 s[8:9], s[12:13]
; %bb.2814:
	s_mov_b32 s10, 0x7f800001
	s_xor_b64 s[4:5], exec, -1
; %bb.2815:
	s_or_b64 exec, exec, s[8:9]
	s_and_b64 s[4:5], s[4:5], exec
	s_or_saveexec_b64 s[6:7], s[6:7]
	v_mov_b32_e32 v3, s10
	s_xor_b64 exec, exec, s[6:7]
	s_cbranch_execz .LBB43_766
.LBB43_2816:
	v_mov_b32_e32 v3, 0
	v_cmp_ne_u16_sdwa s[8:9], v5, v3 src0_sel:BYTE_3 src1_sel:DWORD
	s_andn2_b64 s[4:5], s[4:5], exec
	s_and_b64 s[8:9], s[8:9], exec
	s_or_b64 s[4:5], s[4:5], s[8:9]
	s_or_b64 exec, exec, s[6:7]
	s_and_saveexec_b64 s[6:7], s[4:5]
	s_cbranch_execnz .LBB43_767
	s_branch .LBB43_768
.LBB43_2817:
	s_movk_i32 s4, 0x80
	v_cmp_eq_u16_sdwa s[12:13], v14, s4 src0_sel:BYTE_0 src1_sel:DWORD
	s_mov_b64 s[4:5], -1
                                        ; implicit-def: $sgpr10
	s_and_saveexec_b64 s[8:9], s[12:13]
; %bb.2818:
	s_mov_b32 s10, 0x7f800001
	s_xor_b64 s[4:5], exec, -1
; %bb.2819:
	s_or_b64 exec, exec, s[8:9]
	s_and_b64 s[4:5], s[4:5], exec
	s_or_saveexec_b64 s[6:7], s[6:7]
	v_mov_b32_e32 v20, s10
	s_xor_b64 exec, exec, s[6:7]
	s_cbranch_execz .LBB43_770
.LBB43_2820:
	v_mov_b32_e32 v20, 0
	v_cmp_ne_u16_sdwa s[8:9], v14, v20 src0_sel:BYTE_0 src1_sel:DWORD
	s_andn2_b64 s[4:5], s[4:5], exec
	s_and_b64 s[8:9], s[8:9], exec
	s_or_b64 s[4:5], s[4:5], s[8:9]
	s_or_b64 exec, exec, s[6:7]
	s_and_saveexec_b64 s[6:7], s[4:5]
	s_cbranch_execnz .LBB43_771
	s_branch .LBB43_772
.LBB43_2821:
	s_movk_i32 s4, 0x80
	v_cmp_eq_u16_sdwa s[12:13], v10, s4 src0_sel:BYTE_0 src1_sel:DWORD
	s_mov_b64 s[4:5], -1
                                        ; implicit-def: $sgpr10
	s_and_saveexec_b64 s[8:9], s[12:13]
; %bb.2822:
	s_mov_b32 s10, 0x7f800001
	s_xor_b64 s[4:5], exec, -1
; %bb.2823:
	s_or_b64 exec, exec, s[8:9]
	s_and_b64 s[4:5], s[4:5], exec
	s_or_saveexec_b64 s[6:7], s[6:7]
	v_mov_b32_e32 v21, s10
	s_xor_b64 exec, exec, s[6:7]
	s_cbranch_execz .LBB43_774
.LBB43_2824:
	v_mov_b32_e32 v21, 0
	v_cmp_ne_u16_sdwa s[8:9], v10, v21 src0_sel:BYTE_0 src1_sel:DWORD
	s_andn2_b64 s[4:5], s[4:5], exec
	s_and_b64 s[8:9], s[8:9], exec
	s_or_b64 s[4:5], s[4:5], s[8:9]
	s_or_b64 exec, exec, s[6:7]
	s_and_saveexec_b64 s[6:7], s[4:5]
	s_cbranch_execnz .LBB43_775
	s_branch .LBB43_776
.LBB43_2825:
	s_movk_i32 s4, 0x80
	v_cmp_eq_u16_sdwa s[12:13], v21, s4 src0_sel:BYTE_0 src1_sel:DWORD
	s_mov_b64 s[4:5], -1
                                        ; implicit-def: $sgpr10
	s_and_saveexec_b64 s[8:9], s[12:13]
; %bb.2826:
	s_mov_b32 s10, 0x7f800001
	s_xor_b64 s[4:5], exec, -1
; %bb.2827:
	s_or_b64 exec, exec, s[8:9]
	s_and_b64 s[4:5], s[4:5], exec
	s_or_saveexec_b64 s[6:7], s[6:7]
	v_mov_b32_e32 v20, s10
	s_xor_b64 exec, exec, s[6:7]
	s_cbranch_execz .LBB43_778
.LBB43_2828:
	v_mov_b32_e32 v20, 0
	v_cmp_ne_u16_sdwa s[8:9], v21, v20 src0_sel:BYTE_0 src1_sel:DWORD
	s_andn2_b64 s[4:5], s[4:5], exec
	s_and_b64 s[8:9], s[8:9], exec
	s_or_b64 s[4:5], s[4:5], s[8:9]
	s_or_b64 exec, exec, s[6:7]
	s_and_saveexec_b64 s[6:7], s[4:5]
	s_cbranch_execnz .LBB43_779
	s_branch .LBB43_780
.LBB43_2829:
	s_movk_i32 s4, 0x80
	v_cmp_eq_u16_sdwa s[12:13], v21, s4 src0_sel:BYTE_0 src1_sel:DWORD
	s_mov_b64 s[4:5], -1
                                        ; implicit-def: $sgpr10
	s_and_saveexec_b64 s[8:9], s[12:13]
; %bb.2830:
	s_mov_b32 s10, 0x7f800001
	s_xor_b64 s[4:5], exec, -1
; %bb.2831:
	s_or_b64 exec, exec, s[8:9]
	s_and_b64 s[4:5], s[4:5], exec
	s_or_saveexec_b64 s[6:7], s[6:7]
	v_mov_b32_e32 v22, s10
	s_xor_b64 exec, exec, s[6:7]
	s_cbranch_execz .LBB43_782
.LBB43_2832:
	v_mov_b32_e32 v22, 0
	v_cmp_ne_u16_sdwa s[8:9], v21, v22 src0_sel:BYTE_0 src1_sel:DWORD
	s_andn2_b64 s[4:5], s[4:5], exec
	s_and_b64 s[8:9], s[8:9], exec
	s_or_b64 s[4:5], s[4:5], s[8:9]
	s_or_b64 exec, exec, s[6:7]
	s_and_saveexec_b64 s[6:7], s[4:5]
	s_cbranch_execnz .LBB43_783
	s_branch .LBB43_784
.LBB43_2833:
	s_movk_i32 s4, 0x80
	v_cmp_eq_u16_e32 vcc, s4, v21
	s_mov_b64 s[4:5], -1
                                        ; implicit-def: $sgpr10
	s_and_saveexec_b64 s[8:9], vcc
; %bb.2834:
	s_mov_b32 s10, 0x7f800001
	s_xor_b64 s[4:5], exec, -1
; %bb.2835:
	s_or_b64 exec, exec, s[8:9]
	s_and_b64 s[4:5], s[4:5], exec
                                        ; implicit-def: $vgpr21
	s_or_saveexec_b64 s[6:7], s[6:7]
	v_mov_b32_e32 v20, s10
	s_xor_b64 exec, exec, s[6:7]
	s_cbranch_execz .LBB43_786
.LBB43_2836:
	v_cmp_ne_u16_e32 vcc, 0, v21
	s_andn2_b64 s[4:5], s[4:5], exec
	s_and_b64 s[8:9], vcc, exec
	v_mov_b32_e32 v20, 0
	s_or_b64 s[4:5], s[4:5], s[8:9]
	s_or_b64 exec, exec, s[6:7]
	s_and_saveexec_b64 s[6:7], s[4:5]
	s_cbranch_execnz .LBB43_787
	s_branch .LBB43_788
.LBB43_2837:
	s_movk_i32 s4, 0x80
	v_cmp_eq_u16_e32 vcc, s4, v21
	s_mov_b64 s[4:5], -1
                                        ; implicit-def: $sgpr10
	s_and_saveexec_b64 s[8:9], vcc
; %bb.2838:
	s_mov_b32 s10, 0x7f800001
	s_xor_b64 s[4:5], exec, -1
; %bb.2839:
	s_or_b64 exec, exec, s[8:9]
	s_and_b64 s[4:5], s[4:5], exec
                                        ; implicit-def: $vgpr21
	s_or_saveexec_b64 s[6:7], s[6:7]
	v_mov_b32_e32 v22, s10
	s_xor_b64 exec, exec, s[6:7]
	s_cbranch_execz .LBB43_790
.LBB43_2840:
	v_cmp_ne_u16_e32 vcc, 0, v21
	s_andn2_b64 s[4:5], s[4:5], exec
	s_and_b64 s[8:9], vcc, exec
	v_mov_b32_e32 v22, 0
	s_or_b64 s[4:5], s[4:5], s[8:9]
	s_or_b64 exec, exec, s[6:7]
	s_and_saveexec_b64 s[6:7], s[4:5]
	s_cbranch_execnz .LBB43_791
	s_branch .LBB43_792
.LBB43_2841:
	s_movk_i32 s4, 0x80
	v_cmp_eq_u16_sdwa s[12:13], v14, s4 src0_sel:BYTE_3 src1_sel:DWORD
	s_mov_b64 s[4:5], -1
                                        ; implicit-def: $sgpr10
	s_and_saveexec_b64 s[8:9], s[12:13]
; %bb.2842:
	s_mov_b32 s10, 0x7f800001
	s_xor_b64 s[4:5], exec, -1
; %bb.2843:
	s_or_b64 exec, exec, s[8:9]
	s_and_b64 s[4:5], s[4:5], exec
	s_or_saveexec_b64 s[6:7], s[6:7]
	v_mov_b32_e32 v20, s10
	s_xor_b64 exec, exec, s[6:7]
	s_cbranch_execz .LBB43_794
.LBB43_2844:
	v_mov_b32_e32 v20, 0
	v_cmp_ne_u16_sdwa s[8:9], v14, v20 src0_sel:BYTE_3 src1_sel:DWORD
	s_andn2_b64 s[4:5], s[4:5], exec
	s_and_b64 s[8:9], s[8:9], exec
	s_or_b64 s[4:5], s[4:5], s[8:9]
	s_or_b64 exec, exec, s[6:7]
	s_and_saveexec_b64 s[6:7], s[4:5]
	s_cbranch_execnz .LBB43_795
	s_branch .LBB43_796
.LBB43_2845:
	s_movk_i32 s4, 0x80
	v_cmp_eq_u16_sdwa s[12:13], v10, s4 src0_sel:BYTE_3 src1_sel:DWORD
	s_mov_b64 s[4:5], -1
                                        ; implicit-def: $sgpr10
	s_and_saveexec_b64 s[8:9], s[12:13]
; %bb.2846:
	s_mov_b32 s10, 0x7f800001
	s_xor_b64 s[4:5], exec, -1
; %bb.2847:
	s_or_b64 exec, exec, s[8:9]
	s_and_b64 s[4:5], s[4:5], exec
	s_or_saveexec_b64 s[6:7], s[6:7]
	v_mov_b32_e32 v14, s10
	s_xor_b64 exec, exec, s[6:7]
	s_cbranch_execz .LBB43_798
.LBB43_2848:
	v_mov_b32_e32 v14, 0
	v_cmp_ne_u16_sdwa s[8:9], v10, v14 src0_sel:BYTE_3 src1_sel:DWORD
	s_andn2_b64 s[4:5], s[4:5], exec
	s_and_b64 s[8:9], s[8:9], exec
	s_or_b64 s[4:5], s[4:5], s[8:9]
	s_or_b64 exec, exec, s[6:7]
	s_and_saveexec_b64 s[6:7], s[4:5]
	s_cbranch_execnz .LBB43_799
	s_branch .LBB43_800
.LBB43_2849:
	s_movk_i32 s4, 0x80
	v_cmp_eq_u16_sdwa s[12:13], v15, s4 src0_sel:BYTE_0 src1_sel:DWORD
	s_mov_b64 s[4:5], -1
                                        ; implicit-def: $sgpr10
	s_and_saveexec_b64 s[8:9], s[12:13]
; %bb.2850:
	s_mov_b32 s10, 0x7f800001
	s_xor_b64 s[4:5], exec, -1
; %bb.2851:
	s_or_b64 exec, exec, s[8:9]
	s_and_b64 s[4:5], s[4:5], exec
	s_or_saveexec_b64 s[6:7], s[6:7]
	v_mov_b32_e32 v10, s10
	s_xor_b64 exec, exec, s[6:7]
	s_cbranch_execz .LBB43_802
.LBB43_2852:
	v_mov_b32_e32 v10, 0
	v_cmp_ne_u16_sdwa s[8:9], v15, v10 src0_sel:BYTE_0 src1_sel:DWORD
	s_andn2_b64 s[4:5], s[4:5], exec
	s_and_b64 s[8:9], s[8:9], exec
	s_or_b64 s[4:5], s[4:5], s[8:9]
	s_or_b64 exec, exec, s[6:7]
	s_and_saveexec_b64 s[6:7], s[4:5]
	s_cbranch_execnz .LBB43_803
	s_branch .LBB43_804
.LBB43_2853:
	s_movk_i32 s4, 0x80
	v_cmp_eq_u16_sdwa s[12:13], v11, s4 src0_sel:BYTE_0 src1_sel:DWORD
	s_mov_b64 s[4:5], -1
                                        ; implicit-def: $sgpr10
	s_and_saveexec_b64 s[8:9], s[12:13]
; %bb.2854:
	s_mov_b32 s10, 0x7f800001
	s_xor_b64 s[4:5], exec, -1
; %bb.2855:
	s_or_b64 exec, exec, s[8:9]
	s_and_b64 s[4:5], s[4:5], exec
	s_or_saveexec_b64 s[6:7], s[6:7]
	v_mov_b32_e32 v14, s10
	s_xor_b64 exec, exec, s[6:7]
	s_cbranch_execz .LBB43_806
.LBB43_2856:
	v_mov_b32_e32 v14, 0
	v_cmp_ne_u16_sdwa s[8:9], v11, v14 src0_sel:BYTE_0 src1_sel:DWORD
	s_andn2_b64 s[4:5], s[4:5], exec
	s_and_b64 s[8:9], s[8:9], exec
	s_or_b64 s[4:5], s[4:5], s[8:9]
	s_or_b64 exec, exec, s[6:7]
	s_and_saveexec_b64 s[6:7], s[4:5]
	s_cbranch_execnz .LBB43_807
	s_branch .LBB43_808
.LBB43_2857:
	s_movk_i32 s4, 0x80
	v_cmp_eq_u16_sdwa s[12:13], v14, s4 src0_sel:BYTE_0 src1_sel:DWORD
	s_mov_b64 s[4:5], -1
                                        ; implicit-def: $sgpr10
	s_and_saveexec_b64 s[8:9], s[12:13]
; %bb.2858:
	s_mov_b32 s10, 0x7f800001
	s_xor_b64 s[4:5], exec, -1
; %bb.2859:
	s_or_b64 exec, exec, s[8:9]
	s_and_b64 s[4:5], s[4:5], exec
	s_or_saveexec_b64 s[6:7], s[6:7]
	v_mov_b32_e32 v10, s10
	s_xor_b64 exec, exec, s[6:7]
	s_cbranch_execz .LBB43_810
.LBB43_2860:
	v_mov_b32_e32 v10, 0
	v_cmp_ne_u16_sdwa s[8:9], v14, v10 src0_sel:BYTE_0 src1_sel:DWORD
	s_andn2_b64 s[4:5], s[4:5], exec
	s_and_b64 s[8:9], s[8:9], exec
	s_or_b64 s[4:5], s[4:5], s[8:9]
	s_or_b64 exec, exec, s[6:7]
	s_and_saveexec_b64 s[6:7], s[4:5]
	s_cbranch_execnz .LBB43_811
	s_branch .LBB43_812
.LBB43_2861:
	s_movk_i32 s4, 0x80
	v_cmp_eq_u16_sdwa s[12:13], v14, s4 src0_sel:BYTE_0 src1_sel:DWORD
	s_mov_b64 s[4:5], -1
                                        ; implicit-def: $sgpr10
	s_and_saveexec_b64 s[8:9], s[12:13]
; %bb.2862:
	s_mov_b32 s10, 0x7f800001
	s_xor_b64 s[4:5], exec, -1
; %bb.2863:
	s_or_b64 exec, exec, s[8:9]
	s_and_b64 s[4:5], s[4:5], exec
	s_or_saveexec_b64 s[6:7], s[6:7]
	v_mov_b32_e32 v20, s10
	s_xor_b64 exec, exec, s[6:7]
	s_cbranch_execz .LBB43_814
.LBB43_2864:
	v_mov_b32_e32 v20, 0
	v_cmp_ne_u16_sdwa s[8:9], v14, v20 src0_sel:BYTE_0 src1_sel:DWORD
	s_andn2_b64 s[4:5], s[4:5], exec
	s_and_b64 s[8:9], s[8:9], exec
	s_or_b64 s[4:5], s[4:5], s[8:9]
	s_or_b64 exec, exec, s[6:7]
	s_and_saveexec_b64 s[6:7], s[4:5]
	s_cbranch_execnz .LBB43_815
	s_branch .LBB43_816
.LBB43_2865:
	s_movk_i32 s4, 0x80
	v_cmp_eq_u16_e32 vcc, s4, v14
	s_mov_b64 s[4:5], -1
                                        ; implicit-def: $sgpr10
	s_and_saveexec_b64 s[8:9], vcc
; %bb.2866:
	s_mov_b32 s10, 0x7f800001
	s_xor_b64 s[4:5], exec, -1
; %bb.2867:
	s_or_b64 exec, exec, s[8:9]
	s_and_b64 s[4:5], s[4:5], exec
                                        ; implicit-def: $vgpr14
	s_or_saveexec_b64 s[6:7], s[6:7]
	v_mov_b32_e32 v10, s10
	s_xor_b64 exec, exec, s[6:7]
	s_cbranch_execz .LBB43_818
.LBB43_2868:
	v_cmp_ne_u16_e32 vcc, 0, v14
	s_andn2_b64 s[4:5], s[4:5], exec
	s_and_b64 s[8:9], vcc, exec
	v_mov_b32_e32 v10, 0
	s_or_b64 s[4:5], s[4:5], s[8:9]
	s_or_b64 exec, exec, s[6:7]
	s_and_saveexec_b64 s[6:7], s[4:5]
	s_cbranch_execnz .LBB43_819
	s_branch .LBB43_820
.LBB43_2869:
	s_movk_i32 s4, 0x80
	v_cmp_eq_u16_e32 vcc, s4, v14
	s_mov_b64 s[4:5], -1
                                        ; implicit-def: $sgpr10
	s_and_saveexec_b64 s[8:9], vcc
; %bb.2870:
	s_mov_b32 s10, 0x7f800001
	s_xor_b64 s[4:5], exec, -1
; %bb.2871:
	s_or_b64 exec, exec, s[8:9]
	s_and_b64 s[4:5], s[4:5], exec
                                        ; implicit-def: $vgpr14
	s_or_saveexec_b64 s[6:7], s[6:7]
	v_mov_b32_e32 v20, s10
	s_xor_b64 exec, exec, s[6:7]
	s_cbranch_execz .LBB43_822
.LBB43_2872:
	v_cmp_ne_u16_e32 vcc, 0, v14
	s_andn2_b64 s[4:5], s[4:5], exec
	s_and_b64 s[8:9], vcc, exec
	v_mov_b32_e32 v20, 0
	s_or_b64 s[4:5], s[4:5], s[8:9]
	s_or_b64 exec, exec, s[6:7]
	s_and_saveexec_b64 s[6:7], s[4:5]
	s_cbranch_execnz .LBB43_823
	s_branch .LBB43_824
.LBB43_2873:
	s_movk_i32 s4, 0x80
	v_cmp_eq_u16_sdwa s[12:13], v15, s4 src0_sel:BYTE_3 src1_sel:DWORD
	s_mov_b64 s[4:5], -1
                                        ; implicit-def: $sgpr10
	s_and_saveexec_b64 s[8:9], s[12:13]
; %bb.2874:
	s_mov_b32 s10, 0x7f800001
	s_xor_b64 s[4:5], exec, -1
; %bb.2875:
	s_or_b64 exec, exec, s[8:9]
	s_and_b64 s[4:5], s[4:5], exec
	s_or_saveexec_b64 s[6:7], s[6:7]
	v_mov_b32_e32 v10, s10
	s_xor_b64 exec, exec, s[6:7]
	s_cbranch_execz .LBB43_826
.LBB43_2876:
	v_mov_b32_e32 v10, 0
	v_cmp_ne_u16_sdwa s[8:9], v15, v10 src0_sel:BYTE_3 src1_sel:DWORD
	s_andn2_b64 s[4:5], s[4:5], exec
	s_and_b64 s[8:9], s[8:9], exec
	s_or_b64 s[4:5], s[4:5], s[8:9]
	s_or_b64 exec, exec, s[6:7]
	s_and_saveexec_b64 s[6:7], s[4:5]
	s_cbranch_execnz .LBB43_827
	s_branch .LBB43_828
.LBB43_2877:
	s_movk_i32 s4, 0x80
	v_cmp_eq_u16_sdwa s[12:13], v11, s4 src0_sel:BYTE_3 src1_sel:DWORD
	s_mov_b64 s[4:5], -1
                                        ; implicit-def: $sgpr10
	s_and_saveexec_b64 s[8:9], s[12:13]
; %bb.2878:
	s_mov_b32 s10, 0x7f800001
	s_xor_b64 s[4:5], exec, -1
; %bb.2879:
	s_or_b64 exec, exec, s[8:9]
	s_and_b64 s[4:5], s[4:5], exec
	s_or_saveexec_b64 s[6:7], s[6:7]
	v_mov_b32_e32 v14, s10
	s_xor_b64 exec, exec, s[6:7]
	s_cbranch_execz .LBB43_830
.LBB43_2880:
	v_mov_b32_e32 v14, 0
	v_cmp_ne_u16_sdwa s[8:9], v11, v14 src0_sel:BYTE_3 src1_sel:DWORD
	s_andn2_b64 s[4:5], s[4:5], exec
	s_and_b64 s[8:9], s[8:9], exec
	s_or_b64 s[4:5], s[4:5], s[8:9]
	s_or_b64 exec, exec, s[6:7]
	s_and_saveexec_b64 s[6:7], s[4:5]
	s_cbranch_execnz .LBB43_831
	s_branch .LBB43_832
.LBB43_2881:
	s_movk_i32 s4, 0x80
	v_cmp_eq_u16_sdwa s[12:13], v16, s4 src0_sel:BYTE_0 src1_sel:DWORD
	s_mov_b64 s[4:5], -1
                                        ; implicit-def: $sgpr10
	s_and_saveexec_b64 s[8:9], s[12:13]
; %bb.2882:
	s_mov_b32 s10, 0x7f800001
	s_xor_b64 s[4:5], exec, -1
; %bb.2883:
	s_or_b64 exec, exec, s[8:9]
	s_and_b64 s[4:5], s[4:5], exec
	s_or_saveexec_b64 s[6:7], s[6:7]
	v_mov_b32_e32 v10, s10
	s_xor_b64 exec, exec, s[6:7]
	s_cbranch_execz .LBB43_834
.LBB43_2884:
	v_mov_b32_e32 v10, 0
	v_cmp_ne_u16_sdwa s[8:9], v16, v10 src0_sel:BYTE_0 src1_sel:DWORD
	s_andn2_b64 s[4:5], s[4:5], exec
	s_and_b64 s[8:9], s[8:9], exec
	s_or_b64 s[4:5], s[4:5], s[8:9]
	s_or_b64 exec, exec, s[6:7]
	s_and_saveexec_b64 s[6:7], s[4:5]
	s_cbranch_execnz .LBB43_835
	s_branch .LBB43_836
.LBB43_2885:
	s_movk_i32 s4, 0x80
	v_cmp_eq_u16_sdwa s[12:13], v12, s4 src0_sel:BYTE_0 src1_sel:DWORD
	s_mov_b64 s[4:5], -1
                                        ; implicit-def: $sgpr10
	s_and_saveexec_b64 s[8:9], s[12:13]
; %bb.2886:
	s_mov_b32 s10, 0x7f800001
	s_xor_b64 s[4:5], exec, -1
; %bb.2887:
	s_or_b64 exec, exec, s[8:9]
	s_and_b64 s[4:5], s[4:5], exec
	s_or_saveexec_b64 s[6:7], s[6:7]
	v_mov_b32_e32 v11, s10
	s_xor_b64 exec, exec, s[6:7]
	s_cbranch_execz .LBB43_838
.LBB43_2888:
	v_mov_b32_e32 v11, 0
	v_cmp_ne_u16_sdwa s[8:9], v12, v11 src0_sel:BYTE_0 src1_sel:DWORD
	s_andn2_b64 s[4:5], s[4:5], exec
	s_and_b64 s[8:9], s[8:9], exec
	s_or_b64 s[4:5], s[4:5], s[8:9]
	s_or_b64 exec, exec, s[6:7]
	s_and_saveexec_b64 s[6:7], s[4:5]
	s_cbranch_execnz .LBB43_839
	s_branch .LBB43_840
.LBB43_2889:
	s_movk_i32 s4, 0x80
	v_cmp_eq_u16_sdwa s[12:13], v11, s4 src0_sel:BYTE_0 src1_sel:DWORD
	s_mov_b64 s[4:5], -1
                                        ; implicit-def: $sgpr10
	s_and_saveexec_b64 s[8:9], s[12:13]
; %bb.2890:
	s_mov_b32 s10, 0x7f800001
	s_xor_b64 s[4:5], exec, -1
; %bb.2891:
	s_or_b64 exec, exec, s[8:9]
	s_and_b64 s[4:5], s[4:5], exec
	s_or_saveexec_b64 s[6:7], s[6:7]
	v_mov_b32_e32 v10, s10
	s_xor_b64 exec, exec, s[6:7]
	s_cbranch_execz .LBB43_842
.LBB43_2892:
	v_mov_b32_e32 v10, 0
	v_cmp_ne_u16_sdwa s[8:9], v11, v10 src0_sel:BYTE_0 src1_sel:DWORD
	s_andn2_b64 s[4:5], s[4:5], exec
	s_and_b64 s[8:9], s[8:9], exec
	s_or_b64 s[4:5], s[4:5], s[8:9]
	s_or_b64 exec, exec, s[6:7]
	s_and_saveexec_b64 s[6:7], s[4:5]
	s_cbranch_execnz .LBB43_843
	s_branch .LBB43_844
.LBB43_2893:
	s_movk_i32 s4, 0x80
	v_cmp_eq_u16_sdwa s[12:13], v11, s4 src0_sel:BYTE_0 src1_sel:DWORD
	s_mov_b64 s[4:5], -1
                                        ; implicit-def: $sgpr10
	s_and_saveexec_b64 s[8:9], s[12:13]
; %bb.2894:
	s_mov_b32 s10, 0x7f800001
	s_xor_b64 s[4:5], exec, -1
; %bb.2895:
	s_or_b64 exec, exec, s[8:9]
	s_and_b64 s[4:5], s[4:5], exec
	s_or_saveexec_b64 s[6:7], s[6:7]
	v_mov_b32_e32 v14, s10
	s_xor_b64 exec, exec, s[6:7]
	s_cbranch_execz .LBB43_846
.LBB43_2896:
	v_mov_b32_e32 v14, 0
	v_cmp_ne_u16_sdwa s[8:9], v11, v14 src0_sel:BYTE_0 src1_sel:DWORD
	s_andn2_b64 s[4:5], s[4:5], exec
	s_and_b64 s[8:9], s[8:9], exec
	s_or_b64 s[4:5], s[4:5], s[8:9]
	s_or_b64 exec, exec, s[6:7]
	s_and_saveexec_b64 s[6:7], s[4:5]
	s_cbranch_execnz .LBB43_847
	s_branch .LBB43_848
.LBB43_2897:
	s_movk_i32 s4, 0x80
	v_cmp_eq_u16_e32 vcc, s4, v11
	s_mov_b64 s[4:5], -1
                                        ; implicit-def: $sgpr10
	s_and_saveexec_b64 s[8:9], vcc
; %bb.2898:
	s_mov_b32 s10, 0x7f800001
	s_xor_b64 s[4:5], exec, -1
; %bb.2899:
	s_or_b64 exec, exec, s[8:9]
	s_and_b64 s[4:5], s[4:5], exec
                                        ; implicit-def: $vgpr11
	s_or_saveexec_b64 s[6:7], s[6:7]
	v_mov_b32_e32 v10, s10
	s_xor_b64 exec, exec, s[6:7]
	s_cbranch_execz .LBB43_850
.LBB43_2900:
	v_cmp_ne_u16_e32 vcc, 0, v11
	s_andn2_b64 s[4:5], s[4:5], exec
	s_and_b64 s[8:9], vcc, exec
	v_mov_b32_e32 v10, 0
	s_or_b64 s[4:5], s[4:5], s[8:9]
	s_or_b64 exec, exec, s[6:7]
	s_and_saveexec_b64 s[6:7], s[4:5]
	s_cbranch_execnz .LBB43_851
	s_branch .LBB43_852
.LBB43_2901:
	s_movk_i32 s4, 0x80
	v_cmp_eq_u16_e32 vcc, s4, v11
	s_mov_b64 s[4:5], -1
                                        ; implicit-def: $sgpr10
	s_and_saveexec_b64 s[8:9], vcc
; %bb.2902:
	s_mov_b32 s10, 0x7f800001
	s_xor_b64 s[4:5], exec, -1
; %bb.2903:
	s_or_b64 exec, exec, s[8:9]
	s_and_b64 s[4:5], s[4:5], exec
                                        ; implicit-def: $vgpr11
	s_or_saveexec_b64 s[6:7], s[6:7]
	v_mov_b32_e32 v14, s10
	s_xor_b64 exec, exec, s[6:7]
	s_cbranch_execz .LBB43_854
.LBB43_2904:
	v_cmp_ne_u16_e32 vcc, 0, v11
	s_andn2_b64 s[4:5], s[4:5], exec
	s_and_b64 s[8:9], vcc, exec
	v_mov_b32_e32 v14, 0
	s_or_b64 s[4:5], s[4:5], s[8:9]
	s_or_b64 exec, exec, s[6:7]
	s_and_saveexec_b64 s[6:7], s[4:5]
	s_cbranch_execnz .LBB43_855
	s_branch .LBB43_856
.LBB43_2905:
	s_movk_i32 s4, 0x80
	v_cmp_eq_u16_sdwa s[12:13], v16, s4 src0_sel:BYTE_3 src1_sel:DWORD
	s_mov_b64 s[4:5], -1
                                        ; implicit-def: $sgpr10
	s_and_saveexec_b64 s[8:9], s[12:13]
; %bb.2906:
	s_mov_b32 s10, 0x7f800001
	s_xor_b64 s[4:5], exec, -1
; %bb.2907:
	s_or_b64 exec, exec, s[8:9]
	s_and_b64 s[4:5], s[4:5], exec
	s_or_saveexec_b64 s[6:7], s[6:7]
	v_mov_b32_e32 v10, s10
	s_xor_b64 exec, exec, s[6:7]
	s_cbranch_execz .LBB43_858
.LBB43_2908:
	v_mov_b32_e32 v10, 0
	v_cmp_ne_u16_sdwa s[8:9], v16, v10 src0_sel:BYTE_3 src1_sel:DWORD
	s_andn2_b64 s[4:5], s[4:5], exec
	s_and_b64 s[8:9], s[8:9], exec
	s_or_b64 s[4:5], s[4:5], s[8:9]
	s_or_b64 exec, exec, s[6:7]
	s_and_saveexec_b64 s[6:7], s[4:5]
	s_cbranch_execnz .LBB43_859
	s_branch .LBB43_860
.LBB43_2909:
	s_movk_i32 s4, 0x80
	v_cmp_eq_u16_sdwa s[12:13], v12, s4 src0_sel:BYTE_3 src1_sel:DWORD
	s_mov_b64 s[4:5], -1
                                        ; implicit-def: $sgpr10
	s_and_saveexec_b64 s[8:9], s[12:13]
; %bb.2910:
	s_mov_b32 s10, 0x7f800001
	s_xor_b64 s[4:5], exec, -1
; %bb.2911:
	s_or_b64 exec, exec, s[8:9]
	s_and_b64 s[4:5], s[4:5], exec
	s_or_saveexec_b64 s[6:7], s[6:7]
	v_mov_b32_e32 v11, s10
	s_xor_b64 exec, exec, s[6:7]
	s_cbranch_execz .LBB43_862
.LBB43_2912:
	v_mov_b32_e32 v11, 0
	v_cmp_ne_u16_sdwa s[8:9], v12, v11 src0_sel:BYTE_3 src1_sel:DWORD
	s_andn2_b64 s[4:5], s[4:5], exec
	s_and_b64 s[8:9], s[8:9], exec
	s_or_b64 s[4:5], s[4:5], s[8:9]
	s_or_b64 exec, exec, s[6:7]
	s_and_saveexec_b64 s[6:7], s[4:5]
	s_cbranch_execnz .LBB43_863
	s_branch .LBB43_864
.LBB43_2913:
	s_movk_i32 s4, 0x80
	v_cmp_eq_u16_sdwa s[12:13], v17, s4 src0_sel:BYTE_0 src1_sel:DWORD
	s_mov_b64 s[4:5], -1
                                        ; implicit-def: $sgpr10
	s_and_saveexec_b64 s[8:9], s[12:13]
; %bb.2914:
	s_mov_b32 s10, 0x7f800001
	s_xor_b64 s[4:5], exec, -1
; %bb.2915:
	s_or_b64 exec, exec, s[8:9]
	s_and_b64 s[4:5], s[4:5], exec
	s_or_saveexec_b64 s[6:7], s[6:7]
	v_mov_b32_e32 v10, s10
	s_xor_b64 exec, exec, s[6:7]
	s_cbranch_execz .LBB43_866
.LBB43_2916:
	v_mov_b32_e32 v10, 0
	v_cmp_ne_u16_sdwa s[8:9], v17, v10 src0_sel:BYTE_0 src1_sel:DWORD
	s_andn2_b64 s[4:5], s[4:5], exec
	s_and_b64 s[8:9], s[8:9], exec
	s_or_b64 s[4:5], s[4:5], s[8:9]
	s_or_b64 exec, exec, s[6:7]
	s_and_saveexec_b64 s[6:7], s[4:5]
	s_cbranch_execnz .LBB43_867
	s_branch .LBB43_868
.LBB43_2917:
	s_movk_i32 s4, 0x80
	v_cmp_eq_u16_sdwa s[12:13], v13, s4 src0_sel:BYTE_0 src1_sel:DWORD
	s_mov_b64 s[4:5], -1
                                        ; implicit-def: $sgpr10
	s_and_saveexec_b64 s[8:9], s[12:13]
; %bb.2918:
	s_mov_b32 s10, 0x7f800001
	s_xor_b64 s[4:5], exec, -1
; %bb.2919:
	s_or_b64 exec, exec, s[8:9]
	s_and_b64 s[4:5], s[4:5], exec
	s_or_saveexec_b64 s[6:7], s[6:7]
	v_mov_b32_e32 v11, s10
	s_xor_b64 exec, exec, s[6:7]
	s_cbranch_execz .LBB43_870
.LBB43_2920:
	v_mov_b32_e32 v11, 0
	v_cmp_ne_u16_sdwa s[8:9], v13, v11 src0_sel:BYTE_0 src1_sel:DWORD
	s_andn2_b64 s[4:5], s[4:5], exec
	s_and_b64 s[8:9], s[8:9], exec
	s_or_b64 s[4:5], s[4:5], s[8:9]
	s_or_b64 exec, exec, s[6:7]
	s_and_saveexec_b64 s[6:7], s[4:5]
	s_cbranch_execnz .LBB43_871
	s_branch .LBB43_872
.LBB43_2921:
	s_movk_i32 s4, 0x80
	v_cmp_eq_u16_sdwa s[12:13], v11, s4 src0_sel:BYTE_0 src1_sel:DWORD
	s_mov_b64 s[4:5], -1
                                        ; implicit-def: $sgpr10
	s_and_saveexec_b64 s[8:9], s[12:13]
; %bb.2922:
	s_mov_b32 s10, 0x7f800001
	s_xor_b64 s[4:5], exec, -1
; %bb.2923:
	s_or_b64 exec, exec, s[8:9]
	s_and_b64 s[4:5], s[4:5], exec
	s_or_saveexec_b64 s[6:7], s[6:7]
	v_mov_b32_e32 v10, s10
	s_xor_b64 exec, exec, s[6:7]
	s_cbranch_execz .LBB43_874
.LBB43_2924:
	v_mov_b32_e32 v10, 0
	v_cmp_ne_u16_sdwa s[8:9], v11, v10 src0_sel:BYTE_0 src1_sel:DWORD
	s_andn2_b64 s[4:5], s[4:5], exec
	s_and_b64 s[8:9], s[8:9], exec
	s_or_b64 s[4:5], s[4:5], s[8:9]
	s_or_b64 exec, exec, s[6:7]
	s_and_saveexec_b64 s[6:7], s[4:5]
	s_cbranch_execnz .LBB43_875
	s_branch .LBB43_876
.LBB43_2925:
	s_movk_i32 s4, 0x80
	v_cmp_eq_u16_sdwa s[12:13], v11, s4 src0_sel:BYTE_0 src1_sel:DWORD
	s_mov_b64 s[4:5], -1
                                        ; implicit-def: $sgpr10
	s_and_saveexec_b64 s[8:9], s[12:13]
; %bb.2926:
	s_mov_b32 s10, 0x7f800001
	s_xor_b64 s[4:5], exec, -1
; %bb.2927:
	s_or_b64 exec, exec, s[8:9]
	s_and_b64 s[4:5], s[4:5], exec
	s_or_saveexec_b64 s[6:7], s[6:7]
	v_mov_b32_e32 v12, s10
	s_xor_b64 exec, exec, s[6:7]
	s_cbranch_execz .LBB43_878
.LBB43_2928:
	v_mov_b32_e32 v12, 0
	v_cmp_ne_u16_sdwa s[8:9], v11, v12 src0_sel:BYTE_0 src1_sel:DWORD
	s_andn2_b64 s[4:5], s[4:5], exec
	s_and_b64 s[8:9], s[8:9], exec
	s_or_b64 s[4:5], s[4:5], s[8:9]
	s_or_b64 exec, exec, s[6:7]
	s_and_saveexec_b64 s[6:7], s[4:5]
	s_cbranch_execnz .LBB43_879
	s_branch .LBB43_880
.LBB43_2929:
	s_movk_i32 s4, 0x80
	v_cmp_eq_u16_e32 vcc, s4, v11
	s_mov_b64 s[4:5], -1
                                        ; implicit-def: $sgpr10
	s_and_saveexec_b64 s[8:9], vcc
; %bb.2930:
	s_mov_b32 s10, 0x7f800001
	s_xor_b64 s[4:5], exec, -1
; %bb.2931:
	s_or_b64 exec, exec, s[8:9]
	s_and_b64 s[4:5], s[4:5], exec
                                        ; implicit-def: $vgpr11
	s_or_saveexec_b64 s[6:7], s[6:7]
	v_mov_b32_e32 v10, s10
	s_xor_b64 exec, exec, s[6:7]
	s_cbranch_execz .LBB43_882
.LBB43_2932:
	v_cmp_ne_u16_e32 vcc, 0, v11
	s_andn2_b64 s[4:5], s[4:5], exec
	s_and_b64 s[8:9], vcc, exec
	v_mov_b32_e32 v10, 0
	s_or_b64 s[4:5], s[4:5], s[8:9]
	s_or_b64 exec, exec, s[6:7]
	s_and_saveexec_b64 s[6:7], s[4:5]
	s_cbranch_execnz .LBB43_883
	s_branch .LBB43_884
.LBB43_2933:
	s_movk_i32 s4, 0x80
	v_cmp_eq_u16_e32 vcc, s4, v11
	s_mov_b64 s[4:5], -1
                                        ; implicit-def: $sgpr10
	s_and_saveexec_b64 s[8:9], vcc
; %bb.2934:
	s_mov_b32 s10, 0x7f800001
	s_xor_b64 s[4:5], exec, -1
; %bb.2935:
	s_or_b64 exec, exec, s[8:9]
	s_and_b64 s[4:5], s[4:5], exec
                                        ; implicit-def: $vgpr11
	s_or_saveexec_b64 s[6:7], s[6:7]
	v_mov_b32_e32 v12, s10
	s_xor_b64 exec, exec, s[6:7]
	s_cbranch_execz .LBB43_886
.LBB43_2936:
	v_cmp_ne_u16_e32 vcc, 0, v11
	s_andn2_b64 s[4:5], s[4:5], exec
	s_and_b64 s[8:9], vcc, exec
	v_mov_b32_e32 v12, 0
	s_or_b64 s[4:5], s[4:5], s[8:9]
	s_or_b64 exec, exec, s[6:7]
	s_and_saveexec_b64 s[6:7], s[4:5]
	s_cbranch_execnz .LBB43_887
	s_branch .LBB43_888
.LBB43_2937:
	s_movk_i32 s4, 0x80
	v_cmp_eq_u16_sdwa s[12:13], v17, s4 src0_sel:BYTE_3 src1_sel:DWORD
	s_mov_b64 s[4:5], -1
                                        ; implicit-def: $sgpr10
	s_and_saveexec_b64 s[8:9], s[12:13]
; %bb.2938:
	s_mov_b32 s10, 0x7f800001
	s_xor_b64 s[4:5], exec, -1
; %bb.2939:
	s_or_b64 exec, exec, s[8:9]
	s_and_b64 s[4:5], s[4:5], exec
	s_or_saveexec_b64 s[6:7], s[6:7]
	v_mov_b32_e32 v10, s10
	s_xor_b64 exec, exec, s[6:7]
	s_cbranch_execz .LBB43_890
.LBB43_2940:
	v_mov_b32_e32 v10, 0
	v_cmp_ne_u16_sdwa s[8:9], v17, v10 src0_sel:BYTE_3 src1_sel:DWORD
	s_andn2_b64 s[4:5], s[4:5], exec
	s_and_b64 s[8:9], s[8:9], exec
	s_or_b64 s[4:5], s[4:5], s[8:9]
	s_or_b64 exec, exec, s[6:7]
	s_and_saveexec_b64 s[6:7], s[4:5]
	s_cbranch_execnz .LBB43_891
	s_branch .LBB43_892
.LBB43_2941:
	s_movk_i32 s4, 0x80
	v_cmp_eq_u16_sdwa s[12:13], v13, s4 src0_sel:BYTE_3 src1_sel:DWORD
	s_mov_b64 s[4:5], -1
                                        ; implicit-def: $sgpr10
	s_and_saveexec_b64 s[8:9], s[12:13]
; %bb.2942:
	s_mov_b32 s10, 0x7f800001
	s_xor_b64 s[4:5], exec, -1
; %bb.2943:
	s_or_b64 exec, exec, s[8:9]
	s_and_b64 s[4:5], s[4:5], exec
	s_or_saveexec_b64 s[6:7], s[6:7]
	v_mov_b32_e32 v11, s10
	s_xor_b64 exec, exec, s[6:7]
	s_cbranch_execz .LBB43_894
.LBB43_2944:
	v_mov_b32_e32 v11, 0
	v_cmp_ne_u16_sdwa s[8:9], v13, v11 src0_sel:BYTE_3 src1_sel:DWORD
	s_andn2_b64 s[4:5], s[4:5], exec
	s_and_b64 s[8:9], s[8:9], exec
	s_or_b64 s[4:5], s[4:5], s[8:9]
	s_or_b64 exec, exec, s[6:7]
	s_and_saveexec_b64 s[6:7], s[4:5]
	s_cbranch_execnz .LBB43_895
	s_branch .LBB43_896
.LBB43_2945:
	s_movk_i32 s4, 0x80
	v_cmp_eq_u16_sdwa s[12:13], v6, s4 src0_sel:BYTE_0 src1_sel:DWORD
	s_mov_b64 s[4:5], -1
                                        ; implicit-def: $sgpr10
	s_and_saveexec_b64 s[8:9], s[12:13]
; %bb.2946:
	s_mov_b32 s10, 0x7f800001
	s_xor_b64 s[4:5], exec, -1
; %bb.2947:
	s_or_b64 exec, exec, s[8:9]
	s_and_b64 s[4:5], s[4:5], exec
	s_or_saveexec_b64 s[6:7], s[6:7]
	v_mov_b32_e32 v10, s10
	s_xor_b64 exec, exec, s[6:7]
	s_cbranch_execz .LBB43_898
.LBB43_2948:
	v_mov_b32_e32 v10, 0
	v_cmp_ne_u16_sdwa s[8:9], v6, v10 src0_sel:BYTE_0 src1_sel:DWORD
	s_andn2_b64 s[4:5], s[4:5], exec
	s_and_b64 s[8:9], s[8:9], exec
	s_or_b64 s[4:5], s[4:5], s[8:9]
	s_or_b64 exec, exec, s[6:7]
	s_and_saveexec_b64 s[6:7], s[4:5]
	s_cbranch_execnz .LBB43_899
	s_branch .LBB43_900
.LBB43_2949:
	s_movk_i32 s4, 0x80
	v_cmp_eq_u16_sdwa s[12:13], v2, s4 src0_sel:BYTE_0 src1_sel:DWORD
	s_mov_b64 s[4:5], -1
                                        ; implicit-def: $sgpr10
	s_and_saveexec_b64 s[8:9], s[12:13]
; %bb.2950:
	s_mov_b32 s10, 0x7f800001
	s_xor_b64 s[4:5], exec, -1
; %bb.2951:
	s_or_b64 exec, exec, s[8:9]
	s_and_b64 s[4:5], s[4:5], exec
	s_or_saveexec_b64 s[6:7], s[6:7]
	v_mov_b32_e32 v11, s10
	s_xor_b64 exec, exec, s[6:7]
	s_cbranch_execz .LBB43_902
.LBB43_2952:
	v_mov_b32_e32 v11, 0
	v_cmp_ne_u16_sdwa s[8:9], v2, v11 src0_sel:BYTE_0 src1_sel:DWORD
	s_andn2_b64 s[4:5], s[4:5], exec
	s_and_b64 s[8:9], s[8:9], exec
	s_or_b64 s[4:5], s[4:5], s[8:9]
	s_or_b64 exec, exec, s[6:7]
	s_and_saveexec_b64 s[6:7], s[4:5]
	s_cbranch_execnz .LBB43_903
	s_branch .LBB43_904
.LBB43_2953:
	s_movk_i32 s4, 0x80
	v_cmp_eq_u16_sdwa s[12:13], v11, s4 src0_sel:BYTE_0 src1_sel:DWORD
	s_mov_b64 s[4:5], -1
                                        ; implicit-def: $sgpr10
	s_and_saveexec_b64 s[8:9], s[12:13]
; %bb.2954:
	s_mov_b32 s10, 0x7f800001
	s_xor_b64 s[4:5], exec, -1
; %bb.2955:
	s_or_b64 exec, exec, s[8:9]
	s_and_b64 s[4:5], s[4:5], exec
	s_or_saveexec_b64 s[6:7], s[6:7]
	v_mov_b32_e32 v10, s10
	s_xor_b64 exec, exec, s[6:7]
	s_cbranch_execz .LBB43_906
.LBB43_2956:
	v_mov_b32_e32 v10, 0
	v_cmp_ne_u16_sdwa s[8:9], v11, v10 src0_sel:BYTE_0 src1_sel:DWORD
	s_andn2_b64 s[4:5], s[4:5], exec
	s_and_b64 s[8:9], s[8:9], exec
	s_or_b64 s[4:5], s[4:5], s[8:9]
	s_or_b64 exec, exec, s[6:7]
	s_and_saveexec_b64 s[6:7], s[4:5]
	s_cbranch_execnz .LBB43_907
	s_branch .LBB43_908
.LBB43_2957:
	s_movk_i32 s4, 0x80
	v_cmp_eq_u16_sdwa s[12:13], v11, s4 src0_sel:BYTE_0 src1_sel:DWORD
	s_mov_b64 s[4:5], -1
                                        ; implicit-def: $sgpr10
	s_and_saveexec_b64 s[8:9], s[12:13]
; %bb.2958:
	s_mov_b32 s10, 0x7f800001
	s_xor_b64 s[4:5], exec, -1
; %bb.2959:
	s_or_b64 exec, exec, s[8:9]
	s_and_b64 s[4:5], s[4:5], exec
	s_or_saveexec_b64 s[6:7], s[6:7]
	v_mov_b32_e32 v12, s10
	s_xor_b64 exec, exec, s[6:7]
	s_cbranch_execz .LBB43_910
.LBB43_2960:
	v_mov_b32_e32 v12, 0
	v_cmp_ne_u16_sdwa s[8:9], v11, v12 src0_sel:BYTE_0 src1_sel:DWORD
	s_andn2_b64 s[4:5], s[4:5], exec
	s_and_b64 s[8:9], s[8:9], exec
	s_or_b64 s[4:5], s[4:5], s[8:9]
	s_or_b64 exec, exec, s[6:7]
	s_and_saveexec_b64 s[6:7], s[4:5]
	s_cbranch_execnz .LBB43_911
	s_branch .LBB43_912
.LBB43_2961:
	s_movk_i32 s4, 0x80
	v_cmp_eq_u16_e32 vcc, s4, v11
	s_mov_b64 s[4:5], -1
                                        ; implicit-def: $sgpr10
	s_and_saveexec_b64 s[8:9], vcc
; %bb.2962:
	s_mov_b32 s10, 0x7f800001
	s_xor_b64 s[4:5], exec, -1
; %bb.2963:
	s_or_b64 exec, exec, s[8:9]
	s_and_b64 s[4:5], s[4:5], exec
                                        ; implicit-def: $vgpr11
	s_or_saveexec_b64 s[6:7], s[6:7]
	v_mov_b32_e32 v10, s10
	s_xor_b64 exec, exec, s[6:7]
	s_cbranch_execz .LBB43_914
.LBB43_2964:
	v_cmp_ne_u16_e32 vcc, 0, v11
	s_andn2_b64 s[4:5], s[4:5], exec
	s_and_b64 s[8:9], vcc, exec
	v_mov_b32_e32 v10, 0
	s_or_b64 s[4:5], s[4:5], s[8:9]
	s_or_b64 exec, exec, s[6:7]
	s_and_saveexec_b64 s[6:7], s[4:5]
	s_cbranch_execnz .LBB43_915
	s_branch .LBB43_916
.LBB43_2965:
	s_movk_i32 s4, 0x80
	v_cmp_eq_u16_e32 vcc, s4, v11
	s_mov_b64 s[4:5], -1
                                        ; implicit-def: $sgpr10
	s_and_saveexec_b64 s[8:9], vcc
; %bb.2966:
	s_mov_b32 s10, 0x7f800001
	s_xor_b64 s[4:5], exec, -1
; %bb.2967:
	s_or_b64 exec, exec, s[8:9]
	s_and_b64 s[4:5], s[4:5], exec
                                        ; implicit-def: $vgpr11
	s_or_saveexec_b64 s[6:7], s[6:7]
	v_mov_b32_e32 v12, s10
	s_xor_b64 exec, exec, s[6:7]
	s_cbranch_execz .LBB43_918
.LBB43_2968:
	v_cmp_ne_u16_e32 vcc, 0, v11
	s_andn2_b64 s[4:5], s[4:5], exec
	s_and_b64 s[8:9], vcc, exec
	v_mov_b32_e32 v12, 0
	s_or_b64 s[4:5], s[4:5], s[8:9]
	s_or_b64 exec, exec, s[6:7]
	s_and_saveexec_b64 s[6:7], s[4:5]
	s_cbranch_execnz .LBB43_919
	s_branch .LBB43_920
.LBB43_2969:
	s_movk_i32 s4, 0x80
	v_cmp_eq_u16_sdwa s[12:13], v6, s4 src0_sel:BYTE_3 src1_sel:DWORD
	s_mov_b64 s[4:5], -1
                                        ; implicit-def: $sgpr10
	s_and_saveexec_b64 s[8:9], s[12:13]
; %bb.2970:
	s_mov_b32 s10, 0x7f800001
	s_xor_b64 s[4:5], exec, -1
; %bb.2971:
	s_or_b64 exec, exec, s[8:9]
	s_and_b64 s[4:5], s[4:5], exec
	s_or_saveexec_b64 s[6:7], s[6:7]
	v_mov_b32_e32 v10, s10
	s_xor_b64 exec, exec, s[6:7]
	s_cbranch_execz .LBB43_922
.LBB43_2972:
	v_mov_b32_e32 v10, 0
	v_cmp_ne_u16_sdwa s[8:9], v6, v10 src0_sel:BYTE_3 src1_sel:DWORD
	s_andn2_b64 s[4:5], s[4:5], exec
	s_and_b64 s[8:9], s[8:9], exec
	s_or_b64 s[4:5], s[4:5], s[8:9]
	s_or_b64 exec, exec, s[6:7]
	s_and_saveexec_b64 s[6:7], s[4:5]
	s_cbranch_execnz .LBB43_923
	s_branch .LBB43_924
.LBB43_2973:
	s_movk_i32 s4, 0x80
	v_cmp_eq_u16_sdwa s[12:13], v2, s4 src0_sel:BYTE_3 src1_sel:DWORD
	s_mov_b64 s[4:5], -1
                                        ; implicit-def: $sgpr10
	s_and_saveexec_b64 s[8:9], s[12:13]
; %bb.2974:
	s_mov_b32 s10, 0x7f800001
	s_xor_b64 s[4:5], exec, -1
; %bb.2975:
	s_or_b64 exec, exec, s[8:9]
	s_and_b64 s[4:5], s[4:5], exec
	s_or_saveexec_b64 s[6:7], s[6:7]
	v_mov_b32_e32 v6, s10
	s_xor_b64 exec, exec, s[6:7]
	s_cbranch_execz .LBB43_926
.LBB43_2976:
	v_mov_b32_e32 v6, 0
	v_cmp_ne_u16_sdwa s[8:9], v2, v6 src0_sel:BYTE_3 src1_sel:DWORD
	s_andn2_b64 s[4:5], s[4:5], exec
	s_and_b64 s[8:9], s[8:9], exec
	s_or_b64 s[4:5], s[4:5], s[8:9]
	s_or_b64 exec, exec, s[6:7]
	s_and_saveexec_b64 s[6:7], s[4:5]
	s_cbranch_execnz .LBB43_927
	s_branch .LBB43_928
.LBB43_2977:
	s_movk_i32 s4, 0x80
	v_cmp_eq_u16_sdwa s[12:13], v7, s4 src0_sel:BYTE_0 src1_sel:DWORD
	s_mov_b64 s[4:5], -1
                                        ; implicit-def: $sgpr10
	s_and_saveexec_b64 s[8:9], s[12:13]
; %bb.2978:
	s_mov_b32 s10, 0x7f800001
	s_xor_b64 s[4:5], exec, -1
; %bb.2979:
	s_or_b64 exec, exec, s[8:9]
	s_and_b64 s[4:5], s[4:5], exec
	s_or_saveexec_b64 s[6:7], s[6:7]
	v_mov_b32_e32 v2, s10
	s_xor_b64 exec, exec, s[6:7]
	s_cbranch_execz .LBB43_930
.LBB43_2980:
	v_mov_b32_e32 v2, 0
	v_cmp_ne_u16_sdwa s[8:9], v7, v2 src0_sel:BYTE_0 src1_sel:DWORD
	s_andn2_b64 s[4:5], s[4:5], exec
	s_and_b64 s[8:9], s[8:9], exec
	s_or_b64 s[4:5], s[4:5], s[8:9]
	s_or_b64 exec, exec, s[6:7]
	s_and_saveexec_b64 s[6:7], s[4:5]
	s_cbranch_execnz .LBB43_931
	s_branch .LBB43_932
.LBB43_2981:
	s_movk_i32 s4, 0x80
	v_cmp_eq_u16_sdwa s[12:13], v3, s4 src0_sel:BYTE_0 src1_sel:DWORD
	s_mov_b64 s[4:5], -1
                                        ; implicit-def: $sgpr10
	s_and_saveexec_b64 s[8:9], s[12:13]
; %bb.2982:
	s_mov_b32 s10, 0x7f800001
	s_xor_b64 s[4:5], exec, -1
; %bb.2983:
	s_or_b64 exec, exec, s[8:9]
	s_and_b64 s[4:5], s[4:5], exec
	s_or_saveexec_b64 s[6:7], s[6:7]
	v_mov_b32_e32 v6, s10
	s_xor_b64 exec, exec, s[6:7]
	s_cbranch_execz .LBB43_934
.LBB43_2984:
	v_mov_b32_e32 v6, 0
	v_cmp_ne_u16_sdwa s[8:9], v3, v6 src0_sel:BYTE_0 src1_sel:DWORD
	s_andn2_b64 s[4:5], s[4:5], exec
	s_and_b64 s[8:9], s[8:9], exec
	s_or_b64 s[4:5], s[4:5], s[8:9]
	s_or_b64 exec, exec, s[6:7]
	s_and_saveexec_b64 s[6:7], s[4:5]
	s_cbranch_execnz .LBB43_935
	s_branch .LBB43_936
.LBB43_2985:
	s_movk_i32 s4, 0x80
	v_cmp_eq_u16_sdwa s[12:13], v6, s4 src0_sel:BYTE_0 src1_sel:DWORD
	s_mov_b64 s[4:5], -1
                                        ; implicit-def: $sgpr10
	s_and_saveexec_b64 s[8:9], s[12:13]
; %bb.2986:
	s_mov_b32 s10, 0x7f800001
	s_xor_b64 s[4:5], exec, -1
; %bb.2987:
	s_or_b64 exec, exec, s[8:9]
	s_and_b64 s[4:5], s[4:5], exec
	s_or_saveexec_b64 s[6:7], s[6:7]
	v_mov_b32_e32 v2, s10
	s_xor_b64 exec, exec, s[6:7]
	s_cbranch_execz .LBB43_938
.LBB43_2988:
	v_mov_b32_e32 v2, 0
	v_cmp_ne_u16_sdwa s[8:9], v6, v2 src0_sel:BYTE_0 src1_sel:DWORD
	s_andn2_b64 s[4:5], s[4:5], exec
	s_and_b64 s[8:9], s[8:9], exec
	s_or_b64 s[4:5], s[4:5], s[8:9]
	s_or_b64 exec, exec, s[6:7]
	s_and_saveexec_b64 s[6:7], s[4:5]
	s_cbranch_execnz .LBB43_939
	s_branch .LBB43_940
.LBB43_2989:
	s_movk_i32 s4, 0x80
	v_cmp_eq_u16_sdwa s[12:13], v6, s4 src0_sel:BYTE_0 src1_sel:DWORD
	s_mov_b64 s[4:5], -1
                                        ; implicit-def: $sgpr10
	s_and_saveexec_b64 s[8:9], s[12:13]
; %bb.2990:
	s_mov_b32 s10, 0x7f800001
	s_xor_b64 s[4:5], exec, -1
; %bb.2991:
	s_or_b64 exec, exec, s[8:9]
	s_and_b64 s[4:5], s[4:5], exec
	s_or_saveexec_b64 s[6:7], s[6:7]
	v_mov_b32_e32 v10, s10
	s_xor_b64 exec, exec, s[6:7]
	s_cbranch_execz .LBB43_942
.LBB43_2992:
	v_mov_b32_e32 v10, 0
	v_cmp_ne_u16_sdwa s[8:9], v6, v10 src0_sel:BYTE_0 src1_sel:DWORD
	s_andn2_b64 s[4:5], s[4:5], exec
	s_and_b64 s[8:9], s[8:9], exec
	s_or_b64 s[4:5], s[4:5], s[8:9]
	s_or_b64 exec, exec, s[6:7]
	s_and_saveexec_b64 s[6:7], s[4:5]
	s_cbranch_execnz .LBB43_943
	s_branch .LBB43_944
.LBB43_2993:
	s_movk_i32 s4, 0x80
	v_cmp_eq_u16_e32 vcc, s4, v6
	s_mov_b64 s[4:5], -1
                                        ; implicit-def: $sgpr10
	s_and_saveexec_b64 s[8:9], vcc
; %bb.2994:
	s_mov_b32 s10, 0x7f800001
	s_xor_b64 s[4:5], exec, -1
; %bb.2995:
	s_or_b64 exec, exec, s[8:9]
	s_and_b64 s[4:5], s[4:5], exec
                                        ; implicit-def: $vgpr6
	s_or_saveexec_b64 s[6:7], s[6:7]
	v_mov_b32_e32 v2, s10
	s_xor_b64 exec, exec, s[6:7]
	s_cbranch_execz .LBB43_946
.LBB43_2996:
	v_cmp_ne_u16_e32 vcc, 0, v6
	s_andn2_b64 s[4:5], s[4:5], exec
	s_and_b64 s[8:9], vcc, exec
	v_mov_b32_e32 v2, 0
	s_or_b64 s[4:5], s[4:5], s[8:9]
	s_or_b64 exec, exec, s[6:7]
	s_and_saveexec_b64 s[6:7], s[4:5]
	s_cbranch_execnz .LBB43_947
	s_branch .LBB43_948
.LBB43_2997:
	s_movk_i32 s4, 0x80
	v_cmp_eq_u16_e32 vcc, s4, v6
	s_mov_b64 s[4:5], -1
                                        ; implicit-def: $sgpr10
	s_and_saveexec_b64 s[8:9], vcc
; %bb.2998:
	s_mov_b32 s10, 0x7f800001
	s_xor_b64 s[4:5], exec, -1
; %bb.2999:
	s_or_b64 exec, exec, s[8:9]
	s_and_b64 s[4:5], s[4:5], exec
                                        ; implicit-def: $vgpr6
	s_or_saveexec_b64 s[6:7], s[6:7]
	v_mov_b32_e32 v10, s10
	s_xor_b64 exec, exec, s[6:7]
	s_cbranch_execz .LBB43_950
.LBB43_3000:
	v_cmp_ne_u16_e32 vcc, 0, v6
	s_andn2_b64 s[4:5], s[4:5], exec
	s_and_b64 s[8:9], vcc, exec
	v_mov_b32_e32 v10, 0
	s_or_b64 s[4:5], s[4:5], s[8:9]
	s_or_b64 exec, exec, s[6:7]
	s_and_saveexec_b64 s[6:7], s[4:5]
	s_cbranch_execnz .LBB43_951
	s_branch .LBB43_952
.LBB43_3001:
	s_movk_i32 s4, 0x80
	v_cmp_eq_u16_sdwa s[12:13], v7, s4 src0_sel:BYTE_3 src1_sel:DWORD
	s_mov_b64 s[4:5], -1
                                        ; implicit-def: $sgpr10
	s_and_saveexec_b64 s[8:9], s[12:13]
; %bb.3002:
	s_mov_b32 s10, 0x7f800001
	s_xor_b64 s[4:5], exec, -1
; %bb.3003:
	s_or_b64 exec, exec, s[8:9]
	s_and_b64 s[4:5], s[4:5], exec
	s_or_saveexec_b64 s[6:7], s[6:7]
	v_mov_b32_e32 v2, s10
	s_xor_b64 exec, exec, s[6:7]
	s_cbranch_execz .LBB43_954
.LBB43_3004:
	v_mov_b32_e32 v2, 0
	v_cmp_ne_u16_sdwa s[8:9], v7, v2 src0_sel:BYTE_3 src1_sel:DWORD
	s_andn2_b64 s[4:5], s[4:5], exec
	s_and_b64 s[8:9], s[8:9], exec
	s_or_b64 s[4:5], s[4:5], s[8:9]
	s_or_b64 exec, exec, s[6:7]
	s_and_saveexec_b64 s[6:7], s[4:5]
	s_cbranch_execnz .LBB43_955
	s_branch .LBB43_956
.LBB43_3005:
	s_movk_i32 s4, 0x80
	v_cmp_eq_u16_sdwa s[12:13], v3, s4 src0_sel:BYTE_3 src1_sel:DWORD
	s_mov_b64 s[4:5], -1
                                        ; implicit-def: $sgpr10
	s_and_saveexec_b64 s[8:9], s[12:13]
; %bb.3006:
	s_mov_b32 s10, 0x7f800001
	s_xor_b64 s[4:5], exec, -1
; %bb.3007:
	s_or_b64 exec, exec, s[8:9]
	s_and_b64 s[4:5], s[4:5], exec
	s_or_saveexec_b64 s[6:7], s[6:7]
	v_mov_b32_e32 v6, s10
	s_xor_b64 exec, exec, s[6:7]
	s_cbranch_execz .LBB43_958
.LBB43_3008:
	v_mov_b32_e32 v6, 0
	v_cmp_ne_u16_sdwa s[8:9], v3, v6 src0_sel:BYTE_3 src1_sel:DWORD
	s_andn2_b64 s[4:5], s[4:5], exec
	s_and_b64 s[8:9], s[8:9], exec
	s_or_b64 s[4:5], s[4:5], s[8:9]
	s_or_b64 exec, exec, s[6:7]
	s_and_saveexec_b64 s[6:7], s[4:5]
	s_cbranch_execnz .LBB43_959
	s_branch .LBB43_960
.LBB43_3009:
	s_movk_i32 s4, 0x80
	v_cmp_eq_u16_sdwa s[12:13], v8, s4 src0_sel:BYTE_0 src1_sel:DWORD
	s_mov_b64 s[4:5], -1
                                        ; implicit-def: $sgpr10
	s_and_saveexec_b64 s[8:9], s[12:13]
; %bb.3010:
	s_mov_b32 s10, 0x7f800001
	s_xor_b64 s[4:5], exec, -1
; %bb.3011:
	s_or_b64 exec, exec, s[8:9]
	s_and_b64 s[4:5], s[4:5], exec
	s_or_saveexec_b64 s[6:7], s[6:7]
	v_mov_b32_e32 v2, s10
	s_xor_b64 exec, exec, s[6:7]
	s_cbranch_execz .LBB43_962
.LBB43_3012:
	v_mov_b32_e32 v2, 0
	v_cmp_ne_u16_sdwa s[8:9], v8, v2 src0_sel:BYTE_0 src1_sel:DWORD
	s_andn2_b64 s[4:5], s[4:5], exec
	s_and_b64 s[8:9], s[8:9], exec
	s_or_b64 s[4:5], s[4:5], s[8:9]
	s_or_b64 exec, exec, s[6:7]
	s_and_saveexec_b64 s[6:7], s[4:5]
	s_cbranch_execnz .LBB43_963
	s_branch .LBB43_964
.LBB43_3013:
	s_movk_i32 s4, 0x80
	v_cmp_eq_u16_sdwa s[12:13], v4, s4 src0_sel:BYTE_0 src1_sel:DWORD
	s_mov_b64 s[4:5], -1
                                        ; implicit-def: $sgpr10
	s_and_saveexec_b64 s[8:9], s[12:13]
; %bb.3014:
	s_mov_b32 s10, 0x7f800001
	s_xor_b64 s[4:5], exec, -1
; %bb.3015:
	s_or_b64 exec, exec, s[8:9]
	s_and_b64 s[4:5], s[4:5], exec
	s_or_saveexec_b64 s[6:7], s[6:7]
	v_mov_b32_e32 v3, s10
	s_xor_b64 exec, exec, s[6:7]
	s_cbranch_execz .LBB43_966
.LBB43_3016:
	v_mov_b32_e32 v3, 0
	v_cmp_ne_u16_sdwa s[8:9], v4, v3 src0_sel:BYTE_0 src1_sel:DWORD
	s_andn2_b64 s[4:5], s[4:5], exec
	s_and_b64 s[8:9], s[8:9], exec
	s_or_b64 s[4:5], s[4:5], s[8:9]
	s_or_b64 exec, exec, s[6:7]
	s_and_saveexec_b64 s[6:7], s[4:5]
	s_cbranch_execnz .LBB43_967
	s_branch .LBB43_968
.LBB43_3017:
	s_movk_i32 s4, 0x80
	v_cmp_eq_u16_sdwa s[12:13], v3, s4 src0_sel:BYTE_0 src1_sel:DWORD
	s_mov_b64 s[4:5], -1
                                        ; implicit-def: $sgpr10
	s_and_saveexec_b64 s[8:9], s[12:13]
; %bb.3018:
	s_mov_b32 s10, 0x7f800001
	s_xor_b64 s[4:5], exec, -1
; %bb.3019:
	s_or_b64 exec, exec, s[8:9]
	s_and_b64 s[4:5], s[4:5], exec
	s_or_saveexec_b64 s[6:7], s[6:7]
	v_mov_b32_e32 v2, s10
	s_xor_b64 exec, exec, s[6:7]
	s_cbranch_execz .LBB43_970
.LBB43_3020:
	v_mov_b32_e32 v2, 0
	v_cmp_ne_u16_sdwa s[8:9], v3, v2 src0_sel:BYTE_0 src1_sel:DWORD
	s_andn2_b64 s[4:5], s[4:5], exec
	s_and_b64 s[8:9], s[8:9], exec
	s_or_b64 s[4:5], s[4:5], s[8:9]
	s_or_b64 exec, exec, s[6:7]
	s_and_saveexec_b64 s[6:7], s[4:5]
	s_cbranch_execnz .LBB43_971
	s_branch .LBB43_972
.LBB43_3021:
	s_movk_i32 s4, 0x80
	v_cmp_eq_u16_sdwa s[12:13], v3, s4 src0_sel:BYTE_0 src1_sel:DWORD
	s_mov_b64 s[4:5], -1
                                        ; implicit-def: $sgpr10
	s_and_saveexec_b64 s[8:9], s[12:13]
; %bb.3022:
	s_mov_b32 s10, 0x7f800001
	s_xor_b64 s[4:5], exec, -1
; %bb.3023:
	s_or_b64 exec, exec, s[8:9]
	s_and_b64 s[4:5], s[4:5], exec
	s_or_saveexec_b64 s[6:7], s[6:7]
	v_mov_b32_e32 v6, s10
	s_xor_b64 exec, exec, s[6:7]
	s_cbranch_execz .LBB43_974
.LBB43_3024:
	v_mov_b32_e32 v6, 0
	v_cmp_ne_u16_sdwa s[8:9], v3, v6 src0_sel:BYTE_0 src1_sel:DWORD
	s_andn2_b64 s[4:5], s[4:5], exec
	s_and_b64 s[8:9], s[8:9], exec
	s_or_b64 s[4:5], s[4:5], s[8:9]
	s_or_b64 exec, exec, s[6:7]
	s_and_saveexec_b64 s[6:7], s[4:5]
	s_cbranch_execnz .LBB43_975
	s_branch .LBB43_976
.LBB43_3025:
	s_movk_i32 s4, 0x80
	v_cmp_eq_u16_e32 vcc, s4, v3
	s_mov_b64 s[4:5], -1
                                        ; implicit-def: $sgpr10
	s_and_saveexec_b64 s[8:9], vcc
; %bb.3026:
	s_mov_b32 s10, 0x7f800001
	s_xor_b64 s[4:5], exec, -1
; %bb.3027:
	s_or_b64 exec, exec, s[8:9]
	s_and_b64 s[4:5], s[4:5], exec
                                        ; implicit-def: $vgpr3
	s_or_saveexec_b64 s[6:7], s[6:7]
	v_mov_b32_e32 v2, s10
	s_xor_b64 exec, exec, s[6:7]
	s_cbranch_execz .LBB43_978
.LBB43_3028:
	v_cmp_ne_u16_e32 vcc, 0, v3
	s_andn2_b64 s[4:5], s[4:5], exec
	s_and_b64 s[8:9], vcc, exec
	v_mov_b32_e32 v2, 0
	s_or_b64 s[4:5], s[4:5], s[8:9]
	s_or_b64 exec, exec, s[6:7]
	s_and_saveexec_b64 s[6:7], s[4:5]
	s_cbranch_execnz .LBB43_979
	s_branch .LBB43_980
.LBB43_3029:
	s_movk_i32 s4, 0x80
	v_cmp_eq_u16_e32 vcc, s4, v3
	s_mov_b64 s[4:5], -1
                                        ; implicit-def: $sgpr10
	s_and_saveexec_b64 s[8:9], vcc
; %bb.3030:
	s_mov_b32 s10, 0x7f800001
	s_xor_b64 s[4:5], exec, -1
; %bb.3031:
	s_or_b64 exec, exec, s[8:9]
	s_and_b64 s[4:5], s[4:5], exec
                                        ; implicit-def: $vgpr3
	s_or_saveexec_b64 s[6:7], s[6:7]
	v_mov_b32_e32 v6, s10
	s_xor_b64 exec, exec, s[6:7]
	s_cbranch_execz .LBB43_982
.LBB43_3032:
	v_cmp_ne_u16_e32 vcc, 0, v3
	s_andn2_b64 s[4:5], s[4:5], exec
	s_and_b64 s[8:9], vcc, exec
	v_mov_b32_e32 v6, 0
	s_or_b64 s[4:5], s[4:5], s[8:9]
	s_or_b64 exec, exec, s[6:7]
	s_and_saveexec_b64 s[6:7], s[4:5]
	s_cbranch_execnz .LBB43_983
	s_branch .LBB43_984
.LBB43_3033:
	s_movk_i32 s4, 0x80
	v_cmp_eq_u16_sdwa s[12:13], v8, s4 src0_sel:BYTE_3 src1_sel:DWORD
	s_mov_b64 s[4:5], -1
                                        ; implicit-def: $sgpr10
	s_and_saveexec_b64 s[8:9], s[12:13]
; %bb.3034:
	s_mov_b32 s10, 0x7f800001
	s_xor_b64 s[4:5], exec, -1
; %bb.3035:
	s_or_b64 exec, exec, s[8:9]
	s_and_b64 s[4:5], s[4:5], exec
	s_or_saveexec_b64 s[6:7], s[6:7]
	v_mov_b32_e32 v2, s10
	s_xor_b64 exec, exec, s[6:7]
	s_cbranch_execz .LBB43_986
.LBB43_3036:
	v_mov_b32_e32 v2, 0
	v_cmp_ne_u16_sdwa s[8:9], v8, v2 src0_sel:BYTE_3 src1_sel:DWORD
	s_andn2_b64 s[4:5], s[4:5], exec
	s_and_b64 s[8:9], s[8:9], exec
	s_or_b64 s[4:5], s[4:5], s[8:9]
	s_or_b64 exec, exec, s[6:7]
	s_and_saveexec_b64 s[6:7], s[4:5]
	s_cbranch_execnz .LBB43_987
	s_branch .LBB43_988
.LBB43_3037:
	s_movk_i32 s4, 0x80
	v_cmp_eq_u16_sdwa s[12:13], v4, s4 src0_sel:BYTE_3 src1_sel:DWORD
	s_mov_b64 s[4:5], -1
                                        ; implicit-def: $sgpr10
	s_and_saveexec_b64 s[8:9], s[12:13]
; %bb.3038:
	s_mov_b32 s10, 0x7f800001
	s_xor_b64 s[4:5], exec, -1
; %bb.3039:
	s_or_b64 exec, exec, s[8:9]
	s_and_b64 s[4:5], s[4:5], exec
	s_or_saveexec_b64 s[6:7], s[6:7]
	v_mov_b32_e32 v3, s10
	s_xor_b64 exec, exec, s[6:7]
	s_cbranch_execz .LBB43_990
.LBB43_3040:
	v_mov_b32_e32 v3, 0
	v_cmp_ne_u16_sdwa s[8:9], v4, v3 src0_sel:BYTE_3 src1_sel:DWORD
	s_andn2_b64 s[4:5], s[4:5], exec
	s_and_b64 s[8:9], s[8:9], exec
	s_or_b64 s[4:5], s[4:5], s[8:9]
	s_or_b64 exec, exec, s[6:7]
	s_and_saveexec_b64 s[6:7], s[4:5]
	s_cbranch_execnz .LBB43_991
	s_branch .LBB43_992
.LBB43_3041:
	s_movk_i32 s4, 0x80
	v_cmp_eq_u16_sdwa s[12:13], v9, s4 src0_sel:BYTE_0 src1_sel:DWORD
	s_mov_b64 s[4:5], -1
                                        ; implicit-def: $sgpr10
	s_and_saveexec_b64 s[8:9], s[12:13]
; %bb.3042:
	s_mov_b32 s10, 0x7f800001
	s_xor_b64 s[4:5], exec, -1
; %bb.3043:
	s_or_b64 exec, exec, s[8:9]
	s_and_b64 s[4:5], s[4:5], exec
	s_or_saveexec_b64 s[6:7], s[6:7]
	v_mov_b32_e32 v2, s10
	s_xor_b64 exec, exec, s[6:7]
	s_cbranch_execz .LBB43_994
.LBB43_3044:
	v_mov_b32_e32 v2, 0
	v_cmp_ne_u16_sdwa s[8:9], v9, v2 src0_sel:BYTE_0 src1_sel:DWORD
	s_andn2_b64 s[4:5], s[4:5], exec
	s_and_b64 s[8:9], s[8:9], exec
	s_or_b64 s[4:5], s[4:5], s[8:9]
	s_or_b64 exec, exec, s[6:7]
	s_and_saveexec_b64 s[6:7], s[4:5]
	s_cbranch_execnz .LBB43_995
	s_branch .LBB43_996
.LBB43_3045:
	s_movk_i32 s4, 0x80
	v_cmp_eq_u16_sdwa s[12:13], v5, s4 src0_sel:BYTE_0 src1_sel:DWORD
	s_mov_b64 s[4:5], -1
                                        ; implicit-def: $sgpr10
	s_and_saveexec_b64 s[8:9], s[12:13]
; %bb.3046:
	s_mov_b32 s10, 0x7f800001
	s_xor_b64 s[4:5], exec, -1
; %bb.3047:
	s_or_b64 exec, exec, s[8:9]
	s_and_b64 s[4:5], s[4:5], exec
	s_or_saveexec_b64 s[6:7], s[6:7]
	v_mov_b32_e32 v3, s10
	s_xor_b64 exec, exec, s[6:7]
	s_cbranch_execz .LBB43_998
.LBB43_3048:
	v_mov_b32_e32 v3, 0
	v_cmp_ne_u16_sdwa s[8:9], v5, v3 src0_sel:BYTE_0 src1_sel:DWORD
	s_andn2_b64 s[4:5], s[4:5], exec
	s_and_b64 s[8:9], s[8:9], exec
	s_or_b64 s[4:5], s[4:5], s[8:9]
	s_or_b64 exec, exec, s[6:7]
	s_and_saveexec_b64 s[6:7], s[4:5]
	s_cbranch_execnz .LBB43_999
	s_branch .LBB43_1000
.LBB43_3049:
	s_movk_i32 s4, 0x80
	v_cmp_eq_u16_sdwa s[12:13], v3, s4 src0_sel:BYTE_0 src1_sel:DWORD
	s_mov_b64 s[4:5], -1
                                        ; implicit-def: $sgpr10
	s_and_saveexec_b64 s[8:9], s[12:13]
; %bb.3050:
	s_mov_b32 s10, 0x7f800001
	s_xor_b64 s[4:5], exec, -1
; %bb.3051:
	s_or_b64 exec, exec, s[8:9]
	s_and_b64 s[4:5], s[4:5], exec
	s_or_saveexec_b64 s[6:7], s[6:7]
	v_mov_b32_e32 v2, s10
	s_xor_b64 exec, exec, s[6:7]
	s_cbranch_execz .LBB43_1002
.LBB43_3052:
	v_mov_b32_e32 v2, 0
	v_cmp_ne_u16_sdwa s[8:9], v3, v2 src0_sel:BYTE_0 src1_sel:DWORD
	s_andn2_b64 s[4:5], s[4:5], exec
	s_and_b64 s[8:9], s[8:9], exec
	s_or_b64 s[4:5], s[4:5], s[8:9]
	s_or_b64 exec, exec, s[6:7]
	s_and_saveexec_b64 s[6:7], s[4:5]
	s_cbranch_execnz .LBB43_1003
	s_branch .LBB43_1004
.LBB43_3053:
	s_movk_i32 s4, 0x80
	v_cmp_eq_u16_sdwa s[12:13], v3, s4 src0_sel:BYTE_0 src1_sel:DWORD
	s_mov_b64 s[4:5], -1
                                        ; implicit-def: $sgpr10
	s_and_saveexec_b64 s[8:9], s[12:13]
; %bb.3054:
	s_mov_b32 s10, 0x7f800001
	s_xor_b64 s[4:5], exec, -1
; %bb.3055:
	s_or_b64 exec, exec, s[8:9]
	s_and_b64 s[4:5], s[4:5], exec
	s_or_saveexec_b64 s[6:7], s[6:7]
	v_mov_b32_e32 v4, s10
	s_xor_b64 exec, exec, s[6:7]
	s_cbranch_execz .LBB43_1006
.LBB43_3056:
	v_mov_b32_e32 v4, 0
	v_cmp_ne_u16_sdwa s[8:9], v3, v4 src0_sel:BYTE_0 src1_sel:DWORD
	s_andn2_b64 s[4:5], s[4:5], exec
	s_and_b64 s[8:9], s[8:9], exec
	s_or_b64 s[4:5], s[4:5], s[8:9]
	s_or_b64 exec, exec, s[6:7]
	s_and_saveexec_b64 s[6:7], s[4:5]
	s_cbranch_execnz .LBB43_1007
	s_branch .LBB43_1008
.LBB43_3057:
	s_movk_i32 s4, 0x80
	v_cmp_eq_u16_e32 vcc, s4, v3
	s_mov_b64 s[4:5], -1
                                        ; implicit-def: $sgpr10
	s_and_saveexec_b64 s[8:9], vcc
; %bb.3058:
	s_mov_b32 s10, 0x7f800001
	s_xor_b64 s[4:5], exec, -1
; %bb.3059:
	s_or_b64 exec, exec, s[8:9]
	s_and_b64 s[4:5], s[4:5], exec
                                        ; implicit-def: $vgpr3
	s_or_saveexec_b64 s[6:7], s[6:7]
	v_mov_b32_e32 v2, s10
	s_xor_b64 exec, exec, s[6:7]
	s_cbranch_execz .LBB43_1010
.LBB43_3060:
	v_cmp_ne_u16_e32 vcc, 0, v3
	s_andn2_b64 s[4:5], s[4:5], exec
	s_and_b64 s[8:9], vcc, exec
	v_mov_b32_e32 v2, 0
	s_or_b64 s[4:5], s[4:5], s[8:9]
	s_or_b64 exec, exec, s[6:7]
	s_and_saveexec_b64 s[6:7], s[4:5]
	s_cbranch_execnz .LBB43_1011
	s_branch .LBB43_1012
.LBB43_3061:
	s_movk_i32 s4, 0x80
	v_cmp_eq_u16_e32 vcc, s4, v3
	s_mov_b64 s[4:5], -1
                                        ; implicit-def: $sgpr10
	s_and_saveexec_b64 s[8:9], vcc
; %bb.3062:
	s_mov_b32 s10, 0x7f800001
	s_xor_b64 s[4:5], exec, -1
; %bb.3063:
	s_or_b64 exec, exec, s[8:9]
	s_and_b64 s[4:5], s[4:5], exec
                                        ; implicit-def: $vgpr3
	s_or_saveexec_b64 s[6:7], s[6:7]
	v_mov_b32_e32 v4, s10
	s_xor_b64 exec, exec, s[6:7]
	s_cbranch_execz .LBB43_1014
.LBB43_3064:
	v_cmp_ne_u16_e32 vcc, 0, v3
	s_andn2_b64 s[4:5], s[4:5], exec
	s_and_b64 s[8:9], vcc, exec
	v_mov_b32_e32 v4, 0
	s_or_b64 s[4:5], s[4:5], s[8:9]
	s_or_b64 exec, exec, s[6:7]
	s_and_saveexec_b64 s[6:7], s[4:5]
	s_cbranch_execnz .LBB43_1015
	s_branch .LBB43_1016
.LBB43_3065:
	s_movk_i32 s4, 0x80
	v_cmp_eq_u16_sdwa s[12:13], v9, s4 src0_sel:BYTE_3 src1_sel:DWORD
	s_mov_b64 s[4:5], -1
                                        ; implicit-def: $sgpr10
	s_and_saveexec_b64 s[8:9], s[12:13]
; %bb.3066:
	s_mov_b32 s10, 0x7f800001
	s_xor_b64 s[4:5], exec, -1
; %bb.3067:
	s_or_b64 exec, exec, s[8:9]
	s_and_b64 s[4:5], s[4:5], exec
	s_or_saveexec_b64 s[6:7], s[6:7]
	v_mov_b32_e32 v2, s10
	s_xor_b64 exec, exec, s[6:7]
	s_cbranch_execz .LBB43_1018
.LBB43_3068:
	v_mov_b32_e32 v2, 0
	v_cmp_ne_u16_sdwa s[8:9], v9, v2 src0_sel:BYTE_3 src1_sel:DWORD
	s_andn2_b64 s[4:5], s[4:5], exec
	s_and_b64 s[8:9], s[8:9], exec
	s_or_b64 s[4:5], s[4:5], s[8:9]
	s_or_b64 exec, exec, s[6:7]
	s_and_saveexec_b64 s[6:7], s[4:5]
	s_cbranch_execnz .LBB43_1019
	s_branch .LBB43_1020
.LBB43_3069:
	s_movk_i32 s4, 0x80
	v_cmp_eq_u16_sdwa s[12:13], v5, s4 src0_sel:BYTE_3 src1_sel:DWORD
	s_mov_b64 s[4:5], -1
                                        ; implicit-def: $sgpr10
	s_and_saveexec_b64 s[8:9], s[12:13]
; %bb.3070:
	s_mov_b32 s10, 0x7f800001
	s_xor_b64 s[4:5], exec, -1
; %bb.3071:
	s_or_b64 exec, exec, s[8:9]
	s_and_b64 s[4:5], s[4:5], exec
	s_or_saveexec_b64 s[6:7], s[6:7]
	v_mov_b32_e32 v3, s10
	s_xor_b64 exec, exec, s[6:7]
	s_cbranch_execz .LBB43_1022
.LBB43_3072:
	v_mov_b32_e32 v3, 0
	v_cmp_ne_u16_sdwa s[8:9], v5, v3 src0_sel:BYTE_3 src1_sel:DWORD
	s_andn2_b64 s[4:5], s[4:5], exec
	s_and_b64 s[8:9], s[8:9], exec
	s_or_b64 s[4:5], s[4:5], s[8:9]
	s_or_b64 exec, exec, s[6:7]
	s_and_saveexec_b64 s[6:7], s[4:5]
	s_cbranch_execnz .LBB43_1023
	s_branch .LBB43_1024
.LBB43_3073:
	s_movk_i32 s4, 0x80
	v_cmp_eq_u16_sdwa s[12:13], v14, s4 src0_sel:BYTE_0 src1_sel:DWORD
	s_mov_b64 s[4:5], -1
                                        ; implicit-def: $sgpr10
	s_and_saveexec_b64 s[8:9], s[12:13]
; %bb.3074:
	s_mov_b32 s10, 0x7f800001
	s_xor_b64 s[4:5], exec, -1
; %bb.3075:
	s_or_b64 exec, exec, s[8:9]
	s_and_b64 s[4:5], s[4:5], exec
	s_or_saveexec_b64 s[6:7], s[6:7]
	v_mov_b32_e32 v20, s10
	s_xor_b64 exec, exec, s[6:7]
	s_cbranch_execz .LBB43_1026
.LBB43_3076:
	v_mov_b32_e32 v20, 0
	v_cmp_ne_u16_sdwa s[8:9], v14, v20 src0_sel:BYTE_0 src1_sel:DWORD
	s_andn2_b64 s[4:5], s[4:5], exec
	s_and_b64 s[8:9], s[8:9], exec
	s_or_b64 s[4:5], s[4:5], s[8:9]
	s_or_b64 exec, exec, s[6:7]
	s_and_saveexec_b64 s[6:7], s[4:5]
	s_cbranch_execnz .LBB43_1027
	s_branch .LBB43_1028
.LBB43_3077:
	s_movk_i32 s4, 0x80
	v_cmp_eq_u16_sdwa s[12:13], v10, s4 src0_sel:BYTE_0 src1_sel:DWORD
	s_mov_b64 s[4:5], -1
                                        ; implicit-def: $sgpr10
	s_and_saveexec_b64 s[8:9], s[12:13]
; %bb.3078:
	s_mov_b32 s10, 0x7f800001
	s_xor_b64 s[4:5], exec, -1
; %bb.3079:
	s_or_b64 exec, exec, s[8:9]
	s_and_b64 s[4:5], s[4:5], exec
	s_or_saveexec_b64 s[6:7], s[6:7]
	v_mov_b32_e32 v21, s10
	s_xor_b64 exec, exec, s[6:7]
	s_cbranch_execz .LBB43_1030
.LBB43_3080:
	v_mov_b32_e32 v21, 0
	v_cmp_ne_u16_sdwa s[8:9], v10, v21 src0_sel:BYTE_0 src1_sel:DWORD
	s_andn2_b64 s[4:5], s[4:5], exec
	s_and_b64 s[8:9], s[8:9], exec
	s_or_b64 s[4:5], s[4:5], s[8:9]
	s_or_b64 exec, exec, s[6:7]
	s_and_saveexec_b64 s[6:7], s[4:5]
	s_cbranch_execnz .LBB43_1031
	s_branch .LBB43_1032
.LBB43_3081:
	s_movk_i32 s4, 0x80
	v_cmp_eq_u16_sdwa s[12:13], v21, s4 src0_sel:BYTE_0 src1_sel:DWORD
	s_mov_b64 s[4:5], -1
                                        ; implicit-def: $sgpr10
	s_and_saveexec_b64 s[8:9], s[12:13]
; %bb.3082:
	s_mov_b32 s10, 0x7f800001
	s_xor_b64 s[4:5], exec, -1
; %bb.3083:
	s_or_b64 exec, exec, s[8:9]
	s_and_b64 s[4:5], s[4:5], exec
	s_or_saveexec_b64 s[6:7], s[6:7]
	v_mov_b32_e32 v20, s10
	s_xor_b64 exec, exec, s[6:7]
	s_cbranch_execz .LBB43_1034
.LBB43_3084:
	v_mov_b32_e32 v20, 0
	v_cmp_ne_u16_sdwa s[8:9], v21, v20 src0_sel:BYTE_0 src1_sel:DWORD
	s_andn2_b64 s[4:5], s[4:5], exec
	s_and_b64 s[8:9], s[8:9], exec
	s_or_b64 s[4:5], s[4:5], s[8:9]
	s_or_b64 exec, exec, s[6:7]
	s_and_saveexec_b64 s[6:7], s[4:5]
	s_cbranch_execnz .LBB43_1035
	s_branch .LBB43_1036
.LBB43_3085:
	s_movk_i32 s4, 0x80
	v_cmp_eq_u16_sdwa s[12:13], v21, s4 src0_sel:BYTE_0 src1_sel:DWORD
	s_mov_b64 s[4:5], -1
                                        ; implicit-def: $sgpr10
	s_and_saveexec_b64 s[8:9], s[12:13]
; %bb.3086:
	s_mov_b32 s10, 0x7f800001
	s_xor_b64 s[4:5], exec, -1
; %bb.3087:
	s_or_b64 exec, exec, s[8:9]
	s_and_b64 s[4:5], s[4:5], exec
	s_or_saveexec_b64 s[6:7], s[6:7]
	v_mov_b32_e32 v22, s10
	s_xor_b64 exec, exec, s[6:7]
	s_cbranch_execz .LBB43_1038
.LBB43_3088:
	v_mov_b32_e32 v22, 0
	v_cmp_ne_u16_sdwa s[8:9], v21, v22 src0_sel:BYTE_0 src1_sel:DWORD
	s_andn2_b64 s[4:5], s[4:5], exec
	s_and_b64 s[8:9], s[8:9], exec
	s_or_b64 s[4:5], s[4:5], s[8:9]
	s_or_b64 exec, exec, s[6:7]
	s_and_saveexec_b64 s[6:7], s[4:5]
	s_cbranch_execnz .LBB43_1039
	s_branch .LBB43_1040
.LBB43_3089:
	s_movk_i32 s4, 0x80
	v_cmp_eq_u16_e32 vcc, s4, v21
	s_mov_b64 s[4:5], -1
                                        ; implicit-def: $sgpr10
	s_and_saveexec_b64 s[8:9], vcc
; %bb.3090:
	s_mov_b32 s10, 0x7f800001
	s_xor_b64 s[4:5], exec, -1
; %bb.3091:
	s_or_b64 exec, exec, s[8:9]
	s_and_b64 s[4:5], s[4:5], exec
                                        ; implicit-def: $vgpr21
	s_or_saveexec_b64 s[6:7], s[6:7]
	v_mov_b32_e32 v20, s10
	s_xor_b64 exec, exec, s[6:7]
	s_cbranch_execz .LBB43_1042
.LBB43_3092:
	v_cmp_ne_u16_e32 vcc, 0, v21
	s_andn2_b64 s[4:5], s[4:5], exec
	s_and_b64 s[8:9], vcc, exec
	v_mov_b32_e32 v20, 0
	s_or_b64 s[4:5], s[4:5], s[8:9]
	s_or_b64 exec, exec, s[6:7]
	s_and_saveexec_b64 s[6:7], s[4:5]
	s_cbranch_execnz .LBB43_1043
	s_branch .LBB43_1044
.LBB43_3093:
	s_movk_i32 s4, 0x80
	v_cmp_eq_u16_e32 vcc, s4, v21
	s_mov_b64 s[4:5], -1
                                        ; implicit-def: $sgpr10
	s_and_saveexec_b64 s[8:9], vcc
; %bb.3094:
	s_mov_b32 s10, 0x7f800001
	s_xor_b64 s[4:5], exec, -1
; %bb.3095:
	s_or_b64 exec, exec, s[8:9]
	s_and_b64 s[4:5], s[4:5], exec
                                        ; implicit-def: $vgpr21
	s_or_saveexec_b64 s[6:7], s[6:7]
	v_mov_b32_e32 v22, s10
	s_xor_b64 exec, exec, s[6:7]
	s_cbranch_execz .LBB43_1046
.LBB43_3096:
	v_cmp_ne_u16_e32 vcc, 0, v21
	s_andn2_b64 s[4:5], s[4:5], exec
	s_and_b64 s[8:9], vcc, exec
	v_mov_b32_e32 v22, 0
	s_or_b64 s[4:5], s[4:5], s[8:9]
	s_or_b64 exec, exec, s[6:7]
	s_and_saveexec_b64 s[6:7], s[4:5]
	s_cbranch_execnz .LBB43_1047
	s_branch .LBB43_1048
.LBB43_3097:
	s_movk_i32 s4, 0x80
	v_cmp_eq_u16_sdwa s[12:13], v14, s4 src0_sel:BYTE_3 src1_sel:DWORD
	s_mov_b64 s[4:5], -1
                                        ; implicit-def: $sgpr10
	s_and_saveexec_b64 s[8:9], s[12:13]
; %bb.3098:
	s_mov_b32 s10, 0x7f800001
	s_xor_b64 s[4:5], exec, -1
; %bb.3099:
	s_or_b64 exec, exec, s[8:9]
	s_and_b64 s[4:5], s[4:5], exec
	s_or_saveexec_b64 s[6:7], s[6:7]
	v_mov_b32_e32 v20, s10
	s_xor_b64 exec, exec, s[6:7]
	s_cbranch_execz .LBB43_1050
.LBB43_3100:
	v_mov_b32_e32 v20, 0
	v_cmp_ne_u16_sdwa s[8:9], v14, v20 src0_sel:BYTE_3 src1_sel:DWORD
	s_andn2_b64 s[4:5], s[4:5], exec
	s_and_b64 s[8:9], s[8:9], exec
	s_or_b64 s[4:5], s[4:5], s[8:9]
	s_or_b64 exec, exec, s[6:7]
	s_and_saveexec_b64 s[6:7], s[4:5]
	s_cbranch_execnz .LBB43_1051
	s_branch .LBB43_1052
.LBB43_3101:
	s_movk_i32 s4, 0x80
	v_cmp_eq_u16_sdwa s[12:13], v10, s4 src0_sel:BYTE_3 src1_sel:DWORD
	s_mov_b64 s[4:5], -1
                                        ; implicit-def: $sgpr10
	s_and_saveexec_b64 s[8:9], s[12:13]
; %bb.3102:
	s_mov_b32 s10, 0x7f800001
	s_xor_b64 s[4:5], exec, -1
; %bb.3103:
	s_or_b64 exec, exec, s[8:9]
	s_and_b64 s[4:5], s[4:5], exec
	s_or_saveexec_b64 s[6:7], s[6:7]
	v_mov_b32_e32 v14, s10
	s_xor_b64 exec, exec, s[6:7]
	s_cbranch_execz .LBB43_1054
.LBB43_3104:
	v_mov_b32_e32 v14, 0
	v_cmp_ne_u16_sdwa s[8:9], v10, v14 src0_sel:BYTE_3 src1_sel:DWORD
	s_andn2_b64 s[4:5], s[4:5], exec
	s_and_b64 s[8:9], s[8:9], exec
	s_or_b64 s[4:5], s[4:5], s[8:9]
	s_or_b64 exec, exec, s[6:7]
	s_and_saveexec_b64 s[6:7], s[4:5]
	s_cbranch_execnz .LBB43_1055
	s_branch .LBB43_1056
.LBB43_3105:
	s_movk_i32 s4, 0x80
	v_cmp_eq_u16_sdwa s[12:13], v15, s4 src0_sel:BYTE_0 src1_sel:DWORD
	s_mov_b64 s[4:5], -1
                                        ; implicit-def: $sgpr10
	s_and_saveexec_b64 s[8:9], s[12:13]
; %bb.3106:
	s_mov_b32 s10, 0x7f800001
	s_xor_b64 s[4:5], exec, -1
; %bb.3107:
	s_or_b64 exec, exec, s[8:9]
	s_and_b64 s[4:5], s[4:5], exec
	s_or_saveexec_b64 s[6:7], s[6:7]
	v_mov_b32_e32 v10, s10
	s_xor_b64 exec, exec, s[6:7]
	s_cbranch_execz .LBB43_1058
.LBB43_3108:
	v_mov_b32_e32 v10, 0
	v_cmp_ne_u16_sdwa s[8:9], v15, v10 src0_sel:BYTE_0 src1_sel:DWORD
	s_andn2_b64 s[4:5], s[4:5], exec
	s_and_b64 s[8:9], s[8:9], exec
	s_or_b64 s[4:5], s[4:5], s[8:9]
	s_or_b64 exec, exec, s[6:7]
	s_and_saveexec_b64 s[6:7], s[4:5]
	s_cbranch_execnz .LBB43_1059
	s_branch .LBB43_1060
.LBB43_3109:
	s_movk_i32 s4, 0x80
	v_cmp_eq_u16_sdwa s[12:13], v11, s4 src0_sel:BYTE_0 src1_sel:DWORD
	s_mov_b64 s[4:5], -1
                                        ; implicit-def: $sgpr10
	s_and_saveexec_b64 s[8:9], s[12:13]
; %bb.3110:
	s_mov_b32 s10, 0x7f800001
	s_xor_b64 s[4:5], exec, -1
; %bb.3111:
	s_or_b64 exec, exec, s[8:9]
	s_and_b64 s[4:5], s[4:5], exec
	s_or_saveexec_b64 s[6:7], s[6:7]
	v_mov_b32_e32 v14, s10
	s_xor_b64 exec, exec, s[6:7]
	s_cbranch_execz .LBB43_1062
.LBB43_3112:
	v_mov_b32_e32 v14, 0
	v_cmp_ne_u16_sdwa s[8:9], v11, v14 src0_sel:BYTE_0 src1_sel:DWORD
	s_andn2_b64 s[4:5], s[4:5], exec
	s_and_b64 s[8:9], s[8:9], exec
	s_or_b64 s[4:5], s[4:5], s[8:9]
	s_or_b64 exec, exec, s[6:7]
	s_and_saveexec_b64 s[6:7], s[4:5]
	s_cbranch_execnz .LBB43_1063
	s_branch .LBB43_1064
.LBB43_3113:
	s_movk_i32 s4, 0x80
	v_cmp_eq_u16_sdwa s[12:13], v14, s4 src0_sel:BYTE_0 src1_sel:DWORD
	s_mov_b64 s[4:5], -1
                                        ; implicit-def: $sgpr10
	s_and_saveexec_b64 s[8:9], s[12:13]
; %bb.3114:
	s_mov_b32 s10, 0x7f800001
	s_xor_b64 s[4:5], exec, -1
; %bb.3115:
	s_or_b64 exec, exec, s[8:9]
	s_and_b64 s[4:5], s[4:5], exec
	s_or_saveexec_b64 s[6:7], s[6:7]
	v_mov_b32_e32 v10, s10
	s_xor_b64 exec, exec, s[6:7]
	s_cbranch_execz .LBB43_1066
.LBB43_3116:
	v_mov_b32_e32 v10, 0
	v_cmp_ne_u16_sdwa s[8:9], v14, v10 src0_sel:BYTE_0 src1_sel:DWORD
	s_andn2_b64 s[4:5], s[4:5], exec
	s_and_b64 s[8:9], s[8:9], exec
	s_or_b64 s[4:5], s[4:5], s[8:9]
	s_or_b64 exec, exec, s[6:7]
	s_and_saveexec_b64 s[6:7], s[4:5]
	s_cbranch_execnz .LBB43_1067
	s_branch .LBB43_1068
.LBB43_3117:
	s_movk_i32 s4, 0x80
	v_cmp_eq_u16_sdwa s[12:13], v14, s4 src0_sel:BYTE_0 src1_sel:DWORD
	s_mov_b64 s[4:5], -1
                                        ; implicit-def: $sgpr10
	s_and_saveexec_b64 s[8:9], s[12:13]
; %bb.3118:
	s_mov_b32 s10, 0x7f800001
	s_xor_b64 s[4:5], exec, -1
; %bb.3119:
	s_or_b64 exec, exec, s[8:9]
	s_and_b64 s[4:5], s[4:5], exec
	s_or_saveexec_b64 s[6:7], s[6:7]
	v_mov_b32_e32 v20, s10
	s_xor_b64 exec, exec, s[6:7]
	s_cbranch_execz .LBB43_1070
.LBB43_3120:
	v_mov_b32_e32 v20, 0
	v_cmp_ne_u16_sdwa s[8:9], v14, v20 src0_sel:BYTE_0 src1_sel:DWORD
	s_andn2_b64 s[4:5], s[4:5], exec
	s_and_b64 s[8:9], s[8:9], exec
	s_or_b64 s[4:5], s[4:5], s[8:9]
	s_or_b64 exec, exec, s[6:7]
	s_and_saveexec_b64 s[6:7], s[4:5]
	s_cbranch_execnz .LBB43_1071
	s_branch .LBB43_1072
.LBB43_3121:
	s_movk_i32 s4, 0x80
	v_cmp_eq_u16_e32 vcc, s4, v14
	s_mov_b64 s[4:5], -1
                                        ; implicit-def: $sgpr10
	s_and_saveexec_b64 s[8:9], vcc
; %bb.3122:
	s_mov_b32 s10, 0x7f800001
	s_xor_b64 s[4:5], exec, -1
; %bb.3123:
	s_or_b64 exec, exec, s[8:9]
	s_and_b64 s[4:5], s[4:5], exec
                                        ; implicit-def: $vgpr14
	s_or_saveexec_b64 s[6:7], s[6:7]
	v_mov_b32_e32 v10, s10
	s_xor_b64 exec, exec, s[6:7]
	s_cbranch_execz .LBB43_1074
.LBB43_3124:
	v_cmp_ne_u16_e32 vcc, 0, v14
	s_andn2_b64 s[4:5], s[4:5], exec
	s_and_b64 s[8:9], vcc, exec
	v_mov_b32_e32 v10, 0
	s_or_b64 s[4:5], s[4:5], s[8:9]
	s_or_b64 exec, exec, s[6:7]
	s_and_saveexec_b64 s[6:7], s[4:5]
	s_cbranch_execnz .LBB43_1075
	s_branch .LBB43_1076
.LBB43_3125:
	s_movk_i32 s4, 0x80
	v_cmp_eq_u16_e32 vcc, s4, v14
	s_mov_b64 s[4:5], -1
                                        ; implicit-def: $sgpr10
	s_and_saveexec_b64 s[8:9], vcc
; %bb.3126:
	s_mov_b32 s10, 0x7f800001
	s_xor_b64 s[4:5], exec, -1
; %bb.3127:
	s_or_b64 exec, exec, s[8:9]
	s_and_b64 s[4:5], s[4:5], exec
                                        ; implicit-def: $vgpr14
	s_or_saveexec_b64 s[6:7], s[6:7]
	v_mov_b32_e32 v20, s10
	s_xor_b64 exec, exec, s[6:7]
	s_cbranch_execz .LBB43_1078
.LBB43_3128:
	v_cmp_ne_u16_e32 vcc, 0, v14
	s_andn2_b64 s[4:5], s[4:5], exec
	s_and_b64 s[8:9], vcc, exec
	v_mov_b32_e32 v20, 0
	s_or_b64 s[4:5], s[4:5], s[8:9]
	s_or_b64 exec, exec, s[6:7]
	s_and_saveexec_b64 s[6:7], s[4:5]
	s_cbranch_execnz .LBB43_1079
	s_branch .LBB43_1080
.LBB43_3129:
	s_movk_i32 s4, 0x80
	v_cmp_eq_u16_sdwa s[12:13], v15, s4 src0_sel:BYTE_3 src1_sel:DWORD
	s_mov_b64 s[4:5], -1
                                        ; implicit-def: $sgpr10
	s_and_saveexec_b64 s[8:9], s[12:13]
; %bb.3130:
	s_mov_b32 s10, 0x7f800001
	s_xor_b64 s[4:5], exec, -1
; %bb.3131:
	s_or_b64 exec, exec, s[8:9]
	s_and_b64 s[4:5], s[4:5], exec
	s_or_saveexec_b64 s[6:7], s[6:7]
	v_mov_b32_e32 v10, s10
	s_xor_b64 exec, exec, s[6:7]
	s_cbranch_execz .LBB43_1082
.LBB43_3132:
	v_mov_b32_e32 v10, 0
	v_cmp_ne_u16_sdwa s[8:9], v15, v10 src0_sel:BYTE_3 src1_sel:DWORD
	s_andn2_b64 s[4:5], s[4:5], exec
	s_and_b64 s[8:9], s[8:9], exec
	s_or_b64 s[4:5], s[4:5], s[8:9]
	s_or_b64 exec, exec, s[6:7]
	s_and_saveexec_b64 s[6:7], s[4:5]
	s_cbranch_execnz .LBB43_1083
	s_branch .LBB43_1084
.LBB43_3133:
	s_movk_i32 s4, 0x80
	v_cmp_eq_u16_sdwa s[12:13], v11, s4 src0_sel:BYTE_3 src1_sel:DWORD
	s_mov_b64 s[4:5], -1
                                        ; implicit-def: $sgpr10
	s_and_saveexec_b64 s[8:9], s[12:13]
; %bb.3134:
	s_mov_b32 s10, 0x7f800001
	s_xor_b64 s[4:5], exec, -1
; %bb.3135:
	s_or_b64 exec, exec, s[8:9]
	s_and_b64 s[4:5], s[4:5], exec
	s_or_saveexec_b64 s[6:7], s[6:7]
	v_mov_b32_e32 v14, s10
	s_xor_b64 exec, exec, s[6:7]
	s_cbranch_execz .LBB43_1086
.LBB43_3136:
	v_mov_b32_e32 v14, 0
	v_cmp_ne_u16_sdwa s[8:9], v11, v14 src0_sel:BYTE_3 src1_sel:DWORD
	s_andn2_b64 s[4:5], s[4:5], exec
	s_and_b64 s[8:9], s[8:9], exec
	s_or_b64 s[4:5], s[4:5], s[8:9]
	s_or_b64 exec, exec, s[6:7]
	s_and_saveexec_b64 s[6:7], s[4:5]
	s_cbranch_execnz .LBB43_1087
	s_branch .LBB43_1088
.LBB43_3137:
	s_movk_i32 s4, 0x80
	v_cmp_eq_u16_sdwa s[12:13], v16, s4 src0_sel:BYTE_0 src1_sel:DWORD
	s_mov_b64 s[4:5], -1
                                        ; implicit-def: $sgpr10
	s_and_saveexec_b64 s[8:9], s[12:13]
; %bb.3138:
	s_mov_b32 s10, 0x7f800001
	s_xor_b64 s[4:5], exec, -1
; %bb.3139:
	s_or_b64 exec, exec, s[8:9]
	s_and_b64 s[4:5], s[4:5], exec
	s_or_saveexec_b64 s[6:7], s[6:7]
	v_mov_b32_e32 v10, s10
	s_xor_b64 exec, exec, s[6:7]
	s_cbranch_execz .LBB43_1090
.LBB43_3140:
	v_mov_b32_e32 v10, 0
	v_cmp_ne_u16_sdwa s[8:9], v16, v10 src0_sel:BYTE_0 src1_sel:DWORD
	s_andn2_b64 s[4:5], s[4:5], exec
	s_and_b64 s[8:9], s[8:9], exec
	s_or_b64 s[4:5], s[4:5], s[8:9]
	s_or_b64 exec, exec, s[6:7]
	s_and_saveexec_b64 s[6:7], s[4:5]
	s_cbranch_execnz .LBB43_1091
	s_branch .LBB43_1092
.LBB43_3141:
	s_movk_i32 s4, 0x80
	v_cmp_eq_u16_sdwa s[12:13], v12, s4 src0_sel:BYTE_0 src1_sel:DWORD
	s_mov_b64 s[4:5], -1
                                        ; implicit-def: $sgpr10
	s_and_saveexec_b64 s[8:9], s[12:13]
; %bb.3142:
	s_mov_b32 s10, 0x7f800001
	s_xor_b64 s[4:5], exec, -1
; %bb.3143:
	s_or_b64 exec, exec, s[8:9]
	s_and_b64 s[4:5], s[4:5], exec
	s_or_saveexec_b64 s[6:7], s[6:7]
	v_mov_b32_e32 v11, s10
	s_xor_b64 exec, exec, s[6:7]
	s_cbranch_execz .LBB43_1094
.LBB43_3144:
	v_mov_b32_e32 v11, 0
	v_cmp_ne_u16_sdwa s[8:9], v12, v11 src0_sel:BYTE_0 src1_sel:DWORD
	s_andn2_b64 s[4:5], s[4:5], exec
	s_and_b64 s[8:9], s[8:9], exec
	s_or_b64 s[4:5], s[4:5], s[8:9]
	s_or_b64 exec, exec, s[6:7]
	s_and_saveexec_b64 s[6:7], s[4:5]
	s_cbranch_execnz .LBB43_1095
	s_branch .LBB43_1096
.LBB43_3145:
	s_movk_i32 s4, 0x80
	v_cmp_eq_u16_sdwa s[12:13], v11, s4 src0_sel:BYTE_0 src1_sel:DWORD
	s_mov_b64 s[4:5], -1
                                        ; implicit-def: $sgpr10
	s_and_saveexec_b64 s[8:9], s[12:13]
; %bb.3146:
	s_mov_b32 s10, 0x7f800001
	s_xor_b64 s[4:5], exec, -1
; %bb.3147:
	s_or_b64 exec, exec, s[8:9]
	s_and_b64 s[4:5], s[4:5], exec
	s_or_saveexec_b64 s[6:7], s[6:7]
	v_mov_b32_e32 v10, s10
	s_xor_b64 exec, exec, s[6:7]
	s_cbranch_execz .LBB43_1098
.LBB43_3148:
	v_mov_b32_e32 v10, 0
	v_cmp_ne_u16_sdwa s[8:9], v11, v10 src0_sel:BYTE_0 src1_sel:DWORD
	s_andn2_b64 s[4:5], s[4:5], exec
	s_and_b64 s[8:9], s[8:9], exec
	s_or_b64 s[4:5], s[4:5], s[8:9]
	s_or_b64 exec, exec, s[6:7]
	s_and_saveexec_b64 s[6:7], s[4:5]
	s_cbranch_execnz .LBB43_1099
	s_branch .LBB43_1100
.LBB43_3149:
	s_movk_i32 s4, 0x80
	v_cmp_eq_u16_sdwa s[12:13], v11, s4 src0_sel:BYTE_0 src1_sel:DWORD
	s_mov_b64 s[4:5], -1
                                        ; implicit-def: $sgpr10
	s_and_saveexec_b64 s[8:9], s[12:13]
; %bb.3150:
	s_mov_b32 s10, 0x7f800001
	s_xor_b64 s[4:5], exec, -1
; %bb.3151:
	s_or_b64 exec, exec, s[8:9]
	s_and_b64 s[4:5], s[4:5], exec
	s_or_saveexec_b64 s[6:7], s[6:7]
	v_mov_b32_e32 v14, s10
	s_xor_b64 exec, exec, s[6:7]
	s_cbranch_execz .LBB43_1102
.LBB43_3152:
	v_mov_b32_e32 v14, 0
	v_cmp_ne_u16_sdwa s[8:9], v11, v14 src0_sel:BYTE_0 src1_sel:DWORD
	s_andn2_b64 s[4:5], s[4:5], exec
	s_and_b64 s[8:9], s[8:9], exec
	s_or_b64 s[4:5], s[4:5], s[8:9]
	s_or_b64 exec, exec, s[6:7]
	s_and_saveexec_b64 s[6:7], s[4:5]
	s_cbranch_execnz .LBB43_1103
	s_branch .LBB43_1104
.LBB43_3153:
	s_movk_i32 s4, 0x80
	v_cmp_eq_u16_e32 vcc, s4, v11
	s_mov_b64 s[4:5], -1
                                        ; implicit-def: $sgpr10
	s_and_saveexec_b64 s[8:9], vcc
; %bb.3154:
	s_mov_b32 s10, 0x7f800001
	s_xor_b64 s[4:5], exec, -1
; %bb.3155:
	s_or_b64 exec, exec, s[8:9]
	s_and_b64 s[4:5], s[4:5], exec
                                        ; implicit-def: $vgpr11
	s_or_saveexec_b64 s[6:7], s[6:7]
	v_mov_b32_e32 v10, s10
	s_xor_b64 exec, exec, s[6:7]
	s_cbranch_execz .LBB43_1106
.LBB43_3156:
	v_cmp_ne_u16_e32 vcc, 0, v11
	s_andn2_b64 s[4:5], s[4:5], exec
	s_and_b64 s[8:9], vcc, exec
	v_mov_b32_e32 v10, 0
	s_or_b64 s[4:5], s[4:5], s[8:9]
	s_or_b64 exec, exec, s[6:7]
	s_and_saveexec_b64 s[6:7], s[4:5]
	s_cbranch_execnz .LBB43_1107
	s_branch .LBB43_1108
.LBB43_3157:
	s_movk_i32 s4, 0x80
	v_cmp_eq_u16_e32 vcc, s4, v11
	s_mov_b64 s[4:5], -1
                                        ; implicit-def: $sgpr10
	s_and_saveexec_b64 s[8:9], vcc
; %bb.3158:
	s_mov_b32 s10, 0x7f800001
	s_xor_b64 s[4:5], exec, -1
; %bb.3159:
	s_or_b64 exec, exec, s[8:9]
	s_and_b64 s[4:5], s[4:5], exec
                                        ; implicit-def: $vgpr11
	s_or_saveexec_b64 s[6:7], s[6:7]
	v_mov_b32_e32 v14, s10
	s_xor_b64 exec, exec, s[6:7]
	s_cbranch_execz .LBB43_1110
.LBB43_3160:
	v_cmp_ne_u16_e32 vcc, 0, v11
	s_andn2_b64 s[4:5], s[4:5], exec
	s_and_b64 s[8:9], vcc, exec
	v_mov_b32_e32 v14, 0
	s_or_b64 s[4:5], s[4:5], s[8:9]
	s_or_b64 exec, exec, s[6:7]
	s_and_saveexec_b64 s[6:7], s[4:5]
	s_cbranch_execnz .LBB43_1111
	s_branch .LBB43_1112
.LBB43_3161:
	s_movk_i32 s4, 0x80
	v_cmp_eq_u16_sdwa s[12:13], v16, s4 src0_sel:BYTE_3 src1_sel:DWORD
	s_mov_b64 s[4:5], -1
                                        ; implicit-def: $sgpr10
	s_and_saveexec_b64 s[8:9], s[12:13]
; %bb.3162:
	s_mov_b32 s10, 0x7f800001
	s_xor_b64 s[4:5], exec, -1
; %bb.3163:
	s_or_b64 exec, exec, s[8:9]
	s_and_b64 s[4:5], s[4:5], exec
	s_or_saveexec_b64 s[6:7], s[6:7]
	v_mov_b32_e32 v10, s10
	s_xor_b64 exec, exec, s[6:7]
	s_cbranch_execz .LBB43_1114
.LBB43_3164:
	v_mov_b32_e32 v10, 0
	v_cmp_ne_u16_sdwa s[8:9], v16, v10 src0_sel:BYTE_3 src1_sel:DWORD
	s_andn2_b64 s[4:5], s[4:5], exec
	s_and_b64 s[8:9], s[8:9], exec
	s_or_b64 s[4:5], s[4:5], s[8:9]
	s_or_b64 exec, exec, s[6:7]
	s_and_saveexec_b64 s[6:7], s[4:5]
	s_cbranch_execnz .LBB43_1115
	s_branch .LBB43_1116
.LBB43_3165:
	s_movk_i32 s4, 0x80
	v_cmp_eq_u16_sdwa s[12:13], v12, s4 src0_sel:BYTE_3 src1_sel:DWORD
	s_mov_b64 s[4:5], -1
                                        ; implicit-def: $sgpr10
	s_and_saveexec_b64 s[8:9], s[12:13]
; %bb.3166:
	s_mov_b32 s10, 0x7f800001
	s_xor_b64 s[4:5], exec, -1
; %bb.3167:
	s_or_b64 exec, exec, s[8:9]
	s_and_b64 s[4:5], s[4:5], exec
	s_or_saveexec_b64 s[6:7], s[6:7]
	v_mov_b32_e32 v11, s10
	s_xor_b64 exec, exec, s[6:7]
	s_cbranch_execz .LBB43_1118
.LBB43_3168:
	v_mov_b32_e32 v11, 0
	v_cmp_ne_u16_sdwa s[8:9], v12, v11 src0_sel:BYTE_3 src1_sel:DWORD
	s_andn2_b64 s[4:5], s[4:5], exec
	s_and_b64 s[8:9], s[8:9], exec
	s_or_b64 s[4:5], s[4:5], s[8:9]
	s_or_b64 exec, exec, s[6:7]
	s_and_saveexec_b64 s[6:7], s[4:5]
	s_cbranch_execnz .LBB43_1119
	s_branch .LBB43_1120
.LBB43_3169:
	s_movk_i32 s4, 0x80
	v_cmp_eq_u16_sdwa s[12:13], v17, s4 src0_sel:BYTE_0 src1_sel:DWORD
	s_mov_b64 s[4:5], -1
                                        ; implicit-def: $sgpr10
	s_and_saveexec_b64 s[8:9], s[12:13]
; %bb.3170:
	s_mov_b32 s10, 0x7f800001
	s_xor_b64 s[4:5], exec, -1
; %bb.3171:
	s_or_b64 exec, exec, s[8:9]
	s_and_b64 s[4:5], s[4:5], exec
	s_or_saveexec_b64 s[6:7], s[6:7]
	v_mov_b32_e32 v10, s10
	s_xor_b64 exec, exec, s[6:7]
	s_cbranch_execz .LBB43_1122
.LBB43_3172:
	v_mov_b32_e32 v10, 0
	v_cmp_ne_u16_sdwa s[8:9], v17, v10 src0_sel:BYTE_0 src1_sel:DWORD
	s_andn2_b64 s[4:5], s[4:5], exec
	s_and_b64 s[8:9], s[8:9], exec
	s_or_b64 s[4:5], s[4:5], s[8:9]
	s_or_b64 exec, exec, s[6:7]
	s_and_saveexec_b64 s[6:7], s[4:5]
	s_cbranch_execnz .LBB43_1123
	s_branch .LBB43_1124
.LBB43_3173:
	s_movk_i32 s4, 0x80
	v_cmp_eq_u16_sdwa s[12:13], v13, s4 src0_sel:BYTE_0 src1_sel:DWORD
	s_mov_b64 s[4:5], -1
                                        ; implicit-def: $sgpr10
	s_and_saveexec_b64 s[8:9], s[12:13]
; %bb.3174:
	s_mov_b32 s10, 0x7f800001
	s_xor_b64 s[4:5], exec, -1
; %bb.3175:
	s_or_b64 exec, exec, s[8:9]
	s_and_b64 s[4:5], s[4:5], exec
	s_or_saveexec_b64 s[6:7], s[6:7]
	v_mov_b32_e32 v11, s10
	s_xor_b64 exec, exec, s[6:7]
	s_cbranch_execz .LBB43_1126
.LBB43_3176:
	v_mov_b32_e32 v11, 0
	v_cmp_ne_u16_sdwa s[8:9], v13, v11 src0_sel:BYTE_0 src1_sel:DWORD
	s_andn2_b64 s[4:5], s[4:5], exec
	s_and_b64 s[8:9], s[8:9], exec
	s_or_b64 s[4:5], s[4:5], s[8:9]
	s_or_b64 exec, exec, s[6:7]
	s_and_saveexec_b64 s[6:7], s[4:5]
	s_cbranch_execnz .LBB43_1127
	s_branch .LBB43_1128
.LBB43_3177:
	s_movk_i32 s4, 0x80
	v_cmp_eq_u16_sdwa s[12:13], v11, s4 src0_sel:BYTE_0 src1_sel:DWORD
	s_mov_b64 s[4:5], -1
                                        ; implicit-def: $sgpr10
	s_and_saveexec_b64 s[8:9], s[12:13]
; %bb.3178:
	s_mov_b32 s10, 0x7f800001
	s_xor_b64 s[4:5], exec, -1
; %bb.3179:
	s_or_b64 exec, exec, s[8:9]
	s_and_b64 s[4:5], s[4:5], exec
	s_or_saveexec_b64 s[6:7], s[6:7]
	v_mov_b32_e32 v10, s10
	s_xor_b64 exec, exec, s[6:7]
	s_cbranch_execz .LBB43_1130
.LBB43_3180:
	v_mov_b32_e32 v10, 0
	v_cmp_ne_u16_sdwa s[8:9], v11, v10 src0_sel:BYTE_0 src1_sel:DWORD
	s_andn2_b64 s[4:5], s[4:5], exec
	s_and_b64 s[8:9], s[8:9], exec
	s_or_b64 s[4:5], s[4:5], s[8:9]
	s_or_b64 exec, exec, s[6:7]
	s_and_saveexec_b64 s[6:7], s[4:5]
	s_cbranch_execnz .LBB43_1131
	s_branch .LBB43_1132
.LBB43_3181:
	s_movk_i32 s4, 0x80
	v_cmp_eq_u16_sdwa s[12:13], v11, s4 src0_sel:BYTE_0 src1_sel:DWORD
	s_mov_b64 s[4:5], -1
                                        ; implicit-def: $sgpr10
	s_and_saveexec_b64 s[8:9], s[12:13]
; %bb.3182:
	s_mov_b32 s10, 0x7f800001
	s_xor_b64 s[4:5], exec, -1
; %bb.3183:
	s_or_b64 exec, exec, s[8:9]
	s_and_b64 s[4:5], s[4:5], exec
	s_or_saveexec_b64 s[6:7], s[6:7]
	v_mov_b32_e32 v12, s10
	s_xor_b64 exec, exec, s[6:7]
	s_cbranch_execz .LBB43_1134
.LBB43_3184:
	v_mov_b32_e32 v12, 0
	v_cmp_ne_u16_sdwa s[8:9], v11, v12 src0_sel:BYTE_0 src1_sel:DWORD
	s_andn2_b64 s[4:5], s[4:5], exec
	s_and_b64 s[8:9], s[8:9], exec
	s_or_b64 s[4:5], s[4:5], s[8:9]
	s_or_b64 exec, exec, s[6:7]
	s_and_saveexec_b64 s[6:7], s[4:5]
	s_cbranch_execnz .LBB43_1135
	s_branch .LBB43_1136
.LBB43_3185:
	s_movk_i32 s4, 0x80
	v_cmp_eq_u16_e32 vcc, s4, v11
	s_mov_b64 s[4:5], -1
                                        ; implicit-def: $sgpr10
	s_and_saveexec_b64 s[8:9], vcc
; %bb.3186:
	s_mov_b32 s10, 0x7f800001
	s_xor_b64 s[4:5], exec, -1
; %bb.3187:
	s_or_b64 exec, exec, s[8:9]
	s_and_b64 s[4:5], s[4:5], exec
                                        ; implicit-def: $vgpr11
	s_or_saveexec_b64 s[6:7], s[6:7]
	v_mov_b32_e32 v10, s10
	s_xor_b64 exec, exec, s[6:7]
	s_cbranch_execz .LBB43_1138
.LBB43_3188:
	v_cmp_ne_u16_e32 vcc, 0, v11
	s_andn2_b64 s[4:5], s[4:5], exec
	s_and_b64 s[8:9], vcc, exec
	v_mov_b32_e32 v10, 0
	s_or_b64 s[4:5], s[4:5], s[8:9]
	s_or_b64 exec, exec, s[6:7]
	s_and_saveexec_b64 s[6:7], s[4:5]
	s_cbranch_execnz .LBB43_1139
	s_branch .LBB43_1140
.LBB43_3189:
	s_movk_i32 s4, 0x80
	v_cmp_eq_u16_e32 vcc, s4, v11
	s_mov_b64 s[4:5], -1
                                        ; implicit-def: $sgpr10
	s_and_saveexec_b64 s[8:9], vcc
; %bb.3190:
	s_mov_b32 s10, 0x7f800001
	s_xor_b64 s[4:5], exec, -1
; %bb.3191:
	s_or_b64 exec, exec, s[8:9]
	s_and_b64 s[4:5], s[4:5], exec
                                        ; implicit-def: $vgpr11
	s_or_saveexec_b64 s[6:7], s[6:7]
	v_mov_b32_e32 v12, s10
	s_xor_b64 exec, exec, s[6:7]
	s_cbranch_execz .LBB43_1142
.LBB43_3192:
	v_cmp_ne_u16_e32 vcc, 0, v11
	s_andn2_b64 s[4:5], s[4:5], exec
	s_and_b64 s[8:9], vcc, exec
	v_mov_b32_e32 v12, 0
	s_or_b64 s[4:5], s[4:5], s[8:9]
	s_or_b64 exec, exec, s[6:7]
	s_and_saveexec_b64 s[6:7], s[4:5]
	s_cbranch_execnz .LBB43_1143
	s_branch .LBB43_1144
.LBB43_3193:
	s_movk_i32 s4, 0x80
	v_cmp_eq_u16_sdwa s[12:13], v17, s4 src0_sel:BYTE_3 src1_sel:DWORD
	s_mov_b64 s[4:5], -1
                                        ; implicit-def: $sgpr10
	s_and_saveexec_b64 s[8:9], s[12:13]
; %bb.3194:
	s_mov_b32 s10, 0x7f800001
	s_xor_b64 s[4:5], exec, -1
; %bb.3195:
	s_or_b64 exec, exec, s[8:9]
	s_and_b64 s[4:5], s[4:5], exec
	s_or_saveexec_b64 s[6:7], s[6:7]
	v_mov_b32_e32 v10, s10
	s_xor_b64 exec, exec, s[6:7]
	s_cbranch_execz .LBB43_1146
.LBB43_3196:
	v_mov_b32_e32 v10, 0
	v_cmp_ne_u16_sdwa s[8:9], v17, v10 src0_sel:BYTE_3 src1_sel:DWORD
	s_andn2_b64 s[4:5], s[4:5], exec
	s_and_b64 s[8:9], s[8:9], exec
	s_or_b64 s[4:5], s[4:5], s[8:9]
	s_or_b64 exec, exec, s[6:7]
	s_and_saveexec_b64 s[6:7], s[4:5]
	s_cbranch_execnz .LBB43_1147
	s_branch .LBB43_1148
.LBB43_3197:
	s_movk_i32 s4, 0x80
	v_cmp_eq_u16_sdwa s[12:13], v13, s4 src0_sel:BYTE_3 src1_sel:DWORD
	s_mov_b64 s[4:5], -1
                                        ; implicit-def: $sgpr10
	s_and_saveexec_b64 s[8:9], s[12:13]
; %bb.3198:
	s_mov_b32 s10, 0x7f800001
	s_xor_b64 s[4:5], exec, -1
; %bb.3199:
	s_or_b64 exec, exec, s[8:9]
	s_and_b64 s[4:5], s[4:5], exec
	s_or_saveexec_b64 s[6:7], s[6:7]
	v_mov_b32_e32 v11, s10
	s_xor_b64 exec, exec, s[6:7]
	s_cbranch_execz .LBB43_1150
.LBB43_3200:
	v_mov_b32_e32 v11, 0
	v_cmp_ne_u16_sdwa s[8:9], v13, v11 src0_sel:BYTE_3 src1_sel:DWORD
	s_andn2_b64 s[4:5], s[4:5], exec
	s_and_b64 s[8:9], s[8:9], exec
	s_or_b64 s[4:5], s[4:5], s[8:9]
	s_or_b64 exec, exec, s[6:7]
	s_and_saveexec_b64 s[6:7], s[4:5]
	s_cbranch_execnz .LBB43_1151
	s_branch .LBB43_1152
.LBB43_3201:
	s_movk_i32 s4, 0x80
	v_cmp_eq_u16_sdwa s[12:13], v6, s4 src0_sel:BYTE_0 src1_sel:DWORD
	s_mov_b64 s[4:5], -1
                                        ; implicit-def: $sgpr10
	s_and_saveexec_b64 s[8:9], s[12:13]
; %bb.3202:
	s_mov_b32 s10, 0x7f800001
	s_xor_b64 s[4:5], exec, -1
; %bb.3203:
	s_or_b64 exec, exec, s[8:9]
	s_and_b64 s[4:5], s[4:5], exec
	s_or_saveexec_b64 s[6:7], s[6:7]
	v_mov_b32_e32 v10, s10
	s_xor_b64 exec, exec, s[6:7]
	s_cbranch_execz .LBB43_1154
.LBB43_3204:
	v_mov_b32_e32 v10, 0
	v_cmp_ne_u16_sdwa s[8:9], v6, v10 src0_sel:BYTE_0 src1_sel:DWORD
	s_andn2_b64 s[4:5], s[4:5], exec
	s_and_b64 s[8:9], s[8:9], exec
	s_or_b64 s[4:5], s[4:5], s[8:9]
	s_or_b64 exec, exec, s[6:7]
	s_and_saveexec_b64 s[6:7], s[4:5]
	s_cbranch_execnz .LBB43_1155
	s_branch .LBB43_1156
.LBB43_3205:
	s_movk_i32 s4, 0x80
	v_cmp_eq_u16_sdwa s[12:13], v2, s4 src0_sel:BYTE_0 src1_sel:DWORD
	s_mov_b64 s[4:5], -1
                                        ; implicit-def: $sgpr10
	s_and_saveexec_b64 s[8:9], s[12:13]
; %bb.3206:
	s_mov_b32 s10, 0x7f800001
	s_xor_b64 s[4:5], exec, -1
; %bb.3207:
	s_or_b64 exec, exec, s[8:9]
	s_and_b64 s[4:5], s[4:5], exec
	s_or_saveexec_b64 s[6:7], s[6:7]
	v_mov_b32_e32 v11, s10
	s_xor_b64 exec, exec, s[6:7]
	s_cbranch_execz .LBB43_1158
.LBB43_3208:
	v_mov_b32_e32 v11, 0
	v_cmp_ne_u16_sdwa s[8:9], v2, v11 src0_sel:BYTE_0 src1_sel:DWORD
	s_andn2_b64 s[4:5], s[4:5], exec
	s_and_b64 s[8:9], s[8:9], exec
	s_or_b64 s[4:5], s[4:5], s[8:9]
	s_or_b64 exec, exec, s[6:7]
	s_and_saveexec_b64 s[6:7], s[4:5]
	s_cbranch_execnz .LBB43_1159
	s_branch .LBB43_1160
.LBB43_3209:
	s_movk_i32 s4, 0x80
	v_cmp_eq_u16_sdwa s[12:13], v11, s4 src0_sel:BYTE_0 src1_sel:DWORD
	s_mov_b64 s[4:5], -1
                                        ; implicit-def: $sgpr10
	s_and_saveexec_b64 s[8:9], s[12:13]
; %bb.3210:
	s_mov_b32 s10, 0x7f800001
	s_xor_b64 s[4:5], exec, -1
; %bb.3211:
	s_or_b64 exec, exec, s[8:9]
	s_and_b64 s[4:5], s[4:5], exec
	s_or_saveexec_b64 s[6:7], s[6:7]
	v_mov_b32_e32 v10, s10
	s_xor_b64 exec, exec, s[6:7]
	s_cbranch_execz .LBB43_1162
.LBB43_3212:
	v_mov_b32_e32 v10, 0
	v_cmp_ne_u16_sdwa s[8:9], v11, v10 src0_sel:BYTE_0 src1_sel:DWORD
	s_andn2_b64 s[4:5], s[4:5], exec
	s_and_b64 s[8:9], s[8:9], exec
	s_or_b64 s[4:5], s[4:5], s[8:9]
	s_or_b64 exec, exec, s[6:7]
	s_and_saveexec_b64 s[6:7], s[4:5]
	s_cbranch_execnz .LBB43_1163
	s_branch .LBB43_1164
.LBB43_3213:
	s_movk_i32 s4, 0x80
	v_cmp_eq_u16_sdwa s[12:13], v11, s4 src0_sel:BYTE_0 src1_sel:DWORD
	s_mov_b64 s[4:5], -1
                                        ; implicit-def: $sgpr10
	s_and_saveexec_b64 s[8:9], s[12:13]
; %bb.3214:
	s_mov_b32 s10, 0x7f800001
	s_xor_b64 s[4:5], exec, -1
; %bb.3215:
	s_or_b64 exec, exec, s[8:9]
	s_and_b64 s[4:5], s[4:5], exec
	s_or_saveexec_b64 s[6:7], s[6:7]
	v_mov_b32_e32 v12, s10
	s_xor_b64 exec, exec, s[6:7]
	s_cbranch_execz .LBB43_1166
.LBB43_3216:
	v_mov_b32_e32 v12, 0
	v_cmp_ne_u16_sdwa s[8:9], v11, v12 src0_sel:BYTE_0 src1_sel:DWORD
	s_andn2_b64 s[4:5], s[4:5], exec
	s_and_b64 s[8:9], s[8:9], exec
	s_or_b64 s[4:5], s[4:5], s[8:9]
	s_or_b64 exec, exec, s[6:7]
	s_and_saveexec_b64 s[6:7], s[4:5]
	s_cbranch_execnz .LBB43_1167
	s_branch .LBB43_1168
.LBB43_3217:
	s_movk_i32 s4, 0x80
	v_cmp_eq_u16_e32 vcc, s4, v11
	s_mov_b64 s[4:5], -1
                                        ; implicit-def: $sgpr10
	s_and_saveexec_b64 s[8:9], vcc
; %bb.3218:
	s_mov_b32 s10, 0x7f800001
	s_xor_b64 s[4:5], exec, -1
; %bb.3219:
	s_or_b64 exec, exec, s[8:9]
	s_and_b64 s[4:5], s[4:5], exec
                                        ; implicit-def: $vgpr11
	s_or_saveexec_b64 s[6:7], s[6:7]
	v_mov_b32_e32 v10, s10
	s_xor_b64 exec, exec, s[6:7]
	s_cbranch_execz .LBB43_1170
.LBB43_3220:
	v_cmp_ne_u16_e32 vcc, 0, v11
	s_andn2_b64 s[4:5], s[4:5], exec
	s_and_b64 s[8:9], vcc, exec
	v_mov_b32_e32 v10, 0
	s_or_b64 s[4:5], s[4:5], s[8:9]
	s_or_b64 exec, exec, s[6:7]
	s_and_saveexec_b64 s[6:7], s[4:5]
	s_cbranch_execnz .LBB43_1171
	s_branch .LBB43_1172
.LBB43_3221:
	s_movk_i32 s4, 0x80
	v_cmp_eq_u16_e32 vcc, s4, v11
	s_mov_b64 s[4:5], -1
                                        ; implicit-def: $sgpr10
	s_and_saveexec_b64 s[8:9], vcc
; %bb.3222:
	s_mov_b32 s10, 0x7f800001
	s_xor_b64 s[4:5], exec, -1
; %bb.3223:
	s_or_b64 exec, exec, s[8:9]
	s_and_b64 s[4:5], s[4:5], exec
                                        ; implicit-def: $vgpr11
	s_or_saveexec_b64 s[6:7], s[6:7]
	v_mov_b32_e32 v12, s10
	s_xor_b64 exec, exec, s[6:7]
	s_cbranch_execz .LBB43_1174
.LBB43_3224:
	v_cmp_ne_u16_e32 vcc, 0, v11
	s_andn2_b64 s[4:5], s[4:5], exec
	s_and_b64 s[8:9], vcc, exec
	v_mov_b32_e32 v12, 0
	s_or_b64 s[4:5], s[4:5], s[8:9]
	s_or_b64 exec, exec, s[6:7]
	s_and_saveexec_b64 s[6:7], s[4:5]
	s_cbranch_execnz .LBB43_1175
	s_branch .LBB43_1176
.LBB43_3225:
	s_movk_i32 s4, 0x80
	v_cmp_eq_u16_sdwa s[12:13], v6, s4 src0_sel:BYTE_3 src1_sel:DWORD
	s_mov_b64 s[4:5], -1
                                        ; implicit-def: $sgpr10
	s_and_saveexec_b64 s[8:9], s[12:13]
; %bb.3226:
	s_mov_b32 s10, 0x7f800001
	s_xor_b64 s[4:5], exec, -1
; %bb.3227:
	s_or_b64 exec, exec, s[8:9]
	s_and_b64 s[4:5], s[4:5], exec
	s_or_saveexec_b64 s[6:7], s[6:7]
	v_mov_b32_e32 v10, s10
	s_xor_b64 exec, exec, s[6:7]
	s_cbranch_execz .LBB43_1178
.LBB43_3228:
	v_mov_b32_e32 v10, 0
	v_cmp_ne_u16_sdwa s[8:9], v6, v10 src0_sel:BYTE_3 src1_sel:DWORD
	s_andn2_b64 s[4:5], s[4:5], exec
	s_and_b64 s[8:9], s[8:9], exec
	s_or_b64 s[4:5], s[4:5], s[8:9]
	s_or_b64 exec, exec, s[6:7]
	s_and_saveexec_b64 s[6:7], s[4:5]
	s_cbranch_execnz .LBB43_1179
	s_branch .LBB43_1180
.LBB43_3229:
	s_movk_i32 s4, 0x80
	v_cmp_eq_u16_sdwa s[12:13], v2, s4 src0_sel:BYTE_3 src1_sel:DWORD
	s_mov_b64 s[4:5], -1
                                        ; implicit-def: $sgpr10
	s_and_saveexec_b64 s[8:9], s[12:13]
; %bb.3230:
	s_mov_b32 s10, 0x7f800001
	s_xor_b64 s[4:5], exec, -1
; %bb.3231:
	s_or_b64 exec, exec, s[8:9]
	s_and_b64 s[4:5], s[4:5], exec
	s_or_saveexec_b64 s[6:7], s[6:7]
	v_mov_b32_e32 v6, s10
	s_xor_b64 exec, exec, s[6:7]
	s_cbranch_execz .LBB43_1182
.LBB43_3232:
	v_mov_b32_e32 v6, 0
	v_cmp_ne_u16_sdwa s[8:9], v2, v6 src0_sel:BYTE_3 src1_sel:DWORD
	s_andn2_b64 s[4:5], s[4:5], exec
	s_and_b64 s[8:9], s[8:9], exec
	s_or_b64 s[4:5], s[4:5], s[8:9]
	s_or_b64 exec, exec, s[6:7]
	s_and_saveexec_b64 s[6:7], s[4:5]
	s_cbranch_execnz .LBB43_1183
	s_branch .LBB43_1184
.LBB43_3233:
	s_movk_i32 s4, 0x80
	v_cmp_eq_u16_sdwa s[12:13], v7, s4 src0_sel:BYTE_0 src1_sel:DWORD
	s_mov_b64 s[4:5], -1
                                        ; implicit-def: $sgpr10
	s_and_saveexec_b64 s[8:9], s[12:13]
; %bb.3234:
	s_mov_b32 s10, 0x7f800001
	s_xor_b64 s[4:5], exec, -1
; %bb.3235:
	s_or_b64 exec, exec, s[8:9]
	s_and_b64 s[4:5], s[4:5], exec
	s_or_saveexec_b64 s[6:7], s[6:7]
	v_mov_b32_e32 v2, s10
	s_xor_b64 exec, exec, s[6:7]
	s_cbranch_execz .LBB43_1186
.LBB43_3236:
	v_mov_b32_e32 v2, 0
	v_cmp_ne_u16_sdwa s[8:9], v7, v2 src0_sel:BYTE_0 src1_sel:DWORD
	s_andn2_b64 s[4:5], s[4:5], exec
	s_and_b64 s[8:9], s[8:9], exec
	s_or_b64 s[4:5], s[4:5], s[8:9]
	s_or_b64 exec, exec, s[6:7]
	s_and_saveexec_b64 s[6:7], s[4:5]
	s_cbranch_execnz .LBB43_1187
	s_branch .LBB43_1188
.LBB43_3237:
	s_movk_i32 s4, 0x80
	v_cmp_eq_u16_sdwa s[12:13], v3, s4 src0_sel:BYTE_0 src1_sel:DWORD
	s_mov_b64 s[4:5], -1
                                        ; implicit-def: $sgpr10
	s_and_saveexec_b64 s[8:9], s[12:13]
; %bb.3238:
	s_mov_b32 s10, 0x7f800001
	s_xor_b64 s[4:5], exec, -1
; %bb.3239:
	s_or_b64 exec, exec, s[8:9]
	s_and_b64 s[4:5], s[4:5], exec
	s_or_saveexec_b64 s[6:7], s[6:7]
	v_mov_b32_e32 v6, s10
	s_xor_b64 exec, exec, s[6:7]
	s_cbranch_execz .LBB43_1190
.LBB43_3240:
	v_mov_b32_e32 v6, 0
	v_cmp_ne_u16_sdwa s[8:9], v3, v6 src0_sel:BYTE_0 src1_sel:DWORD
	s_andn2_b64 s[4:5], s[4:5], exec
	s_and_b64 s[8:9], s[8:9], exec
	s_or_b64 s[4:5], s[4:5], s[8:9]
	s_or_b64 exec, exec, s[6:7]
	s_and_saveexec_b64 s[6:7], s[4:5]
	s_cbranch_execnz .LBB43_1191
	s_branch .LBB43_1192
.LBB43_3241:
	s_movk_i32 s4, 0x80
	v_cmp_eq_u16_sdwa s[12:13], v6, s4 src0_sel:BYTE_0 src1_sel:DWORD
	s_mov_b64 s[4:5], -1
                                        ; implicit-def: $sgpr10
	s_and_saveexec_b64 s[8:9], s[12:13]
; %bb.3242:
	s_mov_b32 s10, 0x7f800001
	s_xor_b64 s[4:5], exec, -1
; %bb.3243:
	s_or_b64 exec, exec, s[8:9]
	s_and_b64 s[4:5], s[4:5], exec
	s_or_saveexec_b64 s[6:7], s[6:7]
	v_mov_b32_e32 v2, s10
	s_xor_b64 exec, exec, s[6:7]
	s_cbranch_execz .LBB43_1194
.LBB43_3244:
	v_mov_b32_e32 v2, 0
	v_cmp_ne_u16_sdwa s[8:9], v6, v2 src0_sel:BYTE_0 src1_sel:DWORD
	s_andn2_b64 s[4:5], s[4:5], exec
	s_and_b64 s[8:9], s[8:9], exec
	s_or_b64 s[4:5], s[4:5], s[8:9]
	s_or_b64 exec, exec, s[6:7]
	s_and_saveexec_b64 s[6:7], s[4:5]
	s_cbranch_execnz .LBB43_1195
	s_branch .LBB43_1196
.LBB43_3245:
	s_movk_i32 s4, 0x80
	v_cmp_eq_u16_sdwa s[12:13], v6, s4 src0_sel:BYTE_0 src1_sel:DWORD
	s_mov_b64 s[4:5], -1
                                        ; implicit-def: $sgpr10
	s_and_saveexec_b64 s[8:9], s[12:13]
; %bb.3246:
	s_mov_b32 s10, 0x7f800001
	s_xor_b64 s[4:5], exec, -1
; %bb.3247:
	s_or_b64 exec, exec, s[8:9]
	s_and_b64 s[4:5], s[4:5], exec
	s_or_saveexec_b64 s[6:7], s[6:7]
	v_mov_b32_e32 v10, s10
	s_xor_b64 exec, exec, s[6:7]
	s_cbranch_execz .LBB43_1198
.LBB43_3248:
	v_mov_b32_e32 v10, 0
	v_cmp_ne_u16_sdwa s[8:9], v6, v10 src0_sel:BYTE_0 src1_sel:DWORD
	s_andn2_b64 s[4:5], s[4:5], exec
	s_and_b64 s[8:9], s[8:9], exec
	s_or_b64 s[4:5], s[4:5], s[8:9]
	s_or_b64 exec, exec, s[6:7]
	s_and_saveexec_b64 s[6:7], s[4:5]
	s_cbranch_execnz .LBB43_1199
	s_branch .LBB43_1200
.LBB43_3249:
	s_movk_i32 s4, 0x80
	v_cmp_eq_u16_e32 vcc, s4, v6
	s_mov_b64 s[4:5], -1
                                        ; implicit-def: $sgpr10
	s_and_saveexec_b64 s[8:9], vcc
; %bb.3250:
	s_mov_b32 s10, 0x7f800001
	s_xor_b64 s[4:5], exec, -1
; %bb.3251:
	s_or_b64 exec, exec, s[8:9]
	s_and_b64 s[4:5], s[4:5], exec
                                        ; implicit-def: $vgpr6
	s_or_saveexec_b64 s[6:7], s[6:7]
	v_mov_b32_e32 v2, s10
	s_xor_b64 exec, exec, s[6:7]
	s_cbranch_execz .LBB43_1202
.LBB43_3252:
	v_cmp_ne_u16_e32 vcc, 0, v6
	s_andn2_b64 s[4:5], s[4:5], exec
	s_and_b64 s[8:9], vcc, exec
	v_mov_b32_e32 v2, 0
	s_or_b64 s[4:5], s[4:5], s[8:9]
	s_or_b64 exec, exec, s[6:7]
	s_and_saveexec_b64 s[6:7], s[4:5]
	s_cbranch_execnz .LBB43_1203
	s_branch .LBB43_1204
.LBB43_3253:
	s_movk_i32 s4, 0x80
	v_cmp_eq_u16_e32 vcc, s4, v6
	s_mov_b64 s[4:5], -1
                                        ; implicit-def: $sgpr10
	s_and_saveexec_b64 s[8:9], vcc
; %bb.3254:
	s_mov_b32 s10, 0x7f800001
	s_xor_b64 s[4:5], exec, -1
; %bb.3255:
	s_or_b64 exec, exec, s[8:9]
	s_and_b64 s[4:5], s[4:5], exec
                                        ; implicit-def: $vgpr6
	s_or_saveexec_b64 s[6:7], s[6:7]
	v_mov_b32_e32 v10, s10
	s_xor_b64 exec, exec, s[6:7]
	s_cbranch_execz .LBB43_1206
.LBB43_3256:
	v_cmp_ne_u16_e32 vcc, 0, v6
	s_andn2_b64 s[4:5], s[4:5], exec
	s_and_b64 s[8:9], vcc, exec
	v_mov_b32_e32 v10, 0
	s_or_b64 s[4:5], s[4:5], s[8:9]
	s_or_b64 exec, exec, s[6:7]
	s_and_saveexec_b64 s[6:7], s[4:5]
	s_cbranch_execnz .LBB43_1207
	s_branch .LBB43_1208
.LBB43_3257:
	s_movk_i32 s4, 0x80
	v_cmp_eq_u16_sdwa s[12:13], v7, s4 src0_sel:BYTE_3 src1_sel:DWORD
	s_mov_b64 s[4:5], -1
                                        ; implicit-def: $sgpr10
	s_and_saveexec_b64 s[8:9], s[12:13]
; %bb.3258:
	s_mov_b32 s10, 0x7f800001
	s_xor_b64 s[4:5], exec, -1
; %bb.3259:
	s_or_b64 exec, exec, s[8:9]
	s_and_b64 s[4:5], s[4:5], exec
	s_or_saveexec_b64 s[6:7], s[6:7]
	v_mov_b32_e32 v2, s10
	s_xor_b64 exec, exec, s[6:7]
	s_cbranch_execz .LBB43_1210
.LBB43_3260:
	v_mov_b32_e32 v2, 0
	v_cmp_ne_u16_sdwa s[8:9], v7, v2 src0_sel:BYTE_3 src1_sel:DWORD
	s_andn2_b64 s[4:5], s[4:5], exec
	s_and_b64 s[8:9], s[8:9], exec
	s_or_b64 s[4:5], s[4:5], s[8:9]
	s_or_b64 exec, exec, s[6:7]
	s_and_saveexec_b64 s[6:7], s[4:5]
	s_cbranch_execnz .LBB43_1211
	s_branch .LBB43_1212
.LBB43_3261:
	s_movk_i32 s4, 0x80
	v_cmp_eq_u16_sdwa s[12:13], v3, s4 src0_sel:BYTE_3 src1_sel:DWORD
	s_mov_b64 s[4:5], -1
                                        ; implicit-def: $sgpr10
	s_and_saveexec_b64 s[8:9], s[12:13]
; %bb.3262:
	s_mov_b32 s10, 0x7f800001
	s_xor_b64 s[4:5], exec, -1
; %bb.3263:
	s_or_b64 exec, exec, s[8:9]
	s_and_b64 s[4:5], s[4:5], exec
	s_or_saveexec_b64 s[6:7], s[6:7]
	v_mov_b32_e32 v6, s10
	s_xor_b64 exec, exec, s[6:7]
	s_cbranch_execz .LBB43_1214
.LBB43_3264:
	v_mov_b32_e32 v6, 0
	v_cmp_ne_u16_sdwa s[8:9], v3, v6 src0_sel:BYTE_3 src1_sel:DWORD
	s_andn2_b64 s[4:5], s[4:5], exec
	s_and_b64 s[8:9], s[8:9], exec
	s_or_b64 s[4:5], s[4:5], s[8:9]
	s_or_b64 exec, exec, s[6:7]
	s_and_saveexec_b64 s[6:7], s[4:5]
	s_cbranch_execnz .LBB43_1215
	s_branch .LBB43_1216
.LBB43_3265:
	s_movk_i32 s4, 0x80
	v_cmp_eq_u16_sdwa s[12:13], v8, s4 src0_sel:BYTE_0 src1_sel:DWORD
	s_mov_b64 s[4:5], -1
                                        ; implicit-def: $sgpr10
	s_and_saveexec_b64 s[8:9], s[12:13]
; %bb.3266:
	s_mov_b32 s10, 0x7f800001
	s_xor_b64 s[4:5], exec, -1
; %bb.3267:
	s_or_b64 exec, exec, s[8:9]
	s_and_b64 s[4:5], s[4:5], exec
	s_or_saveexec_b64 s[6:7], s[6:7]
	v_mov_b32_e32 v2, s10
	s_xor_b64 exec, exec, s[6:7]
	s_cbranch_execz .LBB43_1218
.LBB43_3268:
	v_mov_b32_e32 v2, 0
	v_cmp_ne_u16_sdwa s[8:9], v8, v2 src0_sel:BYTE_0 src1_sel:DWORD
	s_andn2_b64 s[4:5], s[4:5], exec
	s_and_b64 s[8:9], s[8:9], exec
	s_or_b64 s[4:5], s[4:5], s[8:9]
	s_or_b64 exec, exec, s[6:7]
	s_and_saveexec_b64 s[6:7], s[4:5]
	s_cbranch_execnz .LBB43_1219
	s_branch .LBB43_1220
.LBB43_3269:
	s_movk_i32 s4, 0x80
	v_cmp_eq_u16_sdwa s[12:13], v4, s4 src0_sel:BYTE_0 src1_sel:DWORD
	s_mov_b64 s[4:5], -1
                                        ; implicit-def: $sgpr10
	s_and_saveexec_b64 s[8:9], s[12:13]
; %bb.3270:
	s_mov_b32 s10, 0x7f800001
	s_xor_b64 s[4:5], exec, -1
; %bb.3271:
	s_or_b64 exec, exec, s[8:9]
	s_and_b64 s[4:5], s[4:5], exec
	s_or_saveexec_b64 s[6:7], s[6:7]
	v_mov_b32_e32 v3, s10
	s_xor_b64 exec, exec, s[6:7]
	s_cbranch_execz .LBB43_1222
.LBB43_3272:
	v_mov_b32_e32 v3, 0
	v_cmp_ne_u16_sdwa s[8:9], v4, v3 src0_sel:BYTE_0 src1_sel:DWORD
	s_andn2_b64 s[4:5], s[4:5], exec
	s_and_b64 s[8:9], s[8:9], exec
	s_or_b64 s[4:5], s[4:5], s[8:9]
	s_or_b64 exec, exec, s[6:7]
	s_and_saveexec_b64 s[6:7], s[4:5]
	s_cbranch_execnz .LBB43_1223
	s_branch .LBB43_1224
.LBB43_3273:
	s_movk_i32 s4, 0x80
	v_cmp_eq_u16_sdwa s[12:13], v3, s4 src0_sel:BYTE_0 src1_sel:DWORD
	s_mov_b64 s[4:5], -1
                                        ; implicit-def: $sgpr10
	s_and_saveexec_b64 s[8:9], s[12:13]
; %bb.3274:
	s_mov_b32 s10, 0x7f800001
	s_xor_b64 s[4:5], exec, -1
; %bb.3275:
	s_or_b64 exec, exec, s[8:9]
	s_and_b64 s[4:5], s[4:5], exec
	s_or_saveexec_b64 s[6:7], s[6:7]
	v_mov_b32_e32 v2, s10
	s_xor_b64 exec, exec, s[6:7]
	s_cbranch_execz .LBB43_1226
.LBB43_3276:
	v_mov_b32_e32 v2, 0
	v_cmp_ne_u16_sdwa s[8:9], v3, v2 src0_sel:BYTE_0 src1_sel:DWORD
	s_andn2_b64 s[4:5], s[4:5], exec
	s_and_b64 s[8:9], s[8:9], exec
	s_or_b64 s[4:5], s[4:5], s[8:9]
	s_or_b64 exec, exec, s[6:7]
	s_and_saveexec_b64 s[6:7], s[4:5]
	s_cbranch_execnz .LBB43_1227
	s_branch .LBB43_1228
.LBB43_3277:
	s_movk_i32 s4, 0x80
	v_cmp_eq_u16_sdwa s[12:13], v3, s4 src0_sel:BYTE_0 src1_sel:DWORD
	s_mov_b64 s[4:5], -1
                                        ; implicit-def: $sgpr10
	s_and_saveexec_b64 s[8:9], s[12:13]
; %bb.3278:
	s_mov_b32 s10, 0x7f800001
	s_xor_b64 s[4:5], exec, -1
; %bb.3279:
	s_or_b64 exec, exec, s[8:9]
	s_and_b64 s[4:5], s[4:5], exec
	s_or_saveexec_b64 s[6:7], s[6:7]
	v_mov_b32_e32 v6, s10
	s_xor_b64 exec, exec, s[6:7]
	s_cbranch_execz .LBB43_1230
.LBB43_3280:
	v_mov_b32_e32 v6, 0
	v_cmp_ne_u16_sdwa s[8:9], v3, v6 src0_sel:BYTE_0 src1_sel:DWORD
	s_andn2_b64 s[4:5], s[4:5], exec
	s_and_b64 s[8:9], s[8:9], exec
	s_or_b64 s[4:5], s[4:5], s[8:9]
	s_or_b64 exec, exec, s[6:7]
	s_and_saveexec_b64 s[6:7], s[4:5]
	s_cbranch_execnz .LBB43_1231
	s_branch .LBB43_1232
.LBB43_3281:
	s_movk_i32 s4, 0x80
	v_cmp_eq_u16_e32 vcc, s4, v3
	s_mov_b64 s[4:5], -1
                                        ; implicit-def: $sgpr10
	s_and_saveexec_b64 s[8:9], vcc
; %bb.3282:
	s_mov_b32 s10, 0x7f800001
	s_xor_b64 s[4:5], exec, -1
; %bb.3283:
	s_or_b64 exec, exec, s[8:9]
	s_and_b64 s[4:5], s[4:5], exec
                                        ; implicit-def: $vgpr3
	s_or_saveexec_b64 s[6:7], s[6:7]
	v_mov_b32_e32 v2, s10
	s_xor_b64 exec, exec, s[6:7]
	s_cbranch_execz .LBB43_1234
.LBB43_3284:
	v_cmp_ne_u16_e32 vcc, 0, v3
	s_andn2_b64 s[4:5], s[4:5], exec
	s_and_b64 s[8:9], vcc, exec
	v_mov_b32_e32 v2, 0
	s_or_b64 s[4:5], s[4:5], s[8:9]
	s_or_b64 exec, exec, s[6:7]
	s_and_saveexec_b64 s[6:7], s[4:5]
	s_cbranch_execnz .LBB43_1235
	s_branch .LBB43_1236
.LBB43_3285:
	s_movk_i32 s4, 0x80
	v_cmp_eq_u16_e32 vcc, s4, v3
	s_mov_b64 s[4:5], -1
                                        ; implicit-def: $sgpr10
	s_and_saveexec_b64 s[8:9], vcc
; %bb.3286:
	s_mov_b32 s10, 0x7f800001
	s_xor_b64 s[4:5], exec, -1
; %bb.3287:
	s_or_b64 exec, exec, s[8:9]
	s_and_b64 s[4:5], s[4:5], exec
                                        ; implicit-def: $vgpr3
	s_or_saveexec_b64 s[6:7], s[6:7]
	v_mov_b32_e32 v6, s10
	s_xor_b64 exec, exec, s[6:7]
	s_cbranch_execz .LBB43_1238
.LBB43_3288:
	v_cmp_ne_u16_e32 vcc, 0, v3
	s_andn2_b64 s[4:5], s[4:5], exec
	s_and_b64 s[8:9], vcc, exec
	v_mov_b32_e32 v6, 0
	s_or_b64 s[4:5], s[4:5], s[8:9]
	s_or_b64 exec, exec, s[6:7]
	s_and_saveexec_b64 s[6:7], s[4:5]
	s_cbranch_execnz .LBB43_1239
	s_branch .LBB43_1240
.LBB43_3289:
	s_movk_i32 s4, 0x80
	v_cmp_eq_u16_sdwa s[12:13], v8, s4 src0_sel:BYTE_3 src1_sel:DWORD
	s_mov_b64 s[4:5], -1
                                        ; implicit-def: $sgpr10
	s_and_saveexec_b64 s[8:9], s[12:13]
; %bb.3290:
	s_mov_b32 s10, 0x7f800001
	s_xor_b64 s[4:5], exec, -1
; %bb.3291:
	s_or_b64 exec, exec, s[8:9]
	s_and_b64 s[4:5], s[4:5], exec
	s_or_saveexec_b64 s[6:7], s[6:7]
	v_mov_b32_e32 v2, s10
	s_xor_b64 exec, exec, s[6:7]
	s_cbranch_execz .LBB43_1242
.LBB43_3292:
	v_mov_b32_e32 v2, 0
	v_cmp_ne_u16_sdwa s[8:9], v8, v2 src0_sel:BYTE_3 src1_sel:DWORD
	s_andn2_b64 s[4:5], s[4:5], exec
	s_and_b64 s[8:9], s[8:9], exec
	s_or_b64 s[4:5], s[4:5], s[8:9]
	s_or_b64 exec, exec, s[6:7]
	s_and_saveexec_b64 s[6:7], s[4:5]
	s_cbranch_execnz .LBB43_1243
	s_branch .LBB43_1244
.LBB43_3293:
	s_movk_i32 s4, 0x80
	v_cmp_eq_u16_sdwa s[12:13], v4, s4 src0_sel:BYTE_3 src1_sel:DWORD
	s_mov_b64 s[4:5], -1
                                        ; implicit-def: $sgpr10
	s_and_saveexec_b64 s[8:9], s[12:13]
; %bb.3294:
	s_mov_b32 s10, 0x7f800001
	s_xor_b64 s[4:5], exec, -1
; %bb.3295:
	s_or_b64 exec, exec, s[8:9]
	s_and_b64 s[4:5], s[4:5], exec
	s_or_saveexec_b64 s[6:7], s[6:7]
	v_mov_b32_e32 v3, s10
	s_xor_b64 exec, exec, s[6:7]
	s_cbranch_execz .LBB43_1246
.LBB43_3296:
	v_mov_b32_e32 v3, 0
	v_cmp_ne_u16_sdwa s[8:9], v4, v3 src0_sel:BYTE_3 src1_sel:DWORD
	s_andn2_b64 s[4:5], s[4:5], exec
	s_and_b64 s[8:9], s[8:9], exec
	s_or_b64 s[4:5], s[4:5], s[8:9]
	s_or_b64 exec, exec, s[6:7]
	s_and_saveexec_b64 s[6:7], s[4:5]
	s_cbranch_execnz .LBB43_1247
	s_branch .LBB43_1248
.LBB43_3297:
	s_movk_i32 s4, 0x80
	v_cmp_eq_u16_sdwa s[12:13], v9, s4 src0_sel:BYTE_0 src1_sel:DWORD
	s_mov_b64 s[4:5], -1
                                        ; implicit-def: $sgpr10
	s_and_saveexec_b64 s[8:9], s[12:13]
; %bb.3298:
	s_mov_b32 s10, 0x7f800001
	s_xor_b64 s[4:5], exec, -1
; %bb.3299:
	s_or_b64 exec, exec, s[8:9]
	s_and_b64 s[4:5], s[4:5], exec
	s_or_saveexec_b64 s[6:7], s[6:7]
	v_mov_b32_e32 v2, s10
	s_xor_b64 exec, exec, s[6:7]
	s_cbranch_execz .LBB43_1250
.LBB43_3300:
	v_mov_b32_e32 v2, 0
	v_cmp_ne_u16_sdwa s[8:9], v9, v2 src0_sel:BYTE_0 src1_sel:DWORD
	s_andn2_b64 s[4:5], s[4:5], exec
	s_and_b64 s[8:9], s[8:9], exec
	s_or_b64 s[4:5], s[4:5], s[8:9]
	s_or_b64 exec, exec, s[6:7]
	s_and_saveexec_b64 s[6:7], s[4:5]
	s_cbranch_execnz .LBB43_1251
	s_branch .LBB43_1252
.LBB43_3301:
	s_movk_i32 s4, 0x80
	v_cmp_eq_u16_sdwa s[12:13], v5, s4 src0_sel:BYTE_0 src1_sel:DWORD
	s_mov_b64 s[4:5], -1
                                        ; implicit-def: $sgpr10
	s_and_saveexec_b64 s[8:9], s[12:13]
; %bb.3302:
	s_mov_b32 s10, 0x7f800001
	s_xor_b64 s[4:5], exec, -1
; %bb.3303:
	s_or_b64 exec, exec, s[8:9]
	s_and_b64 s[4:5], s[4:5], exec
	s_or_saveexec_b64 s[6:7], s[6:7]
	v_mov_b32_e32 v3, s10
	s_xor_b64 exec, exec, s[6:7]
	s_cbranch_execz .LBB43_1254
.LBB43_3304:
	v_mov_b32_e32 v3, 0
	v_cmp_ne_u16_sdwa s[8:9], v5, v3 src0_sel:BYTE_0 src1_sel:DWORD
	s_andn2_b64 s[4:5], s[4:5], exec
	s_and_b64 s[8:9], s[8:9], exec
	s_or_b64 s[4:5], s[4:5], s[8:9]
	s_or_b64 exec, exec, s[6:7]
	s_and_saveexec_b64 s[6:7], s[4:5]
	s_cbranch_execnz .LBB43_1255
	s_branch .LBB43_1256
.LBB43_3305:
	s_movk_i32 s4, 0x80
	v_cmp_eq_u16_sdwa s[12:13], v3, s4 src0_sel:BYTE_0 src1_sel:DWORD
	s_mov_b64 s[4:5], -1
                                        ; implicit-def: $sgpr10
	s_and_saveexec_b64 s[8:9], s[12:13]
; %bb.3306:
	s_mov_b32 s10, 0x7f800001
	s_xor_b64 s[4:5], exec, -1
; %bb.3307:
	s_or_b64 exec, exec, s[8:9]
	s_and_b64 s[4:5], s[4:5], exec
	s_or_saveexec_b64 s[6:7], s[6:7]
	v_mov_b32_e32 v2, s10
	s_xor_b64 exec, exec, s[6:7]
	s_cbranch_execz .LBB43_1258
.LBB43_3308:
	v_mov_b32_e32 v2, 0
	v_cmp_ne_u16_sdwa s[8:9], v3, v2 src0_sel:BYTE_0 src1_sel:DWORD
	s_andn2_b64 s[4:5], s[4:5], exec
	s_and_b64 s[8:9], s[8:9], exec
	s_or_b64 s[4:5], s[4:5], s[8:9]
	s_or_b64 exec, exec, s[6:7]
	s_and_saveexec_b64 s[6:7], s[4:5]
	s_cbranch_execnz .LBB43_1259
	s_branch .LBB43_1260
.LBB43_3309:
	s_movk_i32 s4, 0x80
	v_cmp_eq_u16_sdwa s[12:13], v3, s4 src0_sel:BYTE_0 src1_sel:DWORD
	s_mov_b64 s[4:5], -1
                                        ; implicit-def: $sgpr10
	s_and_saveexec_b64 s[8:9], s[12:13]
; %bb.3310:
	s_mov_b32 s10, 0x7f800001
	s_xor_b64 s[4:5], exec, -1
; %bb.3311:
	s_or_b64 exec, exec, s[8:9]
	s_and_b64 s[4:5], s[4:5], exec
	s_or_saveexec_b64 s[6:7], s[6:7]
	v_mov_b32_e32 v4, s10
	s_xor_b64 exec, exec, s[6:7]
	s_cbranch_execz .LBB43_1262
.LBB43_3312:
	v_mov_b32_e32 v4, 0
	v_cmp_ne_u16_sdwa s[8:9], v3, v4 src0_sel:BYTE_0 src1_sel:DWORD
	s_andn2_b64 s[4:5], s[4:5], exec
	s_and_b64 s[8:9], s[8:9], exec
	s_or_b64 s[4:5], s[4:5], s[8:9]
	s_or_b64 exec, exec, s[6:7]
	s_and_saveexec_b64 s[6:7], s[4:5]
	s_cbranch_execnz .LBB43_1263
	s_branch .LBB43_1264
.LBB43_3313:
	s_movk_i32 s4, 0x80
	v_cmp_eq_u16_e32 vcc, s4, v3
	s_mov_b64 s[4:5], -1
                                        ; implicit-def: $sgpr10
	s_and_saveexec_b64 s[8:9], vcc
; %bb.3314:
	s_mov_b32 s10, 0x7f800001
	s_xor_b64 s[4:5], exec, -1
; %bb.3315:
	s_or_b64 exec, exec, s[8:9]
	s_and_b64 s[4:5], s[4:5], exec
                                        ; implicit-def: $vgpr3
	s_or_saveexec_b64 s[6:7], s[6:7]
	v_mov_b32_e32 v2, s10
	s_xor_b64 exec, exec, s[6:7]
	s_cbranch_execz .LBB43_1266
.LBB43_3316:
	v_cmp_ne_u16_e32 vcc, 0, v3
	s_andn2_b64 s[4:5], s[4:5], exec
	s_and_b64 s[8:9], vcc, exec
	v_mov_b32_e32 v2, 0
	s_or_b64 s[4:5], s[4:5], s[8:9]
	s_or_b64 exec, exec, s[6:7]
	s_and_saveexec_b64 s[6:7], s[4:5]
	s_cbranch_execnz .LBB43_1267
	s_branch .LBB43_1268
.LBB43_3317:
	s_movk_i32 s4, 0x80
	v_cmp_eq_u16_e32 vcc, s4, v3
	s_mov_b64 s[4:5], -1
                                        ; implicit-def: $sgpr10
	s_and_saveexec_b64 s[8:9], vcc
; %bb.3318:
	s_mov_b32 s10, 0x7f800001
	s_xor_b64 s[4:5], exec, -1
; %bb.3319:
	s_or_b64 exec, exec, s[8:9]
	s_and_b64 s[4:5], s[4:5], exec
                                        ; implicit-def: $vgpr3
	s_or_saveexec_b64 s[6:7], s[6:7]
	v_mov_b32_e32 v4, s10
	s_xor_b64 exec, exec, s[6:7]
	s_cbranch_execz .LBB43_1270
.LBB43_3320:
	v_cmp_ne_u16_e32 vcc, 0, v3
	s_andn2_b64 s[4:5], s[4:5], exec
	s_and_b64 s[8:9], vcc, exec
	v_mov_b32_e32 v4, 0
	s_or_b64 s[4:5], s[4:5], s[8:9]
	s_or_b64 exec, exec, s[6:7]
	s_and_saveexec_b64 s[6:7], s[4:5]
	s_cbranch_execnz .LBB43_1271
	s_branch .LBB43_1272
.LBB43_3321:
	s_movk_i32 s4, 0x80
	v_cmp_eq_u16_sdwa s[12:13], v9, s4 src0_sel:BYTE_3 src1_sel:DWORD
	s_mov_b64 s[4:5], -1
                                        ; implicit-def: $sgpr10
	s_and_saveexec_b64 s[8:9], s[12:13]
; %bb.3322:
	s_mov_b32 s10, 0x7f800001
	s_xor_b64 s[4:5], exec, -1
; %bb.3323:
	s_or_b64 exec, exec, s[8:9]
	s_and_b64 s[4:5], s[4:5], exec
	s_or_saveexec_b64 s[6:7], s[6:7]
	v_mov_b32_e32 v2, s10
	s_xor_b64 exec, exec, s[6:7]
	s_cbranch_execz .LBB43_1274
.LBB43_3324:
	v_mov_b32_e32 v2, 0
	v_cmp_ne_u16_sdwa s[8:9], v9, v2 src0_sel:BYTE_3 src1_sel:DWORD
	s_andn2_b64 s[4:5], s[4:5], exec
	s_and_b64 s[8:9], s[8:9], exec
	s_or_b64 s[4:5], s[4:5], s[8:9]
	s_or_b64 exec, exec, s[6:7]
	s_and_saveexec_b64 s[6:7], s[4:5]
	s_cbranch_execnz .LBB43_1275
	s_branch .LBB43_1276
.LBB43_3325:
	s_movk_i32 s4, 0x80
	v_cmp_eq_u16_sdwa s[12:13], v5, s4 src0_sel:BYTE_3 src1_sel:DWORD
	s_mov_b64 s[4:5], -1
                                        ; implicit-def: $sgpr10
	s_and_saveexec_b64 s[8:9], s[12:13]
; %bb.3326:
	s_mov_b32 s10, 0x7f800001
	s_xor_b64 s[4:5], exec, -1
; %bb.3327:
	s_or_b64 exec, exec, s[8:9]
	s_and_b64 s[4:5], s[4:5], exec
	s_or_saveexec_b64 s[6:7], s[6:7]
	v_mov_b32_e32 v3, s10
	s_xor_b64 exec, exec, s[6:7]
	s_cbranch_execz .LBB43_1278
.LBB43_3328:
	v_mov_b32_e32 v3, 0
	v_cmp_ne_u16_sdwa s[8:9], v5, v3 src0_sel:BYTE_3 src1_sel:DWORD
	s_andn2_b64 s[4:5], s[4:5], exec
	s_and_b64 s[8:9], s[8:9], exec
	s_or_b64 s[4:5], s[4:5], s[8:9]
	s_or_b64 exec, exec, s[6:7]
	s_and_saveexec_b64 s[6:7], s[4:5]
	s_cbranch_execnz .LBB43_1279
	s_branch .LBB43_1280
.LBB43_3329:
	s_movk_i32 s4, 0x80
	v_cmp_eq_u16_sdwa s[12:13], v14, s4 src0_sel:BYTE_0 src1_sel:DWORD
	s_mov_b64 s[4:5], -1
                                        ; implicit-def: $sgpr10
	s_and_saveexec_b64 s[8:9], s[12:13]
; %bb.3330:
	s_mov_b32 s10, 0x7f800001
	s_xor_b64 s[4:5], exec, -1
; %bb.3331:
	s_or_b64 exec, exec, s[8:9]
	s_and_b64 s[4:5], s[4:5], exec
	s_or_saveexec_b64 s[6:7], s[6:7]
	v_mov_b32_e32 v20, s10
	s_xor_b64 exec, exec, s[6:7]
	s_cbranch_execz .LBB43_1282
.LBB43_3332:
	v_mov_b32_e32 v20, 0
	v_cmp_ne_u16_sdwa s[8:9], v14, v20 src0_sel:BYTE_0 src1_sel:DWORD
	s_andn2_b64 s[4:5], s[4:5], exec
	s_and_b64 s[8:9], s[8:9], exec
	s_or_b64 s[4:5], s[4:5], s[8:9]
	s_or_b64 exec, exec, s[6:7]
	s_and_saveexec_b64 s[6:7], s[4:5]
	s_cbranch_execnz .LBB43_1283
	s_branch .LBB43_1284
.LBB43_3333:
	s_movk_i32 s4, 0x80
	v_cmp_eq_u16_sdwa s[12:13], v10, s4 src0_sel:BYTE_0 src1_sel:DWORD
	s_mov_b64 s[4:5], -1
                                        ; implicit-def: $sgpr10
	s_and_saveexec_b64 s[8:9], s[12:13]
; %bb.3334:
	s_mov_b32 s10, 0x7f800001
	s_xor_b64 s[4:5], exec, -1
; %bb.3335:
	s_or_b64 exec, exec, s[8:9]
	s_and_b64 s[4:5], s[4:5], exec
	s_or_saveexec_b64 s[6:7], s[6:7]
	v_mov_b32_e32 v21, s10
	s_xor_b64 exec, exec, s[6:7]
	s_cbranch_execz .LBB43_1286
.LBB43_3336:
	v_mov_b32_e32 v21, 0
	v_cmp_ne_u16_sdwa s[8:9], v10, v21 src0_sel:BYTE_0 src1_sel:DWORD
	s_andn2_b64 s[4:5], s[4:5], exec
	s_and_b64 s[8:9], s[8:9], exec
	s_or_b64 s[4:5], s[4:5], s[8:9]
	s_or_b64 exec, exec, s[6:7]
	s_and_saveexec_b64 s[6:7], s[4:5]
	s_cbranch_execnz .LBB43_1287
	s_branch .LBB43_1288
.LBB43_3337:
	s_movk_i32 s4, 0x80
	v_cmp_eq_u16_sdwa s[12:13], v21, s4 src0_sel:BYTE_0 src1_sel:DWORD
	s_mov_b64 s[4:5], -1
                                        ; implicit-def: $sgpr10
	s_and_saveexec_b64 s[8:9], s[12:13]
; %bb.3338:
	s_mov_b32 s10, 0x7f800001
	s_xor_b64 s[4:5], exec, -1
; %bb.3339:
	s_or_b64 exec, exec, s[8:9]
	s_and_b64 s[4:5], s[4:5], exec
	s_or_saveexec_b64 s[6:7], s[6:7]
	v_mov_b32_e32 v20, s10
	s_xor_b64 exec, exec, s[6:7]
	s_cbranch_execz .LBB43_1290
.LBB43_3340:
	v_mov_b32_e32 v20, 0
	v_cmp_ne_u16_sdwa s[8:9], v21, v20 src0_sel:BYTE_0 src1_sel:DWORD
	s_andn2_b64 s[4:5], s[4:5], exec
	s_and_b64 s[8:9], s[8:9], exec
	s_or_b64 s[4:5], s[4:5], s[8:9]
	s_or_b64 exec, exec, s[6:7]
	s_and_saveexec_b64 s[6:7], s[4:5]
	s_cbranch_execnz .LBB43_1291
	s_branch .LBB43_1292
.LBB43_3341:
	s_movk_i32 s4, 0x80
	v_cmp_eq_u16_sdwa s[12:13], v21, s4 src0_sel:BYTE_0 src1_sel:DWORD
	s_mov_b64 s[4:5], -1
                                        ; implicit-def: $sgpr10
	s_and_saveexec_b64 s[8:9], s[12:13]
; %bb.3342:
	s_mov_b32 s10, 0x7f800001
	s_xor_b64 s[4:5], exec, -1
; %bb.3343:
	s_or_b64 exec, exec, s[8:9]
	s_and_b64 s[4:5], s[4:5], exec
	s_or_saveexec_b64 s[6:7], s[6:7]
	v_mov_b32_e32 v22, s10
	s_xor_b64 exec, exec, s[6:7]
	s_cbranch_execz .LBB43_1294
.LBB43_3344:
	v_mov_b32_e32 v22, 0
	v_cmp_ne_u16_sdwa s[8:9], v21, v22 src0_sel:BYTE_0 src1_sel:DWORD
	s_andn2_b64 s[4:5], s[4:5], exec
	s_and_b64 s[8:9], s[8:9], exec
	s_or_b64 s[4:5], s[4:5], s[8:9]
	s_or_b64 exec, exec, s[6:7]
	s_and_saveexec_b64 s[6:7], s[4:5]
	s_cbranch_execnz .LBB43_1295
	s_branch .LBB43_1296
.LBB43_3345:
	s_movk_i32 s4, 0x80
	v_cmp_eq_u16_e32 vcc, s4, v21
	s_mov_b64 s[4:5], -1
                                        ; implicit-def: $sgpr10
	s_and_saveexec_b64 s[8:9], vcc
; %bb.3346:
	s_mov_b32 s10, 0x7f800001
	s_xor_b64 s[4:5], exec, -1
; %bb.3347:
	s_or_b64 exec, exec, s[8:9]
	s_and_b64 s[4:5], s[4:5], exec
                                        ; implicit-def: $vgpr21
	s_or_saveexec_b64 s[6:7], s[6:7]
	v_mov_b32_e32 v20, s10
	s_xor_b64 exec, exec, s[6:7]
	s_cbranch_execz .LBB43_1298
.LBB43_3348:
	v_cmp_ne_u16_e32 vcc, 0, v21
	s_andn2_b64 s[4:5], s[4:5], exec
	s_and_b64 s[8:9], vcc, exec
	v_mov_b32_e32 v20, 0
	s_or_b64 s[4:5], s[4:5], s[8:9]
	s_or_b64 exec, exec, s[6:7]
	s_and_saveexec_b64 s[6:7], s[4:5]
	s_cbranch_execnz .LBB43_1299
	s_branch .LBB43_1300
.LBB43_3349:
	s_movk_i32 s4, 0x80
	v_cmp_eq_u16_e32 vcc, s4, v21
	s_mov_b64 s[4:5], -1
                                        ; implicit-def: $sgpr10
	s_and_saveexec_b64 s[8:9], vcc
; %bb.3350:
	s_mov_b32 s10, 0x7f800001
	s_xor_b64 s[4:5], exec, -1
; %bb.3351:
	s_or_b64 exec, exec, s[8:9]
	s_and_b64 s[4:5], s[4:5], exec
                                        ; implicit-def: $vgpr21
	s_or_saveexec_b64 s[6:7], s[6:7]
	v_mov_b32_e32 v22, s10
	s_xor_b64 exec, exec, s[6:7]
	s_cbranch_execz .LBB43_1302
.LBB43_3352:
	v_cmp_ne_u16_e32 vcc, 0, v21
	s_andn2_b64 s[4:5], s[4:5], exec
	s_and_b64 s[8:9], vcc, exec
	v_mov_b32_e32 v22, 0
	s_or_b64 s[4:5], s[4:5], s[8:9]
	s_or_b64 exec, exec, s[6:7]
	s_and_saveexec_b64 s[6:7], s[4:5]
	s_cbranch_execnz .LBB43_1303
	s_branch .LBB43_1304
.LBB43_3353:
	s_movk_i32 s4, 0x80
	v_cmp_eq_u16_sdwa s[12:13], v14, s4 src0_sel:BYTE_3 src1_sel:DWORD
	s_mov_b64 s[4:5], -1
                                        ; implicit-def: $sgpr10
	s_and_saveexec_b64 s[8:9], s[12:13]
; %bb.3354:
	s_mov_b32 s10, 0x7f800001
	s_xor_b64 s[4:5], exec, -1
; %bb.3355:
	s_or_b64 exec, exec, s[8:9]
	s_and_b64 s[4:5], s[4:5], exec
	s_or_saveexec_b64 s[6:7], s[6:7]
	v_mov_b32_e32 v20, s10
	s_xor_b64 exec, exec, s[6:7]
	s_cbranch_execz .LBB43_1306
.LBB43_3356:
	v_mov_b32_e32 v20, 0
	v_cmp_ne_u16_sdwa s[8:9], v14, v20 src0_sel:BYTE_3 src1_sel:DWORD
	s_andn2_b64 s[4:5], s[4:5], exec
	s_and_b64 s[8:9], s[8:9], exec
	s_or_b64 s[4:5], s[4:5], s[8:9]
	s_or_b64 exec, exec, s[6:7]
	s_and_saveexec_b64 s[6:7], s[4:5]
	s_cbranch_execnz .LBB43_1307
	s_branch .LBB43_1308
.LBB43_3357:
	s_movk_i32 s4, 0x80
	v_cmp_eq_u16_sdwa s[12:13], v10, s4 src0_sel:BYTE_3 src1_sel:DWORD
	s_mov_b64 s[4:5], -1
                                        ; implicit-def: $sgpr10
	s_and_saveexec_b64 s[8:9], s[12:13]
; %bb.3358:
	s_mov_b32 s10, 0x7f800001
	s_xor_b64 s[4:5], exec, -1
; %bb.3359:
	s_or_b64 exec, exec, s[8:9]
	s_and_b64 s[4:5], s[4:5], exec
	s_or_saveexec_b64 s[6:7], s[6:7]
	v_mov_b32_e32 v14, s10
	s_xor_b64 exec, exec, s[6:7]
	s_cbranch_execz .LBB43_1310
.LBB43_3360:
	v_mov_b32_e32 v14, 0
	v_cmp_ne_u16_sdwa s[8:9], v10, v14 src0_sel:BYTE_3 src1_sel:DWORD
	s_andn2_b64 s[4:5], s[4:5], exec
	s_and_b64 s[8:9], s[8:9], exec
	s_or_b64 s[4:5], s[4:5], s[8:9]
	s_or_b64 exec, exec, s[6:7]
	s_and_saveexec_b64 s[6:7], s[4:5]
	s_cbranch_execnz .LBB43_1311
	s_branch .LBB43_1312
.LBB43_3361:
	s_movk_i32 s4, 0x80
	v_cmp_eq_u16_sdwa s[12:13], v15, s4 src0_sel:BYTE_0 src1_sel:DWORD
	s_mov_b64 s[4:5], -1
                                        ; implicit-def: $sgpr10
	s_and_saveexec_b64 s[8:9], s[12:13]
; %bb.3362:
	s_mov_b32 s10, 0x7f800001
	s_xor_b64 s[4:5], exec, -1
; %bb.3363:
	s_or_b64 exec, exec, s[8:9]
	s_and_b64 s[4:5], s[4:5], exec
	s_or_saveexec_b64 s[6:7], s[6:7]
	v_mov_b32_e32 v10, s10
	s_xor_b64 exec, exec, s[6:7]
	s_cbranch_execz .LBB43_1314
.LBB43_3364:
	v_mov_b32_e32 v10, 0
	v_cmp_ne_u16_sdwa s[8:9], v15, v10 src0_sel:BYTE_0 src1_sel:DWORD
	s_andn2_b64 s[4:5], s[4:5], exec
	s_and_b64 s[8:9], s[8:9], exec
	s_or_b64 s[4:5], s[4:5], s[8:9]
	s_or_b64 exec, exec, s[6:7]
	s_and_saveexec_b64 s[6:7], s[4:5]
	s_cbranch_execnz .LBB43_1315
	s_branch .LBB43_1316
.LBB43_3365:
	s_movk_i32 s4, 0x80
	v_cmp_eq_u16_sdwa s[12:13], v11, s4 src0_sel:BYTE_0 src1_sel:DWORD
	s_mov_b64 s[4:5], -1
                                        ; implicit-def: $sgpr10
	s_and_saveexec_b64 s[8:9], s[12:13]
; %bb.3366:
	s_mov_b32 s10, 0x7f800001
	s_xor_b64 s[4:5], exec, -1
; %bb.3367:
	s_or_b64 exec, exec, s[8:9]
	s_and_b64 s[4:5], s[4:5], exec
	s_or_saveexec_b64 s[6:7], s[6:7]
	v_mov_b32_e32 v14, s10
	s_xor_b64 exec, exec, s[6:7]
	s_cbranch_execz .LBB43_1318
.LBB43_3368:
	v_mov_b32_e32 v14, 0
	v_cmp_ne_u16_sdwa s[8:9], v11, v14 src0_sel:BYTE_0 src1_sel:DWORD
	s_andn2_b64 s[4:5], s[4:5], exec
	s_and_b64 s[8:9], s[8:9], exec
	s_or_b64 s[4:5], s[4:5], s[8:9]
	s_or_b64 exec, exec, s[6:7]
	s_and_saveexec_b64 s[6:7], s[4:5]
	s_cbranch_execnz .LBB43_1319
	s_branch .LBB43_1320
.LBB43_3369:
	s_movk_i32 s4, 0x80
	v_cmp_eq_u16_sdwa s[12:13], v14, s4 src0_sel:BYTE_0 src1_sel:DWORD
	s_mov_b64 s[4:5], -1
                                        ; implicit-def: $sgpr10
	s_and_saveexec_b64 s[8:9], s[12:13]
; %bb.3370:
	s_mov_b32 s10, 0x7f800001
	s_xor_b64 s[4:5], exec, -1
; %bb.3371:
	s_or_b64 exec, exec, s[8:9]
	s_and_b64 s[4:5], s[4:5], exec
	s_or_saveexec_b64 s[6:7], s[6:7]
	v_mov_b32_e32 v10, s10
	s_xor_b64 exec, exec, s[6:7]
	s_cbranch_execz .LBB43_1322
.LBB43_3372:
	v_mov_b32_e32 v10, 0
	v_cmp_ne_u16_sdwa s[8:9], v14, v10 src0_sel:BYTE_0 src1_sel:DWORD
	s_andn2_b64 s[4:5], s[4:5], exec
	s_and_b64 s[8:9], s[8:9], exec
	s_or_b64 s[4:5], s[4:5], s[8:9]
	s_or_b64 exec, exec, s[6:7]
	s_and_saveexec_b64 s[6:7], s[4:5]
	s_cbranch_execnz .LBB43_1323
	s_branch .LBB43_1324
.LBB43_3373:
	s_movk_i32 s4, 0x80
	v_cmp_eq_u16_sdwa s[12:13], v14, s4 src0_sel:BYTE_0 src1_sel:DWORD
	s_mov_b64 s[4:5], -1
                                        ; implicit-def: $sgpr10
	s_and_saveexec_b64 s[8:9], s[12:13]
; %bb.3374:
	s_mov_b32 s10, 0x7f800001
	s_xor_b64 s[4:5], exec, -1
; %bb.3375:
	s_or_b64 exec, exec, s[8:9]
	s_and_b64 s[4:5], s[4:5], exec
	s_or_saveexec_b64 s[6:7], s[6:7]
	v_mov_b32_e32 v20, s10
	s_xor_b64 exec, exec, s[6:7]
	s_cbranch_execz .LBB43_1326
.LBB43_3376:
	v_mov_b32_e32 v20, 0
	v_cmp_ne_u16_sdwa s[8:9], v14, v20 src0_sel:BYTE_0 src1_sel:DWORD
	s_andn2_b64 s[4:5], s[4:5], exec
	s_and_b64 s[8:9], s[8:9], exec
	s_or_b64 s[4:5], s[4:5], s[8:9]
	s_or_b64 exec, exec, s[6:7]
	s_and_saveexec_b64 s[6:7], s[4:5]
	s_cbranch_execnz .LBB43_1327
	s_branch .LBB43_1328
.LBB43_3377:
	s_movk_i32 s4, 0x80
	v_cmp_eq_u16_e32 vcc, s4, v14
	s_mov_b64 s[4:5], -1
                                        ; implicit-def: $sgpr10
	s_and_saveexec_b64 s[8:9], vcc
; %bb.3378:
	s_mov_b32 s10, 0x7f800001
	s_xor_b64 s[4:5], exec, -1
; %bb.3379:
	s_or_b64 exec, exec, s[8:9]
	s_and_b64 s[4:5], s[4:5], exec
                                        ; implicit-def: $vgpr14
	s_or_saveexec_b64 s[6:7], s[6:7]
	v_mov_b32_e32 v10, s10
	s_xor_b64 exec, exec, s[6:7]
	s_cbranch_execz .LBB43_1330
.LBB43_3380:
	v_cmp_ne_u16_e32 vcc, 0, v14
	s_andn2_b64 s[4:5], s[4:5], exec
	s_and_b64 s[8:9], vcc, exec
	v_mov_b32_e32 v10, 0
	s_or_b64 s[4:5], s[4:5], s[8:9]
	s_or_b64 exec, exec, s[6:7]
	s_and_saveexec_b64 s[6:7], s[4:5]
	s_cbranch_execnz .LBB43_1331
	s_branch .LBB43_1332
.LBB43_3381:
	s_movk_i32 s4, 0x80
	v_cmp_eq_u16_e32 vcc, s4, v14
	s_mov_b64 s[4:5], -1
                                        ; implicit-def: $sgpr10
	s_and_saveexec_b64 s[8:9], vcc
; %bb.3382:
	s_mov_b32 s10, 0x7f800001
	s_xor_b64 s[4:5], exec, -1
; %bb.3383:
	s_or_b64 exec, exec, s[8:9]
	s_and_b64 s[4:5], s[4:5], exec
                                        ; implicit-def: $vgpr14
	s_or_saveexec_b64 s[6:7], s[6:7]
	v_mov_b32_e32 v20, s10
	s_xor_b64 exec, exec, s[6:7]
	s_cbranch_execz .LBB43_1334
.LBB43_3384:
	v_cmp_ne_u16_e32 vcc, 0, v14
	s_andn2_b64 s[4:5], s[4:5], exec
	s_and_b64 s[8:9], vcc, exec
	v_mov_b32_e32 v20, 0
	s_or_b64 s[4:5], s[4:5], s[8:9]
	s_or_b64 exec, exec, s[6:7]
	s_and_saveexec_b64 s[6:7], s[4:5]
	s_cbranch_execnz .LBB43_1335
	s_branch .LBB43_1336
.LBB43_3385:
	s_movk_i32 s4, 0x80
	v_cmp_eq_u16_sdwa s[12:13], v15, s4 src0_sel:BYTE_3 src1_sel:DWORD
	s_mov_b64 s[4:5], -1
                                        ; implicit-def: $sgpr10
	s_and_saveexec_b64 s[8:9], s[12:13]
; %bb.3386:
	s_mov_b32 s10, 0x7f800001
	s_xor_b64 s[4:5], exec, -1
; %bb.3387:
	s_or_b64 exec, exec, s[8:9]
	s_and_b64 s[4:5], s[4:5], exec
	s_or_saveexec_b64 s[6:7], s[6:7]
	v_mov_b32_e32 v10, s10
	s_xor_b64 exec, exec, s[6:7]
	s_cbranch_execz .LBB43_1338
.LBB43_3388:
	v_mov_b32_e32 v10, 0
	v_cmp_ne_u16_sdwa s[8:9], v15, v10 src0_sel:BYTE_3 src1_sel:DWORD
	s_andn2_b64 s[4:5], s[4:5], exec
	s_and_b64 s[8:9], s[8:9], exec
	s_or_b64 s[4:5], s[4:5], s[8:9]
	s_or_b64 exec, exec, s[6:7]
	s_and_saveexec_b64 s[6:7], s[4:5]
	s_cbranch_execnz .LBB43_1339
	s_branch .LBB43_1340
.LBB43_3389:
	s_movk_i32 s4, 0x80
	v_cmp_eq_u16_sdwa s[12:13], v11, s4 src0_sel:BYTE_3 src1_sel:DWORD
	s_mov_b64 s[4:5], -1
                                        ; implicit-def: $sgpr10
	s_and_saveexec_b64 s[8:9], s[12:13]
; %bb.3390:
	s_mov_b32 s10, 0x7f800001
	s_xor_b64 s[4:5], exec, -1
; %bb.3391:
	s_or_b64 exec, exec, s[8:9]
	s_and_b64 s[4:5], s[4:5], exec
	s_or_saveexec_b64 s[6:7], s[6:7]
	v_mov_b32_e32 v14, s10
	s_xor_b64 exec, exec, s[6:7]
	s_cbranch_execz .LBB43_1342
.LBB43_3392:
	v_mov_b32_e32 v14, 0
	v_cmp_ne_u16_sdwa s[8:9], v11, v14 src0_sel:BYTE_3 src1_sel:DWORD
	s_andn2_b64 s[4:5], s[4:5], exec
	s_and_b64 s[8:9], s[8:9], exec
	s_or_b64 s[4:5], s[4:5], s[8:9]
	s_or_b64 exec, exec, s[6:7]
	s_and_saveexec_b64 s[6:7], s[4:5]
	s_cbranch_execnz .LBB43_1343
	s_branch .LBB43_1344
.LBB43_3393:
	s_movk_i32 s4, 0x80
	v_cmp_eq_u16_sdwa s[12:13], v16, s4 src0_sel:BYTE_0 src1_sel:DWORD
	s_mov_b64 s[4:5], -1
                                        ; implicit-def: $sgpr10
	s_and_saveexec_b64 s[8:9], s[12:13]
; %bb.3394:
	s_mov_b32 s10, 0x7f800001
	s_xor_b64 s[4:5], exec, -1
; %bb.3395:
	s_or_b64 exec, exec, s[8:9]
	s_and_b64 s[4:5], s[4:5], exec
	s_or_saveexec_b64 s[6:7], s[6:7]
	v_mov_b32_e32 v10, s10
	s_xor_b64 exec, exec, s[6:7]
	s_cbranch_execz .LBB43_1346
.LBB43_3396:
	v_mov_b32_e32 v10, 0
	v_cmp_ne_u16_sdwa s[8:9], v16, v10 src0_sel:BYTE_0 src1_sel:DWORD
	s_andn2_b64 s[4:5], s[4:5], exec
	s_and_b64 s[8:9], s[8:9], exec
	s_or_b64 s[4:5], s[4:5], s[8:9]
	s_or_b64 exec, exec, s[6:7]
	s_and_saveexec_b64 s[6:7], s[4:5]
	s_cbranch_execnz .LBB43_1347
	s_branch .LBB43_1348
.LBB43_3397:
	s_movk_i32 s4, 0x80
	v_cmp_eq_u16_sdwa s[12:13], v12, s4 src0_sel:BYTE_0 src1_sel:DWORD
	s_mov_b64 s[4:5], -1
                                        ; implicit-def: $sgpr10
	s_and_saveexec_b64 s[8:9], s[12:13]
; %bb.3398:
	s_mov_b32 s10, 0x7f800001
	s_xor_b64 s[4:5], exec, -1
; %bb.3399:
	s_or_b64 exec, exec, s[8:9]
	s_and_b64 s[4:5], s[4:5], exec
	s_or_saveexec_b64 s[6:7], s[6:7]
	v_mov_b32_e32 v11, s10
	s_xor_b64 exec, exec, s[6:7]
	s_cbranch_execz .LBB43_1350
.LBB43_3400:
	v_mov_b32_e32 v11, 0
	v_cmp_ne_u16_sdwa s[8:9], v12, v11 src0_sel:BYTE_0 src1_sel:DWORD
	s_andn2_b64 s[4:5], s[4:5], exec
	s_and_b64 s[8:9], s[8:9], exec
	s_or_b64 s[4:5], s[4:5], s[8:9]
	s_or_b64 exec, exec, s[6:7]
	s_and_saveexec_b64 s[6:7], s[4:5]
	s_cbranch_execnz .LBB43_1351
	s_branch .LBB43_1352
.LBB43_3401:
	s_movk_i32 s4, 0x80
	v_cmp_eq_u16_sdwa s[12:13], v11, s4 src0_sel:BYTE_0 src1_sel:DWORD
	s_mov_b64 s[4:5], -1
                                        ; implicit-def: $sgpr10
	s_and_saveexec_b64 s[8:9], s[12:13]
; %bb.3402:
	s_mov_b32 s10, 0x7f800001
	s_xor_b64 s[4:5], exec, -1
; %bb.3403:
	s_or_b64 exec, exec, s[8:9]
	s_and_b64 s[4:5], s[4:5], exec
	s_or_saveexec_b64 s[6:7], s[6:7]
	v_mov_b32_e32 v10, s10
	s_xor_b64 exec, exec, s[6:7]
	s_cbranch_execz .LBB43_1354
.LBB43_3404:
	v_mov_b32_e32 v10, 0
	v_cmp_ne_u16_sdwa s[8:9], v11, v10 src0_sel:BYTE_0 src1_sel:DWORD
	s_andn2_b64 s[4:5], s[4:5], exec
	s_and_b64 s[8:9], s[8:9], exec
	s_or_b64 s[4:5], s[4:5], s[8:9]
	s_or_b64 exec, exec, s[6:7]
	s_and_saveexec_b64 s[6:7], s[4:5]
	s_cbranch_execnz .LBB43_1355
	s_branch .LBB43_1356
.LBB43_3405:
	s_movk_i32 s4, 0x80
	v_cmp_eq_u16_sdwa s[12:13], v11, s4 src0_sel:BYTE_0 src1_sel:DWORD
	s_mov_b64 s[4:5], -1
                                        ; implicit-def: $sgpr10
	s_and_saveexec_b64 s[8:9], s[12:13]
; %bb.3406:
	s_mov_b32 s10, 0x7f800001
	s_xor_b64 s[4:5], exec, -1
; %bb.3407:
	s_or_b64 exec, exec, s[8:9]
	s_and_b64 s[4:5], s[4:5], exec
	s_or_saveexec_b64 s[6:7], s[6:7]
	v_mov_b32_e32 v14, s10
	s_xor_b64 exec, exec, s[6:7]
	s_cbranch_execz .LBB43_1358
.LBB43_3408:
	v_mov_b32_e32 v14, 0
	v_cmp_ne_u16_sdwa s[8:9], v11, v14 src0_sel:BYTE_0 src1_sel:DWORD
	s_andn2_b64 s[4:5], s[4:5], exec
	s_and_b64 s[8:9], s[8:9], exec
	s_or_b64 s[4:5], s[4:5], s[8:9]
	s_or_b64 exec, exec, s[6:7]
	s_and_saveexec_b64 s[6:7], s[4:5]
	s_cbranch_execnz .LBB43_1359
	s_branch .LBB43_1360
.LBB43_3409:
	s_movk_i32 s4, 0x80
	v_cmp_eq_u16_e32 vcc, s4, v11
	s_mov_b64 s[4:5], -1
                                        ; implicit-def: $sgpr10
	s_and_saveexec_b64 s[8:9], vcc
; %bb.3410:
	s_mov_b32 s10, 0x7f800001
	s_xor_b64 s[4:5], exec, -1
; %bb.3411:
	s_or_b64 exec, exec, s[8:9]
	s_and_b64 s[4:5], s[4:5], exec
                                        ; implicit-def: $vgpr11
	s_or_saveexec_b64 s[6:7], s[6:7]
	v_mov_b32_e32 v10, s10
	s_xor_b64 exec, exec, s[6:7]
	s_cbranch_execz .LBB43_1362
.LBB43_3412:
	v_cmp_ne_u16_e32 vcc, 0, v11
	s_andn2_b64 s[4:5], s[4:5], exec
	s_and_b64 s[8:9], vcc, exec
	v_mov_b32_e32 v10, 0
	s_or_b64 s[4:5], s[4:5], s[8:9]
	s_or_b64 exec, exec, s[6:7]
	s_and_saveexec_b64 s[6:7], s[4:5]
	s_cbranch_execnz .LBB43_1363
	s_branch .LBB43_1364
.LBB43_3413:
	s_movk_i32 s4, 0x80
	v_cmp_eq_u16_e32 vcc, s4, v11
	s_mov_b64 s[4:5], -1
                                        ; implicit-def: $sgpr10
	s_and_saveexec_b64 s[8:9], vcc
; %bb.3414:
	s_mov_b32 s10, 0x7f800001
	s_xor_b64 s[4:5], exec, -1
; %bb.3415:
	s_or_b64 exec, exec, s[8:9]
	s_and_b64 s[4:5], s[4:5], exec
                                        ; implicit-def: $vgpr11
	s_or_saveexec_b64 s[6:7], s[6:7]
	v_mov_b32_e32 v14, s10
	s_xor_b64 exec, exec, s[6:7]
	s_cbranch_execz .LBB43_1366
.LBB43_3416:
	v_cmp_ne_u16_e32 vcc, 0, v11
	s_andn2_b64 s[4:5], s[4:5], exec
	s_and_b64 s[8:9], vcc, exec
	v_mov_b32_e32 v14, 0
	s_or_b64 s[4:5], s[4:5], s[8:9]
	s_or_b64 exec, exec, s[6:7]
	s_and_saveexec_b64 s[6:7], s[4:5]
	s_cbranch_execnz .LBB43_1367
	s_branch .LBB43_1368
.LBB43_3417:
	s_movk_i32 s4, 0x80
	v_cmp_eq_u16_sdwa s[12:13], v16, s4 src0_sel:BYTE_3 src1_sel:DWORD
	s_mov_b64 s[4:5], -1
                                        ; implicit-def: $sgpr10
	s_and_saveexec_b64 s[8:9], s[12:13]
; %bb.3418:
	s_mov_b32 s10, 0x7f800001
	s_xor_b64 s[4:5], exec, -1
; %bb.3419:
	s_or_b64 exec, exec, s[8:9]
	s_and_b64 s[4:5], s[4:5], exec
	s_or_saveexec_b64 s[6:7], s[6:7]
	v_mov_b32_e32 v10, s10
	s_xor_b64 exec, exec, s[6:7]
	s_cbranch_execz .LBB43_1370
.LBB43_3420:
	v_mov_b32_e32 v10, 0
	v_cmp_ne_u16_sdwa s[8:9], v16, v10 src0_sel:BYTE_3 src1_sel:DWORD
	s_andn2_b64 s[4:5], s[4:5], exec
	s_and_b64 s[8:9], s[8:9], exec
	s_or_b64 s[4:5], s[4:5], s[8:9]
	s_or_b64 exec, exec, s[6:7]
	s_and_saveexec_b64 s[6:7], s[4:5]
	s_cbranch_execnz .LBB43_1371
	s_branch .LBB43_1372
.LBB43_3421:
	s_movk_i32 s4, 0x80
	v_cmp_eq_u16_sdwa s[12:13], v12, s4 src0_sel:BYTE_3 src1_sel:DWORD
	s_mov_b64 s[4:5], -1
                                        ; implicit-def: $sgpr10
	s_and_saveexec_b64 s[8:9], s[12:13]
; %bb.3422:
	s_mov_b32 s10, 0x7f800001
	s_xor_b64 s[4:5], exec, -1
; %bb.3423:
	s_or_b64 exec, exec, s[8:9]
	s_and_b64 s[4:5], s[4:5], exec
	s_or_saveexec_b64 s[6:7], s[6:7]
	v_mov_b32_e32 v11, s10
	s_xor_b64 exec, exec, s[6:7]
	s_cbranch_execz .LBB43_1374
.LBB43_3424:
	v_mov_b32_e32 v11, 0
	v_cmp_ne_u16_sdwa s[8:9], v12, v11 src0_sel:BYTE_3 src1_sel:DWORD
	s_andn2_b64 s[4:5], s[4:5], exec
	s_and_b64 s[8:9], s[8:9], exec
	s_or_b64 s[4:5], s[4:5], s[8:9]
	s_or_b64 exec, exec, s[6:7]
	s_and_saveexec_b64 s[6:7], s[4:5]
	s_cbranch_execnz .LBB43_1375
	s_branch .LBB43_1376
.LBB43_3425:
	s_movk_i32 s4, 0x80
	v_cmp_eq_u16_sdwa s[12:13], v17, s4 src0_sel:BYTE_0 src1_sel:DWORD
	s_mov_b64 s[4:5], -1
                                        ; implicit-def: $sgpr10
	s_and_saveexec_b64 s[8:9], s[12:13]
; %bb.3426:
	s_mov_b32 s10, 0x7f800001
	s_xor_b64 s[4:5], exec, -1
; %bb.3427:
	s_or_b64 exec, exec, s[8:9]
	s_and_b64 s[4:5], s[4:5], exec
	s_or_saveexec_b64 s[6:7], s[6:7]
	v_mov_b32_e32 v10, s10
	s_xor_b64 exec, exec, s[6:7]
	s_cbranch_execz .LBB43_1378
.LBB43_3428:
	v_mov_b32_e32 v10, 0
	v_cmp_ne_u16_sdwa s[8:9], v17, v10 src0_sel:BYTE_0 src1_sel:DWORD
	s_andn2_b64 s[4:5], s[4:5], exec
	s_and_b64 s[8:9], s[8:9], exec
	s_or_b64 s[4:5], s[4:5], s[8:9]
	s_or_b64 exec, exec, s[6:7]
	s_and_saveexec_b64 s[6:7], s[4:5]
	s_cbranch_execnz .LBB43_1379
	s_branch .LBB43_1380
.LBB43_3429:
	s_movk_i32 s4, 0x80
	v_cmp_eq_u16_sdwa s[12:13], v13, s4 src0_sel:BYTE_0 src1_sel:DWORD
	s_mov_b64 s[4:5], -1
                                        ; implicit-def: $sgpr10
	s_and_saveexec_b64 s[8:9], s[12:13]
; %bb.3430:
	s_mov_b32 s10, 0x7f800001
	s_xor_b64 s[4:5], exec, -1
; %bb.3431:
	s_or_b64 exec, exec, s[8:9]
	s_and_b64 s[4:5], s[4:5], exec
	s_or_saveexec_b64 s[6:7], s[6:7]
	v_mov_b32_e32 v11, s10
	s_xor_b64 exec, exec, s[6:7]
	s_cbranch_execz .LBB43_1382
.LBB43_3432:
	v_mov_b32_e32 v11, 0
	v_cmp_ne_u16_sdwa s[8:9], v13, v11 src0_sel:BYTE_0 src1_sel:DWORD
	s_andn2_b64 s[4:5], s[4:5], exec
	s_and_b64 s[8:9], s[8:9], exec
	s_or_b64 s[4:5], s[4:5], s[8:9]
	s_or_b64 exec, exec, s[6:7]
	s_and_saveexec_b64 s[6:7], s[4:5]
	s_cbranch_execnz .LBB43_1383
	s_branch .LBB43_1384
.LBB43_3433:
	s_movk_i32 s4, 0x80
	v_cmp_eq_u16_sdwa s[12:13], v11, s4 src0_sel:BYTE_0 src1_sel:DWORD
	s_mov_b64 s[4:5], -1
                                        ; implicit-def: $sgpr10
	s_and_saveexec_b64 s[8:9], s[12:13]
; %bb.3434:
	s_mov_b32 s10, 0x7f800001
	s_xor_b64 s[4:5], exec, -1
; %bb.3435:
	s_or_b64 exec, exec, s[8:9]
	s_and_b64 s[4:5], s[4:5], exec
	s_or_saveexec_b64 s[6:7], s[6:7]
	v_mov_b32_e32 v10, s10
	s_xor_b64 exec, exec, s[6:7]
	s_cbranch_execz .LBB43_1386
.LBB43_3436:
	v_mov_b32_e32 v10, 0
	v_cmp_ne_u16_sdwa s[8:9], v11, v10 src0_sel:BYTE_0 src1_sel:DWORD
	s_andn2_b64 s[4:5], s[4:5], exec
	s_and_b64 s[8:9], s[8:9], exec
	s_or_b64 s[4:5], s[4:5], s[8:9]
	s_or_b64 exec, exec, s[6:7]
	s_and_saveexec_b64 s[6:7], s[4:5]
	s_cbranch_execnz .LBB43_1387
	s_branch .LBB43_1388
.LBB43_3437:
	s_movk_i32 s4, 0x80
	v_cmp_eq_u16_sdwa s[12:13], v11, s4 src0_sel:BYTE_0 src1_sel:DWORD
	s_mov_b64 s[4:5], -1
                                        ; implicit-def: $sgpr10
	s_and_saveexec_b64 s[8:9], s[12:13]
; %bb.3438:
	s_mov_b32 s10, 0x7f800001
	s_xor_b64 s[4:5], exec, -1
; %bb.3439:
	s_or_b64 exec, exec, s[8:9]
	s_and_b64 s[4:5], s[4:5], exec
	s_or_saveexec_b64 s[6:7], s[6:7]
	v_mov_b32_e32 v12, s10
	s_xor_b64 exec, exec, s[6:7]
	s_cbranch_execz .LBB43_1390
.LBB43_3440:
	v_mov_b32_e32 v12, 0
	v_cmp_ne_u16_sdwa s[8:9], v11, v12 src0_sel:BYTE_0 src1_sel:DWORD
	s_andn2_b64 s[4:5], s[4:5], exec
	s_and_b64 s[8:9], s[8:9], exec
	s_or_b64 s[4:5], s[4:5], s[8:9]
	s_or_b64 exec, exec, s[6:7]
	s_and_saveexec_b64 s[6:7], s[4:5]
	s_cbranch_execnz .LBB43_1391
	s_branch .LBB43_1392
.LBB43_3441:
	s_movk_i32 s4, 0x80
	v_cmp_eq_u16_e32 vcc, s4, v11
	s_mov_b64 s[4:5], -1
                                        ; implicit-def: $sgpr10
	s_and_saveexec_b64 s[8:9], vcc
; %bb.3442:
	s_mov_b32 s10, 0x7f800001
	s_xor_b64 s[4:5], exec, -1
; %bb.3443:
	s_or_b64 exec, exec, s[8:9]
	s_and_b64 s[4:5], s[4:5], exec
                                        ; implicit-def: $vgpr11
	s_or_saveexec_b64 s[6:7], s[6:7]
	v_mov_b32_e32 v10, s10
	s_xor_b64 exec, exec, s[6:7]
	s_cbranch_execz .LBB43_1394
.LBB43_3444:
	v_cmp_ne_u16_e32 vcc, 0, v11
	s_andn2_b64 s[4:5], s[4:5], exec
	s_and_b64 s[8:9], vcc, exec
	v_mov_b32_e32 v10, 0
	s_or_b64 s[4:5], s[4:5], s[8:9]
	s_or_b64 exec, exec, s[6:7]
	s_and_saveexec_b64 s[6:7], s[4:5]
	s_cbranch_execnz .LBB43_1395
	s_branch .LBB43_1396
.LBB43_3445:
	s_movk_i32 s4, 0x80
	v_cmp_eq_u16_e32 vcc, s4, v11
	s_mov_b64 s[4:5], -1
                                        ; implicit-def: $sgpr10
	s_and_saveexec_b64 s[8:9], vcc
; %bb.3446:
	s_mov_b32 s10, 0x7f800001
	s_xor_b64 s[4:5], exec, -1
; %bb.3447:
	s_or_b64 exec, exec, s[8:9]
	s_and_b64 s[4:5], s[4:5], exec
                                        ; implicit-def: $vgpr11
	s_or_saveexec_b64 s[6:7], s[6:7]
	v_mov_b32_e32 v12, s10
	s_xor_b64 exec, exec, s[6:7]
	s_cbranch_execz .LBB43_1398
.LBB43_3448:
	v_cmp_ne_u16_e32 vcc, 0, v11
	s_andn2_b64 s[4:5], s[4:5], exec
	s_and_b64 s[8:9], vcc, exec
	v_mov_b32_e32 v12, 0
	s_or_b64 s[4:5], s[4:5], s[8:9]
	s_or_b64 exec, exec, s[6:7]
	s_and_saveexec_b64 s[6:7], s[4:5]
	s_cbranch_execnz .LBB43_1399
	s_branch .LBB43_1400
.LBB43_3449:
	s_movk_i32 s4, 0x80
	v_cmp_eq_u16_sdwa s[12:13], v17, s4 src0_sel:BYTE_3 src1_sel:DWORD
	s_mov_b64 s[4:5], -1
                                        ; implicit-def: $sgpr10
	s_and_saveexec_b64 s[8:9], s[12:13]
; %bb.3450:
	s_mov_b32 s10, 0x7f800001
	s_xor_b64 s[4:5], exec, -1
; %bb.3451:
	s_or_b64 exec, exec, s[8:9]
	s_and_b64 s[4:5], s[4:5], exec
	s_or_saveexec_b64 s[6:7], s[6:7]
	v_mov_b32_e32 v10, s10
	s_xor_b64 exec, exec, s[6:7]
	s_cbranch_execz .LBB43_1402
.LBB43_3452:
	v_mov_b32_e32 v10, 0
	v_cmp_ne_u16_sdwa s[8:9], v17, v10 src0_sel:BYTE_3 src1_sel:DWORD
	s_andn2_b64 s[4:5], s[4:5], exec
	s_and_b64 s[8:9], s[8:9], exec
	s_or_b64 s[4:5], s[4:5], s[8:9]
	s_or_b64 exec, exec, s[6:7]
	s_and_saveexec_b64 s[6:7], s[4:5]
	s_cbranch_execnz .LBB43_1403
	s_branch .LBB43_1404
.LBB43_3453:
	s_movk_i32 s4, 0x80
	v_cmp_eq_u16_sdwa s[12:13], v13, s4 src0_sel:BYTE_3 src1_sel:DWORD
	s_mov_b64 s[4:5], -1
                                        ; implicit-def: $sgpr10
	s_and_saveexec_b64 s[8:9], s[12:13]
; %bb.3454:
	s_mov_b32 s10, 0x7f800001
	s_xor_b64 s[4:5], exec, -1
; %bb.3455:
	s_or_b64 exec, exec, s[8:9]
	s_and_b64 s[4:5], s[4:5], exec
	s_or_saveexec_b64 s[6:7], s[6:7]
	v_mov_b32_e32 v11, s10
	s_xor_b64 exec, exec, s[6:7]
	s_cbranch_execz .LBB43_1406
.LBB43_3456:
	v_mov_b32_e32 v11, 0
	v_cmp_ne_u16_sdwa s[8:9], v13, v11 src0_sel:BYTE_3 src1_sel:DWORD
	s_andn2_b64 s[4:5], s[4:5], exec
	s_and_b64 s[8:9], s[8:9], exec
	s_or_b64 s[4:5], s[4:5], s[8:9]
	s_or_b64 exec, exec, s[6:7]
	s_and_saveexec_b64 s[6:7], s[4:5]
	s_cbranch_execnz .LBB43_1407
	s_branch .LBB43_1408
.LBB43_3457:
	s_movk_i32 s4, 0x80
	v_cmp_eq_u16_sdwa s[12:13], v6, s4 src0_sel:BYTE_0 src1_sel:DWORD
	s_mov_b64 s[4:5], -1
                                        ; implicit-def: $sgpr10
	s_and_saveexec_b64 s[8:9], s[12:13]
; %bb.3458:
	s_mov_b32 s10, 0x7f800001
	s_xor_b64 s[4:5], exec, -1
; %bb.3459:
	s_or_b64 exec, exec, s[8:9]
	s_and_b64 s[4:5], s[4:5], exec
	s_or_saveexec_b64 s[6:7], s[6:7]
	v_mov_b32_e32 v10, s10
	s_xor_b64 exec, exec, s[6:7]
	s_cbranch_execz .LBB43_1410
.LBB43_3460:
	v_mov_b32_e32 v10, 0
	v_cmp_ne_u16_sdwa s[8:9], v6, v10 src0_sel:BYTE_0 src1_sel:DWORD
	s_andn2_b64 s[4:5], s[4:5], exec
	s_and_b64 s[8:9], s[8:9], exec
	s_or_b64 s[4:5], s[4:5], s[8:9]
	s_or_b64 exec, exec, s[6:7]
	s_and_saveexec_b64 s[6:7], s[4:5]
	s_cbranch_execnz .LBB43_1411
	s_branch .LBB43_1412
.LBB43_3461:
	s_movk_i32 s4, 0x80
	v_cmp_eq_u16_sdwa s[12:13], v2, s4 src0_sel:BYTE_0 src1_sel:DWORD
	s_mov_b64 s[4:5], -1
                                        ; implicit-def: $sgpr10
	s_and_saveexec_b64 s[8:9], s[12:13]
; %bb.3462:
	s_mov_b32 s10, 0x7f800001
	s_xor_b64 s[4:5], exec, -1
; %bb.3463:
	s_or_b64 exec, exec, s[8:9]
	s_and_b64 s[4:5], s[4:5], exec
	s_or_saveexec_b64 s[6:7], s[6:7]
	v_mov_b32_e32 v11, s10
	s_xor_b64 exec, exec, s[6:7]
	s_cbranch_execz .LBB43_1414
.LBB43_3464:
	v_mov_b32_e32 v11, 0
	v_cmp_ne_u16_sdwa s[8:9], v2, v11 src0_sel:BYTE_0 src1_sel:DWORD
	s_andn2_b64 s[4:5], s[4:5], exec
	s_and_b64 s[8:9], s[8:9], exec
	s_or_b64 s[4:5], s[4:5], s[8:9]
	s_or_b64 exec, exec, s[6:7]
	s_and_saveexec_b64 s[6:7], s[4:5]
	s_cbranch_execnz .LBB43_1415
	s_branch .LBB43_1416
.LBB43_3465:
	s_movk_i32 s4, 0x80
	v_cmp_eq_u16_sdwa s[12:13], v11, s4 src0_sel:BYTE_0 src1_sel:DWORD
	s_mov_b64 s[4:5], -1
                                        ; implicit-def: $sgpr10
	s_and_saveexec_b64 s[8:9], s[12:13]
; %bb.3466:
	s_mov_b32 s10, 0x7f800001
	s_xor_b64 s[4:5], exec, -1
; %bb.3467:
	s_or_b64 exec, exec, s[8:9]
	s_and_b64 s[4:5], s[4:5], exec
	s_or_saveexec_b64 s[6:7], s[6:7]
	v_mov_b32_e32 v10, s10
	s_xor_b64 exec, exec, s[6:7]
	s_cbranch_execz .LBB43_1418
.LBB43_3468:
	v_mov_b32_e32 v10, 0
	v_cmp_ne_u16_sdwa s[8:9], v11, v10 src0_sel:BYTE_0 src1_sel:DWORD
	s_andn2_b64 s[4:5], s[4:5], exec
	s_and_b64 s[8:9], s[8:9], exec
	s_or_b64 s[4:5], s[4:5], s[8:9]
	s_or_b64 exec, exec, s[6:7]
	s_and_saveexec_b64 s[6:7], s[4:5]
	s_cbranch_execnz .LBB43_1419
	s_branch .LBB43_1420
.LBB43_3469:
	s_movk_i32 s4, 0x80
	v_cmp_eq_u16_sdwa s[12:13], v11, s4 src0_sel:BYTE_0 src1_sel:DWORD
	s_mov_b64 s[4:5], -1
                                        ; implicit-def: $sgpr10
	s_and_saveexec_b64 s[8:9], s[12:13]
; %bb.3470:
	s_mov_b32 s10, 0x7f800001
	s_xor_b64 s[4:5], exec, -1
; %bb.3471:
	s_or_b64 exec, exec, s[8:9]
	s_and_b64 s[4:5], s[4:5], exec
	s_or_saveexec_b64 s[6:7], s[6:7]
	v_mov_b32_e32 v12, s10
	s_xor_b64 exec, exec, s[6:7]
	s_cbranch_execz .LBB43_1422
.LBB43_3472:
	v_mov_b32_e32 v12, 0
	v_cmp_ne_u16_sdwa s[8:9], v11, v12 src0_sel:BYTE_0 src1_sel:DWORD
	s_andn2_b64 s[4:5], s[4:5], exec
	s_and_b64 s[8:9], s[8:9], exec
	s_or_b64 s[4:5], s[4:5], s[8:9]
	s_or_b64 exec, exec, s[6:7]
	s_and_saveexec_b64 s[6:7], s[4:5]
	s_cbranch_execnz .LBB43_1423
	s_branch .LBB43_1424
.LBB43_3473:
	s_movk_i32 s4, 0x80
	v_cmp_eq_u16_e32 vcc, s4, v11
	s_mov_b64 s[4:5], -1
                                        ; implicit-def: $sgpr10
	s_and_saveexec_b64 s[8:9], vcc
; %bb.3474:
	s_mov_b32 s10, 0x7f800001
	s_xor_b64 s[4:5], exec, -1
; %bb.3475:
	s_or_b64 exec, exec, s[8:9]
	s_and_b64 s[4:5], s[4:5], exec
                                        ; implicit-def: $vgpr11
	s_or_saveexec_b64 s[6:7], s[6:7]
	v_mov_b32_e32 v10, s10
	s_xor_b64 exec, exec, s[6:7]
	s_cbranch_execz .LBB43_1426
.LBB43_3476:
	v_cmp_ne_u16_e32 vcc, 0, v11
	s_andn2_b64 s[4:5], s[4:5], exec
	s_and_b64 s[8:9], vcc, exec
	v_mov_b32_e32 v10, 0
	s_or_b64 s[4:5], s[4:5], s[8:9]
	s_or_b64 exec, exec, s[6:7]
	s_and_saveexec_b64 s[6:7], s[4:5]
	s_cbranch_execnz .LBB43_1427
	s_branch .LBB43_1428
.LBB43_3477:
	s_movk_i32 s4, 0x80
	v_cmp_eq_u16_e32 vcc, s4, v11
	s_mov_b64 s[4:5], -1
                                        ; implicit-def: $sgpr10
	s_and_saveexec_b64 s[8:9], vcc
; %bb.3478:
	s_mov_b32 s10, 0x7f800001
	s_xor_b64 s[4:5], exec, -1
; %bb.3479:
	s_or_b64 exec, exec, s[8:9]
	s_and_b64 s[4:5], s[4:5], exec
                                        ; implicit-def: $vgpr11
	s_or_saveexec_b64 s[6:7], s[6:7]
	v_mov_b32_e32 v12, s10
	s_xor_b64 exec, exec, s[6:7]
	s_cbranch_execz .LBB43_1430
.LBB43_3480:
	v_cmp_ne_u16_e32 vcc, 0, v11
	s_andn2_b64 s[4:5], s[4:5], exec
	s_and_b64 s[8:9], vcc, exec
	v_mov_b32_e32 v12, 0
	s_or_b64 s[4:5], s[4:5], s[8:9]
	s_or_b64 exec, exec, s[6:7]
	s_and_saveexec_b64 s[6:7], s[4:5]
	s_cbranch_execnz .LBB43_1431
	s_branch .LBB43_1432
.LBB43_3481:
	s_movk_i32 s4, 0x80
	v_cmp_eq_u16_sdwa s[12:13], v6, s4 src0_sel:BYTE_3 src1_sel:DWORD
	s_mov_b64 s[4:5], -1
                                        ; implicit-def: $sgpr10
	s_and_saveexec_b64 s[8:9], s[12:13]
; %bb.3482:
	s_mov_b32 s10, 0x7f800001
	s_xor_b64 s[4:5], exec, -1
; %bb.3483:
	s_or_b64 exec, exec, s[8:9]
	s_and_b64 s[4:5], s[4:5], exec
	s_or_saveexec_b64 s[6:7], s[6:7]
	v_mov_b32_e32 v10, s10
	s_xor_b64 exec, exec, s[6:7]
	s_cbranch_execz .LBB43_1434
.LBB43_3484:
	v_mov_b32_e32 v10, 0
	v_cmp_ne_u16_sdwa s[8:9], v6, v10 src0_sel:BYTE_3 src1_sel:DWORD
	s_andn2_b64 s[4:5], s[4:5], exec
	s_and_b64 s[8:9], s[8:9], exec
	s_or_b64 s[4:5], s[4:5], s[8:9]
	s_or_b64 exec, exec, s[6:7]
	s_and_saveexec_b64 s[6:7], s[4:5]
	s_cbranch_execnz .LBB43_1435
	s_branch .LBB43_1436
.LBB43_3485:
	s_movk_i32 s4, 0x80
	v_cmp_eq_u16_sdwa s[12:13], v2, s4 src0_sel:BYTE_3 src1_sel:DWORD
	s_mov_b64 s[4:5], -1
                                        ; implicit-def: $sgpr10
	s_and_saveexec_b64 s[8:9], s[12:13]
; %bb.3486:
	s_mov_b32 s10, 0x7f800001
	s_xor_b64 s[4:5], exec, -1
; %bb.3487:
	s_or_b64 exec, exec, s[8:9]
	s_and_b64 s[4:5], s[4:5], exec
	s_or_saveexec_b64 s[6:7], s[6:7]
	v_mov_b32_e32 v6, s10
	s_xor_b64 exec, exec, s[6:7]
	s_cbranch_execz .LBB43_1438
.LBB43_3488:
	v_mov_b32_e32 v6, 0
	v_cmp_ne_u16_sdwa s[8:9], v2, v6 src0_sel:BYTE_3 src1_sel:DWORD
	s_andn2_b64 s[4:5], s[4:5], exec
	s_and_b64 s[8:9], s[8:9], exec
	s_or_b64 s[4:5], s[4:5], s[8:9]
	s_or_b64 exec, exec, s[6:7]
	s_and_saveexec_b64 s[6:7], s[4:5]
	s_cbranch_execnz .LBB43_1439
	s_branch .LBB43_1440
.LBB43_3489:
	s_movk_i32 s4, 0x80
	v_cmp_eq_u16_sdwa s[12:13], v7, s4 src0_sel:BYTE_0 src1_sel:DWORD
	s_mov_b64 s[4:5], -1
                                        ; implicit-def: $sgpr10
	s_and_saveexec_b64 s[8:9], s[12:13]
; %bb.3490:
	s_mov_b32 s10, 0x7f800001
	s_xor_b64 s[4:5], exec, -1
; %bb.3491:
	s_or_b64 exec, exec, s[8:9]
	s_and_b64 s[4:5], s[4:5], exec
	s_or_saveexec_b64 s[6:7], s[6:7]
	v_mov_b32_e32 v2, s10
	s_xor_b64 exec, exec, s[6:7]
	s_cbranch_execz .LBB43_1442
.LBB43_3492:
	v_mov_b32_e32 v2, 0
	v_cmp_ne_u16_sdwa s[8:9], v7, v2 src0_sel:BYTE_0 src1_sel:DWORD
	s_andn2_b64 s[4:5], s[4:5], exec
	s_and_b64 s[8:9], s[8:9], exec
	s_or_b64 s[4:5], s[4:5], s[8:9]
	s_or_b64 exec, exec, s[6:7]
	s_and_saveexec_b64 s[6:7], s[4:5]
	s_cbranch_execnz .LBB43_1443
	s_branch .LBB43_1444
.LBB43_3493:
	s_movk_i32 s4, 0x80
	v_cmp_eq_u16_sdwa s[12:13], v3, s4 src0_sel:BYTE_0 src1_sel:DWORD
	s_mov_b64 s[4:5], -1
                                        ; implicit-def: $sgpr10
	s_and_saveexec_b64 s[8:9], s[12:13]
; %bb.3494:
	s_mov_b32 s10, 0x7f800001
	s_xor_b64 s[4:5], exec, -1
; %bb.3495:
	s_or_b64 exec, exec, s[8:9]
	s_and_b64 s[4:5], s[4:5], exec
	s_or_saveexec_b64 s[6:7], s[6:7]
	v_mov_b32_e32 v6, s10
	s_xor_b64 exec, exec, s[6:7]
	s_cbranch_execz .LBB43_1446
.LBB43_3496:
	v_mov_b32_e32 v6, 0
	v_cmp_ne_u16_sdwa s[8:9], v3, v6 src0_sel:BYTE_0 src1_sel:DWORD
	s_andn2_b64 s[4:5], s[4:5], exec
	s_and_b64 s[8:9], s[8:9], exec
	s_or_b64 s[4:5], s[4:5], s[8:9]
	s_or_b64 exec, exec, s[6:7]
	s_and_saveexec_b64 s[6:7], s[4:5]
	s_cbranch_execnz .LBB43_1447
	s_branch .LBB43_1448
.LBB43_3497:
	s_movk_i32 s4, 0x80
	v_cmp_eq_u16_sdwa s[12:13], v6, s4 src0_sel:BYTE_0 src1_sel:DWORD
	s_mov_b64 s[4:5], -1
                                        ; implicit-def: $sgpr10
	s_and_saveexec_b64 s[8:9], s[12:13]
; %bb.3498:
	s_mov_b32 s10, 0x7f800001
	s_xor_b64 s[4:5], exec, -1
; %bb.3499:
	s_or_b64 exec, exec, s[8:9]
	s_and_b64 s[4:5], s[4:5], exec
	s_or_saveexec_b64 s[6:7], s[6:7]
	v_mov_b32_e32 v2, s10
	s_xor_b64 exec, exec, s[6:7]
	s_cbranch_execz .LBB43_1450
.LBB43_3500:
	v_mov_b32_e32 v2, 0
	v_cmp_ne_u16_sdwa s[8:9], v6, v2 src0_sel:BYTE_0 src1_sel:DWORD
	s_andn2_b64 s[4:5], s[4:5], exec
	s_and_b64 s[8:9], s[8:9], exec
	s_or_b64 s[4:5], s[4:5], s[8:9]
	s_or_b64 exec, exec, s[6:7]
	s_and_saveexec_b64 s[6:7], s[4:5]
	s_cbranch_execnz .LBB43_1451
	s_branch .LBB43_1452
.LBB43_3501:
	s_movk_i32 s4, 0x80
	v_cmp_eq_u16_sdwa s[12:13], v6, s4 src0_sel:BYTE_0 src1_sel:DWORD
	s_mov_b64 s[4:5], -1
                                        ; implicit-def: $sgpr10
	s_and_saveexec_b64 s[8:9], s[12:13]
; %bb.3502:
	s_mov_b32 s10, 0x7f800001
	s_xor_b64 s[4:5], exec, -1
; %bb.3503:
	s_or_b64 exec, exec, s[8:9]
	s_and_b64 s[4:5], s[4:5], exec
	s_or_saveexec_b64 s[6:7], s[6:7]
	v_mov_b32_e32 v10, s10
	s_xor_b64 exec, exec, s[6:7]
	s_cbranch_execz .LBB43_1454
.LBB43_3504:
	v_mov_b32_e32 v10, 0
	v_cmp_ne_u16_sdwa s[8:9], v6, v10 src0_sel:BYTE_0 src1_sel:DWORD
	s_andn2_b64 s[4:5], s[4:5], exec
	s_and_b64 s[8:9], s[8:9], exec
	s_or_b64 s[4:5], s[4:5], s[8:9]
	s_or_b64 exec, exec, s[6:7]
	s_and_saveexec_b64 s[6:7], s[4:5]
	s_cbranch_execnz .LBB43_1455
	s_branch .LBB43_1456
.LBB43_3505:
	s_movk_i32 s4, 0x80
	v_cmp_eq_u16_e32 vcc, s4, v6
	s_mov_b64 s[4:5], -1
                                        ; implicit-def: $sgpr10
	s_and_saveexec_b64 s[8:9], vcc
; %bb.3506:
	s_mov_b32 s10, 0x7f800001
	s_xor_b64 s[4:5], exec, -1
; %bb.3507:
	s_or_b64 exec, exec, s[8:9]
	s_and_b64 s[4:5], s[4:5], exec
                                        ; implicit-def: $vgpr6
	s_or_saveexec_b64 s[6:7], s[6:7]
	v_mov_b32_e32 v2, s10
	s_xor_b64 exec, exec, s[6:7]
	s_cbranch_execz .LBB43_1458
.LBB43_3508:
	v_cmp_ne_u16_e32 vcc, 0, v6
	s_andn2_b64 s[4:5], s[4:5], exec
	s_and_b64 s[8:9], vcc, exec
	v_mov_b32_e32 v2, 0
	s_or_b64 s[4:5], s[4:5], s[8:9]
	s_or_b64 exec, exec, s[6:7]
	s_and_saveexec_b64 s[6:7], s[4:5]
	s_cbranch_execnz .LBB43_1459
	s_branch .LBB43_1460
.LBB43_3509:
	s_movk_i32 s4, 0x80
	v_cmp_eq_u16_e32 vcc, s4, v6
	s_mov_b64 s[4:5], -1
                                        ; implicit-def: $sgpr10
	s_and_saveexec_b64 s[8:9], vcc
; %bb.3510:
	s_mov_b32 s10, 0x7f800001
	s_xor_b64 s[4:5], exec, -1
; %bb.3511:
	s_or_b64 exec, exec, s[8:9]
	s_and_b64 s[4:5], s[4:5], exec
                                        ; implicit-def: $vgpr6
	s_or_saveexec_b64 s[6:7], s[6:7]
	v_mov_b32_e32 v10, s10
	s_xor_b64 exec, exec, s[6:7]
	s_cbranch_execz .LBB43_1462
.LBB43_3512:
	v_cmp_ne_u16_e32 vcc, 0, v6
	s_andn2_b64 s[4:5], s[4:5], exec
	s_and_b64 s[8:9], vcc, exec
	v_mov_b32_e32 v10, 0
	s_or_b64 s[4:5], s[4:5], s[8:9]
	s_or_b64 exec, exec, s[6:7]
	s_and_saveexec_b64 s[6:7], s[4:5]
	s_cbranch_execnz .LBB43_1463
	s_branch .LBB43_1464
.LBB43_3513:
	s_movk_i32 s4, 0x80
	v_cmp_eq_u16_sdwa s[12:13], v7, s4 src0_sel:BYTE_3 src1_sel:DWORD
	s_mov_b64 s[4:5], -1
                                        ; implicit-def: $sgpr10
	s_and_saveexec_b64 s[8:9], s[12:13]
; %bb.3514:
	s_mov_b32 s10, 0x7f800001
	s_xor_b64 s[4:5], exec, -1
; %bb.3515:
	s_or_b64 exec, exec, s[8:9]
	s_and_b64 s[4:5], s[4:5], exec
	s_or_saveexec_b64 s[6:7], s[6:7]
	v_mov_b32_e32 v2, s10
	s_xor_b64 exec, exec, s[6:7]
	s_cbranch_execz .LBB43_1466
.LBB43_3516:
	v_mov_b32_e32 v2, 0
	v_cmp_ne_u16_sdwa s[8:9], v7, v2 src0_sel:BYTE_3 src1_sel:DWORD
	s_andn2_b64 s[4:5], s[4:5], exec
	s_and_b64 s[8:9], s[8:9], exec
	s_or_b64 s[4:5], s[4:5], s[8:9]
	s_or_b64 exec, exec, s[6:7]
	s_and_saveexec_b64 s[6:7], s[4:5]
	s_cbranch_execnz .LBB43_1467
	s_branch .LBB43_1468
.LBB43_3517:
	s_movk_i32 s4, 0x80
	v_cmp_eq_u16_sdwa s[12:13], v3, s4 src0_sel:BYTE_3 src1_sel:DWORD
	s_mov_b64 s[4:5], -1
                                        ; implicit-def: $sgpr10
	s_and_saveexec_b64 s[8:9], s[12:13]
; %bb.3518:
	s_mov_b32 s10, 0x7f800001
	s_xor_b64 s[4:5], exec, -1
; %bb.3519:
	s_or_b64 exec, exec, s[8:9]
	s_and_b64 s[4:5], s[4:5], exec
	s_or_saveexec_b64 s[6:7], s[6:7]
	v_mov_b32_e32 v6, s10
	s_xor_b64 exec, exec, s[6:7]
	s_cbranch_execz .LBB43_1470
.LBB43_3520:
	v_mov_b32_e32 v6, 0
	v_cmp_ne_u16_sdwa s[8:9], v3, v6 src0_sel:BYTE_3 src1_sel:DWORD
	s_andn2_b64 s[4:5], s[4:5], exec
	s_and_b64 s[8:9], s[8:9], exec
	s_or_b64 s[4:5], s[4:5], s[8:9]
	s_or_b64 exec, exec, s[6:7]
	s_and_saveexec_b64 s[6:7], s[4:5]
	s_cbranch_execnz .LBB43_1471
	s_branch .LBB43_1472
.LBB43_3521:
	s_movk_i32 s4, 0x80
	v_cmp_eq_u16_sdwa s[12:13], v8, s4 src0_sel:BYTE_0 src1_sel:DWORD
	s_mov_b64 s[4:5], -1
                                        ; implicit-def: $sgpr10
	s_and_saveexec_b64 s[8:9], s[12:13]
; %bb.3522:
	s_mov_b32 s10, 0x7f800001
	s_xor_b64 s[4:5], exec, -1
; %bb.3523:
	s_or_b64 exec, exec, s[8:9]
	s_and_b64 s[4:5], s[4:5], exec
	s_or_saveexec_b64 s[6:7], s[6:7]
	v_mov_b32_e32 v2, s10
	s_xor_b64 exec, exec, s[6:7]
	s_cbranch_execz .LBB43_1474
.LBB43_3524:
	v_mov_b32_e32 v2, 0
	v_cmp_ne_u16_sdwa s[8:9], v8, v2 src0_sel:BYTE_0 src1_sel:DWORD
	s_andn2_b64 s[4:5], s[4:5], exec
	s_and_b64 s[8:9], s[8:9], exec
	s_or_b64 s[4:5], s[4:5], s[8:9]
	s_or_b64 exec, exec, s[6:7]
	s_and_saveexec_b64 s[6:7], s[4:5]
	s_cbranch_execnz .LBB43_1475
	s_branch .LBB43_1476
.LBB43_3525:
	s_movk_i32 s4, 0x80
	v_cmp_eq_u16_sdwa s[12:13], v4, s4 src0_sel:BYTE_0 src1_sel:DWORD
	s_mov_b64 s[4:5], -1
                                        ; implicit-def: $sgpr10
	s_and_saveexec_b64 s[8:9], s[12:13]
; %bb.3526:
	s_mov_b32 s10, 0x7f800001
	s_xor_b64 s[4:5], exec, -1
; %bb.3527:
	s_or_b64 exec, exec, s[8:9]
	s_and_b64 s[4:5], s[4:5], exec
	s_or_saveexec_b64 s[6:7], s[6:7]
	v_mov_b32_e32 v3, s10
	s_xor_b64 exec, exec, s[6:7]
	s_cbranch_execz .LBB43_1478
.LBB43_3528:
	v_mov_b32_e32 v3, 0
	v_cmp_ne_u16_sdwa s[8:9], v4, v3 src0_sel:BYTE_0 src1_sel:DWORD
	s_andn2_b64 s[4:5], s[4:5], exec
	s_and_b64 s[8:9], s[8:9], exec
	s_or_b64 s[4:5], s[4:5], s[8:9]
	s_or_b64 exec, exec, s[6:7]
	s_and_saveexec_b64 s[6:7], s[4:5]
	s_cbranch_execnz .LBB43_1479
	s_branch .LBB43_1480
.LBB43_3529:
	s_movk_i32 s4, 0x80
	v_cmp_eq_u16_sdwa s[12:13], v3, s4 src0_sel:BYTE_0 src1_sel:DWORD
	s_mov_b64 s[4:5], -1
                                        ; implicit-def: $sgpr10
	s_and_saveexec_b64 s[8:9], s[12:13]
; %bb.3530:
	s_mov_b32 s10, 0x7f800001
	s_xor_b64 s[4:5], exec, -1
; %bb.3531:
	s_or_b64 exec, exec, s[8:9]
	s_and_b64 s[4:5], s[4:5], exec
	s_or_saveexec_b64 s[6:7], s[6:7]
	v_mov_b32_e32 v2, s10
	s_xor_b64 exec, exec, s[6:7]
	s_cbranch_execz .LBB43_1482
.LBB43_3532:
	v_mov_b32_e32 v2, 0
	v_cmp_ne_u16_sdwa s[8:9], v3, v2 src0_sel:BYTE_0 src1_sel:DWORD
	s_andn2_b64 s[4:5], s[4:5], exec
	s_and_b64 s[8:9], s[8:9], exec
	s_or_b64 s[4:5], s[4:5], s[8:9]
	s_or_b64 exec, exec, s[6:7]
	s_and_saveexec_b64 s[6:7], s[4:5]
	s_cbranch_execnz .LBB43_1483
	s_branch .LBB43_1484
.LBB43_3533:
	s_movk_i32 s4, 0x80
	v_cmp_eq_u16_sdwa s[12:13], v3, s4 src0_sel:BYTE_0 src1_sel:DWORD
	s_mov_b64 s[4:5], -1
                                        ; implicit-def: $sgpr10
	s_and_saveexec_b64 s[8:9], s[12:13]
; %bb.3534:
	s_mov_b32 s10, 0x7f800001
	s_xor_b64 s[4:5], exec, -1
; %bb.3535:
	s_or_b64 exec, exec, s[8:9]
	s_and_b64 s[4:5], s[4:5], exec
	s_or_saveexec_b64 s[6:7], s[6:7]
	v_mov_b32_e32 v6, s10
	s_xor_b64 exec, exec, s[6:7]
	s_cbranch_execz .LBB43_1486
.LBB43_3536:
	v_mov_b32_e32 v6, 0
	v_cmp_ne_u16_sdwa s[8:9], v3, v6 src0_sel:BYTE_0 src1_sel:DWORD
	s_andn2_b64 s[4:5], s[4:5], exec
	s_and_b64 s[8:9], s[8:9], exec
	s_or_b64 s[4:5], s[4:5], s[8:9]
	s_or_b64 exec, exec, s[6:7]
	s_and_saveexec_b64 s[6:7], s[4:5]
	s_cbranch_execnz .LBB43_1487
	s_branch .LBB43_1488
.LBB43_3537:
	s_movk_i32 s4, 0x80
	v_cmp_eq_u16_e32 vcc, s4, v3
	s_mov_b64 s[4:5], -1
                                        ; implicit-def: $sgpr10
	s_and_saveexec_b64 s[8:9], vcc
; %bb.3538:
	s_mov_b32 s10, 0x7f800001
	s_xor_b64 s[4:5], exec, -1
; %bb.3539:
	s_or_b64 exec, exec, s[8:9]
	s_and_b64 s[4:5], s[4:5], exec
                                        ; implicit-def: $vgpr3
	s_or_saveexec_b64 s[6:7], s[6:7]
	v_mov_b32_e32 v2, s10
	s_xor_b64 exec, exec, s[6:7]
	s_cbranch_execz .LBB43_1490
.LBB43_3540:
	v_cmp_ne_u16_e32 vcc, 0, v3
	s_andn2_b64 s[4:5], s[4:5], exec
	s_and_b64 s[8:9], vcc, exec
	v_mov_b32_e32 v2, 0
	s_or_b64 s[4:5], s[4:5], s[8:9]
	s_or_b64 exec, exec, s[6:7]
	s_and_saveexec_b64 s[6:7], s[4:5]
	s_cbranch_execnz .LBB43_1491
	s_branch .LBB43_1492
.LBB43_3541:
	s_movk_i32 s4, 0x80
	v_cmp_eq_u16_e32 vcc, s4, v3
	s_mov_b64 s[4:5], -1
                                        ; implicit-def: $sgpr10
	s_and_saveexec_b64 s[8:9], vcc
; %bb.3542:
	s_mov_b32 s10, 0x7f800001
	s_xor_b64 s[4:5], exec, -1
; %bb.3543:
	s_or_b64 exec, exec, s[8:9]
	s_and_b64 s[4:5], s[4:5], exec
                                        ; implicit-def: $vgpr3
	s_or_saveexec_b64 s[6:7], s[6:7]
	v_mov_b32_e32 v6, s10
	s_xor_b64 exec, exec, s[6:7]
	s_cbranch_execz .LBB43_1494
.LBB43_3544:
	v_cmp_ne_u16_e32 vcc, 0, v3
	s_andn2_b64 s[4:5], s[4:5], exec
	s_and_b64 s[8:9], vcc, exec
	v_mov_b32_e32 v6, 0
	s_or_b64 s[4:5], s[4:5], s[8:9]
	s_or_b64 exec, exec, s[6:7]
	s_and_saveexec_b64 s[6:7], s[4:5]
	s_cbranch_execnz .LBB43_1495
	s_branch .LBB43_1496
.LBB43_3545:
	s_movk_i32 s4, 0x80
	v_cmp_eq_u16_sdwa s[12:13], v8, s4 src0_sel:BYTE_3 src1_sel:DWORD
	s_mov_b64 s[4:5], -1
                                        ; implicit-def: $sgpr10
	s_and_saveexec_b64 s[8:9], s[12:13]
; %bb.3546:
	s_mov_b32 s10, 0x7f800001
	s_xor_b64 s[4:5], exec, -1
; %bb.3547:
	s_or_b64 exec, exec, s[8:9]
	s_and_b64 s[4:5], s[4:5], exec
	s_or_saveexec_b64 s[6:7], s[6:7]
	v_mov_b32_e32 v2, s10
	s_xor_b64 exec, exec, s[6:7]
	s_cbranch_execz .LBB43_1498
.LBB43_3548:
	v_mov_b32_e32 v2, 0
	v_cmp_ne_u16_sdwa s[8:9], v8, v2 src0_sel:BYTE_3 src1_sel:DWORD
	s_andn2_b64 s[4:5], s[4:5], exec
	s_and_b64 s[8:9], s[8:9], exec
	s_or_b64 s[4:5], s[4:5], s[8:9]
	s_or_b64 exec, exec, s[6:7]
	s_and_saveexec_b64 s[6:7], s[4:5]
	s_cbranch_execnz .LBB43_1499
	s_branch .LBB43_1500
.LBB43_3549:
	s_movk_i32 s4, 0x80
	v_cmp_eq_u16_sdwa s[12:13], v4, s4 src0_sel:BYTE_3 src1_sel:DWORD
	s_mov_b64 s[4:5], -1
                                        ; implicit-def: $sgpr10
	s_and_saveexec_b64 s[8:9], s[12:13]
; %bb.3550:
	s_mov_b32 s10, 0x7f800001
	s_xor_b64 s[4:5], exec, -1
; %bb.3551:
	s_or_b64 exec, exec, s[8:9]
	s_and_b64 s[4:5], s[4:5], exec
	s_or_saveexec_b64 s[6:7], s[6:7]
	v_mov_b32_e32 v3, s10
	s_xor_b64 exec, exec, s[6:7]
	s_cbranch_execz .LBB43_1502
.LBB43_3552:
	v_mov_b32_e32 v3, 0
	v_cmp_ne_u16_sdwa s[8:9], v4, v3 src0_sel:BYTE_3 src1_sel:DWORD
	s_andn2_b64 s[4:5], s[4:5], exec
	s_and_b64 s[8:9], s[8:9], exec
	s_or_b64 s[4:5], s[4:5], s[8:9]
	s_or_b64 exec, exec, s[6:7]
	s_and_saveexec_b64 s[6:7], s[4:5]
	s_cbranch_execnz .LBB43_1503
	s_branch .LBB43_1504
.LBB43_3553:
	s_movk_i32 s4, 0x80
	v_cmp_eq_u16_sdwa s[12:13], v9, s4 src0_sel:BYTE_0 src1_sel:DWORD
	s_mov_b64 s[4:5], -1
                                        ; implicit-def: $sgpr10
	s_and_saveexec_b64 s[8:9], s[12:13]
; %bb.3554:
	s_mov_b32 s10, 0x7f800001
	s_xor_b64 s[4:5], exec, -1
; %bb.3555:
	s_or_b64 exec, exec, s[8:9]
	s_and_b64 s[4:5], s[4:5], exec
	s_or_saveexec_b64 s[6:7], s[6:7]
	v_mov_b32_e32 v2, s10
	s_xor_b64 exec, exec, s[6:7]
	s_cbranch_execz .LBB43_1506
.LBB43_3556:
	v_mov_b32_e32 v2, 0
	v_cmp_ne_u16_sdwa s[8:9], v9, v2 src0_sel:BYTE_0 src1_sel:DWORD
	s_andn2_b64 s[4:5], s[4:5], exec
	s_and_b64 s[8:9], s[8:9], exec
	s_or_b64 s[4:5], s[4:5], s[8:9]
	s_or_b64 exec, exec, s[6:7]
	s_and_saveexec_b64 s[6:7], s[4:5]
	s_cbranch_execnz .LBB43_1507
	s_branch .LBB43_1508
.LBB43_3557:
	s_movk_i32 s4, 0x80
	v_cmp_eq_u16_sdwa s[12:13], v5, s4 src0_sel:BYTE_0 src1_sel:DWORD
	s_mov_b64 s[4:5], -1
                                        ; implicit-def: $sgpr10
	s_and_saveexec_b64 s[8:9], s[12:13]
; %bb.3558:
	s_mov_b32 s10, 0x7f800001
	s_xor_b64 s[4:5], exec, -1
; %bb.3559:
	s_or_b64 exec, exec, s[8:9]
	s_and_b64 s[4:5], s[4:5], exec
	s_or_saveexec_b64 s[6:7], s[6:7]
	v_mov_b32_e32 v3, s10
	s_xor_b64 exec, exec, s[6:7]
	s_cbranch_execz .LBB43_1510
.LBB43_3560:
	v_mov_b32_e32 v3, 0
	v_cmp_ne_u16_sdwa s[8:9], v5, v3 src0_sel:BYTE_0 src1_sel:DWORD
	s_andn2_b64 s[4:5], s[4:5], exec
	s_and_b64 s[8:9], s[8:9], exec
	s_or_b64 s[4:5], s[4:5], s[8:9]
	s_or_b64 exec, exec, s[6:7]
	s_and_saveexec_b64 s[6:7], s[4:5]
	s_cbranch_execnz .LBB43_1511
	s_branch .LBB43_1512
.LBB43_3561:
	s_movk_i32 s4, 0x80
	v_cmp_eq_u16_sdwa s[12:13], v3, s4 src0_sel:BYTE_0 src1_sel:DWORD
	s_mov_b64 s[4:5], -1
                                        ; implicit-def: $sgpr10
	s_and_saveexec_b64 s[8:9], s[12:13]
; %bb.3562:
	s_mov_b32 s10, 0x7f800001
	s_xor_b64 s[4:5], exec, -1
; %bb.3563:
	s_or_b64 exec, exec, s[8:9]
	s_and_b64 s[4:5], s[4:5], exec
	s_or_saveexec_b64 s[6:7], s[6:7]
	v_mov_b32_e32 v2, s10
	s_xor_b64 exec, exec, s[6:7]
	s_cbranch_execz .LBB43_1514
.LBB43_3564:
	v_mov_b32_e32 v2, 0
	v_cmp_ne_u16_sdwa s[8:9], v3, v2 src0_sel:BYTE_0 src1_sel:DWORD
	s_andn2_b64 s[4:5], s[4:5], exec
	s_and_b64 s[8:9], s[8:9], exec
	s_or_b64 s[4:5], s[4:5], s[8:9]
	s_or_b64 exec, exec, s[6:7]
	s_and_saveexec_b64 s[6:7], s[4:5]
	s_cbranch_execnz .LBB43_1515
	s_branch .LBB43_1516
.LBB43_3565:
	s_movk_i32 s4, 0x80
	v_cmp_eq_u16_sdwa s[12:13], v3, s4 src0_sel:BYTE_0 src1_sel:DWORD
	s_mov_b64 s[4:5], -1
                                        ; implicit-def: $sgpr10
	s_and_saveexec_b64 s[8:9], s[12:13]
; %bb.3566:
	s_mov_b32 s10, 0x7f800001
	s_xor_b64 s[4:5], exec, -1
; %bb.3567:
	s_or_b64 exec, exec, s[8:9]
	s_and_b64 s[4:5], s[4:5], exec
	s_or_saveexec_b64 s[6:7], s[6:7]
	v_mov_b32_e32 v4, s10
	s_xor_b64 exec, exec, s[6:7]
	s_cbranch_execz .LBB43_1518
.LBB43_3568:
	v_mov_b32_e32 v4, 0
	v_cmp_ne_u16_sdwa s[8:9], v3, v4 src0_sel:BYTE_0 src1_sel:DWORD
	s_andn2_b64 s[4:5], s[4:5], exec
	s_and_b64 s[8:9], s[8:9], exec
	s_or_b64 s[4:5], s[4:5], s[8:9]
	s_or_b64 exec, exec, s[6:7]
	s_and_saveexec_b64 s[6:7], s[4:5]
	s_cbranch_execnz .LBB43_1519
	s_branch .LBB43_1520
.LBB43_3569:
	s_movk_i32 s4, 0x80
	v_cmp_eq_u16_e32 vcc, s4, v3
	s_mov_b64 s[4:5], -1
                                        ; implicit-def: $sgpr10
	s_and_saveexec_b64 s[8:9], vcc
; %bb.3570:
	s_mov_b32 s10, 0x7f800001
	s_xor_b64 s[4:5], exec, -1
; %bb.3571:
	s_or_b64 exec, exec, s[8:9]
	s_and_b64 s[4:5], s[4:5], exec
                                        ; implicit-def: $vgpr3
	s_or_saveexec_b64 s[6:7], s[6:7]
	v_mov_b32_e32 v2, s10
	s_xor_b64 exec, exec, s[6:7]
	s_cbranch_execz .LBB43_1522
.LBB43_3572:
	v_cmp_ne_u16_e32 vcc, 0, v3
	s_andn2_b64 s[4:5], s[4:5], exec
	s_and_b64 s[8:9], vcc, exec
	v_mov_b32_e32 v2, 0
	s_or_b64 s[4:5], s[4:5], s[8:9]
	s_or_b64 exec, exec, s[6:7]
	s_and_saveexec_b64 s[6:7], s[4:5]
	s_cbranch_execnz .LBB43_1523
	s_branch .LBB43_1524
.LBB43_3573:
	s_movk_i32 s4, 0x80
	v_cmp_eq_u16_e32 vcc, s4, v3
	s_mov_b64 s[4:5], -1
                                        ; implicit-def: $sgpr10
	s_and_saveexec_b64 s[8:9], vcc
; %bb.3574:
	s_mov_b32 s10, 0x7f800001
	s_xor_b64 s[4:5], exec, -1
; %bb.3575:
	s_or_b64 exec, exec, s[8:9]
	s_and_b64 s[4:5], s[4:5], exec
                                        ; implicit-def: $vgpr3
	s_or_saveexec_b64 s[6:7], s[6:7]
	v_mov_b32_e32 v4, s10
	s_xor_b64 exec, exec, s[6:7]
	s_cbranch_execz .LBB43_1526
.LBB43_3576:
	v_cmp_ne_u16_e32 vcc, 0, v3
	s_andn2_b64 s[4:5], s[4:5], exec
	s_and_b64 s[8:9], vcc, exec
	v_mov_b32_e32 v4, 0
	s_or_b64 s[4:5], s[4:5], s[8:9]
	s_or_b64 exec, exec, s[6:7]
	s_and_saveexec_b64 s[6:7], s[4:5]
	s_cbranch_execnz .LBB43_1527
	s_branch .LBB43_1528
.LBB43_3577:
	s_movk_i32 s4, 0x80
	v_cmp_eq_u16_sdwa s[12:13], v9, s4 src0_sel:BYTE_3 src1_sel:DWORD
	s_mov_b64 s[4:5], -1
                                        ; implicit-def: $sgpr10
	s_and_saveexec_b64 s[8:9], s[12:13]
; %bb.3578:
	s_mov_b32 s10, 0x7f800001
	s_xor_b64 s[4:5], exec, -1
; %bb.3579:
	s_or_b64 exec, exec, s[8:9]
	s_and_b64 s[4:5], s[4:5], exec
	s_or_saveexec_b64 s[6:7], s[6:7]
	v_mov_b32_e32 v2, s10
	s_xor_b64 exec, exec, s[6:7]
	s_cbranch_execz .LBB43_1530
.LBB43_3580:
	v_mov_b32_e32 v2, 0
	v_cmp_ne_u16_sdwa s[8:9], v9, v2 src0_sel:BYTE_3 src1_sel:DWORD
	s_andn2_b64 s[4:5], s[4:5], exec
	s_and_b64 s[8:9], s[8:9], exec
	s_or_b64 s[4:5], s[4:5], s[8:9]
	s_or_b64 exec, exec, s[6:7]
	s_and_saveexec_b64 s[6:7], s[4:5]
	s_cbranch_execnz .LBB43_1531
	s_branch .LBB43_1532
.LBB43_3581:
	s_movk_i32 s4, 0x80
	v_cmp_eq_u16_sdwa s[12:13], v5, s4 src0_sel:BYTE_3 src1_sel:DWORD
	s_mov_b64 s[4:5], -1
                                        ; implicit-def: $sgpr10
	s_and_saveexec_b64 s[8:9], s[12:13]
; %bb.3582:
	s_mov_b32 s10, 0x7f800001
	s_xor_b64 s[4:5], exec, -1
; %bb.3583:
	s_or_b64 exec, exec, s[8:9]
	s_and_b64 s[4:5], s[4:5], exec
	s_or_saveexec_b64 s[6:7], s[6:7]
	v_mov_b32_e32 v3, s10
	s_xor_b64 exec, exec, s[6:7]
	s_cbranch_execz .LBB43_1534
.LBB43_3584:
	v_mov_b32_e32 v3, 0
	v_cmp_ne_u16_sdwa s[8:9], v5, v3 src0_sel:BYTE_3 src1_sel:DWORD
	s_andn2_b64 s[4:5], s[4:5], exec
	s_and_b64 s[8:9], s[8:9], exec
	s_or_b64 s[4:5], s[4:5], s[8:9]
	s_or_b64 exec, exec, s[6:7]
	s_and_saveexec_b64 s[6:7], s[4:5]
	s_cbranch_execnz .LBB43_1535
	s_branch .LBB43_1536
.LBB43_3585:
	s_movk_i32 s4, 0x80
	v_cmp_eq_u16_sdwa s[12:13], v14, s4 src0_sel:BYTE_0 src1_sel:DWORD
	s_mov_b64 s[4:5], -1
                                        ; implicit-def: $sgpr10
	s_and_saveexec_b64 s[8:9], s[12:13]
; %bb.3586:
	s_mov_b32 s10, 0x7f800001
	s_xor_b64 s[4:5], exec, -1
; %bb.3587:
	s_or_b64 exec, exec, s[8:9]
	s_and_b64 s[4:5], s[4:5], exec
	s_or_saveexec_b64 s[6:7], s[6:7]
	v_mov_b32_e32 v20, s10
	s_xor_b64 exec, exec, s[6:7]
	s_cbranch_execz .LBB43_1538
.LBB43_3588:
	v_mov_b32_e32 v20, 0
	v_cmp_ne_u16_sdwa s[8:9], v14, v20 src0_sel:BYTE_0 src1_sel:DWORD
	s_andn2_b64 s[4:5], s[4:5], exec
	s_and_b64 s[8:9], s[8:9], exec
	s_or_b64 s[4:5], s[4:5], s[8:9]
	s_or_b64 exec, exec, s[6:7]
	s_and_saveexec_b64 s[6:7], s[4:5]
	s_cbranch_execnz .LBB43_1539
	s_branch .LBB43_1540
.LBB43_3589:
	s_movk_i32 s4, 0x80
	v_cmp_eq_u16_sdwa s[12:13], v10, s4 src0_sel:BYTE_0 src1_sel:DWORD
	s_mov_b64 s[4:5], -1
                                        ; implicit-def: $sgpr10
	s_and_saveexec_b64 s[8:9], s[12:13]
; %bb.3590:
	s_mov_b32 s10, 0x7f800001
	s_xor_b64 s[4:5], exec, -1
; %bb.3591:
	s_or_b64 exec, exec, s[8:9]
	s_and_b64 s[4:5], s[4:5], exec
	s_or_saveexec_b64 s[6:7], s[6:7]
	v_mov_b32_e32 v21, s10
	s_xor_b64 exec, exec, s[6:7]
	s_cbranch_execz .LBB43_1542
.LBB43_3592:
	v_mov_b32_e32 v21, 0
	v_cmp_ne_u16_sdwa s[8:9], v10, v21 src0_sel:BYTE_0 src1_sel:DWORD
	s_andn2_b64 s[4:5], s[4:5], exec
	s_and_b64 s[8:9], s[8:9], exec
	s_or_b64 s[4:5], s[4:5], s[8:9]
	s_or_b64 exec, exec, s[6:7]
	s_and_saveexec_b64 s[6:7], s[4:5]
	s_cbranch_execnz .LBB43_1543
	s_branch .LBB43_1544
.LBB43_3593:
	s_movk_i32 s4, 0x80
	v_cmp_eq_u16_sdwa s[12:13], v21, s4 src0_sel:BYTE_0 src1_sel:DWORD
	s_mov_b64 s[4:5], -1
                                        ; implicit-def: $sgpr10
	s_and_saveexec_b64 s[8:9], s[12:13]
; %bb.3594:
	s_mov_b32 s10, 0x7f800001
	s_xor_b64 s[4:5], exec, -1
; %bb.3595:
	s_or_b64 exec, exec, s[8:9]
	s_and_b64 s[4:5], s[4:5], exec
	s_or_saveexec_b64 s[6:7], s[6:7]
	v_mov_b32_e32 v20, s10
	s_xor_b64 exec, exec, s[6:7]
	s_cbranch_execz .LBB43_1546
.LBB43_3596:
	v_mov_b32_e32 v20, 0
	v_cmp_ne_u16_sdwa s[8:9], v21, v20 src0_sel:BYTE_0 src1_sel:DWORD
	s_andn2_b64 s[4:5], s[4:5], exec
	s_and_b64 s[8:9], s[8:9], exec
	s_or_b64 s[4:5], s[4:5], s[8:9]
	s_or_b64 exec, exec, s[6:7]
	s_and_saveexec_b64 s[6:7], s[4:5]
	s_cbranch_execnz .LBB43_1547
	s_branch .LBB43_1548
.LBB43_3597:
	s_movk_i32 s4, 0x80
	v_cmp_eq_u16_sdwa s[12:13], v21, s4 src0_sel:BYTE_0 src1_sel:DWORD
	s_mov_b64 s[4:5], -1
                                        ; implicit-def: $sgpr10
	s_and_saveexec_b64 s[8:9], s[12:13]
; %bb.3598:
	s_mov_b32 s10, 0x7f800001
	s_xor_b64 s[4:5], exec, -1
; %bb.3599:
	s_or_b64 exec, exec, s[8:9]
	s_and_b64 s[4:5], s[4:5], exec
	s_or_saveexec_b64 s[6:7], s[6:7]
	v_mov_b32_e32 v22, s10
	s_xor_b64 exec, exec, s[6:7]
	s_cbranch_execz .LBB43_1550
.LBB43_3600:
	v_mov_b32_e32 v22, 0
	v_cmp_ne_u16_sdwa s[8:9], v21, v22 src0_sel:BYTE_0 src1_sel:DWORD
	s_andn2_b64 s[4:5], s[4:5], exec
	s_and_b64 s[8:9], s[8:9], exec
	s_or_b64 s[4:5], s[4:5], s[8:9]
	s_or_b64 exec, exec, s[6:7]
	s_and_saveexec_b64 s[6:7], s[4:5]
	s_cbranch_execnz .LBB43_1551
	s_branch .LBB43_1552
.LBB43_3601:
	s_movk_i32 s4, 0x80
	v_cmp_eq_u16_e32 vcc, s4, v21
	s_mov_b64 s[4:5], -1
                                        ; implicit-def: $sgpr10
	s_and_saveexec_b64 s[8:9], vcc
; %bb.3602:
	s_mov_b32 s10, 0x7f800001
	s_xor_b64 s[4:5], exec, -1
; %bb.3603:
	s_or_b64 exec, exec, s[8:9]
	s_and_b64 s[4:5], s[4:5], exec
                                        ; implicit-def: $vgpr21
	s_or_saveexec_b64 s[6:7], s[6:7]
	v_mov_b32_e32 v20, s10
	s_xor_b64 exec, exec, s[6:7]
	s_cbranch_execz .LBB43_1554
.LBB43_3604:
	v_cmp_ne_u16_e32 vcc, 0, v21
	s_andn2_b64 s[4:5], s[4:5], exec
	s_and_b64 s[8:9], vcc, exec
	v_mov_b32_e32 v20, 0
	s_or_b64 s[4:5], s[4:5], s[8:9]
	s_or_b64 exec, exec, s[6:7]
	s_and_saveexec_b64 s[6:7], s[4:5]
	s_cbranch_execnz .LBB43_1555
	s_branch .LBB43_1556
.LBB43_3605:
	s_movk_i32 s4, 0x80
	v_cmp_eq_u16_e32 vcc, s4, v21
	s_mov_b64 s[4:5], -1
                                        ; implicit-def: $sgpr10
	s_and_saveexec_b64 s[8:9], vcc
; %bb.3606:
	s_mov_b32 s10, 0x7f800001
	s_xor_b64 s[4:5], exec, -1
; %bb.3607:
	s_or_b64 exec, exec, s[8:9]
	s_and_b64 s[4:5], s[4:5], exec
                                        ; implicit-def: $vgpr21
	s_or_saveexec_b64 s[6:7], s[6:7]
	v_mov_b32_e32 v22, s10
	s_xor_b64 exec, exec, s[6:7]
	s_cbranch_execz .LBB43_1558
.LBB43_3608:
	v_cmp_ne_u16_e32 vcc, 0, v21
	s_andn2_b64 s[4:5], s[4:5], exec
	s_and_b64 s[8:9], vcc, exec
	v_mov_b32_e32 v22, 0
	s_or_b64 s[4:5], s[4:5], s[8:9]
	s_or_b64 exec, exec, s[6:7]
	s_and_saveexec_b64 s[6:7], s[4:5]
	s_cbranch_execnz .LBB43_1559
	s_branch .LBB43_1560
.LBB43_3609:
	s_movk_i32 s4, 0x80
	v_cmp_eq_u16_sdwa s[12:13], v14, s4 src0_sel:BYTE_3 src1_sel:DWORD
	s_mov_b64 s[4:5], -1
                                        ; implicit-def: $sgpr10
	s_and_saveexec_b64 s[8:9], s[12:13]
; %bb.3610:
	s_mov_b32 s10, 0x7f800001
	s_xor_b64 s[4:5], exec, -1
; %bb.3611:
	s_or_b64 exec, exec, s[8:9]
	s_and_b64 s[4:5], s[4:5], exec
	s_or_saveexec_b64 s[6:7], s[6:7]
	v_mov_b32_e32 v20, s10
	s_xor_b64 exec, exec, s[6:7]
	s_cbranch_execz .LBB43_1562
.LBB43_3612:
	v_mov_b32_e32 v20, 0
	v_cmp_ne_u16_sdwa s[8:9], v14, v20 src0_sel:BYTE_3 src1_sel:DWORD
	s_andn2_b64 s[4:5], s[4:5], exec
	s_and_b64 s[8:9], s[8:9], exec
	s_or_b64 s[4:5], s[4:5], s[8:9]
	s_or_b64 exec, exec, s[6:7]
	s_and_saveexec_b64 s[6:7], s[4:5]
	s_cbranch_execnz .LBB43_1563
	s_branch .LBB43_1564
.LBB43_3613:
	s_movk_i32 s4, 0x80
	v_cmp_eq_u16_sdwa s[12:13], v10, s4 src0_sel:BYTE_3 src1_sel:DWORD
	s_mov_b64 s[4:5], -1
                                        ; implicit-def: $sgpr10
	s_and_saveexec_b64 s[8:9], s[12:13]
; %bb.3614:
	s_mov_b32 s10, 0x7f800001
	s_xor_b64 s[4:5], exec, -1
; %bb.3615:
	s_or_b64 exec, exec, s[8:9]
	s_and_b64 s[4:5], s[4:5], exec
	s_or_saveexec_b64 s[6:7], s[6:7]
	v_mov_b32_e32 v14, s10
	s_xor_b64 exec, exec, s[6:7]
	s_cbranch_execz .LBB43_1566
.LBB43_3616:
	v_mov_b32_e32 v14, 0
	v_cmp_ne_u16_sdwa s[8:9], v10, v14 src0_sel:BYTE_3 src1_sel:DWORD
	s_andn2_b64 s[4:5], s[4:5], exec
	s_and_b64 s[8:9], s[8:9], exec
	s_or_b64 s[4:5], s[4:5], s[8:9]
	s_or_b64 exec, exec, s[6:7]
	s_and_saveexec_b64 s[6:7], s[4:5]
	s_cbranch_execnz .LBB43_1567
	s_branch .LBB43_1568
.LBB43_3617:
	s_movk_i32 s4, 0x80
	v_cmp_eq_u16_sdwa s[12:13], v15, s4 src0_sel:BYTE_0 src1_sel:DWORD
	s_mov_b64 s[4:5], -1
                                        ; implicit-def: $sgpr10
	s_and_saveexec_b64 s[8:9], s[12:13]
; %bb.3618:
	s_mov_b32 s10, 0x7f800001
	s_xor_b64 s[4:5], exec, -1
; %bb.3619:
	s_or_b64 exec, exec, s[8:9]
	s_and_b64 s[4:5], s[4:5], exec
	s_or_saveexec_b64 s[6:7], s[6:7]
	v_mov_b32_e32 v10, s10
	s_xor_b64 exec, exec, s[6:7]
	s_cbranch_execz .LBB43_1570
.LBB43_3620:
	v_mov_b32_e32 v10, 0
	v_cmp_ne_u16_sdwa s[8:9], v15, v10 src0_sel:BYTE_0 src1_sel:DWORD
	s_andn2_b64 s[4:5], s[4:5], exec
	s_and_b64 s[8:9], s[8:9], exec
	s_or_b64 s[4:5], s[4:5], s[8:9]
	s_or_b64 exec, exec, s[6:7]
	s_and_saveexec_b64 s[6:7], s[4:5]
	s_cbranch_execnz .LBB43_1571
	s_branch .LBB43_1572
.LBB43_3621:
	s_movk_i32 s4, 0x80
	v_cmp_eq_u16_sdwa s[12:13], v11, s4 src0_sel:BYTE_0 src1_sel:DWORD
	s_mov_b64 s[4:5], -1
                                        ; implicit-def: $sgpr10
	s_and_saveexec_b64 s[8:9], s[12:13]
; %bb.3622:
	s_mov_b32 s10, 0x7f800001
	s_xor_b64 s[4:5], exec, -1
; %bb.3623:
	s_or_b64 exec, exec, s[8:9]
	s_and_b64 s[4:5], s[4:5], exec
	s_or_saveexec_b64 s[6:7], s[6:7]
	v_mov_b32_e32 v14, s10
	s_xor_b64 exec, exec, s[6:7]
	s_cbranch_execz .LBB43_1574
.LBB43_3624:
	v_mov_b32_e32 v14, 0
	v_cmp_ne_u16_sdwa s[8:9], v11, v14 src0_sel:BYTE_0 src1_sel:DWORD
	s_andn2_b64 s[4:5], s[4:5], exec
	s_and_b64 s[8:9], s[8:9], exec
	s_or_b64 s[4:5], s[4:5], s[8:9]
	s_or_b64 exec, exec, s[6:7]
	s_and_saveexec_b64 s[6:7], s[4:5]
	s_cbranch_execnz .LBB43_1575
	s_branch .LBB43_1576
.LBB43_3625:
	s_movk_i32 s4, 0x80
	v_cmp_eq_u16_sdwa s[12:13], v14, s4 src0_sel:BYTE_0 src1_sel:DWORD
	s_mov_b64 s[4:5], -1
                                        ; implicit-def: $sgpr10
	s_and_saveexec_b64 s[8:9], s[12:13]
; %bb.3626:
	s_mov_b32 s10, 0x7f800001
	s_xor_b64 s[4:5], exec, -1
; %bb.3627:
	s_or_b64 exec, exec, s[8:9]
	s_and_b64 s[4:5], s[4:5], exec
	s_or_saveexec_b64 s[6:7], s[6:7]
	v_mov_b32_e32 v10, s10
	s_xor_b64 exec, exec, s[6:7]
	s_cbranch_execz .LBB43_1578
.LBB43_3628:
	v_mov_b32_e32 v10, 0
	v_cmp_ne_u16_sdwa s[8:9], v14, v10 src0_sel:BYTE_0 src1_sel:DWORD
	s_andn2_b64 s[4:5], s[4:5], exec
	s_and_b64 s[8:9], s[8:9], exec
	s_or_b64 s[4:5], s[4:5], s[8:9]
	s_or_b64 exec, exec, s[6:7]
	s_and_saveexec_b64 s[6:7], s[4:5]
	s_cbranch_execnz .LBB43_1579
	s_branch .LBB43_1580
.LBB43_3629:
	s_movk_i32 s4, 0x80
	v_cmp_eq_u16_sdwa s[12:13], v14, s4 src0_sel:BYTE_0 src1_sel:DWORD
	s_mov_b64 s[4:5], -1
                                        ; implicit-def: $sgpr10
	s_and_saveexec_b64 s[8:9], s[12:13]
; %bb.3630:
	s_mov_b32 s10, 0x7f800001
	s_xor_b64 s[4:5], exec, -1
; %bb.3631:
	s_or_b64 exec, exec, s[8:9]
	s_and_b64 s[4:5], s[4:5], exec
	s_or_saveexec_b64 s[6:7], s[6:7]
	v_mov_b32_e32 v20, s10
	s_xor_b64 exec, exec, s[6:7]
	s_cbranch_execz .LBB43_1582
.LBB43_3632:
	v_mov_b32_e32 v20, 0
	v_cmp_ne_u16_sdwa s[8:9], v14, v20 src0_sel:BYTE_0 src1_sel:DWORD
	s_andn2_b64 s[4:5], s[4:5], exec
	s_and_b64 s[8:9], s[8:9], exec
	s_or_b64 s[4:5], s[4:5], s[8:9]
	s_or_b64 exec, exec, s[6:7]
	s_and_saveexec_b64 s[6:7], s[4:5]
	s_cbranch_execnz .LBB43_1583
	s_branch .LBB43_1584
.LBB43_3633:
	s_movk_i32 s4, 0x80
	v_cmp_eq_u16_e32 vcc, s4, v14
	s_mov_b64 s[4:5], -1
                                        ; implicit-def: $sgpr10
	s_and_saveexec_b64 s[8:9], vcc
; %bb.3634:
	s_mov_b32 s10, 0x7f800001
	s_xor_b64 s[4:5], exec, -1
; %bb.3635:
	s_or_b64 exec, exec, s[8:9]
	s_and_b64 s[4:5], s[4:5], exec
                                        ; implicit-def: $vgpr14
	s_or_saveexec_b64 s[6:7], s[6:7]
	v_mov_b32_e32 v10, s10
	s_xor_b64 exec, exec, s[6:7]
	s_cbranch_execz .LBB43_1586
.LBB43_3636:
	v_cmp_ne_u16_e32 vcc, 0, v14
	s_andn2_b64 s[4:5], s[4:5], exec
	s_and_b64 s[8:9], vcc, exec
	v_mov_b32_e32 v10, 0
	s_or_b64 s[4:5], s[4:5], s[8:9]
	s_or_b64 exec, exec, s[6:7]
	s_and_saveexec_b64 s[6:7], s[4:5]
	s_cbranch_execnz .LBB43_1587
	s_branch .LBB43_1588
.LBB43_3637:
	s_movk_i32 s4, 0x80
	v_cmp_eq_u16_e32 vcc, s4, v14
	s_mov_b64 s[4:5], -1
                                        ; implicit-def: $sgpr10
	s_and_saveexec_b64 s[8:9], vcc
; %bb.3638:
	s_mov_b32 s10, 0x7f800001
	s_xor_b64 s[4:5], exec, -1
; %bb.3639:
	s_or_b64 exec, exec, s[8:9]
	s_and_b64 s[4:5], s[4:5], exec
                                        ; implicit-def: $vgpr14
	s_or_saveexec_b64 s[6:7], s[6:7]
	v_mov_b32_e32 v20, s10
	s_xor_b64 exec, exec, s[6:7]
	s_cbranch_execz .LBB43_1590
.LBB43_3640:
	v_cmp_ne_u16_e32 vcc, 0, v14
	s_andn2_b64 s[4:5], s[4:5], exec
	s_and_b64 s[8:9], vcc, exec
	v_mov_b32_e32 v20, 0
	s_or_b64 s[4:5], s[4:5], s[8:9]
	s_or_b64 exec, exec, s[6:7]
	s_and_saveexec_b64 s[6:7], s[4:5]
	s_cbranch_execnz .LBB43_1591
	s_branch .LBB43_1592
.LBB43_3641:
	s_movk_i32 s4, 0x80
	v_cmp_eq_u16_sdwa s[12:13], v15, s4 src0_sel:BYTE_3 src1_sel:DWORD
	s_mov_b64 s[4:5], -1
                                        ; implicit-def: $sgpr10
	s_and_saveexec_b64 s[8:9], s[12:13]
; %bb.3642:
	s_mov_b32 s10, 0x7f800001
	s_xor_b64 s[4:5], exec, -1
; %bb.3643:
	s_or_b64 exec, exec, s[8:9]
	s_and_b64 s[4:5], s[4:5], exec
	s_or_saveexec_b64 s[6:7], s[6:7]
	v_mov_b32_e32 v10, s10
	s_xor_b64 exec, exec, s[6:7]
	s_cbranch_execz .LBB43_1594
.LBB43_3644:
	v_mov_b32_e32 v10, 0
	v_cmp_ne_u16_sdwa s[8:9], v15, v10 src0_sel:BYTE_3 src1_sel:DWORD
	s_andn2_b64 s[4:5], s[4:5], exec
	s_and_b64 s[8:9], s[8:9], exec
	s_or_b64 s[4:5], s[4:5], s[8:9]
	s_or_b64 exec, exec, s[6:7]
	s_and_saveexec_b64 s[6:7], s[4:5]
	s_cbranch_execnz .LBB43_1595
	s_branch .LBB43_1596
.LBB43_3645:
	s_movk_i32 s4, 0x80
	v_cmp_eq_u16_sdwa s[12:13], v11, s4 src0_sel:BYTE_3 src1_sel:DWORD
	s_mov_b64 s[4:5], -1
                                        ; implicit-def: $sgpr10
	s_and_saveexec_b64 s[8:9], s[12:13]
; %bb.3646:
	s_mov_b32 s10, 0x7f800001
	s_xor_b64 s[4:5], exec, -1
; %bb.3647:
	s_or_b64 exec, exec, s[8:9]
	s_and_b64 s[4:5], s[4:5], exec
	s_or_saveexec_b64 s[6:7], s[6:7]
	v_mov_b32_e32 v14, s10
	s_xor_b64 exec, exec, s[6:7]
	s_cbranch_execz .LBB43_1598
.LBB43_3648:
	v_mov_b32_e32 v14, 0
	v_cmp_ne_u16_sdwa s[8:9], v11, v14 src0_sel:BYTE_3 src1_sel:DWORD
	s_andn2_b64 s[4:5], s[4:5], exec
	s_and_b64 s[8:9], s[8:9], exec
	s_or_b64 s[4:5], s[4:5], s[8:9]
	s_or_b64 exec, exec, s[6:7]
	s_and_saveexec_b64 s[6:7], s[4:5]
	s_cbranch_execnz .LBB43_1599
	s_branch .LBB43_1600
.LBB43_3649:
	s_movk_i32 s4, 0x80
	v_cmp_eq_u16_sdwa s[12:13], v16, s4 src0_sel:BYTE_0 src1_sel:DWORD
	s_mov_b64 s[4:5], -1
                                        ; implicit-def: $sgpr10
	s_and_saveexec_b64 s[8:9], s[12:13]
; %bb.3650:
	s_mov_b32 s10, 0x7f800001
	s_xor_b64 s[4:5], exec, -1
; %bb.3651:
	s_or_b64 exec, exec, s[8:9]
	s_and_b64 s[4:5], s[4:5], exec
	s_or_saveexec_b64 s[6:7], s[6:7]
	v_mov_b32_e32 v10, s10
	s_xor_b64 exec, exec, s[6:7]
	s_cbranch_execz .LBB43_1602
.LBB43_3652:
	v_mov_b32_e32 v10, 0
	v_cmp_ne_u16_sdwa s[8:9], v16, v10 src0_sel:BYTE_0 src1_sel:DWORD
	s_andn2_b64 s[4:5], s[4:5], exec
	s_and_b64 s[8:9], s[8:9], exec
	s_or_b64 s[4:5], s[4:5], s[8:9]
	s_or_b64 exec, exec, s[6:7]
	s_and_saveexec_b64 s[6:7], s[4:5]
	s_cbranch_execnz .LBB43_1603
	s_branch .LBB43_1604
.LBB43_3653:
	s_movk_i32 s4, 0x80
	v_cmp_eq_u16_sdwa s[12:13], v12, s4 src0_sel:BYTE_0 src1_sel:DWORD
	s_mov_b64 s[4:5], -1
                                        ; implicit-def: $sgpr10
	s_and_saveexec_b64 s[8:9], s[12:13]
; %bb.3654:
	s_mov_b32 s10, 0x7f800001
	s_xor_b64 s[4:5], exec, -1
; %bb.3655:
	s_or_b64 exec, exec, s[8:9]
	s_and_b64 s[4:5], s[4:5], exec
	s_or_saveexec_b64 s[6:7], s[6:7]
	v_mov_b32_e32 v11, s10
	s_xor_b64 exec, exec, s[6:7]
	s_cbranch_execz .LBB43_1606
.LBB43_3656:
	v_mov_b32_e32 v11, 0
	v_cmp_ne_u16_sdwa s[8:9], v12, v11 src0_sel:BYTE_0 src1_sel:DWORD
	s_andn2_b64 s[4:5], s[4:5], exec
	s_and_b64 s[8:9], s[8:9], exec
	s_or_b64 s[4:5], s[4:5], s[8:9]
	s_or_b64 exec, exec, s[6:7]
	s_and_saveexec_b64 s[6:7], s[4:5]
	s_cbranch_execnz .LBB43_1607
	s_branch .LBB43_1608
.LBB43_3657:
	s_movk_i32 s4, 0x80
	v_cmp_eq_u16_sdwa s[12:13], v11, s4 src0_sel:BYTE_0 src1_sel:DWORD
	s_mov_b64 s[4:5], -1
                                        ; implicit-def: $sgpr10
	s_and_saveexec_b64 s[8:9], s[12:13]
; %bb.3658:
	s_mov_b32 s10, 0x7f800001
	s_xor_b64 s[4:5], exec, -1
; %bb.3659:
	s_or_b64 exec, exec, s[8:9]
	s_and_b64 s[4:5], s[4:5], exec
	s_or_saveexec_b64 s[6:7], s[6:7]
	v_mov_b32_e32 v10, s10
	s_xor_b64 exec, exec, s[6:7]
	s_cbranch_execz .LBB43_1610
.LBB43_3660:
	v_mov_b32_e32 v10, 0
	v_cmp_ne_u16_sdwa s[8:9], v11, v10 src0_sel:BYTE_0 src1_sel:DWORD
	s_andn2_b64 s[4:5], s[4:5], exec
	s_and_b64 s[8:9], s[8:9], exec
	s_or_b64 s[4:5], s[4:5], s[8:9]
	s_or_b64 exec, exec, s[6:7]
	s_and_saveexec_b64 s[6:7], s[4:5]
	s_cbranch_execnz .LBB43_1611
	s_branch .LBB43_1612
.LBB43_3661:
	s_movk_i32 s4, 0x80
	v_cmp_eq_u16_sdwa s[12:13], v11, s4 src0_sel:BYTE_0 src1_sel:DWORD
	s_mov_b64 s[4:5], -1
                                        ; implicit-def: $sgpr10
	s_and_saveexec_b64 s[8:9], s[12:13]
; %bb.3662:
	s_mov_b32 s10, 0x7f800001
	s_xor_b64 s[4:5], exec, -1
; %bb.3663:
	s_or_b64 exec, exec, s[8:9]
	s_and_b64 s[4:5], s[4:5], exec
	s_or_saveexec_b64 s[6:7], s[6:7]
	v_mov_b32_e32 v14, s10
	s_xor_b64 exec, exec, s[6:7]
	s_cbranch_execz .LBB43_1614
.LBB43_3664:
	v_mov_b32_e32 v14, 0
	v_cmp_ne_u16_sdwa s[8:9], v11, v14 src0_sel:BYTE_0 src1_sel:DWORD
	s_andn2_b64 s[4:5], s[4:5], exec
	s_and_b64 s[8:9], s[8:9], exec
	s_or_b64 s[4:5], s[4:5], s[8:9]
	s_or_b64 exec, exec, s[6:7]
	s_and_saveexec_b64 s[6:7], s[4:5]
	s_cbranch_execnz .LBB43_1615
	s_branch .LBB43_1616
.LBB43_3665:
	s_movk_i32 s4, 0x80
	v_cmp_eq_u16_e32 vcc, s4, v11
	s_mov_b64 s[4:5], -1
                                        ; implicit-def: $sgpr10
	s_and_saveexec_b64 s[8:9], vcc
; %bb.3666:
	s_mov_b32 s10, 0x7f800001
	s_xor_b64 s[4:5], exec, -1
; %bb.3667:
	s_or_b64 exec, exec, s[8:9]
	s_and_b64 s[4:5], s[4:5], exec
                                        ; implicit-def: $vgpr11
	s_or_saveexec_b64 s[6:7], s[6:7]
	v_mov_b32_e32 v10, s10
	s_xor_b64 exec, exec, s[6:7]
	s_cbranch_execz .LBB43_1618
.LBB43_3668:
	v_cmp_ne_u16_e32 vcc, 0, v11
	s_andn2_b64 s[4:5], s[4:5], exec
	s_and_b64 s[8:9], vcc, exec
	v_mov_b32_e32 v10, 0
	s_or_b64 s[4:5], s[4:5], s[8:9]
	s_or_b64 exec, exec, s[6:7]
	s_and_saveexec_b64 s[6:7], s[4:5]
	s_cbranch_execnz .LBB43_1619
	s_branch .LBB43_1620
.LBB43_3669:
	s_movk_i32 s4, 0x80
	v_cmp_eq_u16_e32 vcc, s4, v11
	s_mov_b64 s[4:5], -1
                                        ; implicit-def: $sgpr10
	s_and_saveexec_b64 s[8:9], vcc
; %bb.3670:
	s_mov_b32 s10, 0x7f800001
	s_xor_b64 s[4:5], exec, -1
; %bb.3671:
	s_or_b64 exec, exec, s[8:9]
	s_and_b64 s[4:5], s[4:5], exec
                                        ; implicit-def: $vgpr11
	s_or_saveexec_b64 s[6:7], s[6:7]
	v_mov_b32_e32 v14, s10
	s_xor_b64 exec, exec, s[6:7]
	s_cbranch_execz .LBB43_1622
.LBB43_3672:
	v_cmp_ne_u16_e32 vcc, 0, v11
	s_andn2_b64 s[4:5], s[4:5], exec
	s_and_b64 s[8:9], vcc, exec
	v_mov_b32_e32 v14, 0
	s_or_b64 s[4:5], s[4:5], s[8:9]
	s_or_b64 exec, exec, s[6:7]
	s_and_saveexec_b64 s[6:7], s[4:5]
	s_cbranch_execnz .LBB43_1623
	s_branch .LBB43_1624
.LBB43_3673:
	s_movk_i32 s4, 0x80
	v_cmp_eq_u16_sdwa s[12:13], v16, s4 src0_sel:BYTE_3 src1_sel:DWORD
	s_mov_b64 s[4:5], -1
                                        ; implicit-def: $sgpr10
	s_and_saveexec_b64 s[8:9], s[12:13]
; %bb.3674:
	s_mov_b32 s10, 0x7f800001
	s_xor_b64 s[4:5], exec, -1
; %bb.3675:
	s_or_b64 exec, exec, s[8:9]
	s_and_b64 s[4:5], s[4:5], exec
	s_or_saveexec_b64 s[6:7], s[6:7]
	v_mov_b32_e32 v10, s10
	s_xor_b64 exec, exec, s[6:7]
	s_cbranch_execz .LBB43_1626
.LBB43_3676:
	v_mov_b32_e32 v10, 0
	v_cmp_ne_u16_sdwa s[8:9], v16, v10 src0_sel:BYTE_3 src1_sel:DWORD
	s_andn2_b64 s[4:5], s[4:5], exec
	s_and_b64 s[8:9], s[8:9], exec
	s_or_b64 s[4:5], s[4:5], s[8:9]
	s_or_b64 exec, exec, s[6:7]
	s_and_saveexec_b64 s[6:7], s[4:5]
	s_cbranch_execnz .LBB43_1627
	s_branch .LBB43_1628
.LBB43_3677:
	s_movk_i32 s4, 0x80
	v_cmp_eq_u16_sdwa s[12:13], v12, s4 src0_sel:BYTE_3 src1_sel:DWORD
	s_mov_b64 s[4:5], -1
                                        ; implicit-def: $sgpr10
	s_and_saveexec_b64 s[8:9], s[12:13]
; %bb.3678:
	s_mov_b32 s10, 0x7f800001
	s_xor_b64 s[4:5], exec, -1
; %bb.3679:
	s_or_b64 exec, exec, s[8:9]
	s_and_b64 s[4:5], s[4:5], exec
	s_or_saveexec_b64 s[6:7], s[6:7]
	v_mov_b32_e32 v11, s10
	s_xor_b64 exec, exec, s[6:7]
	s_cbranch_execz .LBB43_1630
.LBB43_3680:
	v_mov_b32_e32 v11, 0
	v_cmp_ne_u16_sdwa s[8:9], v12, v11 src0_sel:BYTE_3 src1_sel:DWORD
	s_andn2_b64 s[4:5], s[4:5], exec
	s_and_b64 s[8:9], s[8:9], exec
	s_or_b64 s[4:5], s[4:5], s[8:9]
	s_or_b64 exec, exec, s[6:7]
	s_and_saveexec_b64 s[6:7], s[4:5]
	s_cbranch_execnz .LBB43_1631
	s_branch .LBB43_1632
.LBB43_3681:
	s_movk_i32 s4, 0x80
	v_cmp_eq_u16_sdwa s[12:13], v17, s4 src0_sel:BYTE_0 src1_sel:DWORD
	s_mov_b64 s[4:5], -1
                                        ; implicit-def: $sgpr10
	s_and_saveexec_b64 s[8:9], s[12:13]
; %bb.3682:
	s_mov_b32 s10, 0x7f800001
	s_xor_b64 s[4:5], exec, -1
; %bb.3683:
	s_or_b64 exec, exec, s[8:9]
	s_and_b64 s[4:5], s[4:5], exec
	s_or_saveexec_b64 s[6:7], s[6:7]
	v_mov_b32_e32 v10, s10
	s_xor_b64 exec, exec, s[6:7]
	s_cbranch_execz .LBB43_1634
.LBB43_3684:
	v_mov_b32_e32 v10, 0
	v_cmp_ne_u16_sdwa s[8:9], v17, v10 src0_sel:BYTE_0 src1_sel:DWORD
	s_andn2_b64 s[4:5], s[4:5], exec
	s_and_b64 s[8:9], s[8:9], exec
	s_or_b64 s[4:5], s[4:5], s[8:9]
	s_or_b64 exec, exec, s[6:7]
	s_and_saveexec_b64 s[6:7], s[4:5]
	s_cbranch_execnz .LBB43_1635
	s_branch .LBB43_1636
.LBB43_3685:
	s_movk_i32 s4, 0x80
	v_cmp_eq_u16_sdwa s[12:13], v13, s4 src0_sel:BYTE_0 src1_sel:DWORD
	s_mov_b64 s[4:5], -1
                                        ; implicit-def: $sgpr10
	s_and_saveexec_b64 s[8:9], s[12:13]
; %bb.3686:
	s_mov_b32 s10, 0x7f800001
	s_xor_b64 s[4:5], exec, -1
; %bb.3687:
	s_or_b64 exec, exec, s[8:9]
	s_and_b64 s[4:5], s[4:5], exec
	s_or_saveexec_b64 s[6:7], s[6:7]
	v_mov_b32_e32 v11, s10
	s_xor_b64 exec, exec, s[6:7]
	s_cbranch_execz .LBB43_1638
.LBB43_3688:
	v_mov_b32_e32 v11, 0
	v_cmp_ne_u16_sdwa s[8:9], v13, v11 src0_sel:BYTE_0 src1_sel:DWORD
	s_andn2_b64 s[4:5], s[4:5], exec
	s_and_b64 s[8:9], s[8:9], exec
	s_or_b64 s[4:5], s[4:5], s[8:9]
	s_or_b64 exec, exec, s[6:7]
	s_and_saveexec_b64 s[6:7], s[4:5]
	s_cbranch_execnz .LBB43_1639
	s_branch .LBB43_1640
.LBB43_3689:
	s_movk_i32 s4, 0x80
	v_cmp_eq_u16_sdwa s[12:13], v11, s4 src0_sel:BYTE_0 src1_sel:DWORD
	s_mov_b64 s[4:5], -1
                                        ; implicit-def: $sgpr10
	s_and_saveexec_b64 s[8:9], s[12:13]
; %bb.3690:
	s_mov_b32 s10, 0x7f800001
	s_xor_b64 s[4:5], exec, -1
; %bb.3691:
	s_or_b64 exec, exec, s[8:9]
	s_and_b64 s[4:5], s[4:5], exec
	s_or_saveexec_b64 s[6:7], s[6:7]
	v_mov_b32_e32 v10, s10
	s_xor_b64 exec, exec, s[6:7]
	s_cbranch_execz .LBB43_1642
.LBB43_3692:
	v_mov_b32_e32 v10, 0
	v_cmp_ne_u16_sdwa s[8:9], v11, v10 src0_sel:BYTE_0 src1_sel:DWORD
	s_andn2_b64 s[4:5], s[4:5], exec
	s_and_b64 s[8:9], s[8:9], exec
	s_or_b64 s[4:5], s[4:5], s[8:9]
	s_or_b64 exec, exec, s[6:7]
	s_and_saveexec_b64 s[6:7], s[4:5]
	s_cbranch_execnz .LBB43_1643
	s_branch .LBB43_1644
.LBB43_3693:
	s_movk_i32 s4, 0x80
	v_cmp_eq_u16_sdwa s[12:13], v11, s4 src0_sel:BYTE_0 src1_sel:DWORD
	s_mov_b64 s[4:5], -1
                                        ; implicit-def: $sgpr10
	s_and_saveexec_b64 s[8:9], s[12:13]
; %bb.3694:
	s_mov_b32 s10, 0x7f800001
	s_xor_b64 s[4:5], exec, -1
; %bb.3695:
	s_or_b64 exec, exec, s[8:9]
	s_and_b64 s[4:5], s[4:5], exec
	s_or_saveexec_b64 s[6:7], s[6:7]
	v_mov_b32_e32 v12, s10
	s_xor_b64 exec, exec, s[6:7]
	s_cbranch_execz .LBB43_1646
.LBB43_3696:
	v_mov_b32_e32 v12, 0
	v_cmp_ne_u16_sdwa s[8:9], v11, v12 src0_sel:BYTE_0 src1_sel:DWORD
	s_andn2_b64 s[4:5], s[4:5], exec
	s_and_b64 s[8:9], s[8:9], exec
	s_or_b64 s[4:5], s[4:5], s[8:9]
	s_or_b64 exec, exec, s[6:7]
	s_and_saveexec_b64 s[6:7], s[4:5]
	s_cbranch_execnz .LBB43_1647
	s_branch .LBB43_1648
.LBB43_3697:
	s_movk_i32 s4, 0x80
	v_cmp_eq_u16_e32 vcc, s4, v11
	s_mov_b64 s[4:5], -1
                                        ; implicit-def: $sgpr10
	s_and_saveexec_b64 s[8:9], vcc
; %bb.3698:
	s_mov_b32 s10, 0x7f800001
	s_xor_b64 s[4:5], exec, -1
; %bb.3699:
	s_or_b64 exec, exec, s[8:9]
	s_and_b64 s[4:5], s[4:5], exec
                                        ; implicit-def: $vgpr11
	s_or_saveexec_b64 s[6:7], s[6:7]
	v_mov_b32_e32 v10, s10
	s_xor_b64 exec, exec, s[6:7]
	s_cbranch_execz .LBB43_1650
.LBB43_3700:
	v_cmp_ne_u16_e32 vcc, 0, v11
	s_andn2_b64 s[4:5], s[4:5], exec
	s_and_b64 s[8:9], vcc, exec
	v_mov_b32_e32 v10, 0
	s_or_b64 s[4:5], s[4:5], s[8:9]
	s_or_b64 exec, exec, s[6:7]
	s_and_saveexec_b64 s[6:7], s[4:5]
	s_cbranch_execnz .LBB43_1651
	s_branch .LBB43_1652
.LBB43_3701:
	s_movk_i32 s4, 0x80
	v_cmp_eq_u16_e32 vcc, s4, v11
	s_mov_b64 s[4:5], -1
                                        ; implicit-def: $sgpr10
	s_and_saveexec_b64 s[8:9], vcc
; %bb.3702:
	s_mov_b32 s10, 0x7f800001
	s_xor_b64 s[4:5], exec, -1
; %bb.3703:
	s_or_b64 exec, exec, s[8:9]
	s_and_b64 s[4:5], s[4:5], exec
                                        ; implicit-def: $vgpr11
	s_or_saveexec_b64 s[6:7], s[6:7]
	v_mov_b32_e32 v12, s10
	s_xor_b64 exec, exec, s[6:7]
	s_cbranch_execz .LBB43_1654
.LBB43_3704:
	v_cmp_ne_u16_e32 vcc, 0, v11
	s_andn2_b64 s[4:5], s[4:5], exec
	s_and_b64 s[8:9], vcc, exec
	v_mov_b32_e32 v12, 0
	s_or_b64 s[4:5], s[4:5], s[8:9]
	s_or_b64 exec, exec, s[6:7]
	s_and_saveexec_b64 s[6:7], s[4:5]
	s_cbranch_execnz .LBB43_1655
	s_branch .LBB43_1656
.LBB43_3705:
	s_movk_i32 s4, 0x80
	v_cmp_eq_u16_sdwa s[12:13], v17, s4 src0_sel:BYTE_3 src1_sel:DWORD
	s_mov_b64 s[4:5], -1
                                        ; implicit-def: $sgpr10
	s_and_saveexec_b64 s[8:9], s[12:13]
; %bb.3706:
	s_mov_b32 s10, 0x7f800001
	s_xor_b64 s[4:5], exec, -1
; %bb.3707:
	s_or_b64 exec, exec, s[8:9]
	s_and_b64 s[4:5], s[4:5], exec
	s_or_saveexec_b64 s[6:7], s[6:7]
	v_mov_b32_e32 v10, s10
	s_xor_b64 exec, exec, s[6:7]
	s_cbranch_execz .LBB43_1658
.LBB43_3708:
	v_mov_b32_e32 v10, 0
	v_cmp_ne_u16_sdwa s[8:9], v17, v10 src0_sel:BYTE_3 src1_sel:DWORD
	s_andn2_b64 s[4:5], s[4:5], exec
	s_and_b64 s[8:9], s[8:9], exec
	s_or_b64 s[4:5], s[4:5], s[8:9]
	s_or_b64 exec, exec, s[6:7]
	s_and_saveexec_b64 s[6:7], s[4:5]
	s_cbranch_execnz .LBB43_1659
	s_branch .LBB43_1660
.LBB43_3709:
	s_movk_i32 s4, 0x80
	v_cmp_eq_u16_sdwa s[12:13], v13, s4 src0_sel:BYTE_3 src1_sel:DWORD
	s_mov_b64 s[4:5], -1
                                        ; implicit-def: $sgpr10
	s_and_saveexec_b64 s[8:9], s[12:13]
; %bb.3710:
	s_mov_b32 s10, 0x7f800001
	s_xor_b64 s[4:5], exec, -1
; %bb.3711:
	s_or_b64 exec, exec, s[8:9]
	s_and_b64 s[4:5], s[4:5], exec
	s_or_saveexec_b64 s[6:7], s[6:7]
	v_mov_b32_e32 v11, s10
	s_xor_b64 exec, exec, s[6:7]
	s_cbranch_execz .LBB43_1662
.LBB43_3712:
	v_mov_b32_e32 v11, 0
	v_cmp_ne_u16_sdwa s[8:9], v13, v11 src0_sel:BYTE_3 src1_sel:DWORD
	s_andn2_b64 s[4:5], s[4:5], exec
	s_and_b64 s[8:9], s[8:9], exec
	s_or_b64 s[4:5], s[4:5], s[8:9]
	s_or_b64 exec, exec, s[6:7]
	s_and_saveexec_b64 s[6:7], s[4:5]
	s_cbranch_execnz .LBB43_1663
	s_branch .LBB43_1664
.LBB43_3713:
	s_movk_i32 s4, 0x80
	v_cmp_eq_u16_sdwa s[12:13], v6, s4 src0_sel:BYTE_0 src1_sel:DWORD
	s_mov_b64 s[4:5], -1
                                        ; implicit-def: $sgpr10
	s_and_saveexec_b64 s[8:9], s[12:13]
; %bb.3714:
	s_mov_b32 s10, 0x7f800001
	s_xor_b64 s[4:5], exec, -1
; %bb.3715:
	s_or_b64 exec, exec, s[8:9]
	s_and_b64 s[4:5], s[4:5], exec
	s_or_saveexec_b64 s[6:7], s[6:7]
	v_mov_b32_e32 v10, s10
	s_xor_b64 exec, exec, s[6:7]
	s_cbranch_execz .LBB43_1666
.LBB43_3716:
	v_mov_b32_e32 v10, 0
	v_cmp_ne_u16_sdwa s[8:9], v6, v10 src0_sel:BYTE_0 src1_sel:DWORD
	s_andn2_b64 s[4:5], s[4:5], exec
	s_and_b64 s[8:9], s[8:9], exec
	s_or_b64 s[4:5], s[4:5], s[8:9]
	s_or_b64 exec, exec, s[6:7]
	s_and_saveexec_b64 s[6:7], s[4:5]
	s_cbranch_execnz .LBB43_1667
	s_branch .LBB43_1668
.LBB43_3717:
	s_movk_i32 s4, 0x80
	v_cmp_eq_u16_sdwa s[12:13], v2, s4 src0_sel:BYTE_0 src1_sel:DWORD
	s_mov_b64 s[4:5], -1
                                        ; implicit-def: $sgpr10
	s_and_saveexec_b64 s[8:9], s[12:13]
; %bb.3718:
	s_mov_b32 s10, 0x7f800001
	s_xor_b64 s[4:5], exec, -1
; %bb.3719:
	s_or_b64 exec, exec, s[8:9]
	s_and_b64 s[4:5], s[4:5], exec
	s_or_saveexec_b64 s[6:7], s[6:7]
	v_mov_b32_e32 v11, s10
	s_xor_b64 exec, exec, s[6:7]
	s_cbranch_execz .LBB43_1670
.LBB43_3720:
	v_mov_b32_e32 v11, 0
	v_cmp_ne_u16_sdwa s[8:9], v2, v11 src0_sel:BYTE_0 src1_sel:DWORD
	s_andn2_b64 s[4:5], s[4:5], exec
	s_and_b64 s[8:9], s[8:9], exec
	s_or_b64 s[4:5], s[4:5], s[8:9]
	s_or_b64 exec, exec, s[6:7]
	s_and_saveexec_b64 s[6:7], s[4:5]
	s_cbranch_execnz .LBB43_1671
	s_branch .LBB43_1672
.LBB43_3721:
	s_movk_i32 s4, 0x80
	v_cmp_eq_u16_sdwa s[12:13], v11, s4 src0_sel:BYTE_0 src1_sel:DWORD
	s_mov_b64 s[4:5], -1
                                        ; implicit-def: $sgpr10
	s_and_saveexec_b64 s[8:9], s[12:13]
; %bb.3722:
	s_mov_b32 s10, 0x7f800001
	s_xor_b64 s[4:5], exec, -1
; %bb.3723:
	s_or_b64 exec, exec, s[8:9]
	s_and_b64 s[4:5], s[4:5], exec
	s_or_saveexec_b64 s[6:7], s[6:7]
	v_mov_b32_e32 v10, s10
	s_xor_b64 exec, exec, s[6:7]
	s_cbranch_execz .LBB43_1674
.LBB43_3724:
	v_mov_b32_e32 v10, 0
	v_cmp_ne_u16_sdwa s[8:9], v11, v10 src0_sel:BYTE_0 src1_sel:DWORD
	s_andn2_b64 s[4:5], s[4:5], exec
	s_and_b64 s[8:9], s[8:9], exec
	s_or_b64 s[4:5], s[4:5], s[8:9]
	s_or_b64 exec, exec, s[6:7]
	s_and_saveexec_b64 s[6:7], s[4:5]
	s_cbranch_execnz .LBB43_1675
	s_branch .LBB43_1676
.LBB43_3725:
	s_movk_i32 s4, 0x80
	v_cmp_eq_u16_sdwa s[12:13], v11, s4 src0_sel:BYTE_0 src1_sel:DWORD
	s_mov_b64 s[4:5], -1
                                        ; implicit-def: $sgpr10
	s_and_saveexec_b64 s[8:9], s[12:13]
; %bb.3726:
	s_mov_b32 s10, 0x7f800001
	s_xor_b64 s[4:5], exec, -1
; %bb.3727:
	s_or_b64 exec, exec, s[8:9]
	s_and_b64 s[4:5], s[4:5], exec
	s_or_saveexec_b64 s[6:7], s[6:7]
	v_mov_b32_e32 v12, s10
	s_xor_b64 exec, exec, s[6:7]
	s_cbranch_execz .LBB43_1678
.LBB43_3728:
	v_mov_b32_e32 v12, 0
	v_cmp_ne_u16_sdwa s[8:9], v11, v12 src0_sel:BYTE_0 src1_sel:DWORD
	s_andn2_b64 s[4:5], s[4:5], exec
	s_and_b64 s[8:9], s[8:9], exec
	s_or_b64 s[4:5], s[4:5], s[8:9]
	s_or_b64 exec, exec, s[6:7]
	s_and_saveexec_b64 s[6:7], s[4:5]
	s_cbranch_execnz .LBB43_1679
	s_branch .LBB43_1680
.LBB43_3729:
	s_movk_i32 s4, 0x80
	v_cmp_eq_u16_e32 vcc, s4, v11
	s_mov_b64 s[4:5], -1
                                        ; implicit-def: $sgpr10
	s_and_saveexec_b64 s[8:9], vcc
; %bb.3730:
	s_mov_b32 s10, 0x7f800001
	s_xor_b64 s[4:5], exec, -1
; %bb.3731:
	s_or_b64 exec, exec, s[8:9]
	s_and_b64 s[4:5], s[4:5], exec
                                        ; implicit-def: $vgpr11
	s_or_saveexec_b64 s[6:7], s[6:7]
	v_mov_b32_e32 v10, s10
	s_xor_b64 exec, exec, s[6:7]
	s_cbranch_execz .LBB43_1682
.LBB43_3732:
	v_cmp_ne_u16_e32 vcc, 0, v11
	s_andn2_b64 s[4:5], s[4:5], exec
	s_and_b64 s[8:9], vcc, exec
	v_mov_b32_e32 v10, 0
	s_or_b64 s[4:5], s[4:5], s[8:9]
	s_or_b64 exec, exec, s[6:7]
	s_and_saveexec_b64 s[6:7], s[4:5]
	s_cbranch_execnz .LBB43_1683
	s_branch .LBB43_1684
.LBB43_3733:
	s_movk_i32 s4, 0x80
	v_cmp_eq_u16_e32 vcc, s4, v11
	s_mov_b64 s[4:5], -1
                                        ; implicit-def: $sgpr10
	s_and_saveexec_b64 s[8:9], vcc
; %bb.3734:
	s_mov_b32 s10, 0x7f800001
	s_xor_b64 s[4:5], exec, -1
; %bb.3735:
	s_or_b64 exec, exec, s[8:9]
	s_and_b64 s[4:5], s[4:5], exec
                                        ; implicit-def: $vgpr11
	s_or_saveexec_b64 s[6:7], s[6:7]
	v_mov_b32_e32 v12, s10
	s_xor_b64 exec, exec, s[6:7]
	s_cbranch_execz .LBB43_1686
.LBB43_3736:
	v_cmp_ne_u16_e32 vcc, 0, v11
	s_andn2_b64 s[4:5], s[4:5], exec
	s_and_b64 s[8:9], vcc, exec
	v_mov_b32_e32 v12, 0
	s_or_b64 s[4:5], s[4:5], s[8:9]
	s_or_b64 exec, exec, s[6:7]
	s_and_saveexec_b64 s[6:7], s[4:5]
	s_cbranch_execnz .LBB43_1687
	s_branch .LBB43_1688
.LBB43_3737:
	s_movk_i32 s4, 0x80
	v_cmp_eq_u16_sdwa s[12:13], v6, s4 src0_sel:BYTE_3 src1_sel:DWORD
	s_mov_b64 s[4:5], -1
                                        ; implicit-def: $sgpr10
	s_and_saveexec_b64 s[8:9], s[12:13]
; %bb.3738:
	s_mov_b32 s10, 0x7f800001
	s_xor_b64 s[4:5], exec, -1
; %bb.3739:
	s_or_b64 exec, exec, s[8:9]
	s_and_b64 s[4:5], s[4:5], exec
	s_or_saveexec_b64 s[6:7], s[6:7]
	v_mov_b32_e32 v10, s10
	s_xor_b64 exec, exec, s[6:7]
	s_cbranch_execz .LBB43_1690
.LBB43_3740:
	v_mov_b32_e32 v10, 0
	v_cmp_ne_u16_sdwa s[8:9], v6, v10 src0_sel:BYTE_3 src1_sel:DWORD
	s_andn2_b64 s[4:5], s[4:5], exec
	s_and_b64 s[8:9], s[8:9], exec
	s_or_b64 s[4:5], s[4:5], s[8:9]
	s_or_b64 exec, exec, s[6:7]
	s_and_saveexec_b64 s[6:7], s[4:5]
	s_cbranch_execnz .LBB43_1691
	s_branch .LBB43_1692
.LBB43_3741:
	s_movk_i32 s4, 0x80
	v_cmp_eq_u16_sdwa s[12:13], v2, s4 src0_sel:BYTE_3 src1_sel:DWORD
	s_mov_b64 s[4:5], -1
                                        ; implicit-def: $sgpr10
	s_and_saveexec_b64 s[8:9], s[12:13]
; %bb.3742:
	s_mov_b32 s10, 0x7f800001
	s_xor_b64 s[4:5], exec, -1
; %bb.3743:
	s_or_b64 exec, exec, s[8:9]
	s_and_b64 s[4:5], s[4:5], exec
	s_or_saveexec_b64 s[6:7], s[6:7]
	v_mov_b32_e32 v6, s10
	s_xor_b64 exec, exec, s[6:7]
	s_cbranch_execz .LBB43_1694
.LBB43_3744:
	v_mov_b32_e32 v6, 0
	v_cmp_ne_u16_sdwa s[8:9], v2, v6 src0_sel:BYTE_3 src1_sel:DWORD
	s_andn2_b64 s[4:5], s[4:5], exec
	s_and_b64 s[8:9], s[8:9], exec
	s_or_b64 s[4:5], s[4:5], s[8:9]
	s_or_b64 exec, exec, s[6:7]
	s_and_saveexec_b64 s[6:7], s[4:5]
	s_cbranch_execnz .LBB43_1695
	s_branch .LBB43_1696
.LBB43_3745:
	s_movk_i32 s4, 0x80
	v_cmp_eq_u16_sdwa s[12:13], v7, s4 src0_sel:BYTE_0 src1_sel:DWORD
	s_mov_b64 s[4:5], -1
                                        ; implicit-def: $sgpr10
	s_and_saveexec_b64 s[8:9], s[12:13]
; %bb.3746:
	s_mov_b32 s10, 0x7f800001
	s_xor_b64 s[4:5], exec, -1
; %bb.3747:
	s_or_b64 exec, exec, s[8:9]
	s_and_b64 s[4:5], s[4:5], exec
	s_or_saveexec_b64 s[6:7], s[6:7]
	v_mov_b32_e32 v2, s10
	s_xor_b64 exec, exec, s[6:7]
	s_cbranch_execz .LBB43_1698
.LBB43_3748:
	v_mov_b32_e32 v2, 0
	v_cmp_ne_u16_sdwa s[8:9], v7, v2 src0_sel:BYTE_0 src1_sel:DWORD
	s_andn2_b64 s[4:5], s[4:5], exec
	s_and_b64 s[8:9], s[8:9], exec
	s_or_b64 s[4:5], s[4:5], s[8:9]
	s_or_b64 exec, exec, s[6:7]
	s_and_saveexec_b64 s[6:7], s[4:5]
	s_cbranch_execnz .LBB43_1699
	s_branch .LBB43_1700
.LBB43_3749:
	s_movk_i32 s4, 0x80
	v_cmp_eq_u16_sdwa s[12:13], v3, s4 src0_sel:BYTE_0 src1_sel:DWORD
	s_mov_b64 s[4:5], -1
                                        ; implicit-def: $sgpr10
	s_and_saveexec_b64 s[8:9], s[12:13]
; %bb.3750:
	s_mov_b32 s10, 0x7f800001
	s_xor_b64 s[4:5], exec, -1
; %bb.3751:
	s_or_b64 exec, exec, s[8:9]
	s_and_b64 s[4:5], s[4:5], exec
	s_or_saveexec_b64 s[6:7], s[6:7]
	v_mov_b32_e32 v6, s10
	s_xor_b64 exec, exec, s[6:7]
	s_cbranch_execz .LBB43_1702
.LBB43_3752:
	v_mov_b32_e32 v6, 0
	v_cmp_ne_u16_sdwa s[8:9], v3, v6 src0_sel:BYTE_0 src1_sel:DWORD
	s_andn2_b64 s[4:5], s[4:5], exec
	s_and_b64 s[8:9], s[8:9], exec
	s_or_b64 s[4:5], s[4:5], s[8:9]
	s_or_b64 exec, exec, s[6:7]
	s_and_saveexec_b64 s[6:7], s[4:5]
	s_cbranch_execnz .LBB43_1703
	s_branch .LBB43_1704
.LBB43_3753:
	s_movk_i32 s4, 0x80
	v_cmp_eq_u16_sdwa s[12:13], v6, s4 src0_sel:BYTE_0 src1_sel:DWORD
	s_mov_b64 s[4:5], -1
                                        ; implicit-def: $sgpr10
	s_and_saveexec_b64 s[8:9], s[12:13]
; %bb.3754:
	s_mov_b32 s10, 0x7f800001
	s_xor_b64 s[4:5], exec, -1
; %bb.3755:
	s_or_b64 exec, exec, s[8:9]
	s_and_b64 s[4:5], s[4:5], exec
	s_or_saveexec_b64 s[6:7], s[6:7]
	v_mov_b32_e32 v2, s10
	s_xor_b64 exec, exec, s[6:7]
	s_cbranch_execz .LBB43_1706
.LBB43_3756:
	v_mov_b32_e32 v2, 0
	v_cmp_ne_u16_sdwa s[8:9], v6, v2 src0_sel:BYTE_0 src1_sel:DWORD
	s_andn2_b64 s[4:5], s[4:5], exec
	s_and_b64 s[8:9], s[8:9], exec
	s_or_b64 s[4:5], s[4:5], s[8:9]
	s_or_b64 exec, exec, s[6:7]
	s_and_saveexec_b64 s[6:7], s[4:5]
	s_cbranch_execnz .LBB43_1707
	s_branch .LBB43_1708
.LBB43_3757:
	s_movk_i32 s4, 0x80
	v_cmp_eq_u16_sdwa s[12:13], v6, s4 src0_sel:BYTE_0 src1_sel:DWORD
	s_mov_b64 s[4:5], -1
                                        ; implicit-def: $sgpr10
	s_and_saveexec_b64 s[8:9], s[12:13]
; %bb.3758:
	s_mov_b32 s10, 0x7f800001
	s_xor_b64 s[4:5], exec, -1
; %bb.3759:
	s_or_b64 exec, exec, s[8:9]
	s_and_b64 s[4:5], s[4:5], exec
	s_or_saveexec_b64 s[6:7], s[6:7]
	v_mov_b32_e32 v10, s10
	s_xor_b64 exec, exec, s[6:7]
	s_cbranch_execz .LBB43_1710
.LBB43_3760:
	v_mov_b32_e32 v10, 0
	v_cmp_ne_u16_sdwa s[8:9], v6, v10 src0_sel:BYTE_0 src1_sel:DWORD
	s_andn2_b64 s[4:5], s[4:5], exec
	s_and_b64 s[8:9], s[8:9], exec
	s_or_b64 s[4:5], s[4:5], s[8:9]
	s_or_b64 exec, exec, s[6:7]
	s_and_saveexec_b64 s[6:7], s[4:5]
	s_cbranch_execnz .LBB43_1711
	s_branch .LBB43_1712
.LBB43_3761:
	s_movk_i32 s4, 0x80
	v_cmp_eq_u16_e32 vcc, s4, v6
	s_mov_b64 s[4:5], -1
                                        ; implicit-def: $sgpr10
	s_and_saveexec_b64 s[8:9], vcc
; %bb.3762:
	s_mov_b32 s10, 0x7f800001
	s_xor_b64 s[4:5], exec, -1
; %bb.3763:
	s_or_b64 exec, exec, s[8:9]
	s_and_b64 s[4:5], s[4:5], exec
                                        ; implicit-def: $vgpr6
	s_or_saveexec_b64 s[6:7], s[6:7]
	v_mov_b32_e32 v2, s10
	s_xor_b64 exec, exec, s[6:7]
	s_cbranch_execz .LBB43_1714
.LBB43_3764:
	v_cmp_ne_u16_e32 vcc, 0, v6
	s_andn2_b64 s[4:5], s[4:5], exec
	s_and_b64 s[8:9], vcc, exec
	v_mov_b32_e32 v2, 0
	s_or_b64 s[4:5], s[4:5], s[8:9]
	s_or_b64 exec, exec, s[6:7]
	s_and_saveexec_b64 s[6:7], s[4:5]
	s_cbranch_execnz .LBB43_1715
	s_branch .LBB43_1716
.LBB43_3765:
	s_movk_i32 s4, 0x80
	v_cmp_eq_u16_e32 vcc, s4, v6
	s_mov_b64 s[4:5], -1
                                        ; implicit-def: $sgpr10
	s_and_saveexec_b64 s[8:9], vcc
; %bb.3766:
	s_mov_b32 s10, 0x7f800001
	s_xor_b64 s[4:5], exec, -1
; %bb.3767:
	s_or_b64 exec, exec, s[8:9]
	s_and_b64 s[4:5], s[4:5], exec
                                        ; implicit-def: $vgpr6
	s_or_saveexec_b64 s[6:7], s[6:7]
	v_mov_b32_e32 v10, s10
	s_xor_b64 exec, exec, s[6:7]
	s_cbranch_execz .LBB43_1718
.LBB43_3768:
	v_cmp_ne_u16_e32 vcc, 0, v6
	s_andn2_b64 s[4:5], s[4:5], exec
	s_and_b64 s[8:9], vcc, exec
	v_mov_b32_e32 v10, 0
	s_or_b64 s[4:5], s[4:5], s[8:9]
	s_or_b64 exec, exec, s[6:7]
	s_and_saveexec_b64 s[6:7], s[4:5]
	s_cbranch_execnz .LBB43_1719
	s_branch .LBB43_1720
.LBB43_3769:
	s_movk_i32 s4, 0x80
	v_cmp_eq_u16_sdwa s[12:13], v7, s4 src0_sel:BYTE_3 src1_sel:DWORD
	s_mov_b64 s[4:5], -1
                                        ; implicit-def: $sgpr10
	s_and_saveexec_b64 s[8:9], s[12:13]
; %bb.3770:
	s_mov_b32 s10, 0x7f800001
	s_xor_b64 s[4:5], exec, -1
; %bb.3771:
	s_or_b64 exec, exec, s[8:9]
	s_and_b64 s[4:5], s[4:5], exec
	s_or_saveexec_b64 s[6:7], s[6:7]
	v_mov_b32_e32 v2, s10
	s_xor_b64 exec, exec, s[6:7]
	s_cbranch_execz .LBB43_1722
.LBB43_3772:
	v_mov_b32_e32 v2, 0
	v_cmp_ne_u16_sdwa s[8:9], v7, v2 src0_sel:BYTE_3 src1_sel:DWORD
	s_andn2_b64 s[4:5], s[4:5], exec
	s_and_b64 s[8:9], s[8:9], exec
	s_or_b64 s[4:5], s[4:5], s[8:9]
	s_or_b64 exec, exec, s[6:7]
	s_and_saveexec_b64 s[6:7], s[4:5]
	s_cbranch_execnz .LBB43_1723
	s_branch .LBB43_1724
.LBB43_3773:
	s_movk_i32 s4, 0x80
	v_cmp_eq_u16_sdwa s[12:13], v3, s4 src0_sel:BYTE_3 src1_sel:DWORD
	s_mov_b64 s[4:5], -1
                                        ; implicit-def: $sgpr10
	s_and_saveexec_b64 s[8:9], s[12:13]
; %bb.3774:
	s_mov_b32 s10, 0x7f800001
	s_xor_b64 s[4:5], exec, -1
; %bb.3775:
	s_or_b64 exec, exec, s[8:9]
	s_and_b64 s[4:5], s[4:5], exec
	s_or_saveexec_b64 s[6:7], s[6:7]
	v_mov_b32_e32 v6, s10
	s_xor_b64 exec, exec, s[6:7]
	s_cbranch_execz .LBB43_1726
.LBB43_3776:
	v_mov_b32_e32 v6, 0
	v_cmp_ne_u16_sdwa s[8:9], v3, v6 src0_sel:BYTE_3 src1_sel:DWORD
	s_andn2_b64 s[4:5], s[4:5], exec
	s_and_b64 s[8:9], s[8:9], exec
	s_or_b64 s[4:5], s[4:5], s[8:9]
	s_or_b64 exec, exec, s[6:7]
	s_and_saveexec_b64 s[6:7], s[4:5]
	s_cbranch_execnz .LBB43_1727
	s_branch .LBB43_1728
.LBB43_3777:
	s_movk_i32 s4, 0x80
	v_cmp_eq_u16_sdwa s[12:13], v8, s4 src0_sel:BYTE_0 src1_sel:DWORD
	s_mov_b64 s[4:5], -1
                                        ; implicit-def: $sgpr10
	s_and_saveexec_b64 s[8:9], s[12:13]
; %bb.3778:
	s_mov_b32 s10, 0x7f800001
	s_xor_b64 s[4:5], exec, -1
; %bb.3779:
	s_or_b64 exec, exec, s[8:9]
	s_and_b64 s[4:5], s[4:5], exec
	s_or_saveexec_b64 s[6:7], s[6:7]
	v_mov_b32_e32 v2, s10
	s_xor_b64 exec, exec, s[6:7]
	s_cbranch_execz .LBB43_1730
.LBB43_3780:
	v_mov_b32_e32 v2, 0
	v_cmp_ne_u16_sdwa s[8:9], v8, v2 src0_sel:BYTE_0 src1_sel:DWORD
	s_andn2_b64 s[4:5], s[4:5], exec
	s_and_b64 s[8:9], s[8:9], exec
	s_or_b64 s[4:5], s[4:5], s[8:9]
	s_or_b64 exec, exec, s[6:7]
	s_and_saveexec_b64 s[6:7], s[4:5]
	s_cbranch_execnz .LBB43_1731
	s_branch .LBB43_1732
.LBB43_3781:
	s_movk_i32 s4, 0x80
	v_cmp_eq_u16_sdwa s[12:13], v4, s4 src0_sel:BYTE_0 src1_sel:DWORD
	s_mov_b64 s[4:5], -1
                                        ; implicit-def: $sgpr10
	s_and_saveexec_b64 s[8:9], s[12:13]
; %bb.3782:
	s_mov_b32 s10, 0x7f800001
	s_xor_b64 s[4:5], exec, -1
; %bb.3783:
	s_or_b64 exec, exec, s[8:9]
	s_and_b64 s[4:5], s[4:5], exec
	s_or_saveexec_b64 s[6:7], s[6:7]
	v_mov_b32_e32 v3, s10
	s_xor_b64 exec, exec, s[6:7]
	s_cbranch_execz .LBB43_1734
.LBB43_3784:
	v_mov_b32_e32 v3, 0
	v_cmp_ne_u16_sdwa s[8:9], v4, v3 src0_sel:BYTE_0 src1_sel:DWORD
	s_andn2_b64 s[4:5], s[4:5], exec
	s_and_b64 s[8:9], s[8:9], exec
	s_or_b64 s[4:5], s[4:5], s[8:9]
	s_or_b64 exec, exec, s[6:7]
	s_and_saveexec_b64 s[6:7], s[4:5]
	s_cbranch_execnz .LBB43_1735
	s_branch .LBB43_1736
.LBB43_3785:
	s_movk_i32 s4, 0x80
	v_cmp_eq_u16_sdwa s[12:13], v3, s4 src0_sel:BYTE_0 src1_sel:DWORD
	s_mov_b64 s[4:5], -1
                                        ; implicit-def: $sgpr10
	s_and_saveexec_b64 s[8:9], s[12:13]
; %bb.3786:
	s_mov_b32 s10, 0x7f800001
	s_xor_b64 s[4:5], exec, -1
; %bb.3787:
	s_or_b64 exec, exec, s[8:9]
	s_and_b64 s[4:5], s[4:5], exec
	s_or_saveexec_b64 s[6:7], s[6:7]
	v_mov_b32_e32 v2, s10
	s_xor_b64 exec, exec, s[6:7]
	s_cbranch_execz .LBB43_1738
.LBB43_3788:
	v_mov_b32_e32 v2, 0
	v_cmp_ne_u16_sdwa s[8:9], v3, v2 src0_sel:BYTE_0 src1_sel:DWORD
	s_andn2_b64 s[4:5], s[4:5], exec
	s_and_b64 s[8:9], s[8:9], exec
	s_or_b64 s[4:5], s[4:5], s[8:9]
	s_or_b64 exec, exec, s[6:7]
	s_and_saveexec_b64 s[6:7], s[4:5]
	s_cbranch_execnz .LBB43_1739
	s_branch .LBB43_1740
.LBB43_3789:
	s_movk_i32 s4, 0x80
	v_cmp_eq_u16_sdwa s[12:13], v3, s4 src0_sel:BYTE_0 src1_sel:DWORD
	s_mov_b64 s[4:5], -1
                                        ; implicit-def: $sgpr10
	s_and_saveexec_b64 s[8:9], s[12:13]
; %bb.3790:
	s_mov_b32 s10, 0x7f800001
	s_xor_b64 s[4:5], exec, -1
; %bb.3791:
	s_or_b64 exec, exec, s[8:9]
	s_and_b64 s[4:5], s[4:5], exec
	s_or_saveexec_b64 s[6:7], s[6:7]
	v_mov_b32_e32 v6, s10
	s_xor_b64 exec, exec, s[6:7]
	s_cbranch_execz .LBB43_1742
.LBB43_3792:
	v_mov_b32_e32 v6, 0
	v_cmp_ne_u16_sdwa s[8:9], v3, v6 src0_sel:BYTE_0 src1_sel:DWORD
	s_andn2_b64 s[4:5], s[4:5], exec
	s_and_b64 s[8:9], s[8:9], exec
	s_or_b64 s[4:5], s[4:5], s[8:9]
	s_or_b64 exec, exec, s[6:7]
	s_and_saveexec_b64 s[6:7], s[4:5]
	s_cbranch_execnz .LBB43_1743
	s_branch .LBB43_1744
.LBB43_3793:
	s_movk_i32 s4, 0x80
	v_cmp_eq_u16_e32 vcc, s4, v3
	s_mov_b64 s[4:5], -1
                                        ; implicit-def: $sgpr10
	s_and_saveexec_b64 s[8:9], vcc
; %bb.3794:
	s_mov_b32 s10, 0x7f800001
	s_xor_b64 s[4:5], exec, -1
; %bb.3795:
	s_or_b64 exec, exec, s[8:9]
	s_and_b64 s[4:5], s[4:5], exec
                                        ; implicit-def: $vgpr3
	s_or_saveexec_b64 s[6:7], s[6:7]
	v_mov_b32_e32 v2, s10
	s_xor_b64 exec, exec, s[6:7]
	s_cbranch_execz .LBB43_1746
.LBB43_3796:
	v_cmp_ne_u16_e32 vcc, 0, v3
	s_andn2_b64 s[4:5], s[4:5], exec
	s_and_b64 s[8:9], vcc, exec
	v_mov_b32_e32 v2, 0
	s_or_b64 s[4:5], s[4:5], s[8:9]
	s_or_b64 exec, exec, s[6:7]
	s_and_saveexec_b64 s[6:7], s[4:5]
	s_cbranch_execnz .LBB43_1747
	s_branch .LBB43_1748
.LBB43_3797:
	s_movk_i32 s4, 0x80
	v_cmp_eq_u16_e32 vcc, s4, v3
	s_mov_b64 s[4:5], -1
                                        ; implicit-def: $sgpr10
	s_and_saveexec_b64 s[8:9], vcc
; %bb.3798:
	s_mov_b32 s10, 0x7f800001
	s_xor_b64 s[4:5], exec, -1
; %bb.3799:
	s_or_b64 exec, exec, s[8:9]
	s_and_b64 s[4:5], s[4:5], exec
                                        ; implicit-def: $vgpr3
	s_or_saveexec_b64 s[6:7], s[6:7]
	v_mov_b32_e32 v6, s10
	s_xor_b64 exec, exec, s[6:7]
	s_cbranch_execz .LBB43_1750
.LBB43_3800:
	v_cmp_ne_u16_e32 vcc, 0, v3
	s_andn2_b64 s[4:5], s[4:5], exec
	s_and_b64 s[8:9], vcc, exec
	v_mov_b32_e32 v6, 0
	s_or_b64 s[4:5], s[4:5], s[8:9]
	s_or_b64 exec, exec, s[6:7]
	s_and_saveexec_b64 s[6:7], s[4:5]
	s_cbranch_execnz .LBB43_1751
	s_branch .LBB43_1752
.LBB43_3801:
	s_movk_i32 s4, 0x80
	v_cmp_eq_u16_sdwa s[12:13], v8, s4 src0_sel:BYTE_3 src1_sel:DWORD
	s_mov_b64 s[4:5], -1
                                        ; implicit-def: $sgpr10
	s_and_saveexec_b64 s[8:9], s[12:13]
; %bb.3802:
	s_mov_b32 s10, 0x7f800001
	s_xor_b64 s[4:5], exec, -1
; %bb.3803:
	s_or_b64 exec, exec, s[8:9]
	s_and_b64 s[4:5], s[4:5], exec
	s_or_saveexec_b64 s[6:7], s[6:7]
	v_mov_b32_e32 v2, s10
	s_xor_b64 exec, exec, s[6:7]
	s_cbranch_execz .LBB43_1754
.LBB43_3804:
	v_mov_b32_e32 v2, 0
	v_cmp_ne_u16_sdwa s[8:9], v8, v2 src0_sel:BYTE_3 src1_sel:DWORD
	s_andn2_b64 s[4:5], s[4:5], exec
	s_and_b64 s[8:9], s[8:9], exec
	s_or_b64 s[4:5], s[4:5], s[8:9]
	s_or_b64 exec, exec, s[6:7]
	s_and_saveexec_b64 s[6:7], s[4:5]
	s_cbranch_execnz .LBB43_1755
	s_branch .LBB43_1756
.LBB43_3805:
	s_movk_i32 s4, 0x80
	v_cmp_eq_u16_sdwa s[12:13], v4, s4 src0_sel:BYTE_3 src1_sel:DWORD
	s_mov_b64 s[4:5], -1
                                        ; implicit-def: $sgpr10
	s_and_saveexec_b64 s[8:9], s[12:13]
; %bb.3806:
	s_mov_b32 s10, 0x7f800001
	s_xor_b64 s[4:5], exec, -1
; %bb.3807:
	s_or_b64 exec, exec, s[8:9]
	s_and_b64 s[4:5], s[4:5], exec
	s_or_saveexec_b64 s[6:7], s[6:7]
	v_mov_b32_e32 v3, s10
	s_xor_b64 exec, exec, s[6:7]
	s_cbranch_execz .LBB43_1758
.LBB43_3808:
	v_mov_b32_e32 v3, 0
	v_cmp_ne_u16_sdwa s[8:9], v4, v3 src0_sel:BYTE_3 src1_sel:DWORD
	s_andn2_b64 s[4:5], s[4:5], exec
	s_and_b64 s[8:9], s[8:9], exec
	s_or_b64 s[4:5], s[4:5], s[8:9]
	s_or_b64 exec, exec, s[6:7]
	s_and_saveexec_b64 s[6:7], s[4:5]
	s_cbranch_execnz .LBB43_1759
	s_branch .LBB43_1760
.LBB43_3809:
	s_movk_i32 s4, 0x80
	v_cmp_eq_u16_sdwa s[12:13], v9, s4 src0_sel:BYTE_0 src1_sel:DWORD
	s_mov_b64 s[4:5], -1
                                        ; implicit-def: $sgpr10
	s_and_saveexec_b64 s[8:9], s[12:13]
; %bb.3810:
	s_mov_b32 s10, 0x7f800001
	s_xor_b64 s[4:5], exec, -1
; %bb.3811:
	s_or_b64 exec, exec, s[8:9]
	s_and_b64 s[4:5], s[4:5], exec
	s_or_saveexec_b64 s[6:7], s[6:7]
	v_mov_b32_e32 v2, s10
	s_xor_b64 exec, exec, s[6:7]
	s_cbranch_execz .LBB43_1762
.LBB43_3812:
	v_mov_b32_e32 v2, 0
	v_cmp_ne_u16_sdwa s[8:9], v9, v2 src0_sel:BYTE_0 src1_sel:DWORD
	s_andn2_b64 s[4:5], s[4:5], exec
	s_and_b64 s[8:9], s[8:9], exec
	s_or_b64 s[4:5], s[4:5], s[8:9]
	s_or_b64 exec, exec, s[6:7]
	s_and_saveexec_b64 s[6:7], s[4:5]
	s_cbranch_execnz .LBB43_1763
	s_branch .LBB43_1764
.LBB43_3813:
	s_movk_i32 s4, 0x80
	v_cmp_eq_u16_sdwa s[12:13], v5, s4 src0_sel:BYTE_0 src1_sel:DWORD
	s_mov_b64 s[4:5], -1
                                        ; implicit-def: $sgpr10
	s_and_saveexec_b64 s[8:9], s[12:13]
; %bb.3814:
	s_mov_b32 s10, 0x7f800001
	s_xor_b64 s[4:5], exec, -1
; %bb.3815:
	s_or_b64 exec, exec, s[8:9]
	s_and_b64 s[4:5], s[4:5], exec
	s_or_saveexec_b64 s[6:7], s[6:7]
	v_mov_b32_e32 v3, s10
	s_xor_b64 exec, exec, s[6:7]
	s_cbranch_execz .LBB43_1766
.LBB43_3816:
	v_mov_b32_e32 v3, 0
	v_cmp_ne_u16_sdwa s[8:9], v5, v3 src0_sel:BYTE_0 src1_sel:DWORD
	s_andn2_b64 s[4:5], s[4:5], exec
	s_and_b64 s[8:9], s[8:9], exec
	s_or_b64 s[4:5], s[4:5], s[8:9]
	s_or_b64 exec, exec, s[6:7]
	s_and_saveexec_b64 s[6:7], s[4:5]
	s_cbranch_execnz .LBB43_1767
	s_branch .LBB43_1768
.LBB43_3817:
	s_movk_i32 s4, 0x80
	v_cmp_eq_u16_sdwa s[12:13], v3, s4 src0_sel:BYTE_0 src1_sel:DWORD
	s_mov_b64 s[4:5], -1
                                        ; implicit-def: $sgpr10
	s_and_saveexec_b64 s[8:9], s[12:13]
; %bb.3818:
	s_mov_b32 s10, 0x7f800001
	s_xor_b64 s[4:5], exec, -1
; %bb.3819:
	s_or_b64 exec, exec, s[8:9]
	s_and_b64 s[4:5], s[4:5], exec
	s_or_saveexec_b64 s[6:7], s[6:7]
	v_mov_b32_e32 v2, s10
	s_xor_b64 exec, exec, s[6:7]
	s_cbranch_execz .LBB43_1770
.LBB43_3820:
	v_mov_b32_e32 v2, 0
	v_cmp_ne_u16_sdwa s[8:9], v3, v2 src0_sel:BYTE_0 src1_sel:DWORD
	s_andn2_b64 s[4:5], s[4:5], exec
	s_and_b64 s[8:9], s[8:9], exec
	s_or_b64 s[4:5], s[4:5], s[8:9]
	s_or_b64 exec, exec, s[6:7]
	s_and_saveexec_b64 s[6:7], s[4:5]
	s_cbranch_execnz .LBB43_1771
	s_branch .LBB43_1772
.LBB43_3821:
	s_movk_i32 s4, 0x80
	v_cmp_eq_u16_sdwa s[12:13], v3, s4 src0_sel:BYTE_0 src1_sel:DWORD
	s_mov_b64 s[4:5], -1
                                        ; implicit-def: $sgpr10
	s_and_saveexec_b64 s[8:9], s[12:13]
; %bb.3822:
	s_mov_b32 s10, 0x7f800001
	s_xor_b64 s[4:5], exec, -1
; %bb.3823:
	s_or_b64 exec, exec, s[8:9]
	s_and_b64 s[4:5], s[4:5], exec
	s_or_saveexec_b64 s[6:7], s[6:7]
	v_mov_b32_e32 v4, s10
	s_xor_b64 exec, exec, s[6:7]
	s_cbranch_execz .LBB43_1774
.LBB43_3824:
	v_mov_b32_e32 v4, 0
	v_cmp_ne_u16_sdwa s[8:9], v3, v4 src0_sel:BYTE_0 src1_sel:DWORD
	s_andn2_b64 s[4:5], s[4:5], exec
	s_and_b64 s[8:9], s[8:9], exec
	s_or_b64 s[4:5], s[4:5], s[8:9]
	s_or_b64 exec, exec, s[6:7]
	s_and_saveexec_b64 s[6:7], s[4:5]
	s_cbranch_execnz .LBB43_1775
	s_branch .LBB43_1776
.LBB43_3825:
	s_movk_i32 s4, 0x80
	v_cmp_eq_u16_e32 vcc, s4, v3
	s_mov_b64 s[4:5], -1
                                        ; implicit-def: $sgpr10
	s_and_saveexec_b64 s[8:9], vcc
; %bb.3826:
	s_mov_b32 s10, 0x7f800001
	s_xor_b64 s[4:5], exec, -1
; %bb.3827:
	s_or_b64 exec, exec, s[8:9]
	s_and_b64 s[4:5], s[4:5], exec
                                        ; implicit-def: $vgpr3
	s_or_saveexec_b64 s[6:7], s[6:7]
	v_mov_b32_e32 v2, s10
	s_xor_b64 exec, exec, s[6:7]
	s_cbranch_execz .LBB43_1778
.LBB43_3828:
	v_cmp_ne_u16_e32 vcc, 0, v3
	s_andn2_b64 s[4:5], s[4:5], exec
	s_and_b64 s[8:9], vcc, exec
	v_mov_b32_e32 v2, 0
	s_or_b64 s[4:5], s[4:5], s[8:9]
	s_or_b64 exec, exec, s[6:7]
	s_and_saveexec_b64 s[6:7], s[4:5]
	s_cbranch_execnz .LBB43_1779
	s_branch .LBB43_1780
.LBB43_3829:
	s_movk_i32 s4, 0x80
	v_cmp_eq_u16_e32 vcc, s4, v3
	s_mov_b64 s[4:5], -1
                                        ; implicit-def: $sgpr10
	s_and_saveexec_b64 s[8:9], vcc
; %bb.3830:
	s_mov_b32 s10, 0x7f800001
	s_xor_b64 s[4:5], exec, -1
; %bb.3831:
	s_or_b64 exec, exec, s[8:9]
	s_and_b64 s[4:5], s[4:5], exec
                                        ; implicit-def: $vgpr3
	s_or_saveexec_b64 s[6:7], s[6:7]
	v_mov_b32_e32 v4, s10
	s_xor_b64 exec, exec, s[6:7]
	s_cbranch_execz .LBB43_1782
.LBB43_3832:
	v_cmp_ne_u16_e32 vcc, 0, v3
	s_andn2_b64 s[4:5], s[4:5], exec
	s_and_b64 s[8:9], vcc, exec
	v_mov_b32_e32 v4, 0
	s_or_b64 s[4:5], s[4:5], s[8:9]
	s_or_b64 exec, exec, s[6:7]
	s_and_saveexec_b64 s[6:7], s[4:5]
	s_cbranch_execnz .LBB43_1783
	s_branch .LBB43_1784
.LBB43_3833:
	s_movk_i32 s4, 0x80
	v_cmp_eq_u16_sdwa s[12:13], v9, s4 src0_sel:BYTE_3 src1_sel:DWORD
	s_mov_b64 s[4:5], -1
                                        ; implicit-def: $sgpr10
	s_and_saveexec_b64 s[8:9], s[12:13]
; %bb.3834:
	s_mov_b32 s10, 0x7f800001
	s_xor_b64 s[4:5], exec, -1
; %bb.3835:
	s_or_b64 exec, exec, s[8:9]
	s_and_b64 s[4:5], s[4:5], exec
	s_or_saveexec_b64 s[6:7], s[6:7]
	v_mov_b32_e32 v2, s10
	s_xor_b64 exec, exec, s[6:7]
	s_cbranch_execz .LBB43_1786
.LBB43_3836:
	v_mov_b32_e32 v2, 0
	v_cmp_ne_u16_sdwa s[8:9], v9, v2 src0_sel:BYTE_3 src1_sel:DWORD
	s_andn2_b64 s[4:5], s[4:5], exec
	s_and_b64 s[8:9], s[8:9], exec
	s_or_b64 s[4:5], s[4:5], s[8:9]
	s_or_b64 exec, exec, s[6:7]
	s_and_saveexec_b64 s[6:7], s[4:5]
	s_cbranch_execnz .LBB43_1787
	s_branch .LBB43_1788
.LBB43_3837:
	s_movk_i32 s4, 0x80
	v_cmp_eq_u16_sdwa s[12:13], v5, s4 src0_sel:BYTE_3 src1_sel:DWORD
	s_mov_b64 s[4:5], -1
                                        ; implicit-def: $sgpr10
	s_and_saveexec_b64 s[8:9], s[12:13]
; %bb.3838:
	s_mov_b32 s10, 0x7f800001
	s_xor_b64 s[4:5], exec, -1
; %bb.3839:
	s_or_b64 exec, exec, s[8:9]
	s_and_b64 s[4:5], s[4:5], exec
	s_or_saveexec_b64 s[6:7], s[6:7]
	v_mov_b32_e32 v3, s10
	s_xor_b64 exec, exec, s[6:7]
	s_cbranch_execz .LBB43_1790
.LBB43_3840:
	v_mov_b32_e32 v3, 0
	v_cmp_ne_u16_sdwa s[8:9], v5, v3 src0_sel:BYTE_3 src1_sel:DWORD
	s_andn2_b64 s[4:5], s[4:5], exec
	s_and_b64 s[8:9], s[8:9], exec
	s_or_b64 s[4:5], s[4:5], s[8:9]
	s_or_b64 exec, exec, s[6:7]
	s_and_saveexec_b64 s[6:7], s[4:5]
	s_cbranch_execnz .LBB43_1791
	s_branch .LBB43_1792
.LBB43_3841:
	s_movk_i32 s4, 0x80
	v_cmp_eq_u16_sdwa s[12:13], v12, s4 src0_sel:BYTE_0 src1_sel:DWORD
	s_mov_b64 s[4:5], -1
                                        ; implicit-def: $sgpr10
	s_and_saveexec_b64 s[8:9], s[12:13]
; %bb.3842:
	s_mov_b32 s10, 0x7f800001
	s_xor_b64 s[4:5], exec, -1
; %bb.3843:
	s_or_b64 exec, exec, s[8:9]
	s_and_b64 s[4:5], s[4:5], exec
	s_or_saveexec_b64 s[6:7], s[6:7]
	v_mov_b32_e32 v18, s10
	s_xor_b64 exec, exec, s[6:7]
	s_cbranch_execz .LBB43_1794
.LBB43_3844:
	v_mov_b32_e32 v18, 0
	v_cmp_ne_u16_sdwa s[8:9], v12, v18 src0_sel:BYTE_0 src1_sel:DWORD
	s_andn2_b64 s[4:5], s[4:5], exec
	s_and_b64 s[8:9], s[8:9], exec
	s_or_b64 s[4:5], s[4:5], s[8:9]
	s_or_b64 exec, exec, s[6:7]
	s_and_saveexec_b64 s[6:7], s[4:5]
	s_cbranch_execnz .LBB43_1795
	s_branch .LBB43_1796
.LBB43_3845:
	s_movk_i32 s4, 0x80
	v_cmp_eq_u16_sdwa s[12:13], v8, s4 src0_sel:BYTE_0 src1_sel:DWORD
	s_mov_b64 s[4:5], -1
                                        ; implicit-def: $sgpr10
	s_and_saveexec_b64 s[8:9], s[12:13]
; %bb.3846:
	s_mov_b32 s10, 0x7f800001
	s_xor_b64 s[4:5], exec, -1
; %bb.3847:
	s_or_b64 exec, exec, s[8:9]
	s_and_b64 s[4:5], s[4:5], exec
	s_or_saveexec_b64 s[6:7], s[6:7]
	v_mov_b32_e32 v19, s10
	s_xor_b64 exec, exec, s[6:7]
	s_cbranch_execz .LBB43_1798
.LBB43_3848:
	v_mov_b32_e32 v19, 0
	v_cmp_ne_u16_sdwa s[8:9], v8, v19 src0_sel:BYTE_0 src1_sel:DWORD
	s_andn2_b64 s[4:5], s[4:5], exec
	s_and_b64 s[8:9], s[8:9], exec
	s_or_b64 s[4:5], s[4:5], s[8:9]
	s_or_b64 exec, exec, s[6:7]
	s_and_saveexec_b64 s[6:7], s[4:5]
	s_cbranch_execnz .LBB43_1799
	s_branch .LBB43_1800
.LBB43_3849:
	s_movk_i32 s4, 0x80
	v_cmp_eq_u16_sdwa s[12:13], v19, s4 src0_sel:BYTE_0 src1_sel:DWORD
	s_mov_b64 s[4:5], -1
                                        ; implicit-def: $sgpr10
	s_and_saveexec_b64 s[8:9], s[12:13]
; %bb.3850:
	s_mov_b32 s10, 0x7f800001
	s_xor_b64 s[4:5], exec, -1
; %bb.3851:
	s_or_b64 exec, exec, s[8:9]
	s_and_b64 s[4:5], s[4:5], exec
	s_or_saveexec_b64 s[6:7], s[6:7]
	v_mov_b32_e32 v18, s10
	s_xor_b64 exec, exec, s[6:7]
	s_cbranch_execz .LBB43_1802
.LBB43_3852:
	v_mov_b32_e32 v18, 0
	v_cmp_ne_u16_sdwa s[8:9], v19, v18 src0_sel:BYTE_0 src1_sel:DWORD
	s_andn2_b64 s[4:5], s[4:5], exec
	s_and_b64 s[8:9], s[8:9], exec
	s_or_b64 s[4:5], s[4:5], s[8:9]
	s_or_b64 exec, exec, s[6:7]
	s_and_saveexec_b64 s[6:7], s[4:5]
	s_cbranch_execnz .LBB43_1803
	s_branch .LBB43_1804
.LBB43_3853:
	s_movk_i32 s4, 0x80
	v_cmp_eq_u16_sdwa s[12:13], v19, s4 src0_sel:BYTE_0 src1_sel:DWORD
	s_mov_b64 s[4:5], -1
                                        ; implicit-def: $sgpr10
	s_and_saveexec_b64 s[8:9], s[12:13]
; %bb.3854:
	s_mov_b32 s10, 0x7f800001
	s_xor_b64 s[4:5], exec, -1
; %bb.3855:
	s_or_b64 exec, exec, s[8:9]
	s_and_b64 s[4:5], s[4:5], exec
	s_or_saveexec_b64 s[6:7], s[6:7]
	v_mov_b32_e32 v20, s10
	s_xor_b64 exec, exec, s[6:7]
	s_cbranch_execz .LBB43_1806
.LBB43_3856:
	v_mov_b32_e32 v20, 0
	v_cmp_ne_u16_sdwa s[8:9], v19, v20 src0_sel:BYTE_0 src1_sel:DWORD
	s_andn2_b64 s[4:5], s[4:5], exec
	s_and_b64 s[8:9], s[8:9], exec
	s_or_b64 s[4:5], s[4:5], s[8:9]
	s_or_b64 exec, exec, s[6:7]
	s_and_saveexec_b64 s[6:7], s[4:5]
	s_cbranch_execnz .LBB43_1807
	s_branch .LBB43_1808
.LBB43_3857:
	s_movk_i32 s4, 0x80
	v_cmp_eq_u16_e32 vcc, s4, v19
	s_mov_b64 s[4:5], -1
                                        ; implicit-def: $sgpr10
	s_and_saveexec_b64 s[8:9], vcc
; %bb.3858:
	s_mov_b32 s10, 0x7f800001
	s_xor_b64 s[4:5], exec, -1
; %bb.3859:
	s_or_b64 exec, exec, s[8:9]
	s_and_b64 s[4:5], s[4:5], exec
                                        ; implicit-def: $vgpr19
	s_or_saveexec_b64 s[6:7], s[6:7]
	v_mov_b32_e32 v18, s10
	s_xor_b64 exec, exec, s[6:7]
	s_cbranch_execz .LBB43_1810
.LBB43_3860:
	v_cmp_ne_u16_e32 vcc, 0, v19
	s_andn2_b64 s[4:5], s[4:5], exec
	s_and_b64 s[8:9], vcc, exec
	v_mov_b32_e32 v18, 0
	s_or_b64 s[4:5], s[4:5], s[8:9]
	s_or_b64 exec, exec, s[6:7]
	s_and_saveexec_b64 s[6:7], s[4:5]
	s_cbranch_execnz .LBB43_1811
	s_branch .LBB43_1812
.LBB43_3861:
	s_movk_i32 s4, 0x80
	v_cmp_eq_u16_e32 vcc, s4, v19
	s_mov_b64 s[4:5], -1
                                        ; implicit-def: $sgpr10
	s_and_saveexec_b64 s[8:9], vcc
; %bb.3862:
	s_mov_b32 s10, 0x7f800001
	s_xor_b64 s[4:5], exec, -1
; %bb.3863:
	s_or_b64 exec, exec, s[8:9]
	s_and_b64 s[4:5], s[4:5], exec
                                        ; implicit-def: $vgpr19
	s_or_saveexec_b64 s[6:7], s[6:7]
	v_mov_b32_e32 v20, s10
	s_xor_b64 exec, exec, s[6:7]
	s_cbranch_execz .LBB43_1814
.LBB43_3864:
	v_cmp_ne_u16_e32 vcc, 0, v19
	s_andn2_b64 s[4:5], s[4:5], exec
	s_and_b64 s[8:9], vcc, exec
	v_mov_b32_e32 v20, 0
	s_or_b64 s[4:5], s[4:5], s[8:9]
	s_or_b64 exec, exec, s[6:7]
	s_and_saveexec_b64 s[6:7], s[4:5]
	s_cbranch_execnz .LBB43_1815
	s_branch .LBB43_1816
.LBB43_3865:
	s_movk_i32 s4, 0x80
	v_cmp_eq_u16_sdwa s[12:13], v12, s4 src0_sel:BYTE_3 src1_sel:DWORD
	s_mov_b64 s[4:5], -1
                                        ; implicit-def: $sgpr10
	s_and_saveexec_b64 s[8:9], s[12:13]
; %bb.3866:
	s_mov_b32 s10, 0x7f800001
	s_xor_b64 s[4:5], exec, -1
; %bb.3867:
	s_or_b64 exec, exec, s[8:9]
	s_and_b64 s[4:5], s[4:5], exec
	s_or_saveexec_b64 s[6:7], s[6:7]
	v_mov_b32_e32 v18, s10
	s_xor_b64 exec, exec, s[6:7]
	s_cbranch_execz .LBB43_1818
.LBB43_3868:
	v_mov_b32_e32 v18, 0
	v_cmp_ne_u16_sdwa s[8:9], v12, v18 src0_sel:BYTE_3 src1_sel:DWORD
	s_andn2_b64 s[4:5], s[4:5], exec
	s_and_b64 s[8:9], s[8:9], exec
	s_or_b64 s[4:5], s[4:5], s[8:9]
	s_or_b64 exec, exec, s[6:7]
	s_and_saveexec_b64 s[6:7], s[4:5]
	s_cbranch_execnz .LBB43_1819
	s_branch .LBB43_1820
.LBB43_3869:
	s_movk_i32 s4, 0x80
	v_cmp_eq_u16_sdwa s[12:13], v8, s4 src0_sel:BYTE_3 src1_sel:DWORD
	s_mov_b64 s[4:5], -1
                                        ; implicit-def: $sgpr10
	s_and_saveexec_b64 s[8:9], s[12:13]
; %bb.3870:
	s_mov_b32 s10, 0x7f800001
	s_xor_b64 s[4:5], exec, -1
; %bb.3871:
	s_or_b64 exec, exec, s[8:9]
	s_and_b64 s[4:5], s[4:5], exec
	s_or_saveexec_b64 s[6:7], s[6:7]
	v_mov_b32_e32 v12, s10
	s_xor_b64 exec, exec, s[6:7]
	s_cbranch_execz .LBB43_1822
.LBB43_3872:
	v_mov_b32_e32 v12, 0
	v_cmp_ne_u16_sdwa s[8:9], v8, v12 src0_sel:BYTE_3 src1_sel:DWORD
	s_andn2_b64 s[4:5], s[4:5], exec
	s_and_b64 s[8:9], s[8:9], exec
	s_or_b64 s[4:5], s[4:5], s[8:9]
	s_or_b64 exec, exec, s[6:7]
	s_and_saveexec_b64 s[6:7], s[4:5]
	s_cbranch_execnz .LBB43_1823
	s_branch .LBB43_1824
.LBB43_3873:
	s_movk_i32 s4, 0x80
	v_cmp_eq_u16_sdwa s[12:13], v13, s4 src0_sel:BYTE_0 src1_sel:DWORD
	s_mov_b64 s[4:5], -1
                                        ; implicit-def: $sgpr10
	s_and_saveexec_b64 s[8:9], s[12:13]
; %bb.3874:
	s_mov_b32 s10, 0x7f800001
	s_xor_b64 s[4:5], exec, -1
; %bb.3875:
	s_or_b64 exec, exec, s[8:9]
	s_and_b64 s[4:5], s[4:5], exec
	s_or_saveexec_b64 s[6:7], s[6:7]
	v_mov_b32_e32 v8, s10
	s_xor_b64 exec, exec, s[6:7]
	s_cbranch_execz .LBB43_1826
.LBB43_3876:
	v_mov_b32_e32 v8, 0
	v_cmp_ne_u16_sdwa s[8:9], v13, v8 src0_sel:BYTE_0 src1_sel:DWORD
	s_andn2_b64 s[4:5], s[4:5], exec
	s_and_b64 s[8:9], s[8:9], exec
	s_or_b64 s[4:5], s[4:5], s[8:9]
	s_or_b64 exec, exec, s[6:7]
	s_and_saveexec_b64 s[6:7], s[4:5]
	s_cbranch_execnz .LBB43_1827
	s_branch .LBB43_1828
.LBB43_3877:
	s_movk_i32 s4, 0x80
	v_cmp_eq_u16_sdwa s[12:13], v9, s4 src0_sel:BYTE_0 src1_sel:DWORD
	s_mov_b64 s[4:5], -1
                                        ; implicit-def: $sgpr10
	s_and_saveexec_b64 s[8:9], s[12:13]
; %bb.3878:
	s_mov_b32 s10, 0x7f800001
	s_xor_b64 s[4:5], exec, -1
; %bb.3879:
	s_or_b64 exec, exec, s[8:9]
	s_and_b64 s[4:5], s[4:5], exec
	s_or_saveexec_b64 s[6:7], s[6:7]
	v_mov_b32_e32 v12, s10
	s_xor_b64 exec, exec, s[6:7]
	s_cbranch_execz .LBB43_1830
.LBB43_3880:
	v_mov_b32_e32 v12, 0
	v_cmp_ne_u16_sdwa s[8:9], v9, v12 src0_sel:BYTE_0 src1_sel:DWORD
	s_andn2_b64 s[4:5], s[4:5], exec
	s_and_b64 s[8:9], s[8:9], exec
	s_or_b64 s[4:5], s[4:5], s[8:9]
	s_or_b64 exec, exec, s[6:7]
	s_and_saveexec_b64 s[6:7], s[4:5]
	s_cbranch_execnz .LBB43_1831
	s_branch .LBB43_1832
.LBB43_3881:
	s_movk_i32 s4, 0x80
	v_cmp_eq_u16_sdwa s[12:13], v12, s4 src0_sel:BYTE_0 src1_sel:DWORD
	s_mov_b64 s[4:5], -1
                                        ; implicit-def: $sgpr10
	s_and_saveexec_b64 s[8:9], s[12:13]
; %bb.3882:
	s_mov_b32 s10, 0x7f800001
	s_xor_b64 s[4:5], exec, -1
; %bb.3883:
	s_or_b64 exec, exec, s[8:9]
	s_and_b64 s[4:5], s[4:5], exec
	s_or_saveexec_b64 s[6:7], s[6:7]
	v_mov_b32_e32 v8, s10
	s_xor_b64 exec, exec, s[6:7]
	s_cbranch_execz .LBB43_1834
.LBB43_3884:
	v_mov_b32_e32 v8, 0
	v_cmp_ne_u16_sdwa s[8:9], v12, v8 src0_sel:BYTE_0 src1_sel:DWORD
	s_andn2_b64 s[4:5], s[4:5], exec
	s_and_b64 s[8:9], s[8:9], exec
	s_or_b64 s[4:5], s[4:5], s[8:9]
	s_or_b64 exec, exec, s[6:7]
	s_and_saveexec_b64 s[6:7], s[4:5]
	s_cbranch_execnz .LBB43_1835
	s_branch .LBB43_1836
.LBB43_3885:
	s_movk_i32 s4, 0x80
	v_cmp_eq_u16_sdwa s[12:13], v12, s4 src0_sel:BYTE_0 src1_sel:DWORD
	s_mov_b64 s[4:5], -1
                                        ; implicit-def: $sgpr10
	s_and_saveexec_b64 s[8:9], s[12:13]
; %bb.3886:
	s_mov_b32 s10, 0x7f800001
	s_xor_b64 s[4:5], exec, -1
; %bb.3887:
	s_or_b64 exec, exec, s[8:9]
	s_and_b64 s[4:5], s[4:5], exec
	s_or_saveexec_b64 s[6:7], s[6:7]
	v_mov_b32_e32 v18, s10
	s_xor_b64 exec, exec, s[6:7]
	s_cbranch_execz .LBB43_1838
.LBB43_3888:
	v_mov_b32_e32 v18, 0
	v_cmp_ne_u16_sdwa s[8:9], v12, v18 src0_sel:BYTE_0 src1_sel:DWORD
	s_andn2_b64 s[4:5], s[4:5], exec
	s_and_b64 s[8:9], s[8:9], exec
	s_or_b64 s[4:5], s[4:5], s[8:9]
	s_or_b64 exec, exec, s[6:7]
	s_and_saveexec_b64 s[6:7], s[4:5]
	s_cbranch_execnz .LBB43_1839
	s_branch .LBB43_1840
.LBB43_3889:
	s_movk_i32 s4, 0x80
	v_cmp_eq_u16_e32 vcc, s4, v12
	s_mov_b64 s[4:5], -1
                                        ; implicit-def: $sgpr10
	s_and_saveexec_b64 s[8:9], vcc
; %bb.3890:
	s_mov_b32 s10, 0x7f800001
	s_xor_b64 s[4:5], exec, -1
; %bb.3891:
	s_or_b64 exec, exec, s[8:9]
	s_and_b64 s[4:5], s[4:5], exec
                                        ; implicit-def: $vgpr12
	s_or_saveexec_b64 s[6:7], s[6:7]
	v_mov_b32_e32 v8, s10
	s_xor_b64 exec, exec, s[6:7]
	s_cbranch_execz .LBB43_1842
.LBB43_3892:
	v_cmp_ne_u16_e32 vcc, 0, v12
	s_andn2_b64 s[4:5], s[4:5], exec
	s_and_b64 s[8:9], vcc, exec
	v_mov_b32_e32 v8, 0
	s_or_b64 s[4:5], s[4:5], s[8:9]
	s_or_b64 exec, exec, s[6:7]
	s_and_saveexec_b64 s[6:7], s[4:5]
	s_cbranch_execnz .LBB43_1843
	s_branch .LBB43_1844
.LBB43_3893:
	s_movk_i32 s4, 0x80
	v_cmp_eq_u16_e32 vcc, s4, v12
	s_mov_b64 s[4:5], -1
                                        ; implicit-def: $sgpr10
	s_and_saveexec_b64 s[8:9], vcc
; %bb.3894:
	s_mov_b32 s10, 0x7f800001
	s_xor_b64 s[4:5], exec, -1
; %bb.3895:
	s_or_b64 exec, exec, s[8:9]
	s_and_b64 s[4:5], s[4:5], exec
                                        ; implicit-def: $vgpr12
	s_or_saveexec_b64 s[6:7], s[6:7]
	v_mov_b32_e32 v18, s10
	s_xor_b64 exec, exec, s[6:7]
	s_cbranch_execz .LBB43_1846
.LBB43_3896:
	v_cmp_ne_u16_e32 vcc, 0, v12
	s_andn2_b64 s[4:5], s[4:5], exec
	s_and_b64 s[8:9], vcc, exec
	v_mov_b32_e32 v18, 0
	s_or_b64 s[4:5], s[4:5], s[8:9]
	s_or_b64 exec, exec, s[6:7]
	s_and_saveexec_b64 s[6:7], s[4:5]
	s_cbranch_execnz .LBB43_1847
	s_branch .LBB43_1848
.LBB43_3897:
	s_movk_i32 s4, 0x80
	v_cmp_eq_u16_sdwa s[12:13], v13, s4 src0_sel:BYTE_3 src1_sel:DWORD
	s_mov_b64 s[4:5], -1
                                        ; implicit-def: $sgpr10
	s_and_saveexec_b64 s[8:9], s[12:13]
; %bb.3898:
	s_mov_b32 s10, 0x7f800001
	s_xor_b64 s[4:5], exec, -1
; %bb.3899:
	s_or_b64 exec, exec, s[8:9]
	s_and_b64 s[4:5], s[4:5], exec
	s_or_saveexec_b64 s[6:7], s[6:7]
	v_mov_b32_e32 v8, s10
	s_xor_b64 exec, exec, s[6:7]
	s_cbranch_execz .LBB43_1850
.LBB43_3900:
	v_mov_b32_e32 v8, 0
	v_cmp_ne_u16_sdwa s[8:9], v13, v8 src0_sel:BYTE_3 src1_sel:DWORD
	s_andn2_b64 s[4:5], s[4:5], exec
	s_and_b64 s[8:9], s[8:9], exec
	s_or_b64 s[4:5], s[4:5], s[8:9]
	s_or_b64 exec, exec, s[6:7]
	s_and_saveexec_b64 s[6:7], s[4:5]
	s_cbranch_execnz .LBB43_1851
	s_branch .LBB43_1852
.LBB43_3901:
	s_movk_i32 s4, 0x80
	v_cmp_eq_u16_sdwa s[12:13], v9, s4 src0_sel:BYTE_3 src1_sel:DWORD
	s_mov_b64 s[4:5], -1
                                        ; implicit-def: $sgpr10
	s_and_saveexec_b64 s[8:9], s[12:13]
; %bb.3902:
	s_mov_b32 s10, 0x7f800001
	s_xor_b64 s[4:5], exec, -1
; %bb.3903:
	s_or_b64 exec, exec, s[8:9]
	s_and_b64 s[4:5], s[4:5], exec
	s_or_saveexec_b64 s[6:7], s[6:7]
	v_mov_b32_e32 v12, s10
	s_xor_b64 exec, exec, s[6:7]
	s_cbranch_execz .LBB43_1854
.LBB43_3904:
	v_mov_b32_e32 v12, 0
	v_cmp_ne_u16_sdwa s[8:9], v9, v12 src0_sel:BYTE_3 src1_sel:DWORD
	s_andn2_b64 s[4:5], s[4:5], exec
	s_and_b64 s[8:9], s[8:9], exec
	s_or_b64 s[4:5], s[4:5], s[8:9]
	s_or_b64 exec, exec, s[6:7]
	s_and_saveexec_b64 s[6:7], s[4:5]
	s_cbranch_execnz .LBB43_1855
	s_branch .LBB43_1856
.LBB43_3905:
	s_movk_i32 s4, 0x80
	v_cmp_eq_u16_sdwa s[12:13], v14, s4 src0_sel:BYTE_0 src1_sel:DWORD
	s_mov_b64 s[4:5], -1
                                        ; implicit-def: $sgpr10
	s_and_saveexec_b64 s[8:9], s[12:13]
; %bb.3906:
	s_mov_b32 s10, 0x7f800001
	s_xor_b64 s[4:5], exec, -1
; %bb.3907:
	s_or_b64 exec, exec, s[8:9]
	s_and_b64 s[4:5], s[4:5], exec
	s_or_saveexec_b64 s[6:7], s[6:7]
	v_mov_b32_e32 v8, s10
	s_xor_b64 exec, exec, s[6:7]
	s_cbranch_execz .LBB43_1858
.LBB43_3908:
	v_mov_b32_e32 v8, 0
	v_cmp_ne_u16_sdwa s[8:9], v14, v8 src0_sel:BYTE_0 src1_sel:DWORD
	s_andn2_b64 s[4:5], s[4:5], exec
	s_and_b64 s[8:9], s[8:9], exec
	s_or_b64 s[4:5], s[4:5], s[8:9]
	s_or_b64 exec, exec, s[6:7]
	s_and_saveexec_b64 s[6:7], s[4:5]
	s_cbranch_execnz .LBB43_1859
	s_branch .LBB43_1860
.LBB43_3909:
	s_movk_i32 s4, 0x80
	v_cmp_eq_u16_sdwa s[12:13], v10, s4 src0_sel:BYTE_0 src1_sel:DWORD
	s_mov_b64 s[4:5], -1
                                        ; implicit-def: $sgpr10
	s_and_saveexec_b64 s[8:9], s[12:13]
; %bb.3910:
	s_mov_b32 s10, 0x7f800001
	s_xor_b64 s[4:5], exec, -1
; %bb.3911:
	s_or_b64 exec, exec, s[8:9]
	s_and_b64 s[4:5], s[4:5], exec
	s_or_saveexec_b64 s[6:7], s[6:7]
	v_mov_b32_e32 v9, s10
	s_xor_b64 exec, exec, s[6:7]
	s_cbranch_execz .LBB43_1862
.LBB43_3912:
	v_mov_b32_e32 v9, 0
	v_cmp_ne_u16_sdwa s[8:9], v10, v9 src0_sel:BYTE_0 src1_sel:DWORD
	s_andn2_b64 s[4:5], s[4:5], exec
	s_and_b64 s[8:9], s[8:9], exec
	s_or_b64 s[4:5], s[4:5], s[8:9]
	s_or_b64 exec, exec, s[6:7]
	s_and_saveexec_b64 s[6:7], s[4:5]
	s_cbranch_execnz .LBB43_1863
	s_branch .LBB43_1864
.LBB43_3913:
	s_movk_i32 s4, 0x80
	v_cmp_eq_u16_sdwa s[12:13], v9, s4 src0_sel:BYTE_0 src1_sel:DWORD
	s_mov_b64 s[4:5], -1
                                        ; implicit-def: $sgpr10
	s_and_saveexec_b64 s[8:9], s[12:13]
; %bb.3914:
	s_mov_b32 s10, 0x7f800001
	s_xor_b64 s[4:5], exec, -1
; %bb.3915:
	s_or_b64 exec, exec, s[8:9]
	s_and_b64 s[4:5], s[4:5], exec
	s_or_saveexec_b64 s[6:7], s[6:7]
	v_mov_b32_e32 v8, s10
	s_xor_b64 exec, exec, s[6:7]
	s_cbranch_execz .LBB43_1866
.LBB43_3916:
	v_mov_b32_e32 v8, 0
	v_cmp_ne_u16_sdwa s[8:9], v9, v8 src0_sel:BYTE_0 src1_sel:DWORD
	s_andn2_b64 s[4:5], s[4:5], exec
	s_and_b64 s[8:9], s[8:9], exec
	s_or_b64 s[4:5], s[4:5], s[8:9]
	s_or_b64 exec, exec, s[6:7]
	s_and_saveexec_b64 s[6:7], s[4:5]
	s_cbranch_execnz .LBB43_1867
	s_branch .LBB43_1868
.LBB43_3917:
	s_movk_i32 s4, 0x80
	v_cmp_eq_u16_sdwa s[12:13], v9, s4 src0_sel:BYTE_0 src1_sel:DWORD
	s_mov_b64 s[4:5], -1
                                        ; implicit-def: $sgpr10
	s_and_saveexec_b64 s[8:9], s[12:13]
; %bb.3918:
	s_mov_b32 s10, 0x7f800001
	s_xor_b64 s[4:5], exec, -1
; %bb.3919:
	s_or_b64 exec, exec, s[8:9]
	s_and_b64 s[4:5], s[4:5], exec
	s_or_saveexec_b64 s[6:7], s[6:7]
	v_mov_b32_e32 v12, s10
	s_xor_b64 exec, exec, s[6:7]
	s_cbranch_execz .LBB43_1870
.LBB43_3920:
	v_mov_b32_e32 v12, 0
	v_cmp_ne_u16_sdwa s[8:9], v9, v12 src0_sel:BYTE_0 src1_sel:DWORD
	s_andn2_b64 s[4:5], s[4:5], exec
	s_and_b64 s[8:9], s[8:9], exec
	s_or_b64 s[4:5], s[4:5], s[8:9]
	s_or_b64 exec, exec, s[6:7]
	s_and_saveexec_b64 s[6:7], s[4:5]
	s_cbranch_execnz .LBB43_1871
	s_branch .LBB43_1872
.LBB43_3921:
	s_movk_i32 s4, 0x80
	v_cmp_eq_u16_e32 vcc, s4, v9
	s_mov_b64 s[4:5], -1
                                        ; implicit-def: $sgpr10
	s_and_saveexec_b64 s[8:9], vcc
; %bb.3922:
	s_mov_b32 s10, 0x7f800001
	s_xor_b64 s[4:5], exec, -1
; %bb.3923:
	s_or_b64 exec, exec, s[8:9]
	s_and_b64 s[4:5], s[4:5], exec
                                        ; implicit-def: $vgpr9
	s_or_saveexec_b64 s[6:7], s[6:7]
	v_mov_b32_e32 v8, s10
	s_xor_b64 exec, exec, s[6:7]
	s_cbranch_execz .LBB43_1874
.LBB43_3924:
	v_cmp_ne_u16_e32 vcc, 0, v9
	s_andn2_b64 s[4:5], s[4:5], exec
	s_and_b64 s[8:9], vcc, exec
	v_mov_b32_e32 v8, 0
	s_or_b64 s[4:5], s[4:5], s[8:9]
	s_or_b64 exec, exec, s[6:7]
	s_and_saveexec_b64 s[6:7], s[4:5]
	s_cbranch_execnz .LBB43_1875
	s_branch .LBB43_1876
.LBB43_3925:
	s_movk_i32 s4, 0x80
	v_cmp_eq_u16_e32 vcc, s4, v9
	s_mov_b64 s[4:5], -1
                                        ; implicit-def: $sgpr10
	s_and_saveexec_b64 s[8:9], vcc
; %bb.3926:
	s_mov_b32 s10, 0x7f800001
	s_xor_b64 s[4:5], exec, -1
; %bb.3927:
	s_or_b64 exec, exec, s[8:9]
	s_and_b64 s[4:5], s[4:5], exec
                                        ; implicit-def: $vgpr9
	s_or_saveexec_b64 s[6:7], s[6:7]
	v_mov_b32_e32 v12, s10
	s_xor_b64 exec, exec, s[6:7]
	s_cbranch_execz .LBB43_1878
.LBB43_3928:
	v_cmp_ne_u16_e32 vcc, 0, v9
	s_andn2_b64 s[4:5], s[4:5], exec
	s_and_b64 s[8:9], vcc, exec
	v_mov_b32_e32 v12, 0
	s_or_b64 s[4:5], s[4:5], s[8:9]
	s_or_b64 exec, exec, s[6:7]
	s_and_saveexec_b64 s[6:7], s[4:5]
	s_cbranch_execnz .LBB43_1879
	s_branch .LBB43_1880
.LBB43_3929:
	s_movk_i32 s4, 0x80
	v_cmp_eq_u16_sdwa s[12:13], v14, s4 src0_sel:BYTE_3 src1_sel:DWORD
	s_mov_b64 s[4:5], -1
                                        ; implicit-def: $sgpr10
	s_and_saveexec_b64 s[8:9], s[12:13]
; %bb.3930:
	s_mov_b32 s10, 0x7f800001
	s_xor_b64 s[4:5], exec, -1
; %bb.3931:
	s_or_b64 exec, exec, s[8:9]
	s_and_b64 s[4:5], s[4:5], exec
	s_or_saveexec_b64 s[6:7], s[6:7]
	v_mov_b32_e32 v8, s10
	s_xor_b64 exec, exec, s[6:7]
	s_cbranch_execz .LBB43_1882
.LBB43_3932:
	v_mov_b32_e32 v8, 0
	v_cmp_ne_u16_sdwa s[8:9], v14, v8 src0_sel:BYTE_3 src1_sel:DWORD
	s_andn2_b64 s[4:5], s[4:5], exec
	s_and_b64 s[8:9], s[8:9], exec
	s_or_b64 s[4:5], s[4:5], s[8:9]
	s_or_b64 exec, exec, s[6:7]
	s_and_saveexec_b64 s[6:7], s[4:5]
	s_cbranch_execnz .LBB43_1883
	s_branch .LBB43_1884
.LBB43_3933:
	s_movk_i32 s4, 0x80
	v_cmp_eq_u16_sdwa s[12:13], v10, s4 src0_sel:BYTE_3 src1_sel:DWORD
	s_mov_b64 s[4:5], -1
                                        ; implicit-def: $sgpr10
	s_and_saveexec_b64 s[8:9], s[12:13]
; %bb.3934:
	s_mov_b32 s10, 0x7f800001
	s_xor_b64 s[4:5], exec, -1
; %bb.3935:
	s_or_b64 exec, exec, s[8:9]
	s_and_b64 s[4:5], s[4:5], exec
	s_or_saveexec_b64 s[6:7], s[6:7]
	v_mov_b32_e32 v9, s10
	s_xor_b64 exec, exec, s[6:7]
	s_cbranch_execz .LBB43_1886
.LBB43_3936:
	v_mov_b32_e32 v9, 0
	v_cmp_ne_u16_sdwa s[8:9], v10, v9 src0_sel:BYTE_3 src1_sel:DWORD
	s_andn2_b64 s[4:5], s[4:5], exec
	s_and_b64 s[8:9], s[8:9], exec
	s_or_b64 s[4:5], s[4:5], s[8:9]
	s_or_b64 exec, exec, s[6:7]
	s_and_saveexec_b64 s[6:7], s[4:5]
	s_cbranch_execnz .LBB43_1887
	s_branch .LBB43_1888
.LBB43_3937:
	s_movk_i32 s4, 0x80
	v_cmp_eq_u16_sdwa s[12:13], v15, s4 src0_sel:BYTE_0 src1_sel:DWORD
	s_mov_b64 s[4:5], -1
                                        ; implicit-def: $sgpr10
	s_and_saveexec_b64 s[8:9], s[12:13]
; %bb.3938:
	s_mov_b32 s10, 0x7f800001
	s_xor_b64 s[4:5], exec, -1
; %bb.3939:
	s_or_b64 exec, exec, s[8:9]
	s_and_b64 s[4:5], s[4:5], exec
	s_or_saveexec_b64 s[6:7], s[6:7]
	v_mov_b32_e32 v8, s10
	s_xor_b64 exec, exec, s[6:7]
	s_cbranch_execz .LBB43_1890
.LBB43_3940:
	v_mov_b32_e32 v8, 0
	v_cmp_ne_u16_sdwa s[8:9], v15, v8 src0_sel:BYTE_0 src1_sel:DWORD
	s_andn2_b64 s[4:5], s[4:5], exec
	s_and_b64 s[8:9], s[8:9], exec
	s_or_b64 s[4:5], s[4:5], s[8:9]
	s_or_b64 exec, exec, s[6:7]
	s_and_saveexec_b64 s[6:7], s[4:5]
	s_cbranch_execnz .LBB43_1891
	s_branch .LBB43_1892
.LBB43_3941:
	s_movk_i32 s4, 0x80
	v_cmp_eq_u16_sdwa s[12:13], v11, s4 src0_sel:BYTE_0 src1_sel:DWORD
	s_mov_b64 s[4:5], -1
                                        ; implicit-def: $sgpr10
	s_and_saveexec_b64 s[8:9], s[12:13]
; %bb.3942:
	s_mov_b32 s10, 0x7f800001
	s_xor_b64 s[4:5], exec, -1
; %bb.3943:
	s_or_b64 exec, exec, s[8:9]
	s_and_b64 s[4:5], s[4:5], exec
	s_or_saveexec_b64 s[6:7], s[6:7]
	v_mov_b32_e32 v9, s10
	s_xor_b64 exec, exec, s[6:7]
	s_cbranch_execz .LBB43_1894
.LBB43_3944:
	v_mov_b32_e32 v9, 0
	v_cmp_ne_u16_sdwa s[8:9], v11, v9 src0_sel:BYTE_0 src1_sel:DWORD
	s_andn2_b64 s[4:5], s[4:5], exec
	s_and_b64 s[8:9], s[8:9], exec
	s_or_b64 s[4:5], s[4:5], s[8:9]
	s_or_b64 exec, exec, s[6:7]
	s_and_saveexec_b64 s[6:7], s[4:5]
	s_cbranch_execnz .LBB43_1895
	s_branch .LBB43_1896
.LBB43_3945:
	s_movk_i32 s4, 0x80
	v_cmp_eq_u16_sdwa s[12:13], v9, s4 src0_sel:BYTE_0 src1_sel:DWORD
	s_mov_b64 s[4:5], -1
                                        ; implicit-def: $sgpr10
	s_and_saveexec_b64 s[8:9], s[12:13]
; %bb.3946:
	s_mov_b32 s10, 0x7f800001
	s_xor_b64 s[4:5], exec, -1
; %bb.3947:
	s_or_b64 exec, exec, s[8:9]
	s_and_b64 s[4:5], s[4:5], exec
	s_or_saveexec_b64 s[6:7], s[6:7]
	v_mov_b32_e32 v8, s10
	s_xor_b64 exec, exec, s[6:7]
	s_cbranch_execz .LBB43_1898
.LBB43_3948:
	v_mov_b32_e32 v8, 0
	v_cmp_ne_u16_sdwa s[8:9], v9, v8 src0_sel:BYTE_0 src1_sel:DWORD
	s_andn2_b64 s[4:5], s[4:5], exec
	s_and_b64 s[8:9], s[8:9], exec
	s_or_b64 s[4:5], s[4:5], s[8:9]
	s_or_b64 exec, exec, s[6:7]
	s_and_saveexec_b64 s[6:7], s[4:5]
	s_cbranch_execnz .LBB43_1899
	s_branch .LBB43_1900
.LBB43_3949:
	s_movk_i32 s4, 0x80
	v_cmp_eq_u16_sdwa s[12:13], v9, s4 src0_sel:BYTE_0 src1_sel:DWORD
	s_mov_b64 s[4:5], -1
                                        ; implicit-def: $sgpr10
	s_and_saveexec_b64 s[8:9], s[12:13]
; %bb.3950:
	s_mov_b32 s10, 0x7f800001
	s_xor_b64 s[4:5], exec, -1
; %bb.3951:
	s_or_b64 exec, exec, s[8:9]
	s_and_b64 s[4:5], s[4:5], exec
	s_or_saveexec_b64 s[6:7], s[6:7]
	v_mov_b32_e32 v10, s10
	s_xor_b64 exec, exec, s[6:7]
	s_cbranch_execz .LBB43_1902
.LBB43_3952:
	v_mov_b32_e32 v10, 0
	v_cmp_ne_u16_sdwa s[8:9], v9, v10 src0_sel:BYTE_0 src1_sel:DWORD
	s_andn2_b64 s[4:5], s[4:5], exec
	s_and_b64 s[8:9], s[8:9], exec
	s_or_b64 s[4:5], s[4:5], s[8:9]
	s_or_b64 exec, exec, s[6:7]
	s_and_saveexec_b64 s[6:7], s[4:5]
	s_cbranch_execnz .LBB43_1903
	s_branch .LBB43_1904
.LBB43_3953:
	s_movk_i32 s4, 0x80
	v_cmp_eq_u16_e32 vcc, s4, v9
	s_mov_b64 s[4:5], -1
                                        ; implicit-def: $sgpr10
	s_and_saveexec_b64 s[8:9], vcc
; %bb.3954:
	s_mov_b32 s10, 0x7f800001
	s_xor_b64 s[4:5], exec, -1
; %bb.3955:
	s_or_b64 exec, exec, s[8:9]
	s_and_b64 s[4:5], s[4:5], exec
                                        ; implicit-def: $vgpr9
	s_or_saveexec_b64 s[6:7], s[6:7]
	v_mov_b32_e32 v8, s10
	s_xor_b64 exec, exec, s[6:7]
	s_cbranch_execz .LBB43_1906
.LBB43_3956:
	v_cmp_ne_u16_e32 vcc, 0, v9
	s_andn2_b64 s[4:5], s[4:5], exec
	s_and_b64 s[8:9], vcc, exec
	v_mov_b32_e32 v8, 0
	s_or_b64 s[4:5], s[4:5], s[8:9]
	s_or_b64 exec, exec, s[6:7]
	s_and_saveexec_b64 s[6:7], s[4:5]
	s_cbranch_execnz .LBB43_1907
	s_branch .LBB43_1908
.LBB43_3957:
	s_movk_i32 s4, 0x80
	v_cmp_eq_u16_e32 vcc, s4, v9
	s_mov_b64 s[4:5], -1
                                        ; implicit-def: $sgpr10
	s_and_saveexec_b64 s[8:9], vcc
; %bb.3958:
	s_mov_b32 s10, 0x7f800001
	s_xor_b64 s[4:5], exec, -1
; %bb.3959:
	s_or_b64 exec, exec, s[8:9]
	s_and_b64 s[4:5], s[4:5], exec
                                        ; implicit-def: $vgpr9
	s_or_saveexec_b64 s[6:7], s[6:7]
	v_mov_b32_e32 v10, s10
	s_xor_b64 exec, exec, s[6:7]
	s_cbranch_execz .LBB43_1910
.LBB43_3960:
	v_cmp_ne_u16_e32 vcc, 0, v9
	s_andn2_b64 s[4:5], s[4:5], exec
	s_and_b64 s[8:9], vcc, exec
	v_mov_b32_e32 v10, 0
	s_or_b64 s[4:5], s[4:5], s[8:9]
	s_or_b64 exec, exec, s[6:7]
	s_and_saveexec_b64 s[6:7], s[4:5]
	s_cbranch_execnz .LBB43_1911
	s_branch .LBB43_1912
.LBB43_3961:
	s_movk_i32 s4, 0x80
	v_cmp_eq_u16_sdwa s[12:13], v15, s4 src0_sel:BYTE_3 src1_sel:DWORD
	s_mov_b64 s[4:5], -1
                                        ; implicit-def: $sgpr10
	s_and_saveexec_b64 s[8:9], s[12:13]
; %bb.3962:
	s_mov_b32 s10, 0x7f800001
	s_xor_b64 s[4:5], exec, -1
; %bb.3963:
	s_or_b64 exec, exec, s[8:9]
	s_and_b64 s[4:5], s[4:5], exec
	s_or_saveexec_b64 s[6:7], s[6:7]
	v_mov_b32_e32 v8, s10
	s_xor_b64 exec, exec, s[6:7]
	s_cbranch_execz .LBB43_1914
.LBB43_3964:
	v_mov_b32_e32 v8, 0
	v_cmp_ne_u16_sdwa s[8:9], v15, v8 src0_sel:BYTE_3 src1_sel:DWORD
	s_andn2_b64 s[4:5], s[4:5], exec
	s_and_b64 s[8:9], s[8:9], exec
	s_or_b64 s[4:5], s[4:5], s[8:9]
	s_or_b64 exec, exec, s[6:7]
	s_and_saveexec_b64 s[6:7], s[4:5]
	s_cbranch_execnz .LBB43_1915
	s_branch .LBB43_1916
.LBB43_3965:
	s_movk_i32 s4, 0x80
	v_cmp_eq_u16_sdwa s[12:13], v11, s4 src0_sel:BYTE_3 src1_sel:DWORD
	s_mov_b64 s[4:5], -1
                                        ; implicit-def: $sgpr10
	s_and_saveexec_b64 s[8:9], s[12:13]
; %bb.3966:
	s_mov_b32 s10, 0x7f800001
	s_xor_b64 s[4:5], exec, -1
; %bb.3967:
	s_or_b64 exec, exec, s[8:9]
	s_and_b64 s[4:5], s[4:5], exec
	s_or_saveexec_b64 s[6:7], s[6:7]
	v_mov_b32_e32 v9, s10
	s_xor_b64 exec, exec, s[6:7]
	s_cbranch_execz .LBB43_1918
.LBB43_3968:
	v_mov_b32_e32 v9, 0
	v_cmp_ne_u16_sdwa s[8:9], v11, v9 src0_sel:BYTE_3 src1_sel:DWORD
	s_andn2_b64 s[4:5], s[4:5], exec
	s_and_b64 s[8:9], s[8:9], exec
	s_or_b64 s[4:5], s[4:5], s[8:9]
	s_or_b64 exec, exec, s[6:7]
	s_and_saveexec_b64 s[6:7], s[4:5]
	s_cbranch_execnz .LBB43_1919
	s_branch .LBB43_1920
.LBB43_3969:
	s_movk_i32 s4, 0x80
	v_cmp_eq_u16_sdwa s[12:13], v4, s4 src0_sel:BYTE_0 src1_sel:DWORD
	s_mov_b64 s[4:5], -1
                                        ; implicit-def: $sgpr10
	s_and_saveexec_b64 s[8:9], s[12:13]
; %bb.3970:
	s_mov_b32 s10, 0x7f800001
	s_xor_b64 s[4:5], exec, -1
; %bb.3971:
	s_or_b64 exec, exec, s[8:9]
	s_and_b64 s[4:5], s[4:5], exec
	s_or_saveexec_b64 s[6:7], s[6:7]
	v_mov_b32_e32 v8, s10
	s_xor_b64 exec, exec, s[6:7]
	s_cbranch_execz .LBB43_1922
.LBB43_3972:
	v_mov_b32_e32 v8, 0
	v_cmp_ne_u16_sdwa s[8:9], v4, v8 src0_sel:BYTE_0 src1_sel:DWORD
	s_andn2_b64 s[4:5], s[4:5], exec
	s_and_b64 s[8:9], s[8:9], exec
	s_or_b64 s[4:5], s[4:5], s[8:9]
	s_or_b64 exec, exec, s[6:7]
	s_and_saveexec_b64 s[6:7], s[4:5]
	s_cbranch_execnz .LBB43_1923
	s_branch .LBB43_1924
.LBB43_3973:
	s_movk_i32 s4, 0x80
	v_cmp_eq_u16_sdwa s[12:13], v0, s4 src0_sel:BYTE_0 src1_sel:DWORD
	s_mov_b64 s[4:5], -1
                                        ; implicit-def: $sgpr10
	s_and_saveexec_b64 s[8:9], s[12:13]
; %bb.3974:
	s_mov_b32 s10, 0x7f800001
	s_xor_b64 s[4:5], exec, -1
; %bb.3975:
	s_or_b64 exec, exec, s[8:9]
	s_and_b64 s[4:5], s[4:5], exec
	s_or_saveexec_b64 s[6:7], s[6:7]
	v_mov_b32_e32 v9, s10
	s_xor_b64 exec, exec, s[6:7]
	s_cbranch_execz .LBB43_1926
.LBB43_3976:
	v_mov_b32_e32 v9, 0
	v_cmp_ne_u16_sdwa s[8:9], v0, v9 src0_sel:BYTE_0 src1_sel:DWORD
	s_andn2_b64 s[4:5], s[4:5], exec
	s_and_b64 s[8:9], s[8:9], exec
	s_or_b64 s[4:5], s[4:5], s[8:9]
	s_or_b64 exec, exec, s[6:7]
	s_and_saveexec_b64 s[6:7], s[4:5]
	s_cbranch_execnz .LBB43_1927
	s_branch .LBB43_1928
.LBB43_3977:
	s_movk_i32 s4, 0x80
	v_cmp_eq_u16_sdwa s[12:13], v9, s4 src0_sel:BYTE_0 src1_sel:DWORD
	s_mov_b64 s[4:5], -1
                                        ; implicit-def: $sgpr10
	s_and_saveexec_b64 s[8:9], s[12:13]
; %bb.3978:
	s_mov_b32 s10, 0x7f800001
	s_xor_b64 s[4:5], exec, -1
; %bb.3979:
	s_or_b64 exec, exec, s[8:9]
	s_and_b64 s[4:5], s[4:5], exec
	s_or_saveexec_b64 s[6:7], s[6:7]
	v_mov_b32_e32 v8, s10
	s_xor_b64 exec, exec, s[6:7]
	s_cbranch_execz .LBB43_1930
.LBB43_3980:
	v_mov_b32_e32 v8, 0
	v_cmp_ne_u16_sdwa s[8:9], v9, v8 src0_sel:BYTE_0 src1_sel:DWORD
	s_andn2_b64 s[4:5], s[4:5], exec
	s_and_b64 s[8:9], s[8:9], exec
	s_or_b64 s[4:5], s[4:5], s[8:9]
	s_or_b64 exec, exec, s[6:7]
	s_and_saveexec_b64 s[6:7], s[4:5]
	s_cbranch_execnz .LBB43_1931
	s_branch .LBB43_1932
.LBB43_3981:
	s_movk_i32 s4, 0x80
	v_cmp_eq_u16_sdwa s[12:13], v9, s4 src0_sel:BYTE_0 src1_sel:DWORD
	s_mov_b64 s[4:5], -1
                                        ; implicit-def: $sgpr10
	s_and_saveexec_b64 s[8:9], s[12:13]
; %bb.3982:
	s_mov_b32 s10, 0x7f800001
	s_xor_b64 s[4:5], exec, -1
; %bb.3983:
	s_or_b64 exec, exec, s[8:9]
	s_and_b64 s[4:5], s[4:5], exec
	s_or_saveexec_b64 s[6:7], s[6:7]
	v_mov_b32_e32 v10, s10
	s_xor_b64 exec, exec, s[6:7]
	s_cbranch_execz .LBB43_1934
.LBB43_3984:
	v_mov_b32_e32 v10, 0
	v_cmp_ne_u16_sdwa s[8:9], v9, v10 src0_sel:BYTE_0 src1_sel:DWORD
	s_andn2_b64 s[4:5], s[4:5], exec
	s_and_b64 s[8:9], s[8:9], exec
	s_or_b64 s[4:5], s[4:5], s[8:9]
	s_or_b64 exec, exec, s[6:7]
	s_and_saveexec_b64 s[6:7], s[4:5]
	s_cbranch_execnz .LBB43_1935
	s_branch .LBB43_1936
.LBB43_3985:
	s_movk_i32 s4, 0x80
	v_cmp_eq_u16_e32 vcc, s4, v9
	s_mov_b64 s[4:5], -1
                                        ; implicit-def: $sgpr10
	s_and_saveexec_b64 s[8:9], vcc
; %bb.3986:
	s_mov_b32 s10, 0x7f800001
	s_xor_b64 s[4:5], exec, -1
; %bb.3987:
	s_or_b64 exec, exec, s[8:9]
	s_and_b64 s[4:5], s[4:5], exec
                                        ; implicit-def: $vgpr9
	s_or_saveexec_b64 s[6:7], s[6:7]
	v_mov_b32_e32 v8, s10
	s_xor_b64 exec, exec, s[6:7]
	s_cbranch_execz .LBB43_1938
.LBB43_3988:
	v_cmp_ne_u16_e32 vcc, 0, v9
	s_andn2_b64 s[4:5], s[4:5], exec
	s_and_b64 s[8:9], vcc, exec
	v_mov_b32_e32 v8, 0
	s_or_b64 s[4:5], s[4:5], s[8:9]
	s_or_b64 exec, exec, s[6:7]
	s_and_saveexec_b64 s[6:7], s[4:5]
	s_cbranch_execnz .LBB43_1939
	s_branch .LBB43_1940
.LBB43_3989:
	s_movk_i32 s4, 0x80
	v_cmp_eq_u16_e32 vcc, s4, v9
	s_mov_b64 s[4:5], -1
                                        ; implicit-def: $sgpr10
	s_and_saveexec_b64 s[8:9], vcc
; %bb.3990:
	s_mov_b32 s10, 0x7f800001
	s_xor_b64 s[4:5], exec, -1
; %bb.3991:
	s_or_b64 exec, exec, s[8:9]
	s_and_b64 s[4:5], s[4:5], exec
                                        ; implicit-def: $vgpr9
	s_or_saveexec_b64 s[6:7], s[6:7]
	v_mov_b32_e32 v10, s10
	s_xor_b64 exec, exec, s[6:7]
	s_cbranch_execz .LBB43_1942
.LBB43_3992:
	v_cmp_ne_u16_e32 vcc, 0, v9
	s_andn2_b64 s[4:5], s[4:5], exec
	s_and_b64 s[8:9], vcc, exec
	v_mov_b32_e32 v10, 0
	s_or_b64 s[4:5], s[4:5], s[8:9]
	s_or_b64 exec, exec, s[6:7]
	s_and_saveexec_b64 s[6:7], s[4:5]
	s_cbranch_execnz .LBB43_1943
	s_branch .LBB43_1944
.LBB43_3993:
	s_movk_i32 s4, 0x80
	v_cmp_eq_u16_sdwa s[12:13], v4, s4 src0_sel:BYTE_3 src1_sel:DWORD
	s_mov_b64 s[4:5], -1
                                        ; implicit-def: $sgpr10
	s_and_saveexec_b64 s[8:9], s[12:13]
; %bb.3994:
	s_mov_b32 s10, 0x7f800001
	s_xor_b64 s[4:5], exec, -1
; %bb.3995:
	s_or_b64 exec, exec, s[8:9]
	s_and_b64 s[4:5], s[4:5], exec
	s_or_saveexec_b64 s[6:7], s[6:7]
	v_mov_b32_e32 v8, s10
	s_xor_b64 exec, exec, s[6:7]
	s_cbranch_execz .LBB43_1946
.LBB43_3996:
	v_mov_b32_e32 v8, 0
	v_cmp_ne_u16_sdwa s[8:9], v4, v8 src0_sel:BYTE_3 src1_sel:DWORD
	s_andn2_b64 s[4:5], s[4:5], exec
	s_and_b64 s[8:9], s[8:9], exec
	s_or_b64 s[4:5], s[4:5], s[8:9]
	s_or_b64 exec, exec, s[6:7]
	s_and_saveexec_b64 s[6:7], s[4:5]
	s_cbranch_execnz .LBB43_1947
	s_branch .LBB43_1948
.LBB43_3997:
	s_movk_i32 s4, 0x80
	v_cmp_eq_u16_sdwa s[12:13], v0, s4 src0_sel:BYTE_3 src1_sel:DWORD
	s_mov_b64 s[4:5], -1
                                        ; implicit-def: $sgpr10
	s_and_saveexec_b64 s[8:9], s[12:13]
; %bb.3998:
	s_mov_b32 s10, 0x7f800001
	s_xor_b64 s[4:5], exec, -1
; %bb.3999:
	s_or_b64 exec, exec, s[8:9]
	s_and_b64 s[4:5], s[4:5], exec
	s_or_saveexec_b64 s[6:7], s[6:7]
	v_mov_b32_e32 v4, s10
	s_xor_b64 exec, exec, s[6:7]
	s_cbranch_execz .LBB43_1950
.LBB43_4000:
	v_mov_b32_e32 v4, 0
	v_cmp_ne_u16_sdwa s[8:9], v0, v4 src0_sel:BYTE_3 src1_sel:DWORD
	s_andn2_b64 s[4:5], s[4:5], exec
	s_and_b64 s[8:9], s[8:9], exec
	s_or_b64 s[4:5], s[4:5], s[8:9]
	s_or_b64 exec, exec, s[6:7]
	s_and_saveexec_b64 s[6:7], s[4:5]
	s_cbranch_execnz .LBB43_1951
	s_branch .LBB43_1952
.LBB43_4001:
	s_movk_i32 s4, 0x80
	v_cmp_eq_u16_sdwa s[12:13], v5, s4 src0_sel:BYTE_0 src1_sel:DWORD
	s_mov_b64 s[4:5], -1
                                        ; implicit-def: $sgpr10
	s_and_saveexec_b64 s[8:9], s[12:13]
; %bb.4002:
	s_mov_b32 s10, 0x7f800001
	s_xor_b64 s[4:5], exec, -1
; %bb.4003:
	s_or_b64 exec, exec, s[8:9]
	s_and_b64 s[4:5], s[4:5], exec
	s_or_saveexec_b64 s[6:7], s[6:7]
	v_mov_b32_e32 v0, s10
	s_xor_b64 exec, exec, s[6:7]
	s_cbranch_execz .LBB43_1954
.LBB43_4004:
	v_mov_b32_e32 v0, 0
	v_cmp_ne_u16_sdwa s[8:9], v5, v0 src0_sel:BYTE_0 src1_sel:DWORD
	s_andn2_b64 s[4:5], s[4:5], exec
	s_and_b64 s[8:9], s[8:9], exec
	s_or_b64 s[4:5], s[4:5], s[8:9]
	s_or_b64 exec, exec, s[6:7]
	s_and_saveexec_b64 s[6:7], s[4:5]
	s_cbranch_execnz .LBB43_1955
	s_branch .LBB43_1956
.LBB43_4005:
	s_movk_i32 s4, 0x80
	v_cmp_eq_u16_sdwa s[12:13], v1, s4 src0_sel:BYTE_0 src1_sel:DWORD
	s_mov_b64 s[4:5], -1
                                        ; implicit-def: $sgpr10
	s_and_saveexec_b64 s[8:9], s[12:13]
; %bb.4006:
	s_mov_b32 s10, 0x7f800001
	s_xor_b64 s[4:5], exec, -1
; %bb.4007:
	s_or_b64 exec, exec, s[8:9]
	s_and_b64 s[4:5], s[4:5], exec
	s_or_saveexec_b64 s[6:7], s[6:7]
	v_mov_b32_e32 v4, s10
	s_xor_b64 exec, exec, s[6:7]
	s_cbranch_execz .LBB43_1958
.LBB43_4008:
	v_mov_b32_e32 v4, 0
	v_cmp_ne_u16_sdwa s[8:9], v1, v4 src0_sel:BYTE_0 src1_sel:DWORD
	s_andn2_b64 s[4:5], s[4:5], exec
	s_and_b64 s[8:9], s[8:9], exec
	s_or_b64 s[4:5], s[4:5], s[8:9]
	s_or_b64 exec, exec, s[6:7]
	s_and_saveexec_b64 s[6:7], s[4:5]
	s_cbranch_execnz .LBB43_1959
	s_branch .LBB43_1960
.LBB43_4009:
	s_movk_i32 s4, 0x80
	v_cmp_eq_u16_sdwa s[12:13], v4, s4 src0_sel:BYTE_0 src1_sel:DWORD
	s_mov_b64 s[4:5], -1
                                        ; implicit-def: $sgpr10
	s_and_saveexec_b64 s[8:9], s[12:13]
; %bb.4010:
	s_mov_b32 s10, 0x7f800001
	s_xor_b64 s[4:5], exec, -1
; %bb.4011:
	s_or_b64 exec, exec, s[8:9]
	s_and_b64 s[4:5], s[4:5], exec
	s_or_saveexec_b64 s[6:7], s[6:7]
	v_mov_b32_e32 v0, s10
	s_xor_b64 exec, exec, s[6:7]
	s_cbranch_execz .LBB43_1962
.LBB43_4012:
	v_mov_b32_e32 v0, 0
	v_cmp_ne_u16_sdwa s[8:9], v4, v0 src0_sel:BYTE_0 src1_sel:DWORD
	s_andn2_b64 s[4:5], s[4:5], exec
	s_and_b64 s[8:9], s[8:9], exec
	s_or_b64 s[4:5], s[4:5], s[8:9]
	s_or_b64 exec, exec, s[6:7]
	s_and_saveexec_b64 s[6:7], s[4:5]
	s_cbranch_execnz .LBB43_1963
	s_branch .LBB43_1964
.LBB43_4013:
	s_movk_i32 s4, 0x80
	v_cmp_eq_u16_sdwa s[12:13], v4, s4 src0_sel:BYTE_0 src1_sel:DWORD
	s_mov_b64 s[4:5], -1
                                        ; implicit-def: $sgpr10
	s_and_saveexec_b64 s[8:9], s[12:13]
; %bb.4014:
	s_mov_b32 s10, 0x7f800001
	s_xor_b64 s[4:5], exec, -1
; %bb.4015:
	s_or_b64 exec, exec, s[8:9]
	s_and_b64 s[4:5], s[4:5], exec
	s_or_saveexec_b64 s[6:7], s[6:7]
	v_mov_b32_e32 v8, s10
	s_xor_b64 exec, exec, s[6:7]
	s_cbranch_execz .LBB43_1966
.LBB43_4016:
	v_mov_b32_e32 v8, 0
	v_cmp_ne_u16_sdwa s[8:9], v4, v8 src0_sel:BYTE_0 src1_sel:DWORD
	s_andn2_b64 s[4:5], s[4:5], exec
	s_and_b64 s[8:9], s[8:9], exec
	s_or_b64 s[4:5], s[4:5], s[8:9]
	s_or_b64 exec, exec, s[6:7]
	s_and_saveexec_b64 s[6:7], s[4:5]
	s_cbranch_execnz .LBB43_1967
	s_branch .LBB43_1968
.LBB43_4017:
	s_movk_i32 s4, 0x80
	v_cmp_eq_u16_e32 vcc, s4, v4
	s_mov_b64 s[4:5], -1
                                        ; implicit-def: $sgpr10
	s_and_saveexec_b64 s[8:9], vcc
; %bb.4018:
	s_mov_b32 s10, 0x7f800001
	s_xor_b64 s[4:5], exec, -1
; %bb.4019:
	s_or_b64 exec, exec, s[8:9]
	s_and_b64 s[4:5], s[4:5], exec
                                        ; implicit-def: $vgpr4
	s_or_saveexec_b64 s[6:7], s[6:7]
	v_mov_b32_e32 v0, s10
	s_xor_b64 exec, exec, s[6:7]
	s_cbranch_execz .LBB43_1970
.LBB43_4020:
	v_cmp_ne_u16_e32 vcc, 0, v4
	s_andn2_b64 s[4:5], s[4:5], exec
	s_and_b64 s[8:9], vcc, exec
	v_mov_b32_e32 v0, 0
	s_or_b64 s[4:5], s[4:5], s[8:9]
	s_or_b64 exec, exec, s[6:7]
	s_and_saveexec_b64 s[6:7], s[4:5]
	s_cbranch_execnz .LBB43_1971
	s_branch .LBB43_1972
.LBB43_4021:
	s_movk_i32 s4, 0x80
	v_cmp_eq_u16_e32 vcc, s4, v4
	s_mov_b64 s[4:5], -1
                                        ; implicit-def: $sgpr10
	s_and_saveexec_b64 s[8:9], vcc
; %bb.4022:
	s_mov_b32 s10, 0x7f800001
	s_xor_b64 s[4:5], exec, -1
; %bb.4023:
	s_or_b64 exec, exec, s[8:9]
	s_and_b64 s[4:5], s[4:5], exec
                                        ; implicit-def: $vgpr4
	s_or_saveexec_b64 s[6:7], s[6:7]
	v_mov_b32_e32 v8, s10
	s_xor_b64 exec, exec, s[6:7]
	s_cbranch_execz .LBB43_1974
.LBB43_4024:
	v_cmp_ne_u16_e32 vcc, 0, v4
	s_andn2_b64 s[4:5], s[4:5], exec
	s_and_b64 s[8:9], vcc, exec
	v_mov_b32_e32 v8, 0
	s_or_b64 s[4:5], s[4:5], s[8:9]
	s_or_b64 exec, exec, s[6:7]
	s_and_saveexec_b64 s[6:7], s[4:5]
	s_cbranch_execnz .LBB43_1975
	s_branch .LBB43_1976
.LBB43_4025:
	s_movk_i32 s4, 0x80
	v_cmp_eq_u16_sdwa s[12:13], v5, s4 src0_sel:BYTE_3 src1_sel:DWORD
	s_mov_b64 s[4:5], -1
                                        ; implicit-def: $sgpr10
	s_and_saveexec_b64 s[8:9], s[12:13]
; %bb.4026:
	s_mov_b32 s10, 0x7f800001
	s_xor_b64 s[4:5], exec, -1
; %bb.4027:
	s_or_b64 exec, exec, s[8:9]
	s_and_b64 s[4:5], s[4:5], exec
	s_or_saveexec_b64 s[6:7], s[6:7]
	v_mov_b32_e32 v0, s10
	s_xor_b64 exec, exec, s[6:7]
	s_cbranch_execz .LBB43_1978
.LBB43_4028:
	v_mov_b32_e32 v0, 0
	v_cmp_ne_u16_sdwa s[8:9], v5, v0 src0_sel:BYTE_3 src1_sel:DWORD
	s_andn2_b64 s[4:5], s[4:5], exec
	s_and_b64 s[8:9], s[8:9], exec
	s_or_b64 s[4:5], s[4:5], s[8:9]
	s_or_b64 exec, exec, s[6:7]
	s_and_saveexec_b64 s[6:7], s[4:5]
	s_cbranch_execnz .LBB43_1979
	s_branch .LBB43_1980
.LBB43_4029:
	s_movk_i32 s4, 0x80
	v_cmp_eq_u16_sdwa s[12:13], v1, s4 src0_sel:BYTE_3 src1_sel:DWORD
	s_mov_b64 s[4:5], -1
                                        ; implicit-def: $sgpr10
	s_and_saveexec_b64 s[8:9], s[12:13]
; %bb.4030:
	s_mov_b32 s10, 0x7f800001
	s_xor_b64 s[4:5], exec, -1
; %bb.4031:
	s_or_b64 exec, exec, s[8:9]
	s_and_b64 s[4:5], s[4:5], exec
	s_or_saveexec_b64 s[6:7], s[6:7]
	v_mov_b32_e32 v4, s10
	s_xor_b64 exec, exec, s[6:7]
	s_cbranch_execz .LBB43_1982
.LBB43_4032:
	v_mov_b32_e32 v4, 0
	v_cmp_ne_u16_sdwa s[8:9], v1, v4 src0_sel:BYTE_3 src1_sel:DWORD
	s_andn2_b64 s[4:5], s[4:5], exec
	s_and_b64 s[8:9], s[8:9], exec
	s_or_b64 s[4:5], s[4:5], s[8:9]
	s_or_b64 exec, exec, s[6:7]
	s_and_saveexec_b64 s[6:7], s[4:5]
	s_cbranch_execnz .LBB43_1983
	s_branch .LBB43_1984
.LBB43_4033:
	s_movk_i32 s4, 0x80
	v_cmp_eq_u16_sdwa s[12:13], v6, s4 src0_sel:BYTE_0 src1_sel:DWORD
	s_mov_b64 s[4:5], -1
                                        ; implicit-def: $sgpr10
	s_and_saveexec_b64 s[8:9], s[12:13]
; %bb.4034:
	s_mov_b32 s10, 0x7f800001
	s_xor_b64 s[4:5], exec, -1
; %bb.4035:
	s_or_b64 exec, exec, s[8:9]
	s_and_b64 s[4:5], s[4:5], exec
	s_or_saveexec_b64 s[6:7], s[6:7]
	v_mov_b32_e32 v0, s10
	s_xor_b64 exec, exec, s[6:7]
	s_cbranch_execz .LBB43_1986
.LBB43_4036:
	v_mov_b32_e32 v0, 0
	v_cmp_ne_u16_sdwa s[8:9], v6, v0 src0_sel:BYTE_0 src1_sel:DWORD
	s_andn2_b64 s[4:5], s[4:5], exec
	s_and_b64 s[8:9], s[8:9], exec
	s_or_b64 s[4:5], s[4:5], s[8:9]
	s_or_b64 exec, exec, s[6:7]
	s_and_saveexec_b64 s[6:7], s[4:5]
	s_cbranch_execnz .LBB43_1987
	s_branch .LBB43_1988
.LBB43_4037:
	s_movk_i32 s4, 0x80
	v_cmp_eq_u16_sdwa s[12:13], v2, s4 src0_sel:BYTE_0 src1_sel:DWORD
	s_mov_b64 s[4:5], -1
                                        ; implicit-def: $sgpr10
	s_and_saveexec_b64 s[8:9], s[12:13]
; %bb.4038:
	s_mov_b32 s10, 0x7f800001
	s_xor_b64 s[4:5], exec, -1
; %bb.4039:
	s_or_b64 exec, exec, s[8:9]
	s_and_b64 s[4:5], s[4:5], exec
	s_or_saveexec_b64 s[6:7], s[6:7]
	v_mov_b32_e32 v1, s10
	s_xor_b64 exec, exec, s[6:7]
	s_cbranch_execz .LBB43_1990
.LBB43_4040:
	v_mov_b32_e32 v1, 0
	v_cmp_ne_u16_sdwa s[8:9], v2, v1 src0_sel:BYTE_0 src1_sel:DWORD
	s_andn2_b64 s[4:5], s[4:5], exec
	s_and_b64 s[8:9], s[8:9], exec
	s_or_b64 s[4:5], s[4:5], s[8:9]
	s_or_b64 exec, exec, s[6:7]
	s_and_saveexec_b64 s[6:7], s[4:5]
	s_cbranch_execnz .LBB43_1991
	s_branch .LBB43_1992
.LBB43_4041:
	s_movk_i32 s4, 0x80
	v_cmp_eq_u16_sdwa s[12:13], v1, s4 src0_sel:BYTE_0 src1_sel:DWORD
	s_mov_b64 s[4:5], -1
                                        ; implicit-def: $sgpr10
	s_and_saveexec_b64 s[8:9], s[12:13]
; %bb.4042:
	s_mov_b32 s10, 0x7f800001
	s_xor_b64 s[4:5], exec, -1
; %bb.4043:
	s_or_b64 exec, exec, s[8:9]
	s_and_b64 s[4:5], s[4:5], exec
	s_or_saveexec_b64 s[6:7], s[6:7]
	v_mov_b32_e32 v0, s10
	s_xor_b64 exec, exec, s[6:7]
	s_cbranch_execz .LBB43_1994
.LBB43_4044:
	v_mov_b32_e32 v0, 0
	v_cmp_ne_u16_sdwa s[8:9], v1, v0 src0_sel:BYTE_0 src1_sel:DWORD
	s_andn2_b64 s[4:5], s[4:5], exec
	s_and_b64 s[8:9], s[8:9], exec
	s_or_b64 s[4:5], s[4:5], s[8:9]
	s_or_b64 exec, exec, s[6:7]
	s_and_saveexec_b64 s[6:7], s[4:5]
	s_cbranch_execnz .LBB43_1995
	s_branch .LBB43_1996
.LBB43_4045:
	s_movk_i32 s4, 0x80
	v_cmp_eq_u16_sdwa s[12:13], v1, s4 src0_sel:BYTE_0 src1_sel:DWORD
	s_mov_b64 s[4:5], -1
                                        ; implicit-def: $sgpr10
	s_and_saveexec_b64 s[8:9], s[12:13]
; %bb.4046:
	s_mov_b32 s10, 0x7f800001
	s_xor_b64 s[4:5], exec, -1
; %bb.4047:
	s_or_b64 exec, exec, s[8:9]
	s_and_b64 s[4:5], s[4:5], exec
	s_or_saveexec_b64 s[6:7], s[6:7]
	v_mov_b32_e32 v4, s10
	s_xor_b64 exec, exec, s[6:7]
	s_cbranch_execz .LBB43_1998
.LBB43_4048:
	v_mov_b32_e32 v4, 0
	v_cmp_ne_u16_sdwa s[8:9], v1, v4 src0_sel:BYTE_0 src1_sel:DWORD
	s_andn2_b64 s[4:5], s[4:5], exec
	s_and_b64 s[8:9], s[8:9], exec
	s_or_b64 s[4:5], s[4:5], s[8:9]
	s_or_b64 exec, exec, s[6:7]
	s_and_saveexec_b64 s[6:7], s[4:5]
	s_cbranch_execnz .LBB43_1999
	s_branch .LBB43_2000
.LBB43_4049:
	s_movk_i32 s4, 0x80
	v_cmp_eq_u16_e32 vcc, s4, v1
	s_mov_b64 s[4:5], -1
                                        ; implicit-def: $sgpr10
	s_and_saveexec_b64 s[8:9], vcc
; %bb.4050:
	s_mov_b32 s10, 0x7f800001
	s_xor_b64 s[4:5], exec, -1
; %bb.4051:
	s_or_b64 exec, exec, s[8:9]
	s_and_b64 s[4:5], s[4:5], exec
                                        ; implicit-def: $vgpr1
	s_or_saveexec_b64 s[6:7], s[6:7]
	v_mov_b32_e32 v0, s10
	s_xor_b64 exec, exec, s[6:7]
	s_cbranch_execz .LBB43_2002
.LBB43_4052:
	v_cmp_ne_u16_e32 vcc, 0, v1
	s_andn2_b64 s[4:5], s[4:5], exec
	s_and_b64 s[8:9], vcc, exec
	v_mov_b32_e32 v0, 0
	s_or_b64 s[4:5], s[4:5], s[8:9]
	s_or_b64 exec, exec, s[6:7]
	s_and_saveexec_b64 s[6:7], s[4:5]
	s_cbranch_execnz .LBB43_2003
	s_branch .LBB43_2004
.LBB43_4053:
	s_movk_i32 s4, 0x80
	v_cmp_eq_u16_e32 vcc, s4, v1
	s_mov_b64 s[4:5], -1
                                        ; implicit-def: $sgpr10
	s_and_saveexec_b64 s[8:9], vcc
; %bb.4054:
	s_mov_b32 s10, 0x7f800001
	s_xor_b64 s[4:5], exec, -1
; %bb.4055:
	s_or_b64 exec, exec, s[8:9]
	s_and_b64 s[4:5], s[4:5], exec
                                        ; implicit-def: $vgpr1
	s_or_saveexec_b64 s[6:7], s[6:7]
	v_mov_b32_e32 v4, s10
	s_xor_b64 exec, exec, s[6:7]
	s_cbranch_execz .LBB43_2006
.LBB43_4056:
	v_cmp_ne_u16_e32 vcc, 0, v1
	s_andn2_b64 s[4:5], s[4:5], exec
	s_and_b64 s[8:9], vcc, exec
	v_mov_b32_e32 v4, 0
	s_or_b64 s[4:5], s[4:5], s[8:9]
	s_or_b64 exec, exec, s[6:7]
	s_and_saveexec_b64 s[6:7], s[4:5]
	s_cbranch_execnz .LBB43_2007
	s_branch .LBB43_2008
.LBB43_4057:
	s_movk_i32 s4, 0x80
	v_cmp_eq_u16_sdwa s[12:13], v6, s4 src0_sel:BYTE_3 src1_sel:DWORD
	s_mov_b64 s[4:5], -1
                                        ; implicit-def: $sgpr10
	s_and_saveexec_b64 s[8:9], s[12:13]
; %bb.4058:
	s_mov_b32 s10, 0x7f800001
	s_xor_b64 s[4:5], exec, -1
; %bb.4059:
	s_or_b64 exec, exec, s[8:9]
	s_and_b64 s[4:5], s[4:5], exec
	s_or_saveexec_b64 s[6:7], s[6:7]
	v_mov_b32_e32 v0, s10
	s_xor_b64 exec, exec, s[6:7]
	s_cbranch_execz .LBB43_2010
.LBB43_4060:
	v_mov_b32_e32 v0, 0
	v_cmp_ne_u16_sdwa s[8:9], v6, v0 src0_sel:BYTE_3 src1_sel:DWORD
	s_andn2_b64 s[4:5], s[4:5], exec
	s_and_b64 s[8:9], s[8:9], exec
	s_or_b64 s[4:5], s[4:5], s[8:9]
	s_or_b64 exec, exec, s[6:7]
	s_and_saveexec_b64 s[6:7], s[4:5]
	s_cbranch_execnz .LBB43_2011
	s_branch .LBB43_2012
.LBB43_4061:
	s_movk_i32 s4, 0x80
	v_cmp_eq_u16_sdwa s[12:13], v2, s4 src0_sel:BYTE_3 src1_sel:DWORD
	s_mov_b64 s[4:5], -1
                                        ; implicit-def: $sgpr10
	s_and_saveexec_b64 s[8:9], s[12:13]
; %bb.4062:
	s_mov_b32 s10, 0x7f800001
	s_xor_b64 s[4:5], exec, -1
; %bb.4063:
	s_or_b64 exec, exec, s[8:9]
	s_and_b64 s[4:5], s[4:5], exec
	s_or_saveexec_b64 s[6:7], s[6:7]
	v_mov_b32_e32 v1, s10
	s_xor_b64 exec, exec, s[6:7]
	s_cbranch_execz .LBB43_2014
.LBB43_4064:
	v_mov_b32_e32 v1, 0
	v_cmp_ne_u16_sdwa s[8:9], v2, v1 src0_sel:BYTE_3 src1_sel:DWORD
	s_andn2_b64 s[4:5], s[4:5], exec
	s_and_b64 s[8:9], s[8:9], exec
	s_or_b64 s[4:5], s[4:5], s[8:9]
	s_or_b64 exec, exec, s[6:7]
	s_and_saveexec_b64 s[6:7], s[4:5]
	s_cbranch_execnz .LBB43_2015
	s_branch .LBB43_2016
.LBB43_4065:
	s_movk_i32 s4, 0x80
	v_cmp_eq_u16_sdwa s[12:13], v7, s4 src0_sel:BYTE_0 src1_sel:DWORD
	s_mov_b64 s[4:5], -1
                                        ; implicit-def: $sgpr10
	s_and_saveexec_b64 s[8:9], s[12:13]
; %bb.4066:
	s_mov_b32 s10, 0x7f800001
	s_xor_b64 s[4:5], exec, -1
; %bb.4067:
	s_or_b64 exec, exec, s[8:9]
	s_and_b64 s[4:5], s[4:5], exec
	s_or_saveexec_b64 s[6:7], s[6:7]
	v_mov_b32_e32 v0, s10
	s_xor_b64 exec, exec, s[6:7]
	s_cbranch_execz .LBB43_2018
.LBB43_4068:
	v_mov_b32_e32 v0, 0
	v_cmp_ne_u16_sdwa s[8:9], v7, v0 src0_sel:BYTE_0 src1_sel:DWORD
	s_andn2_b64 s[4:5], s[4:5], exec
	s_and_b64 s[8:9], s[8:9], exec
	s_or_b64 s[4:5], s[4:5], s[8:9]
	s_or_b64 exec, exec, s[6:7]
	s_and_saveexec_b64 s[6:7], s[4:5]
	s_cbranch_execnz .LBB43_2019
	s_branch .LBB43_2020
.LBB43_4069:
	s_movk_i32 s4, 0x80
	v_cmp_eq_u16_sdwa s[12:13], v3, s4 src0_sel:BYTE_0 src1_sel:DWORD
	s_mov_b64 s[4:5], -1
                                        ; implicit-def: $sgpr10
	s_and_saveexec_b64 s[8:9], s[12:13]
; %bb.4070:
	s_mov_b32 s10, 0x7f800001
	s_xor_b64 s[4:5], exec, -1
; %bb.4071:
	s_or_b64 exec, exec, s[8:9]
	s_and_b64 s[4:5], s[4:5], exec
	s_or_saveexec_b64 s[6:7], s[6:7]
	v_mov_b32_e32 v1, s10
	s_xor_b64 exec, exec, s[6:7]
	s_cbranch_execz .LBB43_2022
.LBB43_4072:
	v_mov_b32_e32 v1, 0
	v_cmp_ne_u16_sdwa s[8:9], v3, v1 src0_sel:BYTE_0 src1_sel:DWORD
	s_andn2_b64 s[4:5], s[4:5], exec
	s_and_b64 s[8:9], s[8:9], exec
	s_or_b64 s[4:5], s[4:5], s[8:9]
	s_or_b64 exec, exec, s[6:7]
	s_and_saveexec_b64 s[6:7], s[4:5]
	s_cbranch_execnz .LBB43_2023
	s_branch .LBB43_2024
.LBB43_4073:
	s_movk_i32 s4, 0x80
	v_cmp_eq_u16_sdwa s[12:13], v1, s4 src0_sel:BYTE_0 src1_sel:DWORD
	s_mov_b64 s[4:5], -1
                                        ; implicit-def: $sgpr10
	s_and_saveexec_b64 s[8:9], s[12:13]
; %bb.4074:
	s_mov_b32 s10, 0x7f800001
	s_xor_b64 s[4:5], exec, -1
; %bb.4075:
	s_or_b64 exec, exec, s[8:9]
	s_and_b64 s[4:5], s[4:5], exec
	s_or_saveexec_b64 s[6:7], s[6:7]
	v_mov_b32_e32 v0, s10
	s_xor_b64 exec, exec, s[6:7]
	s_cbranch_execz .LBB43_2026
.LBB43_4076:
	v_mov_b32_e32 v0, 0
	v_cmp_ne_u16_sdwa s[8:9], v1, v0 src0_sel:BYTE_0 src1_sel:DWORD
	s_andn2_b64 s[4:5], s[4:5], exec
	s_and_b64 s[8:9], s[8:9], exec
	s_or_b64 s[4:5], s[4:5], s[8:9]
	s_or_b64 exec, exec, s[6:7]
	s_and_saveexec_b64 s[6:7], s[4:5]
	s_cbranch_execnz .LBB43_2027
	s_branch .LBB43_2028
.LBB43_4077:
	s_movk_i32 s4, 0x80
	v_cmp_eq_u16_sdwa s[12:13], v1, s4 src0_sel:BYTE_0 src1_sel:DWORD
	s_mov_b64 s[4:5], -1
                                        ; implicit-def: $sgpr10
	s_and_saveexec_b64 s[8:9], s[12:13]
; %bb.4078:
	s_mov_b32 s10, 0x7f800001
	s_xor_b64 s[4:5], exec, -1
; %bb.4079:
	s_or_b64 exec, exec, s[8:9]
	s_and_b64 s[4:5], s[4:5], exec
	s_or_saveexec_b64 s[6:7], s[6:7]
	v_mov_b32_e32 v2, s10
	s_xor_b64 exec, exec, s[6:7]
	s_cbranch_execz .LBB43_2030
.LBB43_4080:
	v_mov_b32_e32 v2, 0
	v_cmp_ne_u16_sdwa s[8:9], v1, v2 src0_sel:BYTE_0 src1_sel:DWORD
	s_andn2_b64 s[4:5], s[4:5], exec
	s_and_b64 s[8:9], s[8:9], exec
	s_or_b64 s[4:5], s[4:5], s[8:9]
	s_or_b64 exec, exec, s[6:7]
	s_and_saveexec_b64 s[6:7], s[4:5]
	s_cbranch_execnz .LBB43_2031
	s_branch .LBB43_2032
.LBB43_4081:
	s_movk_i32 s4, 0x80
	v_cmp_eq_u16_e32 vcc, s4, v1
	s_mov_b64 s[4:5], -1
                                        ; implicit-def: $sgpr10
	s_and_saveexec_b64 s[8:9], vcc
; %bb.4082:
	s_mov_b32 s10, 0x7f800001
	s_xor_b64 s[4:5], exec, -1
; %bb.4083:
	s_or_b64 exec, exec, s[8:9]
	s_and_b64 s[4:5], s[4:5], exec
                                        ; implicit-def: $vgpr1
	s_or_saveexec_b64 s[6:7], s[6:7]
	v_mov_b32_e32 v0, s10
	s_xor_b64 exec, exec, s[6:7]
	s_cbranch_execz .LBB43_2034
.LBB43_4084:
	v_cmp_ne_u16_e32 vcc, 0, v1
	s_andn2_b64 s[4:5], s[4:5], exec
	s_and_b64 s[8:9], vcc, exec
	v_mov_b32_e32 v0, 0
	s_or_b64 s[4:5], s[4:5], s[8:9]
	s_or_b64 exec, exec, s[6:7]
	s_and_saveexec_b64 s[6:7], s[4:5]
	s_cbranch_execnz .LBB43_2035
	s_branch .LBB43_2036
.LBB43_4085:
	s_movk_i32 s4, 0x80
	v_cmp_eq_u16_e32 vcc, s4, v1
	s_mov_b64 s[4:5], -1
                                        ; implicit-def: $sgpr10
	s_and_saveexec_b64 s[8:9], vcc
; %bb.4086:
	s_mov_b32 s10, 0x7f800001
	s_xor_b64 s[4:5], exec, -1
; %bb.4087:
	s_or_b64 exec, exec, s[8:9]
	s_and_b64 s[4:5], s[4:5], exec
                                        ; implicit-def: $vgpr1
	s_or_saveexec_b64 s[6:7], s[6:7]
	v_mov_b32_e32 v2, s10
	s_xor_b64 exec, exec, s[6:7]
	s_cbranch_execz .LBB43_2038
.LBB43_4088:
	v_cmp_ne_u16_e32 vcc, 0, v1
	s_andn2_b64 s[4:5], s[4:5], exec
	s_and_b64 s[8:9], vcc, exec
	v_mov_b32_e32 v2, 0
	s_or_b64 s[4:5], s[4:5], s[8:9]
	s_or_b64 exec, exec, s[6:7]
	s_and_saveexec_b64 s[6:7], s[4:5]
	s_cbranch_execnz .LBB43_2039
	s_branch .LBB43_2040
.LBB43_4089:
	s_movk_i32 s4, 0x80
	v_cmp_eq_u16_sdwa s[12:13], v7, s4 src0_sel:BYTE_3 src1_sel:DWORD
	s_mov_b64 s[4:5], -1
                                        ; implicit-def: $sgpr10
	s_and_saveexec_b64 s[8:9], s[12:13]
; %bb.4090:
	s_mov_b32 s10, 0x7f800001
	s_xor_b64 s[4:5], exec, -1
; %bb.4091:
	s_or_b64 exec, exec, s[8:9]
	s_and_b64 s[4:5], s[4:5], exec
	s_or_saveexec_b64 s[6:7], s[6:7]
	v_mov_b32_e32 v0, s10
	s_xor_b64 exec, exec, s[6:7]
	s_cbranch_execz .LBB43_2042
.LBB43_4092:
	v_mov_b32_e32 v0, 0
	v_cmp_ne_u16_sdwa s[8:9], v7, v0 src0_sel:BYTE_3 src1_sel:DWORD
	s_andn2_b64 s[4:5], s[4:5], exec
	s_and_b64 s[8:9], s[8:9], exec
	s_or_b64 s[4:5], s[4:5], s[8:9]
	s_or_b64 exec, exec, s[6:7]
	s_and_saveexec_b64 s[6:7], s[4:5]
	s_cbranch_execnz .LBB43_2043
	s_branch .LBB43_2044
.LBB43_4093:
	s_movk_i32 s4, 0x80
	v_cmp_eq_u16_sdwa s[12:13], v3, s4 src0_sel:BYTE_3 src1_sel:DWORD
	s_mov_b64 s[4:5], -1
                                        ; implicit-def: $sgpr10
	s_and_saveexec_b64 s[8:9], s[12:13]
; %bb.4094:
	s_mov_b32 s10, 0x7f800001
	s_xor_b64 s[4:5], exec, -1
; %bb.4095:
	s_or_b64 exec, exec, s[8:9]
	s_and_b64 s[4:5], s[4:5], exec
	s_or_saveexec_b64 s[6:7], s[6:7]
	v_mov_b32_e32 v1, s10
	s_xor_b64 exec, exec, s[6:7]
	s_cbranch_execz .LBB43_2046
.LBB43_4096:
	v_mov_b32_e32 v1, 0
	v_cmp_ne_u16_sdwa s[8:9], v3, v1 src0_sel:BYTE_3 src1_sel:DWORD
	s_andn2_b64 s[4:5], s[4:5], exec
	s_and_b64 s[8:9], s[8:9], exec
	s_or_b64 s[4:5], s[4:5], s[8:9]
	s_or_b64 exec, exec, s[6:7]
	s_and_saveexec_b64 s[6:7], s[4:5]
	s_cbranch_execnz .LBB43_2047
	s_branch .LBB43_2048
.Lfunc_end43:
	.size	_ZNK2ck6detail7applierIiJLi0ELi1ELi2ELi3ELi4ELi5ELi6ELi7EEEclIZNKS_11static_fordINS_8SequenceIJLi1ELi8EEEENS5_IJLi0ELi1EEEEEclIZZZNKS_52BlockwiseGemmXdlops_pipeline_bpreshuffle_bdequant_v3ILNS_26BlockGemmPipelineSchedulerE0ELi256ENS_9f8_fnuz_tENS_7pk_i4_tESC_fNS_16TensorDescriptorINS_5TupleIJNS_5EmbedINSF_IJNS_17integral_constantIiLi8EEENSH_IiLi256EEENSH_IiLi16EEEEEENSF_IJSK_NSH_IiLi128EEENSH_IiLi1EEEEEELb0EEENS_3XorINSF_IJSJ_SI_EEELb1EEENS_11PassThroughISK_EENS_7UnMergeINSF_IJSI_SN_EEELb0EEENST_ISJ_EESU_NST_ISI_EENS_21Merge_v3_division_modINSF_IJSJ_SN_EEEEESU_EEENSF_IJNS5_IJLi0EEEENS5_IJLi2ELi1EEEENS5_IJLi3EEEENS5_IJLi5EEEENS5_IJLi4EEEENS5_IJLi6EEEENS5_IJLi7EEEENS5_IJLi9ELi8EEEENS5_IJLi10EEEEEEENSF_IJNS5_IJLi1ELi2ELi3EEEENS5_IJLi4ELi5EEEES19_NS5_IJLi7ELi8EEEENS5_IJLi9EEEES1C_NS5_IJLi11EEEENS5_IJLi12EEEENS5_IJLi13EEEEEEENS5_IJLi11ELi12ELi13EEEENSH_IlLl32768EEEEENSE_INSF_IJNSV_INSF_IJSI_SN_SN_NSH_IiLi32EEEEEELb0EEEEEENSF_IJS14_EEENSF_IJNS5_IJLi1ELi2ELi3ELi4EEEEEEES1U_NSH_IlLl256EEEEENSE_INSF_IJSP_SS_SU_SX_SY_SU_SZ_S12_SU_NS10_INSF_IJSI_SK_EEEEENSV_INSF_IJSI_NSH_IiLi2EEESK_EEELb0EEEEEENSF_IJS14_S15_S16_S17_S18_S19_S1A_S1B_S1C_NS5_IJLi11ELi13EEEES1J_EEENSF_IJS1E_S1F_S19_S1G_S1H_S1C_S1I_S1J_S1K_NS5_IJLi14EEEENS5_IJLi15ELi16ELi17EEEEEEENS5_IJLi15ELi16ELi17ELi14EEEES1N_EENSE_INSF_IJS1R_NS10_ISW_EES22_EEENSF_IJS14_NS5_IJLi1ELi3EEEENS5_IJLi2EEEEEEENSF_IJS1U_S17_NS5_IJLi6ELi7ELi8EEEEEEENS5_IJLi6ELi7ELi8ELi5EEEES1W_EELi16ELi32ELi256ELi256ELi128ELi16ELi16ELi8ELi8ELi32ELb0EE3RunILb1ELNS_10TailNumberE1ENSE_INSF_IJNSG_INSF_IJiiEEENSF_IJiSN_EEELb0EEENSV_IS2N_Lb0EEENST_IiEEEEENSF_IJS14_S2E_NS5_IJLi1EEEEEEENSF_IJNS5_IJLi1ELi2EEEENS5_IJLi3ELi4EEEES17_EEENS5_IJLi3ELi5ELi4EEEElEES1O_NS_35ThreadGroupTensorSliceTransfer_v4r1INS_15ThisThreadBlockILi256EEENS_16tensor_operation12element_wise11PassThroughES35_LNS_25InMemoryDataOperationEnumE0ENS5_IJLi8ELi256ELi16EEEENS5_IJLi8ELi32ELi1EEEENS5_IJLi1ELi0ELi2EEEESC_SC_RKS2Z_KS1O_S39_NS5_IJLi0ELi1ELi2EEEELi2ELi2ELi16ELi16ELi1ELi1ELb0ELb1ELi2EiEENS_13DynamicBufferILNS_16AddressSpaceEnumE1EKSC_lLb1ELNS_22AmdBufferCoherenceEnumE0EiEENSF_IJNS3F_ILS3G_2ESC_S1N_Lb1ELS3I_0EiEES3K_EEENSF_IJiiiEEENSE_INSF_IJNSG_INSF_IJiiiiEEENSF_IJiiiSN_EEELb0EEEEEES1T_S1V_S1U_lEENS_32ThreadwiseTensorSliceTransfer_v2ISD_SD_RKS3R_KS1X_NS5_IJLi8ELi1ELi1ELi32EEEENS5_IJLi1ELi2ELi0ELi3EEEELi3ELi32ELi0ELb1ELb0ELb0EEENS3F_ILS3G_1EKSD_lLb1ELS3I_0EiEENSF_IJNS_12StaticBufferILS3G_4ESD_Li256ELb1EEES42_EEES3N_NS_25StaticBufferTupleOfVectorILS3G_4EfLi64ELi4ELb1ELb0EEEEEvRKT1_RKT2_RT3_RKT4_RT5_RKT6_RKT7_RT8_RKT9_RT10_RKT11_RT12_iENKUlT_T0_E_clISN_NSH_IiLi0EEEEEDaS51_S52_ENKUlS51_E_clINSH_IiLi7EEEEEDaS51_EUlS51_E_EEvS51_EUlS51_E_EEvS51_, .Lfunc_end43-_ZNK2ck6detail7applierIiJLi0ELi1ELi2ELi3ELi4ELi5ELi6ELi7EEEclIZNKS_11static_fordINS_8SequenceIJLi1ELi8EEEENS5_IJLi0ELi1EEEEEclIZZZNKS_52BlockwiseGemmXdlops_pipeline_bpreshuffle_bdequant_v3ILNS_26BlockGemmPipelineSchedulerE0ELi256ENS_9f8_fnuz_tENS_7pk_i4_tESC_fNS_16TensorDescriptorINS_5TupleIJNS_5EmbedINSF_IJNS_17integral_constantIiLi8EEENSH_IiLi256EEENSH_IiLi16EEEEEENSF_IJSK_NSH_IiLi128EEENSH_IiLi1EEEEEELb0EEENS_3XorINSF_IJSJ_SI_EEELb1EEENS_11PassThroughISK_EENS_7UnMergeINSF_IJSI_SN_EEELb0EEENST_ISJ_EESU_NST_ISI_EENS_21Merge_v3_division_modINSF_IJSJ_SN_EEEEESU_EEENSF_IJNS5_IJLi0EEEENS5_IJLi2ELi1EEEENS5_IJLi3EEEENS5_IJLi5EEEENS5_IJLi4EEEENS5_IJLi6EEEENS5_IJLi7EEEENS5_IJLi9ELi8EEEENS5_IJLi10EEEEEEENSF_IJNS5_IJLi1ELi2ELi3EEEENS5_IJLi4ELi5EEEES19_NS5_IJLi7ELi8EEEENS5_IJLi9EEEES1C_NS5_IJLi11EEEENS5_IJLi12EEEENS5_IJLi13EEEEEEENS5_IJLi11ELi12ELi13EEEENSH_IlLl32768EEEEENSE_INSF_IJNSV_INSF_IJSI_SN_SN_NSH_IiLi32EEEEEELb0EEEEEENSF_IJS14_EEENSF_IJNS5_IJLi1ELi2ELi3ELi4EEEEEEES1U_NSH_IlLl256EEEEENSE_INSF_IJSP_SS_SU_SX_SY_SU_SZ_S12_SU_NS10_INSF_IJSI_SK_EEEEENSV_INSF_IJSI_NSH_IiLi2EEESK_EEELb0EEEEEENSF_IJS14_S15_S16_S17_S18_S19_S1A_S1B_S1C_NS5_IJLi11ELi13EEEES1J_EEENSF_IJS1E_S1F_S19_S1G_S1H_S1C_S1I_S1J_S1K_NS5_IJLi14EEEENS5_IJLi15ELi16ELi17EEEEEEENS5_IJLi15ELi16ELi17ELi14EEEES1N_EENSE_INSF_IJS1R_NS10_ISW_EES22_EEENSF_IJS14_NS5_IJLi1ELi3EEEENS5_IJLi2EEEEEEENSF_IJS1U_S17_NS5_IJLi6ELi7ELi8EEEEEEENS5_IJLi6ELi7ELi8ELi5EEEES1W_EELi16ELi32ELi256ELi256ELi128ELi16ELi16ELi8ELi8ELi32ELb0EE3RunILb1ELNS_10TailNumberE1ENSE_INSF_IJNSG_INSF_IJiiEEENSF_IJiSN_EEELb0EEENSV_IS2N_Lb0EEENST_IiEEEEENSF_IJS14_S2E_NS5_IJLi1EEEEEEENSF_IJNS5_IJLi1ELi2EEEENS5_IJLi3ELi4EEEES17_EEENS5_IJLi3ELi5ELi4EEEElEES1O_NS_35ThreadGroupTensorSliceTransfer_v4r1INS_15ThisThreadBlockILi256EEENS_16tensor_operation12element_wise11PassThroughES35_LNS_25InMemoryDataOperationEnumE0ENS5_IJLi8ELi256ELi16EEEENS5_IJLi8ELi32ELi1EEEENS5_IJLi1ELi0ELi2EEEESC_SC_RKS2Z_KS1O_S39_NS5_IJLi0ELi1ELi2EEEELi2ELi2ELi16ELi16ELi1ELi1ELb0ELb1ELi2EiEENS_13DynamicBufferILNS_16AddressSpaceEnumE1EKSC_lLb1ELNS_22AmdBufferCoherenceEnumE0EiEENSF_IJNS3F_ILS3G_2ESC_S1N_Lb1ELS3I_0EiEES3K_EEENSF_IJiiiEEENSE_INSF_IJNSG_INSF_IJiiiiEEENSF_IJiiiSN_EEELb0EEEEEES1T_S1V_S1U_lEENS_32ThreadwiseTensorSliceTransfer_v2ISD_SD_RKS3R_KS1X_NS5_IJLi8ELi1ELi1ELi32EEEENS5_IJLi1ELi2ELi0ELi3EEEELi3ELi32ELi0ELb1ELb0ELb0EEENS3F_ILS3G_1EKSD_lLb1ELS3I_0EiEENSF_IJNS_12StaticBufferILS3G_4ESD_Li256ELb1EEES42_EEES3N_NS_25StaticBufferTupleOfVectorILS3G_4EfLi64ELi4ELb1ELb0EEEEEvRKT1_RKT2_RT3_RKT4_RT5_RKT6_RKT7_RT8_RKT9_RT10_RKT11_RT12_iENKUlT_T0_E_clISN_NSH_IiLi0EEEEEDaS51_S52_ENKUlS51_E_clINSH_IiLi7EEEEEDaS51_EUlS51_E_EEvS51_EUlS51_E_EEvS51_
                                        ; -- End function
	.section	.AMDGPU.csdata,"",@progbits
; Function info:
; codeLenInByte = 133608
; NumSgprs: 36
; NumVgprs: 26
; NumAgprs: 4
; TotalNumVgprs: 32
; ScratchSize: 0
; MemoryBound: 1
	.text
	.p2align	2                               ; -- Begin function _ZNK2ck6detail7applierIiJLi0ELi1ELi2ELi3ELi4ELi5ELi6ELi7EEEclIZNKS_11static_fordINS_8SequenceIJLi1ELi8EEEENS5_IJLi0ELi1EEEEEclIZZNKS_52BlockwiseGemmXdlops_pipeline_bpreshuffle_bdequant_v3ILNS_26BlockGemmPipelineSchedulerE0ELi256ENS_9f8_fnuz_tENS_7pk_i4_tESC_fNS_16TensorDescriptorINS_5TupleIJNS_5EmbedINSF_IJNS_17integral_constantIiLi8EEENSH_IiLi256EEENSH_IiLi16EEEEEENSF_IJSK_NSH_IiLi128EEENSH_IiLi1EEEEEELb0EEENS_3XorINSF_IJSJ_SI_EEELb1EEENS_11PassThroughISK_EENS_7UnMergeINSF_IJSI_SN_EEELb0EEENST_ISJ_EESU_NST_ISI_EENS_21Merge_v3_division_modINSF_IJSJ_SN_EEEEESU_EEENSF_IJNS5_IJLi0EEEENS5_IJLi2ELi1EEEENS5_IJLi3EEEENS5_IJLi5EEEENS5_IJLi4EEEENS5_IJLi6EEEENS5_IJLi7EEEENS5_IJLi9ELi8EEEENS5_IJLi10EEEEEEENSF_IJNS5_IJLi1ELi2ELi3EEEENS5_IJLi4ELi5EEEES19_NS5_IJLi7ELi8EEEENS5_IJLi9EEEES1C_NS5_IJLi11EEEENS5_IJLi12EEEENS5_IJLi13EEEEEEENS5_IJLi11ELi12ELi13EEEENSH_IlLl32768EEEEENSE_INSF_IJNSV_INSF_IJSI_SN_SN_NSH_IiLi32EEEEEELb0EEEEEENSF_IJS14_EEENSF_IJNS5_IJLi1ELi2ELi3ELi4EEEEEEES1U_NSH_IlLl256EEEEENSE_INSF_IJSP_SS_SU_SX_SY_SU_SZ_S12_SU_NS10_INSF_IJSI_SK_EEEEENSV_INSF_IJSI_NSH_IiLi2EEESK_EEELb0EEEEEENSF_IJS14_S15_S16_S17_S18_S19_S1A_S1B_S1C_NS5_IJLi11ELi13EEEES1J_EEENSF_IJS1E_S1F_S19_S1G_S1H_S1C_S1I_S1J_S1K_NS5_IJLi14EEEENS5_IJLi15ELi16ELi17EEEEEEENS5_IJLi15ELi16ELi17ELi14EEEES1N_EENSE_INSF_IJS1R_NS10_ISW_EES22_EEENSF_IJS14_NS5_IJLi1ELi3EEEENS5_IJLi2EEEEEEENSF_IJS1U_S17_NS5_IJLi6ELi7ELi8EEEEEEENS5_IJLi6ELi7ELi8ELi5EEEES1W_EELi16ELi32ELi256ELi256ELi128ELi16ELi16ELi8ELi8ELi32ELb0EE3RunILb1ELNS_10TailNumberE1ENSE_INSF_IJNSG_INSF_IJiiEEENSF_IJiSN_EEELb0EEENSV_IS2N_Lb0EEENST_IiEEEEENSF_IJS14_S2E_NS5_IJLi1EEEEEEENSF_IJNS5_IJLi1ELi2EEEENS5_IJLi3ELi4EEEES17_EEENS5_IJLi3ELi5ELi4EEEElEES1O_NS_35ThreadGroupTensorSliceTransfer_v4r1INS_15ThisThreadBlockILi256EEENS_16tensor_operation12element_wise11PassThroughES35_LNS_25InMemoryDataOperationEnumE0ENS5_IJLi8ELi256ELi16EEEENS5_IJLi8ELi32ELi1EEEENS5_IJLi1ELi0ELi2EEEESC_SC_RKS2Z_KS1O_S39_NS5_IJLi0ELi1ELi2EEEELi2ELi2ELi16ELi16ELi1ELi1ELb0ELb1ELi2EiEENS_13DynamicBufferILNS_16AddressSpaceEnumE1EKSC_lLb1ELNS_22AmdBufferCoherenceEnumE0EiEENSF_IJNS3F_ILS3G_2ESC_S1N_Lb1ELS3I_0EiEES3K_EEENSF_IJiiiEEENSE_INSF_IJNSG_INSF_IJiiiiEEENSF_IJiiiSN_EEELb0EEEEEES1T_S1V_S1U_lEENS_32ThreadwiseTensorSliceTransfer_v2ISD_SD_RKS3R_KS1X_NS5_IJLi8ELi1ELi1ELi32EEEENS5_IJLi1ELi2ELi0ELi3EEEELi3ELi32ELi0ELb1ELb0ELb0EEENS3F_ILS3G_1EKSD_lLb1ELS3I_0EiEENSF_IJNS_12StaticBufferILS3G_4ESD_Li256ELb1EEES42_EEES3N_NS_25StaticBufferTupleOfVectorILS3G_4EfLi64ELi4ELb1ELb0EEEEEvRKT1_RKT2_RT3_RKT4_RT5_RKT6_RKT7_RT8_RKT9_RT10_RKT11_RT12_iENKUlT_E0_clINSH_IiLi0EEEEEDaS51_EUlS51_E_EEvS51_EUlS51_E_EEvS51_
	.type	_ZNK2ck6detail7applierIiJLi0ELi1ELi2ELi3ELi4ELi5ELi6ELi7EEEclIZNKS_11static_fordINS_8SequenceIJLi1ELi8EEEENS5_IJLi0ELi1EEEEEclIZZNKS_52BlockwiseGemmXdlops_pipeline_bpreshuffle_bdequant_v3ILNS_26BlockGemmPipelineSchedulerE0ELi256ENS_9f8_fnuz_tENS_7pk_i4_tESC_fNS_16TensorDescriptorINS_5TupleIJNS_5EmbedINSF_IJNS_17integral_constantIiLi8EEENSH_IiLi256EEENSH_IiLi16EEEEEENSF_IJSK_NSH_IiLi128EEENSH_IiLi1EEEEEELb0EEENS_3XorINSF_IJSJ_SI_EEELb1EEENS_11PassThroughISK_EENS_7UnMergeINSF_IJSI_SN_EEELb0EEENST_ISJ_EESU_NST_ISI_EENS_21Merge_v3_division_modINSF_IJSJ_SN_EEEEESU_EEENSF_IJNS5_IJLi0EEEENS5_IJLi2ELi1EEEENS5_IJLi3EEEENS5_IJLi5EEEENS5_IJLi4EEEENS5_IJLi6EEEENS5_IJLi7EEEENS5_IJLi9ELi8EEEENS5_IJLi10EEEEEEENSF_IJNS5_IJLi1ELi2ELi3EEEENS5_IJLi4ELi5EEEES19_NS5_IJLi7ELi8EEEENS5_IJLi9EEEES1C_NS5_IJLi11EEEENS5_IJLi12EEEENS5_IJLi13EEEEEEENS5_IJLi11ELi12ELi13EEEENSH_IlLl32768EEEEENSE_INSF_IJNSV_INSF_IJSI_SN_SN_NSH_IiLi32EEEEEELb0EEEEEENSF_IJS14_EEENSF_IJNS5_IJLi1ELi2ELi3ELi4EEEEEEES1U_NSH_IlLl256EEEEENSE_INSF_IJSP_SS_SU_SX_SY_SU_SZ_S12_SU_NS10_INSF_IJSI_SK_EEEEENSV_INSF_IJSI_NSH_IiLi2EEESK_EEELb0EEEEEENSF_IJS14_S15_S16_S17_S18_S19_S1A_S1B_S1C_NS5_IJLi11ELi13EEEES1J_EEENSF_IJS1E_S1F_S19_S1G_S1H_S1C_S1I_S1J_S1K_NS5_IJLi14EEEENS5_IJLi15ELi16ELi17EEEEEEENS5_IJLi15ELi16ELi17ELi14EEEES1N_EENSE_INSF_IJS1R_NS10_ISW_EES22_EEENSF_IJS14_NS5_IJLi1ELi3EEEENS5_IJLi2EEEEEEENSF_IJS1U_S17_NS5_IJLi6ELi7ELi8EEEEEEENS5_IJLi6ELi7ELi8ELi5EEEES1W_EELi16ELi32ELi256ELi256ELi128ELi16ELi16ELi8ELi8ELi32ELb0EE3RunILb1ELNS_10TailNumberE1ENSE_INSF_IJNSG_INSF_IJiiEEENSF_IJiSN_EEELb0EEENSV_IS2N_Lb0EEENST_IiEEEEENSF_IJS14_S2E_NS5_IJLi1EEEEEEENSF_IJNS5_IJLi1ELi2EEEENS5_IJLi3ELi4EEEES17_EEENS5_IJLi3ELi5ELi4EEEElEES1O_NS_35ThreadGroupTensorSliceTransfer_v4r1INS_15ThisThreadBlockILi256EEENS_16tensor_operation12element_wise11PassThroughES35_LNS_25InMemoryDataOperationEnumE0ENS5_IJLi8ELi256ELi16EEEENS5_IJLi8ELi32ELi1EEEENS5_IJLi1ELi0ELi2EEEESC_SC_RKS2Z_KS1O_S39_NS5_IJLi0ELi1ELi2EEEELi2ELi2ELi16ELi16ELi1ELi1ELb0ELb1ELi2EiEENS_13DynamicBufferILNS_16AddressSpaceEnumE1EKSC_lLb1ELNS_22AmdBufferCoherenceEnumE0EiEENSF_IJNS3F_ILS3G_2ESC_S1N_Lb1ELS3I_0EiEES3K_EEENSF_IJiiiEEENSE_INSF_IJNSG_INSF_IJiiiiEEENSF_IJiiiSN_EEELb0EEEEEES1T_S1V_S1U_lEENS_32ThreadwiseTensorSliceTransfer_v2ISD_SD_RKS3R_KS1X_NS5_IJLi8ELi1ELi1ELi32EEEENS5_IJLi1ELi2ELi0ELi3EEEELi3ELi32ELi0ELb1ELb0ELb0EEENS3F_ILS3G_1EKSD_lLb1ELS3I_0EiEENSF_IJNS_12StaticBufferILS3G_4ESD_Li256ELb1EEES42_EEES3N_NS_25StaticBufferTupleOfVectorILS3G_4EfLi64ELi4ELb1ELb0EEEEEvRKT1_RKT2_RT3_RKT4_RT5_RKT6_RKT7_RT8_RKT9_RT10_RKT11_RT12_iENKUlT_E0_clINSH_IiLi0EEEEEDaS51_EUlS51_E_EEvS51_EUlS51_E_EEvS51_,@function
_ZNK2ck6detail7applierIiJLi0ELi1ELi2ELi3ELi4ELi5ELi6ELi7EEEclIZNKS_11static_fordINS_8SequenceIJLi1ELi8EEEENS5_IJLi0ELi1EEEEEclIZZNKS_52BlockwiseGemmXdlops_pipeline_bpreshuffle_bdequant_v3ILNS_26BlockGemmPipelineSchedulerE0ELi256ENS_9f8_fnuz_tENS_7pk_i4_tESC_fNS_16TensorDescriptorINS_5TupleIJNS_5EmbedINSF_IJNS_17integral_constantIiLi8EEENSH_IiLi256EEENSH_IiLi16EEEEEENSF_IJSK_NSH_IiLi128EEENSH_IiLi1EEEEEELb0EEENS_3XorINSF_IJSJ_SI_EEELb1EEENS_11PassThroughISK_EENS_7UnMergeINSF_IJSI_SN_EEELb0EEENST_ISJ_EESU_NST_ISI_EENS_21Merge_v3_division_modINSF_IJSJ_SN_EEEEESU_EEENSF_IJNS5_IJLi0EEEENS5_IJLi2ELi1EEEENS5_IJLi3EEEENS5_IJLi5EEEENS5_IJLi4EEEENS5_IJLi6EEEENS5_IJLi7EEEENS5_IJLi9ELi8EEEENS5_IJLi10EEEEEEENSF_IJNS5_IJLi1ELi2ELi3EEEENS5_IJLi4ELi5EEEES19_NS5_IJLi7ELi8EEEENS5_IJLi9EEEES1C_NS5_IJLi11EEEENS5_IJLi12EEEENS5_IJLi13EEEEEEENS5_IJLi11ELi12ELi13EEEENSH_IlLl32768EEEEENSE_INSF_IJNSV_INSF_IJSI_SN_SN_NSH_IiLi32EEEEEELb0EEEEEENSF_IJS14_EEENSF_IJNS5_IJLi1ELi2ELi3ELi4EEEEEEES1U_NSH_IlLl256EEEEENSE_INSF_IJSP_SS_SU_SX_SY_SU_SZ_S12_SU_NS10_INSF_IJSI_SK_EEEEENSV_INSF_IJSI_NSH_IiLi2EEESK_EEELb0EEEEEENSF_IJS14_S15_S16_S17_S18_S19_S1A_S1B_S1C_NS5_IJLi11ELi13EEEES1J_EEENSF_IJS1E_S1F_S19_S1G_S1H_S1C_S1I_S1J_S1K_NS5_IJLi14EEEENS5_IJLi15ELi16ELi17EEEEEEENS5_IJLi15ELi16ELi17ELi14EEEES1N_EENSE_INSF_IJS1R_NS10_ISW_EES22_EEENSF_IJS14_NS5_IJLi1ELi3EEEENS5_IJLi2EEEEEEENSF_IJS1U_S17_NS5_IJLi6ELi7ELi8EEEEEEENS5_IJLi6ELi7ELi8ELi5EEEES1W_EELi16ELi32ELi256ELi256ELi128ELi16ELi16ELi8ELi8ELi32ELb0EE3RunILb1ELNS_10TailNumberE1ENSE_INSF_IJNSG_INSF_IJiiEEENSF_IJiSN_EEELb0EEENSV_IS2N_Lb0EEENST_IiEEEEENSF_IJS14_S2E_NS5_IJLi1EEEEEEENSF_IJNS5_IJLi1ELi2EEEENS5_IJLi3ELi4EEEES17_EEENS5_IJLi3ELi5ELi4EEEElEES1O_NS_35ThreadGroupTensorSliceTransfer_v4r1INS_15ThisThreadBlockILi256EEENS_16tensor_operation12element_wise11PassThroughES35_LNS_25InMemoryDataOperationEnumE0ENS5_IJLi8ELi256ELi16EEEENS5_IJLi8ELi32ELi1EEEENS5_IJLi1ELi0ELi2EEEESC_SC_RKS2Z_KS1O_S39_NS5_IJLi0ELi1ELi2EEEELi2ELi2ELi16ELi16ELi1ELi1ELb0ELb1ELi2EiEENS_13DynamicBufferILNS_16AddressSpaceEnumE1EKSC_lLb1ELNS_22AmdBufferCoherenceEnumE0EiEENSF_IJNS3F_ILS3G_2ESC_S1N_Lb1ELS3I_0EiEES3K_EEENSF_IJiiiEEENSE_INSF_IJNSG_INSF_IJiiiiEEENSF_IJiiiSN_EEELb0EEEEEES1T_S1V_S1U_lEENS_32ThreadwiseTensorSliceTransfer_v2ISD_SD_RKS3R_KS1X_NS5_IJLi8ELi1ELi1ELi32EEEENS5_IJLi1ELi2ELi0ELi3EEEELi3ELi32ELi0ELb1ELb0ELb0EEENS3F_ILS3G_1EKSD_lLb1ELS3I_0EiEENSF_IJNS_12StaticBufferILS3G_4ESD_Li256ELb1EEES42_EEES3N_NS_25StaticBufferTupleOfVectorILS3G_4EfLi64ELi4ELb1ELb0EEEEEvRKT1_RKT2_RT3_RKT4_RT5_RKT6_RKT7_RT8_RKT9_RT10_RKT11_RT12_iENKUlT_E0_clINSH_IiLi0EEEEEDaS51_EUlS51_E_EEvS51_EUlS51_E_EEvS51_: ; @_ZNK2ck6detail7applierIiJLi0ELi1ELi2ELi3ELi4ELi5ELi6ELi7EEEclIZNKS_11static_fordINS_8SequenceIJLi1ELi8EEEENS5_IJLi0ELi1EEEEEclIZZNKS_52BlockwiseGemmXdlops_pipeline_bpreshuffle_bdequant_v3ILNS_26BlockGemmPipelineSchedulerE0ELi256ENS_9f8_fnuz_tENS_7pk_i4_tESC_fNS_16TensorDescriptorINS_5TupleIJNS_5EmbedINSF_IJNS_17integral_constantIiLi8EEENSH_IiLi256EEENSH_IiLi16EEEEEENSF_IJSK_NSH_IiLi128EEENSH_IiLi1EEEEEELb0EEENS_3XorINSF_IJSJ_SI_EEELb1EEENS_11PassThroughISK_EENS_7UnMergeINSF_IJSI_SN_EEELb0EEENST_ISJ_EESU_NST_ISI_EENS_21Merge_v3_division_modINSF_IJSJ_SN_EEEEESU_EEENSF_IJNS5_IJLi0EEEENS5_IJLi2ELi1EEEENS5_IJLi3EEEENS5_IJLi5EEEENS5_IJLi4EEEENS5_IJLi6EEEENS5_IJLi7EEEENS5_IJLi9ELi8EEEENS5_IJLi10EEEEEEENSF_IJNS5_IJLi1ELi2ELi3EEEENS5_IJLi4ELi5EEEES19_NS5_IJLi7ELi8EEEENS5_IJLi9EEEES1C_NS5_IJLi11EEEENS5_IJLi12EEEENS5_IJLi13EEEEEEENS5_IJLi11ELi12ELi13EEEENSH_IlLl32768EEEEENSE_INSF_IJNSV_INSF_IJSI_SN_SN_NSH_IiLi32EEEEEELb0EEEEEENSF_IJS14_EEENSF_IJNS5_IJLi1ELi2ELi3ELi4EEEEEEES1U_NSH_IlLl256EEEEENSE_INSF_IJSP_SS_SU_SX_SY_SU_SZ_S12_SU_NS10_INSF_IJSI_SK_EEEEENSV_INSF_IJSI_NSH_IiLi2EEESK_EEELb0EEEEEENSF_IJS14_S15_S16_S17_S18_S19_S1A_S1B_S1C_NS5_IJLi11ELi13EEEES1J_EEENSF_IJS1E_S1F_S19_S1G_S1H_S1C_S1I_S1J_S1K_NS5_IJLi14EEEENS5_IJLi15ELi16ELi17EEEEEEENS5_IJLi15ELi16ELi17ELi14EEEES1N_EENSE_INSF_IJS1R_NS10_ISW_EES22_EEENSF_IJS14_NS5_IJLi1ELi3EEEENS5_IJLi2EEEEEEENSF_IJS1U_S17_NS5_IJLi6ELi7ELi8EEEEEEENS5_IJLi6ELi7ELi8ELi5EEEES1W_EELi16ELi32ELi256ELi256ELi128ELi16ELi16ELi8ELi8ELi32ELb0EE3RunILb1ELNS_10TailNumberE1ENSE_INSF_IJNSG_INSF_IJiiEEENSF_IJiSN_EEELb0EEENSV_IS2N_Lb0EEENST_IiEEEEENSF_IJS14_S2E_NS5_IJLi1EEEEEEENSF_IJNS5_IJLi1ELi2EEEENS5_IJLi3ELi4EEEES17_EEENS5_IJLi3ELi5ELi4EEEElEES1O_NS_35ThreadGroupTensorSliceTransfer_v4r1INS_15ThisThreadBlockILi256EEENS_16tensor_operation12element_wise11PassThroughES35_LNS_25InMemoryDataOperationEnumE0ENS5_IJLi8ELi256ELi16EEEENS5_IJLi8ELi32ELi1EEEENS5_IJLi1ELi0ELi2EEEESC_SC_RKS2Z_KS1O_S39_NS5_IJLi0ELi1ELi2EEEELi2ELi2ELi16ELi16ELi1ELi1ELb0ELb1ELi2EiEENS_13DynamicBufferILNS_16AddressSpaceEnumE1EKSC_lLb1ELNS_22AmdBufferCoherenceEnumE0EiEENSF_IJNS3F_ILS3G_2ESC_S1N_Lb1ELS3I_0EiEES3K_EEENSF_IJiiiEEENSE_INSF_IJNSG_INSF_IJiiiiEEENSF_IJiiiSN_EEELb0EEEEEES1T_S1V_S1U_lEENS_32ThreadwiseTensorSliceTransfer_v2ISD_SD_RKS3R_KS1X_NS5_IJLi8ELi1ELi1ELi32EEEENS5_IJLi1ELi2ELi0ELi3EEEELi3ELi32ELi0ELb1ELb0ELb0EEENS3F_ILS3G_1EKSD_lLb1ELS3I_0EiEENSF_IJNS_12StaticBufferILS3G_4ESD_Li256ELb1EEES42_EEES3N_NS_25StaticBufferTupleOfVectorILS3G_4EfLi64ELi4ELb1ELb0EEEEEvRKT1_RKT2_RT3_RKT4_RT5_RKT6_RKT7_RT8_RKT9_RT10_RKT11_RT12_iENKUlT_E0_clINSH_IiLi0EEEEEDaS51_EUlS51_E_EEvS51_EUlS51_E_EEvS51_
; %bb.0:
	s_waitcnt vmcnt(0) expcnt(0) lgkmcnt(0)
	flat_load_dwordx4 v[20:23], v[0:1] offset:8
	flat_load_dwordx2 v[18:19], v[0:1] offset:24
	s_movk_i32 s4, 0x7f
                                        ; implicit-def: $sgpr10
	s_waitcnt vmcnt(0) lgkmcnt(0)
	flat_load_dwordx4 v[14:17], v[20:21]
	flat_load_dwordx4 v[10:13], v[22:23]
	flat_load_dwordx4 v[6:9], v[20:21] offset:16
	flat_load_dwordx4 v[2:5], v[22:23] offset:16
	s_waitcnt vmcnt(0) lgkmcnt(0)
	v_cmp_gt_i16_sdwa s[6:7], v14, s4 src0_sel:BYTE_0 src1_sel:DWORD
	s_mov_b64 s[4:5], 0
	s_and_saveexec_b64 s[8:9], s[6:7]
	s_xor_b64 s[6:7], exec, s[8:9]
	s_cbranch_execnz .LBB44_2049
; %bb.1:
	s_or_saveexec_b64 s[6:7], s[6:7]
	v_mov_b32_e32 v20, s10
	s_xor_b64 exec, exec, s[6:7]
	s_cbranch_execnz .LBB44_2052
.LBB44_2:
	s_or_b64 exec, exec, s[6:7]
	s_and_saveexec_b64 s[6:7], s[4:5]
	s_cbranch_execz .LBB44_4
.LBB44_3:
	v_and_b32_e32 v20, 7, v14
	v_ffbh_u32_e32 v22, v20
	v_min_u32_e32 v22, 32, v22
	v_lshrrev_b16_e32 v21, 3, v14
	v_subrev_u32_e32 v23, 28, v22
	v_and_b32_e32 v21, 15, v21
	v_lshlrev_b32_e32 v23, v23, v14
	v_sub_u32_e32 v22, 29, v22
	v_and_b32_e32 v23, 7, v23
	v_cmp_eq_u16_e32 vcc, 0, v21
	v_cndmask_b32_e32 v20, v20, v23, vcc
	v_cndmask_b32_e32 v21, v21, v22, vcc
	v_lshlrev_b32_e32 v22, 24, v14
	v_mov_b32_e32 v23, 0x3b800000
	v_lshlrev_b32_e32 v20, 20, v20
	v_and_b32_e32 v22, 0x80000000, v22
	v_lshl_add_u32 v21, v21, 23, v23
	v_or3_b32 v20, v22, v21, v20
.LBB44_4:
	s_or_b64 exec, exec, s[6:7]
	s_movk_i32 s4, 0x7f
	v_cmp_gt_i16_sdwa s[6:7], v10, s4 src0_sel:BYTE_0 src1_sel:DWORD
	s_mov_b64 s[4:5], 0
                                        ; implicit-def: $sgpr10
	s_and_saveexec_b64 s[8:9], s[6:7]
	s_xor_b64 s[6:7], exec, s[8:9]
	s_cbranch_execnz .LBB44_2053
; %bb.5:
	s_or_saveexec_b64 s[6:7], s[6:7]
	v_mov_b32_e32 v21, s10
	s_xor_b64 exec, exec, s[6:7]
	s_cbranch_execnz .LBB44_2056
.LBB44_6:
	s_or_b64 exec, exec, s[6:7]
	s_and_saveexec_b64 s[6:7], s[4:5]
	s_cbranch_execz .LBB44_8
.LBB44_7:
	v_and_b32_e32 v21, 7, v10
	v_ffbh_u32_e32 v23, v21
	v_min_u32_e32 v23, 32, v23
	v_lshrrev_b16_e32 v22, 3, v10
	v_subrev_u32_e32 v24, 28, v23
	v_and_b32_e32 v22, 15, v22
	v_lshlrev_b32_e32 v24, v24, v10
	v_sub_u32_e32 v23, 29, v23
	v_and_b32_e32 v24, 7, v24
	v_cmp_eq_u16_e32 vcc, 0, v22
	v_cndmask_b32_e32 v21, v21, v24, vcc
	v_cndmask_b32_e32 v22, v22, v23, vcc
	v_lshlrev_b32_e32 v23, 24, v10
	v_mov_b32_e32 v24, 0x3b800000
	v_lshlrev_b32_e32 v21, 20, v21
	v_and_b32_e32 v23, 0x80000000, v23
	v_lshl_add_u32 v22, v22, 23, v24
	v_or3_b32 v21, v23, v22, v21
.LBB44_8:
	s_or_b64 exec, exec, s[6:7]
	flat_load_dwordx4 a[0:3], v[18:19]
	s_movk_i32 s4, 0x7f
                                        ; implicit-def: $sgpr10
	s_waitcnt vmcnt(0) lgkmcnt(0)
	v_mfma_f32_16x16x4f32 a[0:3], v20, v21, a[0:3]
	v_lshrrev_b32_e32 v21, 8, v14
	v_cmp_gt_i16_sdwa s[6:7], v21, s4 src0_sel:BYTE_0 src1_sel:DWORD
	s_mov_b64 s[4:5], 0
	s_and_saveexec_b64 s[8:9], s[6:7]
	s_xor_b64 s[6:7], exec, s[8:9]
	s_cbranch_execnz .LBB44_2057
; %bb.9:
	s_or_saveexec_b64 s[6:7], s[6:7]
	v_mov_b32_e32 v20, s10
	s_xor_b64 exec, exec, s[6:7]
	s_cbranch_execnz .LBB44_2060
.LBB44_10:
	s_or_b64 exec, exec, s[6:7]
	s_and_saveexec_b64 s[6:7], s[4:5]
	s_cbranch_execz .LBB44_12
.LBB44_11:
	v_bfe_u32 v20, v14, 8, 3
	v_ffbh_u32_e32 v23, v20
	v_min_u32_e32 v23, 32, v23
	v_lshrrev_b16_e32 v22, 3, v21
	v_subrev_u32_e32 v24, 28, v23
	v_and_b32_e32 v22, 15, v22
	v_lshlrev_b32_e32 v21, v24, v21
	v_sub_u32_e32 v23, 29, v23
	v_and_b32_e32 v21, 7, v21
	v_cmp_eq_u16_e32 vcc, 0, v22
	v_cndmask_b32_e32 v20, v20, v21, vcc
	v_cndmask_b32_e32 v21, v22, v23, vcc
	v_lshlrev_b32_e32 v22, 16, v14
	v_mov_b32_e32 v23, 0x3b800000
	v_lshlrev_b32_e32 v20, 20, v20
	v_and_b32_e32 v22, 0x80000000, v22
	v_lshl_add_u32 v21, v21, 23, v23
	v_or3_b32 v20, v22, v21, v20
.LBB44_12:
	s_or_b64 exec, exec, s[6:7]
	v_lshrrev_b32_e32 v21, 8, v10
	s_movk_i32 s4, 0x7f
	v_cmp_gt_i16_sdwa s[6:7], v21, s4 src0_sel:BYTE_0 src1_sel:DWORD
	s_mov_b64 s[4:5], 0
                                        ; implicit-def: $sgpr10
	s_and_saveexec_b64 s[8:9], s[6:7]
	s_xor_b64 s[6:7], exec, s[8:9]
	s_cbranch_execnz .LBB44_2061
; %bb.13:
	s_or_saveexec_b64 s[6:7], s[6:7]
	v_mov_b32_e32 v22, s10
	s_xor_b64 exec, exec, s[6:7]
	s_cbranch_execnz .LBB44_2064
.LBB44_14:
	s_or_b64 exec, exec, s[6:7]
	s_and_saveexec_b64 s[6:7], s[4:5]
	s_cbranch_execz .LBB44_16
.LBB44_15:
	v_bfe_u32 v22, v10, 8, 3
	v_ffbh_u32_e32 v24, v22
	v_min_u32_e32 v24, 32, v24
	v_lshrrev_b16_e32 v23, 3, v21
	v_subrev_u32_e32 v25, 28, v24
	v_and_b32_e32 v23, 15, v23
	v_lshlrev_b32_e32 v21, v25, v21
	v_sub_u32_e32 v24, 29, v24
	v_and_b32_e32 v21, 7, v21
	v_cmp_eq_u16_e32 vcc, 0, v23
	v_cndmask_b32_e32 v21, v22, v21, vcc
	v_cndmask_b32_e32 v22, v23, v24, vcc
	v_lshlrev_b32_e32 v23, 16, v10
	v_mov_b32_e32 v24, 0x3b800000
	v_lshlrev_b32_e32 v21, 20, v21
	v_and_b32_e32 v23, 0x80000000, v23
	v_lshl_add_u32 v22, v22, 23, v24
	v_or3_b32 v22, v23, v22, v21
.LBB44_16:
	s_or_b64 exec, exec, s[6:7]
	s_nop 0
	v_mfma_f32_16x16x4f32 a[0:3], v20, v22, a[0:3]
	s_movk_i32 s4, 0xff
	v_and_b32_sdwa v21, v14, s4 dst_sel:DWORD dst_unused:UNUSED_PAD src0_sel:WORD_1 src1_sel:DWORD
	s_movk_i32 s4, 0x7f
	v_cmp_lt_i16_e32 vcc, s4, v21
	s_mov_b64 s[4:5], 0
                                        ; implicit-def: $sgpr10
	s_and_saveexec_b64 s[6:7], vcc
	s_xor_b64 s[6:7], exec, s[6:7]
	s_cbranch_execnz .LBB44_2065
; %bb.17:
	s_or_saveexec_b64 s[6:7], s[6:7]
	v_mov_b32_e32 v20, s10
	s_xor_b64 exec, exec, s[6:7]
	s_cbranch_execnz .LBB44_2068
.LBB44_18:
	s_or_b64 exec, exec, s[6:7]
	s_and_saveexec_b64 s[6:7], s[4:5]
	s_cbranch_execz .LBB44_20
.LBB44_19:
	v_bfe_u32 v20, v14, 16, 3
	v_ffbh_u32_e32 v23, v20
	v_min_u32_e32 v23, 32, v23
	v_lshrrev_b32_e32 v21, 19, v14
	v_subrev_u32_e32 v24, 28, v23
	v_and_b32_e32 v21, 15, v21
	v_lshlrev_b32_sdwa v24, v24, v14 dst_sel:DWORD dst_unused:UNUSED_PAD src0_sel:DWORD src1_sel:WORD_1
	v_bfe_u32 v22, v14, 19, 4
	v_sub_u32_e32 v23, 29, v23
	v_and_b32_e32 v24, 7, v24
	v_cmp_eq_u16_e32 vcc, 0, v21
	v_cndmask_b32_e32 v20, v20, v24, vcc
	v_cndmask_b32_e32 v21, v22, v23, vcc
	v_lshlrev_b32_e32 v22, 8, v14
	v_mov_b32_e32 v23, 0x3b800000
	v_lshlrev_b32_e32 v20, 20, v20
	v_and_b32_e32 v22, 0x80000000, v22
	v_lshl_add_u32 v21, v21, 23, v23
	v_or3_b32 v20, v22, v21, v20
.LBB44_20:
	s_or_b64 exec, exec, s[6:7]
	s_movk_i32 s4, 0xff
	v_and_b32_sdwa v21, v10, s4 dst_sel:DWORD dst_unused:UNUSED_PAD src0_sel:WORD_1 src1_sel:DWORD
	s_movk_i32 s4, 0x7f
	v_cmp_lt_i16_e32 vcc, s4, v21
	s_mov_b64 s[4:5], 0
                                        ; implicit-def: $sgpr10
	s_and_saveexec_b64 s[6:7], vcc
	s_xor_b64 s[6:7], exec, s[6:7]
	s_cbranch_execnz .LBB44_2069
; %bb.21:
	s_or_saveexec_b64 s[6:7], s[6:7]
	v_mov_b32_e32 v22, s10
	s_xor_b64 exec, exec, s[6:7]
	s_cbranch_execnz .LBB44_2072
.LBB44_22:
	s_or_b64 exec, exec, s[6:7]
	s_and_saveexec_b64 s[6:7], s[4:5]
	s_cbranch_execz .LBB44_24
.LBB44_23:
	v_bfe_u32 v21, v10, 16, 3
	v_ffbh_u32_e32 v24, v21
	v_min_u32_e32 v24, 32, v24
	v_lshrrev_b32_e32 v22, 19, v10
	v_subrev_u32_e32 v25, 28, v24
	v_and_b32_e32 v22, 15, v22
	v_lshlrev_b32_sdwa v25, v25, v10 dst_sel:DWORD dst_unused:UNUSED_PAD src0_sel:DWORD src1_sel:WORD_1
	v_bfe_u32 v23, v10, 19, 4
	v_sub_u32_e32 v24, 29, v24
	v_and_b32_e32 v25, 7, v25
	v_cmp_eq_u16_e32 vcc, 0, v22
	v_cndmask_b32_e32 v21, v21, v25, vcc
	v_cndmask_b32_e32 v22, v23, v24, vcc
	v_lshlrev_b32_e32 v23, 8, v10
	v_mov_b32_e32 v24, 0x3b800000
	v_lshlrev_b32_e32 v21, 20, v21
	v_and_b32_e32 v23, 0x80000000, v23
	v_lshl_add_u32 v22, v22, 23, v24
	v_or3_b32 v22, v23, v22, v21
.LBB44_24:
	s_or_b64 exec, exec, s[6:7]
	s_nop 0
	v_mfma_f32_16x16x4f32 a[0:3], v20, v22, a[0:3]
	s_movk_i32 s4, 0x7f
	v_cmp_gt_i16_sdwa s[6:7], v14, s4 src0_sel:BYTE_3 src1_sel:DWORD
	s_mov_b64 s[4:5], 0
                                        ; implicit-def: $sgpr10
	s_and_saveexec_b64 s[8:9], s[6:7]
	s_xor_b64 s[6:7], exec, s[8:9]
	s_cbranch_execnz .LBB44_2073
; %bb.25:
	s_or_saveexec_b64 s[6:7], s[6:7]
	v_mov_b32_e32 v20, s10
	s_xor_b64 exec, exec, s[6:7]
	s_cbranch_execnz .LBB44_2076
.LBB44_26:
	s_or_b64 exec, exec, s[6:7]
	s_and_saveexec_b64 s[6:7], s[4:5]
	s_cbranch_execz .LBB44_28
.LBB44_27:
	v_bfe_u32 v20, v14, 24, 3
	v_ffbh_u32_e32 v24, v20
	v_min_u32_e32 v24, 32, v24
	v_lshrrev_b32_e32 v22, 27, v14
	v_subrev_u32_e32 v25, 28, v24
	v_and_b32_e32 v21, 0x80000000, v14
	v_and_b32_e32 v22, 15, v22
	v_bfe_u32 v23, v14, 27, 4
	v_lshlrev_b32_sdwa v14, v25, v14 dst_sel:DWORD dst_unused:UNUSED_PAD src0_sel:DWORD src1_sel:BYTE_3
	v_sub_u32_e32 v24, 29, v24
	v_and_b32_e32 v14, 7, v14
	v_cmp_eq_u16_e32 vcc, 0, v22
	v_cndmask_b32_e32 v14, v20, v14, vcc
	v_cndmask_b32_e32 v20, v23, v24, vcc
	v_mov_b32_e32 v22, 0x3b800000
	v_lshlrev_b32_e32 v14, 20, v14
	v_lshl_add_u32 v20, v20, 23, v22
	v_or3_b32 v20, v21, v20, v14
.LBB44_28:
	s_or_b64 exec, exec, s[6:7]
	s_movk_i32 s4, 0x7f
	v_cmp_gt_i16_sdwa s[6:7], v10, s4 src0_sel:BYTE_3 src1_sel:DWORD
	s_mov_b64 s[4:5], 0
                                        ; implicit-def: $sgpr10
	s_and_saveexec_b64 s[8:9], s[6:7]
	s_xor_b64 s[6:7], exec, s[8:9]
	s_cbranch_execnz .LBB44_2077
; %bb.29:
	s_or_saveexec_b64 s[6:7], s[6:7]
	v_mov_b32_e32 v14, s10
	s_xor_b64 exec, exec, s[6:7]
	s_cbranch_execnz .LBB44_2080
.LBB44_30:
	s_or_b64 exec, exec, s[6:7]
	s_and_saveexec_b64 s[6:7], s[4:5]
	s_cbranch_execz .LBB44_32
.LBB44_31:
	v_bfe_u32 v14, v10, 24, 3
	v_ffbh_u32_e32 v24, v14
	v_min_u32_e32 v24, 32, v24
	v_lshrrev_b32_e32 v22, 27, v10
	v_subrev_u32_e32 v25, 28, v24
	v_and_b32_e32 v21, 0x80000000, v10
	v_and_b32_e32 v22, 15, v22
	v_bfe_u32 v23, v10, 27, 4
	v_lshlrev_b32_sdwa v10, v25, v10 dst_sel:DWORD dst_unused:UNUSED_PAD src0_sel:DWORD src1_sel:BYTE_3
	v_sub_u32_e32 v24, 29, v24
	v_and_b32_e32 v10, 7, v10
	v_cmp_eq_u16_e32 vcc, 0, v22
	v_cndmask_b32_e32 v10, v14, v10, vcc
	v_cndmask_b32_e32 v14, v23, v24, vcc
	v_mov_b32_e32 v22, 0x3b800000
	v_lshlrev_b32_e32 v10, 20, v10
	v_lshl_add_u32 v14, v14, 23, v22
	v_or3_b32 v14, v21, v14, v10
.LBB44_32:
	s_or_b64 exec, exec, s[6:7]
	s_nop 0
	v_mfma_f32_16x16x4f32 a[0:3], v20, v14, a[0:3]
	s_movk_i32 s4, 0x7f
	v_cmp_gt_i16_sdwa s[6:7], v15, s4 src0_sel:BYTE_0 src1_sel:DWORD
	s_mov_b64 s[4:5], 0
                                        ; implicit-def: $sgpr10
	s_and_saveexec_b64 s[8:9], s[6:7]
	s_xor_b64 s[6:7], exec, s[8:9]
	s_cbranch_execnz .LBB44_2081
; %bb.33:
	s_or_saveexec_b64 s[6:7], s[6:7]
	v_mov_b32_e32 v10, s10
	s_xor_b64 exec, exec, s[6:7]
	s_cbranch_execnz .LBB44_2084
.LBB44_34:
	s_or_b64 exec, exec, s[6:7]
	s_and_saveexec_b64 s[6:7], s[4:5]
	s_cbranch_execz .LBB44_36
.LBB44_35:
	v_and_b32_e32 v10, 7, v15
	v_ffbh_u32_e32 v20, v10
	v_min_u32_e32 v20, 32, v20
	v_lshrrev_b16_e32 v14, 3, v15
	v_subrev_u32_e32 v21, 28, v20
	v_and_b32_e32 v14, 15, v14
	v_lshlrev_b32_e32 v21, v21, v15
	v_sub_u32_e32 v20, 29, v20
	v_and_b32_e32 v21, 7, v21
	v_cmp_eq_u16_e32 vcc, 0, v14
	v_cndmask_b32_e32 v10, v10, v21, vcc
	v_cndmask_b32_e32 v14, v14, v20, vcc
	v_lshlrev_b32_e32 v20, 24, v15
	v_mov_b32_e32 v21, 0x3b800000
	v_lshlrev_b32_e32 v10, 20, v10
	v_and_b32_e32 v20, 0x80000000, v20
	v_lshl_add_u32 v14, v14, 23, v21
	v_or3_b32 v10, v20, v14, v10
.LBB44_36:
	s_or_b64 exec, exec, s[6:7]
	s_movk_i32 s4, 0x7f
	v_cmp_gt_i16_sdwa s[6:7], v11, s4 src0_sel:BYTE_0 src1_sel:DWORD
	s_mov_b64 s[4:5], 0
                                        ; implicit-def: $sgpr10
	s_and_saveexec_b64 s[8:9], s[6:7]
	s_xor_b64 s[6:7], exec, s[8:9]
	s_cbranch_execnz .LBB44_2085
; %bb.37:
	s_or_saveexec_b64 s[6:7], s[6:7]
	v_mov_b32_e32 v14, s10
	s_xor_b64 exec, exec, s[6:7]
	s_cbranch_execnz .LBB44_2088
.LBB44_38:
	s_or_b64 exec, exec, s[6:7]
	s_and_saveexec_b64 s[6:7], s[4:5]
	s_cbranch_execz .LBB44_40
.LBB44_39:
	v_and_b32_e32 v14, 7, v11
	v_ffbh_u32_e32 v21, v14
	v_min_u32_e32 v21, 32, v21
	v_lshrrev_b16_e32 v20, 3, v11
	v_subrev_u32_e32 v22, 28, v21
	v_and_b32_e32 v20, 15, v20
	v_lshlrev_b32_e32 v22, v22, v11
	v_sub_u32_e32 v21, 29, v21
	v_and_b32_e32 v22, 7, v22
	v_cmp_eq_u16_e32 vcc, 0, v20
	v_cndmask_b32_e32 v14, v14, v22, vcc
	v_cndmask_b32_e32 v20, v20, v21, vcc
	v_lshlrev_b32_e32 v21, 24, v11
	v_mov_b32_e32 v22, 0x3b800000
	v_lshlrev_b32_e32 v14, 20, v14
	v_and_b32_e32 v21, 0x80000000, v21
	v_lshl_add_u32 v20, v20, 23, v22
	v_or3_b32 v14, v21, v20, v14
.LBB44_40:
	s_or_b64 exec, exec, s[6:7]
	s_nop 0
	v_mfma_f32_16x16x4f32 a[0:3], v10, v14, a[0:3]
	v_lshrrev_b32_e32 v14, 8, v15
	s_movk_i32 s4, 0x7f
	v_cmp_gt_i16_sdwa s[6:7], v14, s4 src0_sel:BYTE_0 src1_sel:DWORD
	s_mov_b64 s[4:5], 0
                                        ; implicit-def: $sgpr10
	s_and_saveexec_b64 s[8:9], s[6:7]
	s_xor_b64 s[6:7], exec, s[8:9]
	s_cbranch_execnz .LBB44_2089
; %bb.41:
	s_or_saveexec_b64 s[6:7], s[6:7]
	v_mov_b32_e32 v10, s10
	s_xor_b64 exec, exec, s[6:7]
	s_cbranch_execnz .LBB44_2092
.LBB44_42:
	s_or_b64 exec, exec, s[6:7]
	s_and_saveexec_b64 s[6:7], s[4:5]
	s_cbranch_execz .LBB44_44
.LBB44_43:
	v_bfe_u32 v10, v15, 8, 3
	v_ffbh_u32_e32 v21, v10
	v_min_u32_e32 v21, 32, v21
	v_lshrrev_b16_e32 v20, 3, v14
	v_subrev_u32_e32 v22, 28, v21
	v_and_b32_e32 v20, 15, v20
	v_lshlrev_b32_e32 v14, v22, v14
	v_sub_u32_e32 v21, 29, v21
	v_and_b32_e32 v14, 7, v14
	v_cmp_eq_u16_e32 vcc, 0, v20
	v_cndmask_b32_e32 v10, v10, v14, vcc
	v_cndmask_b32_e32 v14, v20, v21, vcc
	v_lshlrev_b32_e32 v20, 16, v15
	v_mov_b32_e32 v21, 0x3b800000
	v_lshlrev_b32_e32 v10, 20, v10
	v_and_b32_e32 v20, 0x80000000, v20
	v_lshl_add_u32 v14, v14, 23, v21
	v_or3_b32 v10, v20, v14, v10
.LBB44_44:
	s_or_b64 exec, exec, s[6:7]
	v_lshrrev_b32_e32 v14, 8, v11
	s_movk_i32 s4, 0x7f
	v_cmp_gt_i16_sdwa s[6:7], v14, s4 src0_sel:BYTE_0 src1_sel:DWORD
	s_mov_b64 s[4:5], 0
                                        ; implicit-def: $sgpr10
	s_and_saveexec_b64 s[8:9], s[6:7]
	s_xor_b64 s[6:7], exec, s[8:9]
	s_cbranch_execnz .LBB44_2093
; %bb.45:
	s_or_saveexec_b64 s[6:7], s[6:7]
	v_mov_b32_e32 v20, s10
	s_xor_b64 exec, exec, s[6:7]
	s_cbranch_execnz .LBB44_2096
.LBB44_46:
	s_or_b64 exec, exec, s[6:7]
	s_and_saveexec_b64 s[6:7], s[4:5]
	s_cbranch_execz .LBB44_48
.LBB44_47:
	v_bfe_u32 v20, v11, 8, 3
	v_ffbh_u32_e32 v22, v20
	v_min_u32_e32 v22, 32, v22
	v_lshrrev_b16_e32 v21, 3, v14
	v_subrev_u32_e32 v23, 28, v22
	v_and_b32_e32 v21, 15, v21
	v_lshlrev_b32_e32 v14, v23, v14
	v_sub_u32_e32 v22, 29, v22
	v_and_b32_e32 v14, 7, v14
	v_cmp_eq_u16_e32 vcc, 0, v21
	v_cndmask_b32_e32 v14, v20, v14, vcc
	v_cndmask_b32_e32 v20, v21, v22, vcc
	v_lshlrev_b32_e32 v21, 16, v11
	v_mov_b32_e32 v22, 0x3b800000
	v_lshlrev_b32_e32 v14, 20, v14
	v_and_b32_e32 v21, 0x80000000, v21
	v_lshl_add_u32 v20, v20, 23, v22
	v_or3_b32 v20, v21, v20, v14
.LBB44_48:
	s_or_b64 exec, exec, s[6:7]
	s_nop 0
	v_mfma_f32_16x16x4f32 a[0:3], v10, v20, a[0:3]
	s_movk_i32 s4, 0xff
	v_and_b32_sdwa v14, v15, s4 dst_sel:DWORD dst_unused:UNUSED_PAD src0_sel:WORD_1 src1_sel:DWORD
	s_movk_i32 s4, 0x7f
	v_cmp_lt_i16_e32 vcc, s4, v14
	s_mov_b64 s[4:5], 0
                                        ; implicit-def: $sgpr10
	s_and_saveexec_b64 s[6:7], vcc
	s_xor_b64 s[6:7], exec, s[6:7]
	s_cbranch_execnz .LBB44_2097
; %bb.49:
	s_or_saveexec_b64 s[6:7], s[6:7]
	v_mov_b32_e32 v10, s10
	s_xor_b64 exec, exec, s[6:7]
	s_cbranch_execnz .LBB44_2100
.LBB44_50:
	s_or_b64 exec, exec, s[6:7]
	s_and_saveexec_b64 s[6:7], s[4:5]
	s_cbranch_execz .LBB44_52
.LBB44_51:
	v_bfe_u32 v10, v15, 16, 3
	v_ffbh_u32_e32 v21, v10
	v_min_u32_e32 v21, 32, v21
	v_lshrrev_b32_e32 v14, 19, v15
	v_subrev_u32_e32 v22, 28, v21
	v_and_b32_e32 v14, 15, v14
	v_lshlrev_b32_sdwa v22, v22, v15 dst_sel:DWORD dst_unused:UNUSED_PAD src0_sel:DWORD src1_sel:WORD_1
	v_bfe_u32 v20, v15, 19, 4
	v_sub_u32_e32 v21, 29, v21
	v_and_b32_e32 v22, 7, v22
	v_cmp_eq_u16_e32 vcc, 0, v14
	v_cndmask_b32_e32 v10, v10, v22, vcc
	v_cndmask_b32_e32 v14, v20, v21, vcc
	v_lshlrev_b32_e32 v20, 8, v15
	v_mov_b32_e32 v21, 0x3b800000
	v_lshlrev_b32_e32 v10, 20, v10
	v_and_b32_e32 v20, 0x80000000, v20
	v_lshl_add_u32 v14, v14, 23, v21
	v_or3_b32 v10, v20, v14, v10
.LBB44_52:
	s_or_b64 exec, exec, s[6:7]
	s_movk_i32 s4, 0xff
	v_and_b32_sdwa v14, v11, s4 dst_sel:DWORD dst_unused:UNUSED_PAD src0_sel:WORD_1 src1_sel:DWORD
	s_movk_i32 s4, 0x7f
	v_cmp_lt_i16_e32 vcc, s4, v14
	s_mov_b64 s[4:5], 0
                                        ; implicit-def: $sgpr10
	s_and_saveexec_b64 s[6:7], vcc
	s_xor_b64 s[6:7], exec, s[6:7]
	s_cbranch_execnz .LBB44_2101
; %bb.53:
	s_or_saveexec_b64 s[6:7], s[6:7]
	v_mov_b32_e32 v20, s10
	s_xor_b64 exec, exec, s[6:7]
	s_cbranch_execnz .LBB44_2104
.LBB44_54:
	s_or_b64 exec, exec, s[6:7]
	s_and_saveexec_b64 s[6:7], s[4:5]
	s_cbranch_execz .LBB44_56
.LBB44_55:
	v_bfe_u32 v14, v11, 16, 3
	v_ffbh_u32_e32 v22, v14
	v_min_u32_e32 v22, 32, v22
	v_lshrrev_b32_e32 v20, 19, v11
	v_subrev_u32_e32 v23, 28, v22
	v_and_b32_e32 v20, 15, v20
	v_lshlrev_b32_sdwa v23, v23, v11 dst_sel:DWORD dst_unused:UNUSED_PAD src0_sel:DWORD src1_sel:WORD_1
	v_bfe_u32 v21, v11, 19, 4
	v_sub_u32_e32 v22, 29, v22
	v_and_b32_e32 v23, 7, v23
	v_cmp_eq_u16_e32 vcc, 0, v20
	v_cndmask_b32_e32 v14, v14, v23, vcc
	v_cndmask_b32_e32 v20, v21, v22, vcc
	v_lshlrev_b32_e32 v21, 8, v11
	v_mov_b32_e32 v22, 0x3b800000
	v_lshlrev_b32_e32 v14, 20, v14
	v_and_b32_e32 v21, 0x80000000, v21
	v_lshl_add_u32 v20, v20, 23, v22
	v_or3_b32 v20, v21, v20, v14
.LBB44_56:
	s_or_b64 exec, exec, s[6:7]
	s_nop 0
	v_mfma_f32_16x16x4f32 a[0:3], v10, v20, a[0:3]
	s_movk_i32 s4, 0x7f
	v_cmp_gt_i16_sdwa s[6:7], v15, s4 src0_sel:BYTE_3 src1_sel:DWORD
	s_mov_b64 s[4:5], 0
                                        ; implicit-def: $sgpr10
	s_and_saveexec_b64 s[8:9], s[6:7]
	s_xor_b64 s[6:7], exec, s[8:9]
	s_cbranch_execnz .LBB44_2105
; %bb.57:
	s_or_saveexec_b64 s[6:7], s[6:7]
	v_mov_b32_e32 v10, s10
	s_xor_b64 exec, exec, s[6:7]
	s_cbranch_execnz .LBB44_2108
.LBB44_58:
	s_or_b64 exec, exec, s[6:7]
	s_and_saveexec_b64 s[6:7], s[4:5]
	s_cbranch_execz .LBB44_60
.LBB44_59:
	v_bfe_u32 v10, v15, 24, 3
	v_ffbh_u32_e32 v22, v10
	v_min_u32_e32 v22, 32, v22
	v_lshrrev_b32_e32 v20, 27, v15
	v_subrev_u32_e32 v23, 28, v22
	v_and_b32_e32 v14, 0x80000000, v15
	v_and_b32_e32 v20, 15, v20
	v_bfe_u32 v21, v15, 27, 4
	v_lshlrev_b32_sdwa v15, v23, v15 dst_sel:DWORD dst_unused:UNUSED_PAD src0_sel:DWORD src1_sel:BYTE_3
	v_sub_u32_e32 v22, 29, v22
	v_and_b32_e32 v15, 7, v15
	v_cmp_eq_u16_e32 vcc, 0, v20
	v_cndmask_b32_e32 v10, v10, v15, vcc
	v_cndmask_b32_e32 v15, v21, v22, vcc
	v_mov_b32_e32 v20, 0x3b800000
	v_lshlrev_b32_e32 v10, 20, v10
	v_lshl_add_u32 v15, v15, 23, v20
	v_or3_b32 v10, v14, v15, v10
.LBB44_60:
	s_or_b64 exec, exec, s[6:7]
	s_movk_i32 s4, 0x7f
	v_cmp_gt_i16_sdwa s[6:7], v11, s4 src0_sel:BYTE_3 src1_sel:DWORD
	s_mov_b64 s[4:5], 0
                                        ; implicit-def: $sgpr10
	s_and_saveexec_b64 s[8:9], s[6:7]
	s_xor_b64 s[6:7], exec, s[8:9]
	s_cbranch_execnz .LBB44_2109
; %bb.61:
	s_or_saveexec_b64 s[6:7], s[6:7]
	v_mov_b32_e32 v14, s10
	s_xor_b64 exec, exec, s[6:7]
	s_cbranch_execnz .LBB44_2112
.LBB44_62:
	s_or_b64 exec, exec, s[6:7]
	s_and_saveexec_b64 s[6:7], s[4:5]
	s_cbranch_execz .LBB44_64
.LBB44_63:
	v_bfe_u32 v14, v11, 24, 3
	v_ffbh_u32_e32 v22, v14
	v_min_u32_e32 v22, 32, v22
	v_lshrrev_b32_e32 v20, 27, v11
	v_subrev_u32_e32 v23, 28, v22
	v_and_b32_e32 v15, 0x80000000, v11
	v_and_b32_e32 v20, 15, v20
	v_bfe_u32 v21, v11, 27, 4
	v_lshlrev_b32_sdwa v11, v23, v11 dst_sel:DWORD dst_unused:UNUSED_PAD src0_sel:DWORD src1_sel:BYTE_3
	v_sub_u32_e32 v22, 29, v22
	v_and_b32_e32 v11, 7, v11
	v_cmp_eq_u16_e32 vcc, 0, v20
	v_cndmask_b32_e32 v11, v14, v11, vcc
	v_cndmask_b32_e32 v14, v21, v22, vcc
	v_mov_b32_e32 v20, 0x3b800000
	v_lshlrev_b32_e32 v11, 20, v11
	v_lshl_add_u32 v14, v14, 23, v20
	v_or3_b32 v14, v15, v14, v11
.LBB44_64:
	s_or_b64 exec, exec, s[6:7]
	s_nop 0
	v_mfma_f32_16x16x4f32 a[0:3], v10, v14, a[0:3]
	s_movk_i32 s4, 0x7f
	v_cmp_gt_i16_sdwa s[6:7], v16, s4 src0_sel:BYTE_0 src1_sel:DWORD
	s_mov_b64 s[4:5], 0
                                        ; implicit-def: $sgpr10
	s_and_saveexec_b64 s[8:9], s[6:7]
	s_xor_b64 s[6:7], exec, s[8:9]
	s_cbranch_execnz .LBB44_2113
; %bb.65:
	s_or_saveexec_b64 s[6:7], s[6:7]
	v_mov_b32_e32 v10, s10
	s_xor_b64 exec, exec, s[6:7]
	s_cbranch_execnz .LBB44_2116
.LBB44_66:
	s_or_b64 exec, exec, s[6:7]
	s_and_saveexec_b64 s[6:7], s[4:5]
	s_cbranch_execz .LBB44_68
.LBB44_67:
	v_and_b32_e32 v10, 7, v16
	v_ffbh_u32_e32 v14, v10
	v_min_u32_e32 v14, 32, v14
	v_lshrrev_b16_e32 v11, 3, v16
	v_subrev_u32_e32 v15, 28, v14
	v_and_b32_e32 v11, 15, v11
	v_lshlrev_b32_e32 v15, v15, v16
	v_sub_u32_e32 v14, 29, v14
	v_and_b32_e32 v15, 7, v15
	v_cmp_eq_u16_e32 vcc, 0, v11
	v_cndmask_b32_e32 v10, v10, v15, vcc
	v_cndmask_b32_e32 v11, v11, v14, vcc
	v_lshlrev_b32_e32 v14, 24, v16
	v_mov_b32_e32 v15, 0x3b800000
	v_lshlrev_b32_e32 v10, 20, v10
	v_and_b32_e32 v14, 0x80000000, v14
	v_lshl_add_u32 v11, v11, 23, v15
	v_or3_b32 v10, v14, v11, v10
.LBB44_68:
	s_or_b64 exec, exec, s[6:7]
	s_movk_i32 s4, 0x7f
	v_cmp_gt_i16_sdwa s[6:7], v12, s4 src0_sel:BYTE_0 src1_sel:DWORD
	s_mov_b64 s[4:5], 0
                                        ; implicit-def: $sgpr10
	s_and_saveexec_b64 s[8:9], s[6:7]
	s_xor_b64 s[6:7], exec, s[8:9]
	s_cbranch_execnz .LBB44_2117
; %bb.69:
	s_or_saveexec_b64 s[6:7], s[6:7]
	v_mov_b32_e32 v11, s10
	s_xor_b64 exec, exec, s[6:7]
	s_cbranch_execnz .LBB44_2120
.LBB44_70:
	s_or_b64 exec, exec, s[6:7]
	s_and_saveexec_b64 s[6:7], s[4:5]
	s_cbranch_execz .LBB44_72
.LBB44_71:
	v_and_b32_e32 v11, 7, v12
	v_ffbh_u32_e32 v15, v11
	v_min_u32_e32 v15, 32, v15
	v_lshrrev_b16_e32 v14, 3, v12
	v_subrev_u32_e32 v20, 28, v15
	v_and_b32_e32 v14, 15, v14
	v_lshlrev_b32_e32 v20, v20, v12
	v_sub_u32_e32 v15, 29, v15
	v_and_b32_e32 v20, 7, v20
	v_cmp_eq_u16_e32 vcc, 0, v14
	v_cndmask_b32_e32 v11, v11, v20, vcc
	v_cndmask_b32_e32 v14, v14, v15, vcc
	v_lshlrev_b32_e32 v15, 24, v12
	v_mov_b32_e32 v20, 0x3b800000
	v_lshlrev_b32_e32 v11, 20, v11
	v_and_b32_e32 v15, 0x80000000, v15
	v_lshl_add_u32 v14, v14, 23, v20
	v_or3_b32 v11, v15, v14, v11
.LBB44_72:
	s_or_b64 exec, exec, s[6:7]
	s_nop 0
	v_mfma_f32_16x16x4f32 a[0:3], v10, v11, a[0:3]
	v_lshrrev_b32_e32 v11, 8, v16
	s_movk_i32 s4, 0x7f
	v_cmp_gt_i16_sdwa s[6:7], v11, s4 src0_sel:BYTE_0 src1_sel:DWORD
	s_mov_b64 s[4:5], 0
                                        ; implicit-def: $sgpr10
	s_and_saveexec_b64 s[8:9], s[6:7]
	s_xor_b64 s[6:7], exec, s[8:9]
	s_cbranch_execnz .LBB44_2121
; %bb.73:
	s_or_saveexec_b64 s[6:7], s[6:7]
	v_mov_b32_e32 v10, s10
	s_xor_b64 exec, exec, s[6:7]
	s_cbranch_execnz .LBB44_2124
.LBB44_74:
	s_or_b64 exec, exec, s[6:7]
	s_and_saveexec_b64 s[6:7], s[4:5]
	s_cbranch_execz .LBB44_76
.LBB44_75:
	v_bfe_u32 v10, v16, 8, 3
	v_ffbh_u32_e32 v15, v10
	v_min_u32_e32 v15, 32, v15
	v_lshrrev_b16_e32 v14, 3, v11
	v_subrev_u32_e32 v20, 28, v15
	v_and_b32_e32 v14, 15, v14
	v_lshlrev_b32_e32 v11, v20, v11
	v_sub_u32_e32 v15, 29, v15
	v_and_b32_e32 v11, 7, v11
	v_cmp_eq_u16_e32 vcc, 0, v14
	v_cndmask_b32_e32 v10, v10, v11, vcc
	v_cndmask_b32_e32 v11, v14, v15, vcc
	v_lshlrev_b32_e32 v14, 16, v16
	v_mov_b32_e32 v15, 0x3b800000
	v_lshlrev_b32_e32 v10, 20, v10
	v_and_b32_e32 v14, 0x80000000, v14
	v_lshl_add_u32 v11, v11, 23, v15
	v_or3_b32 v10, v14, v11, v10
.LBB44_76:
	s_or_b64 exec, exec, s[6:7]
	v_lshrrev_b32_e32 v11, 8, v12
	s_movk_i32 s4, 0x7f
	v_cmp_gt_i16_sdwa s[6:7], v11, s4 src0_sel:BYTE_0 src1_sel:DWORD
	s_mov_b64 s[4:5], 0
                                        ; implicit-def: $sgpr10
	s_and_saveexec_b64 s[8:9], s[6:7]
	s_xor_b64 s[6:7], exec, s[8:9]
	s_cbranch_execnz .LBB44_2125
; %bb.77:
	s_or_saveexec_b64 s[6:7], s[6:7]
	v_mov_b32_e32 v14, s10
	s_xor_b64 exec, exec, s[6:7]
	s_cbranch_execnz .LBB44_2128
.LBB44_78:
	s_or_b64 exec, exec, s[6:7]
	s_and_saveexec_b64 s[6:7], s[4:5]
	s_cbranch_execz .LBB44_80
.LBB44_79:
	v_bfe_u32 v14, v12, 8, 3
	v_ffbh_u32_e32 v20, v14
	v_min_u32_e32 v20, 32, v20
	v_lshrrev_b16_e32 v15, 3, v11
	v_subrev_u32_e32 v21, 28, v20
	v_and_b32_e32 v15, 15, v15
	v_lshlrev_b32_e32 v11, v21, v11
	v_sub_u32_e32 v20, 29, v20
	v_and_b32_e32 v11, 7, v11
	v_cmp_eq_u16_e32 vcc, 0, v15
	v_cndmask_b32_e32 v11, v14, v11, vcc
	v_cndmask_b32_e32 v14, v15, v20, vcc
	v_lshlrev_b32_e32 v15, 16, v12
	v_mov_b32_e32 v20, 0x3b800000
	v_lshlrev_b32_e32 v11, 20, v11
	v_and_b32_e32 v15, 0x80000000, v15
	v_lshl_add_u32 v14, v14, 23, v20
	v_or3_b32 v14, v15, v14, v11
.LBB44_80:
	s_or_b64 exec, exec, s[6:7]
	s_nop 0
	v_mfma_f32_16x16x4f32 a[0:3], v10, v14, a[0:3]
	s_movk_i32 s4, 0xff
	v_and_b32_sdwa v11, v16, s4 dst_sel:DWORD dst_unused:UNUSED_PAD src0_sel:WORD_1 src1_sel:DWORD
	s_movk_i32 s4, 0x7f
	v_cmp_lt_i16_e32 vcc, s4, v11
	s_mov_b64 s[4:5], 0
                                        ; implicit-def: $sgpr10
	s_and_saveexec_b64 s[6:7], vcc
	s_xor_b64 s[6:7], exec, s[6:7]
	s_cbranch_execnz .LBB44_2129
; %bb.81:
	s_or_saveexec_b64 s[6:7], s[6:7]
	v_mov_b32_e32 v10, s10
	s_xor_b64 exec, exec, s[6:7]
	s_cbranch_execnz .LBB44_2132
.LBB44_82:
	s_or_b64 exec, exec, s[6:7]
	s_and_saveexec_b64 s[6:7], s[4:5]
	s_cbranch_execz .LBB44_84
.LBB44_83:
	v_bfe_u32 v10, v16, 16, 3
	v_ffbh_u32_e32 v15, v10
	v_min_u32_e32 v15, 32, v15
	v_lshrrev_b32_e32 v11, 19, v16
	v_subrev_u32_e32 v20, 28, v15
	v_and_b32_e32 v11, 15, v11
	v_lshlrev_b32_sdwa v20, v20, v16 dst_sel:DWORD dst_unused:UNUSED_PAD src0_sel:DWORD src1_sel:WORD_1
	v_bfe_u32 v14, v16, 19, 4
	v_sub_u32_e32 v15, 29, v15
	v_and_b32_e32 v20, 7, v20
	v_cmp_eq_u16_e32 vcc, 0, v11
	v_cndmask_b32_e32 v10, v10, v20, vcc
	v_cndmask_b32_e32 v11, v14, v15, vcc
	v_lshlrev_b32_e32 v14, 8, v16
	v_mov_b32_e32 v15, 0x3b800000
	v_lshlrev_b32_e32 v10, 20, v10
	v_and_b32_e32 v14, 0x80000000, v14
	v_lshl_add_u32 v11, v11, 23, v15
	v_or3_b32 v10, v14, v11, v10
.LBB44_84:
	s_or_b64 exec, exec, s[6:7]
	s_movk_i32 s4, 0xff
	v_and_b32_sdwa v11, v12, s4 dst_sel:DWORD dst_unused:UNUSED_PAD src0_sel:WORD_1 src1_sel:DWORD
	s_movk_i32 s4, 0x7f
	v_cmp_lt_i16_e32 vcc, s4, v11
	s_mov_b64 s[4:5], 0
                                        ; implicit-def: $sgpr10
	s_and_saveexec_b64 s[6:7], vcc
	s_xor_b64 s[6:7], exec, s[6:7]
	s_cbranch_execnz .LBB44_2133
; %bb.85:
	s_or_saveexec_b64 s[6:7], s[6:7]
	v_mov_b32_e32 v14, s10
	s_xor_b64 exec, exec, s[6:7]
	s_cbranch_execnz .LBB44_2136
.LBB44_86:
	s_or_b64 exec, exec, s[6:7]
	s_and_saveexec_b64 s[6:7], s[4:5]
	s_cbranch_execz .LBB44_88
.LBB44_87:
	v_bfe_u32 v11, v12, 16, 3
	v_ffbh_u32_e32 v20, v11
	v_min_u32_e32 v20, 32, v20
	v_lshrrev_b32_e32 v14, 19, v12
	v_subrev_u32_e32 v21, 28, v20
	v_and_b32_e32 v14, 15, v14
	v_lshlrev_b32_sdwa v21, v21, v12 dst_sel:DWORD dst_unused:UNUSED_PAD src0_sel:DWORD src1_sel:WORD_1
	v_bfe_u32 v15, v12, 19, 4
	v_sub_u32_e32 v20, 29, v20
	v_and_b32_e32 v21, 7, v21
	v_cmp_eq_u16_e32 vcc, 0, v14
	v_cndmask_b32_e32 v11, v11, v21, vcc
	v_cndmask_b32_e32 v14, v15, v20, vcc
	v_lshlrev_b32_e32 v15, 8, v12
	v_mov_b32_e32 v20, 0x3b800000
	v_lshlrev_b32_e32 v11, 20, v11
	v_and_b32_e32 v15, 0x80000000, v15
	v_lshl_add_u32 v14, v14, 23, v20
	v_or3_b32 v14, v15, v14, v11
.LBB44_88:
	s_or_b64 exec, exec, s[6:7]
	s_nop 0
	v_mfma_f32_16x16x4f32 a[0:3], v10, v14, a[0:3]
	s_movk_i32 s4, 0x7f
	v_cmp_gt_i16_sdwa s[6:7], v16, s4 src0_sel:BYTE_3 src1_sel:DWORD
	s_mov_b64 s[4:5], 0
                                        ; implicit-def: $sgpr10
	s_and_saveexec_b64 s[8:9], s[6:7]
	s_xor_b64 s[6:7], exec, s[8:9]
	s_cbranch_execnz .LBB44_2137
; %bb.89:
	s_or_saveexec_b64 s[6:7], s[6:7]
	v_mov_b32_e32 v10, s10
	s_xor_b64 exec, exec, s[6:7]
	s_cbranch_execnz .LBB44_2140
.LBB44_90:
	s_or_b64 exec, exec, s[6:7]
	s_and_saveexec_b64 s[6:7], s[4:5]
	s_cbranch_execz .LBB44_92
.LBB44_91:
	v_bfe_u32 v10, v16, 24, 3
	v_ffbh_u32_e32 v20, v10
	v_min_u32_e32 v20, 32, v20
	v_lshrrev_b32_e32 v14, 27, v16
	v_subrev_u32_e32 v21, 28, v20
	v_and_b32_e32 v11, 0x80000000, v16
	v_and_b32_e32 v14, 15, v14
	v_bfe_u32 v15, v16, 27, 4
	v_lshlrev_b32_sdwa v16, v21, v16 dst_sel:DWORD dst_unused:UNUSED_PAD src0_sel:DWORD src1_sel:BYTE_3
	v_sub_u32_e32 v20, 29, v20
	v_and_b32_e32 v16, 7, v16
	v_cmp_eq_u16_e32 vcc, 0, v14
	v_cndmask_b32_e32 v10, v10, v16, vcc
	v_cndmask_b32_e32 v14, v15, v20, vcc
	v_mov_b32_e32 v15, 0x3b800000
	v_lshlrev_b32_e32 v10, 20, v10
	v_lshl_add_u32 v14, v14, 23, v15
	v_or3_b32 v10, v11, v14, v10
.LBB44_92:
	s_or_b64 exec, exec, s[6:7]
	s_movk_i32 s4, 0x7f
	v_cmp_gt_i16_sdwa s[6:7], v12, s4 src0_sel:BYTE_3 src1_sel:DWORD
	s_mov_b64 s[4:5], 0
                                        ; implicit-def: $sgpr10
	s_and_saveexec_b64 s[8:9], s[6:7]
	s_xor_b64 s[6:7], exec, s[8:9]
	s_cbranch_execnz .LBB44_2141
; %bb.93:
	s_or_saveexec_b64 s[6:7], s[6:7]
	v_mov_b32_e32 v11, s10
	s_xor_b64 exec, exec, s[6:7]
	s_cbranch_execnz .LBB44_2144
.LBB44_94:
	s_or_b64 exec, exec, s[6:7]
	s_and_saveexec_b64 s[6:7], s[4:5]
	s_cbranch_execz .LBB44_96
.LBB44_95:
	v_bfe_u32 v11, v12, 24, 3
	v_ffbh_u32_e32 v20, v11
	v_min_u32_e32 v20, 32, v20
	v_lshrrev_b32_e32 v15, 27, v12
	v_subrev_u32_e32 v21, 28, v20
	v_and_b32_e32 v14, 0x80000000, v12
	v_and_b32_e32 v15, 15, v15
	v_bfe_u32 v16, v12, 27, 4
	v_lshlrev_b32_sdwa v12, v21, v12 dst_sel:DWORD dst_unused:UNUSED_PAD src0_sel:DWORD src1_sel:BYTE_3
	v_sub_u32_e32 v20, 29, v20
	v_and_b32_e32 v12, 7, v12
	v_cmp_eq_u16_e32 vcc, 0, v15
	v_cndmask_b32_e32 v11, v11, v12, vcc
	v_cndmask_b32_e32 v12, v16, v20, vcc
	v_mov_b32_e32 v15, 0x3b800000
	v_lshlrev_b32_e32 v11, 20, v11
	v_lshl_add_u32 v12, v12, 23, v15
	v_or3_b32 v11, v14, v12, v11
.LBB44_96:
	s_or_b64 exec, exec, s[6:7]
	s_nop 0
	v_mfma_f32_16x16x4f32 a[0:3], v10, v11, a[0:3]
	s_movk_i32 s4, 0x7f
	v_cmp_gt_i16_sdwa s[6:7], v17, s4 src0_sel:BYTE_0 src1_sel:DWORD
	s_mov_b64 s[4:5], 0
                                        ; implicit-def: $sgpr10
	s_and_saveexec_b64 s[8:9], s[6:7]
	s_xor_b64 s[6:7], exec, s[8:9]
	s_cbranch_execnz .LBB44_2145
; %bb.97:
	s_or_saveexec_b64 s[6:7], s[6:7]
	v_mov_b32_e32 v10, s10
	s_xor_b64 exec, exec, s[6:7]
	s_cbranch_execnz .LBB44_2148
.LBB44_98:
	s_or_b64 exec, exec, s[6:7]
	s_and_saveexec_b64 s[6:7], s[4:5]
	s_cbranch_execz .LBB44_100
.LBB44_99:
	v_and_b32_e32 v10, 7, v17
	v_ffbh_u32_e32 v12, v10
	v_min_u32_e32 v12, 32, v12
	v_lshrrev_b16_e32 v11, 3, v17
	v_subrev_u32_e32 v14, 28, v12
	v_and_b32_e32 v11, 15, v11
	v_lshlrev_b32_e32 v14, v14, v17
	v_sub_u32_e32 v12, 29, v12
	v_and_b32_e32 v14, 7, v14
	v_cmp_eq_u16_e32 vcc, 0, v11
	v_cndmask_b32_e32 v10, v10, v14, vcc
	v_cndmask_b32_e32 v11, v11, v12, vcc
	v_lshlrev_b32_e32 v12, 24, v17
	v_mov_b32_e32 v14, 0x3b800000
	v_lshlrev_b32_e32 v10, 20, v10
	v_and_b32_e32 v12, 0x80000000, v12
	v_lshl_add_u32 v11, v11, 23, v14
	v_or3_b32 v10, v12, v11, v10
.LBB44_100:
	s_or_b64 exec, exec, s[6:7]
	s_movk_i32 s4, 0x7f
	v_cmp_gt_i16_sdwa s[6:7], v13, s4 src0_sel:BYTE_0 src1_sel:DWORD
	s_mov_b64 s[4:5], 0
                                        ; implicit-def: $sgpr10
	s_and_saveexec_b64 s[8:9], s[6:7]
	s_xor_b64 s[6:7], exec, s[8:9]
	s_cbranch_execnz .LBB44_2149
; %bb.101:
	s_or_saveexec_b64 s[6:7], s[6:7]
	v_mov_b32_e32 v11, s10
	s_xor_b64 exec, exec, s[6:7]
	s_cbranch_execnz .LBB44_2152
.LBB44_102:
	s_or_b64 exec, exec, s[6:7]
	s_and_saveexec_b64 s[6:7], s[4:5]
	s_cbranch_execz .LBB44_104
.LBB44_103:
	v_and_b32_e32 v11, 7, v13
	v_ffbh_u32_e32 v14, v11
	v_min_u32_e32 v14, 32, v14
	v_lshrrev_b16_e32 v12, 3, v13
	v_subrev_u32_e32 v15, 28, v14
	v_and_b32_e32 v12, 15, v12
	v_lshlrev_b32_e32 v15, v15, v13
	v_sub_u32_e32 v14, 29, v14
	v_and_b32_e32 v15, 7, v15
	v_cmp_eq_u16_e32 vcc, 0, v12
	v_cndmask_b32_e32 v11, v11, v15, vcc
	v_cndmask_b32_e32 v12, v12, v14, vcc
	v_lshlrev_b32_e32 v14, 24, v13
	v_mov_b32_e32 v15, 0x3b800000
	v_lshlrev_b32_e32 v11, 20, v11
	v_and_b32_e32 v14, 0x80000000, v14
	v_lshl_add_u32 v12, v12, 23, v15
	v_or3_b32 v11, v14, v12, v11
.LBB44_104:
	s_or_b64 exec, exec, s[6:7]
	s_nop 0
	v_mfma_f32_16x16x4f32 a[0:3], v10, v11, a[0:3]
	v_lshrrev_b32_e32 v11, 8, v17
	s_movk_i32 s4, 0x7f
	v_cmp_gt_i16_sdwa s[6:7], v11, s4 src0_sel:BYTE_0 src1_sel:DWORD
	s_mov_b64 s[4:5], 0
                                        ; implicit-def: $sgpr10
	s_and_saveexec_b64 s[8:9], s[6:7]
	s_xor_b64 s[6:7], exec, s[8:9]
	s_cbranch_execnz .LBB44_2153
; %bb.105:
	s_or_saveexec_b64 s[6:7], s[6:7]
	v_mov_b32_e32 v10, s10
	s_xor_b64 exec, exec, s[6:7]
	s_cbranch_execnz .LBB44_2156
.LBB44_106:
	s_or_b64 exec, exec, s[6:7]
	s_and_saveexec_b64 s[6:7], s[4:5]
	s_cbranch_execz .LBB44_108
.LBB44_107:
	v_bfe_u32 v10, v17, 8, 3
	v_ffbh_u32_e32 v14, v10
	v_min_u32_e32 v14, 32, v14
	v_lshrrev_b16_e32 v12, 3, v11
	v_subrev_u32_e32 v15, 28, v14
	v_and_b32_e32 v12, 15, v12
	v_lshlrev_b32_e32 v11, v15, v11
	v_sub_u32_e32 v14, 29, v14
	v_and_b32_e32 v11, 7, v11
	v_cmp_eq_u16_e32 vcc, 0, v12
	v_cndmask_b32_e32 v10, v10, v11, vcc
	v_cndmask_b32_e32 v11, v12, v14, vcc
	v_lshlrev_b32_e32 v12, 16, v17
	v_mov_b32_e32 v14, 0x3b800000
	v_lshlrev_b32_e32 v10, 20, v10
	v_and_b32_e32 v12, 0x80000000, v12
	v_lshl_add_u32 v11, v11, 23, v14
	v_or3_b32 v10, v12, v11, v10
.LBB44_108:
	s_or_b64 exec, exec, s[6:7]
	v_lshrrev_b32_e32 v11, 8, v13
	s_movk_i32 s4, 0x7f
	v_cmp_gt_i16_sdwa s[6:7], v11, s4 src0_sel:BYTE_0 src1_sel:DWORD
	s_mov_b64 s[4:5], 0
                                        ; implicit-def: $sgpr10
	s_and_saveexec_b64 s[8:9], s[6:7]
	s_xor_b64 s[6:7], exec, s[8:9]
	s_cbranch_execnz .LBB44_2157
; %bb.109:
	s_or_saveexec_b64 s[6:7], s[6:7]
	v_mov_b32_e32 v12, s10
	s_xor_b64 exec, exec, s[6:7]
	s_cbranch_execnz .LBB44_2160
.LBB44_110:
	s_or_b64 exec, exec, s[6:7]
	s_and_saveexec_b64 s[6:7], s[4:5]
	s_cbranch_execz .LBB44_112
.LBB44_111:
	v_bfe_u32 v12, v13, 8, 3
	v_ffbh_u32_e32 v15, v12
	v_min_u32_e32 v15, 32, v15
	v_lshrrev_b16_e32 v14, 3, v11
	v_subrev_u32_e32 v16, 28, v15
	v_and_b32_e32 v14, 15, v14
	v_lshlrev_b32_e32 v11, v16, v11
	v_sub_u32_e32 v15, 29, v15
	v_and_b32_e32 v11, 7, v11
	v_cmp_eq_u16_e32 vcc, 0, v14
	v_cndmask_b32_e32 v11, v12, v11, vcc
	v_cndmask_b32_e32 v12, v14, v15, vcc
	v_lshlrev_b32_e32 v14, 16, v13
	v_mov_b32_e32 v15, 0x3b800000
	v_lshlrev_b32_e32 v11, 20, v11
	v_and_b32_e32 v14, 0x80000000, v14
	v_lshl_add_u32 v12, v12, 23, v15
	v_or3_b32 v12, v14, v12, v11
.LBB44_112:
	s_or_b64 exec, exec, s[6:7]
	s_nop 0
	v_mfma_f32_16x16x4f32 a[0:3], v10, v12, a[0:3]
	s_movk_i32 s4, 0xff
	v_and_b32_sdwa v11, v17, s4 dst_sel:DWORD dst_unused:UNUSED_PAD src0_sel:WORD_1 src1_sel:DWORD
	s_movk_i32 s4, 0x7f
	v_cmp_lt_i16_e32 vcc, s4, v11
	s_mov_b64 s[4:5], 0
                                        ; implicit-def: $sgpr10
	s_and_saveexec_b64 s[6:7], vcc
	s_xor_b64 s[6:7], exec, s[6:7]
	s_cbranch_execnz .LBB44_2161
; %bb.113:
	s_or_saveexec_b64 s[6:7], s[6:7]
	v_mov_b32_e32 v10, s10
	s_xor_b64 exec, exec, s[6:7]
	s_cbranch_execnz .LBB44_2164
.LBB44_114:
	s_or_b64 exec, exec, s[6:7]
	s_and_saveexec_b64 s[6:7], s[4:5]
	s_cbranch_execz .LBB44_116
.LBB44_115:
	v_bfe_u32 v10, v17, 16, 3
	v_ffbh_u32_e32 v14, v10
	v_min_u32_e32 v14, 32, v14
	v_lshrrev_b32_e32 v11, 19, v17
	v_subrev_u32_e32 v15, 28, v14
	v_and_b32_e32 v11, 15, v11
	v_lshlrev_b32_sdwa v15, v15, v17 dst_sel:DWORD dst_unused:UNUSED_PAD src0_sel:DWORD src1_sel:WORD_1
	v_bfe_u32 v12, v17, 19, 4
	v_sub_u32_e32 v14, 29, v14
	v_and_b32_e32 v15, 7, v15
	v_cmp_eq_u16_e32 vcc, 0, v11
	v_cndmask_b32_e32 v10, v10, v15, vcc
	v_cndmask_b32_e32 v11, v12, v14, vcc
	v_lshlrev_b32_e32 v12, 8, v17
	v_mov_b32_e32 v14, 0x3b800000
	v_lshlrev_b32_e32 v10, 20, v10
	v_and_b32_e32 v12, 0x80000000, v12
	v_lshl_add_u32 v11, v11, 23, v14
	v_or3_b32 v10, v12, v11, v10
.LBB44_116:
	s_or_b64 exec, exec, s[6:7]
	s_movk_i32 s4, 0xff
	v_and_b32_sdwa v11, v13, s4 dst_sel:DWORD dst_unused:UNUSED_PAD src0_sel:WORD_1 src1_sel:DWORD
	s_movk_i32 s4, 0x7f
	v_cmp_lt_i16_e32 vcc, s4, v11
	s_mov_b64 s[4:5], 0
                                        ; implicit-def: $sgpr10
	s_and_saveexec_b64 s[6:7], vcc
	s_xor_b64 s[6:7], exec, s[6:7]
	s_cbranch_execnz .LBB44_2165
; %bb.117:
	s_or_saveexec_b64 s[6:7], s[6:7]
	v_mov_b32_e32 v12, s10
	s_xor_b64 exec, exec, s[6:7]
	s_cbranch_execnz .LBB44_2168
.LBB44_118:
	s_or_b64 exec, exec, s[6:7]
	s_and_saveexec_b64 s[6:7], s[4:5]
	s_cbranch_execz .LBB44_120
.LBB44_119:
	v_bfe_u32 v11, v13, 16, 3
	v_ffbh_u32_e32 v15, v11
	v_min_u32_e32 v15, 32, v15
	v_lshrrev_b32_e32 v12, 19, v13
	v_subrev_u32_e32 v16, 28, v15
	v_and_b32_e32 v12, 15, v12
	v_lshlrev_b32_sdwa v16, v16, v13 dst_sel:DWORD dst_unused:UNUSED_PAD src0_sel:DWORD src1_sel:WORD_1
	v_bfe_u32 v14, v13, 19, 4
	v_sub_u32_e32 v15, 29, v15
	v_and_b32_e32 v16, 7, v16
	v_cmp_eq_u16_e32 vcc, 0, v12
	v_cndmask_b32_e32 v11, v11, v16, vcc
	v_cndmask_b32_e32 v12, v14, v15, vcc
	v_lshlrev_b32_e32 v14, 8, v13
	v_mov_b32_e32 v15, 0x3b800000
	v_lshlrev_b32_e32 v11, 20, v11
	v_and_b32_e32 v14, 0x80000000, v14
	v_lshl_add_u32 v12, v12, 23, v15
	v_or3_b32 v12, v14, v12, v11
.LBB44_120:
	s_or_b64 exec, exec, s[6:7]
	s_nop 0
	v_mfma_f32_16x16x4f32 a[0:3], v10, v12, a[0:3]
	s_movk_i32 s4, 0x7f
	v_cmp_gt_i16_sdwa s[6:7], v17, s4 src0_sel:BYTE_3 src1_sel:DWORD
	s_mov_b64 s[4:5], 0
                                        ; implicit-def: $sgpr10
	s_and_saveexec_b64 s[8:9], s[6:7]
	s_xor_b64 s[6:7], exec, s[8:9]
	s_cbranch_execnz .LBB44_2169
; %bb.121:
	s_or_saveexec_b64 s[6:7], s[6:7]
	v_mov_b32_e32 v10, s10
	s_xor_b64 exec, exec, s[6:7]
	s_cbranch_execnz .LBB44_2172
.LBB44_122:
	s_or_b64 exec, exec, s[6:7]
	s_and_saveexec_b64 s[6:7], s[4:5]
	s_cbranch_execz .LBB44_124
.LBB44_123:
	v_bfe_u32 v10, v17, 24, 3
	v_ffbh_u32_e32 v15, v10
	v_min_u32_e32 v15, 32, v15
	v_lshrrev_b32_e32 v12, 27, v17
	v_subrev_u32_e32 v16, 28, v15
	v_and_b32_e32 v12, 15, v12
	v_lshlrev_b32_sdwa v16, v16, v17 dst_sel:DWORD dst_unused:UNUSED_PAD src0_sel:DWORD src1_sel:BYTE_3
	v_bfe_u32 v14, v17, 27, 4
	v_sub_u32_e32 v15, 29, v15
	v_and_b32_e32 v16, 7, v16
	v_cmp_eq_u16_e32 vcc, 0, v12
	v_cndmask_b32_e32 v10, v10, v16, vcc
	v_cndmask_b32_e32 v12, v14, v15, vcc
	v_mov_b32_e32 v14, 0x3b800000
	v_and_b32_e32 v11, 0x80000000, v17
	v_lshlrev_b32_e32 v10, 20, v10
	v_lshl_add_u32 v12, v12, 23, v14
	v_or3_b32 v10, v11, v12, v10
.LBB44_124:
	s_or_b64 exec, exec, s[6:7]
	s_movk_i32 s4, 0x7f
	v_cmp_gt_i16_sdwa s[6:7], v13, s4 src0_sel:BYTE_3 src1_sel:DWORD
	s_mov_b64 s[4:5], 0
                                        ; implicit-def: $sgpr10
	s_and_saveexec_b64 s[8:9], s[6:7]
	s_xor_b64 s[6:7], exec, s[8:9]
	s_cbranch_execnz .LBB44_2173
; %bb.125:
	s_or_saveexec_b64 s[6:7], s[6:7]
	v_mov_b32_e32 v11, s10
	s_xor_b64 exec, exec, s[6:7]
	s_cbranch_execnz .LBB44_2176
.LBB44_126:
	s_or_b64 exec, exec, s[6:7]
	s_and_saveexec_b64 s[6:7], s[4:5]
	s_cbranch_execz .LBB44_128
.LBB44_127:
	v_bfe_u32 v11, v13, 24, 3
	v_ffbh_u32_e32 v16, v11
	v_min_u32_e32 v16, 32, v16
	v_lshrrev_b32_e32 v14, 27, v13
	v_subrev_u32_e32 v17, 28, v16
	v_and_b32_e32 v12, 0x80000000, v13
	v_and_b32_e32 v14, 15, v14
	v_bfe_u32 v15, v13, 27, 4
	v_lshlrev_b32_sdwa v13, v17, v13 dst_sel:DWORD dst_unused:UNUSED_PAD src0_sel:DWORD src1_sel:BYTE_3
	v_sub_u32_e32 v16, 29, v16
	v_and_b32_e32 v13, 7, v13
	v_cmp_eq_u16_e32 vcc, 0, v14
	v_cndmask_b32_e32 v11, v11, v13, vcc
	v_cndmask_b32_e32 v13, v15, v16, vcc
	v_mov_b32_e32 v14, 0x3b800000
	v_lshlrev_b32_e32 v11, 20, v11
	v_lshl_add_u32 v13, v13, 23, v14
	v_or3_b32 v11, v12, v13, v11
.LBB44_128:
	s_or_b64 exec, exec, s[6:7]
	s_nop 0
	v_mfma_f32_16x16x4f32 a[0:3], v10, v11, a[0:3]
	s_movk_i32 s4, 0x7f
	v_cmp_gt_i16_sdwa s[6:7], v6, s4 src0_sel:BYTE_0 src1_sel:DWORD
	s_mov_b64 s[4:5], 0
                                        ; implicit-def: $sgpr10
	s_and_saveexec_b64 s[8:9], s[6:7]
	s_xor_b64 s[6:7], exec, s[8:9]
	s_cbranch_execnz .LBB44_2177
; %bb.129:
	s_or_saveexec_b64 s[6:7], s[6:7]
	v_mov_b32_e32 v10, s10
	s_xor_b64 exec, exec, s[6:7]
	s_cbranch_execnz .LBB44_2180
.LBB44_130:
	s_or_b64 exec, exec, s[6:7]
	s_and_saveexec_b64 s[6:7], s[4:5]
	s_cbranch_execz .LBB44_132
.LBB44_131:
	v_and_b32_e32 v10, 7, v6
	v_ffbh_u32_e32 v12, v10
	v_min_u32_e32 v12, 32, v12
	v_lshrrev_b16_e32 v11, 3, v6
	v_subrev_u32_e32 v13, 28, v12
	v_and_b32_e32 v11, 15, v11
	v_lshlrev_b32_e32 v13, v13, v6
	v_sub_u32_e32 v12, 29, v12
	v_and_b32_e32 v13, 7, v13
	v_cmp_eq_u16_e32 vcc, 0, v11
	v_cndmask_b32_e32 v10, v10, v13, vcc
	v_cndmask_b32_e32 v11, v11, v12, vcc
	v_lshlrev_b32_e32 v12, 24, v6
	v_mov_b32_e32 v13, 0x3b800000
	v_lshlrev_b32_e32 v10, 20, v10
	v_and_b32_e32 v12, 0x80000000, v12
	v_lshl_add_u32 v11, v11, 23, v13
	v_or3_b32 v10, v12, v11, v10
.LBB44_132:
	s_or_b64 exec, exec, s[6:7]
	s_movk_i32 s4, 0x7f
	v_cmp_gt_i16_sdwa s[6:7], v2, s4 src0_sel:BYTE_0 src1_sel:DWORD
	s_mov_b64 s[4:5], 0
                                        ; implicit-def: $sgpr10
	s_and_saveexec_b64 s[8:9], s[6:7]
	s_xor_b64 s[6:7], exec, s[8:9]
	s_cbranch_execnz .LBB44_2181
; %bb.133:
	s_or_saveexec_b64 s[6:7], s[6:7]
	v_mov_b32_e32 v11, s10
	s_xor_b64 exec, exec, s[6:7]
	s_cbranch_execnz .LBB44_2184
.LBB44_134:
	s_or_b64 exec, exec, s[6:7]
	s_and_saveexec_b64 s[6:7], s[4:5]
	s_cbranch_execz .LBB44_136
.LBB44_135:
	v_and_b32_e32 v11, 7, v2
	v_ffbh_u32_e32 v13, v11
	v_min_u32_e32 v13, 32, v13
	v_lshrrev_b16_e32 v12, 3, v2
	v_subrev_u32_e32 v14, 28, v13
	v_and_b32_e32 v12, 15, v12
	v_lshlrev_b32_e32 v14, v14, v2
	v_sub_u32_e32 v13, 29, v13
	v_and_b32_e32 v14, 7, v14
	v_cmp_eq_u16_e32 vcc, 0, v12
	v_cndmask_b32_e32 v11, v11, v14, vcc
	v_cndmask_b32_e32 v12, v12, v13, vcc
	v_lshlrev_b32_e32 v13, 24, v2
	v_mov_b32_e32 v14, 0x3b800000
	v_lshlrev_b32_e32 v11, 20, v11
	v_and_b32_e32 v13, 0x80000000, v13
	v_lshl_add_u32 v12, v12, 23, v14
	v_or3_b32 v11, v13, v12, v11
.LBB44_136:
	s_or_b64 exec, exec, s[6:7]
	s_nop 0
	v_mfma_f32_16x16x4f32 a[0:3], v10, v11, a[0:3]
	v_lshrrev_b32_e32 v11, 8, v6
	s_movk_i32 s4, 0x7f
	v_cmp_gt_i16_sdwa s[6:7], v11, s4 src0_sel:BYTE_0 src1_sel:DWORD
	s_mov_b64 s[4:5], 0
                                        ; implicit-def: $sgpr10
	s_and_saveexec_b64 s[8:9], s[6:7]
	s_xor_b64 s[6:7], exec, s[8:9]
	s_cbranch_execnz .LBB44_2185
; %bb.137:
	s_or_saveexec_b64 s[6:7], s[6:7]
	v_mov_b32_e32 v10, s10
	s_xor_b64 exec, exec, s[6:7]
	s_cbranch_execnz .LBB44_2188
.LBB44_138:
	s_or_b64 exec, exec, s[6:7]
	s_and_saveexec_b64 s[6:7], s[4:5]
	s_cbranch_execz .LBB44_140
.LBB44_139:
	v_bfe_u32 v10, v6, 8, 3
	v_ffbh_u32_e32 v13, v10
	v_min_u32_e32 v13, 32, v13
	v_lshrrev_b16_e32 v12, 3, v11
	v_subrev_u32_e32 v14, 28, v13
	v_and_b32_e32 v12, 15, v12
	v_lshlrev_b32_e32 v11, v14, v11
	v_sub_u32_e32 v13, 29, v13
	v_and_b32_e32 v11, 7, v11
	v_cmp_eq_u16_e32 vcc, 0, v12
	v_cndmask_b32_e32 v10, v10, v11, vcc
	v_cndmask_b32_e32 v11, v12, v13, vcc
	v_lshlrev_b32_e32 v12, 16, v6
	v_mov_b32_e32 v13, 0x3b800000
	v_lshlrev_b32_e32 v10, 20, v10
	v_and_b32_e32 v12, 0x80000000, v12
	v_lshl_add_u32 v11, v11, 23, v13
	v_or3_b32 v10, v12, v11, v10
.LBB44_140:
	s_or_b64 exec, exec, s[6:7]
	v_lshrrev_b32_e32 v11, 8, v2
	s_movk_i32 s4, 0x7f
	v_cmp_gt_i16_sdwa s[6:7], v11, s4 src0_sel:BYTE_0 src1_sel:DWORD
	s_mov_b64 s[4:5], 0
                                        ; implicit-def: $sgpr10
	s_and_saveexec_b64 s[8:9], s[6:7]
	s_xor_b64 s[6:7], exec, s[8:9]
	s_cbranch_execnz .LBB44_2189
; %bb.141:
	s_or_saveexec_b64 s[6:7], s[6:7]
	v_mov_b32_e32 v12, s10
	s_xor_b64 exec, exec, s[6:7]
	s_cbranch_execnz .LBB44_2192
.LBB44_142:
	s_or_b64 exec, exec, s[6:7]
	s_and_saveexec_b64 s[6:7], s[4:5]
	s_cbranch_execz .LBB44_144
.LBB44_143:
	v_bfe_u32 v12, v2, 8, 3
	v_ffbh_u32_e32 v14, v12
	v_min_u32_e32 v14, 32, v14
	v_lshrrev_b16_e32 v13, 3, v11
	v_subrev_u32_e32 v15, 28, v14
	v_and_b32_e32 v13, 15, v13
	v_lshlrev_b32_e32 v11, v15, v11
	v_sub_u32_e32 v14, 29, v14
	v_and_b32_e32 v11, 7, v11
	v_cmp_eq_u16_e32 vcc, 0, v13
	v_cndmask_b32_e32 v11, v12, v11, vcc
	v_cndmask_b32_e32 v12, v13, v14, vcc
	v_lshlrev_b32_e32 v13, 16, v2
	v_mov_b32_e32 v14, 0x3b800000
	v_lshlrev_b32_e32 v11, 20, v11
	v_and_b32_e32 v13, 0x80000000, v13
	v_lshl_add_u32 v12, v12, 23, v14
	v_or3_b32 v12, v13, v12, v11
.LBB44_144:
	s_or_b64 exec, exec, s[6:7]
	s_nop 0
	v_mfma_f32_16x16x4f32 a[0:3], v10, v12, a[0:3]
	s_movk_i32 s4, 0xff
	v_and_b32_sdwa v11, v6, s4 dst_sel:DWORD dst_unused:UNUSED_PAD src0_sel:WORD_1 src1_sel:DWORD
	s_movk_i32 s4, 0x7f
	v_cmp_lt_i16_e32 vcc, s4, v11
	s_mov_b64 s[4:5], 0
                                        ; implicit-def: $sgpr10
	s_and_saveexec_b64 s[6:7], vcc
	s_xor_b64 s[6:7], exec, s[6:7]
	s_cbranch_execnz .LBB44_2193
; %bb.145:
	s_or_saveexec_b64 s[6:7], s[6:7]
	v_mov_b32_e32 v10, s10
	s_xor_b64 exec, exec, s[6:7]
	s_cbranch_execnz .LBB44_2196
.LBB44_146:
	s_or_b64 exec, exec, s[6:7]
	s_and_saveexec_b64 s[6:7], s[4:5]
	s_cbranch_execz .LBB44_148
.LBB44_147:
	v_bfe_u32 v10, v6, 16, 3
	v_ffbh_u32_e32 v13, v10
	v_min_u32_e32 v13, 32, v13
	v_lshrrev_b32_e32 v11, 19, v6
	v_subrev_u32_e32 v14, 28, v13
	v_and_b32_e32 v11, 15, v11
	v_lshlrev_b32_sdwa v14, v14, v6 dst_sel:DWORD dst_unused:UNUSED_PAD src0_sel:DWORD src1_sel:WORD_1
	v_bfe_u32 v12, v6, 19, 4
	v_sub_u32_e32 v13, 29, v13
	v_and_b32_e32 v14, 7, v14
	v_cmp_eq_u16_e32 vcc, 0, v11
	v_cndmask_b32_e32 v10, v10, v14, vcc
	v_cndmask_b32_e32 v11, v12, v13, vcc
	v_lshlrev_b32_e32 v12, 8, v6
	v_mov_b32_e32 v13, 0x3b800000
	v_lshlrev_b32_e32 v10, 20, v10
	v_and_b32_e32 v12, 0x80000000, v12
	v_lshl_add_u32 v11, v11, 23, v13
	v_or3_b32 v10, v12, v11, v10
.LBB44_148:
	s_or_b64 exec, exec, s[6:7]
	s_movk_i32 s4, 0xff
	v_and_b32_sdwa v11, v2, s4 dst_sel:DWORD dst_unused:UNUSED_PAD src0_sel:WORD_1 src1_sel:DWORD
	s_movk_i32 s4, 0x7f
	v_cmp_lt_i16_e32 vcc, s4, v11
	s_mov_b64 s[4:5], 0
                                        ; implicit-def: $sgpr10
	s_and_saveexec_b64 s[6:7], vcc
	s_xor_b64 s[6:7], exec, s[6:7]
	s_cbranch_execnz .LBB44_2197
; %bb.149:
	s_or_saveexec_b64 s[6:7], s[6:7]
	v_mov_b32_e32 v12, s10
	s_xor_b64 exec, exec, s[6:7]
	s_cbranch_execnz .LBB44_2200
.LBB44_150:
	s_or_b64 exec, exec, s[6:7]
	s_and_saveexec_b64 s[6:7], s[4:5]
	s_cbranch_execz .LBB44_152
.LBB44_151:
	v_bfe_u32 v11, v2, 16, 3
	v_ffbh_u32_e32 v14, v11
	v_min_u32_e32 v14, 32, v14
	v_lshrrev_b32_e32 v12, 19, v2
	v_subrev_u32_e32 v15, 28, v14
	v_and_b32_e32 v12, 15, v12
	v_lshlrev_b32_sdwa v15, v15, v2 dst_sel:DWORD dst_unused:UNUSED_PAD src0_sel:DWORD src1_sel:WORD_1
	v_bfe_u32 v13, v2, 19, 4
	v_sub_u32_e32 v14, 29, v14
	v_and_b32_e32 v15, 7, v15
	v_cmp_eq_u16_e32 vcc, 0, v12
	v_cndmask_b32_e32 v11, v11, v15, vcc
	v_cndmask_b32_e32 v12, v13, v14, vcc
	v_lshlrev_b32_e32 v13, 8, v2
	v_mov_b32_e32 v14, 0x3b800000
	v_lshlrev_b32_e32 v11, 20, v11
	v_and_b32_e32 v13, 0x80000000, v13
	v_lshl_add_u32 v12, v12, 23, v14
	v_or3_b32 v12, v13, v12, v11
.LBB44_152:
	s_or_b64 exec, exec, s[6:7]
	s_nop 0
	v_mfma_f32_16x16x4f32 a[0:3], v10, v12, a[0:3]
	s_movk_i32 s4, 0x7f
	v_cmp_gt_i16_sdwa s[6:7], v6, s4 src0_sel:BYTE_3 src1_sel:DWORD
	s_mov_b64 s[4:5], 0
                                        ; implicit-def: $sgpr10
	s_and_saveexec_b64 s[8:9], s[6:7]
	s_xor_b64 s[6:7], exec, s[8:9]
	s_cbranch_execnz .LBB44_2201
; %bb.153:
	s_or_saveexec_b64 s[6:7], s[6:7]
	v_mov_b32_e32 v10, s10
	s_xor_b64 exec, exec, s[6:7]
	s_cbranch_execnz .LBB44_2204
.LBB44_154:
	s_or_b64 exec, exec, s[6:7]
	s_and_saveexec_b64 s[6:7], s[4:5]
	s_cbranch_execz .LBB44_156
.LBB44_155:
	v_bfe_u32 v10, v6, 24, 3
	v_ffbh_u32_e32 v14, v10
	v_min_u32_e32 v14, 32, v14
	v_lshrrev_b32_e32 v12, 27, v6
	v_subrev_u32_e32 v15, 28, v14
	v_and_b32_e32 v11, 0x80000000, v6
	v_and_b32_e32 v12, 15, v12
	v_bfe_u32 v13, v6, 27, 4
	v_lshlrev_b32_sdwa v6, v15, v6 dst_sel:DWORD dst_unused:UNUSED_PAD src0_sel:DWORD src1_sel:BYTE_3
	v_sub_u32_e32 v14, 29, v14
	v_and_b32_e32 v6, 7, v6
	v_cmp_eq_u16_e32 vcc, 0, v12
	v_cndmask_b32_e32 v6, v10, v6, vcc
	v_cndmask_b32_e32 v10, v13, v14, vcc
	v_mov_b32_e32 v12, 0x3b800000
	v_lshlrev_b32_e32 v6, 20, v6
	v_lshl_add_u32 v10, v10, 23, v12
	v_or3_b32 v10, v11, v10, v6
.LBB44_156:
	s_or_b64 exec, exec, s[6:7]
	s_movk_i32 s4, 0x7f
	v_cmp_gt_i16_sdwa s[6:7], v2, s4 src0_sel:BYTE_3 src1_sel:DWORD
	s_mov_b64 s[4:5], 0
                                        ; implicit-def: $sgpr10
	s_and_saveexec_b64 s[8:9], s[6:7]
	s_xor_b64 s[6:7], exec, s[8:9]
	s_cbranch_execnz .LBB44_2205
; %bb.157:
	s_or_saveexec_b64 s[6:7], s[6:7]
	v_mov_b32_e32 v6, s10
	s_xor_b64 exec, exec, s[6:7]
	s_cbranch_execnz .LBB44_2208
.LBB44_158:
	s_or_b64 exec, exec, s[6:7]
	s_and_saveexec_b64 s[6:7], s[4:5]
	s_cbranch_execz .LBB44_160
.LBB44_159:
	v_bfe_u32 v6, v2, 24, 3
	v_ffbh_u32_e32 v14, v6
	v_min_u32_e32 v14, 32, v14
	v_lshrrev_b32_e32 v12, 27, v2
	v_subrev_u32_e32 v15, 28, v14
	v_and_b32_e32 v11, 0x80000000, v2
	v_and_b32_e32 v12, 15, v12
	v_bfe_u32 v13, v2, 27, 4
	v_lshlrev_b32_sdwa v2, v15, v2 dst_sel:DWORD dst_unused:UNUSED_PAD src0_sel:DWORD src1_sel:BYTE_3
	v_sub_u32_e32 v14, 29, v14
	v_and_b32_e32 v2, 7, v2
	v_cmp_eq_u16_e32 vcc, 0, v12
	v_cndmask_b32_e32 v2, v6, v2, vcc
	v_cndmask_b32_e32 v6, v13, v14, vcc
	v_mov_b32_e32 v12, 0x3b800000
	v_lshlrev_b32_e32 v2, 20, v2
	v_lshl_add_u32 v6, v6, 23, v12
	v_or3_b32 v6, v11, v6, v2
.LBB44_160:
	s_or_b64 exec, exec, s[6:7]
	s_nop 0
	v_mfma_f32_16x16x4f32 a[0:3], v10, v6, a[0:3]
	s_movk_i32 s4, 0x7f
	v_cmp_gt_i16_sdwa s[6:7], v7, s4 src0_sel:BYTE_0 src1_sel:DWORD
	s_mov_b64 s[4:5], 0
                                        ; implicit-def: $sgpr10
	s_and_saveexec_b64 s[8:9], s[6:7]
	s_xor_b64 s[6:7], exec, s[8:9]
	s_cbranch_execnz .LBB44_2209
; %bb.161:
	s_or_saveexec_b64 s[6:7], s[6:7]
	v_mov_b32_e32 v2, s10
	s_xor_b64 exec, exec, s[6:7]
	s_cbranch_execnz .LBB44_2212
.LBB44_162:
	s_or_b64 exec, exec, s[6:7]
	s_and_saveexec_b64 s[6:7], s[4:5]
	s_cbranch_execz .LBB44_164
.LBB44_163:
	v_and_b32_e32 v2, 7, v7
	v_ffbh_u32_e32 v10, v2
	v_min_u32_e32 v10, 32, v10
	v_lshrrev_b16_e32 v6, 3, v7
	v_subrev_u32_e32 v11, 28, v10
	v_and_b32_e32 v6, 15, v6
	v_lshlrev_b32_e32 v11, v11, v7
	v_sub_u32_e32 v10, 29, v10
	v_and_b32_e32 v11, 7, v11
	v_cmp_eq_u16_e32 vcc, 0, v6
	v_cndmask_b32_e32 v2, v2, v11, vcc
	v_cndmask_b32_e32 v6, v6, v10, vcc
	v_lshlrev_b32_e32 v10, 24, v7
	v_mov_b32_e32 v11, 0x3b800000
	v_lshlrev_b32_e32 v2, 20, v2
	v_and_b32_e32 v10, 0x80000000, v10
	v_lshl_add_u32 v6, v6, 23, v11
	v_or3_b32 v2, v10, v6, v2
.LBB44_164:
	s_or_b64 exec, exec, s[6:7]
	s_movk_i32 s4, 0x7f
	v_cmp_gt_i16_sdwa s[6:7], v3, s4 src0_sel:BYTE_0 src1_sel:DWORD
	s_mov_b64 s[4:5], 0
                                        ; implicit-def: $sgpr10
	s_and_saveexec_b64 s[8:9], s[6:7]
	s_xor_b64 s[6:7], exec, s[8:9]
	s_cbranch_execnz .LBB44_2213
; %bb.165:
	s_or_saveexec_b64 s[6:7], s[6:7]
	v_mov_b32_e32 v6, s10
	s_xor_b64 exec, exec, s[6:7]
	s_cbranch_execnz .LBB44_2216
.LBB44_166:
	s_or_b64 exec, exec, s[6:7]
	s_and_saveexec_b64 s[6:7], s[4:5]
	s_cbranch_execz .LBB44_168
.LBB44_167:
	v_and_b32_e32 v6, 7, v3
	v_ffbh_u32_e32 v11, v6
	v_min_u32_e32 v11, 32, v11
	v_lshrrev_b16_e32 v10, 3, v3
	v_subrev_u32_e32 v12, 28, v11
	v_and_b32_e32 v10, 15, v10
	v_lshlrev_b32_e32 v12, v12, v3
	v_sub_u32_e32 v11, 29, v11
	v_and_b32_e32 v12, 7, v12
	v_cmp_eq_u16_e32 vcc, 0, v10
	v_cndmask_b32_e32 v6, v6, v12, vcc
	v_cndmask_b32_e32 v10, v10, v11, vcc
	v_lshlrev_b32_e32 v11, 24, v3
	v_mov_b32_e32 v12, 0x3b800000
	v_lshlrev_b32_e32 v6, 20, v6
	v_and_b32_e32 v11, 0x80000000, v11
	v_lshl_add_u32 v10, v10, 23, v12
	v_or3_b32 v6, v11, v10, v6
.LBB44_168:
	s_or_b64 exec, exec, s[6:7]
	s_nop 0
	v_mfma_f32_16x16x4f32 a[0:3], v2, v6, a[0:3]
	v_lshrrev_b32_e32 v6, 8, v7
	s_movk_i32 s4, 0x7f
	v_cmp_gt_i16_sdwa s[6:7], v6, s4 src0_sel:BYTE_0 src1_sel:DWORD
	s_mov_b64 s[4:5], 0
                                        ; implicit-def: $sgpr10
	s_and_saveexec_b64 s[8:9], s[6:7]
	s_xor_b64 s[6:7], exec, s[8:9]
	s_cbranch_execnz .LBB44_2217
; %bb.169:
	s_or_saveexec_b64 s[6:7], s[6:7]
	v_mov_b32_e32 v2, s10
	s_xor_b64 exec, exec, s[6:7]
	s_cbranch_execnz .LBB44_2220
.LBB44_170:
	s_or_b64 exec, exec, s[6:7]
	s_and_saveexec_b64 s[6:7], s[4:5]
	s_cbranch_execz .LBB44_172
.LBB44_171:
	v_bfe_u32 v2, v7, 8, 3
	v_ffbh_u32_e32 v11, v2
	v_min_u32_e32 v11, 32, v11
	v_lshrrev_b16_e32 v10, 3, v6
	v_subrev_u32_e32 v12, 28, v11
	v_and_b32_e32 v10, 15, v10
	v_lshlrev_b32_e32 v6, v12, v6
	v_sub_u32_e32 v11, 29, v11
	v_and_b32_e32 v6, 7, v6
	v_cmp_eq_u16_e32 vcc, 0, v10
	v_cndmask_b32_e32 v2, v2, v6, vcc
	v_cndmask_b32_e32 v6, v10, v11, vcc
	v_lshlrev_b32_e32 v10, 16, v7
	v_mov_b32_e32 v11, 0x3b800000
	v_lshlrev_b32_e32 v2, 20, v2
	v_and_b32_e32 v10, 0x80000000, v10
	v_lshl_add_u32 v6, v6, 23, v11
	v_or3_b32 v2, v10, v6, v2
.LBB44_172:
	s_or_b64 exec, exec, s[6:7]
	v_lshrrev_b32_e32 v6, 8, v3
	s_movk_i32 s4, 0x7f
	v_cmp_gt_i16_sdwa s[6:7], v6, s4 src0_sel:BYTE_0 src1_sel:DWORD
	s_mov_b64 s[4:5], 0
                                        ; implicit-def: $sgpr10
	s_and_saveexec_b64 s[8:9], s[6:7]
	s_xor_b64 s[6:7], exec, s[8:9]
	s_cbranch_execnz .LBB44_2221
; %bb.173:
	s_or_saveexec_b64 s[6:7], s[6:7]
	v_mov_b32_e32 v10, s10
	s_xor_b64 exec, exec, s[6:7]
	s_cbranch_execnz .LBB44_2224
.LBB44_174:
	s_or_b64 exec, exec, s[6:7]
	s_and_saveexec_b64 s[6:7], s[4:5]
	s_cbranch_execz .LBB44_176
.LBB44_175:
	v_bfe_u32 v10, v3, 8, 3
	v_ffbh_u32_e32 v12, v10
	v_min_u32_e32 v12, 32, v12
	v_lshrrev_b16_e32 v11, 3, v6
	v_subrev_u32_e32 v13, 28, v12
	v_and_b32_e32 v11, 15, v11
	v_lshlrev_b32_e32 v6, v13, v6
	v_sub_u32_e32 v12, 29, v12
	v_and_b32_e32 v6, 7, v6
	v_cmp_eq_u16_e32 vcc, 0, v11
	v_cndmask_b32_e32 v6, v10, v6, vcc
	v_cndmask_b32_e32 v10, v11, v12, vcc
	v_lshlrev_b32_e32 v11, 16, v3
	v_mov_b32_e32 v12, 0x3b800000
	v_lshlrev_b32_e32 v6, 20, v6
	v_and_b32_e32 v11, 0x80000000, v11
	v_lshl_add_u32 v10, v10, 23, v12
	v_or3_b32 v10, v11, v10, v6
.LBB44_176:
	s_or_b64 exec, exec, s[6:7]
	s_nop 0
	v_mfma_f32_16x16x4f32 a[0:3], v2, v10, a[0:3]
	s_movk_i32 s4, 0xff
	v_and_b32_sdwa v6, v7, s4 dst_sel:DWORD dst_unused:UNUSED_PAD src0_sel:WORD_1 src1_sel:DWORD
	s_movk_i32 s4, 0x7f
	v_cmp_lt_i16_e32 vcc, s4, v6
	s_mov_b64 s[4:5], 0
                                        ; implicit-def: $sgpr10
	s_and_saveexec_b64 s[6:7], vcc
	s_xor_b64 s[6:7], exec, s[6:7]
	s_cbranch_execnz .LBB44_2225
; %bb.177:
	s_or_saveexec_b64 s[6:7], s[6:7]
	v_mov_b32_e32 v2, s10
	s_xor_b64 exec, exec, s[6:7]
	s_cbranch_execnz .LBB44_2228
.LBB44_178:
	s_or_b64 exec, exec, s[6:7]
	s_and_saveexec_b64 s[6:7], s[4:5]
	s_cbranch_execz .LBB44_180
.LBB44_179:
	v_bfe_u32 v2, v7, 16, 3
	v_ffbh_u32_e32 v11, v2
	v_min_u32_e32 v11, 32, v11
	v_lshrrev_b32_e32 v6, 19, v7
	v_subrev_u32_e32 v12, 28, v11
	v_and_b32_e32 v6, 15, v6
	v_lshlrev_b32_sdwa v12, v12, v7 dst_sel:DWORD dst_unused:UNUSED_PAD src0_sel:DWORD src1_sel:WORD_1
	v_bfe_u32 v10, v7, 19, 4
	v_sub_u32_e32 v11, 29, v11
	v_and_b32_e32 v12, 7, v12
	v_cmp_eq_u16_e32 vcc, 0, v6
	v_cndmask_b32_e32 v2, v2, v12, vcc
	v_cndmask_b32_e32 v6, v10, v11, vcc
	v_lshlrev_b32_e32 v10, 8, v7
	v_mov_b32_e32 v11, 0x3b800000
	v_lshlrev_b32_e32 v2, 20, v2
	v_and_b32_e32 v10, 0x80000000, v10
	v_lshl_add_u32 v6, v6, 23, v11
	v_or3_b32 v2, v10, v6, v2
.LBB44_180:
	s_or_b64 exec, exec, s[6:7]
	s_movk_i32 s4, 0xff
	v_and_b32_sdwa v6, v3, s4 dst_sel:DWORD dst_unused:UNUSED_PAD src0_sel:WORD_1 src1_sel:DWORD
	s_movk_i32 s4, 0x7f
	v_cmp_lt_i16_e32 vcc, s4, v6
	s_mov_b64 s[4:5], 0
                                        ; implicit-def: $sgpr10
	s_and_saveexec_b64 s[6:7], vcc
	s_xor_b64 s[6:7], exec, s[6:7]
	s_cbranch_execnz .LBB44_2229
; %bb.181:
	s_or_saveexec_b64 s[6:7], s[6:7]
	v_mov_b32_e32 v10, s10
	s_xor_b64 exec, exec, s[6:7]
	s_cbranch_execnz .LBB44_2232
.LBB44_182:
	s_or_b64 exec, exec, s[6:7]
	s_and_saveexec_b64 s[6:7], s[4:5]
	s_cbranch_execz .LBB44_184
.LBB44_183:
	v_bfe_u32 v6, v3, 16, 3
	v_ffbh_u32_e32 v12, v6
	v_min_u32_e32 v12, 32, v12
	v_lshrrev_b32_e32 v10, 19, v3
	v_subrev_u32_e32 v13, 28, v12
	v_and_b32_e32 v10, 15, v10
	v_lshlrev_b32_sdwa v13, v13, v3 dst_sel:DWORD dst_unused:UNUSED_PAD src0_sel:DWORD src1_sel:WORD_1
	v_bfe_u32 v11, v3, 19, 4
	v_sub_u32_e32 v12, 29, v12
	v_and_b32_e32 v13, 7, v13
	v_cmp_eq_u16_e32 vcc, 0, v10
	v_cndmask_b32_e32 v6, v6, v13, vcc
	v_cndmask_b32_e32 v10, v11, v12, vcc
	v_lshlrev_b32_e32 v11, 8, v3
	v_mov_b32_e32 v12, 0x3b800000
	v_lshlrev_b32_e32 v6, 20, v6
	v_and_b32_e32 v11, 0x80000000, v11
	v_lshl_add_u32 v10, v10, 23, v12
	v_or3_b32 v10, v11, v10, v6
.LBB44_184:
	s_or_b64 exec, exec, s[6:7]
	s_nop 0
	v_mfma_f32_16x16x4f32 a[0:3], v2, v10, a[0:3]
	s_movk_i32 s4, 0x7f
	v_cmp_gt_i16_sdwa s[6:7], v7, s4 src0_sel:BYTE_3 src1_sel:DWORD
	s_mov_b64 s[4:5], 0
                                        ; implicit-def: $sgpr10
	s_and_saveexec_b64 s[8:9], s[6:7]
	s_xor_b64 s[6:7], exec, s[8:9]
	s_cbranch_execnz .LBB44_2233
; %bb.185:
	s_or_saveexec_b64 s[6:7], s[6:7]
	v_mov_b32_e32 v2, s10
	s_xor_b64 exec, exec, s[6:7]
	s_cbranch_execnz .LBB44_2236
.LBB44_186:
	s_or_b64 exec, exec, s[6:7]
	s_and_saveexec_b64 s[6:7], s[4:5]
	s_cbranch_execz .LBB44_188
.LBB44_187:
	v_bfe_u32 v2, v7, 24, 3
	v_ffbh_u32_e32 v12, v2
	v_min_u32_e32 v12, 32, v12
	v_lshrrev_b32_e32 v10, 27, v7
	v_subrev_u32_e32 v13, 28, v12
	v_and_b32_e32 v6, 0x80000000, v7
	v_and_b32_e32 v10, 15, v10
	v_bfe_u32 v11, v7, 27, 4
	v_lshlrev_b32_sdwa v7, v13, v7 dst_sel:DWORD dst_unused:UNUSED_PAD src0_sel:DWORD src1_sel:BYTE_3
	v_sub_u32_e32 v12, 29, v12
	v_and_b32_e32 v7, 7, v7
	v_cmp_eq_u16_e32 vcc, 0, v10
	v_cndmask_b32_e32 v2, v2, v7, vcc
	v_cndmask_b32_e32 v7, v11, v12, vcc
	v_mov_b32_e32 v10, 0x3b800000
	v_lshlrev_b32_e32 v2, 20, v2
	v_lshl_add_u32 v7, v7, 23, v10
	v_or3_b32 v2, v6, v7, v2
.LBB44_188:
	s_or_b64 exec, exec, s[6:7]
	s_movk_i32 s4, 0x7f
	v_cmp_gt_i16_sdwa s[6:7], v3, s4 src0_sel:BYTE_3 src1_sel:DWORD
	s_mov_b64 s[4:5], 0
                                        ; implicit-def: $sgpr10
	s_and_saveexec_b64 s[8:9], s[6:7]
	s_xor_b64 s[6:7], exec, s[8:9]
	s_cbranch_execnz .LBB44_2237
; %bb.189:
	s_or_saveexec_b64 s[6:7], s[6:7]
	v_mov_b32_e32 v6, s10
	s_xor_b64 exec, exec, s[6:7]
	s_cbranch_execnz .LBB44_2240
.LBB44_190:
	s_or_b64 exec, exec, s[6:7]
	s_and_saveexec_b64 s[6:7], s[4:5]
	s_cbranch_execz .LBB44_192
.LBB44_191:
	v_bfe_u32 v6, v3, 24, 3
	v_ffbh_u32_e32 v12, v6
	v_min_u32_e32 v12, 32, v12
	v_lshrrev_b32_e32 v10, 27, v3
	v_subrev_u32_e32 v13, 28, v12
	v_and_b32_e32 v7, 0x80000000, v3
	v_and_b32_e32 v10, 15, v10
	v_bfe_u32 v11, v3, 27, 4
	v_lshlrev_b32_sdwa v3, v13, v3 dst_sel:DWORD dst_unused:UNUSED_PAD src0_sel:DWORD src1_sel:BYTE_3
	v_sub_u32_e32 v12, 29, v12
	v_and_b32_e32 v3, 7, v3
	v_cmp_eq_u16_e32 vcc, 0, v10
	v_cndmask_b32_e32 v3, v6, v3, vcc
	v_cndmask_b32_e32 v6, v11, v12, vcc
	v_mov_b32_e32 v10, 0x3b800000
	v_lshlrev_b32_e32 v3, 20, v3
	v_lshl_add_u32 v6, v6, 23, v10
	v_or3_b32 v6, v7, v6, v3
.LBB44_192:
	s_or_b64 exec, exec, s[6:7]
	s_nop 0
	v_mfma_f32_16x16x4f32 a[0:3], v2, v6, a[0:3]
	s_movk_i32 s4, 0x7f
	v_cmp_gt_i16_sdwa s[6:7], v8, s4 src0_sel:BYTE_0 src1_sel:DWORD
	s_mov_b64 s[4:5], 0
                                        ; implicit-def: $sgpr10
	s_and_saveexec_b64 s[8:9], s[6:7]
	s_xor_b64 s[6:7], exec, s[8:9]
	s_cbranch_execnz .LBB44_2241
; %bb.193:
	s_or_saveexec_b64 s[6:7], s[6:7]
	v_mov_b32_e32 v2, s10
	s_xor_b64 exec, exec, s[6:7]
	s_cbranch_execnz .LBB44_2244
.LBB44_194:
	s_or_b64 exec, exec, s[6:7]
	s_and_saveexec_b64 s[6:7], s[4:5]
	s_cbranch_execz .LBB44_196
.LBB44_195:
	v_and_b32_e32 v2, 7, v8
	v_ffbh_u32_e32 v6, v2
	v_min_u32_e32 v6, 32, v6
	v_lshrrev_b16_e32 v3, 3, v8
	v_subrev_u32_e32 v7, 28, v6
	v_and_b32_e32 v3, 15, v3
	v_lshlrev_b32_e32 v7, v7, v8
	v_sub_u32_e32 v6, 29, v6
	v_and_b32_e32 v7, 7, v7
	v_cmp_eq_u16_e32 vcc, 0, v3
	v_cndmask_b32_e32 v2, v2, v7, vcc
	v_cndmask_b32_e32 v3, v3, v6, vcc
	v_lshlrev_b32_e32 v6, 24, v8
	v_mov_b32_e32 v7, 0x3b800000
	v_lshlrev_b32_e32 v2, 20, v2
	v_and_b32_e32 v6, 0x80000000, v6
	v_lshl_add_u32 v3, v3, 23, v7
	v_or3_b32 v2, v6, v3, v2
.LBB44_196:
	s_or_b64 exec, exec, s[6:7]
	s_movk_i32 s4, 0x7f
	v_cmp_gt_i16_sdwa s[6:7], v4, s4 src0_sel:BYTE_0 src1_sel:DWORD
	s_mov_b64 s[4:5], 0
                                        ; implicit-def: $sgpr10
	s_and_saveexec_b64 s[8:9], s[6:7]
	s_xor_b64 s[6:7], exec, s[8:9]
	s_cbranch_execnz .LBB44_2245
; %bb.197:
	s_or_saveexec_b64 s[6:7], s[6:7]
	v_mov_b32_e32 v3, s10
	s_xor_b64 exec, exec, s[6:7]
	s_cbranch_execnz .LBB44_2248
.LBB44_198:
	s_or_b64 exec, exec, s[6:7]
	s_and_saveexec_b64 s[6:7], s[4:5]
	s_cbranch_execz .LBB44_200
.LBB44_199:
	v_and_b32_e32 v3, 7, v4
	v_ffbh_u32_e32 v7, v3
	v_min_u32_e32 v7, 32, v7
	v_lshrrev_b16_e32 v6, 3, v4
	v_subrev_u32_e32 v10, 28, v7
	v_and_b32_e32 v6, 15, v6
	v_lshlrev_b32_e32 v10, v10, v4
	v_sub_u32_e32 v7, 29, v7
	v_and_b32_e32 v10, 7, v10
	v_cmp_eq_u16_e32 vcc, 0, v6
	v_cndmask_b32_e32 v3, v3, v10, vcc
	v_cndmask_b32_e32 v6, v6, v7, vcc
	v_lshlrev_b32_e32 v7, 24, v4
	v_mov_b32_e32 v10, 0x3b800000
	v_lshlrev_b32_e32 v3, 20, v3
	v_and_b32_e32 v7, 0x80000000, v7
	v_lshl_add_u32 v6, v6, 23, v10
	v_or3_b32 v3, v7, v6, v3
.LBB44_200:
	s_or_b64 exec, exec, s[6:7]
	s_nop 0
	v_mfma_f32_16x16x4f32 a[0:3], v2, v3, a[0:3]
	v_lshrrev_b32_e32 v3, 8, v8
	s_movk_i32 s4, 0x7f
	v_cmp_gt_i16_sdwa s[6:7], v3, s4 src0_sel:BYTE_0 src1_sel:DWORD
	s_mov_b64 s[4:5], 0
                                        ; implicit-def: $sgpr10
	s_and_saveexec_b64 s[8:9], s[6:7]
	s_xor_b64 s[6:7], exec, s[8:9]
	s_cbranch_execnz .LBB44_2249
; %bb.201:
	s_or_saveexec_b64 s[6:7], s[6:7]
	v_mov_b32_e32 v2, s10
	s_xor_b64 exec, exec, s[6:7]
	s_cbranch_execnz .LBB44_2252
.LBB44_202:
	s_or_b64 exec, exec, s[6:7]
	s_and_saveexec_b64 s[6:7], s[4:5]
	s_cbranch_execz .LBB44_204
.LBB44_203:
	v_bfe_u32 v2, v8, 8, 3
	v_ffbh_u32_e32 v7, v2
	v_min_u32_e32 v7, 32, v7
	v_lshrrev_b16_e32 v6, 3, v3
	v_subrev_u32_e32 v10, 28, v7
	v_and_b32_e32 v6, 15, v6
	v_lshlrev_b32_e32 v3, v10, v3
	v_sub_u32_e32 v7, 29, v7
	v_and_b32_e32 v3, 7, v3
	v_cmp_eq_u16_e32 vcc, 0, v6
	v_cndmask_b32_e32 v2, v2, v3, vcc
	v_cndmask_b32_e32 v3, v6, v7, vcc
	v_lshlrev_b32_e32 v6, 16, v8
	v_mov_b32_e32 v7, 0x3b800000
	v_lshlrev_b32_e32 v2, 20, v2
	v_and_b32_e32 v6, 0x80000000, v6
	v_lshl_add_u32 v3, v3, 23, v7
	v_or3_b32 v2, v6, v3, v2
.LBB44_204:
	s_or_b64 exec, exec, s[6:7]
	v_lshrrev_b32_e32 v3, 8, v4
	s_movk_i32 s4, 0x7f
	v_cmp_gt_i16_sdwa s[6:7], v3, s4 src0_sel:BYTE_0 src1_sel:DWORD
	s_mov_b64 s[4:5], 0
                                        ; implicit-def: $sgpr10
	s_and_saveexec_b64 s[8:9], s[6:7]
	s_xor_b64 s[6:7], exec, s[8:9]
	s_cbranch_execnz .LBB44_2253
; %bb.205:
	s_or_saveexec_b64 s[6:7], s[6:7]
	v_mov_b32_e32 v6, s10
	s_xor_b64 exec, exec, s[6:7]
	s_cbranch_execnz .LBB44_2256
.LBB44_206:
	s_or_b64 exec, exec, s[6:7]
	s_and_saveexec_b64 s[6:7], s[4:5]
	s_cbranch_execz .LBB44_208
.LBB44_207:
	v_bfe_u32 v6, v4, 8, 3
	v_ffbh_u32_e32 v10, v6
	v_min_u32_e32 v10, 32, v10
	v_lshrrev_b16_e32 v7, 3, v3
	v_subrev_u32_e32 v11, 28, v10
	v_and_b32_e32 v7, 15, v7
	v_lshlrev_b32_e32 v3, v11, v3
	v_sub_u32_e32 v10, 29, v10
	v_and_b32_e32 v3, 7, v3
	v_cmp_eq_u16_e32 vcc, 0, v7
	v_cndmask_b32_e32 v3, v6, v3, vcc
	v_cndmask_b32_e32 v6, v7, v10, vcc
	v_lshlrev_b32_e32 v7, 16, v4
	v_mov_b32_e32 v10, 0x3b800000
	v_lshlrev_b32_e32 v3, 20, v3
	v_and_b32_e32 v7, 0x80000000, v7
	v_lshl_add_u32 v6, v6, 23, v10
	v_or3_b32 v6, v7, v6, v3
.LBB44_208:
	s_or_b64 exec, exec, s[6:7]
	s_nop 0
	v_mfma_f32_16x16x4f32 a[0:3], v2, v6, a[0:3]
	s_movk_i32 s4, 0xff
	v_and_b32_sdwa v3, v8, s4 dst_sel:DWORD dst_unused:UNUSED_PAD src0_sel:WORD_1 src1_sel:DWORD
	s_movk_i32 s4, 0x7f
	v_cmp_lt_i16_e32 vcc, s4, v3
	s_mov_b64 s[4:5], 0
                                        ; implicit-def: $sgpr10
	s_and_saveexec_b64 s[6:7], vcc
	s_xor_b64 s[6:7], exec, s[6:7]
	s_cbranch_execnz .LBB44_2257
; %bb.209:
	s_or_saveexec_b64 s[6:7], s[6:7]
	v_mov_b32_e32 v2, s10
	s_xor_b64 exec, exec, s[6:7]
	s_cbranch_execnz .LBB44_2260
.LBB44_210:
	s_or_b64 exec, exec, s[6:7]
	s_and_saveexec_b64 s[6:7], s[4:5]
	s_cbranch_execz .LBB44_212
.LBB44_211:
	v_bfe_u32 v2, v8, 16, 3
	v_ffbh_u32_e32 v7, v2
	v_min_u32_e32 v7, 32, v7
	v_lshrrev_b32_e32 v3, 19, v8
	v_subrev_u32_e32 v10, 28, v7
	v_and_b32_e32 v3, 15, v3
	v_lshlrev_b32_sdwa v10, v10, v8 dst_sel:DWORD dst_unused:UNUSED_PAD src0_sel:DWORD src1_sel:WORD_1
	v_bfe_u32 v6, v8, 19, 4
	v_sub_u32_e32 v7, 29, v7
	v_and_b32_e32 v10, 7, v10
	v_cmp_eq_u16_e32 vcc, 0, v3
	v_cndmask_b32_e32 v2, v2, v10, vcc
	v_cndmask_b32_e32 v3, v6, v7, vcc
	v_lshlrev_b32_e32 v6, 8, v8
	v_mov_b32_e32 v7, 0x3b800000
	v_lshlrev_b32_e32 v2, 20, v2
	v_and_b32_e32 v6, 0x80000000, v6
	v_lshl_add_u32 v3, v3, 23, v7
	v_or3_b32 v2, v6, v3, v2
.LBB44_212:
	s_or_b64 exec, exec, s[6:7]
	s_movk_i32 s4, 0xff
	v_and_b32_sdwa v3, v4, s4 dst_sel:DWORD dst_unused:UNUSED_PAD src0_sel:WORD_1 src1_sel:DWORD
	s_movk_i32 s4, 0x7f
	v_cmp_lt_i16_e32 vcc, s4, v3
	s_mov_b64 s[4:5], 0
                                        ; implicit-def: $sgpr10
	s_and_saveexec_b64 s[6:7], vcc
	s_xor_b64 s[6:7], exec, s[6:7]
	s_cbranch_execnz .LBB44_2261
; %bb.213:
	s_or_saveexec_b64 s[6:7], s[6:7]
	v_mov_b32_e32 v6, s10
	s_xor_b64 exec, exec, s[6:7]
	s_cbranch_execnz .LBB44_2264
.LBB44_214:
	s_or_b64 exec, exec, s[6:7]
	s_and_saveexec_b64 s[6:7], s[4:5]
	s_cbranch_execz .LBB44_216
.LBB44_215:
	v_bfe_u32 v3, v4, 16, 3
	v_ffbh_u32_e32 v10, v3
	v_min_u32_e32 v10, 32, v10
	v_lshrrev_b32_e32 v6, 19, v4
	v_subrev_u32_e32 v11, 28, v10
	v_and_b32_e32 v6, 15, v6
	v_lshlrev_b32_sdwa v11, v11, v4 dst_sel:DWORD dst_unused:UNUSED_PAD src0_sel:DWORD src1_sel:WORD_1
	v_bfe_u32 v7, v4, 19, 4
	v_sub_u32_e32 v10, 29, v10
	v_and_b32_e32 v11, 7, v11
	v_cmp_eq_u16_e32 vcc, 0, v6
	v_cndmask_b32_e32 v3, v3, v11, vcc
	v_cndmask_b32_e32 v6, v7, v10, vcc
	v_lshlrev_b32_e32 v7, 8, v4
	v_mov_b32_e32 v10, 0x3b800000
	v_lshlrev_b32_e32 v3, 20, v3
	v_and_b32_e32 v7, 0x80000000, v7
	v_lshl_add_u32 v6, v6, 23, v10
	v_or3_b32 v6, v7, v6, v3
.LBB44_216:
	s_or_b64 exec, exec, s[6:7]
	s_nop 0
	v_mfma_f32_16x16x4f32 a[0:3], v2, v6, a[0:3]
	s_movk_i32 s4, 0x7f
	v_cmp_gt_i16_sdwa s[6:7], v8, s4 src0_sel:BYTE_3 src1_sel:DWORD
	s_mov_b64 s[4:5], 0
                                        ; implicit-def: $sgpr10
	s_and_saveexec_b64 s[8:9], s[6:7]
	s_xor_b64 s[6:7], exec, s[8:9]
	s_cbranch_execnz .LBB44_2265
; %bb.217:
	s_or_saveexec_b64 s[6:7], s[6:7]
	v_mov_b32_e32 v2, s10
	s_xor_b64 exec, exec, s[6:7]
	s_cbranch_execnz .LBB44_2268
.LBB44_218:
	s_or_b64 exec, exec, s[6:7]
	s_and_saveexec_b64 s[6:7], s[4:5]
	s_cbranch_execz .LBB44_220
.LBB44_219:
	v_bfe_u32 v2, v8, 24, 3
	v_ffbh_u32_e32 v10, v2
	v_min_u32_e32 v10, 32, v10
	v_lshrrev_b32_e32 v6, 27, v8
	v_subrev_u32_e32 v11, 28, v10
	v_and_b32_e32 v3, 0x80000000, v8
	v_and_b32_e32 v6, 15, v6
	v_bfe_u32 v7, v8, 27, 4
	v_lshlrev_b32_sdwa v8, v11, v8 dst_sel:DWORD dst_unused:UNUSED_PAD src0_sel:DWORD src1_sel:BYTE_3
	v_sub_u32_e32 v10, 29, v10
	v_and_b32_e32 v8, 7, v8
	v_cmp_eq_u16_e32 vcc, 0, v6
	v_cndmask_b32_e32 v2, v2, v8, vcc
	v_cndmask_b32_e32 v6, v7, v10, vcc
	v_mov_b32_e32 v7, 0x3b800000
	v_lshlrev_b32_e32 v2, 20, v2
	v_lshl_add_u32 v6, v6, 23, v7
	v_or3_b32 v2, v3, v6, v2
.LBB44_220:
	s_or_b64 exec, exec, s[6:7]
	s_movk_i32 s4, 0x7f
	v_cmp_gt_i16_sdwa s[6:7], v4, s4 src0_sel:BYTE_3 src1_sel:DWORD
	s_mov_b64 s[4:5], 0
                                        ; implicit-def: $sgpr10
	s_and_saveexec_b64 s[8:9], s[6:7]
	s_xor_b64 s[6:7], exec, s[8:9]
	s_cbranch_execnz .LBB44_2269
; %bb.221:
	s_or_saveexec_b64 s[6:7], s[6:7]
	v_mov_b32_e32 v3, s10
	s_xor_b64 exec, exec, s[6:7]
	s_cbranch_execnz .LBB44_2272
.LBB44_222:
	s_or_b64 exec, exec, s[6:7]
	s_and_saveexec_b64 s[6:7], s[4:5]
	s_cbranch_execz .LBB44_224
.LBB44_223:
	v_bfe_u32 v3, v4, 24, 3
	v_ffbh_u32_e32 v10, v3
	v_min_u32_e32 v10, 32, v10
	v_lshrrev_b32_e32 v7, 27, v4
	v_subrev_u32_e32 v11, 28, v10
	v_and_b32_e32 v6, 0x80000000, v4
	v_and_b32_e32 v7, 15, v7
	v_bfe_u32 v8, v4, 27, 4
	v_lshlrev_b32_sdwa v4, v11, v4 dst_sel:DWORD dst_unused:UNUSED_PAD src0_sel:DWORD src1_sel:BYTE_3
	v_sub_u32_e32 v10, 29, v10
	v_and_b32_e32 v4, 7, v4
	v_cmp_eq_u16_e32 vcc, 0, v7
	v_cndmask_b32_e32 v3, v3, v4, vcc
	v_cndmask_b32_e32 v4, v8, v10, vcc
	v_mov_b32_e32 v7, 0x3b800000
	v_lshlrev_b32_e32 v3, 20, v3
	v_lshl_add_u32 v4, v4, 23, v7
	v_or3_b32 v3, v6, v4, v3
.LBB44_224:
	s_or_b64 exec, exec, s[6:7]
	s_nop 0
	v_mfma_f32_16x16x4f32 a[0:3], v2, v3, a[0:3]
	s_movk_i32 s4, 0x7f
	v_cmp_gt_i16_sdwa s[6:7], v9, s4 src0_sel:BYTE_0 src1_sel:DWORD
	s_mov_b64 s[4:5], 0
                                        ; implicit-def: $sgpr10
	s_and_saveexec_b64 s[8:9], s[6:7]
	s_xor_b64 s[6:7], exec, s[8:9]
	s_cbranch_execnz .LBB44_2273
; %bb.225:
	s_or_saveexec_b64 s[6:7], s[6:7]
	v_mov_b32_e32 v2, s10
	s_xor_b64 exec, exec, s[6:7]
	s_cbranch_execnz .LBB44_2276
.LBB44_226:
	s_or_b64 exec, exec, s[6:7]
	s_and_saveexec_b64 s[6:7], s[4:5]
	s_cbranch_execz .LBB44_228
.LBB44_227:
	v_mov_b32_e32 v2, 8
	v_and_b32_e32 v3, 7, v9
	v_lshrrev_b32_sdwa v2, v2, v9 dst_sel:BYTE_1 dst_unused:UNUSED_PAD src0_sel:DWORD src1_sel:DWORD
	v_ffbh_u32_e32 v4, v3
	v_or_b32_sdwa v2, v9, v2 dst_sel:DWORD dst_unused:UNUSED_PAD src0_sel:BYTE_0 src1_sel:DWORD
	v_min_u32_e32 v4, 32, v4
	v_lshrrev_b16_e32 v2, 3, v2
	v_subrev_u32_e32 v6, 28, v4
	v_and_b32_e32 v2, 15, v2
	v_lshlrev_b32_e32 v6, v6, v9
	v_sub_u32_e32 v4, 29, v4
	v_and_b32_e32 v6, 7, v6
	v_cmp_eq_u16_e32 vcc, 0, v2
	v_cndmask_b32_e32 v3, v3, v6, vcc
	v_cndmask_b32_e32 v2, v2, v4, vcc
	v_lshlrev_b32_e32 v4, 24, v9
	v_mov_b32_e32 v6, 0x3b800000
	v_lshlrev_b32_e32 v3, 20, v3
	v_and_b32_e32 v4, 0x80000000, v4
	v_lshl_add_u32 v2, v2, 23, v6
	v_or3_b32 v2, v4, v2, v3
.LBB44_228:
	s_or_b64 exec, exec, s[6:7]
	s_movk_i32 s4, 0x7f
	v_cmp_gt_i16_sdwa s[6:7], v5, s4 src0_sel:BYTE_0 src1_sel:DWORD
	s_mov_b64 s[4:5], 0
                                        ; implicit-def: $sgpr10
	s_and_saveexec_b64 s[8:9], s[6:7]
	s_xor_b64 s[6:7], exec, s[8:9]
	s_cbranch_execnz .LBB44_2277
; %bb.229:
	s_or_saveexec_b64 s[6:7], s[6:7]
	v_mov_b32_e32 v3, s10
	s_xor_b64 exec, exec, s[6:7]
	s_cbranch_execnz .LBB44_2280
.LBB44_230:
	s_or_b64 exec, exec, s[6:7]
	s_and_saveexec_b64 s[6:7], s[4:5]
	s_cbranch_execz .LBB44_232
.LBB44_231:
	v_mov_b32_e32 v3, 8
	v_and_b32_e32 v4, 7, v5
	v_lshrrev_b32_sdwa v3, v3, v5 dst_sel:BYTE_1 dst_unused:UNUSED_PAD src0_sel:DWORD src1_sel:DWORD
	v_ffbh_u32_e32 v6, v4
	v_or_b32_sdwa v3, v5, v3 dst_sel:DWORD dst_unused:UNUSED_PAD src0_sel:BYTE_0 src1_sel:DWORD
	v_min_u32_e32 v6, 32, v6
	v_lshrrev_b16_e32 v3, 3, v3
	v_subrev_u32_e32 v7, 28, v6
	v_and_b32_e32 v3, 15, v3
	v_lshlrev_b32_e32 v7, v7, v5
	v_sub_u32_e32 v6, 29, v6
	v_and_b32_e32 v7, 7, v7
	v_cmp_eq_u16_e32 vcc, 0, v3
	v_cndmask_b32_e32 v4, v4, v7, vcc
	v_cndmask_b32_e32 v3, v3, v6, vcc
	v_lshlrev_b32_e32 v6, 24, v5
	v_mov_b32_e32 v7, 0x3b800000
	v_lshlrev_b32_e32 v4, 20, v4
	v_and_b32_e32 v6, 0x80000000, v6
	v_lshl_add_u32 v3, v3, 23, v7
	v_or3_b32 v3, v6, v3, v4
.LBB44_232:
	s_or_b64 exec, exec, s[6:7]
	s_nop 0
	v_mfma_f32_16x16x4f32 a[0:3], v2, v3, a[0:3]
	v_lshrrev_b32_e32 v3, 8, v9
	s_movk_i32 s4, 0x7f
	v_cmp_gt_i16_sdwa s[6:7], v3, s4 src0_sel:BYTE_0 src1_sel:DWORD
	s_mov_b64 s[4:5], 0
                                        ; implicit-def: $sgpr10
	s_and_saveexec_b64 s[8:9], s[6:7]
	s_xor_b64 s[6:7], exec, s[8:9]
	s_cbranch_execnz .LBB44_2281
; %bb.233:
	s_or_saveexec_b64 s[6:7], s[6:7]
	v_mov_b32_e32 v2, s10
	s_xor_b64 exec, exec, s[6:7]
	s_cbranch_execnz .LBB44_2284
.LBB44_234:
	s_or_b64 exec, exec, s[6:7]
	s_and_saveexec_b64 s[6:7], s[4:5]
	s_cbranch_execz .LBB44_236
.LBB44_235:
	v_bfe_u32 v2, v9, 8, 3
	v_ffbh_u32_e32 v6, v2
	v_min_u32_e32 v6, 32, v6
	v_lshrrev_b16_e32 v4, 3, v3
	v_subrev_u32_e32 v7, 28, v6
	v_and_b32_e32 v4, 15, v4
	v_lshlrev_b32_e32 v3, v7, v3
	v_sub_u32_e32 v6, 29, v6
	v_and_b32_e32 v3, 7, v3
	v_cmp_eq_u16_e32 vcc, 0, v4
	v_cndmask_b32_e32 v2, v2, v3, vcc
	v_cndmask_b32_e32 v3, v4, v6, vcc
	v_lshlrev_b32_e32 v4, 16, v9
	v_mov_b32_e32 v6, 0x3b800000
	v_lshlrev_b32_e32 v2, 20, v2
	v_and_b32_e32 v4, 0x80000000, v4
	v_lshl_add_u32 v3, v3, 23, v6
	v_or3_b32 v2, v4, v3, v2
.LBB44_236:
	s_or_b64 exec, exec, s[6:7]
	v_lshrrev_b32_e32 v3, 8, v5
	s_movk_i32 s4, 0x7f
	v_cmp_gt_i16_sdwa s[6:7], v3, s4 src0_sel:BYTE_0 src1_sel:DWORD
	s_mov_b64 s[4:5], 0
                                        ; implicit-def: $sgpr10
	s_and_saveexec_b64 s[8:9], s[6:7]
	s_xor_b64 s[6:7], exec, s[8:9]
	s_cbranch_execnz .LBB44_2285
; %bb.237:
	s_or_saveexec_b64 s[6:7], s[6:7]
	v_mov_b32_e32 v4, s10
	s_xor_b64 exec, exec, s[6:7]
	s_cbranch_execnz .LBB44_2288
.LBB44_238:
	s_or_b64 exec, exec, s[6:7]
	s_and_saveexec_b64 s[6:7], s[4:5]
	s_cbranch_execz .LBB44_240
.LBB44_239:
	v_bfe_u32 v4, v5, 8, 3
	v_ffbh_u32_e32 v7, v4
	v_min_u32_e32 v7, 32, v7
	v_lshrrev_b16_e32 v6, 3, v3
	v_subrev_u32_e32 v8, 28, v7
	v_and_b32_e32 v6, 15, v6
	v_lshlrev_b32_e32 v3, v8, v3
	v_sub_u32_e32 v7, 29, v7
	v_and_b32_e32 v3, 7, v3
	v_cmp_eq_u16_e32 vcc, 0, v6
	v_cndmask_b32_e32 v3, v4, v3, vcc
	v_cndmask_b32_e32 v4, v6, v7, vcc
	v_lshlrev_b32_e32 v6, 16, v5
	v_mov_b32_e32 v7, 0x3b800000
	v_lshlrev_b32_e32 v3, 20, v3
	v_and_b32_e32 v6, 0x80000000, v6
	v_lshl_add_u32 v4, v4, 23, v7
	v_or3_b32 v4, v6, v4, v3
.LBB44_240:
	s_or_b64 exec, exec, s[6:7]
	s_nop 0
	v_mfma_f32_16x16x4f32 a[0:3], v2, v4, a[0:3]
	s_movk_i32 s4, 0xff
	v_and_b32_sdwa v3, v9, s4 dst_sel:DWORD dst_unused:UNUSED_PAD src0_sel:WORD_1 src1_sel:DWORD
	s_movk_i32 s4, 0x7f
	v_cmp_lt_i16_e32 vcc, s4, v3
	s_mov_b64 s[4:5], 0
                                        ; implicit-def: $sgpr10
	s_and_saveexec_b64 s[6:7], vcc
	s_xor_b64 s[6:7], exec, s[6:7]
	s_cbranch_execnz .LBB44_2289
; %bb.241:
	s_or_saveexec_b64 s[6:7], s[6:7]
	v_mov_b32_e32 v2, s10
	s_xor_b64 exec, exec, s[6:7]
	s_cbranch_execnz .LBB44_2292
.LBB44_242:
	s_or_b64 exec, exec, s[6:7]
	s_and_saveexec_b64 s[6:7], s[4:5]
	s_cbranch_execz .LBB44_244
.LBB44_243:
	v_bfe_u32 v2, v9, 16, 3
	v_ffbh_u32_e32 v6, v2
	v_min_u32_e32 v6, 32, v6
	v_lshrrev_b32_e32 v3, 19, v9
	v_subrev_u32_e32 v7, 28, v6
	v_and_b32_e32 v3, 15, v3
	v_lshlrev_b32_sdwa v7, v7, v9 dst_sel:DWORD dst_unused:UNUSED_PAD src0_sel:DWORD src1_sel:WORD_1
	v_bfe_u32 v4, v9, 19, 4
	v_sub_u32_e32 v6, 29, v6
	v_and_b32_e32 v7, 7, v7
	v_cmp_eq_u16_e32 vcc, 0, v3
	v_cndmask_b32_e32 v2, v2, v7, vcc
	v_cndmask_b32_e32 v3, v4, v6, vcc
	v_lshlrev_b32_e32 v4, 8, v9
	v_mov_b32_e32 v6, 0x3b800000
	v_lshlrev_b32_e32 v2, 20, v2
	v_and_b32_e32 v4, 0x80000000, v4
	v_lshl_add_u32 v3, v3, 23, v6
	v_or3_b32 v2, v4, v3, v2
.LBB44_244:
	s_or_b64 exec, exec, s[6:7]
	s_movk_i32 s4, 0xff
	v_and_b32_sdwa v3, v5, s4 dst_sel:DWORD dst_unused:UNUSED_PAD src0_sel:WORD_1 src1_sel:DWORD
	s_movk_i32 s4, 0x7f
	v_cmp_lt_i16_e32 vcc, s4, v3
	s_mov_b64 s[4:5], 0
                                        ; implicit-def: $sgpr10
	s_and_saveexec_b64 s[6:7], vcc
	s_xor_b64 s[6:7], exec, s[6:7]
	s_cbranch_execnz .LBB44_2293
; %bb.245:
	s_or_saveexec_b64 s[6:7], s[6:7]
	v_mov_b32_e32 v4, s10
	s_xor_b64 exec, exec, s[6:7]
	s_cbranch_execnz .LBB44_2296
.LBB44_246:
	s_or_b64 exec, exec, s[6:7]
	s_and_saveexec_b64 s[6:7], s[4:5]
	s_cbranch_execz .LBB44_248
.LBB44_247:
	v_bfe_u32 v3, v5, 16, 3
	v_ffbh_u32_e32 v7, v3
	v_min_u32_e32 v7, 32, v7
	v_lshrrev_b32_e32 v4, 19, v5
	v_subrev_u32_e32 v8, 28, v7
	v_and_b32_e32 v4, 15, v4
	v_lshlrev_b32_sdwa v8, v8, v5 dst_sel:DWORD dst_unused:UNUSED_PAD src0_sel:DWORD src1_sel:WORD_1
	v_bfe_u32 v6, v5, 19, 4
	v_sub_u32_e32 v7, 29, v7
	v_and_b32_e32 v8, 7, v8
	v_cmp_eq_u16_e32 vcc, 0, v4
	v_cndmask_b32_e32 v3, v3, v8, vcc
	v_cndmask_b32_e32 v4, v6, v7, vcc
	v_lshlrev_b32_e32 v6, 8, v5
	v_mov_b32_e32 v7, 0x3b800000
	v_lshlrev_b32_e32 v3, 20, v3
	v_and_b32_e32 v6, 0x80000000, v6
	v_lshl_add_u32 v4, v4, 23, v7
	v_or3_b32 v4, v6, v4, v3
.LBB44_248:
	s_or_b64 exec, exec, s[6:7]
	s_nop 0
	v_mfma_f32_16x16x4f32 a[0:3], v2, v4, a[0:3]
	s_movk_i32 s4, 0x7f
	v_cmp_gt_i16_sdwa s[6:7], v9, s4 src0_sel:BYTE_3 src1_sel:DWORD
	s_mov_b64 s[4:5], 0
                                        ; implicit-def: $sgpr10
	s_and_saveexec_b64 s[8:9], s[6:7]
	s_xor_b64 s[6:7], exec, s[8:9]
	s_cbranch_execnz .LBB44_2297
; %bb.249:
	s_or_saveexec_b64 s[6:7], s[6:7]
	v_mov_b32_e32 v2, s10
	s_xor_b64 exec, exec, s[6:7]
	s_cbranch_execnz .LBB44_2300
.LBB44_250:
	s_or_b64 exec, exec, s[6:7]
	s_and_saveexec_b64 s[6:7], s[4:5]
	s_cbranch_execz .LBB44_252
.LBB44_251:
	v_bfe_u32 v2, v9, 24, 3
	v_ffbh_u32_e32 v7, v2
	v_min_u32_e32 v7, 32, v7
	v_lshrrev_b32_e32 v4, 27, v9
	v_subrev_u32_e32 v8, 28, v7
	v_and_b32_e32 v4, 15, v4
	v_lshlrev_b32_sdwa v8, v8, v9 dst_sel:DWORD dst_unused:UNUSED_PAD src0_sel:DWORD src1_sel:BYTE_3
	v_bfe_u32 v6, v9, 27, 4
	v_sub_u32_e32 v7, 29, v7
	v_and_b32_e32 v8, 7, v8
	v_cmp_eq_u16_e32 vcc, 0, v4
	v_cndmask_b32_e32 v2, v2, v8, vcc
	v_cndmask_b32_e32 v4, v6, v7, vcc
	v_mov_b32_e32 v6, 0x3b800000
	v_and_b32_e32 v3, 0x80000000, v9
	v_lshlrev_b32_e32 v2, 20, v2
	v_lshl_add_u32 v4, v4, 23, v6
	v_or3_b32 v2, v3, v4, v2
.LBB44_252:
	s_or_b64 exec, exec, s[6:7]
	s_movk_i32 s4, 0x7f
	v_cmp_gt_i16_sdwa s[6:7], v5, s4 src0_sel:BYTE_3 src1_sel:DWORD
	s_mov_b64 s[4:5], 0
                                        ; implicit-def: $sgpr10
	s_and_saveexec_b64 s[8:9], s[6:7]
	s_xor_b64 s[6:7], exec, s[8:9]
	s_cbranch_execnz .LBB44_2301
; %bb.253:
	s_or_saveexec_b64 s[6:7], s[6:7]
	v_mov_b32_e32 v3, s10
	s_xor_b64 exec, exec, s[6:7]
	s_cbranch_execnz .LBB44_2304
.LBB44_254:
	s_or_b64 exec, exec, s[6:7]
	s_and_saveexec_b64 s[6:7], s[4:5]
	s_cbranch_execz .LBB44_256
.LBB44_255:
	v_bfe_u32 v3, v5, 24, 3
	v_ffbh_u32_e32 v8, v3
	v_min_u32_e32 v8, 32, v8
	v_lshrrev_b32_e32 v6, 27, v5
	v_subrev_u32_e32 v9, 28, v8
	v_and_b32_e32 v4, 0x80000000, v5
	v_and_b32_e32 v6, 15, v6
	v_bfe_u32 v7, v5, 27, 4
	v_lshlrev_b32_sdwa v5, v9, v5 dst_sel:DWORD dst_unused:UNUSED_PAD src0_sel:DWORD src1_sel:BYTE_3
	v_sub_u32_e32 v8, 29, v8
	v_and_b32_e32 v5, 7, v5
	v_cmp_eq_u16_e32 vcc, 0, v6
	v_cndmask_b32_e32 v3, v3, v5, vcc
	v_cndmask_b32_e32 v5, v7, v8, vcc
	v_mov_b32_e32 v6, 0x3b800000
	v_lshlrev_b32_e32 v3, 20, v3
	v_lshl_add_u32 v5, v5, 23, v6
	v_or3_b32 v3, v4, v5, v3
.LBB44_256:
	s_or_b64 exec, exec, s[6:7]
	s_nop 0
	v_mfma_f32_16x16x4f32 a[0:3], v2, v3, a[0:3]
	s_movk_i32 s4, 0x7f
                                        ; implicit-def: $sgpr10
	s_nop 7
	s_nop 1
	flat_store_dwordx4 v[18:19], a[0:3]
	flat_load_dwordx4 v[20:23], v[0:1] offset:8
	s_nop 0
	flat_load_dwordx2 v[18:19], v[0:1] offset:24
	s_waitcnt vmcnt(0) lgkmcnt(0)
	flat_load_dwordx4 v[14:17], v[20:21]
	flat_load_dwordx4 v[6:9], v[20:21] offset:16
	flat_load_dwordx4 v[10:13], v[22:23] offset:32
	;; [unrolled: 1-line block ×3, first 2 shown]
	s_waitcnt vmcnt(0) lgkmcnt(0)
	v_cmp_gt_i16_sdwa s[6:7], v14, s4 src0_sel:BYTE_0 src1_sel:DWORD
	s_mov_b64 s[4:5], 0
	s_and_saveexec_b64 s[8:9], s[6:7]
	s_xor_b64 s[6:7], exec, s[8:9]
	s_cbranch_execnz .LBB44_2305
; %bb.257:
	s_or_saveexec_b64 s[6:7], s[6:7]
	v_mov_b32_e32 v20, s10
	s_xor_b64 exec, exec, s[6:7]
	s_cbranch_execnz .LBB44_2308
.LBB44_258:
	s_or_b64 exec, exec, s[6:7]
	s_and_saveexec_b64 s[6:7], s[4:5]
	s_cbranch_execz .LBB44_260
.LBB44_259:
	v_and_b32_e32 v20, 7, v14
	v_ffbh_u32_e32 v22, v20
	v_min_u32_e32 v22, 32, v22
	v_lshrrev_b16_e32 v21, 3, v14
	v_subrev_u32_e32 v23, 28, v22
	v_and_b32_e32 v21, 15, v21
	v_lshlrev_b32_e32 v23, v23, v14
	v_sub_u32_e32 v22, 29, v22
	v_and_b32_e32 v23, 7, v23
	v_cmp_eq_u16_e32 vcc, 0, v21
	v_cndmask_b32_e32 v20, v20, v23, vcc
	v_cndmask_b32_e32 v21, v21, v22, vcc
	v_lshlrev_b32_e32 v22, 24, v14
	v_mov_b32_e32 v23, 0x3b800000
	v_lshlrev_b32_e32 v20, 20, v20
	v_and_b32_e32 v22, 0x80000000, v22
	v_lshl_add_u32 v21, v21, 23, v23
	v_or3_b32 v20, v22, v21, v20
.LBB44_260:
	s_or_b64 exec, exec, s[6:7]
	s_movk_i32 s4, 0x7f
	v_cmp_gt_i16_sdwa s[6:7], v10, s4 src0_sel:BYTE_0 src1_sel:DWORD
	s_mov_b64 s[4:5], 0
                                        ; implicit-def: $sgpr10
	s_and_saveexec_b64 s[8:9], s[6:7]
	s_xor_b64 s[6:7], exec, s[8:9]
	s_cbranch_execnz .LBB44_2309
; %bb.261:
	s_or_saveexec_b64 s[6:7], s[6:7]
	v_mov_b32_e32 v21, s10
	s_xor_b64 exec, exec, s[6:7]
	s_cbranch_execnz .LBB44_2312
.LBB44_262:
	s_or_b64 exec, exec, s[6:7]
	s_and_saveexec_b64 s[6:7], s[4:5]
	s_cbranch_execz .LBB44_264
.LBB44_263:
	v_and_b32_e32 v21, 7, v10
	v_ffbh_u32_e32 v23, v21
	v_min_u32_e32 v23, 32, v23
	v_lshrrev_b16_e32 v22, 3, v10
	v_subrev_u32_e32 v24, 28, v23
	v_and_b32_e32 v22, 15, v22
	v_lshlrev_b32_e32 v24, v24, v10
	v_sub_u32_e32 v23, 29, v23
	v_and_b32_e32 v24, 7, v24
	v_cmp_eq_u16_e32 vcc, 0, v22
	v_cndmask_b32_e32 v21, v21, v24, vcc
	v_cndmask_b32_e32 v22, v22, v23, vcc
	v_lshlrev_b32_e32 v23, 24, v10
	v_mov_b32_e32 v24, 0x3b800000
	v_lshlrev_b32_e32 v21, 20, v21
	v_and_b32_e32 v23, 0x80000000, v23
	v_lshl_add_u32 v22, v22, 23, v24
	v_or3_b32 v21, v23, v22, v21
.LBB44_264:
	s_or_b64 exec, exec, s[6:7]
	flat_load_dwordx4 a[0:3], v[18:19] offset:16
	s_movk_i32 s4, 0x7f
                                        ; implicit-def: $sgpr10
	s_waitcnt vmcnt(0) lgkmcnt(0)
	v_mfma_f32_16x16x4f32 a[0:3], v20, v21, a[0:3]
	v_lshrrev_b32_e32 v21, 8, v14
	v_cmp_gt_i16_sdwa s[6:7], v21, s4 src0_sel:BYTE_0 src1_sel:DWORD
	s_mov_b64 s[4:5], 0
	s_and_saveexec_b64 s[8:9], s[6:7]
	s_xor_b64 s[6:7], exec, s[8:9]
	s_cbranch_execnz .LBB44_2313
; %bb.265:
	s_or_saveexec_b64 s[6:7], s[6:7]
	v_mov_b32_e32 v20, s10
	s_xor_b64 exec, exec, s[6:7]
	s_cbranch_execnz .LBB44_2316
.LBB44_266:
	s_or_b64 exec, exec, s[6:7]
	s_and_saveexec_b64 s[6:7], s[4:5]
	s_cbranch_execz .LBB44_268
.LBB44_267:
	v_bfe_u32 v20, v14, 8, 3
	v_ffbh_u32_e32 v23, v20
	v_min_u32_e32 v23, 32, v23
	v_lshrrev_b16_e32 v22, 3, v21
	v_subrev_u32_e32 v24, 28, v23
	v_and_b32_e32 v22, 15, v22
	v_lshlrev_b32_e32 v21, v24, v21
	v_sub_u32_e32 v23, 29, v23
	v_and_b32_e32 v21, 7, v21
	v_cmp_eq_u16_e32 vcc, 0, v22
	v_cndmask_b32_e32 v20, v20, v21, vcc
	v_cndmask_b32_e32 v21, v22, v23, vcc
	v_lshlrev_b32_e32 v22, 16, v14
	v_mov_b32_e32 v23, 0x3b800000
	v_lshlrev_b32_e32 v20, 20, v20
	v_and_b32_e32 v22, 0x80000000, v22
	v_lshl_add_u32 v21, v21, 23, v23
	v_or3_b32 v20, v22, v21, v20
.LBB44_268:
	s_or_b64 exec, exec, s[6:7]
	v_lshrrev_b32_e32 v21, 8, v10
	s_movk_i32 s4, 0x7f
	v_cmp_gt_i16_sdwa s[6:7], v21, s4 src0_sel:BYTE_0 src1_sel:DWORD
	s_mov_b64 s[4:5], 0
                                        ; implicit-def: $sgpr10
	s_and_saveexec_b64 s[8:9], s[6:7]
	s_xor_b64 s[6:7], exec, s[8:9]
	s_cbranch_execnz .LBB44_2317
; %bb.269:
	s_or_saveexec_b64 s[6:7], s[6:7]
	v_mov_b32_e32 v22, s10
	s_xor_b64 exec, exec, s[6:7]
	s_cbranch_execnz .LBB44_2320
.LBB44_270:
	s_or_b64 exec, exec, s[6:7]
	s_and_saveexec_b64 s[6:7], s[4:5]
	s_cbranch_execz .LBB44_272
.LBB44_271:
	v_bfe_u32 v22, v10, 8, 3
	v_ffbh_u32_e32 v24, v22
	v_min_u32_e32 v24, 32, v24
	v_lshrrev_b16_e32 v23, 3, v21
	v_subrev_u32_e32 v25, 28, v24
	v_and_b32_e32 v23, 15, v23
	v_lshlrev_b32_e32 v21, v25, v21
	v_sub_u32_e32 v24, 29, v24
	v_and_b32_e32 v21, 7, v21
	v_cmp_eq_u16_e32 vcc, 0, v23
	v_cndmask_b32_e32 v21, v22, v21, vcc
	v_cndmask_b32_e32 v22, v23, v24, vcc
	v_lshlrev_b32_e32 v23, 16, v10
	v_mov_b32_e32 v24, 0x3b800000
	v_lshlrev_b32_e32 v21, 20, v21
	v_and_b32_e32 v23, 0x80000000, v23
	v_lshl_add_u32 v22, v22, 23, v24
	v_or3_b32 v22, v23, v22, v21
.LBB44_272:
	s_or_b64 exec, exec, s[6:7]
	s_nop 0
	v_mfma_f32_16x16x4f32 a[0:3], v20, v22, a[0:3]
	s_movk_i32 s4, 0xff
	v_and_b32_sdwa v21, v14, s4 dst_sel:DWORD dst_unused:UNUSED_PAD src0_sel:WORD_1 src1_sel:DWORD
	s_movk_i32 s4, 0x7f
	v_cmp_lt_i16_e32 vcc, s4, v21
	s_mov_b64 s[4:5], 0
                                        ; implicit-def: $sgpr10
	s_and_saveexec_b64 s[6:7], vcc
	s_xor_b64 s[6:7], exec, s[6:7]
	s_cbranch_execnz .LBB44_2321
; %bb.273:
	s_or_saveexec_b64 s[6:7], s[6:7]
	v_mov_b32_e32 v20, s10
	s_xor_b64 exec, exec, s[6:7]
	s_cbranch_execnz .LBB44_2324
.LBB44_274:
	s_or_b64 exec, exec, s[6:7]
	s_and_saveexec_b64 s[6:7], s[4:5]
	s_cbranch_execz .LBB44_276
.LBB44_275:
	v_bfe_u32 v20, v14, 16, 3
	v_ffbh_u32_e32 v23, v20
	v_min_u32_e32 v23, 32, v23
	v_lshrrev_b32_e32 v21, 19, v14
	v_subrev_u32_e32 v24, 28, v23
	v_and_b32_e32 v21, 15, v21
	v_lshlrev_b32_sdwa v24, v24, v14 dst_sel:DWORD dst_unused:UNUSED_PAD src0_sel:DWORD src1_sel:WORD_1
	v_bfe_u32 v22, v14, 19, 4
	v_sub_u32_e32 v23, 29, v23
	v_and_b32_e32 v24, 7, v24
	v_cmp_eq_u16_e32 vcc, 0, v21
	v_cndmask_b32_e32 v20, v20, v24, vcc
	v_cndmask_b32_e32 v21, v22, v23, vcc
	v_lshlrev_b32_e32 v22, 8, v14
	v_mov_b32_e32 v23, 0x3b800000
	v_lshlrev_b32_e32 v20, 20, v20
	v_and_b32_e32 v22, 0x80000000, v22
	v_lshl_add_u32 v21, v21, 23, v23
	v_or3_b32 v20, v22, v21, v20
.LBB44_276:
	s_or_b64 exec, exec, s[6:7]
	s_movk_i32 s4, 0xff
	v_and_b32_sdwa v21, v10, s4 dst_sel:DWORD dst_unused:UNUSED_PAD src0_sel:WORD_1 src1_sel:DWORD
	s_movk_i32 s4, 0x7f
	v_cmp_lt_i16_e32 vcc, s4, v21
	s_mov_b64 s[4:5], 0
                                        ; implicit-def: $sgpr10
	s_and_saveexec_b64 s[6:7], vcc
	s_xor_b64 s[6:7], exec, s[6:7]
	s_cbranch_execnz .LBB44_2325
; %bb.277:
	s_or_saveexec_b64 s[6:7], s[6:7]
	v_mov_b32_e32 v22, s10
	s_xor_b64 exec, exec, s[6:7]
	s_cbranch_execnz .LBB44_2328
.LBB44_278:
	s_or_b64 exec, exec, s[6:7]
	s_and_saveexec_b64 s[6:7], s[4:5]
	s_cbranch_execz .LBB44_280
.LBB44_279:
	v_bfe_u32 v21, v10, 16, 3
	v_ffbh_u32_e32 v24, v21
	v_min_u32_e32 v24, 32, v24
	v_lshrrev_b32_e32 v22, 19, v10
	v_subrev_u32_e32 v25, 28, v24
	v_and_b32_e32 v22, 15, v22
	v_lshlrev_b32_sdwa v25, v25, v10 dst_sel:DWORD dst_unused:UNUSED_PAD src0_sel:DWORD src1_sel:WORD_1
	v_bfe_u32 v23, v10, 19, 4
	v_sub_u32_e32 v24, 29, v24
	v_and_b32_e32 v25, 7, v25
	v_cmp_eq_u16_e32 vcc, 0, v22
	v_cndmask_b32_e32 v21, v21, v25, vcc
	v_cndmask_b32_e32 v22, v23, v24, vcc
	v_lshlrev_b32_e32 v23, 8, v10
	v_mov_b32_e32 v24, 0x3b800000
	v_lshlrev_b32_e32 v21, 20, v21
	v_and_b32_e32 v23, 0x80000000, v23
	v_lshl_add_u32 v22, v22, 23, v24
	v_or3_b32 v22, v23, v22, v21
.LBB44_280:
	s_or_b64 exec, exec, s[6:7]
	s_nop 0
	v_mfma_f32_16x16x4f32 a[0:3], v20, v22, a[0:3]
	s_movk_i32 s4, 0x7f
	v_cmp_gt_i16_sdwa s[6:7], v14, s4 src0_sel:BYTE_3 src1_sel:DWORD
	s_mov_b64 s[4:5], 0
                                        ; implicit-def: $sgpr10
	s_and_saveexec_b64 s[8:9], s[6:7]
	s_xor_b64 s[6:7], exec, s[8:9]
	s_cbranch_execnz .LBB44_2329
; %bb.281:
	s_or_saveexec_b64 s[6:7], s[6:7]
	v_mov_b32_e32 v20, s10
	s_xor_b64 exec, exec, s[6:7]
	s_cbranch_execnz .LBB44_2332
.LBB44_282:
	s_or_b64 exec, exec, s[6:7]
	s_and_saveexec_b64 s[6:7], s[4:5]
	s_cbranch_execz .LBB44_284
.LBB44_283:
	v_bfe_u32 v20, v14, 24, 3
	v_ffbh_u32_e32 v24, v20
	v_min_u32_e32 v24, 32, v24
	v_lshrrev_b32_e32 v22, 27, v14
	v_subrev_u32_e32 v25, 28, v24
	v_and_b32_e32 v21, 0x80000000, v14
	v_and_b32_e32 v22, 15, v22
	v_bfe_u32 v23, v14, 27, 4
	v_lshlrev_b32_sdwa v14, v25, v14 dst_sel:DWORD dst_unused:UNUSED_PAD src0_sel:DWORD src1_sel:BYTE_3
	v_sub_u32_e32 v24, 29, v24
	v_and_b32_e32 v14, 7, v14
	v_cmp_eq_u16_e32 vcc, 0, v22
	v_cndmask_b32_e32 v14, v20, v14, vcc
	v_cndmask_b32_e32 v20, v23, v24, vcc
	v_mov_b32_e32 v22, 0x3b800000
	v_lshlrev_b32_e32 v14, 20, v14
	v_lshl_add_u32 v20, v20, 23, v22
	v_or3_b32 v20, v21, v20, v14
.LBB44_284:
	s_or_b64 exec, exec, s[6:7]
	s_movk_i32 s4, 0x7f
	v_cmp_gt_i16_sdwa s[6:7], v10, s4 src0_sel:BYTE_3 src1_sel:DWORD
	s_mov_b64 s[4:5], 0
                                        ; implicit-def: $sgpr10
	s_and_saveexec_b64 s[8:9], s[6:7]
	s_xor_b64 s[6:7], exec, s[8:9]
	s_cbranch_execnz .LBB44_2333
; %bb.285:
	s_or_saveexec_b64 s[6:7], s[6:7]
	v_mov_b32_e32 v14, s10
	s_xor_b64 exec, exec, s[6:7]
	s_cbranch_execnz .LBB44_2336
.LBB44_286:
	s_or_b64 exec, exec, s[6:7]
	s_and_saveexec_b64 s[6:7], s[4:5]
	s_cbranch_execz .LBB44_288
.LBB44_287:
	v_bfe_u32 v14, v10, 24, 3
	v_ffbh_u32_e32 v24, v14
	v_min_u32_e32 v24, 32, v24
	v_lshrrev_b32_e32 v22, 27, v10
	v_subrev_u32_e32 v25, 28, v24
	v_and_b32_e32 v21, 0x80000000, v10
	v_and_b32_e32 v22, 15, v22
	v_bfe_u32 v23, v10, 27, 4
	v_lshlrev_b32_sdwa v10, v25, v10 dst_sel:DWORD dst_unused:UNUSED_PAD src0_sel:DWORD src1_sel:BYTE_3
	v_sub_u32_e32 v24, 29, v24
	v_and_b32_e32 v10, 7, v10
	v_cmp_eq_u16_e32 vcc, 0, v22
	v_cndmask_b32_e32 v10, v14, v10, vcc
	v_cndmask_b32_e32 v14, v23, v24, vcc
	v_mov_b32_e32 v22, 0x3b800000
	v_lshlrev_b32_e32 v10, 20, v10
	v_lshl_add_u32 v14, v14, 23, v22
	v_or3_b32 v14, v21, v14, v10
.LBB44_288:
	s_or_b64 exec, exec, s[6:7]
	s_nop 0
	v_mfma_f32_16x16x4f32 a[0:3], v20, v14, a[0:3]
	s_movk_i32 s4, 0x7f
	v_cmp_gt_i16_sdwa s[6:7], v15, s4 src0_sel:BYTE_0 src1_sel:DWORD
	s_mov_b64 s[4:5], 0
                                        ; implicit-def: $sgpr10
	s_and_saveexec_b64 s[8:9], s[6:7]
	s_xor_b64 s[6:7], exec, s[8:9]
	s_cbranch_execnz .LBB44_2337
; %bb.289:
	s_or_saveexec_b64 s[6:7], s[6:7]
	v_mov_b32_e32 v10, s10
	s_xor_b64 exec, exec, s[6:7]
	s_cbranch_execnz .LBB44_2340
.LBB44_290:
	s_or_b64 exec, exec, s[6:7]
	s_and_saveexec_b64 s[6:7], s[4:5]
	s_cbranch_execz .LBB44_292
.LBB44_291:
	v_and_b32_e32 v10, 7, v15
	v_ffbh_u32_e32 v20, v10
	v_min_u32_e32 v20, 32, v20
	v_lshrrev_b16_e32 v14, 3, v15
	v_subrev_u32_e32 v21, 28, v20
	v_and_b32_e32 v14, 15, v14
	v_lshlrev_b32_e32 v21, v21, v15
	v_sub_u32_e32 v20, 29, v20
	v_and_b32_e32 v21, 7, v21
	v_cmp_eq_u16_e32 vcc, 0, v14
	v_cndmask_b32_e32 v10, v10, v21, vcc
	v_cndmask_b32_e32 v14, v14, v20, vcc
	v_lshlrev_b32_e32 v20, 24, v15
	v_mov_b32_e32 v21, 0x3b800000
	v_lshlrev_b32_e32 v10, 20, v10
	v_and_b32_e32 v20, 0x80000000, v20
	v_lshl_add_u32 v14, v14, 23, v21
	v_or3_b32 v10, v20, v14, v10
.LBB44_292:
	s_or_b64 exec, exec, s[6:7]
	s_movk_i32 s4, 0x7f
	v_cmp_gt_i16_sdwa s[6:7], v11, s4 src0_sel:BYTE_0 src1_sel:DWORD
	s_mov_b64 s[4:5], 0
                                        ; implicit-def: $sgpr10
	s_and_saveexec_b64 s[8:9], s[6:7]
	s_xor_b64 s[6:7], exec, s[8:9]
	s_cbranch_execnz .LBB44_2341
; %bb.293:
	s_or_saveexec_b64 s[6:7], s[6:7]
	v_mov_b32_e32 v14, s10
	s_xor_b64 exec, exec, s[6:7]
	s_cbranch_execnz .LBB44_2344
.LBB44_294:
	s_or_b64 exec, exec, s[6:7]
	s_and_saveexec_b64 s[6:7], s[4:5]
	s_cbranch_execz .LBB44_296
.LBB44_295:
	v_and_b32_e32 v14, 7, v11
	v_ffbh_u32_e32 v21, v14
	v_min_u32_e32 v21, 32, v21
	v_lshrrev_b16_e32 v20, 3, v11
	v_subrev_u32_e32 v22, 28, v21
	v_and_b32_e32 v20, 15, v20
	v_lshlrev_b32_e32 v22, v22, v11
	v_sub_u32_e32 v21, 29, v21
	v_and_b32_e32 v22, 7, v22
	v_cmp_eq_u16_e32 vcc, 0, v20
	v_cndmask_b32_e32 v14, v14, v22, vcc
	v_cndmask_b32_e32 v20, v20, v21, vcc
	v_lshlrev_b32_e32 v21, 24, v11
	v_mov_b32_e32 v22, 0x3b800000
	v_lshlrev_b32_e32 v14, 20, v14
	v_and_b32_e32 v21, 0x80000000, v21
	v_lshl_add_u32 v20, v20, 23, v22
	v_or3_b32 v14, v21, v20, v14
.LBB44_296:
	s_or_b64 exec, exec, s[6:7]
	s_nop 0
	v_mfma_f32_16x16x4f32 a[0:3], v10, v14, a[0:3]
	v_lshrrev_b32_e32 v14, 8, v15
	s_movk_i32 s4, 0x7f
	v_cmp_gt_i16_sdwa s[6:7], v14, s4 src0_sel:BYTE_0 src1_sel:DWORD
	s_mov_b64 s[4:5], 0
                                        ; implicit-def: $sgpr10
	s_and_saveexec_b64 s[8:9], s[6:7]
	s_xor_b64 s[6:7], exec, s[8:9]
	s_cbranch_execnz .LBB44_2345
; %bb.297:
	s_or_saveexec_b64 s[6:7], s[6:7]
	v_mov_b32_e32 v10, s10
	s_xor_b64 exec, exec, s[6:7]
	s_cbranch_execnz .LBB44_2348
.LBB44_298:
	s_or_b64 exec, exec, s[6:7]
	s_and_saveexec_b64 s[6:7], s[4:5]
	s_cbranch_execz .LBB44_300
.LBB44_299:
	v_bfe_u32 v10, v15, 8, 3
	v_ffbh_u32_e32 v21, v10
	v_min_u32_e32 v21, 32, v21
	v_lshrrev_b16_e32 v20, 3, v14
	v_subrev_u32_e32 v22, 28, v21
	v_and_b32_e32 v20, 15, v20
	v_lshlrev_b32_e32 v14, v22, v14
	v_sub_u32_e32 v21, 29, v21
	v_and_b32_e32 v14, 7, v14
	v_cmp_eq_u16_e32 vcc, 0, v20
	v_cndmask_b32_e32 v10, v10, v14, vcc
	v_cndmask_b32_e32 v14, v20, v21, vcc
	v_lshlrev_b32_e32 v20, 16, v15
	v_mov_b32_e32 v21, 0x3b800000
	v_lshlrev_b32_e32 v10, 20, v10
	v_and_b32_e32 v20, 0x80000000, v20
	v_lshl_add_u32 v14, v14, 23, v21
	v_or3_b32 v10, v20, v14, v10
.LBB44_300:
	s_or_b64 exec, exec, s[6:7]
	v_lshrrev_b32_e32 v14, 8, v11
	s_movk_i32 s4, 0x7f
	v_cmp_gt_i16_sdwa s[6:7], v14, s4 src0_sel:BYTE_0 src1_sel:DWORD
	s_mov_b64 s[4:5], 0
                                        ; implicit-def: $sgpr10
	s_and_saveexec_b64 s[8:9], s[6:7]
	s_xor_b64 s[6:7], exec, s[8:9]
	s_cbranch_execnz .LBB44_2349
; %bb.301:
	s_or_saveexec_b64 s[6:7], s[6:7]
	v_mov_b32_e32 v20, s10
	s_xor_b64 exec, exec, s[6:7]
	s_cbranch_execnz .LBB44_2352
.LBB44_302:
	s_or_b64 exec, exec, s[6:7]
	s_and_saveexec_b64 s[6:7], s[4:5]
	s_cbranch_execz .LBB44_304
.LBB44_303:
	v_bfe_u32 v20, v11, 8, 3
	v_ffbh_u32_e32 v22, v20
	v_min_u32_e32 v22, 32, v22
	v_lshrrev_b16_e32 v21, 3, v14
	v_subrev_u32_e32 v23, 28, v22
	v_and_b32_e32 v21, 15, v21
	v_lshlrev_b32_e32 v14, v23, v14
	v_sub_u32_e32 v22, 29, v22
	v_and_b32_e32 v14, 7, v14
	v_cmp_eq_u16_e32 vcc, 0, v21
	v_cndmask_b32_e32 v14, v20, v14, vcc
	v_cndmask_b32_e32 v20, v21, v22, vcc
	v_lshlrev_b32_e32 v21, 16, v11
	v_mov_b32_e32 v22, 0x3b800000
	v_lshlrev_b32_e32 v14, 20, v14
	v_and_b32_e32 v21, 0x80000000, v21
	v_lshl_add_u32 v20, v20, 23, v22
	v_or3_b32 v20, v21, v20, v14
.LBB44_304:
	s_or_b64 exec, exec, s[6:7]
	s_nop 0
	v_mfma_f32_16x16x4f32 a[0:3], v10, v20, a[0:3]
	s_movk_i32 s4, 0xff
	v_and_b32_sdwa v14, v15, s4 dst_sel:DWORD dst_unused:UNUSED_PAD src0_sel:WORD_1 src1_sel:DWORD
	s_movk_i32 s4, 0x7f
	v_cmp_lt_i16_e32 vcc, s4, v14
	s_mov_b64 s[4:5], 0
                                        ; implicit-def: $sgpr10
	s_and_saveexec_b64 s[6:7], vcc
	s_xor_b64 s[6:7], exec, s[6:7]
	s_cbranch_execnz .LBB44_2353
; %bb.305:
	s_or_saveexec_b64 s[6:7], s[6:7]
	v_mov_b32_e32 v10, s10
	s_xor_b64 exec, exec, s[6:7]
	s_cbranch_execnz .LBB44_2356
.LBB44_306:
	s_or_b64 exec, exec, s[6:7]
	s_and_saveexec_b64 s[6:7], s[4:5]
	s_cbranch_execz .LBB44_308
.LBB44_307:
	v_bfe_u32 v10, v15, 16, 3
	v_ffbh_u32_e32 v21, v10
	v_min_u32_e32 v21, 32, v21
	v_lshrrev_b32_e32 v14, 19, v15
	v_subrev_u32_e32 v22, 28, v21
	v_and_b32_e32 v14, 15, v14
	v_lshlrev_b32_sdwa v22, v22, v15 dst_sel:DWORD dst_unused:UNUSED_PAD src0_sel:DWORD src1_sel:WORD_1
	v_bfe_u32 v20, v15, 19, 4
	v_sub_u32_e32 v21, 29, v21
	v_and_b32_e32 v22, 7, v22
	v_cmp_eq_u16_e32 vcc, 0, v14
	v_cndmask_b32_e32 v10, v10, v22, vcc
	v_cndmask_b32_e32 v14, v20, v21, vcc
	v_lshlrev_b32_e32 v20, 8, v15
	v_mov_b32_e32 v21, 0x3b800000
	v_lshlrev_b32_e32 v10, 20, v10
	v_and_b32_e32 v20, 0x80000000, v20
	v_lshl_add_u32 v14, v14, 23, v21
	v_or3_b32 v10, v20, v14, v10
.LBB44_308:
	s_or_b64 exec, exec, s[6:7]
	s_movk_i32 s4, 0xff
	v_and_b32_sdwa v14, v11, s4 dst_sel:DWORD dst_unused:UNUSED_PAD src0_sel:WORD_1 src1_sel:DWORD
	s_movk_i32 s4, 0x7f
	v_cmp_lt_i16_e32 vcc, s4, v14
	s_mov_b64 s[4:5], 0
                                        ; implicit-def: $sgpr10
	s_and_saveexec_b64 s[6:7], vcc
	s_xor_b64 s[6:7], exec, s[6:7]
	s_cbranch_execnz .LBB44_2357
; %bb.309:
	s_or_saveexec_b64 s[6:7], s[6:7]
	v_mov_b32_e32 v20, s10
	s_xor_b64 exec, exec, s[6:7]
	s_cbranch_execnz .LBB44_2360
.LBB44_310:
	s_or_b64 exec, exec, s[6:7]
	s_and_saveexec_b64 s[6:7], s[4:5]
	s_cbranch_execz .LBB44_312
.LBB44_311:
	v_bfe_u32 v14, v11, 16, 3
	v_ffbh_u32_e32 v22, v14
	v_min_u32_e32 v22, 32, v22
	v_lshrrev_b32_e32 v20, 19, v11
	v_subrev_u32_e32 v23, 28, v22
	v_and_b32_e32 v20, 15, v20
	v_lshlrev_b32_sdwa v23, v23, v11 dst_sel:DWORD dst_unused:UNUSED_PAD src0_sel:DWORD src1_sel:WORD_1
	v_bfe_u32 v21, v11, 19, 4
	v_sub_u32_e32 v22, 29, v22
	v_and_b32_e32 v23, 7, v23
	v_cmp_eq_u16_e32 vcc, 0, v20
	v_cndmask_b32_e32 v14, v14, v23, vcc
	v_cndmask_b32_e32 v20, v21, v22, vcc
	v_lshlrev_b32_e32 v21, 8, v11
	v_mov_b32_e32 v22, 0x3b800000
	v_lshlrev_b32_e32 v14, 20, v14
	v_and_b32_e32 v21, 0x80000000, v21
	v_lshl_add_u32 v20, v20, 23, v22
	v_or3_b32 v20, v21, v20, v14
.LBB44_312:
	s_or_b64 exec, exec, s[6:7]
	s_nop 0
	v_mfma_f32_16x16x4f32 a[0:3], v10, v20, a[0:3]
	s_movk_i32 s4, 0x7f
	v_cmp_gt_i16_sdwa s[6:7], v15, s4 src0_sel:BYTE_3 src1_sel:DWORD
	s_mov_b64 s[4:5], 0
                                        ; implicit-def: $sgpr10
	s_and_saveexec_b64 s[8:9], s[6:7]
	s_xor_b64 s[6:7], exec, s[8:9]
	s_cbranch_execnz .LBB44_2361
; %bb.313:
	s_or_saveexec_b64 s[6:7], s[6:7]
	v_mov_b32_e32 v10, s10
	s_xor_b64 exec, exec, s[6:7]
	s_cbranch_execnz .LBB44_2364
.LBB44_314:
	s_or_b64 exec, exec, s[6:7]
	s_and_saveexec_b64 s[6:7], s[4:5]
	s_cbranch_execz .LBB44_316
.LBB44_315:
	v_bfe_u32 v10, v15, 24, 3
	v_ffbh_u32_e32 v22, v10
	v_min_u32_e32 v22, 32, v22
	v_lshrrev_b32_e32 v20, 27, v15
	v_subrev_u32_e32 v23, 28, v22
	v_and_b32_e32 v14, 0x80000000, v15
	v_and_b32_e32 v20, 15, v20
	v_bfe_u32 v21, v15, 27, 4
	v_lshlrev_b32_sdwa v15, v23, v15 dst_sel:DWORD dst_unused:UNUSED_PAD src0_sel:DWORD src1_sel:BYTE_3
	v_sub_u32_e32 v22, 29, v22
	v_and_b32_e32 v15, 7, v15
	v_cmp_eq_u16_e32 vcc, 0, v20
	v_cndmask_b32_e32 v10, v10, v15, vcc
	v_cndmask_b32_e32 v15, v21, v22, vcc
	v_mov_b32_e32 v20, 0x3b800000
	v_lshlrev_b32_e32 v10, 20, v10
	v_lshl_add_u32 v15, v15, 23, v20
	v_or3_b32 v10, v14, v15, v10
.LBB44_316:
	s_or_b64 exec, exec, s[6:7]
	s_movk_i32 s4, 0x7f
	v_cmp_gt_i16_sdwa s[6:7], v11, s4 src0_sel:BYTE_3 src1_sel:DWORD
	s_mov_b64 s[4:5], 0
                                        ; implicit-def: $sgpr10
	s_and_saveexec_b64 s[8:9], s[6:7]
	s_xor_b64 s[6:7], exec, s[8:9]
	s_cbranch_execnz .LBB44_2365
; %bb.317:
	s_or_saveexec_b64 s[6:7], s[6:7]
	v_mov_b32_e32 v14, s10
	s_xor_b64 exec, exec, s[6:7]
	s_cbranch_execnz .LBB44_2368
.LBB44_318:
	s_or_b64 exec, exec, s[6:7]
	s_and_saveexec_b64 s[6:7], s[4:5]
	s_cbranch_execz .LBB44_320
.LBB44_319:
	v_bfe_u32 v14, v11, 24, 3
	v_ffbh_u32_e32 v22, v14
	v_min_u32_e32 v22, 32, v22
	v_lshrrev_b32_e32 v20, 27, v11
	v_subrev_u32_e32 v23, 28, v22
	v_and_b32_e32 v15, 0x80000000, v11
	v_and_b32_e32 v20, 15, v20
	v_bfe_u32 v21, v11, 27, 4
	v_lshlrev_b32_sdwa v11, v23, v11 dst_sel:DWORD dst_unused:UNUSED_PAD src0_sel:DWORD src1_sel:BYTE_3
	v_sub_u32_e32 v22, 29, v22
	v_and_b32_e32 v11, 7, v11
	v_cmp_eq_u16_e32 vcc, 0, v20
	v_cndmask_b32_e32 v11, v14, v11, vcc
	v_cndmask_b32_e32 v14, v21, v22, vcc
	v_mov_b32_e32 v20, 0x3b800000
	v_lshlrev_b32_e32 v11, 20, v11
	v_lshl_add_u32 v14, v14, 23, v20
	v_or3_b32 v14, v15, v14, v11
.LBB44_320:
	s_or_b64 exec, exec, s[6:7]
	s_nop 0
	v_mfma_f32_16x16x4f32 a[0:3], v10, v14, a[0:3]
	s_movk_i32 s4, 0x7f
	v_cmp_gt_i16_sdwa s[6:7], v16, s4 src0_sel:BYTE_0 src1_sel:DWORD
	s_mov_b64 s[4:5], 0
                                        ; implicit-def: $sgpr10
	s_and_saveexec_b64 s[8:9], s[6:7]
	s_xor_b64 s[6:7], exec, s[8:9]
	s_cbranch_execnz .LBB44_2369
; %bb.321:
	s_or_saveexec_b64 s[6:7], s[6:7]
	v_mov_b32_e32 v10, s10
	s_xor_b64 exec, exec, s[6:7]
	s_cbranch_execnz .LBB44_2372
.LBB44_322:
	s_or_b64 exec, exec, s[6:7]
	s_and_saveexec_b64 s[6:7], s[4:5]
	s_cbranch_execz .LBB44_324
.LBB44_323:
	v_and_b32_e32 v10, 7, v16
	v_ffbh_u32_e32 v14, v10
	v_min_u32_e32 v14, 32, v14
	v_lshrrev_b16_e32 v11, 3, v16
	v_subrev_u32_e32 v15, 28, v14
	v_and_b32_e32 v11, 15, v11
	v_lshlrev_b32_e32 v15, v15, v16
	v_sub_u32_e32 v14, 29, v14
	v_and_b32_e32 v15, 7, v15
	v_cmp_eq_u16_e32 vcc, 0, v11
	v_cndmask_b32_e32 v10, v10, v15, vcc
	v_cndmask_b32_e32 v11, v11, v14, vcc
	v_lshlrev_b32_e32 v14, 24, v16
	v_mov_b32_e32 v15, 0x3b800000
	v_lshlrev_b32_e32 v10, 20, v10
	v_and_b32_e32 v14, 0x80000000, v14
	v_lshl_add_u32 v11, v11, 23, v15
	v_or3_b32 v10, v14, v11, v10
.LBB44_324:
	s_or_b64 exec, exec, s[6:7]
	s_movk_i32 s4, 0x7f
	v_cmp_gt_i16_sdwa s[6:7], v12, s4 src0_sel:BYTE_0 src1_sel:DWORD
	s_mov_b64 s[4:5], 0
                                        ; implicit-def: $sgpr10
	s_and_saveexec_b64 s[8:9], s[6:7]
	s_xor_b64 s[6:7], exec, s[8:9]
	s_cbranch_execnz .LBB44_2373
; %bb.325:
	s_or_saveexec_b64 s[6:7], s[6:7]
	v_mov_b32_e32 v11, s10
	s_xor_b64 exec, exec, s[6:7]
	s_cbranch_execnz .LBB44_2376
.LBB44_326:
	s_or_b64 exec, exec, s[6:7]
	s_and_saveexec_b64 s[6:7], s[4:5]
	s_cbranch_execz .LBB44_328
.LBB44_327:
	v_and_b32_e32 v11, 7, v12
	v_ffbh_u32_e32 v15, v11
	v_min_u32_e32 v15, 32, v15
	v_lshrrev_b16_e32 v14, 3, v12
	v_subrev_u32_e32 v20, 28, v15
	v_and_b32_e32 v14, 15, v14
	v_lshlrev_b32_e32 v20, v20, v12
	v_sub_u32_e32 v15, 29, v15
	v_and_b32_e32 v20, 7, v20
	v_cmp_eq_u16_e32 vcc, 0, v14
	v_cndmask_b32_e32 v11, v11, v20, vcc
	v_cndmask_b32_e32 v14, v14, v15, vcc
	v_lshlrev_b32_e32 v15, 24, v12
	v_mov_b32_e32 v20, 0x3b800000
	v_lshlrev_b32_e32 v11, 20, v11
	v_and_b32_e32 v15, 0x80000000, v15
	v_lshl_add_u32 v14, v14, 23, v20
	v_or3_b32 v11, v15, v14, v11
.LBB44_328:
	s_or_b64 exec, exec, s[6:7]
	s_nop 0
	v_mfma_f32_16x16x4f32 a[0:3], v10, v11, a[0:3]
	v_lshrrev_b32_e32 v11, 8, v16
	s_movk_i32 s4, 0x7f
	v_cmp_gt_i16_sdwa s[6:7], v11, s4 src0_sel:BYTE_0 src1_sel:DWORD
	s_mov_b64 s[4:5], 0
                                        ; implicit-def: $sgpr10
	s_and_saveexec_b64 s[8:9], s[6:7]
	s_xor_b64 s[6:7], exec, s[8:9]
	s_cbranch_execnz .LBB44_2377
; %bb.329:
	s_or_saveexec_b64 s[6:7], s[6:7]
	v_mov_b32_e32 v10, s10
	s_xor_b64 exec, exec, s[6:7]
	s_cbranch_execnz .LBB44_2380
.LBB44_330:
	s_or_b64 exec, exec, s[6:7]
	s_and_saveexec_b64 s[6:7], s[4:5]
	s_cbranch_execz .LBB44_332
.LBB44_331:
	v_bfe_u32 v10, v16, 8, 3
	v_ffbh_u32_e32 v15, v10
	v_min_u32_e32 v15, 32, v15
	v_lshrrev_b16_e32 v14, 3, v11
	v_subrev_u32_e32 v20, 28, v15
	v_and_b32_e32 v14, 15, v14
	v_lshlrev_b32_e32 v11, v20, v11
	v_sub_u32_e32 v15, 29, v15
	v_and_b32_e32 v11, 7, v11
	v_cmp_eq_u16_e32 vcc, 0, v14
	v_cndmask_b32_e32 v10, v10, v11, vcc
	v_cndmask_b32_e32 v11, v14, v15, vcc
	v_lshlrev_b32_e32 v14, 16, v16
	v_mov_b32_e32 v15, 0x3b800000
	v_lshlrev_b32_e32 v10, 20, v10
	v_and_b32_e32 v14, 0x80000000, v14
	v_lshl_add_u32 v11, v11, 23, v15
	v_or3_b32 v10, v14, v11, v10
.LBB44_332:
	s_or_b64 exec, exec, s[6:7]
	v_lshrrev_b32_e32 v11, 8, v12
	s_movk_i32 s4, 0x7f
	v_cmp_gt_i16_sdwa s[6:7], v11, s4 src0_sel:BYTE_0 src1_sel:DWORD
	s_mov_b64 s[4:5], 0
                                        ; implicit-def: $sgpr10
	s_and_saveexec_b64 s[8:9], s[6:7]
	s_xor_b64 s[6:7], exec, s[8:9]
	s_cbranch_execnz .LBB44_2381
; %bb.333:
	s_or_saveexec_b64 s[6:7], s[6:7]
	v_mov_b32_e32 v14, s10
	s_xor_b64 exec, exec, s[6:7]
	s_cbranch_execnz .LBB44_2384
.LBB44_334:
	s_or_b64 exec, exec, s[6:7]
	s_and_saveexec_b64 s[6:7], s[4:5]
	s_cbranch_execz .LBB44_336
.LBB44_335:
	v_bfe_u32 v14, v12, 8, 3
	v_ffbh_u32_e32 v20, v14
	v_min_u32_e32 v20, 32, v20
	v_lshrrev_b16_e32 v15, 3, v11
	v_subrev_u32_e32 v21, 28, v20
	v_and_b32_e32 v15, 15, v15
	v_lshlrev_b32_e32 v11, v21, v11
	v_sub_u32_e32 v20, 29, v20
	v_and_b32_e32 v11, 7, v11
	v_cmp_eq_u16_e32 vcc, 0, v15
	v_cndmask_b32_e32 v11, v14, v11, vcc
	v_cndmask_b32_e32 v14, v15, v20, vcc
	v_lshlrev_b32_e32 v15, 16, v12
	v_mov_b32_e32 v20, 0x3b800000
	v_lshlrev_b32_e32 v11, 20, v11
	v_and_b32_e32 v15, 0x80000000, v15
	v_lshl_add_u32 v14, v14, 23, v20
	v_or3_b32 v14, v15, v14, v11
.LBB44_336:
	s_or_b64 exec, exec, s[6:7]
	s_nop 0
	v_mfma_f32_16x16x4f32 a[0:3], v10, v14, a[0:3]
	s_movk_i32 s4, 0xff
	v_and_b32_sdwa v11, v16, s4 dst_sel:DWORD dst_unused:UNUSED_PAD src0_sel:WORD_1 src1_sel:DWORD
	s_movk_i32 s4, 0x7f
	v_cmp_lt_i16_e32 vcc, s4, v11
	s_mov_b64 s[4:5], 0
                                        ; implicit-def: $sgpr10
	s_and_saveexec_b64 s[6:7], vcc
	s_xor_b64 s[6:7], exec, s[6:7]
	s_cbranch_execnz .LBB44_2385
; %bb.337:
	s_or_saveexec_b64 s[6:7], s[6:7]
	v_mov_b32_e32 v10, s10
	s_xor_b64 exec, exec, s[6:7]
	s_cbranch_execnz .LBB44_2388
.LBB44_338:
	s_or_b64 exec, exec, s[6:7]
	s_and_saveexec_b64 s[6:7], s[4:5]
	s_cbranch_execz .LBB44_340
.LBB44_339:
	v_bfe_u32 v10, v16, 16, 3
	v_ffbh_u32_e32 v15, v10
	v_min_u32_e32 v15, 32, v15
	v_lshrrev_b32_e32 v11, 19, v16
	v_subrev_u32_e32 v20, 28, v15
	v_and_b32_e32 v11, 15, v11
	v_lshlrev_b32_sdwa v20, v20, v16 dst_sel:DWORD dst_unused:UNUSED_PAD src0_sel:DWORD src1_sel:WORD_1
	v_bfe_u32 v14, v16, 19, 4
	v_sub_u32_e32 v15, 29, v15
	v_and_b32_e32 v20, 7, v20
	v_cmp_eq_u16_e32 vcc, 0, v11
	v_cndmask_b32_e32 v10, v10, v20, vcc
	v_cndmask_b32_e32 v11, v14, v15, vcc
	v_lshlrev_b32_e32 v14, 8, v16
	v_mov_b32_e32 v15, 0x3b800000
	v_lshlrev_b32_e32 v10, 20, v10
	v_and_b32_e32 v14, 0x80000000, v14
	v_lshl_add_u32 v11, v11, 23, v15
	v_or3_b32 v10, v14, v11, v10
.LBB44_340:
	s_or_b64 exec, exec, s[6:7]
	s_movk_i32 s4, 0xff
	v_and_b32_sdwa v11, v12, s4 dst_sel:DWORD dst_unused:UNUSED_PAD src0_sel:WORD_1 src1_sel:DWORD
	s_movk_i32 s4, 0x7f
	v_cmp_lt_i16_e32 vcc, s4, v11
	s_mov_b64 s[4:5], 0
                                        ; implicit-def: $sgpr10
	s_and_saveexec_b64 s[6:7], vcc
	s_xor_b64 s[6:7], exec, s[6:7]
	s_cbranch_execnz .LBB44_2389
; %bb.341:
	s_or_saveexec_b64 s[6:7], s[6:7]
	v_mov_b32_e32 v14, s10
	s_xor_b64 exec, exec, s[6:7]
	s_cbranch_execnz .LBB44_2392
.LBB44_342:
	s_or_b64 exec, exec, s[6:7]
	s_and_saveexec_b64 s[6:7], s[4:5]
	s_cbranch_execz .LBB44_344
.LBB44_343:
	v_bfe_u32 v11, v12, 16, 3
	v_ffbh_u32_e32 v20, v11
	v_min_u32_e32 v20, 32, v20
	v_lshrrev_b32_e32 v14, 19, v12
	v_subrev_u32_e32 v21, 28, v20
	v_and_b32_e32 v14, 15, v14
	v_lshlrev_b32_sdwa v21, v21, v12 dst_sel:DWORD dst_unused:UNUSED_PAD src0_sel:DWORD src1_sel:WORD_1
	v_bfe_u32 v15, v12, 19, 4
	v_sub_u32_e32 v20, 29, v20
	v_and_b32_e32 v21, 7, v21
	v_cmp_eq_u16_e32 vcc, 0, v14
	v_cndmask_b32_e32 v11, v11, v21, vcc
	v_cndmask_b32_e32 v14, v15, v20, vcc
	v_lshlrev_b32_e32 v15, 8, v12
	v_mov_b32_e32 v20, 0x3b800000
	v_lshlrev_b32_e32 v11, 20, v11
	v_and_b32_e32 v15, 0x80000000, v15
	v_lshl_add_u32 v14, v14, 23, v20
	v_or3_b32 v14, v15, v14, v11
.LBB44_344:
	s_or_b64 exec, exec, s[6:7]
	s_nop 0
	v_mfma_f32_16x16x4f32 a[0:3], v10, v14, a[0:3]
	s_movk_i32 s4, 0x7f
	v_cmp_gt_i16_sdwa s[6:7], v16, s4 src0_sel:BYTE_3 src1_sel:DWORD
	s_mov_b64 s[4:5], 0
                                        ; implicit-def: $sgpr10
	s_and_saveexec_b64 s[8:9], s[6:7]
	s_xor_b64 s[6:7], exec, s[8:9]
	s_cbranch_execnz .LBB44_2393
; %bb.345:
	s_or_saveexec_b64 s[6:7], s[6:7]
	v_mov_b32_e32 v10, s10
	s_xor_b64 exec, exec, s[6:7]
	s_cbranch_execnz .LBB44_2396
.LBB44_346:
	s_or_b64 exec, exec, s[6:7]
	s_and_saveexec_b64 s[6:7], s[4:5]
	s_cbranch_execz .LBB44_348
.LBB44_347:
	v_bfe_u32 v10, v16, 24, 3
	v_ffbh_u32_e32 v20, v10
	v_min_u32_e32 v20, 32, v20
	v_lshrrev_b32_e32 v14, 27, v16
	v_subrev_u32_e32 v21, 28, v20
	v_and_b32_e32 v11, 0x80000000, v16
	v_and_b32_e32 v14, 15, v14
	v_bfe_u32 v15, v16, 27, 4
	v_lshlrev_b32_sdwa v16, v21, v16 dst_sel:DWORD dst_unused:UNUSED_PAD src0_sel:DWORD src1_sel:BYTE_3
	v_sub_u32_e32 v20, 29, v20
	v_and_b32_e32 v16, 7, v16
	v_cmp_eq_u16_e32 vcc, 0, v14
	v_cndmask_b32_e32 v10, v10, v16, vcc
	v_cndmask_b32_e32 v14, v15, v20, vcc
	v_mov_b32_e32 v15, 0x3b800000
	v_lshlrev_b32_e32 v10, 20, v10
	v_lshl_add_u32 v14, v14, 23, v15
	v_or3_b32 v10, v11, v14, v10
.LBB44_348:
	s_or_b64 exec, exec, s[6:7]
	s_movk_i32 s4, 0x7f
	v_cmp_gt_i16_sdwa s[6:7], v12, s4 src0_sel:BYTE_3 src1_sel:DWORD
	s_mov_b64 s[4:5], 0
                                        ; implicit-def: $sgpr10
	s_and_saveexec_b64 s[8:9], s[6:7]
	s_xor_b64 s[6:7], exec, s[8:9]
	s_cbranch_execnz .LBB44_2397
; %bb.349:
	s_or_saveexec_b64 s[6:7], s[6:7]
	v_mov_b32_e32 v11, s10
	s_xor_b64 exec, exec, s[6:7]
	s_cbranch_execnz .LBB44_2400
.LBB44_350:
	s_or_b64 exec, exec, s[6:7]
	s_and_saveexec_b64 s[6:7], s[4:5]
	s_cbranch_execz .LBB44_352
.LBB44_351:
	v_bfe_u32 v11, v12, 24, 3
	v_ffbh_u32_e32 v20, v11
	v_min_u32_e32 v20, 32, v20
	v_lshrrev_b32_e32 v15, 27, v12
	v_subrev_u32_e32 v21, 28, v20
	v_and_b32_e32 v14, 0x80000000, v12
	v_and_b32_e32 v15, 15, v15
	v_bfe_u32 v16, v12, 27, 4
	v_lshlrev_b32_sdwa v12, v21, v12 dst_sel:DWORD dst_unused:UNUSED_PAD src0_sel:DWORD src1_sel:BYTE_3
	v_sub_u32_e32 v20, 29, v20
	v_and_b32_e32 v12, 7, v12
	v_cmp_eq_u16_e32 vcc, 0, v15
	v_cndmask_b32_e32 v11, v11, v12, vcc
	v_cndmask_b32_e32 v12, v16, v20, vcc
	v_mov_b32_e32 v15, 0x3b800000
	v_lshlrev_b32_e32 v11, 20, v11
	v_lshl_add_u32 v12, v12, 23, v15
	v_or3_b32 v11, v14, v12, v11
.LBB44_352:
	s_or_b64 exec, exec, s[6:7]
	s_nop 0
	v_mfma_f32_16x16x4f32 a[0:3], v10, v11, a[0:3]
	s_movk_i32 s4, 0x7f
	v_cmp_gt_i16_sdwa s[6:7], v17, s4 src0_sel:BYTE_0 src1_sel:DWORD
	s_mov_b64 s[4:5], 0
                                        ; implicit-def: $sgpr10
	s_and_saveexec_b64 s[8:9], s[6:7]
	s_xor_b64 s[6:7], exec, s[8:9]
	s_cbranch_execnz .LBB44_2401
; %bb.353:
	s_or_saveexec_b64 s[6:7], s[6:7]
	v_mov_b32_e32 v10, s10
	s_xor_b64 exec, exec, s[6:7]
	s_cbranch_execnz .LBB44_2404
.LBB44_354:
	s_or_b64 exec, exec, s[6:7]
	s_and_saveexec_b64 s[6:7], s[4:5]
	s_cbranch_execz .LBB44_356
.LBB44_355:
	v_and_b32_e32 v10, 7, v17
	v_ffbh_u32_e32 v12, v10
	v_min_u32_e32 v12, 32, v12
	v_lshrrev_b16_e32 v11, 3, v17
	v_subrev_u32_e32 v14, 28, v12
	v_and_b32_e32 v11, 15, v11
	v_lshlrev_b32_e32 v14, v14, v17
	v_sub_u32_e32 v12, 29, v12
	v_and_b32_e32 v14, 7, v14
	v_cmp_eq_u16_e32 vcc, 0, v11
	v_cndmask_b32_e32 v10, v10, v14, vcc
	v_cndmask_b32_e32 v11, v11, v12, vcc
	v_lshlrev_b32_e32 v12, 24, v17
	v_mov_b32_e32 v14, 0x3b800000
	v_lshlrev_b32_e32 v10, 20, v10
	v_and_b32_e32 v12, 0x80000000, v12
	v_lshl_add_u32 v11, v11, 23, v14
	v_or3_b32 v10, v12, v11, v10
.LBB44_356:
	s_or_b64 exec, exec, s[6:7]
	s_movk_i32 s4, 0x7f
	v_cmp_gt_i16_sdwa s[6:7], v13, s4 src0_sel:BYTE_0 src1_sel:DWORD
	s_mov_b64 s[4:5], 0
                                        ; implicit-def: $sgpr10
	s_and_saveexec_b64 s[8:9], s[6:7]
	s_xor_b64 s[6:7], exec, s[8:9]
	s_cbranch_execnz .LBB44_2405
; %bb.357:
	s_or_saveexec_b64 s[6:7], s[6:7]
	v_mov_b32_e32 v11, s10
	s_xor_b64 exec, exec, s[6:7]
	s_cbranch_execnz .LBB44_2408
.LBB44_358:
	s_or_b64 exec, exec, s[6:7]
	s_and_saveexec_b64 s[6:7], s[4:5]
	s_cbranch_execz .LBB44_360
.LBB44_359:
	v_and_b32_e32 v11, 7, v13
	v_ffbh_u32_e32 v14, v11
	v_min_u32_e32 v14, 32, v14
	v_lshrrev_b16_e32 v12, 3, v13
	v_subrev_u32_e32 v15, 28, v14
	v_and_b32_e32 v12, 15, v12
	v_lshlrev_b32_e32 v15, v15, v13
	v_sub_u32_e32 v14, 29, v14
	v_and_b32_e32 v15, 7, v15
	v_cmp_eq_u16_e32 vcc, 0, v12
	v_cndmask_b32_e32 v11, v11, v15, vcc
	v_cndmask_b32_e32 v12, v12, v14, vcc
	v_lshlrev_b32_e32 v14, 24, v13
	v_mov_b32_e32 v15, 0x3b800000
	v_lshlrev_b32_e32 v11, 20, v11
	v_and_b32_e32 v14, 0x80000000, v14
	v_lshl_add_u32 v12, v12, 23, v15
	v_or3_b32 v11, v14, v12, v11
.LBB44_360:
	s_or_b64 exec, exec, s[6:7]
	s_nop 0
	v_mfma_f32_16x16x4f32 a[0:3], v10, v11, a[0:3]
	v_lshrrev_b32_e32 v11, 8, v17
	s_movk_i32 s4, 0x7f
	v_cmp_gt_i16_sdwa s[6:7], v11, s4 src0_sel:BYTE_0 src1_sel:DWORD
	s_mov_b64 s[4:5], 0
                                        ; implicit-def: $sgpr10
	s_and_saveexec_b64 s[8:9], s[6:7]
	s_xor_b64 s[6:7], exec, s[8:9]
	s_cbranch_execnz .LBB44_2409
; %bb.361:
	s_or_saveexec_b64 s[6:7], s[6:7]
	v_mov_b32_e32 v10, s10
	s_xor_b64 exec, exec, s[6:7]
	s_cbranch_execnz .LBB44_2412
.LBB44_362:
	s_or_b64 exec, exec, s[6:7]
	s_and_saveexec_b64 s[6:7], s[4:5]
	s_cbranch_execz .LBB44_364
.LBB44_363:
	v_bfe_u32 v10, v17, 8, 3
	v_ffbh_u32_e32 v14, v10
	v_min_u32_e32 v14, 32, v14
	v_lshrrev_b16_e32 v12, 3, v11
	v_subrev_u32_e32 v15, 28, v14
	v_and_b32_e32 v12, 15, v12
	v_lshlrev_b32_e32 v11, v15, v11
	v_sub_u32_e32 v14, 29, v14
	v_and_b32_e32 v11, 7, v11
	v_cmp_eq_u16_e32 vcc, 0, v12
	v_cndmask_b32_e32 v10, v10, v11, vcc
	v_cndmask_b32_e32 v11, v12, v14, vcc
	v_lshlrev_b32_e32 v12, 16, v17
	v_mov_b32_e32 v14, 0x3b800000
	v_lshlrev_b32_e32 v10, 20, v10
	v_and_b32_e32 v12, 0x80000000, v12
	v_lshl_add_u32 v11, v11, 23, v14
	v_or3_b32 v10, v12, v11, v10
.LBB44_364:
	s_or_b64 exec, exec, s[6:7]
	v_lshrrev_b32_e32 v11, 8, v13
	s_movk_i32 s4, 0x7f
	v_cmp_gt_i16_sdwa s[6:7], v11, s4 src0_sel:BYTE_0 src1_sel:DWORD
	s_mov_b64 s[4:5], 0
                                        ; implicit-def: $sgpr10
	s_and_saveexec_b64 s[8:9], s[6:7]
	s_xor_b64 s[6:7], exec, s[8:9]
	s_cbranch_execnz .LBB44_2413
; %bb.365:
	s_or_saveexec_b64 s[6:7], s[6:7]
	v_mov_b32_e32 v12, s10
	s_xor_b64 exec, exec, s[6:7]
	s_cbranch_execnz .LBB44_2416
.LBB44_366:
	s_or_b64 exec, exec, s[6:7]
	s_and_saveexec_b64 s[6:7], s[4:5]
	s_cbranch_execz .LBB44_368
.LBB44_367:
	v_bfe_u32 v12, v13, 8, 3
	v_ffbh_u32_e32 v15, v12
	v_min_u32_e32 v15, 32, v15
	v_lshrrev_b16_e32 v14, 3, v11
	v_subrev_u32_e32 v16, 28, v15
	v_and_b32_e32 v14, 15, v14
	v_lshlrev_b32_e32 v11, v16, v11
	v_sub_u32_e32 v15, 29, v15
	v_and_b32_e32 v11, 7, v11
	v_cmp_eq_u16_e32 vcc, 0, v14
	v_cndmask_b32_e32 v11, v12, v11, vcc
	v_cndmask_b32_e32 v12, v14, v15, vcc
	v_lshlrev_b32_e32 v14, 16, v13
	v_mov_b32_e32 v15, 0x3b800000
	v_lshlrev_b32_e32 v11, 20, v11
	v_and_b32_e32 v14, 0x80000000, v14
	v_lshl_add_u32 v12, v12, 23, v15
	v_or3_b32 v12, v14, v12, v11
.LBB44_368:
	s_or_b64 exec, exec, s[6:7]
	s_nop 0
	v_mfma_f32_16x16x4f32 a[0:3], v10, v12, a[0:3]
	s_movk_i32 s4, 0xff
	v_and_b32_sdwa v11, v17, s4 dst_sel:DWORD dst_unused:UNUSED_PAD src0_sel:WORD_1 src1_sel:DWORD
	s_movk_i32 s4, 0x7f
	v_cmp_lt_i16_e32 vcc, s4, v11
	s_mov_b64 s[4:5], 0
                                        ; implicit-def: $sgpr10
	s_and_saveexec_b64 s[6:7], vcc
	s_xor_b64 s[6:7], exec, s[6:7]
	s_cbranch_execnz .LBB44_2417
; %bb.369:
	s_or_saveexec_b64 s[6:7], s[6:7]
	v_mov_b32_e32 v10, s10
	s_xor_b64 exec, exec, s[6:7]
	s_cbranch_execnz .LBB44_2420
.LBB44_370:
	s_or_b64 exec, exec, s[6:7]
	s_and_saveexec_b64 s[6:7], s[4:5]
	s_cbranch_execz .LBB44_372
.LBB44_371:
	v_bfe_u32 v10, v17, 16, 3
	v_ffbh_u32_e32 v14, v10
	v_min_u32_e32 v14, 32, v14
	v_lshrrev_b32_e32 v11, 19, v17
	v_subrev_u32_e32 v15, 28, v14
	v_and_b32_e32 v11, 15, v11
	v_lshlrev_b32_sdwa v15, v15, v17 dst_sel:DWORD dst_unused:UNUSED_PAD src0_sel:DWORD src1_sel:WORD_1
	v_bfe_u32 v12, v17, 19, 4
	v_sub_u32_e32 v14, 29, v14
	v_and_b32_e32 v15, 7, v15
	v_cmp_eq_u16_e32 vcc, 0, v11
	v_cndmask_b32_e32 v10, v10, v15, vcc
	v_cndmask_b32_e32 v11, v12, v14, vcc
	v_lshlrev_b32_e32 v12, 8, v17
	v_mov_b32_e32 v14, 0x3b800000
	v_lshlrev_b32_e32 v10, 20, v10
	v_and_b32_e32 v12, 0x80000000, v12
	v_lshl_add_u32 v11, v11, 23, v14
	v_or3_b32 v10, v12, v11, v10
.LBB44_372:
	s_or_b64 exec, exec, s[6:7]
	s_movk_i32 s4, 0xff
	v_and_b32_sdwa v11, v13, s4 dst_sel:DWORD dst_unused:UNUSED_PAD src0_sel:WORD_1 src1_sel:DWORD
	s_movk_i32 s4, 0x7f
	v_cmp_lt_i16_e32 vcc, s4, v11
	s_mov_b64 s[4:5], 0
                                        ; implicit-def: $sgpr10
	s_and_saveexec_b64 s[6:7], vcc
	s_xor_b64 s[6:7], exec, s[6:7]
	s_cbranch_execnz .LBB44_2421
; %bb.373:
	s_or_saveexec_b64 s[6:7], s[6:7]
	v_mov_b32_e32 v12, s10
	s_xor_b64 exec, exec, s[6:7]
	s_cbranch_execnz .LBB44_2424
.LBB44_374:
	s_or_b64 exec, exec, s[6:7]
	s_and_saveexec_b64 s[6:7], s[4:5]
	s_cbranch_execz .LBB44_376
.LBB44_375:
	v_bfe_u32 v11, v13, 16, 3
	v_ffbh_u32_e32 v15, v11
	v_min_u32_e32 v15, 32, v15
	v_lshrrev_b32_e32 v12, 19, v13
	v_subrev_u32_e32 v16, 28, v15
	v_and_b32_e32 v12, 15, v12
	v_lshlrev_b32_sdwa v16, v16, v13 dst_sel:DWORD dst_unused:UNUSED_PAD src0_sel:DWORD src1_sel:WORD_1
	v_bfe_u32 v14, v13, 19, 4
	v_sub_u32_e32 v15, 29, v15
	v_and_b32_e32 v16, 7, v16
	v_cmp_eq_u16_e32 vcc, 0, v12
	v_cndmask_b32_e32 v11, v11, v16, vcc
	v_cndmask_b32_e32 v12, v14, v15, vcc
	v_lshlrev_b32_e32 v14, 8, v13
	v_mov_b32_e32 v15, 0x3b800000
	v_lshlrev_b32_e32 v11, 20, v11
	v_and_b32_e32 v14, 0x80000000, v14
	v_lshl_add_u32 v12, v12, 23, v15
	v_or3_b32 v12, v14, v12, v11
.LBB44_376:
	s_or_b64 exec, exec, s[6:7]
	s_nop 0
	v_mfma_f32_16x16x4f32 a[0:3], v10, v12, a[0:3]
	s_movk_i32 s4, 0x7f
	v_cmp_gt_i16_sdwa s[6:7], v17, s4 src0_sel:BYTE_3 src1_sel:DWORD
	s_mov_b64 s[4:5], 0
                                        ; implicit-def: $sgpr10
	s_and_saveexec_b64 s[8:9], s[6:7]
	s_xor_b64 s[6:7], exec, s[8:9]
	s_cbranch_execnz .LBB44_2425
; %bb.377:
	s_or_saveexec_b64 s[6:7], s[6:7]
	v_mov_b32_e32 v10, s10
	s_xor_b64 exec, exec, s[6:7]
	s_cbranch_execnz .LBB44_2428
.LBB44_378:
	s_or_b64 exec, exec, s[6:7]
	s_and_saveexec_b64 s[6:7], s[4:5]
	s_cbranch_execz .LBB44_380
.LBB44_379:
	v_bfe_u32 v10, v17, 24, 3
	v_ffbh_u32_e32 v15, v10
	v_min_u32_e32 v15, 32, v15
	v_lshrrev_b32_e32 v12, 27, v17
	v_subrev_u32_e32 v16, 28, v15
	v_and_b32_e32 v12, 15, v12
	v_lshlrev_b32_sdwa v16, v16, v17 dst_sel:DWORD dst_unused:UNUSED_PAD src0_sel:DWORD src1_sel:BYTE_3
	v_bfe_u32 v14, v17, 27, 4
	v_sub_u32_e32 v15, 29, v15
	v_and_b32_e32 v16, 7, v16
	v_cmp_eq_u16_e32 vcc, 0, v12
	v_cndmask_b32_e32 v10, v10, v16, vcc
	v_cndmask_b32_e32 v12, v14, v15, vcc
	v_mov_b32_e32 v14, 0x3b800000
	v_and_b32_e32 v11, 0x80000000, v17
	v_lshlrev_b32_e32 v10, 20, v10
	v_lshl_add_u32 v12, v12, 23, v14
	v_or3_b32 v10, v11, v12, v10
.LBB44_380:
	s_or_b64 exec, exec, s[6:7]
	s_movk_i32 s4, 0x7f
	v_cmp_gt_i16_sdwa s[6:7], v13, s4 src0_sel:BYTE_3 src1_sel:DWORD
	s_mov_b64 s[4:5], 0
                                        ; implicit-def: $sgpr10
	s_and_saveexec_b64 s[8:9], s[6:7]
	s_xor_b64 s[6:7], exec, s[8:9]
	s_cbranch_execnz .LBB44_2429
; %bb.381:
	s_or_saveexec_b64 s[6:7], s[6:7]
	v_mov_b32_e32 v11, s10
	s_xor_b64 exec, exec, s[6:7]
	s_cbranch_execnz .LBB44_2432
.LBB44_382:
	s_or_b64 exec, exec, s[6:7]
	s_and_saveexec_b64 s[6:7], s[4:5]
	s_cbranch_execz .LBB44_384
.LBB44_383:
	v_bfe_u32 v11, v13, 24, 3
	v_ffbh_u32_e32 v16, v11
	v_min_u32_e32 v16, 32, v16
	v_lshrrev_b32_e32 v14, 27, v13
	v_subrev_u32_e32 v17, 28, v16
	v_and_b32_e32 v12, 0x80000000, v13
	v_and_b32_e32 v14, 15, v14
	v_bfe_u32 v15, v13, 27, 4
	v_lshlrev_b32_sdwa v13, v17, v13 dst_sel:DWORD dst_unused:UNUSED_PAD src0_sel:DWORD src1_sel:BYTE_3
	v_sub_u32_e32 v16, 29, v16
	v_and_b32_e32 v13, 7, v13
	v_cmp_eq_u16_e32 vcc, 0, v14
	v_cndmask_b32_e32 v11, v11, v13, vcc
	v_cndmask_b32_e32 v13, v15, v16, vcc
	v_mov_b32_e32 v14, 0x3b800000
	v_lshlrev_b32_e32 v11, 20, v11
	v_lshl_add_u32 v13, v13, 23, v14
	v_or3_b32 v11, v12, v13, v11
.LBB44_384:
	s_or_b64 exec, exec, s[6:7]
	s_nop 0
	v_mfma_f32_16x16x4f32 a[0:3], v10, v11, a[0:3]
	s_movk_i32 s4, 0x7f
	v_cmp_gt_i16_sdwa s[6:7], v6, s4 src0_sel:BYTE_0 src1_sel:DWORD
	s_mov_b64 s[4:5], 0
                                        ; implicit-def: $sgpr10
	s_and_saveexec_b64 s[8:9], s[6:7]
	s_xor_b64 s[6:7], exec, s[8:9]
	s_cbranch_execnz .LBB44_2433
; %bb.385:
	s_or_saveexec_b64 s[6:7], s[6:7]
	v_mov_b32_e32 v10, s10
	s_xor_b64 exec, exec, s[6:7]
	s_cbranch_execnz .LBB44_2436
.LBB44_386:
	s_or_b64 exec, exec, s[6:7]
	s_and_saveexec_b64 s[6:7], s[4:5]
	s_cbranch_execz .LBB44_388
.LBB44_387:
	v_and_b32_e32 v10, 7, v6
	v_ffbh_u32_e32 v12, v10
	v_min_u32_e32 v12, 32, v12
	v_lshrrev_b16_e32 v11, 3, v6
	v_subrev_u32_e32 v13, 28, v12
	v_and_b32_e32 v11, 15, v11
	v_lshlrev_b32_e32 v13, v13, v6
	v_sub_u32_e32 v12, 29, v12
	v_and_b32_e32 v13, 7, v13
	v_cmp_eq_u16_e32 vcc, 0, v11
	v_cndmask_b32_e32 v10, v10, v13, vcc
	v_cndmask_b32_e32 v11, v11, v12, vcc
	v_lshlrev_b32_e32 v12, 24, v6
	v_mov_b32_e32 v13, 0x3b800000
	v_lshlrev_b32_e32 v10, 20, v10
	v_and_b32_e32 v12, 0x80000000, v12
	v_lshl_add_u32 v11, v11, 23, v13
	v_or3_b32 v10, v12, v11, v10
.LBB44_388:
	s_or_b64 exec, exec, s[6:7]
	s_movk_i32 s4, 0x7f
	v_cmp_gt_i16_sdwa s[6:7], v2, s4 src0_sel:BYTE_0 src1_sel:DWORD
	s_mov_b64 s[4:5], 0
                                        ; implicit-def: $sgpr10
	s_and_saveexec_b64 s[8:9], s[6:7]
	s_xor_b64 s[6:7], exec, s[8:9]
	s_cbranch_execnz .LBB44_2437
; %bb.389:
	s_or_saveexec_b64 s[6:7], s[6:7]
	v_mov_b32_e32 v11, s10
	s_xor_b64 exec, exec, s[6:7]
	s_cbranch_execnz .LBB44_2440
.LBB44_390:
	s_or_b64 exec, exec, s[6:7]
	s_and_saveexec_b64 s[6:7], s[4:5]
	s_cbranch_execz .LBB44_392
.LBB44_391:
	v_and_b32_e32 v11, 7, v2
	v_ffbh_u32_e32 v13, v11
	v_min_u32_e32 v13, 32, v13
	v_lshrrev_b16_e32 v12, 3, v2
	v_subrev_u32_e32 v14, 28, v13
	v_and_b32_e32 v12, 15, v12
	v_lshlrev_b32_e32 v14, v14, v2
	v_sub_u32_e32 v13, 29, v13
	v_and_b32_e32 v14, 7, v14
	v_cmp_eq_u16_e32 vcc, 0, v12
	v_cndmask_b32_e32 v11, v11, v14, vcc
	v_cndmask_b32_e32 v12, v12, v13, vcc
	v_lshlrev_b32_e32 v13, 24, v2
	v_mov_b32_e32 v14, 0x3b800000
	v_lshlrev_b32_e32 v11, 20, v11
	v_and_b32_e32 v13, 0x80000000, v13
	v_lshl_add_u32 v12, v12, 23, v14
	v_or3_b32 v11, v13, v12, v11
.LBB44_392:
	s_or_b64 exec, exec, s[6:7]
	s_nop 0
	v_mfma_f32_16x16x4f32 a[0:3], v10, v11, a[0:3]
	v_lshrrev_b32_e32 v11, 8, v6
	s_movk_i32 s4, 0x7f
	v_cmp_gt_i16_sdwa s[6:7], v11, s4 src0_sel:BYTE_0 src1_sel:DWORD
	s_mov_b64 s[4:5], 0
                                        ; implicit-def: $sgpr10
	s_and_saveexec_b64 s[8:9], s[6:7]
	s_xor_b64 s[6:7], exec, s[8:9]
	s_cbranch_execnz .LBB44_2441
; %bb.393:
	s_or_saveexec_b64 s[6:7], s[6:7]
	v_mov_b32_e32 v10, s10
	s_xor_b64 exec, exec, s[6:7]
	s_cbranch_execnz .LBB44_2444
.LBB44_394:
	s_or_b64 exec, exec, s[6:7]
	s_and_saveexec_b64 s[6:7], s[4:5]
	s_cbranch_execz .LBB44_396
.LBB44_395:
	v_bfe_u32 v10, v6, 8, 3
	v_ffbh_u32_e32 v13, v10
	v_min_u32_e32 v13, 32, v13
	v_lshrrev_b16_e32 v12, 3, v11
	v_subrev_u32_e32 v14, 28, v13
	v_and_b32_e32 v12, 15, v12
	v_lshlrev_b32_e32 v11, v14, v11
	v_sub_u32_e32 v13, 29, v13
	v_and_b32_e32 v11, 7, v11
	v_cmp_eq_u16_e32 vcc, 0, v12
	v_cndmask_b32_e32 v10, v10, v11, vcc
	v_cndmask_b32_e32 v11, v12, v13, vcc
	v_lshlrev_b32_e32 v12, 16, v6
	v_mov_b32_e32 v13, 0x3b800000
	v_lshlrev_b32_e32 v10, 20, v10
	v_and_b32_e32 v12, 0x80000000, v12
	v_lshl_add_u32 v11, v11, 23, v13
	v_or3_b32 v10, v12, v11, v10
.LBB44_396:
	s_or_b64 exec, exec, s[6:7]
	v_lshrrev_b32_e32 v11, 8, v2
	s_movk_i32 s4, 0x7f
	v_cmp_gt_i16_sdwa s[6:7], v11, s4 src0_sel:BYTE_0 src1_sel:DWORD
	s_mov_b64 s[4:5], 0
                                        ; implicit-def: $sgpr10
	s_and_saveexec_b64 s[8:9], s[6:7]
	s_xor_b64 s[6:7], exec, s[8:9]
	s_cbranch_execnz .LBB44_2445
; %bb.397:
	s_or_saveexec_b64 s[6:7], s[6:7]
	v_mov_b32_e32 v12, s10
	s_xor_b64 exec, exec, s[6:7]
	s_cbranch_execnz .LBB44_2448
.LBB44_398:
	s_or_b64 exec, exec, s[6:7]
	s_and_saveexec_b64 s[6:7], s[4:5]
	s_cbranch_execz .LBB44_400
.LBB44_399:
	v_bfe_u32 v12, v2, 8, 3
	v_ffbh_u32_e32 v14, v12
	v_min_u32_e32 v14, 32, v14
	v_lshrrev_b16_e32 v13, 3, v11
	v_subrev_u32_e32 v15, 28, v14
	v_and_b32_e32 v13, 15, v13
	v_lshlrev_b32_e32 v11, v15, v11
	v_sub_u32_e32 v14, 29, v14
	v_and_b32_e32 v11, 7, v11
	v_cmp_eq_u16_e32 vcc, 0, v13
	v_cndmask_b32_e32 v11, v12, v11, vcc
	v_cndmask_b32_e32 v12, v13, v14, vcc
	v_lshlrev_b32_e32 v13, 16, v2
	v_mov_b32_e32 v14, 0x3b800000
	v_lshlrev_b32_e32 v11, 20, v11
	v_and_b32_e32 v13, 0x80000000, v13
	v_lshl_add_u32 v12, v12, 23, v14
	v_or3_b32 v12, v13, v12, v11
.LBB44_400:
	s_or_b64 exec, exec, s[6:7]
	s_nop 0
	v_mfma_f32_16x16x4f32 a[0:3], v10, v12, a[0:3]
	s_movk_i32 s4, 0xff
	v_and_b32_sdwa v11, v6, s4 dst_sel:DWORD dst_unused:UNUSED_PAD src0_sel:WORD_1 src1_sel:DWORD
	s_movk_i32 s4, 0x7f
	v_cmp_lt_i16_e32 vcc, s4, v11
	s_mov_b64 s[4:5], 0
                                        ; implicit-def: $sgpr10
	s_and_saveexec_b64 s[6:7], vcc
	s_xor_b64 s[6:7], exec, s[6:7]
	s_cbranch_execnz .LBB44_2449
; %bb.401:
	s_or_saveexec_b64 s[6:7], s[6:7]
	v_mov_b32_e32 v10, s10
	s_xor_b64 exec, exec, s[6:7]
	s_cbranch_execnz .LBB44_2452
.LBB44_402:
	s_or_b64 exec, exec, s[6:7]
	s_and_saveexec_b64 s[6:7], s[4:5]
	s_cbranch_execz .LBB44_404
.LBB44_403:
	v_bfe_u32 v10, v6, 16, 3
	v_ffbh_u32_e32 v13, v10
	v_min_u32_e32 v13, 32, v13
	v_lshrrev_b32_e32 v11, 19, v6
	v_subrev_u32_e32 v14, 28, v13
	v_and_b32_e32 v11, 15, v11
	v_lshlrev_b32_sdwa v14, v14, v6 dst_sel:DWORD dst_unused:UNUSED_PAD src0_sel:DWORD src1_sel:WORD_1
	v_bfe_u32 v12, v6, 19, 4
	v_sub_u32_e32 v13, 29, v13
	v_and_b32_e32 v14, 7, v14
	v_cmp_eq_u16_e32 vcc, 0, v11
	v_cndmask_b32_e32 v10, v10, v14, vcc
	v_cndmask_b32_e32 v11, v12, v13, vcc
	v_lshlrev_b32_e32 v12, 8, v6
	v_mov_b32_e32 v13, 0x3b800000
	v_lshlrev_b32_e32 v10, 20, v10
	v_and_b32_e32 v12, 0x80000000, v12
	v_lshl_add_u32 v11, v11, 23, v13
	v_or3_b32 v10, v12, v11, v10
.LBB44_404:
	s_or_b64 exec, exec, s[6:7]
	s_movk_i32 s4, 0xff
	v_and_b32_sdwa v11, v2, s4 dst_sel:DWORD dst_unused:UNUSED_PAD src0_sel:WORD_1 src1_sel:DWORD
	s_movk_i32 s4, 0x7f
	v_cmp_lt_i16_e32 vcc, s4, v11
	s_mov_b64 s[4:5], 0
                                        ; implicit-def: $sgpr10
	s_and_saveexec_b64 s[6:7], vcc
	s_xor_b64 s[6:7], exec, s[6:7]
	s_cbranch_execnz .LBB44_2453
; %bb.405:
	s_or_saveexec_b64 s[6:7], s[6:7]
	v_mov_b32_e32 v12, s10
	s_xor_b64 exec, exec, s[6:7]
	s_cbranch_execnz .LBB44_2456
.LBB44_406:
	s_or_b64 exec, exec, s[6:7]
	s_and_saveexec_b64 s[6:7], s[4:5]
	s_cbranch_execz .LBB44_408
.LBB44_407:
	v_bfe_u32 v11, v2, 16, 3
	v_ffbh_u32_e32 v14, v11
	v_min_u32_e32 v14, 32, v14
	v_lshrrev_b32_e32 v12, 19, v2
	v_subrev_u32_e32 v15, 28, v14
	v_and_b32_e32 v12, 15, v12
	v_lshlrev_b32_sdwa v15, v15, v2 dst_sel:DWORD dst_unused:UNUSED_PAD src0_sel:DWORD src1_sel:WORD_1
	v_bfe_u32 v13, v2, 19, 4
	v_sub_u32_e32 v14, 29, v14
	v_and_b32_e32 v15, 7, v15
	v_cmp_eq_u16_e32 vcc, 0, v12
	v_cndmask_b32_e32 v11, v11, v15, vcc
	v_cndmask_b32_e32 v12, v13, v14, vcc
	v_lshlrev_b32_e32 v13, 8, v2
	v_mov_b32_e32 v14, 0x3b800000
	v_lshlrev_b32_e32 v11, 20, v11
	v_and_b32_e32 v13, 0x80000000, v13
	v_lshl_add_u32 v12, v12, 23, v14
	v_or3_b32 v12, v13, v12, v11
.LBB44_408:
	s_or_b64 exec, exec, s[6:7]
	s_nop 0
	v_mfma_f32_16x16x4f32 a[0:3], v10, v12, a[0:3]
	s_movk_i32 s4, 0x7f
	v_cmp_gt_i16_sdwa s[6:7], v6, s4 src0_sel:BYTE_3 src1_sel:DWORD
	s_mov_b64 s[4:5], 0
                                        ; implicit-def: $sgpr10
	s_and_saveexec_b64 s[8:9], s[6:7]
	s_xor_b64 s[6:7], exec, s[8:9]
	s_cbranch_execnz .LBB44_2457
; %bb.409:
	s_or_saveexec_b64 s[6:7], s[6:7]
	v_mov_b32_e32 v10, s10
	s_xor_b64 exec, exec, s[6:7]
	s_cbranch_execnz .LBB44_2460
.LBB44_410:
	s_or_b64 exec, exec, s[6:7]
	s_and_saveexec_b64 s[6:7], s[4:5]
	s_cbranch_execz .LBB44_412
.LBB44_411:
	v_bfe_u32 v10, v6, 24, 3
	v_ffbh_u32_e32 v14, v10
	v_min_u32_e32 v14, 32, v14
	v_lshrrev_b32_e32 v12, 27, v6
	v_subrev_u32_e32 v15, 28, v14
	v_and_b32_e32 v11, 0x80000000, v6
	v_and_b32_e32 v12, 15, v12
	v_bfe_u32 v13, v6, 27, 4
	v_lshlrev_b32_sdwa v6, v15, v6 dst_sel:DWORD dst_unused:UNUSED_PAD src0_sel:DWORD src1_sel:BYTE_3
	v_sub_u32_e32 v14, 29, v14
	v_and_b32_e32 v6, 7, v6
	v_cmp_eq_u16_e32 vcc, 0, v12
	v_cndmask_b32_e32 v6, v10, v6, vcc
	v_cndmask_b32_e32 v10, v13, v14, vcc
	v_mov_b32_e32 v12, 0x3b800000
	v_lshlrev_b32_e32 v6, 20, v6
	v_lshl_add_u32 v10, v10, 23, v12
	v_or3_b32 v10, v11, v10, v6
.LBB44_412:
	s_or_b64 exec, exec, s[6:7]
	s_movk_i32 s4, 0x7f
	v_cmp_gt_i16_sdwa s[6:7], v2, s4 src0_sel:BYTE_3 src1_sel:DWORD
	s_mov_b64 s[4:5], 0
                                        ; implicit-def: $sgpr10
	s_and_saveexec_b64 s[8:9], s[6:7]
	s_xor_b64 s[6:7], exec, s[8:9]
	s_cbranch_execnz .LBB44_2461
; %bb.413:
	s_or_saveexec_b64 s[6:7], s[6:7]
	v_mov_b32_e32 v6, s10
	s_xor_b64 exec, exec, s[6:7]
	s_cbranch_execnz .LBB44_2464
.LBB44_414:
	s_or_b64 exec, exec, s[6:7]
	s_and_saveexec_b64 s[6:7], s[4:5]
	s_cbranch_execz .LBB44_416
.LBB44_415:
	v_bfe_u32 v6, v2, 24, 3
	v_ffbh_u32_e32 v14, v6
	v_min_u32_e32 v14, 32, v14
	v_lshrrev_b32_e32 v12, 27, v2
	v_subrev_u32_e32 v15, 28, v14
	v_and_b32_e32 v11, 0x80000000, v2
	v_and_b32_e32 v12, 15, v12
	v_bfe_u32 v13, v2, 27, 4
	v_lshlrev_b32_sdwa v2, v15, v2 dst_sel:DWORD dst_unused:UNUSED_PAD src0_sel:DWORD src1_sel:BYTE_3
	v_sub_u32_e32 v14, 29, v14
	v_and_b32_e32 v2, 7, v2
	v_cmp_eq_u16_e32 vcc, 0, v12
	v_cndmask_b32_e32 v2, v6, v2, vcc
	v_cndmask_b32_e32 v6, v13, v14, vcc
	v_mov_b32_e32 v12, 0x3b800000
	v_lshlrev_b32_e32 v2, 20, v2
	v_lshl_add_u32 v6, v6, 23, v12
	v_or3_b32 v6, v11, v6, v2
.LBB44_416:
	s_or_b64 exec, exec, s[6:7]
	s_nop 0
	v_mfma_f32_16x16x4f32 a[0:3], v10, v6, a[0:3]
	s_movk_i32 s4, 0x7f
	v_cmp_gt_i16_sdwa s[6:7], v7, s4 src0_sel:BYTE_0 src1_sel:DWORD
	s_mov_b64 s[4:5], 0
                                        ; implicit-def: $sgpr10
	s_and_saveexec_b64 s[8:9], s[6:7]
	s_xor_b64 s[6:7], exec, s[8:9]
	s_cbranch_execnz .LBB44_2465
; %bb.417:
	s_or_saveexec_b64 s[6:7], s[6:7]
	v_mov_b32_e32 v2, s10
	s_xor_b64 exec, exec, s[6:7]
	s_cbranch_execnz .LBB44_2468
.LBB44_418:
	s_or_b64 exec, exec, s[6:7]
	s_and_saveexec_b64 s[6:7], s[4:5]
	s_cbranch_execz .LBB44_420
.LBB44_419:
	v_and_b32_e32 v2, 7, v7
	v_ffbh_u32_e32 v10, v2
	v_min_u32_e32 v10, 32, v10
	v_lshrrev_b16_e32 v6, 3, v7
	v_subrev_u32_e32 v11, 28, v10
	v_and_b32_e32 v6, 15, v6
	v_lshlrev_b32_e32 v11, v11, v7
	v_sub_u32_e32 v10, 29, v10
	v_and_b32_e32 v11, 7, v11
	v_cmp_eq_u16_e32 vcc, 0, v6
	v_cndmask_b32_e32 v2, v2, v11, vcc
	v_cndmask_b32_e32 v6, v6, v10, vcc
	v_lshlrev_b32_e32 v10, 24, v7
	v_mov_b32_e32 v11, 0x3b800000
	v_lshlrev_b32_e32 v2, 20, v2
	v_and_b32_e32 v10, 0x80000000, v10
	v_lshl_add_u32 v6, v6, 23, v11
	v_or3_b32 v2, v10, v6, v2
.LBB44_420:
	s_or_b64 exec, exec, s[6:7]
	s_movk_i32 s4, 0x7f
	v_cmp_gt_i16_sdwa s[6:7], v3, s4 src0_sel:BYTE_0 src1_sel:DWORD
	s_mov_b64 s[4:5], 0
                                        ; implicit-def: $sgpr10
	s_and_saveexec_b64 s[8:9], s[6:7]
	s_xor_b64 s[6:7], exec, s[8:9]
	s_cbranch_execnz .LBB44_2469
; %bb.421:
	s_or_saveexec_b64 s[6:7], s[6:7]
	v_mov_b32_e32 v6, s10
	s_xor_b64 exec, exec, s[6:7]
	s_cbranch_execnz .LBB44_2472
.LBB44_422:
	s_or_b64 exec, exec, s[6:7]
	s_and_saveexec_b64 s[6:7], s[4:5]
	s_cbranch_execz .LBB44_424
.LBB44_423:
	v_and_b32_e32 v6, 7, v3
	v_ffbh_u32_e32 v11, v6
	v_min_u32_e32 v11, 32, v11
	v_lshrrev_b16_e32 v10, 3, v3
	v_subrev_u32_e32 v12, 28, v11
	v_and_b32_e32 v10, 15, v10
	v_lshlrev_b32_e32 v12, v12, v3
	v_sub_u32_e32 v11, 29, v11
	v_and_b32_e32 v12, 7, v12
	v_cmp_eq_u16_e32 vcc, 0, v10
	v_cndmask_b32_e32 v6, v6, v12, vcc
	v_cndmask_b32_e32 v10, v10, v11, vcc
	v_lshlrev_b32_e32 v11, 24, v3
	v_mov_b32_e32 v12, 0x3b800000
	v_lshlrev_b32_e32 v6, 20, v6
	v_and_b32_e32 v11, 0x80000000, v11
	v_lshl_add_u32 v10, v10, 23, v12
	v_or3_b32 v6, v11, v10, v6
.LBB44_424:
	s_or_b64 exec, exec, s[6:7]
	s_nop 0
	v_mfma_f32_16x16x4f32 a[0:3], v2, v6, a[0:3]
	v_lshrrev_b32_e32 v6, 8, v7
	s_movk_i32 s4, 0x7f
	v_cmp_gt_i16_sdwa s[6:7], v6, s4 src0_sel:BYTE_0 src1_sel:DWORD
	s_mov_b64 s[4:5], 0
                                        ; implicit-def: $sgpr10
	s_and_saveexec_b64 s[8:9], s[6:7]
	s_xor_b64 s[6:7], exec, s[8:9]
	s_cbranch_execnz .LBB44_2473
; %bb.425:
	s_or_saveexec_b64 s[6:7], s[6:7]
	v_mov_b32_e32 v2, s10
	s_xor_b64 exec, exec, s[6:7]
	s_cbranch_execnz .LBB44_2476
.LBB44_426:
	s_or_b64 exec, exec, s[6:7]
	s_and_saveexec_b64 s[6:7], s[4:5]
	s_cbranch_execz .LBB44_428
.LBB44_427:
	v_bfe_u32 v2, v7, 8, 3
	v_ffbh_u32_e32 v11, v2
	v_min_u32_e32 v11, 32, v11
	v_lshrrev_b16_e32 v10, 3, v6
	v_subrev_u32_e32 v12, 28, v11
	v_and_b32_e32 v10, 15, v10
	v_lshlrev_b32_e32 v6, v12, v6
	v_sub_u32_e32 v11, 29, v11
	v_and_b32_e32 v6, 7, v6
	v_cmp_eq_u16_e32 vcc, 0, v10
	v_cndmask_b32_e32 v2, v2, v6, vcc
	v_cndmask_b32_e32 v6, v10, v11, vcc
	v_lshlrev_b32_e32 v10, 16, v7
	v_mov_b32_e32 v11, 0x3b800000
	v_lshlrev_b32_e32 v2, 20, v2
	v_and_b32_e32 v10, 0x80000000, v10
	v_lshl_add_u32 v6, v6, 23, v11
	v_or3_b32 v2, v10, v6, v2
.LBB44_428:
	s_or_b64 exec, exec, s[6:7]
	v_lshrrev_b32_e32 v6, 8, v3
	s_movk_i32 s4, 0x7f
	v_cmp_gt_i16_sdwa s[6:7], v6, s4 src0_sel:BYTE_0 src1_sel:DWORD
	s_mov_b64 s[4:5], 0
                                        ; implicit-def: $sgpr10
	s_and_saveexec_b64 s[8:9], s[6:7]
	s_xor_b64 s[6:7], exec, s[8:9]
	s_cbranch_execnz .LBB44_2477
; %bb.429:
	s_or_saveexec_b64 s[6:7], s[6:7]
	v_mov_b32_e32 v10, s10
	s_xor_b64 exec, exec, s[6:7]
	s_cbranch_execnz .LBB44_2480
.LBB44_430:
	s_or_b64 exec, exec, s[6:7]
	s_and_saveexec_b64 s[6:7], s[4:5]
	s_cbranch_execz .LBB44_432
.LBB44_431:
	v_bfe_u32 v10, v3, 8, 3
	v_ffbh_u32_e32 v12, v10
	v_min_u32_e32 v12, 32, v12
	v_lshrrev_b16_e32 v11, 3, v6
	v_subrev_u32_e32 v13, 28, v12
	v_and_b32_e32 v11, 15, v11
	v_lshlrev_b32_e32 v6, v13, v6
	v_sub_u32_e32 v12, 29, v12
	v_and_b32_e32 v6, 7, v6
	v_cmp_eq_u16_e32 vcc, 0, v11
	v_cndmask_b32_e32 v6, v10, v6, vcc
	v_cndmask_b32_e32 v10, v11, v12, vcc
	v_lshlrev_b32_e32 v11, 16, v3
	v_mov_b32_e32 v12, 0x3b800000
	v_lshlrev_b32_e32 v6, 20, v6
	v_and_b32_e32 v11, 0x80000000, v11
	v_lshl_add_u32 v10, v10, 23, v12
	v_or3_b32 v10, v11, v10, v6
.LBB44_432:
	s_or_b64 exec, exec, s[6:7]
	s_nop 0
	v_mfma_f32_16x16x4f32 a[0:3], v2, v10, a[0:3]
	s_movk_i32 s4, 0xff
	v_and_b32_sdwa v6, v7, s4 dst_sel:DWORD dst_unused:UNUSED_PAD src0_sel:WORD_1 src1_sel:DWORD
	s_movk_i32 s4, 0x7f
	v_cmp_lt_i16_e32 vcc, s4, v6
	s_mov_b64 s[4:5], 0
                                        ; implicit-def: $sgpr10
	s_and_saveexec_b64 s[6:7], vcc
	s_xor_b64 s[6:7], exec, s[6:7]
	s_cbranch_execnz .LBB44_2481
; %bb.433:
	s_or_saveexec_b64 s[6:7], s[6:7]
	v_mov_b32_e32 v2, s10
	s_xor_b64 exec, exec, s[6:7]
	s_cbranch_execnz .LBB44_2484
.LBB44_434:
	s_or_b64 exec, exec, s[6:7]
	s_and_saveexec_b64 s[6:7], s[4:5]
	s_cbranch_execz .LBB44_436
.LBB44_435:
	v_bfe_u32 v2, v7, 16, 3
	v_ffbh_u32_e32 v11, v2
	v_min_u32_e32 v11, 32, v11
	v_lshrrev_b32_e32 v6, 19, v7
	v_subrev_u32_e32 v12, 28, v11
	v_and_b32_e32 v6, 15, v6
	v_lshlrev_b32_sdwa v12, v12, v7 dst_sel:DWORD dst_unused:UNUSED_PAD src0_sel:DWORD src1_sel:WORD_1
	v_bfe_u32 v10, v7, 19, 4
	v_sub_u32_e32 v11, 29, v11
	v_and_b32_e32 v12, 7, v12
	v_cmp_eq_u16_e32 vcc, 0, v6
	v_cndmask_b32_e32 v2, v2, v12, vcc
	v_cndmask_b32_e32 v6, v10, v11, vcc
	v_lshlrev_b32_e32 v10, 8, v7
	v_mov_b32_e32 v11, 0x3b800000
	v_lshlrev_b32_e32 v2, 20, v2
	v_and_b32_e32 v10, 0x80000000, v10
	v_lshl_add_u32 v6, v6, 23, v11
	v_or3_b32 v2, v10, v6, v2
.LBB44_436:
	s_or_b64 exec, exec, s[6:7]
	s_movk_i32 s4, 0xff
	v_and_b32_sdwa v6, v3, s4 dst_sel:DWORD dst_unused:UNUSED_PAD src0_sel:WORD_1 src1_sel:DWORD
	s_movk_i32 s4, 0x7f
	v_cmp_lt_i16_e32 vcc, s4, v6
	s_mov_b64 s[4:5], 0
                                        ; implicit-def: $sgpr10
	s_and_saveexec_b64 s[6:7], vcc
	s_xor_b64 s[6:7], exec, s[6:7]
	s_cbranch_execnz .LBB44_2485
; %bb.437:
	s_or_saveexec_b64 s[6:7], s[6:7]
	v_mov_b32_e32 v10, s10
	s_xor_b64 exec, exec, s[6:7]
	s_cbranch_execnz .LBB44_2488
.LBB44_438:
	s_or_b64 exec, exec, s[6:7]
	s_and_saveexec_b64 s[6:7], s[4:5]
	s_cbranch_execz .LBB44_440
.LBB44_439:
	v_bfe_u32 v6, v3, 16, 3
	v_ffbh_u32_e32 v12, v6
	v_min_u32_e32 v12, 32, v12
	v_lshrrev_b32_e32 v10, 19, v3
	v_subrev_u32_e32 v13, 28, v12
	v_and_b32_e32 v10, 15, v10
	v_lshlrev_b32_sdwa v13, v13, v3 dst_sel:DWORD dst_unused:UNUSED_PAD src0_sel:DWORD src1_sel:WORD_1
	v_bfe_u32 v11, v3, 19, 4
	v_sub_u32_e32 v12, 29, v12
	v_and_b32_e32 v13, 7, v13
	v_cmp_eq_u16_e32 vcc, 0, v10
	v_cndmask_b32_e32 v6, v6, v13, vcc
	v_cndmask_b32_e32 v10, v11, v12, vcc
	v_lshlrev_b32_e32 v11, 8, v3
	v_mov_b32_e32 v12, 0x3b800000
	v_lshlrev_b32_e32 v6, 20, v6
	v_and_b32_e32 v11, 0x80000000, v11
	v_lshl_add_u32 v10, v10, 23, v12
	v_or3_b32 v10, v11, v10, v6
.LBB44_440:
	s_or_b64 exec, exec, s[6:7]
	s_nop 0
	v_mfma_f32_16x16x4f32 a[0:3], v2, v10, a[0:3]
	s_movk_i32 s4, 0x7f
	v_cmp_gt_i16_sdwa s[6:7], v7, s4 src0_sel:BYTE_3 src1_sel:DWORD
	s_mov_b64 s[4:5], 0
                                        ; implicit-def: $sgpr10
	s_and_saveexec_b64 s[8:9], s[6:7]
	s_xor_b64 s[6:7], exec, s[8:9]
	s_cbranch_execnz .LBB44_2489
; %bb.441:
	s_or_saveexec_b64 s[6:7], s[6:7]
	v_mov_b32_e32 v2, s10
	s_xor_b64 exec, exec, s[6:7]
	s_cbranch_execnz .LBB44_2492
.LBB44_442:
	s_or_b64 exec, exec, s[6:7]
	s_and_saveexec_b64 s[6:7], s[4:5]
	s_cbranch_execz .LBB44_444
.LBB44_443:
	v_bfe_u32 v2, v7, 24, 3
	v_ffbh_u32_e32 v12, v2
	v_min_u32_e32 v12, 32, v12
	v_lshrrev_b32_e32 v10, 27, v7
	v_subrev_u32_e32 v13, 28, v12
	v_and_b32_e32 v6, 0x80000000, v7
	v_and_b32_e32 v10, 15, v10
	v_bfe_u32 v11, v7, 27, 4
	v_lshlrev_b32_sdwa v7, v13, v7 dst_sel:DWORD dst_unused:UNUSED_PAD src0_sel:DWORD src1_sel:BYTE_3
	v_sub_u32_e32 v12, 29, v12
	v_and_b32_e32 v7, 7, v7
	v_cmp_eq_u16_e32 vcc, 0, v10
	v_cndmask_b32_e32 v2, v2, v7, vcc
	v_cndmask_b32_e32 v7, v11, v12, vcc
	v_mov_b32_e32 v10, 0x3b800000
	v_lshlrev_b32_e32 v2, 20, v2
	v_lshl_add_u32 v7, v7, 23, v10
	v_or3_b32 v2, v6, v7, v2
.LBB44_444:
	s_or_b64 exec, exec, s[6:7]
	s_movk_i32 s4, 0x7f
	v_cmp_gt_i16_sdwa s[6:7], v3, s4 src0_sel:BYTE_3 src1_sel:DWORD
	s_mov_b64 s[4:5], 0
                                        ; implicit-def: $sgpr10
	s_and_saveexec_b64 s[8:9], s[6:7]
	s_xor_b64 s[6:7], exec, s[8:9]
	s_cbranch_execnz .LBB44_2493
; %bb.445:
	s_or_saveexec_b64 s[6:7], s[6:7]
	v_mov_b32_e32 v6, s10
	s_xor_b64 exec, exec, s[6:7]
	s_cbranch_execnz .LBB44_2496
.LBB44_446:
	s_or_b64 exec, exec, s[6:7]
	s_and_saveexec_b64 s[6:7], s[4:5]
	s_cbranch_execz .LBB44_448
.LBB44_447:
	v_bfe_u32 v6, v3, 24, 3
	v_ffbh_u32_e32 v12, v6
	v_min_u32_e32 v12, 32, v12
	v_lshrrev_b32_e32 v10, 27, v3
	v_subrev_u32_e32 v13, 28, v12
	v_and_b32_e32 v7, 0x80000000, v3
	v_and_b32_e32 v10, 15, v10
	v_bfe_u32 v11, v3, 27, 4
	v_lshlrev_b32_sdwa v3, v13, v3 dst_sel:DWORD dst_unused:UNUSED_PAD src0_sel:DWORD src1_sel:BYTE_3
	v_sub_u32_e32 v12, 29, v12
	v_and_b32_e32 v3, 7, v3
	v_cmp_eq_u16_e32 vcc, 0, v10
	v_cndmask_b32_e32 v3, v6, v3, vcc
	v_cndmask_b32_e32 v6, v11, v12, vcc
	v_mov_b32_e32 v10, 0x3b800000
	v_lshlrev_b32_e32 v3, 20, v3
	v_lshl_add_u32 v6, v6, 23, v10
	v_or3_b32 v6, v7, v6, v3
.LBB44_448:
	s_or_b64 exec, exec, s[6:7]
	s_nop 0
	v_mfma_f32_16x16x4f32 a[0:3], v2, v6, a[0:3]
	s_movk_i32 s4, 0x7f
	v_cmp_gt_i16_sdwa s[6:7], v8, s4 src0_sel:BYTE_0 src1_sel:DWORD
	s_mov_b64 s[4:5], 0
                                        ; implicit-def: $sgpr10
	s_and_saveexec_b64 s[8:9], s[6:7]
	s_xor_b64 s[6:7], exec, s[8:9]
	s_cbranch_execnz .LBB44_2497
; %bb.449:
	s_or_saveexec_b64 s[6:7], s[6:7]
	v_mov_b32_e32 v2, s10
	s_xor_b64 exec, exec, s[6:7]
	s_cbranch_execnz .LBB44_2500
.LBB44_450:
	s_or_b64 exec, exec, s[6:7]
	s_and_saveexec_b64 s[6:7], s[4:5]
	s_cbranch_execz .LBB44_452
.LBB44_451:
	v_and_b32_e32 v2, 7, v8
	v_ffbh_u32_e32 v6, v2
	v_min_u32_e32 v6, 32, v6
	v_lshrrev_b16_e32 v3, 3, v8
	v_subrev_u32_e32 v7, 28, v6
	v_and_b32_e32 v3, 15, v3
	v_lshlrev_b32_e32 v7, v7, v8
	v_sub_u32_e32 v6, 29, v6
	v_and_b32_e32 v7, 7, v7
	v_cmp_eq_u16_e32 vcc, 0, v3
	v_cndmask_b32_e32 v2, v2, v7, vcc
	v_cndmask_b32_e32 v3, v3, v6, vcc
	v_lshlrev_b32_e32 v6, 24, v8
	v_mov_b32_e32 v7, 0x3b800000
	v_lshlrev_b32_e32 v2, 20, v2
	v_and_b32_e32 v6, 0x80000000, v6
	v_lshl_add_u32 v3, v3, 23, v7
	v_or3_b32 v2, v6, v3, v2
.LBB44_452:
	s_or_b64 exec, exec, s[6:7]
	s_movk_i32 s4, 0x7f
	v_cmp_gt_i16_sdwa s[6:7], v4, s4 src0_sel:BYTE_0 src1_sel:DWORD
	s_mov_b64 s[4:5], 0
                                        ; implicit-def: $sgpr10
	s_and_saveexec_b64 s[8:9], s[6:7]
	s_xor_b64 s[6:7], exec, s[8:9]
	s_cbranch_execnz .LBB44_2501
; %bb.453:
	s_or_saveexec_b64 s[6:7], s[6:7]
	v_mov_b32_e32 v3, s10
	s_xor_b64 exec, exec, s[6:7]
	s_cbranch_execnz .LBB44_2504
.LBB44_454:
	s_or_b64 exec, exec, s[6:7]
	s_and_saveexec_b64 s[6:7], s[4:5]
	s_cbranch_execz .LBB44_456
.LBB44_455:
	v_and_b32_e32 v3, 7, v4
	v_ffbh_u32_e32 v7, v3
	v_min_u32_e32 v7, 32, v7
	v_lshrrev_b16_e32 v6, 3, v4
	v_subrev_u32_e32 v10, 28, v7
	v_and_b32_e32 v6, 15, v6
	v_lshlrev_b32_e32 v10, v10, v4
	v_sub_u32_e32 v7, 29, v7
	v_and_b32_e32 v10, 7, v10
	v_cmp_eq_u16_e32 vcc, 0, v6
	v_cndmask_b32_e32 v3, v3, v10, vcc
	v_cndmask_b32_e32 v6, v6, v7, vcc
	v_lshlrev_b32_e32 v7, 24, v4
	v_mov_b32_e32 v10, 0x3b800000
	v_lshlrev_b32_e32 v3, 20, v3
	v_and_b32_e32 v7, 0x80000000, v7
	v_lshl_add_u32 v6, v6, 23, v10
	v_or3_b32 v3, v7, v6, v3
.LBB44_456:
	s_or_b64 exec, exec, s[6:7]
	s_nop 0
	v_mfma_f32_16x16x4f32 a[0:3], v2, v3, a[0:3]
	v_lshrrev_b32_e32 v3, 8, v8
	s_movk_i32 s4, 0x7f
	v_cmp_gt_i16_sdwa s[6:7], v3, s4 src0_sel:BYTE_0 src1_sel:DWORD
	s_mov_b64 s[4:5], 0
                                        ; implicit-def: $sgpr10
	s_and_saveexec_b64 s[8:9], s[6:7]
	s_xor_b64 s[6:7], exec, s[8:9]
	s_cbranch_execnz .LBB44_2505
; %bb.457:
	s_or_saveexec_b64 s[6:7], s[6:7]
	v_mov_b32_e32 v2, s10
	s_xor_b64 exec, exec, s[6:7]
	s_cbranch_execnz .LBB44_2508
.LBB44_458:
	s_or_b64 exec, exec, s[6:7]
	s_and_saveexec_b64 s[6:7], s[4:5]
	s_cbranch_execz .LBB44_460
.LBB44_459:
	v_bfe_u32 v2, v8, 8, 3
	v_ffbh_u32_e32 v7, v2
	v_min_u32_e32 v7, 32, v7
	v_lshrrev_b16_e32 v6, 3, v3
	v_subrev_u32_e32 v10, 28, v7
	v_and_b32_e32 v6, 15, v6
	v_lshlrev_b32_e32 v3, v10, v3
	v_sub_u32_e32 v7, 29, v7
	v_and_b32_e32 v3, 7, v3
	v_cmp_eq_u16_e32 vcc, 0, v6
	v_cndmask_b32_e32 v2, v2, v3, vcc
	v_cndmask_b32_e32 v3, v6, v7, vcc
	v_lshlrev_b32_e32 v6, 16, v8
	v_mov_b32_e32 v7, 0x3b800000
	v_lshlrev_b32_e32 v2, 20, v2
	v_and_b32_e32 v6, 0x80000000, v6
	v_lshl_add_u32 v3, v3, 23, v7
	v_or3_b32 v2, v6, v3, v2
.LBB44_460:
	s_or_b64 exec, exec, s[6:7]
	v_lshrrev_b32_e32 v3, 8, v4
	s_movk_i32 s4, 0x7f
	v_cmp_gt_i16_sdwa s[6:7], v3, s4 src0_sel:BYTE_0 src1_sel:DWORD
	s_mov_b64 s[4:5], 0
                                        ; implicit-def: $sgpr10
	s_and_saveexec_b64 s[8:9], s[6:7]
	s_xor_b64 s[6:7], exec, s[8:9]
	s_cbranch_execnz .LBB44_2509
; %bb.461:
	s_or_saveexec_b64 s[6:7], s[6:7]
	v_mov_b32_e32 v6, s10
	s_xor_b64 exec, exec, s[6:7]
	s_cbranch_execnz .LBB44_2512
.LBB44_462:
	s_or_b64 exec, exec, s[6:7]
	s_and_saveexec_b64 s[6:7], s[4:5]
	s_cbranch_execz .LBB44_464
.LBB44_463:
	v_bfe_u32 v6, v4, 8, 3
	v_ffbh_u32_e32 v10, v6
	v_min_u32_e32 v10, 32, v10
	v_lshrrev_b16_e32 v7, 3, v3
	v_subrev_u32_e32 v11, 28, v10
	v_and_b32_e32 v7, 15, v7
	v_lshlrev_b32_e32 v3, v11, v3
	v_sub_u32_e32 v10, 29, v10
	v_and_b32_e32 v3, 7, v3
	v_cmp_eq_u16_e32 vcc, 0, v7
	v_cndmask_b32_e32 v3, v6, v3, vcc
	v_cndmask_b32_e32 v6, v7, v10, vcc
	v_lshlrev_b32_e32 v7, 16, v4
	v_mov_b32_e32 v10, 0x3b800000
	v_lshlrev_b32_e32 v3, 20, v3
	v_and_b32_e32 v7, 0x80000000, v7
	v_lshl_add_u32 v6, v6, 23, v10
	v_or3_b32 v6, v7, v6, v3
.LBB44_464:
	s_or_b64 exec, exec, s[6:7]
	s_nop 0
	v_mfma_f32_16x16x4f32 a[0:3], v2, v6, a[0:3]
	s_movk_i32 s4, 0xff
	v_and_b32_sdwa v3, v8, s4 dst_sel:DWORD dst_unused:UNUSED_PAD src0_sel:WORD_1 src1_sel:DWORD
	s_movk_i32 s4, 0x7f
	v_cmp_lt_i16_e32 vcc, s4, v3
	s_mov_b64 s[4:5], 0
                                        ; implicit-def: $sgpr10
	s_and_saveexec_b64 s[6:7], vcc
	s_xor_b64 s[6:7], exec, s[6:7]
	s_cbranch_execnz .LBB44_2513
; %bb.465:
	s_or_saveexec_b64 s[6:7], s[6:7]
	v_mov_b32_e32 v2, s10
	s_xor_b64 exec, exec, s[6:7]
	s_cbranch_execnz .LBB44_2516
.LBB44_466:
	s_or_b64 exec, exec, s[6:7]
	s_and_saveexec_b64 s[6:7], s[4:5]
	s_cbranch_execz .LBB44_468
.LBB44_467:
	v_bfe_u32 v2, v8, 16, 3
	v_ffbh_u32_e32 v7, v2
	v_min_u32_e32 v7, 32, v7
	v_lshrrev_b32_e32 v3, 19, v8
	v_subrev_u32_e32 v10, 28, v7
	v_and_b32_e32 v3, 15, v3
	v_lshlrev_b32_sdwa v10, v10, v8 dst_sel:DWORD dst_unused:UNUSED_PAD src0_sel:DWORD src1_sel:WORD_1
	v_bfe_u32 v6, v8, 19, 4
	v_sub_u32_e32 v7, 29, v7
	v_and_b32_e32 v10, 7, v10
	v_cmp_eq_u16_e32 vcc, 0, v3
	v_cndmask_b32_e32 v2, v2, v10, vcc
	v_cndmask_b32_e32 v3, v6, v7, vcc
	v_lshlrev_b32_e32 v6, 8, v8
	v_mov_b32_e32 v7, 0x3b800000
	v_lshlrev_b32_e32 v2, 20, v2
	v_and_b32_e32 v6, 0x80000000, v6
	v_lshl_add_u32 v3, v3, 23, v7
	v_or3_b32 v2, v6, v3, v2
.LBB44_468:
	s_or_b64 exec, exec, s[6:7]
	s_movk_i32 s4, 0xff
	v_and_b32_sdwa v3, v4, s4 dst_sel:DWORD dst_unused:UNUSED_PAD src0_sel:WORD_1 src1_sel:DWORD
	s_movk_i32 s4, 0x7f
	v_cmp_lt_i16_e32 vcc, s4, v3
	s_mov_b64 s[4:5], 0
                                        ; implicit-def: $sgpr10
	s_and_saveexec_b64 s[6:7], vcc
	s_xor_b64 s[6:7], exec, s[6:7]
	s_cbranch_execnz .LBB44_2517
; %bb.469:
	s_or_saveexec_b64 s[6:7], s[6:7]
	v_mov_b32_e32 v6, s10
	s_xor_b64 exec, exec, s[6:7]
	s_cbranch_execnz .LBB44_2520
.LBB44_470:
	s_or_b64 exec, exec, s[6:7]
	s_and_saveexec_b64 s[6:7], s[4:5]
	s_cbranch_execz .LBB44_472
.LBB44_471:
	v_bfe_u32 v3, v4, 16, 3
	v_ffbh_u32_e32 v10, v3
	v_min_u32_e32 v10, 32, v10
	v_lshrrev_b32_e32 v6, 19, v4
	v_subrev_u32_e32 v11, 28, v10
	v_and_b32_e32 v6, 15, v6
	v_lshlrev_b32_sdwa v11, v11, v4 dst_sel:DWORD dst_unused:UNUSED_PAD src0_sel:DWORD src1_sel:WORD_1
	v_bfe_u32 v7, v4, 19, 4
	v_sub_u32_e32 v10, 29, v10
	v_and_b32_e32 v11, 7, v11
	v_cmp_eq_u16_e32 vcc, 0, v6
	v_cndmask_b32_e32 v3, v3, v11, vcc
	v_cndmask_b32_e32 v6, v7, v10, vcc
	v_lshlrev_b32_e32 v7, 8, v4
	v_mov_b32_e32 v10, 0x3b800000
	v_lshlrev_b32_e32 v3, 20, v3
	v_and_b32_e32 v7, 0x80000000, v7
	v_lshl_add_u32 v6, v6, 23, v10
	v_or3_b32 v6, v7, v6, v3
.LBB44_472:
	s_or_b64 exec, exec, s[6:7]
	s_nop 0
	v_mfma_f32_16x16x4f32 a[0:3], v2, v6, a[0:3]
	s_movk_i32 s4, 0x7f
	v_cmp_gt_i16_sdwa s[6:7], v8, s4 src0_sel:BYTE_3 src1_sel:DWORD
	s_mov_b64 s[4:5], 0
                                        ; implicit-def: $sgpr10
	s_and_saveexec_b64 s[8:9], s[6:7]
	s_xor_b64 s[6:7], exec, s[8:9]
	s_cbranch_execnz .LBB44_2521
; %bb.473:
	s_or_saveexec_b64 s[6:7], s[6:7]
	v_mov_b32_e32 v2, s10
	s_xor_b64 exec, exec, s[6:7]
	s_cbranch_execnz .LBB44_2524
.LBB44_474:
	s_or_b64 exec, exec, s[6:7]
	s_and_saveexec_b64 s[6:7], s[4:5]
	s_cbranch_execz .LBB44_476
.LBB44_475:
	v_bfe_u32 v2, v8, 24, 3
	v_ffbh_u32_e32 v10, v2
	v_min_u32_e32 v10, 32, v10
	v_lshrrev_b32_e32 v6, 27, v8
	v_subrev_u32_e32 v11, 28, v10
	v_and_b32_e32 v3, 0x80000000, v8
	v_and_b32_e32 v6, 15, v6
	v_bfe_u32 v7, v8, 27, 4
	v_lshlrev_b32_sdwa v8, v11, v8 dst_sel:DWORD dst_unused:UNUSED_PAD src0_sel:DWORD src1_sel:BYTE_3
	v_sub_u32_e32 v10, 29, v10
	v_and_b32_e32 v8, 7, v8
	v_cmp_eq_u16_e32 vcc, 0, v6
	v_cndmask_b32_e32 v2, v2, v8, vcc
	v_cndmask_b32_e32 v6, v7, v10, vcc
	v_mov_b32_e32 v7, 0x3b800000
	v_lshlrev_b32_e32 v2, 20, v2
	v_lshl_add_u32 v6, v6, 23, v7
	v_or3_b32 v2, v3, v6, v2
.LBB44_476:
	s_or_b64 exec, exec, s[6:7]
	s_movk_i32 s4, 0x7f
	v_cmp_gt_i16_sdwa s[6:7], v4, s4 src0_sel:BYTE_3 src1_sel:DWORD
	s_mov_b64 s[4:5], 0
                                        ; implicit-def: $sgpr10
	s_and_saveexec_b64 s[8:9], s[6:7]
	s_xor_b64 s[6:7], exec, s[8:9]
	s_cbranch_execnz .LBB44_2525
; %bb.477:
	s_or_saveexec_b64 s[6:7], s[6:7]
	v_mov_b32_e32 v3, s10
	s_xor_b64 exec, exec, s[6:7]
	s_cbranch_execnz .LBB44_2528
.LBB44_478:
	s_or_b64 exec, exec, s[6:7]
	s_and_saveexec_b64 s[6:7], s[4:5]
	s_cbranch_execz .LBB44_480
.LBB44_479:
	v_bfe_u32 v3, v4, 24, 3
	v_ffbh_u32_e32 v10, v3
	v_min_u32_e32 v10, 32, v10
	v_lshrrev_b32_e32 v7, 27, v4
	v_subrev_u32_e32 v11, 28, v10
	v_and_b32_e32 v6, 0x80000000, v4
	v_and_b32_e32 v7, 15, v7
	v_bfe_u32 v8, v4, 27, 4
	v_lshlrev_b32_sdwa v4, v11, v4 dst_sel:DWORD dst_unused:UNUSED_PAD src0_sel:DWORD src1_sel:BYTE_3
	v_sub_u32_e32 v10, 29, v10
	v_and_b32_e32 v4, 7, v4
	v_cmp_eq_u16_e32 vcc, 0, v7
	v_cndmask_b32_e32 v3, v3, v4, vcc
	v_cndmask_b32_e32 v4, v8, v10, vcc
	v_mov_b32_e32 v7, 0x3b800000
	v_lshlrev_b32_e32 v3, 20, v3
	v_lshl_add_u32 v4, v4, 23, v7
	v_or3_b32 v3, v6, v4, v3
.LBB44_480:
	s_or_b64 exec, exec, s[6:7]
	s_nop 0
	v_mfma_f32_16x16x4f32 a[0:3], v2, v3, a[0:3]
	s_movk_i32 s4, 0x7f
	v_cmp_gt_i16_sdwa s[6:7], v9, s4 src0_sel:BYTE_0 src1_sel:DWORD
	s_mov_b64 s[4:5], 0
                                        ; implicit-def: $sgpr10
	s_and_saveexec_b64 s[8:9], s[6:7]
	s_xor_b64 s[6:7], exec, s[8:9]
	s_cbranch_execnz .LBB44_2529
; %bb.481:
	s_or_saveexec_b64 s[6:7], s[6:7]
	v_mov_b32_e32 v2, s10
	s_xor_b64 exec, exec, s[6:7]
	s_cbranch_execnz .LBB44_2532
.LBB44_482:
	s_or_b64 exec, exec, s[6:7]
	s_and_saveexec_b64 s[6:7], s[4:5]
	s_cbranch_execz .LBB44_484
.LBB44_483:
	v_mov_b32_e32 v2, 8
	v_and_b32_e32 v3, 7, v9
	v_lshrrev_b32_sdwa v2, v2, v9 dst_sel:BYTE_1 dst_unused:UNUSED_PAD src0_sel:DWORD src1_sel:DWORD
	v_ffbh_u32_e32 v4, v3
	v_or_b32_sdwa v2, v9, v2 dst_sel:DWORD dst_unused:UNUSED_PAD src0_sel:BYTE_0 src1_sel:DWORD
	v_min_u32_e32 v4, 32, v4
	v_lshrrev_b16_e32 v2, 3, v2
	v_subrev_u32_e32 v6, 28, v4
	v_and_b32_e32 v2, 15, v2
	v_lshlrev_b32_e32 v6, v6, v9
	v_sub_u32_e32 v4, 29, v4
	v_and_b32_e32 v6, 7, v6
	v_cmp_eq_u16_e32 vcc, 0, v2
	v_cndmask_b32_e32 v3, v3, v6, vcc
	v_cndmask_b32_e32 v2, v2, v4, vcc
	v_lshlrev_b32_e32 v4, 24, v9
	v_mov_b32_e32 v6, 0x3b800000
	v_lshlrev_b32_e32 v3, 20, v3
	v_and_b32_e32 v4, 0x80000000, v4
	v_lshl_add_u32 v2, v2, 23, v6
	v_or3_b32 v2, v4, v2, v3
.LBB44_484:
	s_or_b64 exec, exec, s[6:7]
	s_movk_i32 s4, 0x7f
	v_cmp_gt_i16_sdwa s[6:7], v5, s4 src0_sel:BYTE_0 src1_sel:DWORD
	s_mov_b64 s[4:5], 0
                                        ; implicit-def: $sgpr10
	s_and_saveexec_b64 s[8:9], s[6:7]
	s_xor_b64 s[6:7], exec, s[8:9]
	s_cbranch_execnz .LBB44_2533
; %bb.485:
	s_or_saveexec_b64 s[6:7], s[6:7]
	v_mov_b32_e32 v3, s10
	s_xor_b64 exec, exec, s[6:7]
	s_cbranch_execnz .LBB44_2536
.LBB44_486:
	s_or_b64 exec, exec, s[6:7]
	s_and_saveexec_b64 s[6:7], s[4:5]
	s_cbranch_execz .LBB44_488
.LBB44_487:
	v_mov_b32_e32 v3, 8
	v_and_b32_e32 v4, 7, v5
	v_lshrrev_b32_sdwa v3, v3, v5 dst_sel:BYTE_1 dst_unused:UNUSED_PAD src0_sel:DWORD src1_sel:DWORD
	v_ffbh_u32_e32 v6, v4
	v_or_b32_sdwa v3, v5, v3 dst_sel:DWORD dst_unused:UNUSED_PAD src0_sel:BYTE_0 src1_sel:DWORD
	v_min_u32_e32 v6, 32, v6
	v_lshrrev_b16_e32 v3, 3, v3
	v_subrev_u32_e32 v7, 28, v6
	v_and_b32_e32 v3, 15, v3
	v_lshlrev_b32_e32 v7, v7, v5
	v_sub_u32_e32 v6, 29, v6
	v_and_b32_e32 v7, 7, v7
	v_cmp_eq_u16_e32 vcc, 0, v3
	v_cndmask_b32_e32 v4, v4, v7, vcc
	v_cndmask_b32_e32 v3, v3, v6, vcc
	v_lshlrev_b32_e32 v6, 24, v5
	v_mov_b32_e32 v7, 0x3b800000
	v_lshlrev_b32_e32 v4, 20, v4
	v_and_b32_e32 v6, 0x80000000, v6
	v_lshl_add_u32 v3, v3, 23, v7
	v_or3_b32 v3, v6, v3, v4
.LBB44_488:
	s_or_b64 exec, exec, s[6:7]
	s_nop 0
	v_mfma_f32_16x16x4f32 a[0:3], v2, v3, a[0:3]
	v_lshrrev_b32_e32 v3, 8, v9
	s_movk_i32 s4, 0x7f
	v_cmp_gt_i16_sdwa s[6:7], v3, s4 src0_sel:BYTE_0 src1_sel:DWORD
	s_mov_b64 s[4:5], 0
                                        ; implicit-def: $sgpr10
	s_and_saveexec_b64 s[8:9], s[6:7]
	s_xor_b64 s[6:7], exec, s[8:9]
	s_cbranch_execnz .LBB44_2537
; %bb.489:
	s_or_saveexec_b64 s[6:7], s[6:7]
	v_mov_b32_e32 v2, s10
	s_xor_b64 exec, exec, s[6:7]
	s_cbranch_execnz .LBB44_2540
.LBB44_490:
	s_or_b64 exec, exec, s[6:7]
	s_and_saveexec_b64 s[6:7], s[4:5]
	s_cbranch_execz .LBB44_492
.LBB44_491:
	v_bfe_u32 v2, v9, 8, 3
	v_ffbh_u32_e32 v6, v2
	v_min_u32_e32 v6, 32, v6
	v_lshrrev_b16_e32 v4, 3, v3
	v_subrev_u32_e32 v7, 28, v6
	v_and_b32_e32 v4, 15, v4
	v_lshlrev_b32_e32 v3, v7, v3
	v_sub_u32_e32 v6, 29, v6
	v_and_b32_e32 v3, 7, v3
	v_cmp_eq_u16_e32 vcc, 0, v4
	v_cndmask_b32_e32 v2, v2, v3, vcc
	v_cndmask_b32_e32 v3, v4, v6, vcc
	v_lshlrev_b32_e32 v4, 16, v9
	v_mov_b32_e32 v6, 0x3b800000
	v_lshlrev_b32_e32 v2, 20, v2
	v_and_b32_e32 v4, 0x80000000, v4
	v_lshl_add_u32 v3, v3, 23, v6
	v_or3_b32 v2, v4, v3, v2
.LBB44_492:
	s_or_b64 exec, exec, s[6:7]
	v_lshrrev_b32_e32 v3, 8, v5
	s_movk_i32 s4, 0x7f
	v_cmp_gt_i16_sdwa s[6:7], v3, s4 src0_sel:BYTE_0 src1_sel:DWORD
	s_mov_b64 s[4:5], 0
                                        ; implicit-def: $sgpr10
	s_and_saveexec_b64 s[8:9], s[6:7]
	s_xor_b64 s[6:7], exec, s[8:9]
	s_cbranch_execnz .LBB44_2541
; %bb.493:
	s_or_saveexec_b64 s[6:7], s[6:7]
	v_mov_b32_e32 v4, s10
	s_xor_b64 exec, exec, s[6:7]
	s_cbranch_execnz .LBB44_2544
.LBB44_494:
	s_or_b64 exec, exec, s[6:7]
	s_and_saveexec_b64 s[6:7], s[4:5]
	s_cbranch_execz .LBB44_496
.LBB44_495:
	v_bfe_u32 v4, v5, 8, 3
	v_ffbh_u32_e32 v7, v4
	v_min_u32_e32 v7, 32, v7
	v_lshrrev_b16_e32 v6, 3, v3
	v_subrev_u32_e32 v8, 28, v7
	v_and_b32_e32 v6, 15, v6
	v_lshlrev_b32_e32 v3, v8, v3
	v_sub_u32_e32 v7, 29, v7
	v_and_b32_e32 v3, 7, v3
	v_cmp_eq_u16_e32 vcc, 0, v6
	v_cndmask_b32_e32 v3, v4, v3, vcc
	v_cndmask_b32_e32 v4, v6, v7, vcc
	v_lshlrev_b32_e32 v6, 16, v5
	v_mov_b32_e32 v7, 0x3b800000
	v_lshlrev_b32_e32 v3, 20, v3
	v_and_b32_e32 v6, 0x80000000, v6
	v_lshl_add_u32 v4, v4, 23, v7
	v_or3_b32 v4, v6, v4, v3
.LBB44_496:
	s_or_b64 exec, exec, s[6:7]
	s_nop 0
	v_mfma_f32_16x16x4f32 a[0:3], v2, v4, a[0:3]
	s_movk_i32 s4, 0xff
	v_and_b32_sdwa v3, v9, s4 dst_sel:DWORD dst_unused:UNUSED_PAD src0_sel:WORD_1 src1_sel:DWORD
	s_movk_i32 s4, 0x7f
	v_cmp_lt_i16_e32 vcc, s4, v3
	s_mov_b64 s[4:5], 0
                                        ; implicit-def: $sgpr10
	s_and_saveexec_b64 s[6:7], vcc
	s_xor_b64 s[6:7], exec, s[6:7]
	s_cbranch_execnz .LBB44_2545
; %bb.497:
	s_or_saveexec_b64 s[6:7], s[6:7]
	v_mov_b32_e32 v2, s10
	s_xor_b64 exec, exec, s[6:7]
	s_cbranch_execnz .LBB44_2548
.LBB44_498:
	s_or_b64 exec, exec, s[6:7]
	s_and_saveexec_b64 s[6:7], s[4:5]
	s_cbranch_execz .LBB44_500
.LBB44_499:
	v_bfe_u32 v2, v9, 16, 3
	v_ffbh_u32_e32 v6, v2
	v_min_u32_e32 v6, 32, v6
	v_lshrrev_b32_e32 v3, 19, v9
	v_subrev_u32_e32 v7, 28, v6
	v_and_b32_e32 v3, 15, v3
	v_lshlrev_b32_sdwa v7, v7, v9 dst_sel:DWORD dst_unused:UNUSED_PAD src0_sel:DWORD src1_sel:WORD_1
	v_bfe_u32 v4, v9, 19, 4
	v_sub_u32_e32 v6, 29, v6
	v_and_b32_e32 v7, 7, v7
	v_cmp_eq_u16_e32 vcc, 0, v3
	v_cndmask_b32_e32 v2, v2, v7, vcc
	v_cndmask_b32_e32 v3, v4, v6, vcc
	v_lshlrev_b32_e32 v4, 8, v9
	v_mov_b32_e32 v6, 0x3b800000
	v_lshlrev_b32_e32 v2, 20, v2
	v_and_b32_e32 v4, 0x80000000, v4
	v_lshl_add_u32 v3, v3, 23, v6
	v_or3_b32 v2, v4, v3, v2
.LBB44_500:
	s_or_b64 exec, exec, s[6:7]
	s_movk_i32 s4, 0xff
	v_and_b32_sdwa v3, v5, s4 dst_sel:DWORD dst_unused:UNUSED_PAD src0_sel:WORD_1 src1_sel:DWORD
	s_movk_i32 s4, 0x7f
	v_cmp_lt_i16_e32 vcc, s4, v3
	s_mov_b64 s[4:5], 0
                                        ; implicit-def: $sgpr10
	s_and_saveexec_b64 s[6:7], vcc
	s_xor_b64 s[6:7], exec, s[6:7]
	s_cbranch_execnz .LBB44_2549
; %bb.501:
	s_or_saveexec_b64 s[6:7], s[6:7]
	v_mov_b32_e32 v4, s10
	s_xor_b64 exec, exec, s[6:7]
	s_cbranch_execnz .LBB44_2552
.LBB44_502:
	s_or_b64 exec, exec, s[6:7]
	s_and_saveexec_b64 s[6:7], s[4:5]
	s_cbranch_execz .LBB44_504
.LBB44_503:
	v_bfe_u32 v3, v5, 16, 3
	v_ffbh_u32_e32 v7, v3
	v_min_u32_e32 v7, 32, v7
	v_lshrrev_b32_e32 v4, 19, v5
	v_subrev_u32_e32 v8, 28, v7
	v_and_b32_e32 v4, 15, v4
	v_lshlrev_b32_sdwa v8, v8, v5 dst_sel:DWORD dst_unused:UNUSED_PAD src0_sel:DWORD src1_sel:WORD_1
	v_bfe_u32 v6, v5, 19, 4
	v_sub_u32_e32 v7, 29, v7
	v_and_b32_e32 v8, 7, v8
	v_cmp_eq_u16_e32 vcc, 0, v4
	v_cndmask_b32_e32 v3, v3, v8, vcc
	v_cndmask_b32_e32 v4, v6, v7, vcc
	v_lshlrev_b32_e32 v6, 8, v5
	v_mov_b32_e32 v7, 0x3b800000
	v_lshlrev_b32_e32 v3, 20, v3
	v_and_b32_e32 v6, 0x80000000, v6
	v_lshl_add_u32 v4, v4, 23, v7
	v_or3_b32 v4, v6, v4, v3
.LBB44_504:
	s_or_b64 exec, exec, s[6:7]
	s_nop 0
	v_mfma_f32_16x16x4f32 a[0:3], v2, v4, a[0:3]
	s_movk_i32 s4, 0x7f
	v_cmp_gt_i16_sdwa s[6:7], v9, s4 src0_sel:BYTE_3 src1_sel:DWORD
	s_mov_b64 s[4:5], 0
                                        ; implicit-def: $sgpr10
	s_and_saveexec_b64 s[8:9], s[6:7]
	s_xor_b64 s[6:7], exec, s[8:9]
	s_cbranch_execnz .LBB44_2553
; %bb.505:
	s_or_saveexec_b64 s[6:7], s[6:7]
	v_mov_b32_e32 v2, s10
	s_xor_b64 exec, exec, s[6:7]
	s_cbranch_execnz .LBB44_2556
.LBB44_506:
	s_or_b64 exec, exec, s[6:7]
	s_and_saveexec_b64 s[6:7], s[4:5]
	s_cbranch_execz .LBB44_508
.LBB44_507:
	v_bfe_u32 v2, v9, 24, 3
	v_ffbh_u32_e32 v7, v2
	v_min_u32_e32 v7, 32, v7
	v_lshrrev_b32_e32 v4, 27, v9
	v_subrev_u32_e32 v8, 28, v7
	v_and_b32_e32 v4, 15, v4
	v_lshlrev_b32_sdwa v8, v8, v9 dst_sel:DWORD dst_unused:UNUSED_PAD src0_sel:DWORD src1_sel:BYTE_3
	v_bfe_u32 v6, v9, 27, 4
	v_sub_u32_e32 v7, 29, v7
	v_and_b32_e32 v8, 7, v8
	v_cmp_eq_u16_e32 vcc, 0, v4
	v_cndmask_b32_e32 v2, v2, v8, vcc
	v_cndmask_b32_e32 v4, v6, v7, vcc
	v_mov_b32_e32 v6, 0x3b800000
	v_and_b32_e32 v3, 0x80000000, v9
	v_lshlrev_b32_e32 v2, 20, v2
	v_lshl_add_u32 v4, v4, 23, v6
	v_or3_b32 v2, v3, v4, v2
.LBB44_508:
	s_or_b64 exec, exec, s[6:7]
	s_movk_i32 s4, 0x7f
	v_cmp_gt_i16_sdwa s[6:7], v5, s4 src0_sel:BYTE_3 src1_sel:DWORD
	s_mov_b64 s[4:5], 0
                                        ; implicit-def: $sgpr10
	s_and_saveexec_b64 s[8:9], s[6:7]
	s_xor_b64 s[6:7], exec, s[8:9]
	s_cbranch_execnz .LBB44_2557
; %bb.509:
	s_or_saveexec_b64 s[6:7], s[6:7]
	v_mov_b32_e32 v3, s10
	s_xor_b64 exec, exec, s[6:7]
	s_cbranch_execnz .LBB44_2560
.LBB44_510:
	s_or_b64 exec, exec, s[6:7]
	s_and_saveexec_b64 s[6:7], s[4:5]
	s_cbranch_execz .LBB44_512
.LBB44_511:
	v_bfe_u32 v3, v5, 24, 3
	v_ffbh_u32_e32 v8, v3
	v_min_u32_e32 v8, 32, v8
	v_lshrrev_b32_e32 v6, 27, v5
	v_subrev_u32_e32 v9, 28, v8
	v_and_b32_e32 v4, 0x80000000, v5
	v_and_b32_e32 v6, 15, v6
	v_bfe_u32 v7, v5, 27, 4
	v_lshlrev_b32_sdwa v5, v9, v5 dst_sel:DWORD dst_unused:UNUSED_PAD src0_sel:DWORD src1_sel:BYTE_3
	v_sub_u32_e32 v8, 29, v8
	v_and_b32_e32 v5, 7, v5
	v_cmp_eq_u16_e32 vcc, 0, v6
	v_cndmask_b32_e32 v3, v3, v5, vcc
	v_cndmask_b32_e32 v5, v7, v8, vcc
	v_mov_b32_e32 v6, 0x3b800000
	v_lshlrev_b32_e32 v3, 20, v3
	v_lshl_add_u32 v5, v5, 23, v6
	v_or3_b32 v3, v4, v5, v3
.LBB44_512:
	s_or_b64 exec, exec, s[6:7]
	s_nop 0
	v_mfma_f32_16x16x4f32 a[0:3], v2, v3, a[0:3]
	s_movk_i32 s4, 0x7f
                                        ; implicit-def: $sgpr10
	s_nop 7
	s_nop 1
	flat_store_dwordx4 v[18:19], a[0:3] offset:16
	flat_load_dwordx4 v[20:23], v[0:1] offset:8
	s_nop 0
	flat_load_dwordx2 v[18:19], v[0:1] offset:24
	s_waitcnt vmcnt(0) lgkmcnt(0)
	flat_load_dwordx4 v[14:17], v[20:21]
	flat_load_dwordx4 v[6:9], v[20:21] offset:16
	flat_load_dwordx4 v[10:13], v[22:23] offset:64
	;; [unrolled: 1-line block ×3, first 2 shown]
	s_waitcnt vmcnt(0) lgkmcnt(0)
	v_cmp_gt_i16_sdwa s[6:7], v14, s4 src0_sel:BYTE_0 src1_sel:DWORD
	s_mov_b64 s[4:5], 0
	s_and_saveexec_b64 s[8:9], s[6:7]
	s_xor_b64 s[6:7], exec, s[8:9]
	s_cbranch_execnz .LBB44_2561
; %bb.513:
	s_or_saveexec_b64 s[6:7], s[6:7]
	v_mov_b32_e32 v20, s10
	s_xor_b64 exec, exec, s[6:7]
	s_cbranch_execnz .LBB44_2564
.LBB44_514:
	s_or_b64 exec, exec, s[6:7]
	s_and_saveexec_b64 s[6:7], s[4:5]
	s_cbranch_execz .LBB44_516
.LBB44_515:
	v_and_b32_e32 v20, 7, v14
	v_ffbh_u32_e32 v22, v20
	v_min_u32_e32 v22, 32, v22
	v_lshrrev_b16_e32 v21, 3, v14
	v_subrev_u32_e32 v23, 28, v22
	v_and_b32_e32 v21, 15, v21
	v_lshlrev_b32_e32 v23, v23, v14
	v_sub_u32_e32 v22, 29, v22
	v_and_b32_e32 v23, 7, v23
	v_cmp_eq_u16_e32 vcc, 0, v21
	v_cndmask_b32_e32 v20, v20, v23, vcc
	v_cndmask_b32_e32 v21, v21, v22, vcc
	v_lshlrev_b32_e32 v22, 24, v14
	v_mov_b32_e32 v23, 0x3b800000
	v_lshlrev_b32_e32 v20, 20, v20
	v_and_b32_e32 v22, 0x80000000, v22
	v_lshl_add_u32 v21, v21, 23, v23
	v_or3_b32 v20, v22, v21, v20
.LBB44_516:
	s_or_b64 exec, exec, s[6:7]
	s_movk_i32 s4, 0x7f
	v_cmp_gt_i16_sdwa s[6:7], v10, s4 src0_sel:BYTE_0 src1_sel:DWORD
	s_mov_b64 s[4:5], 0
                                        ; implicit-def: $sgpr10
	s_and_saveexec_b64 s[8:9], s[6:7]
	s_xor_b64 s[6:7], exec, s[8:9]
	s_cbranch_execnz .LBB44_2565
; %bb.517:
	s_or_saveexec_b64 s[6:7], s[6:7]
	v_mov_b32_e32 v21, s10
	s_xor_b64 exec, exec, s[6:7]
	s_cbranch_execnz .LBB44_2568
.LBB44_518:
	s_or_b64 exec, exec, s[6:7]
	s_and_saveexec_b64 s[6:7], s[4:5]
	s_cbranch_execz .LBB44_520
.LBB44_519:
	v_and_b32_e32 v21, 7, v10
	v_ffbh_u32_e32 v23, v21
	v_min_u32_e32 v23, 32, v23
	v_lshrrev_b16_e32 v22, 3, v10
	v_subrev_u32_e32 v24, 28, v23
	v_and_b32_e32 v22, 15, v22
	v_lshlrev_b32_e32 v24, v24, v10
	v_sub_u32_e32 v23, 29, v23
	v_and_b32_e32 v24, 7, v24
	v_cmp_eq_u16_e32 vcc, 0, v22
	v_cndmask_b32_e32 v21, v21, v24, vcc
	v_cndmask_b32_e32 v22, v22, v23, vcc
	v_lshlrev_b32_e32 v23, 24, v10
	v_mov_b32_e32 v24, 0x3b800000
	v_lshlrev_b32_e32 v21, 20, v21
	v_and_b32_e32 v23, 0x80000000, v23
	v_lshl_add_u32 v22, v22, 23, v24
	v_or3_b32 v21, v23, v22, v21
.LBB44_520:
	s_or_b64 exec, exec, s[6:7]
	flat_load_dwordx4 a[0:3], v[18:19] offset:32
	s_movk_i32 s4, 0x7f
                                        ; implicit-def: $sgpr10
	s_waitcnt vmcnt(0) lgkmcnt(0)
	v_mfma_f32_16x16x4f32 a[0:3], v20, v21, a[0:3]
	v_lshrrev_b32_e32 v21, 8, v14
	v_cmp_gt_i16_sdwa s[6:7], v21, s4 src0_sel:BYTE_0 src1_sel:DWORD
	s_mov_b64 s[4:5], 0
	s_and_saveexec_b64 s[8:9], s[6:7]
	s_xor_b64 s[6:7], exec, s[8:9]
	s_cbranch_execnz .LBB44_2569
; %bb.521:
	s_or_saveexec_b64 s[6:7], s[6:7]
	v_mov_b32_e32 v20, s10
	s_xor_b64 exec, exec, s[6:7]
	s_cbranch_execnz .LBB44_2572
.LBB44_522:
	s_or_b64 exec, exec, s[6:7]
	s_and_saveexec_b64 s[6:7], s[4:5]
	s_cbranch_execz .LBB44_524
.LBB44_523:
	v_bfe_u32 v20, v14, 8, 3
	v_ffbh_u32_e32 v23, v20
	v_min_u32_e32 v23, 32, v23
	v_lshrrev_b16_e32 v22, 3, v21
	v_subrev_u32_e32 v24, 28, v23
	v_and_b32_e32 v22, 15, v22
	v_lshlrev_b32_e32 v21, v24, v21
	v_sub_u32_e32 v23, 29, v23
	v_and_b32_e32 v21, 7, v21
	v_cmp_eq_u16_e32 vcc, 0, v22
	v_cndmask_b32_e32 v20, v20, v21, vcc
	v_cndmask_b32_e32 v21, v22, v23, vcc
	v_lshlrev_b32_e32 v22, 16, v14
	v_mov_b32_e32 v23, 0x3b800000
	v_lshlrev_b32_e32 v20, 20, v20
	v_and_b32_e32 v22, 0x80000000, v22
	v_lshl_add_u32 v21, v21, 23, v23
	v_or3_b32 v20, v22, v21, v20
.LBB44_524:
	s_or_b64 exec, exec, s[6:7]
	v_lshrrev_b32_e32 v21, 8, v10
	s_movk_i32 s4, 0x7f
	v_cmp_gt_i16_sdwa s[6:7], v21, s4 src0_sel:BYTE_0 src1_sel:DWORD
	s_mov_b64 s[4:5], 0
                                        ; implicit-def: $sgpr10
	s_and_saveexec_b64 s[8:9], s[6:7]
	s_xor_b64 s[6:7], exec, s[8:9]
	s_cbranch_execnz .LBB44_2573
; %bb.525:
	s_or_saveexec_b64 s[6:7], s[6:7]
	v_mov_b32_e32 v22, s10
	s_xor_b64 exec, exec, s[6:7]
	s_cbranch_execnz .LBB44_2576
.LBB44_526:
	s_or_b64 exec, exec, s[6:7]
	s_and_saveexec_b64 s[6:7], s[4:5]
	s_cbranch_execz .LBB44_528
.LBB44_527:
	v_bfe_u32 v22, v10, 8, 3
	v_ffbh_u32_e32 v24, v22
	v_min_u32_e32 v24, 32, v24
	v_lshrrev_b16_e32 v23, 3, v21
	v_subrev_u32_e32 v25, 28, v24
	v_and_b32_e32 v23, 15, v23
	v_lshlrev_b32_e32 v21, v25, v21
	v_sub_u32_e32 v24, 29, v24
	v_and_b32_e32 v21, 7, v21
	v_cmp_eq_u16_e32 vcc, 0, v23
	v_cndmask_b32_e32 v21, v22, v21, vcc
	v_cndmask_b32_e32 v22, v23, v24, vcc
	v_lshlrev_b32_e32 v23, 16, v10
	v_mov_b32_e32 v24, 0x3b800000
	v_lshlrev_b32_e32 v21, 20, v21
	v_and_b32_e32 v23, 0x80000000, v23
	v_lshl_add_u32 v22, v22, 23, v24
	v_or3_b32 v22, v23, v22, v21
.LBB44_528:
	s_or_b64 exec, exec, s[6:7]
	s_nop 0
	v_mfma_f32_16x16x4f32 a[0:3], v20, v22, a[0:3]
	s_movk_i32 s4, 0xff
	v_and_b32_sdwa v21, v14, s4 dst_sel:DWORD dst_unused:UNUSED_PAD src0_sel:WORD_1 src1_sel:DWORD
	s_movk_i32 s4, 0x7f
	v_cmp_lt_i16_e32 vcc, s4, v21
	s_mov_b64 s[4:5], 0
                                        ; implicit-def: $sgpr10
	s_and_saveexec_b64 s[6:7], vcc
	s_xor_b64 s[6:7], exec, s[6:7]
	s_cbranch_execnz .LBB44_2577
; %bb.529:
	s_or_saveexec_b64 s[6:7], s[6:7]
	v_mov_b32_e32 v20, s10
	s_xor_b64 exec, exec, s[6:7]
	s_cbranch_execnz .LBB44_2580
.LBB44_530:
	s_or_b64 exec, exec, s[6:7]
	s_and_saveexec_b64 s[6:7], s[4:5]
	s_cbranch_execz .LBB44_532
.LBB44_531:
	v_bfe_u32 v20, v14, 16, 3
	v_ffbh_u32_e32 v23, v20
	v_min_u32_e32 v23, 32, v23
	v_lshrrev_b32_e32 v21, 19, v14
	v_subrev_u32_e32 v24, 28, v23
	v_and_b32_e32 v21, 15, v21
	v_lshlrev_b32_sdwa v24, v24, v14 dst_sel:DWORD dst_unused:UNUSED_PAD src0_sel:DWORD src1_sel:WORD_1
	v_bfe_u32 v22, v14, 19, 4
	v_sub_u32_e32 v23, 29, v23
	v_and_b32_e32 v24, 7, v24
	v_cmp_eq_u16_e32 vcc, 0, v21
	v_cndmask_b32_e32 v20, v20, v24, vcc
	v_cndmask_b32_e32 v21, v22, v23, vcc
	v_lshlrev_b32_e32 v22, 8, v14
	v_mov_b32_e32 v23, 0x3b800000
	v_lshlrev_b32_e32 v20, 20, v20
	v_and_b32_e32 v22, 0x80000000, v22
	v_lshl_add_u32 v21, v21, 23, v23
	v_or3_b32 v20, v22, v21, v20
.LBB44_532:
	s_or_b64 exec, exec, s[6:7]
	s_movk_i32 s4, 0xff
	v_and_b32_sdwa v21, v10, s4 dst_sel:DWORD dst_unused:UNUSED_PAD src0_sel:WORD_1 src1_sel:DWORD
	s_movk_i32 s4, 0x7f
	v_cmp_lt_i16_e32 vcc, s4, v21
	s_mov_b64 s[4:5], 0
                                        ; implicit-def: $sgpr10
	s_and_saveexec_b64 s[6:7], vcc
	s_xor_b64 s[6:7], exec, s[6:7]
	s_cbranch_execnz .LBB44_2581
; %bb.533:
	s_or_saveexec_b64 s[6:7], s[6:7]
	v_mov_b32_e32 v22, s10
	s_xor_b64 exec, exec, s[6:7]
	s_cbranch_execnz .LBB44_2584
.LBB44_534:
	s_or_b64 exec, exec, s[6:7]
	s_and_saveexec_b64 s[6:7], s[4:5]
	s_cbranch_execz .LBB44_536
.LBB44_535:
	v_bfe_u32 v21, v10, 16, 3
	v_ffbh_u32_e32 v24, v21
	v_min_u32_e32 v24, 32, v24
	v_lshrrev_b32_e32 v22, 19, v10
	v_subrev_u32_e32 v25, 28, v24
	v_and_b32_e32 v22, 15, v22
	v_lshlrev_b32_sdwa v25, v25, v10 dst_sel:DWORD dst_unused:UNUSED_PAD src0_sel:DWORD src1_sel:WORD_1
	v_bfe_u32 v23, v10, 19, 4
	v_sub_u32_e32 v24, 29, v24
	v_and_b32_e32 v25, 7, v25
	v_cmp_eq_u16_e32 vcc, 0, v22
	v_cndmask_b32_e32 v21, v21, v25, vcc
	v_cndmask_b32_e32 v22, v23, v24, vcc
	v_lshlrev_b32_e32 v23, 8, v10
	v_mov_b32_e32 v24, 0x3b800000
	v_lshlrev_b32_e32 v21, 20, v21
	v_and_b32_e32 v23, 0x80000000, v23
	v_lshl_add_u32 v22, v22, 23, v24
	v_or3_b32 v22, v23, v22, v21
.LBB44_536:
	s_or_b64 exec, exec, s[6:7]
	s_nop 0
	v_mfma_f32_16x16x4f32 a[0:3], v20, v22, a[0:3]
	s_movk_i32 s4, 0x7f
	v_cmp_gt_i16_sdwa s[6:7], v14, s4 src0_sel:BYTE_3 src1_sel:DWORD
	s_mov_b64 s[4:5], 0
                                        ; implicit-def: $sgpr10
	s_and_saveexec_b64 s[8:9], s[6:7]
	s_xor_b64 s[6:7], exec, s[8:9]
	s_cbranch_execnz .LBB44_2585
; %bb.537:
	s_or_saveexec_b64 s[6:7], s[6:7]
	v_mov_b32_e32 v20, s10
	s_xor_b64 exec, exec, s[6:7]
	s_cbranch_execnz .LBB44_2588
.LBB44_538:
	s_or_b64 exec, exec, s[6:7]
	s_and_saveexec_b64 s[6:7], s[4:5]
	s_cbranch_execz .LBB44_540
.LBB44_539:
	v_bfe_u32 v20, v14, 24, 3
	v_ffbh_u32_e32 v24, v20
	v_min_u32_e32 v24, 32, v24
	v_lshrrev_b32_e32 v22, 27, v14
	v_subrev_u32_e32 v25, 28, v24
	v_and_b32_e32 v21, 0x80000000, v14
	v_and_b32_e32 v22, 15, v22
	v_bfe_u32 v23, v14, 27, 4
	v_lshlrev_b32_sdwa v14, v25, v14 dst_sel:DWORD dst_unused:UNUSED_PAD src0_sel:DWORD src1_sel:BYTE_3
	v_sub_u32_e32 v24, 29, v24
	v_and_b32_e32 v14, 7, v14
	v_cmp_eq_u16_e32 vcc, 0, v22
	v_cndmask_b32_e32 v14, v20, v14, vcc
	v_cndmask_b32_e32 v20, v23, v24, vcc
	v_mov_b32_e32 v22, 0x3b800000
	v_lshlrev_b32_e32 v14, 20, v14
	v_lshl_add_u32 v20, v20, 23, v22
	v_or3_b32 v20, v21, v20, v14
.LBB44_540:
	s_or_b64 exec, exec, s[6:7]
	s_movk_i32 s4, 0x7f
	v_cmp_gt_i16_sdwa s[6:7], v10, s4 src0_sel:BYTE_3 src1_sel:DWORD
	s_mov_b64 s[4:5], 0
                                        ; implicit-def: $sgpr10
	s_and_saveexec_b64 s[8:9], s[6:7]
	s_xor_b64 s[6:7], exec, s[8:9]
	s_cbranch_execnz .LBB44_2589
; %bb.541:
	s_or_saveexec_b64 s[6:7], s[6:7]
	v_mov_b32_e32 v14, s10
	s_xor_b64 exec, exec, s[6:7]
	s_cbranch_execnz .LBB44_2592
.LBB44_542:
	s_or_b64 exec, exec, s[6:7]
	s_and_saveexec_b64 s[6:7], s[4:5]
	s_cbranch_execz .LBB44_544
.LBB44_543:
	v_bfe_u32 v14, v10, 24, 3
	v_ffbh_u32_e32 v24, v14
	v_min_u32_e32 v24, 32, v24
	v_lshrrev_b32_e32 v22, 27, v10
	v_subrev_u32_e32 v25, 28, v24
	v_and_b32_e32 v21, 0x80000000, v10
	v_and_b32_e32 v22, 15, v22
	v_bfe_u32 v23, v10, 27, 4
	v_lshlrev_b32_sdwa v10, v25, v10 dst_sel:DWORD dst_unused:UNUSED_PAD src0_sel:DWORD src1_sel:BYTE_3
	v_sub_u32_e32 v24, 29, v24
	v_and_b32_e32 v10, 7, v10
	v_cmp_eq_u16_e32 vcc, 0, v22
	v_cndmask_b32_e32 v10, v14, v10, vcc
	v_cndmask_b32_e32 v14, v23, v24, vcc
	v_mov_b32_e32 v22, 0x3b800000
	v_lshlrev_b32_e32 v10, 20, v10
	v_lshl_add_u32 v14, v14, 23, v22
	v_or3_b32 v14, v21, v14, v10
.LBB44_544:
	s_or_b64 exec, exec, s[6:7]
	s_nop 0
	v_mfma_f32_16x16x4f32 a[0:3], v20, v14, a[0:3]
	s_movk_i32 s4, 0x7f
	v_cmp_gt_i16_sdwa s[6:7], v15, s4 src0_sel:BYTE_0 src1_sel:DWORD
	s_mov_b64 s[4:5], 0
                                        ; implicit-def: $sgpr10
	s_and_saveexec_b64 s[8:9], s[6:7]
	s_xor_b64 s[6:7], exec, s[8:9]
	s_cbranch_execnz .LBB44_2593
; %bb.545:
	s_or_saveexec_b64 s[6:7], s[6:7]
	v_mov_b32_e32 v10, s10
	s_xor_b64 exec, exec, s[6:7]
	s_cbranch_execnz .LBB44_2596
.LBB44_546:
	s_or_b64 exec, exec, s[6:7]
	s_and_saveexec_b64 s[6:7], s[4:5]
	s_cbranch_execz .LBB44_548
.LBB44_547:
	v_and_b32_e32 v10, 7, v15
	v_ffbh_u32_e32 v20, v10
	v_min_u32_e32 v20, 32, v20
	v_lshrrev_b16_e32 v14, 3, v15
	v_subrev_u32_e32 v21, 28, v20
	v_and_b32_e32 v14, 15, v14
	v_lshlrev_b32_e32 v21, v21, v15
	v_sub_u32_e32 v20, 29, v20
	v_and_b32_e32 v21, 7, v21
	v_cmp_eq_u16_e32 vcc, 0, v14
	v_cndmask_b32_e32 v10, v10, v21, vcc
	v_cndmask_b32_e32 v14, v14, v20, vcc
	v_lshlrev_b32_e32 v20, 24, v15
	v_mov_b32_e32 v21, 0x3b800000
	v_lshlrev_b32_e32 v10, 20, v10
	v_and_b32_e32 v20, 0x80000000, v20
	v_lshl_add_u32 v14, v14, 23, v21
	v_or3_b32 v10, v20, v14, v10
.LBB44_548:
	s_or_b64 exec, exec, s[6:7]
	s_movk_i32 s4, 0x7f
	v_cmp_gt_i16_sdwa s[6:7], v11, s4 src0_sel:BYTE_0 src1_sel:DWORD
	s_mov_b64 s[4:5], 0
                                        ; implicit-def: $sgpr10
	s_and_saveexec_b64 s[8:9], s[6:7]
	s_xor_b64 s[6:7], exec, s[8:9]
	s_cbranch_execnz .LBB44_2597
; %bb.549:
	s_or_saveexec_b64 s[6:7], s[6:7]
	v_mov_b32_e32 v14, s10
	s_xor_b64 exec, exec, s[6:7]
	s_cbranch_execnz .LBB44_2600
.LBB44_550:
	s_or_b64 exec, exec, s[6:7]
	s_and_saveexec_b64 s[6:7], s[4:5]
	s_cbranch_execz .LBB44_552
.LBB44_551:
	v_and_b32_e32 v14, 7, v11
	v_ffbh_u32_e32 v21, v14
	v_min_u32_e32 v21, 32, v21
	v_lshrrev_b16_e32 v20, 3, v11
	v_subrev_u32_e32 v22, 28, v21
	v_and_b32_e32 v20, 15, v20
	v_lshlrev_b32_e32 v22, v22, v11
	v_sub_u32_e32 v21, 29, v21
	v_and_b32_e32 v22, 7, v22
	v_cmp_eq_u16_e32 vcc, 0, v20
	v_cndmask_b32_e32 v14, v14, v22, vcc
	v_cndmask_b32_e32 v20, v20, v21, vcc
	v_lshlrev_b32_e32 v21, 24, v11
	v_mov_b32_e32 v22, 0x3b800000
	v_lshlrev_b32_e32 v14, 20, v14
	v_and_b32_e32 v21, 0x80000000, v21
	v_lshl_add_u32 v20, v20, 23, v22
	v_or3_b32 v14, v21, v20, v14
.LBB44_552:
	s_or_b64 exec, exec, s[6:7]
	s_nop 0
	v_mfma_f32_16x16x4f32 a[0:3], v10, v14, a[0:3]
	v_lshrrev_b32_e32 v14, 8, v15
	s_movk_i32 s4, 0x7f
	v_cmp_gt_i16_sdwa s[6:7], v14, s4 src0_sel:BYTE_0 src1_sel:DWORD
	s_mov_b64 s[4:5], 0
                                        ; implicit-def: $sgpr10
	s_and_saveexec_b64 s[8:9], s[6:7]
	s_xor_b64 s[6:7], exec, s[8:9]
	s_cbranch_execnz .LBB44_2601
; %bb.553:
	s_or_saveexec_b64 s[6:7], s[6:7]
	v_mov_b32_e32 v10, s10
	s_xor_b64 exec, exec, s[6:7]
	s_cbranch_execnz .LBB44_2604
.LBB44_554:
	s_or_b64 exec, exec, s[6:7]
	s_and_saveexec_b64 s[6:7], s[4:5]
	s_cbranch_execz .LBB44_556
.LBB44_555:
	v_bfe_u32 v10, v15, 8, 3
	v_ffbh_u32_e32 v21, v10
	v_min_u32_e32 v21, 32, v21
	v_lshrrev_b16_e32 v20, 3, v14
	v_subrev_u32_e32 v22, 28, v21
	v_and_b32_e32 v20, 15, v20
	v_lshlrev_b32_e32 v14, v22, v14
	v_sub_u32_e32 v21, 29, v21
	v_and_b32_e32 v14, 7, v14
	v_cmp_eq_u16_e32 vcc, 0, v20
	v_cndmask_b32_e32 v10, v10, v14, vcc
	v_cndmask_b32_e32 v14, v20, v21, vcc
	v_lshlrev_b32_e32 v20, 16, v15
	v_mov_b32_e32 v21, 0x3b800000
	v_lshlrev_b32_e32 v10, 20, v10
	v_and_b32_e32 v20, 0x80000000, v20
	v_lshl_add_u32 v14, v14, 23, v21
	v_or3_b32 v10, v20, v14, v10
.LBB44_556:
	s_or_b64 exec, exec, s[6:7]
	v_lshrrev_b32_e32 v14, 8, v11
	s_movk_i32 s4, 0x7f
	v_cmp_gt_i16_sdwa s[6:7], v14, s4 src0_sel:BYTE_0 src1_sel:DWORD
	s_mov_b64 s[4:5], 0
                                        ; implicit-def: $sgpr10
	s_and_saveexec_b64 s[8:9], s[6:7]
	s_xor_b64 s[6:7], exec, s[8:9]
	s_cbranch_execnz .LBB44_2605
; %bb.557:
	s_or_saveexec_b64 s[6:7], s[6:7]
	v_mov_b32_e32 v20, s10
	s_xor_b64 exec, exec, s[6:7]
	s_cbranch_execnz .LBB44_2608
.LBB44_558:
	s_or_b64 exec, exec, s[6:7]
	s_and_saveexec_b64 s[6:7], s[4:5]
	s_cbranch_execz .LBB44_560
.LBB44_559:
	v_bfe_u32 v20, v11, 8, 3
	v_ffbh_u32_e32 v22, v20
	v_min_u32_e32 v22, 32, v22
	v_lshrrev_b16_e32 v21, 3, v14
	v_subrev_u32_e32 v23, 28, v22
	v_and_b32_e32 v21, 15, v21
	v_lshlrev_b32_e32 v14, v23, v14
	v_sub_u32_e32 v22, 29, v22
	v_and_b32_e32 v14, 7, v14
	v_cmp_eq_u16_e32 vcc, 0, v21
	v_cndmask_b32_e32 v14, v20, v14, vcc
	v_cndmask_b32_e32 v20, v21, v22, vcc
	v_lshlrev_b32_e32 v21, 16, v11
	v_mov_b32_e32 v22, 0x3b800000
	v_lshlrev_b32_e32 v14, 20, v14
	v_and_b32_e32 v21, 0x80000000, v21
	v_lshl_add_u32 v20, v20, 23, v22
	v_or3_b32 v20, v21, v20, v14
.LBB44_560:
	s_or_b64 exec, exec, s[6:7]
	s_nop 0
	v_mfma_f32_16x16x4f32 a[0:3], v10, v20, a[0:3]
	s_movk_i32 s4, 0xff
	v_and_b32_sdwa v14, v15, s4 dst_sel:DWORD dst_unused:UNUSED_PAD src0_sel:WORD_1 src1_sel:DWORD
	s_movk_i32 s4, 0x7f
	v_cmp_lt_i16_e32 vcc, s4, v14
	s_mov_b64 s[4:5], 0
                                        ; implicit-def: $sgpr10
	s_and_saveexec_b64 s[6:7], vcc
	s_xor_b64 s[6:7], exec, s[6:7]
	s_cbranch_execnz .LBB44_2609
; %bb.561:
	s_or_saveexec_b64 s[6:7], s[6:7]
	v_mov_b32_e32 v10, s10
	s_xor_b64 exec, exec, s[6:7]
	s_cbranch_execnz .LBB44_2612
.LBB44_562:
	s_or_b64 exec, exec, s[6:7]
	s_and_saveexec_b64 s[6:7], s[4:5]
	s_cbranch_execz .LBB44_564
.LBB44_563:
	v_bfe_u32 v10, v15, 16, 3
	v_ffbh_u32_e32 v21, v10
	v_min_u32_e32 v21, 32, v21
	v_lshrrev_b32_e32 v14, 19, v15
	v_subrev_u32_e32 v22, 28, v21
	v_and_b32_e32 v14, 15, v14
	v_lshlrev_b32_sdwa v22, v22, v15 dst_sel:DWORD dst_unused:UNUSED_PAD src0_sel:DWORD src1_sel:WORD_1
	v_bfe_u32 v20, v15, 19, 4
	v_sub_u32_e32 v21, 29, v21
	v_and_b32_e32 v22, 7, v22
	v_cmp_eq_u16_e32 vcc, 0, v14
	v_cndmask_b32_e32 v10, v10, v22, vcc
	v_cndmask_b32_e32 v14, v20, v21, vcc
	v_lshlrev_b32_e32 v20, 8, v15
	v_mov_b32_e32 v21, 0x3b800000
	v_lshlrev_b32_e32 v10, 20, v10
	v_and_b32_e32 v20, 0x80000000, v20
	v_lshl_add_u32 v14, v14, 23, v21
	v_or3_b32 v10, v20, v14, v10
.LBB44_564:
	s_or_b64 exec, exec, s[6:7]
	s_movk_i32 s4, 0xff
	v_and_b32_sdwa v14, v11, s4 dst_sel:DWORD dst_unused:UNUSED_PAD src0_sel:WORD_1 src1_sel:DWORD
	s_movk_i32 s4, 0x7f
	v_cmp_lt_i16_e32 vcc, s4, v14
	s_mov_b64 s[4:5], 0
                                        ; implicit-def: $sgpr10
	s_and_saveexec_b64 s[6:7], vcc
	s_xor_b64 s[6:7], exec, s[6:7]
	s_cbranch_execnz .LBB44_2613
; %bb.565:
	s_or_saveexec_b64 s[6:7], s[6:7]
	v_mov_b32_e32 v20, s10
	s_xor_b64 exec, exec, s[6:7]
	s_cbranch_execnz .LBB44_2616
.LBB44_566:
	s_or_b64 exec, exec, s[6:7]
	s_and_saveexec_b64 s[6:7], s[4:5]
	s_cbranch_execz .LBB44_568
.LBB44_567:
	v_bfe_u32 v14, v11, 16, 3
	v_ffbh_u32_e32 v22, v14
	v_min_u32_e32 v22, 32, v22
	v_lshrrev_b32_e32 v20, 19, v11
	v_subrev_u32_e32 v23, 28, v22
	v_and_b32_e32 v20, 15, v20
	v_lshlrev_b32_sdwa v23, v23, v11 dst_sel:DWORD dst_unused:UNUSED_PAD src0_sel:DWORD src1_sel:WORD_1
	v_bfe_u32 v21, v11, 19, 4
	v_sub_u32_e32 v22, 29, v22
	v_and_b32_e32 v23, 7, v23
	v_cmp_eq_u16_e32 vcc, 0, v20
	v_cndmask_b32_e32 v14, v14, v23, vcc
	v_cndmask_b32_e32 v20, v21, v22, vcc
	v_lshlrev_b32_e32 v21, 8, v11
	v_mov_b32_e32 v22, 0x3b800000
	v_lshlrev_b32_e32 v14, 20, v14
	v_and_b32_e32 v21, 0x80000000, v21
	v_lshl_add_u32 v20, v20, 23, v22
	v_or3_b32 v20, v21, v20, v14
.LBB44_568:
	s_or_b64 exec, exec, s[6:7]
	s_nop 0
	v_mfma_f32_16x16x4f32 a[0:3], v10, v20, a[0:3]
	s_movk_i32 s4, 0x7f
	v_cmp_gt_i16_sdwa s[6:7], v15, s4 src0_sel:BYTE_3 src1_sel:DWORD
	s_mov_b64 s[4:5], 0
                                        ; implicit-def: $sgpr10
	s_and_saveexec_b64 s[8:9], s[6:7]
	s_xor_b64 s[6:7], exec, s[8:9]
	s_cbranch_execnz .LBB44_2617
; %bb.569:
	s_or_saveexec_b64 s[6:7], s[6:7]
	v_mov_b32_e32 v10, s10
	s_xor_b64 exec, exec, s[6:7]
	s_cbranch_execnz .LBB44_2620
.LBB44_570:
	s_or_b64 exec, exec, s[6:7]
	s_and_saveexec_b64 s[6:7], s[4:5]
	s_cbranch_execz .LBB44_572
.LBB44_571:
	v_bfe_u32 v10, v15, 24, 3
	v_ffbh_u32_e32 v22, v10
	v_min_u32_e32 v22, 32, v22
	v_lshrrev_b32_e32 v20, 27, v15
	v_subrev_u32_e32 v23, 28, v22
	v_and_b32_e32 v14, 0x80000000, v15
	v_and_b32_e32 v20, 15, v20
	v_bfe_u32 v21, v15, 27, 4
	v_lshlrev_b32_sdwa v15, v23, v15 dst_sel:DWORD dst_unused:UNUSED_PAD src0_sel:DWORD src1_sel:BYTE_3
	v_sub_u32_e32 v22, 29, v22
	v_and_b32_e32 v15, 7, v15
	v_cmp_eq_u16_e32 vcc, 0, v20
	v_cndmask_b32_e32 v10, v10, v15, vcc
	v_cndmask_b32_e32 v15, v21, v22, vcc
	v_mov_b32_e32 v20, 0x3b800000
	v_lshlrev_b32_e32 v10, 20, v10
	v_lshl_add_u32 v15, v15, 23, v20
	v_or3_b32 v10, v14, v15, v10
.LBB44_572:
	s_or_b64 exec, exec, s[6:7]
	s_movk_i32 s4, 0x7f
	v_cmp_gt_i16_sdwa s[6:7], v11, s4 src0_sel:BYTE_3 src1_sel:DWORD
	s_mov_b64 s[4:5], 0
                                        ; implicit-def: $sgpr10
	s_and_saveexec_b64 s[8:9], s[6:7]
	s_xor_b64 s[6:7], exec, s[8:9]
	s_cbranch_execnz .LBB44_2621
; %bb.573:
	s_or_saveexec_b64 s[6:7], s[6:7]
	v_mov_b32_e32 v14, s10
	s_xor_b64 exec, exec, s[6:7]
	s_cbranch_execnz .LBB44_2624
.LBB44_574:
	s_or_b64 exec, exec, s[6:7]
	s_and_saveexec_b64 s[6:7], s[4:5]
	s_cbranch_execz .LBB44_576
.LBB44_575:
	v_bfe_u32 v14, v11, 24, 3
	v_ffbh_u32_e32 v22, v14
	v_min_u32_e32 v22, 32, v22
	v_lshrrev_b32_e32 v20, 27, v11
	v_subrev_u32_e32 v23, 28, v22
	v_and_b32_e32 v15, 0x80000000, v11
	v_and_b32_e32 v20, 15, v20
	v_bfe_u32 v21, v11, 27, 4
	v_lshlrev_b32_sdwa v11, v23, v11 dst_sel:DWORD dst_unused:UNUSED_PAD src0_sel:DWORD src1_sel:BYTE_3
	v_sub_u32_e32 v22, 29, v22
	v_and_b32_e32 v11, 7, v11
	v_cmp_eq_u16_e32 vcc, 0, v20
	v_cndmask_b32_e32 v11, v14, v11, vcc
	v_cndmask_b32_e32 v14, v21, v22, vcc
	v_mov_b32_e32 v20, 0x3b800000
	v_lshlrev_b32_e32 v11, 20, v11
	v_lshl_add_u32 v14, v14, 23, v20
	v_or3_b32 v14, v15, v14, v11
.LBB44_576:
	s_or_b64 exec, exec, s[6:7]
	s_nop 0
	v_mfma_f32_16x16x4f32 a[0:3], v10, v14, a[0:3]
	s_movk_i32 s4, 0x7f
	v_cmp_gt_i16_sdwa s[6:7], v16, s4 src0_sel:BYTE_0 src1_sel:DWORD
	s_mov_b64 s[4:5], 0
                                        ; implicit-def: $sgpr10
	s_and_saveexec_b64 s[8:9], s[6:7]
	s_xor_b64 s[6:7], exec, s[8:9]
	s_cbranch_execnz .LBB44_2625
; %bb.577:
	s_or_saveexec_b64 s[6:7], s[6:7]
	v_mov_b32_e32 v10, s10
	s_xor_b64 exec, exec, s[6:7]
	s_cbranch_execnz .LBB44_2628
.LBB44_578:
	s_or_b64 exec, exec, s[6:7]
	s_and_saveexec_b64 s[6:7], s[4:5]
	s_cbranch_execz .LBB44_580
.LBB44_579:
	v_and_b32_e32 v10, 7, v16
	v_ffbh_u32_e32 v14, v10
	v_min_u32_e32 v14, 32, v14
	v_lshrrev_b16_e32 v11, 3, v16
	v_subrev_u32_e32 v15, 28, v14
	v_and_b32_e32 v11, 15, v11
	v_lshlrev_b32_e32 v15, v15, v16
	v_sub_u32_e32 v14, 29, v14
	v_and_b32_e32 v15, 7, v15
	v_cmp_eq_u16_e32 vcc, 0, v11
	v_cndmask_b32_e32 v10, v10, v15, vcc
	v_cndmask_b32_e32 v11, v11, v14, vcc
	v_lshlrev_b32_e32 v14, 24, v16
	v_mov_b32_e32 v15, 0x3b800000
	v_lshlrev_b32_e32 v10, 20, v10
	v_and_b32_e32 v14, 0x80000000, v14
	v_lshl_add_u32 v11, v11, 23, v15
	v_or3_b32 v10, v14, v11, v10
.LBB44_580:
	s_or_b64 exec, exec, s[6:7]
	s_movk_i32 s4, 0x7f
	v_cmp_gt_i16_sdwa s[6:7], v12, s4 src0_sel:BYTE_0 src1_sel:DWORD
	s_mov_b64 s[4:5], 0
                                        ; implicit-def: $sgpr10
	s_and_saveexec_b64 s[8:9], s[6:7]
	s_xor_b64 s[6:7], exec, s[8:9]
	s_cbranch_execnz .LBB44_2629
; %bb.581:
	s_or_saveexec_b64 s[6:7], s[6:7]
	v_mov_b32_e32 v11, s10
	s_xor_b64 exec, exec, s[6:7]
	s_cbranch_execnz .LBB44_2632
.LBB44_582:
	s_or_b64 exec, exec, s[6:7]
	s_and_saveexec_b64 s[6:7], s[4:5]
	s_cbranch_execz .LBB44_584
.LBB44_583:
	v_and_b32_e32 v11, 7, v12
	v_ffbh_u32_e32 v15, v11
	v_min_u32_e32 v15, 32, v15
	v_lshrrev_b16_e32 v14, 3, v12
	v_subrev_u32_e32 v20, 28, v15
	v_and_b32_e32 v14, 15, v14
	v_lshlrev_b32_e32 v20, v20, v12
	v_sub_u32_e32 v15, 29, v15
	v_and_b32_e32 v20, 7, v20
	v_cmp_eq_u16_e32 vcc, 0, v14
	v_cndmask_b32_e32 v11, v11, v20, vcc
	v_cndmask_b32_e32 v14, v14, v15, vcc
	v_lshlrev_b32_e32 v15, 24, v12
	v_mov_b32_e32 v20, 0x3b800000
	v_lshlrev_b32_e32 v11, 20, v11
	v_and_b32_e32 v15, 0x80000000, v15
	v_lshl_add_u32 v14, v14, 23, v20
	v_or3_b32 v11, v15, v14, v11
.LBB44_584:
	s_or_b64 exec, exec, s[6:7]
	s_nop 0
	v_mfma_f32_16x16x4f32 a[0:3], v10, v11, a[0:3]
	v_lshrrev_b32_e32 v11, 8, v16
	s_movk_i32 s4, 0x7f
	v_cmp_gt_i16_sdwa s[6:7], v11, s4 src0_sel:BYTE_0 src1_sel:DWORD
	s_mov_b64 s[4:5], 0
                                        ; implicit-def: $sgpr10
	s_and_saveexec_b64 s[8:9], s[6:7]
	s_xor_b64 s[6:7], exec, s[8:9]
	s_cbranch_execnz .LBB44_2633
; %bb.585:
	s_or_saveexec_b64 s[6:7], s[6:7]
	v_mov_b32_e32 v10, s10
	s_xor_b64 exec, exec, s[6:7]
	s_cbranch_execnz .LBB44_2636
.LBB44_586:
	s_or_b64 exec, exec, s[6:7]
	s_and_saveexec_b64 s[6:7], s[4:5]
	s_cbranch_execz .LBB44_588
.LBB44_587:
	v_bfe_u32 v10, v16, 8, 3
	v_ffbh_u32_e32 v15, v10
	v_min_u32_e32 v15, 32, v15
	v_lshrrev_b16_e32 v14, 3, v11
	v_subrev_u32_e32 v20, 28, v15
	v_and_b32_e32 v14, 15, v14
	v_lshlrev_b32_e32 v11, v20, v11
	v_sub_u32_e32 v15, 29, v15
	v_and_b32_e32 v11, 7, v11
	v_cmp_eq_u16_e32 vcc, 0, v14
	v_cndmask_b32_e32 v10, v10, v11, vcc
	v_cndmask_b32_e32 v11, v14, v15, vcc
	v_lshlrev_b32_e32 v14, 16, v16
	v_mov_b32_e32 v15, 0x3b800000
	v_lshlrev_b32_e32 v10, 20, v10
	v_and_b32_e32 v14, 0x80000000, v14
	v_lshl_add_u32 v11, v11, 23, v15
	v_or3_b32 v10, v14, v11, v10
.LBB44_588:
	s_or_b64 exec, exec, s[6:7]
	v_lshrrev_b32_e32 v11, 8, v12
	s_movk_i32 s4, 0x7f
	v_cmp_gt_i16_sdwa s[6:7], v11, s4 src0_sel:BYTE_0 src1_sel:DWORD
	s_mov_b64 s[4:5], 0
                                        ; implicit-def: $sgpr10
	s_and_saveexec_b64 s[8:9], s[6:7]
	s_xor_b64 s[6:7], exec, s[8:9]
	s_cbranch_execnz .LBB44_2637
; %bb.589:
	s_or_saveexec_b64 s[6:7], s[6:7]
	v_mov_b32_e32 v14, s10
	s_xor_b64 exec, exec, s[6:7]
	s_cbranch_execnz .LBB44_2640
.LBB44_590:
	s_or_b64 exec, exec, s[6:7]
	s_and_saveexec_b64 s[6:7], s[4:5]
	s_cbranch_execz .LBB44_592
.LBB44_591:
	v_bfe_u32 v14, v12, 8, 3
	v_ffbh_u32_e32 v20, v14
	v_min_u32_e32 v20, 32, v20
	v_lshrrev_b16_e32 v15, 3, v11
	v_subrev_u32_e32 v21, 28, v20
	v_and_b32_e32 v15, 15, v15
	v_lshlrev_b32_e32 v11, v21, v11
	v_sub_u32_e32 v20, 29, v20
	v_and_b32_e32 v11, 7, v11
	v_cmp_eq_u16_e32 vcc, 0, v15
	v_cndmask_b32_e32 v11, v14, v11, vcc
	v_cndmask_b32_e32 v14, v15, v20, vcc
	v_lshlrev_b32_e32 v15, 16, v12
	v_mov_b32_e32 v20, 0x3b800000
	v_lshlrev_b32_e32 v11, 20, v11
	v_and_b32_e32 v15, 0x80000000, v15
	v_lshl_add_u32 v14, v14, 23, v20
	v_or3_b32 v14, v15, v14, v11
.LBB44_592:
	s_or_b64 exec, exec, s[6:7]
	s_nop 0
	v_mfma_f32_16x16x4f32 a[0:3], v10, v14, a[0:3]
	s_movk_i32 s4, 0xff
	v_and_b32_sdwa v11, v16, s4 dst_sel:DWORD dst_unused:UNUSED_PAD src0_sel:WORD_1 src1_sel:DWORD
	s_movk_i32 s4, 0x7f
	v_cmp_lt_i16_e32 vcc, s4, v11
	s_mov_b64 s[4:5], 0
                                        ; implicit-def: $sgpr10
	s_and_saveexec_b64 s[6:7], vcc
	s_xor_b64 s[6:7], exec, s[6:7]
	s_cbranch_execnz .LBB44_2641
; %bb.593:
	s_or_saveexec_b64 s[6:7], s[6:7]
	v_mov_b32_e32 v10, s10
	s_xor_b64 exec, exec, s[6:7]
	s_cbranch_execnz .LBB44_2644
.LBB44_594:
	s_or_b64 exec, exec, s[6:7]
	s_and_saveexec_b64 s[6:7], s[4:5]
	s_cbranch_execz .LBB44_596
.LBB44_595:
	v_bfe_u32 v10, v16, 16, 3
	v_ffbh_u32_e32 v15, v10
	v_min_u32_e32 v15, 32, v15
	v_lshrrev_b32_e32 v11, 19, v16
	v_subrev_u32_e32 v20, 28, v15
	v_and_b32_e32 v11, 15, v11
	v_lshlrev_b32_sdwa v20, v20, v16 dst_sel:DWORD dst_unused:UNUSED_PAD src0_sel:DWORD src1_sel:WORD_1
	v_bfe_u32 v14, v16, 19, 4
	v_sub_u32_e32 v15, 29, v15
	v_and_b32_e32 v20, 7, v20
	v_cmp_eq_u16_e32 vcc, 0, v11
	v_cndmask_b32_e32 v10, v10, v20, vcc
	v_cndmask_b32_e32 v11, v14, v15, vcc
	v_lshlrev_b32_e32 v14, 8, v16
	v_mov_b32_e32 v15, 0x3b800000
	v_lshlrev_b32_e32 v10, 20, v10
	v_and_b32_e32 v14, 0x80000000, v14
	v_lshl_add_u32 v11, v11, 23, v15
	v_or3_b32 v10, v14, v11, v10
.LBB44_596:
	s_or_b64 exec, exec, s[6:7]
	s_movk_i32 s4, 0xff
	v_and_b32_sdwa v11, v12, s4 dst_sel:DWORD dst_unused:UNUSED_PAD src0_sel:WORD_1 src1_sel:DWORD
	s_movk_i32 s4, 0x7f
	v_cmp_lt_i16_e32 vcc, s4, v11
	s_mov_b64 s[4:5], 0
                                        ; implicit-def: $sgpr10
	s_and_saveexec_b64 s[6:7], vcc
	s_xor_b64 s[6:7], exec, s[6:7]
	s_cbranch_execnz .LBB44_2645
; %bb.597:
	s_or_saveexec_b64 s[6:7], s[6:7]
	v_mov_b32_e32 v14, s10
	s_xor_b64 exec, exec, s[6:7]
	s_cbranch_execnz .LBB44_2648
.LBB44_598:
	s_or_b64 exec, exec, s[6:7]
	s_and_saveexec_b64 s[6:7], s[4:5]
	s_cbranch_execz .LBB44_600
.LBB44_599:
	v_bfe_u32 v11, v12, 16, 3
	v_ffbh_u32_e32 v20, v11
	v_min_u32_e32 v20, 32, v20
	v_lshrrev_b32_e32 v14, 19, v12
	v_subrev_u32_e32 v21, 28, v20
	v_and_b32_e32 v14, 15, v14
	v_lshlrev_b32_sdwa v21, v21, v12 dst_sel:DWORD dst_unused:UNUSED_PAD src0_sel:DWORD src1_sel:WORD_1
	v_bfe_u32 v15, v12, 19, 4
	v_sub_u32_e32 v20, 29, v20
	v_and_b32_e32 v21, 7, v21
	v_cmp_eq_u16_e32 vcc, 0, v14
	v_cndmask_b32_e32 v11, v11, v21, vcc
	v_cndmask_b32_e32 v14, v15, v20, vcc
	v_lshlrev_b32_e32 v15, 8, v12
	v_mov_b32_e32 v20, 0x3b800000
	v_lshlrev_b32_e32 v11, 20, v11
	v_and_b32_e32 v15, 0x80000000, v15
	v_lshl_add_u32 v14, v14, 23, v20
	v_or3_b32 v14, v15, v14, v11
.LBB44_600:
	s_or_b64 exec, exec, s[6:7]
	s_nop 0
	v_mfma_f32_16x16x4f32 a[0:3], v10, v14, a[0:3]
	s_movk_i32 s4, 0x7f
	v_cmp_gt_i16_sdwa s[6:7], v16, s4 src0_sel:BYTE_3 src1_sel:DWORD
	s_mov_b64 s[4:5], 0
                                        ; implicit-def: $sgpr10
	s_and_saveexec_b64 s[8:9], s[6:7]
	s_xor_b64 s[6:7], exec, s[8:9]
	s_cbranch_execnz .LBB44_2649
; %bb.601:
	s_or_saveexec_b64 s[6:7], s[6:7]
	v_mov_b32_e32 v10, s10
	s_xor_b64 exec, exec, s[6:7]
	s_cbranch_execnz .LBB44_2652
.LBB44_602:
	s_or_b64 exec, exec, s[6:7]
	s_and_saveexec_b64 s[6:7], s[4:5]
	s_cbranch_execz .LBB44_604
.LBB44_603:
	v_bfe_u32 v10, v16, 24, 3
	v_ffbh_u32_e32 v20, v10
	v_min_u32_e32 v20, 32, v20
	v_lshrrev_b32_e32 v14, 27, v16
	v_subrev_u32_e32 v21, 28, v20
	v_and_b32_e32 v11, 0x80000000, v16
	v_and_b32_e32 v14, 15, v14
	v_bfe_u32 v15, v16, 27, 4
	v_lshlrev_b32_sdwa v16, v21, v16 dst_sel:DWORD dst_unused:UNUSED_PAD src0_sel:DWORD src1_sel:BYTE_3
	v_sub_u32_e32 v20, 29, v20
	v_and_b32_e32 v16, 7, v16
	v_cmp_eq_u16_e32 vcc, 0, v14
	v_cndmask_b32_e32 v10, v10, v16, vcc
	v_cndmask_b32_e32 v14, v15, v20, vcc
	v_mov_b32_e32 v15, 0x3b800000
	v_lshlrev_b32_e32 v10, 20, v10
	v_lshl_add_u32 v14, v14, 23, v15
	v_or3_b32 v10, v11, v14, v10
.LBB44_604:
	s_or_b64 exec, exec, s[6:7]
	s_movk_i32 s4, 0x7f
	v_cmp_gt_i16_sdwa s[6:7], v12, s4 src0_sel:BYTE_3 src1_sel:DWORD
	s_mov_b64 s[4:5], 0
                                        ; implicit-def: $sgpr10
	s_and_saveexec_b64 s[8:9], s[6:7]
	s_xor_b64 s[6:7], exec, s[8:9]
	s_cbranch_execnz .LBB44_2653
; %bb.605:
	s_or_saveexec_b64 s[6:7], s[6:7]
	v_mov_b32_e32 v11, s10
	s_xor_b64 exec, exec, s[6:7]
	s_cbranch_execnz .LBB44_2656
.LBB44_606:
	s_or_b64 exec, exec, s[6:7]
	s_and_saveexec_b64 s[6:7], s[4:5]
	s_cbranch_execz .LBB44_608
.LBB44_607:
	v_bfe_u32 v11, v12, 24, 3
	v_ffbh_u32_e32 v20, v11
	v_min_u32_e32 v20, 32, v20
	v_lshrrev_b32_e32 v15, 27, v12
	v_subrev_u32_e32 v21, 28, v20
	v_and_b32_e32 v14, 0x80000000, v12
	v_and_b32_e32 v15, 15, v15
	v_bfe_u32 v16, v12, 27, 4
	v_lshlrev_b32_sdwa v12, v21, v12 dst_sel:DWORD dst_unused:UNUSED_PAD src0_sel:DWORD src1_sel:BYTE_3
	v_sub_u32_e32 v20, 29, v20
	v_and_b32_e32 v12, 7, v12
	v_cmp_eq_u16_e32 vcc, 0, v15
	v_cndmask_b32_e32 v11, v11, v12, vcc
	v_cndmask_b32_e32 v12, v16, v20, vcc
	v_mov_b32_e32 v15, 0x3b800000
	v_lshlrev_b32_e32 v11, 20, v11
	v_lshl_add_u32 v12, v12, 23, v15
	v_or3_b32 v11, v14, v12, v11
.LBB44_608:
	s_or_b64 exec, exec, s[6:7]
	s_nop 0
	v_mfma_f32_16x16x4f32 a[0:3], v10, v11, a[0:3]
	s_movk_i32 s4, 0x7f
	v_cmp_gt_i16_sdwa s[6:7], v17, s4 src0_sel:BYTE_0 src1_sel:DWORD
	s_mov_b64 s[4:5], 0
                                        ; implicit-def: $sgpr10
	s_and_saveexec_b64 s[8:9], s[6:7]
	s_xor_b64 s[6:7], exec, s[8:9]
	s_cbranch_execnz .LBB44_2657
; %bb.609:
	s_or_saveexec_b64 s[6:7], s[6:7]
	v_mov_b32_e32 v10, s10
	s_xor_b64 exec, exec, s[6:7]
	s_cbranch_execnz .LBB44_2660
.LBB44_610:
	s_or_b64 exec, exec, s[6:7]
	s_and_saveexec_b64 s[6:7], s[4:5]
	s_cbranch_execz .LBB44_612
.LBB44_611:
	v_and_b32_e32 v10, 7, v17
	v_ffbh_u32_e32 v12, v10
	v_min_u32_e32 v12, 32, v12
	v_lshrrev_b16_e32 v11, 3, v17
	v_subrev_u32_e32 v14, 28, v12
	v_and_b32_e32 v11, 15, v11
	v_lshlrev_b32_e32 v14, v14, v17
	v_sub_u32_e32 v12, 29, v12
	v_and_b32_e32 v14, 7, v14
	v_cmp_eq_u16_e32 vcc, 0, v11
	v_cndmask_b32_e32 v10, v10, v14, vcc
	v_cndmask_b32_e32 v11, v11, v12, vcc
	v_lshlrev_b32_e32 v12, 24, v17
	v_mov_b32_e32 v14, 0x3b800000
	v_lshlrev_b32_e32 v10, 20, v10
	v_and_b32_e32 v12, 0x80000000, v12
	v_lshl_add_u32 v11, v11, 23, v14
	v_or3_b32 v10, v12, v11, v10
.LBB44_612:
	s_or_b64 exec, exec, s[6:7]
	s_movk_i32 s4, 0x7f
	v_cmp_gt_i16_sdwa s[6:7], v13, s4 src0_sel:BYTE_0 src1_sel:DWORD
	s_mov_b64 s[4:5], 0
                                        ; implicit-def: $sgpr10
	s_and_saveexec_b64 s[8:9], s[6:7]
	s_xor_b64 s[6:7], exec, s[8:9]
	s_cbranch_execnz .LBB44_2661
; %bb.613:
	s_or_saveexec_b64 s[6:7], s[6:7]
	v_mov_b32_e32 v11, s10
	s_xor_b64 exec, exec, s[6:7]
	s_cbranch_execnz .LBB44_2664
.LBB44_614:
	s_or_b64 exec, exec, s[6:7]
	s_and_saveexec_b64 s[6:7], s[4:5]
	s_cbranch_execz .LBB44_616
.LBB44_615:
	v_and_b32_e32 v11, 7, v13
	v_ffbh_u32_e32 v14, v11
	v_min_u32_e32 v14, 32, v14
	v_lshrrev_b16_e32 v12, 3, v13
	v_subrev_u32_e32 v15, 28, v14
	v_and_b32_e32 v12, 15, v12
	v_lshlrev_b32_e32 v15, v15, v13
	v_sub_u32_e32 v14, 29, v14
	v_and_b32_e32 v15, 7, v15
	v_cmp_eq_u16_e32 vcc, 0, v12
	v_cndmask_b32_e32 v11, v11, v15, vcc
	v_cndmask_b32_e32 v12, v12, v14, vcc
	v_lshlrev_b32_e32 v14, 24, v13
	v_mov_b32_e32 v15, 0x3b800000
	v_lshlrev_b32_e32 v11, 20, v11
	v_and_b32_e32 v14, 0x80000000, v14
	v_lshl_add_u32 v12, v12, 23, v15
	v_or3_b32 v11, v14, v12, v11
.LBB44_616:
	s_or_b64 exec, exec, s[6:7]
	s_nop 0
	v_mfma_f32_16x16x4f32 a[0:3], v10, v11, a[0:3]
	v_lshrrev_b32_e32 v11, 8, v17
	s_movk_i32 s4, 0x7f
	v_cmp_gt_i16_sdwa s[6:7], v11, s4 src0_sel:BYTE_0 src1_sel:DWORD
	s_mov_b64 s[4:5], 0
                                        ; implicit-def: $sgpr10
	s_and_saveexec_b64 s[8:9], s[6:7]
	s_xor_b64 s[6:7], exec, s[8:9]
	s_cbranch_execnz .LBB44_2665
; %bb.617:
	s_or_saveexec_b64 s[6:7], s[6:7]
	v_mov_b32_e32 v10, s10
	s_xor_b64 exec, exec, s[6:7]
	s_cbranch_execnz .LBB44_2668
.LBB44_618:
	s_or_b64 exec, exec, s[6:7]
	s_and_saveexec_b64 s[6:7], s[4:5]
	s_cbranch_execz .LBB44_620
.LBB44_619:
	v_bfe_u32 v10, v17, 8, 3
	v_ffbh_u32_e32 v14, v10
	v_min_u32_e32 v14, 32, v14
	v_lshrrev_b16_e32 v12, 3, v11
	v_subrev_u32_e32 v15, 28, v14
	v_and_b32_e32 v12, 15, v12
	v_lshlrev_b32_e32 v11, v15, v11
	v_sub_u32_e32 v14, 29, v14
	v_and_b32_e32 v11, 7, v11
	v_cmp_eq_u16_e32 vcc, 0, v12
	v_cndmask_b32_e32 v10, v10, v11, vcc
	v_cndmask_b32_e32 v11, v12, v14, vcc
	v_lshlrev_b32_e32 v12, 16, v17
	v_mov_b32_e32 v14, 0x3b800000
	v_lshlrev_b32_e32 v10, 20, v10
	v_and_b32_e32 v12, 0x80000000, v12
	v_lshl_add_u32 v11, v11, 23, v14
	v_or3_b32 v10, v12, v11, v10
.LBB44_620:
	s_or_b64 exec, exec, s[6:7]
	v_lshrrev_b32_e32 v11, 8, v13
	s_movk_i32 s4, 0x7f
	v_cmp_gt_i16_sdwa s[6:7], v11, s4 src0_sel:BYTE_0 src1_sel:DWORD
	s_mov_b64 s[4:5], 0
                                        ; implicit-def: $sgpr10
	s_and_saveexec_b64 s[8:9], s[6:7]
	s_xor_b64 s[6:7], exec, s[8:9]
	s_cbranch_execnz .LBB44_2669
; %bb.621:
	s_or_saveexec_b64 s[6:7], s[6:7]
	v_mov_b32_e32 v12, s10
	s_xor_b64 exec, exec, s[6:7]
	s_cbranch_execnz .LBB44_2672
.LBB44_622:
	s_or_b64 exec, exec, s[6:7]
	s_and_saveexec_b64 s[6:7], s[4:5]
	s_cbranch_execz .LBB44_624
.LBB44_623:
	v_bfe_u32 v12, v13, 8, 3
	v_ffbh_u32_e32 v15, v12
	v_min_u32_e32 v15, 32, v15
	v_lshrrev_b16_e32 v14, 3, v11
	v_subrev_u32_e32 v16, 28, v15
	v_and_b32_e32 v14, 15, v14
	v_lshlrev_b32_e32 v11, v16, v11
	v_sub_u32_e32 v15, 29, v15
	v_and_b32_e32 v11, 7, v11
	v_cmp_eq_u16_e32 vcc, 0, v14
	v_cndmask_b32_e32 v11, v12, v11, vcc
	v_cndmask_b32_e32 v12, v14, v15, vcc
	v_lshlrev_b32_e32 v14, 16, v13
	v_mov_b32_e32 v15, 0x3b800000
	v_lshlrev_b32_e32 v11, 20, v11
	v_and_b32_e32 v14, 0x80000000, v14
	v_lshl_add_u32 v12, v12, 23, v15
	v_or3_b32 v12, v14, v12, v11
.LBB44_624:
	s_or_b64 exec, exec, s[6:7]
	s_nop 0
	v_mfma_f32_16x16x4f32 a[0:3], v10, v12, a[0:3]
	s_movk_i32 s4, 0xff
	v_and_b32_sdwa v11, v17, s4 dst_sel:DWORD dst_unused:UNUSED_PAD src0_sel:WORD_1 src1_sel:DWORD
	s_movk_i32 s4, 0x7f
	v_cmp_lt_i16_e32 vcc, s4, v11
	s_mov_b64 s[4:5], 0
                                        ; implicit-def: $sgpr10
	s_and_saveexec_b64 s[6:7], vcc
	s_xor_b64 s[6:7], exec, s[6:7]
	s_cbranch_execnz .LBB44_2673
; %bb.625:
	s_or_saveexec_b64 s[6:7], s[6:7]
	v_mov_b32_e32 v10, s10
	s_xor_b64 exec, exec, s[6:7]
	s_cbranch_execnz .LBB44_2676
.LBB44_626:
	s_or_b64 exec, exec, s[6:7]
	s_and_saveexec_b64 s[6:7], s[4:5]
	s_cbranch_execz .LBB44_628
.LBB44_627:
	v_bfe_u32 v10, v17, 16, 3
	v_ffbh_u32_e32 v14, v10
	v_min_u32_e32 v14, 32, v14
	v_lshrrev_b32_e32 v11, 19, v17
	v_subrev_u32_e32 v15, 28, v14
	v_and_b32_e32 v11, 15, v11
	v_lshlrev_b32_sdwa v15, v15, v17 dst_sel:DWORD dst_unused:UNUSED_PAD src0_sel:DWORD src1_sel:WORD_1
	v_bfe_u32 v12, v17, 19, 4
	v_sub_u32_e32 v14, 29, v14
	v_and_b32_e32 v15, 7, v15
	v_cmp_eq_u16_e32 vcc, 0, v11
	v_cndmask_b32_e32 v10, v10, v15, vcc
	v_cndmask_b32_e32 v11, v12, v14, vcc
	v_lshlrev_b32_e32 v12, 8, v17
	v_mov_b32_e32 v14, 0x3b800000
	v_lshlrev_b32_e32 v10, 20, v10
	v_and_b32_e32 v12, 0x80000000, v12
	v_lshl_add_u32 v11, v11, 23, v14
	v_or3_b32 v10, v12, v11, v10
.LBB44_628:
	s_or_b64 exec, exec, s[6:7]
	s_movk_i32 s4, 0xff
	v_and_b32_sdwa v11, v13, s4 dst_sel:DWORD dst_unused:UNUSED_PAD src0_sel:WORD_1 src1_sel:DWORD
	s_movk_i32 s4, 0x7f
	v_cmp_lt_i16_e32 vcc, s4, v11
	s_mov_b64 s[4:5], 0
                                        ; implicit-def: $sgpr10
	s_and_saveexec_b64 s[6:7], vcc
	s_xor_b64 s[6:7], exec, s[6:7]
	s_cbranch_execnz .LBB44_2677
; %bb.629:
	s_or_saveexec_b64 s[6:7], s[6:7]
	v_mov_b32_e32 v12, s10
	s_xor_b64 exec, exec, s[6:7]
	s_cbranch_execnz .LBB44_2680
.LBB44_630:
	s_or_b64 exec, exec, s[6:7]
	s_and_saveexec_b64 s[6:7], s[4:5]
	s_cbranch_execz .LBB44_632
.LBB44_631:
	v_bfe_u32 v11, v13, 16, 3
	v_ffbh_u32_e32 v15, v11
	v_min_u32_e32 v15, 32, v15
	v_lshrrev_b32_e32 v12, 19, v13
	v_subrev_u32_e32 v16, 28, v15
	v_and_b32_e32 v12, 15, v12
	v_lshlrev_b32_sdwa v16, v16, v13 dst_sel:DWORD dst_unused:UNUSED_PAD src0_sel:DWORD src1_sel:WORD_1
	v_bfe_u32 v14, v13, 19, 4
	v_sub_u32_e32 v15, 29, v15
	v_and_b32_e32 v16, 7, v16
	v_cmp_eq_u16_e32 vcc, 0, v12
	v_cndmask_b32_e32 v11, v11, v16, vcc
	v_cndmask_b32_e32 v12, v14, v15, vcc
	v_lshlrev_b32_e32 v14, 8, v13
	v_mov_b32_e32 v15, 0x3b800000
	v_lshlrev_b32_e32 v11, 20, v11
	v_and_b32_e32 v14, 0x80000000, v14
	v_lshl_add_u32 v12, v12, 23, v15
	v_or3_b32 v12, v14, v12, v11
.LBB44_632:
	s_or_b64 exec, exec, s[6:7]
	s_nop 0
	v_mfma_f32_16x16x4f32 a[0:3], v10, v12, a[0:3]
	s_movk_i32 s4, 0x7f
	v_cmp_gt_i16_sdwa s[6:7], v17, s4 src0_sel:BYTE_3 src1_sel:DWORD
	s_mov_b64 s[4:5], 0
                                        ; implicit-def: $sgpr10
	s_and_saveexec_b64 s[8:9], s[6:7]
	s_xor_b64 s[6:7], exec, s[8:9]
	s_cbranch_execnz .LBB44_2681
; %bb.633:
	s_or_saveexec_b64 s[6:7], s[6:7]
	v_mov_b32_e32 v10, s10
	s_xor_b64 exec, exec, s[6:7]
	s_cbranch_execnz .LBB44_2684
.LBB44_634:
	s_or_b64 exec, exec, s[6:7]
	s_and_saveexec_b64 s[6:7], s[4:5]
	s_cbranch_execz .LBB44_636
.LBB44_635:
	v_bfe_u32 v10, v17, 24, 3
	v_ffbh_u32_e32 v15, v10
	v_min_u32_e32 v15, 32, v15
	v_lshrrev_b32_e32 v12, 27, v17
	v_subrev_u32_e32 v16, 28, v15
	v_and_b32_e32 v12, 15, v12
	v_lshlrev_b32_sdwa v16, v16, v17 dst_sel:DWORD dst_unused:UNUSED_PAD src0_sel:DWORD src1_sel:BYTE_3
	v_bfe_u32 v14, v17, 27, 4
	v_sub_u32_e32 v15, 29, v15
	v_and_b32_e32 v16, 7, v16
	v_cmp_eq_u16_e32 vcc, 0, v12
	v_cndmask_b32_e32 v10, v10, v16, vcc
	v_cndmask_b32_e32 v12, v14, v15, vcc
	v_mov_b32_e32 v14, 0x3b800000
	v_and_b32_e32 v11, 0x80000000, v17
	v_lshlrev_b32_e32 v10, 20, v10
	v_lshl_add_u32 v12, v12, 23, v14
	v_or3_b32 v10, v11, v12, v10
.LBB44_636:
	s_or_b64 exec, exec, s[6:7]
	s_movk_i32 s4, 0x7f
	v_cmp_gt_i16_sdwa s[6:7], v13, s4 src0_sel:BYTE_3 src1_sel:DWORD
	s_mov_b64 s[4:5], 0
                                        ; implicit-def: $sgpr10
	s_and_saveexec_b64 s[8:9], s[6:7]
	s_xor_b64 s[6:7], exec, s[8:9]
	s_cbranch_execnz .LBB44_2685
; %bb.637:
	s_or_saveexec_b64 s[6:7], s[6:7]
	v_mov_b32_e32 v11, s10
	s_xor_b64 exec, exec, s[6:7]
	s_cbranch_execnz .LBB44_2688
.LBB44_638:
	s_or_b64 exec, exec, s[6:7]
	s_and_saveexec_b64 s[6:7], s[4:5]
	s_cbranch_execz .LBB44_640
.LBB44_639:
	v_bfe_u32 v11, v13, 24, 3
	v_ffbh_u32_e32 v16, v11
	v_min_u32_e32 v16, 32, v16
	v_lshrrev_b32_e32 v14, 27, v13
	v_subrev_u32_e32 v17, 28, v16
	v_and_b32_e32 v12, 0x80000000, v13
	v_and_b32_e32 v14, 15, v14
	v_bfe_u32 v15, v13, 27, 4
	v_lshlrev_b32_sdwa v13, v17, v13 dst_sel:DWORD dst_unused:UNUSED_PAD src0_sel:DWORD src1_sel:BYTE_3
	v_sub_u32_e32 v16, 29, v16
	v_and_b32_e32 v13, 7, v13
	v_cmp_eq_u16_e32 vcc, 0, v14
	v_cndmask_b32_e32 v11, v11, v13, vcc
	v_cndmask_b32_e32 v13, v15, v16, vcc
	v_mov_b32_e32 v14, 0x3b800000
	v_lshlrev_b32_e32 v11, 20, v11
	v_lshl_add_u32 v13, v13, 23, v14
	v_or3_b32 v11, v12, v13, v11
.LBB44_640:
	s_or_b64 exec, exec, s[6:7]
	s_nop 0
	v_mfma_f32_16x16x4f32 a[0:3], v10, v11, a[0:3]
	s_movk_i32 s4, 0x7f
	v_cmp_gt_i16_sdwa s[6:7], v6, s4 src0_sel:BYTE_0 src1_sel:DWORD
	s_mov_b64 s[4:5], 0
                                        ; implicit-def: $sgpr10
	s_and_saveexec_b64 s[8:9], s[6:7]
	s_xor_b64 s[6:7], exec, s[8:9]
	s_cbranch_execnz .LBB44_2689
; %bb.641:
	s_or_saveexec_b64 s[6:7], s[6:7]
	v_mov_b32_e32 v10, s10
	s_xor_b64 exec, exec, s[6:7]
	s_cbranch_execnz .LBB44_2692
.LBB44_642:
	s_or_b64 exec, exec, s[6:7]
	s_and_saveexec_b64 s[6:7], s[4:5]
	s_cbranch_execz .LBB44_644
.LBB44_643:
	v_and_b32_e32 v10, 7, v6
	v_ffbh_u32_e32 v12, v10
	v_min_u32_e32 v12, 32, v12
	v_lshrrev_b16_e32 v11, 3, v6
	v_subrev_u32_e32 v13, 28, v12
	v_and_b32_e32 v11, 15, v11
	v_lshlrev_b32_e32 v13, v13, v6
	v_sub_u32_e32 v12, 29, v12
	v_and_b32_e32 v13, 7, v13
	v_cmp_eq_u16_e32 vcc, 0, v11
	v_cndmask_b32_e32 v10, v10, v13, vcc
	v_cndmask_b32_e32 v11, v11, v12, vcc
	v_lshlrev_b32_e32 v12, 24, v6
	v_mov_b32_e32 v13, 0x3b800000
	v_lshlrev_b32_e32 v10, 20, v10
	v_and_b32_e32 v12, 0x80000000, v12
	v_lshl_add_u32 v11, v11, 23, v13
	v_or3_b32 v10, v12, v11, v10
.LBB44_644:
	s_or_b64 exec, exec, s[6:7]
	s_movk_i32 s4, 0x7f
	v_cmp_gt_i16_sdwa s[6:7], v2, s4 src0_sel:BYTE_0 src1_sel:DWORD
	s_mov_b64 s[4:5], 0
                                        ; implicit-def: $sgpr10
	s_and_saveexec_b64 s[8:9], s[6:7]
	s_xor_b64 s[6:7], exec, s[8:9]
	s_cbranch_execnz .LBB44_2693
; %bb.645:
	s_or_saveexec_b64 s[6:7], s[6:7]
	v_mov_b32_e32 v11, s10
	s_xor_b64 exec, exec, s[6:7]
	s_cbranch_execnz .LBB44_2696
.LBB44_646:
	s_or_b64 exec, exec, s[6:7]
	s_and_saveexec_b64 s[6:7], s[4:5]
	s_cbranch_execz .LBB44_648
.LBB44_647:
	v_and_b32_e32 v11, 7, v2
	v_ffbh_u32_e32 v13, v11
	v_min_u32_e32 v13, 32, v13
	v_lshrrev_b16_e32 v12, 3, v2
	v_subrev_u32_e32 v14, 28, v13
	v_and_b32_e32 v12, 15, v12
	v_lshlrev_b32_e32 v14, v14, v2
	v_sub_u32_e32 v13, 29, v13
	v_and_b32_e32 v14, 7, v14
	v_cmp_eq_u16_e32 vcc, 0, v12
	v_cndmask_b32_e32 v11, v11, v14, vcc
	v_cndmask_b32_e32 v12, v12, v13, vcc
	v_lshlrev_b32_e32 v13, 24, v2
	v_mov_b32_e32 v14, 0x3b800000
	v_lshlrev_b32_e32 v11, 20, v11
	v_and_b32_e32 v13, 0x80000000, v13
	v_lshl_add_u32 v12, v12, 23, v14
	v_or3_b32 v11, v13, v12, v11
.LBB44_648:
	s_or_b64 exec, exec, s[6:7]
	s_nop 0
	v_mfma_f32_16x16x4f32 a[0:3], v10, v11, a[0:3]
	v_lshrrev_b32_e32 v11, 8, v6
	s_movk_i32 s4, 0x7f
	v_cmp_gt_i16_sdwa s[6:7], v11, s4 src0_sel:BYTE_0 src1_sel:DWORD
	s_mov_b64 s[4:5], 0
                                        ; implicit-def: $sgpr10
	s_and_saveexec_b64 s[8:9], s[6:7]
	s_xor_b64 s[6:7], exec, s[8:9]
	s_cbranch_execnz .LBB44_2697
; %bb.649:
	s_or_saveexec_b64 s[6:7], s[6:7]
	v_mov_b32_e32 v10, s10
	s_xor_b64 exec, exec, s[6:7]
	s_cbranch_execnz .LBB44_2700
.LBB44_650:
	s_or_b64 exec, exec, s[6:7]
	s_and_saveexec_b64 s[6:7], s[4:5]
	s_cbranch_execz .LBB44_652
.LBB44_651:
	v_bfe_u32 v10, v6, 8, 3
	v_ffbh_u32_e32 v13, v10
	v_min_u32_e32 v13, 32, v13
	v_lshrrev_b16_e32 v12, 3, v11
	v_subrev_u32_e32 v14, 28, v13
	v_and_b32_e32 v12, 15, v12
	v_lshlrev_b32_e32 v11, v14, v11
	v_sub_u32_e32 v13, 29, v13
	v_and_b32_e32 v11, 7, v11
	v_cmp_eq_u16_e32 vcc, 0, v12
	v_cndmask_b32_e32 v10, v10, v11, vcc
	v_cndmask_b32_e32 v11, v12, v13, vcc
	v_lshlrev_b32_e32 v12, 16, v6
	v_mov_b32_e32 v13, 0x3b800000
	v_lshlrev_b32_e32 v10, 20, v10
	v_and_b32_e32 v12, 0x80000000, v12
	v_lshl_add_u32 v11, v11, 23, v13
	v_or3_b32 v10, v12, v11, v10
.LBB44_652:
	s_or_b64 exec, exec, s[6:7]
	v_lshrrev_b32_e32 v11, 8, v2
	s_movk_i32 s4, 0x7f
	v_cmp_gt_i16_sdwa s[6:7], v11, s4 src0_sel:BYTE_0 src1_sel:DWORD
	s_mov_b64 s[4:5], 0
                                        ; implicit-def: $sgpr10
	s_and_saveexec_b64 s[8:9], s[6:7]
	s_xor_b64 s[6:7], exec, s[8:9]
	s_cbranch_execnz .LBB44_2701
; %bb.653:
	s_or_saveexec_b64 s[6:7], s[6:7]
	v_mov_b32_e32 v12, s10
	s_xor_b64 exec, exec, s[6:7]
	s_cbranch_execnz .LBB44_2704
.LBB44_654:
	s_or_b64 exec, exec, s[6:7]
	s_and_saveexec_b64 s[6:7], s[4:5]
	s_cbranch_execz .LBB44_656
.LBB44_655:
	v_bfe_u32 v12, v2, 8, 3
	v_ffbh_u32_e32 v14, v12
	v_min_u32_e32 v14, 32, v14
	v_lshrrev_b16_e32 v13, 3, v11
	v_subrev_u32_e32 v15, 28, v14
	v_and_b32_e32 v13, 15, v13
	v_lshlrev_b32_e32 v11, v15, v11
	v_sub_u32_e32 v14, 29, v14
	v_and_b32_e32 v11, 7, v11
	v_cmp_eq_u16_e32 vcc, 0, v13
	v_cndmask_b32_e32 v11, v12, v11, vcc
	v_cndmask_b32_e32 v12, v13, v14, vcc
	v_lshlrev_b32_e32 v13, 16, v2
	v_mov_b32_e32 v14, 0x3b800000
	v_lshlrev_b32_e32 v11, 20, v11
	v_and_b32_e32 v13, 0x80000000, v13
	v_lshl_add_u32 v12, v12, 23, v14
	v_or3_b32 v12, v13, v12, v11
.LBB44_656:
	s_or_b64 exec, exec, s[6:7]
	s_nop 0
	v_mfma_f32_16x16x4f32 a[0:3], v10, v12, a[0:3]
	s_movk_i32 s4, 0xff
	v_and_b32_sdwa v11, v6, s4 dst_sel:DWORD dst_unused:UNUSED_PAD src0_sel:WORD_1 src1_sel:DWORD
	s_movk_i32 s4, 0x7f
	v_cmp_lt_i16_e32 vcc, s4, v11
	s_mov_b64 s[4:5], 0
                                        ; implicit-def: $sgpr10
	s_and_saveexec_b64 s[6:7], vcc
	s_xor_b64 s[6:7], exec, s[6:7]
	s_cbranch_execnz .LBB44_2705
; %bb.657:
	s_or_saveexec_b64 s[6:7], s[6:7]
	v_mov_b32_e32 v10, s10
	s_xor_b64 exec, exec, s[6:7]
	s_cbranch_execnz .LBB44_2708
.LBB44_658:
	s_or_b64 exec, exec, s[6:7]
	s_and_saveexec_b64 s[6:7], s[4:5]
	s_cbranch_execz .LBB44_660
.LBB44_659:
	v_bfe_u32 v10, v6, 16, 3
	v_ffbh_u32_e32 v13, v10
	v_min_u32_e32 v13, 32, v13
	v_lshrrev_b32_e32 v11, 19, v6
	v_subrev_u32_e32 v14, 28, v13
	v_and_b32_e32 v11, 15, v11
	v_lshlrev_b32_sdwa v14, v14, v6 dst_sel:DWORD dst_unused:UNUSED_PAD src0_sel:DWORD src1_sel:WORD_1
	v_bfe_u32 v12, v6, 19, 4
	v_sub_u32_e32 v13, 29, v13
	v_and_b32_e32 v14, 7, v14
	v_cmp_eq_u16_e32 vcc, 0, v11
	v_cndmask_b32_e32 v10, v10, v14, vcc
	v_cndmask_b32_e32 v11, v12, v13, vcc
	v_lshlrev_b32_e32 v12, 8, v6
	v_mov_b32_e32 v13, 0x3b800000
	v_lshlrev_b32_e32 v10, 20, v10
	v_and_b32_e32 v12, 0x80000000, v12
	v_lshl_add_u32 v11, v11, 23, v13
	v_or3_b32 v10, v12, v11, v10
.LBB44_660:
	s_or_b64 exec, exec, s[6:7]
	s_movk_i32 s4, 0xff
	v_and_b32_sdwa v11, v2, s4 dst_sel:DWORD dst_unused:UNUSED_PAD src0_sel:WORD_1 src1_sel:DWORD
	s_movk_i32 s4, 0x7f
	v_cmp_lt_i16_e32 vcc, s4, v11
	s_mov_b64 s[4:5], 0
                                        ; implicit-def: $sgpr10
	s_and_saveexec_b64 s[6:7], vcc
	s_xor_b64 s[6:7], exec, s[6:7]
	s_cbranch_execnz .LBB44_2709
; %bb.661:
	s_or_saveexec_b64 s[6:7], s[6:7]
	v_mov_b32_e32 v12, s10
	s_xor_b64 exec, exec, s[6:7]
	s_cbranch_execnz .LBB44_2712
.LBB44_662:
	s_or_b64 exec, exec, s[6:7]
	s_and_saveexec_b64 s[6:7], s[4:5]
	s_cbranch_execz .LBB44_664
.LBB44_663:
	v_bfe_u32 v11, v2, 16, 3
	v_ffbh_u32_e32 v14, v11
	v_min_u32_e32 v14, 32, v14
	v_lshrrev_b32_e32 v12, 19, v2
	v_subrev_u32_e32 v15, 28, v14
	v_and_b32_e32 v12, 15, v12
	v_lshlrev_b32_sdwa v15, v15, v2 dst_sel:DWORD dst_unused:UNUSED_PAD src0_sel:DWORD src1_sel:WORD_1
	v_bfe_u32 v13, v2, 19, 4
	v_sub_u32_e32 v14, 29, v14
	v_and_b32_e32 v15, 7, v15
	v_cmp_eq_u16_e32 vcc, 0, v12
	v_cndmask_b32_e32 v11, v11, v15, vcc
	v_cndmask_b32_e32 v12, v13, v14, vcc
	v_lshlrev_b32_e32 v13, 8, v2
	v_mov_b32_e32 v14, 0x3b800000
	v_lshlrev_b32_e32 v11, 20, v11
	v_and_b32_e32 v13, 0x80000000, v13
	v_lshl_add_u32 v12, v12, 23, v14
	v_or3_b32 v12, v13, v12, v11
.LBB44_664:
	s_or_b64 exec, exec, s[6:7]
	s_nop 0
	v_mfma_f32_16x16x4f32 a[0:3], v10, v12, a[0:3]
	s_movk_i32 s4, 0x7f
	v_cmp_gt_i16_sdwa s[6:7], v6, s4 src0_sel:BYTE_3 src1_sel:DWORD
	s_mov_b64 s[4:5], 0
                                        ; implicit-def: $sgpr10
	s_and_saveexec_b64 s[8:9], s[6:7]
	s_xor_b64 s[6:7], exec, s[8:9]
	s_cbranch_execnz .LBB44_2713
; %bb.665:
	s_or_saveexec_b64 s[6:7], s[6:7]
	v_mov_b32_e32 v10, s10
	s_xor_b64 exec, exec, s[6:7]
	s_cbranch_execnz .LBB44_2716
.LBB44_666:
	s_or_b64 exec, exec, s[6:7]
	s_and_saveexec_b64 s[6:7], s[4:5]
	s_cbranch_execz .LBB44_668
.LBB44_667:
	v_bfe_u32 v10, v6, 24, 3
	v_ffbh_u32_e32 v14, v10
	v_min_u32_e32 v14, 32, v14
	v_lshrrev_b32_e32 v12, 27, v6
	v_subrev_u32_e32 v15, 28, v14
	v_and_b32_e32 v11, 0x80000000, v6
	v_and_b32_e32 v12, 15, v12
	v_bfe_u32 v13, v6, 27, 4
	v_lshlrev_b32_sdwa v6, v15, v6 dst_sel:DWORD dst_unused:UNUSED_PAD src0_sel:DWORD src1_sel:BYTE_3
	v_sub_u32_e32 v14, 29, v14
	v_and_b32_e32 v6, 7, v6
	v_cmp_eq_u16_e32 vcc, 0, v12
	v_cndmask_b32_e32 v6, v10, v6, vcc
	v_cndmask_b32_e32 v10, v13, v14, vcc
	v_mov_b32_e32 v12, 0x3b800000
	v_lshlrev_b32_e32 v6, 20, v6
	v_lshl_add_u32 v10, v10, 23, v12
	v_or3_b32 v10, v11, v10, v6
.LBB44_668:
	s_or_b64 exec, exec, s[6:7]
	s_movk_i32 s4, 0x7f
	v_cmp_gt_i16_sdwa s[6:7], v2, s4 src0_sel:BYTE_3 src1_sel:DWORD
	s_mov_b64 s[4:5], 0
                                        ; implicit-def: $sgpr10
	s_and_saveexec_b64 s[8:9], s[6:7]
	s_xor_b64 s[6:7], exec, s[8:9]
	s_cbranch_execnz .LBB44_2717
; %bb.669:
	s_or_saveexec_b64 s[6:7], s[6:7]
	v_mov_b32_e32 v6, s10
	s_xor_b64 exec, exec, s[6:7]
	s_cbranch_execnz .LBB44_2720
.LBB44_670:
	s_or_b64 exec, exec, s[6:7]
	s_and_saveexec_b64 s[6:7], s[4:5]
	s_cbranch_execz .LBB44_672
.LBB44_671:
	v_bfe_u32 v6, v2, 24, 3
	v_ffbh_u32_e32 v14, v6
	v_min_u32_e32 v14, 32, v14
	v_lshrrev_b32_e32 v12, 27, v2
	v_subrev_u32_e32 v15, 28, v14
	v_and_b32_e32 v11, 0x80000000, v2
	v_and_b32_e32 v12, 15, v12
	v_bfe_u32 v13, v2, 27, 4
	v_lshlrev_b32_sdwa v2, v15, v2 dst_sel:DWORD dst_unused:UNUSED_PAD src0_sel:DWORD src1_sel:BYTE_3
	v_sub_u32_e32 v14, 29, v14
	v_and_b32_e32 v2, 7, v2
	v_cmp_eq_u16_e32 vcc, 0, v12
	v_cndmask_b32_e32 v2, v6, v2, vcc
	v_cndmask_b32_e32 v6, v13, v14, vcc
	v_mov_b32_e32 v12, 0x3b800000
	v_lshlrev_b32_e32 v2, 20, v2
	v_lshl_add_u32 v6, v6, 23, v12
	v_or3_b32 v6, v11, v6, v2
.LBB44_672:
	s_or_b64 exec, exec, s[6:7]
	s_nop 0
	v_mfma_f32_16x16x4f32 a[0:3], v10, v6, a[0:3]
	s_movk_i32 s4, 0x7f
	v_cmp_gt_i16_sdwa s[6:7], v7, s4 src0_sel:BYTE_0 src1_sel:DWORD
	s_mov_b64 s[4:5], 0
                                        ; implicit-def: $sgpr10
	s_and_saveexec_b64 s[8:9], s[6:7]
	s_xor_b64 s[6:7], exec, s[8:9]
	s_cbranch_execnz .LBB44_2721
; %bb.673:
	s_or_saveexec_b64 s[6:7], s[6:7]
	v_mov_b32_e32 v2, s10
	s_xor_b64 exec, exec, s[6:7]
	s_cbranch_execnz .LBB44_2724
.LBB44_674:
	s_or_b64 exec, exec, s[6:7]
	s_and_saveexec_b64 s[6:7], s[4:5]
	s_cbranch_execz .LBB44_676
.LBB44_675:
	v_and_b32_e32 v2, 7, v7
	v_ffbh_u32_e32 v10, v2
	v_min_u32_e32 v10, 32, v10
	v_lshrrev_b16_e32 v6, 3, v7
	v_subrev_u32_e32 v11, 28, v10
	v_and_b32_e32 v6, 15, v6
	v_lshlrev_b32_e32 v11, v11, v7
	v_sub_u32_e32 v10, 29, v10
	v_and_b32_e32 v11, 7, v11
	v_cmp_eq_u16_e32 vcc, 0, v6
	v_cndmask_b32_e32 v2, v2, v11, vcc
	v_cndmask_b32_e32 v6, v6, v10, vcc
	v_lshlrev_b32_e32 v10, 24, v7
	v_mov_b32_e32 v11, 0x3b800000
	v_lshlrev_b32_e32 v2, 20, v2
	v_and_b32_e32 v10, 0x80000000, v10
	v_lshl_add_u32 v6, v6, 23, v11
	v_or3_b32 v2, v10, v6, v2
.LBB44_676:
	s_or_b64 exec, exec, s[6:7]
	s_movk_i32 s4, 0x7f
	v_cmp_gt_i16_sdwa s[6:7], v3, s4 src0_sel:BYTE_0 src1_sel:DWORD
	s_mov_b64 s[4:5], 0
                                        ; implicit-def: $sgpr10
	s_and_saveexec_b64 s[8:9], s[6:7]
	s_xor_b64 s[6:7], exec, s[8:9]
	s_cbranch_execnz .LBB44_2725
; %bb.677:
	s_or_saveexec_b64 s[6:7], s[6:7]
	v_mov_b32_e32 v6, s10
	s_xor_b64 exec, exec, s[6:7]
	s_cbranch_execnz .LBB44_2728
.LBB44_678:
	s_or_b64 exec, exec, s[6:7]
	s_and_saveexec_b64 s[6:7], s[4:5]
	s_cbranch_execz .LBB44_680
.LBB44_679:
	v_and_b32_e32 v6, 7, v3
	v_ffbh_u32_e32 v11, v6
	v_min_u32_e32 v11, 32, v11
	v_lshrrev_b16_e32 v10, 3, v3
	v_subrev_u32_e32 v12, 28, v11
	v_and_b32_e32 v10, 15, v10
	v_lshlrev_b32_e32 v12, v12, v3
	v_sub_u32_e32 v11, 29, v11
	v_and_b32_e32 v12, 7, v12
	v_cmp_eq_u16_e32 vcc, 0, v10
	v_cndmask_b32_e32 v6, v6, v12, vcc
	v_cndmask_b32_e32 v10, v10, v11, vcc
	v_lshlrev_b32_e32 v11, 24, v3
	v_mov_b32_e32 v12, 0x3b800000
	v_lshlrev_b32_e32 v6, 20, v6
	v_and_b32_e32 v11, 0x80000000, v11
	v_lshl_add_u32 v10, v10, 23, v12
	v_or3_b32 v6, v11, v10, v6
.LBB44_680:
	s_or_b64 exec, exec, s[6:7]
	s_nop 0
	v_mfma_f32_16x16x4f32 a[0:3], v2, v6, a[0:3]
	v_lshrrev_b32_e32 v6, 8, v7
	s_movk_i32 s4, 0x7f
	v_cmp_gt_i16_sdwa s[6:7], v6, s4 src0_sel:BYTE_0 src1_sel:DWORD
	s_mov_b64 s[4:5], 0
                                        ; implicit-def: $sgpr10
	s_and_saveexec_b64 s[8:9], s[6:7]
	s_xor_b64 s[6:7], exec, s[8:9]
	s_cbranch_execnz .LBB44_2729
; %bb.681:
	s_or_saveexec_b64 s[6:7], s[6:7]
	v_mov_b32_e32 v2, s10
	s_xor_b64 exec, exec, s[6:7]
	s_cbranch_execnz .LBB44_2732
.LBB44_682:
	s_or_b64 exec, exec, s[6:7]
	s_and_saveexec_b64 s[6:7], s[4:5]
	s_cbranch_execz .LBB44_684
.LBB44_683:
	v_bfe_u32 v2, v7, 8, 3
	v_ffbh_u32_e32 v11, v2
	v_min_u32_e32 v11, 32, v11
	v_lshrrev_b16_e32 v10, 3, v6
	v_subrev_u32_e32 v12, 28, v11
	v_and_b32_e32 v10, 15, v10
	v_lshlrev_b32_e32 v6, v12, v6
	v_sub_u32_e32 v11, 29, v11
	v_and_b32_e32 v6, 7, v6
	v_cmp_eq_u16_e32 vcc, 0, v10
	v_cndmask_b32_e32 v2, v2, v6, vcc
	v_cndmask_b32_e32 v6, v10, v11, vcc
	v_lshlrev_b32_e32 v10, 16, v7
	v_mov_b32_e32 v11, 0x3b800000
	v_lshlrev_b32_e32 v2, 20, v2
	v_and_b32_e32 v10, 0x80000000, v10
	v_lshl_add_u32 v6, v6, 23, v11
	v_or3_b32 v2, v10, v6, v2
.LBB44_684:
	s_or_b64 exec, exec, s[6:7]
	v_lshrrev_b32_e32 v6, 8, v3
	s_movk_i32 s4, 0x7f
	v_cmp_gt_i16_sdwa s[6:7], v6, s4 src0_sel:BYTE_0 src1_sel:DWORD
	s_mov_b64 s[4:5], 0
                                        ; implicit-def: $sgpr10
	s_and_saveexec_b64 s[8:9], s[6:7]
	s_xor_b64 s[6:7], exec, s[8:9]
	s_cbranch_execnz .LBB44_2733
; %bb.685:
	s_or_saveexec_b64 s[6:7], s[6:7]
	v_mov_b32_e32 v10, s10
	s_xor_b64 exec, exec, s[6:7]
	s_cbranch_execnz .LBB44_2736
.LBB44_686:
	s_or_b64 exec, exec, s[6:7]
	s_and_saveexec_b64 s[6:7], s[4:5]
	s_cbranch_execz .LBB44_688
.LBB44_687:
	v_bfe_u32 v10, v3, 8, 3
	v_ffbh_u32_e32 v12, v10
	v_min_u32_e32 v12, 32, v12
	v_lshrrev_b16_e32 v11, 3, v6
	v_subrev_u32_e32 v13, 28, v12
	v_and_b32_e32 v11, 15, v11
	v_lshlrev_b32_e32 v6, v13, v6
	v_sub_u32_e32 v12, 29, v12
	v_and_b32_e32 v6, 7, v6
	v_cmp_eq_u16_e32 vcc, 0, v11
	v_cndmask_b32_e32 v6, v10, v6, vcc
	v_cndmask_b32_e32 v10, v11, v12, vcc
	v_lshlrev_b32_e32 v11, 16, v3
	v_mov_b32_e32 v12, 0x3b800000
	v_lshlrev_b32_e32 v6, 20, v6
	v_and_b32_e32 v11, 0x80000000, v11
	v_lshl_add_u32 v10, v10, 23, v12
	v_or3_b32 v10, v11, v10, v6
.LBB44_688:
	s_or_b64 exec, exec, s[6:7]
	s_nop 0
	v_mfma_f32_16x16x4f32 a[0:3], v2, v10, a[0:3]
	s_movk_i32 s4, 0xff
	v_and_b32_sdwa v6, v7, s4 dst_sel:DWORD dst_unused:UNUSED_PAD src0_sel:WORD_1 src1_sel:DWORD
	s_movk_i32 s4, 0x7f
	v_cmp_lt_i16_e32 vcc, s4, v6
	s_mov_b64 s[4:5], 0
                                        ; implicit-def: $sgpr10
	s_and_saveexec_b64 s[6:7], vcc
	s_xor_b64 s[6:7], exec, s[6:7]
	s_cbranch_execnz .LBB44_2737
; %bb.689:
	s_or_saveexec_b64 s[6:7], s[6:7]
	v_mov_b32_e32 v2, s10
	s_xor_b64 exec, exec, s[6:7]
	s_cbranch_execnz .LBB44_2740
.LBB44_690:
	s_or_b64 exec, exec, s[6:7]
	s_and_saveexec_b64 s[6:7], s[4:5]
	s_cbranch_execz .LBB44_692
.LBB44_691:
	v_bfe_u32 v2, v7, 16, 3
	v_ffbh_u32_e32 v11, v2
	v_min_u32_e32 v11, 32, v11
	v_lshrrev_b32_e32 v6, 19, v7
	v_subrev_u32_e32 v12, 28, v11
	v_and_b32_e32 v6, 15, v6
	v_lshlrev_b32_sdwa v12, v12, v7 dst_sel:DWORD dst_unused:UNUSED_PAD src0_sel:DWORD src1_sel:WORD_1
	v_bfe_u32 v10, v7, 19, 4
	v_sub_u32_e32 v11, 29, v11
	v_and_b32_e32 v12, 7, v12
	v_cmp_eq_u16_e32 vcc, 0, v6
	v_cndmask_b32_e32 v2, v2, v12, vcc
	v_cndmask_b32_e32 v6, v10, v11, vcc
	v_lshlrev_b32_e32 v10, 8, v7
	v_mov_b32_e32 v11, 0x3b800000
	v_lshlrev_b32_e32 v2, 20, v2
	v_and_b32_e32 v10, 0x80000000, v10
	v_lshl_add_u32 v6, v6, 23, v11
	v_or3_b32 v2, v10, v6, v2
.LBB44_692:
	s_or_b64 exec, exec, s[6:7]
	s_movk_i32 s4, 0xff
	v_and_b32_sdwa v6, v3, s4 dst_sel:DWORD dst_unused:UNUSED_PAD src0_sel:WORD_1 src1_sel:DWORD
	s_movk_i32 s4, 0x7f
	v_cmp_lt_i16_e32 vcc, s4, v6
	s_mov_b64 s[4:5], 0
                                        ; implicit-def: $sgpr10
	s_and_saveexec_b64 s[6:7], vcc
	s_xor_b64 s[6:7], exec, s[6:7]
	s_cbranch_execnz .LBB44_2741
; %bb.693:
	s_or_saveexec_b64 s[6:7], s[6:7]
	v_mov_b32_e32 v10, s10
	s_xor_b64 exec, exec, s[6:7]
	s_cbranch_execnz .LBB44_2744
.LBB44_694:
	s_or_b64 exec, exec, s[6:7]
	s_and_saveexec_b64 s[6:7], s[4:5]
	s_cbranch_execz .LBB44_696
.LBB44_695:
	v_bfe_u32 v6, v3, 16, 3
	v_ffbh_u32_e32 v12, v6
	v_min_u32_e32 v12, 32, v12
	v_lshrrev_b32_e32 v10, 19, v3
	v_subrev_u32_e32 v13, 28, v12
	v_and_b32_e32 v10, 15, v10
	v_lshlrev_b32_sdwa v13, v13, v3 dst_sel:DWORD dst_unused:UNUSED_PAD src0_sel:DWORD src1_sel:WORD_1
	v_bfe_u32 v11, v3, 19, 4
	v_sub_u32_e32 v12, 29, v12
	v_and_b32_e32 v13, 7, v13
	v_cmp_eq_u16_e32 vcc, 0, v10
	v_cndmask_b32_e32 v6, v6, v13, vcc
	v_cndmask_b32_e32 v10, v11, v12, vcc
	v_lshlrev_b32_e32 v11, 8, v3
	v_mov_b32_e32 v12, 0x3b800000
	v_lshlrev_b32_e32 v6, 20, v6
	v_and_b32_e32 v11, 0x80000000, v11
	v_lshl_add_u32 v10, v10, 23, v12
	v_or3_b32 v10, v11, v10, v6
.LBB44_696:
	s_or_b64 exec, exec, s[6:7]
	s_nop 0
	v_mfma_f32_16x16x4f32 a[0:3], v2, v10, a[0:3]
	s_movk_i32 s4, 0x7f
	v_cmp_gt_i16_sdwa s[6:7], v7, s4 src0_sel:BYTE_3 src1_sel:DWORD
	s_mov_b64 s[4:5], 0
                                        ; implicit-def: $sgpr10
	s_and_saveexec_b64 s[8:9], s[6:7]
	s_xor_b64 s[6:7], exec, s[8:9]
	s_cbranch_execnz .LBB44_2745
; %bb.697:
	s_or_saveexec_b64 s[6:7], s[6:7]
	v_mov_b32_e32 v2, s10
	s_xor_b64 exec, exec, s[6:7]
	s_cbranch_execnz .LBB44_2748
.LBB44_698:
	s_or_b64 exec, exec, s[6:7]
	s_and_saveexec_b64 s[6:7], s[4:5]
	s_cbranch_execz .LBB44_700
.LBB44_699:
	v_bfe_u32 v2, v7, 24, 3
	v_ffbh_u32_e32 v12, v2
	v_min_u32_e32 v12, 32, v12
	v_lshrrev_b32_e32 v10, 27, v7
	v_subrev_u32_e32 v13, 28, v12
	v_and_b32_e32 v6, 0x80000000, v7
	v_and_b32_e32 v10, 15, v10
	v_bfe_u32 v11, v7, 27, 4
	v_lshlrev_b32_sdwa v7, v13, v7 dst_sel:DWORD dst_unused:UNUSED_PAD src0_sel:DWORD src1_sel:BYTE_3
	v_sub_u32_e32 v12, 29, v12
	v_and_b32_e32 v7, 7, v7
	v_cmp_eq_u16_e32 vcc, 0, v10
	v_cndmask_b32_e32 v2, v2, v7, vcc
	v_cndmask_b32_e32 v7, v11, v12, vcc
	v_mov_b32_e32 v10, 0x3b800000
	v_lshlrev_b32_e32 v2, 20, v2
	v_lshl_add_u32 v7, v7, 23, v10
	v_or3_b32 v2, v6, v7, v2
.LBB44_700:
	s_or_b64 exec, exec, s[6:7]
	s_movk_i32 s4, 0x7f
	v_cmp_gt_i16_sdwa s[6:7], v3, s4 src0_sel:BYTE_3 src1_sel:DWORD
	s_mov_b64 s[4:5], 0
                                        ; implicit-def: $sgpr10
	s_and_saveexec_b64 s[8:9], s[6:7]
	s_xor_b64 s[6:7], exec, s[8:9]
	s_cbranch_execnz .LBB44_2749
; %bb.701:
	s_or_saveexec_b64 s[6:7], s[6:7]
	v_mov_b32_e32 v6, s10
	s_xor_b64 exec, exec, s[6:7]
	s_cbranch_execnz .LBB44_2752
.LBB44_702:
	s_or_b64 exec, exec, s[6:7]
	s_and_saveexec_b64 s[6:7], s[4:5]
	s_cbranch_execz .LBB44_704
.LBB44_703:
	v_bfe_u32 v6, v3, 24, 3
	v_ffbh_u32_e32 v12, v6
	v_min_u32_e32 v12, 32, v12
	v_lshrrev_b32_e32 v10, 27, v3
	v_subrev_u32_e32 v13, 28, v12
	v_and_b32_e32 v7, 0x80000000, v3
	v_and_b32_e32 v10, 15, v10
	v_bfe_u32 v11, v3, 27, 4
	v_lshlrev_b32_sdwa v3, v13, v3 dst_sel:DWORD dst_unused:UNUSED_PAD src0_sel:DWORD src1_sel:BYTE_3
	v_sub_u32_e32 v12, 29, v12
	v_and_b32_e32 v3, 7, v3
	v_cmp_eq_u16_e32 vcc, 0, v10
	v_cndmask_b32_e32 v3, v6, v3, vcc
	v_cndmask_b32_e32 v6, v11, v12, vcc
	v_mov_b32_e32 v10, 0x3b800000
	v_lshlrev_b32_e32 v3, 20, v3
	v_lshl_add_u32 v6, v6, 23, v10
	v_or3_b32 v6, v7, v6, v3
.LBB44_704:
	s_or_b64 exec, exec, s[6:7]
	s_nop 0
	v_mfma_f32_16x16x4f32 a[0:3], v2, v6, a[0:3]
	s_movk_i32 s4, 0x7f
	v_cmp_gt_i16_sdwa s[6:7], v8, s4 src0_sel:BYTE_0 src1_sel:DWORD
	s_mov_b64 s[4:5], 0
                                        ; implicit-def: $sgpr10
	s_and_saveexec_b64 s[8:9], s[6:7]
	s_xor_b64 s[6:7], exec, s[8:9]
	s_cbranch_execnz .LBB44_2753
; %bb.705:
	s_or_saveexec_b64 s[6:7], s[6:7]
	v_mov_b32_e32 v2, s10
	s_xor_b64 exec, exec, s[6:7]
	s_cbranch_execnz .LBB44_2756
.LBB44_706:
	s_or_b64 exec, exec, s[6:7]
	s_and_saveexec_b64 s[6:7], s[4:5]
	s_cbranch_execz .LBB44_708
.LBB44_707:
	v_and_b32_e32 v2, 7, v8
	v_ffbh_u32_e32 v6, v2
	v_min_u32_e32 v6, 32, v6
	v_lshrrev_b16_e32 v3, 3, v8
	v_subrev_u32_e32 v7, 28, v6
	v_and_b32_e32 v3, 15, v3
	v_lshlrev_b32_e32 v7, v7, v8
	v_sub_u32_e32 v6, 29, v6
	v_and_b32_e32 v7, 7, v7
	v_cmp_eq_u16_e32 vcc, 0, v3
	v_cndmask_b32_e32 v2, v2, v7, vcc
	v_cndmask_b32_e32 v3, v3, v6, vcc
	v_lshlrev_b32_e32 v6, 24, v8
	v_mov_b32_e32 v7, 0x3b800000
	v_lshlrev_b32_e32 v2, 20, v2
	v_and_b32_e32 v6, 0x80000000, v6
	v_lshl_add_u32 v3, v3, 23, v7
	v_or3_b32 v2, v6, v3, v2
.LBB44_708:
	s_or_b64 exec, exec, s[6:7]
	s_movk_i32 s4, 0x7f
	v_cmp_gt_i16_sdwa s[6:7], v4, s4 src0_sel:BYTE_0 src1_sel:DWORD
	s_mov_b64 s[4:5], 0
                                        ; implicit-def: $sgpr10
	s_and_saveexec_b64 s[8:9], s[6:7]
	s_xor_b64 s[6:7], exec, s[8:9]
	s_cbranch_execnz .LBB44_2757
; %bb.709:
	s_or_saveexec_b64 s[6:7], s[6:7]
	v_mov_b32_e32 v3, s10
	s_xor_b64 exec, exec, s[6:7]
	s_cbranch_execnz .LBB44_2760
.LBB44_710:
	s_or_b64 exec, exec, s[6:7]
	s_and_saveexec_b64 s[6:7], s[4:5]
	s_cbranch_execz .LBB44_712
.LBB44_711:
	v_and_b32_e32 v3, 7, v4
	v_ffbh_u32_e32 v7, v3
	v_min_u32_e32 v7, 32, v7
	v_lshrrev_b16_e32 v6, 3, v4
	v_subrev_u32_e32 v10, 28, v7
	v_and_b32_e32 v6, 15, v6
	v_lshlrev_b32_e32 v10, v10, v4
	v_sub_u32_e32 v7, 29, v7
	v_and_b32_e32 v10, 7, v10
	v_cmp_eq_u16_e32 vcc, 0, v6
	v_cndmask_b32_e32 v3, v3, v10, vcc
	v_cndmask_b32_e32 v6, v6, v7, vcc
	v_lshlrev_b32_e32 v7, 24, v4
	v_mov_b32_e32 v10, 0x3b800000
	v_lshlrev_b32_e32 v3, 20, v3
	v_and_b32_e32 v7, 0x80000000, v7
	v_lshl_add_u32 v6, v6, 23, v10
	v_or3_b32 v3, v7, v6, v3
.LBB44_712:
	s_or_b64 exec, exec, s[6:7]
	s_nop 0
	v_mfma_f32_16x16x4f32 a[0:3], v2, v3, a[0:3]
	v_lshrrev_b32_e32 v3, 8, v8
	s_movk_i32 s4, 0x7f
	v_cmp_gt_i16_sdwa s[6:7], v3, s4 src0_sel:BYTE_0 src1_sel:DWORD
	s_mov_b64 s[4:5], 0
                                        ; implicit-def: $sgpr10
	s_and_saveexec_b64 s[8:9], s[6:7]
	s_xor_b64 s[6:7], exec, s[8:9]
	s_cbranch_execnz .LBB44_2761
; %bb.713:
	s_or_saveexec_b64 s[6:7], s[6:7]
	v_mov_b32_e32 v2, s10
	s_xor_b64 exec, exec, s[6:7]
	s_cbranch_execnz .LBB44_2764
.LBB44_714:
	s_or_b64 exec, exec, s[6:7]
	s_and_saveexec_b64 s[6:7], s[4:5]
	s_cbranch_execz .LBB44_716
.LBB44_715:
	v_bfe_u32 v2, v8, 8, 3
	v_ffbh_u32_e32 v7, v2
	v_min_u32_e32 v7, 32, v7
	v_lshrrev_b16_e32 v6, 3, v3
	v_subrev_u32_e32 v10, 28, v7
	v_and_b32_e32 v6, 15, v6
	v_lshlrev_b32_e32 v3, v10, v3
	v_sub_u32_e32 v7, 29, v7
	v_and_b32_e32 v3, 7, v3
	v_cmp_eq_u16_e32 vcc, 0, v6
	v_cndmask_b32_e32 v2, v2, v3, vcc
	v_cndmask_b32_e32 v3, v6, v7, vcc
	v_lshlrev_b32_e32 v6, 16, v8
	v_mov_b32_e32 v7, 0x3b800000
	v_lshlrev_b32_e32 v2, 20, v2
	v_and_b32_e32 v6, 0x80000000, v6
	v_lshl_add_u32 v3, v3, 23, v7
	v_or3_b32 v2, v6, v3, v2
.LBB44_716:
	s_or_b64 exec, exec, s[6:7]
	v_lshrrev_b32_e32 v3, 8, v4
	s_movk_i32 s4, 0x7f
	v_cmp_gt_i16_sdwa s[6:7], v3, s4 src0_sel:BYTE_0 src1_sel:DWORD
	s_mov_b64 s[4:5], 0
                                        ; implicit-def: $sgpr10
	s_and_saveexec_b64 s[8:9], s[6:7]
	s_xor_b64 s[6:7], exec, s[8:9]
	s_cbranch_execnz .LBB44_2765
; %bb.717:
	s_or_saveexec_b64 s[6:7], s[6:7]
	v_mov_b32_e32 v6, s10
	s_xor_b64 exec, exec, s[6:7]
	s_cbranch_execnz .LBB44_2768
.LBB44_718:
	s_or_b64 exec, exec, s[6:7]
	s_and_saveexec_b64 s[6:7], s[4:5]
	s_cbranch_execz .LBB44_720
.LBB44_719:
	v_bfe_u32 v6, v4, 8, 3
	v_ffbh_u32_e32 v10, v6
	v_min_u32_e32 v10, 32, v10
	v_lshrrev_b16_e32 v7, 3, v3
	v_subrev_u32_e32 v11, 28, v10
	v_and_b32_e32 v7, 15, v7
	v_lshlrev_b32_e32 v3, v11, v3
	v_sub_u32_e32 v10, 29, v10
	v_and_b32_e32 v3, 7, v3
	v_cmp_eq_u16_e32 vcc, 0, v7
	v_cndmask_b32_e32 v3, v6, v3, vcc
	v_cndmask_b32_e32 v6, v7, v10, vcc
	v_lshlrev_b32_e32 v7, 16, v4
	v_mov_b32_e32 v10, 0x3b800000
	v_lshlrev_b32_e32 v3, 20, v3
	v_and_b32_e32 v7, 0x80000000, v7
	v_lshl_add_u32 v6, v6, 23, v10
	v_or3_b32 v6, v7, v6, v3
.LBB44_720:
	s_or_b64 exec, exec, s[6:7]
	s_nop 0
	v_mfma_f32_16x16x4f32 a[0:3], v2, v6, a[0:3]
	s_movk_i32 s4, 0xff
	v_and_b32_sdwa v3, v8, s4 dst_sel:DWORD dst_unused:UNUSED_PAD src0_sel:WORD_1 src1_sel:DWORD
	s_movk_i32 s4, 0x7f
	v_cmp_lt_i16_e32 vcc, s4, v3
	s_mov_b64 s[4:5], 0
                                        ; implicit-def: $sgpr10
	s_and_saveexec_b64 s[6:7], vcc
	s_xor_b64 s[6:7], exec, s[6:7]
	s_cbranch_execnz .LBB44_2769
; %bb.721:
	s_or_saveexec_b64 s[6:7], s[6:7]
	v_mov_b32_e32 v2, s10
	s_xor_b64 exec, exec, s[6:7]
	s_cbranch_execnz .LBB44_2772
.LBB44_722:
	s_or_b64 exec, exec, s[6:7]
	s_and_saveexec_b64 s[6:7], s[4:5]
	s_cbranch_execz .LBB44_724
.LBB44_723:
	v_bfe_u32 v2, v8, 16, 3
	v_ffbh_u32_e32 v7, v2
	v_min_u32_e32 v7, 32, v7
	v_lshrrev_b32_e32 v3, 19, v8
	v_subrev_u32_e32 v10, 28, v7
	v_and_b32_e32 v3, 15, v3
	v_lshlrev_b32_sdwa v10, v10, v8 dst_sel:DWORD dst_unused:UNUSED_PAD src0_sel:DWORD src1_sel:WORD_1
	v_bfe_u32 v6, v8, 19, 4
	v_sub_u32_e32 v7, 29, v7
	v_and_b32_e32 v10, 7, v10
	v_cmp_eq_u16_e32 vcc, 0, v3
	v_cndmask_b32_e32 v2, v2, v10, vcc
	v_cndmask_b32_e32 v3, v6, v7, vcc
	v_lshlrev_b32_e32 v6, 8, v8
	v_mov_b32_e32 v7, 0x3b800000
	v_lshlrev_b32_e32 v2, 20, v2
	v_and_b32_e32 v6, 0x80000000, v6
	v_lshl_add_u32 v3, v3, 23, v7
	v_or3_b32 v2, v6, v3, v2
.LBB44_724:
	s_or_b64 exec, exec, s[6:7]
	s_movk_i32 s4, 0xff
	v_and_b32_sdwa v3, v4, s4 dst_sel:DWORD dst_unused:UNUSED_PAD src0_sel:WORD_1 src1_sel:DWORD
	s_movk_i32 s4, 0x7f
	v_cmp_lt_i16_e32 vcc, s4, v3
	s_mov_b64 s[4:5], 0
                                        ; implicit-def: $sgpr10
	s_and_saveexec_b64 s[6:7], vcc
	s_xor_b64 s[6:7], exec, s[6:7]
	s_cbranch_execnz .LBB44_2773
; %bb.725:
	s_or_saveexec_b64 s[6:7], s[6:7]
	v_mov_b32_e32 v6, s10
	s_xor_b64 exec, exec, s[6:7]
	s_cbranch_execnz .LBB44_2776
.LBB44_726:
	s_or_b64 exec, exec, s[6:7]
	s_and_saveexec_b64 s[6:7], s[4:5]
	s_cbranch_execz .LBB44_728
.LBB44_727:
	v_bfe_u32 v3, v4, 16, 3
	v_ffbh_u32_e32 v10, v3
	v_min_u32_e32 v10, 32, v10
	v_lshrrev_b32_e32 v6, 19, v4
	v_subrev_u32_e32 v11, 28, v10
	v_and_b32_e32 v6, 15, v6
	v_lshlrev_b32_sdwa v11, v11, v4 dst_sel:DWORD dst_unused:UNUSED_PAD src0_sel:DWORD src1_sel:WORD_1
	v_bfe_u32 v7, v4, 19, 4
	v_sub_u32_e32 v10, 29, v10
	v_and_b32_e32 v11, 7, v11
	v_cmp_eq_u16_e32 vcc, 0, v6
	v_cndmask_b32_e32 v3, v3, v11, vcc
	v_cndmask_b32_e32 v6, v7, v10, vcc
	v_lshlrev_b32_e32 v7, 8, v4
	v_mov_b32_e32 v10, 0x3b800000
	v_lshlrev_b32_e32 v3, 20, v3
	v_and_b32_e32 v7, 0x80000000, v7
	v_lshl_add_u32 v6, v6, 23, v10
	v_or3_b32 v6, v7, v6, v3
.LBB44_728:
	s_or_b64 exec, exec, s[6:7]
	s_nop 0
	v_mfma_f32_16x16x4f32 a[0:3], v2, v6, a[0:3]
	s_movk_i32 s4, 0x7f
	v_cmp_gt_i16_sdwa s[6:7], v8, s4 src0_sel:BYTE_3 src1_sel:DWORD
	s_mov_b64 s[4:5], 0
                                        ; implicit-def: $sgpr10
	s_and_saveexec_b64 s[8:9], s[6:7]
	s_xor_b64 s[6:7], exec, s[8:9]
	s_cbranch_execnz .LBB44_2777
; %bb.729:
	s_or_saveexec_b64 s[6:7], s[6:7]
	v_mov_b32_e32 v2, s10
	s_xor_b64 exec, exec, s[6:7]
	s_cbranch_execnz .LBB44_2780
.LBB44_730:
	s_or_b64 exec, exec, s[6:7]
	s_and_saveexec_b64 s[6:7], s[4:5]
	s_cbranch_execz .LBB44_732
.LBB44_731:
	v_bfe_u32 v2, v8, 24, 3
	v_ffbh_u32_e32 v10, v2
	v_min_u32_e32 v10, 32, v10
	v_lshrrev_b32_e32 v6, 27, v8
	v_subrev_u32_e32 v11, 28, v10
	v_and_b32_e32 v3, 0x80000000, v8
	v_and_b32_e32 v6, 15, v6
	v_bfe_u32 v7, v8, 27, 4
	v_lshlrev_b32_sdwa v8, v11, v8 dst_sel:DWORD dst_unused:UNUSED_PAD src0_sel:DWORD src1_sel:BYTE_3
	v_sub_u32_e32 v10, 29, v10
	v_and_b32_e32 v8, 7, v8
	v_cmp_eq_u16_e32 vcc, 0, v6
	v_cndmask_b32_e32 v2, v2, v8, vcc
	v_cndmask_b32_e32 v6, v7, v10, vcc
	v_mov_b32_e32 v7, 0x3b800000
	v_lshlrev_b32_e32 v2, 20, v2
	v_lshl_add_u32 v6, v6, 23, v7
	v_or3_b32 v2, v3, v6, v2
.LBB44_732:
	s_or_b64 exec, exec, s[6:7]
	s_movk_i32 s4, 0x7f
	v_cmp_gt_i16_sdwa s[6:7], v4, s4 src0_sel:BYTE_3 src1_sel:DWORD
	s_mov_b64 s[4:5], 0
                                        ; implicit-def: $sgpr10
	s_and_saveexec_b64 s[8:9], s[6:7]
	s_xor_b64 s[6:7], exec, s[8:9]
	s_cbranch_execnz .LBB44_2781
; %bb.733:
	s_or_saveexec_b64 s[6:7], s[6:7]
	v_mov_b32_e32 v3, s10
	s_xor_b64 exec, exec, s[6:7]
	s_cbranch_execnz .LBB44_2784
.LBB44_734:
	s_or_b64 exec, exec, s[6:7]
	s_and_saveexec_b64 s[6:7], s[4:5]
	s_cbranch_execz .LBB44_736
.LBB44_735:
	v_bfe_u32 v3, v4, 24, 3
	v_ffbh_u32_e32 v10, v3
	v_min_u32_e32 v10, 32, v10
	v_lshrrev_b32_e32 v7, 27, v4
	v_subrev_u32_e32 v11, 28, v10
	v_and_b32_e32 v6, 0x80000000, v4
	v_and_b32_e32 v7, 15, v7
	v_bfe_u32 v8, v4, 27, 4
	v_lshlrev_b32_sdwa v4, v11, v4 dst_sel:DWORD dst_unused:UNUSED_PAD src0_sel:DWORD src1_sel:BYTE_3
	v_sub_u32_e32 v10, 29, v10
	v_and_b32_e32 v4, 7, v4
	v_cmp_eq_u16_e32 vcc, 0, v7
	v_cndmask_b32_e32 v3, v3, v4, vcc
	v_cndmask_b32_e32 v4, v8, v10, vcc
	v_mov_b32_e32 v7, 0x3b800000
	v_lshlrev_b32_e32 v3, 20, v3
	v_lshl_add_u32 v4, v4, 23, v7
	v_or3_b32 v3, v6, v4, v3
.LBB44_736:
	s_or_b64 exec, exec, s[6:7]
	s_nop 0
	v_mfma_f32_16x16x4f32 a[0:3], v2, v3, a[0:3]
	s_movk_i32 s4, 0x7f
	v_cmp_gt_i16_sdwa s[6:7], v9, s4 src0_sel:BYTE_0 src1_sel:DWORD
	s_mov_b64 s[4:5], 0
                                        ; implicit-def: $sgpr10
	s_and_saveexec_b64 s[8:9], s[6:7]
	s_xor_b64 s[6:7], exec, s[8:9]
	s_cbranch_execnz .LBB44_2785
; %bb.737:
	s_or_saveexec_b64 s[6:7], s[6:7]
	v_mov_b32_e32 v2, s10
	s_xor_b64 exec, exec, s[6:7]
	s_cbranch_execnz .LBB44_2788
.LBB44_738:
	s_or_b64 exec, exec, s[6:7]
	s_and_saveexec_b64 s[6:7], s[4:5]
	s_cbranch_execz .LBB44_740
.LBB44_739:
	v_mov_b32_e32 v2, 8
	v_and_b32_e32 v3, 7, v9
	v_lshrrev_b32_sdwa v2, v2, v9 dst_sel:BYTE_1 dst_unused:UNUSED_PAD src0_sel:DWORD src1_sel:DWORD
	v_ffbh_u32_e32 v4, v3
	v_or_b32_sdwa v2, v9, v2 dst_sel:DWORD dst_unused:UNUSED_PAD src0_sel:BYTE_0 src1_sel:DWORD
	v_min_u32_e32 v4, 32, v4
	v_lshrrev_b16_e32 v2, 3, v2
	v_subrev_u32_e32 v6, 28, v4
	v_and_b32_e32 v2, 15, v2
	v_lshlrev_b32_e32 v6, v6, v9
	v_sub_u32_e32 v4, 29, v4
	v_and_b32_e32 v6, 7, v6
	v_cmp_eq_u16_e32 vcc, 0, v2
	v_cndmask_b32_e32 v3, v3, v6, vcc
	v_cndmask_b32_e32 v2, v2, v4, vcc
	v_lshlrev_b32_e32 v4, 24, v9
	v_mov_b32_e32 v6, 0x3b800000
	v_lshlrev_b32_e32 v3, 20, v3
	v_and_b32_e32 v4, 0x80000000, v4
	v_lshl_add_u32 v2, v2, 23, v6
	v_or3_b32 v2, v4, v2, v3
.LBB44_740:
	s_or_b64 exec, exec, s[6:7]
	s_movk_i32 s4, 0x7f
	v_cmp_gt_i16_sdwa s[6:7], v5, s4 src0_sel:BYTE_0 src1_sel:DWORD
	s_mov_b64 s[4:5], 0
                                        ; implicit-def: $sgpr10
	s_and_saveexec_b64 s[8:9], s[6:7]
	s_xor_b64 s[6:7], exec, s[8:9]
	s_cbranch_execnz .LBB44_2789
; %bb.741:
	s_or_saveexec_b64 s[6:7], s[6:7]
	v_mov_b32_e32 v3, s10
	s_xor_b64 exec, exec, s[6:7]
	s_cbranch_execnz .LBB44_2792
.LBB44_742:
	s_or_b64 exec, exec, s[6:7]
	s_and_saveexec_b64 s[6:7], s[4:5]
	s_cbranch_execz .LBB44_744
.LBB44_743:
	v_mov_b32_e32 v3, 8
	v_and_b32_e32 v4, 7, v5
	v_lshrrev_b32_sdwa v3, v3, v5 dst_sel:BYTE_1 dst_unused:UNUSED_PAD src0_sel:DWORD src1_sel:DWORD
	v_ffbh_u32_e32 v6, v4
	v_or_b32_sdwa v3, v5, v3 dst_sel:DWORD dst_unused:UNUSED_PAD src0_sel:BYTE_0 src1_sel:DWORD
	v_min_u32_e32 v6, 32, v6
	v_lshrrev_b16_e32 v3, 3, v3
	v_subrev_u32_e32 v7, 28, v6
	v_and_b32_e32 v3, 15, v3
	v_lshlrev_b32_e32 v7, v7, v5
	v_sub_u32_e32 v6, 29, v6
	v_and_b32_e32 v7, 7, v7
	v_cmp_eq_u16_e32 vcc, 0, v3
	v_cndmask_b32_e32 v4, v4, v7, vcc
	v_cndmask_b32_e32 v3, v3, v6, vcc
	v_lshlrev_b32_e32 v6, 24, v5
	v_mov_b32_e32 v7, 0x3b800000
	v_lshlrev_b32_e32 v4, 20, v4
	v_and_b32_e32 v6, 0x80000000, v6
	v_lshl_add_u32 v3, v3, 23, v7
	v_or3_b32 v3, v6, v3, v4
.LBB44_744:
	s_or_b64 exec, exec, s[6:7]
	s_nop 0
	v_mfma_f32_16x16x4f32 a[0:3], v2, v3, a[0:3]
	v_lshrrev_b32_e32 v3, 8, v9
	s_movk_i32 s4, 0x7f
	v_cmp_gt_i16_sdwa s[6:7], v3, s4 src0_sel:BYTE_0 src1_sel:DWORD
	s_mov_b64 s[4:5], 0
                                        ; implicit-def: $sgpr10
	s_and_saveexec_b64 s[8:9], s[6:7]
	s_xor_b64 s[6:7], exec, s[8:9]
	s_cbranch_execnz .LBB44_2793
; %bb.745:
	s_or_saveexec_b64 s[6:7], s[6:7]
	v_mov_b32_e32 v2, s10
	s_xor_b64 exec, exec, s[6:7]
	s_cbranch_execnz .LBB44_2796
.LBB44_746:
	s_or_b64 exec, exec, s[6:7]
	s_and_saveexec_b64 s[6:7], s[4:5]
	s_cbranch_execz .LBB44_748
.LBB44_747:
	v_bfe_u32 v2, v9, 8, 3
	v_ffbh_u32_e32 v6, v2
	v_min_u32_e32 v6, 32, v6
	v_lshrrev_b16_e32 v4, 3, v3
	v_subrev_u32_e32 v7, 28, v6
	v_and_b32_e32 v4, 15, v4
	v_lshlrev_b32_e32 v3, v7, v3
	v_sub_u32_e32 v6, 29, v6
	v_and_b32_e32 v3, 7, v3
	v_cmp_eq_u16_e32 vcc, 0, v4
	v_cndmask_b32_e32 v2, v2, v3, vcc
	v_cndmask_b32_e32 v3, v4, v6, vcc
	v_lshlrev_b32_e32 v4, 16, v9
	v_mov_b32_e32 v6, 0x3b800000
	v_lshlrev_b32_e32 v2, 20, v2
	v_and_b32_e32 v4, 0x80000000, v4
	v_lshl_add_u32 v3, v3, 23, v6
	v_or3_b32 v2, v4, v3, v2
.LBB44_748:
	s_or_b64 exec, exec, s[6:7]
	v_lshrrev_b32_e32 v3, 8, v5
	s_movk_i32 s4, 0x7f
	v_cmp_gt_i16_sdwa s[6:7], v3, s4 src0_sel:BYTE_0 src1_sel:DWORD
	s_mov_b64 s[4:5], 0
                                        ; implicit-def: $sgpr10
	s_and_saveexec_b64 s[8:9], s[6:7]
	s_xor_b64 s[6:7], exec, s[8:9]
	s_cbranch_execnz .LBB44_2797
; %bb.749:
	s_or_saveexec_b64 s[6:7], s[6:7]
	v_mov_b32_e32 v4, s10
	s_xor_b64 exec, exec, s[6:7]
	s_cbranch_execnz .LBB44_2800
.LBB44_750:
	s_or_b64 exec, exec, s[6:7]
	s_and_saveexec_b64 s[6:7], s[4:5]
	s_cbranch_execz .LBB44_752
.LBB44_751:
	v_bfe_u32 v4, v5, 8, 3
	v_ffbh_u32_e32 v7, v4
	v_min_u32_e32 v7, 32, v7
	v_lshrrev_b16_e32 v6, 3, v3
	v_subrev_u32_e32 v8, 28, v7
	v_and_b32_e32 v6, 15, v6
	v_lshlrev_b32_e32 v3, v8, v3
	v_sub_u32_e32 v7, 29, v7
	v_and_b32_e32 v3, 7, v3
	v_cmp_eq_u16_e32 vcc, 0, v6
	v_cndmask_b32_e32 v3, v4, v3, vcc
	v_cndmask_b32_e32 v4, v6, v7, vcc
	v_lshlrev_b32_e32 v6, 16, v5
	v_mov_b32_e32 v7, 0x3b800000
	v_lshlrev_b32_e32 v3, 20, v3
	v_and_b32_e32 v6, 0x80000000, v6
	v_lshl_add_u32 v4, v4, 23, v7
	v_or3_b32 v4, v6, v4, v3
.LBB44_752:
	s_or_b64 exec, exec, s[6:7]
	s_nop 0
	v_mfma_f32_16x16x4f32 a[0:3], v2, v4, a[0:3]
	s_movk_i32 s4, 0xff
	v_and_b32_sdwa v3, v9, s4 dst_sel:DWORD dst_unused:UNUSED_PAD src0_sel:WORD_1 src1_sel:DWORD
	s_movk_i32 s4, 0x7f
	v_cmp_lt_i16_e32 vcc, s4, v3
	s_mov_b64 s[4:5], 0
                                        ; implicit-def: $sgpr10
	s_and_saveexec_b64 s[6:7], vcc
	s_xor_b64 s[6:7], exec, s[6:7]
	s_cbranch_execnz .LBB44_2801
; %bb.753:
	s_or_saveexec_b64 s[6:7], s[6:7]
	v_mov_b32_e32 v2, s10
	s_xor_b64 exec, exec, s[6:7]
	s_cbranch_execnz .LBB44_2804
.LBB44_754:
	s_or_b64 exec, exec, s[6:7]
	s_and_saveexec_b64 s[6:7], s[4:5]
	s_cbranch_execz .LBB44_756
.LBB44_755:
	v_bfe_u32 v2, v9, 16, 3
	v_ffbh_u32_e32 v6, v2
	v_min_u32_e32 v6, 32, v6
	v_lshrrev_b32_e32 v3, 19, v9
	v_subrev_u32_e32 v7, 28, v6
	v_and_b32_e32 v3, 15, v3
	v_lshlrev_b32_sdwa v7, v7, v9 dst_sel:DWORD dst_unused:UNUSED_PAD src0_sel:DWORD src1_sel:WORD_1
	v_bfe_u32 v4, v9, 19, 4
	v_sub_u32_e32 v6, 29, v6
	v_and_b32_e32 v7, 7, v7
	v_cmp_eq_u16_e32 vcc, 0, v3
	v_cndmask_b32_e32 v2, v2, v7, vcc
	v_cndmask_b32_e32 v3, v4, v6, vcc
	v_lshlrev_b32_e32 v4, 8, v9
	v_mov_b32_e32 v6, 0x3b800000
	v_lshlrev_b32_e32 v2, 20, v2
	v_and_b32_e32 v4, 0x80000000, v4
	v_lshl_add_u32 v3, v3, 23, v6
	v_or3_b32 v2, v4, v3, v2
.LBB44_756:
	s_or_b64 exec, exec, s[6:7]
	s_movk_i32 s4, 0xff
	v_and_b32_sdwa v3, v5, s4 dst_sel:DWORD dst_unused:UNUSED_PAD src0_sel:WORD_1 src1_sel:DWORD
	s_movk_i32 s4, 0x7f
	v_cmp_lt_i16_e32 vcc, s4, v3
	s_mov_b64 s[4:5], 0
                                        ; implicit-def: $sgpr10
	s_and_saveexec_b64 s[6:7], vcc
	s_xor_b64 s[6:7], exec, s[6:7]
	s_cbranch_execnz .LBB44_2805
; %bb.757:
	s_or_saveexec_b64 s[6:7], s[6:7]
	v_mov_b32_e32 v4, s10
	s_xor_b64 exec, exec, s[6:7]
	s_cbranch_execnz .LBB44_2808
.LBB44_758:
	s_or_b64 exec, exec, s[6:7]
	s_and_saveexec_b64 s[6:7], s[4:5]
	s_cbranch_execz .LBB44_760
.LBB44_759:
	v_bfe_u32 v3, v5, 16, 3
	v_ffbh_u32_e32 v7, v3
	v_min_u32_e32 v7, 32, v7
	v_lshrrev_b32_e32 v4, 19, v5
	v_subrev_u32_e32 v8, 28, v7
	v_and_b32_e32 v4, 15, v4
	v_lshlrev_b32_sdwa v8, v8, v5 dst_sel:DWORD dst_unused:UNUSED_PAD src0_sel:DWORD src1_sel:WORD_1
	v_bfe_u32 v6, v5, 19, 4
	v_sub_u32_e32 v7, 29, v7
	v_and_b32_e32 v8, 7, v8
	v_cmp_eq_u16_e32 vcc, 0, v4
	v_cndmask_b32_e32 v3, v3, v8, vcc
	v_cndmask_b32_e32 v4, v6, v7, vcc
	v_lshlrev_b32_e32 v6, 8, v5
	v_mov_b32_e32 v7, 0x3b800000
	v_lshlrev_b32_e32 v3, 20, v3
	v_and_b32_e32 v6, 0x80000000, v6
	v_lshl_add_u32 v4, v4, 23, v7
	v_or3_b32 v4, v6, v4, v3
.LBB44_760:
	s_or_b64 exec, exec, s[6:7]
	s_nop 0
	v_mfma_f32_16x16x4f32 a[0:3], v2, v4, a[0:3]
	s_movk_i32 s4, 0x7f
	v_cmp_gt_i16_sdwa s[6:7], v9, s4 src0_sel:BYTE_3 src1_sel:DWORD
	s_mov_b64 s[4:5], 0
                                        ; implicit-def: $sgpr10
	s_and_saveexec_b64 s[8:9], s[6:7]
	s_xor_b64 s[6:7], exec, s[8:9]
	s_cbranch_execnz .LBB44_2809
; %bb.761:
	s_or_saveexec_b64 s[6:7], s[6:7]
	v_mov_b32_e32 v2, s10
	s_xor_b64 exec, exec, s[6:7]
	s_cbranch_execnz .LBB44_2812
.LBB44_762:
	s_or_b64 exec, exec, s[6:7]
	s_and_saveexec_b64 s[6:7], s[4:5]
	s_cbranch_execz .LBB44_764
.LBB44_763:
	v_bfe_u32 v2, v9, 24, 3
	v_ffbh_u32_e32 v7, v2
	v_min_u32_e32 v7, 32, v7
	v_lshrrev_b32_e32 v4, 27, v9
	v_subrev_u32_e32 v8, 28, v7
	v_and_b32_e32 v4, 15, v4
	v_lshlrev_b32_sdwa v8, v8, v9 dst_sel:DWORD dst_unused:UNUSED_PAD src0_sel:DWORD src1_sel:BYTE_3
	v_bfe_u32 v6, v9, 27, 4
	v_sub_u32_e32 v7, 29, v7
	v_and_b32_e32 v8, 7, v8
	v_cmp_eq_u16_e32 vcc, 0, v4
	v_cndmask_b32_e32 v2, v2, v8, vcc
	v_cndmask_b32_e32 v4, v6, v7, vcc
	v_mov_b32_e32 v6, 0x3b800000
	v_and_b32_e32 v3, 0x80000000, v9
	v_lshlrev_b32_e32 v2, 20, v2
	v_lshl_add_u32 v4, v4, 23, v6
	v_or3_b32 v2, v3, v4, v2
.LBB44_764:
	s_or_b64 exec, exec, s[6:7]
	s_movk_i32 s4, 0x7f
	v_cmp_gt_i16_sdwa s[6:7], v5, s4 src0_sel:BYTE_3 src1_sel:DWORD
	s_mov_b64 s[4:5], 0
                                        ; implicit-def: $sgpr10
	s_and_saveexec_b64 s[8:9], s[6:7]
	s_xor_b64 s[6:7], exec, s[8:9]
	s_cbranch_execnz .LBB44_2813
; %bb.765:
	s_or_saveexec_b64 s[6:7], s[6:7]
	v_mov_b32_e32 v3, s10
	s_xor_b64 exec, exec, s[6:7]
	s_cbranch_execnz .LBB44_2816
.LBB44_766:
	s_or_b64 exec, exec, s[6:7]
	s_and_saveexec_b64 s[6:7], s[4:5]
	s_cbranch_execz .LBB44_768
.LBB44_767:
	v_bfe_u32 v3, v5, 24, 3
	v_ffbh_u32_e32 v8, v3
	v_min_u32_e32 v8, 32, v8
	v_lshrrev_b32_e32 v6, 27, v5
	v_subrev_u32_e32 v9, 28, v8
	v_and_b32_e32 v4, 0x80000000, v5
	v_and_b32_e32 v6, 15, v6
	v_bfe_u32 v7, v5, 27, 4
	v_lshlrev_b32_sdwa v5, v9, v5 dst_sel:DWORD dst_unused:UNUSED_PAD src0_sel:DWORD src1_sel:BYTE_3
	v_sub_u32_e32 v8, 29, v8
	v_and_b32_e32 v5, 7, v5
	v_cmp_eq_u16_e32 vcc, 0, v6
	v_cndmask_b32_e32 v3, v3, v5, vcc
	v_cndmask_b32_e32 v5, v7, v8, vcc
	v_mov_b32_e32 v6, 0x3b800000
	v_lshlrev_b32_e32 v3, 20, v3
	v_lshl_add_u32 v5, v5, 23, v6
	v_or3_b32 v3, v4, v5, v3
.LBB44_768:
	s_or_b64 exec, exec, s[6:7]
	s_nop 0
	v_mfma_f32_16x16x4f32 a[0:3], v2, v3, a[0:3]
	s_movk_i32 s4, 0x7f
                                        ; implicit-def: $sgpr10
	s_nop 7
	s_nop 1
	flat_store_dwordx4 v[18:19], a[0:3] offset:32
	flat_load_dwordx4 v[20:23], v[0:1] offset:8
	s_nop 0
	flat_load_dwordx2 v[18:19], v[0:1] offset:24
	s_waitcnt vmcnt(0) lgkmcnt(0)
	flat_load_dwordx4 v[14:17], v[20:21]
	flat_load_dwordx4 v[6:9], v[20:21] offset:16
	flat_load_dwordx4 v[10:13], v[22:23] offset:96
	;; [unrolled: 1-line block ×3, first 2 shown]
	s_waitcnt vmcnt(0) lgkmcnt(0)
	v_cmp_gt_i16_sdwa s[6:7], v14, s4 src0_sel:BYTE_0 src1_sel:DWORD
	s_mov_b64 s[4:5], 0
	s_and_saveexec_b64 s[8:9], s[6:7]
	s_xor_b64 s[6:7], exec, s[8:9]
	s_cbranch_execnz .LBB44_2817
; %bb.769:
	s_or_saveexec_b64 s[6:7], s[6:7]
	v_mov_b32_e32 v20, s10
	s_xor_b64 exec, exec, s[6:7]
	s_cbranch_execnz .LBB44_2820
.LBB44_770:
	s_or_b64 exec, exec, s[6:7]
	s_and_saveexec_b64 s[6:7], s[4:5]
	s_cbranch_execz .LBB44_772
.LBB44_771:
	v_and_b32_e32 v20, 7, v14
	v_ffbh_u32_e32 v22, v20
	v_min_u32_e32 v22, 32, v22
	v_lshrrev_b16_e32 v21, 3, v14
	v_subrev_u32_e32 v23, 28, v22
	v_and_b32_e32 v21, 15, v21
	v_lshlrev_b32_e32 v23, v23, v14
	v_sub_u32_e32 v22, 29, v22
	v_and_b32_e32 v23, 7, v23
	v_cmp_eq_u16_e32 vcc, 0, v21
	v_cndmask_b32_e32 v20, v20, v23, vcc
	v_cndmask_b32_e32 v21, v21, v22, vcc
	v_lshlrev_b32_e32 v22, 24, v14
	v_mov_b32_e32 v23, 0x3b800000
	v_lshlrev_b32_e32 v20, 20, v20
	v_and_b32_e32 v22, 0x80000000, v22
	v_lshl_add_u32 v21, v21, 23, v23
	v_or3_b32 v20, v22, v21, v20
.LBB44_772:
	s_or_b64 exec, exec, s[6:7]
	s_movk_i32 s4, 0x7f
	v_cmp_gt_i16_sdwa s[6:7], v10, s4 src0_sel:BYTE_0 src1_sel:DWORD
	s_mov_b64 s[4:5], 0
                                        ; implicit-def: $sgpr10
	s_and_saveexec_b64 s[8:9], s[6:7]
	s_xor_b64 s[6:7], exec, s[8:9]
	s_cbranch_execnz .LBB44_2821
; %bb.773:
	s_or_saveexec_b64 s[6:7], s[6:7]
	v_mov_b32_e32 v21, s10
	s_xor_b64 exec, exec, s[6:7]
	s_cbranch_execnz .LBB44_2824
.LBB44_774:
	s_or_b64 exec, exec, s[6:7]
	s_and_saveexec_b64 s[6:7], s[4:5]
	s_cbranch_execz .LBB44_776
.LBB44_775:
	v_and_b32_e32 v21, 7, v10
	v_ffbh_u32_e32 v23, v21
	v_min_u32_e32 v23, 32, v23
	v_lshrrev_b16_e32 v22, 3, v10
	v_subrev_u32_e32 v24, 28, v23
	v_and_b32_e32 v22, 15, v22
	v_lshlrev_b32_e32 v24, v24, v10
	v_sub_u32_e32 v23, 29, v23
	v_and_b32_e32 v24, 7, v24
	v_cmp_eq_u16_e32 vcc, 0, v22
	v_cndmask_b32_e32 v21, v21, v24, vcc
	v_cndmask_b32_e32 v22, v22, v23, vcc
	v_lshlrev_b32_e32 v23, 24, v10
	v_mov_b32_e32 v24, 0x3b800000
	v_lshlrev_b32_e32 v21, 20, v21
	v_and_b32_e32 v23, 0x80000000, v23
	v_lshl_add_u32 v22, v22, 23, v24
	v_or3_b32 v21, v23, v22, v21
.LBB44_776:
	s_or_b64 exec, exec, s[6:7]
	flat_load_dwordx4 a[0:3], v[18:19] offset:48
	s_movk_i32 s4, 0x7f
                                        ; implicit-def: $sgpr10
	s_waitcnt vmcnt(0) lgkmcnt(0)
	v_mfma_f32_16x16x4f32 a[0:3], v20, v21, a[0:3]
	v_lshrrev_b32_e32 v21, 8, v14
	v_cmp_gt_i16_sdwa s[6:7], v21, s4 src0_sel:BYTE_0 src1_sel:DWORD
	s_mov_b64 s[4:5], 0
	s_and_saveexec_b64 s[8:9], s[6:7]
	s_xor_b64 s[6:7], exec, s[8:9]
	s_cbranch_execnz .LBB44_2825
; %bb.777:
	s_or_saveexec_b64 s[6:7], s[6:7]
	v_mov_b32_e32 v20, s10
	s_xor_b64 exec, exec, s[6:7]
	s_cbranch_execnz .LBB44_2828
.LBB44_778:
	s_or_b64 exec, exec, s[6:7]
	s_and_saveexec_b64 s[6:7], s[4:5]
	s_cbranch_execz .LBB44_780
.LBB44_779:
	v_bfe_u32 v20, v14, 8, 3
	v_ffbh_u32_e32 v23, v20
	v_min_u32_e32 v23, 32, v23
	v_lshrrev_b16_e32 v22, 3, v21
	v_subrev_u32_e32 v24, 28, v23
	v_and_b32_e32 v22, 15, v22
	v_lshlrev_b32_e32 v21, v24, v21
	v_sub_u32_e32 v23, 29, v23
	v_and_b32_e32 v21, 7, v21
	v_cmp_eq_u16_e32 vcc, 0, v22
	v_cndmask_b32_e32 v20, v20, v21, vcc
	v_cndmask_b32_e32 v21, v22, v23, vcc
	v_lshlrev_b32_e32 v22, 16, v14
	v_mov_b32_e32 v23, 0x3b800000
	v_lshlrev_b32_e32 v20, 20, v20
	v_and_b32_e32 v22, 0x80000000, v22
	v_lshl_add_u32 v21, v21, 23, v23
	v_or3_b32 v20, v22, v21, v20
.LBB44_780:
	s_or_b64 exec, exec, s[6:7]
	v_lshrrev_b32_e32 v21, 8, v10
	s_movk_i32 s4, 0x7f
	v_cmp_gt_i16_sdwa s[6:7], v21, s4 src0_sel:BYTE_0 src1_sel:DWORD
	s_mov_b64 s[4:5], 0
                                        ; implicit-def: $sgpr10
	s_and_saveexec_b64 s[8:9], s[6:7]
	s_xor_b64 s[6:7], exec, s[8:9]
	s_cbranch_execnz .LBB44_2829
; %bb.781:
	s_or_saveexec_b64 s[6:7], s[6:7]
	v_mov_b32_e32 v22, s10
	s_xor_b64 exec, exec, s[6:7]
	s_cbranch_execnz .LBB44_2832
.LBB44_782:
	s_or_b64 exec, exec, s[6:7]
	s_and_saveexec_b64 s[6:7], s[4:5]
	s_cbranch_execz .LBB44_784
.LBB44_783:
	v_bfe_u32 v22, v10, 8, 3
	v_ffbh_u32_e32 v24, v22
	v_min_u32_e32 v24, 32, v24
	v_lshrrev_b16_e32 v23, 3, v21
	v_subrev_u32_e32 v25, 28, v24
	v_and_b32_e32 v23, 15, v23
	v_lshlrev_b32_e32 v21, v25, v21
	v_sub_u32_e32 v24, 29, v24
	v_and_b32_e32 v21, 7, v21
	v_cmp_eq_u16_e32 vcc, 0, v23
	v_cndmask_b32_e32 v21, v22, v21, vcc
	v_cndmask_b32_e32 v22, v23, v24, vcc
	v_lshlrev_b32_e32 v23, 16, v10
	v_mov_b32_e32 v24, 0x3b800000
	v_lshlrev_b32_e32 v21, 20, v21
	v_and_b32_e32 v23, 0x80000000, v23
	v_lshl_add_u32 v22, v22, 23, v24
	v_or3_b32 v22, v23, v22, v21
.LBB44_784:
	s_or_b64 exec, exec, s[6:7]
	s_nop 0
	v_mfma_f32_16x16x4f32 a[0:3], v20, v22, a[0:3]
	s_movk_i32 s4, 0xff
	v_and_b32_sdwa v21, v14, s4 dst_sel:DWORD dst_unused:UNUSED_PAD src0_sel:WORD_1 src1_sel:DWORD
	s_movk_i32 s4, 0x7f
	v_cmp_lt_i16_e32 vcc, s4, v21
	s_mov_b64 s[4:5], 0
                                        ; implicit-def: $sgpr10
	s_and_saveexec_b64 s[6:7], vcc
	s_xor_b64 s[6:7], exec, s[6:7]
	s_cbranch_execnz .LBB44_2833
; %bb.785:
	s_or_saveexec_b64 s[6:7], s[6:7]
	v_mov_b32_e32 v20, s10
	s_xor_b64 exec, exec, s[6:7]
	s_cbranch_execnz .LBB44_2836
.LBB44_786:
	s_or_b64 exec, exec, s[6:7]
	s_and_saveexec_b64 s[6:7], s[4:5]
	s_cbranch_execz .LBB44_788
.LBB44_787:
	v_bfe_u32 v20, v14, 16, 3
	v_ffbh_u32_e32 v23, v20
	v_min_u32_e32 v23, 32, v23
	v_lshrrev_b32_e32 v21, 19, v14
	v_subrev_u32_e32 v24, 28, v23
	v_and_b32_e32 v21, 15, v21
	v_lshlrev_b32_sdwa v24, v24, v14 dst_sel:DWORD dst_unused:UNUSED_PAD src0_sel:DWORD src1_sel:WORD_1
	v_bfe_u32 v22, v14, 19, 4
	v_sub_u32_e32 v23, 29, v23
	v_and_b32_e32 v24, 7, v24
	v_cmp_eq_u16_e32 vcc, 0, v21
	v_cndmask_b32_e32 v20, v20, v24, vcc
	v_cndmask_b32_e32 v21, v22, v23, vcc
	v_lshlrev_b32_e32 v22, 8, v14
	v_mov_b32_e32 v23, 0x3b800000
	v_lshlrev_b32_e32 v20, 20, v20
	v_and_b32_e32 v22, 0x80000000, v22
	v_lshl_add_u32 v21, v21, 23, v23
	v_or3_b32 v20, v22, v21, v20
.LBB44_788:
	s_or_b64 exec, exec, s[6:7]
	s_movk_i32 s4, 0xff
	v_and_b32_sdwa v21, v10, s4 dst_sel:DWORD dst_unused:UNUSED_PAD src0_sel:WORD_1 src1_sel:DWORD
	s_movk_i32 s4, 0x7f
	v_cmp_lt_i16_e32 vcc, s4, v21
	s_mov_b64 s[4:5], 0
                                        ; implicit-def: $sgpr10
	s_and_saveexec_b64 s[6:7], vcc
	s_xor_b64 s[6:7], exec, s[6:7]
	s_cbranch_execnz .LBB44_2837
; %bb.789:
	s_or_saveexec_b64 s[6:7], s[6:7]
	v_mov_b32_e32 v22, s10
	s_xor_b64 exec, exec, s[6:7]
	s_cbranch_execnz .LBB44_2840
.LBB44_790:
	s_or_b64 exec, exec, s[6:7]
	s_and_saveexec_b64 s[6:7], s[4:5]
	s_cbranch_execz .LBB44_792
.LBB44_791:
	v_bfe_u32 v21, v10, 16, 3
	v_ffbh_u32_e32 v24, v21
	v_min_u32_e32 v24, 32, v24
	v_lshrrev_b32_e32 v22, 19, v10
	v_subrev_u32_e32 v25, 28, v24
	v_and_b32_e32 v22, 15, v22
	v_lshlrev_b32_sdwa v25, v25, v10 dst_sel:DWORD dst_unused:UNUSED_PAD src0_sel:DWORD src1_sel:WORD_1
	v_bfe_u32 v23, v10, 19, 4
	v_sub_u32_e32 v24, 29, v24
	v_and_b32_e32 v25, 7, v25
	v_cmp_eq_u16_e32 vcc, 0, v22
	v_cndmask_b32_e32 v21, v21, v25, vcc
	v_cndmask_b32_e32 v22, v23, v24, vcc
	v_lshlrev_b32_e32 v23, 8, v10
	v_mov_b32_e32 v24, 0x3b800000
	v_lshlrev_b32_e32 v21, 20, v21
	v_and_b32_e32 v23, 0x80000000, v23
	v_lshl_add_u32 v22, v22, 23, v24
	v_or3_b32 v22, v23, v22, v21
.LBB44_792:
	s_or_b64 exec, exec, s[6:7]
	s_nop 0
	v_mfma_f32_16x16x4f32 a[0:3], v20, v22, a[0:3]
	s_movk_i32 s4, 0x7f
	v_cmp_gt_i16_sdwa s[6:7], v14, s4 src0_sel:BYTE_3 src1_sel:DWORD
	s_mov_b64 s[4:5], 0
                                        ; implicit-def: $sgpr10
	s_and_saveexec_b64 s[8:9], s[6:7]
	s_xor_b64 s[6:7], exec, s[8:9]
	s_cbranch_execnz .LBB44_2841
; %bb.793:
	s_or_saveexec_b64 s[6:7], s[6:7]
	v_mov_b32_e32 v20, s10
	s_xor_b64 exec, exec, s[6:7]
	s_cbranch_execnz .LBB44_2844
.LBB44_794:
	s_or_b64 exec, exec, s[6:7]
	s_and_saveexec_b64 s[6:7], s[4:5]
	s_cbranch_execz .LBB44_796
.LBB44_795:
	v_bfe_u32 v20, v14, 24, 3
	v_ffbh_u32_e32 v24, v20
	v_min_u32_e32 v24, 32, v24
	v_lshrrev_b32_e32 v22, 27, v14
	v_subrev_u32_e32 v25, 28, v24
	v_and_b32_e32 v21, 0x80000000, v14
	v_and_b32_e32 v22, 15, v22
	v_bfe_u32 v23, v14, 27, 4
	v_lshlrev_b32_sdwa v14, v25, v14 dst_sel:DWORD dst_unused:UNUSED_PAD src0_sel:DWORD src1_sel:BYTE_3
	v_sub_u32_e32 v24, 29, v24
	v_and_b32_e32 v14, 7, v14
	v_cmp_eq_u16_e32 vcc, 0, v22
	v_cndmask_b32_e32 v14, v20, v14, vcc
	v_cndmask_b32_e32 v20, v23, v24, vcc
	v_mov_b32_e32 v22, 0x3b800000
	v_lshlrev_b32_e32 v14, 20, v14
	v_lshl_add_u32 v20, v20, 23, v22
	v_or3_b32 v20, v21, v20, v14
.LBB44_796:
	s_or_b64 exec, exec, s[6:7]
	s_movk_i32 s4, 0x7f
	v_cmp_gt_i16_sdwa s[6:7], v10, s4 src0_sel:BYTE_3 src1_sel:DWORD
	s_mov_b64 s[4:5], 0
                                        ; implicit-def: $sgpr10
	s_and_saveexec_b64 s[8:9], s[6:7]
	s_xor_b64 s[6:7], exec, s[8:9]
	s_cbranch_execnz .LBB44_2845
; %bb.797:
	s_or_saveexec_b64 s[6:7], s[6:7]
	v_mov_b32_e32 v14, s10
	s_xor_b64 exec, exec, s[6:7]
	s_cbranch_execnz .LBB44_2848
.LBB44_798:
	s_or_b64 exec, exec, s[6:7]
	s_and_saveexec_b64 s[6:7], s[4:5]
	s_cbranch_execz .LBB44_800
.LBB44_799:
	v_bfe_u32 v14, v10, 24, 3
	v_ffbh_u32_e32 v24, v14
	v_min_u32_e32 v24, 32, v24
	v_lshrrev_b32_e32 v22, 27, v10
	v_subrev_u32_e32 v25, 28, v24
	v_and_b32_e32 v21, 0x80000000, v10
	v_and_b32_e32 v22, 15, v22
	v_bfe_u32 v23, v10, 27, 4
	v_lshlrev_b32_sdwa v10, v25, v10 dst_sel:DWORD dst_unused:UNUSED_PAD src0_sel:DWORD src1_sel:BYTE_3
	v_sub_u32_e32 v24, 29, v24
	v_and_b32_e32 v10, 7, v10
	v_cmp_eq_u16_e32 vcc, 0, v22
	v_cndmask_b32_e32 v10, v14, v10, vcc
	v_cndmask_b32_e32 v14, v23, v24, vcc
	v_mov_b32_e32 v22, 0x3b800000
	v_lshlrev_b32_e32 v10, 20, v10
	v_lshl_add_u32 v14, v14, 23, v22
	v_or3_b32 v14, v21, v14, v10
.LBB44_800:
	s_or_b64 exec, exec, s[6:7]
	s_nop 0
	v_mfma_f32_16x16x4f32 a[0:3], v20, v14, a[0:3]
	s_movk_i32 s4, 0x7f
	v_cmp_gt_i16_sdwa s[6:7], v15, s4 src0_sel:BYTE_0 src1_sel:DWORD
	s_mov_b64 s[4:5], 0
                                        ; implicit-def: $sgpr10
	s_and_saveexec_b64 s[8:9], s[6:7]
	s_xor_b64 s[6:7], exec, s[8:9]
	s_cbranch_execnz .LBB44_2849
; %bb.801:
	s_or_saveexec_b64 s[6:7], s[6:7]
	v_mov_b32_e32 v10, s10
	s_xor_b64 exec, exec, s[6:7]
	s_cbranch_execnz .LBB44_2852
.LBB44_802:
	s_or_b64 exec, exec, s[6:7]
	s_and_saveexec_b64 s[6:7], s[4:5]
	s_cbranch_execz .LBB44_804
.LBB44_803:
	v_and_b32_e32 v10, 7, v15
	v_ffbh_u32_e32 v20, v10
	v_min_u32_e32 v20, 32, v20
	v_lshrrev_b16_e32 v14, 3, v15
	v_subrev_u32_e32 v21, 28, v20
	v_and_b32_e32 v14, 15, v14
	v_lshlrev_b32_e32 v21, v21, v15
	v_sub_u32_e32 v20, 29, v20
	v_and_b32_e32 v21, 7, v21
	v_cmp_eq_u16_e32 vcc, 0, v14
	v_cndmask_b32_e32 v10, v10, v21, vcc
	v_cndmask_b32_e32 v14, v14, v20, vcc
	v_lshlrev_b32_e32 v20, 24, v15
	v_mov_b32_e32 v21, 0x3b800000
	v_lshlrev_b32_e32 v10, 20, v10
	v_and_b32_e32 v20, 0x80000000, v20
	v_lshl_add_u32 v14, v14, 23, v21
	v_or3_b32 v10, v20, v14, v10
.LBB44_804:
	s_or_b64 exec, exec, s[6:7]
	s_movk_i32 s4, 0x7f
	v_cmp_gt_i16_sdwa s[6:7], v11, s4 src0_sel:BYTE_0 src1_sel:DWORD
	s_mov_b64 s[4:5], 0
                                        ; implicit-def: $sgpr10
	s_and_saveexec_b64 s[8:9], s[6:7]
	s_xor_b64 s[6:7], exec, s[8:9]
	s_cbranch_execnz .LBB44_2853
; %bb.805:
	s_or_saveexec_b64 s[6:7], s[6:7]
	v_mov_b32_e32 v14, s10
	s_xor_b64 exec, exec, s[6:7]
	s_cbranch_execnz .LBB44_2856
.LBB44_806:
	s_or_b64 exec, exec, s[6:7]
	s_and_saveexec_b64 s[6:7], s[4:5]
	s_cbranch_execz .LBB44_808
.LBB44_807:
	v_and_b32_e32 v14, 7, v11
	v_ffbh_u32_e32 v21, v14
	v_min_u32_e32 v21, 32, v21
	v_lshrrev_b16_e32 v20, 3, v11
	v_subrev_u32_e32 v22, 28, v21
	v_and_b32_e32 v20, 15, v20
	v_lshlrev_b32_e32 v22, v22, v11
	v_sub_u32_e32 v21, 29, v21
	v_and_b32_e32 v22, 7, v22
	v_cmp_eq_u16_e32 vcc, 0, v20
	v_cndmask_b32_e32 v14, v14, v22, vcc
	v_cndmask_b32_e32 v20, v20, v21, vcc
	v_lshlrev_b32_e32 v21, 24, v11
	v_mov_b32_e32 v22, 0x3b800000
	v_lshlrev_b32_e32 v14, 20, v14
	v_and_b32_e32 v21, 0x80000000, v21
	v_lshl_add_u32 v20, v20, 23, v22
	v_or3_b32 v14, v21, v20, v14
.LBB44_808:
	s_or_b64 exec, exec, s[6:7]
	s_nop 0
	v_mfma_f32_16x16x4f32 a[0:3], v10, v14, a[0:3]
	v_lshrrev_b32_e32 v14, 8, v15
	s_movk_i32 s4, 0x7f
	v_cmp_gt_i16_sdwa s[6:7], v14, s4 src0_sel:BYTE_0 src1_sel:DWORD
	s_mov_b64 s[4:5], 0
                                        ; implicit-def: $sgpr10
	s_and_saveexec_b64 s[8:9], s[6:7]
	s_xor_b64 s[6:7], exec, s[8:9]
	s_cbranch_execnz .LBB44_2857
; %bb.809:
	s_or_saveexec_b64 s[6:7], s[6:7]
	v_mov_b32_e32 v10, s10
	s_xor_b64 exec, exec, s[6:7]
	s_cbranch_execnz .LBB44_2860
.LBB44_810:
	s_or_b64 exec, exec, s[6:7]
	s_and_saveexec_b64 s[6:7], s[4:5]
	s_cbranch_execz .LBB44_812
.LBB44_811:
	v_bfe_u32 v10, v15, 8, 3
	v_ffbh_u32_e32 v21, v10
	v_min_u32_e32 v21, 32, v21
	v_lshrrev_b16_e32 v20, 3, v14
	v_subrev_u32_e32 v22, 28, v21
	v_and_b32_e32 v20, 15, v20
	v_lshlrev_b32_e32 v14, v22, v14
	v_sub_u32_e32 v21, 29, v21
	v_and_b32_e32 v14, 7, v14
	v_cmp_eq_u16_e32 vcc, 0, v20
	v_cndmask_b32_e32 v10, v10, v14, vcc
	v_cndmask_b32_e32 v14, v20, v21, vcc
	v_lshlrev_b32_e32 v20, 16, v15
	v_mov_b32_e32 v21, 0x3b800000
	v_lshlrev_b32_e32 v10, 20, v10
	v_and_b32_e32 v20, 0x80000000, v20
	v_lshl_add_u32 v14, v14, 23, v21
	v_or3_b32 v10, v20, v14, v10
.LBB44_812:
	s_or_b64 exec, exec, s[6:7]
	v_lshrrev_b32_e32 v14, 8, v11
	s_movk_i32 s4, 0x7f
	v_cmp_gt_i16_sdwa s[6:7], v14, s4 src0_sel:BYTE_0 src1_sel:DWORD
	s_mov_b64 s[4:5], 0
                                        ; implicit-def: $sgpr10
	s_and_saveexec_b64 s[8:9], s[6:7]
	s_xor_b64 s[6:7], exec, s[8:9]
	s_cbranch_execnz .LBB44_2861
; %bb.813:
	s_or_saveexec_b64 s[6:7], s[6:7]
	v_mov_b32_e32 v20, s10
	s_xor_b64 exec, exec, s[6:7]
	s_cbranch_execnz .LBB44_2864
.LBB44_814:
	s_or_b64 exec, exec, s[6:7]
	s_and_saveexec_b64 s[6:7], s[4:5]
	s_cbranch_execz .LBB44_816
.LBB44_815:
	v_bfe_u32 v20, v11, 8, 3
	v_ffbh_u32_e32 v22, v20
	v_min_u32_e32 v22, 32, v22
	v_lshrrev_b16_e32 v21, 3, v14
	v_subrev_u32_e32 v23, 28, v22
	v_and_b32_e32 v21, 15, v21
	v_lshlrev_b32_e32 v14, v23, v14
	v_sub_u32_e32 v22, 29, v22
	v_and_b32_e32 v14, 7, v14
	v_cmp_eq_u16_e32 vcc, 0, v21
	v_cndmask_b32_e32 v14, v20, v14, vcc
	v_cndmask_b32_e32 v20, v21, v22, vcc
	v_lshlrev_b32_e32 v21, 16, v11
	v_mov_b32_e32 v22, 0x3b800000
	v_lshlrev_b32_e32 v14, 20, v14
	v_and_b32_e32 v21, 0x80000000, v21
	v_lshl_add_u32 v20, v20, 23, v22
	v_or3_b32 v20, v21, v20, v14
.LBB44_816:
	s_or_b64 exec, exec, s[6:7]
	s_nop 0
	v_mfma_f32_16x16x4f32 a[0:3], v10, v20, a[0:3]
	s_movk_i32 s4, 0xff
	v_and_b32_sdwa v14, v15, s4 dst_sel:DWORD dst_unused:UNUSED_PAD src0_sel:WORD_1 src1_sel:DWORD
	s_movk_i32 s4, 0x7f
	v_cmp_lt_i16_e32 vcc, s4, v14
	s_mov_b64 s[4:5], 0
                                        ; implicit-def: $sgpr10
	s_and_saveexec_b64 s[6:7], vcc
	s_xor_b64 s[6:7], exec, s[6:7]
	s_cbranch_execnz .LBB44_2865
; %bb.817:
	s_or_saveexec_b64 s[6:7], s[6:7]
	v_mov_b32_e32 v10, s10
	s_xor_b64 exec, exec, s[6:7]
	s_cbranch_execnz .LBB44_2868
.LBB44_818:
	s_or_b64 exec, exec, s[6:7]
	s_and_saveexec_b64 s[6:7], s[4:5]
	s_cbranch_execz .LBB44_820
.LBB44_819:
	v_bfe_u32 v10, v15, 16, 3
	v_ffbh_u32_e32 v21, v10
	v_min_u32_e32 v21, 32, v21
	v_lshrrev_b32_e32 v14, 19, v15
	v_subrev_u32_e32 v22, 28, v21
	v_and_b32_e32 v14, 15, v14
	v_lshlrev_b32_sdwa v22, v22, v15 dst_sel:DWORD dst_unused:UNUSED_PAD src0_sel:DWORD src1_sel:WORD_1
	v_bfe_u32 v20, v15, 19, 4
	v_sub_u32_e32 v21, 29, v21
	v_and_b32_e32 v22, 7, v22
	v_cmp_eq_u16_e32 vcc, 0, v14
	v_cndmask_b32_e32 v10, v10, v22, vcc
	v_cndmask_b32_e32 v14, v20, v21, vcc
	v_lshlrev_b32_e32 v20, 8, v15
	v_mov_b32_e32 v21, 0x3b800000
	v_lshlrev_b32_e32 v10, 20, v10
	v_and_b32_e32 v20, 0x80000000, v20
	v_lshl_add_u32 v14, v14, 23, v21
	v_or3_b32 v10, v20, v14, v10
.LBB44_820:
	s_or_b64 exec, exec, s[6:7]
	s_movk_i32 s4, 0xff
	v_and_b32_sdwa v14, v11, s4 dst_sel:DWORD dst_unused:UNUSED_PAD src0_sel:WORD_1 src1_sel:DWORD
	s_movk_i32 s4, 0x7f
	v_cmp_lt_i16_e32 vcc, s4, v14
	s_mov_b64 s[4:5], 0
                                        ; implicit-def: $sgpr10
	s_and_saveexec_b64 s[6:7], vcc
	s_xor_b64 s[6:7], exec, s[6:7]
	s_cbranch_execnz .LBB44_2869
; %bb.821:
	s_or_saveexec_b64 s[6:7], s[6:7]
	v_mov_b32_e32 v20, s10
	s_xor_b64 exec, exec, s[6:7]
	s_cbranch_execnz .LBB44_2872
.LBB44_822:
	s_or_b64 exec, exec, s[6:7]
	s_and_saveexec_b64 s[6:7], s[4:5]
	s_cbranch_execz .LBB44_824
.LBB44_823:
	v_bfe_u32 v14, v11, 16, 3
	v_ffbh_u32_e32 v22, v14
	v_min_u32_e32 v22, 32, v22
	v_lshrrev_b32_e32 v20, 19, v11
	v_subrev_u32_e32 v23, 28, v22
	v_and_b32_e32 v20, 15, v20
	v_lshlrev_b32_sdwa v23, v23, v11 dst_sel:DWORD dst_unused:UNUSED_PAD src0_sel:DWORD src1_sel:WORD_1
	v_bfe_u32 v21, v11, 19, 4
	v_sub_u32_e32 v22, 29, v22
	v_and_b32_e32 v23, 7, v23
	v_cmp_eq_u16_e32 vcc, 0, v20
	v_cndmask_b32_e32 v14, v14, v23, vcc
	v_cndmask_b32_e32 v20, v21, v22, vcc
	v_lshlrev_b32_e32 v21, 8, v11
	v_mov_b32_e32 v22, 0x3b800000
	v_lshlrev_b32_e32 v14, 20, v14
	v_and_b32_e32 v21, 0x80000000, v21
	v_lshl_add_u32 v20, v20, 23, v22
	v_or3_b32 v20, v21, v20, v14
.LBB44_824:
	s_or_b64 exec, exec, s[6:7]
	s_nop 0
	v_mfma_f32_16x16x4f32 a[0:3], v10, v20, a[0:3]
	s_movk_i32 s4, 0x7f
	v_cmp_gt_i16_sdwa s[6:7], v15, s4 src0_sel:BYTE_3 src1_sel:DWORD
	s_mov_b64 s[4:5], 0
                                        ; implicit-def: $sgpr10
	s_and_saveexec_b64 s[8:9], s[6:7]
	s_xor_b64 s[6:7], exec, s[8:9]
	s_cbranch_execnz .LBB44_2873
; %bb.825:
	s_or_saveexec_b64 s[6:7], s[6:7]
	v_mov_b32_e32 v10, s10
	s_xor_b64 exec, exec, s[6:7]
	s_cbranch_execnz .LBB44_2876
.LBB44_826:
	s_or_b64 exec, exec, s[6:7]
	s_and_saveexec_b64 s[6:7], s[4:5]
	s_cbranch_execz .LBB44_828
.LBB44_827:
	v_bfe_u32 v10, v15, 24, 3
	v_ffbh_u32_e32 v22, v10
	v_min_u32_e32 v22, 32, v22
	v_lshrrev_b32_e32 v20, 27, v15
	v_subrev_u32_e32 v23, 28, v22
	v_and_b32_e32 v14, 0x80000000, v15
	v_and_b32_e32 v20, 15, v20
	v_bfe_u32 v21, v15, 27, 4
	v_lshlrev_b32_sdwa v15, v23, v15 dst_sel:DWORD dst_unused:UNUSED_PAD src0_sel:DWORD src1_sel:BYTE_3
	v_sub_u32_e32 v22, 29, v22
	v_and_b32_e32 v15, 7, v15
	v_cmp_eq_u16_e32 vcc, 0, v20
	v_cndmask_b32_e32 v10, v10, v15, vcc
	v_cndmask_b32_e32 v15, v21, v22, vcc
	v_mov_b32_e32 v20, 0x3b800000
	v_lshlrev_b32_e32 v10, 20, v10
	v_lshl_add_u32 v15, v15, 23, v20
	v_or3_b32 v10, v14, v15, v10
.LBB44_828:
	s_or_b64 exec, exec, s[6:7]
	s_movk_i32 s4, 0x7f
	v_cmp_gt_i16_sdwa s[6:7], v11, s4 src0_sel:BYTE_3 src1_sel:DWORD
	s_mov_b64 s[4:5], 0
                                        ; implicit-def: $sgpr10
	s_and_saveexec_b64 s[8:9], s[6:7]
	s_xor_b64 s[6:7], exec, s[8:9]
	s_cbranch_execnz .LBB44_2877
; %bb.829:
	s_or_saveexec_b64 s[6:7], s[6:7]
	v_mov_b32_e32 v14, s10
	s_xor_b64 exec, exec, s[6:7]
	s_cbranch_execnz .LBB44_2880
.LBB44_830:
	s_or_b64 exec, exec, s[6:7]
	s_and_saveexec_b64 s[6:7], s[4:5]
	s_cbranch_execz .LBB44_832
.LBB44_831:
	v_bfe_u32 v14, v11, 24, 3
	v_ffbh_u32_e32 v22, v14
	v_min_u32_e32 v22, 32, v22
	v_lshrrev_b32_e32 v20, 27, v11
	v_subrev_u32_e32 v23, 28, v22
	v_and_b32_e32 v15, 0x80000000, v11
	v_and_b32_e32 v20, 15, v20
	v_bfe_u32 v21, v11, 27, 4
	v_lshlrev_b32_sdwa v11, v23, v11 dst_sel:DWORD dst_unused:UNUSED_PAD src0_sel:DWORD src1_sel:BYTE_3
	v_sub_u32_e32 v22, 29, v22
	v_and_b32_e32 v11, 7, v11
	v_cmp_eq_u16_e32 vcc, 0, v20
	v_cndmask_b32_e32 v11, v14, v11, vcc
	v_cndmask_b32_e32 v14, v21, v22, vcc
	v_mov_b32_e32 v20, 0x3b800000
	v_lshlrev_b32_e32 v11, 20, v11
	v_lshl_add_u32 v14, v14, 23, v20
	v_or3_b32 v14, v15, v14, v11
.LBB44_832:
	s_or_b64 exec, exec, s[6:7]
	s_nop 0
	v_mfma_f32_16x16x4f32 a[0:3], v10, v14, a[0:3]
	s_movk_i32 s4, 0x7f
	v_cmp_gt_i16_sdwa s[6:7], v16, s4 src0_sel:BYTE_0 src1_sel:DWORD
	s_mov_b64 s[4:5], 0
                                        ; implicit-def: $sgpr10
	s_and_saveexec_b64 s[8:9], s[6:7]
	s_xor_b64 s[6:7], exec, s[8:9]
	s_cbranch_execnz .LBB44_2881
; %bb.833:
	s_or_saveexec_b64 s[6:7], s[6:7]
	v_mov_b32_e32 v10, s10
	s_xor_b64 exec, exec, s[6:7]
	s_cbranch_execnz .LBB44_2884
.LBB44_834:
	s_or_b64 exec, exec, s[6:7]
	s_and_saveexec_b64 s[6:7], s[4:5]
	s_cbranch_execz .LBB44_836
.LBB44_835:
	v_and_b32_e32 v10, 7, v16
	v_ffbh_u32_e32 v14, v10
	v_min_u32_e32 v14, 32, v14
	v_lshrrev_b16_e32 v11, 3, v16
	v_subrev_u32_e32 v15, 28, v14
	v_and_b32_e32 v11, 15, v11
	v_lshlrev_b32_e32 v15, v15, v16
	v_sub_u32_e32 v14, 29, v14
	v_and_b32_e32 v15, 7, v15
	v_cmp_eq_u16_e32 vcc, 0, v11
	v_cndmask_b32_e32 v10, v10, v15, vcc
	v_cndmask_b32_e32 v11, v11, v14, vcc
	v_lshlrev_b32_e32 v14, 24, v16
	v_mov_b32_e32 v15, 0x3b800000
	v_lshlrev_b32_e32 v10, 20, v10
	v_and_b32_e32 v14, 0x80000000, v14
	v_lshl_add_u32 v11, v11, 23, v15
	v_or3_b32 v10, v14, v11, v10
.LBB44_836:
	s_or_b64 exec, exec, s[6:7]
	s_movk_i32 s4, 0x7f
	v_cmp_gt_i16_sdwa s[6:7], v12, s4 src0_sel:BYTE_0 src1_sel:DWORD
	s_mov_b64 s[4:5], 0
                                        ; implicit-def: $sgpr10
	s_and_saveexec_b64 s[8:9], s[6:7]
	s_xor_b64 s[6:7], exec, s[8:9]
	s_cbranch_execnz .LBB44_2885
; %bb.837:
	s_or_saveexec_b64 s[6:7], s[6:7]
	v_mov_b32_e32 v11, s10
	s_xor_b64 exec, exec, s[6:7]
	s_cbranch_execnz .LBB44_2888
.LBB44_838:
	s_or_b64 exec, exec, s[6:7]
	s_and_saveexec_b64 s[6:7], s[4:5]
	s_cbranch_execz .LBB44_840
.LBB44_839:
	v_and_b32_e32 v11, 7, v12
	v_ffbh_u32_e32 v15, v11
	v_min_u32_e32 v15, 32, v15
	v_lshrrev_b16_e32 v14, 3, v12
	v_subrev_u32_e32 v20, 28, v15
	v_and_b32_e32 v14, 15, v14
	v_lshlrev_b32_e32 v20, v20, v12
	v_sub_u32_e32 v15, 29, v15
	v_and_b32_e32 v20, 7, v20
	v_cmp_eq_u16_e32 vcc, 0, v14
	v_cndmask_b32_e32 v11, v11, v20, vcc
	v_cndmask_b32_e32 v14, v14, v15, vcc
	v_lshlrev_b32_e32 v15, 24, v12
	v_mov_b32_e32 v20, 0x3b800000
	v_lshlrev_b32_e32 v11, 20, v11
	v_and_b32_e32 v15, 0x80000000, v15
	v_lshl_add_u32 v14, v14, 23, v20
	v_or3_b32 v11, v15, v14, v11
.LBB44_840:
	s_or_b64 exec, exec, s[6:7]
	s_nop 0
	v_mfma_f32_16x16x4f32 a[0:3], v10, v11, a[0:3]
	v_lshrrev_b32_e32 v11, 8, v16
	s_movk_i32 s4, 0x7f
	v_cmp_gt_i16_sdwa s[6:7], v11, s4 src0_sel:BYTE_0 src1_sel:DWORD
	s_mov_b64 s[4:5], 0
                                        ; implicit-def: $sgpr10
	s_and_saveexec_b64 s[8:9], s[6:7]
	s_xor_b64 s[6:7], exec, s[8:9]
	s_cbranch_execnz .LBB44_2889
; %bb.841:
	s_or_saveexec_b64 s[6:7], s[6:7]
	v_mov_b32_e32 v10, s10
	s_xor_b64 exec, exec, s[6:7]
	s_cbranch_execnz .LBB44_2892
.LBB44_842:
	s_or_b64 exec, exec, s[6:7]
	s_and_saveexec_b64 s[6:7], s[4:5]
	s_cbranch_execz .LBB44_844
.LBB44_843:
	v_bfe_u32 v10, v16, 8, 3
	v_ffbh_u32_e32 v15, v10
	v_min_u32_e32 v15, 32, v15
	v_lshrrev_b16_e32 v14, 3, v11
	v_subrev_u32_e32 v20, 28, v15
	v_and_b32_e32 v14, 15, v14
	v_lshlrev_b32_e32 v11, v20, v11
	v_sub_u32_e32 v15, 29, v15
	v_and_b32_e32 v11, 7, v11
	v_cmp_eq_u16_e32 vcc, 0, v14
	v_cndmask_b32_e32 v10, v10, v11, vcc
	v_cndmask_b32_e32 v11, v14, v15, vcc
	v_lshlrev_b32_e32 v14, 16, v16
	v_mov_b32_e32 v15, 0x3b800000
	v_lshlrev_b32_e32 v10, 20, v10
	v_and_b32_e32 v14, 0x80000000, v14
	v_lshl_add_u32 v11, v11, 23, v15
	v_or3_b32 v10, v14, v11, v10
.LBB44_844:
	s_or_b64 exec, exec, s[6:7]
	v_lshrrev_b32_e32 v11, 8, v12
	s_movk_i32 s4, 0x7f
	v_cmp_gt_i16_sdwa s[6:7], v11, s4 src0_sel:BYTE_0 src1_sel:DWORD
	s_mov_b64 s[4:5], 0
                                        ; implicit-def: $sgpr10
	s_and_saveexec_b64 s[8:9], s[6:7]
	s_xor_b64 s[6:7], exec, s[8:9]
	s_cbranch_execnz .LBB44_2893
; %bb.845:
	s_or_saveexec_b64 s[6:7], s[6:7]
	v_mov_b32_e32 v14, s10
	s_xor_b64 exec, exec, s[6:7]
	s_cbranch_execnz .LBB44_2896
.LBB44_846:
	s_or_b64 exec, exec, s[6:7]
	s_and_saveexec_b64 s[6:7], s[4:5]
	s_cbranch_execz .LBB44_848
.LBB44_847:
	v_bfe_u32 v14, v12, 8, 3
	v_ffbh_u32_e32 v20, v14
	v_min_u32_e32 v20, 32, v20
	v_lshrrev_b16_e32 v15, 3, v11
	v_subrev_u32_e32 v21, 28, v20
	v_and_b32_e32 v15, 15, v15
	v_lshlrev_b32_e32 v11, v21, v11
	v_sub_u32_e32 v20, 29, v20
	v_and_b32_e32 v11, 7, v11
	v_cmp_eq_u16_e32 vcc, 0, v15
	v_cndmask_b32_e32 v11, v14, v11, vcc
	v_cndmask_b32_e32 v14, v15, v20, vcc
	v_lshlrev_b32_e32 v15, 16, v12
	v_mov_b32_e32 v20, 0x3b800000
	v_lshlrev_b32_e32 v11, 20, v11
	v_and_b32_e32 v15, 0x80000000, v15
	v_lshl_add_u32 v14, v14, 23, v20
	v_or3_b32 v14, v15, v14, v11
.LBB44_848:
	s_or_b64 exec, exec, s[6:7]
	s_nop 0
	v_mfma_f32_16x16x4f32 a[0:3], v10, v14, a[0:3]
	s_movk_i32 s4, 0xff
	v_and_b32_sdwa v11, v16, s4 dst_sel:DWORD dst_unused:UNUSED_PAD src0_sel:WORD_1 src1_sel:DWORD
	s_movk_i32 s4, 0x7f
	v_cmp_lt_i16_e32 vcc, s4, v11
	s_mov_b64 s[4:5], 0
                                        ; implicit-def: $sgpr10
	s_and_saveexec_b64 s[6:7], vcc
	s_xor_b64 s[6:7], exec, s[6:7]
	s_cbranch_execnz .LBB44_2897
; %bb.849:
	s_or_saveexec_b64 s[6:7], s[6:7]
	v_mov_b32_e32 v10, s10
	s_xor_b64 exec, exec, s[6:7]
	s_cbranch_execnz .LBB44_2900
.LBB44_850:
	s_or_b64 exec, exec, s[6:7]
	s_and_saveexec_b64 s[6:7], s[4:5]
	s_cbranch_execz .LBB44_852
.LBB44_851:
	v_bfe_u32 v10, v16, 16, 3
	v_ffbh_u32_e32 v15, v10
	v_min_u32_e32 v15, 32, v15
	v_lshrrev_b32_e32 v11, 19, v16
	v_subrev_u32_e32 v20, 28, v15
	v_and_b32_e32 v11, 15, v11
	v_lshlrev_b32_sdwa v20, v20, v16 dst_sel:DWORD dst_unused:UNUSED_PAD src0_sel:DWORD src1_sel:WORD_1
	v_bfe_u32 v14, v16, 19, 4
	v_sub_u32_e32 v15, 29, v15
	v_and_b32_e32 v20, 7, v20
	v_cmp_eq_u16_e32 vcc, 0, v11
	v_cndmask_b32_e32 v10, v10, v20, vcc
	v_cndmask_b32_e32 v11, v14, v15, vcc
	v_lshlrev_b32_e32 v14, 8, v16
	v_mov_b32_e32 v15, 0x3b800000
	v_lshlrev_b32_e32 v10, 20, v10
	v_and_b32_e32 v14, 0x80000000, v14
	v_lshl_add_u32 v11, v11, 23, v15
	v_or3_b32 v10, v14, v11, v10
.LBB44_852:
	s_or_b64 exec, exec, s[6:7]
	s_movk_i32 s4, 0xff
	v_and_b32_sdwa v11, v12, s4 dst_sel:DWORD dst_unused:UNUSED_PAD src0_sel:WORD_1 src1_sel:DWORD
	s_movk_i32 s4, 0x7f
	v_cmp_lt_i16_e32 vcc, s4, v11
	s_mov_b64 s[4:5], 0
                                        ; implicit-def: $sgpr10
	s_and_saveexec_b64 s[6:7], vcc
	s_xor_b64 s[6:7], exec, s[6:7]
	s_cbranch_execnz .LBB44_2901
; %bb.853:
	s_or_saveexec_b64 s[6:7], s[6:7]
	v_mov_b32_e32 v14, s10
	s_xor_b64 exec, exec, s[6:7]
	s_cbranch_execnz .LBB44_2904
.LBB44_854:
	s_or_b64 exec, exec, s[6:7]
	s_and_saveexec_b64 s[6:7], s[4:5]
	s_cbranch_execz .LBB44_856
.LBB44_855:
	v_bfe_u32 v11, v12, 16, 3
	v_ffbh_u32_e32 v20, v11
	v_min_u32_e32 v20, 32, v20
	v_lshrrev_b32_e32 v14, 19, v12
	v_subrev_u32_e32 v21, 28, v20
	v_and_b32_e32 v14, 15, v14
	v_lshlrev_b32_sdwa v21, v21, v12 dst_sel:DWORD dst_unused:UNUSED_PAD src0_sel:DWORD src1_sel:WORD_1
	v_bfe_u32 v15, v12, 19, 4
	v_sub_u32_e32 v20, 29, v20
	v_and_b32_e32 v21, 7, v21
	v_cmp_eq_u16_e32 vcc, 0, v14
	v_cndmask_b32_e32 v11, v11, v21, vcc
	v_cndmask_b32_e32 v14, v15, v20, vcc
	v_lshlrev_b32_e32 v15, 8, v12
	v_mov_b32_e32 v20, 0x3b800000
	v_lshlrev_b32_e32 v11, 20, v11
	v_and_b32_e32 v15, 0x80000000, v15
	v_lshl_add_u32 v14, v14, 23, v20
	v_or3_b32 v14, v15, v14, v11
.LBB44_856:
	s_or_b64 exec, exec, s[6:7]
	s_nop 0
	v_mfma_f32_16x16x4f32 a[0:3], v10, v14, a[0:3]
	s_movk_i32 s4, 0x7f
	v_cmp_gt_i16_sdwa s[6:7], v16, s4 src0_sel:BYTE_3 src1_sel:DWORD
	s_mov_b64 s[4:5], 0
                                        ; implicit-def: $sgpr10
	s_and_saveexec_b64 s[8:9], s[6:7]
	s_xor_b64 s[6:7], exec, s[8:9]
	s_cbranch_execnz .LBB44_2905
; %bb.857:
	s_or_saveexec_b64 s[6:7], s[6:7]
	v_mov_b32_e32 v10, s10
	s_xor_b64 exec, exec, s[6:7]
	s_cbranch_execnz .LBB44_2908
.LBB44_858:
	s_or_b64 exec, exec, s[6:7]
	s_and_saveexec_b64 s[6:7], s[4:5]
	s_cbranch_execz .LBB44_860
.LBB44_859:
	v_bfe_u32 v10, v16, 24, 3
	v_ffbh_u32_e32 v20, v10
	v_min_u32_e32 v20, 32, v20
	v_lshrrev_b32_e32 v14, 27, v16
	v_subrev_u32_e32 v21, 28, v20
	v_and_b32_e32 v11, 0x80000000, v16
	v_and_b32_e32 v14, 15, v14
	v_bfe_u32 v15, v16, 27, 4
	v_lshlrev_b32_sdwa v16, v21, v16 dst_sel:DWORD dst_unused:UNUSED_PAD src0_sel:DWORD src1_sel:BYTE_3
	v_sub_u32_e32 v20, 29, v20
	v_and_b32_e32 v16, 7, v16
	v_cmp_eq_u16_e32 vcc, 0, v14
	v_cndmask_b32_e32 v10, v10, v16, vcc
	v_cndmask_b32_e32 v14, v15, v20, vcc
	v_mov_b32_e32 v15, 0x3b800000
	v_lshlrev_b32_e32 v10, 20, v10
	v_lshl_add_u32 v14, v14, 23, v15
	v_or3_b32 v10, v11, v14, v10
.LBB44_860:
	s_or_b64 exec, exec, s[6:7]
	s_movk_i32 s4, 0x7f
	v_cmp_gt_i16_sdwa s[6:7], v12, s4 src0_sel:BYTE_3 src1_sel:DWORD
	s_mov_b64 s[4:5], 0
                                        ; implicit-def: $sgpr10
	s_and_saveexec_b64 s[8:9], s[6:7]
	s_xor_b64 s[6:7], exec, s[8:9]
	s_cbranch_execnz .LBB44_2909
; %bb.861:
	s_or_saveexec_b64 s[6:7], s[6:7]
	v_mov_b32_e32 v11, s10
	s_xor_b64 exec, exec, s[6:7]
	s_cbranch_execnz .LBB44_2912
.LBB44_862:
	s_or_b64 exec, exec, s[6:7]
	s_and_saveexec_b64 s[6:7], s[4:5]
	s_cbranch_execz .LBB44_864
.LBB44_863:
	v_bfe_u32 v11, v12, 24, 3
	v_ffbh_u32_e32 v20, v11
	v_min_u32_e32 v20, 32, v20
	v_lshrrev_b32_e32 v15, 27, v12
	v_subrev_u32_e32 v21, 28, v20
	v_and_b32_e32 v14, 0x80000000, v12
	v_and_b32_e32 v15, 15, v15
	v_bfe_u32 v16, v12, 27, 4
	v_lshlrev_b32_sdwa v12, v21, v12 dst_sel:DWORD dst_unused:UNUSED_PAD src0_sel:DWORD src1_sel:BYTE_3
	v_sub_u32_e32 v20, 29, v20
	v_and_b32_e32 v12, 7, v12
	v_cmp_eq_u16_e32 vcc, 0, v15
	v_cndmask_b32_e32 v11, v11, v12, vcc
	v_cndmask_b32_e32 v12, v16, v20, vcc
	v_mov_b32_e32 v15, 0x3b800000
	v_lshlrev_b32_e32 v11, 20, v11
	v_lshl_add_u32 v12, v12, 23, v15
	v_or3_b32 v11, v14, v12, v11
.LBB44_864:
	s_or_b64 exec, exec, s[6:7]
	s_nop 0
	v_mfma_f32_16x16x4f32 a[0:3], v10, v11, a[0:3]
	s_movk_i32 s4, 0x7f
	v_cmp_gt_i16_sdwa s[6:7], v17, s4 src0_sel:BYTE_0 src1_sel:DWORD
	s_mov_b64 s[4:5], 0
                                        ; implicit-def: $sgpr10
	s_and_saveexec_b64 s[8:9], s[6:7]
	s_xor_b64 s[6:7], exec, s[8:9]
	s_cbranch_execnz .LBB44_2913
; %bb.865:
	s_or_saveexec_b64 s[6:7], s[6:7]
	v_mov_b32_e32 v10, s10
	s_xor_b64 exec, exec, s[6:7]
	s_cbranch_execnz .LBB44_2916
.LBB44_866:
	s_or_b64 exec, exec, s[6:7]
	s_and_saveexec_b64 s[6:7], s[4:5]
	s_cbranch_execz .LBB44_868
.LBB44_867:
	v_and_b32_e32 v10, 7, v17
	v_ffbh_u32_e32 v12, v10
	v_min_u32_e32 v12, 32, v12
	v_lshrrev_b16_e32 v11, 3, v17
	v_subrev_u32_e32 v14, 28, v12
	v_and_b32_e32 v11, 15, v11
	v_lshlrev_b32_e32 v14, v14, v17
	v_sub_u32_e32 v12, 29, v12
	v_and_b32_e32 v14, 7, v14
	v_cmp_eq_u16_e32 vcc, 0, v11
	v_cndmask_b32_e32 v10, v10, v14, vcc
	v_cndmask_b32_e32 v11, v11, v12, vcc
	v_lshlrev_b32_e32 v12, 24, v17
	v_mov_b32_e32 v14, 0x3b800000
	v_lshlrev_b32_e32 v10, 20, v10
	v_and_b32_e32 v12, 0x80000000, v12
	v_lshl_add_u32 v11, v11, 23, v14
	v_or3_b32 v10, v12, v11, v10
.LBB44_868:
	s_or_b64 exec, exec, s[6:7]
	s_movk_i32 s4, 0x7f
	v_cmp_gt_i16_sdwa s[6:7], v13, s4 src0_sel:BYTE_0 src1_sel:DWORD
	s_mov_b64 s[4:5], 0
                                        ; implicit-def: $sgpr10
	s_and_saveexec_b64 s[8:9], s[6:7]
	s_xor_b64 s[6:7], exec, s[8:9]
	s_cbranch_execnz .LBB44_2917
; %bb.869:
	s_or_saveexec_b64 s[6:7], s[6:7]
	v_mov_b32_e32 v11, s10
	s_xor_b64 exec, exec, s[6:7]
	s_cbranch_execnz .LBB44_2920
.LBB44_870:
	s_or_b64 exec, exec, s[6:7]
	s_and_saveexec_b64 s[6:7], s[4:5]
	s_cbranch_execz .LBB44_872
.LBB44_871:
	v_and_b32_e32 v11, 7, v13
	v_ffbh_u32_e32 v14, v11
	v_min_u32_e32 v14, 32, v14
	v_lshrrev_b16_e32 v12, 3, v13
	v_subrev_u32_e32 v15, 28, v14
	v_and_b32_e32 v12, 15, v12
	v_lshlrev_b32_e32 v15, v15, v13
	v_sub_u32_e32 v14, 29, v14
	v_and_b32_e32 v15, 7, v15
	v_cmp_eq_u16_e32 vcc, 0, v12
	v_cndmask_b32_e32 v11, v11, v15, vcc
	v_cndmask_b32_e32 v12, v12, v14, vcc
	v_lshlrev_b32_e32 v14, 24, v13
	v_mov_b32_e32 v15, 0x3b800000
	v_lshlrev_b32_e32 v11, 20, v11
	v_and_b32_e32 v14, 0x80000000, v14
	v_lshl_add_u32 v12, v12, 23, v15
	v_or3_b32 v11, v14, v12, v11
.LBB44_872:
	s_or_b64 exec, exec, s[6:7]
	s_nop 0
	v_mfma_f32_16x16x4f32 a[0:3], v10, v11, a[0:3]
	v_lshrrev_b32_e32 v11, 8, v17
	s_movk_i32 s4, 0x7f
	v_cmp_gt_i16_sdwa s[6:7], v11, s4 src0_sel:BYTE_0 src1_sel:DWORD
	s_mov_b64 s[4:5], 0
                                        ; implicit-def: $sgpr10
	s_and_saveexec_b64 s[8:9], s[6:7]
	s_xor_b64 s[6:7], exec, s[8:9]
	s_cbranch_execnz .LBB44_2921
; %bb.873:
	s_or_saveexec_b64 s[6:7], s[6:7]
	v_mov_b32_e32 v10, s10
	s_xor_b64 exec, exec, s[6:7]
	s_cbranch_execnz .LBB44_2924
.LBB44_874:
	s_or_b64 exec, exec, s[6:7]
	s_and_saveexec_b64 s[6:7], s[4:5]
	s_cbranch_execz .LBB44_876
.LBB44_875:
	v_bfe_u32 v10, v17, 8, 3
	v_ffbh_u32_e32 v14, v10
	v_min_u32_e32 v14, 32, v14
	v_lshrrev_b16_e32 v12, 3, v11
	v_subrev_u32_e32 v15, 28, v14
	v_and_b32_e32 v12, 15, v12
	v_lshlrev_b32_e32 v11, v15, v11
	v_sub_u32_e32 v14, 29, v14
	v_and_b32_e32 v11, 7, v11
	v_cmp_eq_u16_e32 vcc, 0, v12
	v_cndmask_b32_e32 v10, v10, v11, vcc
	v_cndmask_b32_e32 v11, v12, v14, vcc
	v_lshlrev_b32_e32 v12, 16, v17
	v_mov_b32_e32 v14, 0x3b800000
	v_lshlrev_b32_e32 v10, 20, v10
	v_and_b32_e32 v12, 0x80000000, v12
	v_lshl_add_u32 v11, v11, 23, v14
	v_or3_b32 v10, v12, v11, v10
.LBB44_876:
	s_or_b64 exec, exec, s[6:7]
	v_lshrrev_b32_e32 v11, 8, v13
	s_movk_i32 s4, 0x7f
	v_cmp_gt_i16_sdwa s[6:7], v11, s4 src0_sel:BYTE_0 src1_sel:DWORD
	s_mov_b64 s[4:5], 0
                                        ; implicit-def: $sgpr10
	s_and_saveexec_b64 s[8:9], s[6:7]
	s_xor_b64 s[6:7], exec, s[8:9]
	s_cbranch_execnz .LBB44_2925
; %bb.877:
	s_or_saveexec_b64 s[6:7], s[6:7]
	v_mov_b32_e32 v12, s10
	s_xor_b64 exec, exec, s[6:7]
	s_cbranch_execnz .LBB44_2928
.LBB44_878:
	s_or_b64 exec, exec, s[6:7]
	s_and_saveexec_b64 s[6:7], s[4:5]
	s_cbranch_execz .LBB44_880
.LBB44_879:
	v_bfe_u32 v12, v13, 8, 3
	v_ffbh_u32_e32 v15, v12
	v_min_u32_e32 v15, 32, v15
	v_lshrrev_b16_e32 v14, 3, v11
	v_subrev_u32_e32 v16, 28, v15
	v_and_b32_e32 v14, 15, v14
	v_lshlrev_b32_e32 v11, v16, v11
	v_sub_u32_e32 v15, 29, v15
	v_and_b32_e32 v11, 7, v11
	v_cmp_eq_u16_e32 vcc, 0, v14
	v_cndmask_b32_e32 v11, v12, v11, vcc
	v_cndmask_b32_e32 v12, v14, v15, vcc
	v_lshlrev_b32_e32 v14, 16, v13
	v_mov_b32_e32 v15, 0x3b800000
	v_lshlrev_b32_e32 v11, 20, v11
	v_and_b32_e32 v14, 0x80000000, v14
	v_lshl_add_u32 v12, v12, 23, v15
	v_or3_b32 v12, v14, v12, v11
.LBB44_880:
	s_or_b64 exec, exec, s[6:7]
	s_nop 0
	v_mfma_f32_16x16x4f32 a[0:3], v10, v12, a[0:3]
	s_movk_i32 s4, 0xff
	v_and_b32_sdwa v11, v17, s4 dst_sel:DWORD dst_unused:UNUSED_PAD src0_sel:WORD_1 src1_sel:DWORD
	s_movk_i32 s4, 0x7f
	v_cmp_lt_i16_e32 vcc, s4, v11
	s_mov_b64 s[4:5], 0
                                        ; implicit-def: $sgpr10
	s_and_saveexec_b64 s[6:7], vcc
	s_xor_b64 s[6:7], exec, s[6:7]
	s_cbranch_execnz .LBB44_2929
; %bb.881:
	s_or_saveexec_b64 s[6:7], s[6:7]
	v_mov_b32_e32 v10, s10
	s_xor_b64 exec, exec, s[6:7]
	s_cbranch_execnz .LBB44_2932
.LBB44_882:
	s_or_b64 exec, exec, s[6:7]
	s_and_saveexec_b64 s[6:7], s[4:5]
	s_cbranch_execz .LBB44_884
.LBB44_883:
	v_bfe_u32 v10, v17, 16, 3
	v_ffbh_u32_e32 v14, v10
	v_min_u32_e32 v14, 32, v14
	v_lshrrev_b32_e32 v11, 19, v17
	v_subrev_u32_e32 v15, 28, v14
	v_and_b32_e32 v11, 15, v11
	v_lshlrev_b32_sdwa v15, v15, v17 dst_sel:DWORD dst_unused:UNUSED_PAD src0_sel:DWORD src1_sel:WORD_1
	v_bfe_u32 v12, v17, 19, 4
	v_sub_u32_e32 v14, 29, v14
	v_and_b32_e32 v15, 7, v15
	v_cmp_eq_u16_e32 vcc, 0, v11
	v_cndmask_b32_e32 v10, v10, v15, vcc
	v_cndmask_b32_e32 v11, v12, v14, vcc
	v_lshlrev_b32_e32 v12, 8, v17
	v_mov_b32_e32 v14, 0x3b800000
	v_lshlrev_b32_e32 v10, 20, v10
	v_and_b32_e32 v12, 0x80000000, v12
	v_lshl_add_u32 v11, v11, 23, v14
	v_or3_b32 v10, v12, v11, v10
.LBB44_884:
	s_or_b64 exec, exec, s[6:7]
	s_movk_i32 s4, 0xff
	v_and_b32_sdwa v11, v13, s4 dst_sel:DWORD dst_unused:UNUSED_PAD src0_sel:WORD_1 src1_sel:DWORD
	s_movk_i32 s4, 0x7f
	v_cmp_lt_i16_e32 vcc, s4, v11
	s_mov_b64 s[4:5], 0
                                        ; implicit-def: $sgpr10
	s_and_saveexec_b64 s[6:7], vcc
	s_xor_b64 s[6:7], exec, s[6:7]
	s_cbranch_execnz .LBB44_2933
; %bb.885:
	s_or_saveexec_b64 s[6:7], s[6:7]
	v_mov_b32_e32 v12, s10
	s_xor_b64 exec, exec, s[6:7]
	s_cbranch_execnz .LBB44_2936
.LBB44_886:
	s_or_b64 exec, exec, s[6:7]
	s_and_saveexec_b64 s[6:7], s[4:5]
	s_cbranch_execz .LBB44_888
.LBB44_887:
	v_bfe_u32 v11, v13, 16, 3
	v_ffbh_u32_e32 v15, v11
	v_min_u32_e32 v15, 32, v15
	v_lshrrev_b32_e32 v12, 19, v13
	v_subrev_u32_e32 v16, 28, v15
	v_and_b32_e32 v12, 15, v12
	v_lshlrev_b32_sdwa v16, v16, v13 dst_sel:DWORD dst_unused:UNUSED_PAD src0_sel:DWORD src1_sel:WORD_1
	v_bfe_u32 v14, v13, 19, 4
	v_sub_u32_e32 v15, 29, v15
	v_and_b32_e32 v16, 7, v16
	v_cmp_eq_u16_e32 vcc, 0, v12
	v_cndmask_b32_e32 v11, v11, v16, vcc
	v_cndmask_b32_e32 v12, v14, v15, vcc
	v_lshlrev_b32_e32 v14, 8, v13
	v_mov_b32_e32 v15, 0x3b800000
	v_lshlrev_b32_e32 v11, 20, v11
	v_and_b32_e32 v14, 0x80000000, v14
	v_lshl_add_u32 v12, v12, 23, v15
	v_or3_b32 v12, v14, v12, v11
.LBB44_888:
	s_or_b64 exec, exec, s[6:7]
	s_nop 0
	v_mfma_f32_16x16x4f32 a[0:3], v10, v12, a[0:3]
	s_movk_i32 s4, 0x7f
	v_cmp_gt_i16_sdwa s[6:7], v17, s4 src0_sel:BYTE_3 src1_sel:DWORD
	s_mov_b64 s[4:5], 0
                                        ; implicit-def: $sgpr10
	s_and_saveexec_b64 s[8:9], s[6:7]
	s_xor_b64 s[6:7], exec, s[8:9]
	s_cbranch_execnz .LBB44_2937
; %bb.889:
	s_or_saveexec_b64 s[6:7], s[6:7]
	v_mov_b32_e32 v10, s10
	s_xor_b64 exec, exec, s[6:7]
	s_cbranch_execnz .LBB44_2940
.LBB44_890:
	s_or_b64 exec, exec, s[6:7]
	s_and_saveexec_b64 s[6:7], s[4:5]
	s_cbranch_execz .LBB44_892
.LBB44_891:
	v_bfe_u32 v10, v17, 24, 3
	v_ffbh_u32_e32 v15, v10
	v_min_u32_e32 v15, 32, v15
	v_lshrrev_b32_e32 v12, 27, v17
	v_subrev_u32_e32 v16, 28, v15
	v_and_b32_e32 v12, 15, v12
	v_lshlrev_b32_sdwa v16, v16, v17 dst_sel:DWORD dst_unused:UNUSED_PAD src0_sel:DWORD src1_sel:BYTE_3
	v_bfe_u32 v14, v17, 27, 4
	v_sub_u32_e32 v15, 29, v15
	v_and_b32_e32 v16, 7, v16
	v_cmp_eq_u16_e32 vcc, 0, v12
	v_cndmask_b32_e32 v10, v10, v16, vcc
	v_cndmask_b32_e32 v12, v14, v15, vcc
	v_mov_b32_e32 v14, 0x3b800000
	v_and_b32_e32 v11, 0x80000000, v17
	v_lshlrev_b32_e32 v10, 20, v10
	v_lshl_add_u32 v12, v12, 23, v14
	v_or3_b32 v10, v11, v12, v10
.LBB44_892:
	s_or_b64 exec, exec, s[6:7]
	s_movk_i32 s4, 0x7f
	v_cmp_gt_i16_sdwa s[6:7], v13, s4 src0_sel:BYTE_3 src1_sel:DWORD
	s_mov_b64 s[4:5], 0
                                        ; implicit-def: $sgpr10
	s_and_saveexec_b64 s[8:9], s[6:7]
	s_xor_b64 s[6:7], exec, s[8:9]
	s_cbranch_execnz .LBB44_2941
; %bb.893:
	s_or_saveexec_b64 s[6:7], s[6:7]
	v_mov_b32_e32 v11, s10
	s_xor_b64 exec, exec, s[6:7]
	s_cbranch_execnz .LBB44_2944
.LBB44_894:
	s_or_b64 exec, exec, s[6:7]
	s_and_saveexec_b64 s[6:7], s[4:5]
	s_cbranch_execz .LBB44_896
.LBB44_895:
	v_bfe_u32 v11, v13, 24, 3
	v_ffbh_u32_e32 v16, v11
	v_min_u32_e32 v16, 32, v16
	v_lshrrev_b32_e32 v14, 27, v13
	v_subrev_u32_e32 v17, 28, v16
	v_and_b32_e32 v12, 0x80000000, v13
	v_and_b32_e32 v14, 15, v14
	v_bfe_u32 v15, v13, 27, 4
	v_lshlrev_b32_sdwa v13, v17, v13 dst_sel:DWORD dst_unused:UNUSED_PAD src0_sel:DWORD src1_sel:BYTE_3
	v_sub_u32_e32 v16, 29, v16
	v_and_b32_e32 v13, 7, v13
	v_cmp_eq_u16_e32 vcc, 0, v14
	v_cndmask_b32_e32 v11, v11, v13, vcc
	v_cndmask_b32_e32 v13, v15, v16, vcc
	v_mov_b32_e32 v14, 0x3b800000
	v_lshlrev_b32_e32 v11, 20, v11
	v_lshl_add_u32 v13, v13, 23, v14
	v_or3_b32 v11, v12, v13, v11
.LBB44_896:
	s_or_b64 exec, exec, s[6:7]
	s_nop 0
	v_mfma_f32_16x16x4f32 a[0:3], v10, v11, a[0:3]
	s_movk_i32 s4, 0x7f
	v_cmp_gt_i16_sdwa s[6:7], v6, s4 src0_sel:BYTE_0 src1_sel:DWORD
	s_mov_b64 s[4:5], 0
                                        ; implicit-def: $sgpr10
	s_and_saveexec_b64 s[8:9], s[6:7]
	s_xor_b64 s[6:7], exec, s[8:9]
	s_cbranch_execnz .LBB44_2945
; %bb.897:
	s_or_saveexec_b64 s[6:7], s[6:7]
	v_mov_b32_e32 v10, s10
	s_xor_b64 exec, exec, s[6:7]
	s_cbranch_execnz .LBB44_2948
.LBB44_898:
	s_or_b64 exec, exec, s[6:7]
	s_and_saveexec_b64 s[6:7], s[4:5]
	s_cbranch_execz .LBB44_900
.LBB44_899:
	v_and_b32_e32 v10, 7, v6
	v_ffbh_u32_e32 v12, v10
	v_min_u32_e32 v12, 32, v12
	v_lshrrev_b16_e32 v11, 3, v6
	v_subrev_u32_e32 v13, 28, v12
	v_and_b32_e32 v11, 15, v11
	v_lshlrev_b32_e32 v13, v13, v6
	v_sub_u32_e32 v12, 29, v12
	v_and_b32_e32 v13, 7, v13
	v_cmp_eq_u16_e32 vcc, 0, v11
	v_cndmask_b32_e32 v10, v10, v13, vcc
	v_cndmask_b32_e32 v11, v11, v12, vcc
	v_lshlrev_b32_e32 v12, 24, v6
	v_mov_b32_e32 v13, 0x3b800000
	v_lshlrev_b32_e32 v10, 20, v10
	v_and_b32_e32 v12, 0x80000000, v12
	v_lshl_add_u32 v11, v11, 23, v13
	v_or3_b32 v10, v12, v11, v10
.LBB44_900:
	s_or_b64 exec, exec, s[6:7]
	s_movk_i32 s4, 0x7f
	v_cmp_gt_i16_sdwa s[6:7], v2, s4 src0_sel:BYTE_0 src1_sel:DWORD
	s_mov_b64 s[4:5], 0
                                        ; implicit-def: $sgpr10
	s_and_saveexec_b64 s[8:9], s[6:7]
	s_xor_b64 s[6:7], exec, s[8:9]
	s_cbranch_execnz .LBB44_2949
; %bb.901:
	s_or_saveexec_b64 s[6:7], s[6:7]
	v_mov_b32_e32 v11, s10
	s_xor_b64 exec, exec, s[6:7]
	s_cbranch_execnz .LBB44_2952
.LBB44_902:
	s_or_b64 exec, exec, s[6:7]
	s_and_saveexec_b64 s[6:7], s[4:5]
	s_cbranch_execz .LBB44_904
.LBB44_903:
	v_and_b32_e32 v11, 7, v2
	v_ffbh_u32_e32 v13, v11
	v_min_u32_e32 v13, 32, v13
	v_lshrrev_b16_e32 v12, 3, v2
	v_subrev_u32_e32 v14, 28, v13
	v_and_b32_e32 v12, 15, v12
	v_lshlrev_b32_e32 v14, v14, v2
	v_sub_u32_e32 v13, 29, v13
	v_and_b32_e32 v14, 7, v14
	v_cmp_eq_u16_e32 vcc, 0, v12
	v_cndmask_b32_e32 v11, v11, v14, vcc
	v_cndmask_b32_e32 v12, v12, v13, vcc
	v_lshlrev_b32_e32 v13, 24, v2
	v_mov_b32_e32 v14, 0x3b800000
	v_lshlrev_b32_e32 v11, 20, v11
	v_and_b32_e32 v13, 0x80000000, v13
	v_lshl_add_u32 v12, v12, 23, v14
	v_or3_b32 v11, v13, v12, v11
.LBB44_904:
	s_or_b64 exec, exec, s[6:7]
	s_nop 0
	v_mfma_f32_16x16x4f32 a[0:3], v10, v11, a[0:3]
	v_lshrrev_b32_e32 v11, 8, v6
	s_movk_i32 s4, 0x7f
	v_cmp_gt_i16_sdwa s[6:7], v11, s4 src0_sel:BYTE_0 src1_sel:DWORD
	s_mov_b64 s[4:5], 0
                                        ; implicit-def: $sgpr10
	s_and_saveexec_b64 s[8:9], s[6:7]
	s_xor_b64 s[6:7], exec, s[8:9]
	s_cbranch_execnz .LBB44_2953
; %bb.905:
	s_or_saveexec_b64 s[6:7], s[6:7]
	v_mov_b32_e32 v10, s10
	s_xor_b64 exec, exec, s[6:7]
	s_cbranch_execnz .LBB44_2956
.LBB44_906:
	s_or_b64 exec, exec, s[6:7]
	s_and_saveexec_b64 s[6:7], s[4:5]
	s_cbranch_execz .LBB44_908
.LBB44_907:
	v_bfe_u32 v10, v6, 8, 3
	v_ffbh_u32_e32 v13, v10
	v_min_u32_e32 v13, 32, v13
	v_lshrrev_b16_e32 v12, 3, v11
	v_subrev_u32_e32 v14, 28, v13
	v_and_b32_e32 v12, 15, v12
	v_lshlrev_b32_e32 v11, v14, v11
	v_sub_u32_e32 v13, 29, v13
	v_and_b32_e32 v11, 7, v11
	v_cmp_eq_u16_e32 vcc, 0, v12
	v_cndmask_b32_e32 v10, v10, v11, vcc
	v_cndmask_b32_e32 v11, v12, v13, vcc
	v_lshlrev_b32_e32 v12, 16, v6
	v_mov_b32_e32 v13, 0x3b800000
	v_lshlrev_b32_e32 v10, 20, v10
	v_and_b32_e32 v12, 0x80000000, v12
	v_lshl_add_u32 v11, v11, 23, v13
	v_or3_b32 v10, v12, v11, v10
.LBB44_908:
	s_or_b64 exec, exec, s[6:7]
	v_lshrrev_b32_e32 v11, 8, v2
	s_movk_i32 s4, 0x7f
	v_cmp_gt_i16_sdwa s[6:7], v11, s4 src0_sel:BYTE_0 src1_sel:DWORD
	s_mov_b64 s[4:5], 0
                                        ; implicit-def: $sgpr10
	s_and_saveexec_b64 s[8:9], s[6:7]
	s_xor_b64 s[6:7], exec, s[8:9]
	s_cbranch_execnz .LBB44_2957
; %bb.909:
	s_or_saveexec_b64 s[6:7], s[6:7]
	v_mov_b32_e32 v12, s10
	s_xor_b64 exec, exec, s[6:7]
	s_cbranch_execnz .LBB44_2960
.LBB44_910:
	s_or_b64 exec, exec, s[6:7]
	s_and_saveexec_b64 s[6:7], s[4:5]
	s_cbranch_execz .LBB44_912
.LBB44_911:
	v_bfe_u32 v12, v2, 8, 3
	v_ffbh_u32_e32 v14, v12
	v_min_u32_e32 v14, 32, v14
	v_lshrrev_b16_e32 v13, 3, v11
	v_subrev_u32_e32 v15, 28, v14
	v_and_b32_e32 v13, 15, v13
	v_lshlrev_b32_e32 v11, v15, v11
	v_sub_u32_e32 v14, 29, v14
	v_and_b32_e32 v11, 7, v11
	v_cmp_eq_u16_e32 vcc, 0, v13
	v_cndmask_b32_e32 v11, v12, v11, vcc
	v_cndmask_b32_e32 v12, v13, v14, vcc
	v_lshlrev_b32_e32 v13, 16, v2
	v_mov_b32_e32 v14, 0x3b800000
	v_lshlrev_b32_e32 v11, 20, v11
	v_and_b32_e32 v13, 0x80000000, v13
	v_lshl_add_u32 v12, v12, 23, v14
	v_or3_b32 v12, v13, v12, v11
.LBB44_912:
	s_or_b64 exec, exec, s[6:7]
	s_nop 0
	v_mfma_f32_16x16x4f32 a[0:3], v10, v12, a[0:3]
	s_movk_i32 s4, 0xff
	v_and_b32_sdwa v11, v6, s4 dst_sel:DWORD dst_unused:UNUSED_PAD src0_sel:WORD_1 src1_sel:DWORD
	s_movk_i32 s4, 0x7f
	v_cmp_lt_i16_e32 vcc, s4, v11
	s_mov_b64 s[4:5], 0
                                        ; implicit-def: $sgpr10
	s_and_saveexec_b64 s[6:7], vcc
	s_xor_b64 s[6:7], exec, s[6:7]
	s_cbranch_execnz .LBB44_2961
; %bb.913:
	s_or_saveexec_b64 s[6:7], s[6:7]
	v_mov_b32_e32 v10, s10
	s_xor_b64 exec, exec, s[6:7]
	s_cbranch_execnz .LBB44_2964
.LBB44_914:
	s_or_b64 exec, exec, s[6:7]
	s_and_saveexec_b64 s[6:7], s[4:5]
	s_cbranch_execz .LBB44_916
.LBB44_915:
	v_bfe_u32 v10, v6, 16, 3
	v_ffbh_u32_e32 v13, v10
	v_min_u32_e32 v13, 32, v13
	v_lshrrev_b32_e32 v11, 19, v6
	v_subrev_u32_e32 v14, 28, v13
	v_and_b32_e32 v11, 15, v11
	v_lshlrev_b32_sdwa v14, v14, v6 dst_sel:DWORD dst_unused:UNUSED_PAD src0_sel:DWORD src1_sel:WORD_1
	v_bfe_u32 v12, v6, 19, 4
	v_sub_u32_e32 v13, 29, v13
	v_and_b32_e32 v14, 7, v14
	v_cmp_eq_u16_e32 vcc, 0, v11
	v_cndmask_b32_e32 v10, v10, v14, vcc
	v_cndmask_b32_e32 v11, v12, v13, vcc
	v_lshlrev_b32_e32 v12, 8, v6
	v_mov_b32_e32 v13, 0x3b800000
	v_lshlrev_b32_e32 v10, 20, v10
	v_and_b32_e32 v12, 0x80000000, v12
	v_lshl_add_u32 v11, v11, 23, v13
	v_or3_b32 v10, v12, v11, v10
.LBB44_916:
	s_or_b64 exec, exec, s[6:7]
	s_movk_i32 s4, 0xff
	v_and_b32_sdwa v11, v2, s4 dst_sel:DWORD dst_unused:UNUSED_PAD src0_sel:WORD_1 src1_sel:DWORD
	s_movk_i32 s4, 0x7f
	v_cmp_lt_i16_e32 vcc, s4, v11
	s_mov_b64 s[4:5], 0
                                        ; implicit-def: $sgpr10
	s_and_saveexec_b64 s[6:7], vcc
	s_xor_b64 s[6:7], exec, s[6:7]
	s_cbranch_execnz .LBB44_2965
; %bb.917:
	s_or_saveexec_b64 s[6:7], s[6:7]
	v_mov_b32_e32 v12, s10
	s_xor_b64 exec, exec, s[6:7]
	s_cbranch_execnz .LBB44_2968
.LBB44_918:
	s_or_b64 exec, exec, s[6:7]
	s_and_saveexec_b64 s[6:7], s[4:5]
	s_cbranch_execz .LBB44_920
.LBB44_919:
	v_bfe_u32 v11, v2, 16, 3
	v_ffbh_u32_e32 v14, v11
	v_min_u32_e32 v14, 32, v14
	v_lshrrev_b32_e32 v12, 19, v2
	v_subrev_u32_e32 v15, 28, v14
	v_and_b32_e32 v12, 15, v12
	v_lshlrev_b32_sdwa v15, v15, v2 dst_sel:DWORD dst_unused:UNUSED_PAD src0_sel:DWORD src1_sel:WORD_1
	v_bfe_u32 v13, v2, 19, 4
	v_sub_u32_e32 v14, 29, v14
	v_and_b32_e32 v15, 7, v15
	v_cmp_eq_u16_e32 vcc, 0, v12
	v_cndmask_b32_e32 v11, v11, v15, vcc
	v_cndmask_b32_e32 v12, v13, v14, vcc
	v_lshlrev_b32_e32 v13, 8, v2
	v_mov_b32_e32 v14, 0x3b800000
	v_lshlrev_b32_e32 v11, 20, v11
	v_and_b32_e32 v13, 0x80000000, v13
	v_lshl_add_u32 v12, v12, 23, v14
	v_or3_b32 v12, v13, v12, v11
.LBB44_920:
	s_or_b64 exec, exec, s[6:7]
	s_nop 0
	v_mfma_f32_16x16x4f32 a[0:3], v10, v12, a[0:3]
	s_movk_i32 s4, 0x7f
	v_cmp_gt_i16_sdwa s[6:7], v6, s4 src0_sel:BYTE_3 src1_sel:DWORD
	s_mov_b64 s[4:5], 0
                                        ; implicit-def: $sgpr10
	s_and_saveexec_b64 s[8:9], s[6:7]
	s_xor_b64 s[6:7], exec, s[8:9]
	s_cbranch_execnz .LBB44_2969
; %bb.921:
	s_or_saveexec_b64 s[6:7], s[6:7]
	v_mov_b32_e32 v10, s10
	s_xor_b64 exec, exec, s[6:7]
	s_cbranch_execnz .LBB44_2972
.LBB44_922:
	s_or_b64 exec, exec, s[6:7]
	s_and_saveexec_b64 s[6:7], s[4:5]
	s_cbranch_execz .LBB44_924
.LBB44_923:
	v_bfe_u32 v10, v6, 24, 3
	v_ffbh_u32_e32 v14, v10
	v_min_u32_e32 v14, 32, v14
	v_lshrrev_b32_e32 v12, 27, v6
	v_subrev_u32_e32 v15, 28, v14
	v_and_b32_e32 v11, 0x80000000, v6
	v_and_b32_e32 v12, 15, v12
	v_bfe_u32 v13, v6, 27, 4
	v_lshlrev_b32_sdwa v6, v15, v6 dst_sel:DWORD dst_unused:UNUSED_PAD src0_sel:DWORD src1_sel:BYTE_3
	v_sub_u32_e32 v14, 29, v14
	v_and_b32_e32 v6, 7, v6
	v_cmp_eq_u16_e32 vcc, 0, v12
	v_cndmask_b32_e32 v6, v10, v6, vcc
	v_cndmask_b32_e32 v10, v13, v14, vcc
	v_mov_b32_e32 v12, 0x3b800000
	v_lshlrev_b32_e32 v6, 20, v6
	v_lshl_add_u32 v10, v10, 23, v12
	v_or3_b32 v10, v11, v10, v6
.LBB44_924:
	s_or_b64 exec, exec, s[6:7]
	s_movk_i32 s4, 0x7f
	v_cmp_gt_i16_sdwa s[6:7], v2, s4 src0_sel:BYTE_3 src1_sel:DWORD
	s_mov_b64 s[4:5], 0
                                        ; implicit-def: $sgpr10
	s_and_saveexec_b64 s[8:9], s[6:7]
	s_xor_b64 s[6:7], exec, s[8:9]
	s_cbranch_execnz .LBB44_2973
; %bb.925:
	s_or_saveexec_b64 s[6:7], s[6:7]
	v_mov_b32_e32 v6, s10
	s_xor_b64 exec, exec, s[6:7]
	s_cbranch_execnz .LBB44_2976
.LBB44_926:
	s_or_b64 exec, exec, s[6:7]
	s_and_saveexec_b64 s[6:7], s[4:5]
	s_cbranch_execz .LBB44_928
.LBB44_927:
	v_bfe_u32 v6, v2, 24, 3
	v_ffbh_u32_e32 v14, v6
	v_min_u32_e32 v14, 32, v14
	v_lshrrev_b32_e32 v12, 27, v2
	v_subrev_u32_e32 v15, 28, v14
	v_and_b32_e32 v11, 0x80000000, v2
	v_and_b32_e32 v12, 15, v12
	v_bfe_u32 v13, v2, 27, 4
	v_lshlrev_b32_sdwa v2, v15, v2 dst_sel:DWORD dst_unused:UNUSED_PAD src0_sel:DWORD src1_sel:BYTE_3
	v_sub_u32_e32 v14, 29, v14
	v_and_b32_e32 v2, 7, v2
	v_cmp_eq_u16_e32 vcc, 0, v12
	v_cndmask_b32_e32 v2, v6, v2, vcc
	v_cndmask_b32_e32 v6, v13, v14, vcc
	v_mov_b32_e32 v12, 0x3b800000
	v_lshlrev_b32_e32 v2, 20, v2
	v_lshl_add_u32 v6, v6, 23, v12
	v_or3_b32 v6, v11, v6, v2
.LBB44_928:
	s_or_b64 exec, exec, s[6:7]
	s_nop 0
	v_mfma_f32_16x16x4f32 a[0:3], v10, v6, a[0:3]
	s_movk_i32 s4, 0x7f
	v_cmp_gt_i16_sdwa s[6:7], v7, s4 src0_sel:BYTE_0 src1_sel:DWORD
	s_mov_b64 s[4:5], 0
                                        ; implicit-def: $sgpr10
	s_and_saveexec_b64 s[8:9], s[6:7]
	s_xor_b64 s[6:7], exec, s[8:9]
	s_cbranch_execnz .LBB44_2977
; %bb.929:
	s_or_saveexec_b64 s[6:7], s[6:7]
	v_mov_b32_e32 v2, s10
	s_xor_b64 exec, exec, s[6:7]
	s_cbranch_execnz .LBB44_2980
.LBB44_930:
	s_or_b64 exec, exec, s[6:7]
	s_and_saveexec_b64 s[6:7], s[4:5]
	s_cbranch_execz .LBB44_932
.LBB44_931:
	v_and_b32_e32 v2, 7, v7
	v_ffbh_u32_e32 v10, v2
	v_min_u32_e32 v10, 32, v10
	v_lshrrev_b16_e32 v6, 3, v7
	v_subrev_u32_e32 v11, 28, v10
	v_and_b32_e32 v6, 15, v6
	v_lshlrev_b32_e32 v11, v11, v7
	v_sub_u32_e32 v10, 29, v10
	v_and_b32_e32 v11, 7, v11
	v_cmp_eq_u16_e32 vcc, 0, v6
	v_cndmask_b32_e32 v2, v2, v11, vcc
	v_cndmask_b32_e32 v6, v6, v10, vcc
	v_lshlrev_b32_e32 v10, 24, v7
	v_mov_b32_e32 v11, 0x3b800000
	v_lshlrev_b32_e32 v2, 20, v2
	v_and_b32_e32 v10, 0x80000000, v10
	v_lshl_add_u32 v6, v6, 23, v11
	v_or3_b32 v2, v10, v6, v2
.LBB44_932:
	s_or_b64 exec, exec, s[6:7]
	s_movk_i32 s4, 0x7f
	v_cmp_gt_i16_sdwa s[6:7], v3, s4 src0_sel:BYTE_0 src1_sel:DWORD
	s_mov_b64 s[4:5], 0
                                        ; implicit-def: $sgpr10
	s_and_saveexec_b64 s[8:9], s[6:7]
	s_xor_b64 s[6:7], exec, s[8:9]
	s_cbranch_execnz .LBB44_2981
; %bb.933:
	s_or_saveexec_b64 s[6:7], s[6:7]
	v_mov_b32_e32 v6, s10
	s_xor_b64 exec, exec, s[6:7]
	s_cbranch_execnz .LBB44_2984
.LBB44_934:
	s_or_b64 exec, exec, s[6:7]
	s_and_saveexec_b64 s[6:7], s[4:5]
	s_cbranch_execz .LBB44_936
.LBB44_935:
	v_and_b32_e32 v6, 7, v3
	v_ffbh_u32_e32 v11, v6
	v_min_u32_e32 v11, 32, v11
	v_lshrrev_b16_e32 v10, 3, v3
	v_subrev_u32_e32 v12, 28, v11
	v_and_b32_e32 v10, 15, v10
	v_lshlrev_b32_e32 v12, v12, v3
	v_sub_u32_e32 v11, 29, v11
	v_and_b32_e32 v12, 7, v12
	v_cmp_eq_u16_e32 vcc, 0, v10
	v_cndmask_b32_e32 v6, v6, v12, vcc
	v_cndmask_b32_e32 v10, v10, v11, vcc
	v_lshlrev_b32_e32 v11, 24, v3
	v_mov_b32_e32 v12, 0x3b800000
	v_lshlrev_b32_e32 v6, 20, v6
	v_and_b32_e32 v11, 0x80000000, v11
	v_lshl_add_u32 v10, v10, 23, v12
	v_or3_b32 v6, v11, v10, v6
.LBB44_936:
	s_or_b64 exec, exec, s[6:7]
	s_nop 0
	v_mfma_f32_16x16x4f32 a[0:3], v2, v6, a[0:3]
	v_lshrrev_b32_e32 v6, 8, v7
	s_movk_i32 s4, 0x7f
	v_cmp_gt_i16_sdwa s[6:7], v6, s4 src0_sel:BYTE_0 src1_sel:DWORD
	s_mov_b64 s[4:5], 0
                                        ; implicit-def: $sgpr10
	s_and_saveexec_b64 s[8:9], s[6:7]
	s_xor_b64 s[6:7], exec, s[8:9]
	s_cbranch_execnz .LBB44_2985
; %bb.937:
	s_or_saveexec_b64 s[6:7], s[6:7]
	v_mov_b32_e32 v2, s10
	s_xor_b64 exec, exec, s[6:7]
	s_cbranch_execnz .LBB44_2988
.LBB44_938:
	s_or_b64 exec, exec, s[6:7]
	s_and_saveexec_b64 s[6:7], s[4:5]
	s_cbranch_execz .LBB44_940
.LBB44_939:
	v_bfe_u32 v2, v7, 8, 3
	v_ffbh_u32_e32 v11, v2
	v_min_u32_e32 v11, 32, v11
	v_lshrrev_b16_e32 v10, 3, v6
	v_subrev_u32_e32 v12, 28, v11
	v_and_b32_e32 v10, 15, v10
	v_lshlrev_b32_e32 v6, v12, v6
	v_sub_u32_e32 v11, 29, v11
	v_and_b32_e32 v6, 7, v6
	v_cmp_eq_u16_e32 vcc, 0, v10
	v_cndmask_b32_e32 v2, v2, v6, vcc
	v_cndmask_b32_e32 v6, v10, v11, vcc
	v_lshlrev_b32_e32 v10, 16, v7
	v_mov_b32_e32 v11, 0x3b800000
	v_lshlrev_b32_e32 v2, 20, v2
	v_and_b32_e32 v10, 0x80000000, v10
	v_lshl_add_u32 v6, v6, 23, v11
	v_or3_b32 v2, v10, v6, v2
.LBB44_940:
	s_or_b64 exec, exec, s[6:7]
	v_lshrrev_b32_e32 v6, 8, v3
	s_movk_i32 s4, 0x7f
	v_cmp_gt_i16_sdwa s[6:7], v6, s4 src0_sel:BYTE_0 src1_sel:DWORD
	s_mov_b64 s[4:5], 0
                                        ; implicit-def: $sgpr10
	s_and_saveexec_b64 s[8:9], s[6:7]
	s_xor_b64 s[6:7], exec, s[8:9]
	s_cbranch_execnz .LBB44_2989
; %bb.941:
	s_or_saveexec_b64 s[6:7], s[6:7]
	v_mov_b32_e32 v10, s10
	s_xor_b64 exec, exec, s[6:7]
	s_cbranch_execnz .LBB44_2992
.LBB44_942:
	s_or_b64 exec, exec, s[6:7]
	s_and_saveexec_b64 s[6:7], s[4:5]
	s_cbranch_execz .LBB44_944
.LBB44_943:
	v_bfe_u32 v10, v3, 8, 3
	v_ffbh_u32_e32 v12, v10
	v_min_u32_e32 v12, 32, v12
	v_lshrrev_b16_e32 v11, 3, v6
	v_subrev_u32_e32 v13, 28, v12
	v_and_b32_e32 v11, 15, v11
	v_lshlrev_b32_e32 v6, v13, v6
	v_sub_u32_e32 v12, 29, v12
	v_and_b32_e32 v6, 7, v6
	v_cmp_eq_u16_e32 vcc, 0, v11
	v_cndmask_b32_e32 v6, v10, v6, vcc
	v_cndmask_b32_e32 v10, v11, v12, vcc
	v_lshlrev_b32_e32 v11, 16, v3
	v_mov_b32_e32 v12, 0x3b800000
	v_lshlrev_b32_e32 v6, 20, v6
	v_and_b32_e32 v11, 0x80000000, v11
	v_lshl_add_u32 v10, v10, 23, v12
	v_or3_b32 v10, v11, v10, v6
.LBB44_944:
	s_or_b64 exec, exec, s[6:7]
	s_nop 0
	v_mfma_f32_16x16x4f32 a[0:3], v2, v10, a[0:3]
	s_movk_i32 s4, 0xff
	v_and_b32_sdwa v6, v7, s4 dst_sel:DWORD dst_unused:UNUSED_PAD src0_sel:WORD_1 src1_sel:DWORD
	s_movk_i32 s4, 0x7f
	v_cmp_lt_i16_e32 vcc, s4, v6
	s_mov_b64 s[4:5], 0
                                        ; implicit-def: $sgpr10
	s_and_saveexec_b64 s[6:7], vcc
	s_xor_b64 s[6:7], exec, s[6:7]
	s_cbranch_execnz .LBB44_2993
; %bb.945:
	s_or_saveexec_b64 s[6:7], s[6:7]
	v_mov_b32_e32 v2, s10
	s_xor_b64 exec, exec, s[6:7]
	s_cbranch_execnz .LBB44_2996
.LBB44_946:
	s_or_b64 exec, exec, s[6:7]
	s_and_saveexec_b64 s[6:7], s[4:5]
	s_cbranch_execz .LBB44_948
.LBB44_947:
	v_bfe_u32 v2, v7, 16, 3
	v_ffbh_u32_e32 v11, v2
	v_min_u32_e32 v11, 32, v11
	v_lshrrev_b32_e32 v6, 19, v7
	v_subrev_u32_e32 v12, 28, v11
	v_and_b32_e32 v6, 15, v6
	v_lshlrev_b32_sdwa v12, v12, v7 dst_sel:DWORD dst_unused:UNUSED_PAD src0_sel:DWORD src1_sel:WORD_1
	v_bfe_u32 v10, v7, 19, 4
	v_sub_u32_e32 v11, 29, v11
	v_and_b32_e32 v12, 7, v12
	v_cmp_eq_u16_e32 vcc, 0, v6
	v_cndmask_b32_e32 v2, v2, v12, vcc
	v_cndmask_b32_e32 v6, v10, v11, vcc
	v_lshlrev_b32_e32 v10, 8, v7
	v_mov_b32_e32 v11, 0x3b800000
	v_lshlrev_b32_e32 v2, 20, v2
	v_and_b32_e32 v10, 0x80000000, v10
	v_lshl_add_u32 v6, v6, 23, v11
	v_or3_b32 v2, v10, v6, v2
.LBB44_948:
	s_or_b64 exec, exec, s[6:7]
	s_movk_i32 s4, 0xff
	v_and_b32_sdwa v6, v3, s4 dst_sel:DWORD dst_unused:UNUSED_PAD src0_sel:WORD_1 src1_sel:DWORD
	s_movk_i32 s4, 0x7f
	v_cmp_lt_i16_e32 vcc, s4, v6
	s_mov_b64 s[4:5], 0
                                        ; implicit-def: $sgpr10
	s_and_saveexec_b64 s[6:7], vcc
	s_xor_b64 s[6:7], exec, s[6:7]
	s_cbranch_execnz .LBB44_2997
; %bb.949:
	s_or_saveexec_b64 s[6:7], s[6:7]
	v_mov_b32_e32 v10, s10
	s_xor_b64 exec, exec, s[6:7]
	s_cbranch_execnz .LBB44_3000
.LBB44_950:
	s_or_b64 exec, exec, s[6:7]
	s_and_saveexec_b64 s[6:7], s[4:5]
	s_cbranch_execz .LBB44_952
.LBB44_951:
	v_bfe_u32 v6, v3, 16, 3
	v_ffbh_u32_e32 v12, v6
	v_min_u32_e32 v12, 32, v12
	v_lshrrev_b32_e32 v10, 19, v3
	v_subrev_u32_e32 v13, 28, v12
	v_and_b32_e32 v10, 15, v10
	v_lshlrev_b32_sdwa v13, v13, v3 dst_sel:DWORD dst_unused:UNUSED_PAD src0_sel:DWORD src1_sel:WORD_1
	v_bfe_u32 v11, v3, 19, 4
	v_sub_u32_e32 v12, 29, v12
	v_and_b32_e32 v13, 7, v13
	v_cmp_eq_u16_e32 vcc, 0, v10
	v_cndmask_b32_e32 v6, v6, v13, vcc
	v_cndmask_b32_e32 v10, v11, v12, vcc
	v_lshlrev_b32_e32 v11, 8, v3
	v_mov_b32_e32 v12, 0x3b800000
	v_lshlrev_b32_e32 v6, 20, v6
	v_and_b32_e32 v11, 0x80000000, v11
	v_lshl_add_u32 v10, v10, 23, v12
	v_or3_b32 v10, v11, v10, v6
.LBB44_952:
	s_or_b64 exec, exec, s[6:7]
	s_nop 0
	v_mfma_f32_16x16x4f32 a[0:3], v2, v10, a[0:3]
	s_movk_i32 s4, 0x7f
	v_cmp_gt_i16_sdwa s[6:7], v7, s4 src0_sel:BYTE_3 src1_sel:DWORD
	s_mov_b64 s[4:5], 0
                                        ; implicit-def: $sgpr10
	s_and_saveexec_b64 s[8:9], s[6:7]
	s_xor_b64 s[6:7], exec, s[8:9]
	s_cbranch_execnz .LBB44_3001
; %bb.953:
	s_or_saveexec_b64 s[6:7], s[6:7]
	v_mov_b32_e32 v2, s10
	s_xor_b64 exec, exec, s[6:7]
	s_cbranch_execnz .LBB44_3004
.LBB44_954:
	s_or_b64 exec, exec, s[6:7]
	s_and_saveexec_b64 s[6:7], s[4:5]
	s_cbranch_execz .LBB44_956
.LBB44_955:
	v_bfe_u32 v2, v7, 24, 3
	v_ffbh_u32_e32 v12, v2
	v_min_u32_e32 v12, 32, v12
	v_lshrrev_b32_e32 v10, 27, v7
	v_subrev_u32_e32 v13, 28, v12
	v_and_b32_e32 v6, 0x80000000, v7
	v_and_b32_e32 v10, 15, v10
	v_bfe_u32 v11, v7, 27, 4
	v_lshlrev_b32_sdwa v7, v13, v7 dst_sel:DWORD dst_unused:UNUSED_PAD src0_sel:DWORD src1_sel:BYTE_3
	v_sub_u32_e32 v12, 29, v12
	v_and_b32_e32 v7, 7, v7
	v_cmp_eq_u16_e32 vcc, 0, v10
	v_cndmask_b32_e32 v2, v2, v7, vcc
	v_cndmask_b32_e32 v7, v11, v12, vcc
	v_mov_b32_e32 v10, 0x3b800000
	v_lshlrev_b32_e32 v2, 20, v2
	v_lshl_add_u32 v7, v7, 23, v10
	v_or3_b32 v2, v6, v7, v2
.LBB44_956:
	s_or_b64 exec, exec, s[6:7]
	s_movk_i32 s4, 0x7f
	v_cmp_gt_i16_sdwa s[6:7], v3, s4 src0_sel:BYTE_3 src1_sel:DWORD
	s_mov_b64 s[4:5], 0
                                        ; implicit-def: $sgpr10
	s_and_saveexec_b64 s[8:9], s[6:7]
	s_xor_b64 s[6:7], exec, s[8:9]
	s_cbranch_execnz .LBB44_3005
; %bb.957:
	s_or_saveexec_b64 s[6:7], s[6:7]
	v_mov_b32_e32 v6, s10
	s_xor_b64 exec, exec, s[6:7]
	s_cbranch_execnz .LBB44_3008
.LBB44_958:
	s_or_b64 exec, exec, s[6:7]
	s_and_saveexec_b64 s[6:7], s[4:5]
	s_cbranch_execz .LBB44_960
.LBB44_959:
	v_bfe_u32 v6, v3, 24, 3
	v_ffbh_u32_e32 v12, v6
	v_min_u32_e32 v12, 32, v12
	v_lshrrev_b32_e32 v10, 27, v3
	v_subrev_u32_e32 v13, 28, v12
	v_and_b32_e32 v7, 0x80000000, v3
	v_and_b32_e32 v10, 15, v10
	v_bfe_u32 v11, v3, 27, 4
	v_lshlrev_b32_sdwa v3, v13, v3 dst_sel:DWORD dst_unused:UNUSED_PAD src0_sel:DWORD src1_sel:BYTE_3
	v_sub_u32_e32 v12, 29, v12
	v_and_b32_e32 v3, 7, v3
	v_cmp_eq_u16_e32 vcc, 0, v10
	v_cndmask_b32_e32 v3, v6, v3, vcc
	v_cndmask_b32_e32 v6, v11, v12, vcc
	v_mov_b32_e32 v10, 0x3b800000
	v_lshlrev_b32_e32 v3, 20, v3
	v_lshl_add_u32 v6, v6, 23, v10
	v_or3_b32 v6, v7, v6, v3
.LBB44_960:
	s_or_b64 exec, exec, s[6:7]
	s_nop 0
	v_mfma_f32_16x16x4f32 a[0:3], v2, v6, a[0:3]
	s_movk_i32 s4, 0x7f
	v_cmp_gt_i16_sdwa s[6:7], v8, s4 src0_sel:BYTE_0 src1_sel:DWORD
	s_mov_b64 s[4:5], 0
                                        ; implicit-def: $sgpr10
	s_and_saveexec_b64 s[8:9], s[6:7]
	s_xor_b64 s[6:7], exec, s[8:9]
	s_cbranch_execnz .LBB44_3009
; %bb.961:
	s_or_saveexec_b64 s[6:7], s[6:7]
	v_mov_b32_e32 v2, s10
	s_xor_b64 exec, exec, s[6:7]
	s_cbranch_execnz .LBB44_3012
.LBB44_962:
	s_or_b64 exec, exec, s[6:7]
	s_and_saveexec_b64 s[6:7], s[4:5]
	s_cbranch_execz .LBB44_964
.LBB44_963:
	v_and_b32_e32 v2, 7, v8
	v_ffbh_u32_e32 v6, v2
	v_min_u32_e32 v6, 32, v6
	v_lshrrev_b16_e32 v3, 3, v8
	v_subrev_u32_e32 v7, 28, v6
	v_and_b32_e32 v3, 15, v3
	v_lshlrev_b32_e32 v7, v7, v8
	v_sub_u32_e32 v6, 29, v6
	v_and_b32_e32 v7, 7, v7
	v_cmp_eq_u16_e32 vcc, 0, v3
	v_cndmask_b32_e32 v2, v2, v7, vcc
	v_cndmask_b32_e32 v3, v3, v6, vcc
	v_lshlrev_b32_e32 v6, 24, v8
	v_mov_b32_e32 v7, 0x3b800000
	v_lshlrev_b32_e32 v2, 20, v2
	v_and_b32_e32 v6, 0x80000000, v6
	v_lshl_add_u32 v3, v3, 23, v7
	v_or3_b32 v2, v6, v3, v2
.LBB44_964:
	s_or_b64 exec, exec, s[6:7]
	s_movk_i32 s4, 0x7f
	v_cmp_gt_i16_sdwa s[6:7], v4, s4 src0_sel:BYTE_0 src1_sel:DWORD
	s_mov_b64 s[4:5], 0
                                        ; implicit-def: $sgpr10
	s_and_saveexec_b64 s[8:9], s[6:7]
	s_xor_b64 s[6:7], exec, s[8:9]
	s_cbranch_execnz .LBB44_3013
; %bb.965:
	s_or_saveexec_b64 s[6:7], s[6:7]
	v_mov_b32_e32 v3, s10
	s_xor_b64 exec, exec, s[6:7]
	s_cbranch_execnz .LBB44_3016
.LBB44_966:
	s_or_b64 exec, exec, s[6:7]
	s_and_saveexec_b64 s[6:7], s[4:5]
	s_cbranch_execz .LBB44_968
.LBB44_967:
	v_and_b32_e32 v3, 7, v4
	v_ffbh_u32_e32 v7, v3
	v_min_u32_e32 v7, 32, v7
	v_lshrrev_b16_e32 v6, 3, v4
	v_subrev_u32_e32 v10, 28, v7
	v_and_b32_e32 v6, 15, v6
	v_lshlrev_b32_e32 v10, v10, v4
	v_sub_u32_e32 v7, 29, v7
	v_and_b32_e32 v10, 7, v10
	v_cmp_eq_u16_e32 vcc, 0, v6
	v_cndmask_b32_e32 v3, v3, v10, vcc
	v_cndmask_b32_e32 v6, v6, v7, vcc
	v_lshlrev_b32_e32 v7, 24, v4
	v_mov_b32_e32 v10, 0x3b800000
	v_lshlrev_b32_e32 v3, 20, v3
	v_and_b32_e32 v7, 0x80000000, v7
	v_lshl_add_u32 v6, v6, 23, v10
	v_or3_b32 v3, v7, v6, v3
.LBB44_968:
	s_or_b64 exec, exec, s[6:7]
	s_nop 0
	v_mfma_f32_16x16x4f32 a[0:3], v2, v3, a[0:3]
	v_lshrrev_b32_e32 v3, 8, v8
	s_movk_i32 s4, 0x7f
	v_cmp_gt_i16_sdwa s[6:7], v3, s4 src0_sel:BYTE_0 src1_sel:DWORD
	s_mov_b64 s[4:5], 0
                                        ; implicit-def: $sgpr10
	s_and_saveexec_b64 s[8:9], s[6:7]
	s_xor_b64 s[6:7], exec, s[8:9]
	s_cbranch_execnz .LBB44_3017
; %bb.969:
	s_or_saveexec_b64 s[6:7], s[6:7]
	v_mov_b32_e32 v2, s10
	s_xor_b64 exec, exec, s[6:7]
	s_cbranch_execnz .LBB44_3020
.LBB44_970:
	s_or_b64 exec, exec, s[6:7]
	s_and_saveexec_b64 s[6:7], s[4:5]
	s_cbranch_execz .LBB44_972
.LBB44_971:
	v_bfe_u32 v2, v8, 8, 3
	v_ffbh_u32_e32 v7, v2
	v_min_u32_e32 v7, 32, v7
	v_lshrrev_b16_e32 v6, 3, v3
	v_subrev_u32_e32 v10, 28, v7
	v_and_b32_e32 v6, 15, v6
	v_lshlrev_b32_e32 v3, v10, v3
	v_sub_u32_e32 v7, 29, v7
	v_and_b32_e32 v3, 7, v3
	v_cmp_eq_u16_e32 vcc, 0, v6
	v_cndmask_b32_e32 v2, v2, v3, vcc
	v_cndmask_b32_e32 v3, v6, v7, vcc
	v_lshlrev_b32_e32 v6, 16, v8
	v_mov_b32_e32 v7, 0x3b800000
	v_lshlrev_b32_e32 v2, 20, v2
	v_and_b32_e32 v6, 0x80000000, v6
	v_lshl_add_u32 v3, v3, 23, v7
	v_or3_b32 v2, v6, v3, v2
.LBB44_972:
	s_or_b64 exec, exec, s[6:7]
	v_lshrrev_b32_e32 v3, 8, v4
	s_movk_i32 s4, 0x7f
	v_cmp_gt_i16_sdwa s[6:7], v3, s4 src0_sel:BYTE_0 src1_sel:DWORD
	s_mov_b64 s[4:5], 0
                                        ; implicit-def: $sgpr10
	s_and_saveexec_b64 s[8:9], s[6:7]
	s_xor_b64 s[6:7], exec, s[8:9]
	s_cbranch_execnz .LBB44_3021
; %bb.973:
	s_or_saveexec_b64 s[6:7], s[6:7]
	v_mov_b32_e32 v6, s10
	s_xor_b64 exec, exec, s[6:7]
	s_cbranch_execnz .LBB44_3024
.LBB44_974:
	s_or_b64 exec, exec, s[6:7]
	s_and_saveexec_b64 s[6:7], s[4:5]
	s_cbranch_execz .LBB44_976
.LBB44_975:
	v_bfe_u32 v6, v4, 8, 3
	v_ffbh_u32_e32 v10, v6
	v_min_u32_e32 v10, 32, v10
	v_lshrrev_b16_e32 v7, 3, v3
	v_subrev_u32_e32 v11, 28, v10
	v_and_b32_e32 v7, 15, v7
	v_lshlrev_b32_e32 v3, v11, v3
	v_sub_u32_e32 v10, 29, v10
	v_and_b32_e32 v3, 7, v3
	v_cmp_eq_u16_e32 vcc, 0, v7
	v_cndmask_b32_e32 v3, v6, v3, vcc
	v_cndmask_b32_e32 v6, v7, v10, vcc
	v_lshlrev_b32_e32 v7, 16, v4
	v_mov_b32_e32 v10, 0x3b800000
	v_lshlrev_b32_e32 v3, 20, v3
	v_and_b32_e32 v7, 0x80000000, v7
	v_lshl_add_u32 v6, v6, 23, v10
	v_or3_b32 v6, v7, v6, v3
.LBB44_976:
	s_or_b64 exec, exec, s[6:7]
	s_nop 0
	v_mfma_f32_16x16x4f32 a[0:3], v2, v6, a[0:3]
	s_movk_i32 s4, 0xff
	v_and_b32_sdwa v3, v8, s4 dst_sel:DWORD dst_unused:UNUSED_PAD src0_sel:WORD_1 src1_sel:DWORD
	s_movk_i32 s4, 0x7f
	v_cmp_lt_i16_e32 vcc, s4, v3
	s_mov_b64 s[4:5], 0
                                        ; implicit-def: $sgpr10
	s_and_saveexec_b64 s[6:7], vcc
	s_xor_b64 s[6:7], exec, s[6:7]
	s_cbranch_execnz .LBB44_3025
; %bb.977:
	s_or_saveexec_b64 s[6:7], s[6:7]
	v_mov_b32_e32 v2, s10
	s_xor_b64 exec, exec, s[6:7]
	s_cbranch_execnz .LBB44_3028
.LBB44_978:
	s_or_b64 exec, exec, s[6:7]
	s_and_saveexec_b64 s[6:7], s[4:5]
	s_cbranch_execz .LBB44_980
.LBB44_979:
	v_bfe_u32 v2, v8, 16, 3
	v_ffbh_u32_e32 v7, v2
	v_min_u32_e32 v7, 32, v7
	v_lshrrev_b32_e32 v3, 19, v8
	v_subrev_u32_e32 v10, 28, v7
	v_and_b32_e32 v3, 15, v3
	v_lshlrev_b32_sdwa v10, v10, v8 dst_sel:DWORD dst_unused:UNUSED_PAD src0_sel:DWORD src1_sel:WORD_1
	v_bfe_u32 v6, v8, 19, 4
	v_sub_u32_e32 v7, 29, v7
	v_and_b32_e32 v10, 7, v10
	v_cmp_eq_u16_e32 vcc, 0, v3
	v_cndmask_b32_e32 v2, v2, v10, vcc
	v_cndmask_b32_e32 v3, v6, v7, vcc
	v_lshlrev_b32_e32 v6, 8, v8
	v_mov_b32_e32 v7, 0x3b800000
	v_lshlrev_b32_e32 v2, 20, v2
	v_and_b32_e32 v6, 0x80000000, v6
	v_lshl_add_u32 v3, v3, 23, v7
	v_or3_b32 v2, v6, v3, v2
.LBB44_980:
	s_or_b64 exec, exec, s[6:7]
	s_movk_i32 s4, 0xff
	v_and_b32_sdwa v3, v4, s4 dst_sel:DWORD dst_unused:UNUSED_PAD src0_sel:WORD_1 src1_sel:DWORD
	s_movk_i32 s4, 0x7f
	v_cmp_lt_i16_e32 vcc, s4, v3
	s_mov_b64 s[4:5], 0
                                        ; implicit-def: $sgpr10
	s_and_saveexec_b64 s[6:7], vcc
	s_xor_b64 s[6:7], exec, s[6:7]
	s_cbranch_execnz .LBB44_3029
; %bb.981:
	s_or_saveexec_b64 s[6:7], s[6:7]
	v_mov_b32_e32 v6, s10
	s_xor_b64 exec, exec, s[6:7]
	s_cbranch_execnz .LBB44_3032
.LBB44_982:
	s_or_b64 exec, exec, s[6:7]
	s_and_saveexec_b64 s[6:7], s[4:5]
	s_cbranch_execz .LBB44_984
.LBB44_983:
	v_bfe_u32 v3, v4, 16, 3
	v_ffbh_u32_e32 v10, v3
	v_min_u32_e32 v10, 32, v10
	v_lshrrev_b32_e32 v6, 19, v4
	v_subrev_u32_e32 v11, 28, v10
	v_and_b32_e32 v6, 15, v6
	v_lshlrev_b32_sdwa v11, v11, v4 dst_sel:DWORD dst_unused:UNUSED_PAD src0_sel:DWORD src1_sel:WORD_1
	v_bfe_u32 v7, v4, 19, 4
	v_sub_u32_e32 v10, 29, v10
	v_and_b32_e32 v11, 7, v11
	v_cmp_eq_u16_e32 vcc, 0, v6
	v_cndmask_b32_e32 v3, v3, v11, vcc
	v_cndmask_b32_e32 v6, v7, v10, vcc
	v_lshlrev_b32_e32 v7, 8, v4
	v_mov_b32_e32 v10, 0x3b800000
	v_lshlrev_b32_e32 v3, 20, v3
	v_and_b32_e32 v7, 0x80000000, v7
	v_lshl_add_u32 v6, v6, 23, v10
	v_or3_b32 v6, v7, v6, v3
.LBB44_984:
	s_or_b64 exec, exec, s[6:7]
	s_nop 0
	v_mfma_f32_16x16x4f32 a[0:3], v2, v6, a[0:3]
	s_movk_i32 s4, 0x7f
	v_cmp_gt_i16_sdwa s[6:7], v8, s4 src0_sel:BYTE_3 src1_sel:DWORD
	s_mov_b64 s[4:5], 0
                                        ; implicit-def: $sgpr10
	s_and_saveexec_b64 s[8:9], s[6:7]
	s_xor_b64 s[6:7], exec, s[8:9]
	s_cbranch_execnz .LBB44_3033
; %bb.985:
	s_or_saveexec_b64 s[6:7], s[6:7]
	v_mov_b32_e32 v2, s10
	s_xor_b64 exec, exec, s[6:7]
	s_cbranch_execnz .LBB44_3036
.LBB44_986:
	s_or_b64 exec, exec, s[6:7]
	s_and_saveexec_b64 s[6:7], s[4:5]
	s_cbranch_execz .LBB44_988
.LBB44_987:
	v_bfe_u32 v2, v8, 24, 3
	v_ffbh_u32_e32 v10, v2
	v_min_u32_e32 v10, 32, v10
	v_lshrrev_b32_e32 v6, 27, v8
	v_subrev_u32_e32 v11, 28, v10
	v_and_b32_e32 v3, 0x80000000, v8
	v_and_b32_e32 v6, 15, v6
	v_bfe_u32 v7, v8, 27, 4
	v_lshlrev_b32_sdwa v8, v11, v8 dst_sel:DWORD dst_unused:UNUSED_PAD src0_sel:DWORD src1_sel:BYTE_3
	v_sub_u32_e32 v10, 29, v10
	v_and_b32_e32 v8, 7, v8
	v_cmp_eq_u16_e32 vcc, 0, v6
	v_cndmask_b32_e32 v2, v2, v8, vcc
	v_cndmask_b32_e32 v6, v7, v10, vcc
	v_mov_b32_e32 v7, 0x3b800000
	v_lshlrev_b32_e32 v2, 20, v2
	v_lshl_add_u32 v6, v6, 23, v7
	v_or3_b32 v2, v3, v6, v2
.LBB44_988:
	s_or_b64 exec, exec, s[6:7]
	s_movk_i32 s4, 0x7f
	v_cmp_gt_i16_sdwa s[6:7], v4, s4 src0_sel:BYTE_3 src1_sel:DWORD
	s_mov_b64 s[4:5], 0
                                        ; implicit-def: $sgpr10
	s_and_saveexec_b64 s[8:9], s[6:7]
	s_xor_b64 s[6:7], exec, s[8:9]
	s_cbranch_execnz .LBB44_3037
; %bb.989:
	s_or_saveexec_b64 s[6:7], s[6:7]
	v_mov_b32_e32 v3, s10
	s_xor_b64 exec, exec, s[6:7]
	s_cbranch_execnz .LBB44_3040
.LBB44_990:
	s_or_b64 exec, exec, s[6:7]
	s_and_saveexec_b64 s[6:7], s[4:5]
	s_cbranch_execz .LBB44_992
.LBB44_991:
	v_bfe_u32 v3, v4, 24, 3
	v_ffbh_u32_e32 v10, v3
	v_min_u32_e32 v10, 32, v10
	v_lshrrev_b32_e32 v7, 27, v4
	v_subrev_u32_e32 v11, 28, v10
	v_and_b32_e32 v6, 0x80000000, v4
	v_and_b32_e32 v7, 15, v7
	v_bfe_u32 v8, v4, 27, 4
	v_lshlrev_b32_sdwa v4, v11, v4 dst_sel:DWORD dst_unused:UNUSED_PAD src0_sel:DWORD src1_sel:BYTE_3
	v_sub_u32_e32 v10, 29, v10
	v_and_b32_e32 v4, 7, v4
	v_cmp_eq_u16_e32 vcc, 0, v7
	v_cndmask_b32_e32 v3, v3, v4, vcc
	v_cndmask_b32_e32 v4, v8, v10, vcc
	v_mov_b32_e32 v7, 0x3b800000
	v_lshlrev_b32_e32 v3, 20, v3
	v_lshl_add_u32 v4, v4, 23, v7
	v_or3_b32 v3, v6, v4, v3
.LBB44_992:
	s_or_b64 exec, exec, s[6:7]
	s_nop 0
	v_mfma_f32_16x16x4f32 a[0:3], v2, v3, a[0:3]
	s_movk_i32 s4, 0x7f
	v_cmp_gt_i16_sdwa s[6:7], v9, s4 src0_sel:BYTE_0 src1_sel:DWORD
	s_mov_b64 s[4:5], 0
                                        ; implicit-def: $sgpr10
	s_and_saveexec_b64 s[8:9], s[6:7]
	s_xor_b64 s[6:7], exec, s[8:9]
	s_cbranch_execnz .LBB44_3041
; %bb.993:
	s_or_saveexec_b64 s[6:7], s[6:7]
	v_mov_b32_e32 v2, s10
	s_xor_b64 exec, exec, s[6:7]
	s_cbranch_execnz .LBB44_3044
.LBB44_994:
	s_or_b64 exec, exec, s[6:7]
	s_and_saveexec_b64 s[6:7], s[4:5]
	s_cbranch_execz .LBB44_996
.LBB44_995:
	v_mov_b32_e32 v2, 8
	v_and_b32_e32 v3, 7, v9
	v_lshrrev_b32_sdwa v2, v2, v9 dst_sel:BYTE_1 dst_unused:UNUSED_PAD src0_sel:DWORD src1_sel:DWORD
	v_ffbh_u32_e32 v4, v3
	v_or_b32_sdwa v2, v9, v2 dst_sel:DWORD dst_unused:UNUSED_PAD src0_sel:BYTE_0 src1_sel:DWORD
	v_min_u32_e32 v4, 32, v4
	v_lshrrev_b16_e32 v2, 3, v2
	v_subrev_u32_e32 v6, 28, v4
	v_and_b32_e32 v2, 15, v2
	v_lshlrev_b32_e32 v6, v6, v9
	v_sub_u32_e32 v4, 29, v4
	v_and_b32_e32 v6, 7, v6
	v_cmp_eq_u16_e32 vcc, 0, v2
	v_cndmask_b32_e32 v3, v3, v6, vcc
	v_cndmask_b32_e32 v2, v2, v4, vcc
	v_lshlrev_b32_e32 v4, 24, v9
	v_mov_b32_e32 v6, 0x3b800000
	v_lshlrev_b32_e32 v3, 20, v3
	v_and_b32_e32 v4, 0x80000000, v4
	v_lshl_add_u32 v2, v2, 23, v6
	v_or3_b32 v2, v4, v2, v3
.LBB44_996:
	s_or_b64 exec, exec, s[6:7]
	s_movk_i32 s4, 0x7f
	v_cmp_gt_i16_sdwa s[6:7], v5, s4 src0_sel:BYTE_0 src1_sel:DWORD
	s_mov_b64 s[4:5], 0
                                        ; implicit-def: $sgpr10
	s_and_saveexec_b64 s[8:9], s[6:7]
	s_xor_b64 s[6:7], exec, s[8:9]
	s_cbranch_execnz .LBB44_3045
; %bb.997:
	s_or_saveexec_b64 s[6:7], s[6:7]
	v_mov_b32_e32 v3, s10
	s_xor_b64 exec, exec, s[6:7]
	s_cbranch_execnz .LBB44_3048
.LBB44_998:
	s_or_b64 exec, exec, s[6:7]
	s_and_saveexec_b64 s[6:7], s[4:5]
	s_cbranch_execz .LBB44_1000
.LBB44_999:
	v_mov_b32_e32 v3, 8
	v_and_b32_e32 v4, 7, v5
	v_lshrrev_b32_sdwa v3, v3, v5 dst_sel:BYTE_1 dst_unused:UNUSED_PAD src0_sel:DWORD src1_sel:DWORD
	v_ffbh_u32_e32 v6, v4
	v_or_b32_sdwa v3, v5, v3 dst_sel:DWORD dst_unused:UNUSED_PAD src0_sel:BYTE_0 src1_sel:DWORD
	v_min_u32_e32 v6, 32, v6
	v_lshrrev_b16_e32 v3, 3, v3
	v_subrev_u32_e32 v7, 28, v6
	v_and_b32_e32 v3, 15, v3
	v_lshlrev_b32_e32 v7, v7, v5
	v_sub_u32_e32 v6, 29, v6
	v_and_b32_e32 v7, 7, v7
	v_cmp_eq_u16_e32 vcc, 0, v3
	v_cndmask_b32_e32 v4, v4, v7, vcc
	v_cndmask_b32_e32 v3, v3, v6, vcc
	v_lshlrev_b32_e32 v6, 24, v5
	v_mov_b32_e32 v7, 0x3b800000
	v_lshlrev_b32_e32 v4, 20, v4
	v_and_b32_e32 v6, 0x80000000, v6
	v_lshl_add_u32 v3, v3, 23, v7
	v_or3_b32 v3, v6, v3, v4
.LBB44_1000:
	s_or_b64 exec, exec, s[6:7]
	s_nop 0
	v_mfma_f32_16x16x4f32 a[0:3], v2, v3, a[0:3]
	v_lshrrev_b32_e32 v3, 8, v9
	s_movk_i32 s4, 0x7f
	v_cmp_gt_i16_sdwa s[6:7], v3, s4 src0_sel:BYTE_0 src1_sel:DWORD
	s_mov_b64 s[4:5], 0
                                        ; implicit-def: $sgpr10
	s_and_saveexec_b64 s[8:9], s[6:7]
	s_xor_b64 s[6:7], exec, s[8:9]
	s_cbranch_execnz .LBB44_3049
; %bb.1001:
	s_or_saveexec_b64 s[6:7], s[6:7]
	v_mov_b32_e32 v2, s10
	s_xor_b64 exec, exec, s[6:7]
	s_cbranch_execnz .LBB44_3052
.LBB44_1002:
	s_or_b64 exec, exec, s[6:7]
	s_and_saveexec_b64 s[6:7], s[4:5]
	s_cbranch_execz .LBB44_1004
.LBB44_1003:
	v_bfe_u32 v2, v9, 8, 3
	v_ffbh_u32_e32 v6, v2
	v_min_u32_e32 v6, 32, v6
	v_lshrrev_b16_e32 v4, 3, v3
	v_subrev_u32_e32 v7, 28, v6
	v_and_b32_e32 v4, 15, v4
	v_lshlrev_b32_e32 v3, v7, v3
	v_sub_u32_e32 v6, 29, v6
	v_and_b32_e32 v3, 7, v3
	v_cmp_eq_u16_e32 vcc, 0, v4
	v_cndmask_b32_e32 v2, v2, v3, vcc
	v_cndmask_b32_e32 v3, v4, v6, vcc
	v_lshlrev_b32_e32 v4, 16, v9
	v_mov_b32_e32 v6, 0x3b800000
	v_lshlrev_b32_e32 v2, 20, v2
	v_and_b32_e32 v4, 0x80000000, v4
	v_lshl_add_u32 v3, v3, 23, v6
	v_or3_b32 v2, v4, v3, v2
.LBB44_1004:
	s_or_b64 exec, exec, s[6:7]
	v_lshrrev_b32_e32 v3, 8, v5
	s_movk_i32 s4, 0x7f
	v_cmp_gt_i16_sdwa s[6:7], v3, s4 src0_sel:BYTE_0 src1_sel:DWORD
	s_mov_b64 s[4:5], 0
                                        ; implicit-def: $sgpr10
	s_and_saveexec_b64 s[8:9], s[6:7]
	s_xor_b64 s[6:7], exec, s[8:9]
	s_cbranch_execnz .LBB44_3053
; %bb.1005:
	s_or_saveexec_b64 s[6:7], s[6:7]
	v_mov_b32_e32 v4, s10
	s_xor_b64 exec, exec, s[6:7]
	s_cbranch_execnz .LBB44_3056
.LBB44_1006:
	s_or_b64 exec, exec, s[6:7]
	s_and_saveexec_b64 s[6:7], s[4:5]
	s_cbranch_execz .LBB44_1008
.LBB44_1007:
	v_bfe_u32 v4, v5, 8, 3
	v_ffbh_u32_e32 v7, v4
	v_min_u32_e32 v7, 32, v7
	v_lshrrev_b16_e32 v6, 3, v3
	v_subrev_u32_e32 v8, 28, v7
	v_and_b32_e32 v6, 15, v6
	v_lshlrev_b32_e32 v3, v8, v3
	v_sub_u32_e32 v7, 29, v7
	v_and_b32_e32 v3, 7, v3
	v_cmp_eq_u16_e32 vcc, 0, v6
	v_cndmask_b32_e32 v3, v4, v3, vcc
	v_cndmask_b32_e32 v4, v6, v7, vcc
	v_lshlrev_b32_e32 v6, 16, v5
	v_mov_b32_e32 v7, 0x3b800000
	v_lshlrev_b32_e32 v3, 20, v3
	v_and_b32_e32 v6, 0x80000000, v6
	v_lshl_add_u32 v4, v4, 23, v7
	v_or3_b32 v4, v6, v4, v3
.LBB44_1008:
	s_or_b64 exec, exec, s[6:7]
	s_nop 0
	v_mfma_f32_16x16x4f32 a[0:3], v2, v4, a[0:3]
	s_movk_i32 s4, 0xff
	v_and_b32_sdwa v3, v9, s4 dst_sel:DWORD dst_unused:UNUSED_PAD src0_sel:WORD_1 src1_sel:DWORD
	s_movk_i32 s4, 0x7f
	v_cmp_lt_i16_e32 vcc, s4, v3
	s_mov_b64 s[4:5], 0
                                        ; implicit-def: $sgpr10
	s_and_saveexec_b64 s[6:7], vcc
	s_xor_b64 s[6:7], exec, s[6:7]
	s_cbranch_execnz .LBB44_3057
; %bb.1009:
	s_or_saveexec_b64 s[6:7], s[6:7]
	v_mov_b32_e32 v2, s10
	s_xor_b64 exec, exec, s[6:7]
	s_cbranch_execnz .LBB44_3060
.LBB44_1010:
	s_or_b64 exec, exec, s[6:7]
	s_and_saveexec_b64 s[6:7], s[4:5]
	s_cbranch_execz .LBB44_1012
.LBB44_1011:
	v_bfe_u32 v2, v9, 16, 3
	v_ffbh_u32_e32 v6, v2
	v_min_u32_e32 v6, 32, v6
	v_lshrrev_b32_e32 v3, 19, v9
	v_subrev_u32_e32 v7, 28, v6
	v_and_b32_e32 v3, 15, v3
	v_lshlrev_b32_sdwa v7, v7, v9 dst_sel:DWORD dst_unused:UNUSED_PAD src0_sel:DWORD src1_sel:WORD_1
	v_bfe_u32 v4, v9, 19, 4
	v_sub_u32_e32 v6, 29, v6
	v_and_b32_e32 v7, 7, v7
	v_cmp_eq_u16_e32 vcc, 0, v3
	v_cndmask_b32_e32 v2, v2, v7, vcc
	v_cndmask_b32_e32 v3, v4, v6, vcc
	v_lshlrev_b32_e32 v4, 8, v9
	v_mov_b32_e32 v6, 0x3b800000
	v_lshlrev_b32_e32 v2, 20, v2
	v_and_b32_e32 v4, 0x80000000, v4
	v_lshl_add_u32 v3, v3, 23, v6
	v_or3_b32 v2, v4, v3, v2
.LBB44_1012:
	s_or_b64 exec, exec, s[6:7]
	s_movk_i32 s4, 0xff
	v_and_b32_sdwa v3, v5, s4 dst_sel:DWORD dst_unused:UNUSED_PAD src0_sel:WORD_1 src1_sel:DWORD
	s_movk_i32 s4, 0x7f
	v_cmp_lt_i16_e32 vcc, s4, v3
	s_mov_b64 s[4:5], 0
                                        ; implicit-def: $sgpr10
	s_and_saveexec_b64 s[6:7], vcc
	s_xor_b64 s[6:7], exec, s[6:7]
	s_cbranch_execnz .LBB44_3061
; %bb.1013:
	s_or_saveexec_b64 s[6:7], s[6:7]
	v_mov_b32_e32 v4, s10
	s_xor_b64 exec, exec, s[6:7]
	s_cbranch_execnz .LBB44_3064
.LBB44_1014:
	s_or_b64 exec, exec, s[6:7]
	s_and_saveexec_b64 s[6:7], s[4:5]
	s_cbranch_execz .LBB44_1016
.LBB44_1015:
	v_bfe_u32 v3, v5, 16, 3
	v_ffbh_u32_e32 v7, v3
	v_min_u32_e32 v7, 32, v7
	v_lshrrev_b32_e32 v4, 19, v5
	v_subrev_u32_e32 v8, 28, v7
	v_and_b32_e32 v4, 15, v4
	v_lshlrev_b32_sdwa v8, v8, v5 dst_sel:DWORD dst_unused:UNUSED_PAD src0_sel:DWORD src1_sel:WORD_1
	v_bfe_u32 v6, v5, 19, 4
	v_sub_u32_e32 v7, 29, v7
	v_and_b32_e32 v8, 7, v8
	v_cmp_eq_u16_e32 vcc, 0, v4
	v_cndmask_b32_e32 v3, v3, v8, vcc
	v_cndmask_b32_e32 v4, v6, v7, vcc
	v_lshlrev_b32_e32 v6, 8, v5
	v_mov_b32_e32 v7, 0x3b800000
	v_lshlrev_b32_e32 v3, 20, v3
	v_and_b32_e32 v6, 0x80000000, v6
	v_lshl_add_u32 v4, v4, 23, v7
	v_or3_b32 v4, v6, v4, v3
.LBB44_1016:
	s_or_b64 exec, exec, s[6:7]
	s_nop 0
	v_mfma_f32_16x16x4f32 a[0:3], v2, v4, a[0:3]
	s_movk_i32 s4, 0x7f
	v_cmp_gt_i16_sdwa s[6:7], v9, s4 src0_sel:BYTE_3 src1_sel:DWORD
	s_mov_b64 s[4:5], 0
                                        ; implicit-def: $sgpr10
	s_and_saveexec_b64 s[8:9], s[6:7]
	s_xor_b64 s[6:7], exec, s[8:9]
	s_cbranch_execnz .LBB44_3065
; %bb.1017:
	s_or_saveexec_b64 s[6:7], s[6:7]
	v_mov_b32_e32 v2, s10
	s_xor_b64 exec, exec, s[6:7]
	s_cbranch_execnz .LBB44_3068
.LBB44_1018:
	s_or_b64 exec, exec, s[6:7]
	s_and_saveexec_b64 s[6:7], s[4:5]
	s_cbranch_execz .LBB44_1020
.LBB44_1019:
	v_bfe_u32 v2, v9, 24, 3
	v_ffbh_u32_e32 v7, v2
	v_min_u32_e32 v7, 32, v7
	v_lshrrev_b32_e32 v4, 27, v9
	v_subrev_u32_e32 v8, 28, v7
	v_and_b32_e32 v4, 15, v4
	v_lshlrev_b32_sdwa v8, v8, v9 dst_sel:DWORD dst_unused:UNUSED_PAD src0_sel:DWORD src1_sel:BYTE_3
	v_bfe_u32 v6, v9, 27, 4
	v_sub_u32_e32 v7, 29, v7
	v_and_b32_e32 v8, 7, v8
	v_cmp_eq_u16_e32 vcc, 0, v4
	v_cndmask_b32_e32 v2, v2, v8, vcc
	v_cndmask_b32_e32 v4, v6, v7, vcc
	v_mov_b32_e32 v6, 0x3b800000
	v_and_b32_e32 v3, 0x80000000, v9
	v_lshlrev_b32_e32 v2, 20, v2
	v_lshl_add_u32 v4, v4, 23, v6
	v_or3_b32 v2, v3, v4, v2
.LBB44_1020:
	s_or_b64 exec, exec, s[6:7]
	s_movk_i32 s4, 0x7f
	v_cmp_gt_i16_sdwa s[6:7], v5, s4 src0_sel:BYTE_3 src1_sel:DWORD
	s_mov_b64 s[4:5], 0
                                        ; implicit-def: $sgpr10
	s_and_saveexec_b64 s[8:9], s[6:7]
	s_xor_b64 s[6:7], exec, s[8:9]
	s_cbranch_execnz .LBB44_3069
; %bb.1021:
	s_or_saveexec_b64 s[6:7], s[6:7]
	v_mov_b32_e32 v3, s10
	s_xor_b64 exec, exec, s[6:7]
	s_cbranch_execnz .LBB44_3072
.LBB44_1022:
	s_or_b64 exec, exec, s[6:7]
	s_and_saveexec_b64 s[6:7], s[4:5]
	s_cbranch_execz .LBB44_1024
.LBB44_1023:
	v_bfe_u32 v3, v5, 24, 3
	v_ffbh_u32_e32 v8, v3
	v_min_u32_e32 v8, 32, v8
	v_lshrrev_b32_e32 v6, 27, v5
	v_subrev_u32_e32 v9, 28, v8
	v_and_b32_e32 v4, 0x80000000, v5
	v_and_b32_e32 v6, 15, v6
	v_bfe_u32 v7, v5, 27, 4
	v_lshlrev_b32_sdwa v5, v9, v5 dst_sel:DWORD dst_unused:UNUSED_PAD src0_sel:DWORD src1_sel:BYTE_3
	v_sub_u32_e32 v8, 29, v8
	v_and_b32_e32 v5, 7, v5
	v_cmp_eq_u16_e32 vcc, 0, v6
	v_cndmask_b32_e32 v3, v3, v5, vcc
	v_cndmask_b32_e32 v5, v7, v8, vcc
	v_mov_b32_e32 v6, 0x3b800000
	v_lshlrev_b32_e32 v3, 20, v3
	v_lshl_add_u32 v5, v5, 23, v6
	v_or3_b32 v3, v4, v5, v3
.LBB44_1024:
	s_or_b64 exec, exec, s[6:7]
	s_nop 0
	v_mfma_f32_16x16x4f32 a[0:3], v2, v3, a[0:3]
	s_movk_i32 s4, 0x7f
                                        ; implicit-def: $sgpr10
	s_nop 7
	s_nop 1
	flat_store_dwordx4 v[18:19], a[0:3] offset:48
	flat_load_dwordx4 v[20:23], v[0:1] offset:8
	s_nop 0
	flat_load_dwordx2 v[18:19], v[0:1] offset:24
	s_waitcnt vmcnt(0) lgkmcnt(0)
	flat_load_dwordx4 v[14:17], v[20:21]
	flat_load_dwordx4 v[6:9], v[20:21] offset:16
	flat_load_dwordx4 v[10:13], v[22:23] offset:128
	;; [unrolled: 1-line block ×3, first 2 shown]
	s_waitcnt vmcnt(0) lgkmcnt(0)
	v_cmp_gt_i16_sdwa s[6:7], v14, s4 src0_sel:BYTE_0 src1_sel:DWORD
	s_mov_b64 s[4:5], 0
	s_and_saveexec_b64 s[8:9], s[6:7]
	s_xor_b64 s[6:7], exec, s[8:9]
	s_cbranch_execnz .LBB44_3073
; %bb.1025:
	s_or_saveexec_b64 s[6:7], s[6:7]
	v_mov_b32_e32 v20, s10
	s_xor_b64 exec, exec, s[6:7]
	s_cbranch_execnz .LBB44_3076
.LBB44_1026:
	s_or_b64 exec, exec, s[6:7]
	s_and_saveexec_b64 s[6:7], s[4:5]
	s_cbranch_execz .LBB44_1028
.LBB44_1027:
	v_and_b32_e32 v20, 7, v14
	v_ffbh_u32_e32 v22, v20
	v_min_u32_e32 v22, 32, v22
	v_lshrrev_b16_e32 v21, 3, v14
	v_subrev_u32_e32 v23, 28, v22
	v_and_b32_e32 v21, 15, v21
	v_lshlrev_b32_e32 v23, v23, v14
	v_sub_u32_e32 v22, 29, v22
	v_and_b32_e32 v23, 7, v23
	v_cmp_eq_u16_e32 vcc, 0, v21
	v_cndmask_b32_e32 v20, v20, v23, vcc
	v_cndmask_b32_e32 v21, v21, v22, vcc
	v_lshlrev_b32_e32 v22, 24, v14
	v_mov_b32_e32 v23, 0x3b800000
	v_lshlrev_b32_e32 v20, 20, v20
	v_and_b32_e32 v22, 0x80000000, v22
	v_lshl_add_u32 v21, v21, 23, v23
	v_or3_b32 v20, v22, v21, v20
.LBB44_1028:
	s_or_b64 exec, exec, s[6:7]
	s_movk_i32 s4, 0x7f
	v_cmp_gt_i16_sdwa s[6:7], v10, s4 src0_sel:BYTE_0 src1_sel:DWORD
	s_mov_b64 s[4:5], 0
                                        ; implicit-def: $sgpr10
	s_and_saveexec_b64 s[8:9], s[6:7]
	s_xor_b64 s[6:7], exec, s[8:9]
	s_cbranch_execnz .LBB44_3077
; %bb.1029:
	s_or_saveexec_b64 s[6:7], s[6:7]
	v_mov_b32_e32 v21, s10
	s_xor_b64 exec, exec, s[6:7]
	s_cbranch_execnz .LBB44_3080
.LBB44_1030:
	s_or_b64 exec, exec, s[6:7]
	s_and_saveexec_b64 s[6:7], s[4:5]
	s_cbranch_execz .LBB44_1032
.LBB44_1031:
	v_and_b32_e32 v21, 7, v10
	v_ffbh_u32_e32 v23, v21
	v_min_u32_e32 v23, 32, v23
	v_lshrrev_b16_e32 v22, 3, v10
	v_subrev_u32_e32 v24, 28, v23
	v_and_b32_e32 v22, 15, v22
	v_lshlrev_b32_e32 v24, v24, v10
	v_sub_u32_e32 v23, 29, v23
	v_and_b32_e32 v24, 7, v24
	v_cmp_eq_u16_e32 vcc, 0, v22
	v_cndmask_b32_e32 v21, v21, v24, vcc
	v_cndmask_b32_e32 v22, v22, v23, vcc
	v_lshlrev_b32_e32 v23, 24, v10
	v_mov_b32_e32 v24, 0x3b800000
	v_lshlrev_b32_e32 v21, 20, v21
	v_and_b32_e32 v23, 0x80000000, v23
	v_lshl_add_u32 v22, v22, 23, v24
	v_or3_b32 v21, v23, v22, v21
.LBB44_1032:
	s_or_b64 exec, exec, s[6:7]
	flat_load_dwordx4 a[0:3], v[18:19] offset:64
	s_movk_i32 s4, 0x7f
                                        ; implicit-def: $sgpr10
	s_waitcnt vmcnt(0) lgkmcnt(0)
	v_mfma_f32_16x16x4f32 a[0:3], v20, v21, a[0:3]
	v_lshrrev_b32_e32 v21, 8, v14
	v_cmp_gt_i16_sdwa s[6:7], v21, s4 src0_sel:BYTE_0 src1_sel:DWORD
	s_mov_b64 s[4:5], 0
	s_and_saveexec_b64 s[8:9], s[6:7]
	s_xor_b64 s[6:7], exec, s[8:9]
	s_cbranch_execnz .LBB44_3081
; %bb.1033:
	s_or_saveexec_b64 s[6:7], s[6:7]
	v_mov_b32_e32 v20, s10
	s_xor_b64 exec, exec, s[6:7]
	s_cbranch_execnz .LBB44_3084
.LBB44_1034:
	s_or_b64 exec, exec, s[6:7]
	s_and_saveexec_b64 s[6:7], s[4:5]
	s_cbranch_execz .LBB44_1036
.LBB44_1035:
	v_bfe_u32 v20, v14, 8, 3
	v_ffbh_u32_e32 v23, v20
	v_min_u32_e32 v23, 32, v23
	v_lshrrev_b16_e32 v22, 3, v21
	v_subrev_u32_e32 v24, 28, v23
	v_and_b32_e32 v22, 15, v22
	v_lshlrev_b32_e32 v21, v24, v21
	v_sub_u32_e32 v23, 29, v23
	v_and_b32_e32 v21, 7, v21
	v_cmp_eq_u16_e32 vcc, 0, v22
	v_cndmask_b32_e32 v20, v20, v21, vcc
	v_cndmask_b32_e32 v21, v22, v23, vcc
	v_lshlrev_b32_e32 v22, 16, v14
	v_mov_b32_e32 v23, 0x3b800000
	v_lshlrev_b32_e32 v20, 20, v20
	v_and_b32_e32 v22, 0x80000000, v22
	v_lshl_add_u32 v21, v21, 23, v23
	v_or3_b32 v20, v22, v21, v20
.LBB44_1036:
	s_or_b64 exec, exec, s[6:7]
	v_lshrrev_b32_e32 v21, 8, v10
	s_movk_i32 s4, 0x7f
	v_cmp_gt_i16_sdwa s[6:7], v21, s4 src0_sel:BYTE_0 src1_sel:DWORD
	s_mov_b64 s[4:5], 0
                                        ; implicit-def: $sgpr10
	s_and_saveexec_b64 s[8:9], s[6:7]
	s_xor_b64 s[6:7], exec, s[8:9]
	s_cbranch_execnz .LBB44_3085
; %bb.1037:
	s_or_saveexec_b64 s[6:7], s[6:7]
	v_mov_b32_e32 v22, s10
	s_xor_b64 exec, exec, s[6:7]
	s_cbranch_execnz .LBB44_3088
.LBB44_1038:
	s_or_b64 exec, exec, s[6:7]
	s_and_saveexec_b64 s[6:7], s[4:5]
	s_cbranch_execz .LBB44_1040
.LBB44_1039:
	v_bfe_u32 v22, v10, 8, 3
	v_ffbh_u32_e32 v24, v22
	v_min_u32_e32 v24, 32, v24
	v_lshrrev_b16_e32 v23, 3, v21
	v_subrev_u32_e32 v25, 28, v24
	v_and_b32_e32 v23, 15, v23
	v_lshlrev_b32_e32 v21, v25, v21
	v_sub_u32_e32 v24, 29, v24
	v_and_b32_e32 v21, 7, v21
	v_cmp_eq_u16_e32 vcc, 0, v23
	v_cndmask_b32_e32 v21, v22, v21, vcc
	v_cndmask_b32_e32 v22, v23, v24, vcc
	v_lshlrev_b32_e32 v23, 16, v10
	v_mov_b32_e32 v24, 0x3b800000
	v_lshlrev_b32_e32 v21, 20, v21
	v_and_b32_e32 v23, 0x80000000, v23
	v_lshl_add_u32 v22, v22, 23, v24
	v_or3_b32 v22, v23, v22, v21
.LBB44_1040:
	s_or_b64 exec, exec, s[6:7]
	s_nop 0
	v_mfma_f32_16x16x4f32 a[0:3], v20, v22, a[0:3]
	s_movk_i32 s4, 0xff
	v_and_b32_sdwa v21, v14, s4 dst_sel:DWORD dst_unused:UNUSED_PAD src0_sel:WORD_1 src1_sel:DWORD
	s_movk_i32 s4, 0x7f
	v_cmp_lt_i16_e32 vcc, s4, v21
	s_mov_b64 s[4:5], 0
                                        ; implicit-def: $sgpr10
	s_and_saveexec_b64 s[6:7], vcc
	s_xor_b64 s[6:7], exec, s[6:7]
	s_cbranch_execnz .LBB44_3089
; %bb.1041:
	s_or_saveexec_b64 s[6:7], s[6:7]
	v_mov_b32_e32 v20, s10
	s_xor_b64 exec, exec, s[6:7]
	s_cbranch_execnz .LBB44_3092
.LBB44_1042:
	s_or_b64 exec, exec, s[6:7]
	s_and_saveexec_b64 s[6:7], s[4:5]
	s_cbranch_execz .LBB44_1044
.LBB44_1043:
	v_bfe_u32 v20, v14, 16, 3
	v_ffbh_u32_e32 v23, v20
	v_min_u32_e32 v23, 32, v23
	v_lshrrev_b32_e32 v21, 19, v14
	v_subrev_u32_e32 v24, 28, v23
	v_and_b32_e32 v21, 15, v21
	v_lshlrev_b32_sdwa v24, v24, v14 dst_sel:DWORD dst_unused:UNUSED_PAD src0_sel:DWORD src1_sel:WORD_1
	v_bfe_u32 v22, v14, 19, 4
	v_sub_u32_e32 v23, 29, v23
	v_and_b32_e32 v24, 7, v24
	v_cmp_eq_u16_e32 vcc, 0, v21
	v_cndmask_b32_e32 v20, v20, v24, vcc
	v_cndmask_b32_e32 v21, v22, v23, vcc
	v_lshlrev_b32_e32 v22, 8, v14
	v_mov_b32_e32 v23, 0x3b800000
	v_lshlrev_b32_e32 v20, 20, v20
	v_and_b32_e32 v22, 0x80000000, v22
	v_lshl_add_u32 v21, v21, 23, v23
	v_or3_b32 v20, v22, v21, v20
.LBB44_1044:
	s_or_b64 exec, exec, s[6:7]
	s_movk_i32 s4, 0xff
	v_and_b32_sdwa v21, v10, s4 dst_sel:DWORD dst_unused:UNUSED_PAD src0_sel:WORD_1 src1_sel:DWORD
	s_movk_i32 s4, 0x7f
	v_cmp_lt_i16_e32 vcc, s4, v21
	s_mov_b64 s[4:5], 0
                                        ; implicit-def: $sgpr10
	s_and_saveexec_b64 s[6:7], vcc
	s_xor_b64 s[6:7], exec, s[6:7]
	s_cbranch_execnz .LBB44_3093
; %bb.1045:
	s_or_saveexec_b64 s[6:7], s[6:7]
	v_mov_b32_e32 v22, s10
	s_xor_b64 exec, exec, s[6:7]
	s_cbranch_execnz .LBB44_3096
.LBB44_1046:
	s_or_b64 exec, exec, s[6:7]
	s_and_saveexec_b64 s[6:7], s[4:5]
	s_cbranch_execz .LBB44_1048
.LBB44_1047:
	v_bfe_u32 v21, v10, 16, 3
	v_ffbh_u32_e32 v24, v21
	v_min_u32_e32 v24, 32, v24
	v_lshrrev_b32_e32 v22, 19, v10
	v_subrev_u32_e32 v25, 28, v24
	v_and_b32_e32 v22, 15, v22
	v_lshlrev_b32_sdwa v25, v25, v10 dst_sel:DWORD dst_unused:UNUSED_PAD src0_sel:DWORD src1_sel:WORD_1
	v_bfe_u32 v23, v10, 19, 4
	v_sub_u32_e32 v24, 29, v24
	v_and_b32_e32 v25, 7, v25
	v_cmp_eq_u16_e32 vcc, 0, v22
	v_cndmask_b32_e32 v21, v21, v25, vcc
	v_cndmask_b32_e32 v22, v23, v24, vcc
	v_lshlrev_b32_e32 v23, 8, v10
	v_mov_b32_e32 v24, 0x3b800000
	v_lshlrev_b32_e32 v21, 20, v21
	v_and_b32_e32 v23, 0x80000000, v23
	v_lshl_add_u32 v22, v22, 23, v24
	v_or3_b32 v22, v23, v22, v21
.LBB44_1048:
	s_or_b64 exec, exec, s[6:7]
	s_nop 0
	v_mfma_f32_16x16x4f32 a[0:3], v20, v22, a[0:3]
	s_movk_i32 s4, 0x7f
	v_cmp_gt_i16_sdwa s[6:7], v14, s4 src0_sel:BYTE_3 src1_sel:DWORD
	s_mov_b64 s[4:5], 0
                                        ; implicit-def: $sgpr10
	s_and_saveexec_b64 s[8:9], s[6:7]
	s_xor_b64 s[6:7], exec, s[8:9]
	s_cbranch_execnz .LBB44_3097
; %bb.1049:
	s_or_saveexec_b64 s[6:7], s[6:7]
	v_mov_b32_e32 v20, s10
	s_xor_b64 exec, exec, s[6:7]
	s_cbranch_execnz .LBB44_3100
.LBB44_1050:
	s_or_b64 exec, exec, s[6:7]
	s_and_saveexec_b64 s[6:7], s[4:5]
	s_cbranch_execz .LBB44_1052
.LBB44_1051:
	v_bfe_u32 v20, v14, 24, 3
	v_ffbh_u32_e32 v24, v20
	v_min_u32_e32 v24, 32, v24
	v_lshrrev_b32_e32 v22, 27, v14
	v_subrev_u32_e32 v25, 28, v24
	v_and_b32_e32 v21, 0x80000000, v14
	v_and_b32_e32 v22, 15, v22
	v_bfe_u32 v23, v14, 27, 4
	v_lshlrev_b32_sdwa v14, v25, v14 dst_sel:DWORD dst_unused:UNUSED_PAD src0_sel:DWORD src1_sel:BYTE_3
	v_sub_u32_e32 v24, 29, v24
	v_and_b32_e32 v14, 7, v14
	v_cmp_eq_u16_e32 vcc, 0, v22
	v_cndmask_b32_e32 v14, v20, v14, vcc
	v_cndmask_b32_e32 v20, v23, v24, vcc
	v_mov_b32_e32 v22, 0x3b800000
	v_lshlrev_b32_e32 v14, 20, v14
	v_lshl_add_u32 v20, v20, 23, v22
	v_or3_b32 v20, v21, v20, v14
.LBB44_1052:
	s_or_b64 exec, exec, s[6:7]
	s_movk_i32 s4, 0x7f
	v_cmp_gt_i16_sdwa s[6:7], v10, s4 src0_sel:BYTE_3 src1_sel:DWORD
	s_mov_b64 s[4:5], 0
                                        ; implicit-def: $sgpr10
	s_and_saveexec_b64 s[8:9], s[6:7]
	s_xor_b64 s[6:7], exec, s[8:9]
	s_cbranch_execnz .LBB44_3101
; %bb.1053:
	s_or_saveexec_b64 s[6:7], s[6:7]
	v_mov_b32_e32 v14, s10
	s_xor_b64 exec, exec, s[6:7]
	s_cbranch_execnz .LBB44_3104
.LBB44_1054:
	s_or_b64 exec, exec, s[6:7]
	s_and_saveexec_b64 s[6:7], s[4:5]
	s_cbranch_execz .LBB44_1056
.LBB44_1055:
	v_bfe_u32 v14, v10, 24, 3
	v_ffbh_u32_e32 v24, v14
	v_min_u32_e32 v24, 32, v24
	v_lshrrev_b32_e32 v22, 27, v10
	v_subrev_u32_e32 v25, 28, v24
	v_and_b32_e32 v21, 0x80000000, v10
	v_and_b32_e32 v22, 15, v22
	v_bfe_u32 v23, v10, 27, 4
	v_lshlrev_b32_sdwa v10, v25, v10 dst_sel:DWORD dst_unused:UNUSED_PAD src0_sel:DWORD src1_sel:BYTE_3
	v_sub_u32_e32 v24, 29, v24
	v_and_b32_e32 v10, 7, v10
	v_cmp_eq_u16_e32 vcc, 0, v22
	v_cndmask_b32_e32 v10, v14, v10, vcc
	v_cndmask_b32_e32 v14, v23, v24, vcc
	v_mov_b32_e32 v22, 0x3b800000
	v_lshlrev_b32_e32 v10, 20, v10
	v_lshl_add_u32 v14, v14, 23, v22
	v_or3_b32 v14, v21, v14, v10
.LBB44_1056:
	s_or_b64 exec, exec, s[6:7]
	s_nop 0
	v_mfma_f32_16x16x4f32 a[0:3], v20, v14, a[0:3]
	s_movk_i32 s4, 0x7f
	v_cmp_gt_i16_sdwa s[6:7], v15, s4 src0_sel:BYTE_0 src1_sel:DWORD
	s_mov_b64 s[4:5], 0
                                        ; implicit-def: $sgpr10
	s_and_saveexec_b64 s[8:9], s[6:7]
	s_xor_b64 s[6:7], exec, s[8:9]
	s_cbranch_execnz .LBB44_3105
; %bb.1057:
	s_or_saveexec_b64 s[6:7], s[6:7]
	v_mov_b32_e32 v10, s10
	s_xor_b64 exec, exec, s[6:7]
	s_cbranch_execnz .LBB44_3108
.LBB44_1058:
	s_or_b64 exec, exec, s[6:7]
	s_and_saveexec_b64 s[6:7], s[4:5]
	s_cbranch_execz .LBB44_1060
.LBB44_1059:
	v_and_b32_e32 v10, 7, v15
	v_ffbh_u32_e32 v20, v10
	v_min_u32_e32 v20, 32, v20
	v_lshrrev_b16_e32 v14, 3, v15
	v_subrev_u32_e32 v21, 28, v20
	v_and_b32_e32 v14, 15, v14
	v_lshlrev_b32_e32 v21, v21, v15
	v_sub_u32_e32 v20, 29, v20
	v_and_b32_e32 v21, 7, v21
	v_cmp_eq_u16_e32 vcc, 0, v14
	v_cndmask_b32_e32 v10, v10, v21, vcc
	v_cndmask_b32_e32 v14, v14, v20, vcc
	v_lshlrev_b32_e32 v20, 24, v15
	v_mov_b32_e32 v21, 0x3b800000
	v_lshlrev_b32_e32 v10, 20, v10
	v_and_b32_e32 v20, 0x80000000, v20
	v_lshl_add_u32 v14, v14, 23, v21
	v_or3_b32 v10, v20, v14, v10
.LBB44_1060:
	s_or_b64 exec, exec, s[6:7]
	s_movk_i32 s4, 0x7f
	v_cmp_gt_i16_sdwa s[6:7], v11, s4 src0_sel:BYTE_0 src1_sel:DWORD
	s_mov_b64 s[4:5], 0
                                        ; implicit-def: $sgpr10
	s_and_saveexec_b64 s[8:9], s[6:7]
	s_xor_b64 s[6:7], exec, s[8:9]
	s_cbranch_execnz .LBB44_3109
; %bb.1061:
	s_or_saveexec_b64 s[6:7], s[6:7]
	v_mov_b32_e32 v14, s10
	s_xor_b64 exec, exec, s[6:7]
	s_cbranch_execnz .LBB44_3112
.LBB44_1062:
	s_or_b64 exec, exec, s[6:7]
	s_and_saveexec_b64 s[6:7], s[4:5]
	s_cbranch_execz .LBB44_1064
.LBB44_1063:
	v_and_b32_e32 v14, 7, v11
	v_ffbh_u32_e32 v21, v14
	v_min_u32_e32 v21, 32, v21
	v_lshrrev_b16_e32 v20, 3, v11
	v_subrev_u32_e32 v22, 28, v21
	v_and_b32_e32 v20, 15, v20
	v_lshlrev_b32_e32 v22, v22, v11
	v_sub_u32_e32 v21, 29, v21
	v_and_b32_e32 v22, 7, v22
	v_cmp_eq_u16_e32 vcc, 0, v20
	v_cndmask_b32_e32 v14, v14, v22, vcc
	v_cndmask_b32_e32 v20, v20, v21, vcc
	v_lshlrev_b32_e32 v21, 24, v11
	v_mov_b32_e32 v22, 0x3b800000
	v_lshlrev_b32_e32 v14, 20, v14
	v_and_b32_e32 v21, 0x80000000, v21
	v_lshl_add_u32 v20, v20, 23, v22
	v_or3_b32 v14, v21, v20, v14
.LBB44_1064:
	s_or_b64 exec, exec, s[6:7]
	s_nop 0
	v_mfma_f32_16x16x4f32 a[0:3], v10, v14, a[0:3]
	v_lshrrev_b32_e32 v14, 8, v15
	s_movk_i32 s4, 0x7f
	v_cmp_gt_i16_sdwa s[6:7], v14, s4 src0_sel:BYTE_0 src1_sel:DWORD
	s_mov_b64 s[4:5], 0
                                        ; implicit-def: $sgpr10
	s_and_saveexec_b64 s[8:9], s[6:7]
	s_xor_b64 s[6:7], exec, s[8:9]
	s_cbranch_execnz .LBB44_3113
; %bb.1065:
	s_or_saveexec_b64 s[6:7], s[6:7]
	v_mov_b32_e32 v10, s10
	s_xor_b64 exec, exec, s[6:7]
	s_cbranch_execnz .LBB44_3116
.LBB44_1066:
	s_or_b64 exec, exec, s[6:7]
	s_and_saveexec_b64 s[6:7], s[4:5]
	s_cbranch_execz .LBB44_1068
.LBB44_1067:
	v_bfe_u32 v10, v15, 8, 3
	v_ffbh_u32_e32 v21, v10
	v_min_u32_e32 v21, 32, v21
	v_lshrrev_b16_e32 v20, 3, v14
	v_subrev_u32_e32 v22, 28, v21
	v_and_b32_e32 v20, 15, v20
	v_lshlrev_b32_e32 v14, v22, v14
	v_sub_u32_e32 v21, 29, v21
	v_and_b32_e32 v14, 7, v14
	v_cmp_eq_u16_e32 vcc, 0, v20
	v_cndmask_b32_e32 v10, v10, v14, vcc
	v_cndmask_b32_e32 v14, v20, v21, vcc
	v_lshlrev_b32_e32 v20, 16, v15
	v_mov_b32_e32 v21, 0x3b800000
	v_lshlrev_b32_e32 v10, 20, v10
	v_and_b32_e32 v20, 0x80000000, v20
	v_lshl_add_u32 v14, v14, 23, v21
	v_or3_b32 v10, v20, v14, v10
.LBB44_1068:
	s_or_b64 exec, exec, s[6:7]
	v_lshrrev_b32_e32 v14, 8, v11
	s_movk_i32 s4, 0x7f
	v_cmp_gt_i16_sdwa s[6:7], v14, s4 src0_sel:BYTE_0 src1_sel:DWORD
	s_mov_b64 s[4:5], 0
                                        ; implicit-def: $sgpr10
	s_and_saveexec_b64 s[8:9], s[6:7]
	s_xor_b64 s[6:7], exec, s[8:9]
	s_cbranch_execnz .LBB44_3117
; %bb.1069:
	s_or_saveexec_b64 s[6:7], s[6:7]
	v_mov_b32_e32 v20, s10
	s_xor_b64 exec, exec, s[6:7]
	s_cbranch_execnz .LBB44_3120
.LBB44_1070:
	s_or_b64 exec, exec, s[6:7]
	s_and_saveexec_b64 s[6:7], s[4:5]
	s_cbranch_execz .LBB44_1072
.LBB44_1071:
	v_bfe_u32 v20, v11, 8, 3
	v_ffbh_u32_e32 v22, v20
	v_min_u32_e32 v22, 32, v22
	v_lshrrev_b16_e32 v21, 3, v14
	v_subrev_u32_e32 v23, 28, v22
	v_and_b32_e32 v21, 15, v21
	v_lshlrev_b32_e32 v14, v23, v14
	v_sub_u32_e32 v22, 29, v22
	v_and_b32_e32 v14, 7, v14
	v_cmp_eq_u16_e32 vcc, 0, v21
	v_cndmask_b32_e32 v14, v20, v14, vcc
	v_cndmask_b32_e32 v20, v21, v22, vcc
	v_lshlrev_b32_e32 v21, 16, v11
	v_mov_b32_e32 v22, 0x3b800000
	v_lshlrev_b32_e32 v14, 20, v14
	v_and_b32_e32 v21, 0x80000000, v21
	v_lshl_add_u32 v20, v20, 23, v22
	v_or3_b32 v20, v21, v20, v14
.LBB44_1072:
	s_or_b64 exec, exec, s[6:7]
	s_nop 0
	v_mfma_f32_16x16x4f32 a[0:3], v10, v20, a[0:3]
	s_movk_i32 s4, 0xff
	v_and_b32_sdwa v14, v15, s4 dst_sel:DWORD dst_unused:UNUSED_PAD src0_sel:WORD_1 src1_sel:DWORD
	s_movk_i32 s4, 0x7f
	v_cmp_lt_i16_e32 vcc, s4, v14
	s_mov_b64 s[4:5], 0
                                        ; implicit-def: $sgpr10
	s_and_saveexec_b64 s[6:7], vcc
	s_xor_b64 s[6:7], exec, s[6:7]
	s_cbranch_execnz .LBB44_3121
; %bb.1073:
	s_or_saveexec_b64 s[6:7], s[6:7]
	v_mov_b32_e32 v10, s10
	s_xor_b64 exec, exec, s[6:7]
	s_cbranch_execnz .LBB44_3124
.LBB44_1074:
	s_or_b64 exec, exec, s[6:7]
	s_and_saveexec_b64 s[6:7], s[4:5]
	s_cbranch_execz .LBB44_1076
.LBB44_1075:
	v_bfe_u32 v10, v15, 16, 3
	v_ffbh_u32_e32 v21, v10
	v_min_u32_e32 v21, 32, v21
	v_lshrrev_b32_e32 v14, 19, v15
	v_subrev_u32_e32 v22, 28, v21
	v_and_b32_e32 v14, 15, v14
	v_lshlrev_b32_sdwa v22, v22, v15 dst_sel:DWORD dst_unused:UNUSED_PAD src0_sel:DWORD src1_sel:WORD_1
	v_bfe_u32 v20, v15, 19, 4
	v_sub_u32_e32 v21, 29, v21
	v_and_b32_e32 v22, 7, v22
	v_cmp_eq_u16_e32 vcc, 0, v14
	v_cndmask_b32_e32 v10, v10, v22, vcc
	v_cndmask_b32_e32 v14, v20, v21, vcc
	v_lshlrev_b32_e32 v20, 8, v15
	v_mov_b32_e32 v21, 0x3b800000
	v_lshlrev_b32_e32 v10, 20, v10
	v_and_b32_e32 v20, 0x80000000, v20
	v_lshl_add_u32 v14, v14, 23, v21
	v_or3_b32 v10, v20, v14, v10
.LBB44_1076:
	s_or_b64 exec, exec, s[6:7]
	s_movk_i32 s4, 0xff
	v_and_b32_sdwa v14, v11, s4 dst_sel:DWORD dst_unused:UNUSED_PAD src0_sel:WORD_1 src1_sel:DWORD
	s_movk_i32 s4, 0x7f
	v_cmp_lt_i16_e32 vcc, s4, v14
	s_mov_b64 s[4:5], 0
                                        ; implicit-def: $sgpr10
	s_and_saveexec_b64 s[6:7], vcc
	s_xor_b64 s[6:7], exec, s[6:7]
	s_cbranch_execnz .LBB44_3125
; %bb.1077:
	s_or_saveexec_b64 s[6:7], s[6:7]
	v_mov_b32_e32 v20, s10
	s_xor_b64 exec, exec, s[6:7]
	s_cbranch_execnz .LBB44_3128
.LBB44_1078:
	s_or_b64 exec, exec, s[6:7]
	s_and_saveexec_b64 s[6:7], s[4:5]
	s_cbranch_execz .LBB44_1080
.LBB44_1079:
	v_bfe_u32 v14, v11, 16, 3
	v_ffbh_u32_e32 v22, v14
	v_min_u32_e32 v22, 32, v22
	v_lshrrev_b32_e32 v20, 19, v11
	v_subrev_u32_e32 v23, 28, v22
	v_and_b32_e32 v20, 15, v20
	v_lshlrev_b32_sdwa v23, v23, v11 dst_sel:DWORD dst_unused:UNUSED_PAD src0_sel:DWORD src1_sel:WORD_1
	v_bfe_u32 v21, v11, 19, 4
	v_sub_u32_e32 v22, 29, v22
	v_and_b32_e32 v23, 7, v23
	v_cmp_eq_u16_e32 vcc, 0, v20
	v_cndmask_b32_e32 v14, v14, v23, vcc
	v_cndmask_b32_e32 v20, v21, v22, vcc
	v_lshlrev_b32_e32 v21, 8, v11
	v_mov_b32_e32 v22, 0x3b800000
	v_lshlrev_b32_e32 v14, 20, v14
	v_and_b32_e32 v21, 0x80000000, v21
	v_lshl_add_u32 v20, v20, 23, v22
	v_or3_b32 v20, v21, v20, v14
.LBB44_1080:
	s_or_b64 exec, exec, s[6:7]
	s_nop 0
	v_mfma_f32_16x16x4f32 a[0:3], v10, v20, a[0:3]
	s_movk_i32 s4, 0x7f
	v_cmp_gt_i16_sdwa s[6:7], v15, s4 src0_sel:BYTE_3 src1_sel:DWORD
	s_mov_b64 s[4:5], 0
                                        ; implicit-def: $sgpr10
	s_and_saveexec_b64 s[8:9], s[6:7]
	s_xor_b64 s[6:7], exec, s[8:9]
	s_cbranch_execnz .LBB44_3129
; %bb.1081:
	s_or_saveexec_b64 s[6:7], s[6:7]
	v_mov_b32_e32 v10, s10
	s_xor_b64 exec, exec, s[6:7]
	s_cbranch_execnz .LBB44_3132
.LBB44_1082:
	s_or_b64 exec, exec, s[6:7]
	s_and_saveexec_b64 s[6:7], s[4:5]
	s_cbranch_execz .LBB44_1084
.LBB44_1083:
	v_bfe_u32 v10, v15, 24, 3
	v_ffbh_u32_e32 v22, v10
	v_min_u32_e32 v22, 32, v22
	v_lshrrev_b32_e32 v20, 27, v15
	v_subrev_u32_e32 v23, 28, v22
	v_and_b32_e32 v14, 0x80000000, v15
	v_and_b32_e32 v20, 15, v20
	v_bfe_u32 v21, v15, 27, 4
	v_lshlrev_b32_sdwa v15, v23, v15 dst_sel:DWORD dst_unused:UNUSED_PAD src0_sel:DWORD src1_sel:BYTE_3
	v_sub_u32_e32 v22, 29, v22
	v_and_b32_e32 v15, 7, v15
	v_cmp_eq_u16_e32 vcc, 0, v20
	v_cndmask_b32_e32 v10, v10, v15, vcc
	v_cndmask_b32_e32 v15, v21, v22, vcc
	v_mov_b32_e32 v20, 0x3b800000
	v_lshlrev_b32_e32 v10, 20, v10
	v_lshl_add_u32 v15, v15, 23, v20
	v_or3_b32 v10, v14, v15, v10
.LBB44_1084:
	s_or_b64 exec, exec, s[6:7]
	s_movk_i32 s4, 0x7f
	v_cmp_gt_i16_sdwa s[6:7], v11, s4 src0_sel:BYTE_3 src1_sel:DWORD
	s_mov_b64 s[4:5], 0
                                        ; implicit-def: $sgpr10
	s_and_saveexec_b64 s[8:9], s[6:7]
	s_xor_b64 s[6:7], exec, s[8:9]
	s_cbranch_execnz .LBB44_3133
; %bb.1085:
	s_or_saveexec_b64 s[6:7], s[6:7]
	v_mov_b32_e32 v14, s10
	s_xor_b64 exec, exec, s[6:7]
	s_cbranch_execnz .LBB44_3136
.LBB44_1086:
	s_or_b64 exec, exec, s[6:7]
	s_and_saveexec_b64 s[6:7], s[4:5]
	s_cbranch_execz .LBB44_1088
.LBB44_1087:
	v_bfe_u32 v14, v11, 24, 3
	v_ffbh_u32_e32 v22, v14
	v_min_u32_e32 v22, 32, v22
	v_lshrrev_b32_e32 v20, 27, v11
	v_subrev_u32_e32 v23, 28, v22
	v_and_b32_e32 v15, 0x80000000, v11
	v_and_b32_e32 v20, 15, v20
	v_bfe_u32 v21, v11, 27, 4
	v_lshlrev_b32_sdwa v11, v23, v11 dst_sel:DWORD dst_unused:UNUSED_PAD src0_sel:DWORD src1_sel:BYTE_3
	v_sub_u32_e32 v22, 29, v22
	v_and_b32_e32 v11, 7, v11
	v_cmp_eq_u16_e32 vcc, 0, v20
	v_cndmask_b32_e32 v11, v14, v11, vcc
	v_cndmask_b32_e32 v14, v21, v22, vcc
	v_mov_b32_e32 v20, 0x3b800000
	v_lshlrev_b32_e32 v11, 20, v11
	v_lshl_add_u32 v14, v14, 23, v20
	v_or3_b32 v14, v15, v14, v11
.LBB44_1088:
	s_or_b64 exec, exec, s[6:7]
	s_nop 0
	v_mfma_f32_16x16x4f32 a[0:3], v10, v14, a[0:3]
	s_movk_i32 s4, 0x7f
	v_cmp_gt_i16_sdwa s[6:7], v16, s4 src0_sel:BYTE_0 src1_sel:DWORD
	s_mov_b64 s[4:5], 0
                                        ; implicit-def: $sgpr10
	s_and_saveexec_b64 s[8:9], s[6:7]
	s_xor_b64 s[6:7], exec, s[8:9]
	s_cbranch_execnz .LBB44_3137
; %bb.1089:
	s_or_saveexec_b64 s[6:7], s[6:7]
	v_mov_b32_e32 v10, s10
	s_xor_b64 exec, exec, s[6:7]
	s_cbranch_execnz .LBB44_3140
.LBB44_1090:
	s_or_b64 exec, exec, s[6:7]
	s_and_saveexec_b64 s[6:7], s[4:5]
	s_cbranch_execz .LBB44_1092
.LBB44_1091:
	v_and_b32_e32 v10, 7, v16
	v_ffbh_u32_e32 v14, v10
	v_min_u32_e32 v14, 32, v14
	v_lshrrev_b16_e32 v11, 3, v16
	v_subrev_u32_e32 v15, 28, v14
	v_and_b32_e32 v11, 15, v11
	v_lshlrev_b32_e32 v15, v15, v16
	v_sub_u32_e32 v14, 29, v14
	v_and_b32_e32 v15, 7, v15
	v_cmp_eq_u16_e32 vcc, 0, v11
	v_cndmask_b32_e32 v10, v10, v15, vcc
	v_cndmask_b32_e32 v11, v11, v14, vcc
	v_lshlrev_b32_e32 v14, 24, v16
	v_mov_b32_e32 v15, 0x3b800000
	v_lshlrev_b32_e32 v10, 20, v10
	v_and_b32_e32 v14, 0x80000000, v14
	v_lshl_add_u32 v11, v11, 23, v15
	v_or3_b32 v10, v14, v11, v10
.LBB44_1092:
	s_or_b64 exec, exec, s[6:7]
	s_movk_i32 s4, 0x7f
	v_cmp_gt_i16_sdwa s[6:7], v12, s4 src0_sel:BYTE_0 src1_sel:DWORD
	s_mov_b64 s[4:5], 0
                                        ; implicit-def: $sgpr10
	s_and_saveexec_b64 s[8:9], s[6:7]
	s_xor_b64 s[6:7], exec, s[8:9]
	s_cbranch_execnz .LBB44_3141
; %bb.1093:
	s_or_saveexec_b64 s[6:7], s[6:7]
	v_mov_b32_e32 v11, s10
	s_xor_b64 exec, exec, s[6:7]
	s_cbranch_execnz .LBB44_3144
.LBB44_1094:
	s_or_b64 exec, exec, s[6:7]
	s_and_saveexec_b64 s[6:7], s[4:5]
	s_cbranch_execz .LBB44_1096
.LBB44_1095:
	v_and_b32_e32 v11, 7, v12
	v_ffbh_u32_e32 v15, v11
	v_min_u32_e32 v15, 32, v15
	v_lshrrev_b16_e32 v14, 3, v12
	v_subrev_u32_e32 v20, 28, v15
	v_and_b32_e32 v14, 15, v14
	v_lshlrev_b32_e32 v20, v20, v12
	v_sub_u32_e32 v15, 29, v15
	v_and_b32_e32 v20, 7, v20
	v_cmp_eq_u16_e32 vcc, 0, v14
	v_cndmask_b32_e32 v11, v11, v20, vcc
	v_cndmask_b32_e32 v14, v14, v15, vcc
	v_lshlrev_b32_e32 v15, 24, v12
	v_mov_b32_e32 v20, 0x3b800000
	v_lshlrev_b32_e32 v11, 20, v11
	v_and_b32_e32 v15, 0x80000000, v15
	v_lshl_add_u32 v14, v14, 23, v20
	v_or3_b32 v11, v15, v14, v11
.LBB44_1096:
	s_or_b64 exec, exec, s[6:7]
	s_nop 0
	v_mfma_f32_16x16x4f32 a[0:3], v10, v11, a[0:3]
	v_lshrrev_b32_e32 v11, 8, v16
	s_movk_i32 s4, 0x7f
	v_cmp_gt_i16_sdwa s[6:7], v11, s4 src0_sel:BYTE_0 src1_sel:DWORD
	s_mov_b64 s[4:5], 0
                                        ; implicit-def: $sgpr10
	s_and_saveexec_b64 s[8:9], s[6:7]
	s_xor_b64 s[6:7], exec, s[8:9]
	s_cbranch_execnz .LBB44_3145
; %bb.1097:
	s_or_saveexec_b64 s[6:7], s[6:7]
	v_mov_b32_e32 v10, s10
	s_xor_b64 exec, exec, s[6:7]
	s_cbranch_execnz .LBB44_3148
.LBB44_1098:
	s_or_b64 exec, exec, s[6:7]
	s_and_saveexec_b64 s[6:7], s[4:5]
	s_cbranch_execz .LBB44_1100
.LBB44_1099:
	v_bfe_u32 v10, v16, 8, 3
	v_ffbh_u32_e32 v15, v10
	v_min_u32_e32 v15, 32, v15
	v_lshrrev_b16_e32 v14, 3, v11
	v_subrev_u32_e32 v20, 28, v15
	v_and_b32_e32 v14, 15, v14
	v_lshlrev_b32_e32 v11, v20, v11
	v_sub_u32_e32 v15, 29, v15
	v_and_b32_e32 v11, 7, v11
	v_cmp_eq_u16_e32 vcc, 0, v14
	v_cndmask_b32_e32 v10, v10, v11, vcc
	v_cndmask_b32_e32 v11, v14, v15, vcc
	v_lshlrev_b32_e32 v14, 16, v16
	v_mov_b32_e32 v15, 0x3b800000
	v_lshlrev_b32_e32 v10, 20, v10
	v_and_b32_e32 v14, 0x80000000, v14
	v_lshl_add_u32 v11, v11, 23, v15
	v_or3_b32 v10, v14, v11, v10
.LBB44_1100:
	s_or_b64 exec, exec, s[6:7]
	v_lshrrev_b32_e32 v11, 8, v12
	s_movk_i32 s4, 0x7f
	v_cmp_gt_i16_sdwa s[6:7], v11, s4 src0_sel:BYTE_0 src1_sel:DWORD
	s_mov_b64 s[4:5], 0
                                        ; implicit-def: $sgpr10
	s_and_saveexec_b64 s[8:9], s[6:7]
	s_xor_b64 s[6:7], exec, s[8:9]
	s_cbranch_execnz .LBB44_3149
; %bb.1101:
	s_or_saveexec_b64 s[6:7], s[6:7]
	v_mov_b32_e32 v14, s10
	s_xor_b64 exec, exec, s[6:7]
	s_cbranch_execnz .LBB44_3152
.LBB44_1102:
	s_or_b64 exec, exec, s[6:7]
	s_and_saveexec_b64 s[6:7], s[4:5]
	s_cbranch_execz .LBB44_1104
.LBB44_1103:
	v_bfe_u32 v14, v12, 8, 3
	v_ffbh_u32_e32 v20, v14
	v_min_u32_e32 v20, 32, v20
	v_lshrrev_b16_e32 v15, 3, v11
	v_subrev_u32_e32 v21, 28, v20
	v_and_b32_e32 v15, 15, v15
	v_lshlrev_b32_e32 v11, v21, v11
	v_sub_u32_e32 v20, 29, v20
	v_and_b32_e32 v11, 7, v11
	v_cmp_eq_u16_e32 vcc, 0, v15
	v_cndmask_b32_e32 v11, v14, v11, vcc
	v_cndmask_b32_e32 v14, v15, v20, vcc
	v_lshlrev_b32_e32 v15, 16, v12
	v_mov_b32_e32 v20, 0x3b800000
	v_lshlrev_b32_e32 v11, 20, v11
	v_and_b32_e32 v15, 0x80000000, v15
	v_lshl_add_u32 v14, v14, 23, v20
	v_or3_b32 v14, v15, v14, v11
.LBB44_1104:
	s_or_b64 exec, exec, s[6:7]
	s_nop 0
	v_mfma_f32_16x16x4f32 a[0:3], v10, v14, a[0:3]
	s_movk_i32 s4, 0xff
	v_and_b32_sdwa v11, v16, s4 dst_sel:DWORD dst_unused:UNUSED_PAD src0_sel:WORD_1 src1_sel:DWORD
	s_movk_i32 s4, 0x7f
	v_cmp_lt_i16_e32 vcc, s4, v11
	s_mov_b64 s[4:5], 0
                                        ; implicit-def: $sgpr10
	s_and_saveexec_b64 s[6:7], vcc
	s_xor_b64 s[6:7], exec, s[6:7]
	s_cbranch_execnz .LBB44_3153
; %bb.1105:
	s_or_saveexec_b64 s[6:7], s[6:7]
	v_mov_b32_e32 v10, s10
	s_xor_b64 exec, exec, s[6:7]
	s_cbranch_execnz .LBB44_3156
.LBB44_1106:
	s_or_b64 exec, exec, s[6:7]
	s_and_saveexec_b64 s[6:7], s[4:5]
	s_cbranch_execz .LBB44_1108
.LBB44_1107:
	v_bfe_u32 v10, v16, 16, 3
	v_ffbh_u32_e32 v15, v10
	v_min_u32_e32 v15, 32, v15
	v_lshrrev_b32_e32 v11, 19, v16
	v_subrev_u32_e32 v20, 28, v15
	v_and_b32_e32 v11, 15, v11
	v_lshlrev_b32_sdwa v20, v20, v16 dst_sel:DWORD dst_unused:UNUSED_PAD src0_sel:DWORD src1_sel:WORD_1
	v_bfe_u32 v14, v16, 19, 4
	v_sub_u32_e32 v15, 29, v15
	v_and_b32_e32 v20, 7, v20
	v_cmp_eq_u16_e32 vcc, 0, v11
	v_cndmask_b32_e32 v10, v10, v20, vcc
	v_cndmask_b32_e32 v11, v14, v15, vcc
	v_lshlrev_b32_e32 v14, 8, v16
	v_mov_b32_e32 v15, 0x3b800000
	v_lshlrev_b32_e32 v10, 20, v10
	v_and_b32_e32 v14, 0x80000000, v14
	v_lshl_add_u32 v11, v11, 23, v15
	v_or3_b32 v10, v14, v11, v10
.LBB44_1108:
	s_or_b64 exec, exec, s[6:7]
	s_movk_i32 s4, 0xff
	v_and_b32_sdwa v11, v12, s4 dst_sel:DWORD dst_unused:UNUSED_PAD src0_sel:WORD_1 src1_sel:DWORD
	s_movk_i32 s4, 0x7f
	v_cmp_lt_i16_e32 vcc, s4, v11
	s_mov_b64 s[4:5], 0
                                        ; implicit-def: $sgpr10
	s_and_saveexec_b64 s[6:7], vcc
	s_xor_b64 s[6:7], exec, s[6:7]
	s_cbranch_execnz .LBB44_3157
; %bb.1109:
	s_or_saveexec_b64 s[6:7], s[6:7]
	v_mov_b32_e32 v14, s10
	s_xor_b64 exec, exec, s[6:7]
	s_cbranch_execnz .LBB44_3160
.LBB44_1110:
	s_or_b64 exec, exec, s[6:7]
	s_and_saveexec_b64 s[6:7], s[4:5]
	s_cbranch_execz .LBB44_1112
.LBB44_1111:
	v_bfe_u32 v11, v12, 16, 3
	v_ffbh_u32_e32 v20, v11
	v_min_u32_e32 v20, 32, v20
	v_lshrrev_b32_e32 v14, 19, v12
	v_subrev_u32_e32 v21, 28, v20
	v_and_b32_e32 v14, 15, v14
	v_lshlrev_b32_sdwa v21, v21, v12 dst_sel:DWORD dst_unused:UNUSED_PAD src0_sel:DWORD src1_sel:WORD_1
	v_bfe_u32 v15, v12, 19, 4
	v_sub_u32_e32 v20, 29, v20
	v_and_b32_e32 v21, 7, v21
	v_cmp_eq_u16_e32 vcc, 0, v14
	v_cndmask_b32_e32 v11, v11, v21, vcc
	v_cndmask_b32_e32 v14, v15, v20, vcc
	v_lshlrev_b32_e32 v15, 8, v12
	v_mov_b32_e32 v20, 0x3b800000
	v_lshlrev_b32_e32 v11, 20, v11
	v_and_b32_e32 v15, 0x80000000, v15
	v_lshl_add_u32 v14, v14, 23, v20
	v_or3_b32 v14, v15, v14, v11
.LBB44_1112:
	s_or_b64 exec, exec, s[6:7]
	s_nop 0
	v_mfma_f32_16x16x4f32 a[0:3], v10, v14, a[0:3]
	s_movk_i32 s4, 0x7f
	v_cmp_gt_i16_sdwa s[6:7], v16, s4 src0_sel:BYTE_3 src1_sel:DWORD
	s_mov_b64 s[4:5], 0
                                        ; implicit-def: $sgpr10
	s_and_saveexec_b64 s[8:9], s[6:7]
	s_xor_b64 s[6:7], exec, s[8:9]
	s_cbranch_execnz .LBB44_3161
; %bb.1113:
	s_or_saveexec_b64 s[6:7], s[6:7]
	v_mov_b32_e32 v10, s10
	s_xor_b64 exec, exec, s[6:7]
	s_cbranch_execnz .LBB44_3164
.LBB44_1114:
	s_or_b64 exec, exec, s[6:7]
	s_and_saveexec_b64 s[6:7], s[4:5]
	s_cbranch_execz .LBB44_1116
.LBB44_1115:
	v_bfe_u32 v10, v16, 24, 3
	v_ffbh_u32_e32 v20, v10
	v_min_u32_e32 v20, 32, v20
	v_lshrrev_b32_e32 v14, 27, v16
	v_subrev_u32_e32 v21, 28, v20
	v_and_b32_e32 v11, 0x80000000, v16
	v_and_b32_e32 v14, 15, v14
	v_bfe_u32 v15, v16, 27, 4
	v_lshlrev_b32_sdwa v16, v21, v16 dst_sel:DWORD dst_unused:UNUSED_PAD src0_sel:DWORD src1_sel:BYTE_3
	v_sub_u32_e32 v20, 29, v20
	v_and_b32_e32 v16, 7, v16
	v_cmp_eq_u16_e32 vcc, 0, v14
	v_cndmask_b32_e32 v10, v10, v16, vcc
	v_cndmask_b32_e32 v14, v15, v20, vcc
	v_mov_b32_e32 v15, 0x3b800000
	v_lshlrev_b32_e32 v10, 20, v10
	v_lshl_add_u32 v14, v14, 23, v15
	v_or3_b32 v10, v11, v14, v10
.LBB44_1116:
	s_or_b64 exec, exec, s[6:7]
	s_movk_i32 s4, 0x7f
	v_cmp_gt_i16_sdwa s[6:7], v12, s4 src0_sel:BYTE_3 src1_sel:DWORD
	s_mov_b64 s[4:5], 0
                                        ; implicit-def: $sgpr10
	s_and_saveexec_b64 s[8:9], s[6:7]
	s_xor_b64 s[6:7], exec, s[8:9]
	s_cbranch_execnz .LBB44_3165
; %bb.1117:
	s_or_saveexec_b64 s[6:7], s[6:7]
	v_mov_b32_e32 v11, s10
	s_xor_b64 exec, exec, s[6:7]
	s_cbranch_execnz .LBB44_3168
.LBB44_1118:
	s_or_b64 exec, exec, s[6:7]
	s_and_saveexec_b64 s[6:7], s[4:5]
	s_cbranch_execz .LBB44_1120
.LBB44_1119:
	v_bfe_u32 v11, v12, 24, 3
	v_ffbh_u32_e32 v20, v11
	v_min_u32_e32 v20, 32, v20
	v_lshrrev_b32_e32 v15, 27, v12
	v_subrev_u32_e32 v21, 28, v20
	v_and_b32_e32 v14, 0x80000000, v12
	v_and_b32_e32 v15, 15, v15
	v_bfe_u32 v16, v12, 27, 4
	v_lshlrev_b32_sdwa v12, v21, v12 dst_sel:DWORD dst_unused:UNUSED_PAD src0_sel:DWORD src1_sel:BYTE_3
	v_sub_u32_e32 v20, 29, v20
	v_and_b32_e32 v12, 7, v12
	v_cmp_eq_u16_e32 vcc, 0, v15
	v_cndmask_b32_e32 v11, v11, v12, vcc
	v_cndmask_b32_e32 v12, v16, v20, vcc
	v_mov_b32_e32 v15, 0x3b800000
	v_lshlrev_b32_e32 v11, 20, v11
	v_lshl_add_u32 v12, v12, 23, v15
	v_or3_b32 v11, v14, v12, v11
.LBB44_1120:
	s_or_b64 exec, exec, s[6:7]
	s_nop 0
	v_mfma_f32_16x16x4f32 a[0:3], v10, v11, a[0:3]
	s_movk_i32 s4, 0x7f
	v_cmp_gt_i16_sdwa s[6:7], v17, s4 src0_sel:BYTE_0 src1_sel:DWORD
	s_mov_b64 s[4:5], 0
                                        ; implicit-def: $sgpr10
	s_and_saveexec_b64 s[8:9], s[6:7]
	s_xor_b64 s[6:7], exec, s[8:9]
	s_cbranch_execnz .LBB44_3169
; %bb.1121:
	s_or_saveexec_b64 s[6:7], s[6:7]
	v_mov_b32_e32 v10, s10
	s_xor_b64 exec, exec, s[6:7]
	s_cbranch_execnz .LBB44_3172
.LBB44_1122:
	s_or_b64 exec, exec, s[6:7]
	s_and_saveexec_b64 s[6:7], s[4:5]
	s_cbranch_execz .LBB44_1124
.LBB44_1123:
	v_and_b32_e32 v10, 7, v17
	v_ffbh_u32_e32 v12, v10
	v_min_u32_e32 v12, 32, v12
	v_lshrrev_b16_e32 v11, 3, v17
	v_subrev_u32_e32 v14, 28, v12
	v_and_b32_e32 v11, 15, v11
	v_lshlrev_b32_e32 v14, v14, v17
	v_sub_u32_e32 v12, 29, v12
	v_and_b32_e32 v14, 7, v14
	v_cmp_eq_u16_e32 vcc, 0, v11
	v_cndmask_b32_e32 v10, v10, v14, vcc
	v_cndmask_b32_e32 v11, v11, v12, vcc
	v_lshlrev_b32_e32 v12, 24, v17
	v_mov_b32_e32 v14, 0x3b800000
	v_lshlrev_b32_e32 v10, 20, v10
	v_and_b32_e32 v12, 0x80000000, v12
	v_lshl_add_u32 v11, v11, 23, v14
	v_or3_b32 v10, v12, v11, v10
.LBB44_1124:
	s_or_b64 exec, exec, s[6:7]
	s_movk_i32 s4, 0x7f
	v_cmp_gt_i16_sdwa s[6:7], v13, s4 src0_sel:BYTE_0 src1_sel:DWORD
	s_mov_b64 s[4:5], 0
                                        ; implicit-def: $sgpr10
	s_and_saveexec_b64 s[8:9], s[6:7]
	s_xor_b64 s[6:7], exec, s[8:9]
	s_cbranch_execnz .LBB44_3173
; %bb.1125:
	s_or_saveexec_b64 s[6:7], s[6:7]
	v_mov_b32_e32 v11, s10
	s_xor_b64 exec, exec, s[6:7]
	s_cbranch_execnz .LBB44_3176
.LBB44_1126:
	s_or_b64 exec, exec, s[6:7]
	s_and_saveexec_b64 s[6:7], s[4:5]
	s_cbranch_execz .LBB44_1128
.LBB44_1127:
	v_and_b32_e32 v11, 7, v13
	v_ffbh_u32_e32 v14, v11
	v_min_u32_e32 v14, 32, v14
	v_lshrrev_b16_e32 v12, 3, v13
	v_subrev_u32_e32 v15, 28, v14
	v_and_b32_e32 v12, 15, v12
	v_lshlrev_b32_e32 v15, v15, v13
	v_sub_u32_e32 v14, 29, v14
	v_and_b32_e32 v15, 7, v15
	v_cmp_eq_u16_e32 vcc, 0, v12
	v_cndmask_b32_e32 v11, v11, v15, vcc
	v_cndmask_b32_e32 v12, v12, v14, vcc
	v_lshlrev_b32_e32 v14, 24, v13
	v_mov_b32_e32 v15, 0x3b800000
	v_lshlrev_b32_e32 v11, 20, v11
	v_and_b32_e32 v14, 0x80000000, v14
	v_lshl_add_u32 v12, v12, 23, v15
	v_or3_b32 v11, v14, v12, v11
.LBB44_1128:
	s_or_b64 exec, exec, s[6:7]
	s_nop 0
	v_mfma_f32_16x16x4f32 a[0:3], v10, v11, a[0:3]
	v_lshrrev_b32_e32 v11, 8, v17
	s_movk_i32 s4, 0x7f
	v_cmp_gt_i16_sdwa s[6:7], v11, s4 src0_sel:BYTE_0 src1_sel:DWORD
	s_mov_b64 s[4:5], 0
                                        ; implicit-def: $sgpr10
	s_and_saveexec_b64 s[8:9], s[6:7]
	s_xor_b64 s[6:7], exec, s[8:9]
	s_cbranch_execnz .LBB44_3177
; %bb.1129:
	s_or_saveexec_b64 s[6:7], s[6:7]
	v_mov_b32_e32 v10, s10
	s_xor_b64 exec, exec, s[6:7]
	s_cbranch_execnz .LBB44_3180
.LBB44_1130:
	s_or_b64 exec, exec, s[6:7]
	s_and_saveexec_b64 s[6:7], s[4:5]
	s_cbranch_execz .LBB44_1132
.LBB44_1131:
	v_bfe_u32 v10, v17, 8, 3
	v_ffbh_u32_e32 v14, v10
	v_min_u32_e32 v14, 32, v14
	v_lshrrev_b16_e32 v12, 3, v11
	v_subrev_u32_e32 v15, 28, v14
	v_and_b32_e32 v12, 15, v12
	v_lshlrev_b32_e32 v11, v15, v11
	v_sub_u32_e32 v14, 29, v14
	v_and_b32_e32 v11, 7, v11
	v_cmp_eq_u16_e32 vcc, 0, v12
	v_cndmask_b32_e32 v10, v10, v11, vcc
	v_cndmask_b32_e32 v11, v12, v14, vcc
	v_lshlrev_b32_e32 v12, 16, v17
	v_mov_b32_e32 v14, 0x3b800000
	v_lshlrev_b32_e32 v10, 20, v10
	v_and_b32_e32 v12, 0x80000000, v12
	v_lshl_add_u32 v11, v11, 23, v14
	v_or3_b32 v10, v12, v11, v10
.LBB44_1132:
	s_or_b64 exec, exec, s[6:7]
	v_lshrrev_b32_e32 v11, 8, v13
	s_movk_i32 s4, 0x7f
	v_cmp_gt_i16_sdwa s[6:7], v11, s4 src0_sel:BYTE_0 src1_sel:DWORD
	s_mov_b64 s[4:5], 0
                                        ; implicit-def: $sgpr10
	s_and_saveexec_b64 s[8:9], s[6:7]
	s_xor_b64 s[6:7], exec, s[8:9]
	s_cbranch_execnz .LBB44_3181
; %bb.1133:
	s_or_saveexec_b64 s[6:7], s[6:7]
	v_mov_b32_e32 v12, s10
	s_xor_b64 exec, exec, s[6:7]
	s_cbranch_execnz .LBB44_3184
.LBB44_1134:
	s_or_b64 exec, exec, s[6:7]
	s_and_saveexec_b64 s[6:7], s[4:5]
	s_cbranch_execz .LBB44_1136
.LBB44_1135:
	v_bfe_u32 v12, v13, 8, 3
	v_ffbh_u32_e32 v15, v12
	v_min_u32_e32 v15, 32, v15
	v_lshrrev_b16_e32 v14, 3, v11
	v_subrev_u32_e32 v16, 28, v15
	v_and_b32_e32 v14, 15, v14
	v_lshlrev_b32_e32 v11, v16, v11
	v_sub_u32_e32 v15, 29, v15
	v_and_b32_e32 v11, 7, v11
	v_cmp_eq_u16_e32 vcc, 0, v14
	v_cndmask_b32_e32 v11, v12, v11, vcc
	v_cndmask_b32_e32 v12, v14, v15, vcc
	v_lshlrev_b32_e32 v14, 16, v13
	v_mov_b32_e32 v15, 0x3b800000
	v_lshlrev_b32_e32 v11, 20, v11
	v_and_b32_e32 v14, 0x80000000, v14
	v_lshl_add_u32 v12, v12, 23, v15
	v_or3_b32 v12, v14, v12, v11
.LBB44_1136:
	s_or_b64 exec, exec, s[6:7]
	s_nop 0
	v_mfma_f32_16x16x4f32 a[0:3], v10, v12, a[0:3]
	s_movk_i32 s4, 0xff
	v_and_b32_sdwa v11, v17, s4 dst_sel:DWORD dst_unused:UNUSED_PAD src0_sel:WORD_1 src1_sel:DWORD
	s_movk_i32 s4, 0x7f
	v_cmp_lt_i16_e32 vcc, s4, v11
	s_mov_b64 s[4:5], 0
                                        ; implicit-def: $sgpr10
	s_and_saveexec_b64 s[6:7], vcc
	s_xor_b64 s[6:7], exec, s[6:7]
	s_cbranch_execnz .LBB44_3185
; %bb.1137:
	s_or_saveexec_b64 s[6:7], s[6:7]
	v_mov_b32_e32 v10, s10
	s_xor_b64 exec, exec, s[6:7]
	s_cbranch_execnz .LBB44_3188
.LBB44_1138:
	s_or_b64 exec, exec, s[6:7]
	s_and_saveexec_b64 s[6:7], s[4:5]
	s_cbranch_execz .LBB44_1140
.LBB44_1139:
	v_bfe_u32 v10, v17, 16, 3
	v_ffbh_u32_e32 v14, v10
	v_min_u32_e32 v14, 32, v14
	v_lshrrev_b32_e32 v11, 19, v17
	v_subrev_u32_e32 v15, 28, v14
	v_and_b32_e32 v11, 15, v11
	v_lshlrev_b32_sdwa v15, v15, v17 dst_sel:DWORD dst_unused:UNUSED_PAD src0_sel:DWORD src1_sel:WORD_1
	v_bfe_u32 v12, v17, 19, 4
	v_sub_u32_e32 v14, 29, v14
	v_and_b32_e32 v15, 7, v15
	v_cmp_eq_u16_e32 vcc, 0, v11
	v_cndmask_b32_e32 v10, v10, v15, vcc
	v_cndmask_b32_e32 v11, v12, v14, vcc
	v_lshlrev_b32_e32 v12, 8, v17
	v_mov_b32_e32 v14, 0x3b800000
	v_lshlrev_b32_e32 v10, 20, v10
	v_and_b32_e32 v12, 0x80000000, v12
	v_lshl_add_u32 v11, v11, 23, v14
	v_or3_b32 v10, v12, v11, v10
.LBB44_1140:
	s_or_b64 exec, exec, s[6:7]
	s_movk_i32 s4, 0xff
	v_and_b32_sdwa v11, v13, s4 dst_sel:DWORD dst_unused:UNUSED_PAD src0_sel:WORD_1 src1_sel:DWORD
	s_movk_i32 s4, 0x7f
	v_cmp_lt_i16_e32 vcc, s4, v11
	s_mov_b64 s[4:5], 0
                                        ; implicit-def: $sgpr10
	s_and_saveexec_b64 s[6:7], vcc
	s_xor_b64 s[6:7], exec, s[6:7]
	s_cbranch_execnz .LBB44_3189
; %bb.1141:
	s_or_saveexec_b64 s[6:7], s[6:7]
	v_mov_b32_e32 v12, s10
	s_xor_b64 exec, exec, s[6:7]
	s_cbranch_execnz .LBB44_3192
.LBB44_1142:
	s_or_b64 exec, exec, s[6:7]
	s_and_saveexec_b64 s[6:7], s[4:5]
	s_cbranch_execz .LBB44_1144
.LBB44_1143:
	v_bfe_u32 v11, v13, 16, 3
	v_ffbh_u32_e32 v15, v11
	v_min_u32_e32 v15, 32, v15
	v_lshrrev_b32_e32 v12, 19, v13
	v_subrev_u32_e32 v16, 28, v15
	v_and_b32_e32 v12, 15, v12
	v_lshlrev_b32_sdwa v16, v16, v13 dst_sel:DWORD dst_unused:UNUSED_PAD src0_sel:DWORD src1_sel:WORD_1
	v_bfe_u32 v14, v13, 19, 4
	v_sub_u32_e32 v15, 29, v15
	v_and_b32_e32 v16, 7, v16
	v_cmp_eq_u16_e32 vcc, 0, v12
	v_cndmask_b32_e32 v11, v11, v16, vcc
	v_cndmask_b32_e32 v12, v14, v15, vcc
	v_lshlrev_b32_e32 v14, 8, v13
	v_mov_b32_e32 v15, 0x3b800000
	v_lshlrev_b32_e32 v11, 20, v11
	v_and_b32_e32 v14, 0x80000000, v14
	v_lshl_add_u32 v12, v12, 23, v15
	v_or3_b32 v12, v14, v12, v11
.LBB44_1144:
	s_or_b64 exec, exec, s[6:7]
	s_nop 0
	v_mfma_f32_16x16x4f32 a[0:3], v10, v12, a[0:3]
	s_movk_i32 s4, 0x7f
	v_cmp_gt_i16_sdwa s[6:7], v17, s4 src0_sel:BYTE_3 src1_sel:DWORD
	s_mov_b64 s[4:5], 0
                                        ; implicit-def: $sgpr10
	s_and_saveexec_b64 s[8:9], s[6:7]
	s_xor_b64 s[6:7], exec, s[8:9]
	s_cbranch_execnz .LBB44_3193
; %bb.1145:
	s_or_saveexec_b64 s[6:7], s[6:7]
	v_mov_b32_e32 v10, s10
	s_xor_b64 exec, exec, s[6:7]
	s_cbranch_execnz .LBB44_3196
.LBB44_1146:
	s_or_b64 exec, exec, s[6:7]
	s_and_saveexec_b64 s[6:7], s[4:5]
	s_cbranch_execz .LBB44_1148
.LBB44_1147:
	v_bfe_u32 v10, v17, 24, 3
	v_ffbh_u32_e32 v15, v10
	v_min_u32_e32 v15, 32, v15
	v_lshrrev_b32_e32 v12, 27, v17
	v_subrev_u32_e32 v16, 28, v15
	v_and_b32_e32 v12, 15, v12
	v_lshlrev_b32_sdwa v16, v16, v17 dst_sel:DWORD dst_unused:UNUSED_PAD src0_sel:DWORD src1_sel:BYTE_3
	v_bfe_u32 v14, v17, 27, 4
	v_sub_u32_e32 v15, 29, v15
	v_and_b32_e32 v16, 7, v16
	v_cmp_eq_u16_e32 vcc, 0, v12
	v_cndmask_b32_e32 v10, v10, v16, vcc
	v_cndmask_b32_e32 v12, v14, v15, vcc
	v_mov_b32_e32 v14, 0x3b800000
	v_and_b32_e32 v11, 0x80000000, v17
	v_lshlrev_b32_e32 v10, 20, v10
	v_lshl_add_u32 v12, v12, 23, v14
	v_or3_b32 v10, v11, v12, v10
.LBB44_1148:
	s_or_b64 exec, exec, s[6:7]
	s_movk_i32 s4, 0x7f
	v_cmp_gt_i16_sdwa s[6:7], v13, s4 src0_sel:BYTE_3 src1_sel:DWORD
	s_mov_b64 s[4:5], 0
                                        ; implicit-def: $sgpr10
	s_and_saveexec_b64 s[8:9], s[6:7]
	s_xor_b64 s[6:7], exec, s[8:9]
	s_cbranch_execnz .LBB44_3197
; %bb.1149:
	s_or_saveexec_b64 s[6:7], s[6:7]
	v_mov_b32_e32 v11, s10
	s_xor_b64 exec, exec, s[6:7]
	s_cbranch_execnz .LBB44_3200
.LBB44_1150:
	s_or_b64 exec, exec, s[6:7]
	s_and_saveexec_b64 s[6:7], s[4:5]
	s_cbranch_execz .LBB44_1152
.LBB44_1151:
	v_bfe_u32 v11, v13, 24, 3
	v_ffbh_u32_e32 v16, v11
	v_min_u32_e32 v16, 32, v16
	v_lshrrev_b32_e32 v14, 27, v13
	v_subrev_u32_e32 v17, 28, v16
	v_and_b32_e32 v12, 0x80000000, v13
	v_and_b32_e32 v14, 15, v14
	v_bfe_u32 v15, v13, 27, 4
	v_lshlrev_b32_sdwa v13, v17, v13 dst_sel:DWORD dst_unused:UNUSED_PAD src0_sel:DWORD src1_sel:BYTE_3
	v_sub_u32_e32 v16, 29, v16
	v_and_b32_e32 v13, 7, v13
	v_cmp_eq_u16_e32 vcc, 0, v14
	v_cndmask_b32_e32 v11, v11, v13, vcc
	v_cndmask_b32_e32 v13, v15, v16, vcc
	v_mov_b32_e32 v14, 0x3b800000
	v_lshlrev_b32_e32 v11, 20, v11
	v_lshl_add_u32 v13, v13, 23, v14
	v_or3_b32 v11, v12, v13, v11
.LBB44_1152:
	s_or_b64 exec, exec, s[6:7]
	s_nop 0
	v_mfma_f32_16x16x4f32 a[0:3], v10, v11, a[0:3]
	s_movk_i32 s4, 0x7f
	v_cmp_gt_i16_sdwa s[6:7], v6, s4 src0_sel:BYTE_0 src1_sel:DWORD
	s_mov_b64 s[4:5], 0
                                        ; implicit-def: $sgpr10
	s_and_saveexec_b64 s[8:9], s[6:7]
	s_xor_b64 s[6:7], exec, s[8:9]
	s_cbranch_execnz .LBB44_3201
; %bb.1153:
	s_or_saveexec_b64 s[6:7], s[6:7]
	v_mov_b32_e32 v10, s10
	s_xor_b64 exec, exec, s[6:7]
	s_cbranch_execnz .LBB44_3204
.LBB44_1154:
	s_or_b64 exec, exec, s[6:7]
	s_and_saveexec_b64 s[6:7], s[4:5]
	s_cbranch_execz .LBB44_1156
.LBB44_1155:
	v_and_b32_e32 v10, 7, v6
	v_ffbh_u32_e32 v12, v10
	v_min_u32_e32 v12, 32, v12
	v_lshrrev_b16_e32 v11, 3, v6
	v_subrev_u32_e32 v13, 28, v12
	v_and_b32_e32 v11, 15, v11
	v_lshlrev_b32_e32 v13, v13, v6
	v_sub_u32_e32 v12, 29, v12
	v_and_b32_e32 v13, 7, v13
	v_cmp_eq_u16_e32 vcc, 0, v11
	v_cndmask_b32_e32 v10, v10, v13, vcc
	v_cndmask_b32_e32 v11, v11, v12, vcc
	v_lshlrev_b32_e32 v12, 24, v6
	v_mov_b32_e32 v13, 0x3b800000
	v_lshlrev_b32_e32 v10, 20, v10
	v_and_b32_e32 v12, 0x80000000, v12
	v_lshl_add_u32 v11, v11, 23, v13
	v_or3_b32 v10, v12, v11, v10
.LBB44_1156:
	s_or_b64 exec, exec, s[6:7]
	s_movk_i32 s4, 0x7f
	v_cmp_gt_i16_sdwa s[6:7], v2, s4 src0_sel:BYTE_0 src1_sel:DWORD
	s_mov_b64 s[4:5], 0
                                        ; implicit-def: $sgpr10
	s_and_saveexec_b64 s[8:9], s[6:7]
	s_xor_b64 s[6:7], exec, s[8:9]
	s_cbranch_execnz .LBB44_3205
; %bb.1157:
	s_or_saveexec_b64 s[6:7], s[6:7]
	v_mov_b32_e32 v11, s10
	s_xor_b64 exec, exec, s[6:7]
	s_cbranch_execnz .LBB44_3208
.LBB44_1158:
	s_or_b64 exec, exec, s[6:7]
	s_and_saveexec_b64 s[6:7], s[4:5]
	s_cbranch_execz .LBB44_1160
.LBB44_1159:
	v_and_b32_e32 v11, 7, v2
	v_ffbh_u32_e32 v13, v11
	v_min_u32_e32 v13, 32, v13
	v_lshrrev_b16_e32 v12, 3, v2
	v_subrev_u32_e32 v14, 28, v13
	v_and_b32_e32 v12, 15, v12
	v_lshlrev_b32_e32 v14, v14, v2
	v_sub_u32_e32 v13, 29, v13
	v_and_b32_e32 v14, 7, v14
	v_cmp_eq_u16_e32 vcc, 0, v12
	v_cndmask_b32_e32 v11, v11, v14, vcc
	v_cndmask_b32_e32 v12, v12, v13, vcc
	v_lshlrev_b32_e32 v13, 24, v2
	v_mov_b32_e32 v14, 0x3b800000
	v_lshlrev_b32_e32 v11, 20, v11
	v_and_b32_e32 v13, 0x80000000, v13
	v_lshl_add_u32 v12, v12, 23, v14
	v_or3_b32 v11, v13, v12, v11
.LBB44_1160:
	s_or_b64 exec, exec, s[6:7]
	s_nop 0
	v_mfma_f32_16x16x4f32 a[0:3], v10, v11, a[0:3]
	v_lshrrev_b32_e32 v11, 8, v6
	s_movk_i32 s4, 0x7f
	v_cmp_gt_i16_sdwa s[6:7], v11, s4 src0_sel:BYTE_0 src1_sel:DWORD
	s_mov_b64 s[4:5], 0
                                        ; implicit-def: $sgpr10
	s_and_saveexec_b64 s[8:9], s[6:7]
	s_xor_b64 s[6:7], exec, s[8:9]
	s_cbranch_execnz .LBB44_3209
; %bb.1161:
	s_or_saveexec_b64 s[6:7], s[6:7]
	v_mov_b32_e32 v10, s10
	s_xor_b64 exec, exec, s[6:7]
	s_cbranch_execnz .LBB44_3212
.LBB44_1162:
	s_or_b64 exec, exec, s[6:7]
	s_and_saveexec_b64 s[6:7], s[4:5]
	s_cbranch_execz .LBB44_1164
.LBB44_1163:
	v_bfe_u32 v10, v6, 8, 3
	v_ffbh_u32_e32 v13, v10
	v_min_u32_e32 v13, 32, v13
	v_lshrrev_b16_e32 v12, 3, v11
	v_subrev_u32_e32 v14, 28, v13
	v_and_b32_e32 v12, 15, v12
	v_lshlrev_b32_e32 v11, v14, v11
	v_sub_u32_e32 v13, 29, v13
	v_and_b32_e32 v11, 7, v11
	v_cmp_eq_u16_e32 vcc, 0, v12
	v_cndmask_b32_e32 v10, v10, v11, vcc
	v_cndmask_b32_e32 v11, v12, v13, vcc
	v_lshlrev_b32_e32 v12, 16, v6
	v_mov_b32_e32 v13, 0x3b800000
	v_lshlrev_b32_e32 v10, 20, v10
	v_and_b32_e32 v12, 0x80000000, v12
	v_lshl_add_u32 v11, v11, 23, v13
	v_or3_b32 v10, v12, v11, v10
.LBB44_1164:
	s_or_b64 exec, exec, s[6:7]
	v_lshrrev_b32_e32 v11, 8, v2
	s_movk_i32 s4, 0x7f
	v_cmp_gt_i16_sdwa s[6:7], v11, s4 src0_sel:BYTE_0 src1_sel:DWORD
	s_mov_b64 s[4:5], 0
                                        ; implicit-def: $sgpr10
	s_and_saveexec_b64 s[8:9], s[6:7]
	s_xor_b64 s[6:7], exec, s[8:9]
	s_cbranch_execnz .LBB44_3213
; %bb.1165:
	s_or_saveexec_b64 s[6:7], s[6:7]
	v_mov_b32_e32 v12, s10
	s_xor_b64 exec, exec, s[6:7]
	s_cbranch_execnz .LBB44_3216
.LBB44_1166:
	s_or_b64 exec, exec, s[6:7]
	s_and_saveexec_b64 s[6:7], s[4:5]
	s_cbranch_execz .LBB44_1168
.LBB44_1167:
	v_bfe_u32 v12, v2, 8, 3
	v_ffbh_u32_e32 v14, v12
	v_min_u32_e32 v14, 32, v14
	v_lshrrev_b16_e32 v13, 3, v11
	v_subrev_u32_e32 v15, 28, v14
	v_and_b32_e32 v13, 15, v13
	v_lshlrev_b32_e32 v11, v15, v11
	v_sub_u32_e32 v14, 29, v14
	v_and_b32_e32 v11, 7, v11
	v_cmp_eq_u16_e32 vcc, 0, v13
	v_cndmask_b32_e32 v11, v12, v11, vcc
	v_cndmask_b32_e32 v12, v13, v14, vcc
	v_lshlrev_b32_e32 v13, 16, v2
	v_mov_b32_e32 v14, 0x3b800000
	v_lshlrev_b32_e32 v11, 20, v11
	v_and_b32_e32 v13, 0x80000000, v13
	v_lshl_add_u32 v12, v12, 23, v14
	v_or3_b32 v12, v13, v12, v11
.LBB44_1168:
	s_or_b64 exec, exec, s[6:7]
	s_nop 0
	v_mfma_f32_16x16x4f32 a[0:3], v10, v12, a[0:3]
	s_movk_i32 s4, 0xff
	v_and_b32_sdwa v11, v6, s4 dst_sel:DWORD dst_unused:UNUSED_PAD src0_sel:WORD_1 src1_sel:DWORD
	s_movk_i32 s4, 0x7f
	v_cmp_lt_i16_e32 vcc, s4, v11
	s_mov_b64 s[4:5], 0
                                        ; implicit-def: $sgpr10
	s_and_saveexec_b64 s[6:7], vcc
	s_xor_b64 s[6:7], exec, s[6:7]
	s_cbranch_execnz .LBB44_3217
; %bb.1169:
	s_or_saveexec_b64 s[6:7], s[6:7]
	v_mov_b32_e32 v10, s10
	s_xor_b64 exec, exec, s[6:7]
	s_cbranch_execnz .LBB44_3220
.LBB44_1170:
	s_or_b64 exec, exec, s[6:7]
	s_and_saveexec_b64 s[6:7], s[4:5]
	s_cbranch_execz .LBB44_1172
.LBB44_1171:
	v_bfe_u32 v10, v6, 16, 3
	v_ffbh_u32_e32 v13, v10
	v_min_u32_e32 v13, 32, v13
	v_lshrrev_b32_e32 v11, 19, v6
	v_subrev_u32_e32 v14, 28, v13
	v_and_b32_e32 v11, 15, v11
	v_lshlrev_b32_sdwa v14, v14, v6 dst_sel:DWORD dst_unused:UNUSED_PAD src0_sel:DWORD src1_sel:WORD_1
	v_bfe_u32 v12, v6, 19, 4
	v_sub_u32_e32 v13, 29, v13
	v_and_b32_e32 v14, 7, v14
	v_cmp_eq_u16_e32 vcc, 0, v11
	v_cndmask_b32_e32 v10, v10, v14, vcc
	v_cndmask_b32_e32 v11, v12, v13, vcc
	v_lshlrev_b32_e32 v12, 8, v6
	v_mov_b32_e32 v13, 0x3b800000
	v_lshlrev_b32_e32 v10, 20, v10
	v_and_b32_e32 v12, 0x80000000, v12
	v_lshl_add_u32 v11, v11, 23, v13
	v_or3_b32 v10, v12, v11, v10
.LBB44_1172:
	s_or_b64 exec, exec, s[6:7]
	s_movk_i32 s4, 0xff
	v_and_b32_sdwa v11, v2, s4 dst_sel:DWORD dst_unused:UNUSED_PAD src0_sel:WORD_1 src1_sel:DWORD
	s_movk_i32 s4, 0x7f
	v_cmp_lt_i16_e32 vcc, s4, v11
	s_mov_b64 s[4:5], 0
                                        ; implicit-def: $sgpr10
	s_and_saveexec_b64 s[6:7], vcc
	s_xor_b64 s[6:7], exec, s[6:7]
	s_cbranch_execnz .LBB44_3221
; %bb.1173:
	s_or_saveexec_b64 s[6:7], s[6:7]
	v_mov_b32_e32 v12, s10
	s_xor_b64 exec, exec, s[6:7]
	s_cbranch_execnz .LBB44_3224
.LBB44_1174:
	s_or_b64 exec, exec, s[6:7]
	s_and_saveexec_b64 s[6:7], s[4:5]
	s_cbranch_execz .LBB44_1176
.LBB44_1175:
	v_bfe_u32 v11, v2, 16, 3
	v_ffbh_u32_e32 v14, v11
	v_min_u32_e32 v14, 32, v14
	v_lshrrev_b32_e32 v12, 19, v2
	v_subrev_u32_e32 v15, 28, v14
	v_and_b32_e32 v12, 15, v12
	v_lshlrev_b32_sdwa v15, v15, v2 dst_sel:DWORD dst_unused:UNUSED_PAD src0_sel:DWORD src1_sel:WORD_1
	v_bfe_u32 v13, v2, 19, 4
	v_sub_u32_e32 v14, 29, v14
	v_and_b32_e32 v15, 7, v15
	v_cmp_eq_u16_e32 vcc, 0, v12
	v_cndmask_b32_e32 v11, v11, v15, vcc
	v_cndmask_b32_e32 v12, v13, v14, vcc
	v_lshlrev_b32_e32 v13, 8, v2
	v_mov_b32_e32 v14, 0x3b800000
	v_lshlrev_b32_e32 v11, 20, v11
	v_and_b32_e32 v13, 0x80000000, v13
	v_lshl_add_u32 v12, v12, 23, v14
	v_or3_b32 v12, v13, v12, v11
.LBB44_1176:
	s_or_b64 exec, exec, s[6:7]
	s_nop 0
	v_mfma_f32_16x16x4f32 a[0:3], v10, v12, a[0:3]
	s_movk_i32 s4, 0x7f
	v_cmp_gt_i16_sdwa s[6:7], v6, s4 src0_sel:BYTE_3 src1_sel:DWORD
	s_mov_b64 s[4:5], 0
                                        ; implicit-def: $sgpr10
	s_and_saveexec_b64 s[8:9], s[6:7]
	s_xor_b64 s[6:7], exec, s[8:9]
	s_cbranch_execnz .LBB44_3225
; %bb.1177:
	s_or_saveexec_b64 s[6:7], s[6:7]
	v_mov_b32_e32 v10, s10
	s_xor_b64 exec, exec, s[6:7]
	s_cbranch_execnz .LBB44_3228
.LBB44_1178:
	s_or_b64 exec, exec, s[6:7]
	s_and_saveexec_b64 s[6:7], s[4:5]
	s_cbranch_execz .LBB44_1180
.LBB44_1179:
	v_bfe_u32 v10, v6, 24, 3
	v_ffbh_u32_e32 v14, v10
	v_min_u32_e32 v14, 32, v14
	v_lshrrev_b32_e32 v12, 27, v6
	v_subrev_u32_e32 v15, 28, v14
	v_and_b32_e32 v11, 0x80000000, v6
	v_and_b32_e32 v12, 15, v12
	v_bfe_u32 v13, v6, 27, 4
	v_lshlrev_b32_sdwa v6, v15, v6 dst_sel:DWORD dst_unused:UNUSED_PAD src0_sel:DWORD src1_sel:BYTE_3
	v_sub_u32_e32 v14, 29, v14
	v_and_b32_e32 v6, 7, v6
	v_cmp_eq_u16_e32 vcc, 0, v12
	v_cndmask_b32_e32 v6, v10, v6, vcc
	v_cndmask_b32_e32 v10, v13, v14, vcc
	v_mov_b32_e32 v12, 0x3b800000
	v_lshlrev_b32_e32 v6, 20, v6
	v_lshl_add_u32 v10, v10, 23, v12
	v_or3_b32 v10, v11, v10, v6
.LBB44_1180:
	s_or_b64 exec, exec, s[6:7]
	s_movk_i32 s4, 0x7f
	v_cmp_gt_i16_sdwa s[6:7], v2, s4 src0_sel:BYTE_3 src1_sel:DWORD
	s_mov_b64 s[4:5], 0
                                        ; implicit-def: $sgpr10
	s_and_saveexec_b64 s[8:9], s[6:7]
	s_xor_b64 s[6:7], exec, s[8:9]
	s_cbranch_execnz .LBB44_3229
; %bb.1181:
	s_or_saveexec_b64 s[6:7], s[6:7]
	v_mov_b32_e32 v6, s10
	s_xor_b64 exec, exec, s[6:7]
	s_cbranch_execnz .LBB44_3232
.LBB44_1182:
	s_or_b64 exec, exec, s[6:7]
	s_and_saveexec_b64 s[6:7], s[4:5]
	s_cbranch_execz .LBB44_1184
.LBB44_1183:
	v_bfe_u32 v6, v2, 24, 3
	v_ffbh_u32_e32 v14, v6
	v_min_u32_e32 v14, 32, v14
	v_lshrrev_b32_e32 v12, 27, v2
	v_subrev_u32_e32 v15, 28, v14
	v_and_b32_e32 v11, 0x80000000, v2
	v_and_b32_e32 v12, 15, v12
	v_bfe_u32 v13, v2, 27, 4
	v_lshlrev_b32_sdwa v2, v15, v2 dst_sel:DWORD dst_unused:UNUSED_PAD src0_sel:DWORD src1_sel:BYTE_3
	v_sub_u32_e32 v14, 29, v14
	v_and_b32_e32 v2, 7, v2
	v_cmp_eq_u16_e32 vcc, 0, v12
	v_cndmask_b32_e32 v2, v6, v2, vcc
	v_cndmask_b32_e32 v6, v13, v14, vcc
	v_mov_b32_e32 v12, 0x3b800000
	v_lshlrev_b32_e32 v2, 20, v2
	v_lshl_add_u32 v6, v6, 23, v12
	v_or3_b32 v6, v11, v6, v2
.LBB44_1184:
	s_or_b64 exec, exec, s[6:7]
	s_nop 0
	v_mfma_f32_16x16x4f32 a[0:3], v10, v6, a[0:3]
	s_movk_i32 s4, 0x7f
	v_cmp_gt_i16_sdwa s[6:7], v7, s4 src0_sel:BYTE_0 src1_sel:DWORD
	s_mov_b64 s[4:5], 0
                                        ; implicit-def: $sgpr10
	s_and_saveexec_b64 s[8:9], s[6:7]
	s_xor_b64 s[6:7], exec, s[8:9]
	s_cbranch_execnz .LBB44_3233
; %bb.1185:
	s_or_saveexec_b64 s[6:7], s[6:7]
	v_mov_b32_e32 v2, s10
	s_xor_b64 exec, exec, s[6:7]
	s_cbranch_execnz .LBB44_3236
.LBB44_1186:
	s_or_b64 exec, exec, s[6:7]
	s_and_saveexec_b64 s[6:7], s[4:5]
	s_cbranch_execz .LBB44_1188
.LBB44_1187:
	v_and_b32_e32 v2, 7, v7
	v_ffbh_u32_e32 v10, v2
	v_min_u32_e32 v10, 32, v10
	v_lshrrev_b16_e32 v6, 3, v7
	v_subrev_u32_e32 v11, 28, v10
	v_and_b32_e32 v6, 15, v6
	v_lshlrev_b32_e32 v11, v11, v7
	v_sub_u32_e32 v10, 29, v10
	v_and_b32_e32 v11, 7, v11
	v_cmp_eq_u16_e32 vcc, 0, v6
	v_cndmask_b32_e32 v2, v2, v11, vcc
	v_cndmask_b32_e32 v6, v6, v10, vcc
	v_lshlrev_b32_e32 v10, 24, v7
	v_mov_b32_e32 v11, 0x3b800000
	v_lshlrev_b32_e32 v2, 20, v2
	v_and_b32_e32 v10, 0x80000000, v10
	v_lshl_add_u32 v6, v6, 23, v11
	v_or3_b32 v2, v10, v6, v2
.LBB44_1188:
	s_or_b64 exec, exec, s[6:7]
	s_movk_i32 s4, 0x7f
	v_cmp_gt_i16_sdwa s[6:7], v3, s4 src0_sel:BYTE_0 src1_sel:DWORD
	s_mov_b64 s[4:5], 0
                                        ; implicit-def: $sgpr10
	s_and_saveexec_b64 s[8:9], s[6:7]
	s_xor_b64 s[6:7], exec, s[8:9]
	s_cbranch_execnz .LBB44_3237
; %bb.1189:
	s_or_saveexec_b64 s[6:7], s[6:7]
	v_mov_b32_e32 v6, s10
	s_xor_b64 exec, exec, s[6:7]
	s_cbranch_execnz .LBB44_3240
.LBB44_1190:
	s_or_b64 exec, exec, s[6:7]
	s_and_saveexec_b64 s[6:7], s[4:5]
	s_cbranch_execz .LBB44_1192
.LBB44_1191:
	v_and_b32_e32 v6, 7, v3
	v_ffbh_u32_e32 v11, v6
	v_min_u32_e32 v11, 32, v11
	v_lshrrev_b16_e32 v10, 3, v3
	v_subrev_u32_e32 v12, 28, v11
	v_and_b32_e32 v10, 15, v10
	v_lshlrev_b32_e32 v12, v12, v3
	v_sub_u32_e32 v11, 29, v11
	v_and_b32_e32 v12, 7, v12
	v_cmp_eq_u16_e32 vcc, 0, v10
	v_cndmask_b32_e32 v6, v6, v12, vcc
	v_cndmask_b32_e32 v10, v10, v11, vcc
	v_lshlrev_b32_e32 v11, 24, v3
	v_mov_b32_e32 v12, 0x3b800000
	v_lshlrev_b32_e32 v6, 20, v6
	v_and_b32_e32 v11, 0x80000000, v11
	v_lshl_add_u32 v10, v10, 23, v12
	v_or3_b32 v6, v11, v10, v6
.LBB44_1192:
	s_or_b64 exec, exec, s[6:7]
	s_nop 0
	v_mfma_f32_16x16x4f32 a[0:3], v2, v6, a[0:3]
	v_lshrrev_b32_e32 v6, 8, v7
	s_movk_i32 s4, 0x7f
	v_cmp_gt_i16_sdwa s[6:7], v6, s4 src0_sel:BYTE_0 src1_sel:DWORD
	s_mov_b64 s[4:5], 0
                                        ; implicit-def: $sgpr10
	s_and_saveexec_b64 s[8:9], s[6:7]
	s_xor_b64 s[6:7], exec, s[8:9]
	s_cbranch_execnz .LBB44_3241
; %bb.1193:
	s_or_saveexec_b64 s[6:7], s[6:7]
	v_mov_b32_e32 v2, s10
	s_xor_b64 exec, exec, s[6:7]
	s_cbranch_execnz .LBB44_3244
.LBB44_1194:
	s_or_b64 exec, exec, s[6:7]
	s_and_saveexec_b64 s[6:7], s[4:5]
	s_cbranch_execz .LBB44_1196
.LBB44_1195:
	v_bfe_u32 v2, v7, 8, 3
	v_ffbh_u32_e32 v11, v2
	v_min_u32_e32 v11, 32, v11
	v_lshrrev_b16_e32 v10, 3, v6
	v_subrev_u32_e32 v12, 28, v11
	v_and_b32_e32 v10, 15, v10
	v_lshlrev_b32_e32 v6, v12, v6
	v_sub_u32_e32 v11, 29, v11
	v_and_b32_e32 v6, 7, v6
	v_cmp_eq_u16_e32 vcc, 0, v10
	v_cndmask_b32_e32 v2, v2, v6, vcc
	v_cndmask_b32_e32 v6, v10, v11, vcc
	v_lshlrev_b32_e32 v10, 16, v7
	v_mov_b32_e32 v11, 0x3b800000
	v_lshlrev_b32_e32 v2, 20, v2
	v_and_b32_e32 v10, 0x80000000, v10
	v_lshl_add_u32 v6, v6, 23, v11
	v_or3_b32 v2, v10, v6, v2
.LBB44_1196:
	s_or_b64 exec, exec, s[6:7]
	v_lshrrev_b32_e32 v6, 8, v3
	s_movk_i32 s4, 0x7f
	v_cmp_gt_i16_sdwa s[6:7], v6, s4 src0_sel:BYTE_0 src1_sel:DWORD
	s_mov_b64 s[4:5], 0
                                        ; implicit-def: $sgpr10
	s_and_saveexec_b64 s[8:9], s[6:7]
	s_xor_b64 s[6:7], exec, s[8:9]
	s_cbranch_execnz .LBB44_3245
; %bb.1197:
	s_or_saveexec_b64 s[6:7], s[6:7]
	v_mov_b32_e32 v10, s10
	s_xor_b64 exec, exec, s[6:7]
	s_cbranch_execnz .LBB44_3248
.LBB44_1198:
	s_or_b64 exec, exec, s[6:7]
	s_and_saveexec_b64 s[6:7], s[4:5]
	s_cbranch_execz .LBB44_1200
.LBB44_1199:
	v_bfe_u32 v10, v3, 8, 3
	v_ffbh_u32_e32 v12, v10
	v_min_u32_e32 v12, 32, v12
	v_lshrrev_b16_e32 v11, 3, v6
	v_subrev_u32_e32 v13, 28, v12
	v_and_b32_e32 v11, 15, v11
	v_lshlrev_b32_e32 v6, v13, v6
	v_sub_u32_e32 v12, 29, v12
	v_and_b32_e32 v6, 7, v6
	v_cmp_eq_u16_e32 vcc, 0, v11
	v_cndmask_b32_e32 v6, v10, v6, vcc
	v_cndmask_b32_e32 v10, v11, v12, vcc
	v_lshlrev_b32_e32 v11, 16, v3
	v_mov_b32_e32 v12, 0x3b800000
	v_lshlrev_b32_e32 v6, 20, v6
	v_and_b32_e32 v11, 0x80000000, v11
	v_lshl_add_u32 v10, v10, 23, v12
	v_or3_b32 v10, v11, v10, v6
.LBB44_1200:
	s_or_b64 exec, exec, s[6:7]
	s_nop 0
	v_mfma_f32_16x16x4f32 a[0:3], v2, v10, a[0:3]
	s_movk_i32 s4, 0xff
	v_and_b32_sdwa v6, v7, s4 dst_sel:DWORD dst_unused:UNUSED_PAD src0_sel:WORD_1 src1_sel:DWORD
	s_movk_i32 s4, 0x7f
	v_cmp_lt_i16_e32 vcc, s4, v6
	s_mov_b64 s[4:5], 0
                                        ; implicit-def: $sgpr10
	s_and_saveexec_b64 s[6:7], vcc
	s_xor_b64 s[6:7], exec, s[6:7]
	s_cbranch_execnz .LBB44_3249
; %bb.1201:
	s_or_saveexec_b64 s[6:7], s[6:7]
	v_mov_b32_e32 v2, s10
	s_xor_b64 exec, exec, s[6:7]
	s_cbranch_execnz .LBB44_3252
.LBB44_1202:
	s_or_b64 exec, exec, s[6:7]
	s_and_saveexec_b64 s[6:7], s[4:5]
	s_cbranch_execz .LBB44_1204
.LBB44_1203:
	v_bfe_u32 v2, v7, 16, 3
	v_ffbh_u32_e32 v11, v2
	v_min_u32_e32 v11, 32, v11
	v_lshrrev_b32_e32 v6, 19, v7
	v_subrev_u32_e32 v12, 28, v11
	v_and_b32_e32 v6, 15, v6
	v_lshlrev_b32_sdwa v12, v12, v7 dst_sel:DWORD dst_unused:UNUSED_PAD src0_sel:DWORD src1_sel:WORD_1
	v_bfe_u32 v10, v7, 19, 4
	v_sub_u32_e32 v11, 29, v11
	v_and_b32_e32 v12, 7, v12
	v_cmp_eq_u16_e32 vcc, 0, v6
	v_cndmask_b32_e32 v2, v2, v12, vcc
	v_cndmask_b32_e32 v6, v10, v11, vcc
	v_lshlrev_b32_e32 v10, 8, v7
	v_mov_b32_e32 v11, 0x3b800000
	v_lshlrev_b32_e32 v2, 20, v2
	v_and_b32_e32 v10, 0x80000000, v10
	v_lshl_add_u32 v6, v6, 23, v11
	v_or3_b32 v2, v10, v6, v2
.LBB44_1204:
	s_or_b64 exec, exec, s[6:7]
	s_movk_i32 s4, 0xff
	v_and_b32_sdwa v6, v3, s4 dst_sel:DWORD dst_unused:UNUSED_PAD src0_sel:WORD_1 src1_sel:DWORD
	s_movk_i32 s4, 0x7f
	v_cmp_lt_i16_e32 vcc, s4, v6
	s_mov_b64 s[4:5], 0
                                        ; implicit-def: $sgpr10
	s_and_saveexec_b64 s[6:7], vcc
	s_xor_b64 s[6:7], exec, s[6:7]
	s_cbranch_execnz .LBB44_3253
; %bb.1205:
	s_or_saveexec_b64 s[6:7], s[6:7]
	v_mov_b32_e32 v10, s10
	s_xor_b64 exec, exec, s[6:7]
	s_cbranch_execnz .LBB44_3256
.LBB44_1206:
	s_or_b64 exec, exec, s[6:7]
	s_and_saveexec_b64 s[6:7], s[4:5]
	s_cbranch_execz .LBB44_1208
.LBB44_1207:
	v_bfe_u32 v6, v3, 16, 3
	v_ffbh_u32_e32 v12, v6
	v_min_u32_e32 v12, 32, v12
	v_lshrrev_b32_e32 v10, 19, v3
	v_subrev_u32_e32 v13, 28, v12
	v_and_b32_e32 v10, 15, v10
	v_lshlrev_b32_sdwa v13, v13, v3 dst_sel:DWORD dst_unused:UNUSED_PAD src0_sel:DWORD src1_sel:WORD_1
	v_bfe_u32 v11, v3, 19, 4
	v_sub_u32_e32 v12, 29, v12
	v_and_b32_e32 v13, 7, v13
	v_cmp_eq_u16_e32 vcc, 0, v10
	v_cndmask_b32_e32 v6, v6, v13, vcc
	v_cndmask_b32_e32 v10, v11, v12, vcc
	v_lshlrev_b32_e32 v11, 8, v3
	v_mov_b32_e32 v12, 0x3b800000
	v_lshlrev_b32_e32 v6, 20, v6
	v_and_b32_e32 v11, 0x80000000, v11
	v_lshl_add_u32 v10, v10, 23, v12
	v_or3_b32 v10, v11, v10, v6
.LBB44_1208:
	s_or_b64 exec, exec, s[6:7]
	s_nop 0
	v_mfma_f32_16x16x4f32 a[0:3], v2, v10, a[0:3]
	s_movk_i32 s4, 0x7f
	v_cmp_gt_i16_sdwa s[6:7], v7, s4 src0_sel:BYTE_3 src1_sel:DWORD
	s_mov_b64 s[4:5], 0
                                        ; implicit-def: $sgpr10
	s_and_saveexec_b64 s[8:9], s[6:7]
	s_xor_b64 s[6:7], exec, s[8:9]
	s_cbranch_execnz .LBB44_3257
; %bb.1209:
	s_or_saveexec_b64 s[6:7], s[6:7]
	v_mov_b32_e32 v2, s10
	s_xor_b64 exec, exec, s[6:7]
	s_cbranch_execnz .LBB44_3260
.LBB44_1210:
	s_or_b64 exec, exec, s[6:7]
	s_and_saveexec_b64 s[6:7], s[4:5]
	s_cbranch_execz .LBB44_1212
.LBB44_1211:
	v_bfe_u32 v2, v7, 24, 3
	v_ffbh_u32_e32 v12, v2
	v_min_u32_e32 v12, 32, v12
	v_lshrrev_b32_e32 v10, 27, v7
	v_subrev_u32_e32 v13, 28, v12
	v_and_b32_e32 v6, 0x80000000, v7
	v_and_b32_e32 v10, 15, v10
	v_bfe_u32 v11, v7, 27, 4
	v_lshlrev_b32_sdwa v7, v13, v7 dst_sel:DWORD dst_unused:UNUSED_PAD src0_sel:DWORD src1_sel:BYTE_3
	v_sub_u32_e32 v12, 29, v12
	v_and_b32_e32 v7, 7, v7
	v_cmp_eq_u16_e32 vcc, 0, v10
	v_cndmask_b32_e32 v2, v2, v7, vcc
	v_cndmask_b32_e32 v7, v11, v12, vcc
	v_mov_b32_e32 v10, 0x3b800000
	v_lshlrev_b32_e32 v2, 20, v2
	v_lshl_add_u32 v7, v7, 23, v10
	v_or3_b32 v2, v6, v7, v2
.LBB44_1212:
	s_or_b64 exec, exec, s[6:7]
	s_movk_i32 s4, 0x7f
	v_cmp_gt_i16_sdwa s[6:7], v3, s4 src0_sel:BYTE_3 src1_sel:DWORD
	s_mov_b64 s[4:5], 0
                                        ; implicit-def: $sgpr10
	s_and_saveexec_b64 s[8:9], s[6:7]
	s_xor_b64 s[6:7], exec, s[8:9]
	s_cbranch_execnz .LBB44_3261
; %bb.1213:
	s_or_saveexec_b64 s[6:7], s[6:7]
	v_mov_b32_e32 v6, s10
	s_xor_b64 exec, exec, s[6:7]
	s_cbranch_execnz .LBB44_3264
.LBB44_1214:
	s_or_b64 exec, exec, s[6:7]
	s_and_saveexec_b64 s[6:7], s[4:5]
	s_cbranch_execz .LBB44_1216
.LBB44_1215:
	v_bfe_u32 v6, v3, 24, 3
	v_ffbh_u32_e32 v12, v6
	v_min_u32_e32 v12, 32, v12
	v_lshrrev_b32_e32 v10, 27, v3
	v_subrev_u32_e32 v13, 28, v12
	v_and_b32_e32 v7, 0x80000000, v3
	v_and_b32_e32 v10, 15, v10
	v_bfe_u32 v11, v3, 27, 4
	v_lshlrev_b32_sdwa v3, v13, v3 dst_sel:DWORD dst_unused:UNUSED_PAD src0_sel:DWORD src1_sel:BYTE_3
	v_sub_u32_e32 v12, 29, v12
	v_and_b32_e32 v3, 7, v3
	v_cmp_eq_u16_e32 vcc, 0, v10
	v_cndmask_b32_e32 v3, v6, v3, vcc
	v_cndmask_b32_e32 v6, v11, v12, vcc
	v_mov_b32_e32 v10, 0x3b800000
	v_lshlrev_b32_e32 v3, 20, v3
	v_lshl_add_u32 v6, v6, 23, v10
	v_or3_b32 v6, v7, v6, v3
.LBB44_1216:
	s_or_b64 exec, exec, s[6:7]
	s_nop 0
	v_mfma_f32_16x16x4f32 a[0:3], v2, v6, a[0:3]
	s_movk_i32 s4, 0x7f
	v_cmp_gt_i16_sdwa s[6:7], v8, s4 src0_sel:BYTE_0 src1_sel:DWORD
	s_mov_b64 s[4:5], 0
                                        ; implicit-def: $sgpr10
	s_and_saveexec_b64 s[8:9], s[6:7]
	s_xor_b64 s[6:7], exec, s[8:9]
	s_cbranch_execnz .LBB44_3265
; %bb.1217:
	s_or_saveexec_b64 s[6:7], s[6:7]
	v_mov_b32_e32 v2, s10
	s_xor_b64 exec, exec, s[6:7]
	s_cbranch_execnz .LBB44_3268
.LBB44_1218:
	s_or_b64 exec, exec, s[6:7]
	s_and_saveexec_b64 s[6:7], s[4:5]
	s_cbranch_execz .LBB44_1220
.LBB44_1219:
	v_and_b32_e32 v2, 7, v8
	v_ffbh_u32_e32 v6, v2
	v_min_u32_e32 v6, 32, v6
	v_lshrrev_b16_e32 v3, 3, v8
	v_subrev_u32_e32 v7, 28, v6
	v_and_b32_e32 v3, 15, v3
	v_lshlrev_b32_e32 v7, v7, v8
	v_sub_u32_e32 v6, 29, v6
	v_and_b32_e32 v7, 7, v7
	v_cmp_eq_u16_e32 vcc, 0, v3
	v_cndmask_b32_e32 v2, v2, v7, vcc
	v_cndmask_b32_e32 v3, v3, v6, vcc
	v_lshlrev_b32_e32 v6, 24, v8
	v_mov_b32_e32 v7, 0x3b800000
	v_lshlrev_b32_e32 v2, 20, v2
	v_and_b32_e32 v6, 0x80000000, v6
	v_lshl_add_u32 v3, v3, 23, v7
	v_or3_b32 v2, v6, v3, v2
.LBB44_1220:
	s_or_b64 exec, exec, s[6:7]
	s_movk_i32 s4, 0x7f
	v_cmp_gt_i16_sdwa s[6:7], v4, s4 src0_sel:BYTE_0 src1_sel:DWORD
	s_mov_b64 s[4:5], 0
                                        ; implicit-def: $sgpr10
	s_and_saveexec_b64 s[8:9], s[6:7]
	s_xor_b64 s[6:7], exec, s[8:9]
	s_cbranch_execnz .LBB44_3269
; %bb.1221:
	s_or_saveexec_b64 s[6:7], s[6:7]
	v_mov_b32_e32 v3, s10
	s_xor_b64 exec, exec, s[6:7]
	s_cbranch_execnz .LBB44_3272
.LBB44_1222:
	s_or_b64 exec, exec, s[6:7]
	s_and_saveexec_b64 s[6:7], s[4:5]
	s_cbranch_execz .LBB44_1224
.LBB44_1223:
	v_and_b32_e32 v3, 7, v4
	v_ffbh_u32_e32 v7, v3
	v_min_u32_e32 v7, 32, v7
	v_lshrrev_b16_e32 v6, 3, v4
	v_subrev_u32_e32 v10, 28, v7
	v_and_b32_e32 v6, 15, v6
	v_lshlrev_b32_e32 v10, v10, v4
	v_sub_u32_e32 v7, 29, v7
	v_and_b32_e32 v10, 7, v10
	v_cmp_eq_u16_e32 vcc, 0, v6
	v_cndmask_b32_e32 v3, v3, v10, vcc
	v_cndmask_b32_e32 v6, v6, v7, vcc
	v_lshlrev_b32_e32 v7, 24, v4
	v_mov_b32_e32 v10, 0x3b800000
	v_lshlrev_b32_e32 v3, 20, v3
	v_and_b32_e32 v7, 0x80000000, v7
	v_lshl_add_u32 v6, v6, 23, v10
	v_or3_b32 v3, v7, v6, v3
.LBB44_1224:
	s_or_b64 exec, exec, s[6:7]
	s_nop 0
	v_mfma_f32_16x16x4f32 a[0:3], v2, v3, a[0:3]
	v_lshrrev_b32_e32 v3, 8, v8
	s_movk_i32 s4, 0x7f
	v_cmp_gt_i16_sdwa s[6:7], v3, s4 src0_sel:BYTE_0 src1_sel:DWORD
	s_mov_b64 s[4:5], 0
                                        ; implicit-def: $sgpr10
	s_and_saveexec_b64 s[8:9], s[6:7]
	s_xor_b64 s[6:7], exec, s[8:9]
	s_cbranch_execnz .LBB44_3273
; %bb.1225:
	s_or_saveexec_b64 s[6:7], s[6:7]
	v_mov_b32_e32 v2, s10
	s_xor_b64 exec, exec, s[6:7]
	s_cbranch_execnz .LBB44_3276
.LBB44_1226:
	s_or_b64 exec, exec, s[6:7]
	s_and_saveexec_b64 s[6:7], s[4:5]
	s_cbranch_execz .LBB44_1228
.LBB44_1227:
	v_bfe_u32 v2, v8, 8, 3
	v_ffbh_u32_e32 v7, v2
	v_min_u32_e32 v7, 32, v7
	v_lshrrev_b16_e32 v6, 3, v3
	v_subrev_u32_e32 v10, 28, v7
	v_and_b32_e32 v6, 15, v6
	v_lshlrev_b32_e32 v3, v10, v3
	v_sub_u32_e32 v7, 29, v7
	v_and_b32_e32 v3, 7, v3
	v_cmp_eq_u16_e32 vcc, 0, v6
	v_cndmask_b32_e32 v2, v2, v3, vcc
	v_cndmask_b32_e32 v3, v6, v7, vcc
	v_lshlrev_b32_e32 v6, 16, v8
	v_mov_b32_e32 v7, 0x3b800000
	v_lshlrev_b32_e32 v2, 20, v2
	v_and_b32_e32 v6, 0x80000000, v6
	v_lshl_add_u32 v3, v3, 23, v7
	v_or3_b32 v2, v6, v3, v2
.LBB44_1228:
	s_or_b64 exec, exec, s[6:7]
	v_lshrrev_b32_e32 v3, 8, v4
	s_movk_i32 s4, 0x7f
	v_cmp_gt_i16_sdwa s[6:7], v3, s4 src0_sel:BYTE_0 src1_sel:DWORD
	s_mov_b64 s[4:5], 0
                                        ; implicit-def: $sgpr10
	s_and_saveexec_b64 s[8:9], s[6:7]
	s_xor_b64 s[6:7], exec, s[8:9]
	s_cbranch_execnz .LBB44_3277
; %bb.1229:
	s_or_saveexec_b64 s[6:7], s[6:7]
	v_mov_b32_e32 v6, s10
	s_xor_b64 exec, exec, s[6:7]
	s_cbranch_execnz .LBB44_3280
.LBB44_1230:
	s_or_b64 exec, exec, s[6:7]
	s_and_saveexec_b64 s[6:7], s[4:5]
	s_cbranch_execz .LBB44_1232
.LBB44_1231:
	v_bfe_u32 v6, v4, 8, 3
	v_ffbh_u32_e32 v10, v6
	v_min_u32_e32 v10, 32, v10
	v_lshrrev_b16_e32 v7, 3, v3
	v_subrev_u32_e32 v11, 28, v10
	v_and_b32_e32 v7, 15, v7
	v_lshlrev_b32_e32 v3, v11, v3
	v_sub_u32_e32 v10, 29, v10
	v_and_b32_e32 v3, 7, v3
	v_cmp_eq_u16_e32 vcc, 0, v7
	v_cndmask_b32_e32 v3, v6, v3, vcc
	v_cndmask_b32_e32 v6, v7, v10, vcc
	v_lshlrev_b32_e32 v7, 16, v4
	v_mov_b32_e32 v10, 0x3b800000
	v_lshlrev_b32_e32 v3, 20, v3
	v_and_b32_e32 v7, 0x80000000, v7
	v_lshl_add_u32 v6, v6, 23, v10
	v_or3_b32 v6, v7, v6, v3
.LBB44_1232:
	s_or_b64 exec, exec, s[6:7]
	s_nop 0
	v_mfma_f32_16x16x4f32 a[0:3], v2, v6, a[0:3]
	s_movk_i32 s4, 0xff
	v_and_b32_sdwa v3, v8, s4 dst_sel:DWORD dst_unused:UNUSED_PAD src0_sel:WORD_1 src1_sel:DWORD
	s_movk_i32 s4, 0x7f
	v_cmp_lt_i16_e32 vcc, s4, v3
	s_mov_b64 s[4:5], 0
                                        ; implicit-def: $sgpr10
	s_and_saveexec_b64 s[6:7], vcc
	s_xor_b64 s[6:7], exec, s[6:7]
	s_cbranch_execnz .LBB44_3281
; %bb.1233:
	s_or_saveexec_b64 s[6:7], s[6:7]
	v_mov_b32_e32 v2, s10
	s_xor_b64 exec, exec, s[6:7]
	s_cbranch_execnz .LBB44_3284
.LBB44_1234:
	s_or_b64 exec, exec, s[6:7]
	s_and_saveexec_b64 s[6:7], s[4:5]
	s_cbranch_execz .LBB44_1236
.LBB44_1235:
	v_bfe_u32 v2, v8, 16, 3
	v_ffbh_u32_e32 v7, v2
	v_min_u32_e32 v7, 32, v7
	v_lshrrev_b32_e32 v3, 19, v8
	v_subrev_u32_e32 v10, 28, v7
	v_and_b32_e32 v3, 15, v3
	v_lshlrev_b32_sdwa v10, v10, v8 dst_sel:DWORD dst_unused:UNUSED_PAD src0_sel:DWORD src1_sel:WORD_1
	v_bfe_u32 v6, v8, 19, 4
	v_sub_u32_e32 v7, 29, v7
	v_and_b32_e32 v10, 7, v10
	v_cmp_eq_u16_e32 vcc, 0, v3
	v_cndmask_b32_e32 v2, v2, v10, vcc
	v_cndmask_b32_e32 v3, v6, v7, vcc
	v_lshlrev_b32_e32 v6, 8, v8
	v_mov_b32_e32 v7, 0x3b800000
	v_lshlrev_b32_e32 v2, 20, v2
	v_and_b32_e32 v6, 0x80000000, v6
	v_lshl_add_u32 v3, v3, 23, v7
	v_or3_b32 v2, v6, v3, v2
.LBB44_1236:
	s_or_b64 exec, exec, s[6:7]
	s_movk_i32 s4, 0xff
	v_and_b32_sdwa v3, v4, s4 dst_sel:DWORD dst_unused:UNUSED_PAD src0_sel:WORD_1 src1_sel:DWORD
	s_movk_i32 s4, 0x7f
	v_cmp_lt_i16_e32 vcc, s4, v3
	s_mov_b64 s[4:5], 0
                                        ; implicit-def: $sgpr10
	s_and_saveexec_b64 s[6:7], vcc
	s_xor_b64 s[6:7], exec, s[6:7]
	s_cbranch_execnz .LBB44_3285
; %bb.1237:
	s_or_saveexec_b64 s[6:7], s[6:7]
	v_mov_b32_e32 v6, s10
	s_xor_b64 exec, exec, s[6:7]
	s_cbranch_execnz .LBB44_3288
.LBB44_1238:
	s_or_b64 exec, exec, s[6:7]
	s_and_saveexec_b64 s[6:7], s[4:5]
	s_cbranch_execz .LBB44_1240
.LBB44_1239:
	v_bfe_u32 v3, v4, 16, 3
	v_ffbh_u32_e32 v10, v3
	v_min_u32_e32 v10, 32, v10
	v_lshrrev_b32_e32 v6, 19, v4
	v_subrev_u32_e32 v11, 28, v10
	v_and_b32_e32 v6, 15, v6
	v_lshlrev_b32_sdwa v11, v11, v4 dst_sel:DWORD dst_unused:UNUSED_PAD src0_sel:DWORD src1_sel:WORD_1
	v_bfe_u32 v7, v4, 19, 4
	v_sub_u32_e32 v10, 29, v10
	v_and_b32_e32 v11, 7, v11
	v_cmp_eq_u16_e32 vcc, 0, v6
	v_cndmask_b32_e32 v3, v3, v11, vcc
	v_cndmask_b32_e32 v6, v7, v10, vcc
	v_lshlrev_b32_e32 v7, 8, v4
	v_mov_b32_e32 v10, 0x3b800000
	v_lshlrev_b32_e32 v3, 20, v3
	v_and_b32_e32 v7, 0x80000000, v7
	v_lshl_add_u32 v6, v6, 23, v10
	v_or3_b32 v6, v7, v6, v3
.LBB44_1240:
	s_or_b64 exec, exec, s[6:7]
	s_nop 0
	v_mfma_f32_16x16x4f32 a[0:3], v2, v6, a[0:3]
	s_movk_i32 s4, 0x7f
	v_cmp_gt_i16_sdwa s[6:7], v8, s4 src0_sel:BYTE_3 src1_sel:DWORD
	s_mov_b64 s[4:5], 0
                                        ; implicit-def: $sgpr10
	s_and_saveexec_b64 s[8:9], s[6:7]
	s_xor_b64 s[6:7], exec, s[8:9]
	s_cbranch_execnz .LBB44_3289
; %bb.1241:
	s_or_saveexec_b64 s[6:7], s[6:7]
	v_mov_b32_e32 v2, s10
	s_xor_b64 exec, exec, s[6:7]
	s_cbranch_execnz .LBB44_3292
.LBB44_1242:
	s_or_b64 exec, exec, s[6:7]
	s_and_saveexec_b64 s[6:7], s[4:5]
	s_cbranch_execz .LBB44_1244
.LBB44_1243:
	v_bfe_u32 v2, v8, 24, 3
	v_ffbh_u32_e32 v10, v2
	v_min_u32_e32 v10, 32, v10
	v_lshrrev_b32_e32 v6, 27, v8
	v_subrev_u32_e32 v11, 28, v10
	v_and_b32_e32 v3, 0x80000000, v8
	v_and_b32_e32 v6, 15, v6
	v_bfe_u32 v7, v8, 27, 4
	v_lshlrev_b32_sdwa v8, v11, v8 dst_sel:DWORD dst_unused:UNUSED_PAD src0_sel:DWORD src1_sel:BYTE_3
	v_sub_u32_e32 v10, 29, v10
	v_and_b32_e32 v8, 7, v8
	v_cmp_eq_u16_e32 vcc, 0, v6
	v_cndmask_b32_e32 v2, v2, v8, vcc
	v_cndmask_b32_e32 v6, v7, v10, vcc
	v_mov_b32_e32 v7, 0x3b800000
	v_lshlrev_b32_e32 v2, 20, v2
	v_lshl_add_u32 v6, v6, 23, v7
	v_or3_b32 v2, v3, v6, v2
.LBB44_1244:
	s_or_b64 exec, exec, s[6:7]
	s_movk_i32 s4, 0x7f
	v_cmp_gt_i16_sdwa s[6:7], v4, s4 src0_sel:BYTE_3 src1_sel:DWORD
	s_mov_b64 s[4:5], 0
                                        ; implicit-def: $sgpr10
	s_and_saveexec_b64 s[8:9], s[6:7]
	s_xor_b64 s[6:7], exec, s[8:9]
	s_cbranch_execnz .LBB44_3293
; %bb.1245:
	s_or_saveexec_b64 s[6:7], s[6:7]
	v_mov_b32_e32 v3, s10
	s_xor_b64 exec, exec, s[6:7]
	s_cbranch_execnz .LBB44_3296
.LBB44_1246:
	s_or_b64 exec, exec, s[6:7]
	s_and_saveexec_b64 s[6:7], s[4:5]
	s_cbranch_execz .LBB44_1248
.LBB44_1247:
	v_bfe_u32 v3, v4, 24, 3
	v_ffbh_u32_e32 v10, v3
	v_min_u32_e32 v10, 32, v10
	v_lshrrev_b32_e32 v7, 27, v4
	v_subrev_u32_e32 v11, 28, v10
	v_and_b32_e32 v6, 0x80000000, v4
	v_and_b32_e32 v7, 15, v7
	v_bfe_u32 v8, v4, 27, 4
	v_lshlrev_b32_sdwa v4, v11, v4 dst_sel:DWORD dst_unused:UNUSED_PAD src0_sel:DWORD src1_sel:BYTE_3
	v_sub_u32_e32 v10, 29, v10
	v_and_b32_e32 v4, 7, v4
	v_cmp_eq_u16_e32 vcc, 0, v7
	v_cndmask_b32_e32 v3, v3, v4, vcc
	v_cndmask_b32_e32 v4, v8, v10, vcc
	v_mov_b32_e32 v7, 0x3b800000
	v_lshlrev_b32_e32 v3, 20, v3
	v_lshl_add_u32 v4, v4, 23, v7
	v_or3_b32 v3, v6, v4, v3
.LBB44_1248:
	s_or_b64 exec, exec, s[6:7]
	s_nop 0
	v_mfma_f32_16x16x4f32 a[0:3], v2, v3, a[0:3]
	s_movk_i32 s4, 0x7f
	v_cmp_gt_i16_sdwa s[6:7], v9, s4 src0_sel:BYTE_0 src1_sel:DWORD
	s_mov_b64 s[4:5], 0
                                        ; implicit-def: $sgpr10
	s_and_saveexec_b64 s[8:9], s[6:7]
	s_xor_b64 s[6:7], exec, s[8:9]
	s_cbranch_execnz .LBB44_3297
; %bb.1249:
	s_or_saveexec_b64 s[6:7], s[6:7]
	v_mov_b32_e32 v2, s10
	s_xor_b64 exec, exec, s[6:7]
	s_cbranch_execnz .LBB44_3300
.LBB44_1250:
	s_or_b64 exec, exec, s[6:7]
	s_and_saveexec_b64 s[6:7], s[4:5]
	s_cbranch_execz .LBB44_1252
.LBB44_1251:
	v_mov_b32_e32 v2, 8
	v_and_b32_e32 v3, 7, v9
	v_lshrrev_b32_sdwa v2, v2, v9 dst_sel:BYTE_1 dst_unused:UNUSED_PAD src0_sel:DWORD src1_sel:DWORD
	v_ffbh_u32_e32 v4, v3
	v_or_b32_sdwa v2, v9, v2 dst_sel:DWORD dst_unused:UNUSED_PAD src0_sel:BYTE_0 src1_sel:DWORD
	v_min_u32_e32 v4, 32, v4
	v_lshrrev_b16_e32 v2, 3, v2
	v_subrev_u32_e32 v6, 28, v4
	v_and_b32_e32 v2, 15, v2
	v_lshlrev_b32_e32 v6, v6, v9
	v_sub_u32_e32 v4, 29, v4
	v_and_b32_e32 v6, 7, v6
	v_cmp_eq_u16_e32 vcc, 0, v2
	v_cndmask_b32_e32 v3, v3, v6, vcc
	v_cndmask_b32_e32 v2, v2, v4, vcc
	v_lshlrev_b32_e32 v4, 24, v9
	v_mov_b32_e32 v6, 0x3b800000
	v_lshlrev_b32_e32 v3, 20, v3
	v_and_b32_e32 v4, 0x80000000, v4
	v_lshl_add_u32 v2, v2, 23, v6
	v_or3_b32 v2, v4, v2, v3
.LBB44_1252:
	s_or_b64 exec, exec, s[6:7]
	s_movk_i32 s4, 0x7f
	v_cmp_gt_i16_sdwa s[6:7], v5, s4 src0_sel:BYTE_0 src1_sel:DWORD
	s_mov_b64 s[4:5], 0
                                        ; implicit-def: $sgpr10
	s_and_saveexec_b64 s[8:9], s[6:7]
	s_xor_b64 s[6:7], exec, s[8:9]
	s_cbranch_execnz .LBB44_3301
; %bb.1253:
	s_or_saveexec_b64 s[6:7], s[6:7]
	v_mov_b32_e32 v3, s10
	s_xor_b64 exec, exec, s[6:7]
	s_cbranch_execnz .LBB44_3304
.LBB44_1254:
	s_or_b64 exec, exec, s[6:7]
	s_and_saveexec_b64 s[6:7], s[4:5]
	s_cbranch_execz .LBB44_1256
.LBB44_1255:
	v_mov_b32_e32 v3, 8
	v_and_b32_e32 v4, 7, v5
	v_lshrrev_b32_sdwa v3, v3, v5 dst_sel:BYTE_1 dst_unused:UNUSED_PAD src0_sel:DWORD src1_sel:DWORD
	v_ffbh_u32_e32 v6, v4
	v_or_b32_sdwa v3, v5, v3 dst_sel:DWORD dst_unused:UNUSED_PAD src0_sel:BYTE_0 src1_sel:DWORD
	v_min_u32_e32 v6, 32, v6
	v_lshrrev_b16_e32 v3, 3, v3
	v_subrev_u32_e32 v7, 28, v6
	v_and_b32_e32 v3, 15, v3
	v_lshlrev_b32_e32 v7, v7, v5
	v_sub_u32_e32 v6, 29, v6
	v_and_b32_e32 v7, 7, v7
	v_cmp_eq_u16_e32 vcc, 0, v3
	v_cndmask_b32_e32 v4, v4, v7, vcc
	v_cndmask_b32_e32 v3, v3, v6, vcc
	v_lshlrev_b32_e32 v6, 24, v5
	v_mov_b32_e32 v7, 0x3b800000
	v_lshlrev_b32_e32 v4, 20, v4
	v_and_b32_e32 v6, 0x80000000, v6
	v_lshl_add_u32 v3, v3, 23, v7
	v_or3_b32 v3, v6, v3, v4
.LBB44_1256:
	s_or_b64 exec, exec, s[6:7]
	s_nop 0
	v_mfma_f32_16x16x4f32 a[0:3], v2, v3, a[0:3]
	v_lshrrev_b32_e32 v3, 8, v9
	s_movk_i32 s4, 0x7f
	v_cmp_gt_i16_sdwa s[6:7], v3, s4 src0_sel:BYTE_0 src1_sel:DWORD
	s_mov_b64 s[4:5], 0
                                        ; implicit-def: $sgpr10
	s_and_saveexec_b64 s[8:9], s[6:7]
	s_xor_b64 s[6:7], exec, s[8:9]
	s_cbranch_execnz .LBB44_3305
; %bb.1257:
	s_or_saveexec_b64 s[6:7], s[6:7]
	v_mov_b32_e32 v2, s10
	s_xor_b64 exec, exec, s[6:7]
	s_cbranch_execnz .LBB44_3308
.LBB44_1258:
	s_or_b64 exec, exec, s[6:7]
	s_and_saveexec_b64 s[6:7], s[4:5]
	s_cbranch_execz .LBB44_1260
.LBB44_1259:
	v_bfe_u32 v2, v9, 8, 3
	v_ffbh_u32_e32 v6, v2
	v_min_u32_e32 v6, 32, v6
	v_lshrrev_b16_e32 v4, 3, v3
	v_subrev_u32_e32 v7, 28, v6
	v_and_b32_e32 v4, 15, v4
	v_lshlrev_b32_e32 v3, v7, v3
	v_sub_u32_e32 v6, 29, v6
	v_and_b32_e32 v3, 7, v3
	v_cmp_eq_u16_e32 vcc, 0, v4
	v_cndmask_b32_e32 v2, v2, v3, vcc
	v_cndmask_b32_e32 v3, v4, v6, vcc
	v_lshlrev_b32_e32 v4, 16, v9
	v_mov_b32_e32 v6, 0x3b800000
	v_lshlrev_b32_e32 v2, 20, v2
	v_and_b32_e32 v4, 0x80000000, v4
	v_lshl_add_u32 v3, v3, 23, v6
	v_or3_b32 v2, v4, v3, v2
.LBB44_1260:
	s_or_b64 exec, exec, s[6:7]
	v_lshrrev_b32_e32 v3, 8, v5
	s_movk_i32 s4, 0x7f
	v_cmp_gt_i16_sdwa s[6:7], v3, s4 src0_sel:BYTE_0 src1_sel:DWORD
	s_mov_b64 s[4:5], 0
                                        ; implicit-def: $sgpr10
	s_and_saveexec_b64 s[8:9], s[6:7]
	s_xor_b64 s[6:7], exec, s[8:9]
	s_cbranch_execnz .LBB44_3309
; %bb.1261:
	s_or_saveexec_b64 s[6:7], s[6:7]
	v_mov_b32_e32 v4, s10
	s_xor_b64 exec, exec, s[6:7]
	s_cbranch_execnz .LBB44_3312
.LBB44_1262:
	s_or_b64 exec, exec, s[6:7]
	s_and_saveexec_b64 s[6:7], s[4:5]
	s_cbranch_execz .LBB44_1264
.LBB44_1263:
	v_bfe_u32 v4, v5, 8, 3
	v_ffbh_u32_e32 v7, v4
	v_min_u32_e32 v7, 32, v7
	v_lshrrev_b16_e32 v6, 3, v3
	v_subrev_u32_e32 v8, 28, v7
	v_and_b32_e32 v6, 15, v6
	v_lshlrev_b32_e32 v3, v8, v3
	v_sub_u32_e32 v7, 29, v7
	v_and_b32_e32 v3, 7, v3
	v_cmp_eq_u16_e32 vcc, 0, v6
	v_cndmask_b32_e32 v3, v4, v3, vcc
	v_cndmask_b32_e32 v4, v6, v7, vcc
	v_lshlrev_b32_e32 v6, 16, v5
	v_mov_b32_e32 v7, 0x3b800000
	v_lshlrev_b32_e32 v3, 20, v3
	v_and_b32_e32 v6, 0x80000000, v6
	v_lshl_add_u32 v4, v4, 23, v7
	v_or3_b32 v4, v6, v4, v3
.LBB44_1264:
	s_or_b64 exec, exec, s[6:7]
	s_nop 0
	v_mfma_f32_16x16x4f32 a[0:3], v2, v4, a[0:3]
	s_movk_i32 s4, 0xff
	v_and_b32_sdwa v3, v9, s4 dst_sel:DWORD dst_unused:UNUSED_PAD src0_sel:WORD_1 src1_sel:DWORD
	s_movk_i32 s4, 0x7f
	v_cmp_lt_i16_e32 vcc, s4, v3
	s_mov_b64 s[4:5], 0
                                        ; implicit-def: $sgpr10
	s_and_saveexec_b64 s[6:7], vcc
	s_xor_b64 s[6:7], exec, s[6:7]
	s_cbranch_execnz .LBB44_3313
; %bb.1265:
	s_or_saveexec_b64 s[6:7], s[6:7]
	v_mov_b32_e32 v2, s10
	s_xor_b64 exec, exec, s[6:7]
	s_cbranch_execnz .LBB44_3316
.LBB44_1266:
	s_or_b64 exec, exec, s[6:7]
	s_and_saveexec_b64 s[6:7], s[4:5]
	s_cbranch_execz .LBB44_1268
.LBB44_1267:
	v_bfe_u32 v2, v9, 16, 3
	v_ffbh_u32_e32 v6, v2
	v_min_u32_e32 v6, 32, v6
	v_lshrrev_b32_e32 v3, 19, v9
	v_subrev_u32_e32 v7, 28, v6
	v_and_b32_e32 v3, 15, v3
	v_lshlrev_b32_sdwa v7, v7, v9 dst_sel:DWORD dst_unused:UNUSED_PAD src0_sel:DWORD src1_sel:WORD_1
	v_bfe_u32 v4, v9, 19, 4
	v_sub_u32_e32 v6, 29, v6
	v_and_b32_e32 v7, 7, v7
	v_cmp_eq_u16_e32 vcc, 0, v3
	v_cndmask_b32_e32 v2, v2, v7, vcc
	v_cndmask_b32_e32 v3, v4, v6, vcc
	v_lshlrev_b32_e32 v4, 8, v9
	v_mov_b32_e32 v6, 0x3b800000
	v_lshlrev_b32_e32 v2, 20, v2
	v_and_b32_e32 v4, 0x80000000, v4
	v_lshl_add_u32 v3, v3, 23, v6
	v_or3_b32 v2, v4, v3, v2
.LBB44_1268:
	s_or_b64 exec, exec, s[6:7]
	s_movk_i32 s4, 0xff
	v_and_b32_sdwa v3, v5, s4 dst_sel:DWORD dst_unused:UNUSED_PAD src0_sel:WORD_1 src1_sel:DWORD
	s_movk_i32 s4, 0x7f
	v_cmp_lt_i16_e32 vcc, s4, v3
	s_mov_b64 s[4:5], 0
                                        ; implicit-def: $sgpr10
	s_and_saveexec_b64 s[6:7], vcc
	s_xor_b64 s[6:7], exec, s[6:7]
	s_cbranch_execnz .LBB44_3317
; %bb.1269:
	s_or_saveexec_b64 s[6:7], s[6:7]
	v_mov_b32_e32 v4, s10
	s_xor_b64 exec, exec, s[6:7]
	s_cbranch_execnz .LBB44_3320
.LBB44_1270:
	s_or_b64 exec, exec, s[6:7]
	s_and_saveexec_b64 s[6:7], s[4:5]
	s_cbranch_execz .LBB44_1272
.LBB44_1271:
	v_bfe_u32 v3, v5, 16, 3
	v_ffbh_u32_e32 v7, v3
	v_min_u32_e32 v7, 32, v7
	v_lshrrev_b32_e32 v4, 19, v5
	v_subrev_u32_e32 v8, 28, v7
	v_and_b32_e32 v4, 15, v4
	v_lshlrev_b32_sdwa v8, v8, v5 dst_sel:DWORD dst_unused:UNUSED_PAD src0_sel:DWORD src1_sel:WORD_1
	v_bfe_u32 v6, v5, 19, 4
	v_sub_u32_e32 v7, 29, v7
	v_and_b32_e32 v8, 7, v8
	v_cmp_eq_u16_e32 vcc, 0, v4
	v_cndmask_b32_e32 v3, v3, v8, vcc
	v_cndmask_b32_e32 v4, v6, v7, vcc
	v_lshlrev_b32_e32 v6, 8, v5
	v_mov_b32_e32 v7, 0x3b800000
	v_lshlrev_b32_e32 v3, 20, v3
	v_and_b32_e32 v6, 0x80000000, v6
	v_lshl_add_u32 v4, v4, 23, v7
	v_or3_b32 v4, v6, v4, v3
.LBB44_1272:
	s_or_b64 exec, exec, s[6:7]
	s_nop 0
	v_mfma_f32_16x16x4f32 a[0:3], v2, v4, a[0:3]
	s_movk_i32 s4, 0x7f
	v_cmp_gt_i16_sdwa s[6:7], v9, s4 src0_sel:BYTE_3 src1_sel:DWORD
	s_mov_b64 s[4:5], 0
                                        ; implicit-def: $sgpr10
	s_and_saveexec_b64 s[8:9], s[6:7]
	s_xor_b64 s[6:7], exec, s[8:9]
	s_cbranch_execnz .LBB44_3321
; %bb.1273:
	s_or_saveexec_b64 s[6:7], s[6:7]
	v_mov_b32_e32 v2, s10
	s_xor_b64 exec, exec, s[6:7]
	s_cbranch_execnz .LBB44_3324
.LBB44_1274:
	s_or_b64 exec, exec, s[6:7]
	s_and_saveexec_b64 s[6:7], s[4:5]
	s_cbranch_execz .LBB44_1276
.LBB44_1275:
	v_bfe_u32 v2, v9, 24, 3
	v_ffbh_u32_e32 v7, v2
	v_min_u32_e32 v7, 32, v7
	v_lshrrev_b32_e32 v4, 27, v9
	v_subrev_u32_e32 v8, 28, v7
	v_and_b32_e32 v4, 15, v4
	v_lshlrev_b32_sdwa v8, v8, v9 dst_sel:DWORD dst_unused:UNUSED_PAD src0_sel:DWORD src1_sel:BYTE_3
	v_bfe_u32 v6, v9, 27, 4
	v_sub_u32_e32 v7, 29, v7
	v_and_b32_e32 v8, 7, v8
	v_cmp_eq_u16_e32 vcc, 0, v4
	v_cndmask_b32_e32 v2, v2, v8, vcc
	v_cndmask_b32_e32 v4, v6, v7, vcc
	v_mov_b32_e32 v6, 0x3b800000
	v_and_b32_e32 v3, 0x80000000, v9
	v_lshlrev_b32_e32 v2, 20, v2
	v_lshl_add_u32 v4, v4, 23, v6
	v_or3_b32 v2, v3, v4, v2
.LBB44_1276:
	s_or_b64 exec, exec, s[6:7]
	s_movk_i32 s4, 0x7f
	v_cmp_gt_i16_sdwa s[6:7], v5, s4 src0_sel:BYTE_3 src1_sel:DWORD
	s_mov_b64 s[4:5], 0
                                        ; implicit-def: $sgpr10
	s_and_saveexec_b64 s[8:9], s[6:7]
	s_xor_b64 s[6:7], exec, s[8:9]
	s_cbranch_execnz .LBB44_3325
; %bb.1277:
	s_or_saveexec_b64 s[6:7], s[6:7]
	v_mov_b32_e32 v3, s10
	s_xor_b64 exec, exec, s[6:7]
	s_cbranch_execnz .LBB44_3328
.LBB44_1278:
	s_or_b64 exec, exec, s[6:7]
	s_and_saveexec_b64 s[6:7], s[4:5]
	s_cbranch_execz .LBB44_1280
.LBB44_1279:
	v_bfe_u32 v3, v5, 24, 3
	v_ffbh_u32_e32 v8, v3
	v_min_u32_e32 v8, 32, v8
	v_lshrrev_b32_e32 v6, 27, v5
	v_subrev_u32_e32 v9, 28, v8
	v_and_b32_e32 v4, 0x80000000, v5
	v_and_b32_e32 v6, 15, v6
	v_bfe_u32 v7, v5, 27, 4
	v_lshlrev_b32_sdwa v5, v9, v5 dst_sel:DWORD dst_unused:UNUSED_PAD src0_sel:DWORD src1_sel:BYTE_3
	v_sub_u32_e32 v8, 29, v8
	v_and_b32_e32 v5, 7, v5
	v_cmp_eq_u16_e32 vcc, 0, v6
	v_cndmask_b32_e32 v3, v3, v5, vcc
	v_cndmask_b32_e32 v5, v7, v8, vcc
	v_mov_b32_e32 v6, 0x3b800000
	v_lshlrev_b32_e32 v3, 20, v3
	v_lshl_add_u32 v5, v5, 23, v6
	v_or3_b32 v3, v4, v5, v3
.LBB44_1280:
	s_or_b64 exec, exec, s[6:7]
	s_nop 0
	v_mfma_f32_16x16x4f32 a[0:3], v2, v3, a[0:3]
	s_movk_i32 s4, 0x7f
                                        ; implicit-def: $sgpr10
	s_nop 7
	s_nop 1
	flat_store_dwordx4 v[18:19], a[0:3] offset:64
	flat_load_dwordx4 v[20:23], v[0:1] offset:8
	s_nop 0
	flat_load_dwordx2 v[18:19], v[0:1] offset:24
	s_waitcnt vmcnt(0) lgkmcnt(0)
	flat_load_dwordx4 v[14:17], v[20:21]
	flat_load_dwordx4 v[6:9], v[20:21] offset:16
	flat_load_dwordx4 v[10:13], v[22:23] offset:160
	;; [unrolled: 1-line block ×3, first 2 shown]
	s_waitcnt vmcnt(0) lgkmcnt(0)
	v_cmp_gt_i16_sdwa s[6:7], v14, s4 src0_sel:BYTE_0 src1_sel:DWORD
	s_mov_b64 s[4:5], 0
	s_and_saveexec_b64 s[8:9], s[6:7]
	s_xor_b64 s[6:7], exec, s[8:9]
	s_cbranch_execnz .LBB44_3329
; %bb.1281:
	s_or_saveexec_b64 s[6:7], s[6:7]
	v_mov_b32_e32 v20, s10
	s_xor_b64 exec, exec, s[6:7]
	s_cbranch_execnz .LBB44_3332
.LBB44_1282:
	s_or_b64 exec, exec, s[6:7]
	s_and_saveexec_b64 s[6:7], s[4:5]
	s_cbranch_execz .LBB44_1284
.LBB44_1283:
	v_and_b32_e32 v20, 7, v14
	v_ffbh_u32_e32 v22, v20
	v_min_u32_e32 v22, 32, v22
	v_lshrrev_b16_e32 v21, 3, v14
	v_subrev_u32_e32 v23, 28, v22
	v_and_b32_e32 v21, 15, v21
	v_lshlrev_b32_e32 v23, v23, v14
	v_sub_u32_e32 v22, 29, v22
	v_and_b32_e32 v23, 7, v23
	v_cmp_eq_u16_e32 vcc, 0, v21
	v_cndmask_b32_e32 v20, v20, v23, vcc
	v_cndmask_b32_e32 v21, v21, v22, vcc
	v_lshlrev_b32_e32 v22, 24, v14
	v_mov_b32_e32 v23, 0x3b800000
	v_lshlrev_b32_e32 v20, 20, v20
	v_and_b32_e32 v22, 0x80000000, v22
	v_lshl_add_u32 v21, v21, 23, v23
	v_or3_b32 v20, v22, v21, v20
.LBB44_1284:
	s_or_b64 exec, exec, s[6:7]
	s_movk_i32 s4, 0x7f
	v_cmp_gt_i16_sdwa s[6:7], v10, s4 src0_sel:BYTE_0 src1_sel:DWORD
	s_mov_b64 s[4:5], 0
                                        ; implicit-def: $sgpr10
	s_and_saveexec_b64 s[8:9], s[6:7]
	s_xor_b64 s[6:7], exec, s[8:9]
	s_cbranch_execnz .LBB44_3333
; %bb.1285:
	s_or_saveexec_b64 s[6:7], s[6:7]
	v_mov_b32_e32 v21, s10
	s_xor_b64 exec, exec, s[6:7]
	s_cbranch_execnz .LBB44_3336
.LBB44_1286:
	s_or_b64 exec, exec, s[6:7]
	s_and_saveexec_b64 s[6:7], s[4:5]
	s_cbranch_execz .LBB44_1288
.LBB44_1287:
	v_and_b32_e32 v21, 7, v10
	v_ffbh_u32_e32 v23, v21
	v_min_u32_e32 v23, 32, v23
	v_lshrrev_b16_e32 v22, 3, v10
	v_subrev_u32_e32 v24, 28, v23
	v_and_b32_e32 v22, 15, v22
	v_lshlrev_b32_e32 v24, v24, v10
	v_sub_u32_e32 v23, 29, v23
	v_and_b32_e32 v24, 7, v24
	v_cmp_eq_u16_e32 vcc, 0, v22
	v_cndmask_b32_e32 v21, v21, v24, vcc
	v_cndmask_b32_e32 v22, v22, v23, vcc
	v_lshlrev_b32_e32 v23, 24, v10
	v_mov_b32_e32 v24, 0x3b800000
	v_lshlrev_b32_e32 v21, 20, v21
	v_and_b32_e32 v23, 0x80000000, v23
	v_lshl_add_u32 v22, v22, 23, v24
	v_or3_b32 v21, v23, v22, v21
.LBB44_1288:
	s_or_b64 exec, exec, s[6:7]
	flat_load_dwordx4 a[0:3], v[18:19] offset:80
	s_movk_i32 s4, 0x7f
                                        ; implicit-def: $sgpr10
	s_waitcnt vmcnt(0) lgkmcnt(0)
	v_mfma_f32_16x16x4f32 a[0:3], v20, v21, a[0:3]
	v_lshrrev_b32_e32 v21, 8, v14
	v_cmp_gt_i16_sdwa s[6:7], v21, s4 src0_sel:BYTE_0 src1_sel:DWORD
	s_mov_b64 s[4:5], 0
	s_and_saveexec_b64 s[8:9], s[6:7]
	s_xor_b64 s[6:7], exec, s[8:9]
	s_cbranch_execnz .LBB44_3337
; %bb.1289:
	s_or_saveexec_b64 s[6:7], s[6:7]
	v_mov_b32_e32 v20, s10
	s_xor_b64 exec, exec, s[6:7]
	s_cbranch_execnz .LBB44_3340
.LBB44_1290:
	s_or_b64 exec, exec, s[6:7]
	s_and_saveexec_b64 s[6:7], s[4:5]
	s_cbranch_execz .LBB44_1292
.LBB44_1291:
	v_bfe_u32 v20, v14, 8, 3
	v_ffbh_u32_e32 v23, v20
	v_min_u32_e32 v23, 32, v23
	v_lshrrev_b16_e32 v22, 3, v21
	v_subrev_u32_e32 v24, 28, v23
	v_and_b32_e32 v22, 15, v22
	v_lshlrev_b32_e32 v21, v24, v21
	v_sub_u32_e32 v23, 29, v23
	v_and_b32_e32 v21, 7, v21
	v_cmp_eq_u16_e32 vcc, 0, v22
	v_cndmask_b32_e32 v20, v20, v21, vcc
	v_cndmask_b32_e32 v21, v22, v23, vcc
	v_lshlrev_b32_e32 v22, 16, v14
	v_mov_b32_e32 v23, 0x3b800000
	v_lshlrev_b32_e32 v20, 20, v20
	v_and_b32_e32 v22, 0x80000000, v22
	v_lshl_add_u32 v21, v21, 23, v23
	v_or3_b32 v20, v22, v21, v20
.LBB44_1292:
	s_or_b64 exec, exec, s[6:7]
	v_lshrrev_b32_e32 v21, 8, v10
	s_movk_i32 s4, 0x7f
	v_cmp_gt_i16_sdwa s[6:7], v21, s4 src0_sel:BYTE_0 src1_sel:DWORD
	s_mov_b64 s[4:5], 0
                                        ; implicit-def: $sgpr10
	s_and_saveexec_b64 s[8:9], s[6:7]
	s_xor_b64 s[6:7], exec, s[8:9]
	s_cbranch_execnz .LBB44_3341
; %bb.1293:
	s_or_saveexec_b64 s[6:7], s[6:7]
	v_mov_b32_e32 v22, s10
	s_xor_b64 exec, exec, s[6:7]
	s_cbranch_execnz .LBB44_3344
.LBB44_1294:
	s_or_b64 exec, exec, s[6:7]
	s_and_saveexec_b64 s[6:7], s[4:5]
	s_cbranch_execz .LBB44_1296
.LBB44_1295:
	v_bfe_u32 v22, v10, 8, 3
	v_ffbh_u32_e32 v24, v22
	v_min_u32_e32 v24, 32, v24
	v_lshrrev_b16_e32 v23, 3, v21
	v_subrev_u32_e32 v25, 28, v24
	v_and_b32_e32 v23, 15, v23
	v_lshlrev_b32_e32 v21, v25, v21
	v_sub_u32_e32 v24, 29, v24
	v_and_b32_e32 v21, 7, v21
	v_cmp_eq_u16_e32 vcc, 0, v23
	v_cndmask_b32_e32 v21, v22, v21, vcc
	v_cndmask_b32_e32 v22, v23, v24, vcc
	v_lshlrev_b32_e32 v23, 16, v10
	v_mov_b32_e32 v24, 0x3b800000
	v_lshlrev_b32_e32 v21, 20, v21
	v_and_b32_e32 v23, 0x80000000, v23
	v_lshl_add_u32 v22, v22, 23, v24
	v_or3_b32 v22, v23, v22, v21
.LBB44_1296:
	s_or_b64 exec, exec, s[6:7]
	s_nop 0
	v_mfma_f32_16x16x4f32 a[0:3], v20, v22, a[0:3]
	s_movk_i32 s4, 0xff
	v_and_b32_sdwa v21, v14, s4 dst_sel:DWORD dst_unused:UNUSED_PAD src0_sel:WORD_1 src1_sel:DWORD
	s_movk_i32 s4, 0x7f
	v_cmp_lt_i16_e32 vcc, s4, v21
	s_mov_b64 s[4:5], 0
                                        ; implicit-def: $sgpr10
	s_and_saveexec_b64 s[6:7], vcc
	s_xor_b64 s[6:7], exec, s[6:7]
	s_cbranch_execnz .LBB44_3345
; %bb.1297:
	s_or_saveexec_b64 s[6:7], s[6:7]
	v_mov_b32_e32 v20, s10
	s_xor_b64 exec, exec, s[6:7]
	s_cbranch_execnz .LBB44_3348
.LBB44_1298:
	s_or_b64 exec, exec, s[6:7]
	s_and_saveexec_b64 s[6:7], s[4:5]
	s_cbranch_execz .LBB44_1300
.LBB44_1299:
	v_bfe_u32 v20, v14, 16, 3
	v_ffbh_u32_e32 v23, v20
	v_min_u32_e32 v23, 32, v23
	v_lshrrev_b32_e32 v21, 19, v14
	v_subrev_u32_e32 v24, 28, v23
	v_and_b32_e32 v21, 15, v21
	v_lshlrev_b32_sdwa v24, v24, v14 dst_sel:DWORD dst_unused:UNUSED_PAD src0_sel:DWORD src1_sel:WORD_1
	v_bfe_u32 v22, v14, 19, 4
	v_sub_u32_e32 v23, 29, v23
	v_and_b32_e32 v24, 7, v24
	v_cmp_eq_u16_e32 vcc, 0, v21
	v_cndmask_b32_e32 v20, v20, v24, vcc
	v_cndmask_b32_e32 v21, v22, v23, vcc
	v_lshlrev_b32_e32 v22, 8, v14
	v_mov_b32_e32 v23, 0x3b800000
	v_lshlrev_b32_e32 v20, 20, v20
	v_and_b32_e32 v22, 0x80000000, v22
	v_lshl_add_u32 v21, v21, 23, v23
	v_or3_b32 v20, v22, v21, v20
.LBB44_1300:
	s_or_b64 exec, exec, s[6:7]
	s_movk_i32 s4, 0xff
	v_and_b32_sdwa v21, v10, s4 dst_sel:DWORD dst_unused:UNUSED_PAD src0_sel:WORD_1 src1_sel:DWORD
	s_movk_i32 s4, 0x7f
	v_cmp_lt_i16_e32 vcc, s4, v21
	s_mov_b64 s[4:5], 0
                                        ; implicit-def: $sgpr10
	s_and_saveexec_b64 s[6:7], vcc
	s_xor_b64 s[6:7], exec, s[6:7]
	s_cbranch_execnz .LBB44_3349
; %bb.1301:
	s_or_saveexec_b64 s[6:7], s[6:7]
	v_mov_b32_e32 v22, s10
	s_xor_b64 exec, exec, s[6:7]
	s_cbranch_execnz .LBB44_3352
.LBB44_1302:
	s_or_b64 exec, exec, s[6:7]
	s_and_saveexec_b64 s[6:7], s[4:5]
	s_cbranch_execz .LBB44_1304
.LBB44_1303:
	v_bfe_u32 v21, v10, 16, 3
	v_ffbh_u32_e32 v24, v21
	v_min_u32_e32 v24, 32, v24
	v_lshrrev_b32_e32 v22, 19, v10
	v_subrev_u32_e32 v25, 28, v24
	v_and_b32_e32 v22, 15, v22
	v_lshlrev_b32_sdwa v25, v25, v10 dst_sel:DWORD dst_unused:UNUSED_PAD src0_sel:DWORD src1_sel:WORD_1
	v_bfe_u32 v23, v10, 19, 4
	v_sub_u32_e32 v24, 29, v24
	v_and_b32_e32 v25, 7, v25
	v_cmp_eq_u16_e32 vcc, 0, v22
	v_cndmask_b32_e32 v21, v21, v25, vcc
	v_cndmask_b32_e32 v22, v23, v24, vcc
	v_lshlrev_b32_e32 v23, 8, v10
	v_mov_b32_e32 v24, 0x3b800000
	v_lshlrev_b32_e32 v21, 20, v21
	v_and_b32_e32 v23, 0x80000000, v23
	v_lshl_add_u32 v22, v22, 23, v24
	v_or3_b32 v22, v23, v22, v21
.LBB44_1304:
	s_or_b64 exec, exec, s[6:7]
	s_nop 0
	v_mfma_f32_16x16x4f32 a[0:3], v20, v22, a[0:3]
	s_movk_i32 s4, 0x7f
	v_cmp_gt_i16_sdwa s[6:7], v14, s4 src0_sel:BYTE_3 src1_sel:DWORD
	s_mov_b64 s[4:5], 0
                                        ; implicit-def: $sgpr10
	s_and_saveexec_b64 s[8:9], s[6:7]
	s_xor_b64 s[6:7], exec, s[8:9]
	s_cbranch_execnz .LBB44_3353
; %bb.1305:
	s_or_saveexec_b64 s[6:7], s[6:7]
	v_mov_b32_e32 v20, s10
	s_xor_b64 exec, exec, s[6:7]
	s_cbranch_execnz .LBB44_3356
.LBB44_1306:
	s_or_b64 exec, exec, s[6:7]
	s_and_saveexec_b64 s[6:7], s[4:5]
	s_cbranch_execz .LBB44_1308
.LBB44_1307:
	v_bfe_u32 v20, v14, 24, 3
	v_ffbh_u32_e32 v24, v20
	v_min_u32_e32 v24, 32, v24
	v_lshrrev_b32_e32 v22, 27, v14
	v_subrev_u32_e32 v25, 28, v24
	v_and_b32_e32 v21, 0x80000000, v14
	v_and_b32_e32 v22, 15, v22
	v_bfe_u32 v23, v14, 27, 4
	v_lshlrev_b32_sdwa v14, v25, v14 dst_sel:DWORD dst_unused:UNUSED_PAD src0_sel:DWORD src1_sel:BYTE_3
	v_sub_u32_e32 v24, 29, v24
	v_and_b32_e32 v14, 7, v14
	v_cmp_eq_u16_e32 vcc, 0, v22
	v_cndmask_b32_e32 v14, v20, v14, vcc
	v_cndmask_b32_e32 v20, v23, v24, vcc
	v_mov_b32_e32 v22, 0x3b800000
	v_lshlrev_b32_e32 v14, 20, v14
	v_lshl_add_u32 v20, v20, 23, v22
	v_or3_b32 v20, v21, v20, v14
.LBB44_1308:
	s_or_b64 exec, exec, s[6:7]
	s_movk_i32 s4, 0x7f
	v_cmp_gt_i16_sdwa s[6:7], v10, s4 src0_sel:BYTE_3 src1_sel:DWORD
	s_mov_b64 s[4:5], 0
                                        ; implicit-def: $sgpr10
	s_and_saveexec_b64 s[8:9], s[6:7]
	s_xor_b64 s[6:7], exec, s[8:9]
	s_cbranch_execnz .LBB44_3357
; %bb.1309:
	s_or_saveexec_b64 s[6:7], s[6:7]
	v_mov_b32_e32 v14, s10
	s_xor_b64 exec, exec, s[6:7]
	s_cbranch_execnz .LBB44_3360
.LBB44_1310:
	s_or_b64 exec, exec, s[6:7]
	s_and_saveexec_b64 s[6:7], s[4:5]
	s_cbranch_execz .LBB44_1312
.LBB44_1311:
	v_bfe_u32 v14, v10, 24, 3
	v_ffbh_u32_e32 v24, v14
	v_min_u32_e32 v24, 32, v24
	v_lshrrev_b32_e32 v22, 27, v10
	v_subrev_u32_e32 v25, 28, v24
	v_and_b32_e32 v21, 0x80000000, v10
	v_and_b32_e32 v22, 15, v22
	v_bfe_u32 v23, v10, 27, 4
	v_lshlrev_b32_sdwa v10, v25, v10 dst_sel:DWORD dst_unused:UNUSED_PAD src0_sel:DWORD src1_sel:BYTE_3
	v_sub_u32_e32 v24, 29, v24
	v_and_b32_e32 v10, 7, v10
	v_cmp_eq_u16_e32 vcc, 0, v22
	v_cndmask_b32_e32 v10, v14, v10, vcc
	v_cndmask_b32_e32 v14, v23, v24, vcc
	v_mov_b32_e32 v22, 0x3b800000
	v_lshlrev_b32_e32 v10, 20, v10
	v_lshl_add_u32 v14, v14, 23, v22
	v_or3_b32 v14, v21, v14, v10
.LBB44_1312:
	s_or_b64 exec, exec, s[6:7]
	s_nop 0
	v_mfma_f32_16x16x4f32 a[0:3], v20, v14, a[0:3]
	s_movk_i32 s4, 0x7f
	v_cmp_gt_i16_sdwa s[6:7], v15, s4 src0_sel:BYTE_0 src1_sel:DWORD
	s_mov_b64 s[4:5], 0
                                        ; implicit-def: $sgpr10
	s_and_saveexec_b64 s[8:9], s[6:7]
	s_xor_b64 s[6:7], exec, s[8:9]
	s_cbranch_execnz .LBB44_3361
; %bb.1313:
	s_or_saveexec_b64 s[6:7], s[6:7]
	v_mov_b32_e32 v10, s10
	s_xor_b64 exec, exec, s[6:7]
	s_cbranch_execnz .LBB44_3364
.LBB44_1314:
	s_or_b64 exec, exec, s[6:7]
	s_and_saveexec_b64 s[6:7], s[4:5]
	s_cbranch_execz .LBB44_1316
.LBB44_1315:
	v_and_b32_e32 v10, 7, v15
	v_ffbh_u32_e32 v20, v10
	v_min_u32_e32 v20, 32, v20
	v_lshrrev_b16_e32 v14, 3, v15
	v_subrev_u32_e32 v21, 28, v20
	v_and_b32_e32 v14, 15, v14
	v_lshlrev_b32_e32 v21, v21, v15
	v_sub_u32_e32 v20, 29, v20
	v_and_b32_e32 v21, 7, v21
	v_cmp_eq_u16_e32 vcc, 0, v14
	v_cndmask_b32_e32 v10, v10, v21, vcc
	v_cndmask_b32_e32 v14, v14, v20, vcc
	v_lshlrev_b32_e32 v20, 24, v15
	v_mov_b32_e32 v21, 0x3b800000
	v_lshlrev_b32_e32 v10, 20, v10
	v_and_b32_e32 v20, 0x80000000, v20
	v_lshl_add_u32 v14, v14, 23, v21
	v_or3_b32 v10, v20, v14, v10
.LBB44_1316:
	s_or_b64 exec, exec, s[6:7]
	s_movk_i32 s4, 0x7f
	v_cmp_gt_i16_sdwa s[6:7], v11, s4 src0_sel:BYTE_0 src1_sel:DWORD
	s_mov_b64 s[4:5], 0
                                        ; implicit-def: $sgpr10
	s_and_saveexec_b64 s[8:9], s[6:7]
	s_xor_b64 s[6:7], exec, s[8:9]
	s_cbranch_execnz .LBB44_3365
; %bb.1317:
	s_or_saveexec_b64 s[6:7], s[6:7]
	v_mov_b32_e32 v14, s10
	s_xor_b64 exec, exec, s[6:7]
	s_cbranch_execnz .LBB44_3368
.LBB44_1318:
	s_or_b64 exec, exec, s[6:7]
	s_and_saveexec_b64 s[6:7], s[4:5]
	s_cbranch_execz .LBB44_1320
.LBB44_1319:
	v_and_b32_e32 v14, 7, v11
	v_ffbh_u32_e32 v21, v14
	v_min_u32_e32 v21, 32, v21
	v_lshrrev_b16_e32 v20, 3, v11
	v_subrev_u32_e32 v22, 28, v21
	v_and_b32_e32 v20, 15, v20
	v_lshlrev_b32_e32 v22, v22, v11
	v_sub_u32_e32 v21, 29, v21
	v_and_b32_e32 v22, 7, v22
	v_cmp_eq_u16_e32 vcc, 0, v20
	v_cndmask_b32_e32 v14, v14, v22, vcc
	v_cndmask_b32_e32 v20, v20, v21, vcc
	v_lshlrev_b32_e32 v21, 24, v11
	v_mov_b32_e32 v22, 0x3b800000
	v_lshlrev_b32_e32 v14, 20, v14
	v_and_b32_e32 v21, 0x80000000, v21
	v_lshl_add_u32 v20, v20, 23, v22
	v_or3_b32 v14, v21, v20, v14
.LBB44_1320:
	s_or_b64 exec, exec, s[6:7]
	s_nop 0
	v_mfma_f32_16x16x4f32 a[0:3], v10, v14, a[0:3]
	v_lshrrev_b32_e32 v14, 8, v15
	s_movk_i32 s4, 0x7f
	v_cmp_gt_i16_sdwa s[6:7], v14, s4 src0_sel:BYTE_0 src1_sel:DWORD
	s_mov_b64 s[4:5], 0
                                        ; implicit-def: $sgpr10
	s_and_saveexec_b64 s[8:9], s[6:7]
	s_xor_b64 s[6:7], exec, s[8:9]
	s_cbranch_execnz .LBB44_3369
; %bb.1321:
	s_or_saveexec_b64 s[6:7], s[6:7]
	v_mov_b32_e32 v10, s10
	s_xor_b64 exec, exec, s[6:7]
	s_cbranch_execnz .LBB44_3372
.LBB44_1322:
	s_or_b64 exec, exec, s[6:7]
	s_and_saveexec_b64 s[6:7], s[4:5]
	s_cbranch_execz .LBB44_1324
.LBB44_1323:
	v_bfe_u32 v10, v15, 8, 3
	v_ffbh_u32_e32 v21, v10
	v_min_u32_e32 v21, 32, v21
	v_lshrrev_b16_e32 v20, 3, v14
	v_subrev_u32_e32 v22, 28, v21
	v_and_b32_e32 v20, 15, v20
	v_lshlrev_b32_e32 v14, v22, v14
	v_sub_u32_e32 v21, 29, v21
	v_and_b32_e32 v14, 7, v14
	v_cmp_eq_u16_e32 vcc, 0, v20
	v_cndmask_b32_e32 v10, v10, v14, vcc
	v_cndmask_b32_e32 v14, v20, v21, vcc
	v_lshlrev_b32_e32 v20, 16, v15
	v_mov_b32_e32 v21, 0x3b800000
	v_lshlrev_b32_e32 v10, 20, v10
	v_and_b32_e32 v20, 0x80000000, v20
	v_lshl_add_u32 v14, v14, 23, v21
	v_or3_b32 v10, v20, v14, v10
.LBB44_1324:
	s_or_b64 exec, exec, s[6:7]
	v_lshrrev_b32_e32 v14, 8, v11
	s_movk_i32 s4, 0x7f
	v_cmp_gt_i16_sdwa s[6:7], v14, s4 src0_sel:BYTE_0 src1_sel:DWORD
	s_mov_b64 s[4:5], 0
                                        ; implicit-def: $sgpr10
	s_and_saveexec_b64 s[8:9], s[6:7]
	s_xor_b64 s[6:7], exec, s[8:9]
	s_cbranch_execnz .LBB44_3373
; %bb.1325:
	s_or_saveexec_b64 s[6:7], s[6:7]
	v_mov_b32_e32 v20, s10
	s_xor_b64 exec, exec, s[6:7]
	s_cbranch_execnz .LBB44_3376
.LBB44_1326:
	s_or_b64 exec, exec, s[6:7]
	s_and_saveexec_b64 s[6:7], s[4:5]
	s_cbranch_execz .LBB44_1328
.LBB44_1327:
	v_bfe_u32 v20, v11, 8, 3
	v_ffbh_u32_e32 v22, v20
	v_min_u32_e32 v22, 32, v22
	v_lshrrev_b16_e32 v21, 3, v14
	v_subrev_u32_e32 v23, 28, v22
	v_and_b32_e32 v21, 15, v21
	v_lshlrev_b32_e32 v14, v23, v14
	v_sub_u32_e32 v22, 29, v22
	v_and_b32_e32 v14, 7, v14
	v_cmp_eq_u16_e32 vcc, 0, v21
	v_cndmask_b32_e32 v14, v20, v14, vcc
	v_cndmask_b32_e32 v20, v21, v22, vcc
	v_lshlrev_b32_e32 v21, 16, v11
	v_mov_b32_e32 v22, 0x3b800000
	v_lshlrev_b32_e32 v14, 20, v14
	v_and_b32_e32 v21, 0x80000000, v21
	v_lshl_add_u32 v20, v20, 23, v22
	v_or3_b32 v20, v21, v20, v14
.LBB44_1328:
	s_or_b64 exec, exec, s[6:7]
	s_nop 0
	v_mfma_f32_16x16x4f32 a[0:3], v10, v20, a[0:3]
	s_movk_i32 s4, 0xff
	v_and_b32_sdwa v14, v15, s4 dst_sel:DWORD dst_unused:UNUSED_PAD src0_sel:WORD_1 src1_sel:DWORD
	s_movk_i32 s4, 0x7f
	v_cmp_lt_i16_e32 vcc, s4, v14
	s_mov_b64 s[4:5], 0
                                        ; implicit-def: $sgpr10
	s_and_saveexec_b64 s[6:7], vcc
	s_xor_b64 s[6:7], exec, s[6:7]
	s_cbranch_execnz .LBB44_3377
; %bb.1329:
	s_or_saveexec_b64 s[6:7], s[6:7]
	v_mov_b32_e32 v10, s10
	s_xor_b64 exec, exec, s[6:7]
	s_cbranch_execnz .LBB44_3380
.LBB44_1330:
	s_or_b64 exec, exec, s[6:7]
	s_and_saveexec_b64 s[6:7], s[4:5]
	s_cbranch_execz .LBB44_1332
.LBB44_1331:
	v_bfe_u32 v10, v15, 16, 3
	v_ffbh_u32_e32 v21, v10
	v_min_u32_e32 v21, 32, v21
	v_lshrrev_b32_e32 v14, 19, v15
	v_subrev_u32_e32 v22, 28, v21
	v_and_b32_e32 v14, 15, v14
	v_lshlrev_b32_sdwa v22, v22, v15 dst_sel:DWORD dst_unused:UNUSED_PAD src0_sel:DWORD src1_sel:WORD_1
	v_bfe_u32 v20, v15, 19, 4
	v_sub_u32_e32 v21, 29, v21
	v_and_b32_e32 v22, 7, v22
	v_cmp_eq_u16_e32 vcc, 0, v14
	v_cndmask_b32_e32 v10, v10, v22, vcc
	v_cndmask_b32_e32 v14, v20, v21, vcc
	v_lshlrev_b32_e32 v20, 8, v15
	v_mov_b32_e32 v21, 0x3b800000
	v_lshlrev_b32_e32 v10, 20, v10
	v_and_b32_e32 v20, 0x80000000, v20
	v_lshl_add_u32 v14, v14, 23, v21
	v_or3_b32 v10, v20, v14, v10
.LBB44_1332:
	s_or_b64 exec, exec, s[6:7]
	s_movk_i32 s4, 0xff
	v_and_b32_sdwa v14, v11, s4 dst_sel:DWORD dst_unused:UNUSED_PAD src0_sel:WORD_1 src1_sel:DWORD
	s_movk_i32 s4, 0x7f
	v_cmp_lt_i16_e32 vcc, s4, v14
	s_mov_b64 s[4:5], 0
                                        ; implicit-def: $sgpr10
	s_and_saveexec_b64 s[6:7], vcc
	s_xor_b64 s[6:7], exec, s[6:7]
	s_cbranch_execnz .LBB44_3381
; %bb.1333:
	s_or_saveexec_b64 s[6:7], s[6:7]
	v_mov_b32_e32 v20, s10
	s_xor_b64 exec, exec, s[6:7]
	s_cbranch_execnz .LBB44_3384
.LBB44_1334:
	s_or_b64 exec, exec, s[6:7]
	s_and_saveexec_b64 s[6:7], s[4:5]
	s_cbranch_execz .LBB44_1336
.LBB44_1335:
	v_bfe_u32 v14, v11, 16, 3
	v_ffbh_u32_e32 v22, v14
	v_min_u32_e32 v22, 32, v22
	v_lshrrev_b32_e32 v20, 19, v11
	v_subrev_u32_e32 v23, 28, v22
	v_and_b32_e32 v20, 15, v20
	v_lshlrev_b32_sdwa v23, v23, v11 dst_sel:DWORD dst_unused:UNUSED_PAD src0_sel:DWORD src1_sel:WORD_1
	v_bfe_u32 v21, v11, 19, 4
	v_sub_u32_e32 v22, 29, v22
	v_and_b32_e32 v23, 7, v23
	v_cmp_eq_u16_e32 vcc, 0, v20
	v_cndmask_b32_e32 v14, v14, v23, vcc
	v_cndmask_b32_e32 v20, v21, v22, vcc
	v_lshlrev_b32_e32 v21, 8, v11
	v_mov_b32_e32 v22, 0x3b800000
	v_lshlrev_b32_e32 v14, 20, v14
	v_and_b32_e32 v21, 0x80000000, v21
	v_lshl_add_u32 v20, v20, 23, v22
	v_or3_b32 v20, v21, v20, v14
.LBB44_1336:
	s_or_b64 exec, exec, s[6:7]
	s_nop 0
	v_mfma_f32_16x16x4f32 a[0:3], v10, v20, a[0:3]
	s_movk_i32 s4, 0x7f
	v_cmp_gt_i16_sdwa s[6:7], v15, s4 src0_sel:BYTE_3 src1_sel:DWORD
	s_mov_b64 s[4:5], 0
                                        ; implicit-def: $sgpr10
	s_and_saveexec_b64 s[8:9], s[6:7]
	s_xor_b64 s[6:7], exec, s[8:9]
	s_cbranch_execnz .LBB44_3385
; %bb.1337:
	s_or_saveexec_b64 s[6:7], s[6:7]
	v_mov_b32_e32 v10, s10
	s_xor_b64 exec, exec, s[6:7]
	s_cbranch_execnz .LBB44_3388
.LBB44_1338:
	s_or_b64 exec, exec, s[6:7]
	s_and_saveexec_b64 s[6:7], s[4:5]
	s_cbranch_execz .LBB44_1340
.LBB44_1339:
	v_bfe_u32 v10, v15, 24, 3
	v_ffbh_u32_e32 v22, v10
	v_min_u32_e32 v22, 32, v22
	v_lshrrev_b32_e32 v20, 27, v15
	v_subrev_u32_e32 v23, 28, v22
	v_and_b32_e32 v14, 0x80000000, v15
	v_and_b32_e32 v20, 15, v20
	v_bfe_u32 v21, v15, 27, 4
	v_lshlrev_b32_sdwa v15, v23, v15 dst_sel:DWORD dst_unused:UNUSED_PAD src0_sel:DWORD src1_sel:BYTE_3
	v_sub_u32_e32 v22, 29, v22
	v_and_b32_e32 v15, 7, v15
	v_cmp_eq_u16_e32 vcc, 0, v20
	v_cndmask_b32_e32 v10, v10, v15, vcc
	v_cndmask_b32_e32 v15, v21, v22, vcc
	v_mov_b32_e32 v20, 0x3b800000
	v_lshlrev_b32_e32 v10, 20, v10
	v_lshl_add_u32 v15, v15, 23, v20
	v_or3_b32 v10, v14, v15, v10
.LBB44_1340:
	s_or_b64 exec, exec, s[6:7]
	s_movk_i32 s4, 0x7f
	v_cmp_gt_i16_sdwa s[6:7], v11, s4 src0_sel:BYTE_3 src1_sel:DWORD
	s_mov_b64 s[4:5], 0
                                        ; implicit-def: $sgpr10
	s_and_saveexec_b64 s[8:9], s[6:7]
	s_xor_b64 s[6:7], exec, s[8:9]
	s_cbranch_execnz .LBB44_3389
; %bb.1341:
	s_or_saveexec_b64 s[6:7], s[6:7]
	v_mov_b32_e32 v14, s10
	s_xor_b64 exec, exec, s[6:7]
	s_cbranch_execnz .LBB44_3392
.LBB44_1342:
	s_or_b64 exec, exec, s[6:7]
	s_and_saveexec_b64 s[6:7], s[4:5]
	s_cbranch_execz .LBB44_1344
.LBB44_1343:
	v_bfe_u32 v14, v11, 24, 3
	v_ffbh_u32_e32 v22, v14
	v_min_u32_e32 v22, 32, v22
	v_lshrrev_b32_e32 v20, 27, v11
	v_subrev_u32_e32 v23, 28, v22
	v_and_b32_e32 v15, 0x80000000, v11
	v_and_b32_e32 v20, 15, v20
	v_bfe_u32 v21, v11, 27, 4
	v_lshlrev_b32_sdwa v11, v23, v11 dst_sel:DWORD dst_unused:UNUSED_PAD src0_sel:DWORD src1_sel:BYTE_3
	v_sub_u32_e32 v22, 29, v22
	v_and_b32_e32 v11, 7, v11
	v_cmp_eq_u16_e32 vcc, 0, v20
	v_cndmask_b32_e32 v11, v14, v11, vcc
	v_cndmask_b32_e32 v14, v21, v22, vcc
	v_mov_b32_e32 v20, 0x3b800000
	v_lshlrev_b32_e32 v11, 20, v11
	v_lshl_add_u32 v14, v14, 23, v20
	v_or3_b32 v14, v15, v14, v11
.LBB44_1344:
	s_or_b64 exec, exec, s[6:7]
	s_nop 0
	v_mfma_f32_16x16x4f32 a[0:3], v10, v14, a[0:3]
	s_movk_i32 s4, 0x7f
	v_cmp_gt_i16_sdwa s[6:7], v16, s4 src0_sel:BYTE_0 src1_sel:DWORD
	s_mov_b64 s[4:5], 0
                                        ; implicit-def: $sgpr10
	s_and_saveexec_b64 s[8:9], s[6:7]
	s_xor_b64 s[6:7], exec, s[8:9]
	s_cbranch_execnz .LBB44_3393
; %bb.1345:
	s_or_saveexec_b64 s[6:7], s[6:7]
	v_mov_b32_e32 v10, s10
	s_xor_b64 exec, exec, s[6:7]
	s_cbranch_execnz .LBB44_3396
.LBB44_1346:
	s_or_b64 exec, exec, s[6:7]
	s_and_saveexec_b64 s[6:7], s[4:5]
	s_cbranch_execz .LBB44_1348
.LBB44_1347:
	v_and_b32_e32 v10, 7, v16
	v_ffbh_u32_e32 v14, v10
	v_min_u32_e32 v14, 32, v14
	v_lshrrev_b16_e32 v11, 3, v16
	v_subrev_u32_e32 v15, 28, v14
	v_and_b32_e32 v11, 15, v11
	v_lshlrev_b32_e32 v15, v15, v16
	v_sub_u32_e32 v14, 29, v14
	v_and_b32_e32 v15, 7, v15
	v_cmp_eq_u16_e32 vcc, 0, v11
	v_cndmask_b32_e32 v10, v10, v15, vcc
	v_cndmask_b32_e32 v11, v11, v14, vcc
	v_lshlrev_b32_e32 v14, 24, v16
	v_mov_b32_e32 v15, 0x3b800000
	v_lshlrev_b32_e32 v10, 20, v10
	v_and_b32_e32 v14, 0x80000000, v14
	v_lshl_add_u32 v11, v11, 23, v15
	v_or3_b32 v10, v14, v11, v10
.LBB44_1348:
	s_or_b64 exec, exec, s[6:7]
	s_movk_i32 s4, 0x7f
	v_cmp_gt_i16_sdwa s[6:7], v12, s4 src0_sel:BYTE_0 src1_sel:DWORD
	s_mov_b64 s[4:5], 0
                                        ; implicit-def: $sgpr10
	s_and_saveexec_b64 s[8:9], s[6:7]
	s_xor_b64 s[6:7], exec, s[8:9]
	s_cbranch_execnz .LBB44_3397
; %bb.1349:
	s_or_saveexec_b64 s[6:7], s[6:7]
	v_mov_b32_e32 v11, s10
	s_xor_b64 exec, exec, s[6:7]
	s_cbranch_execnz .LBB44_3400
.LBB44_1350:
	s_or_b64 exec, exec, s[6:7]
	s_and_saveexec_b64 s[6:7], s[4:5]
	s_cbranch_execz .LBB44_1352
.LBB44_1351:
	v_and_b32_e32 v11, 7, v12
	v_ffbh_u32_e32 v15, v11
	v_min_u32_e32 v15, 32, v15
	v_lshrrev_b16_e32 v14, 3, v12
	v_subrev_u32_e32 v20, 28, v15
	v_and_b32_e32 v14, 15, v14
	v_lshlrev_b32_e32 v20, v20, v12
	v_sub_u32_e32 v15, 29, v15
	v_and_b32_e32 v20, 7, v20
	v_cmp_eq_u16_e32 vcc, 0, v14
	v_cndmask_b32_e32 v11, v11, v20, vcc
	v_cndmask_b32_e32 v14, v14, v15, vcc
	v_lshlrev_b32_e32 v15, 24, v12
	v_mov_b32_e32 v20, 0x3b800000
	v_lshlrev_b32_e32 v11, 20, v11
	v_and_b32_e32 v15, 0x80000000, v15
	v_lshl_add_u32 v14, v14, 23, v20
	v_or3_b32 v11, v15, v14, v11
.LBB44_1352:
	s_or_b64 exec, exec, s[6:7]
	s_nop 0
	v_mfma_f32_16x16x4f32 a[0:3], v10, v11, a[0:3]
	v_lshrrev_b32_e32 v11, 8, v16
	s_movk_i32 s4, 0x7f
	v_cmp_gt_i16_sdwa s[6:7], v11, s4 src0_sel:BYTE_0 src1_sel:DWORD
	s_mov_b64 s[4:5], 0
                                        ; implicit-def: $sgpr10
	s_and_saveexec_b64 s[8:9], s[6:7]
	s_xor_b64 s[6:7], exec, s[8:9]
	s_cbranch_execnz .LBB44_3401
; %bb.1353:
	s_or_saveexec_b64 s[6:7], s[6:7]
	v_mov_b32_e32 v10, s10
	s_xor_b64 exec, exec, s[6:7]
	s_cbranch_execnz .LBB44_3404
.LBB44_1354:
	s_or_b64 exec, exec, s[6:7]
	s_and_saveexec_b64 s[6:7], s[4:5]
	s_cbranch_execz .LBB44_1356
.LBB44_1355:
	v_bfe_u32 v10, v16, 8, 3
	v_ffbh_u32_e32 v15, v10
	v_min_u32_e32 v15, 32, v15
	v_lshrrev_b16_e32 v14, 3, v11
	v_subrev_u32_e32 v20, 28, v15
	v_and_b32_e32 v14, 15, v14
	v_lshlrev_b32_e32 v11, v20, v11
	v_sub_u32_e32 v15, 29, v15
	v_and_b32_e32 v11, 7, v11
	v_cmp_eq_u16_e32 vcc, 0, v14
	v_cndmask_b32_e32 v10, v10, v11, vcc
	v_cndmask_b32_e32 v11, v14, v15, vcc
	v_lshlrev_b32_e32 v14, 16, v16
	v_mov_b32_e32 v15, 0x3b800000
	v_lshlrev_b32_e32 v10, 20, v10
	v_and_b32_e32 v14, 0x80000000, v14
	v_lshl_add_u32 v11, v11, 23, v15
	v_or3_b32 v10, v14, v11, v10
.LBB44_1356:
	s_or_b64 exec, exec, s[6:7]
	v_lshrrev_b32_e32 v11, 8, v12
	s_movk_i32 s4, 0x7f
	v_cmp_gt_i16_sdwa s[6:7], v11, s4 src0_sel:BYTE_0 src1_sel:DWORD
	s_mov_b64 s[4:5], 0
                                        ; implicit-def: $sgpr10
	s_and_saveexec_b64 s[8:9], s[6:7]
	s_xor_b64 s[6:7], exec, s[8:9]
	s_cbranch_execnz .LBB44_3405
; %bb.1357:
	s_or_saveexec_b64 s[6:7], s[6:7]
	v_mov_b32_e32 v14, s10
	s_xor_b64 exec, exec, s[6:7]
	s_cbranch_execnz .LBB44_3408
.LBB44_1358:
	s_or_b64 exec, exec, s[6:7]
	s_and_saveexec_b64 s[6:7], s[4:5]
	s_cbranch_execz .LBB44_1360
.LBB44_1359:
	v_bfe_u32 v14, v12, 8, 3
	v_ffbh_u32_e32 v20, v14
	v_min_u32_e32 v20, 32, v20
	v_lshrrev_b16_e32 v15, 3, v11
	v_subrev_u32_e32 v21, 28, v20
	v_and_b32_e32 v15, 15, v15
	v_lshlrev_b32_e32 v11, v21, v11
	v_sub_u32_e32 v20, 29, v20
	v_and_b32_e32 v11, 7, v11
	v_cmp_eq_u16_e32 vcc, 0, v15
	v_cndmask_b32_e32 v11, v14, v11, vcc
	v_cndmask_b32_e32 v14, v15, v20, vcc
	v_lshlrev_b32_e32 v15, 16, v12
	v_mov_b32_e32 v20, 0x3b800000
	v_lshlrev_b32_e32 v11, 20, v11
	v_and_b32_e32 v15, 0x80000000, v15
	v_lshl_add_u32 v14, v14, 23, v20
	v_or3_b32 v14, v15, v14, v11
.LBB44_1360:
	s_or_b64 exec, exec, s[6:7]
	s_nop 0
	v_mfma_f32_16x16x4f32 a[0:3], v10, v14, a[0:3]
	s_movk_i32 s4, 0xff
	v_and_b32_sdwa v11, v16, s4 dst_sel:DWORD dst_unused:UNUSED_PAD src0_sel:WORD_1 src1_sel:DWORD
	s_movk_i32 s4, 0x7f
	v_cmp_lt_i16_e32 vcc, s4, v11
	s_mov_b64 s[4:5], 0
                                        ; implicit-def: $sgpr10
	s_and_saveexec_b64 s[6:7], vcc
	s_xor_b64 s[6:7], exec, s[6:7]
	s_cbranch_execnz .LBB44_3409
; %bb.1361:
	s_or_saveexec_b64 s[6:7], s[6:7]
	v_mov_b32_e32 v10, s10
	s_xor_b64 exec, exec, s[6:7]
	s_cbranch_execnz .LBB44_3412
.LBB44_1362:
	s_or_b64 exec, exec, s[6:7]
	s_and_saveexec_b64 s[6:7], s[4:5]
	s_cbranch_execz .LBB44_1364
.LBB44_1363:
	v_bfe_u32 v10, v16, 16, 3
	v_ffbh_u32_e32 v15, v10
	v_min_u32_e32 v15, 32, v15
	v_lshrrev_b32_e32 v11, 19, v16
	v_subrev_u32_e32 v20, 28, v15
	v_and_b32_e32 v11, 15, v11
	v_lshlrev_b32_sdwa v20, v20, v16 dst_sel:DWORD dst_unused:UNUSED_PAD src0_sel:DWORD src1_sel:WORD_1
	v_bfe_u32 v14, v16, 19, 4
	v_sub_u32_e32 v15, 29, v15
	v_and_b32_e32 v20, 7, v20
	v_cmp_eq_u16_e32 vcc, 0, v11
	v_cndmask_b32_e32 v10, v10, v20, vcc
	v_cndmask_b32_e32 v11, v14, v15, vcc
	v_lshlrev_b32_e32 v14, 8, v16
	v_mov_b32_e32 v15, 0x3b800000
	v_lshlrev_b32_e32 v10, 20, v10
	v_and_b32_e32 v14, 0x80000000, v14
	v_lshl_add_u32 v11, v11, 23, v15
	v_or3_b32 v10, v14, v11, v10
.LBB44_1364:
	s_or_b64 exec, exec, s[6:7]
	s_movk_i32 s4, 0xff
	v_and_b32_sdwa v11, v12, s4 dst_sel:DWORD dst_unused:UNUSED_PAD src0_sel:WORD_1 src1_sel:DWORD
	s_movk_i32 s4, 0x7f
	v_cmp_lt_i16_e32 vcc, s4, v11
	s_mov_b64 s[4:5], 0
                                        ; implicit-def: $sgpr10
	s_and_saveexec_b64 s[6:7], vcc
	s_xor_b64 s[6:7], exec, s[6:7]
	s_cbranch_execnz .LBB44_3413
; %bb.1365:
	s_or_saveexec_b64 s[6:7], s[6:7]
	v_mov_b32_e32 v14, s10
	s_xor_b64 exec, exec, s[6:7]
	s_cbranch_execnz .LBB44_3416
.LBB44_1366:
	s_or_b64 exec, exec, s[6:7]
	s_and_saveexec_b64 s[6:7], s[4:5]
	s_cbranch_execz .LBB44_1368
.LBB44_1367:
	v_bfe_u32 v11, v12, 16, 3
	v_ffbh_u32_e32 v20, v11
	v_min_u32_e32 v20, 32, v20
	v_lshrrev_b32_e32 v14, 19, v12
	v_subrev_u32_e32 v21, 28, v20
	v_and_b32_e32 v14, 15, v14
	v_lshlrev_b32_sdwa v21, v21, v12 dst_sel:DWORD dst_unused:UNUSED_PAD src0_sel:DWORD src1_sel:WORD_1
	v_bfe_u32 v15, v12, 19, 4
	v_sub_u32_e32 v20, 29, v20
	v_and_b32_e32 v21, 7, v21
	v_cmp_eq_u16_e32 vcc, 0, v14
	v_cndmask_b32_e32 v11, v11, v21, vcc
	v_cndmask_b32_e32 v14, v15, v20, vcc
	v_lshlrev_b32_e32 v15, 8, v12
	v_mov_b32_e32 v20, 0x3b800000
	v_lshlrev_b32_e32 v11, 20, v11
	v_and_b32_e32 v15, 0x80000000, v15
	v_lshl_add_u32 v14, v14, 23, v20
	v_or3_b32 v14, v15, v14, v11
.LBB44_1368:
	s_or_b64 exec, exec, s[6:7]
	s_nop 0
	v_mfma_f32_16x16x4f32 a[0:3], v10, v14, a[0:3]
	s_movk_i32 s4, 0x7f
	v_cmp_gt_i16_sdwa s[6:7], v16, s4 src0_sel:BYTE_3 src1_sel:DWORD
	s_mov_b64 s[4:5], 0
                                        ; implicit-def: $sgpr10
	s_and_saveexec_b64 s[8:9], s[6:7]
	s_xor_b64 s[6:7], exec, s[8:9]
	s_cbranch_execnz .LBB44_3417
; %bb.1369:
	s_or_saveexec_b64 s[6:7], s[6:7]
	v_mov_b32_e32 v10, s10
	s_xor_b64 exec, exec, s[6:7]
	s_cbranch_execnz .LBB44_3420
.LBB44_1370:
	s_or_b64 exec, exec, s[6:7]
	s_and_saveexec_b64 s[6:7], s[4:5]
	s_cbranch_execz .LBB44_1372
.LBB44_1371:
	v_bfe_u32 v10, v16, 24, 3
	v_ffbh_u32_e32 v20, v10
	v_min_u32_e32 v20, 32, v20
	v_lshrrev_b32_e32 v14, 27, v16
	v_subrev_u32_e32 v21, 28, v20
	v_and_b32_e32 v11, 0x80000000, v16
	v_and_b32_e32 v14, 15, v14
	v_bfe_u32 v15, v16, 27, 4
	v_lshlrev_b32_sdwa v16, v21, v16 dst_sel:DWORD dst_unused:UNUSED_PAD src0_sel:DWORD src1_sel:BYTE_3
	v_sub_u32_e32 v20, 29, v20
	v_and_b32_e32 v16, 7, v16
	v_cmp_eq_u16_e32 vcc, 0, v14
	v_cndmask_b32_e32 v10, v10, v16, vcc
	v_cndmask_b32_e32 v14, v15, v20, vcc
	v_mov_b32_e32 v15, 0x3b800000
	v_lshlrev_b32_e32 v10, 20, v10
	v_lshl_add_u32 v14, v14, 23, v15
	v_or3_b32 v10, v11, v14, v10
.LBB44_1372:
	s_or_b64 exec, exec, s[6:7]
	s_movk_i32 s4, 0x7f
	v_cmp_gt_i16_sdwa s[6:7], v12, s4 src0_sel:BYTE_3 src1_sel:DWORD
	s_mov_b64 s[4:5], 0
                                        ; implicit-def: $sgpr10
	s_and_saveexec_b64 s[8:9], s[6:7]
	s_xor_b64 s[6:7], exec, s[8:9]
	s_cbranch_execnz .LBB44_3421
; %bb.1373:
	s_or_saveexec_b64 s[6:7], s[6:7]
	v_mov_b32_e32 v11, s10
	s_xor_b64 exec, exec, s[6:7]
	s_cbranch_execnz .LBB44_3424
.LBB44_1374:
	s_or_b64 exec, exec, s[6:7]
	s_and_saveexec_b64 s[6:7], s[4:5]
	s_cbranch_execz .LBB44_1376
.LBB44_1375:
	v_bfe_u32 v11, v12, 24, 3
	v_ffbh_u32_e32 v20, v11
	v_min_u32_e32 v20, 32, v20
	v_lshrrev_b32_e32 v15, 27, v12
	v_subrev_u32_e32 v21, 28, v20
	v_and_b32_e32 v14, 0x80000000, v12
	v_and_b32_e32 v15, 15, v15
	v_bfe_u32 v16, v12, 27, 4
	v_lshlrev_b32_sdwa v12, v21, v12 dst_sel:DWORD dst_unused:UNUSED_PAD src0_sel:DWORD src1_sel:BYTE_3
	v_sub_u32_e32 v20, 29, v20
	v_and_b32_e32 v12, 7, v12
	v_cmp_eq_u16_e32 vcc, 0, v15
	v_cndmask_b32_e32 v11, v11, v12, vcc
	v_cndmask_b32_e32 v12, v16, v20, vcc
	v_mov_b32_e32 v15, 0x3b800000
	v_lshlrev_b32_e32 v11, 20, v11
	v_lshl_add_u32 v12, v12, 23, v15
	v_or3_b32 v11, v14, v12, v11
.LBB44_1376:
	s_or_b64 exec, exec, s[6:7]
	s_nop 0
	v_mfma_f32_16x16x4f32 a[0:3], v10, v11, a[0:3]
	s_movk_i32 s4, 0x7f
	v_cmp_gt_i16_sdwa s[6:7], v17, s4 src0_sel:BYTE_0 src1_sel:DWORD
	s_mov_b64 s[4:5], 0
                                        ; implicit-def: $sgpr10
	s_and_saveexec_b64 s[8:9], s[6:7]
	s_xor_b64 s[6:7], exec, s[8:9]
	s_cbranch_execnz .LBB44_3425
; %bb.1377:
	s_or_saveexec_b64 s[6:7], s[6:7]
	v_mov_b32_e32 v10, s10
	s_xor_b64 exec, exec, s[6:7]
	s_cbranch_execnz .LBB44_3428
.LBB44_1378:
	s_or_b64 exec, exec, s[6:7]
	s_and_saveexec_b64 s[6:7], s[4:5]
	s_cbranch_execz .LBB44_1380
.LBB44_1379:
	v_and_b32_e32 v10, 7, v17
	v_ffbh_u32_e32 v12, v10
	v_min_u32_e32 v12, 32, v12
	v_lshrrev_b16_e32 v11, 3, v17
	v_subrev_u32_e32 v14, 28, v12
	v_and_b32_e32 v11, 15, v11
	v_lshlrev_b32_e32 v14, v14, v17
	v_sub_u32_e32 v12, 29, v12
	v_and_b32_e32 v14, 7, v14
	v_cmp_eq_u16_e32 vcc, 0, v11
	v_cndmask_b32_e32 v10, v10, v14, vcc
	v_cndmask_b32_e32 v11, v11, v12, vcc
	v_lshlrev_b32_e32 v12, 24, v17
	v_mov_b32_e32 v14, 0x3b800000
	v_lshlrev_b32_e32 v10, 20, v10
	v_and_b32_e32 v12, 0x80000000, v12
	v_lshl_add_u32 v11, v11, 23, v14
	v_or3_b32 v10, v12, v11, v10
.LBB44_1380:
	s_or_b64 exec, exec, s[6:7]
	s_movk_i32 s4, 0x7f
	v_cmp_gt_i16_sdwa s[6:7], v13, s4 src0_sel:BYTE_0 src1_sel:DWORD
	s_mov_b64 s[4:5], 0
                                        ; implicit-def: $sgpr10
	s_and_saveexec_b64 s[8:9], s[6:7]
	s_xor_b64 s[6:7], exec, s[8:9]
	s_cbranch_execnz .LBB44_3429
; %bb.1381:
	s_or_saveexec_b64 s[6:7], s[6:7]
	v_mov_b32_e32 v11, s10
	s_xor_b64 exec, exec, s[6:7]
	s_cbranch_execnz .LBB44_3432
.LBB44_1382:
	s_or_b64 exec, exec, s[6:7]
	s_and_saveexec_b64 s[6:7], s[4:5]
	s_cbranch_execz .LBB44_1384
.LBB44_1383:
	v_and_b32_e32 v11, 7, v13
	v_ffbh_u32_e32 v14, v11
	v_min_u32_e32 v14, 32, v14
	v_lshrrev_b16_e32 v12, 3, v13
	v_subrev_u32_e32 v15, 28, v14
	v_and_b32_e32 v12, 15, v12
	v_lshlrev_b32_e32 v15, v15, v13
	v_sub_u32_e32 v14, 29, v14
	v_and_b32_e32 v15, 7, v15
	v_cmp_eq_u16_e32 vcc, 0, v12
	v_cndmask_b32_e32 v11, v11, v15, vcc
	v_cndmask_b32_e32 v12, v12, v14, vcc
	v_lshlrev_b32_e32 v14, 24, v13
	v_mov_b32_e32 v15, 0x3b800000
	v_lshlrev_b32_e32 v11, 20, v11
	v_and_b32_e32 v14, 0x80000000, v14
	v_lshl_add_u32 v12, v12, 23, v15
	v_or3_b32 v11, v14, v12, v11
.LBB44_1384:
	s_or_b64 exec, exec, s[6:7]
	s_nop 0
	v_mfma_f32_16x16x4f32 a[0:3], v10, v11, a[0:3]
	v_lshrrev_b32_e32 v11, 8, v17
	s_movk_i32 s4, 0x7f
	v_cmp_gt_i16_sdwa s[6:7], v11, s4 src0_sel:BYTE_0 src1_sel:DWORD
	s_mov_b64 s[4:5], 0
                                        ; implicit-def: $sgpr10
	s_and_saveexec_b64 s[8:9], s[6:7]
	s_xor_b64 s[6:7], exec, s[8:9]
	s_cbranch_execnz .LBB44_3433
; %bb.1385:
	s_or_saveexec_b64 s[6:7], s[6:7]
	v_mov_b32_e32 v10, s10
	s_xor_b64 exec, exec, s[6:7]
	s_cbranch_execnz .LBB44_3436
.LBB44_1386:
	s_or_b64 exec, exec, s[6:7]
	s_and_saveexec_b64 s[6:7], s[4:5]
	s_cbranch_execz .LBB44_1388
.LBB44_1387:
	v_bfe_u32 v10, v17, 8, 3
	v_ffbh_u32_e32 v14, v10
	v_min_u32_e32 v14, 32, v14
	v_lshrrev_b16_e32 v12, 3, v11
	v_subrev_u32_e32 v15, 28, v14
	v_and_b32_e32 v12, 15, v12
	v_lshlrev_b32_e32 v11, v15, v11
	v_sub_u32_e32 v14, 29, v14
	v_and_b32_e32 v11, 7, v11
	v_cmp_eq_u16_e32 vcc, 0, v12
	v_cndmask_b32_e32 v10, v10, v11, vcc
	v_cndmask_b32_e32 v11, v12, v14, vcc
	v_lshlrev_b32_e32 v12, 16, v17
	v_mov_b32_e32 v14, 0x3b800000
	v_lshlrev_b32_e32 v10, 20, v10
	v_and_b32_e32 v12, 0x80000000, v12
	v_lshl_add_u32 v11, v11, 23, v14
	v_or3_b32 v10, v12, v11, v10
.LBB44_1388:
	s_or_b64 exec, exec, s[6:7]
	v_lshrrev_b32_e32 v11, 8, v13
	s_movk_i32 s4, 0x7f
	v_cmp_gt_i16_sdwa s[6:7], v11, s4 src0_sel:BYTE_0 src1_sel:DWORD
	s_mov_b64 s[4:5], 0
                                        ; implicit-def: $sgpr10
	s_and_saveexec_b64 s[8:9], s[6:7]
	s_xor_b64 s[6:7], exec, s[8:9]
	s_cbranch_execnz .LBB44_3437
; %bb.1389:
	s_or_saveexec_b64 s[6:7], s[6:7]
	v_mov_b32_e32 v12, s10
	s_xor_b64 exec, exec, s[6:7]
	s_cbranch_execnz .LBB44_3440
.LBB44_1390:
	s_or_b64 exec, exec, s[6:7]
	s_and_saveexec_b64 s[6:7], s[4:5]
	s_cbranch_execz .LBB44_1392
.LBB44_1391:
	v_bfe_u32 v12, v13, 8, 3
	v_ffbh_u32_e32 v15, v12
	v_min_u32_e32 v15, 32, v15
	v_lshrrev_b16_e32 v14, 3, v11
	v_subrev_u32_e32 v16, 28, v15
	v_and_b32_e32 v14, 15, v14
	v_lshlrev_b32_e32 v11, v16, v11
	v_sub_u32_e32 v15, 29, v15
	v_and_b32_e32 v11, 7, v11
	v_cmp_eq_u16_e32 vcc, 0, v14
	v_cndmask_b32_e32 v11, v12, v11, vcc
	v_cndmask_b32_e32 v12, v14, v15, vcc
	v_lshlrev_b32_e32 v14, 16, v13
	v_mov_b32_e32 v15, 0x3b800000
	v_lshlrev_b32_e32 v11, 20, v11
	v_and_b32_e32 v14, 0x80000000, v14
	v_lshl_add_u32 v12, v12, 23, v15
	v_or3_b32 v12, v14, v12, v11
.LBB44_1392:
	s_or_b64 exec, exec, s[6:7]
	s_nop 0
	v_mfma_f32_16x16x4f32 a[0:3], v10, v12, a[0:3]
	s_movk_i32 s4, 0xff
	v_and_b32_sdwa v11, v17, s4 dst_sel:DWORD dst_unused:UNUSED_PAD src0_sel:WORD_1 src1_sel:DWORD
	s_movk_i32 s4, 0x7f
	v_cmp_lt_i16_e32 vcc, s4, v11
	s_mov_b64 s[4:5], 0
                                        ; implicit-def: $sgpr10
	s_and_saveexec_b64 s[6:7], vcc
	s_xor_b64 s[6:7], exec, s[6:7]
	s_cbranch_execnz .LBB44_3441
; %bb.1393:
	s_or_saveexec_b64 s[6:7], s[6:7]
	v_mov_b32_e32 v10, s10
	s_xor_b64 exec, exec, s[6:7]
	s_cbranch_execnz .LBB44_3444
.LBB44_1394:
	s_or_b64 exec, exec, s[6:7]
	s_and_saveexec_b64 s[6:7], s[4:5]
	s_cbranch_execz .LBB44_1396
.LBB44_1395:
	v_bfe_u32 v10, v17, 16, 3
	v_ffbh_u32_e32 v14, v10
	v_min_u32_e32 v14, 32, v14
	v_lshrrev_b32_e32 v11, 19, v17
	v_subrev_u32_e32 v15, 28, v14
	v_and_b32_e32 v11, 15, v11
	v_lshlrev_b32_sdwa v15, v15, v17 dst_sel:DWORD dst_unused:UNUSED_PAD src0_sel:DWORD src1_sel:WORD_1
	v_bfe_u32 v12, v17, 19, 4
	v_sub_u32_e32 v14, 29, v14
	v_and_b32_e32 v15, 7, v15
	v_cmp_eq_u16_e32 vcc, 0, v11
	v_cndmask_b32_e32 v10, v10, v15, vcc
	v_cndmask_b32_e32 v11, v12, v14, vcc
	v_lshlrev_b32_e32 v12, 8, v17
	v_mov_b32_e32 v14, 0x3b800000
	v_lshlrev_b32_e32 v10, 20, v10
	v_and_b32_e32 v12, 0x80000000, v12
	v_lshl_add_u32 v11, v11, 23, v14
	v_or3_b32 v10, v12, v11, v10
.LBB44_1396:
	s_or_b64 exec, exec, s[6:7]
	s_movk_i32 s4, 0xff
	v_and_b32_sdwa v11, v13, s4 dst_sel:DWORD dst_unused:UNUSED_PAD src0_sel:WORD_1 src1_sel:DWORD
	s_movk_i32 s4, 0x7f
	v_cmp_lt_i16_e32 vcc, s4, v11
	s_mov_b64 s[4:5], 0
                                        ; implicit-def: $sgpr10
	s_and_saveexec_b64 s[6:7], vcc
	s_xor_b64 s[6:7], exec, s[6:7]
	s_cbranch_execnz .LBB44_3445
; %bb.1397:
	s_or_saveexec_b64 s[6:7], s[6:7]
	v_mov_b32_e32 v12, s10
	s_xor_b64 exec, exec, s[6:7]
	s_cbranch_execnz .LBB44_3448
.LBB44_1398:
	s_or_b64 exec, exec, s[6:7]
	s_and_saveexec_b64 s[6:7], s[4:5]
	s_cbranch_execz .LBB44_1400
.LBB44_1399:
	v_bfe_u32 v11, v13, 16, 3
	v_ffbh_u32_e32 v15, v11
	v_min_u32_e32 v15, 32, v15
	v_lshrrev_b32_e32 v12, 19, v13
	v_subrev_u32_e32 v16, 28, v15
	v_and_b32_e32 v12, 15, v12
	v_lshlrev_b32_sdwa v16, v16, v13 dst_sel:DWORD dst_unused:UNUSED_PAD src0_sel:DWORD src1_sel:WORD_1
	v_bfe_u32 v14, v13, 19, 4
	v_sub_u32_e32 v15, 29, v15
	v_and_b32_e32 v16, 7, v16
	v_cmp_eq_u16_e32 vcc, 0, v12
	v_cndmask_b32_e32 v11, v11, v16, vcc
	v_cndmask_b32_e32 v12, v14, v15, vcc
	v_lshlrev_b32_e32 v14, 8, v13
	v_mov_b32_e32 v15, 0x3b800000
	v_lshlrev_b32_e32 v11, 20, v11
	v_and_b32_e32 v14, 0x80000000, v14
	v_lshl_add_u32 v12, v12, 23, v15
	v_or3_b32 v12, v14, v12, v11
.LBB44_1400:
	s_or_b64 exec, exec, s[6:7]
	s_nop 0
	v_mfma_f32_16x16x4f32 a[0:3], v10, v12, a[0:3]
	s_movk_i32 s4, 0x7f
	v_cmp_gt_i16_sdwa s[6:7], v17, s4 src0_sel:BYTE_3 src1_sel:DWORD
	s_mov_b64 s[4:5], 0
                                        ; implicit-def: $sgpr10
	s_and_saveexec_b64 s[8:9], s[6:7]
	s_xor_b64 s[6:7], exec, s[8:9]
	s_cbranch_execnz .LBB44_3449
; %bb.1401:
	s_or_saveexec_b64 s[6:7], s[6:7]
	v_mov_b32_e32 v10, s10
	s_xor_b64 exec, exec, s[6:7]
	s_cbranch_execnz .LBB44_3452
.LBB44_1402:
	s_or_b64 exec, exec, s[6:7]
	s_and_saveexec_b64 s[6:7], s[4:5]
	s_cbranch_execz .LBB44_1404
.LBB44_1403:
	v_bfe_u32 v10, v17, 24, 3
	v_ffbh_u32_e32 v15, v10
	v_min_u32_e32 v15, 32, v15
	v_lshrrev_b32_e32 v12, 27, v17
	v_subrev_u32_e32 v16, 28, v15
	v_and_b32_e32 v12, 15, v12
	v_lshlrev_b32_sdwa v16, v16, v17 dst_sel:DWORD dst_unused:UNUSED_PAD src0_sel:DWORD src1_sel:BYTE_3
	v_bfe_u32 v14, v17, 27, 4
	v_sub_u32_e32 v15, 29, v15
	v_and_b32_e32 v16, 7, v16
	v_cmp_eq_u16_e32 vcc, 0, v12
	v_cndmask_b32_e32 v10, v10, v16, vcc
	v_cndmask_b32_e32 v12, v14, v15, vcc
	v_mov_b32_e32 v14, 0x3b800000
	v_and_b32_e32 v11, 0x80000000, v17
	v_lshlrev_b32_e32 v10, 20, v10
	v_lshl_add_u32 v12, v12, 23, v14
	v_or3_b32 v10, v11, v12, v10
.LBB44_1404:
	s_or_b64 exec, exec, s[6:7]
	s_movk_i32 s4, 0x7f
	v_cmp_gt_i16_sdwa s[6:7], v13, s4 src0_sel:BYTE_3 src1_sel:DWORD
	s_mov_b64 s[4:5], 0
                                        ; implicit-def: $sgpr10
	s_and_saveexec_b64 s[8:9], s[6:7]
	s_xor_b64 s[6:7], exec, s[8:9]
	s_cbranch_execnz .LBB44_3453
; %bb.1405:
	s_or_saveexec_b64 s[6:7], s[6:7]
	v_mov_b32_e32 v11, s10
	s_xor_b64 exec, exec, s[6:7]
	s_cbranch_execnz .LBB44_3456
.LBB44_1406:
	s_or_b64 exec, exec, s[6:7]
	s_and_saveexec_b64 s[6:7], s[4:5]
	s_cbranch_execz .LBB44_1408
.LBB44_1407:
	v_bfe_u32 v11, v13, 24, 3
	v_ffbh_u32_e32 v16, v11
	v_min_u32_e32 v16, 32, v16
	v_lshrrev_b32_e32 v14, 27, v13
	v_subrev_u32_e32 v17, 28, v16
	v_and_b32_e32 v12, 0x80000000, v13
	v_and_b32_e32 v14, 15, v14
	v_bfe_u32 v15, v13, 27, 4
	v_lshlrev_b32_sdwa v13, v17, v13 dst_sel:DWORD dst_unused:UNUSED_PAD src0_sel:DWORD src1_sel:BYTE_3
	v_sub_u32_e32 v16, 29, v16
	v_and_b32_e32 v13, 7, v13
	v_cmp_eq_u16_e32 vcc, 0, v14
	v_cndmask_b32_e32 v11, v11, v13, vcc
	v_cndmask_b32_e32 v13, v15, v16, vcc
	v_mov_b32_e32 v14, 0x3b800000
	v_lshlrev_b32_e32 v11, 20, v11
	v_lshl_add_u32 v13, v13, 23, v14
	v_or3_b32 v11, v12, v13, v11
.LBB44_1408:
	s_or_b64 exec, exec, s[6:7]
	s_nop 0
	v_mfma_f32_16x16x4f32 a[0:3], v10, v11, a[0:3]
	s_movk_i32 s4, 0x7f
	v_cmp_gt_i16_sdwa s[6:7], v6, s4 src0_sel:BYTE_0 src1_sel:DWORD
	s_mov_b64 s[4:5], 0
                                        ; implicit-def: $sgpr10
	s_and_saveexec_b64 s[8:9], s[6:7]
	s_xor_b64 s[6:7], exec, s[8:9]
	s_cbranch_execnz .LBB44_3457
; %bb.1409:
	s_or_saveexec_b64 s[6:7], s[6:7]
	v_mov_b32_e32 v10, s10
	s_xor_b64 exec, exec, s[6:7]
	s_cbranch_execnz .LBB44_3460
.LBB44_1410:
	s_or_b64 exec, exec, s[6:7]
	s_and_saveexec_b64 s[6:7], s[4:5]
	s_cbranch_execz .LBB44_1412
.LBB44_1411:
	v_and_b32_e32 v10, 7, v6
	v_ffbh_u32_e32 v12, v10
	v_min_u32_e32 v12, 32, v12
	v_lshrrev_b16_e32 v11, 3, v6
	v_subrev_u32_e32 v13, 28, v12
	v_and_b32_e32 v11, 15, v11
	v_lshlrev_b32_e32 v13, v13, v6
	v_sub_u32_e32 v12, 29, v12
	v_and_b32_e32 v13, 7, v13
	v_cmp_eq_u16_e32 vcc, 0, v11
	v_cndmask_b32_e32 v10, v10, v13, vcc
	v_cndmask_b32_e32 v11, v11, v12, vcc
	v_lshlrev_b32_e32 v12, 24, v6
	v_mov_b32_e32 v13, 0x3b800000
	v_lshlrev_b32_e32 v10, 20, v10
	v_and_b32_e32 v12, 0x80000000, v12
	v_lshl_add_u32 v11, v11, 23, v13
	v_or3_b32 v10, v12, v11, v10
.LBB44_1412:
	s_or_b64 exec, exec, s[6:7]
	s_movk_i32 s4, 0x7f
	v_cmp_gt_i16_sdwa s[6:7], v2, s4 src0_sel:BYTE_0 src1_sel:DWORD
	s_mov_b64 s[4:5], 0
                                        ; implicit-def: $sgpr10
	s_and_saveexec_b64 s[8:9], s[6:7]
	s_xor_b64 s[6:7], exec, s[8:9]
	s_cbranch_execnz .LBB44_3461
; %bb.1413:
	s_or_saveexec_b64 s[6:7], s[6:7]
	v_mov_b32_e32 v11, s10
	s_xor_b64 exec, exec, s[6:7]
	s_cbranch_execnz .LBB44_3464
.LBB44_1414:
	s_or_b64 exec, exec, s[6:7]
	s_and_saveexec_b64 s[6:7], s[4:5]
	s_cbranch_execz .LBB44_1416
.LBB44_1415:
	v_and_b32_e32 v11, 7, v2
	v_ffbh_u32_e32 v13, v11
	v_min_u32_e32 v13, 32, v13
	v_lshrrev_b16_e32 v12, 3, v2
	v_subrev_u32_e32 v14, 28, v13
	v_and_b32_e32 v12, 15, v12
	v_lshlrev_b32_e32 v14, v14, v2
	v_sub_u32_e32 v13, 29, v13
	v_and_b32_e32 v14, 7, v14
	v_cmp_eq_u16_e32 vcc, 0, v12
	v_cndmask_b32_e32 v11, v11, v14, vcc
	v_cndmask_b32_e32 v12, v12, v13, vcc
	v_lshlrev_b32_e32 v13, 24, v2
	v_mov_b32_e32 v14, 0x3b800000
	v_lshlrev_b32_e32 v11, 20, v11
	v_and_b32_e32 v13, 0x80000000, v13
	v_lshl_add_u32 v12, v12, 23, v14
	v_or3_b32 v11, v13, v12, v11
.LBB44_1416:
	s_or_b64 exec, exec, s[6:7]
	s_nop 0
	v_mfma_f32_16x16x4f32 a[0:3], v10, v11, a[0:3]
	v_lshrrev_b32_e32 v11, 8, v6
	s_movk_i32 s4, 0x7f
	v_cmp_gt_i16_sdwa s[6:7], v11, s4 src0_sel:BYTE_0 src1_sel:DWORD
	s_mov_b64 s[4:5], 0
                                        ; implicit-def: $sgpr10
	s_and_saveexec_b64 s[8:9], s[6:7]
	s_xor_b64 s[6:7], exec, s[8:9]
	s_cbranch_execnz .LBB44_3465
; %bb.1417:
	s_or_saveexec_b64 s[6:7], s[6:7]
	v_mov_b32_e32 v10, s10
	s_xor_b64 exec, exec, s[6:7]
	s_cbranch_execnz .LBB44_3468
.LBB44_1418:
	s_or_b64 exec, exec, s[6:7]
	s_and_saveexec_b64 s[6:7], s[4:5]
	s_cbranch_execz .LBB44_1420
.LBB44_1419:
	v_bfe_u32 v10, v6, 8, 3
	v_ffbh_u32_e32 v13, v10
	v_min_u32_e32 v13, 32, v13
	v_lshrrev_b16_e32 v12, 3, v11
	v_subrev_u32_e32 v14, 28, v13
	v_and_b32_e32 v12, 15, v12
	v_lshlrev_b32_e32 v11, v14, v11
	v_sub_u32_e32 v13, 29, v13
	v_and_b32_e32 v11, 7, v11
	v_cmp_eq_u16_e32 vcc, 0, v12
	v_cndmask_b32_e32 v10, v10, v11, vcc
	v_cndmask_b32_e32 v11, v12, v13, vcc
	v_lshlrev_b32_e32 v12, 16, v6
	v_mov_b32_e32 v13, 0x3b800000
	v_lshlrev_b32_e32 v10, 20, v10
	v_and_b32_e32 v12, 0x80000000, v12
	v_lshl_add_u32 v11, v11, 23, v13
	v_or3_b32 v10, v12, v11, v10
.LBB44_1420:
	s_or_b64 exec, exec, s[6:7]
	v_lshrrev_b32_e32 v11, 8, v2
	s_movk_i32 s4, 0x7f
	v_cmp_gt_i16_sdwa s[6:7], v11, s4 src0_sel:BYTE_0 src1_sel:DWORD
	s_mov_b64 s[4:5], 0
                                        ; implicit-def: $sgpr10
	s_and_saveexec_b64 s[8:9], s[6:7]
	s_xor_b64 s[6:7], exec, s[8:9]
	s_cbranch_execnz .LBB44_3469
; %bb.1421:
	s_or_saveexec_b64 s[6:7], s[6:7]
	v_mov_b32_e32 v12, s10
	s_xor_b64 exec, exec, s[6:7]
	s_cbranch_execnz .LBB44_3472
.LBB44_1422:
	s_or_b64 exec, exec, s[6:7]
	s_and_saveexec_b64 s[6:7], s[4:5]
	s_cbranch_execz .LBB44_1424
.LBB44_1423:
	v_bfe_u32 v12, v2, 8, 3
	v_ffbh_u32_e32 v14, v12
	v_min_u32_e32 v14, 32, v14
	v_lshrrev_b16_e32 v13, 3, v11
	v_subrev_u32_e32 v15, 28, v14
	v_and_b32_e32 v13, 15, v13
	v_lshlrev_b32_e32 v11, v15, v11
	v_sub_u32_e32 v14, 29, v14
	v_and_b32_e32 v11, 7, v11
	v_cmp_eq_u16_e32 vcc, 0, v13
	v_cndmask_b32_e32 v11, v12, v11, vcc
	v_cndmask_b32_e32 v12, v13, v14, vcc
	v_lshlrev_b32_e32 v13, 16, v2
	v_mov_b32_e32 v14, 0x3b800000
	v_lshlrev_b32_e32 v11, 20, v11
	v_and_b32_e32 v13, 0x80000000, v13
	v_lshl_add_u32 v12, v12, 23, v14
	v_or3_b32 v12, v13, v12, v11
.LBB44_1424:
	s_or_b64 exec, exec, s[6:7]
	s_nop 0
	v_mfma_f32_16x16x4f32 a[0:3], v10, v12, a[0:3]
	s_movk_i32 s4, 0xff
	v_and_b32_sdwa v11, v6, s4 dst_sel:DWORD dst_unused:UNUSED_PAD src0_sel:WORD_1 src1_sel:DWORD
	s_movk_i32 s4, 0x7f
	v_cmp_lt_i16_e32 vcc, s4, v11
	s_mov_b64 s[4:5], 0
                                        ; implicit-def: $sgpr10
	s_and_saveexec_b64 s[6:7], vcc
	s_xor_b64 s[6:7], exec, s[6:7]
	s_cbranch_execnz .LBB44_3473
; %bb.1425:
	s_or_saveexec_b64 s[6:7], s[6:7]
	v_mov_b32_e32 v10, s10
	s_xor_b64 exec, exec, s[6:7]
	s_cbranch_execnz .LBB44_3476
.LBB44_1426:
	s_or_b64 exec, exec, s[6:7]
	s_and_saveexec_b64 s[6:7], s[4:5]
	s_cbranch_execz .LBB44_1428
.LBB44_1427:
	v_bfe_u32 v10, v6, 16, 3
	v_ffbh_u32_e32 v13, v10
	v_min_u32_e32 v13, 32, v13
	v_lshrrev_b32_e32 v11, 19, v6
	v_subrev_u32_e32 v14, 28, v13
	v_and_b32_e32 v11, 15, v11
	v_lshlrev_b32_sdwa v14, v14, v6 dst_sel:DWORD dst_unused:UNUSED_PAD src0_sel:DWORD src1_sel:WORD_1
	v_bfe_u32 v12, v6, 19, 4
	v_sub_u32_e32 v13, 29, v13
	v_and_b32_e32 v14, 7, v14
	v_cmp_eq_u16_e32 vcc, 0, v11
	v_cndmask_b32_e32 v10, v10, v14, vcc
	v_cndmask_b32_e32 v11, v12, v13, vcc
	v_lshlrev_b32_e32 v12, 8, v6
	v_mov_b32_e32 v13, 0x3b800000
	v_lshlrev_b32_e32 v10, 20, v10
	v_and_b32_e32 v12, 0x80000000, v12
	v_lshl_add_u32 v11, v11, 23, v13
	v_or3_b32 v10, v12, v11, v10
.LBB44_1428:
	s_or_b64 exec, exec, s[6:7]
	s_movk_i32 s4, 0xff
	v_and_b32_sdwa v11, v2, s4 dst_sel:DWORD dst_unused:UNUSED_PAD src0_sel:WORD_1 src1_sel:DWORD
	s_movk_i32 s4, 0x7f
	v_cmp_lt_i16_e32 vcc, s4, v11
	s_mov_b64 s[4:5], 0
                                        ; implicit-def: $sgpr10
	s_and_saveexec_b64 s[6:7], vcc
	s_xor_b64 s[6:7], exec, s[6:7]
	s_cbranch_execnz .LBB44_3477
; %bb.1429:
	s_or_saveexec_b64 s[6:7], s[6:7]
	v_mov_b32_e32 v12, s10
	s_xor_b64 exec, exec, s[6:7]
	s_cbranch_execnz .LBB44_3480
.LBB44_1430:
	s_or_b64 exec, exec, s[6:7]
	s_and_saveexec_b64 s[6:7], s[4:5]
	s_cbranch_execz .LBB44_1432
.LBB44_1431:
	v_bfe_u32 v11, v2, 16, 3
	v_ffbh_u32_e32 v14, v11
	v_min_u32_e32 v14, 32, v14
	v_lshrrev_b32_e32 v12, 19, v2
	v_subrev_u32_e32 v15, 28, v14
	v_and_b32_e32 v12, 15, v12
	v_lshlrev_b32_sdwa v15, v15, v2 dst_sel:DWORD dst_unused:UNUSED_PAD src0_sel:DWORD src1_sel:WORD_1
	v_bfe_u32 v13, v2, 19, 4
	v_sub_u32_e32 v14, 29, v14
	v_and_b32_e32 v15, 7, v15
	v_cmp_eq_u16_e32 vcc, 0, v12
	v_cndmask_b32_e32 v11, v11, v15, vcc
	v_cndmask_b32_e32 v12, v13, v14, vcc
	v_lshlrev_b32_e32 v13, 8, v2
	v_mov_b32_e32 v14, 0x3b800000
	v_lshlrev_b32_e32 v11, 20, v11
	v_and_b32_e32 v13, 0x80000000, v13
	v_lshl_add_u32 v12, v12, 23, v14
	v_or3_b32 v12, v13, v12, v11
.LBB44_1432:
	s_or_b64 exec, exec, s[6:7]
	s_nop 0
	v_mfma_f32_16x16x4f32 a[0:3], v10, v12, a[0:3]
	s_movk_i32 s4, 0x7f
	v_cmp_gt_i16_sdwa s[6:7], v6, s4 src0_sel:BYTE_3 src1_sel:DWORD
	s_mov_b64 s[4:5], 0
                                        ; implicit-def: $sgpr10
	s_and_saveexec_b64 s[8:9], s[6:7]
	s_xor_b64 s[6:7], exec, s[8:9]
	s_cbranch_execnz .LBB44_3481
; %bb.1433:
	s_or_saveexec_b64 s[6:7], s[6:7]
	v_mov_b32_e32 v10, s10
	s_xor_b64 exec, exec, s[6:7]
	s_cbranch_execnz .LBB44_3484
.LBB44_1434:
	s_or_b64 exec, exec, s[6:7]
	s_and_saveexec_b64 s[6:7], s[4:5]
	s_cbranch_execz .LBB44_1436
.LBB44_1435:
	v_bfe_u32 v10, v6, 24, 3
	v_ffbh_u32_e32 v14, v10
	v_min_u32_e32 v14, 32, v14
	v_lshrrev_b32_e32 v12, 27, v6
	v_subrev_u32_e32 v15, 28, v14
	v_and_b32_e32 v11, 0x80000000, v6
	v_and_b32_e32 v12, 15, v12
	v_bfe_u32 v13, v6, 27, 4
	v_lshlrev_b32_sdwa v6, v15, v6 dst_sel:DWORD dst_unused:UNUSED_PAD src0_sel:DWORD src1_sel:BYTE_3
	v_sub_u32_e32 v14, 29, v14
	v_and_b32_e32 v6, 7, v6
	v_cmp_eq_u16_e32 vcc, 0, v12
	v_cndmask_b32_e32 v6, v10, v6, vcc
	v_cndmask_b32_e32 v10, v13, v14, vcc
	v_mov_b32_e32 v12, 0x3b800000
	v_lshlrev_b32_e32 v6, 20, v6
	v_lshl_add_u32 v10, v10, 23, v12
	v_or3_b32 v10, v11, v10, v6
.LBB44_1436:
	s_or_b64 exec, exec, s[6:7]
	s_movk_i32 s4, 0x7f
	v_cmp_gt_i16_sdwa s[6:7], v2, s4 src0_sel:BYTE_3 src1_sel:DWORD
	s_mov_b64 s[4:5], 0
                                        ; implicit-def: $sgpr10
	s_and_saveexec_b64 s[8:9], s[6:7]
	s_xor_b64 s[6:7], exec, s[8:9]
	s_cbranch_execnz .LBB44_3485
; %bb.1437:
	s_or_saveexec_b64 s[6:7], s[6:7]
	v_mov_b32_e32 v6, s10
	s_xor_b64 exec, exec, s[6:7]
	s_cbranch_execnz .LBB44_3488
.LBB44_1438:
	s_or_b64 exec, exec, s[6:7]
	s_and_saveexec_b64 s[6:7], s[4:5]
	s_cbranch_execz .LBB44_1440
.LBB44_1439:
	v_bfe_u32 v6, v2, 24, 3
	v_ffbh_u32_e32 v14, v6
	v_min_u32_e32 v14, 32, v14
	v_lshrrev_b32_e32 v12, 27, v2
	v_subrev_u32_e32 v15, 28, v14
	v_and_b32_e32 v11, 0x80000000, v2
	v_and_b32_e32 v12, 15, v12
	v_bfe_u32 v13, v2, 27, 4
	v_lshlrev_b32_sdwa v2, v15, v2 dst_sel:DWORD dst_unused:UNUSED_PAD src0_sel:DWORD src1_sel:BYTE_3
	v_sub_u32_e32 v14, 29, v14
	v_and_b32_e32 v2, 7, v2
	v_cmp_eq_u16_e32 vcc, 0, v12
	v_cndmask_b32_e32 v2, v6, v2, vcc
	v_cndmask_b32_e32 v6, v13, v14, vcc
	v_mov_b32_e32 v12, 0x3b800000
	v_lshlrev_b32_e32 v2, 20, v2
	v_lshl_add_u32 v6, v6, 23, v12
	v_or3_b32 v6, v11, v6, v2
.LBB44_1440:
	s_or_b64 exec, exec, s[6:7]
	s_nop 0
	v_mfma_f32_16x16x4f32 a[0:3], v10, v6, a[0:3]
	s_movk_i32 s4, 0x7f
	v_cmp_gt_i16_sdwa s[6:7], v7, s4 src0_sel:BYTE_0 src1_sel:DWORD
	s_mov_b64 s[4:5], 0
                                        ; implicit-def: $sgpr10
	s_and_saveexec_b64 s[8:9], s[6:7]
	s_xor_b64 s[6:7], exec, s[8:9]
	s_cbranch_execnz .LBB44_3489
; %bb.1441:
	s_or_saveexec_b64 s[6:7], s[6:7]
	v_mov_b32_e32 v2, s10
	s_xor_b64 exec, exec, s[6:7]
	s_cbranch_execnz .LBB44_3492
.LBB44_1442:
	s_or_b64 exec, exec, s[6:7]
	s_and_saveexec_b64 s[6:7], s[4:5]
	s_cbranch_execz .LBB44_1444
.LBB44_1443:
	v_and_b32_e32 v2, 7, v7
	v_ffbh_u32_e32 v10, v2
	v_min_u32_e32 v10, 32, v10
	v_lshrrev_b16_e32 v6, 3, v7
	v_subrev_u32_e32 v11, 28, v10
	v_and_b32_e32 v6, 15, v6
	v_lshlrev_b32_e32 v11, v11, v7
	v_sub_u32_e32 v10, 29, v10
	v_and_b32_e32 v11, 7, v11
	v_cmp_eq_u16_e32 vcc, 0, v6
	v_cndmask_b32_e32 v2, v2, v11, vcc
	v_cndmask_b32_e32 v6, v6, v10, vcc
	v_lshlrev_b32_e32 v10, 24, v7
	v_mov_b32_e32 v11, 0x3b800000
	v_lshlrev_b32_e32 v2, 20, v2
	v_and_b32_e32 v10, 0x80000000, v10
	v_lshl_add_u32 v6, v6, 23, v11
	v_or3_b32 v2, v10, v6, v2
.LBB44_1444:
	s_or_b64 exec, exec, s[6:7]
	s_movk_i32 s4, 0x7f
	v_cmp_gt_i16_sdwa s[6:7], v3, s4 src0_sel:BYTE_0 src1_sel:DWORD
	s_mov_b64 s[4:5], 0
                                        ; implicit-def: $sgpr10
	s_and_saveexec_b64 s[8:9], s[6:7]
	s_xor_b64 s[6:7], exec, s[8:9]
	s_cbranch_execnz .LBB44_3493
; %bb.1445:
	s_or_saveexec_b64 s[6:7], s[6:7]
	v_mov_b32_e32 v6, s10
	s_xor_b64 exec, exec, s[6:7]
	s_cbranch_execnz .LBB44_3496
.LBB44_1446:
	s_or_b64 exec, exec, s[6:7]
	s_and_saveexec_b64 s[6:7], s[4:5]
	s_cbranch_execz .LBB44_1448
.LBB44_1447:
	v_and_b32_e32 v6, 7, v3
	v_ffbh_u32_e32 v11, v6
	v_min_u32_e32 v11, 32, v11
	v_lshrrev_b16_e32 v10, 3, v3
	v_subrev_u32_e32 v12, 28, v11
	v_and_b32_e32 v10, 15, v10
	v_lshlrev_b32_e32 v12, v12, v3
	v_sub_u32_e32 v11, 29, v11
	v_and_b32_e32 v12, 7, v12
	v_cmp_eq_u16_e32 vcc, 0, v10
	v_cndmask_b32_e32 v6, v6, v12, vcc
	v_cndmask_b32_e32 v10, v10, v11, vcc
	v_lshlrev_b32_e32 v11, 24, v3
	v_mov_b32_e32 v12, 0x3b800000
	v_lshlrev_b32_e32 v6, 20, v6
	v_and_b32_e32 v11, 0x80000000, v11
	v_lshl_add_u32 v10, v10, 23, v12
	v_or3_b32 v6, v11, v10, v6
.LBB44_1448:
	s_or_b64 exec, exec, s[6:7]
	s_nop 0
	v_mfma_f32_16x16x4f32 a[0:3], v2, v6, a[0:3]
	v_lshrrev_b32_e32 v6, 8, v7
	s_movk_i32 s4, 0x7f
	v_cmp_gt_i16_sdwa s[6:7], v6, s4 src0_sel:BYTE_0 src1_sel:DWORD
	s_mov_b64 s[4:5], 0
                                        ; implicit-def: $sgpr10
	s_and_saveexec_b64 s[8:9], s[6:7]
	s_xor_b64 s[6:7], exec, s[8:9]
	s_cbranch_execnz .LBB44_3497
; %bb.1449:
	s_or_saveexec_b64 s[6:7], s[6:7]
	v_mov_b32_e32 v2, s10
	s_xor_b64 exec, exec, s[6:7]
	s_cbranch_execnz .LBB44_3500
.LBB44_1450:
	s_or_b64 exec, exec, s[6:7]
	s_and_saveexec_b64 s[6:7], s[4:5]
	s_cbranch_execz .LBB44_1452
.LBB44_1451:
	v_bfe_u32 v2, v7, 8, 3
	v_ffbh_u32_e32 v11, v2
	v_min_u32_e32 v11, 32, v11
	v_lshrrev_b16_e32 v10, 3, v6
	v_subrev_u32_e32 v12, 28, v11
	v_and_b32_e32 v10, 15, v10
	v_lshlrev_b32_e32 v6, v12, v6
	v_sub_u32_e32 v11, 29, v11
	v_and_b32_e32 v6, 7, v6
	v_cmp_eq_u16_e32 vcc, 0, v10
	v_cndmask_b32_e32 v2, v2, v6, vcc
	v_cndmask_b32_e32 v6, v10, v11, vcc
	v_lshlrev_b32_e32 v10, 16, v7
	v_mov_b32_e32 v11, 0x3b800000
	v_lshlrev_b32_e32 v2, 20, v2
	v_and_b32_e32 v10, 0x80000000, v10
	v_lshl_add_u32 v6, v6, 23, v11
	v_or3_b32 v2, v10, v6, v2
.LBB44_1452:
	s_or_b64 exec, exec, s[6:7]
	v_lshrrev_b32_e32 v6, 8, v3
	s_movk_i32 s4, 0x7f
	v_cmp_gt_i16_sdwa s[6:7], v6, s4 src0_sel:BYTE_0 src1_sel:DWORD
	s_mov_b64 s[4:5], 0
                                        ; implicit-def: $sgpr10
	s_and_saveexec_b64 s[8:9], s[6:7]
	s_xor_b64 s[6:7], exec, s[8:9]
	s_cbranch_execnz .LBB44_3501
; %bb.1453:
	s_or_saveexec_b64 s[6:7], s[6:7]
	v_mov_b32_e32 v10, s10
	s_xor_b64 exec, exec, s[6:7]
	s_cbranch_execnz .LBB44_3504
.LBB44_1454:
	s_or_b64 exec, exec, s[6:7]
	s_and_saveexec_b64 s[6:7], s[4:5]
	s_cbranch_execz .LBB44_1456
.LBB44_1455:
	v_bfe_u32 v10, v3, 8, 3
	v_ffbh_u32_e32 v12, v10
	v_min_u32_e32 v12, 32, v12
	v_lshrrev_b16_e32 v11, 3, v6
	v_subrev_u32_e32 v13, 28, v12
	v_and_b32_e32 v11, 15, v11
	v_lshlrev_b32_e32 v6, v13, v6
	v_sub_u32_e32 v12, 29, v12
	v_and_b32_e32 v6, 7, v6
	v_cmp_eq_u16_e32 vcc, 0, v11
	v_cndmask_b32_e32 v6, v10, v6, vcc
	v_cndmask_b32_e32 v10, v11, v12, vcc
	v_lshlrev_b32_e32 v11, 16, v3
	v_mov_b32_e32 v12, 0x3b800000
	v_lshlrev_b32_e32 v6, 20, v6
	v_and_b32_e32 v11, 0x80000000, v11
	v_lshl_add_u32 v10, v10, 23, v12
	v_or3_b32 v10, v11, v10, v6
.LBB44_1456:
	s_or_b64 exec, exec, s[6:7]
	s_nop 0
	v_mfma_f32_16x16x4f32 a[0:3], v2, v10, a[0:3]
	s_movk_i32 s4, 0xff
	v_and_b32_sdwa v6, v7, s4 dst_sel:DWORD dst_unused:UNUSED_PAD src0_sel:WORD_1 src1_sel:DWORD
	s_movk_i32 s4, 0x7f
	v_cmp_lt_i16_e32 vcc, s4, v6
	s_mov_b64 s[4:5], 0
                                        ; implicit-def: $sgpr10
	s_and_saveexec_b64 s[6:7], vcc
	s_xor_b64 s[6:7], exec, s[6:7]
	s_cbranch_execnz .LBB44_3505
; %bb.1457:
	s_or_saveexec_b64 s[6:7], s[6:7]
	v_mov_b32_e32 v2, s10
	s_xor_b64 exec, exec, s[6:7]
	s_cbranch_execnz .LBB44_3508
.LBB44_1458:
	s_or_b64 exec, exec, s[6:7]
	s_and_saveexec_b64 s[6:7], s[4:5]
	s_cbranch_execz .LBB44_1460
.LBB44_1459:
	v_bfe_u32 v2, v7, 16, 3
	v_ffbh_u32_e32 v11, v2
	v_min_u32_e32 v11, 32, v11
	v_lshrrev_b32_e32 v6, 19, v7
	v_subrev_u32_e32 v12, 28, v11
	v_and_b32_e32 v6, 15, v6
	v_lshlrev_b32_sdwa v12, v12, v7 dst_sel:DWORD dst_unused:UNUSED_PAD src0_sel:DWORD src1_sel:WORD_1
	v_bfe_u32 v10, v7, 19, 4
	v_sub_u32_e32 v11, 29, v11
	v_and_b32_e32 v12, 7, v12
	v_cmp_eq_u16_e32 vcc, 0, v6
	v_cndmask_b32_e32 v2, v2, v12, vcc
	v_cndmask_b32_e32 v6, v10, v11, vcc
	v_lshlrev_b32_e32 v10, 8, v7
	v_mov_b32_e32 v11, 0x3b800000
	v_lshlrev_b32_e32 v2, 20, v2
	v_and_b32_e32 v10, 0x80000000, v10
	v_lshl_add_u32 v6, v6, 23, v11
	v_or3_b32 v2, v10, v6, v2
.LBB44_1460:
	s_or_b64 exec, exec, s[6:7]
	s_movk_i32 s4, 0xff
	v_and_b32_sdwa v6, v3, s4 dst_sel:DWORD dst_unused:UNUSED_PAD src0_sel:WORD_1 src1_sel:DWORD
	s_movk_i32 s4, 0x7f
	v_cmp_lt_i16_e32 vcc, s4, v6
	s_mov_b64 s[4:5], 0
                                        ; implicit-def: $sgpr10
	s_and_saveexec_b64 s[6:7], vcc
	s_xor_b64 s[6:7], exec, s[6:7]
	s_cbranch_execnz .LBB44_3509
; %bb.1461:
	s_or_saveexec_b64 s[6:7], s[6:7]
	v_mov_b32_e32 v10, s10
	s_xor_b64 exec, exec, s[6:7]
	s_cbranch_execnz .LBB44_3512
.LBB44_1462:
	s_or_b64 exec, exec, s[6:7]
	s_and_saveexec_b64 s[6:7], s[4:5]
	s_cbranch_execz .LBB44_1464
.LBB44_1463:
	v_bfe_u32 v6, v3, 16, 3
	v_ffbh_u32_e32 v12, v6
	v_min_u32_e32 v12, 32, v12
	v_lshrrev_b32_e32 v10, 19, v3
	v_subrev_u32_e32 v13, 28, v12
	v_and_b32_e32 v10, 15, v10
	v_lshlrev_b32_sdwa v13, v13, v3 dst_sel:DWORD dst_unused:UNUSED_PAD src0_sel:DWORD src1_sel:WORD_1
	v_bfe_u32 v11, v3, 19, 4
	v_sub_u32_e32 v12, 29, v12
	v_and_b32_e32 v13, 7, v13
	v_cmp_eq_u16_e32 vcc, 0, v10
	v_cndmask_b32_e32 v6, v6, v13, vcc
	v_cndmask_b32_e32 v10, v11, v12, vcc
	v_lshlrev_b32_e32 v11, 8, v3
	v_mov_b32_e32 v12, 0x3b800000
	v_lshlrev_b32_e32 v6, 20, v6
	v_and_b32_e32 v11, 0x80000000, v11
	v_lshl_add_u32 v10, v10, 23, v12
	v_or3_b32 v10, v11, v10, v6
.LBB44_1464:
	s_or_b64 exec, exec, s[6:7]
	s_nop 0
	v_mfma_f32_16x16x4f32 a[0:3], v2, v10, a[0:3]
	s_movk_i32 s4, 0x7f
	v_cmp_gt_i16_sdwa s[6:7], v7, s4 src0_sel:BYTE_3 src1_sel:DWORD
	s_mov_b64 s[4:5], 0
                                        ; implicit-def: $sgpr10
	s_and_saveexec_b64 s[8:9], s[6:7]
	s_xor_b64 s[6:7], exec, s[8:9]
	s_cbranch_execnz .LBB44_3513
; %bb.1465:
	s_or_saveexec_b64 s[6:7], s[6:7]
	v_mov_b32_e32 v2, s10
	s_xor_b64 exec, exec, s[6:7]
	s_cbranch_execnz .LBB44_3516
.LBB44_1466:
	s_or_b64 exec, exec, s[6:7]
	s_and_saveexec_b64 s[6:7], s[4:5]
	s_cbranch_execz .LBB44_1468
.LBB44_1467:
	v_bfe_u32 v2, v7, 24, 3
	v_ffbh_u32_e32 v12, v2
	v_min_u32_e32 v12, 32, v12
	v_lshrrev_b32_e32 v10, 27, v7
	v_subrev_u32_e32 v13, 28, v12
	v_and_b32_e32 v6, 0x80000000, v7
	v_and_b32_e32 v10, 15, v10
	v_bfe_u32 v11, v7, 27, 4
	v_lshlrev_b32_sdwa v7, v13, v7 dst_sel:DWORD dst_unused:UNUSED_PAD src0_sel:DWORD src1_sel:BYTE_3
	v_sub_u32_e32 v12, 29, v12
	v_and_b32_e32 v7, 7, v7
	v_cmp_eq_u16_e32 vcc, 0, v10
	v_cndmask_b32_e32 v2, v2, v7, vcc
	v_cndmask_b32_e32 v7, v11, v12, vcc
	v_mov_b32_e32 v10, 0x3b800000
	v_lshlrev_b32_e32 v2, 20, v2
	v_lshl_add_u32 v7, v7, 23, v10
	v_or3_b32 v2, v6, v7, v2
.LBB44_1468:
	s_or_b64 exec, exec, s[6:7]
	s_movk_i32 s4, 0x7f
	v_cmp_gt_i16_sdwa s[6:7], v3, s4 src0_sel:BYTE_3 src1_sel:DWORD
	s_mov_b64 s[4:5], 0
                                        ; implicit-def: $sgpr10
	s_and_saveexec_b64 s[8:9], s[6:7]
	s_xor_b64 s[6:7], exec, s[8:9]
	s_cbranch_execnz .LBB44_3517
; %bb.1469:
	s_or_saveexec_b64 s[6:7], s[6:7]
	v_mov_b32_e32 v6, s10
	s_xor_b64 exec, exec, s[6:7]
	s_cbranch_execnz .LBB44_3520
.LBB44_1470:
	s_or_b64 exec, exec, s[6:7]
	s_and_saveexec_b64 s[6:7], s[4:5]
	s_cbranch_execz .LBB44_1472
.LBB44_1471:
	v_bfe_u32 v6, v3, 24, 3
	v_ffbh_u32_e32 v12, v6
	v_min_u32_e32 v12, 32, v12
	v_lshrrev_b32_e32 v10, 27, v3
	v_subrev_u32_e32 v13, 28, v12
	v_and_b32_e32 v7, 0x80000000, v3
	v_and_b32_e32 v10, 15, v10
	v_bfe_u32 v11, v3, 27, 4
	v_lshlrev_b32_sdwa v3, v13, v3 dst_sel:DWORD dst_unused:UNUSED_PAD src0_sel:DWORD src1_sel:BYTE_3
	v_sub_u32_e32 v12, 29, v12
	v_and_b32_e32 v3, 7, v3
	v_cmp_eq_u16_e32 vcc, 0, v10
	v_cndmask_b32_e32 v3, v6, v3, vcc
	v_cndmask_b32_e32 v6, v11, v12, vcc
	v_mov_b32_e32 v10, 0x3b800000
	v_lshlrev_b32_e32 v3, 20, v3
	v_lshl_add_u32 v6, v6, 23, v10
	v_or3_b32 v6, v7, v6, v3
.LBB44_1472:
	s_or_b64 exec, exec, s[6:7]
	s_nop 0
	v_mfma_f32_16x16x4f32 a[0:3], v2, v6, a[0:3]
	s_movk_i32 s4, 0x7f
	v_cmp_gt_i16_sdwa s[6:7], v8, s4 src0_sel:BYTE_0 src1_sel:DWORD
	s_mov_b64 s[4:5], 0
                                        ; implicit-def: $sgpr10
	s_and_saveexec_b64 s[8:9], s[6:7]
	s_xor_b64 s[6:7], exec, s[8:9]
	s_cbranch_execnz .LBB44_3521
; %bb.1473:
	s_or_saveexec_b64 s[6:7], s[6:7]
	v_mov_b32_e32 v2, s10
	s_xor_b64 exec, exec, s[6:7]
	s_cbranch_execnz .LBB44_3524
.LBB44_1474:
	s_or_b64 exec, exec, s[6:7]
	s_and_saveexec_b64 s[6:7], s[4:5]
	s_cbranch_execz .LBB44_1476
.LBB44_1475:
	v_and_b32_e32 v2, 7, v8
	v_ffbh_u32_e32 v6, v2
	v_min_u32_e32 v6, 32, v6
	v_lshrrev_b16_e32 v3, 3, v8
	v_subrev_u32_e32 v7, 28, v6
	v_and_b32_e32 v3, 15, v3
	v_lshlrev_b32_e32 v7, v7, v8
	v_sub_u32_e32 v6, 29, v6
	v_and_b32_e32 v7, 7, v7
	v_cmp_eq_u16_e32 vcc, 0, v3
	v_cndmask_b32_e32 v2, v2, v7, vcc
	v_cndmask_b32_e32 v3, v3, v6, vcc
	v_lshlrev_b32_e32 v6, 24, v8
	v_mov_b32_e32 v7, 0x3b800000
	v_lshlrev_b32_e32 v2, 20, v2
	v_and_b32_e32 v6, 0x80000000, v6
	v_lshl_add_u32 v3, v3, 23, v7
	v_or3_b32 v2, v6, v3, v2
.LBB44_1476:
	s_or_b64 exec, exec, s[6:7]
	s_movk_i32 s4, 0x7f
	v_cmp_gt_i16_sdwa s[6:7], v4, s4 src0_sel:BYTE_0 src1_sel:DWORD
	s_mov_b64 s[4:5], 0
                                        ; implicit-def: $sgpr10
	s_and_saveexec_b64 s[8:9], s[6:7]
	s_xor_b64 s[6:7], exec, s[8:9]
	s_cbranch_execnz .LBB44_3525
; %bb.1477:
	s_or_saveexec_b64 s[6:7], s[6:7]
	v_mov_b32_e32 v3, s10
	s_xor_b64 exec, exec, s[6:7]
	s_cbranch_execnz .LBB44_3528
.LBB44_1478:
	s_or_b64 exec, exec, s[6:7]
	s_and_saveexec_b64 s[6:7], s[4:5]
	s_cbranch_execz .LBB44_1480
.LBB44_1479:
	v_and_b32_e32 v3, 7, v4
	v_ffbh_u32_e32 v7, v3
	v_min_u32_e32 v7, 32, v7
	v_lshrrev_b16_e32 v6, 3, v4
	v_subrev_u32_e32 v10, 28, v7
	v_and_b32_e32 v6, 15, v6
	v_lshlrev_b32_e32 v10, v10, v4
	v_sub_u32_e32 v7, 29, v7
	v_and_b32_e32 v10, 7, v10
	v_cmp_eq_u16_e32 vcc, 0, v6
	v_cndmask_b32_e32 v3, v3, v10, vcc
	v_cndmask_b32_e32 v6, v6, v7, vcc
	v_lshlrev_b32_e32 v7, 24, v4
	v_mov_b32_e32 v10, 0x3b800000
	v_lshlrev_b32_e32 v3, 20, v3
	v_and_b32_e32 v7, 0x80000000, v7
	v_lshl_add_u32 v6, v6, 23, v10
	v_or3_b32 v3, v7, v6, v3
.LBB44_1480:
	s_or_b64 exec, exec, s[6:7]
	s_nop 0
	v_mfma_f32_16x16x4f32 a[0:3], v2, v3, a[0:3]
	v_lshrrev_b32_e32 v3, 8, v8
	s_movk_i32 s4, 0x7f
	v_cmp_gt_i16_sdwa s[6:7], v3, s4 src0_sel:BYTE_0 src1_sel:DWORD
	s_mov_b64 s[4:5], 0
                                        ; implicit-def: $sgpr10
	s_and_saveexec_b64 s[8:9], s[6:7]
	s_xor_b64 s[6:7], exec, s[8:9]
	s_cbranch_execnz .LBB44_3529
; %bb.1481:
	s_or_saveexec_b64 s[6:7], s[6:7]
	v_mov_b32_e32 v2, s10
	s_xor_b64 exec, exec, s[6:7]
	s_cbranch_execnz .LBB44_3532
.LBB44_1482:
	s_or_b64 exec, exec, s[6:7]
	s_and_saveexec_b64 s[6:7], s[4:5]
	s_cbranch_execz .LBB44_1484
.LBB44_1483:
	v_bfe_u32 v2, v8, 8, 3
	v_ffbh_u32_e32 v7, v2
	v_min_u32_e32 v7, 32, v7
	v_lshrrev_b16_e32 v6, 3, v3
	v_subrev_u32_e32 v10, 28, v7
	v_and_b32_e32 v6, 15, v6
	v_lshlrev_b32_e32 v3, v10, v3
	v_sub_u32_e32 v7, 29, v7
	v_and_b32_e32 v3, 7, v3
	v_cmp_eq_u16_e32 vcc, 0, v6
	v_cndmask_b32_e32 v2, v2, v3, vcc
	v_cndmask_b32_e32 v3, v6, v7, vcc
	v_lshlrev_b32_e32 v6, 16, v8
	v_mov_b32_e32 v7, 0x3b800000
	v_lshlrev_b32_e32 v2, 20, v2
	v_and_b32_e32 v6, 0x80000000, v6
	v_lshl_add_u32 v3, v3, 23, v7
	v_or3_b32 v2, v6, v3, v2
.LBB44_1484:
	s_or_b64 exec, exec, s[6:7]
	v_lshrrev_b32_e32 v3, 8, v4
	s_movk_i32 s4, 0x7f
	v_cmp_gt_i16_sdwa s[6:7], v3, s4 src0_sel:BYTE_0 src1_sel:DWORD
	s_mov_b64 s[4:5], 0
                                        ; implicit-def: $sgpr10
	s_and_saveexec_b64 s[8:9], s[6:7]
	s_xor_b64 s[6:7], exec, s[8:9]
	s_cbranch_execnz .LBB44_3533
; %bb.1485:
	s_or_saveexec_b64 s[6:7], s[6:7]
	v_mov_b32_e32 v6, s10
	s_xor_b64 exec, exec, s[6:7]
	s_cbranch_execnz .LBB44_3536
.LBB44_1486:
	s_or_b64 exec, exec, s[6:7]
	s_and_saveexec_b64 s[6:7], s[4:5]
	s_cbranch_execz .LBB44_1488
.LBB44_1487:
	v_bfe_u32 v6, v4, 8, 3
	v_ffbh_u32_e32 v10, v6
	v_min_u32_e32 v10, 32, v10
	v_lshrrev_b16_e32 v7, 3, v3
	v_subrev_u32_e32 v11, 28, v10
	v_and_b32_e32 v7, 15, v7
	v_lshlrev_b32_e32 v3, v11, v3
	v_sub_u32_e32 v10, 29, v10
	v_and_b32_e32 v3, 7, v3
	v_cmp_eq_u16_e32 vcc, 0, v7
	v_cndmask_b32_e32 v3, v6, v3, vcc
	v_cndmask_b32_e32 v6, v7, v10, vcc
	v_lshlrev_b32_e32 v7, 16, v4
	v_mov_b32_e32 v10, 0x3b800000
	v_lshlrev_b32_e32 v3, 20, v3
	v_and_b32_e32 v7, 0x80000000, v7
	v_lshl_add_u32 v6, v6, 23, v10
	v_or3_b32 v6, v7, v6, v3
.LBB44_1488:
	s_or_b64 exec, exec, s[6:7]
	s_nop 0
	v_mfma_f32_16x16x4f32 a[0:3], v2, v6, a[0:3]
	s_movk_i32 s4, 0xff
	v_and_b32_sdwa v3, v8, s4 dst_sel:DWORD dst_unused:UNUSED_PAD src0_sel:WORD_1 src1_sel:DWORD
	s_movk_i32 s4, 0x7f
	v_cmp_lt_i16_e32 vcc, s4, v3
	s_mov_b64 s[4:5], 0
                                        ; implicit-def: $sgpr10
	s_and_saveexec_b64 s[6:7], vcc
	s_xor_b64 s[6:7], exec, s[6:7]
	s_cbranch_execnz .LBB44_3537
; %bb.1489:
	s_or_saveexec_b64 s[6:7], s[6:7]
	v_mov_b32_e32 v2, s10
	s_xor_b64 exec, exec, s[6:7]
	s_cbranch_execnz .LBB44_3540
.LBB44_1490:
	s_or_b64 exec, exec, s[6:7]
	s_and_saveexec_b64 s[6:7], s[4:5]
	s_cbranch_execz .LBB44_1492
.LBB44_1491:
	v_bfe_u32 v2, v8, 16, 3
	v_ffbh_u32_e32 v7, v2
	v_min_u32_e32 v7, 32, v7
	v_lshrrev_b32_e32 v3, 19, v8
	v_subrev_u32_e32 v10, 28, v7
	v_and_b32_e32 v3, 15, v3
	v_lshlrev_b32_sdwa v10, v10, v8 dst_sel:DWORD dst_unused:UNUSED_PAD src0_sel:DWORD src1_sel:WORD_1
	v_bfe_u32 v6, v8, 19, 4
	v_sub_u32_e32 v7, 29, v7
	v_and_b32_e32 v10, 7, v10
	v_cmp_eq_u16_e32 vcc, 0, v3
	v_cndmask_b32_e32 v2, v2, v10, vcc
	v_cndmask_b32_e32 v3, v6, v7, vcc
	v_lshlrev_b32_e32 v6, 8, v8
	v_mov_b32_e32 v7, 0x3b800000
	v_lshlrev_b32_e32 v2, 20, v2
	v_and_b32_e32 v6, 0x80000000, v6
	v_lshl_add_u32 v3, v3, 23, v7
	v_or3_b32 v2, v6, v3, v2
.LBB44_1492:
	s_or_b64 exec, exec, s[6:7]
	s_movk_i32 s4, 0xff
	v_and_b32_sdwa v3, v4, s4 dst_sel:DWORD dst_unused:UNUSED_PAD src0_sel:WORD_1 src1_sel:DWORD
	s_movk_i32 s4, 0x7f
	v_cmp_lt_i16_e32 vcc, s4, v3
	s_mov_b64 s[4:5], 0
                                        ; implicit-def: $sgpr10
	s_and_saveexec_b64 s[6:7], vcc
	s_xor_b64 s[6:7], exec, s[6:7]
	s_cbranch_execnz .LBB44_3541
; %bb.1493:
	s_or_saveexec_b64 s[6:7], s[6:7]
	v_mov_b32_e32 v6, s10
	s_xor_b64 exec, exec, s[6:7]
	s_cbranch_execnz .LBB44_3544
.LBB44_1494:
	s_or_b64 exec, exec, s[6:7]
	s_and_saveexec_b64 s[6:7], s[4:5]
	s_cbranch_execz .LBB44_1496
.LBB44_1495:
	v_bfe_u32 v3, v4, 16, 3
	v_ffbh_u32_e32 v10, v3
	v_min_u32_e32 v10, 32, v10
	v_lshrrev_b32_e32 v6, 19, v4
	v_subrev_u32_e32 v11, 28, v10
	v_and_b32_e32 v6, 15, v6
	v_lshlrev_b32_sdwa v11, v11, v4 dst_sel:DWORD dst_unused:UNUSED_PAD src0_sel:DWORD src1_sel:WORD_1
	v_bfe_u32 v7, v4, 19, 4
	v_sub_u32_e32 v10, 29, v10
	v_and_b32_e32 v11, 7, v11
	v_cmp_eq_u16_e32 vcc, 0, v6
	v_cndmask_b32_e32 v3, v3, v11, vcc
	v_cndmask_b32_e32 v6, v7, v10, vcc
	v_lshlrev_b32_e32 v7, 8, v4
	v_mov_b32_e32 v10, 0x3b800000
	v_lshlrev_b32_e32 v3, 20, v3
	v_and_b32_e32 v7, 0x80000000, v7
	v_lshl_add_u32 v6, v6, 23, v10
	v_or3_b32 v6, v7, v6, v3
.LBB44_1496:
	s_or_b64 exec, exec, s[6:7]
	s_nop 0
	v_mfma_f32_16x16x4f32 a[0:3], v2, v6, a[0:3]
	s_movk_i32 s4, 0x7f
	v_cmp_gt_i16_sdwa s[6:7], v8, s4 src0_sel:BYTE_3 src1_sel:DWORD
	s_mov_b64 s[4:5], 0
                                        ; implicit-def: $sgpr10
	s_and_saveexec_b64 s[8:9], s[6:7]
	s_xor_b64 s[6:7], exec, s[8:9]
	s_cbranch_execnz .LBB44_3545
; %bb.1497:
	s_or_saveexec_b64 s[6:7], s[6:7]
	v_mov_b32_e32 v2, s10
	s_xor_b64 exec, exec, s[6:7]
	s_cbranch_execnz .LBB44_3548
.LBB44_1498:
	s_or_b64 exec, exec, s[6:7]
	s_and_saveexec_b64 s[6:7], s[4:5]
	s_cbranch_execz .LBB44_1500
.LBB44_1499:
	v_bfe_u32 v2, v8, 24, 3
	v_ffbh_u32_e32 v10, v2
	v_min_u32_e32 v10, 32, v10
	v_lshrrev_b32_e32 v6, 27, v8
	v_subrev_u32_e32 v11, 28, v10
	v_and_b32_e32 v3, 0x80000000, v8
	v_and_b32_e32 v6, 15, v6
	v_bfe_u32 v7, v8, 27, 4
	v_lshlrev_b32_sdwa v8, v11, v8 dst_sel:DWORD dst_unused:UNUSED_PAD src0_sel:DWORD src1_sel:BYTE_3
	v_sub_u32_e32 v10, 29, v10
	v_and_b32_e32 v8, 7, v8
	v_cmp_eq_u16_e32 vcc, 0, v6
	v_cndmask_b32_e32 v2, v2, v8, vcc
	v_cndmask_b32_e32 v6, v7, v10, vcc
	v_mov_b32_e32 v7, 0x3b800000
	v_lshlrev_b32_e32 v2, 20, v2
	v_lshl_add_u32 v6, v6, 23, v7
	v_or3_b32 v2, v3, v6, v2
.LBB44_1500:
	s_or_b64 exec, exec, s[6:7]
	s_movk_i32 s4, 0x7f
	v_cmp_gt_i16_sdwa s[6:7], v4, s4 src0_sel:BYTE_3 src1_sel:DWORD
	s_mov_b64 s[4:5], 0
                                        ; implicit-def: $sgpr10
	s_and_saveexec_b64 s[8:9], s[6:7]
	s_xor_b64 s[6:7], exec, s[8:9]
	s_cbranch_execnz .LBB44_3549
; %bb.1501:
	s_or_saveexec_b64 s[6:7], s[6:7]
	v_mov_b32_e32 v3, s10
	s_xor_b64 exec, exec, s[6:7]
	s_cbranch_execnz .LBB44_3552
.LBB44_1502:
	s_or_b64 exec, exec, s[6:7]
	s_and_saveexec_b64 s[6:7], s[4:5]
	s_cbranch_execz .LBB44_1504
.LBB44_1503:
	v_bfe_u32 v3, v4, 24, 3
	v_ffbh_u32_e32 v10, v3
	v_min_u32_e32 v10, 32, v10
	v_lshrrev_b32_e32 v7, 27, v4
	v_subrev_u32_e32 v11, 28, v10
	v_and_b32_e32 v6, 0x80000000, v4
	v_and_b32_e32 v7, 15, v7
	v_bfe_u32 v8, v4, 27, 4
	v_lshlrev_b32_sdwa v4, v11, v4 dst_sel:DWORD dst_unused:UNUSED_PAD src0_sel:DWORD src1_sel:BYTE_3
	v_sub_u32_e32 v10, 29, v10
	v_and_b32_e32 v4, 7, v4
	v_cmp_eq_u16_e32 vcc, 0, v7
	v_cndmask_b32_e32 v3, v3, v4, vcc
	v_cndmask_b32_e32 v4, v8, v10, vcc
	v_mov_b32_e32 v7, 0x3b800000
	v_lshlrev_b32_e32 v3, 20, v3
	v_lshl_add_u32 v4, v4, 23, v7
	v_or3_b32 v3, v6, v4, v3
.LBB44_1504:
	s_or_b64 exec, exec, s[6:7]
	s_nop 0
	v_mfma_f32_16x16x4f32 a[0:3], v2, v3, a[0:3]
	s_movk_i32 s4, 0x7f
	v_cmp_gt_i16_sdwa s[6:7], v9, s4 src0_sel:BYTE_0 src1_sel:DWORD
	s_mov_b64 s[4:5], 0
                                        ; implicit-def: $sgpr10
	s_and_saveexec_b64 s[8:9], s[6:7]
	s_xor_b64 s[6:7], exec, s[8:9]
	s_cbranch_execnz .LBB44_3553
; %bb.1505:
	s_or_saveexec_b64 s[6:7], s[6:7]
	v_mov_b32_e32 v2, s10
	s_xor_b64 exec, exec, s[6:7]
	s_cbranch_execnz .LBB44_3556
.LBB44_1506:
	s_or_b64 exec, exec, s[6:7]
	s_and_saveexec_b64 s[6:7], s[4:5]
	s_cbranch_execz .LBB44_1508
.LBB44_1507:
	v_mov_b32_e32 v2, 8
	v_and_b32_e32 v3, 7, v9
	v_lshrrev_b32_sdwa v2, v2, v9 dst_sel:BYTE_1 dst_unused:UNUSED_PAD src0_sel:DWORD src1_sel:DWORD
	v_ffbh_u32_e32 v4, v3
	v_or_b32_sdwa v2, v9, v2 dst_sel:DWORD dst_unused:UNUSED_PAD src0_sel:BYTE_0 src1_sel:DWORD
	v_min_u32_e32 v4, 32, v4
	v_lshrrev_b16_e32 v2, 3, v2
	v_subrev_u32_e32 v6, 28, v4
	v_and_b32_e32 v2, 15, v2
	v_lshlrev_b32_e32 v6, v6, v9
	v_sub_u32_e32 v4, 29, v4
	v_and_b32_e32 v6, 7, v6
	v_cmp_eq_u16_e32 vcc, 0, v2
	v_cndmask_b32_e32 v3, v3, v6, vcc
	v_cndmask_b32_e32 v2, v2, v4, vcc
	v_lshlrev_b32_e32 v4, 24, v9
	v_mov_b32_e32 v6, 0x3b800000
	v_lshlrev_b32_e32 v3, 20, v3
	v_and_b32_e32 v4, 0x80000000, v4
	v_lshl_add_u32 v2, v2, 23, v6
	v_or3_b32 v2, v4, v2, v3
.LBB44_1508:
	s_or_b64 exec, exec, s[6:7]
	s_movk_i32 s4, 0x7f
	v_cmp_gt_i16_sdwa s[6:7], v5, s4 src0_sel:BYTE_0 src1_sel:DWORD
	s_mov_b64 s[4:5], 0
                                        ; implicit-def: $sgpr10
	s_and_saveexec_b64 s[8:9], s[6:7]
	s_xor_b64 s[6:7], exec, s[8:9]
	s_cbranch_execnz .LBB44_3557
; %bb.1509:
	s_or_saveexec_b64 s[6:7], s[6:7]
	v_mov_b32_e32 v3, s10
	s_xor_b64 exec, exec, s[6:7]
	s_cbranch_execnz .LBB44_3560
.LBB44_1510:
	s_or_b64 exec, exec, s[6:7]
	s_and_saveexec_b64 s[6:7], s[4:5]
	s_cbranch_execz .LBB44_1512
.LBB44_1511:
	v_mov_b32_e32 v3, 8
	v_and_b32_e32 v4, 7, v5
	v_lshrrev_b32_sdwa v3, v3, v5 dst_sel:BYTE_1 dst_unused:UNUSED_PAD src0_sel:DWORD src1_sel:DWORD
	v_ffbh_u32_e32 v6, v4
	v_or_b32_sdwa v3, v5, v3 dst_sel:DWORD dst_unused:UNUSED_PAD src0_sel:BYTE_0 src1_sel:DWORD
	v_min_u32_e32 v6, 32, v6
	v_lshrrev_b16_e32 v3, 3, v3
	v_subrev_u32_e32 v7, 28, v6
	v_and_b32_e32 v3, 15, v3
	v_lshlrev_b32_e32 v7, v7, v5
	v_sub_u32_e32 v6, 29, v6
	v_and_b32_e32 v7, 7, v7
	v_cmp_eq_u16_e32 vcc, 0, v3
	v_cndmask_b32_e32 v4, v4, v7, vcc
	v_cndmask_b32_e32 v3, v3, v6, vcc
	v_lshlrev_b32_e32 v6, 24, v5
	v_mov_b32_e32 v7, 0x3b800000
	v_lshlrev_b32_e32 v4, 20, v4
	v_and_b32_e32 v6, 0x80000000, v6
	v_lshl_add_u32 v3, v3, 23, v7
	v_or3_b32 v3, v6, v3, v4
.LBB44_1512:
	s_or_b64 exec, exec, s[6:7]
	s_nop 0
	v_mfma_f32_16x16x4f32 a[0:3], v2, v3, a[0:3]
	v_lshrrev_b32_e32 v3, 8, v9
	s_movk_i32 s4, 0x7f
	v_cmp_gt_i16_sdwa s[6:7], v3, s4 src0_sel:BYTE_0 src1_sel:DWORD
	s_mov_b64 s[4:5], 0
                                        ; implicit-def: $sgpr10
	s_and_saveexec_b64 s[8:9], s[6:7]
	s_xor_b64 s[6:7], exec, s[8:9]
	s_cbranch_execnz .LBB44_3561
; %bb.1513:
	s_or_saveexec_b64 s[6:7], s[6:7]
	v_mov_b32_e32 v2, s10
	s_xor_b64 exec, exec, s[6:7]
	s_cbranch_execnz .LBB44_3564
.LBB44_1514:
	s_or_b64 exec, exec, s[6:7]
	s_and_saveexec_b64 s[6:7], s[4:5]
	s_cbranch_execz .LBB44_1516
.LBB44_1515:
	v_bfe_u32 v2, v9, 8, 3
	v_ffbh_u32_e32 v6, v2
	v_min_u32_e32 v6, 32, v6
	v_lshrrev_b16_e32 v4, 3, v3
	v_subrev_u32_e32 v7, 28, v6
	v_and_b32_e32 v4, 15, v4
	v_lshlrev_b32_e32 v3, v7, v3
	v_sub_u32_e32 v6, 29, v6
	v_and_b32_e32 v3, 7, v3
	v_cmp_eq_u16_e32 vcc, 0, v4
	v_cndmask_b32_e32 v2, v2, v3, vcc
	v_cndmask_b32_e32 v3, v4, v6, vcc
	v_lshlrev_b32_e32 v4, 16, v9
	v_mov_b32_e32 v6, 0x3b800000
	v_lshlrev_b32_e32 v2, 20, v2
	v_and_b32_e32 v4, 0x80000000, v4
	v_lshl_add_u32 v3, v3, 23, v6
	v_or3_b32 v2, v4, v3, v2
.LBB44_1516:
	s_or_b64 exec, exec, s[6:7]
	v_lshrrev_b32_e32 v3, 8, v5
	s_movk_i32 s4, 0x7f
	v_cmp_gt_i16_sdwa s[6:7], v3, s4 src0_sel:BYTE_0 src1_sel:DWORD
	s_mov_b64 s[4:5], 0
                                        ; implicit-def: $sgpr10
	s_and_saveexec_b64 s[8:9], s[6:7]
	s_xor_b64 s[6:7], exec, s[8:9]
	s_cbranch_execnz .LBB44_3565
; %bb.1517:
	s_or_saveexec_b64 s[6:7], s[6:7]
	v_mov_b32_e32 v4, s10
	s_xor_b64 exec, exec, s[6:7]
	s_cbranch_execnz .LBB44_3568
.LBB44_1518:
	s_or_b64 exec, exec, s[6:7]
	s_and_saveexec_b64 s[6:7], s[4:5]
	s_cbranch_execz .LBB44_1520
.LBB44_1519:
	v_bfe_u32 v4, v5, 8, 3
	v_ffbh_u32_e32 v7, v4
	v_min_u32_e32 v7, 32, v7
	v_lshrrev_b16_e32 v6, 3, v3
	v_subrev_u32_e32 v8, 28, v7
	v_and_b32_e32 v6, 15, v6
	v_lshlrev_b32_e32 v3, v8, v3
	v_sub_u32_e32 v7, 29, v7
	v_and_b32_e32 v3, 7, v3
	v_cmp_eq_u16_e32 vcc, 0, v6
	v_cndmask_b32_e32 v3, v4, v3, vcc
	v_cndmask_b32_e32 v4, v6, v7, vcc
	v_lshlrev_b32_e32 v6, 16, v5
	v_mov_b32_e32 v7, 0x3b800000
	v_lshlrev_b32_e32 v3, 20, v3
	v_and_b32_e32 v6, 0x80000000, v6
	v_lshl_add_u32 v4, v4, 23, v7
	v_or3_b32 v4, v6, v4, v3
.LBB44_1520:
	s_or_b64 exec, exec, s[6:7]
	s_nop 0
	v_mfma_f32_16x16x4f32 a[0:3], v2, v4, a[0:3]
	s_movk_i32 s4, 0xff
	v_and_b32_sdwa v3, v9, s4 dst_sel:DWORD dst_unused:UNUSED_PAD src0_sel:WORD_1 src1_sel:DWORD
	s_movk_i32 s4, 0x7f
	v_cmp_lt_i16_e32 vcc, s4, v3
	s_mov_b64 s[4:5], 0
                                        ; implicit-def: $sgpr10
	s_and_saveexec_b64 s[6:7], vcc
	s_xor_b64 s[6:7], exec, s[6:7]
	s_cbranch_execnz .LBB44_3569
; %bb.1521:
	s_or_saveexec_b64 s[6:7], s[6:7]
	v_mov_b32_e32 v2, s10
	s_xor_b64 exec, exec, s[6:7]
	s_cbranch_execnz .LBB44_3572
.LBB44_1522:
	s_or_b64 exec, exec, s[6:7]
	s_and_saveexec_b64 s[6:7], s[4:5]
	s_cbranch_execz .LBB44_1524
.LBB44_1523:
	v_bfe_u32 v2, v9, 16, 3
	v_ffbh_u32_e32 v6, v2
	v_min_u32_e32 v6, 32, v6
	v_lshrrev_b32_e32 v3, 19, v9
	v_subrev_u32_e32 v7, 28, v6
	v_and_b32_e32 v3, 15, v3
	v_lshlrev_b32_sdwa v7, v7, v9 dst_sel:DWORD dst_unused:UNUSED_PAD src0_sel:DWORD src1_sel:WORD_1
	v_bfe_u32 v4, v9, 19, 4
	v_sub_u32_e32 v6, 29, v6
	v_and_b32_e32 v7, 7, v7
	v_cmp_eq_u16_e32 vcc, 0, v3
	v_cndmask_b32_e32 v2, v2, v7, vcc
	v_cndmask_b32_e32 v3, v4, v6, vcc
	v_lshlrev_b32_e32 v4, 8, v9
	v_mov_b32_e32 v6, 0x3b800000
	v_lshlrev_b32_e32 v2, 20, v2
	v_and_b32_e32 v4, 0x80000000, v4
	v_lshl_add_u32 v3, v3, 23, v6
	v_or3_b32 v2, v4, v3, v2
.LBB44_1524:
	s_or_b64 exec, exec, s[6:7]
	s_movk_i32 s4, 0xff
	v_and_b32_sdwa v3, v5, s4 dst_sel:DWORD dst_unused:UNUSED_PAD src0_sel:WORD_1 src1_sel:DWORD
	s_movk_i32 s4, 0x7f
	v_cmp_lt_i16_e32 vcc, s4, v3
	s_mov_b64 s[4:5], 0
                                        ; implicit-def: $sgpr10
	s_and_saveexec_b64 s[6:7], vcc
	s_xor_b64 s[6:7], exec, s[6:7]
	s_cbranch_execnz .LBB44_3573
; %bb.1525:
	s_or_saveexec_b64 s[6:7], s[6:7]
	v_mov_b32_e32 v4, s10
	s_xor_b64 exec, exec, s[6:7]
	s_cbranch_execnz .LBB44_3576
.LBB44_1526:
	s_or_b64 exec, exec, s[6:7]
	s_and_saveexec_b64 s[6:7], s[4:5]
	s_cbranch_execz .LBB44_1528
.LBB44_1527:
	v_bfe_u32 v3, v5, 16, 3
	v_ffbh_u32_e32 v7, v3
	v_min_u32_e32 v7, 32, v7
	v_lshrrev_b32_e32 v4, 19, v5
	v_subrev_u32_e32 v8, 28, v7
	v_and_b32_e32 v4, 15, v4
	v_lshlrev_b32_sdwa v8, v8, v5 dst_sel:DWORD dst_unused:UNUSED_PAD src0_sel:DWORD src1_sel:WORD_1
	v_bfe_u32 v6, v5, 19, 4
	v_sub_u32_e32 v7, 29, v7
	v_and_b32_e32 v8, 7, v8
	v_cmp_eq_u16_e32 vcc, 0, v4
	v_cndmask_b32_e32 v3, v3, v8, vcc
	v_cndmask_b32_e32 v4, v6, v7, vcc
	v_lshlrev_b32_e32 v6, 8, v5
	v_mov_b32_e32 v7, 0x3b800000
	v_lshlrev_b32_e32 v3, 20, v3
	v_and_b32_e32 v6, 0x80000000, v6
	v_lshl_add_u32 v4, v4, 23, v7
	v_or3_b32 v4, v6, v4, v3
.LBB44_1528:
	s_or_b64 exec, exec, s[6:7]
	s_nop 0
	v_mfma_f32_16x16x4f32 a[0:3], v2, v4, a[0:3]
	s_movk_i32 s4, 0x7f
	v_cmp_gt_i16_sdwa s[6:7], v9, s4 src0_sel:BYTE_3 src1_sel:DWORD
	s_mov_b64 s[4:5], 0
                                        ; implicit-def: $sgpr10
	s_and_saveexec_b64 s[8:9], s[6:7]
	s_xor_b64 s[6:7], exec, s[8:9]
	s_cbranch_execnz .LBB44_3577
; %bb.1529:
	s_or_saveexec_b64 s[6:7], s[6:7]
	v_mov_b32_e32 v2, s10
	s_xor_b64 exec, exec, s[6:7]
	s_cbranch_execnz .LBB44_3580
.LBB44_1530:
	s_or_b64 exec, exec, s[6:7]
	s_and_saveexec_b64 s[6:7], s[4:5]
	s_cbranch_execz .LBB44_1532
.LBB44_1531:
	v_bfe_u32 v2, v9, 24, 3
	v_ffbh_u32_e32 v7, v2
	v_min_u32_e32 v7, 32, v7
	v_lshrrev_b32_e32 v4, 27, v9
	v_subrev_u32_e32 v8, 28, v7
	v_and_b32_e32 v4, 15, v4
	v_lshlrev_b32_sdwa v8, v8, v9 dst_sel:DWORD dst_unused:UNUSED_PAD src0_sel:DWORD src1_sel:BYTE_3
	v_bfe_u32 v6, v9, 27, 4
	v_sub_u32_e32 v7, 29, v7
	v_and_b32_e32 v8, 7, v8
	v_cmp_eq_u16_e32 vcc, 0, v4
	v_cndmask_b32_e32 v2, v2, v8, vcc
	v_cndmask_b32_e32 v4, v6, v7, vcc
	v_mov_b32_e32 v6, 0x3b800000
	v_and_b32_e32 v3, 0x80000000, v9
	v_lshlrev_b32_e32 v2, 20, v2
	v_lshl_add_u32 v4, v4, 23, v6
	v_or3_b32 v2, v3, v4, v2
.LBB44_1532:
	s_or_b64 exec, exec, s[6:7]
	s_movk_i32 s4, 0x7f
	v_cmp_gt_i16_sdwa s[6:7], v5, s4 src0_sel:BYTE_3 src1_sel:DWORD
	s_mov_b64 s[4:5], 0
                                        ; implicit-def: $sgpr10
	s_and_saveexec_b64 s[8:9], s[6:7]
	s_xor_b64 s[6:7], exec, s[8:9]
	s_cbranch_execnz .LBB44_3581
; %bb.1533:
	s_or_saveexec_b64 s[6:7], s[6:7]
	v_mov_b32_e32 v3, s10
	s_xor_b64 exec, exec, s[6:7]
	s_cbranch_execnz .LBB44_3584
.LBB44_1534:
	s_or_b64 exec, exec, s[6:7]
	s_and_saveexec_b64 s[6:7], s[4:5]
	s_cbranch_execz .LBB44_1536
.LBB44_1535:
	v_bfe_u32 v3, v5, 24, 3
	v_ffbh_u32_e32 v8, v3
	v_min_u32_e32 v8, 32, v8
	v_lshrrev_b32_e32 v6, 27, v5
	v_subrev_u32_e32 v9, 28, v8
	v_and_b32_e32 v4, 0x80000000, v5
	v_and_b32_e32 v6, 15, v6
	v_bfe_u32 v7, v5, 27, 4
	v_lshlrev_b32_sdwa v5, v9, v5 dst_sel:DWORD dst_unused:UNUSED_PAD src0_sel:DWORD src1_sel:BYTE_3
	v_sub_u32_e32 v8, 29, v8
	v_and_b32_e32 v5, 7, v5
	v_cmp_eq_u16_e32 vcc, 0, v6
	v_cndmask_b32_e32 v3, v3, v5, vcc
	v_cndmask_b32_e32 v5, v7, v8, vcc
	v_mov_b32_e32 v6, 0x3b800000
	v_lshlrev_b32_e32 v3, 20, v3
	v_lshl_add_u32 v5, v5, 23, v6
	v_or3_b32 v3, v4, v5, v3
.LBB44_1536:
	s_or_b64 exec, exec, s[6:7]
	s_nop 0
	v_mfma_f32_16x16x4f32 a[0:3], v2, v3, a[0:3]
	s_movk_i32 s4, 0x7f
                                        ; implicit-def: $sgpr10
	s_nop 7
	s_nop 1
	flat_store_dwordx4 v[18:19], a[0:3] offset:80
	flat_load_dwordx4 v[20:23], v[0:1] offset:8
	s_nop 0
	flat_load_dwordx2 v[18:19], v[0:1] offset:24
	s_waitcnt vmcnt(0) lgkmcnt(0)
	flat_load_dwordx4 v[14:17], v[20:21]
	flat_load_dwordx4 v[6:9], v[20:21] offset:16
	flat_load_dwordx4 v[10:13], v[22:23] offset:192
	;; [unrolled: 1-line block ×3, first 2 shown]
	s_waitcnt vmcnt(0) lgkmcnt(0)
	v_cmp_gt_i16_sdwa s[6:7], v14, s4 src0_sel:BYTE_0 src1_sel:DWORD
	s_mov_b64 s[4:5], 0
	s_and_saveexec_b64 s[8:9], s[6:7]
	s_xor_b64 s[6:7], exec, s[8:9]
	s_cbranch_execnz .LBB44_3585
; %bb.1537:
	s_or_saveexec_b64 s[6:7], s[6:7]
	v_mov_b32_e32 v20, s10
	s_xor_b64 exec, exec, s[6:7]
	s_cbranch_execnz .LBB44_3588
.LBB44_1538:
	s_or_b64 exec, exec, s[6:7]
	s_and_saveexec_b64 s[6:7], s[4:5]
	s_cbranch_execz .LBB44_1540
.LBB44_1539:
	v_and_b32_e32 v20, 7, v14
	v_ffbh_u32_e32 v22, v20
	v_min_u32_e32 v22, 32, v22
	v_lshrrev_b16_e32 v21, 3, v14
	v_subrev_u32_e32 v23, 28, v22
	v_and_b32_e32 v21, 15, v21
	v_lshlrev_b32_e32 v23, v23, v14
	v_sub_u32_e32 v22, 29, v22
	v_and_b32_e32 v23, 7, v23
	v_cmp_eq_u16_e32 vcc, 0, v21
	v_cndmask_b32_e32 v20, v20, v23, vcc
	v_cndmask_b32_e32 v21, v21, v22, vcc
	v_lshlrev_b32_e32 v22, 24, v14
	v_mov_b32_e32 v23, 0x3b800000
	v_lshlrev_b32_e32 v20, 20, v20
	v_and_b32_e32 v22, 0x80000000, v22
	v_lshl_add_u32 v21, v21, 23, v23
	v_or3_b32 v20, v22, v21, v20
.LBB44_1540:
	s_or_b64 exec, exec, s[6:7]
	s_movk_i32 s4, 0x7f
	v_cmp_gt_i16_sdwa s[6:7], v10, s4 src0_sel:BYTE_0 src1_sel:DWORD
	s_mov_b64 s[4:5], 0
                                        ; implicit-def: $sgpr10
	s_and_saveexec_b64 s[8:9], s[6:7]
	s_xor_b64 s[6:7], exec, s[8:9]
	s_cbranch_execnz .LBB44_3589
; %bb.1541:
	s_or_saveexec_b64 s[6:7], s[6:7]
	v_mov_b32_e32 v21, s10
	s_xor_b64 exec, exec, s[6:7]
	s_cbranch_execnz .LBB44_3592
.LBB44_1542:
	s_or_b64 exec, exec, s[6:7]
	s_and_saveexec_b64 s[6:7], s[4:5]
	s_cbranch_execz .LBB44_1544
.LBB44_1543:
	v_and_b32_e32 v21, 7, v10
	v_ffbh_u32_e32 v23, v21
	v_min_u32_e32 v23, 32, v23
	v_lshrrev_b16_e32 v22, 3, v10
	v_subrev_u32_e32 v24, 28, v23
	v_and_b32_e32 v22, 15, v22
	v_lshlrev_b32_e32 v24, v24, v10
	v_sub_u32_e32 v23, 29, v23
	v_and_b32_e32 v24, 7, v24
	v_cmp_eq_u16_e32 vcc, 0, v22
	v_cndmask_b32_e32 v21, v21, v24, vcc
	v_cndmask_b32_e32 v22, v22, v23, vcc
	v_lshlrev_b32_e32 v23, 24, v10
	v_mov_b32_e32 v24, 0x3b800000
	v_lshlrev_b32_e32 v21, 20, v21
	v_and_b32_e32 v23, 0x80000000, v23
	v_lshl_add_u32 v22, v22, 23, v24
	v_or3_b32 v21, v23, v22, v21
.LBB44_1544:
	s_or_b64 exec, exec, s[6:7]
	flat_load_dwordx4 a[0:3], v[18:19] offset:96
	s_movk_i32 s4, 0x7f
                                        ; implicit-def: $sgpr10
	s_waitcnt vmcnt(0) lgkmcnt(0)
	v_mfma_f32_16x16x4f32 a[0:3], v20, v21, a[0:3]
	v_lshrrev_b32_e32 v21, 8, v14
	v_cmp_gt_i16_sdwa s[6:7], v21, s4 src0_sel:BYTE_0 src1_sel:DWORD
	s_mov_b64 s[4:5], 0
	s_and_saveexec_b64 s[8:9], s[6:7]
	s_xor_b64 s[6:7], exec, s[8:9]
	s_cbranch_execnz .LBB44_3593
; %bb.1545:
	s_or_saveexec_b64 s[6:7], s[6:7]
	v_mov_b32_e32 v20, s10
	s_xor_b64 exec, exec, s[6:7]
	s_cbranch_execnz .LBB44_3596
.LBB44_1546:
	s_or_b64 exec, exec, s[6:7]
	s_and_saveexec_b64 s[6:7], s[4:5]
	s_cbranch_execz .LBB44_1548
.LBB44_1547:
	v_bfe_u32 v20, v14, 8, 3
	v_ffbh_u32_e32 v23, v20
	v_min_u32_e32 v23, 32, v23
	v_lshrrev_b16_e32 v22, 3, v21
	v_subrev_u32_e32 v24, 28, v23
	v_and_b32_e32 v22, 15, v22
	v_lshlrev_b32_e32 v21, v24, v21
	v_sub_u32_e32 v23, 29, v23
	v_and_b32_e32 v21, 7, v21
	v_cmp_eq_u16_e32 vcc, 0, v22
	v_cndmask_b32_e32 v20, v20, v21, vcc
	v_cndmask_b32_e32 v21, v22, v23, vcc
	v_lshlrev_b32_e32 v22, 16, v14
	v_mov_b32_e32 v23, 0x3b800000
	v_lshlrev_b32_e32 v20, 20, v20
	v_and_b32_e32 v22, 0x80000000, v22
	v_lshl_add_u32 v21, v21, 23, v23
	v_or3_b32 v20, v22, v21, v20
.LBB44_1548:
	s_or_b64 exec, exec, s[6:7]
	v_lshrrev_b32_e32 v21, 8, v10
	s_movk_i32 s4, 0x7f
	v_cmp_gt_i16_sdwa s[6:7], v21, s4 src0_sel:BYTE_0 src1_sel:DWORD
	s_mov_b64 s[4:5], 0
                                        ; implicit-def: $sgpr10
	s_and_saveexec_b64 s[8:9], s[6:7]
	s_xor_b64 s[6:7], exec, s[8:9]
	s_cbranch_execnz .LBB44_3597
; %bb.1549:
	s_or_saveexec_b64 s[6:7], s[6:7]
	v_mov_b32_e32 v22, s10
	s_xor_b64 exec, exec, s[6:7]
	s_cbranch_execnz .LBB44_3600
.LBB44_1550:
	s_or_b64 exec, exec, s[6:7]
	s_and_saveexec_b64 s[6:7], s[4:5]
	s_cbranch_execz .LBB44_1552
.LBB44_1551:
	v_bfe_u32 v22, v10, 8, 3
	v_ffbh_u32_e32 v24, v22
	v_min_u32_e32 v24, 32, v24
	v_lshrrev_b16_e32 v23, 3, v21
	v_subrev_u32_e32 v25, 28, v24
	v_and_b32_e32 v23, 15, v23
	v_lshlrev_b32_e32 v21, v25, v21
	v_sub_u32_e32 v24, 29, v24
	v_and_b32_e32 v21, 7, v21
	v_cmp_eq_u16_e32 vcc, 0, v23
	v_cndmask_b32_e32 v21, v22, v21, vcc
	v_cndmask_b32_e32 v22, v23, v24, vcc
	v_lshlrev_b32_e32 v23, 16, v10
	v_mov_b32_e32 v24, 0x3b800000
	v_lshlrev_b32_e32 v21, 20, v21
	v_and_b32_e32 v23, 0x80000000, v23
	v_lshl_add_u32 v22, v22, 23, v24
	v_or3_b32 v22, v23, v22, v21
.LBB44_1552:
	s_or_b64 exec, exec, s[6:7]
	s_nop 0
	v_mfma_f32_16x16x4f32 a[0:3], v20, v22, a[0:3]
	s_movk_i32 s4, 0xff
	v_and_b32_sdwa v21, v14, s4 dst_sel:DWORD dst_unused:UNUSED_PAD src0_sel:WORD_1 src1_sel:DWORD
	s_movk_i32 s4, 0x7f
	v_cmp_lt_i16_e32 vcc, s4, v21
	s_mov_b64 s[4:5], 0
                                        ; implicit-def: $sgpr10
	s_and_saveexec_b64 s[6:7], vcc
	s_xor_b64 s[6:7], exec, s[6:7]
	s_cbranch_execnz .LBB44_3601
; %bb.1553:
	s_or_saveexec_b64 s[6:7], s[6:7]
	v_mov_b32_e32 v20, s10
	s_xor_b64 exec, exec, s[6:7]
	s_cbranch_execnz .LBB44_3604
.LBB44_1554:
	s_or_b64 exec, exec, s[6:7]
	s_and_saveexec_b64 s[6:7], s[4:5]
	s_cbranch_execz .LBB44_1556
.LBB44_1555:
	v_bfe_u32 v20, v14, 16, 3
	v_ffbh_u32_e32 v23, v20
	v_min_u32_e32 v23, 32, v23
	v_lshrrev_b32_e32 v21, 19, v14
	v_subrev_u32_e32 v24, 28, v23
	v_and_b32_e32 v21, 15, v21
	v_lshlrev_b32_sdwa v24, v24, v14 dst_sel:DWORD dst_unused:UNUSED_PAD src0_sel:DWORD src1_sel:WORD_1
	v_bfe_u32 v22, v14, 19, 4
	v_sub_u32_e32 v23, 29, v23
	v_and_b32_e32 v24, 7, v24
	v_cmp_eq_u16_e32 vcc, 0, v21
	v_cndmask_b32_e32 v20, v20, v24, vcc
	v_cndmask_b32_e32 v21, v22, v23, vcc
	v_lshlrev_b32_e32 v22, 8, v14
	v_mov_b32_e32 v23, 0x3b800000
	v_lshlrev_b32_e32 v20, 20, v20
	v_and_b32_e32 v22, 0x80000000, v22
	v_lshl_add_u32 v21, v21, 23, v23
	v_or3_b32 v20, v22, v21, v20
.LBB44_1556:
	s_or_b64 exec, exec, s[6:7]
	s_movk_i32 s4, 0xff
	v_and_b32_sdwa v21, v10, s4 dst_sel:DWORD dst_unused:UNUSED_PAD src0_sel:WORD_1 src1_sel:DWORD
	s_movk_i32 s4, 0x7f
	v_cmp_lt_i16_e32 vcc, s4, v21
	s_mov_b64 s[4:5], 0
                                        ; implicit-def: $sgpr10
	s_and_saveexec_b64 s[6:7], vcc
	s_xor_b64 s[6:7], exec, s[6:7]
	s_cbranch_execnz .LBB44_3605
; %bb.1557:
	s_or_saveexec_b64 s[6:7], s[6:7]
	v_mov_b32_e32 v22, s10
	s_xor_b64 exec, exec, s[6:7]
	s_cbranch_execnz .LBB44_3608
.LBB44_1558:
	s_or_b64 exec, exec, s[6:7]
	s_and_saveexec_b64 s[6:7], s[4:5]
	s_cbranch_execz .LBB44_1560
.LBB44_1559:
	v_bfe_u32 v21, v10, 16, 3
	v_ffbh_u32_e32 v24, v21
	v_min_u32_e32 v24, 32, v24
	v_lshrrev_b32_e32 v22, 19, v10
	v_subrev_u32_e32 v25, 28, v24
	v_and_b32_e32 v22, 15, v22
	v_lshlrev_b32_sdwa v25, v25, v10 dst_sel:DWORD dst_unused:UNUSED_PAD src0_sel:DWORD src1_sel:WORD_1
	v_bfe_u32 v23, v10, 19, 4
	v_sub_u32_e32 v24, 29, v24
	v_and_b32_e32 v25, 7, v25
	v_cmp_eq_u16_e32 vcc, 0, v22
	v_cndmask_b32_e32 v21, v21, v25, vcc
	v_cndmask_b32_e32 v22, v23, v24, vcc
	v_lshlrev_b32_e32 v23, 8, v10
	v_mov_b32_e32 v24, 0x3b800000
	v_lshlrev_b32_e32 v21, 20, v21
	v_and_b32_e32 v23, 0x80000000, v23
	v_lshl_add_u32 v22, v22, 23, v24
	v_or3_b32 v22, v23, v22, v21
.LBB44_1560:
	s_or_b64 exec, exec, s[6:7]
	s_nop 0
	v_mfma_f32_16x16x4f32 a[0:3], v20, v22, a[0:3]
	s_movk_i32 s4, 0x7f
	v_cmp_gt_i16_sdwa s[6:7], v14, s4 src0_sel:BYTE_3 src1_sel:DWORD
	s_mov_b64 s[4:5], 0
                                        ; implicit-def: $sgpr10
	s_and_saveexec_b64 s[8:9], s[6:7]
	s_xor_b64 s[6:7], exec, s[8:9]
	s_cbranch_execnz .LBB44_3609
; %bb.1561:
	s_or_saveexec_b64 s[6:7], s[6:7]
	v_mov_b32_e32 v20, s10
	s_xor_b64 exec, exec, s[6:7]
	s_cbranch_execnz .LBB44_3612
.LBB44_1562:
	s_or_b64 exec, exec, s[6:7]
	s_and_saveexec_b64 s[6:7], s[4:5]
	s_cbranch_execz .LBB44_1564
.LBB44_1563:
	v_bfe_u32 v20, v14, 24, 3
	v_ffbh_u32_e32 v24, v20
	v_min_u32_e32 v24, 32, v24
	v_lshrrev_b32_e32 v22, 27, v14
	v_subrev_u32_e32 v25, 28, v24
	v_and_b32_e32 v21, 0x80000000, v14
	v_and_b32_e32 v22, 15, v22
	v_bfe_u32 v23, v14, 27, 4
	v_lshlrev_b32_sdwa v14, v25, v14 dst_sel:DWORD dst_unused:UNUSED_PAD src0_sel:DWORD src1_sel:BYTE_3
	v_sub_u32_e32 v24, 29, v24
	v_and_b32_e32 v14, 7, v14
	v_cmp_eq_u16_e32 vcc, 0, v22
	v_cndmask_b32_e32 v14, v20, v14, vcc
	v_cndmask_b32_e32 v20, v23, v24, vcc
	v_mov_b32_e32 v22, 0x3b800000
	v_lshlrev_b32_e32 v14, 20, v14
	v_lshl_add_u32 v20, v20, 23, v22
	v_or3_b32 v20, v21, v20, v14
.LBB44_1564:
	s_or_b64 exec, exec, s[6:7]
	s_movk_i32 s4, 0x7f
	v_cmp_gt_i16_sdwa s[6:7], v10, s4 src0_sel:BYTE_3 src1_sel:DWORD
	s_mov_b64 s[4:5], 0
                                        ; implicit-def: $sgpr10
	s_and_saveexec_b64 s[8:9], s[6:7]
	s_xor_b64 s[6:7], exec, s[8:9]
	s_cbranch_execnz .LBB44_3613
; %bb.1565:
	s_or_saveexec_b64 s[6:7], s[6:7]
	v_mov_b32_e32 v14, s10
	s_xor_b64 exec, exec, s[6:7]
	s_cbranch_execnz .LBB44_3616
.LBB44_1566:
	s_or_b64 exec, exec, s[6:7]
	s_and_saveexec_b64 s[6:7], s[4:5]
	s_cbranch_execz .LBB44_1568
.LBB44_1567:
	v_bfe_u32 v14, v10, 24, 3
	v_ffbh_u32_e32 v24, v14
	v_min_u32_e32 v24, 32, v24
	v_lshrrev_b32_e32 v22, 27, v10
	v_subrev_u32_e32 v25, 28, v24
	v_and_b32_e32 v21, 0x80000000, v10
	v_and_b32_e32 v22, 15, v22
	v_bfe_u32 v23, v10, 27, 4
	v_lshlrev_b32_sdwa v10, v25, v10 dst_sel:DWORD dst_unused:UNUSED_PAD src0_sel:DWORD src1_sel:BYTE_3
	v_sub_u32_e32 v24, 29, v24
	v_and_b32_e32 v10, 7, v10
	v_cmp_eq_u16_e32 vcc, 0, v22
	v_cndmask_b32_e32 v10, v14, v10, vcc
	v_cndmask_b32_e32 v14, v23, v24, vcc
	v_mov_b32_e32 v22, 0x3b800000
	v_lshlrev_b32_e32 v10, 20, v10
	v_lshl_add_u32 v14, v14, 23, v22
	v_or3_b32 v14, v21, v14, v10
.LBB44_1568:
	s_or_b64 exec, exec, s[6:7]
	s_nop 0
	v_mfma_f32_16x16x4f32 a[0:3], v20, v14, a[0:3]
	s_movk_i32 s4, 0x7f
	v_cmp_gt_i16_sdwa s[6:7], v15, s4 src0_sel:BYTE_0 src1_sel:DWORD
	s_mov_b64 s[4:5], 0
                                        ; implicit-def: $sgpr10
	s_and_saveexec_b64 s[8:9], s[6:7]
	s_xor_b64 s[6:7], exec, s[8:9]
	s_cbranch_execnz .LBB44_3617
; %bb.1569:
	s_or_saveexec_b64 s[6:7], s[6:7]
	v_mov_b32_e32 v10, s10
	s_xor_b64 exec, exec, s[6:7]
	s_cbranch_execnz .LBB44_3620
.LBB44_1570:
	s_or_b64 exec, exec, s[6:7]
	s_and_saveexec_b64 s[6:7], s[4:5]
	s_cbranch_execz .LBB44_1572
.LBB44_1571:
	v_and_b32_e32 v10, 7, v15
	v_ffbh_u32_e32 v20, v10
	v_min_u32_e32 v20, 32, v20
	v_lshrrev_b16_e32 v14, 3, v15
	v_subrev_u32_e32 v21, 28, v20
	v_and_b32_e32 v14, 15, v14
	v_lshlrev_b32_e32 v21, v21, v15
	v_sub_u32_e32 v20, 29, v20
	v_and_b32_e32 v21, 7, v21
	v_cmp_eq_u16_e32 vcc, 0, v14
	v_cndmask_b32_e32 v10, v10, v21, vcc
	v_cndmask_b32_e32 v14, v14, v20, vcc
	v_lshlrev_b32_e32 v20, 24, v15
	v_mov_b32_e32 v21, 0x3b800000
	v_lshlrev_b32_e32 v10, 20, v10
	v_and_b32_e32 v20, 0x80000000, v20
	v_lshl_add_u32 v14, v14, 23, v21
	v_or3_b32 v10, v20, v14, v10
.LBB44_1572:
	s_or_b64 exec, exec, s[6:7]
	s_movk_i32 s4, 0x7f
	v_cmp_gt_i16_sdwa s[6:7], v11, s4 src0_sel:BYTE_0 src1_sel:DWORD
	s_mov_b64 s[4:5], 0
                                        ; implicit-def: $sgpr10
	s_and_saveexec_b64 s[8:9], s[6:7]
	s_xor_b64 s[6:7], exec, s[8:9]
	s_cbranch_execnz .LBB44_3621
; %bb.1573:
	s_or_saveexec_b64 s[6:7], s[6:7]
	v_mov_b32_e32 v14, s10
	s_xor_b64 exec, exec, s[6:7]
	s_cbranch_execnz .LBB44_3624
.LBB44_1574:
	s_or_b64 exec, exec, s[6:7]
	s_and_saveexec_b64 s[6:7], s[4:5]
	s_cbranch_execz .LBB44_1576
.LBB44_1575:
	v_and_b32_e32 v14, 7, v11
	v_ffbh_u32_e32 v21, v14
	v_min_u32_e32 v21, 32, v21
	v_lshrrev_b16_e32 v20, 3, v11
	v_subrev_u32_e32 v22, 28, v21
	v_and_b32_e32 v20, 15, v20
	v_lshlrev_b32_e32 v22, v22, v11
	v_sub_u32_e32 v21, 29, v21
	v_and_b32_e32 v22, 7, v22
	v_cmp_eq_u16_e32 vcc, 0, v20
	v_cndmask_b32_e32 v14, v14, v22, vcc
	v_cndmask_b32_e32 v20, v20, v21, vcc
	v_lshlrev_b32_e32 v21, 24, v11
	v_mov_b32_e32 v22, 0x3b800000
	v_lshlrev_b32_e32 v14, 20, v14
	v_and_b32_e32 v21, 0x80000000, v21
	v_lshl_add_u32 v20, v20, 23, v22
	v_or3_b32 v14, v21, v20, v14
.LBB44_1576:
	s_or_b64 exec, exec, s[6:7]
	s_nop 0
	v_mfma_f32_16x16x4f32 a[0:3], v10, v14, a[0:3]
	v_lshrrev_b32_e32 v14, 8, v15
	s_movk_i32 s4, 0x7f
	v_cmp_gt_i16_sdwa s[6:7], v14, s4 src0_sel:BYTE_0 src1_sel:DWORD
	s_mov_b64 s[4:5], 0
                                        ; implicit-def: $sgpr10
	s_and_saveexec_b64 s[8:9], s[6:7]
	s_xor_b64 s[6:7], exec, s[8:9]
	s_cbranch_execnz .LBB44_3625
; %bb.1577:
	s_or_saveexec_b64 s[6:7], s[6:7]
	v_mov_b32_e32 v10, s10
	s_xor_b64 exec, exec, s[6:7]
	s_cbranch_execnz .LBB44_3628
.LBB44_1578:
	s_or_b64 exec, exec, s[6:7]
	s_and_saveexec_b64 s[6:7], s[4:5]
	s_cbranch_execz .LBB44_1580
.LBB44_1579:
	v_bfe_u32 v10, v15, 8, 3
	v_ffbh_u32_e32 v21, v10
	v_min_u32_e32 v21, 32, v21
	v_lshrrev_b16_e32 v20, 3, v14
	v_subrev_u32_e32 v22, 28, v21
	v_and_b32_e32 v20, 15, v20
	v_lshlrev_b32_e32 v14, v22, v14
	v_sub_u32_e32 v21, 29, v21
	v_and_b32_e32 v14, 7, v14
	v_cmp_eq_u16_e32 vcc, 0, v20
	v_cndmask_b32_e32 v10, v10, v14, vcc
	v_cndmask_b32_e32 v14, v20, v21, vcc
	v_lshlrev_b32_e32 v20, 16, v15
	v_mov_b32_e32 v21, 0x3b800000
	v_lshlrev_b32_e32 v10, 20, v10
	v_and_b32_e32 v20, 0x80000000, v20
	v_lshl_add_u32 v14, v14, 23, v21
	v_or3_b32 v10, v20, v14, v10
.LBB44_1580:
	s_or_b64 exec, exec, s[6:7]
	v_lshrrev_b32_e32 v14, 8, v11
	s_movk_i32 s4, 0x7f
	v_cmp_gt_i16_sdwa s[6:7], v14, s4 src0_sel:BYTE_0 src1_sel:DWORD
	s_mov_b64 s[4:5], 0
                                        ; implicit-def: $sgpr10
	s_and_saveexec_b64 s[8:9], s[6:7]
	s_xor_b64 s[6:7], exec, s[8:9]
	s_cbranch_execnz .LBB44_3629
; %bb.1581:
	s_or_saveexec_b64 s[6:7], s[6:7]
	v_mov_b32_e32 v20, s10
	s_xor_b64 exec, exec, s[6:7]
	s_cbranch_execnz .LBB44_3632
.LBB44_1582:
	s_or_b64 exec, exec, s[6:7]
	s_and_saveexec_b64 s[6:7], s[4:5]
	s_cbranch_execz .LBB44_1584
.LBB44_1583:
	v_bfe_u32 v20, v11, 8, 3
	v_ffbh_u32_e32 v22, v20
	v_min_u32_e32 v22, 32, v22
	v_lshrrev_b16_e32 v21, 3, v14
	v_subrev_u32_e32 v23, 28, v22
	v_and_b32_e32 v21, 15, v21
	v_lshlrev_b32_e32 v14, v23, v14
	v_sub_u32_e32 v22, 29, v22
	v_and_b32_e32 v14, 7, v14
	v_cmp_eq_u16_e32 vcc, 0, v21
	v_cndmask_b32_e32 v14, v20, v14, vcc
	v_cndmask_b32_e32 v20, v21, v22, vcc
	v_lshlrev_b32_e32 v21, 16, v11
	v_mov_b32_e32 v22, 0x3b800000
	v_lshlrev_b32_e32 v14, 20, v14
	v_and_b32_e32 v21, 0x80000000, v21
	v_lshl_add_u32 v20, v20, 23, v22
	v_or3_b32 v20, v21, v20, v14
.LBB44_1584:
	s_or_b64 exec, exec, s[6:7]
	s_nop 0
	v_mfma_f32_16x16x4f32 a[0:3], v10, v20, a[0:3]
	s_movk_i32 s4, 0xff
	v_and_b32_sdwa v14, v15, s4 dst_sel:DWORD dst_unused:UNUSED_PAD src0_sel:WORD_1 src1_sel:DWORD
	s_movk_i32 s4, 0x7f
	v_cmp_lt_i16_e32 vcc, s4, v14
	s_mov_b64 s[4:5], 0
                                        ; implicit-def: $sgpr10
	s_and_saveexec_b64 s[6:7], vcc
	s_xor_b64 s[6:7], exec, s[6:7]
	s_cbranch_execnz .LBB44_3633
; %bb.1585:
	s_or_saveexec_b64 s[6:7], s[6:7]
	v_mov_b32_e32 v10, s10
	s_xor_b64 exec, exec, s[6:7]
	s_cbranch_execnz .LBB44_3636
.LBB44_1586:
	s_or_b64 exec, exec, s[6:7]
	s_and_saveexec_b64 s[6:7], s[4:5]
	s_cbranch_execz .LBB44_1588
.LBB44_1587:
	v_bfe_u32 v10, v15, 16, 3
	v_ffbh_u32_e32 v21, v10
	v_min_u32_e32 v21, 32, v21
	v_lshrrev_b32_e32 v14, 19, v15
	v_subrev_u32_e32 v22, 28, v21
	v_and_b32_e32 v14, 15, v14
	v_lshlrev_b32_sdwa v22, v22, v15 dst_sel:DWORD dst_unused:UNUSED_PAD src0_sel:DWORD src1_sel:WORD_1
	v_bfe_u32 v20, v15, 19, 4
	v_sub_u32_e32 v21, 29, v21
	v_and_b32_e32 v22, 7, v22
	v_cmp_eq_u16_e32 vcc, 0, v14
	v_cndmask_b32_e32 v10, v10, v22, vcc
	v_cndmask_b32_e32 v14, v20, v21, vcc
	v_lshlrev_b32_e32 v20, 8, v15
	v_mov_b32_e32 v21, 0x3b800000
	v_lshlrev_b32_e32 v10, 20, v10
	v_and_b32_e32 v20, 0x80000000, v20
	v_lshl_add_u32 v14, v14, 23, v21
	v_or3_b32 v10, v20, v14, v10
.LBB44_1588:
	s_or_b64 exec, exec, s[6:7]
	s_movk_i32 s4, 0xff
	v_and_b32_sdwa v14, v11, s4 dst_sel:DWORD dst_unused:UNUSED_PAD src0_sel:WORD_1 src1_sel:DWORD
	s_movk_i32 s4, 0x7f
	v_cmp_lt_i16_e32 vcc, s4, v14
	s_mov_b64 s[4:5], 0
                                        ; implicit-def: $sgpr10
	s_and_saveexec_b64 s[6:7], vcc
	s_xor_b64 s[6:7], exec, s[6:7]
	s_cbranch_execnz .LBB44_3637
; %bb.1589:
	s_or_saveexec_b64 s[6:7], s[6:7]
	v_mov_b32_e32 v20, s10
	s_xor_b64 exec, exec, s[6:7]
	s_cbranch_execnz .LBB44_3640
.LBB44_1590:
	s_or_b64 exec, exec, s[6:7]
	s_and_saveexec_b64 s[6:7], s[4:5]
	s_cbranch_execz .LBB44_1592
.LBB44_1591:
	v_bfe_u32 v14, v11, 16, 3
	v_ffbh_u32_e32 v22, v14
	v_min_u32_e32 v22, 32, v22
	v_lshrrev_b32_e32 v20, 19, v11
	v_subrev_u32_e32 v23, 28, v22
	v_and_b32_e32 v20, 15, v20
	v_lshlrev_b32_sdwa v23, v23, v11 dst_sel:DWORD dst_unused:UNUSED_PAD src0_sel:DWORD src1_sel:WORD_1
	v_bfe_u32 v21, v11, 19, 4
	v_sub_u32_e32 v22, 29, v22
	v_and_b32_e32 v23, 7, v23
	v_cmp_eq_u16_e32 vcc, 0, v20
	v_cndmask_b32_e32 v14, v14, v23, vcc
	v_cndmask_b32_e32 v20, v21, v22, vcc
	v_lshlrev_b32_e32 v21, 8, v11
	v_mov_b32_e32 v22, 0x3b800000
	v_lshlrev_b32_e32 v14, 20, v14
	v_and_b32_e32 v21, 0x80000000, v21
	v_lshl_add_u32 v20, v20, 23, v22
	v_or3_b32 v20, v21, v20, v14
.LBB44_1592:
	s_or_b64 exec, exec, s[6:7]
	s_nop 0
	v_mfma_f32_16x16x4f32 a[0:3], v10, v20, a[0:3]
	s_movk_i32 s4, 0x7f
	v_cmp_gt_i16_sdwa s[6:7], v15, s4 src0_sel:BYTE_3 src1_sel:DWORD
	s_mov_b64 s[4:5], 0
                                        ; implicit-def: $sgpr10
	s_and_saveexec_b64 s[8:9], s[6:7]
	s_xor_b64 s[6:7], exec, s[8:9]
	s_cbranch_execnz .LBB44_3641
; %bb.1593:
	s_or_saveexec_b64 s[6:7], s[6:7]
	v_mov_b32_e32 v10, s10
	s_xor_b64 exec, exec, s[6:7]
	s_cbranch_execnz .LBB44_3644
.LBB44_1594:
	s_or_b64 exec, exec, s[6:7]
	s_and_saveexec_b64 s[6:7], s[4:5]
	s_cbranch_execz .LBB44_1596
.LBB44_1595:
	v_bfe_u32 v10, v15, 24, 3
	v_ffbh_u32_e32 v22, v10
	v_min_u32_e32 v22, 32, v22
	v_lshrrev_b32_e32 v20, 27, v15
	v_subrev_u32_e32 v23, 28, v22
	v_and_b32_e32 v14, 0x80000000, v15
	v_and_b32_e32 v20, 15, v20
	v_bfe_u32 v21, v15, 27, 4
	v_lshlrev_b32_sdwa v15, v23, v15 dst_sel:DWORD dst_unused:UNUSED_PAD src0_sel:DWORD src1_sel:BYTE_3
	v_sub_u32_e32 v22, 29, v22
	v_and_b32_e32 v15, 7, v15
	v_cmp_eq_u16_e32 vcc, 0, v20
	v_cndmask_b32_e32 v10, v10, v15, vcc
	v_cndmask_b32_e32 v15, v21, v22, vcc
	v_mov_b32_e32 v20, 0x3b800000
	v_lshlrev_b32_e32 v10, 20, v10
	v_lshl_add_u32 v15, v15, 23, v20
	v_or3_b32 v10, v14, v15, v10
.LBB44_1596:
	s_or_b64 exec, exec, s[6:7]
	s_movk_i32 s4, 0x7f
	v_cmp_gt_i16_sdwa s[6:7], v11, s4 src0_sel:BYTE_3 src1_sel:DWORD
	s_mov_b64 s[4:5], 0
                                        ; implicit-def: $sgpr10
	s_and_saveexec_b64 s[8:9], s[6:7]
	s_xor_b64 s[6:7], exec, s[8:9]
	s_cbranch_execnz .LBB44_3645
; %bb.1597:
	s_or_saveexec_b64 s[6:7], s[6:7]
	v_mov_b32_e32 v14, s10
	s_xor_b64 exec, exec, s[6:7]
	s_cbranch_execnz .LBB44_3648
.LBB44_1598:
	s_or_b64 exec, exec, s[6:7]
	s_and_saveexec_b64 s[6:7], s[4:5]
	s_cbranch_execz .LBB44_1600
.LBB44_1599:
	v_bfe_u32 v14, v11, 24, 3
	v_ffbh_u32_e32 v22, v14
	v_min_u32_e32 v22, 32, v22
	v_lshrrev_b32_e32 v20, 27, v11
	v_subrev_u32_e32 v23, 28, v22
	v_and_b32_e32 v15, 0x80000000, v11
	v_and_b32_e32 v20, 15, v20
	v_bfe_u32 v21, v11, 27, 4
	v_lshlrev_b32_sdwa v11, v23, v11 dst_sel:DWORD dst_unused:UNUSED_PAD src0_sel:DWORD src1_sel:BYTE_3
	v_sub_u32_e32 v22, 29, v22
	v_and_b32_e32 v11, 7, v11
	v_cmp_eq_u16_e32 vcc, 0, v20
	v_cndmask_b32_e32 v11, v14, v11, vcc
	v_cndmask_b32_e32 v14, v21, v22, vcc
	v_mov_b32_e32 v20, 0x3b800000
	v_lshlrev_b32_e32 v11, 20, v11
	v_lshl_add_u32 v14, v14, 23, v20
	v_or3_b32 v14, v15, v14, v11
.LBB44_1600:
	s_or_b64 exec, exec, s[6:7]
	s_nop 0
	v_mfma_f32_16x16x4f32 a[0:3], v10, v14, a[0:3]
	s_movk_i32 s4, 0x7f
	v_cmp_gt_i16_sdwa s[6:7], v16, s4 src0_sel:BYTE_0 src1_sel:DWORD
	s_mov_b64 s[4:5], 0
                                        ; implicit-def: $sgpr10
	s_and_saveexec_b64 s[8:9], s[6:7]
	s_xor_b64 s[6:7], exec, s[8:9]
	s_cbranch_execnz .LBB44_3649
; %bb.1601:
	s_or_saveexec_b64 s[6:7], s[6:7]
	v_mov_b32_e32 v10, s10
	s_xor_b64 exec, exec, s[6:7]
	s_cbranch_execnz .LBB44_3652
.LBB44_1602:
	s_or_b64 exec, exec, s[6:7]
	s_and_saveexec_b64 s[6:7], s[4:5]
	s_cbranch_execz .LBB44_1604
.LBB44_1603:
	v_and_b32_e32 v10, 7, v16
	v_ffbh_u32_e32 v14, v10
	v_min_u32_e32 v14, 32, v14
	v_lshrrev_b16_e32 v11, 3, v16
	v_subrev_u32_e32 v15, 28, v14
	v_and_b32_e32 v11, 15, v11
	v_lshlrev_b32_e32 v15, v15, v16
	v_sub_u32_e32 v14, 29, v14
	v_and_b32_e32 v15, 7, v15
	v_cmp_eq_u16_e32 vcc, 0, v11
	v_cndmask_b32_e32 v10, v10, v15, vcc
	v_cndmask_b32_e32 v11, v11, v14, vcc
	v_lshlrev_b32_e32 v14, 24, v16
	v_mov_b32_e32 v15, 0x3b800000
	v_lshlrev_b32_e32 v10, 20, v10
	v_and_b32_e32 v14, 0x80000000, v14
	v_lshl_add_u32 v11, v11, 23, v15
	v_or3_b32 v10, v14, v11, v10
.LBB44_1604:
	s_or_b64 exec, exec, s[6:7]
	s_movk_i32 s4, 0x7f
	v_cmp_gt_i16_sdwa s[6:7], v12, s4 src0_sel:BYTE_0 src1_sel:DWORD
	s_mov_b64 s[4:5], 0
                                        ; implicit-def: $sgpr10
	s_and_saveexec_b64 s[8:9], s[6:7]
	s_xor_b64 s[6:7], exec, s[8:9]
	s_cbranch_execnz .LBB44_3653
; %bb.1605:
	s_or_saveexec_b64 s[6:7], s[6:7]
	v_mov_b32_e32 v11, s10
	s_xor_b64 exec, exec, s[6:7]
	s_cbranch_execnz .LBB44_3656
.LBB44_1606:
	s_or_b64 exec, exec, s[6:7]
	s_and_saveexec_b64 s[6:7], s[4:5]
	s_cbranch_execz .LBB44_1608
.LBB44_1607:
	v_and_b32_e32 v11, 7, v12
	v_ffbh_u32_e32 v15, v11
	v_min_u32_e32 v15, 32, v15
	v_lshrrev_b16_e32 v14, 3, v12
	v_subrev_u32_e32 v20, 28, v15
	v_and_b32_e32 v14, 15, v14
	v_lshlrev_b32_e32 v20, v20, v12
	v_sub_u32_e32 v15, 29, v15
	v_and_b32_e32 v20, 7, v20
	v_cmp_eq_u16_e32 vcc, 0, v14
	v_cndmask_b32_e32 v11, v11, v20, vcc
	v_cndmask_b32_e32 v14, v14, v15, vcc
	v_lshlrev_b32_e32 v15, 24, v12
	v_mov_b32_e32 v20, 0x3b800000
	v_lshlrev_b32_e32 v11, 20, v11
	v_and_b32_e32 v15, 0x80000000, v15
	v_lshl_add_u32 v14, v14, 23, v20
	v_or3_b32 v11, v15, v14, v11
.LBB44_1608:
	s_or_b64 exec, exec, s[6:7]
	s_nop 0
	v_mfma_f32_16x16x4f32 a[0:3], v10, v11, a[0:3]
	v_lshrrev_b32_e32 v11, 8, v16
	s_movk_i32 s4, 0x7f
	v_cmp_gt_i16_sdwa s[6:7], v11, s4 src0_sel:BYTE_0 src1_sel:DWORD
	s_mov_b64 s[4:5], 0
                                        ; implicit-def: $sgpr10
	s_and_saveexec_b64 s[8:9], s[6:7]
	s_xor_b64 s[6:7], exec, s[8:9]
	s_cbranch_execnz .LBB44_3657
; %bb.1609:
	s_or_saveexec_b64 s[6:7], s[6:7]
	v_mov_b32_e32 v10, s10
	s_xor_b64 exec, exec, s[6:7]
	s_cbranch_execnz .LBB44_3660
.LBB44_1610:
	s_or_b64 exec, exec, s[6:7]
	s_and_saveexec_b64 s[6:7], s[4:5]
	s_cbranch_execz .LBB44_1612
.LBB44_1611:
	v_bfe_u32 v10, v16, 8, 3
	v_ffbh_u32_e32 v15, v10
	v_min_u32_e32 v15, 32, v15
	v_lshrrev_b16_e32 v14, 3, v11
	v_subrev_u32_e32 v20, 28, v15
	v_and_b32_e32 v14, 15, v14
	v_lshlrev_b32_e32 v11, v20, v11
	v_sub_u32_e32 v15, 29, v15
	v_and_b32_e32 v11, 7, v11
	v_cmp_eq_u16_e32 vcc, 0, v14
	v_cndmask_b32_e32 v10, v10, v11, vcc
	v_cndmask_b32_e32 v11, v14, v15, vcc
	v_lshlrev_b32_e32 v14, 16, v16
	v_mov_b32_e32 v15, 0x3b800000
	v_lshlrev_b32_e32 v10, 20, v10
	v_and_b32_e32 v14, 0x80000000, v14
	v_lshl_add_u32 v11, v11, 23, v15
	v_or3_b32 v10, v14, v11, v10
.LBB44_1612:
	s_or_b64 exec, exec, s[6:7]
	v_lshrrev_b32_e32 v11, 8, v12
	s_movk_i32 s4, 0x7f
	v_cmp_gt_i16_sdwa s[6:7], v11, s4 src0_sel:BYTE_0 src1_sel:DWORD
	s_mov_b64 s[4:5], 0
                                        ; implicit-def: $sgpr10
	s_and_saveexec_b64 s[8:9], s[6:7]
	s_xor_b64 s[6:7], exec, s[8:9]
	s_cbranch_execnz .LBB44_3661
; %bb.1613:
	s_or_saveexec_b64 s[6:7], s[6:7]
	v_mov_b32_e32 v14, s10
	s_xor_b64 exec, exec, s[6:7]
	s_cbranch_execnz .LBB44_3664
.LBB44_1614:
	s_or_b64 exec, exec, s[6:7]
	s_and_saveexec_b64 s[6:7], s[4:5]
	s_cbranch_execz .LBB44_1616
.LBB44_1615:
	v_bfe_u32 v14, v12, 8, 3
	v_ffbh_u32_e32 v20, v14
	v_min_u32_e32 v20, 32, v20
	v_lshrrev_b16_e32 v15, 3, v11
	v_subrev_u32_e32 v21, 28, v20
	v_and_b32_e32 v15, 15, v15
	v_lshlrev_b32_e32 v11, v21, v11
	v_sub_u32_e32 v20, 29, v20
	v_and_b32_e32 v11, 7, v11
	v_cmp_eq_u16_e32 vcc, 0, v15
	v_cndmask_b32_e32 v11, v14, v11, vcc
	v_cndmask_b32_e32 v14, v15, v20, vcc
	v_lshlrev_b32_e32 v15, 16, v12
	v_mov_b32_e32 v20, 0x3b800000
	v_lshlrev_b32_e32 v11, 20, v11
	v_and_b32_e32 v15, 0x80000000, v15
	v_lshl_add_u32 v14, v14, 23, v20
	v_or3_b32 v14, v15, v14, v11
.LBB44_1616:
	s_or_b64 exec, exec, s[6:7]
	s_nop 0
	v_mfma_f32_16x16x4f32 a[0:3], v10, v14, a[0:3]
	s_movk_i32 s4, 0xff
	v_and_b32_sdwa v11, v16, s4 dst_sel:DWORD dst_unused:UNUSED_PAD src0_sel:WORD_1 src1_sel:DWORD
	s_movk_i32 s4, 0x7f
	v_cmp_lt_i16_e32 vcc, s4, v11
	s_mov_b64 s[4:5], 0
                                        ; implicit-def: $sgpr10
	s_and_saveexec_b64 s[6:7], vcc
	s_xor_b64 s[6:7], exec, s[6:7]
	s_cbranch_execnz .LBB44_3665
; %bb.1617:
	s_or_saveexec_b64 s[6:7], s[6:7]
	v_mov_b32_e32 v10, s10
	s_xor_b64 exec, exec, s[6:7]
	s_cbranch_execnz .LBB44_3668
.LBB44_1618:
	s_or_b64 exec, exec, s[6:7]
	s_and_saveexec_b64 s[6:7], s[4:5]
	s_cbranch_execz .LBB44_1620
.LBB44_1619:
	v_bfe_u32 v10, v16, 16, 3
	v_ffbh_u32_e32 v15, v10
	v_min_u32_e32 v15, 32, v15
	v_lshrrev_b32_e32 v11, 19, v16
	v_subrev_u32_e32 v20, 28, v15
	v_and_b32_e32 v11, 15, v11
	v_lshlrev_b32_sdwa v20, v20, v16 dst_sel:DWORD dst_unused:UNUSED_PAD src0_sel:DWORD src1_sel:WORD_1
	v_bfe_u32 v14, v16, 19, 4
	v_sub_u32_e32 v15, 29, v15
	v_and_b32_e32 v20, 7, v20
	v_cmp_eq_u16_e32 vcc, 0, v11
	v_cndmask_b32_e32 v10, v10, v20, vcc
	v_cndmask_b32_e32 v11, v14, v15, vcc
	v_lshlrev_b32_e32 v14, 8, v16
	v_mov_b32_e32 v15, 0x3b800000
	v_lshlrev_b32_e32 v10, 20, v10
	v_and_b32_e32 v14, 0x80000000, v14
	v_lshl_add_u32 v11, v11, 23, v15
	v_or3_b32 v10, v14, v11, v10
.LBB44_1620:
	s_or_b64 exec, exec, s[6:7]
	s_movk_i32 s4, 0xff
	v_and_b32_sdwa v11, v12, s4 dst_sel:DWORD dst_unused:UNUSED_PAD src0_sel:WORD_1 src1_sel:DWORD
	s_movk_i32 s4, 0x7f
	v_cmp_lt_i16_e32 vcc, s4, v11
	s_mov_b64 s[4:5], 0
                                        ; implicit-def: $sgpr10
	s_and_saveexec_b64 s[6:7], vcc
	s_xor_b64 s[6:7], exec, s[6:7]
	s_cbranch_execnz .LBB44_3669
; %bb.1621:
	s_or_saveexec_b64 s[6:7], s[6:7]
	v_mov_b32_e32 v14, s10
	s_xor_b64 exec, exec, s[6:7]
	s_cbranch_execnz .LBB44_3672
.LBB44_1622:
	s_or_b64 exec, exec, s[6:7]
	s_and_saveexec_b64 s[6:7], s[4:5]
	s_cbranch_execz .LBB44_1624
.LBB44_1623:
	v_bfe_u32 v11, v12, 16, 3
	v_ffbh_u32_e32 v20, v11
	v_min_u32_e32 v20, 32, v20
	v_lshrrev_b32_e32 v14, 19, v12
	v_subrev_u32_e32 v21, 28, v20
	v_and_b32_e32 v14, 15, v14
	v_lshlrev_b32_sdwa v21, v21, v12 dst_sel:DWORD dst_unused:UNUSED_PAD src0_sel:DWORD src1_sel:WORD_1
	v_bfe_u32 v15, v12, 19, 4
	v_sub_u32_e32 v20, 29, v20
	v_and_b32_e32 v21, 7, v21
	v_cmp_eq_u16_e32 vcc, 0, v14
	v_cndmask_b32_e32 v11, v11, v21, vcc
	v_cndmask_b32_e32 v14, v15, v20, vcc
	v_lshlrev_b32_e32 v15, 8, v12
	v_mov_b32_e32 v20, 0x3b800000
	v_lshlrev_b32_e32 v11, 20, v11
	v_and_b32_e32 v15, 0x80000000, v15
	v_lshl_add_u32 v14, v14, 23, v20
	v_or3_b32 v14, v15, v14, v11
.LBB44_1624:
	s_or_b64 exec, exec, s[6:7]
	s_nop 0
	v_mfma_f32_16x16x4f32 a[0:3], v10, v14, a[0:3]
	s_movk_i32 s4, 0x7f
	v_cmp_gt_i16_sdwa s[6:7], v16, s4 src0_sel:BYTE_3 src1_sel:DWORD
	s_mov_b64 s[4:5], 0
                                        ; implicit-def: $sgpr10
	s_and_saveexec_b64 s[8:9], s[6:7]
	s_xor_b64 s[6:7], exec, s[8:9]
	s_cbranch_execnz .LBB44_3673
; %bb.1625:
	s_or_saveexec_b64 s[6:7], s[6:7]
	v_mov_b32_e32 v10, s10
	s_xor_b64 exec, exec, s[6:7]
	s_cbranch_execnz .LBB44_3676
.LBB44_1626:
	s_or_b64 exec, exec, s[6:7]
	s_and_saveexec_b64 s[6:7], s[4:5]
	s_cbranch_execz .LBB44_1628
.LBB44_1627:
	v_bfe_u32 v10, v16, 24, 3
	v_ffbh_u32_e32 v20, v10
	v_min_u32_e32 v20, 32, v20
	v_lshrrev_b32_e32 v14, 27, v16
	v_subrev_u32_e32 v21, 28, v20
	v_and_b32_e32 v11, 0x80000000, v16
	v_and_b32_e32 v14, 15, v14
	v_bfe_u32 v15, v16, 27, 4
	v_lshlrev_b32_sdwa v16, v21, v16 dst_sel:DWORD dst_unused:UNUSED_PAD src0_sel:DWORD src1_sel:BYTE_3
	v_sub_u32_e32 v20, 29, v20
	v_and_b32_e32 v16, 7, v16
	v_cmp_eq_u16_e32 vcc, 0, v14
	v_cndmask_b32_e32 v10, v10, v16, vcc
	v_cndmask_b32_e32 v14, v15, v20, vcc
	v_mov_b32_e32 v15, 0x3b800000
	v_lshlrev_b32_e32 v10, 20, v10
	v_lshl_add_u32 v14, v14, 23, v15
	v_or3_b32 v10, v11, v14, v10
.LBB44_1628:
	s_or_b64 exec, exec, s[6:7]
	s_movk_i32 s4, 0x7f
	v_cmp_gt_i16_sdwa s[6:7], v12, s4 src0_sel:BYTE_3 src1_sel:DWORD
	s_mov_b64 s[4:5], 0
                                        ; implicit-def: $sgpr10
	s_and_saveexec_b64 s[8:9], s[6:7]
	s_xor_b64 s[6:7], exec, s[8:9]
	s_cbranch_execnz .LBB44_3677
; %bb.1629:
	s_or_saveexec_b64 s[6:7], s[6:7]
	v_mov_b32_e32 v11, s10
	s_xor_b64 exec, exec, s[6:7]
	s_cbranch_execnz .LBB44_3680
.LBB44_1630:
	s_or_b64 exec, exec, s[6:7]
	s_and_saveexec_b64 s[6:7], s[4:5]
	s_cbranch_execz .LBB44_1632
.LBB44_1631:
	v_bfe_u32 v11, v12, 24, 3
	v_ffbh_u32_e32 v20, v11
	v_min_u32_e32 v20, 32, v20
	v_lshrrev_b32_e32 v15, 27, v12
	v_subrev_u32_e32 v21, 28, v20
	v_and_b32_e32 v14, 0x80000000, v12
	v_and_b32_e32 v15, 15, v15
	v_bfe_u32 v16, v12, 27, 4
	v_lshlrev_b32_sdwa v12, v21, v12 dst_sel:DWORD dst_unused:UNUSED_PAD src0_sel:DWORD src1_sel:BYTE_3
	v_sub_u32_e32 v20, 29, v20
	v_and_b32_e32 v12, 7, v12
	v_cmp_eq_u16_e32 vcc, 0, v15
	v_cndmask_b32_e32 v11, v11, v12, vcc
	v_cndmask_b32_e32 v12, v16, v20, vcc
	v_mov_b32_e32 v15, 0x3b800000
	v_lshlrev_b32_e32 v11, 20, v11
	v_lshl_add_u32 v12, v12, 23, v15
	v_or3_b32 v11, v14, v12, v11
.LBB44_1632:
	s_or_b64 exec, exec, s[6:7]
	s_nop 0
	v_mfma_f32_16x16x4f32 a[0:3], v10, v11, a[0:3]
	s_movk_i32 s4, 0x7f
	v_cmp_gt_i16_sdwa s[6:7], v17, s4 src0_sel:BYTE_0 src1_sel:DWORD
	s_mov_b64 s[4:5], 0
                                        ; implicit-def: $sgpr10
	s_and_saveexec_b64 s[8:9], s[6:7]
	s_xor_b64 s[6:7], exec, s[8:9]
	s_cbranch_execnz .LBB44_3681
; %bb.1633:
	s_or_saveexec_b64 s[6:7], s[6:7]
	v_mov_b32_e32 v10, s10
	s_xor_b64 exec, exec, s[6:7]
	s_cbranch_execnz .LBB44_3684
.LBB44_1634:
	s_or_b64 exec, exec, s[6:7]
	s_and_saveexec_b64 s[6:7], s[4:5]
	s_cbranch_execz .LBB44_1636
.LBB44_1635:
	v_and_b32_e32 v10, 7, v17
	v_ffbh_u32_e32 v12, v10
	v_min_u32_e32 v12, 32, v12
	v_lshrrev_b16_e32 v11, 3, v17
	v_subrev_u32_e32 v14, 28, v12
	v_and_b32_e32 v11, 15, v11
	v_lshlrev_b32_e32 v14, v14, v17
	v_sub_u32_e32 v12, 29, v12
	v_and_b32_e32 v14, 7, v14
	v_cmp_eq_u16_e32 vcc, 0, v11
	v_cndmask_b32_e32 v10, v10, v14, vcc
	v_cndmask_b32_e32 v11, v11, v12, vcc
	v_lshlrev_b32_e32 v12, 24, v17
	v_mov_b32_e32 v14, 0x3b800000
	v_lshlrev_b32_e32 v10, 20, v10
	v_and_b32_e32 v12, 0x80000000, v12
	v_lshl_add_u32 v11, v11, 23, v14
	v_or3_b32 v10, v12, v11, v10
.LBB44_1636:
	s_or_b64 exec, exec, s[6:7]
	s_movk_i32 s4, 0x7f
	v_cmp_gt_i16_sdwa s[6:7], v13, s4 src0_sel:BYTE_0 src1_sel:DWORD
	s_mov_b64 s[4:5], 0
                                        ; implicit-def: $sgpr10
	s_and_saveexec_b64 s[8:9], s[6:7]
	s_xor_b64 s[6:7], exec, s[8:9]
	s_cbranch_execnz .LBB44_3685
; %bb.1637:
	s_or_saveexec_b64 s[6:7], s[6:7]
	v_mov_b32_e32 v11, s10
	s_xor_b64 exec, exec, s[6:7]
	s_cbranch_execnz .LBB44_3688
.LBB44_1638:
	s_or_b64 exec, exec, s[6:7]
	s_and_saveexec_b64 s[6:7], s[4:5]
	s_cbranch_execz .LBB44_1640
.LBB44_1639:
	v_and_b32_e32 v11, 7, v13
	v_ffbh_u32_e32 v14, v11
	v_min_u32_e32 v14, 32, v14
	v_lshrrev_b16_e32 v12, 3, v13
	v_subrev_u32_e32 v15, 28, v14
	v_and_b32_e32 v12, 15, v12
	v_lshlrev_b32_e32 v15, v15, v13
	v_sub_u32_e32 v14, 29, v14
	v_and_b32_e32 v15, 7, v15
	v_cmp_eq_u16_e32 vcc, 0, v12
	v_cndmask_b32_e32 v11, v11, v15, vcc
	v_cndmask_b32_e32 v12, v12, v14, vcc
	v_lshlrev_b32_e32 v14, 24, v13
	v_mov_b32_e32 v15, 0x3b800000
	v_lshlrev_b32_e32 v11, 20, v11
	v_and_b32_e32 v14, 0x80000000, v14
	v_lshl_add_u32 v12, v12, 23, v15
	v_or3_b32 v11, v14, v12, v11
.LBB44_1640:
	s_or_b64 exec, exec, s[6:7]
	s_nop 0
	v_mfma_f32_16x16x4f32 a[0:3], v10, v11, a[0:3]
	v_lshrrev_b32_e32 v11, 8, v17
	s_movk_i32 s4, 0x7f
	v_cmp_gt_i16_sdwa s[6:7], v11, s4 src0_sel:BYTE_0 src1_sel:DWORD
	s_mov_b64 s[4:5], 0
                                        ; implicit-def: $sgpr10
	s_and_saveexec_b64 s[8:9], s[6:7]
	s_xor_b64 s[6:7], exec, s[8:9]
	s_cbranch_execnz .LBB44_3689
; %bb.1641:
	s_or_saveexec_b64 s[6:7], s[6:7]
	v_mov_b32_e32 v10, s10
	s_xor_b64 exec, exec, s[6:7]
	s_cbranch_execnz .LBB44_3692
.LBB44_1642:
	s_or_b64 exec, exec, s[6:7]
	s_and_saveexec_b64 s[6:7], s[4:5]
	s_cbranch_execz .LBB44_1644
.LBB44_1643:
	v_bfe_u32 v10, v17, 8, 3
	v_ffbh_u32_e32 v14, v10
	v_min_u32_e32 v14, 32, v14
	v_lshrrev_b16_e32 v12, 3, v11
	v_subrev_u32_e32 v15, 28, v14
	v_and_b32_e32 v12, 15, v12
	v_lshlrev_b32_e32 v11, v15, v11
	v_sub_u32_e32 v14, 29, v14
	v_and_b32_e32 v11, 7, v11
	v_cmp_eq_u16_e32 vcc, 0, v12
	v_cndmask_b32_e32 v10, v10, v11, vcc
	v_cndmask_b32_e32 v11, v12, v14, vcc
	v_lshlrev_b32_e32 v12, 16, v17
	v_mov_b32_e32 v14, 0x3b800000
	v_lshlrev_b32_e32 v10, 20, v10
	v_and_b32_e32 v12, 0x80000000, v12
	v_lshl_add_u32 v11, v11, 23, v14
	v_or3_b32 v10, v12, v11, v10
.LBB44_1644:
	s_or_b64 exec, exec, s[6:7]
	v_lshrrev_b32_e32 v11, 8, v13
	s_movk_i32 s4, 0x7f
	v_cmp_gt_i16_sdwa s[6:7], v11, s4 src0_sel:BYTE_0 src1_sel:DWORD
	s_mov_b64 s[4:5], 0
                                        ; implicit-def: $sgpr10
	s_and_saveexec_b64 s[8:9], s[6:7]
	s_xor_b64 s[6:7], exec, s[8:9]
	s_cbranch_execnz .LBB44_3693
; %bb.1645:
	s_or_saveexec_b64 s[6:7], s[6:7]
	v_mov_b32_e32 v12, s10
	s_xor_b64 exec, exec, s[6:7]
	s_cbranch_execnz .LBB44_3696
.LBB44_1646:
	s_or_b64 exec, exec, s[6:7]
	s_and_saveexec_b64 s[6:7], s[4:5]
	s_cbranch_execz .LBB44_1648
.LBB44_1647:
	v_bfe_u32 v12, v13, 8, 3
	v_ffbh_u32_e32 v15, v12
	v_min_u32_e32 v15, 32, v15
	v_lshrrev_b16_e32 v14, 3, v11
	v_subrev_u32_e32 v16, 28, v15
	v_and_b32_e32 v14, 15, v14
	v_lshlrev_b32_e32 v11, v16, v11
	v_sub_u32_e32 v15, 29, v15
	v_and_b32_e32 v11, 7, v11
	v_cmp_eq_u16_e32 vcc, 0, v14
	v_cndmask_b32_e32 v11, v12, v11, vcc
	v_cndmask_b32_e32 v12, v14, v15, vcc
	v_lshlrev_b32_e32 v14, 16, v13
	v_mov_b32_e32 v15, 0x3b800000
	v_lshlrev_b32_e32 v11, 20, v11
	v_and_b32_e32 v14, 0x80000000, v14
	v_lshl_add_u32 v12, v12, 23, v15
	v_or3_b32 v12, v14, v12, v11
.LBB44_1648:
	s_or_b64 exec, exec, s[6:7]
	s_nop 0
	v_mfma_f32_16x16x4f32 a[0:3], v10, v12, a[0:3]
	s_movk_i32 s4, 0xff
	v_and_b32_sdwa v11, v17, s4 dst_sel:DWORD dst_unused:UNUSED_PAD src0_sel:WORD_1 src1_sel:DWORD
	s_movk_i32 s4, 0x7f
	v_cmp_lt_i16_e32 vcc, s4, v11
	s_mov_b64 s[4:5], 0
                                        ; implicit-def: $sgpr10
	s_and_saveexec_b64 s[6:7], vcc
	s_xor_b64 s[6:7], exec, s[6:7]
	s_cbranch_execnz .LBB44_3697
; %bb.1649:
	s_or_saveexec_b64 s[6:7], s[6:7]
	v_mov_b32_e32 v10, s10
	s_xor_b64 exec, exec, s[6:7]
	s_cbranch_execnz .LBB44_3700
.LBB44_1650:
	s_or_b64 exec, exec, s[6:7]
	s_and_saveexec_b64 s[6:7], s[4:5]
	s_cbranch_execz .LBB44_1652
.LBB44_1651:
	v_bfe_u32 v10, v17, 16, 3
	v_ffbh_u32_e32 v14, v10
	v_min_u32_e32 v14, 32, v14
	v_lshrrev_b32_e32 v11, 19, v17
	v_subrev_u32_e32 v15, 28, v14
	v_and_b32_e32 v11, 15, v11
	v_lshlrev_b32_sdwa v15, v15, v17 dst_sel:DWORD dst_unused:UNUSED_PAD src0_sel:DWORD src1_sel:WORD_1
	v_bfe_u32 v12, v17, 19, 4
	v_sub_u32_e32 v14, 29, v14
	v_and_b32_e32 v15, 7, v15
	v_cmp_eq_u16_e32 vcc, 0, v11
	v_cndmask_b32_e32 v10, v10, v15, vcc
	v_cndmask_b32_e32 v11, v12, v14, vcc
	v_lshlrev_b32_e32 v12, 8, v17
	v_mov_b32_e32 v14, 0x3b800000
	v_lshlrev_b32_e32 v10, 20, v10
	v_and_b32_e32 v12, 0x80000000, v12
	v_lshl_add_u32 v11, v11, 23, v14
	v_or3_b32 v10, v12, v11, v10
.LBB44_1652:
	s_or_b64 exec, exec, s[6:7]
	s_movk_i32 s4, 0xff
	v_and_b32_sdwa v11, v13, s4 dst_sel:DWORD dst_unused:UNUSED_PAD src0_sel:WORD_1 src1_sel:DWORD
	s_movk_i32 s4, 0x7f
	v_cmp_lt_i16_e32 vcc, s4, v11
	s_mov_b64 s[4:5], 0
                                        ; implicit-def: $sgpr10
	s_and_saveexec_b64 s[6:7], vcc
	s_xor_b64 s[6:7], exec, s[6:7]
	s_cbranch_execnz .LBB44_3701
; %bb.1653:
	s_or_saveexec_b64 s[6:7], s[6:7]
	v_mov_b32_e32 v12, s10
	s_xor_b64 exec, exec, s[6:7]
	s_cbranch_execnz .LBB44_3704
.LBB44_1654:
	s_or_b64 exec, exec, s[6:7]
	s_and_saveexec_b64 s[6:7], s[4:5]
	s_cbranch_execz .LBB44_1656
.LBB44_1655:
	v_bfe_u32 v11, v13, 16, 3
	v_ffbh_u32_e32 v15, v11
	v_min_u32_e32 v15, 32, v15
	v_lshrrev_b32_e32 v12, 19, v13
	v_subrev_u32_e32 v16, 28, v15
	v_and_b32_e32 v12, 15, v12
	v_lshlrev_b32_sdwa v16, v16, v13 dst_sel:DWORD dst_unused:UNUSED_PAD src0_sel:DWORD src1_sel:WORD_1
	v_bfe_u32 v14, v13, 19, 4
	v_sub_u32_e32 v15, 29, v15
	v_and_b32_e32 v16, 7, v16
	v_cmp_eq_u16_e32 vcc, 0, v12
	v_cndmask_b32_e32 v11, v11, v16, vcc
	v_cndmask_b32_e32 v12, v14, v15, vcc
	v_lshlrev_b32_e32 v14, 8, v13
	v_mov_b32_e32 v15, 0x3b800000
	v_lshlrev_b32_e32 v11, 20, v11
	v_and_b32_e32 v14, 0x80000000, v14
	v_lshl_add_u32 v12, v12, 23, v15
	v_or3_b32 v12, v14, v12, v11
.LBB44_1656:
	s_or_b64 exec, exec, s[6:7]
	s_nop 0
	v_mfma_f32_16x16x4f32 a[0:3], v10, v12, a[0:3]
	s_movk_i32 s4, 0x7f
	v_cmp_gt_i16_sdwa s[6:7], v17, s4 src0_sel:BYTE_3 src1_sel:DWORD
	s_mov_b64 s[4:5], 0
                                        ; implicit-def: $sgpr10
	s_and_saveexec_b64 s[8:9], s[6:7]
	s_xor_b64 s[6:7], exec, s[8:9]
	s_cbranch_execnz .LBB44_3705
; %bb.1657:
	s_or_saveexec_b64 s[6:7], s[6:7]
	v_mov_b32_e32 v10, s10
	s_xor_b64 exec, exec, s[6:7]
	s_cbranch_execnz .LBB44_3708
.LBB44_1658:
	s_or_b64 exec, exec, s[6:7]
	s_and_saveexec_b64 s[6:7], s[4:5]
	s_cbranch_execz .LBB44_1660
.LBB44_1659:
	v_bfe_u32 v10, v17, 24, 3
	v_ffbh_u32_e32 v15, v10
	v_min_u32_e32 v15, 32, v15
	v_lshrrev_b32_e32 v12, 27, v17
	v_subrev_u32_e32 v16, 28, v15
	v_and_b32_e32 v12, 15, v12
	v_lshlrev_b32_sdwa v16, v16, v17 dst_sel:DWORD dst_unused:UNUSED_PAD src0_sel:DWORD src1_sel:BYTE_3
	v_bfe_u32 v14, v17, 27, 4
	v_sub_u32_e32 v15, 29, v15
	v_and_b32_e32 v16, 7, v16
	v_cmp_eq_u16_e32 vcc, 0, v12
	v_cndmask_b32_e32 v10, v10, v16, vcc
	v_cndmask_b32_e32 v12, v14, v15, vcc
	v_mov_b32_e32 v14, 0x3b800000
	v_and_b32_e32 v11, 0x80000000, v17
	v_lshlrev_b32_e32 v10, 20, v10
	v_lshl_add_u32 v12, v12, 23, v14
	v_or3_b32 v10, v11, v12, v10
.LBB44_1660:
	s_or_b64 exec, exec, s[6:7]
	s_movk_i32 s4, 0x7f
	v_cmp_gt_i16_sdwa s[6:7], v13, s4 src0_sel:BYTE_3 src1_sel:DWORD
	s_mov_b64 s[4:5], 0
                                        ; implicit-def: $sgpr10
	s_and_saveexec_b64 s[8:9], s[6:7]
	s_xor_b64 s[6:7], exec, s[8:9]
	s_cbranch_execnz .LBB44_3709
; %bb.1661:
	s_or_saveexec_b64 s[6:7], s[6:7]
	v_mov_b32_e32 v11, s10
	s_xor_b64 exec, exec, s[6:7]
	s_cbranch_execnz .LBB44_3712
.LBB44_1662:
	s_or_b64 exec, exec, s[6:7]
	s_and_saveexec_b64 s[6:7], s[4:5]
	s_cbranch_execz .LBB44_1664
.LBB44_1663:
	v_bfe_u32 v11, v13, 24, 3
	v_ffbh_u32_e32 v16, v11
	v_min_u32_e32 v16, 32, v16
	v_lshrrev_b32_e32 v14, 27, v13
	v_subrev_u32_e32 v17, 28, v16
	v_and_b32_e32 v12, 0x80000000, v13
	v_and_b32_e32 v14, 15, v14
	v_bfe_u32 v15, v13, 27, 4
	v_lshlrev_b32_sdwa v13, v17, v13 dst_sel:DWORD dst_unused:UNUSED_PAD src0_sel:DWORD src1_sel:BYTE_3
	v_sub_u32_e32 v16, 29, v16
	v_and_b32_e32 v13, 7, v13
	v_cmp_eq_u16_e32 vcc, 0, v14
	v_cndmask_b32_e32 v11, v11, v13, vcc
	v_cndmask_b32_e32 v13, v15, v16, vcc
	v_mov_b32_e32 v14, 0x3b800000
	v_lshlrev_b32_e32 v11, 20, v11
	v_lshl_add_u32 v13, v13, 23, v14
	v_or3_b32 v11, v12, v13, v11
.LBB44_1664:
	s_or_b64 exec, exec, s[6:7]
	s_nop 0
	v_mfma_f32_16x16x4f32 a[0:3], v10, v11, a[0:3]
	s_movk_i32 s4, 0x7f
	v_cmp_gt_i16_sdwa s[6:7], v6, s4 src0_sel:BYTE_0 src1_sel:DWORD
	s_mov_b64 s[4:5], 0
                                        ; implicit-def: $sgpr10
	s_and_saveexec_b64 s[8:9], s[6:7]
	s_xor_b64 s[6:7], exec, s[8:9]
	s_cbranch_execnz .LBB44_3713
; %bb.1665:
	s_or_saveexec_b64 s[6:7], s[6:7]
	v_mov_b32_e32 v10, s10
	s_xor_b64 exec, exec, s[6:7]
	s_cbranch_execnz .LBB44_3716
.LBB44_1666:
	s_or_b64 exec, exec, s[6:7]
	s_and_saveexec_b64 s[6:7], s[4:5]
	s_cbranch_execz .LBB44_1668
.LBB44_1667:
	v_and_b32_e32 v10, 7, v6
	v_ffbh_u32_e32 v12, v10
	v_min_u32_e32 v12, 32, v12
	v_lshrrev_b16_e32 v11, 3, v6
	v_subrev_u32_e32 v13, 28, v12
	v_and_b32_e32 v11, 15, v11
	v_lshlrev_b32_e32 v13, v13, v6
	v_sub_u32_e32 v12, 29, v12
	v_and_b32_e32 v13, 7, v13
	v_cmp_eq_u16_e32 vcc, 0, v11
	v_cndmask_b32_e32 v10, v10, v13, vcc
	v_cndmask_b32_e32 v11, v11, v12, vcc
	v_lshlrev_b32_e32 v12, 24, v6
	v_mov_b32_e32 v13, 0x3b800000
	v_lshlrev_b32_e32 v10, 20, v10
	v_and_b32_e32 v12, 0x80000000, v12
	v_lshl_add_u32 v11, v11, 23, v13
	v_or3_b32 v10, v12, v11, v10
.LBB44_1668:
	s_or_b64 exec, exec, s[6:7]
	s_movk_i32 s4, 0x7f
	v_cmp_gt_i16_sdwa s[6:7], v2, s4 src0_sel:BYTE_0 src1_sel:DWORD
	s_mov_b64 s[4:5], 0
                                        ; implicit-def: $sgpr10
	s_and_saveexec_b64 s[8:9], s[6:7]
	s_xor_b64 s[6:7], exec, s[8:9]
	s_cbranch_execnz .LBB44_3717
; %bb.1669:
	s_or_saveexec_b64 s[6:7], s[6:7]
	v_mov_b32_e32 v11, s10
	s_xor_b64 exec, exec, s[6:7]
	s_cbranch_execnz .LBB44_3720
.LBB44_1670:
	s_or_b64 exec, exec, s[6:7]
	s_and_saveexec_b64 s[6:7], s[4:5]
	s_cbranch_execz .LBB44_1672
.LBB44_1671:
	v_and_b32_e32 v11, 7, v2
	v_ffbh_u32_e32 v13, v11
	v_min_u32_e32 v13, 32, v13
	v_lshrrev_b16_e32 v12, 3, v2
	v_subrev_u32_e32 v14, 28, v13
	v_and_b32_e32 v12, 15, v12
	v_lshlrev_b32_e32 v14, v14, v2
	v_sub_u32_e32 v13, 29, v13
	v_and_b32_e32 v14, 7, v14
	v_cmp_eq_u16_e32 vcc, 0, v12
	v_cndmask_b32_e32 v11, v11, v14, vcc
	v_cndmask_b32_e32 v12, v12, v13, vcc
	v_lshlrev_b32_e32 v13, 24, v2
	v_mov_b32_e32 v14, 0x3b800000
	v_lshlrev_b32_e32 v11, 20, v11
	v_and_b32_e32 v13, 0x80000000, v13
	v_lshl_add_u32 v12, v12, 23, v14
	v_or3_b32 v11, v13, v12, v11
.LBB44_1672:
	s_or_b64 exec, exec, s[6:7]
	s_nop 0
	v_mfma_f32_16x16x4f32 a[0:3], v10, v11, a[0:3]
	v_lshrrev_b32_e32 v11, 8, v6
	s_movk_i32 s4, 0x7f
	v_cmp_gt_i16_sdwa s[6:7], v11, s4 src0_sel:BYTE_0 src1_sel:DWORD
	s_mov_b64 s[4:5], 0
                                        ; implicit-def: $sgpr10
	s_and_saveexec_b64 s[8:9], s[6:7]
	s_xor_b64 s[6:7], exec, s[8:9]
	s_cbranch_execnz .LBB44_3721
; %bb.1673:
	s_or_saveexec_b64 s[6:7], s[6:7]
	v_mov_b32_e32 v10, s10
	s_xor_b64 exec, exec, s[6:7]
	s_cbranch_execnz .LBB44_3724
.LBB44_1674:
	s_or_b64 exec, exec, s[6:7]
	s_and_saveexec_b64 s[6:7], s[4:5]
	s_cbranch_execz .LBB44_1676
.LBB44_1675:
	v_bfe_u32 v10, v6, 8, 3
	v_ffbh_u32_e32 v13, v10
	v_min_u32_e32 v13, 32, v13
	v_lshrrev_b16_e32 v12, 3, v11
	v_subrev_u32_e32 v14, 28, v13
	v_and_b32_e32 v12, 15, v12
	v_lshlrev_b32_e32 v11, v14, v11
	v_sub_u32_e32 v13, 29, v13
	v_and_b32_e32 v11, 7, v11
	v_cmp_eq_u16_e32 vcc, 0, v12
	v_cndmask_b32_e32 v10, v10, v11, vcc
	v_cndmask_b32_e32 v11, v12, v13, vcc
	v_lshlrev_b32_e32 v12, 16, v6
	v_mov_b32_e32 v13, 0x3b800000
	v_lshlrev_b32_e32 v10, 20, v10
	v_and_b32_e32 v12, 0x80000000, v12
	v_lshl_add_u32 v11, v11, 23, v13
	v_or3_b32 v10, v12, v11, v10
.LBB44_1676:
	s_or_b64 exec, exec, s[6:7]
	v_lshrrev_b32_e32 v11, 8, v2
	s_movk_i32 s4, 0x7f
	v_cmp_gt_i16_sdwa s[6:7], v11, s4 src0_sel:BYTE_0 src1_sel:DWORD
	s_mov_b64 s[4:5], 0
                                        ; implicit-def: $sgpr10
	s_and_saveexec_b64 s[8:9], s[6:7]
	s_xor_b64 s[6:7], exec, s[8:9]
	s_cbranch_execnz .LBB44_3725
; %bb.1677:
	s_or_saveexec_b64 s[6:7], s[6:7]
	v_mov_b32_e32 v12, s10
	s_xor_b64 exec, exec, s[6:7]
	s_cbranch_execnz .LBB44_3728
.LBB44_1678:
	s_or_b64 exec, exec, s[6:7]
	s_and_saveexec_b64 s[6:7], s[4:5]
	s_cbranch_execz .LBB44_1680
.LBB44_1679:
	v_bfe_u32 v12, v2, 8, 3
	v_ffbh_u32_e32 v14, v12
	v_min_u32_e32 v14, 32, v14
	v_lshrrev_b16_e32 v13, 3, v11
	v_subrev_u32_e32 v15, 28, v14
	v_and_b32_e32 v13, 15, v13
	v_lshlrev_b32_e32 v11, v15, v11
	v_sub_u32_e32 v14, 29, v14
	v_and_b32_e32 v11, 7, v11
	v_cmp_eq_u16_e32 vcc, 0, v13
	v_cndmask_b32_e32 v11, v12, v11, vcc
	v_cndmask_b32_e32 v12, v13, v14, vcc
	v_lshlrev_b32_e32 v13, 16, v2
	v_mov_b32_e32 v14, 0x3b800000
	v_lshlrev_b32_e32 v11, 20, v11
	v_and_b32_e32 v13, 0x80000000, v13
	v_lshl_add_u32 v12, v12, 23, v14
	v_or3_b32 v12, v13, v12, v11
.LBB44_1680:
	s_or_b64 exec, exec, s[6:7]
	s_nop 0
	v_mfma_f32_16x16x4f32 a[0:3], v10, v12, a[0:3]
	s_movk_i32 s4, 0xff
	v_and_b32_sdwa v11, v6, s4 dst_sel:DWORD dst_unused:UNUSED_PAD src0_sel:WORD_1 src1_sel:DWORD
	s_movk_i32 s4, 0x7f
	v_cmp_lt_i16_e32 vcc, s4, v11
	s_mov_b64 s[4:5], 0
                                        ; implicit-def: $sgpr10
	s_and_saveexec_b64 s[6:7], vcc
	s_xor_b64 s[6:7], exec, s[6:7]
	s_cbranch_execnz .LBB44_3729
; %bb.1681:
	s_or_saveexec_b64 s[6:7], s[6:7]
	v_mov_b32_e32 v10, s10
	s_xor_b64 exec, exec, s[6:7]
	s_cbranch_execnz .LBB44_3732
.LBB44_1682:
	s_or_b64 exec, exec, s[6:7]
	s_and_saveexec_b64 s[6:7], s[4:5]
	s_cbranch_execz .LBB44_1684
.LBB44_1683:
	v_bfe_u32 v10, v6, 16, 3
	v_ffbh_u32_e32 v13, v10
	v_min_u32_e32 v13, 32, v13
	v_lshrrev_b32_e32 v11, 19, v6
	v_subrev_u32_e32 v14, 28, v13
	v_and_b32_e32 v11, 15, v11
	v_lshlrev_b32_sdwa v14, v14, v6 dst_sel:DWORD dst_unused:UNUSED_PAD src0_sel:DWORD src1_sel:WORD_1
	v_bfe_u32 v12, v6, 19, 4
	v_sub_u32_e32 v13, 29, v13
	v_and_b32_e32 v14, 7, v14
	v_cmp_eq_u16_e32 vcc, 0, v11
	v_cndmask_b32_e32 v10, v10, v14, vcc
	v_cndmask_b32_e32 v11, v12, v13, vcc
	v_lshlrev_b32_e32 v12, 8, v6
	v_mov_b32_e32 v13, 0x3b800000
	v_lshlrev_b32_e32 v10, 20, v10
	v_and_b32_e32 v12, 0x80000000, v12
	v_lshl_add_u32 v11, v11, 23, v13
	v_or3_b32 v10, v12, v11, v10
.LBB44_1684:
	s_or_b64 exec, exec, s[6:7]
	s_movk_i32 s4, 0xff
	v_and_b32_sdwa v11, v2, s4 dst_sel:DWORD dst_unused:UNUSED_PAD src0_sel:WORD_1 src1_sel:DWORD
	s_movk_i32 s4, 0x7f
	v_cmp_lt_i16_e32 vcc, s4, v11
	s_mov_b64 s[4:5], 0
                                        ; implicit-def: $sgpr10
	s_and_saveexec_b64 s[6:7], vcc
	s_xor_b64 s[6:7], exec, s[6:7]
	s_cbranch_execnz .LBB44_3733
; %bb.1685:
	s_or_saveexec_b64 s[6:7], s[6:7]
	v_mov_b32_e32 v12, s10
	s_xor_b64 exec, exec, s[6:7]
	s_cbranch_execnz .LBB44_3736
.LBB44_1686:
	s_or_b64 exec, exec, s[6:7]
	s_and_saveexec_b64 s[6:7], s[4:5]
	s_cbranch_execz .LBB44_1688
.LBB44_1687:
	v_bfe_u32 v11, v2, 16, 3
	v_ffbh_u32_e32 v14, v11
	v_min_u32_e32 v14, 32, v14
	v_lshrrev_b32_e32 v12, 19, v2
	v_subrev_u32_e32 v15, 28, v14
	v_and_b32_e32 v12, 15, v12
	v_lshlrev_b32_sdwa v15, v15, v2 dst_sel:DWORD dst_unused:UNUSED_PAD src0_sel:DWORD src1_sel:WORD_1
	v_bfe_u32 v13, v2, 19, 4
	v_sub_u32_e32 v14, 29, v14
	v_and_b32_e32 v15, 7, v15
	v_cmp_eq_u16_e32 vcc, 0, v12
	v_cndmask_b32_e32 v11, v11, v15, vcc
	v_cndmask_b32_e32 v12, v13, v14, vcc
	v_lshlrev_b32_e32 v13, 8, v2
	v_mov_b32_e32 v14, 0x3b800000
	v_lshlrev_b32_e32 v11, 20, v11
	v_and_b32_e32 v13, 0x80000000, v13
	v_lshl_add_u32 v12, v12, 23, v14
	v_or3_b32 v12, v13, v12, v11
.LBB44_1688:
	s_or_b64 exec, exec, s[6:7]
	s_nop 0
	v_mfma_f32_16x16x4f32 a[0:3], v10, v12, a[0:3]
	s_movk_i32 s4, 0x7f
	v_cmp_gt_i16_sdwa s[6:7], v6, s4 src0_sel:BYTE_3 src1_sel:DWORD
	s_mov_b64 s[4:5], 0
                                        ; implicit-def: $sgpr10
	s_and_saveexec_b64 s[8:9], s[6:7]
	s_xor_b64 s[6:7], exec, s[8:9]
	s_cbranch_execnz .LBB44_3737
; %bb.1689:
	s_or_saveexec_b64 s[6:7], s[6:7]
	v_mov_b32_e32 v10, s10
	s_xor_b64 exec, exec, s[6:7]
	s_cbranch_execnz .LBB44_3740
.LBB44_1690:
	s_or_b64 exec, exec, s[6:7]
	s_and_saveexec_b64 s[6:7], s[4:5]
	s_cbranch_execz .LBB44_1692
.LBB44_1691:
	v_bfe_u32 v10, v6, 24, 3
	v_ffbh_u32_e32 v14, v10
	v_min_u32_e32 v14, 32, v14
	v_lshrrev_b32_e32 v12, 27, v6
	v_subrev_u32_e32 v15, 28, v14
	v_and_b32_e32 v11, 0x80000000, v6
	v_and_b32_e32 v12, 15, v12
	v_bfe_u32 v13, v6, 27, 4
	v_lshlrev_b32_sdwa v6, v15, v6 dst_sel:DWORD dst_unused:UNUSED_PAD src0_sel:DWORD src1_sel:BYTE_3
	v_sub_u32_e32 v14, 29, v14
	v_and_b32_e32 v6, 7, v6
	v_cmp_eq_u16_e32 vcc, 0, v12
	v_cndmask_b32_e32 v6, v10, v6, vcc
	v_cndmask_b32_e32 v10, v13, v14, vcc
	v_mov_b32_e32 v12, 0x3b800000
	v_lshlrev_b32_e32 v6, 20, v6
	v_lshl_add_u32 v10, v10, 23, v12
	v_or3_b32 v10, v11, v10, v6
.LBB44_1692:
	s_or_b64 exec, exec, s[6:7]
	s_movk_i32 s4, 0x7f
	v_cmp_gt_i16_sdwa s[6:7], v2, s4 src0_sel:BYTE_3 src1_sel:DWORD
	s_mov_b64 s[4:5], 0
                                        ; implicit-def: $sgpr10
	s_and_saveexec_b64 s[8:9], s[6:7]
	s_xor_b64 s[6:7], exec, s[8:9]
	s_cbranch_execnz .LBB44_3741
; %bb.1693:
	s_or_saveexec_b64 s[6:7], s[6:7]
	v_mov_b32_e32 v6, s10
	s_xor_b64 exec, exec, s[6:7]
	s_cbranch_execnz .LBB44_3744
.LBB44_1694:
	s_or_b64 exec, exec, s[6:7]
	s_and_saveexec_b64 s[6:7], s[4:5]
	s_cbranch_execz .LBB44_1696
.LBB44_1695:
	v_bfe_u32 v6, v2, 24, 3
	v_ffbh_u32_e32 v14, v6
	v_min_u32_e32 v14, 32, v14
	v_lshrrev_b32_e32 v12, 27, v2
	v_subrev_u32_e32 v15, 28, v14
	v_and_b32_e32 v11, 0x80000000, v2
	v_and_b32_e32 v12, 15, v12
	v_bfe_u32 v13, v2, 27, 4
	v_lshlrev_b32_sdwa v2, v15, v2 dst_sel:DWORD dst_unused:UNUSED_PAD src0_sel:DWORD src1_sel:BYTE_3
	v_sub_u32_e32 v14, 29, v14
	v_and_b32_e32 v2, 7, v2
	v_cmp_eq_u16_e32 vcc, 0, v12
	v_cndmask_b32_e32 v2, v6, v2, vcc
	v_cndmask_b32_e32 v6, v13, v14, vcc
	v_mov_b32_e32 v12, 0x3b800000
	v_lshlrev_b32_e32 v2, 20, v2
	v_lshl_add_u32 v6, v6, 23, v12
	v_or3_b32 v6, v11, v6, v2
.LBB44_1696:
	s_or_b64 exec, exec, s[6:7]
	s_nop 0
	v_mfma_f32_16x16x4f32 a[0:3], v10, v6, a[0:3]
	s_movk_i32 s4, 0x7f
	v_cmp_gt_i16_sdwa s[6:7], v7, s4 src0_sel:BYTE_0 src1_sel:DWORD
	s_mov_b64 s[4:5], 0
                                        ; implicit-def: $sgpr10
	s_and_saveexec_b64 s[8:9], s[6:7]
	s_xor_b64 s[6:7], exec, s[8:9]
	s_cbranch_execnz .LBB44_3745
; %bb.1697:
	s_or_saveexec_b64 s[6:7], s[6:7]
	v_mov_b32_e32 v2, s10
	s_xor_b64 exec, exec, s[6:7]
	s_cbranch_execnz .LBB44_3748
.LBB44_1698:
	s_or_b64 exec, exec, s[6:7]
	s_and_saveexec_b64 s[6:7], s[4:5]
	s_cbranch_execz .LBB44_1700
.LBB44_1699:
	v_and_b32_e32 v2, 7, v7
	v_ffbh_u32_e32 v10, v2
	v_min_u32_e32 v10, 32, v10
	v_lshrrev_b16_e32 v6, 3, v7
	v_subrev_u32_e32 v11, 28, v10
	v_and_b32_e32 v6, 15, v6
	v_lshlrev_b32_e32 v11, v11, v7
	v_sub_u32_e32 v10, 29, v10
	v_and_b32_e32 v11, 7, v11
	v_cmp_eq_u16_e32 vcc, 0, v6
	v_cndmask_b32_e32 v2, v2, v11, vcc
	v_cndmask_b32_e32 v6, v6, v10, vcc
	v_lshlrev_b32_e32 v10, 24, v7
	v_mov_b32_e32 v11, 0x3b800000
	v_lshlrev_b32_e32 v2, 20, v2
	v_and_b32_e32 v10, 0x80000000, v10
	v_lshl_add_u32 v6, v6, 23, v11
	v_or3_b32 v2, v10, v6, v2
.LBB44_1700:
	s_or_b64 exec, exec, s[6:7]
	s_movk_i32 s4, 0x7f
	v_cmp_gt_i16_sdwa s[6:7], v3, s4 src0_sel:BYTE_0 src1_sel:DWORD
	s_mov_b64 s[4:5], 0
                                        ; implicit-def: $sgpr10
	s_and_saveexec_b64 s[8:9], s[6:7]
	s_xor_b64 s[6:7], exec, s[8:9]
	s_cbranch_execnz .LBB44_3749
; %bb.1701:
	s_or_saveexec_b64 s[6:7], s[6:7]
	v_mov_b32_e32 v6, s10
	s_xor_b64 exec, exec, s[6:7]
	s_cbranch_execnz .LBB44_3752
.LBB44_1702:
	s_or_b64 exec, exec, s[6:7]
	s_and_saveexec_b64 s[6:7], s[4:5]
	s_cbranch_execz .LBB44_1704
.LBB44_1703:
	v_and_b32_e32 v6, 7, v3
	v_ffbh_u32_e32 v11, v6
	v_min_u32_e32 v11, 32, v11
	v_lshrrev_b16_e32 v10, 3, v3
	v_subrev_u32_e32 v12, 28, v11
	v_and_b32_e32 v10, 15, v10
	v_lshlrev_b32_e32 v12, v12, v3
	v_sub_u32_e32 v11, 29, v11
	v_and_b32_e32 v12, 7, v12
	v_cmp_eq_u16_e32 vcc, 0, v10
	v_cndmask_b32_e32 v6, v6, v12, vcc
	v_cndmask_b32_e32 v10, v10, v11, vcc
	v_lshlrev_b32_e32 v11, 24, v3
	v_mov_b32_e32 v12, 0x3b800000
	v_lshlrev_b32_e32 v6, 20, v6
	v_and_b32_e32 v11, 0x80000000, v11
	v_lshl_add_u32 v10, v10, 23, v12
	v_or3_b32 v6, v11, v10, v6
.LBB44_1704:
	s_or_b64 exec, exec, s[6:7]
	s_nop 0
	v_mfma_f32_16x16x4f32 a[0:3], v2, v6, a[0:3]
	v_lshrrev_b32_e32 v6, 8, v7
	s_movk_i32 s4, 0x7f
	v_cmp_gt_i16_sdwa s[6:7], v6, s4 src0_sel:BYTE_0 src1_sel:DWORD
	s_mov_b64 s[4:5], 0
                                        ; implicit-def: $sgpr10
	s_and_saveexec_b64 s[8:9], s[6:7]
	s_xor_b64 s[6:7], exec, s[8:9]
	s_cbranch_execnz .LBB44_3753
; %bb.1705:
	s_or_saveexec_b64 s[6:7], s[6:7]
	v_mov_b32_e32 v2, s10
	s_xor_b64 exec, exec, s[6:7]
	s_cbranch_execnz .LBB44_3756
.LBB44_1706:
	s_or_b64 exec, exec, s[6:7]
	s_and_saveexec_b64 s[6:7], s[4:5]
	s_cbranch_execz .LBB44_1708
.LBB44_1707:
	v_bfe_u32 v2, v7, 8, 3
	v_ffbh_u32_e32 v11, v2
	v_min_u32_e32 v11, 32, v11
	v_lshrrev_b16_e32 v10, 3, v6
	v_subrev_u32_e32 v12, 28, v11
	v_and_b32_e32 v10, 15, v10
	v_lshlrev_b32_e32 v6, v12, v6
	v_sub_u32_e32 v11, 29, v11
	v_and_b32_e32 v6, 7, v6
	v_cmp_eq_u16_e32 vcc, 0, v10
	v_cndmask_b32_e32 v2, v2, v6, vcc
	v_cndmask_b32_e32 v6, v10, v11, vcc
	v_lshlrev_b32_e32 v10, 16, v7
	v_mov_b32_e32 v11, 0x3b800000
	v_lshlrev_b32_e32 v2, 20, v2
	v_and_b32_e32 v10, 0x80000000, v10
	v_lshl_add_u32 v6, v6, 23, v11
	v_or3_b32 v2, v10, v6, v2
.LBB44_1708:
	s_or_b64 exec, exec, s[6:7]
	v_lshrrev_b32_e32 v6, 8, v3
	s_movk_i32 s4, 0x7f
	v_cmp_gt_i16_sdwa s[6:7], v6, s4 src0_sel:BYTE_0 src1_sel:DWORD
	s_mov_b64 s[4:5], 0
                                        ; implicit-def: $sgpr10
	s_and_saveexec_b64 s[8:9], s[6:7]
	s_xor_b64 s[6:7], exec, s[8:9]
	s_cbranch_execnz .LBB44_3757
; %bb.1709:
	s_or_saveexec_b64 s[6:7], s[6:7]
	v_mov_b32_e32 v10, s10
	s_xor_b64 exec, exec, s[6:7]
	s_cbranch_execnz .LBB44_3760
.LBB44_1710:
	s_or_b64 exec, exec, s[6:7]
	s_and_saveexec_b64 s[6:7], s[4:5]
	s_cbranch_execz .LBB44_1712
.LBB44_1711:
	v_bfe_u32 v10, v3, 8, 3
	v_ffbh_u32_e32 v12, v10
	v_min_u32_e32 v12, 32, v12
	v_lshrrev_b16_e32 v11, 3, v6
	v_subrev_u32_e32 v13, 28, v12
	v_and_b32_e32 v11, 15, v11
	v_lshlrev_b32_e32 v6, v13, v6
	v_sub_u32_e32 v12, 29, v12
	v_and_b32_e32 v6, 7, v6
	v_cmp_eq_u16_e32 vcc, 0, v11
	v_cndmask_b32_e32 v6, v10, v6, vcc
	v_cndmask_b32_e32 v10, v11, v12, vcc
	v_lshlrev_b32_e32 v11, 16, v3
	v_mov_b32_e32 v12, 0x3b800000
	v_lshlrev_b32_e32 v6, 20, v6
	v_and_b32_e32 v11, 0x80000000, v11
	v_lshl_add_u32 v10, v10, 23, v12
	v_or3_b32 v10, v11, v10, v6
.LBB44_1712:
	s_or_b64 exec, exec, s[6:7]
	s_nop 0
	v_mfma_f32_16x16x4f32 a[0:3], v2, v10, a[0:3]
	s_movk_i32 s4, 0xff
	v_and_b32_sdwa v6, v7, s4 dst_sel:DWORD dst_unused:UNUSED_PAD src0_sel:WORD_1 src1_sel:DWORD
	s_movk_i32 s4, 0x7f
	v_cmp_lt_i16_e32 vcc, s4, v6
	s_mov_b64 s[4:5], 0
                                        ; implicit-def: $sgpr10
	s_and_saveexec_b64 s[6:7], vcc
	s_xor_b64 s[6:7], exec, s[6:7]
	s_cbranch_execnz .LBB44_3761
; %bb.1713:
	s_or_saveexec_b64 s[6:7], s[6:7]
	v_mov_b32_e32 v2, s10
	s_xor_b64 exec, exec, s[6:7]
	s_cbranch_execnz .LBB44_3764
.LBB44_1714:
	s_or_b64 exec, exec, s[6:7]
	s_and_saveexec_b64 s[6:7], s[4:5]
	s_cbranch_execz .LBB44_1716
.LBB44_1715:
	v_bfe_u32 v2, v7, 16, 3
	v_ffbh_u32_e32 v11, v2
	v_min_u32_e32 v11, 32, v11
	v_lshrrev_b32_e32 v6, 19, v7
	v_subrev_u32_e32 v12, 28, v11
	v_and_b32_e32 v6, 15, v6
	v_lshlrev_b32_sdwa v12, v12, v7 dst_sel:DWORD dst_unused:UNUSED_PAD src0_sel:DWORD src1_sel:WORD_1
	v_bfe_u32 v10, v7, 19, 4
	v_sub_u32_e32 v11, 29, v11
	v_and_b32_e32 v12, 7, v12
	v_cmp_eq_u16_e32 vcc, 0, v6
	v_cndmask_b32_e32 v2, v2, v12, vcc
	v_cndmask_b32_e32 v6, v10, v11, vcc
	v_lshlrev_b32_e32 v10, 8, v7
	v_mov_b32_e32 v11, 0x3b800000
	v_lshlrev_b32_e32 v2, 20, v2
	v_and_b32_e32 v10, 0x80000000, v10
	v_lshl_add_u32 v6, v6, 23, v11
	v_or3_b32 v2, v10, v6, v2
.LBB44_1716:
	s_or_b64 exec, exec, s[6:7]
	s_movk_i32 s4, 0xff
	v_and_b32_sdwa v6, v3, s4 dst_sel:DWORD dst_unused:UNUSED_PAD src0_sel:WORD_1 src1_sel:DWORD
	s_movk_i32 s4, 0x7f
	v_cmp_lt_i16_e32 vcc, s4, v6
	s_mov_b64 s[4:5], 0
                                        ; implicit-def: $sgpr10
	s_and_saveexec_b64 s[6:7], vcc
	s_xor_b64 s[6:7], exec, s[6:7]
	s_cbranch_execnz .LBB44_3765
; %bb.1717:
	s_or_saveexec_b64 s[6:7], s[6:7]
	v_mov_b32_e32 v10, s10
	s_xor_b64 exec, exec, s[6:7]
	s_cbranch_execnz .LBB44_3768
.LBB44_1718:
	s_or_b64 exec, exec, s[6:7]
	s_and_saveexec_b64 s[6:7], s[4:5]
	s_cbranch_execz .LBB44_1720
.LBB44_1719:
	v_bfe_u32 v6, v3, 16, 3
	v_ffbh_u32_e32 v12, v6
	v_min_u32_e32 v12, 32, v12
	v_lshrrev_b32_e32 v10, 19, v3
	v_subrev_u32_e32 v13, 28, v12
	v_and_b32_e32 v10, 15, v10
	v_lshlrev_b32_sdwa v13, v13, v3 dst_sel:DWORD dst_unused:UNUSED_PAD src0_sel:DWORD src1_sel:WORD_1
	v_bfe_u32 v11, v3, 19, 4
	v_sub_u32_e32 v12, 29, v12
	v_and_b32_e32 v13, 7, v13
	v_cmp_eq_u16_e32 vcc, 0, v10
	v_cndmask_b32_e32 v6, v6, v13, vcc
	v_cndmask_b32_e32 v10, v11, v12, vcc
	v_lshlrev_b32_e32 v11, 8, v3
	v_mov_b32_e32 v12, 0x3b800000
	v_lshlrev_b32_e32 v6, 20, v6
	v_and_b32_e32 v11, 0x80000000, v11
	v_lshl_add_u32 v10, v10, 23, v12
	v_or3_b32 v10, v11, v10, v6
.LBB44_1720:
	s_or_b64 exec, exec, s[6:7]
	s_nop 0
	v_mfma_f32_16x16x4f32 a[0:3], v2, v10, a[0:3]
	s_movk_i32 s4, 0x7f
	v_cmp_gt_i16_sdwa s[6:7], v7, s4 src0_sel:BYTE_3 src1_sel:DWORD
	s_mov_b64 s[4:5], 0
                                        ; implicit-def: $sgpr10
	s_and_saveexec_b64 s[8:9], s[6:7]
	s_xor_b64 s[6:7], exec, s[8:9]
	s_cbranch_execnz .LBB44_3769
; %bb.1721:
	s_or_saveexec_b64 s[6:7], s[6:7]
	v_mov_b32_e32 v2, s10
	s_xor_b64 exec, exec, s[6:7]
	s_cbranch_execnz .LBB44_3772
.LBB44_1722:
	s_or_b64 exec, exec, s[6:7]
	s_and_saveexec_b64 s[6:7], s[4:5]
	s_cbranch_execz .LBB44_1724
.LBB44_1723:
	v_bfe_u32 v2, v7, 24, 3
	v_ffbh_u32_e32 v12, v2
	v_min_u32_e32 v12, 32, v12
	v_lshrrev_b32_e32 v10, 27, v7
	v_subrev_u32_e32 v13, 28, v12
	v_and_b32_e32 v6, 0x80000000, v7
	v_and_b32_e32 v10, 15, v10
	v_bfe_u32 v11, v7, 27, 4
	v_lshlrev_b32_sdwa v7, v13, v7 dst_sel:DWORD dst_unused:UNUSED_PAD src0_sel:DWORD src1_sel:BYTE_3
	v_sub_u32_e32 v12, 29, v12
	v_and_b32_e32 v7, 7, v7
	v_cmp_eq_u16_e32 vcc, 0, v10
	v_cndmask_b32_e32 v2, v2, v7, vcc
	v_cndmask_b32_e32 v7, v11, v12, vcc
	v_mov_b32_e32 v10, 0x3b800000
	v_lshlrev_b32_e32 v2, 20, v2
	v_lshl_add_u32 v7, v7, 23, v10
	v_or3_b32 v2, v6, v7, v2
.LBB44_1724:
	s_or_b64 exec, exec, s[6:7]
	s_movk_i32 s4, 0x7f
	v_cmp_gt_i16_sdwa s[6:7], v3, s4 src0_sel:BYTE_3 src1_sel:DWORD
	s_mov_b64 s[4:5], 0
                                        ; implicit-def: $sgpr10
	s_and_saveexec_b64 s[8:9], s[6:7]
	s_xor_b64 s[6:7], exec, s[8:9]
	s_cbranch_execnz .LBB44_3773
; %bb.1725:
	s_or_saveexec_b64 s[6:7], s[6:7]
	v_mov_b32_e32 v6, s10
	s_xor_b64 exec, exec, s[6:7]
	s_cbranch_execnz .LBB44_3776
.LBB44_1726:
	s_or_b64 exec, exec, s[6:7]
	s_and_saveexec_b64 s[6:7], s[4:5]
	s_cbranch_execz .LBB44_1728
.LBB44_1727:
	v_bfe_u32 v6, v3, 24, 3
	v_ffbh_u32_e32 v12, v6
	v_min_u32_e32 v12, 32, v12
	v_lshrrev_b32_e32 v10, 27, v3
	v_subrev_u32_e32 v13, 28, v12
	v_and_b32_e32 v7, 0x80000000, v3
	v_and_b32_e32 v10, 15, v10
	v_bfe_u32 v11, v3, 27, 4
	v_lshlrev_b32_sdwa v3, v13, v3 dst_sel:DWORD dst_unused:UNUSED_PAD src0_sel:DWORD src1_sel:BYTE_3
	v_sub_u32_e32 v12, 29, v12
	v_and_b32_e32 v3, 7, v3
	v_cmp_eq_u16_e32 vcc, 0, v10
	v_cndmask_b32_e32 v3, v6, v3, vcc
	v_cndmask_b32_e32 v6, v11, v12, vcc
	v_mov_b32_e32 v10, 0x3b800000
	v_lshlrev_b32_e32 v3, 20, v3
	v_lshl_add_u32 v6, v6, 23, v10
	v_or3_b32 v6, v7, v6, v3
.LBB44_1728:
	s_or_b64 exec, exec, s[6:7]
	s_nop 0
	v_mfma_f32_16x16x4f32 a[0:3], v2, v6, a[0:3]
	s_movk_i32 s4, 0x7f
	v_cmp_gt_i16_sdwa s[6:7], v8, s4 src0_sel:BYTE_0 src1_sel:DWORD
	s_mov_b64 s[4:5], 0
                                        ; implicit-def: $sgpr10
	s_and_saveexec_b64 s[8:9], s[6:7]
	s_xor_b64 s[6:7], exec, s[8:9]
	s_cbranch_execnz .LBB44_3777
; %bb.1729:
	s_or_saveexec_b64 s[6:7], s[6:7]
	v_mov_b32_e32 v2, s10
	s_xor_b64 exec, exec, s[6:7]
	s_cbranch_execnz .LBB44_3780
.LBB44_1730:
	s_or_b64 exec, exec, s[6:7]
	s_and_saveexec_b64 s[6:7], s[4:5]
	s_cbranch_execz .LBB44_1732
.LBB44_1731:
	v_and_b32_e32 v2, 7, v8
	v_ffbh_u32_e32 v6, v2
	v_min_u32_e32 v6, 32, v6
	v_lshrrev_b16_e32 v3, 3, v8
	v_subrev_u32_e32 v7, 28, v6
	v_and_b32_e32 v3, 15, v3
	v_lshlrev_b32_e32 v7, v7, v8
	v_sub_u32_e32 v6, 29, v6
	v_and_b32_e32 v7, 7, v7
	v_cmp_eq_u16_e32 vcc, 0, v3
	v_cndmask_b32_e32 v2, v2, v7, vcc
	v_cndmask_b32_e32 v3, v3, v6, vcc
	v_lshlrev_b32_e32 v6, 24, v8
	v_mov_b32_e32 v7, 0x3b800000
	v_lshlrev_b32_e32 v2, 20, v2
	v_and_b32_e32 v6, 0x80000000, v6
	v_lshl_add_u32 v3, v3, 23, v7
	v_or3_b32 v2, v6, v3, v2
.LBB44_1732:
	s_or_b64 exec, exec, s[6:7]
	s_movk_i32 s4, 0x7f
	v_cmp_gt_i16_sdwa s[6:7], v4, s4 src0_sel:BYTE_0 src1_sel:DWORD
	s_mov_b64 s[4:5], 0
                                        ; implicit-def: $sgpr10
	s_and_saveexec_b64 s[8:9], s[6:7]
	s_xor_b64 s[6:7], exec, s[8:9]
	s_cbranch_execnz .LBB44_3781
; %bb.1733:
	s_or_saveexec_b64 s[6:7], s[6:7]
	v_mov_b32_e32 v3, s10
	s_xor_b64 exec, exec, s[6:7]
	s_cbranch_execnz .LBB44_3784
.LBB44_1734:
	s_or_b64 exec, exec, s[6:7]
	s_and_saveexec_b64 s[6:7], s[4:5]
	s_cbranch_execz .LBB44_1736
.LBB44_1735:
	v_and_b32_e32 v3, 7, v4
	v_ffbh_u32_e32 v7, v3
	v_min_u32_e32 v7, 32, v7
	v_lshrrev_b16_e32 v6, 3, v4
	v_subrev_u32_e32 v10, 28, v7
	v_and_b32_e32 v6, 15, v6
	v_lshlrev_b32_e32 v10, v10, v4
	v_sub_u32_e32 v7, 29, v7
	v_and_b32_e32 v10, 7, v10
	v_cmp_eq_u16_e32 vcc, 0, v6
	v_cndmask_b32_e32 v3, v3, v10, vcc
	v_cndmask_b32_e32 v6, v6, v7, vcc
	v_lshlrev_b32_e32 v7, 24, v4
	v_mov_b32_e32 v10, 0x3b800000
	v_lshlrev_b32_e32 v3, 20, v3
	v_and_b32_e32 v7, 0x80000000, v7
	v_lshl_add_u32 v6, v6, 23, v10
	v_or3_b32 v3, v7, v6, v3
.LBB44_1736:
	s_or_b64 exec, exec, s[6:7]
	s_nop 0
	v_mfma_f32_16x16x4f32 a[0:3], v2, v3, a[0:3]
	v_lshrrev_b32_e32 v3, 8, v8
	s_movk_i32 s4, 0x7f
	v_cmp_gt_i16_sdwa s[6:7], v3, s4 src0_sel:BYTE_0 src1_sel:DWORD
	s_mov_b64 s[4:5], 0
                                        ; implicit-def: $sgpr10
	s_and_saveexec_b64 s[8:9], s[6:7]
	s_xor_b64 s[6:7], exec, s[8:9]
	s_cbranch_execnz .LBB44_3785
; %bb.1737:
	s_or_saveexec_b64 s[6:7], s[6:7]
	v_mov_b32_e32 v2, s10
	s_xor_b64 exec, exec, s[6:7]
	s_cbranch_execnz .LBB44_3788
.LBB44_1738:
	s_or_b64 exec, exec, s[6:7]
	s_and_saveexec_b64 s[6:7], s[4:5]
	s_cbranch_execz .LBB44_1740
.LBB44_1739:
	v_bfe_u32 v2, v8, 8, 3
	v_ffbh_u32_e32 v7, v2
	v_min_u32_e32 v7, 32, v7
	v_lshrrev_b16_e32 v6, 3, v3
	v_subrev_u32_e32 v10, 28, v7
	v_and_b32_e32 v6, 15, v6
	v_lshlrev_b32_e32 v3, v10, v3
	v_sub_u32_e32 v7, 29, v7
	v_and_b32_e32 v3, 7, v3
	v_cmp_eq_u16_e32 vcc, 0, v6
	v_cndmask_b32_e32 v2, v2, v3, vcc
	v_cndmask_b32_e32 v3, v6, v7, vcc
	v_lshlrev_b32_e32 v6, 16, v8
	v_mov_b32_e32 v7, 0x3b800000
	v_lshlrev_b32_e32 v2, 20, v2
	v_and_b32_e32 v6, 0x80000000, v6
	v_lshl_add_u32 v3, v3, 23, v7
	v_or3_b32 v2, v6, v3, v2
.LBB44_1740:
	s_or_b64 exec, exec, s[6:7]
	v_lshrrev_b32_e32 v3, 8, v4
	s_movk_i32 s4, 0x7f
	v_cmp_gt_i16_sdwa s[6:7], v3, s4 src0_sel:BYTE_0 src1_sel:DWORD
	s_mov_b64 s[4:5], 0
                                        ; implicit-def: $sgpr10
	s_and_saveexec_b64 s[8:9], s[6:7]
	s_xor_b64 s[6:7], exec, s[8:9]
	s_cbranch_execnz .LBB44_3789
; %bb.1741:
	s_or_saveexec_b64 s[6:7], s[6:7]
	v_mov_b32_e32 v6, s10
	s_xor_b64 exec, exec, s[6:7]
	s_cbranch_execnz .LBB44_3792
.LBB44_1742:
	s_or_b64 exec, exec, s[6:7]
	s_and_saveexec_b64 s[6:7], s[4:5]
	s_cbranch_execz .LBB44_1744
.LBB44_1743:
	v_bfe_u32 v6, v4, 8, 3
	v_ffbh_u32_e32 v10, v6
	v_min_u32_e32 v10, 32, v10
	v_lshrrev_b16_e32 v7, 3, v3
	v_subrev_u32_e32 v11, 28, v10
	v_and_b32_e32 v7, 15, v7
	v_lshlrev_b32_e32 v3, v11, v3
	v_sub_u32_e32 v10, 29, v10
	v_and_b32_e32 v3, 7, v3
	v_cmp_eq_u16_e32 vcc, 0, v7
	v_cndmask_b32_e32 v3, v6, v3, vcc
	v_cndmask_b32_e32 v6, v7, v10, vcc
	v_lshlrev_b32_e32 v7, 16, v4
	v_mov_b32_e32 v10, 0x3b800000
	v_lshlrev_b32_e32 v3, 20, v3
	v_and_b32_e32 v7, 0x80000000, v7
	v_lshl_add_u32 v6, v6, 23, v10
	v_or3_b32 v6, v7, v6, v3
.LBB44_1744:
	s_or_b64 exec, exec, s[6:7]
	s_nop 0
	v_mfma_f32_16x16x4f32 a[0:3], v2, v6, a[0:3]
	s_movk_i32 s4, 0xff
	v_and_b32_sdwa v3, v8, s4 dst_sel:DWORD dst_unused:UNUSED_PAD src0_sel:WORD_1 src1_sel:DWORD
	s_movk_i32 s4, 0x7f
	v_cmp_lt_i16_e32 vcc, s4, v3
	s_mov_b64 s[4:5], 0
                                        ; implicit-def: $sgpr10
	s_and_saveexec_b64 s[6:7], vcc
	s_xor_b64 s[6:7], exec, s[6:7]
	s_cbranch_execnz .LBB44_3793
; %bb.1745:
	s_or_saveexec_b64 s[6:7], s[6:7]
	v_mov_b32_e32 v2, s10
	s_xor_b64 exec, exec, s[6:7]
	s_cbranch_execnz .LBB44_3796
.LBB44_1746:
	s_or_b64 exec, exec, s[6:7]
	s_and_saveexec_b64 s[6:7], s[4:5]
	s_cbranch_execz .LBB44_1748
.LBB44_1747:
	v_bfe_u32 v2, v8, 16, 3
	v_ffbh_u32_e32 v7, v2
	v_min_u32_e32 v7, 32, v7
	v_lshrrev_b32_e32 v3, 19, v8
	v_subrev_u32_e32 v10, 28, v7
	v_and_b32_e32 v3, 15, v3
	v_lshlrev_b32_sdwa v10, v10, v8 dst_sel:DWORD dst_unused:UNUSED_PAD src0_sel:DWORD src1_sel:WORD_1
	v_bfe_u32 v6, v8, 19, 4
	v_sub_u32_e32 v7, 29, v7
	v_and_b32_e32 v10, 7, v10
	v_cmp_eq_u16_e32 vcc, 0, v3
	v_cndmask_b32_e32 v2, v2, v10, vcc
	v_cndmask_b32_e32 v3, v6, v7, vcc
	v_lshlrev_b32_e32 v6, 8, v8
	v_mov_b32_e32 v7, 0x3b800000
	v_lshlrev_b32_e32 v2, 20, v2
	v_and_b32_e32 v6, 0x80000000, v6
	v_lshl_add_u32 v3, v3, 23, v7
	v_or3_b32 v2, v6, v3, v2
.LBB44_1748:
	s_or_b64 exec, exec, s[6:7]
	s_movk_i32 s4, 0xff
	v_and_b32_sdwa v3, v4, s4 dst_sel:DWORD dst_unused:UNUSED_PAD src0_sel:WORD_1 src1_sel:DWORD
	s_movk_i32 s4, 0x7f
	v_cmp_lt_i16_e32 vcc, s4, v3
	s_mov_b64 s[4:5], 0
                                        ; implicit-def: $sgpr10
	s_and_saveexec_b64 s[6:7], vcc
	s_xor_b64 s[6:7], exec, s[6:7]
	s_cbranch_execnz .LBB44_3797
; %bb.1749:
	s_or_saveexec_b64 s[6:7], s[6:7]
	v_mov_b32_e32 v6, s10
	s_xor_b64 exec, exec, s[6:7]
	s_cbranch_execnz .LBB44_3800
.LBB44_1750:
	s_or_b64 exec, exec, s[6:7]
	s_and_saveexec_b64 s[6:7], s[4:5]
	s_cbranch_execz .LBB44_1752
.LBB44_1751:
	v_bfe_u32 v3, v4, 16, 3
	v_ffbh_u32_e32 v10, v3
	v_min_u32_e32 v10, 32, v10
	v_lshrrev_b32_e32 v6, 19, v4
	v_subrev_u32_e32 v11, 28, v10
	v_and_b32_e32 v6, 15, v6
	v_lshlrev_b32_sdwa v11, v11, v4 dst_sel:DWORD dst_unused:UNUSED_PAD src0_sel:DWORD src1_sel:WORD_1
	v_bfe_u32 v7, v4, 19, 4
	v_sub_u32_e32 v10, 29, v10
	v_and_b32_e32 v11, 7, v11
	v_cmp_eq_u16_e32 vcc, 0, v6
	v_cndmask_b32_e32 v3, v3, v11, vcc
	v_cndmask_b32_e32 v6, v7, v10, vcc
	v_lshlrev_b32_e32 v7, 8, v4
	v_mov_b32_e32 v10, 0x3b800000
	v_lshlrev_b32_e32 v3, 20, v3
	v_and_b32_e32 v7, 0x80000000, v7
	v_lshl_add_u32 v6, v6, 23, v10
	v_or3_b32 v6, v7, v6, v3
.LBB44_1752:
	s_or_b64 exec, exec, s[6:7]
	s_nop 0
	v_mfma_f32_16x16x4f32 a[0:3], v2, v6, a[0:3]
	s_movk_i32 s4, 0x7f
	v_cmp_gt_i16_sdwa s[6:7], v8, s4 src0_sel:BYTE_3 src1_sel:DWORD
	s_mov_b64 s[4:5], 0
                                        ; implicit-def: $sgpr10
	s_and_saveexec_b64 s[8:9], s[6:7]
	s_xor_b64 s[6:7], exec, s[8:9]
	s_cbranch_execnz .LBB44_3801
; %bb.1753:
	s_or_saveexec_b64 s[6:7], s[6:7]
	v_mov_b32_e32 v2, s10
	s_xor_b64 exec, exec, s[6:7]
	s_cbranch_execnz .LBB44_3804
.LBB44_1754:
	s_or_b64 exec, exec, s[6:7]
	s_and_saveexec_b64 s[6:7], s[4:5]
	s_cbranch_execz .LBB44_1756
.LBB44_1755:
	v_bfe_u32 v2, v8, 24, 3
	v_ffbh_u32_e32 v10, v2
	v_min_u32_e32 v10, 32, v10
	v_lshrrev_b32_e32 v6, 27, v8
	v_subrev_u32_e32 v11, 28, v10
	v_and_b32_e32 v3, 0x80000000, v8
	v_and_b32_e32 v6, 15, v6
	v_bfe_u32 v7, v8, 27, 4
	v_lshlrev_b32_sdwa v8, v11, v8 dst_sel:DWORD dst_unused:UNUSED_PAD src0_sel:DWORD src1_sel:BYTE_3
	v_sub_u32_e32 v10, 29, v10
	v_and_b32_e32 v8, 7, v8
	v_cmp_eq_u16_e32 vcc, 0, v6
	v_cndmask_b32_e32 v2, v2, v8, vcc
	v_cndmask_b32_e32 v6, v7, v10, vcc
	v_mov_b32_e32 v7, 0x3b800000
	v_lshlrev_b32_e32 v2, 20, v2
	v_lshl_add_u32 v6, v6, 23, v7
	v_or3_b32 v2, v3, v6, v2
.LBB44_1756:
	s_or_b64 exec, exec, s[6:7]
	s_movk_i32 s4, 0x7f
	v_cmp_gt_i16_sdwa s[6:7], v4, s4 src0_sel:BYTE_3 src1_sel:DWORD
	s_mov_b64 s[4:5], 0
                                        ; implicit-def: $sgpr10
	s_and_saveexec_b64 s[8:9], s[6:7]
	s_xor_b64 s[6:7], exec, s[8:9]
	s_cbranch_execnz .LBB44_3805
; %bb.1757:
	s_or_saveexec_b64 s[6:7], s[6:7]
	v_mov_b32_e32 v3, s10
	s_xor_b64 exec, exec, s[6:7]
	s_cbranch_execnz .LBB44_3808
.LBB44_1758:
	s_or_b64 exec, exec, s[6:7]
	s_and_saveexec_b64 s[6:7], s[4:5]
	s_cbranch_execz .LBB44_1760
.LBB44_1759:
	v_bfe_u32 v3, v4, 24, 3
	v_ffbh_u32_e32 v10, v3
	v_min_u32_e32 v10, 32, v10
	v_lshrrev_b32_e32 v7, 27, v4
	v_subrev_u32_e32 v11, 28, v10
	v_and_b32_e32 v6, 0x80000000, v4
	v_and_b32_e32 v7, 15, v7
	v_bfe_u32 v8, v4, 27, 4
	v_lshlrev_b32_sdwa v4, v11, v4 dst_sel:DWORD dst_unused:UNUSED_PAD src0_sel:DWORD src1_sel:BYTE_3
	v_sub_u32_e32 v10, 29, v10
	v_and_b32_e32 v4, 7, v4
	v_cmp_eq_u16_e32 vcc, 0, v7
	v_cndmask_b32_e32 v3, v3, v4, vcc
	v_cndmask_b32_e32 v4, v8, v10, vcc
	v_mov_b32_e32 v7, 0x3b800000
	v_lshlrev_b32_e32 v3, 20, v3
	v_lshl_add_u32 v4, v4, 23, v7
	v_or3_b32 v3, v6, v4, v3
.LBB44_1760:
	s_or_b64 exec, exec, s[6:7]
	s_nop 0
	v_mfma_f32_16x16x4f32 a[0:3], v2, v3, a[0:3]
	s_movk_i32 s4, 0x7f
	v_cmp_gt_i16_sdwa s[6:7], v9, s4 src0_sel:BYTE_0 src1_sel:DWORD
	s_mov_b64 s[4:5], 0
                                        ; implicit-def: $sgpr10
	s_and_saveexec_b64 s[8:9], s[6:7]
	s_xor_b64 s[6:7], exec, s[8:9]
	s_cbranch_execnz .LBB44_3809
; %bb.1761:
	s_or_saveexec_b64 s[6:7], s[6:7]
	v_mov_b32_e32 v2, s10
	s_xor_b64 exec, exec, s[6:7]
	s_cbranch_execnz .LBB44_3812
.LBB44_1762:
	s_or_b64 exec, exec, s[6:7]
	s_and_saveexec_b64 s[6:7], s[4:5]
	s_cbranch_execz .LBB44_1764
.LBB44_1763:
	v_mov_b32_e32 v2, 8
	v_and_b32_e32 v3, 7, v9
	v_lshrrev_b32_sdwa v2, v2, v9 dst_sel:BYTE_1 dst_unused:UNUSED_PAD src0_sel:DWORD src1_sel:DWORD
	v_ffbh_u32_e32 v4, v3
	v_or_b32_sdwa v2, v9, v2 dst_sel:DWORD dst_unused:UNUSED_PAD src0_sel:BYTE_0 src1_sel:DWORD
	v_min_u32_e32 v4, 32, v4
	v_lshrrev_b16_e32 v2, 3, v2
	v_subrev_u32_e32 v6, 28, v4
	v_and_b32_e32 v2, 15, v2
	v_lshlrev_b32_e32 v6, v6, v9
	v_sub_u32_e32 v4, 29, v4
	v_and_b32_e32 v6, 7, v6
	v_cmp_eq_u16_e32 vcc, 0, v2
	v_cndmask_b32_e32 v3, v3, v6, vcc
	v_cndmask_b32_e32 v2, v2, v4, vcc
	v_lshlrev_b32_e32 v4, 24, v9
	v_mov_b32_e32 v6, 0x3b800000
	v_lshlrev_b32_e32 v3, 20, v3
	v_and_b32_e32 v4, 0x80000000, v4
	v_lshl_add_u32 v2, v2, 23, v6
	v_or3_b32 v2, v4, v2, v3
.LBB44_1764:
	s_or_b64 exec, exec, s[6:7]
	s_movk_i32 s4, 0x7f
	v_cmp_gt_i16_sdwa s[6:7], v5, s4 src0_sel:BYTE_0 src1_sel:DWORD
	s_mov_b64 s[4:5], 0
                                        ; implicit-def: $sgpr10
	s_and_saveexec_b64 s[8:9], s[6:7]
	s_xor_b64 s[6:7], exec, s[8:9]
	s_cbranch_execnz .LBB44_3813
; %bb.1765:
	s_or_saveexec_b64 s[6:7], s[6:7]
	v_mov_b32_e32 v3, s10
	s_xor_b64 exec, exec, s[6:7]
	s_cbranch_execnz .LBB44_3816
.LBB44_1766:
	s_or_b64 exec, exec, s[6:7]
	s_and_saveexec_b64 s[6:7], s[4:5]
	s_cbranch_execz .LBB44_1768
.LBB44_1767:
	v_mov_b32_e32 v3, 8
	v_and_b32_e32 v4, 7, v5
	v_lshrrev_b32_sdwa v3, v3, v5 dst_sel:BYTE_1 dst_unused:UNUSED_PAD src0_sel:DWORD src1_sel:DWORD
	v_ffbh_u32_e32 v6, v4
	v_or_b32_sdwa v3, v5, v3 dst_sel:DWORD dst_unused:UNUSED_PAD src0_sel:BYTE_0 src1_sel:DWORD
	v_min_u32_e32 v6, 32, v6
	v_lshrrev_b16_e32 v3, 3, v3
	v_subrev_u32_e32 v7, 28, v6
	v_and_b32_e32 v3, 15, v3
	v_lshlrev_b32_e32 v7, v7, v5
	v_sub_u32_e32 v6, 29, v6
	v_and_b32_e32 v7, 7, v7
	v_cmp_eq_u16_e32 vcc, 0, v3
	v_cndmask_b32_e32 v4, v4, v7, vcc
	v_cndmask_b32_e32 v3, v3, v6, vcc
	v_lshlrev_b32_e32 v6, 24, v5
	v_mov_b32_e32 v7, 0x3b800000
	v_lshlrev_b32_e32 v4, 20, v4
	v_and_b32_e32 v6, 0x80000000, v6
	v_lshl_add_u32 v3, v3, 23, v7
	v_or3_b32 v3, v6, v3, v4
.LBB44_1768:
	s_or_b64 exec, exec, s[6:7]
	s_nop 0
	v_mfma_f32_16x16x4f32 a[0:3], v2, v3, a[0:3]
	v_lshrrev_b32_e32 v3, 8, v9
	s_movk_i32 s4, 0x7f
	v_cmp_gt_i16_sdwa s[6:7], v3, s4 src0_sel:BYTE_0 src1_sel:DWORD
	s_mov_b64 s[4:5], 0
                                        ; implicit-def: $sgpr10
	s_and_saveexec_b64 s[8:9], s[6:7]
	s_xor_b64 s[6:7], exec, s[8:9]
	s_cbranch_execnz .LBB44_3817
; %bb.1769:
	s_or_saveexec_b64 s[6:7], s[6:7]
	v_mov_b32_e32 v2, s10
	s_xor_b64 exec, exec, s[6:7]
	s_cbranch_execnz .LBB44_3820
.LBB44_1770:
	s_or_b64 exec, exec, s[6:7]
	s_and_saveexec_b64 s[6:7], s[4:5]
	s_cbranch_execz .LBB44_1772
.LBB44_1771:
	v_bfe_u32 v2, v9, 8, 3
	v_ffbh_u32_e32 v6, v2
	v_min_u32_e32 v6, 32, v6
	v_lshrrev_b16_e32 v4, 3, v3
	v_subrev_u32_e32 v7, 28, v6
	v_and_b32_e32 v4, 15, v4
	v_lshlrev_b32_e32 v3, v7, v3
	v_sub_u32_e32 v6, 29, v6
	v_and_b32_e32 v3, 7, v3
	v_cmp_eq_u16_e32 vcc, 0, v4
	v_cndmask_b32_e32 v2, v2, v3, vcc
	v_cndmask_b32_e32 v3, v4, v6, vcc
	v_lshlrev_b32_e32 v4, 16, v9
	v_mov_b32_e32 v6, 0x3b800000
	v_lshlrev_b32_e32 v2, 20, v2
	v_and_b32_e32 v4, 0x80000000, v4
	v_lshl_add_u32 v3, v3, 23, v6
	v_or3_b32 v2, v4, v3, v2
.LBB44_1772:
	s_or_b64 exec, exec, s[6:7]
	v_lshrrev_b32_e32 v3, 8, v5
	s_movk_i32 s4, 0x7f
	v_cmp_gt_i16_sdwa s[6:7], v3, s4 src0_sel:BYTE_0 src1_sel:DWORD
	s_mov_b64 s[4:5], 0
                                        ; implicit-def: $sgpr10
	s_and_saveexec_b64 s[8:9], s[6:7]
	s_xor_b64 s[6:7], exec, s[8:9]
	s_cbranch_execnz .LBB44_3821
; %bb.1773:
	s_or_saveexec_b64 s[6:7], s[6:7]
	v_mov_b32_e32 v4, s10
	s_xor_b64 exec, exec, s[6:7]
	s_cbranch_execnz .LBB44_3824
.LBB44_1774:
	s_or_b64 exec, exec, s[6:7]
	s_and_saveexec_b64 s[6:7], s[4:5]
	s_cbranch_execz .LBB44_1776
.LBB44_1775:
	v_bfe_u32 v4, v5, 8, 3
	v_ffbh_u32_e32 v7, v4
	v_min_u32_e32 v7, 32, v7
	v_lshrrev_b16_e32 v6, 3, v3
	v_subrev_u32_e32 v8, 28, v7
	v_and_b32_e32 v6, 15, v6
	v_lshlrev_b32_e32 v3, v8, v3
	v_sub_u32_e32 v7, 29, v7
	v_and_b32_e32 v3, 7, v3
	v_cmp_eq_u16_e32 vcc, 0, v6
	v_cndmask_b32_e32 v3, v4, v3, vcc
	v_cndmask_b32_e32 v4, v6, v7, vcc
	v_lshlrev_b32_e32 v6, 16, v5
	v_mov_b32_e32 v7, 0x3b800000
	v_lshlrev_b32_e32 v3, 20, v3
	v_and_b32_e32 v6, 0x80000000, v6
	v_lshl_add_u32 v4, v4, 23, v7
	v_or3_b32 v4, v6, v4, v3
.LBB44_1776:
	s_or_b64 exec, exec, s[6:7]
	s_nop 0
	v_mfma_f32_16x16x4f32 a[0:3], v2, v4, a[0:3]
	s_movk_i32 s4, 0xff
	v_and_b32_sdwa v3, v9, s4 dst_sel:DWORD dst_unused:UNUSED_PAD src0_sel:WORD_1 src1_sel:DWORD
	s_movk_i32 s4, 0x7f
	v_cmp_lt_i16_e32 vcc, s4, v3
	s_mov_b64 s[4:5], 0
                                        ; implicit-def: $sgpr10
	s_and_saveexec_b64 s[6:7], vcc
	s_xor_b64 s[6:7], exec, s[6:7]
	s_cbranch_execnz .LBB44_3825
; %bb.1777:
	s_or_saveexec_b64 s[6:7], s[6:7]
	v_mov_b32_e32 v2, s10
	s_xor_b64 exec, exec, s[6:7]
	s_cbranch_execnz .LBB44_3828
.LBB44_1778:
	s_or_b64 exec, exec, s[6:7]
	s_and_saveexec_b64 s[6:7], s[4:5]
	s_cbranch_execz .LBB44_1780
.LBB44_1779:
	v_bfe_u32 v2, v9, 16, 3
	v_ffbh_u32_e32 v6, v2
	v_min_u32_e32 v6, 32, v6
	v_lshrrev_b32_e32 v3, 19, v9
	v_subrev_u32_e32 v7, 28, v6
	v_and_b32_e32 v3, 15, v3
	v_lshlrev_b32_sdwa v7, v7, v9 dst_sel:DWORD dst_unused:UNUSED_PAD src0_sel:DWORD src1_sel:WORD_1
	v_bfe_u32 v4, v9, 19, 4
	v_sub_u32_e32 v6, 29, v6
	v_and_b32_e32 v7, 7, v7
	v_cmp_eq_u16_e32 vcc, 0, v3
	v_cndmask_b32_e32 v2, v2, v7, vcc
	v_cndmask_b32_e32 v3, v4, v6, vcc
	v_lshlrev_b32_e32 v4, 8, v9
	v_mov_b32_e32 v6, 0x3b800000
	v_lshlrev_b32_e32 v2, 20, v2
	v_and_b32_e32 v4, 0x80000000, v4
	v_lshl_add_u32 v3, v3, 23, v6
	v_or3_b32 v2, v4, v3, v2
.LBB44_1780:
	s_or_b64 exec, exec, s[6:7]
	s_movk_i32 s4, 0xff
	v_and_b32_sdwa v3, v5, s4 dst_sel:DWORD dst_unused:UNUSED_PAD src0_sel:WORD_1 src1_sel:DWORD
	s_movk_i32 s4, 0x7f
	v_cmp_lt_i16_e32 vcc, s4, v3
	s_mov_b64 s[4:5], 0
                                        ; implicit-def: $sgpr10
	s_and_saveexec_b64 s[6:7], vcc
	s_xor_b64 s[6:7], exec, s[6:7]
	s_cbranch_execnz .LBB44_3829
; %bb.1781:
	s_or_saveexec_b64 s[6:7], s[6:7]
	v_mov_b32_e32 v4, s10
	s_xor_b64 exec, exec, s[6:7]
	s_cbranch_execnz .LBB44_3832
.LBB44_1782:
	s_or_b64 exec, exec, s[6:7]
	s_and_saveexec_b64 s[6:7], s[4:5]
	s_cbranch_execz .LBB44_1784
.LBB44_1783:
	v_bfe_u32 v3, v5, 16, 3
	v_ffbh_u32_e32 v7, v3
	v_min_u32_e32 v7, 32, v7
	v_lshrrev_b32_e32 v4, 19, v5
	v_subrev_u32_e32 v8, 28, v7
	v_and_b32_e32 v4, 15, v4
	v_lshlrev_b32_sdwa v8, v8, v5 dst_sel:DWORD dst_unused:UNUSED_PAD src0_sel:DWORD src1_sel:WORD_1
	v_bfe_u32 v6, v5, 19, 4
	v_sub_u32_e32 v7, 29, v7
	v_and_b32_e32 v8, 7, v8
	v_cmp_eq_u16_e32 vcc, 0, v4
	v_cndmask_b32_e32 v3, v3, v8, vcc
	v_cndmask_b32_e32 v4, v6, v7, vcc
	v_lshlrev_b32_e32 v6, 8, v5
	v_mov_b32_e32 v7, 0x3b800000
	v_lshlrev_b32_e32 v3, 20, v3
	v_and_b32_e32 v6, 0x80000000, v6
	v_lshl_add_u32 v4, v4, 23, v7
	v_or3_b32 v4, v6, v4, v3
.LBB44_1784:
	s_or_b64 exec, exec, s[6:7]
	s_nop 0
	v_mfma_f32_16x16x4f32 a[0:3], v2, v4, a[0:3]
	s_movk_i32 s4, 0x7f
	v_cmp_gt_i16_sdwa s[6:7], v9, s4 src0_sel:BYTE_3 src1_sel:DWORD
	s_mov_b64 s[4:5], 0
                                        ; implicit-def: $sgpr10
	s_and_saveexec_b64 s[8:9], s[6:7]
	s_xor_b64 s[6:7], exec, s[8:9]
	s_cbranch_execnz .LBB44_3833
; %bb.1785:
	s_or_saveexec_b64 s[6:7], s[6:7]
	v_mov_b32_e32 v2, s10
	s_xor_b64 exec, exec, s[6:7]
	s_cbranch_execnz .LBB44_3836
.LBB44_1786:
	s_or_b64 exec, exec, s[6:7]
	s_and_saveexec_b64 s[6:7], s[4:5]
	s_cbranch_execz .LBB44_1788
.LBB44_1787:
	v_bfe_u32 v2, v9, 24, 3
	v_ffbh_u32_e32 v7, v2
	v_min_u32_e32 v7, 32, v7
	v_lshrrev_b32_e32 v4, 27, v9
	v_subrev_u32_e32 v8, 28, v7
	v_and_b32_e32 v4, 15, v4
	v_lshlrev_b32_sdwa v8, v8, v9 dst_sel:DWORD dst_unused:UNUSED_PAD src0_sel:DWORD src1_sel:BYTE_3
	v_bfe_u32 v6, v9, 27, 4
	v_sub_u32_e32 v7, 29, v7
	v_and_b32_e32 v8, 7, v8
	v_cmp_eq_u16_e32 vcc, 0, v4
	v_cndmask_b32_e32 v2, v2, v8, vcc
	v_cndmask_b32_e32 v4, v6, v7, vcc
	v_mov_b32_e32 v6, 0x3b800000
	v_and_b32_e32 v3, 0x80000000, v9
	v_lshlrev_b32_e32 v2, 20, v2
	v_lshl_add_u32 v4, v4, 23, v6
	v_or3_b32 v2, v3, v4, v2
.LBB44_1788:
	s_or_b64 exec, exec, s[6:7]
	s_movk_i32 s4, 0x7f
	v_cmp_gt_i16_sdwa s[6:7], v5, s4 src0_sel:BYTE_3 src1_sel:DWORD
	s_mov_b64 s[4:5], 0
                                        ; implicit-def: $sgpr10
	s_and_saveexec_b64 s[8:9], s[6:7]
	s_xor_b64 s[6:7], exec, s[8:9]
	s_cbranch_execnz .LBB44_3837
; %bb.1789:
	s_or_saveexec_b64 s[6:7], s[6:7]
	v_mov_b32_e32 v3, s10
	s_xor_b64 exec, exec, s[6:7]
	s_cbranch_execnz .LBB44_3840
.LBB44_1790:
	s_or_b64 exec, exec, s[6:7]
	s_and_saveexec_b64 s[6:7], s[4:5]
	s_cbranch_execz .LBB44_1792
.LBB44_1791:
	v_bfe_u32 v3, v5, 24, 3
	v_ffbh_u32_e32 v8, v3
	v_min_u32_e32 v8, 32, v8
	v_lshrrev_b32_e32 v6, 27, v5
	v_subrev_u32_e32 v9, 28, v8
	v_and_b32_e32 v4, 0x80000000, v5
	v_and_b32_e32 v6, 15, v6
	v_bfe_u32 v7, v5, 27, 4
	v_lshlrev_b32_sdwa v5, v9, v5 dst_sel:DWORD dst_unused:UNUSED_PAD src0_sel:DWORD src1_sel:BYTE_3
	v_sub_u32_e32 v8, 29, v8
	v_and_b32_e32 v5, 7, v5
	v_cmp_eq_u16_e32 vcc, 0, v6
	v_cndmask_b32_e32 v3, v3, v5, vcc
	v_cndmask_b32_e32 v5, v7, v8, vcc
	v_mov_b32_e32 v6, 0x3b800000
	v_lshlrev_b32_e32 v3, 20, v3
	v_lshl_add_u32 v5, v5, 23, v6
	v_or3_b32 v3, v4, v5, v3
.LBB44_1792:
	s_or_b64 exec, exec, s[6:7]
	s_nop 0
	v_mfma_f32_16x16x4f32 a[0:3], v2, v3, a[0:3]
	s_movk_i32 s4, 0x7f
                                        ; implicit-def: $sgpr10
	s_nop 7
	s_nop 1
	flat_store_dwordx4 v[18:19], a[0:3] offset:96
	flat_load_dwordx4 v[18:21], v[0:1] offset:8
	s_nop 0
	flat_load_dwordx2 v[16:17], v[0:1] offset:24
	s_waitcnt vmcnt(0) lgkmcnt(0)
	flat_load_dwordx4 v[12:15], v[18:19]
	flat_load_dwordx4 v[4:7], v[18:19] offset:16
	flat_load_dwordx4 v[8:11], v[20:21] offset:224
	;; [unrolled: 1-line block ×3, first 2 shown]
	s_waitcnt vmcnt(0) lgkmcnt(0)
	v_cmp_gt_i16_sdwa s[6:7], v12, s4 src0_sel:BYTE_0 src1_sel:DWORD
	s_mov_b64 s[4:5], 0
	s_and_saveexec_b64 s[8:9], s[6:7]
	s_xor_b64 s[6:7], exec, s[8:9]
	s_cbranch_execnz .LBB44_3841
; %bb.1793:
	s_or_saveexec_b64 s[6:7], s[6:7]
	v_mov_b32_e32 v18, s10
	s_xor_b64 exec, exec, s[6:7]
	s_cbranch_execnz .LBB44_3844
.LBB44_1794:
	s_or_b64 exec, exec, s[6:7]
	s_and_saveexec_b64 s[6:7], s[4:5]
	s_cbranch_execz .LBB44_1796
.LBB44_1795:
	v_and_b32_e32 v18, 7, v12
	v_ffbh_u32_e32 v20, v18
	v_min_u32_e32 v20, 32, v20
	v_lshrrev_b16_e32 v19, 3, v12
	v_subrev_u32_e32 v21, 28, v20
	v_and_b32_e32 v19, 15, v19
	v_lshlrev_b32_e32 v21, v21, v12
	v_sub_u32_e32 v20, 29, v20
	v_and_b32_e32 v21, 7, v21
	v_cmp_eq_u16_e32 vcc, 0, v19
	v_cndmask_b32_e32 v18, v18, v21, vcc
	v_cndmask_b32_e32 v19, v19, v20, vcc
	v_lshlrev_b32_e32 v20, 24, v12
	v_mov_b32_e32 v21, 0x3b800000
	v_lshlrev_b32_e32 v18, 20, v18
	v_and_b32_e32 v20, 0x80000000, v20
	v_lshl_add_u32 v19, v19, 23, v21
	v_or3_b32 v18, v20, v19, v18
.LBB44_1796:
	s_or_b64 exec, exec, s[6:7]
	s_movk_i32 s4, 0x7f
	v_cmp_gt_i16_sdwa s[6:7], v8, s4 src0_sel:BYTE_0 src1_sel:DWORD
	s_mov_b64 s[4:5], 0
                                        ; implicit-def: $sgpr10
	s_and_saveexec_b64 s[8:9], s[6:7]
	s_xor_b64 s[6:7], exec, s[8:9]
	s_cbranch_execnz .LBB44_3845
; %bb.1797:
	s_or_saveexec_b64 s[6:7], s[6:7]
	v_mov_b32_e32 v19, s10
	s_xor_b64 exec, exec, s[6:7]
	s_cbranch_execnz .LBB44_3848
.LBB44_1798:
	s_or_b64 exec, exec, s[6:7]
	s_and_saveexec_b64 s[6:7], s[4:5]
	s_cbranch_execz .LBB44_1800
.LBB44_1799:
	v_and_b32_e32 v19, 7, v8
	v_ffbh_u32_e32 v21, v19
	v_min_u32_e32 v21, 32, v21
	v_lshrrev_b16_e32 v20, 3, v8
	v_subrev_u32_e32 v22, 28, v21
	v_and_b32_e32 v20, 15, v20
	v_lshlrev_b32_e32 v22, v22, v8
	v_sub_u32_e32 v21, 29, v21
	v_and_b32_e32 v22, 7, v22
	v_cmp_eq_u16_e32 vcc, 0, v20
	v_cndmask_b32_e32 v19, v19, v22, vcc
	v_cndmask_b32_e32 v20, v20, v21, vcc
	v_lshlrev_b32_e32 v21, 24, v8
	v_mov_b32_e32 v22, 0x3b800000
	v_lshlrev_b32_e32 v19, 20, v19
	v_and_b32_e32 v21, 0x80000000, v21
	v_lshl_add_u32 v20, v20, 23, v22
	v_or3_b32 v19, v21, v20, v19
.LBB44_1800:
	s_or_b64 exec, exec, s[6:7]
	flat_load_dwordx4 a[0:3], v[16:17] offset:112
	s_movk_i32 s4, 0x7f
                                        ; implicit-def: $sgpr10
	s_waitcnt vmcnt(0) lgkmcnt(0)
	v_mfma_f32_16x16x4f32 a[0:3], v18, v19, a[0:3]
	v_lshrrev_b32_e32 v19, 8, v12
	v_cmp_gt_i16_sdwa s[6:7], v19, s4 src0_sel:BYTE_0 src1_sel:DWORD
	s_mov_b64 s[4:5], 0
	s_and_saveexec_b64 s[8:9], s[6:7]
	s_xor_b64 s[6:7], exec, s[8:9]
	s_cbranch_execnz .LBB44_3849
; %bb.1801:
	s_or_saveexec_b64 s[6:7], s[6:7]
	v_mov_b32_e32 v18, s10
	s_xor_b64 exec, exec, s[6:7]
	s_cbranch_execnz .LBB44_3852
.LBB44_1802:
	s_or_b64 exec, exec, s[6:7]
	s_and_saveexec_b64 s[6:7], s[4:5]
	s_cbranch_execz .LBB44_1804
.LBB44_1803:
	v_bfe_u32 v18, v12, 8, 3
	v_ffbh_u32_e32 v21, v18
	v_min_u32_e32 v21, 32, v21
	v_lshrrev_b16_e32 v20, 3, v19
	v_subrev_u32_e32 v22, 28, v21
	v_and_b32_e32 v20, 15, v20
	v_lshlrev_b32_e32 v19, v22, v19
	v_sub_u32_e32 v21, 29, v21
	v_and_b32_e32 v19, 7, v19
	v_cmp_eq_u16_e32 vcc, 0, v20
	v_cndmask_b32_e32 v18, v18, v19, vcc
	v_cndmask_b32_e32 v19, v20, v21, vcc
	v_lshlrev_b32_e32 v20, 16, v12
	v_mov_b32_e32 v21, 0x3b800000
	v_lshlrev_b32_e32 v18, 20, v18
	v_and_b32_e32 v20, 0x80000000, v20
	v_lshl_add_u32 v19, v19, 23, v21
	v_or3_b32 v18, v20, v19, v18
.LBB44_1804:
	s_or_b64 exec, exec, s[6:7]
	v_lshrrev_b32_e32 v19, 8, v8
	s_movk_i32 s4, 0x7f
	v_cmp_gt_i16_sdwa s[6:7], v19, s4 src0_sel:BYTE_0 src1_sel:DWORD
	s_mov_b64 s[4:5], 0
                                        ; implicit-def: $sgpr10
	s_and_saveexec_b64 s[8:9], s[6:7]
	s_xor_b64 s[6:7], exec, s[8:9]
	s_cbranch_execnz .LBB44_3853
; %bb.1805:
	s_or_saveexec_b64 s[6:7], s[6:7]
	v_mov_b32_e32 v20, s10
	s_xor_b64 exec, exec, s[6:7]
	s_cbranch_execnz .LBB44_3856
.LBB44_1806:
	s_or_b64 exec, exec, s[6:7]
	s_and_saveexec_b64 s[6:7], s[4:5]
	s_cbranch_execz .LBB44_1808
.LBB44_1807:
	v_bfe_u32 v20, v8, 8, 3
	v_ffbh_u32_e32 v22, v20
	v_min_u32_e32 v22, 32, v22
	v_lshrrev_b16_e32 v21, 3, v19
	v_subrev_u32_e32 v23, 28, v22
	v_and_b32_e32 v21, 15, v21
	v_lshlrev_b32_e32 v19, v23, v19
	v_sub_u32_e32 v22, 29, v22
	v_and_b32_e32 v19, 7, v19
	v_cmp_eq_u16_e32 vcc, 0, v21
	v_cndmask_b32_e32 v19, v20, v19, vcc
	v_cndmask_b32_e32 v20, v21, v22, vcc
	v_lshlrev_b32_e32 v21, 16, v8
	v_mov_b32_e32 v22, 0x3b800000
	v_lshlrev_b32_e32 v19, 20, v19
	v_and_b32_e32 v21, 0x80000000, v21
	v_lshl_add_u32 v20, v20, 23, v22
	v_or3_b32 v20, v21, v20, v19
.LBB44_1808:
	s_or_b64 exec, exec, s[6:7]
	s_nop 0
	v_mfma_f32_16x16x4f32 a[0:3], v18, v20, a[0:3]
	s_movk_i32 s4, 0xff
	v_and_b32_sdwa v19, v12, s4 dst_sel:DWORD dst_unused:UNUSED_PAD src0_sel:WORD_1 src1_sel:DWORD
	s_movk_i32 s4, 0x7f
	v_cmp_lt_i16_e32 vcc, s4, v19
	s_mov_b64 s[4:5], 0
                                        ; implicit-def: $sgpr10
	s_and_saveexec_b64 s[6:7], vcc
	s_xor_b64 s[6:7], exec, s[6:7]
	s_cbranch_execnz .LBB44_3857
; %bb.1809:
	s_or_saveexec_b64 s[6:7], s[6:7]
	v_mov_b32_e32 v18, s10
	s_xor_b64 exec, exec, s[6:7]
	s_cbranch_execnz .LBB44_3860
.LBB44_1810:
	s_or_b64 exec, exec, s[6:7]
	s_and_saveexec_b64 s[6:7], s[4:5]
	s_cbranch_execz .LBB44_1812
.LBB44_1811:
	v_bfe_u32 v18, v12, 16, 3
	v_ffbh_u32_e32 v21, v18
	v_min_u32_e32 v21, 32, v21
	v_lshrrev_b32_e32 v19, 19, v12
	v_subrev_u32_e32 v22, 28, v21
	v_and_b32_e32 v19, 15, v19
	v_lshlrev_b32_sdwa v22, v22, v12 dst_sel:DWORD dst_unused:UNUSED_PAD src0_sel:DWORD src1_sel:WORD_1
	v_bfe_u32 v20, v12, 19, 4
	v_sub_u32_e32 v21, 29, v21
	v_and_b32_e32 v22, 7, v22
	v_cmp_eq_u16_e32 vcc, 0, v19
	v_cndmask_b32_e32 v18, v18, v22, vcc
	v_cndmask_b32_e32 v19, v20, v21, vcc
	v_lshlrev_b32_e32 v20, 8, v12
	v_mov_b32_e32 v21, 0x3b800000
	v_lshlrev_b32_e32 v18, 20, v18
	v_and_b32_e32 v20, 0x80000000, v20
	v_lshl_add_u32 v19, v19, 23, v21
	v_or3_b32 v18, v20, v19, v18
.LBB44_1812:
	s_or_b64 exec, exec, s[6:7]
	s_movk_i32 s4, 0xff
	v_and_b32_sdwa v19, v8, s4 dst_sel:DWORD dst_unused:UNUSED_PAD src0_sel:WORD_1 src1_sel:DWORD
	s_movk_i32 s4, 0x7f
	v_cmp_lt_i16_e32 vcc, s4, v19
	s_mov_b64 s[4:5], 0
                                        ; implicit-def: $sgpr10
	s_and_saveexec_b64 s[6:7], vcc
	s_xor_b64 s[6:7], exec, s[6:7]
	s_cbranch_execnz .LBB44_3861
; %bb.1813:
	s_or_saveexec_b64 s[6:7], s[6:7]
	v_mov_b32_e32 v20, s10
	s_xor_b64 exec, exec, s[6:7]
	s_cbranch_execnz .LBB44_3864
.LBB44_1814:
	s_or_b64 exec, exec, s[6:7]
	s_and_saveexec_b64 s[6:7], s[4:5]
	s_cbranch_execz .LBB44_1816
.LBB44_1815:
	v_bfe_u32 v19, v8, 16, 3
	v_ffbh_u32_e32 v22, v19
	v_min_u32_e32 v22, 32, v22
	v_lshrrev_b32_e32 v20, 19, v8
	v_subrev_u32_e32 v23, 28, v22
	v_and_b32_e32 v20, 15, v20
	v_lshlrev_b32_sdwa v23, v23, v8 dst_sel:DWORD dst_unused:UNUSED_PAD src0_sel:DWORD src1_sel:WORD_1
	v_bfe_u32 v21, v8, 19, 4
	v_sub_u32_e32 v22, 29, v22
	v_and_b32_e32 v23, 7, v23
	v_cmp_eq_u16_e32 vcc, 0, v20
	v_cndmask_b32_e32 v19, v19, v23, vcc
	v_cndmask_b32_e32 v20, v21, v22, vcc
	v_lshlrev_b32_e32 v21, 8, v8
	v_mov_b32_e32 v22, 0x3b800000
	v_lshlrev_b32_e32 v19, 20, v19
	v_and_b32_e32 v21, 0x80000000, v21
	v_lshl_add_u32 v20, v20, 23, v22
	v_or3_b32 v20, v21, v20, v19
.LBB44_1816:
	s_or_b64 exec, exec, s[6:7]
	s_nop 0
	v_mfma_f32_16x16x4f32 a[0:3], v18, v20, a[0:3]
	s_movk_i32 s4, 0x7f
	v_cmp_gt_i16_sdwa s[6:7], v12, s4 src0_sel:BYTE_3 src1_sel:DWORD
	s_mov_b64 s[4:5], 0
                                        ; implicit-def: $sgpr10
	s_and_saveexec_b64 s[8:9], s[6:7]
	s_xor_b64 s[6:7], exec, s[8:9]
	s_cbranch_execnz .LBB44_3865
; %bb.1817:
	s_or_saveexec_b64 s[6:7], s[6:7]
	v_mov_b32_e32 v18, s10
	s_xor_b64 exec, exec, s[6:7]
	s_cbranch_execnz .LBB44_3868
.LBB44_1818:
	s_or_b64 exec, exec, s[6:7]
	s_and_saveexec_b64 s[6:7], s[4:5]
	s_cbranch_execz .LBB44_1820
.LBB44_1819:
	v_bfe_u32 v18, v12, 24, 3
	v_ffbh_u32_e32 v22, v18
	v_min_u32_e32 v22, 32, v22
	v_lshrrev_b32_e32 v20, 27, v12
	v_subrev_u32_e32 v23, 28, v22
	v_and_b32_e32 v19, 0x80000000, v12
	v_and_b32_e32 v20, 15, v20
	v_bfe_u32 v21, v12, 27, 4
	v_lshlrev_b32_sdwa v12, v23, v12 dst_sel:DWORD dst_unused:UNUSED_PAD src0_sel:DWORD src1_sel:BYTE_3
	v_sub_u32_e32 v22, 29, v22
	v_and_b32_e32 v12, 7, v12
	v_cmp_eq_u16_e32 vcc, 0, v20
	v_cndmask_b32_e32 v12, v18, v12, vcc
	v_cndmask_b32_e32 v18, v21, v22, vcc
	v_mov_b32_e32 v20, 0x3b800000
	v_lshlrev_b32_e32 v12, 20, v12
	v_lshl_add_u32 v18, v18, 23, v20
	v_or3_b32 v18, v19, v18, v12
.LBB44_1820:
	s_or_b64 exec, exec, s[6:7]
	s_movk_i32 s4, 0x7f
	v_cmp_gt_i16_sdwa s[6:7], v8, s4 src0_sel:BYTE_3 src1_sel:DWORD
	s_mov_b64 s[4:5], 0
                                        ; implicit-def: $sgpr10
	s_and_saveexec_b64 s[8:9], s[6:7]
	s_xor_b64 s[6:7], exec, s[8:9]
	s_cbranch_execnz .LBB44_3869
; %bb.1821:
	s_or_saveexec_b64 s[6:7], s[6:7]
	v_mov_b32_e32 v12, s10
	s_xor_b64 exec, exec, s[6:7]
	s_cbranch_execnz .LBB44_3872
.LBB44_1822:
	s_or_b64 exec, exec, s[6:7]
	s_and_saveexec_b64 s[6:7], s[4:5]
	s_cbranch_execz .LBB44_1824
.LBB44_1823:
	v_bfe_u32 v12, v8, 24, 3
	v_ffbh_u32_e32 v22, v12
	v_min_u32_e32 v22, 32, v22
	v_lshrrev_b32_e32 v20, 27, v8
	v_subrev_u32_e32 v23, 28, v22
	v_and_b32_e32 v19, 0x80000000, v8
	v_and_b32_e32 v20, 15, v20
	v_bfe_u32 v21, v8, 27, 4
	v_lshlrev_b32_sdwa v8, v23, v8 dst_sel:DWORD dst_unused:UNUSED_PAD src0_sel:DWORD src1_sel:BYTE_3
	v_sub_u32_e32 v22, 29, v22
	v_and_b32_e32 v8, 7, v8
	v_cmp_eq_u16_e32 vcc, 0, v20
	v_cndmask_b32_e32 v8, v12, v8, vcc
	v_cndmask_b32_e32 v12, v21, v22, vcc
	v_mov_b32_e32 v20, 0x3b800000
	v_lshlrev_b32_e32 v8, 20, v8
	v_lshl_add_u32 v12, v12, 23, v20
	v_or3_b32 v12, v19, v12, v8
.LBB44_1824:
	s_or_b64 exec, exec, s[6:7]
	s_nop 0
	v_mfma_f32_16x16x4f32 a[0:3], v18, v12, a[0:3]
	s_movk_i32 s4, 0x7f
	v_cmp_gt_i16_sdwa s[6:7], v13, s4 src0_sel:BYTE_0 src1_sel:DWORD
	s_mov_b64 s[4:5], 0
                                        ; implicit-def: $sgpr10
	s_and_saveexec_b64 s[8:9], s[6:7]
	s_xor_b64 s[6:7], exec, s[8:9]
	s_cbranch_execnz .LBB44_3873
; %bb.1825:
	s_or_saveexec_b64 s[6:7], s[6:7]
	v_mov_b32_e32 v8, s10
	s_xor_b64 exec, exec, s[6:7]
	s_cbranch_execnz .LBB44_3876
.LBB44_1826:
	s_or_b64 exec, exec, s[6:7]
	s_and_saveexec_b64 s[6:7], s[4:5]
	s_cbranch_execz .LBB44_1828
.LBB44_1827:
	v_and_b32_e32 v8, 7, v13
	v_ffbh_u32_e32 v18, v8
	v_min_u32_e32 v18, 32, v18
	v_lshrrev_b16_e32 v12, 3, v13
	v_subrev_u32_e32 v19, 28, v18
	v_and_b32_e32 v12, 15, v12
	v_lshlrev_b32_e32 v19, v19, v13
	v_sub_u32_e32 v18, 29, v18
	v_and_b32_e32 v19, 7, v19
	v_cmp_eq_u16_e32 vcc, 0, v12
	v_cndmask_b32_e32 v8, v8, v19, vcc
	v_cndmask_b32_e32 v12, v12, v18, vcc
	v_lshlrev_b32_e32 v18, 24, v13
	v_mov_b32_e32 v19, 0x3b800000
	v_lshlrev_b32_e32 v8, 20, v8
	v_and_b32_e32 v18, 0x80000000, v18
	v_lshl_add_u32 v12, v12, 23, v19
	v_or3_b32 v8, v18, v12, v8
.LBB44_1828:
	s_or_b64 exec, exec, s[6:7]
	s_movk_i32 s4, 0x7f
	v_cmp_gt_i16_sdwa s[6:7], v9, s4 src0_sel:BYTE_0 src1_sel:DWORD
	s_mov_b64 s[4:5], 0
                                        ; implicit-def: $sgpr10
	s_and_saveexec_b64 s[8:9], s[6:7]
	s_xor_b64 s[6:7], exec, s[8:9]
	s_cbranch_execnz .LBB44_3877
; %bb.1829:
	s_or_saveexec_b64 s[6:7], s[6:7]
	v_mov_b32_e32 v12, s10
	s_xor_b64 exec, exec, s[6:7]
	s_cbranch_execnz .LBB44_3880
.LBB44_1830:
	s_or_b64 exec, exec, s[6:7]
	s_and_saveexec_b64 s[6:7], s[4:5]
	s_cbranch_execz .LBB44_1832
.LBB44_1831:
	v_and_b32_e32 v12, 7, v9
	v_ffbh_u32_e32 v19, v12
	v_min_u32_e32 v19, 32, v19
	v_lshrrev_b16_e32 v18, 3, v9
	v_subrev_u32_e32 v20, 28, v19
	v_and_b32_e32 v18, 15, v18
	v_lshlrev_b32_e32 v20, v20, v9
	v_sub_u32_e32 v19, 29, v19
	v_and_b32_e32 v20, 7, v20
	v_cmp_eq_u16_e32 vcc, 0, v18
	v_cndmask_b32_e32 v12, v12, v20, vcc
	v_cndmask_b32_e32 v18, v18, v19, vcc
	v_lshlrev_b32_e32 v19, 24, v9
	v_mov_b32_e32 v20, 0x3b800000
	v_lshlrev_b32_e32 v12, 20, v12
	v_and_b32_e32 v19, 0x80000000, v19
	v_lshl_add_u32 v18, v18, 23, v20
	v_or3_b32 v12, v19, v18, v12
.LBB44_1832:
	s_or_b64 exec, exec, s[6:7]
	s_nop 0
	v_mfma_f32_16x16x4f32 a[0:3], v8, v12, a[0:3]
	v_lshrrev_b32_e32 v12, 8, v13
	s_movk_i32 s4, 0x7f
	v_cmp_gt_i16_sdwa s[6:7], v12, s4 src0_sel:BYTE_0 src1_sel:DWORD
	s_mov_b64 s[4:5], 0
                                        ; implicit-def: $sgpr10
	s_and_saveexec_b64 s[8:9], s[6:7]
	s_xor_b64 s[6:7], exec, s[8:9]
	s_cbranch_execnz .LBB44_3881
; %bb.1833:
	s_or_saveexec_b64 s[6:7], s[6:7]
	v_mov_b32_e32 v8, s10
	s_xor_b64 exec, exec, s[6:7]
	s_cbranch_execnz .LBB44_3884
.LBB44_1834:
	s_or_b64 exec, exec, s[6:7]
	s_and_saveexec_b64 s[6:7], s[4:5]
	s_cbranch_execz .LBB44_1836
.LBB44_1835:
	v_bfe_u32 v8, v13, 8, 3
	v_ffbh_u32_e32 v19, v8
	v_min_u32_e32 v19, 32, v19
	v_lshrrev_b16_e32 v18, 3, v12
	v_subrev_u32_e32 v20, 28, v19
	v_and_b32_e32 v18, 15, v18
	v_lshlrev_b32_e32 v12, v20, v12
	v_sub_u32_e32 v19, 29, v19
	v_and_b32_e32 v12, 7, v12
	v_cmp_eq_u16_e32 vcc, 0, v18
	v_cndmask_b32_e32 v8, v8, v12, vcc
	v_cndmask_b32_e32 v12, v18, v19, vcc
	v_lshlrev_b32_e32 v18, 16, v13
	v_mov_b32_e32 v19, 0x3b800000
	v_lshlrev_b32_e32 v8, 20, v8
	v_and_b32_e32 v18, 0x80000000, v18
	v_lshl_add_u32 v12, v12, 23, v19
	v_or3_b32 v8, v18, v12, v8
.LBB44_1836:
	s_or_b64 exec, exec, s[6:7]
	v_lshrrev_b32_e32 v12, 8, v9
	s_movk_i32 s4, 0x7f
	v_cmp_gt_i16_sdwa s[6:7], v12, s4 src0_sel:BYTE_0 src1_sel:DWORD
	s_mov_b64 s[4:5], 0
                                        ; implicit-def: $sgpr10
	s_and_saveexec_b64 s[8:9], s[6:7]
	s_xor_b64 s[6:7], exec, s[8:9]
	s_cbranch_execnz .LBB44_3885
; %bb.1837:
	s_or_saveexec_b64 s[6:7], s[6:7]
	v_mov_b32_e32 v18, s10
	s_xor_b64 exec, exec, s[6:7]
	s_cbranch_execnz .LBB44_3888
.LBB44_1838:
	s_or_b64 exec, exec, s[6:7]
	s_and_saveexec_b64 s[6:7], s[4:5]
	s_cbranch_execz .LBB44_1840
.LBB44_1839:
	v_bfe_u32 v18, v9, 8, 3
	v_ffbh_u32_e32 v20, v18
	v_min_u32_e32 v20, 32, v20
	v_lshrrev_b16_e32 v19, 3, v12
	v_subrev_u32_e32 v21, 28, v20
	v_and_b32_e32 v19, 15, v19
	v_lshlrev_b32_e32 v12, v21, v12
	v_sub_u32_e32 v20, 29, v20
	v_and_b32_e32 v12, 7, v12
	v_cmp_eq_u16_e32 vcc, 0, v19
	v_cndmask_b32_e32 v12, v18, v12, vcc
	v_cndmask_b32_e32 v18, v19, v20, vcc
	v_lshlrev_b32_e32 v19, 16, v9
	v_mov_b32_e32 v20, 0x3b800000
	v_lshlrev_b32_e32 v12, 20, v12
	v_and_b32_e32 v19, 0x80000000, v19
	v_lshl_add_u32 v18, v18, 23, v20
	v_or3_b32 v18, v19, v18, v12
.LBB44_1840:
	s_or_b64 exec, exec, s[6:7]
	s_nop 0
	v_mfma_f32_16x16x4f32 a[0:3], v8, v18, a[0:3]
	s_movk_i32 s4, 0xff
	v_and_b32_sdwa v12, v13, s4 dst_sel:DWORD dst_unused:UNUSED_PAD src0_sel:WORD_1 src1_sel:DWORD
	s_movk_i32 s4, 0x7f
	v_cmp_lt_i16_e32 vcc, s4, v12
	s_mov_b64 s[4:5], 0
                                        ; implicit-def: $sgpr10
	s_and_saveexec_b64 s[6:7], vcc
	s_xor_b64 s[6:7], exec, s[6:7]
	s_cbranch_execnz .LBB44_3889
; %bb.1841:
	s_or_saveexec_b64 s[6:7], s[6:7]
	v_mov_b32_e32 v8, s10
	s_xor_b64 exec, exec, s[6:7]
	s_cbranch_execnz .LBB44_3892
.LBB44_1842:
	s_or_b64 exec, exec, s[6:7]
	s_and_saveexec_b64 s[6:7], s[4:5]
	s_cbranch_execz .LBB44_1844
.LBB44_1843:
	v_bfe_u32 v8, v13, 16, 3
	v_ffbh_u32_e32 v19, v8
	v_min_u32_e32 v19, 32, v19
	v_lshrrev_b32_e32 v12, 19, v13
	v_subrev_u32_e32 v20, 28, v19
	v_and_b32_e32 v12, 15, v12
	v_lshlrev_b32_sdwa v20, v20, v13 dst_sel:DWORD dst_unused:UNUSED_PAD src0_sel:DWORD src1_sel:WORD_1
	v_bfe_u32 v18, v13, 19, 4
	v_sub_u32_e32 v19, 29, v19
	v_and_b32_e32 v20, 7, v20
	v_cmp_eq_u16_e32 vcc, 0, v12
	v_cndmask_b32_e32 v8, v8, v20, vcc
	v_cndmask_b32_e32 v12, v18, v19, vcc
	v_lshlrev_b32_e32 v18, 8, v13
	v_mov_b32_e32 v19, 0x3b800000
	v_lshlrev_b32_e32 v8, 20, v8
	v_and_b32_e32 v18, 0x80000000, v18
	v_lshl_add_u32 v12, v12, 23, v19
	v_or3_b32 v8, v18, v12, v8
.LBB44_1844:
	s_or_b64 exec, exec, s[6:7]
	s_movk_i32 s4, 0xff
	v_and_b32_sdwa v12, v9, s4 dst_sel:DWORD dst_unused:UNUSED_PAD src0_sel:WORD_1 src1_sel:DWORD
	s_movk_i32 s4, 0x7f
	v_cmp_lt_i16_e32 vcc, s4, v12
	s_mov_b64 s[4:5], 0
                                        ; implicit-def: $sgpr10
	s_and_saveexec_b64 s[6:7], vcc
	s_xor_b64 s[6:7], exec, s[6:7]
	s_cbranch_execnz .LBB44_3893
; %bb.1845:
	s_or_saveexec_b64 s[6:7], s[6:7]
	v_mov_b32_e32 v18, s10
	s_xor_b64 exec, exec, s[6:7]
	s_cbranch_execnz .LBB44_3896
.LBB44_1846:
	s_or_b64 exec, exec, s[6:7]
	s_and_saveexec_b64 s[6:7], s[4:5]
	s_cbranch_execz .LBB44_1848
.LBB44_1847:
	v_bfe_u32 v12, v9, 16, 3
	v_ffbh_u32_e32 v20, v12
	v_min_u32_e32 v20, 32, v20
	v_lshrrev_b32_e32 v18, 19, v9
	v_subrev_u32_e32 v21, 28, v20
	v_and_b32_e32 v18, 15, v18
	v_lshlrev_b32_sdwa v21, v21, v9 dst_sel:DWORD dst_unused:UNUSED_PAD src0_sel:DWORD src1_sel:WORD_1
	v_bfe_u32 v19, v9, 19, 4
	v_sub_u32_e32 v20, 29, v20
	v_and_b32_e32 v21, 7, v21
	v_cmp_eq_u16_e32 vcc, 0, v18
	v_cndmask_b32_e32 v12, v12, v21, vcc
	v_cndmask_b32_e32 v18, v19, v20, vcc
	v_lshlrev_b32_e32 v19, 8, v9
	v_mov_b32_e32 v20, 0x3b800000
	v_lshlrev_b32_e32 v12, 20, v12
	v_and_b32_e32 v19, 0x80000000, v19
	v_lshl_add_u32 v18, v18, 23, v20
	v_or3_b32 v18, v19, v18, v12
.LBB44_1848:
	s_or_b64 exec, exec, s[6:7]
	s_nop 0
	v_mfma_f32_16x16x4f32 a[0:3], v8, v18, a[0:3]
	s_movk_i32 s4, 0x7f
	v_cmp_gt_i16_sdwa s[6:7], v13, s4 src0_sel:BYTE_3 src1_sel:DWORD
	s_mov_b64 s[4:5], 0
                                        ; implicit-def: $sgpr10
	s_and_saveexec_b64 s[8:9], s[6:7]
	s_xor_b64 s[6:7], exec, s[8:9]
	s_cbranch_execnz .LBB44_3897
; %bb.1849:
	s_or_saveexec_b64 s[6:7], s[6:7]
	v_mov_b32_e32 v8, s10
	s_xor_b64 exec, exec, s[6:7]
	s_cbranch_execnz .LBB44_3900
.LBB44_1850:
	s_or_b64 exec, exec, s[6:7]
	s_and_saveexec_b64 s[6:7], s[4:5]
	s_cbranch_execz .LBB44_1852
.LBB44_1851:
	v_bfe_u32 v8, v13, 24, 3
	v_ffbh_u32_e32 v20, v8
	v_min_u32_e32 v20, 32, v20
	v_lshrrev_b32_e32 v18, 27, v13
	v_subrev_u32_e32 v21, 28, v20
	v_and_b32_e32 v12, 0x80000000, v13
	v_and_b32_e32 v18, 15, v18
	v_bfe_u32 v19, v13, 27, 4
	v_lshlrev_b32_sdwa v13, v21, v13 dst_sel:DWORD dst_unused:UNUSED_PAD src0_sel:DWORD src1_sel:BYTE_3
	v_sub_u32_e32 v20, 29, v20
	v_and_b32_e32 v13, 7, v13
	v_cmp_eq_u16_e32 vcc, 0, v18
	v_cndmask_b32_e32 v8, v8, v13, vcc
	v_cndmask_b32_e32 v13, v19, v20, vcc
	v_mov_b32_e32 v18, 0x3b800000
	v_lshlrev_b32_e32 v8, 20, v8
	v_lshl_add_u32 v13, v13, 23, v18
	v_or3_b32 v8, v12, v13, v8
.LBB44_1852:
	s_or_b64 exec, exec, s[6:7]
	s_movk_i32 s4, 0x7f
	v_cmp_gt_i16_sdwa s[6:7], v9, s4 src0_sel:BYTE_3 src1_sel:DWORD
	s_mov_b64 s[4:5], 0
                                        ; implicit-def: $sgpr10
	s_and_saveexec_b64 s[8:9], s[6:7]
	s_xor_b64 s[6:7], exec, s[8:9]
	s_cbranch_execnz .LBB44_3901
; %bb.1853:
	s_or_saveexec_b64 s[6:7], s[6:7]
	v_mov_b32_e32 v12, s10
	s_xor_b64 exec, exec, s[6:7]
	s_cbranch_execnz .LBB44_3904
.LBB44_1854:
	s_or_b64 exec, exec, s[6:7]
	s_and_saveexec_b64 s[6:7], s[4:5]
	s_cbranch_execz .LBB44_1856
.LBB44_1855:
	v_bfe_u32 v12, v9, 24, 3
	v_ffbh_u32_e32 v20, v12
	v_min_u32_e32 v20, 32, v20
	v_lshrrev_b32_e32 v18, 27, v9
	v_subrev_u32_e32 v21, 28, v20
	v_and_b32_e32 v13, 0x80000000, v9
	v_and_b32_e32 v18, 15, v18
	v_bfe_u32 v19, v9, 27, 4
	v_lshlrev_b32_sdwa v9, v21, v9 dst_sel:DWORD dst_unused:UNUSED_PAD src0_sel:DWORD src1_sel:BYTE_3
	v_sub_u32_e32 v20, 29, v20
	v_and_b32_e32 v9, 7, v9
	v_cmp_eq_u16_e32 vcc, 0, v18
	v_cndmask_b32_e32 v9, v12, v9, vcc
	v_cndmask_b32_e32 v12, v19, v20, vcc
	v_mov_b32_e32 v18, 0x3b800000
	v_lshlrev_b32_e32 v9, 20, v9
	v_lshl_add_u32 v12, v12, 23, v18
	v_or3_b32 v12, v13, v12, v9
.LBB44_1856:
	s_or_b64 exec, exec, s[6:7]
	s_nop 0
	v_mfma_f32_16x16x4f32 a[0:3], v8, v12, a[0:3]
	s_movk_i32 s4, 0x7f
	v_cmp_gt_i16_sdwa s[6:7], v14, s4 src0_sel:BYTE_0 src1_sel:DWORD
	s_mov_b64 s[4:5], 0
                                        ; implicit-def: $sgpr10
	s_and_saveexec_b64 s[8:9], s[6:7]
	s_xor_b64 s[6:7], exec, s[8:9]
	s_cbranch_execnz .LBB44_3905
; %bb.1857:
	s_or_saveexec_b64 s[6:7], s[6:7]
	v_mov_b32_e32 v8, s10
	s_xor_b64 exec, exec, s[6:7]
	s_cbranch_execnz .LBB44_3908
.LBB44_1858:
	s_or_b64 exec, exec, s[6:7]
	s_and_saveexec_b64 s[6:7], s[4:5]
	s_cbranch_execz .LBB44_1860
.LBB44_1859:
	v_and_b32_e32 v8, 7, v14
	v_ffbh_u32_e32 v12, v8
	v_min_u32_e32 v12, 32, v12
	v_lshrrev_b16_e32 v9, 3, v14
	v_subrev_u32_e32 v13, 28, v12
	v_and_b32_e32 v9, 15, v9
	v_lshlrev_b32_e32 v13, v13, v14
	v_sub_u32_e32 v12, 29, v12
	v_and_b32_e32 v13, 7, v13
	v_cmp_eq_u16_e32 vcc, 0, v9
	v_cndmask_b32_e32 v8, v8, v13, vcc
	v_cndmask_b32_e32 v9, v9, v12, vcc
	v_lshlrev_b32_e32 v12, 24, v14
	v_mov_b32_e32 v13, 0x3b800000
	v_lshlrev_b32_e32 v8, 20, v8
	v_and_b32_e32 v12, 0x80000000, v12
	v_lshl_add_u32 v9, v9, 23, v13
	v_or3_b32 v8, v12, v9, v8
.LBB44_1860:
	s_or_b64 exec, exec, s[6:7]
	s_movk_i32 s4, 0x7f
	v_cmp_gt_i16_sdwa s[6:7], v10, s4 src0_sel:BYTE_0 src1_sel:DWORD
	s_mov_b64 s[4:5], 0
                                        ; implicit-def: $sgpr10
	s_and_saveexec_b64 s[8:9], s[6:7]
	s_xor_b64 s[6:7], exec, s[8:9]
	s_cbranch_execnz .LBB44_3909
; %bb.1861:
	s_or_saveexec_b64 s[6:7], s[6:7]
	v_mov_b32_e32 v9, s10
	s_xor_b64 exec, exec, s[6:7]
	s_cbranch_execnz .LBB44_3912
.LBB44_1862:
	s_or_b64 exec, exec, s[6:7]
	s_and_saveexec_b64 s[6:7], s[4:5]
	s_cbranch_execz .LBB44_1864
.LBB44_1863:
	v_and_b32_e32 v9, 7, v10
	v_ffbh_u32_e32 v13, v9
	v_min_u32_e32 v13, 32, v13
	v_lshrrev_b16_e32 v12, 3, v10
	v_subrev_u32_e32 v18, 28, v13
	v_and_b32_e32 v12, 15, v12
	v_lshlrev_b32_e32 v18, v18, v10
	v_sub_u32_e32 v13, 29, v13
	v_and_b32_e32 v18, 7, v18
	v_cmp_eq_u16_e32 vcc, 0, v12
	v_cndmask_b32_e32 v9, v9, v18, vcc
	v_cndmask_b32_e32 v12, v12, v13, vcc
	v_lshlrev_b32_e32 v13, 24, v10
	v_mov_b32_e32 v18, 0x3b800000
	v_lshlrev_b32_e32 v9, 20, v9
	v_and_b32_e32 v13, 0x80000000, v13
	v_lshl_add_u32 v12, v12, 23, v18
	v_or3_b32 v9, v13, v12, v9
.LBB44_1864:
	s_or_b64 exec, exec, s[6:7]
	s_nop 0
	v_mfma_f32_16x16x4f32 a[0:3], v8, v9, a[0:3]
	v_lshrrev_b32_e32 v9, 8, v14
	s_movk_i32 s4, 0x7f
	v_cmp_gt_i16_sdwa s[6:7], v9, s4 src0_sel:BYTE_0 src1_sel:DWORD
	s_mov_b64 s[4:5], 0
                                        ; implicit-def: $sgpr10
	s_and_saveexec_b64 s[8:9], s[6:7]
	s_xor_b64 s[6:7], exec, s[8:9]
	s_cbranch_execnz .LBB44_3913
; %bb.1865:
	s_or_saveexec_b64 s[6:7], s[6:7]
	v_mov_b32_e32 v8, s10
	s_xor_b64 exec, exec, s[6:7]
	s_cbranch_execnz .LBB44_3916
.LBB44_1866:
	s_or_b64 exec, exec, s[6:7]
	s_and_saveexec_b64 s[6:7], s[4:5]
	s_cbranch_execz .LBB44_1868
.LBB44_1867:
	v_bfe_u32 v8, v14, 8, 3
	v_ffbh_u32_e32 v13, v8
	v_min_u32_e32 v13, 32, v13
	v_lshrrev_b16_e32 v12, 3, v9
	v_subrev_u32_e32 v18, 28, v13
	v_and_b32_e32 v12, 15, v12
	v_lshlrev_b32_e32 v9, v18, v9
	v_sub_u32_e32 v13, 29, v13
	v_and_b32_e32 v9, 7, v9
	v_cmp_eq_u16_e32 vcc, 0, v12
	v_cndmask_b32_e32 v8, v8, v9, vcc
	v_cndmask_b32_e32 v9, v12, v13, vcc
	v_lshlrev_b32_e32 v12, 16, v14
	v_mov_b32_e32 v13, 0x3b800000
	v_lshlrev_b32_e32 v8, 20, v8
	v_and_b32_e32 v12, 0x80000000, v12
	v_lshl_add_u32 v9, v9, 23, v13
	v_or3_b32 v8, v12, v9, v8
.LBB44_1868:
	s_or_b64 exec, exec, s[6:7]
	v_lshrrev_b32_e32 v9, 8, v10
	s_movk_i32 s4, 0x7f
	v_cmp_gt_i16_sdwa s[6:7], v9, s4 src0_sel:BYTE_0 src1_sel:DWORD
	s_mov_b64 s[4:5], 0
                                        ; implicit-def: $sgpr10
	s_and_saveexec_b64 s[8:9], s[6:7]
	s_xor_b64 s[6:7], exec, s[8:9]
	s_cbranch_execnz .LBB44_3917
; %bb.1869:
	s_or_saveexec_b64 s[6:7], s[6:7]
	v_mov_b32_e32 v12, s10
	s_xor_b64 exec, exec, s[6:7]
	s_cbranch_execnz .LBB44_3920
.LBB44_1870:
	s_or_b64 exec, exec, s[6:7]
	s_and_saveexec_b64 s[6:7], s[4:5]
	s_cbranch_execz .LBB44_1872
.LBB44_1871:
	v_bfe_u32 v12, v10, 8, 3
	v_ffbh_u32_e32 v18, v12
	v_min_u32_e32 v18, 32, v18
	v_lshrrev_b16_e32 v13, 3, v9
	v_subrev_u32_e32 v19, 28, v18
	v_and_b32_e32 v13, 15, v13
	v_lshlrev_b32_e32 v9, v19, v9
	v_sub_u32_e32 v18, 29, v18
	v_and_b32_e32 v9, 7, v9
	v_cmp_eq_u16_e32 vcc, 0, v13
	v_cndmask_b32_e32 v9, v12, v9, vcc
	v_cndmask_b32_e32 v12, v13, v18, vcc
	v_lshlrev_b32_e32 v13, 16, v10
	v_mov_b32_e32 v18, 0x3b800000
	v_lshlrev_b32_e32 v9, 20, v9
	v_and_b32_e32 v13, 0x80000000, v13
	v_lshl_add_u32 v12, v12, 23, v18
	v_or3_b32 v12, v13, v12, v9
.LBB44_1872:
	s_or_b64 exec, exec, s[6:7]
	s_nop 0
	v_mfma_f32_16x16x4f32 a[0:3], v8, v12, a[0:3]
	s_movk_i32 s4, 0xff
	v_and_b32_sdwa v9, v14, s4 dst_sel:DWORD dst_unused:UNUSED_PAD src0_sel:WORD_1 src1_sel:DWORD
	s_movk_i32 s4, 0x7f
	v_cmp_lt_i16_e32 vcc, s4, v9
	s_mov_b64 s[4:5], 0
                                        ; implicit-def: $sgpr10
	s_and_saveexec_b64 s[6:7], vcc
	s_xor_b64 s[6:7], exec, s[6:7]
	s_cbranch_execnz .LBB44_3921
; %bb.1873:
	s_or_saveexec_b64 s[6:7], s[6:7]
	v_mov_b32_e32 v8, s10
	s_xor_b64 exec, exec, s[6:7]
	s_cbranch_execnz .LBB44_3924
.LBB44_1874:
	s_or_b64 exec, exec, s[6:7]
	s_and_saveexec_b64 s[6:7], s[4:5]
	s_cbranch_execz .LBB44_1876
.LBB44_1875:
	v_bfe_u32 v8, v14, 16, 3
	v_ffbh_u32_e32 v13, v8
	v_min_u32_e32 v13, 32, v13
	v_lshrrev_b32_e32 v9, 19, v14
	v_subrev_u32_e32 v18, 28, v13
	v_and_b32_e32 v9, 15, v9
	v_lshlrev_b32_sdwa v18, v18, v14 dst_sel:DWORD dst_unused:UNUSED_PAD src0_sel:DWORD src1_sel:WORD_1
	v_bfe_u32 v12, v14, 19, 4
	v_sub_u32_e32 v13, 29, v13
	v_and_b32_e32 v18, 7, v18
	v_cmp_eq_u16_e32 vcc, 0, v9
	v_cndmask_b32_e32 v8, v8, v18, vcc
	v_cndmask_b32_e32 v9, v12, v13, vcc
	v_lshlrev_b32_e32 v12, 8, v14
	v_mov_b32_e32 v13, 0x3b800000
	v_lshlrev_b32_e32 v8, 20, v8
	v_and_b32_e32 v12, 0x80000000, v12
	v_lshl_add_u32 v9, v9, 23, v13
	v_or3_b32 v8, v12, v9, v8
.LBB44_1876:
	s_or_b64 exec, exec, s[6:7]
	s_movk_i32 s4, 0xff
	v_and_b32_sdwa v9, v10, s4 dst_sel:DWORD dst_unused:UNUSED_PAD src0_sel:WORD_1 src1_sel:DWORD
	s_movk_i32 s4, 0x7f
	v_cmp_lt_i16_e32 vcc, s4, v9
	s_mov_b64 s[4:5], 0
                                        ; implicit-def: $sgpr10
	s_and_saveexec_b64 s[6:7], vcc
	s_xor_b64 s[6:7], exec, s[6:7]
	s_cbranch_execnz .LBB44_3925
; %bb.1877:
	s_or_saveexec_b64 s[6:7], s[6:7]
	v_mov_b32_e32 v12, s10
	s_xor_b64 exec, exec, s[6:7]
	s_cbranch_execnz .LBB44_3928
.LBB44_1878:
	s_or_b64 exec, exec, s[6:7]
	s_and_saveexec_b64 s[6:7], s[4:5]
	s_cbranch_execz .LBB44_1880
.LBB44_1879:
	v_bfe_u32 v9, v10, 16, 3
	v_ffbh_u32_e32 v18, v9
	v_min_u32_e32 v18, 32, v18
	v_lshrrev_b32_e32 v12, 19, v10
	v_subrev_u32_e32 v19, 28, v18
	v_and_b32_e32 v12, 15, v12
	v_lshlrev_b32_sdwa v19, v19, v10 dst_sel:DWORD dst_unused:UNUSED_PAD src0_sel:DWORD src1_sel:WORD_1
	v_bfe_u32 v13, v10, 19, 4
	v_sub_u32_e32 v18, 29, v18
	v_and_b32_e32 v19, 7, v19
	v_cmp_eq_u16_e32 vcc, 0, v12
	v_cndmask_b32_e32 v9, v9, v19, vcc
	v_cndmask_b32_e32 v12, v13, v18, vcc
	v_lshlrev_b32_e32 v13, 8, v10
	v_mov_b32_e32 v18, 0x3b800000
	v_lshlrev_b32_e32 v9, 20, v9
	v_and_b32_e32 v13, 0x80000000, v13
	v_lshl_add_u32 v12, v12, 23, v18
	v_or3_b32 v12, v13, v12, v9
.LBB44_1880:
	s_or_b64 exec, exec, s[6:7]
	s_nop 0
	v_mfma_f32_16x16x4f32 a[0:3], v8, v12, a[0:3]
	s_movk_i32 s4, 0x7f
	v_cmp_gt_i16_sdwa s[6:7], v14, s4 src0_sel:BYTE_3 src1_sel:DWORD
	s_mov_b64 s[4:5], 0
                                        ; implicit-def: $sgpr10
	s_and_saveexec_b64 s[8:9], s[6:7]
	s_xor_b64 s[6:7], exec, s[8:9]
	s_cbranch_execnz .LBB44_3929
; %bb.1881:
	s_or_saveexec_b64 s[6:7], s[6:7]
	v_mov_b32_e32 v8, s10
	s_xor_b64 exec, exec, s[6:7]
	s_cbranch_execnz .LBB44_3932
.LBB44_1882:
	s_or_b64 exec, exec, s[6:7]
	s_and_saveexec_b64 s[6:7], s[4:5]
	s_cbranch_execz .LBB44_1884
.LBB44_1883:
	v_bfe_u32 v8, v14, 24, 3
	v_ffbh_u32_e32 v18, v8
	v_min_u32_e32 v18, 32, v18
	v_lshrrev_b32_e32 v12, 27, v14
	v_subrev_u32_e32 v19, 28, v18
	v_and_b32_e32 v9, 0x80000000, v14
	v_and_b32_e32 v12, 15, v12
	v_bfe_u32 v13, v14, 27, 4
	v_lshlrev_b32_sdwa v14, v19, v14 dst_sel:DWORD dst_unused:UNUSED_PAD src0_sel:DWORD src1_sel:BYTE_3
	v_sub_u32_e32 v18, 29, v18
	v_and_b32_e32 v14, 7, v14
	v_cmp_eq_u16_e32 vcc, 0, v12
	v_cndmask_b32_e32 v8, v8, v14, vcc
	v_cndmask_b32_e32 v12, v13, v18, vcc
	v_mov_b32_e32 v13, 0x3b800000
	v_lshlrev_b32_e32 v8, 20, v8
	v_lshl_add_u32 v12, v12, 23, v13
	v_or3_b32 v8, v9, v12, v8
.LBB44_1884:
	s_or_b64 exec, exec, s[6:7]
	s_movk_i32 s4, 0x7f
	v_cmp_gt_i16_sdwa s[6:7], v10, s4 src0_sel:BYTE_3 src1_sel:DWORD
	s_mov_b64 s[4:5], 0
                                        ; implicit-def: $sgpr10
	s_and_saveexec_b64 s[8:9], s[6:7]
	s_xor_b64 s[6:7], exec, s[8:9]
	s_cbranch_execnz .LBB44_3933
; %bb.1885:
	s_or_saveexec_b64 s[6:7], s[6:7]
	v_mov_b32_e32 v9, s10
	s_xor_b64 exec, exec, s[6:7]
	s_cbranch_execnz .LBB44_3936
.LBB44_1886:
	s_or_b64 exec, exec, s[6:7]
	s_and_saveexec_b64 s[6:7], s[4:5]
	s_cbranch_execz .LBB44_1888
.LBB44_1887:
	v_bfe_u32 v9, v10, 24, 3
	v_ffbh_u32_e32 v18, v9
	v_min_u32_e32 v18, 32, v18
	v_lshrrev_b32_e32 v13, 27, v10
	v_subrev_u32_e32 v19, 28, v18
	v_and_b32_e32 v12, 0x80000000, v10
	v_and_b32_e32 v13, 15, v13
	v_bfe_u32 v14, v10, 27, 4
	v_lshlrev_b32_sdwa v10, v19, v10 dst_sel:DWORD dst_unused:UNUSED_PAD src0_sel:DWORD src1_sel:BYTE_3
	v_sub_u32_e32 v18, 29, v18
	v_and_b32_e32 v10, 7, v10
	v_cmp_eq_u16_e32 vcc, 0, v13
	v_cndmask_b32_e32 v9, v9, v10, vcc
	v_cndmask_b32_e32 v10, v14, v18, vcc
	v_mov_b32_e32 v13, 0x3b800000
	v_lshlrev_b32_e32 v9, 20, v9
	v_lshl_add_u32 v10, v10, 23, v13
	v_or3_b32 v9, v12, v10, v9
.LBB44_1888:
	s_or_b64 exec, exec, s[6:7]
	s_nop 0
	v_mfma_f32_16x16x4f32 a[0:3], v8, v9, a[0:3]
	s_movk_i32 s4, 0x7f
	v_cmp_gt_i16_sdwa s[6:7], v15, s4 src0_sel:BYTE_0 src1_sel:DWORD
	s_mov_b64 s[4:5], 0
                                        ; implicit-def: $sgpr10
	s_and_saveexec_b64 s[8:9], s[6:7]
	s_xor_b64 s[6:7], exec, s[8:9]
	s_cbranch_execnz .LBB44_3937
; %bb.1889:
	s_or_saveexec_b64 s[6:7], s[6:7]
	v_mov_b32_e32 v8, s10
	s_xor_b64 exec, exec, s[6:7]
	s_cbranch_execnz .LBB44_3940
.LBB44_1890:
	s_or_b64 exec, exec, s[6:7]
	s_and_saveexec_b64 s[6:7], s[4:5]
	s_cbranch_execz .LBB44_1892
.LBB44_1891:
	v_and_b32_e32 v8, 7, v15
	v_ffbh_u32_e32 v10, v8
	v_min_u32_e32 v10, 32, v10
	v_lshrrev_b16_e32 v9, 3, v15
	v_subrev_u32_e32 v12, 28, v10
	v_and_b32_e32 v9, 15, v9
	v_lshlrev_b32_e32 v12, v12, v15
	v_sub_u32_e32 v10, 29, v10
	v_and_b32_e32 v12, 7, v12
	v_cmp_eq_u16_e32 vcc, 0, v9
	v_cndmask_b32_e32 v8, v8, v12, vcc
	v_cndmask_b32_e32 v9, v9, v10, vcc
	v_lshlrev_b32_e32 v10, 24, v15
	v_mov_b32_e32 v12, 0x3b800000
	v_lshlrev_b32_e32 v8, 20, v8
	v_and_b32_e32 v10, 0x80000000, v10
	v_lshl_add_u32 v9, v9, 23, v12
	v_or3_b32 v8, v10, v9, v8
.LBB44_1892:
	s_or_b64 exec, exec, s[6:7]
	s_movk_i32 s4, 0x7f
	v_cmp_gt_i16_sdwa s[6:7], v11, s4 src0_sel:BYTE_0 src1_sel:DWORD
	s_mov_b64 s[4:5], 0
                                        ; implicit-def: $sgpr10
	s_and_saveexec_b64 s[8:9], s[6:7]
	s_xor_b64 s[6:7], exec, s[8:9]
	s_cbranch_execnz .LBB44_3941
; %bb.1893:
	s_or_saveexec_b64 s[6:7], s[6:7]
	v_mov_b32_e32 v9, s10
	s_xor_b64 exec, exec, s[6:7]
	s_cbranch_execnz .LBB44_3944
.LBB44_1894:
	s_or_b64 exec, exec, s[6:7]
	s_and_saveexec_b64 s[6:7], s[4:5]
	s_cbranch_execz .LBB44_1896
.LBB44_1895:
	v_and_b32_e32 v9, 7, v11
	v_ffbh_u32_e32 v12, v9
	v_min_u32_e32 v12, 32, v12
	v_lshrrev_b16_e32 v10, 3, v11
	v_subrev_u32_e32 v13, 28, v12
	v_and_b32_e32 v10, 15, v10
	v_lshlrev_b32_e32 v13, v13, v11
	v_sub_u32_e32 v12, 29, v12
	v_and_b32_e32 v13, 7, v13
	v_cmp_eq_u16_e32 vcc, 0, v10
	v_cndmask_b32_e32 v9, v9, v13, vcc
	v_cndmask_b32_e32 v10, v10, v12, vcc
	v_lshlrev_b32_e32 v12, 24, v11
	v_mov_b32_e32 v13, 0x3b800000
	v_lshlrev_b32_e32 v9, 20, v9
	v_and_b32_e32 v12, 0x80000000, v12
	v_lshl_add_u32 v10, v10, 23, v13
	v_or3_b32 v9, v12, v10, v9
.LBB44_1896:
	s_or_b64 exec, exec, s[6:7]
	s_nop 0
	v_mfma_f32_16x16x4f32 a[0:3], v8, v9, a[0:3]
	v_lshrrev_b32_e32 v9, 8, v15
	s_movk_i32 s4, 0x7f
	v_cmp_gt_i16_sdwa s[6:7], v9, s4 src0_sel:BYTE_0 src1_sel:DWORD
	s_mov_b64 s[4:5], 0
                                        ; implicit-def: $sgpr10
	s_and_saveexec_b64 s[8:9], s[6:7]
	s_xor_b64 s[6:7], exec, s[8:9]
	s_cbranch_execnz .LBB44_3945
; %bb.1897:
	s_or_saveexec_b64 s[6:7], s[6:7]
	v_mov_b32_e32 v8, s10
	s_xor_b64 exec, exec, s[6:7]
	s_cbranch_execnz .LBB44_3948
.LBB44_1898:
	s_or_b64 exec, exec, s[6:7]
	s_and_saveexec_b64 s[6:7], s[4:5]
	s_cbranch_execz .LBB44_1900
.LBB44_1899:
	v_bfe_u32 v8, v15, 8, 3
	v_ffbh_u32_e32 v12, v8
	v_min_u32_e32 v12, 32, v12
	v_lshrrev_b16_e32 v10, 3, v9
	v_subrev_u32_e32 v13, 28, v12
	v_and_b32_e32 v10, 15, v10
	v_lshlrev_b32_e32 v9, v13, v9
	v_sub_u32_e32 v12, 29, v12
	v_and_b32_e32 v9, 7, v9
	v_cmp_eq_u16_e32 vcc, 0, v10
	v_cndmask_b32_e32 v8, v8, v9, vcc
	v_cndmask_b32_e32 v9, v10, v12, vcc
	v_lshlrev_b32_e32 v10, 16, v15
	v_mov_b32_e32 v12, 0x3b800000
	v_lshlrev_b32_e32 v8, 20, v8
	v_and_b32_e32 v10, 0x80000000, v10
	v_lshl_add_u32 v9, v9, 23, v12
	v_or3_b32 v8, v10, v9, v8
.LBB44_1900:
	s_or_b64 exec, exec, s[6:7]
	v_lshrrev_b32_e32 v9, 8, v11
	s_movk_i32 s4, 0x7f
	v_cmp_gt_i16_sdwa s[6:7], v9, s4 src0_sel:BYTE_0 src1_sel:DWORD
	s_mov_b64 s[4:5], 0
                                        ; implicit-def: $sgpr10
	s_and_saveexec_b64 s[8:9], s[6:7]
	s_xor_b64 s[6:7], exec, s[8:9]
	s_cbranch_execnz .LBB44_3949
; %bb.1901:
	s_or_saveexec_b64 s[6:7], s[6:7]
	v_mov_b32_e32 v10, s10
	s_xor_b64 exec, exec, s[6:7]
	s_cbranch_execnz .LBB44_3952
.LBB44_1902:
	s_or_b64 exec, exec, s[6:7]
	s_and_saveexec_b64 s[6:7], s[4:5]
	s_cbranch_execz .LBB44_1904
.LBB44_1903:
	v_bfe_u32 v10, v11, 8, 3
	v_ffbh_u32_e32 v13, v10
	v_min_u32_e32 v13, 32, v13
	v_lshrrev_b16_e32 v12, 3, v9
	v_subrev_u32_e32 v14, 28, v13
	v_and_b32_e32 v12, 15, v12
	v_lshlrev_b32_e32 v9, v14, v9
	v_sub_u32_e32 v13, 29, v13
	v_and_b32_e32 v9, 7, v9
	v_cmp_eq_u16_e32 vcc, 0, v12
	v_cndmask_b32_e32 v9, v10, v9, vcc
	v_cndmask_b32_e32 v10, v12, v13, vcc
	v_lshlrev_b32_e32 v12, 16, v11
	v_mov_b32_e32 v13, 0x3b800000
	v_lshlrev_b32_e32 v9, 20, v9
	v_and_b32_e32 v12, 0x80000000, v12
	v_lshl_add_u32 v10, v10, 23, v13
	v_or3_b32 v10, v12, v10, v9
.LBB44_1904:
	s_or_b64 exec, exec, s[6:7]
	s_nop 0
	v_mfma_f32_16x16x4f32 a[0:3], v8, v10, a[0:3]
	s_movk_i32 s4, 0xff
	v_and_b32_sdwa v9, v15, s4 dst_sel:DWORD dst_unused:UNUSED_PAD src0_sel:WORD_1 src1_sel:DWORD
	s_movk_i32 s4, 0x7f
	v_cmp_lt_i16_e32 vcc, s4, v9
	s_mov_b64 s[4:5], 0
                                        ; implicit-def: $sgpr10
	s_and_saveexec_b64 s[6:7], vcc
	s_xor_b64 s[6:7], exec, s[6:7]
	s_cbranch_execnz .LBB44_3953
; %bb.1905:
	s_or_saveexec_b64 s[6:7], s[6:7]
	v_mov_b32_e32 v8, s10
	s_xor_b64 exec, exec, s[6:7]
	s_cbranch_execnz .LBB44_3956
.LBB44_1906:
	s_or_b64 exec, exec, s[6:7]
	s_and_saveexec_b64 s[6:7], s[4:5]
	s_cbranch_execz .LBB44_1908
.LBB44_1907:
	v_bfe_u32 v8, v15, 16, 3
	v_ffbh_u32_e32 v12, v8
	v_min_u32_e32 v12, 32, v12
	v_lshrrev_b32_e32 v9, 19, v15
	v_subrev_u32_e32 v13, 28, v12
	v_and_b32_e32 v9, 15, v9
	v_lshlrev_b32_sdwa v13, v13, v15 dst_sel:DWORD dst_unused:UNUSED_PAD src0_sel:DWORD src1_sel:WORD_1
	v_bfe_u32 v10, v15, 19, 4
	v_sub_u32_e32 v12, 29, v12
	v_and_b32_e32 v13, 7, v13
	v_cmp_eq_u16_e32 vcc, 0, v9
	v_cndmask_b32_e32 v8, v8, v13, vcc
	v_cndmask_b32_e32 v9, v10, v12, vcc
	v_lshlrev_b32_e32 v10, 8, v15
	v_mov_b32_e32 v12, 0x3b800000
	v_lshlrev_b32_e32 v8, 20, v8
	v_and_b32_e32 v10, 0x80000000, v10
	v_lshl_add_u32 v9, v9, 23, v12
	v_or3_b32 v8, v10, v9, v8
.LBB44_1908:
	s_or_b64 exec, exec, s[6:7]
	s_movk_i32 s4, 0xff
	v_and_b32_sdwa v9, v11, s4 dst_sel:DWORD dst_unused:UNUSED_PAD src0_sel:WORD_1 src1_sel:DWORD
	s_movk_i32 s4, 0x7f
	v_cmp_lt_i16_e32 vcc, s4, v9
	s_mov_b64 s[4:5], 0
                                        ; implicit-def: $sgpr10
	s_and_saveexec_b64 s[6:7], vcc
	s_xor_b64 s[6:7], exec, s[6:7]
	s_cbranch_execnz .LBB44_3957
; %bb.1909:
	s_or_saveexec_b64 s[6:7], s[6:7]
	v_mov_b32_e32 v10, s10
	s_xor_b64 exec, exec, s[6:7]
	s_cbranch_execnz .LBB44_3960
.LBB44_1910:
	s_or_b64 exec, exec, s[6:7]
	s_and_saveexec_b64 s[6:7], s[4:5]
	s_cbranch_execz .LBB44_1912
.LBB44_1911:
	v_bfe_u32 v9, v11, 16, 3
	v_ffbh_u32_e32 v13, v9
	v_min_u32_e32 v13, 32, v13
	v_lshrrev_b32_e32 v10, 19, v11
	v_subrev_u32_e32 v14, 28, v13
	v_and_b32_e32 v10, 15, v10
	v_lshlrev_b32_sdwa v14, v14, v11 dst_sel:DWORD dst_unused:UNUSED_PAD src0_sel:DWORD src1_sel:WORD_1
	v_bfe_u32 v12, v11, 19, 4
	v_sub_u32_e32 v13, 29, v13
	v_and_b32_e32 v14, 7, v14
	v_cmp_eq_u16_e32 vcc, 0, v10
	v_cndmask_b32_e32 v9, v9, v14, vcc
	v_cndmask_b32_e32 v10, v12, v13, vcc
	v_lshlrev_b32_e32 v12, 8, v11
	v_mov_b32_e32 v13, 0x3b800000
	v_lshlrev_b32_e32 v9, 20, v9
	v_and_b32_e32 v12, 0x80000000, v12
	v_lshl_add_u32 v10, v10, 23, v13
	v_or3_b32 v10, v12, v10, v9
.LBB44_1912:
	s_or_b64 exec, exec, s[6:7]
	s_nop 0
	v_mfma_f32_16x16x4f32 a[0:3], v8, v10, a[0:3]
	s_movk_i32 s4, 0x7f
	v_cmp_gt_i16_sdwa s[6:7], v15, s4 src0_sel:BYTE_3 src1_sel:DWORD
	s_mov_b64 s[4:5], 0
                                        ; implicit-def: $sgpr10
	s_and_saveexec_b64 s[8:9], s[6:7]
	s_xor_b64 s[6:7], exec, s[8:9]
	s_cbranch_execnz .LBB44_3961
; %bb.1913:
	s_or_saveexec_b64 s[6:7], s[6:7]
	v_mov_b32_e32 v8, s10
	s_xor_b64 exec, exec, s[6:7]
	s_cbranch_execnz .LBB44_3964
.LBB44_1914:
	s_or_b64 exec, exec, s[6:7]
	s_and_saveexec_b64 s[6:7], s[4:5]
	s_cbranch_execz .LBB44_1916
.LBB44_1915:
	v_bfe_u32 v8, v15, 24, 3
	v_ffbh_u32_e32 v13, v8
	v_min_u32_e32 v13, 32, v13
	v_lshrrev_b32_e32 v10, 27, v15
	v_subrev_u32_e32 v14, 28, v13
	v_and_b32_e32 v10, 15, v10
	v_lshlrev_b32_sdwa v14, v14, v15 dst_sel:DWORD dst_unused:UNUSED_PAD src0_sel:DWORD src1_sel:BYTE_3
	v_bfe_u32 v12, v15, 27, 4
	v_sub_u32_e32 v13, 29, v13
	v_and_b32_e32 v14, 7, v14
	v_cmp_eq_u16_e32 vcc, 0, v10
	v_cndmask_b32_e32 v8, v8, v14, vcc
	v_cndmask_b32_e32 v10, v12, v13, vcc
	v_mov_b32_e32 v12, 0x3b800000
	v_and_b32_e32 v9, 0x80000000, v15
	v_lshlrev_b32_e32 v8, 20, v8
	v_lshl_add_u32 v10, v10, 23, v12
	v_or3_b32 v8, v9, v10, v8
.LBB44_1916:
	s_or_b64 exec, exec, s[6:7]
	s_movk_i32 s4, 0x7f
	v_cmp_gt_i16_sdwa s[6:7], v11, s4 src0_sel:BYTE_3 src1_sel:DWORD
	s_mov_b64 s[4:5], 0
                                        ; implicit-def: $sgpr10
	s_and_saveexec_b64 s[8:9], s[6:7]
	s_xor_b64 s[6:7], exec, s[8:9]
	s_cbranch_execnz .LBB44_3965
; %bb.1917:
	s_or_saveexec_b64 s[6:7], s[6:7]
	v_mov_b32_e32 v9, s10
	s_xor_b64 exec, exec, s[6:7]
	s_cbranch_execnz .LBB44_3968
.LBB44_1918:
	s_or_b64 exec, exec, s[6:7]
	s_and_saveexec_b64 s[6:7], s[4:5]
	s_cbranch_execz .LBB44_1920
.LBB44_1919:
	v_bfe_u32 v9, v11, 24, 3
	v_ffbh_u32_e32 v14, v9
	v_min_u32_e32 v14, 32, v14
	v_lshrrev_b32_e32 v12, 27, v11
	v_subrev_u32_e32 v15, 28, v14
	v_and_b32_e32 v10, 0x80000000, v11
	v_and_b32_e32 v12, 15, v12
	v_bfe_u32 v13, v11, 27, 4
	v_lshlrev_b32_sdwa v11, v15, v11 dst_sel:DWORD dst_unused:UNUSED_PAD src0_sel:DWORD src1_sel:BYTE_3
	v_sub_u32_e32 v14, 29, v14
	v_and_b32_e32 v11, 7, v11
	v_cmp_eq_u16_e32 vcc, 0, v12
	v_cndmask_b32_e32 v9, v9, v11, vcc
	v_cndmask_b32_e32 v11, v13, v14, vcc
	v_mov_b32_e32 v12, 0x3b800000
	v_lshlrev_b32_e32 v9, 20, v9
	v_lshl_add_u32 v11, v11, 23, v12
	v_or3_b32 v9, v10, v11, v9
.LBB44_1920:
	s_or_b64 exec, exec, s[6:7]
	s_nop 0
	v_mfma_f32_16x16x4f32 a[0:3], v8, v9, a[0:3]
	s_movk_i32 s4, 0x7f
	v_cmp_gt_i16_sdwa s[6:7], v4, s4 src0_sel:BYTE_0 src1_sel:DWORD
	s_mov_b64 s[4:5], 0
                                        ; implicit-def: $sgpr10
	s_and_saveexec_b64 s[8:9], s[6:7]
	s_xor_b64 s[6:7], exec, s[8:9]
	s_cbranch_execnz .LBB44_3969
; %bb.1921:
	s_or_saveexec_b64 s[6:7], s[6:7]
	v_mov_b32_e32 v8, s10
	s_xor_b64 exec, exec, s[6:7]
	s_cbranch_execnz .LBB44_3972
.LBB44_1922:
	s_or_b64 exec, exec, s[6:7]
	s_and_saveexec_b64 s[6:7], s[4:5]
	s_cbranch_execz .LBB44_1924
.LBB44_1923:
	v_and_b32_e32 v8, 7, v4
	v_ffbh_u32_e32 v10, v8
	v_min_u32_e32 v10, 32, v10
	v_lshrrev_b16_e32 v9, 3, v4
	v_subrev_u32_e32 v11, 28, v10
	v_and_b32_e32 v9, 15, v9
	v_lshlrev_b32_e32 v11, v11, v4
	v_sub_u32_e32 v10, 29, v10
	v_and_b32_e32 v11, 7, v11
	v_cmp_eq_u16_e32 vcc, 0, v9
	v_cndmask_b32_e32 v8, v8, v11, vcc
	v_cndmask_b32_e32 v9, v9, v10, vcc
	v_lshlrev_b32_e32 v10, 24, v4
	v_mov_b32_e32 v11, 0x3b800000
	v_lshlrev_b32_e32 v8, 20, v8
	v_and_b32_e32 v10, 0x80000000, v10
	v_lshl_add_u32 v9, v9, 23, v11
	v_or3_b32 v8, v10, v9, v8
.LBB44_1924:
	s_or_b64 exec, exec, s[6:7]
	s_movk_i32 s4, 0x7f
	v_cmp_gt_i16_sdwa s[6:7], v0, s4 src0_sel:BYTE_0 src1_sel:DWORD
	s_mov_b64 s[4:5], 0
                                        ; implicit-def: $sgpr10
	s_and_saveexec_b64 s[8:9], s[6:7]
	s_xor_b64 s[6:7], exec, s[8:9]
	s_cbranch_execnz .LBB44_3973
; %bb.1925:
	s_or_saveexec_b64 s[6:7], s[6:7]
	v_mov_b32_e32 v9, s10
	s_xor_b64 exec, exec, s[6:7]
	s_cbranch_execnz .LBB44_3976
.LBB44_1926:
	s_or_b64 exec, exec, s[6:7]
	s_and_saveexec_b64 s[6:7], s[4:5]
	s_cbranch_execz .LBB44_1928
.LBB44_1927:
	v_and_b32_e32 v9, 7, v0
	v_ffbh_u32_e32 v11, v9
	v_min_u32_e32 v11, 32, v11
	v_lshrrev_b16_e32 v10, 3, v0
	v_subrev_u32_e32 v12, 28, v11
	v_and_b32_e32 v10, 15, v10
	v_lshlrev_b32_e32 v12, v12, v0
	v_sub_u32_e32 v11, 29, v11
	v_and_b32_e32 v12, 7, v12
	v_cmp_eq_u16_e32 vcc, 0, v10
	v_cndmask_b32_e32 v9, v9, v12, vcc
	v_cndmask_b32_e32 v10, v10, v11, vcc
	v_lshlrev_b32_e32 v11, 24, v0
	v_mov_b32_e32 v12, 0x3b800000
	v_lshlrev_b32_e32 v9, 20, v9
	v_and_b32_e32 v11, 0x80000000, v11
	v_lshl_add_u32 v10, v10, 23, v12
	v_or3_b32 v9, v11, v10, v9
.LBB44_1928:
	s_or_b64 exec, exec, s[6:7]
	s_nop 0
	v_mfma_f32_16x16x4f32 a[0:3], v8, v9, a[0:3]
	v_lshrrev_b32_e32 v9, 8, v4
	s_movk_i32 s4, 0x7f
	v_cmp_gt_i16_sdwa s[6:7], v9, s4 src0_sel:BYTE_0 src1_sel:DWORD
	s_mov_b64 s[4:5], 0
                                        ; implicit-def: $sgpr10
	s_and_saveexec_b64 s[8:9], s[6:7]
	s_xor_b64 s[6:7], exec, s[8:9]
	s_cbranch_execnz .LBB44_3977
; %bb.1929:
	s_or_saveexec_b64 s[6:7], s[6:7]
	v_mov_b32_e32 v8, s10
	s_xor_b64 exec, exec, s[6:7]
	s_cbranch_execnz .LBB44_3980
.LBB44_1930:
	s_or_b64 exec, exec, s[6:7]
	s_and_saveexec_b64 s[6:7], s[4:5]
	s_cbranch_execz .LBB44_1932
.LBB44_1931:
	v_bfe_u32 v8, v4, 8, 3
	v_ffbh_u32_e32 v11, v8
	v_min_u32_e32 v11, 32, v11
	v_lshrrev_b16_e32 v10, 3, v9
	v_subrev_u32_e32 v12, 28, v11
	v_and_b32_e32 v10, 15, v10
	v_lshlrev_b32_e32 v9, v12, v9
	v_sub_u32_e32 v11, 29, v11
	v_and_b32_e32 v9, 7, v9
	v_cmp_eq_u16_e32 vcc, 0, v10
	v_cndmask_b32_e32 v8, v8, v9, vcc
	v_cndmask_b32_e32 v9, v10, v11, vcc
	v_lshlrev_b32_e32 v10, 16, v4
	v_mov_b32_e32 v11, 0x3b800000
	v_lshlrev_b32_e32 v8, 20, v8
	v_and_b32_e32 v10, 0x80000000, v10
	v_lshl_add_u32 v9, v9, 23, v11
	v_or3_b32 v8, v10, v9, v8
.LBB44_1932:
	s_or_b64 exec, exec, s[6:7]
	v_lshrrev_b32_e32 v9, 8, v0
	s_movk_i32 s4, 0x7f
	v_cmp_gt_i16_sdwa s[6:7], v9, s4 src0_sel:BYTE_0 src1_sel:DWORD
	s_mov_b64 s[4:5], 0
                                        ; implicit-def: $sgpr10
	s_and_saveexec_b64 s[8:9], s[6:7]
	s_xor_b64 s[6:7], exec, s[8:9]
	s_cbranch_execnz .LBB44_3981
; %bb.1933:
	s_or_saveexec_b64 s[6:7], s[6:7]
	v_mov_b32_e32 v10, s10
	s_xor_b64 exec, exec, s[6:7]
	s_cbranch_execnz .LBB44_3984
.LBB44_1934:
	s_or_b64 exec, exec, s[6:7]
	s_and_saveexec_b64 s[6:7], s[4:5]
	s_cbranch_execz .LBB44_1936
.LBB44_1935:
	v_bfe_u32 v10, v0, 8, 3
	v_ffbh_u32_e32 v12, v10
	v_min_u32_e32 v12, 32, v12
	v_lshrrev_b16_e32 v11, 3, v9
	v_subrev_u32_e32 v13, 28, v12
	v_and_b32_e32 v11, 15, v11
	v_lshlrev_b32_e32 v9, v13, v9
	v_sub_u32_e32 v12, 29, v12
	v_and_b32_e32 v9, 7, v9
	v_cmp_eq_u16_e32 vcc, 0, v11
	v_cndmask_b32_e32 v9, v10, v9, vcc
	v_cndmask_b32_e32 v10, v11, v12, vcc
	v_lshlrev_b32_e32 v11, 16, v0
	v_mov_b32_e32 v12, 0x3b800000
	v_lshlrev_b32_e32 v9, 20, v9
	v_and_b32_e32 v11, 0x80000000, v11
	v_lshl_add_u32 v10, v10, 23, v12
	v_or3_b32 v10, v11, v10, v9
.LBB44_1936:
	s_or_b64 exec, exec, s[6:7]
	s_nop 0
	v_mfma_f32_16x16x4f32 a[0:3], v8, v10, a[0:3]
	s_movk_i32 s4, 0xff
	v_and_b32_sdwa v9, v4, s4 dst_sel:DWORD dst_unused:UNUSED_PAD src0_sel:WORD_1 src1_sel:DWORD
	s_movk_i32 s4, 0x7f
	v_cmp_lt_i16_e32 vcc, s4, v9
	s_mov_b64 s[4:5], 0
                                        ; implicit-def: $sgpr10
	s_and_saveexec_b64 s[6:7], vcc
	s_xor_b64 s[6:7], exec, s[6:7]
	s_cbranch_execnz .LBB44_3985
; %bb.1937:
	s_or_saveexec_b64 s[6:7], s[6:7]
	v_mov_b32_e32 v8, s10
	s_xor_b64 exec, exec, s[6:7]
	s_cbranch_execnz .LBB44_3988
.LBB44_1938:
	s_or_b64 exec, exec, s[6:7]
	s_and_saveexec_b64 s[6:7], s[4:5]
	s_cbranch_execz .LBB44_1940
.LBB44_1939:
	v_bfe_u32 v8, v4, 16, 3
	v_ffbh_u32_e32 v11, v8
	v_min_u32_e32 v11, 32, v11
	v_lshrrev_b32_e32 v9, 19, v4
	v_subrev_u32_e32 v12, 28, v11
	v_and_b32_e32 v9, 15, v9
	v_lshlrev_b32_sdwa v12, v12, v4 dst_sel:DWORD dst_unused:UNUSED_PAD src0_sel:DWORD src1_sel:WORD_1
	v_bfe_u32 v10, v4, 19, 4
	v_sub_u32_e32 v11, 29, v11
	v_and_b32_e32 v12, 7, v12
	v_cmp_eq_u16_e32 vcc, 0, v9
	v_cndmask_b32_e32 v8, v8, v12, vcc
	v_cndmask_b32_e32 v9, v10, v11, vcc
	v_lshlrev_b32_e32 v10, 8, v4
	v_mov_b32_e32 v11, 0x3b800000
	v_lshlrev_b32_e32 v8, 20, v8
	v_and_b32_e32 v10, 0x80000000, v10
	v_lshl_add_u32 v9, v9, 23, v11
	v_or3_b32 v8, v10, v9, v8
.LBB44_1940:
	s_or_b64 exec, exec, s[6:7]
	s_movk_i32 s4, 0xff
	v_and_b32_sdwa v9, v0, s4 dst_sel:DWORD dst_unused:UNUSED_PAD src0_sel:WORD_1 src1_sel:DWORD
	s_movk_i32 s4, 0x7f
	v_cmp_lt_i16_e32 vcc, s4, v9
	s_mov_b64 s[4:5], 0
                                        ; implicit-def: $sgpr10
	s_and_saveexec_b64 s[6:7], vcc
	s_xor_b64 s[6:7], exec, s[6:7]
	s_cbranch_execnz .LBB44_3989
; %bb.1941:
	s_or_saveexec_b64 s[6:7], s[6:7]
	v_mov_b32_e32 v10, s10
	s_xor_b64 exec, exec, s[6:7]
	s_cbranch_execnz .LBB44_3992
.LBB44_1942:
	s_or_b64 exec, exec, s[6:7]
	s_and_saveexec_b64 s[6:7], s[4:5]
	s_cbranch_execz .LBB44_1944
.LBB44_1943:
	v_bfe_u32 v9, v0, 16, 3
	v_ffbh_u32_e32 v12, v9
	v_min_u32_e32 v12, 32, v12
	v_lshrrev_b32_e32 v10, 19, v0
	v_subrev_u32_e32 v13, 28, v12
	v_and_b32_e32 v10, 15, v10
	v_lshlrev_b32_sdwa v13, v13, v0 dst_sel:DWORD dst_unused:UNUSED_PAD src0_sel:DWORD src1_sel:WORD_1
	v_bfe_u32 v11, v0, 19, 4
	v_sub_u32_e32 v12, 29, v12
	v_and_b32_e32 v13, 7, v13
	v_cmp_eq_u16_e32 vcc, 0, v10
	v_cndmask_b32_e32 v9, v9, v13, vcc
	v_cndmask_b32_e32 v10, v11, v12, vcc
	v_lshlrev_b32_e32 v11, 8, v0
	v_mov_b32_e32 v12, 0x3b800000
	v_lshlrev_b32_e32 v9, 20, v9
	v_and_b32_e32 v11, 0x80000000, v11
	v_lshl_add_u32 v10, v10, 23, v12
	v_or3_b32 v10, v11, v10, v9
.LBB44_1944:
	s_or_b64 exec, exec, s[6:7]
	s_nop 0
	v_mfma_f32_16x16x4f32 a[0:3], v8, v10, a[0:3]
	s_movk_i32 s4, 0x7f
	v_cmp_gt_i16_sdwa s[6:7], v4, s4 src0_sel:BYTE_3 src1_sel:DWORD
	s_mov_b64 s[4:5], 0
                                        ; implicit-def: $sgpr10
	s_and_saveexec_b64 s[8:9], s[6:7]
	s_xor_b64 s[6:7], exec, s[8:9]
	s_cbranch_execnz .LBB44_3993
; %bb.1945:
	s_or_saveexec_b64 s[6:7], s[6:7]
	v_mov_b32_e32 v8, s10
	s_xor_b64 exec, exec, s[6:7]
	s_cbranch_execnz .LBB44_3996
.LBB44_1946:
	s_or_b64 exec, exec, s[6:7]
	s_and_saveexec_b64 s[6:7], s[4:5]
	s_cbranch_execz .LBB44_1948
.LBB44_1947:
	v_bfe_u32 v8, v4, 24, 3
	v_ffbh_u32_e32 v12, v8
	v_min_u32_e32 v12, 32, v12
	v_lshrrev_b32_e32 v10, 27, v4
	v_subrev_u32_e32 v13, 28, v12
	v_and_b32_e32 v9, 0x80000000, v4
	v_and_b32_e32 v10, 15, v10
	v_bfe_u32 v11, v4, 27, 4
	v_lshlrev_b32_sdwa v4, v13, v4 dst_sel:DWORD dst_unused:UNUSED_PAD src0_sel:DWORD src1_sel:BYTE_3
	v_sub_u32_e32 v12, 29, v12
	v_and_b32_e32 v4, 7, v4
	v_cmp_eq_u16_e32 vcc, 0, v10
	v_cndmask_b32_e32 v4, v8, v4, vcc
	v_cndmask_b32_e32 v8, v11, v12, vcc
	v_mov_b32_e32 v10, 0x3b800000
	v_lshlrev_b32_e32 v4, 20, v4
	v_lshl_add_u32 v8, v8, 23, v10
	v_or3_b32 v8, v9, v8, v4
.LBB44_1948:
	s_or_b64 exec, exec, s[6:7]
	s_movk_i32 s4, 0x7f
	v_cmp_gt_i16_sdwa s[6:7], v0, s4 src0_sel:BYTE_3 src1_sel:DWORD
	s_mov_b64 s[4:5], 0
                                        ; implicit-def: $sgpr10
	s_and_saveexec_b64 s[8:9], s[6:7]
	s_xor_b64 s[6:7], exec, s[8:9]
	s_cbranch_execnz .LBB44_3997
; %bb.1949:
	s_or_saveexec_b64 s[6:7], s[6:7]
	v_mov_b32_e32 v4, s10
	s_xor_b64 exec, exec, s[6:7]
	s_cbranch_execnz .LBB44_4000
.LBB44_1950:
	s_or_b64 exec, exec, s[6:7]
	s_and_saveexec_b64 s[6:7], s[4:5]
	s_cbranch_execz .LBB44_1952
.LBB44_1951:
	v_bfe_u32 v4, v0, 24, 3
	v_ffbh_u32_e32 v12, v4
	v_min_u32_e32 v12, 32, v12
	v_lshrrev_b32_e32 v10, 27, v0
	v_subrev_u32_e32 v13, 28, v12
	v_and_b32_e32 v9, 0x80000000, v0
	v_and_b32_e32 v10, 15, v10
	v_bfe_u32 v11, v0, 27, 4
	v_lshlrev_b32_sdwa v0, v13, v0 dst_sel:DWORD dst_unused:UNUSED_PAD src0_sel:DWORD src1_sel:BYTE_3
	v_sub_u32_e32 v12, 29, v12
	v_and_b32_e32 v0, 7, v0
	v_cmp_eq_u16_e32 vcc, 0, v10
	v_cndmask_b32_e32 v0, v4, v0, vcc
	v_cndmask_b32_e32 v4, v11, v12, vcc
	v_mov_b32_e32 v10, 0x3b800000
	v_lshlrev_b32_e32 v0, 20, v0
	v_lshl_add_u32 v4, v4, 23, v10
	v_or3_b32 v4, v9, v4, v0
.LBB44_1952:
	s_or_b64 exec, exec, s[6:7]
	s_nop 0
	v_mfma_f32_16x16x4f32 a[0:3], v8, v4, a[0:3]
	s_movk_i32 s4, 0x7f
	v_cmp_gt_i16_sdwa s[6:7], v5, s4 src0_sel:BYTE_0 src1_sel:DWORD
	s_mov_b64 s[4:5], 0
                                        ; implicit-def: $sgpr10
	s_and_saveexec_b64 s[8:9], s[6:7]
	s_xor_b64 s[6:7], exec, s[8:9]
	s_cbranch_execnz .LBB44_4001
; %bb.1953:
	s_or_saveexec_b64 s[6:7], s[6:7]
	v_mov_b32_e32 v0, s10
	s_xor_b64 exec, exec, s[6:7]
	s_cbranch_execnz .LBB44_4004
.LBB44_1954:
	s_or_b64 exec, exec, s[6:7]
	s_and_saveexec_b64 s[6:7], s[4:5]
	s_cbranch_execz .LBB44_1956
.LBB44_1955:
	v_and_b32_e32 v0, 7, v5
	v_ffbh_u32_e32 v8, v0
	v_min_u32_e32 v8, 32, v8
	v_lshrrev_b16_e32 v4, 3, v5
	v_subrev_u32_e32 v9, 28, v8
	v_and_b32_e32 v4, 15, v4
	v_lshlrev_b32_e32 v9, v9, v5
	v_sub_u32_e32 v8, 29, v8
	v_and_b32_e32 v9, 7, v9
	v_cmp_eq_u16_e32 vcc, 0, v4
	v_cndmask_b32_e32 v0, v0, v9, vcc
	v_cndmask_b32_e32 v4, v4, v8, vcc
	v_lshlrev_b32_e32 v8, 24, v5
	v_mov_b32_e32 v9, 0x3b800000
	v_lshlrev_b32_e32 v0, 20, v0
	v_and_b32_e32 v8, 0x80000000, v8
	v_lshl_add_u32 v4, v4, 23, v9
	v_or3_b32 v0, v8, v4, v0
.LBB44_1956:
	s_or_b64 exec, exec, s[6:7]
	s_movk_i32 s4, 0x7f
	v_cmp_gt_i16_sdwa s[6:7], v1, s4 src0_sel:BYTE_0 src1_sel:DWORD
	s_mov_b64 s[4:5], 0
                                        ; implicit-def: $sgpr10
	s_and_saveexec_b64 s[8:9], s[6:7]
	s_xor_b64 s[6:7], exec, s[8:9]
	s_cbranch_execnz .LBB44_4005
; %bb.1957:
	s_or_saveexec_b64 s[6:7], s[6:7]
	v_mov_b32_e32 v4, s10
	s_xor_b64 exec, exec, s[6:7]
	s_cbranch_execnz .LBB44_4008
.LBB44_1958:
	s_or_b64 exec, exec, s[6:7]
	s_and_saveexec_b64 s[6:7], s[4:5]
	s_cbranch_execz .LBB44_1960
.LBB44_1959:
	v_and_b32_e32 v4, 7, v1
	v_ffbh_u32_e32 v9, v4
	v_min_u32_e32 v9, 32, v9
	v_lshrrev_b16_e32 v8, 3, v1
	v_subrev_u32_e32 v10, 28, v9
	v_and_b32_e32 v8, 15, v8
	v_lshlrev_b32_e32 v10, v10, v1
	v_sub_u32_e32 v9, 29, v9
	v_and_b32_e32 v10, 7, v10
	v_cmp_eq_u16_e32 vcc, 0, v8
	v_cndmask_b32_e32 v4, v4, v10, vcc
	v_cndmask_b32_e32 v8, v8, v9, vcc
	v_lshlrev_b32_e32 v9, 24, v1
	v_mov_b32_e32 v10, 0x3b800000
	v_lshlrev_b32_e32 v4, 20, v4
	v_and_b32_e32 v9, 0x80000000, v9
	v_lshl_add_u32 v8, v8, 23, v10
	v_or3_b32 v4, v9, v8, v4
.LBB44_1960:
	s_or_b64 exec, exec, s[6:7]
	s_nop 0
	v_mfma_f32_16x16x4f32 a[0:3], v0, v4, a[0:3]
	v_lshrrev_b32_e32 v4, 8, v5
	s_movk_i32 s4, 0x7f
	v_cmp_gt_i16_sdwa s[6:7], v4, s4 src0_sel:BYTE_0 src1_sel:DWORD
	s_mov_b64 s[4:5], 0
                                        ; implicit-def: $sgpr10
	s_and_saveexec_b64 s[8:9], s[6:7]
	s_xor_b64 s[6:7], exec, s[8:9]
	s_cbranch_execnz .LBB44_4009
; %bb.1961:
	s_or_saveexec_b64 s[6:7], s[6:7]
	v_mov_b32_e32 v0, s10
	s_xor_b64 exec, exec, s[6:7]
	s_cbranch_execnz .LBB44_4012
.LBB44_1962:
	s_or_b64 exec, exec, s[6:7]
	s_and_saveexec_b64 s[6:7], s[4:5]
	s_cbranch_execz .LBB44_1964
.LBB44_1963:
	v_bfe_u32 v0, v5, 8, 3
	v_ffbh_u32_e32 v9, v0
	v_min_u32_e32 v9, 32, v9
	v_lshrrev_b16_e32 v8, 3, v4
	v_subrev_u32_e32 v10, 28, v9
	v_and_b32_e32 v8, 15, v8
	v_lshlrev_b32_e32 v4, v10, v4
	v_sub_u32_e32 v9, 29, v9
	v_and_b32_e32 v4, 7, v4
	v_cmp_eq_u16_e32 vcc, 0, v8
	v_cndmask_b32_e32 v0, v0, v4, vcc
	v_cndmask_b32_e32 v4, v8, v9, vcc
	v_lshlrev_b32_e32 v8, 16, v5
	v_mov_b32_e32 v9, 0x3b800000
	v_lshlrev_b32_e32 v0, 20, v0
	v_and_b32_e32 v8, 0x80000000, v8
	v_lshl_add_u32 v4, v4, 23, v9
	v_or3_b32 v0, v8, v4, v0
.LBB44_1964:
	s_or_b64 exec, exec, s[6:7]
	v_lshrrev_b32_e32 v4, 8, v1
	s_movk_i32 s4, 0x7f
	v_cmp_gt_i16_sdwa s[6:7], v4, s4 src0_sel:BYTE_0 src1_sel:DWORD
	s_mov_b64 s[4:5], 0
                                        ; implicit-def: $sgpr10
	s_and_saveexec_b64 s[8:9], s[6:7]
	s_xor_b64 s[6:7], exec, s[8:9]
	s_cbranch_execnz .LBB44_4013
; %bb.1965:
	s_or_saveexec_b64 s[6:7], s[6:7]
	v_mov_b32_e32 v8, s10
	s_xor_b64 exec, exec, s[6:7]
	s_cbranch_execnz .LBB44_4016
.LBB44_1966:
	s_or_b64 exec, exec, s[6:7]
	s_and_saveexec_b64 s[6:7], s[4:5]
	s_cbranch_execz .LBB44_1968
.LBB44_1967:
	v_bfe_u32 v8, v1, 8, 3
	v_ffbh_u32_e32 v10, v8
	v_min_u32_e32 v10, 32, v10
	v_lshrrev_b16_e32 v9, 3, v4
	v_subrev_u32_e32 v11, 28, v10
	v_and_b32_e32 v9, 15, v9
	v_lshlrev_b32_e32 v4, v11, v4
	v_sub_u32_e32 v10, 29, v10
	v_and_b32_e32 v4, 7, v4
	v_cmp_eq_u16_e32 vcc, 0, v9
	v_cndmask_b32_e32 v4, v8, v4, vcc
	v_cndmask_b32_e32 v8, v9, v10, vcc
	v_lshlrev_b32_e32 v9, 16, v1
	v_mov_b32_e32 v10, 0x3b800000
	v_lshlrev_b32_e32 v4, 20, v4
	v_and_b32_e32 v9, 0x80000000, v9
	v_lshl_add_u32 v8, v8, 23, v10
	v_or3_b32 v8, v9, v8, v4
.LBB44_1968:
	s_or_b64 exec, exec, s[6:7]
	s_nop 0
	v_mfma_f32_16x16x4f32 a[0:3], v0, v8, a[0:3]
	s_movk_i32 s4, 0xff
	v_and_b32_sdwa v4, v5, s4 dst_sel:DWORD dst_unused:UNUSED_PAD src0_sel:WORD_1 src1_sel:DWORD
	s_movk_i32 s4, 0x7f
	v_cmp_lt_i16_e32 vcc, s4, v4
	s_mov_b64 s[4:5], 0
                                        ; implicit-def: $sgpr10
	s_and_saveexec_b64 s[6:7], vcc
	s_xor_b64 s[6:7], exec, s[6:7]
	s_cbranch_execnz .LBB44_4017
; %bb.1969:
	s_or_saveexec_b64 s[6:7], s[6:7]
	v_mov_b32_e32 v0, s10
	s_xor_b64 exec, exec, s[6:7]
	s_cbranch_execnz .LBB44_4020
.LBB44_1970:
	s_or_b64 exec, exec, s[6:7]
	s_and_saveexec_b64 s[6:7], s[4:5]
	s_cbranch_execz .LBB44_1972
.LBB44_1971:
	v_bfe_u32 v0, v5, 16, 3
	v_ffbh_u32_e32 v9, v0
	v_min_u32_e32 v9, 32, v9
	v_lshrrev_b32_e32 v4, 19, v5
	v_subrev_u32_e32 v10, 28, v9
	v_and_b32_e32 v4, 15, v4
	v_lshlrev_b32_sdwa v10, v10, v5 dst_sel:DWORD dst_unused:UNUSED_PAD src0_sel:DWORD src1_sel:WORD_1
	v_bfe_u32 v8, v5, 19, 4
	v_sub_u32_e32 v9, 29, v9
	v_and_b32_e32 v10, 7, v10
	v_cmp_eq_u16_e32 vcc, 0, v4
	v_cndmask_b32_e32 v0, v0, v10, vcc
	v_cndmask_b32_e32 v4, v8, v9, vcc
	v_lshlrev_b32_e32 v8, 8, v5
	v_mov_b32_e32 v9, 0x3b800000
	v_lshlrev_b32_e32 v0, 20, v0
	v_and_b32_e32 v8, 0x80000000, v8
	v_lshl_add_u32 v4, v4, 23, v9
	v_or3_b32 v0, v8, v4, v0
.LBB44_1972:
	s_or_b64 exec, exec, s[6:7]
	s_movk_i32 s4, 0xff
	v_and_b32_sdwa v4, v1, s4 dst_sel:DWORD dst_unused:UNUSED_PAD src0_sel:WORD_1 src1_sel:DWORD
	s_movk_i32 s4, 0x7f
	v_cmp_lt_i16_e32 vcc, s4, v4
	s_mov_b64 s[4:5], 0
                                        ; implicit-def: $sgpr10
	s_and_saveexec_b64 s[6:7], vcc
	s_xor_b64 s[6:7], exec, s[6:7]
	s_cbranch_execnz .LBB44_4021
; %bb.1973:
	s_or_saveexec_b64 s[6:7], s[6:7]
	v_mov_b32_e32 v8, s10
	s_xor_b64 exec, exec, s[6:7]
	s_cbranch_execnz .LBB44_4024
.LBB44_1974:
	s_or_b64 exec, exec, s[6:7]
	s_and_saveexec_b64 s[6:7], s[4:5]
	s_cbranch_execz .LBB44_1976
.LBB44_1975:
	v_bfe_u32 v4, v1, 16, 3
	v_ffbh_u32_e32 v10, v4
	v_min_u32_e32 v10, 32, v10
	v_lshrrev_b32_e32 v8, 19, v1
	v_subrev_u32_e32 v11, 28, v10
	v_and_b32_e32 v8, 15, v8
	v_lshlrev_b32_sdwa v11, v11, v1 dst_sel:DWORD dst_unused:UNUSED_PAD src0_sel:DWORD src1_sel:WORD_1
	v_bfe_u32 v9, v1, 19, 4
	v_sub_u32_e32 v10, 29, v10
	v_and_b32_e32 v11, 7, v11
	v_cmp_eq_u16_e32 vcc, 0, v8
	v_cndmask_b32_e32 v4, v4, v11, vcc
	v_cndmask_b32_e32 v8, v9, v10, vcc
	v_lshlrev_b32_e32 v9, 8, v1
	v_mov_b32_e32 v10, 0x3b800000
	v_lshlrev_b32_e32 v4, 20, v4
	v_and_b32_e32 v9, 0x80000000, v9
	v_lshl_add_u32 v8, v8, 23, v10
	v_or3_b32 v8, v9, v8, v4
.LBB44_1976:
	s_or_b64 exec, exec, s[6:7]
	s_nop 0
	v_mfma_f32_16x16x4f32 a[0:3], v0, v8, a[0:3]
	s_movk_i32 s4, 0x7f
	v_cmp_gt_i16_sdwa s[6:7], v5, s4 src0_sel:BYTE_3 src1_sel:DWORD
	s_mov_b64 s[4:5], 0
                                        ; implicit-def: $sgpr10
	s_and_saveexec_b64 s[8:9], s[6:7]
	s_xor_b64 s[6:7], exec, s[8:9]
	s_cbranch_execnz .LBB44_4025
; %bb.1977:
	s_or_saveexec_b64 s[6:7], s[6:7]
	v_mov_b32_e32 v0, s10
	s_xor_b64 exec, exec, s[6:7]
	s_cbranch_execnz .LBB44_4028
.LBB44_1978:
	s_or_b64 exec, exec, s[6:7]
	s_and_saveexec_b64 s[6:7], s[4:5]
	s_cbranch_execz .LBB44_1980
.LBB44_1979:
	v_bfe_u32 v0, v5, 24, 3
	v_ffbh_u32_e32 v10, v0
	v_min_u32_e32 v10, 32, v10
	v_lshrrev_b32_e32 v8, 27, v5
	v_subrev_u32_e32 v11, 28, v10
	v_and_b32_e32 v4, 0x80000000, v5
	v_and_b32_e32 v8, 15, v8
	v_bfe_u32 v9, v5, 27, 4
	v_lshlrev_b32_sdwa v5, v11, v5 dst_sel:DWORD dst_unused:UNUSED_PAD src0_sel:DWORD src1_sel:BYTE_3
	v_sub_u32_e32 v10, 29, v10
	v_and_b32_e32 v5, 7, v5
	v_cmp_eq_u16_e32 vcc, 0, v8
	v_cndmask_b32_e32 v0, v0, v5, vcc
	v_cndmask_b32_e32 v5, v9, v10, vcc
	v_mov_b32_e32 v8, 0x3b800000
	v_lshlrev_b32_e32 v0, 20, v0
	v_lshl_add_u32 v5, v5, 23, v8
	v_or3_b32 v0, v4, v5, v0
.LBB44_1980:
	s_or_b64 exec, exec, s[6:7]
	s_movk_i32 s4, 0x7f
	v_cmp_gt_i16_sdwa s[6:7], v1, s4 src0_sel:BYTE_3 src1_sel:DWORD
	s_mov_b64 s[4:5], 0
                                        ; implicit-def: $sgpr10
	s_and_saveexec_b64 s[8:9], s[6:7]
	s_xor_b64 s[6:7], exec, s[8:9]
	s_cbranch_execnz .LBB44_4029
; %bb.1981:
	s_or_saveexec_b64 s[6:7], s[6:7]
	v_mov_b32_e32 v4, s10
	s_xor_b64 exec, exec, s[6:7]
	s_cbranch_execnz .LBB44_4032
.LBB44_1982:
	s_or_b64 exec, exec, s[6:7]
	s_and_saveexec_b64 s[6:7], s[4:5]
	s_cbranch_execz .LBB44_1984
.LBB44_1983:
	v_bfe_u32 v4, v1, 24, 3
	v_ffbh_u32_e32 v10, v4
	v_min_u32_e32 v10, 32, v10
	v_lshrrev_b32_e32 v8, 27, v1
	v_subrev_u32_e32 v11, 28, v10
	v_and_b32_e32 v5, 0x80000000, v1
	v_and_b32_e32 v8, 15, v8
	v_bfe_u32 v9, v1, 27, 4
	v_lshlrev_b32_sdwa v1, v11, v1 dst_sel:DWORD dst_unused:UNUSED_PAD src0_sel:DWORD src1_sel:BYTE_3
	v_sub_u32_e32 v10, 29, v10
	v_and_b32_e32 v1, 7, v1
	v_cmp_eq_u16_e32 vcc, 0, v8
	v_cndmask_b32_e32 v1, v4, v1, vcc
	v_cndmask_b32_e32 v4, v9, v10, vcc
	v_mov_b32_e32 v8, 0x3b800000
	v_lshlrev_b32_e32 v1, 20, v1
	v_lshl_add_u32 v4, v4, 23, v8
	v_or3_b32 v4, v5, v4, v1
.LBB44_1984:
	s_or_b64 exec, exec, s[6:7]
	s_nop 0
	v_mfma_f32_16x16x4f32 a[0:3], v0, v4, a[0:3]
	s_movk_i32 s4, 0x7f
	v_cmp_gt_i16_sdwa s[6:7], v6, s4 src0_sel:BYTE_0 src1_sel:DWORD
	s_mov_b64 s[4:5], 0
                                        ; implicit-def: $sgpr10
	s_and_saveexec_b64 s[8:9], s[6:7]
	s_xor_b64 s[6:7], exec, s[8:9]
	s_cbranch_execnz .LBB44_4033
; %bb.1985:
	s_or_saveexec_b64 s[6:7], s[6:7]
	v_mov_b32_e32 v0, s10
	s_xor_b64 exec, exec, s[6:7]
	s_cbranch_execnz .LBB44_4036
.LBB44_1986:
	s_or_b64 exec, exec, s[6:7]
	s_and_saveexec_b64 s[6:7], s[4:5]
	s_cbranch_execz .LBB44_1988
.LBB44_1987:
	v_and_b32_e32 v0, 7, v6
	v_ffbh_u32_e32 v4, v0
	v_min_u32_e32 v4, 32, v4
	v_lshrrev_b16_e32 v1, 3, v6
	v_subrev_u32_e32 v5, 28, v4
	v_and_b32_e32 v1, 15, v1
	v_lshlrev_b32_e32 v5, v5, v6
	v_sub_u32_e32 v4, 29, v4
	v_and_b32_e32 v5, 7, v5
	v_cmp_eq_u16_e32 vcc, 0, v1
	v_cndmask_b32_e32 v0, v0, v5, vcc
	v_cndmask_b32_e32 v1, v1, v4, vcc
	v_lshlrev_b32_e32 v4, 24, v6
	v_mov_b32_e32 v5, 0x3b800000
	v_lshlrev_b32_e32 v0, 20, v0
	v_and_b32_e32 v4, 0x80000000, v4
	v_lshl_add_u32 v1, v1, 23, v5
	v_or3_b32 v0, v4, v1, v0
.LBB44_1988:
	s_or_b64 exec, exec, s[6:7]
	s_movk_i32 s4, 0x7f
	v_cmp_gt_i16_sdwa s[6:7], v2, s4 src0_sel:BYTE_0 src1_sel:DWORD
	s_mov_b64 s[4:5], 0
                                        ; implicit-def: $sgpr10
	s_and_saveexec_b64 s[8:9], s[6:7]
	s_xor_b64 s[6:7], exec, s[8:9]
	s_cbranch_execnz .LBB44_4037
; %bb.1989:
	s_or_saveexec_b64 s[6:7], s[6:7]
	v_mov_b32_e32 v1, s10
	s_xor_b64 exec, exec, s[6:7]
	s_cbranch_execnz .LBB44_4040
.LBB44_1990:
	s_or_b64 exec, exec, s[6:7]
	s_and_saveexec_b64 s[6:7], s[4:5]
	s_cbranch_execz .LBB44_1992
.LBB44_1991:
	v_and_b32_e32 v1, 7, v2
	v_ffbh_u32_e32 v5, v1
	v_min_u32_e32 v5, 32, v5
	v_lshrrev_b16_e32 v4, 3, v2
	v_subrev_u32_e32 v8, 28, v5
	v_and_b32_e32 v4, 15, v4
	v_lshlrev_b32_e32 v8, v8, v2
	v_sub_u32_e32 v5, 29, v5
	v_and_b32_e32 v8, 7, v8
	v_cmp_eq_u16_e32 vcc, 0, v4
	v_cndmask_b32_e32 v1, v1, v8, vcc
	v_cndmask_b32_e32 v4, v4, v5, vcc
	v_lshlrev_b32_e32 v5, 24, v2
	v_mov_b32_e32 v8, 0x3b800000
	v_lshlrev_b32_e32 v1, 20, v1
	v_and_b32_e32 v5, 0x80000000, v5
	v_lshl_add_u32 v4, v4, 23, v8
	v_or3_b32 v1, v5, v4, v1
.LBB44_1992:
	s_or_b64 exec, exec, s[6:7]
	s_nop 0
	v_mfma_f32_16x16x4f32 a[0:3], v0, v1, a[0:3]
	v_lshrrev_b32_e32 v1, 8, v6
	s_movk_i32 s4, 0x7f
	v_cmp_gt_i16_sdwa s[6:7], v1, s4 src0_sel:BYTE_0 src1_sel:DWORD
	s_mov_b64 s[4:5], 0
                                        ; implicit-def: $sgpr10
	s_and_saveexec_b64 s[8:9], s[6:7]
	s_xor_b64 s[6:7], exec, s[8:9]
	s_cbranch_execnz .LBB44_4041
; %bb.1993:
	s_or_saveexec_b64 s[6:7], s[6:7]
	v_mov_b32_e32 v0, s10
	s_xor_b64 exec, exec, s[6:7]
	s_cbranch_execnz .LBB44_4044
.LBB44_1994:
	s_or_b64 exec, exec, s[6:7]
	s_and_saveexec_b64 s[6:7], s[4:5]
	s_cbranch_execz .LBB44_1996
.LBB44_1995:
	v_bfe_u32 v0, v6, 8, 3
	v_ffbh_u32_e32 v5, v0
	v_min_u32_e32 v5, 32, v5
	v_lshrrev_b16_e32 v4, 3, v1
	v_subrev_u32_e32 v8, 28, v5
	v_and_b32_e32 v4, 15, v4
	v_lshlrev_b32_e32 v1, v8, v1
	v_sub_u32_e32 v5, 29, v5
	v_and_b32_e32 v1, 7, v1
	v_cmp_eq_u16_e32 vcc, 0, v4
	v_cndmask_b32_e32 v0, v0, v1, vcc
	v_cndmask_b32_e32 v1, v4, v5, vcc
	v_lshlrev_b32_e32 v4, 16, v6
	v_mov_b32_e32 v5, 0x3b800000
	v_lshlrev_b32_e32 v0, 20, v0
	v_and_b32_e32 v4, 0x80000000, v4
	v_lshl_add_u32 v1, v1, 23, v5
	v_or3_b32 v0, v4, v1, v0
.LBB44_1996:
	s_or_b64 exec, exec, s[6:7]
	v_lshrrev_b32_e32 v1, 8, v2
	s_movk_i32 s4, 0x7f
	v_cmp_gt_i16_sdwa s[6:7], v1, s4 src0_sel:BYTE_0 src1_sel:DWORD
	s_mov_b64 s[4:5], 0
                                        ; implicit-def: $sgpr10
	s_and_saveexec_b64 s[8:9], s[6:7]
	s_xor_b64 s[6:7], exec, s[8:9]
	s_cbranch_execnz .LBB44_4045
; %bb.1997:
	s_or_saveexec_b64 s[6:7], s[6:7]
	v_mov_b32_e32 v4, s10
	s_xor_b64 exec, exec, s[6:7]
	s_cbranch_execnz .LBB44_4048
.LBB44_1998:
	s_or_b64 exec, exec, s[6:7]
	s_and_saveexec_b64 s[6:7], s[4:5]
	s_cbranch_execz .LBB44_2000
.LBB44_1999:
	v_bfe_u32 v4, v2, 8, 3
	v_ffbh_u32_e32 v8, v4
	v_min_u32_e32 v8, 32, v8
	v_lshrrev_b16_e32 v5, 3, v1
	v_subrev_u32_e32 v9, 28, v8
	v_and_b32_e32 v5, 15, v5
	v_lshlrev_b32_e32 v1, v9, v1
	v_sub_u32_e32 v8, 29, v8
	v_and_b32_e32 v1, 7, v1
	v_cmp_eq_u16_e32 vcc, 0, v5
	v_cndmask_b32_e32 v1, v4, v1, vcc
	v_cndmask_b32_e32 v4, v5, v8, vcc
	v_lshlrev_b32_e32 v5, 16, v2
	v_mov_b32_e32 v8, 0x3b800000
	v_lshlrev_b32_e32 v1, 20, v1
	v_and_b32_e32 v5, 0x80000000, v5
	v_lshl_add_u32 v4, v4, 23, v8
	v_or3_b32 v4, v5, v4, v1
.LBB44_2000:
	s_or_b64 exec, exec, s[6:7]
	s_nop 0
	v_mfma_f32_16x16x4f32 a[0:3], v0, v4, a[0:3]
	s_movk_i32 s4, 0xff
	v_and_b32_sdwa v1, v6, s4 dst_sel:DWORD dst_unused:UNUSED_PAD src0_sel:WORD_1 src1_sel:DWORD
	s_movk_i32 s4, 0x7f
	v_cmp_lt_i16_e32 vcc, s4, v1
	s_mov_b64 s[4:5], 0
                                        ; implicit-def: $sgpr10
	s_and_saveexec_b64 s[6:7], vcc
	s_xor_b64 s[6:7], exec, s[6:7]
	s_cbranch_execnz .LBB44_4049
; %bb.2001:
	s_or_saveexec_b64 s[6:7], s[6:7]
	v_mov_b32_e32 v0, s10
	s_xor_b64 exec, exec, s[6:7]
	s_cbranch_execnz .LBB44_4052
.LBB44_2002:
	s_or_b64 exec, exec, s[6:7]
	s_and_saveexec_b64 s[6:7], s[4:5]
	s_cbranch_execz .LBB44_2004
.LBB44_2003:
	v_bfe_u32 v0, v6, 16, 3
	v_ffbh_u32_e32 v5, v0
	v_min_u32_e32 v5, 32, v5
	v_lshrrev_b32_e32 v1, 19, v6
	v_subrev_u32_e32 v8, 28, v5
	v_and_b32_e32 v1, 15, v1
	v_lshlrev_b32_sdwa v8, v8, v6 dst_sel:DWORD dst_unused:UNUSED_PAD src0_sel:DWORD src1_sel:WORD_1
	v_bfe_u32 v4, v6, 19, 4
	v_sub_u32_e32 v5, 29, v5
	v_and_b32_e32 v8, 7, v8
	v_cmp_eq_u16_e32 vcc, 0, v1
	v_cndmask_b32_e32 v0, v0, v8, vcc
	v_cndmask_b32_e32 v1, v4, v5, vcc
	v_lshlrev_b32_e32 v4, 8, v6
	v_mov_b32_e32 v5, 0x3b800000
	v_lshlrev_b32_e32 v0, 20, v0
	v_and_b32_e32 v4, 0x80000000, v4
	v_lshl_add_u32 v1, v1, 23, v5
	v_or3_b32 v0, v4, v1, v0
.LBB44_2004:
	s_or_b64 exec, exec, s[6:7]
	s_movk_i32 s4, 0xff
	v_and_b32_sdwa v1, v2, s4 dst_sel:DWORD dst_unused:UNUSED_PAD src0_sel:WORD_1 src1_sel:DWORD
	s_movk_i32 s4, 0x7f
	v_cmp_lt_i16_e32 vcc, s4, v1
	s_mov_b64 s[4:5], 0
                                        ; implicit-def: $sgpr10
	s_and_saveexec_b64 s[6:7], vcc
	s_xor_b64 s[6:7], exec, s[6:7]
	s_cbranch_execnz .LBB44_4053
; %bb.2005:
	s_or_saveexec_b64 s[6:7], s[6:7]
	v_mov_b32_e32 v4, s10
	s_xor_b64 exec, exec, s[6:7]
	s_cbranch_execnz .LBB44_4056
.LBB44_2006:
	s_or_b64 exec, exec, s[6:7]
	s_and_saveexec_b64 s[6:7], s[4:5]
	s_cbranch_execz .LBB44_2008
.LBB44_2007:
	v_bfe_u32 v1, v2, 16, 3
	v_ffbh_u32_e32 v8, v1
	v_min_u32_e32 v8, 32, v8
	v_lshrrev_b32_e32 v4, 19, v2
	v_subrev_u32_e32 v9, 28, v8
	v_and_b32_e32 v4, 15, v4
	v_lshlrev_b32_sdwa v9, v9, v2 dst_sel:DWORD dst_unused:UNUSED_PAD src0_sel:DWORD src1_sel:WORD_1
	v_bfe_u32 v5, v2, 19, 4
	v_sub_u32_e32 v8, 29, v8
	v_and_b32_e32 v9, 7, v9
	v_cmp_eq_u16_e32 vcc, 0, v4
	v_cndmask_b32_e32 v1, v1, v9, vcc
	v_cndmask_b32_e32 v4, v5, v8, vcc
	v_lshlrev_b32_e32 v5, 8, v2
	v_mov_b32_e32 v8, 0x3b800000
	v_lshlrev_b32_e32 v1, 20, v1
	v_and_b32_e32 v5, 0x80000000, v5
	v_lshl_add_u32 v4, v4, 23, v8
	v_or3_b32 v4, v5, v4, v1
.LBB44_2008:
	s_or_b64 exec, exec, s[6:7]
	s_nop 0
	v_mfma_f32_16x16x4f32 a[0:3], v0, v4, a[0:3]
	s_movk_i32 s4, 0x7f
	v_cmp_gt_i16_sdwa s[6:7], v6, s4 src0_sel:BYTE_3 src1_sel:DWORD
	s_mov_b64 s[4:5], 0
                                        ; implicit-def: $sgpr10
	s_and_saveexec_b64 s[8:9], s[6:7]
	s_xor_b64 s[6:7], exec, s[8:9]
	s_cbranch_execnz .LBB44_4057
; %bb.2009:
	s_or_saveexec_b64 s[6:7], s[6:7]
	v_mov_b32_e32 v0, s10
	s_xor_b64 exec, exec, s[6:7]
	s_cbranch_execnz .LBB44_4060
.LBB44_2010:
	s_or_b64 exec, exec, s[6:7]
	s_and_saveexec_b64 s[6:7], s[4:5]
	s_cbranch_execz .LBB44_2012
.LBB44_2011:
	v_bfe_u32 v0, v6, 24, 3
	v_ffbh_u32_e32 v8, v0
	v_min_u32_e32 v8, 32, v8
	v_lshrrev_b32_e32 v4, 27, v6
	v_subrev_u32_e32 v9, 28, v8
	v_and_b32_e32 v1, 0x80000000, v6
	v_and_b32_e32 v4, 15, v4
	v_bfe_u32 v5, v6, 27, 4
	v_lshlrev_b32_sdwa v6, v9, v6 dst_sel:DWORD dst_unused:UNUSED_PAD src0_sel:DWORD src1_sel:BYTE_3
	v_sub_u32_e32 v8, 29, v8
	v_and_b32_e32 v6, 7, v6
	v_cmp_eq_u16_e32 vcc, 0, v4
	v_cndmask_b32_e32 v0, v0, v6, vcc
	v_cndmask_b32_e32 v4, v5, v8, vcc
	v_mov_b32_e32 v5, 0x3b800000
	v_lshlrev_b32_e32 v0, 20, v0
	v_lshl_add_u32 v4, v4, 23, v5
	v_or3_b32 v0, v1, v4, v0
.LBB44_2012:
	s_or_b64 exec, exec, s[6:7]
	s_movk_i32 s4, 0x7f
	v_cmp_gt_i16_sdwa s[6:7], v2, s4 src0_sel:BYTE_3 src1_sel:DWORD
	s_mov_b64 s[4:5], 0
                                        ; implicit-def: $sgpr10
	s_and_saveexec_b64 s[8:9], s[6:7]
	s_xor_b64 s[6:7], exec, s[8:9]
	s_cbranch_execnz .LBB44_4061
; %bb.2013:
	s_or_saveexec_b64 s[6:7], s[6:7]
	v_mov_b32_e32 v1, s10
	s_xor_b64 exec, exec, s[6:7]
	s_cbranch_execnz .LBB44_4064
.LBB44_2014:
	s_or_b64 exec, exec, s[6:7]
	s_and_saveexec_b64 s[6:7], s[4:5]
	s_cbranch_execz .LBB44_2016
.LBB44_2015:
	v_bfe_u32 v1, v2, 24, 3
	v_ffbh_u32_e32 v8, v1
	v_min_u32_e32 v8, 32, v8
	v_lshrrev_b32_e32 v5, 27, v2
	v_subrev_u32_e32 v9, 28, v8
	v_and_b32_e32 v4, 0x80000000, v2
	v_and_b32_e32 v5, 15, v5
	v_bfe_u32 v6, v2, 27, 4
	v_lshlrev_b32_sdwa v2, v9, v2 dst_sel:DWORD dst_unused:UNUSED_PAD src0_sel:DWORD src1_sel:BYTE_3
	v_sub_u32_e32 v8, 29, v8
	v_and_b32_e32 v2, 7, v2
	v_cmp_eq_u16_e32 vcc, 0, v5
	v_cndmask_b32_e32 v1, v1, v2, vcc
	v_cndmask_b32_e32 v2, v6, v8, vcc
	v_mov_b32_e32 v5, 0x3b800000
	v_lshlrev_b32_e32 v1, 20, v1
	v_lshl_add_u32 v2, v2, 23, v5
	v_or3_b32 v1, v4, v2, v1
.LBB44_2016:
	s_or_b64 exec, exec, s[6:7]
	s_nop 0
	v_mfma_f32_16x16x4f32 a[0:3], v0, v1, a[0:3]
	s_movk_i32 s4, 0x7f
	v_cmp_gt_i16_sdwa s[6:7], v7, s4 src0_sel:BYTE_0 src1_sel:DWORD
	s_mov_b64 s[4:5], 0
                                        ; implicit-def: $sgpr10
	s_and_saveexec_b64 s[8:9], s[6:7]
	s_xor_b64 s[6:7], exec, s[8:9]
	s_cbranch_execnz .LBB44_4065
; %bb.2017:
	s_or_saveexec_b64 s[6:7], s[6:7]
	v_mov_b32_e32 v0, s10
	s_xor_b64 exec, exec, s[6:7]
	s_cbranch_execnz .LBB44_4068
.LBB44_2018:
	s_or_b64 exec, exec, s[6:7]
	s_and_saveexec_b64 s[6:7], s[4:5]
	s_cbranch_execz .LBB44_2020
.LBB44_2019:
	v_mov_b32_e32 v0, 8
	v_and_b32_e32 v1, 7, v7
	v_lshrrev_b32_sdwa v0, v0, v7 dst_sel:BYTE_1 dst_unused:UNUSED_PAD src0_sel:DWORD src1_sel:DWORD
	v_ffbh_u32_e32 v2, v1
	v_or_b32_sdwa v0, v7, v0 dst_sel:DWORD dst_unused:UNUSED_PAD src0_sel:BYTE_0 src1_sel:DWORD
	v_min_u32_e32 v2, 32, v2
	v_lshrrev_b16_e32 v0, 3, v0
	v_subrev_u32_e32 v4, 28, v2
	v_and_b32_e32 v0, 15, v0
	v_lshlrev_b32_e32 v4, v4, v7
	v_sub_u32_e32 v2, 29, v2
	v_and_b32_e32 v4, 7, v4
	v_cmp_eq_u16_e32 vcc, 0, v0
	v_cndmask_b32_e32 v1, v1, v4, vcc
	v_cndmask_b32_e32 v0, v0, v2, vcc
	v_lshlrev_b32_e32 v2, 24, v7
	v_mov_b32_e32 v4, 0x3b800000
	v_lshlrev_b32_e32 v1, 20, v1
	v_and_b32_e32 v2, 0x80000000, v2
	v_lshl_add_u32 v0, v0, 23, v4
	v_or3_b32 v0, v2, v0, v1
.LBB44_2020:
	s_or_b64 exec, exec, s[6:7]
	s_movk_i32 s4, 0x7f
	v_cmp_gt_i16_sdwa s[6:7], v3, s4 src0_sel:BYTE_0 src1_sel:DWORD
	s_mov_b64 s[4:5], 0
                                        ; implicit-def: $sgpr10
	s_and_saveexec_b64 s[8:9], s[6:7]
	s_xor_b64 s[6:7], exec, s[8:9]
	s_cbranch_execnz .LBB44_4069
; %bb.2021:
	s_or_saveexec_b64 s[6:7], s[6:7]
	v_mov_b32_e32 v1, s10
	s_xor_b64 exec, exec, s[6:7]
	s_cbranch_execnz .LBB44_4072
.LBB44_2022:
	s_or_b64 exec, exec, s[6:7]
	s_and_saveexec_b64 s[6:7], s[4:5]
	s_cbranch_execz .LBB44_2024
.LBB44_2023:
	v_mov_b32_e32 v1, 8
	v_and_b32_e32 v2, 7, v3
	v_lshrrev_b32_sdwa v1, v1, v3 dst_sel:BYTE_1 dst_unused:UNUSED_PAD src0_sel:DWORD src1_sel:DWORD
	v_ffbh_u32_e32 v4, v2
	v_or_b32_sdwa v1, v3, v1 dst_sel:DWORD dst_unused:UNUSED_PAD src0_sel:BYTE_0 src1_sel:DWORD
	v_min_u32_e32 v4, 32, v4
	v_lshrrev_b16_e32 v1, 3, v1
	v_subrev_u32_e32 v5, 28, v4
	v_and_b32_e32 v1, 15, v1
	v_lshlrev_b32_e32 v5, v5, v3
	v_sub_u32_e32 v4, 29, v4
	v_and_b32_e32 v5, 7, v5
	v_cmp_eq_u16_e32 vcc, 0, v1
	v_cndmask_b32_e32 v2, v2, v5, vcc
	v_cndmask_b32_e32 v1, v1, v4, vcc
	v_lshlrev_b32_e32 v4, 24, v3
	v_mov_b32_e32 v5, 0x3b800000
	v_lshlrev_b32_e32 v2, 20, v2
	v_and_b32_e32 v4, 0x80000000, v4
	v_lshl_add_u32 v1, v1, 23, v5
	v_or3_b32 v1, v4, v1, v2
.LBB44_2024:
	s_or_b64 exec, exec, s[6:7]
	s_nop 0
	v_mfma_f32_16x16x4f32 a[0:3], v0, v1, a[0:3]
	v_lshrrev_b32_e32 v1, 8, v7
	s_movk_i32 s4, 0x7f
	v_cmp_gt_i16_sdwa s[6:7], v1, s4 src0_sel:BYTE_0 src1_sel:DWORD
	s_mov_b64 s[4:5], 0
                                        ; implicit-def: $sgpr10
	s_and_saveexec_b64 s[8:9], s[6:7]
	s_xor_b64 s[6:7], exec, s[8:9]
	s_cbranch_execnz .LBB44_4073
; %bb.2025:
	s_or_saveexec_b64 s[6:7], s[6:7]
	v_mov_b32_e32 v0, s10
	s_xor_b64 exec, exec, s[6:7]
	s_cbranch_execnz .LBB44_4076
.LBB44_2026:
	s_or_b64 exec, exec, s[6:7]
	s_and_saveexec_b64 s[6:7], s[4:5]
	s_cbranch_execz .LBB44_2028
.LBB44_2027:
	v_bfe_u32 v0, v7, 8, 3
	v_ffbh_u32_e32 v4, v0
	v_min_u32_e32 v4, 32, v4
	v_lshrrev_b16_e32 v2, 3, v1
	v_subrev_u32_e32 v5, 28, v4
	v_and_b32_e32 v2, 15, v2
	v_lshlrev_b32_e32 v1, v5, v1
	v_sub_u32_e32 v4, 29, v4
	v_and_b32_e32 v1, 7, v1
	v_cmp_eq_u16_e32 vcc, 0, v2
	v_cndmask_b32_e32 v0, v0, v1, vcc
	v_cndmask_b32_e32 v1, v2, v4, vcc
	v_lshlrev_b32_e32 v2, 16, v7
	v_mov_b32_e32 v4, 0x3b800000
	v_lshlrev_b32_e32 v0, 20, v0
	v_and_b32_e32 v2, 0x80000000, v2
	v_lshl_add_u32 v1, v1, 23, v4
	v_or3_b32 v0, v2, v1, v0
.LBB44_2028:
	s_or_b64 exec, exec, s[6:7]
	v_lshrrev_b32_e32 v1, 8, v3
	s_movk_i32 s4, 0x7f
	v_cmp_gt_i16_sdwa s[6:7], v1, s4 src0_sel:BYTE_0 src1_sel:DWORD
	s_mov_b64 s[4:5], 0
                                        ; implicit-def: $sgpr10
	s_and_saveexec_b64 s[8:9], s[6:7]
	s_xor_b64 s[6:7], exec, s[8:9]
	s_cbranch_execnz .LBB44_4077
; %bb.2029:
	s_or_saveexec_b64 s[6:7], s[6:7]
	v_mov_b32_e32 v2, s10
	s_xor_b64 exec, exec, s[6:7]
	s_cbranch_execnz .LBB44_4080
.LBB44_2030:
	s_or_b64 exec, exec, s[6:7]
	s_and_saveexec_b64 s[6:7], s[4:5]
	s_cbranch_execz .LBB44_2032
.LBB44_2031:
	v_bfe_u32 v2, v3, 8, 3
	v_ffbh_u32_e32 v5, v2
	v_min_u32_e32 v5, 32, v5
	v_lshrrev_b16_e32 v4, 3, v1
	v_subrev_u32_e32 v6, 28, v5
	v_and_b32_e32 v4, 15, v4
	v_lshlrev_b32_e32 v1, v6, v1
	v_sub_u32_e32 v5, 29, v5
	v_and_b32_e32 v1, 7, v1
	v_cmp_eq_u16_e32 vcc, 0, v4
	v_cndmask_b32_e32 v1, v2, v1, vcc
	v_cndmask_b32_e32 v2, v4, v5, vcc
	v_lshlrev_b32_e32 v4, 16, v3
	v_mov_b32_e32 v5, 0x3b800000
	v_lshlrev_b32_e32 v1, 20, v1
	v_and_b32_e32 v4, 0x80000000, v4
	v_lshl_add_u32 v2, v2, 23, v5
	v_or3_b32 v2, v4, v2, v1
.LBB44_2032:
	s_or_b64 exec, exec, s[6:7]
	s_nop 0
	v_mfma_f32_16x16x4f32 a[0:3], v0, v2, a[0:3]
	s_movk_i32 s4, 0xff
	v_and_b32_sdwa v1, v7, s4 dst_sel:DWORD dst_unused:UNUSED_PAD src0_sel:WORD_1 src1_sel:DWORD
	s_movk_i32 s4, 0x7f
	v_cmp_lt_i16_e32 vcc, s4, v1
	s_mov_b64 s[4:5], 0
                                        ; implicit-def: $sgpr10
	s_and_saveexec_b64 s[6:7], vcc
	s_xor_b64 s[6:7], exec, s[6:7]
	s_cbranch_execnz .LBB44_4081
; %bb.2033:
	s_or_saveexec_b64 s[6:7], s[6:7]
	v_mov_b32_e32 v0, s10
	s_xor_b64 exec, exec, s[6:7]
	s_cbranch_execnz .LBB44_4084
.LBB44_2034:
	s_or_b64 exec, exec, s[6:7]
	s_and_saveexec_b64 s[6:7], s[4:5]
	s_cbranch_execz .LBB44_2036
.LBB44_2035:
	v_bfe_u32 v0, v7, 16, 3
	v_ffbh_u32_e32 v4, v0
	v_min_u32_e32 v4, 32, v4
	v_lshrrev_b32_e32 v1, 19, v7
	v_subrev_u32_e32 v5, 28, v4
	v_and_b32_e32 v1, 15, v1
	v_lshlrev_b32_sdwa v5, v5, v7 dst_sel:DWORD dst_unused:UNUSED_PAD src0_sel:DWORD src1_sel:WORD_1
	v_bfe_u32 v2, v7, 19, 4
	v_sub_u32_e32 v4, 29, v4
	v_and_b32_e32 v5, 7, v5
	v_cmp_eq_u16_e32 vcc, 0, v1
	v_cndmask_b32_e32 v0, v0, v5, vcc
	v_cndmask_b32_e32 v1, v2, v4, vcc
	v_lshlrev_b32_e32 v2, 8, v7
	v_mov_b32_e32 v4, 0x3b800000
	v_lshlrev_b32_e32 v0, 20, v0
	v_and_b32_e32 v2, 0x80000000, v2
	v_lshl_add_u32 v1, v1, 23, v4
	v_or3_b32 v0, v2, v1, v0
.LBB44_2036:
	s_or_b64 exec, exec, s[6:7]
	s_movk_i32 s4, 0xff
	v_and_b32_sdwa v1, v3, s4 dst_sel:DWORD dst_unused:UNUSED_PAD src0_sel:WORD_1 src1_sel:DWORD
	s_movk_i32 s4, 0x7f
	v_cmp_lt_i16_e32 vcc, s4, v1
	s_mov_b64 s[4:5], 0
                                        ; implicit-def: $sgpr10
	s_and_saveexec_b64 s[6:7], vcc
	s_xor_b64 s[6:7], exec, s[6:7]
	s_cbranch_execnz .LBB44_4085
; %bb.2037:
	s_or_saveexec_b64 s[6:7], s[6:7]
	v_mov_b32_e32 v2, s10
	s_xor_b64 exec, exec, s[6:7]
	s_cbranch_execnz .LBB44_4088
.LBB44_2038:
	s_or_b64 exec, exec, s[6:7]
	s_and_saveexec_b64 s[6:7], s[4:5]
	s_cbranch_execz .LBB44_2040
.LBB44_2039:
	v_bfe_u32 v1, v3, 16, 3
	v_ffbh_u32_e32 v5, v1
	v_min_u32_e32 v5, 32, v5
	v_lshrrev_b32_e32 v2, 19, v3
	v_subrev_u32_e32 v6, 28, v5
	v_and_b32_e32 v2, 15, v2
	v_lshlrev_b32_sdwa v6, v6, v3 dst_sel:DWORD dst_unused:UNUSED_PAD src0_sel:DWORD src1_sel:WORD_1
	v_bfe_u32 v4, v3, 19, 4
	v_sub_u32_e32 v5, 29, v5
	v_and_b32_e32 v6, 7, v6
	v_cmp_eq_u16_e32 vcc, 0, v2
	v_cndmask_b32_e32 v1, v1, v6, vcc
	v_cndmask_b32_e32 v2, v4, v5, vcc
	v_lshlrev_b32_e32 v4, 8, v3
	v_mov_b32_e32 v5, 0x3b800000
	v_lshlrev_b32_e32 v1, 20, v1
	v_and_b32_e32 v4, 0x80000000, v4
	v_lshl_add_u32 v2, v2, 23, v5
	v_or3_b32 v2, v4, v2, v1
.LBB44_2040:
	s_or_b64 exec, exec, s[6:7]
	s_nop 0
	v_mfma_f32_16x16x4f32 a[0:3], v0, v2, a[0:3]
	s_movk_i32 s4, 0x7f
	v_cmp_gt_i16_sdwa s[6:7], v7, s4 src0_sel:BYTE_3 src1_sel:DWORD
	s_mov_b64 s[4:5], 0
                                        ; implicit-def: $sgpr10
	s_and_saveexec_b64 s[8:9], s[6:7]
	s_xor_b64 s[6:7], exec, s[8:9]
	s_cbranch_execnz .LBB44_4089
; %bb.2041:
	s_or_saveexec_b64 s[6:7], s[6:7]
	v_mov_b32_e32 v0, s10
	s_xor_b64 exec, exec, s[6:7]
	s_cbranch_execnz .LBB44_4092
.LBB44_2042:
	s_or_b64 exec, exec, s[6:7]
	s_and_saveexec_b64 s[6:7], s[4:5]
	s_cbranch_execz .LBB44_2044
.LBB44_2043:
	v_bfe_u32 v0, v7, 24, 3
	v_ffbh_u32_e32 v5, v0
	v_min_u32_e32 v5, 32, v5
	v_lshrrev_b32_e32 v2, 27, v7
	v_subrev_u32_e32 v6, 28, v5
	v_and_b32_e32 v2, 15, v2
	v_lshlrev_b32_sdwa v6, v6, v7 dst_sel:DWORD dst_unused:UNUSED_PAD src0_sel:DWORD src1_sel:BYTE_3
	v_bfe_u32 v4, v7, 27, 4
	v_sub_u32_e32 v5, 29, v5
	v_and_b32_e32 v6, 7, v6
	v_cmp_eq_u16_e32 vcc, 0, v2
	v_cndmask_b32_e32 v0, v0, v6, vcc
	v_cndmask_b32_e32 v2, v4, v5, vcc
	v_mov_b32_e32 v4, 0x3b800000
	v_and_b32_e32 v1, 0x80000000, v7
	v_lshlrev_b32_e32 v0, 20, v0
	v_lshl_add_u32 v2, v2, 23, v4
	v_or3_b32 v0, v1, v2, v0
.LBB44_2044:
	s_or_b64 exec, exec, s[6:7]
	s_movk_i32 s4, 0x7f
	v_cmp_gt_i16_sdwa s[6:7], v3, s4 src0_sel:BYTE_3 src1_sel:DWORD
	s_mov_b64 s[4:5], 0
                                        ; implicit-def: $sgpr10
	s_and_saveexec_b64 s[8:9], s[6:7]
	s_xor_b64 s[6:7], exec, s[8:9]
	s_cbranch_execnz .LBB44_4093
; %bb.2045:
	s_or_saveexec_b64 s[6:7], s[6:7]
	v_mov_b32_e32 v1, s10
	s_xor_b64 exec, exec, s[6:7]
	s_cbranch_execnz .LBB44_4096
.LBB44_2046:
	s_or_b64 exec, exec, s[6:7]
	s_and_saveexec_b64 s[6:7], s[4:5]
	s_cbranch_execz .LBB44_2048
.LBB44_2047:
	v_bfe_u32 v1, v3, 24, 3
	v_ffbh_u32_e32 v6, v1
	v_min_u32_e32 v6, 32, v6
	v_lshrrev_b32_e32 v4, 27, v3
	v_subrev_u32_e32 v7, 28, v6
	v_and_b32_e32 v2, 0x80000000, v3
	v_and_b32_e32 v4, 15, v4
	v_bfe_u32 v5, v3, 27, 4
	v_lshlrev_b32_sdwa v3, v7, v3 dst_sel:DWORD dst_unused:UNUSED_PAD src0_sel:DWORD src1_sel:BYTE_3
	v_sub_u32_e32 v6, 29, v6
	v_and_b32_e32 v3, 7, v3
	v_cmp_eq_u16_e32 vcc, 0, v4
	v_cndmask_b32_e32 v1, v1, v3, vcc
	v_cndmask_b32_e32 v3, v5, v6, vcc
	v_mov_b32_e32 v4, 0x3b800000
	v_lshlrev_b32_e32 v1, 20, v1
	v_lshl_add_u32 v3, v3, 23, v4
	v_or3_b32 v1, v2, v3, v1
.LBB44_2048:
	s_or_b64 exec, exec, s[6:7]
	s_nop 0
	v_mfma_f32_16x16x4f32 a[0:3], v0, v1, a[0:3]
	s_nop 7
	s_nop 2
	flat_store_dwordx4 v[16:17], a[0:3] offset:112
	s_waitcnt vmcnt(0) lgkmcnt(0)
	s_setpc_b64 s[30:31]
.LBB44_2049:
	s_movk_i32 s4, 0x80
	v_cmp_eq_u16_sdwa s[12:13], v14, s4 src0_sel:BYTE_0 src1_sel:DWORD
	s_mov_b64 s[4:5], -1
                                        ; implicit-def: $sgpr10
	s_and_saveexec_b64 s[8:9], s[12:13]
; %bb.2050:
	s_mov_b32 s10, 0x7f800001
	s_xor_b64 s[4:5], exec, -1
; %bb.2051:
	s_or_b64 exec, exec, s[8:9]
	s_and_b64 s[4:5], s[4:5], exec
	s_or_saveexec_b64 s[6:7], s[6:7]
	v_mov_b32_e32 v20, s10
	s_xor_b64 exec, exec, s[6:7]
	s_cbranch_execz .LBB44_2
.LBB44_2052:
	v_mov_b32_e32 v20, 0
	v_cmp_ne_u16_sdwa s[8:9], v14, v20 src0_sel:BYTE_0 src1_sel:DWORD
	s_andn2_b64 s[4:5], s[4:5], exec
	s_and_b64 s[8:9], s[8:9], exec
	s_or_b64 s[4:5], s[4:5], s[8:9]
	s_or_b64 exec, exec, s[6:7]
	s_and_saveexec_b64 s[6:7], s[4:5]
	s_cbranch_execnz .LBB44_3
	s_branch .LBB44_4
.LBB44_2053:
	s_movk_i32 s4, 0x80
	v_cmp_eq_u16_sdwa s[12:13], v10, s4 src0_sel:BYTE_0 src1_sel:DWORD
	s_mov_b64 s[4:5], -1
                                        ; implicit-def: $sgpr10
	s_and_saveexec_b64 s[8:9], s[12:13]
; %bb.2054:
	s_mov_b32 s10, 0x7f800001
	s_xor_b64 s[4:5], exec, -1
; %bb.2055:
	s_or_b64 exec, exec, s[8:9]
	s_and_b64 s[4:5], s[4:5], exec
	s_or_saveexec_b64 s[6:7], s[6:7]
	v_mov_b32_e32 v21, s10
	s_xor_b64 exec, exec, s[6:7]
	s_cbranch_execz .LBB44_6
.LBB44_2056:
	v_mov_b32_e32 v21, 0
	v_cmp_ne_u16_sdwa s[8:9], v10, v21 src0_sel:BYTE_0 src1_sel:DWORD
	s_andn2_b64 s[4:5], s[4:5], exec
	s_and_b64 s[8:9], s[8:9], exec
	s_or_b64 s[4:5], s[4:5], s[8:9]
	s_or_b64 exec, exec, s[6:7]
	s_and_saveexec_b64 s[6:7], s[4:5]
	s_cbranch_execnz .LBB44_7
	s_branch .LBB44_8
.LBB44_2057:
	s_movk_i32 s4, 0x80
	v_cmp_eq_u16_sdwa s[12:13], v21, s4 src0_sel:BYTE_0 src1_sel:DWORD
	s_mov_b64 s[4:5], -1
                                        ; implicit-def: $sgpr10
	s_and_saveexec_b64 s[8:9], s[12:13]
; %bb.2058:
	s_mov_b32 s10, 0x7f800001
	s_xor_b64 s[4:5], exec, -1
; %bb.2059:
	s_or_b64 exec, exec, s[8:9]
	s_and_b64 s[4:5], s[4:5], exec
	s_or_saveexec_b64 s[6:7], s[6:7]
	v_mov_b32_e32 v20, s10
	s_xor_b64 exec, exec, s[6:7]
	s_cbranch_execz .LBB44_10
.LBB44_2060:
	v_mov_b32_e32 v20, 0
	v_cmp_ne_u16_sdwa s[8:9], v21, v20 src0_sel:BYTE_0 src1_sel:DWORD
	s_andn2_b64 s[4:5], s[4:5], exec
	s_and_b64 s[8:9], s[8:9], exec
	s_or_b64 s[4:5], s[4:5], s[8:9]
	s_or_b64 exec, exec, s[6:7]
	s_and_saveexec_b64 s[6:7], s[4:5]
	s_cbranch_execnz .LBB44_11
	s_branch .LBB44_12
.LBB44_2061:
	s_movk_i32 s4, 0x80
	v_cmp_eq_u16_sdwa s[12:13], v21, s4 src0_sel:BYTE_0 src1_sel:DWORD
	s_mov_b64 s[4:5], -1
                                        ; implicit-def: $sgpr10
	s_and_saveexec_b64 s[8:9], s[12:13]
; %bb.2062:
	s_mov_b32 s10, 0x7f800001
	s_xor_b64 s[4:5], exec, -1
; %bb.2063:
	s_or_b64 exec, exec, s[8:9]
	s_and_b64 s[4:5], s[4:5], exec
	s_or_saveexec_b64 s[6:7], s[6:7]
	v_mov_b32_e32 v22, s10
	s_xor_b64 exec, exec, s[6:7]
	s_cbranch_execz .LBB44_14
.LBB44_2064:
	v_mov_b32_e32 v22, 0
	v_cmp_ne_u16_sdwa s[8:9], v21, v22 src0_sel:BYTE_0 src1_sel:DWORD
	s_andn2_b64 s[4:5], s[4:5], exec
	s_and_b64 s[8:9], s[8:9], exec
	s_or_b64 s[4:5], s[4:5], s[8:9]
	s_or_b64 exec, exec, s[6:7]
	s_and_saveexec_b64 s[6:7], s[4:5]
	s_cbranch_execnz .LBB44_15
	s_branch .LBB44_16
.LBB44_2065:
	s_movk_i32 s4, 0x80
	v_cmp_eq_u16_e32 vcc, s4, v21
	s_mov_b64 s[4:5], -1
                                        ; implicit-def: $sgpr10
	s_and_saveexec_b64 s[8:9], vcc
; %bb.2066:
	s_mov_b32 s10, 0x7f800001
	s_xor_b64 s[4:5], exec, -1
; %bb.2067:
	s_or_b64 exec, exec, s[8:9]
	s_and_b64 s[4:5], s[4:5], exec
                                        ; implicit-def: $vgpr21
	s_or_saveexec_b64 s[6:7], s[6:7]
	v_mov_b32_e32 v20, s10
	s_xor_b64 exec, exec, s[6:7]
	s_cbranch_execz .LBB44_18
.LBB44_2068:
	v_cmp_ne_u16_e32 vcc, 0, v21
	s_andn2_b64 s[4:5], s[4:5], exec
	s_and_b64 s[8:9], vcc, exec
	v_mov_b32_e32 v20, 0
	s_or_b64 s[4:5], s[4:5], s[8:9]
	s_or_b64 exec, exec, s[6:7]
	s_and_saveexec_b64 s[6:7], s[4:5]
	s_cbranch_execnz .LBB44_19
	s_branch .LBB44_20
.LBB44_2069:
	s_movk_i32 s4, 0x80
	v_cmp_eq_u16_e32 vcc, s4, v21
	s_mov_b64 s[4:5], -1
                                        ; implicit-def: $sgpr10
	s_and_saveexec_b64 s[8:9], vcc
; %bb.2070:
	s_mov_b32 s10, 0x7f800001
	s_xor_b64 s[4:5], exec, -1
; %bb.2071:
	s_or_b64 exec, exec, s[8:9]
	s_and_b64 s[4:5], s[4:5], exec
                                        ; implicit-def: $vgpr21
	s_or_saveexec_b64 s[6:7], s[6:7]
	v_mov_b32_e32 v22, s10
	s_xor_b64 exec, exec, s[6:7]
	s_cbranch_execz .LBB44_22
.LBB44_2072:
	v_cmp_ne_u16_e32 vcc, 0, v21
	s_andn2_b64 s[4:5], s[4:5], exec
	s_and_b64 s[8:9], vcc, exec
	v_mov_b32_e32 v22, 0
	s_or_b64 s[4:5], s[4:5], s[8:9]
	s_or_b64 exec, exec, s[6:7]
	s_and_saveexec_b64 s[6:7], s[4:5]
	s_cbranch_execnz .LBB44_23
	s_branch .LBB44_24
.LBB44_2073:
	s_movk_i32 s4, 0x80
	v_cmp_eq_u16_sdwa s[12:13], v14, s4 src0_sel:BYTE_3 src1_sel:DWORD
	s_mov_b64 s[4:5], -1
                                        ; implicit-def: $sgpr10
	s_and_saveexec_b64 s[8:9], s[12:13]
; %bb.2074:
	s_mov_b32 s10, 0x7f800001
	s_xor_b64 s[4:5], exec, -1
; %bb.2075:
	s_or_b64 exec, exec, s[8:9]
	s_and_b64 s[4:5], s[4:5], exec
	s_or_saveexec_b64 s[6:7], s[6:7]
	v_mov_b32_e32 v20, s10
	s_xor_b64 exec, exec, s[6:7]
	s_cbranch_execz .LBB44_26
.LBB44_2076:
	v_mov_b32_e32 v20, 0
	v_cmp_ne_u16_sdwa s[8:9], v14, v20 src0_sel:BYTE_3 src1_sel:DWORD
	s_andn2_b64 s[4:5], s[4:5], exec
	s_and_b64 s[8:9], s[8:9], exec
	s_or_b64 s[4:5], s[4:5], s[8:9]
	s_or_b64 exec, exec, s[6:7]
	s_and_saveexec_b64 s[6:7], s[4:5]
	s_cbranch_execnz .LBB44_27
	s_branch .LBB44_28
.LBB44_2077:
	s_movk_i32 s4, 0x80
	v_cmp_eq_u16_sdwa s[12:13], v10, s4 src0_sel:BYTE_3 src1_sel:DWORD
	s_mov_b64 s[4:5], -1
                                        ; implicit-def: $sgpr10
	s_and_saveexec_b64 s[8:9], s[12:13]
; %bb.2078:
	s_mov_b32 s10, 0x7f800001
	s_xor_b64 s[4:5], exec, -1
; %bb.2079:
	s_or_b64 exec, exec, s[8:9]
	s_and_b64 s[4:5], s[4:5], exec
	s_or_saveexec_b64 s[6:7], s[6:7]
	v_mov_b32_e32 v14, s10
	s_xor_b64 exec, exec, s[6:7]
	s_cbranch_execz .LBB44_30
.LBB44_2080:
	v_mov_b32_e32 v14, 0
	v_cmp_ne_u16_sdwa s[8:9], v10, v14 src0_sel:BYTE_3 src1_sel:DWORD
	s_andn2_b64 s[4:5], s[4:5], exec
	s_and_b64 s[8:9], s[8:9], exec
	s_or_b64 s[4:5], s[4:5], s[8:9]
	s_or_b64 exec, exec, s[6:7]
	s_and_saveexec_b64 s[6:7], s[4:5]
	s_cbranch_execnz .LBB44_31
	s_branch .LBB44_32
.LBB44_2081:
	s_movk_i32 s4, 0x80
	v_cmp_eq_u16_sdwa s[12:13], v15, s4 src0_sel:BYTE_0 src1_sel:DWORD
	s_mov_b64 s[4:5], -1
                                        ; implicit-def: $sgpr10
	s_and_saveexec_b64 s[8:9], s[12:13]
; %bb.2082:
	s_mov_b32 s10, 0x7f800001
	s_xor_b64 s[4:5], exec, -1
; %bb.2083:
	s_or_b64 exec, exec, s[8:9]
	s_and_b64 s[4:5], s[4:5], exec
	s_or_saveexec_b64 s[6:7], s[6:7]
	v_mov_b32_e32 v10, s10
	s_xor_b64 exec, exec, s[6:7]
	s_cbranch_execz .LBB44_34
.LBB44_2084:
	v_mov_b32_e32 v10, 0
	v_cmp_ne_u16_sdwa s[8:9], v15, v10 src0_sel:BYTE_0 src1_sel:DWORD
	s_andn2_b64 s[4:5], s[4:5], exec
	s_and_b64 s[8:9], s[8:9], exec
	s_or_b64 s[4:5], s[4:5], s[8:9]
	s_or_b64 exec, exec, s[6:7]
	s_and_saveexec_b64 s[6:7], s[4:5]
	s_cbranch_execnz .LBB44_35
	s_branch .LBB44_36
.LBB44_2085:
	s_movk_i32 s4, 0x80
	v_cmp_eq_u16_sdwa s[12:13], v11, s4 src0_sel:BYTE_0 src1_sel:DWORD
	s_mov_b64 s[4:5], -1
                                        ; implicit-def: $sgpr10
	s_and_saveexec_b64 s[8:9], s[12:13]
; %bb.2086:
	s_mov_b32 s10, 0x7f800001
	s_xor_b64 s[4:5], exec, -1
; %bb.2087:
	s_or_b64 exec, exec, s[8:9]
	s_and_b64 s[4:5], s[4:5], exec
	s_or_saveexec_b64 s[6:7], s[6:7]
	v_mov_b32_e32 v14, s10
	s_xor_b64 exec, exec, s[6:7]
	s_cbranch_execz .LBB44_38
.LBB44_2088:
	v_mov_b32_e32 v14, 0
	v_cmp_ne_u16_sdwa s[8:9], v11, v14 src0_sel:BYTE_0 src1_sel:DWORD
	s_andn2_b64 s[4:5], s[4:5], exec
	s_and_b64 s[8:9], s[8:9], exec
	s_or_b64 s[4:5], s[4:5], s[8:9]
	s_or_b64 exec, exec, s[6:7]
	s_and_saveexec_b64 s[6:7], s[4:5]
	s_cbranch_execnz .LBB44_39
	s_branch .LBB44_40
.LBB44_2089:
	s_movk_i32 s4, 0x80
	v_cmp_eq_u16_sdwa s[12:13], v14, s4 src0_sel:BYTE_0 src1_sel:DWORD
	s_mov_b64 s[4:5], -1
                                        ; implicit-def: $sgpr10
	s_and_saveexec_b64 s[8:9], s[12:13]
; %bb.2090:
	s_mov_b32 s10, 0x7f800001
	s_xor_b64 s[4:5], exec, -1
; %bb.2091:
	s_or_b64 exec, exec, s[8:9]
	s_and_b64 s[4:5], s[4:5], exec
	s_or_saveexec_b64 s[6:7], s[6:7]
	v_mov_b32_e32 v10, s10
	s_xor_b64 exec, exec, s[6:7]
	s_cbranch_execz .LBB44_42
.LBB44_2092:
	v_mov_b32_e32 v10, 0
	v_cmp_ne_u16_sdwa s[8:9], v14, v10 src0_sel:BYTE_0 src1_sel:DWORD
	s_andn2_b64 s[4:5], s[4:5], exec
	s_and_b64 s[8:9], s[8:9], exec
	s_or_b64 s[4:5], s[4:5], s[8:9]
	s_or_b64 exec, exec, s[6:7]
	s_and_saveexec_b64 s[6:7], s[4:5]
	s_cbranch_execnz .LBB44_43
	s_branch .LBB44_44
.LBB44_2093:
	s_movk_i32 s4, 0x80
	v_cmp_eq_u16_sdwa s[12:13], v14, s4 src0_sel:BYTE_0 src1_sel:DWORD
	s_mov_b64 s[4:5], -1
                                        ; implicit-def: $sgpr10
	s_and_saveexec_b64 s[8:9], s[12:13]
; %bb.2094:
	s_mov_b32 s10, 0x7f800001
	s_xor_b64 s[4:5], exec, -1
; %bb.2095:
	s_or_b64 exec, exec, s[8:9]
	s_and_b64 s[4:5], s[4:5], exec
	s_or_saveexec_b64 s[6:7], s[6:7]
	v_mov_b32_e32 v20, s10
	s_xor_b64 exec, exec, s[6:7]
	s_cbranch_execz .LBB44_46
.LBB44_2096:
	v_mov_b32_e32 v20, 0
	v_cmp_ne_u16_sdwa s[8:9], v14, v20 src0_sel:BYTE_0 src1_sel:DWORD
	s_andn2_b64 s[4:5], s[4:5], exec
	s_and_b64 s[8:9], s[8:9], exec
	s_or_b64 s[4:5], s[4:5], s[8:9]
	s_or_b64 exec, exec, s[6:7]
	s_and_saveexec_b64 s[6:7], s[4:5]
	s_cbranch_execnz .LBB44_47
	s_branch .LBB44_48
.LBB44_2097:
	s_movk_i32 s4, 0x80
	v_cmp_eq_u16_e32 vcc, s4, v14
	s_mov_b64 s[4:5], -1
                                        ; implicit-def: $sgpr10
	s_and_saveexec_b64 s[8:9], vcc
; %bb.2098:
	s_mov_b32 s10, 0x7f800001
	s_xor_b64 s[4:5], exec, -1
; %bb.2099:
	s_or_b64 exec, exec, s[8:9]
	s_and_b64 s[4:5], s[4:5], exec
                                        ; implicit-def: $vgpr14
	s_or_saveexec_b64 s[6:7], s[6:7]
	v_mov_b32_e32 v10, s10
	s_xor_b64 exec, exec, s[6:7]
	s_cbranch_execz .LBB44_50
.LBB44_2100:
	v_cmp_ne_u16_e32 vcc, 0, v14
	s_andn2_b64 s[4:5], s[4:5], exec
	s_and_b64 s[8:9], vcc, exec
	v_mov_b32_e32 v10, 0
	s_or_b64 s[4:5], s[4:5], s[8:9]
	s_or_b64 exec, exec, s[6:7]
	s_and_saveexec_b64 s[6:7], s[4:5]
	s_cbranch_execnz .LBB44_51
	s_branch .LBB44_52
.LBB44_2101:
	s_movk_i32 s4, 0x80
	v_cmp_eq_u16_e32 vcc, s4, v14
	s_mov_b64 s[4:5], -1
                                        ; implicit-def: $sgpr10
	s_and_saveexec_b64 s[8:9], vcc
; %bb.2102:
	s_mov_b32 s10, 0x7f800001
	s_xor_b64 s[4:5], exec, -1
; %bb.2103:
	s_or_b64 exec, exec, s[8:9]
	s_and_b64 s[4:5], s[4:5], exec
                                        ; implicit-def: $vgpr14
	s_or_saveexec_b64 s[6:7], s[6:7]
	v_mov_b32_e32 v20, s10
	s_xor_b64 exec, exec, s[6:7]
	s_cbranch_execz .LBB44_54
.LBB44_2104:
	v_cmp_ne_u16_e32 vcc, 0, v14
	s_andn2_b64 s[4:5], s[4:5], exec
	s_and_b64 s[8:9], vcc, exec
	v_mov_b32_e32 v20, 0
	s_or_b64 s[4:5], s[4:5], s[8:9]
	s_or_b64 exec, exec, s[6:7]
	s_and_saveexec_b64 s[6:7], s[4:5]
	s_cbranch_execnz .LBB44_55
	s_branch .LBB44_56
.LBB44_2105:
	s_movk_i32 s4, 0x80
	v_cmp_eq_u16_sdwa s[12:13], v15, s4 src0_sel:BYTE_3 src1_sel:DWORD
	s_mov_b64 s[4:5], -1
                                        ; implicit-def: $sgpr10
	s_and_saveexec_b64 s[8:9], s[12:13]
; %bb.2106:
	s_mov_b32 s10, 0x7f800001
	s_xor_b64 s[4:5], exec, -1
; %bb.2107:
	s_or_b64 exec, exec, s[8:9]
	s_and_b64 s[4:5], s[4:5], exec
	s_or_saveexec_b64 s[6:7], s[6:7]
	v_mov_b32_e32 v10, s10
	s_xor_b64 exec, exec, s[6:7]
	s_cbranch_execz .LBB44_58
.LBB44_2108:
	v_mov_b32_e32 v10, 0
	v_cmp_ne_u16_sdwa s[8:9], v15, v10 src0_sel:BYTE_3 src1_sel:DWORD
	s_andn2_b64 s[4:5], s[4:5], exec
	s_and_b64 s[8:9], s[8:9], exec
	s_or_b64 s[4:5], s[4:5], s[8:9]
	s_or_b64 exec, exec, s[6:7]
	s_and_saveexec_b64 s[6:7], s[4:5]
	s_cbranch_execnz .LBB44_59
	s_branch .LBB44_60
.LBB44_2109:
	s_movk_i32 s4, 0x80
	v_cmp_eq_u16_sdwa s[12:13], v11, s4 src0_sel:BYTE_3 src1_sel:DWORD
	s_mov_b64 s[4:5], -1
                                        ; implicit-def: $sgpr10
	s_and_saveexec_b64 s[8:9], s[12:13]
; %bb.2110:
	s_mov_b32 s10, 0x7f800001
	s_xor_b64 s[4:5], exec, -1
; %bb.2111:
	s_or_b64 exec, exec, s[8:9]
	s_and_b64 s[4:5], s[4:5], exec
	s_or_saveexec_b64 s[6:7], s[6:7]
	v_mov_b32_e32 v14, s10
	s_xor_b64 exec, exec, s[6:7]
	s_cbranch_execz .LBB44_62
.LBB44_2112:
	v_mov_b32_e32 v14, 0
	v_cmp_ne_u16_sdwa s[8:9], v11, v14 src0_sel:BYTE_3 src1_sel:DWORD
	s_andn2_b64 s[4:5], s[4:5], exec
	s_and_b64 s[8:9], s[8:9], exec
	s_or_b64 s[4:5], s[4:5], s[8:9]
	s_or_b64 exec, exec, s[6:7]
	s_and_saveexec_b64 s[6:7], s[4:5]
	s_cbranch_execnz .LBB44_63
	s_branch .LBB44_64
.LBB44_2113:
	s_movk_i32 s4, 0x80
	v_cmp_eq_u16_sdwa s[12:13], v16, s4 src0_sel:BYTE_0 src1_sel:DWORD
	s_mov_b64 s[4:5], -1
                                        ; implicit-def: $sgpr10
	s_and_saveexec_b64 s[8:9], s[12:13]
; %bb.2114:
	s_mov_b32 s10, 0x7f800001
	s_xor_b64 s[4:5], exec, -1
; %bb.2115:
	s_or_b64 exec, exec, s[8:9]
	s_and_b64 s[4:5], s[4:5], exec
	s_or_saveexec_b64 s[6:7], s[6:7]
	v_mov_b32_e32 v10, s10
	s_xor_b64 exec, exec, s[6:7]
	s_cbranch_execz .LBB44_66
.LBB44_2116:
	v_mov_b32_e32 v10, 0
	v_cmp_ne_u16_sdwa s[8:9], v16, v10 src0_sel:BYTE_0 src1_sel:DWORD
	s_andn2_b64 s[4:5], s[4:5], exec
	s_and_b64 s[8:9], s[8:9], exec
	s_or_b64 s[4:5], s[4:5], s[8:9]
	s_or_b64 exec, exec, s[6:7]
	s_and_saveexec_b64 s[6:7], s[4:5]
	s_cbranch_execnz .LBB44_67
	s_branch .LBB44_68
.LBB44_2117:
	s_movk_i32 s4, 0x80
	v_cmp_eq_u16_sdwa s[12:13], v12, s4 src0_sel:BYTE_0 src1_sel:DWORD
	s_mov_b64 s[4:5], -1
                                        ; implicit-def: $sgpr10
	s_and_saveexec_b64 s[8:9], s[12:13]
; %bb.2118:
	s_mov_b32 s10, 0x7f800001
	s_xor_b64 s[4:5], exec, -1
; %bb.2119:
	s_or_b64 exec, exec, s[8:9]
	s_and_b64 s[4:5], s[4:5], exec
	s_or_saveexec_b64 s[6:7], s[6:7]
	v_mov_b32_e32 v11, s10
	s_xor_b64 exec, exec, s[6:7]
	s_cbranch_execz .LBB44_70
.LBB44_2120:
	v_mov_b32_e32 v11, 0
	v_cmp_ne_u16_sdwa s[8:9], v12, v11 src0_sel:BYTE_0 src1_sel:DWORD
	s_andn2_b64 s[4:5], s[4:5], exec
	s_and_b64 s[8:9], s[8:9], exec
	s_or_b64 s[4:5], s[4:5], s[8:9]
	s_or_b64 exec, exec, s[6:7]
	s_and_saveexec_b64 s[6:7], s[4:5]
	s_cbranch_execnz .LBB44_71
	s_branch .LBB44_72
.LBB44_2121:
	s_movk_i32 s4, 0x80
	v_cmp_eq_u16_sdwa s[12:13], v11, s4 src0_sel:BYTE_0 src1_sel:DWORD
	s_mov_b64 s[4:5], -1
                                        ; implicit-def: $sgpr10
	s_and_saveexec_b64 s[8:9], s[12:13]
; %bb.2122:
	s_mov_b32 s10, 0x7f800001
	s_xor_b64 s[4:5], exec, -1
; %bb.2123:
	s_or_b64 exec, exec, s[8:9]
	s_and_b64 s[4:5], s[4:5], exec
	s_or_saveexec_b64 s[6:7], s[6:7]
	v_mov_b32_e32 v10, s10
	s_xor_b64 exec, exec, s[6:7]
	s_cbranch_execz .LBB44_74
.LBB44_2124:
	v_mov_b32_e32 v10, 0
	v_cmp_ne_u16_sdwa s[8:9], v11, v10 src0_sel:BYTE_0 src1_sel:DWORD
	s_andn2_b64 s[4:5], s[4:5], exec
	s_and_b64 s[8:9], s[8:9], exec
	s_or_b64 s[4:5], s[4:5], s[8:9]
	s_or_b64 exec, exec, s[6:7]
	s_and_saveexec_b64 s[6:7], s[4:5]
	s_cbranch_execnz .LBB44_75
	s_branch .LBB44_76
.LBB44_2125:
	s_movk_i32 s4, 0x80
	v_cmp_eq_u16_sdwa s[12:13], v11, s4 src0_sel:BYTE_0 src1_sel:DWORD
	s_mov_b64 s[4:5], -1
                                        ; implicit-def: $sgpr10
	s_and_saveexec_b64 s[8:9], s[12:13]
; %bb.2126:
	s_mov_b32 s10, 0x7f800001
	s_xor_b64 s[4:5], exec, -1
; %bb.2127:
	s_or_b64 exec, exec, s[8:9]
	s_and_b64 s[4:5], s[4:5], exec
	s_or_saveexec_b64 s[6:7], s[6:7]
	v_mov_b32_e32 v14, s10
	s_xor_b64 exec, exec, s[6:7]
	s_cbranch_execz .LBB44_78
.LBB44_2128:
	v_mov_b32_e32 v14, 0
	v_cmp_ne_u16_sdwa s[8:9], v11, v14 src0_sel:BYTE_0 src1_sel:DWORD
	s_andn2_b64 s[4:5], s[4:5], exec
	s_and_b64 s[8:9], s[8:9], exec
	s_or_b64 s[4:5], s[4:5], s[8:9]
	s_or_b64 exec, exec, s[6:7]
	s_and_saveexec_b64 s[6:7], s[4:5]
	s_cbranch_execnz .LBB44_79
	s_branch .LBB44_80
.LBB44_2129:
	s_movk_i32 s4, 0x80
	v_cmp_eq_u16_e32 vcc, s4, v11
	s_mov_b64 s[4:5], -1
                                        ; implicit-def: $sgpr10
	s_and_saveexec_b64 s[8:9], vcc
; %bb.2130:
	s_mov_b32 s10, 0x7f800001
	s_xor_b64 s[4:5], exec, -1
; %bb.2131:
	s_or_b64 exec, exec, s[8:9]
	s_and_b64 s[4:5], s[4:5], exec
                                        ; implicit-def: $vgpr11
	s_or_saveexec_b64 s[6:7], s[6:7]
	v_mov_b32_e32 v10, s10
	s_xor_b64 exec, exec, s[6:7]
	s_cbranch_execz .LBB44_82
.LBB44_2132:
	v_cmp_ne_u16_e32 vcc, 0, v11
	s_andn2_b64 s[4:5], s[4:5], exec
	s_and_b64 s[8:9], vcc, exec
	v_mov_b32_e32 v10, 0
	s_or_b64 s[4:5], s[4:5], s[8:9]
	s_or_b64 exec, exec, s[6:7]
	s_and_saveexec_b64 s[6:7], s[4:5]
	s_cbranch_execnz .LBB44_83
	s_branch .LBB44_84
.LBB44_2133:
	s_movk_i32 s4, 0x80
	v_cmp_eq_u16_e32 vcc, s4, v11
	s_mov_b64 s[4:5], -1
                                        ; implicit-def: $sgpr10
	s_and_saveexec_b64 s[8:9], vcc
; %bb.2134:
	s_mov_b32 s10, 0x7f800001
	s_xor_b64 s[4:5], exec, -1
; %bb.2135:
	s_or_b64 exec, exec, s[8:9]
	s_and_b64 s[4:5], s[4:5], exec
                                        ; implicit-def: $vgpr11
	s_or_saveexec_b64 s[6:7], s[6:7]
	v_mov_b32_e32 v14, s10
	s_xor_b64 exec, exec, s[6:7]
	s_cbranch_execz .LBB44_86
.LBB44_2136:
	v_cmp_ne_u16_e32 vcc, 0, v11
	s_andn2_b64 s[4:5], s[4:5], exec
	s_and_b64 s[8:9], vcc, exec
	v_mov_b32_e32 v14, 0
	s_or_b64 s[4:5], s[4:5], s[8:9]
	s_or_b64 exec, exec, s[6:7]
	s_and_saveexec_b64 s[6:7], s[4:5]
	s_cbranch_execnz .LBB44_87
	s_branch .LBB44_88
.LBB44_2137:
	s_movk_i32 s4, 0x80
	v_cmp_eq_u16_sdwa s[12:13], v16, s4 src0_sel:BYTE_3 src1_sel:DWORD
	s_mov_b64 s[4:5], -1
                                        ; implicit-def: $sgpr10
	s_and_saveexec_b64 s[8:9], s[12:13]
; %bb.2138:
	s_mov_b32 s10, 0x7f800001
	s_xor_b64 s[4:5], exec, -1
; %bb.2139:
	s_or_b64 exec, exec, s[8:9]
	s_and_b64 s[4:5], s[4:5], exec
	s_or_saveexec_b64 s[6:7], s[6:7]
	v_mov_b32_e32 v10, s10
	s_xor_b64 exec, exec, s[6:7]
	s_cbranch_execz .LBB44_90
.LBB44_2140:
	v_mov_b32_e32 v10, 0
	v_cmp_ne_u16_sdwa s[8:9], v16, v10 src0_sel:BYTE_3 src1_sel:DWORD
	s_andn2_b64 s[4:5], s[4:5], exec
	s_and_b64 s[8:9], s[8:9], exec
	s_or_b64 s[4:5], s[4:5], s[8:9]
	s_or_b64 exec, exec, s[6:7]
	s_and_saveexec_b64 s[6:7], s[4:5]
	s_cbranch_execnz .LBB44_91
	s_branch .LBB44_92
.LBB44_2141:
	s_movk_i32 s4, 0x80
	v_cmp_eq_u16_sdwa s[12:13], v12, s4 src0_sel:BYTE_3 src1_sel:DWORD
	s_mov_b64 s[4:5], -1
                                        ; implicit-def: $sgpr10
	s_and_saveexec_b64 s[8:9], s[12:13]
; %bb.2142:
	s_mov_b32 s10, 0x7f800001
	s_xor_b64 s[4:5], exec, -1
; %bb.2143:
	s_or_b64 exec, exec, s[8:9]
	s_and_b64 s[4:5], s[4:5], exec
	s_or_saveexec_b64 s[6:7], s[6:7]
	v_mov_b32_e32 v11, s10
	s_xor_b64 exec, exec, s[6:7]
	s_cbranch_execz .LBB44_94
.LBB44_2144:
	v_mov_b32_e32 v11, 0
	v_cmp_ne_u16_sdwa s[8:9], v12, v11 src0_sel:BYTE_3 src1_sel:DWORD
	s_andn2_b64 s[4:5], s[4:5], exec
	s_and_b64 s[8:9], s[8:9], exec
	s_or_b64 s[4:5], s[4:5], s[8:9]
	s_or_b64 exec, exec, s[6:7]
	s_and_saveexec_b64 s[6:7], s[4:5]
	s_cbranch_execnz .LBB44_95
	s_branch .LBB44_96
.LBB44_2145:
	s_movk_i32 s4, 0x80
	v_cmp_eq_u16_sdwa s[12:13], v17, s4 src0_sel:BYTE_0 src1_sel:DWORD
	s_mov_b64 s[4:5], -1
                                        ; implicit-def: $sgpr10
	s_and_saveexec_b64 s[8:9], s[12:13]
; %bb.2146:
	s_mov_b32 s10, 0x7f800001
	s_xor_b64 s[4:5], exec, -1
; %bb.2147:
	s_or_b64 exec, exec, s[8:9]
	s_and_b64 s[4:5], s[4:5], exec
	s_or_saveexec_b64 s[6:7], s[6:7]
	v_mov_b32_e32 v10, s10
	s_xor_b64 exec, exec, s[6:7]
	s_cbranch_execz .LBB44_98
.LBB44_2148:
	v_mov_b32_e32 v10, 0
	v_cmp_ne_u16_sdwa s[8:9], v17, v10 src0_sel:BYTE_0 src1_sel:DWORD
	s_andn2_b64 s[4:5], s[4:5], exec
	s_and_b64 s[8:9], s[8:9], exec
	s_or_b64 s[4:5], s[4:5], s[8:9]
	s_or_b64 exec, exec, s[6:7]
	s_and_saveexec_b64 s[6:7], s[4:5]
	s_cbranch_execnz .LBB44_99
	s_branch .LBB44_100
.LBB44_2149:
	s_movk_i32 s4, 0x80
	v_cmp_eq_u16_sdwa s[12:13], v13, s4 src0_sel:BYTE_0 src1_sel:DWORD
	s_mov_b64 s[4:5], -1
                                        ; implicit-def: $sgpr10
	s_and_saveexec_b64 s[8:9], s[12:13]
; %bb.2150:
	s_mov_b32 s10, 0x7f800001
	s_xor_b64 s[4:5], exec, -1
; %bb.2151:
	s_or_b64 exec, exec, s[8:9]
	s_and_b64 s[4:5], s[4:5], exec
	s_or_saveexec_b64 s[6:7], s[6:7]
	v_mov_b32_e32 v11, s10
	s_xor_b64 exec, exec, s[6:7]
	s_cbranch_execz .LBB44_102
.LBB44_2152:
	v_mov_b32_e32 v11, 0
	v_cmp_ne_u16_sdwa s[8:9], v13, v11 src0_sel:BYTE_0 src1_sel:DWORD
	s_andn2_b64 s[4:5], s[4:5], exec
	s_and_b64 s[8:9], s[8:9], exec
	s_or_b64 s[4:5], s[4:5], s[8:9]
	s_or_b64 exec, exec, s[6:7]
	s_and_saveexec_b64 s[6:7], s[4:5]
	s_cbranch_execnz .LBB44_103
	s_branch .LBB44_104
.LBB44_2153:
	s_movk_i32 s4, 0x80
	v_cmp_eq_u16_sdwa s[12:13], v11, s4 src0_sel:BYTE_0 src1_sel:DWORD
	s_mov_b64 s[4:5], -1
                                        ; implicit-def: $sgpr10
	s_and_saveexec_b64 s[8:9], s[12:13]
; %bb.2154:
	s_mov_b32 s10, 0x7f800001
	s_xor_b64 s[4:5], exec, -1
; %bb.2155:
	s_or_b64 exec, exec, s[8:9]
	s_and_b64 s[4:5], s[4:5], exec
	s_or_saveexec_b64 s[6:7], s[6:7]
	v_mov_b32_e32 v10, s10
	s_xor_b64 exec, exec, s[6:7]
	s_cbranch_execz .LBB44_106
.LBB44_2156:
	v_mov_b32_e32 v10, 0
	v_cmp_ne_u16_sdwa s[8:9], v11, v10 src0_sel:BYTE_0 src1_sel:DWORD
	s_andn2_b64 s[4:5], s[4:5], exec
	s_and_b64 s[8:9], s[8:9], exec
	s_or_b64 s[4:5], s[4:5], s[8:9]
	s_or_b64 exec, exec, s[6:7]
	s_and_saveexec_b64 s[6:7], s[4:5]
	s_cbranch_execnz .LBB44_107
	s_branch .LBB44_108
.LBB44_2157:
	s_movk_i32 s4, 0x80
	v_cmp_eq_u16_sdwa s[12:13], v11, s4 src0_sel:BYTE_0 src1_sel:DWORD
	s_mov_b64 s[4:5], -1
                                        ; implicit-def: $sgpr10
	s_and_saveexec_b64 s[8:9], s[12:13]
; %bb.2158:
	s_mov_b32 s10, 0x7f800001
	s_xor_b64 s[4:5], exec, -1
; %bb.2159:
	s_or_b64 exec, exec, s[8:9]
	s_and_b64 s[4:5], s[4:5], exec
	s_or_saveexec_b64 s[6:7], s[6:7]
	v_mov_b32_e32 v12, s10
	s_xor_b64 exec, exec, s[6:7]
	s_cbranch_execz .LBB44_110
.LBB44_2160:
	v_mov_b32_e32 v12, 0
	v_cmp_ne_u16_sdwa s[8:9], v11, v12 src0_sel:BYTE_0 src1_sel:DWORD
	s_andn2_b64 s[4:5], s[4:5], exec
	s_and_b64 s[8:9], s[8:9], exec
	s_or_b64 s[4:5], s[4:5], s[8:9]
	s_or_b64 exec, exec, s[6:7]
	s_and_saveexec_b64 s[6:7], s[4:5]
	s_cbranch_execnz .LBB44_111
	s_branch .LBB44_112
.LBB44_2161:
	s_movk_i32 s4, 0x80
	v_cmp_eq_u16_e32 vcc, s4, v11
	s_mov_b64 s[4:5], -1
                                        ; implicit-def: $sgpr10
	s_and_saveexec_b64 s[8:9], vcc
; %bb.2162:
	s_mov_b32 s10, 0x7f800001
	s_xor_b64 s[4:5], exec, -1
; %bb.2163:
	s_or_b64 exec, exec, s[8:9]
	s_and_b64 s[4:5], s[4:5], exec
                                        ; implicit-def: $vgpr11
	s_or_saveexec_b64 s[6:7], s[6:7]
	v_mov_b32_e32 v10, s10
	s_xor_b64 exec, exec, s[6:7]
	s_cbranch_execz .LBB44_114
.LBB44_2164:
	v_cmp_ne_u16_e32 vcc, 0, v11
	s_andn2_b64 s[4:5], s[4:5], exec
	s_and_b64 s[8:9], vcc, exec
	v_mov_b32_e32 v10, 0
	s_or_b64 s[4:5], s[4:5], s[8:9]
	s_or_b64 exec, exec, s[6:7]
	s_and_saveexec_b64 s[6:7], s[4:5]
	s_cbranch_execnz .LBB44_115
	s_branch .LBB44_116
.LBB44_2165:
	s_movk_i32 s4, 0x80
	v_cmp_eq_u16_e32 vcc, s4, v11
	s_mov_b64 s[4:5], -1
                                        ; implicit-def: $sgpr10
	s_and_saveexec_b64 s[8:9], vcc
; %bb.2166:
	s_mov_b32 s10, 0x7f800001
	s_xor_b64 s[4:5], exec, -1
; %bb.2167:
	s_or_b64 exec, exec, s[8:9]
	s_and_b64 s[4:5], s[4:5], exec
                                        ; implicit-def: $vgpr11
	s_or_saveexec_b64 s[6:7], s[6:7]
	v_mov_b32_e32 v12, s10
	s_xor_b64 exec, exec, s[6:7]
	s_cbranch_execz .LBB44_118
.LBB44_2168:
	v_cmp_ne_u16_e32 vcc, 0, v11
	s_andn2_b64 s[4:5], s[4:5], exec
	s_and_b64 s[8:9], vcc, exec
	v_mov_b32_e32 v12, 0
	s_or_b64 s[4:5], s[4:5], s[8:9]
	s_or_b64 exec, exec, s[6:7]
	s_and_saveexec_b64 s[6:7], s[4:5]
	s_cbranch_execnz .LBB44_119
	s_branch .LBB44_120
.LBB44_2169:
	s_movk_i32 s4, 0x80
	v_cmp_eq_u16_sdwa s[12:13], v17, s4 src0_sel:BYTE_3 src1_sel:DWORD
	s_mov_b64 s[4:5], -1
                                        ; implicit-def: $sgpr10
	s_and_saveexec_b64 s[8:9], s[12:13]
; %bb.2170:
	s_mov_b32 s10, 0x7f800001
	s_xor_b64 s[4:5], exec, -1
; %bb.2171:
	s_or_b64 exec, exec, s[8:9]
	s_and_b64 s[4:5], s[4:5], exec
	s_or_saveexec_b64 s[6:7], s[6:7]
	v_mov_b32_e32 v10, s10
	s_xor_b64 exec, exec, s[6:7]
	s_cbranch_execz .LBB44_122
.LBB44_2172:
	v_mov_b32_e32 v10, 0
	v_cmp_ne_u16_sdwa s[8:9], v17, v10 src0_sel:BYTE_3 src1_sel:DWORD
	s_andn2_b64 s[4:5], s[4:5], exec
	s_and_b64 s[8:9], s[8:9], exec
	s_or_b64 s[4:5], s[4:5], s[8:9]
	s_or_b64 exec, exec, s[6:7]
	s_and_saveexec_b64 s[6:7], s[4:5]
	s_cbranch_execnz .LBB44_123
	s_branch .LBB44_124
.LBB44_2173:
	s_movk_i32 s4, 0x80
	v_cmp_eq_u16_sdwa s[12:13], v13, s4 src0_sel:BYTE_3 src1_sel:DWORD
	s_mov_b64 s[4:5], -1
                                        ; implicit-def: $sgpr10
	s_and_saveexec_b64 s[8:9], s[12:13]
; %bb.2174:
	s_mov_b32 s10, 0x7f800001
	s_xor_b64 s[4:5], exec, -1
; %bb.2175:
	s_or_b64 exec, exec, s[8:9]
	s_and_b64 s[4:5], s[4:5], exec
	s_or_saveexec_b64 s[6:7], s[6:7]
	v_mov_b32_e32 v11, s10
	s_xor_b64 exec, exec, s[6:7]
	s_cbranch_execz .LBB44_126
.LBB44_2176:
	v_mov_b32_e32 v11, 0
	v_cmp_ne_u16_sdwa s[8:9], v13, v11 src0_sel:BYTE_3 src1_sel:DWORD
	s_andn2_b64 s[4:5], s[4:5], exec
	s_and_b64 s[8:9], s[8:9], exec
	s_or_b64 s[4:5], s[4:5], s[8:9]
	s_or_b64 exec, exec, s[6:7]
	s_and_saveexec_b64 s[6:7], s[4:5]
	s_cbranch_execnz .LBB44_127
	s_branch .LBB44_128
.LBB44_2177:
	s_movk_i32 s4, 0x80
	v_cmp_eq_u16_sdwa s[12:13], v6, s4 src0_sel:BYTE_0 src1_sel:DWORD
	s_mov_b64 s[4:5], -1
                                        ; implicit-def: $sgpr10
	s_and_saveexec_b64 s[8:9], s[12:13]
; %bb.2178:
	s_mov_b32 s10, 0x7f800001
	s_xor_b64 s[4:5], exec, -1
; %bb.2179:
	s_or_b64 exec, exec, s[8:9]
	s_and_b64 s[4:5], s[4:5], exec
	s_or_saveexec_b64 s[6:7], s[6:7]
	v_mov_b32_e32 v10, s10
	s_xor_b64 exec, exec, s[6:7]
	s_cbranch_execz .LBB44_130
.LBB44_2180:
	v_mov_b32_e32 v10, 0
	v_cmp_ne_u16_sdwa s[8:9], v6, v10 src0_sel:BYTE_0 src1_sel:DWORD
	s_andn2_b64 s[4:5], s[4:5], exec
	s_and_b64 s[8:9], s[8:9], exec
	s_or_b64 s[4:5], s[4:5], s[8:9]
	s_or_b64 exec, exec, s[6:7]
	s_and_saveexec_b64 s[6:7], s[4:5]
	s_cbranch_execnz .LBB44_131
	s_branch .LBB44_132
.LBB44_2181:
	s_movk_i32 s4, 0x80
	v_cmp_eq_u16_sdwa s[12:13], v2, s4 src0_sel:BYTE_0 src1_sel:DWORD
	s_mov_b64 s[4:5], -1
                                        ; implicit-def: $sgpr10
	s_and_saveexec_b64 s[8:9], s[12:13]
; %bb.2182:
	s_mov_b32 s10, 0x7f800001
	s_xor_b64 s[4:5], exec, -1
; %bb.2183:
	s_or_b64 exec, exec, s[8:9]
	s_and_b64 s[4:5], s[4:5], exec
	s_or_saveexec_b64 s[6:7], s[6:7]
	v_mov_b32_e32 v11, s10
	s_xor_b64 exec, exec, s[6:7]
	s_cbranch_execz .LBB44_134
.LBB44_2184:
	v_mov_b32_e32 v11, 0
	v_cmp_ne_u16_sdwa s[8:9], v2, v11 src0_sel:BYTE_0 src1_sel:DWORD
	s_andn2_b64 s[4:5], s[4:5], exec
	s_and_b64 s[8:9], s[8:9], exec
	s_or_b64 s[4:5], s[4:5], s[8:9]
	s_or_b64 exec, exec, s[6:7]
	s_and_saveexec_b64 s[6:7], s[4:5]
	s_cbranch_execnz .LBB44_135
	s_branch .LBB44_136
.LBB44_2185:
	s_movk_i32 s4, 0x80
	v_cmp_eq_u16_sdwa s[12:13], v11, s4 src0_sel:BYTE_0 src1_sel:DWORD
	s_mov_b64 s[4:5], -1
                                        ; implicit-def: $sgpr10
	s_and_saveexec_b64 s[8:9], s[12:13]
; %bb.2186:
	s_mov_b32 s10, 0x7f800001
	s_xor_b64 s[4:5], exec, -1
; %bb.2187:
	s_or_b64 exec, exec, s[8:9]
	s_and_b64 s[4:5], s[4:5], exec
	s_or_saveexec_b64 s[6:7], s[6:7]
	v_mov_b32_e32 v10, s10
	s_xor_b64 exec, exec, s[6:7]
	s_cbranch_execz .LBB44_138
.LBB44_2188:
	v_mov_b32_e32 v10, 0
	v_cmp_ne_u16_sdwa s[8:9], v11, v10 src0_sel:BYTE_0 src1_sel:DWORD
	s_andn2_b64 s[4:5], s[4:5], exec
	s_and_b64 s[8:9], s[8:9], exec
	s_or_b64 s[4:5], s[4:5], s[8:9]
	s_or_b64 exec, exec, s[6:7]
	s_and_saveexec_b64 s[6:7], s[4:5]
	s_cbranch_execnz .LBB44_139
	s_branch .LBB44_140
.LBB44_2189:
	s_movk_i32 s4, 0x80
	v_cmp_eq_u16_sdwa s[12:13], v11, s4 src0_sel:BYTE_0 src1_sel:DWORD
	s_mov_b64 s[4:5], -1
                                        ; implicit-def: $sgpr10
	s_and_saveexec_b64 s[8:9], s[12:13]
; %bb.2190:
	s_mov_b32 s10, 0x7f800001
	s_xor_b64 s[4:5], exec, -1
; %bb.2191:
	s_or_b64 exec, exec, s[8:9]
	s_and_b64 s[4:5], s[4:5], exec
	s_or_saveexec_b64 s[6:7], s[6:7]
	v_mov_b32_e32 v12, s10
	s_xor_b64 exec, exec, s[6:7]
	s_cbranch_execz .LBB44_142
.LBB44_2192:
	v_mov_b32_e32 v12, 0
	v_cmp_ne_u16_sdwa s[8:9], v11, v12 src0_sel:BYTE_0 src1_sel:DWORD
	s_andn2_b64 s[4:5], s[4:5], exec
	s_and_b64 s[8:9], s[8:9], exec
	s_or_b64 s[4:5], s[4:5], s[8:9]
	s_or_b64 exec, exec, s[6:7]
	s_and_saveexec_b64 s[6:7], s[4:5]
	s_cbranch_execnz .LBB44_143
	s_branch .LBB44_144
.LBB44_2193:
	s_movk_i32 s4, 0x80
	v_cmp_eq_u16_e32 vcc, s4, v11
	s_mov_b64 s[4:5], -1
                                        ; implicit-def: $sgpr10
	s_and_saveexec_b64 s[8:9], vcc
; %bb.2194:
	s_mov_b32 s10, 0x7f800001
	s_xor_b64 s[4:5], exec, -1
; %bb.2195:
	s_or_b64 exec, exec, s[8:9]
	s_and_b64 s[4:5], s[4:5], exec
                                        ; implicit-def: $vgpr11
	s_or_saveexec_b64 s[6:7], s[6:7]
	v_mov_b32_e32 v10, s10
	s_xor_b64 exec, exec, s[6:7]
	s_cbranch_execz .LBB44_146
.LBB44_2196:
	v_cmp_ne_u16_e32 vcc, 0, v11
	s_andn2_b64 s[4:5], s[4:5], exec
	s_and_b64 s[8:9], vcc, exec
	v_mov_b32_e32 v10, 0
	s_or_b64 s[4:5], s[4:5], s[8:9]
	s_or_b64 exec, exec, s[6:7]
	s_and_saveexec_b64 s[6:7], s[4:5]
	s_cbranch_execnz .LBB44_147
	s_branch .LBB44_148
.LBB44_2197:
	s_movk_i32 s4, 0x80
	v_cmp_eq_u16_e32 vcc, s4, v11
	s_mov_b64 s[4:5], -1
                                        ; implicit-def: $sgpr10
	s_and_saveexec_b64 s[8:9], vcc
; %bb.2198:
	s_mov_b32 s10, 0x7f800001
	s_xor_b64 s[4:5], exec, -1
; %bb.2199:
	s_or_b64 exec, exec, s[8:9]
	s_and_b64 s[4:5], s[4:5], exec
                                        ; implicit-def: $vgpr11
	s_or_saveexec_b64 s[6:7], s[6:7]
	v_mov_b32_e32 v12, s10
	s_xor_b64 exec, exec, s[6:7]
	s_cbranch_execz .LBB44_150
.LBB44_2200:
	v_cmp_ne_u16_e32 vcc, 0, v11
	s_andn2_b64 s[4:5], s[4:5], exec
	s_and_b64 s[8:9], vcc, exec
	v_mov_b32_e32 v12, 0
	s_or_b64 s[4:5], s[4:5], s[8:9]
	s_or_b64 exec, exec, s[6:7]
	s_and_saveexec_b64 s[6:7], s[4:5]
	s_cbranch_execnz .LBB44_151
	s_branch .LBB44_152
.LBB44_2201:
	s_movk_i32 s4, 0x80
	v_cmp_eq_u16_sdwa s[12:13], v6, s4 src0_sel:BYTE_3 src1_sel:DWORD
	s_mov_b64 s[4:5], -1
                                        ; implicit-def: $sgpr10
	s_and_saveexec_b64 s[8:9], s[12:13]
; %bb.2202:
	s_mov_b32 s10, 0x7f800001
	s_xor_b64 s[4:5], exec, -1
; %bb.2203:
	s_or_b64 exec, exec, s[8:9]
	s_and_b64 s[4:5], s[4:5], exec
	s_or_saveexec_b64 s[6:7], s[6:7]
	v_mov_b32_e32 v10, s10
	s_xor_b64 exec, exec, s[6:7]
	s_cbranch_execz .LBB44_154
.LBB44_2204:
	v_mov_b32_e32 v10, 0
	v_cmp_ne_u16_sdwa s[8:9], v6, v10 src0_sel:BYTE_3 src1_sel:DWORD
	s_andn2_b64 s[4:5], s[4:5], exec
	s_and_b64 s[8:9], s[8:9], exec
	s_or_b64 s[4:5], s[4:5], s[8:9]
	s_or_b64 exec, exec, s[6:7]
	s_and_saveexec_b64 s[6:7], s[4:5]
	s_cbranch_execnz .LBB44_155
	s_branch .LBB44_156
.LBB44_2205:
	s_movk_i32 s4, 0x80
	v_cmp_eq_u16_sdwa s[12:13], v2, s4 src0_sel:BYTE_3 src1_sel:DWORD
	s_mov_b64 s[4:5], -1
                                        ; implicit-def: $sgpr10
	s_and_saveexec_b64 s[8:9], s[12:13]
; %bb.2206:
	s_mov_b32 s10, 0x7f800001
	s_xor_b64 s[4:5], exec, -1
; %bb.2207:
	s_or_b64 exec, exec, s[8:9]
	s_and_b64 s[4:5], s[4:5], exec
	s_or_saveexec_b64 s[6:7], s[6:7]
	v_mov_b32_e32 v6, s10
	s_xor_b64 exec, exec, s[6:7]
	s_cbranch_execz .LBB44_158
.LBB44_2208:
	v_mov_b32_e32 v6, 0
	v_cmp_ne_u16_sdwa s[8:9], v2, v6 src0_sel:BYTE_3 src1_sel:DWORD
	s_andn2_b64 s[4:5], s[4:5], exec
	s_and_b64 s[8:9], s[8:9], exec
	s_or_b64 s[4:5], s[4:5], s[8:9]
	s_or_b64 exec, exec, s[6:7]
	s_and_saveexec_b64 s[6:7], s[4:5]
	s_cbranch_execnz .LBB44_159
	s_branch .LBB44_160
.LBB44_2209:
	s_movk_i32 s4, 0x80
	v_cmp_eq_u16_sdwa s[12:13], v7, s4 src0_sel:BYTE_0 src1_sel:DWORD
	s_mov_b64 s[4:5], -1
                                        ; implicit-def: $sgpr10
	s_and_saveexec_b64 s[8:9], s[12:13]
; %bb.2210:
	s_mov_b32 s10, 0x7f800001
	s_xor_b64 s[4:5], exec, -1
; %bb.2211:
	s_or_b64 exec, exec, s[8:9]
	s_and_b64 s[4:5], s[4:5], exec
	s_or_saveexec_b64 s[6:7], s[6:7]
	v_mov_b32_e32 v2, s10
	s_xor_b64 exec, exec, s[6:7]
	s_cbranch_execz .LBB44_162
.LBB44_2212:
	v_mov_b32_e32 v2, 0
	v_cmp_ne_u16_sdwa s[8:9], v7, v2 src0_sel:BYTE_0 src1_sel:DWORD
	s_andn2_b64 s[4:5], s[4:5], exec
	s_and_b64 s[8:9], s[8:9], exec
	s_or_b64 s[4:5], s[4:5], s[8:9]
	s_or_b64 exec, exec, s[6:7]
	s_and_saveexec_b64 s[6:7], s[4:5]
	s_cbranch_execnz .LBB44_163
	s_branch .LBB44_164
.LBB44_2213:
	s_movk_i32 s4, 0x80
	v_cmp_eq_u16_sdwa s[12:13], v3, s4 src0_sel:BYTE_0 src1_sel:DWORD
	s_mov_b64 s[4:5], -1
                                        ; implicit-def: $sgpr10
	s_and_saveexec_b64 s[8:9], s[12:13]
; %bb.2214:
	s_mov_b32 s10, 0x7f800001
	s_xor_b64 s[4:5], exec, -1
; %bb.2215:
	s_or_b64 exec, exec, s[8:9]
	s_and_b64 s[4:5], s[4:5], exec
	s_or_saveexec_b64 s[6:7], s[6:7]
	v_mov_b32_e32 v6, s10
	s_xor_b64 exec, exec, s[6:7]
	s_cbranch_execz .LBB44_166
.LBB44_2216:
	v_mov_b32_e32 v6, 0
	v_cmp_ne_u16_sdwa s[8:9], v3, v6 src0_sel:BYTE_0 src1_sel:DWORD
	s_andn2_b64 s[4:5], s[4:5], exec
	s_and_b64 s[8:9], s[8:9], exec
	s_or_b64 s[4:5], s[4:5], s[8:9]
	s_or_b64 exec, exec, s[6:7]
	s_and_saveexec_b64 s[6:7], s[4:5]
	s_cbranch_execnz .LBB44_167
	s_branch .LBB44_168
.LBB44_2217:
	s_movk_i32 s4, 0x80
	v_cmp_eq_u16_sdwa s[12:13], v6, s4 src0_sel:BYTE_0 src1_sel:DWORD
	s_mov_b64 s[4:5], -1
                                        ; implicit-def: $sgpr10
	s_and_saveexec_b64 s[8:9], s[12:13]
; %bb.2218:
	s_mov_b32 s10, 0x7f800001
	s_xor_b64 s[4:5], exec, -1
; %bb.2219:
	s_or_b64 exec, exec, s[8:9]
	s_and_b64 s[4:5], s[4:5], exec
	s_or_saveexec_b64 s[6:7], s[6:7]
	v_mov_b32_e32 v2, s10
	s_xor_b64 exec, exec, s[6:7]
	s_cbranch_execz .LBB44_170
.LBB44_2220:
	v_mov_b32_e32 v2, 0
	v_cmp_ne_u16_sdwa s[8:9], v6, v2 src0_sel:BYTE_0 src1_sel:DWORD
	s_andn2_b64 s[4:5], s[4:5], exec
	s_and_b64 s[8:9], s[8:9], exec
	s_or_b64 s[4:5], s[4:5], s[8:9]
	s_or_b64 exec, exec, s[6:7]
	s_and_saveexec_b64 s[6:7], s[4:5]
	s_cbranch_execnz .LBB44_171
	s_branch .LBB44_172
.LBB44_2221:
	s_movk_i32 s4, 0x80
	v_cmp_eq_u16_sdwa s[12:13], v6, s4 src0_sel:BYTE_0 src1_sel:DWORD
	s_mov_b64 s[4:5], -1
                                        ; implicit-def: $sgpr10
	s_and_saveexec_b64 s[8:9], s[12:13]
; %bb.2222:
	s_mov_b32 s10, 0x7f800001
	s_xor_b64 s[4:5], exec, -1
; %bb.2223:
	s_or_b64 exec, exec, s[8:9]
	s_and_b64 s[4:5], s[4:5], exec
	s_or_saveexec_b64 s[6:7], s[6:7]
	v_mov_b32_e32 v10, s10
	s_xor_b64 exec, exec, s[6:7]
	s_cbranch_execz .LBB44_174
.LBB44_2224:
	v_mov_b32_e32 v10, 0
	v_cmp_ne_u16_sdwa s[8:9], v6, v10 src0_sel:BYTE_0 src1_sel:DWORD
	s_andn2_b64 s[4:5], s[4:5], exec
	s_and_b64 s[8:9], s[8:9], exec
	s_or_b64 s[4:5], s[4:5], s[8:9]
	s_or_b64 exec, exec, s[6:7]
	s_and_saveexec_b64 s[6:7], s[4:5]
	s_cbranch_execnz .LBB44_175
	s_branch .LBB44_176
.LBB44_2225:
	s_movk_i32 s4, 0x80
	v_cmp_eq_u16_e32 vcc, s4, v6
	s_mov_b64 s[4:5], -1
                                        ; implicit-def: $sgpr10
	s_and_saveexec_b64 s[8:9], vcc
; %bb.2226:
	s_mov_b32 s10, 0x7f800001
	s_xor_b64 s[4:5], exec, -1
; %bb.2227:
	s_or_b64 exec, exec, s[8:9]
	s_and_b64 s[4:5], s[4:5], exec
                                        ; implicit-def: $vgpr6
	s_or_saveexec_b64 s[6:7], s[6:7]
	v_mov_b32_e32 v2, s10
	s_xor_b64 exec, exec, s[6:7]
	s_cbranch_execz .LBB44_178
.LBB44_2228:
	v_cmp_ne_u16_e32 vcc, 0, v6
	s_andn2_b64 s[4:5], s[4:5], exec
	s_and_b64 s[8:9], vcc, exec
	v_mov_b32_e32 v2, 0
	s_or_b64 s[4:5], s[4:5], s[8:9]
	s_or_b64 exec, exec, s[6:7]
	s_and_saveexec_b64 s[6:7], s[4:5]
	s_cbranch_execnz .LBB44_179
	s_branch .LBB44_180
.LBB44_2229:
	s_movk_i32 s4, 0x80
	v_cmp_eq_u16_e32 vcc, s4, v6
	s_mov_b64 s[4:5], -1
                                        ; implicit-def: $sgpr10
	s_and_saveexec_b64 s[8:9], vcc
; %bb.2230:
	s_mov_b32 s10, 0x7f800001
	s_xor_b64 s[4:5], exec, -1
; %bb.2231:
	s_or_b64 exec, exec, s[8:9]
	s_and_b64 s[4:5], s[4:5], exec
                                        ; implicit-def: $vgpr6
	s_or_saveexec_b64 s[6:7], s[6:7]
	v_mov_b32_e32 v10, s10
	s_xor_b64 exec, exec, s[6:7]
	s_cbranch_execz .LBB44_182
.LBB44_2232:
	v_cmp_ne_u16_e32 vcc, 0, v6
	s_andn2_b64 s[4:5], s[4:5], exec
	s_and_b64 s[8:9], vcc, exec
	v_mov_b32_e32 v10, 0
	s_or_b64 s[4:5], s[4:5], s[8:9]
	s_or_b64 exec, exec, s[6:7]
	s_and_saveexec_b64 s[6:7], s[4:5]
	s_cbranch_execnz .LBB44_183
	s_branch .LBB44_184
.LBB44_2233:
	s_movk_i32 s4, 0x80
	v_cmp_eq_u16_sdwa s[12:13], v7, s4 src0_sel:BYTE_3 src1_sel:DWORD
	s_mov_b64 s[4:5], -1
                                        ; implicit-def: $sgpr10
	s_and_saveexec_b64 s[8:9], s[12:13]
; %bb.2234:
	s_mov_b32 s10, 0x7f800001
	s_xor_b64 s[4:5], exec, -1
; %bb.2235:
	s_or_b64 exec, exec, s[8:9]
	s_and_b64 s[4:5], s[4:5], exec
	s_or_saveexec_b64 s[6:7], s[6:7]
	v_mov_b32_e32 v2, s10
	s_xor_b64 exec, exec, s[6:7]
	s_cbranch_execz .LBB44_186
.LBB44_2236:
	v_mov_b32_e32 v2, 0
	v_cmp_ne_u16_sdwa s[8:9], v7, v2 src0_sel:BYTE_3 src1_sel:DWORD
	s_andn2_b64 s[4:5], s[4:5], exec
	s_and_b64 s[8:9], s[8:9], exec
	s_or_b64 s[4:5], s[4:5], s[8:9]
	s_or_b64 exec, exec, s[6:7]
	s_and_saveexec_b64 s[6:7], s[4:5]
	s_cbranch_execnz .LBB44_187
	s_branch .LBB44_188
.LBB44_2237:
	s_movk_i32 s4, 0x80
	v_cmp_eq_u16_sdwa s[12:13], v3, s4 src0_sel:BYTE_3 src1_sel:DWORD
	s_mov_b64 s[4:5], -1
                                        ; implicit-def: $sgpr10
	s_and_saveexec_b64 s[8:9], s[12:13]
; %bb.2238:
	s_mov_b32 s10, 0x7f800001
	s_xor_b64 s[4:5], exec, -1
; %bb.2239:
	s_or_b64 exec, exec, s[8:9]
	s_and_b64 s[4:5], s[4:5], exec
	s_or_saveexec_b64 s[6:7], s[6:7]
	v_mov_b32_e32 v6, s10
	s_xor_b64 exec, exec, s[6:7]
	s_cbranch_execz .LBB44_190
.LBB44_2240:
	v_mov_b32_e32 v6, 0
	v_cmp_ne_u16_sdwa s[8:9], v3, v6 src0_sel:BYTE_3 src1_sel:DWORD
	s_andn2_b64 s[4:5], s[4:5], exec
	s_and_b64 s[8:9], s[8:9], exec
	s_or_b64 s[4:5], s[4:5], s[8:9]
	s_or_b64 exec, exec, s[6:7]
	s_and_saveexec_b64 s[6:7], s[4:5]
	s_cbranch_execnz .LBB44_191
	s_branch .LBB44_192
.LBB44_2241:
	s_movk_i32 s4, 0x80
	v_cmp_eq_u16_sdwa s[12:13], v8, s4 src0_sel:BYTE_0 src1_sel:DWORD
	s_mov_b64 s[4:5], -1
                                        ; implicit-def: $sgpr10
	s_and_saveexec_b64 s[8:9], s[12:13]
; %bb.2242:
	s_mov_b32 s10, 0x7f800001
	s_xor_b64 s[4:5], exec, -1
; %bb.2243:
	s_or_b64 exec, exec, s[8:9]
	s_and_b64 s[4:5], s[4:5], exec
	s_or_saveexec_b64 s[6:7], s[6:7]
	v_mov_b32_e32 v2, s10
	s_xor_b64 exec, exec, s[6:7]
	s_cbranch_execz .LBB44_194
.LBB44_2244:
	v_mov_b32_e32 v2, 0
	v_cmp_ne_u16_sdwa s[8:9], v8, v2 src0_sel:BYTE_0 src1_sel:DWORD
	s_andn2_b64 s[4:5], s[4:5], exec
	s_and_b64 s[8:9], s[8:9], exec
	s_or_b64 s[4:5], s[4:5], s[8:9]
	s_or_b64 exec, exec, s[6:7]
	s_and_saveexec_b64 s[6:7], s[4:5]
	s_cbranch_execnz .LBB44_195
	s_branch .LBB44_196
.LBB44_2245:
	s_movk_i32 s4, 0x80
	v_cmp_eq_u16_sdwa s[12:13], v4, s4 src0_sel:BYTE_0 src1_sel:DWORD
	s_mov_b64 s[4:5], -1
                                        ; implicit-def: $sgpr10
	s_and_saveexec_b64 s[8:9], s[12:13]
; %bb.2246:
	s_mov_b32 s10, 0x7f800001
	s_xor_b64 s[4:5], exec, -1
; %bb.2247:
	s_or_b64 exec, exec, s[8:9]
	s_and_b64 s[4:5], s[4:5], exec
	s_or_saveexec_b64 s[6:7], s[6:7]
	v_mov_b32_e32 v3, s10
	s_xor_b64 exec, exec, s[6:7]
	s_cbranch_execz .LBB44_198
.LBB44_2248:
	v_mov_b32_e32 v3, 0
	v_cmp_ne_u16_sdwa s[8:9], v4, v3 src0_sel:BYTE_0 src1_sel:DWORD
	s_andn2_b64 s[4:5], s[4:5], exec
	s_and_b64 s[8:9], s[8:9], exec
	s_or_b64 s[4:5], s[4:5], s[8:9]
	s_or_b64 exec, exec, s[6:7]
	s_and_saveexec_b64 s[6:7], s[4:5]
	s_cbranch_execnz .LBB44_199
	s_branch .LBB44_200
.LBB44_2249:
	s_movk_i32 s4, 0x80
	v_cmp_eq_u16_sdwa s[12:13], v3, s4 src0_sel:BYTE_0 src1_sel:DWORD
	s_mov_b64 s[4:5], -1
                                        ; implicit-def: $sgpr10
	s_and_saveexec_b64 s[8:9], s[12:13]
; %bb.2250:
	s_mov_b32 s10, 0x7f800001
	s_xor_b64 s[4:5], exec, -1
; %bb.2251:
	s_or_b64 exec, exec, s[8:9]
	s_and_b64 s[4:5], s[4:5], exec
	s_or_saveexec_b64 s[6:7], s[6:7]
	v_mov_b32_e32 v2, s10
	s_xor_b64 exec, exec, s[6:7]
	s_cbranch_execz .LBB44_202
.LBB44_2252:
	v_mov_b32_e32 v2, 0
	v_cmp_ne_u16_sdwa s[8:9], v3, v2 src0_sel:BYTE_0 src1_sel:DWORD
	s_andn2_b64 s[4:5], s[4:5], exec
	s_and_b64 s[8:9], s[8:9], exec
	s_or_b64 s[4:5], s[4:5], s[8:9]
	s_or_b64 exec, exec, s[6:7]
	s_and_saveexec_b64 s[6:7], s[4:5]
	s_cbranch_execnz .LBB44_203
	s_branch .LBB44_204
.LBB44_2253:
	s_movk_i32 s4, 0x80
	v_cmp_eq_u16_sdwa s[12:13], v3, s4 src0_sel:BYTE_0 src1_sel:DWORD
	s_mov_b64 s[4:5], -1
                                        ; implicit-def: $sgpr10
	s_and_saveexec_b64 s[8:9], s[12:13]
; %bb.2254:
	s_mov_b32 s10, 0x7f800001
	s_xor_b64 s[4:5], exec, -1
; %bb.2255:
	s_or_b64 exec, exec, s[8:9]
	s_and_b64 s[4:5], s[4:5], exec
	s_or_saveexec_b64 s[6:7], s[6:7]
	v_mov_b32_e32 v6, s10
	s_xor_b64 exec, exec, s[6:7]
	s_cbranch_execz .LBB44_206
.LBB44_2256:
	v_mov_b32_e32 v6, 0
	v_cmp_ne_u16_sdwa s[8:9], v3, v6 src0_sel:BYTE_0 src1_sel:DWORD
	s_andn2_b64 s[4:5], s[4:5], exec
	s_and_b64 s[8:9], s[8:9], exec
	s_or_b64 s[4:5], s[4:5], s[8:9]
	s_or_b64 exec, exec, s[6:7]
	s_and_saveexec_b64 s[6:7], s[4:5]
	s_cbranch_execnz .LBB44_207
	s_branch .LBB44_208
.LBB44_2257:
	s_movk_i32 s4, 0x80
	v_cmp_eq_u16_e32 vcc, s4, v3
	s_mov_b64 s[4:5], -1
                                        ; implicit-def: $sgpr10
	s_and_saveexec_b64 s[8:9], vcc
; %bb.2258:
	s_mov_b32 s10, 0x7f800001
	s_xor_b64 s[4:5], exec, -1
; %bb.2259:
	s_or_b64 exec, exec, s[8:9]
	s_and_b64 s[4:5], s[4:5], exec
                                        ; implicit-def: $vgpr3
	s_or_saveexec_b64 s[6:7], s[6:7]
	v_mov_b32_e32 v2, s10
	s_xor_b64 exec, exec, s[6:7]
	s_cbranch_execz .LBB44_210
.LBB44_2260:
	v_cmp_ne_u16_e32 vcc, 0, v3
	s_andn2_b64 s[4:5], s[4:5], exec
	s_and_b64 s[8:9], vcc, exec
	v_mov_b32_e32 v2, 0
	s_or_b64 s[4:5], s[4:5], s[8:9]
	s_or_b64 exec, exec, s[6:7]
	s_and_saveexec_b64 s[6:7], s[4:5]
	s_cbranch_execnz .LBB44_211
	s_branch .LBB44_212
.LBB44_2261:
	s_movk_i32 s4, 0x80
	v_cmp_eq_u16_e32 vcc, s4, v3
	s_mov_b64 s[4:5], -1
                                        ; implicit-def: $sgpr10
	s_and_saveexec_b64 s[8:9], vcc
; %bb.2262:
	s_mov_b32 s10, 0x7f800001
	s_xor_b64 s[4:5], exec, -1
; %bb.2263:
	s_or_b64 exec, exec, s[8:9]
	s_and_b64 s[4:5], s[4:5], exec
                                        ; implicit-def: $vgpr3
	s_or_saveexec_b64 s[6:7], s[6:7]
	v_mov_b32_e32 v6, s10
	s_xor_b64 exec, exec, s[6:7]
	s_cbranch_execz .LBB44_214
.LBB44_2264:
	v_cmp_ne_u16_e32 vcc, 0, v3
	s_andn2_b64 s[4:5], s[4:5], exec
	s_and_b64 s[8:9], vcc, exec
	v_mov_b32_e32 v6, 0
	s_or_b64 s[4:5], s[4:5], s[8:9]
	s_or_b64 exec, exec, s[6:7]
	s_and_saveexec_b64 s[6:7], s[4:5]
	s_cbranch_execnz .LBB44_215
	s_branch .LBB44_216
.LBB44_2265:
	s_movk_i32 s4, 0x80
	v_cmp_eq_u16_sdwa s[12:13], v8, s4 src0_sel:BYTE_3 src1_sel:DWORD
	s_mov_b64 s[4:5], -1
                                        ; implicit-def: $sgpr10
	s_and_saveexec_b64 s[8:9], s[12:13]
; %bb.2266:
	s_mov_b32 s10, 0x7f800001
	s_xor_b64 s[4:5], exec, -1
; %bb.2267:
	s_or_b64 exec, exec, s[8:9]
	s_and_b64 s[4:5], s[4:5], exec
	s_or_saveexec_b64 s[6:7], s[6:7]
	v_mov_b32_e32 v2, s10
	s_xor_b64 exec, exec, s[6:7]
	s_cbranch_execz .LBB44_218
.LBB44_2268:
	v_mov_b32_e32 v2, 0
	v_cmp_ne_u16_sdwa s[8:9], v8, v2 src0_sel:BYTE_3 src1_sel:DWORD
	s_andn2_b64 s[4:5], s[4:5], exec
	s_and_b64 s[8:9], s[8:9], exec
	s_or_b64 s[4:5], s[4:5], s[8:9]
	s_or_b64 exec, exec, s[6:7]
	s_and_saveexec_b64 s[6:7], s[4:5]
	s_cbranch_execnz .LBB44_219
	s_branch .LBB44_220
.LBB44_2269:
	s_movk_i32 s4, 0x80
	v_cmp_eq_u16_sdwa s[12:13], v4, s4 src0_sel:BYTE_3 src1_sel:DWORD
	s_mov_b64 s[4:5], -1
                                        ; implicit-def: $sgpr10
	s_and_saveexec_b64 s[8:9], s[12:13]
; %bb.2270:
	s_mov_b32 s10, 0x7f800001
	s_xor_b64 s[4:5], exec, -1
; %bb.2271:
	s_or_b64 exec, exec, s[8:9]
	s_and_b64 s[4:5], s[4:5], exec
	s_or_saveexec_b64 s[6:7], s[6:7]
	v_mov_b32_e32 v3, s10
	s_xor_b64 exec, exec, s[6:7]
	s_cbranch_execz .LBB44_222
.LBB44_2272:
	v_mov_b32_e32 v3, 0
	v_cmp_ne_u16_sdwa s[8:9], v4, v3 src0_sel:BYTE_3 src1_sel:DWORD
	s_andn2_b64 s[4:5], s[4:5], exec
	s_and_b64 s[8:9], s[8:9], exec
	s_or_b64 s[4:5], s[4:5], s[8:9]
	s_or_b64 exec, exec, s[6:7]
	s_and_saveexec_b64 s[6:7], s[4:5]
	s_cbranch_execnz .LBB44_223
	s_branch .LBB44_224
.LBB44_2273:
	s_movk_i32 s4, 0x80
	v_cmp_eq_u16_sdwa s[12:13], v9, s4 src0_sel:BYTE_0 src1_sel:DWORD
	s_mov_b64 s[4:5], -1
                                        ; implicit-def: $sgpr10
	s_and_saveexec_b64 s[8:9], s[12:13]
; %bb.2274:
	s_mov_b32 s10, 0x7f800001
	s_xor_b64 s[4:5], exec, -1
; %bb.2275:
	s_or_b64 exec, exec, s[8:9]
	s_and_b64 s[4:5], s[4:5], exec
	s_or_saveexec_b64 s[6:7], s[6:7]
	v_mov_b32_e32 v2, s10
	s_xor_b64 exec, exec, s[6:7]
	s_cbranch_execz .LBB44_226
.LBB44_2276:
	v_mov_b32_e32 v2, 0
	v_cmp_ne_u16_sdwa s[8:9], v9, v2 src0_sel:BYTE_0 src1_sel:DWORD
	s_andn2_b64 s[4:5], s[4:5], exec
	s_and_b64 s[8:9], s[8:9], exec
	s_or_b64 s[4:5], s[4:5], s[8:9]
	s_or_b64 exec, exec, s[6:7]
	s_and_saveexec_b64 s[6:7], s[4:5]
	s_cbranch_execnz .LBB44_227
	s_branch .LBB44_228
.LBB44_2277:
	s_movk_i32 s4, 0x80
	v_cmp_eq_u16_sdwa s[12:13], v5, s4 src0_sel:BYTE_0 src1_sel:DWORD
	s_mov_b64 s[4:5], -1
                                        ; implicit-def: $sgpr10
	s_and_saveexec_b64 s[8:9], s[12:13]
; %bb.2278:
	s_mov_b32 s10, 0x7f800001
	s_xor_b64 s[4:5], exec, -1
; %bb.2279:
	s_or_b64 exec, exec, s[8:9]
	s_and_b64 s[4:5], s[4:5], exec
	s_or_saveexec_b64 s[6:7], s[6:7]
	v_mov_b32_e32 v3, s10
	s_xor_b64 exec, exec, s[6:7]
	s_cbranch_execz .LBB44_230
.LBB44_2280:
	v_mov_b32_e32 v3, 0
	v_cmp_ne_u16_sdwa s[8:9], v5, v3 src0_sel:BYTE_0 src1_sel:DWORD
	s_andn2_b64 s[4:5], s[4:5], exec
	s_and_b64 s[8:9], s[8:9], exec
	s_or_b64 s[4:5], s[4:5], s[8:9]
	s_or_b64 exec, exec, s[6:7]
	s_and_saveexec_b64 s[6:7], s[4:5]
	s_cbranch_execnz .LBB44_231
	s_branch .LBB44_232
.LBB44_2281:
	s_movk_i32 s4, 0x80
	v_cmp_eq_u16_sdwa s[12:13], v3, s4 src0_sel:BYTE_0 src1_sel:DWORD
	s_mov_b64 s[4:5], -1
                                        ; implicit-def: $sgpr10
	s_and_saveexec_b64 s[8:9], s[12:13]
; %bb.2282:
	s_mov_b32 s10, 0x7f800001
	s_xor_b64 s[4:5], exec, -1
; %bb.2283:
	s_or_b64 exec, exec, s[8:9]
	s_and_b64 s[4:5], s[4:5], exec
	s_or_saveexec_b64 s[6:7], s[6:7]
	v_mov_b32_e32 v2, s10
	s_xor_b64 exec, exec, s[6:7]
	s_cbranch_execz .LBB44_234
.LBB44_2284:
	v_mov_b32_e32 v2, 0
	v_cmp_ne_u16_sdwa s[8:9], v3, v2 src0_sel:BYTE_0 src1_sel:DWORD
	s_andn2_b64 s[4:5], s[4:5], exec
	s_and_b64 s[8:9], s[8:9], exec
	s_or_b64 s[4:5], s[4:5], s[8:9]
	s_or_b64 exec, exec, s[6:7]
	s_and_saveexec_b64 s[6:7], s[4:5]
	s_cbranch_execnz .LBB44_235
	s_branch .LBB44_236
.LBB44_2285:
	s_movk_i32 s4, 0x80
	v_cmp_eq_u16_sdwa s[12:13], v3, s4 src0_sel:BYTE_0 src1_sel:DWORD
	s_mov_b64 s[4:5], -1
                                        ; implicit-def: $sgpr10
	s_and_saveexec_b64 s[8:9], s[12:13]
; %bb.2286:
	s_mov_b32 s10, 0x7f800001
	s_xor_b64 s[4:5], exec, -1
; %bb.2287:
	s_or_b64 exec, exec, s[8:9]
	s_and_b64 s[4:5], s[4:5], exec
	s_or_saveexec_b64 s[6:7], s[6:7]
	v_mov_b32_e32 v4, s10
	s_xor_b64 exec, exec, s[6:7]
	s_cbranch_execz .LBB44_238
.LBB44_2288:
	v_mov_b32_e32 v4, 0
	v_cmp_ne_u16_sdwa s[8:9], v3, v4 src0_sel:BYTE_0 src1_sel:DWORD
	s_andn2_b64 s[4:5], s[4:5], exec
	s_and_b64 s[8:9], s[8:9], exec
	s_or_b64 s[4:5], s[4:5], s[8:9]
	s_or_b64 exec, exec, s[6:7]
	s_and_saveexec_b64 s[6:7], s[4:5]
	s_cbranch_execnz .LBB44_239
	s_branch .LBB44_240
.LBB44_2289:
	s_movk_i32 s4, 0x80
	v_cmp_eq_u16_e32 vcc, s4, v3
	s_mov_b64 s[4:5], -1
                                        ; implicit-def: $sgpr10
	s_and_saveexec_b64 s[8:9], vcc
; %bb.2290:
	s_mov_b32 s10, 0x7f800001
	s_xor_b64 s[4:5], exec, -1
; %bb.2291:
	s_or_b64 exec, exec, s[8:9]
	s_and_b64 s[4:5], s[4:5], exec
                                        ; implicit-def: $vgpr3
	s_or_saveexec_b64 s[6:7], s[6:7]
	v_mov_b32_e32 v2, s10
	s_xor_b64 exec, exec, s[6:7]
	s_cbranch_execz .LBB44_242
.LBB44_2292:
	v_cmp_ne_u16_e32 vcc, 0, v3
	s_andn2_b64 s[4:5], s[4:5], exec
	s_and_b64 s[8:9], vcc, exec
	v_mov_b32_e32 v2, 0
	s_or_b64 s[4:5], s[4:5], s[8:9]
	s_or_b64 exec, exec, s[6:7]
	s_and_saveexec_b64 s[6:7], s[4:5]
	s_cbranch_execnz .LBB44_243
	s_branch .LBB44_244
.LBB44_2293:
	s_movk_i32 s4, 0x80
	v_cmp_eq_u16_e32 vcc, s4, v3
	s_mov_b64 s[4:5], -1
                                        ; implicit-def: $sgpr10
	s_and_saveexec_b64 s[8:9], vcc
; %bb.2294:
	s_mov_b32 s10, 0x7f800001
	s_xor_b64 s[4:5], exec, -1
; %bb.2295:
	s_or_b64 exec, exec, s[8:9]
	s_and_b64 s[4:5], s[4:5], exec
                                        ; implicit-def: $vgpr3
	s_or_saveexec_b64 s[6:7], s[6:7]
	v_mov_b32_e32 v4, s10
	s_xor_b64 exec, exec, s[6:7]
	s_cbranch_execz .LBB44_246
.LBB44_2296:
	v_cmp_ne_u16_e32 vcc, 0, v3
	s_andn2_b64 s[4:5], s[4:5], exec
	s_and_b64 s[8:9], vcc, exec
	v_mov_b32_e32 v4, 0
	s_or_b64 s[4:5], s[4:5], s[8:9]
	s_or_b64 exec, exec, s[6:7]
	s_and_saveexec_b64 s[6:7], s[4:5]
	s_cbranch_execnz .LBB44_247
	s_branch .LBB44_248
.LBB44_2297:
	s_movk_i32 s4, 0x80
	v_cmp_eq_u16_sdwa s[12:13], v9, s4 src0_sel:BYTE_3 src1_sel:DWORD
	s_mov_b64 s[4:5], -1
                                        ; implicit-def: $sgpr10
	s_and_saveexec_b64 s[8:9], s[12:13]
; %bb.2298:
	s_mov_b32 s10, 0x7f800001
	s_xor_b64 s[4:5], exec, -1
; %bb.2299:
	s_or_b64 exec, exec, s[8:9]
	s_and_b64 s[4:5], s[4:5], exec
	s_or_saveexec_b64 s[6:7], s[6:7]
	v_mov_b32_e32 v2, s10
	s_xor_b64 exec, exec, s[6:7]
	s_cbranch_execz .LBB44_250
.LBB44_2300:
	v_mov_b32_e32 v2, 0
	v_cmp_ne_u16_sdwa s[8:9], v9, v2 src0_sel:BYTE_3 src1_sel:DWORD
	s_andn2_b64 s[4:5], s[4:5], exec
	s_and_b64 s[8:9], s[8:9], exec
	s_or_b64 s[4:5], s[4:5], s[8:9]
	s_or_b64 exec, exec, s[6:7]
	s_and_saveexec_b64 s[6:7], s[4:5]
	s_cbranch_execnz .LBB44_251
	s_branch .LBB44_252
.LBB44_2301:
	s_movk_i32 s4, 0x80
	v_cmp_eq_u16_sdwa s[12:13], v5, s4 src0_sel:BYTE_3 src1_sel:DWORD
	s_mov_b64 s[4:5], -1
                                        ; implicit-def: $sgpr10
	s_and_saveexec_b64 s[8:9], s[12:13]
; %bb.2302:
	s_mov_b32 s10, 0x7f800001
	s_xor_b64 s[4:5], exec, -1
; %bb.2303:
	s_or_b64 exec, exec, s[8:9]
	s_and_b64 s[4:5], s[4:5], exec
	s_or_saveexec_b64 s[6:7], s[6:7]
	v_mov_b32_e32 v3, s10
	s_xor_b64 exec, exec, s[6:7]
	s_cbranch_execz .LBB44_254
.LBB44_2304:
	v_mov_b32_e32 v3, 0
	v_cmp_ne_u16_sdwa s[8:9], v5, v3 src0_sel:BYTE_3 src1_sel:DWORD
	s_andn2_b64 s[4:5], s[4:5], exec
	s_and_b64 s[8:9], s[8:9], exec
	s_or_b64 s[4:5], s[4:5], s[8:9]
	s_or_b64 exec, exec, s[6:7]
	s_and_saveexec_b64 s[6:7], s[4:5]
	s_cbranch_execnz .LBB44_255
	s_branch .LBB44_256
.LBB44_2305:
	s_movk_i32 s4, 0x80
	v_cmp_eq_u16_sdwa s[12:13], v14, s4 src0_sel:BYTE_0 src1_sel:DWORD
	s_mov_b64 s[4:5], -1
                                        ; implicit-def: $sgpr10
	s_and_saveexec_b64 s[8:9], s[12:13]
; %bb.2306:
	s_mov_b32 s10, 0x7f800001
	s_xor_b64 s[4:5], exec, -1
; %bb.2307:
	s_or_b64 exec, exec, s[8:9]
	s_and_b64 s[4:5], s[4:5], exec
	s_or_saveexec_b64 s[6:7], s[6:7]
	v_mov_b32_e32 v20, s10
	s_xor_b64 exec, exec, s[6:7]
	s_cbranch_execz .LBB44_258
.LBB44_2308:
	v_mov_b32_e32 v20, 0
	v_cmp_ne_u16_sdwa s[8:9], v14, v20 src0_sel:BYTE_0 src1_sel:DWORD
	s_andn2_b64 s[4:5], s[4:5], exec
	s_and_b64 s[8:9], s[8:9], exec
	s_or_b64 s[4:5], s[4:5], s[8:9]
	s_or_b64 exec, exec, s[6:7]
	s_and_saveexec_b64 s[6:7], s[4:5]
	s_cbranch_execnz .LBB44_259
	s_branch .LBB44_260
.LBB44_2309:
	s_movk_i32 s4, 0x80
	v_cmp_eq_u16_sdwa s[12:13], v10, s4 src0_sel:BYTE_0 src1_sel:DWORD
	s_mov_b64 s[4:5], -1
                                        ; implicit-def: $sgpr10
	s_and_saveexec_b64 s[8:9], s[12:13]
; %bb.2310:
	s_mov_b32 s10, 0x7f800001
	s_xor_b64 s[4:5], exec, -1
; %bb.2311:
	s_or_b64 exec, exec, s[8:9]
	s_and_b64 s[4:5], s[4:5], exec
	s_or_saveexec_b64 s[6:7], s[6:7]
	v_mov_b32_e32 v21, s10
	s_xor_b64 exec, exec, s[6:7]
	s_cbranch_execz .LBB44_262
.LBB44_2312:
	v_mov_b32_e32 v21, 0
	v_cmp_ne_u16_sdwa s[8:9], v10, v21 src0_sel:BYTE_0 src1_sel:DWORD
	s_andn2_b64 s[4:5], s[4:5], exec
	s_and_b64 s[8:9], s[8:9], exec
	s_or_b64 s[4:5], s[4:5], s[8:9]
	s_or_b64 exec, exec, s[6:7]
	s_and_saveexec_b64 s[6:7], s[4:5]
	s_cbranch_execnz .LBB44_263
	s_branch .LBB44_264
.LBB44_2313:
	s_movk_i32 s4, 0x80
	v_cmp_eq_u16_sdwa s[12:13], v21, s4 src0_sel:BYTE_0 src1_sel:DWORD
	s_mov_b64 s[4:5], -1
                                        ; implicit-def: $sgpr10
	s_and_saveexec_b64 s[8:9], s[12:13]
; %bb.2314:
	s_mov_b32 s10, 0x7f800001
	s_xor_b64 s[4:5], exec, -1
; %bb.2315:
	s_or_b64 exec, exec, s[8:9]
	s_and_b64 s[4:5], s[4:5], exec
	s_or_saveexec_b64 s[6:7], s[6:7]
	v_mov_b32_e32 v20, s10
	s_xor_b64 exec, exec, s[6:7]
	s_cbranch_execz .LBB44_266
.LBB44_2316:
	v_mov_b32_e32 v20, 0
	v_cmp_ne_u16_sdwa s[8:9], v21, v20 src0_sel:BYTE_0 src1_sel:DWORD
	s_andn2_b64 s[4:5], s[4:5], exec
	s_and_b64 s[8:9], s[8:9], exec
	s_or_b64 s[4:5], s[4:5], s[8:9]
	s_or_b64 exec, exec, s[6:7]
	s_and_saveexec_b64 s[6:7], s[4:5]
	s_cbranch_execnz .LBB44_267
	s_branch .LBB44_268
.LBB44_2317:
	s_movk_i32 s4, 0x80
	v_cmp_eq_u16_sdwa s[12:13], v21, s4 src0_sel:BYTE_0 src1_sel:DWORD
	s_mov_b64 s[4:5], -1
                                        ; implicit-def: $sgpr10
	s_and_saveexec_b64 s[8:9], s[12:13]
; %bb.2318:
	s_mov_b32 s10, 0x7f800001
	s_xor_b64 s[4:5], exec, -1
; %bb.2319:
	s_or_b64 exec, exec, s[8:9]
	s_and_b64 s[4:5], s[4:5], exec
	s_or_saveexec_b64 s[6:7], s[6:7]
	v_mov_b32_e32 v22, s10
	s_xor_b64 exec, exec, s[6:7]
	s_cbranch_execz .LBB44_270
.LBB44_2320:
	v_mov_b32_e32 v22, 0
	v_cmp_ne_u16_sdwa s[8:9], v21, v22 src0_sel:BYTE_0 src1_sel:DWORD
	s_andn2_b64 s[4:5], s[4:5], exec
	s_and_b64 s[8:9], s[8:9], exec
	s_or_b64 s[4:5], s[4:5], s[8:9]
	s_or_b64 exec, exec, s[6:7]
	s_and_saveexec_b64 s[6:7], s[4:5]
	s_cbranch_execnz .LBB44_271
	s_branch .LBB44_272
.LBB44_2321:
	s_movk_i32 s4, 0x80
	v_cmp_eq_u16_e32 vcc, s4, v21
	s_mov_b64 s[4:5], -1
                                        ; implicit-def: $sgpr10
	s_and_saveexec_b64 s[8:9], vcc
; %bb.2322:
	s_mov_b32 s10, 0x7f800001
	s_xor_b64 s[4:5], exec, -1
; %bb.2323:
	s_or_b64 exec, exec, s[8:9]
	s_and_b64 s[4:5], s[4:5], exec
                                        ; implicit-def: $vgpr21
	s_or_saveexec_b64 s[6:7], s[6:7]
	v_mov_b32_e32 v20, s10
	s_xor_b64 exec, exec, s[6:7]
	s_cbranch_execz .LBB44_274
.LBB44_2324:
	v_cmp_ne_u16_e32 vcc, 0, v21
	s_andn2_b64 s[4:5], s[4:5], exec
	s_and_b64 s[8:9], vcc, exec
	v_mov_b32_e32 v20, 0
	s_or_b64 s[4:5], s[4:5], s[8:9]
	s_or_b64 exec, exec, s[6:7]
	s_and_saveexec_b64 s[6:7], s[4:5]
	s_cbranch_execnz .LBB44_275
	s_branch .LBB44_276
.LBB44_2325:
	s_movk_i32 s4, 0x80
	v_cmp_eq_u16_e32 vcc, s4, v21
	s_mov_b64 s[4:5], -1
                                        ; implicit-def: $sgpr10
	s_and_saveexec_b64 s[8:9], vcc
; %bb.2326:
	s_mov_b32 s10, 0x7f800001
	s_xor_b64 s[4:5], exec, -1
; %bb.2327:
	s_or_b64 exec, exec, s[8:9]
	s_and_b64 s[4:5], s[4:5], exec
                                        ; implicit-def: $vgpr21
	s_or_saveexec_b64 s[6:7], s[6:7]
	v_mov_b32_e32 v22, s10
	s_xor_b64 exec, exec, s[6:7]
	s_cbranch_execz .LBB44_278
.LBB44_2328:
	v_cmp_ne_u16_e32 vcc, 0, v21
	s_andn2_b64 s[4:5], s[4:5], exec
	s_and_b64 s[8:9], vcc, exec
	v_mov_b32_e32 v22, 0
	s_or_b64 s[4:5], s[4:5], s[8:9]
	s_or_b64 exec, exec, s[6:7]
	s_and_saveexec_b64 s[6:7], s[4:5]
	s_cbranch_execnz .LBB44_279
	s_branch .LBB44_280
.LBB44_2329:
	s_movk_i32 s4, 0x80
	v_cmp_eq_u16_sdwa s[12:13], v14, s4 src0_sel:BYTE_3 src1_sel:DWORD
	s_mov_b64 s[4:5], -1
                                        ; implicit-def: $sgpr10
	s_and_saveexec_b64 s[8:9], s[12:13]
; %bb.2330:
	s_mov_b32 s10, 0x7f800001
	s_xor_b64 s[4:5], exec, -1
; %bb.2331:
	s_or_b64 exec, exec, s[8:9]
	s_and_b64 s[4:5], s[4:5], exec
	s_or_saveexec_b64 s[6:7], s[6:7]
	v_mov_b32_e32 v20, s10
	s_xor_b64 exec, exec, s[6:7]
	s_cbranch_execz .LBB44_282
.LBB44_2332:
	v_mov_b32_e32 v20, 0
	v_cmp_ne_u16_sdwa s[8:9], v14, v20 src0_sel:BYTE_3 src1_sel:DWORD
	s_andn2_b64 s[4:5], s[4:5], exec
	s_and_b64 s[8:9], s[8:9], exec
	s_or_b64 s[4:5], s[4:5], s[8:9]
	s_or_b64 exec, exec, s[6:7]
	s_and_saveexec_b64 s[6:7], s[4:5]
	s_cbranch_execnz .LBB44_283
	s_branch .LBB44_284
.LBB44_2333:
	s_movk_i32 s4, 0x80
	v_cmp_eq_u16_sdwa s[12:13], v10, s4 src0_sel:BYTE_3 src1_sel:DWORD
	s_mov_b64 s[4:5], -1
                                        ; implicit-def: $sgpr10
	s_and_saveexec_b64 s[8:9], s[12:13]
; %bb.2334:
	s_mov_b32 s10, 0x7f800001
	s_xor_b64 s[4:5], exec, -1
; %bb.2335:
	s_or_b64 exec, exec, s[8:9]
	s_and_b64 s[4:5], s[4:5], exec
	s_or_saveexec_b64 s[6:7], s[6:7]
	v_mov_b32_e32 v14, s10
	s_xor_b64 exec, exec, s[6:7]
	s_cbranch_execz .LBB44_286
.LBB44_2336:
	v_mov_b32_e32 v14, 0
	v_cmp_ne_u16_sdwa s[8:9], v10, v14 src0_sel:BYTE_3 src1_sel:DWORD
	s_andn2_b64 s[4:5], s[4:5], exec
	s_and_b64 s[8:9], s[8:9], exec
	s_or_b64 s[4:5], s[4:5], s[8:9]
	s_or_b64 exec, exec, s[6:7]
	s_and_saveexec_b64 s[6:7], s[4:5]
	s_cbranch_execnz .LBB44_287
	s_branch .LBB44_288
.LBB44_2337:
	s_movk_i32 s4, 0x80
	v_cmp_eq_u16_sdwa s[12:13], v15, s4 src0_sel:BYTE_0 src1_sel:DWORD
	s_mov_b64 s[4:5], -1
                                        ; implicit-def: $sgpr10
	s_and_saveexec_b64 s[8:9], s[12:13]
; %bb.2338:
	s_mov_b32 s10, 0x7f800001
	s_xor_b64 s[4:5], exec, -1
; %bb.2339:
	s_or_b64 exec, exec, s[8:9]
	s_and_b64 s[4:5], s[4:5], exec
	s_or_saveexec_b64 s[6:7], s[6:7]
	v_mov_b32_e32 v10, s10
	s_xor_b64 exec, exec, s[6:7]
	s_cbranch_execz .LBB44_290
.LBB44_2340:
	v_mov_b32_e32 v10, 0
	v_cmp_ne_u16_sdwa s[8:9], v15, v10 src0_sel:BYTE_0 src1_sel:DWORD
	s_andn2_b64 s[4:5], s[4:5], exec
	s_and_b64 s[8:9], s[8:9], exec
	s_or_b64 s[4:5], s[4:5], s[8:9]
	s_or_b64 exec, exec, s[6:7]
	s_and_saveexec_b64 s[6:7], s[4:5]
	s_cbranch_execnz .LBB44_291
	s_branch .LBB44_292
.LBB44_2341:
	s_movk_i32 s4, 0x80
	v_cmp_eq_u16_sdwa s[12:13], v11, s4 src0_sel:BYTE_0 src1_sel:DWORD
	s_mov_b64 s[4:5], -1
                                        ; implicit-def: $sgpr10
	s_and_saveexec_b64 s[8:9], s[12:13]
; %bb.2342:
	s_mov_b32 s10, 0x7f800001
	s_xor_b64 s[4:5], exec, -1
; %bb.2343:
	s_or_b64 exec, exec, s[8:9]
	s_and_b64 s[4:5], s[4:5], exec
	s_or_saveexec_b64 s[6:7], s[6:7]
	v_mov_b32_e32 v14, s10
	s_xor_b64 exec, exec, s[6:7]
	s_cbranch_execz .LBB44_294
.LBB44_2344:
	v_mov_b32_e32 v14, 0
	v_cmp_ne_u16_sdwa s[8:9], v11, v14 src0_sel:BYTE_0 src1_sel:DWORD
	s_andn2_b64 s[4:5], s[4:5], exec
	s_and_b64 s[8:9], s[8:9], exec
	s_or_b64 s[4:5], s[4:5], s[8:9]
	s_or_b64 exec, exec, s[6:7]
	s_and_saveexec_b64 s[6:7], s[4:5]
	s_cbranch_execnz .LBB44_295
	s_branch .LBB44_296
.LBB44_2345:
	s_movk_i32 s4, 0x80
	v_cmp_eq_u16_sdwa s[12:13], v14, s4 src0_sel:BYTE_0 src1_sel:DWORD
	s_mov_b64 s[4:5], -1
                                        ; implicit-def: $sgpr10
	s_and_saveexec_b64 s[8:9], s[12:13]
; %bb.2346:
	s_mov_b32 s10, 0x7f800001
	s_xor_b64 s[4:5], exec, -1
; %bb.2347:
	s_or_b64 exec, exec, s[8:9]
	s_and_b64 s[4:5], s[4:5], exec
	s_or_saveexec_b64 s[6:7], s[6:7]
	v_mov_b32_e32 v10, s10
	s_xor_b64 exec, exec, s[6:7]
	s_cbranch_execz .LBB44_298
.LBB44_2348:
	v_mov_b32_e32 v10, 0
	v_cmp_ne_u16_sdwa s[8:9], v14, v10 src0_sel:BYTE_0 src1_sel:DWORD
	s_andn2_b64 s[4:5], s[4:5], exec
	s_and_b64 s[8:9], s[8:9], exec
	s_or_b64 s[4:5], s[4:5], s[8:9]
	s_or_b64 exec, exec, s[6:7]
	s_and_saveexec_b64 s[6:7], s[4:5]
	s_cbranch_execnz .LBB44_299
	s_branch .LBB44_300
.LBB44_2349:
	s_movk_i32 s4, 0x80
	v_cmp_eq_u16_sdwa s[12:13], v14, s4 src0_sel:BYTE_0 src1_sel:DWORD
	s_mov_b64 s[4:5], -1
                                        ; implicit-def: $sgpr10
	s_and_saveexec_b64 s[8:9], s[12:13]
; %bb.2350:
	s_mov_b32 s10, 0x7f800001
	s_xor_b64 s[4:5], exec, -1
; %bb.2351:
	s_or_b64 exec, exec, s[8:9]
	s_and_b64 s[4:5], s[4:5], exec
	s_or_saveexec_b64 s[6:7], s[6:7]
	v_mov_b32_e32 v20, s10
	s_xor_b64 exec, exec, s[6:7]
	s_cbranch_execz .LBB44_302
.LBB44_2352:
	v_mov_b32_e32 v20, 0
	v_cmp_ne_u16_sdwa s[8:9], v14, v20 src0_sel:BYTE_0 src1_sel:DWORD
	s_andn2_b64 s[4:5], s[4:5], exec
	s_and_b64 s[8:9], s[8:9], exec
	s_or_b64 s[4:5], s[4:5], s[8:9]
	s_or_b64 exec, exec, s[6:7]
	s_and_saveexec_b64 s[6:7], s[4:5]
	s_cbranch_execnz .LBB44_303
	s_branch .LBB44_304
.LBB44_2353:
	s_movk_i32 s4, 0x80
	v_cmp_eq_u16_e32 vcc, s4, v14
	s_mov_b64 s[4:5], -1
                                        ; implicit-def: $sgpr10
	s_and_saveexec_b64 s[8:9], vcc
; %bb.2354:
	s_mov_b32 s10, 0x7f800001
	s_xor_b64 s[4:5], exec, -1
; %bb.2355:
	s_or_b64 exec, exec, s[8:9]
	s_and_b64 s[4:5], s[4:5], exec
                                        ; implicit-def: $vgpr14
	s_or_saveexec_b64 s[6:7], s[6:7]
	v_mov_b32_e32 v10, s10
	s_xor_b64 exec, exec, s[6:7]
	s_cbranch_execz .LBB44_306
.LBB44_2356:
	v_cmp_ne_u16_e32 vcc, 0, v14
	s_andn2_b64 s[4:5], s[4:5], exec
	s_and_b64 s[8:9], vcc, exec
	v_mov_b32_e32 v10, 0
	s_or_b64 s[4:5], s[4:5], s[8:9]
	s_or_b64 exec, exec, s[6:7]
	s_and_saveexec_b64 s[6:7], s[4:5]
	s_cbranch_execnz .LBB44_307
	s_branch .LBB44_308
.LBB44_2357:
	s_movk_i32 s4, 0x80
	v_cmp_eq_u16_e32 vcc, s4, v14
	s_mov_b64 s[4:5], -1
                                        ; implicit-def: $sgpr10
	s_and_saveexec_b64 s[8:9], vcc
; %bb.2358:
	s_mov_b32 s10, 0x7f800001
	s_xor_b64 s[4:5], exec, -1
; %bb.2359:
	s_or_b64 exec, exec, s[8:9]
	s_and_b64 s[4:5], s[4:5], exec
                                        ; implicit-def: $vgpr14
	s_or_saveexec_b64 s[6:7], s[6:7]
	v_mov_b32_e32 v20, s10
	s_xor_b64 exec, exec, s[6:7]
	s_cbranch_execz .LBB44_310
.LBB44_2360:
	v_cmp_ne_u16_e32 vcc, 0, v14
	s_andn2_b64 s[4:5], s[4:5], exec
	s_and_b64 s[8:9], vcc, exec
	v_mov_b32_e32 v20, 0
	s_or_b64 s[4:5], s[4:5], s[8:9]
	s_or_b64 exec, exec, s[6:7]
	s_and_saveexec_b64 s[6:7], s[4:5]
	s_cbranch_execnz .LBB44_311
	s_branch .LBB44_312
.LBB44_2361:
	s_movk_i32 s4, 0x80
	v_cmp_eq_u16_sdwa s[12:13], v15, s4 src0_sel:BYTE_3 src1_sel:DWORD
	s_mov_b64 s[4:5], -1
                                        ; implicit-def: $sgpr10
	s_and_saveexec_b64 s[8:9], s[12:13]
; %bb.2362:
	s_mov_b32 s10, 0x7f800001
	s_xor_b64 s[4:5], exec, -1
; %bb.2363:
	s_or_b64 exec, exec, s[8:9]
	s_and_b64 s[4:5], s[4:5], exec
	s_or_saveexec_b64 s[6:7], s[6:7]
	v_mov_b32_e32 v10, s10
	s_xor_b64 exec, exec, s[6:7]
	s_cbranch_execz .LBB44_314
.LBB44_2364:
	v_mov_b32_e32 v10, 0
	v_cmp_ne_u16_sdwa s[8:9], v15, v10 src0_sel:BYTE_3 src1_sel:DWORD
	s_andn2_b64 s[4:5], s[4:5], exec
	s_and_b64 s[8:9], s[8:9], exec
	s_or_b64 s[4:5], s[4:5], s[8:9]
	s_or_b64 exec, exec, s[6:7]
	s_and_saveexec_b64 s[6:7], s[4:5]
	s_cbranch_execnz .LBB44_315
	s_branch .LBB44_316
.LBB44_2365:
	s_movk_i32 s4, 0x80
	v_cmp_eq_u16_sdwa s[12:13], v11, s4 src0_sel:BYTE_3 src1_sel:DWORD
	s_mov_b64 s[4:5], -1
                                        ; implicit-def: $sgpr10
	s_and_saveexec_b64 s[8:9], s[12:13]
; %bb.2366:
	s_mov_b32 s10, 0x7f800001
	s_xor_b64 s[4:5], exec, -1
; %bb.2367:
	s_or_b64 exec, exec, s[8:9]
	s_and_b64 s[4:5], s[4:5], exec
	s_or_saveexec_b64 s[6:7], s[6:7]
	v_mov_b32_e32 v14, s10
	s_xor_b64 exec, exec, s[6:7]
	s_cbranch_execz .LBB44_318
.LBB44_2368:
	v_mov_b32_e32 v14, 0
	v_cmp_ne_u16_sdwa s[8:9], v11, v14 src0_sel:BYTE_3 src1_sel:DWORD
	s_andn2_b64 s[4:5], s[4:5], exec
	s_and_b64 s[8:9], s[8:9], exec
	s_or_b64 s[4:5], s[4:5], s[8:9]
	s_or_b64 exec, exec, s[6:7]
	s_and_saveexec_b64 s[6:7], s[4:5]
	s_cbranch_execnz .LBB44_319
	s_branch .LBB44_320
.LBB44_2369:
	s_movk_i32 s4, 0x80
	v_cmp_eq_u16_sdwa s[12:13], v16, s4 src0_sel:BYTE_0 src1_sel:DWORD
	s_mov_b64 s[4:5], -1
                                        ; implicit-def: $sgpr10
	s_and_saveexec_b64 s[8:9], s[12:13]
; %bb.2370:
	s_mov_b32 s10, 0x7f800001
	s_xor_b64 s[4:5], exec, -1
; %bb.2371:
	s_or_b64 exec, exec, s[8:9]
	s_and_b64 s[4:5], s[4:5], exec
	s_or_saveexec_b64 s[6:7], s[6:7]
	v_mov_b32_e32 v10, s10
	s_xor_b64 exec, exec, s[6:7]
	s_cbranch_execz .LBB44_322
.LBB44_2372:
	v_mov_b32_e32 v10, 0
	v_cmp_ne_u16_sdwa s[8:9], v16, v10 src0_sel:BYTE_0 src1_sel:DWORD
	s_andn2_b64 s[4:5], s[4:5], exec
	s_and_b64 s[8:9], s[8:9], exec
	s_or_b64 s[4:5], s[4:5], s[8:9]
	s_or_b64 exec, exec, s[6:7]
	s_and_saveexec_b64 s[6:7], s[4:5]
	s_cbranch_execnz .LBB44_323
	s_branch .LBB44_324
.LBB44_2373:
	s_movk_i32 s4, 0x80
	v_cmp_eq_u16_sdwa s[12:13], v12, s4 src0_sel:BYTE_0 src1_sel:DWORD
	s_mov_b64 s[4:5], -1
                                        ; implicit-def: $sgpr10
	s_and_saveexec_b64 s[8:9], s[12:13]
; %bb.2374:
	s_mov_b32 s10, 0x7f800001
	s_xor_b64 s[4:5], exec, -1
; %bb.2375:
	s_or_b64 exec, exec, s[8:9]
	s_and_b64 s[4:5], s[4:5], exec
	s_or_saveexec_b64 s[6:7], s[6:7]
	v_mov_b32_e32 v11, s10
	s_xor_b64 exec, exec, s[6:7]
	s_cbranch_execz .LBB44_326
.LBB44_2376:
	v_mov_b32_e32 v11, 0
	v_cmp_ne_u16_sdwa s[8:9], v12, v11 src0_sel:BYTE_0 src1_sel:DWORD
	s_andn2_b64 s[4:5], s[4:5], exec
	s_and_b64 s[8:9], s[8:9], exec
	s_or_b64 s[4:5], s[4:5], s[8:9]
	s_or_b64 exec, exec, s[6:7]
	s_and_saveexec_b64 s[6:7], s[4:5]
	s_cbranch_execnz .LBB44_327
	s_branch .LBB44_328
.LBB44_2377:
	s_movk_i32 s4, 0x80
	v_cmp_eq_u16_sdwa s[12:13], v11, s4 src0_sel:BYTE_0 src1_sel:DWORD
	s_mov_b64 s[4:5], -1
                                        ; implicit-def: $sgpr10
	s_and_saveexec_b64 s[8:9], s[12:13]
; %bb.2378:
	s_mov_b32 s10, 0x7f800001
	s_xor_b64 s[4:5], exec, -1
; %bb.2379:
	s_or_b64 exec, exec, s[8:9]
	s_and_b64 s[4:5], s[4:5], exec
	s_or_saveexec_b64 s[6:7], s[6:7]
	v_mov_b32_e32 v10, s10
	s_xor_b64 exec, exec, s[6:7]
	s_cbranch_execz .LBB44_330
.LBB44_2380:
	v_mov_b32_e32 v10, 0
	v_cmp_ne_u16_sdwa s[8:9], v11, v10 src0_sel:BYTE_0 src1_sel:DWORD
	s_andn2_b64 s[4:5], s[4:5], exec
	s_and_b64 s[8:9], s[8:9], exec
	s_or_b64 s[4:5], s[4:5], s[8:9]
	s_or_b64 exec, exec, s[6:7]
	s_and_saveexec_b64 s[6:7], s[4:5]
	s_cbranch_execnz .LBB44_331
	s_branch .LBB44_332
.LBB44_2381:
	s_movk_i32 s4, 0x80
	v_cmp_eq_u16_sdwa s[12:13], v11, s4 src0_sel:BYTE_0 src1_sel:DWORD
	s_mov_b64 s[4:5], -1
                                        ; implicit-def: $sgpr10
	s_and_saveexec_b64 s[8:9], s[12:13]
; %bb.2382:
	s_mov_b32 s10, 0x7f800001
	s_xor_b64 s[4:5], exec, -1
; %bb.2383:
	s_or_b64 exec, exec, s[8:9]
	s_and_b64 s[4:5], s[4:5], exec
	s_or_saveexec_b64 s[6:7], s[6:7]
	v_mov_b32_e32 v14, s10
	s_xor_b64 exec, exec, s[6:7]
	s_cbranch_execz .LBB44_334
.LBB44_2384:
	v_mov_b32_e32 v14, 0
	v_cmp_ne_u16_sdwa s[8:9], v11, v14 src0_sel:BYTE_0 src1_sel:DWORD
	s_andn2_b64 s[4:5], s[4:5], exec
	s_and_b64 s[8:9], s[8:9], exec
	s_or_b64 s[4:5], s[4:5], s[8:9]
	s_or_b64 exec, exec, s[6:7]
	s_and_saveexec_b64 s[6:7], s[4:5]
	s_cbranch_execnz .LBB44_335
	s_branch .LBB44_336
.LBB44_2385:
	s_movk_i32 s4, 0x80
	v_cmp_eq_u16_e32 vcc, s4, v11
	s_mov_b64 s[4:5], -1
                                        ; implicit-def: $sgpr10
	s_and_saveexec_b64 s[8:9], vcc
; %bb.2386:
	s_mov_b32 s10, 0x7f800001
	s_xor_b64 s[4:5], exec, -1
; %bb.2387:
	s_or_b64 exec, exec, s[8:9]
	s_and_b64 s[4:5], s[4:5], exec
                                        ; implicit-def: $vgpr11
	s_or_saveexec_b64 s[6:7], s[6:7]
	v_mov_b32_e32 v10, s10
	s_xor_b64 exec, exec, s[6:7]
	s_cbranch_execz .LBB44_338
.LBB44_2388:
	v_cmp_ne_u16_e32 vcc, 0, v11
	s_andn2_b64 s[4:5], s[4:5], exec
	s_and_b64 s[8:9], vcc, exec
	v_mov_b32_e32 v10, 0
	s_or_b64 s[4:5], s[4:5], s[8:9]
	s_or_b64 exec, exec, s[6:7]
	s_and_saveexec_b64 s[6:7], s[4:5]
	s_cbranch_execnz .LBB44_339
	s_branch .LBB44_340
.LBB44_2389:
	s_movk_i32 s4, 0x80
	v_cmp_eq_u16_e32 vcc, s4, v11
	s_mov_b64 s[4:5], -1
                                        ; implicit-def: $sgpr10
	s_and_saveexec_b64 s[8:9], vcc
; %bb.2390:
	s_mov_b32 s10, 0x7f800001
	s_xor_b64 s[4:5], exec, -1
; %bb.2391:
	s_or_b64 exec, exec, s[8:9]
	s_and_b64 s[4:5], s[4:5], exec
                                        ; implicit-def: $vgpr11
	s_or_saveexec_b64 s[6:7], s[6:7]
	v_mov_b32_e32 v14, s10
	s_xor_b64 exec, exec, s[6:7]
	s_cbranch_execz .LBB44_342
.LBB44_2392:
	v_cmp_ne_u16_e32 vcc, 0, v11
	s_andn2_b64 s[4:5], s[4:5], exec
	s_and_b64 s[8:9], vcc, exec
	v_mov_b32_e32 v14, 0
	s_or_b64 s[4:5], s[4:5], s[8:9]
	s_or_b64 exec, exec, s[6:7]
	s_and_saveexec_b64 s[6:7], s[4:5]
	s_cbranch_execnz .LBB44_343
	s_branch .LBB44_344
.LBB44_2393:
	s_movk_i32 s4, 0x80
	v_cmp_eq_u16_sdwa s[12:13], v16, s4 src0_sel:BYTE_3 src1_sel:DWORD
	s_mov_b64 s[4:5], -1
                                        ; implicit-def: $sgpr10
	s_and_saveexec_b64 s[8:9], s[12:13]
; %bb.2394:
	s_mov_b32 s10, 0x7f800001
	s_xor_b64 s[4:5], exec, -1
; %bb.2395:
	s_or_b64 exec, exec, s[8:9]
	s_and_b64 s[4:5], s[4:5], exec
	s_or_saveexec_b64 s[6:7], s[6:7]
	v_mov_b32_e32 v10, s10
	s_xor_b64 exec, exec, s[6:7]
	s_cbranch_execz .LBB44_346
.LBB44_2396:
	v_mov_b32_e32 v10, 0
	v_cmp_ne_u16_sdwa s[8:9], v16, v10 src0_sel:BYTE_3 src1_sel:DWORD
	s_andn2_b64 s[4:5], s[4:5], exec
	s_and_b64 s[8:9], s[8:9], exec
	s_or_b64 s[4:5], s[4:5], s[8:9]
	s_or_b64 exec, exec, s[6:7]
	s_and_saveexec_b64 s[6:7], s[4:5]
	s_cbranch_execnz .LBB44_347
	s_branch .LBB44_348
.LBB44_2397:
	s_movk_i32 s4, 0x80
	v_cmp_eq_u16_sdwa s[12:13], v12, s4 src0_sel:BYTE_3 src1_sel:DWORD
	s_mov_b64 s[4:5], -1
                                        ; implicit-def: $sgpr10
	s_and_saveexec_b64 s[8:9], s[12:13]
; %bb.2398:
	s_mov_b32 s10, 0x7f800001
	s_xor_b64 s[4:5], exec, -1
; %bb.2399:
	s_or_b64 exec, exec, s[8:9]
	s_and_b64 s[4:5], s[4:5], exec
	s_or_saveexec_b64 s[6:7], s[6:7]
	v_mov_b32_e32 v11, s10
	s_xor_b64 exec, exec, s[6:7]
	s_cbranch_execz .LBB44_350
.LBB44_2400:
	v_mov_b32_e32 v11, 0
	v_cmp_ne_u16_sdwa s[8:9], v12, v11 src0_sel:BYTE_3 src1_sel:DWORD
	s_andn2_b64 s[4:5], s[4:5], exec
	s_and_b64 s[8:9], s[8:9], exec
	s_or_b64 s[4:5], s[4:5], s[8:9]
	s_or_b64 exec, exec, s[6:7]
	s_and_saveexec_b64 s[6:7], s[4:5]
	s_cbranch_execnz .LBB44_351
	s_branch .LBB44_352
.LBB44_2401:
	s_movk_i32 s4, 0x80
	v_cmp_eq_u16_sdwa s[12:13], v17, s4 src0_sel:BYTE_0 src1_sel:DWORD
	s_mov_b64 s[4:5], -1
                                        ; implicit-def: $sgpr10
	s_and_saveexec_b64 s[8:9], s[12:13]
; %bb.2402:
	s_mov_b32 s10, 0x7f800001
	s_xor_b64 s[4:5], exec, -1
; %bb.2403:
	s_or_b64 exec, exec, s[8:9]
	s_and_b64 s[4:5], s[4:5], exec
	s_or_saveexec_b64 s[6:7], s[6:7]
	v_mov_b32_e32 v10, s10
	s_xor_b64 exec, exec, s[6:7]
	s_cbranch_execz .LBB44_354
.LBB44_2404:
	v_mov_b32_e32 v10, 0
	v_cmp_ne_u16_sdwa s[8:9], v17, v10 src0_sel:BYTE_0 src1_sel:DWORD
	s_andn2_b64 s[4:5], s[4:5], exec
	s_and_b64 s[8:9], s[8:9], exec
	s_or_b64 s[4:5], s[4:5], s[8:9]
	s_or_b64 exec, exec, s[6:7]
	s_and_saveexec_b64 s[6:7], s[4:5]
	s_cbranch_execnz .LBB44_355
	s_branch .LBB44_356
.LBB44_2405:
	s_movk_i32 s4, 0x80
	v_cmp_eq_u16_sdwa s[12:13], v13, s4 src0_sel:BYTE_0 src1_sel:DWORD
	s_mov_b64 s[4:5], -1
                                        ; implicit-def: $sgpr10
	s_and_saveexec_b64 s[8:9], s[12:13]
; %bb.2406:
	s_mov_b32 s10, 0x7f800001
	s_xor_b64 s[4:5], exec, -1
; %bb.2407:
	s_or_b64 exec, exec, s[8:9]
	s_and_b64 s[4:5], s[4:5], exec
	s_or_saveexec_b64 s[6:7], s[6:7]
	v_mov_b32_e32 v11, s10
	s_xor_b64 exec, exec, s[6:7]
	s_cbranch_execz .LBB44_358
.LBB44_2408:
	v_mov_b32_e32 v11, 0
	v_cmp_ne_u16_sdwa s[8:9], v13, v11 src0_sel:BYTE_0 src1_sel:DWORD
	s_andn2_b64 s[4:5], s[4:5], exec
	s_and_b64 s[8:9], s[8:9], exec
	s_or_b64 s[4:5], s[4:5], s[8:9]
	s_or_b64 exec, exec, s[6:7]
	s_and_saveexec_b64 s[6:7], s[4:5]
	s_cbranch_execnz .LBB44_359
	s_branch .LBB44_360
.LBB44_2409:
	s_movk_i32 s4, 0x80
	v_cmp_eq_u16_sdwa s[12:13], v11, s4 src0_sel:BYTE_0 src1_sel:DWORD
	s_mov_b64 s[4:5], -1
                                        ; implicit-def: $sgpr10
	s_and_saveexec_b64 s[8:9], s[12:13]
; %bb.2410:
	s_mov_b32 s10, 0x7f800001
	s_xor_b64 s[4:5], exec, -1
; %bb.2411:
	s_or_b64 exec, exec, s[8:9]
	s_and_b64 s[4:5], s[4:5], exec
	s_or_saveexec_b64 s[6:7], s[6:7]
	v_mov_b32_e32 v10, s10
	s_xor_b64 exec, exec, s[6:7]
	s_cbranch_execz .LBB44_362
.LBB44_2412:
	v_mov_b32_e32 v10, 0
	v_cmp_ne_u16_sdwa s[8:9], v11, v10 src0_sel:BYTE_0 src1_sel:DWORD
	s_andn2_b64 s[4:5], s[4:5], exec
	s_and_b64 s[8:9], s[8:9], exec
	s_or_b64 s[4:5], s[4:5], s[8:9]
	s_or_b64 exec, exec, s[6:7]
	s_and_saveexec_b64 s[6:7], s[4:5]
	s_cbranch_execnz .LBB44_363
	s_branch .LBB44_364
.LBB44_2413:
	s_movk_i32 s4, 0x80
	v_cmp_eq_u16_sdwa s[12:13], v11, s4 src0_sel:BYTE_0 src1_sel:DWORD
	s_mov_b64 s[4:5], -1
                                        ; implicit-def: $sgpr10
	s_and_saveexec_b64 s[8:9], s[12:13]
; %bb.2414:
	s_mov_b32 s10, 0x7f800001
	s_xor_b64 s[4:5], exec, -1
; %bb.2415:
	s_or_b64 exec, exec, s[8:9]
	s_and_b64 s[4:5], s[4:5], exec
	s_or_saveexec_b64 s[6:7], s[6:7]
	v_mov_b32_e32 v12, s10
	s_xor_b64 exec, exec, s[6:7]
	s_cbranch_execz .LBB44_366
.LBB44_2416:
	v_mov_b32_e32 v12, 0
	v_cmp_ne_u16_sdwa s[8:9], v11, v12 src0_sel:BYTE_0 src1_sel:DWORD
	s_andn2_b64 s[4:5], s[4:5], exec
	s_and_b64 s[8:9], s[8:9], exec
	s_or_b64 s[4:5], s[4:5], s[8:9]
	s_or_b64 exec, exec, s[6:7]
	s_and_saveexec_b64 s[6:7], s[4:5]
	s_cbranch_execnz .LBB44_367
	s_branch .LBB44_368
.LBB44_2417:
	s_movk_i32 s4, 0x80
	v_cmp_eq_u16_e32 vcc, s4, v11
	s_mov_b64 s[4:5], -1
                                        ; implicit-def: $sgpr10
	s_and_saveexec_b64 s[8:9], vcc
; %bb.2418:
	s_mov_b32 s10, 0x7f800001
	s_xor_b64 s[4:5], exec, -1
; %bb.2419:
	s_or_b64 exec, exec, s[8:9]
	s_and_b64 s[4:5], s[4:5], exec
                                        ; implicit-def: $vgpr11
	s_or_saveexec_b64 s[6:7], s[6:7]
	v_mov_b32_e32 v10, s10
	s_xor_b64 exec, exec, s[6:7]
	s_cbranch_execz .LBB44_370
.LBB44_2420:
	v_cmp_ne_u16_e32 vcc, 0, v11
	s_andn2_b64 s[4:5], s[4:5], exec
	s_and_b64 s[8:9], vcc, exec
	v_mov_b32_e32 v10, 0
	s_or_b64 s[4:5], s[4:5], s[8:9]
	s_or_b64 exec, exec, s[6:7]
	s_and_saveexec_b64 s[6:7], s[4:5]
	s_cbranch_execnz .LBB44_371
	s_branch .LBB44_372
.LBB44_2421:
	s_movk_i32 s4, 0x80
	v_cmp_eq_u16_e32 vcc, s4, v11
	s_mov_b64 s[4:5], -1
                                        ; implicit-def: $sgpr10
	s_and_saveexec_b64 s[8:9], vcc
; %bb.2422:
	s_mov_b32 s10, 0x7f800001
	s_xor_b64 s[4:5], exec, -1
; %bb.2423:
	s_or_b64 exec, exec, s[8:9]
	s_and_b64 s[4:5], s[4:5], exec
                                        ; implicit-def: $vgpr11
	s_or_saveexec_b64 s[6:7], s[6:7]
	v_mov_b32_e32 v12, s10
	s_xor_b64 exec, exec, s[6:7]
	s_cbranch_execz .LBB44_374
.LBB44_2424:
	v_cmp_ne_u16_e32 vcc, 0, v11
	s_andn2_b64 s[4:5], s[4:5], exec
	s_and_b64 s[8:9], vcc, exec
	v_mov_b32_e32 v12, 0
	s_or_b64 s[4:5], s[4:5], s[8:9]
	s_or_b64 exec, exec, s[6:7]
	s_and_saveexec_b64 s[6:7], s[4:5]
	s_cbranch_execnz .LBB44_375
	s_branch .LBB44_376
.LBB44_2425:
	s_movk_i32 s4, 0x80
	v_cmp_eq_u16_sdwa s[12:13], v17, s4 src0_sel:BYTE_3 src1_sel:DWORD
	s_mov_b64 s[4:5], -1
                                        ; implicit-def: $sgpr10
	s_and_saveexec_b64 s[8:9], s[12:13]
; %bb.2426:
	s_mov_b32 s10, 0x7f800001
	s_xor_b64 s[4:5], exec, -1
; %bb.2427:
	s_or_b64 exec, exec, s[8:9]
	s_and_b64 s[4:5], s[4:5], exec
	s_or_saveexec_b64 s[6:7], s[6:7]
	v_mov_b32_e32 v10, s10
	s_xor_b64 exec, exec, s[6:7]
	s_cbranch_execz .LBB44_378
.LBB44_2428:
	v_mov_b32_e32 v10, 0
	v_cmp_ne_u16_sdwa s[8:9], v17, v10 src0_sel:BYTE_3 src1_sel:DWORD
	s_andn2_b64 s[4:5], s[4:5], exec
	s_and_b64 s[8:9], s[8:9], exec
	s_or_b64 s[4:5], s[4:5], s[8:9]
	s_or_b64 exec, exec, s[6:7]
	s_and_saveexec_b64 s[6:7], s[4:5]
	s_cbranch_execnz .LBB44_379
	s_branch .LBB44_380
.LBB44_2429:
	s_movk_i32 s4, 0x80
	v_cmp_eq_u16_sdwa s[12:13], v13, s4 src0_sel:BYTE_3 src1_sel:DWORD
	s_mov_b64 s[4:5], -1
                                        ; implicit-def: $sgpr10
	s_and_saveexec_b64 s[8:9], s[12:13]
; %bb.2430:
	s_mov_b32 s10, 0x7f800001
	s_xor_b64 s[4:5], exec, -1
; %bb.2431:
	s_or_b64 exec, exec, s[8:9]
	s_and_b64 s[4:5], s[4:5], exec
	s_or_saveexec_b64 s[6:7], s[6:7]
	v_mov_b32_e32 v11, s10
	s_xor_b64 exec, exec, s[6:7]
	s_cbranch_execz .LBB44_382
.LBB44_2432:
	v_mov_b32_e32 v11, 0
	v_cmp_ne_u16_sdwa s[8:9], v13, v11 src0_sel:BYTE_3 src1_sel:DWORD
	s_andn2_b64 s[4:5], s[4:5], exec
	s_and_b64 s[8:9], s[8:9], exec
	s_or_b64 s[4:5], s[4:5], s[8:9]
	s_or_b64 exec, exec, s[6:7]
	s_and_saveexec_b64 s[6:7], s[4:5]
	s_cbranch_execnz .LBB44_383
	s_branch .LBB44_384
.LBB44_2433:
	s_movk_i32 s4, 0x80
	v_cmp_eq_u16_sdwa s[12:13], v6, s4 src0_sel:BYTE_0 src1_sel:DWORD
	s_mov_b64 s[4:5], -1
                                        ; implicit-def: $sgpr10
	s_and_saveexec_b64 s[8:9], s[12:13]
; %bb.2434:
	s_mov_b32 s10, 0x7f800001
	s_xor_b64 s[4:5], exec, -1
; %bb.2435:
	s_or_b64 exec, exec, s[8:9]
	s_and_b64 s[4:5], s[4:5], exec
	s_or_saveexec_b64 s[6:7], s[6:7]
	v_mov_b32_e32 v10, s10
	s_xor_b64 exec, exec, s[6:7]
	s_cbranch_execz .LBB44_386
.LBB44_2436:
	v_mov_b32_e32 v10, 0
	v_cmp_ne_u16_sdwa s[8:9], v6, v10 src0_sel:BYTE_0 src1_sel:DWORD
	s_andn2_b64 s[4:5], s[4:5], exec
	s_and_b64 s[8:9], s[8:9], exec
	s_or_b64 s[4:5], s[4:5], s[8:9]
	s_or_b64 exec, exec, s[6:7]
	s_and_saveexec_b64 s[6:7], s[4:5]
	s_cbranch_execnz .LBB44_387
	s_branch .LBB44_388
.LBB44_2437:
	s_movk_i32 s4, 0x80
	v_cmp_eq_u16_sdwa s[12:13], v2, s4 src0_sel:BYTE_0 src1_sel:DWORD
	s_mov_b64 s[4:5], -1
                                        ; implicit-def: $sgpr10
	s_and_saveexec_b64 s[8:9], s[12:13]
; %bb.2438:
	s_mov_b32 s10, 0x7f800001
	s_xor_b64 s[4:5], exec, -1
; %bb.2439:
	s_or_b64 exec, exec, s[8:9]
	s_and_b64 s[4:5], s[4:5], exec
	s_or_saveexec_b64 s[6:7], s[6:7]
	v_mov_b32_e32 v11, s10
	s_xor_b64 exec, exec, s[6:7]
	s_cbranch_execz .LBB44_390
.LBB44_2440:
	v_mov_b32_e32 v11, 0
	v_cmp_ne_u16_sdwa s[8:9], v2, v11 src0_sel:BYTE_0 src1_sel:DWORD
	s_andn2_b64 s[4:5], s[4:5], exec
	s_and_b64 s[8:9], s[8:9], exec
	s_or_b64 s[4:5], s[4:5], s[8:9]
	s_or_b64 exec, exec, s[6:7]
	s_and_saveexec_b64 s[6:7], s[4:5]
	s_cbranch_execnz .LBB44_391
	s_branch .LBB44_392
.LBB44_2441:
	s_movk_i32 s4, 0x80
	v_cmp_eq_u16_sdwa s[12:13], v11, s4 src0_sel:BYTE_0 src1_sel:DWORD
	s_mov_b64 s[4:5], -1
                                        ; implicit-def: $sgpr10
	s_and_saveexec_b64 s[8:9], s[12:13]
; %bb.2442:
	s_mov_b32 s10, 0x7f800001
	s_xor_b64 s[4:5], exec, -1
; %bb.2443:
	s_or_b64 exec, exec, s[8:9]
	s_and_b64 s[4:5], s[4:5], exec
	s_or_saveexec_b64 s[6:7], s[6:7]
	v_mov_b32_e32 v10, s10
	s_xor_b64 exec, exec, s[6:7]
	s_cbranch_execz .LBB44_394
.LBB44_2444:
	v_mov_b32_e32 v10, 0
	v_cmp_ne_u16_sdwa s[8:9], v11, v10 src0_sel:BYTE_0 src1_sel:DWORD
	s_andn2_b64 s[4:5], s[4:5], exec
	s_and_b64 s[8:9], s[8:9], exec
	s_or_b64 s[4:5], s[4:5], s[8:9]
	s_or_b64 exec, exec, s[6:7]
	s_and_saveexec_b64 s[6:7], s[4:5]
	s_cbranch_execnz .LBB44_395
	s_branch .LBB44_396
.LBB44_2445:
	s_movk_i32 s4, 0x80
	v_cmp_eq_u16_sdwa s[12:13], v11, s4 src0_sel:BYTE_0 src1_sel:DWORD
	s_mov_b64 s[4:5], -1
                                        ; implicit-def: $sgpr10
	s_and_saveexec_b64 s[8:9], s[12:13]
; %bb.2446:
	s_mov_b32 s10, 0x7f800001
	s_xor_b64 s[4:5], exec, -1
; %bb.2447:
	s_or_b64 exec, exec, s[8:9]
	s_and_b64 s[4:5], s[4:5], exec
	s_or_saveexec_b64 s[6:7], s[6:7]
	v_mov_b32_e32 v12, s10
	s_xor_b64 exec, exec, s[6:7]
	s_cbranch_execz .LBB44_398
.LBB44_2448:
	v_mov_b32_e32 v12, 0
	v_cmp_ne_u16_sdwa s[8:9], v11, v12 src0_sel:BYTE_0 src1_sel:DWORD
	s_andn2_b64 s[4:5], s[4:5], exec
	s_and_b64 s[8:9], s[8:9], exec
	s_or_b64 s[4:5], s[4:5], s[8:9]
	s_or_b64 exec, exec, s[6:7]
	s_and_saveexec_b64 s[6:7], s[4:5]
	s_cbranch_execnz .LBB44_399
	s_branch .LBB44_400
.LBB44_2449:
	s_movk_i32 s4, 0x80
	v_cmp_eq_u16_e32 vcc, s4, v11
	s_mov_b64 s[4:5], -1
                                        ; implicit-def: $sgpr10
	s_and_saveexec_b64 s[8:9], vcc
; %bb.2450:
	s_mov_b32 s10, 0x7f800001
	s_xor_b64 s[4:5], exec, -1
; %bb.2451:
	s_or_b64 exec, exec, s[8:9]
	s_and_b64 s[4:5], s[4:5], exec
                                        ; implicit-def: $vgpr11
	s_or_saveexec_b64 s[6:7], s[6:7]
	v_mov_b32_e32 v10, s10
	s_xor_b64 exec, exec, s[6:7]
	s_cbranch_execz .LBB44_402
.LBB44_2452:
	v_cmp_ne_u16_e32 vcc, 0, v11
	s_andn2_b64 s[4:5], s[4:5], exec
	s_and_b64 s[8:9], vcc, exec
	v_mov_b32_e32 v10, 0
	s_or_b64 s[4:5], s[4:5], s[8:9]
	s_or_b64 exec, exec, s[6:7]
	s_and_saveexec_b64 s[6:7], s[4:5]
	s_cbranch_execnz .LBB44_403
	s_branch .LBB44_404
.LBB44_2453:
	s_movk_i32 s4, 0x80
	v_cmp_eq_u16_e32 vcc, s4, v11
	s_mov_b64 s[4:5], -1
                                        ; implicit-def: $sgpr10
	s_and_saveexec_b64 s[8:9], vcc
; %bb.2454:
	s_mov_b32 s10, 0x7f800001
	s_xor_b64 s[4:5], exec, -1
; %bb.2455:
	s_or_b64 exec, exec, s[8:9]
	s_and_b64 s[4:5], s[4:5], exec
                                        ; implicit-def: $vgpr11
	s_or_saveexec_b64 s[6:7], s[6:7]
	v_mov_b32_e32 v12, s10
	s_xor_b64 exec, exec, s[6:7]
	s_cbranch_execz .LBB44_406
.LBB44_2456:
	v_cmp_ne_u16_e32 vcc, 0, v11
	s_andn2_b64 s[4:5], s[4:5], exec
	s_and_b64 s[8:9], vcc, exec
	v_mov_b32_e32 v12, 0
	s_or_b64 s[4:5], s[4:5], s[8:9]
	s_or_b64 exec, exec, s[6:7]
	s_and_saveexec_b64 s[6:7], s[4:5]
	s_cbranch_execnz .LBB44_407
	s_branch .LBB44_408
.LBB44_2457:
	s_movk_i32 s4, 0x80
	v_cmp_eq_u16_sdwa s[12:13], v6, s4 src0_sel:BYTE_3 src1_sel:DWORD
	s_mov_b64 s[4:5], -1
                                        ; implicit-def: $sgpr10
	s_and_saveexec_b64 s[8:9], s[12:13]
; %bb.2458:
	s_mov_b32 s10, 0x7f800001
	s_xor_b64 s[4:5], exec, -1
; %bb.2459:
	s_or_b64 exec, exec, s[8:9]
	s_and_b64 s[4:5], s[4:5], exec
	s_or_saveexec_b64 s[6:7], s[6:7]
	v_mov_b32_e32 v10, s10
	s_xor_b64 exec, exec, s[6:7]
	s_cbranch_execz .LBB44_410
.LBB44_2460:
	v_mov_b32_e32 v10, 0
	v_cmp_ne_u16_sdwa s[8:9], v6, v10 src0_sel:BYTE_3 src1_sel:DWORD
	s_andn2_b64 s[4:5], s[4:5], exec
	s_and_b64 s[8:9], s[8:9], exec
	s_or_b64 s[4:5], s[4:5], s[8:9]
	s_or_b64 exec, exec, s[6:7]
	s_and_saveexec_b64 s[6:7], s[4:5]
	s_cbranch_execnz .LBB44_411
	s_branch .LBB44_412
.LBB44_2461:
	s_movk_i32 s4, 0x80
	v_cmp_eq_u16_sdwa s[12:13], v2, s4 src0_sel:BYTE_3 src1_sel:DWORD
	s_mov_b64 s[4:5], -1
                                        ; implicit-def: $sgpr10
	s_and_saveexec_b64 s[8:9], s[12:13]
; %bb.2462:
	s_mov_b32 s10, 0x7f800001
	s_xor_b64 s[4:5], exec, -1
; %bb.2463:
	s_or_b64 exec, exec, s[8:9]
	s_and_b64 s[4:5], s[4:5], exec
	s_or_saveexec_b64 s[6:7], s[6:7]
	v_mov_b32_e32 v6, s10
	s_xor_b64 exec, exec, s[6:7]
	s_cbranch_execz .LBB44_414
.LBB44_2464:
	v_mov_b32_e32 v6, 0
	v_cmp_ne_u16_sdwa s[8:9], v2, v6 src0_sel:BYTE_3 src1_sel:DWORD
	s_andn2_b64 s[4:5], s[4:5], exec
	s_and_b64 s[8:9], s[8:9], exec
	s_or_b64 s[4:5], s[4:5], s[8:9]
	s_or_b64 exec, exec, s[6:7]
	s_and_saveexec_b64 s[6:7], s[4:5]
	s_cbranch_execnz .LBB44_415
	s_branch .LBB44_416
.LBB44_2465:
	s_movk_i32 s4, 0x80
	v_cmp_eq_u16_sdwa s[12:13], v7, s4 src0_sel:BYTE_0 src1_sel:DWORD
	s_mov_b64 s[4:5], -1
                                        ; implicit-def: $sgpr10
	s_and_saveexec_b64 s[8:9], s[12:13]
; %bb.2466:
	s_mov_b32 s10, 0x7f800001
	s_xor_b64 s[4:5], exec, -1
; %bb.2467:
	s_or_b64 exec, exec, s[8:9]
	s_and_b64 s[4:5], s[4:5], exec
	s_or_saveexec_b64 s[6:7], s[6:7]
	v_mov_b32_e32 v2, s10
	s_xor_b64 exec, exec, s[6:7]
	s_cbranch_execz .LBB44_418
.LBB44_2468:
	v_mov_b32_e32 v2, 0
	v_cmp_ne_u16_sdwa s[8:9], v7, v2 src0_sel:BYTE_0 src1_sel:DWORD
	s_andn2_b64 s[4:5], s[4:5], exec
	s_and_b64 s[8:9], s[8:9], exec
	s_or_b64 s[4:5], s[4:5], s[8:9]
	s_or_b64 exec, exec, s[6:7]
	s_and_saveexec_b64 s[6:7], s[4:5]
	s_cbranch_execnz .LBB44_419
	s_branch .LBB44_420
.LBB44_2469:
	s_movk_i32 s4, 0x80
	v_cmp_eq_u16_sdwa s[12:13], v3, s4 src0_sel:BYTE_0 src1_sel:DWORD
	s_mov_b64 s[4:5], -1
                                        ; implicit-def: $sgpr10
	s_and_saveexec_b64 s[8:9], s[12:13]
; %bb.2470:
	s_mov_b32 s10, 0x7f800001
	s_xor_b64 s[4:5], exec, -1
; %bb.2471:
	s_or_b64 exec, exec, s[8:9]
	s_and_b64 s[4:5], s[4:5], exec
	s_or_saveexec_b64 s[6:7], s[6:7]
	v_mov_b32_e32 v6, s10
	s_xor_b64 exec, exec, s[6:7]
	s_cbranch_execz .LBB44_422
.LBB44_2472:
	v_mov_b32_e32 v6, 0
	v_cmp_ne_u16_sdwa s[8:9], v3, v6 src0_sel:BYTE_0 src1_sel:DWORD
	s_andn2_b64 s[4:5], s[4:5], exec
	s_and_b64 s[8:9], s[8:9], exec
	s_or_b64 s[4:5], s[4:5], s[8:9]
	s_or_b64 exec, exec, s[6:7]
	s_and_saveexec_b64 s[6:7], s[4:5]
	s_cbranch_execnz .LBB44_423
	s_branch .LBB44_424
.LBB44_2473:
	s_movk_i32 s4, 0x80
	v_cmp_eq_u16_sdwa s[12:13], v6, s4 src0_sel:BYTE_0 src1_sel:DWORD
	s_mov_b64 s[4:5], -1
                                        ; implicit-def: $sgpr10
	s_and_saveexec_b64 s[8:9], s[12:13]
; %bb.2474:
	s_mov_b32 s10, 0x7f800001
	s_xor_b64 s[4:5], exec, -1
; %bb.2475:
	s_or_b64 exec, exec, s[8:9]
	s_and_b64 s[4:5], s[4:5], exec
	s_or_saveexec_b64 s[6:7], s[6:7]
	v_mov_b32_e32 v2, s10
	s_xor_b64 exec, exec, s[6:7]
	s_cbranch_execz .LBB44_426
.LBB44_2476:
	v_mov_b32_e32 v2, 0
	v_cmp_ne_u16_sdwa s[8:9], v6, v2 src0_sel:BYTE_0 src1_sel:DWORD
	s_andn2_b64 s[4:5], s[4:5], exec
	s_and_b64 s[8:9], s[8:9], exec
	s_or_b64 s[4:5], s[4:5], s[8:9]
	s_or_b64 exec, exec, s[6:7]
	s_and_saveexec_b64 s[6:7], s[4:5]
	s_cbranch_execnz .LBB44_427
	s_branch .LBB44_428
.LBB44_2477:
	s_movk_i32 s4, 0x80
	v_cmp_eq_u16_sdwa s[12:13], v6, s4 src0_sel:BYTE_0 src1_sel:DWORD
	s_mov_b64 s[4:5], -1
                                        ; implicit-def: $sgpr10
	s_and_saveexec_b64 s[8:9], s[12:13]
; %bb.2478:
	s_mov_b32 s10, 0x7f800001
	s_xor_b64 s[4:5], exec, -1
; %bb.2479:
	s_or_b64 exec, exec, s[8:9]
	s_and_b64 s[4:5], s[4:5], exec
	s_or_saveexec_b64 s[6:7], s[6:7]
	v_mov_b32_e32 v10, s10
	s_xor_b64 exec, exec, s[6:7]
	s_cbranch_execz .LBB44_430
.LBB44_2480:
	v_mov_b32_e32 v10, 0
	v_cmp_ne_u16_sdwa s[8:9], v6, v10 src0_sel:BYTE_0 src1_sel:DWORD
	s_andn2_b64 s[4:5], s[4:5], exec
	s_and_b64 s[8:9], s[8:9], exec
	s_or_b64 s[4:5], s[4:5], s[8:9]
	s_or_b64 exec, exec, s[6:7]
	s_and_saveexec_b64 s[6:7], s[4:5]
	s_cbranch_execnz .LBB44_431
	s_branch .LBB44_432
.LBB44_2481:
	s_movk_i32 s4, 0x80
	v_cmp_eq_u16_e32 vcc, s4, v6
	s_mov_b64 s[4:5], -1
                                        ; implicit-def: $sgpr10
	s_and_saveexec_b64 s[8:9], vcc
; %bb.2482:
	s_mov_b32 s10, 0x7f800001
	s_xor_b64 s[4:5], exec, -1
; %bb.2483:
	s_or_b64 exec, exec, s[8:9]
	s_and_b64 s[4:5], s[4:5], exec
                                        ; implicit-def: $vgpr6
	s_or_saveexec_b64 s[6:7], s[6:7]
	v_mov_b32_e32 v2, s10
	s_xor_b64 exec, exec, s[6:7]
	s_cbranch_execz .LBB44_434
.LBB44_2484:
	v_cmp_ne_u16_e32 vcc, 0, v6
	s_andn2_b64 s[4:5], s[4:5], exec
	s_and_b64 s[8:9], vcc, exec
	v_mov_b32_e32 v2, 0
	s_or_b64 s[4:5], s[4:5], s[8:9]
	s_or_b64 exec, exec, s[6:7]
	s_and_saveexec_b64 s[6:7], s[4:5]
	s_cbranch_execnz .LBB44_435
	s_branch .LBB44_436
.LBB44_2485:
	s_movk_i32 s4, 0x80
	v_cmp_eq_u16_e32 vcc, s4, v6
	s_mov_b64 s[4:5], -1
                                        ; implicit-def: $sgpr10
	s_and_saveexec_b64 s[8:9], vcc
; %bb.2486:
	s_mov_b32 s10, 0x7f800001
	s_xor_b64 s[4:5], exec, -1
; %bb.2487:
	s_or_b64 exec, exec, s[8:9]
	s_and_b64 s[4:5], s[4:5], exec
                                        ; implicit-def: $vgpr6
	s_or_saveexec_b64 s[6:7], s[6:7]
	v_mov_b32_e32 v10, s10
	s_xor_b64 exec, exec, s[6:7]
	s_cbranch_execz .LBB44_438
.LBB44_2488:
	v_cmp_ne_u16_e32 vcc, 0, v6
	s_andn2_b64 s[4:5], s[4:5], exec
	s_and_b64 s[8:9], vcc, exec
	v_mov_b32_e32 v10, 0
	s_or_b64 s[4:5], s[4:5], s[8:9]
	s_or_b64 exec, exec, s[6:7]
	s_and_saveexec_b64 s[6:7], s[4:5]
	s_cbranch_execnz .LBB44_439
	s_branch .LBB44_440
.LBB44_2489:
	s_movk_i32 s4, 0x80
	v_cmp_eq_u16_sdwa s[12:13], v7, s4 src0_sel:BYTE_3 src1_sel:DWORD
	s_mov_b64 s[4:5], -1
                                        ; implicit-def: $sgpr10
	s_and_saveexec_b64 s[8:9], s[12:13]
; %bb.2490:
	s_mov_b32 s10, 0x7f800001
	s_xor_b64 s[4:5], exec, -1
; %bb.2491:
	s_or_b64 exec, exec, s[8:9]
	s_and_b64 s[4:5], s[4:5], exec
	s_or_saveexec_b64 s[6:7], s[6:7]
	v_mov_b32_e32 v2, s10
	s_xor_b64 exec, exec, s[6:7]
	s_cbranch_execz .LBB44_442
.LBB44_2492:
	v_mov_b32_e32 v2, 0
	v_cmp_ne_u16_sdwa s[8:9], v7, v2 src0_sel:BYTE_3 src1_sel:DWORD
	s_andn2_b64 s[4:5], s[4:5], exec
	s_and_b64 s[8:9], s[8:9], exec
	s_or_b64 s[4:5], s[4:5], s[8:9]
	s_or_b64 exec, exec, s[6:7]
	s_and_saveexec_b64 s[6:7], s[4:5]
	s_cbranch_execnz .LBB44_443
	s_branch .LBB44_444
.LBB44_2493:
	s_movk_i32 s4, 0x80
	v_cmp_eq_u16_sdwa s[12:13], v3, s4 src0_sel:BYTE_3 src1_sel:DWORD
	s_mov_b64 s[4:5], -1
                                        ; implicit-def: $sgpr10
	s_and_saveexec_b64 s[8:9], s[12:13]
; %bb.2494:
	s_mov_b32 s10, 0x7f800001
	s_xor_b64 s[4:5], exec, -1
; %bb.2495:
	s_or_b64 exec, exec, s[8:9]
	s_and_b64 s[4:5], s[4:5], exec
	s_or_saveexec_b64 s[6:7], s[6:7]
	v_mov_b32_e32 v6, s10
	s_xor_b64 exec, exec, s[6:7]
	s_cbranch_execz .LBB44_446
.LBB44_2496:
	v_mov_b32_e32 v6, 0
	v_cmp_ne_u16_sdwa s[8:9], v3, v6 src0_sel:BYTE_3 src1_sel:DWORD
	s_andn2_b64 s[4:5], s[4:5], exec
	s_and_b64 s[8:9], s[8:9], exec
	s_or_b64 s[4:5], s[4:5], s[8:9]
	s_or_b64 exec, exec, s[6:7]
	s_and_saveexec_b64 s[6:7], s[4:5]
	s_cbranch_execnz .LBB44_447
	s_branch .LBB44_448
.LBB44_2497:
	s_movk_i32 s4, 0x80
	v_cmp_eq_u16_sdwa s[12:13], v8, s4 src0_sel:BYTE_0 src1_sel:DWORD
	s_mov_b64 s[4:5], -1
                                        ; implicit-def: $sgpr10
	s_and_saveexec_b64 s[8:9], s[12:13]
; %bb.2498:
	s_mov_b32 s10, 0x7f800001
	s_xor_b64 s[4:5], exec, -1
; %bb.2499:
	s_or_b64 exec, exec, s[8:9]
	s_and_b64 s[4:5], s[4:5], exec
	s_or_saveexec_b64 s[6:7], s[6:7]
	v_mov_b32_e32 v2, s10
	s_xor_b64 exec, exec, s[6:7]
	s_cbranch_execz .LBB44_450
.LBB44_2500:
	v_mov_b32_e32 v2, 0
	v_cmp_ne_u16_sdwa s[8:9], v8, v2 src0_sel:BYTE_0 src1_sel:DWORD
	s_andn2_b64 s[4:5], s[4:5], exec
	s_and_b64 s[8:9], s[8:9], exec
	s_or_b64 s[4:5], s[4:5], s[8:9]
	s_or_b64 exec, exec, s[6:7]
	s_and_saveexec_b64 s[6:7], s[4:5]
	s_cbranch_execnz .LBB44_451
	s_branch .LBB44_452
.LBB44_2501:
	s_movk_i32 s4, 0x80
	v_cmp_eq_u16_sdwa s[12:13], v4, s4 src0_sel:BYTE_0 src1_sel:DWORD
	s_mov_b64 s[4:5], -1
                                        ; implicit-def: $sgpr10
	s_and_saveexec_b64 s[8:9], s[12:13]
; %bb.2502:
	s_mov_b32 s10, 0x7f800001
	s_xor_b64 s[4:5], exec, -1
; %bb.2503:
	s_or_b64 exec, exec, s[8:9]
	s_and_b64 s[4:5], s[4:5], exec
	s_or_saveexec_b64 s[6:7], s[6:7]
	v_mov_b32_e32 v3, s10
	s_xor_b64 exec, exec, s[6:7]
	s_cbranch_execz .LBB44_454
.LBB44_2504:
	v_mov_b32_e32 v3, 0
	v_cmp_ne_u16_sdwa s[8:9], v4, v3 src0_sel:BYTE_0 src1_sel:DWORD
	s_andn2_b64 s[4:5], s[4:5], exec
	s_and_b64 s[8:9], s[8:9], exec
	s_or_b64 s[4:5], s[4:5], s[8:9]
	s_or_b64 exec, exec, s[6:7]
	s_and_saveexec_b64 s[6:7], s[4:5]
	s_cbranch_execnz .LBB44_455
	s_branch .LBB44_456
.LBB44_2505:
	s_movk_i32 s4, 0x80
	v_cmp_eq_u16_sdwa s[12:13], v3, s4 src0_sel:BYTE_0 src1_sel:DWORD
	s_mov_b64 s[4:5], -1
                                        ; implicit-def: $sgpr10
	s_and_saveexec_b64 s[8:9], s[12:13]
; %bb.2506:
	s_mov_b32 s10, 0x7f800001
	s_xor_b64 s[4:5], exec, -1
; %bb.2507:
	s_or_b64 exec, exec, s[8:9]
	s_and_b64 s[4:5], s[4:5], exec
	s_or_saveexec_b64 s[6:7], s[6:7]
	v_mov_b32_e32 v2, s10
	s_xor_b64 exec, exec, s[6:7]
	s_cbranch_execz .LBB44_458
.LBB44_2508:
	v_mov_b32_e32 v2, 0
	v_cmp_ne_u16_sdwa s[8:9], v3, v2 src0_sel:BYTE_0 src1_sel:DWORD
	s_andn2_b64 s[4:5], s[4:5], exec
	s_and_b64 s[8:9], s[8:9], exec
	s_or_b64 s[4:5], s[4:5], s[8:9]
	s_or_b64 exec, exec, s[6:7]
	s_and_saveexec_b64 s[6:7], s[4:5]
	s_cbranch_execnz .LBB44_459
	s_branch .LBB44_460
.LBB44_2509:
	s_movk_i32 s4, 0x80
	v_cmp_eq_u16_sdwa s[12:13], v3, s4 src0_sel:BYTE_0 src1_sel:DWORD
	s_mov_b64 s[4:5], -1
                                        ; implicit-def: $sgpr10
	s_and_saveexec_b64 s[8:9], s[12:13]
; %bb.2510:
	s_mov_b32 s10, 0x7f800001
	s_xor_b64 s[4:5], exec, -1
; %bb.2511:
	s_or_b64 exec, exec, s[8:9]
	s_and_b64 s[4:5], s[4:5], exec
	s_or_saveexec_b64 s[6:7], s[6:7]
	v_mov_b32_e32 v6, s10
	s_xor_b64 exec, exec, s[6:7]
	s_cbranch_execz .LBB44_462
.LBB44_2512:
	v_mov_b32_e32 v6, 0
	v_cmp_ne_u16_sdwa s[8:9], v3, v6 src0_sel:BYTE_0 src1_sel:DWORD
	s_andn2_b64 s[4:5], s[4:5], exec
	s_and_b64 s[8:9], s[8:9], exec
	s_or_b64 s[4:5], s[4:5], s[8:9]
	s_or_b64 exec, exec, s[6:7]
	s_and_saveexec_b64 s[6:7], s[4:5]
	s_cbranch_execnz .LBB44_463
	s_branch .LBB44_464
.LBB44_2513:
	s_movk_i32 s4, 0x80
	v_cmp_eq_u16_e32 vcc, s4, v3
	s_mov_b64 s[4:5], -1
                                        ; implicit-def: $sgpr10
	s_and_saveexec_b64 s[8:9], vcc
; %bb.2514:
	s_mov_b32 s10, 0x7f800001
	s_xor_b64 s[4:5], exec, -1
; %bb.2515:
	s_or_b64 exec, exec, s[8:9]
	s_and_b64 s[4:5], s[4:5], exec
                                        ; implicit-def: $vgpr3
	s_or_saveexec_b64 s[6:7], s[6:7]
	v_mov_b32_e32 v2, s10
	s_xor_b64 exec, exec, s[6:7]
	s_cbranch_execz .LBB44_466
.LBB44_2516:
	v_cmp_ne_u16_e32 vcc, 0, v3
	s_andn2_b64 s[4:5], s[4:5], exec
	s_and_b64 s[8:9], vcc, exec
	v_mov_b32_e32 v2, 0
	s_or_b64 s[4:5], s[4:5], s[8:9]
	s_or_b64 exec, exec, s[6:7]
	s_and_saveexec_b64 s[6:7], s[4:5]
	s_cbranch_execnz .LBB44_467
	s_branch .LBB44_468
.LBB44_2517:
	s_movk_i32 s4, 0x80
	v_cmp_eq_u16_e32 vcc, s4, v3
	s_mov_b64 s[4:5], -1
                                        ; implicit-def: $sgpr10
	s_and_saveexec_b64 s[8:9], vcc
; %bb.2518:
	s_mov_b32 s10, 0x7f800001
	s_xor_b64 s[4:5], exec, -1
; %bb.2519:
	s_or_b64 exec, exec, s[8:9]
	s_and_b64 s[4:5], s[4:5], exec
                                        ; implicit-def: $vgpr3
	s_or_saveexec_b64 s[6:7], s[6:7]
	v_mov_b32_e32 v6, s10
	s_xor_b64 exec, exec, s[6:7]
	s_cbranch_execz .LBB44_470
.LBB44_2520:
	v_cmp_ne_u16_e32 vcc, 0, v3
	s_andn2_b64 s[4:5], s[4:5], exec
	s_and_b64 s[8:9], vcc, exec
	v_mov_b32_e32 v6, 0
	s_or_b64 s[4:5], s[4:5], s[8:9]
	s_or_b64 exec, exec, s[6:7]
	s_and_saveexec_b64 s[6:7], s[4:5]
	s_cbranch_execnz .LBB44_471
	s_branch .LBB44_472
.LBB44_2521:
	s_movk_i32 s4, 0x80
	v_cmp_eq_u16_sdwa s[12:13], v8, s4 src0_sel:BYTE_3 src1_sel:DWORD
	s_mov_b64 s[4:5], -1
                                        ; implicit-def: $sgpr10
	s_and_saveexec_b64 s[8:9], s[12:13]
; %bb.2522:
	s_mov_b32 s10, 0x7f800001
	s_xor_b64 s[4:5], exec, -1
; %bb.2523:
	s_or_b64 exec, exec, s[8:9]
	s_and_b64 s[4:5], s[4:5], exec
	s_or_saveexec_b64 s[6:7], s[6:7]
	v_mov_b32_e32 v2, s10
	s_xor_b64 exec, exec, s[6:7]
	s_cbranch_execz .LBB44_474
.LBB44_2524:
	v_mov_b32_e32 v2, 0
	v_cmp_ne_u16_sdwa s[8:9], v8, v2 src0_sel:BYTE_3 src1_sel:DWORD
	s_andn2_b64 s[4:5], s[4:5], exec
	s_and_b64 s[8:9], s[8:9], exec
	s_or_b64 s[4:5], s[4:5], s[8:9]
	s_or_b64 exec, exec, s[6:7]
	s_and_saveexec_b64 s[6:7], s[4:5]
	s_cbranch_execnz .LBB44_475
	s_branch .LBB44_476
.LBB44_2525:
	s_movk_i32 s4, 0x80
	v_cmp_eq_u16_sdwa s[12:13], v4, s4 src0_sel:BYTE_3 src1_sel:DWORD
	s_mov_b64 s[4:5], -1
                                        ; implicit-def: $sgpr10
	s_and_saveexec_b64 s[8:9], s[12:13]
; %bb.2526:
	s_mov_b32 s10, 0x7f800001
	s_xor_b64 s[4:5], exec, -1
; %bb.2527:
	s_or_b64 exec, exec, s[8:9]
	s_and_b64 s[4:5], s[4:5], exec
	s_or_saveexec_b64 s[6:7], s[6:7]
	v_mov_b32_e32 v3, s10
	s_xor_b64 exec, exec, s[6:7]
	s_cbranch_execz .LBB44_478
.LBB44_2528:
	v_mov_b32_e32 v3, 0
	v_cmp_ne_u16_sdwa s[8:9], v4, v3 src0_sel:BYTE_3 src1_sel:DWORD
	s_andn2_b64 s[4:5], s[4:5], exec
	s_and_b64 s[8:9], s[8:9], exec
	s_or_b64 s[4:5], s[4:5], s[8:9]
	s_or_b64 exec, exec, s[6:7]
	s_and_saveexec_b64 s[6:7], s[4:5]
	s_cbranch_execnz .LBB44_479
	s_branch .LBB44_480
.LBB44_2529:
	s_movk_i32 s4, 0x80
	v_cmp_eq_u16_sdwa s[12:13], v9, s4 src0_sel:BYTE_0 src1_sel:DWORD
	s_mov_b64 s[4:5], -1
                                        ; implicit-def: $sgpr10
	s_and_saveexec_b64 s[8:9], s[12:13]
; %bb.2530:
	s_mov_b32 s10, 0x7f800001
	s_xor_b64 s[4:5], exec, -1
; %bb.2531:
	s_or_b64 exec, exec, s[8:9]
	s_and_b64 s[4:5], s[4:5], exec
	s_or_saveexec_b64 s[6:7], s[6:7]
	v_mov_b32_e32 v2, s10
	s_xor_b64 exec, exec, s[6:7]
	s_cbranch_execz .LBB44_482
.LBB44_2532:
	v_mov_b32_e32 v2, 0
	v_cmp_ne_u16_sdwa s[8:9], v9, v2 src0_sel:BYTE_0 src1_sel:DWORD
	s_andn2_b64 s[4:5], s[4:5], exec
	s_and_b64 s[8:9], s[8:9], exec
	s_or_b64 s[4:5], s[4:5], s[8:9]
	s_or_b64 exec, exec, s[6:7]
	s_and_saveexec_b64 s[6:7], s[4:5]
	s_cbranch_execnz .LBB44_483
	s_branch .LBB44_484
.LBB44_2533:
	s_movk_i32 s4, 0x80
	v_cmp_eq_u16_sdwa s[12:13], v5, s4 src0_sel:BYTE_0 src1_sel:DWORD
	s_mov_b64 s[4:5], -1
                                        ; implicit-def: $sgpr10
	s_and_saveexec_b64 s[8:9], s[12:13]
; %bb.2534:
	s_mov_b32 s10, 0x7f800001
	s_xor_b64 s[4:5], exec, -1
; %bb.2535:
	s_or_b64 exec, exec, s[8:9]
	s_and_b64 s[4:5], s[4:5], exec
	s_or_saveexec_b64 s[6:7], s[6:7]
	v_mov_b32_e32 v3, s10
	s_xor_b64 exec, exec, s[6:7]
	s_cbranch_execz .LBB44_486
.LBB44_2536:
	v_mov_b32_e32 v3, 0
	v_cmp_ne_u16_sdwa s[8:9], v5, v3 src0_sel:BYTE_0 src1_sel:DWORD
	s_andn2_b64 s[4:5], s[4:5], exec
	s_and_b64 s[8:9], s[8:9], exec
	s_or_b64 s[4:5], s[4:5], s[8:9]
	s_or_b64 exec, exec, s[6:7]
	s_and_saveexec_b64 s[6:7], s[4:5]
	s_cbranch_execnz .LBB44_487
	s_branch .LBB44_488
.LBB44_2537:
	s_movk_i32 s4, 0x80
	v_cmp_eq_u16_sdwa s[12:13], v3, s4 src0_sel:BYTE_0 src1_sel:DWORD
	s_mov_b64 s[4:5], -1
                                        ; implicit-def: $sgpr10
	s_and_saveexec_b64 s[8:9], s[12:13]
; %bb.2538:
	s_mov_b32 s10, 0x7f800001
	s_xor_b64 s[4:5], exec, -1
; %bb.2539:
	s_or_b64 exec, exec, s[8:9]
	s_and_b64 s[4:5], s[4:5], exec
	s_or_saveexec_b64 s[6:7], s[6:7]
	v_mov_b32_e32 v2, s10
	s_xor_b64 exec, exec, s[6:7]
	s_cbranch_execz .LBB44_490
.LBB44_2540:
	v_mov_b32_e32 v2, 0
	v_cmp_ne_u16_sdwa s[8:9], v3, v2 src0_sel:BYTE_0 src1_sel:DWORD
	s_andn2_b64 s[4:5], s[4:5], exec
	s_and_b64 s[8:9], s[8:9], exec
	s_or_b64 s[4:5], s[4:5], s[8:9]
	s_or_b64 exec, exec, s[6:7]
	s_and_saveexec_b64 s[6:7], s[4:5]
	s_cbranch_execnz .LBB44_491
	s_branch .LBB44_492
.LBB44_2541:
	s_movk_i32 s4, 0x80
	v_cmp_eq_u16_sdwa s[12:13], v3, s4 src0_sel:BYTE_0 src1_sel:DWORD
	s_mov_b64 s[4:5], -1
                                        ; implicit-def: $sgpr10
	s_and_saveexec_b64 s[8:9], s[12:13]
; %bb.2542:
	s_mov_b32 s10, 0x7f800001
	s_xor_b64 s[4:5], exec, -1
; %bb.2543:
	s_or_b64 exec, exec, s[8:9]
	s_and_b64 s[4:5], s[4:5], exec
	s_or_saveexec_b64 s[6:7], s[6:7]
	v_mov_b32_e32 v4, s10
	s_xor_b64 exec, exec, s[6:7]
	s_cbranch_execz .LBB44_494
.LBB44_2544:
	v_mov_b32_e32 v4, 0
	v_cmp_ne_u16_sdwa s[8:9], v3, v4 src0_sel:BYTE_0 src1_sel:DWORD
	s_andn2_b64 s[4:5], s[4:5], exec
	s_and_b64 s[8:9], s[8:9], exec
	s_or_b64 s[4:5], s[4:5], s[8:9]
	s_or_b64 exec, exec, s[6:7]
	s_and_saveexec_b64 s[6:7], s[4:5]
	s_cbranch_execnz .LBB44_495
	s_branch .LBB44_496
.LBB44_2545:
	s_movk_i32 s4, 0x80
	v_cmp_eq_u16_e32 vcc, s4, v3
	s_mov_b64 s[4:5], -1
                                        ; implicit-def: $sgpr10
	s_and_saveexec_b64 s[8:9], vcc
; %bb.2546:
	s_mov_b32 s10, 0x7f800001
	s_xor_b64 s[4:5], exec, -1
; %bb.2547:
	s_or_b64 exec, exec, s[8:9]
	s_and_b64 s[4:5], s[4:5], exec
                                        ; implicit-def: $vgpr3
	s_or_saveexec_b64 s[6:7], s[6:7]
	v_mov_b32_e32 v2, s10
	s_xor_b64 exec, exec, s[6:7]
	s_cbranch_execz .LBB44_498
.LBB44_2548:
	v_cmp_ne_u16_e32 vcc, 0, v3
	s_andn2_b64 s[4:5], s[4:5], exec
	s_and_b64 s[8:9], vcc, exec
	v_mov_b32_e32 v2, 0
	s_or_b64 s[4:5], s[4:5], s[8:9]
	s_or_b64 exec, exec, s[6:7]
	s_and_saveexec_b64 s[6:7], s[4:5]
	s_cbranch_execnz .LBB44_499
	s_branch .LBB44_500
.LBB44_2549:
	s_movk_i32 s4, 0x80
	v_cmp_eq_u16_e32 vcc, s4, v3
	s_mov_b64 s[4:5], -1
                                        ; implicit-def: $sgpr10
	s_and_saveexec_b64 s[8:9], vcc
; %bb.2550:
	s_mov_b32 s10, 0x7f800001
	s_xor_b64 s[4:5], exec, -1
; %bb.2551:
	s_or_b64 exec, exec, s[8:9]
	s_and_b64 s[4:5], s[4:5], exec
                                        ; implicit-def: $vgpr3
	s_or_saveexec_b64 s[6:7], s[6:7]
	v_mov_b32_e32 v4, s10
	s_xor_b64 exec, exec, s[6:7]
	s_cbranch_execz .LBB44_502
.LBB44_2552:
	v_cmp_ne_u16_e32 vcc, 0, v3
	s_andn2_b64 s[4:5], s[4:5], exec
	s_and_b64 s[8:9], vcc, exec
	v_mov_b32_e32 v4, 0
	s_or_b64 s[4:5], s[4:5], s[8:9]
	s_or_b64 exec, exec, s[6:7]
	s_and_saveexec_b64 s[6:7], s[4:5]
	s_cbranch_execnz .LBB44_503
	s_branch .LBB44_504
.LBB44_2553:
	s_movk_i32 s4, 0x80
	v_cmp_eq_u16_sdwa s[12:13], v9, s4 src0_sel:BYTE_3 src1_sel:DWORD
	s_mov_b64 s[4:5], -1
                                        ; implicit-def: $sgpr10
	s_and_saveexec_b64 s[8:9], s[12:13]
; %bb.2554:
	s_mov_b32 s10, 0x7f800001
	s_xor_b64 s[4:5], exec, -1
; %bb.2555:
	s_or_b64 exec, exec, s[8:9]
	s_and_b64 s[4:5], s[4:5], exec
	s_or_saveexec_b64 s[6:7], s[6:7]
	v_mov_b32_e32 v2, s10
	s_xor_b64 exec, exec, s[6:7]
	s_cbranch_execz .LBB44_506
.LBB44_2556:
	v_mov_b32_e32 v2, 0
	v_cmp_ne_u16_sdwa s[8:9], v9, v2 src0_sel:BYTE_3 src1_sel:DWORD
	s_andn2_b64 s[4:5], s[4:5], exec
	s_and_b64 s[8:9], s[8:9], exec
	s_or_b64 s[4:5], s[4:5], s[8:9]
	s_or_b64 exec, exec, s[6:7]
	s_and_saveexec_b64 s[6:7], s[4:5]
	s_cbranch_execnz .LBB44_507
	s_branch .LBB44_508
.LBB44_2557:
	s_movk_i32 s4, 0x80
	v_cmp_eq_u16_sdwa s[12:13], v5, s4 src0_sel:BYTE_3 src1_sel:DWORD
	s_mov_b64 s[4:5], -1
                                        ; implicit-def: $sgpr10
	s_and_saveexec_b64 s[8:9], s[12:13]
; %bb.2558:
	s_mov_b32 s10, 0x7f800001
	s_xor_b64 s[4:5], exec, -1
; %bb.2559:
	s_or_b64 exec, exec, s[8:9]
	s_and_b64 s[4:5], s[4:5], exec
	s_or_saveexec_b64 s[6:7], s[6:7]
	v_mov_b32_e32 v3, s10
	s_xor_b64 exec, exec, s[6:7]
	s_cbranch_execz .LBB44_510
.LBB44_2560:
	v_mov_b32_e32 v3, 0
	v_cmp_ne_u16_sdwa s[8:9], v5, v3 src0_sel:BYTE_3 src1_sel:DWORD
	s_andn2_b64 s[4:5], s[4:5], exec
	s_and_b64 s[8:9], s[8:9], exec
	s_or_b64 s[4:5], s[4:5], s[8:9]
	s_or_b64 exec, exec, s[6:7]
	s_and_saveexec_b64 s[6:7], s[4:5]
	s_cbranch_execnz .LBB44_511
	s_branch .LBB44_512
.LBB44_2561:
	s_movk_i32 s4, 0x80
	v_cmp_eq_u16_sdwa s[12:13], v14, s4 src0_sel:BYTE_0 src1_sel:DWORD
	s_mov_b64 s[4:5], -1
                                        ; implicit-def: $sgpr10
	s_and_saveexec_b64 s[8:9], s[12:13]
; %bb.2562:
	s_mov_b32 s10, 0x7f800001
	s_xor_b64 s[4:5], exec, -1
; %bb.2563:
	s_or_b64 exec, exec, s[8:9]
	s_and_b64 s[4:5], s[4:5], exec
	s_or_saveexec_b64 s[6:7], s[6:7]
	v_mov_b32_e32 v20, s10
	s_xor_b64 exec, exec, s[6:7]
	s_cbranch_execz .LBB44_514
.LBB44_2564:
	v_mov_b32_e32 v20, 0
	v_cmp_ne_u16_sdwa s[8:9], v14, v20 src0_sel:BYTE_0 src1_sel:DWORD
	s_andn2_b64 s[4:5], s[4:5], exec
	s_and_b64 s[8:9], s[8:9], exec
	s_or_b64 s[4:5], s[4:5], s[8:9]
	s_or_b64 exec, exec, s[6:7]
	s_and_saveexec_b64 s[6:7], s[4:5]
	s_cbranch_execnz .LBB44_515
	s_branch .LBB44_516
.LBB44_2565:
	s_movk_i32 s4, 0x80
	v_cmp_eq_u16_sdwa s[12:13], v10, s4 src0_sel:BYTE_0 src1_sel:DWORD
	s_mov_b64 s[4:5], -1
                                        ; implicit-def: $sgpr10
	s_and_saveexec_b64 s[8:9], s[12:13]
; %bb.2566:
	s_mov_b32 s10, 0x7f800001
	s_xor_b64 s[4:5], exec, -1
; %bb.2567:
	s_or_b64 exec, exec, s[8:9]
	s_and_b64 s[4:5], s[4:5], exec
	s_or_saveexec_b64 s[6:7], s[6:7]
	v_mov_b32_e32 v21, s10
	s_xor_b64 exec, exec, s[6:7]
	s_cbranch_execz .LBB44_518
.LBB44_2568:
	v_mov_b32_e32 v21, 0
	v_cmp_ne_u16_sdwa s[8:9], v10, v21 src0_sel:BYTE_0 src1_sel:DWORD
	s_andn2_b64 s[4:5], s[4:5], exec
	s_and_b64 s[8:9], s[8:9], exec
	s_or_b64 s[4:5], s[4:5], s[8:9]
	s_or_b64 exec, exec, s[6:7]
	s_and_saveexec_b64 s[6:7], s[4:5]
	s_cbranch_execnz .LBB44_519
	s_branch .LBB44_520
.LBB44_2569:
	s_movk_i32 s4, 0x80
	v_cmp_eq_u16_sdwa s[12:13], v21, s4 src0_sel:BYTE_0 src1_sel:DWORD
	s_mov_b64 s[4:5], -1
                                        ; implicit-def: $sgpr10
	s_and_saveexec_b64 s[8:9], s[12:13]
; %bb.2570:
	s_mov_b32 s10, 0x7f800001
	s_xor_b64 s[4:5], exec, -1
; %bb.2571:
	s_or_b64 exec, exec, s[8:9]
	s_and_b64 s[4:5], s[4:5], exec
	s_or_saveexec_b64 s[6:7], s[6:7]
	v_mov_b32_e32 v20, s10
	s_xor_b64 exec, exec, s[6:7]
	s_cbranch_execz .LBB44_522
.LBB44_2572:
	v_mov_b32_e32 v20, 0
	v_cmp_ne_u16_sdwa s[8:9], v21, v20 src0_sel:BYTE_0 src1_sel:DWORD
	s_andn2_b64 s[4:5], s[4:5], exec
	s_and_b64 s[8:9], s[8:9], exec
	s_or_b64 s[4:5], s[4:5], s[8:9]
	s_or_b64 exec, exec, s[6:7]
	s_and_saveexec_b64 s[6:7], s[4:5]
	s_cbranch_execnz .LBB44_523
	s_branch .LBB44_524
.LBB44_2573:
	s_movk_i32 s4, 0x80
	v_cmp_eq_u16_sdwa s[12:13], v21, s4 src0_sel:BYTE_0 src1_sel:DWORD
	s_mov_b64 s[4:5], -1
                                        ; implicit-def: $sgpr10
	s_and_saveexec_b64 s[8:9], s[12:13]
; %bb.2574:
	s_mov_b32 s10, 0x7f800001
	s_xor_b64 s[4:5], exec, -1
; %bb.2575:
	s_or_b64 exec, exec, s[8:9]
	s_and_b64 s[4:5], s[4:5], exec
	s_or_saveexec_b64 s[6:7], s[6:7]
	v_mov_b32_e32 v22, s10
	s_xor_b64 exec, exec, s[6:7]
	s_cbranch_execz .LBB44_526
.LBB44_2576:
	v_mov_b32_e32 v22, 0
	v_cmp_ne_u16_sdwa s[8:9], v21, v22 src0_sel:BYTE_0 src1_sel:DWORD
	s_andn2_b64 s[4:5], s[4:5], exec
	s_and_b64 s[8:9], s[8:9], exec
	s_or_b64 s[4:5], s[4:5], s[8:9]
	s_or_b64 exec, exec, s[6:7]
	s_and_saveexec_b64 s[6:7], s[4:5]
	s_cbranch_execnz .LBB44_527
	s_branch .LBB44_528
.LBB44_2577:
	s_movk_i32 s4, 0x80
	v_cmp_eq_u16_e32 vcc, s4, v21
	s_mov_b64 s[4:5], -1
                                        ; implicit-def: $sgpr10
	s_and_saveexec_b64 s[8:9], vcc
; %bb.2578:
	s_mov_b32 s10, 0x7f800001
	s_xor_b64 s[4:5], exec, -1
; %bb.2579:
	s_or_b64 exec, exec, s[8:9]
	s_and_b64 s[4:5], s[4:5], exec
                                        ; implicit-def: $vgpr21
	s_or_saveexec_b64 s[6:7], s[6:7]
	v_mov_b32_e32 v20, s10
	s_xor_b64 exec, exec, s[6:7]
	s_cbranch_execz .LBB44_530
.LBB44_2580:
	v_cmp_ne_u16_e32 vcc, 0, v21
	s_andn2_b64 s[4:5], s[4:5], exec
	s_and_b64 s[8:9], vcc, exec
	v_mov_b32_e32 v20, 0
	s_or_b64 s[4:5], s[4:5], s[8:9]
	s_or_b64 exec, exec, s[6:7]
	s_and_saveexec_b64 s[6:7], s[4:5]
	s_cbranch_execnz .LBB44_531
	s_branch .LBB44_532
.LBB44_2581:
	s_movk_i32 s4, 0x80
	v_cmp_eq_u16_e32 vcc, s4, v21
	s_mov_b64 s[4:5], -1
                                        ; implicit-def: $sgpr10
	s_and_saveexec_b64 s[8:9], vcc
; %bb.2582:
	s_mov_b32 s10, 0x7f800001
	s_xor_b64 s[4:5], exec, -1
; %bb.2583:
	s_or_b64 exec, exec, s[8:9]
	s_and_b64 s[4:5], s[4:5], exec
                                        ; implicit-def: $vgpr21
	s_or_saveexec_b64 s[6:7], s[6:7]
	v_mov_b32_e32 v22, s10
	s_xor_b64 exec, exec, s[6:7]
	s_cbranch_execz .LBB44_534
.LBB44_2584:
	v_cmp_ne_u16_e32 vcc, 0, v21
	s_andn2_b64 s[4:5], s[4:5], exec
	s_and_b64 s[8:9], vcc, exec
	v_mov_b32_e32 v22, 0
	s_or_b64 s[4:5], s[4:5], s[8:9]
	s_or_b64 exec, exec, s[6:7]
	s_and_saveexec_b64 s[6:7], s[4:5]
	s_cbranch_execnz .LBB44_535
	s_branch .LBB44_536
.LBB44_2585:
	s_movk_i32 s4, 0x80
	v_cmp_eq_u16_sdwa s[12:13], v14, s4 src0_sel:BYTE_3 src1_sel:DWORD
	s_mov_b64 s[4:5], -1
                                        ; implicit-def: $sgpr10
	s_and_saveexec_b64 s[8:9], s[12:13]
; %bb.2586:
	s_mov_b32 s10, 0x7f800001
	s_xor_b64 s[4:5], exec, -1
; %bb.2587:
	s_or_b64 exec, exec, s[8:9]
	s_and_b64 s[4:5], s[4:5], exec
	s_or_saveexec_b64 s[6:7], s[6:7]
	v_mov_b32_e32 v20, s10
	s_xor_b64 exec, exec, s[6:7]
	s_cbranch_execz .LBB44_538
.LBB44_2588:
	v_mov_b32_e32 v20, 0
	v_cmp_ne_u16_sdwa s[8:9], v14, v20 src0_sel:BYTE_3 src1_sel:DWORD
	s_andn2_b64 s[4:5], s[4:5], exec
	s_and_b64 s[8:9], s[8:9], exec
	s_or_b64 s[4:5], s[4:5], s[8:9]
	s_or_b64 exec, exec, s[6:7]
	s_and_saveexec_b64 s[6:7], s[4:5]
	s_cbranch_execnz .LBB44_539
	s_branch .LBB44_540
.LBB44_2589:
	s_movk_i32 s4, 0x80
	v_cmp_eq_u16_sdwa s[12:13], v10, s4 src0_sel:BYTE_3 src1_sel:DWORD
	s_mov_b64 s[4:5], -1
                                        ; implicit-def: $sgpr10
	s_and_saveexec_b64 s[8:9], s[12:13]
; %bb.2590:
	s_mov_b32 s10, 0x7f800001
	s_xor_b64 s[4:5], exec, -1
; %bb.2591:
	s_or_b64 exec, exec, s[8:9]
	s_and_b64 s[4:5], s[4:5], exec
	s_or_saveexec_b64 s[6:7], s[6:7]
	v_mov_b32_e32 v14, s10
	s_xor_b64 exec, exec, s[6:7]
	s_cbranch_execz .LBB44_542
.LBB44_2592:
	v_mov_b32_e32 v14, 0
	v_cmp_ne_u16_sdwa s[8:9], v10, v14 src0_sel:BYTE_3 src1_sel:DWORD
	s_andn2_b64 s[4:5], s[4:5], exec
	s_and_b64 s[8:9], s[8:9], exec
	s_or_b64 s[4:5], s[4:5], s[8:9]
	s_or_b64 exec, exec, s[6:7]
	s_and_saveexec_b64 s[6:7], s[4:5]
	s_cbranch_execnz .LBB44_543
	s_branch .LBB44_544
.LBB44_2593:
	s_movk_i32 s4, 0x80
	v_cmp_eq_u16_sdwa s[12:13], v15, s4 src0_sel:BYTE_0 src1_sel:DWORD
	s_mov_b64 s[4:5], -1
                                        ; implicit-def: $sgpr10
	s_and_saveexec_b64 s[8:9], s[12:13]
; %bb.2594:
	s_mov_b32 s10, 0x7f800001
	s_xor_b64 s[4:5], exec, -1
; %bb.2595:
	s_or_b64 exec, exec, s[8:9]
	s_and_b64 s[4:5], s[4:5], exec
	s_or_saveexec_b64 s[6:7], s[6:7]
	v_mov_b32_e32 v10, s10
	s_xor_b64 exec, exec, s[6:7]
	s_cbranch_execz .LBB44_546
.LBB44_2596:
	v_mov_b32_e32 v10, 0
	v_cmp_ne_u16_sdwa s[8:9], v15, v10 src0_sel:BYTE_0 src1_sel:DWORD
	s_andn2_b64 s[4:5], s[4:5], exec
	s_and_b64 s[8:9], s[8:9], exec
	s_or_b64 s[4:5], s[4:5], s[8:9]
	s_or_b64 exec, exec, s[6:7]
	s_and_saveexec_b64 s[6:7], s[4:5]
	s_cbranch_execnz .LBB44_547
	s_branch .LBB44_548
.LBB44_2597:
	s_movk_i32 s4, 0x80
	v_cmp_eq_u16_sdwa s[12:13], v11, s4 src0_sel:BYTE_0 src1_sel:DWORD
	s_mov_b64 s[4:5], -1
                                        ; implicit-def: $sgpr10
	s_and_saveexec_b64 s[8:9], s[12:13]
; %bb.2598:
	s_mov_b32 s10, 0x7f800001
	s_xor_b64 s[4:5], exec, -1
; %bb.2599:
	s_or_b64 exec, exec, s[8:9]
	s_and_b64 s[4:5], s[4:5], exec
	s_or_saveexec_b64 s[6:7], s[6:7]
	v_mov_b32_e32 v14, s10
	s_xor_b64 exec, exec, s[6:7]
	s_cbranch_execz .LBB44_550
.LBB44_2600:
	v_mov_b32_e32 v14, 0
	v_cmp_ne_u16_sdwa s[8:9], v11, v14 src0_sel:BYTE_0 src1_sel:DWORD
	s_andn2_b64 s[4:5], s[4:5], exec
	s_and_b64 s[8:9], s[8:9], exec
	s_or_b64 s[4:5], s[4:5], s[8:9]
	s_or_b64 exec, exec, s[6:7]
	s_and_saveexec_b64 s[6:7], s[4:5]
	s_cbranch_execnz .LBB44_551
	s_branch .LBB44_552
.LBB44_2601:
	s_movk_i32 s4, 0x80
	v_cmp_eq_u16_sdwa s[12:13], v14, s4 src0_sel:BYTE_0 src1_sel:DWORD
	s_mov_b64 s[4:5], -1
                                        ; implicit-def: $sgpr10
	s_and_saveexec_b64 s[8:9], s[12:13]
; %bb.2602:
	s_mov_b32 s10, 0x7f800001
	s_xor_b64 s[4:5], exec, -1
; %bb.2603:
	s_or_b64 exec, exec, s[8:9]
	s_and_b64 s[4:5], s[4:5], exec
	s_or_saveexec_b64 s[6:7], s[6:7]
	v_mov_b32_e32 v10, s10
	s_xor_b64 exec, exec, s[6:7]
	s_cbranch_execz .LBB44_554
.LBB44_2604:
	v_mov_b32_e32 v10, 0
	v_cmp_ne_u16_sdwa s[8:9], v14, v10 src0_sel:BYTE_0 src1_sel:DWORD
	s_andn2_b64 s[4:5], s[4:5], exec
	s_and_b64 s[8:9], s[8:9], exec
	s_or_b64 s[4:5], s[4:5], s[8:9]
	s_or_b64 exec, exec, s[6:7]
	s_and_saveexec_b64 s[6:7], s[4:5]
	s_cbranch_execnz .LBB44_555
	s_branch .LBB44_556
.LBB44_2605:
	s_movk_i32 s4, 0x80
	v_cmp_eq_u16_sdwa s[12:13], v14, s4 src0_sel:BYTE_0 src1_sel:DWORD
	s_mov_b64 s[4:5], -1
                                        ; implicit-def: $sgpr10
	s_and_saveexec_b64 s[8:9], s[12:13]
; %bb.2606:
	s_mov_b32 s10, 0x7f800001
	s_xor_b64 s[4:5], exec, -1
; %bb.2607:
	s_or_b64 exec, exec, s[8:9]
	s_and_b64 s[4:5], s[4:5], exec
	s_or_saveexec_b64 s[6:7], s[6:7]
	v_mov_b32_e32 v20, s10
	s_xor_b64 exec, exec, s[6:7]
	s_cbranch_execz .LBB44_558
.LBB44_2608:
	v_mov_b32_e32 v20, 0
	v_cmp_ne_u16_sdwa s[8:9], v14, v20 src0_sel:BYTE_0 src1_sel:DWORD
	s_andn2_b64 s[4:5], s[4:5], exec
	s_and_b64 s[8:9], s[8:9], exec
	s_or_b64 s[4:5], s[4:5], s[8:9]
	s_or_b64 exec, exec, s[6:7]
	s_and_saveexec_b64 s[6:7], s[4:5]
	s_cbranch_execnz .LBB44_559
	s_branch .LBB44_560
.LBB44_2609:
	s_movk_i32 s4, 0x80
	v_cmp_eq_u16_e32 vcc, s4, v14
	s_mov_b64 s[4:5], -1
                                        ; implicit-def: $sgpr10
	s_and_saveexec_b64 s[8:9], vcc
; %bb.2610:
	s_mov_b32 s10, 0x7f800001
	s_xor_b64 s[4:5], exec, -1
; %bb.2611:
	s_or_b64 exec, exec, s[8:9]
	s_and_b64 s[4:5], s[4:5], exec
                                        ; implicit-def: $vgpr14
	s_or_saveexec_b64 s[6:7], s[6:7]
	v_mov_b32_e32 v10, s10
	s_xor_b64 exec, exec, s[6:7]
	s_cbranch_execz .LBB44_562
.LBB44_2612:
	v_cmp_ne_u16_e32 vcc, 0, v14
	s_andn2_b64 s[4:5], s[4:5], exec
	s_and_b64 s[8:9], vcc, exec
	v_mov_b32_e32 v10, 0
	s_or_b64 s[4:5], s[4:5], s[8:9]
	s_or_b64 exec, exec, s[6:7]
	s_and_saveexec_b64 s[6:7], s[4:5]
	s_cbranch_execnz .LBB44_563
	s_branch .LBB44_564
.LBB44_2613:
	s_movk_i32 s4, 0x80
	v_cmp_eq_u16_e32 vcc, s4, v14
	s_mov_b64 s[4:5], -1
                                        ; implicit-def: $sgpr10
	s_and_saveexec_b64 s[8:9], vcc
; %bb.2614:
	s_mov_b32 s10, 0x7f800001
	s_xor_b64 s[4:5], exec, -1
; %bb.2615:
	s_or_b64 exec, exec, s[8:9]
	s_and_b64 s[4:5], s[4:5], exec
                                        ; implicit-def: $vgpr14
	s_or_saveexec_b64 s[6:7], s[6:7]
	v_mov_b32_e32 v20, s10
	s_xor_b64 exec, exec, s[6:7]
	s_cbranch_execz .LBB44_566
.LBB44_2616:
	v_cmp_ne_u16_e32 vcc, 0, v14
	s_andn2_b64 s[4:5], s[4:5], exec
	s_and_b64 s[8:9], vcc, exec
	v_mov_b32_e32 v20, 0
	s_or_b64 s[4:5], s[4:5], s[8:9]
	s_or_b64 exec, exec, s[6:7]
	s_and_saveexec_b64 s[6:7], s[4:5]
	s_cbranch_execnz .LBB44_567
	s_branch .LBB44_568
.LBB44_2617:
	s_movk_i32 s4, 0x80
	v_cmp_eq_u16_sdwa s[12:13], v15, s4 src0_sel:BYTE_3 src1_sel:DWORD
	s_mov_b64 s[4:5], -1
                                        ; implicit-def: $sgpr10
	s_and_saveexec_b64 s[8:9], s[12:13]
; %bb.2618:
	s_mov_b32 s10, 0x7f800001
	s_xor_b64 s[4:5], exec, -1
; %bb.2619:
	s_or_b64 exec, exec, s[8:9]
	s_and_b64 s[4:5], s[4:5], exec
	s_or_saveexec_b64 s[6:7], s[6:7]
	v_mov_b32_e32 v10, s10
	s_xor_b64 exec, exec, s[6:7]
	s_cbranch_execz .LBB44_570
.LBB44_2620:
	v_mov_b32_e32 v10, 0
	v_cmp_ne_u16_sdwa s[8:9], v15, v10 src0_sel:BYTE_3 src1_sel:DWORD
	s_andn2_b64 s[4:5], s[4:5], exec
	s_and_b64 s[8:9], s[8:9], exec
	s_or_b64 s[4:5], s[4:5], s[8:9]
	s_or_b64 exec, exec, s[6:7]
	s_and_saveexec_b64 s[6:7], s[4:5]
	s_cbranch_execnz .LBB44_571
	s_branch .LBB44_572
.LBB44_2621:
	s_movk_i32 s4, 0x80
	v_cmp_eq_u16_sdwa s[12:13], v11, s4 src0_sel:BYTE_3 src1_sel:DWORD
	s_mov_b64 s[4:5], -1
                                        ; implicit-def: $sgpr10
	s_and_saveexec_b64 s[8:9], s[12:13]
; %bb.2622:
	s_mov_b32 s10, 0x7f800001
	s_xor_b64 s[4:5], exec, -1
; %bb.2623:
	s_or_b64 exec, exec, s[8:9]
	s_and_b64 s[4:5], s[4:5], exec
	s_or_saveexec_b64 s[6:7], s[6:7]
	v_mov_b32_e32 v14, s10
	s_xor_b64 exec, exec, s[6:7]
	s_cbranch_execz .LBB44_574
.LBB44_2624:
	v_mov_b32_e32 v14, 0
	v_cmp_ne_u16_sdwa s[8:9], v11, v14 src0_sel:BYTE_3 src1_sel:DWORD
	s_andn2_b64 s[4:5], s[4:5], exec
	s_and_b64 s[8:9], s[8:9], exec
	s_or_b64 s[4:5], s[4:5], s[8:9]
	s_or_b64 exec, exec, s[6:7]
	s_and_saveexec_b64 s[6:7], s[4:5]
	s_cbranch_execnz .LBB44_575
	s_branch .LBB44_576
.LBB44_2625:
	s_movk_i32 s4, 0x80
	v_cmp_eq_u16_sdwa s[12:13], v16, s4 src0_sel:BYTE_0 src1_sel:DWORD
	s_mov_b64 s[4:5], -1
                                        ; implicit-def: $sgpr10
	s_and_saveexec_b64 s[8:9], s[12:13]
; %bb.2626:
	s_mov_b32 s10, 0x7f800001
	s_xor_b64 s[4:5], exec, -1
; %bb.2627:
	s_or_b64 exec, exec, s[8:9]
	s_and_b64 s[4:5], s[4:5], exec
	s_or_saveexec_b64 s[6:7], s[6:7]
	v_mov_b32_e32 v10, s10
	s_xor_b64 exec, exec, s[6:7]
	s_cbranch_execz .LBB44_578
.LBB44_2628:
	v_mov_b32_e32 v10, 0
	v_cmp_ne_u16_sdwa s[8:9], v16, v10 src0_sel:BYTE_0 src1_sel:DWORD
	s_andn2_b64 s[4:5], s[4:5], exec
	s_and_b64 s[8:9], s[8:9], exec
	s_or_b64 s[4:5], s[4:5], s[8:9]
	s_or_b64 exec, exec, s[6:7]
	s_and_saveexec_b64 s[6:7], s[4:5]
	s_cbranch_execnz .LBB44_579
	s_branch .LBB44_580
.LBB44_2629:
	s_movk_i32 s4, 0x80
	v_cmp_eq_u16_sdwa s[12:13], v12, s4 src0_sel:BYTE_0 src1_sel:DWORD
	s_mov_b64 s[4:5], -1
                                        ; implicit-def: $sgpr10
	s_and_saveexec_b64 s[8:9], s[12:13]
; %bb.2630:
	s_mov_b32 s10, 0x7f800001
	s_xor_b64 s[4:5], exec, -1
; %bb.2631:
	s_or_b64 exec, exec, s[8:9]
	s_and_b64 s[4:5], s[4:5], exec
	s_or_saveexec_b64 s[6:7], s[6:7]
	v_mov_b32_e32 v11, s10
	s_xor_b64 exec, exec, s[6:7]
	s_cbranch_execz .LBB44_582
.LBB44_2632:
	v_mov_b32_e32 v11, 0
	v_cmp_ne_u16_sdwa s[8:9], v12, v11 src0_sel:BYTE_0 src1_sel:DWORD
	s_andn2_b64 s[4:5], s[4:5], exec
	s_and_b64 s[8:9], s[8:9], exec
	s_or_b64 s[4:5], s[4:5], s[8:9]
	s_or_b64 exec, exec, s[6:7]
	s_and_saveexec_b64 s[6:7], s[4:5]
	s_cbranch_execnz .LBB44_583
	s_branch .LBB44_584
.LBB44_2633:
	s_movk_i32 s4, 0x80
	v_cmp_eq_u16_sdwa s[12:13], v11, s4 src0_sel:BYTE_0 src1_sel:DWORD
	s_mov_b64 s[4:5], -1
                                        ; implicit-def: $sgpr10
	s_and_saveexec_b64 s[8:9], s[12:13]
; %bb.2634:
	s_mov_b32 s10, 0x7f800001
	s_xor_b64 s[4:5], exec, -1
; %bb.2635:
	s_or_b64 exec, exec, s[8:9]
	s_and_b64 s[4:5], s[4:5], exec
	s_or_saveexec_b64 s[6:7], s[6:7]
	v_mov_b32_e32 v10, s10
	s_xor_b64 exec, exec, s[6:7]
	s_cbranch_execz .LBB44_586
.LBB44_2636:
	v_mov_b32_e32 v10, 0
	v_cmp_ne_u16_sdwa s[8:9], v11, v10 src0_sel:BYTE_0 src1_sel:DWORD
	s_andn2_b64 s[4:5], s[4:5], exec
	s_and_b64 s[8:9], s[8:9], exec
	s_or_b64 s[4:5], s[4:5], s[8:9]
	s_or_b64 exec, exec, s[6:7]
	s_and_saveexec_b64 s[6:7], s[4:5]
	s_cbranch_execnz .LBB44_587
	s_branch .LBB44_588
.LBB44_2637:
	s_movk_i32 s4, 0x80
	v_cmp_eq_u16_sdwa s[12:13], v11, s4 src0_sel:BYTE_0 src1_sel:DWORD
	s_mov_b64 s[4:5], -1
                                        ; implicit-def: $sgpr10
	s_and_saveexec_b64 s[8:9], s[12:13]
; %bb.2638:
	s_mov_b32 s10, 0x7f800001
	s_xor_b64 s[4:5], exec, -1
; %bb.2639:
	s_or_b64 exec, exec, s[8:9]
	s_and_b64 s[4:5], s[4:5], exec
	s_or_saveexec_b64 s[6:7], s[6:7]
	v_mov_b32_e32 v14, s10
	s_xor_b64 exec, exec, s[6:7]
	s_cbranch_execz .LBB44_590
.LBB44_2640:
	v_mov_b32_e32 v14, 0
	v_cmp_ne_u16_sdwa s[8:9], v11, v14 src0_sel:BYTE_0 src1_sel:DWORD
	s_andn2_b64 s[4:5], s[4:5], exec
	s_and_b64 s[8:9], s[8:9], exec
	s_or_b64 s[4:5], s[4:5], s[8:9]
	s_or_b64 exec, exec, s[6:7]
	s_and_saveexec_b64 s[6:7], s[4:5]
	s_cbranch_execnz .LBB44_591
	s_branch .LBB44_592
.LBB44_2641:
	s_movk_i32 s4, 0x80
	v_cmp_eq_u16_e32 vcc, s4, v11
	s_mov_b64 s[4:5], -1
                                        ; implicit-def: $sgpr10
	s_and_saveexec_b64 s[8:9], vcc
; %bb.2642:
	s_mov_b32 s10, 0x7f800001
	s_xor_b64 s[4:5], exec, -1
; %bb.2643:
	s_or_b64 exec, exec, s[8:9]
	s_and_b64 s[4:5], s[4:5], exec
                                        ; implicit-def: $vgpr11
	s_or_saveexec_b64 s[6:7], s[6:7]
	v_mov_b32_e32 v10, s10
	s_xor_b64 exec, exec, s[6:7]
	s_cbranch_execz .LBB44_594
.LBB44_2644:
	v_cmp_ne_u16_e32 vcc, 0, v11
	s_andn2_b64 s[4:5], s[4:5], exec
	s_and_b64 s[8:9], vcc, exec
	v_mov_b32_e32 v10, 0
	s_or_b64 s[4:5], s[4:5], s[8:9]
	s_or_b64 exec, exec, s[6:7]
	s_and_saveexec_b64 s[6:7], s[4:5]
	s_cbranch_execnz .LBB44_595
	s_branch .LBB44_596
.LBB44_2645:
	s_movk_i32 s4, 0x80
	v_cmp_eq_u16_e32 vcc, s4, v11
	s_mov_b64 s[4:5], -1
                                        ; implicit-def: $sgpr10
	s_and_saveexec_b64 s[8:9], vcc
; %bb.2646:
	s_mov_b32 s10, 0x7f800001
	s_xor_b64 s[4:5], exec, -1
; %bb.2647:
	s_or_b64 exec, exec, s[8:9]
	s_and_b64 s[4:5], s[4:5], exec
                                        ; implicit-def: $vgpr11
	s_or_saveexec_b64 s[6:7], s[6:7]
	v_mov_b32_e32 v14, s10
	s_xor_b64 exec, exec, s[6:7]
	s_cbranch_execz .LBB44_598
.LBB44_2648:
	v_cmp_ne_u16_e32 vcc, 0, v11
	s_andn2_b64 s[4:5], s[4:5], exec
	s_and_b64 s[8:9], vcc, exec
	v_mov_b32_e32 v14, 0
	s_or_b64 s[4:5], s[4:5], s[8:9]
	s_or_b64 exec, exec, s[6:7]
	s_and_saveexec_b64 s[6:7], s[4:5]
	s_cbranch_execnz .LBB44_599
	s_branch .LBB44_600
.LBB44_2649:
	s_movk_i32 s4, 0x80
	v_cmp_eq_u16_sdwa s[12:13], v16, s4 src0_sel:BYTE_3 src1_sel:DWORD
	s_mov_b64 s[4:5], -1
                                        ; implicit-def: $sgpr10
	s_and_saveexec_b64 s[8:9], s[12:13]
; %bb.2650:
	s_mov_b32 s10, 0x7f800001
	s_xor_b64 s[4:5], exec, -1
; %bb.2651:
	s_or_b64 exec, exec, s[8:9]
	s_and_b64 s[4:5], s[4:5], exec
	s_or_saveexec_b64 s[6:7], s[6:7]
	v_mov_b32_e32 v10, s10
	s_xor_b64 exec, exec, s[6:7]
	s_cbranch_execz .LBB44_602
.LBB44_2652:
	v_mov_b32_e32 v10, 0
	v_cmp_ne_u16_sdwa s[8:9], v16, v10 src0_sel:BYTE_3 src1_sel:DWORD
	s_andn2_b64 s[4:5], s[4:5], exec
	s_and_b64 s[8:9], s[8:9], exec
	s_or_b64 s[4:5], s[4:5], s[8:9]
	s_or_b64 exec, exec, s[6:7]
	s_and_saveexec_b64 s[6:7], s[4:5]
	s_cbranch_execnz .LBB44_603
	s_branch .LBB44_604
.LBB44_2653:
	s_movk_i32 s4, 0x80
	v_cmp_eq_u16_sdwa s[12:13], v12, s4 src0_sel:BYTE_3 src1_sel:DWORD
	s_mov_b64 s[4:5], -1
                                        ; implicit-def: $sgpr10
	s_and_saveexec_b64 s[8:9], s[12:13]
; %bb.2654:
	s_mov_b32 s10, 0x7f800001
	s_xor_b64 s[4:5], exec, -1
; %bb.2655:
	s_or_b64 exec, exec, s[8:9]
	s_and_b64 s[4:5], s[4:5], exec
	s_or_saveexec_b64 s[6:7], s[6:7]
	v_mov_b32_e32 v11, s10
	s_xor_b64 exec, exec, s[6:7]
	s_cbranch_execz .LBB44_606
.LBB44_2656:
	v_mov_b32_e32 v11, 0
	v_cmp_ne_u16_sdwa s[8:9], v12, v11 src0_sel:BYTE_3 src1_sel:DWORD
	s_andn2_b64 s[4:5], s[4:5], exec
	s_and_b64 s[8:9], s[8:9], exec
	s_or_b64 s[4:5], s[4:5], s[8:9]
	s_or_b64 exec, exec, s[6:7]
	s_and_saveexec_b64 s[6:7], s[4:5]
	s_cbranch_execnz .LBB44_607
	s_branch .LBB44_608
.LBB44_2657:
	s_movk_i32 s4, 0x80
	v_cmp_eq_u16_sdwa s[12:13], v17, s4 src0_sel:BYTE_0 src1_sel:DWORD
	s_mov_b64 s[4:5], -1
                                        ; implicit-def: $sgpr10
	s_and_saveexec_b64 s[8:9], s[12:13]
; %bb.2658:
	s_mov_b32 s10, 0x7f800001
	s_xor_b64 s[4:5], exec, -1
; %bb.2659:
	s_or_b64 exec, exec, s[8:9]
	s_and_b64 s[4:5], s[4:5], exec
	s_or_saveexec_b64 s[6:7], s[6:7]
	v_mov_b32_e32 v10, s10
	s_xor_b64 exec, exec, s[6:7]
	s_cbranch_execz .LBB44_610
.LBB44_2660:
	v_mov_b32_e32 v10, 0
	v_cmp_ne_u16_sdwa s[8:9], v17, v10 src0_sel:BYTE_0 src1_sel:DWORD
	s_andn2_b64 s[4:5], s[4:5], exec
	s_and_b64 s[8:9], s[8:9], exec
	s_or_b64 s[4:5], s[4:5], s[8:9]
	s_or_b64 exec, exec, s[6:7]
	s_and_saveexec_b64 s[6:7], s[4:5]
	s_cbranch_execnz .LBB44_611
	s_branch .LBB44_612
.LBB44_2661:
	s_movk_i32 s4, 0x80
	v_cmp_eq_u16_sdwa s[12:13], v13, s4 src0_sel:BYTE_0 src1_sel:DWORD
	s_mov_b64 s[4:5], -1
                                        ; implicit-def: $sgpr10
	s_and_saveexec_b64 s[8:9], s[12:13]
; %bb.2662:
	s_mov_b32 s10, 0x7f800001
	s_xor_b64 s[4:5], exec, -1
; %bb.2663:
	s_or_b64 exec, exec, s[8:9]
	s_and_b64 s[4:5], s[4:5], exec
	s_or_saveexec_b64 s[6:7], s[6:7]
	v_mov_b32_e32 v11, s10
	s_xor_b64 exec, exec, s[6:7]
	s_cbranch_execz .LBB44_614
.LBB44_2664:
	v_mov_b32_e32 v11, 0
	v_cmp_ne_u16_sdwa s[8:9], v13, v11 src0_sel:BYTE_0 src1_sel:DWORD
	s_andn2_b64 s[4:5], s[4:5], exec
	s_and_b64 s[8:9], s[8:9], exec
	s_or_b64 s[4:5], s[4:5], s[8:9]
	s_or_b64 exec, exec, s[6:7]
	s_and_saveexec_b64 s[6:7], s[4:5]
	s_cbranch_execnz .LBB44_615
	s_branch .LBB44_616
.LBB44_2665:
	s_movk_i32 s4, 0x80
	v_cmp_eq_u16_sdwa s[12:13], v11, s4 src0_sel:BYTE_0 src1_sel:DWORD
	s_mov_b64 s[4:5], -1
                                        ; implicit-def: $sgpr10
	s_and_saveexec_b64 s[8:9], s[12:13]
; %bb.2666:
	s_mov_b32 s10, 0x7f800001
	s_xor_b64 s[4:5], exec, -1
; %bb.2667:
	s_or_b64 exec, exec, s[8:9]
	s_and_b64 s[4:5], s[4:5], exec
	s_or_saveexec_b64 s[6:7], s[6:7]
	v_mov_b32_e32 v10, s10
	s_xor_b64 exec, exec, s[6:7]
	s_cbranch_execz .LBB44_618
.LBB44_2668:
	v_mov_b32_e32 v10, 0
	v_cmp_ne_u16_sdwa s[8:9], v11, v10 src0_sel:BYTE_0 src1_sel:DWORD
	s_andn2_b64 s[4:5], s[4:5], exec
	s_and_b64 s[8:9], s[8:9], exec
	s_or_b64 s[4:5], s[4:5], s[8:9]
	s_or_b64 exec, exec, s[6:7]
	s_and_saveexec_b64 s[6:7], s[4:5]
	s_cbranch_execnz .LBB44_619
	s_branch .LBB44_620
.LBB44_2669:
	s_movk_i32 s4, 0x80
	v_cmp_eq_u16_sdwa s[12:13], v11, s4 src0_sel:BYTE_0 src1_sel:DWORD
	s_mov_b64 s[4:5], -1
                                        ; implicit-def: $sgpr10
	s_and_saveexec_b64 s[8:9], s[12:13]
; %bb.2670:
	s_mov_b32 s10, 0x7f800001
	s_xor_b64 s[4:5], exec, -1
; %bb.2671:
	s_or_b64 exec, exec, s[8:9]
	s_and_b64 s[4:5], s[4:5], exec
	s_or_saveexec_b64 s[6:7], s[6:7]
	v_mov_b32_e32 v12, s10
	s_xor_b64 exec, exec, s[6:7]
	s_cbranch_execz .LBB44_622
.LBB44_2672:
	v_mov_b32_e32 v12, 0
	v_cmp_ne_u16_sdwa s[8:9], v11, v12 src0_sel:BYTE_0 src1_sel:DWORD
	s_andn2_b64 s[4:5], s[4:5], exec
	s_and_b64 s[8:9], s[8:9], exec
	s_or_b64 s[4:5], s[4:5], s[8:9]
	s_or_b64 exec, exec, s[6:7]
	s_and_saveexec_b64 s[6:7], s[4:5]
	s_cbranch_execnz .LBB44_623
	s_branch .LBB44_624
.LBB44_2673:
	s_movk_i32 s4, 0x80
	v_cmp_eq_u16_e32 vcc, s4, v11
	s_mov_b64 s[4:5], -1
                                        ; implicit-def: $sgpr10
	s_and_saveexec_b64 s[8:9], vcc
; %bb.2674:
	s_mov_b32 s10, 0x7f800001
	s_xor_b64 s[4:5], exec, -1
; %bb.2675:
	s_or_b64 exec, exec, s[8:9]
	s_and_b64 s[4:5], s[4:5], exec
                                        ; implicit-def: $vgpr11
	s_or_saveexec_b64 s[6:7], s[6:7]
	v_mov_b32_e32 v10, s10
	s_xor_b64 exec, exec, s[6:7]
	s_cbranch_execz .LBB44_626
.LBB44_2676:
	v_cmp_ne_u16_e32 vcc, 0, v11
	s_andn2_b64 s[4:5], s[4:5], exec
	s_and_b64 s[8:9], vcc, exec
	v_mov_b32_e32 v10, 0
	s_or_b64 s[4:5], s[4:5], s[8:9]
	s_or_b64 exec, exec, s[6:7]
	s_and_saveexec_b64 s[6:7], s[4:5]
	s_cbranch_execnz .LBB44_627
	s_branch .LBB44_628
.LBB44_2677:
	s_movk_i32 s4, 0x80
	v_cmp_eq_u16_e32 vcc, s4, v11
	s_mov_b64 s[4:5], -1
                                        ; implicit-def: $sgpr10
	s_and_saveexec_b64 s[8:9], vcc
; %bb.2678:
	s_mov_b32 s10, 0x7f800001
	s_xor_b64 s[4:5], exec, -1
; %bb.2679:
	s_or_b64 exec, exec, s[8:9]
	s_and_b64 s[4:5], s[4:5], exec
                                        ; implicit-def: $vgpr11
	s_or_saveexec_b64 s[6:7], s[6:7]
	v_mov_b32_e32 v12, s10
	s_xor_b64 exec, exec, s[6:7]
	s_cbranch_execz .LBB44_630
.LBB44_2680:
	v_cmp_ne_u16_e32 vcc, 0, v11
	s_andn2_b64 s[4:5], s[4:5], exec
	s_and_b64 s[8:9], vcc, exec
	v_mov_b32_e32 v12, 0
	s_or_b64 s[4:5], s[4:5], s[8:9]
	s_or_b64 exec, exec, s[6:7]
	s_and_saveexec_b64 s[6:7], s[4:5]
	s_cbranch_execnz .LBB44_631
	s_branch .LBB44_632
.LBB44_2681:
	s_movk_i32 s4, 0x80
	v_cmp_eq_u16_sdwa s[12:13], v17, s4 src0_sel:BYTE_3 src1_sel:DWORD
	s_mov_b64 s[4:5], -1
                                        ; implicit-def: $sgpr10
	s_and_saveexec_b64 s[8:9], s[12:13]
; %bb.2682:
	s_mov_b32 s10, 0x7f800001
	s_xor_b64 s[4:5], exec, -1
; %bb.2683:
	s_or_b64 exec, exec, s[8:9]
	s_and_b64 s[4:5], s[4:5], exec
	s_or_saveexec_b64 s[6:7], s[6:7]
	v_mov_b32_e32 v10, s10
	s_xor_b64 exec, exec, s[6:7]
	s_cbranch_execz .LBB44_634
.LBB44_2684:
	v_mov_b32_e32 v10, 0
	v_cmp_ne_u16_sdwa s[8:9], v17, v10 src0_sel:BYTE_3 src1_sel:DWORD
	s_andn2_b64 s[4:5], s[4:5], exec
	s_and_b64 s[8:9], s[8:9], exec
	s_or_b64 s[4:5], s[4:5], s[8:9]
	s_or_b64 exec, exec, s[6:7]
	s_and_saveexec_b64 s[6:7], s[4:5]
	s_cbranch_execnz .LBB44_635
	s_branch .LBB44_636
.LBB44_2685:
	s_movk_i32 s4, 0x80
	v_cmp_eq_u16_sdwa s[12:13], v13, s4 src0_sel:BYTE_3 src1_sel:DWORD
	s_mov_b64 s[4:5], -1
                                        ; implicit-def: $sgpr10
	s_and_saveexec_b64 s[8:9], s[12:13]
; %bb.2686:
	s_mov_b32 s10, 0x7f800001
	s_xor_b64 s[4:5], exec, -1
; %bb.2687:
	s_or_b64 exec, exec, s[8:9]
	s_and_b64 s[4:5], s[4:5], exec
	s_or_saveexec_b64 s[6:7], s[6:7]
	v_mov_b32_e32 v11, s10
	s_xor_b64 exec, exec, s[6:7]
	s_cbranch_execz .LBB44_638
.LBB44_2688:
	v_mov_b32_e32 v11, 0
	v_cmp_ne_u16_sdwa s[8:9], v13, v11 src0_sel:BYTE_3 src1_sel:DWORD
	s_andn2_b64 s[4:5], s[4:5], exec
	s_and_b64 s[8:9], s[8:9], exec
	s_or_b64 s[4:5], s[4:5], s[8:9]
	s_or_b64 exec, exec, s[6:7]
	s_and_saveexec_b64 s[6:7], s[4:5]
	s_cbranch_execnz .LBB44_639
	s_branch .LBB44_640
.LBB44_2689:
	s_movk_i32 s4, 0x80
	v_cmp_eq_u16_sdwa s[12:13], v6, s4 src0_sel:BYTE_0 src1_sel:DWORD
	s_mov_b64 s[4:5], -1
                                        ; implicit-def: $sgpr10
	s_and_saveexec_b64 s[8:9], s[12:13]
; %bb.2690:
	s_mov_b32 s10, 0x7f800001
	s_xor_b64 s[4:5], exec, -1
; %bb.2691:
	s_or_b64 exec, exec, s[8:9]
	s_and_b64 s[4:5], s[4:5], exec
	s_or_saveexec_b64 s[6:7], s[6:7]
	v_mov_b32_e32 v10, s10
	s_xor_b64 exec, exec, s[6:7]
	s_cbranch_execz .LBB44_642
.LBB44_2692:
	v_mov_b32_e32 v10, 0
	v_cmp_ne_u16_sdwa s[8:9], v6, v10 src0_sel:BYTE_0 src1_sel:DWORD
	s_andn2_b64 s[4:5], s[4:5], exec
	s_and_b64 s[8:9], s[8:9], exec
	s_or_b64 s[4:5], s[4:5], s[8:9]
	s_or_b64 exec, exec, s[6:7]
	s_and_saveexec_b64 s[6:7], s[4:5]
	s_cbranch_execnz .LBB44_643
	s_branch .LBB44_644
.LBB44_2693:
	s_movk_i32 s4, 0x80
	v_cmp_eq_u16_sdwa s[12:13], v2, s4 src0_sel:BYTE_0 src1_sel:DWORD
	s_mov_b64 s[4:5], -1
                                        ; implicit-def: $sgpr10
	s_and_saveexec_b64 s[8:9], s[12:13]
; %bb.2694:
	s_mov_b32 s10, 0x7f800001
	s_xor_b64 s[4:5], exec, -1
; %bb.2695:
	s_or_b64 exec, exec, s[8:9]
	s_and_b64 s[4:5], s[4:5], exec
	s_or_saveexec_b64 s[6:7], s[6:7]
	v_mov_b32_e32 v11, s10
	s_xor_b64 exec, exec, s[6:7]
	s_cbranch_execz .LBB44_646
.LBB44_2696:
	v_mov_b32_e32 v11, 0
	v_cmp_ne_u16_sdwa s[8:9], v2, v11 src0_sel:BYTE_0 src1_sel:DWORD
	s_andn2_b64 s[4:5], s[4:5], exec
	s_and_b64 s[8:9], s[8:9], exec
	s_or_b64 s[4:5], s[4:5], s[8:9]
	s_or_b64 exec, exec, s[6:7]
	s_and_saveexec_b64 s[6:7], s[4:5]
	s_cbranch_execnz .LBB44_647
	s_branch .LBB44_648
.LBB44_2697:
	s_movk_i32 s4, 0x80
	v_cmp_eq_u16_sdwa s[12:13], v11, s4 src0_sel:BYTE_0 src1_sel:DWORD
	s_mov_b64 s[4:5], -1
                                        ; implicit-def: $sgpr10
	s_and_saveexec_b64 s[8:9], s[12:13]
; %bb.2698:
	s_mov_b32 s10, 0x7f800001
	s_xor_b64 s[4:5], exec, -1
; %bb.2699:
	s_or_b64 exec, exec, s[8:9]
	s_and_b64 s[4:5], s[4:5], exec
	s_or_saveexec_b64 s[6:7], s[6:7]
	v_mov_b32_e32 v10, s10
	s_xor_b64 exec, exec, s[6:7]
	s_cbranch_execz .LBB44_650
.LBB44_2700:
	v_mov_b32_e32 v10, 0
	v_cmp_ne_u16_sdwa s[8:9], v11, v10 src0_sel:BYTE_0 src1_sel:DWORD
	s_andn2_b64 s[4:5], s[4:5], exec
	s_and_b64 s[8:9], s[8:9], exec
	s_or_b64 s[4:5], s[4:5], s[8:9]
	s_or_b64 exec, exec, s[6:7]
	s_and_saveexec_b64 s[6:7], s[4:5]
	s_cbranch_execnz .LBB44_651
	s_branch .LBB44_652
.LBB44_2701:
	s_movk_i32 s4, 0x80
	v_cmp_eq_u16_sdwa s[12:13], v11, s4 src0_sel:BYTE_0 src1_sel:DWORD
	s_mov_b64 s[4:5], -1
                                        ; implicit-def: $sgpr10
	s_and_saveexec_b64 s[8:9], s[12:13]
; %bb.2702:
	s_mov_b32 s10, 0x7f800001
	s_xor_b64 s[4:5], exec, -1
; %bb.2703:
	s_or_b64 exec, exec, s[8:9]
	s_and_b64 s[4:5], s[4:5], exec
	s_or_saveexec_b64 s[6:7], s[6:7]
	v_mov_b32_e32 v12, s10
	s_xor_b64 exec, exec, s[6:7]
	s_cbranch_execz .LBB44_654
.LBB44_2704:
	v_mov_b32_e32 v12, 0
	v_cmp_ne_u16_sdwa s[8:9], v11, v12 src0_sel:BYTE_0 src1_sel:DWORD
	s_andn2_b64 s[4:5], s[4:5], exec
	s_and_b64 s[8:9], s[8:9], exec
	s_or_b64 s[4:5], s[4:5], s[8:9]
	s_or_b64 exec, exec, s[6:7]
	s_and_saveexec_b64 s[6:7], s[4:5]
	s_cbranch_execnz .LBB44_655
	s_branch .LBB44_656
.LBB44_2705:
	s_movk_i32 s4, 0x80
	v_cmp_eq_u16_e32 vcc, s4, v11
	s_mov_b64 s[4:5], -1
                                        ; implicit-def: $sgpr10
	s_and_saveexec_b64 s[8:9], vcc
; %bb.2706:
	s_mov_b32 s10, 0x7f800001
	s_xor_b64 s[4:5], exec, -1
; %bb.2707:
	s_or_b64 exec, exec, s[8:9]
	s_and_b64 s[4:5], s[4:5], exec
                                        ; implicit-def: $vgpr11
	s_or_saveexec_b64 s[6:7], s[6:7]
	v_mov_b32_e32 v10, s10
	s_xor_b64 exec, exec, s[6:7]
	s_cbranch_execz .LBB44_658
.LBB44_2708:
	v_cmp_ne_u16_e32 vcc, 0, v11
	s_andn2_b64 s[4:5], s[4:5], exec
	s_and_b64 s[8:9], vcc, exec
	v_mov_b32_e32 v10, 0
	s_or_b64 s[4:5], s[4:5], s[8:9]
	s_or_b64 exec, exec, s[6:7]
	s_and_saveexec_b64 s[6:7], s[4:5]
	s_cbranch_execnz .LBB44_659
	s_branch .LBB44_660
.LBB44_2709:
	s_movk_i32 s4, 0x80
	v_cmp_eq_u16_e32 vcc, s4, v11
	s_mov_b64 s[4:5], -1
                                        ; implicit-def: $sgpr10
	s_and_saveexec_b64 s[8:9], vcc
; %bb.2710:
	s_mov_b32 s10, 0x7f800001
	s_xor_b64 s[4:5], exec, -1
; %bb.2711:
	s_or_b64 exec, exec, s[8:9]
	s_and_b64 s[4:5], s[4:5], exec
                                        ; implicit-def: $vgpr11
	s_or_saveexec_b64 s[6:7], s[6:7]
	v_mov_b32_e32 v12, s10
	s_xor_b64 exec, exec, s[6:7]
	s_cbranch_execz .LBB44_662
.LBB44_2712:
	v_cmp_ne_u16_e32 vcc, 0, v11
	s_andn2_b64 s[4:5], s[4:5], exec
	s_and_b64 s[8:9], vcc, exec
	v_mov_b32_e32 v12, 0
	s_or_b64 s[4:5], s[4:5], s[8:9]
	s_or_b64 exec, exec, s[6:7]
	s_and_saveexec_b64 s[6:7], s[4:5]
	s_cbranch_execnz .LBB44_663
	s_branch .LBB44_664
.LBB44_2713:
	s_movk_i32 s4, 0x80
	v_cmp_eq_u16_sdwa s[12:13], v6, s4 src0_sel:BYTE_3 src1_sel:DWORD
	s_mov_b64 s[4:5], -1
                                        ; implicit-def: $sgpr10
	s_and_saveexec_b64 s[8:9], s[12:13]
; %bb.2714:
	s_mov_b32 s10, 0x7f800001
	s_xor_b64 s[4:5], exec, -1
; %bb.2715:
	s_or_b64 exec, exec, s[8:9]
	s_and_b64 s[4:5], s[4:5], exec
	s_or_saveexec_b64 s[6:7], s[6:7]
	v_mov_b32_e32 v10, s10
	s_xor_b64 exec, exec, s[6:7]
	s_cbranch_execz .LBB44_666
.LBB44_2716:
	v_mov_b32_e32 v10, 0
	v_cmp_ne_u16_sdwa s[8:9], v6, v10 src0_sel:BYTE_3 src1_sel:DWORD
	s_andn2_b64 s[4:5], s[4:5], exec
	s_and_b64 s[8:9], s[8:9], exec
	s_or_b64 s[4:5], s[4:5], s[8:9]
	s_or_b64 exec, exec, s[6:7]
	s_and_saveexec_b64 s[6:7], s[4:5]
	s_cbranch_execnz .LBB44_667
	s_branch .LBB44_668
.LBB44_2717:
	s_movk_i32 s4, 0x80
	v_cmp_eq_u16_sdwa s[12:13], v2, s4 src0_sel:BYTE_3 src1_sel:DWORD
	s_mov_b64 s[4:5], -1
                                        ; implicit-def: $sgpr10
	s_and_saveexec_b64 s[8:9], s[12:13]
; %bb.2718:
	s_mov_b32 s10, 0x7f800001
	s_xor_b64 s[4:5], exec, -1
; %bb.2719:
	s_or_b64 exec, exec, s[8:9]
	s_and_b64 s[4:5], s[4:5], exec
	s_or_saveexec_b64 s[6:7], s[6:7]
	v_mov_b32_e32 v6, s10
	s_xor_b64 exec, exec, s[6:7]
	s_cbranch_execz .LBB44_670
.LBB44_2720:
	v_mov_b32_e32 v6, 0
	v_cmp_ne_u16_sdwa s[8:9], v2, v6 src0_sel:BYTE_3 src1_sel:DWORD
	s_andn2_b64 s[4:5], s[4:5], exec
	s_and_b64 s[8:9], s[8:9], exec
	s_or_b64 s[4:5], s[4:5], s[8:9]
	s_or_b64 exec, exec, s[6:7]
	s_and_saveexec_b64 s[6:7], s[4:5]
	s_cbranch_execnz .LBB44_671
	s_branch .LBB44_672
.LBB44_2721:
	s_movk_i32 s4, 0x80
	v_cmp_eq_u16_sdwa s[12:13], v7, s4 src0_sel:BYTE_0 src1_sel:DWORD
	s_mov_b64 s[4:5], -1
                                        ; implicit-def: $sgpr10
	s_and_saveexec_b64 s[8:9], s[12:13]
; %bb.2722:
	s_mov_b32 s10, 0x7f800001
	s_xor_b64 s[4:5], exec, -1
; %bb.2723:
	s_or_b64 exec, exec, s[8:9]
	s_and_b64 s[4:5], s[4:5], exec
	s_or_saveexec_b64 s[6:7], s[6:7]
	v_mov_b32_e32 v2, s10
	s_xor_b64 exec, exec, s[6:7]
	s_cbranch_execz .LBB44_674
.LBB44_2724:
	v_mov_b32_e32 v2, 0
	v_cmp_ne_u16_sdwa s[8:9], v7, v2 src0_sel:BYTE_0 src1_sel:DWORD
	s_andn2_b64 s[4:5], s[4:5], exec
	s_and_b64 s[8:9], s[8:9], exec
	s_or_b64 s[4:5], s[4:5], s[8:9]
	s_or_b64 exec, exec, s[6:7]
	s_and_saveexec_b64 s[6:7], s[4:5]
	s_cbranch_execnz .LBB44_675
	s_branch .LBB44_676
.LBB44_2725:
	s_movk_i32 s4, 0x80
	v_cmp_eq_u16_sdwa s[12:13], v3, s4 src0_sel:BYTE_0 src1_sel:DWORD
	s_mov_b64 s[4:5], -1
                                        ; implicit-def: $sgpr10
	s_and_saveexec_b64 s[8:9], s[12:13]
; %bb.2726:
	s_mov_b32 s10, 0x7f800001
	s_xor_b64 s[4:5], exec, -1
; %bb.2727:
	s_or_b64 exec, exec, s[8:9]
	s_and_b64 s[4:5], s[4:5], exec
	s_or_saveexec_b64 s[6:7], s[6:7]
	v_mov_b32_e32 v6, s10
	s_xor_b64 exec, exec, s[6:7]
	s_cbranch_execz .LBB44_678
.LBB44_2728:
	v_mov_b32_e32 v6, 0
	v_cmp_ne_u16_sdwa s[8:9], v3, v6 src0_sel:BYTE_0 src1_sel:DWORD
	s_andn2_b64 s[4:5], s[4:5], exec
	s_and_b64 s[8:9], s[8:9], exec
	s_or_b64 s[4:5], s[4:5], s[8:9]
	s_or_b64 exec, exec, s[6:7]
	s_and_saveexec_b64 s[6:7], s[4:5]
	s_cbranch_execnz .LBB44_679
	s_branch .LBB44_680
.LBB44_2729:
	s_movk_i32 s4, 0x80
	v_cmp_eq_u16_sdwa s[12:13], v6, s4 src0_sel:BYTE_0 src1_sel:DWORD
	s_mov_b64 s[4:5], -1
                                        ; implicit-def: $sgpr10
	s_and_saveexec_b64 s[8:9], s[12:13]
; %bb.2730:
	s_mov_b32 s10, 0x7f800001
	s_xor_b64 s[4:5], exec, -1
; %bb.2731:
	s_or_b64 exec, exec, s[8:9]
	s_and_b64 s[4:5], s[4:5], exec
	s_or_saveexec_b64 s[6:7], s[6:7]
	v_mov_b32_e32 v2, s10
	s_xor_b64 exec, exec, s[6:7]
	s_cbranch_execz .LBB44_682
.LBB44_2732:
	v_mov_b32_e32 v2, 0
	v_cmp_ne_u16_sdwa s[8:9], v6, v2 src0_sel:BYTE_0 src1_sel:DWORD
	s_andn2_b64 s[4:5], s[4:5], exec
	s_and_b64 s[8:9], s[8:9], exec
	s_or_b64 s[4:5], s[4:5], s[8:9]
	s_or_b64 exec, exec, s[6:7]
	s_and_saveexec_b64 s[6:7], s[4:5]
	s_cbranch_execnz .LBB44_683
	s_branch .LBB44_684
.LBB44_2733:
	s_movk_i32 s4, 0x80
	v_cmp_eq_u16_sdwa s[12:13], v6, s4 src0_sel:BYTE_0 src1_sel:DWORD
	s_mov_b64 s[4:5], -1
                                        ; implicit-def: $sgpr10
	s_and_saveexec_b64 s[8:9], s[12:13]
; %bb.2734:
	s_mov_b32 s10, 0x7f800001
	s_xor_b64 s[4:5], exec, -1
; %bb.2735:
	s_or_b64 exec, exec, s[8:9]
	s_and_b64 s[4:5], s[4:5], exec
	s_or_saveexec_b64 s[6:7], s[6:7]
	v_mov_b32_e32 v10, s10
	s_xor_b64 exec, exec, s[6:7]
	s_cbranch_execz .LBB44_686
.LBB44_2736:
	v_mov_b32_e32 v10, 0
	v_cmp_ne_u16_sdwa s[8:9], v6, v10 src0_sel:BYTE_0 src1_sel:DWORD
	s_andn2_b64 s[4:5], s[4:5], exec
	s_and_b64 s[8:9], s[8:9], exec
	s_or_b64 s[4:5], s[4:5], s[8:9]
	s_or_b64 exec, exec, s[6:7]
	s_and_saveexec_b64 s[6:7], s[4:5]
	s_cbranch_execnz .LBB44_687
	s_branch .LBB44_688
.LBB44_2737:
	s_movk_i32 s4, 0x80
	v_cmp_eq_u16_e32 vcc, s4, v6
	s_mov_b64 s[4:5], -1
                                        ; implicit-def: $sgpr10
	s_and_saveexec_b64 s[8:9], vcc
; %bb.2738:
	s_mov_b32 s10, 0x7f800001
	s_xor_b64 s[4:5], exec, -1
; %bb.2739:
	s_or_b64 exec, exec, s[8:9]
	s_and_b64 s[4:5], s[4:5], exec
                                        ; implicit-def: $vgpr6
	s_or_saveexec_b64 s[6:7], s[6:7]
	v_mov_b32_e32 v2, s10
	s_xor_b64 exec, exec, s[6:7]
	s_cbranch_execz .LBB44_690
.LBB44_2740:
	v_cmp_ne_u16_e32 vcc, 0, v6
	s_andn2_b64 s[4:5], s[4:5], exec
	s_and_b64 s[8:9], vcc, exec
	v_mov_b32_e32 v2, 0
	s_or_b64 s[4:5], s[4:5], s[8:9]
	s_or_b64 exec, exec, s[6:7]
	s_and_saveexec_b64 s[6:7], s[4:5]
	s_cbranch_execnz .LBB44_691
	s_branch .LBB44_692
.LBB44_2741:
	s_movk_i32 s4, 0x80
	v_cmp_eq_u16_e32 vcc, s4, v6
	s_mov_b64 s[4:5], -1
                                        ; implicit-def: $sgpr10
	s_and_saveexec_b64 s[8:9], vcc
; %bb.2742:
	s_mov_b32 s10, 0x7f800001
	s_xor_b64 s[4:5], exec, -1
; %bb.2743:
	s_or_b64 exec, exec, s[8:9]
	s_and_b64 s[4:5], s[4:5], exec
                                        ; implicit-def: $vgpr6
	s_or_saveexec_b64 s[6:7], s[6:7]
	v_mov_b32_e32 v10, s10
	s_xor_b64 exec, exec, s[6:7]
	s_cbranch_execz .LBB44_694
.LBB44_2744:
	v_cmp_ne_u16_e32 vcc, 0, v6
	s_andn2_b64 s[4:5], s[4:5], exec
	s_and_b64 s[8:9], vcc, exec
	v_mov_b32_e32 v10, 0
	s_or_b64 s[4:5], s[4:5], s[8:9]
	s_or_b64 exec, exec, s[6:7]
	s_and_saveexec_b64 s[6:7], s[4:5]
	s_cbranch_execnz .LBB44_695
	s_branch .LBB44_696
.LBB44_2745:
	s_movk_i32 s4, 0x80
	v_cmp_eq_u16_sdwa s[12:13], v7, s4 src0_sel:BYTE_3 src1_sel:DWORD
	s_mov_b64 s[4:5], -1
                                        ; implicit-def: $sgpr10
	s_and_saveexec_b64 s[8:9], s[12:13]
; %bb.2746:
	s_mov_b32 s10, 0x7f800001
	s_xor_b64 s[4:5], exec, -1
; %bb.2747:
	s_or_b64 exec, exec, s[8:9]
	s_and_b64 s[4:5], s[4:5], exec
	s_or_saveexec_b64 s[6:7], s[6:7]
	v_mov_b32_e32 v2, s10
	s_xor_b64 exec, exec, s[6:7]
	s_cbranch_execz .LBB44_698
.LBB44_2748:
	v_mov_b32_e32 v2, 0
	v_cmp_ne_u16_sdwa s[8:9], v7, v2 src0_sel:BYTE_3 src1_sel:DWORD
	s_andn2_b64 s[4:5], s[4:5], exec
	s_and_b64 s[8:9], s[8:9], exec
	s_or_b64 s[4:5], s[4:5], s[8:9]
	s_or_b64 exec, exec, s[6:7]
	s_and_saveexec_b64 s[6:7], s[4:5]
	s_cbranch_execnz .LBB44_699
	s_branch .LBB44_700
.LBB44_2749:
	s_movk_i32 s4, 0x80
	v_cmp_eq_u16_sdwa s[12:13], v3, s4 src0_sel:BYTE_3 src1_sel:DWORD
	s_mov_b64 s[4:5], -1
                                        ; implicit-def: $sgpr10
	s_and_saveexec_b64 s[8:9], s[12:13]
; %bb.2750:
	s_mov_b32 s10, 0x7f800001
	s_xor_b64 s[4:5], exec, -1
; %bb.2751:
	s_or_b64 exec, exec, s[8:9]
	s_and_b64 s[4:5], s[4:5], exec
	s_or_saveexec_b64 s[6:7], s[6:7]
	v_mov_b32_e32 v6, s10
	s_xor_b64 exec, exec, s[6:7]
	s_cbranch_execz .LBB44_702
.LBB44_2752:
	v_mov_b32_e32 v6, 0
	v_cmp_ne_u16_sdwa s[8:9], v3, v6 src0_sel:BYTE_3 src1_sel:DWORD
	s_andn2_b64 s[4:5], s[4:5], exec
	s_and_b64 s[8:9], s[8:9], exec
	s_or_b64 s[4:5], s[4:5], s[8:9]
	s_or_b64 exec, exec, s[6:7]
	s_and_saveexec_b64 s[6:7], s[4:5]
	s_cbranch_execnz .LBB44_703
	s_branch .LBB44_704
.LBB44_2753:
	s_movk_i32 s4, 0x80
	v_cmp_eq_u16_sdwa s[12:13], v8, s4 src0_sel:BYTE_0 src1_sel:DWORD
	s_mov_b64 s[4:5], -1
                                        ; implicit-def: $sgpr10
	s_and_saveexec_b64 s[8:9], s[12:13]
; %bb.2754:
	s_mov_b32 s10, 0x7f800001
	s_xor_b64 s[4:5], exec, -1
; %bb.2755:
	s_or_b64 exec, exec, s[8:9]
	s_and_b64 s[4:5], s[4:5], exec
	s_or_saveexec_b64 s[6:7], s[6:7]
	v_mov_b32_e32 v2, s10
	s_xor_b64 exec, exec, s[6:7]
	s_cbranch_execz .LBB44_706
.LBB44_2756:
	v_mov_b32_e32 v2, 0
	v_cmp_ne_u16_sdwa s[8:9], v8, v2 src0_sel:BYTE_0 src1_sel:DWORD
	s_andn2_b64 s[4:5], s[4:5], exec
	s_and_b64 s[8:9], s[8:9], exec
	s_or_b64 s[4:5], s[4:5], s[8:9]
	s_or_b64 exec, exec, s[6:7]
	s_and_saveexec_b64 s[6:7], s[4:5]
	s_cbranch_execnz .LBB44_707
	s_branch .LBB44_708
.LBB44_2757:
	s_movk_i32 s4, 0x80
	v_cmp_eq_u16_sdwa s[12:13], v4, s4 src0_sel:BYTE_0 src1_sel:DWORD
	s_mov_b64 s[4:5], -1
                                        ; implicit-def: $sgpr10
	s_and_saveexec_b64 s[8:9], s[12:13]
; %bb.2758:
	s_mov_b32 s10, 0x7f800001
	s_xor_b64 s[4:5], exec, -1
; %bb.2759:
	s_or_b64 exec, exec, s[8:9]
	s_and_b64 s[4:5], s[4:5], exec
	s_or_saveexec_b64 s[6:7], s[6:7]
	v_mov_b32_e32 v3, s10
	s_xor_b64 exec, exec, s[6:7]
	s_cbranch_execz .LBB44_710
.LBB44_2760:
	v_mov_b32_e32 v3, 0
	v_cmp_ne_u16_sdwa s[8:9], v4, v3 src0_sel:BYTE_0 src1_sel:DWORD
	s_andn2_b64 s[4:5], s[4:5], exec
	s_and_b64 s[8:9], s[8:9], exec
	s_or_b64 s[4:5], s[4:5], s[8:9]
	s_or_b64 exec, exec, s[6:7]
	s_and_saveexec_b64 s[6:7], s[4:5]
	s_cbranch_execnz .LBB44_711
	s_branch .LBB44_712
.LBB44_2761:
	s_movk_i32 s4, 0x80
	v_cmp_eq_u16_sdwa s[12:13], v3, s4 src0_sel:BYTE_0 src1_sel:DWORD
	s_mov_b64 s[4:5], -1
                                        ; implicit-def: $sgpr10
	s_and_saveexec_b64 s[8:9], s[12:13]
; %bb.2762:
	s_mov_b32 s10, 0x7f800001
	s_xor_b64 s[4:5], exec, -1
; %bb.2763:
	s_or_b64 exec, exec, s[8:9]
	s_and_b64 s[4:5], s[4:5], exec
	s_or_saveexec_b64 s[6:7], s[6:7]
	v_mov_b32_e32 v2, s10
	s_xor_b64 exec, exec, s[6:7]
	s_cbranch_execz .LBB44_714
.LBB44_2764:
	v_mov_b32_e32 v2, 0
	v_cmp_ne_u16_sdwa s[8:9], v3, v2 src0_sel:BYTE_0 src1_sel:DWORD
	s_andn2_b64 s[4:5], s[4:5], exec
	s_and_b64 s[8:9], s[8:9], exec
	s_or_b64 s[4:5], s[4:5], s[8:9]
	s_or_b64 exec, exec, s[6:7]
	s_and_saveexec_b64 s[6:7], s[4:5]
	s_cbranch_execnz .LBB44_715
	s_branch .LBB44_716
.LBB44_2765:
	s_movk_i32 s4, 0x80
	v_cmp_eq_u16_sdwa s[12:13], v3, s4 src0_sel:BYTE_0 src1_sel:DWORD
	s_mov_b64 s[4:5], -1
                                        ; implicit-def: $sgpr10
	s_and_saveexec_b64 s[8:9], s[12:13]
; %bb.2766:
	s_mov_b32 s10, 0x7f800001
	s_xor_b64 s[4:5], exec, -1
; %bb.2767:
	s_or_b64 exec, exec, s[8:9]
	s_and_b64 s[4:5], s[4:5], exec
	s_or_saveexec_b64 s[6:7], s[6:7]
	v_mov_b32_e32 v6, s10
	s_xor_b64 exec, exec, s[6:7]
	s_cbranch_execz .LBB44_718
.LBB44_2768:
	v_mov_b32_e32 v6, 0
	v_cmp_ne_u16_sdwa s[8:9], v3, v6 src0_sel:BYTE_0 src1_sel:DWORD
	s_andn2_b64 s[4:5], s[4:5], exec
	s_and_b64 s[8:9], s[8:9], exec
	s_or_b64 s[4:5], s[4:5], s[8:9]
	s_or_b64 exec, exec, s[6:7]
	s_and_saveexec_b64 s[6:7], s[4:5]
	s_cbranch_execnz .LBB44_719
	s_branch .LBB44_720
.LBB44_2769:
	s_movk_i32 s4, 0x80
	v_cmp_eq_u16_e32 vcc, s4, v3
	s_mov_b64 s[4:5], -1
                                        ; implicit-def: $sgpr10
	s_and_saveexec_b64 s[8:9], vcc
; %bb.2770:
	s_mov_b32 s10, 0x7f800001
	s_xor_b64 s[4:5], exec, -1
; %bb.2771:
	s_or_b64 exec, exec, s[8:9]
	s_and_b64 s[4:5], s[4:5], exec
                                        ; implicit-def: $vgpr3
	s_or_saveexec_b64 s[6:7], s[6:7]
	v_mov_b32_e32 v2, s10
	s_xor_b64 exec, exec, s[6:7]
	s_cbranch_execz .LBB44_722
.LBB44_2772:
	v_cmp_ne_u16_e32 vcc, 0, v3
	s_andn2_b64 s[4:5], s[4:5], exec
	s_and_b64 s[8:9], vcc, exec
	v_mov_b32_e32 v2, 0
	s_or_b64 s[4:5], s[4:5], s[8:9]
	s_or_b64 exec, exec, s[6:7]
	s_and_saveexec_b64 s[6:7], s[4:5]
	s_cbranch_execnz .LBB44_723
	s_branch .LBB44_724
.LBB44_2773:
	s_movk_i32 s4, 0x80
	v_cmp_eq_u16_e32 vcc, s4, v3
	s_mov_b64 s[4:5], -1
                                        ; implicit-def: $sgpr10
	s_and_saveexec_b64 s[8:9], vcc
; %bb.2774:
	s_mov_b32 s10, 0x7f800001
	s_xor_b64 s[4:5], exec, -1
; %bb.2775:
	s_or_b64 exec, exec, s[8:9]
	s_and_b64 s[4:5], s[4:5], exec
                                        ; implicit-def: $vgpr3
	s_or_saveexec_b64 s[6:7], s[6:7]
	v_mov_b32_e32 v6, s10
	s_xor_b64 exec, exec, s[6:7]
	s_cbranch_execz .LBB44_726
.LBB44_2776:
	v_cmp_ne_u16_e32 vcc, 0, v3
	s_andn2_b64 s[4:5], s[4:5], exec
	s_and_b64 s[8:9], vcc, exec
	v_mov_b32_e32 v6, 0
	s_or_b64 s[4:5], s[4:5], s[8:9]
	s_or_b64 exec, exec, s[6:7]
	s_and_saveexec_b64 s[6:7], s[4:5]
	s_cbranch_execnz .LBB44_727
	s_branch .LBB44_728
.LBB44_2777:
	s_movk_i32 s4, 0x80
	v_cmp_eq_u16_sdwa s[12:13], v8, s4 src0_sel:BYTE_3 src1_sel:DWORD
	s_mov_b64 s[4:5], -1
                                        ; implicit-def: $sgpr10
	s_and_saveexec_b64 s[8:9], s[12:13]
; %bb.2778:
	s_mov_b32 s10, 0x7f800001
	s_xor_b64 s[4:5], exec, -1
; %bb.2779:
	s_or_b64 exec, exec, s[8:9]
	s_and_b64 s[4:5], s[4:5], exec
	s_or_saveexec_b64 s[6:7], s[6:7]
	v_mov_b32_e32 v2, s10
	s_xor_b64 exec, exec, s[6:7]
	s_cbranch_execz .LBB44_730
.LBB44_2780:
	v_mov_b32_e32 v2, 0
	v_cmp_ne_u16_sdwa s[8:9], v8, v2 src0_sel:BYTE_3 src1_sel:DWORD
	s_andn2_b64 s[4:5], s[4:5], exec
	s_and_b64 s[8:9], s[8:9], exec
	s_or_b64 s[4:5], s[4:5], s[8:9]
	s_or_b64 exec, exec, s[6:7]
	s_and_saveexec_b64 s[6:7], s[4:5]
	s_cbranch_execnz .LBB44_731
	s_branch .LBB44_732
.LBB44_2781:
	s_movk_i32 s4, 0x80
	v_cmp_eq_u16_sdwa s[12:13], v4, s4 src0_sel:BYTE_3 src1_sel:DWORD
	s_mov_b64 s[4:5], -1
                                        ; implicit-def: $sgpr10
	s_and_saveexec_b64 s[8:9], s[12:13]
; %bb.2782:
	s_mov_b32 s10, 0x7f800001
	s_xor_b64 s[4:5], exec, -1
; %bb.2783:
	s_or_b64 exec, exec, s[8:9]
	s_and_b64 s[4:5], s[4:5], exec
	s_or_saveexec_b64 s[6:7], s[6:7]
	v_mov_b32_e32 v3, s10
	s_xor_b64 exec, exec, s[6:7]
	s_cbranch_execz .LBB44_734
.LBB44_2784:
	v_mov_b32_e32 v3, 0
	v_cmp_ne_u16_sdwa s[8:9], v4, v3 src0_sel:BYTE_3 src1_sel:DWORD
	s_andn2_b64 s[4:5], s[4:5], exec
	s_and_b64 s[8:9], s[8:9], exec
	s_or_b64 s[4:5], s[4:5], s[8:9]
	s_or_b64 exec, exec, s[6:7]
	s_and_saveexec_b64 s[6:7], s[4:5]
	s_cbranch_execnz .LBB44_735
	s_branch .LBB44_736
.LBB44_2785:
	s_movk_i32 s4, 0x80
	v_cmp_eq_u16_sdwa s[12:13], v9, s4 src0_sel:BYTE_0 src1_sel:DWORD
	s_mov_b64 s[4:5], -1
                                        ; implicit-def: $sgpr10
	s_and_saveexec_b64 s[8:9], s[12:13]
; %bb.2786:
	s_mov_b32 s10, 0x7f800001
	s_xor_b64 s[4:5], exec, -1
; %bb.2787:
	s_or_b64 exec, exec, s[8:9]
	s_and_b64 s[4:5], s[4:5], exec
	s_or_saveexec_b64 s[6:7], s[6:7]
	v_mov_b32_e32 v2, s10
	s_xor_b64 exec, exec, s[6:7]
	s_cbranch_execz .LBB44_738
.LBB44_2788:
	v_mov_b32_e32 v2, 0
	v_cmp_ne_u16_sdwa s[8:9], v9, v2 src0_sel:BYTE_0 src1_sel:DWORD
	s_andn2_b64 s[4:5], s[4:5], exec
	s_and_b64 s[8:9], s[8:9], exec
	s_or_b64 s[4:5], s[4:5], s[8:9]
	s_or_b64 exec, exec, s[6:7]
	s_and_saveexec_b64 s[6:7], s[4:5]
	s_cbranch_execnz .LBB44_739
	s_branch .LBB44_740
.LBB44_2789:
	s_movk_i32 s4, 0x80
	v_cmp_eq_u16_sdwa s[12:13], v5, s4 src0_sel:BYTE_0 src1_sel:DWORD
	s_mov_b64 s[4:5], -1
                                        ; implicit-def: $sgpr10
	s_and_saveexec_b64 s[8:9], s[12:13]
; %bb.2790:
	s_mov_b32 s10, 0x7f800001
	s_xor_b64 s[4:5], exec, -1
; %bb.2791:
	s_or_b64 exec, exec, s[8:9]
	s_and_b64 s[4:5], s[4:5], exec
	s_or_saveexec_b64 s[6:7], s[6:7]
	v_mov_b32_e32 v3, s10
	s_xor_b64 exec, exec, s[6:7]
	s_cbranch_execz .LBB44_742
.LBB44_2792:
	v_mov_b32_e32 v3, 0
	v_cmp_ne_u16_sdwa s[8:9], v5, v3 src0_sel:BYTE_0 src1_sel:DWORD
	s_andn2_b64 s[4:5], s[4:5], exec
	s_and_b64 s[8:9], s[8:9], exec
	s_or_b64 s[4:5], s[4:5], s[8:9]
	s_or_b64 exec, exec, s[6:7]
	s_and_saveexec_b64 s[6:7], s[4:5]
	s_cbranch_execnz .LBB44_743
	s_branch .LBB44_744
.LBB44_2793:
	s_movk_i32 s4, 0x80
	v_cmp_eq_u16_sdwa s[12:13], v3, s4 src0_sel:BYTE_0 src1_sel:DWORD
	s_mov_b64 s[4:5], -1
                                        ; implicit-def: $sgpr10
	s_and_saveexec_b64 s[8:9], s[12:13]
; %bb.2794:
	s_mov_b32 s10, 0x7f800001
	s_xor_b64 s[4:5], exec, -1
; %bb.2795:
	s_or_b64 exec, exec, s[8:9]
	s_and_b64 s[4:5], s[4:5], exec
	s_or_saveexec_b64 s[6:7], s[6:7]
	v_mov_b32_e32 v2, s10
	s_xor_b64 exec, exec, s[6:7]
	s_cbranch_execz .LBB44_746
.LBB44_2796:
	v_mov_b32_e32 v2, 0
	v_cmp_ne_u16_sdwa s[8:9], v3, v2 src0_sel:BYTE_0 src1_sel:DWORD
	s_andn2_b64 s[4:5], s[4:5], exec
	s_and_b64 s[8:9], s[8:9], exec
	s_or_b64 s[4:5], s[4:5], s[8:9]
	s_or_b64 exec, exec, s[6:7]
	s_and_saveexec_b64 s[6:7], s[4:5]
	s_cbranch_execnz .LBB44_747
	s_branch .LBB44_748
.LBB44_2797:
	s_movk_i32 s4, 0x80
	v_cmp_eq_u16_sdwa s[12:13], v3, s4 src0_sel:BYTE_0 src1_sel:DWORD
	s_mov_b64 s[4:5], -1
                                        ; implicit-def: $sgpr10
	s_and_saveexec_b64 s[8:9], s[12:13]
; %bb.2798:
	s_mov_b32 s10, 0x7f800001
	s_xor_b64 s[4:5], exec, -1
; %bb.2799:
	s_or_b64 exec, exec, s[8:9]
	s_and_b64 s[4:5], s[4:5], exec
	s_or_saveexec_b64 s[6:7], s[6:7]
	v_mov_b32_e32 v4, s10
	s_xor_b64 exec, exec, s[6:7]
	s_cbranch_execz .LBB44_750
.LBB44_2800:
	v_mov_b32_e32 v4, 0
	v_cmp_ne_u16_sdwa s[8:9], v3, v4 src0_sel:BYTE_0 src1_sel:DWORD
	s_andn2_b64 s[4:5], s[4:5], exec
	s_and_b64 s[8:9], s[8:9], exec
	s_or_b64 s[4:5], s[4:5], s[8:9]
	s_or_b64 exec, exec, s[6:7]
	s_and_saveexec_b64 s[6:7], s[4:5]
	s_cbranch_execnz .LBB44_751
	s_branch .LBB44_752
.LBB44_2801:
	s_movk_i32 s4, 0x80
	v_cmp_eq_u16_e32 vcc, s4, v3
	s_mov_b64 s[4:5], -1
                                        ; implicit-def: $sgpr10
	s_and_saveexec_b64 s[8:9], vcc
; %bb.2802:
	s_mov_b32 s10, 0x7f800001
	s_xor_b64 s[4:5], exec, -1
; %bb.2803:
	s_or_b64 exec, exec, s[8:9]
	s_and_b64 s[4:5], s[4:5], exec
                                        ; implicit-def: $vgpr3
	s_or_saveexec_b64 s[6:7], s[6:7]
	v_mov_b32_e32 v2, s10
	s_xor_b64 exec, exec, s[6:7]
	s_cbranch_execz .LBB44_754
.LBB44_2804:
	v_cmp_ne_u16_e32 vcc, 0, v3
	s_andn2_b64 s[4:5], s[4:5], exec
	s_and_b64 s[8:9], vcc, exec
	v_mov_b32_e32 v2, 0
	s_or_b64 s[4:5], s[4:5], s[8:9]
	s_or_b64 exec, exec, s[6:7]
	s_and_saveexec_b64 s[6:7], s[4:5]
	s_cbranch_execnz .LBB44_755
	s_branch .LBB44_756
.LBB44_2805:
	s_movk_i32 s4, 0x80
	v_cmp_eq_u16_e32 vcc, s4, v3
	s_mov_b64 s[4:5], -1
                                        ; implicit-def: $sgpr10
	s_and_saveexec_b64 s[8:9], vcc
; %bb.2806:
	s_mov_b32 s10, 0x7f800001
	s_xor_b64 s[4:5], exec, -1
; %bb.2807:
	s_or_b64 exec, exec, s[8:9]
	s_and_b64 s[4:5], s[4:5], exec
                                        ; implicit-def: $vgpr3
	s_or_saveexec_b64 s[6:7], s[6:7]
	v_mov_b32_e32 v4, s10
	s_xor_b64 exec, exec, s[6:7]
	s_cbranch_execz .LBB44_758
.LBB44_2808:
	v_cmp_ne_u16_e32 vcc, 0, v3
	s_andn2_b64 s[4:5], s[4:5], exec
	s_and_b64 s[8:9], vcc, exec
	v_mov_b32_e32 v4, 0
	s_or_b64 s[4:5], s[4:5], s[8:9]
	s_or_b64 exec, exec, s[6:7]
	s_and_saveexec_b64 s[6:7], s[4:5]
	s_cbranch_execnz .LBB44_759
	s_branch .LBB44_760
.LBB44_2809:
	s_movk_i32 s4, 0x80
	v_cmp_eq_u16_sdwa s[12:13], v9, s4 src0_sel:BYTE_3 src1_sel:DWORD
	s_mov_b64 s[4:5], -1
                                        ; implicit-def: $sgpr10
	s_and_saveexec_b64 s[8:9], s[12:13]
; %bb.2810:
	s_mov_b32 s10, 0x7f800001
	s_xor_b64 s[4:5], exec, -1
; %bb.2811:
	s_or_b64 exec, exec, s[8:9]
	s_and_b64 s[4:5], s[4:5], exec
	s_or_saveexec_b64 s[6:7], s[6:7]
	v_mov_b32_e32 v2, s10
	s_xor_b64 exec, exec, s[6:7]
	s_cbranch_execz .LBB44_762
.LBB44_2812:
	v_mov_b32_e32 v2, 0
	v_cmp_ne_u16_sdwa s[8:9], v9, v2 src0_sel:BYTE_3 src1_sel:DWORD
	s_andn2_b64 s[4:5], s[4:5], exec
	s_and_b64 s[8:9], s[8:9], exec
	s_or_b64 s[4:5], s[4:5], s[8:9]
	s_or_b64 exec, exec, s[6:7]
	s_and_saveexec_b64 s[6:7], s[4:5]
	s_cbranch_execnz .LBB44_763
	s_branch .LBB44_764
.LBB44_2813:
	s_movk_i32 s4, 0x80
	v_cmp_eq_u16_sdwa s[12:13], v5, s4 src0_sel:BYTE_3 src1_sel:DWORD
	s_mov_b64 s[4:5], -1
                                        ; implicit-def: $sgpr10
	s_and_saveexec_b64 s[8:9], s[12:13]
; %bb.2814:
	s_mov_b32 s10, 0x7f800001
	s_xor_b64 s[4:5], exec, -1
; %bb.2815:
	s_or_b64 exec, exec, s[8:9]
	s_and_b64 s[4:5], s[4:5], exec
	s_or_saveexec_b64 s[6:7], s[6:7]
	v_mov_b32_e32 v3, s10
	s_xor_b64 exec, exec, s[6:7]
	s_cbranch_execz .LBB44_766
.LBB44_2816:
	v_mov_b32_e32 v3, 0
	v_cmp_ne_u16_sdwa s[8:9], v5, v3 src0_sel:BYTE_3 src1_sel:DWORD
	s_andn2_b64 s[4:5], s[4:5], exec
	s_and_b64 s[8:9], s[8:9], exec
	s_or_b64 s[4:5], s[4:5], s[8:9]
	s_or_b64 exec, exec, s[6:7]
	s_and_saveexec_b64 s[6:7], s[4:5]
	s_cbranch_execnz .LBB44_767
	s_branch .LBB44_768
.LBB44_2817:
	s_movk_i32 s4, 0x80
	v_cmp_eq_u16_sdwa s[12:13], v14, s4 src0_sel:BYTE_0 src1_sel:DWORD
	s_mov_b64 s[4:5], -1
                                        ; implicit-def: $sgpr10
	s_and_saveexec_b64 s[8:9], s[12:13]
; %bb.2818:
	s_mov_b32 s10, 0x7f800001
	s_xor_b64 s[4:5], exec, -1
; %bb.2819:
	s_or_b64 exec, exec, s[8:9]
	s_and_b64 s[4:5], s[4:5], exec
	s_or_saveexec_b64 s[6:7], s[6:7]
	v_mov_b32_e32 v20, s10
	s_xor_b64 exec, exec, s[6:7]
	s_cbranch_execz .LBB44_770
.LBB44_2820:
	v_mov_b32_e32 v20, 0
	v_cmp_ne_u16_sdwa s[8:9], v14, v20 src0_sel:BYTE_0 src1_sel:DWORD
	s_andn2_b64 s[4:5], s[4:5], exec
	s_and_b64 s[8:9], s[8:9], exec
	s_or_b64 s[4:5], s[4:5], s[8:9]
	s_or_b64 exec, exec, s[6:7]
	s_and_saveexec_b64 s[6:7], s[4:5]
	s_cbranch_execnz .LBB44_771
	s_branch .LBB44_772
.LBB44_2821:
	s_movk_i32 s4, 0x80
	v_cmp_eq_u16_sdwa s[12:13], v10, s4 src0_sel:BYTE_0 src1_sel:DWORD
	s_mov_b64 s[4:5], -1
                                        ; implicit-def: $sgpr10
	s_and_saveexec_b64 s[8:9], s[12:13]
; %bb.2822:
	s_mov_b32 s10, 0x7f800001
	s_xor_b64 s[4:5], exec, -1
; %bb.2823:
	s_or_b64 exec, exec, s[8:9]
	s_and_b64 s[4:5], s[4:5], exec
	s_or_saveexec_b64 s[6:7], s[6:7]
	v_mov_b32_e32 v21, s10
	s_xor_b64 exec, exec, s[6:7]
	s_cbranch_execz .LBB44_774
.LBB44_2824:
	v_mov_b32_e32 v21, 0
	v_cmp_ne_u16_sdwa s[8:9], v10, v21 src0_sel:BYTE_0 src1_sel:DWORD
	s_andn2_b64 s[4:5], s[4:5], exec
	s_and_b64 s[8:9], s[8:9], exec
	s_or_b64 s[4:5], s[4:5], s[8:9]
	s_or_b64 exec, exec, s[6:7]
	s_and_saveexec_b64 s[6:7], s[4:5]
	s_cbranch_execnz .LBB44_775
	s_branch .LBB44_776
.LBB44_2825:
	s_movk_i32 s4, 0x80
	v_cmp_eq_u16_sdwa s[12:13], v21, s4 src0_sel:BYTE_0 src1_sel:DWORD
	s_mov_b64 s[4:5], -1
                                        ; implicit-def: $sgpr10
	s_and_saveexec_b64 s[8:9], s[12:13]
; %bb.2826:
	s_mov_b32 s10, 0x7f800001
	s_xor_b64 s[4:5], exec, -1
; %bb.2827:
	s_or_b64 exec, exec, s[8:9]
	s_and_b64 s[4:5], s[4:5], exec
	s_or_saveexec_b64 s[6:7], s[6:7]
	v_mov_b32_e32 v20, s10
	s_xor_b64 exec, exec, s[6:7]
	s_cbranch_execz .LBB44_778
.LBB44_2828:
	v_mov_b32_e32 v20, 0
	v_cmp_ne_u16_sdwa s[8:9], v21, v20 src0_sel:BYTE_0 src1_sel:DWORD
	s_andn2_b64 s[4:5], s[4:5], exec
	s_and_b64 s[8:9], s[8:9], exec
	s_or_b64 s[4:5], s[4:5], s[8:9]
	s_or_b64 exec, exec, s[6:7]
	s_and_saveexec_b64 s[6:7], s[4:5]
	s_cbranch_execnz .LBB44_779
	s_branch .LBB44_780
.LBB44_2829:
	s_movk_i32 s4, 0x80
	v_cmp_eq_u16_sdwa s[12:13], v21, s4 src0_sel:BYTE_0 src1_sel:DWORD
	s_mov_b64 s[4:5], -1
                                        ; implicit-def: $sgpr10
	s_and_saveexec_b64 s[8:9], s[12:13]
; %bb.2830:
	s_mov_b32 s10, 0x7f800001
	s_xor_b64 s[4:5], exec, -1
; %bb.2831:
	s_or_b64 exec, exec, s[8:9]
	s_and_b64 s[4:5], s[4:5], exec
	s_or_saveexec_b64 s[6:7], s[6:7]
	v_mov_b32_e32 v22, s10
	s_xor_b64 exec, exec, s[6:7]
	s_cbranch_execz .LBB44_782
.LBB44_2832:
	v_mov_b32_e32 v22, 0
	v_cmp_ne_u16_sdwa s[8:9], v21, v22 src0_sel:BYTE_0 src1_sel:DWORD
	s_andn2_b64 s[4:5], s[4:5], exec
	s_and_b64 s[8:9], s[8:9], exec
	s_or_b64 s[4:5], s[4:5], s[8:9]
	s_or_b64 exec, exec, s[6:7]
	s_and_saveexec_b64 s[6:7], s[4:5]
	s_cbranch_execnz .LBB44_783
	s_branch .LBB44_784
.LBB44_2833:
	s_movk_i32 s4, 0x80
	v_cmp_eq_u16_e32 vcc, s4, v21
	s_mov_b64 s[4:5], -1
                                        ; implicit-def: $sgpr10
	s_and_saveexec_b64 s[8:9], vcc
; %bb.2834:
	s_mov_b32 s10, 0x7f800001
	s_xor_b64 s[4:5], exec, -1
; %bb.2835:
	s_or_b64 exec, exec, s[8:9]
	s_and_b64 s[4:5], s[4:5], exec
                                        ; implicit-def: $vgpr21
	s_or_saveexec_b64 s[6:7], s[6:7]
	v_mov_b32_e32 v20, s10
	s_xor_b64 exec, exec, s[6:7]
	s_cbranch_execz .LBB44_786
.LBB44_2836:
	v_cmp_ne_u16_e32 vcc, 0, v21
	s_andn2_b64 s[4:5], s[4:5], exec
	s_and_b64 s[8:9], vcc, exec
	v_mov_b32_e32 v20, 0
	s_or_b64 s[4:5], s[4:5], s[8:9]
	s_or_b64 exec, exec, s[6:7]
	s_and_saveexec_b64 s[6:7], s[4:5]
	s_cbranch_execnz .LBB44_787
	s_branch .LBB44_788
.LBB44_2837:
	s_movk_i32 s4, 0x80
	v_cmp_eq_u16_e32 vcc, s4, v21
	s_mov_b64 s[4:5], -1
                                        ; implicit-def: $sgpr10
	s_and_saveexec_b64 s[8:9], vcc
; %bb.2838:
	s_mov_b32 s10, 0x7f800001
	s_xor_b64 s[4:5], exec, -1
; %bb.2839:
	s_or_b64 exec, exec, s[8:9]
	s_and_b64 s[4:5], s[4:5], exec
                                        ; implicit-def: $vgpr21
	s_or_saveexec_b64 s[6:7], s[6:7]
	v_mov_b32_e32 v22, s10
	s_xor_b64 exec, exec, s[6:7]
	s_cbranch_execz .LBB44_790
.LBB44_2840:
	v_cmp_ne_u16_e32 vcc, 0, v21
	s_andn2_b64 s[4:5], s[4:5], exec
	s_and_b64 s[8:9], vcc, exec
	v_mov_b32_e32 v22, 0
	s_or_b64 s[4:5], s[4:5], s[8:9]
	s_or_b64 exec, exec, s[6:7]
	s_and_saveexec_b64 s[6:7], s[4:5]
	s_cbranch_execnz .LBB44_791
	s_branch .LBB44_792
.LBB44_2841:
	s_movk_i32 s4, 0x80
	v_cmp_eq_u16_sdwa s[12:13], v14, s4 src0_sel:BYTE_3 src1_sel:DWORD
	s_mov_b64 s[4:5], -1
                                        ; implicit-def: $sgpr10
	s_and_saveexec_b64 s[8:9], s[12:13]
; %bb.2842:
	s_mov_b32 s10, 0x7f800001
	s_xor_b64 s[4:5], exec, -1
; %bb.2843:
	s_or_b64 exec, exec, s[8:9]
	s_and_b64 s[4:5], s[4:5], exec
	s_or_saveexec_b64 s[6:7], s[6:7]
	v_mov_b32_e32 v20, s10
	s_xor_b64 exec, exec, s[6:7]
	s_cbranch_execz .LBB44_794
.LBB44_2844:
	v_mov_b32_e32 v20, 0
	v_cmp_ne_u16_sdwa s[8:9], v14, v20 src0_sel:BYTE_3 src1_sel:DWORD
	s_andn2_b64 s[4:5], s[4:5], exec
	s_and_b64 s[8:9], s[8:9], exec
	s_or_b64 s[4:5], s[4:5], s[8:9]
	s_or_b64 exec, exec, s[6:7]
	s_and_saveexec_b64 s[6:7], s[4:5]
	s_cbranch_execnz .LBB44_795
	s_branch .LBB44_796
.LBB44_2845:
	s_movk_i32 s4, 0x80
	v_cmp_eq_u16_sdwa s[12:13], v10, s4 src0_sel:BYTE_3 src1_sel:DWORD
	s_mov_b64 s[4:5], -1
                                        ; implicit-def: $sgpr10
	s_and_saveexec_b64 s[8:9], s[12:13]
; %bb.2846:
	s_mov_b32 s10, 0x7f800001
	s_xor_b64 s[4:5], exec, -1
; %bb.2847:
	s_or_b64 exec, exec, s[8:9]
	s_and_b64 s[4:5], s[4:5], exec
	s_or_saveexec_b64 s[6:7], s[6:7]
	v_mov_b32_e32 v14, s10
	s_xor_b64 exec, exec, s[6:7]
	s_cbranch_execz .LBB44_798
.LBB44_2848:
	v_mov_b32_e32 v14, 0
	v_cmp_ne_u16_sdwa s[8:9], v10, v14 src0_sel:BYTE_3 src1_sel:DWORD
	s_andn2_b64 s[4:5], s[4:5], exec
	s_and_b64 s[8:9], s[8:9], exec
	s_or_b64 s[4:5], s[4:5], s[8:9]
	s_or_b64 exec, exec, s[6:7]
	s_and_saveexec_b64 s[6:7], s[4:5]
	s_cbranch_execnz .LBB44_799
	s_branch .LBB44_800
.LBB44_2849:
	s_movk_i32 s4, 0x80
	v_cmp_eq_u16_sdwa s[12:13], v15, s4 src0_sel:BYTE_0 src1_sel:DWORD
	s_mov_b64 s[4:5], -1
                                        ; implicit-def: $sgpr10
	s_and_saveexec_b64 s[8:9], s[12:13]
; %bb.2850:
	s_mov_b32 s10, 0x7f800001
	s_xor_b64 s[4:5], exec, -1
; %bb.2851:
	s_or_b64 exec, exec, s[8:9]
	s_and_b64 s[4:5], s[4:5], exec
	s_or_saveexec_b64 s[6:7], s[6:7]
	v_mov_b32_e32 v10, s10
	s_xor_b64 exec, exec, s[6:7]
	s_cbranch_execz .LBB44_802
.LBB44_2852:
	v_mov_b32_e32 v10, 0
	v_cmp_ne_u16_sdwa s[8:9], v15, v10 src0_sel:BYTE_0 src1_sel:DWORD
	s_andn2_b64 s[4:5], s[4:5], exec
	s_and_b64 s[8:9], s[8:9], exec
	s_or_b64 s[4:5], s[4:5], s[8:9]
	s_or_b64 exec, exec, s[6:7]
	s_and_saveexec_b64 s[6:7], s[4:5]
	s_cbranch_execnz .LBB44_803
	s_branch .LBB44_804
.LBB44_2853:
	s_movk_i32 s4, 0x80
	v_cmp_eq_u16_sdwa s[12:13], v11, s4 src0_sel:BYTE_0 src1_sel:DWORD
	s_mov_b64 s[4:5], -1
                                        ; implicit-def: $sgpr10
	s_and_saveexec_b64 s[8:9], s[12:13]
; %bb.2854:
	s_mov_b32 s10, 0x7f800001
	s_xor_b64 s[4:5], exec, -1
; %bb.2855:
	s_or_b64 exec, exec, s[8:9]
	s_and_b64 s[4:5], s[4:5], exec
	s_or_saveexec_b64 s[6:7], s[6:7]
	v_mov_b32_e32 v14, s10
	s_xor_b64 exec, exec, s[6:7]
	s_cbranch_execz .LBB44_806
.LBB44_2856:
	v_mov_b32_e32 v14, 0
	v_cmp_ne_u16_sdwa s[8:9], v11, v14 src0_sel:BYTE_0 src1_sel:DWORD
	s_andn2_b64 s[4:5], s[4:5], exec
	s_and_b64 s[8:9], s[8:9], exec
	s_or_b64 s[4:5], s[4:5], s[8:9]
	s_or_b64 exec, exec, s[6:7]
	s_and_saveexec_b64 s[6:7], s[4:5]
	s_cbranch_execnz .LBB44_807
	s_branch .LBB44_808
.LBB44_2857:
	s_movk_i32 s4, 0x80
	v_cmp_eq_u16_sdwa s[12:13], v14, s4 src0_sel:BYTE_0 src1_sel:DWORD
	s_mov_b64 s[4:5], -1
                                        ; implicit-def: $sgpr10
	s_and_saveexec_b64 s[8:9], s[12:13]
; %bb.2858:
	s_mov_b32 s10, 0x7f800001
	s_xor_b64 s[4:5], exec, -1
; %bb.2859:
	s_or_b64 exec, exec, s[8:9]
	s_and_b64 s[4:5], s[4:5], exec
	s_or_saveexec_b64 s[6:7], s[6:7]
	v_mov_b32_e32 v10, s10
	s_xor_b64 exec, exec, s[6:7]
	s_cbranch_execz .LBB44_810
.LBB44_2860:
	v_mov_b32_e32 v10, 0
	v_cmp_ne_u16_sdwa s[8:9], v14, v10 src0_sel:BYTE_0 src1_sel:DWORD
	s_andn2_b64 s[4:5], s[4:5], exec
	s_and_b64 s[8:9], s[8:9], exec
	s_or_b64 s[4:5], s[4:5], s[8:9]
	s_or_b64 exec, exec, s[6:7]
	s_and_saveexec_b64 s[6:7], s[4:5]
	s_cbranch_execnz .LBB44_811
	s_branch .LBB44_812
.LBB44_2861:
	s_movk_i32 s4, 0x80
	v_cmp_eq_u16_sdwa s[12:13], v14, s4 src0_sel:BYTE_0 src1_sel:DWORD
	s_mov_b64 s[4:5], -1
                                        ; implicit-def: $sgpr10
	s_and_saveexec_b64 s[8:9], s[12:13]
; %bb.2862:
	s_mov_b32 s10, 0x7f800001
	s_xor_b64 s[4:5], exec, -1
; %bb.2863:
	s_or_b64 exec, exec, s[8:9]
	s_and_b64 s[4:5], s[4:5], exec
	s_or_saveexec_b64 s[6:7], s[6:7]
	v_mov_b32_e32 v20, s10
	s_xor_b64 exec, exec, s[6:7]
	s_cbranch_execz .LBB44_814
.LBB44_2864:
	v_mov_b32_e32 v20, 0
	v_cmp_ne_u16_sdwa s[8:9], v14, v20 src0_sel:BYTE_0 src1_sel:DWORD
	s_andn2_b64 s[4:5], s[4:5], exec
	s_and_b64 s[8:9], s[8:9], exec
	s_or_b64 s[4:5], s[4:5], s[8:9]
	s_or_b64 exec, exec, s[6:7]
	s_and_saveexec_b64 s[6:7], s[4:5]
	s_cbranch_execnz .LBB44_815
	s_branch .LBB44_816
.LBB44_2865:
	s_movk_i32 s4, 0x80
	v_cmp_eq_u16_e32 vcc, s4, v14
	s_mov_b64 s[4:5], -1
                                        ; implicit-def: $sgpr10
	s_and_saveexec_b64 s[8:9], vcc
; %bb.2866:
	s_mov_b32 s10, 0x7f800001
	s_xor_b64 s[4:5], exec, -1
; %bb.2867:
	s_or_b64 exec, exec, s[8:9]
	s_and_b64 s[4:5], s[4:5], exec
                                        ; implicit-def: $vgpr14
	s_or_saveexec_b64 s[6:7], s[6:7]
	v_mov_b32_e32 v10, s10
	s_xor_b64 exec, exec, s[6:7]
	s_cbranch_execz .LBB44_818
.LBB44_2868:
	v_cmp_ne_u16_e32 vcc, 0, v14
	s_andn2_b64 s[4:5], s[4:5], exec
	s_and_b64 s[8:9], vcc, exec
	v_mov_b32_e32 v10, 0
	s_or_b64 s[4:5], s[4:5], s[8:9]
	s_or_b64 exec, exec, s[6:7]
	s_and_saveexec_b64 s[6:7], s[4:5]
	s_cbranch_execnz .LBB44_819
	s_branch .LBB44_820
.LBB44_2869:
	s_movk_i32 s4, 0x80
	v_cmp_eq_u16_e32 vcc, s4, v14
	s_mov_b64 s[4:5], -1
                                        ; implicit-def: $sgpr10
	s_and_saveexec_b64 s[8:9], vcc
; %bb.2870:
	s_mov_b32 s10, 0x7f800001
	s_xor_b64 s[4:5], exec, -1
; %bb.2871:
	s_or_b64 exec, exec, s[8:9]
	s_and_b64 s[4:5], s[4:5], exec
                                        ; implicit-def: $vgpr14
	s_or_saveexec_b64 s[6:7], s[6:7]
	v_mov_b32_e32 v20, s10
	s_xor_b64 exec, exec, s[6:7]
	s_cbranch_execz .LBB44_822
.LBB44_2872:
	v_cmp_ne_u16_e32 vcc, 0, v14
	s_andn2_b64 s[4:5], s[4:5], exec
	s_and_b64 s[8:9], vcc, exec
	v_mov_b32_e32 v20, 0
	s_or_b64 s[4:5], s[4:5], s[8:9]
	s_or_b64 exec, exec, s[6:7]
	s_and_saveexec_b64 s[6:7], s[4:5]
	s_cbranch_execnz .LBB44_823
	s_branch .LBB44_824
.LBB44_2873:
	s_movk_i32 s4, 0x80
	v_cmp_eq_u16_sdwa s[12:13], v15, s4 src0_sel:BYTE_3 src1_sel:DWORD
	s_mov_b64 s[4:5], -1
                                        ; implicit-def: $sgpr10
	s_and_saveexec_b64 s[8:9], s[12:13]
; %bb.2874:
	s_mov_b32 s10, 0x7f800001
	s_xor_b64 s[4:5], exec, -1
; %bb.2875:
	s_or_b64 exec, exec, s[8:9]
	s_and_b64 s[4:5], s[4:5], exec
	s_or_saveexec_b64 s[6:7], s[6:7]
	v_mov_b32_e32 v10, s10
	s_xor_b64 exec, exec, s[6:7]
	s_cbranch_execz .LBB44_826
.LBB44_2876:
	v_mov_b32_e32 v10, 0
	v_cmp_ne_u16_sdwa s[8:9], v15, v10 src0_sel:BYTE_3 src1_sel:DWORD
	s_andn2_b64 s[4:5], s[4:5], exec
	s_and_b64 s[8:9], s[8:9], exec
	s_or_b64 s[4:5], s[4:5], s[8:9]
	s_or_b64 exec, exec, s[6:7]
	s_and_saveexec_b64 s[6:7], s[4:5]
	s_cbranch_execnz .LBB44_827
	s_branch .LBB44_828
.LBB44_2877:
	s_movk_i32 s4, 0x80
	v_cmp_eq_u16_sdwa s[12:13], v11, s4 src0_sel:BYTE_3 src1_sel:DWORD
	s_mov_b64 s[4:5], -1
                                        ; implicit-def: $sgpr10
	s_and_saveexec_b64 s[8:9], s[12:13]
; %bb.2878:
	s_mov_b32 s10, 0x7f800001
	s_xor_b64 s[4:5], exec, -1
; %bb.2879:
	s_or_b64 exec, exec, s[8:9]
	s_and_b64 s[4:5], s[4:5], exec
	s_or_saveexec_b64 s[6:7], s[6:7]
	v_mov_b32_e32 v14, s10
	s_xor_b64 exec, exec, s[6:7]
	s_cbranch_execz .LBB44_830
.LBB44_2880:
	v_mov_b32_e32 v14, 0
	v_cmp_ne_u16_sdwa s[8:9], v11, v14 src0_sel:BYTE_3 src1_sel:DWORD
	s_andn2_b64 s[4:5], s[4:5], exec
	s_and_b64 s[8:9], s[8:9], exec
	s_or_b64 s[4:5], s[4:5], s[8:9]
	s_or_b64 exec, exec, s[6:7]
	s_and_saveexec_b64 s[6:7], s[4:5]
	s_cbranch_execnz .LBB44_831
	s_branch .LBB44_832
.LBB44_2881:
	s_movk_i32 s4, 0x80
	v_cmp_eq_u16_sdwa s[12:13], v16, s4 src0_sel:BYTE_0 src1_sel:DWORD
	s_mov_b64 s[4:5], -1
                                        ; implicit-def: $sgpr10
	s_and_saveexec_b64 s[8:9], s[12:13]
; %bb.2882:
	s_mov_b32 s10, 0x7f800001
	s_xor_b64 s[4:5], exec, -1
; %bb.2883:
	s_or_b64 exec, exec, s[8:9]
	s_and_b64 s[4:5], s[4:5], exec
	s_or_saveexec_b64 s[6:7], s[6:7]
	v_mov_b32_e32 v10, s10
	s_xor_b64 exec, exec, s[6:7]
	s_cbranch_execz .LBB44_834
.LBB44_2884:
	v_mov_b32_e32 v10, 0
	v_cmp_ne_u16_sdwa s[8:9], v16, v10 src0_sel:BYTE_0 src1_sel:DWORD
	s_andn2_b64 s[4:5], s[4:5], exec
	s_and_b64 s[8:9], s[8:9], exec
	s_or_b64 s[4:5], s[4:5], s[8:9]
	s_or_b64 exec, exec, s[6:7]
	s_and_saveexec_b64 s[6:7], s[4:5]
	s_cbranch_execnz .LBB44_835
	s_branch .LBB44_836
.LBB44_2885:
	s_movk_i32 s4, 0x80
	v_cmp_eq_u16_sdwa s[12:13], v12, s4 src0_sel:BYTE_0 src1_sel:DWORD
	s_mov_b64 s[4:5], -1
                                        ; implicit-def: $sgpr10
	s_and_saveexec_b64 s[8:9], s[12:13]
; %bb.2886:
	s_mov_b32 s10, 0x7f800001
	s_xor_b64 s[4:5], exec, -1
; %bb.2887:
	s_or_b64 exec, exec, s[8:9]
	s_and_b64 s[4:5], s[4:5], exec
	s_or_saveexec_b64 s[6:7], s[6:7]
	v_mov_b32_e32 v11, s10
	s_xor_b64 exec, exec, s[6:7]
	s_cbranch_execz .LBB44_838
.LBB44_2888:
	v_mov_b32_e32 v11, 0
	v_cmp_ne_u16_sdwa s[8:9], v12, v11 src0_sel:BYTE_0 src1_sel:DWORD
	s_andn2_b64 s[4:5], s[4:5], exec
	s_and_b64 s[8:9], s[8:9], exec
	s_or_b64 s[4:5], s[4:5], s[8:9]
	s_or_b64 exec, exec, s[6:7]
	s_and_saveexec_b64 s[6:7], s[4:5]
	s_cbranch_execnz .LBB44_839
	s_branch .LBB44_840
.LBB44_2889:
	s_movk_i32 s4, 0x80
	v_cmp_eq_u16_sdwa s[12:13], v11, s4 src0_sel:BYTE_0 src1_sel:DWORD
	s_mov_b64 s[4:5], -1
                                        ; implicit-def: $sgpr10
	s_and_saveexec_b64 s[8:9], s[12:13]
; %bb.2890:
	s_mov_b32 s10, 0x7f800001
	s_xor_b64 s[4:5], exec, -1
; %bb.2891:
	s_or_b64 exec, exec, s[8:9]
	s_and_b64 s[4:5], s[4:5], exec
	s_or_saveexec_b64 s[6:7], s[6:7]
	v_mov_b32_e32 v10, s10
	s_xor_b64 exec, exec, s[6:7]
	s_cbranch_execz .LBB44_842
.LBB44_2892:
	v_mov_b32_e32 v10, 0
	v_cmp_ne_u16_sdwa s[8:9], v11, v10 src0_sel:BYTE_0 src1_sel:DWORD
	s_andn2_b64 s[4:5], s[4:5], exec
	s_and_b64 s[8:9], s[8:9], exec
	s_or_b64 s[4:5], s[4:5], s[8:9]
	s_or_b64 exec, exec, s[6:7]
	s_and_saveexec_b64 s[6:7], s[4:5]
	s_cbranch_execnz .LBB44_843
	s_branch .LBB44_844
.LBB44_2893:
	s_movk_i32 s4, 0x80
	v_cmp_eq_u16_sdwa s[12:13], v11, s4 src0_sel:BYTE_0 src1_sel:DWORD
	s_mov_b64 s[4:5], -1
                                        ; implicit-def: $sgpr10
	s_and_saveexec_b64 s[8:9], s[12:13]
; %bb.2894:
	s_mov_b32 s10, 0x7f800001
	s_xor_b64 s[4:5], exec, -1
; %bb.2895:
	s_or_b64 exec, exec, s[8:9]
	s_and_b64 s[4:5], s[4:5], exec
	s_or_saveexec_b64 s[6:7], s[6:7]
	v_mov_b32_e32 v14, s10
	s_xor_b64 exec, exec, s[6:7]
	s_cbranch_execz .LBB44_846
.LBB44_2896:
	v_mov_b32_e32 v14, 0
	v_cmp_ne_u16_sdwa s[8:9], v11, v14 src0_sel:BYTE_0 src1_sel:DWORD
	s_andn2_b64 s[4:5], s[4:5], exec
	s_and_b64 s[8:9], s[8:9], exec
	s_or_b64 s[4:5], s[4:5], s[8:9]
	s_or_b64 exec, exec, s[6:7]
	s_and_saveexec_b64 s[6:7], s[4:5]
	s_cbranch_execnz .LBB44_847
	s_branch .LBB44_848
.LBB44_2897:
	s_movk_i32 s4, 0x80
	v_cmp_eq_u16_e32 vcc, s4, v11
	s_mov_b64 s[4:5], -1
                                        ; implicit-def: $sgpr10
	s_and_saveexec_b64 s[8:9], vcc
; %bb.2898:
	s_mov_b32 s10, 0x7f800001
	s_xor_b64 s[4:5], exec, -1
; %bb.2899:
	s_or_b64 exec, exec, s[8:9]
	s_and_b64 s[4:5], s[4:5], exec
                                        ; implicit-def: $vgpr11
	s_or_saveexec_b64 s[6:7], s[6:7]
	v_mov_b32_e32 v10, s10
	s_xor_b64 exec, exec, s[6:7]
	s_cbranch_execz .LBB44_850
.LBB44_2900:
	v_cmp_ne_u16_e32 vcc, 0, v11
	s_andn2_b64 s[4:5], s[4:5], exec
	s_and_b64 s[8:9], vcc, exec
	v_mov_b32_e32 v10, 0
	s_or_b64 s[4:5], s[4:5], s[8:9]
	s_or_b64 exec, exec, s[6:7]
	s_and_saveexec_b64 s[6:7], s[4:5]
	s_cbranch_execnz .LBB44_851
	s_branch .LBB44_852
.LBB44_2901:
	s_movk_i32 s4, 0x80
	v_cmp_eq_u16_e32 vcc, s4, v11
	s_mov_b64 s[4:5], -1
                                        ; implicit-def: $sgpr10
	s_and_saveexec_b64 s[8:9], vcc
; %bb.2902:
	s_mov_b32 s10, 0x7f800001
	s_xor_b64 s[4:5], exec, -1
; %bb.2903:
	s_or_b64 exec, exec, s[8:9]
	s_and_b64 s[4:5], s[4:5], exec
                                        ; implicit-def: $vgpr11
	s_or_saveexec_b64 s[6:7], s[6:7]
	v_mov_b32_e32 v14, s10
	s_xor_b64 exec, exec, s[6:7]
	s_cbranch_execz .LBB44_854
.LBB44_2904:
	v_cmp_ne_u16_e32 vcc, 0, v11
	s_andn2_b64 s[4:5], s[4:5], exec
	s_and_b64 s[8:9], vcc, exec
	v_mov_b32_e32 v14, 0
	s_or_b64 s[4:5], s[4:5], s[8:9]
	s_or_b64 exec, exec, s[6:7]
	s_and_saveexec_b64 s[6:7], s[4:5]
	s_cbranch_execnz .LBB44_855
	s_branch .LBB44_856
.LBB44_2905:
	s_movk_i32 s4, 0x80
	v_cmp_eq_u16_sdwa s[12:13], v16, s4 src0_sel:BYTE_3 src1_sel:DWORD
	s_mov_b64 s[4:5], -1
                                        ; implicit-def: $sgpr10
	s_and_saveexec_b64 s[8:9], s[12:13]
; %bb.2906:
	s_mov_b32 s10, 0x7f800001
	s_xor_b64 s[4:5], exec, -1
; %bb.2907:
	s_or_b64 exec, exec, s[8:9]
	s_and_b64 s[4:5], s[4:5], exec
	s_or_saveexec_b64 s[6:7], s[6:7]
	v_mov_b32_e32 v10, s10
	s_xor_b64 exec, exec, s[6:7]
	s_cbranch_execz .LBB44_858
.LBB44_2908:
	v_mov_b32_e32 v10, 0
	v_cmp_ne_u16_sdwa s[8:9], v16, v10 src0_sel:BYTE_3 src1_sel:DWORD
	s_andn2_b64 s[4:5], s[4:5], exec
	s_and_b64 s[8:9], s[8:9], exec
	s_or_b64 s[4:5], s[4:5], s[8:9]
	s_or_b64 exec, exec, s[6:7]
	s_and_saveexec_b64 s[6:7], s[4:5]
	s_cbranch_execnz .LBB44_859
	s_branch .LBB44_860
.LBB44_2909:
	s_movk_i32 s4, 0x80
	v_cmp_eq_u16_sdwa s[12:13], v12, s4 src0_sel:BYTE_3 src1_sel:DWORD
	s_mov_b64 s[4:5], -1
                                        ; implicit-def: $sgpr10
	s_and_saveexec_b64 s[8:9], s[12:13]
; %bb.2910:
	s_mov_b32 s10, 0x7f800001
	s_xor_b64 s[4:5], exec, -1
; %bb.2911:
	s_or_b64 exec, exec, s[8:9]
	s_and_b64 s[4:5], s[4:5], exec
	s_or_saveexec_b64 s[6:7], s[6:7]
	v_mov_b32_e32 v11, s10
	s_xor_b64 exec, exec, s[6:7]
	s_cbranch_execz .LBB44_862
.LBB44_2912:
	v_mov_b32_e32 v11, 0
	v_cmp_ne_u16_sdwa s[8:9], v12, v11 src0_sel:BYTE_3 src1_sel:DWORD
	s_andn2_b64 s[4:5], s[4:5], exec
	s_and_b64 s[8:9], s[8:9], exec
	s_or_b64 s[4:5], s[4:5], s[8:9]
	s_or_b64 exec, exec, s[6:7]
	s_and_saveexec_b64 s[6:7], s[4:5]
	s_cbranch_execnz .LBB44_863
	s_branch .LBB44_864
.LBB44_2913:
	s_movk_i32 s4, 0x80
	v_cmp_eq_u16_sdwa s[12:13], v17, s4 src0_sel:BYTE_0 src1_sel:DWORD
	s_mov_b64 s[4:5], -1
                                        ; implicit-def: $sgpr10
	s_and_saveexec_b64 s[8:9], s[12:13]
; %bb.2914:
	s_mov_b32 s10, 0x7f800001
	s_xor_b64 s[4:5], exec, -1
; %bb.2915:
	s_or_b64 exec, exec, s[8:9]
	s_and_b64 s[4:5], s[4:5], exec
	s_or_saveexec_b64 s[6:7], s[6:7]
	v_mov_b32_e32 v10, s10
	s_xor_b64 exec, exec, s[6:7]
	s_cbranch_execz .LBB44_866
.LBB44_2916:
	v_mov_b32_e32 v10, 0
	v_cmp_ne_u16_sdwa s[8:9], v17, v10 src0_sel:BYTE_0 src1_sel:DWORD
	s_andn2_b64 s[4:5], s[4:5], exec
	s_and_b64 s[8:9], s[8:9], exec
	s_or_b64 s[4:5], s[4:5], s[8:9]
	s_or_b64 exec, exec, s[6:7]
	s_and_saveexec_b64 s[6:7], s[4:5]
	s_cbranch_execnz .LBB44_867
	s_branch .LBB44_868
.LBB44_2917:
	s_movk_i32 s4, 0x80
	v_cmp_eq_u16_sdwa s[12:13], v13, s4 src0_sel:BYTE_0 src1_sel:DWORD
	s_mov_b64 s[4:5], -1
                                        ; implicit-def: $sgpr10
	s_and_saveexec_b64 s[8:9], s[12:13]
; %bb.2918:
	s_mov_b32 s10, 0x7f800001
	s_xor_b64 s[4:5], exec, -1
; %bb.2919:
	s_or_b64 exec, exec, s[8:9]
	s_and_b64 s[4:5], s[4:5], exec
	s_or_saveexec_b64 s[6:7], s[6:7]
	v_mov_b32_e32 v11, s10
	s_xor_b64 exec, exec, s[6:7]
	s_cbranch_execz .LBB44_870
.LBB44_2920:
	v_mov_b32_e32 v11, 0
	v_cmp_ne_u16_sdwa s[8:9], v13, v11 src0_sel:BYTE_0 src1_sel:DWORD
	s_andn2_b64 s[4:5], s[4:5], exec
	s_and_b64 s[8:9], s[8:9], exec
	s_or_b64 s[4:5], s[4:5], s[8:9]
	s_or_b64 exec, exec, s[6:7]
	s_and_saveexec_b64 s[6:7], s[4:5]
	s_cbranch_execnz .LBB44_871
	s_branch .LBB44_872
.LBB44_2921:
	s_movk_i32 s4, 0x80
	v_cmp_eq_u16_sdwa s[12:13], v11, s4 src0_sel:BYTE_0 src1_sel:DWORD
	s_mov_b64 s[4:5], -1
                                        ; implicit-def: $sgpr10
	s_and_saveexec_b64 s[8:9], s[12:13]
; %bb.2922:
	s_mov_b32 s10, 0x7f800001
	s_xor_b64 s[4:5], exec, -1
; %bb.2923:
	s_or_b64 exec, exec, s[8:9]
	s_and_b64 s[4:5], s[4:5], exec
	s_or_saveexec_b64 s[6:7], s[6:7]
	v_mov_b32_e32 v10, s10
	s_xor_b64 exec, exec, s[6:7]
	s_cbranch_execz .LBB44_874
.LBB44_2924:
	v_mov_b32_e32 v10, 0
	v_cmp_ne_u16_sdwa s[8:9], v11, v10 src0_sel:BYTE_0 src1_sel:DWORD
	s_andn2_b64 s[4:5], s[4:5], exec
	s_and_b64 s[8:9], s[8:9], exec
	s_or_b64 s[4:5], s[4:5], s[8:9]
	s_or_b64 exec, exec, s[6:7]
	s_and_saveexec_b64 s[6:7], s[4:5]
	s_cbranch_execnz .LBB44_875
	s_branch .LBB44_876
.LBB44_2925:
	s_movk_i32 s4, 0x80
	v_cmp_eq_u16_sdwa s[12:13], v11, s4 src0_sel:BYTE_0 src1_sel:DWORD
	s_mov_b64 s[4:5], -1
                                        ; implicit-def: $sgpr10
	s_and_saveexec_b64 s[8:9], s[12:13]
; %bb.2926:
	s_mov_b32 s10, 0x7f800001
	s_xor_b64 s[4:5], exec, -1
; %bb.2927:
	s_or_b64 exec, exec, s[8:9]
	s_and_b64 s[4:5], s[4:5], exec
	s_or_saveexec_b64 s[6:7], s[6:7]
	v_mov_b32_e32 v12, s10
	s_xor_b64 exec, exec, s[6:7]
	s_cbranch_execz .LBB44_878
.LBB44_2928:
	v_mov_b32_e32 v12, 0
	v_cmp_ne_u16_sdwa s[8:9], v11, v12 src0_sel:BYTE_0 src1_sel:DWORD
	s_andn2_b64 s[4:5], s[4:5], exec
	s_and_b64 s[8:9], s[8:9], exec
	s_or_b64 s[4:5], s[4:5], s[8:9]
	s_or_b64 exec, exec, s[6:7]
	s_and_saveexec_b64 s[6:7], s[4:5]
	s_cbranch_execnz .LBB44_879
	s_branch .LBB44_880
.LBB44_2929:
	s_movk_i32 s4, 0x80
	v_cmp_eq_u16_e32 vcc, s4, v11
	s_mov_b64 s[4:5], -1
                                        ; implicit-def: $sgpr10
	s_and_saveexec_b64 s[8:9], vcc
; %bb.2930:
	s_mov_b32 s10, 0x7f800001
	s_xor_b64 s[4:5], exec, -1
; %bb.2931:
	s_or_b64 exec, exec, s[8:9]
	s_and_b64 s[4:5], s[4:5], exec
                                        ; implicit-def: $vgpr11
	s_or_saveexec_b64 s[6:7], s[6:7]
	v_mov_b32_e32 v10, s10
	s_xor_b64 exec, exec, s[6:7]
	s_cbranch_execz .LBB44_882
.LBB44_2932:
	v_cmp_ne_u16_e32 vcc, 0, v11
	s_andn2_b64 s[4:5], s[4:5], exec
	s_and_b64 s[8:9], vcc, exec
	v_mov_b32_e32 v10, 0
	s_or_b64 s[4:5], s[4:5], s[8:9]
	s_or_b64 exec, exec, s[6:7]
	s_and_saveexec_b64 s[6:7], s[4:5]
	s_cbranch_execnz .LBB44_883
	s_branch .LBB44_884
.LBB44_2933:
	s_movk_i32 s4, 0x80
	v_cmp_eq_u16_e32 vcc, s4, v11
	s_mov_b64 s[4:5], -1
                                        ; implicit-def: $sgpr10
	s_and_saveexec_b64 s[8:9], vcc
; %bb.2934:
	s_mov_b32 s10, 0x7f800001
	s_xor_b64 s[4:5], exec, -1
; %bb.2935:
	s_or_b64 exec, exec, s[8:9]
	s_and_b64 s[4:5], s[4:5], exec
                                        ; implicit-def: $vgpr11
	s_or_saveexec_b64 s[6:7], s[6:7]
	v_mov_b32_e32 v12, s10
	s_xor_b64 exec, exec, s[6:7]
	s_cbranch_execz .LBB44_886
.LBB44_2936:
	v_cmp_ne_u16_e32 vcc, 0, v11
	s_andn2_b64 s[4:5], s[4:5], exec
	s_and_b64 s[8:9], vcc, exec
	v_mov_b32_e32 v12, 0
	s_or_b64 s[4:5], s[4:5], s[8:9]
	s_or_b64 exec, exec, s[6:7]
	s_and_saveexec_b64 s[6:7], s[4:5]
	s_cbranch_execnz .LBB44_887
	s_branch .LBB44_888
.LBB44_2937:
	s_movk_i32 s4, 0x80
	v_cmp_eq_u16_sdwa s[12:13], v17, s4 src0_sel:BYTE_3 src1_sel:DWORD
	s_mov_b64 s[4:5], -1
                                        ; implicit-def: $sgpr10
	s_and_saveexec_b64 s[8:9], s[12:13]
; %bb.2938:
	s_mov_b32 s10, 0x7f800001
	s_xor_b64 s[4:5], exec, -1
; %bb.2939:
	s_or_b64 exec, exec, s[8:9]
	s_and_b64 s[4:5], s[4:5], exec
	s_or_saveexec_b64 s[6:7], s[6:7]
	v_mov_b32_e32 v10, s10
	s_xor_b64 exec, exec, s[6:7]
	s_cbranch_execz .LBB44_890
.LBB44_2940:
	v_mov_b32_e32 v10, 0
	v_cmp_ne_u16_sdwa s[8:9], v17, v10 src0_sel:BYTE_3 src1_sel:DWORD
	s_andn2_b64 s[4:5], s[4:5], exec
	s_and_b64 s[8:9], s[8:9], exec
	s_or_b64 s[4:5], s[4:5], s[8:9]
	s_or_b64 exec, exec, s[6:7]
	s_and_saveexec_b64 s[6:7], s[4:5]
	s_cbranch_execnz .LBB44_891
	s_branch .LBB44_892
.LBB44_2941:
	s_movk_i32 s4, 0x80
	v_cmp_eq_u16_sdwa s[12:13], v13, s4 src0_sel:BYTE_3 src1_sel:DWORD
	s_mov_b64 s[4:5], -1
                                        ; implicit-def: $sgpr10
	s_and_saveexec_b64 s[8:9], s[12:13]
; %bb.2942:
	s_mov_b32 s10, 0x7f800001
	s_xor_b64 s[4:5], exec, -1
; %bb.2943:
	s_or_b64 exec, exec, s[8:9]
	s_and_b64 s[4:5], s[4:5], exec
	s_or_saveexec_b64 s[6:7], s[6:7]
	v_mov_b32_e32 v11, s10
	s_xor_b64 exec, exec, s[6:7]
	s_cbranch_execz .LBB44_894
.LBB44_2944:
	v_mov_b32_e32 v11, 0
	v_cmp_ne_u16_sdwa s[8:9], v13, v11 src0_sel:BYTE_3 src1_sel:DWORD
	s_andn2_b64 s[4:5], s[4:5], exec
	s_and_b64 s[8:9], s[8:9], exec
	s_or_b64 s[4:5], s[4:5], s[8:9]
	s_or_b64 exec, exec, s[6:7]
	s_and_saveexec_b64 s[6:7], s[4:5]
	s_cbranch_execnz .LBB44_895
	s_branch .LBB44_896
.LBB44_2945:
	s_movk_i32 s4, 0x80
	v_cmp_eq_u16_sdwa s[12:13], v6, s4 src0_sel:BYTE_0 src1_sel:DWORD
	s_mov_b64 s[4:5], -1
                                        ; implicit-def: $sgpr10
	s_and_saveexec_b64 s[8:9], s[12:13]
; %bb.2946:
	s_mov_b32 s10, 0x7f800001
	s_xor_b64 s[4:5], exec, -1
; %bb.2947:
	s_or_b64 exec, exec, s[8:9]
	s_and_b64 s[4:5], s[4:5], exec
	s_or_saveexec_b64 s[6:7], s[6:7]
	v_mov_b32_e32 v10, s10
	s_xor_b64 exec, exec, s[6:7]
	s_cbranch_execz .LBB44_898
.LBB44_2948:
	v_mov_b32_e32 v10, 0
	v_cmp_ne_u16_sdwa s[8:9], v6, v10 src0_sel:BYTE_0 src1_sel:DWORD
	s_andn2_b64 s[4:5], s[4:5], exec
	s_and_b64 s[8:9], s[8:9], exec
	s_or_b64 s[4:5], s[4:5], s[8:9]
	s_or_b64 exec, exec, s[6:7]
	s_and_saveexec_b64 s[6:7], s[4:5]
	s_cbranch_execnz .LBB44_899
	s_branch .LBB44_900
.LBB44_2949:
	s_movk_i32 s4, 0x80
	v_cmp_eq_u16_sdwa s[12:13], v2, s4 src0_sel:BYTE_0 src1_sel:DWORD
	s_mov_b64 s[4:5], -1
                                        ; implicit-def: $sgpr10
	s_and_saveexec_b64 s[8:9], s[12:13]
; %bb.2950:
	s_mov_b32 s10, 0x7f800001
	s_xor_b64 s[4:5], exec, -1
; %bb.2951:
	s_or_b64 exec, exec, s[8:9]
	s_and_b64 s[4:5], s[4:5], exec
	s_or_saveexec_b64 s[6:7], s[6:7]
	v_mov_b32_e32 v11, s10
	s_xor_b64 exec, exec, s[6:7]
	s_cbranch_execz .LBB44_902
.LBB44_2952:
	v_mov_b32_e32 v11, 0
	v_cmp_ne_u16_sdwa s[8:9], v2, v11 src0_sel:BYTE_0 src1_sel:DWORD
	s_andn2_b64 s[4:5], s[4:5], exec
	s_and_b64 s[8:9], s[8:9], exec
	s_or_b64 s[4:5], s[4:5], s[8:9]
	s_or_b64 exec, exec, s[6:7]
	s_and_saveexec_b64 s[6:7], s[4:5]
	s_cbranch_execnz .LBB44_903
	s_branch .LBB44_904
.LBB44_2953:
	s_movk_i32 s4, 0x80
	v_cmp_eq_u16_sdwa s[12:13], v11, s4 src0_sel:BYTE_0 src1_sel:DWORD
	s_mov_b64 s[4:5], -1
                                        ; implicit-def: $sgpr10
	s_and_saveexec_b64 s[8:9], s[12:13]
; %bb.2954:
	s_mov_b32 s10, 0x7f800001
	s_xor_b64 s[4:5], exec, -1
; %bb.2955:
	s_or_b64 exec, exec, s[8:9]
	s_and_b64 s[4:5], s[4:5], exec
	s_or_saveexec_b64 s[6:7], s[6:7]
	v_mov_b32_e32 v10, s10
	s_xor_b64 exec, exec, s[6:7]
	s_cbranch_execz .LBB44_906
.LBB44_2956:
	v_mov_b32_e32 v10, 0
	v_cmp_ne_u16_sdwa s[8:9], v11, v10 src0_sel:BYTE_0 src1_sel:DWORD
	s_andn2_b64 s[4:5], s[4:5], exec
	s_and_b64 s[8:9], s[8:9], exec
	s_or_b64 s[4:5], s[4:5], s[8:9]
	s_or_b64 exec, exec, s[6:7]
	s_and_saveexec_b64 s[6:7], s[4:5]
	s_cbranch_execnz .LBB44_907
	s_branch .LBB44_908
.LBB44_2957:
	s_movk_i32 s4, 0x80
	v_cmp_eq_u16_sdwa s[12:13], v11, s4 src0_sel:BYTE_0 src1_sel:DWORD
	s_mov_b64 s[4:5], -1
                                        ; implicit-def: $sgpr10
	s_and_saveexec_b64 s[8:9], s[12:13]
; %bb.2958:
	s_mov_b32 s10, 0x7f800001
	s_xor_b64 s[4:5], exec, -1
; %bb.2959:
	s_or_b64 exec, exec, s[8:9]
	s_and_b64 s[4:5], s[4:5], exec
	s_or_saveexec_b64 s[6:7], s[6:7]
	v_mov_b32_e32 v12, s10
	s_xor_b64 exec, exec, s[6:7]
	s_cbranch_execz .LBB44_910
.LBB44_2960:
	v_mov_b32_e32 v12, 0
	v_cmp_ne_u16_sdwa s[8:9], v11, v12 src0_sel:BYTE_0 src1_sel:DWORD
	s_andn2_b64 s[4:5], s[4:5], exec
	s_and_b64 s[8:9], s[8:9], exec
	s_or_b64 s[4:5], s[4:5], s[8:9]
	s_or_b64 exec, exec, s[6:7]
	s_and_saveexec_b64 s[6:7], s[4:5]
	s_cbranch_execnz .LBB44_911
	s_branch .LBB44_912
.LBB44_2961:
	s_movk_i32 s4, 0x80
	v_cmp_eq_u16_e32 vcc, s4, v11
	s_mov_b64 s[4:5], -1
                                        ; implicit-def: $sgpr10
	s_and_saveexec_b64 s[8:9], vcc
; %bb.2962:
	s_mov_b32 s10, 0x7f800001
	s_xor_b64 s[4:5], exec, -1
; %bb.2963:
	s_or_b64 exec, exec, s[8:9]
	s_and_b64 s[4:5], s[4:5], exec
                                        ; implicit-def: $vgpr11
	s_or_saveexec_b64 s[6:7], s[6:7]
	v_mov_b32_e32 v10, s10
	s_xor_b64 exec, exec, s[6:7]
	s_cbranch_execz .LBB44_914
.LBB44_2964:
	v_cmp_ne_u16_e32 vcc, 0, v11
	s_andn2_b64 s[4:5], s[4:5], exec
	s_and_b64 s[8:9], vcc, exec
	v_mov_b32_e32 v10, 0
	s_or_b64 s[4:5], s[4:5], s[8:9]
	s_or_b64 exec, exec, s[6:7]
	s_and_saveexec_b64 s[6:7], s[4:5]
	s_cbranch_execnz .LBB44_915
	s_branch .LBB44_916
.LBB44_2965:
	s_movk_i32 s4, 0x80
	v_cmp_eq_u16_e32 vcc, s4, v11
	s_mov_b64 s[4:5], -1
                                        ; implicit-def: $sgpr10
	s_and_saveexec_b64 s[8:9], vcc
; %bb.2966:
	s_mov_b32 s10, 0x7f800001
	s_xor_b64 s[4:5], exec, -1
; %bb.2967:
	s_or_b64 exec, exec, s[8:9]
	s_and_b64 s[4:5], s[4:5], exec
                                        ; implicit-def: $vgpr11
	s_or_saveexec_b64 s[6:7], s[6:7]
	v_mov_b32_e32 v12, s10
	s_xor_b64 exec, exec, s[6:7]
	s_cbranch_execz .LBB44_918
.LBB44_2968:
	v_cmp_ne_u16_e32 vcc, 0, v11
	s_andn2_b64 s[4:5], s[4:5], exec
	s_and_b64 s[8:9], vcc, exec
	v_mov_b32_e32 v12, 0
	s_or_b64 s[4:5], s[4:5], s[8:9]
	s_or_b64 exec, exec, s[6:7]
	s_and_saveexec_b64 s[6:7], s[4:5]
	s_cbranch_execnz .LBB44_919
	s_branch .LBB44_920
.LBB44_2969:
	s_movk_i32 s4, 0x80
	v_cmp_eq_u16_sdwa s[12:13], v6, s4 src0_sel:BYTE_3 src1_sel:DWORD
	s_mov_b64 s[4:5], -1
                                        ; implicit-def: $sgpr10
	s_and_saveexec_b64 s[8:9], s[12:13]
; %bb.2970:
	s_mov_b32 s10, 0x7f800001
	s_xor_b64 s[4:5], exec, -1
; %bb.2971:
	s_or_b64 exec, exec, s[8:9]
	s_and_b64 s[4:5], s[4:5], exec
	s_or_saveexec_b64 s[6:7], s[6:7]
	v_mov_b32_e32 v10, s10
	s_xor_b64 exec, exec, s[6:7]
	s_cbranch_execz .LBB44_922
.LBB44_2972:
	v_mov_b32_e32 v10, 0
	v_cmp_ne_u16_sdwa s[8:9], v6, v10 src0_sel:BYTE_3 src1_sel:DWORD
	s_andn2_b64 s[4:5], s[4:5], exec
	s_and_b64 s[8:9], s[8:9], exec
	s_or_b64 s[4:5], s[4:5], s[8:9]
	s_or_b64 exec, exec, s[6:7]
	s_and_saveexec_b64 s[6:7], s[4:5]
	s_cbranch_execnz .LBB44_923
	s_branch .LBB44_924
.LBB44_2973:
	s_movk_i32 s4, 0x80
	v_cmp_eq_u16_sdwa s[12:13], v2, s4 src0_sel:BYTE_3 src1_sel:DWORD
	s_mov_b64 s[4:5], -1
                                        ; implicit-def: $sgpr10
	s_and_saveexec_b64 s[8:9], s[12:13]
; %bb.2974:
	s_mov_b32 s10, 0x7f800001
	s_xor_b64 s[4:5], exec, -1
; %bb.2975:
	s_or_b64 exec, exec, s[8:9]
	s_and_b64 s[4:5], s[4:5], exec
	s_or_saveexec_b64 s[6:7], s[6:7]
	v_mov_b32_e32 v6, s10
	s_xor_b64 exec, exec, s[6:7]
	s_cbranch_execz .LBB44_926
.LBB44_2976:
	v_mov_b32_e32 v6, 0
	v_cmp_ne_u16_sdwa s[8:9], v2, v6 src0_sel:BYTE_3 src1_sel:DWORD
	s_andn2_b64 s[4:5], s[4:5], exec
	s_and_b64 s[8:9], s[8:9], exec
	s_or_b64 s[4:5], s[4:5], s[8:9]
	s_or_b64 exec, exec, s[6:7]
	s_and_saveexec_b64 s[6:7], s[4:5]
	s_cbranch_execnz .LBB44_927
	s_branch .LBB44_928
.LBB44_2977:
	s_movk_i32 s4, 0x80
	v_cmp_eq_u16_sdwa s[12:13], v7, s4 src0_sel:BYTE_0 src1_sel:DWORD
	s_mov_b64 s[4:5], -1
                                        ; implicit-def: $sgpr10
	s_and_saveexec_b64 s[8:9], s[12:13]
; %bb.2978:
	s_mov_b32 s10, 0x7f800001
	s_xor_b64 s[4:5], exec, -1
; %bb.2979:
	s_or_b64 exec, exec, s[8:9]
	s_and_b64 s[4:5], s[4:5], exec
	s_or_saveexec_b64 s[6:7], s[6:7]
	v_mov_b32_e32 v2, s10
	s_xor_b64 exec, exec, s[6:7]
	s_cbranch_execz .LBB44_930
.LBB44_2980:
	v_mov_b32_e32 v2, 0
	v_cmp_ne_u16_sdwa s[8:9], v7, v2 src0_sel:BYTE_0 src1_sel:DWORD
	s_andn2_b64 s[4:5], s[4:5], exec
	s_and_b64 s[8:9], s[8:9], exec
	s_or_b64 s[4:5], s[4:5], s[8:9]
	s_or_b64 exec, exec, s[6:7]
	s_and_saveexec_b64 s[6:7], s[4:5]
	s_cbranch_execnz .LBB44_931
	s_branch .LBB44_932
.LBB44_2981:
	s_movk_i32 s4, 0x80
	v_cmp_eq_u16_sdwa s[12:13], v3, s4 src0_sel:BYTE_0 src1_sel:DWORD
	s_mov_b64 s[4:5], -1
                                        ; implicit-def: $sgpr10
	s_and_saveexec_b64 s[8:9], s[12:13]
; %bb.2982:
	s_mov_b32 s10, 0x7f800001
	s_xor_b64 s[4:5], exec, -1
; %bb.2983:
	s_or_b64 exec, exec, s[8:9]
	s_and_b64 s[4:5], s[4:5], exec
	s_or_saveexec_b64 s[6:7], s[6:7]
	v_mov_b32_e32 v6, s10
	s_xor_b64 exec, exec, s[6:7]
	s_cbranch_execz .LBB44_934
.LBB44_2984:
	v_mov_b32_e32 v6, 0
	v_cmp_ne_u16_sdwa s[8:9], v3, v6 src0_sel:BYTE_0 src1_sel:DWORD
	s_andn2_b64 s[4:5], s[4:5], exec
	s_and_b64 s[8:9], s[8:9], exec
	s_or_b64 s[4:5], s[4:5], s[8:9]
	s_or_b64 exec, exec, s[6:7]
	s_and_saveexec_b64 s[6:7], s[4:5]
	s_cbranch_execnz .LBB44_935
	s_branch .LBB44_936
.LBB44_2985:
	s_movk_i32 s4, 0x80
	v_cmp_eq_u16_sdwa s[12:13], v6, s4 src0_sel:BYTE_0 src1_sel:DWORD
	s_mov_b64 s[4:5], -1
                                        ; implicit-def: $sgpr10
	s_and_saveexec_b64 s[8:9], s[12:13]
; %bb.2986:
	s_mov_b32 s10, 0x7f800001
	s_xor_b64 s[4:5], exec, -1
; %bb.2987:
	s_or_b64 exec, exec, s[8:9]
	s_and_b64 s[4:5], s[4:5], exec
	s_or_saveexec_b64 s[6:7], s[6:7]
	v_mov_b32_e32 v2, s10
	s_xor_b64 exec, exec, s[6:7]
	s_cbranch_execz .LBB44_938
.LBB44_2988:
	v_mov_b32_e32 v2, 0
	v_cmp_ne_u16_sdwa s[8:9], v6, v2 src0_sel:BYTE_0 src1_sel:DWORD
	s_andn2_b64 s[4:5], s[4:5], exec
	s_and_b64 s[8:9], s[8:9], exec
	s_or_b64 s[4:5], s[4:5], s[8:9]
	s_or_b64 exec, exec, s[6:7]
	s_and_saveexec_b64 s[6:7], s[4:5]
	s_cbranch_execnz .LBB44_939
	s_branch .LBB44_940
.LBB44_2989:
	s_movk_i32 s4, 0x80
	v_cmp_eq_u16_sdwa s[12:13], v6, s4 src0_sel:BYTE_0 src1_sel:DWORD
	s_mov_b64 s[4:5], -1
                                        ; implicit-def: $sgpr10
	s_and_saveexec_b64 s[8:9], s[12:13]
; %bb.2990:
	s_mov_b32 s10, 0x7f800001
	s_xor_b64 s[4:5], exec, -1
; %bb.2991:
	s_or_b64 exec, exec, s[8:9]
	s_and_b64 s[4:5], s[4:5], exec
	s_or_saveexec_b64 s[6:7], s[6:7]
	v_mov_b32_e32 v10, s10
	s_xor_b64 exec, exec, s[6:7]
	s_cbranch_execz .LBB44_942
.LBB44_2992:
	v_mov_b32_e32 v10, 0
	v_cmp_ne_u16_sdwa s[8:9], v6, v10 src0_sel:BYTE_0 src1_sel:DWORD
	s_andn2_b64 s[4:5], s[4:5], exec
	s_and_b64 s[8:9], s[8:9], exec
	s_or_b64 s[4:5], s[4:5], s[8:9]
	s_or_b64 exec, exec, s[6:7]
	s_and_saveexec_b64 s[6:7], s[4:5]
	s_cbranch_execnz .LBB44_943
	s_branch .LBB44_944
.LBB44_2993:
	s_movk_i32 s4, 0x80
	v_cmp_eq_u16_e32 vcc, s4, v6
	s_mov_b64 s[4:5], -1
                                        ; implicit-def: $sgpr10
	s_and_saveexec_b64 s[8:9], vcc
; %bb.2994:
	s_mov_b32 s10, 0x7f800001
	s_xor_b64 s[4:5], exec, -1
; %bb.2995:
	s_or_b64 exec, exec, s[8:9]
	s_and_b64 s[4:5], s[4:5], exec
                                        ; implicit-def: $vgpr6
	s_or_saveexec_b64 s[6:7], s[6:7]
	v_mov_b32_e32 v2, s10
	s_xor_b64 exec, exec, s[6:7]
	s_cbranch_execz .LBB44_946
.LBB44_2996:
	v_cmp_ne_u16_e32 vcc, 0, v6
	s_andn2_b64 s[4:5], s[4:5], exec
	s_and_b64 s[8:9], vcc, exec
	v_mov_b32_e32 v2, 0
	s_or_b64 s[4:5], s[4:5], s[8:9]
	s_or_b64 exec, exec, s[6:7]
	s_and_saveexec_b64 s[6:7], s[4:5]
	s_cbranch_execnz .LBB44_947
	s_branch .LBB44_948
.LBB44_2997:
	s_movk_i32 s4, 0x80
	v_cmp_eq_u16_e32 vcc, s4, v6
	s_mov_b64 s[4:5], -1
                                        ; implicit-def: $sgpr10
	s_and_saveexec_b64 s[8:9], vcc
; %bb.2998:
	s_mov_b32 s10, 0x7f800001
	s_xor_b64 s[4:5], exec, -1
; %bb.2999:
	s_or_b64 exec, exec, s[8:9]
	s_and_b64 s[4:5], s[4:5], exec
                                        ; implicit-def: $vgpr6
	s_or_saveexec_b64 s[6:7], s[6:7]
	v_mov_b32_e32 v10, s10
	s_xor_b64 exec, exec, s[6:7]
	s_cbranch_execz .LBB44_950
.LBB44_3000:
	v_cmp_ne_u16_e32 vcc, 0, v6
	s_andn2_b64 s[4:5], s[4:5], exec
	s_and_b64 s[8:9], vcc, exec
	v_mov_b32_e32 v10, 0
	s_or_b64 s[4:5], s[4:5], s[8:9]
	s_or_b64 exec, exec, s[6:7]
	s_and_saveexec_b64 s[6:7], s[4:5]
	s_cbranch_execnz .LBB44_951
	s_branch .LBB44_952
.LBB44_3001:
	s_movk_i32 s4, 0x80
	v_cmp_eq_u16_sdwa s[12:13], v7, s4 src0_sel:BYTE_3 src1_sel:DWORD
	s_mov_b64 s[4:5], -1
                                        ; implicit-def: $sgpr10
	s_and_saveexec_b64 s[8:9], s[12:13]
; %bb.3002:
	s_mov_b32 s10, 0x7f800001
	s_xor_b64 s[4:5], exec, -1
; %bb.3003:
	s_or_b64 exec, exec, s[8:9]
	s_and_b64 s[4:5], s[4:5], exec
	s_or_saveexec_b64 s[6:7], s[6:7]
	v_mov_b32_e32 v2, s10
	s_xor_b64 exec, exec, s[6:7]
	s_cbranch_execz .LBB44_954
.LBB44_3004:
	v_mov_b32_e32 v2, 0
	v_cmp_ne_u16_sdwa s[8:9], v7, v2 src0_sel:BYTE_3 src1_sel:DWORD
	s_andn2_b64 s[4:5], s[4:5], exec
	s_and_b64 s[8:9], s[8:9], exec
	s_or_b64 s[4:5], s[4:5], s[8:9]
	s_or_b64 exec, exec, s[6:7]
	s_and_saveexec_b64 s[6:7], s[4:5]
	s_cbranch_execnz .LBB44_955
	s_branch .LBB44_956
.LBB44_3005:
	s_movk_i32 s4, 0x80
	v_cmp_eq_u16_sdwa s[12:13], v3, s4 src0_sel:BYTE_3 src1_sel:DWORD
	s_mov_b64 s[4:5], -1
                                        ; implicit-def: $sgpr10
	s_and_saveexec_b64 s[8:9], s[12:13]
; %bb.3006:
	s_mov_b32 s10, 0x7f800001
	s_xor_b64 s[4:5], exec, -1
; %bb.3007:
	s_or_b64 exec, exec, s[8:9]
	s_and_b64 s[4:5], s[4:5], exec
	s_or_saveexec_b64 s[6:7], s[6:7]
	v_mov_b32_e32 v6, s10
	s_xor_b64 exec, exec, s[6:7]
	s_cbranch_execz .LBB44_958
.LBB44_3008:
	v_mov_b32_e32 v6, 0
	v_cmp_ne_u16_sdwa s[8:9], v3, v6 src0_sel:BYTE_3 src1_sel:DWORD
	s_andn2_b64 s[4:5], s[4:5], exec
	s_and_b64 s[8:9], s[8:9], exec
	s_or_b64 s[4:5], s[4:5], s[8:9]
	s_or_b64 exec, exec, s[6:7]
	s_and_saveexec_b64 s[6:7], s[4:5]
	s_cbranch_execnz .LBB44_959
	s_branch .LBB44_960
.LBB44_3009:
	s_movk_i32 s4, 0x80
	v_cmp_eq_u16_sdwa s[12:13], v8, s4 src0_sel:BYTE_0 src1_sel:DWORD
	s_mov_b64 s[4:5], -1
                                        ; implicit-def: $sgpr10
	s_and_saveexec_b64 s[8:9], s[12:13]
; %bb.3010:
	s_mov_b32 s10, 0x7f800001
	s_xor_b64 s[4:5], exec, -1
; %bb.3011:
	s_or_b64 exec, exec, s[8:9]
	s_and_b64 s[4:5], s[4:5], exec
	s_or_saveexec_b64 s[6:7], s[6:7]
	v_mov_b32_e32 v2, s10
	s_xor_b64 exec, exec, s[6:7]
	s_cbranch_execz .LBB44_962
.LBB44_3012:
	v_mov_b32_e32 v2, 0
	v_cmp_ne_u16_sdwa s[8:9], v8, v2 src0_sel:BYTE_0 src1_sel:DWORD
	s_andn2_b64 s[4:5], s[4:5], exec
	s_and_b64 s[8:9], s[8:9], exec
	s_or_b64 s[4:5], s[4:5], s[8:9]
	s_or_b64 exec, exec, s[6:7]
	s_and_saveexec_b64 s[6:7], s[4:5]
	s_cbranch_execnz .LBB44_963
	s_branch .LBB44_964
.LBB44_3013:
	s_movk_i32 s4, 0x80
	v_cmp_eq_u16_sdwa s[12:13], v4, s4 src0_sel:BYTE_0 src1_sel:DWORD
	s_mov_b64 s[4:5], -1
                                        ; implicit-def: $sgpr10
	s_and_saveexec_b64 s[8:9], s[12:13]
; %bb.3014:
	s_mov_b32 s10, 0x7f800001
	s_xor_b64 s[4:5], exec, -1
; %bb.3015:
	s_or_b64 exec, exec, s[8:9]
	s_and_b64 s[4:5], s[4:5], exec
	s_or_saveexec_b64 s[6:7], s[6:7]
	v_mov_b32_e32 v3, s10
	s_xor_b64 exec, exec, s[6:7]
	s_cbranch_execz .LBB44_966
.LBB44_3016:
	v_mov_b32_e32 v3, 0
	v_cmp_ne_u16_sdwa s[8:9], v4, v3 src0_sel:BYTE_0 src1_sel:DWORD
	s_andn2_b64 s[4:5], s[4:5], exec
	s_and_b64 s[8:9], s[8:9], exec
	s_or_b64 s[4:5], s[4:5], s[8:9]
	s_or_b64 exec, exec, s[6:7]
	s_and_saveexec_b64 s[6:7], s[4:5]
	s_cbranch_execnz .LBB44_967
	s_branch .LBB44_968
.LBB44_3017:
	s_movk_i32 s4, 0x80
	v_cmp_eq_u16_sdwa s[12:13], v3, s4 src0_sel:BYTE_0 src1_sel:DWORD
	s_mov_b64 s[4:5], -1
                                        ; implicit-def: $sgpr10
	s_and_saveexec_b64 s[8:9], s[12:13]
; %bb.3018:
	s_mov_b32 s10, 0x7f800001
	s_xor_b64 s[4:5], exec, -1
; %bb.3019:
	s_or_b64 exec, exec, s[8:9]
	s_and_b64 s[4:5], s[4:5], exec
	s_or_saveexec_b64 s[6:7], s[6:7]
	v_mov_b32_e32 v2, s10
	s_xor_b64 exec, exec, s[6:7]
	s_cbranch_execz .LBB44_970
.LBB44_3020:
	v_mov_b32_e32 v2, 0
	v_cmp_ne_u16_sdwa s[8:9], v3, v2 src0_sel:BYTE_0 src1_sel:DWORD
	s_andn2_b64 s[4:5], s[4:5], exec
	s_and_b64 s[8:9], s[8:9], exec
	s_or_b64 s[4:5], s[4:5], s[8:9]
	s_or_b64 exec, exec, s[6:7]
	s_and_saveexec_b64 s[6:7], s[4:5]
	s_cbranch_execnz .LBB44_971
	s_branch .LBB44_972
.LBB44_3021:
	s_movk_i32 s4, 0x80
	v_cmp_eq_u16_sdwa s[12:13], v3, s4 src0_sel:BYTE_0 src1_sel:DWORD
	s_mov_b64 s[4:5], -1
                                        ; implicit-def: $sgpr10
	s_and_saveexec_b64 s[8:9], s[12:13]
; %bb.3022:
	s_mov_b32 s10, 0x7f800001
	s_xor_b64 s[4:5], exec, -1
; %bb.3023:
	s_or_b64 exec, exec, s[8:9]
	s_and_b64 s[4:5], s[4:5], exec
	s_or_saveexec_b64 s[6:7], s[6:7]
	v_mov_b32_e32 v6, s10
	s_xor_b64 exec, exec, s[6:7]
	s_cbranch_execz .LBB44_974
.LBB44_3024:
	v_mov_b32_e32 v6, 0
	v_cmp_ne_u16_sdwa s[8:9], v3, v6 src0_sel:BYTE_0 src1_sel:DWORD
	s_andn2_b64 s[4:5], s[4:5], exec
	s_and_b64 s[8:9], s[8:9], exec
	s_or_b64 s[4:5], s[4:5], s[8:9]
	s_or_b64 exec, exec, s[6:7]
	s_and_saveexec_b64 s[6:7], s[4:5]
	s_cbranch_execnz .LBB44_975
	s_branch .LBB44_976
.LBB44_3025:
	s_movk_i32 s4, 0x80
	v_cmp_eq_u16_e32 vcc, s4, v3
	s_mov_b64 s[4:5], -1
                                        ; implicit-def: $sgpr10
	s_and_saveexec_b64 s[8:9], vcc
; %bb.3026:
	s_mov_b32 s10, 0x7f800001
	s_xor_b64 s[4:5], exec, -1
; %bb.3027:
	s_or_b64 exec, exec, s[8:9]
	s_and_b64 s[4:5], s[4:5], exec
                                        ; implicit-def: $vgpr3
	s_or_saveexec_b64 s[6:7], s[6:7]
	v_mov_b32_e32 v2, s10
	s_xor_b64 exec, exec, s[6:7]
	s_cbranch_execz .LBB44_978
.LBB44_3028:
	v_cmp_ne_u16_e32 vcc, 0, v3
	s_andn2_b64 s[4:5], s[4:5], exec
	s_and_b64 s[8:9], vcc, exec
	v_mov_b32_e32 v2, 0
	s_or_b64 s[4:5], s[4:5], s[8:9]
	s_or_b64 exec, exec, s[6:7]
	s_and_saveexec_b64 s[6:7], s[4:5]
	s_cbranch_execnz .LBB44_979
	s_branch .LBB44_980
.LBB44_3029:
	s_movk_i32 s4, 0x80
	v_cmp_eq_u16_e32 vcc, s4, v3
	s_mov_b64 s[4:5], -1
                                        ; implicit-def: $sgpr10
	s_and_saveexec_b64 s[8:9], vcc
; %bb.3030:
	s_mov_b32 s10, 0x7f800001
	s_xor_b64 s[4:5], exec, -1
; %bb.3031:
	s_or_b64 exec, exec, s[8:9]
	s_and_b64 s[4:5], s[4:5], exec
                                        ; implicit-def: $vgpr3
	s_or_saveexec_b64 s[6:7], s[6:7]
	v_mov_b32_e32 v6, s10
	s_xor_b64 exec, exec, s[6:7]
	s_cbranch_execz .LBB44_982
.LBB44_3032:
	v_cmp_ne_u16_e32 vcc, 0, v3
	s_andn2_b64 s[4:5], s[4:5], exec
	s_and_b64 s[8:9], vcc, exec
	v_mov_b32_e32 v6, 0
	s_or_b64 s[4:5], s[4:5], s[8:9]
	s_or_b64 exec, exec, s[6:7]
	s_and_saveexec_b64 s[6:7], s[4:5]
	s_cbranch_execnz .LBB44_983
	s_branch .LBB44_984
.LBB44_3033:
	s_movk_i32 s4, 0x80
	v_cmp_eq_u16_sdwa s[12:13], v8, s4 src0_sel:BYTE_3 src1_sel:DWORD
	s_mov_b64 s[4:5], -1
                                        ; implicit-def: $sgpr10
	s_and_saveexec_b64 s[8:9], s[12:13]
; %bb.3034:
	s_mov_b32 s10, 0x7f800001
	s_xor_b64 s[4:5], exec, -1
; %bb.3035:
	s_or_b64 exec, exec, s[8:9]
	s_and_b64 s[4:5], s[4:5], exec
	s_or_saveexec_b64 s[6:7], s[6:7]
	v_mov_b32_e32 v2, s10
	s_xor_b64 exec, exec, s[6:7]
	s_cbranch_execz .LBB44_986
.LBB44_3036:
	v_mov_b32_e32 v2, 0
	v_cmp_ne_u16_sdwa s[8:9], v8, v2 src0_sel:BYTE_3 src1_sel:DWORD
	s_andn2_b64 s[4:5], s[4:5], exec
	s_and_b64 s[8:9], s[8:9], exec
	s_or_b64 s[4:5], s[4:5], s[8:9]
	s_or_b64 exec, exec, s[6:7]
	s_and_saveexec_b64 s[6:7], s[4:5]
	s_cbranch_execnz .LBB44_987
	s_branch .LBB44_988
.LBB44_3037:
	s_movk_i32 s4, 0x80
	v_cmp_eq_u16_sdwa s[12:13], v4, s4 src0_sel:BYTE_3 src1_sel:DWORD
	s_mov_b64 s[4:5], -1
                                        ; implicit-def: $sgpr10
	s_and_saveexec_b64 s[8:9], s[12:13]
; %bb.3038:
	s_mov_b32 s10, 0x7f800001
	s_xor_b64 s[4:5], exec, -1
; %bb.3039:
	s_or_b64 exec, exec, s[8:9]
	s_and_b64 s[4:5], s[4:5], exec
	s_or_saveexec_b64 s[6:7], s[6:7]
	v_mov_b32_e32 v3, s10
	s_xor_b64 exec, exec, s[6:7]
	s_cbranch_execz .LBB44_990
.LBB44_3040:
	v_mov_b32_e32 v3, 0
	v_cmp_ne_u16_sdwa s[8:9], v4, v3 src0_sel:BYTE_3 src1_sel:DWORD
	s_andn2_b64 s[4:5], s[4:5], exec
	s_and_b64 s[8:9], s[8:9], exec
	s_or_b64 s[4:5], s[4:5], s[8:9]
	s_or_b64 exec, exec, s[6:7]
	s_and_saveexec_b64 s[6:7], s[4:5]
	s_cbranch_execnz .LBB44_991
	s_branch .LBB44_992
.LBB44_3041:
	s_movk_i32 s4, 0x80
	v_cmp_eq_u16_sdwa s[12:13], v9, s4 src0_sel:BYTE_0 src1_sel:DWORD
	s_mov_b64 s[4:5], -1
                                        ; implicit-def: $sgpr10
	s_and_saveexec_b64 s[8:9], s[12:13]
; %bb.3042:
	s_mov_b32 s10, 0x7f800001
	s_xor_b64 s[4:5], exec, -1
; %bb.3043:
	s_or_b64 exec, exec, s[8:9]
	s_and_b64 s[4:5], s[4:5], exec
	s_or_saveexec_b64 s[6:7], s[6:7]
	v_mov_b32_e32 v2, s10
	s_xor_b64 exec, exec, s[6:7]
	s_cbranch_execz .LBB44_994
.LBB44_3044:
	v_mov_b32_e32 v2, 0
	v_cmp_ne_u16_sdwa s[8:9], v9, v2 src0_sel:BYTE_0 src1_sel:DWORD
	s_andn2_b64 s[4:5], s[4:5], exec
	s_and_b64 s[8:9], s[8:9], exec
	s_or_b64 s[4:5], s[4:5], s[8:9]
	s_or_b64 exec, exec, s[6:7]
	s_and_saveexec_b64 s[6:7], s[4:5]
	s_cbranch_execnz .LBB44_995
	s_branch .LBB44_996
.LBB44_3045:
	s_movk_i32 s4, 0x80
	v_cmp_eq_u16_sdwa s[12:13], v5, s4 src0_sel:BYTE_0 src1_sel:DWORD
	s_mov_b64 s[4:5], -1
                                        ; implicit-def: $sgpr10
	s_and_saveexec_b64 s[8:9], s[12:13]
; %bb.3046:
	s_mov_b32 s10, 0x7f800001
	s_xor_b64 s[4:5], exec, -1
; %bb.3047:
	s_or_b64 exec, exec, s[8:9]
	s_and_b64 s[4:5], s[4:5], exec
	s_or_saveexec_b64 s[6:7], s[6:7]
	v_mov_b32_e32 v3, s10
	s_xor_b64 exec, exec, s[6:7]
	s_cbranch_execz .LBB44_998
.LBB44_3048:
	v_mov_b32_e32 v3, 0
	v_cmp_ne_u16_sdwa s[8:9], v5, v3 src0_sel:BYTE_0 src1_sel:DWORD
	s_andn2_b64 s[4:5], s[4:5], exec
	s_and_b64 s[8:9], s[8:9], exec
	s_or_b64 s[4:5], s[4:5], s[8:9]
	s_or_b64 exec, exec, s[6:7]
	s_and_saveexec_b64 s[6:7], s[4:5]
	s_cbranch_execnz .LBB44_999
	s_branch .LBB44_1000
.LBB44_3049:
	s_movk_i32 s4, 0x80
	v_cmp_eq_u16_sdwa s[12:13], v3, s4 src0_sel:BYTE_0 src1_sel:DWORD
	s_mov_b64 s[4:5], -1
                                        ; implicit-def: $sgpr10
	s_and_saveexec_b64 s[8:9], s[12:13]
; %bb.3050:
	s_mov_b32 s10, 0x7f800001
	s_xor_b64 s[4:5], exec, -1
; %bb.3051:
	s_or_b64 exec, exec, s[8:9]
	s_and_b64 s[4:5], s[4:5], exec
	s_or_saveexec_b64 s[6:7], s[6:7]
	v_mov_b32_e32 v2, s10
	s_xor_b64 exec, exec, s[6:7]
	s_cbranch_execz .LBB44_1002
.LBB44_3052:
	v_mov_b32_e32 v2, 0
	v_cmp_ne_u16_sdwa s[8:9], v3, v2 src0_sel:BYTE_0 src1_sel:DWORD
	s_andn2_b64 s[4:5], s[4:5], exec
	s_and_b64 s[8:9], s[8:9], exec
	s_or_b64 s[4:5], s[4:5], s[8:9]
	s_or_b64 exec, exec, s[6:7]
	s_and_saveexec_b64 s[6:7], s[4:5]
	s_cbranch_execnz .LBB44_1003
	s_branch .LBB44_1004
.LBB44_3053:
	s_movk_i32 s4, 0x80
	v_cmp_eq_u16_sdwa s[12:13], v3, s4 src0_sel:BYTE_0 src1_sel:DWORD
	s_mov_b64 s[4:5], -1
                                        ; implicit-def: $sgpr10
	s_and_saveexec_b64 s[8:9], s[12:13]
; %bb.3054:
	s_mov_b32 s10, 0x7f800001
	s_xor_b64 s[4:5], exec, -1
; %bb.3055:
	s_or_b64 exec, exec, s[8:9]
	s_and_b64 s[4:5], s[4:5], exec
	s_or_saveexec_b64 s[6:7], s[6:7]
	v_mov_b32_e32 v4, s10
	s_xor_b64 exec, exec, s[6:7]
	s_cbranch_execz .LBB44_1006
.LBB44_3056:
	v_mov_b32_e32 v4, 0
	v_cmp_ne_u16_sdwa s[8:9], v3, v4 src0_sel:BYTE_0 src1_sel:DWORD
	s_andn2_b64 s[4:5], s[4:5], exec
	s_and_b64 s[8:9], s[8:9], exec
	s_or_b64 s[4:5], s[4:5], s[8:9]
	s_or_b64 exec, exec, s[6:7]
	s_and_saveexec_b64 s[6:7], s[4:5]
	s_cbranch_execnz .LBB44_1007
	s_branch .LBB44_1008
.LBB44_3057:
	s_movk_i32 s4, 0x80
	v_cmp_eq_u16_e32 vcc, s4, v3
	s_mov_b64 s[4:5], -1
                                        ; implicit-def: $sgpr10
	s_and_saveexec_b64 s[8:9], vcc
; %bb.3058:
	s_mov_b32 s10, 0x7f800001
	s_xor_b64 s[4:5], exec, -1
; %bb.3059:
	s_or_b64 exec, exec, s[8:9]
	s_and_b64 s[4:5], s[4:5], exec
                                        ; implicit-def: $vgpr3
	s_or_saveexec_b64 s[6:7], s[6:7]
	v_mov_b32_e32 v2, s10
	s_xor_b64 exec, exec, s[6:7]
	s_cbranch_execz .LBB44_1010
.LBB44_3060:
	v_cmp_ne_u16_e32 vcc, 0, v3
	s_andn2_b64 s[4:5], s[4:5], exec
	s_and_b64 s[8:9], vcc, exec
	v_mov_b32_e32 v2, 0
	s_or_b64 s[4:5], s[4:5], s[8:9]
	s_or_b64 exec, exec, s[6:7]
	s_and_saveexec_b64 s[6:7], s[4:5]
	s_cbranch_execnz .LBB44_1011
	s_branch .LBB44_1012
.LBB44_3061:
	s_movk_i32 s4, 0x80
	v_cmp_eq_u16_e32 vcc, s4, v3
	s_mov_b64 s[4:5], -1
                                        ; implicit-def: $sgpr10
	s_and_saveexec_b64 s[8:9], vcc
; %bb.3062:
	s_mov_b32 s10, 0x7f800001
	s_xor_b64 s[4:5], exec, -1
; %bb.3063:
	s_or_b64 exec, exec, s[8:9]
	s_and_b64 s[4:5], s[4:5], exec
                                        ; implicit-def: $vgpr3
	s_or_saveexec_b64 s[6:7], s[6:7]
	v_mov_b32_e32 v4, s10
	s_xor_b64 exec, exec, s[6:7]
	s_cbranch_execz .LBB44_1014
.LBB44_3064:
	v_cmp_ne_u16_e32 vcc, 0, v3
	s_andn2_b64 s[4:5], s[4:5], exec
	s_and_b64 s[8:9], vcc, exec
	v_mov_b32_e32 v4, 0
	s_or_b64 s[4:5], s[4:5], s[8:9]
	s_or_b64 exec, exec, s[6:7]
	s_and_saveexec_b64 s[6:7], s[4:5]
	s_cbranch_execnz .LBB44_1015
	s_branch .LBB44_1016
.LBB44_3065:
	s_movk_i32 s4, 0x80
	v_cmp_eq_u16_sdwa s[12:13], v9, s4 src0_sel:BYTE_3 src1_sel:DWORD
	s_mov_b64 s[4:5], -1
                                        ; implicit-def: $sgpr10
	s_and_saveexec_b64 s[8:9], s[12:13]
; %bb.3066:
	s_mov_b32 s10, 0x7f800001
	s_xor_b64 s[4:5], exec, -1
; %bb.3067:
	s_or_b64 exec, exec, s[8:9]
	s_and_b64 s[4:5], s[4:5], exec
	s_or_saveexec_b64 s[6:7], s[6:7]
	v_mov_b32_e32 v2, s10
	s_xor_b64 exec, exec, s[6:7]
	s_cbranch_execz .LBB44_1018
.LBB44_3068:
	v_mov_b32_e32 v2, 0
	v_cmp_ne_u16_sdwa s[8:9], v9, v2 src0_sel:BYTE_3 src1_sel:DWORD
	s_andn2_b64 s[4:5], s[4:5], exec
	s_and_b64 s[8:9], s[8:9], exec
	s_or_b64 s[4:5], s[4:5], s[8:9]
	s_or_b64 exec, exec, s[6:7]
	s_and_saveexec_b64 s[6:7], s[4:5]
	s_cbranch_execnz .LBB44_1019
	s_branch .LBB44_1020
.LBB44_3069:
	s_movk_i32 s4, 0x80
	v_cmp_eq_u16_sdwa s[12:13], v5, s4 src0_sel:BYTE_3 src1_sel:DWORD
	s_mov_b64 s[4:5], -1
                                        ; implicit-def: $sgpr10
	s_and_saveexec_b64 s[8:9], s[12:13]
; %bb.3070:
	s_mov_b32 s10, 0x7f800001
	s_xor_b64 s[4:5], exec, -1
; %bb.3071:
	s_or_b64 exec, exec, s[8:9]
	s_and_b64 s[4:5], s[4:5], exec
	s_or_saveexec_b64 s[6:7], s[6:7]
	v_mov_b32_e32 v3, s10
	s_xor_b64 exec, exec, s[6:7]
	s_cbranch_execz .LBB44_1022
.LBB44_3072:
	v_mov_b32_e32 v3, 0
	v_cmp_ne_u16_sdwa s[8:9], v5, v3 src0_sel:BYTE_3 src1_sel:DWORD
	s_andn2_b64 s[4:5], s[4:5], exec
	s_and_b64 s[8:9], s[8:9], exec
	s_or_b64 s[4:5], s[4:5], s[8:9]
	s_or_b64 exec, exec, s[6:7]
	s_and_saveexec_b64 s[6:7], s[4:5]
	s_cbranch_execnz .LBB44_1023
	s_branch .LBB44_1024
.LBB44_3073:
	s_movk_i32 s4, 0x80
	v_cmp_eq_u16_sdwa s[12:13], v14, s4 src0_sel:BYTE_0 src1_sel:DWORD
	s_mov_b64 s[4:5], -1
                                        ; implicit-def: $sgpr10
	s_and_saveexec_b64 s[8:9], s[12:13]
; %bb.3074:
	s_mov_b32 s10, 0x7f800001
	s_xor_b64 s[4:5], exec, -1
; %bb.3075:
	s_or_b64 exec, exec, s[8:9]
	s_and_b64 s[4:5], s[4:5], exec
	s_or_saveexec_b64 s[6:7], s[6:7]
	v_mov_b32_e32 v20, s10
	s_xor_b64 exec, exec, s[6:7]
	s_cbranch_execz .LBB44_1026
.LBB44_3076:
	v_mov_b32_e32 v20, 0
	v_cmp_ne_u16_sdwa s[8:9], v14, v20 src0_sel:BYTE_0 src1_sel:DWORD
	s_andn2_b64 s[4:5], s[4:5], exec
	s_and_b64 s[8:9], s[8:9], exec
	s_or_b64 s[4:5], s[4:5], s[8:9]
	s_or_b64 exec, exec, s[6:7]
	s_and_saveexec_b64 s[6:7], s[4:5]
	s_cbranch_execnz .LBB44_1027
	s_branch .LBB44_1028
.LBB44_3077:
	s_movk_i32 s4, 0x80
	v_cmp_eq_u16_sdwa s[12:13], v10, s4 src0_sel:BYTE_0 src1_sel:DWORD
	s_mov_b64 s[4:5], -1
                                        ; implicit-def: $sgpr10
	s_and_saveexec_b64 s[8:9], s[12:13]
; %bb.3078:
	s_mov_b32 s10, 0x7f800001
	s_xor_b64 s[4:5], exec, -1
; %bb.3079:
	s_or_b64 exec, exec, s[8:9]
	s_and_b64 s[4:5], s[4:5], exec
	s_or_saveexec_b64 s[6:7], s[6:7]
	v_mov_b32_e32 v21, s10
	s_xor_b64 exec, exec, s[6:7]
	s_cbranch_execz .LBB44_1030
.LBB44_3080:
	v_mov_b32_e32 v21, 0
	v_cmp_ne_u16_sdwa s[8:9], v10, v21 src0_sel:BYTE_0 src1_sel:DWORD
	s_andn2_b64 s[4:5], s[4:5], exec
	s_and_b64 s[8:9], s[8:9], exec
	s_or_b64 s[4:5], s[4:5], s[8:9]
	s_or_b64 exec, exec, s[6:7]
	s_and_saveexec_b64 s[6:7], s[4:5]
	s_cbranch_execnz .LBB44_1031
	s_branch .LBB44_1032
.LBB44_3081:
	s_movk_i32 s4, 0x80
	v_cmp_eq_u16_sdwa s[12:13], v21, s4 src0_sel:BYTE_0 src1_sel:DWORD
	s_mov_b64 s[4:5], -1
                                        ; implicit-def: $sgpr10
	s_and_saveexec_b64 s[8:9], s[12:13]
; %bb.3082:
	s_mov_b32 s10, 0x7f800001
	s_xor_b64 s[4:5], exec, -1
; %bb.3083:
	s_or_b64 exec, exec, s[8:9]
	s_and_b64 s[4:5], s[4:5], exec
	s_or_saveexec_b64 s[6:7], s[6:7]
	v_mov_b32_e32 v20, s10
	s_xor_b64 exec, exec, s[6:7]
	s_cbranch_execz .LBB44_1034
.LBB44_3084:
	v_mov_b32_e32 v20, 0
	v_cmp_ne_u16_sdwa s[8:9], v21, v20 src0_sel:BYTE_0 src1_sel:DWORD
	s_andn2_b64 s[4:5], s[4:5], exec
	s_and_b64 s[8:9], s[8:9], exec
	s_or_b64 s[4:5], s[4:5], s[8:9]
	s_or_b64 exec, exec, s[6:7]
	s_and_saveexec_b64 s[6:7], s[4:5]
	s_cbranch_execnz .LBB44_1035
	s_branch .LBB44_1036
.LBB44_3085:
	s_movk_i32 s4, 0x80
	v_cmp_eq_u16_sdwa s[12:13], v21, s4 src0_sel:BYTE_0 src1_sel:DWORD
	s_mov_b64 s[4:5], -1
                                        ; implicit-def: $sgpr10
	s_and_saveexec_b64 s[8:9], s[12:13]
; %bb.3086:
	s_mov_b32 s10, 0x7f800001
	s_xor_b64 s[4:5], exec, -1
; %bb.3087:
	s_or_b64 exec, exec, s[8:9]
	s_and_b64 s[4:5], s[4:5], exec
	s_or_saveexec_b64 s[6:7], s[6:7]
	v_mov_b32_e32 v22, s10
	s_xor_b64 exec, exec, s[6:7]
	s_cbranch_execz .LBB44_1038
.LBB44_3088:
	v_mov_b32_e32 v22, 0
	v_cmp_ne_u16_sdwa s[8:9], v21, v22 src0_sel:BYTE_0 src1_sel:DWORD
	s_andn2_b64 s[4:5], s[4:5], exec
	s_and_b64 s[8:9], s[8:9], exec
	s_or_b64 s[4:5], s[4:5], s[8:9]
	s_or_b64 exec, exec, s[6:7]
	s_and_saveexec_b64 s[6:7], s[4:5]
	s_cbranch_execnz .LBB44_1039
	s_branch .LBB44_1040
.LBB44_3089:
	s_movk_i32 s4, 0x80
	v_cmp_eq_u16_e32 vcc, s4, v21
	s_mov_b64 s[4:5], -1
                                        ; implicit-def: $sgpr10
	s_and_saveexec_b64 s[8:9], vcc
; %bb.3090:
	s_mov_b32 s10, 0x7f800001
	s_xor_b64 s[4:5], exec, -1
; %bb.3091:
	s_or_b64 exec, exec, s[8:9]
	s_and_b64 s[4:5], s[4:5], exec
                                        ; implicit-def: $vgpr21
	s_or_saveexec_b64 s[6:7], s[6:7]
	v_mov_b32_e32 v20, s10
	s_xor_b64 exec, exec, s[6:7]
	s_cbranch_execz .LBB44_1042
.LBB44_3092:
	v_cmp_ne_u16_e32 vcc, 0, v21
	s_andn2_b64 s[4:5], s[4:5], exec
	s_and_b64 s[8:9], vcc, exec
	v_mov_b32_e32 v20, 0
	s_or_b64 s[4:5], s[4:5], s[8:9]
	s_or_b64 exec, exec, s[6:7]
	s_and_saveexec_b64 s[6:7], s[4:5]
	s_cbranch_execnz .LBB44_1043
	s_branch .LBB44_1044
.LBB44_3093:
	s_movk_i32 s4, 0x80
	v_cmp_eq_u16_e32 vcc, s4, v21
	s_mov_b64 s[4:5], -1
                                        ; implicit-def: $sgpr10
	s_and_saveexec_b64 s[8:9], vcc
; %bb.3094:
	s_mov_b32 s10, 0x7f800001
	s_xor_b64 s[4:5], exec, -1
; %bb.3095:
	s_or_b64 exec, exec, s[8:9]
	s_and_b64 s[4:5], s[4:5], exec
                                        ; implicit-def: $vgpr21
	s_or_saveexec_b64 s[6:7], s[6:7]
	v_mov_b32_e32 v22, s10
	s_xor_b64 exec, exec, s[6:7]
	s_cbranch_execz .LBB44_1046
.LBB44_3096:
	v_cmp_ne_u16_e32 vcc, 0, v21
	s_andn2_b64 s[4:5], s[4:5], exec
	s_and_b64 s[8:9], vcc, exec
	v_mov_b32_e32 v22, 0
	s_or_b64 s[4:5], s[4:5], s[8:9]
	s_or_b64 exec, exec, s[6:7]
	s_and_saveexec_b64 s[6:7], s[4:5]
	s_cbranch_execnz .LBB44_1047
	s_branch .LBB44_1048
.LBB44_3097:
	s_movk_i32 s4, 0x80
	v_cmp_eq_u16_sdwa s[12:13], v14, s4 src0_sel:BYTE_3 src1_sel:DWORD
	s_mov_b64 s[4:5], -1
                                        ; implicit-def: $sgpr10
	s_and_saveexec_b64 s[8:9], s[12:13]
; %bb.3098:
	s_mov_b32 s10, 0x7f800001
	s_xor_b64 s[4:5], exec, -1
; %bb.3099:
	s_or_b64 exec, exec, s[8:9]
	s_and_b64 s[4:5], s[4:5], exec
	s_or_saveexec_b64 s[6:7], s[6:7]
	v_mov_b32_e32 v20, s10
	s_xor_b64 exec, exec, s[6:7]
	s_cbranch_execz .LBB44_1050
.LBB44_3100:
	v_mov_b32_e32 v20, 0
	v_cmp_ne_u16_sdwa s[8:9], v14, v20 src0_sel:BYTE_3 src1_sel:DWORD
	s_andn2_b64 s[4:5], s[4:5], exec
	s_and_b64 s[8:9], s[8:9], exec
	s_or_b64 s[4:5], s[4:5], s[8:9]
	s_or_b64 exec, exec, s[6:7]
	s_and_saveexec_b64 s[6:7], s[4:5]
	s_cbranch_execnz .LBB44_1051
	s_branch .LBB44_1052
.LBB44_3101:
	s_movk_i32 s4, 0x80
	v_cmp_eq_u16_sdwa s[12:13], v10, s4 src0_sel:BYTE_3 src1_sel:DWORD
	s_mov_b64 s[4:5], -1
                                        ; implicit-def: $sgpr10
	s_and_saveexec_b64 s[8:9], s[12:13]
; %bb.3102:
	s_mov_b32 s10, 0x7f800001
	s_xor_b64 s[4:5], exec, -1
; %bb.3103:
	s_or_b64 exec, exec, s[8:9]
	s_and_b64 s[4:5], s[4:5], exec
	s_or_saveexec_b64 s[6:7], s[6:7]
	v_mov_b32_e32 v14, s10
	s_xor_b64 exec, exec, s[6:7]
	s_cbranch_execz .LBB44_1054
.LBB44_3104:
	v_mov_b32_e32 v14, 0
	v_cmp_ne_u16_sdwa s[8:9], v10, v14 src0_sel:BYTE_3 src1_sel:DWORD
	s_andn2_b64 s[4:5], s[4:5], exec
	s_and_b64 s[8:9], s[8:9], exec
	s_or_b64 s[4:5], s[4:5], s[8:9]
	s_or_b64 exec, exec, s[6:7]
	s_and_saveexec_b64 s[6:7], s[4:5]
	s_cbranch_execnz .LBB44_1055
	s_branch .LBB44_1056
.LBB44_3105:
	s_movk_i32 s4, 0x80
	v_cmp_eq_u16_sdwa s[12:13], v15, s4 src0_sel:BYTE_0 src1_sel:DWORD
	s_mov_b64 s[4:5], -1
                                        ; implicit-def: $sgpr10
	s_and_saveexec_b64 s[8:9], s[12:13]
; %bb.3106:
	s_mov_b32 s10, 0x7f800001
	s_xor_b64 s[4:5], exec, -1
; %bb.3107:
	s_or_b64 exec, exec, s[8:9]
	s_and_b64 s[4:5], s[4:5], exec
	s_or_saveexec_b64 s[6:7], s[6:7]
	v_mov_b32_e32 v10, s10
	s_xor_b64 exec, exec, s[6:7]
	s_cbranch_execz .LBB44_1058
.LBB44_3108:
	v_mov_b32_e32 v10, 0
	v_cmp_ne_u16_sdwa s[8:9], v15, v10 src0_sel:BYTE_0 src1_sel:DWORD
	s_andn2_b64 s[4:5], s[4:5], exec
	s_and_b64 s[8:9], s[8:9], exec
	s_or_b64 s[4:5], s[4:5], s[8:9]
	s_or_b64 exec, exec, s[6:7]
	s_and_saveexec_b64 s[6:7], s[4:5]
	s_cbranch_execnz .LBB44_1059
	s_branch .LBB44_1060
.LBB44_3109:
	s_movk_i32 s4, 0x80
	v_cmp_eq_u16_sdwa s[12:13], v11, s4 src0_sel:BYTE_0 src1_sel:DWORD
	s_mov_b64 s[4:5], -1
                                        ; implicit-def: $sgpr10
	s_and_saveexec_b64 s[8:9], s[12:13]
; %bb.3110:
	s_mov_b32 s10, 0x7f800001
	s_xor_b64 s[4:5], exec, -1
; %bb.3111:
	s_or_b64 exec, exec, s[8:9]
	s_and_b64 s[4:5], s[4:5], exec
	s_or_saveexec_b64 s[6:7], s[6:7]
	v_mov_b32_e32 v14, s10
	s_xor_b64 exec, exec, s[6:7]
	s_cbranch_execz .LBB44_1062
.LBB44_3112:
	v_mov_b32_e32 v14, 0
	v_cmp_ne_u16_sdwa s[8:9], v11, v14 src0_sel:BYTE_0 src1_sel:DWORD
	s_andn2_b64 s[4:5], s[4:5], exec
	s_and_b64 s[8:9], s[8:9], exec
	s_or_b64 s[4:5], s[4:5], s[8:9]
	s_or_b64 exec, exec, s[6:7]
	s_and_saveexec_b64 s[6:7], s[4:5]
	s_cbranch_execnz .LBB44_1063
	s_branch .LBB44_1064
.LBB44_3113:
	s_movk_i32 s4, 0x80
	v_cmp_eq_u16_sdwa s[12:13], v14, s4 src0_sel:BYTE_0 src1_sel:DWORD
	s_mov_b64 s[4:5], -1
                                        ; implicit-def: $sgpr10
	s_and_saveexec_b64 s[8:9], s[12:13]
; %bb.3114:
	s_mov_b32 s10, 0x7f800001
	s_xor_b64 s[4:5], exec, -1
; %bb.3115:
	s_or_b64 exec, exec, s[8:9]
	s_and_b64 s[4:5], s[4:5], exec
	s_or_saveexec_b64 s[6:7], s[6:7]
	v_mov_b32_e32 v10, s10
	s_xor_b64 exec, exec, s[6:7]
	s_cbranch_execz .LBB44_1066
.LBB44_3116:
	v_mov_b32_e32 v10, 0
	v_cmp_ne_u16_sdwa s[8:9], v14, v10 src0_sel:BYTE_0 src1_sel:DWORD
	s_andn2_b64 s[4:5], s[4:5], exec
	s_and_b64 s[8:9], s[8:9], exec
	s_or_b64 s[4:5], s[4:5], s[8:9]
	s_or_b64 exec, exec, s[6:7]
	s_and_saveexec_b64 s[6:7], s[4:5]
	s_cbranch_execnz .LBB44_1067
	s_branch .LBB44_1068
.LBB44_3117:
	s_movk_i32 s4, 0x80
	v_cmp_eq_u16_sdwa s[12:13], v14, s4 src0_sel:BYTE_0 src1_sel:DWORD
	s_mov_b64 s[4:5], -1
                                        ; implicit-def: $sgpr10
	s_and_saveexec_b64 s[8:9], s[12:13]
; %bb.3118:
	s_mov_b32 s10, 0x7f800001
	s_xor_b64 s[4:5], exec, -1
; %bb.3119:
	s_or_b64 exec, exec, s[8:9]
	s_and_b64 s[4:5], s[4:5], exec
	s_or_saveexec_b64 s[6:7], s[6:7]
	v_mov_b32_e32 v20, s10
	s_xor_b64 exec, exec, s[6:7]
	s_cbranch_execz .LBB44_1070
.LBB44_3120:
	v_mov_b32_e32 v20, 0
	v_cmp_ne_u16_sdwa s[8:9], v14, v20 src0_sel:BYTE_0 src1_sel:DWORD
	s_andn2_b64 s[4:5], s[4:5], exec
	s_and_b64 s[8:9], s[8:9], exec
	s_or_b64 s[4:5], s[4:5], s[8:9]
	s_or_b64 exec, exec, s[6:7]
	s_and_saveexec_b64 s[6:7], s[4:5]
	s_cbranch_execnz .LBB44_1071
	s_branch .LBB44_1072
.LBB44_3121:
	s_movk_i32 s4, 0x80
	v_cmp_eq_u16_e32 vcc, s4, v14
	s_mov_b64 s[4:5], -1
                                        ; implicit-def: $sgpr10
	s_and_saveexec_b64 s[8:9], vcc
; %bb.3122:
	s_mov_b32 s10, 0x7f800001
	s_xor_b64 s[4:5], exec, -1
; %bb.3123:
	s_or_b64 exec, exec, s[8:9]
	s_and_b64 s[4:5], s[4:5], exec
                                        ; implicit-def: $vgpr14
	s_or_saveexec_b64 s[6:7], s[6:7]
	v_mov_b32_e32 v10, s10
	s_xor_b64 exec, exec, s[6:7]
	s_cbranch_execz .LBB44_1074
.LBB44_3124:
	v_cmp_ne_u16_e32 vcc, 0, v14
	s_andn2_b64 s[4:5], s[4:5], exec
	s_and_b64 s[8:9], vcc, exec
	v_mov_b32_e32 v10, 0
	s_or_b64 s[4:5], s[4:5], s[8:9]
	s_or_b64 exec, exec, s[6:7]
	s_and_saveexec_b64 s[6:7], s[4:5]
	s_cbranch_execnz .LBB44_1075
	s_branch .LBB44_1076
.LBB44_3125:
	s_movk_i32 s4, 0x80
	v_cmp_eq_u16_e32 vcc, s4, v14
	s_mov_b64 s[4:5], -1
                                        ; implicit-def: $sgpr10
	s_and_saveexec_b64 s[8:9], vcc
; %bb.3126:
	s_mov_b32 s10, 0x7f800001
	s_xor_b64 s[4:5], exec, -1
; %bb.3127:
	s_or_b64 exec, exec, s[8:9]
	s_and_b64 s[4:5], s[4:5], exec
                                        ; implicit-def: $vgpr14
	s_or_saveexec_b64 s[6:7], s[6:7]
	v_mov_b32_e32 v20, s10
	s_xor_b64 exec, exec, s[6:7]
	s_cbranch_execz .LBB44_1078
.LBB44_3128:
	v_cmp_ne_u16_e32 vcc, 0, v14
	s_andn2_b64 s[4:5], s[4:5], exec
	s_and_b64 s[8:9], vcc, exec
	v_mov_b32_e32 v20, 0
	s_or_b64 s[4:5], s[4:5], s[8:9]
	s_or_b64 exec, exec, s[6:7]
	s_and_saveexec_b64 s[6:7], s[4:5]
	s_cbranch_execnz .LBB44_1079
	s_branch .LBB44_1080
.LBB44_3129:
	s_movk_i32 s4, 0x80
	v_cmp_eq_u16_sdwa s[12:13], v15, s4 src0_sel:BYTE_3 src1_sel:DWORD
	s_mov_b64 s[4:5], -1
                                        ; implicit-def: $sgpr10
	s_and_saveexec_b64 s[8:9], s[12:13]
; %bb.3130:
	s_mov_b32 s10, 0x7f800001
	s_xor_b64 s[4:5], exec, -1
; %bb.3131:
	s_or_b64 exec, exec, s[8:9]
	s_and_b64 s[4:5], s[4:5], exec
	s_or_saveexec_b64 s[6:7], s[6:7]
	v_mov_b32_e32 v10, s10
	s_xor_b64 exec, exec, s[6:7]
	s_cbranch_execz .LBB44_1082
.LBB44_3132:
	v_mov_b32_e32 v10, 0
	v_cmp_ne_u16_sdwa s[8:9], v15, v10 src0_sel:BYTE_3 src1_sel:DWORD
	s_andn2_b64 s[4:5], s[4:5], exec
	s_and_b64 s[8:9], s[8:9], exec
	s_or_b64 s[4:5], s[4:5], s[8:9]
	s_or_b64 exec, exec, s[6:7]
	s_and_saveexec_b64 s[6:7], s[4:5]
	s_cbranch_execnz .LBB44_1083
	s_branch .LBB44_1084
.LBB44_3133:
	s_movk_i32 s4, 0x80
	v_cmp_eq_u16_sdwa s[12:13], v11, s4 src0_sel:BYTE_3 src1_sel:DWORD
	s_mov_b64 s[4:5], -1
                                        ; implicit-def: $sgpr10
	s_and_saveexec_b64 s[8:9], s[12:13]
; %bb.3134:
	s_mov_b32 s10, 0x7f800001
	s_xor_b64 s[4:5], exec, -1
; %bb.3135:
	s_or_b64 exec, exec, s[8:9]
	s_and_b64 s[4:5], s[4:5], exec
	s_or_saveexec_b64 s[6:7], s[6:7]
	v_mov_b32_e32 v14, s10
	s_xor_b64 exec, exec, s[6:7]
	s_cbranch_execz .LBB44_1086
.LBB44_3136:
	v_mov_b32_e32 v14, 0
	v_cmp_ne_u16_sdwa s[8:9], v11, v14 src0_sel:BYTE_3 src1_sel:DWORD
	s_andn2_b64 s[4:5], s[4:5], exec
	s_and_b64 s[8:9], s[8:9], exec
	s_or_b64 s[4:5], s[4:5], s[8:9]
	s_or_b64 exec, exec, s[6:7]
	s_and_saveexec_b64 s[6:7], s[4:5]
	s_cbranch_execnz .LBB44_1087
	s_branch .LBB44_1088
.LBB44_3137:
	s_movk_i32 s4, 0x80
	v_cmp_eq_u16_sdwa s[12:13], v16, s4 src0_sel:BYTE_0 src1_sel:DWORD
	s_mov_b64 s[4:5], -1
                                        ; implicit-def: $sgpr10
	s_and_saveexec_b64 s[8:9], s[12:13]
; %bb.3138:
	s_mov_b32 s10, 0x7f800001
	s_xor_b64 s[4:5], exec, -1
; %bb.3139:
	s_or_b64 exec, exec, s[8:9]
	s_and_b64 s[4:5], s[4:5], exec
	s_or_saveexec_b64 s[6:7], s[6:7]
	v_mov_b32_e32 v10, s10
	s_xor_b64 exec, exec, s[6:7]
	s_cbranch_execz .LBB44_1090
.LBB44_3140:
	v_mov_b32_e32 v10, 0
	v_cmp_ne_u16_sdwa s[8:9], v16, v10 src0_sel:BYTE_0 src1_sel:DWORD
	s_andn2_b64 s[4:5], s[4:5], exec
	s_and_b64 s[8:9], s[8:9], exec
	s_or_b64 s[4:5], s[4:5], s[8:9]
	s_or_b64 exec, exec, s[6:7]
	s_and_saveexec_b64 s[6:7], s[4:5]
	s_cbranch_execnz .LBB44_1091
	s_branch .LBB44_1092
.LBB44_3141:
	s_movk_i32 s4, 0x80
	v_cmp_eq_u16_sdwa s[12:13], v12, s4 src0_sel:BYTE_0 src1_sel:DWORD
	s_mov_b64 s[4:5], -1
                                        ; implicit-def: $sgpr10
	s_and_saveexec_b64 s[8:9], s[12:13]
; %bb.3142:
	s_mov_b32 s10, 0x7f800001
	s_xor_b64 s[4:5], exec, -1
; %bb.3143:
	s_or_b64 exec, exec, s[8:9]
	s_and_b64 s[4:5], s[4:5], exec
	s_or_saveexec_b64 s[6:7], s[6:7]
	v_mov_b32_e32 v11, s10
	s_xor_b64 exec, exec, s[6:7]
	s_cbranch_execz .LBB44_1094
.LBB44_3144:
	v_mov_b32_e32 v11, 0
	v_cmp_ne_u16_sdwa s[8:9], v12, v11 src0_sel:BYTE_0 src1_sel:DWORD
	s_andn2_b64 s[4:5], s[4:5], exec
	s_and_b64 s[8:9], s[8:9], exec
	s_or_b64 s[4:5], s[4:5], s[8:9]
	s_or_b64 exec, exec, s[6:7]
	s_and_saveexec_b64 s[6:7], s[4:5]
	s_cbranch_execnz .LBB44_1095
	s_branch .LBB44_1096
.LBB44_3145:
	s_movk_i32 s4, 0x80
	v_cmp_eq_u16_sdwa s[12:13], v11, s4 src0_sel:BYTE_0 src1_sel:DWORD
	s_mov_b64 s[4:5], -1
                                        ; implicit-def: $sgpr10
	s_and_saveexec_b64 s[8:9], s[12:13]
; %bb.3146:
	s_mov_b32 s10, 0x7f800001
	s_xor_b64 s[4:5], exec, -1
; %bb.3147:
	s_or_b64 exec, exec, s[8:9]
	s_and_b64 s[4:5], s[4:5], exec
	s_or_saveexec_b64 s[6:7], s[6:7]
	v_mov_b32_e32 v10, s10
	s_xor_b64 exec, exec, s[6:7]
	s_cbranch_execz .LBB44_1098
.LBB44_3148:
	v_mov_b32_e32 v10, 0
	v_cmp_ne_u16_sdwa s[8:9], v11, v10 src0_sel:BYTE_0 src1_sel:DWORD
	s_andn2_b64 s[4:5], s[4:5], exec
	s_and_b64 s[8:9], s[8:9], exec
	s_or_b64 s[4:5], s[4:5], s[8:9]
	s_or_b64 exec, exec, s[6:7]
	s_and_saveexec_b64 s[6:7], s[4:5]
	s_cbranch_execnz .LBB44_1099
	s_branch .LBB44_1100
.LBB44_3149:
	s_movk_i32 s4, 0x80
	v_cmp_eq_u16_sdwa s[12:13], v11, s4 src0_sel:BYTE_0 src1_sel:DWORD
	s_mov_b64 s[4:5], -1
                                        ; implicit-def: $sgpr10
	s_and_saveexec_b64 s[8:9], s[12:13]
; %bb.3150:
	s_mov_b32 s10, 0x7f800001
	s_xor_b64 s[4:5], exec, -1
; %bb.3151:
	s_or_b64 exec, exec, s[8:9]
	s_and_b64 s[4:5], s[4:5], exec
	s_or_saveexec_b64 s[6:7], s[6:7]
	v_mov_b32_e32 v14, s10
	s_xor_b64 exec, exec, s[6:7]
	s_cbranch_execz .LBB44_1102
.LBB44_3152:
	v_mov_b32_e32 v14, 0
	v_cmp_ne_u16_sdwa s[8:9], v11, v14 src0_sel:BYTE_0 src1_sel:DWORD
	s_andn2_b64 s[4:5], s[4:5], exec
	s_and_b64 s[8:9], s[8:9], exec
	s_or_b64 s[4:5], s[4:5], s[8:9]
	s_or_b64 exec, exec, s[6:7]
	s_and_saveexec_b64 s[6:7], s[4:5]
	s_cbranch_execnz .LBB44_1103
	s_branch .LBB44_1104
.LBB44_3153:
	s_movk_i32 s4, 0x80
	v_cmp_eq_u16_e32 vcc, s4, v11
	s_mov_b64 s[4:5], -1
                                        ; implicit-def: $sgpr10
	s_and_saveexec_b64 s[8:9], vcc
; %bb.3154:
	s_mov_b32 s10, 0x7f800001
	s_xor_b64 s[4:5], exec, -1
; %bb.3155:
	s_or_b64 exec, exec, s[8:9]
	s_and_b64 s[4:5], s[4:5], exec
                                        ; implicit-def: $vgpr11
	s_or_saveexec_b64 s[6:7], s[6:7]
	v_mov_b32_e32 v10, s10
	s_xor_b64 exec, exec, s[6:7]
	s_cbranch_execz .LBB44_1106
.LBB44_3156:
	v_cmp_ne_u16_e32 vcc, 0, v11
	s_andn2_b64 s[4:5], s[4:5], exec
	s_and_b64 s[8:9], vcc, exec
	v_mov_b32_e32 v10, 0
	s_or_b64 s[4:5], s[4:5], s[8:9]
	s_or_b64 exec, exec, s[6:7]
	s_and_saveexec_b64 s[6:7], s[4:5]
	s_cbranch_execnz .LBB44_1107
	s_branch .LBB44_1108
.LBB44_3157:
	s_movk_i32 s4, 0x80
	v_cmp_eq_u16_e32 vcc, s4, v11
	s_mov_b64 s[4:5], -1
                                        ; implicit-def: $sgpr10
	s_and_saveexec_b64 s[8:9], vcc
; %bb.3158:
	s_mov_b32 s10, 0x7f800001
	s_xor_b64 s[4:5], exec, -1
; %bb.3159:
	s_or_b64 exec, exec, s[8:9]
	s_and_b64 s[4:5], s[4:5], exec
                                        ; implicit-def: $vgpr11
	s_or_saveexec_b64 s[6:7], s[6:7]
	v_mov_b32_e32 v14, s10
	s_xor_b64 exec, exec, s[6:7]
	s_cbranch_execz .LBB44_1110
.LBB44_3160:
	v_cmp_ne_u16_e32 vcc, 0, v11
	s_andn2_b64 s[4:5], s[4:5], exec
	s_and_b64 s[8:9], vcc, exec
	v_mov_b32_e32 v14, 0
	s_or_b64 s[4:5], s[4:5], s[8:9]
	s_or_b64 exec, exec, s[6:7]
	s_and_saveexec_b64 s[6:7], s[4:5]
	s_cbranch_execnz .LBB44_1111
	s_branch .LBB44_1112
.LBB44_3161:
	s_movk_i32 s4, 0x80
	v_cmp_eq_u16_sdwa s[12:13], v16, s4 src0_sel:BYTE_3 src1_sel:DWORD
	s_mov_b64 s[4:5], -1
                                        ; implicit-def: $sgpr10
	s_and_saveexec_b64 s[8:9], s[12:13]
; %bb.3162:
	s_mov_b32 s10, 0x7f800001
	s_xor_b64 s[4:5], exec, -1
; %bb.3163:
	s_or_b64 exec, exec, s[8:9]
	s_and_b64 s[4:5], s[4:5], exec
	s_or_saveexec_b64 s[6:7], s[6:7]
	v_mov_b32_e32 v10, s10
	s_xor_b64 exec, exec, s[6:7]
	s_cbranch_execz .LBB44_1114
.LBB44_3164:
	v_mov_b32_e32 v10, 0
	v_cmp_ne_u16_sdwa s[8:9], v16, v10 src0_sel:BYTE_3 src1_sel:DWORD
	s_andn2_b64 s[4:5], s[4:5], exec
	s_and_b64 s[8:9], s[8:9], exec
	s_or_b64 s[4:5], s[4:5], s[8:9]
	s_or_b64 exec, exec, s[6:7]
	s_and_saveexec_b64 s[6:7], s[4:5]
	s_cbranch_execnz .LBB44_1115
	s_branch .LBB44_1116
.LBB44_3165:
	s_movk_i32 s4, 0x80
	v_cmp_eq_u16_sdwa s[12:13], v12, s4 src0_sel:BYTE_3 src1_sel:DWORD
	s_mov_b64 s[4:5], -1
                                        ; implicit-def: $sgpr10
	s_and_saveexec_b64 s[8:9], s[12:13]
; %bb.3166:
	s_mov_b32 s10, 0x7f800001
	s_xor_b64 s[4:5], exec, -1
; %bb.3167:
	s_or_b64 exec, exec, s[8:9]
	s_and_b64 s[4:5], s[4:5], exec
	s_or_saveexec_b64 s[6:7], s[6:7]
	v_mov_b32_e32 v11, s10
	s_xor_b64 exec, exec, s[6:7]
	s_cbranch_execz .LBB44_1118
.LBB44_3168:
	v_mov_b32_e32 v11, 0
	v_cmp_ne_u16_sdwa s[8:9], v12, v11 src0_sel:BYTE_3 src1_sel:DWORD
	s_andn2_b64 s[4:5], s[4:5], exec
	s_and_b64 s[8:9], s[8:9], exec
	s_or_b64 s[4:5], s[4:5], s[8:9]
	s_or_b64 exec, exec, s[6:7]
	s_and_saveexec_b64 s[6:7], s[4:5]
	s_cbranch_execnz .LBB44_1119
	s_branch .LBB44_1120
.LBB44_3169:
	s_movk_i32 s4, 0x80
	v_cmp_eq_u16_sdwa s[12:13], v17, s4 src0_sel:BYTE_0 src1_sel:DWORD
	s_mov_b64 s[4:5], -1
                                        ; implicit-def: $sgpr10
	s_and_saveexec_b64 s[8:9], s[12:13]
; %bb.3170:
	s_mov_b32 s10, 0x7f800001
	s_xor_b64 s[4:5], exec, -1
; %bb.3171:
	s_or_b64 exec, exec, s[8:9]
	s_and_b64 s[4:5], s[4:5], exec
	s_or_saveexec_b64 s[6:7], s[6:7]
	v_mov_b32_e32 v10, s10
	s_xor_b64 exec, exec, s[6:7]
	s_cbranch_execz .LBB44_1122
.LBB44_3172:
	v_mov_b32_e32 v10, 0
	v_cmp_ne_u16_sdwa s[8:9], v17, v10 src0_sel:BYTE_0 src1_sel:DWORD
	s_andn2_b64 s[4:5], s[4:5], exec
	s_and_b64 s[8:9], s[8:9], exec
	s_or_b64 s[4:5], s[4:5], s[8:9]
	s_or_b64 exec, exec, s[6:7]
	s_and_saveexec_b64 s[6:7], s[4:5]
	s_cbranch_execnz .LBB44_1123
	s_branch .LBB44_1124
.LBB44_3173:
	s_movk_i32 s4, 0x80
	v_cmp_eq_u16_sdwa s[12:13], v13, s4 src0_sel:BYTE_0 src1_sel:DWORD
	s_mov_b64 s[4:5], -1
                                        ; implicit-def: $sgpr10
	s_and_saveexec_b64 s[8:9], s[12:13]
; %bb.3174:
	s_mov_b32 s10, 0x7f800001
	s_xor_b64 s[4:5], exec, -1
; %bb.3175:
	s_or_b64 exec, exec, s[8:9]
	s_and_b64 s[4:5], s[4:5], exec
	s_or_saveexec_b64 s[6:7], s[6:7]
	v_mov_b32_e32 v11, s10
	s_xor_b64 exec, exec, s[6:7]
	s_cbranch_execz .LBB44_1126
.LBB44_3176:
	v_mov_b32_e32 v11, 0
	v_cmp_ne_u16_sdwa s[8:9], v13, v11 src0_sel:BYTE_0 src1_sel:DWORD
	s_andn2_b64 s[4:5], s[4:5], exec
	s_and_b64 s[8:9], s[8:9], exec
	s_or_b64 s[4:5], s[4:5], s[8:9]
	s_or_b64 exec, exec, s[6:7]
	s_and_saveexec_b64 s[6:7], s[4:5]
	s_cbranch_execnz .LBB44_1127
	s_branch .LBB44_1128
.LBB44_3177:
	s_movk_i32 s4, 0x80
	v_cmp_eq_u16_sdwa s[12:13], v11, s4 src0_sel:BYTE_0 src1_sel:DWORD
	s_mov_b64 s[4:5], -1
                                        ; implicit-def: $sgpr10
	s_and_saveexec_b64 s[8:9], s[12:13]
; %bb.3178:
	s_mov_b32 s10, 0x7f800001
	s_xor_b64 s[4:5], exec, -1
; %bb.3179:
	s_or_b64 exec, exec, s[8:9]
	s_and_b64 s[4:5], s[4:5], exec
	s_or_saveexec_b64 s[6:7], s[6:7]
	v_mov_b32_e32 v10, s10
	s_xor_b64 exec, exec, s[6:7]
	s_cbranch_execz .LBB44_1130
.LBB44_3180:
	v_mov_b32_e32 v10, 0
	v_cmp_ne_u16_sdwa s[8:9], v11, v10 src0_sel:BYTE_0 src1_sel:DWORD
	s_andn2_b64 s[4:5], s[4:5], exec
	s_and_b64 s[8:9], s[8:9], exec
	s_or_b64 s[4:5], s[4:5], s[8:9]
	s_or_b64 exec, exec, s[6:7]
	s_and_saveexec_b64 s[6:7], s[4:5]
	s_cbranch_execnz .LBB44_1131
	s_branch .LBB44_1132
.LBB44_3181:
	s_movk_i32 s4, 0x80
	v_cmp_eq_u16_sdwa s[12:13], v11, s4 src0_sel:BYTE_0 src1_sel:DWORD
	s_mov_b64 s[4:5], -1
                                        ; implicit-def: $sgpr10
	s_and_saveexec_b64 s[8:9], s[12:13]
; %bb.3182:
	s_mov_b32 s10, 0x7f800001
	s_xor_b64 s[4:5], exec, -1
; %bb.3183:
	s_or_b64 exec, exec, s[8:9]
	s_and_b64 s[4:5], s[4:5], exec
	s_or_saveexec_b64 s[6:7], s[6:7]
	v_mov_b32_e32 v12, s10
	s_xor_b64 exec, exec, s[6:7]
	s_cbranch_execz .LBB44_1134
.LBB44_3184:
	v_mov_b32_e32 v12, 0
	v_cmp_ne_u16_sdwa s[8:9], v11, v12 src0_sel:BYTE_0 src1_sel:DWORD
	s_andn2_b64 s[4:5], s[4:5], exec
	s_and_b64 s[8:9], s[8:9], exec
	s_or_b64 s[4:5], s[4:5], s[8:9]
	s_or_b64 exec, exec, s[6:7]
	s_and_saveexec_b64 s[6:7], s[4:5]
	s_cbranch_execnz .LBB44_1135
	s_branch .LBB44_1136
.LBB44_3185:
	s_movk_i32 s4, 0x80
	v_cmp_eq_u16_e32 vcc, s4, v11
	s_mov_b64 s[4:5], -1
                                        ; implicit-def: $sgpr10
	s_and_saveexec_b64 s[8:9], vcc
; %bb.3186:
	s_mov_b32 s10, 0x7f800001
	s_xor_b64 s[4:5], exec, -1
; %bb.3187:
	s_or_b64 exec, exec, s[8:9]
	s_and_b64 s[4:5], s[4:5], exec
                                        ; implicit-def: $vgpr11
	s_or_saveexec_b64 s[6:7], s[6:7]
	v_mov_b32_e32 v10, s10
	s_xor_b64 exec, exec, s[6:7]
	s_cbranch_execz .LBB44_1138
.LBB44_3188:
	v_cmp_ne_u16_e32 vcc, 0, v11
	s_andn2_b64 s[4:5], s[4:5], exec
	s_and_b64 s[8:9], vcc, exec
	v_mov_b32_e32 v10, 0
	s_or_b64 s[4:5], s[4:5], s[8:9]
	s_or_b64 exec, exec, s[6:7]
	s_and_saveexec_b64 s[6:7], s[4:5]
	s_cbranch_execnz .LBB44_1139
	s_branch .LBB44_1140
.LBB44_3189:
	s_movk_i32 s4, 0x80
	v_cmp_eq_u16_e32 vcc, s4, v11
	s_mov_b64 s[4:5], -1
                                        ; implicit-def: $sgpr10
	s_and_saveexec_b64 s[8:9], vcc
; %bb.3190:
	s_mov_b32 s10, 0x7f800001
	s_xor_b64 s[4:5], exec, -1
; %bb.3191:
	s_or_b64 exec, exec, s[8:9]
	s_and_b64 s[4:5], s[4:5], exec
                                        ; implicit-def: $vgpr11
	s_or_saveexec_b64 s[6:7], s[6:7]
	v_mov_b32_e32 v12, s10
	s_xor_b64 exec, exec, s[6:7]
	s_cbranch_execz .LBB44_1142
.LBB44_3192:
	v_cmp_ne_u16_e32 vcc, 0, v11
	s_andn2_b64 s[4:5], s[4:5], exec
	s_and_b64 s[8:9], vcc, exec
	v_mov_b32_e32 v12, 0
	s_or_b64 s[4:5], s[4:5], s[8:9]
	s_or_b64 exec, exec, s[6:7]
	s_and_saveexec_b64 s[6:7], s[4:5]
	s_cbranch_execnz .LBB44_1143
	s_branch .LBB44_1144
.LBB44_3193:
	s_movk_i32 s4, 0x80
	v_cmp_eq_u16_sdwa s[12:13], v17, s4 src0_sel:BYTE_3 src1_sel:DWORD
	s_mov_b64 s[4:5], -1
                                        ; implicit-def: $sgpr10
	s_and_saveexec_b64 s[8:9], s[12:13]
; %bb.3194:
	s_mov_b32 s10, 0x7f800001
	s_xor_b64 s[4:5], exec, -1
; %bb.3195:
	s_or_b64 exec, exec, s[8:9]
	s_and_b64 s[4:5], s[4:5], exec
	s_or_saveexec_b64 s[6:7], s[6:7]
	v_mov_b32_e32 v10, s10
	s_xor_b64 exec, exec, s[6:7]
	s_cbranch_execz .LBB44_1146
.LBB44_3196:
	v_mov_b32_e32 v10, 0
	v_cmp_ne_u16_sdwa s[8:9], v17, v10 src0_sel:BYTE_3 src1_sel:DWORD
	s_andn2_b64 s[4:5], s[4:5], exec
	s_and_b64 s[8:9], s[8:9], exec
	s_or_b64 s[4:5], s[4:5], s[8:9]
	s_or_b64 exec, exec, s[6:7]
	s_and_saveexec_b64 s[6:7], s[4:5]
	s_cbranch_execnz .LBB44_1147
	s_branch .LBB44_1148
.LBB44_3197:
	s_movk_i32 s4, 0x80
	v_cmp_eq_u16_sdwa s[12:13], v13, s4 src0_sel:BYTE_3 src1_sel:DWORD
	s_mov_b64 s[4:5], -1
                                        ; implicit-def: $sgpr10
	s_and_saveexec_b64 s[8:9], s[12:13]
; %bb.3198:
	s_mov_b32 s10, 0x7f800001
	s_xor_b64 s[4:5], exec, -1
; %bb.3199:
	s_or_b64 exec, exec, s[8:9]
	s_and_b64 s[4:5], s[4:5], exec
	s_or_saveexec_b64 s[6:7], s[6:7]
	v_mov_b32_e32 v11, s10
	s_xor_b64 exec, exec, s[6:7]
	s_cbranch_execz .LBB44_1150
.LBB44_3200:
	v_mov_b32_e32 v11, 0
	v_cmp_ne_u16_sdwa s[8:9], v13, v11 src0_sel:BYTE_3 src1_sel:DWORD
	s_andn2_b64 s[4:5], s[4:5], exec
	s_and_b64 s[8:9], s[8:9], exec
	s_or_b64 s[4:5], s[4:5], s[8:9]
	s_or_b64 exec, exec, s[6:7]
	s_and_saveexec_b64 s[6:7], s[4:5]
	s_cbranch_execnz .LBB44_1151
	s_branch .LBB44_1152
.LBB44_3201:
	s_movk_i32 s4, 0x80
	v_cmp_eq_u16_sdwa s[12:13], v6, s4 src0_sel:BYTE_0 src1_sel:DWORD
	s_mov_b64 s[4:5], -1
                                        ; implicit-def: $sgpr10
	s_and_saveexec_b64 s[8:9], s[12:13]
; %bb.3202:
	s_mov_b32 s10, 0x7f800001
	s_xor_b64 s[4:5], exec, -1
; %bb.3203:
	s_or_b64 exec, exec, s[8:9]
	s_and_b64 s[4:5], s[4:5], exec
	s_or_saveexec_b64 s[6:7], s[6:7]
	v_mov_b32_e32 v10, s10
	s_xor_b64 exec, exec, s[6:7]
	s_cbranch_execz .LBB44_1154
.LBB44_3204:
	v_mov_b32_e32 v10, 0
	v_cmp_ne_u16_sdwa s[8:9], v6, v10 src0_sel:BYTE_0 src1_sel:DWORD
	s_andn2_b64 s[4:5], s[4:5], exec
	s_and_b64 s[8:9], s[8:9], exec
	s_or_b64 s[4:5], s[4:5], s[8:9]
	s_or_b64 exec, exec, s[6:7]
	s_and_saveexec_b64 s[6:7], s[4:5]
	s_cbranch_execnz .LBB44_1155
	s_branch .LBB44_1156
.LBB44_3205:
	s_movk_i32 s4, 0x80
	v_cmp_eq_u16_sdwa s[12:13], v2, s4 src0_sel:BYTE_0 src1_sel:DWORD
	s_mov_b64 s[4:5], -1
                                        ; implicit-def: $sgpr10
	s_and_saveexec_b64 s[8:9], s[12:13]
; %bb.3206:
	s_mov_b32 s10, 0x7f800001
	s_xor_b64 s[4:5], exec, -1
; %bb.3207:
	s_or_b64 exec, exec, s[8:9]
	s_and_b64 s[4:5], s[4:5], exec
	s_or_saveexec_b64 s[6:7], s[6:7]
	v_mov_b32_e32 v11, s10
	s_xor_b64 exec, exec, s[6:7]
	s_cbranch_execz .LBB44_1158
.LBB44_3208:
	v_mov_b32_e32 v11, 0
	v_cmp_ne_u16_sdwa s[8:9], v2, v11 src0_sel:BYTE_0 src1_sel:DWORD
	s_andn2_b64 s[4:5], s[4:5], exec
	s_and_b64 s[8:9], s[8:9], exec
	s_or_b64 s[4:5], s[4:5], s[8:9]
	s_or_b64 exec, exec, s[6:7]
	s_and_saveexec_b64 s[6:7], s[4:5]
	s_cbranch_execnz .LBB44_1159
	s_branch .LBB44_1160
.LBB44_3209:
	s_movk_i32 s4, 0x80
	v_cmp_eq_u16_sdwa s[12:13], v11, s4 src0_sel:BYTE_0 src1_sel:DWORD
	s_mov_b64 s[4:5], -1
                                        ; implicit-def: $sgpr10
	s_and_saveexec_b64 s[8:9], s[12:13]
; %bb.3210:
	s_mov_b32 s10, 0x7f800001
	s_xor_b64 s[4:5], exec, -1
; %bb.3211:
	s_or_b64 exec, exec, s[8:9]
	s_and_b64 s[4:5], s[4:5], exec
	s_or_saveexec_b64 s[6:7], s[6:7]
	v_mov_b32_e32 v10, s10
	s_xor_b64 exec, exec, s[6:7]
	s_cbranch_execz .LBB44_1162
.LBB44_3212:
	v_mov_b32_e32 v10, 0
	v_cmp_ne_u16_sdwa s[8:9], v11, v10 src0_sel:BYTE_0 src1_sel:DWORD
	s_andn2_b64 s[4:5], s[4:5], exec
	s_and_b64 s[8:9], s[8:9], exec
	s_or_b64 s[4:5], s[4:5], s[8:9]
	s_or_b64 exec, exec, s[6:7]
	s_and_saveexec_b64 s[6:7], s[4:5]
	s_cbranch_execnz .LBB44_1163
	s_branch .LBB44_1164
.LBB44_3213:
	s_movk_i32 s4, 0x80
	v_cmp_eq_u16_sdwa s[12:13], v11, s4 src0_sel:BYTE_0 src1_sel:DWORD
	s_mov_b64 s[4:5], -1
                                        ; implicit-def: $sgpr10
	s_and_saveexec_b64 s[8:9], s[12:13]
; %bb.3214:
	s_mov_b32 s10, 0x7f800001
	s_xor_b64 s[4:5], exec, -1
; %bb.3215:
	s_or_b64 exec, exec, s[8:9]
	s_and_b64 s[4:5], s[4:5], exec
	s_or_saveexec_b64 s[6:7], s[6:7]
	v_mov_b32_e32 v12, s10
	s_xor_b64 exec, exec, s[6:7]
	s_cbranch_execz .LBB44_1166
.LBB44_3216:
	v_mov_b32_e32 v12, 0
	v_cmp_ne_u16_sdwa s[8:9], v11, v12 src0_sel:BYTE_0 src1_sel:DWORD
	s_andn2_b64 s[4:5], s[4:5], exec
	s_and_b64 s[8:9], s[8:9], exec
	s_or_b64 s[4:5], s[4:5], s[8:9]
	s_or_b64 exec, exec, s[6:7]
	s_and_saveexec_b64 s[6:7], s[4:5]
	s_cbranch_execnz .LBB44_1167
	s_branch .LBB44_1168
.LBB44_3217:
	s_movk_i32 s4, 0x80
	v_cmp_eq_u16_e32 vcc, s4, v11
	s_mov_b64 s[4:5], -1
                                        ; implicit-def: $sgpr10
	s_and_saveexec_b64 s[8:9], vcc
; %bb.3218:
	s_mov_b32 s10, 0x7f800001
	s_xor_b64 s[4:5], exec, -1
; %bb.3219:
	s_or_b64 exec, exec, s[8:9]
	s_and_b64 s[4:5], s[4:5], exec
                                        ; implicit-def: $vgpr11
	s_or_saveexec_b64 s[6:7], s[6:7]
	v_mov_b32_e32 v10, s10
	s_xor_b64 exec, exec, s[6:7]
	s_cbranch_execz .LBB44_1170
.LBB44_3220:
	v_cmp_ne_u16_e32 vcc, 0, v11
	s_andn2_b64 s[4:5], s[4:5], exec
	s_and_b64 s[8:9], vcc, exec
	v_mov_b32_e32 v10, 0
	s_or_b64 s[4:5], s[4:5], s[8:9]
	s_or_b64 exec, exec, s[6:7]
	s_and_saveexec_b64 s[6:7], s[4:5]
	s_cbranch_execnz .LBB44_1171
	s_branch .LBB44_1172
.LBB44_3221:
	s_movk_i32 s4, 0x80
	v_cmp_eq_u16_e32 vcc, s4, v11
	s_mov_b64 s[4:5], -1
                                        ; implicit-def: $sgpr10
	s_and_saveexec_b64 s[8:9], vcc
; %bb.3222:
	s_mov_b32 s10, 0x7f800001
	s_xor_b64 s[4:5], exec, -1
; %bb.3223:
	s_or_b64 exec, exec, s[8:9]
	s_and_b64 s[4:5], s[4:5], exec
                                        ; implicit-def: $vgpr11
	s_or_saveexec_b64 s[6:7], s[6:7]
	v_mov_b32_e32 v12, s10
	s_xor_b64 exec, exec, s[6:7]
	s_cbranch_execz .LBB44_1174
.LBB44_3224:
	v_cmp_ne_u16_e32 vcc, 0, v11
	s_andn2_b64 s[4:5], s[4:5], exec
	s_and_b64 s[8:9], vcc, exec
	v_mov_b32_e32 v12, 0
	s_or_b64 s[4:5], s[4:5], s[8:9]
	s_or_b64 exec, exec, s[6:7]
	s_and_saveexec_b64 s[6:7], s[4:5]
	s_cbranch_execnz .LBB44_1175
	s_branch .LBB44_1176
.LBB44_3225:
	s_movk_i32 s4, 0x80
	v_cmp_eq_u16_sdwa s[12:13], v6, s4 src0_sel:BYTE_3 src1_sel:DWORD
	s_mov_b64 s[4:5], -1
                                        ; implicit-def: $sgpr10
	s_and_saveexec_b64 s[8:9], s[12:13]
; %bb.3226:
	s_mov_b32 s10, 0x7f800001
	s_xor_b64 s[4:5], exec, -1
; %bb.3227:
	s_or_b64 exec, exec, s[8:9]
	s_and_b64 s[4:5], s[4:5], exec
	s_or_saveexec_b64 s[6:7], s[6:7]
	v_mov_b32_e32 v10, s10
	s_xor_b64 exec, exec, s[6:7]
	s_cbranch_execz .LBB44_1178
.LBB44_3228:
	v_mov_b32_e32 v10, 0
	v_cmp_ne_u16_sdwa s[8:9], v6, v10 src0_sel:BYTE_3 src1_sel:DWORD
	s_andn2_b64 s[4:5], s[4:5], exec
	s_and_b64 s[8:9], s[8:9], exec
	s_or_b64 s[4:5], s[4:5], s[8:9]
	s_or_b64 exec, exec, s[6:7]
	s_and_saveexec_b64 s[6:7], s[4:5]
	s_cbranch_execnz .LBB44_1179
	s_branch .LBB44_1180
.LBB44_3229:
	s_movk_i32 s4, 0x80
	v_cmp_eq_u16_sdwa s[12:13], v2, s4 src0_sel:BYTE_3 src1_sel:DWORD
	s_mov_b64 s[4:5], -1
                                        ; implicit-def: $sgpr10
	s_and_saveexec_b64 s[8:9], s[12:13]
; %bb.3230:
	s_mov_b32 s10, 0x7f800001
	s_xor_b64 s[4:5], exec, -1
; %bb.3231:
	s_or_b64 exec, exec, s[8:9]
	s_and_b64 s[4:5], s[4:5], exec
	s_or_saveexec_b64 s[6:7], s[6:7]
	v_mov_b32_e32 v6, s10
	s_xor_b64 exec, exec, s[6:7]
	s_cbranch_execz .LBB44_1182
.LBB44_3232:
	v_mov_b32_e32 v6, 0
	v_cmp_ne_u16_sdwa s[8:9], v2, v6 src0_sel:BYTE_3 src1_sel:DWORD
	s_andn2_b64 s[4:5], s[4:5], exec
	s_and_b64 s[8:9], s[8:9], exec
	s_or_b64 s[4:5], s[4:5], s[8:9]
	s_or_b64 exec, exec, s[6:7]
	s_and_saveexec_b64 s[6:7], s[4:5]
	s_cbranch_execnz .LBB44_1183
	s_branch .LBB44_1184
.LBB44_3233:
	s_movk_i32 s4, 0x80
	v_cmp_eq_u16_sdwa s[12:13], v7, s4 src0_sel:BYTE_0 src1_sel:DWORD
	s_mov_b64 s[4:5], -1
                                        ; implicit-def: $sgpr10
	s_and_saveexec_b64 s[8:9], s[12:13]
; %bb.3234:
	s_mov_b32 s10, 0x7f800001
	s_xor_b64 s[4:5], exec, -1
; %bb.3235:
	s_or_b64 exec, exec, s[8:9]
	s_and_b64 s[4:5], s[4:5], exec
	s_or_saveexec_b64 s[6:7], s[6:7]
	v_mov_b32_e32 v2, s10
	s_xor_b64 exec, exec, s[6:7]
	s_cbranch_execz .LBB44_1186
.LBB44_3236:
	v_mov_b32_e32 v2, 0
	v_cmp_ne_u16_sdwa s[8:9], v7, v2 src0_sel:BYTE_0 src1_sel:DWORD
	s_andn2_b64 s[4:5], s[4:5], exec
	s_and_b64 s[8:9], s[8:9], exec
	s_or_b64 s[4:5], s[4:5], s[8:9]
	s_or_b64 exec, exec, s[6:7]
	s_and_saveexec_b64 s[6:7], s[4:5]
	s_cbranch_execnz .LBB44_1187
	s_branch .LBB44_1188
.LBB44_3237:
	s_movk_i32 s4, 0x80
	v_cmp_eq_u16_sdwa s[12:13], v3, s4 src0_sel:BYTE_0 src1_sel:DWORD
	s_mov_b64 s[4:5], -1
                                        ; implicit-def: $sgpr10
	s_and_saveexec_b64 s[8:9], s[12:13]
; %bb.3238:
	s_mov_b32 s10, 0x7f800001
	s_xor_b64 s[4:5], exec, -1
; %bb.3239:
	s_or_b64 exec, exec, s[8:9]
	s_and_b64 s[4:5], s[4:5], exec
	s_or_saveexec_b64 s[6:7], s[6:7]
	v_mov_b32_e32 v6, s10
	s_xor_b64 exec, exec, s[6:7]
	s_cbranch_execz .LBB44_1190
.LBB44_3240:
	v_mov_b32_e32 v6, 0
	v_cmp_ne_u16_sdwa s[8:9], v3, v6 src0_sel:BYTE_0 src1_sel:DWORD
	s_andn2_b64 s[4:5], s[4:5], exec
	s_and_b64 s[8:9], s[8:9], exec
	s_or_b64 s[4:5], s[4:5], s[8:9]
	s_or_b64 exec, exec, s[6:7]
	s_and_saveexec_b64 s[6:7], s[4:5]
	s_cbranch_execnz .LBB44_1191
	s_branch .LBB44_1192
.LBB44_3241:
	s_movk_i32 s4, 0x80
	v_cmp_eq_u16_sdwa s[12:13], v6, s4 src0_sel:BYTE_0 src1_sel:DWORD
	s_mov_b64 s[4:5], -1
                                        ; implicit-def: $sgpr10
	s_and_saveexec_b64 s[8:9], s[12:13]
; %bb.3242:
	s_mov_b32 s10, 0x7f800001
	s_xor_b64 s[4:5], exec, -1
; %bb.3243:
	s_or_b64 exec, exec, s[8:9]
	s_and_b64 s[4:5], s[4:5], exec
	s_or_saveexec_b64 s[6:7], s[6:7]
	v_mov_b32_e32 v2, s10
	s_xor_b64 exec, exec, s[6:7]
	s_cbranch_execz .LBB44_1194
.LBB44_3244:
	v_mov_b32_e32 v2, 0
	v_cmp_ne_u16_sdwa s[8:9], v6, v2 src0_sel:BYTE_0 src1_sel:DWORD
	s_andn2_b64 s[4:5], s[4:5], exec
	s_and_b64 s[8:9], s[8:9], exec
	s_or_b64 s[4:5], s[4:5], s[8:9]
	s_or_b64 exec, exec, s[6:7]
	s_and_saveexec_b64 s[6:7], s[4:5]
	s_cbranch_execnz .LBB44_1195
	s_branch .LBB44_1196
.LBB44_3245:
	s_movk_i32 s4, 0x80
	v_cmp_eq_u16_sdwa s[12:13], v6, s4 src0_sel:BYTE_0 src1_sel:DWORD
	s_mov_b64 s[4:5], -1
                                        ; implicit-def: $sgpr10
	s_and_saveexec_b64 s[8:9], s[12:13]
; %bb.3246:
	s_mov_b32 s10, 0x7f800001
	s_xor_b64 s[4:5], exec, -1
; %bb.3247:
	s_or_b64 exec, exec, s[8:9]
	s_and_b64 s[4:5], s[4:5], exec
	s_or_saveexec_b64 s[6:7], s[6:7]
	v_mov_b32_e32 v10, s10
	s_xor_b64 exec, exec, s[6:7]
	s_cbranch_execz .LBB44_1198
.LBB44_3248:
	v_mov_b32_e32 v10, 0
	v_cmp_ne_u16_sdwa s[8:9], v6, v10 src0_sel:BYTE_0 src1_sel:DWORD
	s_andn2_b64 s[4:5], s[4:5], exec
	s_and_b64 s[8:9], s[8:9], exec
	s_or_b64 s[4:5], s[4:5], s[8:9]
	s_or_b64 exec, exec, s[6:7]
	s_and_saveexec_b64 s[6:7], s[4:5]
	s_cbranch_execnz .LBB44_1199
	s_branch .LBB44_1200
.LBB44_3249:
	s_movk_i32 s4, 0x80
	v_cmp_eq_u16_e32 vcc, s4, v6
	s_mov_b64 s[4:5], -1
                                        ; implicit-def: $sgpr10
	s_and_saveexec_b64 s[8:9], vcc
; %bb.3250:
	s_mov_b32 s10, 0x7f800001
	s_xor_b64 s[4:5], exec, -1
; %bb.3251:
	s_or_b64 exec, exec, s[8:9]
	s_and_b64 s[4:5], s[4:5], exec
                                        ; implicit-def: $vgpr6
	s_or_saveexec_b64 s[6:7], s[6:7]
	v_mov_b32_e32 v2, s10
	s_xor_b64 exec, exec, s[6:7]
	s_cbranch_execz .LBB44_1202
.LBB44_3252:
	v_cmp_ne_u16_e32 vcc, 0, v6
	s_andn2_b64 s[4:5], s[4:5], exec
	s_and_b64 s[8:9], vcc, exec
	v_mov_b32_e32 v2, 0
	s_or_b64 s[4:5], s[4:5], s[8:9]
	s_or_b64 exec, exec, s[6:7]
	s_and_saveexec_b64 s[6:7], s[4:5]
	s_cbranch_execnz .LBB44_1203
	s_branch .LBB44_1204
.LBB44_3253:
	s_movk_i32 s4, 0x80
	v_cmp_eq_u16_e32 vcc, s4, v6
	s_mov_b64 s[4:5], -1
                                        ; implicit-def: $sgpr10
	s_and_saveexec_b64 s[8:9], vcc
; %bb.3254:
	s_mov_b32 s10, 0x7f800001
	s_xor_b64 s[4:5], exec, -1
; %bb.3255:
	s_or_b64 exec, exec, s[8:9]
	s_and_b64 s[4:5], s[4:5], exec
                                        ; implicit-def: $vgpr6
	s_or_saveexec_b64 s[6:7], s[6:7]
	v_mov_b32_e32 v10, s10
	s_xor_b64 exec, exec, s[6:7]
	s_cbranch_execz .LBB44_1206
.LBB44_3256:
	v_cmp_ne_u16_e32 vcc, 0, v6
	s_andn2_b64 s[4:5], s[4:5], exec
	s_and_b64 s[8:9], vcc, exec
	v_mov_b32_e32 v10, 0
	s_or_b64 s[4:5], s[4:5], s[8:9]
	s_or_b64 exec, exec, s[6:7]
	s_and_saveexec_b64 s[6:7], s[4:5]
	s_cbranch_execnz .LBB44_1207
	s_branch .LBB44_1208
.LBB44_3257:
	s_movk_i32 s4, 0x80
	v_cmp_eq_u16_sdwa s[12:13], v7, s4 src0_sel:BYTE_3 src1_sel:DWORD
	s_mov_b64 s[4:5], -1
                                        ; implicit-def: $sgpr10
	s_and_saveexec_b64 s[8:9], s[12:13]
; %bb.3258:
	s_mov_b32 s10, 0x7f800001
	s_xor_b64 s[4:5], exec, -1
; %bb.3259:
	s_or_b64 exec, exec, s[8:9]
	s_and_b64 s[4:5], s[4:5], exec
	s_or_saveexec_b64 s[6:7], s[6:7]
	v_mov_b32_e32 v2, s10
	s_xor_b64 exec, exec, s[6:7]
	s_cbranch_execz .LBB44_1210
.LBB44_3260:
	v_mov_b32_e32 v2, 0
	v_cmp_ne_u16_sdwa s[8:9], v7, v2 src0_sel:BYTE_3 src1_sel:DWORD
	s_andn2_b64 s[4:5], s[4:5], exec
	s_and_b64 s[8:9], s[8:9], exec
	s_or_b64 s[4:5], s[4:5], s[8:9]
	s_or_b64 exec, exec, s[6:7]
	s_and_saveexec_b64 s[6:7], s[4:5]
	s_cbranch_execnz .LBB44_1211
	s_branch .LBB44_1212
.LBB44_3261:
	s_movk_i32 s4, 0x80
	v_cmp_eq_u16_sdwa s[12:13], v3, s4 src0_sel:BYTE_3 src1_sel:DWORD
	s_mov_b64 s[4:5], -1
                                        ; implicit-def: $sgpr10
	s_and_saveexec_b64 s[8:9], s[12:13]
; %bb.3262:
	s_mov_b32 s10, 0x7f800001
	s_xor_b64 s[4:5], exec, -1
; %bb.3263:
	s_or_b64 exec, exec, s[8:9]
	s_and_b64 s[4:5], s[4:5], exec
	s_or_saveexec_b64 s[6:7], s[6:7]
	v_mov_b32_e32 v6, s10
	s_xor_b64 exec, exec, s[6:7]
	s_cbranch_execz .LBB44_1214
.LBB44_3264:
	v_mov_b32_e32 v6, 0
	v_cmp_ne_u16_sdwa s[8:9], v3, v6 src0_sel:BYTE_3 src1_sel:DWORD
	s_andn2_b64 s[4:5], s[4:5], exec
	s_and_b64 s[8:9], s[8:9], exec
	s_or_b64 s[4:5], s[4:5], s[8:9]
	s_or_b64 exec, exec, s[6:7]
	s_and_saveexec_b64 s[6:7], s[4:5]
	s_cbranch_execnz .LBB44_1215
	s_branch .LBB44_1216
.LBB44_3265:
	s_movk_i32 s4, 0x80
	v_cmp_eq_u16_sdwa s[12:13], v8, s4 src0_sel:BYTE_0 src1_sel:DWORD
	s_mov_b64 s[4:5], -1
                                        ; implicit-def: $sgpr10
	s_and_saveexec_b64 s[8:9], s[12:13]
; %bb.3266:
	s_mov_b32 s10, 0x7f800001
	s_xor_b64 s[4:5], exec, -1
; %bb.3267:
	s_or_b64 exec, exec, s[8:9]
	s_and_b64 s[4:5], s[4:5], exec
	s_or_saveexec_b64 s[6:7], s[6:7]
	v_mov_b32_e32 v2, s10
	s_xor_b64 exec, exec, s[6:7]
	s_cbranch_execz .LBB44_1218
.LBB44_3268:
	v_mov_b32_e32 v2, 0
	v_cmp_ne_u16_sdwa s[8:9], v8, v2 src0_sel:BYTE_0 src1_sel:DWORD
	s_andn2_b64 s[4:5], s[4:5], exec
	s_and_b64 s[8:9], s[8:9], exec
	s_or_b64 s[4:5], s[4:5], s[8:9]
	s_or_b64 exec, exec, s[6:7]
	s_and_saveexec_b64 s[6:7], s[4:5]
	s_cbranch_execnz .LBB44_1219
	s_branch .LBB44_1220
.LBB44_3269:
	s_movk_i32 s4, 0x80
	v_cmp_eq_u16_sdwa s[12:13], v4, s4 src0_sel:BYTE_0 src1_sel:DWORD
	s_mov_b64 s[4:5], -1
                                        ; implicit-def: $sgpr10
	s_and_saveexec_b64 s[8:9], s[12:13]
; %bb.3270:
	s_mov_b32 s10, 0x7f800001
	s_xor_b64 s[4:5], exec, -1
; %bb.3271:
	s_or_b64 exec, exec, s[8:9]
	s_and_b64 s[4:5], s[4:5], exec
	s_or_saveexec_b64 s[6:7], s[6:7]
	v_mov_b32_e32 v3, s10
	s_xor_b64 exec, exec, s[6:7]
	s_cbranch_execz .LBB44_1222
.LBB44_3272:
	v_mov_b32_e32 v3, 0
	v_cmp_ne_u16_sdwa s[8:9], v4, v3 src0_sel:BYTE_0 src1_sel:DWORD
	s_andn2_b64 s[4:5], s[4:5], exec
	s_and_b64 s[8:9], s[8:9], exec
	s_or_b64 s[4:5], s[4:5], s[8:9]
	s_or_b64 exec, exec, s[6:7]
	s_and_saveexec_b64 s[6:7], s[4:5]
	s_cbranch_execnz .LBB44_1223
	s_branch .LBB44_1224
.LBB44_3273:
	s_movk_i32 s4, 0x80
	v_cmp_eq_u16_sdwa s[12:13], v3, s4 src0_sel:BYTE_0 src1_sel:DWORD
	s_mov_b64 s[4:5], -1
                                        ; implicit-def: $sgpr10
	s_and_saveexec_b64 s[8:9], s[12:13]
; %bb.3274:
	s_mov_b32 s10, 0x7f800001
	s_xor_b64 s[4:5], exec, -1
; %bb.3275:
	s_or_b64 exec, exec, s[8:9]
	s_and_b64 s[4:5], s[4:5], exec
	s_or_saveexec_b64 s[6:7], s[6:7]
	v_mov_b32_e32 v2, s10
	s_xor_b64 exec, exec, s[6:7]
	s_cbranch_execz .LBB44_1226
.LBB44_3276:
	v_mov_b32_e32 v2, 0
	v_cmp_ne_u16_sdwa s[8:9], v3, v2 src0_sel:BYTE_0 src1_sel:DWORD
	s_andn2_b64 s[4:5], s[4:5], exec
	s_and_b64 s[8:9], s[8:9], exec
	s_or_b64 s[4:5], s[4:5], s[8:9]
	s_or_b64 exec, exec, s[6:7]
	s_and_saveexec_b64 s[6:7], s[4:5]
	s_cbranch_execnz .LBB44_1227
	s_branch .LBB44_1228
.LBB44_3277:
	s_movk_i32 s4, 0x80
	v_cmp_eq_u16_sdwa s[12:13], v3, s4 src0_sel:BYTE_0 src1_sel:DWORD
	s_mov_b64 s[4:5], -1
                                        ; implicit-def: $sgpr10
	s_and_saveexec_b64 s[8:9], s[12:13]
; %bb.3278:
	s_mov_b32 s10, 0x7f800001
	s_xor_b64 s[4:5], exec, -1
; %bb.3279:
	s_or_b64 exec, exec, s[8:9]
	s_and_b64 s[4:5], s[4:5], exec
	s_or_saveexec_b64 s[6:7], s[6:7]
	v_mov_b32_e32 v6, s10
	s_xor_b64 exec, exec, s[6:7]
	s_cbranch_execz .LBB44_1230
.LBB44_3280:
	v_mov_b32_e32 v6, 0
	v_cmp_ne_u16_sdwa s[8:9], v3, v6 src0_sel:BYTE_0 src1_sel:DWORD
	s_andn2_b64 s[4:5], s[4:5], exec
	s_and_b64 s[8:9], s[8:9], exec
	s_or_b64 s[4:5], s[4:5], s[8:9]
	s_or_b64 exec, exec, s[6:7]
	s_and_saveexec_b64 s[6:7], s[4:5]
	s_cbranch_execnz .LBB44_1231
	s_branch .LBB44_1232
.LBB44_3281:
	s_movk_i32 s4, 0x80
	v_cmp_eq_u16_e32 vcc, s4, v3
	s_mov_b64 s[4:5], -1
                                        ; implicit-def: $sgpr10
	s_and_saveexec_b64 s[8:9], vcc
; %bb.3282:
	s_mov_b32 s10, 0x7f800001
	s_xor_b64 s[4:5], exec, -1
; %bb.3283:
	s_or_b64 exec, exec, s[8:9]
	s_and_b64 s[4:5], s[4:5], exec
                                        ; implicit-def: $vgpr3
	s_or_saveexec_b64 s[6:7], s[6:7]
	v_mov_b32_e32 v2, s10
	s_xor_b64 exec, exec, s[6:7]
	s_cbranch_execz .LBB44_1234
.LBB44_3284:
	v_cmp_ne_u16_e32 vcc, 0, v3
	s_andn2_b64 s[4:5], s[4:5], exec
	s_and_b64 s[8:9], vcc, exec
	v_mov_b32_e32 v2, 0
	s_or_b64 s[4:5], s[4:5], s[8:9]
	s_or_b64 exec, exec, s[6:7]
	s_and_saveexec_b64 s[6:7], s[4:5]
	s_cbranch_execnz .LBB44_1235
	s_branch .LBB44_1236
.LBB44_3285:
	s_movk_i32 s4, 0x80
	v_cmp_eq_u16_e32 vcc, s4, v3
	s_mov_b64 s[4:5], -1
                                        ; implicit-def: $sgpr10
	s_and_saveexec_b64 s[8:9], vcc
; %bb.3286:
	s_mov_b32 s10, 0x7f800001
	s_xor_b64 s[4:5], exec, -1
; %bb.3287:
	s_or_b64 exec, exec, s[8:9]
	s_and_b64 s[4:5], s[4:5], exec
                                        ; implicit-def: $vgpr3
	s_or_saveexec_b64 s[6:7], s[6:7]
	v_mov_b32_e32 v6, s10
	s_xor_b64 exec, exec, s[6:7]
	s_cbranch_execz .LBB44_1238
.LBB44_3288:
	v_cmp_ne_u16_e32 vcc, 0, v3
	s_andn2_b64 s[4:5], s[4:5], exec
	s_and_b64 s[8:9], vcc, exec
	v_mov_b32_e32 v6, 0
	s_or_b64 s[4:5], s[4:5], s[8:9]
	s_or_b64 exec, exec, s[6:7]
	s_and_saveexec_b64 s[6:7], s[4:5]
	s_cbranch_execnz .LBB44_1239
	s_branch .LBB44_1240
.LBB44_3289:
	s_movk_i32 s4, 0x80
	v_cmp_eq_u16_sdwa s[12:13], v8, s4 src0_sel:BYTE_3 src1_sel:DWORD
	s_mov_b64 s[4:5], -1
                                        ; implicit-def: $sgpr10
	s_and_saveexec_b64 s[8:9], s[12:13]
; %bb.3290:
	s_mov_b32 s10, 0x7f800001
	s_xor_b64 s[4:5], exec, -1
; %bb.3291:
	s_or_b64 exec, exec, s[8:9]
	s_and_b64 s[4:5], s[4:5], exec
	s_or_saveexec_b64 s[6:7], s[6:7]
	v_mov_b32_e32 v2, s10
	s_xor_b64 exec, exec, s[6:7]
	s_cbranch_execz .LBB44_1242
.LBB44_3292:
	v_mov_b32_e32 v2, 0
	v_cmp_ne_u16_sdwa s[8:9], v8, v2 src0_sel:BYTE_3 src1_sel:DWORD
	s_andn2_b64 s[4:5], s[4:5], exec
	s_and_b64 s[8:9], s[8:9], exec
	s_or_b64 s[4:5], s[4:5], s[8:9]
	s_or_b64 exec, exec, s[6:7]
	s_and_saveexec_b64 s[6:7], s[4:5]
	s_cbranch_execnz .LBB44_1243
	s_branch .LBB44_1244
.LBB44_3293:
	s_movk_i32 s4, 0x80
	v_cmp_eq_u16_sdwa s[12:13], v4, s4 src0_sel:BYTE_3 src1_sel:DWORD
	s_mov_b64 s[4:5], -1
                                        ; implicit-def: $sgpr10
	s_and_saveexec_b64 s[8:9], s[12:13]
; %bb.3294:
	s_mov_b32 s10, 0x7f800001
	s_xor_b64 s[4:5], exec, -1
; %bb.3295:
	s_or_b64 exec, exec, s[8:9]
	s_and_b64 s[4:5], s[4:5], exec
	s_or_saveexec_b64 s[6:7], s[6:7]
	v_mov_b32_e32 v3, s10
	s_xor_b64 exec, exec, s[6:7]
	s_cbranch_execz .LBB44_1246
.LBB44_3296:
	v_mov_b32_e32 v3, 0
	v_cmp_ne_u16_sdwa s[8:9], v4, v3 src0_sel:BYTE_3 src1_sel:DWORD
	s_andn2_b64 s[4:5], s[4:5], exec
	s_and_b64 s[8:9], s[8:9], exec
	s_or_b64 s[4:5], s[4:5], s[8:9]
	s_or_b64 exec, exec, s[6:7]
	s_and_saveexec_b64 s[6:7], s[4:5]
	s_cbranch_execnz .LBB44_1247
	s_branch .LBB44_1248
.LBB44_3297:
	s_movk_i32 s4, 0x80
	v_cmp_eq_u16_sdwa s[12:13], v9, s4 src0_sel:BYTE_0 src1_sel:DWORD
	s_mov_b64 s[4:5], -1
                                        ; implicit-def: $sgpr10
	s_and_saveexec_b64 s[8:9], s[12:13]
; %bb.3298:
	s_mov_b32 s10, 0x7f800001
	s_xor_b64 s[4:5], exec, -1
; %bb.3299:
	s_or_b64 exec, exec, s[8:9]
	s_and_b64 s[4:5], s[4:5], exec
	s_or_saveexec_b64 s[6:7], s[6:7]
	v_mov_b32_e32 v2, s10
	s_xor_b64 exec, exec, s[6:7]
	s_cbranch_execz .LBB44_1250
.LBB44_3300:
	v_mov_b32_e32 v2, 0
	v_cmp_ne_u16_sdwa s[8:9], v9, v2 src0_sel:BYTE_0 src1_sel:DWORD
	s_andn2_b64 s[4:5], s[4:5], exec
	s_and_b64 s[8:9], s[8:9], exec
	s_or_b64 s[4:5], s[4:5], s[8:9]
	s_or_b64 exec, exec, s[6:7]
	s_and_saveexec_b64 s[6:7], s[4:5]
	s_cbranch_execnz .LBB44_1251
	s_branch .LBB44_1252
.LBB44_3301:
	s_movk_i32 s4, 0x80
	v_cmp_eq_u16_sdwa s[12:13], v5, s4 src0_sel:BYTE_0 src1_sel:DWORD
	s_mov_b64 s[4:5], -1
                                        ; implicit-def: $sgpr10
	s_and_saveexec_b64 s[8:9], s[12:13]
; %bb.3302:
	s_mov_b32 s10, 0x7f800001
	s_xor_b64 s[4:5], exec, -1
; %bb.3303:
	s_or_b64 exec, exec, s[8:9]
	s_and_b64 s[4:5], s[4:5], exec
	s_or_saveexec_b64 s[6:7], s[6:7]
	v_mov_b32_e32 v3, s10
	s_xor_b64 exec, exec, s[6:7]
	s_cbranch_execz .LBB44_1254
.LBB44_3304:
	v_mov_b32_e32 v3, 0
	v_cmp_ne_u16_sdwa s[8:9], v5, v3 src0_sel:BYTE_0 src1_sel:DWORD
	s_andn2_b64 s[4:5], s[4:5], exec
	s_and_b64 s[8:9], s[8:9], exec
	s_or_b64 s[4:5], s[4:5], s[8:9]
	s_or_b64 exec, exec, s[6:7]
	s_and_saveexec_b64 s[6:7], s[4:5]
	s_cbranch_execnz .LBB44_1255
	s_branch .LBB44_1256
.LBB44_3305:
	s_movk_i32 s4, 0x80
	v_cmp_eq_u16_sdwa s[12:13], v3, s4 src0_sel:BYTE_0 src1_sel:DWORD
	s_mov_b64 s[4:5], -1
                                        ; implicit-def: $sgpr10
	s_and_saveexec_b64 s[8:9], s[12:13]
; %bb.3306:
	s_mov_b32 s10, 0x7f800001
	s_xor_b64 s[4:5], exec, -1
; %bb.3307:
	s_or_b64 exec, exec, s[8:9]
	s_and_b64 s[4:5], s[4:5], exec
	s_or_saveexec_b64 s[6:7], s[6:7]
	v_mov_b32_e32 v2, s10
	s_xor_b64 exec, exec, s[6:7]
	s_cbranch_execz .LBB44_1258
.LBB44_3308:
	v_mov_b32_e32 v2, 0
	v_cmp_ne_u16_sdwa s[8:9], v3, v2 src0_sel:BYTE_0 src1_sel:DWORD
	s_andn2_b64 s[4:5], s[4:5], exec
	s_and_b64 s[8:9], s[8:9], exec
	s_or_b64 s[4:5], s[4:5], s[8:9]
	s_or_b64 exec, exec, s[6:7]
	s_and_saveexec_b64 s[6:7], s[4:5]
	s_cbranch_execnz .LBB44_1259
	s_branch .LBB44_1260
.LBB44_3309:
	s_movk_i32 s4, 0x80
	v_cmp_eq_u16_sdwa s[12:13], v3, s4 src0_sel:BYTE_0 src1_sel:DWORD
	s_mov_b64 s[4:5], -1
                                        ; implicit-def: $sgpr10
	s_and_saveexec_b64 s[8:9], s[12:13]
; %bb.3310:
	s_mov_b32 s10, 0x7f800001
	s_xor_b64 s[4:5], exec, -1
; %bb.3311:
	s_or_b64 exec, exec, s[8:9]
	s_and_b64 s[4:5], s[4:5], exec
	s_or_saveexec_b64 s[6:7], s[6:7]
	v_mov_b32_e32 v4, s10
	s_xor_b64 exec, exec, s[6:7]
	s_cbranch_execz .LBB44_1262
.LBB44_3312:
	v_mov_b32_e32 v4, 0
	v_cmp_ne_u16_sdwa s[8:9], v3, v4 src0_sel:BYTE_0 src1_sel:DWORD
	s_andn2_b64 s[4:5], s[4:5], exec
	s_and_b64 s[8:9], s[8:9], exec
	s_or_b64 s[4:5], s[4:5], s[8:9]
	s_or_b64 exec, exec, s[6:7]
	s_and_saveexec_b64 s[6:7], s[4:5]
	s_cbranch_execnz .LBB44_1263
	s_branch .LBB44_1264
.LBB44_3313:
	s_movk_i32 s4, 0x80
	v_cmp_eq_u16_e32 vcc, s4, v3
	s_mov_b64 s[4:5], -1
                                        ; implicit-def: $sgpr10
	s_and_saveexec_b64 s[8:9], vcc
; %bb.3314:
	s_mov_b32 s10, 0x7f800001
	s_xor_b64 s[4:5], exec, -1
; %bb.3315:
	s_or_b64 exec, exec, s[8:9]
	s_and_b64 s[4:5], s[4:5], exec
                                        ; implicit-def: $vgpr3
	s_or_saveexec_b64 s[6:7], s[6:7]
	v_mov_b32_e32 v2, s10
	s_xor_b64 exec, exec, s[6:7]
	s_cbranch_execz .LBB44_1266
.LBB44_3316:
	v_cmp_ne_u16_e32 vcc, 0, v3
	s_andn2_b64 s[4:5], s[4:5], exec
	s_and_b64 s[8:9], vcc, exec
	v_mov_b32_e32 v2, 0
	s_or_b64 s[4:5], s[4:5], s[8:9]
	s_or_b64 exec, exec, s[6:7]
	s_and_saveexec_b64 s[6:7], s[4:5]
	s_cbranch_execnz .LBB44_1267
	s_branch .LBB44_1268
.LBB44_3317:
	s_movk_i32 s4, 0x80
	v_cmp_eq_u16_e32 vcc, s4, v3
	s_mov_b64 s[4:5], -1
                                        ; implicit-def: $sgpr10
	s_and_saveexec_b64 s[8:9], vcc
; %bb.3318:
	s_mov_b32 s10, 0x7f800001
	s_xor_b64 s[4:5], exec, -1
; %bb.3319:
	s_or_b64 exec, exec, s[8:9]
	s_and_b64 s[4:5], s[4:5], exec
                                        ; implicit-def: $vgpr3
	s_or_saveexec_b64 s[6:7], s[6:7]
	v_mov_b32_e32 v4, s10
	s_xor_b64 exec, exec, s[6:7]
	s_cbranch_execz .LBB44_1270
.LBB44_3320:
	v_cmp_ne_u16_e32 vcc, 0, v3
	s_andn2_b64 s[4:5], s[4:5], exec
	s_and_b64 s[8:9], vcc, exec
	v_mov_b32_e32 v4, 0
	s_or_b64 s[4:5], s[4:5], s[8:9]
	s_or_b64 exec, exec, s[6:7]
	s_and_saveexec_b64 s[6:7], s[4:5]
	s_cbranch_execnz .LBB44_1271
	s_branch .LBB44_1272
.LBB44_3321:
	s_movk_i32 s4, 0x80
	v_cmp_eq_u16_sdwa s[12:13], v9, s4 src0_sel:BYTE_3 src1_sel:DWORD
	s_mov_b64 s[4:5], -1
                                        ; implicit-def: $sgpr10
	s_and_saveexec_b64 s[8:9], s[12:13]
; %bb.3322:
	s_mov_b32 s10, 0x7f800001
	s_xor_b64 s[4:5], exec, -1
; %bb.3323:
	s_or_b64 exec, exec, s[8:9]
	s_and_b64 s[4:5], s[4:5], exec
	s_or_saveexec_b64 s[6:7], s[6:7]
	v_mov_b32_e32 v2, s10
	s_xor_b64 exec, exec, s[6:7]
	s_cbranch_execz .LBB44_1274
.LBB44_3324:
	v_mov_b32_e32 v2, 0
	v_cmp_ne_u16_sdwa s[8:9], v9, v2 src0_sel:BYTE_3 src1_sel:DWORD
	s_andn2_b64 s[4:5], s[4:5], exec
	s_and_b64 s[8:9], s[8:9], exec
	s_or_b64 s[4:5], s[4:5], s[8:9]
	s_or_b64 exec, exec, s[6:7]
	s_and_saveexec_b64 s[6:7], s[4:5]
	s_cbranch_execnz .LBB44_1275
	s_branch .LBB44_1276
.LBB44_3325:
	s_movk_i32 s4, 0x80
	v_cmp_eq_u16_sdwa s[12:13], v5, s4 src0_sel:BYTE_3 src1_sel:DWORD
	s_mov_b64 s[4:5], -1
                                        ; implicit-def: $sgpr10
	s_and_saveexec_b64 s[8:9], s[12:13]
; %bb.3326:
	s_mov_b32 s10, 0x7f800001
	s_xor_b64 s[4:5], exec, -1
; %bb.3327:
	s_or_b64 exec, exec, s[8:9]
	s_and_b64 s[4:5], s[4:5], exec
	s_or_saveexec_b64 s[6:7], s[6:7]
	v_mov_b32_e32 v3, s10
	s_xor_b64 exec, exec, s[6:7]
	s_cbranch_execz .LBB44_1278
.LBB44_3328:
	v_mov_b32_e32 v3, 0
	v_cmp_ne_u16_sdwa s[8:9], v5, v3 src0_sel:BYTE_3 src1_sel:DWORD
	s_andn2_b64 s[4:5], s[4:5], exec
	s_and_b64 s[8:9], s[8:9], exec
	s_or_b64 s[4:5], s[4:5], s[8:9]
	s_or_b64 exec, exec, s[6:7]
	s_and_saveexec_b64 s[6:7], s[4:5]
	s_cbranch_execnz .LBB44_1279
	s_branch .LBB44_1280
.LBB44_3329:
	s_movk_i32 s4, 0x80
	v_cmp_eq_u16_sdwa s[12:13], v14, s4 src0_sel:BYTE_0 src1_sel:DWORD
	s_mov_b64 s[4:5], -1
                                        ; implicit-def: $sgpr10
	s_and_saveexec_b64 s[8:9], s[12:13]
; %bb.3330:
	s_mov_b32 s10, 0x7f800001
	s_xor_b64 s[4:5], exec, -1
; %bb.3331:
	s_or_b64 exec, exec, s[8:9]
	s_and_b64 s[4:5], s[4:5], exec
	s_or_saveexec_b64 s[6:7], s[6:7]
	v_mov_b32_e32 v20, s10
	s_xor_b64 exec, exec, s[6:7]
	s_cbranch_execz .LBB44_1282
.LBB44_3332:
	v_mov_b32_e32 v20, 0
	v_cmp_ne_u16_sdwa s[8:9], v14, v20 src0_sel:BYTE_0 src1_sel:DWORD
	s_andn2_b64 s[4:5], s[4:5], exec
	s_and_b64 s[8:9], s[8:9], exec
	s_or_b64 s[4:5], s[4:5], s[8:9]
	s_or_b64 exec, exec, s[6:7]
	s_and_saveexec_b64 s[6:7], s[4:5]
	s_cbranch_execnz .LBB44_1283
	s_branch .LBB44_1284
.LBB44_3333:
	s_movk_i32 s4, 0x80
	v_cmp_eq_u16_sdwa s[12:13], v10, s4 src0_sel:BYTE_0 src1_sel:DWORD
	s_mov_b64 s[4:5], -1
                                        ; implicit-def: $sgpr10
	s_and_saveexec_b64 s[8:9], s[12:13]
; %bb.3334:
	s_mov_b32 s10, 0x7f800001
	s_xor_b64 s[4:5], exec, -1
; %bb.3335:
	s_or_b64 exec, exec, s[8:9]
	s_and_b64 s[4:5], s[4:5], exec
	s_or_saveexec_b64 s[6:7], s[6:7]
	v_mov_b32_e32 v21, s10
	s_xor_b64 exec, exec, s[6:7]
	s_cbranch_execz .LBB44_1286
.LBB44_3336:
	v_mov_b32_e32 v21, 0
	v_cmp_ne_u16_sdwa s[8:9], v10, v21 src0_sel:BYTE_0 src1_sel:DWORD
	s_andn2_b64 s[4:5], s[4:5], exec
	s_and_b64 s[8:9], s[8:9], exec
	s_or_b64 s[4:5], s[4:5], s[8:9]
	s_or_b64 exec, exec, s[6:7]
	s_and_saveexec_b64 s[6:7], s[4:5]
	s_cbranch_execnz .LBB44_1287
	s_branch .LBB44_1288
.LBB44_3337:
	s_movk_i32 s4, 0x80
	v_cmp_eq_u16_sdwa s[12:13], v21, s4 src0_sel:BYTE_0 src1_sel:DWORD
	s_mov_b64 s[4:5], -1
                                        ; implicit-def: $sgpr10
	s_and_saveexec_b64 s[8:9], s[12:13]
; %bb.3338:
	s_mov_b32 s10, 0x7f800001
	s_xor_b64 s[4:5], exec, -1
; %bb.3339:
	s_or_b64 exec, exec, s[8:9]
	s_and_b64 s[4:5], s[4:5], exec
	s_or_saveexec_b64 s[6:7], s[6:7]
	v_mov_b32_e32 v20, s10
	s_xor_b64 exec, exec, s[6:7]
	s_cbranch_execz .LBB44_1290
.LBB44_3340:
	v_mov_b32_e32 v20, 0
	v_cmp_ne_u16_sdwa s[8:9], v21, v20 src0_sel:BYTE_0 src1_sel:DWORD
	s_andn2_b64 s[4:5], s[4:5], exec
	s_and_b64 s[8:9], s[8:9], exec
	s_or_b64 s[4:5], s[4:5], s[8:9]
	s_or_b64 exec, exec, s[6:7]
	s_and_saveexec_b64 s[6:7], s[4:5]
	s_cbranch_execnz .LBB44_1291
	s_branch .LBB44_1292
.LBB44_3341:
	s_movk_i32 s4, 0x80
	v_cmp_eq_u16_sdwa s[12:13], v21, s4 src0_sel:BYTE_0 src1_sel:DWORD
	s_mov_b64 s[4:5], -1
                                        ; implicit-def: $sgpr10
	s_and_saveexec_b64 s[8:9], s[12:13]
; %bb.3342:
	s_mov_b32 s10, 0x7f800001
	s_xor_b64 s[4:5], exec, -1
; %bb.3343:
	s_or_b64 exec, exec, s[8:9]
	s_and_b64 s[4:5], s[4:5], exec
	s_or_saveexec_b64 s[6:7], s[6:7]
	v_mov_b32_e32 v22, s10
	s_xor_b64 exec, exec, s[6:7]
	s_cbranch_execz .LBB44_1294
.LBB44_3344:
	v_mov_b32_e32 v22, 0
	v_cmp_ne_u16_sdwa s[8:9], v21, v22 src0_sel:BYTE_0 src1_sel:DWORD
	s_andn2_b64 s[4:5], s[4:5], exec
	s_and_b64 s[8:9], s[8:9], exec
	s_or_b64 s[4:5], s[4:5], s[8:9]
	s_or_b64 exec, exec, s[6:7]
	s_and_saveexec_b64 s[6:7], s[4:5]
	s_cbranch_execnz .LBB44_1295
	s_branch .LBB44_1296
.LBB44_3345:
	s_movk_i32 s4, 0x80
	v_cmp_eq_u16_e32 vcc, s4, v21
	s_mov_b64 s[4:5], -1
                                        ; implicit-def: $sgpr10
	s_and_saveexec_b64 s[8:9], vcc
; %bb.3346:
	s_mov_b32 s10, 0x7f800001
	s_xor_b64 s[4:5], exec, -1
; %bb.3347:
	s_or_b64 exec, exec, s[8:9]
	s_and_b64 s[4:5], s[4:5], exec
                                        ; implicit-def: $vgpr21
	s_or_saveexec_b64 s[6:7], s[6:7]
	v_mov_b32_e32 v20, s10
	s_xor_b64 exec, exec, s[6:7]
	s_cbranch_execz .LBB44_1298
.LBB44_3348:
	v_cmp_ne_u16_e32 vcc, 0, v21
	s_andn2_b64 s[4:5], s[4:5], exec
	s_and_b64 s[8:9], vcc, exec
	v_mov_b32_e32 v20, 0
	s_or_b64 s[4:5], s[4:5], s[8:9]
	s_or_b64 exec, exec, s[6:7]
	s_and_saveexec_b64 s[6:7], s[4:5]
	s_cbranch_execnz .LBB44_1299
	s_branch .LBB44_1300
.LBB44_3349:
	s_movk_i32 s4, 0x80
	v_cmp_eq_u16_e32 vcc, s4, v21
	s_mov_b64 s[4:5], -1
                                        ; implicit-def: $sgpr10
	s_and_saveexec_b64 s[8:9], vcc
; %bb.3350:
	s_mov_b32 s10, 0x7f800001
	s_xor_b64 s[4:5], exec, -1
; %bb.3351:
	s_or_b64 exec, exec, s[8:9]
	s_and_b64 s[4:5], s[4:5], exec
                                        ; implicit-def: $vgpr21
	s_or_saveexec_b64 s[6:7], s[6:7]
	v_mov_b32_e32 v22, s10
	s_xor_b64 exec, exec, s[6:7]
	s_cbranch_execz .LBB44_1302
.LBB44_3352:
	v_cmp_ne_u16_e32 vcc, 0, v21
	s_andn2_b64 s[4:5], s[4:5], exec
	s_and_b64 s[8:9], vcc, exec
	v_mov_b32_e32 v22, 0
	s_or_b64 s[4:5], s[4:5], s[8:9]
	s_or_b64 exec, exec, s[6:7]
	s_and_saveexec_b64 s[6:7], s[4:5]
	s_cbranch_execnz .LBB44_1303
	s_branch .LBB44_1304
.LBB44_3353:
	s_movk_i32 s4, 0x80
	v_cmp_eq_u16_sdwa s[12:13], v14, s4 src0_sel:BYTE_3 src1_sel:DWORD
	s_mov_b64 s[4:5], -1
                                        ; implicit-def: $sgpr10
	s_and_saveexec_b64 s[8:9], s[12:13]
; %bb.3354:
	s_mov_b32 s10, 0x7f800001
	s_xor_b64 s[4:5], exec, -1
; %bb.3355:
	s_or_b64 exec, exec, s[8:9]
	s_and_b64 s[4:5], s[4:5], exec
	s_or_saveexec_b64 s[6:7], s[6:7]
	v_mov_b32_e32 v20, s10
	s_xor_b64 exec, exec, s[6:7]
	s_cbranch_execz .LBB44_1306
.LBB44_3356:
	v_mov_b32_e32 v20, 0
	v_cmp_ne_u16_sdwa s[8:9], v14, v20 src0_sel:BYTE_3 src1_sel:DWORD
	s_andn2_b64 s[4:5], s[4:5], exec
	s_and_b64 s[8:9], s[8:9], exec
	s_or_b64 s[4:5], s[4:5], s[8:9]
	s_or_b64 exec, exec, s[6:7]
	s_and_saveexec_b64 s[6:7], s[4:5]
	s_cbranch_execnz .LBB44_1307
	s_branch .LBB44_1308
.LBB44_3357:
	s_movk_i32 s4, 0x80
	v_cmp_eq_u16_sdwa s[12:13], v10, s4 src0_sel:BYTE_3 src1_sel:DWORD
	s_mov_b64 s[4:5], -1
                                        ; implicit-def: $sgpr10
	s_and_saveexec_b64 s[8:9], s[12:13]
; %bb.3358:
	s_mov_b32 s10, 0x7f800001
	s_xor_b64 s[4:5], exec, -1
; %bb.3359:
	s_or_b64 exec, exec, s[8:9]
	s_and_b64 s[4:5], s[4:5], exec
	s_or_saveexec_b64 s[6:7], s[6:7]
	v_mov_b32_e32 v14, s10
	s_xor_b64 exec, exec, s[6:7]
	s_cbranch_execz .LBB44_1310
.LBB44_3360:
	v_mov_b32_e32 v14, 0
	v_cmp_ne_u16_sdwa s[8:9], v10, v14 src0_sel:BYTE_3 src1_sel:DWORD
	s_andn2_b64 s[4:5], s[4:5], exec
	s_and_b64 s[8:9], s[8:9], exec
	s_or_b64 s[4:5], s[4:5], s[8:9]
	s_or_b64 exec, exec, s[6:7]
	s_and_saveexec_b64 s[6:7], s[4:5]
	s_cbranch_execnz .LBB44_1311
	s_branch .LBB44_1312
.LBB44_3361:
	s_movk_i32 s4, 0x80
	v_cmp_eq_u16_sdwa s[12:13], v15, s4 src0_sel:BYTE_0 src1_sel:DWORD
	s_mov_b64 s[4:5], -1
                                        ; implicit-def: $sgpr10
	s_and_saveexec_b64 s[8:9], s[12:13]
; %bb.3362:
	s_mov_b32 s10, 0x7f800001
	s_xor_b64 s[4:5], exec, -1
; %bb.3363:
	s_or_b64 exec, exec, s[8:9]
	s_and_b64 s[4:5], s[4:5], exec
	s_or_saveexec_b64 s[6:7], s[6:7]
	v_mov_b32_e32 v10, s10
	s_xor_b64 exec, exec, s[6:7]
	s_cbranch_execz .LBB44_1314
.LBB44_3364:
	v_mov_b32_e32 v10, 0
	v_cmp_ne_u16_sdwa s[8:9], v15, v10 src0_sel:BYTE_0 src1_sel:DWORD
	s_andn2_b64 s[4:5], s[4:5], exec
	s_and_b64 s[8:9], s[8:9], exec
	s_or_b64 s[4:5], s[4:5], s[8:9]
	s_or_b64 exec, exec, s[6:7]
	s_and_saveexec_b64 s[6:7], s[4:5]
	s_cbranch_execnz .LBB44_1315
	s_branch .LBB44_1316
.LBB44_3365:
	s_movk_i32 s4, 0x80
	v_cmp_eq_u16_sdwa s[12:13], v11, s4 src0_sel:BYTE_0 src1_sel:DWORD
	s_mov_b64 s[4:5], -1
                                        ; implicit-def: $sgpr10
	s_and_saveexec_b64 s[8:9], s[12:13]
; %bb.3366:
	s_mov_b32 s10, 0x7f800001
	s_xor_b64 s[4:5], exec, -1
; %bb.3367:
	s_or_b64 exec, exec, s[8:9]
	s_and_b64 s[4:5], s[4:5], exec
	s_or_saveexec_b64 s[6:7], s[6:7]
	v_mov_b32_e32 v14, s10
	s_xor_b64 exec, exec, s[6:7]
	s_cbranch_execz .LBB44_1318
.LBB44_3368:
	v_mov_b32_e32 v14, 0
	v_cmp_ne_u16_sdwa s[8:9], v11, v14 src0_sel:BYTE_0 src1_sel:DWORD
	s_andn2_b64 s[4:5], s[4:5], exec
	s_and_b64 s[8:9], s[8:9], exec
	s_or_b64 s[4:5], s[4:5], s[8:9]
	s_or_b64 exec, exec, s[6:7]
	s_and_saveexec_b64 s[6:7], s[4:5]
	s_cbranch_execnz .LBB44_1319
	s_branch .LBB44_1320
.LBB44_3369:
	s_movk_i32 s4, 0x80
	v_cmp_eq_u16_sdwa s[12:13], v14, s4 src0_sel:BYTE_0 src1_sel:DWORD
	s_mov_b64 s[4:5], -1
                                        ; implicit-def: $sgpr10
	s_and_saveexec_b64 s[8:9], s[12:13]
; %bb.3370:
	s_mov_b32 s10, 0x7f800001
	s_xor_b64 s[4:5], exec, -1
; %bb.3371:
	s_or_b64 exec, exec, s[8:9]
	s_and_b64 s[4:5], s[4:5], exec
	s_or_saveexec_b64 s[6:7], s[6:7]
	v_mov_b32_e32 v10, s10
	s_xor_b64 exec, exec, s[6:7]
	s_cbranch_execz .LBB44_1322
.LBB44_3372:
	v_mov_b32_e32 v10, 0
	v_cmp_ne_u16_sdwa s[8:9], v14, v10 src0_sel:BYTE_0 src1_sel:DWORD
	s_andn2_b64 s[4:5], s[4:5], exec
	s_and_b64 s[8:9], s[8:9], exec
	s_or_b64 s[4:5], s[4:5], s[8:9]
	s_or_b64 exec, exec, s[6:7]
	s_and_saveexec_b64 s[6:7], s[4:5]
	s_cbranch_execnz .LBB44_1323
	s_branch .LBB44_1324
.LBB44_3373:
	s_movk_i32 s4, 0x80
	v_cmp_eq_u16_sdwa s[12:13], v14, s4 src0_sel:BYTE_0 src1_sel:DWORD
	s_mov_b64 s[4:5], -1
                                        ; implicit-def: $sgpr10
	s_and_saveexec_b64 s[8:9], s[12:13]
; %bb.3374:
	s_mov_b32 s10, 0x7f800001
	s_xor_b64 s[4:5], exec, -1
; %bb.3375:
	s_or_b64 exec, exec, s[8:9]
	s_and_b64 s[4:5], s[4:5], exec
	s_or_saveexec_b64 s[6:7], s[6:7]
	v_mov_b32_e32 v20, s10
	s_xor_b64 exec, exec, s[6:7]
	s_cbranch_execz .LBB44_1326
.LBB44_3376:
	v_mov_b32_e32 v20, 0
	v_cmp_ne_u16_sdwa s[8:9], v14, v20 src0_sel:BYTE_0 src1_sel:DWORD
	s_andn2_b64 s[4:5], s[4:5], exec
	s_and_b64 s[8:9], s[8:9], exec
	s_or_b64 s[4:5], s[4:5], s[8:9]
	s_or_b64 exec, exec, s[6:7]
	s_and_saveexec_b64 s[6:7], s[4:5]
	s_cbranch_execnz .LBB44_1327
	s_branch .LBB44_1328
.LBB44_3377:
	s_movk_i32 s4, 0x80
	v_cmp_eq_u16_e32 vcc, s4, v14
	s_mov_b64 s[4:5], -1
                                        ; implicit-def: $sgpr10
	s_and_saveexec_b64 s[8:9], vcc
; %bb.3378:
	s_mov_b32 s10, 0x7f800001
	s_xor_b64 s[4:5], exec, -1
; %bb.3379:
	s_or_b64 exec, exec, s[8:9]
	s_and_b64 s[4:5], s[4:5], exec
                                        ; implicit-def: $vgpr14
	s_or_saveexec_b64 s[6:7], s[6:7]
	v_mov_b32_e32 v10, s10
	s_xor_b64 exec, exec, s[6:7]
	s_cbranch_execz .LBB44_1330
.LBB44_3380:
	v_cmp_ne_u16_e32 vcc, 0, v14
	s_andn2_b64 s[4:5], s[4:5], exec
	s_and_b64 s[8:9], vcc, exec
	v_mov_b32_e32 v10, 0
	s_or_b64 s[4:5], s[4:5], s[8:9]
	s_or_b64 exec, exec, s[6:7]
	s_and_saveexec_b64 s[6:7], s[4:5]
	s_cbranch_execnz .LBB44_1331
	s_branch .LBB44_1332
.LBB44_3381:
	s_movk_i32 s4, 0x80
	v_cmp_eq_u16_e32 vcc, s4, v14
	s_mov_b64 s[4:5], -1
                                        ; implicit-def: $sgpr10
	s_and_saveexec_b64 s[8:9], vcc
; %bb.3382:
	s_mov_b32 s10, 0x7f800001
	s_xor_b64 s[4:5], exec, -1
; %bb.3383:
	s_or_b64 exec, exec, s[8:9]
	s_and_b64 s[4:5], s[4:5], exec
                                        ; implicit-def: $vgpr14
	s_or_saveexec_b64 s[6:7], s[6:7]
	v_mov_b32_e32 v20, s10
	s_xor_b64 exec, exec, s[6:7]
	s_cbranch_execz .LBB44_1334
.LBB44_3384:
	v_cmp_ne_u16_e32 vcc, 0, v14
	s_andn2_b64 s[4:5], s[4:5], exec
	s_and_b64 s[8:9], vcc, exec
	v_mov_b32_e32 v20, 0
	s_or_b64 s[4:5], s[4:5], s[8:9]
	s_or_b64 exec, exec, s[6:7]
	s_and_saveexec_b64 s[6:7], s[4:5]
	s_cbranch_execnz .LBB44_1335
	s_branch .LBB44_1336
.LBB44_3385:
	s_movk_i32 s4, 0x80
	v_cmp_eq_u16_sdwa s[12:13], v15, s4 src0_sel:BYTE_3 src1_sel:DWORD
	s_mov_b64 s[4:5], -1
                                        ; implicit-def: $sgpr10
	s_and_saveexec_b64 s[8:9], s[12:13]
; %bb.3386:
	s_mov_b32 s10, 0x7f800001
	s_xor_b64 s[4:5], exec, -1
; %bb.3387:
	s_or_b64 exec, exec, s[8:9]
	s_and_b64 s[4:5], s[4:5], exec
	s_or_saveexec_b64 s[6:7], s[6:7]
	v_mov_b32_e32 v10, s10
	s_xor_b64 exec, exec, s[6:7]
	s_cbranch_execz .LBB44_1338
.LBB44_3388:
	v_mov_b32_e32 v10, 0
	v_cmp_ne_u16_sdwa s[8:9], v15, v10 src0_sel:BYTE_3 src1_sel:DWORD
	s_andn2_b64 s[4:5], s[4:5], exec
	s_and_b64 s[8:9], s[8:9], exec
	s_or_b64 s[4:5], s[4:5], s[8:9]
	s_or_b64 exec, exec, s[6:7]
	s_and_saveexec_b64 s[6:7], s[4:5]
	s_cbranch_execnz .LBB44_1339
	s_branch .LBB44_1340
.LBB44_3389:
	s_movk_i32 s4, 0x80
	v_cmp_eq_u16_sdwa s[12:13], v11, s4 src0_sel:BYTE_3 src1_sel:DWORD
	s_mov_b64 s[4:5], -1
                                        ; implicit-def: $sgpr10
	s_and_saveexec_b64 s[8:9], s[12:13]
; %bb.3390:
	s_mov_b32 s10, 0x7f800001
	s_xor_b64 s[4:5], exec, -1
; %bb.3391:
	s_or_b64 exec, exec, s[8:9]
	s_and_b64 s[4:5], s[4:5], exec
	s_or_saveexec_b64 s[6:7], s[6:7]
	v_mov_b32_e32 v14, s10
	s_xor_b64 exec, exec, s[6:7]
	s_cbranch_execz .LBB44_1342
.LBB44_3392:
	v_mov_b32_e32 v14, 0
	v_cmp_ne_u16_sdwa s[8:9], v11, v14 src0_sel:BYTE_3 src1_sel:DWORD
	s_andn2_b64 s[4:5], s[4:5], exec
	s_and_b64 s[8:9], s[8:9], exec
	s_or_b64 s[4:5], s[4:5], s[8:9]
	s_or_b64 exec, exec, s[6:7]
	s_and_saveexec_b64 s[6:7], s[4:5]
	s_cbranch_execnz .LBB44_1343
	s_branch .LBB44_1344
.LBB44_3393:
	s_movk_i32 s4, 0x80
	v_cmp_eq_u16_sdwa s[12:13], v16, s4 src0_sel:BYTE_0 src1_sel:DWORD
	s_mov_b64 s[4:5], -1
                                        ; implicit-def: $sgpr10
	s_and_saveexec_b64 s[8:9], s[12:13]
; %bb.3394:
	s_mov_b32 s10, 0x7f800001
	s_xor_b64 s[4:5], exec, -1
; %bb.3395:
	s_or_b64 exec, exec, s[8:9]
	s_and_b64 s[4:5], s[4:5], exec
	s_or_saveexec_b64 s[6:7], s[6:7]
	v_mov_b32_e32 v10, s10
	s_xor_b64 exec, exec, s[6:7]
	s_cbranch_execz .LBB44_1346
.LBB44_3396:
	v_mov_b32_e32 v10, 0
	v_cmp_ne_u16_sdwa s[8:9], v16, v10 src0_sel:BYTE_0 src1_sel:DWORD
	s_andn2_b64 s[4:5], s[4:5], exec
	s_and_b64 s[8:9], s[8:9], exec
	s_or_b64 s[4:5], s[4:5], s[8:9]
	s_or_b64 exec, exec, s[6:7]
	s_and_saveexec_b64 s[6:7], s[4:5]
	s_cbranch_execnz .LBB44_1347
	s_branch .LBB44_1348
.LBB44_3397:
	s_movk_i32 s4, 0x80
	v_cmp_eq_u16_sdwa s[12:13], v12, s4 src0_sel:BYTE_0 src1_sel:DWORD
	s_mov_b64 s[4:5], -1
                                        ; implicit-def: $sgpr10
	s_and_saveexec_b64 s[8:9], s[12:13]
; %bb.3398:
	s_mov_b32 s10, 0x7f800001
	s_xor_b64 s[4:5], exec, -1
; %bb.3399:
	s_or_b64 exec, exec, s[8:9]
	s_and_b64 s[4:5], s[4:5], exec
	s_or_saveexec_b64 s[6:7], s[6:7]
	v_mov_b32_e32 v11, s10
	s_xor_b64 exec, exec, s[6:7]
	s_cbranch_execz .LBB44_1350
.LBB44_3400:
	v_mov_b32_e32 v11, 0
	v_cmp_ne_u16_sdwa s[8:9], v12, v11 src0_sel:BYTE_0 src1_sel:DWORD
	s_andn2_b64 s[4:5], s[4:5], exec
	s_and_b64 s[8:9], s[8:9], exec
	s_or_b64 s[4:5], s[4:5], s[8:9]
	s_or_b64 exec, exec, s[6:7]
	s_and_saveexec_b64 s[6:7], s[4:5]
	s_cbranch_execnz .LBB44_1351
	s_branch .LBB44_1352
.LBB44_3401:
	s_movk_i32 s4, 0x80
	v_cmp_eq_u16_sdwa s[12:13], v11, s4 src0_sel:BYTE_0 src1_sel:DWORD
	s_mov_b64 s[4:5], -1
                                        ; implicit-def: $sgpr10
	s_and_saveexec_b64 s[8:9], s[12:13]
; %bb.3402:
	s_mov_b32 s10, 0x7f800001
	s_xor_b64 s[4:5], exec, -1
; %bb.3403:
	s_or_b64 exec, exec, s[8:9]
	s_and_b64 s[4:5], s[4:5], exec
	s_or_saveexec_b64 s[6:7], s[6:7]
	v_mov_b32_e32 v10, s10
	s_xor_b64 exec, exec, s[6:7]
	s_cbranch_execz .LBB44_1354
.LBB44_3404:
	v_mov_b32_e32 v10, 0
	v_cmp_ne_u16_sdwa s[8:9], v11, v10 src0_sel:BYTE_0 src1_sel:DWORD
	s_andn2_b64 s[4:5], s[4:5], exec
	s_and_b64 s[8:9], s[8:9], exec
	s_or_b64 s[4:5], s[4:5], s[8:9]
	s_or_b64 exec, exec, s[6:7]
	s_and_saveexec_b64 s[6:7], s[4:5]
	s_cbranch_execnz .LBB44_1355
	s_branch .LBB44_1356
.LBB44_3405:
	s_movk_i32 s4, 0x80
	v_cmp_eq_u16_sdwa s[12:13], v11, s4 src0_sel:BYTE_0 src1_sel:DWORD
	s_mov_b64 s[4:5], -1
                                        ; implicit-def: $sgpr10
	s_and_saveexec_b64 s[8:9], s[12:13]
; %bb.3406:
	s_mov_b32 s10, 0x7f800001
	s_xor_b64 s[4:5], exec, -1
; %bb.3407:
	s_or_b64 exec, exec, s[8:9]
	s_and_b64 s[4:5], s[4:5], exec
	s_or_saveexec_b64 s[6:7], s[6:7]
	v_mov_b32_e32 v14, s10
	s_xor_b64 exec, exec, s[6:7]
	s_cbranch_execz .LBB44_1358
.LBB44_3408:
	v_mov_b32_e32 v14, 0
	v_cmp_ne_u16_sdwa s[8:9], v11, v14 src0_sel:BYTE_0 src1_sel:DWORD
	s_andn2_b64 s[4:5], s[4:5], exec
	s_and_b64 s[8:9], s[8:9], exec
	s_or_b64 s[4:5], s[4:5], s[8:9]
	s_or_b64 exec, exec, s[6:7]
	s_and_saveexec_b64 s[6:7], s[4:5]
	s_cbranch_execnz .LBB44_1359
	s_branch .LBB44_1360
.LBB44_3409:
	s_movk_i32 s4, 0x80
	v_cmp_eq_u16_e32 vcc, s4, v11
	s_mov_b64 s[4:5], -1
                                        ; implicit-def: $sgpr10
	s_and_saveexec_b64 s[8:9], vcc
; %bb.3410:
	s_mov_b32 s10, 0x7f800001
	s_xor_b64 s[4:5], exec, -1
; %bb.3411:
	s_or_b64 exec, exec, s[8:9]
	s_and_b64 s[4:5], s[4:5], exec
                                        ; implicit-def: $vgpr11
	s_or_saveexec_b64 s[6:7], s[6:7]
	v_mov_b32_e32 v10, s10
	s_xor_b64 exec, exec, s[6:7]
	s_cbranch_execz .LBB44_1362
.LBB44_3412:
	v_cmp_ne_u16_e32 vcc, 0, v11
	s_andn2_b64 s[4:5], s[4:5], exec
	s_and_b64 s[8:9], vcc, exec
	v_mov_b32_e32 v10, 0
	s_or_b64 s[4:5], s[4:5], s[8:9]
	s_or_b64 exec, exec, s[6:7]
	s_and_saveexec_b64 s[6:7], s[4:5]
	s_cbranch_execnz .LBB44_1363
	s_branch .LBB44_1364
.LBB44_3413:
	s_movk_i32 s4, 0x80
	v_cmp_eq_u16_e32 vcc, s4, v11
	s_mov_b64 s[4:5], -1
                                        ; implicit-def: $sgpr10
	s_and_saveexec_b64 s[8:9], vcc
; %bb.3414:
	s_mov_b32 s10, 0x7f800001
	s_xor_b64 s[4:5], exec, -1
; %bb.3415:
	s_or_b64 exec, exec, s[8:9]
	s_and_b64 s[4:5], s[4:5], exec
                                        ; implicit-def: $vgpr11
	s_or_saveexec_b64 s[6:7], s[6:7]
	v_mov_b32_e32 v14, s10
	s_xor_b64 exec, exec, s[6:7]
	s_cbranch_execz .LBB44_1366
.LBB44_3416:
	v_cmp_ne_u16_e32 vcc, 0, v11
	s_andn2_b64 s[4:5], s[4:5], exec
	s_and_b64 s[8:9], vcc, exec
	v_mov_b32_e32 v14, 0
	s_or_b64 s[4:5], s[4:5], s[8:9]
	s_or_b64 exec, exec, s[6:7]
	s_and_saveexec_b64 s[6:7], s[4:5]
	s_cbranch_execnz .LBB44_1367
	s_branch .LBB44_1368
.LBB44_3417:
	s_movk_i32 s4, 0x80
	v_cmp_eq_u16_sdwa s[12:13], v16, s4 src0_sel:BYTE_3 src1_sel:DWORD
	s_mov_b64 s[4:5], -1
                                        ; implicit-def: $sgpr10
	s_and_saveexec_b64 s[8:9], s[12:13]
; %bb.3418:
	s_mov_b32 s10, 0x7f800001
	s_xor_b64 s[4:5], exec, -1
; %bb.3419:
	s_or_b64 exec, exec, s[8:9]
	s_and_b64 s[4:5], s[4:5], exec
	s_or_saveexec_b64 s[6:7], s[6:7]
	v_mov_b32_e32 v10, s10
	s_xor_b64 exec, exec, s[6:7]
	s_cbranch_execz .LBB44_1370
.LBB44_3420:
	v_mov_b32_e32 v10, 0
	v_cmp_ne_u16_sdwa s[8:9], v16, v10 src0_sel:BYTE_3 src1_sel:DWORD
	s_andn2_b64 s[4:5], s[4:5], exec
	s_and_b64 s[8:9], s[8:9], exec
	s_or_b64 s[4:5], s[4:5], s[8:9]
	s_or_b64 exec, exec, s[6:7]
	s_and_saveexec_b64 s[6:7], s[4:5]
	s_cbranch_execnz .LBB44_1371
	s_branch .LBB44_1372
.LBB44_3421:
	s_movk_i32 s4, 0x80
	v_cmp_eq_u16_sdwa s[12:13], v12, s4 src0_sel:BYTE_3 src1_sel:DWORD
	s_mov_b64 s[4:5], -1
                                        ; implicit-def: $sgpr10
	s_and_saveexec_b64 s[8:9], s[12:13]
; %bb.3422:
	s_mov_b32 s10, 0x7f800001
	s_xor_b64 s[4:5], exec, -1
; %bb.3423:
	s_or_b64 exec, exec, s[8:9]
	s_and_b64 s[4:5], s[4:5], exec
	s_or_saveexec_b64 s[6:7], s[6:7]
	v_mov_b32_e32 v11, s10
	s_xor_b64 exec, exec, s[6:7]
	s_cbranch_execz .LBB44_1374
.LBB44_3424:
	v_mov_b32_e32 v11, 0
	v_cmp_ne_u16_sdwa s[8:9], v12, v11 src0_sel:BYTE_3 src1_sel:DWORD
	s_andn2_b64 s[4:5], s[4:5], exec
	s_and_b64 s[8:9], s[8:9], exec
	s_or_b64 s[4:5], s[4:5], s[8:9]
	s_or_b64 exec, exec, s[6:7]
	s_and_saveexec_b64 s[6:7], s[4:5]
	s_cbranch_execnz .LBB44_1375
	s_branch .LBB44_1376
.LBB44_3425:
	s_movk_i32 s4, 0x80
	v_cmp_eq_u16_sdwa s[12:13], v17, s4 src0_sel:BYTE_0 src1_sel:DWORD
	s_mov_b64 s[4:5], -1
                                        ; implicit-def: $sgpr10
	s_and_saveexec_b64 s[8:9], s[12:13]
; %bb.3426:
	s_mov_b32 s10, 0x7f800001
	s_xor_b64 s[4:5], exec, -1
; %bb.3427:
	s_or_b64 exec, exec, s[8:9]
	s_and_b64 s[4:5], s[4:5], exec
	s_or_saveexec_b64 s[6:7], s[6:7]
	v_mov_b32_e32 v10, s10
	s_xor_b64 exec, exec, s[6:7]
	s_cbranch_execz .LBB44_1378
.LBB44_3428:
	v_mov_b32_e32 v10, 0
	v_cmp_ne_u16_sdwa s[8:9], v17, v10 src0_sel:BYTE_0 src1_sel:DWORD
	s_andn2_b64 s[4:5], s[4:5], exec
	s_and_b64 s[8:9], s[8:9], exec
	s_or_b64 s[4:5], s[4:5], s[8:9]
	s_or_b64 exec, exec, s[6:7]
	s_and_saveexec_b64 s[6:7], s[4:5]
	s_cbranch_execnz .LBB44_1379
	s_branch .LBB44_1380
.LBB44_3429:
	s_movk_i32 s4, 0x80
	v_cmp_eq_u16_sdwa s[12:13], v13, s4 src0_sel:BYTE_0 src1_sel:DWORD
	s_mov_b64 s[4:5], -1
                                        ; implicit-def: $sgpr10
	s_and_saveexec_b64 s[8:9], s[12:13]
; %bb.3430:
	s_mov_b32 s10, 0x7f800001
	s_xor_b64 s[4:5], exec, -1
; %bb.3431:
	s_or_b64 exec, exec, s[8:9]
	s_and_b64 s[4:5], s[4:5], exec
	s_or_saveexec_b64 s[6:7], s[6:7]
	v_mov_b32_e32 v11, s10
	s_xor_b64 exec, exec, s[6:7]
	s_cbranch_execz .LBB44_1382
.LBB44_3432:
	v_mov_b32_e32 v11, 0
	v_cmp_ne_u16_sdwa s[8:9], v13, v11 src0_sel:BYTE_0 src1_sel:DWORD
	s_andn2_b64 s[4:5], s[4:5], exec
	s_and_b64 s[8:9], s[8:9], exec
	s_or_b64 s[4:5], s[4:5], s[8:9]
	s_or_b64 exec, exec, s[6:7]
	s_and_saveexec_b64 s[6:7], s[4:5]
	s_cbranch_execnz .LBB44_1383
	s_branch .LBB44_1384
.LBB44_3433:
	s_movk_i32 s4, 0x80
	v_cmp_eq_u16_sdwa s[12:13], v11, s4 src0_sel:BYTE_0 src1_sel:DWORD
	s_mov_b64 s[4:5], -1
                                        ; implicit-def: $sgpr10
	s_and_saveexec_b64 s[8:9], s[12:13]
; %bb.3434:
	s_mov_b32 s10, 0x7f800001
	s_xor_b64 s[4:5], exec, -1
; %bb.3435:
	s_or_b64 exec, exec, s[8:9]
	s_and_b64 s[4:5], s[4:5], exec
	s_or_saveexec_b64 s[6:7], s[6:7]
	v_mov_b32_e32 v10, s10
	s_xor_b64 exec, exec, s[6:7]
	s_cbranch_execz .LBB44_1386
.LBB44_3436:
	v_mov_b32_e32 v10, 0
	v_cmp_ne_u16_sdwa s[8:9], v11, v10 src0_sel:BYTE_0 src1_sel:DWORD
	s_andn2_b64 s[4:5], s[4:5], exec
	s_and_b64 s[8:9], s[8:9], exec
	s_or_b64 s[4:5], s[4:5], s[8:9]
	s_or_b64 exec, exec, s[6:7]
	s_and_saveexec_b64 s[6:7], s[4:5]
	s_cbranch_execnz .LBB44_1387
	s_branch .LBB44_1388
.LBB44_3437:
	s_movk_i32 s4, 0x80
	v_cmp_eq_u16_sdwa s[12:13], v11, s4 src0_sel:BYTE_0 src1_sel:DWORD
	s_mov_b64 s[4:5], -1
                                        ; implicit-def: $sgpr10
	s_and_saveexec_b64 s[8:9], s[12:13]
; %bb.3438:
	s_mov_b32 s10, 0x7f800001
	s_xor_b64 s[4:5], exec, -1
; %bb.3439:
	s_or_b64 exec, exec, s[8:9]
	s_and_b64 s[4:5], s[4:5], exec
	s_or_saveexec_b64 s[6:7], s[6:7]
	v_mov_b32_e32 v12, s10
	s_xor_b64 exec, exec, s[6:7]
	s_cbranch_execz .LBB44_1390
.LBB44_3440:
	v_mov_b32_e32 v12, 0
	v_cmp_ne_u16_sdwa s[8:9], v11, v12 src0_sel:BYTE_0 src1_sel:DWORD
	s_andn2_b64 s[4:5], s[4:5], exec
	s_and_b64 s[8:9], s[8:9], exec
	s_or_b64 s[4:5], s[4:5], s[8:9]
	s_or_b64 exec, exec, s[6:7]
	s_and_saveexec_b64 s[6:7], s[4:5]
	s_cbranch_execnz .LBB44_1391
	s_branch .LBB44_1392
.LBB44_3441:
	s_movk_i32 s4, 0x80
	v_cmp_eq_u16_e32 vcc, s4, v11
	s_mov_b64 s[4:5], -1
                                        ; implicit-def: $sgpr10
	s_and_saveexec_b64 s[8:9], vcc
; %bb.3442:
	s_mov_b32 s10, 0x7f800001
	s_xor_b64 s[4:5], exec, -1
; %bb.3443:
	s_or_b64 exec, exec, s[8:9]
	s_and_b64 s[4:5], s[4:5], exec
                                        ; implicit-def: $vgpr11
	s_or_saveexec_b64 s[6:7], s[6:7]
	v_mov_b32_e32 v10, s10
	s_xor_b64 exec, exec, s[6:7]
	s_cbranch_execz .LBB44_1394
.LBB44_3444:
	v_cmp_ne_u16_e32 vcc, 0, v11
	s_andn2_b64 s[4:5], s[4:5], exec
	s_and_b64 s[8:9], vcc, exec
	v_mov_b32_e32 v10, 0
	s_or_b64 s[4:5], s[4:5], s[8:9]
	s_or_b64 exec, exec, s[6:7]
	s_and_saveexec_b64 s[6:7], s[4:5]
	s_cbranch_execnz .LBB44_1395
	s_branch .LBB44_1396
.LBB44_3445:
	s_movk_i32 s4, 0x80
	v_cmp_eq_u16_e32 vcc, s4, v11
	s_mov_b64 s[4:5], -1
                                        ; implicit-def: $sgpr10
	s_and_saveexec_b64 s[8:9], vcc
; %bb.3446:
	s_mov_b32 s10, 0x7f800001
	s_xor_b64 s[4:5], exec, -1
; %bb.3447:
	s_or_b64 exec, exec, s[8:9]
	s_and_b64 s[4:5], s[4:5], exec
                                        ; implicit-def: $vgpr11
	s_or_saveexec_b64 s[6:7], s[6:7]
	v_mov_b32_e32 v12, s10
	s_xor_b64 exec, exec, s[6:7]
	s_cbranch_execz .LBB44_1398
.LBB44_3448:
	v_cmp_ne_u16_e32 vcc, 0, v11
	s_andn2_b64 s[4:5], s[4:5], exec
	s_and_b64 s[8:9], vcc, exec
	v_mov_b32_e32 v12, 0
	s_or_b64 s[4:5], s[4:5], s[8:9]
	s_or_b64 exec, exec, s[6:7]
	s_and_saveexec_b64 s[6:7], s[4:5]
	s_cbranch_execnz .LBB44_1399
	s_branch .LBB44_1400
.LBB44_3449:
	s_movk_i32 s4, 0x80
	v_cmp_eq_u16_sdwa s[12:13], v17, s4 src0_sel:BYTE_3 src1_sel:DWORD
	s_mov_b64 s[4:5], -1
                                        ; implicit-def: $sgpr10
	s_and_saveexec_b64 s[8:9], s[12:13]
; %bb.3450:
	s_mov_b32 s10, 0x7f800001
	s_xor_b64 s[4:5], exec, -1
; %bb.3451:
	s_or_b64 exec, exec, s[8:9]
	s_and_b64 s[4:5], s[4:5], exec
	s_or_saveexec_b64 s[6:7], s[6:7]
	v_mov_b32_e32 v10, s10
	s_xor_b64 exec, exec, s[6:7]
	s_cbranch_execz .LBB44_1402
.LBB44_3452:
	v_mov_b32_e32 v10, 0
	v_cmp_ne_u16_sdwa s[8:9], v17, v10 src0_sel:BYTE_3 src1_sel:DWORD
	s_andn2_b64 s[4:5], s[4:5], exec
	s_and_b64 s[8:9], s[8:9], exec
	s_or_b64 s[4:5], s[4:5], s[8:9]
	s_or_b64 exec, exec, s[6:7]
	s_and_saveexec_b64 s[6:7], s[4:5]
	s_cbranch_execnz .LBB44_1403
	s_branch .LBB44_1404
.LBB44_3453:
	s_movk_i32 s4, 0x80
	v_cmp_eq_u16_sdwa s[12:13], v13, s4 src0_sel:BYTE_3 src1_sel:DWORD
	s_mov_b64 s[4:5], -1
                                        ; implicit-def: $sgpr10
	s_and_saveexec_b64 s[8:9], s[12:13]
; %bb.3454:
	s_mov_b32 s10, 0x7f800001
	s_xor_b64 s[4:5], exec, -1
; %bb.3455:
	s_or_b64 exec, exec, s[8:9]
	s_and_b64 s[4:5], s[4:5], exec
	s_or_saveexec_b64 s[6:7], s[6:7]
	v_mov_b32_e32 v11, s10
	s_xor_b64 exec, exec, s[6:7]
	s_cbranch_execz .LBB44_1406
.LBB44_3456:
	v_mov_b32_e32 v11, 0
	v_cmp_ne_u16_sdwa s[8:9], v13, v11 src0_sel:BYTE_3 src1_sel:DWORD
	s_andn2_b64 s[4:5], s[4:5], exec
	s_and_b64 s[8:9], s[8:9], exec
	s_or_b64 s[4:5], s[4:5], s[8:9]
	s_or_b64 exec, exec, s[6:7]
	s_and_saveexec_b64 s[6:7], s[4:5]
	s_cbranch_execnz .LBB44_1407
	s_branch .LBB44_1408
.LBB44_3457:
	s_movk_i32 s4, 0x80
	v_cmp_eq_u16_sdwa s[12:13], v6, s4 src0_sel:BYTE_0 src1_sel:DWORD
	s_mov_b64 s[4:5], -1
                                        ; implicit-def: $sgpr10
	s_and_saveexec_b64 s[8:9], s[12:13]
; %bb.3458:
	s_mov_b32 s10, 0x7f800001
	s_xor_b64 s[4:5], exec, -1
; %bb.3459:
	s_or_b64 exec, exec, s[8:9]
	s_and_b64 s[4:5], s[4:5], exec
	s_or_saveexec_b64 s[6:7], s[6:7]
	v_mov_b32_e32 v10, s10
	s_xor_b64 exec, exec, s[6:7]
	s_cbranch_execz .LBB44_1410
.LBB44_3460:
	v_mov_b32_e32 v10, 0
	v_cmp_ne_u16_sdwa s[8:9], v6, v10 src0_sel:BYTE_0 src1_sel:DWORD
	s_andn2_b64 s[4:5], s[4:5], exec
	s_and_b64 s[8:9], s[8:9], exec
	s_or_b64 s[4:5], s[4:5], s[8:9]
	s_or_b64 exec, exec, s[6:7]
	s_and_saveexec_b64 s[6:7], s[4:5]
	s_cbranch_execnz .LBB44_1411
	s_branch .LBB44_1412
.LBB44_3461:
	s_movk_i32 s4, 0x80
	v_cmp_eq_u16_sdwa s[12:13], v2, s4 src0_sel:BYTE_0 src1_sel:DWORD
	s_mov_b64 s[4:5], -1
                                        ; implicit-def: $sgpr10
	s_and_saveexec_b64 s[8:9], s[12:13]
; %bb.3462:
	s_mov_b32 s10, 0x7f800001
	s_xor_b64 s[4:5], exec, -1
; %bb.3463:
	s_or_b64 exec, exec, s[8:9]
	s_and_b64 s[4:5], s[4:5], exec
	s_or_saveexec_b64 s[6:7], s[6:7]
	v_mov_b32_e32 v11, s10
	s_xor_b64 exec, exec, s[6:7]
	s_cbranch_execz .LBB44_1414
.LBB44_3464:
	v_mov_b32_e32 v11, 0
	v_cmp_ne_u16_sdwa s[8:9], v2, v11 src0_sel:BYTE_0 src1_sel:DWORD
	s_andn2_b64 s[4:5], s[4:5], exec
	s_and_b64 s[8:9], s[8:9], exec
	s_or_b64 s[4:5], s[4:5], s[8:9]
	s_or_b64 exec, exec, s[6:7]
	s_and_saveexec_b64 s[6:7], s[4:5]
	s_cbranch_execnz .LBB44_1415
	s_branch .LBB44_1416
.LBB44_3465:
	s_movk_i32 s4, 0x80
	v_cmp_eq_u16_sdwa s[12:13], v11, s4 src0_sel:BYTE_0 src1_sel:DWORD
	s_mov_b64 s[4:5], -1
                                        ; implicit-def: $sgpr10
	s_and_saveexec_b64 s[8:9], s[12:13]
; %bb.3466:
	s_mov_b32 s10, 0x7f800001
	s_xor_b64 s[4:5], exec, -1
; %bb.3467:
	s_or_b64 exec, exec, s[8:9]
	s_and_b64 s[4:5], s[4:5], exec
	s_or_saveexec_b64 s[6:7], s[6:7]
	v_mov_b32_e32 v10, s10
	s_xor_b64 exec, exec, s[6:7]
	s_cbranch_execz .LBB44_1418
.LBB44_3468:
	v_mov_b32_e32 v10, 0
	v_cmp_ne_u16_sdwa s[8:9], v11, v10 src0_sel:BYTE_0 src1_sel:DWORD
	s_andn2_b64 s[4:5], s[4:5], exec
	s_and_b64 s[8:9], s[8:9], exec
	s_or_b64 s[4:5], s[4:5], s[8:9]
	s_or_b64 exec, exec, s[6:7]
	s_and_saveexec_b64 s[6:7], s[4:5]
	s_cbranch_execnz .LBB44_1419
	s_branch .LBB44_1420
.LBB44_3469:
	s_movk_i32 s4, 0x80
	v_cmp_eq_u16_sdwa s[12:13], v11, s4 src0_sel:BYTE_0 src1_sel:DWORD
	s_mov_b64 s[4:5], -1
                                        ; implicit-def: $sgpr10
	s_and_saveexec_b64 s[8:9], s[12:13]
; %bb.3470:
	s_mov_b32 s10, 0x7f800001
	s_xor_b64 s[4:5], exec, -1
; %bb.3471:
	s_or_b64 exec, exec, s[8:9]
	s_and_b64 s[4:5], s[4:5], exec
	s_or_saveexec_b64 s[6:7], s[6:7]
	v_mov_b32_e32 v12, s10
	s_xor_b64 exec, exec, s[6:7]
	s_cbranch_execz .LBB44_1422
.LBB44_3472:
	v_mov_b32_e32 v12, 0
	v_cmp_ne_u16_sdwa s[8:9], v11, v12 src0_sel:BYTE_0 src1_sel:DWORD
	s_andn2_b64 s[4:5], s[4:5], exec
	s_and_b64 s[8:9], s[8:9], exec
	s_or_b64 s[4:5], s[4:5], s[8:9]
	s_or_b64 exec, exec, s[6:7]
	s_and_saveexec_b64 s[6:7], s[4:5]
	s_cbranch_execnz .LBB44_1423
	s_branch .LBB44_1424
.LBB44_3473:
	s_movk_i32 s4, 0x80
	v_cmp_eq_u16_e32 vcc, s4, v11
	s_mov_b64 s[4:5], -1
                                        ; implicit-def: $sgpr10
	s_and_saveexec_b64 s[8:9], vcc
; %bb.3474:
	s_mov_b32 s10, 0x7f800001
	s_xor_b64 s[4:5], exec, -1
; %bb.3475:
	s_or_b64 exec, exec, s[8:9]
	s_and_b64 s[4:5], s[4:5], exec
                                        ; implicit-def: $vgpr11
	s_or_saveexec_b64 s[6:7], s[6:7]
	v_mov_b32_e32 v10, s10
	s_xor_b64 exec, exec, s[6:7]
	s_cbranch_execz .LBB44_1426
.LBB44_3476:
	v_cmp_ne_u16_e32 vcc, 0, v11
	s_andn2_b64 s[4:5], s[4:5], exec
	s_and_b64 s[8:9], vcc, exec
	v_mov_b32_e32 v10, 0
	s_or_b64 s[4:5], s[4:5], s[8:9]
	s_or_b64 exec, exec, s[6:7]
	s_and_saveexec_b64 s[6:7], s[4:5]
	s_cbranch_execnz .LBB44_1427
	s_branch .LBB44_1428
.LBB44_3477:
	s_movk_i32 s4, 0x80
	v_cmp_eq_u16_e32 vcc, s4, v11
	s_mov_b64 s[4:5], -1
                                        ; implicit-def: $sgpr10
	s_and_saveexec_b64 s[8:9], vcc
; %bb.3478:
	s_mov_b32 s10, 0x7f800001
	s_xor_b64 s[4:5], exec, -1
; %bb.3479:
	s_or_b64 exec, exec, s[8:9]
	s_and_b64 s[4:5], s[4:5], exec
                                        ; implicit-def: $vgpr11
	s_or_saveexec_b64 s[6:7], s[6:7]
	v_mov_b32_e32 v12, s10
	s_xor_b64 exec, exec, s[6:7]
	s_cbranch_execz .LBB44_1430
.LBB44_3480:
	v_cmp_ne_u16_e32 vcc, 0, v11
	s_andn2_b64 s[4:5], s[4:5], exec
	s_and_b64 s[8:9], vcc, exec
	v_mov_b32_e32 v12, 0
	s_or_b64 s[4:5], s[4:5], s[8:9]
	s_or_b64 exec, exec, s[6:7]
	s_and_saveexec_b64 s[6:7], s[4:5]
	s_cbranch_execnz .LBB44_1431
	s_branch .LBB44_1432
.LBB44_3481:
	s_movk_i32 s4, 0x80
	v_cmp_eq_u16_sdwa s[12:13], v6, s4 src0_sel:BYTE_3 src1_sel:DWORD
	s_mov_b64 s[4:5], -1
                                        ; implicit-def: $sgpr10
	s_and_saveexec_b64 s[8:9], s[12:13]
; %bb.3482:
	s_mov_b32 s10, 0x7f800001
	s_xor_b64 s[4:5], exec, -1
; %bb.3483:
	s_or_b64 exec, exec, s[8:9]
	s_and_b64 s[4:5], s[4:5], exec
	s_or_saveexec_b64 s[6:7], s[6:7]
	v_mov_b32_e32 v10, s10
	s_xor_b64 exec, exec, s[6:7]
	s_cbranch_execz .LBB44_1434
.LBB44_3484:
	v_mov_b32_e32 v10, 0
	v_cmp_ne_u16_sdwa s[8:9], v6, v10 src0_sel:BYTE_3 src1_sel:DWORD
	s_andn2_b64 s[4:5], s[4:5], exec
	s_and_b64 s[8:9], s[8:9], exec
	s_or_b64 s[4:5], s[4:5], s[8:9]
	s_or_b64 exec, exec, s[6:7]
	s_and_saveexec_b64 s[6:7], s[4:5]
	s_cbranch_execnz .LBB44_1435
	s_branch .LBB44_1436
.LBB44_3485:
	s_movk_i32 s4, 0x80
	v_cmp_eq_u16_sdwa s[12:13], v2, s4 src0_sel:BYTE_3 src1_sel:DWORD
	s_mov_b64 s[4:5], -1
                                        ; implicit-def: $sgpr10
	s_and_saveexec_b64 s[8:9], s[12:13]
; %bb.3486:
	s_mov_b32 s10, 0x7f800001
	s_xor_b64 s[4:5], exec, -1
; %bb.3487:
	s_or_b64 exec, exec, s[8:9]
	s_and_b64 s[4:5], s[4:5], exec
	s_or_saveexec_b64 s[6:7], s[6:7]
	v_mov_b32_e32 v6, s10
	s_xor_b64 exec, exec, s[6:7]
	s_cbranch_execz .LBB44_1438
.LBB44_3488:
	v_mov_b32_e32 v6, 0
	v_cmp_ne_u16_sdwa s[8:9], v2, v6 src0_sel:BYTE_3 src1_sel:DWORD
	s_andn2_b64 s[4:5], s[4:5], exec
	s_and_b64 s[8:9], s[8:9], exec
	s_or_b64 s[4:5], s[4:5], s[8:9]
	s_or_b64 exec, exec, s[6:7]
	s_and_saveexec_b64 s[6:7], s[4:5]
	s_cbranch_execnz .LBB44_1439
	s_branch .LBB44_1440
.LBB44_3489:
	s_movk_i32 s4, 0x80
	v_cmp_eq_u16_sdwa s[12:13], v7, s4 src0_sel:BYTE_0 src1_sel:DWORD
	s_mov_b64 s[4:5], -1
                                        ; implicit-def: $sgpr10
	s_and_saveexec_b64 s[8:9], s[12:13]
; %bb.3490:
	s_mov_b32 s10, 0x7f800001
	s_xor_b64 s[4:5], exec, -1
; %bb.3491:
	s_or_b64 exec, exec, s[8:9]
	s_and_b64 s[4:5], s[4:5], exec
	s_or_saveexec_b64 s[6:7], s[6:7]
	v_mov_b32_e32 v2, s10
	s_xor_b64 exec, exec, s[6:7]
	s_cbranch_execz .LBB44_1442
.LBB44_3492:
	v_mov_b32_e32 v2, 0
	v_cmp_ne_u16_sdwa s[8:9], v7, v2 src0_sel:BYTE_0 src1_sel:DWORD
	s_andn2_b64 s[4:5], s[4:5], exec
	s_and_b64 s[8:9], s[8:9], exec
	s_or_b64 s[4:5], s[4:5], s[8:9]
	s_or_b64 exec, exec, s[6:7]
	s_and_saveexec_b64 s[6:7], s[4:5]
	s_cbranch_execnz .LBB44_1443
	s_branch .LBB44_1444
.LBB44_3493:
	s_movk_i32 s4, 0x80
	v_cmp_eq_u16_sdwa s[12:13], v3, s4 src0_sel:BYTE_0 src1_sel:DWORD
	s_mov_b64 s[4:5], -1
                                        ; implicit-def: $sgpr10
	s_and_saveexec_b64 s[8:9], s[12:13]
; %bb.3494:
	s_mov_b32 s10, 0x7f800001
	s_xor_b64 s[4:5], exec, -1
; %bb.3495:
	s_or_b64 exec, exec, s[8:9]
	s_and_b64 s[4:5], s[4:5], exec
	s_or_saveexec_b64 s[6:7], s[6:7]
	v_mov_b32_e32 v6, s10
	s_xor_b64 exec, exec, s[6:7]
	s_cbranch_execz .LBB44_1446
.LBB44_3496:
	v_mov_b32_e32 v6, 0
	v_cmp_ne_u16_sdwa s[8:9], v3, v6 src0_sel:BYTE_0 src1_sel:DWORD
	s_andn2_b64 s[4:5], s[4:5], exec
	s_and_b64 s[8:9], s[8:9], exec
	s_or_b64 s[4:5], s[4:5], s[8:9]
	s_or_b64 exec, exec, s[6:7]
	s_and_saveexec_b64 s[6:7], s[4:5]
	s_cbranch_execnz .LBB44_1447
	s_branch .LBB44_1448
.LBB44_3497:
	s_movk_i32 s4, 0x80
	v_cmp_eq_u16_sdwa s[12:13], v6, s4 src0_sel:BYTE_0 src1_sel:DWORD
	s_mov_b64 s[4:5], -1
                                        ; implicit-def: $sgpr10
	s_and_saveexec_b64 s[8:9], s[12:13]
; %bb.3498:
	s_mov_b32 s10, 0x7f800001
	s_xor_b64 s[4:5], exec, -1
; %bb.3499:
	s_or_b64 exec, exec, s[8:9]
	s_and_b64 s[4:5], s[4:5], exec
	s_or_saveexec_b64 s[6:7], s[6:7]
	v_mov_b32_e32 v2, s10
	s_xor_b64 exec, exec, s[6:7]
	s_cbranch_execz .LBB44_1450
.LBB44_3500:
	v_mov_b32_e32 v2, 0
	v_cmp_ne_u16_sdwa s[8:9], v6, v2 src0_sel:BYTE_0 src1_sel:DWORD
	s_andn2_b64 s[4:5], s[4:5], exec
	s_and_b64 s[8:9], s[8:9], exec
	s_or_b64 s[4:5], s[4:5], s[8:9]
	s_or_b64 exec, exec, s[6:7]
	s_and_saveexec_b64 s[6:7], s[4:5]
	s_cbranch_execnz .LBB44_1451
	s_branch .LBB44_1452
.LBB44_3501:
	s_movk_i32 s4, 0x80
	v_cmp_eq_u16_sdwa s[12:13], v6, s4 src0_sel:BYTE_0 src1_sel:DWORD
	s_mov_b64 s[4:5], -1
                                        ; implicit-def: $sgpr10
	s_and_saveexec_b64 s[8:9], s[12:13]
; %bb.3502:
	s_mov_b32 s10, 0x7f800001
	s_xor_b64 s[4:5], exec, -1
; %bb.3503:
	s_or_b64 exec, exec, s[8:9]
	s_and_b64 s[4:5], s[4:5], exec
	s_or_saveexec_b64 s[6:7], s[6:7]
	v_mov_b32_e32 v10, s10
	s_xor_b64 exec, exec, s[6:7]
	s_cbranch_execz .LBB44_1454
.LBB44_3504:
	v_mov_b32_e32 v10, 0
	v_cmp_ne_u16_sdwa s[8:9], v6, v10 src0_sel:BYTE_0 src1_sel:DWORD
	s_andn2_b64 s[4:5], s[4:5], exec
	s_and_b64 s[8:9], s[8:9], exec
	s_or_b64 s[4:5], s[4:5], s[8:9]
	s_or_b64 exec, exec, s[6:7]
	s_and_saveexec_b64 s[6:7], s[4:5]
	s_cbranch_execnz .LBB44_1455
	s_branch .LBB44_1456
.LBB44_3505:
	s_movk_i32 s4, 0x80
	v_cmp_eq_u16_e32 vcc, s4, v6
	s_mov_b64 s[4:5], -1
                                        ; implicit-def: $sgpr10
	s_and_saveexec_b64 s[8:9], vcc
; %bb.3506:
	s_mov_b32 s10, 0x7f800001
	s_xor_b64 s[4:5], exec, -1
; %bb.3507:
	s_or_b64 exec, exec, s[8:9]
	s_and_b64 s[4:5], s[4:5], exec
                                        ; implicit-def: $vgpr6
	s_or_saveexec_b64 s[6:7], s[6:7]
	v_mov_b32_e32 v2, s10
	s_xor_b64 exec, exec, s[6:7]
	s_cbranch_execz .LBB44_1458
.LBB44_3508:
	v_cmp_ne_u16_e32 vcc, 0, v6
	s_andn2_b64 s[4:5], s[4:5], exec
	s_and_b64 s[8:9], vcc, exec
	v_mov_b32_e32 v2, 0
	s_or_b64 s[4:5], s[4:5], s[8:9]
	s_or_b64 exec, exec, s[6:7]
	s_and_saveexec_b64 s[6:7], s[4:5]
	s_cbranch_execnz .LBB44_1459
	s_branch .LBB44_1460
.LBB44_3509:
	s_movk_i32 s4, 0x80
	v_cmp_eq_u16_e32 vcc, s4, v6
	s_mov_b64 s[4:5], -1
                                        ; implicit-def: $sgpr10
	s_and_saveexec_b64 s[8:9], vcc
; %bb.3510:
	s_mov_b32 s10, 0x7f800001
	s_xor_b64 s[4:5], exec, -1
; %bb.3511:
	s_or_b64 exec, exec, s[8:9]
	s_and_b64 s[4:5], s[4:5], exec
                                        ; implicit-def: $vgpr6
	s_or_saveexec_b64 s[6:7], s[6:7]
	v_mov_b32_e32 v10, s10
	s_xor_b64 exec, exec, s[6:7]
	s_cbranch_execz .LBB44_1462
.LBB44_3512:
	v_cmp_ne_u16_e32 vcc, 0, v6
	s_andn2_b64 s[4:5], s[4:5], exec
	s_and_b64 s[8:9], vcc, exec
	v_mov_b32_e32 v10, 0
	s_or_b64 s[4:5], s[4:5], s[8:9]
	s_or_b64 exec, exec, s[6:7]
	s_and_saveexec_b64 s[6:7], s[4:5]
	s_cbranch_execnz .LBB44_1463
	s_branch .LBB44_1464
.LBB44_3513:
	s_movk_i32 s4, 0x80
	v_cmp_eq_u16_sdwa s[12:13], v7, s4 src0_sel:BYTE_3 src1_sel:DWORD
	s_mov_b64 s[4:5], -1
                                        ; implicit-def: $sgpr10
	s_and_saveexec_b64 s[8:9], s[12:13]
; %bb.3514:
	s_mov_b32 s10, 0x7f800001
	s_xor_b64 s[4:5], exec, -1
; %bb.3515:
	s_or_b64 exec, exec, s[8:9]
	s_and_b64 s[4:5], s[4:5], exec
	s_or_saveexec_b64 s[6:7], s[6:7]
	v_mov_b32_e32 v2, s10
	s_xor_b64 exec, exec, s[6:7]
	s_cbranch_execz .LBB44_1466
.LBB44_3516:
	v_mov_b32_e32 v2, 0
	v_cmp_ne_u16_sdwa s[8:9], v7, v2 src0_sel:BYTE_3 src1_sel:DWORD
	s_andn2_b64 s[4:5], s[4:5], exec
	s_and_b64 s[8:9], s[8:9], exec
	s_or_b64 s[4:5], s[4:5], s[8:9]
	s_or_b64 exec, exec, s[6:7]
	s_and_saveexec_b64 s[6:7], s[4:5]
	s_cbranch_execnz .LBB44_1467
	s_branch .LBB44_1468
.LBB44_3517:
	s_movk_i32 s4, 0x80
	v_cmp_eq_u16_sdwa s[12:13], v3, s4 src0_sel:BYTE_3 src1_sel:DWORD
	s_mov_b64 s[4:5], -1
                                        ; implicit-def: $sgpr10
	s_and_saveexec_b64 s[8:9], s[12:13]
; %bb.3518:
	s_mov_b32 s10, 0x7f800001
	s_xor_b64 s[4:5], exec, -1
; %bb.3519:
	s_or_b64 exec, exec, s[8:9]
	s_and_b64 s[4:5], s[4:5], exec
	s_or_saveexec_b64 s[6:7], s[6:7]
	v_mov_b32_e32 v6, s10
	s_xor_b64 exec, exec, s[6:7]
	s_cbranch_execz .LBB44_1470
.LBB44_3520:
	v_mov_b32_e32 v6, 0
	v_cmp_ne_u16_sdwa s[8:9], v3, v6 src0_sel:BYTE_3 src1_sel:DWORD
	s_andn2_b64 s[4:5], s[4:5], exec
	s_and_b64 s[8:9], s[8:9], exec
	s_or_b64 s[4:5], s[4:5], s[8:9]
	s_or_b64 exec, exec, s[6:7]
	s_and_saveexec_b64 s[6:7], s[4:5]
	s_cbranch_execnz .LBB44_1471
	s_branch .LBB44_1472
.LBB44_3521:
	s_movk_i32 s4, 0x80
	v_cmp_eq_u16_sdwa s[12:13], v8, s4 src0_sel:BYTE_0 src1_sel:DWORD
	s_mov_b64 s[4:5], -1
                                        ; implicit-def: $sgpr10
	s_and_saveexec_b64 s[8:9], s[12:13]
; %bb.3522:
	s_mov_b32 s10, 0x7f800001
	s_xor_b64 s[4:5], exec, -1
; %bb.3523:
	s_or_b64 exec, exec, s[8:9]
	s_and_b64 s[4:5], s[4:5], exec
	s_or_saveexec_b64 s[6:7], s[6:7]
	v_mov_b32_e32 v2, s10
	s_xor_b64 exec, exec, s[6:7]
	s_cbranch_execz .LBB44_1474
.LBB44_3524:
	v_mov_b32_e32 v2, 0
	v_cmp_ne_u16_sdwa s[8:9], v8, v2 src0_sel:BYTE_0 src1_sel:DWORD
	s_andn2_b64 s[4:5], s[4:5], exec
	s_and_b64 s[8:9], s[8:9], exec
	s_or_b64 s[4:5], s[4:5], s[8:9]
	s_or_b64 exec, exec, s[6:7]
	s_and_saveexec_b64 s[6:7], s[4:5]
	s_cbranch_execnz .LBB44_1475
	s_branch .LBB44_1476
.LBB44_3525:
	s_movk_i32 s4, 0x80
	v_cmp_eq_u16_sdwa s[12:13], v4, s4 src0_sel:BYTE_0 src1_sel:DWORD
	s_mov_b64 s[4:5], -1
                                        ; implicit-def: $sgpr10
	s_and_saveexec_b64 s[8:9], s[12:13]
; %bb.3526:
	s_mov_b32 s10, 0x7f800001
	s_xor_b64 s[4:5], exec, -1
; %bb.3527:
	s_or_b64 exec, exec, s[8:9]
	s_and_b64 s[4:5], s[4:5], exec
	s_or_saveexec_b64 s[6:7], s[6:7]
	v_mov_b32_e32 v3, s10
	s_xor_b64 exec, exec, s[6:7]
	s_cbranch_execz .LBB44_1478
.LBB44_3528:
	v_mov_b32_e32 v3, 0
	v_cmp_ne_u16_sdwa s[8:9], v4, v3 src0_sel:BYTE_0 src1_sel:DWORD
	s_andn2_b64 s[4:5], s[4:5], exec
	s_and_b64 s[8:9], s[8:9], exec
	s_or_b64 s[4:5], s[4:5], s[8:9]
	s_or_b64 exec, exec, s[6:7]
	s_and_saveexec_b64 s[6:7], s[4:5]
	s_cbranch_execnz .LBB44_1479
	s_branch .LBB44_1480
.LBB44_3529:
	s_movk_i32 s4, 0x80
	v_cmp_eq_u16_sdwa s[12:13], v3, s4 src0_sel:BYTE_0 src1_sel:DWORD
	s_mov_b64 s[4:5], -1
                                        ; implicit-def: $sgpr10
	s_and_saveexec_b64 s[8:9], s[12:13]
; %bb.3530:
	s_mov_b32 s10, 0x7f800001
	s_xor_b64 s[4:5], exec, -1
; %bb.3531:
	s_or_b64 exec, exec, s[8:9]
	s_and_b64 s[4:5], s[4:5], exec
	s_or_saveexec_b64 s[6:7], s[6:7]
	v_mov_b32_e32 v2, s10
	s_xor_b64 exec, exec, s[6:7]
	s_cbranch_execz .LBB44_1482
.LBB44_3532:
	v_mov_b32_e32 v2, 0
	v_cmp_ne_u16_sdwa s[8:9], v3, v2 src0_sel:BYTE_0 src1_sel:DWORD
	s_andn2_b64 s[4:5], s[4:5], exec
	s_and_b64 s[8:9], s[8:9], exec
	s_or_b64 s[4:5], s[4:5], s[8:9]
	s_or_b64 exec, exec, s[6:7]
	s_and_saveexec_b64 s[6:7], s[4:5]
	s_cbranch_execnz .LBB44_1483
	s_branch .LBB44_1484
.LBB44_3533:
	s_movk_i32 s4, 0x80
	v_cmp_eq_u16_sdwa s[12:13], v3, s4 src0_sel:BYTE_0 src1_sel:DWORD
	s_mov_b64 s[4:5], -1
                                        ; implicit-def: $sgpr10
	s_and_saveexec_b64 s[8:9], s[12:13]
; %bb.3534:
	s_mov_b32 s10, 0x7f800001
	s_xor_b64 s[4:5], exec, -1
; %bb.3535:
	s_or_b64 exec, exec, s[8:9]
	s_and_b64 s[4:5], s[4:5], exec
	s_or_saveexec_b64 s[6:7], s[6:7]
	v_mov_b32_e32 v6, s10
	s_xor_b64 exec, exec, s[6:7]
	s_cbranch_execz .LBB44_1486
.LBB44_3536:
	v_mov_b32_e32 v6, 0
	v_cmp_ne_u16_sdwa s[8:9], v3, v6 src0_sel:BYTE_0 src1_sel:DWORD
	s_andn2_b64 s[4:5], s[4:5], exec
	s_and_b64 s[8:9], s[8:9], exec
	s_or_b64 s[4:5], s[4:5], s[8:9]
	s_or_b64 exec, exec, s[6:7]
	s_and_saveexec_b64 s[6:7], s[4:5]
	s_cbranch_execnz .LBB44_1487
	s_branch .LBB44_1488
.LBB44_3537:
	s_movk_i32 s4, 0x80
	v_cmp_eq_u16_e32 vcc, s4, v3
	s_mov_b64 s[4:5], -1
                                        ; implicit-def: $sgpr10
	s_and_saveexec_b64 s[8:9], vcc
; %bb.3538:
	s_mov_b32 s10, 0x7f800001
	s_xor_b64 s[4:5], exec, -1
; %bb.3539:
	s_or_b64 exec, exec, s[8:9]
	s_and_b64 s[4:5], s[4:5], exec
                                        ; implicit-def: $vgpr3
	s_or_saveexec_b64 s[6:7], s[6:7]
	v_mov_b32_e32 v2, s10
	s_xor_b64 exec, exec, s[6:7]
	s_cbranch_execz .LBB44_1490
.LBB44_3540:
	v_cmp_ne_u16_e32 vcc, 0, v3
	s_andn2_b64 s[4:5], s[4:5], exec
	s_and_b64 s[8:9], vcc, exec
	v_mov_b32_e32 v2, 0
	s_or_b64 s[4:5], s[4:5], s[8:9]
	s_or_b64 exec, exec, s[6:7]
	s_and_saveexec_b64 s[6:7], s[4:5]
	s_cbranch_execnz .LBB44_1491
	s_branch .LBB44_1492
.LBB44_3541:
	s_movk_i32 s4, 0x80
	v_cmp_eq_u16_e32 vcc, s4, v3
	s_mov_b64 s[4:5], -1
                                        ; implicit-def: $sgpr10
	s_and_saveexec_b64 s[8:9], vcc
; %bb.3542:
	s_mov_b32 s10, 0x7f800001
	s_xor_b64 s[4:5], exec, -1
; %bb.3543:
	s_or_b64 exec, exec, s[8:9]
	s_and_b64 s[4:5], s[4:5], exec
                                        ; implicit-def: $vgpr3
	s_or_saveexec_b64 s[6:7], s[6:7]
	v_mov_b32_e32 v6, s10
	s_xor_b64 exec, exec, s[6:7]
	s_cbranch_execz .LBB44_1494
.LBB44_3544:
	v_cmp_ne_u16_e32 vcc, 0, v3
	s_andn2_b64 s[4:5], s[4:5], exec
	s_and_b64 s[8:9], vcc, exec
	v_mov_b32_e32 v6, 0
	s_or_b64 s[4:5], s[4:5], s[8:9]
	s_or_b64 exec, exec, s[6:7]
	s_and_saveexec_b64 s[6:7], s[4:5]
	s_cbranch_execnz .LBB44_1495
	s_branch .LBB44_1496
.LBB44_3545:
	s_movk_i32 s4, 0x80
	v_cmp_eq_u16_sdwa s[12:13], v8, s4 src0_sel:BYTE_3 src1_sel:DWORD
	s_mov_b64 s[4:5], -1
                                        ; implicit-def: $sgpr10
	s_and_saveexec_b64 s[8:9], s[12:13]
; %bb.3546:
	s_mov_b32 s10, 0x7f800001
	s_xor_b64 s[4:5], exec, -1
; %bb.3547:
	s_or_b64 exec, exec, s[8:9]
	s_and_b64 s[4:5], s[4:5], exec
	s_or_saveexec_b64 s[6:7], s[6:7]
	v_mov_b32_e32 v2, s10
	s_xor_b64 exec, exec, s[6:7]
	s_cbranch_execz .LBB44_1498
.LBB44_3548:
	v_mov_b32_e32 v2, 0
	v_cmp_ne_u16_sdwa s[8:9], v8, v2 src0_sel:BYTE_3 src1_sel:DWORD
	s_andn2_b64 s[4:5], s[4:5], exec
	s_and_b64 s[8:9], s[8:9], exec
	s_or_b64 s[4:5], s[4:5], s[8:9]
	s_or_b64 exec, exec, s[6:7]
	s_and_saveexec_b64 s[6:7], s[4:5]
	s_cbranch_execnz .LBB44_1499
	s_branch .LBB44_1500
.LBB44_3549:
	s_movk_i32 s4, 0x80
	v_cmp_eq_u16_sdwa s[12:13], v4, s4 src0_sel:BYTE_3 src1_sel:DWORD
	s_mov_b64 s[4:5], -1
                                        ; implicit-def: $sgpr10
	s_and_saveexec_b64 s[8:9], s[12:13]
; %bb.3550:
	s_mov_b32 s10, 0x7f800001
	s_xor_b64 s[4:5], exec, -1
; %bb.3551:
	s_or_b64 exec, exec, s[8:9]
	s_and_b64 s[4:5], s[4:5], exec
	s_or_saveexec_b64 s[6:7], s[6:7]
	v_mov_b32_e32 v3, s10
	s_xor_b64 exec, exec, s[6:7]
	s_cbranch_execz .LBB44_1502
.LBB44_3552:
	v_mov_b32_e32 v3, 0
	v_cmp_ne_u16_sdwa s[8:9], v4, v3 src0_sel:BYTE_3 src1_sel:DWORD
	s_andn2_b64 s[4:5], s[4:5], exec
	s_and_b64 s[8:9], s[8:9], exec
	s_or_b64 s[4:5], s[4:5], s[8:9]
	s_or_b64 exec, exec, s[6:7]
	s_and_saveexec_b64 s[6:7], s[4:5]
	s_cbranch_execnz .LBB44_1503
	s_branch .LBB44_1504
.LBB44_3553:
	s_movk_i32 s4, 0x80
	v_cmp_eq_u16_sdwa s[12:13], v9, s4 src0_sel:BYTE_0 src1_sel:DWORD
	s_mov_b64 s[4:5], -1
                                        ; implicit-def: $sgpr10
	s_and_saveexec_b64 s[8:9], s[12:13]
; %bb.3554:
	s_mov_b32 s10, 0x7f800001
	s_xor_b64 s[4:5], exec, -1
; %bb.3555:
	s_or_b64 exec, exec, s[8:9]
	s_and_b64 s[4:5], s[4:5], exec
	s_or_saveexec_b64 s[6:7], s[6:7]
	v_mov_b32_e32 v2, s10
	s_xor_b64 exec, exec, s[6:7]
	s_cbranch_execz .LBB44_1506
.LBB44_3556:
	v_mov_b32_e32 v2, 0
	v_cmp_ne_u16_sdwa s[8:9], v9, v2 src0_sel:BYTE_0 src1_sel:DWORD
	s_andn2_b64 s[4:5], s[4:5], exec
	s_and_b64 s[8:9], s[8:9], exec
	s_or_b64 s[4:5], s[4:5], s[8:9]
	s_or_b64 exec, exec, s[6:7]
	s_and_saveexec_b64 s[6:7], s[4:5]
	s_cbranch_execnz .LBB44_1507
	s_branch .LBB44_1508
.LBB44_3557:
	s_movk_i32 s4, 0x80
	v_cmp_eq_u16_sdwa s[12:13], v5, s4 src0_sel:BYTE_0 src1_sel:DWORD
	s_mov_b64 s[4:5], -1
                                        ; implicit-def: $sgpr10
	s_and_saveexec_b64 s[8:9], s[12:13]
; %bb.3558:
	s_mov_b32 s10, 0x7f800001
	s_xor_b64 s[4:5], exec, -1
; %bb.3559:
	s_or_b64 exec, exec, s[8:9]
	s_and_b64 s[4:5], s[4:5], exec
	s_or_saveexec_b64 s[6:7], s[6:7]
	v_mov_b32_e32 v3, s10
	s_xor_b64 exec, exec, s[6:7]
	s_cbranch_execz .LBB44_1510
.LBB44_3560:
	v_mov_b32_e32 v3, 0
	v_cmp_ne_u16_sdwa s[8:9], v5, v3 src0_sel:BYTE_0 src1_sel:DWORD
	s_andn2_b64 s[4:5], s[4:5], exec
	s_and_b64 s[8:9], s[8:9], exec
	s_or_b64 s[4:5], s[4:5], s[8:9]
	s_or_b64 exec, exec, s[6:7]
	s_and_saveexec_b64 s[6:7], s[4:5]
	s_cbranch_execnz .LBB44_1511
	s_branch .LBB44_1512
.LBB44_3561:
	s_movk_i32 s4, 0x80
	v_cmp_eq_u16_sdwa s[12:13], v3, s4 src0_sel:BYTE_0 src1_sel:DWORD
	s_mov_b64 s[4:5], -1
                                        ; implicit-def: $sgpr10
	s_and_saveexec_b64 s[8:9], s[12:13]
; %bb.3562:
	s_mov_b32 s10, 0x7f800001
	s_xor_b64 s[4:5], exec, -1
; %bb.3563:
	s_or_b64 exec, exec, s[8:9]
	s_and_b64 s[4:5], s[4:5], exec
	s_or_saveexec_b64 s[6:7], s[6:7]
	v_mov_b32_e32 v2, s10
	s_xor_b64 exec, exec, s[6:7]
	s_cbranch_execz .LBB44_1514
.LBB44_3564:
	v_mov_b32_e32 v2, 0
	v_cmp_ne_u16_sdwa s[8:9], v3, v2 src0_sel:BYTE_0 src1_sel:DWORD
	s_andn2_b64 s[4:5], s[4:5], exec
	s_and_b64 s[8:9], s[8:9], exec
	s_or_b64 s[4:5], s[4:5], s[8:9]
	s_or_b64 exec, exec, s[6:7]
	s_and_saveexec_b64 s[6:7], s[4:5]
	s_cbranch_execnz .LBB44_1515
	s_branch .LBB44_1516
.LBB44_3565:
	s_movk_i32 s4, 0x80
	v_cmp_eq_u16_sdwa s[12:13], v3, s4 src0_sel:BYTE_0 src1_sel:DWORD
	s_mov_b64 s[4:5], -1
                                        ; implicit-def: $sgpr10
	s_and_saveexec_b64 s[8:9], s[12:13]
; %bb.3566:
	s_mov_b32 s10, 0x7f800001
	s_xor_b64 s[4:5], exec, -1
; %bb.3567:
	s_or_b64 exec, exec, s[8:9]
	s_and_b64 s[4:5], s[4:5], exec
	s_or_saveexec_b64 s[6:7], s[6:7]
	v_mov_b32_e32 v4, s10
	s_xor_b64 exec, exec, s[6:7]
	s_cbranch_execz .LBB44_1518
.LBB44_3568:
	v_mov_b32_e32 v4, 0
	v_cmp_ne_u16_sdwa s[8:9], v3, v4 src0_sel:BYTE_0 src1_sel:DWORD
	s_andn2_b64 s[4:5], s[4:5], exec
	s_and_b64 s[8:9], s[8:9], exec
	s_or_b64 s[4:5], s[4:5], s[8:9]
	s_or_b64 exec, exec, s[6:7]
	s_and_saveexec_b64 s[6:7], s[4:5]
	s_cbranch_execnz .LBB44_1519
	s_branch .LBB44_1520
.LBB44_3569:
	s_movk_i32 s4, 0x80
	v_cmp_eq_u16_e32 vcc, s4, v3
	s_mov_b64 s[4:5], -1
                                        ; implicit-def: $sgpr10
	s_and_saveexec_b64 s[8:9], vcc
; %bb.3570:
	s_mov_b32 s10, 0x7f800001
	s_xor_b64 s[4:5], exec, -1
; %bb.3571:
	s_or_b64 exec, exec, s[8:9]
	s_and_b64 s[4:5], s[4:5], exec
                                        ; implicit-def: $vgpr3
	s_or_saveexec_b64 s[6:7], s[6:7]
	v_mov_b32_e32 v2, s10
	s_xor_b64 exec, exec, s[6:7]
	s_cbranch_execz .LBB44_1522
.LBB44_3572:
	v_cmp_ne_u16_e32 vcc, 0, v3
	s_andn2_b64 s[4:5], s[4:5], exec
	s_and_b64 s[8:9], vcc, exec
	v_mov_b32_e32 v2, 0
	s_or_b64 s[4:5], s[4:5], s[8:9]
	s_or_b64 exec, exec, s[6:7]
	s_and_saveexec_b64 s[6:7], s[4:5]
	s_cbranch_execnz .LBB44_1523
	s_branch .LBB44_1524
.LBB44_3573:
	s_movk_i32 s4, 0x80
	v_cmp_eq_u16_e32 vcc, s4, v3
	s_mov_b64 s[4:5], -1
                                        ; implicit-def: $sgpr10
	s_and_saveexec_b64 s[8:9], vcc
; %bb.3574:
	s_mov_b32 s10, 0x7f800001
	s_xor_b64 s[4:5], exec, -1
; %bb.3575:
	s_or_b64 exec, exec, s[8:9]
	s_and_b64 s[4:5], s[4:5], exec
                                        ; implicit-def: $vgpr3
	s_or_saveexec_b64 s[6:7], s[6:7]
	v_mov_b32_e32 v4, s10
	s_xor_b64 exec, exec, s[6:7]
	s_cbranch_execz .LBB44_1526
.LBB44_3576:
	v_cmp_ne_u16_e32 vcc, 0, v3
	s_andn2_b64 s[4:5], s[4:5], exec
	s_and_b64 s[8:9], vcc, exec
	v_mov_b32_e32 v4, 0
	s_or_b64 s[4:5], s[4:5], s[8:9]
	s_or_b64 exec, exec, s[6:7]
	s_and_saveexec_b64 s[6:7], s[4:5]
	s_cbranch_execnz .LBB44_1527
	s_branch .LBB44_1528
.LBB44_3577:
	s_movk_i32 s4, 0x80
	v_cmp_eq_u16_sdwa s[12:13], v9, s4 src0_sel:BYTE_3 src1_sel:DWORD
	s_mov_b64 s[4:5], -1
                                        ; implicit-def: $sgpr10
	s_and_saveexec_b64 s[8:9], s[12:13]
; %bb.3578:
	s_mov_b32 s10, 0x7f800001
	s_xor_b64 s[4:5], exec, -1
; %bb.3579:
	s_or_b64 exec, exec, s[8:9]
	s_and_b64 s[4:5], s[4:5], exec
	s_or_saveexec_b64 s[6:7], s[6:7]
	v_mov_b32_e32 v2, s10
	s_xor_b64 exec, exec, s[6:7]
	s_cbranch_execz .LBB44_1530
.LBB44_3580:
	v_mov_b32_e32 v2, 0
	v_cmp_ne_u16_sdwa s[8:9], v9, v2 src0_sel:BYTE_3 src1_sel:DWORD
	s_andn2_b64 s[4:5], s[4:5], exec
	s_and_b64 s[8:9], s[8:9], exec
	s_or_b64 s[4:5], s[4:5], s[8:9]
	s_or_b64 exec, exec, s[6:7]
	s_and_saveexec_b64 s[6:7], s[4:5]
	s_cbranch_execnz .LBB44_1531
	s_branch .LBB44_1532
.LBB44_3581:
	s_movk_i32 s4, 0x80
	v_cmp_eq_u16_sdwa s[12:13], v5, s4 src0_sel:BYTE_3 src1_sel:DWORD
	s_mov_b64 s[4:5], -1
                                        ; implicit-def: $sgpr10
	s_and_saveexec_b64 s[8:9], s[12:13]
; %bb.3582:
	s_mov_b32 s10, 0x7f800001
	s_xor_b64 s[4:5], exec, -1
; %bb.3583:
	s_or_b64 exec, exec, s[8:9]
	s_and_b64 s[4:5], s[4:5], exec
	s_or_saveexec_b64 s[6:7], s[6:7]
	v_mov_b32_e32 v3, s10
	s_xor_b64 exec, exec, s[6:7]
	s_cbranch_execz .LBB44_1534
.LBB44_3584:
	v_mov_b32_e32 v3, 0
	v_cmp_ne_u16_sdwa s[8:9], v5, v3 src0_sel:BYTE_3 src1_sel:DWORD
	s_andn2_b64 s[4:5], s[4:5], exec
	s_and_b64 s[8:9], s[8:9], exec
	s_or_b64 s[4:5], s[4:5], s[8:9]
	s_or_b64 exec, exec, s[6:7]
	s_and_saveexec_b64 s[6:7], s[4:5]
	s_cbranch_execnz .LBB44_1535
	s_branch .LBB44_1536
.LBB44_3585:
	s_movk_i32 s4, 0x80
	v_cmp_eq_u16_sdwa s[12:13], v14, s4 src0_sel:BYTE_0 src1_sel:DWORD
	s_mov_b64 s[4:5], -1
                                        ; implicit-def: $sgpr10
	s_and_saveexec_b64 s[8:9], s[12:13]
; %bb.3586:
	s_mov_b32 s10, 0x7f800001
	s_xor_b64 s[4:5], exec, -1
; %bb.3587:
	s_or_b64 exec, exec, s[8:9]
	s_and_b64 s[4:5], s[4:5], exec
	s_or_saveexec_b64 s[6:7], s[6:7]
	v_mov_b32_e32 v20, s10
	s_xor_b64 exec, exec, s[6:7]
	s_cbranch_execz .LBB44_1538
.LBB44_3588:
	v_mov_b32_e32 v20, 0
	v_cmp_ne_u16_sdwa s[8:9], v14, v20 src0_sel:BYTE_0 src1_sel:DWORD
	s_andn2_b64 s[4:5], s[4:5], exec
	s_and_b64 s[8:9], s[8:9], exec
	s_or_b64 s[4:5], s[4:5], s[8:9]
	s_or_b64 exec, exec, s[6:7]
	s_and_saveexec_b64 s[6:7], s[4:5]
	s_cbranch_execnz .LBB44_1539
	s_branch .LBB44_1540
.LBB44_3589:
	s_movk_i32 s4, 0x80
	v_cmp_eq_u16_sdwa s[12:13], v10, s4 src0_sel:BYTE_0 src1_sel:DWORD
	s_mov_b64 s[4:5], -1
                                        ; implicit-def: $sgpr10
	s_and_saveexec_b64 s[8:9], s[12:13]
; %bb.3590:
	s_mov_b32 s10, 0x7f800001
	s_xor_b64 s[4:5], exec, -1
; %bb.3591:
	s_or_b64 exec, exec, s[8:9]
	s_and_b64 s[4:5], s[4:5], exec
	s_or_saveexec_b64 s[6:7], s[6:7]
	v_mov_b32_e32 v21, s10
	s_xor_b64 exec, exec, s[6:7]
	s_cbranch_execz .LBB44_1542
.LBB44_3592:
	v_mov_b32_e32 v21, 0
	v_cmp_ne_u16_sdwa s[8:9], v10, v21 src0_sel:BYTE_0 src1_sel:DWORD
	s_andn2_b64 s[4:5], s[4:5], exec
	s_and_b64 s[8:9], s[8:9], exec
	s_or_b64 s[4:5], s[4:5], s[8:9]
	s_or_b64 exec, exec, s[6:7]
	s_and_saveexec_b64 s[6:7], s[4:5]
	s_cbranch_execnz .LBB44_1543
	s_branch .LBB44_1544
.LBB44_3593:
	s_movk_i32 s4, 0x80
	v_cmp_eq_u16_sdwa s[12:13], v21, s4 src0_sel:BYTE_0 src1_sel:DWORD
	s_mov_b64 s[4:5], -1
                                        ; implicit-def: $sgpr10
	s_and_saveexec_b64 s[8:9], s[12:13]
; %bb.3594:
	s_mov_b32 s10, 0x7f800001
	s_xor_b64 s[4:5], exec, -1
; %bb.3595:
	s_or_b64 exec, exec, s[8:9]
	s_and_b64 s[4:5], s[4:5], exec
	s_or_saveexec_b64 s[6:7], s[6:7]
	v_mov_b32_e32 v20, s10
	s_xor_b64 exec, exec, s[6:7]
	s_cbranch_execz .LBB44_1546
.LBB44_3596:
	v_mov_b32_e32 v20, 0
	v_cmp_ne_u16_sdwa s[8:9], v21, v20 src0_sel:BYTE_0 src1_sel:DWORD
	s_andn2_b64 s[4:5], s[4:5], exec
	s_and_b64 s[8:9], s[8:9], exec
	s_or_b64 s[4:5], s[4:5], s[8:9]
	s_or_b64 exec, exec, s[6:7]
	s_and_saveexec_b64 s[6:7], s[4:5]
	s_cbranch_execnz .LBB44_1547
	s_branch .LBB44_1548
.LBB44_3597:
	s_movk_i32 s4, 0x80
	v_cmp_eq_u16_sdwa s[12:13], v21, s4 src0_sel:BYTE_0 src1_sel:DWORD
	s_mov_b64 s[4:5], -1
                                        ; implicit-def: $sgpr10
	s_and_saveexec_b64 s[8:9], s[12:13]
; %bb.3598:
	s_mov_b32 s10, 0x7f800001
	s_xor_b64 s[4:5], exec, -1
; %bb.3599:
	s_or_b64 exec, exec, s[8:9]
	s_and_b64 s[4:5], s[4:5], exec
	s_or_saveexec_b64 s[6:7], s[6:7]
	v_mov_b32_e32 v22, s10
	s_xor_b64 exec, exec, s[6:7]
	s_cbranch_execz .LBB44_1550
.LBB44_3600:
	v_mov_b32_e32 v22, 0
	v_cmp_ne_u16_sdwa s[8:9], v21, v22 src0_sel:BYTE_0 src1_sel:DWORD
	s_andn2_b64 s[4:5], s[4:5], exec
	s_and_b64 s[8:9], s[8:9], exec
	s_or_b64 s[4:5], s[4:5], s[8:9]
	s_or_b64 exec, exec, s[6:7]
	s_and_saveexec_b64 s[6:7], s[4:5]
	s_cbranch_execnz .LBB44_1551
	s_branch .LBB44_1552
.LBB44_3601:
	s_movk_i32 s4, 0x80
	v_cmp_eq_u16_e32 vcc, s4, v21
	s_mov_b64 s[4:5], -1
                                        ; implicit-def: $sgpr10
	s_and_saveexec_b64 s[8:9], vcc
; %bb.3602:
	s_mov_b32 s10, 0x7f800001
	s_xor_b64 s[4:5], exec, -1
; %bb.3603:
	s_or_b64 exec, exec, s[8:9]
	s_and_b64 s[4:5], s[4:5], exec
                                        ; implicit-def: $vgpr21
	s_or_saveexec_b64 s[6:7], s[6:7]
	v_mov_b32_e32 v20, s10
	s_xor_b64 exec, exec, s[6:7]
	s_cbranch_execz .LBB44_1554
.LBB44_3604:
	v_cmp_ne_u16_e32 vcc, 0, v21
	s_andn2_b64 s[4:5], s[4:5], exec
	s_and_b64 s[8:9], vcc, exec
	v_mov_b32_e32 v20, 0
	s_or_b64 s[4:5], s[4:5], s[8:9]
	s_or_b64 exec, exec, s[6:7]
	s_and_saveexec_b64 s[6:7], s[4:5]
	s_cbranch_execnz .LBB44_1555
	s_branch .LBB44_1556
.LBB44_3605:
	s_movk_i32 s4, 0x80
	v_cmp_eq_u16_e32 vcc, s4, v21
	s_mov_b64 s[4:5], -1
                                        ; implicit-def: $sgpr10
	s_and_saveexec_b64 s[8:9], vcc
; %bb.3606:
	s_mov_b32 s10, 0x7f800001
	s_xor_b64 s[4:5], exec, -1
; %bb.3607:
	s_or_b64 exec, exec, s[8:9]
	s_and_b64 s[4:5], s[4:5], exec
                                        ; implicit-def: $vgpr21
	s_or_saveexec_b64 s[6:7], s[6:7]
	v_mov_b32_e32 v22, s10
	s_xor_b64 exec, exec, s[6:7]
	s_cbranch_execz .LBB44_1558
.LBB44_3608:
	v_cmp_ne_u16_e32 vcc, 0, v21
	s_andn2_b64 s[4:5], s[4:5], exec
	s_and_b64 s[8:9], vcc, exec
	v_mov_b32_e32 v22, 0
	s_or_b64 s[4:5], s[4:5], s[8:9]
	s_or_b64 exec, exec, s[6:7]
	s_and_saveexec_b64 s[6:7], s[4:5]
	s_cbranch_execnz .LBB44_1559
	s_branch .LBB44_1560
.LBB44_3609:
	s_movk_i32 s4, 0x80
	v_cmp_eq_u16_sdwa s[12:13], v14, s4 src0_sel:BYTE_3 src1_sel:DWORD
	s_mov_b64 s[4:5], -1
                                        ; implicit-def: $sgpr10
	s_and_saveexec_b64 s[8:9], s[12:13]
; %bb.3610:
	s_mov_b32 s10, 0x7f800001
	s_xor_b64 s[4:5], exec, -1
; %bb.3611:
	s_or_b64 exec, exec, s[8:9]
	s_and_b64 s[4:5], s[4:5], exec
	s_or_saveexec_b64 s[6:7], s[6:7]
	v_mov_b32_e32 v20, s10
	s_xor_b64 exec, exec, s[6:7]
	s_cbranch_execz .LBB44_1562
.LBB44_3612:
	v_mov_b32_e32 v20, 0
	v_cmp_ne_u16_sdwa s[8:9], v14, v20 src0_sel:BYTE_3 src1_sel:DWORD
	s_andn2_b64 s[4:5], s[4:5], exec
	s_and_b64 s[8:9], s[8:9], exec
	s_or_b64 s[4:5], s[4:5], s[8:9]
	s_or_b64 exec, exec, s[6:7]
	s_and_saveexec_b64 s[6:7], s[4:5]
	s_cbranch_execnz .LBB44_1563
	s_branch .LBB44_1564
.LBB44_3613:
	s_movk_i32 s4, 0x80
	v_cmp_eq_u16_sdwa s[12:13], v10, s4 src0_sel:BYTE_3 src1_sel:DWORD
	s_mov_b64 s[4:5], -1
                                        ; implicit-def: $sgpr10
	s_and_saveexec_b64 s[8:9], s[12:13]
; %bb.3614:
	s_mov_b32 s10, 0x7f800001
	s_xor_b64 s[4:5], exec, -1
; %bb.3615:
	s_or_b64 exec, exec, s[8:9]
	s_and_b64 s[4:5], s[4:5], exec
	s_or_saveexec_b64 s[6:7], s[6:7]
	v_mov_b32_e32 v14, s10
	s_xor_b64 exec, exec, s[6:7]
	s_cbranch_execz .LBB44_1566
.LBB44_3616:
	v_mov_b32_e32 v14, 0
	v_cmp_ne_u16_sdwa s[8:9], v10, v14 src0_sel:BYTE_3 src1_sel:DWORD
	s_andn2_b64 s[4:5], s[4:5], exec
	s_and_b64 s[8:9], s[8:9], exec
	s_or_b64 s[4:5], s[4:5], s[8:9]
	s_or_b64 exec, exec, s[6:7]
	s_and_saveexec_b64 s[6:7], s[4:5]
	s_cbranch_execnz .LBB44_1567
	s_branch .LBB44_1568
.LBB44_3617:
	s_movk_i32 s4, 0x80
	v_cmp_eq_u16_sdwa s[12:13], v15, s4 src0_sel:BYTE_0 src1_sel:DWORD
	s_mov_b64 s[4:5], -1
                                        ; implicit-def: $sgpr10
	s_and_saveexec_b64 s[8:9], s[12:13]
; %bb.3618:
	s_mov_b32 s10, 0x7f800001
	s_xor_b64 s[4:5], exec, -1
; %bb.3619:
	s_or_b64 exec, exec, s[8:9]
	s_and_b64 s[4:5], s[4:5], exec
	s_or_saveexec_b64 s[6:7], s[6:7]
	v_mov_b32_e32 v10, s10
	s_xor_b64 exec, exec, s[6:7]
	s_cbranch_execz .LBB44_1570
.LBB44_3620:
	v_mov_b32_e32 v10, 0
	v_cmp_ne_u16_sdwa s[8:9], v15, v10 src0_sel:BYTE_0 src1_sel:DWORD
	s_andn2_b64 s[4:5], s[4:5], exec
	s_and_b64 s[8:9], s[8:9], exec
	s_or_b64 s[4:5], s[4:5], s[8:9]
	s_or_b64 exec, exec, s[6:7]
	s_and_saveexec_b64 s[6:7], s[4:5]
	s_cbranch_execnz .LBB44_1571
	s_branch .LBB44_1572
.LBB44_3621:
	s_movk_i32 s4, 0x80
	v_cmp_eq_u16_sdwa s[12:13], v11, s4 src0_sel:BYTE_0 src1_sel:DWORD
	s_mov_b64 s[4:5], -1
                                        ; implicit-def: $sgpr10
	s_and_saveexec_b64 s[8:9], s[12:13]
; %bb.3622:
	s_mov_b32 s10, 0x7f800001
	s_xor_b64 s[4:5], exec, -1
; %bb.3623:
	s_or_b64 exec, exec, s[8:9]
	s_and_b64 s[4:5], s[4:5], exec
	s_or_saveexec_b64 s[6:7], s[6:7]
	v_mov_b32_e32 v14, s10
	s_xor_b64 exec, exec, s[6:7]
	s_cbranch_execz .LBB44_1574
.LBB44_3624:
	v_mov_b32_e32 v14, 0
	v_cmp_ne_u16_sdwa s[8:9], v11, v14 src0_sel:BYTE_0 src1_sel:DWORD
	s_andn2_b64 s[4:5], s[4:5], exec
	s_and_b64 s[8:9], s[8:9], exec
	s_or_b64 s[4:5], s[4:5], s[8:9]
	s_or_b64 exec, exec, s[6:7]
	s_and_saveexec_b64 s[6:7], s[4:5]
	s_cbranch_execnz .LBB44_1575
	s_branch .LBB44_1576
.LBB44_3625:
	s_movk_i32 s4, 0x80
	v_cmp_eq_u16_sdwa s[12:13], v14, s4 src0_sel:BYTE_0 src1_sel:DWORD
	s_mov_b64 s[4:5], -1
                                        ; implicit-def: $sgpr10
	s_and_saveexec_b64 s[8:9], s[12:13]
; %bb.3626:
	s_mov_b32 s10, 0x7f800001
	s_xor_b64 s[4:5], exec, -1
; %bb.3627:
	s_or_b64 exec, exec, s[8:9]
	s_and_b64 s[4:5], s[4:5], exec
	s_or_saveexec_b64 s[6:7], s[6:7]
	v_mov_b32_e32 v10, s10
	s_xor_b64 exec, exec, s[6:7]
	s_cbranch_execz .LBB44_1578
.LBB44_3628:
	v_mov_b32_e32 v10, 0
	v_cmp_ne_u16_sdwa s[8:9], v14, v10 src0_sel:BYTE_0 src1_sel:DWORD
	s_andn2_b64 s[4:5], s[4:5], exec
	s_and_b64 s[8:9], s[8:9], exec
	s_or_b64 s[4:5], s[4:5], s[8:9]
	s_or_b64 exec, exec, s[6:7]
	s_and_saveexec_b64 s[6:7], s[4:5]
	s_cbranch_execnz .LBB44_1579
	s_branch .LBB44_1580
.LBB44_3629:
	s_movk_i32 s4, 0x80
	v_cmp_eq_u16_sdwa s[12:13], v14, s4 src0_sel:BYTE_0 src1_sel:DWORD
	s_mov_b64 s[4:5], -1
                                        ; implicit-def: $sgpr10
	s_and_saveexec_b64 s[8:9], s[12:13]
; %bb.3630:
	s_mov_b32 s10, 0x7f800001
	s_xor_b64 s[4:5], exec, -1
; %bb.3631:
	s_or_b64 exec, exec, s[8:9]
	s_and_b64 s[4:5], s[4:5], exec
	s_or_saveexec_b64 s[6:7], s[6:7]
	v_mov_b32_e32 v20, s10
	s_xor_b64 exec, exec, s[6:7]
	s_cbranch_execz .LBB44_1582
.LBB44_3632:
	v_mov_b32_e32 v20, 0
	v_cmp_ne_u16_sdwa s[8:9], v14, v20 src0_sel:BYTE_0 src1_sel:DWORD
	s_andn2_b64 s[4:5], s[4:5], exec
	s_and_b64 s[8:9], s[8:9], exec
	s_or_b64 s[4:5], s[4:5], s[8:9]
	s_or_b64 exec, exec, s[6:7]
	s_and_saveexec_b64 s[6:7], s[4:5]
	s_cbranch_execnz .LBB44_1583
	s_branch .LBB44_1584
.LBB44_3633:
	s_movk_i32 s4, 0x80
	v_cmp_eq_u16_e32 vcc, s4, v14
	s_mov_b64 s[4:5], -1
                                        ; implicit-def: $sgpr10
	s_and_saveexec_b64 s[8:9], vcc
; %bb.3634:
	s_mov_b32 s10, 0x7f800001
	s_xor_b64 s[4:5], exec, -1
; %bb.3635:
	s_or_b64 exec, exec, s[8:9]
	s_and_b64 s[4:5], s[4:5], exec
                                        ; implicit-def: $vgpr14
	s_or_saveexec_b64 s[6:7], s[6:7]
	v_mov_b32_e32 v10, s10
	s_xor_b64 exec, exec, s[6:7]
	s_cbranch_execz .LBB44_1586
.LBB44_3636:
	v_cmp_ne_u16_e32 vcc, 0, v14
	s_andn2_b64 s[4:5], s[4:5], exec
	s_and_b64 s[8:9], vcc, exec
	v_mov_b32_e32 v10, 0
	s_or_b64 s[4:5], s[4:5], s[8:9]
	s_or_b64 exec, exec, s[6:7]
	s_and_saveexec_b64 s[6:7], s[4:5]
	s_cbranch_execnz .LBB44_1587
	s_branch .LBB44_1588
.LBB44_3637:
	s_movk_i32 s4, 0x80
	v_cmp_eq_u16_e32 vcc, s4, v14
	s_mov_b64 s[4:5], -1
                                        ; implicit-def: $sgpr10
	s_and_saveexec_b64 s[8:9], vcc
; %bb.3638:
	s_mov_b32 s10, 0x7f800001
	s_xor_b64 s[4:5], exec, -1
; %bb.3639:
	s_or_b64 exec, exec, s[8:9]
	s_and_b64 s[4:5], s[4:5], exec
                                        ; implicit-def: $vgpr14
	s_or_saveexec_b64 s[6:7], s[6:7]
	v_mov_b32_e32 v20, s10
	s_xor_b64 exec, exec, s[6:7]
	s_cbranch_execz .LBB44_1590
.LBB44_3640:
	v_cmp_ne_u16_e32 vcc, 0, v14
	s_andn2_b64 s[4:5], s[4:5], exec
	s_and_b64 s[8:9], vcc, exec
	v_mov_b32_e32 v20, 0
	s_or_b64 s[4:5], s[4:5], s[8:9]
	s_or_b64 exec, exec, s[6:7]
	s_and_saveexec_b64 s[6:7], s[4:5]
	s_cbranch_execnz .LBB44_1591
	s_branch .LBB44_1592
.LBB44_3641:
	s_movk_i32 s4, 0x80
	v_cmp_eq_u16_sdwa s[12:13], v15, s4 src0_sel:BYTE_3 src1_sel:DWORD
	s_mov_b64 s[4:5], -1
                                        ; implicit-def: $sgpr10
	s_and_saveexec_b64 s[8:9], s[12:13]
; %bb.3642:
	s_mov_b32 s10, 0x7f800001
	s_xor_b64 s[4:5], exec, -1
; %bb.3643:
	s_or_b64 exec, exec, s[8:9]
	s_and_b64 s[4:5], s[4:5], exec
	s_or_saveexec_b64 s[6:7], s[6:7]
	v_mov_b32_e32 v10, s10
	s_xor_b64 exec, exec, s[6:7]
	s_cbranch_execz .LBB44_1594
.LBB44_3644:
	v_mov_b32_e32 v10, 0
	v_cmp_ne_u16_sdwa s[8:9], v15, v10 src0_sel:BYTE_3 src1_sel:DWORD
	s_andn2_b64 s[4:5], s[4:5], exec
	s_and_b64 s[8:9], s[8:9], exec
	s_or_b64 s[4:5], s[4:5], s[8:9]
	s_or_b64 exec, exec, s[6:7]
	s_and_saveexec_b64 s[6:7], s[4:5]
	s_cbranch_execnz .LBB44_1595
	s_branch .LBB44_1596
.LBB44_3645:
	s_movk_i32 s4, 0x80
	v_cmp_eq_u16_sdwa s[12:13], v11, s4 src0_sel:BYTE_3 src1_sel:DWORD
	s_mov_b64 s[4:5], -1
                                        ; implicit-def: $sgpr10
	s_and_saveexec_b64 s[8:9], s[12:13]
; %bb.3646:
	s_mov_b32 s10, 0x7f800001
	s_xor_b64 s[4:5], exec, -1
; %bb.3647:
	s_or_b64 exec, exec, s[8:9]
	s_and_b64 s[4:5], s[4:5], exec
	s_or_saveexec_b64 s[6:7], s[6:7]
	v_mov_b32_e32 v14, s10
	s_xor_b64 exec, exec, s[6:7]
	s_cbranch_execz .LBB44_1598
.LBB44_3648:
	v_mov_b32_e32 v14, 0
	v_cmp_ne_u16_sdwa s[8:9], v11, v14 src0_sel:BYTE_3 src1_sel:DWORD
	s_andn2_b64 s[4:5], s[4:5], exec
	s_and_b64 s[8:9], s[8:9], exec
	s_or_b64 s[4:5], s[4:5], s[8:9]
	s_or_b64 exec, exec, s[6:7]
	s_and_saveexec_b64 s[6:7], s[4:5]
	s_cbranch_execnz .LBB44_1599
	s_branch .LBB44_1600
.LBB44_3649:
	s_movk_i32 s4, 0x80
	v_cmp_eq_u16_sdwa s[12:13], v16, s4 src0_sel:BYTE_0 src1_sel:DWORD
	s_mov_b64 s[4:5], -1
                                        ; implicit-def: $sgpr10
	s_and_saveexec_b64 s[8:9], s[12:13]
; %bb.3650:
	s_mov_b32 s10, 0x7f800001
	s_xor_b64 s[4:5], exec, -1
; %bb.3651:
	s_or_b64 exec, exec, s[8:9]
	s_and_b64 s[4:5], s[4:5], exec
	s_or_saveexec_b64 s[6:7], s[6:7]
	v_mov_b32_e32 v10, s10
	s_xor_b64 exec, exec, s[6:7]
	s_cbranch_execz .LBB44_1602
.LBB44_3652:
	v_mov_b32_e32 v10, 0
	v_cmp_ne_u16_sdwa s[8:9], v16, v10 src0_sel:BYTE_0 src1_sel:DWORD
	s_andn2_b64 s[4:5], s[4:5], exec
	s_and_b64 s[8:9], s[8:9], exec
	s_or_b64 s[4:5], s[4:5], s[8:9]
	s_or_b64 exec, exec, s[6:7]
	s_and_saveexec_b64 s[6:7], s[4:5]
	s_cbranch_execnz .LBB44_1603
	s_branch .LBB44_1604
.LBB44_3653:
	s_movk_i32 s4, 0x80
	v_cmp_eq_u16_sdwa s[12:13], v12, s4 src0_sel:BYTE_0 src1_sel:DWORD
	s_mov_b64 s[4:5], -1
                                        ; implicit-def: $sgpr10
	s_and_saveexec_b64 s[8:9], s[12:13]
; %bb.3654:
	s_mov_b32 s10, 0x7f800001
	s_xor_b64 s[4:5], exec, -1
; %bb.3655:
	s_or_b64 exec, exec, s[8:9]
	s_and_b64 s[4:5], s[4:5], exec
	s_or_saveexec_b64 s[6:7], s[6:7]
	v_mov_b32_e32 v11, s10
	s_xor_b64 exec, exec, s[6:7]
	s_cbranch_execz .LBB44_1606
.LBB44_3656:
	v_mov_b32_e32 v11, 0
	v_cmp_ne_u16_sdwa s[8:9], v12, v11 src0_sel:BYTE_0 src1_sel:DWORD
	s_andn2_b64 s[4:5], s[4:5], exec
	s_and_b64 s[8:9], s[8:9], exec
	s_or_b64 s[4:5], s[4:5], s[8:9]
	s_or_b64 exec, exec, s[6:7]
	s_and_saveexec_b64 s[6:7], s[4:5]
	s_cbranch_execnz .LBB44_1607
	s_branch .LBB44_1608
.LBB44_3657:
	s_movk_i32 s4, 0x80
	v_cmp_eq_u16_sdwa s[12:13], v11, s4 src0_sel:BYTE_0 src1_sel:DWORD
	s_mov_b64 s[4:5], -1
                                        ; implicit-def: $sgpr10
	s_and_saveexec_b64 s[8:9], s[12:13]
; %bb.3658:
	s_mov_b32 s10, 0x7f800001
	s_xor_b64 s[4:5], exec, -1
; %bb.3659:
	s_or_b64 exec, exec, s[8:9]
	s_and_b64 s[4:5], s[4:5], exec
	s_or_saveexec_b64 s[6:7], s[6:7]
	v_mov_b32_e32 v10, s10
	s_xor_b64 exec, exec, s[6:7]
	s_cbranch_execz .LBB44_1610
.LBB44_3660:
	v_mov_b32_e32 v10, 0
	v_cmp_ne_u16_sdwa s[8:9], v11, v10 src0_sel:BYTE_0 src1_sel:DWORD
	s_andn2_b64 s[4:5], s[4:5], exec
	s_and_b64 s[8:9], s[8:9], exec
	s_or_b64 s[4:5], s[4:5], s[8:9]
	s_or_b64 exec, exec, s[6:7]
	s_and_saveexec_b64 s[6:7], s[4:5]
	s_cbranch_execnz .LBB44_1611
	s_branch .LBB44_1612
.LBB44_3661:
	s_movk_i32 s4, 0x80
	v_cmp_eq_u16_sdwa s[12:13], v11, s4 src0_sel:BYTE_0 src1_sel:DWORD
	s_mov_b64 s[4:5], -1
                                        ; implicit-def: $sgpr10
	s_and_saveexec_b64 s[8:9], s[12:13]
; %bb.3662:
	s_mov_b32 s10, 0x7f800001
	s_xor_b64 s[4:5], exec, -1
; %bb.3663:
	s_or_b64 exec, exec, s[8:9]
	s_and_b64 s[4:5], s[4:5], exec
	s_or_saveexec_b64 s[6:7], s[6:7]
	v_mov_b32_e32 v14, s10
	s_xor_b64 exec, exec, s[6:7]
	s_cbranch_execz .LBB44_1614
.LBB44_3664:
	v_mov_b32_e32 v14, 0
	v_cmp_ne_u16_sdwa s[8:9], v11, v14 src0_sel:BYTE_0 src1_sel:DWORD
	s_andn2_b64 s[4:5], s[4:5], exec
	s_and_b64 s[8:9], s[8:9], exec
	s_or_b64 s[4:5], s[4:5], s[8:9]
	s_or_b64 exec, exec, s[6:7]
	s_and_saveexec_b64 s[6:7], s[4:5]
	s_cbranch_execnz .LBB44_1615
	s_branch .LBB44_1616
.LBB44_3665:
	s_movk_i32 s4, 0x80
	v_cmp_eq_u16_e32 vcc, s4, v11
	s_mov_b64 s[4:5], -1
                                        ; implicit-def: $sgpr10
	s_and_saveexec_b64 s[8:9], vcc
; %bb.3666:
	s_mov_b32 s10, 0x7f800001
	s_xor_b64 s[4:5], exec, -1
; %bb.3667:
	s_or_b64 exec, exec, s[8:9]
	s_and_b64 s[4:5], s[4:5], exec
                                        ; implicit-def: $vgpr11
	s_or_saveexec_b64 s[6:7], s[6:7]
	v_mov_b32_e32 v10, s10
	s_xor_b64 exec, exec, s[6:7]
	s_cbranch_execz .LBB44_1618
.LBB44_3668:
	v_cmp_ne_u16_e32 vcc, 0, v11
	s_andn2_b64 s[4:5], s[4:5], exec
	s_and_b64 s[8:9], vcc, exec
	v_mov_b32_e32 v10, 0
	s_or_b64 s[4:5], s[4:5], s[8:9]
	s_or_b64 exec, exec, s[6:7]
	s_and_saveexec_b64 s[6:7], s[4:5]
	s_cbranch_execnz .LBB44_1619
	s_branch .LBB44_1620
.LBB44_3669:
	s_movk_i32 s4, 0x80
	v_cmp_eq_u16_e32 vcc, s4, v11
	s_mov_b64 s[4:5], -1
                                        ; implicit-def: $sgpr10
	s_and_saveexec_b64 s[8:9], vcc
; %bb.3670:
	s_mov_b32 s10, 0x7f800001
	s_xor_b64 s[4:5], exec, -1
; %bb.3671:
	s_or_b64 exec, exec, s[8:9]
	s_and_b64 s[4:5], s[4:5], exec
                                        ; implicit-def: $vgpr11
	s_or_saveexec_b64 s[6:7], s[6:7]
	v_mov_b32_e32 v14, s10
	s_xor_b64 exec, exec, s[6:7]
	s_cbranch_execz .LBB44_1622
.LBB44_3672:
	v_cmp_ne_u16_e32 vcc, 0, v11
	s_andn2_b64 s[4:5], s[4:5], exec
	s_and_b64 s[8:9], vcc, exec
	v_mov_b32_e32 v14, 0
	s_or_b64 s[4:5], s[4:5], s[8:9]
	s_or_b64 exec, exec, s[6:7]
	s_and_saveexec_b64 s[6:7], s[4:5]
	s_cbranch_execnz .LBB44_1623
	s_branch .LBB44_1624
.LBB44_3673:
	s_movk_i32 s4, 0x80
	v_cmp_eq_u16_sdwa s[12:13], v16, s4 src0_sel:BYTE_3 src1_sel:DWORD
	s_mov_b64 s[4:5], -1
                                        ; implicit-def: $sgpr10
	s_and_saveexec_b64 s[8:9], s[12:13]
; %bb.3674:
	s_mov_b32 s10, 0x7f800001
	s_xor_b64 s[4:5], exec, -1
; %bb.3675:
	s_or_b64 exec, exec, s[8:9]
	s_and_b64 s[4:5], s[4:5], exec
	s_or_saveexec_b64 s[6:7], s[6:7]
	v_mov_b32_e32 v10, s10
	s_xor_b64 exec, exec, s[6:7]
	s_cbranch_execz .LBB44_1626
.LBB44_3676:
	v_mov_b32_e32 v10, 0
	v_cmp_ne_u16_sdwa s[8:9], v16, v10 src0_sel:BYTE_3 src1_sel:DWORD
	s_andn2_b64 s[4:5], s[4:5], exec
	s_and_b64 s[8:9], s[8:9], exec
	s_or_b64 s[4:5], s[4:5], s[8:9]
	s_or_b64 exec, exec, s[6:7]
	s_and_saveexec_b64 s[6:7], s[4:5]
	s_cbranch_execnz .LBB44_1627
	s_branch .LBB44_1628
.LBB44_3677:
	s_movk_i32 s4, 0x80
	v_cmp_eq_u16_sdwa s[12:13], v12, s4 src0_sel:BYTE_3 src1_sel:DWORD
	s_mov_b64 s[4:5], -1
                                        ; implicit-def: $sgpr10
	s_and_saveexec_b64 s[8:9], s[12:13]
; %bb.3678:
	s_mov_b32 s10, 0x7f800001
	s_xor_b64 s[4:5], exec, -1
; %bb.3679:
	s_or_b64 exec, exec, s[8:9]
	s_and_b64 s[4:5], s[4:5], exec
	s_or_saveexec_b64 s[6:7], s[6:7]
	v_mov_b32_e32 v11, s10
	s_xor_b64 exec, exec, s[6:7]
	s_cbranch_execz .LBB44_1630
.LBB44_3680:
	v_mov_b32_e32 v11, 0
	v_cmp_ne_u16_sdwa s[8:9], v12, v11 src0_sel:BYTE_3 src1_sel:DWORD
	s_andn2_b64 s[4:5], s[4:5], exec
	s_and_b64 s[8:9], s[8:9], exec
	s_or_b64 s[4:5], s[4:5], s[8:9]
	s_or_b64 exec, exec, s[6:7]
	s_and_saveexec_b64 s[6:7], s[4:5]
	s_cbranch_execnz .LBB44_1631
	s_branch .LBB44_1632
.LBB44_3681:
	s_movk_i32 s4, 0x80
	v_cmp_eq_u16_sdwa s[12:13], v17, s4 src0_sel:BYTE_0 src1_sel:DWORD
	s_mov_b64 s[4:5], -1
                                        ; implicit-def: $sgpr10
	s_and_saveexec_b64 s[8:9], s[12:13]
; %bb.3682:
	s_mov_b32 s10, 0x7f800001
	s_xor_b64 s[4:5], exec, -1
; %bb.3683:
	s_or_b64 exec, exec, s[8:9]
	s_and_b64 s[4:5], s[4:5], exec
	s_or_saveexec_b64 s[6:7], s[6:7]
	v_mov_b32_e32 v10, s10
	s_xor_b64 exec, exec, s[6:7]
	s_cbranch_execz .LBB44_1634
.LBB44_3684:
	v_mov_b32_e32 v10, 0
	v_cmp_ne_u16_sdwa s[8:9], v17, v10 src0_sel:BYTE_0 src1_sel:DWORD
	s_andn2_b64 s[4:5], s[4:5], exec
	s_and_b64 s[8:9], s[8:9], exec
	s_or_b64 s[4:5], s[4:5], s[8:9]
	s_or_b64 exec, exec, s[6:7]
	s_and_saveexec_b64 s[6:7], s[4:5]
	s_cbranch_execnz .LBB44_1635
	s_branch .LBB44_1636
.LBB44_3685:
	s_movk_i32 s4, 0x80
	v_cmp_eq_u16_sdwa s[12:13], v13, s4 src0_sel:BYTE_0 src1_sel:DWORD
	s_mov_b64 s[4:5], -1
                                        ; implicit-def: $sgpr10
	s_and_saveexec_b64 s[8:9], s[12:13]
; %bb.3686:
	s_mov_b32 s10, 0x7f800001
	s_xor_b64 s[4:5], exec, -1
; %bb.3687:
	s_or_b64 exec, exec, s[8:9]
	s_and_b64 s[4:5], s[4:5], exec
	s_or_saveexec_b64 s[6:7], s[6:7]
	v_mov_b32_e32 v11, s10
	s_xor_b64 exec, exec, s[6:7]
	s_cbranch_execz .LBB44_1638
.LBB44_3688:
	v_mov_b32_e32 v11, 0
	v_cmp_ne_u16_sdwa s[8:9], v13, v11 src0_sel:BYTE_0 src1_sel:DWORD
	s_andn2_b64 s[4:5], s[4:5], exec
	s_and_b64 s[8:9], s[8:9], exec
	s_or_b64 s[4:5], s[4:5], s[8:9]
	s_or_b64 exec, exec, s[6:7]
	s_and_saveexec_b64 s[6:7], s[4:5]
	s_cbranch_execnz .LBB44_1639
	s_branch .LBB44_1640
.LBB44_3689:
	s_movk_i32 s4, 0x80
	v_cmp_eq_u16_sdwa s[12:13], v11, s4 src0_sel:BYTE_0 src1_sel:DWORD
	s_mov_b64 s[4:5], -1
                                        ; implicit-def: $sgpr10
	s_and_saveexec_b64 s[8:9], s[12:13]
; %bb.3690:
	s_mov_b32 s10, 0x7f800001
	s_xor_b64 s[4:5], exec, -1
; %bb.3691:
	s_or_b64 exec, exec, s[8:9]
	s_and_b64 s[4:5], s[4:5], exec
	s_or_saveexec_b64 s[6:7], s[6:7]
	v_mov_b32_e32 v10, s10
	s_xor_b64 exec, exec, s[6:7]
	s_cbranch_execz .LBB44_1642
.LBB44_3692:
	v_mov_b32_e32 v10, 0
	v_cmp_ne_u16_sdwa s[8:9], v11, v10 src0_sel:BYTE_0 src1_sel:DWORD
	s_andn2_b64 s[4:5], s[4:5], exec
	s_and_b64 s[8:9], s[8:9], exec
	s_or_b64 s[4:5], s[4:5], s[8:9]
	s_or_b64 exec, exec, s[6:7]
	s_and_saveexec_b64 s[6:7], s[4:5]
	s_cbranch_execnz .LBB44_1643
	s_branch .LBB44_1644
.LBB44_3693:
	s_movk_i32 s4, 0x80
	v_cmp_eq_u16_sdwa s[12:13], v11, s4 src0_sel:BYTE_0 src1_sel:DWORD
	s_mov_b64 s[4:5], -1
                                        ; implicit-def: $sgpr10
	s_and_saveexec_b64 s[8:9], s[12:13]
; %bb.3694:
	s_mov_b32 s10, 0x7f800001
	s_xor_b64 s[4:5], exec, -1
; %bb.3695:
	s_or_b64 exec, exec, s[8:9]
	s_and_b64 s[4:5], s[4:5], exec
	s_or_saveexec_b64 s[6:7], s[6:7]
	v_mov_b32_e32 v12, s10
	s_xor_b64 exec, exec, s[6:7]
	s_cbranch_execz .LBB44_1646
.LBB44_3696:
	v_mov_b32_e32 v12, 0
	v_cmp_ne_u16_sdwa s[8:9], v11, v12 src0_sel:BYTE_0 src1_sel:DWORD
	s_andn2_b64 s[4:5], s[4:5], exec
	s_and_b64 s[8:9], s[8:9], exec
	s_or_b64 s[4:5], s[4:5], s[8:9]
	s_or_b64 exec, exec, s[6:7]
	s_and_saveexec_b64 s[6:7], s[4:5]
	s_cbranch_execnz .LBB44_1647
	s_branch .LBB44_1648
.LBB44_3697:
	s_movk_i32 s4, 0x80
	v_cmp_eq_u16_e32 vcc, s4, v11
	s_mov_b64 s[4:5], -1
                                        ; implicit-def: $sgpr10
	s_and_saveexec_b64 s[8:9], vcc
; %bb.3698:
	s_mov_b32 s10, 0x7f800001
	s_xor_b64 s[4:5], exec, -1
; %bb.3699:
	s_or_b64 exec, exec, s[8:9]
	s_and_b64 s[4:5], s[4:5], exec
                                        ; implicit-def: $vgpr11
	s_or_saveexec_b64 s[6:7], s[6:7]
	v_mov_b32_e32 v10, s10
	s_xor_b64 exec, exec, s[6:7]
	s_cbranch_execz .LBB44_1650
.LBB44_3700:
	v_cmp_ne_u16_e32 vcc, 0, v11
	s_andn2_b64 s[4:5], s[4:5], exec
	s_and_b64 s[8:9], vcc, exec
	v_mov_b32_e32 v10, 0
	s_or_b64 s[4:5], s[4:5], s[8:9]
	s_or_b64 exec, exec, s[6:7]
	s_and_saveexec_b64 s[6:7], s[4:5]
	s_cbranch_execnz .LBB44_1651
	s_branch .LBB44_1652
.LBB44_3701:
	s_movk_i32 s4, 0x80
	v_cmp_eq_u16_e32 vcc, s4, v11
	s_mov_b64 s[4:5], -1
                                        ; implicit-def: $sgpr10
	s_and_saveexec_b64 s[8:9], vcc
; %bb.3702:
	s_mov_b32 s10, 0x7f800001
	s_xor_b64 s[4:5], exec, -1
; %bb.3703:
	s_or_b64 exec, exec, s[8:9]
	s_and_b64 s[4:5], s[4:5], exec
                                        ; implicit-def: $vgpr11
	s_or_saveexec_b64 s[6:7], s[6:7]
	v_mov_b32_e32 v12, s10
	s_xor_b64 exec, exec, s[6:7]
	s_cbranch_execz .LBB44_1654
.LBB44_3704:
	v_cmp_ne_u16_e32 vcc, 0, v11
	s_andn2_b64 s[4:5], s[4:5], exec
	s_and_b64 s[8:9], vcc, exec
	v_mov_b32_e32 v12, 0
	s_or_b64 s[4:5], s[4:5], s[8:9]
	s_or_b64 exec, exec, s[6:7]
	s_and_saveexec_b64 s[6:7], s[4:5]
	s_cbranch_execnz .LBB44_1655
	s_branch .LBB44_1656
.LBB44_3705:
	s_movk_i32 s4, 0x80
	v_cmp_eq_u16_sdwa s[12:13], v17, s4 src0_sel:BYTE_3 src1_sel:DWORD
	s_mov_b64 s[4:5], -1
                                        ; implicit-def: $sgpr10
	s_and_saveexec_b64 s[8:9], s[12:13]
; %bb.3706:
	s_mov_b32 s10, 0x7f800001
	s_xor_b64 s[4:5], exec, -1
; %bb.3707:
	s_or_b64 exec, exec, s[8:9]
	s_and_b64 s[4:5], s[4:5], exec
	s_or_saveexec_b64 s[6:7], s[6:7]
	v_mov_b32_e32 v10, s10
	s_xor_b64 exec, exec, s[6:7]
	s_cbranch_execz .LBB44_1658
.LBB44_3708:
	v_mov_b32_e32 v10, 0
	v_cmp_ne_u16_sdwa s[8:9], v17, v10 src0_sel:BYTE_3 src1_sel:DWORD
	s_andn2_b64 s[4:5], s[4:5], exec
	s_and_b64 s[8:9], s[8:9], exec
	s_or_b64 s[4:5], s[4:5], s[8:9]
	s_or_b64 exec, exec, s[6:7]
	s_and_saveexec_b64 s[6:7], s[4:5]
	s_cbranch_execnz .LBB44_1659
	s_branch .LBB44_1660
.LBB44_3709:
	s_movk_i32 s4, 0x80
	v_cmp_eq_u16_sdwa s[12:13], v13, s4 src0_sel:BYTE_3 src1_sel:DWORD
	s_mov_b64 s[4:5], -1
                                        ; implicit-def: $sgpr10
	s_and_saveexec_b64 s[8:9], s[12:13]
; %bb.3710:
	s_mov_b32 s10, 0x7f800001
	s_xor_b64 s[4:5], exec, -1
; %bb.3711:
	s_or_b64 exec, exec, s[8:9]
	s_and_b64 s[4:5], s[4:5], exec
	s_or_saveexec_b64 s[6:7], s[6:7]
	v_mov_b32_e32 v11, s10
	s_xor_b64 exec, exec, s[6:7]
	s_cbranch_execz .LBB44_1662
.LBB44_3712:
	v_mov_b32_e32 v11, 0
	v_cmp_ne_u16_sdwa s[8:9], v13, v11 src0_sel:BYTE_3 src1_sel:DWORD
	s_andn2_b64 s[4:5], s[4:5], exec
	s_and_b64 s[8:9], s[8:9], exec
	s_or_b64 s[4:5], s[4:5], s[8:9]
	s_or_b64 exec, exec, s[6:7]
	s_and_saveexec_b64 s[6:7], s[4:5]
	s_cbranch_execnz .LBB44_1663
	s_branch .LBB44_1664
.LBB44_3713:
	s_movk_i32 s4, 0x80
	v_cmp_eq_u16_sdwa s[12:13], v6, s4 src0_sel:BYTE_0 src1_sel:DWORD
	s_mov_b64 s[4:5], -1
                                        ; implicit-def: $sgpr10
	s_and_saveexec_b64 s[8:9], s[12:13]
; %bb.3714:
	s_mov_b32 s10, 0x7f800001
	s_xor_b64 s[4:5], exec, -1
; %bb.3715:
	s_or_b64 exec, exec, s[8:9]
	s_and_b64 s[4:5], s[4:5], exec
	s_or_saveexec_b64 s[6:7], s[6:7]
	v_mov_b32_e32 v10, s10
	s_xor_b64 exec, exec, s[6:7]
	s_cbranch_execz .LBB44_1666
.LBB44_3716:
	v_mov_b32_e32 v10, 0
	v_cmp_ne_u16_sdwa s[8:9], v6, v10 src0_sel:BYTE_0 src1_sel:DWORD
	s_andn2_b64 s[4:5], s[4:5], exec
	s_and_b64 s[8:9], s[8:9], exec
	s_or_b64 s[4:5], s[4:5], s[8:9]
	s_or_b64 exec, exec, s[6:7]
	s_and_saveexec_b64 s[6:7], s[4:5]
	s_cbranch_execnz .LBB44_1667
	s_branch .LBB44_1668
.LBB44_3717:
	s_movk_i32 s4, 0x80
	v_cmp_eq_u16_sdwa s[12:13], v2, s4 src0_sel:BYTE_0 src1_sel:DWORD
	s_mov_b64 s[4:5], -1
                                        ; implicit-def: $sgpr10
	s_and_saveexec_b64 s[8:9], s[12:13]
; %bb.3718:
	s_mov_b32 s10, 0x7f800001
	s_xor_b64 s[4:5], exec, -1
; %bb.3719:
	s_or_b64 exec, exec, s[8:9]
	s_and_b64 s[4:5], s[4:5], exec
	s_or_saveexec_b64 s[6:7], s[6:7]
	v_mov_b32_e32 v11, s10
	s_xor_b64 exec, exec, s[6:7]
	s_cbranch_execz .LBB44_1670
.LBB44_3720:
	v_mov_b32_e32 v11, 0
	v_cmp_ne_u16_sdwa s[8:9], v2, v11 src0_sel:BYTE_0 src1_sel:DWORD
	s_andn2_b64 s[4:5], s[4:5], exec
	s_and_b64 s[8:9], s[8:9], exec
	s_or_b64 s[4:5], s[4:5], s[8:9]
	s_or_b64 exec, exec, s[6:7]
	s_and_saveexec_b64 s[6:7], s[4:5]
	s_cbranch_execnz .LBB44_1671
	s_branch .LBB44_1672
.LBB44_3721:
	s_movk_i32 s4, 0x80
	v_cmp_eq_u16_sdwa s[12:13], v11, s4 src0_sel:BYTE_0 src1_sel:DWORD
	s_mov_b64 s[4:5], -1
                                        ; implicit-def: $sgpr10
	s_and_saveexec_b64 s[8:9], s[12:13]
; %bb.3722:
	s_mov_b32 s10, 0x7f800001
	s_xor_b64 s[4:5], exec, -1
; %bb.3723:
	s_or_b64 exec, exec, s[8:9]
	s_and_b64 s[4:5], s[4:5], exec
	s_or_saveexec_b64 s[6:7], s[6:7]
	v_mov_b32_e32 v10, s10
	s_xor_b64 exec, exec, s[6:7]
	s_cbranch_execz .LBB44_1674
.LBB44_3724:
	v_mov_b32_e32 v10, 0
	v_cmp_ne_u16_sdwa s[8:9], v11, v10 src0_sel:BYTE_0 src1_sel:DWORD
	s_andn2_b64 s[4:5], s[4:5], exec
	s_and_b64 s[8:9], s[8:9], exec
	s_or_b64 s[4:5], s[4:5], s[8:9]
	s_or_b64 exec, exec, s[6:7]
	s_and_saveexec_b64 s[6:7], s[4:5]
	s_cbranch_execnz .LBB44_1675
	s_branch .LBB44_1676
.LBB44_3725:
	s_movk_i32 s4, 0x80
	v_cmp_eq_u16_sdwa s[12:13], v11, s4 src0_sel:BYTE_0 src1_sel:DWORD
	s_mov_b64 s[4:5], -1
                                        ; implicit-def: $sgpr10
	s_and_saveexec_b64 s[8:9], s[12:13]
; %bb.3726:
	s_mov_b32 s10, 0x7f800001
	s_xor_b64 s[4:5], exec, -1
; %bb.3727:
	s_or_b64 exec, exec, s[8:9]
	s_and_b64 s[4:5], s[4:5], exec
	s_or_saveexec_b64 s[6:7], s[6:7]
	v_mov_b32_e32 v12, s10
	s_xor_b64 exec, exec, s[6:7]
	s_cbranch_execz .LBB44_1678
.LBB44_3728:
	v_mov_b32_e32 v12, 0
	v_cmp_ne_u16_sdwa s[8:9], v11, v12 src0_sel:BYTE_0 src1_sel:DWORD
	s_andn2_b64 s[4:5], s[4:5], exec
	s_and_b64 s[8:9], s[8:9], exec
	s_or_b64 s[4:5], s[4:5], s[8:9]
	s_or_b64 exec, exec, s[6:7]
	s_and_saveexec_b64 s[6:7], s[4:5]
	s_cbranch_execnz .LBB44_1679
	s_branch .LBB44_1680
.LBB44_3729:
	s_movk_i32 s4, 0x80
	v_cmp_eq_u16_e32 vcc, s4, v11
	s_mov_b64 s[4:5], -1
                                        ; implicit-def: $sgpr10
	s_and_saveexec_b64 s[8:9], vcc
; %bb.3730:
	s_mov_b32 s10, 0x7f800001
	s_xor_b64 s[4:5], exec, -1
; %bb.3731:
	s_or_b64 exec, exec, s[8:9]
	s_and_b64 s[4:5], s[4:5], exec
                                        ; implicit-def: $vgpr11
	s_or_saveexec_b64 s[6:7], s[6:7]
	v_mov_b32_e32 v10, s10
	s_xor_b64 exec, exec, s[6:7]
	s_cbranch_execz .LBB44_1682
.LBB44_3732:
	v_cmp_ne_u16_e32 vcc, 0, v11
	s_andn2_b64 s[4:5], s[4:5], exec
	s_and_b64 s[8:9], vcc, exec
	v_mov_b32_e32 v10, 0
	s_or_b64 s[4:5], s[4:5], s[8:9]
	s_or_b64 exec, exec, s[6:7]
	s_and_saveexec_b64 s[6:7], s[4:5]
	s_cbranch_execnz .LBB44_1683
	s_branch .LBB44_1684
.LBB44_3733:
	s_movk_i32 s4, 0x80
	v_cmp_eq_u16_e32 vcc, s4, v11
	s_mov_b64 s[4:5], -1
                                        ; implicit-def: $sgpr10
	s_and_saveexec_b64 s[8:9], vcc
; %bb.3734:
	s_mov_b32 s10, 0x7f800001
	s_xor_b64 s[4:5], exec, -1
; %bb.3735:
	s_or_b64 exec, exec, s[8:9]
	s_and_b64 s[4:5], s[4:5], exec
                                        ; implicit-def: $vgpr11
	s_or_saveexec_b64 s[6:7], s[6:7]
	v_mov_b32_e32 v12, s10
	s_xor_b64 exec, exec, s[6:7]
	s_cbranch_execz .LBB44_1686
.LBB44_3736:
	v_cmp_ne_u16_e32 vcc, 0, v11
	s_andn2_b64 s[4:5], s[4:5], exec
	s_and_b64 s[8:9], vcc, exec
	v_mov_b32_e32 v12, 0
	s_or_b64 s[4:5], s[4:5], s[8:9]
	s_or_b64 exec, exec, s[6:7]
	s_and_saveexec_b64 s[6:7], s[4:5]
	s_cbranch_execnz .LBB44_1687
	s_branch .LBB44_1688
.LBB44_3737:
	s_movk_i32 s4, 0x80
	v_cmp_eq_u16_sdwa s[12:13], v6, s4 src0_sel:BYTE_3 src1_sel:DWORD
	s_mov_b64 s[4:5], -1
                                        ; implicit-def: $sgpr10
	s_and_saveexec_b64 s[8:9], s[12:13]
; %bb.3738:
	s_mov_b32 s10, 0x7f800001
	s_xor_b64 s[4:5], exec, -1
; %bb.3739:
	s_or_b64 exec, exec, s[8:9]
	s_and_b64 s[4:5], s[4:5], exec
	s_or_saveexec_b64 s[6:7], s[6:7]
	v_mov_b32_e32 v10, s10
	s_xor_b64 exec, exec, s[6:7]
	s_cbranch_execz .LBB44_1690
.LBB44_3740:
	v_mov_b32_e32 v10, 0
	v_cmp_ne_u16_sdwa s[8:9], v6, v10 src0_sel:BYTE_3 src1_sel:DWORD
	s_andn2_b64 s[4:5], s[4:5], exec
	s_and_b64 s[8:9], s[8:9], exec
	s_or_b64 s[4:5], s[4:5], s[8:9]
	s_or_b64 exec, exec, s[6:7]
	s_and_saveexec_b64 s[6:7], s[4:5]
	s_cbranch_execnz .LBB44_1691
	s_branch .LBB44_1692
.LBB44_3741:
	s_movk_i32 s4, 0x80
	v_cmp_eq_u16_sdwa s[12:13], v2, s4 src0_sel:BYTE_3 src1_sel:DWORD
	s_mov_b64 s[4:5], -1
                                        ; implicit-def: $sgpr10
	s_and_saveexec_b64 s[8:9], s[12:13]
; %bb.3742:
	s_mov_b32 s10, 0x7f800001
	s_xor_b64 s[4:5], exec, -1
; %bb.3743:
	s_or_b64 exec, exec, s[8:9]
	s_and_b64 s[4:5], s[4:5], exec
	s_or_saveexec_b64 s[6:7], s[6:7]
	v_mov_b32_e32 v6, s10
	s_xor_b64 exec, exec, s[6:7]
	s_cbranch_execz .LBB44_1694
.LBB44_3744:
	v_mov_b32_e32 v6, 0
	v_cmp_ne_u16_sdwa s[8:9], v2, v6 src0_sel:BYTE_3 src1_sel:DWORD
	s_andn2_b64 s[4:5], s[4:5], exec
	s_and_b64 s[8:9], s[8:9], exec
	s_or_b64 s[4:5], s[4:5], s[8:9]
	s_or_b64 exec, exec, s[6:7]
	s_and_saveexec_b64 s[6:7], s[4:5]
	s_cbranch_execnz .LBB44_1695
	s_branch .LBB44_1696
.LBB44_3745:
	s_movk_i32 s4, 0x80
	v_cmp_eq_u16_sdwa s[12:13], v7, s4 src0_sel:BYTE_0 src1_sel:DWORD
	s_mov_b64 s[4:5], -1
                                        ; implicit-def: $sgpr10
	s_and_saveexec_b64 s[8:9], s[12:13]
; %bb.3746:
	s_mov_b32 s10, 0x7f800001
	s_xor_b64 s[4:5], exec, -1
; %bb.3747:
	s_or_b64 exec, exec, s[8:9]
	s_and_b64 s[4:5], s[4:5], exec
	s_or_saveexec_b64 s[6:7], s[6:7]
	v_mov_b32_e32 v2, s10
	s_xor_b64 exec, exec, s[6:7]
	s_cbranch_execz .LBB44_1698
.LBB44_3748:
	v_mov_b32_e32 v2, 0
	v_cmp_ne_u16_sdwa s[8:9], v7, v2 src0_sel:BYTE_0 src1_sel:DWORD
	s_andn2_b64 s[4:5], s[4:5], exec
	s_and_b64 s[8:9], s[8:9], exec
	s_or_b64 s[4:5], s[4:5], s[8:9]
	s_or_b64 exec, exec, s[6:7]
	s_and_saveexec_b64 s[6:7], s[4:5]
	s_cbranch_execnz .LBB44_1699
	s_branch .LBB44_1700
.LBB44_3749:
	s_movk_i32 s4, 0x80
	v_cmp_eq_u16_sdwa s[12:13], v3, s4 src0_sel:BYTE_0 src1_sel:DWORD
	s_mov_b64 s[4:5], -1
                                        ; implicit-def: $sgpr10
	s_and_saveexec_b64 s[8:9], s[12:13]
; %bb.3750:
	s_mov_b32 s10, 0x7f800001
	s_xor_b64 s[4:5], exec, -1
; %bb.3751:
	s_or_b64 exec, exec, s[8:9]
	s_and_b64 s[4:5], s[4:5], exec
	s_or_saveexec_b64 s[6:7], s[6:7]
	v_mov_b32_e32 v6, s10
	s_xor_b64 exec, exec, s[6:7]
	s_cbranch_execz .LBB44_1702
.LBB44_3752:
	v_mov_b32_e32 v6, 0
	v_cmp_ne_u16_sdwa s[8:9], v3, v6 src0_sel:BYTE_0 src1_sel:DWORD
	s_andn2_b64 s[4:5], s[4:5], exec
	s_and_b64 s[8:9], s[8:9], exec
	s_or_b64 s[4:5], s[4:5], s[8:9]
	s_or_b64 exec, exec, s[6:7]
	s_and_saveexec_b64 s[6:7], s[4:5]
	s_cbranch_execnz .LBB44_1703
	s_branch .LBB44_1704
.LBB44_3753:
	s_movk_i32 s4, 0x80
	v_cmp_eq_u16_sdwa s[12:13], v6, s4 src0_sel:BYTE_0 src1_sel:DWORD
	s_mov_b64 s[4:5], -1
                                        ; implicit-def: $sgpr10
	s_and_saveexec_b64 s[8:9], s[12:13]
; %bb.3754:
	s_mov_b32 s10, 0x7f800001
	s_xor_b64 s[4:5], exec, -1
; %bb.3755:
	s_or_b64 exec, exec, s[8:9]
	s_and_b64 s[4:5], s[4:5], exec
	s_or_saveexec_b64 s[6:7], s[6:7]
	v_mov_b32_e32 v2, s10
	s_xor_b64 exec, exec, s[6:7]
	s_cbranch_execz .LBB44_1706
.LBB44_3756:
	v_mov_b32_e32 v2, 0
	v_cmp_ne_u16_sdwa s[8:9], v6, v2 src0_sel:BYTE_0 src1_sel:DWORD
	s_andn2_b64 s[4:5], s[4:5], exec
	s_and_b64 s[8:9], s[8:9], exec
	s_or_b64 s[4:5], s[4:5], s[8:9]
	s_or_b64 exec, exec, s[6:7]
	s_and_saveexec_b64 s[6:7], s[4:5]
	s_cbranch_execnz .LBB44_1707
	s_branch .LBB44_1708
.LBB44_3757:
	s_movk_i32 s4, 0x80
	v_cmp_eq_u16_sdwa s[12:13], v6, s4 src0_sel:BYTE_0 src1_sel:DWORD
	s_mov_b64 s[4:5], -1
                                        ; implicit-def: $sgpr10
	s_and_saveexec_b64 s[8:9], s[12:13]
; %bb.3758:
	s_mov_b32 s10, 0x7f800001
	s_xor_b64 s[4:5], exec, -1
; %bb.3759:
	s_or_b64 exec, exec, s[8:9]
	s_and_b64 s[4:5], s[4:5], exec
	s_or_saveexec_b64 s[6:7], s[6:7]
	v_mov_b32_e32 v10, s10
	s_xor_b64 exec, exec, s[6:7]
	s_cbranch_execz .LBB44_1710
.LBB44_3760:
	v_mov_b32_e32 v10, 0
	v_cmp_ne_u16_sdwa s[8:9], v6, v10 src0_sel:BYTE_0 src1_sel:DWORD
	s_andn2_b64 s[4:5], s[4:5], exec
	s_and_b64 s[8:9], s[8:9], exec
	s_or_b64 s[4:5], s[4:5], s[8:9]
	s_or_b64 exec, exec, s[6:7]
	s_and_saveexec_b64 s[6:7], s[4:5]
	s_cbranch_execnz .LBB44_1711
	s_branch .LBB44_1712
.LBB44_3761:
	s_movk_i32 s4, 0x80
	v_cmp_eq_u16_e32 vcc, s4, v6
	s_mov_b64 s[4:5], -1
                                        ; implicit-def: $sgpr10
	s_and_saveexec_b64 s[8:9], vcc
; %bb.3762:
	s_mov_b32 s10, 0x7f800001
	s_xor_b64 s[4:5], exec, -1
; %bb.3763:
	s_or_b64 exec, exec, s[8:9]
	s_and_b64 s[4:5], s[4:5], exec
                                        ; implicit-def: $vgpr6
	s_or_saveexec_b64 s[6:7], s[6:7]
	v_mov_b32_e32 v2, s10
	s_xor_b64 exec, exec, s[6:7]
	s_cbranch_execz .LBB44_1714
.LBB44_3764:
	v_cmp_ne_u16_e32 vcc, 0, v6
	s_andn2_b64 s[4:5], s[4:5], exec
	s_and_b64 s[8:9], vcc, exec
	v_mov_b32_e32 v2, 0
	s_or_b64 s[4:5], s[4:5], s[8:9]
	s_or_b64 exec, exec, s[6:7]
	s_and_saveexec_b64 s[6:7], s[4:5]
	s_cbranch_execnz .LBB44_1715
	s_branch .LBB44_1716
.LBB44_3765:
	s_movk_i32 s4, 0x80
	v_cmp_eq_u16_e32 vcc, s4, v6
	s_mov_b64 s[4:5], -1
                                        ; implicit-def: $sgpr10
	s_and_saveexec_b64 s[8:9], vcc
; %bb.3766:
	s_mov_b32 s10, 0x7f800001
	s_xor_b64 s[4:5], exec, -1
; %bb.3767:
	s_or_b64 exec, exec, s[8:9]
	s_and_b64 s[4:5], s[4:5], exec
                                        ; implicit-def: $vgpr6
	s_or_saveexec_b64 s[6:7], s[6:7]
	v_mov_b32_e32 v10, s10
	s_xor_b64 exec, exec, s[6:7]
	s_cbranch_execz .LBB44_1718
.LBB44_3768:
	v_cmp_ne_u16_e32 vcc, 0, v6
	s_andn2_b64 s[4:5], s[4:5], exec
	s_and_b64 s[8:9], vcc, exec
	v_mov_b32_e32 v10, 0
	s_or_b64 s[4:5], s[4:5], s[8:9]
	s_or_b64 exec, exec, s[6:7]
	s_and_saveexec_b64 s[6:7], s[4:5]
	s_cbranch_execnz .LBB44_1719
	s_branch .LBB44_1720
.LBB44_3769:
	s_movk_i32 s4, 0x80
	v_cmp_eq_u16_sdwa s[12:13], v7, s4 src0_sel:BYTE_3 src1_sel:DWORD
	s_mov_b64 s[4:5], -1
                                        ; implicit-def: $sgpr10
	s_and_saveexec_b64 s[8:9], s[12:13]
; %bb.3770:
	s_mov_b32 s10, 0x7f800001
	s_xor_b64 s[4:5], exec, -1
; %bb.3771:
	s_or_b64 exec, exec, s[8:9]
	s_and_b64 s[4:5], s[4:5], exec
	s_or_saveexec_b64 s[6:7], s[6:7]
	v_mov_b32_e32 v2, s10
	s_xor_b64 exec, exec, s[6:7]
	s_cbranch_execz .LBB44_1722
.LBB44_3772:
	v_mov_b32_e32 v2, 0
	v_cmp_ne_u16_sdwa s[8:9], v7, v2 src0_sel:BYTE_3 src1_sel:DWORD
	s_andn2_b64 s[4:5], s[4:5], exec
	s_and_b64 s[8:9], s[8:9], exec
	s_or_b64 s[4:5], s[4:5], s[8:9]
	s_or_b64 exec, exec, s[6:7]
	s_and_saveexec_b64 s[6:7], s[4:5]
	s_cbranch_execnz .LBB44_1723
	s_branch .LBB44_1724
.LBB44_3773:
	s_movk_i32 s4, 0x80
	v_cmp_eq_u16_sdwa s[12:13], v3, s4 src0_sel:BYTE_3 src1_sel:DWORD
	s_mov_b64 s[4:5], -1
                                        ; implicit-def: $sgpr10
	s_and_saveexec_b64 s[8:9], s[12:13]
; %bb.3774:
	s_mov_b32 s10, 0x7f800001
	s_xor_b64 s[4:5], exec, -1
; %bb.3775:
	s_or_b64 exec, exec, s[8:9]
	s_and_b64 s[4:5], s[4:5], exec
	s_or_saveexec_b64 s[6:7], s[6:7]
	v_mov_b32_e32 v6, s10
	s_xor_b64 exec, exec, s[6:7]
	s_cbranch_execz .LBB44_1726
.LBB44_3776:
	v_mov_b32_e32 v6, 0
	v_cmp_ne_u16_sdwa s[8:9], v3, v6 src0_sel:BYTE_3 src1_sel:DWORD
	s_andn2_b64 s[4:5], s[4:5], exec
	s_and_b64 s[8:9], s[8:9], exec
	s_or_b64 s[4:5], s[4:5], s[8:9]
	s_or_b64 exec, exec, s[6:7]
	s_and_saveexec_b64 s[6:7], s[4:5]
	s_cbranch_execnz .LBB44_1727
	s_branch .LBB44_1728
.LBB44_3777:
	s_movk_i32 s4, 0x80
	v_cmp_eq_u16_sdwa s[12:13], v8, s4 src0_sel:BYTE_0 src1_sel:DWORD
	s_mov_b64 s[4:5], -1
                                        ; implicit-def: $sgpr10
	s_and_saveexec_b64 s[8:9], s[12:13]
; %bb.3778:
	s_mov_b32 s10, 0x7f800001
	s_xor_b64 s[4:5], exec, -1
; %bb.3779:
	s_or_b64 exec, exec, s[8:9]
	s_and_b64 s[4:5], s[4:5], exec
	s_or_saveexec_b64 s[6:7], s[6:7]
	v_mov_b32_e32 v2, s10
	s_xor_b64 exec, exec, s[6:7]
	s_cbranch_execz .LBB44_1730
.LBB44_3780:
	v_mov_b32_e32 v2, 0
	v_cmp_ne_u16_sdwa s[8:9], v8, v2 src0_sel:BYTE_0 src1_sel:DWORD
	s_andn2_b64 s[4:5], s[4:5], exec
	s_and_b64 s[8:9], s[8:9], exec
	s_or_b64 s[4:5], s[4:5], s[8:9]
	s_or_b64 exec, exec, s[6:7]
	s_and_saveexec_b64 s[6:7], s[4:5]
	s_cbranch_execnz .LBB44_1731
	s_branch .LBB44_1732
.LBB44_3781:
	s_movk_i32 s4, 0x80
	v_cmp_eq_u16_sdwa s[12:13], v4, s4 src0_sel:BYTE_0 src1_sel:DWORD
	s_mov_b64 s[4:5], -1
                                        ; implicit-def: $sgpr10
	s_and_saveexec_b64 s[8:9], s[12:13]
; %bb.3782:
	s_mov_b32 s10, 0x7f800001
	s_xor_b64 s[4:5], exec, -1
; %bb.3783:
	s_or_b64 exec, exec, s[8:9]
	s_and_b64 s[4:5], s[4:5], exec
	s_or_saveexec_b64 s[6:7], s[6:7]
	v_mov_b32_e32 v3, s10
	s_xor_b64 exec, exec, s[6:7]
	s_cbranch_execz .LBB44_1734
.LBB44_3784:
	v_mov_b32_e32 v3, 0
	v_cmp_ne_u16_sdwa s[8:9], v4, v3 src0_sel:BYTE_0 src1_sel:DWORD
	s_andn2_b64 s[4:5], s[4:5], exec
	s_and_b64 s[8:9], s[8:9], exec
	s_or_b64 s[4:5], s[4:5], s[8:9]
	s_or_b64 exec, exec, s[6:7]
	s_and_saveexec_b64 s[6:7], s[4:5]
	s_cbranch_execnz .LBB44_1735
	s_branch .LBB44_1736
.LBB44_3785:
	s_movk_i32 s4, 0x80
	v_cmp_eq_u16_sdwa s[12:13], v3, s4 src0_sel:BYTE_0 src1_sel:DWORD
	s_mov_b64 s[4:5], -1
                                        ; implicit-def: $sgpr10
	s_and_saveexec_b64 s[8:9], s[12:13]
; %bb.3786:
	s_mov_b32 s10, 0x7f800001
	s_xor_b64 s[4:5], exec, -1
; %bb.3787:
	s_or_b64 exec, exec, s[8:9]
	s_and_b64 s[4:5], s[4:5], exec
	s_or_saveexec_b64 s[6:7], s[6:7]
	v_mov_b32_e32 v2, s10
	s_xor_b64 exec, exec, s[6:7]
	s_cbranch_execz .LBB44_1738
.LBB44_3788:
	v_mov_b32_e32 v2, 0
	v_cmp_ne_u16_sdwa s[8:9], v3, v2 src0_sel:BYTE_0 src1_sel:DWORD
	s_andn2_b64 s[4:5], s[4:5], exec
	s_and_b64 s[8:9], s[8:9], exec
	s_or_b64 s[4:5], s[4:5], s[8:9]
	s_or_b64 exec, exec, s[6:7]
	s_and_saveexec_b64 s[6:7], s[4:5]
	s_cbranch_execnz .LBB44_1739
	s_branch .LBB44_1740
.LBB44_3789:
	s_movk_i32 s4, 0x80
	v_cmp_eq_u16_sdwa s[12:13], v3, s4 src0_sel:BYTE_0 src1_sel:DWORD
	s_mov_b64 s[4:5], -1
                                        ; implicit-def: $sgpr10
	s_and_saveexec_b64 s[8:9], s[12:13]
; %bb.3790:
	s_mov_b32 s10, 0x7f800001
	s_xor_b64 s[4:5], exec, -1
; %bb.3791:
	s_or_b64 exec, exec, s[8:9]
	s_and_b64 s[4:5], s[4:5], exec
	s_or_saveexec_b64 s[6:7], s[6:7]
	v_mov_b32_e32 v6, s10
	s_xor_b64 exec, exec, s[6:7]
	s_cbranch_execz .LBB44_1742
.LBB44_3792:
	v_mov_b32_e32 v6, 0
	v_cmp_ne_u16_sdwa s[8:9], v3, v6 src0_sel:BYTE_0 src1_sel:DWORD
	s_andn2_b64 s[4:5], s[4:5], exec
	s_and_b64 s[8:9], s[8:9], exec
	s_or_b64 s[4:5], s[4:5], s[8:9]
	s_or_b64 exec, exec, s[6:7]
	s_and_saveexec_b64 s[6:7], s[4:5]
	s_cbranch_execnz .LBB44_1743
	s_branch .LBB44_1744
.LBB44_3793:
	s_movk_i32 s4, 0x80
	v_cmp_eq_u16_e32 vcc, s4, v3
	s_mov_b64 s[4:5], -1
                                        ; implicit-def: $sgpr10
	s_and_saveexec_b64 s[8:9], vcc
; %bb.3794:
	s_mov_b32 s10, 0x7f800001
	s_xor_b64 s[4:5], exec, -1
; %bb.3795:
	s_or_b64 exec, exec, s[8:9]
	s_and_b64 s[4:5], s[4:5], exec
                                        ; implicit-def: $vgpr3
	s_or_saveexec_b64 s[6:7], s[6:7]
	v_mov_b32_e32 v2, s10
	s_xor_b64 exec, exec, s[6:7]
	s_cbranch_execz .LBB44_1746
.LBB44_3796:
	v_cmp_ne_u16_e32 vcc, 0, v3
	s_andn2_b64 s[4:5], s[4:5], exec
	s_and_b64 s[8:9], vcc, exec
	v_mov_b32_e32 v2, 0
	s_or_b64 s[4:5], s[4:5], s[8:9]
	s_or_b64 exec, exec, s[6:7]
	s_and_saveexec_b64 s[6:7], s[4:5]
	s_cbranch_execnz .LBB44_1747
	s_branch .LBB44_1748
.LBB44_3797:
	s_movk_i32 s4, 0x80
	v_cmp_eq_u16_e32 vcc, s4, v3
	s_mov_b64 s[4:5], -1
                                        ; implicit-def: $sgpr10
	s_and_saveexec_b64 s[8:9], vcc
; %bb.3798:
	s_mov_b32 s10, 0x7f800001
	s_xor_b64 s[4:5], exec, -1
; %bb.3799:
	s_or_b64 exec, exec, s[8:9]
	s_and_b64 s[4:5], s[4:5], exec
                                        ; implicit-def: $vgpr3
	s_or_saveexec_b64 s[6:7], s[6:7]
	v_mov_b32_e32 v6, s10
	s_xor_b64 exec, exec, s[6:7]
	s_cbranch_execz .LBB44_1750
.LBB44_3800:
	v_cmp_ne_u16_e32 vcc, 0, v3
	s_andn2_b64 s[4:5], s[4:5], exec
	s_and_b64 s[8:9], vcc, exec
	v_mov_b32_e32 v6, 0
	s_or_b64 s[4:5], s[4:5], s[8:9]
	s_or_b64 exec, exec, s[6:7]
	s_and_saveexec_b64 s[6:7], s[4:5]
	s_cbranch_execnz .LBB44_1751
	s_branch .LBB44_1752
.LBB44_3801:
	s_movk_i32 s4, 0x80
	v_cmp_eq_u16_sdwa s[12:13], v8, s4 src0_sel:BYTE_3 src1_sel:DWORD
	s_mov_b64 s[4:5], -1
                                        ; implicit-def: $sgpr10
	s_and_saveexec_b64 s[8:9], s[12:13]
; %bb.3802:
	s_mov_b32 s10, 0x7f800001
	s_xor_b64 s[4:5], exec, -1
; %bb.3803:
	s_or_b64 exec, exec, s[8:9]
	s_and_b64 s[4:5], s[4:5], exec
	s_or_saveexec_b64 s[6:7], s[6:7]
	v_mov_b32_e32 v2, s10
	s_xor_b64 exec, exec, s[6:7]
	s_cbranch_execz .LBB44_1754
.LBB44_3804:
	v_mov_b32_e32 v2, 0
	v_cmp_ne_u16_sdwa s[8:9], v8, v2 src0_sel:BYTE_3 src1_sel:DWORD
	s_andn2_b64 s[4:5], s[4:5], exec
	s_and_b64 s[8:9], s[8:9], exec
	s_or_b64 s[4:5], s[4:5], s[8:9]
	s_or_b64 exec, exec, s[6:7]
	s_and_saveexec_b64 s[6:7], s[4:5]
	s_cbranch_execnz .LBB44_1755
	s_branch .LBB44_1756
.LBB44_3805:
	s_movk_i32 s4, 0x80
	v_cmp_eq_u16_sdwa s[12:13], v4, s4 src0_sel:BYTE_3 src1_sel:DWORD
	s_mov_b64 s[4:5], -1
                                        ; implicit-def: $sgpr10
	s_and_saveexec_b64 s[8:9], s[12:13]
; %bb.3806:
	s_mov_b32 s10, 0x7f800001
	s_xor_b64 s[4:5], exec, -1
; %bb.3807:
	s_or_b64 exec, exec, s[8:9]
	s_and_b64 s[4:5], s[4:5], exec
	s_or_saveexec_b64 s[6:7], s[6:7]
	v_mov_b32_e32 v3, s10
	s_xor_b64 exec, exec, s[6:7]
	s_cbranch_execz .LBB44_1758
.LBB44_3808:
	v_mov_b32_e32 v3, 0
	v_cmp_ne_u16_sdwa s[8:9], v4, v3 src0_sel:BYTE_3 src1_sel:DWORD
	s_andn2_b64 s[4:5], s[4:5], exec
	s_and_b64 s[8:9], s[8:9], exec
	s_or_b64 s[4:5], s[4:5], s[8:9]
	s_or_b64 exec, exec, s[6:7]
	s_and_saveexec_b64 s[6:7], s[4:5]
	s_cbranch_execnz .LBB44_1759
	s_branch .LBB44_1760
.LBB44_3809:
	s_movk_i32 s4, 0x80
	v_cmp_eq_u16_sdwa s[12:13], v9, s4 src0_sel:BYTE_0 src1_sel:DWORD
	s_mov_b64 s[4:5], -1
                                        ; implicit-def: $sgpr10
	s_and_saveexec_b64 s[8:9], s[12:13]
; %bb.3810:
	s_mov_b32 s10, 0x7f800001
	s_xor_b64 s[4:5], exec, -1
; %bb.3811:
	s_or_b64 exec, exec, s[8:9]
	s_and_b64 s[4:5], s[4:5], exec
	s_or_saveexec_b64 s[6:7], s[6:7]
	v_mov_b32_e32 v2, s10
	s_xor_b64 exec, exec, s[6:7]
	s_cbranch_execz .LBB44_1762
.LBB44_3812:
	v_mov_b32_e32 v2, 0
	v_cmp_ne_u16_sdwa s[8:9], v9, v2 src0_sel:BYTE_0 src1_sel:DWORD
	s_andn2_b64 s[4:5], s[4:5], exec
	s_and_b64 s[8:9], s[8:9], exec
	s_or_b64 s[4:5], s[4:5], s[8:9]
	s_or_b64 exec, exec, s[6:7]
	s_and_saveexec_b64 s[6:7], s[4:5]
	s_cbranch_execnz .LBB44_1763
	s_branch .LBB44_1764
.LBB44_3813:
	s_movk_i32 s4, 0x80
	v_cmp_eq_u16_sdwa s[12:13], v5, s4 src0_sel:BYTE_0 src1_sel:DWORD
	s_mov_b64 s[4:5], -1
                                        ; implicit-def: $sgpr10
	s_and_saveexec_b64 s[8:9], s[12:13]
; %bb.3814:
	s_mov_b32 s10, 0x7f800001
	s_xor_b64 s[4:5], exec, -1
; %bb.3815:
	s_or_b64 exec, exec, s[8:9]
	s_and_b64 s[4:5], s[4:5], exec
	s_or_saveexec_b64 s[6:7], s[6:7]
	v_mov_b32_e32 v3, s10
	s_xor_b64 exec, exec, s[6:7]
	s_cbranch_execz .LBB44_1766
.LBB44_3816:
	v_mov_b32_e32 v3, 0
	v_cmp_ne_u16_sdwa s[8:9], v5, v3 src0_sel:BYTE_0 src1_sel:DWORD
	s_andn2_b64 s[4:5], s[4:5], exec
	s_and_b64 s[8:9], s[8:9], exec
	s_or_b64 s[4:5], s[4:5], s[8:9]
	s_or_b64 exec, exec, s[6:7]
	s_and_saveexec_b64 s[6:7], s[4:5]
	s_cbranch_execnz .LBB44_1767
	s_branch .LBB44_1768
.LBB44_3817:
	s_movk_i32 s4, 0x80
	v_cmp_eq_u16_sdwa s[12:13], v3, s4 src0_sel:BYTE_0 src1_sel:DWORD
	s_mov_b64 s[4:5], -1
                                        ; implicit-def: $sgpr10
	s_and_saveexec_b64 s[8:9], s[12:13]
; %bb.3818:
	s_mov_b32 s10, 0x7f800001
	s_xor_b64 s[4:5], exec, -1
; %bb.3819:
	s_or_b64 exec, exec, s[8:9]
	s_and_b64 s[4:5], s[4:5], exec
	s_or_saveexec_b64 s[6:7], s[6:7]
	v_mov_b32_e32 v2, s10
	s_xor_b64 exec, exec, s[6:7]
	s_cbranch_execz .LBB44_1770
.LBB44_3820:
	v_mov_b32_e32 v2, 0
	v_cmp_ne_u16_sdwa s[8:9], v3, v2 src0_sel:BYTE_0 src1_sel:DWORD
	s_andn2_b64 s[4:5], s[4:5], exec
	s_and_b64 s[8:9], s[8:9], exec
	s_or_b64 s[4:5], s[4:5], s[8:9]
	s_or_b64 exec, exec, s[6:7]
	s_and_saveexec_b64 s[6:7], s[4:5]
	s_cbranch_execnz .LBB44_1771
	s_branch .LBB44_1772
.LBB44_3821:
	s_movk_i32 s4, 0x80
	v_cmp_eq_u16_sdwa s[12:13], v3, s4 src0_sel:BYTE_0 src1_sel:DWORD
	s_mov_b64 s[4:5], -1
                                        ; implicit-def: $sgpr10
	s_and_saveexec_b64 s[8:9], s[12:13]
; %bb.3822:
	s_mov_b32 s10, 0x7f800001
	s_xor_b64 s[4:5], exec, -1
; %bb.3823:
	s_or_b64 exec, exec, s[8:9]
	s_and_b64 s[4:5], s[4:5], exec
	s_or_saveexec_b64 s[6:7], s[6:7]
	v_mov_b32_e32 v4, s10
	s_xor_b64 exec, exec, s[6:7]
	s_cbranch_execz .LBB44_1774
.LBB44_3824:
	v_mov_b32_e32 v4, 0
	v_cmp_ne_u16_sdwa s[8:9], v3, v4 src0_sel:BYTE_0 src1_sel:DWORD
	s_andn2_b64 s[4:5], s[4:5], exec
	s_and_b64 s[8:9], s[8:9], exec
	s_or_b64 s[4:5], s[4:5], s[8:9]
	s_or_b64 exec, exec, s[6:7]
	s_and_saveexec_b64 s[6:7], s[4:5]
	s_cbranch_execnz .LBB44_1775
	s_branch .LBB44_1776
.LBB44_3825:
	s_movk_i32 s4, 0x80
	v_cmp_eq_u16_e32 vcc, s4, v3
	s_mov_b64 s[4:5], -1
                                        ; implicit-def: $sgpr10
	s_and_saveexec_b64 s[8:9], vcc
; %bb.3826:
	s_mov_b32 s10, 0x7f800001
	s_xor_b64 s[4:5], exec, -1
; %bb.3827:
	s_or_b64 exec, exec, s[8:9]
	s_and_b64 s[4:5], s[4:5], exec
                                        ; implicit-def: $vgpr3
	s_or_saveexec_b64 s[6:7], s[6:7]
	v_mov_b32_e32 v2, s10
	s_xor_b64 exec, exec, s[6:7]
	s_cbranch_execz .LBB44_1778
.LBB44_3828:
	v_cmp_ne_u16_e32 vcc, 0, v3
	s_andn2_b64 s[4:5], s[4:5], exec
	s_and_b64 s[8:9], vcc, exec
	v_mov_b32_e32 v2, 0
	s_or_b64 s[4:5], s[4:5], s[8:9]
	s_or_b64 exec, exec, s[6:7]
	s_and_saveexec_b64 s[6:7], s[4:5]
	s_cbranch_execnz .LBB44_1779
	s_branch .LBB44_1780
.LBB44_3829:
	s_movk_i32 s4, 0x80
	v_cmp_eq_u16_e32 vcc, s4, v3
	s_mov_b64 s[4:5], -1
                                        ; implicit-def: $sgpr10
	s_and_saveexec_b64 s[8:9], vcc
; %bb.3830:
	s_mov_b32 s10, 0x7f800001
	s_xor_b64 s[4:5], exec, -1
; %bb.3831:
	s_or_b64 exec, exec, s[8:9]
	s_and_b64 s[4:5], s[4:5], exec
                                        ; implicit-def: $vgpr3
	s_or_saveexec_b64 s[6:7], s[6:7]
	v_mov_b32_e32 v4, s10
	s_xor_b64 exec, exec, s[6:7]
	s_cbranch_execz .LBB44_1782
.LBB44_3832:
	v_cmp_ne_u16_e32 vcc, 0, v3
	s_andn2_b64 s[4:5], s[4:5], exec
	s_and_b64 s[8:9], vcc, exec
	v_mov_b32_e32 v4, 0
	s_or_b64 s[4:5], s[4:5], s[8:9]
	s_or_b64 exec, exec, s[6:7]
	s_and_saveexec_b64 s[6:7], s[4:5]
	s_cbranch_execnz .LBB44_1783
	s_branch .LBB44_1784
.LBB44_3833:
	s_movk_i32 s4, 0x80
	v_cmp_eq_u16_sdwa s[12:13], v9, s4 src0_sel:BYTE_3 src1_sel:DWORD
	s_mov_b64 s[4:5], -1
                                        ; implicit-def: $sgpr10
	s_and_saveexec_b64 s[8:9], s[12:13]
; %bb.3834:
	s_mov_b32 s10, 0x7f800001
	s_xor_b64 s[4:5], exec, -1
; %bb.3835:
	s_or_b64 exec, exec, s[8:9]
	s_and_b64 s[4:5], s[4:5], exec
	s_or_saveexec_b64 s[6:7], s[6:7]
	v_mov_b32_e32 v2, s10
	s_xor_b64 exec, exec, s[6:7]
	s_cbranch_execz .LBB44_1786
.LBB44_3836:
	v_mov_b32_e32 v2, 0
	v_cmp_ne_u16_sdwa s[8:9], v9, v2 src0_sel:BYTE_3 src1_sel:DWORD
	s_andn2_b64 s[4:5], s[4:5], exec
	s_and_b64 s[8:9], s[8:9], exec
	s_or_b64 s[4:5], s[4:5], s[8:9]
	s_or_b64 exec, exec, s[6:7]
	s_and_saveexec_b64 s[6:7], s[4:5]
	s_cbranch_execnz .LBB44_1787
	s_branch .LBB44_1788
.LBB44_3837:
	s_movk_i32 s4, 0x80
	v_cmp_eq_u16_sdwa s[12:13], v5, s4 src0_sel:BYTE_3 src1_sel:DWORD
	s_mov_b64 s[4:5], -1
                                        ; implicit-def: $sgpr10
	s_and_saveexec_b64 s[8:9], s[12:13]
; %bb.3838:
	s_mov_b32 s10, 0x7f800001
	s_xor_b64 s[4:5], exec, -1
; %bb.3839:
	s_or_b64 exec, exec, s[8:9]
	s_and_b64 s[4:5], s[4:5], exec
	s_or_saveexec_b64 s[6:7], s[6:7]
	v_mov_b32_e32 v3, s10
	s_xor_b64 exec, exec, s[6:7]
	s_cbranch_execz .LBB44_1790
.LBB44_3840:
	v_mov_b32_e32 v3, 0
	v_cmp_ne_u16_sdwa s[8:9], v5, v3 src0_sel:BYTE_3 src1_sel:DWORD
	s_andn2_b64 s[4:5], s[4:5], exec
	s_and_b64 s[8:9], s[8:9], exec
	s_or_b64 s[4:5], s[4:5], s[8:9]
	s_or_b64 exec, exec, s[6:7]
	s_and_saveexec_b64 s[6:7], s[4:5]
	s_cbranch_execnz .LBB44_1791
	s_branch .LBB44_1792
.LBB44_3841:
	s_movk_i32 s4, 0x80
	v_cmp_eq_u16_sdwa s[12:13], v12, s4 src0_sel:BYTE_0 src1_sel:DWORD
	s_mov_b64 s[4:5], -1
                                        ; implicit-def: $sgpr10
	s_and_saveexec_b64 s[8:9], s[12:13]
; %bb.3842:
	s_mov_b32 s10, 0x7f800001
	s_xor_b64 s[4:5], exec, -1
; %bb.3843:
	s_or_b64 exec, exec, s[8:9]
	s_and_b64 s[4:5], s[4:5], exec
	s_or_saveexec_b64 s[6:7], s[6:7]
	v_mov_b32_e32 v18, s10
	s_xor_b64 exec, exec, s[6:7]
	s_cbranch_execz .LBB44_1794
.LBB44_3844:
	v_mov_b32_e32 v18, 0
	v_cmp_ne_u16_sdwa s[8:9], v12, v18 src0_sel:BYTE_0 src1_sel:DWORD
	s_andn2_b64 s[4:5], s[4:5], exec
	s_and_b64 s[8:9], s[8:9], exec
	s_or_b64 s[4:5], s[4:5], s[8:9]
	s_or_b64 exec, exec, s[6:7]
	s_and_saveexec_b64 s[6:7], s[4:5]
	s_cbranch_execnz .LBB44_1795
	s_branch .LBB44_1796
.LBB44_3845:
	s_movk_i32 s4, 0x80
	v_cmp_eq_u16_sdwa s[12:13], v8, s4 src0_sel:BYTE_0 src1_sel:DWORD
	s_mov_b64 s[4:5], -1
                                        ; implicit-def: $sgpr10
	s_and_saveexec_b64 s[8:9], s[12:13]
; %bb.3846:
	s_mov_b32 s10, 0x7f800001
	s_xor_b64 s[4:5], exec, -1
; %bb.3847:
	s_or_b64 exec, exec, s[8:9]
	s_and_b64 s[4:5], s[4:5], exec
	s_or_saveexec_b64 s[6:7], s[6:7]
	v_mov_b32_e32 v19, s10
	s_xor_b64 exec, exec, s[6:7]
	s_cbranch_execz .LBB44_1798
.LBB44_3848:
	v_mov_b32_e32 v19, 0
	v_cmp_ne_u16_sdwa s[8:9], v8, v19 src0_sel:BYTE_0 src1_sel:DWORD
	s_andn2_b64 s[4:5], s[4:5], exec
	s_and_b64 s[8:9], s[8:9], exec
	s_or_b64 s[4:5], s[4:5], s[8:9]
	s_or_b64 exec, exec, s[6:7]
	s_and_saveexec_b64 s[6:7], s[4:5]
	s_cbranch_execnz .LBB44_1799
	s_branch .LBB44_1800
.LBB44_3849:
	s_movk_i32 s4, 0x80
	v_cmp_eq_u16_sdwa s[12:13], v19, s4 src0_sel:BYTE_0 src1_sel:DWORD
	s_mov_b64 s[4:5], -1
                                        ; implicit-def: $sgpr10
	s_and_saveexec_b64 s[8:9], s[12:13]
; %bb.3850:
	s_mov_b32 s10, 0x7f800001
	s_xor_b64 s[4:5], exec, -1
; %bb.3851:
	s_or_b64 exec, exec, s[8:9]
	s_and_b64 s[4:5], s[4:5], exec
	s_or_saveexec_b64 s[6:7], s[6:7]
	v_mov_b32_e32 v18, s10
	s_xor_b64 exec, exec, s[6:7]
	s_cbranch_execz .LBB44_1802
.LBB44_3852:
	v_mov_b32_e32 v18, 0
	v_cmp_ne_u16_sdwa s[8:9], v19, v18 src0_sel:BYTE_0 src1_sel:DWORD
	s_andn2_b64 s[4:5], s[4:5], exec
	s_and_b64 s[8:9], s[8:9], exec
	s_or_b64 s[4:5], s[4:5], s[8:9]
	s_or_b64 exec, exec, s[6:7]
	s_and_saveexec_b64 s[6:7], s[4:5]
	s_cbranch_execnz .LBB44_1803
	s_branch .LBB44_1804
.LBB44_3853:
	s_movk_i32 s4, 0x80
	v_cmp_eq_u16_sdwa s[12:13], v19, s4 src0_sel:BYTE_0 src1_sel:DWORD
	s_mov_b64 s[4:5], -1
                                        ; implicit-def: $sgpr10
	s_and_saveexec_b64 s[8:9], s[12:13]
; %bb.3854:
	s_mov_b32 s10, 0x7f800001
	s_xor_b64 s[4:5], exec, -1
; %bb.3855:
	s_or_b64 exec, exec, s[8:9]
	s_and_b64 s[4:5], s[4:5], exec
	s_or_saveexec_b64 s[6:7], s[6:7]
	v_mov_b32_e32 v20, s10
	s_xor_b64 exec, exec, s[6:7]
	s_cbranch_execz .LBB44_1806
.LBB44_3856:
	v_mov_b32_e32 v20, 0
	v_cmp_ne_u16_sdwa s[8:9], v19, v20 src0_sel:BYTE_0 src1_sel:DWORD
	s_andn2_b64 s[4:5], s[4:5], exec
	s_and_b64 s[8:9], s[8:9], exec
	s_or_b64 s[4:5], s[4:5], s[8:9]
	s_or_b64 exec, exec, s[6:7]
	s_and_saveexec_b64 s[6:7], s[4:5]
	s_cbranch_execnz .LBB44_1807
	s_branch .LBB44_1808
.LBB44_3857:
	s_movk_i32 s4, 0x80
	v_cmp_eq_u16_e32 vcc, s4, v19
	s_mov_b64 s[4:5], -1
                                        ; implicit-def: $sgpr10
	s_and_saveexec_b64 s[8:9], vcc
; %bb.3858:
	s_mov_b32 s10, 0x7f800001
	s_xor_b64 s[4:5], exec, -1
; %bb.3859:
	s_or_b64 exec, exec, s[8:9]
	s_and_b64 s[4:5], s[4:5], exec
                                        ; implicit-def: $vgpr19
	s_or_saveexec_b64 s[6:7], s[6:7]
	v_mov_b32_e32 v18, s10
	s_xor_b64 exec, exec, s[6:7]
	s_cbranch_execz .LBB44_1810
.LBB44_3860:
	v_cmp_ne_u16_e32 vcc, 0, v19
	s_andn2_b64 s[4:5], s[4:5], exec
	s_and_b64 s[8:9], vcc, exec
	v_mov_b32_e32 v18, 0
	s_or_b64 s[4:5], s[4:5], s[8:9]
	s_or_b64 exec, exec, s[6:7]
	s_and_saveexec_b64 s[6:7], s[4:5]
	s_cbranch_execnz .LBB44_1811
	s_branch .LBB44_1812
.LBB44_3861:
	s_movk_i32 s4, 0x80
	v_cmp_eq_u16_e32 vcc, s4, v19
	s_mov_b64 s[4:5], -1
                                        ; implicit-def: $sgpr10
	s_and_saveexec_b64 s[8:9], vcc
; %bb.3862:
	s_mov_b32 s10, 0x7f800001
	s_xor_b64 s[4:5], exec, -1
; %bb.3863:
	s_or_b64 exec, exec, s[8:9]
	s_and_b64 s[4:5], s[4:5], exec
                                        ; implicit-def: $vgpr19
	s_or_saveexec_b64 s[6:7], s[6:7]
	v_mov_b32_e32 v20, s10
	s_xor_b64 exec, exec, s[6:7]
	s_cbranch_execz .LBB44_1814
.LBB44_3864:
	v_cmp_ne_u16_e32 vcc, 0, v19
	s_andn2_b64 s[4:5], s[4:5], exec
	s_and_b64 s[8:9], vcc, exec
	v_mov_b32_e32 v20, 0
	s_or_b64 s[4:5], s[4:5], s[8:9]
	s_or_b64 exec, exec, s[6:7]
	s_and_saveexec_b64 s[6:7], s[4:5]
	s_cbranch_execnz .LBB44_1815
	s_branch .LBB44_1816
.LBB44_3865:
	s_movk_i32 s4, 0x80
	v_cmp_eq_u16_sdwa s[12:13], v12, s4 src0_sel:BYTE_3 src1_sel:DWORD
	s_mov_b64 s[4:5], -1
                                        ; implicit-def: $sgpr10
	s_and_saveexec_b64 s[8:9], s[12:13]
; %bb.3866:
	s_mov_b32 s10, 0x7f800001
	s_xor_b64 s[4:5], exec, -1
; %bb.3867:
	s_or_b64 exec, exec, s[8:9]
	s_and_b64 s[4:5], s[4:5], exec
	s_or_saveexec_b64 s[6:7], s[6:7]
	v_mov_b32_e32 v18, s10
	s_xor_b64 exec, exec, s[6:7]
	s_cbranch_execz .LBB44_1818
.LBB44_3868:
	v_mov_b32_e32 v18, 0
	v_cmp_ne_u16_sdwa s[8:9], v12, v18 src0_sel:BYTE_3 src1_sel:DWORD
	s_andn2_b64 s[4:5], s[4:5], exec
	s_and_b64 s[8:9], s[8:9], exec
	s_or_b64 s[4:5], s[4:5], s[8:9]
	s_or_b64 exec, exec, s[6:7]
	s_and_saveexec_b64 s[6:7], s[4:5]
	s_cbranch_execnz .LBB44_1819
	s_branch .LBB44_1820
.LBB44_3869:
	s_movk_i32 s4, 0x80
	v_cmp_eq_u16_sdwa s[12:13], v8, s4 src0_sel:BYTE_3 src1_sel:DWORD
	s_mov_b64 s[4:5], -1
                                        ; implicit-def: $sgpr10
	s_and_saveexec_b64 s[8:9], s[12:13]
; %bb.3870:
	s_mov_b32 s10, 0x7f800001
	s_xor_b64 s[4:5], exec, -1
; %bb.3871:
	s_or_b64 exec, exec, s[8:9]
	s_and_b64 s[4:5], s[4:5], exec
	s_or_saveexec_b64 s[6:7], s[6:7]
	v_mov_b32_e32 v12, s10
	s_xor_b64 exec, exec, s[6:7]
	s_cbranch_execz .LBB44_1822
.LBB44_3872:
	v_mov_b32_e32 v12, 0
	v_cmp_ne_u16_sdwa s[8:9], v8, v12 src0_sel:BYTE_3 src1_sel:DWORD
	s_andn2_b64 s[4:5], s[4:5], exec
	s_and_b64 s[8:9], s[8:9], exec
	s_or_b64 s[4:5], s[4:5], s[8:9]
	s_or_b64 exec, exec, s[6:7]
	s_and_saveexec_b64 s[6:7], s[4:5]
	s_cbranch_execnz .LBB44_1823
	s_branch .LBB44_1824
.LBB44_3873:
	s_movk_i32 s4, 0x80
	v_cmp_eq_u16_sdwa s[12:13], v13, s4 src0_sel:BYTE_0 src1_sel:DWORD
	s_mov_b64 s[4:5], -1
                                        ; implicit-def: $sgpr10
	s_and_saveexec_b64 s[8:9], s[12:13]
; %bb.3874:
	s_mov_b32 s10, 0x7f800001
	s_xor_b64 s[4:5], exec, -1
; %bb.3875:
	s_or_b64 exec, exec, s[8:9]
	s_and_b64 s[4:5], s[4:5], exec
	s_or_saveexec_b64 s[6:7], s[6:7]
	v_mov_b32_e32 v8, s10
	s_xor_b64 exec, exec, s[6:7]
	s_cbranch_execz .LBB44_1826
.LBB44_3876:
	v_mov_b32_e32 v8, 0
	v_cmp_ne_u16_sdwa s[8:9], v13, v8 src0_sel:BYTE_0 src1_sel:DWORD
	s_andn2_b64 s[4:5], s[4:5], exec
	s_and_b64 s[8:9], s[8:9], exec
	s_or_b64 s[4:5], s[4:5], s[8:9]
	s_or_b64 exec, exec, s[6:7]
	s_and_saveexec_b64 s[6:7], s[4:5]
	s_cbranch_execnz .LBB44_1827
	s_branch .LBB44_1828
.LBB44_3877:
	s_movk_i32 s4, 0x80
	v_cmp_eq_u16_sdwa s[12:13], v9, s4 src0_sel:BYTE_0 src1_sel:DWORD
	s_mov_b64 s[4:5], -1
                                        ; implicit-def: $sgpr10
	s_and_saveexec_b64 s[8:9], s[12:13]
; %bb.3878:
	s_mov_b32 s10, 0x7f800001
	s_xor_b64 s[4:5], exec, -1
; %bb.3879:
	s_or_b64 exec, exec, s[8:9]
	s_and_b64 s[4:5], s[4:5], exec
	s_or_saveexec_b64 s[6:7], s[6:7]
	v_mov_b32_e32 v12, s10
	s_xor_b64 exec, exec, s[6:7]
	s_cbranch_execz .LBB44_1830
.LBB44_3880:
	v_mov_b32_e32 v12, 0
	v_cmp_ne_u16_sdwa s[8:9], v9, v12 src0_sel:BYTE_0 src1_sel:DWORD
	s_andn2_b64 s[4:5], s[4:5], exec
	s_and_b64 s[8:9], s[8:9], exec
	s_or_b64 s[4:5], s[4:5], s[8:9]
	s_or_b64 exec, exec, s[6:7]
	s_and_saveexec_b64 s[6:7], s[4:5]
	s_cbranch_execnz .LBB44_1831
	s_branch .LBB44_1832
.LBB44_3881:
	s_movk_i32 s4, 0x80
	v_cmp_eq_u16_sdwa s[12:13], v12, s4 src0_sel:BYTE_0 src1_sel:DWORD
	s_mov_b64 s[4:5], -1
                                        ; implicit-def: $sgpr10
	s_and_saveexec_b64 s[8:9], s[12:13]
; %bb.3882:
	s_mov_b32 s10, 0x7f800001
	s_xor_b64 s[4:5], exec, -1
; %bb.3883:
	s_or_b64 exec, exec, s[8:9]
	s_and_b64 s[4:5], s[4:5], exec
	s_or_saveexec_b64 s[6:7], s[6:7]
	v_mov_b32_e32 v8, s10
	s_xor_b64 exec, exec, s[6:7]
	s_cbranch_execz .LBB44_1834
.LBB44_3884:
	v_mov_b32_e32 v8, 0
	v_cmp_ne_u16_sdwa s[8:9], v12, v8 src0_sel:BYTE_0 src1_sel:DWORD
	s_andn2_b64 s[4:5], s[4:5], exec
	s_and_b64 s[8:9], s[8:9], exec
	s_or_b64 s[4:5], s[4:5], s[8:9]
	s_or_b64 exec, exec, s[6:7]
	s_and_saveexec_b64 s[6:7], s[4:5]
	s_cbranch_execnz .LBB44_1835
	s_branch .LBB44_1836
.LBB44_3885:
	s_movk_i32 s4, 0x80
	v_cmp_eq_u16_sdwa s[12:13], v12, s4 src0_sel:BYTE_0 src1_sel:DWORD
	s_mov_b64 s[4:5], -1
                                        ; implicit-def: $sgpr10
	s_and_saveexec_b64 s[8:9], s[12:13]
; %bb.3886:
	s_mov_b32 s10, 0x7f800001
	s_xor_b64 s[4:5], exec, -1
; %bb.3887:
	s_or_b64 exec, exec, s[8:9]
	s_and_b64 s[4:5], s[4:5], exec
	s_or_saveexec_b64 s[6:7], s[6:7]
	v_mov_b32_e32 v18, s10
	s_xor_b64 exec, exec, s[6:7]
	s_cbranch_execz .LBB44_1838
.LBB44_3888:
	v_mov_b32_e32 v18, 0
	v_cmp_ne_u16_sdwa s[8:9], v12, v18 src0_sel:BYTE_0 src1_sel:DWORD
	s_andn2_b64 s[4:5], s[4:5], exec
	s_and_b64 s[8:9], s[8:9], exec
	s_or_b64 s[4:5], s[4:5], s[8:9]
	s_or_b64 exec, exec, s[6:7]
	s_and_saveexec_b64 s[6:7], s[4:5]
	s_cbranch_execnz .LBB44_1839
	s_branch .LBB44_1840
.LBB44_3889:
	s_movk_i32 s4, 0x80
	v_cmp_eq_u16_e32 vcc, s4, v12
	s_mov_b64 s[4:5], -1
                                        ; implicit-def: $sgpr10
	s_and_saveexec_b64 s[8:9], vcc
; %bb.3890:
	s_mov_b32 s10, 0x7f800001
	s_xor_b64 s[4:5], exec, -1
; %bb.3891:
	s_or_b64 exec, exec, s[8:9]
	s_and_b64 s[4:5], s[4:5], exec
                                        ; implicit-def: $vgpr12
	s_or_saveexec_b64 s[6:7], s[6:7]
	v_mov_b32_e32 v8, s10
	s_xor_b64 exec, exec, s[6:7]
	s_cbranch_execz .LBB44_1842
.LBB44_3892:
	v_cmp_ne_u16_e32 vcc, 0, v12
	s_andn2_b64 s[4:5], s[4:5], exec
	s_and_b64 s[8:9], vcc, exec
	v_mov_b32_e32 v8, 0
	s_or_b64 s[4:5], s[4:5], s[8:9]
	s_or_b64 exec, exec, s[6:7]
	s_and_saveexec_b64 s[6:7], s[4:5]
	s_cbranch_execnz .LBB44_1843
	s_branch .LBB44_1844
.LBB44_3893:
	s_movk_i32 s4, 0x80
	v_cmp_eq_u16_e32 vcc, s4, v12
	s_mov_b64 s[4:5], -1
                                        ; implicit-def: $sgpr10
	s_and_saveexec_b64 s[8:9], vcc
; %bb.3894:
	s_mov_b32 s10, 0x7f800001
	s_xor_b64 s[4:5], exec, -1
; %bb.3895:
	s_or_b64 exec, exec, s[8:9]
	s_and_b64 s[4:5], s[4:5], exec
                                        ; implicit-def: $vgpr12
	s_or_saveexec_b64 s[6:7], s[6:7]
	v_mov_b32_e32 v18, s10
	s_xor_b64 exec, exec, s[6:7]
	s_cbranch_execz .LBB44_1846
.LBB44_3896:
	v_cmp_ne_u16_e32 vcc, 0, v12
	s_andn2_b64 s[4:5], s[4:5], exec
	s_and_b64 s[8:9], vcc, exec
	v_mov_b32_e32 v18, 0
	s_or_b64 s[4:5], s[4:5], s[8:9]
	s_or_b64 exec, exec, s[6:7]
	s_and_saveexec_b64 s[6:7], s[4:5]
	s_cbranch_execnz .LBB44_1847
	s_branch .LBB44_1848
.LBB44_3897:
	s_movk_i32 s4, 0x80
	v_cmp_eq_u16_sdwa s[12:13], v13, s4 src0_sel:BYTE_3 src1_sel:DWORD
	s_mov_b64 s[4:5], -1
                                        ; implicit-def: $sgpr10
	s_and_saveexec_b64 s[8:9], s[12:13]
; %bb.3898:
	s_mov_b32 s10, 0x7f800001
	s_xor_b64 s[4:5], exec, -1
; %bb.3899:
	s_or_b64 exec, exec, s[8:9]
	s_and_b64 s[4:5], s[4:5], exec
	s_or_saveexec_b64 s[6:7], s[6:7]
	v_mov_b32_e32 v8, s10
	s_xor_b64 exec, exec, s[6:7]
	s_cbranch_execz .LBB44_1850
.LBB44_3900:
	v_mov_b32_e32 v8, 0
	v_cmp_ne_u16_sdwa s[8:9], v13, v8 src0_sel:BYTE_3 src1_sel:DWORD
	s_andn2_b64 s[4:5], s[4:5], exec
	s_and_b64 s[8:9], s[8:9], exec
	s_or_b64 s[4:5], s[4:5], s[8:9]
	s_or_b64 exec, exec, s[6:7]
	s_and_saveexec_b64 s[6:7], s[4:5]
	s_cbranch_execnz .LBB44_1851
	s_branch .LBB44_1852
.LBB44_3901:
	s_movk_i32 s4, 0x80
	v_cmp_eq_u16_sdwa s[12:13], v9, s4 src0_sel:BYTE_3 src1_sel:DWORD
	s_mov_b64 s[4:5], -1
                                        ; implicit-def: $sgpr10
	s_and_saveexec_b64 s[8:9], s[12:13]
; %bb.3902:
	s_mov_b32 s10, 0x7f800001
	s_xor_b64 s[4:5], exec, -1
; %bb.3903:
	s_or_b64 exec, exec, s[8:9]
	s_and_b64 s[4:5], s[4:5], exec
	s_or_saveexec_b64 s[6:7], s[6:7]
	v_mov_b32_e32 v12, s10
	s_xor_b64 exec, exec, s[6:7]
	s_cbranch_execz .LBB44_1854
.LBB44_3904:
	v_mov_b32_e32 v12, 0
	v_cmp_ne_u16_sdwa s[8:9], v9, v12 src0_sel:BYTE_3 src1_sel:DWORD
	s_andn2_b64 s[4:5], s[4:5], exec
	s_and_b64 s[8:9], s[8:9], exec
	s_or_b64 s[4:5], s[4:5], s[8:9]
	s_or_b64 exec, exec, s[6:7]
	s_and_saveexec_b64 s[6:7], s[4:5]
	s_cbranch_execnz .LBB44_1855
	s_branch .LBB44_1856
.LBB44_3905:
	s_movk_i32 s4, 0x80
	v_cmp_eq_u16_sdwa s[12:13], v14, s4 src0_sel:BYTE_0 src1_sel:DWORD
	s_mov_b64 s[4:5], -1
                                        ; implicit-def: $sgpr10
	s_and_saveexec_b64 s[8:9], s[12:13]
; %bb.3906:
	s_mov_b32 s10, 0x7f800001
	s_xor_b64 s[4:5], exec, -1
; %bb.3907:
	s_or_b64 exec, exec, s[8:9]
	s_and_b64 s[4:5], s[4:5], exec
	s_or_saveexec_b64 s[6:7], s[6:7]
	v_mov_b32_e32 v8, s10
	s_xor_b64 exec, exec, s[6:7]
	s_cbranch_execz .LBB44_1858
.LBB44_3908:
	v_mov_b32_e32 v8, 0
	v_cmp_ne_u16_sdwa s[8:9], v14, v8 src0_sel:BYTE_0 src1_sel:DWORD
	s_andn2_b64 s[4:5], s[4:5], exec
	s_and_b64 s[8:9], s[8:9], exec
	s_or_b64 s[4:5], s[4:5], s[8:9]
	s_or_b64 exec, exec, s[6:7]
	s_and_saveexec_b64 s[6:7], s[4:5]
	s_cbranch_execnz .LBB44_1859
	s_branch .LBB44_1860
.LBB44_3909:
	s_movk_i32 s4, 0x80
	v_cmp_eq_u16_sdwa s[12:13], v10, s4 src0_sel:BYTE_0 src1_sel:DWORD
	s_mov_b64 s[4:5], -1
                                        ; implicit-def: $sgpr10
	s_and_saveexec_b64 s[8:9], s[12:13]
; %bb.3910:
	s_mov_b32 s10, 0x7f800001
	s_xor_b64 s[4:5], exec, -1
; %bb.3911:
	s_or_b64 exec, exec, s[8:9]
	s_and_b64 s[4:5], s[4:5], exec
	s_or_saveexec_b64 s[6:7], s[6:7]
	v_mov_b32_e32 v9, s10
	s_xor_b64 exec, exec, s[6:7]
	s_cbranch_execz .LBB44_1862
.LBB44_3912:
	v_mov_b32_e32 v9, 0
	v_cmp_ne_u16_sdwa s[8:9], v10, v9 src0_sel:BYTE_0 src1_sel:DWORD
	s_andn2_b64 s[4:5], s[4:5], exec
	s_and_b64 s[8:9], s[8:9], exec
	s_or_b64 s[4:5], s[4:5], s[8:9]
	s_or_b64 exec, exec, s[6:7]
	s_and_saveexec_b64 s[6:7], s[4:5]
	s_cbranch_execnz .LBB44_1863
	s_branch .LBB44_1864
.LBB44_3913:
	s_movk_i32 s4, 0x80
	v_cmp_eq_u16_sdwa s[12:13], v9, s4 src0_sel:BYTE_0 src1_sel:DWORD
	s_mov_b64 s[4:5], -1
                                        ; implicit-def: $sgpr10
	s_and_saveexec_b64 s[8:9], s[12:13]
; %bb.3914:
	s_mov_b32 s10, 0x7f800001
	s_xor_b64 s[4:5], exec, -1
; %bb.3915:
	s_or_b64 exec, exec, s[8:9]
	s_and_b64 s[4:5], s[4:5], exec
	s_or_saveexec_b64 s[6:7], s[6:7]
	v_mov_b32_e32 v8, s10
	s_xor_b64 exec, exec, s[6:7]
	s_cbranch_execz .LBB44_1866
.LBB44_3916:
	v_mov_b32_e32 v8, 0
	v_cmp_ne_u16_sdwa s[8:9], v9, v8 src0_sel:BYTE_0 src1_sel:DWORD
	s_andn2_b64 s[4:5], s[4:5], exec
	s_and_b64 s[8:9], s[8:9], exec
	s_or_b64 s[4:5], s[4:5], s[8:9]
	s_or_b64 exec, exec, s[6:7]
	s_and_saveexec_b64 s[6:7], s[4:5]
	s_cbranch_execnz .LBB44_1867
	s_branch .LBB44_1868
.LBB44_3917:
	s_movk_i32 s4, 0x80
	v_cmp_eq_u16_sdwa s[12:13], v9, s4 src0_sel:BYTE_0 src1_sel:DWORD
	s_mov_b64 s[4:5], -1
                                        ; implicit-def: $sgpr10
	s_and_saveexec_b64 s[8:9], s[12:13]
; %bb.3918:
	s_mov_b32 s10, 0x7f800001
	s_xor_b64 s[4:5], exec, -1
; %bb.3919:
	s_or_b64 exec, exec, s[8:9]
	s_and_b64 s[4:5], s[4:5], exec
	s_or_saveexec_b64 s[6:7], s[6:7]
	v_mov_b32_e32 v12, s10
	s_xor_b64 exec, exec, s[6:7]
	s_cbranch_execz .LBB44_1870
.LBB44_3920:
	v_mov_b32_e32 v12, 0
	v_cmp_ne_u16_sdwa s[8:9], v9, v12 src0_sel:BYTE_0 src1_sel:DWORD
	s_andn2_b64 s[4:5], s[4:5], exec
	s_and_b64 s[8:9], s[8:9], exec
	s_or_b64 s[4:5], s[4:5], s[8:9]
	s_or_b64 exec, exec, s[6:7]
	s_and_saveexec_b64 s[6:7], s[4:5]
	s_cbranch_execnz .LBB44_1871
	s_branch .LBB44_1872
.LBB44_3921:
	s_movk_i32 s4, 0x80
	v_cmp_eq_u16_e32 vcc, s4, v9
	s_mov_b64 s[4:5], -1
                                        ; implicit-def: $sgpr10
	s_and_saveexec_b64 s[8:9], vcc
; %bb.3922:
	s_mov_b32 s10, 0x7f800001
	s_xor_b64 s[4:5], exec, -1
; %bb.3923:
	s_or_b64 exec, exec, s[8:9]
	s_and_b64 s[4:5], s[4:5], exec
                                        ; implicit-def: $vgpr9
	s_or_saveexec_b64 s[6:7], s[6:7]
	v_mov_b32_e32 v8, s10
	s_xor_b64 exec, exec, s[6:7]
	s_cbranch_execz .LBB44_1874
.LBB44_3924:
	v_cmp_ne_u16_e32 vcc, 0, v9
	s_andn2_b64 s[4:5], s[4:5], exec
	s_and_b64 s[8:9], vcc, exec
	v_mov_b32_e32 v8, 0
	s_or_b64 s[4:5], s[4:5], s[8:9]
	s_or_b64 exec, exec, s[6:7]
	s_and_saveexec_b64 s[6:7], s[4:5]
	s_cbranch_execnz .LBB44_1875
	s_branch .LBB44_1876
.LBB44_3925:
	s_movk_i32 s4, 0x80
	v_cmp_eq_u16_e32 vcc, s4, v9
	s_mov_b64 s[4:5], -1
                                        ; implicit-def: $sgpr10
	s_and_saveexec_b64 s[8:9], vcc
; %bb.3926:
	s_mov_b32 s10, 0x7f800001
	s_xor_b64 s[4:5], exec, -1
; %bb.3927:
	s_or_b64 exec, exec, s[8:9]
	s_and_b64 s[4:5], s[4:5], exec
                                        ; implicit-def: $vgpr9
	s_or_saveexec_b64 s[6:7], s[6:7]
	v_mov_b32_e32 v12, s10
	s_xor_b64 exec, exec, s[6:7]
	s_cbranch_execz .LBB44_1878
.LBB44_3928:
	v_cmp_ne_u16_e32 vcc, 0, v9
	s_andn2_b64 s[4:5], s[4:5], exec
	s_and_b64 s[8:9], vcc, exec
	v_mov_b32_e32 v12, 0
	s_or_b64 s[4:5], s[4:5], s[8:9]
	s_or_b64 exec, exec, s[6:7]
	s_and_saveexec_b64 s[6:7], s[4:5]
	s_cbranch_execnz .LBB44_1879
	s_branch .LBB44_1880
.LBB44_3929:
	s_movk_i32 s4, 0x80
	v_cmp_eq_u16_sdwa s[12:13], v14, s4 src0_sel:BYTE_3 src1_sel:DWORD
	s_mov_b64 s[4:5], -1
                                        ; implicit-def: $sgpr10
	s_and_saveexec_b64 s[8:9], s[12:13]
; %bb.3930:
	s_mov_b32 s10, 0x7f800001
	s_xor_b64 s[4:5], exec, -1
; %bb.3931:
	s_or_b64 exec, exec, s[8:9]
	s_and_b64 s[4:5], s[4:5], exec
	s_or_saveexec_b64 s[6:7], s[6:7]
	v_mov_b32_e32 v8, s10
	s_xor_b64 exec, exec, s[6:7]
	s_cbranch_execz .LBB44_1882
.LBB44_3932:
	v_mov_b32_e32 v8, 0
	v_cmp_ne_u16_sdwa s[8:9], v14, v8 src0_sel:BYTE_3 src1_sel:DWORD
	s_andn2_b64 s[4:5], s[4:5], exec
	s_and_b64 s[8:9], s[8:9], exec
	s_or_b64 s[4:5], s[4:5], s[8:9]
	s_or_b64 exec, exec, s[6:7]
	s_and_saveexec_b64 s[6:7], s[4:5]
	s_cbranch_execnz .LBB44_1883
	s_branch .LBB44_1884
.LBB44_3933:
	s_movk_i32 s4, 0x80
	v_cmp_eq_u16_sdwa s[12:13], v10, s4 src0_sel:BYTE_3 src1_sel:DWORD
	s_mov_b64 s[4:5], -1
                                        ; implicit-def: $sgpr10
	s_and_saveexec_b64 s[8:9], s[12:13]
; %bb.3934:
	s_mov_b32 s10, 0x7f800001
	s_xor_b64 s[4:5], exec, -1
; %bb.3935:
	s_or_b64 exec, exec, s[8:9]
	s_and_b64 s[4:5], s[4:5], exec
	s_or_saveexec_b64 s[6:7], s[6:7]
	v_mov_b32_e32 v9, s10
	s_xor_b64 exec, exec, s[6:7]
	s_cbranch_execz .LBB44_1886
.LBB44_3936:
	v_mov_b32_e32 v9, 0
	v_cmp_ne_u16_sdwa s[8:9], v10, v9 src0_sel:BYTE_3 src1_sel:DWORD
	s_andn2_b64 s[4:5], s[4:5], exec
	s_and_b64 s[8:9], s[8:9], exec
	s_or_b64 s[4:5], s[4:5], s[8:9]
	s_or_b64 exec, exec, s[6:7]
	s_and_saveexec_b64 s[6:7], s[4:5]
	s_cbranch_execnz .LBB44_1887
	s_branch .LBB44_1888
.LBB44_3937:
	s_movk_i32 s4, 0x80
	v_cmp_eq_u16_sdwa s[12:13], v15, s4 src0_sel:BYTE_0 src1_sel:DWORD
	s_mov_b64 s[4:5], -1
                                        ; implicit-def: $sgpr10
	s_and_saveexec_b64 s[8:9], s[12:13]
; %bb.3938:
	s_mov_b32 s10, 0x7f800001
	s_xor_b64 s[4:5], exec, -1
; %bb.3939:
	s_or_b64 exec, exec, s[8:9]
	s_and_b64 s[4:5], s[4:5], exec
	s_or_saveexec_b64 s[6:7], s[6:7]
	v_mov_b32_e32 v8, s10
	s_xor_b64 exec, exec, s[6:7]
	s_cbranch_execz .LBB44_1890
.LBB44_3940:
	v_mov_b32_e32 v8, 0
	v_cmp_ne_u16_sdwa s[8:9], v15, v8 src0_sel:BYTE_0 src1_sel:DWORD
	s_andn2_b64 s[4:5], s[4:5], exec
	s_and_b64 s[8:9], s[8:9], exec
	s_or_b64 s[4:5], s[4:5], s[8:9]
	s_or_b64 exec, exec, s[6:7]
	s_and_saveexec_b64 s[6:7], s[4:5]
	s_cbranch_execnz .LBB44_1891
	s_branch .LBB44_1892
.LBB44_3941:
	s_movk_i32 s4, 0x80
	v_cmp_eq_u16_sdwa s[12:13], v11, s4 src0_sel:BYTE_0 src1_sel:DWORD
	s_mov_b64 s[4:5], -1
                                        ; implicit-def: $sgpr10
	s_and_saveexec_b64 s[8:9], s[12:13]
; %bb.3942:
	s_mov_b32 s10, 0x7f800001
	s_xor_b64 s[4:5], exec, -1
; %bb.3943:
	s_or_b64 exec, exec, s[8:9]
	s_and_b64 s[4:5], s[4:5], exec
	s_or_saveexec_b64 s[6:7], s[6:7]
	v_mov_b32_e32 v9, s10
	s_xor_b64 exec, exec, s[6:7]
	s_cbranch_execz .LBB44_1894
.LBB44_3944:
	v_mov_b32_e32 v9, 0
	v_cmp_ne_u16_sdwa s[8:9], v11, v9 src0_sel:BYTE_0 src1_sel:DWORD
	s_andn2_b64 s[4:5], s[4:5], exec
	s_and_b64 s[8:9], s[8:9], exec
	s_or_b64 s[4:5], s[4:5], s[8:9]
	s_or_b64 exec, exec, s[6:7]
	s_and_saveexec_b64 s[6:7], s[4:5]
	s_cbranch_execnz .LBB44_1895
	s_branch .LBB44_1896
.LBB44_3945:
	s_movk_i32 s4, 0x80
	v_cmp_eq_u16_sdwa s[12:13], v9, s4 src0_sel:BYTE_0 src1_sel:DWORD
	s_mov_b64 s[4:5], -1
                                        ; implicit-def: $sgpr10
	s_and_saveexec_b64 s[8:9], s[12:13]
; %bb.3946:
	s_mov_b32 s10, 0x7f800001
	s_xor_b64 s[4:5], exec, -1
; %bb.3947:
	s_or_b64 exec, exec, s[8:9]
	s_and_b64 s[4:5], s[4:5], exec
	s_or_saveexec_b64 s[6:7], s[6:7]
	v_mov_b32_e32 v8, s10
	s_xor_b64 exec, exec, s[6:7]
	s_cbranch_execz .LBB44_1898
.LBB44_3948:
	v_mov_b32_e32 v8, 0
	v_cmp_ne_u16_sdwa s[8:9], v9, v8 src0_sel:BYTE_0 src1_sel:DWORD
	s_andn2_b64 s[4:5], s[4:5], exec
	s_and_b64 s[8:9], s[8:9], exec
	s_or_b64 s[4:5], s[4:5], s[8:9]
	s_or_b64 exec, exec, s[6:7]
	s_and_saveexec_b64 s[6:7], s[4:5]
	s_cbranch_execnz .LBB44_1899
	s_branch .LBB44_1900
.LBB44_3949:
	s_movk_i32 s4, 0x80
	v_cmp_eq_u16_sdwa s[12:13], v9, s4 src0_sel:BYTE_0 src1_sel:DWORD
	s_mov_b64 s[4:5], -1
                                        ; implicit-def: $sgpr10
	s_and_saveexec_b64 s[8:9], s[12:13]
; %bb.3950:
	s_mov_b32 s10, 0x7f800001
	s_xor_b64 s[4:5], exec, -1
; %bb.3951:
	s_or_b64 exec, exec, s[8:9]
	s_and_b64 s[4:5], s[4:5], exec
	s_or_saveexec_b64 s[6:7], s[6:7]
	v_mov_b32_e32 v10, s10
	s_xor_b64 exec, exec, s[6:7]
	s_cbranch_execz .LBB44_1902
.LBB44_3952:
	v_mov_b32_e32 v10, 0
	v_cmp_ne_u16_sdwa s[8:9], v9, v10 src0_sel:BYTE_0 src1_sel:DWORD
	s_andn2_b64 s[4:5], s[4:5], exec
	s_and_b64 s[8:9], s[8:9], exec
	s_or_b64 s[4:5], s[4:5], s[8:9]
	s_or_b64 exec, exec, s[6:7]
	s_and_saveexec_b64 s[6:7], s[4:5]
	s_cbranch_execnz .LBB44_1903
	s_branch .LBB44_1904
.LBB44_3953:
	s_movk_i32 s4, 0x80
	v_cmp_eq_u16_e32 vcc, s4, v9
	s_mov_b64 s[4:5], -1
                                        ; implicit-def: $sgpr10
	s_and_saveexec_b64 s[8:9], vcc
; %bb.3954:
	s_mov_b32 s10, 0x7f800001
	s_xor_b64 s[4:5], exec, -1
; %bb.3955:
	s_or_b64 exec, exec, s[8:9]
	s_and_b64 s[4:5], s[4:5], exec
                                        ; implicit-def: $vgpr9
	s_or_saveexec_b64 s[6:7], s[6:7]
	v_mov_b32_e32 v8, s10
	s_xor_b64 exec, exec, s[6:7]
	s_cbranch_execz .LBB44_1906
.LBB44_3956:
	v_cmp_ne_u16_e32 vcc, 0, v9
	s_andn2_b64 s[4:5], s[4:5], exec
	s_and_b64 s[8:9], vcc, exec
	v_mov_b32_e32 v8, 0
	s_or_b64 s[4:5], s[4:5], s[8:9]
	s_or_b64 exec, exec, s[6:7]
	s_and_saveexec_b64 s[6:7], s[4:5]
	s_cbranch_execnz .LBB44_1907
	s_branch .LBB44_1908
.LBB44_3957:
	s_movk_i32 s4, 0x80
	v_cmp_eq_u16_e32 vcc, s4, v9
	s_mov_b64 s[4:5], -1
                                        ; implicit-def: $sgpr10
	s_and_saveexec_b64 s[8:9], vcc
; %bb.3958:
	s_mov_b32 s10, 0x7f800001
	s_xor_b64 s[4:5], exec, -1
; %bb.3959:
	s_or_b64 exec, exec, s[8:9]
	s_and_b64 s[4:5], s[4:5], exec
                                        ; implicit-def: $vgpr9
	s_or_saveexec_b64 s[6:7], s[6:7]
	v_mov_b32_e32 v10, s10
	s_xor_b64 exec, exec, s[6:7]
	s_cbranch_execz .LBB44_1910
.LBB44_3960:
	v_cmp_ne_u16_e32 vcc, 0, v9
	s_andn2_b64 s[4:5], s[4:5], exec
	s_and_b64 s[8:9], vcc, exec
	v_mov_b32_e32 v10, 0
	s_or_b64 s[4:5], s[4:5], s[8:9]
	s_or_b64 exec, exec, s[6:7]
	s_and_saveexec_b64 s[6:7], s[4:5]
	s_cbranch_execnz .LBB44_1911
	s_branch .LBB44_1912
.LBB44_3961:
	s_movk_i32 s4, 0x80
	v_cmp_eq_u16_sdwa s[12:13], v15, s4 src0_sel:BYTE_3 src1_sel:DWORD
	s_mov_b64 s[4:5], -1
                                        ; implicit-def: $sgpr10
	s_and_saveexec_b64 s[8:9], s[12:13]
; %bb.3962:
	s_mov_b32 s10, 0x7f800001
	s_xor_b64 s[4:5], exec, -1
; %bb.3963:
	s_or_b64 exec, exec, s[8:9]
	s_and_b64 s[4:5], s[4:5], exec
	s_or_saveexec_b64 s[6:7], s[6:7]
	v_mov_b32_e32 v8, s10
	s_xor_b64 exec, exec, s[6:7]
	s_cbranch_execz .LBB44_1914
.LBB44_3964:
	v_mov_b32_e32 v8, 0
	v_cmp_ne_u16_sdwa s[8:9], v15, v8 src0_sel:BYTE_3 src1_sel:DWORD
	s_andn2_b64 s[4:5], s[4:5], exec
	s_and_b64 s[8:9], s[8:9], exec
	s_or_b64 s[4:5], s[4:5], s[8:9]
	s_or_b64 exec, exec, s[6:7]
	s_and_saveexec_b64 s[6:7], s[4:5]
	s_cbranch_execnz .LBB44_1915
	s_branch .LBB44_1916
.LBB44_3965:
	s_movk_i32 s4, 0x80
	v_cmp_eq_u16_sdwa s[12:13], v11, s4 src0_sel:BYTE_3 src1_sel:DWORD
	s_mov_b64 s[4:5], -1
                                        ; implicit-def: $sgpr10
	s_and_saveexec_b64 s[8:9], s[12:13]
; %bb.3966:
	s_mov_b32 s10, 0x7f800001
	s_xor_b64 s[4:5], exec, -1
; %bb.3967:
	s_or_b64 exec, exec, s[8:9]
	s_and_b64 s[4:5], s[4:5], exec
	s_or_saveexec_b64 s[6:7], s[6:7]
	v_mov_b32_e32 v9, s10
	s_xor_b64 exec, exec, s[6:7]
	s_cbranch_execz .LBB44_1918
.LBB44_3968:
	v_mov_b32_e32 v9, 0
	v_cmp_ne_u16_sdwa s[8:9], v11, v9 src0_sel:BYTE_3 src1_sel:DWORD
	s_andn2_b64 s[4:5], s[4:5], exec
	s_and_b64 s[8:9], s[8:9], exec
	s_or_b64 s[4:5], s[4:5], s[8:9]
	s_or_b64 exec, exec, s[6:7]
	s_and_saveexec_b64 s[6:7], s[4:5]
	s_cbranch_execnz .LBB44_1919
	s_branch .LBB44_1920
.LBB44_3969:
	s_movk_i32 s4, 0x80
	v_cmp_eq_u16_sdwa s[12:13], v4, s4 src0_sel:BYTE_0 src1_sel:DWORD
	s_mov_b64 s[4:5], -1
                                        ; implicit-def: $sgpr10
	s_and_saveexec_b64 s[8:9], s[12:13]
; %bb.3970:
	s_mov_b32 s10, 0x7f800001
	s_xor_b64 s[4:5], exec, -1
; %bb.3971:
	s_or_b64 exec, exec, s[8:9]
	s_and_b64 s[4:5], s[4:5], exec
	s_or_saveexec_b64 s[6:7], s[6:7]
	v_mov_b32_e32 v8, s10
	s_xor_b64 exec, exec, s[6:7]
	s_cbranch_execz .LBB44_1922
.LBB44_3972:
	v_mov_b32_e32 v8, 0
	v_cmp_ne_u16_sdwa s[8:9], v4, v8 src0_sel:BYTE_0 src1_sel:DWORD
	s_andn2_b64 s[4:5], s[4:5], exec
	s_and_b64 s[8:9], s[8:9], exec
	s_or_b64 s[4:5], s[4:5], s[8:9]
	s_or_b64 exec, exec, s[6:7]
	s_and_saveexec_b64 s[6:7], s[4:5]
	s_cbranch_execnz .LBB44_1923
	s_branch .LBB44_1924
.LBB44_3973:
	s_movk_i32 s4, 0x80
	v_cmp_eq_u16_sdwa s[12:13], v0, s4 src0_sel:BYTE_0 src1_sel:DWORD
	s_mov_b64 s[4:5], -1
                                        ; implicit-def: $sgpr10
	s_and_saveexec_b64 s[8:9], s[12:13]
; %bb.3974:
	s_mov_b32 s10, 0x7f800001
	s_xor_b64 s[4:5], exec, -1
; %bb.3975:
	s_or_b64 exec, exec, s[8:9]
	s_and_b64 s[4:5], s[4:5], exec
	s_or_saveexec_b64 s[6:7], s[6:7]
	v_mov_b32_e32 v9, s10
	s_xor_b64 exec, exec, s[6:7]
	s_cbranch_execz .LBB44_1926
.LBB44_3976:
	v_mov_b32_e32 v9, 0
	v_cmp_ne_u16_sdwa s[8:9], v0, v9 src0_sel:BYTE_0 src1_sel:DWORD
	s_andn2_b64 s[4:5], s[4:5], exec
	s_and_b64 s[8:9], s[8:9], exec
	s_or_b64 s[4:5], s[4:5], s[8:9]
	s_or_b64 exec, exec, s[6:7]
	s_and_saveexec_b64 s[6:7], s[4:5]
	s_cbranch_execnz .LBB44_1927
	s_branch .LBB44_1928
.LBB44_3977:
	s_movk_i32 s4, 0x80
	v_cmp_eq_u16_sdwa s[12:13], v9, s4 src0_sel:BYTE_0 src1_sel:DWORD
	s_mov_b64 s[4:5], -1
                                        ; implicit-def: $sgpr10
	s_and_saveexec_b64 s[8:9], s[12:13]
; %bb.3978:
	s_mov_b32 s10, 0x7f800001
	s_xor_b64 s[4:5], exec, -1
; %bb.3979:
	s_or_b64 exec, exec, s[8:9]
	s_and_b64 s[4:5], s[4:5], exec
	s_or_saveexec_b64 s[6:7], s[6:7]
	v_mov_b32_e32 v8, s10
	s_xor_b64 exec, exec, s[6:7]
	s_cbranch_execz .LBB44_1930
.LBB44_3980:
	v_mov_b32_e32 v8, 0
	v_cmp_ne_u16_sdwa s[8:9], v9, v8 src0_sel:BYTE_0 src1_sel:DWORD
	s_andn2_b64 s[4:5], s[4:5], exec
	s_and_b64 s[8:9], s[8:9], exec
	s_or_b64 s[4:5], s[4:5], s[8:9]
	s_or_b64 exec, exec, s[6:7]
	s_and_saveexec_b64 s[6:7], s[4:5]
	s_cbranch_execnz .LBB44_1931
	s_branch .LBB44_1932
.LBB44_3981:
	s_movk_i32 s4, 0x80
	v_cmp_eq_u16_sdwa s[12:13], v9, s4 src0_sel:BYTE_0 src1_sel:DWORD
	s_mov_b64 s[4:5], -1
                                        ; implicit-def: $sgpr10
	s_and_saveexec_b64 s[8:9], s[12:13]
; %bb.3982:
	s_mov_b32 s10, 0x7f800001
	s_xor_b64 s[4:5], exec, -1
; %bb.3983:
	s_or_b64 exec, exec, s[8:9]
	s_and_b64 s[4:5], s[4:5], exec
	s_or_saveexec_b64 s[6:7], s[6:7]
	v_mov_b32_e32 v10, s10
	s_xor_b64 exec, exec, s[6:7]
	s_cbranch_execz .LBB44_1934
.LBB44_3984:
	v_mov_b32_e32 v10, 0
	v_cmp_ne_u16_sdwa s[8:9], v9, v10 src0_sel:BYTE_0 src1_sel:DWORD
	s_andn2_b64 s[4:5], s[4:5], exec
	s_and_b64 s[8:9], s[8:9], exec
	s_or_b64 s[4:5], s[4:5], s[8:9]
	s_or_b64 exec, exec, s[6:7]
	s_and_saveexec_b64 s[6:7], s[4:5]
	s_cbranch_execnz .LBB44_1935
	s_branch .LBB44_1936
.LBB44_3985:
	s_movk_i32 s4, 0x80
	v_cmp_eq_u16_e32 vcc, s4, v9
	s_mov_b64 s[4:5], -1
                                        ; implicit-def: $sgpr10
	s_and_saveexec_b64 s[8:9], vcc
; %bb.3986:
	s_mov_b32 s10, 0x7f800001
	s_xor_b64 s[4:5], exec, -1
; %bb.3987:
	s_or_b64 exec, exec, s[8:9]
	s_and_b64 s[4:5], s[4:5], exec
                                        ; implicit-def: $vgpr9
	s_or_saveexec_b64 s[6:7], s[6:7]
	v_mov_b32_e32 v8, s10
	s_xor_b64 exec, exec, s[6:7]
	s_cbranch_execz .LBB44_1938
.LBB44_3988:
	v_cmp_ne_u16_e32 vcc, 0, v9
	s_andn2_b64 s[4:5], s[4:5], exec
	s_and_b64 s[8:9], vcc, exec
	v_mov_b32_e32 v8, 0
	s_or_b64 s[4:5], s[4:5], s[8:9]
	s_or_b64 exec, exec, s[6:7]
	s_and_saveexec_b64 s[6:7], s[4:5]
	s_cbranch_execnz .LBB44_1939
	s_branch .LBB44_1940
.LBB44_3989:
	s_movk_i32 s4, 0x80
	v_cmp_eq_u16_e32 vcc, s4, v9
	s_mov_b64 s[4:5], -1
                                        ; implicit-def: $sgpr10
	s_and_saveexec_b64 s[8:9], vcc
; %bb.3990:
	s_mov_b32 s10, 0x7f800001
	s_xor_b64 s[4:5], exec, -1
; %bb.3991:
	s_or_b64 exec, exec, s[8:9]
	s_and_b64 s[4:5], s[4:5], exec
                                        ; implicit-def: $vgpr9
	s_or_saveexec_b64 s[6:7], s[6:7]
	v_mov_b32_e32 v10, s10
	s_xor_b64 exec, exec, s[6:7]
	s_cbranch_execz .LBB44_1942
.LBB44_3992:
	v_cmp_ne_u16_e32 vcc, 0, v9
	s_andn2_b64 s[4:5], s[4:5], exec
	s_and_b64 s[8:9], vcc, exec
	v_mov_b32_e32 v10, 0
	s_or_b64 s[4:5], s[4:5], s[8:9]
	s_or_b64 exec, exec, s[6:7]
	s_and_saveexec_b64 s[6:7], s[4:5]
	s_cbranch_execnz .LBB44_1943
	s_branch .LBB44_1944
.LBB44_3993:
	s_movk_i32 s4, 0x80
	v_cmp_eq_u16_sdwa s[12:13], v4, s4 src0_sel:BYTE_3 src1_sel:DWORD
	s_mov_b64 s[4:5], -1
                                        ; implicit-def: $sgpr10
	s_and_saveexec_b64 s[8:9], s[12:13]
; %bb.3994:
	s_mov_b32 s10, 0x7f800001
	s_xor_b64 s[4:5], exec, -1
; %bb.3995:
	s_or_b64 exec, exec, s[8:9]
	s_and_b64 s[4:5], s[4:5], exec
	s_or_saveexec_b64 s[6:7], s[6:7]
	v_mov_b32_e32 v8, s10
	s_xor_b64 exec, exec, s[6:7]
	s_cbranch_execz .LBB44_1946
.LBB44_3996:
	v_mov_b32_e32 v8, 0
	v_cmp_ne_u16_sdwa s[8:9], v4, v8 src0_sel:BYTE_3 src1_sel:DWORD
	s_andn2_b64 s[4:5], s[4:5], exec
	s_and_b64 s[8:9], s[8:9], exec
	s_or_b64 s[4:5], s[4:5], s[8:9]
	s_or_b64 exec, exec, s[6:7]
	s_and_saveexec_b64 s[6:7], s[4:5]
	s_cbranch_execnz .LBB44_1947
	s_branch .LBB44_1948
.LBB44_3997:
	s_movk_i32 s4, 0x80
	v_cmp_eq_u16_sdwa s[12:13], v0, s4 src0_sel:BYTE_3 src1_sel:DWORD
	s_mov_b64 s[4:5], -1
                                        ; implicit-def: $sgpr10
	s_and_saveexec_b64 s[8:9], s[12:13]
; %bb.3998:
	s_mov_b32 s10, 0x7f800001
	s_xor_b64 s[4:5], exec, -1
; %bb.3999:
	s_or_b64 exec, exec, s[8:9]
	s_and_b64 s[4:5], s[4:5], exec
	s_or_saveexec_b64 s[6:7], s[6:7]
	v_mov_b32_e32 v4, s10
	s_xor_b64 exec, exec, s[6:7]
	s_cbranch_execz .LBB44_1950
.LBB44_4000:
	v_mov_b32_e32 v4, 0
	v_cmp_ne_u16_sdwa s[8:9], v0, v4 src0_sel:BYTE_3 src1_sel:DWORD
	s_andn2_b64 s[4:5], s[4:5], exec
	s_and_b64 s[8:9], s[8:9], exec
	s_or_b64 s[4:5], s[4:5], s[8:9]
	s_or_b64 exec, exec, s[6:7]
	s_and_saveexec_b64 s[6:7], s[4:5]
	s_cbranch_execnz .LBB44_1951
	s_branch .LBB44_1952
.LBB44_4001:
	s_movk_i32 s4, 0x80
	v_cmp_eq_u16_sdwa s[12:13], v5, s4 src0_sel:BYTE_0 src1_sel:DWORD
	s_mov_b64 s[4:5], -1
                                        ; implicit-def: $sgpr10
	s_and_saveexec_b64 s[8:9], s[12:13]
; %bb.4002:
	s_mov_b32 s10, 0x7f800001
	s_xor_b64 s[4:5], exec, -1
; %bb.4003:
	s_or_b64 exec, exec, s[8:9]
	s_and_b64 s[4:5], s[4:5], exec
	s_or_saveexec_b64 s[6:7], s[6:7]
	v_mov_b32_e32 v0, s10
	s_xor_b64 exec, exec, s[6:7]
	s_cbranch_execz .LBB44_1954
.LBB44_4004:
	v_mov_b32_e32 v0, 0
	v_cmp_ne_u16_sdwa s[8:9], v5, v0 src0_sel:BYTE_0 src1_sel:DWORD
	s_andn2_b64 s[4:5], s[4:5], exec
	s_and_b64 s[8:9], s[8:9], exec
	s_or_b64 s[4:5], s[4:5], s[8:9]
	s_or_b64 exec, exec, s[6:7]
	s_and_saveexec_b64 s[6:7], s[4:5]
	s_cbranch_execnz .LBB44_1955
	s_branch .LBB44_1956
.LBB44_4005:
	s_movk_i32 s4, 0x80
	v_cmp_eq_u16_sdwa s[12:13], v1, s4 src0_sel:BYTE_0 src1_sel:DWORD
	s_mov_b64 s[4:5], -1
                                        ; implicit-def: $sgpr10
	s_and_saveexec_b64 s[8:9], s[12:13]
; %bb.4006:
	s_mov_b32 s10, 0x7f800001
	s_xor_b64 s[4:5], exec, -1
; %bb.4007:
	s_or_b64 exec, exec, s[8:9]
	s_and_b64 s[4:5], s[4:5], exec
	s_or_saveexec_b64 s[6:7], s[6:7]
	v_mov_b32_e32 v4, s10
	s_xor_b64 exec, exec, s[6:7]
	s_cbranch_execz .LBB44_1958
.LBB44_4008:
	v_mov_b32_e32 v4, 0
	v_cmp_ne_u16_sdwa s[8:9], v1, v4 src0_sel:BYTE_0 src1_sel:DWORD
	s_andn2_b64 s[4:5], s[4:5], exec
	s_and_b64 s[8:9], s[8:9], exec
	s_or_b64 s[4:5], s[4:5], s[8:9]
	s_or_b64 exec, exec, s[6:7]
	s_and_saveexec_b64 s[6:7], s[4:5]
	s_cbranch_execnz .LBB44_1959
	s_branch .LBB44_1960
.LBB44_4009:
	s_movk_i32 s4, 0x80
	v_cmp_eq_u16_sdwa s[12:13], v4, s4 src0_sel:BYTE_0 src1_sel:DWORD
	s_mov_b64 s[4:5], -1
                                        ; implicit-def: $sgpr10
	s_and_saveexec_b64 s[8:9], s[12:13]
; %bb.4010:
	s_mov_b32 s10, 0x7f800001
	s_xor_b64 s[4:5], exec, -1
; %bb.4011:
	s_or_b64 exec, exec, s[8:9]
	s_and_b64 s[4:5], s[4:5], exec
	s_or_saveexec_b64 s[6:7], s[6:7]
	v_mov_b32_e32 v0, s10
	s_xor_b64 exec, exec, s[6:7]
	s_cbranch_execz .LBB44_1962
.LBB44_4012:
	v_mov_b32_e32 v0, 0
	v_cmp_ne_u16_sdwa s[8:9], v4, v0 src0_sel:BYTE_0 src1_sel:DWORD
	s_andn2_b64 s[4:5], s[4:5], exec
	s_and_b64 s[8:9], s[8:9], exec
	s_or_b64 s[4:5], s[4:5], s[8:9]
	s_or_b64 exec, exec, s[6:7]
	s_and_saveexec_b64 s[6:7], s[4:5]
	s_cbranch_execnz .LBB44_1963
	s_branch .LBB44_1964
.LBB44_4013:
	s_movk_i32 s4, 0x80
	v_cmp_eq_u16_sdwa s[12:13], v4, s4 src0_sel:BYTE_0 src1_sel:DWORD
	s_mov_b64 s[4:5], -1
                                        ; implicit-def: $sgpr10
	s_and_saveexec_b64 s[8:9], s[12:13]
; %bb.4014:
	s_mov_b32 s10, 0x7f800001
	s_xor_b64 s[4:5], exec, -1
; %bb.4015:
	s_or_b64 exec, exec, s[8:9]
	s_and_b64 s[4:5], s[4:5], exec
	s_or_saveexec_b64 s[6:7], s[6:7]
	v_mov_b32_e32 v8, s10
	s_xor_b64 exec, exec, s[6:7]
	s_cbranch_execz .LBB44_1966
.LBB44_4016:
	v_mov_b32_e32 v8, 0
	v_cmp_ne_u16_sdwa s[8:9], v4, v8 src0_sel:BYTE_0 src1_sel:DWORD
	s_andn2_b64 s[4:5], s[4:5], exec
	s_and_b64 s[8:9], s[8:9], exec
	s_or_b64 s[4:5], s[4:5], s[8:9]
	s_or_b64 exec, exec, s[6:7]
	s_and_saveexec_b64 s[6:7], s[4:5]
	s_cbranch_execnz .LBB44_1967
	s_branch .LBB44_1968
.LBB44_4017:
	s_movk_i32 s4, 0x80
	v_cmp_eq_u16_e32 vcc, s4, v4
	s_mov_b64 s[4:5], -1
                                        ; implicit-def: $sgpr10
	s_and_saveexec_b64 s[8:9], vcc
; %bb.4018:
	s_mov_b32 s10, 0x7f800001
	s_xor_b64 s[4:5], exec, -1
; %bb.4019:
	s_or_b64 exec, exec, s[8:9]
	s_and_b64 s[4:5], s[4:5], exec
                                        ; implicit-def: $vgpr4
	s_or_saveexec_b64 s[6:7], s[6:7]
	v_mov_b32_e32 v0, s10
	s_xor_b64 exec, exec, s[6:7]
	s_cbranch_execz .LBB44_1970
.LBB44_4020:
	v_cmp_ne_u16_e32 vcc, 0, v4
	s_andn2_b64 s[4:5], s[4:5], exec
	s_and_b64 s[8:9], vcc, exec
	v_mov_b32_e32 v0, 0
	s_or_b64 s[4:5], s[4:5], s[8:9]
	s_or_b64 exec, exec, s[6:7]
	s_and_saveexec_b64 s[6:7], s[4:5]
	s_cbranch_execnz .LBB44_1971
	s_branch .LBB44_1972
.LBB44_4021:
	s_movk_i32 s4, 0x80
	v_cmp_eq_u16_e32 vcc, s4, v4
	s_mov_b64 s[4:5], -1
                                        ; implicit-def: $sgpr10
	s_and_saveexec_b64 s[8:9], vcc
; %bb.4022:
	s_mov_b32 s10, 0x7f800001
	s_xor_b64 s[4:5], exec, -1
; %bb.4023:
	s_or_b64 exec, exec, s[8:9]
	s_and_b64 s[4:5], s[4:5], exec
                                        ; implicit-def: $vgpr4
	s_or_saveexec_b64 s[6:7], s[6:7]
	v_mov_b32_e32 v8, s10
	s_xor_b64 exec, exec, s[6:7]
	s_cbranch_execz .LBB44_1974
.LBB44_4024:
	v_cmp_ne_u16_e32 vcc, 0, v4
	s_andn2_b64 s[4:5], s[4:5], exec
	s_and_b64 s[8:9], vcc, exec
	v_mov_b32_e32 v8, 0
	s_or_b64 s[4:5], s[4:5], s[8:9]
	s_or_b64 exec, exec, s[6:7]
	s_and_saveexec_b64 s[6:7], s[4:5]
	s_cbranch_execnz .LBB44_1975
	s_branch .LBB44_1976
.LBB44_4025:
	s_movk_i32 s4, 0x80
	v_cmp_eq_u16_sdwa s[12:13], v5, s4 src0_sel:BYTE_3 src1_sel:DWORD
	s_mov_b64 s[4:5], -1
                                        ; implicit-def: $sgpr10
	s_and_saveexec_b64 s[8:9], s[12:13]
; %bb.4026:
	s_mov_b32 s10, 0x7f800001
	s_xor_b64 s[4:5], exec, -1
; %bb.4027:
	s_or_b64 exec, exec, s[8:9]
	s_and_b64 s[4:5], s[4:5], exec
	s_or_saveexec_b64 s[6:7], s[6:7]
	v_mov_b32_e32 v0, s10
	s_xor_b64 exec, exec, s[6:7]
	s_cbranch_execz .LBB44_1978
.LBB44_4028:
	v_mov_b32_e32 v0, 0
	v_cmp_ne_u16_sdwa s[8:9], v5, v0 src0_sel:BYTE_3 src1_sel:DWORD
	s_andn2_b64 s[4:5], s[4:5], exec
	s_and_b64 s[8:9], s[8:9], exec
	s_or_b64 s[4:5], s[4:5], s[8:9]
	s_or_b64 exec, exec, s[6:7]
	s_and_saveexec_b64 s[6:7], s[4:5]
	s_cbranch_execnz .LBB44_1979
	s_branch .LBB44_1980
.LBB44_4029:
	s_movk_i32 s4, 0x80
	v_cmp_eq_u16_sdwa s[12:13], v1, s4 src0_sel:BYTE_3 src1_sel:DWORD
	s_mov_b64 s[4:5], -1
                                        ; implicit-def: $sgpr10
	s_and_saveexec_b64 s[8:9], s[12:13]
; %bb.4030:
	s_mov_b32 s10, 0x7f800001
	s_xor_b64 s[4:5], exec, -1
; %bb.4031:
	s_or_b64 exec, exec, s[8:9]
	s_and_b64 s[4:5], s[4:5], exec
	s_or_saveexec_b64 s[6:7], s[6:7]
	v_mov_b32_e32 v4, s10
	s_xor_b64 exec, exec, s[6:7]
	s_cbranch_execz .LBB44_1982
.LBB44_4032:
	v_mov_b32_e32 v4, 0
	v_cmp_ne_u16_sdwa s[8:9], v1, v4 src0_sel:BYTE_3 src1_sel:DWORD
	s_andn2_b64 s[4:5], s[4:5], exec
	s_and_b64 s[8:9], s[8:9], exec
	s_or_b64 s[4:5], s[4:5], s[8:9]
	s_or_b64 exec, exec, s[6:7]
	s_and_saveexec_b64 s[6:7], s[4:5]
	s_cbranch_execnz .LBB44_1983
	s_branch .LBB44_1984
.LBB44_4033:
	s_movk_i32 s4, 0x80
	v_cmp_eq_u16_sdwa s[12:13], v6, s4 src0_sel:BYTE_0 src1_sel:DWORD
	s_mov_b64 s[4:5], -1
                                        ; implicit-def: $sgpr10
	s_and_saveexec_b64 s[8:9], s[12:13]
; %bb.4034:
	s_mov_b32 s10, 0x7f800001
	s_xor_b64 s[4:5], exec, -1
; %bb.4035:
	s_or_b64 exec, exec, s[8:9]
	s_and_b64 s[4:5], s[4:5], exec
	s_or_saveexec_b64 s[6:7], s[6:7]
	v_mov_b32_e32 v0, s10
	s_xor_b64 exec, exec, s[6:7]
	s_cbranch_execz .LBB44_1986
.LBB44_4036:
	v_mov_b32_e32 v0, 0
	v_cmp_ne_u16_sdwa s[8:9], v6, v0 src0_sel:BYTE_0 src1_sel:DWORD
	s_andn2_b64 s[4:5], s[4:5], exec
	s_and_b64 s[8:9], s[8:9], exec
	s_or_b64 s[4:5], s[4:5], s[8:9]
	s_or_b64 exec, exec, s[6:7]
	s_and_saveexec_b64 s[6:7], s[4:5]
	s_cbranch_execnz .LBB44_1987
	s_branch .LBB44_1988
.LBB44_4037:
	s_movk_i32 s4, 0x80
	v_cmp_eq_u16_sdwa s[12:13], v2, s4 src0_sel:BYTE_0 src1_sel:DWORD
	s_mov_b64 s[4:5], -1
                                        ; implicit-def: $sgpr10
	s_and_saveexec_b64 s[8:9], s[12:13]
; %bb.4038:
	s_mov_b32 s10, 0x7f800001
	s_xor_b64 s[4:5], exec, -1
; %bb.4039:
	s_or_b64 exec, exec, s[8:9]
	s_and_b64 s[4:5], s[4:5], exec
	s_or_saveexec_b64 s[6:7], s[6:7]
	v_mov_b32_e32 v1, s10
	s_xor_b64 exec, exec, s[6:7]
	s_cbranch_execz .LBB44_1990
.LBB44_4040:
	v_mov_b32_e32 v1, 0
	v_cmp_ne_u16_sdwa s[8:9], v2, v1 src0_sel:BYTE_0 src1_sel:DWORD
	s_andn2_b64 s[4:5], s[4:5], exec
	s_and_b64 s[8:9], s[8:9], exec
	s_or_b64 s[4:5], s[4:5], s[8:9]
	s_or_b64 exec, exec, s[6:7]
	s_and_saveexec_b64 s[6:7], s[4:5]
	s_cbranch_execnz .LBB44_1991
	s_branch .LBB44_1992
.LBB44_4041:
	s_movk_i32 s4, 0x80
	v_cmp_eq_u16_sdwa s[12:13], v1, s4 src0_sel:BYTE_0 src1_sel:DWORD
	s_mov_b64 s[4:5], -1
                                        ; implicit-def: $sgpr10
	s_and_saveexec_b64 s[8:9], s[12:13]
; %bb.4042:
	s_mov_b32 s10, 0x7f800001
	s_xor_b64 s[4:5], exec, -1
; %bb.4043:
	s_or_b64 exec, exec, s[8:9]
	s_and_b64 s[4:5], s[4:5], exec
	s_or_saveexec_b64 s[6:7], s[6:7]
	v_mov_b32_e32 v0, s10
	s_xor_b64 exec, exec, s[6:7]
	s_cbranch_execz .LBB44_1994
.LBB44_4044:
	v_mov_b32_e32 v0, 0
	v_cmp_ne_u16_sdwa s[8:9], v1, v0 src0_sel:BYTE_0 src1_sel:DWORD
	s_andn2_b64 s[4:5], s[4:5], exec
	s_and_b64 s[8:9], s[8:9], exec
	s_or_b64 s[4:5], s[4:5], s[8:9]
	s_or_b64 exec, exec, s[6:7]
	s_and_saveexec_b64 s[6:7], s[4:5]
	s_cbranch_execnz .LBB44_1995
	s_branch .LBB44_1996
.LBB44_4045:
	s_movk_i32 s4, 0x80
	v_cmp_eq_u16_sdwa s[12:13], v1, s4 src0_sel:BYTE_0 src1_sel:DWORD
	s_mov_b64 s[4:5], -1
                                        ; implicit-def: $sgpr10
	s_and_saveexec_b64 s[8:9], s[12:13]
; %bb.4046:
	s_mov_b32 s10, 0x7f800001
	s_xor_b64 s[4:5], exec, -1
; %bb.4047:
	s_or_b64 exec, exec, s[8:9]
	s_and_b64 s[4:5], s[4:5], exec
	s_or_saveexec_b64 s[6:7], s[6:7]
	v_mov_b32_e32 v4, s10
	s_xor_b64 exec, exec, s[6:7]
	s_cbranch_execz .LBB44_1998
.LBB44_4048:
	v_mov_b32_e32 v4, 0
	v_cmp_ne_u16_sdwa s[8:9], v1, v4 src0_sel:BYTE_0 src1_sel:DWORD
	s_andn2_b64 s[4:5], s[4:5], exec
	s_and_b64 s[8:9], s[8:9], exec
	s_or_b64 s[4:5], s[4:5], s[8:9]
	s_or_b64 exec, exec, s[6:7]
	s_and_saveexec_b64 s[6:7], s[4:5]
	s_cbranch_execnz .LBB44_1999
	s_branch .LBB44_2000
.LBB44_4049:
	s_movk_i32 s4, 0x80
	v_cmp_eq_u16_e32 vcc, s4, v1
	s_mov_b64 s[4:5], -1
                                        ; implicit-def: $sgpr10
	s_and_saveexec_b64 s[8:9], vcc
; %bb.4050:
	s_mov_b32 s10, 0x7f800001
	s_xor_b64 s[4:5], exec, -1
; %bb.4051:
	s_or_b64 exec, exec, s[8:9]
	s_and_b64 s[4:5], s[4:5], exec
                                        ; implicit-def: $vgpr1
	s_or_saveexec_b64 s[6:7], s[6:7]
	v_mov_b32_e32 v0, s10
	s_xor_b64 exec, exec, s[6:7]
	s_cbranch_execz .LBB44_2002
.LBB44_4052:
	v_cmp_ne_u16_e32 vcc, 0, v1
	s_andn2_b64 s[4:5], s[4:5], exec
	s_and_b64 s[8:9], vcc, exec
	v_mov_b32_e32 v0, 0
	s_or_b64 s[4:5], s[4:5], s[8:9]
	s_or_b64 exec, exec, s[6:7]
	s_and_saveexec_b64 s[6:7], s[4:5]
	s_cbranch_execnz .LBB44_2003
	s_branch .LBB44_2004
.LBB44_4053:
	s_movk_i32 s4, 0x80
	v_cmp_eq_u16_e32 vcc, s4, v1
	s_mov_b64 s[4:5], -1
                                        ; implicit-def: $sgpr10
	s_and_saveexec_b64 s[8:9], vcc
; %bb.4054:
	s_mov_b32 s10, 0x7f800001
	s_xor_b64 s[4:5], exec, -1
; %bb.4055:
	s_or_b64 exec, exec, s[8:9]
	s_and_b64 s[4:5], s[4:5], exec
                                        ; implicit-def: $vgpr1
	s_or_saveexec_b64 s[6:7], s[6:7]
	v_mov_b32_e32 v4, s10
	s_xor_b64 exec, exec, s[6:7]
	s_cbranch_execz .LBB44_2006
.LBB44_4056:
	v_cmp_ne_u16_e32 vcc, 0, v1
	s_andn2_b64 s[4:5], s[4:5], exec
	s_and_b64 s[8:9], vcc, exec
	v_mov_b32_e32 v4, 0
	s_or_b64 s[4:5], s[4:5], s[8:9]
	s_or_b64 exec, exec, s[6:7]
	s_and_saveexec_b64 s[6:7], s[4:5]
	s_cbranch_execnz .LBB44_2007
	s_branch .LBB44_2008
.LBB44_4057:
	s_movk_i32 s4, 0x80
	v_cmp_eq_u16_sdwa s[12:13], v6, s4 src0_sel:BYTE_3 src1_sel:DWORD
	s_mov_b64 s[4:5], -1
                                        ; implicit-def: $sgpr10
	s_and_saveexec_b64 s[8:9], s[12:13]
; %bb.4058:
	s_mov_b32 s10, 0x7f800001
	s_xor_b64 s[4:5], exec, -1
; %bb.4059:
	s_or_b64 exec, exec, s[8:9]
	s_and_b64 s[4:5], s[4:5], exec
	s_or_saveexec_b64 s[6:7], s[6:7]
	v_mov_b32_e32 v0, s10
	s_xor_b64 exec, exec, s[6:7]
	s_cbranch_execz .LBB44_2010
.LBB44_4060:
	v_mov_b32_e32 v0, 0
	v_cmp_ne_u16_sdwa s[8:9], v6, v0 src0_sel:BYTE_3 src1_sel:DWORD
	s_andn2_b64 s[4:5], s[4:5], exec
	s_and_b64 s[8:9], s[8:9], exec
	s_or_b64 s[4:5], s[4:5], s[8:9]
	s_or_b64 exec, exec, s[6:7]
	s_and_saveexec_b64 s[6:7], s[4:5]
	s_cbranch_execnz .LBB44_2011
	s_branch .LBB44_2012
.LBB44_4061:
	s_movk_i32 s4, 0x80
	v_cmp_eq_u16_sdwa s[12:13], v2, s4 src0_sel:BYTE_3 src1_sel:DWORD
	s_mov_b64 s[4:5], -1
                                        ; implicit-def: $sgpr10
	s_and_saveexec_b64 s[8:9], s[12:13]
; %bb.4062:
	s_mov_b32 s10, 0x7f800001
	s_xor_b64 s[4:5], exec, -1
; %bb.4063:
	s_or_b64 exec, exec, s[8:9]
	s_and_b64 s[4:5], s[4:5], exec
	s_or_saveexec_b64 s[6:7], s[6:7]
	v_mov_b32_e32 v1, s10
	s_xor_b64 exec, exec, s[6:7]
	s_cbranch_execz .LBB44_2014
.LBB44_4064:
	v_mov_b32_e32 v1, 0
	v_cmp_ne_u16_sdwa s[8:9], v2, v1 src0_sel:BYTE_3 src1_sel:DWORD
	s_andn2_b64 s[4:5], s[4:5], exec
	s_and_b64 s[8:9], s[8:9], exec
	s_or_b64 s[4:5], s[4:5], s[8:9]
	s_or_b64 exec, exec, s[6:7]
	s_and_saveexec_b64 s[6:7], s[4:5]
	s_cbranch_execnz .LBB44_2015
	s_branch .LBB44_2016
.LBB44_4065:
	s_movk_i32 s4, 0x80
	v_cmp_eq_u16_sdwa s[12:13], v7, s4 src0_sel:BYTE_0 src1_sel:DWORD
	s_mov_b64 s[4:5], -1
                                        ; implicit-def: $sgpr10
	s_and_saveexec_b64 s[8:9], s[12:13]
; %bb.4066:
	s_mov_b32 s10, 0x7f800001
	s_xor_b64 s[4:5], exec, -1
; %bb.4067:
	s_or_b64 exec, exec, s[8:9]
	s_and_b64 s[4:5], s[4:5], exec
	s_or_saveexec_b64 s[6:7], s[6:7]
	v_mov_b32_e32 v0, s10
	s_xor_b64 exec, exec, s[6:7]
	s_cbranch_execz .LBB44_2018
.LBB44_4068:
	v_mov_b32_e32 v0, 0
	v_cmp_ne_u16_sdwa s[8:9], v7, v0 src0_sel:BYTE_0 src1_sel:DWORD
	s_andn2_b64 s[4:5], s[4:5], exec
	s_and_b64 s[8:9], s[8:9], exec
	s_or_b64 s[4:5], s[4:5], s[8:9]
	s_or_b64 exec, exec, s[6:7]
	s_and_saveexec_b64 s[6:7], s[4:5]
	s_cbranch_execnz .LBB44_2019
	s_branch .LBB44_2020
.LBB44_4069:
	s_movk_i32 s4, 0x80
	v_cmp_eq_u16_sdwa s[12:13], v3, s4 src0_sel:BYTE_0 src1_sel:DWORD
	s_mov_b64 s[4:5], -1
                                        ; implicit-def: $sgpr10
	s_and_saveexec_b64 s[8:9], s[12:13]
; %bb.4070:
	s_mov_b32 s10, 0x7f800001
	s_xor_b64 s[4:5], exec, -1
; %bb.4071:
	s_or_b64 exec, exec, s[8:9]
	s_and_b64 s[4:5], s[4:5], exec
	s_or_saveexec_b64 s[6:7], s[6:7]
	v_mov_b32_e32 v1, s10
	s_xor_b64 exec, exec, s[6:7]
	s_cbranch_execz .LBB44_2022
.LBB44_4072:
	v_mov_b32_e32 v1, 0
	v_cmp_ne_u16_sdwa s[8:9], v3, v1 src0_sel:BYTE_0 src1_sel:DWORD
	s_andn2_b64 s[4:5], s[4:5], exec
	s_and_b64 s[8:9], s[8:9], exec
	s_or_b64 s[4:5], s[4:5], s[8:9]
	s_or_b64 exec, exec, s[6:7]
	s_and_saveexec_b64 s[6:7], s[4:5]
	s_cbranch_execnz .LBB44_2023
	s_branch .LBB44_2024
.LBB44_4073:
	s_movk_i32 s4, 0x80
	v_cmp_eq_u16_sdwa s[12:13], v1, s4 src0_sel:BYTE_0 src1_sel:DWORD
	s_mov_b64 s[4:5], -1
                                        ; implicit-def: $sgpr10
	s_and_saveexec_b64 s[8:9], s[12:13]
; %bb.4074:
	s_mov_b32 s10, 0x7f800001
	s_xor_b64 s[4:5], exec, -1
; %bb.4075:
	s_or_b64 exec, exec, s[8:9]
	s_and_b64 s[4:5], s[4:5], exec
	s_or_saveexec_b64 s[6:7], s[6:7]
	v_mov_b32_e32 v0, s10
	s_xor_b64 exec, exec, s[6:7]
	s_cbranch_execz .LBB44_2026
.LBB44_4076:
	v_mov_b32_e32 v0, 0
	v_cmp_ne_u16_sdwa s[8:9], v1, v0 src0_sel:BYTE_0 src1_sel:DWORD
	s_andn2_b64 s[4:5], s[4:5], exec
	s_and_b64 s[8:9], s[8:9], exec
	s_or_b64 s[4:5], s[4:5], s[8:9]
	s_or_b64 exec, exec, s[6:7]
	s_and_saveexec_b64 s[6:7], s[4:5]
	s_cbranch_execnz .LBB44_2027
	s_branch .LBB44_2028
.LBB44_4077:
	s_movk_i32 s4, 0x80
	v_cmp_eq_u16_sdwa s[12:13], v1, s4 src0_sel:BYTE_0 src1_sel:DWORD
	s_mov_b64 s[4:5], -1
                                        ; implicit-def: $sgpr10
	s_and_saveexec_b64 s[8:9], s[12:13]
; %bb.4078:
	s_mov_b32 s10, 0x7f800001
	s_xor_b64 s[4:5], exec, -1
; %bb.4079:
	s_or_b64 exec, exec, s[8:9]
	s_and_b64 s[4:5], s[4:5], exec
	s_or_saveexec_b64 s[6:7], s[6:7]
	v_mov_b32_e32 v2, s10
	s_xor_b64 exec, exec, s[6:7]
	s_cbranch_execz .LBB44_2030
.LBB44_4080:
	v_mov_b32_e32 v2, 0
	v_cmp_ne_u16_sdwa s[8:9], v1, v2 src0_sel:BYTE_0 src1_sel:DWORD
	s_andn2_b64 s[4:5], s[4:5], exec
	s_and_b64 s[8:9], s[8:9], exec
	s_or_b64 s[4:5], s[4:5], s[8:9]
	s_or_b64 exec, exec, s[6:7]
	s_and_saveexec_b64 s[6:7], s[4:5]
	s_cbranch_execnz .LBB44_2031
	s_branch .LBB44_2032
.LBB44_4081:
	s_movk_i32 s4, 0x80
	v_cmp_eq_u16_e32 vcc, s4, v1
	s_mov_b64 s[4:5], -1
                                        ; implicit-def: $sgpr10
	s_and_saveexec_b64 s[8:9], vcc
; %bb.4082:
	s_mov_b32 s10, 0x7f800001
	s_xor_b64 s[4:5], exec, -1
; %bb.4083:
	s_or_b64 exec, exec, s[8:9]
	s_and_b64 s[4:5], s[4:5], exec
                                        ; implicit-def: $vgpr1
	s_or_saveexec_b64 s[6:7], s[6:7]
	v_mov_b32_e32 v0, s10
	s_xor_b64 exec, exec, s[6:7]
	s_cbranch_execz .LBB44_2034
.LBB44_4084:
	v_cmp_ne_u16_e32 vcc, 0, v1
	s_andn2_b64 s[4:5], s[4:5], exec
	s_and_b64 s[8:9], vcc, exec
	v_mov_b32_e32 v0, 0
	s_or_b64 s[4:5], s[4:5], s[8:9]
	s_or_b64 exec, exec, s[6:7]
	s_and_saveexec_b64 s[6:7], s[4:5]
	s_cbranch_execnz .LBB44_2035
	s_branch .LBB44_2036
.LBB44_4085:
	s_movk_i32 s4, 0x80
	v_cmp_eq_u16_e32 vcc, s4, v1
	s_mov_b64 s[4:5], -1
                                        ; implicit-def: $sgpr10
	s_and_saveexec_b64 s[8:9], vcc
; %bb.4086:
	s_mov_b32 s10, 0x7f800001
	s_xor_b64 s[4:5], exec, -1
; %bb.4087:
	s_or_b64 exec, exec, s[8:9]
	s_and_b64 s[4:5], s[4:5], exec
                                        ; implicit-def: $vgpr1
	s_or_saveexec_b64 s[6:7], s[6:7]
	v_mov_b32_e32 v2, s10
	s_xor_b64 exec, exec, s[6:7]
	s_cbranch_execz .LBB44_2038
.LBB44_4088:
	v_cmp_ne_u16_e32 vcc, 0, v1
	s_andn2_b64 s[4:5], s[4:5], exec
	s_and_b64 s[8:9], vcc, exec
	v_mov_b32_e32 v2, 0
	s_or_b64 s[4:5], s[4:5], s[8:9]
	s_or_b64 exec, exec, s[6:7]
	s_and_saveexec_b64 s[6:7], s[4:5]
	s_cbranch_execnz .LBB44_2039
	s_branch .LBB44_2040
.LBB44_4089:
	s_movk_i32 s4, 0x80
	v_cmp_eq_u16_sdwa s[12:13], v7, s4 src0_sel:BYTE_3 src1_sel:DWORD
	s_mov_b64 s[4:5], -1
                                        ; implicit-def: $sgpr10
	s_and_saveexec_b64 s[8:9], s[12:13]
; %bb.4090:
	s_mov_b32 s10, 0x7f800001
	s_xor_b64 s[4:5], exec, -1
; %bb.4091:
	s_or_b64 exec, exec, s[8:9]
	s_and_b64 s[4:5], s[4:5], exec
	s_or_saveexec_b64 s[6:7], s[6:7]
	v_mov_b32_e32 v0, s10
	s_xor_b64 exec, exec, s[6:7]
	s_cbranch_execz .LBB44_2042
.LBB44_4092:
	v_mov_b32_e32 v0, 0
	v_cmp_ne_u16_sdwa s[8:9], v7, v0 src0_sel:BYTE_3 src1_sel:DWORD
	s_andn2_b64 s[4:5], s[4:5], exec
	s_and_b64 s[8:9], s[8:9], exec
	s_or_b64 s[4:5], s[4:5], s[8:9]
	s_or_b64 exec, exec, s[6:7]
	s_and_saveexec_b64 s[6:7], s[4:5]
	s_cbranch_execnz .LBB44_2043
	s_branch .LBB44_2044
.LBB44_4093:
	s_movk_i32 s4, 0x80
	v_cmp_eq_u16_sdwa s[12:13], v3, s4 src0_sel:BYTE_3 src1_sel:DWORD
	s_mov_b64 s[4:5], -1
                                        ; implicit-def: $sgpr10
	s_and_saveexec_b64 s[8:9], s[12:13]
; %bb.4094:
	s_mov_b32 s10, 0x7f800001
	s_xor_b64 s[4:5], exec, -1
; %bb.4095:
	s_or_b64 exec, exec, s[8:9]
	s_and_b64 s[4:5], s[4:5], exec
	s_or_saveexec_b64 s[6:7], s[6:7]
	v_mov_b32_e32 v1, s10
	s_xor_b64 exec, exec, s[6:7]
	s_cbranch_execz .LBB44_2046
.LBB44_4096:
	v_mov_b32_e32 v1, 0
	v_cmp_ne_u16_sdwa s[8:9], v3, v1 src0_sel:BYTE_3 src1_sel:DWORD
	s_andn2_b64 s[4:5], s[4:5], exec
	s_and_b64 s[8:9], s[8:9], exec
	s_or_b64 s[4:5], s[4:5], s[8:9]
	s_or_b64 exec, exec, s[6:7]
	s_and_saveexec_b64 s[6:7], s[4:5]
	s_cbranch_execnz .LBB44_2047
	s_branch .LBB44_2048
.Lfunc_end44:
	.size	_ZNK2ck6detail7applierIiJLi0ELi1ELi2ELi3ELi4ELi5ELi6ELi7EEEclIZNKS_11static_fordINS_8SequenceIJLi1ELi8EEEENS5_IJLi0ELi1EEEEEclIZZNKS_52BlockwiseGemmXdlops_pipeline_bpreshuffle_bdequant_v3ILNS_26BlockGemmPipelineSchedulerE0ELi256ENS_9f8_fnuz_tENS_7pk_i4_tESC_fNS_16TensorDescriptorINS_5TupleIJNS_5EmbedINSF_IJNS_17integral_constantIiLi8EEENSH_IiLi256EEENSH_IiLi16EEEEEENSF_IJSK_NSH_IiLi128EEENSH_IiLi1EEEEEELb0EEENS_3XorINSF_IJSJ_SI_EEELb1EEENS_11PassThroughISK_EENS_7UnMergeINSF_IJSI_SN_EEELb0EEENST_ISJ_EESU_NST_ISI_EENS_21Merge_v3_division_modINSF_IJSJ_SN_EEEEESU_EEENSF_IJNS5_IJLi0EEEENS5_IJLi2ELi1EEEENS5_IJLi3EEEENS5_IJLi5EEEENS5_IJLi4EEEENS5_IJLi6EEEENS5_IJLi7EEEENS5_IJLi9ELi8EEEENS5_IJLi10EEEEEEENSF_IJNS5_IJLi1ELi2ELi3EEEENS5_IJLi4ELi5EEEES19_NS5_IJLi7ELi8EEEENS5_IJLi9EEEES1C_NS5_IJLi11EEEENS5_IJLi12EEEENS5_IJLi13EEEEEEENS5_IJLi11ELi12ELi13EEEENSH_IlLl32768EEEEENSE_INSF_IJNSV_INSF_IJSI_SN_SN_NSH_IiLi32EEEEEELb0EEEEEENSF_IJS14_EEENSF_IJNS5_IJLi1ELi2ELi3ELi4EEEEEEES1U_NSH_IlLl256EEEEENSE_INSF_IJSP_SS_SU_SX_SY_SU_SZ_S12_SU_NS10_INSF_IJSI_SK_EEEEENSV_INSF_IJSI_NSH_IiLi2EEESK_EEELb0EEEEEENSF_IJS14_S15_S16_S17_S18_S19_S1A_S1B_S1C_NS5_IJLi11ELi13EEEES1J_EEENSF_IJS1E_S1F_S19_S1G_S1H_S1C_S1I_S1J_S1K_NS5_IJLi14EEEENS5_IJLi15ELi16ELi17EEEEEEENS5_IJLi15ELi16ELi17ELi14EEEES1N_EENSE_INSF_IJS1R_NS10_ISW_EES22_EEENSF_IJS14_NS5_IJLi1ELi3EEEENS5_IJLi2EEEEEEENSF_IJS1U_S17_NS5_IJLi6ELi7ELi8EEEEEEENS5_IJLi6ELi7ELi8ELi5EEEES1W_EELi16ELi32ELi256ELi256ELi128ELi16ELi16ELi8ELi8ELi32ELb0EE3RunILb1ELNS_10TailNumberE1ENSE_INSF_IJNSG_INSF_IJiiEEENSF_IJiSN_EEELb0EEENSV_IS2N_Lb0EEENST_IiEEEEENSF_IJS14_S2E_NS5_IJLi1EEEEEEENSF_IJNS5_IJLi1ELi2EEEENS5_IJLi3ELi4EEEES17_EEENS5_IJLi3ELi5ELi4EEEElEES1O_NS_35ThreadGroupTensorSliceTransfer_v4r1INS_15ThisThreadBlockILi256EEENS_16tensor_operation12element_wise11PassThroughES35_LNS_25InMemoryDataOperationEnumE0ENS5_IJLi8ELi256ELi16EEEENS5_IJLi8ELi32ELi1EEEENS5_IJLi1ELi0ELi2EEEESC_SC_RKS2Z_KS1O_S39_NS5_IJLi0ELi1ELi2EEEELi2ELi2ELi16ELi16ELi1ELi1ELb0ELb1ELi2EiEENS_13DynamicBufferILNS_16AddressSpaceEnumE1EKSC_lLb1ELNS_22AmdBufferCoherenceEnumE0EiEENSF_IJNS3F_ILS3G_2ESC_S1N_Lb1ELS3I_0EiEES3K_EEENSF_IJiiiEEENSE_INSF_IJNSG_INSF_IJiiiiEEENSF_IJiiiSN_EEELb0EEEEEES1T_S1V_S1U_lEENS_32ThreadwiseTensorSliceTransfer_v2ISD_SD_RKS3R_KS1X_NS5_IJLi8ELi1ELi1ELi32EEEENS5_IJLi1ELi2ELi0ELi3EEEELi3ELi32ELi0ELb1ELb0ELb0EEENS3F_ILS3G_1EKSD_lLb1ELS3I_0EiEENSF_IJNS_12StaticBufferILS3G_4ESD_Li256ELb1EEES42_EEES3N_NS_25StaticBufferTupleOfVectorILS3G_4EfLi64ELi4ELb1ELb0EEEEEvRKT1_RKT2_RT3_RKT4_RT5_RKT6_RKT7_RT8_RKT9_RT10_RKT11_RT12_iENKUlT_E0_clINSH_IiLi0EEEEEDaS51_EUlS51_E_EEvS51_EUlS51_E_EEvS51_, .Lfunc_end44-_ZNK2ck6detail7applierIiJLi0ELi1ELi2ELi3ELi4ELi5ELi6ELi7EEEclIZNKS_11static_fordINS_8SequenceIJLi1ELi8EEEENS5_IJLi0ELi1EEEEEclIZZNKS_52BlockwiseGemmXdlops_pipeline_bpreshuffle_bdequant_v3ILNS_26BlockGemmPipelineSchedulerE0ELi256ENS_9f8_fnuz_tENS_7pk_i4_tESC_fNS_16TensorDescriptorINS_5TupleIJNS_5EmbedINSF_IJNS_17integral_constantIiLi8EEENSH_IiLi256EEENSH_IiLi16EEEEEENSF_IJSK_NSH_IiLi128EEENSH_IiLi1EEEEEELb0EEENS_3XorINSF_IJSJ_SI_EEELb1EEENS_11PassThroughISK_EENS_7UnMergeINSF_IJSI_SN_EEELb0EEENST_ISJ_EESU_NST_ISI_EENS_21Merge_v3_division_modINSF_IJSJ_SN_EEEEESU_EEENSF_IJNS5_IJLi0EEEENS5_IJLi2ELi1EEEENS5_IJLi3EEEENS5_IJLi5EEEENS5_IJLi4EEEENS5_IJLi6EEEENS5_IJLi7EEEENS5_IJLi9ELi8EEEENS5_IJLi10EEEEEEENSF_IJNS5_IJLi1ELi2ELi3EEEENS5_IJLi4ELi5EEEES19_NS5_IJLi7ELi8EEEENS5_IJLi9EEEES1C_NS5_IJLi11EEEENS5_IJLi12EEEENS5_IJLi13EEEEEEENS5_IJLi11ELi12ELi13EEEENSH_IlLl32768EEEEENSE_INSF_IJNSV_INSF_IJSI_SN_SN_NSH_IiLi32EEEEEELb0EEEEEENSF_IJS14_EEENSF_IJNS5_IJLi1ELi2ELi3ELi4EEEEEEES1U_NSH_IlLl256EEEEENSE_INSF_IJSP_SS_SU_SX_SY_SU_SZ_S12_SU_NS10_INSF_IJSI_SK_EEEEENSV_INSF_IJSI_NSH_IiLi2EEESK_EEELb0EEEEEENSF_IJS14_S15_S16_S17_S18_S19_S1A_S1B_S1C_NS5_IJLi11ELi13EEEES1J_EEENSF_IJS1E_S1F_S19_S1G_S1H_S1C_S1I_S1J_S1K_NS5_IJLi14EEEENS5_IJLi15ELi16ELi17EEEEEEENS5_IJLi15ELi16ELi17ELi14EEEES1N_EENSE_INSF_IJS1R_NS10_ISW_EES22_EEENSF_IJS14_NS5_IJLi1ELi3EEEENS5_IJLi2EEEEEEENSF_IJS1U_S17_NS5_IJLi6ELi7ELi8EEEEEEENS5_IJLi6ELi7ELi8ELi5EEEES1W_EELi16ELi32ELi256ELi256ELi128ELi16ELi16ELi8ELi8ELi32ELb0EE3RunILb1ELNS_10TailNumberE1ENSE_INSF_IJNSG_INSF_IJiiEEENSF_IJiSN_EEELb0EEENSV_IS2N_Lb0EEENST_IiEEEEENSF_IJS14_S2E_NS5_IJLi1EEEEEEENSF_IJNS5_IJLi1ELi2EEEENS5_IJLi3ELi4EEEES17_EEENS5_IJLi3ELi5ELi4EEEElEES1O_NS_35ThreadGroupTensorSliceTransfer_v4r1INS_15ThisThreadBlockILi256EEENS_16tensor_operation12element_wise11PassThroughES35_LNS_25InMemoryDataOperationEnumE0ENS5_IJLi8ELi256ELi16EEEENS5_IJLi8ELi32ELi1EEEENS5_IJLi1ELi0ELi2EEEESC_SC_RKS2Z_KS1O_S39_NS5_IJLi0ELi1ELi2EEEELi2ELi2ELi16ELi16ELi1ELi1ELb0ELb1ELi2EiEENS_13DynamicBufferILNS_16AddressSpaceEnumE1EKSC_lLb1ELNS_22AmdBufferCoherenceEnumE0EiEENSF_IJNS3F_ILS3G_2ESC_S1N_Lb1ELS3I_0EiEES3K_EEENSF_IJiiiEEENSE_INSF_IJNSG_INSF_IJiiiiEEENSF_IJiiiSN_EEELb0EEEEEES1T_S1V_S1U_lEENS_32ThreadwiseTensorSliceTransfer_v2ISD_SD_RKS3R_KS1X_NS5_IJLi8ELi1ELi1ELi32EEEENS5_IJLi1ELi2ELi0ELi3EEEELi3ELi32ELi0ELb1ELb0ELb0EEENS3F_ILS3G_1EKSD_lLb1ELS3I_0EiEENSF_IJNS_12StaticBufferILS3G_4ESD_Li256ELb1EEES42_EEES3N_NS_25StaticBufferTupleOfVectorILS3G_4EfLi64ELi4ELb1ELb0EEEEEvRKT1_RKT2_RT3_RKT4_RT5_RKT6_RKT7_RT8_RKT9_RT10_RKT11_RT12_iENKUlT_E0_clINSH_IiLi0EEEEEDaS51_EUlS51_E_EEvS51_EUlS51_E_EEvS51_
                                        ; -- End function
	.section	.AMDGPU.csdata,"",@progbits
; Function info:
; codeLenInByte = 133608
; NumSgprs: 36
; NumVgprs: 26
; NumAgprs: 4
; TotalNumVgprs: 32
; ScratchSize: 0
; MemoryBound: 1
	.text
	.p2align	2                               ; -- Begin function _ZNK2ck6detail7applierIiJLi0ELi1ELi2ELi3ELi4ELi5ELi6ELi7EEEclIZNKS_11static_fordINS_8SequenceIJLi1ELi8EEEENS5_IJLi0ELi1EEEEEclIZZNKS_52BlockwiseGemmXdlops_pipeline_bpreshuffle_bdequant_v3ILNS_26BlockGemmPipelineSchedulerE0ELi256ENS_9f8_fnuz_tENS_7pk_i4_tESC_fNS_16TensorDescriptorINS_5TupleIJNS_5EmbedINSF_IJNS_17integral_constantIiLi8EEENSH_IiLi256EEENSH_IiLi16EEEEEENSF_IJSK_NSH_IiLi128EEENSH_IiLi1EEEEEELb0EEENS_3XorINSF_IJSJ_SI_EEELb1EEENS_11PassThroughISK_EENS_7UnMergeINSF_IJSI_SN_EEELb0EEENST_ISJ_EESU_NST_ISI_EENS_21Merge_v3_division_modINSF_IJSJ_SN_EEEEESU_EEENSF_IJNS5_IJLi0EEEENS5_IJLi2ELi1EEEENS5_IJLi3EEEENS5_IJLi5EEEENS5_IJLi4EEEENS5_IJLi6EEEENS5_IJLi7EEEENS5_IJLi9ELi8EEEENS5_IJLi10EEEEEEENSF_IJNS5_IJLi1ELi2ELi3EEEENS5_IJLi4ELi5EEEES19_NS5_IJLi7ELi8EEEENS5_IJLi9EEEES1C_NS5_IJLi11EEEENS5_IJLi12EEEENS5_IJLi13EEEEEEENS5_IJLi11ELi12ELi13EEEENSH_IlLl32768EEEEENSE_INSF_IJNSV_INSF_IJSI_SN_SN_NSH_IiLi32EEEEEELb0EEEEEENSF_IJS14_EEENSF_IJNS5_IJLi1ELi2ELi3ELi4EEEEEEES1U_NSH_IlLl256EEEEENSE_INSF_IJSP_SS_SU_SX_SY_SU_SZ_S12_SU_NS10_INSF_IJSI_SK_EEEEENSV_INSF_IJSI_NSH_IiLi2EEESK_EEELb0EEEEEENSF_IJS14_S15_S16_S17_S18_S19_S1A_S1B_S1C_NS5_IJLi11ELi13EEEES1J_EEENSF_IJS1E_S1F_S19_S1G_S1H_S1C_S1I_S1J_S1K_NS5_IJLi14EEEENS5_IJLi15ELi16ELi17EEEEEEENS5_IJLi15ELi16ELi17ELi14EEEES1N_EENSE_INSF_IJS1R_NS10_ISW_EES22_EEENSF_IJS14_NS5_IJLi1ELi3EEEENS5_IJLi2EEEEEEENSF_IJS1U_S17_NS5_IJLi6ELi7ELi8EEEEEEENS5_IJLi6ELi7ELi8ELi5EEEES1W_EELi16ELi32ELi256ELi256ELi128ELi16ELi16ELi8ELi8ELi32ELb0EE3RunILb1ELNS_10TailNumberE1ENSE_INSF_IJNSG_INSF_IJiiEEENSF_IJiSN_EEELb0EEENSV_IS2N_Lb0EEENST_IiEEEEENSF_IJS14_S2E_NS5_IJLi1EEEEEEENSF_IJNS5_IJLi1ELi2EEEENS5_IJLi3ELi4EEEES17_EEENS5_IJLi3ELi5ELi4EEEElEES1O_NS_35ThreadGroupTensorSliceTransfer_v4r1INS_15ThisThreadBlockILi256EEENS_16tensor_operation12element_wise11PassThroughES35_LNS_25InMemoryDataOperationEnumE0ENS5_IJLi8ELi256ELi16EEEENS5_IJLi8ELi32ELi1EEEENS5_IJLi1ELi0ELi2EEEESC_SC_RKS2Z_KS1O_S39_NS5_IJLi0ELi1ELi2EEEELi2ELi2ELi16ELi16ELi1ELi1ELb0ELb1ELi2EiEENS_13DynamicBufferILNS_16AddressSpaceEnumE1EKSC_lLb1ELNS_22AmdBufferCoherenceEnumE0EiEENSF_IJNS3F_ILS3G_2ESC_S1N_Lb1ELS3I_0EiEES3K_EEENSF_IJiiiEEENSE_INSF_IJNSG_INSF_IJiiiiEEENSF_IJiiiSN_EEELb0EEEEEES1T_S1V_S1U_lEENS_32ThreadwiseTensorSliceTransfer_v2ISD_SD_RKS3R_KS1X_NS5_IJLi8ELi1ELi1ELi32EEEENS5_IJLi1ELi2ELi0ELi3EEEELi3ELi32ELi0ELb1ELb0ELb0EEENS3F_ILS3G_1EKSD_lLb1ELS3I_0EiEENSF_IJNS_12StaticBufferILS3G_4ESD_Li256ELb1EEES42_EEES3N_NS_25StaticBufferTupleOfVectorILS3G_4EfLi64ELi4ELb1ELb0EEEEEvRKT1_RKT2_RT3_RKT4_RT5_RKT6_RKT7_RT8_RKT9_RT10_RKT11_RT12_iENKUlT_E0_clISN_EEDaS51_EUlS51_E_EEvS51_EUlS51_E_EEvS51_
	.type	_ZNK2ck6detail7applierIiJLi0ELi1ELi2ELi3ELi4ELi5ELi6ELi7EEEclIZNKS_11static_fordINS_8SequenceIJLi1ELi8EEEENS5_IJLi0ELi1EEEEEclIZZNKS_52BlockwiseGemmXdlops_pipeline_bpreshuffle_bdequant_v3ILNS_26BlockGemmPipelineSchedulerE0ELi256ENS_9f8_fnuz_tENS_7pk_i4_tESC_fNS_16TensorDescriptorINS_5TupleIJNS_5EmbedINSF_IJNS_17integral_constantIiLi8EEENSH_IiLi256EEENSH_IiLi16EEEEEENSF_IJSK_NSH_IiLi128EEENSH_IiLi1EEEEEELb0EEENS_3XorINSF_IJSJ_SI_EEELb1EEENS_11PassThroughISK_EENS_7UnMergeINSF_IJSI_SN_EEELb0EEENST_ISJ_EESU_NST_ISI_EENS_21Merge_v3_division_modINSF_IJSJ_SN_EEEEESU_EEENSF_IJNS5_IJLi0EEEENS5_IJLi2ELi1EEEENS5_IJLi3EEEENS5_IJLi5EEEENS5_IJLi4EEEENS5_IJLi6EEEENS5_IJLi7EEEENS5_IJLi9ELi8EEEENS5_IJLi10EEEEEEENSF_IJNS5_IJLi1ELi2ELi3EEEENS5_IJLi4ELi5EEEES19_NS5_IJLi7ELi8EEEENS5_IJLi9EEEES1C_NS5_IJLi11EEEENS5_IJLi12EEEENS5_IJLi13EEEEEEENS5_IJLi11ELi12ELi13EEEENSH_IlLl32768EEEEENSE_INSF_IJNSV_INSF_IJSI_SN_SN_NSH_IiLi32EEEEEELb0EEEEEENSF_IJS14_EEENSF_IJNS5_IJLi1ELi2ELi3ELi4EEEEEEES1U_NSH_IlLl256EEEEENSE_INSF_IJSP_SS_SU_SX_SY_SU_SZ_S12_SU_NS10_INSF_IJSI_SK_EEEEENSV_INSF_IJSI_NSH_IiLi2EEESK_EEELb0EEEEEENSF_IJS14_S15_S16_S17_S18_S19_S1A_S1B_S1C_NS5_IJLi11ELi13EEEES1J_EEENSF_IJS1E_S1F_S19_S1G_S1H_S1C_S1I_S1J_S1K_NS5_IJLi14EEEENS5_IJLi15ELi16ELi17EEEEEEENS5_IJLi15ELi16ELi17ELi14EEEES1N_EENSE_INSF_IJS1R_NS10_ISW_EES22_EEENSF_IJS14_NS5_IJLi1ELi3EEEENS5_IJLi2EEEEEEENSF_IJS1U_S17_NS5_IJLi6ELi7ELi8EEEEEEENS5_IJLi6ELi7ELi8ELi5EEEES1W_EELi16ELi32ELi256ELi256ELi128ELi16ELi16ELi8ELi8ELi32ELb0EE3RunILb1ELNS_10TailNumberE1ENSE_INSF_IJNSG_INSF_IJiiEEENSF_IJiSN_EEELb0EEENSV_IS2N_Lb0EEENST_IiEEEEENSF_IJS14_S2E_NS5_IJLi1EEEEEEENSF_IJNS5_IJLi1ELi2EEEENS5_IJLi3ELi4EEEES17_EEENS5_IJLi3ELi5ELi4EEEElEES1O_NS_35ThreadGroupTensorSliceTransfer_v4r1INS_15ThisThreadBlockILi256EEENS_16tensor_operation12element_wise11PassThroughES35_LNS_25InMemoryDataOperationEnumE0ENS5_IJLi8ELi256ELi16EEEENS5_IJLi8ELi32ELi1EEEENS5_IJLi1ELi0ELi2EEEESC_SC_RKS2Z_KS1O_S39_NS5_IJLi0ELi1ELi2EEEELi2ELi2ELi16ELi16ELi1ELi1ELb0ELb1ELi2EiEENS_13DynamicBufferILNS_16AddressSpaceEnumE1EKSC_lLb1ELNS_22AmdBufferCoherenceEnumE0EiEENSF_IJNS3F_ILS3G_2ESC_S1N_Lb1ELS3I_0EiEES3K_EEENSF_IJiiiEEENSE_INSF_IJNSG_INSF_IJiiiiEEENSF_IJiiiSN_EEELb0EEEEEES1T_S1V_S1U_lEENS_32ThreadwiseTensorSliceTransfer_v2ISD_SD_RKS3R_KS1X_NS5_IJLi8ELi1ELi1ELi32EEEENS5_IJLi1ELi2ELi0ELi3EEEELi3ELi32ELi0ELb1ELb0ELb0EEENS3F_ILS3G_1EKSD_lLb1ELS3I_0EiEENSF_IJNS_12StaticBufferILS3G_4ESD_Li256ELb1EEES42_EEES3N_NS_25StaticBufferTupleOfVectorILS3G_4EfLi64ELi4ELb1ELb0EEEEEvRKT1_RKT2_RT3_RKT4_RT5_RKT6_RKT7_RT8_RKT9_RT10_RKT11_RT12_iENKUlT_E0_clISN_EEDaS51_EUlS51_E_EEvS51_EUlS51_E_EEvS51_,@function
_ZNK2ck6detail7applierIiJLi0ELi1ELi2ELi3ELi4ELi5ELi6ELi7EEEclIZNKS_11static_fordINS_8SequenceIJLi1ELi8EEEENS5_IJLi0ELi1EEEEEclIZZNKS_52BlockwiseGemmXdlops_pipeline_bpreshuffle_bdequant_v3ILNS_26BlockGemmPipelineSchedulerE0ELi256ENS_9f8_fnuz_tENS_7pk_i4_tESC_fNS_16TensorDescriptorINS_5TupleIJNS_5EmbedINSF_IJNS_17integral_constantIiLi8EEENSH_IiLi256EEENSH_IiLi16EEEEEENSF_IJSK_NSH_IiLi128EEENSH_IiLi1EEEEEELb0EEENS_3XorINSF_IJSJ_SI_EEELb1EEENS_11PassThroughISK_EENS_7UnMergeINSF_IJSI_SN_EEELb0EEENST_ISJ_EESU_NST_ISI_EENS_21Merge_v3_division_modINSF_IJSJ_SN_EEEEESU_EEENSF_IJNS5_IJLi0EEEENS5_IJLi2ELi1EEEENS5_IJLi3EEEENS5_IJLi5EEEENS5_IJLi4EEEENS5_IJLi6EEEENS5_IJLi7EEEENS5_IJLi9ELi8EEEENS5_IJLi10EEEEEEENSF_IJNS5_IJLi1ELi2ELi3EEEENS5_IJLi4ELi5EEEES19_NS5_IJLi7ELi8EEEENS5_IJLi9EEEES1C_NS5_IJLi11EEEENS5_IJLi12EEEENS5_IJLi13EEEEEEENS5_IJLi11ELi12ELi13EEEENSH_IlLl32768EEEEENSE_INSF_IJNSV_INSF_IJSI_SN_SN_NSH_IiLi32EEEEEELb0EEEEEENSF_IJS14_EEENSF_IJNS5_IJLi1ELi2ELi3ELi4EEEEEEES1U_NSH_IlLl256EEEEENSE_INSF_IJSP_SS_SU_SX_SY_SU_SZ_S12_SU_NS10_INSF_IJSI_SK_EEEEENSV_INSF_IJSI_NSH_IiLi2EEESK_EEELb0EEEEEENSF_IJS14_S15_S16_S17_S18_S19_S1A_S1B_S1C_NS5_IJLi11ELi13EEEES1J_EEENSF_IJS1E_S1F_S19_S1G_S1H_S1C_S1I_S1J_S1K_NS5_IJLi14EEEENS5_IJLi15ELi16ELi17EEEEEEENS5_IJLi15ELi16ELi17ELi14EEEES1N_EENSE_INSF_IJS1R_NS10_ISW_EES22_EEENSF_IJS14_NS5_IJLi1ELi3EEEENS5_IJLi2EEEEEEENSF_IJS1U_S17_NS5_IJLi6ELi7ELi8EEEEEEENS5_IJLi6ELi7ELi8ELi5EEEES1W_EELi16ELi32ELi256ELi256ELi128ELi16ELi16ELi8ELi8ELi32ELb0EE3RunILb1ELNS_10TailNumberE1ENSE_INSF_IJNSG_INSF_IJiiEEENSF_IJiSN_EEELb0EEENSV_IS2N_Lb0EEENST_IiEEEEENSF_IJS14_S2E_NS5_IJLi1EEEEEEENSF_IJNS5_IJLi1ELi2EEEENS5_IJLi3ELi4EEEES17_EEENS5_IJLi3ELi5ELi4EEEElEES1O_NS_35ThreadGroupTensorSliceTransfer_v4r1INS_15ThisThreadBlockILi256EEENS_16tensor_operation12element_wise11PassThroughES35_LNS_25InMemoryDataOperationEnumE0ENS5_IJLi8ELi256ELi16EEEENS5_IJLi8ELi32ELi1EEEENS5_IJLi1ELi0ELi2EEEESC_SC_RKS2Z_KS1O_S39_NS5_IJLi0ELi1ELi2EEEELi2ELi2ELi16ELi16ELi1ELi1ELb0ELb1ELi2EiEENS_13DynamicBufferILNS_16AddressSpaceEnumE1EKSC_lLb1ELNS_22AmdBufferCoherenceEnumE0EiEENSF_IJNS3F_ILS3G_2ESC_S1N_Lb1ELS3I_0EiEES3K_EEENSF_IJiiiEEENSE_INSF_IJNSG_INSF_IJiiiiEEENSF_IJiiiSN_EEELb0EEEEEES1T_S1V_S1U_lEENS_32ThreadwiseTensorSliceTransfer_v2ISD_SD_RKS3R_KS1X_NS5_IJLi8ELi1ELi1ELi32EEEENS5_IJLi1ELi2ELi0ELi3EEEELi3ELi32ELi0ELb1ELb0ELb0EEENS3F_ILS3G_1EKSD_lLb1ELS3I_0EiEENSF_IJNS_12StaticBufferILS3G_4ESD_Li256ELb1EEES42_EEES3N_NS_25StaticBufferTupleOfVectorILS3G_4EfLi64ELi4ELb1ELb0EEEEEvRKT1_RKT2_RT3_RKT4_RT5_RKT6_RKT7_RT8_RKT9_RT10_RKT11_RT12_iENKUlT_E0_clISN_EEDaS51_EUlS51_E_EEvS51_EUlS51_E_EEvS51_: ; @_ZNK2ck6detail7applierIiJLi0ELi1ELi2ELi3ELi4ELi5ELi6ELi7EEEclIZNKS_11static_fordINS_8SequenceIJLi1ELi8EEEENS5_IJLi0ELi1EEEEEclIZZNKS_52BlockwiseGemmXdlops_pipeline_bpreshuffle_bdequant_v3ILNS_26BlockGemmPipelineSchedulerE0ELi256ENS_9f8_fnuz_tENS_7pk_i4_tESC_fNS_16TensorDescriptorINS_5TupleIJNS_5EmbedINSF_IJNS_17integral_constantIiLi8EEENSH_IiLi256EEENSH_IiLi16EEEEEENSF_IJSK_NSH_IiLi128EEENSH_IiLi1EEEEEELb0EEENS_3XorINSF_IJSJ_SI_EEELb1EEENS_11PassThroughISK_EENS_7UnMergeINSF_IJSI_SN_EEELb0EEENST_ISJ_EESU_NST_ISI_EENS_21Merge_v3_division_modINSF_IJSJ_SN_EEEEESU_EEENSF_IJNS5_IJLi0EEEENS5_IJLi2ELi1EEEENS5_IJLi3EEEENS5_IJLi5EEEENS5_IJLi4EEEENS5_IJLi6EEEENS5_IJLi7EEEENS5_IJLi9ELi8EEEENS5_IJLi10EEEEEEENSF_IJNS5_IJLi1ELi2ELi3EEEENS5_IJLi4ELi5EEEES19_NS5_IJLi7ELi8EEEENS5_IJLi9EEEES1C_NS5_IJLi11EEEENS5_IJLi12EEEENS5_IJLi13EEEEEEENS5_IJLi11ELi12ELi13EEEENSH_IlLl32768EEEEENSE_INSF_IJNSV_INSF_IJSI_SN_SN_NSH_IiLi32EEEEEELb0EEEEEENSF_IJS14_EEENSF_IJNS5_IJLi1ELi2ELi3ELi4EEEEEEES1U_NSH_IlLl256EEEEENSE_INSF_IJSP_SS_SU_SX_SY_SU_SZ_S12_SU_NS10_INSF_IJSI_SK_EEEEENSV_INSF_IJSI_NSH_IiLi2EEESK_EEELb0EEEEEENSF_IJS14_S15_S16_S17_S18_S19_S1A_S1B_S1C_NS5_IJLi11ELi13EEEES1J_EEENSF_IJS1E_S1F_S19_S1G_S1H_S1C_S1I_S1J_S1K_NS5_IJLi14EEEENS5_IJLi15ELi16ELi17EEEEEEENS5_IJLi15ELi16ELi17ELi14EEEES1N_EENSE_INSF_IJS1R_NS10_ISW_EES22_EEENSF_IJS14_NS5_IJLi1ELi3EEEENS5_IJLi2EEEEEEENSF_IJS1U_S17_NS5_IJLi6ELi7ELi8EEEEEEENS5_IJLi6ELi7ELi8ELi5EEEES1W_EELi16ELi32ELi256ELi256ELi128ELi16ELi16ELi8ELi8ELi32ELb0EE3RunILb1ELNS_10TailNumberE1ENSE_INSF_IJNSG_INSF_IJiiEEENSF_IJiSN_EEELb0EEENSV_IS2N_Lb0EEENST_IiEEEEENSF_IJS14_S2E_NS5_IJLi1EEEEEEENSF_IJNS5_IJLi1ELi2EEEENS5_IJLi3ELi4EEEES17_EEENS5_IJLi3ELi5ELi4EEEElEES1O_NS_35ThreadGroupTensorSliceTransfer_v4r1INS_15ThisThreadBlockILi256EEENS_16tensor_operation12element_wise11PassThroughES35_LNS_25InMemoryDataOperationEnumE0ENS5_IJLi8ELi256ELi16EEEENS5_IJLi8ELi32ELi1EEEENS5_IJLi1ELi0ELi2EEEESC_SC_RKS2Z_KS1O_S39_NS5_IJLi0ELi1ELi2EEEELi2ELi2ELi16ELi16ELi1ELi1ELb0ELb1ELi2EiEENS_13DynamicBufferILNS_16AddressSpaceEnumE1EKSC_lLb1ELNS_22AmdBufferCoherenceEnumE0EiEENSF_IJNS3F_ILS3G_2ESC_S1N_Lb1ELS3I_0EiEES3K_EEENSF_IJiiiEEENSE_INSF_IJNSG_INSF_IJiiiiEEENSF_IJiiiSN_EEELb0EEEEEES1T_S1V_S1U_lEENS_32ThreadwiseTensorSliceTransfer_v2ISD_SD_RKS3R_KS1X_NS5_IJLi8ELi1ELi1ELi32EEEENS5_IJLi1ELi2ELi0ELi3EEEELi3ELi32ELi0ELb1ELb0ELb0EEENS3F_ILS3G_1EKSD_lLb1ELS3I_0EiEENSF_IJNS_12StaticBufferILS3G_4ESD_Li256ELb1EEES42_EEES3N_NS_25StaticBufferTupleOfVectorILS3G_4EfLi64ELi4ELb1ELb0EEEEEvRKT1_RKT2_RT3_RKT4_RT5_RKT6_RKT7_RT8_RKT9_RT10_RKT11_RT12_iENKUlT_E0_clISN_EEDaS51_EUlS51_E_EEvS51_EUlS51_E_EEvS51_
; %bb.0:
	s_waitcnt vmcnt(0) expcnt(0) lgkmcnt(0)
	flat_load_dwordx4 v[20:23], v[0:1] offset:8
	flat_load_dwordx2 v[18:19], v[0:1] offset:24
	s_movk_i32 s4, 0x7f
                                        ; implicit-def: $sgpr10
	s_waitcnt vmcnt(0) lgkmcnt(0)
	flat_load_dwordx4 v[14:17], v[20:21] offset:32
	flat_load_dwordx4 v[6:9], v[20:21] offset:48
	flat_load_dwordx4 v[10:13], v[22:23]
	flat_load_dwordx4 v[2:5], v[22:23] offset:16
	s_waitcnt vmcnt(0) lgkmcnt(0)
	v_cmp_gt_i16_sdwa s[6:7], v14, s4 src0_sel:BYTE_0 src1_sel:DWORD
	s_mov_b64 s[4:5], 0
	s_and_saveexec_b64 s[8:9], s[6:7]
	s_xor_b64 s[6:7], exec, s[8:9]
	s_cbranch_execnz .LBB45_2049
; %bb.1:
	s_or_saveexec_b64 s[6:7], s[6:7]
	v_mov_b32_e32 v20, s10
	s_xor_b64 exec, exec, s[6:7]
	s_cbranch_execnz .LBB45_2052
.LBB45_2:
	s_or_b64 exec, exec, s[6:7]
	s_and_saveexec_b64 s[6:7], s[4:5]
	s_cbranch_execz .LBB45_4
.LBB45_3:
	v_and_b32_e32 v20, 7, v14
	v_ffbh_u32_e32 v22, v20
	v_min_u32_e32 v22, 32, v22
	v_lshrrev_b16_e32 v21, 3, v14
	v_subrev_u32_e32 v23, 28, v22
	v_and_b32_e32 v21, 15, v21
	v_lshlrev_b32_e32 v23, v23, v14
	v_sub_u32_e32 v22, 29, v22
	v_and_b32_e32 v23, 7, v23
	v_cmp_eq_u16_e32 vcc, 0, v21
	v_cndmask_b32_e32 v20, v20, v23, vcc
	v_cndmask_b32_e32 v21, v21, v22, vcc
	v_lshlrev_b32_e32 v22, 24, v14
	v_mov_b32_e32 v23, 0x3b800000
	v_lshlrev_b32_e32 v20, 20, v20
	v_and_b32_e32 v22, 0x80000000, v22
	v_lshl_add_u32 v21, v21, 23, v23
	v_or3_b32 v20, v22, v21, v20
.LBB45_4:
	s_or_b64 exec, exec, s[6:7]
	s_movk_i32 s4, 0x7f
	v_cmp_gt_i16_sdwa s[6:7], v10, s4 src0_sel:BYTE_0 src1_sel:DWORD
	s_mov_b64 s[4:5], 0
                                        ; implicit-def: $sgpr10
	s_and_saveexec_b64 s[8:9], s[6:7]
	s_xor_b64 s[6:7], exec, s[8:9]
	s_cbranch_execnz .LBB45_2053
; %bb.5:
	s_or_saveexec_b64 s[6:7], s[6:7]
	v_mov_b32_e32 v21, s10
	s_xor_b64 exec, exec, s[6:7]
	s_cbranch_execnz .LBB45_2056
.LBB45_6:
	s_or_b64 exec, exec, s[6:7]
	s_and_saveexec_b64 s[6:7], s[4:5]
	s_cbranch_execz .LBB45_8
.LBB45_7:
	v_and_b32_e32 v21, 7, v10
	v_ffbh_u32_e32 v23, v21
	v_min_u32_e32 v23, 32, v23
	v_lshrrev_b16_e32 v22, 3, v10
	v_subrev_u32_e32 v24, 28, v23
	v_and_b32_e32 v22, 15, v22
	v_lshlrev_b32_e32 v24, v24, v10
	v_sub_u32_e32 v23, 29, v23
	v_and_b32_e32 v24, 7, v24
	v_cmp_eq_u16_e32 vcc, 0, v22
	v_cndmask_b32_e32 v21, v21, v24, vcc
	v_cndmask_b32_e32 v22, v22, v23, vcc
	v_lshlrev_b32_e32 v23, 24, v10
	v_mov_b32_e32 v24, 0x3b800000
	v_lshlrev_b32_e32 v21, 20, v21
	v_and_b32_e32 v23, 0x80000000, v23
	v_lshl_add_u32 v22, v22, 23, v24
	v_or3_b32 v21, v23, v22, v21
.LBB45_8:
	s_or_b64 exec, exec, s[6:7]
	flat_load_dwordx4 a[0:3], v[18:19] offset:128
	s_movk_i32 s4, 0x7f
                                        ; implicit-def: $sgpr10
	s_waitcnt vmcnt(0) lgkmcnt(0)
	v_mfma_f32_16x16x4f32 a[0:3], v20, v21, a[0:3]
	v_lshrrev_b32_e32 v21, 8, v14
	v_cmp_gt_i16_sdwa s[6:7], v21, s4 src0_sel:BYTE_0 src1_sel:DWORD
	s_mov_b64 s[4:5], 0
	s_and_saveexec_b64 s[8:9], s[6:7]
	s_xor_b64 s[6:7], exec, s[8:9]
	s_cbranch_execnz .LBB45_2057
; %bb.9:
	s_or_saveexec_b64 s[6:7], s[6:7]
	v_mov_b32_e32 v20, s10
	s_xor_b64 exec, exec, s[6:7]
	s_cbranch_execnz .LBB45_2060
.LBB45_10:
	s_or_b64 exec, exec, s[6:7]
	s_and_saveexec_b64 s[6:7], s[4:5]
	s_cbranch_execz .LBB45_12
.LBB45_11:
	v_bfe_u32 v20, v14, 8, 3
	v_ffbh_u32_e32 v23, v20
	v_min_u32_e32 v23, 32, v23
	v_lshrrev_b16_e32 v22, 3, v21
	v_subrev_u32_e32 v24, 28, v23
	v_and_b32_e32 v22, 15, v22
	v_lshlrev_b32_e32 v21, v24, v21
	v_sub_u32_e32 v23, 29, v23
	v_and_b32_e32 v21, 7, v21
	v_cmp_eq_u16_e32 vcc, 0, v22
	v_cndmask_b32_e32 v20, v20, v21, vcc
	v_cndmask_b32_e32 v21, v22, v23, vcc
	v_lshlrev_b32_e32 v22, 16, v14
	v_mov_b32_e32 v23, 0x3b800000
	v_lshlrev_b32_e32 v20, 20, v20
	v_and_b32_e32 v22, 0x80000000, v22
	v_lshl_add_u32 v21, v21, 23, v23
	v_or3_b32 v20, v22, v21, v20
.LBB45_12:
	s_or_b64 exec, exec, s[6:7]
	v_lshrrev_b32_e32 v21, 8, v10
	s_movk_i32 s4, 0x7f
	v_cmp_gt_i16_sdwa s[6:7], v21, s4 src0_sel:BYTE_0 src1_sel:DWORD
	s_mov_b64 s[4:5], 0
                                        ; implicit-def: $sgpr10
	s_and_saveexec_b64 s[8:9], s[6:7]
	s_xor_b64 s[6:7], exec, s[8:9]
	s_cbranch_execnz .LBB45_2061
; %bb.13:
	s_or_saveexec_b64 s[6:7], s[6:7]
	v_mov_b32_e32 v22, s10
	s_xor_b64 exec, exec, s[6:7]
	s_cbranch_execnz .LBB45_2064
.LBB45_14:
	s_or_b64 exec, exec, s[6:7]
	s_and_saveexec_b64 s[6:7], s[4:5]
	s_cbranch_execz .LBB45_16
.LBB45_15:
	v_bfe_u32 v22, v10, 8, 3
	v_ffbh_u32_e32 v24, v22
	v_min_u32_e32 v24, 32, v24
	v_lshrrev_b16_e32 v23, 3, v21
	v_subrev_u32_e32 v25, 28, v24
	v_and_b32_e32 v23, 15, v23
	v_lshlrev_b32_e32 v21, v25, v21
	v_sub_u32_e32 v24, 29, v24
	v_and_b32_e32 v21, 7, v21
	v_cmp_eq_u16_e32 vcc, 0, v23
	v_cndmask_b32_e32 v21, v22, v21, vcc
	v_cndmask_b32_e32 v22, v23, v24, vcc
	v_lshlrev_b32_e32 v23, 16, v10
	v_mov_b32_e32 v24, 0x3b800000
	v_lshlrev_b32_e32 v21, 20, v21
	v_and_b32_e32 v23, 0x80000000, v23
	v_lshl_add_u32 v22, v22, 23, v24
	v_or3_b32 v22, v23, v22, v21
.LBB45_16:
	s_or_b64 exec, exec, s[6:7]
	s_nop 0
	v_mfma_f32_16x16x4f32 a[0:3], v20, v22, a[0:3]
	s_movk_i32 s4, 0xff
	v_and_b32_sdwa v21, v14, s4 dst_sel:DWORD dst_unused:UNUSED_PAD src0_sel:WORD_1 src1_sel:DWORD
	s_movk_i32 s4, 0x7f
	v_cmp_lt_i16_e32 vcc, s4, v21
	s_mov_b64 s[4:5], 0
                                        ; implicit-def: $sgpr10
	s_and_saveexec_b64 s[6:7], vcc
	s_xor_b64 s[6:7], exec, s[6:7]
	s_cbranch_execnz .LBB45_2065
; %bb.17:
	s_or_saveexec_b64 s[6:7], s[6:7]
	v_mov_b32_e32 v20, s10
	s_xor_b64 exec, exec, s[6:7]
	s_cbranch_execnz .LBB45_2068
.LBB45_18:
	s_or_b64 exec, exec, s[6:7]
	s_and_saveexec_b64 s[6:7], s[4:5]
	s_cbranch_execz .LBB45_20
.LBB45_19:
	v_bfe_u32 v20, v14, 16, 3
	v_ffbh_u32_e32 v23, v20
	v_min_u32_e32 v23, 32, v23
	v_lshrrev_b32_e32 v21, 19, v14
	v_subrev_u32_e32 v24, 28, v23
	v_and_b32_e32 v21, 15, v21
	v_lshlrev_b32_sdwa v24, v24, v14 dst_sel:DWORD dst_unused:UNUSED_PAD src0_sel:DWORD src1_sel:WORD_1
	v_bfe_u32 v22, v14, 19, 4
	v_sub_u32_e32 v23, 29, v23
	v_and_b32_e32 v24, 7, v24
	v_cmp_eq_u16_e32 vcc, 0, v21
	v_cndmask_b32_e32 v20, v20, v24, vcc
	v_cndmask_b32_e32 v21, v22, v23, vcc
	v_lshlrev_b32_e32 v22, 8, v14
	v_mov_b32_e32 v23, 0x3b800000
	v_lshlrev_b32_e32 v20, 20, v20
	v_and_b32_e32 v22, 0x80000000, v22
	v_lshl_add_u32 v21, v21, 23, v23
	v_or3_b32 v20, v22, v21, v20
.LBB45_20:
	s_or_b64 exec, exec, s[6:7]
	s_movk_i32 s4, 0xff
	v_and_b32_sdwa v21, v10, s4 dst_sel:DWORD dst_unused:UNUSED_PAD src0_sel:WORD_1 src1_sel:DWORD
	s_movk_i32 s4, 0x7f
	v_cmp_lt_i16_e32 vcc, s4, v21
	s_mov_b64 s[4:5], 0
                                        ; implicit-def: $sgpr10
	s_and_saveexec_b64 s[6:7], vcc
	s_xor_b64 s[6:7], exec, s[6:7]
	s_cbranch_execnz .LBB45_2069
; %bb.21:
	s_or_saveexec_b64 s[6:7], s[6:7]
	v_mov_b32_e32 v22, s10
	s_xor_b64 exec, exec, s[6:7]
	s_cbranch_execnz .LBB45_2072
.LBB45_22:
	s_or_b64 exec, exec, s[6:7]
	s_and_saveexec_b64 s[6:7], s[4:5]
	s_cbranch_execz .LBB45_24
.LBB45_23:
	v_bfe_u32 v21, v10, 16, 3
	v_ffbh_u32_e32 v24, v21
	v_min_u32_e32 v24, 32, v24
	v_lshrrev_b32_e32 v22, 19, v10
	v_subrev_u32_e32 v25, 28, v24
	v_and_b32_e32 v22, 15, v22
	v_lshlrev_b32_sdwa v25, v25, v10 dst_sel:DWORD dst_unused:UNUSED_PAD src0_sel:DWORD src1_sel:WORD_1
	v_bfe_u32 v23, v10, 19, 4
	v_sub_u32_e32 v24, 29, v24
	v_and_b32_e32 v25, 7, v25
	v_cmp_eq_u16_e32 vcc, 0, v22
	v_cndmask_b32_e32 v21, v21, v25, vcc
	v_cndmask_b32_e32 v22, v23, v24, vcc
	v_lshlrev_b32_e32 v23, 8, v10
	v_mov_b32_e32 v24, 0x3b800000
	v_lshlrev_b32_e32 v21, 20, v21
	v_and_b32_e32 v23, 0x80000000, v23
	v_lshl_add_u32 v22, v22, 23, v24
	v_or3_b32 v22, v23, v22, v21
.LBB45_24:
	s_or_b64 exec, exec, s[6:7]
	s_nop 0
	v_mfma_f32_16x16x4f32 a[0:3], v20, v22, a[0:3]
	s_movk_i32 s4, 0x7f
	v_cmp_gt_i16_sdwa s[6:7], v14, s4 src0_sel:BYTE_3 src1_sel:DWORD
	s_mov_b64 s[4:5], 0
                                        ; implicit-def: $sgpr10
	s_and_saveexec_b64 s[8:9], s[6:7]
	s_xor_b64 s[6:7], exec, s[8:9]
	s_cbranch_execnz .LBB45_2073
; %bb.25:
	s_or_saveexec_b64 s[6:7], s[6:7]
	v_mov_b32_e32 v20, s10
	s_xor_b64 exec, exec, s[6:7]
	s_cbranch_execnz .LBB45_2076
.LBB45_26:
	s_or_b64 exec, exec, s[6:7]
	s_and_saveexec_b64 s[6:7], s[4:5]
	s_cbranch_execz .LBB45_28
.LBB45_27:
	v_bfe_u32 v20, v14, 24, 3
	v_ffbh_u32_e32 v24, v20
	v_min_u32_e32 v24, 32, v24
	v_lshrrev_b32_e32 v22, 27, v14
	v_subrev_u32_e32 v25, 28, v24
	v_and_b32_e32 v21, 0x80000000, v14
	v_and_b32_e32 v22, 15, v22
	v_bfe_u32 v23, v14, 27, 4
	v_lshlrev_b32_sdwa v14, v25, v14 dst_sel:DWORD dst_unused:UNUSED_PAD src0_sel:DWORD src1_sel:BYTE_3
	v_sub_u32_e32 v24, 29, v24
	v_and_b32_e32 v14, 7, v14
	v_cmp_eq_u16_e32 vcc, 0, v22
	v_cndmask_b32_e32 v14, v20, v14, vcc
	v_cndmask_b32_e32 v20, v23, v24, vcc
	v_mov_b32_e32 v22, 0x3b800000
	v_lshlrev_b32_e32 v14, 20, v14
	v_lshl_add_u32 v20, v20, 23, v22
	v_or3_b32 v20, v21, v20, v14
.LBB45_28:
	s_or_b64 exec, exec, s[6:7]
	s_movk_i32 s4, 0x7f
	v_cmp_gt_i16_sdwa s[6:7], v10, s4 src0_sel:BYTE_3 src1_sel:DWORD
	s_mov_b64 s[4:5], 0
                                        ; implicit-def: $sgpr10
	s_and_saveexec_b64 s[8:9], s[6:7]
	s_xor_b64 s[6:7], exec, s[8:9]
	s_cbranch_execnz .LBB45_2077
; %bb.29:
	s_or_saveexec_b64 s[6:7], s[6:7]
	v_mov_b32_e32 v14, s10
	s_xor_b64 exec, exec, s[6:7]
	s_cbranch_execnz .LBB45_2080
.LBB45_30:
	s_or_b64 exec, exec, s[6:7]
	s_and_saveexec_b64 s[6:7], s[4:5]
	s_cbranch_execz .LBB45_32
.LBB45_31:
	v_bfe_u32 v14, v10, 24, 3
	v_ffbh_u32_e32 v24, v14
	v_min_u32_e32 v24, 32, v24
	v_lshrrev_b32_e32 v22, 27, v10
	v_subrev_u32_e32 v25, 28, v24
	v_and_b32_e32 v21, 0x80000000, v10
	v_and_b32_e32 v22, 15, v22
	v_bfe_u32 v23, v10, 27, 4
	v_lshlrev_b32_sdwa v10, v25, v10 dst_sel:DWORD dst_unused:UNUSED_PAD src0_sel:DWORD src1_sel:BYTE_3
	v_sub_u32_e32 v24, 29, v24
	v_and_b32_e32 v10, 7, v10
	v_cmp_eq_u16_e32 vcc, 0, v22
	v_cndmask_b32_e32 v10, v14, v10, vcc
	v_cndmask_b32_e32 v14, v23, v24, vcc
	v_mov_b32_e32 v22, 0x3b800000
	v_lshlrev_b32_e32 v10, 20, v10
	v_lshl_add_u32 v14, v14, 23, v22
	v_or3_b32 v14, v21, v14, v10
.LBB45_32:
	s_or_b64 exec, exec, s[6:7]
	s_nop 0
	v_mfma_f32_16x16x4f32 a[0:3], v20, v14, a[0:3]
	s_movk_i32 s4, 0x7f
	v_cmp_gt_i16_sdwa s[6:7], v15, s4 src0_sel:BYTE_0 src1_sel:DWORD
	s_mov_b64 s[4:5], 0
                                        ; implicit-def: $sgpr10
	s_and_saveexec_b64 s[8:9], s[6:7]
	s_xor_b64 s[6:7], exec, s[8:9]
	s_cbranch_execnz .LBB45_2081
; %bb.33:
	s_or_saveexec_b64 s[6:7], s[6:7]
	v_mov_b32_e32 v10, s10
	s_xor_b64 exec, exec, s[6:7]
	s_cbranch_execnz .LBB45_2084
.LBB45_34:
	s_or_b64 exec, exec, s[6:7]
	s_and_saveexec_b64 s[6:7], s[4:5]
	s_cbranch_execz .LBB45_36
.LBB45_35:
	v_and_b32_e32 v10, 7, v15
	v_ffbh_u32_e32 v20, v10
	v_min_u32_e32 v20, 32, v20
	v_lshrrev_b16_e32 v14, 3, v15
	v_subrev_u32_e32 v21, 28, v20
	v_and_b32_e32 v14, 15, v14
	v_lshlrev_b32_e32 v21, v21, v15
	v_sub_u32_e32 v20, 29, v20
	v_and_b32_e32 v21, 7, v21
	v_cmp_eq_u16_e32 vcc, 0, v14
	v_cndmask_b32_e32 v10, v10, v21, vcc
	v_cndmask_b32_e32 v14, v14, v20, vcc
	v_lshlrev_b32_e32 v20, 24, v15
	v_mov_b32_e32 v21, 0x3b800000
	v_lshlrev_b32_e32 v10, 20, v10
	v_and_b32_e32 v20, 0x80000000, v20
	v_lshl_add_u32 v14, v14, 23, v21
	v_or3_b32 v10, v20, v14, v10
.LBB45_36:
	s_or_b64 exec, exec, s[6:7]
	s_movk_i32 s4, 0x7f
	v_cmp_gt_i16_sdwa s[6:7], v11, s4 src0_sel:BYTE_0 src1_sel:DWORD
	s_mov_b64 s[4:5], 0
                                        ; implicit-def: $sgpr10
	s_and_saveexec_b64 s[8:9], s[6:7]
	s_xor_b64 s[6:7], exec, s[8:9]
	s_cbranch_execnz .LBB45_2085
; %bb.37:
	s_or_saveexec_b64 s[6:7], s[6:7]
	v_mov_b32_e32 v14, s10
	s_xor_b64 exec, exec, s[6:7]
	s_cbranch_execnz .LBB45_2088
.LBB45_38:
	s_or_b64 exec, exec, s[6:7]
	s_and_saveexec_b64 s[6:7], s[4:5]
	s_cbranch_execz .LBB45_40
.LBB45_39:
	v_and_b32_e32 v14, 7, v11
	v_ffbh_u32_e32 v21, v14
	v_min_u32_e32 v21, 32, v21
	v_lshrrev_b16_e32 v20, 3, v11
	v_subrev_u32_e32 v22, 28, v21
	v_and_b32_e32 v20, 15, v20
	v_lshlrev_b32_e32 v22, v22, v11
	v_sub_u32_e32 v21, 29, v21
	v_and_b32_e32 v22, 7, v22
	v_cmp_eq_u16_e32 vcc, 0, v20
	v_cndmask_b32_e32 v14, v14, v22, vcc
	v_cndmask_b32_e32 v20, v20, v21, vcc
	v_lshlrev_b32_e32 v21, 24, v11
	v_mov_b32_e32 v22, 0x3b800000
	v_lshlrev_b32_e32 v14, 20, v14
	v_and_b32_e32 v21, 0x80000000, v21
	v_lshl_add_u32 v20, v20, 23, v22
	v_or3_b32 v14, v21, v20, v14
.LBB45_40:
	s_or_b64 exec, exec, s[6:7]
	s_nop 0
	v_mfma_f32_16x16x4f32 a[0:3], v10, v14, a[0:3]
	v_lshrrev_b32_e32 v14, 8, v15
	s_movk_i32 s4, 0x7f
	v_cmp_gt_i16_sdwa s[6:7], v14, s4 src0_sel:BYTE_0 src1_sel:DWORD
	s_mov_b64 s[4:5], 0
                                        ; implicit-def: $sgpr10
	s_and_saveexec_b64 s[8:9], s[6:7]
	s_xor_b64 s[6:7], exec, s[8:9]
	s_cbranch_execnz .LBB45_2089
; %bb.41:
	s_or_saveexec_b64 s[6:7], s[6:7]
	v_mov_b32_e32 v10, s10
	s_xor_b64 exec, exec, s[6:7]
	s_cbranch_execnz .LBB45_2092
.LBB45_42:
	s_or_b64 exec, exec, s[6:7]
	s_and_saveexec_b64 s[6:7], s[4:5]
	s_cbranch_execz .LBB45_44
.LBB45_43:
	v_bfe_u32 v10, v15, 8, 3
	v_ffbh_u32_e32 v21, v10
	v_min_u32_e32 v21, 32, v21
	v_lshrrev_b16_e32 v20, 3, v14
	v_subrev_u32_e32 v22, 28, v21
	v_and_b32_e32 v20, 15, v20
	v_lshlrev_b32_e32 v14, v22, v14
	v_sub_u32_e32 v21, 29, v21
	v_and_b32_e32 v14, 7, v14
	v_cmp_eq_u16_e32 vcc, 0, v20
	v_cndmask_b32_e32 v10, v10, v14, vcc
	v_cndmask_b32_e32 v14, v20, v21, vcc
	v_lshlrev_b32_e32 v20, 16, v15
	v_mov_b32_e32 v21, 0x3b800000
	v_lshlrev_b32_e32 v10, 20, v10
	v_and_b32_e32 v20, 0x80000000, v20
	v_lshl_add_u32 v14, v14, 23, v21
	v_or3_b32 v10, v20, v14, v10
.LBB45_44:
	s_or_b64 exec, exec, s[6:7]
	v_lshrrev_b32_e32 v14, 8, v11
	s_movk_i32 s4, 0x7f
	v_cmp_gt_i16_sdwa s[6:7], v14, s4 src0_sel:BYTE_0 src1_sel:DWORD
	s_mov_b64 s[4:5], 0
                                        ; implicit-def: $sgpr10
	s_and_saveexec_b64 s[8:9], s[6:7]
	s_xor_b64 s[6:7], exec, s[8:9]
	s_cbranch_execnz .LBB45_2093
; %bb.45:
	s_or_saveexec_b64 s[6:7], s[6:7]
	v_mov_b32_e32 v20, s10
	s_xor_b64 exec, exec, s[6:7]
	s_cbranch_execnz .LBB45_2096
.LBB45_46:
	s_or_b64 exec, exec, s[6:7]
	s_and_saveexec_b64 s[6:7], s[4:5]
	s_cbranch_execz .LBB45_48
.LBB45_47:
	v_bfe_u32 v20, v11, 8, 3
	v_ffbh_u32_e32 v22, v20
	v_min_u32_e32 v22, 32, v22
	v_lshrrev_b16_e32 v21, 3, v14
	v_subrev_u32_e32 v23, 28, v22
	v_and_b32_e32 v21, 15, v21
	v_lshlrev_b32_e32 v14, v23, v14
	v_sub_u32_e32 v22, 29, v22
	v_and_b32_e32 v14, 7, v14
	v_cmp_eq_u16_e32 vcc, 0, v21
	v_cndmask_b32_e32 v14, v20, v14, vcc
	v_cndmask_b32_e32 v20, v21, v22, vcc
	v_lshlrev_b32_e32 v21, 16, v11
	v_mov_b32_e32 v22, 0x3b800000
	v_lshlrev_b32_e32 v14, 20, v14
	v_and_b32_e32 v21, 0x80000000, v21
	v_lshl_add_u32 v20, v20, 23, v22
	v_or3_b32 v20, v21, v20, v14
.LBB45_48:
	s_or_b64 exec, exec, s[6:7]
	s_nop 0
	v_mfma_f32_16x16x4f32 a[0:3], v10, v20, a[0:3]
	s_movk_i32 s4, 0xff
	v_and_b32_sdwa v14, v15, s4 dst_sel:DWORD dst_unused:UNUSED_PAD src0_sel:WORD_1 src1_sel:DWORD
	s_movk_i32 s4, 0x7f
	v_cmp_lt_i16_e32 vcc, s4, v14
	s_mov_b64 s[4:5], 0
                                        ; implicit-def: $sgpr10
	s_and_saveexec_b64 s[6:7], vcc
	s_xor_b64 s[6:7], exec, s[6:7]
	s_cbranch_execnz .LBB45_2097
; %bb.49:
	s_or_saveexec_b64 s[6:7], s[6:7]
	v_mov_b32_e32 v10, s10
	s_xor_b64 exec, exec, s[6:7]
	s_cbranch_execnz .LBB45_2100
.LBB45_50:
	s_or_b64 exec, exec, s[6:7]
	s_and_saveexec_b64 s[6:7], s[4:5]
	s_cbranch_execz .LBB45_52
.LBB45_51:
	v_bfe_u32 v10, v15, 16, 3
	v_ffbh_u32_e32 v21, v10
	v_min_u32_e32 v21, 32, v21
	v_lshrrev_b32_e32 v14, 19, v15
	v_subrev_u32_e32 v22, 28, v21
	v_and_b32_e32 v14, 15, v14
	v_lshlrev_b32_sdwa v22, v22, v15 dst_sel:DWORD dst_unused:UNUSED_PAD src0_sel:DWORD src1_sel:WORD_1
	v_bfe_u32 v20, v15, 19, 4
	v_sub_u32_e32 v21, 29, v21
	v_and_b32_e32 v22, 7, v22
	v_cmp_eq_u16_e32 vcc, 0, v14
	v_cndmask_b32_e32 v10, v10, v22, vcc
	v_cndmask_b32_e32 v14, v20, v21, vcc
	v_lshlrev_b32_e32 v20, 8, v15
	v_mov_b32_e32 v21, 0x3b800000
	v_lshlrev_b32_e32 v10, 20, v10
	v_and_b32_e32 v20, 0x80000000, v20
	v_lshl_add_u32 v14, v14, 23, v21
	v_or3_b32 v10, v20, v14, v10
.LBB45_52:
	s_or_b64 exec, exec, s[6:7]
	s_movk_i32 s4, 0xff
	v_and_b32_sdwa v14, v11, s4 dst_sel:DWORD dst_unused:UNUSED_PAD src0_sel:WORD_1 src1_sel:DWORD
	s_movk_i32 s4, 0x7f
	v_cmp_lt_i16_e32 vcc, s4, v14
	s_mov_b64 s[4:5], 0
                                        ; implicit-def: $sgpr10
	s_and_saveexec_b64 s[6:7], vcc
	s_xor_b64 s[6:7], exec, s[6:7]
	s_cbranch_execnz .LBB45_2101
; %bb.53:
	s_or_saveexec_b64 s[6:7], s[6:7]
	v_mov_b32_e32 v20, s10
	s_xor_b64 exec, exec, s[6:7]
	s_cbranch_execnz .LBB45_2104
.LBB45_54:
	s_or_b64 exec, exec, s[6:7]
	s_and_saveexec_b64 s[6:7], s[4:5]
	s_cbranch_execz .LBB45_56
.LBB45_55:
	v_bfe_u32 v14, v11, 16, 3
	v_ffbh_u32_e32 v22, v14
	v_min_u32_e32 v22, 32, v22
	v_lshrrev_b32_e32 v20, 19, v11
	v_subrev_u32_e32 v23, 28, v22
	v_and_b32_e32 v20, 15, v20
	v_lshlrev_b32_sdwa v23, v23, v11 dst_sel:DWORD dst_unused:UNUSED_PAD src0_sel:DWORD src1_sel:WORD_1
	v_bfe_u32 v21, v11, 19, 4
	v_sub_u32_e32 v22, 29, v22
	v_and_b32_e32 v23, 7, v23
	v_cmp_eq_u16_e32 vcc, 0, v20
	v_cndmask_b32_e32 v14, v14, v23, vcc
	v_cndmask_b32_e32 v20, v21, v22, vcc
	v_lshlrev_b32_e32 v21, 8, v11
	v_mov_b32_e32 v22, 0x3b800000
	v_lshlrev_b32_e32 v14, 20, v14
	v_and_b32_e32 v21, 0x80000000, v21
	v_lshl_add_u32 v20, v20, 23, v22
	v_or3_b32 v20, v21, v20, v14
.LBB45_56:
	s_or_b64 exec, exec, s[6:7]
	s_nop 0
	v_mfma_f32_16x16x4f32 a[0:3], v10, v20, a[0:3]
	s_movk_i32 s4, 0x7f
	v_cmp_gt_i16_sdwa s[6:7], v15, s4 src0_sel:BYTE_3 src1_sel:DWORD
	s_mov_b64 s[4:5], 0
                                        ; implicit-def: $sgpr10
	s_and_saveexec_b64 s[8:9], s[6:7]
	s_xor_b64 s[6:7], exec, s[8:9]
	s_cbranch_execnz .LBB45_2105
; %bb.57:
	s_or_saveexec_b64 s[6:7], s[6:7]
	v_mov_b32_e32 v10, s10
	s_xor_b64 exec, exec, s[6:7]
	s_cbranch_execnz .LBB45_2108
.LBB45_58:
	s_or_b64 exec, exec, s[6:7]
	s_and_saveexec_b64 s[6:7], s[4:5]
	s_cbranch_execz .LBB45_60
.LBB45_59:
	v_bfe_u32 v10, v15, 24, 3
	v_ffbh_u32_e32 v22, v10
	v_min_u32_e32 v22, 32, v22
	v_lshrrev_b32_e32 v20, 27, v15
	v_subrev_u32_e32 v23, 28, v22
	v_and_b32_e32 v14, 0x80000000, v15
	v_and_b32_e32 v20, 15, v20
	v_bfe_u32 v21, v15, 27, 4
	v_lshlrev_b32_sdwa v15, v23, v15 dst_sel:DWORD dst_unused:UNUSED_PAD src0_sel:DWORD src1_sel:BYTE_3
	v_sub_u32_e32 v22, 29, v22
	v_and_b32_e32 v15, 7, v15
	v_cmp_eq_u16_e32 vcc, 0, v20
	v_cndmask_b32_e32 v10, v10, v15, vcc
	v_cndmask_b32_e32 v15, v21, v22, vcc
	v_mov_b32_e32 v20, 0x3b800000
	v_lshlrev_b32_e32 v10, 20, v10
	v_lshl_add_u32 v15, v15, 23, v20
	v_or3_b32 v10, v14, v15, v10
.LBB45_60:
	s_or_b64 exec, exec, s[6:7]
	s_movk_i32 s4, 0x7f
	v_cmp_gt_i16_sdwa s[6:7], v11, s4 src0_sel:BYTE_3 src1_sel:DWORD
	s_mov_b64 s[4:5], 0
                                        ; implicit-def: $sgpr10
	s_and_saveexec_b64 s[8:9], s[6:7]
	s_xor_b64 s[6:7], exec, s[8:9]
	s_cbranch_execnz .LBB45_2109
; %bb.61:
	s_or_saveexec_b64 s[6:7], s[6:7]
	v_mov_b32_e32 v14, s10
	s_xor_b64 exec, exec, s[6:7]
	s_cbranch_execnz .LBB45_2112
.LBB45_62:
	s_or_b64 exec, exec, s[6:7]
	s_and_saveexec_b64 s[6:7], s[4:5]
	s_cbranch_execz .LBB45_64
.LBB45_63:
	v_bfe_u32 v14, v11, 24, 3
	v_ffbh_u32_e32 v22, v14
	v_min_u32_e32 v22, 32, v22
	v_lshrrev_b32_e32 v20, 27, v11
	v_subrev_u32_e32 v23, 28, v22
	v_and_b32_e32 v15, 0x80000000, v11
	v_and_b32_e32 v20, 15, v20
	v_bfe_u32 v21, v11, 27, 4
	v_lshlrev_b32_sdwa v11, v23, v11 dst_sel:DWORD dst_unused:UNUSED_PAD src0_sel:DWORD src1_sel:BYTE_3
	v_sub_u32_e32 v22, 29, v22
	v_and_b32_e32 v11, 7, v11
	v_cmp_eq_u16_e32 vcc, 0, v20
	v_cndmask_b32_e32 v11, v14, v11, vcc
	v_cndmask_b32_e32 v14, v21, v22, vcc
	v_mov_b32_e32 v20, 0x3b800000
	v_lshlrev_b32_e32 v11, 20, v11
	v_lshl_add_u32 v14, v14, 23, v20
	v_or3_b32 v14, v15, v14, v11
.LBB45_64:
	s_or_b64 exec, exec, s[6:7]
	s_nop 0
	v_mfma_f32_16x16x4f32 a[0:3], v10, v14, a[0:3]
	s_movk_i32 s4, 0x7f
	v_cmp_gt_i16_sdwa s[6:7], v16, s4 src0_sel:BYTE_0 src1_sel:DWORD
	s_mov_b64 s[4:5], 0
                                        ; implicit-def: $sgpr10
	s_and_saveexec_b64 s[8:9], s[6:7]
	s_xor_b64 s[6:7], exec, s[8:9]
	s_cbranch_execnz .LBB45_2113
; %bb.65:
	s_or_saveexec_b64 s[6:7], s[6:7]
	v_mov_b32_e32 v10, s10
	s_xor_b64 exec, exec, s[6:7]
	s_cbranch_execnz .LBB45_2116
.LBB45_66:
	s_or_b64 exec, exec, s[6:7]
	s_and_saveexec_b64 s[6:7], s[4:5]
	s_cbranch_execz .LBB45_68
.LBB45_67:
	v_and_b32_e32 v10, 7, v16
	v_ffbh_u32_e32 v14, v10
	v_min_u32_e32 v14, 32, v14
	v_lshrrev_b16_e32 v11, 3, v16
	v_subrev_u32_e32 v15, 28, v14
	v_and_b32_e32 v11, 15, v11
	v_lshlrev_b32_e32 v15, v15, v16
	v_sub_u32_e32 v14, 29, v14
	v_and_b32_e32 v15, 7, v15
	v_cmp_eq_u16_e32 vcc, 0, v11
	v_cndmask_b32_e32 v10, v10, v15, vcc
	v_cndmask_b32_e32 v11, v11, v14, vcc
	v_lshlrev_b32_e32 v14, 24, v16
	v_mov_b32_e32 v15, 0x3b800000
	v_lshlrev_b32_e32 v10, 20, v10
	v_and_b32_e32 v14, 0x80000000, v14
	v_lshl_add_u32 v11, v11, 23, v15
	v_or3_b32 v10, v14, v11, v10
.LBB45_68:
	s_or_b64 exec, exec, s[6:7]
	s_movk_i32 s4, 0x7f
	v_cmp_gt_i16_sdwa s[6:7], v12, s4 src0_sel:BYTE_0 src1_sel:DWORD
	s_mov_b64 s[4:5], 0
                                        ; implicit-def: $sgpr10
	s_and_saveexec_b64 s[8:9], s[6:7]
	s_xor_b64 s[6:7], exec, s[8:9]
	s_cbranch_execnz .LBB45_2117
; %bb.69:
	s_or_saveexec_b64 s[6:7], s[6:7]
	v_mov_b32_e32 v11, s10
	s_xor_b64 exec, exec, s[6:7]
	s_cbranch_execnz .LBB45_2120
.LBB45_70:
	s_or_b64 exec, exec, s[6:7]
	s_and_saveexec_b64 s[6:7], s[4:5]
	s_cbranch_execz .LBB45_72
.LBB45_71:
	v_and_b32_e32 v11, 7, v12
	v_ffbh_u32_e32 v15, v11
	v_min_u32_e32 v15, 32, v15
	v_lshrrev_b16_e32 v14, 3, v12
	v_subrev_u32_e32 v20, 28, v15
	v_and_b32_e32 v14, 15, v14
	v_lshlrev_b32_e32 v20, v20, v12
	v_sub_u32_e32 v15, 29, v15
	v_and_b32_e32 v20, 7, v20
	v_cmp_eq_u16_e32 vcc, 0, v14
	v_cndmask_b32_e32 v11, v11, v20, vcc
	v_cndmask_b32_e32 v14, v14, v15, vcc
	v_lshlrev_b32_e32 v15, 24, v12
	v_mov_b32_e32 v20, 0x3b800000
	v_lshlrev_b32_e32 v11, 20, v11
	v_and_b32_e32 v15, 0x80000000, v15
	v_lshl_add_u32 v14, v14, 23, v20
	v_or3_b32 v11, v15, v14, v11
.LBB45_72:
	s_or_b64 exec, exec, s[6:7]
	s_nop 0
	v_mfma_f32_16x16x4f32 a[0:3], v10, v11, a[0:3]
	v_lshrrev_b32_e32 v11, 8, v16
	s_movk_i32 s4, 0x7f
	v_cmp_gt_i16_sdwa s[6:7], v11, s4 src0_sel:BYTE_0 src1_sel:DWORD
	s_mov_b64 s[4:5], 0
                                        ; implicit-def: $sgpr10
	s_and_saveexec_b64 s[8:9], s[6:7]
	s_xor_b64 s[6:7], exec, s[8:9]
	s_cbranch_execnz .LBB45_2121
; %bb.73:
	s_or_saveexec_b64 s[6:7], s[6:7]
	v_mov_b32_e32 v10, s10
	s_xor_b64 exec, exec, s[6:7]
	s_cbranch_execnz .LBB45_2124
.LBB45_74:
	s_or_b64 exec, exec, s[6:7]
	s_and_saveexec_b64 s[6:7], s[4:5]
	s_cbranch_execz .LBB45_76
.LBB45_75:
	v_bfe_u32 v10, v16, 8, 3
	v_ffbh_u32_e32 v15, v10
	v_min_u32_e32 v15, 32, v15
	v_lshrrev_b16_e32 v14, 3, v11
	v_subrev_u32_e32 v20, 28, v15
	v_and_b32_e32 v14, 15, v14
	v_lshlrev_b32_e32 v11, v20, v11
	v_sub_u32_e32 v15, 29, v15
	v_and_b32_e32 v11, 7, v11
	v_cmp_eq_u16_e32 vcc, 0, v14
	v_cndmask_b32_e32 v10, v10, v11, vcc
	v_cndmask_b32_e32 v11, v14, v15, vcc
	v_lshlrev_b32_e32 v14, 16, v16
	v_mov_b32_e32 v15, 0x3b800000
	v_lshlrev_b32_e32 v10, 20, v10
	v_and_b32_e32 v14, 0x80000000, v14
	v_lshl_add_u32 v11, v11, 23, v15
	v_or3_b32 v10, v14, v11, v10
.LBB45_76:
	s_or_b64 exec, exec, s[6:7]
	v_lshrrev_b32_e32 v11, 8, v12
	s_movk_i32 s4, 0x7f
	v_cmp_gt_i16_sdwa s[6:7], v11, s4 src0_sel:BYTE_0 src1_sel:DWORD
	s_mov_b64 s[4:5], 0
                                        ; implicit-def: $sgpr10
	s_and_saveexec_b64 s[8:9], s[6:7]
	s_xor_b64 s[6:7], exec, s[8:9]
	s_cbranch_execnz .LBB45_2125
; %bb.77:
	s_or_saveexec_b64 s[6:7], s[6:7]
	v_mov_b32_e32 v14, s10
	s_xor_b64 exec, exec, s[6:7]
	s_cbranch_execnz .LBB45_2128
.LBB45_78:
	s_or_b64 exec, exec, s[6:7]
	s_and_saveexec_b64 s[6:7], s[4:5]
	s_cbranch_execz .LBB45_80
.LBB45_79:
	v_bfe_u32 v14, v12, 8, 3
	v_ffbh_u32_e32 v20, v14
	v_min_u32_e32 v20, 32, v20
	v_lshrrev_b16_e32 v15, 3, v11
	v_subrev_u32_e32 v21, 28, v20
	v_and_b32_e32 v15, 15, v15
	v_lshlrev_b32_e32 v11, v21, v11
	v_sub_u32_e32 v20, 29, v20
	v_and_b32_e32 v11, 7, v11
	v_cmp_eq_u16_e32 vcc, 0, v15
	v_cndmask_b32_e32 v11, v14, v11, vcc
	v_cndmask_b32_e32 v14, v15, v20, vcc
	v_lshlrev_b32_e32 v15, 16, v12
	v_mov_b32_e32 v20, 0x3b800000
	v_lshlrev_b32_e32 v11, 20, v11
	v_and_b32_e32 v15, 0x80000000, v15
	v_lshl_add_u32 v14, v14, 23, v20
	v_or3_b32 v14, v15, v14, v11
.LBB45_80:
	s_or_b64 exec, exec, s[6:7]
	s_nop 0
	v_mfma_f32_16x16x4f32 a[0:3], v10, v14, a[0:3]
	s_movk_i32 s4, 0xff
	v_and_b32_sdwa v11, v16, s4 dst_sel:DWORD dst_unused:UNUSED_PAD src0_sel:WORD_1 src1_sel:DWORD
	s_movk_i32 s4, 0x7f
	v_cmp_lt_i16_e32 vcc, s4, v11
	s_mov_b64 s[4:5], 0
                                        ; implicit-def: $sgpr10
	s_and_saveexec_b64 s[6:7], vcc
	s_xor_b64 s[6:7], exec, s[6:7]
	s_cbranch_execnz .LBB45_2129
; %bb.81:
	s_or_saveexec_b64 s[6:7], s[6:7]
	v_mov_b32_e32 v10, s10
	s_xor_b64 exec, exec, s[6:7]
	s_cbranch_execnz .LBB45_2132
.LBB45_82:
	s_or_b64 exec, exec, s[6:7]
	s_and_saveexec_b64 s[6:7], s[4:5]
	s_cbranch_execz .LBB45_84
.LBB45_83:
	v_bfe_u32 v10, v16, 16, 3
	v_ffbh_u32_e32 v15, v10
	v_min_u32_e32 v15, 32, v15
	v_lshrrev_b32_e32 v11, 19, v16
	v_subrev_u32_e32 v20, 28, v15
	v_and_b32_e32 v11, 15, v11
	v_lshlrev_b32_sdwa v20, v20, v16 dst_sel:DWORD dst_unused:UNUSED_PAD src0_sel:DWORD src1_sel:WORD_1
	v_bfe_u32 v14, v16, 19, 4
	v_sub_u32_e32 v15, 29, v15
	v_and_b32_e32 v20, 7, v20
	v_cmp_eq_u16_e32 vcc, 0, v11
	v_cndmask_b32_e32 v10, v10, v20, vcc
	v_cndmask_b32_e32 v11, v14, v15, vcc
	v_lshlrev_b32_e32 v14, 8, v16
	v_mov_b32_e32 v15, 0x3b800000
	v_lshlrev_b32_e32 v10, 20, v10
	v_and_b32_e32 v14, 0x80000000, v14
	v_lshl_add_u32 v11, v11, 23, v15
	v_or3_b32 v10, v14, v11, v10
.LBB45_84:
	s_or_b64 exec, exec, s[6:7]
	s_movk_i32 s4, 0xff
	v_and_b32_sdwa v11, v12, s4 dst_sel:DWORD dst_unused:UNUSED_PAD src0_sel:WORD_1 src1_sel:DWORD
	s_movk_i32 s4, 0x7f
	v_cmp_lt_i16_e32 vcc, s4, v11
	s_mov_b64 s[4:5], 0
                                        ; implicit-def: $sgpr10
	s_and_saveexec_b64 s[6:7], vcc
	s_xor_b64 s[6:7], exec, s[6:7]
	s_cbranch_execnz .LBB45_2133
; %bb.85:
	s_or_saveexec_b64 s[6:7], s[6:7]
	v_mov_b32_e32 v14, s10
	s_xor_b64 exec, exec, s[6:7]
	s_cbranch_execnz .LBB45_2136
.LBB45_86:
	s_or_b64 exec, exec, s[6:7]
	s_and_saveexec_b64 s[6:7], s[4:5]
	s_cbranch_execz .LBB45_88
.LBB45_87:
	v_bfe_u32 v11, v12, 16, 3
	v_ffbh_u32_e32 v20, v11
	v_min_u32_e32 v20, 32, v20
	v_lshrrev_b32_e32 v14, 19, v12
	v_subrev_u32_e32 v21, 28, v20
	v_and_b32_e32 v14, 15, v14
	v_lshlrev_b32_sdwa v21, v21, v12 dst_sel:DWORD dst_unused:UNUSED_PAD src0_sel:DWORD src1_sel:WORD_1
	v_bfe_u32 v15, v12, 19, 4
	v_sub_u32_e32 v20, 29, v20
	v_and_b32_e32 v21, 7, v21
	v_cmp_eq_u16_e32 vcc, 0, v14
	v_cndmask_b32_e32 v11, v11, v21, vcc
	v_cndmask_b32_e32 v14, v15, v20, vcc
	v_lshlrev_b32_e32 v15, 8, v12
	v_mov_b32_e32 v20, 0x3b800000
	v_lshlrev_b32_e32 v11, 20, v11
	v_and_b32_e32 v15, 0x80000000, v15
	v_lshl_add_u32 v14, v14, 23, v20
	v_or3_b32 v14, v15, v14, v11
.LBB45_88:
	s_or_b64 exec, exec, s[6:7]
	s_nop 0
	v_mfma_f32_16x16x4f32 a[0:3], v10, v14, a[0:3]
	s_movk_i32 s4, 0x7f
	v_cmp_gt_i16_sdwa s[6:7], v16, s4 src0_sel:BYTE_3 src1_sel:DWORD
	s_mov_b64 s[4:5], 0
                                        ; implicit-def: $sgpr10
	s_and_saveexec_b64 s[8:9], s[6:7]
	s_xor_b64 s[6:7], exec, s[8:9]
	s_cbranch_execnz .LBB45_2137
; %bb.89:
	s_or_saveexec_b64 s[6:7], s[6:7]
	v_mov_b32_e32 v10, s10
	s_xor_b64 exec, exec, s[6:7]
	s_cbranch_execnz .LBB45_2140
.LBB45_90:
	s_or_b64 exec, exec, s[6:7]
	s_and_saveexec_b64 s[6:7], s[4:5]
	s_cbranch_execz .LBB45_92
.LBB45_91:
	v_bfe_u32 v10, v16, 24, 3
	v_ffbh_u32_e32 v20, v10
	v_min_u32_e32 v20, 32, v20
	v_lshrrev_b32_e32 v14, 27, v16
	v_subrev_u32_e32 v21, 28, v20
	v_and_b32_e32 v11, 0x80000000, v16
	v_and_b32_e32 v14, 15, v14
	v_bfe_u32 v15, v16, 27, 4
	v_lshlrev_b32_sdwa v16, v21, v16 dst_sel:DWORD dst_unused:UNUSED_PAD src0_sel:DWORD src1_sel:BYTE_3
	v_sub_u32_e32 v20, 29, v20
	v_and_b32_e32 v16, 7, v16
	v_cmp_eq_u16_e32 vcc, 0, v14
	v_cndmask_b32_e32 v10, v10, v16, vcc
	v_cndmask_b32_e32 v14, v15, v20, vcc
	v_mov_b32_e32 v15, 0x3b800000
	v_lshlrev_b32_e32 v10, 20, v10
	v_lshl_add_u32 v14, v14, 23, v15
	v_or3_b32 v10, v11, v14, v10
.LBB45_92:
	s_or_b64 exec, exec, s[6:7]
	s_movk_i32 s4, 0x7f
	v_cmp_gt_i16_sdwa s[6:7], v12, s4 src0_sel:BYTE_3 src1_sel:DWORD
	s_mov_b64 s[4:5], 0
                                        ; implicit-def: $sgpr10
	s_and_saveexec_b64 s[8:9], s[6:7]
	s_xor_b64 s[6:7], exec, s[8:9]
	s_cbranch_execnz .LBB45_2141
; %bb.93:
	s_or_saveexec_b64 s[6:7], s[6:7]
	v_mov_b32_e32 v11, s10
	s_xor_b64 exec, exec, s[6:7]
	s_cbranch_execnz .LBB45_2144
.LBB45_94:
	s_or_b64 exec, exec, s[6:7]
	s_and_saveexec_b64 s[6:7], s[4:5]
	s_cbranch_execz .LBB45_96
.LBB45_95:
	v_bfe_u32 v11, v12, 24, 3
	v_ffbh_u32_e32 v20, v11
	v_min_u32_e32 v20, 32, v20
	v_lshrrev_b32_e32 v15, 27, v12
	v_subrev_u32_e32 v21, 28, v20
	v_and_b32_e32 v14, 0x80000000, v12
	v_and_b32_e32 v15, 15, v15
	v_bfe_u32 v16, v12, 27, 4
	v_lshlrev_b32_sdwa v12, v21, v12 dst_sel:DWORD dst_unused:UNUSED_PAD src0_sel:DWORD src1_sel:BYTE_3
	v_sub_u32_e32 v20, 29, v20
	v_and_b32_e32 v12, 7, v12
	v_cmp_eq_u16_e32 vcc, 0, v15
	v_cndmask_b32_e32 v11, v11, v12, vcc
	v_cndmask_b32_e32 v12, v16, v20, vcc
	v_mov_b32_e32 v15, 0x3b800000
	v_lshlrev_b32_e32 v11, 20, v11
	v_lshl_add_u32 v12, v12, 23, v15
	v_or3_b32 v11, v14, v12, v11
.LBB45_96:
	s_or_b64 exec, exec, s[6:7]
	s_nop 0
	v_mfma_f32_16x16x4f32 a[0:3], v10, v11, a[0:3]
	s_movk_i32 s4, 0x7f
	v_cmp_gt_i16_sdwa s[6:7], v17, s4 src0_sel:BYTE_0 src1_sel:DWORD
	s_mov_b64 s[4:5], 0
                                        ; implicit-def: $sgpr10
	s_and_saveexec_b64 s[8:9], s[6:7]
	s_xor_b64 s[6:7], exec, s[8:9]
	s_cbranch_execnz .LBB45_2145
; %bb.97:
	s_or_saveexec_b64 s[6:7], s[6:7]
	v_mov_b32_e32 v10, s10
	s_xor_b64 exec, exec, s[6:7]
	s_cbranch_execnz .LBB45_2148
.LBB45_98:
	s_or_b64 exec, exec, s[6:7]
	s_and_saveexec_b64 s[6:7], s[4:5]
	s_cbranch_execz .LBB45_100
.LBB45_99:
	v_and_b32_e32 v10, 7, v17
	v_ffbh_u32_e32 v12, v10
	v_min_u32_e32 v12, 32, v12
	v_lshrrev_b16_e32 v11, 3, v17
	v_subrev_u32_e32 v14, 28, v12
	v_and_b32_e32 v11, 15, v11
	v_lshlrev_b32_e32 v14, v14, v17
	v_sub_u32_e32 v12, 29, v12
	v_and_b32_e32 v14, 7, v14
	v_cmp_eq_u16_e32 vcc, 0, v11
	v_cndmask_b32_e32 v10, v10, v14, vcc
	v_cndmask_b32_e32 v11, v11, v12, vcc
	v_lshlrev_b32_e32 v12, 24, v17
	v_mov_b32_e32 v14, 0x3b800000
	v_lshlrev_b32_e32 v10, 20, v10
	v_and_b32_e32 v12, 0x80000000, v12
	v_lshl_add_u32 v11, v11, 23, v14
	v_or3_b32 v10, v12, v11, v10
.LBB45_100:
	s_or_b64 exec, exec, s[6:7]
	s_movk_i32 s4, 0x7f
	v_cmp_gt_i16_sdwa s[6:7], v13, s4 src0_sel:BYTE_0 src1_sel:DWORD
	s_mov_b64 s[4:5], 0
                                        ; implicit-def: $sgpr10
	s_and_saveexec_b64 s[8:9], s[6:7]
	s_xor_b64 s[6:7], exec, s[8:9]
	s_cbranch_execnz .LBB45_2149
; %bb.101:
	s_or_saveexec_b64 s[6:7], s[6:7]
	v_mov_b32_e32 v11, s10
	s_xor_b64 exec, exec, s[6:7]
	s_cbranch_execnz .LBB45_2152
.LBB45_102:
	s_or_b64 exec, exec, s[6:7]
	s_and_saveexec_b64 s[6:7], s[4:5]
	s_cbranch_execz .LBB45_104
.LBB45_103:
	v_and_b32_e32 v11, 7, v13
	v_ffbh_u32_e32 v14, v11
	v_min_u32_e32 v14, 32, v14
	v_lshrrev_b16_e32 v12, 3, v13
	v_subrev_u32_e32 v15, 28, v14
	v_and_b32_e32 v12, 15, v12
	v_lshlrev_b32_e32 v15, v15, v13
	v_sub_u32_e32 v14, 29, v14
	v_and_b32_e32 v15, 7, v15
	v_cmp_eq_u16_e32 vcc, 0, v12
	v_cndmask_b32_e32 v11, v11, v15, vcc
	v_cndmask_b32_e32 v12, v12, v14, vcc
	v_lshlrev_b32_e32 v14, 24, v13
	v_mov_b32_e32 v15, 0x3b800000
	v_lshlrev_b32_e32 v11, 20, v11
	v_and_b32_e32 v14, 0x80000000, v14
	v_lshl_add_u32 v12, v12, 23, v15
	v_or3_b32 v11, v14, v12, v11
.LBB45_104:
	s_or_b64 exec, exec, s[6:7]
	s_nop 0
	v_mfma_f32_16x16x4f32 a[0:3], v10, v11, a[0:3]
	v_lshrrev_b32_e32 v11, 8, v17
	s_movk_i32 s4, 0x7f
	v_cmp_gt_i16_sdwa s[6:7], v11, s4 src0_sel:BYTE_0 src1_sel:DWORD
	s_mov_b64 s[4:5], 0
                                        ; implicit-def: $sgpr10
	s_and_saveexec_b64 s[8:9], s[6:7]
	s_xor_b64 s[6:7], exec, s[8:9]
	s_cbranch_execnz .LBB45_2153
; %bb.105:
	s_or_saveexec_b64 s[6:7], s[6:7]
	v_mov_b32_e32 v10, s10
	s_xor_b64 exec, exec, s[6:7]
	s_cbranch_execnz .LBB45_2156
.LBB45_106:
	s_or_b64 exec, exec, s[6:7]
	s_and_saveexec_b64 s[6:7], s[4:5]
	s_cbranch_execz .LBB45_108
.LBB45_107:
	v_bfe_u32 v10, v17, 8, 3
	v_ffbh_u32_e32 v14, v10
	v_min_u32_e32 v14, 32, v14
	v_lshrrev_b16_e32 v12, 3, v11
	v_subrev_u32_e32 v15, 28, v14
	v_and_b32_e32 v12, 15, v12
	v_lshlrev_b32_e32 v11, v15, v11
	v_sub_u32_e32 v14, 29, v14
	v_and_b32_e32 v11, 7, v11
	v_cmp_eq_u16_e32 vcc, 0, v12
	v_cndmask_b32_e32 v10, v10, v11, vcc
	v_cndmask_b32_e32 v11, v12, v14, vcc
	v_lshlrev_b32_e32 v12, 16, v17
	v_mov_b32_e32 v14, 0x3b800000
	v_lshlrev_b32_e32 v10, 20, v10
	v_and_b32_e32 v12, 0x80000000, v12
	v_lshl_add_u32 v11, v11, 23, v14
	v_or3_b32 v10, v12, v11, v10
.LBB45_108:
	s_or_b64 exec, exec, s[6:7]
	v_lshrrev_b32_e32 v11, 8, v13
	s_movk_i32 s4, 0x7f
	v_cmp_gt_i16_sdwa s[6:7], v11, s4 src0_sel:BYTE_0 src1_sel:DWORD
	s_mov_b64 s[4:5], 0
                                        ; implicit-def: $sgpr10
	s_and_saveexec_b64 s[8:9], s[6:7]
	s_xor_b64 s[6:7], exec, s[8:9]
	s_cbranch_execnz .LBB45_2157
; %bb.109:
	s_or_saveexec_b64 s[6:7], s[6:7]
	v_mov_b32_e32 v12, s10
	s_xor_b64 exec, exec, s[6:7]
	s_cbranch_execnz .LBB45_2160
.LBB45_110:
	s_or_b64 exec, exec, s[6:7]
	s_and_saveexec_b64 s[6:7], s[4:5]
	s_cbranch_execz .LBB45_112
.LBB45_111:
	v_bfe_u32 v12, v13, 8, 3
	v_ffbh_u32_e32 v15, v12
	v_min_u32_e32 v15, 32, v15
	v_lshrrev_b16_e32 v14, 3, v11
	v_subrev_u32_e32 v16, 28, v15
	v_and_b32_e32 v14, 15, v14
	v_lshlrev_b32_e32 v11, v16, v11
	v_sub_u32_e32 v15, 29, v15
	v_and_b32_e32 v11, 7, v11
	v_cmp_eq_u16_e32 vcc, 0, v14
	v_cndmask_b32_e32 v11, v12, v11, vcc
	v_cndmask_b32_e32 v12, v14, v15, vcc
	v_lshlrev_b32_e32 v14, 16, v13
	v_mov_b32_e32 v15, 0x3b800000
	v_lshlrev_b32_e32 v11, 20, v11
	v_and_b32_e32 v14, 0x80000000, v14
	v_lshl_add_u32 v12, v12, 23, v15
	v_or3_b32 v12, v14, v12, v11
.LBB45_112:
	s_or_b64 exec, exec, s[6:7]
	s_nop 0
	v_mfma_f32_16x16x4f32 a[0:3], v10, v12, a[0:3]
	s_movk_i32 s4, 0xff
	v_and_b32_sdwa v11, v17, s4 dst_sel:DWORD dst_unused:UNUSED_PAD src0_sel:WORD_1 src1_sel:DWORD
	s_movk_i32 s4, 0x7f
	v_cmp_lt_i16_e32 vcc, s4, v11
	s_mov_b64 s[4:5], 0
                                        ; implicit-def: $sgpr10
	s_and_saveexec_b64 s[6:7], vcc
	s_xor_b64 s[6:7], exec, s[6:7]
	s_cbranch_execnz .LBB45_2161
; %bb.113:
	s_or_saveexec_b64 s[6:7], s[6:7]
	v_mov_b32_e32 v10, s10
	s_xor_b64 exec, exec, s[6:7]
	s_cbranch_execnz .LBB45_2164
.LBB45_114:
	s_or_b64 exec, exec, s[6:7]
	s_and_saveexec_b64 s[6:7], s[4:5]
	s_cbranch_execz .LBB45_116
.LBB45_115:
	v_bfe_u32 v10, v17, 16, 3
	v_ffbh_u32_e32 v14, v10
	v_min_u32_e32 v14, 32, v14
	v_lshrrev_b32_e32 v11, 19, v17
	v_subrev_u32_e32 v15, 28, v14
	v_and_b32_e32 v11, 15, v11
	v_lshlrev_b32_sdwa v15, v15, v17 dst_sel:DWORD dst_unused:UNUSED_PAD src0_sel:DWORD src1_sel:WORD_1
	v_bfe_u32 v12, v17, 19, 4
	v_sub_u32_e32 v14, 29, v14
	v_and_b32_e32 v15, 7, v15
	v_cmp_eq_u16_e32 vcc, 0, v11
	v_cndmask_b32_e32 v10, v10, v15, vcc
	v_cndmask_b32_e32 v11, v12, v14, vcc
	v_lshlrev_b32_e32 v12, 8, v17
	v_mov_b32_e32 v14, 0x3b800000
	v_lshlrev_b32_e32 v10, 20, v10
	v_and_b32_e32 v12, 0x80000000, v12
	v_lshl_add_u32 v11, v11, 23, v14
	v_or3_b32 v10, v12, v11, v10
.LBB45_116:
	s_or_b64 exec, exec, s[6:7]
	s_movk_i32 s4, 0xff
	v_and_b32_sdwa v11, v13, s4 dst_sel:DWORD dst_unused:UNUSED_PAD src0_sel:WORD_1 src1_sel:DWORD
	s_movk_i32 s4, 0x7f
	v_cmp_lt_i16_e32 vcc, s4, v11
	s_mov_b64 s[4:5], 0
                                        ; implicit-def: $sgpr10
	s_and_saveexec_b64 s[6:7], vcc
	s_xor_b64 s[6:7], exec, s[6:7]
	s_cbranch_execnz .LBB45_2165
; %bb.117:
	s_or_saveexec_b64 s[6:7], s[6:7]
	v_mov_b32_e32 v12, s10
	s_xor_b64 exec, exec, s[6:7]
	s_cbranch_execnz .LBB45_2168
.LBB45_118:
	s_or_b64 exec, exec, s[6:7]
	s_and_saveexec_b64 s[6:7], s[4:5]
	s_cbranch_execz .LBB45_120
.LBB45_119:
	v_bfe_u32 v11, v13, 16, 3
	v_ffbh_u32_e32 v15, v11
	v_min_u32_e32 v15, 32, v15
	v_lshrrev_b32_e32 v12, 19, v13
	v_subrev_u32_e32 v16, 28, v15
	v_and_b32_e32 v12, 15, v12
	v_lshlrev_b32_sdwa v16, v16, v13 dst_sel:DWORD dst_unused:UNUSED_PAD src0_sel:DWORD src1_sel:WORD_1
	v_bfe_u32 v14, v13, 19, 4
	v_sub_u32_e32 v15, 29, v15
	v_and_b32_e32 v16, 7, v16
	v_cmp_eq_u16_e32 vcc, 0, v12
	v_cndmask_b32_e32 v11, v11, v16, vcc
	v_cndmask_b32_e32 v12, v14, v15, vcc
	v_lshlrev_b32_e32 v14, 8, v13
	v_mov_b32_e32 v15, 0x3b800000
	v_lshlrev_b32_e32 v11, 20, v11
	v_and_b32_e32 v14, 0x80000000, v14
	v_lshl_add_u32 v12, v12, 23, v15
	v_or3_b32 v12, v14, v12, v11
.LBB45_120:
	s_or_b64 exec, exec, s[6:7]
	s_nop 0
	v_mfma_f32_16x16x4f32 a[0:3], v10, v12, a[0:3]
	s_movk_i32 s4, 0x7f
	v_cmp_gt_i16_sdwa s[6:7], v17, s4 src0_sel:BYTE_3 src1_sel:DWORD
	s_mov_b64 s[4:5], 0
                                        ; implicit-def: $sgpr10
	s_and_saveexec_b64 s[8:9], s[6:7]
	s_xor_b64 s[6:7], exec, s[8:9]
	s_cbranch_execnz .LBB45_2169
; %bb.121:
	s_or_saveexec_b64 s[6:7], s[6:7]
	v_mov_b32_e32 v10, s10
	s_xor_b64 exec, exec, s[6:7]
	s_cbranch_execnz .LBB45_2172
.LBB45_122:
	s_or_b64 exec, exec, s[6:7]
	s_and_saveexec_b64 s[6:7], s[4:5]
	s_cbranch_execz .LBB45_124
.LBB45_123:
	v_bfe_u32 v10, v17, 24, 3
	v_ffbh_u32_e32 v15, v10
	v_min_u32_e32 v15, 32, v15
	v_lshrrev_b32_e32 v12, 27, v17
	v_subrev_u32_e32 v16, 28, v15
	v_and_b32_e32 v12, 15, v12
	v_lshlrev_b32_sdwa v16, v16, v17 dst_sel:DWORD dst_unused:UNUSED_PAD src0_sel:DWORD src1_sel:BYTE_3
	v_bfe_u32 v14, v17, 27, 4
	v_sub_u32_e32 v15, 29, v15
	v_and_b32_e32 v16, 7, v16
	v_cmp_eq_u16_e32 vcc, 0, v12
	v_cndmask_b32_e32 v10, v10, v16, vcc
	v_cndmask_b32_e32 v12, v14, v15, vcc
	v_mov_b32_e32 v14, 0x3b800000
	v_and_b32_e32 v11, 0x80000000, v17
	v_lshlrev_b32_e32 v10, 20, v10
	v_lshl_add_u32 v12, v12, 23, v14
	v_or3_b32 v10, v11, v12, v10
.LBB45_124:
	s_or_b64 exec, exec, s[6:7]
	s_movk_i32 s4, 0x7f
	v_cmp_gt_i16_sdwa s[6:7], v13, s4 src0_sel:BYTE_3 src1_sel:DWORD
	s_mov_b64 s[4:5], 0
                                        ; implicit-def: $sgpr10
	s_and_saveexec_b64 s[8:9], s[6:7]
	s_xor_b64 s[6:7], exec, s[8:9]
	s_cbranch_execnz .LBB45_2173
; %bb.125:
	s_or_saveexec_b64 s[6:7], s[6:7]
	v_mov_b32_e32 v11, s10
	s_xor_b64 exec, exec, s[6:7]
	s_cbranch_execnz .LBB45_2176
.LBB45_126:
	s_or_b64 exec, exec, s[6:7]
	s_and_saveexec_b64 s[6:7], s[4:5]
	s_cbranch_execz .LBB45_128
.LBB45_127:
	v_bfe_u32 v11, v13, 24, 3
	v_ffbh_u32_e32 v16, v11
	v_min_u32_e32 v16, 32, v16
	v_lshrrev_b32_e32 v14, 27, v13
	v_subrev_u32_e32 v17, 28, v16
	v_and_b32_e32 v12, 0x80000000, v13
	v_and_b32_e32 v14, 15, v14
	v_bfe_u32 v15, v13, 27, 4
	v_lshlrev_b32_sdwa v13, v17, v13 dst_sel:DWORD dst_unused:UNUSED_PAD src0_sel:DWORD src1_sel:BYTE_3
	v_sub_u32_e32 v16, 29, v16
	v_and_b32_e32 v13, 7, v13
	v_cmp_eq_u16_e32 vcc, 0, v14
	v_cndmask_b32_e32 v11, v11, v13, vcc
	v_cndmask_b32_e32 v13, v15, v16, vcc
	v_mov_b32_e32 v14, 0x3b800000
	v_lshlrev_b32_e32 v11, 20, v11
	v_lshl_add_u32 v13, v13, 23, v14
	v_or3_b32 v11, v12, v13, v11
.LBB45_128:
	s_or_b64 exec, exec, s[6:7]
	s_nop 0
	v_mfma_f32_16x16x4f32 a[0:3], v10, v11, a[0:3]
	s_movk_i32 s4, 0x7f
	v_cmp_gt_i16_sdwa s[6:7], v6, s4 src0_sel:BYTE_0 src1_sel:DWORD
	s_mov_b64 s[4:5], 0
                                        ; implicit-def: $sgpr10
	s_and_saveexec_b64 s[8:9], s[6:7]
	s_xor_b64 s[6:7], exec, s[8:9]
	s_cbranch_execnz .LBB45_2177
; %bb.129:
	s_or_saveexec_b64 s[6:7], s[6:7]
	v_mov_b32_e32 v10, s10
	s_xor_b64 exec, exec, s[6:7]
	s_cbranch_execnz .LBB45_2180
.LBB45_130:
	s_or_b64 exec, exec, s[6:7]
	s_and_saveexec_b64 s[6:7], s[4:5]
	s_cbranch_execz .LBB45_132
.LBB45_131:
	v_and_b32_e32 v10, 7, v6
	v_ffbh_u32_e32 v12, v10
	v_min_u32_e32 v12, 32, v12
	v_lshrrev_b16_e32 v11, 3, v6
	v_subrev_u32_e32 v13, 28, v12
	v_and_b32_e32 v11, 15, v11
	v_lshlrev_b32_e32 v13, v13, v6
	v_sub_u32_e32 v12, 29, v12
	v_and_b32_e32 v13, 7, v13
	v_cmp_eq_u16_e32 vcc, 0, v11
	v_cndmask_b32_e32 v10, v10, v13, vcc
	v_cndmask_b32_e32 v11, v11, v12, vcc
	v_lshlrev_b32_e32 v12, 24, v6
	v_mov_b32_e32 v13, 0x3b800000
	v_lshlrev_b32_e32 v10, 20, v10
	v_and_b32_e32 v12, 0x80000000, v12
	v_lshl_add_u32 v11, v11, 23, v13
	v_or3_b32 v10, v12, v11, v10
.LBB45_132:
	s_or_b64 exec, exec, s[6:7]
	s_movk_i32 s4, 0x7f
	v_cmp_gt_i16_sdwa s[6:7], v2, s4 src0_sel:BYTE_0 src1_sel:DWORD
	s_mov_b64 s[4:5], 0
                                        ; implicit-def: $sgpr10
	s_and_saveexec_b64 s[8:9], s[6:7]
	s_xor_b64 s[6:7], exec, s[8:9]
	s_cbranch_execnz .LBB45_2181
; %bb.133:
	s_or_saveexec_b64 s[6:7], s[6:7]
	v_mov_b32_e32 v11, s10
	s_xor_b64 exec, exec, s[6:7]
	s_cbranch_execnz .LBB45_2184
.LBB45_134:
	s_or_b64 exec, exec, s[6:7]
	s_and_saveexec_b64 s[6:7], s[4:5]
	s_cbranch_execz .LBB45_136
.LBB45_135:
	v_and_b32_e32 v11, 7, v2
	v_ffbh_u32_e32 v13, v11
	v_min_u32_e32 v13, 32, v13
	v_lshrrev_b16_e32 v12, 3, v2
	v_subrev_u32_e32 v14, 28, v13
	v_and_b32_e32 v12, 15, v12
	v_lshlrev_b32_e32 v14, v14, v2
	v_sub_u32_e32 v13, 29, v13
	v_and_b32_e32 v14, 7, v14
	v_cmp_eq_u16_e32 vcc, 0, v12
	v_cndmask_b32_e32 v11, v11, v14, vcc
	v_cndmask_b32_e32 v12, v12, v13, vcc
	v_lshlrev_b32_e32 v13, 24, v2
	v_mov_b32_e32 v14, 0x3b800000
	v_lshlrev_b32_e32 v11, 20, v11
	v_and_b32_e32 v13, 0x80000000, v13
	v_lshl_add_u32 v12, v12, 23, v14
	v_or3_b32 v11, v13, v12, v11
.LBB45_136:
	s_or_b64 exec, exec, s[6:7]
	s_nop 0
	v_mfma_f32_16x16x4f32 a[0:3], v10, v11, a[0:3]
	v_lshrrev_b32_e32 v11, 8, v6
	s_movk_i32 s4, 0x7f
	v_cmp_gt_i16_sdwa s[6:7], v11, s4 src0_sel:BYTE_0 src1_sel:DWORD
	s_mov_b64 s[4:5], 0
                                        ; implicit-def: $sgpr10
	s_and_saveexec_b64 s[8:9], s[6:7]
	s_xor_b64 s[6:7], exec, s[8:9]
	s_cbranch_execnz .LBB45_2185
; %bb.137:
	s_or_saveexec_b64 s[6:7], s[6:7]
	v_mov_b32_e32 v10, s10
	s_xor_b64 exec, exec, s[6:7]
	s_cbranch_execnz .LBB45_2188
.LBB45_138:
	s_or_b64 exec, exec, s[6:7]
	s_and_saveexec_b64 s[6:7], s[4:5]
	s_cbranch_execz .LBB45_140
.LBB45_139:
	v_bfe_u32 v10, v6, 8, 3
	v_ffbh_u32_e32 v13, v10
	v_min_u32_e32 v13, 32, v13
	v_lshrrev_b16_e32 v12, 3, v11
	v_subrev_u32_e32 v14, 28, v13
	v_and_b32_e32 v12, 15, v12
	v_lshlrev_b32_e32 v11, v14, v11
	v_sub_u32_e32 v13, 29, v13
	v_and_b32_e32 v11, 7, v11
	v_cmp_eq_u16_e32 vcc, 0, v12
	v_cndmask_b32_e32 v10, v10, v11, vcc
	v_cndmask_b32_e32 v11, v12, v13, vcc
	v_lshlrev_b32_e32 v12, 16, v6
	v_mov_b32_e32 v13, 0x3b800000
	v_lshlrev_b32_e32 v10, 20, v10
	v_and_b32_e32 v12, 0x80000000, v12
	v_lshl_add_u32 v11, v11, 23, v13
	v_or3_b32 v10, v12, v11, v10
.LBB45_140:
	s_or_b64 exec, exec, s[6:7]
	v_lshrrev_b32_e32 v11, 8, v2
	s_movk_i32 s4, 0x7f
	v_cmp_gt_i16_sdwa s[6:7], v11, s4 src0_sel:BYTE_0 src1_sel:DWORD
	s_mov_b64 s[4:5], 0
                                        ; implicit-def: $sgpr10
	s_and_saveexec_b64 s[8:9], s[6:7]
	s_xor_b64 s[6:7], exec, s[8:9]
	s_cbranch_execnz .LBB45_2189
; %bb.141:
	s_or_saveexec_b64 s[6:7], s[6:7]
	v_mov_b32_e32 v12, s10
	s_xor_b64 exec, exec, s[6:7]
	s_cbranch_execnz .LBB45_2192
.LBB45_142:
	s_or_b64 exec, exec, s[6:7]
	s_and_saveexec_b64 s[6:7], s[4:5]
	s_cbranch_execz .LBB45_144
.LBB45_143:
	v_bfe_u32 v12, v2, 8, 3
	v_ffbh_u32_e32 v14, v12
	v_min_u32_e32 v14, 32, v14
	v_lshrrev_b16_e32 v13, 3, v11
	v_subrev_u32_e32 v15, 28, v14
	v_and_b32_e32 v13, 15, v13
	v_lshlrev_b32_e32 v11, v15, v11
	v_sub_u32_e32 v14, 29, v14
	v_and_b32_e32 v11, 7, v11
	v_cmp_eq_u16_e32 vcc, 0, v13
	v_cndmask_b32_e32 v11, v12, v11, vcc
	v_cndmask_b32_e32 v12, v13, v14, vcc
	v_lshlrev_b32_e32 v13, 16, v2
	v_mov_b32_e32 v14, 0x3b800000
	v_lshlrev_b32_e32 v11, 20, v11
	v_and_b32_e32 v13, 0x80000000, v13
	v_lshl_add_u32 v12, v12, 23, v14
	v_or3_b32 v12, v13, v12, v11
.LBB45_144:
	s_or_b64 exec, exec, s[6:7]
	s_nop 0
	v_mfma_f32_16x16x4f32 a[0:3], v10, v12, a[0:3]
	s_movk_i32 s4, 0xff
	v_and_b32_sdwa v11, v6, s4 dst_sel:DWORD dst_unused:UNUSED_PAD src0_sel:WORD_1 src1_sel:DWORD
	s_movk_i32 s4, 0x7f
	v_cmp_lt_i16_e32 vcc, s4, v11
	s_mov_b64 s[4:5], 0
                                        ; implicit-def: $sgpr10
	s_and_saveexec_b64 s[6:7], vcc
	s_xor_b64 s[6:7], exec, s[6:7]
	s_cbranch_execnz .LBB45_2193
; %bb.145:
	s_or_saveexec_b64 s[6:7], s[6:7]
	v_mov_b32_e32 v10, s10
	s_xor_b64 exec, exec, s[6:7]
	s_cbranch_execnz .LBB45_2196
.LBB45_146:
	s_or_b64 exec, exec, s[6:7]
	s_and_saveexec_b64 s[6:7], s[4:5]
	s_cbranch_execz .LBB45_148
.LBB45_147:
	v_bfe_u32 v10, v6, 16, 3
	v_ffbh_u32_e32 v13, v10
	v_min_u32_e32 v13, 32, v13
	v_lshrrev_b32_e32 v11, 19, v6
	v_subrev_u32_e32 v14, 28, v13
	v_and_b32_e32 v11, 15, v11
	v_lshlrev_b32_sdwa v14, v14, v6 dst_sel:DWORD dst_unused:UNUSED_PAD src0_sel:DWORD src1_sel:WORD_1
	v_bfe_u32 v12, v6, 19, 4
	v_sub_u32_e32 v13, 29, v13
	v_and_b32_e32 v14, 7, v14
	v_cmp_eq_u16_e32 vcc, 0, v11
	v_cndmask_b32_e32 v10, v10, v14, vcc
	v_cndmask_b32_e32 v11, v12, v13, vcc
	v_lshlrev_b32_e32 v12, 8, v6
	v_mov_b32_e32 v13, 0x3b800000
	v_lshlrev_b32_e32 v10, 20, v10
	v_and_b32_e32 v12, 0x80000000, v12
	v_lshl_add_u32 v11, v11, 23, v13
	v_or3_b32 v10, v12, v11, v10
.LBB45_148:
	s_or_b64 exec, exec, s[6:7]
	s_movk_i32 s4, 0xff
	v_and_b32_sdwa v11, v2, s4 dst_sel:DWORD dst_unused:UNUSED_PAD src0_sel:WORD_1 src1_sel:DWORD
	s_movk_i32 s4, 0x7f
	v_cmp_lt_i16_e32 vcc, s4, v11
	s_mov_b64 s[4:5], 0
                                        ; implicit-def: $sgpr10
	s_and_saveexec_b64 s[6:7], vcc
	s_xor_b64 s[6:7], exec, s[6:7]
	s_cbranch_execnz .LBB45_2197
; %bb.149:
	s_or_saveexec_b64 s[6:7], s[6:7]
	v_mov_b32_e32 v12, s10
	s_xor_b64 exec, exec, s[6:7]
	s_cbranch_execnz .LBB45_2200
.LBB45_150:
	s_or_b64 exec, exec, s[6:7]
	s_and_saveexec_b64 s[6:7], s[4:5]
	s_cbranch_execz .LBB45_152
.LBB45_151:
	v_bfe_u32 v11, v2, 16, 3
	v_ffbh_u32_e32 v14, v11
	v_min_u32_e32 v14, 32, v14
	v_lshrrev_b32_e32 v12, 19, v2
	v_subrev_u32_e32 v15, 28, v14
	v_and_b32_e32 v12, 15, v12
	v_lshlrev_b32_sdwa v15, v15, v2 dst_sel:DWORD dst_unused:UNUSED_PAD src0_sel:DWORD src1_sel:WORD_1
	v_bfe_u32 v13, v2, 19, 4
	v_sub_u32_e32 v14, 29, v14
	v_and_b32_e32 v15, 7, v15
	v_cmp_eq_u16_e32 vcc, 0, v12
	v_cndmask_b32_e32 v11, v11, v15, vcc
	v_cndmask_b32_e32 v12, v13, v14, vcc
	v_lshlrev_b32_e32 v13, 8, v2
	v_mov_b32_e32 v14, 0x3b800000
	v_lshlrev_b32_e32 v11, 20, v11
	v_and_b32_e32 v13, 0x80000000, v13
	v_lshl_add_u32 v12, v12, 23, v14
	v_or3_b32 v12, v13, v12, v11
.LBB45_152:
	s_or_b64 exec, exec, s[6:7]
	s_nop 0
	v_mfma_f32_16x16x4f32 a[0:3], v10, v12, a[0:3]
	s_movk_i32 s4, 0x7f
	v_cmp_gt_i16_sdwa s[6:7], v6, s4 src0_sel:BYTE_3 src1_sel:DWORD
	s_mov_b64 s[4:5], 0
                                        ; implicit-def: $sgpr10
	s_and_saveexec_b64 s[8:9], s[6:7]
	s_xor_b64 s[6:7], exec, s[8:9]
	s_cbranch_execnz .LBB45_2201
; %bb.153:
	s_or_saveexec_b64 s[6:7], s[6:7]
	v_mov_b32_e32 v10, s10
	s_xor_b64 exec, exec, s[6:7]
	s_cbranch_execnz .LBB45_2204
.LBB45_154:
	s_or_b64 exec, exec, s[6:7]
	s_and_saveexec_b64 s[6:7], s[4:5]
	s_cbranch_execz .LBB45_156
.LBB45_155:
	v_bfe_u32 v10, v6, 24, 3
	v_ffbh_u32_e32 v14, v10
	v_min_u32_e32 v14, 32, v14
	v_lshrrev_b32_e32 v12, 27, v6
	v_subrev_u32_e32 v15, 28, v14
	v_and_b32_e32 v11, 0x80000000, v6
	v_and_b32_e32 v12, 15, v12
	v_bfe_u32 v13, v6, 27, 4
	v_lshlrev_b32_sdwa v6, v15, v6 dst_sel:DWORD dst_unused:UNUSED_PAD src0_sel:DWORD src1_sel:BYTE_3
	v_sub_u32_e32 v14, 29, v14
	v_and_b32_e32 v6, 7, v6
	v_cmp_eq_u16_e32 vcc, 0, v12
	v_cndmask_b32_e32 v6, v10, v6, vcc
	v_cndmask_b32_e32 v10, v13, v14, vcc
	v_mov_b32_e32 v12, 0x3b800000
	v_lshlrev_b32_e32 v6, 20, v6
	v_lshl_add_u32 v10, v10, 23, v12
	v_or3_b32 v10, v11, v10, v6
.LBB45_156:
	s_or_b64 exec, exec, s[6:7]
	s_movk_i32 s4, 0x7f
	v_cmp_gt_i16_sdwa s[6:7], v2, s4 src0_sel:BYTE_3 src1_sel:DWORD
	s_mov_b64 s[4:5], 0
                                        ; implicit-def: $sgpr10
	s_and_saveexec_b64 s[8:9], s[6:7]
	s_xor_b64 s[6:7], exec, s[8:9]
	s_cbranch_execnz .LBB45_2205
; %bb.157:
	s_or_saveexec_b64 s[6:7], s[6:7]
	v_mov_b32_e32 v6, s10
	s_xor_b64 exec, exec, s[6:7]
	s_cbranch_execnz .LBB45_2208
.LBB45_158:
	s_or_b64 exec, exec, s[6:7]
	s_and_saveexec_b64 s[6:7], s[4:5]
	s_cbranch_execz .LBB45_160
.LBB45_159:
	v_bfe_u32 v6, v2, 24, 3
	v_ffbh_u32_e32 v14, v6
	v_min_u32_e32 v14, 32, v14
	v_lshrrev_b32_e32 v12, 27, v2
	v_subrev_u32_e32 v15, 28, v14
	v_and_b32_e32 v11, 0x80000000, v2
	v_and_b32_e32 v12, 15, v12
	v_bfe_u32 v13, v2, 27, 4
	v_lshlrev_b32_sdwa v2, v15, v2 dst_sel:DWORD dst_unused:UNUSED_PAD src0_sel:DWORD src1_sel:BYTE_3
	v_sub_u32_e32 v14, 29, v14
	v_and_b32_e32 v2, 7, v2
	v_cmp_eq_u16_e32 vcc, 0, v12
	v_cndmask_b32_e32 v2, v6, v2, vcc
	v_cndmask_b32_e32 v6, v13, v14, vcc
	v_mov_b32_e32 v12, 0x3b800000
	v_lshlrev_b32_e32 v2, 20, v2
	v_lshl_add_u32 v6, v6, 23, v12
	v_or3_b32 v6, v11, v6, v2
.LBB45_160:
	s_or_b64 exec, exec, s[6:7]
	s_nop 0
	v_mfma_f32_16x16x4f32 a[0:3], v10, v6, a[0:3]
	s_movk_i32 s4, 0x7f
	v_cmp_gt_i16_sdwa s[6:7], v7, s4 src0_sel:BYTE_0 src1_sel:DWORD
	s_mov_b64 s[4:5], 0
                                        ; implicit-def: $sgpr10
	s_and_saveexec_b64 s[8:9], s[6:7]
	s_xor_b64 s[6:7], exec, s[8:9]
	s_cbranch_execnz .LBB45_2209
; %bb.161:
	s_or_saveexec_b64 s[6:7], s[6:7]
	v_mov_b32_e32 v2, s10
	s_xor_b64 exec, exec, s[6:7]
	s_cbranch_execnz .LBB45_2212
.LBB45_162:
	s_or_b64 exec, exec, s[6:7]
	s_and_saveexec_b64 s[6:7], s[4:5]
	s_cbranch_execz .LBB45_164
.LBB45_163:
	v_and_b32_e32 v2, 7, v7
	v_ffbh_u32_e32 v10, v2
	v_min_u32_e32 v10, 32, v10
	v_lshrrev_b16_e32 v6, 3, v7
	v_subrev_u32_e32 v11, 28, v10
	v_and_b32_e32 v6, 15, v6
	v_lshlrev_b32_e32 v11, v11, v7
	v_sub_u32_e32 v10, 29, v10
	v_and_b32_e32 v11, 7, v11
	v_cmp_eq_u16_e32 vcc, 0, v6
	v_cndmask_b32_e32 v2, v2, v11, vcc
	v_cndmask_b32_e32 v6, v6, v10, vcc
	v_lshlrev_b32_e32 v10, 24, v7
	v_mov_b32_e32 v11, 0x3b800000
	v_lshlrev_b32_e32 v2, 20, v2
	v_and_b32_e32 v10, 0x80000000, v10
	v_lshl_add_u32 v6, v6, 23, v11
	v_or3_b32 v2, v10, v6, v2
.LBB45_164:
	s_or_b64 exec, exec, s[6:7]
	s_movk_i32 s4, 0x7f
	v_cmp_gt_i16_sdwa s[6:7], v3, s4 src0_sel:BYTE_0 src1_sel:DWORD
	s_mov_b64 s[4:5], 0
                                        ; implicit-def: $sgpr10
	s_and_saveexec_b64 s[8:9], s[6:7]
	s_xor_b64 s[6:7], exec, s[8:9]
	s_cbranch_execnz .LBB45_2213
; %bb.165:
	s_or_saveexec_b64 s[6:7], s[6:7]
	v_mov_b32_e32 v6, s10
	s_xor_b64 exec, exec, s[6:7]
	s_cbranch_execnz .LBB45_2216
.LBB45_166:
	s_or_b64 exec, exec, s[6:7]
	s_and_saveexec_b64 s[6:7], s[4:5]
	s_cbranch_execz .LBB45_168
.LBB45_167:
	v_and_b32_e32 v6, 7, v3
	v_ffbh_u32_e32 v11, v6
	v_min_u32_e32 v11, 32, v11
	v_lshrrev_b16_e32 v10, 3, v3
	v_subrev_u32_e32 v12, 28, v11
	v_and_b32_e32 v10, 15, v10
	v_lshlrev_b32_e32 v12, v12, v3
	v_sub_u32_e32 v11, 29, v11
	v_and_b32_e32 v12, 7, v12
	v_cmp_eq_u16_e32 vcc, 0, v10
	v_cndmask_b32_e32 v6, v6, v12, vcc
	v_cndmask_b32_e32 v10, v10, v11, vcc
	v_lshlrev_b32_e32 v11, 24, v3
	v_mov_b32_e32 v12, 0x3b800000
	v_lshlrev_b32_e32 v6, 20, v6
	v_and_b32_e32 v11, 0x80000000, v11
	v_lshl_add_u32 v10, v10, 23, v12
	v_or3_b32 v6, v11, v10, v6
.LBB45_168:
	s_or_b64 exec, exec, s[6:7]
	s_nop 0
	v_mfma_f32_16x16x4f32 a[0:3], v2, v6, a[0:3]
	v_lshrrev_b32_e32 v6, 8, v7
	s_movk_i32 s4, 0x7f
	v_cmp_gt_i16_sdwa s[6:7], v6, s4 src0_sel:BYTE_0 src1_sel:DWORD
	s_mov_b64 s[4:5], 0
                                        ; implicit-def: $sgpr10
	s_and_saveexec_b64 s[8:9], s[6:7]
	s_xor_b64 s[6:7], exec, s[8:9]
	s_cbranch_execnz .LBB45_2217
; %bb.169:
	s_or_saveexec_b64 s[6:7], s[6:7]
	v_mov_b32_e32 v2, s10
	s_xor_b64 exec, exec, s[6:7]
	s_cbranch_execnz .LBB45_2220
.LBB45_170:
	s_or_b64 exec, exec, s[6:7]
	s_and_saveexec_b64 s[6:7], s[4:5]
	s_cbranch_execz .LBB45_172
.LBB45_171:
	v_bfe_u32 v2, v7, 8, 3
	v_ffbh_u32_e32 v11, v2
	v_min_u32_e32 v11, 32, v11
	v_lshrrev_b16_e32 v10, 3, v6
	v_subrev_u32_e32 v12, 28, v11
	v_and_b32_e32 v10, 15, v10
	v_lshlrev_b32_e32 v6, v12, v6
	v_sub_u32_e32 v11, 29, v11
	v_and_b32_e32 v6, 7, v6
	v_cmp_eq_u16_e32 vcc, 0, v10
	v_cndmask_b32_e32 v2, v2, v6, vcc
	v_cndmask_b32_e32 v6, v10, v11, vcc
	v_lshlrev_b32_e32 v10, 16, v7
	v_mov_b32_e32 v11, 0x3b800000
	v_lshlrev_b32_e32 v2, 20, v2
	v_and_b32_e32 v10, 0x80000000, v10
	v_lshl_add_u32 v6, v6, 23, v11
	v_or3_b32 v2, v10, v6, v2
.LBB45_172:
	s_or_b64 exec, exec, s[6:7]
	v_lshrrev_b32_e32 v6, 8, v3
	s_movk_i32 s4, 0x7f
	v_cmp_gt_i16_sdwa s[6:7], v6, s4 src0_sel:BYTE_0 src1_sel:DWORD
	s_mov_b64 s[4:5], 0
                                        ; implicit-def: $sgpr10
	s_and_saveexec_b64 s[8:9], s[6:7]
	s_xor_b64 s[6:7], exec, s[8:9]
	s_cbranch_execnz .LBB45_2221
; %bb.173:
	s_or_saveexec_b64 s[6:7], s[6:7]
	v_mov_b32_e32 v10, s10
	s_xor_b64 exec, exec, s[6:7]
	s_cbranch_execnz .LBB45_2224
.LBB45_174:
	s_or_b64 exec, exec, s[6:7]
	s_and_saveexec_b64 s[6:7], s[4:5]
	s_cbranch_execz .LBB45_176
.LBB45_175:
	v_bfe_u32 v10, v3, 8, 3
	v_ffbh_u32_e32 v12, v10
	v_min_u32_e32 v12, 32, v12
	v_lshrrev_b16_e32 v11, 3, v6
	v_subrev_u32_e32 v13, 28, v12
	v_and_b32_e32 v11, 15, v11
	v_lshlrev_b32_e32 v6, v13, v6
	v_sub_u32_e32 v12, 29, v12
	v_and_b32_e32 v6, 7, v6
	v_cmp_eq_u16_e32 vcc, 0, v11
	v_cndmask_b32_e32 v6, v10, v6, vcc
	v_cndmask_b32_e32 v10, v11, v12, vcc
	v_lshlrev_b32_e32 v11, 16, v3
	v_mov_b32_e32 v12, 0x3b800000
	v_lshlrev_b32_e32 v6, 20, v6
	v_and_b32_e32 v11, 0x80000000, v11
	v_lshl_add_u32 v10, v10, 23, v12
	v_or3_b32 v10, v11, v10, v6
.LBB45_176:
	s_or_b64 exec, exec, s[6:7]
	s_nop 0
	v_mfma_f32_16x16x4f32 a[0:3], v2, v10, a[0:3]
	s_movk_i32 s4, 0xff
	v_and_b32_sdwa v6, v7, s4 dst_sel:DWORD dst_unused:UNUSED_PAD src0_sel:WORD_1 src1_sel:DWORD
	s_movk_i32 s4, 0x7f
	v_cmp_lt_i16_e32 vcc, s4, v6
	s_mov_b64 s[4:5], 0
                                        ; implicit-def: $sgpr10
	s_and_saveexec_b64 s[6:7], vcc
	s_xor_b64 s[6:7], exec, s[6:7]
	s_cbranch_execnz .LBB45_2225
; %bb.177:
	s_or_saveexec_b64 s[6:7], s[6:7]
	v_mov_b32_e32 v2, s10
	s_xor_b64 exec, exec, s[6:7]
	s_cbranch_execnz .LBB45_2228
.LBB45_178:
	s_or_b64 exec, exec, s[6:7]
	s_and_saveexec_b64 s[6:7], s[4:5]
	s_cbranch_execz .LBB45_180
.LBB45_179:
	v_bfe_u32 v2, v7, 16, 3
	v_ffbh_u32_e32 v11, v2
	v_min_u32_e32 v11, 32, v11
	v_lshrrev_b32_e32 v6, 19, v7
	v_subrev_u32_e32 v12, 28, v11
	v_and_b32_e32 v6, 15, v6
	v_lshlrev_b32_sdwa v12, v12, v7 dst_sel:DWORD dst_unused:UNUSED_PAD src0_sel:DWORD src1_sel:WORD_1
	v_bfe_u32 v10, v7, 19, 4
	v_sub_u32_e32 v11, 29, v11
	v_and_b32_e32 v12, 7, v12
	v_cmp_eq_u16_e32 vcc, 0, v6
	v_cndmask_b32_e32 v2, v2, v12, vcc
	v_cndmask_b32_e32 v6, v10, v11, vcc
	v_lshlrev_b32_e32 v10, 8, v7
	v_mov_b32_e32 v11, 0x3b800000
	v_lshlrev_b32_e32 v2, 20, v2
	v_and_b32_e32 v10, 0x80000000, v10
	v_lshl_add_u32 v6, v6, 23, v11
	v_or3_b32 v2, v10, v6, v2
.LBB45_180:
	s_or_b64 exec, exec, s[6:7]
	s_movk_i32 s4, 0xff
	v_and_b32_sdwa v6, v3, s4 dst_sel:DWORD dst_unused:UNUSED_PAD src0_sel:WORD_1 src1_sel:DWORD
	s_movk_i32 s4, 0x7f
	v_cmp_lt_i16_e32 vcc, s4, v6
	s_mov_b64 s[4:5], 0
                                        ; implicit-def: $sgpr10
	s_and_saveexec_b64 s[6:7], vcc
	s_xor_b64 s[6:7], exec, s[6:7]
	s_cbranch_execnz .LBB45_2229
; %bb.181:
	s_or_saveexec_b64 s[6:7], s[6:7]
	v_mov_b32_e32 v10, s10
	s_xor_b64 exec, exec, s[6:7]
	s_cbranch_execnz .LBB45_2232
.LBB45_182:
	s_or_b64 exec, exec, s[6:7]
	s_and_saveexec_b64 s[6:7], s[4:5]
	s_cbranch_execz .LBB45_184
.LBB45_183:
	v_bfe_u32 v6, v3, 16, 3
	v_ffbh_u32_e32 v12, v6
	v_min_u32_e32 v12, 32, v12
	v_lshrrev_b32_e32 v10, 19, v3
	v_subrev_u32_e32 v13, 28, v12
	v_and_b32_e32 v10, 15, v10
	v_lshlrev_b32_sdwa v13, v13, v3 dst_sel:DWORD dst_unused:UNUSED_PAD src0_sel:DWORD src1_sel:WORD_1
	v_bfe_u32 v11, v3, 19, 4
	v_sub_u32_e32 v12, 29, v12
	v_and_b32_e32 v13, 7, v13
	v_cmp_eq_u16_e32 vcc, 0, v10
	v_cndmask_b32_e32 v6, v6, v13, vcc
	v_cndmask_b32_e32 v10, v11, v12, vcc
	v_lshlrev_b32_e32 v11, 8, v3
	v_mov_b32_e32 v12, 0x3b800000
	v_lshlrev_b32_e32 v6, 20, v6
	v_and_b32_e32 v11, 0x80000000, v11
	v_lshl_add_u32 v10, v10, 23, v12
	v_or3_b32 v10, v11, v10, v6
.LBB45_184:
	s_or_b64 exec, exec, s[6:7]
	s_nop 0
	v_mfma_f32_16x16x4f32 a[0:3], v2, v10, a[0:3]
	s_movk_i32 s4, 0x7f
	v_cmp_gt_i16_sdwa s[6:7], v7, s4 src0_sel:BYTE_3 src1_sel:DWORD
	s_mov_b64 s[4:5], 0
                                        ; implicit-def: $sgpr10
	s_and_saveexec_b64 s[8:9], s[6:7]
	s_xor_b64 s[6:7], exec, s[8:9]
	s_cbranch_execnz .LBB45_2233
; %bb.185:
	s_or_saveexec_b64 s[6:7], s[6:7]
	v_mov_b32_e32 v2, s10
	s_xor_b64 exec, exec, s[6:7]
	s_cbranch_execnz .LBB45_2236
.LBB45_186:
	s_or_b64 exec, exec, s[6:7]
	s_and_saveexec_b64 s[6:7], s[4:5]
	s_cbranch_execz .LBB45_188
.LBB45_187:
	v_bfe_u32 v2, v7, 24, 3
	v_ffbh_u32_e32 v12, v2
	v_min_u32_e32 v12, 32, v12
	v_lshrrev_b32_e32 v10, 27, v7
	v_subrev_u32_e32 v13, 28, v12
	v_and_b32_e32 v6, 0x80000000, v7
	v_and_b32_e32 v10, 15, v10
	v_bfe_u32 v11, v7, 27, 4
	v_lshlrev_b32_sdwa v7, v13, v7 dst_sel:DWORD dst_unused:UNUSED_PAD src0_sel:DWORD src1_sel:BYTE_3
	v_sub_u32_e32 v12, 29, v12
	v_and_b32_e32 v7, 7, v7
	v_cmp_eq_u16_e32 vcc, 0, v10
	v_cndmask_b32_e32 v2, v2, v7, vcc
	v_cndmask_b32_e32 v7, v11, v12, vcc
	v_mov_b32_e32 v10, 0x3b800000
	v_lshlrev_b32_e32 v2, 20, v2
	v_lshl_add_u32 v7, v7, 23, v10
	v_or3_b32 v2, v6, v7, v2
.LBB45_188:
	s_or_b64 exec, exec, s[6:7]
	s_movk_i32 s4, 0x7f
	v_cmp_gt_i16_sdwa s[6:7], v3, s4 src0_sel:BYTE_3 src1_sel:DWORD
	s_mov_b64 s[4:5], 0
                                        ; implicit-def: $sgpr10
	s_and_saveexec_b64 s[8:9], s[6:7]
	s_xor_b64 s[6:7], exec, s[8:9]
	s_cbranch_execnz .LBB45_2237
; %bb.189:
	s_or_saveexec_b64 s[6:7], s[6:7]
	v_mov_b32_e32 v6, s10
	s_xor_b64 exec, exec, s[6:7]
	s_cbranch_execnz .LBB45_2240
.LBB45_190:
	s_or_b64 exec, exec, s[6:7]
	s_and_saveexec_b64 s[6:7], s[4:5]
	s_cbranch_execz .LBB45_192
.LBB45_191:
	v_bfe_u32 v6, v3, 24, 3
	v_ffbh_u32_e32 v12, v6
	v_min_u32_e32 v12, 32, v12
	v_lshrrev_b32_e32 v10, 27, v3
	v_subrev_u32_e32 v13, 28, v12
	v_and_b32_e32 v7, 0x80000000, v3
	v_and_b32_e32 v10, 15, v10
	v_bfe_u32 v11, v3, 27, 4
	v_lshlrev_b32_sdwa v3, v13, v3 dst_sel:DWORD dst_unused:UNUSED_PAD src0_sel:DWORD src1_sel:BYTE_3
	v_sub_u32_e32 v12, 29, v12
	v_and_b32_e32 v3, 7, v3
	v_cmp_eq_u16_e32 vcc, 0, v10
	v_cndmask_b32_e32 v3, v6, v3, vcc
	v_cndmask_b32_e32 v6, v11, v12, vcc
	v_mov_b32_e32 v10, 0x3b800000
	v_lshlrev_b32_e32 v3, 20, v3
	v_lshl_add_u32 v6, v6, 23, v10
	v_or3_b32 v6, v7, v6, v3
.LBB45_192:
	s_or_b64 exec, exec, s[6:7]
	s_nop 0
	v_mfma_f32_16x16x4f32 a[0:3], v2, v6, a[0:3]
	s_movk_i32 s4, 0x7f
	v_cmp_gt_i16_sdwa s[6:7], v8, s4 src0_sel:BYTE_0 src1_sel:DWORD
	s_mov_b64 s[4:5], 0
                                        ; implicit-def: $sgpr10
	s_and_saveexec_b64 s[8:9], s[6:7]
	s_xor_b64 s[6:7], exec, s[8:9]
	s_cbranch_execnz .LBB45_2241
; %bb.193:
	s_or_saveexec_b64 s[6:7], s[6:7]
	v_mov_b32_e32 v2, s10
	s_xor_b64 exec, exec, s[6:7]
	s_cbranch_execnz .LBB45_2244
.LBB45_194:
	s_or_b64 exec, exec, s[6:7]
	s_and_saveexec_b64 s[6:7], s[4:5]
	s_cbranch_execz .LBB45_196
.LBB45_195:
	v_and_b32_e32 v2, 7, v8
	v_ffbh_u32_e32 v6, v2
	v_min_u32_e32 v6, 32, v6
	v_lshrrev_b16_e32 v3, 3, v8
	v_subrev_u32_e32 v7, 28, v6
	v_and_b32_e32 v3, 15, v3
	v_lshlrev_b32_e32 v7, v7, v8
	v_sub_u32_e32 v6, 29, v6
	v_and_b32_e32 v7, 7, v7
	v_cmp_eq_u16_e32 vcc, 0, v3
	v_cndmask_b32_e32 v2, v2, v7, vcc
	v_cndmask_b32_e32 v3, v3, v6, vcc
	v_lshlrev_b32_e32 v6, 24, v8
	v_mov_b32_e32 v7, 0x3b800000
	v_lshlrev_b32_e32 v2, 20, v2
	v_and_b32_e32 v6, 0x80000000, v6
	v_lshl_add_u32 v3, v3, 23, v7
	v_or3_b32 v2, v6, v3, v2
.LBB45_196:
	s_or_b64 exec, exec, s[6:7]
	s_movk_i32 s4, 0x7f
	v_cmp_gt_i16_sdwa s[6:7], v4, s4 src0_sel:BYTE_0 src1_sel:DWORD
	s_mov_b64 s[4:5], 0
                                        ; implicit-def: $sgpr10
	s_and_saveexec_b64 s[8:9], s[6:7]
	s_xor_b64 s[6:7], exec, s[8:9]
	s_cbranch_execnz .LBB45_2245
; %bb.197:
	s_or_saveexec_b64 s[6:7], s[6:7]
	v_mov_b32_e32 v3, s10
	s_xor_b64 exec, exec, s[6:7]
	s_cbranch_execnz .LBB45_2248
.LBB45_198:
	s_or_b64 exec, exec, s[6:7]
	s_and_saveexec_b64 s[6:7], s[4:5]
	s_cbranch_execz .LBB45_200
.LBB45_199:
	v_and_b32_e32 v3, 7, v4
	v_ffbh_u32_e32 v7, v3
	v_min_u32_e32 v7, 32, v7
	v_lshrrev_b16_e32 v6, 3, v4
	v_subrev_u32_e32 v10, 28, v7
	v_and_b32_e32 v6, 15, v6
	v_lshlrev_b32_e32 v10, v10, v4
	v_sub_u32_e32 v7, 29, v7
	v_and_b32_e32 v10, 7, v10
	v_cmp_eq_u16_e32 vcc, 0, v6
	v_cndmask_b32_e32 v3, v3, v10, vcc
	v_cndmask_b32_e32 v6, v6, v7, vcc
	v_lshlrev_b32_e32 v7, 24, v4
	v_mov_b32_e32 v10, 0x3b800000
	v_lshlrev_b32_e32 v3, 20, v3
	v_and_b32_e32 v7, 0x80000000, v7
	v_lshl_add_u32 v6, v6, 23, v10
	v_or3_b32 v3, v7, v6, v3
.LBB45_200:
	s_or_b64 exec, exec, s[6:7]
	s_nop 0
	v_mfma_f32_16x16x4f32 a[0:3], v2, v3, a[0:3]
	v_lshrrev_b32_e32 v3, 8, v8
	s_movk_i32 s4, 0x7f
	v_cmp_gt_i16_sdwa s[6:7], v3, s4 src0_sel:BYTE_0 src1_sel:DWORD
	s_mov_b64 s[4:5], 0
                                        ; implicit-def: $sgpr10
	s_and_saveexec_b64 s[8:9], s[6:7]
	s_xor_b64 s[6:7], exec, s[8:9]
	s_cbranch_execnz .LBB45_2249
; %bb.201:
	s_or_saveexec_b64 s[6:7], s[6:7]
	v_mov_b32_e32 v2, s10
	s_xor_b64 exec, exec, s[6:7]
	s_cbranch_execnz .LBB45_2252
.LBB45_202:
	s_or_b64 exec, exec, s[6:7]
	s_and_saveexec_b64 s[6:7], s[4:5]
	s_cbranch_execz .LBB45_204
.LBB45_203:
	v_bfe_u32 v2, v8, 8, 3
	v_ffbh_u32_e32 v7, v2
	v_min_u32_e32 v7, 32, v7
	v_lshrrev_b16_e32 v6, 3, v3
	v_subrev_u32_e32 v10, 28, v7
	v_and_b32_e32 v6, 15, v6
	v_lshlrev_b32_e32 v3, v10, v3
	v_sub_u32_e32 v7, 29, v7
	v_and_b32_e32 v3, 7, v3
	v_cmp_eq_u16_e32 vcc, 0, v6
	v_cndmask_b32_e32 v2, v2, v3, vcc
	v_cndmask_b32_e32 v3, v6, v7, vcc
	v_lshlrev_b32_e32 v6, 16, v8
	v_mov_b32_e32 v7, 0x3b800000
	v_lshlrev_b32_e32 v2, 20, v2
	v_and_b32_e32 v6, 0x80000000, v6
	v_lshl_add_u32 v3, v3, 23, v7
	v_or3_b32 v2, v6, v3, v2
.LBB45_204:
	s_or_b64 exec, exec, s[6:7]
	v_lshrrev_b32_e32 v3, 8, v4
	s_movk_i32 s4, 0x7f
	v_cmp_gt_i16_sdwa s[6:7], v3, s4 src0_sel:BYTE_0 src1_sel:DWORD
	s_mov_b64 s[4:5], 0
                                        ; implicit-def: $sgpr10
	s_and_saveexec_b64 s[8:9], s[6:7]
	s_xor_b64 s[6:7], exec, s[8:9]
	s_cbranch_execnz .LBB45_2253
; %bb.205:
	s_or_saveexec_b64 s[6:7], s[6:7]
	v_mov_b32_e32 v6, s10
	s_xor_b64 exec, exec, s[6:7]
	s_cbranch_execnz .LBB45_2256
.LBB45_206:
	s_or_b64 exec, exec, s[6:7]
	s_and_saveexec_b64 s[6:7], s[4:5]
	s_cbranch_execz .LBB45_208
.LBB45_207:
	v_bfe_u32 v6, v4, 8, 3
	v_ffbh_u32_e32 v10, v6
	v_min_u32_e32 v10, 32, v10
	v_lshrrev_b16_e32 v7, 3, v3
	v_subrev_u32_e32 v11, 28, v10
	v_and_b32_e32 v7, 15, v7
	v_lshlrev_b32_e32 v3, v11, v3
	v_sub_u32_e32 v10, 29, v10
	v_and_b32_e32 v3, 7, v3
	v_cmp_eq_u16_e32 vcc, 0, v7
	v_cndmask_b32_e32 v3, v6, v3, vcc
	v_cndmask_b32_e32 v6, v7, v10, vcc
	v_lshlrev_b32_e32 v7, 16, v4
	v_mov_b32_e32 v10, 0x3b800000
	v_lshlrev_b32_e32 v3, 20, v3
	v_and_b32_e32 v7, 0x80000000, v7
	v_lshl_add_u32 v6, v6, 23, v10
	v_or3_b32 v6, v7, v6, v3
.LBB45_208:
	s_or_b64 exec, exec, s[6:7]
	s_nop 0
	v_mfma_f32_16x16x4f32 a[0:3], v2, v6, a[0:3]
	s_movk_i32 s4, 0xff
	v_and_b32_sdwa v3, v8, s4 dst_sel:DWORD dst_unused:UNUSED_PAD src0_sel:WORD_1 src1_sel:DWORD
	s_movk_i32 s4, 0x7f
	v_cmp_lt_i16_e32 vcc, s4, v3
	s_mov_b64 s[4:5], 0
                                        ; implicit-def: $sgpr10
	s_and_saveexec_b64 s[6:7], vcc
	s_xor_b64 s[6:7], exec, s[6:7]
	s_cbranch_execnz .LBB45_2257
; %bb.209:
	s_or_saveexec_b64 s[6:7], s[6:7]
	v_mov_b32_e32 v2, s10
	s_xor_b64 exec, exec, s[6:7]
	s_cbranch_execnz .LBB45_2260
.LBB45_210:
	s_or_b64 exec, exec, s[6:7]
	s_and_saveexec_b64 s[6:7], s[4:5]
	s_cbranch_execz .LBB45_212
.LBB45_211:
	v_bfe_u32 v2, v8, 16, 3
	v_ffbh_u32_e32 v7, v2
	v_min_u32_e32 v7, 32, v7
	v_lshrrev_b32_e32 v3, 19, v8
	v_subrev_u32_e32 v10, 28, v7
	v_and_b32_e32 v3, 15, v3
	v_lshlrev_b32_sdwa v10, v10, v8 dst_sel:DWORD dst_unused:UNUSED_PAD src0_sel:DWORD src1_sel:WORD_1
	v_bfe_u32 v6, v8, 19, 4
	v_sub_u32_e32 v7, 29, v7
	v_and_b32_e32 v10, 7, v10
	v_cmp_eq_u16_e32 vcc, 0, v3
	v_cndmask_b32_e32 v2, v2, v10, vcc
	v_cndmask_b32_e32 v3, v6, v7, vcc
	v_lshlrev_b32_e32 v6, 8, v8
	v_mov_b32_e32 v7, 0x3b800000
	v_lshlrev_b32_e32 v2, 20, v2
	v_and_b32_e32 v6, 0x80000000, v6
	v_lshl_add_u32 v3, v3, 23, v7
	v_or3_b32 v2, v6, v3, v2
.LBB45_212:
	s_or_b64 exec, exec, s[6:7]
	s_movk_i32 s4, 0xff
	v_and_b32_sdwa v3, v4, s4 dst_sel:DWORD dst_unused:UNUSED_PAD src0_sel:WORD_1 src1_sel:DWORD
	s_movk_i32 s4, 0x7f
	v_cmp_lt_i16_e32 vcc, s4, v3
	s_mov_b64 s[4:5], 0
                                        ; implicit-def: $sgpr10
	s_and_saveexec_b64 s[6:7], vcc
	s_xor_b64 s[6:7], exec, s[6:7]
	s_cbranch_execnz .LBB45_2261
; %bb.213:
	s_or_saveexec_b64 s[6:7], s[6:7]
	v_mov_b32_e32 v6, s10
	s_xor_b64 exec, exec, s[6:7]
	s_cbranch_execnz .LBB45_2264
.LBB45_214:
	s_or_b64 exec, exec, s[6:7]
	s_and_saveexec_b64 s[6:7], s[4:5]
	s_cbranch_execz .LBB45_216
.LBB45_215:
	v_bfe_u32 v3, v4, 16, 3
	v_ffbh_u32_e32 v10, v3
	v_min_u32_e32 v10, 32, v10
	v_lshrrev_b32_e32 v6, 19, v4
	v_subrev_u32_e32 v11, 28, v10
	v_and_b32_e32 v6, 15, v6
	v_lshlrev_b32_sdwa v11, v11, v4 dst_sel:DWORD dst_unused:UNUSED_PAD src0_sel:DWORD src1_sel:WORD_1
	v_bfe_u32 v7, v4, 19, 4
	v_sub_u32_e32 v10, 29, v10
	v_and_b32_e32 v11, 7, v11
	v_cmp_eq_u16_e32 vcc, 0, v6
	v_cndmask_b32_e32 v3, v3, v11, vcc
	v_cndmask_b32_e32 v6, v7, v10, vcc
	v_lshlrev_b32_e32 v7, 8, v4
	v_mov_b32_e32 v10, 0x3b800000
	v_lshlrev_b32_e32 v3, 20, v3
	v_and_b32_e32 v7, 0x80000000, v7
	v_lshl_add_u32 v6, v6, 23, v10
	v_or3_b32 v6, v7, v6, v3
.LBB45_216:
	s_or_b64 exec, exec, s[6:7]
	s_nop 0
	v_mfma_f32_16x16x4f32 a[0:3], v2, v6, a[0:3]
	s_movk_i32 s4, 0x7f
	v_cmp_gt_i16_sdwa s[6:7], v8, s4 src0_sel:BYTE_3 src1_sel:DWORD
	s_mov_b64 s[4:5], 0
                                        ; implicit-def: $sgpr10
	s_and_saveexec_b64 s[8:9], s[6:7]
	s_xor_b64 s[6:7], exec, s[8:9]
	s_cbranch_execnz .LBB45_2265
; %bb.217:
	s_or_saveexec_b64 s[6:7], s[6:7]
	v_mov_b32_e32 v2, s10
	s_xor_b64 exec, exec, s[6:7]
	s_cbranch_execnz .LBB45_2268
.LBB45_218:
	s_or_b64 exec, exec, s[6:7]
	s_and_saveexec_b64 s[6:7], s[4:5]
	s_cbranch_execz .LBB45_220
.LBB45_219:
	v_bfe_u32 v2, v8, 24, 3
	v_ffbh_u32_e32 v10, v2
	v_min_u32_e32 v10, 32, v10
	v_lshrrev_b32_e32 v6, 27, v8
	v_subrev_u32_e32 v11, 28, v10
	v_and_b32_e32 v3, 0x80000000, v8
	v_and_b32_e32 v6, 15, v6
	v_bfe_u32 v7, v8, 27, 4
	v_lshlrev_b32_sdwa v8, v11, v8 dst_sel:DWORD dst_unused:UNUSED_PAD src0_sel:DWORD src1_sel:BYTE_3
	v_sub_u32_e32 v10, 29, v10
	v_and_b32_e32 v8, 7, v8
	v_cmp_eq_u16_e32 vcc, 0, v6
	v_cndmask_b32_e32 v2, v2, v8, vcc
	v_cndmask_b32_e32 v6, v7, v10, vcc
	v_mov_b32_e32 v7, 0x3b800000
	v_lshlrev_b32_e32 v2, 20, v2
	v_lshl_add_u32 v6, v6, 23, v7
	v_or3_b32 v2, v3, v6, v2
.LBB45_220:
	s_or_b64 exec, exec, s[6:7]
	s_movk_i32 s4, 0x7f
	v_cmp_gt_i16_sdwa s[6:7], v4, s4 src0_sel:BYTE_3 src1_sel:DWORD
	s_mov_b64 s[4:5], 0
                                        ; implicit-def: $sgpr10
	s_and_saveexec_b64 s[8:9], s[6:7]
	s_xor_b64 s[6:7], exec, s[8:9]
	s_cbranch_execnz .LBB45_2269
; %bb.221:
	s_or_saveexec_b64 s[6:7], s[6:7]
	v_mov_b32_e32 v3, s10
	s_xor_b64 exec, exec, s[6:7]
	s_cbranch_execnz .LBB45_2272
.LBB45_222:
	s_or_b64 exec, exec, s[6:7]
	s_and_saveexec_b64 s[6:7], s[4:5]
	s_cbranch_execz .LBB45_224
.LBB45_223:
	v_bfe_u32 v3, v4, 24, 3
	v_ffbh_u32_e32 v10, v3
	v_min_u32_e32 v10, 32, v10
	v_lshrrev_b32_e32 v7, 27, v4
	v_subrev_u32_e32 v11, 28, v10
	v_and_b32_e32 v6, 0x80000000, v4
	v_and_b32_e32 v7, 15, v7
	v_bfe_u32 v8, v4, 27, 4
	v_lshlrev_b32_sdwa v4, v11, v4 dst_sel:DWORD dst_unused:UNUSED_PAD src0_sel:DWORD src1_sel:BYTE_3
	v_sub_u32_e32 v10, 29, v10
	v_and_b32_e32 v4, 7, v4
	v_cmp_eq_u16_e32 vcc, 0, v7
	v_cndmask_b32_e32 v3, v3, v4, vcc
	v_cndmask_b32_e32 v4, v8, v10, vcc
	v_mov_b32_e32 v7, 0x3b800000
	v_lshlrev_b32_e32 v3, 20, v3
	v_lshl_add_u32 v4, v4, 23, v7
	v_or3_b32 v3, v6, v4, v3
.LBB45_224:
	s_or_b64 exec, exec, s[6:7]
	s_nop 0
	v_mfma_f32_16x16x4f32 a[0:3], v2, v3, a[0:3]
	s_movk_i32 s4, 0x7f
	v_cmp_gt_i16_sdwa s[6:7], v9, s4 src0_sel:BYTE_0 src1_sel:DWORD
	s_mov_b64 s[4:5], 0
                                        ; implicit-def: $sgpr10
	s_and_saveexec_b64 s[8:9], s[6:7]
	s_xor_b64 s[6:7], exec, s[8:9]
	s_cbranch_execnz .LBB45_2273
; %bb.225:
	s_or_saveexec_b64 s[6:7], s[6:7]
	v_mov_b32_e32 v2, s10
	s_xor_b64 exec, exec, s[6:7]
	s_cbranch_execnz .LBB45_2276
.LBB45_226:
	s_or_b64 exec, exec, s[6:7]
	s_and_saveexec_b64 s[6:7], s[4:5]
	s_cbranch_execz .LBB45_228
.LBB45_227:
	v_mov_b32_e32 v2, 8
	v_and_b32_e32 v3, 7, v9
	v_lshrrev_b32_sdwa v2, v2, v9 dst_sel:BYTE_1 dst_unused:UNUSED_PAD src0_sel:DWORD src1_sel:DWORD
	v_ffbh_u32_e32 v4, v3
	v_or_b32_sdwa v2, v9, v2 dst_sel:DWORD dst_unused:UNUSED_PAD src0_sel:BYTE_0 src1_sel:DWORD
	v_min_u32_e32 v4, 32, v4
	v_lshrrev_b16_e32 v2, 3, v2
	v_subrev_u32_e32 v6, 28, v4
	v_and_b32_e32 v2, 15, v2
	v_lshlrev_b32_e32 v6, v6, v9
	v_sub_u32_e32 v4, 29, v4
	v_and_b32_e32 v6, 7, v6
	v_cmp_eq_u16_e32 vcc, 0, v2
	v_cndmask_b32_e32 v3, v3, v6, vcc
	v_cndmask_b32_e32 v2, v2, v4, vcc
	v_lshlrev_b32_e32 v4, 24, v9
	v_mov_b32_e32 v6, 0x3b800000
	v_lshlrev_b32_e32 v3, 20, v3
	v_and_b32_e32 v4, 0x80000000, v4
	v_lshl_add_u32 v2, v2, 23, v6
	v_or3_b32 v2, v4, v2, v3
.LBB45_228:
	s_or_b64 exec, exec, s[6:7]
	s_movk_i32 s4, 0x7f
	v_cmp_gt_i16_sdwa s[6:7], v5, s4 src0_sel:BYTE_0 src1_sel:DWORD
	s_mov_b64 s[4:5], 0
                                        ; implicit-def: $sgpr10
	s_and_saveexec_b64 s[8:9], s[6:7]
	s_xor_b64 s[6:7], exec, s[8:9]
	s_cbranch_execnz .LBB45_2277
; %bb.229:
	s_or_saveexec_b64 s[6:7], s[6:7]
	v_mov_b32_e32 v3, s10
	s_xor_b64 exec, exec, s[6:7]
	s_cbranch_execnz .LBB45_2280
.LBB45_230:
	s_or_b64 exec, exec, s[6:7]
	s_and_saveexec_b64 s[6:7], s[4:5]
	s_cbranch_execz .LBB45_232
.LBB45_231:
	v_mov_b32_e32 v3, 8
	v_and_b32_e32 v4, 7, v5
	v_lshrrev_b32_sdwa v3, v3, v5 dst_sel:BYTE_1 dst_unused:UNUSED_PAD src0_sel:DWORD src1_sel:DWORD
	v_ffbh_u32_e32 v6, v4
	v_or_b32_sdwa v3, v5, v3 dst_sel:DWORD dst_unused:UNUSED_PAD src0_sel:BYTE_0 src1_sel:DWORD
	v_min_u32_e32 v6, 32, v6
	v_lshrrev_b16_e32 v3, 3, v3
	v_subrev_u32_e32 v7, 28, v6
	v_and_b32_e32 v3, 15, v3
	v_lshlrev_b32_e32 v7, v7, v5
	v_sub_u32_e32 v6, 29, v6
	v_and_b32_e32 v7, 7, v7
	v_cmp_eq_u16_e32 vcc, 0, v3
	v_cndmask_b32_e32 v4, v4, v7, vcc
	v_cndmask_b32_e32 v3, v3, v6, vcc
	v_lshlrev_b32_e32 v6, 24, v5
	v_mov_b32_e32 v7, 0x3b800000
	v_lshlrev_b32_e32 v4, 20, v4
	v_and_b32_e32 v6, 0x80000000, v6
	v_lshl_add_u32 v3, v3, 23, v7
	v_or3_b32 v3, v6, v3, v4
.LBB45_232:
	s_or_b64 exec, exec, s[6:7]
	s_nop 0
	v_mfma_f32_16x16x4f32 a[0:3], v2, v3, a[0:3]
	v_lshrrev_b32_e32 v3, 8, v9
	s_movk_i32 s4, 0x7f
	v_cmp_gt_i16_sdwa s[6:7], v3, s4 src0_sel:BYTE_0 src1_sel:DWORD
	s_mov_b64 s[4:5], 0
                                        ; implicit-def: $sgpr10
	s_and_saveexec_b64 s[8:9], s[6:7]
	s_xor_b64 s[6:7], exec, s[8:9]
	s_cbranch_execnz .LBB45_2281
; %bb.233:
	s_or_saveexec_b64 s[6:7], s[6:7]
	v_mov_b32_e32 v2, s10
	s_xor_b64 exec, exec, s[6:7]
	s_cbranch_execnz .LBB45_2284
.LBB45_234:
	s_or_b64 exec, exec, s[6:7]
	s_and_saveexec_b64 s[6:7], s[4:5]
	s_cbranch_execz .LBB45_236
.LBB45_235:
	v_bfe_u32 v2, v9, 8, 3
	v_ffbh_u32_e32 v6, v2
	v_min_u32_e32 v6, 32, v6
	v_lshrrev_b16_e32 v4, 3, v3
	v_subrev_u32_e32 v7, 28, v6
	v_and_b32_e32 v4, 15, v4
	v_lshlrev_b32_e32 v3, v7, v3
	v_sub_u32_e32 v6, 29, v6
	v_and_b32_e32 v3, 7, v3
	v_cmp_eq_u16_e32 vcc, 0, v4
	v_cndmask_b32_e32 v2, v2, v3, vcc
	v_cndmask_b32_e32 v3, v4, v6, vcc
	v_lshlrev_b32_e32 v4, 16, v9
	v_mov_b32_e32 v6, 0x3b800000
	v_lshlrev_b32_e32 v2, 20, v2
	v_and_b32_e32 v4, 0x80000000, v4
	v_lshl_add_u32 v3, v3, 23, v6
	v_or3_b32 v2, v4, v3, v2
.LBB45_236:
	s_or_b64 exec, exec, s[6:7]
	v_lshrrev_b32_e32 v3, 8, v5
	s_movk_i32 s4, 0x7f
	v_cmp_gt_i16_sdwa s[6:7], v3, s4 src0_sel:BYTE_0 src1_sel:DWORD
	s_mov_b64 s[4:5], 0
                                        ; implicit-def: $sgpr10
	s_and_saveexec_b64 s[8:9], s[6:7]
	s_xor_b64 s[6:7], exec, s[8:9]
	s_cbranch_execnz .LBB45_2285
; %bb.237:
	s_or_saveexec_b64 s[6:7], s[6:7]
	v_mov_b32_e32 v4, s10
	s_xor_b64 exec, exec, s[6:7]
	s_cbranch_execnz .LBB45_2288
.LBB45_238:
	s_or_b64 exec, exec, s[6:7]
	s_and_saveexec_b64 s[6:7], s[4:5]
	s_cbranch_execz .LBB45_240
.LBB45_239:
	v_bfe_u32 v4, v5, 8, 3
	v_ffbh_u32_e32 v7, v4
	v_min_u32_e32 v7, 32, v7
	v_lshrrev_b16_e32 v6, 3, v3
	v_subrev_u32_e32 v8, 28, v7
	v_and_b32_e32 v6, 15, v6
	v_lshlrev_b32_e32 v3, v8, v3
	v_sub_u32_e32 v7, 29, v7
	v_and_b32_e32 v3, 7, v3
	v_cmp_eq_u16_e32 vcc, 0, v6
	v_cndmask_b32_e32 v3, v4, v3, vcc
	v_cndmask_b32_e32 v4, v6, v7, vcc
	v_lshlrev_b32_e32 v6, 16, v5
	v_mov_b32_e32 v7, 0x3b800000
	v_lshlrev_b32_e32 v3, 20, v3
	v_and_b32_e32 v6, 0x80000000, v6
	v_lshl_add_u32 v4, v4, 23, v7
	v_or3_b32 v4, v6, v4, v3
.LBB45_240:
	s_or_b64 exec, exec, s[6:7]
	s_nop 0
	v_mfma_f32_16x16x4f32 a[0:3], v2, v4, a[0:3]
	s_movk_i32 s4, 0xff
	v_and_b32_sdwa v3, v9, s4 dst_sel:DWORD dst_unused:UNUSED_PAD src0_sel:WORD_1 src1_sel:DWORD
	s_movk_i32 s4, 0x7f
	v_cmp_lt_i16_e32 vcc, s4, v3
	s_mov_b64 s[4:5], 0
                                        ; implicit-def: $sgpr10
	s_and_saveexec_b64 s[6:7], vcc
	s_xor_b64 s[6:7], exec, s[6:7]
	s_cbranch_execnz .LBB45_2289
; %bb.241:
	s_or_saveexec_b64 s[6:7], s[6:7]
	v_mov_b32_e32 v2, s10
	s_xor_b64 exec, exec, s[6:7]
	s_cbranch_execnz .LBB45_2292
.LBB45_242:
	s_or_b64 exec, exec, s[6:7]
	s_and_saveexec_b64 s[6:7], s[4:5]
	s_cbranch_execz .LBB45_244
.LBB45_243:
	v_bfe_u32 v2, v9, 16, 3
	v_ffbh_u32_e32 v6, v2
	v_min_u32_e32 v6, 32, v6
	v_lshrrev_b32_e32 v3, 19, v9
	v_subrev_u32_e32 v7, 28, v6
	v_and_b32_e32 v3, 15, v3
	v_lshlrev_b32_sdwa v7, v7, v9 dst_sel:DWORD dst_unused:UNUSED_PAD src0_sel:DWORD src1_sel:WORD_1
	v_bfe_u32 v4, v9, 19, 4
	v_sub_u32_e32 v6, 29, v6
	v_and_b32_e32 v7, 7, v7
	v_cmp_eq_u16_e32 vcc, 0, v3
	v_cndmask_b32_e32 v2, v2, v7, vcc
	v_cndmask_b32_e32 v3, v4, v6, vcc
	v_lshlrev_b32_e32 v4, 8, v9
	v_mov_b32_e32 v6, 0x3b800000
	v_lshlrev_b32_e32 v2, 20, v2
	v_and_b32_e32 v4, 0x80000000, v4
	v_lshl_add_u32 v3, v3, 23, v6
	v_or3_b32 v2, v4, v3, v2
.LBB45_244:
	s_or_b64 exec, exec, s[6:7]
	s_movk_i32 s4, 0xff
	v_and_b32_sdwa v3, v5, s4 dst_sel:DWORD dst_unused:UNUSED_PAD src0_sel:WORD_1 src1_sel:DWORD
	s_movk_i32 s4, 0x7f
	v_cmp_lt_i16_e32 vcc, s4, v3
	s_mov_b64 s[4:5], 0
                                        ; implicit-def: $sgpr10
	s_and_saveexec_b64 s[6:7], vcc
	s_xor_b64 s[6:7], exec, s[6:7]
	s_cbranch_execnz .LBB45_2293
; %bb.245:
	s_or_saveexec_b64 s[6:7], s[6:7]
	v_mov_b32_e32 v4, s10
	s_xor_b64 exec, exec, s[6:7]
	s_cbranch_execnz .LBB45_2296
.LBB45_246:
	s_or_b64 exec, exec, s[6:7]
	s_and_saveexec_b64 s[6:7], s[4:5]
	s_cbranch_execz .LBB45_248
.LBB45_247:
	v_bfe_u32 v3, v5, 16, 3
	v_ffbh_u32_e32 v7, v3
	v_min_u32_e32 v7, 32, v7
	v_lshrrev_b32_e32 v4, 19, v5
	v_subrev_u32_e32 v8, 28, v7
	v_and_b32_e32 v4, 15, v4
	v_lshlrev_b32_sdwa v8, v8, v5 dst_sel:DWORD dst_unused:UNUSED_PAD src0_sel:DWORD src1_sel:WORD_1
	v_bfe_u32 v6, v5, 19, 4
	v_sub_u32_e32 v7, 29, v7
	v_and_b32_e32 v8, 7, v8
	v_cmp_eq_u16_e32 vcc, 0, v4
	v_cndmask_b32_e32 v3, v3, v8, vcc
	v_cndmask_b32_e32 v4, v6, v7, vcc
	v_lshlrev_b32_e32 v6, 8, v5
	v_mov_b32_e32 v7, 0x3b800000
	v_lshlrev_b32_e32 v3, 20, v3
	v_and_b32_e32 v6, 0x80000000, v6
	v_lshl_add_u32 v4, v4, 23, v7
	v_or3_b32 v4, v6, v4, v3
.LBB45_248:
	s_or_b64 exec, exec, s[6:7]
	s_nop 0
	v_mfma_f32_16x16x4f32 a[0:3], v2, v4, a[0:3]
	s_movk_i32 s4, 0x7f
	v_cmp_gt_i16_sdwa s[6:7], v9, s4 src0_sel:BYTE_3 src1_sel:DWORD
	s_mov_b64 s[4:5], 0
                                        ; implicit-def: $sgpr10
	s_and_saveexec_b64 s[8:9], s[6:7]
	s_xor_b64 s[6:7], exec, s[8:9]
	s_cbranch_execnz .LBB45_2297
; %bb.249:
	s_or_saveexec_b64 s[6:7], s[6:7]
	v_mov_b32_e32 v2, s10
	s_xor_b64 exec, exec, s[6:7]
	s_cbranch_execnz .LBB45_2300
.LBB45_250:
	s_or_b64 exec, exec, s[6:7]
	s_and_saveexec_b64 s[6:7], s[4:5]
	s_cbranch_execz .LBB45_252
.LBB45_251:
	v_bfe_u32 v2, v9, 24, 3
	v_ffbh_u32_e32 v7, v2
	v_min_u32_e32 v7, 32, v7
	v_lshrrev_b32_e32 v4, 27, v9
	v_subrev_u32_e32 v8, 28, v7
	v_and_b32_e32 v4, 15, v4
	v_lshlrev_b32_sdwa v8, v8, v9 dst_sel:DWORD dst_unused:UNUSED_PAD src0_sel:DWORD src1_sel:BYTE_3
	v_bfe_u32 v6, v9, 27, 4
	v_sub_u32_e32 v7, 29, v7
	v_and_b32_e32 v8, 7, v8
	v_cmp_eq_u16_e32 vcc, 0, v4
	v_cndmask_b32_e32 v2, v2, v8, vcc
	v_cndmask_b32_e32 v4, v6, v7, vcc
	v_mov_b32_e32 v6, 0x3b800000
	v_and_b32_e32 v3, 0x80000000, v9
	v_lshlrev_b32_e32 v2, 20, v2
	v_lshl_add_u32 v4, v4, 23, v6
	v_or3_b32 v2, v3, v4, v2
.LBB45_252:
	s_or_b64 exec, exec, s[6:7]
	s_movk_i32 s4, 0x7f
	v_cmp_gt_i16_sdwa s[6:7], v5, s4 src0_sel:BYTE_3 src1_sel:DWORD
	s_mov_b64 s[4:5], 0
                                        ; implicit-def: $sgpr10
	s_and_saveexec_b64 s[8:9], s[6:7]
	s_xor_b64 s[6:7], exec, s[8:9]
	s_cbranch_execnz .LBB45_2301
; %bb.253:
	s_or_saveexec_b64 s[6:7], s[6:7]
	v_mov_b32_e32 v3, s10
	s_xor_b64 exec, exec, s[6:7]
	s_cbranch_execnz .LBB45_2304
.LBB45_254:
	s_or_b64 exec, exec, s[6:7]
	s_and_saveexec_b64 s[6:7], s[4:5]
	s_cbranch_execz .LBB45_256
.LBB45_255:
	v_bfe_u32 v3, v5, 24, 3
	v_ffbh_u32_e32 v8, v3
	v_min_u32_e32 v8, 32, v8
	v_lshrrev_b32_e32 v6, 27, v5
	v_subrev_u32_e32 v9, 28, v8
	v_and_b32_e32 v4, 0x80000000, v5
	v_and_b32_e32 v6, 15, v6
	v_bfe_u32 v7, v5, 27, 4
	v_lshlrev_b32_sdwa v5, v9, v5 dst_sel:DWORD dst_unused:UNUSED_PAD src0_sel:DWORD src1_sel:BYTE_3
	v_sub_u32_e32 v8, 29, v8
	v_and_b32_e32 v5, 7, v5
	v_cmp_eq_u16_e32 vcc, 0, v6
	v_cndmask_b32_e32 v3, v3, v5, vcc
	v_cndmask_b32_e32 v5, v7, v8, vcc
	v_mov_b32_e32 v6, 0x3b800000
	v_lshlrev_b32_e32 v3, 20, v3
	v_lshl_add_u32 v5, v5, 23, v6
	v_or3_b32 v3, v4, v5, v3
.LBB45_256:
	s_or_b64 exec, exec, s[6:7]
	s_nop 0
	v_mfma_f32_16x16x4f32 a[0:3], v2, v3, a[0:3]
	s_movk_i32 s4, 0x7f
                                        ; implicit-def: $sgpr10
	s_nop 7
	s_nop 1
	flat_store_dwordx4 v[18:19], a[0:3] offset:128
	flat_load_dwordx4 v[20:23], v[0:1] offset:8
	s_nop 0
	flat_load_dwordx2 v[18:19], v[0:1] offset:24
	s_waitcnt vmcnt(0) lgkmcnt(0)
	flat_load_dwordx4 v[14:17], v[20:21] offset:32
	flat_load_dwordx4 v[10:13], v[22:23] offset:32
	;; [unrolled: 1-line block ×4, first 2 shown]
	s_waitcnt vmcnt(0) lgkmcnt(0)
	v_cmp_gt_i16_sdwa s[6:7], v14, s4 src0_sel:BYTE_0 src1_sel:DWORD
	s_mov_b64 s[4:5], 0
	s_and_saveexec_b64 s[8:9], s[6:7]
	s_xor_b64 s[6:7], exec, s[8:9]
	s_cbranch_execnz .LBB45_2305
; %bb.257:
	s_or_saveexec_b64 s[6:7], s[6:7]
	v_mov_b32_e32 v20, s10
	s_xor_b64 exec, exec, s[6:7]
	s_cbranch_execnz .LBB45_2308
.LBB45_258:
	s_or_b64 exec, exec, s[6:7]
	s_and_saveexec_b64 s[6:7], s[4:5]
	s_cbranch_execz .LBB45_260
.LBB45_259:
	v_and_b32_e32 v20, 7, v14
	v_ffbh_u32_e32 v22, v20
	v_min_u32_e32 v22, 32, v22
	v_lshrrev_b16_e32 v21, 3, v14
	v_subrev_u32_e32 v23, 28, v22
	v_and_b32_e32 v21, 15, v21
	v_lshlrev_b32_e32 v23, v23, v14
	v_sub_u32_e32 v22, 29, v22
	v_and_b32_e32 v23, 7, v23
	v_cmp_eq_u16_e32 vcc, 0, v21
	v_cndmask_b32_e32 v20, v20, v23, vcc
	v_cndmask_b32_e32 v21, v21, v22, vcc
	v_lshlrev_b32_e32 v22, 24, v14
	v_mov_b32_e32 v23, 0x3b800000
	v_lshlrev_b32_e32 v20, 20, v20
	v_and_b32_e32 v22, 0x80000000, v22
	v_lshl_add_u32 v21, v21, 23, v23
	v_or3_b32 v20, v22, v21, v20
.LBB45_260:
	s_or_b64 exec, exec, s[6:7]
	s_movk_i32 s4, 0x7f
	v_cmp_gt_i16_sdwa s[6:7], v10, s4 src0_sel:BYTE_0 src1_sel:DWORD
	s_mov_b64 s[4:5], 0
                                        ; implicit-def: $sgpr10
	s_and_saveexec_b64 s[8:9], s[6:7]
	s_xor_b64 s[6:7], exec, s[8:9]
	s_cbranch_execnz .LBB45_2309
; %bb.261:
	s_or_saveexec_b64 s[6:7], s[6:7]
	v_mov_b32_e32 v21, s10
	s_xor_b64 exec, exec, s[6:7]
	s_cbranch_execnz .LBB45_2312
.LBB45_262:
	s_or_b64 exec, exec, s[6:7]
	s_and_saveexec_b64 s[6:7], s[4:5]
	s_cbranch_execz .LBB45_264
.LBB45_263:
	v_and_b32_e32 v21, 7, v10
	v_ffbh_u32_e32 v23, v21
	v_min_u32_e32 v23, 32, v23
	v_lshrrev_b16_e32 v22, 3, v10
	v_subrev_u32_e32 v24, 28, v23
	v_and_b32_e32 v22, 15, v22
	v_lshlrev_b32_e32 v24, v24, v10
	v_sub_u32_e32 v23, 29, v23
	v_and_b32_e32 v24, 7, v24
	v_cmp_eq_u16_e32 vcc, 0, v22
	v_cndmask_b32_e32 v21, v21, v24, vcc
	v_cndmask_b32_e32 v22, v22, v23, vcc
	v_lshlrev_b32_e32 v23, 24, v10
	v_mov_b32_e32 v24, 0x3b800000
	v_lshlrev_b32_e32 v21, 20, v21
	v_and_b32_e32 v23, 0x80000000, v23
	v_lshl_add_u32 v22, v22, 23, v24
	v_or3_b32 v21, v23, v22, v21
.LBB45_264:
	s_or_b64 exec, exec, s[6:7]
	flat_load_dwordx4 a[0:3], v[18:19] offset:144
	s_movk_i32 s4, 0x7f
                                        ; implicit-def: $sgpr10
	s_waitcnt vmcnt(0) lgkmcnt(0)
	v_mfma_f32_16x16x4f32 a[0:3], v20, v21, a[0:3]
	v_lshrrev_b32_e32 v21, 8, v14
	v_cmp_gt_i16_sdwa s[6:7], v21, s4 src0_sel:BYTE_0 src1_sel:DWORD
	s_mov_b64 s[4:5], 0
	s_and_saveexec_b64 s[8:9], s[6:7]
	s_xor_b64 s[6:7], exec, s[8:9]
	s_cbranch_execnz .LBB45_2313
; %bb.265:
	s_or_saveexec_b64 s[6:7], s[6:7]
	v_mov_b32_e32 v20, s10
	s_xor_b64 exec, exec, s[6:7]
	s_cbranch_execnz .LBB45_2316
.LBB45_266:
	s_or_b64 exec, exec, s[6:7]
	s_and_saveexec_b64 s[6:7], s[4:5]
	s_cbranch_execz .LBB45_268
.LBB45_267:
	v_bfe_u32 v20, v14, 8, 3
	v_ffbh_u32_e32 v23, v20
	v_min_u32_e32 v23, 32, v23
	v_lshrrev_b16_e32 v22, 3, v21
	v_subrev_u32_e32 v24, 28, v23
	v_and_b32_e32 v22, 15, v22
	v_lshlrev_b32_e32 v21, v24, v21
	v_sub_u32_e32 v23, 29, v23
	v_and_b32_e32 v21, 7, v21
	v_cmp_eq_u16_e32 vcc, 0, v22
	v_cndmask_b32_e32 v20, v20, v21, vcc
	v_cndmask_b32_e32 v21, v22, v23, vcc
	v_lshlrev_b32_e32 v22, 16, v14
	v_mov_b32_e32 v23, 0x3b800000
	v_lshlrev_b32_e32 v20, 20, v20
	v_and_b32_e32 v22, 0x80000000, v22
	v_lshl_add_u32 v21, v21, 23, v23
	v_or3_b32 v20, v22, v21, v20
.LBB45_268:
	s_or_b64 exec, exec, s[6:7]
	v_lshrrev_b32_e32 v21, 8, v10
	s_movk_i32 s4, 0x7f
	v_cmp_gt_i16_sdwa s[6:7], v21, s4 src0_sel:BYTE_0 src1_sel:DWORD
	s_mov_b64 s[4:5], 0
                                        ; implicit-def: $sgpr10
	s_and_saveexec_b64 s[8:9], s[6:7]
	s_xor_b64 s[6:7], exec, s[8:9]
	s_cbranch_execnz .LBB45_2317
; %bb.269:
	s_or_saveexec_b64 s[6:7], s[6:7]
	v_mov_b32_e32 v22, s10
	s_xor_b64 exec, exec, s[6:7]
	s_cbranch_execnz .LBB45_2320
.LBB45_270:
	s_or_b64 exec, exec, s[6:7]
	s_and_saveexec_b64 s[6:7], s[4:5]
	s_cbranch_execz .LBB45_272
.LBB45_271:
	v_bfe_u32 v22, v10, 8, 3
	v_ffbh_u32_e32 v24, v22
	v_min_u32_e32 v24, 32, v24
	v_lshrrev_b16_e32 v23, 3, v21
	v_subrev_u32_e32 v25, 28, v24
	v_and_b32_e32 v23, 15, v23
	v_lshlrev_b32_e32 v21, v25, v21
	v_sub_u32_e32 v24, 29, v24
	v_and_b32_e32 v21, 7, v21
	v_cmp_eq_u16_e32 vcc, 0, v23
	v_cndmask_b32_e32 v21, v22, v21, vcc
	v_cndmask_b32_e32 v22, v23, v24, vcc
	v_lshlrev_b32_e32 v23, 16, v10
	v_mov_b32_e32 v24, 0x3b800000
	v_lshlrev_b32_e32 v21, 20, v21
	v_and_b32_e32 v23, 0x80000000, v23
	v_lshl_add_u32 v22, v22, 23, v24
	v_or3_b32 v22, v23, v22, v21
.LBB45_272:
	s_or_b64 exec, exec, s[6:7]
	s_nop 0
	v_mfma_f32_16x16x4f32 a[0:3], v20, v22, a[0:3]
	s_movk_i32 s4, 0xff
	v_and_b32_sdwa v21, v14, s4 dst_sel:DWORD dst_unused:UNUSED_PAD src0_sel:WORD_1 src1_sel:DWORD
	s_movk_i32 s4, 0x7f
	v_cmp_lt_i16_e32 vcc, s4, v21
	s_mov_b64 s[4:5], 0
                                        ; implicit-def: $sgpr10
	s_and_saveexec_b64 s[6:7], vcc
	s_xor_b64 s[6:7], exec, s[6:7]
	s_cbranch_execnz .LBB45_2321
; %bb.273:
	s_or_saveexec_b64 s[6:7], s[6:7]
	v_mov_b32_e32 v20, s10
	s_xor_b64 exec, exec, s[6:7]
	s_cbranch_execnz .LBB45_2324
.LBB45_274:
	s_or_b64 exec, exec, s[6:7]
	s_and_saveexec_b64 s[6:7], s[4:5]
	s_cbranch_execz .LBB45_276
.LBB45_275:
	v_bfe_u32 v20, v14, 16, 3
	v_ffbh_u32_e32 v23, v20
	v_min_u32_e32 v23, 32, v23
	v_lshrrev_b32_e32 v21, 19, v14
	v_subrev_u32_e32 v24, 28, v23
	v_and_b32_e32 v21, 15, v21
	v_lshlrev_b32_sdwa v24, v24, v14 dst_sel:DWORD dst_unused:UNUSED_PAD src0_sel:DWORD src1_sel:WORD_1
	v_bfe_u32 v22, v14, 19, 4
	v_sub_u32_e32 v23, 29, v23
	v_and_b32_e32 v24, 7, v24
	v_cmp_eq_u16_e32 vcc, 0, v21
	v_cndmask_b32_e32 v20, v20, v24, vcc
	v_cndmask_b32_e32 v21, v22, v23, vcc
	v_lshlrev_b32_e32 v22, 8, v14
	v_mov_b32_e32 v23, 0x3b800000
	v_lshlrev_b32_e32 v20, 20, v20
	v_and_b32_e32 v22, 0x80000000, v22
	v_lshl_add_u32 v21, v21, 23, v23
	v_or3_b32 v20, v22, v21, v20
.LBB45_276:
	s_or_b64 exec, exec, s[6:7]
	s_movk_i32 s4, 0xff
	v_and_b32_sdwa v21, v10, s4 dst_sel:DWORD dst_unused:UNUSED_PAD src0_sel:WORD_1 src1_sel:DWORD
	s_movk_i32 s4, 0x7f
	v_cmp_lt_i16_e32 vcc, s4, v21
	s_mov_b64 s[4:5], 0
                                        ; implicit-def: $sgpr10
	s_and_saveexec_b64 s[6:7], vcc
	s_xor_b64 s[6:7], exec, s[6:7]
	s_cbranch_execnz .LBB45_2325
; %bb.277:
	s_or_saveexec_b64 s[6:7], s[6:7]
	v_mov_b32_e32 v22, s10
	s_xor_b64 exec, exec, s[6:7]
	s_cbranch_execnz .LBB45_2328
.LBB45_278:
	s_or_b64 exec, exec, s[6:7]
	s_and_saveexec_b64 s[6:7], s[4:5]
	s_cbranch_execz .LBB45_280
.LBB45_279:
	v_bfe_u32 v21, v10, 16, 3
	v_ffbh_u32_e32 v24, v21
	v_min_u32_e32 v24, 32, v24
	v_lshrrev_b32_e32 v22, 19, v10
	v_subrev_u32_e32 v25, 28, v24
	v_and_b32_e32 v22, 15, v22
	v_lshlrev_b32_sdwa v25, v25, v10 dst_sel:DWORD dst_unused:UNUSED_PAD src0_sel:DWORD src1_sel:WORD_1
	v_bfe_u32 v23, v10, 19, 4
	v_sub_u32_e32 v24, 29, v24
	v_and_b32_e32 v25, 7, v25
	v_cmp_eq_u16_e32 vcc, 0, v22
	v_cndmask_b32_e32 v21, v21, v25, vcc
	v_cndmask_b32_e32 v22, v23, v24, vcc
	v_lshlrev_b32_e32 v23, 8, v10
	v_mov_b32_e32 v24, 0x3b800000
	v_lshlrev_b32_e32 v21, 20, v21
	v_and_b32_e32 v23, 0x80000000, v23
	v_lshl_add_u32 v22, v22, 23, v24
	v_or3_b32 v22, v23, v22, v21
.LBB45_280:
	s_or_b64 exec, exec, s[6:7]
	s_nop 0
	v_mfma_f32_16x16x4f32 a[0:3], v20, v22, a[0:3]
	s_movk_i32 s4, 0x7f
	v_cmp_gt_i16_sdwa s[6:7], v14, s4 src0_sel:BYTE_3 src1_sel:DWORD
	s_mov_b64 s[4:5], 0
                                        ; implicit-def: $sgpr10
	s_and_saveexec_b64 s[8:9], s[6:7]
	s_xor_b64 s[6:7], exec, s[8:9]
	s_cbranch_execnz .LBB45_2329
; %bb.281:
	s_or_saveexec_b64 s[6:7], s[6:7]
	v_mov_b32_e32 v20, s10
	s_xor_b64 exec, exec, s[6:7]
	s_cbranch_execnz .LBB45_2332
.LBB45_282:
	s_or_b64 exec, exec, s[6:7]
	s_and_saveexec_b64 s[6:7], s[4:5]
	s_cbranch_execz .LBB45_284
.LBB45_283:
	v_bfe_u32 v20, v14, 24, 3
	v_ffbh_u32_e32 v24, v20
	v_min_u32_e32 v24, 32, v24
	v_lshrrev_b32_e32 v22, 27, v14
	v_subrev_u32_e32 v25, 28, v24
	v_and_b32_e32 v21, 0x80000000, v14
	v_and_b32_e32 v22, 15, v22
	v_bfe_u32 v23, v14, 27, 4
	v_lshlrev_b32_sdwa v14, v25, v14 dst_sel:DWORD dst_unused:UNUSED_PAD src0_sel:DWORD src1_sel:BYTE_3
	v_sub_u32_e32 v24, 29, v24
	v_and_b32_e32 v14, 7, v14
	v_cmp_eq_u16_e32 vcc, 0, v22
	v_cndmask_b32_e32 v14, v20, v14, vcc
	v_cndmask_b32_e32 v20, v23, v24, vcc
	v_mov_b32_e32 v22, 0x3b800000
	v_lshlrev_b32_e32 v14, 20, v14
	v_lshl_add_u32 v20, v20, 23, v22
	v_or3_b32 v20, v21, v20, v14
.LBB45_284:
	s_or_b64 exec, exec, s[6:7]
	s_movk_i32 s4, 0x7f
	v_cmp_gt_i16_sdwa s[6:7], v10, s4 src0_sel:BYTE_3 src1_sel:DWORD
	s_mov_b64 s[4:5], 0
                                        ; implicit-def: $sgpr10
	s_and_saveexec_b64 s[8:9], s[6:7]
	s_xor_b64 s[6:7], exec, s[8:9]
	s_cbranch_execnz .LBB45_2333
; %bb.285:
	s_or_saveexec_b64 s[6:7], s[6:7]
	v_mov_b32_e32 v14, s10
	s_xor_b64 exec, exec, s[6:7]
	s_cbranch_execnz .LBB45_2336
.LBB45_286:
	s_or_b64 exec, exec, s[6:7]
	s_and_saveexec_b64 s[6:7], s[4:5]
	s_cbranch_execz .LBB45_288
.LBB45_287:
	v_bfe_u32 v14, v10, 24, 3
	v_ffbh_u32_e32 v24, v14
	v_min_u32_e32 v24, 32, v24
	v_lshrrev_b32_e32 v22, 27, v10
	v_subrev_u32_e32 v25, 28, v24
	v_and_b32_e32 v21, 0x80000000, v10
	v_and_b32_e32 v22, 15, v22
	v_bfe_u32 v23, v10, 27, 4
	v_lshlrev_b32_sdwa v10, v25, v10 dst_sel:DWORD dst_unused:UNUSED_PAD src0_sel:DWORD src1_sel:BYTE_3
	v_sub_u32_e32 v24, 29, v24
	v_and_b32_e32 v10, 7, v10
	v_cmp_eq_u16_e32 vcc, 0, v22
	v_cndmask_b32_e32 v10, v14, v10, vcc
	v_cndmask_b32_e32 v14, v23, v24, vcc
	v_mov_b32_e32 v22, 0x3b800000
	v_lshlrev_b32_e32 v10, 20, v10
	v_lshl_add_u32 v14, v14, 23, v22
	v_or3_b32 v14, v21, v14, v10
.LBB45_288:
	s_or_b64 exec, exec, s[6:7]
	s_nop 0
	v_mfma_f32_16x16x4f32 a[0:3], v20, v14, a[0:3]
	s_movk_i32 s4, 0x7f
	v_cmp_gt_i16_sdwa s[6:7], v15, s4 src0_sel:BYTE_0 src1_sel:DWORD
	s_mov_b64 s[4:5], 0
                                        ; implicit-def: $sgpr10
	s_and_saveexec_b64 s[8:9], s[6:7]
	s_xor_b64 s[6:7], exec, s[8:9]
	s_cbranch_execnz .LBB45_2337
; %bb.289:
	s_or_saveexec_b64 s[6:7], s[6:7]
	v_mov_b32_e32 v10, s10
	s_xor_b64 exec, exec, s[6:7]
	s_cbranch_execnz .LBB45_2340
.LBB45_290:
	s_or_b64 exec, exec, s[6:7]
	s_and_saveexec_b64 s[6:7], s[4:5]
	s_cbranch_execz .LBB45_292
.LBB45_291:
	v_and_b32_e32 v10, 7, v15
	v_ffbh_u32_e32 v20, v10
	v_min_u32_e32 v20, 32, v20
	v_lshrrev_b16_e32 v14, 3, v15
	v_subrev_u32_e32 v21, 28, v20
	v_and_b32_e32 v14, 15, v14
	v_lshlrev_b32_e32 v21, v21, v15
	v_sub_u32_e32 v20, 29, v20
	v_and_b32_e32 v21, 7, v21
	v_cmp_eq_u16_e32 vcc, 0, v14
	v_cndmask_b32_e32 v10, v10, v21, vcc
	v_cndmask_b32_e32 v14, v14, v20, vcc
	v_lshlrev_b32_e32 v20, 24, v15
	v_mov_b32_e32 v21, 0x3b800000
	v_lshlrev_b32_e32 v10, 20, v10
	v_and_b32_e32 v20, 0x80000000, v20
	v_lshl_add_u32 v14, v14, 23, v21
	v_or3_b32 v10, v20, v14, v10
.LBB45_292:
	s_or_b64 exec, exec, s[6:7]
	s_movk_i32 s4, 0x7f
	v_cmp_gt_i16_sdwa s[6:7], v11, s4 src0_sel:BYTE_0 src1_sel:DWORD
	s_mov_b64 s[4:5], 0
                                        ; implicit-def: $sgpr10
	s_and_saveexec_b64 s[8:9], s[6:7]
	s_xor_b64 s[6:7], exec, s[8:9]
	s_cbranch_execnz .LBB45_2341
; %bb.293:
	s_or_saveexec_b64 s[6:7], s[6:7]
	v_mov_b32_e32 v14, s10
	s_xor_b64 exec, exec, s[6:7]
	s_cbranch_execnz .LBB45_2344
.LBB45_294:
	s_or_b64 exec, exec, s[6:7]
	s_and_saveexec_b64 s[6:7], s[4:5]
	s_cbranch_execz .LBB45_296
.LBB45_295:
	v_and_b32_e32 v14, 7, v11
	v_ffbh_u32_e32 v21, v14
	v_min_u32_e32 v21, 32, v21
	v_lshrrev_b16_e32 v20, 3, v11
	v_subrev_u32_e32 v22, 28, v21
	v_and_b32_e32 v20, 15, v20
	v_lshlrev_b32_e32 v22, v22, v11
	v_sub_u32_e32 v21, 29, v21
	v_and_b32_e32 v22, 7, v22
	v_cmp_eq_u16_e32 vcc, 0, v20
	v_cndmask_b32_e32 v14, v14, v22, vcc
	v_cndmask_b32_e32 v20, v20, v21, vcc
	v_lshlrev_b32_e32 v21, 24, v11
	v_mov_b32_e32 v22, 0x3b800000
	v_lshlrev_b32_e32 v14, 20, v14
	v_and_b32_e32 v21, 0x80000000, v21
	v_lshl_add_u32 v20, v20, 23, v22
	v_or3_b32 v14, v21, v20, v14
.LBB45_296:
	s_or_b64 exec, exec, s[6:7]
	s_nop 0
	v_mfma_f32_16x16x4f32 a[0:3], v10, v14, a[0:3]
	v_lshrrev_b32_e32 v14, 8, v15
	s_movk_i32 s4, 0x7f
	v_cmp_gt_i16_sdwa s[6:7], v14, s4 src0_sel:BYTE_0 src1_sel:DWORD
	s_mov_b64 s[4:5], 0
                                        ; implicit-def: $sgpr10
	s_and_saveexec_b64 s[8:9], s[6:7]
	s_xor_b64 s[6:7], exec, s[8:9]
	s_cbranch_execnz .LBB45_2345
; %bb.297:
	s_or_saveexec_b64 s[6:7], s[6:7]
	v_mov_b32_e32 v10, s10
	s_xor_b64 exec, exec, s[6:7]
	s_cbranch_execnz .LBB45_2348
.LBB45_298:
	s_or_b64 exec, exec, s[6:7]
	s_and_saveexec_b64 s[6:7], s[4:5]
	s_cbranch_execz .LBB45_300
.LBB45_299:
	v_bfe_u32 v10, v15, 8, 3
	v_ffbh_u32_e32 v21, v10
	v_min_u32_e32 v21, 32, v21
	v_lshrrev_b16_e32 v20, 3, v14
	v_subrev_u32_e32 v22, 28, v21
	v_and_b32_e32 v20, 15, v20
	v_lshlrev_b32_e32 v14, v22, v14
	v_sub_u32_e32 v21, 29, v21
	v_and_b32_e32 v14, 7, v14
	v_cmp_eq_u16_e32 vcc, 0, v20
	v_cndmask_b32_e32 v10, v10, v14, vcc
	v_cndmask_b32_e32 v14, v20, v21, vcc
	v_lshlrev_b32_e32 v20, 16, v15
	v_mov_b32_e32 v21, 0x3b800000
	v_lshlrev_b32_e32 v10, 20, v10
	v_and_b32_e32 v20, 0x80000000, v20
	v_lshl_add_u32 v14, v14, 23, v21
	v_or3_b32 v10, v20, v14, v10
.LBB45_300:
	s_or_b64 exec, exec, s[6:7]
	v_lshrrev_b32_e32 v14, 8, v11
	s_movk_i32 s4, 0x7f
	v_cmp_gt_i16_sdwa s[6:7], v14, s4 src0_sel:BYTE_0 src1_sel:DWORD
	s_mov_b64 s[4:5], 0
                                        ; implicit-def: $sgpr10
	s_and_saveexec_b64 s[8:9], s[6:7]
	s_xor_b64 s[6:7], exec, s[8:9]
	s_cbranch_execnz .LBB45_2349
; %bb.301:
	s_or_saveexec_b64 s[6:7], s[6:7]
	v_mov_b32_e32 v20, s10
	s_xor_b64 exec, exec, s[6:7]
	s_cbranch_execnz .LBB45_2352
.LBB45_302:
	s_or_b64 exec, exec, s[6:7]
	s_and_saveexec_b64 s[6:7], s[4:5]
	s_cbranch_execz .LBB45_304
.LBB45_303:
	v_bfe_u32 v20, v11, 8, 3
	v_ffbh_u32_e32 v22, v20
	v_min_u32_e32 v22, 32, v22
	v_lshrrev_b16_e32 v21, 3, v14
	v_subrev_u32_e32 v23, 28, v22
	v_and_b32_e32 v21, 15, v21
	v_lshlrev_b32_e32 v14, v23, v14
	v_sub_u32_e32 v22, 29, v22
	v_and_b32_e32 v14, 7, v14
	v_cmp_eq_u16_e32 vcc, 0, v21
	v_cndmask_b32_e32 v14, v20, v14, vcc
	v_cndmask_b32_e32 v20, v21, v22, vcc
	v_lshlrev_b32_e32 v21, 16, v11
	v_mov_b32_e32 v22, 0x3b800000
	v_lshlrev_b32_e32 v14, 20, v14
	v_and_b32_e32 v21, 0x80000000, v21
	v_lshl_add_u32 v20, v20, 23, v22
	v_or3_b32 v20, v21, v20, v14
.LBB45_304:
	s_or_b64 exec, exec, s[6:7]
	s_nop 0
	v_mfma_f32_16x16x4f32 a[0:3], v10, v20, a[0:3]
	s_movk_i32 s4, 0xff
	v_and_b32_sdwa v14, v15, s4 dst_sel:DWORD dst_unused:UNUSED_PAD src0_sel:WORD_1 src1_sel:DWORD
	s_movk_i32 s4, 0x7f
	v_cmp_lt_i16_e32 vcc, s4, v14
	s_mov_b64 s[4:5], 0
                                        ; implicit-def: $sgpr10
	s_and_saveexec_b64 s[6:7], vcc
	s_xor_b64 s[6:7], exec, s[6:7]
	s_cbranch_execnz .LBB45_2353
; %bb.305:
	s_or_saveexec_b64 s[6:7], s[6:7]
	v_mov_b32_e32 v10, s10
	s_xor_b64 exec, exec, s[6:7]
	s_cbranch_execnz .LBB45_2356
.LBB45_306:
	s_or_b64 exec, exec, s[6:7]
	s_and_saveexec_b64 s[6:7], s[4:5]
	s_cbranch_execz .LBB45_308
.LBB45_307:
	v_bfe_u32 v10, v15, 16, 3
	v_ffbh_u32_e32 v21, v10
	v_min_u32_e32 v21, 32, v21
	v_lshrrev_b32_e32 v14, 19, v15
	v_subrev_u32_e32 v22, 28, v21
	v_and_b32_e32 v14, 15, v14
	v_lshlrev_b32_sdwa v22, v22, v15 dst_sel:DWORD dst_unused:UNUSED_PAD src0_sel:DWORD src1_sel:WORD_1
	v_bfe_u32 v20, v15, 19, 4
	v_sub_u32_e32 v21, 29, v21
	v_and_b32_e32 v22, 7, v22
	v_cmp_eq_u16_e32 vcc, 0, v14
	v_cndmask_b32_e32 v10, v10, v22, vcc
	v_cndmask_b32_e32 v14, v20, v21, vcc
	v_lshlrev_b32_e32 v20, 8, v15
	v_mov_b32_e32 v21, 0x3b800000
	v_lshlrev_b32_e32 v10, 20, v10
	v_and_b32_e32 v20, 0x80000000, v20
	v_lshl_add_u32 v14, v14, 23, v21
	v_or3_b32 v10, v20, v14, v10
.LBB45_308:
	s_or_b64 exec, exec, s[6:7]
	s_movk_i32 s4, 0xff
	v_and_b32_sdwa v14, v11, s4 dst_sel:DWORD dst_unused:UNUSED_PAD src0_sel:WORD_1 src1_sel:DWORD
	s_movk_i32 s4, 0x7f
	v_cmp_lt_i16_e32 vcc, s4, v14
	s_mov_b64 s[4:5], 0
                                        ; implicit-def: $sgpr10
	s_and_saveexec_b64 s[6:7], vcc
	s_xor_b64 s[6:7], exec, s[6:7]
	s_cbranch_execnz .LBB45_2357
; %bb.309:
	s_or_saveexec_b64 s[6:7], s[6:7]
	v_mov_b32_e32 v20, s10
	s_xor_b64 exec, exec, s[6:7]
	s_cbranch_execnz .LBB45_2360
.LBB45_310:
	s_or_b64 exec, exec, s[6:7]
	s_and_saveexec_b64 s[6:7], s[4:5]
	s_cbranch_execz .LBB45_312
.LBB45_311:
	v_bfe_u32 v14, v11, 16, 3
	v_ffbh_u32_e32 v22, v14
	v_min_u32_e32 v22, 32, v22
	v_lshrrev_b32_e32 v20, 19, v11
	v_subrev_u32_e32 v23, 28, v22
	v_and_b32_e32 v20, 15, v20
	v_lshlrev_b32_sdwa v23, v23, v11 dst_sel:DWORD dst_unused:UNUSED_PAD src0_sel:DWORD src1_sel:WORD_1
	v_bfe_u32 v21, v11, 19, 4
	v_sub_u32_e32 v22, 29, v22
	v_and_b32_e32 v23, 7, v23
	v_cmp_eq_u16_e32 vcc, 0, v20
	v_cndmask_b32_e32 v14, v14, v23, vcc
	v_cndmask_b32_e32 v20, v21, v22, vcc
	v_lshlrev_b32_e32 v21, 8, v11
	v_mov_b32_e32 v22, 0x3b800000
	v_lshlrev_b32_e32 v14, 20, v14
	v_and_b32_e32 v21, 0x80000000, v21
	v_lshl_add_u32 v20, v20, 23, v22
	v_or3_b32 v20, v21, v20, v14
.LBB45_312:
	s_or_b64 exec, exec, s[6:7]
	s_nop 0
	v_mfma_f32_16x16x4f32 a[0:3], v10, v20, a[0:3]
	s_movk_i32 s4, 0x7f
	v_cmp_gt_i16_sdwa s[6:7], v15, s4 src0_sel:BYTE_3 src1_sel:DWORD
	s_mov_b64 s[4:5], 0
                                        ; implicit-def: $sgpr10
	s_and_saveexec_b64 s[8:9], s[6:7]
	s_xor_b64 s[6:7], exec, s[8:9]
	s_cbranch_execnz .LBB45_2361
; %bb.313:
	s_or_saveexec_b64 s[6:7], s[6:7]
	v_mov_b32_e32 v10, s10
	s_xor_b64 exec, exec, s[6:7]
	s_cbranch_execnz .LBB45_2364
.LBB45_314:
	s_or_b64 exec, exec, s[6:7]
	s_and_saveexec_b64 s[6:7], s[4:5]
	s_cbranch_execz .LBB45_316
.LBB45_315:
	v_bfe_u32 v10, v15, 24, 3
	v_ffbh_u32_e32 v22, v10
	v_min_u32_e32 v22, 32, v22
	v_lshrrev_b32_e32 v20, 27, v15
	v_subrev_u32_e32 v23, 28, v22
	v_and_b32_e32 v14, 0x80000000, v15
	v_and_b32_e32 v20, 15, v20
	v_bfe_u32 v21, v15, 27, 4
	v_lshlrev_b32_sdwa v15, v23, v15 dst_sel:DWORD dst_unused:UNUSED_PAD src0_sel:DWORD src1_sel:BYTE_3
	v_sub_u32_e32 v22, 29, v22
	v_and_b32_e32 v15, 7, v15
	v_cmp_eq_u16_e32 vcc, 0, v20
	v_cndmask_b32_e32 v10, v10, v15, vcc
	v_cndmask_b32_e32 v15, v21, v22, vcc
	v_mov_b32_e32 v20, 0x3b800000
	v_lshlrev_b32_e32 v10, 20, v10
	v_lshl_add_u32 v15, v15, 23, v20
	v_or3_b32 v10, v14, v15, v10
.LBB45_316:
	s_or_b64 exec, exec, s[6:7]
	s_movk_i32 s4, 0x7f
	v_cmp_gt_i16_sdwa s[6:7], v11, s4 src0_sel:BYTE_3 src1_sel:DWORD
	s_mov_b64 s[4:5], 0
                                        ; implicit-def: $sgpr10
	s_and_saveexec_b64 s[8:9], s[6:7]
	s_xor_b64 s[6:7], exec, s[8:9]
	s_cbranch_execnz .LBB45_2365
; %bb.317:
	s_or_saveexec_b64 s[6:7], s[6:7]
	v_mov_b32_e32 v14, s10
	s_xor_b64 exec, exec, s[6:7]
	s_cbranch_execnz .LBB45_2368
.LBB45_318:
	s_or_b64 exec, exec, s[6:7]
	s_and_saveexec_b64 s[6:7], s[4:5]
	s_cbranch_execz .LBB45_320
.LBB45_319:
	v_bfe_u32 v14, v11, 24, 3
	v_ffbh_u32_e32 v22, v14
	v_min_u32_e32 v22, 32, v22
	v_lshrrev_b32_e32 v20, 27, v11
	v_subrev_u32_e32 v23, 28, v22
	v_and_b32_e32 v15, 0x80000000, v11
	v_and_b32_e32 v20, 15, v20
	v_bfe_u32 v21, v11, 27, 4
	v_lshlrev_b32_sdwa v11, v23, v11 dst_sel:DWORD dst_unused:UNUSED_PAD src0_sel:DWORD src1_sel:BYTE_3
	v_sub_u32_e32 v22, 29, v22
	v_and_b32_e32 v11, 7, v11
	v_cmp_eq_u16_e32 vcc, 0, v20
	v_cndmask_b32_e32 v11, v14, v11, vcc
	v_cndmask_b32_e32 v14, v21, v22, vcc
	v_mov_b32_e32 v20, 0x3b800000
	v_lshlrev_b32_e32 v11, 20, v11
	v_lshl_add_u32 v14, v14, 23, v20
	v_or3_b32 v14, v15, v14, v11
.LBB45_320:
	s_or_b64 exec, exec, s[6:7]
	s_nop 0
	v_mfma_f32_16x16x4f32 a[0:3], v10, v14, a[0:3]
	s_movk_i32 s4, 0x7f
	v_cmp_gt_i16_sdwa s[6:7], v16, s4 src0_sel:BYTE_0 src1_sel:DWORD
	s_mov_b64 s[4:5], 0
                                        ; implicit-def: $sgpr10
	s_and_saveexec_b64 s[8:9], s[6:7]
	s_xor_b64 s[6:7], exec, s[8:9]
	s_cbranch_execnz .LBB45_2369
; %bb.321:
	s_or_saveexec_b64 s[6:7], s[6:7]
	v_mov_b32_e32 v10, s10
	s_xor_b64 exec, exec, s[6:7]
	s_cbranch_execnz .LBB45_2372
.LBB45_322:
	s_or_b64 exec, exec, s[6:7]
	s_and_saveexec_b64 s[6:7], s[4:5]
	s_cbranch_execz .LBB45_324
.LBB45_323:
	v_and_b32_e32 v10, 7, v16
	v_ffbh_u32_e32 v14, v10
	v_min_u32_e32 v14, 32, v14
	v_lshrrev_b16_e32 v11, 3, v16
	v_subrev_u32_e32 v15, 28, v14
	v_and_b32_e32 v11, 15, v11
	v_lshlrev_b32_e32 v15, v15, v16
	v_sub_u32_e32 v14, 29, v14
	v_and_b32_e32 v15, 7, v15
	v_cmp_eq_u16_e32 vcc, 0, v11
	v_cndmask_b32_e32 v10, v10, v15, vcc
	v_cndmask_b32_e32 v11, v11, v14, vcc
	v_lshlrev_b32_e32 v14, 24, v16
	v_mov_b32_e32 v15, 0x3b800000
	v_lshlrev_b32_e32 v10, 20, v10
	v_and_b32_e32 v14, 0x80000000, v14
	v_lshl_add_u32 v11, v11, 23, v15
	v_or3_b32 v10, v14, v11, v10
.LBB45_324:
	s_or_b64 exec, exec, s[6:7]
	s_movk_i32 s4, 0x7f
	v_cmp_gt_i16_sdwa s[6:7], v12, s4 src0_sel:BYTE_0 src1_sel:DWORD
	s_mov_b64 s[4:5], 0
                                        ; implicit-def: $sgpr10
	s_and_saveexec_b64 s[8:9], s[6:7]
	s_xor_b64 s[6:7], exec, s[8:9]
	s_cbranch_execnz .LBB45_2373
; %bb.325:
	s_or_saveexec_b64 s[6:7], s[6:7]
	v_mov_b32_e32 v11, s10
	s_xor_b64 exec, exec, s[6:7]
	s_cbranch_execnz .LBB45_2376
.LBB45_326:
	s_or_b64 exec, exec, s[6:7]
	s_and_saveexec_b64 s[6:7], s[4:5]
	s_cbranch_execz .LBB45_328
.LBB45_327:
	v_and_b32_e32 v11, 7, v12
	v_ffbh_u32_e32 v15, v11
	v_min_u32_e32 v15, 32, v15
	v_lshrrev_b16_e32 v14, 3, v12
	v_subrev_u32_e32 v20, 28, v15
	v_and_b32_e32 v14, 15, v14
	v_lshlrev_b32_e32 v20, v20, v12
	v_sub_u32_e32 v15, 29, v15
	v_and_b32_e32 v20, 7, v20
	v_cmp_eq_u16_e32 vcc, 0, v14
	v_cndmask_b32_e32 v11, v11, v20, vcc
	v_cndmask_b32_e32 v14, v14, v15, vcc
	v_lshlrev_b32_e32 v15, 24, v12
	v_mov_b32_e32 v20, 0x3b800000
	v_lshlrev_b32_e32 v11, 20, v11
	v_and_b32_e32 v15, 0x80000000, v15
	v_lshl_add_u32 v14, v14, 23, v20
	v_or3_b32 v11, v15, v14, v11
.LBB45_328:
	s_or_b64 exec, exec, s[6:7]
	s_nop 0
	v_mfma_f32_16x16x4f32 a[0:3], v10, v11, a[0:3]
	v_lshrrev_b32_e32 v11, 8, v16
	s_movk_i32 s4, 0x7f
	v_cmp_gt_i16_sdwa s[6:7], v11, s4 src0_sel:BYTE_0 src1_sel:DWORD
	s_mov_b64 s[4:5], 0
                                        ; implicit-def: $sgpr10
	s_and_saveexec_b64 s[8:9], s[6:7]
	s_xor_b64 s[6:7], exec, s[8:9]
	s_cbranch_execnz .LBB45_2377
; %bb.329:
	s_or_saveexec_b64 s[6:7], s[6:7]
	v_mov_b32_e32 v10, s10
	s_xor_b64 exec, exec, s[6:7]
	s_cbranch_execnz .LBB45_2380
.LBB45_330:
	s_or_b64 exec, exec, s[6:7]
	s_and_saveexec_b64 s[6:7], s[4:5]
	s_cbranch_execz .LBB45_332
.LBB45_331:
	v_bfe_u32 v10, v16, 8, 3
	v_ffbh_u32_e32 v15, v10
	v_min_u32_e32 v15, 32, v15
	v_lshrrev_b16_e32 v14, 3, v11
	v_subrev_u32_e32 v20, 28, v15
	v_and_b32_e32 v14, 15, v14
	v_lshlrev_b32_e32 v11, v20, v11
	v_sub_u32_e32 v15, 29, v15
	v_and_b32_e32 v11, 7, v11
	v_cmp_eq_u16_e32 vcc, 0, v14
	v_cndmask_b32_e32 v10, v10, v11, vcc
	v_cndmask_b32_e32 v11, v14, v15, vcc
	v_lshlrev_b32_e32 v14, 16, v16
	v_mov_b32_e32 v15, 0x3b800000
	v_lshlrev_b32_e32 v10, 20, v10
	v_and_b32_e32 v14, 0x80000000, v14
	v_lshl_add_u32 v11, v11, 23, v15
	v_or3_b32 v10, v14, v11, v10
.LBB45_332:
	s_or_b64 exec, exec, s[6:7]
	v_lshrrev_b32_e32 v11, 8, v12
	s_movk_i32 s4, 0x7f
	v_cmp_gt_i16_sdwa s[6:7], v11, s4 src0_sel:BYTE_0 src1_sel:DWORD
	s_mov_b64 s[4:5], 0
                                        ; implicit-def: $sgpr10
	s_and_saveexec_b64 s[8:9], s[6:7]
	s_xor_b64 s[6:7], exec, s[8:9]
	s_cbranch_execnz .LBB45_2381
; %bb.333:
	s_or_saveexec_b64 s[6:7], s[6:7]
	v_mov_b32_e32 v14, s10
	s_xor_b64 exec, exec, s[6:7]
	s_cbranch_execnz .LBB45_2384
.LBB45_334:
	s_or_b64 exec, exec, s[6:7]
	s_and_saveexec_b64 s[6:7], s[4:5]
	s_cbranch_execz .LBB45_336
.LBB45_335:
	v_bfe_u32 v14, v12, 8, 3
	v_ffbh_u32_e32 v20, v14
	v_min_u32_e32 v20, 32, v20
	v_lshrrev_b16_e32 v15, 3, v11
	v_subrev_u32_e32 v21, 28, v20
	v_and_b32_e32 v15, 15, v15
	v_lshlrev_b32_e32 v11, v21, v11
	v_sub_u32_e32 v20, 29, v20
	v_and_b32_e32 v11, 7, v11
	v_cmp_eq_u16_e32 vcc, 0, v15
	v_cndmask_b32_e32 v11, v14, v11, vcc
	v_cndmask_b32_e32 v14, v15, v20, vcc
	v_lshlrev_b32_e32 v15, 16, v12
	v_mov_b32_e32 v20, 0x3b800000
	v_lshlrev_b32_e32 v11, 20, v11
	v_and_b32_e32 v15, 0x80000000, v15
	v_lshl_add_u32 v14, v14, 23, v20
	v_or3_b32 v14, v15, v14, v11
.LBB45_336:
	s_or_b64 exec, exec, s[6:7]
	s_nop 0
	v_mfma_f32_16x16x4f32 a[0:3], v10, v14, a[0:3]
	s_movk_i32 s4, 0xff
	v_and_b32_sdwa v11, v16, s4 dst_sel:DWORD dst_unused:UNUSED_PAD src0_sel:WORD_1 src1_sel:DWORD
	s_movk_i32 s4, 0x7f
	v_cmp_lt_i16_e32 vcc, s4, v11
	s_mov_b64 s[4:5], 0
                                        ; implicit-def: $sgpr10
	s_and_saveexec_b64 s[6:7], vcc
	s_xor_b64 s[6:7], exec, s[6:7]
	s_cbranch_execnz .LBB45_2385
; %bb.337:
	s_or_saveexec_b64 s[6:7], s[6:7]
	v_mov_b32_e32 v10, s10
	s_xor_b64 exec, exec, s[6:7]
	s_cbranch_execnz .LBB45_2388
.LBB45_338:
	s_or_b64 exec, exec, s[6:7]
	s_and_saveexec_b64 s[6:7], s[4:5]
	s_cbranch_execz .LBB45_340
.LBB45_339:
	v_bfe_u32 v10, v16, 16, 3
	v_ffbh_u32_e32 v15, v10
	v_min_u32_e32 v15, 32, v15
	v_lshrrev_b32_e32 v11, 19, v16
	v_subrev_u32_e32 v20, 28, v15
	v_and_b32_e32 v11, 15, v11
	v_lshlrev_b32_sdwa v20, v20, v16 dst_sel:DWORD dst_unused:UNUSED_PAD src0_sel:DWORD src1_sel:WORD_1
	v_bfe_u32 v14, v16, 19, 4
	v_sub_u32_e32 v15, 29, v15
	v_and_b32_e32 v20, 7, v20
	v_cmp_eq_u16_e32 vcc, 0, v11
	v_cndmask_b32_e32 v10, v10, v20, vcc
	v_cndmask_b32_e32 v11, v14, v15, vcc
	v_lshlrev_b32_e32 v14, 8, v16
	v_mov_b32_e32 v15, 0x3b800000
	v_lshlrev_b32_e32 v10, 20, v10
	v_and_b32_e32 v14, 0x80000000, v14
	v_lshl_add_u32 v11, v11, 23, v15
	v_or3_b32 v10, v14, v11, v10
.LBB45_340:
	s_or_b64 exec, exec, s[6:7]
	s_movk_i32 s4, 0xff
	v_and_b32_sdwa v11, v12, s4 dst_sel:DWORD dst_unused:UNUSED_PAD src0_sel:WORD_1 src1_sel:DWORD
	s_movk_i32 s4, 0x7f
	v_cmp_lt_i16_e32 vcc, s4, v11
	s_mov_b64 s[4:5], 0
                                        ; implicit-def: $sgpr10
	s_and_saveexec_b64 s[6:7], vcc
	s_xor_b64 s[6:7], exec, s[6:7]
	s_cbranch_execnz .LBB45_2389
; %bb.341:
	s_or_saveexec_b64 s[6:7], s[6:7]
	v_mov_b32_e32 v14, s10
	s_xor_b64 exec, exec, s[6:7]
	s_cbranch_execnz .LBB45_2392
.LBB45_342:
	s_or_b64 exec, exec, s[6:7]
	s_and_saveexec_b64 s[6:7], s[4:5]
	s_cbranch_execz .LBB45_344
.LBB45_343:
	v_bfe_u32 v11, v12, 16, 3
	v_ffbh_u32_e32 v20, v11
	v_min_u32_e32 v20, 32, v20
	v_lshrrev_b32_e32 v14, 19, v12
	v_subrev_u32_e32 v21, 28, v20
	v_and_b32_e32 v14, 15, v14
	v_lshlrev_b32_sdwa v21, v21, v12 dst_sel:DWORD dst_unused:UNUSED_PAD src0_sel:DWORD src1_sel:WORD_1
	v_bfe_u32 v15, v12, 19, 4
	v_sub_u32_e32 v20, 29, v20
	v_and_b32_e32 v21, 7, v21
	v_cmp_eq_u16_e32 vcc, 0, v14
	v_cndmask_b32_e32 v11, v11, v21, vcc
	v_cndmask_b32_e32 v14, v15, v20, vcc
	v_lshlrev_b32_e32 v15, 8, v12
	v_mov_b32_e32 v20, 0x3b800000
	v_lshlrev_b32_e32 v11, 20, v11
	v_and_b32_e32 v15, 0x80000000, v15
	v_lshl_add_u32 v14, v14, 23, v20
	v_or3_b32 v14, v15, v14, v11
.LBB45_344:
	s_or_b64 exec, exec, s[6:7]
	s_nop 0
	v_mfma_f32_16x16x4f32 a[0:3], v10, v14, a[0:3]
	s_movk_i32 s4, 0x7f
	v_cmp_gt_i16_sdwa s[6:7], v16, s4 src0_sel:BYTE_3 src1_sel:DWORD
	s_mov_b64 s[4:5], 0
                                        ; implicit-def: $sgpr10
	s_and_saveexec_b64 s[8:9], s[6:7]
	s_xor_b64 s[6:7], exec, s[8:9]
	s_cbranch_execnz .LBB45_2393
; %bb.345:
	s_or_saveexec_b64 s[6:7], s[6:7]
	v_mov_b32_e32 v10, s10
	s_xor_b64 exec, exec, s[6:7]
	s_cbranch_execnz .LBB45_2396
.LBB45_346:
	s_or_b64 exec, exec, s[6:7]
	s_and_saveexec_b64 s[6:7], s[4:5]
	s_cbranch_execz .LBB45_348
.LBB45_347:
	v_bfe_u32 v10, v16, 24, 3
	v_ffbh_u32_e32 v20, v10
	v_min_u32_e32 v20, 32, v20
	v_lshrrev_b32_e32 v14, 27, v16
	v_subrev_u32_e32 v21, 28, v20
	v_and_b32_e32 v11, 0x80000000, v16
	v_and_b32_e32 v14, 15, v14
	v_bfe_u32 v15, v16, 27, 4
	v_lshlrev_b32_sdwa v16, v21, v16 dst_sel:DWORD dst_unused:UNUSED_PAD src0_sel:DWORD src1_sel:BYTE_3
	v_sub_u32_e32 v20, 29, v20
	v_and_b32_e32 v16, 7, v16
	v_cmp_eq_u16_e32 vcc, 0, v14
	v_cndmask_b32_e32 v10, v10, v16, vcc
	v_cndmask_b32_e32 v14, v15, v20, vcc
	v_mov_b32_e32 v15, 0x3b800000
	v_lshlrev_b32_e32 v10, 20, v10
	v_lshl_add_u32 v14, v14, 23, v15
	v_or3_b32 v10, v11, v14, v10
.LBB45_348:
	s_or_b64 exec, exec, s[6:7]
	s_movk_i32 s4, 0x7f
	v_cmp_gt_i16_sdwa s[6:7], v12, s4 src0_sel:BYTE_3 src1_sel:DWORD
	s_mov_b64 s[4:5], 0
                                        ; implicit-def: $sgpr10
	s_and_saveexec_b64 s[8:9], s[6:7]
	s_xor_b64 s[6:7], exec, s[8:9]
	s_cbranch_execnz .LBB45_2397
; %bb.349:
	s_or_saveexec_b64 s[6:7], s[6:7]
	v_mov_b32_e32 v11, s10
	s_xor_b64 exec, exec, s[6:7]
	s_cbranch_execnz .LBB45_2400
.LBB45_350:
	s_or_b64 exec, exec, s[6:7]
	s_and_saveexec_b64 s[6:7], s[4:5]
	s_cbranch_execz .LBB45_352
.LBB45_351:
	v_bfe_u32 v11, v12, 24, 3
	v_ffbh_u32_e32 v20, v11
	v_min_u32_e32 v20, 32, v20
	v_lshrrev_b32_e32 v15, 27, v12
	v_subrev_u32_e32 v21, 28, v20
	v_and_b32_e32 v14, 0x80000000, v12
	v_and_b32_e32 v15, 15, v15
	v_bfe_u32 v16, v12, 27, 4
	v_lshlrev_b32_sdwa v12, v21, v12 dst_sel:DWORD dst_unused:UNUSED_PAD src0_sel:DWORD src1_sel:BYTE_3
	v_sub_u32_e32 v20, 29, v20
	v_and_b32_e32 v12, 7, v12
	v_cmp_eq_u16_e32 vcc, 0, v15
	v_cndmask_b32_e32 v11, v11, v12, vcc
	v_cndmask_b32_e32 v12, v16, v20, vcc
	v_mov_b32_e32 v15, 0x3b800000
	v_lshlrev_b32_e32 v11, 20, v11
	v_lshl_add_u32 v12, v12, 23, v15
	v_or3_b32 v11, v14, v12, v11
.LBB45_352:
	s_or_b64 exec, exec, s[6:7]
	s_nop 0
	v_mfma_f32_16x16x4f32 a[0:3], v10, v11, a[0:3]
	s_movk_i32 s4, 0x7f
	v_cmp_gt_i16_sdwa s[6:7], v17, s4 src0_sel:BYTE_0 src1_sel:DWORD
	s_mov_b64 s[4:5], 0
                                        ; implicit-def: $sgpr10
	s_and_saveexec_b64 s[8:9], s[6:7]
	s_xor_b64 s[6:7], exec, s[8:9]
	s_cbranch_execnz .LBB45_2401
; %bb.353:
	s_or_saveexec_b64 s[6:7], s[6:7]
	v_mov_b32_e32 v10, s10
	s_xor_b64 exec, exec, s[6:7]
	s_cbranch_execnz .LBB45_2404
.LBB45_354:
	s_or_b64 exec, exec, s[6:7]
	s_and_saveexec_b64 s[6:7], s[4:5]
	s_cbranch_execz .LBB45_356
.LBB45_355:
	v_and_b32_e32 v10, 7, v17
	v_ffbh_u32_e32 v12, v10
	v_min_u32_e32 v12, 32, v12
	v_lshrrev_b16_e32 v11, 3, v17
	v_subrev_u32_e32 v14, 28, v12
	v_and_b32_e32 v11, 15, v11
	v_lshlrev_b32_e32 v14, v14, v17
	v_sub_u32_e32 v12, 29, v12
	v_and_b32_e32 v14, 7, v14
	v_cmp_eq_u16_e32 vcc, 0, v11
	v_cndmask_b32_e32 v10, v10, v14, vcc
	v_cndmask_b32_e32 v11, v11, v12, vcc
	v_lshlrev_b32_e32 v12, 24, v17
	v_mov_b32_e32 v14, 0x3b800000
	v_lshlrev_b32_e32 v10, 20, v10
	v_and_b32_e32 v12, 0x80000000, v12
	v_lshl_add_u32 v11, v11, 23, v14
	v_or3_b32 v10, v12, v11, v10
.LBB45_356:
	s_or_b64 exec, exec, s[6:7]
	s_movk_i32 s4, 0x7f
	v_cmp_gt_i16_sdwa s[6:7], v13, s4 src0_sel:BYTE_0 src1_sel:DWORD
	s_mov_b64 s[4:5], 0
                                        ; implicit-def: $sgpr10
	s_and_saveexec_b64 s[8:9], s[6:7]
	s_xor_b64 s[6:7], exec, s[8:9]
	s_cbranch_execnz .LBB45_2405
; %bb.357:
	s_or_saveexec_b64 s[6:7], s[6:7]
	v_mov_b32_e32 v11, s10
	s_xor_b64 exec, exec, s[6:7]
	s_cbranch_execnz .LBB45_2408
.LBB45_358:
	s_or_b64 exec, exec, s[6:7]
	s_and_saveexec_b64 s[6:7], s[4:5]
	s_cbranch_execz .LBB45_360
.LBB45_359:
	v_and_b32_e32 v11, 7, v13
	v_ffbh_u32_e32 v14, v11
	v_min_u32_e32 v14, 32, v14
	v_lshrrev_b16_e32 v12, 3, v13
	v_subrev_u32_e32 v15, 28, v14
	v_and_b32_e32 v12, 15, v12
	v_lshlrev_b32_e32 v15, v15, v13
	v_sub_u32_e32 v14, 29, v14
	v_and_b32_e32 v15, 7, v15
	v_cmp_eq_u16_e32 vcc, 0, v12
	v_cndmask_b32_e32 v11, v11, v15, vcc
	v_cndmask_b32_e32 v12, v12, v14, vcc
	v_lshlrev_b32_e32 v14, 24, v13
	v_mov_b32_e32 v15, 0x3b800000
	v_lshlrev_b32_e32 v11, 20, v11
	v_and_b32_e32 v14, 0x80000000, v14
	v_lshl_add_u32 v12, v12, 23, v15
	v_or3_b32 v11, v14, v12, v11
.LBB45_360:
	s_or_b64 exec, exec, s[6:7]
	s_nop 0
	v_mfma_f32_16x16x4f32 a[0:3], v10, v11, a[0:3]
	v_lshrrev_b32_e32 v11, 8, v17
	s_movk_i32 s4, 0x7f
	v_cmp_gt_i16_sdwa s[6:7], v11, s4 src0_sel:BYTE_0 src1_sel:DWORD
	s_mov_b64 s[4:5], 0
                                        ; implicit-def: $sgpr10
	s_and_saveexec_b64 s[8:9], s[6:7]
	s_xor_b64 s[6:7], exec, s[8:9]
	s_cbranch_execnz .LBB45_2409
; %bb.361:
	s_or_saveexec_b64 s[6:7], s[6:7]
	v_mov_b32_e32 v10, s10
	s_xor_b64 exec, exec, s[6:7]
	s_cbranch_execnz .LBB45_2412
.LBB45_362:
	s_or_b64 exec, exec, s[6:7]
	s_and_saveexec_b64 s[6:7], s[4:5]
	s_cbranch_execz .LBB45_364
.LBB45_363:
	v_bfe_u32 v10, v17, 8, 3
	v_ffbh_u32_e32 v14, v10
	v_min_u32_e32 v14, 32, v14
	v_lshrrev_b16_e32 v12, 3, v11
	v_subrev_u32_e32 v15, 28, v14
	v_and_b32_e32 v12, 15, v12
	v_lshlrev_b32_e32 v11, v15, v11
	v_sub_u32_e32 v14, 29, v14
	v_and_b32_e32 v11, 7, v11
	v_cmp_eq_u16_e32 vcc, 0, v12
	v_cndmask_b32_e32 v10, v10, v11, vcc
	v_cndmask_b32_e32 v11, v12, v14, vcc
	v_lshlrev_b32_e32 v12, 16, v17
	v_mov_b32_e32 v14, 0x3b800000
	v_lshlrev_b32_e32 v10, 20, v10
	v_and_b32_e32 v12, 0x80000000, v12
	v_lshl_add_u32 v11, v11, 23, v14
	v_or3_b32 v10, v12, v11, v10
.LBB45_364:
	s_or_b64 exec, exec, s[6:7]
	v_lshrrev_b32_e32 v11, 8, v13
	s_movk_i32 s4, 0x7f
	v_cmp_gt_i16_sdwa s[6:7], v11, s4 src0_sel:BYTE_0 src1_sel:DWORD
	s_mov_b64 s[4:5], 0
                                        ; implicit-def: $sgpr10
	s_and_saveexec_b64 s[8:9], s[6:7]
	s_xor_b64 s[6:7], exec, s[8:9]
	s_cbranch_execnz .LBB45_2413
; %bb.365:
	s_or_saveexec_b64 s[6:7], s[6:7]
	v_mov_b32_e32 v12, s10
	s_xor_b64 exec, exec, s[6:7]
	s_cbranch_execnz .LBB45_2416
.LBB45_366:
	s_or_b64 exec, exec, s[6:7]
	s_and_saveexec_b64 s[6:7], s[4:5]
	s_cbranch_execz .LBB45_368
.LBB45_367:
	v_bfe_u32 v12, v13, 8, 3
	v_ffbh_u32_e32 v15, v12
	v_min_u32_e32 v15, 32, v15
	v_lshrrev_b16_e32 v14, 3, v11
	v_subrev_u32_e32 v16, 28, v15
	v_and_b32_e32 v14, 15, v14
	v_lshlrev_b32_e32 v11, v16, v11
	v_sub_u32_e32 v15, 29, v15
	v_and_b32_e32 v11, 7, v11
	v_cmp_eq_u16_e32 vcc, 0, v14
	v_cndmask_b32_e32 v11, v12, v11, vcc
	v_cndmask_b32_e32 v12, v14, v15, vcc
	v_lshlrev_b32_e32 v14, 16, v13
	v_mov_b32_e32 v15, 0x3b800000
	v_lshlrev_b32_e32 v11, 20, v11
	v_and_b32_e32 v14, 0x80000000, v14
	v_lshl_add_u32 v12, v12, 23, v15
	v_or3_b32 v12, v14, v12, v11
.LBB45_368:
	s_or_b64 exec, exec, s[6:7]
	s_nop 0
	v_mfma_f32_16x16x4f32 a[0:3], v10, v12, a[0:3]
	s_movk_i32 s4, 0xff
	v_and_b32_sdwa v11, v17, s4 dst_sel:DWORD dst_unused:UNUSED_PAD src0_sel:WORD_1 src1_sel:DWORD
	s_movk_i32 s4, 0x7f
	v_cmp_lt_i16_e32 vcc, s4, v11
	s_mov_b64 s[4:5], 0
                                        ; implicit-def: $sgpr10
	s_and_saveexec_b64 s[6:7], vcc
	s_xor_b64 s[6:7], exec, s[6:7]
	s_cbranch_execnz .LBB45_2417
; %bb.369:
	s_or_saveexec_b64 s[6:7], s[6:7]
	v_mov_b32_e32 v10, s10
	s_xor_b64 exec, exec, s[6:7]
	s_cbranch_execnz .LBB45_2420
.LBB45_370:
	s_or_b64 exec, exec, s[6:7]
	s_and_saveexec_b64 s[6:7], s[4:5]
	s_cbranch_execz .LBB45_372
.LBB45_371:
	v_bfe_u32 v10, v17, 16, 3
	v_ffbh_u32_e32 v14, v10
	v_min_u32_e32 v14, 32, v14
	v_lshrrev_b32_e32 v11, 19, v17
	v_subrev_u32_e32 v15, 28, v14
	v_and_b32_e32 v11, 15, v11
	v_lshlrev_b32_sdwa v15, v15, v17 dst_sel:DWORD dst_unused:UNUSED_PAD src0_sel:DWORD src1_sel:WORD_1
	v_bfe_u32 v12, v17, 19, 4
	v_sub_u32_e32 v14, 29, v14
	v_and_b32_e32 v15, 7, v15
	v_cmp_eq_u16_e32 vcc, 0, v11
	v_cndmask_b32_e32 v10, v10, v15, vcc
	v_cndmask_b32_e32 v11, v12, v14, vcc
	v_lshlrev_b32_e32 v12, 8, v17
	v_mov_b32_e32 v14, 0x3b800000
	v_lshlrev_b32_e32 v10, 20, v10
	v_and_b32_e32 v12, 0x80000000, v12
	v_lshl_add_u32 v11, v11, 23, v14
	v_or3_b32 v10, v12, v11, v10
.LBB45_372:
	s_or_b64 exec, exec, s[6:7]
	s_movk_i32 s4, 0xff
	v_and_b32_sdwa v11, v13, s4 dst_sel:DWORD dst_unused:UNUSED_PAD src0_sel:WORD_1 src1_sel:DWORD
	s_movk_i32 s4, 0x7f
	v_cmp_lt_i16_e32 vcc, s4, v11
	s_mov_b64 s[4:5], 0
                                        ; implicit-def: $sgpr10
	s_and_saveexec_b64 s[6:7], vcc
	s_xor_b64 s[6:7], exec, s[6:7]
	s_cbranch_execnz .LBB45_2421
; %bb.373:
	s_or_saveexec_b64 s[6:7], s[6:7]
	v_mov_b32_e32 v12, s10
	s_xor_b64 exec, exec, s[6:7]
	s_cbranch_execnz .LBB45_2424
.LBB45_374:
	s_or_b64 exec, exec, s[6:7]
	s_and_saveexec_b64 s[6:7], s[4:5]
	s_cbranch_execz .LBB45_376
.LBB45_375:
	v_bfe_u32 v11, v13, 16, 3
	v_ffbh_u32_e32 v15, v11
	v_min_u32_e32 v15, 32, v15
	v_lshrrev_b32_e32 v12, 19, v13
	v_subrev_u32_e32 v16, 28, v15
	v_and_b32_e32 v12, 15, v12
	v_lshlrev_b32_sdwa v16, v16, v13 dst_sel:DWORD dst_unused:UNUSED_PAD src0_sel:DWORD src1_sel:WORD_1
	v_bfe_u32 v14, v13, 19, 4
	v_sub_u32_e32 v15, 29, v15
	v_and_b32_e32 v16, 7, v16
	v_cmp_eq_u16_e32 vcc, 0, v12
	v_cndmask_b32_e32 v11, v11, v16, vcc
	v_cndmask_b32_e32 v12, v14, v15, vcc
	v_lshlrev_b32_e32 v14, 8, v13
	v_mov_b32_e32 v15, 0x3b800000
	v_lshlrev_b32_e32 v11, 20, v11
	v_and_b32_e32 v14, 0x80000000, v14
	v_lshl_add_u32 v12, v12, 23, v15
	v_or3_b32 v12, v14, v12, v11
.LBB45_376:
	s_or_b64 exec, exec, s[6:7]
	s_nop 0
	v_mfma_f32_16x16x4f32 a[0:3], v10, v12, a[0:3]
	s_movk_i32 s4, 0x7f
	v_cmp_gt_i16_sdwa s[6:7], v17, s4 src0_sel:BYTE_3 src1_sel:DWORD
	s_mov_b64 s[4:5], 0
                                        ; implicit-def: $sgpr10
	s_and_saveexec_b64 s[8:9], s[6:7]
	s_xor_b64 s[6:7], exec, s[8:9]
	s_cbranch_execnz .LBB45_2425
; %bb.377:
	s_or_saveexec_b64 s[6:7], s[6:7]
	v_mov_b32_e32 v10, s10
	s_xor_b64 exec, exec, s[6:7]
	s_cbranch_execnz .LBB45_2428
.LBB45_378:
	s_or_b64 exec, exec, s[6:7]
	s_and_saveexec_b64 s[6:7], s[4:5]
	s_cbranch_execz .LBB45_380
.LBB45_379:
	v_bfe_u32 v10, v17, 24, 3
	v_ffbh_u32_e32 v15, v10
	v_min_u32_e32 v15, 32, v15
	v_lshrrev_b32_e32 v12, 27, v17
	v_subrev_u32_e32 v16, 28, v15
	v_and_b32_e32 v12, 15, v12
	v_lshlrev_b32_sdwa v16, v16, v17 dst_sel:DWORD dst_unused:UNUSED_PAD src0_sel:DWORD src1_sel:BYTE_3
	v_bfe_u32 v14, v17, 27, 4
	v_sub_u32_e32 v15, 29, v15
	v_and_b32_e32 v16, 7, v16
	v_cmp_eq_u16_e32 vcc, 0, v12
	v_cndmask_b32_e32 v10, v10, v16, vcc
	v_cndmask_b32_e32 v12, v14, v15, vcc
	v_mov_b32_e32 v14, 0x3b800000
	v_and_b32_e32 v11, 0x80000000, v17
	v_lshlrev_b32_e32 v10, 20, v10
	v_lshl_add_u32 v12, v12, 23, v14
	v_or3_b32 v10, v11, v12, v10
.LBB45_380:
	s_or_b64 exec, exec, s[6:7]
	s_movk_i32 s4, 0x7f
	v_cmp_gt_i16_sdwa s[6:7], v13, s4 src0_sel:BYTE_3 src1_sel:DWORD
	s_mov_b64 s[4:5], 0
                                        ; implicit-def: $sgpr10
	s_and_saveexec_b64 s[8:9], s[6:7]
	s_xor_b64 s[6:7], exec, s[8:9]
	s_cbranch_execnz .LBB45_2429
; %bb.381:
	s_or_saveexec_b64 s[6:7], s[6:7]
	v_mov_b32_e32 v11, s10
	s_xor_b64 exec, exec, s[6:7]
	s_cbranch_execnz .LBB45_2432
.LBB45_382:
	s_or_b64 exec, exec, s[6:7]
	s_and_saveexec_b64 s[6:7], s[4:5]
	s_cbranch_execz .LBB45_384
.LBB45_383:
	v_bfe_u32 v11, v13, 24, 3
	v_ffbh_u32_e32 v16, v11
	v_min_u32_e32 v16, 32, v16
	v_lshrrev_b32_e32 v14, 27, v13
	v_subrev_u32_e32 v17, 28, v16
	v_and_b32_e32 v12, 0x80000000, v13
	v_and_b32_e32 v14, 15, v14
	v_bfe_u32 v15, v13, 27, 4
	v_lshlrev_b32_sdwa v13, v17, v13 dst_sel:DWORD dst_unused:UNUSED_PAD src0_sel:DWORD src1_sel:BYTE_3
	v_sub_u32_e32 v16, 29, v16
	v_and_b32_e32 v13, 7, v13
	v_cmp_eq_u16_e32 vcc, 0, v14
	v_cndmask_b32_e32 v11, v11, v13, vcc
	v_cndmask_b32_e32 v13, v15, v16, vcc
	v_mov_b32_e32 v14, 0x3b800000
	v_lshlrev_b32_e32 v11, 20, v11
	v_lshl_add_u32 v13, v13, 23, v14
	v_or3_b32 v11, v12, v13, v11
.LBB45_384:
	s_or_b64 exec, exec, s[6:7]
	s_nop 0
	v_mfma_f32_16x16x4f32 a[0:3], v10, v11, a[0:3]
	s_movk_i32 s4, 0x7f
	v_cmp_gt_i16_sdwa s[6:7], v6, s4 src0_sel:BYTE_0 src1_sel:DWORD
	s_mov_b64 s[4:5], 0
                                        ; implicit-def: $sgpr10
	s_and_saveexec_b64 s[8:9], s[6:7]
	s_xor_b64 s[6:7], exec, s[8:9]
	s_cbranch_execnz .LBB45_2433
; %bb.385:
	s_or_saveexec_b64 s[6:7], s[6:7]
	v_mov_b32_e32 v10, s10
	s_xor_b64 exec, exec, s[6:7]
	s_cbranch_execnz .LBB45_2436
.LBB45_386:
	s_or_b64 exec, exec, s[6:7]
	s_and_saveexec_b64 s[6:7], s[4:5]
	s_cbranch_execz .LBB45_388
.LBB45_387:
	v_and_b32_e32 v10, 7, v6
	v_ffbh_u32_e32 v12, v10
	v_min_u32_e32 v12, 32, v12
	v_lshrrev_b16_e32 v11, 3, v6
	v_subrev_u32_e32 v13, 28, v12
	v_and_b32_e32 v11, 15, v11
	v_lshlrev_b32_e32 v13, v13, v6
	v_sub_u32_e32 v12, 29, v12
	v_and_b32_e32 v13, 7, v13
	v_cmp_eq_u16_e32 vcc, 0, v11
	v_cndmask_b32_e32 v10, v10, v13, vcc
	v_cndmask_b32_e32 v11, v11, v12, vcc
	v_lshlrev_b32_e32 v12, 24, v6
	v_mov_b32_e32 v13, 0x3b800000
	v_lshlrev_b32_e32 v10, 20, v10
	v_and_b32_e32 v12, 0x80000000, v12
	v_lshl_add_u32 v11, v11, 23, v13
	v_or3_b32 v10, v12, v11, v10
.LBB45_388:
	s_or_b64 exec, exec, s[6:7]
	s_movk_i32 s4, 0x7f
	v_cmp_gt_i16_sdwa s[6:7], v2, s4 src0_sel:BYTE_0 src1_sel:DWORD
	s_mov_b64 s[4:5], 0
                                        ; implicit-def: $sgpr10
	s_and_saveexec_b64 s[8:9], s[6:7]
	s_xor_b64 s[6:7], exec, s[8:9]
	s_cbranch_execnz .LBB45_2437
; %bb.389:
	s_or_saveexec_b64 s[6:7], s[6:7]
	v_mov_b32_e32 v11, s10
	s_xor_b64 exec, exec, s[6:7]
	s_cbranch_execnz .LBB45_2440
.LBB45_390:
	s_or_b64 exec, exec, s[6:7]
	s_and_saveexec_b64 s[6:7], s[4:5]
	s_cbranch_execz .LBB45_392
.LBB45_391:
	v_and_b32_e32 v11, 7, v2
	v_ffbh_u32_e32 v13, v11
	v_min_u32_e32 v13, 32, v13
	v_lshrrev_b16_e32 v12, 3, v2
	v_subrev_u32_e32 v14, 28, v13
	v_and_b32_e32 v12, 15, v12
	v_lshlrev_b32_e32 v14, v14, v2
	v_sub_u32_e32 v13, 29, v13
	v_and_b32_e32 v14, 7, v14
	v_cmp_eq_u16_e32 vcc, 0, v12
	v_cndmask_b32_e32 v11, v11, v14, vcc
	v_cndmask_b32_e32 v12, v12, v13, vcc
	v_lshlrev_b32_e32 v13, 24, v2
	v_mov_b32_e32 v14, 0x3b800000
	v_lshlrev_b32_e32 v11, 20, v11
	v_and_b32_e32 v13, 0x80000000, v13
	v_lshl_add_u32 v12, v12, 23, v14
	v_or3_b32 v11, v13, v12, v11
.LBB45_392:
	s_or_b64 exec, exec, s[6:7]
	s_nop 0
	v_mfma_f32_16x16x4f32 a[0:3], v10, v11, a[0:3]
	v_lshrrev_b32_e32 v11, 8, v6
	s_movk_i32 s4, 0x7f
	v_cmp_gt_i16_sdwa s[6:7], v11, s4 src0_sel:BYTE_0 src1_sel:DWORD
	s_mov_b64 s[4:5], 0
                                        ; implicit-def: $sgpr10
	s_and_saveexec_b64 s[8:9], s[6:7]
	s_xor_b64 s[6:7], exec, s[8:9]
	s_cbranch_execnz .LBB45_2441
; %bb.393:
	s_or_saveexec_b64 s[6:7], s[6:7]
	v_mov_b32_e32 v10, s10
	s_xor_b64 exec, exec, s[6:7]
	s_cbranch_execnz .LBB45_2444
.LBB45_394:
	s_or_b64 exec, exec, s[6:7]
	s_and_saveexec_b64 s[6:7], s[4:5]
	s_cbranch_execz .LBB45_396
.LBB45_395:
	v_bfe_u32 v10, v6, 8, 3
	v_ffbh_u32_e32 v13, v10
	v_min_u32_e32 v13, 32, v13
	v_lshrrev_b16_e32 v12, 3, v11
	v_subrev_u32_e32 v14, 28, v13
	v_and_b32_e32 v12, 15, v12
	v_lshlrev_b32_e32 v11, v14, v11
	v_sub_u32_e32 v13, 29, v13
	v_and_b32_e32 v11, 7, v11
	v_cmp_eq_u16_e32 vcc, 0, v12
	v_cndmask_b32_e32 v10, v10, v11, vcc
	v_cndmask_b32_e32 v11, v12, v13, vcc
	v_lshlrev_b32_e32 v12, 16, v6
	v_mov_b32_e32 v13, 0x3b800000
	v_lshlrev_b32_e32 v10, 20, v10
	v_and_b32_e32 v12, 0x80000000, v12
	v_lshl_add_u32 v11, v11, 23, v13
	v_or3_b32 v10, v12, v11, v10
.LBB45_396:
	s_or_b64 exec, exec, s[6:7]
	v_lshrrev_b32_e32 v11, 8, v2
	s_movk_i32 s4, 0x7f
	v_cmp_gt_i16_sdwa s[6:7], v11, s4 src0_sel:BYTE_0 src1_sel:DWORD
	s_mov_b64 s[4:5], 0
                                        ; implicit-def: $sgpr10
	s_and_saveexec_b64 s[8:9], s[6:7]
	s_xor_b64 s[6:7], exec, s[8:9]
	s_cbranch_execnz .LBB45_2445
; %bb.397:
	s_or_saveexec_b64 s[6:7], s[6:7]
	v_mov_b32_e32 v12, s10
	s_xor_b64 exec, exec, s[6:7]
	s_cbranch_execnz .LBB45_2448
.LBB45_398:
	s_or_b64 exec, exec, s[6:7]
	s_and_saveexec_b64 s[6:7], s[4:5]
	s_cbranch_execz .LBB45_400
.LBB45_399:
	v_bfe_u32 v12, v2, 8, 3
	v_ffbh_u32_e32 v14, v12
	v_min_u32_e32 v14, 32, v14
	v_lshrrev_b16_e32 v13, 3, v11
	v_subrev_u32_e32 v15, 28, v14
	v_and_b32_e32 v13, 15, v13
	v_lshlrev_b32_e32 v11, v15, v11
	v_sub_u32_e32 v14, 29, v14
	v_and_b32_e32 v11, 7, v11
	v_cmp_eq_u16_e32 vcc, 0, v13
	v_cndmask_b32_e32 v11, v12, v11, vcc
	v_cndmask_b32_e32 v12, v13, v14, vcc
	v_lshlrev_b32_e32 v13, 16, v2
	v_mov_b32_e32 v14, 0x3b800000
	v_lshlrev_b32_e32 v11, 20, v11
	v_and_b32_e32 v13, 0x80000000, v13
	v_lshl_add_u32 v12, v12, 23, v14
	v_or3_b32 v12, v13, v12, v11
.LBB45_400:
	s_or_b64 exec, exec, s[6:7]
	s_nop 0
	v_mfma_f32_16x16x4f32 a[0:3], v10, v12, a[0:3]
	s_movk_i32 s4, 0xff
	v_and_b32_sdwa v11, v6, s4 dst_sel:DWORD dst_unused:UNUSED_PAD src0_sel:WORD_1 src1_sel:DWORD
	s_movk_i32 s4, 0x7f
	v_cmp_lt_i16_e32 vcc, s4, v11
	s_mov_b64 s[4:5], 0
                                        ; implicit-def: $sgpr10
	s_and_saveexec_b64 s[6:7], vcc
	s_xor_b64 s[6:7], exec, s[6:7]
	s_cbranch_execnz .LBB45_2449
; %bb.401:
	s_or_saveexec_b64 s[6:7], s[6:7]
	v_mov_b32_e32 v10, s10
	s_xor_b64 exec, exec, s[6:7]
	s_cbranch_execnz .LBB45_2452
.LBB45_402:
	s_or_b64 exec, exec, s[6:7]
	s_and_saveexec_b64 s[6:7], s[4:5]
	s_cbranch_execz .LBB45_404
.LBB45_403:
	v_bfe_u32 v10, v6, 16, 3
	v_ffbh_u32_e32 v13, v10
	v_min_u32_e32 v13, 32, v13
	v_lshrrev_b32_e32 v11, 19, v6
	v_subrev_u32_e32 v14, 28, v13
	v_and_b32_e32 v11, 15, v11
	v_lshlrev_b32_sdwa v14, v14, v6 dst_sel:DWORD dst_unused:UNUSED_PAD src0_sel:DWORD src1_sel:WORD_1
	v_bfe_u32 v12, v6, 19, 4
	v_sub_u32_e32 v13, 29, v13
	v_and_b32_e32 v14, 7, v14
	v_cmp_eq_u16_e32 vcc, 0, v11
	v_cndmask_b32_e32 v10, v10, v14, vcc
	v_cndmask_b32_e32 v11, v12, v13, vcc
	v_lshlrev_b32_e32 v12, 8, v6
	v_mov_b32_e32 v13, 0x3b800000
	v_lshlrev_b32_e32 v10, 20, v10
	v_and_b32_e32 v12, 0x80000000, v12
	v_lshl_add_u32 v11, v11, 23, v13
	v_or3_b32 v10, v12, v11, v10
.LBB45_404:
	s_or_b64 exec, exec, s[6:7]
	s_movk_i32 s4, 0xff
	v_and_b32_sdwa v11, v2, s4 dst_sel:DWORD dst_unused:UNUSED_PAD src0_sel:WORD_1 src1_sel:DWORD
	s_movk_i32 s4, 0x7f
	v_cmp_lt_i16_e32 vcc, s4, v11
	s_mov_b64 s[4:5], 0
                                        ; implicit-def: $sgpr10
	s_and_saveexec_b64 s[6:7], vcc
	s_xor_b64 s[6:7], exec, s[6:7]
	s_cbranch_execnz .LBB45_2453
; %bb.405:
	s_or_saveexec_b64 s[6:7], s[6:7]
	v_mov_b32_e32 v12, s10
	s_xor_b64 exec, exec, s[6:7]
	s_cbranch_execnz .LBB45_2456
.LBB45_406:
	s_or_b64 exec, exec, s[6:7]
	s_and_saveexec_b64 s[6:7], s[4:5]
	s_cbranch_execz .LBB45_408
.LBB45_407:
	v_bfe_u32 v11, v2, 16, 3
	v_ffbh_u32_e32 v14, v11
	v_min_u32_e32 v14, 32, v14
	v_lshrrev_b32_e32 v12, 19, v2
	v_subrev_u32_e32 v15, 28, v14
	v_and_b32_e32 v12, 15, v12
	v_lshlrev_b32_sdwa v15, v15, v2 dst_sel:DWORD dst_unused:UNUSED_PAD src0_sel:DWORD src1_sel:WORD_1
	v_bfe_u32 v13, v2, 19, 4
	v_sub_u32_e32 v14, 29, v14
	v_and_b32_e32 v15, 7, v15
	v_cmp_eq_u16_e32 vcc, 0, v12
	v_cndmask_b32_e32 v11, v11, v15, vcc
	v_cndmask_b32_e32 v12, v13, v14, vcc
	v_lshlrev_b32_e32 v13, 8, v2
	v_mov_b32_e32 v14, 0x3b800000
	v_lshlrev_b32_e32 v11, 20, v11
	v_and_b32_e32 v13, 0x80000000, v13
	v_lshl_add_u32 v12, v12, 23, v14
	v_or3_b32 v12, v13, v12, v11
.LBB45_408:
	s_or_b64 exec, exec, s[6:7]
	s_nop 0
	v_mfma_f32_16x16x4f32 a[0:3], v10, v12, a[0:3]
	s_movk_i32 s4, 0x7f
	v_cmp_gt_i16_sdwa s[6:7], v6, s4 src0_sel:BYTE_3 src1_sel:DWORD
	s_mov_b64 s[4:5], 0
                                        ; implicit-def: $sgpr10
	s_and_saveexec_b64 s[8:9], s[6:7]
	s_xor_b64 s[6:7], exec, s[8:9]
	s_cbranch_execnz .LBB45_2457
; %bb.409:
	s_or_saveexec_b64 s[6:7], s[6:7]
	v_mov_b32_e32 v10, s10
	s_xor_b64 exec, exec, s[6:7]
	s_cbranch_execnz .LBB45_2460
.LBB45_410:
	s_or_b64 exec, exec, s[6:7]
	s_and_saveexec_b64 s[6:7], s[4:5]
	s_cbranch_execz .LBB45_412
.LBB45_411:
	v_bfe_u32 v10, v6, 24, 3
	v_ffbh_u32_e32 v14, v10
	v_min_u32_e32 v14, 32, v14
	v_lshrrev_b32_e32 v12, 27, v6
	v_subrev_u32_e32 v15, 28, v14
	v_and_b32_e32 v11, 0x80000000, v6
	v_and_b32_e32 v12, 15, v12
	v_bfe_u32 v13, v6, 27, 4
	v_lshlrev_b32_sdwa v6, v15, v6 dst_sel:DWORD dst_unused:UNUSED_PAD src0_sel:DWORD src1_sel:BYTE_3
	v_sub_u32_e32 v14, 29, v14
	v_and_b32_e32 v6, 7, v6
	v_cmp_eq_u16_e32 vcc, 0, v12
	v_cndmask_b32_e32 v6, v10, v6, vcc
	v_cndmask_b32_e32 v10, v13, v14, vcc
	v_mov_b32_e32 v12, 0x3b800000
	v_lshlrev_b32_e32 v6, 20, v6
	v_lshl_add_u32 v10, v10, 23, v12
	v_or3_b32 v10, v11, v10, v6
.LBB45_412:
	s_or_b64 exec, exec, s[6:7]
	s_movk_i32 s4, 0x7f
	v_cmp_gt_i16_sdwa s[6:7], v2, s4 src0_sel:BYTE_3 src1_sel:DWORD
	s_mov_b64 s[4:5], 0
                                        ; implicit-def: $sgpr10
	s_and_saveexec_b64 s[8:9], s[6:7]
	s_xor_b64 s[6:7], exec, s[8:9]
	s_cbranch_execnz .LBB45_2461
; %bb.413:
	s_or_saveexec_b64 s[6:7], s[6:7]
	v_mov_b32_e32 v6, s10
	s_xor_b64 exec, exec, s[6:7]
	s_cbranch_execnz .LBB45_2464
.LBB45_414:
	s_or_b64 exec, exec, s[6:7]
	s_and_saveexec_b64 s[6:7], s[4:5]
	s_cbranch_execz .LBB45_416
.LBB45_415:
	v_bfe_u32 v6, v2, 24, 3
	v_ffbh_u32_e32 v14, v6
	v_min_u32_e32 v14, 32, v14
	v_lshrrev_b32_e32 v12, 27, v2
	v_subrev_u32_e32 v15, 28, v14
	v_and_b32_e32 v11, 0x80000000, v2
	v_and_b32_e32 v12, 15, v12
	v_bfe_u32 v13, v2, 27, 4
	v_lshlrev_b32_sdwa v2, v15, v2 dst_sel:DWORD dst_unused:UNUSED_PAD src0_sel:DWORD src1_sel:BYTE_3
	v_sub_u32_e32 v14, 29, v14
	v_and_b32_e32 v2, 7, v2
	v_cmp_eq_u16_e32 vcc, 0, v12
	v_cndmask_b32_e32 v2, v6, v2, vcc
	v_cndmask_b32_e32 v6, v13, v14, vcc
	v_mov_b32_e32 v12, 0x3b800000
	v_lshlrev_b32_e32 v2, 20, v2
	v_lshl_add_u32 v6, v6, 23, v12
	v_or3_b32 v6, v11, v6, v2
.LBB45_416:
	s_or_b64 exec, exec, s[6:7]
	s_nop 0
	v_mfma_f32_16x16x4f32 a[0:3], v10, v6, a[0:3]
	s_movk_i32 s4, 0x7f
	v_cmp_gt_i16_sdwa s[6:7], v7, s4 src0_sel:BYTE_0 src1_sel:DWORD
	s_mov_b64 s[4:5], 0
                                        ; implicit-def: $sgpr10
	s_and_saveexec_b64 s[8:9], s[6:7]
	s_xor_b64 s[6:7], exec, s[8:9]
	s_cbranch_execnz .LBB45_2465
; %bb.417:
	s_or_saveexec_b64 s[6:7], s[6:7]
	v_mov_b32_e32 v2, s10
	s_xor_b64 exec, exec, s[6:7]
	s_cbranch_execnz .LBB45_2468
.LBB45_418:
	s_or_b64 exec, exec, s[6:7]
	s_and_saveexec_b64 s[6:7], s[4:5]
	s_cbranch_execz .LBB45_420
.LBB45_419:
	v_and_b32_e32 v2, 7, v7
	v_ffbh_u32_e32 v10, v2
	v_min_u32_e32 v10, 32, v10
	v_lshrrev_b16_e32 v6, 3, v7
	v_subrev_u32_e32 v11, 28, v10
	v_and_b32_e32 v6, 15, v6
	v_lshlrev_b32_e32 v11, v11, v7
	v_sub_u32_e32 v10, 29, v10
	v_and_b32_e32 v11, 7, v11
	v_cmp_eq_u16_e32 vcc, 0, v6
	v_cndmask_b32_e32 v2, v2, v11, vcc
	v_cndmask_b32_e32 v6, v6, v10, vcc
	v_lshlrev_b32_e32 v10, 24, v7
	v_mov_b32_e32 v11, 0x3b800000
	v_lshlrev_b32_e32 v2, 20, v2
	v_and_b32_e32 v10, 0x80000000, v10
	v_lshl_add_u32 v6, v6, 23, v11
	v_or3_b32 v2, v10, v6, v2
.LBB45_420:
	s_or_b64 exec, exec, s[6:7]
	s_movk_i32 s4, 0x7f
	v_cmp_gt_i16_sdwa s[6:7], v3, s4 src0_sel:BYTE_0 src1_sel:DWORD
	s_mov_b64 s[4:5], 0
                                        ; implicit-def: $sgpr10
	s_and_saveexec_b64 s[8:9], s[6:7]
	s_xor_b64 s[6:7], exec, s[8:9]
	s_cbranch_execnz .LBB45_2469
; %bb.421:
	s_or_saveexec_b64 s[6:7], s[6:7]
	v_mov_b32_e32 v6, s10
	s_xor_b64 exec, exec, s[6:7]
	s_cbranch_execnz .LBB45_2472
.LBB45_422:
	s_or_b64 exec, exec, s[6:7]
	s_and_saveexec_b64 s[6:7], s[4:5]
	s_cbranch_execz .LBB45_424
.LBB45_423:
	v_and_b32_e32 v6, 7, v3
	v_ffbh_u32_e32 v11, v6
	v_min_u32_e32 v11, 32, v11
	v_lshrrev_b16_e32 v10, 3, v3
	v_subrev_u32_e32 v12, 28, v11
	v_and_b32_e32 v10, 15, v10
	v_lshlrev_b32_e32 v12, v12, v3
	v_sub_u32_e32 v11, 29, v11
	v_and_b32_e32 v12, 7, v12
	v_cmp_eq_u16_e32 vcc, 0, v10
	v_cndmask_b32_e32 v6, v6, v12, vcc
	v_cndmask_b32_e32 v10, v10, v11, vcc
	v_lshlrev_b32_e32 v11, 24, v3
	v_mov_b32_e32 v12, 0x3b800000
	v_lshlrev_b32_e32 v6, 20, v6
	v_and_b32_e32 v11, 0x80000000, v11
	v_lshl_add_u32 v10, v10, 23, v12
	v_or3_b32 v6, v11, v10, v6
.LBB45_424:
	s_or_b64 exec, exec, s[6:7]
	s_nop 0
	v_mfma_f32_16x16x4f32 a[0:3], v2, v6, a[0:3]
	v_lshrrev_b32_e32 v6, 8, v7
	s_movk_i32 s4, 0x7f
	v_cmp_gt_i16_sdwa s[6:7], v6, s4 src0_sel:BYTE_0 src1_sel:DWORD
	s_mov_b64 s[4:5], 0
                                        ; implicit-def: $sgpr10
	s_and_saveexec_b64 s[8:9], s[6:7]
	s_xor_b64 s[6:7], exec, s[8:9]
	s_cbranch_execnz .LBB45_2473
; %bb.425:
	s_or_saveexec_b64 s[6:7], s[6:7]
	v_mov_b32_e32 v2, s10
	s_xor_b64 exec, exec, s[6:7]
	s_cbranch_execnz .LBB45_2476
.LBB45_426:
	s_or_b64 exec, exec, s[6:7]
	s_and_saveexec_b64 s[6:7], s[4:5]
	s_cbranch_execz .LBB45_428
.LBB45_427:
	v_bfe_u32 v2, v7, 8, 3
	v_ffbh_u32_e32 v11, v2
	v_min_u32_e32 v11, 32, v11
	v_lshrrev_b16_e32 v10, 3, v6
	v_subrev_u32_e32 v12, 28, v11
	v_and_b32_e32 v10, 15, v10
	v_lshlrev_b32_e32 v6, v12, v6
	v_sub_u32_e32 v11, 29, v11
	v_and_b32_e32 v6, 7, v6
	v_cmp_eq_u16_e32 vcc, 0, v10
	v_cndmask_b32_e32 v2, v2, v6, vcc
	v_cndmask_b32_e32 v6, v10, v11, vcc
	v_lshlrev_b32_e32 v10, 16, v7
	v_mov_b32_e32 v11, 0x3b800000
	v_lshlrev_b32_e32 v2, 20, v2
	v_and_b32_e32 v10, 0x80000000, v10
	v_lshl_add_u32 v6, v6, 23, v11
	v_or3_b32 v2, v10, v6, v2
.LBB45_428:
	s_or_b64 exec, exec, s[6:7]
	v_lshrrev_b32_e32 v6, 8, v3
	s_movk_i32 s4, 0x7f
	v_cmp_gt_i16_sdwa s[6:7], v6, s4 src0_sel:BYTE_0 src1_sel:DWORD
	s_mov_b64 s[4:5], 0
                                        ; implicit-def: $sgpr10
	s_and_saveexec_b64 s[8:9], s[6:7]
	s_xor_b64 s[6:7], exec, s[8:9]
	s_cbranch_execnz .LBB45_2477
; %bb.429:
	s_or_saveexec_b64 s[6:7], s[6:7]
	v_mov_b32_e32 v10, s10
	s_xor_b64 exec, exec, s[6:7]
	s_cbranch_execnz .LBB45_2480
.LBB45_430:
	s_or_b64 exec, exec, s[6:7]
	s_and_saveexec_b64 s[6:7], s[4:5]
	s_cbranch_execz .LBB45_432
.LBB45_431:
	v_bfe_u32 v10, v3, 8, 3
	v_ffbh_u32_e32 v12, v10
	v_min_u32_e32 v12, 32, v12
	v_lshrrev_b16_e32 v11, 3, v6
	v_subrev_u32_e32 v13, 28, v12
	v_and_b32_e32 v11, 15, v11
	v_lshlrev_b32_e32 v6, v13, v6
	v_sub_u32_e32 v12, 29, v12
	v_and_b32_e32 v6, 7, v6
	v_cmp_eq_u16_e32 vcc, 0, v11
	v_cndmask_b32_e32 v6, v10, v6, vcc
	v_cndmask_b32_e32 v10, v11, v12, vcc
	v_lshlrev_b32_e32 v11, 16, v3
	v_mov_b32_e32 v12, 0x3b800000
	v_lshlrev_b32_e32 v6, 20, v6
	v_and_b32_e32 v11, 0x80000000, v11
	v_lshl_add_u32 v10, v10, 23, v12
	v_or3_b32 v10, v11, v10, v6
.LBB45_432:
	s_or_b64 exec, exec, s[6:7]
	s_nop 0
	v_mfma_f32_16x16x4f32 a[0:3], v2, v10, a[0:3]
	s_movk_i32 s4, 0xff
	v_and_b32_sdwa v6, v7, s4 dst_sel:DWORD dst_unused:UNUSED_PAD src0_sel:WORD_1 src1_sel:DWORD
	s_movk_i32 s4, 0x7f
	v_cmp_lt_i16_e32 vcc, s4, v6
	s_mov_b64 s[4:5], 0
                                        ; implicit-def: $sgpr10
	s_and_saveexec_b64 s[6:7], vcc
	s_xor_b64 s[6:7], exec, s[6:7]
	s_cbranch_execnz .LBB45_2481
; %bb.433:
	s_or_saveexec_b64 s[6:7], s[6:7]
	v_mov_b32_e32 v2, s10
	s_xor_b64 exec, exec, s[6:7]
	s_cbranch_execnz .LBB45_2484
.LBB45_434:
	s_or_b64 exec, exec, s[6:7]
	s_and_saveexec_b64 s[6:7], s[4:5]
	s_cbranch_execz .LBB45_436
.LBB45_435:
	v_bfe_u32 v2, v7, 16, 3
	v_ffbh_u32_e32 v11, v2
	v_min_u32_e32 v11, 32, v11
	v_lshrrev_b32_e32 v6, 19, v7
	v_subrev_u32_e32 v12, 28, v11
	v_and_b32_e32 v6, 15, v6
	v_lshlrev_b32_sdwa v12, v12, v7 dst_sel:DWORD dst_unused:UNUSED_PAD src0_sel:DWORD src1_sel:WORD_1
	v_bfe_u32 v10, v7, 19, 4
	v_sub_u32_e32 v11, 29, v11
	v_and_b32_e32 v12, 7, v12
	v_cmp_eq_u16_e32 vcc, 0, v6
	v_cndmask_b32_e32 v2, v2, v12, vcc
	v_cndmask_b32_e32 v6, v10, v11, vcc
	v_lshlrev_b32_e32 v10, 8, v7
	v_mov_b32_e32 v11, 0x3b800000
	v_lshlrev_b32_e32 v2, 20, v2
	v_and_b32_e32 v10, 0x80000000, v10
	v_lshl_add_u32 v6, v6, 23, v11
	v_or3_b32 v2, v10, v6, v2
.LBB45_436:
	s_or_b64 exec, exec, s[6:7]
	s_movk_i32 s4, 0xff
	v_and_b32_sdwa v6, v3, s4 dst_sel:DWORD dst_unused:UNUSED_PAD src0_sel:WORD_1 src1_sel:DWORD
	s_movk_i32 s4, 0x7f
	v_cmp_lt_i16_e32 vcc, s4, v6
	s_mov_b64 s[4:5], 0
                                        ; implicit-def: $sgpr10
	s_and_saveexec_b64 s[6:7], vcc
	s_xor_b64 s[6:7], exec, s[6:7]
	s_cbranch_execnz .LBB45_2485
; %bb.437:
	s_or_saveexec_b64 s[6:7], s[6:7]
	v_mov_b32_e32 v10, s10
	s_xor_b64 exec, exec, s[6:7]
	s_cbranch_execnz .LBB45_2488
.LBB45_438:
	s_or_b64 exec, exec, s[6:7]
	s_and_saveexec_b64 s[6:7], s[4:5]
	s_cbranch_execz .LBB45_440
.LBB45_439:
	v_bfe_u32 v6, v3, 16, 3
	v_ffbh_u32_e32 v12, v6
	v_min_u32_e32 v12, 32, v12
	v_lshrrev_b32_e32 v10, 19, v3
	v_subrev_u32_e32 v13, 28, v12
	v_and_b32_e32 v10, 15, v10
	v_lshlrev_b32_sdwa v13, v13, v3 dst_sel:DWORD dst_unused:UNUSED_PAD src0_sel:DWORD src1_sel:WORD_1
	v_bfe_u32 v11, v3, 19, 4
	v_sub_u32_e32 v12, 29, v12
	v_and_b32_e32 v13, 7, v13
	v_cmp_eq_u16_e32 vcc, 0, v10
	v_cndmask_b32_e32 v6, v6, v13, vcc
	v_cndmask_b32_e32 v10, v11, v12, vcc
	v_lshlrev_b32_e32 v11, 8, v3
	v_mov_b32_e32 v12, 0x3b800000
	v_lshlrev_b32_e32 v6, 20, v6
	v_and_b32_e32 v11, 0x80000000, v11
	v_lshl_add_u32 v10, v10, 23, v12
	v_or3_b32 v10, v11, v10, v6
.LBB45_440:
	s_or_b64 exec, exec, s[6:7]
	s_nop 0
	v_mfma_f32_16x16x4f32 a[0:3], v2, v10, a[0:3]
	s_movk_i32 s4, 0x7f
	v_cmp_gt_i16_sdwa s[6:7], v7, s4 src0_sel:BYTE_3 src1_sel:DWORD
	s_mov_b64 s[4:5], 0
                                        ; implicit-def: $sgpr10
	s_and_saveexec_b64 s[8:9], s[6:7]
	s_xor_b64 s[6:7], exec, s[8:9]
	s_cbranch_execnz .LBB45_2489
; %bb.441:
	s_or_saveexec_b64 s[6:7], s[6:7]
	v_mov_b32_e32 v2, s10
	s_xor_b64 exec, exec, s[6:7]
	s_cbranch_execnz .LBB45_2492
.LBB45_442:
	s_or_b64 exec, exec, s[6:7]
	s_and_saveexec_b64 s[6:7], s[4:5]
	s_cbranch_execz .LBB45_444
.LBB45_443:
	v_bfe_u32 v2, v7, 24, 3
	v_ffbh_u32_e32 v12, v2
	v_min_u32_e32 v12, 32, v12
	v_lshrrev_b32_e32 v10, 27, v7
	v_subrev_u32_e32 v13, 28, v12
	v_and_b32_e32 v6, 0x80000000, v7
	v_and_b32_e32 v10, 15, v10
	v_bfe_u32 v11, v7, 27, 4
	v_lshlrev_b32_sdwa v7, v13, v7 dst_sel:DWORD dst_unused:UNUSED_PAD src0_sel:DWORD src1_sel:BYTE_3
	v_sub_u32_e32 v12, 29, v12
	v_and_b32_e32 v7, 7, v7
	v_cmp_eq_u16_e32 vcc, 0, v10
	v_cndmask_b32_e32 v2, v2, v7, vcc
	v_cndmask_b32_e32 v7, v11, v12, vcc
	v_mov_b32_e32 v10, 0x3b800000
	v_lshlrev_b32_e32 v2, 20, v2
	v_lshl_add_u32 v7, v7, 23, v10
	v_or3_b32 v2, v6, v7, v2
.LBB45_444:
	s_or_b64 exec, exec, s[6:7]
	s_movk_i32 s4, 0x7f
	v_cmp_gt_i16_sdwa s[6:7], v3, s4 src0_sel:BYTE_3 src1_sel:DWORD
	s_mov_b64 s[4:5], 0
                                        ; implicit-def: $sgpr10
	s_and_saveexec_b64 s[8:9], s[6:7]
	s_xor_b64 s[6:7], exec, s[8:9]
	s_cbranch_execnz .LBB45_2493
; %bb.445:
	s_or_saveexec_b64 s[6:7], s[6:7]
	v_mov_b32_e32 v6, s10
	s_xor_b64 exec, exec, s[6:7]
	s_cbranch_execnz .LBB45_2496
.LBB45_446:
	s_or_b64 exec, exec, s[6:7]
	s_and_saveexec_b64 s[6:7], s[4:5]
	s_cbranch_execz .LBB45_448
.LBB45_447:
	v_bfe_u32 v6, v3, 24, 3
	v_ffbh_u32_e32 v12, v6
	v_min_u32_e32 v12, 32, v12
	v_lshrrev_b32_e32 v10, 27, v3
	v_subrev_u32_e32 v13, 28, v12
	v_and_b32_e32 v7, 0x80000000, v3
	v_and_b32_e32 v10, 15, v10
	v_bfe_u32 v11, v3, 27, 4
	v_lshlrev_b32_sdwa v3, v13, v3 dst_sel:DWORD dst_unused:UNUSED_PAD src0_sel:DWORD src1_sel:BYTE_3
	v_sub_u32_e32 v12, 29, v12
	v_and_b32_e32 v3, 7, v3
	v_cmp_eq_u16_e32 vcc, 0, v10
	v_cndmask_b32_e32 v3, v6, v3, vcc
	v_cndmask_b32_e32 v6, v11, v12, vcc
	v_mov_b32_e32 v10, 0x3b800000
	v_lshlrev_b32_e32 v3, 20, v3
	v_lshl_add_u32 v6, v6, 23, v10
	v_or3_b32 v6, v7, v6, v3
.LBB45_448:
	s_or_b64 exec, exec, s[6:7]
	s_nop 0
	v_mfma_f32_16x16x4f32 a[0:3], v2, v6, a[0:3]
	s_movk_i32 s4, 0x7f
	v_cmp_gt_i16_sdwa s[6:7], v8, s4 src0_sel:BYTE_0 src1_sel:DWORD
	s_mov_b64 s[4:5], 0
                                        ; implicit-def: $sgpr10
	s_and_saveexec_b64 s[8:9], s[6:7]
	s_xor_b64 s[6:7], exec, s[8:9]
	s_cbranch_execnz .LBB45_2497
; %bb.449:
	s_or_saveexec_b64 s[6:7], s[6:7]
	v_mov_b32_e32 v2, s10
	s_xor_b64 exec, exec, s[6:7]
	s_cbranch_execnz .LBB45_2500
.LBB45_450:
	s_or_b64 exec, exec, s[6:7]
	s_and_saveexec_b64 s[6:7], s[4:5]
	s_cbranch_execz .LBB45_452
.LBB45_451:
	v_and_b32_e32 v2, 7, v8
	v_ffbh_u32_e32 v6, v2
	v_min_u32_e32 v6, 32, v6
	v_lshrrev_b16_e32 v3, 3, v8
	v_subrev_u32_e32 v7, 28, v6
	v_and_b32_e32 v3, 15, v3
	v_lshlrev_b32_e32 v7, v7, v8
	v_sub_u32_e32 v6, 29, v6
	v_and_b32_e32 v7, 7, v7
	v_cmp_eq_u16_e32 vcc, 0, v3
	v_cndmask_b32_e32 v2, v2, v7, vcc
	v_cndmask_b32_e32 v3, v3, v6, vcc
	v_lshlrev_b32_e32 v6, 24, v8
	v_mov_b32_e32 v7, 0x3b800000
	v_lshlrev_b32_e32 v2, 20, v2
	v_and_b32_e32 v6, 0x80000000, v6
	v_lshl_add_u32 v3, v3, 23, v7
	v_or3_b32 v2, v6, v3, v2
.LBB45_452:
	s_or_b64 exec, exec, s[6:7]
	s_movk_i32 s4, 0x7f
	v_cmp_gt_i16_sdwa s[6:7], v4, s4 src0_sel:BYTE_0 src1_sel:DWORD
	s_mov_b64 s[4:5], 0
                                        ; implicit-def: $sgpr10
	s_and_saveexec_b64 s[8:9], s[6:7]
	s_xor_b64 s[6:7], exec, s[8:9]
	s_cbranch_execnz .LBB45_2501
; %bb.453:
	s_or_saveexec_b64 s[6:7], s[6:7]
	v_mov_b32_e32 v3, s10
	s_xor_b64 exec, exec, s[6:7]
	s_cbranch_execnz .LBB45_2504
.LBB45_454:
	s_or_b64 exec, exec, s[6:7]
	s_and_saveexec_b64 s[6:7], s[4:5]
	s_cbranch_execz .LBB45_456
.LBB45_455:
	v_and_b32_e32 v3, 7, v4
	v_ffbh_u32_e32 v7, v3
	v_min_u32_e32 v7, 32, v7
	v_lshrrev_b16_e32 v6, 3, v4
	v_subrev_u32_e32 v10, 28, v7
	v_and_b32_e32 v6, 15, v6
	v_lshlrev_b32_e32 v10, v10, v4
	v_sub_u32_e32 v7, 29, v7
	v_and_b32_e32 v10, 7, v10
	v_cmp_eq_u16_e32 vcc, 0, v6
	v_cndmask_b32_e32 v3, v3, v10, vcc
	v_cndmask_b32_e32 v6, v6, v7, vcc
	v_lshlrev_b32_e32 v7, 24, v4
	v_mov_b32_e32 v10, 0x3b800000
	v_lshlrev_b32_e32 v3, 20, v3
	v_and_b32_e32 v7, 0x80000000, v7
	v_lshl_add_u32 v6, v6, 23, v10
	v_or3_b32 v3, v7, v6, v3
.LBB45_456:
	s_or_b64 exec, exec, s[6:7]
	s_nop 0
	v_mfma_f32_16x16x4f32 a[0:3], v2, v3, a[0:3]
	v_lshrrev_b32_e32 v3, 8, v8
	s_movk_i32 s4, 0x7f
	v_cmp_gt_i16_sdwa s[6:7], v3, s4 src0_sel:BYTE_0 src1_sel:DWORD
	s_mov_b64 s[4:5], 0
                                        ; implicit-def: $sgpr10
	s_and_saveexec_b64 s[8:9], s[6:7]
	s_xor_b64 s[6:7], exec, s[8:9]
	s_cbranch_execnz .LBB45_2505
; %bb.457:
	s_or_saveexec_b64 s[6:7], s[6:7]
	v_mov_b32_e32 v2, s10
	s_xor_b64 exec, exec, s[6:7]
	s_cbranch_execnz .LBB45_2508
.LBB45_458:
	s_or_b64 exec, exec, s[6:7]
	s_and_saveexec_b64 s[6:7], s[4:5]
	s_cbranch_execz .LBB45_460
.LBB45_459:
	v_bfe_u32 v2, v8, 8, 3
	v_ffbh_u32_e32 v7, v2
	v_min_u32_e32 v7, 32, v7
	v_lshrrev_b16_e32 v6, 3, v3
	v_subrev_u32_e32 v10, 28, v7
	v_and_b32_e32 v6, 15, v6
	v_lshlrev_b32_e32 v3, v10, v3
	v_sub_u32_e32 v7, 29, v7
	v_and_b32_e32 v3, 7, v3
	v_cmp_eq_u16_e32 vcc, 0, v6
	v_cndmask_b32_e32 v2, v2, v3, vcc
	v_cndmask_b32_e32 v3, v6, v7, vcc
	v_lshlrev_b32_e32 v6, 16, v8
	v_mov_b32_e32 v7, 0x3b800000
	v_lshlrev_b32_e32 v2, 20, v2
	v_and_b32_e32 v6, 0x80000000, v6
	v_lshl_add_u32 v3, v3, 23, v7
	v_or3_b32 v2, v6, v3, v2
.LBB45_460:
	s_or_b64 exec, exec, s[6:7]
	v_lshrrev_b32_e32 v3, 8, v4
	s_movk_i32 s4, 0x7f
	v_cmp_gt_i16_sdwa s[6:7], v3, s4 src0_sel:BYTE_0 src1_sel:DWORD
	s_mov_b64 s[4:5], 0
                                        ; implicit-def: $sgpr10
	s_and_saveexec_b64 s[8:9], s[6:7]
	s_xor_b64 s[6:7], exec, s[8:9]
	s_cbranch_execnz .LBB45_2509
; %bb.461:
	s_or_saveexec_b64 s[6:7], s[6:7]
	v_mov_b32_e32 v6, s10
	s_xor_b64 exec, exec, s[6:7]
	s_cbranch_execnz .LBB45_2512
.LBB45_462:
	s_or_b64 exec, exec, s[6:7]
	s_and_saveexec_b64 s[6:7], s[4:5]
	s_cbranch_execz .LBB45_464
.LBB45_463:
	v_bfe_u32 v6, v4, 8, 3
	v_ffbh_u32_e32 v10, v6
	v_min_u32_e32 v10, 32, v10
	v_lshrrev_b16_e32 v7, 3, v3
	v_subrev_u32_e32 v11, 28, v10
	v_and_b32_e32 v7, 15, v7
	v_lshlrev_b32_e32 v3, v11, v3
	v_sub_u32_e32 v10, 29, v10
	v_and_b32_e32 v3, 7, v3
	v_cmp_eq_u16_e32 vcc, 0, v7
	v_cndmask_b32_e32 v3, v6, v3, vcc
	v_cndmask_b32_e32 v6, v7, v10, vcc
	v_lshlrev_b32_e32 v7, 16, v4
	v_mov_b32_e32 v10, 0x3b800000
	v_lshlrev_b32_e32 v3, 20, v3
	v_and_b32_e32 v7, 0x80000000, v7
	v_lshl_add_u32 v6, v6, 23, v10
	v_or3_b32 v6, v7, v6, v3
.LBB45_464:
	s_or_b64 exec, exec, s[6:7]
	s_nop 0
	v_mfma_f32_16x16x4f32 a[0:3], v2, v6, a[0:3]
	s_movk_i32 s4, 0xff
	v_and_b32_sdwa v3, v8, s4 dst_sel:DWORD dst_unused:UNUSED_PAD src0_sel:WORD_1 src1_sel:DWORD
	s_movk_i32 s4, 0x7f
	v_cmp_lt_i16_e32 vcc, s4, v3
	s_mov_b64 s[4:5], 0
                                        ; implicit-def: $sgpr10
	s_and_saveexec_b64 s[6:7], vcc
	s_xor_b64 s[6:7], exec, s[6:7]
	s_cbranch_execnz .LBB45_2513
; %bb.465:
	s_or_saveexec_b64 s[6:7], s[6:7]
	v_mov_b32_e32 v2, s10
	s_xor_b64 exec, exec, s[6:7]
	s_cbranch_execnz .LBB45_2516
.LBB45_466:
	s_or_b64 exec, exec, s[6:7]
	s_and_saveexec_b64 s[6:7], s[4:5]
	s_cbranch_execz .LBB45_468
.LBB45_467:
	v_bfe_u32 v2, v8, 16, 3
	v_ffbh_u32_e32 v7, v2
	v_min_u32_e32 v7, 32, v7
	v_lshrrev_b32_e32 v3, 19, v8
	v_subrev_u32_e32 v10, 28, v7
	v_and_b32_e32 v3, 15, v3
	v_lshlrev_b32_sdwa v10, v10, v8 dst_sel:DWORD dst_unused:UNUSED_PAD src0_sel:DWORD src1_sel:WORD_1
	v_bfe_u32 v6, v8, 19, 4
	v_sub_u32_e32 v7, 29, v7
	v_and_b32_e32 v10, 7, v10
	v_cmp_eq_u16_e32 vcc, 0, v3
	v_cndmask_b32_e32 v2, v2, v10, vcc
	v_cndmask_b32_e32 v3, v6, v7, vcc
	v_lshlrev_b32_e32 v6, 8, v8
	v_mov_b32_e32 v7, 0x3b800000
	v_lshlrev_b32_e32 v2, 20, v2
	v_and_b32_e32 v6, 0x80000000, v6
	v_lshl_add_u32 v3, v3, 23, v7
	v_or3_b32 v2, v6, v3, v2
.LBB45_468:
	s_or_b64 exec, exec, s[6:7]
	s_movk_i32 s4, 0xff
	v_and_b32_sdwa v3, v4, s4 dst_sel:DWORD dst_unused:UNUSED_PAD src0_sel:WORD_1 src1_sel:DWORD
	s_movk_i32 s4, 0x7f
	v_cmp_lt_i16_e32 vcc, s4, v3
	s_mov_b64 s[4:5], 0
                                        ; implicit-def: $sgpr10
	s_and_saveexec_b64 s[6:7], vcc
	s_xor_b64 s[6:7], exec, s[6:7]
	s_cbranch_execnz .LBB45_2517
; %bb.469:
	s_or_saveexec_b64 s[6:7], s[6:7]
	v_mov_b32_e32 v6, s10
	s_xor_b64 exec, exec, s[6:7]
	s_cbranch_execnz .LBB45_2520
.LBB45_470:
	s_or_b64 exec, exec, s[6:7]
	s_and_saveexec_b64 s[6:7], s[4:5]
	s_cbranch_execz .LBB45_472
.LBB45_471:
	v_bfe_u32 v3, v4, 16, 3
	v_ffbh_u32_e32 v10, v3
	v_min_u32_e32 v10, 32, v10
	v_lshrrev_b32_e32 v6, 19, v4
	v_subrev_u32_e32 v11, 28, v10
	v_and_b32_e32 v6, 15, v6
	v_lshlrev_b32_sdwa v11, v11, v4 dst_sel:DWORD dst_unused:UNUSED_PAD src0_sel:DWORD src1_sel:WORD_1
	v_bfe_u32 v7, v4, 19, 4
	v_sub_u32_e32 v10, 29, v10
	v_and_b32_e32 v11, 7, v11
	v_cmp_eq_u16_e32 vcc, 0, v6
	v_cndmask_b32_e32 v3, v3, v11, vcc
	v_cndmask_b32_e32 v6, v7, v10, vcc
	v_lshlrev_b32_e32 v7, 8, v4
	v_mov_b32_e32 v10, 0x3b800000
	v_lshlrev_b32_e32 v3, 20, v3
	v_and_b32_e32 v7, 0x80000000, v7
	v_lshl_add_u32 v6, v6, 23, v10
	v_or3_b32 v6, v7, v6, v3
.LBB45_472:
	s_or_b64 exec, exec, s[6:7]
	s_nop 0
	v_mfma_f32_16x16x4f32 a[0:3], v2, v6, a[0:3]
	s_movk_i32 s4, 0x7f
	v_cmp_gt_i16_sdwa s[6:7], v8, s4 src0_sel:BYTE_3 src1_sel:DWORD
	s_mov_b64 s[4:5], 0
                                        ; implicit-def: $sgpr10
	s_and_saveexec_b64 s[8:9], s[6:7]
	s_xor_b64 s[6:7], exec, s[8:9]
	s_cbranch_execnz .LBB45_2521
; %bb.473:
	s_or_saveexec_b64 s[6:7], s[6:7]
	v_mov_b32_e32 v2, s10
	s_xor_b64 exec, exec, s[6:7]
	s_cbranch_execnz .LBB45_2524
.LBB45_474:
	s_or_b64 exec, exec, s[6:7]
	s_and_saveexec_b64 s[6:7], s[4:5]
	s_cbranch_execz .LBB45_476
.LBB45_475:
	v_bfe_u32 v2, v8, 24, 3
	v_ffbh_u32_e32 v10, v2
	v_min_u32_e32 v10, 32, v10
	v_lshrrev_b32_e32 v6, 27, v8
	v_subrev_u32_e32 v11, 28, v10
	v_and_b32_e32 v3, 0x80000000, v8
	v_and_b32_e32 v6, 15, v6
	v_bfe_u32 v7, v8, 27, 4
	v_lshlrev_b32_sdwa v8, v11, v8 dst_sel:DWORD dst_unused:UNUSED_PAD src0_sel:DWORD src1_sel:BYTE_3
	v_sub_u32_e32 v10, 29, v10
	v_and_b32_e32 v8, 7, v8
	v_cmp_eq_u16_e32 vcc, 0, v6
	v_cndmask_b32_e32 v2, v2, v8, vcc
	v_cndmask_b32_e32 v6, v7, v10, vcc
	v_mov_b32_e32 v7, 0x3b800000
	v_lshlrev_b32_e32 v2, 20, v2
	v_lshl_add_u32 v6, v6, 23, v7
	v_or3_b32 v2, v3, v6, v2
.LBB45_476:
	s_or_b64 exec, exec, s[6:7]
	s_movk_i32 s4, 0x7f
	v_cmp_gt_i16_sdwa s[6:7], v4, s4 src0_sel:BYTE_3 src1_sel:DWORD
	s_mov_b64 s[4:5], 0
                                        ; implicit-def: $sgpr10
	s_and_saveexec_b64 s[8:9], s[6:7]
	s_xor_b64 s[6:7], exec, s[8:9]
	s_cbranch_execnz .LBB45_2525
; %bb.477:
	s_or_saveexec_b64 s[6:7], s[6:7]
	v_mov_b32_e32 v3, s10
	s_xor_b64 exec, exec, s[6:7]
	s_cbranch_execnz .LBB45_2528
.LBB45_478:
	s_or_b64 exec, exec, s[6:7]
	s_and_saveexec_b64 s[6:7], s[4:5]
	s_cbranch_execz .LBB45_480
.LBB45_479:
	v_bfe_u32 v3, v4, 24, 3
	v_ffbh_u32_e32 v10, v3
	v_min_u32_e32 v10, 32, v10
	v_lshrrev_b32_e32 v7, 27, v4
	v_subrev_u32_e32 v11, 28, v10
	v_and_b32_e32 v6, 0x80000000, v4
	v_and_b32_e32 v7, 15, v7
	v_bfe_u32 v8, v4, 27, 4
	v_lshlrev_b32_sdwa v4, v11, v4 dst_sel:DWORD dst_unused:UNUSED_PAD src0_sel:DWORD src1_sel:BYTE_3
	v_sub_u32_e32 v10, 29, v10
	v_and_b32_e32 v4, 7, v4
	v_cmp_eq_u16_e32 vcc, 0, v7
	v_cndmask_b32_e32 v3, v3, v4, vcc
	v_cndmask_b32_e32 v4, v8, v10, vcc
	v_mov_b32_e32 v7, 0x3b800000
	v_lshlrev_b32_e32 v3, 20, v3
	v_lshl_add_u32 v4, v4, 23, v7
	v_or3_b32 v3, v6, v4, v3
.LBB45_480:
	s_or_b64 exec, exec, s[6:7]
	s_nop 0
	v_mfma_f32_16x16x4f32 a[0:3], v2, v3, a[0:3]
	s_movk_i32 s4, 0x7f
	v_cmp_gt_i16_sdwa s[6:7], v9, s4 src0_sel:BYTE_0 src1_sel:DWORD
	s_mov_b64 s[4:5], 0
                                        ; implicit-def: $sgpr10
	s_and_saveexec_b64 s[8:9], s[6:7]
	s_xor_b64 s[6:7], exec, s[8:9]
	s_cbranch_execnz .LBB45_2529
; %bb.481:
	s_or_saveexec_b64 s[6:7], s[6:7]
	v_mov_b32_e32 v2, s10
	s_xor_b64 exec, exec, s[6:7]
	s_cbranch_execnz .LBB45_2532
.LBB45_482:
	s_or_b64 exec, exec, s[6:7]
	s_and_saveexec_b64 s[6:7], s[4:5]
	s_cbranch_execz .LBB45_484
.LBB45_483:
	v_mov_b32_e32 v2, 8
	v_and_b32_e32 v3, 7, v9
	v_lshrrev_b32_sdwa v2, v2, v9 dst_sel:BYTE_1 dst_unused:UNUSED_PAD src0_sel:DWORD src1_sel:DWORD
	v_ffbh_u32_e32 v4, v3
	v_or_b32_sdwa v2, v9, v2 dst_sel:DWORD dst_unused:UNUSED_PAD src0_sel:BYTE_0 src1_sel:DWORD
	v_min_u32_e32 v4, 32, v4
	v_lshrrev_b16_e32 v2, 3, v2
	v_subrev_u32_e32 v6, 28, v4
	v_and_b32_e32 v2, 15, v2
	v_lshlrev_b32_e32 v6, v6, v9
	v_sub_u32_e32 v4, 29, v4
	v_and_b32_e32 v6, 7, v6
	v_cmp_eq_u16_e32 vcc, 0, v2
	v_cndmask_b32_e32 v3, v3, v6, vcc
	v_cndmask_b32_e32 v2, v2, v4, vcc
	v_lshlrev_b32_e32 v4, 24, v9
	v_mov_b32_e32 v6, 0x3b800000
	v_lshlrev_b32_e32 v3, 20, v3
	v_and_b32_e32 v4, 0x80000000, v4
	v_lshl_add_u32 v2, v2, 23, v6
	v_or3_b32 v2, v4, v2, v3
.LBB45_484:
	s_or_b64 exec, exec, s[6:7]
	s_movk_i32 s4, 0x7f
	v_cmp_gt_i16_sdwa s[6:7], v5, s4 src0_sel:BYTE_0 src1_sel:DWORD
	s_mov_b64 s[4:5], 0
                                        ; implicit-def: $sgpr10
	s_and_saveexec_b64 s[8:9], s[6:7]
	s_xor_b64 s[6:7], exec, s[8:9]
	s_cbranch_execnz .LBB45_2533
; %bb.485:
	s_or_saveexec_b64 s[6:7], s[6:7]
	v_mov_b32_e32 v3, s10
	s_xor_b64 exec, exec, s[6:7]
	s_cbranch_execnz .LBB45_2536
.LBB45_486:
	s_or_b64 exec, exec, s[6:7]
	s_and_saveexec_b64 s[6:7], s[4:5]
	s_cbranch_execz .LBB45_488
.LBB45_487:
	v_mov_b32_e32 v3, 8
	v_and_b32_e32 v4, 7, v5
	v_lshrrev_b32_sdwa v3, v3, v5 dst_sel:BYTE_1 dst_unused:UNUSED_PAD src0_sel:DWORD src1_sel:DWORD
	v_ffbh_u32_e32 v6, v4
	v_or_b32_sdwa v3, v5, v3 dst_sel:DWORD dst_unused:UNUSED_PAD src0_sel:BYTE_0 src1_sel:DWORD
	v_min_u32_e32 v6, 32, v6
	v_lshrrev_b16_e32 v3, 3, v3
	v_subrev_u32_e32 v7, 28, v6
	v_and_b32_e32 v3, 15, v3
	v_lshlrev_b32_e32 v7, v7, v5
	v_sub_u32_e32 v6, 29, v6
	v_and_b32_e32 v7, 7, v7
	v_cmp_eq_u16_e32 vcc, 0, v3
	v_cndmask_b32_e32 v4, v4, v7, vcc
	v_cndmask_b32_e32 v3, v3, v6, vcc
	v_lshlrev_b32_e32 v6, 24, v5
	v_mov_b32_e32 v7, 0x3b800000
	v_lshlrev_b32_e32 v4, 20, v4
	v_and_b32_e32 v6, 0x80000000, v6
	v_lshl_add_u32 v3, v3, 23, v7
	v_or3_b32 v3, v6, v3, v4
.LBB45_488:
	s_or_b64 exec, exec, s[6:7]
	s_nop 0
	v_mfma_f32_16x16x4f32 a[0:3], v2, v3, a[0:3]
	v_lshrrev_b32_e32 v3, 8, v9
	s_movk_i32 s4, 0x7f
	v_cmp_gt_i16_sdwa s[6:7], v3, s4 src0_sel:BYTE_0 src1_sel:DWORD
	s_mov_b64 s[4:5], 0
                                        ; implicit-def: $sgpr10
	s_and_saveexec_b64 s[8:9], s[6:7]
	s_xor_b64 s[6:7], exec, s[8:9]
	s_cbranch_execnz .LBB45_2537
; %bb.489:
	s_or_saveexec_b64 s[6:7], s[6:7]
	v_mov_b32_e32 v2, s10
	s_xor_b64 exec, exec, s[6:7]
	s_cbranch_execnz .LBB45_2540
.LBB45_490:
	s_or_b64 exec, exec, s[6:7]
	s_and_saveexec_b64 s[6:7], s[4:5]
	s_cbranch_execz .LBB45_492
.LBB45_491:
	v_bfe_u32 v2, v9, 8, 3
	v_ffbh_u32_e32 v6, v2
	v_min_u32_e32 v6, 32, v6
	v_lshrrev_b16_e32 v4, 3, v3
	v_subrev_u32_e32 v7, 28, v6
	v_and_b32_e32 v4, 15, v4
	v_lshlrev_b32_e32 v3, v7, v3
	v_sub_u32_e32 v6, 29, v6
	v_and_b32_e32 v3, 7, v3
	v_cmp_eq_u16_e32 vcc, 0, v4
	v_cndmask_b32_e32 v2, v2, v3, vcc
	v_cndmask_b32_e32 v3, v4, v6, vcc
	v_lshlrev_b32_e32 v4, 16, v9
	v_mov_b32_e32 v6, 0x3b800000
	v_lshlrev_b32_e32 v2, 20, v2
	v_and_b32_e32 v4, 0x80000000, v4
	v_lshl_add_u32 v3, v3, 23, v6
	v_or3_b32 v2, v4, v3, v2
.LBB45_492:
	s_or_b64 exec, exec, s[6:7]
	v_lshrrev_b32_e32 v3, 8, v5
	s_movk_i32 s4, 0x7f
	v_cmp_gt_i16_sdwa s[6:7], v3, s4 src0_sel:BYTE_0 src1_sel:DWORD
	s_mov_b64 s[4:5], 0
                                        ; implicit-def: $sgpr10
	s_and_saveexec_b64 s[8:9], s[6:7]
	s_xor_b64 s[6:7], exec, s[8:9]
	s_cbranch_execnz .LBB45_2541
; %bb.493:
	s_or_saveexec_b64 s[6:7], s[6:7]
	v_mov_b32_e32 v4, s10
	s_xor_b64 exec, exec, s[6:7]
	s_cbranch_execnz .LBB45_2544
.LBB45_494:
	s_or_b64 exec, exec, s[6:7]
	s_and_saveexec_b64 s[6:7], s[4:5]
	s_cbranch_execz .LBB45_496
.LBB45_495:
	v_bfe_u32 v4, v5, 8, 3
	v_ffbh_u32_e32 v7, v4
	v_min_u32_e32 v7, 32, v7
	v_lshrrev_b16_e32 v6, 3, v3
	v_subrev_u32_e32 v8, 28, v7
	v_and_b32_e32 v6, 15, v6
	v_lshlrev_b32_e32 v3, v8, v3
	v_sub_u32_e32 v7, 29, v7
	v_and_b32_e32 v3, 7, v3
	v_cmp_eq_u16_e32 vcc, 0, v6
	v_cndmask_b32_e32 v3, v4, v3, vcc
	v_cndmask_b32_e32 v4, v6, v7, vcc
	v_lshlrev_b32_e32 v6, 16, v5
	v_mov_b32_e32 v7, 0x3b800000
	v_lshlrev_b32_e32 v3, 20, v3
	v_and_b32_e32 v6, 0x80000000, v6
	v_lshl_add_u32 v4, v4, 23, v7
	v_or3_b32 v4, v6, v4, v3
.LBB45_496:
	s_or_b64 exec, exec, s[6:7]
	s_nop 0
	v_mfma_f32_16x16x4f32 a[0:3], v2, v4, a[0:3]
	s_movk_i32 s4, 0xff
	v_and_b32_sdwa v3, v9, s4 dst_sel:DWORD dst_unused:UNUSED_PAD src0_sel:WORD_1 src1_sel:DWORD
	s_movk_i32 s4, 0x7f
	v_cmp_lt_i16_e32 vcc, s4, v3
	s_mov_b64 s[4:5], 0
                                        ; implicit-def: $sgpr10
	s_and_saveexec_b64 s[6:7], vcc
	s_xor_b64 s[6:7], exec, s[6:7]
	s_cbranch_execnz .LBB45_2545
; %bb.497:
	s_or_saveexec_b64 s[6:7], s[6:7]
	v_mov_b32_e32 v2, s10
	s_xor_b64 exec, exec, s[6:7]
	s_cbranch_execnz .LBB45_2548
.LBB45_498:
	s_or_b64 exec, exec, s[6:7]
	s_and_saveexec_b64 s[6:7], s[4:5]
	s_cbranch_execz .LBB45_500
.LBB45_499:
	v_bfe_u32 v2, v9, 16, 3
	v_ffbh_u32_e32 v6, v2
	v_min_u32_e32 v6, 32, v6
	v_lshrrev_b32_e32 v3, 19, v9
	v_subrev_u32_e32 v7, 28, v6
	v_and_b32_e32 v3, 15, v3
	v_lshlrev_b32_sdwa v7, v7, v9 dst_sel:DWORD dst_unused:UNUSED_PAD src0_sel:DWORD src1_sel:WORD_1
	v_bfe_u32 v4, v9, 19, 4
	v_sub_u32_e32 v6, 29, v6
	v_and_b32_e32 v7, 7, v7
	v_cmp_eq_u16_e32 vcc, 0, v3
	v_cndmask_b32_e32 v2, v2, v7, vcc
	v_cndmask_b32_e32 v3, v4, v6, vcc
	v_lshlrev_b32_e32 v4, 8, v9
	v_mov_b32_e32 v6, 0x3b800000
	v_lshlrev_b32_e32 v2, 20, v2
	v_and_b32_e32 v4, 0x80000000, v4
	v_lshl_add_u32 v3, v3, 23, v6
	v_or3_b32 v2, v4, v3, v2
.LBB45_500:
	s_or_b64 exec, exec, s[6:7]
	s_movk_i32 s4, 0xff
	v_and_b32_sdwa v3, v5, s4 dst_sel:DWORD dst_unused:UNUSED_PAD src0_sel:WORD_1 src1_sel:DWORD
	s_movk_i32 s4, 0x7f
	v_cmp_lt_i16_e32 vcc, s4, v3
	s_mov_b64 s[4:5], 0
                                        ; implicit-def: $sgpr10
	s_and_saveexec_b64 s[6:7], vcc
	s_xor_b64 s[6:7], exec, s[6:7]
	s_cbranch_execnz .LBB45_2549
; %bb.501:
	s_or_saveexec_b64 s[6:7], s[6:7]
	v_mov_b32_e32 v4, s10
	s_xor_b64 exec, exec, s[6:7]
	s_cbranch_execnz .LBB45_2552
.LBB45_502:
	s_or_b64 exec, exec, s[6:7]
	s_and_saveexec_b64 s[6:7], s[4:5]
	s_cbranch_execz .LBB45_504
.LBB45_503:
	v_bfe_u32 v3, v5, 16, 3
	v_ffbh_u32_e32 v7, v3
	v_min_u32_e32 v7, 32, v7
	v_lshrrev_b32_e32 v4, 19, v5
	v_subrev_u32_e32 v8, 28, v7
	v_and_b32_e32 v4, 15, v4
	v_lshlrev_b32_sdwa v8, v8, v5 dst_sel:DWORD dst_unused:UNUSED_PAD src0_sel:DWORD src1_sel:WORD_1
	v_bfe_u32 v6, v5, 19, 4
	v_sub_u32_e32 v7, 29, v7
	v_and_b32_e32 v8, 7, v8
	v_cmp_eq_u16_e32 vcc, 0, v4
	v_cndmask_b32_e32 v3, v3, v8, vcc
	v_cndmask_b32_e32 v4, v6, v7, vcc
	v_lshlrev_b32_e32 v6, 8, v5
	v_mov_b32_e32 v7, 0x3b800000
	v_lshlrev_b32_e32 v3, 20, v3
	v_and_b32_e32 v6, 0x80000000, v6
	v_lshl_add_u32 v4, v4, 23, v7
	v_or3_b32 v4, v6, v4, v3
.LBB45_504:
	s_or_b64 exec, exec, s[6:7]
	s_nop 0
	v_mfma_f32_16x16x4f32 a[0:3], v2, v4, a[0:3]
	s_movk_i32 s4, 0x7f
	v_cmp_gt_i16_sdwa s[6:7], v9, s4 src0_sel:BYTE_3 src1_sel:DWORD
	s_mov_b64 s[4:5], 0
                                        ; implicit-def: $sgpr10
	s_and_saveexec_b64 s[8:9], s[6:7]
	s_xor_b64 s[6:7], exec, s[8:9]
	s_cbranch_execnz .LBB45_2553
; %bb.505:
	s_or_saveexec_b64 s[6:7], s[6:7]
	v_mov_b32_e32 v2, s10
	s_xor_b64 exec, exec, s[6:7]
	s_cbranch_execnz .LBB45_2556
.LBB45_506:
	s_or_b64 exec, exec, s[6:7]
	s_and_saveexec_b64 s[6:7], s[4:5]
	s_cbranch_execz .LBB45_508
.LBB45_507:
	v_bfe_u32 v2, v9, 24, 3
	v_ffbh_u32_e32 v7, v2
	v_min_u32_e32 v7, 32, v7
	v_lshrrev_b32_e32 v4, 27, v9
	v_subrev_u32_e32 v8, 28, v7
	v_and_b32_e32 v4, 15, v4
	v_lshlrev_b32_sdwa v8, v8, v9 dst_sel:DWORD dst_unused:UNUSED_PAD src0_sel:DWORD src1_sel:BYTE_3
	v_bfe_u32 v6, v9, 27, 4
	v_sub_u32_e32 v7, 29, v7
	v_and_b32_e32 v8, 7, v8
	v_cmp_eq_u16_e32 vcc, 0, v4
	v_cndmask_b32_e32 v2, v2, v8, vcc
	v_cndmask_b32_e32 v4, v6, v7, vcc
	v_mov_b32_e32 v6, 0x3b800000
	v_and_b32_e32 v3, 0x80000000, v9
	v_lshlrev_b32_e32 v2, 20, v2
	v_lshl_add_u32 v4, v4, 23, v6
	v_or3_b32 v2, v3, v4, v2
.LBB45_508:
	s_or_b64 exec, exec, s[6:7]
	s_movk_i32 s4, 0x7f
	v_cmp_gt_i16_sdwa s[6:7], v5, s4 src0_sel:BYTE_3 src1_sel:DWORD
	s_mov_b64 s[4:5], 0
                                        ; implicit-def: $sgpr10
	s_and_saveexec_b64 s[8:9], s[6:7]
	s_xor_b64 s[6:7], exec, s[8:9]
	s_cbranch_execnz .LBB45_2557
; %bb.509:
	s_or_saveexec_b64 s[6:7], s[6:7]
	v_mov_b32_e32 v3, s10
	s_xor_b64 exec, exec, s[6:7]
	s_cbranch_execnz .LBB45_2560
.LBB45_510:
	s_or_b64 exec, exec, s[6:7]
	s_and_saveexec_b64 s[6:7], s[4:5]
	s_cbranch_execz .LBB45_512
.LBB45_511:
	v_bfe_u32 v3, v5, 24, 3
	v_ffbh_u32_e32 v8, v3
	v_min_u32_e32 v8, 32, v8
	v_lshrrev_b32_e32 v6, 27, v5
	v_subrev_u32_e32 v9, 28, v8
	v_and_b32_e32 v4, 0x80000000, v5
	v_and_b32_e32 v6, 15, v6
	v_bfe_u32 v7, v5, 27, 4
	v_lshlrev_b32_sdwa v5, v9, v5 dst_sel:DWORD dst_unused:UNUSED_PAD src0_sel:DWORD src1_sel:BYTE_3
	v_sub_u32_e32 v8, 29, v8
	v_and_b32_e32 v5, 7, v5
	v_cmp_eq_u16_e32 vcc, 0, v6
	v_cndmask_b32_e32 v3, v3, v5, vcc
	v_cndmask_b32_e32 v5, v7, v8, vcc
	v_mov_b32_e32 v6, 0x3b800000
	v_lshlrev_b32_e32 v3, 20, v3
	v_lshl_add_u32 v5, v5, 23, v6
	v_or3_b32 v3, v4, v5, v3
.LBB45_512:
	s_or_b64 exec, exec, s[6:7]
	s_nop 0
	v_mfma_f32_16x16x4f32 a[0:3], v2, v3, a[0:3]
	s_movk_i32 s4, 0x7f
                                        ; implicit-def: $sgpr10
	s_nop 7
	s_nop 1
	flat_store_dwordx4 v[18:19], a[0:3] offset:144
	flat_load_dwordx4 v[20:23], v[0:1] offset:8
	s_nop 0
	flat_load_dwordx2 v[18:19], v[0:1] offset:24
	s_waitcnt vmcnt(0) lgkmcnt(0)
	flat_load_dwordx4 v[14:17], v[20:21] offset:32
	flat_load_dwordx4 v[6:9], v[20:21] offset:48
	;; [unrolled: 1-line block ×4, first 2 shown]
	s_waitcnt vmcnt(0) lgkmcnt(0)
	v_cmp_gt_i16_sdwa s[6:7], v14, s4 src0_sel:BYTE_0 src1_sel:DWORD
	s_mov_b64 s[4:5], 0
	s_and_saveexec_b64 s[8:9], s[6:7]
	s_xor_b64 s[6:7], exec, s[8:9]
	s_cbranch_execnz .LBB45_2561
; %bb.513:
	s_or_saveexec_b64 s[6:7], s[6:7]
	v_mov_b32_e32 v20, s10
	s_xor_b64 exec, exec, s[6:7]
	s_cbranch_execnz .LBB45_2564
.LBB45_514:
	s_or_b64 exec, exec, s[6:7]
	s_and_saveexec_b64 s[6:7], s[4:5]
	s_cbranch_execz .LBB45_516
.LBB45_515:
	v_and_b32_e32 v20, 7, v14
	v_ffbh_u32_e32 v22, v20
	v_min_u32_e32 v22, 32, v22
	v_lshrrev_b16_e32 v21, 3, v14
	v_subrev_u32_e32 v23, 28, v22
	v_and_b32_e32 v21, 15, v21
	v_lshlrev_b32_e32 v23, v23, v14
	v_sub_u32_e32 v22, 29, v22
	v_and_b32_e32 v23, 7, v23
	v_cmp_eq_u16_e32 vcc, 0, v21
	v_cndmask_b32_e32 v20, v20, v23, vcc
	v_cndmask_b32_e32 v21, v21, v22, vcc
	v_lshlrev_b32_e32 v22, 24, v14
	v_mov_b32_e32 v23, 0x3b800000
	v_lshlrev_b32_e32 v20, 20, v20
	v_and_b32_e32 v22, 0x80000000, v22
	v_lshl_add_u32 v21, v21, 23, v23
	v_or3_b32 v20, v22, v21, v20
.LBB45_516:
	s_or_b64 exec, exec, s[6:7]
	s_movk_i32 s4, 0x7f
	v_cmp_gt_i16_sdwa s[6:7], v10, s4 src0_sel:BYTE_0 src1_sel:DWORD
	s_mov_b64 s[4:5], 0
                                        ; implicit-def: $sgpr10
	s_and_saveexec_b64 s[8:9], s[6:7]
	s_xor_b64 s[6:7], exec, s[8:9]
	s_cbranch_execnz .LBB45_2565
; %bb.517:
	s_or_saveexec_b64 s[6:7], s[6:7]
	v_mov_b32_e32 v21, s10
	s_xor_b64 exec, exec, s[6:7]
	s_cbranch_execnz .LBB45_2568
.LBB45_518:
	s_or_b64 exec, exec, s[6:7]
	s_and_saveexec_b64 s[6:7], s[4:5]
	s_cbranch_execz .LBB45_520
.LBB45_519:
	v_and_b32_e32 v21, 7, v10
	v_ffbh_u32_e32 v23, v21
	v_min_u32_e32 v23, 32, v23
	v_lshrrev_b16_e32 v22, 3, v10
	v_subrev_u32_e32 v24, 28, v23
	v_and_b32_e32 v22, 15, v22
	v_lshlrev_b32_e32 v24, v24, v10
	v_sub_u32_e32 v23, 29, v23
	v_and_b32_e32 v24, 7, v24
	v_cmp_eq_u16_e32 vcc, 0, v22
	v_cndmask_b32_e32 v21, v21, v24, vcc
	v_cndmask_b32_e32 v22, v22, v23, vcc
	v_lshlrev_b32_e32 v23, 24, v10
	v_mov_b32_e32 v24, 0x3b800000
	v_lshlrev_b32_e32 v21, 20, v21
	v_and_b32_e32 v23, 0x80000000, v23
	v_lshl_add_u32 v22, v22, 23, v24
	v_or3_b32 v21, v23, v22, v21
.LBB45_520:
	s_or_b64 exec, exec, s[6:7]
	flat_load_dwordx4 a[0:3], v[18:19] offset:160
	s_movk_i32 s4, 0x7f
                                        ; implicit-def: $sgpr10
	s_waitcnt vmcnt(0) lgkmcnt(0)
	v_mfma_f32_16x16x4f32 a[0:3], v20, v21, a[0:3]
	v_lshrrev_b32_e32 v21, 8, v14
	v_cmp_gt_i16_sdwa s[6:7], v21, s4 src0_sel:BYTE_0 src1_sel:DWORD
	s_mov_b64 s[4:5], 0
	s_and_saveexec_b64 s[8:9], s[6:7]
	s_xor_b64 s[6:7], exec, s[8:9]
	s_cbranch_execnz .LBB45_2569
; %bb.521:
	s_or_saveexec_b64 s[6:7], s[6:7]
	v_mov_b32_e32 v20, s10
	s_xor_b64 exec, exec, s[6:7]
	s_cbranch_execnz .LBB45_2572
.LBB45_522:
	s_or_b64 exec, exec, s[6:7]
	s_and_saveexec_b64 s[6:7], s[4:5]
	s_cbranch_execz .LBB45_524
.LBB45_523:
	v_bfe_u32 v20, v14, 8, 3
	v_ffbh_u32_e32 v23, v20
	v_min_u32_e32 v23, 32, v23
	v_lshrrev_b16_e32 v22, 3, v21
	v_subrev_u32_e32 v24, 28, v23
	v_and_b32_e32 v22, 15, v22
	v_lshlrev_b32_e32 v21, v24, v21
	v_sub_u32_e32 v23, 29, v23
	v_and_b32_e32 v21, 7, v21
	v_cmp_eq_u16_e32 vcc, 0, v22
	v_cndmask_b32_e32 v20, v20, v21, vcc
	v_cndmask_b32_e32 v21, v22, v23, vcc
	v_lshlrev_b32_e32 v22, 16, v14
	v_mov_b32_e32 v23, 0x3b800000
	v_lshlrev_b32_e32 v20, 20, v20
	v_and_b32_e32 v22, 0x80000000, v22
	v_lshl_add_u32 v21, v21, 23, v23
	v_or3_b32 v20, v22, v21, v20
.LBB45_524:
	s_or_b64 exec, exec, s[6:7]
	v_lshrrev_b32_e32 v21, 8, v10
	s_movk_i32 s4, 0x7f
	v_cmp_gt_i16_sdwa s[6:7], v21, s4 src0_sel:BYTE_0 src1_sel:DWORD
	s_mov_b64 s[4:5], 0
                                        ; implicit-def: $sgpr10
	s_and_saveexec_b64 s[8:9], s[6:7]
	s_xor_b64 s[6:7], exec, s[8:9]
	s_cbranch_execnz .LBB45_2573
; %bb.525:
	s_or_saveexec_b64 s[6:7], s[6:7]
	v_mov_b32_e32 v22, s10
	s_xor_b64 exec, exec, s[6:7]
	s_cbranch_execnz .LBB45_2576
.LBB45_526:
	s_or_b64 exec, exec, s[6:7]
	s_and_saveexec_b64 s[6:7], s[4:5]
	s_cbranch_execz .LBB45_528
.LBB45_527:
	v_bfe_u32 v22, v10, 8, 3
	v_ffbh_u32_e32 v24, v22
	v_min_u32_e32 v24, 32, v24
	v_lshrrev_b16_e32 v23, 3, v21
	v_subrev_u32_e32 v25, 28, v24
	v_and_b32_e32 v23, 15, v23
	v_lshlrev_b32_e32 v21, v25, v21
	v_sub_u32_e32 v24, 29, v24
	v_and_b32_e32 v21, 7, v21
	v_cmp_eq_u16_e32 vcc, 0, v23
	v_cndmask_b32_e32 v21, v22, v21, vcc
	v_cndmask_b32_e32 v22, v23, v24, vcc
	v_lshlrev_b32_e32 v23, 16, v10
	v_mov_b32_e32 v24, 0x3b800000
	v_lshlrev_b32_e32 v21, 20, v21
	v_and_b32_e32 v23, 0x80000000, v23
	v_lshl_add_u32 v22, v22, 23, v24
	v_or3_b32 v22, v23, v22, v21
.LBB45_528:
	s_or_b64 exec, exec, s[6:7]
	s_nop 0
	v_mfma_f32_16x16x4f32 a[0:3], v20, v22, a[0:3]
	s_movk_i32 s4, 0xff
	v_and_b32_sdwa v21, v14, s4 dst_sel:DWORD dst_unused:UNUSED_PAD src0_sel:WORD_1 src1_sel:DWORD
	s_movk_i32 s4, 0x7f
	v_cmp_lt_i16_e32 vcc, s4, v21
	s_mov_b64 s[4:5], 0
                                        ; implicit-def: $sgpr10
	s_and_saveexec_b64 s[6:7], vcc
	s_xor_b64 s[6:7], exec, s[6:7]
	s_cbranch_execnz .LBB45_2577
; %bb.529:
	s_or_saveexec_b64 s[6:7], s[6:7]
	v_mov_b32_e32 v20, s10
	s_xor_b64 exec, exec, s[6:7]
	s_cbranch_execnz .LBB45_2580
.LBB45_530:
	s_or_b64 exec, exec, s[6:7]
	s_and_saveexec_b64 s[6:7], s[4:5]
	s_cbranch_execz .LBB45_532
.LBB45_531:
	v_bfe_u32 v20, v14, 16, 3
	v_ffbh_u32_e32 v23, v20
	v_min_u32_e32 v23, 32, v23
	v_lshrrev_b32_e32 v21, 19, v14
	v_subrev_u32_e32 v24, 28, v23
	v_and_b32_e32 v21, 15, v21
	v_lshlrev_b32_sdwa v24, v24, v14 dst_sel:DWORD dst_unused:UNUSED_PAD src0_sel:DWORD src1_sel:WORD_1
	v_bfe_u32 v22, v14, 19, 4
	v_sub_u32_e32 v23, 29, v23
	v_and_b32_e32 v24, 7, v24
	v_cmp_eq_u16_e32 vcc, 0, v21
	v_cndmask_b32_e32 v20, v20, v24, vcc
	v_cndmask_b32_e32 v21, v22, v23, vcc
	v_lshlrev_b32_e32 v22, 8, v14
	v_mov_b32_e32 v23, 0x3b800000
	v_lshlrev_b32_e32 v20, 20, v20
	v_and_b32_e32 v22, 0x80000000, v22
	v_lshl_add_u32 v21, v21, 23, v23
	v_or3_b32 v20, v22, v21, v20
.LBB45_532:
	s_or_b64 exec, exec, s[6:7]
	s_movk_i32 s4, 0xff
	v_and_b32_sdwa v21, v10, s4 dst_sel:DWORD dst_unused:UNUSED_PAD src0_sel:WORD_1 src1_sel:DWORD
	s_movk_i32 s4, 0x7f
	v_cmp_lt_i16_e32 vcc, s4, v21
	s_mov_b64 s[4:5], 0
                                        ; implicit-def: $sgpr10
	s_and_saveexec_b64 s[6:7], vcc
	s_xor_b64 s[6:7], exec, s[6:7]
	s_cbranch_execnz .LBB45_2581
; %bb.533:
	s_or_saveexec_b64 s[6:7], s[6:7]
	v_mov_b32_e32 v22, s10
	s_xor_b64 exec, exec, s[6:7]
	s_cbranch_execnz .LBB45_2584
.LBB45_534:
	s_or_b64 exec, exec, s[6:7]
	s_and_saveexec_b64 s[6:7], s[4:5]
	s_cbranch_execz .LBB45_536
.LBB45_535:
	v_bfe_u32 v21, v10, 16, 3
	v_ffbh_u32_e32 v24, v21
	v_min_u32_e32 v24, 32, v24
	v_lshrrev_b32_e32 v22, 19, v10
	v_subrev_u32_e32 v25, 28, v24
	v_and_b32_e32 v22, 15, v22
	v_lshlrev_b32_sdwa v25, v25, v10 dst_sel:DWORD dst_unused:UNUSED_PAD src0_sel:DWORD src1_sel:WORD_1
	v_bfe_u32 v23, v10, 19, 4
	v_sub_u32_e32 v24, 29, v24
	v_and_b32_e32 v25, 7, v25
	v_cmp_eq_u16_e32 vcc, 0, v22
	v_cndmask_b32_e32 v21, v21, v25, vcc
	v_cndmask_b32_e32 v22, v23, v24, vcc
	v_lshlrev_b32_e32 v23, 8, v10
	v_mov_b32_e32 v24, 0x3b800000
	v_lshlrev_b32_e32 v21, 20, v21
	v_and_b32_e32 v23, 0x80000000, v23
	v_lshl_add_u32 v22, v22, 23, v24
	v_or3_b32 v22, v23, v22, v21
.LBB45_536:
	s_or_b64 exec, exec, s[6:7]
	s_nop 0
	v_mfma_f32_16x16x4f32 a[0:3], v20, v22, a[0:3]
	s_movk_i32 s4, 0x7f
	v_cmp_gt_i16_sdwa s[6:7], v14, s4 src0_sel:BYTE_3 src1_sel:DWORD
	s_mov_b64 s[4:5], 0
                                        ; implicit-def: $sgpr10
	s_and_saveexec_b64 s[8:9], s[6:7]
	s_xor_b64 s[6:7], exec, s[8:9]
	s_cbranch_execnz .LBB45_2585
; %bb.537:
	s_or_saveexec_b64 s[6:7], s[6:7]
	v_mov_b32_e32 v20, s10
	s_xor_b64 exec, exec, s[6:7]
	s_cbranch_execnz .LBB45_2588
.LBB45_538:
	s_or_b64 exec, exec, s[6:7]
	s_and_saveexec_b64 s[6:7], s[4:5]
	s_cbranch_execz .LBB45_540
.LBB45_539:
	v_bfe_u32 v20, v14, 24, 3
	v_ffbh_u32_e32 v24, v20
	v_min_u32_e32 v24, 32, v24
	v_lshrrev_b32_e32 v22, 27, v14
	v_subrev_u32_e32 v25, 28, v24
	v_and_b32_e32 v21, 0x80000000, v14
	v_and_b32_e32 v22, 15, v22
	v_bfe_u32 v23, v14, 27, 4
	v_lshlrev_b32_sdwa v14, v25, v14 dst_sel:DWORD dst_unused:UNUSED_PAD src0_sel:DWORD src1_sel:BYTE_3
	v_sub_u32_e32 v24, 29, v24
	v_and_b32_e32 v14, 7, v14
	v_cmp_eq_u16_e32 vcc, 0, v22
	v_cndmask_b32_e32 v14, v20, v14, vcc
	v_cndmask_b32_e32 v20, v23, v24, vcc
	v_mov_b32_e32 v22, 0x3b800000
	v_lshlrev_b32_e32 v14, 20, v14
	v_lshl_add_u32 v20, v20, 23, v22
	v_or3_b32 v20, v21, v20, v14
.LBB45_540:
	s_or_b64 exec, exec, s[6:7]
	s_movk_i32 s4, 0x7f
	v_cmp_gt_i16_sdwa s[6:7], v10, s4 src0_sel:BYTE_3 src1_sel:DWORD
	s_mov_b64 s[4:5], 0
                                        ; implicit-def: $sgpr10
	s_and_saveexec_b64 s[8:9], s[6:7]
	s_xor_b64 s[6:7], exec, s[8:9]
	s_cbranch_execnz .LBB45_2589
; %bb.541:
	s_or_saveexec_b64 s[6:7], s[6:7]
	v_mov_b32_e32 v14, s10
	s_xor_b64 exec, exec, s[6:7]
	s_cbranch_execnz .LBB45_2592
.LBB45_542:
	s_or_b64 exec, exec, s[6:7]
	s_and_saveexec_b64 s[6:7], s[4:5]
	s_cbranch_execz .LBB45_544
.LBB45_543:
	v_bfe_u32 v14, v10, 24, 3
	v_ffbh_u32_e32 v24, v14
	v_min_u32_e32 v24, 32, v24
	v_lshrrev_b32_e32 v22, 27, v10
	v_subrev_u32_e32 v25, 28, v24
	v_and_b32_e32 v21, 0x80000000, v10
	v_and_b32_e32 v22, 15, v22
	v_bfe_u32 v23, v10, 27, 4
	v_lshlrev_b32_sdwa v10, v25, v10 dst_sel:DWORD dst_unused:UNUSED_PAD src0_sel:DWORD src1_sel:BYTE_3
	v_sub_u32_e32 v24, 29, v24
	v_and_b32_e32 v10, 7, v10
	v_cmp_eq_u16_e32 vcc, 0, v22
	v_cndmask_b32_e32 v10, v14, v10, vcc
	v_cndmask_b32_e32 v14, v23, v24, vcc
	v_mov_b32_e32 v22, 0x3b800000
	v_lshlrev_b32_e32 v10, 20, v10
	v_lshl_add_u32 v14, v14, 23, v22
	v_or3_b32 v14, v21, v14, v10
.LBB45_544:
	s_or_b64 exec, exec, s[6:7]
	s_nop 0
	v_mfma_f32_16x16x4f32 a[0:3], v20, v14, a[0:3]
	s_movk_i32 s4, 0x7f
	v_cmp_gt_i16_sdwa s[6:7], v15, s4 src0_sel:BYTE_0 src1_sel:DWORD
	s_mov_b64 s[4:5], 0
                                        ; implicit-def: $sgpr10
	s_and_saveexec_b64 s[8:9], s[6:7]
	s_xor_b64 s[6:7], exec, s[8:9]
	s_cbranch_execnz .LBB45_2593
; %bb.545:
	s_or_saveexec_b64 s[6:7], s[6:7]
	v_mov_b32_e32 v10, s10
	s_xor_b64 exec, exec, s[6:7]
	s_cbranch_execnz .LBB45_2596
.LBB45_546:
	s_or_b64 exec, exec, s[6:7]
	s_and_saveexec_b64 s[6:7], s[4:5]
	s_cbranch_execz .LBB45_548
.LBB45_547:
	v_and_b32_e32 v10, 7, v15
	v_ffbh_u32_e32 v20, v10
	v_min_u32_e32 v20, 32, v20
	v_lshrrev_b16_e32 v14, 3, v15
	v_subrev_u32_e32 v21, 28, v20
	v_and_b32_e32 v14, 15, v14
	v_lshlrev_b32_e32 v21, v21, v15
	v_sub_u32_e32 v20, 29, v20
	v_and_b32_e32 v21, 7, v21
	v_cmp_eq_u16_e32 vcc, 0, v14
	v_cndmask_b32_e32 v10, v10, v21, vcc
	v_cndmask_b32_e32 v14, v14, v20, vcc
	v_lshlrev_b32_e32 v20, 24, v15
	v_mov_b32_e32 v21, 0x3b800000
	v_lshlrev_b32_e32 v10, 20, v10
	v_and_b32_e32 v20, 0x80000000, v20
	v_lshl_add_u32 v14, v14, 23, v21
	v_or3_b32 v10, v20, v14, v10
.LBB45_548:
	s_or_b64 exec, exec, s[6:7]
	s_movk_i32 s4, 0x7f
	v_cmp_gt_i16_sdwa s[6:7], v11, s4 src0_sel:BYTE_0 src1_sel:DWORD
	s_mov_b64 s[4:5], 0
                                        ; implicit-def: $sgpr10
	s_and_saveexec_b64 s[8:9], s[6:7]
	s_xor_b64 s[6:7], exec, s[8:9]
	s_cbranch_execnz .LBB45_2597
; %bb.549:
	s_or_saveexec_b64 s[6:7], s[6:7]
	v_mov_b32_e32 v14, s10
	s_xor_b64 exec, exec, s[6:7]
	s_cbranch_execnz .LBB45_2600
.LBB45_550:
	s_or_b64 exec, exec, s[6:7]
	s_and_saveexec_b64 s[6:7], s[4:5]
	s_cbranch_execz .LBB45_552
.LBB45_551:
	v_and_b32_e32 v14, 7, v11
	v_ffbh_u32_e32 v21, v14
	v_min_u32_e32 v21, 32, v21
	v_lshrrev_b16_e32 v20, 3, v11
	v_subrev_u32_e32 v22, 28, v21
	v_and_b32_e32 v20, 15, v20
	v_lshlrev_b32_e32 v22, v22, v11
	v_sub_u32_e32 v21, 29, v21
	v_and_b32_e32 v22, 7, v22
	v_cmp_eq_u16_e32 vcc, 0, v20
	v_cndmask_b32_e32 v14, v14, v22, vcc
	v_cndmask_b32_e32 v20, v20, v21, vcc
	v_lshlrev_b32_e32 v21, 24, v11
	v_mov_b32_e32 v22, 0x3b800000
	v_lshlrev_b32_e32 v14, 20, v14
	v_and_b32_e32 v21, 0x80000000, v21
	v_lshl_add_u32 v20, v20, 23, v22
	v_or3_b32 v14, v21, v20, v14
.LBB45_552:
	s_or_b64 exec, exec, s[6:7]
	s_nop 0
	v_mfma_f32_16x16x4f32 a[0:3], v10, v14, a[0:3]
	v_lshrrev_b32_e32 v14, 8, v15
	s_movk_i32 s4, 0x7f
	v_cmp_gt_i16_sdwa s[6:7], v14, s4 src0_sel:BYTE_0 src1_sel:DWORD
	s_mov_b64 s[4:5], 0
                                        ; implicit-def: $sgpr10
	s_and_saveexec_b64 s[8:9], s[6:7]
	s_xor_b64 s[6:7], exec, s[8:9]
	s_cbranch_execnz .LBB45_2601
; %bb.553:
	s_or_saveexec_b64 s[6:7], s[6:7]
	v_mov_b32_e32 v10, s10
	s_xor_b64 exec, exec, s[6:7]
	s_cbranch_execnz .LBB45_2604
.LBB45_554:
	s_or_b64 exec, exec, s[6:7]
	s_and_saveexec_b64 s[6:7], s[4:5]
	s_cbranch_execz .LBB45_556
.LBB45_555:
	v_bfe_u32 v10, v15, 8, 3
	v_ffbh_u32_e32 v21, v10
	v_min_u32_e32 v21, 32, v21
	v_lshrrev_b16_e32 v20, 3, v14
	v_subrev_u32_e32 v22, 28, v21
	v_and_b32_e32 v20, 15, v20
	v_lshlrev_b32_e32 v14, v22, v14
	v_sub_u32_e32 v21, 29, v21
	v_and_b32_e32 v14, 7, v14
	v_cmp_eq_u16_e32 vcc, 0, v20
	v_cndmask_b32_e32 v10, v10, v14, vcc
	v_cndmask_b32_e32 v14, v20, v21, vcc
	v_lshlrev_b32_e32 v20, 16, v15
	v_mov_b32_e32 v21, 0x3b800000
	v_lshlrev_b32_e32 v10, 20, v10
	v_and_b32_e32 v20, 0x80000000, v20
	v_lshl_add_u32 v14, v14, 23, v21
	v_or3_b32 v10, v20, v14, v10
.LBB45_556:
	s_or_b64 exec, exec, s[6:7]
	v_lshrrev_b32_e32 v14, 8, v11
	s_movk_i32 s4, 0x7f
	v_cmp_gt_i16_sdwa s[6:7], v14, s4 src0_sel:BYTE_0 src1_sel:DWORD
	s_mov_b64 s[4:5], 0
                                        ; implicit-def: $sgpr10
	s_and_saveexec_b64 s[8:9], s[6:7]
	s_xor_b64 s[6:7], exec, s[8:9]
	s_cbranch_execnz .LBB45_2605
; %bb.557:
	s_or_saveexec_b64 s[6:7], s[6:7]
	v_mov_b32_e32 v20, s10
	s_xor_b64 exec, exec, s[6:7]
	s_cbranch_execnz .LBB45_2608
.LBB45_558:
	s_or_b64 exec, exec, s[6:7]
	s_and_saveexec_b64 s[6:7], s[4:5]
	s_cbranch_execz .LBB45_560
.LBB45_559:
	v_bfe_u32 v20, v11, 8, 3
	v_ffbh_u32_e32 v22, v20
	v_min_u32_e32 v22, 32, v22
	v_lshrrev_b16_e32 v21, 3, v14
	v_subrev_u32_e32 v23, 28, v22
	v_and_b32_e32 v21, 15, v21
	v_lshlrev_b32_e32 v14, v23, v14
	v_sub_u32_e32 v22, 29, v22
	v_and_b32_e32 v14, 7, v14
	v_cmp_eq_u16_e32 vcc, 0, v21
	v_cndmask_b32_e32 v14, v20, v14, vcc
	v_cndmask_b32_e32 v20, v21, v22, vcc
	v_lshlrev_b32_e32 v21, 16, v11
	v_mov_b32_e32 v22, 0x3b800000
	v_lshlrev_b32_e32 v14, 20, v14
	v_and_b32_e32 v21, 0x80000000, v21
	v_lshl_add_u32 v20, v20, 23, v22
	v_or3_b32 v20, v21, v20, v14
.LBB45_560:
	s_or_b64 exec, exec, s[6:7]
	s_nop 0
	v_mfma_f32_16x16x4f32 a[0:3], v10, v20, a[0:3]
	s_movk_i32 s4, 0xff
	v_and_b32_sdwa v14, v15, s4 dst_sel:DWORD dst_unused:UNUSED_PAD src0_sel:WORD_1 src1_sel:DWORD
	s_movk_i32 s4, 0x7f
	v_cmp_lt_i16_e32 vcc, s4, v14
	s_mov_b64 s[4:5], 0
                                        ; implicit-def: $sgpr10
	s_and_saveexec_b64 s[6:7], vcc
	s_xor_b64 s[6:7], exec, s[6:7]
	s_cbranch_execnz .LBB45_2609
; %bb.561:
	s_or_saveexec_b64 s[6:7], s[6:7]
	v_mov_b32_e32 v10, s10
	s_xor_b64 exec, exec, s[6:7]
	s_cbranch_execnz .LBB45_2612
.LBB45_562:
	s_or_b64 exec, exec, s[6:7]
	s_and_saveexec_b64 s[6:7], s[4:5]
	s_cbranch_execz .LBB45_564
.LBB45_563:
	v_bfe_u32 v10, v15, 16, 3
	v_ffbh_u32_e32 v21, v10
	v_min_u32_e32 v21, 32, v21
	v_lshrrev_b32_e32 v14, 19, v15
	v_subrev_u32_e32 v22, 28, v21
	v_and_b32_e32 v14, 15, v14
	v_lshlrev_b32_sdwa v22, v22, v15 dst_sel:DWORD dst_unused:UNUSED_PAD src0_sel:DWORD src1_sel:WORD_1
	v_bfe_u32 v20, v15, 19, 4
	v_sub_u32_e32 v21, 29, v21
	v_and_b32_e32 v22, 7, v22
	v_cmp_eq_u16_e32 vcc, 0, v14
	v_cndmask_b32_e32 v10, v10, v22, vcc
	v_cndmask_b32_e32 v14, v20, v21, vcc
	v_lshlrev_b32_e32 v20, 8, v15
	v_mov_b32_e32 v21, 0x3b800000
	v_lshlrev_b32_e32 v10, 20, v10
	v_and_b32_e32 v20, 0x80000000, v20
	v_lshl_add_u32 v14, v14, 23, v21
	v_or3_b32 v10, v20, v14, v10
.LBB45_564:
	s_or_b64 exec, exec, s[6:7]
	s_movk_i32 s4, 0xff
	v_and_b32_sdwa v14, v11, s4 dst_sel:DWORD dst_unused:UNUSED_PAD src0_sel:WORD_1 src1_sel:DWORD
	s_movk_i32 s4, 0x7f
	v_cmp_lt_i16_e32 vcc, s4, v14
	s_mov_b64 s[4:5], 0
                                        ; implicit-def: $sgpr10
	s_and_saveexec_b64 s[6:7], vcc
	s_xor_b64 s[6:7], exec, s[6:7]
	s_cbranch_execnz .LBB45_2613
; %bb.565:
	s_or_saveexec_b64 s[6:7], s[6:7]
	v_mov_b32_e32 v20, s10
	s_xor_b64 exec, exec, s[6:7]
	s_cbranch_execnz .LBB45_2616
.LBB45_566:
	s_or_b64 exec, exec, s[6:7]
	s_and_saveexec_b64 s[6:7], s[4:5]
	s_cbranch_execz .LBB45_568
.LBB45_567:
	v_bfe_u32 v14, v11, 16, 3
	v_ffbh_u32_e32 v22, v14
	v_min_u32_e32 v22, 32, v22
	v_lshrrev_b32_e32 v20, 19, v11
	v_subrev_u32_e32 v23, 28, v22
	v_and_b32_e32 v20, 15, v20
	v_lshlrev_b32_sdwa v23, v23, v11 dst_sel:DWORD dst_unused:UNUSED_PAD src0_sel:DWORD src1_sel:WORD_1
	v_bfe_u32 v21, v11, 19, 4
	v_sub_u32_e32 v22, 29, v22
	v_and_b32_e32 v23, 7, v23
	v_cmp_eq_u16_e32 vcc, 0, v20
	v_cndmask_b32_e32 v14, v14, v23, vcc
	v_cndmask_b32_e32 v20, v21, v22, vcc
	v_lshlrev_b32_e32 v21, 8, v11
	v_mov_b32_e32 v22, 0x3b800000
	v_lshlrev_b32_e32 v14, 20, v14
	v_and_b32_e32 v21, 0x80000000, v21
	v_lshl_add_u32 v20, v20, 23, v22
	v_or3_b32 v20, v21, v20, v14
.LBB45_568:
	s_or_b64 exec, exec, s[6:7]
	s_nop 0
	v_mfma_f32_16x16x4f32 a[0:3], v10, v20, a[0:3]
	s_movk_i32 s4, 0x7f
	v_cmp_gt_i16_sdwa s[6:7], v15, s4 src0_sel:BYTE_3 src1_sel:DWORD
	s_mov_b64 s[4:5], 0
                                        ; implicit-def: $sgpr10
	s_and_saveexec_b64 s[8:9], s[6:7]
	s_xor_b64 s[6:7], exec, s[8:9]
	s_cbranch_execnz .LBB45_2617
; %bb.569:
	s_or_saveexec_b64 s[6:7], s[6:7]
	v_mov_b32_e32 v10, s10
	s_xor_b64 exec, exec, s[6:7]
	s_cbranch_execnz .LBB45_2620
.LBB45_570:
	s_or_b64 exec, exec, s[6:7]
	s_and_saveexec_b64 s[6:7], s[4:5]
	s_cbranch_execz .LBB45_572
.LBB45_571:
	v_bfe_u32 v10, v15, 24, 3
	v_ffbh_u32_e32 v22, v10
	v_min_u32_e32 v22, 32, v22
	v_lshrrev_b32_e32 v20, 27, v15
	v_subrev_u32_e32 v23, 28, v22
	v_and_b32_e32 v14, 0x80000000, v15
	v_and_b32_e32 v20, 15, v20
	v_bfe_u32 v21, v15, 27, 4
	v_lshlrev_b32_sdwa v15, v23, v15 dst_sel:DWORD dst_unused:UNUSED_PAD src0_sel:DWORD src1_sel:BYTE_3
	v_sub_u32_e32 v22, 29, v22
	v_and_b32_e32 v15, 7, v15
	v_cmp_eq_u16_e32 vcc, 0, v20
	v_cndmask_b32_e32 v10, v10, v15, vcc
	v_cndmask_b32_e32 v15, v21, v22, vcc
	v_mov_b32_e32 v20, 0x3b800000
	v_lshlrev_b32_e32 v10, 20, v10
	v_lshl_add_u32 v15, v15, 23, v20
	v_or3_b32 v10, v14, v15, v10
.LBB45_572:
	s_or_b64 exec, exec, s[6:7]
	s_movk_i32 s4, 0x7f
	v_cmp_gt_i16_sdwa s[6:7], v11, s4 src0_sel:BYTE_3 src1_sel:DWORD
	s_mov_b64 s[4:5], 0
                                        ; implicit-def: $sgpr10
	s_and_saveexec_b64 s[8:9], s[6:7]
	s_xor_b64 s[6:7], exec, s[8:9]
	s_cbranch_execnz .LBB45_2621
; %bb.573:
	s_or_saveexec_b64 s[6:7], s[6:7]
	v_mov_b32_e32 v14, s10
	s_xor_b64 exec, exec, s[6:7]
	s_cbranch_execnz .LBB45_2624
.LBB45_574:
	s_or_b64 exec, exec, s[6:7]
	s_and_saveexec_b64 s[6:7], s[4:5]
	s_cbranch_execz .LBB45_576
.LBB45_575:
	v_bfe_u32 v14, v11, 24, 3
	v_ffbh_u32_e32 v22, v14
	v_min_u32_e32 v22, 32, v22
	v_lshrrev_b32_e32 v20, 27, v11
	v_subrev_u32_e32 v23, 28, v22
	v_and_b32_e32 v15, 0x80000000, v11
	v_and_b32_e32 v20, 15, v20
	v_bfe_u32 v21, v11, 27, 4
	v_lshlrev_b32_sdwa v11, v23, v11 dst_sel:DWORD dst_unused:UNUSED_PAD src0_sel:DWORD src1_sel:BYTE_3
	v_sub_u32_e32 v22, 29, v22
	v_and_b32_e32 v11, 7, v11
	v_cmp_eq_u16_e32 vcc, 0, v20
	v_cndmask_b32_e32 v11, v14, v11, vcc
	v_cndmask_b32_e32 v14, v21, v22, vcc
	v_mov_b32_e32 v20, 0x3b800000
	v_lshlrev_b32_e32 v11, 20, v11
	v_lshl_add_u32 v14, v14, 23, v20
	v_or3_b32 v14, v15, v14, v11
.LBB45_576:
	s_or_b64 exec, exec, s[6:7]
	s_nop 0
	v_mfma_f32_16x16x4f32 a[0:3], v10, v14, a[0:3]
	s_movk_i32 s4, 0x7f
	v_cmp_gt_i16_sdwa s[6:7], v16, s4 src0_sel:BYTE_0 src1_sel:DWORD
	s_mov_b64 s[4:5], 0
                                        ; implicit-def: $sgpr10
	s_and_saveexec_b64 s[8:9], s[6:7]
	s_xor_b64 s[6:7], exec, s[8:9]
	s_cbranch_execnz .LBB45_2625
; %bb.577:
	s_or_saveexec_b64 s[6:7], s[6:7]
	v_mov_b32_e32 v10, s10
	s_xor_b64 exec, exec, s[6:7]
	s_cbranch_execnz .LBB45_2628
.LBB45_578:
	s_or_b64 exec, exec, s[6:7]
	s_and_saveexec_b64 s[6:7], s[4:5]
	s_cbranch_execz .LBB45_580
.LBB45_579:
	v_and_b32_e32 v10, 7, v16
	v_ffbh_u32_e32 v14, v10
	v_min_u32_e32 v14, 32, v14
	v_lshrrev_b16_e32 v11, 3, v16
	v_subrev_u32_e32 v15, 28, v14
	v_and_b32_e32 v11, 15, v11
	v_lshlrev_b32_e32 v15, v15, v16
	v_sub_u32_e32 v14, 29, v14
	v_and_b32_e32 v15, 7, v15
	v_cmp_eq_u16_e32 vcc, 0, v11
	v_cndmask_b32_e32 v10, v10, v15, vcc
	v_cndmask_b32_e32 v11, v11, v14, vcc
	v_lshlrev_b32_e32 v14, 24, v16
	v_mov_b32_e32 v15, 0x3b800000
	v_lshlrev_b32_e32 v10, 20, v10
	v_and_b32_e32 v14, 0x80000000, v14
	v_lshl_add_u32 v11, v11, 23, v15
	v_or3_b32 v10, v14, v11, v10
.LBB45_580:
	s_or_b64 exec, exec, s[6:7]
	s_movk_i32 s4, 0x7f
	v_cmp_gt_i16_sdwa s[6:7], v12, s4 src0_sel:BYTE_0 src1_sel:DWORD
	s_mov_b64 s[4:5], 0
                                        ; implicit-def: $sgpr10
	s_and_saveexec_b64 s[8:9], s[6:7]
	s_xor_b64 s[6:7], exec, s[8:9]
	s_cbranch_execnz .LBB45_2629
; %bb.581:
	s_or_saveexec_b64 s[6:7], s[6:7]
	v_mov_b32_e32 v11, s10
	s_xor_b64 exec, exec, s[6:7]
	s_cbranch_execnz .LBB45_2632
.LBB45_582:
	s_or_b64 exec, exec, s[6:7]
	s_and_saveexec_b64 s[6:7], s[4:5]
	s_cbranch_execz .LBB45_584
.LBB45_583:
	v_and_b32_e32 v11, 7, v12
	v_ffbh_u32_e32 v15, v11
	v_min_u32_e32 v15, 32, v15
	v_lshrrev_b16_e32 v14, 3, v12
	v_subrev_u32_e32 v20, 28, v15
	v_and_b32_e32 v14, 15, v14
	v_lshlrev_b32_e32 v20, v20, v12
	v_sub_u32_e32 v15, 29, v15
	v_and_b32_e32 v20, 7, v20
	v_cmp_eq_u16_e32 vcc, 0, v14
	v_cndmask_b32_e32 v11, v11, v20, vcc
	v_cndmask_b32_e32 v14, v14, v15, vcc
	v_lshlrev_b32_e32 v15, 24, v12
	v_mov_b32_e32 v20, 0x3b800000
	v_lshlrev_b32_e32 v11, 20, v11
	v_and_b32_e32 v15, 0x80000000, v15
	v_lshl_add_u32 v14, v14, 23, v20
	v_or3_b32 v11, v15, v14, v11
.LBB45_584:
	s_or_b64 exec, exec, s[6:7]
	s_nop 0
	v_mfma_f32_16x16x4f32 a[0:3], v10, v11, a[0:3]
	v_lshrrev_b32_e32 v11, 8, v16
	s_movk_i32 s4, 0x7f
	v_cmp_gt_i16_sdwa s[6:7], v11, s4 src0_sel:BYTE_0 src1_sel:DWORD
	s_mov_b64 s[4:5], 0
                                        ; implicit-def: $sgpr10
	s_and_saveexec_b64 s[8:9], s[6:7]
	s_xor_b64 s[6:7], exec, s[8:9]
	s_cbranch_execnz .LBB45_2633
; %bb.585:
	s_or_saveexec_b64 s[6:7], s[6:7]
	v_mov_b32_e32 v10, s10
	s_xor_b64 exec, exec, s[6:7]
	s_cbranch_execnz .LBB45_2636
.LBB45_586:
	s_or_b64 exec, exec, s[6:7]
	s_and_saveexec_b64 s[6:7], s[4:5]
	s_cbranch_execz .LBB45_588
.LBB45_587:
	v_bfe_u32 v10, v16, 8, 3
	v_ffbh_u32_e32 v15, v10
	v_min_u32_e32 v15, 32, v15
	v_lshrrev_b16_e32 v14, 3, v11
	v_subrev_u32_e32 v20, 28, v15
	v_and_b32_e32 v14, 15, v14
	v_lshlrev_b32_e32 v11, v20, v11
	v_sub_u32_e32 v15, 29, v15
	v_and_b32_e32 v11, 7, v11
	v_cmp_eq_u16_e32 vcc, 0, v14
	v_cndmask_b32_e32 v10, v10, v11, vcc
	v_cndmask_b32_e32 v11, v14, v15, vcc
	v_lshlrev_b32_e32 v14, 16, v16
	v_mov_b32_e32 v15, 0x3b800000
	v_lshlrev_b32_e32 v10, 20, v10
	v_and_b32_e32 v14, 0x80000000, v14
	v_lshl_add_u32 v11, v11, 23, v15
	v_or3_b32 v10, v14, v11, v10
.LBB45_588:
	s_or_b64 exec, exec, s[6:7]
	v_lshrrev_b32_e32 v11, 8, v12
	s_movk_i32 s4, 0x7f
	v_cmp_gt_i16_sdwa s[6:7], v11, s4 src0_sel:BYTE_0 src1_sel:DWORD
	s_mov_b64 s[4:5], 0
                                        ; implicit-def: $sgpr10
	s_and_saveexec_b64 s[8:9], s[6:7]
	s_xor_b64 s[6:7], exec, s[8:9]
	s_cbranch_execnz .LBB45_2637
; %bb.589:
	s_or_saveexec_b64 s[6:7], s[6:7]
	v_mov_b32_e32 v14, s10
	s_xor_b64 exec, exec, s[6:7]
	s_cbranch_execnz .LBB45_2640
.LBB45_590:
	s_or_b64 exec, exec, s[6:7]
	s_and_saveexec_b64 s[6:7], s[4:5]
	s_cbranch_execz .LBB45_592
.LBB45_591:
	v_bfe_u32 v14, v12, 8, 3
	v_ffbh_u32_e32 v20, v14
	v_min_u32_e32 v20, 32, v20
	v_lshrrev_b16_e32 v15, 3, v11
	v_subrev_u32_e32 v21, 28, v20
	v_and_b32_e32 v15, 15, v15
	v_lshlrev_b32_e32 v11, v21, v11
	v_sub_u32_e32 v20, 29, v20
	v_and_b32_e32 v11, 7, v11
	v_cmp_eq_u16_e32 vcc, 0, v15
	v_cndmask_b32_e32 v11, v14, v11, vcc
	v_cndmask_b32_e32 v14, v15, v20, vcc
	v_lshlrev_b32_e32 v15, 16, v12
	v_mov_b32_e32 v20, 0x3b800000
	v_lshlrev_b32_e32 v11, 20, v11
	v_and_b32_e32 v15, 0x80000000, v15
	v_lshl_add_u32 v14, v14, 23, v20
	v_or3_b32 v14, v15, v14, v11
.LBB45_592:
	s_or_b64 exec, exec, s[6:7]
	s_nop 0
	v_mfma_f32_16x16x4f32 a[0:3], v10, v14, a[0:3]
	s_movk_i32 s4, 0xff
	v_and_b32_sdwa v11, v16, s4 dst_sel:DWORD dst_unused:UNUSED_PAD src0_sel:WORD_1 src1_sel:DWORD
	s_movk_i32 s4, 0x7f
	v_cmp_lt_i16_e32 vcc, s4, v11
	s_mov_b64 s[4:5], 0
                                        ; implicit-def: $sgpr10
	s_and_saveexec_b64 s[6:7], vcc
	s_xor_b64 s[6:7], exec, s[6:7]
	s_cbranch_execnz .LBB45_2641
; %bb.593:
	s_or_saveexec_b64 s[6:7], s[6:7]
	v_mov_b32_e32 v10, s10
	s_xor_b64 exec, exec, s[6:7]
	s_cbranch_execnz .LBB45_2644
.LBB45_594:
	s_or_b64 exec, exec, s[6:7]
	s_and_saveexec_b64 s[6:7], s[4:5]
	s_cbranch_execz .LBB45_596
.LBB45_595:
	v_bfe_u32 v10, v16, 16, 3
	v_ffbh_u32_e32 v15, v10
	v_min_u32_e32 v15, 32, v15
	v_lshrrev_b32_e32 v11, 19, v16
	v_subrev_u32_e32 v20, 28, v15
	v_and_b32_e32 v11, 15, v11
	v_lshlrev_b32_sdwa v20, v20, v16 dst_sel:DWORD dst_unused:UNUSED_PAD src0_sel:DWORD src1_sel:WORD_1
	v_bfe_u32 v14, v16, 19, 4
	v_sub_u32_e32 v15, 29, v15
	v_and_b32_e32 v20, 7, v20
	v_cmp_eq_u16_e32 vcc, 0, v11
	v_cndmask_b32_e32 v10, v10, v20, vcc
	v_cndmask_b32_e32 v11, v14, v15, vcc
	v_lshlrev_b32_e32 v14, 8, v16
	v_mov_b32_e32 v15, 0x3b800000
	v_lshlrev_b32_e32 v10, 20, v10
	v_and_b32_e32 v14, 0x80000000, v14
	v_lshl_add_u32 v11, v11, 23, v15
	v_or3_b32 v10, v14, v11, v10
.LBB45_596:
	s_or_b64 exec, exec, s[6:7]
	s_movk_i32 s4, 0xff
	v_and_b32_sdwa v11, v12, s4 dst_sel:DWORD dst_unused:UNUSED_PAD src0_sel:WORD_1 src1_sel:DWORD
	s_movk_i32 s4, 0x7f
	v_cmp_lt_i16_e32 vcc, s4, v11
	s_mov_b64 s[4:5], 0
                                        ; implicit-def: $sgpr10
	s_and_saveexec_b64 s[6:7], vcc
	s_xor_b64 s[6:7], exec, s[6:7]
	s_cbranch_execnz .LBB45_2645
; %bb.597:
	s_or_saveexec_b64 s[6:7], s[6:7]
	v_mov_b32_e32 v14, s10
	s_xor_b64 exec, exec, s[6:7]
	s_cbranch_execnz .LBB45_2648
.LBB45_598:
	s_or_b64 exec, exec, s[6:7]
	s_and_saveexec_b64 s[6:7], s[4:5]
	s_cbranch_execz .LBB45_600
.LBB45_599:
	v_bfe_u32 v11, v12, 16, 3
	v_ffbh_u32_e32 v20, v11
	v_min_u32_e32 v20, 32, v20
	v_lshrrev_b32_e32 v14, 19, v12
	v_subrev_u32_e32 v21, 28, v20
	v_and_b32_e32 v14, 15, v14
	v_lshlrev_b32_sdwa v21, v21, v12 dst_sel:DWORD dst_unused:UNUSED_PAD src0_sel:DWORD src1_sel:WORD_1
	v_bfe_u32 v15, v12, 19, 4
	v_sub_u32_e32 v20, 29, v20
	v_and_b32_e32 v21, 7, v21
	v_cmp_eq_u16_e32 vcc, 0, v14
	v_cndmask_b32_e32 v11, v11, v21, vcc
	v_cndmask_b32_e32 v14, v15, v20, vcc
	v_lshlrev_b32_e32 v15, 8, v12
	v_mov_b32_e32 v20, 0x3b800000
	v_lshlrev_b32_e32 v11, 20, v11
	v_and_b32_e32 v15, 0x80000000, v15
	v_lshl_add_u32 v14, v14, 23, v20
	v_or3_b32 v14, v15, v14, v11
.LBB45_600:
	s_or_b64 exec, exec, s[6:7]
	s_nop 0
	v_mfma_f32_16x16x4f32 a[0:3], v10, v14, a[0:3]
	s_movk_i32 s4, 0x7f
	v_cmp_gt_i16_sdwa s[6:7], v16, s4 src0_sel:BYTE_3 src1_sel:DWORD
	s_mov_b64 s[4:5], 0
                                        ; implicit-def: $sgpr10
	s_and_saveexec_b64 s[8:9], s[6:7]
	s_xor_b64 s[6:7], exec, s[8:9]
	s_cbranch_execnz .LBB45_2649
; %bb.601:
	s_or_saveexec_b64 s[6:7], s[6:7]
	v_mov_b32_e32 v10, s10
	s_xor_b64 exec, exec, s[6:7]
	s_cbranch_execnz .LBB45_2652
.LBB45_602:
	s_or_b64 exec, exec, s[6:7]
	s_and_saveexec_b64 s[6:7], s[4:5]
	s_cbranch_execz .LBB45_604
.LBB45_603:
	v_bfe_u32 v10, v16, 24, 3
	v_ffbh_u32_e32 v20, v10
	v_min_u32_e32 v20, 32, v20
	v_lshrrev_b32_e32 v14, 27, v16
	v_subrev_u32_e32 v21, 28, v20
	v_and_b32_e32 v11, 0x80000000, v16
	v_and_b32_e32 v14, 15, v14
	v_bfe_u32 v15, v16, 27, 4
	v_lshlrev_b32_sdwa v16, v21, v16 dst_sel:DWORD dst_unused:UNUSED_PAD src0_sel:DWORD src1_sel:BYTE_3
	v_sub_u32_e32 v20, 29, v20
	v_and_b32_e32 v16, 7, v16
	v_cmp_eq_u16_e32 vcc, 0, v14
	v_cndmask_b32_e32 v10, v10, v16, vcc
	v_cndmask_b32_e32 v14, v15, v20, vcc
	v_mov_b32_e32 v15, 0x3b800000
	v_lshlrev_b32_e32 v10, 20, v10
	v_lshl_add_u32 v14, v14, 23, v15
	v_or3_b32 v10, v11, v14, v10
.LBB45_604:
	s_or_b64 exec, exec, s[6:7]
	s_movk_i32 s4, 0x7f
	v_cmp_gt_i16_sdwa s[6:7], v12, s4 src0_sel:BYTE_3 src1_sel:DWORD
	s_mov_b64 s[4:5], 0
                                        ; implicit-def: $sgpr10
	s_and_saveexec_b64 s[8:9], s[6:7]
	s_xor_b64 s[6:7], exec, s[8:9]
	s_cbranch_execnz .LBB45_2653
; %bb.605:
	s_or_saveexec_b64 s[6:7], s[6:7]
	v_mov_b32_e32 v11, s10
	s_xor_b64 exec, exec, s[6:7]
	s_cbranch_execnz .LBB45_2656
.LBB45_606:
	s_or_b64 exec, exec, s[6:7]
	s_and_saveexec_b64 s[6:7], s[4:5]
	s_cbranch_execz .LBB45_608
.LBB45_607:
	v_bfe_u32 v11, v12, 24, 3
	v_ffbh_u32_e32 v20, v11
	v_min_u32_e32 v20, 32, v20
	v_lshrrev_b32_e32 v15, 27, v12
	v_subrev_u32_e32 v21, 28, v20
	v_and_b32_e32 v14, 0x80000000, v12
	v_and_b32_e32 v15, 15, v15
	v_bfe_u32 v16, v12, 27, 4
	v_lshlrev_b32_sdwa v12, v21, v12 dst_sel:DWORD dst_unused:UNUSED_PAD src0_sel:DWORD src1_sel:BYTE_3
	v_sub_u32_e32 v20, 29, v20
	v_and_b32_e32 v12, 7, v12
	v_cmp_eq_u16_e32 vcc, 0, v15
	v_cndmask_b32_e32 v11, v11, v12, vcc
	v_cndmask_b32_e32 v12, v16, v20, vcc
	v_mov_b32_e32 v15, 0x3b800000
	v_lshlrev_b32_e32 v11, 20, v11
	v_lshl_add_u32 v12, v12, 23, v15
	v_or3_b32 v11, v14, v12, v11
.LBB45_608:
	s_or_b64 exec, exec, s[6:7]
	s_nop 0
	v_mfma_f32_16x16x4f32 a[0:3], v10, v11, a[0:3]
	s_movk_i32 s4, 0x7f
	v_cmp_gt_i16_sdwa s[6:7], v17, s4 src0_sel:BYTE_0 src1_sel:DWORD
	s_mov_b64 s[4:5], 0
                                        ; implicit-def: $sgpr10
	s_and_saveexec_b64 s[8:9], s[6:7]
	s_xor_b64 s[6:7], exec, s[8:9]
	s_cbranch_execnz .LBB45_2657
; %bb.609:
	s_or_saveexec_b64 s[6:7], s[6:7]
	v_mov_b32_e32 v10, s10
	s_xor_b64 exec, exec, s[6:7]
	s_cbranch_execnz .LBB45_2660
.LBB45_610:
	s_or_b64 exec, exec, s[6:7]
	s_and_saveexec_b64 s[6:7], s[4:5]
	s_cbranch_execz .LBB45_612
.LBB45_611:
	v_and_b32_e32 v10, 7, v17
	v_ffbh_u32_e32 v12, v10
	v_min_u32_e32 v12, 32, v12
	v_lshrrev_b16_e32 v11, 3, v17
	v_subrev_u32_e32 v14, 28, v12
	v_and_b32_e32 v11, 15, v11
	v_lshlrev_b32_e32 v14, v14, v17
	v_sub_u32_e32 v12, 29, v12
	v_and_b32_e32 v14, 7, v14
	v_cmp_eq_u16_e32 vcc, 0, v11
	v_cndmask_b32_e32 v10, v10, v14, vcc
	v_cndmask_b32_e32 v11, v11, v12, vcc
	v_lshlrev_b32_e32 v12, 24, v17
	v_mov_b32_e32 v14, 0x3b800000
	v_lshlrev_b32_e32 v10, 20, v10
	v_and_b32_e32 v12, 0x80000000, v12
	v_lshl_add_u32 v11, v11, 23, v14
	v_or3_b32 v10, v12, v11, v10
.LBB45_612:
	s_or_b64 exec, exec, s[6:7]
	s_movk_i32 s4, 0x7f
	v_cmp_gt_i16_sdwa s[6:7], v13, s4 src0_sel:BYTE_0 src1_sel:DWORD
	s_mov_b64 s[4:5], 0
                                        ; implicit-def: $sgpr10
	s_and_saveexec_b64 s[8:9], s[6:7]
	s_xor_b64 s[6:7], exec, s[8:9]
	s_cbranch_execnz .LBB45_2661
; %bb.613:
	s_or_saveexec_b64 s[6:7], s[6:7]
	v_mov_b32_e32 v11, s10
	s_xor_b64 exec, exec, s[6:7]
	s_cbranch_execnz .LBB45_2664
.LBB45_614:
	s_or_b64 exec, exec, s[6:7]
	s_and_saveexec_b64 s[6:7], s[4:5]
	s_cbranch_execz .LBB45_616
.LBB45_615:
	v_and_b32_e32 v11, 7, v13
	v_ffbh_u32_e32 v14, v11
	v_min_u32_e32 v14, 32, v14
	v_lshrrev_b16_e32 v12, 3, v13
	v_subrev_u32_e32 v15, 28, v14
	v_and_b32_e32 v12, 15, v12
	v_lshlrev_b32_e32 v15, v15, v13
	v_sub_u32_e32 v14, 29, v14
	v_and_b32_e32 v15, 7, v15
	v_cmp_eq_u16_e32 vcc, 0, v12
	v_cndmask_b32_e32 v11, v11, v15, vcc
	v_cndmask_b32_e32 v12, v12, v14, vcc
	v_lshlrev_b32_e32 v14, 24, v13
	v_mov_b32_e32 v15, 0x3b800000
	v_lshlrev_b32_e32 v11, 20, v11
	v_and_b32_e32 v14, 0x80000000, v14
	v_lshl_add_u32 v12, v12, 23, v15
	v_or3_b32 v11, v14, v12, v11
.LBB45_616:
	s_or_b64 exec, exec, s[6:7]
	s_nop 0
	v_mfma_f32_16x16x4f32 a[0:3], v10, v11, a[0:3]
	v_lshrrev_b32_e32 v11, 8, v17
	s_movk_i32 s4, 0x7f
	v_cmp_gt_i16_sdwa s[6:7], v11, s4 src0_sel:BYTE_0 src1_sel:DWORD
	s_mov_b64 s[4:5], 0
                                        ; implicit-def: $sgpr10
	s_and_saveexec_b64 s[8:9], s[6:7]
	s_xor_b64 s[6:7], exec, s[8:9]
	s_cbranch_execnz .LBB45_2665
; %bb.617:
	s_or_saveexec_b64 s[6:7], s[6:7]
	v_mov_b32_e32 v10, s10
	s_xor_b64 exec, exec, s[6:7]
	s_cbranch_execnz .LBB45_2668
.LBB45_618:
	s_or_b64 exec, exec, s[6:7]
	s_and_saveexec_b64 s[6:7], s[4:5]
	s_cbranch_execz .LBB45_620
.LBB45_619:
	v_bfe_u32 v10, v17, 8, 3
	v_ffbh_u32_e32 v14, v10
	v_min_u32_e32 v14, 32, v14
	v_lshrrev_b16_e32 v12, 3, v11
	v_subrev_u32_e32 v15, 28, v14
	v_and_b32_e32 v12, 15, v12
	v_lshlrev_b32_e32 v11, v15, v11
	v_sub_u32_e32 v14, 29, v14
	v_and_b32_e32 v11, 7, v11
	v_cmp_eq_u16_e32 vcc, 0, v12
	v_cndmask_b32_e32 v10, v10, v11, vcc
	v_cndmask_b32_e32 v11, v12, v14, vcc
	v_lshlrev_b32_e32 v12, 16, v17
	v_mov_b32_e32 v14, 0x3b800000
	v_lshlrev_b32_e32 v10, 20, v10
	v_and_b32_e32 v12, 0x80000000, v12
	v_lshl_add_u32 v11, v11, 23, v14
	v_or3_b32 v10, v12, v11, v10
.LBB45_620:
	s_or_b64 exec, exec, s[6:7]
	v_lshrrev_b32_e32 v11, 8, v13
	s_movk_i32 s4, 0x7f
	v_cmp_gt_i16_sdwa s[6:7], v11, s4 src0_sel:BYTE_0 src1_sel:DWORD
	s_mov_b64 s[4:5], 0
                                        ; implicit-def: $sgpr10
	s_and_saveexec_b64 s[8:9], s[6:7]
	s_xor_b64 s[6:7], exec, s[8:9]
	s_cbranch_execnz .LBB45_2669
; %bb.621:
	s_or_saveexec_b64 s[6:7], s[6:7]
	v_mov_b32_e32 v12, s10
	s_xor_b64 exec, exec, s[6:7]
	s_cbranch_execnz .LBB45_2672
.LBB45_622:
	s_or_b64 exec, exec, s[6:7]
	s_and_saveexec_b64 s[6:7], s[4:5]
	s_cbranch_execz .LBB45_624
.LBB45_623:
	v_bfe_u32 v12, v13, 8, 3
	v_ffbh_u32_e32 v15, v12
	v_min_u32_e32 v15, 32, v15
	v_lshrrev_b16_e32 v14, 3, v11
	v_subrev_u32_e32 v16, 28, v15
	v_and_b32_e32 v14, 15, v14
	v_lshlrev_b32_e32 v11, v16, v11
	v_sub_u32_e32 v15, 29, v15
	v_and_b32_e32 v11, 7, v11
	v_cmp_eq_u16_e32 vcc, 0, v14
	v_cndmask_b32_e32 v11, v12, v11, vcc
	v_cndmask_b32_e32 v12, v14, v15, vcc
	v_lshlrev_b32_e32 v14, 16, v13
	v_mov_b32_e32 v15, 0x3b800000
	v_lshlrev_b32_e32 v11, 20, v11
	v_and_b32_e32 v14, 0x80000000, v14
	v_lshl_add_u32 v12, v12, 23, v15
	v_or3_b32 v12, v14, v12, v11
.LBB45_624:
	s_or_b64 exec, exec, s[6:7]
	s_nop 0
	v_mfma_f32_16x16x4f32 a[0:3], v10, v12, a[0:3]
	s_movk_i32 s4, 0xff
	v_and_b32_sdwa v11, v17, s4 dst_sel:DWORD dst_unused:UNUSED_PAD src0_sel:WORD_1 src1_sel:DWORD
	s_movk_i32 s4, 0x7f
	v_cmp_lt_i16_e32 vcc, s4, v11
	s_mov_b64 s[4:5], 0
                                        ; implicit-def: $sgpr10
	s_and_saveexec_b64 s[6:7], vcc
	s_xor_b64 s[6:7], exec, s[6:7]
	s_cbranch_execnz .LBB45_2673
; %bb.625:
	s_or_saveexec_b64 s[6:7], s[6:7]
	v_mov_b32_e32 v10, s10
	s_xor_b64 exec, exec, s[6:7]
	s_cbranch_execnz .LBB45_2676
.LBB45_626:
	s_or_b64 exec, exec, s[6:7]
	s_and_saveexec_b64 s[6:7], s[4:5]
	s_cbranch_execz .LBB45_628
.LBB45_627:
	v_bfe_u32 v10, v17, 16, 3
	v_ffbh_u32_e32 v14, v10
	v_min_u32_e32 v14, 32, v14
	v_lshrrev_b32_e32 v11, 19, v17
	v_subrev_u32_e32 v15, 28, v14
	v_and_b32_e32 v11, 15, v11
	v_lshlrev_b32_sdwa v15, v15, v17 dst_sel:DWORD dst_unused:UNUSED_PAD src0_sel:DWORD src1_sel:WORD_1
	v_bfe_u32 v12, v17, 19, 4
	v_sub_u32_e32 v14, 29, v14
	v_and_b32_e32 v15, 7, v15
	v_cmp_eq_u16_e32 vcc, 0, v11
	v_cndmask_b32_e32 v10, v10, v15, vcc
	v_cndmask_b32_e32 v11, v12, v14, vcc
	v_lshlrev_b32_e32 v12, 8, v17
	v_mov_b32_e32 v14, 0x3b800000
	v_lshlrev_b32_e32 v10, 20, v10
	v_and_b32_e32 v12, 0x80000000, v12
	v_lshl_add_u32 v11, v11, 23, v14
	v_or3_b32 v10, v12, v11, v10
.LBB45_628:
	s_or_b64 exec, exec, s[6:7]
	s_movk_i32 s4, 0xff
	v_and_b32_sdwa v11, v13, s4 dst_sel:DWORD dst_unused:UNUSED_PAD src0_sel:WORD_1 src1_sel:DWORD
	s_movk_i32 s4, 0x7f
	v_cmp_lt_i16_e32 vcc, s4, v11
	s_mov_b64 s[4:5], 0
                                        ; implicit-def: $sgpr10
	s_and_saveexec_b64 s[6:7], vcc
	s_xor_b64 s[6:7], exec, s[6:7]
	s_cbranch_execnz .LBB45_2677
; %bb.629:
	s_or_saveexec_b64 s[6:7], s[6:7]
	v_mov_b32_e32 v12, s10
	s_xor_b64 exec, exec, s[6:7]
	s_cbranch_execnz .LBB45_2680
.LBB45_630:
	s_or_b64 exec, exec, s[6:7]
	s_and_saveexec_b64 s[6:7], s[4:5]
	s_cbranch_execz .LBB45_632
.LBB45_631:
	v_bfe_u32 v11, v13, 16, 3
	v_ffbh_u32_e32 v15, v11
	v_min_u32_e32 v15, 32, v15
	v_lshrrev_b32_e32 v12, 19, v13
	v_subrev_u32_e32 v16, 28, v15
	v_and_b32_e32 v12, 15, v12
	v_lshlrev_b32_sdwa v16, v16, v13 dst_sel:DWORD dst_unused:UNUSED_PAD src0_sel:DWORD src1_sel:WORD_1
	v_bfe_u32 v14, v13, 19, 4
	v_sub_u32_e32 v15, 29, v15
	v_and_b32_e32 v16, 7, v16
	v_cmp_eq_u16_e32 vcc, 0, v12
	v_cndmask_b32_e32 v11, v11, v16, vcc
	v_cndmask_b32_e32 v12, v14, v15, vcc
	v_lshlrev_b32_e32 v14, 8, v13
	v_mov_b32_e32 v15, 0x3b800000
	v_lshlrev_b32_e32 v11, 20, v11
	v_and_b32_e32 v14, 0x80000000, v14
	v_lshl_add_u32 v12, v12, 23, v15
	v_or3_b32 v12, v14, v12, v11
.LBB45_632:
	s_or_b64 exec, exec, s[6:7]
	s_nop 0
	v_mfma_f32_16x16x4f32 a[0:3], v10, v12, a[0:3]
	s_movk_i32 s4, 0x7f
	v_cmp_gt_i16_sdwa s[6:7], v17, s4 src0_sel:BYTE_3 src1_sel:DWORD
	s_mov_b64 s[4:5], 0
                                        ; implicit-def: $sgpr10
	s_and_saveexec_b64 s[8:9], s[6:7]
	s_xor_b64 s[6:7], exec, s[8:9]
	s_cbranch_execnz .LBB45_2681
; %bb.633:
	s_or_saveexec_b64 s[6:7], s[6:7]
	v_mov_b32_e32 v10, s10
	s_xor_b64 exec, exec, s[6:7]
	s_cbranch_execnz .LBB45_2684
.LBB45_634:
	s_or_b64 exec, exec, s[6:7]
	s_and_saveexec_b64 s[6:7], s[4:5]
	s_cbranch_execz .LBB45_636
.LBB45_635:
	v_bfe_u32 v10, v17, 24, 3
	v_ffbh_u32_e32 v15, v10
	v_min_u32_e32 v15, 32, v15
	v_lshrrev_b32_e32 v12, 27, v17
	v_subrev_u32_e32 v16, 28, v15
	v_and_b32_e32 v12, 15, v12
	v_lshlrev_b32_sdwa v16, v16, v17 dst_sel:DWORD dst_unused:UNUSED_PAD src0_sel:DWORD src1_sel:BYTE_3
	v_bfe_u32 v14, v17, 27, 4
	v_sub_u32_e32 v15, 29, v15
	v_and_b32_e32 v16, 7, v16
	v_cmp_eq_u16_e32 vcc, 0, v12
	v_cndmask_b32_e32 v10, v10, v16, vcc
	v_cndmask_b32_e32 v12, v14, v15, vcc
	v_mov_b32_e32 v14, 0x3b800000
	v_and_b32_e32 v11, 0x80000000, v17
	v_lshlrev_b32_e32 v10, 20, v10
	v_lshl_add_u32 v12, v12, 23, v14
	v_or3_b32 v10, v11, v12, v10
.LBB45_636:
	s_or_b64 exec, exec, s[6:7]
	s_movk_i32 s4, 0x7f
	v_cmp_gt_i16_sdwa s[6:7], v13, s4 src0_sel:BYTE_3 src1_sel:DWORD
	s_mov_b64 s[4:5], 0
                                        ; implicit-def: $sgpr10
	s_and_saveexec_b64 s[8:9], s[6:7]
	s_xor_b64 s[6:7], exec, s[8:9]
	s_cbranch_execnz .LBB45_2685
; %bb.637:
	s_or_saveexec_b64 s[6:7], s[6:7]
	v_mov_b32_e32 v11, s10
	s_xor_b64 exec, exec, s[6:7]
	s_cbranch_execnz .LBB45_2688
.LBB45_638:
	s_or_b64 exec, exec, s[6:7]
	s_and_saveexec_b64 s[6:7], s[4:5]
	s_cbranch_execz .LBB45_640
.LBB45_639:
	v_bfe_u32 v11, v13, 24, 3
	v_ffbh_u32_e32 v16, v11
	v_min_u32_e32 v16, 32, v16
	v_lshrrev_b32_e32 v14, 27, v13
	v_subrev_u32_e32 v17, 28, v16
	v_and_b32_e32 v12, 0x80000000, v13
	v_and_b32_e32 v14, 15, v14
	v_bfe_u32 v15, v13, 27, 4
	v_lshlrev_b32_sdwa v13, v17, v13 dst_sel:DWORD dst_unused:UNUSED_PAD src0_sel:DWORD src1_sel:BYTE_3
	v_sub_u32_e32 v16, 29, v16
	v_and_b32_e32 v13, 7, v13
	v_cmp_eq_u16_e32 vcc, 0, v14
	v_cndmask_b32_e32 v11, v11, v13, vcc
	v_cndmask_b32_e32 v13, v15, v16, vcc
	v_mov_b32_e32 v14, 0x3b800000
	v_lshlrev_b32_e32 v11, 20, v11
	v_lshl_add_u32 v13, v13, 23, v14
	v_or3_b32 v11, v12, v13, v11
.LBB45_640:
	s_or_b64 exec, exec, s[6:7]
	s_nop 0
	v_mfma_f32_16x16x4f32 a[0:3], v10, v11, a[0:3]
	s_movk_i32 s4, 0x7f
	v_cmp_gt_i16_sdwa s[6:7], v6, s4 src0_sel:BYTE_0 src1_sel:DWORD
	s_mov_b64 s[4:5], 0
                                        ; implicit-def: $sgpr10
	s_and_saveexec_b64 s[8:9], s[6:7]
	s_xor_b64 s[6:7], exec, s[8:9]
	s_cbranch_execnz .LBB45_2689
; %bb.641:
	s_or_saveexec_b64 s[6:7], s[6:7]
	v_mov_b32_e32 v10, s10
	s_xor_b64 exec, exec, s[6:7]
	s_cbranch_execnz .LBB45_2692
.LBB45_642:
	s_or_b64 exec, exec, s[6:7]
	s_and_saveexec_b64 s[6:7], s[4:5]
	s_cbranch_execz .LBB45_644
.LBB45_643:
	v_and_b32_e32 v10, 7, v6
	v_ffbh_u32_e32 v12, v10
	v_min_u32_e32 v12, 32, v12
	v_lshrrev_b16_e32 v11, 3, v6
	v_subrev_u32_e32 v13, 28, v12
	v_and_b32_e32 v11, 15, v11
	v_lshlrev_b32_e32 v13, v13, v6
	v_sub_u32_e32 v12, 29, v12
	v_and_b32_e32 v13, 7, v13
	v_cmp_eq_u16_e32 vcc, 0, v11
	v_cndmask_b32_e32 v10, v10, v13, vcc
	v_cndmask_b32_e32 v11, v11, v12, vcc
	v_lshlrev_b32_e32 v12, 24, v6
	v_mov_b32_e32 v13, 0x3b800000
	v_lshlrev_b32_e32 v10, 20, v10
	v_and_b32_e32 v12, 0x80000000, v12
	v_lshl_add_u32 v11, v11, 23, v13
	v_or3_b32 v10, v12, v11, v10
.LBB45_644:
	s_or_b64 exec, exec, s[6:7]
	s_movk_i32 s4, 0x7f
	v_cmp_gt_i16_sdwa s[6:7], v2, s4 src0_sel:BYTE_0 src1_sel:DWORD
	s_mov_b64 s[4:5], 0
                                        ; implicit-def: $sgpr10
	s_and_saveexec_b64 s[8:9], s[6:7]
	s_xor_b64 s[6:7], exec, s[8:9]
	s_cbranch_execnz .LBB45_2693
; %bb.645:
	s_or_saveexec_b64 s[6:7], s[6:7]
	v_mov_b32_e32 v11, s10
	s_xor_b64 exec, exec, s[6:7]
	s_cbranch_execnz .LBB45_2696
.LBB45_646:
	s_or_b64 exec, exec, s[6:7]
	s_and_saveexec_b64 s[6:7], s[4:5]
	s_cbranch_execz .LBB45_648
.LBB45_647:
	v_and_b32_e32 v11, 7, v2
	v_ffbh_u32_e32 v13, v11
	v_min_u32_e32 v13, 32, v13
	v_lshrrev_b16_e32 v12, 3, v2
	v_subrev_u32_e32 v14, 28, v13
	v_and_b32_e32 v12, 15, v12
	v_lshlrev_b32_e32 v14, v14, v2
	v_sub_u32_e32 v13, 29, v13
	v_and_b32_e32 v14, 7, v14
	v_cmp_eq_u16_e32 vcc, 0, v12
	v_cndmask_b32_e32 v11, v11, v14, vcc
	v_cndmask_b32_e32 v12, v12, v13, vcc
	v_lshlrev_b32_e32 v13, 24, v2
	v_mov_b32_e32 v14, 0x3b800000
	v_lshlrev_b32_e32 v11, 20, v11
	v_and_b32_e32 v13, 0x80000000, v13
	v_lshl_add_u32 v12, v12, 23, v14
	v_or3_b32 v11, v13, v12, v11
.LBB45_648:
	s_or_b64 exec, exec, s[6:7]
	s_nop 0
	v_mfma_f32_16x16x4f32 a[0:3], v10, v11, a[0:3]
	v_lshrrev_b32_e32 v11, 8, v6
	s_movk_i32 s4, 0x7f
	v_cmp_gt_i16_sdwa s[6:7], v11, s4 src0_sel:BYTE_0 src1_sel:DWORD
	s_mov_b64 s[4:5], 0
                                        ; implicit-def: $sgpr10
	s_and_saveexec_b64 s[8:9], s[6:7]
	s_xor_b64 s[6:7], exec, s[8:9]
	s_cbranch_execnz .LBB45_2697
; %bb.649:
	s_or_saveexec_b64 s[6:7], s[6:7]
	v_mov_b32_e32 v10, s10
	s_xor_b64 exec, exec, s[6:7]
	s_cbranch_execnz .LBB45_2700
.LBB45_650:
	s_or_b64 exec, exec, s[6:7]
	s_and_saveexec_b64 s[6:7], s[4:5]
	s_cbranch_execz .LBB45_652
.LBB45_651:
	v_bfe_u32 v10, v6, 8, 3
	v_ffbh_u32_e32 v13, v10
	v_min_u32_e32 v13, 32, v13
	v_lshrrev_b16_e32 v12, 3, v11
	v_subrev_u32_e32 v14, 28, v13
	v_and_b32_e32 v12, 15, v12
	v_lshlrev_b32_e32 v11, v14, v11
	v_sub_u32_e32 v13, 29, v13
	v_and_b32_e32 v11, 7, v11
	v_cmp_eq_u16_e32 vcc, 0, v12
	v_cndmask_b32_e32 v10, v10, v11, vcc
	v_cndmask_b32_e32 v11, v12, v13, vcc
	v_lshlrev_b32_e32 v12, 16, v6
	v_mov_b32_e32 v13, 0x3b800000
	v_lshlrev_b32_e32 v10, 20, v10
	v_and_b32_e32 v12, 0x80000000, v12
	v_lshl_add_u32 v11, v11, 23, v13
	v_or3_b32 v10, v12, v11, v10
.LBB45_652:
	s_or_b64 exec, exec, s[6:7]
	v_lshrrev_b32_e32 v11, 8, v2
	s_movk_i32 s4, 0x7f
	v_cmp_gt_i16_sdwa s[6:7], v11, s4 src0_sel:BYTE_0 src1_sel:DWORD
	s_mov_b64 s[4:5], 0
                                        ; implicit-def: $sgpr10
	s_and_saveexec_b64 s[8:9], s[6:7]
	s_xor_b64 s[6:7], exec, s[8:9]
	s_cbranch_execnz .LBB45_2701
; %bb.653:
	s_or_saveexec_b64 s[6:7], s[6:7]
	v_mov_b32_e32 v12, s10
	s_xor_b64 exec, exec, s[6:7]
	s_cbranch_execnz .LBB45_2704
.LBB45_654:
	s_or_b64 exec, exec, s[6:7]
	s_and_saveexec_b64 s[6:7], s[4:5]
	s_cbranch_execz .LBB45_656
.LBB45_655:
	v_bfe_u32 v12, v2, 8, 3
	v_ffbh_u32_e32 v14, v12
	v_min_u32_e32 v14, 32, v14
	v_lshrrev_b16_e32 v13, 3, v11
	v_subrev_u32_e32 v15, 28, v14
	v_and_b32_e32 v13, 15, v13
	v_lshlrev_b32_e32 v11, v15, v11
	v_sub_u32_e32 v14, 29, v14
	v_and_b32_e32 v11, 7, v11
	v_cmp_eq_u16_e32 vcc, 0, v13
	v_cndmask_b32_e32 v11, v12, v11, vcc
	v_cndmask_b32_e32 v12, v13, v14, vcc
	v_lshlrev_b32_e32 v13, 16, v2
	v_mov_b32_e32 v14, 0x3b800000
	v_lshlrev_b32_e32 v11, 20, v11
	v_and_b32_e32 v13, 0x80000000, v13
	v_lshl_add_u32 v12, v12, 23, v14
	v_or3_b32 v12, v13, v12, v11
.LBB45_656:
	s_or_b64 exec, exec, s[6:7]
	s_nop 0
	v_mfma_f32_16x16x4f32 a[0:3], v10, v12, a[0:3]
	s_movk_i32 s4, 0xff
	v_and_b32_sdwa v11, v6, s4 dst_sel:DWORD dst_unused:UNUSED_PAD src0_sel:WORD_1 src1_sel:DWORD
	s_movk_i32 s4, 0x7f
	v_cmp_lt_i16_e32 vcc, s4, v11
	s_mov_b64 s[4:5], 0
                                        ; implicit-def: $sgpr10
	s_and_saveexec_b64 s[6:7], vcc
	s_xor_b64 s[6:7], exec, s[6:7]
	s_cbranch_execnz .LBB45_2705
; %bb.657:
	s_or_saveexec_b64 s[6:7], s[6:7]
	v_mov_b32_e32 v10, s10
	s_xor_b64 exec, exec, s[6:7]
	s_cbranch_execnz .LBB45_2708
.LBB45_658:
	s_or_b64 exec, exec, s[6:7]
	s_and_saveexec_b64 s[6:7], s[4:5]
	s_cbranch_execz .LBB45_660
.LBB45_659:
	v_bfe_u32 v10, v6, 16, 3
	v_ffbh_u32_e32 v13, v10
	v_min_u32_e32 v13, 32, v13
	v_lshrrev_b32_e32 v11, 19, v6
	v_subrev_u32_e32 v14, 28, v13
	v_and_b32_e32 v11, 15, v11
	v_lshlrev_b32_sdwa v14, v14, v6 dst_sel:DWORD dst_unused:UNUSED_PAD src0_sel:DWORD src1_sel:WORD_1
	v_bfe_u32 v12, v6, 19, 4
	v_sub_u32_e32 v13, 29, v13
	v_and_b32_e32 v14, 7, v14
	v_cmp_eq_u16_e32 vcc, 0, v11
	v_cndmask_b32_e32 v10, v10, v14, vcc
	v_cndmask_b32_e32 v11, v12, v13, vcc
	v_lshlrev_b32_e32 v12, 8, v6
	v_mov_b32_e32 v13, 0x3b800000
	v_lshlrev_b32_e32 v10, 20, v10
	v_and_b32_e32 v12, 0x80000000, v12
	v_lshl_add_u32 v11, v11, 23, v13
	v_or3_b32 v10, v12, v11, v10
.LBB45_660:
	s_or_b64 exec, exec, s[6:7]
	s_movk_i32 s4, 0xff
	v_and_b32_sdwa v11, v2, s4 dst_sel:DWORD dst_unused:UNUSED_PAD src0_sel:WORD_1 src1_sel:DWORD
	s_movk_i32 s4, 0x7f
	v_cmp_lt_i16_e32 vcc, s4, v11
	s_mov_b64 s[4:5], 0
                                        ; implicit-def: $sgpr10
	s_and_saveexec_b64 s[6:7], vcc
	s_xor_b64 s[6:7], exec, s[6:7]
	s_cbranch_execnz .LBB45_2709
; %bb.661:
	s_or_saveexec_b64 s[6:7], s[6:7]
	v_mov_b32_e32 v12, s10
	s_xor_b64 exec, exec, s[6:7]
	s_cbranch_execnz .LBB45_2712
.LBB45_662:
	s_or_b64 exec, exec, s[6:7]
	s_and_saveexec_b64 s[6:7], s[4:5]
	s_cbranch_execz .LBB45_664
.LBB45_663:
	v_bfe_u32 v11, v2, 16, 3
	v_ffbh_u32_e32 v14, v11
	v_min_u32_e32 v14, 32, v14
	v_lshrrev_b32_e32 v12, 19, v2
	v_subrev_u32_e32 v15, 28, v14
	v_and_b32_e32 v12, 15, v12
	v_lshlrev_b32_sdwa v15, v15, v2 dst_sel:DWORD dst_unused:UNUSED_PAD src0_sel:DWORD src1_sel:WORD_1
	v_bfe_u32 v13, v2, 19, 4
	v_sub_u32_e32 v14, 29, v14
	v_and_b32_e32 v15, 7, v15
	v_cmp_eq_u16_e32 vcc, 0, v12
	v_cndmask_b32_e32 v11, v11, v15, vcc
	v_cndmask_b32_e32 v12, v13, v14, vcc
	v_lshlrev_b32_e32 v13, 8, v2
	v_mov_b32_e32 v14, 0x3b800000
	v_lshlrev_b32_e32 v11, 20, v11
	v_and_b32_e32 v13, 0x80000000, v13
	v_lshl_add_u32 v12, v12, 23, v14
	v_or3_b32 v12, v13, v12, v11
.LBB45_664:
	s_or_b64 exec, exec, s[6:7]
	s_nop 0
	v_mfma_f32_16x16x4f32 a[0:3], v10, v12, a[0:3]
	s_movk_i32 s4, 0x7f
	v_cmp_gt_i16_sdwa s[6:7], v6, s4 src0_sel:BYTE_3 src1_sel:DWORD
	s_mov_b64 s[4:5], 0
                                        ; implicit-def: $sgpr10
	s_and_saveexec_b64 s[8:9], s[6:7]
	s_xor_b64 s[6:7], exec, s[8:9]
	s_cbranch_execnz .LBB45_2713
; %bb.665:
	s_or_saveexec_b64 s[6:7], s[6:7]
	v_mov_b32_e32 v10, s10
	s_xor_b64 exec, exec, s[6:7]
	s_cbranch_execnz .LBB45_2716
.LBB45_666:
	s_or_b64 exec, exec, s[6:7]
	s_and_saveexec_b64 s[6:7], s[4:5]
	s_cbranch_execz .LBB45_668
.LBB45_667:
	v_bfe_u32 v10, v6, 24, 3
	v_ffbh_u32_e32 v14, v10
	v_min_u32_e32 v14, 32, v14
	v_lshrrev_b32_e32 v12, 27, v6
	v_subrev_u32_e32 v15, 28, v14
	v_and_b32_e32 v11, 0x80000000, v6
	v_and_b32_e32 v12, 15, v12
	v_bfe_u32 v13, v6, 27, 4
	v_lshlrev_b32_sdwa v6, v15, v6 dst_sel:DWORD dst_unused:UNUSED_PAD src0_sel:DWORD src1_sel:BYTE_3
	v_sub_u32_e32 v14, 29, v14
	v_and_b32_e32 v6, 7, v6
	v_cmp_eq_u16_e32 vcc, 0, v12
	v_cndmask_b32_e32 v6, v10, v6, vcc
	v_cndmask_b32_e32 v10, v13, v14, vcc
	v_mov_b32_e32 v12, 0x3b800000
	v_lshlrev_b32_e32 v6, 20, v6
	v_lshl_add_u32 v10, v10, 23, v12
	v_or3_b32 v10, v11, v10, v6
.LBB45_668:
	s_or_b64 exec, exec, s[6:7]
	s_movk_i32 s4, 0x7f
	v_cmp_gt_i16_sdwa s[6:7], v2, s4 src0_sel:BYTE_3 src1_sel:DWORD
	s_mov_b64 s[4:5], 0
                                        ; implicit-def: $sgpr10
	s_and_saveexec_b64 s[8:9], s[6:7]
	s_xor_b64 s[6:7], exec, s[8:9]
	s_cbranch_execnz .LBB45_2717
; %bb.669:
	s_or_saveexec_b64 s[6:7], s[6:7]
	v_mov_b32_e32 v6, s10
	s_xor_b64 exec, exec, s[6:7]
	s_cbranch_execnz .LBB45_2720
.LBB45_670:
	s_or_b64 exec, exec, s[6:7]
	s_and_saveexec_b64 s[6:7], s[4:5]
	s_cbranch_execz .LBB45_672
.LBB45_671:
	v_bfe_u32 v6, v2, 24, 3
	v_ffbh_u32_e32 v14, v6
	v_min_u32_e32 v14, 32, v14
	v_lshrrev_b32_e32 v12, 27, v2
	v_subrev_u32_e32 v15, 28, v14
	v_and_b32_e32 v11, 0x80000000, v2
	v_and_b32_e32 v12, 15, v12
	v_bfe_u32 v13, v2, 27, 4
	v_lshlrev_b32_sdwa v2, v15, v2 dst_sel:DWORD dst_unused:UNUSED_PAD src0_sel:DWORD src1_sel:BYTE_3
	v_sub_u32_e32 v14, 29, v14
	v_and_b32_e32 v2, 7, v2
	v_cmp_eq_u16_e32 vcc, 0, v12
	v_cndmask_b32_e32 v2, v6, v2, vcc
	v_cndmask_b32_e32 v6, v13, v14, vcc
	v_mov_b32_e32 v12, 0x3b800000
	v_lshlrev_b32_e32 v2, 20, v2
	v_lshl_add_u32 v6, v6, 23, v12
	v_or3_b32 v6, v11, v6, v2
.LBB45_672:
	s_or_b64 exec, exec, s[6:7]
	s_nop 0
	v_mfma_f32_16x16x4f32 a[0:3], v10, v6, a[0:3]
	s_movk_i32 s4, 0x7f
	v_cmp_gt_i16_sdwa s[6:7], v7, s4 src0_sel:BYTE_0 src1_sel:DWORD
	s_mov_b64 s[4:5], 0
                                        ; implicit-def: $sgpr10
	s_and_saveexec_b64 s[8:9], s[6:7]
	s_xor_b64 s[6:7], exec, s[8:9]
	s_cbranch_execnz .LBB45_2721
; %bb.673:
	s_or_saveexec_b64 s[6:7], s[6:7]
	v_mov_b32_e32 v2, s10
	s_xor_b64 exec, exec, s[6:7]
	s_cbranch_execnz .LBB45_2724
.LBB45_674:
	s_or_b64 exec, exec, s[6:7]
	s_and_saveexec_b64 s[6:7], s[4:5]
	s_cbranch_execz .LBB45_676
.LBB45_675:
	v_and_b32_e32 v2, 7, v7
	v_ffbh_u32_e32 v10, v2
	v_min_u32_e32 v10, 32, v10
	v_lshrrev_b16_e32 v6, 3, v7
	v_subrev_u32_e32 v11, 28, v10
	v_and_b32_e32 v6, 15, v6
	v_lshlrev_b32_e32 v11, v11, v7
	v_sub_u32_e32 v10, 29, v10
	v_and_b32_e32 v11, 7, v11
	v_cmp_eq_u16_e32 vcc, 0, v6
	v_cndmask_b32_e32 v2, v2, v11, vcc
	v_cndmask_b32_e32 v6, v6, v10, vcc
	v_lshlrev_b32_e32 v10, 24, v7
	v_mov_b32_e32 v11, 0x3b800000
	v_lshlrev_b32_e32 v2, 20, v2
	v_and_b32_e32 v10, 0x80000000, v10
	v_lshl_add_u32 v6, v6, 23, v11
	v_or3_b32 v2, v10, v6, v2
.LBB45_676:
	s_or_b64 exec, exec, s[6:7]
	s_movk_i32 s4, 0x7f
	v_cmp_gt_i16_sdwa s[6:7], v3, s4 src0_sel:BYTE_0 src1_sel:DWORD
	s_mov_b64 s[4:5], 0
                                        ; implicit-def: $sgpr10
	s_and_saveexec_b64 s[8:9], s[6:7]
	s_xor_b64 s[6:7], exec, s[8:9]
	s_cbranch_execnz .LBB45_2725
; %bb.677:
	s_or_saveexec_b64 s[6:7], s[6:7]
	v_mov_b32_e32 v6, s10
	s_xor_b64 exec, exec, s[6:7]
	s_cbranch_execnz .LBB45_2728
.LBB45_678:
	s_or_b64 exec, exec, s[6:7]
	s_and_saveexec_b64 s[6:7], s[4:5]
	s_cbranch_execz .LBB45_680
.LBB45_679:
	v_and_b32_e32 v6, 7, v3
	v_ffbh_u32_e32 v11, v6
	v_min_u32_e32 v11, 32, v11
	v_lshrrev_b16_e32 v10, 3, v3
	v_subrev_u32_e32 v12, 28, v11
	v_and_b32_e32 v10, 15, v10
	v_lshlrev_b32_e32 v12, v12, v3
	v_sub_u32_e32 v11, 29, v11
	v_and_b32_e32 v12, 7, v12
	v_cmp_eq_u16_e32 vcc, 0, v10
	v_cndmask_b32_e32 v6, v6, v12, vcc
	v_cndmask_b32_e32 v10, v10, v11, vcc
	v_lshlrev_b32_e32 v11, 24, v3
	v_mov_b32_e32 v12, 0x3b800000
	v_lshlrev_b32_e32 v6, 20, v6
	v_and_b32_e32 v11, 0x80000000, v11
	v_lshl_add_u32 v10, v10, 23, v12
	v_or3_b32 v6, v11, v10, v6
.LBB45_680:
	s_or_b64 exec, exec, s[6:7]
	s_nop 0
	v_mfma_f32_16x16x4f32 a[0:3], v2, v6, a[0:3]
	v_lshrrev_b32_e32 v6, 8, v7
	s_movk_i32 s4, 0x7f
	v_cmp_gt_i16_sdwa s[6:7], v6, s4 src0_sel:BYTE_0 src1_sel:DWORD
	s_mov_b64 s[4:5], 0
                                        ; implicit-def: $sgpr10
	s_and_saveexec_b64 s[8:9], s[6:7]
	s_xor_b64 s[6:7], exec, s[8:9]
	s_cbranch_execnz .LBB45_2729
; %bb.681:
	s_or_saveexec_b64 s[6:7], s[6:7]
	v_mov_b32_e32 v2, s10
	s_xor_b64 exec, exec, s[6:7]
	s_cbranch_execnz .LBB45_2732
.LBB45_682:
	s_or_b64 exec, exec, s[6:7]
	s_and_saveexec_b64 s[6:7], s[4:5]
	s_cbranch_execz .LBB45_684
.LBB45_683:
	v_bfe_u32 v2, v7, 8, 3
	v_ffbh_u32_e32 v11, v2
	v_min_u32_e32 v11, 32, v11
	v_lshrrev_b16_e32 v10, 3, v6
	v_subrev_u32_e32 v12, 28, v11
	v_and_b32_e32 v10, 15, v10
	v_lshlrev_b32_e32 v6, v12, v6
	v_sub_u32_e32 v11, 29, v11
	v_and_b32_e32 v6, 7, v6
	v_cmp_eq_u16_e32 vcc, 0, v10
	v_cndmask_b32_e32 v2, v2, v6, vcc
	v_cndmask_b32_e32 v6, v10, v11, vcc
	v_lshlrev_b32_e32 v10, 16, v7
	v_mov_b32_e32 v11, 0x3b800000
	v_lshlrev_b32_e32 v2, 20, v2
	v_and_b32_e32 v10, 0x80000000, v10
	v_lshl_add_u32 v6, v6, 23, v11
	v_or3_b32 v2, v10, v6, v2
.LBB45_684:
	s_or_b64 exec, exec, s[6:7]
	v_lshrrev_b32_e32 v6, 8, v3
	s_movk_i32 s4, 0x7f
	v_cmp_gt_i16_sdwa s[6:7], v6, s4 src0_sel:BYTE_0 src1_sel:DWORD
	s_mov_b64 s[4:5], 0
                                        ; implicit-def: $sgpr10
	s_and_saveexec_b64 s[8:9], s[6:7]
	s_xor_b64 s[6:7], exec, s[8:9]
	s_cbranch_execnz .LBB45_2733
; %bb.685:
	s_or_saveexec_b64 s[6:7], s[6:7]
	v_mov_b32_e32 v10, s10
	s_xor_b64 exec, exec, s[6:7]
	s_cbranch_execnz .LBB45_2736
.LBB45_686:
	s_or_b64 exec, exec, s[6:7]
	s_and_saveexec_b64 s[6:7], s[4:5]
	s_cbranch_execz .LBB45_688
.LBB45_687:
	v_bfe_u32 v10, v3, 8, 3
	v_ffbh_u32_e32 v12, v10
	v_min_u32_e32 v12, 32, v12
	v_lshrrev_b16_e32 v11, 3, v6
	v_subrev_u32_e32 v13, 28, v12
	v_and_b32_e32 v11, 15, v11
	v_lshlrev_b32_e32 v6, v13, v6
	v_sub_u32_e32 v12, 29, v12
	v_and_b32_e32 v6, 7, v6
	v_cmp_eq_u16_e32 vcc, 0, v11
	v_cndmask_b32_e32 v6, v10, v6, vcc
	v_cndmask_b32_e32 v10, v11, v12, vcc
	v_lshlrev_b32_e32 v11, 16, v3
	v_mov_b32_e32 v12, 0x3b800000
	v_lshlrev_b32_e32 v6, 20, v6
	v_and_b32_e32 v11, 0x80000000, v11
	v_lshl_add_u32 v10, v10, 23, v12
	v_or3_b32 v10, v11, v10, v6
.LBB45_688:
	s_or_b64 exec, exec, s[6:7]
	s_nop 0
	v_mfma_f32_16x16x4f32 a[0:3], v2, v10, a[0:3]
	s_movk_i32 s4, 0xff
	v_and_b32_sdwa v6, v7, s4 dst_sel:DWORD dst_unused:UNUSED_PAD src0_sel:WORD_1 src1_sel:DWORD
	s_movk_i32 s4, 0x7f
	v_cmp_lt_i16_e32 vcc, s4, v6
	s_mov_b64 s[4:5], 0
                                        ; implicit-def: $sgpr10
	s_and_saveexec_b64 s[6:7], vcc
	s_xor_b64 s[6:7], exec, s[6:7]
	s_cbranch_execnz .LBB45_2737
; %bb.689:
	s_or_saveexec_b64 s[6:7], s[6:7]
	v_mov_b32_e32 v2, s10
	s_xor_b64 exec, exec, s[6:7]
	s_cbranch_execnz .LBB45_2740
.LBB45_690:
	s_or_b64 exec, exec, s[6:7]
	s_and_saveexec_b64 s[6:7], s[4:5]
	s_cbranch_execz .LBB45_692
.LBB45_691:
	v_bfe_u32 v2, v7, 16, 3
	v_ffbh_u32_e32 v11, v2
	v_min_u32_e32 v11, 32, v11
	v_lshrrev_b32_e32 v6, 19, v7
	v_subrev_u32_e32 v12, 28, v11
	v_and_b32_e32 v6, 15, v6
	v_lshlrev_b32_sdwa v12, v12, v7 dst_sel:DWORD dst_unused:UNUSED_PAD src0_sel:DWORD src1_sel:WORD_1
	v_bfe_u32 v10, v7, 19, 4
	v_sub_u32_e32 v11, 29, v11
	v_and_b32_e32 v12, 7, v12
	v_cmp_eq_u16_e32 vcc, 0, v6
	v_cndmask_b32_e32 v2, v2, v12, vcc
	v_cndmask_b32_e32 v6, v10, v11, vcc
	v_lshlrev_b32_e32 v10, 8, v7
	v_mov_b32_e32 v11, 0x3b800000
	v_lshlrev_b32_e32 v2, 20, v2
	v_and_b32_e32 v10, 0x80000000, v10
	v_lshl_add_u32 v6, v6, 23, v11
	v_or3_b32 v2, v10, v6, v2
.LBB45_692:
	s_or_b64 exec, exec, s[6:7]
	s_movk_i32 s4, 0xff
	v_and_b32_sdwa v6, v3, s4 dst_sel:DWORD dst_unused:UNUSED_PAD src0_sel:WORD_1 src1_sel:DWORD
	s_movk_i32 s4, 0x7f
	v_cmp_lt_i16_e32 vcc, s4, v6
	s_mov_b64 s[4:5], 0
                                        ; implicit-def: $sgpr10
	s_and_saveexec_b64 s[6:7], vcc
	s_xor_b64 s[6:7], exec, s[6:7]
	s_cbranch_execnz .LBB45_2741
; %bb.693:
	s_or_saveexec_b64 s[6:7], s[6:7]
	v_mov_b32_e32 v10, s10
	s_xor_b64 exec, exec, s[6:7]
	s_cbranch_execnz .LBB45_2744
.LBB45_694:
	s_or_b64 exec, exec, s[6:7]
	s_and_saveexec_b64 s[6:7], s[4:5]
	s_cbranch_execz .LBB45_696
.LBB45_695:
	v_bfe_u32 v6, v3, 16, 3
	v_ffbh_u32_e32 v12, v6
	v_min_u32_e32 v12, 32, v12
	v_lshrrev_b32_e32 v10, 19, v3
	v_subrev_u32_e32 v13, 28, v12
	v_and_b32_e32 v10, 15, v10
	v_lshlrev_b32_sdwa v13, v13, v3 dst_sel:DWORD dst_unused:UNUSED_PAD src0_sel:DWORD src1_sel:WORD_1
	v_bfe_u32 v11, v3, 19, 4
	v_sub_u32_e32 v12, 29, v12
	v_and_b32_e32 v13, 7, v13
	v_cmp_eq_u16_e32 vcc, 0, v10
	v_cndmask_b32_e32 v6, v6, v13, vcc
	v_cndmask_b32_e32 v10, v11, v12, vcc
	v_lshlrev_b32_e32 v11, 8, v3
	v_mov_b32_e32 v12, 0x3b800000
	v_lshlrev_b32_e32 v6, 20, v6
	v_and_b32_e32 v11, 0x80000000, v11
	v_lshl_add_u32 v10, v10, 23, v12
	v_or3_b32 v10, v11, v10, v6
.LBB45_696:
	s_or_b64 exec, exec, s[6:7]
	s_nop 0
	v_mfma_f32_16x16x4f32 a[0:3], v2, v10, a[0:3]
	s_movk_i32 s4, 0x7f
	v_cmp_gt_i16_sdwa s[6:7], v7, s4 src0_sel:BYTE_3 src1_sel:DWORD
	s_mov_b64 s[4:5], 0
                                        ; implicit-def: $sgpr10
	s_and_saveexec_b64 s[8:9], s[6:7]
	s_xor_b64 s[6:7], exec, s[8:9]
	s_cbranch_execnz .LBB45_2745
; %bb.697:
	s_or_saveexec_b64 s[6:7], s[6:7]
	v_mov_b32_e32 v2, s10
	s_xor_b64 exec, exec, s[6:7]
	s_cbranch_execnz .LBB45_2748
.LBB45_698:
	s_or_b64 exec, exec, s[6:7]
	s_and_saveexec_b64 s[6:7], s[4:5]
	s_cbranch_execz .LBB45_700
.LBB45_699:
	v_bfe_u32 v2, v7, 24, 3
	v_ffbh_u32_e32 v12, v2
	v_min_u32_e32 v12, 32, v12
	v_lshrrev_b32_e32 v10, 27, v7
	v_subrev_u32_e32 v13, 28, v12
	v_and_b32_e32 v6, 0x80000000, v7
	v_and_b32_e32 v10, 15, v10
	v_bfe_u32 v11, v7, 27, 4
	v_lshlrev_b32_sdwa v7, v13, v7 dst_sel:DWORD dst_unused:UNUSED_PAD src0_sel:DWORD src1_sel:BYTE_3
	v_sub_u32_e32 v12, 29, v12
	v_and_b32_e32 v7, 7, v7
	v_cmp_eq_u16_e32 vcc, 0, v10
	v_cndmask_b32_e32 v2, v2, v7, vcc
	v_cndmask_b32_e32 v7, v11, v12, vcc
	v_mov_b32_e32 v10, 0x3b800000
	v_lshlrev_b32_e32 v2, 20, v2
	v_lshl_add_u32 v7, v7, 23, v10
	v_or3_b32 v2, v6, v7, v2
.LBB45_700:
	s_or_b64 exec, exec, s[6:7]
	s_movk_i32 s4, 0x7f
	v_cmp_gt_i16_sdwa s[6:7], v3, s4 src0_sel:BYTE_3 src1_sel:DWORD
	s_mov_b64 s[4:5], 0
                                        ; implicit-def: $sgpr10
	s_and_saveexec_b64 s[8:9], s[6:7]
	s_xor_b64 s[6:7], exec, s[8:9]
	s_cbranch_execnz .LBB45_2749
; %bb.701:
	s_or_saveexec_b64 s[6:7], s[6:7]
	v_mov_b32_e32 v6, s10
	s_xor_b64 exec, exec, s[6:7]
	s_cbranch_execnz .LBB45_2752
.LBB45_702:
	s_or_b64 exec, exec, s[6:7]
	s_and_saveexec_b64 s[6:7], s[4:5]
	s_cbranch_execz .LBB45_704
.LBB45_703:
	v_bfe_u32 v6, v3, 24, 3
	v_ffbh_u32_e32 v12, v6
	v_min_u32_e32 v12, 32, v12
	v_lshrrev_b32_e32 v10, 27, v3
	v_subrev_u32_e32 v13, 28, v12
	v_and_b32_e32 v7, 0x80000000, v3
	v_and_b32_e32 v10, 15, v10
	v_bfe_u32 v11, v3, 27, 4
	v_lshlrev_b32_sdwa v3, v13, v3 dst_sel:DWORD dst_unused:UNUSED_PAD src0_sel:DWORD src1_sel:BYTE_3
	v_sub_u32_e32 v12, 29, v12
	v_and_b32_e32 v3, 7, v3
	v_cmp_eq_u16_e32 vcc, 0, v10
	v_cndmask_b32_e32 v3, v6, v3, vcc
	v_cndmask_b32_e32 v6, v11, v12, vcc
	v_mov_b32_e32 v10, 0x3b800000
	v_lshlrev_b32_e32 v3, 20, v3
	v_lshl_add_u32 v6, v6, 23, v10
	v_or3_b32 v6, v7, v6, v3
.LBB45_704:
	s_or_b64 exec, exec, s[6:7]
	s_nop 0
	v_mfma_f32_16x16x4f32 a[0:3], v2, v6, a[0:3]
	s_movk_i32 s4, 0x7f
	v_cmp_gt_i16_sdwa s[6:7], v8, s4 src0_sel:BYTE_0 src1_sel:DWORD
	s_mov_b64 s[4:5], 0
                                        ; implicit-def: $sgpr10
	s_and_saveexec_b64 s[8:9], s[6:7]
	s_xor_b64 s[6:7], exec, s[8:9]
	s_cbranch_execnz .LBB45_2753
; %bb.705:
	s_or_saveexec_b64 s[6:7], s[6:7]
	v_mov_b32_e32 v2, s10
	s_xor_b64 exec, exec, s[6:7]
	s_cbranch_execnz .LBB45_2756
.LBB45_706:
	s_or_b64 exec, exec, s[6:7]
	s_and_saveexec_b64 s[6:7], s[4:5]
	s_cbranch_execz .LBB45_708
.LBB45_707:
	v_and_b32_e32 v2, 7, v8
	v_ffbh_u32_e32 v6, v2
	v_min_u32_e32 v6, 32, v6
	v_lshrrev_b16_e32 v3, 3, v8
	v_subrev_u32_e32 v7, 28, v6
	v_and_b32_e32 v3, 15, v3
	v_lshlrev_b32_e32 v7, v7, v8
	v_sub_u32_e32 v6, 29, v6
	v_and_b32_e32 v7, 7, v7
	v_cmp_eq_u16_e32 vcc, 0, v3
	v_cndmask_b32_e32 v2, v2, v7, vcc
	v_cndmask_b32_e32 v3, v3, v6, vcc
	v_lshlrev_b32_e32 v6, 24, v8
	v_mov_b32_e32 v7, 0x3b800000
	v_lshlrev_b32_e32 v2, 20, v2
	v_and_b32_e32 v6, 0x80000000, v6
	v_lshl_add_u32 v3, v3, 23, v7
	v_or3_b32 v2, v6, v3, v2
.LBB45_708:
	s_or_b64 exec, exec, s[6:7]
	s_movk_i32 s4, 0x7f
	v_cmp_gt_i16_sdwa s[6:7], v4, s4 src0_sel:BYTE_0 src1_sel:DWORD
	s_mov_b64 s[4:5], 0
                                        ; implicit-def: $sgpr10
	s_and_saveexec_b64 s[8:9], s[6:7]
	s_xor_b64 s[6:7], exec, s[8:9]
	s_cbranch_execnz .LBB45_2757
; %bb.709:
	s_or_saveexec_b64 s[6:7], s[6:7]
	v_mov_b32_e32 v3, s10
	s_xor_b64 exec, exec, s[6:7]
	s_cbranch_execnz .LBB45_2760
.LBB45_710:
	s_or_b64 exec, exec, s[6:7]
	s_and_saveexec_b64 s[6:7], s[4:5]
	s_cbranch_execz .LBB45_712
.LBB45_711:
	v_and_b32_e32 v3, 7, v4
	v_ffbh_u32_e32 v7, v3
	v_min_u32_e32 v7, 32, v7
	v_lshrrev_b16_e32 v6, 3, v4
	v_subrev_u32_e32 v10, 28, v7
	v_and_b32_e32 v6, 15, v6
	v_lshlrev_b32_e32 v10, v10, v4
	v_sub_u32_e32 v7, 29, v7
	v_and_b32_e32 v10, 7, v10
	v_cmp_eq_u16_e32 vcc, 0, v6
	v_cndmask_b32_e32 v3, v3, v10, vcc
	v_cndmask_b32_e32 v6, v6, v7, vcc
	v_lshlrev_b32_e32 v7, 24, v4
	v_mov_b32_e32 v10, 0x3b800000
	v_lshlrev_b32_e32 v3, 20, v3
	v_and_b32_e32 v7, 0x80000000, v7
	v_lshl_add_u32 v6, v6, 23, v10
	v_or3_b32 v3, v7, v6, v3
.LBB45_712:
	s_or_b64 exec, exec, s[6:7]
	s_nop 0
	v_mfma_f32_16x16x4f32 a[0:3], v2, v3, a[0:3]
	v_lshrrev_b32_e32 v3, 8, v8
	s_movk_i32 s4, 0x7f
	v_cmp_gt_i16_sdwa s[6:7], v3, s4 src0_sel:BYTE_0 src1_sel:DWORD
	s_mov_b64 s[4:5], 0
                                        ; implicit-def: $sgpr10
	s_and_saveexec_b64 s[8:9], s[6:7]
	s_xor_b64 s[6:7], exec, s[8:9]
	s_cbranch_execnz .LBB45_2761
; %bb.713:
	s_or_saveexec_b64 s[6:7], s[6:7]
	v_mov_b32_e32 v2, s10
	s_xor_b64 exec, exec, s[6:7]
	s_cbranch_execnz .LBB45_2764
.LBB45_714:
	s_or_b64 exec, exec, s[6:7]
	s_and_saveexec_b64 s[6:7], s[4:5]
	s_cbranch_execz .LBB45_716
.LBB45_715:
	v_bfe_u32 v2, v8, 8, 3
	v_ffbh_u32_e32 v7, v2
	v_min_u32_e32 v7, 32, v7
	v_lshrrev_b16_e32 v6, 3, v3
	v_subrev_u32_e32 v10, 28, v7
	v_and_b32_e32 v6, 15, v6
	v_lshlrev_b32_e32 v3, v10, v3
	v_sub_u32_e32 v7, 29, v7
	v_and_b32_e32 v3, 7, v3
	v_cmp_eq_u16_e32 vcc, 0, v6
	v_cndmask_b32_e32 v2, v2, v3, vcc
	v_cndmask_b32_e32 v3, v6, v7, vcc
	v_lshlrev_b32_e32 v6, 16, v8
	v_mov_b32_e32 v7, 0x3b800000
	v_lshlrev_b32_e32 v2, 20, v2
	v_and_b32_e32 v6, 0x80000000, v6
	v_lshl_add_u32 v3, v3, 23, v7
	v_or3_b32 v2, v6, v3, v2
.LBB45_716:
	s_or_b64 exec, exec, s[6:7]
	v_lshrrev_b32_e32 v3, 8, v4
	s_movk_i32 s4, 0x7f
	v_cmp_gt_i16_sdwa s[6:7], v3, s4 src0_sel:BYTE_0 src1_sel:DWORD
	s_mov_b64 s[4:5], 0
                                        ; implicit-def: $sgpr10
	s_and_saveexec_b64 s[8:9], s[6:7]
	s_xor_b64 s[6:7], exec, s[8:9]
	s_cbranch_execnz .LBB45_2765
; %bb.717:
	s_or_saveexec_b64 s[6:7], s[6:7]
	v_mov_b32_e32 v6, s10
	s_xor_b64 exec, exec, s[6:7]
	s_cbranch_execnz .LBB45_2768
.LBB45_718:
	s_or_b64 exec, exec, s[6:7]
	s_and_saveexec_b64 s[6:7], s[4:5]
	s_cbranch_execz .LBB45_720
.LBB45_719:
	v_bfe_u32 v6, v4, 8, 3
	v_ffbh_u32_e32 v10, v6
	v_min_u32_e32 v10, 32, v10
	v_lshrrev_b16_e32 v7, 3, v3
	v_subrev_u32_e32 v11, 28, v10
	v_and_b32_e32 v7, 15, v7
	v_lshlrev_b32_e32 v3, v11, v3
	v_sub_u32_e32 v10, 29, v10
	v_and_b32_e32 v3, 7, v3
	v_cmp_eq_u16_e32 vcc, 0, v7
	v_cndmask_b32_e32 v3, v6, v3, vcc
	v_cndmask_b32_e32 v6, v7, v10, vcc
	v_lshlrev_b32_e32 v7, 16, v4
	v_mov_b32_e32 v10, 0x3b800000
	v_lshlrev_b32_e32 v3, 20, v3
	v_and_b32_e32 v7, 0x80000000, v7
	v_lshl_add_u32 v6, v6, 23, v10
	v_or3_b32 v6, v7, v6, v3
.LBB45_720:
	s_or_b64 exec, exec, s[6:7]
	s_nop 0
	v_mfma_f32_16x16x4f32 a[0:3], v2, v6, a[0:3]
	s_movk_i32 s4, 0xff
	v_and_b32_sdwa v3, v8, s4 dst_sel:DWORD dst_unused:UNUSED_PAD src0_sel:WORD_1 src1_sel:DWORD
	s_movk_i32 s4, 0x7f
	v_cmp_lt_i16_e32 vcc, s4, v3
	s_mov_b64 s[4:5], 0
                                        ; implicit-def: $sgpr10
	s_and_saveexec_b64 s[6:7], vcc
	s_xor_b64 s[6:7], exec, s[6:7]
	s_cbranch_execnz .LBB45_2769
; %bb.721:
	s_or_saveexec_b64 s[6:7], s[6:7]
	v_mov_b32_e32 v2, s10
	s_xor_b64 exec, exec, s[6:7]
	s_cbranch_execnz .LBB45_2772
.LBB45_722:
	s_or_b64 exec, exec, s[6:7]
	s_and_saveexec_b64 s[6:7], s[4:5]
	s_cbranch_execz .LBB45_724
.LBB45_723:
	v_bfe_u32 v2, v8, 16, 3
	v_ffbh_u32_e32 v7, v2
	v_min_u32_e32 v7, 32, v7
	v_lshrrev_b32_e32 v3, 19, v8
	v_subrev_u32_e32 v10, 28, v7
	v_and_b32_e32 v3, 15, v3
	v_lshlrev_b32_sdwa v10, v10, v8 dst_sel:DWORD dst_unused:UNUSED_PAD src0_sel:DWORD src1_sel:WORD_1
	v_bfe_u32 v6, v8, 19, 4
	v_sub_u32_e32 v7, 29, v7
	v_and_b32_e32 v10, 7, v10
	v_cmp_eq_u16_e32 vcc, 0, v3
	v_cndmask_b32_e32 v2, v2, v10, vcc
	v_cndmask_b32_e32 v3, v6, v7, vcc
	v_lshlrev_b32_e32 v6, 8, v8
	v_mov_b32_e32 v7, 0x3b800000
	v_lshlrev_b32_e32 v2, 20, v2
	v_and_b32_e32 v6, 0x80000000, v6
	v_lshl_add_u32 v3, v3, 23, v7
	v_or3_b32 v2, v6, v3, v2
.LBB45_724:
	s_or_b64 exec, exec, s[6:7]
	s_movk_i32 s4, 0xff
	v_and_b32_sdwa v3, v4, s4 dst_sel:DWORD dst_unused:UNUSED_PAD src0_sel:WORD_1 src1_sel:DWORD
	s_movk_i32 s4, 0x7f
	v_cmp_lt_i16_e32 vcc, s4, v3
	s_mov_b64 s[4:5], 0
                                        ; implicit-def: $sgpr10
	s_and_saveexec_b64 s[6:7], vcc
	s_xor_b64 s[6:7], exec, s[6:7]
	s_cbranch_execnz .LBB45_2773
; %bb.725:
	s_or_saveexec_b64 s[6:7], s[6:7]
	v_mov_b32_e32 v6, s10
	s_xor_b64 exec, exec, s[6:7]
	s_cbranch_execnz .LBB45_2776
.LBB45_726:
	s_or_b64 exec, exec, s[6:7]
	s_and_saveexec_b64 s[6:7], s[4:5]
	s_cbranch_execz .LBB45_728
.LBB45_727:
	v_bfe_u32 v3, v4, 16, 3
	v_ffbh_u32_e32 v10, v3
	v_min_u32_e32 v10, 32, v10
	v_lshrrev_b32_e32 v6, 19, v4
	v_subrev_u32_e32 v11, 28, v10
	v_and_b32_e32 v6, 15, v6
	v_lshlrev_b32_sdwa v11, v11, v4 dst_sel:DWORD dst_unused:UNUSED_PAD src0_sel:DWORD src1_sel:WORD_1
	v_bfe_u32 v7, v4, 19, 4
	v_sub_u32_e32 v10, 29, v10
	v_and_b32_e32 v11, 7, v11
	v_cmp_eq_u16_e32 vcc, 0, v6
	v_cndmask_b32_e32 v3, v3, v11, vcc
	v_cndmask_b32_e32 v6, v7, v10, vcc
	v_lshlrev_b32_e32 v7, 8, v4
	v_mov_b32_e32 v10, 0x3b800000
	v_lshlrev_b32_e32 v3, 20, v3
	v_and_b32_e32 v7, 0x80000000, v7
	v_lshl_add_u32 v6, v6, 23, v10
	v_or3_b32 v6, v7, v6, v3
.LBB45_728:
	s_or_b64 exec, exec, s[6:7]
	s_nop 0
	v_mfma_f32_16x16x4f32 a[0:3], v2, v6, a[0:3]
	s_movk_i32 s4, 0x7f
	v_cmp_gt_i16_sdwa s[6:7], v8, s4 src0_sel:BYTE_3 src1_sel:DWORD
	s_mov_b64 s[4:5], 0
                                        ; implicit-def: $sgpr10
	s_and_saveexec_b64 s[8:9], s[6:7]
	s_xor_b64 s[6:7], exec, s[8:9]
	s_cbranch_execnz .LBB45_2777
; %bb.729:
	s_or_saveexec_b64 s[6:7], s[6:7]
	v_mov_b32_e32 v2, s10
	s_xor_b64 exec, exec, s[6:7]
	s_cbranch_execnz .LBB45_2780
.LBB45_730:
	s_or_b64 exec, exec, s[6:7]
	s_and_saveexec_b64 s[6:7], s[4:5]
	s_cbranch_execz .LBB45_732
.LBB45_731:
	v_bfe_u32 v2, v8, 24, 3
	v_ffbh_u32_e32 v10, v2
	v_min_u32_e32 v10, 32, v10
	v_lshrrev_b32_e32 v6, 27, v8
	v_subrev_u32_e32 v11, 28, v10
	v_and_b32_e32 v3, 0x80000000, v8
	v_and_b32_e32 v6, 15, v6
	v_bfe_u32 v7, v8, 27, 4
	v_lshlrev_b32_sdwa v8, v11, v8 dst_sel:DWORD dst_unused:UNUSED_PAD src0_sel:DWORD src1_sel:BYTE_3
	v_sub_u32_e32 v10, 29, v10
	v_and_b32_e32 v8, 7, v8
	v_cmp_eq_u16_e32 vcc, 0, v6
	v_cndmask_b32_e32 v2, v2, v8, vcc
	v_cndmask_b32_e32 v6, v7, v10, vcc
	v_mov_b32_e32 v7, 0x3b800000
	v_lshlrev_b32_e32 v2, 20, v2
	v_lshl_add_u32 v6, v6, 23, v7
	v_or3_b32 v2, v3, v6, v2
.LBB45_732:
	s_or_b64 exec, exec, s[6:7]
	s_movk_i32 s4, 0x7f
	v_cmp_gt_i16_sdwa s[6:7], v4, s4 src0_sel:BYTE_3 src1_sel:DWORD
	s_mov_b64 s[4:5], 0
                                        ; implicit-def: $sgpr10
	s_and_saveexec_b64 s[8:9], s[6:7]
	s_xor_b64 s[6:7], exec, s[8:9]
	s_cbranch_execnz .LBB45_2781
; %bb.733:
	s_or_saveexec_b64 s[6:7], s[6:7]
	v_mov_b32_e32 v3, s10
	s_xor_b64 exec, exec, s[6:7]
	s_cbranch_execnz .LBB45_2784
.LBB45_734:
	s_or_b64 exec, exec, s[6:7]
	s_and_saveexec_b64 s[6:7], s[4:5]
	s_cbranch_execz .LBB45_736
.LBB45_735:
	v_bfe_u32 v3, v4, 24, 3
	v_ffbh_u32_e32 v10, v3
	v_min_u32_e32 v10, 32, v10
	v_lshrrev_b32_e32 v7, 27, v4
	v_subrev_u32_e32 v11, 28, v10
	v_and_b32_e32 v6, 0x80000000, v4
	v_and_b32_e32 v7, 15, v7
	v_bfe_u32 v8, v4, 27, 4
	v_lshlrev_b32_sdwa v4, v11, v4 dst_sel:DWORD dst_unused:UNUSED_PAD src0_sel:DWORD src1_sel:BYTE_3
	v_sub_u32_e32 v10, 29, v10
	v_and_b32_e32 v4, 7, v4
	v_cmp_eq_u16_e32 vcc, 0, v7
	v_cndmask_b32_e32 v3, v3, v4, vcc
	v_cndmask_b32_e32 v4, v8, v10, vcc
	v_mov_b32_e32 v7, 0x3b800000
	v_lshlrev_b32_e32 v3, 20, v3
	v_lshl_add_u32 v4, v4, 23, v7
	v_or3_b32 v3, v6, v4, v3
.LBB45_736:
	s_or_b64 exec, exec, s[6:7]
	s_nop 0
	v_mfma_f32_16x16x4f32 a[0:3], v2, v3, a[0:3]
	s_movk_i32 s4, 0x7f
	v_cmp_gt_i16_sdwa s[6:7], v9, s4 src0_sel:BYTE_0 src1_sel:DWORD
	s_mov_b64 s[4:5], 0
                                        ; implicit-def: $sgpr10
	s_and_saveexec_b64 s[8:9], s[6:7]
	s_xor_b64 s[6:7], exec, s[8:9]
	s_cbranch_execnz .LBB45_2785
; %bb.737:
	s_or_saveexec_b64 s[6:7], s[6:7]
	v_mov_b32_e32 v2, s10
	s_xor_b64 exec, exec, s[6:7]
	s_cbranch_execnz .LBB45_2788
.LBB45_738:
	s_or_b64 exec, exec, s[6:7]
	s_and_saveexec_b64 s[6:7], s[4:5]
	s_cbranch_execz .LBB45_740
.LBB45_739:
	v_mov_b32_e32 v2, 8
	v_and_b32_e32 v3, 7, v9
	v_lshrrev_b32_sdwa v2, v2, v9 dst_sel:BYTE_1 dst_unused:UNUSED_PAD src0_sel:DWORD src1_sel:DWORD
	v_ffbh_u32_e32 v4, v3
	v_or_b32_sdwa v2, v9, v2 dst_sel:DWORD dst_unused:UNUSED_PAD src0_sel:BYTE_0 src1_sel:DWORD
	v_min_u32_e32 v4, 32, v4
	v_lshrrev_b16_e32 v2, 3, v2
	v_subrev_u32_e32 v6, 28, v4
	v_and_b32_e32 v2, 15, v2
	v_lshlrev_b32_e32 v6, v6, v9
	v_sub_u32_e32 v4, 29, v4
	v_and_b32_e32 v6, 7, v6
	v_cmp_eq_u16_e32 vcc, 0, v2
	v_cndmask_b32_e32 v3, v3, v6, vcc
	v_cndmask_b32_e32 v2, v2, v4, vcc
	v_lshlrev_b32_e32 v4, 24, v9
	v_mov_b32_e32 v6, 0x3b800000
	v_lshlrev_b32_e32 v3, 20, v3
	v_and_b32_e32 v4, 0x80000000, v4
	v_lshl_add_u32 v2, v2, 23, v6
	v_or3_b32 v2, v4, v2, v3
.LBB45_740:
	s_or_b64 exec, exec, s[6:7]
	s_movk_i32 s4, 0x7f
	v_cmp_gt_i16_sdwa s[6:7], v5, s4 src0_sel:BYTE_0 src1_sel:DWORD
	s_mov_b64 s[4:5], 0
                                        ; implicit-def: $sgpr10
	s_and_saveexec_b64 s[8:9], s[6:7]
	s_xor_b64 s[6:7], exec, s[8:9]
	s_cbranch_execnz .LBB45_2789
; %bb.741:
	s_or_saveexec_b64 s[6:7], s[6:7]
	v_mov_b32_e32 v3, s10
	s_xor_b64 exec, exec, s[6:7]
	s_cbranch_execnz .LBB45_2792
.LBB45_742:
	s_or_b64 exec, exec, s[6:7]
	s_and_saveexec_b64 s[6:7], s[4:5]
	s_cbranch_execz .LBB45_744
.LBB45_743:
	v_mov_b32_e32 v3, 8
	v_and_b32_e32 v4, 7, v5
	v_lshrrev_b32_sdwa v3, v3, v5 dst_sel:BYTE_1 dst_unused:UNUSED_PAD src0_sel:DWORD src1_sel:DWORD
	v_ffbh_u32_e32 v6, v4
	v_or_b32_sdwa v3, v5, v3 dst_sel:DWORD dst_unused:UNUSED_PAD src0_sel:BYTE_0 src1_sel:DWORD
	v_min_u32_e32 v6, 32, v6
	v_lshrrev_b16_e32 v3, 3, v3
	v_subrev_u32_e32 v7, 28, v6
	v_and_b32_e32 v3, 15, v3
	v_lshlrev_b32_e32 v7, v7, v5
	v_sub_u32_e32 v6, 29, v6
	v_and_b32_e32 v7, 7, v7
	v_cmp_eq_u16_e32 vcc, 0, v3
	v_cndmask_b32_e32 v4, v4, v7, vcc
	v_cndmask_b32_e32 v3, v3, v6, vcc
	v_lshlrev_b32_e32 v6, 24, v5
	v_mov_b32_e32 v7, 0x3b800000
	v_lshlrev_b32_e32 v4, 20, v4
	v_and_b32_e32 v6, 0x80000000, v6
	v_lshl_add_u32 v3, v3, 23, v7
	v_or3_b32 v3, v6, v3, v4
.LBB45_744:
	s_or_b64 exec, exec, s[6:7]
	s_nop 0
	v_mfma_f32_16x16x4f32 a[0:3], v2, v3, a[0:3]
	v_lshrrev_b32_e32 v3, 8, v9
	s_movk_i32 s4, 0x7f
	v_cmp_gt_i16_sdwa s[6:7], v3, s4 src0_sel:BYTE_0 src1_sel:DWORD
	s_mov_b64 s[4:5], 0
                                        ; implicit-def: $sgpr10
	s_and_saveexec_b64 s[8:9], s[6:7]
	s_xor_b64 s[6:7], exec, s[8:9]
	s_cbranch_execnz .LBB45_2793
; %bb.745:
	s_or_saveexec_b64 s[6:7], s[6:7]
	v_mov_b32_e32 v2, s10
	s_xor_b64 exec, exec, s[6:7]
	s_cbranch_execnz .LBB45_2796
.LBB45_746:
	s_or_b64 exec, exec, s[6:7]
	s_and_saveexec_b64 s[6:7], s[4:5]
	s_cbranch_execz .LBB45_748
.LBB45_747:
	v_bfe_u32 v2, v9, 8, 3
	v_ffbh_u32_e32 v6, v2
	v_min_u32_e32 v6, 32, v6
	v_lshrrev_b16_e32 v4, 3, v3
	v_subrev_u32_e32 v7, 28, v6
	v_and_b32_e32 v4, 15, v4
	v_lshlrev_b32_e32 v3, v7, v3
	v_sub_u32_e32 v6, 29, v6
	v_and_b32_e32 v3, 7, v3
	v_cmp_eq_u16_e32 vcc, 0, v4
	v_cndmask_b32_e32 v2, v2, v3, vcc
	v_cndmask_b32_e32 v3, v4, v6, vcc
	v_lshlrev_b32_e32 v4, 16, v9
	v_mov_b32_e32 v6, 0x3b800000
	v_lshlrev_b32_e32 v2, 20, v2
	v_and_b32_e32 v4, 0x80000000, v4
	v_lshl_add_u32 v3, v3, 23, v6
	v_or3_b32 v2, v4, v3, v2
.LBB45_748:
	s_or_b64 exec, exec, s[6:7]
	v_lshrrev_b32_e32 v3, 8, v5
	s_movk_i32 s4, 0x7f
	v_cmp_gt_i16_sdwa s[6:7], v3, s4 src0_sel:BYTE_0 src1_sel:DWORD
	s_mov_b64 s[4:5], 0
                                        ; implicit-def: $sgpr10
	s_and_saveexec_b64 s[8:9], s[6:7]
	s_xor_b64 s[6:7], exec, s[8:9]
	s_cbranch_execnz .LBB45_2797
; %bb.749:
	s_or_saveexec_b64 s[6:7], s[6:7]
	v_mov_b32_e32 v4, s10
	s_xor_b64 exec, exec, s[6:7]
	s_cbranch_execnz .LBB45_2800
.LBB45_750:
	s_or_b64 exec, exec, s[6:7]
	s_and_saveexec_b64 s[6:7], s[4:5]
	s_cbranch_execz .LBB45_752
.LBB45_751:
	v_bfe_u32 v4, v5, 8, 3
	v_ffbh_u32_e32 v7, v4
	v_min_u32_e32 v7, 32, v7
	v_lshrrev_b16_e32 v6, 3, v3
	v_subrev_u32_e32 v8, 28, v7
	v_and_b32_e32 v6, 15, v6
	v_lshlrev_b32_e32 v3, v8, v3
	v_sub_u32_e32 v7, 29, v7
	v_and_b32_e32 v3, 7, v3
	v_cmp_eq_u16_e32 vcc, 0, v6
	v_cndmask_b32_e32 v3, v4, v3, vcc
	v_cndmask_b32_e32 v4, v6, v7, vcc
	v_lshlrev_b32_e32 v6, 16, v5
	v_mov_b32_e32 v7, 0x3b800000
	v_lshlrev_b32_e32 v3, 20, v3
	v_and_b32_e32 v6, 0x80000000, v6
	v_lshl_add_u32 v4, v4, 23, v7
	v_or3_b32 v4, v6, v4, v3
.LBB45_752:
	s_or_b64 exec, exec, s[6:7]
	s_nop 0
	v_mfma_f32_16x16x4f32 a[0:3], v2, v4, a[0:3]
	s_movk_i32 s4, 0xff
	v_and_b32_sdwa v3, v9, s4 dst_sel:DWORD dst_unused:UNUSED_PAD src0_sel:WORD_1 src1_sel:DWORD
	s_movk_i32 s4, 0x7f
	v_cmp_lt_i16_e32 vcc, s4, v3
	s_mov_b64 s[4:5], 0
                                        ; implicit-def: $sgpr10
	s_and_saveexec_b64 s[6:7], vcc
	s_xor_b64 s[6:7], exec, s[6:7]
	s_cbranch_execnz .LBB45_2801
; %bb.753:
	s_or_saveexec_b64 s[6:7], s[6:7]
	v_mov_b32_e32 v2, s10
	s_xor_b64 exec, exec, s[6:7]
	s_cbranch_execnz .LBB45_2804
.LBB45_754:
	s_or_b64 exec, exec, s[6:7]
	s_and_saveexec_b64 s[6:7], s[4:5]
	s_cbranch_execz .LBB45_756
.LBB45_755:
	v_bfe_u32 v2, v9, 16, 3
	v_ffbh_u32_e32 v6, v2
	v_min_u32_e32 v6, 32, v6
	v_lshrrev_b32_e32 v3, 19, v9
	v_subrev_u32_e32 v7, 28, v6
	v_and_b32_e32 v3, 15, v3
	v_lshlrev_b32_sdwa v7, v7, v9 dst_sel:DWORD dst_unused:UNUSED_PAD src0_sel:DWORD src1_sel:WORD_1
	v_bfe_u32 v4, v9, 19, 4
	v_sub_u32_e32 v6, 29, v6
	v_and_b32_e32 v7, 7, v7
	v_cmp_eq_u16_e32 vcc, 0, v3
	v_cndmask_b32_e32 v2, v2, v7, vcc
	v_cndmask_b32_e32 v3, v4, v6, vcc
	v_lshlrev_b32_e32 v4, 8, v9
	v_mov_b32_e32 v6, 0x3b800000
	v_lshlrev_b32_e32 v2, 20, v2
	v_and_b32_e32 v4, 0x80000000, v4
	v_lshl_add_u32 v3, v3, 23, v6
	v_or3_b32 v2, v4, v3, v2
.LBB45_756:
	s_or_b64 exec, exec, s[6:7]
	s_movk_i32 s4, 0xff
	v_and_b32_sdwa v3, v5, s4 dst_sel:DWORD dst_unused:UNUSED_PAD src0_sel:WORD_1 src1_sel:DWORD
	s_movk_i32 s4, 0x7f
	v_cmp_lt_i16_e32 vcc, s4, v3
	s_mov_b64 s[4:5], 0
                                        ; implicit-def: $sgpr10
	s_and_saveexec_b64 s[6:7], vcc
	s_xor_b64 s[6:7], exec, s[6:7]
	s_cbranch_execnz .LBB45_2805
; %bb.757:
	s_or_saveexec_b64 s[6:7], s[6:7]
	v_mov_b32_e32 v4, s10
	s_xor_b64 exec, exec, s[6:7]
	s_cbranch_execnz .LBB45_2808
.LBB45_758:
	s_or_b64 exec, exec, s[6:7]
	s_and_saveexec_b64 s[6:7], s[4:5]
	s_cbranch_execz .LBB45_760
.LBB45_759:
	v_bfe_u32 v3, v5, 16, 3
	v_ffbh_u32_e32 v7, v3
	v_min_u32_e32 v7, 32, v7
	v_lshrrev_b32_e32 v4, 19, v5
	v_subrev_u32_e32 v8, 28, v7
	v_and_b32_e32 v4, 15, v4
	v_lshlrev_b32_sdwa v8, v8, v5 dst_sel:DWORD dst_unused:UNUSED_PAD src0_sel:DWORD src1_sel:WORD_1
	v_bfe_u32 v6, v5, 19, 4
	v_sub_u32_e32 v7, 29, v7
	v_and_b32_e32 v8, 7, v8
	v_cmp_eq_u16_e32 vcc, 0, v4
	v_cndmask_b32_e32 v3, v3, v8, vcc
	v_cndmask_b32_e32 v4, v6, v7, vcc
	v_lshlrev_b32_e32 v6, 8, v5
	v_mov_b32_e32 v7, 0x3b800000
	v_lshlrev_b32_e32 v3, 20, v3
	v_and_b32_e32 v6, 0x80000000, v6
	v_lshl_add_u32 v4, v4, 23, v7
	v_or3_b32 v4, v6, v4, v3
.LBB45_760:
	s_or_b64 exec, exec, s[6:7]
	s_nop 0
	v_mfma_f32_16x16x4f32 a[0:3], v2, v4, a[0:3]
	s_movk_i32 s4, 0x7f
	v_cmp_gt_i16_sdwa s[6:7], v9, s4 src0_sel:BYTE_3 src1_sel:DWORD
	s_mov_b64 s[4:5], 0
                                        ; implicit-def: $sgpr10
	s_and_saveexec_b64 s[8:9], s[6:7]
	s_xor_b64 s[6:7], exec, s[8:9]
	s_cbranch_execnz .LBB45_2809
; %bb.761:
	s_or_saveexec_b64 s[6:7], s[6:7]
	v_mov_b32_e32 v2, s10
	s_xor_b64 exec, exec, s[6:7]
	s_cbranch_execnz .LBB45_2812
.LBB45_762:
	s_or_b64 exec, exec, s[6:7]
	s_and_saveexec_b64 s[6:7], s[4:5]
	s_cbranch_execz .LBB45_764
.LBB45_763:
	v_bfe_u32 v2, v9, 24, 3
	v_ffbh_u32_e32 v7, v2
	v_min_u32_e32 v7, 32, v7
	v_lshrrev_b32_e32 v4, 27, v9
	v_subrev_u32_e32 v8, 28, v7
	v_and_b32_e32 v4, 15, v4
	v_lshlrev_b32_sdwa v8, v8, v9 dst_sel:DWORD dst_unused:UNUSED_PAD src0_sel:DWORD src1_sel:BYTE_3
	v_bfe_u32 v6, v9, 27, 4
	v_sub_u32_e32 v7, 29, v7
	v_and_b32_e32 v8, 7, v8
	v_cmp_eq_u16_e32 vcc, 0, v4
	v_cndmask_b32_e32 v2, v2, v8, vcc
	v_cndmask_b32_e32 v4, v6, v7, vcc
	v_mov_b32_e32 v6, 0x3b800000
	v_and_b32_e32 v3, 0x80000000, v9
	v_lshlrev_b32_e32 v2, 20, v2
	v_lshl_add_u32 v4, v4, 23, v6
	v_or3_b32 v2, v3, v4, v2
.LBB45_764:
	s_or_b64 exec, exec, s[6:7]
	s_movk_i32 s4, 0x7f
	v_cmp_gt_i16_sdwa s[6:7], v5, s4 src0_sel:BYTE_3 src1_sel:DWORD
	s_mov_b64 s[4:5], 0
                                        ; implicit-def: $sgpr10
	s_and_saveexec_b64 s[8:9], s[6:7]
	s_xor_b64 s[6:7], exec, s[8:9]
	s_cbranch_execnz .LBB45_2813
; %bb.765:
	s_or_saveexec_b64 s[6:7], s[6:7]
	v_mov_b32_e32 v3, s10
	s_xor_b64 exec, exec, s[6:7]
	s_cbranch_execnz .LBB45_2816
.LBB45_766:
	s_or_b64 exec, exec, s[6:7]
	s_and_saveexec_b64 s[6:7], s[4:5]
	s_cbranch_execz .LBB45_768
.LBB45_767:
	v_bfe_u32 v3, v5, 24, 3
	v_ffbh_u32_e32 v8, v3
	v_min_u32_e32 v8, 32, v8
	v_lshrrev_b32_e32 v6, 27, v5
	v_subrev_u32_e32 v9, 28, v8
	v_and_b32_e32 v4, 0x80000000, v5
	v_and_b32_e32 v6, 15, v6
	v_bfe_u32 v7, v5, 27, 4
	v_lshlrev_b32_sdwa v5, v9, v5 dst_sel:DWORD dst_unused:UNUSED_PAD src0_sel:DWORD src1_sel:BYTE_3
	v_sub_u32_e32 v8, 29, v8
	v_and_b32_e32 v5, 7, v5
	v_cmp_eq_u16_e32 vcc, 0, v6
	v_cndmask_b32_e32 v3, v3, v5, vcc
	v_cndmask_b32_e32 v5, v7, v8, vcc
	v_mov_b32_e32 v6, 0x3b800000
	v_lshlrev_b32_e32 v3, 20, v3
	v_lshl_add_u32 v5, v5, 23, v6
	v_or3_b32 v3, v4, v5, v3
.LBB45_768:
	s_or_b64 exec, exec, s[6:7]
	s_nop 0
	v_mfma_f32_16x16x4f32 a[0:3], v2, v3, a[0:3]
	s_movk_i32 s4, 0x7f
                                        ; implicit-def: $sgpr10
	s_nop 7
	s_nop 1
	flat_store_dwordx4 v[18:19], a[0:3] offset:160
	flat_load_dwordx4 v[20:23], v[0:1] offset:8
	s_nop 0
	flat_load_dwordx2 v[18:19], v[0:1] offset:24
	s_waitcnt vmcnt(0) lgkmcnt(0)
	flat_load_dwordx4 v[14:17], v[20:21] offset:32
	flat_load_dwordx4 v[6:9], v[20:21] offset:48
	;; [unrolled: 1-line block ×4, first 2 shown]
	s_waitcnt vmcnt(0) lgkmcnt(0)
	v_cmp_gt_i16_sdwa s[6:7], v14, s4 src0_sel:BYTE_0 src1_sel:DWORD
	s_mov_b64 s[4:5], 0
	s_and_saveexec_b64 s[8:9], s[6:7]
	s_xor_b64 s[6:7], exec, s[8:9]
	s_cbranch_execnz .LBB45_2817
; %bb.769:
	s_or_saveexec_b64 s[6:7], s[6:7]
	v_mov_b32_e32 v20, s10
	s_xor_b64 exec, exec, s[6:7]
	s_cbranch_execnz .LBB45_2820
.LBB45_770:
	s_or_b64 exec, exec, s[6:7]
	s_and_saveexec_b64 s[6:7], s[4:5]
	s_cbranch_execz .LBB45_772
.LBB45_771:
	v_and_b32_e32 v20, 7, v14
	v_ffbh_u32_e32 v22, v20
	v_min_u32_e32 v22, 32, v22
	v_lshrrev_b16_e32 v21, 3, v14
	v_subrev_u32_e32 v23, 28, v22
	v_and_b32_e32 v21, 15, v21
	v_lshlrev_b32_e32 v23, v23, v14
	v_sub_u32_e32 v22, 29, v22
	v_and_b32_e32 v23, 7, v23
	v_cmp_eq_u16_e32 vcc, 0, v21
	v_cndmask_b32_e32 v20, v20, v23, vcc
	v_cndmask_b32_e32 v21, v21, v22, vcc
	v_lshlrev_b32_e32 v22, 24, v14
	v_mov_b32_e32 v23, 0x3b800000
	v_lshlrev_b32_e32 v20, 20, v20
	v_and_b32_e32 v22, 0x80000000, v22
	v_lshl_add_u32 v21, v21, 23, v23
	v_or3_b32 v20, v22, v21, v20
.LBB45_772:
	s_or_b64 exec, exec, s[6:7]
	s_movk_i32 s4, 0x7f
	v_cmp_gt_i16_sdwa s[6:7], v10, s4 src0_sel:BYTE_0 src1_sel:DWORD
	s_mov_b64 s[4:5], 0
                                        ; implicit-def: $sgpr10
	s_and_saveexec_b64 s[8:9], s[6:7]
	s_xor_b64 s[6:7], exec, s[8:9]
	s_cbranch_execnz .LBB45_2821
; %bb.773:
	s_or_saveexec_b64 s[6:7], s[6:7]
	v_mov_b32_e32 v21, s10
	s_xor_b64 exec, exec, s[6:7]
	s_cbranch_execnz .LBB45_2824
.LBB45_774:
	s_or_b64 exec, exec, s[6:7]
	s_and_saveexec_b64 s[6:7], s[4:5]
	s_cbranch_execz .LBB45_776
.LBB45_775:
	v_and_b32_e32 v21, 7, v10
	v_ffbh_u32_e32 v23, v21
	v_min_u32_e32 v23, 32, v23
	v_lshrrev_b16_e32 v22, 3, v10
	v_subrev_u32_e32 v24, 28, v23
	v_and_b32_e32 v22, 15, v22
	v_lshlrev_b32_e32 v24, v24, v10
	v_sub_u32_e32 v23, 29, v23
	v_and_b32_e32 v24, 7, v24
	v_cmp_eq_u16_e32 vcc, 0, v22
	v_cndmask_b32_e32 v21, v21, v24, vcc
	v_cndmask_b32_e32 v22, v22, v23, vcc
	v_lshlrev_b32_e32 v23, 24, v10
	v_mov_b32_e32 v24, 0x3b800000
	v_lshlrev_b32_e32 v21, 20, v21
	v_and_b32_e32 v23, 0x80000000, v23
	v_lshl_add_u32 v22, v22, 23, v24
	v_or3_b32 v21, v23, v22, v21
.LBB45_776:
	s_or_b64 exec, exec, s[6:7]
	flat_load_dwordx4 a[0:3], v[18:19] offset:176
	s_movk_i32 s4, 0x7f
                                        ; implicit-def: $sgpr10
	s_waitcnt vmcnt(0) lgkmcnt(0)
	v_mfma_f32_16x16x4f32 a[0:3], v20, v21, a[0:3]
	v_lshrrev_b32_e32 v21, 8, v14
	v_cmp_gt_i16_sdwa s[6:7], v21, s4 src0_sel:BYTE_0 src1_sel:DWORD
	s_mov_b64 s[4:5], 0
	s_and_saveexec_b64 s[8:9], s[6:7]
	s_xor_b64 s[6:7], exec, s[8:9]
	s_cbranch_execnz .LBB45_2825
; %bb.777:
	s_or_saveexec_b64 s[6:7], s[6:7]
	v_mov_b32_e32 v20, s10
	s_xor_b64 exec, exec, s[6:7]
	s_cbranch_execnz .LBB45_2828
.LBB45_778:
	s_or_b64 exec, exec, s[6:7]
	s_and_saveexec_b64 s[6:7], s[4:5]
	s_cbranch_execz .LBB45_780
.LBB45_779:
	v_bfe_u32 v20, v14, 8, 3
	v_ffbh_u32_e32 v23, v20
	v_min_u32_e32 v23, 32, v23
	v_lshrrev_b16_e32 v22, 3, v21
	v_subrev_u32_e32 v24, 28, v23
	v_and_b32_e32 v22, 15, v22
	v_lshlrev_b32_e32 v21, v24, v21
	v_sub_u32_e32 v23, 29, v23
	v_and_b32_e32 v21, 7, v21
	v_cmp_eq_u16_e32 vcc, 0, v22
	v_cndmask_b32_e32 v20, v20, v21, vcc
	v_cndmask_b32_e32 v21, v22, v23, vcc
	v_lshlrev_b32_e32 v22, 16, v14
	v_mov_b32_e32 v23, 0x3b800000
	v_lshlrev_b32_e32 v20, 20, v20
	v_and_b32_e32 v22, 0x80000000, v22
	v_lshl_add_u32 v21, v21, 23, v23
	v_or3_b32 v20, v22, v21, v20
.LBB45_780:
	s_or_b64 exec, exec, s[6:7]
	v_lshrrev_b32_e32 v21, 8, v10
	s_movk_i32 s4, 0x7f
	v_cmp_gt_i16_sdwa s[6:7], v21, s4 src0_sel:BYTE_0 src1_sel:DWORD
	s_mov_b64 s[4:5], 0
                                        ; implicit-def: $sgpr10
	s_and_saveexec_b64 s[8:9], s[6:7]
	s_xor_b64 s[6:7], exec, s[8:9]
	s_cbranch_execnz .LBB45_2829
; %bb.781:
	s_or_saveexec_b64 s[6:7], s[6:7]
	v_mov_b32_e32 v22, s10
	s_xor_b64 exec, exec, s[6:7]
	s_cbranch_execnz .LBB45_2832
.LBB45_782:
	s_or_b64 exec, exec, s[6:7]
	s_and_saveexec_b64 s[6:7], s[4:5]
	s_cbranch_execz .LBB45_784
.LBB45_783:
	v_bfe_u32 v22, v10, 8, 3
	v_ffbh_u32_e32 v24, v22
	v_min_u32_e32 v24, 32, v24
	v_lshrrev_b16_e32 v23, 3, v21
	v_subrev_u32_e32 v25, 28, v24
	v_and_b32_e32 v23, 15, v23
	v_lshlrev_b32_e32 v21, v25, v21
	v_sub_u32_e32 v24, 29, v24
	v_and_b32_e32 v21, 7, v21
	v_cmp_eq_u16_e32 vcc, 0, v23
	v_cndmask_b32_e32 v21, v22, v21, vcc
	v_cndmask_b32_e32 v22, v23, v24, vcc
	v_lshlrev_b32_e32 v23, 16, v10
	v_mov_b32_e32 v24, 0x3b800000
	v_lshlrev_b32_e32 v21, 20, v21
	v_and_b32_e32 v23, 0x80000000, v23
	v_lshl_add_u32 v22, v22, 23, v24
	v_or3_b32 v22, v23, v22, v21
.LBB45_784:
	s_or_b64 exec, exec, s[6:7]
	s_nop 0
	v_mfma_f32_16x16x4f32 a[0:3], v20, v22, a[0:3]
	s_movk_i32 s4, 0xff
	v_and_b32_sdwa v21, v14, s4 dst_sel:DWORD dst_unused:UNUSED_PAD src0_sel:WORD_1 src1_sel:DWORD
	s_movk_i32 s4, 0x7f
	v_cmp_lt_i16_e32 vcc, s4, v21
	s_mov_b64 s[4:5], 0
                                        ; implicit-def: $sgpr10
	s_and_saveexec_b64 s[6:7], vcc
	s_xor_b64 s[6:7], exec, s[6:7]
	s_cbranch_execnz .LBB45_2833
; %bb.785:
	s_or_saveexec_b64 s[6:7], s[6:7]
	v_mov_b32_e32 v20, s10
	s_xor_b64 exec, exec, s[6:7]
	s_cbranch_execnz .LBB45_2836
.LBB45_786:
	s_or_b64 exec, exec, s[6:7]
	s_and_saveexec_b64 s[6:7], s[4:5]
	s_cbranch_execz .LBB45_788
.LBB45_787:
	v_bfe_u32 v20, v14, 16, 3
	v_ffbh_u32_e32 v23, v20
	v_min_u32_e32 v23, 32, v23
	v_lshrrev_b32_e32 v21, 19, v14
	v_subrev_u32_e32 v24, 28, v23
	v_and_b32_e32 v21, 15, v21
	v_lshlrev_b32_sdwa v24, v24, v14 dst_sel:DWORD dst_unused:UNUSED_PAD src0_sel:DWORD src1_sel:WORD_1
	v_bfe_u32 v22, v14, 19, 4
	v_sub_u32_e32 v23, 29, v23
	v_and_b32_e32 v24, 7, v24
	v_cmp_eq_u16_e32 vcc, 0, v21
	v_cndmask_b32_e32 v20, v20, v24, vcc
	v_cndmask_b32_e32 v21, v22, v23, vcc
	v_lshlrev_b32_e32 v22, 8, v14
	v_mov_b32_e32 v23, 0x3b800000
	v_lshlrev_b32_e32 v20, 20, v20
	v_and_b32_e32 v22, 0x80000000, v22
	v_lshl_add_u32 v21, v21, 23, v23
	v_or3_b32 v20, v22, v21, v20
.LBB45_788:
	s_or_b64 exec, exec, s[6:7]
	s_movk_i32 s4, 0xff
	v_and_b32_sdwa v21, v10, s4 dst_sel:DWORD dst_unused:UNUSED_PAD src0_sel:WORD_1 src1_sel:DWORD
	s_movk_i32 s4, 0x7f
	v_cmp_lt_i16_e32 vcc, s4, v21
	s_mov_b64 s[4:5], 0
                                        ; implicit-def: $sgpr10
	s_and_saveexec_b64 s[6:7], vcc
	s_xor_b64 s[6:7], exec, s[6:7]
	s_cbranch_execnz .LBB45_2837
; %bb.789:
	s_or_saveexec_b64 s[6:7], s[6:7]
	v_mov_b32_e32 v22, s10
	s_xor_b64 exec, exec, s[6:7]
	s_cbranch_execnz .LBB45_2840
.LBB45_790:
	s_or_b64 exec, exec, s[6:7]
	s_and_saveexec_b64 s[6:7], s[4:5]
	s_cbranch_execz .LBB45_792
.LBB45_791:
	v_bfe_u32 v21, v10, 16, 3
	v_ffbh_u32_e32 v24, v21
	v_min_u32_e32 v24, 32, v24
	v_lshrrev_b32_e32 v22, 19, v10
	v_subrev_u32_e32 v25, 28, v24
	v_and_b32_e32 v22, 15, v22
	v_lshlrev_b32_sdwa v25, v25, v10 dst_sel:DWORD dst_unused:UNUSED_PAD src0_sel:DWORD src1_sel:WORD_1
	v_bfe_u32 v23, v10, 19, 4
	v_sub_u32_e32 v24, 29, v24
	v_and_b32_e32 v25, 7, v25
	v_cmp_eq_u16_e32 vcc, 0, v22
	v_cndmask_b32_e32 v21, v21, v25, vcc
	v_cndmask_b32_e32 v22, v23, v24, vcc
	v_lshlrev_b32_e32 v23, 8, v10
	v_mov_b32_e32 v24, 0x3b800000
	v_lshlrev_b32_e32 v21, 20, v21
	v_and_b32_e32 v23, 0x80000000, v23
	v_lshl_add_u32 v22, v22, 23, v24
	v_or3_b32 v22, v23, v22, v21
.LBB45_792:
	s_or_b64 exec, exec, s[6:7]
	s_nop 0
	v_mfma_f32_16x16x4f32 a[0:3], v20, v22, a[0:3]
	s_movk_i32 s4, 0x7f
	v_cmp_gt_i16_sdwa s[6:7], v14, s4 src0_sel:BYTE_3 src1_sel:DWORD
	s_mov_b64 s[4:5], 0
                                        ; implicit-def: $sgpr10
	s_and_saveexec_b64 s[8:9], s[6:7]
	s_xor_b64 s[6:7], exec, s[8:9]
	s_cbranch_execnz .LBB45_2841
; %bb.793:
	s_or_saveexec_b64 s[6:7], s[6:7]
	v_mov_b32_e32 v20, s10
	s_xor_b64 exec, exec, s[6:7]
	s_cbranch_execnz .LBB45_2844
.LBB45_794:
	s_or_b64 exec, exec, s[6:7]
	s_and_saveexec_b64 s[6:7], s[4:5]
	s_cbranch_execz .LBB45_796
.LBB45_795:
	v_bfe_u32 v20, v14, 24, 3
	v_ffbh_u32_e32 v24, v20
	v_min_u32_e32 v24, 32, v24
	v_lshrrev_b32_e32 v22, 27, v14
	v_subrev_u32_e32 v25, 28, v24
	v_and_b32_e32 v21, 0x80000000, v14
	v_and_b32_e32 v22, 15, v22
	v_bfe_u32 v23, v14, 27, 4
	v_lshlrev_b32_sdwa v14, v25, v14 dst_sel:DWORD dst_unused:UNUSED_PAD src0_sel:DWORD src1_sel:BYTE_3
	v_sub_u32_e32 v24, 29, v24
	v_and_b32_e32 v14, 7, v14
	v_cmp_eq_u16_e32 vcc, 0, v22
	v_cndmask_b32_e32 v14, v20, v14, vcc
	v_cndmask_b32_e32 v20, v23, v24, vcc
	v_mov_b32_e32 v22, 0x3b800000
	v_lshlrev_b32_e32 v14, 20, v14
	v_lshl_add_u32 v20, v20, 23, v22
	v_or3_b32 v20, v21, v20, v14
.LBB45_796:
	s_or_b64 exec, exec, s[6:7]
	s_movk_i32 s4, 0x7f
	v_cmp_gt_i16_sdwa s[6:7], v10, s4 src0_sel:BYTE_3 src1_sel:DWORD
	s_mov_b64 s[4:5], 0
                                        ; implicit-def: $sgpr10
	s_and_saveexec_b64 s[8:9], s[6:7]
	s_xor_b64 s[6:7], exec, s[8:9]
	s_cbranch_execnz .LBB45_2845
; %bb.797:
	s_or_saveexec_b64 s[6:7], s[6:7]
	v_mov_b32_e32 v14, s10
	s_xor_b64 exec, exec, s[6:7]
	s_cbranch_execnz .LBB45_2848
.LBB45_798:
	s_or_b64 exec, exec, s[6:7]
	s_and_saveexec_b64 s[6:7], s[4:5]
	s_cbranch_execz .LBB45_800
.LBB45_799:
	v_bfe_u32 v14, v10, 24, 3
	v_ffbh_u32_e32 v24, v14
	v_min_u32_e32 v24, 32, v24
	v_lshrrev_b32_e32 v22, 27, v10
	v_subrev_u32_e32 v25, 28, v24
	v_and_b32_e32 v21, 0x80000000, v10
	v_and_b32_e32 v22, 15, v22
	v_bfe_u32 v23, v10, 27, 4
	v_lshlrev_b32_sdwa v10, v25, v10 dst_sel:DWORD dst_unused:UNUSED_PAD src0_sel:DWORD src1_sel:BYTE_3
	v_sub_u32_e32 v24, 29, v24
	v_and_b32_e32 v10, 7, v10
	v_cmp_eq_u16_e32 vcc, 0, v22
	v_cndmask_b32_e32 v10, v14, v10, vcc
	v_cndmask_b32_e32 v14, v23, v24, vcc
	v_mov_b32_e32 v22, 0x3b800000
	v_lshlrev_b32_e32 v10, 20, v10
	v_lshl_add_u32 v14, v14, 23, v22
	v_or3_b32 v14, v21, v14, v10
.LBB45_800:
	s_or_b64 exec, exec, s[6:7]
	s_nop 0
	v_mfma_f32_16x16x4f32 a[0:3], v20, v14, a[0:3]
	s_movk_i32 s4, 0x7f
	v_cmp_gt_i16_sdwa s[6:7], v15, s4 src0_sel:BYTE_0 src1_sel:DWORD
	s_mov_b64 s[4:5], 0
                                        ; implicit-def: $sgpr10
	s_and_saveexec_b64 s[8:9], s[6:7]
	s_xor_b64 s[6:7], exec, s[8:9]
	s_cbranch_execnz .LBB45_2849
; %bb.801:
	s_or_saveexec_b64 s[6:7], s[6:7]
	v_mov_b32_e32 v10, s10
	s_xor_b64 exec, exec, s[6:7]
	s_cbranch_execnz .LBB45_2852
.LBB45_802:
	s_or_b64 exec, exec, s[6:7]
	s_and_saveexec_b64 s[6:7], s[4:5]
	s_cbranch_execz .LBB45_804
.LBB45_803:
	v_and_b32_e32 v10, 7, v15
	v_ffbh_u32_e32 v20, v10
	v_min_u32_e32 v20, 32, v20
	v_lshrrev_b16_e32 v14, 3, v15
	v_subrev_u32_e32 v21, 28, v20
	v_and_b32_e32 v14, 15, v14
	v_lshlrev_b32_e32 v21, v21, v15
	v_sub_u32_e32 v20, 29, v20
	v_and_b32_e32 v21, 7, v21
	v_cmp_eq_u16_e32 vcc, 0, v14
	v_cndmask_b32_e32 v10, v10, v21, vcc
	v_cndmask_b32_e32 v14, v14, v20, vcc
	v_lshlrev_b32_e32 v20, 24, v15
	v_mov_b32_e32 v21, 0x3b800000
	v_lshlrev_b32_e32 v10, 20, v10
	v_and_b32_e32 v20, 0x80000000, v20
	v_lshl_add_u32 v14, v14, 23, v21
	v_or3_b32 v10, v20, v14, v10
.LBB45_804:
	s_or_b64 exec, exec, s[6:7]
	s_movk_i32 s4, 0x7f
	v_cmp_gt_i16_sdwa s[6:7], v11, s4 src0_sel:BYTE_0 src1_sel:DWORD
	s_mov_b64 s[4:5], 0
                                        ; implicit-def: $sgpr10
	s_and_saveexec_b64 s[8:9], s[6:7]
	s_xor_b64 s[6:7], exec, s[8:9]
	s_cbranch_execnz .LBB45_2853
; %bb.805:
	s_or_saveexec_b64 s[6:7], s[6:7]
	v_mov_b32_e32 v14, s10
	s_xor_b64 exec, exec, s[6:7]
	s_cbranch_execnz .LBB45_2856
.LBB45_806:
	s_or_b64 exec, exec, s[6:7]
	s_and_saveexec_b64 s[6:7], s[4:5]
	s_cbranch_execz .LBB45_808
.LBB45_807:
	v_and_b32_e32 v14, 7, v11
	v_ffbh_u32_e32 v21, v14
	v_min_u32_e32 v21, 32, v21
	v_lshrrev_b16_e32 v20, 3, v11
	v_subrev_u32_e32 v22, 28, v21
	v_and_b32_e32 v20, 15, v20
	v_lshlrev_b32_e32 v22, v22, v11
	v_sub_u32_e32 v21, 29, v21
	v_and_b32_e32 v22, 7, v22
	v_cmp_eq_u16_e32 vcc, 0, v20
	v_cndmask_b32_e32 v14, v14, v22, vcc
	v_cndmask_b32_e32 v20, v20, v21, vcc
	v_lshlrev_b32_e32 v21, 24, v11
	v_mov_b32_e32 v22, 0x3b800000
	v_lshlrev_b32_e32 v14, 20, v14
	v_and_b32_e32 v21, 0x80000000, v21
	v_lshl_add_u32 v20, v20, 23, v22
	v_or3_b32 v14, v21, v20, v14
.LBB45_808:
	s_or_b64 exec, exec, s[6:7]
	s_nop 0
	v_mfma_f32_16x16x4f32 a[0:3], v10, v14, a[0:3]
	v_lshrrev_b32_e32 v14, 8, v15
	s_movk_i32 s4, 0x7f
	v_cmp_gt_i16_sdwa s[6:7], v14, s4 src0_sel:BYTE_0 src1_sel:DWORD
	s_mov_b64 s[4:5], 0
                                        ; implicit-def: $sgpr10
	s_and_saveexec_b64 s[8:9], s[6:7]
	s_xor_b64 s[6:7], exec, s[8:9]
	s_cbranch_execnz .LBB45_2857
; %bb.809:
	s_or_saveexec_b64 s[6:7], s[6:7]
	v_mov_b32_e32 v10, s10
	s_xor_b64 exec, exec, s[6:7]
	s_cbranch_execnz .LBB45_2860
.LBB45_810:
	s_or_b64 exec, exec, s[6:7]
	s_and_saveexec_b64 s[6:7], s[4:5]
	s_cbranch_execz .LBB45_812
.LBB45_811:
	v_bfe_u32 v10, v15, 8, 3
	v_ffbh_u32_e32 v21, v10
	v_min_u32_e32 v21, 32, v21
	v_lshrrev_b16_e32 v20, 3, v14
	v_subrev_u32_e32 v22, 28, v21
	v_and_b32_e32 v20, 15, v20
	v_lshlrev_b32_e32 v14, v22, v14
	v_sub_u32_e32 v21, 29, v21
	v_and_b32_e32 v14, 7, v14
	v_cmp_eq_u16_e32 vcc, 0, v20
	v_cndmask_b32_e32 v10, v10, v14, vcc
	v_cndmask_b32_e32 v14, v20, v21, vcc
	v_lshlrev_b32_e32 v20, 16, v15
	v_mov_b32_e32 v21, 0x3b800000
	v_lshlrev_b32_e32 v10, 20, v10
	v_and_b32_e32 v20, 0x80000000, v20
	v_lshl_add_u32 v14, v14, 23, v21
	v_or3_b32 v10, v20, v14, v10
.LBB45_812:
	s_or_b64 exec, exec, s[6:7]
	v_lshrrev_b32_e32 v14, 8, v11
	s_movk_i32 s4, 0x7f
	v_cmp_gt_i16_sdwa s[6:7], v14, s4 src0_sel:BYTE_0 src1_sel:DWORD
	s_mov_b64 s[4:5], 0
                                        ; implicit-def: $sgpr10
	s_and_saveexec_b64 s[8:9], s[6:7]
	s_xor_b64 s[6:7], exec, s[8:9]
	s_cbranch_execnz .LBB45_2861
; %bb.813:
	s_or_saveexec_b64 s[6:7], s[6:7]
	v_mov_b32_e32 v20, s10
	s_xor_b64 exec, exec, s[6:7]
	s_cbranch_execnz .LBB45_2864
.LBB45_814:
	s_or_b64 exec, exec, s[6:7]
	s_and_saveexec_b64 s[6:7], s[4:5]
	s_cbranch_execz .LBB45_816
.LBB45_815:
	v_bfe_u32 v20, v11, 8, 3
	v_ffbh_u32_e32 v22, v20
	v_min_u32_e32 v22, 32, v22
	v_lshrrev_b16_e32 v21, 3, v14
	v_subrev_u32_e32 v23, 28, v22
	v_and_b32_e32 v21, 15, v21
	v_lshlrev_b32_e32 v14, v23, v14
	v_sub_u32_e32 v22, 29, v22
	v_and_b32_e32 v14, 7, v14
	v_cmp_eq_u16_e32 vcc, 0, v21
	v_cndmask_b32_e32 v14, v20, v14, vcc
	v_cndmask_b32_e32 v20, v21, v22, vcc
	v_lshlrev_b32_e32 v21, 16, v11
	v_mov_b32_e32 v22, 0x3b800000
	v_lshlrev_b32_e32 v14, 20, v14
	v_and_b32_e32 v21, 0x80000000, v21
	v_lshl_add_u32 v20, v20, 23, v22
	v_or3_b32 v20, v21, v20, v14
.LBB45_816:
	s_or_b64 exec, exec, s[6:7]
	s_nop 0
	v_mfma_f32_16x16x4f32 a[0:3], v10, v20, a[0:3]
	s_movk_i32 s4, 0xff
	v_and_b32_sdwa v14, v15, s4 dst_sel:DWORD dst_unused:UNUSED_PAD src0_sel:WORD_1 src1_sel:DWORD
	s_movk_i32 s4, 0x7f
	v_cmp_lt_i16_e32 vcc, s4, v14
	s_mov_b64 s[4:5], 0
                                        ; implicit-def: $sgpr10
	s_and_saveexec_b64 s[6:7], vcc
	s_xor_b64 s[6:7], exec, s[6:7]
	s_cbranch_execnz .LBB45_2865
; %bb.817:
	s_or_saveexec_b64 s[6:7], s[6:7]
	v_mov_b32_e32 v10, s10
	s_xor_b64 exec, exec, s[6:7]
	s_cbranch_execnz .LBB45_2868
.LBB45_818:
	s_or_b64 exec, exec, s[6:7]
	s_and_saveexec_b64 s[6:7], s[4:5]
	s_cbranch_execz .LBB45_820
.LBB45_819:
	v_bfe_u32 v10, v15, 16, 3
	v_ffbh_u32_e32 v21, v10
	v_min_u32_e32 v21, 32, v21
	v_lshrrev_b32_e32 v14, 19, v15
	v_subrev_u32_e32 v22, 28, v21
	v_and_b32_e32 v14, 15, v14
	v_lshlrev_b32_sdwa v22, v22, v15 dst_sel:DWORD dst_unused:UNUSED_PAD src0_sel:DWORD src1_sel:WORD_1
	v_bfe_u32 v20, v15, 19, 4
	v_sub_u32_e32 v21, 29, v21
	v_and_b32_e32 v22, 7, v22
	v_cmp_eq_u16_e32 vcc, 0, v14
	v_cndmask_b32_e32 v10, v10, v22, vcc
	v_cndmask_b32_e32 v14, v20, v21, vcc
	v_lshlrev_b32_e32 v20, 8, v15
	v_mov_b32_e32 v21, 0x3b800000
	v_lshlrev_b32_e32 v10, 20, v10
	v_and_b32_e32 v20, 0x80000000, v20
	v_lshl_add_u32 v14, v14, 23, v21
	v_or3_b32 v10, v20, v14, v10
.LBB45_820:
	s_or_b64 exec, exec, s[6:7]
	s_movk_i32 s4, 0xff
	v_and_b32_sdwa v14, v11, s4 dst_sel:DWORD dst_unused:UNUSED_PAD src0_sel:WORD_1 src1_sel:DWORD
	s_movk_i32 s4, 0x7f
	v_cmp_lt_i16_e32 vcc, s4, v14
	s_mov_b64 s[4:5], 0
                                        ; implicit-def: $sgpr10
	s_and_saveexec_b64 s[6:7], vcc
	s_xor_b64 s[6:7], exec, s[6:7]
	s_cbranch_execnz .LBB45_2869
; %bb.821:
	s_or_saveexec_b64 s[6:7], s[6:7]
	v_mov_b32_e32 v20, s10
	s_xor_b64 exec, exec, s[6:7]
	s_cbranch_execnz .LBB45_2872
.LBB45_822:
	s_or_b64 exec, exec, s[6:7]
	s_and_saveexec_b64 s[6:7], s[4:5]
	s_cbranch_execz .LBB45_824
.LBB45_823:
	v_bfe_u32 v14, v11, 16, 3
	v_ffbh_u32_e32 v22, v14
	v_min_u32_e32 v22, 32, v22
	v_lshrrev_b32_e32 v20, 19, v11
	v_subrev_u32_e32 v23, 28, v22
	v_and_b32_e32 v20, 15, v20
	v_lshlrev_b32_sdwa v23, v23, v11 dst_sel:DWORD dst_unused:UNUSED_PAD src0_sel:DWORD src1_sel:WORD_1
	v_bfe_u32 v21, v11, 19, 4
	v_sub_u32_e32 v22, 29, v22
	v_and_b32_e32 v23, 7, v23
	v_cmp_eq_u16_e32 vcc, 0, v20
	v_cndmask_b32_e32 v14, v14, v23, vcc
	v_cndmask_b32_e32 v20, v21, v22, vcc
	v_lshlrev_b32_e32 v21, 8, v11
	v_mov_b32_e32 v22, 0x3b800000
	v_lshlrev_b32_e32 v14, 20, v14
	v_and_b32_e32 v21, 0x80000000, v21
	v_lshl_add_u32 v20, v20, 23, v22
	v_or3_b32 v20, v21, v20, v14
.LBB45_824:
	s_or_b64 exec, exec, s[6:7]
	s_nop 0
	v_mfma_f32_16x16x4f32 a[0:3], v10, v20, a[0:3]
	s_movk_i32 s4, 0x7f
	v_cmp_gt_i16_sdwa s[6:7], v15, s4 src0_sel:BYTE_3 src1_sel:DWORD
	s_mov_b64 s[4:5], 0
                                        ; implicit-def: $sgpr10
	s_and_saveexec_b64 s[8:9], s[6:7]
	s_xor_b64 s[6:7], exec, s[8:9]
	s_cbranch_execnz .LBB45_2873
; %bb.825:
	s_or_saveexec_b64 s[6:7], s[6:7]
	v_mov_b32_e32 v10, s10
	s_xor_b64 exec, exec, s[6:7]
	s_cbranch_execnz .LBB45_2876
.LBB45_826:
	s_or_b64 exec, exec, s[6:7]
	s_and_saveexec_b64 s[6:7], s[4:5]
	s_cbranch_execz .LBB45_828
.LBB45_827:
	v_bfe_u32 v10, v15, 24, 3
	v_ffbh_u32_e32 v22, v10
	v_min_u32_e32 v22, 32, v22
	v_lshrrev_b32_e32 v20, 27, v15
	v_subrev_u32_e32 v23, 28, v22
	v_and_b32_e32 v14, 0x80000000, v15
	v_and_b32_e32 v20, 15, v20
	v_bfe_u32 v21, v15, 27, 4
	v_lshlrev_b32_sdwa v15, v23, v15 dst_sel:DWORD dst_unused:UNUSED_PAD src0_sel:DWORD src1_sel:BYTE_3
	v_sub_u32_e32 v22, 29, v22
	v_and_b32_e32 v15, 7, v15
	v_cmp_eq_u16_e32 vcc, 0, v20
	v_cndmask_b32_e32 v10, v10, v15, vcc
	v_cndmask_b32_e32 v15, v21, v22, vcc
	v_mov_b32_e32 v20, 0x3b800000
	v_lshlrev_b32_e32 v10, 20, v10
	v_lshl_add_u32 v15, v15, 23, v20
	v_or3_b32 v10, v14, v15, v10
.LBB45_828:
	s_or_b64 exec, exec, s[6:7]
	s_movk_i32 s4, 0x7f
	v_cmp_gt_i16_sdwa s[6:7], v11, s4 src0_sel:BYTE_3 src1_sel:DWORD
	s_mov_b64 s[4:5], 0
                                        ; implicit-def: $sgpr10
	s_and_saveexec_b64 s[8:9], s[6:7]
	s_xor_b64 s[6:7], exec, s[8:9]
	s_cbranch_execnz .LBB45_2877
; %bb.829:
	s_or_saveexec_b64 s[6:7], s[6:7]
	v_mov_b32_e32 v14, s10
	s_xor_b64 exec, exec, s[6:7]
	s_cbranch_execnz .LBB45_2880
.LBB45_830:
	s_or_b64 exec, exec, s[6:7]
	s_and_saveexec_b64 s[6:7], s[4:5]
	s_cbranch_execz .LBB45_832
.LBB45_831:
	v_bfe_u32 v14, v11, 24, 3
	v_ffbh_u32_e32 v22, v14
	v_min_u32_e32 v22, 32, v22
	v_lshrrev_b32_e32 v20, 27, v11
	v_subrev_u32_e32 v23, 28, v22
	v_and_b32_e32 v15, 0x80000000, v11
	v_and_b32_e32 v20, 15, v20
	v_bfe_u32 v21, v11, 27, 4
	v_lshlrev_b32_sdwa v11, v23, v11 dst_sel:DWORD dst_unused:UNUSED_PAD src0_sel:DWORD src1_sel:BYTE_3
	v_sub_u32_e32 v22, 29, v22
	v_and_b32_e32 v11, 7, v11
	v_cmp_eq_u16_e32 vcc, 0, v20
	v_cndmask_b32_e32 v11, v14, v11, vcc
	v_cndmask_b32_e32 v14, v21, v22, vcc
	v_mov_b32_e32 v20, 0x3b800000
	v_lshlrev_b32_e32 v11, 20, v11
	v_lshl_add_u32 v14, v14, 23, v20
	v_or3_b32 v14, v15, v14, v11
.LBB45_832:
	s_or_b64 exec, exec, s[6:7]
	s_nop 0
	v_mfma_f32_16x16x4f32 a[0:3], v10, v14, a[0:3]
	s_movk_i32 s4, 0x7f
	v_cmp_gt_i16_sdwa s[6:7], v16, s4 src0_sel:BYTE_0 src1_sel:DWORD
	s_mov_b64 s[4:5], 0
                                        ; implicit-def: $sgpr10
	s_and_saveexec_b64 s[8:9], s[6:7]
	s_xor_b64 s[6:7], exec, s[8:9]
	s_cbranch_execnz .LBB45_2881
; %bb.833:
	s_or_saveexec_b64 s[6:7], s[6:7]
	v_mov_b32_e32 v10, s10
	s_xor_b64 exec, exec, s[6:7]
	s_cbranch_execnz .LBB45_2884
.LBB45_834:
	s_or_b64 exec, exec, s[6:7]
	s_and_saveexec_b64 s[6:7], s[4:5]
	s_cbranch_execz .LBB45_836
.LBB45_835:
	v_and_b32_e32 v10, 7, v16
	v_ffbh_u32_e32 v14, v10
	v_min_u32_e32 v14, 32, v14
	v_lshrrev_b16_e32 v11, 3, v16
	v_subrev_u32_e32 v15, 28, v14
	v_and_b32_e32 v11, 15, v11
	v_lshlrev_b32_e32 v15, v15, v16
	v_sub_u32_e32 v14, 29, v14
	v_and_b32_e32 v15, 7, v15
	v_cmp_eq_u16_e32 vcc, 0, v11
	v_cndmask_b32_e32 v10, v10, v15, vcc
	v_cndmask_b32_e32 v11, v11, v14, vcc
	v_lshlrev_b32_e32 v14, 24, v16
	v_mov_b32_e32 v15, 0x3b800000
	v_lshlrev_b32_e32 v10, 20, v10
	v_and_b32_e32 v14, 0x80000000, v14
	v_lshl_add_u32 v11, v11, 23, v15
	v_or3_b32 v10, v14, v11, v10
.LBB45_836:
	s_or_b64 exec, exec, s[6:7]
	s_movk_i32 s4, 0x7f
	v_cmp_gt_i16_sdwa s[6:7], v12, s4 src0_sel:BYTE_0 src1_sel:DWORD
	s_mov_b64 s[4:5], 0
                                        ; implicit-def: $sgpr10
	s_and_saveexec_b64 s[8:9], s[6:7]
	s_xor_b64 s[6:7], exec, s[8:9]
	s_cbranch_execnz .LBB45_2885
; %bb.837:
	s_or_saveexec_b64 s[6:7], s[6:7]
	v_mov_b32_e32 v11, s10
	s_xor_b64 exec, exec, s[6:7]
	s_cbranch_execnz .LBB45_2888
.LBB45_838:
	s_or_b64 exec, exec, s[6:7]
	s_and_saveexec_b64 s[6:7], s[4:5]
	s_cbranch_execz .LBB45_840
.LBB45_839:
	v_and_b32_e32 v11, 7, v12
	v_ffbh_u32_e32 v15, v11
	v_min_u32_e32 v15, 32, v15
	v_lshrrev_b16_e32 v14, 3, v12
	v_subrev_u32_e32 v20, 28, v15
	v_and_b32_e32 v14, 15, v14
	v_lshlrev_b32_e32 v20, v20, v12
	v_sub_u32_e32 v15, 29, v15
	v_and_b32_e32 v20, 7, v20
	v_cmp_eq_u16_e32 vcc, 0, v14
	v_cndmask_b32_e32 v11, v11, v20, vcc
	v_cndmask_b32_e32 v14, v14, v15, vcc
	v_lshlrev_b32_e32 v15, 24, v12
	v_mov_b32_e32 v20, 0x3b800000
	v_lshlrev_b32_e32 v11, 20, v11
	v_and_b32_e32 v15, 0x80000000, v15
	v_lshl_add_u32 v14, v14, 23, v20
	v_or3_b32 v11, v15, v14, v11
.LBB45_840:
	s_or_b64 exec, exec, s[6:7]
	s_nop 0
	v_mfma_f32_16x16x4f32 a[0:3], v10, v11, a[0:3]
	v_lshrrev_b32_e32 v11, 8, v16
	s_movk_i32 s4, 0x7f
	v_cmp_gt_i16_sdwa s[6:7], v11, s4 src0_sel:BYTE_0 src1_sel:DWORD
	s_mov_b64 s[4:5], 0
                                        ; implicit-def: $sgpr10
	s_and_saveexec_b64 s[8:9], s[6:7]
	s_xor_b64 s[6:7], exec, s[8:9]
	s_cbranch_execnz .LBB45_2889
; %bb.841:
	s_or_saveexec_b64 s[6:7], s[6:7]
	v_mov_b32_e32 v10, s10
	s_xor_b64 exec, exec, s[6:7]
	s_cbranch_execnz .LBB45_2892
.LBB45_842:
	s_or_b64 exec, exec, s[6:7]
	s_and_saveexec_b64 s[6:7], s[4:5]
	s_cbranch_execz .LBB45_844
.LBB45_843:
	v_bfe_u32 v10, v16, 8, 3
	v_ffbh_u32_e32 v15, v10
	v_min_u32_e32 v15, 32, v15
	v_lshrrev_b16_e32 v14, 3, v11
	v_subrev_u32_e32 v20, 28, v15
	v_and_b32_e32 v14, 15, v14
	v_lshlrev_b32_e32 v11, v20, v11
	v_sub_u32_e32 v15, 29, v15
	v_and_b32_e32 v11, 7, v11
	v_cmp_eq_u16_e32 vcc, 0, v14
	v_cndmask_b32_e32 v10, v10, v11, vcc
	v_cndmask_b32_e32 v11, v14, v15, vcc
	v_lshlrev_b32_e32 v14, 16, v16
	v_mov_b32_e32 v15, 0x3b800000
	v_lshlrev_b32_e32 v10, 20, v10
	v_and_b32_e32 v14, 0x80000000, v14
	v_lshl_add_u32 v11, v11, 23, v15
	v_or3_b32 v10, v14, v11, v10
.LBB45_844:
	s_or_b64 exec, exec, s[6:7]
	v_lshrrev_b32_e32 v11, 8, v12
	s_movk_i32 s4, 0x7f
	v_cmp_gt_i16_sdwa s[6:7], v11, s4 src0_sel:BYTE_0 src1_sel:DWORD
	s_mov_b64 s[4:5], 0
                                        ; implicit-def: $sgpr10
	s_and_saveexec_b64 s[8:9], s[6:7]
	s_xor_b64 s[6:7], exec, s[8:9]
	s_cbranch_execnz .LBB45_2893
; %bb.845:
	s_or_saveexec_b64 s[6:7], s[6:7]
	v_mov_b32_e32 v14, s10
	s_xor_b64 exec, exec, s[6:7]
	s_cbranch_execnz .LBB45_2896
.LBB45_846:
	s_or_b64 exec, exec, s[6:7]
	s_and_saveexec_b64 s[6:7], s[4:5]
	s_cbranch_execz .LBB45_848
.LBB45_847:
	v_bfe_u32 v14, v12, 8, 3
	v_ffbh_u32_e32 v20, v14
	v_min_u32_e32 v20, 32, v20
	v_lshrrev_b16_e32 v15, 3, v11
	v_subrev_u32_e32 v21, 28, v20
	v_and_b32_e32 v15, 15, v15
	v_lshlrev_b32_e32 v11, v21, v11
	v_sub_u32_e32 v20, 29, v20
	v_and_b32_e32 v11, 7, v11
	v_cmp_eq_u16_e32 vcc, 0, v15
	v_cndmask_b32_e32 v11, v14, v11, vcc
	v_cndmask_b32_e32 v14, v15, v20, vcc
	v_lshlrev_b32_e32 v15, 16, v12
	v_mov_b32_e32 v20, 0x3b800000
	v_lshlrev_b32_e32 v11, 20, v11
	v_and_b32_e32 v15, 0x80000000, v15
	v_lshl_add_u32 v14, v14, 23, v20
	v_or3_b32 v14, v15, v14, v11
.LBB45_848:
	s_or_b64 exec, exec, s[6:7]
	s_nop 0
	v_mfma_f32_16x16x4f32 a[0:3], v10, v14, a[0:3]
	s_movk_i32 s4, 0xff
	v_and_b32_sdwa v11, v16, s4 dst_sel:DWORD dst_unused:UNUSED_PAD src0_sel:WORD_1 src1_sel:DWORD
	s_movk_i32 s4, 0x7f
	v_cmp_lt_i16_e32 vcc, s4, v11
	s_mov_b64 s[4:5], 0
                                        ; implicit-def: $sgpr10
	s_and_saveexec_b64 s[6:7], vcc
	s_xor_b64 s[6:7], exec, s[6:7]
	s_cbranch_execnz .LBB45_2897
; %bb.849:
	s_or_saveexec_b64 s[6:7], s[6:7]
	v_mov_b32_e32 v10, s10
	s_xor_b64 exec, exec, s[6:7]
	s_cbranch_execnz .LBB45_2900
.LBB45_850:
	s_or_b64 exec, exec, s[6:7]
	s_and_saveexec_b64 s[6:7], s[4:5]
	s_cbranch_execz .LBB45_852
.LBB45_851:
	v_bfe_u32 v10, v16, 16, 3
	v_ffbh_u32_e32 v15, v10
	v_min_u32_e32 v15, 32, v15
	v_lshrrev_b32_e32 v11, 19, v16
	v_subrev_u32_e32 v20, 28, v15
	v_and_b32_e32 v11, 15, v11
	v_lshlrev_b32_sdwa v20, v20, v16 dst_sel:DWORD dst_unused:UNUSED_PAD src0_sel:DWORD src1_sel:WORD_1
	v_bfe_u32 v14, v16, 19, 4
	v_sub_u32_e32 v15, 29, v15
	v_and_b32_e32 v20, 7, v20
	v_cmp_eq_u16_e32 vcc, 0, v11
	v_cndmask_b32_e32 v10, v10, v20, vcc
	v_cndmask_b32_e32 v11, v14, v15, vcc
	v_lshlrev_b32_e32 v14, 8, v16
	v_mov_b32_e32 v15, 0x3b800000
	v_lshlrev_b32_e32 v10, 20, v10
	v_and_b32_e32 v14, 0x80000000, v14
	v_lshl_add_u32 v11, v11, 23, v15
	v_or3_b32 v10, v14, v11, v10
.LBB45_852:
	s_or_b64 exec, exec, s[6:7]
	s_movk_i32 s4, 0xff
	v_and_b32_sdwa v11, v12, s4 dst_sel:DWORD dst_unused:UNUSED_PAD src0_sel:WORD_1 src1_sel:DWORD
	s_movk_i32 s4, 0x7f
	v_cmp_lt_i16_e32 vcc, s4, v11
	s_mov_b64 s[4:5], 0
                                        ; implicit-def: $sgpr10
	s_and_saveexec_b64 s[6:7], vcc
	s_xor_b64 s[6:7], exec, s[6:7]
	s_cbranch_execnz .LBB45_2901
; %bb.853:
	s_or_saveexec_b64 s[6:7], s[6:7]
	v_mov_b32_e32 v14, s10
	s_xor_b64 exec, exec, s[6:7]
	s_cbranch_execnz .LBB45_2904
.LBB45_854:
	s_or_b64 exec, exec, s[6:7]
	s_and_saveexec_b64 s[6:7], s[4:5]
	s_cbranch_execz .LBB45_856
.LBB45_855:
	v_bfe_u32 v11, v12, 16, 3
	v_ffbh_u32_e32 v20, v11
	v_min_u32_e32 v20, 32, v20
	v_lshrrev_b32_e32 v14, 19, v12
	v_subrev_u32_e32 v21, 28, v20
	v_and_b32_e32 v14, 15, v14
	v_lshlrev_b32_sdwa v21, v21, v12 dst_sel:DWORD dst_unused:UNUSED_PAD src0_sel:DWORD src1_sel:WORD_1
	v_bfe_u32 v15, v12, 19, 4
	v_sub_u32_e32 v20, 29, v20
	v_and_b32_e32 v21, 7, v21
	v_cmp_eq_u16_e32 vcc, 0, v14
	v_cndmask_b32_e32 v11, v11, v21, vcc
	v_cndmask_b32_e32 v14, v15, v20, vcc
	v_lshlrev_b32_e32 v15, 8, v12
	v_mov_b32_e32 v20, 0x3b800000
	v_lshlrev_b32_e32 v11, 20, v11
	v_and_b32_e32 v15, 0x80000000, v15
	v_lshl_add_u32 v14, v14, 23, v20
	v_or3_b32 v14, v15, v14, v11
.LBB45_856:
	s_or_b64 exec, exec, s[6:7]
	s_nop 0
	v_mfma_f32_16x16x4f32 a[0:3], v10, v14, a[0:3]
	s_movk_i32 s4, 0x7f
	v_cmp_gt_i16_sdwa s[6:7], v16, s4 src0_sel:BYTE_3 src1_sel:DWORD
	s_mov_b64 s[4:5], 0
                                        ; implicit-def: $sgpr10
	s_and_saveexec_b64 s[8:9], s[6:7]
	s_xor_b64 s[6:7], exec, s[8:9]
	s_cbranch_execnz .LBB45_2905
; %bb.857:
	s_or_saveexec_b64 s[6:7], s[6:7]
	v_mov_b32_e32 v10, s10
	s_xor_b64 exec, exec, s[6:7]
	s_cbranch_execnz .LBB45_2908
.LBB45_858:
	s_or_b64 exec, exec, s[6:7]
	s_and_saveexec_b64 s[6:7], s[4:5]
	s_cbranch_execz .LBB45_860
.LBB45_859:
	v_bfe_u32 v10, v16, 24, 3
	v_ffbh_u32_e32 v20, v10
	v_min_u32_e32 v20, 32, v20
	v_lshrrev_b32_e32 v14, 27, v16
	v_subrev_u32_e32 v21, 28, v20
	v_and_b32_e32 v11, 0x80000000, v16
	v_and_b32_e32 v14, 15, v14
	v_bfe_u32 v15, v16, 27, 4
	v_lshlrev_b32_sdwa v16, v21, v16 dst_sel:DWORD dst_unused:UNUSED_PAD src0_sel:DWORD src1_sel:BYTE_3
	v_sub_u32_e32 v20, 29, v20
	v_and_b32_e32 v16, 7, v16
	v_cmp_eq_u16_e32 vcc, 0, v14
	v_cndmask_b32_e32 v10, v10, v16, vcc
	v_cndmask_b32_e32 v14, v15, v20, vcc
	v_mov_b32_e32 v15, 0x3b800000
	v_lshlrev_b32_e32 v10, 20, v10
	v_lshl_add_u32 v14, v14, 23, v15
	v_or3_b32 v10, v11, v14, v10
.LBB45_860:
	s_or_b64 exec, exec, s[6:7]
	s_movk_i32 s4, 0x7f
	v_cmp_gt_i16_sdwa s[6:7], v12, s4 src0_sel:BYTE_3 src1_sel:DWORD
	s_mov_b64 s[4:5], 0
                                        ; implicit-def: $sgpr10
	s_and_saveexec_b64 s[8:9], s[6:7]
	s_xor_b64 s[6:7], exec, s[8:9]
	s_cbranch_execnz .LBB45_2909
; %bb.861:
	s_or_saveexec_b64 s[6:7], s[6:7]
	v_mov_b32_e32 v11, s10
	s_xor_b64 exec, exec, s[6:7]
	s_cbranch_execnz .LBB45_2912
.LBB45_862:
	s_or_b64 exec, exec, s[6:7]
	s_and_saveexec_b64 s[6:7], s[4:5]
	s_cbranch_execz .LBB45_864
.LBB45_863:
	v_bfe_u32 v11, v12, 24, 3
	v_ffbh_u32_e32 v20, v11
	v_min_u32_e32 v20, 32, v20
	v_lshrrev_b32_e32 v15, 27, v12
	v_subrev_u32_e32 v21, 28, v20
	v_and_b32_e32 v14, 0x80000000, v12
	v_and_b32_e32 v15, 15, v15
	v_bfe_u32 v16, v12, 27, 4
	v_lshlrev_b32_sdwa v12, v21, v12 dst_sel:DWORD dst_unused:UNUSED_PAD src0_sel:DWORD src1_sel:BYTE_3
	v_sub_u32_e32 v20, 29, v20
	v_and_b32_e32 v12, 7, v12
	v_cmp_eq_u16_e32 vcc, 0, v15
	v_cndmask_b32_e32 v11, v11, v12, vcc
	v_cndmask_b32_e32 v12, v16, v20, vcc
	v_mov_b32_e32 v15, 0x3b800000
	v_lshlrev_b32_e32 v11, 20, v11
	v_lshl_add_u32 v12, v12, 23, v15
	v_or3_b32 v11, v14, v12, v11
.LBB45_864:
	s_or_b64 exec, exec, s[6:7]
	s_nop 0
	v_mfma_f32_16x16x4f32 a[0:3], v10, v11, a[0:3]
	s_movk_i32 s4, 0x7f
	v_cmp_gt_i16_sdwa s[6:7], v17, s4 src0_sel:BYTE_0 src1_sel:DWORD
	s_mov_b64 s[4:5], 0
                                        ; implicit-def: $sgpr10
	s_and_saveexec_b64 s[8:9], s[6:7]
	s_xor_b64 s[6:7], exec, s[8:9]
	s_cbranch_execnz .LBB45_2913
; %bb.865:
	s_or_saveexec_b64 s[6:7], s[6:7]
	v_mov_b32_e32 v10, s10
	s_xor_b64 exec, exec, s[6:7]
	s_cbranch_execnz .LBB45_2916
.LBB45_866:
	s_or_b64 exec, exec, s[6:7]
	s_and_saveexec_b64 s[6:7], s[4:5]
	s_cbranch_execz .LBB45_868
.LBB45_867:
	v_and_b32_e32 v10, 7, v17
	v_ffbh_u32_e32 v12, v10
	v_min_u32_e32 v12, 32, v12
	v_lshrrev_b16_e32 v11, 3, v17
	v_subrev_u32_e32 v14, 28, v12
	v_and_b32_e32 v11, 15, v11
	v_lshlrev_b32_e32 v14, v14, v17
	v_sub_u32_e32 v12, 29, v12
	v_and_b32_e32 v14, 7, v14
	v_cmp_eq_u16_e32 vcc, 0, v11
	v_cndmask_b32_e32 v10, v10, v14, vcc
	v_cndmask_b32_e32 v11, v11, v12, vcc
	v_lshlrev_b32_e32 v12, 24, v17
	v_mov_b32_e32 v14, 0x3b800000
	v_lshlrev_b32_e32 v10, 20, v10
	v_and_b32_e32 v12, 0x80000000, v12
	v_lshl_add_u32 v11, v11, 23, v14
	v_or3_b32 v10, v12, v11, v10
.LBB45_868:
	s_or_b64 exec, exec, s[6:7]
	s_movk_i32 s4, 0x7f
	v_cmp_gt_i16_sdwa s[6:7], v13, s4 src0_sel:BYTE_0 src1_sel:DWORD
	s_mov_b64 s[4:5], 0
                                        ; implicit-def: $sgpr10
	s_and_saveexec_b64 s[8:9], s[6:7]
	s_xor_b64 s[6:7], exec, s[8:9]
	s_cbranch_execnz .LBB45_2917
; %bb.869:
	s_or_saveexec_b64 s[6:7], s[6:7]
	v_mov_b32_e32 v11, s10
	s_xor_b64 exec, exec, s[6:7]
	s_cbranch_execnz .LBB45_2920
.LBB45_870:
	s_or_b64 exec, exec, s[6:7]
	s_and_saveexec_b64 s[6:7], s[4:5]
	s_cbranch_execz .LBB45_872
.LBB45_871:
	v_and_b32_e32 v11, 7, v13
	v_ffbh_u32_e32 v14, v11
	v_min_u32_e32 v14, 32, v14
	v_lshrrev_b16_e32 v12, 3, v13
	v_subrev_u32_e32 v15, 28, v14
	v_and_b32_e32 v12, 15, v12
	v_lshlrev_b32_e32 v15, v15, v13
	v_sub_u32_e32 v14, 29, v14
	v_and_b32_e32 v15, 7, v15
	v_cmp_eq_u16_e32 vcc, 0, v12
	v_cndmask_b32_e32 v11, v11, v15, vcc
	v_cndmask_b32_e32 v12, v12, v14, vcc
	v_lshlrev_b32_e32 v14, 24, v13
	v_mov_b32_e32 v15, 0x3b800000
	v_lshlrev_b32_e32 v11, 20, v11
	v_and_b32_e32 v14, 0x80000000, v14
	v_lshl_add_u32 v12, v12, 23, v15
	v_or3_b32 v11, v14, v12, v11
.LBB45_872:
	s_or_b64 exec, exec, s[6:7]
	s_nop 0
	v_mfma_f32_16x16x4f32 a[0:3], v10, v11, a[0:3]
	v_lshrrev_b32_e32 v11, 8, v17
	s_movk_i32 s4, 0x7f
	v_cmp_gt_i16_sdwa s[6:7], v11, s4 src0_sel:BYTE_0 src1_sel:DWORD
	s_mov_b64 s[4:5], 0
                                        ; implicit-def: $sgpr10
	s_and_saveexec_b64 s[8:9], s[6:7]
	s_xor_b64 s[6:7], exec, s[8:9]
	s_cbranch_execnz .LBB45_2921
; %bb.873:
	s_or_saveexec_b64 s[6:7], s[6:7]
	v_mov_b32_e32 v10, s10
	s_xor_b64 exec, exec, s[6:7]
	s_cbranch_execnz .LBB45_2924
.LBB45_874:
	s_or_b64 exec, exec, s[6:7]
	s_and_saveexec_b64 s[6:7], s[4:5]
	s_cbranch_execz .LBB45_876
.LBB45_875:
	v_bfe_u32 v10, v17, 8, 3
	v_ffbh_u32_e32 v14, v10
	v_min_u32_e32 v14, 32, v14
	v_lshrrev_b16_e32 v12, 3, v11
	v_subrev_u32_e32 v15, 28, v14
	v_and_b32_e32 v12, 15, v12
	v_lshlrev_b32_e32 v11, v15, v11
	v_sub_u32_e32 v14, 29, v14
	v_and_b32_e32 v11, 7, v11
	v_cmp_eq_u16_e32 vcc, 0, v12
	v_cndmask_b32_e32 v10, v10, v11, vcc
	v_cndmask_b32_e32 v11, v12, v14, vcc
	v_lshlrev_b32_e32 v12, 16, v17
	v_mov_b32_e32 v14, 0x3b800000
	v_lshlrev_b32_e32 v10, 20, v10
	v_and_b32_e32 v12, 0x80000000, v12
	v_lshl_add_u32 v11, v11, 23, v14
	v_or3_b32 v10, v12, v11, v10
.LBB45_876:
	s_or_b64 exec, exec, s[6:7]
	v_lshrrev_b32_e32 v11, 8, v13
	s_movk_i32 s4, 0x7f
	v_cmp_gt_i16_sdwa s[6:7], v11, s4 src0_sel:BYTE_0 src1_sel:DWORD
	s_mov_b64 s[4:5], 0
                                        ; implicit-def: $sgpr10
	s_and_saveexec_b64 s[8:9], s[6:7]
	s_xor_b64 s[6:7], exec, s[8:9]
	s_cbranch_execnz .LBB45_2925
; %bb.877:
	s_or_saveexec_b64 s[6:7], s[6:7]
	v_mov_b32_e32 v12, s10
	s_xor_b64 exec, exec, s[6:7]
	s_cbranch_execnz .LBB45_2928
.LBB45_878:
	s_or_b64 exec, exec, s[6:7]
	s_and_saveexec_b64 s[6:7], s[4:5]
	s_cbranch_execz .LBB45_880
.LBB45_879:
	v_bfe_u32 v12, v13, 8, 3
	v_ffbh_u32_e32 v15, v12
	v_min_u32_e32 v15, 32, v15
	v_lshrrev_b16_e32 v14, 3, v11
	v_subrev_u32_e32 v16, 28, v15
	v_and_b32_e32 v14, 15, v14
	v_lshlrev_b32_e32 v11, v16, v11
	v_sub_u32_e32 v15, 29, v15
	v_and_b32_e32 v11, 7, v11
	v_cmp_eq_u16_e32 vcc, 0, v14
	v_cndmask_b32_e32 v11, v12, v11, vcc
	v_cndmask_b32_e32 v12, v14, v15, vcc
	v_lshlrev_b32_e32 v14, 16, v13
	v_mov_b32_e32 v15, 0x3b800000
	v_lshlrev_b32_e32 v11, 20, v11
	v_and_b32_e32 v14, 0x80000000, v14
	v_lshl_add_u32 v12, v12, 23, v15
	v_or3_b32 v12, v14, v12, v11
.LBB45_880:
	s_or_b64 exec, exec, s[6:7]
	s_nop 0
	v_mfma_f32_16x16x4f32 a[0:3], v10, v12, a[0:3]
	s_movk_i32 s4, 0xff
	v_and_b32_sdwa v11, v17, s4 dst_sel:DWORD dst_unused:UNUSED_PAD src0_sel:WORD_1 src1_sel:DWORD
	s_movk_i32 s4, 0x7f
	v_cmp_lt_i16_e32 vcc, s4, v11
	s_mov_b64 s[4:5], 0
                                        ; implicit-def: $sgpr10
	s_and_saveexec_b64 s[6:7], vcc
	s_xor_b64 s[6:7], exec, s[6:7]
	s_cbranch_execnz .LBB45_2929
; %bb.881:
	s_or_saveexec_b64 s[6:7], s[6:7]
	v_mov_b32_e32 v10, s10
	s_xor_b64 exec, exec, s[6:7]
	s_cbranch_execnz .LBB45_2932
.LBB45_882:
	s_or_b64 exec, exec, s[6:7]
	s_and_saveexec_b64 s[6:7], s[4:5]
	s_cbranch_execz .LBB45_884
.LBB45_883:
	v_bfe_u32 v10, v17, 16, 3
	v_ffbh_u32_e32 v14, v10
	v_min_u32_e32 v14, 32, v14
	v_lshrrev_b32_e32 v11, 19, v17
	v_subrev_u32_e32 v15, 28, v14
	v_and_b32_e32 v11, 15, v11
	v_lshlrev_b32_sdwa v15, v15, v17 dst_sel:DWORD dst_unused:UNUSED_PAD src0_sel:DWORD src1_sel:WORD_1
	v_bfe_u32 v12, v17, 19, 4
	v_sub_u32_e32 v14, 29, v14
	v_and_b32_e32 v15, 7, v15
	v_cmp_eq_u16_e32 vcc, 0, v11
	v_cndmask_b32_e32 v10, v10, v15, vcc
	v_cndmask_b32_e32 v11, v12, v14, vcc
	v_lshlrev_b32_e32 v12, 8, v17
	v_mov_b32_e32 v14, 0x3b800000
	v_lshlrev_b32_e32 v10, 20, v10
	v_and_b32_e32 v12, 0x80000000, v12
	v_lshl_add_u32 v11, v11, 23, v14
	v_or3_b32 v10, v12, v11, v10
.LBB45_884:
	s_or_b64 exec, exec, s[6:7]
	s_movk_i32 s4, 0xff
	v_and_b32_sdwa v11, v13, s4 dst_sel:DWORD dst_unused:UNUSED_PAD src0_sel:WORD_1 src1_sel:DWORD
	s_movk_i32 s4, 0x7f
	v_cmp_lt_i16_e32 vcc, s4, v11
	s_mov_b64 s[4:5], 0
                                        ; implicit-def: $sgpr10
	s_and_saveexec_b64 s[6:7], vcc
	s_xor_b64 s[6:7], exec, s[6:7]
	s_cbranch_execnz .LBB45_2933
; %bb.885:
	s_or_saveexec_b64 s[6:7], s[6:7]
	v_mov_b32_e32 v12, s10
	s_xor_b64 exec, exec, s[6:7]
	s_cbranch_execnz .LBB45_2936
.LBB45_886:
	s_or_b64 exec, exec, s[6:7]
	s_and_saveexec_b64 s[6:7], s[4:5]
	s_cbranch_execz .LBB45_888
.LBB45_887:
	v_bfe_u32 v11, v13, 16, 3
	v_ffbh_u32_e32 v15, v11
	v_min_u32_e32 v15, 32, v15
	v_lshrrev_b32_e32 v12, 19, v13
	v_subrev_u32_e32 v16, 28, v15
	v_and_b32_e32 v12, 15, v12
	v_lshlrev_b32_sdwa v16, v16, v13 dst_sel:DWORD dst_unused:UNUSED_PAD src0_sel:DWORD src1_sel:WORD_1
	v_bfe_u32 v14, v13, 19, 4
	v_sub_u32_e32 v15, 29, v15
	v_and_b32_e32 v16, 7, v16
	v_cmp_eq_u16_e32 vcc, 0, v12
	v_cndmask_b32_e32 v11, v11, v16, vcc
	v_cndmask_b32_e32 v12, v14, v15, vcc
	v_lshlrev_b32_e32 v14, 8, v13
	v_mov_b32_e32 v15, 0x3b800000
	v_lshlrev_b32_e32 v11, 20, v11
	v_and_b32_e32 v14, 0x80000000, v14
	v_lshl_add_u32 v12, v12, 23, v15
	v_or3_b32 v12, v14, v12, v11
.LBB45_888:
	s_or_b64 exec, exec, s[6:7]
	s_nop 0
	v_mfma_f32_16x16x4f32 a[0:3], v10, v12, a[0:3]
	s_movk_i32 s4, 0x7f
	v_cmp_gt_i16_sdwa s[6:7], v17, s4 src0_sel:BYTE_3 src1_sel:DWORD
	s_mov_b64 s[4:5], 0
                                        ; implicit-def: $sgpr10
	s_and_saveexec_b64 s[8:9], s[6:7]
	s_xor_b64 s[6:7], exec, s[8:9]
	s_cbranch_execnz .LBB45_2937
; %bb.889:
	s_or_saveexec_b64 s[6:7], s[6:7]
	v_mov_b32_e32 v10, s10
	s_xor_b64 exec, exec, s[6:7]
	s_cbranch_execnz .LBB45_2940
.LBB45_890:
	s_or_b64 exec, exec, s[6:7]
	s_and_saveexec_b64 s[6:7], s[4:5]
	s_cbranch_execz .LBB45_892
.LBB45_891:
	v_bfe_u32 v10, v17, 24, 3
	v_ffbh_u32_e32 v15, v10
	v_min_u32_e32 v15, 32, v15
	v_lshrrev_b32_e32 v12, 27, v17
	v_subrev_u32_e32 v16, 28, v15
	v_and_b32_e32 v12, 15, v12
	v_lshlrev_b32_sdwa v16, v16, v17 dst_sel:DWORD dst_unused:UNUSED_PAD src0_sel:DWORD src1_sel:BYTE_3
	v_bfe_u32 v14, v17, 27, 4
	v_sub_u32_e32 v15, 29, v15
	v_and_b32_e32 v16, 7, v16
	v_cmp_eq_u16_e32 vcc, 0, v12
	v_cndmask_b32_e32 v10, v10, v16, vcc
	v_cndmask_b32_e32 v12, v14, v15, vcc
	v_mov_b32_e32 v14, 0x3b800000
	v_and_b32_e32 v11, 0x80000000, v17
	v_lshlrev_b32_e32 v10, 20, v10
	v_lshl_add_u32 v12, v12, 23, v14
	v_or3_b32 v10, v11, v12, v10
.LBB45_892:
	s_or_b64 exec, exec, s[6:7]
	s_movk_i32 s4, 0x7f
	v_cmp_gt_i16_sdwa s[6:7], v13, s4 src0_sel:BYTE_3 src1_sel:DWORD
	s_mov_b64 s[4:5], 0
                                        ; implicit-def: $sgpr10
	s_and_saveexec_b64 s[8:9], s[6:7]
	s_xor_b64 s[6:7], exec, s[8:9]
	s_cbranch_execnz .LBB45_2941
; %bb.893:
	s_or_saveexec_b64 s[6:7], s[6:7]
	v_mov_b32_e32 v11, s10
	s_xor_b64 exec, exec, s[6:7]
	s_cbranch_execnz .LBB45_2944
.LBB45_894:
	s_or_b64 exec, exec, s[6:7]
	s_and_saveexec_b64 s[6:7], s[4:5]
	s_cbranch_execz .LBB45_896
.LBB45_895:
	v_bfe_u32 v11, v13, 24, 3
	v_ffbh_u32_e32 v16, v11
	v_min_u32_e32 v16, 32, v16
	v_lshrrev_b32_e32 v14, 27, v13
	v_subrev_u32_e32 v17, 28, v16
	v_and_b32_e32 v12, 0x80000000, v13
	v_and_b32_e32 v14, 15, v14
	v_bfe_u32 v15, v13, 27, 4
	v_lshlrev_b32_sdwa v13, v17, v13 dst_sel:DWORD dst_unused:UNUSED_PAD src0_sel:DWORD src1_sel:BYTE_3
	v_sub_u32_e32 v16, 29, v16
	v_and_b32_e32 v13, 7, v13
	v_cmp_eq_u16_e32 vcc, 0, v14
	v_cndmask_b32_e32 v11, v11, v13, vcc
	v_cndmask_b32_e32 v13, v15, v16, vcc
	v_mov_b32_e32 v14, 0x3b800000
	v_lshlrev_b32_e32 v11, 20, v11
	v_lshl_add_u32 v13, v13, 23, v14
	v_or3_b32 v11, v12, v13, v11
.LBB45_896:
	s_or_b64 exec, exec, s[6:7]
	s_nop 0
	v_mfma_f32_16x16x4f32 a[0:3], v10, v11, a[0:3]
	s_movk_i32 s4, 0x7f
	v_cmp_gt_i16_sdwa s[6:7], v6, s4 src0_sel:BYTE_0 src1_sel:DWORD
	s_mov_b64 s[4:5], 0
                                        ; implicit-def: $sgpr10
	s_and_saveexec_b64 s[8:9], s[6:7]
	s_xor_b64 s[6:7], exec, s[8:9]
	s_cbranch_execnz .LBB45_2945
; %bb.897:
	s_or_saveexec_b64 s[6:7], s[6:7]
	v_mov_b32_e32 v10, s10
	s_xor_b64 exec, exec, s[6:7]
	s_cbranch_execnz .LBB45_2948
.LBB45_898:
	s_or_b64 exec, exec, s[6:7]
	s_and_saveexec_b64 s[6:7], s[4:5]
	s_cbranch_execz .LBB45_900
.LBB45_899:
	v_and_b32_e32 v10, 7, v6
	v_ffbh_u32_e32 v12, v10
	v_min_u32_e32 v12, 32, v12
	v_lshrrev_b16_e32 v11, 3, v6
	v_subrev_u32_e32 v13, 28, v12
	v_and_b32_e32 v11, 15, v11
	v_lshlrev_b32_e32 v13, v13, v6
	v_sub_u32_e32 v12, 29, v12
	v_and_b32_e32 v13, 7, v13
	v_cmp_eq_u16_e32 vcc, 0, v11
	v_cndmask_b32_e32 v10, v10, v13, vcc
	v_cndmask_b32_e32 v11, v11, v12, vcc
	v_lshlrev_b32_e32 v12, 24, v6
	v_mov_b32_e32 v13, 0x3b800000
	v_lshlrev_b32_e32 v10, 20, v10
	v_and_b32_e32 v12, 0x80000000, v12
	v_lshl_add_u32 v11, v11, 23, v13
	v_or3_b32 v10, v12, v11, v10
.LBB45_900:
	s_or_b64 exec, exec, s[6:7]
	s_movk_i32 s4, 0x7f
	v_cmp_gt_i16_sdwa s[6:7], v2, s4 src0_sel:BYTE_0 src1_sel:DWORD
	s_mov_b64 s[4:5], 0
                                        ; implicit-def: $sgpr10
	s_and_saveexec_b64 s[8:9], s[6:7]
	s_xor_b64 s[6:7], exec, s[8:9]
	s_cbranch_execnz .LBB45_2949
; %bb.901:
	s_or_saveexec_b64 s[6:7], s[6:7]
	v_mov_b32_e32 v11, s10
	s_xor_b64 exec, exec, s[6:7]
	s_cbranch_execnz .LBB45_2952
.LBB45_902:
	s_or_b64 exec, exec, s[6:7]
	s_and_saveexec_b64 s[6:7], s[4:5]
	s_cbranch_execz .LBB45_904
.LBB45_903:
	v_and_b32_e32 v11, 7, v2
	v_ffbh_u32_e32 v13, v11
	v_min_u32_e32 v13, 32, v13
	v_lshrrev_b16_e32 v12, 3, v2
	v_subrev_u32_e32 v14, 28, v13
	v_and_b32_e32 v12, 15, v12
	v_lshlrev_b32_e32 v14, v14, v2
	v_sub_u32_e32 v13, 29, v13
	v_and_b32_e32 v14, 7, v14
	v_cmp_eq_u16_e32 vcc, 0, v12
	v_cndmask_b32_e32 v11, v11, v14, vcc
	v_cndmask_b32_e32 v12, v12, v13, vcc
	v_lshlrev_b32_e32 v13, 24, v2
	v_mov_b32_e32 v14, 0x3b800000
	v_lshlrev_b32_e32 v11, 20, v11
	v_and_b32_e32 v13, 0x80000000, v13
	v_lshl_add_u32 v12, v12, 23, v14
	v_or3_b32 v11, v13, v12, v11
.LBB45_904:
	s_or_b64 exec, exec, s[6:7]
	s_nop 0
	v_mfma_f32_16x16x4f32 a[0:3], v10, v11, a[0:3]
	v_lshrrev_b32_e32 v11, 8, v6
	s_movk_i32 s4, 0x7f
	v_cmp_gt_i16_sdwa s[6:7], v11, s4 src0_sel:BYTE_0 src1_sel:DWORD
	s_mov_b64 s[4:5], 0
                                        ; implicit-def: $sgpr10
	s_and_saveexec_b64 s[8:9], s[6:7]
	s_xor_b64 s[6:7], exec, s[8:9]
	s_cbranch_execnz .LBB45_2953
; %bb.905:
	s_or_saveexec_b64 s[6:7], s[6:7]
	v_mov_b32_e32 v10, s10
	s_xor_b64 exec, exec, s[6:7]
	s_cbranch_execnz .LBB45_2956
.LBB45_906:
	s_or_b64 exec, exec, s[6:7]
	s_and_saveexec_b64 s[6:7], s[4:5]
	s_cbranch_execz .LBB45_908
.LBB45_907:
	v_bfe_u32 v10, v6, 8, 3
	v_ffbh_u32_e32 v13, v10
	v_min_u32_e32 v13, 32, v13
	v_lshrrev_b16_e32 v12, 3, v11
	v_subrev_u32_e32 v14, 28, v13
	v_and_b32_e32 v12, 15, v12
	v_lshlrev_b32_e32 v11, v14, v11
	v_sub_u32_e32 v13, 29, v13
	v_and_b32_e32 v11, 7, v11
	v_cmp_eq_u16_e32 vcc, 0, v12
	v_cndmask_b32_e32 v10, v10, v11, vcc
	v_cndmask_b32_e32 v11, v12, v13, vcc
	v_lshlrev_b32_e32 v12, 16, v6
	v_mov_b32_e32 v13, 0x3b800000
	v_lshlrev_b32_e32 v10, 20, v10
	v_and_b32_e32 v12, 0x80000000, v12
	v_lshl_add_u32 v11, v11, 23, v13
	v_or3_b32 v10, v12, v11, v10
.LBB45_908:
	s_or_b64 exec, exec, s[6:7]
	v_lshrrev_b32_e32 v11, 8, v2
	s_movk_i32 s4, 0x7f
	v_cmp_gt_i16_sdwa s[6:7], v11, s4 src0_sel:BYTE_0 src1_sel:DWORD
	s_mov_b64 s[4:5], 0
                                        ; implicit-def: $sgpr10
	s_and_saveexec_b64 s[8:9], s[6:7]
	s_xor_b64 s[6:7], exec, s[8:9]
	s_cbranch_execnz .LBB45_2957
; %bb.909:
	s_or_saveexec_b64 s[6:7], s[6:7]
	v_mov_b32_e32 v12, s10
	s_xor_b64 exec, exec, s[6:7]
	s_cbranch_execnz .LBB45_2960
.LBB45_910:
	s_or_b64 exec, exec, s[6:7]
	s_and_saveexec_b64 s[6:7], s[4:5]
	s_cbranch_execz .LBB45_912
.LBB45_911:
	v_bfe_u32 v12, v2, 8, 3
	v_ffbh_u32_e32 v14, v12
	v_min_u32_e32 v14, 32, v14
	v_lshrrev_b16_e32 v13, 3, v11
	v_subrev_u32_e32 v15, 28, v14
	v_and_b32_e32 v13, 15, v13
	v_lshlrev_b32_e32 v11, v15, v11
	v_sub_u32_e32 v14, 29, v14
	v_and_b32_e32 v11, 7, v11
	v_cmp_eq_u16_e32 vcc, 0, v13
	v_cndmask_b32_e32 v11, v12, v11, vcc
	v_cndmask_b32_e32 v12, v13, v14, vcc
	v_lshlrev_b32_e32 v13, 16, v2
	v_mov_b32_e32 v14, 0x3b800000
	v_lshlrev_b32_e32 v11, 20, v11
	v_and_b32_e32 v13, 0x80000000, v13
	v_lshl_add_u32 v12, v12, 23, v14
	v_or3_b32 v12, v13, v12, v11
.LBB45_912:
	s_or_b64 exec, exec, s[6:7]
	s_nop 0
	v_mfma_f32_16x16x4f32 a[0:3], v10, v12, a[0:3]
	s_movk_i32 s4, 0xff
	v_and_b32_sdwa v11, v6, s4 dst_sel:DWORD dst_unused:UNUSED_PAD src0_sel:WORD_1 src1_sel:DWORD
	s_movk_i32 s4, 0x7f
	v_cmp_lt_i16_e32 vcc, s4, v11
	s_mov_b64 s[4:5], 0
                                        ; implicit-def: $sgpr10
	s_and_saveexec_b64 s[6:7], vcc
	s_xor_b64 s[6:7], exec, s[6:7]
	s_cbranch_execnz .LBB45_2961
; %bb.913:
	s_or_saveexec_b64 s[6:7], s[6:7]
	v_mov_b32_e32 v10, s10
	s_xor_b64 exec, exec, s[6:7]
	s_cbranch_execnz .LBB45_2964
.LBB45_914:
	s_or_b64 exec, exec, s[6:7]
	s_and_saveexec_b64 s[6:7], s[4:5]
	s_cbranch_execz .LBB45_916
.LBB45_915:
	v_bfe_u32 v10, v6, 16, 3
	v_ffbh_u32_e32 v13, v10
	v_min_u32_e32 v13, 32, v13
	v_lshrrev_b32_e32 v11, 19, v6
	v_subrev_u32_e32 v14, 28, v13
	v_and_b32_e32 v11, 15, v11
	v_lshlrev_b32_sdwa v14, v14, v6 dst_sel:DWORD dst_unused:UNUSED_PAD src0_sel:DWORD src1_sel:WORD_1
	v_bfe_u32 v12, v6, 19, 4
	v_sub_u32_e32 v13, 29, v13
	v_and_b32_e32 v14, 7, v14
	v_cmp_eq_u16_e32 vcc, 0, v11
	v_cndmask_b32_e32 v10, v10, v14, vcc
	v_cndmask_b32_e32 v11, v12, v13, vcc
	v_lshlrev_b32_e32 v12, 8, v6
	v_mov_b32_e32 v13, 0x3b800000
	v_lshlrev_b32_e32 v10, 20, v10
	v_and_b32_e32 v12, 0x80000000, v12
	v_lshl_add_u32 v11, v11, 23, v13
	v_or3_b32 v10, v12, v11, v10
.LBB45_916:
	s_or_b64 exec, exec, s[6:7]
	s_movk_i32 s4, 0xff
	v_and_b32_sdwa v11, v2, s4 dst_sel:DWORD dst_unused:UNUSED_PAD src0_sel:WORD_1 src1_sel:DWORD
	s_movk_i32 s4, 0x7f
	v_cmp_lt_i16_e32 vcc, s4, v11
	s_mov_b64 s[4:5], 0
                                        ; implicit-def: $sgpr10
	s_and_saveexec_b64 s[6:7], vcc
	s_xor_b64 s[6:7], exec, s[6:7]
	s_cbranch_execnz .LBB45_2965
; %bb.917:
	s_or_saveexec_b64 s[6:7], s[6:7]
	v_mov_b32_e32 v12, s10
	s_xor_b64 exec, exec, s[6:7]
	s_cbranch_execnz .LBB45_2968
.LBB45_918:
	s_or_b64 exec, exec, s[6:7]
	s_and_saveexec_b64 s[6:7], s[4:5]
	s_cbranch_execz .LBB45_920
.LBB45_919:
	v_bfe_u32 v11, v2, 16, 3
	v_ffbh_u32_e32 v14, v11
	v_min_u32_e32 v14, 32, v14
	v_lshrrev_b32_e32 v12, 19, v2
	v_subrev_u32_e32 v15, 28, v14
	v_and_b32_e32 v12, 15, v12
	v_lshlrev_b32_sdwa v15, v15, v2 dst_sel:DWORD dst_unused:UNUSED_PAD src0_sel:DWORD src1_sel:WORD_1
	v_bfe_u32 v13, v2, 19, 4
	v_sub_u32_e32 v14, 29, v14
	v_and_b32_e32 v15, 7, v15
	v_cmp_eq_u16_e32 vcc, 0, v12
	v_cndmask_b32_e32 v11, v11, v15, vcc
	v_cndmask_b32_e32 v12, v13, v14, vcc
	v_lshlrev_b32_e32 v13, 8, v2
	v_mov_b32_e32 v14, 0x3b800000
	v_lshlrev_b32_e32 v11, 20, v11
	v_and_b32_e32 v13, 0x80000000, v13
	v_lshl_add_u32 v12, v12, 23, v14
	v_or3_b32 v12, v13, v12, v11
.LBB45_920:
	s_or_b64 exec, exec, s[6:7]
	s_nop 0
	v_mfma_f32_16x16x4f32 a[0:3], v10, v12, a[0:3]
	s_movk_i32 s4, 0x7f
	v_cmp_gt_i16_sdwa s[6:7], v6, s4 src0_sel:BYTE_3 src1_sel:DWORD
	s_mov_b64 s[4:5], 0
                                        ; implicit-def: $sgpr10
	s_and_saveexec_b64 s[8:9], s[6:7]
	s_xor_b64 s[6:7], exec, s[8:9]
	s_cbranch_execnz .LBB45_2969
; %bb.921:
	s_or_saveexec_b64 s[6:7], s[6:7]
	v_mov_b32_e32 v10, s10
	s_xor_b64 exec, exec, s[6:7]
	s_cbranch_execnz .LBB45_2972
.LBB45_922:
	s_or_b64 exec, exec, s[6:7]
	s_and_saveexec_b64 s[6:7], s[4:5]
	s_cbranch_execz .LBB45_924
.LBB45_923:
	v_bfe_u32 v10, v6, 24, 3
	v_ffbh_u32_e32 v14, v10
	v_min_u32_e32 v14, 32, v14
	v_lshrrev_b32_e32 v12, 27, v6
	v_subrev_u32_e32 v15, 28, v14
	v_and_b32_e32 v11, 0x80000000, v6
	v_and_b32_e32 v12, 15, v12
	v_bfe_u32 v13, v6, 27, 4
	v_lshlrev_b32_sdwa v6, v15, v6 dst_sel:DWORD dst_unused:UNUSED_PAD src0_sel:DWORD src1_sel:BYTE_3
	v_sub_u32_e32 v14, 29, v14
	v_and_b32_e32 v6, 7, v6
	v_cmp_eq_u16_e32 vcc, 0, v12
	v_cndmask_b32_e32 v6, v10, v6, vcc
	v_cndmask_b32_e32 v10, v13, v14, vcc
	v_mov_b32_e32 v12, 0x3b800000
	v_lshlrev_b32_e32 v6, 20, v6
	v_lshl_add_u32 v10, v10, 23, v12
	v_or3_b32 v10, v11, v10, v6
.LBB45_924:
	s_or_b64 exec, exec, s[6:7]
	s_movk_i32 s4, 0x7f
	v_cmp_gt_i16_sdwa s[6:7], v2, s4 src0_sel:BYTE_3 src1_sel:DWORD
	s_mov_b64 s[4:5], 0
                                        ; implicit-def: $sgpr10
	s_and_saveexec_b64 s[8:9], s[6:7]
	s_xor_b64 s[6:7], exec, s[8:9]
	s_cbranch_execnz .LBB45_2973
; %bb.925:
	s_or_saveexec_b64 s[6:7], s[6:7]
	v_mov_b32_e32 v6, s10
	s_xor_b64 exec, exec, s[6:7]
	s_cbranch_execnz .LBB45_2976
.LBB45_926:
	s_or_b64 exec, exec, s[6:7]
	s_and_saveexec_b64 s[6:7], s[4:5]
	s_cbranch_execz .LBB45_928
.LBB45_927:
	v_bfe_u32 v6, v2, 24, 3
	v_ffbh_u32_e32 v14, v6
	v_min_u32_e32 v14, 32, v14
	v_lshrrev_b32_e32 v12, 27, v2
	v_subrev_u32_e32 v15, 28, v14
	v_and_b32_e32 v11, 0x80000000, v2
	v_and_b32_e32 v12, 15, v12
	v_bfe_u32 v13, v2, 27, 4
	v_lshlrev_b32_sdwa v2, v15, v2 dst_sel:DWORD dst_unused:UNUSED_PAD src0_sel:DWORD src1_sel:BYTE_3
	v_sub_u32_e32 v14, 29, v14
	v_and_b32_e32 v2, 7, v2
	v_cmp_eq_u16_e32 vcc, 0, v12
	v_cndmask_b32_e32 v2, v6, v2, vcc
	v_cndmask_b32_e32 v6, v13, v14, vcc
	v_mov_b32_e32 v12, 0x3b800000
	v_lshlrev_b32_e32 v2, 20, v2
	v_lshl_add_u32 v6, v6, 23, v12
	v_or3_b32 v6, v11, v6, v2
.LBB45_928:
	s_or_b64 exec, exec, s[6:7]
	s_nop 0
	v_mfma_f32_16x16x4f32 a[0:3], v10, v6, a[0:3]
	s_movk_i32 s4, 0x7f
	v_cmp_gt_i16_sdwa s[6:7], v7, s4 src0_sel:BYTE_0 src1_sel:DWORD
	s_mov_b64 s[4:5], 0
                                        ; implicit-def: $sgpr10
	s_and_saveexec_b64 s[8:9], s[6:7]
	s_xor_b64 s[6:7], exec, s[8:9]
	s_cbranch_execnz .LBB45_2977
; %bb.929:
	s_or_saveexec_b64 s[6:7], s[6:7]
	v_mov_b32_e32 v2, s10
	s_xor_b64 exec, exec, s[6:7]
	s_cbranch_execnz .LBB45_2980
.LBB45_930:
	s_or_b64 exec, exec, s[6:7]
	s_and_saveexec_b64 s[6:7], s[4:5]
	s_cbranch_execz .LBB45_932
.LBB45_931:
	v_and_b32_e32 v2, 7, v7
	v_ffbh_u32_e32 v10, v2
	v_min_u32_e32 v10, 32, v10
	v_lshrrev_b16_e32 v6, 3, v7
	v_subrev_u32_e32 v11, 28, v10
	v_and_b32_e32 v6, 15, v6
	v_lshlrev_b32_e32 v11, v11, v7
	v_sub_u32_e32 v10, 29, v10
	v_and_b32_e32 v11, 7, v11
	v_cmp_eq_u16_e32 vcc, 0, v6
	v_cndmask_b32_e32 v2, v2, v11, vcc
	v_cndmask_b32_e32 v6, v6, v10, vcc
	v_lshlrev_b32_e32 v10, 24, v7
	v_mov_b32_e32 v11, 0x3b800000
	v_lshlrev_b32_e32 v2, 20, v2
	v_and_b32_e32 v10, 0x80000000, v10
	v_lshl_add_u32 v6, v6, 23, v11
	v_or3_b32 v2, v10, v6, v2
.LBB45_932:
	s_or_b64 exec, exec, s[6:7]
	s_movk_i32 s4, 0x7f
	v_cmp_gt_i16_sdwa s[6:7], v3, s4 src0_sel:BYTE_0 src1_sel:DWORD
	s_mov_b64 s[4:5], 0
                                        ; implicit-def: $sgpr10
	s_and_saveexec_b64 s[8:9], s[6:7]
	s_xor_b64 s[6:7], exec, s[8:9]
	s_cbranch_execnz .LBB45_2981
; %bb.933:
	s_or_saveexec_b64 s[6:7], s[6:7]
	v_mov_b32_e32 v6, s10
	s_xor_b64 exec, exec, s[6:7]
	s_cbranch_execnz .LBB45_2984
.LBB45_934:
	s_or_b64 exec, exec, s[6:7]
	s_and_saveexec_b64 s[6:7], s[4:5]
	s_cbranch_execz .LBB45_936
.LBB45_935:
	v_and_b32_e32 v6, 7, v3
	v_ffbh_u32_e32 v11, v6
	v_min_u32_e32 v11, 32, v11
	v_lshrrev_b16_e32 v10, 3, v3
	v_subrev_u32_e32 v12, 28, v11
	v_and_b32_e32 v10, 15, v10
	v_lshlrev_b32_e32 v12, v12, v3
	v_sub_u32_e32 v11, 29, v11
	v_and_b32_e32 v12, 7, v12
	v_cmp_eq_u16_e32 vcc, 0, v10
	v_cndmask_b32_e32 v6, v6, v12, vcc
	v_cndmask_b32_e32 v10, v10, v11, vcc
	v_lshlrev_b32_e32 v11, 24, v3
	v_mov_b32_e32 v12, 0x3b800000
	v_lshlrev_b32_e32 v6, 20, v6
	v_and_b32_e32 v11, 0x80000000, v11
	v_lshl_add_u32 v10, v10, 23, v12
	v_or3_b32 v6, v11, v10, v6
.LBB45_936:
	s_or_b64 exec, exec, s[6:7]
	s_nop 0
	v_mfma_f32_16x16x4f32 a[0:3], v2, v6, a[0:3]
	v_lshrrev_b32_e32 v6, 8, v7
	s_movk_i32 s4, 0x7f
	v_cmp_gt_i16_sdwa s[6:7], v6, s4 src0_sel:BYTE_0 src1_sel:DWORD
	s_mov_b64 s[4:5], 0
                                        ; implicit-def: $sgpr10
	s_and_saveexec_b64 s[8:9], s[6:7]
	s_xor_b64 s[6:7], exec, s[8:9]
	s_cbranch_execnz .LBB45_2985
; %bb.937:
	s_or_saveexec_b64 s[6:7], s[6:7]
	v_mov_b32_e32 v2, s10
	s_xor_b64 exec, exec, s[6:7]
	s_cbranch_execnz .LBB45_2988
.LBB45_938:
	s_or_b64 exec, exec, s[6:7]
	s_and_saveexec_b64 s[6:7], s[4:5]
	s_cbranch_execz .LBB45_940
.LBB45_939:
	v_bfe_u32 v2, v7, 8, 3
	v_ffbh_u32_e32 v11, v2
	v_min_u32_e32 v11, 32, v11
	v_lshrrev_b16_e32 v10, 3, v6
	v_subrev_u32_e32 v12, 28, v11
	v_and_b32_e32 v10, 15, v10
	v_lshlrev_b32_e32 v6, v12, v6
	v_sub_u32_e32 v11, 29, v11
	v_and_b32_e32 v6, 7, v6
	v_cmp_eq_u16_e32 vcc, 0, v10
	v_cndmask_b32_e32 v2, v2, v6, vcc
	v_cndmask_b32_e32 v6, v10, v11, vcc
	v_lshlrev_b32_e32 v10, 16, v7
	v_mov_b32_e32 v11, 0x3b800000
	v_lshlrev_b32_e32 v2, 20, v2
	v_and_b32_e32 v10, 0x80000000, v10
	v_lshl_add_u32 v6, v6, 23, v11
	v_or3_b32 v2, v10, v6, v2
.LBB45_940:
	s_or_b64 exec, exec, s[6:7]
	v_lshrrev_b32_e32 v6, 8, v3
	s_movk_i32 s4, 0x7f
	v_cmp_gt_i16_sdwa s[6:7], v6, s4 src0_sel:BYTE_0 src1_sel:DWORD
	s_mov_b64 s[4:5], 0
                                        ; implicit-def: $sgpr10
	s_and_saveexec_b64 s[8:9], s[6:7]
	s_xor_b64 s[6:7], exec, s[8:9]
	s_cbranch_execnz .LBB45_2989
; %bb.941:
	s_or_saveexec_b64 s[6:7], s[6:7]
	v_mov_b32_e32 v10, s10
	s_xor_b64 exec, exec, s[6:7]
	s_cbranch_execnz .LBB45_2992
.LBB45_942:
	s_or_b64 exec, exec, s[6:7]
	s_and_saveexec_b64 s[6:7], s[4:5]
	s_cbranch_execz .LBB45_944
.LBB45_943:
	v_bfe_u32 v10, v3, 8, 3
	v_ffbh_u32_e32 v12, v10
	v_min_u32_e32 v12, 32, v12
	v_lshrrev_b16_e32 v11, 3, v6
	v_subrev_u32_e32 v13, 28, v12
	v_and_b32_e32 v11, 15, v11
	v_lshlrev_b32_e32 v6, v13, v6
	v_sub_u32_e32 v12, 29, v12
	v_and_b32_e32 v6, 7, v6
	v_cmp_eq_u16_e32 vcc, 0, v11
	v_cndmask_b32_e32 v6, v10, v6, vcc
	v_cndmask_b32_e32 v10, v11, v12, vcc
	v_lshlrev_b32_e32 v11, 16, v3
	v_mov_b32_e32 v12, 0x3b800000
	v_lshlrev_b32_e32 v6, 20, v6
	v_and_b32_e32 v11, 0x80000000, v11
	v_lshl_add_u32 v10, v10, 23, v12
	v_or3_b32 v10, v11, v10, v6
.LBB45_944:
	s_or_b64 exec, exec, s[6:7]
	s_nop 0
	v_mfma_f32_16x16x4f32 a[0:3], v2, v10, a[0:3]
	s_movk_i32 s4, 0xff
	v_and_b32_sdwa v6, v7, s4 dst_sel:DWORD dst_unused:UNUSED_PAD src0_sel:WORD_1 src1_sel:DWORD
	s_movk_i32 s4, 0x7f
	v_cmp_lt_i16_e32 vcc, s4, v6
	s_mov_b64 s[4:5], 0
                                        ; implicit-def: $sgpr10
	s_and_saveexec_b64 s[6:7], vcc
	s_xor_b64 s[6:7], exec, s[6:7]
	s_cbranch_execnz .LBB45_2993
; %bb.945:
	s_or_saveexec_b64 s[6:7], s[6:7]
	v_mov_b32_e32 v2, s10
	s_xor_b64 exec, exec, s[6:7]
	s_cbranch_execnz .LBB45_2996
.LBB45_946:
	s_or_b64 exec, exec, s[6:7]
	s_and_saveexec_b64 s[6:7], s[4:5]
	s_cbranch_execz .LBB45_948
.LBB45_947:
	v_bfe_u32 v2, v7, 16, 3
	v_ffbh_u32_e32 v11, v2
	v_min_u32_e32 v11, 32, v11
	v_lshrrev_b32_e32 v6, 19, v7
	v_subrev_u32_e32 v12, 28, v11
	v_and_b32_e32 v6, 15, v6
	v_lshlrev_b32_sdwa v12, v12, v7 dst_sel:DWORD dst_unused:UNUSED_PAD src0_sel:DWORD src1_sel:WORD_1
	v_bfe_u32 v10, v7, 19, 4
	v_sub_u32_e32 v11, 29, v11
	v_and_b32_e32 v12, 7, v12
	v_cmp_eq_u16_e32 vcc, 0, v6
	v_cndmask_b32_e32 v2, v2, v12, vcc
	v_cndmask_b32_e32 v6, v10, v11, vcc
	v_lshlrev_b32_e32 v10, 8, v7
	v_mov_b32_e32 v11, 0x3b800000
	v_lshlrev_b32_e32 v2, 20, v2
	v_and_b32_e32 v10, 0x80000000, v10
	v_lshl_add_u32 v6, v6, 23, v11
	v_or3_b32 v2, v10, v6, v2
.LBB45_948:
	s_or_b64 exec, exec, s[6:7]
	s_movk_i32 s4, 0xff
	v_and_b32_sdwa v6, v3, s4 dst_sel:DWORD dst_unused:UNUSED_PAD src0_sel:WORD_1 src1_sel:DWORD
	s_movk_i32 s4, 0x7f
	v_cmp_lt_i16_e32 vcc, s4, v6
	s_mov_b64 s[4:5], 0
                                        ; implicit-def: $sgpr10
	s_and_saveexec_b64 s[6:7], vcc
	s_xor_b64 s[6:7], exec, s[6:7]
	s_cbranch_execnz .LBB45_2997
; %bb.949:
	s_or_saveexec_b64 s[6:7], s[6:7]
	v_mov_b32_e32 v10, s10
	s_xor_b64 exec, exec, s[6:7]
	s_cbranch_execnz .LBB45_3000
.LBB45_950:
	s_or_b64 exec, exec, s[6:7]
	s_and_saveexec_b64 s[6:7], s[4:5]
	s_cbranch_execz .LBB45_952
.LBB45_951:
	v_bfe_u32 v6, v3, 16, 3
	v_ffbh_u32_e32 v12, v6
	v_min_u32_e32 v12, 32, v12
	v_lshrrev_b32_e32 v10, 19, v3
	v_subrev_u32_e32 v13, 28, v12
	v_and_b32_e32 v10, 15, v10
	v_lshlrev_b32_sdwa v13, v13, v3 dst_sel:DWORD dst_unused:UNUSED_PAD src0_sel:DWORD src1_sel:WORD_1
	v_bfe_u32 v11, v3, 19, 4
	v_sub_u32_e32 v12, 29, v12
	v_and_b32_e32 v13, 7, v13
	v_cmp_eq_u16_e32 vcc, 0, v10
	v_cndmask_b32_e32 v6, v6, v13, vcc
	v_cndmask_b32_e32 v10, v11, v12, vcc
	v_lshlrev_b32_e32 v11, 8, v3
	v_mov_b32_e32 v12, 0x3b800000
	v_lshlrev_b32_e32 v6, 20, v6
	v_and_b32_e32 v11, 0x80000000, v11
	v_lshl_add_u32 v10, v10, 23, v12
	v_or3_b32 v10, v11, v10, v6
.LBB45_952:
	s_or_b64 exec, exec, s[6:7]
	s_nop 0
	v_mfma_f32_16x16x4f32 a[0:3], v2, v10, a[0:3]
	s_movk_i32 s4, 0x7f
	v_cmp_gt_i16_sdwa s[6:7], v7, s4 src0_sel:BYTE_3 src1_sel:DWORD
	s_mov_b64 s[4:5], 0
                                        ; implicit-def: $sgpr10
	s_and_saveexec_b64 s[8:9], s[6:7]
	s_xor_b64 s[6:7], exec, s[8:9]
	s_cbranch_execnz .LBB45_3001
; %bb.953:
	s_or_saveexec_b64 s[6:7], s[6:7]
	v_mov_b32_e32 v2, s10
	s_xor_b64 exec, exec, s[6:7]
	s_cbranch_execnz .LBB45_3004
.LBB45_954:
	s_or_b64 exec, exec, s[6:7]
	s_and_saveexec_b64 s[6:7], s[4:5]
	s_cbranch_execz .LBB45_956
.LBB45_955:
	v_bfe_u32 v2, v7, 24, 3
	v_ffbh_u32_e32 v12, v2
	v_min_u32_e32 v12, 32, v12
	v_lshrrev_b32_e32 v10, 27, v7
	v_subrev_u32_e32 v13, 28, v12
	v_and_b32_e32 v6, 0x80000000, v7
	v_and_b32_e32 v10, 15, v10
	v_bfe_u32 v11, v7, 27, 4
	v_lshlrev_b32_sdwa v7, v13, v7 dst_sel:DWORD dst_unused:UNUSED_PAD src0_sel:DWORD src1_sel:BYTE_3
	v_sub_u32_e32 v12, 29, v12
	v_and_b32_e32 v7, 7, v7
	v_cmp_eq_u16_e32 vcc, 0, v10
	v_cndmask_b32_e32 v2, v2, v7, vcc
	v_cndmask_b32_e32 v7, v11, v12, vcc
	v_mov_b32_e32 v10, 0x3b800000
	v_lshlrev_b32_e32 v2, 20, v2
	v_lshl_add_u32 v7, v7, 23, v10
	v_or3_b32 v2, v6, v7, v2
.LBB45_956:
	s_or_b64 exec, exec, s[6:7]
	s_movk_i32 s4, 0x7f
	v_cmp_gt_i16_sdwa s[6:7], v3, s4 src0_sel:BYTE_3 src1_sel:DWORD
	s_mov_b64 s[4:5], 0
                                        ; implicit-def: $sgpr10
	s_and_saveexec_b64 s[8:9], s[6:7]
	s_xor_b64 s[6:7], exec, s[8:9]
	s_cbranch_execnz .LBB45_3005
; %bb.957:
	s_or_saveexec_b64 s[6:7], s[6:7]
	v_mov_b32_e32 v6, s10
	s_xor_b64 exec, exec, s[6:7]
	s_cbranch_execnz .LBB45_3008
.LBB45_958:
	s_or_b64 exec, exec, s[6:7]
	s_and_saveexec_b64 s[6:7], s[4:5]
	s_cbranch_execz .LBB45_960
.LBB45_959:
	v_bfe_u32 v6, v3, 24, 3
	v_ffbh_u32_e32 v12, v6
	v_min_u32_e32 v12, 32, v12
	v_lshrrev_b32_e32 v10, 27, v3
	v_subrev_u32_e32 v13, 28, v12
	v_and_b32_e32 v7, 0x80000000, v3
	v_and_b32_e32 v10, 15, v10
	v_bfe_u32 v11, v3, 27, 4
	v_lshlrev_b32_sdwa v3, v13, v3 dst_sel:DWORD dst_unused:UNUSED_PAD src0_sel:DWORD src1_sel:BYTE_3
	v_sub_u32_e32 v12, 29, v12
	v_and_b32_e32 v3, 7, v3
	v_cmp_eq_u16_e32 vcc, 0, v10
	v_cndmask_b32_e32 v3, v6, v3, vcc
	v_cndmask_b32_e32 v6, v11, v12, vcc
	v_mov_b32_e32 v10, 0x3b800000
	v_lshlrev_b32_e32 v3, 20, v3
	v_lshl_add_u32 v6, v6, 23, v10
	v_or3_b32 v6, v7, v6, v3
.LBB45_960:
	s_or_b64 exec, exec, s[6:7]
	s_nop 0
	v_mfma_f32_16x16x4f32 a[0:3], v2, v6, a[0:3]
	s_movk_i32 s4, 0x7f
	v_cmp_gt_i16_sdwa s[6:7], v8, s4 src0_sel:BYTE_0 src1_sel:DWORD
	s_mov_b64 s[4:5], 0
                                        ; implicit-def: $sgpr10
	s_and_saveexec_b64 s[8:9], s[6:7]
	s_xor_b64 s[6:7], exec, s[8:9]
	s_cbranch_execnz .LBB45_3009
; %bb.961:
	s_or_saveexec_b64 s[6:7], s[6:7]
	v_mov_b32_e32 v2, s10
	s_xor_b64 exec, exec, s[6:7]
	s_cbranch_execnz .LBB45_3012
.LBB45_962:
	s_or_b64 exec, exec, s[6:7]
	s_and_saveexec_b64 s[6:7], s[4:5]
	s_cbranch_execz .LBB45_964
.LBB45_963:
	v_and_b32_e32 v2, 7, v8
	v_ffbh_u32_e32 v6, v2
	v_min_u32_e32 v6, 32, v6
	v_lshrrev_b16_e32 v3, 3, v8
	v_subrev_u32_e32 v7, 28, v6
	v_and_b32_e32 v3, 15, v3
	v_lshlrev_b32_e32 v7, v7, v8
	v_sub_u32_e32 v6, 29, v6
	v_and_b32_e32 v7, 7, v7
	v_cmp_eq_u16_e32 vcc, 0, v3
	v_cndmask_b32_e32 v2, v2, v7, vcc
	v_cndmask_b32_e32 v3, v3, v6, vcc
	v_lshlrev_b32_e32 v6, 24, v8
	v_mov_b32_e32 v7, 0x3b800000
	v_lshlrev_b32_e32 v2, 20, v2
	v_and_b32_e32 v6, 0x80000000, v6
	v_lshl_add_u32 v3, v3, 23, v7
	v_or3_b32 v2, v6, v3, v2
.LBB45_964:
	s_or_b64 exec, exec, s[6:7]
	s_movk_i32 s4, 0x7f
	v_cmp_gt_i16_sdwa s[6:7], v4, s4 src0_sel:BYTE_0 src1_sel:DWORD
	s_mov_b64 s[4:5], 0
                                        ; implicit-def: $sgpr10
	s_and_saveexec_b64 s[8:9], s[6:7]
	s_xor_b64 s[6:7], exec, s[8:9]
	s_cbranch_execnz .LBB45_3013
; %bb.965:
	s_or_saveexec_b64 s[6:7], s[6:7]
	v_mov_b32_e32 v3, s10
	s_xor_b64 exec, exec, s[6:7]
	s_cbranch_execnz .LBB45_3016
.LBB45_966:
	s_or_b64 exec, exec, s[6:7]
	s_and_saveexec_b64 s[6:7], s[4:5]
	s_cbranch_execz .LBB45_968
.LBB45_967:
	v_and_b32_e32 v3, 7, v4
	v_ffbh_u32_e32 v7, v3
	v_min_u32_e32 v7, 32, v7
	v_lshrrev_b16_e32 v6, 3, v4
	v_subrev_u32_e32 v10, 28, v7
	v_and_b32_e32 v6, 15, v6
	v_lshlrev_b32_e32 v10, v10, v4
	v_sub_u32_e32 v7, 29, v7
	v_and_b32_e32 v10, 7, v10
	v_cmp_eq_u16_e32 vcc, 0, v6
	v_cndmask_b32_e32 v3, v3, v10, vcc
	v_cndmask_b32_e32 v6, v6, v7, vcc
	v_lshlrev_b32_e32 v7, 24, v4
	v_mov_b32_e32 v10, 0x3b800000
	v_lshlrev_b32_e32 v3, 20, v3
	v_and_b32_e32 v7, 0x80000000, v7
	v_lshl_add_u32 v6, v6, 23, v10
	v_or3_b32 v3, v7, v6, v3
.LBB45_968:
	s_or_b64 exec, exec, s[6:7]
	s_nop 0
	v_mfma_f32_16x16x4f32 a[0:3], v2, v3, a[0:3]
	v_lshrrev_b32_e32 v3, 8, v8
	s_movk_i32 s4, 0x7f
	v_cmp_gt_i16_sdwa s[6:7], v3, s4 src0_sel:BYTE_0 src1_sel:DWORD
	s_mov_b64 s[4:5], 0
                                        ; implicit-def: $sgpr10
	s_and_saveexec_b64 s[8:9], s[6:7]
	s_xor_b64 s[6:7], exec, s[8:9]
	s_cbranch_execnz .LBB45_3017
; %bb.969:
	s_or_saveexec_b64 s[6:7], s[6:7]
	v_mov_b32_e32 v2, s10
	s_xor_b64 exec, exec, s[6:7]
	s_cbranch_execnz .LBB45_3020
.LBB45_970:
	s_or_b64 exec, exec, s[6:7]
	s_and_saveexec_b64 s[6:7], s[4:5]
	s_cbranch_execz .LBB45_972
.LBB45_971:
	v_bfe_u32 v2, v8, 8, 3
	v_ffbh_u32_e32 v7, v2
	v_min_u32_e32 v7, 32, v7
	v_lshrrev_b16_e32 v6, 3, v3
	v_subrev_u32_e32 v10, 28, v7
	v_and_b32_e32 v6, 15, v6
	v_lshlrev_b32_e32 v3, v10, v3
	v_sub_u32_e32 v7, 29, v7
	v_and_b32_e32 v3, 7, v3
	v_cmp_eq_u16_e32 vcc, 0, v6
	v_cndmask_b32_e32 v2, v2, v3, vcc
	v_cndmask_b32_e32 v3, v6, v7, vcc
	v_lshlrev_b32_e32 v6, 16, v8
	v_mov_b32_e32 v7, 0x3b800000
	v_lshlrev_b32_e32 v2, 20, v2
	v_and_b32_e32 v6, 0x80000000, v6
	v_lshl_add_u32 v3, v3, 23, v7
	v_or3_b32 v2, v6, v3, v2
.LBB45_972:
	s_or_b64 exec, exec, s[6:7]
	v_lshrrev_b32_e32 v3, 8, v4
	s_movk_i32 s4, 0x7f
	v_cmp_gt_i16_sdwa s[6:7], v3, s4 src0_sel:BYTE_0 src1_sel:DWORD
	s_mov_b64 s[4:5], 0
                                        ; implicit-def: $sgpr10
	s_and_saveexec_b64 s[8:9], s[6:7]
	s_xor_b64 s[6:7], exec, s[8:9]
	s_cbranch_execnz .LBB45_3021
; %bb.973:
	s_or_saveexec_b64 s[6:7], s[6:7]
	v_mov_b32_e32 v6, s10
	s_xor_b64 exec, exec, s[6:7]
	s_cbranch_execnz .LBB45_3024
.LBB45_974:
	s_or_b64 exec, exec, s[6:7]
	s_and_saveexec_b64 s[6:7], s[4:5]
	s_cbranch_execz .LBB45_976
.LBB45_975:
	v_bfe_u32 v6, v4, 8, 3
	v_ffbh_u32_e32 v10, v6
	v_min_u32_e32 v10, 32, v10
	v_lshrrev_b16_e32 v7, 3, v3
	v_subrev_u32_e32 v11, 28, v10
	v_and_b32_e32 v7, 15, v7
	v_lshlrev_b32_e32 v3, v11, v3
	v_sub_u32_e32 v10, 29, v10
	v_and_b32_e32 v3, 7, v3
	v_cmp_eq_u16_e32 vcc, 0, v7
	v_cndmask_b32_e32 v3, v6, v3, vcc
	v_cndmask_b32_e32 v6, v7, v10, vcc
	v_lshlrev_b32_e32 v7, 16, v4
	v_mov_b32_e32 v10, 0x3b800000
	v_lshlrev_b32_e32 v3, 20, v3
	v_and_b32_e32 v7, 0x80000000, v7
	v_lshl_add_u32 v6, v6, 23, v10
	v_or3_b32 v6, v7, v6, v3
.LBB45_976:
	s_or_b64 exec, exec, s[6:7]
	s_nop 0
	v_mfma_f32_16x16x4f32 a[0:3], v2, v6, a[0:3]
	s_movk_i32 s4, 0xff
	v_and_b32_sdwa v3, v8, s4 dst_sel:DWORD dst_unused:UNUSED_PAD src0_sel:WORD_1 src1_sel:DWORD
	s_movk_i32 s4, 0x7f
	v_cmp_lt_i16_e32 vcc, s4, v3
	s_mov_b64 s[4:5], 0
                                        ; implicit-def: $sgpr10
	s_and_saveexec_b64 s[6:7], vcc
	s_xor_b64 s[6:7], exec, s[6:7]
	s_cbranch_execnz .LBB45_3025
; %bb.977:
	s_or_saveexec_b64 s[6:7], s[6:7]
	v_mov_b32_e32 v2, s10
	s_xor_b64 exec, exec, s[6:7]
	s_cbranch_execnz .LBB45_3028
.LBB45_978:
	s_or_b64 exec, exec, s[6:7]
	s_and_saveexec_b64 s[6:7], s[4:5]
	s_cbranch_execz .LBB45_980
.LBB45_979:
	v_bfe_u32 v2, v8, 16, 3
	v_ffbh_u32_e32 v7, v2
	v_min_u32_e32 v7, 32, v7
	v_lshrrev_b32_e32 v3, 19, v8
	v_subrev_u32_e32 v10, 28, v7
	v_and_b32_e32 v3, 15, v3
	v_lshlrev_b32_sdwa v10, v10, v8 dst_sel:DWORD dst_unused:UNUSED_PAD src0_sel:DWORD src1_sel:WORD_1
	v_bfe_u32 v6, v8, 19, 4
	v_sub_u32_e32 v7, 29, v7
	v_and_b32_e32 v10, 7, v10
	v_cmp_eq_u16_e32 vcc, 0, v3
	v_cndmask_b32_e32 v2, v2, v10, vcc
	v_cndmask_b32_e32 v3, v6, v7, vcc
	v_lshlrev_b32_e32 v6, 8, v8
	v_mov_b32_e32 v7, 0x3b800000
	v_lshlrev_b32_e32 v2, 20, v2
	v_and_b32_e32 v6, 0x80000000, v6
	v_lshl_add_u32 v3, v3, 23, v7
	v_or3_b32 v2, v6, v3, v2
.LBB45_980:
	s_or_b64 exec, exec, s[6:7]
	s_movk_i32 s4, 0xff
	v_and_b32_sdwa v3, v4, s4 dst_sel:DWORD dst_unused:UNUSED_PAD src0_sel:WORD_1 src1_sel:DWORD
	s_movk_i32 s4, 0x7f
	v_cmp_lt_i16_e32 vcc, s4, v3
	s_mov_b64 s[4:5], 0
                                        ; implicit-def: $sgpr10
	s_and_saveexec_b64 s[6:7], vcc
	s_xor_b64 s[6:7], exec, s[6:7]
	s_cbranch_execnz .LBB45_3029
; %bb.981:
	s_or_saveexec_b64 s[6:7], s[6:7]
	v_mov_b32_e32 v6, s10
	s_xor_b64 exec, exec, s[6:7]
	s_cbranch_execnz .LBB45_3032
.LBB45_982:
	s_or_b64 exec, exec, s[6:7]
	s_and_saveexec_b64 s[6:7], s[4:5]
	s_cbranch_execz .LBB45_984
.LBB45_983:
	v_bfe_u32 v3, v4, 16, 3
	v_ffbh_u32_e32 v10, v3
	v_min_u32_e32 v10, 32, v10
	v_lshrrev_b32_e32 v6, 19, v4
	v_subrev_u32_e32 v11, 28, v10
	v_and_b32_e32 v6, 15, v6
	v_lshlrev_b32_sdwa v11, v11, v4 dst_sel:DWORD dst_unused:UNUSED_PAD src0_sel:DWORD src1_sel:WORD_1
	v_bfe_u32 v7, v4, 19, 4
	v_sub_u32_e32 v10, 29, v10
	v_and_b32_e32 v11, 7, v11
	v_cmp_eq_u16_e32 vcc, 0, v6
	v_cndmask_b32_e32 v3, v3, v11, vcc
	v_cndmask_b32_e32 v6, v7, v10, vcc
	v_lshlrev_b32_e32 v7, 8, v4
	v_mov_b32_e32 v10, 0x3b800000
	v_lshlrev_b32_e32 v3, 20, v3
	v_and_b32_e32 v7, 0x80000000, v7
	v_lshl_add_u32 v6, v6, 23, v10
	v_or3_b32 v6, v7, v6, v3
.LBB45_984:
	s_or_b64 exec, exec, s[6:7]
	s_nop 0
	v_mfma_f32_16x16x4f32 a[0:3], v2, v6, a[0:3]
	s_movk_i32 s4, 0x7f
	v_cmp_gt_i16_sdwa s[6:7], v8, s4 src0_sel:BYTE_3 src1_sel:DWORD
	s_mov_b64 s[4:5], 0
                                        ; implicit-def: $sgpr10
	s_and_saveexec_b64 s[8:9], s[6:7]
	s_xor_b64 s[6:7], exec, s[8:9]
	s_cbranch_execnz .LBB45_3033
; %bb.985:
	s_or_saveexec_b64 s[6:7], s[6:7]
	v_mov_b32_e32 v2, s10
	s_xor_b64 exec, exec, s[6:7]
	s_cbranch_execnz .LBB45_3036
.LBB45_986:
	s_or_b64 exec, exec, s[6:7]
	s_and_saveexec_b64 s[6:7], s[4:5]
	s_cbranch_execz .LBB45_988
.LBB45_987:
	v_bfe_u32 v2, v8, 24, 3
	v_ffbh_u32_e32 v10, v2
	v_min_u32_e32 v10, 32, v10
	v_lshrrev_b32_e32 v6, 27, v8
	v_subrev_u32_e32 v11, 28, v10
	v_and_b32_e32 v3, 0x80000000, v8
	v_and_b32_e32 v6, 15, v6
	v_bfe_u32 v7, v8, 27, 4
	v_lshlrev_b32_sdwa v8, v11, v8 dst_sel:DWORD dst_unused:UNUSED_PAD src0_sel:DWORD src1_sel:BYTE_3
	v_sub_u32_e32 v10, 29, v10
	v_and_b32_e32 v8, 7, v8
	v_cmp_eq_u16_e32 vcc, 0, v6
	v_cndmask_b32_e32 v2, v2, v8, vcc
	v_cndmask_b32_e32 v6, v7, v10, vcc
	v_mov_b32_e32 v7, 0x3b800000
	v_lshlrev_b32_e32 v2, 20, v2
	v_lshl_add_u32 v6, v6, 23, v7
	v_or3_b32 v2, v3, v6, v2
.LBB45_988:
	s_or_b64 exec, exec, s[6:7]
	s_movk_i32 s4, 0x7f
	v_cmp_gt_i16_sdwa s[6:7], v4, s4 src0_sel:BYTE_3 src1_sel:DWORD
	s_mov_b64 s[4:5], 0
                                        ; implicit-def: $sgpr10
	s_and_saveexec_b64 s[8:9], s[6:7]
	s_xor_b64 s[6:7], exec, s[8:9]
	s_cbranch_execnz .LBB45_3037
; %bb.989:
	s_or_saveexec_b64 s[6:7], s[6:7]
	v_mov_b32_e32 v3, s10
	s_xor_b64 exec, exec, s[6:7]
	s_cbranch_execnz .LBB45_3040
.LBB45_990:
	s_or_b64 exec, exec, s[6:7]
	s_and_saveexec_b64 s[6:7], s[4:5]
	s_cbranch_execz .LBB45_992
.LBB45_991:
	v_bfe_u32 v3, v4, 24, 3
	v_ffbh_u32_e32 v10, v3
	v_min_u32_e32 v10, 32, v10
	v_lshrrev_b32_e32 v7, 27, v4
	v_subrev_u32_e32 v11, 28, v10
	v_and_b32_e32 v6, 0x80000000, v4
	v_and_b32_e32 v7, 15, v7
	v_bfe_u32 v8, v4, 27, 4
	v_lshlrev_b32_sdwa v4, v11, v4 dst_sel:DWORD dst_unused:UNUSED_PAD src0_sel:DWORD src1_sel:BYTE_3
	v_sub_u32_e32 v10, 29, v10
	v_and_b32_e32 v4, 7, v4
	v_cmp_eq_u16_e32 vcc, 0, v7
	v_cndmask_b32_e32 v3, v3, v4, vcc
	v_cndmask_b32_e32 v4, v8, v10, vcc
	v_mov_b32_e32 v7, 0x3b800000
	v_lshlrev_b32_e32 v3, 20, v3
	v_lshl_add_u32 v4, v4, 23, v7
	v_or3_b32 v3, v6, v4, v3
.LBB45_992:
	s_or_b64 exec, exec, s[6:7]
	s_nop 0
	v_mfma_f32_16x16x4f32 a[0:3], v2, v3, a[0:3]
	s_movk_i32 s4, 0x7f
	v_cmp_gt_i16_sdwa s[6:7], v9, s4 src0_sel:BYTE_0 src1_sel:DWORD
	s_mov_b64 s[4:5], 0
                                        ; implicit-def: $sgpr10
	s_and_saveexec_b64 s[8:9], s[6:7]
	s_xor_b64 s[6:7], exec, s[8:9]
	s_cbranch_execnz .LBB45_3041
; %bb.993:
	s_or_saveexec_b64 s[6:7], s[6:7]
	v_mov_b32_e32 v2, s10
	s_xor_b64 exec, exec, s[6:7]
	s_cbranch_execnz .LBB45_3044
.LBB45_994:
	s_or_b64 exec, exec, s[6:7]
	s_and_saveexec_b64 s[6:7], s[4:5]
	s_cbranch_execz .LBB45_996
.LBB45_995:
	v_mov_b32_e32 v2, 8
	v_and_b32_e32 v3, 7, v9
	v_lshrrev_b32_sdwa v2, v2, v9 dst_sel:BYTE_1 dst_unused:UNUSED_PAD src0_sel:DWORD src1_sel:DWORD
	v_ffbh_u32_e32 v4, v3
	v_or_b32_sdwa v2, v9, v2 dst_sel:DWORD dst_unused:UNUSED_PAD src0_sel:BYTE_0 src1_sel:DWORD
	v_min_u32_e32 v4, 32, v4
	v_lshrrev_b16_e32 v2, 3, v2
	v_subrev_u32_e32 v6, 28, v4
	v_and_b32_e32 v2, 15, v2
	v_lshlrev_b32_e32 v6, v6, v9
	v_sub_u32_e32 v4, 29, v4
	v_and_b32_e32 v6, 7, v6
	v_cmp_eq_u16_e32 vcc, 0, v2
	v_cndmask_b32_e32 v3, v3, v6, vcc
	v_cndmask_b32_e32 v2, v2, v4, vcc
	v_lshlrev_b32_e32 v4, 24, v9
	v_mov_b32_e32 v6, 0x3b800000
	v_lshlrev_b32_e32 v3, 20, v3
	v_and_b32_e32 v4, 0x80000000, v4
	v_lshl_add_u32 v2, v2, 23, v6
	v_or3_b32 v2, v4, v2, v3
.LBB45_996:
	s_or_b64 exec, exec, s[6:7]
	s_movk_i32 s4, 0x7f
	v_cmp_gt_i16_sdwa s[6:7], v5, s4 src0_sel:BYTE_0 src1_sel:DWORD
	s_mov_b64 s[4:5], 0
                                        ; implicit-def: $sgpr10
	s_and_saveexec_b64 s[8:9], s[6:7]
	s_xor_b64 s[6:7], exec, s[8:9]
	s_cbranch_execnz .LBB45_3045
; %bb.997:
	s_or_saveexec_b64 s[6:7], s[6:7]
	v_mov_b32_e32 v3, s10
	s_xor_b64 exec, exec, s[6:7]
	s_cbranch_execnz .LBB45_3048
.LBB45_998:
	s_or_b64 exec, exec, s[6:7]
	s_and_saveexec_b64 s[6:7], s[4:5]
	s_cbranch_execz .LBB45_1000
.LBB45_999:
	v_mov_b32_e32 v3, 8
	v_and_b32_e32 v4, 7, v5
	v_lshrrev_b32_sdwa v3, v3, v5 dst_sel:BYTE_1 dst_unused:UNUSED_PAD src0_sel:DWORD src1_sel:DWORD
	v_ffbh_u32_e32 v6, v4
	v_or_b32_sdwa v3, v5, v3 dst_sel:DWORD dst_unused:UNUSED_PAD src0_sel:BYTE_0 src1_sel:DWORD
	v_min_u32_e32 v6, 32, v6
	v_lshrrev_b16_e32 v3, 3, v3
	v_subrev_u32_e32 v7, 28, v6
	v_and_b32_e32 v3, 15, v3
	v_lshlrev_b32_e32 v7, v7, v5
	v_sub_u32_e32 v6, 29, v6
	v_and_b32_e32 v7, 7, v7
	v_cmp_eq_u16_e32 vcc, 0, v3
	v_cndmask_b32_e32 v4, v4, v7, vcc
	v_cndmask_b32_e32 v3, v3, v6, vcc
	v_lshlrev_b32_e32 v6, 24, v5
	v_mov_b32_e32 v7, 0x3b800000
	v_lshlrev_b32_e32 v4, 20, v4
	v_and_b32_e32 v6, 0x80000000, v6
	v_lshl_add_u32 v3, v3, 23, v7
	v_or3_b32 v3, v6, v3, v4
.LBB45_1000:
	s_or_b64 exec, exec, s[6:7]
	s_nop 0
	v_mfma_f32_16x16x4f32 a[0:3], v2, v3, a[0:3]
	v_lshrrev_b32_e32 v3, 8, v9
	s_movk_i32 s4, 0x7f
	v_cmp_gt_i16_sdwa s[6:7], v3, s4 src0_sel:BYTE_0 src1_sel:DWORD
	s_mov_b64 s[4:5], 0
                                        ; implicit-def: $sgpr10
	s_and_saveexec_b64 s[8:9], s[6:7]
	s_xor_b64 s[6:7], exec, s[8:9]
	s_cbranch_execnz .LBB45_3049
; %bb.1001:
	s_or_saveexec_b64 s[6:7], s[6:7]
	v_mov_b32_e32 v2, s10
	s_xor_b64 exec, exec, s[6:7]
	s_cbranch_execnz .LBB45_3052
.LBB45_1002:
	s_or_b64 exec, exec, s[6:7]
	s_and_saveexec_b64 s[6:7], s[4:5]
	s_cbranch_execz .LBB45_1004
.LBB45_1003:
	v_bfe_u32 v2, v9, 8, 3
	v_ffbh_u32_e32 v6, v2
	v_min_u32_e32 v6, 32, v6
	v_lshrrev_b16_e32 v4, 3, v3
	v_subrev_u32_e32 v7, 28, v6
	v_and_b32_e32 v4, 15, v4
	v_lshlrev_b32_e32 v3, v7, v3
	v_sub_u32_e32 v6, 29, v6
	v_and_b32_e32 v3, 7, v3
	v_cmp_eq_u16_e32 vcc, 0, v4
	v_cndmask_b32_e32 v2, v2, v3, vcc
	v_cndmask_b32_e32 v3, v4, v6, vcc
	v_lshlrev_b32_e32 v4, 16, v9
	v_mov_b32_e32 v6, 0x3b800000
	v_lshlrev_b32_e32 v2, 20, v2
	v_and_b32_e32 v4, 0x80000000, v4
	v_lshl_add_u32 v3, v3, 23, v6
	v_or3_b32 v2, v4, v3, v2
.LBB45_1004:
	s_or_b64 exec, exec, s[6:7]
	v_lshrrev_b32_e32 v3, 8, v5
	s_movk_i32 s4, 0x7f
	v_cmp_gt_i16_sdwa s[6:7], v3, s4 src0_sel:BYTE_0 src1_sel:DWORD
	s_mov_b64 s[4:5], 0
                                        ; implicit-def: $sgpr10
	s_and_saveexec_b64 s[8:9], s[6:7]
	s_xor_b64 s[6:7], exec, s[8:9]
	s_cbranch_execnz .LBB45_3053
; %bb.1005:
	s_or_saveexec_b64 s[6:7], s[6:7]
	v_mov_b32_e32 v4, s10
	s_xor_b64 exec, exec, s[6:7]
	s_cbranch_execnz .LBB45_3056
.LBB45_1006:
	s_or_b64 exec, exec, s[6:7]
	s_and_saveexec_b64 s[6:7], s[4:5]
	s_cbranch_execz .LBB45_1008
.LBB45_1007:
	v_bfe_u32 v4, v5, 8, 3
	v_ffbh_u32_e32 v7, v4
	v_min_u32_e32 v7, 32, v7
	v_lshrrev_b16_e32 v6, 3, v3
	v_subrev_u32_e32 v8, 28, v7
	v_and_b32_e32 v6, 15, v6
	v_lshlrev_b32_e32 v3, v8, v3
	v_sub_u32_e32 v7, 29, v7
	v_and_b32_e32 v3, 7, v3
	v_cmp_eq_u16_e32 vcc, 0, v6
	v_cndmask_b32_e32 v3, v4, v3, vcc
	v_cndmask_b32_e32 v4, v6, v7, vcc
	v_lshlrev_b32_e32 v6, 16, v5
	v_mov_b32_e32 v7, 0x3b800000
	v_lshlrev_b32_e32 v3, 20, v3
	v_and_b32_e32 v6, 0x80000000, v6
	v_lshl_add_u32 v4, v4, 23, v7
	v_or3_b32 v4, v6, v4, v3
.LBB45_1008:
	s_or_b64 exec, exec, s[6:7]
	s_nop 0
	v_mfma_f32_16x16x4f32 a[0:3], v2, v4, a[0:3]
	s_movk_i32 s4, 0xff
	v_and_b32_sdwa v3, v9, s4 dst_sel:DWORD dst_unused:UNUSED_PAD src0_sel:WORD_1 src1_sel:DWORD
	s_movk_i32 s4, 0x7f
	v_cmp_lt_i16_e32 vcc, s4, v3
	s_mov_b64 s[4:5], 0
                                        ; implicit-def: $sgpr10
	s_and_saveexec_b64 s[6:7], vcc
	s_xor_b64 s[6:7], exec, s[6:7]
	s_cbranch_execnz .LBB45_3057
; %bb.1009:
	s_or_saveexec_b64 s[6:7], s[6:7]
	v_mov_b32_e32 v2, s10
	s_xor_b64 exec, exec, s[6:7]
	s_cbranch_execnz .LBB45_3060
.LBB45_1010:
	s_or_b64 exec, exec, s[6:7]
	s_and_saveexec_b64 s[6:7], s[4:5]
	s_cbranch_execz .LBB45_1012
.LBB45_1011:
	v_bfe_u32 v2, v9, 16, 3
	v_ffbh_u32_e32 v6, v2
	v_min_u32_e32 v6, 32, v6
	v_lshrrev_b32_e32 v3, 19, v9
	v_subrev_u32_e32 v7, 28, v6
	v_and_b32_e32 v3, 15, v3
	v_lshlrev_b32_sdwa v7, v7, v9 dst_sel:DWORD dst_unused:UNUSED_PAD src0_sel:DWORD src1_sel:WORD_1
	v_bfe_u32 v4, v9, 19, 4
	v_sub_u32_e32 v6, 29, v6
	v_and_b32_e32 v7, 7, v7
	v_cmp_eq_u16_e32 vcc, 0, v3
	v_cndmask_b32_e32 v2, v2, v7, vcc
	v_cndmask_b32_e32 v3, v4, v6, vcc
	v_lshlrev_b32_e32 v4, 8, v9
	v_mov_b32_e32 v6, 0x3b800000
	v_lshlrev_b32_e32 v2, 20, v2
	v_and_b32_e32 v4, 0x80000000, v4
	v_lshl_add_u32 v3, v3, 23, v6
	v_or3_b32 v2, v4, v3, v2
.LBB45_1012:
	s_or_b64 exec, exec, s[6:7]
	s_movk_i32 s4, 0xff
	v_and_b32_sdwa v3, v5, s4 dst_sel:DWORD dst_unused:UNUSED_PAD src0_sel:WORD_1 src1_sel:DWORD
	s_movk_i32 s4, 0x7f
	v_cmp_lt_i16_e32 vcc, s4, v3
	s_mov_b64 s[4:5], 0
                                        ; implicit-def: $sgpr10
	s_and_saveexec_b64 s[6:7], vcc
	s_xor_b64 s[6:7], exec, s[6:7]
	s_cbranch_execnz .LBB45_3061
; %bb.1013:
	s_or_saveexec_b64 s[6:7], s[6:7]
	v_mov_b32_e32 v4, s10
	s_xor_b64 exec, exec, s[6:7]
	s_cbranch_execnz .LBB45_3064
.LBB45_1014:
	s_or_b64 exec, exec, s[6:7]
	s_and_saveexec_b64 s[6:7], s[4:5]
	s_cbranch_execz .LBB45_1016
.LBB45_1015:
	v_bfe_u32 v3, v5, 16, 3
	v_ffbh_u32_e32 v7, v3
	v_min_u32_e32 v7, 32, v7
	v_lshrrev_b32_e32 v4, 19, v5
	v_subrev_u32_e32 v8, 28, v7
	v_and_b32_e32 v4, 15, v4
	v_lshlrev_b32_sdwa v8, v8, v5 dst_sel:DWORD dst_unused:UNUSED_PAD src0_sel:DWORD src1_sel:WORD_1
	v_bfe_u32 v6, v5, 19, 4
	v_sub_u32_e32 v7, 29, v7
	v_and_b32_e32 v8, 7, v8
	v_cmp_eq_u16_e32 vcc, 0, v4
	v_cndmask_b32_e32 v3, v3, v8, vcc
	v_cndmask_b32_e32 v4, v6, v7, vcc
	v_lshlrev_b32_e32 v6, 8, v5
	v_mov_b32_e32 v7, 0x3b800000
	v_lshlrev_b32_e32 v3, 20, v3
	v_and_b32_e32 v6, 0x80000000, v6
	v_lshl_add_u32 v4, v4, 23, v7
	v_or3_b32 v4, v6, v4, v3
.LBB45_1016:
	s_or_b64 exec, exec, s[6:7]
	s_nop 0
	v_mfma_f32_16x16x4f32 a[0:3], v2, v4, a[0:3]
	s_movk_i32 s4, 0x7f
	v_cmp_gt_i16_sdwa s[6:7], v9, s4 src0_sel:BYTE_3 src1_sel:DWORD
	s_mov_b64 s[4:5], 0
                                        ; implicit-def: $sgpr10
	s_and_saveexec_b64 s[8:9], s[6:7]
	s_xor_b64 s[6:7], exec, s[8:9]
	s_cbranch_execnz .LBB45_3065
; %bb.1017:
	s_or_saveexec_b64 s[6:7], s[6:7]
	v_mov_b32_e32 v2, s10
	s_xor_b64 exec, exec, s[6:7]
	s_cbranch_execnz .LBB45_3068
.LBB45_1018:
	s_or_b64 exec, exec, s[6:7]
	s_and_saveexec_b64 s[6:7], s[4:5]
	s_cbranch_execz .LBB45_1020
.LBB45_1019:
	v_bfe_u32 v2, v9, 24, 3
	v_ffbh_u32_e32 v7, v2
	v_min_u32_e32 v7, 32, v7
	v_lshrrev_b32_e32 v4, 27, v9
	v_subrev_u32_e32 v8, 28, v7
	v_and_b32_e32 v4, 15, v4
	v_lshlrev_b32_sdwa v8, v8, v9 dst_sel:DWORD dst_unused:UNUSED_PAD src0_sel:DWORD src1_sel:BYTE_3
	v_bfe_u32 v6, v9, 27, 4
	v_sub_u32_e32 v7, 29, v7
	v_and_b32_e32 v8, 7, v8
	v_cmp_eq_u16_e32 vcc, 0, v4
	v_cndmask_b32_e32 v2, v2, v8, vcc
	v_cndmask_b32_e32 v4, v6, v7, vcc
	v_mov_b32_e32 v6, 0x3b800000
	v_and_b32_e32 v3, 0x80000000, v9
	v_lshlrev_b32_e32 v2, 20, v2
	v_lshl_add_u32 v4, v4, 23, v6
	v_or3_b32 v2, v3, v4, v2
.LBB45_1020:
	s_or_b64 exec, exec, s[6:7]
	s_movk_i32 s4, 0x7f
	v_cmp_gt_i16_sdwa s[6:7], v5, s4 src0_sel:BYTE_3 src1_sel:DWORD
	s_mov_b64 s[4:5], 0
                                        ; implicit-def: $sgpr10
	s_and_saveexec_b64 s[8:9], s[6:7]
	s_xor_b64 s[6:7], exec, s[8:9]
	s_cbranch_execnz .LBB45_3069
; %bb.1021:
	s_or_saveexec_b64 s[6:7], s[6:7]
	v_mov_b32_e32 v3, s10
	s_xor_b64 exec, exec, s[6:7]
	s_cbranch_execnz .LBB45_3072
.LBB45_1022:
	s_or_b64 exec, exec, s[6:7]
	s_and_saveexec_b64 s[6:7], s[4:5]
	s_cbranch_execz .LBB45_1024
.LBB45_1023:
	v_bfe_u32 v3, v5, 24, 3
	v_ffbh_u32_e32 v8, v3
	v_min_u32_e32 v8, 32, v8
	v_lshrrev_b32_e32 v6, 27, v5
	v_subrev_u32_e32 v9, 28, v8
	v_and_b32_e32 v4, 0x80000000, v5
	v_and_b32_e32 v6, 15, v6
	v_bfe_u32 v7, v5, 27, 4
	v_lshlrev_b32_sdwa v5, v9, v5 dst_sel:DWORD dst_unused:UNUSED_PAD src0_sel:DWORD src1_sel:BYTE_3
	v_sub_u32_e32 v8, 29, v8
	v_and_b32_e32 v5, 7, v5
	v_cmp_eq_u16_e32 vcc, 0, v6
	v_cndmask_b32_e32 v3, v3, v5, vcc
	v_cndmask_b32_e32 v5, v7, v8, vcc
	v_mov_b32_e32 v6, 0x3b800000
	v_lshlrev_b32_e32 v3, 20, v3
	v_lshl_add_u32 v5, v5, 23, v6
	v_or3_b32 v3, v4, v5, v3
.LBB45_1024:
	s_or_b64 exec, exec, s[6:7]
	s_nop 0
	v_mfma_f32_16x16x4f32 a[0:3], v2, v3, a[0:3]
	s_movk_i32 s4, 0x7f
                                        ; implicit-def: $sgpr10
	s_nop 7
	s_nop 1
	flat_store_dwordx4 v[18:19], a[0:3] offset:176
	flat_load_dwordx4 v[20:23], v[0:1] offset:8
	s_nop 0
	flat_load_dwordx2 v[18:19], v[0:1] offset:24
	s_waitcnt vmcnt(0) lgkmcnt(0)
	flat_load_dwordx4 v[14:17], v[20:21] offset:32
	flat_load_dwordx4 v[6:9], v[20:21] offset:48
	;; [unrolled: 1-line block ×4, first 2 shown]
	s_waitcnt vmcnt(0) lgkmcnt(0)
	v_cmp_gt_i16_sdwa s[6:7], v14, s4 src0_sel:BYTE_0 src1_sel:DWORD
	s_mov_b64 s[4:5], 0
	s_and_saveexec_b64 s[8:9], s[6:7]
	s_xor_b64 s[6:7], exec, s[8:9]
	s_cbranch_execnz .LBB45_3073
; %bb.1025:
	s_or_saveexec_b64 s[6:7], s[6:7]
	v_mov_b32_e32 v20, s10
	s_xor_b64 exec, exec, s[6:7]
	s_cbranch_execnz .LBB45_3076
.LBB45_1026:
	s_or_b64 exec, exec, s[6:7]
	s_and_saveexec_b64 s[6:7], s[4:5]
	s_cbranch_execz .LBB45_1028
.LBB45_1027:
	v_and_b32_e32 v20, 7, v14
	v_ffbh_u32_e32 v22, v20
	v_min_u32_e32 v22, 32, v22
	v_lshrrev_b16_e32 v21, 3, v14
	v_subrev_u32_e32 v23, 28, v22
	v_and_b32_e32 v21, 15, v21
	v_lshlrev_b32_e32 v23, v23, v14
	v_sub_u32_e32 v22, 29, v22
	v_and_b32_e32 v23, 7, v23
	v_cmp_eq_u16_e32 vcc, 0, v21
	v_cndmask_b32_e32 v20, v20, v23, vcc
	v_cndmask_b32_e32 v21, v21, v22, vcc
	v_lshlrev_b32_e32 v22, 24, v14
	v_mov_b32_e32 v23, 0x3b800000
	v_lshlrev_b32_e32 v20, 20, v20
	v_and_b32_e32 v22, 0x80000000, v22
	v_lshl_add_u32 v21, v21, 23, v23
	v_or3_b32 v20, v22, v21, v20
.LBB45_1028:
	s_or_b64 exec, exec, s[6:7]
	s_movk_i32 s4, 0x7f
	v_cmp_gt_i16_sdwa s[6:7], v10, s4 src0_sel:BYTE_0 src1_sel:DWORD
	s_mov_b64 s[4:5], 0
                                        ; implicit-def: $sgpr10
	s_and_saveexec_b64 s[8:9], s[6:7]
	s_xor_b64 s[6:7], exec, s[8:9]
	s_cbranch_execnz .LBB45_3077
; %bb.1029:
	s_or_saveexec_b64 s[6:7], s[6:7]
	v_mov_b32_e32 v21, s10
	s_xor_b64 exec, exec, s[6:7]
	s_cbranch_execnz .LBB45_3080
.LBB45_1030:
	s_or_b64 exec, exec, s[6:7]
	s_and_saveexec_b64 s[6:7], s[4:5]
	s_cbranch_execz .LBB45_1032
.LBB45_1031:
	v_and_b32_e32 v21, 7, v10
	v_ffbh_u32_e32 v23, v21
	v_min_u32_e32 v23, 32, v23
	v_lshrrev_b16_e32 v22, 3, v10
	v_subrev_u32_e32 v24, 28, v23
	v_and_b32_e32 v22, 15, v22
	v_lshlrev_b32_e32 v24, v24, v10
	v_sub_u32_e32 v23, 29, v23
	v_and_b32_e32 v24, 7, v24
	v_cmp_eq_u16_e32 vcc, 0, v22
	v_cndmask_b32_e32 v21, v21, v24, vcc
	v_cndmask_b32_e32 v22, v22, v23, vcc
	v_lshlrev_b32_e32 v23, 24, v10
	v_mov_b32_e32 v24, 0x3b800000
	v_lshlrev_b32_e32 v21, 20, v21
	v_and_b32_e32 v23, 0x80000000, v23
	v_lshl_add_u32 v22, v22, 23, v24
	v_or3_b32 v21, v23, v22, v21
.LBB45_1032:
	s_or_b64 exec, exec, s[6:7]
	flat_load_dwordx4 a[0:3], v[18:19] offset:192
	s_movk_i32 s4, 0x7f
                                        ; implicit-def: $sgpr10
	s_waitcnt vmcnt(0) lgkmcnt(0)
	v_mfma_f32_16x16x4f32 a[0:3], v20, v21, a[0:3]
	v_lshrrev_b32_e32 v21, 8, v14
	v_cmp_gt_i16_sdwa s[6:7], v21, s4 src0_sel:BYTE_0 src1_sel:DWORD
	s_mov_b64 s[4:5], 0
	s_and_saveexec_b64 s[8:9], s[6:7]
	s_xor_b64 s[6:7], exec, s[8:9]
	s_cbranch_execnz .LBB45_3081
; %bb.1033:
	s_or_saveexec_b64 s[6:7], s[6:7]
	v_mov_b32_e32 v20, s10
	s_xor_b64 exec, exec, s[6:7]
	s_cbranch_execnz .LBB45_3084
.LBB45_1034:
	s_or_b64 exec, exec, s[6:7]
	s_and_saveexec_b64 s[6:7], s[4:5]
	s_cbranch_execz .LBB45_1036
.LBB45_1035:
	v_bfe_u32 v20, v14, 8, 3
	v_ffbh_u32_e32 v23, v20
	v_min_u32_e32 v23, 32, v23
	v_lshrrev_b16_e32 v22, 3, v21
	v_subrev_u32_e32 v24, 28, v23
	v_and_b32_e32 v22, 15, v22
	v_lshlrev_b32_e32 v21, v24, v21
	v_sub_u32_e32 v23, 29, v23
	v_and_b32_e32 v21, 7, v21
	v_cmp_eq_u16_e32 vcc, 0, v22
	v_cndmask_b32_e32 v20, v20, v21, vcc
	v_cndmask_b32_e32 v21, v22, v23, vcc
	v_lshlrev_b32_e32 v22, 16, v14
	v_mov_b32_e32 v23, 0x3b800000
	v_lshlrev_b32_e32 v20, 20, v20
	v_and_b32_e32 v22, 0x80000000, v22
	v_lshl_add_u32 v21, v21, 23, v23
	v_or3_b32 v20, v22, v21, v20
.LBB45_1036:
	s_or_b64 exec, exec, s[6:7]
	v_lshrrev_b32_e32 v21, 8, v10
	s_movk_i32 s4, 0x7f
	v_cmp_gt_i16_sdwa s[6:7], v21, s4 src0_sel:BYTE_0 src1_sel:DWORD
	s_mov_b64 s[4:5], 0
                                        ; implicit-def: $sgpr10
	s_and_saveexec_b64 s[8:9], s[6:7]
	s_xor_b64 s[6:7], exec, s[8:9]
	s_cbranch_execnz .LBB45_3085
; %bb.1037:
	s_or_saveexec_b64 s[6:7], s[6:7]
	v_mov_b32_e32 v22, s10
	s_xor_b64 exec, exec, s[6:7]
	s_cbranch_execnz .LBB45_3088
.LBB45_1038:
	s_or_b64 exec, exec, s[6:7]
	s_and_saveexec_b64 s[6:7], s[4:5]
	s_cbranch_execz .LBB45_1040
.LBB45_1039:
	v_bfe_u32 v22, v10, 8, 3
	v_ffbh_u32_e32 v24, v22
	v_min_u32_e32 v24, 32, v24
	v_lshrrev_b16_e32 v23, 3, v21
	v_subrev_u32_e32 v25, 28, v24
	v_and_b32_e32 v23, 15, v23
	v_lshlrev_b32_e32 v21, v25, v21
	v_sub_u32_e32 v24, 29, v24
	v_and_b32_e32 v21, 7, v21
	v_cmp_eq_u16_e32 vcc, 0, v23
	v_cndmask_b32_e32 v21, v22, v21, vcc
	v_cndmask_b32_e32 v22, v23, v24, vcc
	v_lshlrev_b32_e32 v23, 16, v10
	v_mov_b32_e32 v24, 0x3b800000
	v_lshlrev_b32_e32 v21, 20, v21
	v_and_b32_e32 v23, 0x80000000, v23
	v_lshl_add_u32 v22, v22, 23, v24
	v_or3_b32 v22, v23, v22, v21
.LBB45_1040:
	s_or_b64 exec, exec, s[6:7]
	s_nop 0
	v_mfma_f32_16x16x4f32 a[0:3], v20, v22, a[0:3]
	s_movk_i32 s4, 0xff
	v_and_b32_sdwa v21, v14, s4 dst_sel:DWORD dst_unused:UNUSED_PAD src0_sel:WORD_1 src1_sel:DWORD
	s_movk_i32 s4, 0x7f
	v_cmp_lt_i16_e32 vcc, s4, v21
	s_mov_b64 s[4:5], 0
                                        ; implicit-def: $sgpr10
	s_and_saveexec_b64 s[6:7], vcc
	s_xor_b64 s[6:7], exec, s[6:7]
	s_cbranch_execnz .LBB45_3089
; %bb.1041:
	s_or_saveexec_b64 s[6:7], s[6:7]
	v_mov_b32_e32 v20, s10
	s_xor_b64 exec, exec, s[6:7]
	s_cbranch_execnz .LBB45_3092
.LBB45_1042:
	s_or_b64 exec, exec, s[6:7]
	s_and_saveexec_b64 s[6:7], s[4:5]
	s_cbranch_execz .LBB45_1044
.LBB45_1043:
	v_bfe_u32 v20, v14, 16, 3
	v_ffbh_u32_e32 v23, v20
	v_min_u32_e32 v23, 32, v23
	v_lshrrev_b32_e32 v21, 19, v14
	v_subrev_u32_e32 v24, 28, v23
	v_and_b32_e32 v21, 15, v21
	v_lshlrev_b32_sdwa v24, v24, v14 dst_sel:DWORD dst_unused:UNUSED_PAD src0_sel:DWORD src1_sel:WORD_1
	v_bfe_u32 v22, v14, 19, 4
	v_sub_u32_e32 v23, 29, v23
	v_and_b32_e32 v24, 7, v24
	v_cmp_eq_u16_e32 vcc, 0, v21
	v_cndmask_b32_e32 v20, v20, v24, vcc
	v_cndmask_b32_e32 v21, v22, v23, vcc
	v_lshlrev_b32_e32 v22, 8, v14
	v_mov_b32_e32 v23, 0x3b800000
	v_lshlrev_b32_e32 v20, 20, v20
	v_and_b32_e32 v22, 0x80000000, v22
	v_lshl_add_u32 v21, v21, 23, v23
	v_or3_b32 v20, v22, v21, v20
.LBB45_1044:
	s_or_b64 exec, exec, s[6:7]
	s_movk_i32 s4, 0xff
	v_and_b32_sdwa v21, v10, s4 dst_sel:DWORD dst_unused:UNUSED_PAD src0_sel:WORD_1 src1_sel:DWORD
	s_movk_i32 s4, 0x7f
	v_cmp_lt_i16_e32 vcc, s4, v21
	s_mov_b64 s[4:5], 0
                                        ; implicit-def: $sgpr10
	s_and_saveexec_b64 s[6:7], vcc
	s_xor_b64 s[6:7], exec, s[6:7]
	s_cbranch_execnz .LBB45_3093
; %bb.1045:
	s_or_saveexec_b64 s[6:7], s[6:7]
	v_mov_b32_e32 v22, s10
	s_xor_b64 exec, exec, s[6:7]
	s_cbranch_execnz .LBB45_3096
.LBB45_1046:
	s_or_b64 exec, exec, s[6:7]
	s_and_saveexec_b64 s[6:7], s[4:5]
	s_cbranch_execz .LBB45_1048
.LBB45_1047:
	v_bfe_u32 v21, v10, 16, 3
	v_ffbh_u32_e32 v24, v21
	v_min_u32_e32 v24, 32, v24
	v_lshrrev_b32_e32 v22, 19, v10
	v_subrev_u32_e32 v25, 28, v24
	v_and_b32_e32 v22, 15, v22
	v_lshlrev_b32_sdwa v25, v25, v10 dst_sel:DWORD dst_unused:UNUSED_PAD src0_sel:DWORD src1_sel:WORD_1
	v_bfe_u32 v23, v10, 19, 4
	v_sub_u32_e32 v24, 29, v24
	v_and_b32_e32 v25, 7, v25
	v_cmp_eq_u16_e32 vcc, 0, v22
	v_cndmask_b32_e32 v21, v21, v25, vcc
	v_cndmask_b32_e32 v22, v23, v24, vcc
	v_lshlrev_b32_e32 v23, 8, v10
	v_mov_b32_e32 v24, 0x3b800000
	v_lshlrev_b32_e32 v21, 20, v21
	v_and_b32_e32 v23, 0x80000000, v23
	v_lshl_add_u32 v22, v22, 23, v24
	v_or3_b32 v22, v23, v22, v21
.LBB45_1048:
	s_or_b64 exec, exec, s[6:7]
	s_nop 0
	v_mfma_f32_16x16x4f32 a[0:3], v20, v22, a[0:3]
	s_movk_i32 s4, 0x7f
	v_cmp_gt_i16_sdwa s[6:7], v14, s4 src0_sel:BYTE_3 src1_sel:DWORD
	s_mov_b64 s[4:5], 0
                                        ; implicit-def: $sgpr10
	s_and_saveexec_b64 s[8:9], s[6:7]
	s_xor_b64 s[6:7], exec, s[8:9]
	s_cbranch_execnz .LBB45_3097
; %bb.1049:
	s_or_saveexec_b64 s[6:7], s[6:7]
	v_mov_b32_e32 v20, s10
	s_xor_b64 exec, exec, s[6:7]
	s_cbranch_execnz .LBB45_3100
.LBB45_1050:
	s_or_b64 exec, exec, s[6:7]
	s_and_saveexec_b64 s[6:7], s[4:5]
	s_cbranch_execz .LBB45_1052
.LBB45_1051:
	v_bfe_u32 v20, v14, 24, 3
	v_ffbh_u32_e32 v24, v20
	v_min_u32_e32 v24, 32, v24
	v_lshrrev_b32_e32 v22, 27, v14
	v_subrev_u32_e32 v25, 28, v24
	v_and_b32_e32 v21, 0x80000000, v14
	v_and_b32_e32 v22, 15, v22
	v_bfe_u32 v23, v14, 27, 4
	v_lshlrev_b32_sdwa v14, v25, v14 dst_sel:DWORD dst_unused:UNUSED_PAD src0_sel:DWORD src1_sel:BYTE_3
	v_sub_u32_e32 v24, 29, v24
	v_and_b32_e32 v14, 7, v14
	v_cmp_eq_u16_e32 vcc, 0, v22
	v_cndmask_b32_e32 v14, v20, v14, vcc
	v_cndmask_b32_e32 v20, v23, v24, vcc
	v_mov_b32_e32 v22, 0x3b800000
	v_lshlrev_b32_e32 v14, 20, v14
	v_lshl_add_u32 v20, v20, 23, v22
	v_or3_b32 v20, v21, v20, v14
.LBB45_1052:
	s_or_b64 exec, exec, s[6:7]
	s_movk_i32 s4, 0x7f
	v_cmp_gt_i16_sdwa s[6:7], v10, s4 src0_sel:BYTE_3 src1_sel:DWORD
	s_mov_b64 s[4:5], 0
                                        ; implicit-def: $sgpr10
	s_and_saveexec_b64 s[8:9], s[6:7]
	s_xor_b64 s[6:7], exec, s[8:9]
	s_cbranch_execnz .LBB45_3101
; %bb.1053:
	s_or_saveexec_b64 s[6:7], s[6:7]
	v_mov_b32_e32 v14, s10
	s_xor_b64 exec, exec, s[6:7]
	s_cbranch_execnz .LBB45_3104
.LBB45_1054:
	s_or_b64 exec, exec, s[6:7]
	s_and_saveexec_b64 s[6:7], s[4:5]
	s_cbranch_execz .LBB45_1056
.LBB45_1055:
	v_bfe_u32 v14, v10, 24, 3
	v_ffbh_u32_e32 v24, v14
	v_min_u32_e32 v24, 32, v24
	v_lshrrev_b32_e32 v22, 27, v10
	v_subrev_u32_e32 v25, 28, v24
	v_and_b32_e32 v21, 0x80000000, v10
	v_and_b32_e32 v22, 15, v22
	v_bfe_u32 v23, v10, 27, 4
	v_lshlrev_b32_sdwa v10, v25, v10 dst_sel:DWORD dst_unused:UNUSED_PAD src0_sel:DWORD src1_sel:BYTE_3
	v_sub_u32_e32 v24, 29, v24
	v_and_b32_e32 v10, 7, v10
	v_cmp_eq_u16_e32 vcc, 0, v22
	v_cndmask_b32_e32 v10, v14, v10, vcc
	v_cndmask_b32_e32 v14, v23, v24, vcc
	v_mov_b32_e32 v22, 0x3b800000
	v_lshlrev_b32_e32 v10, 20, v10
	v_lshl_add_u32 v14, v14, 23, v22
	v_or3_b32 v14, v21, v14, v10
.LBB45_1056:
	s_or_b64 exec, exec, s[6:7]
	s_nop 0
	v_mfma_f32_16x16x4f32 a[0:3], v20, v14, a[0:3]
	s_movk_i32 s4, 0x7f
	v_cmp_gt_i16_sdwa s[6:7], v15, s4 src0_sel:BYTE_0 src1_sel:DWORD
	s_mov_b64 s[4:5], 0
                                        ; implicit-def: $sgpr10
	s_and_saveexec_b64 s[8:9], s[6:7]
	s_xor_b64 s[6:7], exec, s[8:9]
	s_cbranch_execnz .LBB45_3105
; %bb.1057:
	s_or_saveexec_b64 s[6:7], s[6:7]
	v_mov_b32_e32 v10, s10
	s_xor_b64 exec, exec, s[6:7]
	s_cbranch_execnz .LBB45_3108
.LBB45_1058:
	s_or_b64 exec, exec, s[6:7]
	s_and_saveexec_b64 s[6:7], s[4:5]
	s_cbranch_execz .LBB45_1060
.LBB45_1059:
	v_and_b32_e32 v10, 7, v15
	v_ffbh_u32_e32 v20, v10
	v_min_u32_e32 v20, 32, v20
	v_lshrrev_b16_e32 v14, 3, v15
	v_subrev_u32_e32 v21, 28, v20
	v_and_b32_e32 v14, 15, v14
	v_lshlrev_b32_e32 v21, v21, v15
	v_sub_u32_e32 v20, 29, v20
	v_and_b32_e32 v21, 7, v21
	v_cmp_eq_u16_e32 vcc, 0, v14
	v_cndmask_b32_e32 v10, v10, v21, vcc
	v_cndmask_b32_e32 v14, v14, v20, vcc
	v_lshlrev_b32_e32 v20, 24, v15
	v_mov_b32_e32 v21, 0x3b800000
	v_lshlrev_b32_e32 v10, 20, v10
	v_and_b32_e32 v20, 0x80000000, v20
	v_lshl_add_u32 v14, v14, 23, v21
	v_or3_b32 v10, v20, v14, v10
.LBB45_1060:
	s_or_b64 exec, exec, s[6:7]
	s_movk_i32 s4, 0x7f
	v_cmp_gt_i16_sdwa s[6:7], v11, s4 src0_sel:BYTE_0 src1_sel:DWORD
	s_mov_b64 s[4:5], 0
                                        ; implicit-def: $sgpr10
	s_and_saveexec_b64 s[8:9], s[6:7]
	s_xor_b64 s[6:7], exec, s[8:9]
	s_cbranch_execnz .LBB45_3109
; %bb.1061:
	s_or_saveexec_b64 s[6:7], s[6:7]
	v_mov_b32_e32 v14, s10
	s_xor_b64 exec, exec, s[6:7]
	s_cbranch_execnz .LBB45_3112
.LBB45_1062:
	s_or_b64 exec, exec, s[6:7]
	s_and_saveexec_b64 s[6:7], s[4:5]
	s_cbranch_execz .LBB45_1064
.LBB45_1063:
	v_and_b32_e32 v14, 7, v11
	v_ffbh_u32_e32 v21, v14
	v_min_u32_e32 v21, 32, v21
	v_lshrrev_b16_e32 v20, 3, v11
	v_subrev_u32_e32 v22, 28, v21
	v_and_b32_e32 v20, 15, v20
	v_lshlrev_b32_e32 v22, v22, v11
	v_sub_u32_e32 v21, 29, v21
	v_and_b32_e32 v22, 7, v22
	v_cmp_eq_u16_e32 vcc, 0, v20
	v_cndmask_b32_e32 v14, v14, v22, vcc
	v_cndmask_b32_e32 v20, v20, v21, vcc
	v_lshlrev_b32_e32 v21, 24, v11
	v_mov_b32_e32 v22, 0x3b800000
	v_lshlrev_b32_e32 v14, 20, v14
	v_and_b32_e32 v21, 0x80000000, v21
	v_lshl_add_u32 v20, v20, 23, v22
	v_or3_b32 v14, v21, v20, v14
.LBB45_1064:
	s_or_b64 exec, exec, s[6:7]
	s_nop 0
	v_mfma_f32_16x16x4f32 a[0:3], v10, v14, a[0:3]
	v_lshrrev_b32_e32 v14, 8, v15
	s_movk_i32 s4, 0x7f
	v_cmp_gt_i16_sdwa s[6:7], v14, s4 src0_sel:BYTE_0 src1_sel:DWORD
	s_mov_b64 s[4:5], 0
                                        ; implicit-def: $sgpr10
	s_and_saveexec_b64 s[8:9], s[6:7]
	s_xor_b64 s[6:7], exec, s[8:9]
	s_cbranch_execnz .LBB45_3113
; %bb.1065:
	s_or_saveexec_b64 s[6:7], s[6:7]
	v_mov_b32_e32 v10, s10
	s_xor_b64 exec, exec, s[6:7]
	s_cbranch_execnz .LBB45_3116
.LBB45_1066:
	s_or_b64 exec, exec, s[6:7]
	s_and_saveexec_b64 s[6:7], s[4:5]
	s_cbranch_execz .LBB45_1068
.LBB45_1067:
	v_bfe_u32 v10, v15, 8, 3
	v_ffbh_u32_e32 v21, v10
	v_min_u32_e32 v21, 32, v21
	v_lshrrev_b16_e32 v20, 3, v14
	v_subrev_u32_e32 v22, 28, v21
	v_and_b32_e32 v20, 15, v20
	v_lshlrev_b32_e32 v14, v22, v14
	v_sub_u32_e32 v21, 29, v21
	v_and_b32_e32 v14, 7, v14
	v_cmp_eq_u16_e32 vcc, 0, v20
	v_cndmask_b32_e32 v10, v10, v14, vcc
	v_cndmask_b32_e32 v14, v20, v21, vcc
	v_lshlrev_b32_e32 v20, 16, v15
	v_mov_b32_e32 v21, 0x3b800000
	v_lshlrev_b32_e32 v10, 20, v10
	v_and_b32_e32 v20, 0x80000000, v20
	v_lshl_add_u32 v14, v14, 23, v21
	v_or3_b32 v10, v20, v14, v10
.LBB45_1068:
	s_or_b64 exec, exec, s[6:7]
	v_lshrrev_b32_e32 v14, 8, v11
	s_movk_i32 s4, 0x7f
	v_cmp_gt_i16_sdwa s[6:7], v14, s4 src0_sel:BYTE_0 src1_sel:DWORD
	s_mov_b64 s[4:5], 0
                                        ; implicit-def: $sgpr10
	s_and_saveexec_b64 s[8:9], s[6:7]
	s_xor_b64 s[6:7], exec, s[8:9]
	s_cbranch_execnz .LBB45_3117
; %bb.1069:
	s_or_saveexec_b64 s[6:7], s[6:7]
	v_mov_b32_e32 v20, s10
	s_xor_b64 exec, exec, s[6:7]
	s_cbranch_execnz .LBB45_3120
.LBB45_1070:
	s_or_b64 exec, exec, s[6:7]
	s_and_saveexec_b64 s[6:7], s[4:5]
	s_cbranch_execz .LBB45_1072
.LBB45_1071:
	v_bfe_u32 v20, v11, 8, 3
	v_ffbh_u32_e32 v22, v20
	v_min_u32_e32 v22, 32, v22
	v_lshrrev_b16_e32 v21, 3, v14
	v_subrev_u32_e32 v23, 28, v22
	v_and_b32_e32 v21, 15, v21
	v_lshlrev_b32_e32 v14, v23, v14
	v_sub_u32_e32 v22, 29, v22
	v_and_b32_e32 v14, 7, v14
	v_cmp_eq_u16_e32 vcc, 0, v21
	v_cndmask_b32_e32 v14, v20, v14, vcc
	v_cndmask_b32_e32 v20, v21, v22, vcc
	v_lshlrev_b32_e32 v21, 16, v11
	v_mov_b32_e32 v22, 0x3b800000
	v_lshlrev_b32_e32 v14, 20, v14
	v_and_b32_e32 v21, 0x80000000, v21
	v_lshl_add_u32 v20, v20, 23, v22
	v_or3_b32 v20, v21, v20, v14
.LBB45_1072:
	s_or_b64 exec, exec, s[6:7]
	s_nop 0
	v_mfma_f32_16x16x4f32 a[0:3], v10, v20, a[0:3]
	s_movk_i32 s4, 0xff
	v_and_b32_sdwa v14, v15, s4 dst_sel:DWORD dst_unused:UNUSED_PAD src0_sel:WORD_1 src1_sel:DWORD
	s_movk_i32 s4, 0x7f
	v_cmp_lt_i16_e32 vcc, s4, v14
	s_mov_b64 s[4:5], 0
                                        ; implicit-def: $sgpr10
	s_and_saveexec_b64 s[6:7], vcc
	s_xor_b64 s[6:7], exec, s[6:7]
	s_cbranch_execnz .LBB45_3121
; %bb.1073:
	s_or_saveexec_b64 s[6:7], s[6:7]
	v_mov_b32_e32 v10, s10
	s_xor_b64 exec, exec, s[6:7]
	s_cbranch_execnz .LBB45_3124
.LBB45_1074:
	s_or_b64 exec, exec, s[6:7]
	s_and_saveexec_b64 s[6:7], s[4:5]
	s_cbranch_execz .LBB45_1076
.LBB45_1075:
	v_bfe_u32 v10, v15, 16, 3
	v_ffbh_u32_e32 v21, v10
	v_min_u32_e32 v21, 32, v21
	v_lshrrev_b32_e32 v14, 19, v15
	v_subrev_u32_e32 v22, 28, v21
	v_and_b32_e32 v14, 15, v14
	v_lshlrev_b32_sdwa v22, v22, v15 dst_sel:DWORD dst_unused:UNUSED_PAD src0_sel:DWORD src1_sel:WORD_1
	v_bfe_u32 v20, v15, 19, 4
	v_sub_u32_e32 v21, 29, v21
	v_and_b32_e32 v22, 7, v22
	v_cmp_eq_u16_e32 vcc, 0, v14
	v_cndmask_b32_e32 v10, v10, v22, vcc
	v_cndmask_b32_e32 v14, v20, v21, vcc
	v_lshlrev_b32_e32 v20, 8, v15
	v_mov_b32_e32 v21, 0x3b800000
	v_lshlrev_b32_e32 v10, 20, v10
	v_and_b32_e32 v20, 0x80000000, v20
	v_lshl_add_u32 v14, v14, 23, v21
	v_or3_b32 v10, v20, v14, v10
.LBB45_1076:
	s_or_b64 exec, exec, s[6:7]
	s_movk_i32 s4, 0xff
	v_and_b32_sdwa v14, v11, s4 dst_sel:DWORD dst_unused:UNUSED_PAD src0_sel:WORD_1 src1_sel:DWORD
	s_movk_i32 s4, 0x7f
	v_cmp_lt_i16_e32 vcc, s4, v14
	s_mov_b64 s[4:5], 0
                                        ; implicit-def: $sgpr10
	s_and_saveexec_b64 s[6:7], vcc
	s_xor_b64 s[6:7], exec, s[6:7]
	s_cbranch_execnz .LBB45_3125
; %bb.1077:
	s_or_saveexec_b64 s[6:7], s[6:7]
	v_mov_b32_e32 v20, s10
	s_xor_b64 exec, exec, s[6:7]
	s_cbranch_execnz .LBB45_3128
.LBB45_1078:
	s_or_b64 exec, exec, s[6:7]
	s_and_saveexec_b64 s[6:7], s[4:5]
	s_cbranch_execz .LBB45_1080
.LBB45_1079:
	v_bfe_u32 v14, v11, 16, 3
	v_ffbh_u32_e32 v22, v14
	v_min_u32_e32 v22, 32, v22
	v_lshrrev_b32_e32 v20, 19, v11
	v_subrev_u32_e32 v23, 28, v22
	v_and_b32_e32 v20, 15, v20
	v_lshlrev_b32_sdwa v23, v23, v11 dst_sel:DWORD dst_unused:UNUSED_PAD src0_sel:DWORD src1_sel:WORD_1
	v_bfe_u32 v21, v11, 19, 4
	v_sub_u32_e32 v22, 29, v22
	v_and_b32_e32 v23, 7, v23
	v_cmp_eq_u16_e32 vcc, 0, v20
	v_cndmask_b32_e32 v14, v14, v23, vcc
	v_cndmask_b32_e32 v20, v21, v22, vcc
	v_lshlrev_b32_e32 v21, 8, v11
	v_mov_b32_e32 v22, 0x3b800000
	v_lshlrev_b32_e32 v14, 20, v14
	v_and_b32_e32 v21, 0x80000000, v21
	v_lshl_add_u32 v20, v20, 23, v22
	v_or3_b32 v20, v21, v20, v14
.LBB45_1080:
	s_or_b64 exec, exec, s[6:7]
	s_nop 0
	v_mfma_f32_16x16x4f32 a[0:3], v10, v20, a[0:3]
	s_movk_i32 s4, 0x7f
	v_cmp_gt_i16_sdwa s[6:7], v15, s4 src0_sel:BYTE_3 src1_sel:DWORD
	s_mov_b64 s[4:5], 0
                                        ; implicit-def: $sgpr10
	s_and_saveexec_b64 s[8:9], s[6:7]
	s_xor_b64 s[6:7], exec, s[8:9]
	s_cbranch_execnz .LBB45_3129
; %bb.1081:
	s_or_saveexec_b64 s[6:7], s[6:7]
	v_mov_b32_e32 v10, s10
	s_xor_b64 exec, exec, s[6:7]
	s_cbranch_execnz .LBB45_3132
.LBB45_1082:
	s_or_b64 exec, exec, s[6:7]
	s_and_saveexec_b64 s[6:7], s[4:5]
	s_cbranch_execz .LBB45_1084
.LBB45_1083:
	v_bfe_u32 v10, v15, 24, 3
	v_ffbh_u32_e32 v22, v10
	v_min_u32_e32 v22, 32, v22
	v_lshrrev_b32_e32 v20, 27, v15
	v_subrev_u32_e32 v23, 28, v22
	v_and_b32_e32 v14, 0x80000000, v15
	v_and_b32_e32 v20, 15, v20
	v_bfe_u32 v21, v15, 27, 4
	v_lshlrev_b32_sdwa v15, v23, v15 dst_sel:DWORD dst_unused:UNUSED_PAD src0_sel:DWORD src1_sel:BYTE_3
	v_sub_u32_e32 v22, 29, v22
	v_and_b32_e32 v15, 7, v15
	v_cmp_eq_u16_e32 vcc, 0, v20
	v_cndmask_b32_e32 v10, v10, v15, vcc
	v_cndmask_b32_e32 v15, v21, v22, vcc
	v_mov_b32_e32 v20, 0x3b800000
	v_lshlrev_b32_e32 v10, 20, v10
	v_lshl_add_u32 v15, v15, 23, v20
	v_or3_b32 v10, v14, v15, v10
.LBB45_1084:
	s_or_b64 exec, exec, s[6:7]
	s_movk_i32 s4, 0x7f
	v_cmp_gt_i16_sdwa s[6:7], v11, s4 src0_sel:BYTE_3 src1_sel:DWORD
	s_mov_b64 s[4:5], 0
                                        ; implicit-def: $sgpr10
	s_and_saveexec_b64 s[8:9], s[6:7]
	s_xor_b64 s[6:7], exec, s[8:9]
	s_cbranch_execnz .LBB45_3133
; %bb.1085:
	s_or_saveexec_b64 s[6:7], s[6:7]
	v_mov_b32_e32 v14, s10
	s_xor_b64 exec, exec, s[6:7]
	s_cbranch_execnz .LBB45_3136
.LBB45_1086:
	s_or_b64 exec, exec, s[6:7]
	s_and_saveexec_b64 s[6:7], s[4:5]
	s_cbranch_execz .LBB45_1088
.LBB45_1087:
	v_bfe_u32 v14, v11, 24, 3
	v_ffbh_u32_e32 v22, v14
	v_min_u32_e32 v22, 32, v22
	v_lshrrev_b32_e32 v20, 27, v11
	v_subrev_u32_e32 v23, 28, v22
	v_and_b32_e32 v15, 0x80000000, v11
	v_and_b32_e32 v20, 15, v20
	v_bfe_u32 v21, v11, 27, 4
	v_lshlrev_b32_sdwa v11, v23, v11 dst_sel:DWORD dst_unused:UNUSED_PAD src0_sel:DWORD src1_sel:BYTE_3
	v_sub_u32_e32 v22, 29, v22
	v_and_b32_e32 v11, 7, v11
	v_cmp_eq_u16_e32 vcc, 0, v20
	v_cndmask_b32_e32 v11, v14, v11, vcc
	v_cndmask_b32_e32 v14, v21, v22, vcc
	v_mov_b32_e32 v20, 0x3b800000
	v_lshlrev_b32_e32 v11, 20, v11
	v_lshl_add_u32 v14, v14, 23, v20
	v_or3_b32 v14, v15, v14, v11
.LBB45_1088:
	s_or_b64 exec, exec, s[6:7]
	s_nop 0
	v_mfma_f32_16x16x4f32 a[0:3], v10, v14, a[0:3]
	s_movk_i32 s4, 0x7f
	v_cmp_gt_i16_sdwa s[6:7], v16, s4 src0_sel:BYTE_0 src1_sel:DWORD
	s_mov_b64 s[4:5], 0
                                        ; implicit-def: $sgpr10
	s_and_saveexec_b64 s[8:9], s[6:7]
	s_xor_b64 s[6:7], exec, s[8:9]
	s_cbranch_execnz .LBB45_3137
; %bb.1089:
	s_or_saveexec_b64 s[6:7], s[6:7]
	v_mov_b32_e32 v10, s10
	s_xor_b64 exec, exec, s[6:7]
	s_cbranch_execnz .LBB45_3140
.LBB45_1090:
	s_or_b64 exec, exec, s[6:7]
	s_and_saveexec_b64 s[6:7], s[4:5]
	s_cbranch_execz .LBB45_1092
.LBB45_1091:
	v_and_b32_e32 v10, 7, v16
	v_ffbh_u32_e32 v14, v10
	v_min_u32_e32 v14, 32, v14
	v_lshrrev_b16_e32 v11, 3, v16
	v_subrev_u32_e32 v15, 28, v14
	v_and_b32_e32 v11, 15, v11
	v_lshlrev_b32_e32 v15, v15, v16
	v_sub_u32_e32 v14, 29, v14
	v_and_b32_e32 v15, 7, v15
	v_cmp_eq_u16_e32 vcc, 0, v11
	v_cndmask_b32_e32 v10, v10, v15, vcc
	v_cndmask_b32_e32 v11, v11, v14, vcc
	v_lshlrev_b32_e32 v14, 24, v16
	v_mov_b32_e32 v15, 0x3b800000
	v_lshlrev_b32_e32 v10, 20, v10
	v_and_b32_e32 v14, 0x80000000, v14
	v_lshl_add_u32 v11, v11, 23, v15
	v_or3_b32 v10, v14, v11, v10
.LBB45_1092:
	s_or_b64 exec, exec, s[6:7]
	s_movk_i32 s4, 0x7f
	v_cmp_gt_i16_sdwa s[6:7], v12, s4 src0_sel:BYTE_0 src1_sel:DWORD
	s_mov_b64 s[4:5], 0
                                        ; implicit-def: $sgpr10
	s_and_saveexec_b64 s[8:9], s[6:7]
	s_xor_b64 s[6:7], exec, s[8:9]
	s_cbranch_execnz .LBB45_3141
; %bb.1093:
	s_or_saveexec_b64 s[6:7], s[6:7]
	v_mov_b32_e32 v11, s10
	s_xor_b64 exec, exec, s[6:7]
	s_cbranch_execnz .LBB45_3144
.LBB45_1094:
	s_or_b64 exec, exec, s[6:7]
	s_and_saveexec_b64 s[6:7], s[4:5]
	s_cbranch_execz .LBB45_1096
.LBB45_1095:
	v_and_b32_e32 v11, 7, v12
	v_ffbh_u32_e32 v15, v11
	v_min_u32_e32 v15, 32, v15
	v_lshrrev_b16_e32 v14, 3, v12
	v_subrev_u32_e32 v20, 28, v15
	v_and_b32_e32 v14, 15, v14
	v_lshlrev_b32_e32 v20, v20, v12
	v_sub_u32_e32 v15, 29, v15
	v_and_b32_e32 v20, 7, v20
	v_cmp_eq_u16_e32 vcc, 0, v14
	v_cndmask_b32_e32 v11, v11, v20, vcc
	v_cndmask_b32_e32 v14, v14, v15, vcc
	v_lshlrev_b32_e32 v15, 24, v12
	v_mov_b32_e32 v20, 0x3b800000
	v_lshlrev_b32_e32 v11, 20, v11
	v_and_b32_e32 v15, 0x80000000, v15
	v_lshl_add_u32 v14, v14, 23, v20
	v_or3_b32 v11, v15, v14, v11
.LBB45_1096:
	s_or_b64 exec, exec, s[6:7]
	s_nop 0
	v_mfma_f32_16x16x4f32 a[0:3], v10, v11, a[0:3]
	v_lshrrev_b32_e32 v11, 8, v16
	s_movk_i32 s4, 0x7f
	v_cmp_gt_i16_sdwa s[6:7], v11, s4 src0_sel:BYTE_0 src1_sel:DWORD
	s_mov_b64 s[4:5], 0
                                        ; implicit-def: $sgpr10
	s_and_saveexec_b64 s[8:9], s[6:7]
	s_xor_b64 s[6:7], exec, s[8:9]
	s_cbranch_execnz .LBB45_3145
; %bb.1097:
	s_or_saveexec_b64 s[6:7], s[6:7]
	v_mov_b32_e32 v10, s10
	s_xor_b64 exec, exec, s[6:7]
	s_cbranch_execnz .LBB45_3148
.LBB45_1098:
	s_or_b64 exec, exec, s[6:7]
	s_and_saveexec_b64 s[6:7], s[4:5]
	s_cbranch_execz .LBB45_1100
.LBB45_1099:
	v_bfe_u32 v10, v16, 8, 3
	v_ffbh_u32_e32 v15, v10
	v_min_u32_e32 v15, 32, v15
	v_lshrrev_b16_e32 v14, 3, v11
	v_subrev_u32_e32 v20, 28, v15
	v_and_b32_e32 v14, 15, v14
	v_lshlrev_b32_e32 v11, v20, v11
	v_sub_u32_e32 v15, 29, v15
	v_and_b32_e32 v11, 7, v11
	v_cmp_eq_u16_e32 vcc, 0, v14
	v_cndmask_b32_e32 v10, v10, v11, vcc
	v_cndmask_b32_e32 v11, v14, v15, vcc
	v_lshlrev_b32_e32 v14, 16, v16
	v_mov_b32_e32 v15, 0x3b800000
	v_lshlrev_b32_e32 v10, 20, v10
	v_and_b32_e32 v14, 0x80000000, v14
	v_lshl_add_u32 v11, v11, 23, v15
	v_or3_b32 v10, v14, v11, v10
.LBB45_1100:
	s_or_b64 exec, exec, s[6:7]
	v_lshrrev_b32_e32 v11, 8, v12
	s_movk_i32 s4, 0x7f
	v_cmp_gt_i16_sdwa s[6:7], v11, s4 src0_sel:BYTE_0 src1_sel:DWORD
	s_mov_b64 s[4:5], 0
                                        ; implicit-def: $sgpr10
	s_and_saveexec_b64 s[8:9], s[6:7]
	s_xor_b64 s[6:7], exec, s[8:9]
	s_cbranch_execnz .LBB45_3149
; %bb.1101:
	s_or_saveexec_b64 s[6:7], s[6:7]
	v_mov_b32_e32 v14, s10
	s_xor_b64 exec, exec, s[6:7]
	s_cbranch_execnz .LBB45_3152
.LBB45_1102:
	s_or_b64 exec, exec, s[6:7]
	s_and_saveexec_b64 s[6:7], s[4:5]
	s_cbranch_execz .LBB45_1104
.LBB45_1103:
	v_bfe_u32 v14, v12, 8, 3
	v_ffbh_u32_e32 v20, v14
	v_min_u32_e32 v20, 32, v20
	v_lshrrev_b16_e32 v15, 3, v11
	v_subrev_u32_e32 v21, 28, v20
	v_and_b32_e32 v15, 15, v15
	v_lshlrev_b32_e32 v11, v21, v11
	v_sub_u32_e32 v20, 29, v20
	v_and_b32_e32 v11, 7, v11
	v_cmp_eq_u16_e32 vcc, 0, v15
	v_cndmask_b32_e32 v11, v14, v11, vcc
	v_cndmask_b32_e32 v14, v15, v20, vcc
	v_lshlrev_b32_e32 v15, 16, v12
	v_mov_b32_e32 v20, 0x3b800000
	v_lshlrev_b32_e32 v11, 20, v11
	v_and_b32_e32 v15, 0x80000000, v15
	v_lshl_add_u32 v14, v14, 23, v20
	v_or3_b32 v14, v15, v14, v11
.LBB45_1104:
	s_or_b64 exec, exec, s[6:7]
	s_nop 0
	v_mfma_f32_16x16x4f32 a[0:3], v10, v14, a[0:3]
	s_movk_i32 s4, 0xff
	v_and_b32_sdwa v11, v16, s4 dst_sel:DWORD dst_unused:UNUSED_PAD src0_sel:WORD_1 src1_sel:DWORD
	s_movk_i32 s4, 0x7f
	v_cmp_lt_i16_e32 vcc, s4, v11
	s_mov_b64 s[4:5], 0
                                        ; implicit-def: $sgpr10
	s_and_saveexec_b64 s[6:7], vcc
	s_xor_b64 s[6:7], exec, s[6:7]
	s_cbranch_execnz .LBB45_3153
; %bb.1105:
	s_or_saveexec_b64 s[6:7], s[6:7]
	v_mov_b32_e32 v10, s10
	s_xor_b64 exec, exec, s[6:7]
	s_cbranch_execnz .LBB45_3156
.LBB45_1106:
	s_or_b64 exec, exec, s[6:7]
	s_and_saveexec_b64 s[6:7], s[4:5]
	s_cbranch_execz .LBB45_1108
.LBB45_1107:
	v_bfe_u32 v10, v16, 16, 3
	v_ffbh_u32_e32 v15, v10
	v_min_u32_e32 v15, 32, v15
	v_lshrrev_b32_e32 v11, 19, v16
	v_subrev_u32_e32 v20, 28, v15
	v_and_b32_e32 v11, 15, v11
	v_lshlrev_b32_sdwa v20, v20, v16 dst_sel:DWORD dst_unused:UNUSED_PAD src0_sel:DWORD src1_sel:WORD_1
	v_bfe_u32 v14, v16, 19, 4
	v_sub_u32_e32 v15, 29, v15
	v_and_b32_e32 v20, 7, v20
	v_cmp_eq_u16_e32 vcc, 0, v11
	v_cndmask_b32_e32 v10, v10, v20, vcc
	v_cndmask_b32_e32 v11, v14, v15, vcc
	v_lshlrev_b32_e32 v14, 8, v16
	v_mov_b32_e32 v15, 0x3b800000
	v_lshlrev_b32_e32 v10, 20, v10
	v_and_b32_e32 v14, 0x80000000, v14
	v_lshl_add_u32 v11, v11, 23, v15
	v_or3_b32 v10, v14, v11, v10
.LBB45_1108:
	s_or_b64 exec, exec, s[6:7]
	s_movk_i32 s4, 0xff
	v_and_b32_sdwa v11, v12, s4 dst_sel:DWORD dst_unused:UNUSED_PAD src0_sel:WORD_1 src1_sel:DWORD
	s_movk_i32 s4, 0x7f
	v_cmp_lt_i16_e32 vcc, s4, v11
	s_mov_b64 s[4:5], 0
                                        ; implicit-def: $sgpr10
	s_and_saveexec_b64 s[6:7], vcc
	s_xor_b64 s[6:7], exec, s[6:7]
	s_cbranch_execnz .LBB45_3157
; %bb.1109:
	s_or_saveexec_b64 s[6:7], s[6:7]
	v_mov_b32_e32 v14, s10
	s_xor_b64 exec, exec, s[6:7]
	s_cbranch_execnz .LBB45_3160
.LBB45_1110:
	s_or_b64 exec, exec, s[6:7]
	s_and_saveexec_b64 s[6:7], s[4:5]
	s_cbranch_execz .LBB45_1112
.LBB45_1111:
	v_bfe_u32 v11, v12, 16, 3
	v_ffbh_u32_e32 v20, v11
	v_min_u32_e32 v20, 32, v20
	v_lshrrev_b32_e32 v14, 19, v12
	v_subrev_u32_e32 v21, 28, v20
	v_and_b32_e32 v14, 15, v14
	v_lshlrev_b32_sdwa v21, v21, v12 dst_sel:DWORD dst_unused:UNUSED_PAD src0_sel:DWORD src1_sel:WORD_1
	v_bfe_u32 v15, v12, 19, 4
	v_sub_u32_e32 v20, 29, v20
	v_and_b32_e32 v21, 7, v21
	v_cmp_eq_u16_e32 vcc, 0, v14
	v_cndmask_b32_e32 v11, v11, v21, vcc
	v_cndmask_b32_e32 v14, v15, v20, vcc
	v_lshlrev_b32_e32 v15, 8, v12
	v_mov_b32_e32 v20, 0x3b800000
	v_lshlrev_b32_e32 v11, 20, v11
	v_and_b32_e32 v15, 0x80000000, v15
	v_lshl_add_u32 v14, v14, 23, v20
	v_or3_b32 v14, v15, v14, v11
.LBB45_1112:
	s_or_b64 exec, exec, s[6:7]
	s_nop 0
	v_mfma_f32_16x16x4f32 a[0:3], v10, v14, a[0:3]
	s_movk_i32 s4, 0x7f
	v_cmp_gt_i16_sdwa s[6:7], v16, s4 src0_sel:BYTE_3 src1_sel:DWORD
	s_mov_b64 s[4:5], 0
                                        ; implicit-def: $sgpr10
	s_and_saveexec_b64 s[8:9], s[6:7]
	s_xor_b64 s[6:7], exec, s[8:9]
	s_cbranch_execnz .LBB45_3161
; %bb.1113:
	s_or_saveexec_b64 s[6:7], s[6:7]
	v_mov_b32_e32 v10, s10
	s_xor_b64 exec, exec, s[6:7]
	s_cbranch_execnz .LBB45_3164
.LBB45_1114:
	s_or_b64 exec, exec, s[6:7]
	s_and_saveexec_b64 s[6:7], s[4:5]
	s_cbranch_execz .LBB45_1116
.LBB45_1115:
	v_bfe_u32 v10, v16, 24, 3
	v_ffbh_u32_e32 v20, v10
	v_min_u32_e32 v20, 32, v20
	v_lshrrev_b32_e32 v14, 27, v16
	v_subrev_u32_e32 v21, 28, v20
	v_and_b32_e32 v11, 0x80000000, v16
	v_and_b32_e32 v14, 15, v14
	v_bfe_u32 v15, v16, 27, 4
	v_lshlrev_b32_sdwa v16, v21, v16 dst_sel:DWORD dst_unused:UNUSED_PAD src0_sel:DWORD src1_sel:BYTE_3
	v_sub_u32_e32 v20, 29, v20
	v_and_b32_e32 v16, 7, v16
	v_cmp_eq_u16_e32 vcc, 0, v14
	v_cndmask_b32_e32 v10, v10, v16, vcc
	v_cndmask_b32_e32 v14, v15, v20, vcc
	v_mov_b32_e32 v15, 0x3b800000
	v_lshlrev_b32_e32 v10, 20, v10
	v_lshl_add_u32 v14, v14, 23, v15
	v_or3_b32 v10, v11, v14, v10
.LBB45_1116:
	s_or_b64 exec, exec, s[6:7]
	s_movk_i32 s4, 0x7f
	v_cmp_gt_i16_sdwa s[6:7], v12, s4 src0_sel:BYTE_3 src1_sel:DWORD
	s_mov_b64 s[4:5], 0
                                        ; implicit-def: $sgpr10
	s_and_saveexec_b64 s[8:9], s[6:7]
	s_xor_b64 s[6:7], exec, s[8:9]
	s_cbranch_execnz .LBB45_3165
; %bb.1117:
	s_or_saveexec_b64 s[6:7], s[6:7]
	v_mov_b32_e32 v11, s10
	s_xor_b64 exec, exec, s[6:7]
	s_cbranch_execnz .LBB45_3168
.LBB45_1118:
	s_or_b64 exec, exec, s[6:7]
	s_and_saveexec_b64 s[6:7], s[4:5]
	s_cbranch_execz .LBB45_1120
.LBB45_1119:
	v_bfe_u32 v11, v12, 24, 3
	v_ffbh_u32_e32 v20, v11
	v_min_u32_e32 v20, 32, v20
	v_lshrrev_b32_e32 v15, 27, v12
	v_subrev_u32_e32 v21, 28, v20
	v_and_b32_e32 v14, 0x80000000, v12
	v_and_b32_e32 v15, 15, v15
	v_bfe_u32 v16, v12, 27, 4
	v_lshlrev_b32_sdwa v12, v21, v12 dst_sel:DWORD dst_unused:UNUSED_PAD src0_sel:DWORD src1_sel:BYTE_3
	v_sub_u32_e32 v20, 29, v20
	v_and_b32_e32 v12, 7, v12
	v_cmp_eq_u16_e32 vcc, 0, v15
	v_cndmask_b32_e32 v11, v11, v12, vcc
	v_cndmask_b32_e32 v12, v16, v20, vcc
	v_mov_b32_e32 v15, 0x3b800000
	v_lshlrev_b32_e32 v11, 20, v11
	v_lshl_add_u32 v12, v12, 23, v15
	v_or3_b32 v11, v14, v12, v11
.LBB45_1120:
	s_or_b64 exec, exec, s[6:7]
	s_nop 0
	v_mfma_f32_16x16x4f32 a[0:3], v10, v11, a[0:3]
	s_movk_i32 s4, 0x7f
	v_cmp_gt_i16_sdwa s[6:7], v17, s4 src0_sel:BYTE_0 src1_sel:DWORD
	s_mov_b64 s[4:5], 0
                                        ; implicit-def: $sgpr10
	s_and_saveexec_b64 s[8:9], s[6:7]
	s_xor_b64 s[6:7], exec, s[8:9]
	s_cbranch_execnz .LBB45_3169
; %bb.1121:
	s_or_saveexec_b64 s[6:7], s[6:7]
	v_mov_b32_e32 v10, s10
	s_xor_b64 exec, exec, s[6:7]
	s_cbranch_execnz .LBB45_3172
.LBB45_1122:
	s_or_b64 exec, exec, s[6:7]
	s_and_saveexec_b64 s[6:7], s[4:5]
	s_cbranch_execz .LBB45_1124
.LBB45_1123:
	v_and_b32_e32 v10, 7, v17
	v_ffbh_u32_e32 v12, v10
	v_min_u32_e32 v12, 32, v12
	v_lshrrev_b16_e32 v11, 3, v17
	v_subrev_u32_e32 v14, 28, v12
	v_and_b32_e32 v11, 15, v11
	v_lshlrev_b32_e32 v14, v14, v17
	v_sub_u32_e32 v12, 29, v12
	v_and_b32_e32 v14, 7, v14
	v_cmp_eq_u16_e32 vcc, 0, v11
	v_cndmask_b32_e32 v10, v10, v14, vcc
	v_cndmask_b32_e32 v11, v11, v12, vcc
	v_lshlrev_b32_e32 v12, 24, v17
	v_mov_b32_e32 v14, 0x3b800000
	v_lshlrev_b32_e32 v10, 20, v10
	v_and_b32_e32 v12, 0x80000000, v12
	v_lshl_add_u32 v11, v11, 23, v14
	v_or3_b32 v10, v12, v11, v10
.LBB45_1124:
	s_or_b64 exec, exec, s[6:7]
	s_movk_i32 s4, 0x7f
	v_cmp_gt_i16_sdwa s[6:7], v13, s4 src0_sel:BYTE_0 src1_sel:DWORD
	s_mov_b64 s[4:5], 0
                                        ; implicit-def: $sgpr10
	s_and_saveexec_b64 s[8:9], s[6:7]
	s_xor_b64 s[6:7], exec, s[8:9]
	s_cbranch_execnz .LBB45_3173
; %bb.1125:
	s_or_saveexec_b64 s[6:7], s[6:7]
	v_mov_b32_e32 v11, s10
	s_xor_b64 exec, exec, s[6:7]
	s_cbranch_execnz .LBB45_3176
.LBB45_1126:
	s_or_b64 exec, exec, s[6:7]
	s_and_saveexec_b64 s[6:7], s[4:5]
	s_cbranch_execz .LBB45_1128
.LBB45_1127:
	v_and_b32_e32 v11, 7, v13
	v_ffbh_u32_e32 v14, v11
	v_min_u32_e32 v14, 32, v14
	v_lshrrev_b16_e32 v12, 3, v13
	v_subrev_u32_e32 v15, 28, v14
	v_and_b32_e32 v12, 15, v12
	v_lshlrev_b32_e32 v15, v15, v13
	v_sub_u32_e32 v14, 29, v14
	v_and_b32_e32 v15, 7, v15
	v_cmp_eq_u16_e32 vcc, 0, v12
	v_cndmask_b32_e32 v11, v11, v15, vcc
	v_cndmask_b32_e32 v12, v12, v14, vcc
	v_lshlrev_b32_e32 v14, 24, v13
	v_mov_b32_e32 v15, 0x3b800000
	v_lshlrev_b32_e32 v11, 20, v11
	v_and_b32_e32 v14, 0x80000000, v14
	v_lshl_add_u32 v12, v12, 23, v15
	v_or3_b32 v11, v14, v12, v11
.LBB45_1128:
	s_or_b64 exec, exec, s[6:7]
	s_nop 0
	v_mfma_f32_16x16x4f32 a[0:3], v10, v11, a[0:3]
	v_lshrrev_b32_e32 v11, 8, v17
	s_movk_i32 s4, 0x7f
	v_cmp_gt_i16_sdwa s[6:7], v11, s4 src0_sel:BYTE_0 src1_sel:DWORD
	s_mov_b64 s[4:5], 0
                                        ; implicit-def: $sgpr10
	s_and_saveexec_b64 s[8:9], s[6:7]
	s_xor_b64 s[6:7], exec, s[8:9]
	s_cbranch_execnz .LBB45_3177
; %bb.1129:
	s_or_saveexec_b64 s[6:7], s[6:7]
	v_mov_b32_e32 v10, s10
	s_xor_b64 exec, exec, s[6:7]
	s_cbranch_execnz .LBB45_3180
.LBB45_1130:
	s_or_b64 exec, exec, s[6:7]
	s_and_saveexec_b64 s[6:7], s[4:5]
	s_cbranch_execz .LBB45_1132
.LBB45_1131:
	v_bfe_u32 v10, v17, 8, 3
	v_ffbh_u32_e32 v14, v10
	v_min_u32_e32 v14, 32, v14
	v_lshrrev_b16_e32 v12, 3, v11
	v_subrev_u32_e32 v15, 28, v14
	v_and_b32_e32 v12, 15, v12
	v_lshlrev_b32_e32 v11, v15, v11
	v_sub_u32_e32 v14, 29, v14
	v_and_b32_e32 v11, 7, v11
	v_cmp_eq_u16_e32 vcc, 0, v12
	v_cndmask_b32_e32 v10, v10, v11, vcc
	v_cndmask_b32_e32 v11, v12, v14, vcc
	v_lshlrev_b32_e32 v12, 16, v17
	v_mov_b32_e32 v14, 0x3b800000
	v_lshlrev_b32_e32 v10, 20, v10
	v_and_b32_e32 v12, 0x80000000, v12
	v_lshl_add_u32 v11, v11, 23, v14
	v_or3_b32 v10, v12, v11, v10
.LBB45_1132:
	s_or_b64 exec, exec, s[6:7]
	v_lshrrev_b32_e32 v11, 8, v13
	s_movk_i32 s4, 0x7f
	v_cmp_gt_i16_sdwa s[6:7], v11, s4 src0_sel:BYTE_0 src1_sel:DWORD
	s_mov_b64 s[4:5], 0
                                        ; implicit-def: $sgpr10
	s_and_saveexec_b64 s[8:9], s[6:7]
	s_xor_b64 s[6:7], exec, s[8:9]
	s_cbranch_execnz .LBB45_3181
; %bb.1133:
	s_or_saveexec_b64 s[6:7], s[6:7]
	v_mov_b32_e32 v12, s10
	s_xor_b64 exec, exec, s[6:7]
	s_cbranch_execnz .LBB45_3184
.LBB45_1134:
	s_or_b64 exec, exec, s[6:7]
	s_and_saveexec_b64 s[6:7], s[4:5]
	s_cbranch_execz .LBB45_1136
.LBB45_1135:
	v_bfe_u32 v12, v13, 8, 3
	v_ffbh_u32_e32 v15, v12
	v_min_u32_e32 v15, 32, v15
	v_lshrrev_b16_e32 v14, 3, v11
	v_subrev_u32_e32 v16, 28, v15
	v_and_b32_e32 v14, 15, v14
	v_lshlrev_b32_e32 v11, v16, v11
	v_sub_u32_e32 v15, 29, v15
	v_and_b32_e32 v11, 7, v11
	v_cmp_eq_u16_e32 vcc, 0, v14
	v_cndmask_b32_e32 v11, v12, v11, vcc
	v_cndmask_b32_e32 v12, v14, v15, vcc
	v_lshlrev_b32_e32 v14, 16, v13
	v_mov_b32_e32 v15, 0x3b800000
	v_lshlrev_b32_e32 v11, 20, v11
	v_and_b32_e32 v14, 0x80000000, v14
	v_lshl_add_u32 v12, v12, 23, v15
	v_or3_b32 v12, v14, v12, v11
.LBB45_1136:
	s_or_b64 exec, exec, s[6:7]
	s_nop 0
	v_mfma_f32_16x16x4f32 a[0:3], v10, v12, a[0:3]
	s_movk_i32 s4, 0xff
	v_and_b32_sdwa v11, v17, s4 dst_sel:DWORD dst_unused:UNUSED_PAD src0_sel:WORD_1 src1_sel:DWORD
	s_movk_i32 s4, 0x7f
	v_cmp_lt_i16_e32 vcc, s4, v11
	s_mov_b64 s[4:5], 0
                                        ; implicit-def: $sgpr10
	s_and_saveexec_b64 s[6:7], vcc
	s_xor_b64 s[6:7], exec, s[6:7]
	s_cbranch_execnz .LBB45_3185
; %bb.1137:
	s_or_saveexec_b64 s[6:7], s[6:7]
	v_mov_b32_e32 v10, s10
	s_xor_b64 exec, exec, s[6:7]
	s_cbranch_execnz .LBB45_3188
.LBB45_1138:
	s_or_b64 exec, exec, s[6:7]
	s_and_saveexec_b64 s[6:7], s[4:5]
	s_cbranch_execz .LBB45_1140
.LBB45_1139:
	v_bfe_u32 v10, v17, 16, 3
	v_ffbh_u32_e32 v14, v10
	v_min_u32_e32 v14, 32, v14
	v_lshrrev_b32_e32 v11, 19, v17
	v_subrev_u32_e32 v15, 28, v14
	v_and_b32_e32 v11, 15, v11
	v_lshlrev_b32_sdwa v15, v15, v17 dst_sel:DWORD dst_unused:UNUSED_PAD src0_sel:DWORD src1_sel:WORD_1
	v_bfe_u32 v12, v17, 19, 4
	v_sub_u32_e32 v14, 29, v14
	v_and_b32_e32 v15, 7, v15
	v_cmp_eq_u16_e32 vcc, 0, v11
	v_cndmask_b32_e32 v10, v10, v15, vcc
	v_cndmask_b32_e32 v11, v12, v14, vcc
	v_lshlrev_b32_e32 v12, 8, v17
	v_mov_b32_e32 v14, 0x3b800000
	v_lshlrev_b32_e32 v10, 20, v10
	v_and_b32_e32 v12, 0x80000000, v12
	v_lshl_add_u32 v11, v11, 23, v14
	v_or3_b32 v10, v12, v11, v10
.LBB45_1140:
	s_or_b64 exec, exec, s[6:7]
	s_movk_i32 s4, 0xff
	v_and_b32_sdwa v11, v13, s4 dst_sel:DWORD dst_unused:UNUSED_PAD src0_sel:WORD_1 src1_sel:DWORD
	s_movk_i32 s4, 0x7f
	v_cmp_lt_i16_e32 vcc, s4, v11
	s_mov_b64 s[4:5], 0
                                        ; implicit-def: $sgpr10
	s_and_saveexec_b64 s[6:7], vcc
	s_xor_b64 s[6:7], exec, s[6:7]
	s_cbranch_execnz .LBB45_3189
; %bb.1141:
	s_or_saveexec_b64 s[6:7], s[6:7]
	v_mov_b32_e32 v12, s10
	s_xor_b64 exec, exec, s[6:7]
	s_cbranch_execnz .LBB45_3192
.LBB45_1142:
	s_or_b64 exec, exec, s[6:7]
	s_and_saveexec_b64 s[6:7], s[4:5]
	s_cbranch_execz .LBB45_1144
.LBB45_1143:
	v_bfe_u32 v11, v13, 16, 3
	v_ffbh_u32_e32 v15, v11
	v_min_u32_e32 v15, 32, v15
	v_lshrrev_b32_e32 v12, 19, v13
	v_subrev_u32_e32 v16, 28, v15
	v_and_b32_e32 v12, 15, v12
	v_lshlrev_b32_sdwa v16, v16, v13 dst_sel:DWORD dst_unused:UNUSED_PAD src0_sel:DWORD src1_sel:WORD_1
	v_bfe_u32 v14, v13, 19, 4
	v_sub_u32_e32 v15, 29, v15
	v_and_b32_e32 v16, 7, v16
	v_cmp_eq_u16_e32 vcc, 0, v12
	v_cndmask_b32_e32 v11, v11, v16, vcc
	v_cndmask_b32_e32 v12, v14, v15, vcc
	v_lshlrev_b32_e32 v14, 8, v13
	v_mov_b32_e32 v15, 0x3b800000
	v_lshlrev_b32_e32 v11, 20, v11
	v_and_b32_e32 v14, 0x80000000, v14
	v_lshl_add_u32 v12, v12, 23, v15
	v_or3_b32 v12, v14, v12, v11
.LBB45_1144:
	s_or_b64 exec, exec, s[6:7]
	s_nop 0
	v_mfma_f32_16x16x4f32 a[0:3], v10, v12, a[0:3]
	s_movk_i32 s4, 0x7f
	v_cmp_gt_i16_sdwa s[6:7], v17, s4 src0_sel:BYTE_3 src1_sel:DWORD
	s_mov_b64 s[4:5], 0
                                        ; implicit-def: $sgpr10
	s_and_saveexec_b64 s[8:9], s[6:7]
	s_xor_b64 s[6:7], exec, s[8:9]
	s_cbranch_execnz .LBB45_3193
; %bb.1145:
	s_or_saveexec_b64 s[6:7], s[6:7]
	v_mov_b32_e32 v10, s10
	s_xor_b64 exec, exec, s[6:7]
	s_cbranch_execnz .LBB45_3196
.LBB45_1146:
	s_or_b64 exec, exec, s[6:7]
	s_and_saveexec_b64 s[6:7], s[4:5]
	s_cbranch_execz .LBB45_1148
.LBB45_1147:
	v_bfe_u32 v10, v17, 24, 3
	v_ffbh_u32_e32 v15, v10
	v_min_u32_e32 v15, 32, v15
	v_lshrrev_b32_e32 v12, 27, v17
	v_subrev_u32_e32 v16, 28, v15
	v_and_b32_e32 v12, 15, v12
	v_lshlrev_b32_sdwa v16, v16, v17 dst_sel:DWORD dst_unused:UNUSED_PAD src0_sel:DWORD src1_sel:BYTE_3
	v_bfe_u32 v14, v17, 27, 4
	v_sub_u32_e32 v15, 29, v15
	v_and_b32_e32 v16, 7, v16
	v_cmp_eq_u16_e32 vcc, 0, v12
	v_cndmask_b32_e32 v10, v10, v16, vcc
	v_cndmask_b32_e32 v12, v14, v15, vcc
	v_mov_b32_e32 v14, 0x3b800000
	v_and_b32_e32 v11, 0x80000000, v17
	v_lshlrev_b32_e32 v10, 20, v10
	v_lshl_add_u32 v12, v12, 23, v14
	v_or3_b32 v10, v11, v12, v10
.LBB45_1148:
	s_or_b64 exec, exec, s[6:7]
	s_movk_i32 s4, 0x7f
	v_cmp_gt_i16_sdwa s[6:7], v13, s4 src0_sel:BYTE_3 src1_sel:DWORD
	s_mov_b64 s[4:5], 0
                                        ; implicit-def: $sgpr10
	s_and_saveexec_b64 s[8:9], s[6:7]
	s_xor_b64 s[6:7], exec, s[8:9]
	s_cbranch_execnz .LBB45_3197
; %bb.1149:
	s_or_saveexec_b64 s[6:7], s[6:7]
	v_mov_b32_e32 v11, s10
	s_xor_b64 exec, exec, s[6:7]
	s_cbranch_execnz .LBB45_3200
.LBB45_1150:
	s_or_b64 exec, exec, s[6:7]
	s_and_saveexec_b64 s[6:7], s[4:5]
	s_cbranch_execz .LBB45_1152
.LBB45_1151:
	v_bfe_u32 v11, v13, 24, 3
	v_ffbh_u32_e32 v16, v11
	v_min_u32_e32 v16, 32, v16
	v_lshrrev_b32_e32 v14, 27, v13
	v_subrev_u32_e32 v17, 28, v16
	v_and_b32_e32 v12, 0x80000000, v13
	v_and_b32_e32 v14, 15, v14
	v_bfe_u32 v15, v13, 27, 4
	v_lshlrev_b32_sdwa v13, v17, v13 dst_sel:DWORD dst_unused:UNUSED_PAD src0_sel:DWORD src1_sel:BYTE_3
	v_sub_u32_e32 v16, 29, v16
	v_and_b32_e32 v13, 7, v13
	v_cmp_eq_u16_e32 vcc, 0, v14
	v_cndmask_b32_e32 v11, v11, v13, vcc
	v_cndmask_b32_e32 v13, v15, v16, vcc
	v_mov_b32_e32 v14, 0x3b800000
	v_lshlrev_b32_e32 v11, 20, v11
	v_lshl_add_u32 v13, v13, 23, v14
	v_or3_b32 v11, v12, v13, v11
.LBB45_1152:
	s_or_b64 exec, exec, s[6:7]
	s_nop 0
	v_mfma_f32_16x16x4f32 a[0:3], v10, v11, a[0:3]
	s_movk_i32 s4, 0x7f
	v_cmp_gt_i16_sdwa s[6:7], v6, s4 src0_sel:BYTE_0 src1_sel:DWORD
	s_mov_b64 s[4:5], 0
                                        ; implicit-def: $sgpr10
	s_and_saveexec_b64 s[8:9], s[6:7]
	s_xor_b64 s[6:7], exec, s[8:9]
	s_cbranch_execnz .LBB45_3201
; %bb.1153:
	s_or_saveexec_b64 s[6:7], s[6:7]
	v_mov_b32_e32 v10, s10
	s_xor_b64 exec, exec, s[6:7]
	s_cbranch_execnz .LBB45_3204
.LBB45_1154:
	s_or_b64 exec, exec, s[6:7]
	s_and_saveexec_b64 s[6:7], s[4:5]
	s_cbranch_execz .LBB45_1156
.LBB45_1155:
	v_and_b32_e32 v10, 7, v6
	v_ffbh_u32_e32 v12, v10
	v_min_u32_e32 v12, 32, v12
	v_lshrrev_b16_e32 v11, 3, v6
	v_subrev_u32_e32 v13, 28, v12
	v_and_b32_e32 v11, 15, v11
	v_lshlrev_b32_e32 v13, v13, v6
	v_sub_u32_e32 v12, 29, v12
	v_and_b32_e32 v13, 7, v13
	v_cmp_eq_u16_e32 vcc, 0, v11
	v_cndmask_b32_e32 v10, v10, v13, vcc
	v_cndmask_b32_e32 v11, v11, v12, vcc
	v_lshlrev_b32_e32 v12, 24, v6
	v_mov_b32_e32 v13, 0x3b800000
	v_lshlrev_b32_e32 v10, 20, v10
	v_and_b32_e32 v12, 0x80000000, v12
	v_lshl_add_u32 v11, v11, 23, v13
	v_or3_b32 v10, v12, v11, v10
.LBB45_1156:
	s_or_b64 exec, exec, s[6:7]
	s_movk_i32 s4, 0x7f
	v_cmp_gt_i16_sdwa s[6:7], v2, s4 src0_sel:BYTE_0 src1_sel:DWORD
	s_mov_b64 s[4:5], 0
                                        ; implicit-def: $sgpr10
	s_and_saveexec_b64 s[8:9], s[6:7]
	s_xor_b64 s[6:7], exec, s[8:9]
	s_cbranch_execnz .LBB45_3205
; %bb.1157:
	s_or_saveexec_b64 s[6:7], s[6:7]
	v_mov_b32_e32 v11, s10
	s_xor_b64 exec, exec, s[6:7]
	s_cbranch_execnz .LBB45_3208
.LBB45_1158:
	s_or_b64 exec, exec, s[6:7]
	s_and_saveexec_b64 s[6:7], s[4:5]
	s_cbranch_execz .LBB45_1160
.LBB45_1159:
	v_and_b32_e32 v11, 7, v2
	v_ffbh_u32_e32 v13, v11
	v_min_u32_e32 v13, 32, v13
	v_lshrrev_b16_e32 v12, 3, v2
	v_subrev_u32_e32 v14, 28, v13
	v_and_b32_e32 v12, 15, v12
	v_lshlrev_b32_e32 v14, v14, v2
	v_sub_u32_e32 v13, 29, v13
	v_and_b32_e32 v14, 7, v14
	v_cmp_eq_u16_e32 vcc, 0, v12
	v_cndmask_b32_e32 v11, v11, v14, vcc
	v_cndmask_b32_e32 v12, v12, v13, vcc
	v_lshlrev_b32_e32 v13, 24, v2
	v_mov_b32_e32 v14, 0x3b800000
	v_lshlrev_b32_e32 v11, 20, v11
	v_and_b32_e32 v13, 0x80000000, v13
	v_lshl_add_u32 v12, v12, 23, v14
	v_or3_b32 v11, v13, v12, v11
.LBB45_1160:
	s_or_b64 exec, exec, s[6:7]
	s_nop 0
	v_mfma_f32_16x16x4f32 a[0:3], v10, v11, a[0:3]
	v_lshrrev_b32_e32 v11, 8, v6
	s_movk_i32 s4, 0x7f
	v_cmp_gt_i16_sdwa s[6:7], v11, s4 src0_sel:BYTE_0 src1_sel:DWORD
	s_mov_b64 s[4:5], 0
                                        ; implicit-def: $sgpr10
	s_and_saveexec_b64 s[8:9], s[6:7]
	s_xor_b64 s[6:7], exec, s[8:9]
	s_cbranch_execnz .LBB45_3209
; %bb.1161:
	s_or_saveexec_b64 s[6:7], s[6:7]
	v_mov_b32_e32 v10, s10
	s_xor_b64 exec, exec, s[6:7]
	s_cbranch_execnz .LBB45_3212
.LBB45_1162:
	s_or_b64 exec, exec, s[6:7]
	s_and_saveexec_b64 s[6:7], s[4:5]
	s_cbranch_execz .LBB45_1164
.LBB45_1163:
	v_bfe_u32 v10, v6, 8, 3
	v_ffbh_u32_e32 v13, v10
	v_min_u32_e32 v13, 32, v13
	v_lshrrev_b16_e32 v12, 3, v11
	v_subrev_u32_e32 v14, 28, v13
	v_and_b32_e32 v12, 15, v12
	v_lshlrev_b32_e32 v11, v14, v11
	v_sub_u32_e32 v13, 29, v13
	v_and_b32_e32 v11, 7, v11
	v_cmp_eq_u16_e32 vcc, 0, v12
	v_cndmask_b32_e32 v10, v10, v11, vcc
	v_cndmask_b32_e32 v11, v12, v13, vcc
	v_lshlrev_b32_e32 v12, 16, v6
	v_mov_b32_e32 v13, 0x3b800000
	v_lshlrev_b32_e32 v10, 20, v10
	v_and_b32_e32 v12, 0x80000000, v12
	v_lshl_add_u32 v11, v11, 23, v13
	v_or3_b32 v10, v12, v11, v10
.LBB45_1164:
	s_or_b64 exec, exec, s[6:7]
	v_lshrrev_b32_e32 v11, 8, v2
	s_movk_i32 s4, 0x7f
	v_cmp_gt_i16_sdwa s[6:7], v11, s4 src0_sel:BYTE_0 src1_sel:DWORD
	s_mov_b64 s[4:5], 0
                                        ; implicit-def: $sgpr10
	s_and_saveexec_b64 s[8:9], s[6:7]
	s_xor_b64 s[6:7], exec, s[8:9]
	s_cbranch_execnz .LBB45_3213
; %bb.1165:
	s_or_saveexec_b64 s[6:7], s[6:7]
	v_mov_b32_e32 v12, s10
	s_xor_b64 exec, exec, s[6:7]
	s_cbranch_execnz .LBB45_3216
.LBB45_1166:
	s_or_b64 exec, exec, s[6:7]
	s_and_saveexec_b64 s[6:7], s[4:5]
	s_cbranch_execz .LBB45_1168
.LBB45_1167:
	v_bfe_u32 v12, v2, 8, 3
	v_ffbh_u32_e32 v14, v12
	v_min_u32_e32 v14, 32, v14
	v_lshrrev_b16_e32 v13, 3, v11
	v_subrev_u32_e32 v15, 28, v14
	v_and_b32_e32 v13, 15, v13
	v_lshlrev_b32_e32 v11, v15, v11
	v_sub_u32_e32 v14, 29, v14
	v_and_b32_e32 v11, 7, v11
	v_cmp_eq_u16_e32 vcc, 0, v13
	v_cndmask_b32_e32 v11, v12, v11, vcc
	v_cndmask_b32_e32 v12, v13, v14, vcc
	v_lshlrev_b32_e32 v13, 16, v2
	v_mov_b32_e32 v14, 0x3b800000
	v_lshlrev_b32_e32 v11, 20, v11
	v_and_b32_e32 v13, 0x80000000, v13
	v_lshl_add_u32 v12, v12, 23, v14
	v_or3_b32 v12, v13, v12, v11
.LBB45_1168:
	s_or_b64 exec, exec, s[6:7]
	s_nop 0
	v_mfma_f32_16x16x4f32 a[0:3], v10, v12, a[0:3]
	s_movk_i32 s4, 0xff
	v_and_b32_sdwa v11, v6, s4 dst_sel:DWORD dst_unused:UNUSED_PAD src0_sel:WORD_1 src1_sel:DWORD
	s_movk_i32 s4, 0x7f
	v_cmp_lt_i16_e32 vcc, s4, v11
	s_mov_b64 s[4:5], 0
                                        ; implicit-def: $sgpr10
	s_and_saveexec_b64 s[6:7], vcc
	s_xor_b64 s[6:7], exec, s[6:7]
	s_cbranch_execnz .LBB45_3217
; %bb.1169:
	s_or_saveexec_b64 s[6:7], s[6:7]
	v_mov_b32_e32 v10, s10
	s_xor_b64 exec, exec, s[6:7]
	s_cbranch_execnz .LBB45_3220
.LBB45_1170:
	s_or_b64 exec, exec, s[6:7]
	s_and_saveexec_b64 s[6:7], s[4:5]
	s_cbranch_execz .LBB45_1172
.LBB45_1171:
	v_bfe_u32 v10, v6, 16, 3
	v_ffbh_u32_e32 v13, v10
	v_min_u32_e32 v13, 32, v13
	v_lshrrev_b32_e32 v11, 19, v6
	v_subrev_u32_e32 v14, 28, v13
	v_and_b32_e32 v11, 15, v11
	v_lshlrev_b32_sdwa v14, v14, v6 dst_sel:DWORD dst_unused:UNUSED_PAD src0_sel:DWORD src1_sel:WORD_1
	v_bfe_u32 v12, v6, 19, 4
	v_sub_u32_e32 v13, 29, v13
	v_and_b32_e32 v14, 7, v14
	v_cmp_eq_u16_e32 vcc, 0, v11
	v_cndmask_b32_e32 v10, v10, v14, vcc
	v_cndmask_b32_e32 v11, v12, v13, vcc
	v_lshlrev_b32_e32 v12, 8, v6
	v_mov_b32_e32 v13, 0x3b800000
	v_lshlrev_b32_e32 v10, 20, v10
	v_and_b32_e32 v12, 0x80000000, v12
	v_lshl_add_u32 v11, v11, 23, v13
	v_or3_b32 v10, v12, v11, v10
.LBB45_1172:
	s_or_b64 exec, exec, s[6:7]
	s_movk_i32 s4, 0xff
	v_and_b32_sdwa v11, v2, s4 dst_sel:DWORD dst_unused:UNUSED_PAD src0_sel:WORD_1 src1_sel:DWORD
	s_movk_i32 s4, 0x7f
	v_cmp_lt_i16_e32 vcc, s4, v11
	s_mov_b64 s[4:5], 0
                                        ; implicit-def: $sgpr10
	s_and_saveexec_b64 s[6:7], vcc
	s_xor_b64 s[6:7], exec, s[6:7]
	s_cbranch_execnz .LBB45_3221
; %bb.1173:
	s_or_saveexec_b64 s[6:7], s[6:7]
	v_mov_b32_e32 v12, s10
	s_xor_b64 exec, exec, s[6:7]
	s_cbranch_execnz .LBB45_3224
.LBB45_1174:
	s_or_b64 exec, exec, s[6:7]
	s_and_saveexec_b64 s[6:7], s[4:5]
	s_cbranch_execz .LBB45_1176
.LBB45_1175:
	v_bfe_u32 v11, v2, 16, 3
	v_ffbh_u32_e32 v14, v11
	v_min_u32_e32 v14, 32, v14
	v_lshrrev_b32_e32 v12, 19, v2
	v_subrev_u32_e32 v15, 28, v14
	v_and_b32_e32 v12, 15, v12
	v_lshlrev_b32_sdwa v15, v15, v2 dst_sel:DWORD dst_unused:UNUSED_PAD src0_sel:DWORD src1_sel:WORD_1
	v_bfe_u32 v13, v2, 19, 4
	v_sub_u32_e32 v14, 29, v14
	v_and_b32_e32 v15, 7, v15
	v_cmp_eq_u16_e32 vcc, 0, v12
	v_cndmask_b32_e32 v11, v11, v15, vcc
	v_cndmask_b32_e32 v12, v13, v14, vcc
	v_lshlrev_b32_e32 v13, 8, v2
	v_mov_b32_e32 v14, 0x3b800000
	v_lshlrev_b32_e32 v11, 20, v11
	v_and_b32_e32 v13, 0x80000000, v13
	v_lshl_add_u32 v12, v12, 23, v14
	v_or3_b32 v12, v13, v12, v11
.LBB45_1176:
	s_or_b64 exec, exec, s[6:7]
	s_nop 0
	v_mfma_f32_16x16x4f32 a[0:3], v10, v12, a[0:3]
	s_movk_i32 s4, 0x7f
	v_cmp_gt_i16_sdwa s[6:7], v6, s4 src0_sel:BYTE_3 src1_sel:DWORD
	s_mov_b64 s[4:5], 0
                                        ; implicit-def: $sgpr10
	s_and_saveexec_b64 s[8:9], s[6:7]
	s_xor_b64 s[6:7], exec, s[8:9]
	s_cbranch_execnz .LBB45_3225
; %bb.1177:
	s_or_saveexec_b64 s[6:7], s[6:7]
	v_mov_b32_e32 v10, s10
	s_xor_b64 exec, exec, s[6:7]
	s_cbranch_execnz .LBB45_3228
.LBB45_1178:
	s_or_b64 exec, exec, s[6:7]
	s_and_saveexec_b64 s[6:7], s[4:5]
	s_cbranch_execz .LBB45_1180
.LBB45_1179:
	v_bfe_u32 v10, v6, 24, 3
	v_ffbh_u32_e32 v14, v10
	v_min_u32_e32 v14, 32, v14
	v_lshrrev_b32_e32 v12, 27, v6
	v_subrev_u32_e32 v15, 28, v14
	v_and_b32_e32 v11, 0x80000000, v6
	v_and_b32_e32 v12, 15, v12
	v_bfe_u32 v13, v6, 27, 4
	v_lshlrev_b32_sdwa v6, v15, v6 dst_sel:DWORD dst_unused:UNUSED_PAD src0_sel:DWORD src1_sel:BYTE_3
	v_sub_u32_e32 v14, 29, v14
	v_and_b32_e32 v6, 7, v6
	v_cmp_eq_u16_e32 vcc, 0, v12
	v_cndmask_b32_e32 v6, v10, v6, vcc
	v_cndmask_b32_e32 v10, v13, v14, vcc
	v_mov_b32_e32 v12, 0x3b800000
	v_lshlrev_b32_e32 v6, 20, v6
	v_lshl_add_u32 v10, v10, 23, v12
	v_or3_b32 v10, v11, v10, v6
.LBB45_1180:
	s_or_b64 exec, exec, s[6:7]
	s_movk_i32 s4, 0x7f
	v_cmp_gt_i16_sdwa s[6:7], v2, s4 src0_sel:BYTE_3 src1_sel:DWORD
	s_mov_b64 s[4:5], 0
                                        ; implicit-def: $sgpr10
	s_and_saveexec_b64 s[8:9], s[6:7]
	s_xor_b64 s[6:7], exec, s[8:9]
	s_cbranch_execnz .LBB45_3229
; %bb.1181:
	s_or_saveexec_b64 s[6:7], s[6:7]
	v_mov_b32_e32 v6, s10
	s_xor_b64 exec, exec, s[6:7]
	s_cbranch_execnz .LBB45_3232
.LBB45_1182:
	s_or_b64 exec, exec, s[6:7]
	s_and_saveexec_b64 s[6:7], s[4:5]
	s_cbranch_execz .LBB45_1184
.LBB45_1183:
	v_bfe_u32 v6, v2, 24, 3
	v_ffbh_u32_e32 v14, v6
	v_min_u32_e32 v14, 32, v14
	v_lshrrev_b32_e32 v12, 27, v2
	v_subrev_u32_e32 v15, 28, v14
	v_and_b32_e32 v11, 0x80000000, v2
	v_and_b32_e32 v12, 15, v12
	v_bfe_u32 v13, v2, 27, 4
	v_lshlrev_b32_sdwa v2, v15, v2 dst_sel:DWORD dst_unused:UNUSED_PAD src0_sel:DWORD src1_sel:BYTE_3
	v_sub_u32_e32 v14, 29, v14
	v_and_b32_e32 v2, 7, v2
	v_cmp_eq_u16_e32 vcc, 0, v12
	v_cndmask_b32_e32 v2, v6, v2, vcc
	v_cndmask_b32_e32 v6, v13, v14, vcc
	v_mov_b32_e32 v12, 0x3b800000
	v_lshlrev_b32_e32 v2, 20, v2
	v_lshl_add_u32 v6, v6, 23, v12
	v_or3_b32 v6, v11, v6, v2
.LBB45_1184:
	s_or_b64 exec, exec, s[6:7]
	s_nop 0
	v_mfma_f32_16x16x4f32 a[0:3], v10, v6, a[0:3]
	s_movk_i32 s4, 0x7f
	v_cmp_gt_i16_sdwa s[6:7], v7, s4 src0_sel:BYTE_0 src1_sel:DWORD
	s_mov_b64 s[4:5], 0
                                        ; implicit-def: $sgpr10
	s_and_saveexec_b64 s[8:9], s[6:7]
	s_xor_b64 s[6:7], exec, s[8:9]
	s_cbranch_execnz .LBB45_3233
; %bb.1185:
	s_or_saveexec_b64 s[6:7], s[6:7]
	v_mov_b32_e32 v2, s10
	s_xor_b64 exec, exec, s[6:7]
	s_cbranch_execnz .LBB45_3236
.LBB45_1186:
	s_or_b64 exec, exec, s[6:7]
	s_and_saveexec_b64 s[6:7], s[4:5]
	s_cbranch_execz .LBB45_1188
.LBB45_1187:
	v_and_b32_e32 v2, 7, v7
	v_ffbh_u32_e32 v10, v2
	v_min_u32_e32 v10, 32, v10
	v_lshrrev_b16_e32 v6, 3, v7
	v_subrev_u32_e32 v11, 28, v10
	v_and_b32_e32 v6, 15, v6
	v_lshlrev_b32_e32 v11, v11, v7
	v_sub_u32_e32 v10, 29, v10
	v_and_b32_e32 v11, 7, v11
	v_cmp_eq_u16_e32 vcc, 0, v6
	v_cndmask_b32_e32 v2, v2, v11, vcc
	v_cndmask_b32_e32 v6, v6, v10, vcc
	v_lshlrev_b32_e32 v10, 24, v7
	v_mov_b32_e32 v11, 0x3b800000
	v_lshlrev_b32_e32 v2, 20, v2
	v_and_b32_e32 v10, 0x80000000, v10
	v_lshl_add_u32 v6, v6, 23, v11
	v_or3_b32 v2, v10, v6, v2
.LBB45_1188:
	s_or_b64 exec, exec, s[6:7]
	s_movk_i32 s4, 0x7f
	v_cmp_gt_i16_sdwa s[6:7], v3, s4 src0_sel:BYTE_0 src1_sel:DWORD
	s_mov_b64 s[4:5], 0
                                        ; implicit-def: $sgpr10
	s_and_saveexec_b64 s[8:9], s[6:7]
	s_xor_b64 s[6:7], exec, s[8:9]
	s_cbranch_execnz .LBB45_3237
; %bb.1189:
	s_or_saveexec_b64 s[6:7], s[6:7]
	v_mov_b32_e32 v6, s10
	s_xor_b64 exec, exec, s[6:7]
	s_cbranch_execnz .LBB45_3240
.LBB45_1190:
	s_or_b64 exec, exec, s[6:7]
	s_and_saveexec_b64 s[6:7], s[4:5]
	s_cbranch_execz .LBB45_1192
.LBB45_1191:
	v_and_b32_e32 v6, 7, v3
	v_ffbh_u32_e32 v11, v6
	v_min_u32_e32 v11, 32, v11
	v_lshrrev_b16_e32 v10, 3, v3
	v_subrev_u32_e32 v12, 28, v11
	v_and_b32_e32 v10, 15, v10
	v_lshlrev_b32_e32 v12, v12, v3
	v_sub_u32_e32 v11, 29, v11
	v_and_b32_e32 v12, 7, v12
	v_cmp_eq_u16_e32 vcc, 0, v10
	v_cndmask_b32_e32 v6, v6, v12, vcc
	v_cndmask_b32_e32 v10, v10, v11, vcc
	v_lshlrev_b32_e32 v11, 24, v3
	v_mov_b32_e32 v12, 0x3b800000
	v_lshlrev_b32_e32 v6, 20, v6
	v_and_b32_e32 v11, 0x80000000, v11
	v_lshl_add_u32 v10, v10, 23, v12
	v_or3_b32 v6, v11, v10, v6
.LBB45_1192:
	s_or_b64 exec, exec, s[6:7]
	s_nop 0
	v_mfma_f32_16x16x4f32 a[0:3], v2, v6, a[0:3]
	v_lshrrev_b32_e32 v6, 8, v7
	s_movk_i32 s4, 0x7f
	v_cmp_gt_i16_sdwa s[6:7], v6, s4 src0_sel:BYTE_0 src1_sel:DWORD
	s_mov_b64 s[4:5], 0
                                        ; implicit-def: $sgpr10
	s_and_saveexec_b64 s[8:9], s[6:7]
	s_xor_b64 s[6:7], exec, s[8:9]
	s_cbranch_execnz .LBB45_3241
; %bb.1193:
	s_or_saveexec_b64 s[6:7], s[6:7]
	v_mov_b32_e32 v2, s10
	s_xor_b64 exec, exec, s[6:7]
	s_cbranch_execnz .LBB45_3244
.LBB45_1194:
	s_or_b64 exec, exec, s[6:7]
	s_and_saveexec_b64 s[6:7], s[4:5]
	s_cbranch_execz .LBB45_1196
.LBB45_1195:
	v_bfe_u32 v2, v7, 8, 3
	v_ffbh_u32_e32 v11, v2
	v_min_u32_e32 v11, 32, v11
	v_lshrrev_b16_e32 v10, 3, v6
	v_subrev_u32_e32 v12, 28, v11
	v_and_b32_e32 v10, 15, v10
	v_lshlrev_b32_e32 v6, v12, v6
	v_sub_u32_e32 v11, 29, v11
	v_and_b32_e32 v6, 7, v6
	v_cmp_eq_u16_e32 vcc, 0, v10
	v_cndmask_b32_e32 v2, v2, v6, vcc
	v_cndmask_b32_e32 v6, v10, v11, vcc
	v_lshlrev_b32_e32 v10, 16, v7
	v_mov_b32_e32 v11, 0x3b800000
	v_lshlrev_b32_e32 v2, 20, v2
	v_and_b32_e32 v10, 0x80000000, v10
	v_lshl_add_u32 v6, v6, 23, v11
	v_or3_b32 v2, v10, v6, v2
.LBB45_1196:
	s_or_b64 exec, exec, s[6:7]
	v_lshrrev_b32_e32 v6, 8, v3
	s_movk_i32 s4, 0x7f
	v_cmp_gt_i16_sdwa s[6:7], v6, s4 src0_sel:BYTE_0 src1_sel:DWORD
	s_mov_b64 s[4:5], 0
                                        ; implicit-def: $sgpr10
	s_and_saveexec_b64 s[8:9], s[6:7]
	s_xor_b64 s[6:7], exec, s[8:9]
	s_cbranch_execnz .LBB45_3245
; %bb.1197:
	s_or_saveexec_b64 s[6:7], s[6:7]
	v_mov_b32_e32 v10, s10
	s_xor_b64 exec, exec, s[6:7]
	s_cbranch_execnz .LBB45_3248
.LBB45_1198:
	s_or_b64 exec, exec, s[6:7]
	s_and_saveexec_b64 s[6:7], s[4:5]
	s_cbranch_execz .LBB45_1200
.LBB45_1199:
	v_bfe_u32 v10, v3, 8, 3
	v_ffbh_u32_e32 v12, v10
	v_min_u32_e32 v12, 32, v12
	v_lshrrev_b16_e32 v11, 3, v6
	v_subrev_u32_e32 v13, 28, v12
	v_and_b32_e32 v11, 15, v11
	v_lshlrev_b32_e32 v6, v13, v6
	v_sub_u32_e32 v12, 29, v12
	v_and_b32_e32 v6, 7, v6
	v_cmp_eq_u16_e32 vcc, 0, v11
	v_cndmask_b32_e32 v6, v10, v6, vcc
	v_cndmask_b32_e32 v10, v11, v12, vcc
	v_lshlrev_b32_e32 v11, 16, v3
	v_mov_b32_e32 v12, 0x3b800000
	v_lshlrev_b32_e32 v6, 20, v6
	v_and_b32_e32 v11, 0x80000000, v11
	v_lshl_add_u32 v10, v10, 23, v12
	v_or3_b32 v10, v11, v10, v6
.LBB45_1200:
	s_or_b64 exec, exec, s[6:7]
	s_nop 0
	v_mfma_f32_16x16x4f32 a[0:3], v2, v10, a[0:3]
	s_movk_i32 s4, 0xff
	v_and_b32_sdwa v6, v7, s4 dst_sel:DWORD dst_unused:UNUSED_PAD src0_sel:WORD_1 src1_sel:DWORD
	s_movk_i32 s4, 0x7f
	v_cmp_lt_i16_e32 vcc, s4, v6
	s_mov_b64 s[4:5], 0
                                        ; implicit-def: $sgpr10
	s_and_saveexec_b64 s[6:7], vcc
	s_xor_b64 s[6:7], exec, s[6:7]
	s_cbranch_execnz .LBB45_3249
; %bb.1201:
	s_or_saveexec_b64 s[6:7], s[6:7]
	v_mov_b32_e32 v2, s10
	s_xor_b64 exec, exec, s[6:7]
	s_cbranch_execnz .LBB45_3252
.LBB45_1202:
	s_or_b64 exec, exec, s[6:7]
	s_and_saveexec_b64 s[6:7], s[4:5]
	s_cbranch_execz .LBB45_1204
.LBB45_1203:
	v_bfe_u32 v2, v7, 16, 3
	v_ffbh_u32_e32 v11, v2
	v_min_u32_e32 v11, 32, v11
	v_lshrrev_b32_e32 v6, 19, v7
	v_subrev_u32_e32 v12, 28, v11
	v_and_b32_e32 v6, 15, v6
	v_lshlrev_b32_sdwa v12, v12, v7 dst_sel:DWORD dst_unused:UNUSED_PAD src0_sel:DWORD src1_sel:WORD_1
	v_bfe_u32 v10, v7, 19, 4
	v_sub_u32_e32 v11, 29, v11
	v_and_b32_e32 v12, 7, v12
	v_cmp_eq_u16_e32 vcc, 0, v6
	v_cndmask_b32_e32 v2, v2, v12, vcc
	v_cndmask_b32_e32 v6, v10, v11, vcc
	v_lshlrev_b32_e32 v10, 8, v7
	v_mov_b32_e32 v11, 0x3b800000
	v_lshlrev_b32_e32 v2, 20, v2
	v_and_b32_e32 v10, 0x80000000, v10
	v_lshl_add_u32 v6, v6, 23, v11
	v_or3_b32 v2, v10, v6, v2
.LBB45_1204:
	s_or_b64 exec, exec, s[6:7]
	s_movk_i32 s4, 0xff
	v_and_b32_sdwa v6, v3, s4 dst_sel:DWORD dst_unused:UNUSED_PAD src0_sel:WORD_1 src1_sel:DWORD
	s_movk_i32 s4, 0x7f
	v_cmp_lt_i16_e32 vcc, s4, v6
	s_mov_b64 s[4:5], 0
                                        ; implicit-def: $sgpr10
	s_and_saveexec_b64 s[6:7], vcc
	s_xor_b64 s[6:7], exec, s[6:7]
	s_cbranch_execnz .LBB45_3253
; %bb.1205:
	s_or_saveexec_b64 s[6:7], s[6:7]
	v_mov_b32_e32 v10, s10
	s_xor_b64 exec, exec, s[6:7]
	s_cbranch_execnz .LBB45_3256
.LBB45_1206:
	s_or_b64 exec, exec, s[6:7]
	s_and_saveexec_b64 s[6:7], s[4:5]
	s_cbranch_execz .LBB45_1208
.LBB45_1207:
	v_bfe_u32 v6, v3, 16, 3
	v_ffbh_u32_e32 v12, v6
	v_min_u32_e32 v12, 32, v12
	v_lshrrev_b32_e32 v10, 19, v3
	v_subrev_u32_e32 v13, 28, v12
	v_and_b32_e32 v10, 15, v10
	v_lshlrev_b32_sdwa v13, v13, v3 dst_sel:DWORD dst_unused:UNUSED_PAD src0_sel:DWORD src1_sel:WORD_1
	v_bfe_u32 v11, v3, 19, 4
	v_sub_u32_e32 v12, 29, v12
	v_and_b32_e32 v13, 7, v13
	v_cmp_eq_u16_e32 vcc, 0, v10
	v_cndmask_b32_e32 v6, v6, v13, vcc
	v_cndmask_b32_e32 v10, v11, v12, vcc
	v_lshlrev_b32_e32 v11, 8, v3
	v_mov_b32_e32 v12, 0x3b800000
	v_lshlrev_b32_e32 v6, 20, v6
	v_and_b32_e32 v11, 0x80000000, v11
	v_lshl_add_u32 v10, v10, 23, v12
	v_or3_b32 v10, v11, v10, v6
.LBB45_1208:
	s_or_b64 exec, exec, s[6:7]
	s_nop 0
	v_mfma_f32_16x16x4f32 a[0:3], v2, v10, a[0:3]
	s_movk_i32 s4, 0x7f
	v_cmp_gt_i16_sdwa s[6:7], v7, s4 src0_sel:BYTE_3 src1_sel:DWORD
	s_mov_b64 s[4:5], 0
                                        ; implicit-def: $sgpr10
	s_and_saveexec_b64 s[8:9], s[6:7]
	s_xor_b64 s[6:7], exec, s[8:9]
	s_cbranch_execnz .LBB45_3257
; %bb.1209:
	s_or_saveexec_b64 s[6:7], s[6:7]
	v_mov_b32_e32 v2, s10
	s_xor_b64 exec, exec, s[6:7]
	s_cbranch_execnz .LBB45_3260
.LBB45_1210:
	s_or_b64 exec, exec, s[6:7]
	s_and_saveexec_b64 s[6:7], s[4:5]
	s_cbranch_execz .LBB45_1212
.LBB45_1211:
	v_bfe_u32 v2, v7, 24, 3
	v_ffbh_u32_e32 v12, v2
	v_min_u32_e32 v12, 32, v12
	v_lshrrev_b32_e32 v10, 27, v7
	v_subrev_u32_e32 v13, 28, v12
	v_and_b32_e32 v6, 0x80000000, v7
	v_and_b32_e32 v10, 15, v10
	v_bfe_u32 v11, v7, 27, 4
	v_lshlrev_b32_sdwa v7, v13, v7 dst_sel:DWORD dst_unused:UNUSED_PAD src0_sel:DWORD src1_sel:BYTE_3
	v_sub_u32_e32 v12, 29, v12
	v_and_b32_e32 v7, 7, v7
	v_cmp_eq_u16_e32 vcc, 0, v10
	v_cndmask_b32_e32 v2, v2, v7, vcc
	v_cndmask_b32_e32 v7, v11, v12, vcc
	v_mov_b32_e32 v10, 0x3b800000
	v_lshlrev_b32_e32 v2, 20, v2
	v_lshl_add_u32 v7, v7, 23, v10
	v_or3_b32 v2, v6, v7, v2
.LBB45_1212:
	s_or_b64 exec, exec, s[6:7]
	s_movk_i32 s4, 0x7f
	v_cmp_gt_i16_sdwa s[6:7], v3, s4 src0_sel:BYTE_3 src1_sel:DWORD
	s_mov_b64 s[4:5], 0
                                        ; implicit-def: $sgpr10
	s_and_saveexec_b64 s[8:9], s[6:7]
	s_xor_b64 s[6:7], exec, s[8:9]
	s_cbranch_execnz .LBB45_3261
; %bb.1213:
	s_or_saveexec_b64 s[6:7], s[6:7]
	v_mov_b32_e32 v6, s10
	s_xor_b64 exec, exec, s[6:7]
	s_cbranch_execnz .LBB45_3264
.LBB45_1214:
	s_or_b64 exec, exec, s[6:7]
	s_and_saveexec_b64 s[6:7], s[4:5]
	s_cbranch_execz .LBB45_1216
.LBB45_1215:
	v_bfe_u32 v6, v3, 24, 3
	v_ffbh_u32_e32 v12, v6
	v_min_u32_e32 v12, 32, v12
	v_lshrrev_b32_e32 v10, 27, v3
	v_subrev_u32_e32 v13, 28, v12
	v_and_b32_e32 v7, 0x80000000, v3
	v_and_b32_e32 v10, 15, v10
	v_bfe_u32 v11, v3, 27, 4
	v_lshlrev_b32_sdwa v3, v13, v3 dst_sel:DWORD dst_unused:UNUSED_PAD src0_sel:DWORD src1_sel:BYTE_3
	v_sub_u32_e32 v12, 29, v12
	v_and_b32_e32 v3, 7, v3
	v_cmp_eq_u16_e32 vcc, 0, v10
	v_cndmask_b32_e32 v3, v6, v3, vcc
	v_cndmask_b32_e32 v6, v11, v12, vcc
	v_mov_b32_e32 v10, 0x3b800000
	v_lshlrev_b32_e32 v3, 20, v3
	v_lshl_add_u32 v6, v6, 23, v10
	v_or3_b32 v6, v7, v6, v3
.LBB45_1216:
	s_or_b64 exec, exec, s[6:7]
	s_nop 0
	v_mfma_f32_16x16x4f32 a[0:3], v2, v6, a[0:3]
	s_movk_i32 s4, 0x7f
	v_cmp_gt_i16_sdwa s[6:7], v8, s4 src0_sel:BYTE_0 src1_sel:DWORD
	s_mov_b64 s[4:5], 0
                                        ; implicit-def: $sgpr10
	s_and_saveexec_b64 s[8:9], s[6:7]
	s_xor_b64 s[6:7], exec, s[8:9]
	s_cbranch_execnz .LBB45_3265
; %bb.1217:
	s_or_saveexec_b64 s[6:7], s[6:7]
	v_mov_b32_e32 v2, s10
	s_xor_b64 exec, exec, s[6:7]
	s_cbranch_execnz .LBB45_3268
.LBB45_1218:
	s_or_b64 exec, exec, s[6:7]
	s_and_saveexec_b64 s[6:7], s[4:5]
	s_cbranch_execz .LBB45_1220
.LBB45_1219:
	v_and_b32_e32 v2, 7, v8
	v_ffbh_u32_e32 v6, v2
	v_min_u32_e32 v6, 32, v6
	v_lshrrev_b16_e32 v3, 3, v8
	v_subrev_u32_e32 v7, 28, v6
	v_and_b32_e32 v3, 15, v3
	v_lshlrev_b32_e32 v7, v7, v8
	v_sub_u32_e32 v6, 29, v6
	v_and_b32_e32 v7, 7, v7
	v_cmp_eq_u16_e32 vcc, 0, v3
	v_cndmask_b32_e32 v2, v2, v7, vcc
	v_cndmask_b32_e32 v3, v3, v6, vcc
	v_lshlrev_b32_e32 v6, 24, v8
	v_mov_b32_e32 v7, 0x3b800000
	v_lshlrev_b32_e32 v2, 20, v2
	v_and_b32_e32 v6, 0x80000000, v6
	v_lshl_add_u32 v3, v3, 23, v7
	v_or3_b32 v2, v6, v3, v2
.LBB45_1220:
	s_or_b64 exec, exec, s[6:7]
	s_movk_i32 s4, 0x7f
	v_cmp_gt_i16_sdwa s[6:7], v4, s4 src0_sel:BYTE_0 src1_sel:DWORD
	s_mov_b64 s[4:5], 0
                                        ; implicit-def: $sgpr10
	s_and_saveexec_b64 s[8:9], s[6:7]
	s_xor_b64 s[6:7], exec, s[8:9]
	s_cbranch_execnz .LBB45_3269
; %bb.1221:
	s_or_saveexec_b64 s[6:7], s[6:7]
	v_mov_b32_e32 v3, s10
	s_xor_b64 exec, exec, s[6:7]
	s_cbranch_execnz .LBB45_3272
.LBB45_1222:
	s_or_b64 exec, exec, s[6:7]
	s_and_saveexec_b64 s[6:7], s[4:5]
	s_cbranch_execz .LBB45_1224
.LBB45_1223:
	v_and_b32_e32 v3, 7, v4
	v_ffbh_u32_e32 v7, v3
	v_min_u32_e32 v7, 32, v7
	v_lshrrev_b16_e32 v6, 3, v4
	v_subrev_u32_e32 v10, 28, v7
	v_and_b32_e32 v6, 15, v6
	v_lshlrev_b32_e32 v10, v10, v4
	v_sub_u32_e32 v7, 29, v7
	v_and_b32_e32 v10, 7, v10
	v_cmp_eq_u16_e32 vcc, 0, v6
	v_cndmask_b32_e32 v3, v3, v10, vcc
	v_cndmask_b32_e32 v6, v6, v7, vcc
	v_lshlrev_b32_e32 v7, 24, v4
	v_mov_b32_e32 v10, 0x3b800000
	v_lshlrev_b32_e32 v3, 20, v3
	v_and_b32_e32 v7, 0x80000000, v7
	v_lshl_add_u32 v6, v6, 23, v10
	v_or3_b32 v3, v7, v6, v3
.LBB45_1224:
	s_or_b64 exec, exec, s[6:7]
	s_nop 0
	v_mfma_f32_16x16x4f32 a[0:3], v2, v3, a[0:3]
	v_lshrrev_b32_e32 v3, 8, v8
	s_movk_i32 s4, 0x7f
	v_cmp_gt_i16_sdwa s[6:7], v3, s4 src0_sel:BYTE_0 src1_sel:DWORD
	s_mov_b64 s[4:5], 0
                                        ; implicit-def: $sgpr10
	s_and_saveexec_b64 s[8:9], s[6:7]
	s_xor_b64 s[6:7], exec, s[8:9]
	s_cbranch_execnz .LBB45_3273
; %bb.1225:
	s_or_saveexec_b64 s[6:7], s[6:7]
	v_mov_b32_e32 v2, s10
	s_xor_b64 exec, exec, s[6:7]
	s_cbranch_execnz .LBB45_3276
.LBB45_1226:
	s_or_b64 exec, exec, s[6:7]
	s_and_saveexec_b64 s[6:7], s[4:5]
	s_cbranch_execz .LBB45_1228
.LBB45_1227:
	v_bfe_u32 v2, v8, 8, 3
	v_ffbh_u32_e32 v7, v2
	v_min_u32_e32 v7, 32, v7
	v_lshrrev_b16_e32 v6, 3, v3
	v_subrev_u32_e32 v10, 28, v7
	v_and_b32_e32 v6, 15, v6
	v_lshlrev_b32_e32 v3, v10, v3
	v_sub_u32_e32 v7, 29, v7
	v_and_b32_e32 v3, 7, v3
	v_cmp_eq_u16_e32 vcc, 0, v6
	v_cndmask_b32_e32 v2, v2, v3, vcc
	v_cndmask_b32_e32 v3, v6, v7, vcc
	v_lshlrev_b32_e32 v6, 16, v8
	v_mov_b32_e32 v7, 0x3b800000
	v_lshlrev_b32_e32 v2, 20, v2
	v_and_b32_e32 v6, 0x80000000, v6
	v_lshl_add_u32 v3, v3, 23, v7
	v_or3_b32 v2, v6, v3, v2
.LBB45_1228:
	s_or_b64 exec, exec, s[6:7]
	v_lshrrev_b32_e32 v3, 8, v4
	s_movk_i32 s4, 0x7f
	v_cmp_gt_i16_sdwa s[6:7], v3, s4 src0_sel:BYTE_0 src1_sel:DWORD
	s_mov_b64 s[4:5], 0
                                        ; implicit-def: $sgpr10
	s_and_saveexec_b64 s[8:9], s[6:7]
	s_xor_b64 s[6:7], exec, s[8:9]
	s_cbranch_execnz .LBB45_3277
; %bb.1229:
	s_or_saveexec_b64 s[6:7], s[6:7]
	v_mov_b32_e32 v6, s10
	s_xor_b64 exec, exec, s[6:7]
	s_cbranch_execnz .LBB45_3280
.LBB45_1230:
	s_or_b64 exec, exec, s[6:7]
	s_and_saveexec_b64 s[6:7], s[4:5]
	s_cbranch_execz .LBB45_1232
.LBB45_1231:
	v_bfe_u32 v6, v4, 8, 3
	v_ffbh_u32_e32 v10, v6
	v_min_u32_e32 v10, 32, v10
	v_lshrrev_b16_e32 v7, 3, v3
	v_subrev_u32_e32 v11, 28, v10
	v_and_b32_e32 v7, 15, v7
	v_lshlrev_b32_e32 v3, v11, v3
	v_sub_u32_e32 v10, 29, v10
	v_and_b32_e32 v3, 7, v3
	v_cmp_eq_u16_e32 vcc, 0, v7
	v_cndmask_b32_e32 v3, v6, v3, vcc
	v_cndmask_b32_e32 v6, v7, v10, vcc
	v_lshlrev_b32_e32 v7, 16, v4
	v_mov_b32_e32 v10, 0x3b800000
	v_lshlrev_b32_e32 v3, 20, v3
	v_and_b32_e32 v7, 0x80000000, v7
	v_lshl_add_u32 v6, v6, 23, v10
	v_or3_b32 v6, v7, v6, v3
.LBB45_1232:
	s_or_b64 exec, exec, s[6:7]
	s_nop 0
	v_mfma_f32_16x16x4f32 a[0:3], v2, v6, a[0:3]
	s_movk_i32 s4, 0xff
	v_and_b32_sdwa v3, v8, s4 dst_sel:DWORD dst_unused:UNUSED_PAD src0_sel:WORD_1 src1_sel:DWORD
	s_movk_i32 s4, 0x7f
	v_cmp_lt_i16_e32 vcc, s4, v3
	s_mov_b64 s[4:5], 0
                                        ; implicit-def: $sgpr10
	s_and_saveexec_b64 s[6:7], vcc
	s_xor_b64 s[6:7], exec, s[6:7]
	s_cbranch_execnz .LBB45_3281
; %bb.1233:
	s_or_saveexec_b64 s[6:7], s[6:7]
	v_mov_b32_e32 v2, s10
	s_xor_b64 exec, exec, s[6:7]
	s_cbranch_execnz .LBB45_3284
.LBB45_1234:
	s_or_b64 exec, exec, s[6:7]
	s_and_saveexec_b64 s[6:7], s[4:5]
	s_cbranch_execz .LBB45_1236
.LBB45_1235:
	v_bfe_u32 v2, v8, 16, 3
	v_ffbh_u32_e32 v7, v2
	v_min_u32_e32 v7, 32, v7
	v_lshrrev_b32_e32 v3, 19, v8
	v_subrev_u32_e32 v10, 28, v7
	v_and_b32_e32 v3, 15, v3
	v_lshlrev_b32_sdwa v10, v10, v8 dst_sel:DWORD dst_unused:UNUSED_PAD src0_sel:DWORD src1_sel:WORD_1
	v_bfe_u32 v6, v8, 19, 4
	v_sub_u32_e32 v7, 29, v7
	v_and_b32_e32 v10, 7, v10
	v_cmp_eq_u16_e32 vcc, 0, v3
	v_cndmask_b32_e32 v2, v2, v10, vcc
	v_cndmask_b32_e32 v3, v6, v7, vcc
	v_lshlrev_b32_e32 v6, 8, v8
	v_mov_b32_e32 v7, 0x3b800000
	v_lshlrev_b32_e32 v2, 20, v2
	v_and_b32_e32 v6, 0x80000000, v6
	v_lshl_add_u32 v3, v3, 23, v7
	v_or3_b32 v2, v6, v3, v2
.LBB45_1236:
	s_or_b64 exec, exec, s[6:7]
	s_movk_i32 s4, 0xff
	v_and_b32_sdwa v3, v4, s4 dst_sel:DWORD dst_unused:UNUSED_PAD src0_sel:WORD_1 src1_sel:DWORD
	s_movk_i32 s4, 0x7f
	v_cmp_lt_i16_e32 vcc, s4, v3
	s_mov_b64 s[4:5], 0
                                        ; implicit-def: $sgpr10
	s_and_saveexec_b64 s[6:7], vcc
	s_xor_b64 s[6:7], exec, s[6:7]
	s_cbranch_execnz .LBB45_3285
; %bb.1237:
	s_or_saveexec_b64 s[6:7], s[6:7]
	v_mov_b32_e32 v6, s10
	s_xor_b64 exec, exec, s[6:7]
	s_cbranch_execnz .LBB45_3288
.LBB45_1238:
	s_or_b64 exec, exec, s[6:7]
	s_and_saveexec_b64 s[6:7], s[4:5]
	s_cbranch_execz .LBB45_1240
.LBB45_1239:
	v_bfe_u32 v3, v4, 16, 3
	v_ffbh_u32_e32 v10, v3
	v_min_u32_e32 v10, 32, v10
	v_lshrrev_b32_e32 v6, 19, v4
	v_subrev_u32_e32 v11, 28, v10
	v_and_b32_e32 v6, 15, v6
	v_lshlrev_b32_sdwa v11, v11, v4 dst_sel:DWORD dst_unused:UNUSED_PAD src0_sel:DWORD src1_sel:WORD_1
	v_bfe_u32 v7, v4, 19, 4
	v_sub_u32_e32 v10, 29, v10
	v_and_b32_e32 v11, 7, v11
	v_cmp_eq_u16_e32 vcc, 0, v6
	v_cndmask_b32_e32 v3, v3, v11, vcc
	v_cndmask_b32_e32 v6, v7, v10, vcc
	v_lshlrev_b32_e32 v7, 8, v4
	v_mov_b32_e32 v10, 0x3b800000
	v_lshlrev_b32_e32 v3, 20, v3
	v_and_b32_e32 v7, 0x80000000, v7
	v_lshl_add_u32 v6, v6, 23, v10
	v_or3_b32 v6, v7, v6, v3
.LBB45_1240:
	s_or_b64 exec, exec, s[6:7]
	s_nop 0
	v_mfma_f32_16x16x4f32 a[0:3], v2, v6, a[0:3]
	s_movk_i32 s4, 0x7f
	v_cmp_gt_i16_sdwa s[6:7], v8, s4 src0_sel:BYTE_3 src1_sel:DWORD
	s_mov_b64 s[4:5], 0
                                        ; implicit-def: $sgpr10
	s_and_saveexec_b64 s[8:9], s[6:7]
	s_xor_b64 s[6:7], exec, s[8:9]
	s_cbranch_execnz .LBB45_3289
; %bb.1241:
	s_or_saveexec_b64 s[6:7], s[6:7]
	v_mov_b32_e32 v2, s10
	s_xor_b64 exec, exec, s[6:7]
	s_cbranch_execnz .LBB45_3292
.LBB45_1242:
	s_or_b64 exec, exec, s[6:7]
	s_and_saveexec_b64 s[6:7], s[4:5]
	s_cbranch_execz .LBB45_1244
.LBB45_1243:
	v_bfe_u32 v2, v8, 24, 3
	v_ffbh_u32_e32 v10, v2
	v_min_u32_e32 v10, 32, v10
	v_lshrrev_b32_e32 v6, 27, v8
	v_subrev_u32_e32 v11, 28, v10
	v_and_b32_e32 v3, 0x80000000, v8
	v_and_b32_e32 v6, 15, v6
	v_bfe_u32 v7, v8, 27, 4
	v_lshlrev_b32_sdwa v8, v11, v8 dst_sel:DWORD dst_unused:UNUSED_PAD src0_sel:DWORD src1_sel:BYTE_3
	v_sub_u32_e32 v10, 29, v10
	v_and_b32_e32 v8, 7, v8
	v_cmp_eq_u16_e32 vcc, 0, v6
	v_cndmask_b32_e32 v2, v2, v8, vcc
	v_cndmask_b32_e32 v6, v7, v10, vcc
	v_mov_b32_e32 v7, 0x3b800000
	v_lshlrev_b32_e32 v2, 20, v2
	v_lshl_add_u32 v6, v6, 23, v7
	v_or3_b32 v2, v3, v6, v2
.LBB45_1244:
	s_or_b64 exec, exec, s[6:7]
	s_movk_i32 s4, 0x7f
	v_cmp_gt_i16_sdwa s[6:7], v4, s4 src0_sel:BYTE_3 src1_sel:DWORD
	s_mov_b64 s[4:5], 0
                                        ; implicit-def: $sgpr10
	s_and_saveexec_b64 s[8:9], s[6:7]
	s_xor_b64 s[6:7], exec, s[8:9]
	s_cbranch_execnz .LBB45_3293
; %bb.1245:
	s_or_saveexec_b64 s[6:7], s[6:7]
	v_mov_b32_e32 v3, s10
	s_xor_b64 exec, exec, s[6:7]
	s_cbranch_execnz .LBB45_3296
.LBB45_1246:
	s_or_b64 exec, exec, s[6:7]
	s_and_saveexec_b64 s[6:7], s[4:5]
	s_cbranch_execz .LBB45_1248
.LBB45_1247:
	v_bfe_u32 v3, v4, 24, 3
	v_ffbh_u32_e32 v10, v3
	v_min_u32_e32 v10, 32, v10
	v_lshrrev_b32_e32 v7, 27, v4
	v_subrev_u32_e32 v11, 28, v10
	v_and_b32_e32 v6, 0x80000000, v4
	v_and_b32_e32 v7, 15, v7
	v_bfe_u32 v8, v4, 27, 4
	v_lshlrev_b32_sdwa v4, v11, v4 dst_sel:DWORD dst_unused:UNUSED_PAD src0_sel:DWORD src1_sel:BYTE_3
	v_sub_u32_e32 v10, 29, v10
	v_and_b32_e32 v4, 7, v4
	v_cmp_eq_u16_e32 vcc, 0, v7
	v_cndmask_b32_e32 v3, v3, v4, vcc
	v_cndmask_b32_e32 v4, v8, v10, vcc
	v_mov_b32_e32 v7, 0x3b800000
	v_lshlrev_b32_e32 v3, 20, v3
	v_lshl_add_u32 v4, v4, 23, v7
	v_or3_b32 v3, v6, v4, v3
.LBB45_1248:
	s_or_b64 exec, exec, s[6:7]
	s_nop 0
	v_mfma_f32_16x16x4f32 a[0:3], v2, v3, a[0:3]
	s_movk_i32 s4, 0x7f
	v_cmp_gt_i16_sdwa s[6:7], v9, s4 src0_sel:BYTE_0 src1_sel:DWORD
	s_mov_b64 s[4:5], 0
                                        ; implicit-def: $sgpr10
	s_and_saveexec_b64 s[8:9], s[6:7]
	s_xor_b64 s[6:7], exec, s[8:9]
	s_cbranch_execnz .LBB45_3297
; %bb.1249:
	s_or_saveexec_b64 s[6:7], s[6:7]
	v_mov_b32_e32 v2, s10
	s_xor_b64 exec, exec, s[6:7]
	s_cbranch_execnz .LBB45_3300
.LBB45_1250:
	s_or_b64 exec, exec, s[6:7]
	s_and_saveexec_b64 s[6:7], s[4:5]
	s_cbranch_execz .LBB45_1252
.LBB45_1251:
	v_mov_b32_e32 v2, 8
	v_and_b32_e32 v3, 7, v9
	v_lshrrev_b32_sdwa v2, v2, v9 dst_sel:BYTE_1 dst_unused:UNUSED_PAD src0_sel:DWORD src1_sel:DWORD
	v_ffbh_u32_e32 v4, v3
	v_or_b32_sdwa v2, v9, v2 dst_sel:DWORD dst_unused:UNUSED_PAD src0_sel:BYTE_0 src1_sel:DWORD
	v_min_u32_e32 v4, 32, v4
	v_lshrrev_b16_e32 v2, 3, v2
	v_subrev_u32_e32 v6, 28, v4
	v_and_b32_e32 v2, 15, v2
	v_lshlrev_b32_e32 v6, v6, v9
	v_sub_u32_e32 v4, 29, v4
	v_and_b32_e32 v6, 7, v6
	v_cmp_eq_u16_e32 vcc, 0, v2
	v_cndmask_b32_e32 v3, v3, v6, vcc
	v_cndmask_b32_e32 v2, v2, v4, vcc
	v_lshlrev_b32_e32 v4, 24, v9
	v_mov_b32_e32 v6, 0x3b800000
	v_lshlrev_b32_e32 v3, 20, v3
	v_and_b32_e32 v4, 0x80000000, v4
	v_lshl_add_u32 v2, v2, 23, v6
	v_or3_b32 v2, v4, v2, v3
.LBB45_1252:
	s_or_b64 exec, exec, s[6:7]
	s_movk_i32 s4, 0x7f
	v_cmp_gt_i16_sdwa s[6:7], v5, s4 src0_sel:BYTE_0 src1_sel:DWORD
	s_mov_b64 s[4:5], 0
                                        ; implicit-def: $sgpr10
	s_and_saveexec_b64 s[8:9], s[6:7]
	s_xor_b64 s[6:7], exec, s[8:9]
	s_cbranch_execnz .LBB45_3301
; %bb.1253:
	s_or_saveexec_b64 s[6:7], s[6:7]
	v_mov_b32_e32 v3, s10
	s_xor_b64 exec, exec, s[6:7]
	s_cbranch_execnz .LBB45_3304
.LBB45_1254:
	s_or_b64 exec, exec, s[6:7]
	s_and_saveexec_b64 s[6:7], s[4:5]
	s_cbranch_execz .LBB45_1256
.LBB45_1255:
	v_mov_b32_e32 v3, 8
	v_and_b32_e32 v4, 7, v5
	v_lshrrev_b32_sdwa v3, v3, v5 dst_sel:BYTE_1 dst_unused:UNUSED_PAD src0_sel:DWORD src1_sel:DWORD
	v_ffbh_u32_e32 v6, v4
	v_or_b32_sdwa v3, v5, v3 dst_sel:DWORD dst_unused:UNUSED_PAD src0_sel:BYTE_0 src1_sel:DWORD
	v_min_u32_e32 v6, 32, v6
	v_lshrrev_b16_e32 v3, 3, v3
	v_subrev_u32_e32 v7, 28, v6
	v_and_b32_e32 v3, 15, v3
	v_lshlrev_b32_e32 v7, v7, v5
	v_sub_u32_e32 v6, 29, v6
	v_and_b32_e32 v7, 7, v7
	v_cmp_eq_u16_e32 vcc, 0, v3
	v_cndmask_b32_e32 v4, v4, v7, vcc
	v_cndmask_b32_e32 v3, v3, v6, vcc
	v_lshlrev_b32_e32 v6, 24, v5
	v_mov_b32_e32 v7, 0x3b800000
	v_lshlrev_b32_e32 v4, 20, v4
	v_and_b32_e32 v6, 0x80000000, v6
	v_lshl_add_u32 v3, v3, 23, v7
	v_or3_b32 v3, v6, v3, v4
.LBB45_1256:
	s_or_b64 exec, exec, s[6:7]
	s_nop 0
	v_mfma_f32_16x16x4f32 a[0:3], v2, v3, a[0:3]
	v_lshrrev_b32_e32 v3, 8, v9
	s_movk_i32 s4, 0x7f
	v_cmp_gt_i16_sdwa s[6:7], v3, s4 src0_sel:BYTE_0 src1_sel:DWORD
	s_mov_b64 s[4:5], 0
                                        ; implicit-def: $sgpr10
	s_and_saveexec_b64 s[8:9], s[6:7]
	s_xor_b64 s[6:7], exec, s[8:9]
	s_cbranch_execnz .LBB45_3305
; %bb.1257:
	s_or_saveexec_b64 s[6:7], s[6:7]
	v_mov_b32_e32 v2, s10
	s_xor_b64 exec, exec, s[6:7]
	s_cbranch_execnz .LBB45_3308
.LBB45_1258:
	s_or_b64 exec, exec, s[6:7]
	s_and_saveexec_b64 s[6:7], s[4:5]
	s_cbranch_execz .LBB45_1260
.LBB45_1259:
	v_bfe_u32 v2, v9, 8, 3
	v_ffbh_u32_e32 v6, v2
	v_min_u32_e32 v6, 32, v6
	v_lshrrev_b16_e32 v4, 3, v3
	v_subrev_u32_e32 v7, 28, v6
	v_and_b32_e32 v4, 15, v4
	v_lshlrev_b32_e32 v3, v7, v3
	v_sub_u32_e32 v6, 29, v6
	v_and_b32_e32 v3, 7, v3
	v_cmp_eq_u16_e32 vcc, 0, v4
	v_cndmask_b32_e32 v2, v2, v3, vcc
	v_cndmask_b32_e32 v3, v4, v6, vcc
	v_lshlrev_b32_e32 v4, 16, v9
	v_mov_b32_e32 v6, 0x3b800000
	v_lshlrev_b32_e32 v2, 20, v2
	v_and_b32_e32 v4, 0x80000000, v4
	v_lshl_add_u32 v3, v3, 23, v6
	v_or3_b32 v2, v4, v3, v2
.LBB45_1260:
	s_or_b64 exec, exec, s[6:7]
	v_lshrrev_b32_e32 v3, 8, v5
	s_movk_i32 s4, 0x7f
	v_cmp_gt_i16_sdwa s[6:7], v3, s4 src0_sel:BYTE_0 src1_sel:DWORD
	s_mov_b64 s[4:5], 0
                                        ; implicit-def: $sgpr10
	s_and_saveexec_b64 s[8:9], s[6:7]
	s_xor_b64 s[6:7], exec, s[8:9]
	s_cbranch_execnz .LBB45_3309
; %bb.1261:
	s_or_saveexec_b64 s[6:7], s[6:7]
	v_mov_b32_e32 v4, s10
	s_xor_b64 exec, exec, s[6:7]
	s_cbranch_execnz .LBB45_3312
.LBB45_1262:
	s_or_b64 exec, exec, s[6:7]
	s_and_saveexec_b64 s[6:7], s[4:5]
	s_cbranch_execz .LBB45_1264
.LBB45_1263:
	v_bfe_u32 v4, v5, 8, 3
	v_ffbh_u32_e32 v7, v4
	v_min_u32_e32 v7, 32, v7
	v_lshrrev_b16_e32 v6, 3, v3
	v_subrev_u32_e32 v8, 28, v7
	v_and_b32_e32 v6, 15, v6
	v_lshlrev_b32_e32 v3, v8, v3
	v_sub_u32_e32 v7, 29, v7
	v_and_b32_e32 v3, 7, v3
	v_cmp_eq_u16_e32 vcc, 0, v6
	v_cndmask_b32_e32 v3, v4, v3, vcc
	v_cndmask_b32_e32 v4, v6, v7, vcc
	v_lshlrev_b32_e32 v6, 16, v5
	v_mov_b32_e32 v7, 0x3b800000
	v_lshlrev_b32_e32 v3, 20, v3
	v_and_b32_e32 v6, 0x80000000, v6
	v_lshl_add_u32 v4, v4, 23, v7
	v_or3_b32 v4, v6, v4, v3
.LBB45_1264:
	s_or_b64 exec, exec, s[6:7]
	s_nop 0
	v_mfma_f32_16x16x4f32 a[0:3], v2, v4, a[0:3]
	s_movk_i32 s4, 0xff
	v_and_b32_sdwa v3, v9, s4 dst_sel:DWORD dst_unused:UNUSED_PAD src0_sel:WORD_1 src1_sel:DWORD
	s_movk_i32 s4, 0x7f
	v_cmp_lt_i16_e32 vcc, s4, v3
	s_mov_b64 s[4:5], 0
                                        ; implicit-def: $sgpr10
	s_and_saveexec_b64 s[6:7], vcc
	s_xor_b64 s[6:7], exec, s[6:7]
	s_cbranch_execnz .LBB45_3313
; %bb.1265:
	s_or_saveexec_b64 s[6:7], s[6:7]
	v_mov_b32_e32 v2, s10
	s_xor_b64 exec, exec, s[6:7]
	s_cbranch_execnz .LBB45_3316
.LBB45_1266:
	s_or_b64 exec, exec, s[6:7]
	s_and_saveexec_b64 s[6:7], s[4:5]
	s_cbranch_execz .LBB45_1268
.LBB45_1267:
	v_bfe_u32 v2, v9, 16, 3
	v_ffbh_u32_e32 v6, v2
	v_min_u32_e32 v6, 32, v6
	v_lshrrev_b32_e32 v3, 19, v9
	v_subrev_u32_e32 v7, 28, v6
	v_and_b32_e32 v3, 15, v3
	v_lshlrev_b32_sdwa v7, v7, v9 dst_sel:DWORD dst_unused:UNUSED_PAD src0_sel:DWORD src1_sel:WORD_1
	v_bfe_u32 v4, v9, 19, 4
	v_sub_u32_e32 v6, 29, v6
	v_and_b32_e32 v7, 7, v7
	v_cmp_eq_u16_e32 vcc, 0, v3
	v_cndmask_b32_e32 v2, v2, v7, vcc
	v_cndmask_b32_e32 v3, v4, v6, vcc
	v_lshlrev_b32_e32 v4, 8, v9
	v_mov_b32_e32 v6, 0x3b800000
	v_lshlrev_b32_e32 v2, 20, v2
	v_and_b32_e32 v4, 0x80000000, v4
	v_lshl_add_u32 v3, v3, 23, v6
	v_or3_b32 v2, v4, v3, v2
.LBB45_1268:
	s_or_b64 exec, exec, s[6:7]
	s_movk_i32 s4, 0xff
	v_and_b32_sdwa v3, v5, s4 dst_sel:DWORD dst_unused:UNUSED_PAD src0_sel:WORD_1 src1_sel:DWORD
	s_movk_i32 s4, 0x7f
	v_cmp_lt_i16_e32 vcc, s4, v3
	s_mov_b64 s[4:5], 0
                                        ; implicit-def: $sgpr10
	s_and_saveexec_b64 s[6:7], vcc
	s_xor_b64 s[6:7], exec, s[6:7]
	s_cbranch_execnz .LBB45_3317
; %bb.1269:
	s_or_saveexec_b64 s[6:7], s[6:7]
	v_mov_b32_e32 v4, s10
	s_xor_b64 exec, exec, s[6:7]
	s_cbranch_execnz .LBB45_3320
.LBB45_1270:
	s_or_b64 exec, exec, s[6:7]
	s_and_saveexec_b64 s[6:7], s[4:5]
	s_cbranch_execz .LBB45_1272
.LBB45_1271:
	v_bfe_u32 v3, v5, 16, 3
	v_ffbh_u32_e32 v7, v3
	v_min_u32_e32 v7, 32, v7
	v_lshrrev_b32_e32 v4, 19, v5
	v_subrev_u32_e32 v8, 28, v7
	v_and_b32_e32 v4, 15, v4
	v_lshlrev_b32_sdwa v8, v8, v5 dst_sel:DWORD dst_unused:UNUSED_PAD src0_sel:DWORD src1_sel:WORD_1
	v_bfe_u32 v6, v5, 19, 4
	v_sub_u32_e32 v7, 29, v7
	v_and_b32_e32 v8, 7, v8
	v_cmp_eq_u16_e32 vcc, 0, v4
	v_cndmask_b32_e32 v3, v3, v8, vcc
	v_cndmask_b32_e32 v4, v6, v7, vcc
	v_lshlrev_b32_e32 v6, 8, v5
	v_mov_b32_e32 v7, 0x3b800000
	v_lshlrev_b32_e32 v3, 20, v3
	v_and_b32_e32 v6, 0x80000000, v6
	v_lshl_add_u32 v4, v4, 23, v7
	v_or3_b32 v4, v6, v4, v3
.LBB45_1272:
	s_or_b64 exec, exec, s[6:7]
	s_nop 0
	v_mfma_f32_16x16x4f32 a[0:3], v2, v4, a[0:3]
	s_movk_i32 s4, 0x7f
	v_cmp_gt_i16_sdwa s[6:7], v9, s4 src0_sel:BYTE_3 src1_sel:DWORD
	s_mov_b64 s[4:5], 0
                                        ; implicit-def: $sgpr10
	s_and_saveexec_b64 s[8:9], s[6:7]
	s_xor_b64 s[6:7], exec, s[8:9]
	s_cbranch_execnz .LBB45_3321
; %bb.1273:
	s_or_saveexec_b64 s[6:7], s[6:7]
	v_mov_b32_e32 v2, s10
	s_xor_b64 exec, exec, s[6:7]
	s_cbranch_execnz .LBB45_3324
.LBB45_1274:
	s_or_b64 exec, exec, s[6:7]
	s_and_saveexec_b64 s[6:7], s[4:5]
	s_cbranch_execz .LBB45_1276
.LBB45_1275:
	v_bfe_u32 v2, v9, 24, 3
	v_ffbh_u32_e32 v7, v2
	v_min_u32_e32 v7, 32, v7
	v_lshrrev_b32_e32 v4, 27, v9
	v_subrev_u32_e32 v8, 28, v7
	v_and_b32_e32 v4, 15, v4
	v_lshlrev_b32_sdwa v8, v8, v9 dst_sel:DWORD dst_unused:UNUSED_PAD src0_sel:DWORD src1_sel:BYTE_3
	v_bfe_u32 v6, v9, 27, 4
	v_sub_u32_e32 v7, 29, v7
	v_and_b32_e32 v8, 7, v8
	v_cmp_eq_u16_e32 vcc, 0, v4
	v_cndmask_b32_e32 v2, v2, v8, vcc
	v_cndmask_b32_e32 v4, v6, v7, vcc
	v_mov_b32_e32 v6, 0x3b800000
	v_and_b32_e32 v3, 0x80000000, v9
	v_lshlrev_b32_e32 v2, 20, v2
	v_lshl_add_u32 v4, v4, 23, v6
	v_or3_b32 v2, v3, v4, v2
.LBB45_1276:
	s_or_b64 exec, exec, s[6:7]
	s_movk_i32 s4, 0x7f
	v_cmp_gt_i16_sdwa s[6:7], v5, s4 src0_sel:BYTE_3 src1_sel:DWORD
	s_mov_b64 s[4:5], 0
                                        ; implicit-def: $sgpr10
	s_and_saveexec_b64 s[8:9], s[6:7]
	s_xor_b64 s[6:7], exec, s[8:9]
	s_cbranch_execnz .LBB45_3325
; %bb.1277:
	s_or_saveexec_b64 s[6:7], s[6:7]
	v_mov_b32_e32 v3, s10
	s_xor_b64 exec, exec, s[6:7]
	s_cbranch_execnz .LBB45_3328
.LBB45_1278:
	s_or_b64 exec, exec, s[6:7]
	s_and_saveexec_b64 s[6:7], s[4:5]
	s_cbranch_execz .LBB45_1280
.LBB45_1279:
	v_bfe_u32 v3, v5, 24, 3
	v_ffbh_u32_e32 v8, v3
	v_min_u32_e32 v8, 32, v8
	v_lshrrev_b32_e32 v6, 27, v5
	v_subrev_u32_e32 v9, 28, v8
	v_and_b32_e32 v4, 0x80000000, v5
	v_and_b32_e32 v6, 15, v6
	v_bfe_u32 v7, v5, 27, 4
	v_lshlrev_b32_sdwa v5, v9, v5 dst_sel:DWORD dst_unused:UNUSED_PAD src0_sel:DWORD src1_sel:BYTE_3
	v_sub_u32_e32 v8, 29, v8
	v_and_b32_e32 v5, 7, v5
	v_cmp_eq_u16_e32 vcc, 0, v6
	v_cndmask_b32_e32 v3, v3, v5, vcc
	v_cndmask_b32_e32 v5, v7, v8, vcc
	v_mov_b32_e32 v6, 0x3b800000
	v_lshlrev_b32_e32 v3, 20, v3
	v_lshl_add_u32 v5, v5, 23, v6
	v_or3_b32 v3, v4, v5, v3
.LBB45_1280:
	s_or_b64 exec, exec, s[6:7]
	s_nop 0
	v_mfma_f32_16x16x4f32 a[0:3], v2, v3, a[0:3]
	s_movk_i32 s4, 0x7f
                                        ; implicit-def: $sgpr10
	s_nop 7
	s_nop 1
	flat_store_dwordx4 v[18:19], a[0:3] offset:192
	flat_load_dwordx4 v[20:23], v[0:1] offset:8
	s_nop 0
	flat_load_dwordx2 v[18:19], v[0:1] offset:24
	s_waitcnt vmcnt(0) lgkmcnt(0)
	flat_load_dwordx4 v[14:17], v[20:21] offset:32
	flat_load_dwordx4 v[6:9], v[20:21] offset:48
	;; [unrolled: 1-line block ×4, first 2 shown]
	s_waitcnt vmcnt(0) lgkmcnt(0)
	v_cmp_gt_i16_sdwa s[6:7], v14, s4 src0_sel:BYTE_0 src1_sel:DWORD
	s_mov_b64 s[4:5], 0
	s_and_saveexec_b64 s[8:9], s[6:7]
	s_xor_b64 s[6:7], exec, s[8:9]
	s_cbranch_execnz .LBB45_3329
; %bb.1281:
	s_or_saveexec_b64 s[6:7], s[6:7]
	v_mov_b32_e32 v20, s10
	s_xor_b64 exec, exec, s[6:7]
	s_cbranch_execnz .LBB45_3332
.LBB45_1282:
	s_or_b64 exec, exec, s[6:7]
	s_and_saveexec_b64 s[6:7], s[4:5]
	s_cbranch_execz .LBB45_1284
.LBB45_1283:
	v_and_b32_e32 v20, 7, v14
	v_ffbh_u32_e32 v22, v20
	v_min_u32_e32 v22, 32, v22
	v_lshrrev_b16_e32 v21, 3, v14
	v_subrev_u32_e32 v23, 28, v22
	v_and_b32_e32 v21, 15, v21
	v_lshlrev_b32_e32 v23, v23, v14
	v_sub_u32_e32 v22, 29, v22
	v_and_b32_e32 v23, 7, v23
	v_cmp_eq_u16_e32 vcc, 0, v21
	v_cndmask_b32_e32 v20, v20, v23, vcc
	v_cndmask_b32_e32 v21, v21, v22, vcc
	v_lshlrev_b32_e32 v22, 24, v14
	v_mov_b32_e32 v23, 0x3b800000
	v_lshlrev_b32_e32 v20, 20, v20
	v_and_b32_e32 v22, 0x80000000, v22
	v_lshl_add_u32 v21, v21, 23, v23
	v_or3_b32 v20, v22, v21, v20
.LBB45_1284:
	s_or_b64 exec, exec, s[6:7]
	s_movk_i32 s4, 0x7f
	v_cmp_gt_i16_sdwa s[6:7], v10, s4 src0_sel:BYTE_0 src1_sel:DWORD
	s_mov_b64 s[4:5], 0
                                        ; implicit-def: $sgpr10
	s_and_saveexec_b64 s[8:9], s[6:7]
	s_xor_b64 s[6:7], exec, s[8:9]
	s_cbranch_execnz .LBB45_3333
; %bb.1285:
	s_or_saveexec_b64 s[6:7], s[6:7]
	v_mov_b32_e32 v21, s10
	s_xor_b64 exec, exec, s[6:7]
	s_cbranch_execnz .LBB45_3336
.LBB45_1286:
	s_or_b64 exec, exec, s[6:7]
	s_and_saveexec_b64 s[6:7], s[4:5]
	s_cbranch_execz .LBB45_1288
.LBB45_1287:
	v_and_b32_e32 v21, 7, v10
	v_ffbh_u32_e32 v23, v21
	v_min_u32_e32 v23, 32, v23
	v_lshrrev_b16_e32 v22, 3, v10
	v_subrev_u32_e32 v24, 28, v23
	v_and_b32_e32 v22, 15, v22
	v_lshlrev_b32_e32 v24, v24, v10
	v_sub_u32_e32 v23, 29, v23
	v_and_b32_e32 v24, 7, v24
	v_cmp_eq_u16_e32 vcc, 0, v22
	v_cndmask_b32_e32 v21, v21, v24, vcc
	v_cndmask_b32_e32 v22, v22, v23, vcc
	v_lshlrev_b32_e32 v23, 24, v10
	v_mov_b32_e32 v24, 0x3b800000
	v_lshlrev_b32_e32 v21, 20, v21
	v_and_b32_e32 v23, 0x80000000, v23
	v_lshl_add_u32 v22, v22, 23, v24
	v_or3_b32 v21, v23, v22, v21
.LBB45_1288:
	s_or_b64 exec, exec, s[6:7]
	flat_load_dwordx4 a[0:3], v[18:19] offset:208
	s_movk_i32 s4, 0x7f
                                        ; implicit-def: $sgpr10
	s_waitcnt vmcnt(0) lgkmcnt(0)
	v_mfma_f32_16x16x4f32 a[0:3], v20, v21, a[0:3]
	v_lshrrev_b32_e32 v21, 8, v14
	v_cmp_gt_i16_sdwa s[6:7], v21, s4 src0_sel:BYTE_0 src1_sel:DWORD
	s_mov_b64 s[4:5], 0
	s_and_saveexec_b64 s[8:9], s[6:7]
	s_xor_b64 s[6:7], exec, s[8:9]
	s_cbranch_execnz .LBB45_3337
; %bb.1289:
	s_or_saveexec_b64 s[6:7], s[6:7]
	v_mov_b32_e32 v20, s10
	s_xor_b64 exec, exec, s[6:7]
	s_cbranch_execnz .LBB45_3340
.LBB45_1290:
	s_or_b64 exec, exec, s[6:7]
	s_and_saveexec_b64 s[6:7], s[4:5]
	s_cbranch_execz .LBB45_1292
.LBB45_1291:
	v_bfe_u32 v20, v14, 8, 3
	v_ffbh_u32_e32 v23, v20
	v_min_u32_e32 v23, 32, v23
	v_lshrrev_b16_e32 v22, 3, v21
	v_subrev_u32_e32 v24, 28, v23
	v_and_b32_e32 v22, 15, v22
	v_lshlrev_b32_e32 v21, v24, v21
	v_sub_u32_e32 v23, 29, v23
	v_and_b32_e32 v21, 7, v21
	v_cmp_eq_u16_e32 vcc, 0, v22
	v_cndmask_b32_e32 v20, v20, v21, vcc
	v_cndmask_b32_e32 v21, v22, v23, vcc
	v_lshlrev_b32_e32 v22, 16, v14
	v_mov_b32_e32 v23, 0x3b800000
	v_lshlrev_b32_e32 v20, 20, v20
	v_and_b32_e32 v22, 0x80000000, v22
	v_lshl_add_u32 v21, v21, 23, v23
	v_or3_b32 v20, v22, v21, v20
.LBB45_1292:
	s_or_b64 exec, exec, s[6:7]
	v_lshrrev_b32_e32 v21, 8, v10
	s_movk_i32 s4, 0x7f
	v_cmp_gt_i16_sdwa s[6:7], v21, s4 src0_sel:BYTE_0 src1_sel:DWORD
	s_mov_b64 s[4:5], 0
                                        ; implicit-def: $sgpr10
	s_and_saveexec_b64 s[8:9], s[6:7]
	s_xor_b64 s[6:7], exec, s[8:9]
	s_cbranch_execnz .LBB45_3341
; %bb.1293:
	s_or_saveexec_b64 s[6:7], s[6:7]
	v_mov_b32_e32 v22, s10
	s_xor_b64 exec, exec, s[6:7]
	s_cbranch_execnz .LBB45_3344
.LBB45_1294:
	s_or_b64 exec, exec, s[6:7]
	s_and_saveexec_b64 s[6:7], s[4:5]
	s_cbranch_execz .LBB45_1296
.LBB45_1295:
	v_bfe_u32 v22, v10, 8, 3
	v_ffbh_u32_e32 v24, v22
	v_min_u32_e32 v24, 32, v24
	v_lshrrev_b16_e32 v23, 3, v21
	v_subrev_u32_e32 v25, 28, v24
	v_and_b32_e32 v23, 15, v23
	v_lshlrev_b32_e32 v21, v25, v21
	v_sub_u32_e32 v24, 29, v24
	v_and_b32_e32 v21, 7, v21
	v_cmp_eq_u16_e32 vcc, 0, v23
	v_cndmask_b32_e32 v21, v22, v21, vcc
	v_cndmask_b32_e32 v22, v23, v24, vcc
	v_lshlrev_b32_e32 v23, 16, v10
	v_mov_b32_e32 v24, 0x3b800000
	v_lshlrev_b32_e32 v21, 20, v21
	v_and_b32_e32 v23, 0x80000000, v23
	v_lshl_add_u32 v22, v22, 23, v24
	v_or3_b32 v22, v23, v22, v21
.LBB45_1296:
	s_or_b64 exec, exec, s[6:7]
	s_nop 0
	v_mfma_f32_16x16x4f32 a[0:3], v20, v22, a[0:3]
	s_movk_i32 s4, 0xff
	v_and_b32_sdwa v21, v14, s4 dst_sel:DWORD dst_unused:UNUSED_PAD src0_sel:WORD_1 src1_sel:DWORD
	s_movk_i32 s4, 0x7f
	v_cmp_lt_i16_e32 vcc, s4, v21
	s_mov_b64 s[4:5], 0
                                        ; implicit-def: $sgpr10
	s_and_saveexec_b64 s[6:7], vcc
	s_xor_b64 s[6:7], exec, s[6:7]
	s_cbranch_execnz .LBB45_3345
; %bb.1297:
	s_or_saveexec_b64 s[6:7], s[6:7]
	v_mov_b32_e32 v20, s10
	s_xor_b64 exec, exec, s[6:7]
	s_cbranch_execnz .LBB45_3348
.LBB45_1298:
	s_or_b64 exec, exec, s[6:7]
	s_and_saveexec_b64 s[6:7], s[4:5]
	s_cbranch_execz .LBB45_1300
.LBB45_1299:
	v_bfe_u32 v20, v14, 16, 3
	v_ffbh_u32_e32 v23, v20
	v_min_u32_e32 v23, 32, v23
	v_lshrrev_b32_e32 v21, 19, v14
	v_subrev_u32_e32 v24, 28, v23
	v_and_b32_e32 v21, 15, v21
	v_lshlrev_b32_sdwa v24, v24, v14 dst_sel:DWORD dst_unused:UNUSED_PAD src0_sel:DWORD src1_sel:WORD_1
	v_bfe_u32 v22, v14, 19, 4
	v_sub_u32_e32 v23, 29, v23
	v_and_b32_e32 v24, 7, v24
	v_cmp_eq_u16_e32 vcc, 0, v21
	v_cndmask_b32_e32 v20, v20, v24, vcc
	v_cndmask_b32_e32 v21, v22, v23, vcc
	v_lshlrev_b32_e32 v22, 8, v14
	v_mov_b32_e32 v23, 0x3b800000
	v_lshlrev_b32_e32 v20, 20, v20
	v_and_b32_e32 v22, 0x80000000, v22
	v_lshl_add_u32 v21, v21, 23, v23
	v_or3_b32 v20, v22, v21, v20
.LBB45_1300:
	s_or_b64 exec, exec, s[6:7]
	s_movk_i32 s4, 0xff
	v_and_b32_sdwa v21, v10, s4 dst_sel:DWORD dst_unused:UNUSED_PAD src0_sel:WORD_1 src1_sel:DWORD
	s_movk_i32 s4, 0x7f
	v_cmp_lt_i16_e32 vcc, s4, v21
	s_mov_b64 s[4:5], 0
                                        ; implicit-def: $sgpr10
	s_and_saveexec_b64 s[6:7], vcc
	s_xor_b64 s[6:7], exec, s[6:7]
	s_cbranch_execnz .LBB45_3349
; %bb.1301:
	s_or_saveexec_b64 s[6:7], s[6:7]
	v_mov_b32_e32 v22, s10
	s_xor_b64 exec, exec, s[6:7]
	s_cbranch_execnz .LBB45_3352
.LBB45_1302:
	s_or_b64 exec, exec, s[6:7]
	s_and_saveexec_b64 s[6:7], s[4:5]
	s_cbranch_execz .LBB45_1304
.LBB45_1303:
	v_bfe_u32 v21, v10, 16, 3
	v_ffbh_u32_e32 v24, v21
	v_min_u32_e32 v24, 32, v24
	v_lshrrev_b32_e32 v22, 19, v10
	v_subrev_u32_e32 v25, 28, v24
	v_and_b32_e32 v22, 15, v22
	v_lshlrev_b32_sdwa v25, v25, v10 dst_sel:DWORD dst_unused:UNUSED_PAD src0_sel:DWORD src1_sel:WORD_1
	v_bfe_u32 v23, v10, 19, 4
	v_sub_u32_e32 v24, 29, v24
	v_and_b32_e32 v25, 7, v25
	v_cmp_eq_u16_e32 vcc, 0, v22
	v_cndmask_b32_e32 v21, v21, v25, vcc
	v_cndmask_b32_e32 v22, v23, v24, vcc
	v_lshlrev_b32_e32 v23, 8, v10
	v_mov_b32_e32 v24, 0x3b800000
	v_lshlrev_b32_e32 v21, 20, v21
	v_and_b32_e32 v23, 0x80000000, v23
	v_lshl_add_u32 v22, v22, 23, v24
	v_or3_b32 v22, v23, v22, v21
.LBB45_1304:
	s_or_b64 exec, exec, s[6:7]
	s_nop 0
	v_mfma_f32_16x16x4f32 a[0:3], v20, v22, a[0:3]
	s_movk_i32 s4, 0x7f
	v_cmp_gt_i16_sdwa s[6:7], v14, s4 src0_sel:BYTE_3 src1_sel:DWORD
	s_mov_b64 s[4:5], 0
                                        ; implicit-def: $sgpr10
	s_and_saveexec_b64 s[8:9], s[6:7]
	s_xor_b64 s[6:7], exec, s[8:9]
	s_cbranch_execnz .LBB45_3353
; %bb.1305:
	s_or_saveexec_b64 s[6:7], s[6:7]
	v_mov_b32_e32 v20, s10
	s_xor_b64 exec, exec, s[6:7]
	s_cbranch_execnz .LBB45_3356
.LBB45_1306:
	s_or_b64 exec, exec, s[6:7]
	s_and_saveexec_b64 s[6:7], s[4:5]
	s_cbranch_execz .LBB45_1308
.LBB45_1307:
	v_bfe_u32 v20, v14, 24, 3
	v_ffbh_u32_e32 v24, v20
	v_min_u32_e32 v24, 32, v24
	v_lshrrev_b32_e32 v22, 27, v14
	v_subrev_u32_e32 v25, 28, v24
	v_and_b32_e32 v21, 0x80000000, v14
	v_and_b32_e32 v22, 15, v22
	v_bfe_u32 v23, v14, 27, 4
	v_lshlrev_b32_sdwa v14, v25, v14 dst_sel:DWORD dst_unused:UNUSED_PAD src0_sel:DWORD src1_sel:BYTE_3
	v_sub_u32_e32 v24, 29, v24
	v_and_b32_e32 v14, 7, v14
	v_cmp_eq_u16_e32 vcc, 0, v22
	v_cndmask_b32_e32 v14, v20, v14, vcc
	v_cndmask_b32_e32 v20, v23, v24, vcc
	v_mov_b32_e32 v22, 0x3b800000
	v_lshlrev_b32_e32 v14, 20, v14
	v_lshl_add_u32 v20, v20, 23, v22
	v_or3_b32 v20, v21, v20, v14
.LBB45_1308:
	s_or_b64 exec, exec, s[6:7]
	s_movk_i32 s4, 0x7f
	v_cmp_gt_i16_sdwa s[6:7], v10, s4 src0_sel:BYTE_3 src1_sel:DWORD
	s_mov_b64 s[4:5], 0
                                        ; implicit-def: $sgpr10
	s_and_saveexec_b64 s[8:9], s[6:7]
	s_xor_b64 s[6:7], exec, s[8:9]
	s_cbranch_execnz .LBB45_3357
; %bb.1309:
	s_or_saveexec_b64 s[6:7], s[6:7]
	v_mov_b32_e32 v14, s10
	s_xor_b64 exec, exec, s[6:7]
	s_cbranch_execnz .LBB45_3360
.LBB45_1310:
	s_or_b64 exec, exec, s[6:7]
	s_and_saveexec_b64 s[6:7], s[4:5]
	s_cbranch_execz .LBB45_1312
.LBB45_1311:
	v_bfe_u32 v14, v10, 24, 3
	v_ffbh_u32_e32 v24, v14
	v_min_u32_e32 v24, 32, v24
	v_lshrrev_b32_e32 v22, 27, v10
	v_subrev_u32_e32 v25, 28, v24
	v_and_b32_e32 v21, 0x80000000, v10
	v_and_b32_e32 v22, 15, v22
	v_bfe_u32 v23, v10, 27, 4
	v_lshlrev_b32_sdwa v10, v25, v10 dst_sel:DWORD dst_unused:UNUSED_PAD src0_sel:DWORD src1_sel:BYTE_3
	v_sub_u32_e32 v24, 29, v24
	v_and_b32_e32 v10, 7, v10
	v_cmp_eq_u16_e32 vcc, 0, v22
	v_cndmask_b32_e32 v10, v14, v10, vcc
	v_cndmask_b32_e32 v14, v23, v24, vcc
	v_mov_b32_e32 v22, 0x3b800000
	v_lshlrev_b32_e32 v10, 20, v10
	v_lshl_add_u32 v14, v14, 23, v22
	v_or3_b32 v14, v21, v14, v10
.LBB45_1312:
	s_or_b64 exec, exec, s[6:7]
	s_nop 0
	v_mfma_f32_16x16x4f32 a[0:3], v20, v14, a[0:3]
	s_movk_i32 s4, 0x7f
	v_cmp_gt_i16_sdwa s[6:7], v15, s4 src0_sel:BYTE_0 src1_sel:DWORD
	s_mov_b64 s[4:5], 0
                                        ; implicit-def: $sgpr10
	s_and_saveexec_b64 s[8:9], s[6:7]
	s_xor_b64 s[6:7], exec, s[8:9]
	s_cbranch_execnz .LBB45_3361
; %bb.1313:
	s_or_saveexec_b64 s[6:7], s[6:7]
	v_mov_b32_e32 v10, s10
	s_xor_b64 exec, exec, s[6:7]
	s_cbranch_execnz .LBB45_3364
.LBB45_1314:
	s_or_b64 exec, exec, s[6:7]
	s_and_saveexec_b64 s[6:7], s[4:5]
	s_cbranch_execz .LBB45_1316
.LBB45_1315:
	v_and_b32_e32 v10, 7, v15
	v_ffbh_u32_e32 v20, v10
	v_min_u32_e32 v20, 32, v20
	v_lshrrev_b16_e32 v14, 3, v15
	v_subrev_u32_e32 v21, 28, v20
	v_and_b32_e32 v14, 15, v14
	v_lshlrev_b32_e32 v21, v21, v15
	v_sub_u32_e32 v20, 29, v20
	v_and_b32_e32 v21, 7, v21
	v_cmp_eq_u16_e32 vcc, 0, v14
	v_cndmask_b32_e32 v10, v10, v21, vcc
	v_cndmask_b32_e32 v14, v14, v20, vcc
	v_lshlrev_b32_e32 v20, 24, v15
	v_mov_b32_e32 v21, 0x3b800000
	v_lshlrev_b32_e32 v10, 20, v10
	v_and_b32_e32 v20, 0x80000000, v20
	v_lshl_add_u32 v14, v14, 23, v21
	v_or3_b32 v10, v20, v14, v10
.LBB45_1316:
	s_or_b64 exec, exec, s[6:7]
	s_movk_i32 s4, 0x7f
	v_cmp_gt_i16_sdwa s[6:7], v11, s4 src0_sel:BYTE_0 src1_sel:DWORD
	s_mov_b64 s[4:5], 0
                                        ; implicit-def: $sgpr10
	s_and_saveexec_b64 s[8:9], s[6:7]
	s_xor_b64 s[6:7], exec, s[8:9]
	s_cbranch_execnz .LBB45_3365
; %bb.1317:
	s_or_saveexec_b64 s[6:7], s[6:7]
	v_mov_b32_e32 v14, s10
	s_xor_b64 exec, exec, s[6:7]
	s_cbranch_execnz .LBB45_3368
.LBB45_1318:
	s_or_b64 exec, exec, s[6:7]
	s_and_saveexec_b64 s[6:7], s[4:5]
	s_cbranch_execz .LBB45_1320
.LBB45_1319:
	v_and_b32_e32 v14, 7, v11
	v_ffbh_u32_e32 v21, v14
	v_min_u32_e32 v21, 32, v21
	v_lshrrev_b16_e32 v20, 3, v11
	v_subrev_u32_e32 v22, 28, v21
	v_and_b32_e32 v20, 15, v20
	v_lshlrev_b32_e32 v22, v22, v11
	v_sub_u32_e32 v21, 29, v21
	v_and_b32_e32 v22, 7, v22
	v_cmp_eq_u16_e32 vcc, 0, v20
	v_cndmask_b32_e32 v14, v14, v22, vcc
	v_cndmask_b32_e32 v20, v20, v21, vcc
	v_lshlrev_b32_e32 v21, 24, v11
	v_mov_b32_e32 v22, 0x3b800000
	v_lshlrev_b32_e32 v14, 20, v14
	v_and_b32_e32 v21, 0x80000000, v21
	v_lshl_add_u32 v20, v20, 23, v22
	v_or3_b32 v14, v21, v20, v14
.LBB45_1320:
	s_or_b64 exec, exec, s[6:7]
	s_nop 0
	v_mfma_f32_16x16x4f32 a[0:3], v10, v14, a[0:3]
	v_lshrrev_b32_e32 v14, 8, v15
	s_movk_i32 s4, 0x7f
	v_cmp_gt_i16_sdwa s[6:7], v14, s4 src0_sel:BYTE_0 src1_sel:DWORD
	s_mov_b64 s[4:5], 0
                                        ; implicit-def: $sgpr10
	s_and_saveexec_b64 s[8:9], s[6:7]
	s_xor_b64 s[6:7], exec, s[8:9]
	s_cbranch_execnz .LBB45_3369
; %bb.1321:
	s_or_saveexec_b64 s[6:7], s[6:7]
	v_mov_b32_e32 v10, s10
	s_xor_b64 exec, exec, s[6:7]
	s_cbranch_execnz .LBB45_3372
.LBB45_1322:
	s_or_b64 exec, exec, s[6:7]
	s_and_saveexec_b64 s[6:7], s[4:5]
	s_cbranch_execz .LBB45_1324
.LBB45_1323:
	v_bfe_u32 v10, v15, 8, 3
	v_ffbh_u32_e32 v21, v10
	v_min_u32_e32 v21, 32, v21
	v_lshrrev_b16_e32 v20, 3, v14
	v_subrev_u32_e32 v22, 28, v21
	v_and_b32_e32 v20, 15, v20
	v_lshlrev_b32_e32 v14, v22, v14
	v_sub_u32_e32 v21, 29, v21
	v_and_b32_e32 v14, 7, v14
	v_cmp_eq_u16_e32 vcc, 0, v20
	v_cndmask_b32_e32 v10, v10, v14, vcc
	v_cndmask_b32_e32 v14, v20, v21, vcc
	v_lshlrev_b32_e32 v20, 16, v15
	v_mov_b32_e32 v21, 0x3b800000
	v_lshlrev_b32_e32 v10, 20, v10
	v_and_b32_e32 v20, 0x80000000, v20
	v_lshl_add_u32 v14, v14, 23, v21
	v_or3_b32 v10, v20, v14, v10
.LBB45_1324:
	s_or_b64 exec, exec, s[6:7]
	v_lshrrev_b32_e32 v14, 8, v11
	s_movk_i32 s4, 0x7f
	v_cmp_gt_i16_sdwa s[6:7], v14, s4 src0_sel:BYTE_0 src1_sel:DWORD
	s_mov_b64 s[4:5], 0
                                        ; implicit-def: $sgpr10
	s_and_saveexec_b64 s[8:9], s[6:7]
	s_xor_b64 s[6:7], exec, s[8:9]
	s_cbranch_execnz .LBB45_3373
; %bb.1325:
	s_or_saveexec_b64 s[6:7], s[6:7]
	v_mov_b32_e32 v20, s10
	s_xor_b64 exec, exec, s[6:7]
	s_cbranch_execnz .LBB45_3376
.LBB45_1326:
	s_or_b64 exec, exec, s[6:7]
	s_and_saveexec_b64 s[6:7], s[4:5]
	s_cbranch_execz .LBB45_1328
.LBB45_1327:
	v_bfe_u32 v20, v11, 8, 3
	v_ffbh_u32_e32 v22, v20
	v_min_u32_e32 v22, 32, v22
	v_lshrrev_b16_e32 v21, 3, v14
	v_subrev_u32_e32 v23, 28, v22
	v_and_b32_e32 v21, 15, v21
	v_lshlrev_b32_e32 v14, v23, v14
	v_sub_u32_e32 v22, 29, v22
	v_and_b32_e32 v14, 7, v14
	v_cmp_eq_u16_e32 vcc, 0, v21
	v_cndmask_b32_e32 v14, v20, v14, vcc
	v_cndmask_b32_e32 v20, v21, v22, vcc
	v_lshlrev_b32_e32 v21, 16, v11
	v_mov_b32_e32 v22, 0x3b800000
	v_lshlrev_b32_e32 v14, 20, v14
	v_and_b32_e32 v21, 0x80000000, v21
	v_lshl_add_u32 v20, v20, 23, v22
	v_or3_b32 v20, v21, v20, v14
.LBB45_1328:
	s_or_b64 exec, exec, s[6:7]
	s_nop 0
	v_mfma_f32_16x16x4f32 a[0:3], v10, v20, a[0:3]
	s_movk_i32 s4, 0xff
	v_and_b32_sdwa v14, v15, s4 dst_sel:DWORD dst_unused:UNUSED_PAD src0_sel:WORD_1 src1_sel:DWORD
	s_movk_i32 s4, 0x7f
	v_cmp_lt_i16_e32 vcc, s4, v14
	s_mov_b64 s[4:5], 0
                                        ; implicit-def: $sgpr10
	s_and_saveexec_b64 s[6:7], vcc
	s_xor_b64 s[6:7], exec, s[6:7]
	s_cbranch_execnz .LBB45_3377
; %bb.1329:
	s_or_saveexec_b64 s[6:7], s[6:7]
	v_mov_b32_e32 v10, s10
	s_xor_b64 exec, exec, s[6:7]
	s_cbranch_execnz .LBB45_3380
.LBB45_1330:
	s_or_b64 exec, exec, s[6:7]
	s_and_saveexec_b64 s[6:7], s[4:5]
	s_cbranch_execz .LBB45_1332
.LBB45_1331:
	v_bfe_u32 v10, v15, 16, 3
	v_ffbh_u32_e32 v21, v10
	v_min_u32_e32 v21, 32, v21
	v_lshrrev_b32_e32 v14, 19, v15
	v_subrev_u32_e32 v22, 28, v21
	v_and_b32_e32 v14, 15, v14
	v_lshlrev_b32_sdwa v22, v22, v15 dst_sel:DWORD dst_unused:UNUSED_PAD src0_sel:DWORD src1_sel:WORD_1
	v_bfe_u32 v20, v15, 19, 4
	v_sub_u32_e32 v21, 29, v21
	v_and_b32_e32 v22, 7, v22
	v_cmp_eq_u16_e32 vcc, 0, v14
	v_cndmask_b32_e32 v10, v10, v22, vcc
	v_cndmask_b32_e32 v14, v20, v21, vcc
	v_lshlrev_b32_e32 v20, 8, v15
	v_mov_b32_e32 v21, 0x3b800000
	v_lshlrev_b32_e32 v10, 20, v10
	v_and_b32_e32 v20, 0x80000000, v20
	v_lshl_add_u32 v14, v14, 23, v21
	v_or3_b32 v10, v20, v14, v10
.LBB45_1332:
	s_or_b64 exec, exec, s[6:7]
	s_movk_i32 s4, 0xff
	v_and_b32_sdwa v14, v11, s4 dst_sel:DWORD dst_unused:UNUSED_PAD src0_sel:WORD_1 src1_sel:DWORD
	s_movk_i32 s4, 0x7f
	v_cmp_lt_i16_e32 vcc, s4, v14
	s_mov_b64 s[4:5], 0
                                        ; implicit-def: $sgpr10
	s_and_saveexec_b64 s[6:7], vcc
	s_xor_b64 s[6:7], exec, s[6:7]
	s_cbranch_execnz .LBB45_3381
; %bb.1333:
	s_or_saveexec_b64 s[6:7], s[6:7]
	v_mov_b32_e32 v20, s10
	s_xor_b64 exec, exec, s[6:7]
	s_cbranch_execnz .LBB45_3384
.LBB45_1334:
	s_or_b64 exec, exec, s[6:7]
	s_and_saveexec_b64 s[6:7], s[4:5]
	s_cbranch_execz .LBB45_1336
.LBB45_1335:
	v_bfe_u32 v14, v11, 16, 3
	v_ffbh_u32_e32 v22, v14
	v_min_u32_e32 v22, 32, v22
	v_lshrrev_b32_e32 v20, 19, v11
	v_subrev_u32_e32 v23, 28, v22
	v_and_b32_e32 v20, 15, v20
	v_lshlrev_b32_sdwa v23, v23, v11 dst_sel:DWORD dst_unused:UNUSED_PAD src0_sel:DWORD src1_sel:WORD_1
	v_bfe_u32 v21, v11, 19, 4
	v_sub_u32_e32 v22, 29, v22
	v_and_b32_e32 v23, 7, v23
	v_cmp_eq_u16_e32 vcc, 0, v20
	v_cndmask_b32_e32 v14, v14, v23, vcc
	v_cndmask_b32_e32 v20, v21, v22, vcc
	v_lshlrev_b32_e32 v21, 8, v11
	v_mov_b32_e32 v22, 0x3b800000
	v_lshlrev_b32_e32 v14, 20, v14
	v_and_b32_e32 v21, 0x80000000, v21
	v_lshl_add_u32 v20, v20, 23, v22
	v_or3_b32 v20, v21, v20, v14
.LBB45_1336:
	s_or_b64 exec, exec, s[6:7]
	s_nop 0
	v_mfma_f32_16x16x4f32 a[0:3], v10, v20, a[0:3]
	s_movk_i32 s4, 0x7f
	v_cmp_gt_i16_sdwa s[6:7], v15, s4 src0_sel:BYTE_3 src1_sel:DWORD
	s_mov_b64 s[4:5], 0
                                        ; implicit-def: $sgpr10
	s_and_saveexec_b64 s[8:9], s[6:7]
	s_xor_b64 s[6:7], exec, s[8:9]
	s_cbranch_execnz .LBB45_3385
; %bb.1337:
	s_or_saveexec_b64 s[6:7], s[6:7]
	v_mov_b32_e32 v10, s10
	s_xor_b64 exec, exec, s[6:7]
	s_cbranch_execnz .LBB45_3388
.LBB45_1338:
	s_or_b64 exec, exec, s[6:7]
	s_and_saveexec_b64 s[6:7], s[4:5]
	s_cbranch_execz .LBB45_1340
.LBB45_1339:
	v_bfe_u32 v10, v15, 24, 3
	v_ffbh_u32_e32 v22, v10
	v_min_u32_e32 v22, 32, v22
	v_lshrrev_b32_e32 v20, 27, v15
	v_subrev_u32_e32 v23, 28, v22
	v_and_b32_e32 v14, 0x80000000, v15
	v_and_b32_e32 v20, 15, v20
	v_bfe_u32 v21, v15, 27, 4
	v_lshlrev_b32_sdwa v15, v23, v15 dst_sel:DWORD dst_unused:UNUSED_PAD src0_sel:DWORD src1_sel:BYTE_3
	v_sub_u32_e32 v22, 29, v22
	v_and_b32_e32 v15, 7, v15
	v_cmp_eq_u16_e32 vcc, 0, v20
	v_cndmask_b32_e32 v10, v10, v15, vcc
	v_cndmask_b32_e32 v15, v21, v22, vcc
	v_mov_b32_e32 v20, 0x3b800000
	v_lshlrev_b32_e32 v10, 20, v10
	v_lshl_add_u32 v15, v15, 23, v20
	v_or3_b32 v10, v14, v15, v10
.LBB45_1340:
	s_or_b64 exec, exec, s[6:7]
	s_movk_i32 s4, 0x7f
	v_cmp_gt_i16_sdwa s[6:7], v11, s4 src0_sel:BYTE_3 src1_sel:DWORD
	s_mov_b64 s[4:5], 0
                                        ; implicit-def: $sgpr10
	s_and_saveexec_b64 s[8:9], s[6:7]
	s_xor_b64 s[6:7], exec, s[8:9]
	s_cbranch_execnz .LBB45_3389
; %bb.1341:
	s_or_saveexec_b64 s[6:7], s[6:7]
	v_mov_b32_e32 v14, s10
	s_xor_b64 exec, exec, s[6:7]
	s_cbranch_execnz .LBB45_3392
.LBB45_1342:
	s_or_b64 exec, exec, s[6:7]
	s_and_saveexec_b64 s[6:7], s[4:5]
	s_cbranch_execz .LBB45_1344
.LBB45_1343:
	v_bfe_u32 v14, v11, 24, 3
	v_ffbh_u32_e32 v22, v14
	v_min_u32_e32 v22, 32, v22
	v_lshrrev_b32_e32 v20, 27, v11
	v_subrev_u32_e32 v23, 28, v22
	v_and_b32_e32 v15, 0x80000000, v11
	v_and_b32_e32 v20, 15, v20
	v_bfe_u32 v21, v11, 27, 4
	v_lshlrev_b32_sdwa v11, v23, v11 dst_sel:DWORD dst_unused:UNUSED_PAD src0_sel:DWORD src1_sel:BYTE_3
	v_sub_u32_e32 v22, 29, v22
	v_and_b32_e32 v11, 7, v11
	v_cmp_eq_u16_e32 vcc, 0, v20
	v_cndmask_b32_e32 v11, v14, v11, vcc
	v_cndmask_b32_e32 v14, v21, v22, vcc
	v_mov_b32_e32 v20, 0x3b800000
	v_lshlrev_b32_e32 v11, 20, v11
	v_lshl_add_u32 v14, v14, 23, v20
	v_or3_b32 v14, v15, v14, v11
.LBB45_1344:
	s_or_b64 exec, exec, s[6:7]
	s_nop 0
	v_mfma_f32_16x16x4f32 a[0:3], v10, v14, a[0:3]
	s_movk_i32 s4, 0x7f
	v_cmp_gt_i16_sdwa s[6:7], v16, s4 src0_sel:BYTE_0 src1_sel:DWORD
	s_mov_b64 s[4:5], 0
                                        ; implicit-def: $sgpr10
	s_and_saveexec_b64 s[8:9], s[6:7]
	s_xor_b64 s[6:7], exec, s[8:9]
	s_cbranch_execnz .LBB45_3393
; %bb.1345:
	s_or_saveexec_b64 s[6:7], s[6:7]
	v_mov_b32_e32 v10, s10
	s_xor_b64 exec, exec, s[6:7]
	s_cbranch_execnz .LBB45_3396
.LBB45_1346:
	s_or_b64 exec, exec, s[6:7]
	s_and_saveexec_b64 s[6:7], s[4:5]
	s_cbranch_execz .LBB45_1348
.LBB45_1347:
	v_and_b32_e32 v10, 7, v16
	v_ffbh_u32_e32 v14, v10
	v_min_u32_e32 v14, 32, v14
	v_lshrrev_b16_e32 v11, 3, v16
	v_subrev_u32_e32 v15, 28, v14
	v_and_b32_e32 v11, 15, v11
	v_lshlrev_b32_e32 v15, v15, v16
	v_sub_u32_e32 v14, 29, v14
	v_and_b32_e32 v15, 7, v15
	v_cmp_eq_u16_e32 vcc, 0, v11
	v_cndmask_b32_e32 v10, v10, v15, vcc
	v_cndmask_b32_e32 v11, v11, v14, vcc
	v_lshlrev_b32_e32 v14, 24, v16
	v_mov_b32_e32 v15, 0x3b800000
	v_lshlrev_b32_e32 v10, 20, v10
	v_and_b32_e32 v14, 0x80000000, v14
	v_lshl_add_u32 v11, v11, 23, v15
	v_or3_b32 v10, v14, v11, v10
.LBB45_1348:
	s_or_b64 exec, exec, s[6:7]
	s_movk_i32 s4, 0x7f
	v_cmp_gt_i16_sdwa s[6:7], v12, s4 src0_sel:BYTE_0 src1_sel:DWORD
	s_mov_b64 s[4:5], 0
                                        ; implicit-def: $sgpr10
	s_and_saveexec_b64 s[8:9], s[6:7]
	s_xor_b64 s[6:7], exec, s[8:9]
	s_cbranch_execnz .LBB45_3397
; %bb.1349:
	s_or_saveexec_b64 s[6:7], s[6:7]
	v_mov_b32_e32 v11, s10
	s_xor_b64 exec, exec, s[6:7]
	s_cbranch_execnz .LBB45_3400
.LBB45_1350:
	s_or_b64 exec, exec, s[6:7]
	s_and_saveexec_b64 s[6:7], s[4:5]
	s_cbranch_execz .LBB45_1352
.LBB45_1351:
	v_and_b32_e32 v11, 7, v12
	v_ffbh_u32_e32 v15, v11
	v_min_u32_e32 v15, 32, v15
	v_lshrrev_b16_e32 v14, 3, v12
	v_subrev_u32_e32 v20, 28, v15
	v_and_b32_e32 v14, 15, v14
	v_lshlrev_b32_e32 v20, v20, v12
	v_sub_u32_e32 v15, 29, v15
	v_and_b32_e32 v20, 7, v20
	v_cmp_eq_u16_e32 vcc, 0, v14
	v_cndmask_b32_e32 v11, v11, v20, vcc
	v_cndmask_b32_e32 v14, v14, v15, vcc
	v_lshlrev_b32_e32 v15, 24, v12
	v_mov_b32_e32 v20, 0x3b800000
	v_lshlrev_b32_e32 v11, 20, v11
	v_and_b32_e32 v15, 0x80000000, v15
	v_lshl_add_u32 v14, v14, 23, v20
	v_or3_b32 v11, v15, v14, v11
.LBB45_1352:
	s_or_b64 exec, exec, s[6:7]
	s_nop 0
	v_mfma_f32_16x16x4f32 a[0:3], v10, v11, a[0:3]
	v_lshrrev_b32_e32 v11, 8, v16
	s_movk_i32 s4, 0x7f
	v_cmp_gt_i16_sdwa s[6:7], v11, s4 src0_sel:BYTE_0 src1_sel:DWORD
	s_mov_b64 s[4:5], 0
                                        ; implicit-def: $sgpr10
	s_and_saveexec_b64 s[8:9], s[6:7]
	s_xor_b64 s[6:7], exec, s[8:9]
	s_cbranch_execnz .LBB45_3401
; %bb.1353:
	s_or_saveexec_b64 s[6:7], s[6:7]
	v_mov_b32_e32 v10, s10
	s_xor_b64 exec, exec, s[6:7]
	s_cbranch_execnz .LBB45_3404
.LBB45_1354:
	s_or_b64 exec, exec, s[6:7]
	s_and_saveexec_b64 s[6:7], s[4:5]
	s_cbranch_execz .LBB45_1356
.LBB45_1355:
	v_bfe_u32 v10, v16, 8, 3
	v_ffbh_u32_e32 v15, v10
	v_min_u32_e32 v15, 32, v15
	v_lshrrev_b16_e32 v14, 3, v11
	v_subrev_u32_e32 v20, 28, v15
	v_and_b32_e32 v14, 15, v14
	v_lshlrev_b32_e32 v11, v20, v11
	v_sub_u32_e32 v15, 29, v15
	v_and_b32_e32 v11, 7, v11
	v_cmp_eq_u16_e32 vcc, 0, v14
	v_cndmask_b32_e32 v10, v10, v11, vcc
	v_cndmask_b32_e32 v11, v14, v15, vcc
	v_lshlrev_b32_e32 v14, 16, v16
	v_mov_b32_e32 v15, 0x3b800000
	v_lshlrev_b32_e32 v10, 20, v10
	v_and_b32_e32 v14, 0x80000000, v14
	v_lshl_add_u32 v11, v11, 23, v15
	v_or3_b32 v10, v14, v11, v10
.LBB45_1356:
	s_or_b64 exec, exec, s[6:7]
	v_lshrrev_b32_e32 v11, 8, v12
	s_movk_i32 s4, 0x7f
	v_cmp_gt_i16_sdwa s[6:7], v11, s4 src0_sel:BYTE_0 src1_sel:DWORD
	s_mov_b64 s[4:5], 0
                                        ; implicit-def: $sgpr10
	s_and_saveexec_b64 s[8:9], s[6:7]
	s_xor_b64 s[6:7], exec, s[8:9]
	s_cbranch_execnz .LBB45_3405
; %bb.1357:
	s_or_saveexec_b64 s[6:7], s[6:7]
	v_mov_b32_e32 v14, s10
	s_xor_b64 exec, exec, s[6:7]
	s_cbranch_execnz .LBB45_3408
.LBB45_1358:
	s_or_b64 exec, exec, s[6:7]
	s_and_saveexec_b64 s[6:7], s[4:5]
	s_cbranch_execz .LBB45_1360
.LBB45_1359:
	v_bfe_u32 v14, v12, 8, 3
	v_ffbh_u32_e32 v20, v14
	v_min_u32_e32 v20, 32, v20
	v_lshrrev_b16_e32 v15, 3, v11
	v_subrev_u32_e32 v21, 28, v20
	v_and_b32_e32 v15, 15, v15
	v_lshlrev_b32_e32 v11, v21, v11
	v_sub_u32_e32 v20, 29, v20
	v_and_b32_e32 v11, 7, v11
	v_cmp_eq_u16_e32 vcc, 0, v15
	v_cndmask_b32_e32 v11, v14, v11, vcc
	v_cndmask_b32_e32 v14, v15, v20, vcc
	v_lshlrev_b32_e32 v15, 16, v12
	v_mov_b32_e32 v20, 0x3b800000
	v_lshlrev_b32_e32 v11, 20, v11
	v_and_b32_e32 v15, 0x80000000, v15
	v_lshl_add_u32 v14, v14, 23, v20
	v_or3_b32 v14, v15, v14, v11
.LBB45_1360:
	s_or_b64 exec, exec, s[6:7]
	s_nop 0
	v_mfma_f32_16x16x4f32 a[0:3], v10, v14, a[0:3]
	s_movk_i32 s4, 0xff
	v_and_b32_sdwa v11, v16, s4 dst_sel:DWORD dst_unused:UNUSED_PAD src0_sel:WORD_1 src1_sel:DWORD
	s_movk_i32 s4, 0x7f
	v_cmp_lt_i16_e32 vcc, s4, v11
	s_mov_b64 s[4:5], 0
                                        ; implicit-def: $sgpr10
	s_and_saveexec_b64 s[6:7], vcc
	s_xor_b64 s[6:7], exec, s[6:7]
	s_cbranch_execnz .LBB45_3409
; %bb.1361:
	s_or_saveexec_b64 s[6:7], s[6:7]
	v_mov_b32_e32 v10, s10
	s_xor_b64 exec, exec, s[6:7]
	s_cbranch_execnz .LBB45_3412
.LBB45_1362:
	s_or_b64 exec, exec, s[6:7]
	s_and_saveexec_b64 s[6:7], s[4:5]
	s_cbranch_execz .LBB45_1364
.LBB45_1363:
	v_bfe_u32 v10, v16, 16, 3
	v_ffbh_u32_e32 v15, v10
	v_min_u32_e32 v15, 32, v15
	v_lshrrev_b32_e32 v11, 19, v16
	v_subrev_u32_e32 v20, 28, v15
	v_and_b32_e32 v11, 15, v11
	v_lshlrev_b32_sdwa v20, v20, v16 dst_sel:DWORD dst_unused:UNUSED_PAD src0_sel:DWORD src1_sel:WORD_1
	v_bfe_u32 v14, v16, 19, 4
	v_sub_u32_e32 v15, 29, v15
	v_and_b32_e32 v20, 7, v20
	v_cmp_eq_u16_e32 vcc, 0, v11
	v_cndmask_b32_e32 v10, v10, v20, vcc
	v_cndmask_b32_e32 v11, v14, v15, vcc
	v_lshlrev_b32_e32 v14, 8, v16
	v_mov_b32_e32 v15, 0x3b800000
	v_lshlrev_b32_e32 v10, 20, v10
	v_and_b32_e32 v14, 0x80000000, v14
	v_lshl_add_u32 v11, v11, 23, v15
	v_or3_b32 v10, v14, v11, v10
.LBB45_1364:
	s_or_b64 exec, exec, s[6:7]
	s_movk_i32 s4, 0xff
	v_and_b32_sdwa v11, v12, s4 dst_sel:DWORD dst_unused:UNUSED_PAD src0_sel:WORD_1 src1_sel:DWORD
	s_movk_i32 s4, 0x7f
	v_cmp_lt_i16_e32 vcc, s4, v11
	s_mov_b64 s[4:5], 0
                                        ; implicit-def: $sgpr10
	s_and_saveexec_b64 s[6:7], vcc
	s_xor_b64 s[6:7], exec, s[6:7]
	s_cbranch_execnz .LBB45_3413
; %bb.1365:
	s_or_saveexec_b64 s[6:7], s[6:7]
	v_mov_b32_e32 v14, s10
	s_xor_b64 exec, exec, s[6:7]
	s_cbranch_execnz .LBB45_3416
.LBB45_1366:
	s_or_b64 exec, exec, s[6:7]
	s_and_saveexec_b64 s[6:7], s[4:5]
	s_cbranch_execz .LBB45_1368
.LBB45_1367:
	v_bfe_u32 v11, v12, 16, 3
	v_ffbh_u32_e32 v20, v11
	v_min_u32_e32 v20, 32, v20
	v_lshrrev_b32_e32 v14, 19, v12
	v_subrev_u32_e32 v21, 28, v20
	v_and_b32_e32 v14, 15, v14
	v_lshlrev_b32_sdwa v21, v21, v12 dst_sel:DWORD dst_unused:UNUSED_PAD src0_sel:DWORD src1_sel:WORD_1
	v_bfe_u32 v15, v12, 19, 4
	v_sub_u32_e32 v20, 29, v20
	v_and_b32_e32 v21, 7, v21
	v_cmp_eq_u16_e32 vcc, 0, v14
	v_cndmask_b32_e32 v11, v11, v21, vcc
	v_cndmask_b32_e32 v14, v15, v20, vcc
	v_lshlrev_b32_e32 v15, 8, v12
	v_mov_b32_e32 v20, 0x3b800000
	v_lshlrev_b32_e32 v11, 20, v11
	v_and_b32_e32 v15, 0x80000000, v15
	v_lshl_add_u32 v14, v14, 23, v20
	v_or3_b32 v14, v15, v14, v11
.LBB45_1368:
	s_or_b64 exec, exec, s[6:7]
	s_nop 0
	v_mfma_f32_16x16x4f32 a[0:3], v10, v14, a[0:3]
	s_movk_i32 s4, 0x7f
	v_cmp_gt_i16_sdwa s[6:7], v16, s4 src0_sel:BYTE_3 src1_sel:DWORD
	s_mov_b64 s[4:5], 0
                                        ; implicit-def: $sgpr10
	s_and_saveexec_b64 s[8:9], s[6:7]
	s_xor_b64 s[6:7], exec, s[8:9]
	s_cbranch_execnz .LBB45_3417
; %bb.1369:
	s_or_saveexec_b64 s[6:7], s[6:7]
	v_mov_b32_e32 v10, s10
	s_xor_b64 exec, exec, s[6:7]
	s_cbranch_execnz .LBB45_3420
.LBB45_1370:
	s_or_b64 exec, exec, s[6:7]
	s_and_saveexec_b64 s[6:7], s[4:5]
	s_cbranch_execz .LBB45_1372
.LBB45_1371:
	v_bfe_u32 v10, v16, 24, 3
	v_ffbh_u32_e32 v20, v10
	v_min_u32_e32 v20, 32, v20
	v_lshrrev_b32_e32 v14, 27, v16
	v_subrev_u32_e32 v21, 28, v20
	v_and_b32_e32 v11, 0x80000000, v16
	v_and_b32_e32 v14, 15, v14
	v_bfe_u32 v15, v16, 27, 4
	v_lshlrev_b32_sdwa v16, v21, v16 dst_sel:DWORD dst_unused:UNUSED_PAD src0_sel:DWORD src1_sel:BYTE_3
	v_sub_u32_e32 v20, 29, v20
	v_and_b32_e32 v16, 7, v16
	v_cmp_eq_u16_e32 vcc, 0, v14
	v_cndmask_b32_e32 v10, v10, v16, vcc
	v_cndmask_b32_e32 v14, v15, v20, vcc
	v_mov_b32_e32 v15, 0x3b800000
	v_lshlrev_b32_e32 v10, 20, v10
	v_lshl_add_u32 v14, v14, 23, v15
	v_or3_b32 v10, v11, v14, v10
.LBB45_1372:
	s_or_b64 exec, exec, s[6:7]
	s_movk_i32 s4, 0x7f
	v_cmp_gt_i16_sdwa s[6:7], v12, s4 src0_sel:BYTE_3 src1_sel:DWORD
	s_mov_b64 s[4:5], 0
                                        ; implicit-def: $sgpr10
	s_and_saveexec_b64 s[8:9], s[6:7]
	s_xor_b64 s[6:7], exec, s[8:9]
	s_cbranch_execnz .LBB45_3421
; %bb.1373:
	s_or_saveexec_b64 s[6:7], s[6:7]
	v_mov_b32_e32 v11, s10
	s_xor_b64 exec, exec, s[6:7]
	s_cbranch_execnz .LBB45_3424
.LBB45_1374:
	s_or_b64 exec, exec, s[6:7]
	s_and_saveexec_b64 s[6:7], s[4:5]
	s_cbranch_execz .LBB45_1376
.LBB45_1375:
	v_bfe_u32 v11, v12, 24, 3
	v_ffbh_u32_e32 v20, v11
	v_min_u32_e32 v20, 32, v20
	v_lshrrev_b32_e32 v15, 27, v12
	v_subrev_u32_e32 v21, 28, v20
	v_and_b32_e32 v14, 0x80000000, v12
	v_and_b32_e32 v15, 15, v15
	v_bfe_u32 v16, v12, 27, 4
	v_lshlrev_b32_sdwa v12, v21, v12 dst_sel:DWORD dst_unused:UNUSED_PAD src0_sel:DWORD src1_sel:BYTE_3
	v_sub_u32_e32 v20, 29, v20
	v_and_b32_e32 v12, 7, v12
	v_cmp_eq_u16_e32 vcc, 0, v15
	v_cndmask_b32_e32 v11, v11, v12, vcc
	v_cndmask_b32_e32 v12, v16, v20, vcc
	v_mov_b32_e32 v15, 0x3b800000
	v_lshlrev_b32_e32 v11, 20, v11
	v_lshl_add_u32 v12, v12, 23, v15
	v_or3_b32 v11, v14, v12, v11
.LBB45_1376:
	s_or_b64 exec, exec, s[6:7]
	s_nop 0
	v_mfma_f32_16x16x4f32 a[0:3], v10, v11, a[0:3]
	s_movk_i32 s4, 0x7f
	v_cmp_gt_i16_sdwa s[6:7], v17, s4 src0_sel:BYTE_0 src1_sel:DWORD
	s_mov_b64 s[4:5], 0
                                        ; implicit-def: $sgpr10
	s_and_saveexec_b64 s[8:9], s[6:7]
	s_xor_b64 s[6:7], exec, s[8:9]
	s_cbranch_execnz .LBB45_3425
; %bb.1377:
	s_or_saveexec_b64 s[6:7], s[6:7]
	v_mov_b32_e32 v10, s10
	s_xor_b64 exec, exec, s[6:7]
	s_cbranch_execnz .LBB45_3428
.LBB45_1378:
	s_or_b64 exec, exec, s[6:7]
	s_and_saveexec_b64 s[6:7], s[4:5]
	s_cbranch_execz .LBB45_1380
.LBB45_1379:
	v_and_b32_e32 v10, 7, v17
	v_ffbh_u32_e32 v12, v10
	v_min_u32_e32 v12, 32, v12
	v_lshrrev_b16_e32 v11, 3, v17
	v_subrev_u32_e32 v14, 28, v12
	v_and_b32_e32 v11, 15, v11
	v_lshlrev_b32_e32 v14, v14, v17
	v_sub_u32_e32 v12, 29, v12
	v_and_b32_e32 v14, 7, v14
	v_cmp_eq_u16_e32 vcc, 0, v11
	v_cndmask_b32_e32 v10, v10, v14, vcc
	v_cndmask_b32_e32 v11, v11, v12, vcc
	v_lshlrev_b32_e32 v12, 24, v17
	v_mov_b32_e32 v14, 0x3b800000
	v_lshlrev_b32_e32 v10, 20, v10
	v_and_b32_e32 v12, 0x80000000, v12
	v_lshl_add_u32 v11, v11, 23, v14
	v_or3_b32 v10, v12, v11, v10
.LBB45_1380:
	s_or_b64 exec, exec, s[6:7]
	s_movk_i32 s4, 0x7f
	v_cmp_gt_i16_sdwa s[6:7], v13, s4 src0_sel:BYTE_0 src1_sel:DWORD
	s_mov_b64 s[4:5], 0
                                        ; implicit-def: $sgpr10
	s_and_saveexec_b64 s[8:9], s[6:7]
	s_xor_b64 s[6:7], exec, s[8:9]
	s_cbranch_execnz .LBB45_3429
; %bb.1381:
	s_or_saveexec_b64 s[6:7], s[6:7]
	v_mov_b32_e32 v11, s10
	s_xor_b64 exec, exec, s[6:7]
	s_cbranch_execnz .LBB45_3432
.LBB45_1382:
	s_or_b64 exec, exec, s[6:7]
	s_and_saveexec_b64 s[6:7], s[4:5]
	s_cbranch_execz .LBB45_1384
.LBB45_1383:
	v_and_b32_e32 v11, 7, v13
	v_ffbh_u32_e32 v14, v11
	v_min_u32_e32 v14, 32, v14
	v_lshrrev_b16_e32 v12, 3, v13
	v_subrev_u32_e32 v15, 28, v14
	v_and_b32_e32 v12, 15, v12
	v_lshlrev_b32_e32 v15, v15, v13
	v_sub_u32_e32 v14, 29, v14
	v_and_b32_e32 v15, 7, v15
	v_cmp_eq_u16_e32 vcc, 0, v12
	v_cndmask_b32_e32 v11, v11, v15, vcc
	v_cndmask_b32_e32 v12, v12, v14, vcc
	v_lshlrev_b32_e32 v14, 24, v13
	v_mov_b32_e32 v15, 0x3b800000
	v_lshlrev_b32_e32 v11, 20, v11
	v_and_b32_e32 v14, 0x80000000, v14
	v_lshl_add_u32 v12, v12, 23, v15
	v_or3_b32 v11, v14, v12, v11
.LBB45_1384:
	s_or_b64 exec, exec, s[6:7]
	s_nop 0
	v_mfma_f32_16x16x4f32 a[0:3], v10, v11, a[0:3]
	v_lshrrev_b32_e32 v11, 8, v17
	s_movk_i32 s4, 0x7f
	v_cmp_gt_i16_sdwa s[6:7], v11, s4 src0_sel:BYTE_0 src1_sel:DWORD
	s_mov_b64 s[4:5], 0
                                        ; implicit-def: $sgpr10
	s_and_saveexec_b64 s[8:9], s[6:7]
	s_xor_b64 s[6:7], exec, s[8:9]
	s_cbranch_execnz .LBB45_3433
; %bb.1385:
	s_or_saveexec_b64 s[6:7], s[6:7]
	v_mov_b32_e32 v10, s10
	s_xor_b64 exec, exec, s[6:7]
	s_cbranch_execnz .LBB45_3436
.LBB45_1386:
	s_or_b64 exec, exec, s[6:7]
	s_and_saveexec_b64 s[6:7], s[4:5]
	s_cbranch_execz .LBB45_1388
.LBB45_1387:
	v_bfe_u32 v10, v17, 8, 3
	v_ffbh_u32_e32 v14, v10
	v_min_u32_e32 v14, 32, v14
	v_lshrrev_b16_e32 v12, 3, v11
	v_subrev_u32_e32 v15, 28, v14
	v_and_b32_e32 v12, 15, v12
	v_lshlrev_b32_e32 v11, v15, v11
	v_sub_u32_e32 v14, 29, v14
	v_and_b32_e32 v11, 7, v11
	v_cmp_eq_u16_e32 vcc, 0, v12
	v_cndmask_b32_e32 v10, v10, v11, vcc
	v_cndmask_b32_e32 v11, v12, v14, vcc
	v_lshlrev_b32_e32 v12, 16, v17
	v_mov_b32_e32 v14, 0x3b800000
	v_lshlrev_b32_e32 v10, 20, v10
	v_and_b32_e32 v12, 0x80000000, v12
	v_lshl_add_u32 v11, v11, 23, v14
	v_or3_b32 v10, v12, v11, v10
.LBB45_1388:
	s_or_b64 exec, exec, s[6:7]
	v_lshrrev_b32_e32 v11, 8, v13
	s_movk_i32 s4, 0x7f
	v_cmp_gt_i16_sdwa s[6:7], v11, s4 src0_sel:BYTE_0 src1_sel:DWORD
	s_mov_b64 s[4:5], 0
                                        ; implicit-def: $sgpr10
	s_and_saveexec_b64 s[8:9], s[6:7]
	s_xor_b64 s[6:7], exec, s[8:9]
	s_cbranch_execnz .LBB45_3437
; %bb.1389:
	s_or_saveexec_b64 s[6:7], s[6:7]
	v_mov_b32_e32 v12, s10
	s_xor_b64 exec, exec, s[6:7]
	s_cbranch_execnz .LBB45_3440
.LBB45_1390:
	s_or_b64 exec, exec, s[6:7]
	s_and_saveexec_b64 s[6:7], s[4:5]
	s_cbranch_execz .LBB45_1392
.LBB45_1391:
	v_bfe_u32 v12, v13, 8, 3
	v_ffbh_u32_e32 v15, v12
	v_min_u32_e32 v15, 32, v15
	v_lshrrev_b16_e32 v14, 3, v11
	v_subrev_u32_e32 v16, 28, v15
	v_and_b32_e32 v14, 15, v14
	v_lshlrev_b32_e32 v11, v16, v11
	v_sub_u32_e32 v15, 29, v15
	v_and_b32_e32 v11, 7, v11
	v_cmp_eq_u16_e32 vcc, 0, v14
	v_cndmask_b32_e32 v11, v12, v11, vcc
	v_cndmask_b32_e32 v12, v14, v15, vcc
	v_lshlrev_b32_e32 v14, 16, v13
	v_mov_b32_e32 v15, 0x3b800000
	v_lshlrev_b32_e32 v11, 20, v11
	v_and_b32_e32 v14, 0x80000000, v14
	v_lshl_add_u32 v12, v12, 23, v15
	v_or3_b32 v12, v14, v12, v11
.LBB45_1392:
	s_or_b64 exec, exec, s[6:7]
	s_nop 0
	v_mfma_f32_16x16x4f32 a[0:3], v10, v12, a[0:3]
	s_movk_i32 s4, 0xff
	v_and_b32_sdwa v11, v17, s4 dst_sel:DWORD dst_unused:UNUSED_PAD src0_sel:WORD_1 src1_sel:DWORD
	s_movk_i32 s4, 0x7f
	v_cmp_lt_i16_e32 vcc, s4, v11
	s_mov_b64 s[4:5], 0
                                        ; implicit-def: $sgpr10
	s_and_saveexec_b64 s[6:7], vcc
	s_xor_b64 s[6:7], exec, s[6:7]
	s_cbranch_execnz .LBB45_3441
; %bb.1393:
	s_or_saveexec_b64 s[6:7], s[6:7]
	v_mov_b32_e32 v10, s10
	s_xor_b64 exec, exec, s[6:7]
	s_cbranch_execnz .LBB45_3444
.LBB45_1394:
	s_or_b64 exec, exec, s[6:7]
	s_and_saveexec_b64 s[6:7], s[4:5]
	s_cbranch_execz .LBB45_1396
.LBB45_1395:
	v_bfe_u32 v10, v17, 16, 3
	v_ffbh_u32_e32 v14, v10
	v_min_u32_e32 v14, 32, v14
	v_lshrrev_b32_e32 v11, 19, v17
	v_subrev_u32_e32 v15, 28, v14
	v_and_b32_e32 v11, 15, v11
	v_lshlrev_b32_sdwa v15, v15, v17 dst_sel:DWORD dst_unused:UNUSED_PAD src0_sel:DWORD src1_sel:WORD_1
	v_bfe_u32 v12, v17, 19, 4
	v_sub_u32_e32 v14, 29, v14
	v_and_b32_e32 v15, 7, v15
	v_cmp_eq_u16_e32 vcc, 0, v11
	v_cndmask_b32_e32 v10, v10, v15, vcc
	v_cndmask_b32_e32 v11, v12, v14, vcc
	v_lshlrev_b32_e32 v12, 8, v17
	v_mov_b32_e32 v14, 0x3b800000
	v_lshlrev_b32_e32 v10, 20, v10
	v_and_b32_e32 v12, 0x80000000, v12
	v_lshl_add_u32 v11, v11, 23, v14
	v_or3_b32 v10, v12, v11, v10
.LBB45_1396:
	s_or_b64 exec, exec, s[6:7]
	s_movk_i32 s4, 0xff
	v_and_b32_sdwa v11, v13, s4 dst_sel:DWORD dst_unused:UNUSED_PAD src0_sel:WORD_1 src1_sel:DWORD
	s_movk_i32 s4, 0x7f
	v_cmp_lt_i16_e32 vcc, s4, v11
	s_mov_b64 s[4:5], 0
                                        ; implicit-def: $sgpr10
	s_and_saveexec_b64 s[6:7], vcc
	s_xor_b64 s[6:7], exec, s[6:7]
	s_cbranch_execnz .LBB45_3445
; %bb.1397:
	s_or_saveexec_b64 s[6:7], s[6:7]
	v_mov_b32_e32 v12, s10
	s_xor_b64 exec, exec, s[6:7]
	s_cbranch_execnz .LBB45_3448
.LBB45_1398:
	s_or_b64 exec, exec, s[6:7]
	s_and_saveexec_b64 s[6:7], s[4:5]
	s_cbranch_execz .LBB45_1400
.LBB45_1399:
	v_bfe_u32 v11, v13, 16, 3
	v_ffbh_u32_e32 v15, v11
	v_min_u32_e32 v15, 32, v15
	v_lshrrev_b32_e32 v12, 19, v13
	v_subrev_u32_e32 v16, 28, v15
	v_and_b32_e32 v12, 15, v12
	v_lshlrev_b32_sdwa v16, v16, v13 dst_sel:DWORD dst_unused:UNUSED_PAD src0_sel:DWORD src1_sel:WORD_1
	v_bfe_u32 v14, v13, 19, 4
	v_sub_u32_e32 v15, 29, v15
	v_and_b32_e32 v16, 7, v16
	v_cmp_eq_u16_e32 vcc, 0, v12
	v_cndmask_b32_e32 v11, v11, v16, vcc
	v_cndmask_b32_e32 v12, v14, v15, vcc
	v_lshlrev_b32_e32 v14, 8, v13
	v_mov_b32_e32 v15, 0x3b800000
	v_lshlrev_b32_e32 v11, 20, v11
	v_and_b32_e32 v14, 0x80000000, v14
	v_lshl_add_u32 v12, v12, 23, v15
	v_or3_b32 v12, v14, v12, v11
.LBB45_1400:
	s_or_b64 exec, exec, s[6:7]
	s_nop 0
	v_mfma_f32_16x16x4f32 a[0:3], v10, v12, a[0:3]
	s_movk_i32 s4, 0x7f
	v_cmp_gt_i16_sdwa s[6:7], v17, s4 src0_sel:BYTE_3 src1_sel:DWORD
	s_mov_b64 s[4:5], 0
                                        ; implicit-def: $sgpr10
	s_and_saveexec_b64 s[8:9], s[6:7]
	s_xor_b64 s[6:7], exec, s[8:9]
	s_cbranch_execnz .LBB45_3449
; %bb.1401:
	s_or_saveexec_b64 s[6:7], s[6:7]
	v_mov_b32_e32 v10, s10
	s_xor_b64 exec, exec, s[6:7]
	s_cbranch_execnz .LBB45_3452
.LBB45_1402:
	s_or_b64 exec, exec, s[6:7]
	s_and_saveexec_b64 s[6:7], s[4:5]
	s_cbranch_execz .LBB45_1404
.LBB45_1403:
	v_bfe_u32 v10, v17, 24, 3
	v_ffbh_u32_e32 v15, v10
	v_min_u32_e32 v15, 32, v15
	v_lshrrev_b32_e32 v12, 27, v17
	v_subrev_u32_e32 v16, 28, v15
	v_and_b32_e32 v12, 15, v12
	v_lshlrev_b32_sdwa v16, v16, v17 dst_sel:DWORD dst_unused:UNUSED_PAD src0_sel:DWORD src1_sel:BYTE_3
	v_bfe_u32 v14, v17, 27, 4
	v_sub_u32_e32 v15, 29, v15
	v_and_b32_e32 v16, 7, v16
	v_cmp_eq_u16_e32 vcc, 0, v12
	v_cndmask_b32_e32 v10, v10, v16, vcc
	v_cndmask_b32_e32 v12, v14, v15, vcc
	v_mov_b32_e32 v14, 0x3b800000
	v_and_b32_e32 v11, 0x80000000, v17
	v_lshlrev_b32_e32 v10, 20, v10
	v_lshl_add_u32 v12, v12, 23, v14
	v_or3_b32 v10, v11, v12, v10
.LBB45_1404:
	s_or_b64 exec, exec, s[6:7]
	s_movk_i32 s4, 0x7f
	v_cmp_gt_i16_sdwa s[6:7], v13, s4 src0_sel:BYTE_3 src1_sel:DWORD
	s_mov_b64 s[4:5], 0
                                        ; implicit-def: $sgpr10
	s_and_saveexec_b64 s[8:9], s[6:7]
	s_xor_b64 s[6:7], exec, s[8:9]
	s_cbranch_execnz .LBB45_3453
; %bb.1405:
	s_or_saveexec_b64 s[6:7], s[6:7]
	v_mov_b32_e32 v11, s10
	s_xor_b64 exec, exec, s[6:7]
	s_cbranch_execnz .LBB45_3456
.LBB45_1406:
	s_or_b64 exec, exec, s[6:7]
	s_and_saveexec_b64 s[6:7], s[4:5]
	s_cbranch_execz .LBB45_1408
.LBB45_1407:
	v_bfe_u32 v11, v13, 24, 3
	v_ffbh_u32_e32 v16, v11
	v_min_u32_e32 v16, 32, v16
	v_lshrrev_b32_e32 v14, 27, v13
	v_subrev_u32_e32 v17, 28, v16
	v_and_b32_e32 v12, 0x80000000, v13
	v_and_b32_e32 v14, 15, v14
	v_bfe_u32 v15, v13, 27, 4
	v_lshlrev_b32_sdwa v13, v17, v13 dst_sel:DWORD dst_unused:UNUSED_PAD src0_sel:DWORD src1_sel:BYTE_3
	v_sub_u32_e32 v16, 29, v16
	v_and_b32_e32 v13, 7, v13
	v_cmp_eq_u16_e32 vcc, 0, v14
	v_cndmask_b32_e32 v11, v11, v13, vcc
	v_cndmask_b32_e32 v13, v15, v16, vcc
	v_mov_b32_e32 v14, 0x3b800000
	v_lshlrev_b32_e32 v11, 20, v11
	v_lshl_add_u32 v13, v13, 23, v14
	v_or3_b32 v11, v12, v13, v11
.LBB45_1408:
	s_or_b64 exec, exec, s[6:7]
	s_nop 0
	v_mfma_f32_16x16x4f32 a[0:3], v10, v11, a[0:3]
	s_movk_i32 s4, 0x7f
	v_cmp_gt_i16_sdwa s[6:7], v6, s4 src0_sel:BYTE_0 src1_sel:DWORD
	s_mov_b64 s[4:5], 0
                                        ; implicit-def: $sgpr10
	s_and_saveexec_b64 s[8:9], s[6:7]
	s_xor_b64 s[6:7], exec, s[8:9]
	s_cbranch_execnz .LBB45_3457
; %bb.1409:
	s_or_saveexec_b64 s[6:7], s[6:7]
	v_mov_b32_e32 v10, s10
	s_xor_b64 exec, exec, s[6:7]
	s_cbranch_execnz .LBB45_3460
.LBB45_1410:
	s_or_b64 exec, exec, s[6:7]
	s_and_saveexec_b64 s[6:7], s[4:5]
	s_cbranch_execz .LBB45_1412
.LBB45_1411:
	v_and_b32_e32 v10, 7, v6
	v_ffbh_u32_e32 v12, v10
	v_min_u32_e32 v12, 32, v12
	v_lshrrev_b16_e32 v11, 3, v6
	v_subrev_u32_e32 v13, 28, v12
	v_and_b32_e32 v11, 15, v11
	v_lshlrev_b32_e32 v13, v13, v6
	v_sub_u32_e32 v12, 29, v12
	v_and_b32_e32 v13, 7, v13
	v_cmp_eq_u16_e32 vcc, 0, v11
	v_cndmask_b32_e32 v10, v10, v13, vcc
	v_cndmask_b32_e32 v11, v11, v12, vcc
	v_lshlrev_b32_e32 v12, 24, v6
	v_mov_b32_e32 v13, 0x3b800000
	v_lshlrev_b32_e32 v10, 20, v10
	v_and_b32_e32 v12, 0x80000000, v12
	v_lshl_add_u32 v11, v11, 23, v13
	v_or3_b32 v10, v12, v11, v10
.LBB45_1412:
	s_or_b64 exec, exec, s[6:7]
	s_movk_i32 s4, 0x7f
	v_cmp_gt_i16_sdwa s[6:7], v2, s4 src0_sel:BYTE_0 src1_sel:DWORD
	s_mov_b64 s[4:5], 0
                                        ; implicit-def: $sgpr10
	s_and_saveexec_b64 s[8:9], s[6:7]
	s_xor_b64 s[6:7], exec, s[8:9]
	s_cbranch_execnz .LBB45_3461
; %bb.1413:
	s_or_saveexec_b64 s[6:7], s[6:7]
	v_mov_b32_e32 v11, s10
	s_xor_b64 exec, exec, s[6:7]
	s_cbranch_execnz .LBB45_3464
.LBB45_1414:
	s_or_b64 exec, exec, s[6:7]
	s_and_saveexec_b64 s[6:7], s[4:5]
	s_cbranch_execz .LBB45_1416
.LBB45_1415:
	v_and_b32_e32 v11, 7, v2
	v_ffbh_u32_e32 v13, v11
	v_min_u32_e32 v13, 32, v13
	v_lshrrev_b16_e32 v12, 3, v2
	v_subrev_u32_e32 v14, 28, v13
	v_and_b32_e32 v12, 15, v12
	v_lshlrev_b32_e32 v14, v14, v2
	v_sub_u32_e32 v13, 29, v13
	v_and_b32_e32 v14, 7, v14
	v_cmp_eq_u16_e32 vcc, 0, v12
	v_cndmask_b32_e32 v11, v11, v14, vcc
	v_cndmask_b32_e32 v12, v12, v13, vcc
	v_lshlrev_b32_e32 v13, 24, v2
	v_mov_b32_e32 v14, 0x3b800000
	v_lshlrev_b32_e32 v11, 20, v11
	v_and_b32_e32 v13, 0x80000000, v13
	v_lshl_add_u32 v12, v12, 23, v14
	v_or3_b32 v11, v13, v12, v11
.LBB45_1416:
	s_or_b64 exec, exec, s[6:7]
	s_nop 0
	v_mfma_f32_16x16x4f32 a[0:3], v10, v11, a[0:3]
	v_lshrrev_b32_e32 v11, 8, v6
	s_movk_i32 s4, 0x7f
	v_cmp_gt_i16_sdwa s[6:7], v11, s4 src0_sel:BYTE_0 src1_sel:DWORD
	s_mov_b64 s[4:5], 0
                                        ; implicit-def: $sgpr10
	s_and_saveexec_b64 s[8:9], s[6:7]
	s_xor_b64 s[6:7], exec, s[8:9]
	s_cbranch_execnz .LBB45_3465
; %bb.1417:
	s_or_saveexec_b64 s[6:7], s[6:7]
	v_mov_b32_e32 v10, s10
	s_xor_b64 exec, exec, s[6:7]
	s_cbranch_execnz .LBB45_3468
.LBB45_1418:
	s_or_b64 exec, exec, s[6:7]
	s_and_saveexec_b64 s[6:7], s[4:5]
	s_cbranch_execz .LBB45_1420
.LBB45_1419:
	v_bfe_u32 v10, v6, 8, 3
	v_ffbh_u32_e32 v13, v10
	v_min_u32_e32 v13, 32, v13
	v_lshrrev_b16_e32 v12, 3, v11
	v_subrev_u32_e32 v14, 28, v13
	v_and_b32_e32 v12, 15, v12
	v_lshlrev_b32_e32 v11, v14, v11
	v_sub_u32_e32 v13, 29, v13
	v_and_b32_e32 v11, 7, v11
	v_cmp_eq_u16_e32 vcc, 0, v12
	v_cndmask_b32_e32 v10, v10, v11, vcc
	v_cndmask_b32_e32 v11, v12, v13, vcc
	v_lshlrev_b32_e32 v12, 16, v6
	v_mov_b32_e32 v13, 0x3b800000
	v_lshlrev_b32_e32 v10, 20, v10
	v_and_b32_e32 v12, 0x80000000, v12
	v_lshl_add_u32 v11, v11, 23, v13
	v_or3_b32 v10, v12, v11, v10
.LBB45_1420:
	s_or_b64 exec, exec, s[6:7]
	v_lshrrev_b32_e32 v11, 8, v2
	s_movk_i32 s4, 0x7f
	v_cmp_gt_i16_sdwa s[6:7], v11, s4 src0_sel:BYTE_0 src1_sel:DWORD
	s_mov_b64 s[4:5], 0
                                        ; implicit-def: $sgpr10
	s_and_saveexec_b64 s[8:9], s[6:7]
	s_xor_b64 s[6:7], exec, s[8:9]
	s_cbranch_execnz .LBB45_3469
; %bb.1421:
	s_or_saveexec_b64 s[6:7], s[6:7]
	v_mov_b32_e32 v12, s10
	s_xor_b64 exec, exec, s[6:7]
	s_cbranch_execnz .LBB45_3472
.LBB45_1422:
	s_or_b64 exec, exec, s[6:7]
	s_and_saveexec_b64 s[6:7], s[4:5]
	s_cbranch_execz .LBB45_1424
.LBB45_1423:
	v_bfe_u32 v12, v2, 8, 3
	v_ffbh_u32_e32 v14, v12
	v_min_u32_e32 v14, 32, v14
	v_lshrrev_b16_e32 v13, 3, v11
	v_subrev_u32_e32 v15, 28, v14
	v_and_b32_e32 v13, 15, v13
	v_lshlrev_b32_e32 v11, v15, v11
	v_sub_u32_e32 v14, 29, v14
	v_and_b32_e32 v11, 7, v11
	v_cmp_eq_u16_e32 vcc, 0, v13
	v_cndmask_b32_e32 v11, v12, v11, vcc
	v_cndmask_b32_e32 v12, v13, v14, vcc
	v_lshlrev_b32_e32 v13, 16, v2
	v_mov_b32_e32 v14, 0x3b800000
	v_lshlrev_b32_e32 v11, 20, v11
	v_and_b32_e32 v13, 0x80000000, v13
	v_lshl_add_u32 v12, v12, 23, v14
	v_or3_b32 v12, v13, v12, v11
.LBB45_1424:
	s_or_b64 exec, exec, s[6:7]
	s_nop 0
	v_mfma_f32_16x16x4f32 a[0:3], v10, v12, a[0:3]
	s_movk_i32 s4, 0xff
	v_and_b32_sdwa v11, v6, s4 dst_sel:DWORD dst_unused:UNUSED_PAD src0_sel:WORD_1 src1_sel:DWORD
	s_movk_i32 s4, 0x7f
	v_cmp_lt_i16_e32 vcc, s4, v11
	s_mov_b64 s[4:5], 0
                                        ; implicit-def: $sgpr10
	s_and_saveexec_b64 s[6:7], vcc
	s_xor_b64 s[6:7], exec, s[6:7]
	s_cbranch_execnz .LBB45_3473
; %bb.1425:
	s_or_saveexec_b64 s[6:7], s[6:7]
	v_mov_b32_e32 v10, s10
	s_xor_b64 exec, exec, s[6:7]
	s_cbranch_execnz .LBB45_3476
.LBB45_1426:
	s_or_b64 exec, exec, s[6:7]
	s_and_saveexec_b64 s[6:7], s[4:5]
	s_cbranch_execz .LBB45_1428
.LBB45_1427:
	v_bfe_u32 v10, v6, 16, 3
	v_ffbh_u32_e32 v13, v10
	v_min_u32_e32 v13, 32, v13
	v_lshrrev_b32_e32 v11, 19, v6
	v_subrev_u32_e32 v14, 28, v13
	v_and_b32_e32 v11, 15, v11
	v_lshlrev_b32_sdwa v14, v14, v6 dst_sel:DWORD dst_unused:UNUSED_PAD src0_sel:DWORD src1_sel:WORD_1
	v_bfe_u32 v12, v6, 19, 4
	v_sub_u32_e32 v13, 29, v13
	v_and_b32_e32 v14, 7, v14
	v_cmp_eq_u16_e32 vcc, 0, v11
	v_cndmask_b32_e32 v10, v10, v14, vcc
	v_cndmask_b32_e32 v11, v12, v13, vcc
	v_lshlrev_b32_e32 v12, 8, v6
	v_mov_b32_e32 v13, 0x3b800000
	v_lshlrev_b32_e32 v10, 20, v10
	v_and_b32_e32 v12, 0x80000000, v12
	v_lshl_add_u32 v11, v11, 23, v13
	v_or3_b32 v10, v12, v11, v10
.LBB45_1428:
	s_or_b64 exec, exec, s[6:7]
	s_movk_i32 s4, 0xff
	v_and_b32_sdwa v11, v2, s4 dst_sel:DWORD dst_unused:UNUSED_PAD src0_sel:WORD_1 src1_sel:DWORD
	s_movk_i32 s4, 0x7f
	v_cmp_lt_i16_e32 vcc, s4, v11
	s_mov_b64 s[4:5], 0
                                        ; implicit-def: $sgpr10
	s_and_saveexec_b64 s[6:7], vcc
	s_xor_b64 s[6:7], exec, s[6:7]
	s_cbranch_execnz .LBB45_3477
; %bb.1429:
	s_or_saveexec_b64 s[6:7], s[6:7]
	v_mov_b32_e32 v12, s10
	s_xor_b64 exec, exec, s[6:7]
	s_cbranch_execnz .LBB45_3480
.LBB45_1430:
	s_or_b64 exec, exec, s[6:7]
	s_and_saveexec_b64 s[6:7], s[4:5]
	s_cbranch_execz .LBB45_1432
.LBB45_1431:
	v_bfe_u32 v11, v2, 16, 3
	v_ffbh_u32_e32 v14, v11
	v_min_u32_e32 v14, 32, v14
	v_lshrrev_b32_e32 v12, 19, v2
	v_subrev_u32_e32 v15, 28, v14
	v_and_b32_e32 v12, 15, v12
	v_lshlrev_b32_sdwa v15, v15, v2 dst_sel:DWORD dst_unused:UNUSED_PAD src0_sel:DWORD src1_sel:WORD_1
	v_bfe_u32 v13, v2, 19, 4
	v_sub_u32_e32 v14, 29, v14
	v_and_b32_e32 v15, 7, v15
	v_cmp_eq_u16_e32 vcc, 0, v12
	v_cndmask_b32_e32 v11, v11, v15, vcc
	v_cndmask_b32_e32 v12, v13, v14, vcc
	v_lshlrev_b32_e32 v13, 8, v2
	v_mov_b32_e32 v14, 0x3b800000
	v_lshlrev_b32_e32 v11, 20, v11
	v_and_b32_e32 v13, 0x80000000, v13
	v_lshl_add_u32 v12, v12, 23, v14
	v_or3_b32 v12, v13, v12, v11
.LBB45_1432:
	s_or_b64 exec, exec, s[6:7]
	s_nop 0
	v_mfma_f32_16x16x4f32 a[0:3], v10, v12, a[0:3]
	s_movk_i32 s4, 0x7f
	v_cmp_gt_i16_sdwa s[6:7], v6, s4 src0_sel:BYTE_3 src1_sel:DWORD
	s_mov_b64 s[4:5], 0
                                        ; implicit-def: $sgpr10
	s_and_saveexec_b64 s[8:9], s[6:7]
	s_xor_b64 s[6:7], exec, s[8:9]
	s_cbranch_execnz .LBB45_3481
; %bb.1433:
	s_or_saveexec_b64 s[6:7], s[6:7]
	v_mov_b32_e32 v10, s10
	s_xor_b64 exec, exec, s[6:7]
	s_cbranch_execnz .LBB45_3484
.LBB45_1434:
	s_or_b64 exec, exec, s[6:7]
	s_and_saveexec_b64 s[6:7], s[4:5]
	s_cbranch_execz .LBB45_1436
.LBB45_1435:
	v_bfe_u32 v10, v6, 24, 3
	v_ffbh_u32_e32 v14, v10
	v_min_u32_e32 v14, 32, v14
	v_lshrrev_b32_e32 v12, 27, v6
	v_subrev_u32_e32 v15, 28, v14
	v_and_b32_e32 v11, 0x80000000, v6
	v_and_b32_e32 v12, 15, v12
	v_bfe_u32 v13, v6, 27, 4
	v_lshlrev_b32_sdwa v6, v15, v6 dst_sel:DWORD dst_unused:UNUSED_PAD src0_sel:DWORD src1_sel:BYTE_3
	v_sub_u32_e32 v14, 29, v14
	v_and_b32_e32 v6, 7, v6
	v_cmp_eq_u16_e32 vcc, 0, v12
	v_cndmask_b32_e32 v6, v10, v6, vcc
	v_cndmask_b32_e32 v10, v13, v14, vcc
	v_mov_b32_e32 v12, 0x3b800000
	v_lshlrev_b32_e32 v6, 20, v6
	v_lshl_add_u32 v10, v10, 23, v12
	v_or3_b32 v10, v11, v10, v6
.LBB45_1436:
	s_or_b64 exec, exec, s[6:7]
	s_movk_i32 s4, 0x7f
	v_cmp_gt_i16_sdwa s[6:7], v2, s4 src0_sel:BYTE_3 src1_sel:DWORD
	s_mov_b64 s[4:5], 0
                                        ; implicit-def: $sgpr10
	s_and_saveexec_b64 s[8:9], s[6:7]
	s_xor_b64 s[6:7], exec, s[8:9]
	s_cbranch_execnz .LBB45_3485
; %bb.1437:
	s_or_saveexec_b64 s[6:7], s[6:7]
	v_mov_b32_e32 v6, s10
	s_xor_b64 exec, exec, s[6:7]
	s_cbranch_execnz .LBB45_3488
.LBB45_1438:
	s_or_b64 exec, exec, s[6:7]
	s_and_saveexec_b64 s[6:7], s[4:5]
	s_cbranch_execz .LBB45_1440
.LBB45_1439:
	v_bfe_u32 v6, v2, 24, 3
	v_ffbh_u32_e32 v14, v6
	v_min_u32_e32 v14, 32, v14
	v_lshrrev_b32_e32 v12, 27, v2
	v_subrev_u32_e32 v15, 28, v14
	v_and_b32_e32 v11, 0x80000000, v2
	v_and_b32_e32 v12, 15, v12
	v_bfe_u32 v13, v2, 27, 4
	v_lshlrev_b32_sdwa v2, v15, v2 dst_sel:DWORD dst_unused:UNUSED_PAD src0_sel:DWORD src1_sel:BYTE_3
	v_sub_u32_e32 v14, 29, v14
	v_and_b32_e32 v2, 7, v2
	v_cmp_eq_u16_e32 vcc, 0, v12
	v_cndmask_b32_e32 v2, v6, v2, vcc
	v_cndmask_b32_e32 v6, v13, v14, vcc
	v_mov_b32_e32 v12, 0x3b800000
	v_lshlrev_b32_e32 v2, 20, v2
	v_lshl_add_u32 v6, v6, 23, v12
	v_or3_b32 v6, v11, v6, v2
.LBB45_1440:
	s_or_b64 exec, exec, s[6:7]
	s_nop 0
	v_mfma_f32_16x16x4f32 a[0:3], v10, v6, a[0:3]
	s_movk_i32 s4, 0x7f
	v_cmp_gt_i16_sdwa s[6:7], v7, s4 src0_sel:BYTE_0 src1_sel:DWORD
	s_mov_b64 s[4:5], 0
                                        ; implicit-def: $sgpr10
	s_and_saveexec_b64 s[8:9], s[6:7]
	s_xor_b64 s[6:7], exec, s[8:9]
	s_cbranch_execnz .LBB45_3489
; %bb.1441:
	s_or_saveexec_b64 s[6:7], s[6:7]
	v_mov_b32_e32 v2, s10
	s_xor_b64 exec, exec, s[6:7]
	s_cbranch_execnz .LBB45_3492
.LBB45_1442:
	s_or_b64 exec, exec, s[6:7]
	s_and_saveexec_b64 s[6:7], s[4:5]
	s_cbranch_execz .LBB45_1444
.LBB45_1443:
	v_and_b32_e32 v2, 7, v7
	v_ffbh_u32_e32 v10, v2
	v_min_u32_e32 v10, 32, v10
	v_lshrrev_b16_e32 v6, 3, v7
	v_subrev_u32_e32 v11, 28, v10
	v_and_b32_e32 v6, 15, v6
	v_lshlrev_b32_e32 v11, v11, v7
	v_sub_u32_e32 v10, 29, v10
	v_and_b32_e32 v11, 7, v11
	v_cmp_eq_u16_e32 vcc, 0, v6
	v_cndmask_b32_e32 v2, v2, v11, vcc
	v_cndmask_b32_e32 v6, v6, v10, vcc
	v_lshlrev_b32_e32 v10, 24, v7
	v_mov_b32_e32 v11, 0x3b800000
	v_lshlrev_b32_e32 v2, 20, v2
	v_and_b32_e32 v10, 0x80000000, v10
	v_lshl_add_u32 v6, v6, 23, v11
	v_or3_b32 v2, v10, v6, v2
.LBB45_1444:
	s_or_b64 exec, exec, s[6:7]
	s_movk_i32 s4, 0x7f
	v_cmp_gt_i16_sdwa s[6:7], v3, s4 src0_sel:BYTE_0 src1_sel:DWORD
	s_mov_b64 s[4:5], 0
                                        ; implicit-def: $sgpr10
	s_and_saveexec_b64 s[8:9], s[6:7]
	s_xor_b64 s[6:7], exec, s[8:9]
	s_cbranch_execnz .LBB45_3493
; %bb.1445:
	s_or_saveexec_b64 s[6:7], s[6:7]
	v_mov_b32_e32 v6, s10
	s_xor_b64 exec, exec, s[6:7]
	s_cbranch_execnz .LBB45_3496
.LBB45_1446:
	s_or_b64 exec, exec, s[6:7]
	s_and_saveexec_b64 s[6:7], s[4:5]
	s_cbranch_execz .LBB45_1448
.LBB45_1447:
	v_and_b32_e32 v6, 7, v3
	v_ffbh_u32_e32 v11, v6
	v_min_u32_e32 v11, 32, v11
	v_lshrrev_b16_e32 v10, 3, v3
	v_subrev_u32_e32 v12, 28, v11
	v_and_b32_e32 v10, 15, v10
	v_lshlrev_b32_e32 v12, v12, v3
	v_sub_u32_e32 v11, 29, v11
	v_and_b32_e32 v12, 7, v12
	v_cmp_eq_u16_e32 vcc, 0, v10
	v_cndmask_b32_e32 v6, v6, v12, vcc
	v_cndmask_b32_e32 v10, v10, v11, vcc
	v_lshlrev_b32_e32 v11, 24, v3
	v_mov_b32_e32 v12, 0x3b800000
	v_lshlrev_b32_e32 v6, 20, v6
	v_and_b32_e32 v11, 0x80000000, v11
	v_lshl_add_u32 v10, v10, 23, v12
	v_or3_b32 v6, v11, v10, v6
.LBB45_1448:
	s_or_b64 exec, exec, s[6:7]
	s_nop 0
	v_mfma_f32_16x16x4f32 a[0:3], v2, v6, a[0:3]
	v_lshrrev_b32_e32 v6, 8, v7
	s_movk_i32 s4, 0x7f
	v_cmp_gt_i16_sdwa s[6:7], v6, s4 src0_sel:BYTE_0 src1_sel:DWORD
	s_mov_b64 s[4:5], 0
                                        ; implicit-def: $sgpr10
	s_and_saveexec_b64 s[8:9], s[6:7]
	s_xor_b64 s[6:7], exec, s[8:9]
	s_cbranch_execnz .LBB45_3497
; %bb.1449:
	s_or_saveexec_b64 s[6:7], s[6:7]
	v_mov_b32_e32 v2, s10
	s_xor_b64 exec, exec, s[6:7]
	s_cbranch_execnz .LBB45_3500
.LBB45_1450:
	s_or_b64 exec, exec, s[6:7]
	s_and_saveexec_b64 s[6:7], s[4:5]
	s_cbranch_execz .LBB45_1452
.LBB45_1451:
	v_bfe_u32 v2, v7, 8, 3
	v_ffbh_u32_e32 v11, v2
	v_min_u32_e32 v11, 32, v11
	v_lshrrev_b16_e32 v10, 3, v6
	v_subrev_u32_e32 v12, 28, v11
	v_and_b32_e32 v10, 15, v10
	v_lshlrev_b32_e32 v6, v12, v6
	v_sub_u32_e32 v11, 29, v11
	v_and_b32_e32 v6, 7, v6
	v_cmp_eq_u16_e32 vcc, 0, v10
	v_cndmask_b32_e32 v2, v2, v6, vcc
	v_cndmask_b32_e32 v6, v10, v11, vcc
	v_lshlrev_b32_e32 v10, 16, v7
	v_mov_b32_e32 v11, 0x3b800000
	v_lshlrev_b32_e32 v2, 20, v2
	v_and_b32_e32 v10, 0x80000000, v10
	v_lshl_add_u32 v6, v6, 23, v11
	v_or3_b32 v2, v10, v6, v2
.LBB45_1452:
	s_or_b64 exec, exec, s[6:7]
	v_lshrrev_b32_e32 v6, 8, v3
	s_movk_i32 s4, 0x7f
	v_cmp_gt_i16_sdwa s[6:7], v6, s4 src0_sel:BYTE_0 src1_sel:DWORD
	s_mov_b64 s[4:5], 0
                                        ; implicit-def: $sgpr10
	s_and_saveexec_b64 s[8:9], s[6:7]
	s_xor_b64 s[6:7], exec, s[8:9]
	s_cbranch_execnz .LBB45_3501
; %bb.1453:
	s_or_saveexec_b64 s[6:7], s[6:7]
	v_mov_b32_e32 v10, s10
	s_xor_b64 exec, exec, s[6:7]
	s_cbranch_execnz .LBB45_3504
.LBB45_1454:
	s_or_b64 exec, exec, s[6:7]
	s_and_saveexec_b64 s[6:7], s[4:5]
	s_cbranch_execz .LBB45_1456
.LBB45_1455:
	v_bfe_u32 v10, v3, 8, 3
	v_ffbh_u32_e32 v12, v10
	v_min_u32_e32 v12, 32, v12
	v_lshrrev_b16_e32 v11, 3, v6
	v_subrev_u32_e32 v13, 28, v12
	v_and_b32_e32 v11, 15, v11
	v_lshlrev_b32_e32 v6, v13, v6
	v_sub_u32_e32 v12, 29, v12
	v_and_b32_e32 v6, 7, v6
	v_cmp_eq_u16_e32 vcc, 0, v11
	v_cndmask_b32_e32 v6, v10, v6, vcc
	v_cndmask_b32_e32 v10, v11, v12, vcc
	v_lshlrev_b32_e32 v11, 16, v3
	v_mov_b32_e32 v12, 0x3b800000
	v_lshlrev_b32_e32 v6, 20, v6
	v_and_b32_e32 v11, 0x80000000, v11
	v_lshl_add_u32 v10, v10, 23, v12
	v_or3_b32 v10, v11, v10, v6
.LBB45_1456:
	s_or_b64 exec, exec, s[6:7]
	s_nop 0
	v_mfma_f32_16x16x4f32 a[0:3], v2, v10, a[0:3]
	s_movk_i32 s4, 0xff
	v_and_b32_sdwa v6, v7, s4 dst_sel:DWORD dst_unused:UNUSED_PAD src0_sel:WORD_1 src1_sel:DWORD
	s_movk_i32 s4, 0x7f
	v_cmp_lt_i16_e32 vcc, s4, v6
	s_mov_b64 s[4:5], 0
                                        ; implicit-def: $sgpr10
	s_and_saveexec_b64 s[6:7], vcc
	s_xor_b64 s[6:7], exec, s[6:7]
	s_cbranch_execnz .LBB45_3505
; %bb.1457:
	s_or_saveexec_b64 s[6:7], s[6:7]
	v_mov_b32_e32 v2, s10
	s_xor_b64 exec, exec, s[6:7]
	s_cbranch_execnz .LBB45_3508
.LBB45_1458:
	s_or_b64 exec, exec, s[6:7]
	s_and_saveexec_b64 s[6:7], s[4:5]
	s_cbranch_execz .LBB45_1460
.LBB45_1459:
	v_bfe_u32 v2, v7, 16, 3
	v_ffbh_u32_e32 v11, v2
	v_min_u32_e32 v11, 32, v11
	v_lshrrev_b32_e32 v6, 19, v7
	v_subrev_u32_e32 v12, 28, v11
	v_and_b32_e32 v6, 15, v6
	v_lshlrev_b32_sdwa v12, v12, v7 dst_sel:DWORD dst_unused:UNUSED_PAD src0_sel:DWORD src1_sel:WORD_1
	v_bfe_u32 v10, v7, 19, 4
	v_sub_u32_e32 v11, 29, v11
	v_and_b32_e32 v12, 7, v12
	v_cmp_eq_u16_e32 vcc, 0, v6
	v_cndmask_b32_e32 v2, v2, v12, vcc
	v_cndmask_b32_e32 v6, v10, v11, vcc
	v_lshlrev_b32_e32 v10, 8, v7
	v_mov_b32_e32 v11, 0x3b800000
	v_lshlrev_b32_e32 v2, 20, v2
	v_and_b32_e32 v10, 0x80000000, v10
	v_lshl_add_u32 v6, v6, 23, v11
	v_or3_b32 v2, v10, v6, v2
.LBB45_1460:
	s_or_b64 exec, exec, s[6:7]
	s_movk_i32 s4, 0xff
	v_and_b32_sdwa v6, v3, s4 dst_sel:DWORD dst_unused:UNUSED_PAD src0_sel:WORD_1 src1_sel:DWORD
	s_movk_i32 s4, 0x7f
	v_cmp_lt_i16_e32 vcc, s4, v6
	s_mov_b64 s[4:5], 0
                                        ; implicit-def: $sgpr10
	s_and_saveexec_b64 s[6:7], vcc
	s_xor_b64 s[6:7], exec, s[6:7]
	s_cbranch_execnz .LBB45_3509
; %bb.1461:
	s_or_saveexec_b64 s[6:7], s[6:7]
	v_mov_b32_e32 v10, s10
	s_xor_b64 exec, exec, s[6:7]
	s_cbranch_execnz .LBB45_3512
.LBB45_1462:
	s_or_b64 exec, exec, s[6:7]
	s_and_saveexec_b64 s[6:7], s[4:5]
	s_cbranch_execz .LBB45_1464
.LBB45_1463:
	v_bfe_u32 v6, v3, 16, 3
	v_ffbh_u32_e32 v12, v6
	v_min_u32_e32 v12, 32, v12
	v_lshrrev_b32_e32 v10, 19, v3
	v_subrev_u32_e32 v13, 28, v12
	v_and_b32_e32 v10, 15, v10
	v_lshlrev_b32_sdwa v13, v13, v3 dst_sel:DWORD dst_unused:UNUSED_PAD src0_sel:DWORD src1_sel:WORD_1
	v_bfe_u32 v11, v3, 19, 4
	v_sub_u32_e32 v12, 29, v12
	v_and_b32_e32 v13, 7, v13
	v_cmp_eq_u16_e32 vcc, 0, v10
	v_cndmask_b32_e32 v6, v6, v13, vcc
	v_cndmask_b32_e32 v10, v11, v12, vcc
	v_lshlrev_b32_e32 v11, 8, v3
	v_mov_b32_e32 v12, 0x3b800000
	v_lshlrev_b32_e32 v6, 20, v6
	v_and_b32_e32 v11, 0x80000000, v11
	v_lshl_add_u32 v10, v10, 23, v12
	v_or3_b32 v10, v11, v10, v6
.LBB45_1464:
	s_or_b64 exec, exec, s[6:7]
	s_nop 0
	v_mfma_f32_16x16x4f32 a[0:3], v2, v10, a[0:3]
	s_movk_i32 s4, 0x7f
	v_cmp_gt_i16_sdwa s[6:7], v7, s4 src0_sel:BYTE_3 src1_sel:DWORD
	s_mov_b64 s[4:5], 0
                                        ; implicit-def: $sgpr10
	s_and_saveexec_b64 s[8:9], s[6:7]
	s_xor_b64 s[6:7], exec, s[8:9]
	s_cbranch_execnz .LBB45_3513
; %bb.1465:
	s_or_saveexec_b64 s[6:7], s[6:7]
	v_mov_b32_e32 v2, s10
	s_xor_b64 exec, exec, s[6:7]
	s_cbranch_execnz .LBB45_3516
.LBB45_1466:
	s_or_b64 exec, exec, s[6:7]
	s_and_saveexec_b64 s[6:7], s[4:5]
	s_cbranch_execz .LBB45_1468
.LBB45_1467:
	v_bfe_u32 v2, v7, 24, 3
	v_ffbh_u32_e32 v12, v2
	v_min_u32_e32 v12, 32, v12
	v_lshrrev_b32_e32 v10, 27, v7
	v_subrev_u32_e32 v13, 28, v12
	v_and_b32_e32 v6, 0x80000000, v7
	v_and_b32_e32 v10, 15, v10
	v_bfe_u32 v11, v7, 27, 4
	v_lshlrev_b32_sdwa v7, v13, v7 dst_sel:DWORD dst_unused:UNUSED_PAD src0_sel:DWORD src1_sel:BYTE_3
	v_sub_u32_e32 v12, 29, v12
	v_and_b32_e32 v7, 7, v7
	v_cmp_eq_u16_e32 vcc, 0, v10
	v_cndmask_b32_e32 v2, v2, v7, vcc
	v_cndmask_b32_e32 v7, v11, v12, vcc
	v_mov_b32_e32 v10, 0x3b800000
	v_lshlrev_b32_e32 v2, 20, v2
	v_lshl_add_u32 v7, v7, 23, v10
	v_or3_b32 v2, v6, v7, v2
.LBB45_1468:
	s_or_b64 exec, exec, s[6:7]
	s_movk_i32 s4, 0x7f
	v_cmp_gt_i16_sdwa s[6:7], v3, s4 src0_sel:BYTE_3 src1_sel:DWORD
	s_mov_b64 s[4:5], 0
                                        ; implicit-def: $sgpr10
	s_and_saveexec_b64 s[8:9], s[6:7]
	s_xor_b64 s[6:7], exec, s[8:9]
	s_cbranch_execnz .LBB45_3517
; %bb.1469:
	s_or_saveexec_b64 s[6:7], s[6:7]
	v_mov_b32_e32 v6, s10
	s_xor_b64 exec, exec, s[6:7]
	s_cbranch_execnz .LBB45_3520
.LBB45_1470:
	s_or_b64 exec, exec, s[6:7]
	s_and_saveexec_b64 s[6:7], s[4:5]
	s_cbranch_execz .LBB45_1472
.LBB45_1471:
	v_bfe_u32 v6, v3, 24, 3
	v_ffbh_u32_e32 v12, v6
	v_min_u32_e32 v12, 32, v12
	v_lshrrev_b32_e32 v10, 27, v3
	v_subrev_u32_e32 v13, 28, v12
	v_and_b32_e32 v7, 0x80000000, v3
	v_and_b32_e32 v10, 15, v10
	v_bfe_u32 v11, v3, 27, 4
	v_lshlrev_b32_sdwa v3, v13, v3 dst_sel:DWORD dst_unused:UNUSED_PAD src0_sel:DWORD src1_sel:BYTE_3
	v_sub_u32_e32 v12, 29, v12
	v_and_b32_e32 v3, 7, v3
	v_cmp_eq_u16_e32 vcc, 0, v10
	v_cndmask_b32_e32 v3, v6, v3, vcc
	v_cndmask_b32_e32 v6, v11, v12, vcc
	v_mov_b32_e32 v10, 0x3b800000
	v_lshlrev_b32_e32 v3, 20, v3
	v_lshl_add_u32 v6, v6, 23, v10
	v_or3_b32 v6, v7, v6, v3
.LBB45_1472:
	s_or_b64 exec, exec, s[6:7]
	s_nop 0
	v_mfma_f32_16x16x4f32 a[0:3], v2, v6, a[0:3]
	s_movk_i32 s4, 0x7f
	v_cmp_gt_i16_sdwa s[6:7], v8, s4 src0_sel:BYTE_0 src1_sel:DWORD
	s_mov_b64 s[4:5], 0
                                        ; implicit-def: $sgpr10
	s_and_saveexec_b64 s[8:9], s[6:7]
	s_xor_b64 s[6:7], exec, s[8:9]
	s_cbranch_execnz .LBB45_3521
; %bb.1473:
	s_or_saveexec_b64 s[6:7], s[6:7]
	v_mov_b32_e32 v2, s10
	s_xor_b64 exec, exec, s[6:7]
	s_cbranch_execnz .LBB45_3524
.LBB45_1474:
	s_or_b64 exec, exec, s[6:7]
	s_and_saveexec_b64 s[6:7], s[4:5]
	s_cbranch_execz .LBB45_1476
.LBB45_1475:
	v_and_b32_e32 v2, 7, v8
	v_ffbh_u32_e32 v6, v2
	v_min_u32_e32 v6, 32, v6
	v_lshrrev_b16_e32 v3, 3, v8
	v_subrev_u32_e32 v7, 28, v6
	v_and_b32_e32 v3, 15, v3
	v_lshlrev_b32_e32 v7, v7, v8
	v_sub_u32_e32 v6, 29, v6
	v_and_b32_e32 v7, 7, v7
	v_cmp_eq_u16_e32 vcc, 0, v3
	v_cndmask_b32_e32 v2, v2, v7, vcc
	v_cndmask_b32_e32 v3, v3, v6, vcc
	v_lshlrev_b32_e32 v6, 24, v8
	v_mov_b32_e32 v7, 0x3b800000
	v_lshlrev_b32_e32 v2, 20, v2
	v_and_b32_e32 v6, 0x80000000, v6
	v_lshl_add_u32 v3, v3, 23, v7
	v_or3_b32 v2, v6, v3, v2
.LBB45_1476:
	s_or_b64 exec, exec, s[6:7]
	s_movk_i32 s4, 0x7f
	v_cmp_gt_i16_sdwa s[6:7], v4, s4 src0_sel:BYTE_0 src1_sel:DWORD
	s_mov_b64 s[4:5], 0
                                        ; implicit-def: $sgpr10
	s_and_saveexec_b64 s[8:9], s[6:7]
	s_xor_b64 s[6:7], exec, s[8:9]
	s_cbranch_execnz .LBB45_3525
; %bb.1477:
	s_or_saveexec_b64 s[6:7], s[6:7]
	v_mov_b32_e32 v3, s10
	s_xor_b64 exec, exec, s[6:7]
	s_cbranch_execnz .LBB45_3528
.LBB45_1478:
	s_or_b64 exec, exec, s[6:7]
	s_and_saveexec_b64 s[6:7], s[4:5]
	s_cbranch_execz .LBB45_1480
.LBB45_1479:
	v_and_b32_e32 v3, 7, v4
	v_ffbh_u32_e32 v7, v3
	v_min_u32_e32 v7, 32, v7
	v_lshrrev_b16_e32 v6, 3, v4
	v_subrev_u32_e32 v10, 28, v7
	v_and_b32_e32 v6, 15, v6
	v_lshlrev_b32_e32 v10, v10, v4
	v_sub_u32_e32 v7, 29, v7
	v_and_b32_e32 v10, 7, v10
	v_cmp_eq_u16_e32 vcc, 0, v6
	v_cndmask_b32_e32 v3, v3, v10, vcc
	v_cndmask_b32_e32 v6, v6, v7, vcc
	v_lshlrev_b32_e32 v7, 24, v4
	v_mov_b32_e32 v10, 0x3b800000
	v_lshlrev_b32_e32 v3, 20, v3
	v_and_b32_e32 v7, 0x80000000, v7
	v_lshl_add_u32 v6, v6, 23, v10
	v_or3_b32 v3, v7, v6, v3
.LBB45_1480:
	s_or_b64 exec, exec, s[6:7]
	s_nop 0
	v_mfma_f32_16x16x4f32 a[0:3], v2, v3, a[0:3]
	v_lshrrev_b32_e32 v3, 8, v8
	s_movk_i32 s4, 0x7f
	v_cmp_gt_i16_sdwa s[6:7], v3, s4 src0_sel:BYTE_0 src1_sel:DWORD
	s_mov_b64 s[4:5], 0
                                        ; implicit-def: $sgpr10
	s_and_saveexec_b64 s[8:9], s[6:7]
	s_xor_b64 s[6:7], exec, s[8:9]
	s_cbranch_execnz .LBB45_3529
; %bb.1481:
	s_or_saveexec_b64 s[6:7], s[6:7]
	v_mov_b32_e32 v2, s10
	s_xor_b64 exec, exec, s[6:7]
	s_cbranch_execnz .LBB45_3532
.LBB45_1482:
	s_or_b64 exec, exec, s[6:7]
	s_and_saveexec_b64 s[6:7], s[4:5]
	s_cbranch_execz .LBB45_1484
.LBB45_1483:
	v_bfe_u32 v2, v8, 8, 3
	v_ffbh_u32_e32 v7, v2
	v_min_u32_e32 v7, 32, v7
	v_lshrrev_b16_e32 v6, 3, v3
	v_subrev_u32_e32 v10, 28, v7
	v_and_b32_e32 v6, 15, v6
	v_lshlrev_b32_e32 v3, v10, v3
	v_sub_u32_e32 v7, 29, v7
	v_and_b32_e32 v3, 7, v3
	v_cmp_eq_u16_e32 vcc, 0, v6
	v_cndmask_b32_e32 v2, v2, v3, vcc
	v_cndmask_b32_e32 v3, v6, v7, vcc
	v_lshlrev_b32_e32 v6, 16, v8
	v_mov_b32_e32 v7, 0x3b800000
	v_lshlrev_b32_e32 v2, 20, v2
	v_and_b32_e32 v6, 0x80000000, v6
	v_lshl_add_u32 v3, v3, 23, v7
	v_or3_b32 v2, v6, v3, v2
.LBB45_1484:
	s_or_b64 exec, exec, s[6:7]
	v_lshrrev_b32_e32 v3, 8, v4
	s_movk_i32 s4, 0x7f
	v_cmp_gt_i16_sdwa s[6:7], v3, s4 src0_sel:BYTE_0 src1_sel:DWORD
	s_mov_b64 s[4:5], 0
                                        ; implicit-def: $sgpr10
	s_and_saveexec_b64 s[8:9], s[6:7]
	s_xor_b64 s[6:7], exec, s[8:9]
	s_cbranch_execnz .LBB45_3533
; %bb.1485:
	s_or_saveexec_b64 s[6:7], s[6:7]
	v_mov_b32_e32 v6, s10
	s_xor_b64 exec, exec, s[6:7]
	s_cbranch_execnz .LBB45_3536
.LBB45_1486:
	s_or_b64 exec, exec, s[6:7]
	s_and_saveexec_b64 s[6:7], s[4:5]
	s_cbranch_execz .LBB45_1488
.LBB45_1487:
	v_bfe_u32 v6, v4, 8, 3
	v_ffbh_u32_e32 v10, v6
	v_min_u32_e32 v10, 32, v10
	v_lshrrev_b16_e32 v7, 3, v3
	v_subrev_u32_e32 v11, 28, v10
	v_and_b32_e32 v7, 15, v7
	v_lshlrev_b32_e32 v3, v11, v3
	v_sub_u32_e32 v10, 29, v10
	v_and_b32_e32 v3, 7, v3
	v_cmp_eq_u16_e32 vcc, 0, v7
	v_cndmask_b32_e32 v3, v6, v3, vcc
	v_cndmask_b32_e32 v6, v7, v10, vcc
	v_lshlrev_b32_e32 v7, 16, v4
	v_mov_b32_e32 v10, 0x3b800000
	v_lshlrev_b32_e32 v3, 20, v3
	v_and_b32_e32 v7, 0x80000000, v7
	v_lshl_add_u32 v6, v6, 23, v10
	v_or3_b32 v6, v7, v6, v3
.LBB45_1488:
	s_or_b64 exec, exec, s[6:7]
	s_nop 0
	v_mfma_f32_16x16x4f32 a[0:3], v2, v6, a[0:3]
	s_movk_i32 s4, 0xff
	v_and_b32_sdwa v3, v8, s4 dst_sel:DWORD dst_unused:UNUSED_PAD src0_sel:WORD_1 src1_sel:DWORD
	s_movk_i32 s4, 0x7f
	v_cmp_lt_i16_e32 vcc, s4, v3
	s_mov_b64 s[4:5], 0
                                        ; implicit-def: $sgpr10
	s_and_saveexec_b64 s[6:7], vcc
	s_xor_b64 s[6:7], exec, s[6:7]
	s_cbranch_execnz .LBB45_3537
; %bb.1489:
	s_or_saveexec_b64 s[6:7], s[6:7]
	v_mov_b32_e32 v2, s10
	s_xor_b64 exec, exec, s[6:7]
	s_cbranch_execnz .LBB45_3540
.LBB45_1490:
	s_or_b64 exec, exec, s[6:7]
	s_and_saveexec_b64 s[6:7], s[4:5]
	s_cbranch_execz .LBB45_1492
.LBB45_1491:
	v_bfe_u32 v2, v8, 16, 3
	v_ffbh_u32_e32 v7, v2
	v_min_u32_e32 v7, 32, v7
	v_lshrrev_b32_e32 v3, 19, v8
	v_subrev_u32_e32 v10, 28, v7
	v_and_b32_e32 v3, 15, v3
	v_lshlrev_b32_sdwa v10, v10, v8 dst_sel:DWORD dst_unused:UNUSED_PAD src0_sel:DWORD src1_sel:WORD_1
	v_bfe_u32 v6, v8, 19, 4
	v_sub_u32_e32 v7, 29, v7
	v_and_b32_e32 v10, 7, v10
	v_cmp_eq_u16_e32 vcc, 0, v3
	v_cndmask_b32_e32 v2, v2, v10, vcc
	v_cndmask_b32_e32 v3, v6, v7, vcc
	v_lshlrev_b32_e32 v6, 8, v8
	v_mov_b32_e32 v7, 0x3b800000
	v_lshlrev_b32_e32 v2, 20, v2
	v_and_b32_e32 v6, 0x80000000, v6
	v_lshl_add_u32 v3, v3, 23, v7
	v_or3_b32 v2, v6, v3, v2
.LBB45_1492:
	s_or_b64 exec, exec, s[6:7]
	s_movk_i32 s4, 0xff
	v_and_b32_sdwa v3, v4, s4 dst_sel:DWORD dst_unused:UNUSED_PAD src0_sel:WORD_1 src1_sel:DWORD
	s_movk_i32 s4, 0x7f
	v_cmp_lt_i16_e32 vcc, s4, v3
	s_mov_b64 s[4:5], 0
                                        ; implicit-def: $sgpr10
	s_and_saveexec_b64 s[6:7], vcc
	s_xor_b64 s[6:7], exec, s[6:7]
	s_cbranch_execnz .LBB45_3541
; %bb.1493:
	s_or_saveexec_b64 s[6:7], s[6:7]
	v_mov_b32_e32 v6, s10
	s_xor_b64 exec, exec, s[6:7]
	s_cbranch_execnz .LBB45_3544
.LBB45_1494:
	s_or_b64 exec, exec, s[6:7]
	s_and_saveexec_b64 s[6:7], s[4:5]
	s_cbranch_execz .LBB45_1496
.LBB45_1495:
	v_bfe_u32 v3, v4, 16, 3
	v_ffbh_u32_e32 v10, v3
	v_min_u32_e32 v10, 32, v10
	v_lshrrev_b32_e32 v6, 19, v4
	v_subrev_u32_e32 v11, 28, v10
	v_and_b32_e32 v6, 15, v6
	v_lshlrev_b32_sdwa v11, v11, v4 dst_sel:DWORD dst_unused:UNUSED_PAD src0_sel:DWORD src1_sel:WORD_1
	v_bfe_u32 v7, v4, 19, 4
	v_sub_u32_e32 v10, 29, v10
	v_and_b32_e32 v11, 7, v11
	v_cmp_eq_u16_e32 vcc, 0, v6
	v_cndmask_b32_e32 v3, v3, v11, vcc
	v_cndmask_b32_e32 v6, v7, v10, vcc
	v_lshlrev_b32_e32 v7, 8, v4
	v_mov_b32_e32 v10, 0x3b800000
	v_lshlrev_b32_e32 v3, 20, v3
	v_and_b32_e32 v7, 0x80000000, v7
	v_lshl_add_u32 v6, v6, 23, v10
	v_or3_b32 v6, v7, v6, v3
.LBB45_1496:
	s_or_b64 exec, exec, s[6:7]
	s_nop 0
	v_mfma_f32_16x16x4f32 a[0:3], v2, v6, a[0:3]
	s_movk_i32 s4, 0x7f
	v_cmp_gt_i16_sdwa s[6:7], v8, s4 src0_sel:BYTE_3 src1_sel:DWORD
	s_mov_b64 s[4:5], 0
                                        ; implicit-def: $sgpr10
	s_and_saveexec_b64 s[8:9], s[6:7]
	s_xor_b64 s[6:7], exec, s[8:9]
	s_cbranch_execnz .LBB45_3545
; %bb.1497:
	s_or_saveexec_b64 s[6:7], s[6:7]
	v_mov_b32_e32 v2, s10
	s_xor_b64 exec, exec, s[6:7]
	s_cbranch_execnz .LBB45_3548
.LBB45_1498:
	s_or_b64 exec, exec, s[6:7]
	s_and_saveexec_b64 s[6:7], s[4:5]
	s_cbranch_execz .LBB45_1500
.LBB45_1499:
	v_bfe_u32 v2, v8, 24, 3
	v_ffbh_u32_e32 v10, v2
	v_min_u32_e32 v10, 32, v10
	v_lshrrev_b32_e32 v6, 27, v8
	v_subrev_u32_e32 v11, 28, v10
	v_and_b32_e32 v3, 0x80000000, v8
	v_and_b32_e32 v6, 15, v6
	v_bfe_u32 v7, v8, 27, 4
	v_lshlrev_b32_sdwa v8, v11, v8 dst_sel:DWORD dst_unused:UNUSED_PAD src0_sel:DWORD src1_sel:BYTE_3
	v_sub_u32_e32 v10, 29, v10
	v_and_b32_e32 v8, 7, v8
	v_cmp_eq_u16_e32 vcc, 0, v6
	v_cndmask_b32_e32 v2, v2, v8, vcc
	v_cndmask_b32_e32 v6, v7, v10, vcc
	v_mov_b32_e32 v7, 0x3b800000
	v_lshlrev_b32_e32 v2, 20, v2
	v_lshl_add_u32 v6, v6, 23, v7
	v_or3_b32 v2, v3, v6, v2
.LBB45_1500:
	s_or_b64 exec, exec, s[6:7]
	s_movk_i32 s4, 0x7f
	v_cmp_gt_i16_sdwa s[6:7], v4, s4 src0_sel:BYTE_3 src1_sel:DWORD
	s_mov_b64 s[4:5], 0
                                        ; implicit-def: $sgpr10
	s_and_saveexec_b64 s[8:9], s[6:7]
	s_xor_b64 s[6:7], exec, s[8:9]
	s_cbranch_execnz .LBB45_3549
; %bb.1501:
	s_or_saveexec_b64 s[6:7], s[6:7]
	v_mov_b32_e32 v3, s10
	s_xor_b64 exec, exec, s[6:7]
	s_cbranch_execnz .LBB45_3552
.LBB45_1502:
	s_or_b64 exec, exec, s[6:7]
	s_and_saveexec_b64 s[6:7], s[4:5]
	s_cbranch_execz .LBB45_1504
.LBB45_1503:
	v_bfe_u32 v3, v4, 24, 3
	v_ffbh_u32_e32 v10, v3
	v_min_u32_e32 v10, 32, v10
	v_lshrrev_b32_e32 v7, 27, v4
	v_subrev_u32_e32 v11, 28, v10
	v_and_b32_e32 v6, 0x80000000, v4
	v_and_b32_e32 v7, 15, v7
	v_bfe_u32 v8, v4, 27, 4
	v_lshlrev_b32_sdwa v4, v11, v4 dst_sel:DWORD dst_unused:UNUSED_PAD src0_sel:DWORD src1_sel:BYTE_3
	v_sub_u32_e32 v10, 29, v10
	v_and_b32_e32 v4, 7, v4
	v_cmp_eq_u16_e32 vcc, 0, v7
	v_cndmask_b32_e32 v3, v3, v4, vcc
	v_cndmask_b32_e32 v4, v8, v10, vcc
	v_mov_b32_e32 v7, 0x3b800000
	v_lshlrev_b32_e32 v3, 20, v3
	v_lshl_add_u32 v4, v4, 23, v7
	v_or3_b32 v3, v6, v4, v3
.LBB45_1504:
	s_or_b64 exec, exec, s[6:7]
	s_nop 0
	v_mfma_f32_16x16x4f32 a[0:3], v2, v3, a[0:3]
	s_movk_i32 s4, 0x7f
	v_cmp_gt_i16_sdwa s[6:7], v9, s4 src0_sel:BYTE_0 src1_sel:DWORD
	s_mov_b64 s[4:5], 0
                                        ; implicit-def: $sgpr10
	s_and_saveexec_b64 s[8:9], s[6:7]
	s_xor_b64 s[6:7], exec, s[8:9]
	s_cbranch_execnz .LBB45_3553
; %bb.1505:
	s_or_saveexec_b64 s[6:7], s[6:7]
	v_mov_b32_e32 v2, s10
	s_xor_b64 exec, exec, s[6:7]
	s_cbranch_execnz .LBB45_3556
.LBB45_1506:
	s_or_b64 exec, exec, s[6:7]
	s_and_saveexec_b64 s[6:7], s[4:5]
	s_cbranch_execz .LBB45_1508
.LBB45_1507:
	v_mov_b32_e32 v2, 8
	v_and_b32_e32 v3, 7, v9
	v_lshrrev_b32_sdwa v2, v2, v9 dst_sel:BYTE_1 dst_unused:UNUSED_PAD src0_sel:DWORD src1_sel:DWORD
	v_ffbh_u32_e32 v4, v3
	v_or_b32_sdwa v2, v9, v2 dst_sel:DWORD dst_unused:UNUSED_PAD src0_sel:BYTE_0 src1_sel:DWORD
	v_min_u32_e32 v4, 32, v4
	v_lshrrev_b16_e32 v2, 3, v2
	v_subrev_u32_e32 v6, 28, v4
	v_and_b32_e32 v2, 15, v2
	v_lshlrev_b32_e32 v6, v6, v9
	v_sub_u32_e32 v4, 29, v4
	v_and_b32_e32 v6, 7, v6
	v_cmp_eq_u16_e32 vcc, 0, v2
	v_cndmask_b32_e32 v3, v3, v6, vcc
	v_cndmask_b32_e32 v2, v2, v4, vcc
	v_lshlrev_b32_e32 v4, 24, v9
	v_mov_b32_e32 v6, 0x3b800000
	v_lshlrev_b32_e32 v3, 20, v3
	v_and_b32_e32 v4, 0x80000000, v4
	v_lshl_add_u32 v2, v2, 23, v6
	v_or3_b32 v2, v4, v2, v3
.LBB45_1508:
	s_or_b64 exec, exec, s[6:7]
	s_movk_i32 s4, 0x7f
	v_cmp_gt_i16_sdwa s[6:7], v5, s4 src0_sel:BYTE_0 src1_sel:DWORD
	s_mov_b64 s[4:5], 0
                                        ; implicit-def: $sgpr10
	s_and_saveexec_b64 s[8:9], s[6:7]
	s_xor_b64 s[6:7], exec, s[8:9]
	s_cbranch_execnz .LBB45_3557
; %bb.1509:
	s_or_saveexec_b64 s[6:7], s[6:7]
	v_mov_b32_e32 v3, s10
	s_xor_b64 exec, exec, s[6:7]
	s_cbranch_execnz .LBB45_3560
.LBB45_1510:
	s_or_b64 exec, exec, s[6:7]
	s_and_saveexec_b64 s[6:7], s[4:5]
	s_cbranch_execz .LBB45_1512
.LBB45_1511:
	v_mov_b32_e32 v3, 8
	v_and_b32_e32 v4, 7, v5
	v_lshrrev_b32_sdwa v3, v3, v5 dst_sel:BYTE_1 dst_unused:UNUSED_PAD src0_sel:DWORD src1_sel:DWORD
	v_ffbh_u32_e32 v6, v4
	v_or_b32_sdwa v3, v5, v3 dst_sel:DWORD dst_unused:UNUSED_PAD src0_sel:BYTE_0 src1_sel:DWORD
	v_min_u32_e32 v6, 32, v6
	v_lshrrev_b16_e32 v3, 3, v3
	v_subrev_u32_e32 v7, 28, v6
	v_and_b32_e32 v3, 15, v3
	v_lshlrev_b32_e32 v7, v7, v5
	v_sub_u32_e32 v6, 29, v6
	v_and_b32_e32 v7, 7, v7
	v_cmp_eq_u16_e32 vcc, 0, v3
	v_cndmask_b32_e32 v4, v4, v7, vcc
	v_cndmask_b32_e32 v3, v3, v6, vcc
	v_lshlrev_b32_e32 v6, 24, v5
	v_mov_b32_e32 v7, 0x3b800000
	v_lshlrev_b32_e32 v4, 20, v4
	v_and_b32_e32 v6, 0x80000000, v6
	v_lshl_add_u32 v3, v3, 23, v7
	v_or3_b32 v3, v6, v3, v4
.LBB45_1512:
	s_or_b64 exec, exec, s[6:7]
	s_nop 0
	v_mfma_f32_16x16x4f32 a[0:3], v2, v3, a[0:3]
	v_lshrrev_b32_e32 v3, 8, v9
	s_movk_i32 s4, 0x7f
	v_cmp_gt_i16_sdwa s[6:7], v3, s4 src0_sel:BYTE_0 src1_sel:DWORD
	s_mov_b64 s[4:5], 0
                                        ; implicit-def: $sgpr10
	s_and_saveexec_b64 s[8:9], s[6:7]
	s_xor_b64 s[6:7], exec, s[8:9]
	s_cbranch_execnz .LBB45_3561
; %bb.1513:
	s_or_saveexec_b64 s[6:7], s[6:7]
	v_mov_b32_e32 v2, s10
	s_xor_b64 exec, exec, s[6:7]
	s_cbranch_execnz .LBB45_3564
.LBB45_1514:
	s_or_b64 exec, exec, s[6:7]
	s_and_saveexec_b64 s[6:7], s[4:5]
	s_cbranch_execz .LBB45_1516
.LBB45_1515:
	v_bfe_u32 v2, v9, 8, 3
	v_ffbh_u32_e32 v6, v2
	v_min_u32_e32 v6, 32, v6
	v_lshrrev_b16_e32 v4, 3, v3
	v_subrev_u32_e32 v7, 28, v6
	v_and_b32_e32 v4, 15, v4
	v_lshlrev_b32_e32 v3, v7, v3
	v_sub_u32_e32 v6, 29, v6
	v_and_b32_e32 v3, 7, v3
	v_cmp_eq_u16_e32 vcc, 0, v4
	v_cndmask_b32_e32 v2, v2, v3, vcc
	v_cndmask_b32_e32 v3, v4, v6, vcc
	v_lshlrev_b32_e32 v4, 16, v9
	v_mov_b32_e32 v6, 0x3b800000
	v_lshlrev_b32_e32 v2, 20, v2
	v_and_b32_e32 v4, 0x80000000, v4
	v_lshl_add_u32 v3, v3, 23, v6
	v_or3_b32 v2, v4, v3, v2
.LBB45_1516:
	s_or_b64 exec, exec, s[6:7]
	v_lshrrev_b32_e32 v3, 8, v5
	s_movk_i32 s4, 0x7f
	v_cmp_gt_i16_sdwa s[6:7], v3, s4 src0_sel:BYTE_0 src1_sel:DWORD
	s_mov_b64 s[4:5], 0
                                        ; implicit-def: $sgpr10
	s_and_saveexec_b64 s[8:9], s[6:7]
	s_xor_b64 s[6:7], exec, s[8:9]
	s_cbranch_execnz .LBB45_3565
; %bb.1517:
	s_or_saveexec_b64 s[6:7], s[6:7]
	v_mov_b32_e32 v4, s10
	s_xor_b64 exec, exec, s[6:7]
	s_cbranch_execnz .LBB45_3568
.LBB45_1518:
	s_or_b64 exec, exec, s[6:7]
	s_and_saveexec_b64 s[6:7], s[4:5]
	s_cbranch_execz .LBB45_1520
.LBB45_1519:
	v_bfe_u32 v4, v5, 8, 3
	v_ffbh_u32_e32 v7, v4
	v_min_u32_e32 v7, 32, v7
	v_lshrrev_b16_e32 v6, 3, v3
	v_subrev_u32_e32 v8, 28, v7
	v_and_b32_e32 v6, 15, v6
	v_lshlrev_b32_e32 v3, v8, v3
	v_sub_u32_e32 v7, 29, v7
	v_and_b32_e32 v3, 7, v3
	v_cmp_eq_u16_e32 vcc, 0, v6
	v_cndmask_b32_e32 v3, v4, v3, vcc
	v_cndmask_b32_e32 v4, v6, v7, vcc
	v_lshlrev_b32_e32 v6, 16, v5
	v_mov_b32_e32 v7, 0x3b800000
	v_lshlrev_b32_e32 v3, 20, v3
	v_and_b32_e32 v6, 0x80000000, v6
	v_lshl_add_u32 v4, v4, 23, v7
	v_or3_b32 v4, v6, v4, v3
.LBB45_1520:
	s_or_b64 exec, exec, s[6:7]
	s_nop 0
	v_mfma_f32_16x16x4f32 a[0:3], v2, v4, a[0:3]
	s_movk_i32 s4, 0xff
	v_and_b32_sdwa v3, v9, s4 dst_sel:DWORD dst_unused:UNUSED_PAD src0_sel:WORD_1 src1_sel:DWORD
	s_movk_i32 s4, 0x7f
	v_cmp_lt_i16_e32 vcc, s4, v3
	s_mov_b64 s[4:5], 0
                                        ; implicit-def: $sgpr10
	s_and_saveexec_b64 s[6:7], vcc
	s_xor_b64 s[6:7], exec, s[6:7]
	s_cbranch_execnz .LBB45_3569
; %bb.1521:
	s_or_saveexec_b64 s[6:7], s[6:7]
	v_mov_b32_e32 v2, s10
	s_xor_b64 exec, exec, s[6:7]
	s_cbranch_execnz .LBB45_3572
.LBB45_1522:
	s_or_b64 exec, exec, s[6:7]
	s_and_saveexec_b64 s[6:7], s[4:5]
	s_cbranch_execz .LBB45_1524
.LBB45_1523:
	v_bfe_u32 v2, v9, 16, 3
	v_ffbh_u32_e32 v6, v2
	v_min_u32_e32 v6, 32, v6
	v_lshrrev_b32_e32 v3, 19, v9
	v_subrev_u32_e32 v7, 28, v6
	v_and_b32_e32 v3, 15, v3
	v_lshlrev_b32_sdwa v7, v7, v9 dst_sel:DWORD dst_unused:UNUSED_PAD src0_sel:DWORD src1_sel:WORD_1
	v_bfe_u32 v4, v9, 19, 4
	v_sub_u32_e32 v6, 29, v6
	v_and_b32_e32 v7, 7, v7
	v_cmp_eq_u16_e32 vcc, 0, v3
	v_cndmask_b32_e32 v2, v2, v7, vcc
	v_cndmask_b32_e32 v3, v4, v6, vcc
	v_lshlrev_b32_e32 v4, 8, v9
	v_mov_b32_e32 v6, 0x3b800000
	v_lshlrev_b32_e32 v2, 20, v2
	v_and_b32_e32 v4, 0x80000000, v4
	v_lshl_add_u32 v3, v3, 23, v6
	v_or3_b32 v2, v4, v3, v2
.LBB45_1524:
	s_or_b64 exec, exec, s[6:7]
	s_movk_i32 s4, 0xff
	v_and_b32_sdwa v3, v5, s4 dst_sel:DWORD dst_unused:UNUSED_PAD src0_sel:WORD_1 src1_sel:DWORD
	s_movk_i32 s4, 0x7f
	v_cmp_lt_i16_e32 vcc, s4, v3
	s_mov_b64 s[4:5], 0
                                        ; implicit-def: $sgpr10
	s_and_saveexec_b64 s[6:7], vcc
	s_xor_b64 s[6:7], exec, s[6:7]
	s_cbranch_execnz .LBB45_3573
; %bb.1525:
	s_or_saveexec_b64 s[6:7], s[6:7]
	v_mov_b32_e32 v4, s10
	s_xor_b64 exec, exec, s[6:7]
	s_cbranch_execnz .LBB45_3576
.LBB45_1526:
	s_or_b64 exec, exec, s[6:7]
	s_and_saveexec_b64 s[6:7], s[4:5]
	s_cbranch_execz .LBB45_1528
.LBB45_1527:
	v_bfe_u32 v3, v5, 16, 3
	v_ffbh_u32_e32 v7, v3
	v_min_u32_e32 v7, 32, v7
	v_lshrrev_b32_e32 v4, 19, v5
	v_subrev_u32_e32 v8, 28, v7
	v_and_b32_e32 v4, 15, v4
	v_lshlrev_b32_sdwa v8, v8, v5 dst_sel:DWORD dst_unused:UNUSED_PAD src0_sel:DWORD src1_sel:WORD_1
	v_bfe_u32 v6, v5, 19, 4
	v_sub_u32_e32 v7, 29, v7
	v_and_b32_e32 v8, 7, v8
	v_cmp_eq_u16_e32 vcc, 0, v4
	v_cndmask_b32_e32 v3, v3, v8, vcc
	v_cndmask_b32_e32 v4, v6, v7, vcc
	v_lshlrev_b32_e32 v6, 8, v5
	v_mov_b32_e32 v7, 0x3b800000
	v_lshlrev_b32_e32 v3, 20, v3
	v_and_b32_e32 v6, 0x80000000, v6
	v_lshl_add_u32 v4, v4, 23, v7
	v_or3_b32 v4, v6, v4, v3
.LBB45_1528:
	s_or_b64 exec, exec, s[6:7]
	s_nop 0
	v_mfma_f32_16x16x4f32 a[0:3], v2, v4, a[0:3]
	s_movk_i32 s4, 0x7f
	v_cmp_gt_i16_sdwa s[6:7], v9, s4 src0_sel:BYTE_3 src1_sel:DWORD
	s_mov_b64 s[4:5], 0
                                        ; implicit-def: $sgpr10
	s_and_saveexec_b64 s[8:9], s[6:7]
	s_xor_b64 s[6:7], exec, s[8:9]
	s_cbranch_execnz .LBB45_3577
; %bb.1529:
	s_or_saveexec_b64 s[6:7], s[6:7]
	v_mov_b32_e32 v2, s10
	s_xor_b64 exec, exec, s[6:7]
	s_cbranch_execnz .LBB45_3580
.LBB45_1530:
	s_or_b64 exec, exec, s[6:7]
	s_and_saveexec_b64 s[6:7], s[4:5]
	s_cbranch_execz .LBB45_1532
.LBB45_1531:
	v_bfe_u32 v2, v9, 24, 3
	v_ffbh_u32_e32 v7, v2
	v_min_u32_e32 v7, 32, v7
	v_lshrrev_b32_e32 v4, 27, v9
	v_subrev_u32_e32 v8, 28, v7
	v_and_b32_e32 v4, 15, v4
	v_lshlrev_b32_sdwa v8, v8, v9 dst_sel:DWORD dst_unused:UNUSED_PAD src0_sel:DWORD src1_sel:BYTE_3
	v_bfe_u32 v6, v9, 27, 4
	v_sub_u32_e32 v7, 29, v7
	v_and_b32_e32 v8, 7, v8
	v_cmp_eq_u16_e32 vcc, 0, v4
	v_cndmask_b32_e32 v2, v2, v8, vcc
	v_cndmask_b32_e32 v4, v6, v7, vcc
	v_mov_b32_e32 v6, 0x3b800000
	v_and_b32_e32 v3, 0x80000000, v9
	v_lshlrev_b32_e32 v2, 20, v2
	v_lshl_add_u32 v4, v4, 23, v6
	v_or3_b32 v2, v3, v4, v2
.LBB45_1532:
	s_or_b64 exec, exec, s[6:7]
	s_movk_i32 s4, 0x7f
	v_cmp_gt_i16_sdwa s[6:7], v5, s4 src0_sel:BYTE_3 src1_sel:DWORD
	s_mov_b64 s[4:5], 0
                                        ; implicit-def: $sgpr10
	s_and_saveexec_b64 s[8:9], s[6:7]
	s_xor_b64 s[6:7], exec, s[8:9]
	s_cbranch_execnz .LBB45_3581
; %bb.1533:
	s_or_saveexec_b64 s[6:7], s[6:7]
	v_mov_b32_e32 v3, s10
	s_xor_b64 exec, exec, s[6:7]
	s_cbranch_execnz .LBB45_3584
.LBB45_1534:
	s_or_b64 exec, exec, s[6:7]
	s_and_saveexec_b64 s[6:7], s[4:5]
	s_cbranch_execz .LBB45_1536
.LBB45_1535:
	v_bfe_u32 v3, v5, 24, 3
	v_ffbh_u32_e32 v8, v3
	v_min_u32_e32 v8, 32, v8
	v_lshrrev_b32_e32 v6, 27, v5
	v_subrev_u32_e32 v9, 28, v8
	v_and_b32_e32 v4, 0x80000000, v5
	v_and_b32_e32 v6, 15, v6
	v_bfe_u32 v7, v5, 27, 4
	v_lshlrev_b32_sdwa v5, v9, v5 dst_sel:DWORD dst_unused:UNUSED_PAD src0_sel:DWORD src1_sel:BYTE_3
	v_sub_u32_e32 v8, 29, v8
	v_and_b32_e32 v5, 7, v5
	v_cmp_eq_u16_e32 vcc, 0, v6
	v_cndmask_b32_e32 v3, v3, v5, vcc
	v_cndmask_b32_e32 v5, v7, v8, vcc
	v_mov_b32_e32 v6, 0x3b800000
	v_lshlrev_b32_e32 v3, 20, v3
	v_lshl_add_u32 v5, v5, 23, v6
	v_or3_b32 v3, v4, v5, v3
.LBB45_1536:
	s_or_b64 exec, exec, s[6:7]
	s_nop 0
	v_mfma_f32_16x16x4f32 a[0:3], v2, v3, a[0:3]
	s_movk_i32 s4, 0x7f
                                        ; implicit-def: $sgpr10
	s_nop 7
	s_nop 1
	flat_store_dwordx4 v[18:19], a[0:3] offset:208
	flat_load_dwordx4 v[20:23], v[0:1] offset:8
	s_nop 0
	flat_load_dwordx2 v[18:19], v[0:1] offset:24
	s_waitcnt vmcnt(0) lgkmcnt(0)
	flat_load_dwordx4 v[14:17], v[20:21] offset:32
	flat_load_dwordx4 v[6:9], v[20:21] offset:48
	;; [unrolled: 1-line block ×4, first 2 shown]
	s_waitcnt vmcnt(0) lgkmcnt(0)
	v_cmp_gt_i16_sdwa s[6:7], v14, s4 src0_sel:BYTE_0 src1_sel:DWORD
	s_mov_b64 s[4:5], 0
	s_and_saveexec_b64 s[8:9], s[6:7]
	s_xor_b64 s[6:7], exec, s[8:9]
	s_cbranch_execnz .LBB45_3585
; %bb.1537:
	s_or_saveexec_b64 s[6:7], s[6:7]
	v_mov_b32_e32 v20, s10
	s_xor_b64 exec, exec, s[6:7]
	s_cbranch_execnz .LBB45_3588
.LBB45_1538:
	s_or_b64 exec, exec, s[6:7]
	s_and_saveexec_b64 s[6:7], s[4:5]
	s_cbranch_execz .LBB45_1540
.LBB45_1539:
	v_and_b32_e32 v20, 7, v14
	v_ffbh_u32_e32 v22, v20
	v_min_u32_e32 v22, 32, v22
	v_lshrrev_b16_e32 v21, 3, v14
	v_subrev_u32_e32 v23, 28, v22
	v_and_b32_e32 v21, 15, v21
	v_lshlrev_b32_e32 v23, v23, v14
	v_sub_u32_e32 v22, 29, v22
	v_and_b32_e32 v23, 7, v23
	v_cmp_eq_u16_e32 vcc, 0, v21
	v_cndmask_b32_e32 v20, v20, v23, vcc
	v_cndmask_b32_e32 v21, v21, v22, vcc
	v_lshlrev_b32_e32 v22, 24, v14
	v_mov_b32_e32 v23, 0x3b800000
	v_lshlrev_b32_e32 v20, 20, v20
	v_and_b32_e32 v22, 0x80000000, v22
	v_lshl_add_u32 v21, v21, 23, v23
	v_or3_b32 v20, v22, v21, v20
.LBB45_1540:
	s_or_b64 exec, exec, s[6:7]
	s_movk_i32 s4, 0x7f
	v_cmp_gt_i16_sdwa s[6:7], v10, s4 src0_sel:BYTE_0 src1_sel:DWORD
	s_mov_b64 s[4:5], 0
                                        ; implicit-def: $sgpr10
	s_and_saveexec_b64 s[8:9], s[6:7]
	s_xor_b64 s[6:7], exec, s[8:9]
	s_cbranch_execnz .LBB45_3589
; %bb.1541:
	s_or_saveexec_b64 s[6:7], s[6:7]
	v_mov_b32_e32 v21, s10
	s_xor_b64 exec, exec, s[6:7]
	s_cbranch_execnz .LBB45_3592
.LBB45_1542:
	s_or_b64 exec, exec, s[6:7]
	s_and_saveexec_b64 s[6:7], s[4:5]
	s_cbranch_execz .LBB45_1544
.LBB45_1543:
	v_and_b32_e32 v21, 7, v10
	v_ffbh_u32_e32 v23, v21
	v_min_u32_e32 v23, 32, v23
	v_lshrrev_b16_e32 v22, 3, v10
	v_subrev_u32_e32 v24, 28, v23
	v_and_b32_e32 v22, 15, v22
	v_lshlrev_b32_e32 v24, v24, v10
	v_sub_u32_e32 v23, 29, v23
	v_and_b32_e32 v24, 7, v24
	v_cmp_eq_u16_e32 vcc, 0, v22
	v_cndmask_b32_e32 v21, v21, v24, vcc
	v_cndmask_b32_e32 v22, v22, v23, vcc
	v_lshlrev_b32_e32 v23, 24, v10
	v_mov_b32_e32 v24, 0x3b800000
	v_lshlrev_b32_e32 v21, 20, v21
	v_and_b32_e32 v23, 0x80000000, v23
	v_lshl_add_u32 v22, v22, 23, v24
	v_or3_b32 v21, v23, v22, v21
.LBB45_1544:
	s_or_b64 exec, exec, s[6:7]
	flat_load_dwordx4 a[0:3], v[18:19] offset:224
	s_movk_i32 s4, 0x7f
                                        ; implicit-def: $sgpr10
	s_waitcnt vmcnt(0) lgkmcnt(0)
	v_mfma_f32_16x16x4f32 a[0:3], v20, v21, a[0:3]
	v_lshrrev_b32_e32 v21, 8, v14
	v_cmp_gt_i16_sdwa s[6:7], v21, s4 src0_sel:BYTE_0 src1_sel:DWORD
	s_mov_b64 s[4:5], 0
	s_and_saveexec_b64 s[8:9], s[6:7]
	s_xor_b64 s[6:7], exec, s[8:9]
	s_cbranch_execnz .LBB45_3593
; %bb.1545:
	s_or_saveexec_b64 s[6:7], s[6:7]
	v_mov_b32_e32 v20, s10
	s_xor_b64 exec, exec, s[6:7]
	s_cbranch_execnz .LBB45_3596
.LBB45_1546:
	s_or_b64 exec, exec, s[6:7]
	s_and_saveexec_b64 s[6:7], s[4:5]
	s_cbranch_execz .LBB45_1548
.LBB45_1547:
	v_bfe_u32 v20, v14, 8, 3
	v_ffbh_u32_e32 v23, v20
	v_min_u32_e32 v23, 32, v23
	v_lshrrev_b16_e32 v22, 3, v21
	v_subrev_u32_e32 v24, 28, v23
	v_and_b32_e32 v22, 15, v22
	v_lshlrev_b32_e32 v21, v24, v21
	v_sub_u32_e32 v23, 29, v23
	v_and_b32_e32 v21, 7, v21
	v_cmp_eq_u16_e32 vcc, 0, v22
	v_cndmask_b32_e32 v20, v20, v21, vcc
	v_cndmask_b32_e32 v21, v22, v23, vcc
	v_lshlrev_b32_e32 v22, 16, v14
	v_mov_b32_e32 v23, 0x3b800000
	v_lshlrev_b32_e32 v20, 20, v20
	v_and_b32_e32 v22, 0x80000000, v22
	v_lshl_add_u32 v21, v21, 23, v23
	v_or3_b32 v20, v22, v21, v20
.LBB45_1548:
	s_or_b64 exec, exec, s[6:7]
	v_lshrrev_b32_e32 v21, 8, v10
	s_movk_i32 s4, 0x7f
	v_cmp_gt_i16_sdwa s[6:7], v21, s4 src0_sel:BYTE_0 src1_sel:DWORD
	s_mov_b64 s[4:5], 0
                                        ; implicit-def: $sgpr10
	s_and_saveexec_b64 s[8:9], s[6:7]
	s_xor_b64 s[6:7], exec, s[8:9]
	s_cbranch_execnz .LBB45_3597
; %bb.1549:
	s_or_saveexec_b64 s[6:7], s[6:7]
	v_mov_b32_e32 v22, s10
	s_xor_b64 exec, exec, s[6:7]
	s_cbranch_execnz .LBB45_3600
.LBB45_1550:
	s_or_b64 exec, exec, s[6:7]
	s_and_saveexec_b64 s[6:7], s[4:5]
	s_cbranch_execz .LBB45_1552
.LBB45_1551:
	v_bfe_u32 v22, v10, 8, 3
	v_ffbh_u32_e32 v24, v22
	v_min_u32_e32 v24, 32, v24
	v_lshrrev_b16_e32 v23, 3, v21
	v_subrev_u32_e32 v25, 28, v24
	v_and_b32_e32 v23, 15, v23
	v_lshlrev_b32_e32 v21, v25, v21
	v_sub_u32_e32 v24, 29, v24
	v_and_b32_e32 v21, 7, v21
	v_cmp_eq_u16_e32 vcc, 0, v23
	v_cndmask_b32_e32 v21, v22, v21, vcc
	v_cndmask_b32_e32 v22, v23, v24, vcc
	v_lshlrev_b32_e32 v23, 16, v10
	v_mov_b32_e32 v24, 0x3b800000
	v_lshlrev_b32_e32 v21, 20, v21
	v_and_b32_e32 v23, 0x80000000, v23
	v_lshl_add_u32 v22, v22, 23, v24
	v_or3_b32 v22, v23, v22, v21
.LBB45_1552:
	s_or_b64 exec, exec, s[6:7]
	s_nop 0
	v_mfma_f32_16x16x4f32 a[0:3], v20, v22, a[0:3]
	s_movk_i32 s4, 0xff
	v_and_b32_sdwa v21, v14, s4 dst_sel:DWORD dst_unused:UNUSED_PAD src0_sel:WORD_1 src1_sel:DWORD
	s_movk_i32 s4, 0x7f
	v_cmp_lt_i16_e32 vcc, s4, v21
	s_mov_b64 s[4:5], 0
                                        ; implicit-def: $sgpr10
	s_and_saveexec_b64 s[6:7], vcc
	s_xor_b64 s[6:7], exec, s[6:7]
	s_cbranch_execnz .LBB45_3601
; %bb.1553:
	s_or_saveexec_b64 s[6:7], s[6:7]
	v_mov_b32_e32 v20, s10
	s_xor_b64 exec, exec, s[6:7]
	s_cbranch_execnz .LBB45_3604
.LBB45_1554:
	s_or_b64 exec, exec, s[6:7]
	s_and_saveexec_b64 s[6:7], s[4:5]
	s_cbranch_execz .LBB45_1556
.LBB45_1555:
	v_bfe_u32 v20, v14, 16, 3
	v_ffbh_u32_e32 v23, v20
	v_min_u32_e32 v23, 32, v23
	v_lshrrev_b32_e32 v21, 19, v14
	v_subrev_u32_e32 v24, 28, v23
	v_and_b32_e32 v21, 15, v21
	v_lshlrev_b32_sdwa v24, v24, v14 dst_sel:DWORD dst_unused:UNUSED_PAD src0_sel:DWORD src1_sel:WORD_1
	v_bfe_u32 v22, v14, 19, 4
	v_sub_u32_e32 v23, 29, v23
	v_and_b32_e32 v24, 7, v24
	v_cmp_eq_u16_e32 vcc, 0, v21
	v_cndmask_b32_e32 v20, v20, v24, vcc
	v_cndmask_b32_e32 v21, v22, v23, vcc
	v_lshlrev_b32_e32 v22, 8, v14
	v_mov_b32_e32 v23, 0x3b800000
	v_lshlrev_b32_e32 v20, 20, v20
	v_and_b32_e32 v22, 0x80000000, v22
	v_lshl_add_u32 v21, v21, 23, v23
	v_or3_b32 v20, v22, v21, v20
.LBB45_1556:
	s_or_b64 exec, exec, s[6:7]
	s_movk_i32 s4, 0xff
	v_and_b32_sdwa v21, v10, s4 dst_sel:DWORD dst_unused:UNUSED_PAD src0_sel:WORD_1 src1_sel:DWORD
	s_movk_i32 s4, 0x7f
	v_cmp_lt_i16_e32 vcc, s4, v21
	s_mov_b64 s[4:5], 0
                                        ; implicit-def: $sgpr10
	s_and_saveexec_b64 s[6:7], vcc
	s_xor_b64 s[6:7], exec, s[6:7]
	s_cbranch_execnz .LBB45_3605
; %bb.1557:
	s_or_saveexec_b64 s[6:7], s[6:7]
	v_mov_b32_e32 v22, s10
	s_xor_b64 exec, exec, s[6:7]
	s_cbranch_execnz .LBB45_3608
.LBB45_1558:
	s_or_b64 exec, exec, s[6:7]
	s_and_saveexec_b64 s[6:7], s[4:5]
	s_cbranch_execz .LBB45_1560
.LBB45_1559:
	v_bfe_u32 v21, v10, 16, 3
	v_ffbh_u32_e32 v24, v21
	v_min_u32_e32 v24, 32, v24
	v_lshrrev_b32_e32 v22, 19, v10
	v_subrev_u32_e32 v25, 28, v24
	v_and_b32_e32 v22, 15, v22
	v_lshlrev_b32_sdwa v25, v25, v10 dst_sel:DWORD dst_unused:UNUSED_PAD src0_sel:DWORD src1_sel:WORD_1
	v_bfe_u32 v23, v10, 19, 4
	v_sub_u32_e32 v24, 29, v24
	v_and_b32_e32 v25, 7, v25
	v_cmp_eq_u16_e32 vcc, 0, v22
	v_cndmask_b32_e32 v21, v21, v25, vcc
	v_cndmask_b32_e32 v22, v23, v24, vcc
	v_lshlrev_b32_e32 v23, 8, v10
	v_mov_b32_e32 v24, 0x3b800000
	v_lshlrev_b32_e32 v21, 20, v21
	v_and_b32_e32 v23, 0x80000000, v23
	v_lshl_add_u32 v22, v22, 23, v24
	v_or3_b32 v22, v23, v22, v21
.LBB45_1560:
	s_or_b64 exec, exec, s[6:7]
	s_nop 0
	v_mfma_f32_16x16x4f32 a[0:3], v20, v22, a[0:3]
	s_movk_i32 s4, 0x7f
	v_cmp_gt_i16_sdwa s[6:7], v14, s4 src0_sel:BYTE_3 src1_sel:DWORD
	s_mov_b64 s[4:5], 0
                                        ; implicit-def: $sgpr10
	s_and_saveexec_b64 s[8:9], s[6:7]
	s_xor_b64 s[6:7], exec, s[8:9]
	s_cbranch_execnz .LBB45_3609
; %bb.1561:
	s_or_saveexec_b64 s[6:7], s[6:7]
	v_mov_b32_e32 v20, s10
	s_xor_b64 exec, exec, s[6:7]
	s_cbranch_execnz .LBB45_3612
.LBB45_1562:
	s_or_b64 exec, exec, s[6:7]
	s_and_saveexec_b64 s[6:7], s[4:5]
	s_cbranch_execz .LBB45_1564
.LBB45_1563:
	v_bfe_u32 v20, v14, 24, 3
	v_ffbh_u32_e32 v24, v20
	v_min_u32_e32 v24, 32, v24
	v_lshrrev_b32_e32 v22, 27, v14
	v_subrev_u32_e32 v25, 28, v24
	v_and_b32_e32 v21, 0x80000000, v14
	v_and_b32_e32 v22, 15, v22
	v_bfe_u32 v23, v14, 27, 4
	v_lshlrev_b32_sdwa v14, v25, v14 dst_sel:DWORD dst_unused:UNUSED_PAD src0_sel:DWORD src1_sel:BYTE_3
	v_sub_u32_e32 v24, 29, v24
	v_and_b32_e32 v14, 7, v14
	v_cmp_eq_u16_e32 vcc, 0, v22
	v_cndmask_b32_e32 v14, v20, v14, vcc
	v_cndmask_b32_e32 v20, v23, v24, vcc
	v_mov_b32_e32 v22, 0x3b800000
	v_lshlrev_b32_e32 v14, 20, v14
	v_lshl_add_u32 v20, v20, 23, v22
	v_or3_b32 v20, v21, v20, v14
.LBB45_1564:
	s_or_b64 exec, exec, s[6:7]
	s_movk_i32 s4, 0x7f
	v_cmp_gt_i16_sdwa s[6:7], v10, s4 src0_sel:BYTE_3 src1_sel:DWORD
	s_mov_b64 s[4:5], 0
                                        ; implicit-def: $sgpr10
	s_and_saveexec_b64 s[8:9], s[6:7]
	s_xor_b64 s[6:7], exec, s[8:9]
	s_cbranch_execnz .LBB45_3613
; %bb.1565:
	s_or_saveexec_b64 s[6:7], s[6:7]
	v_mov_b32_e32 v14, s10
	s_xor_b64 exec, exec, s[6:7]
	s_cbranch_execnz .LBB45_3616
.LBB45_1566:
	s_or_b64 exec, exec, s[6:7]
	s_and_saveexec_b64 s[6:7], s[4:5]
	s_cbranch_execz .LBB45_1568
.LBB45_1567:
	v_bfe_u32 v14, v10, 24, 3
	v_ffbh_u32_e32 v24, v14
	v_min_u32_e32 v24, 32, v24
	v_lshrrev_b32_e32 v22, 27, v10
	v_subrev_u32_e32 v25, 28, v24
	v_and_b32_e32 v21, 0x80000000, v10
	v_and_b32_e32 v22, 15, v22
	v_bfe_u32 v23, v10, 27, 4
	v_lshlrev_b32_sdwa v10, v25, v10 dst_sel:DWORD dst_unused:UNUSED_PAD src0_sel:DWORD src1_sel:BYTE_3
	v_sub_u32_e32 v24, 29, v24
	v_and_b32_e32 v10, 7, v10
	v_cmp_eq_u16_e32 vcc, 0, v22
	v_cndmask_b32_e32 v10, v14, v10, vcc
	v_cndmask_b32_e32 v14, v23, v24, vcc
	v_mov_b32_e32 v22, 0x3b800000
	v_lshlrev_b32_e32 v10, 20, v10
	v_lshl_add_u32 v14, v14, 23, v22
	v_or3_b32 v14, v21, v14, v10
.LBB45_1568:
	s_or_b64 exec, exec, s[6:7]
	s_nop 0
	v_mfma_f32_16x16x4f32 a[0:3], v20, v14, a[0:3]
	s_movk_i32 s4, 0x7f
	v_cmp_gt_i16_sdwa s[6:7], v15, s4 src0_sel:BYTE_0 src1_sel:DWORD
	s_mov_b64 s[4:5], 0
                                        ; implicit-def: $sgpr10
	s_and_saveexec_b64 s[8:9], s[6:7]
	s_xor_b64 s[6:7], exec, s[8:9]
	s_cbranch_execnz .LBB45_3617
; %bb.1569:
	s_or_saveexec_b64 s[6:7], s[6:7]
	v_mov_b32_e32 v10, s10
	s_xor_b64 exec, exec, s[6:7]
	s_cbranch_execnz .LBB45_3620
.LBB45_1570:
	s_or_b64 exec, exec, s[6:7]
	s_and_saveexec_b64 s[6:7], s[4:5]
	s_cbranch_execz .LBB45_1572
.LBB45_1571:
	v_and_b32_e32 v10, 7, v15
	v_ffbh_u32_e32 v20, v10
	v_min_u32_e32 v20, 32, v20
	v_lshrrev_b16_e32 v14, 3, v15
	v_subrev_u32_e32 v21, 28, v20
	v_and_b32_e32 v14, 15, v14
	v_lshlrev_b32_e32 v21, v21, v15
	v_sub_u32_e32 v20, 29, v20
	v_and_b32_e32 v21, 7, v21
	v_cmp_eq_u16_e32 vcc, 0, v14
	v_cndmask_b32_e32 v10, v10, v21, vcc
	v_cndmask_b32_e32 v14, v14, v20, vcc
	v_lshlrev_b32_e32 v20, 24, v15
	v_mov_b32_e32 v21, 0x3b800000
	v_lshlrev_b32_e32 v10, 20, v10
	v_and_b32_e32 v20, 0x80000000, v20
	v_lshl_add_u32 v14, v14, 23, v21
	v_or3_b32 v10, v20, v14, v10
.LBB45_1572:
	s_or_b64 exec, exec, s[6:7]
	s_movk_i32 s4, 0x7f
	v_cmp_gt_i16_sdwa s[6:7], v11, s4 src0_sel:BYTE_0 src1_sel:DWORD
	s_mov_b64 s[4:5], 0
                                        ; implicit-def: $sgpr10
	s_and_saveexec_b64 s[8:9], s[6:7]
	s_xor_b64 s[6:7], exec, s[8:9]
	s_cbranch_execnz .LBB45_3621
; %bb.1573:
	s_or_saveexec_b64 s[6:7], s[6:7]
	v_mov_b32_e32 v14, s10
	s_xor_b64 exec, exec, s[6:7]
	s_cbranch_execnz .LBB45_3624
.LBB45_1574:
	s_or_b64 exec, exec, s[6:7]
	s_and_saveexec_b64 s[6:7], s[4:5]
	s_cbranch_execz .LBB45_1576
.LBB45_1575:
	v_and_b32_e32 v14, 7, v11
	v_ffbh_u32_e32 v21, v14
	v_min_u32_e32 v21, 32, v21
	v_lshrrev_b16_e32 v20, 3, v11
	v_subrev_u32_e32 v22, 28, v21
	v_and_b32_e32 v20, 15, v20
	v_lshlrev_b32_e32 v22, v22, v11
	v_sub_u32_e32 v21, 29, v21
	v_and_b32_e32 v22, 7, v22
	v_cmp_eq_u16_e32 vcc, 0, v20
	v_cndmask_b32_e32 v14, v14, v22, vcc
	v_cndmask_b32_e32 v20, v20, v21, vcc
	v_lshlrev_b32_e32 v21, 24, v11
	v_mov_b32_e32 v22, 0x3b800000
	v_lshlrev_b32_e32 v14, 20, v14
	v_and_b32_e32 v21, 0x80000000, v21
	v_lshl_add_u32 v20, v20, 23, v22
	v_or3_b32 v14, v21, v20, v14
.LBB45_1576:
	s_or_b64 exec, exec, s[6:7]
	s_nop 0
	v_mfma_f32_16x16x4f32 a[0:3], v10, v14, a[0:3]
	v_lshrrev_b32_e32 v14, 8, v15
	s_movk_i32 s4, 0x7f
	v_cmp_gt_i16_sdwa s[6:7], v14, s4 src0_sel:BYTE_0 src1_sel:DWORD
	s_mov_b64 s[4:5], 0
                                        ; implicit-def: $sgpr10
	s_and_saveexec_b64 s[8:9], s[6:7]
	s_xor_b64 s[6:7], exec, s[8:9]
	s_cbranch_execnz .LBB45_3625
; %bb.1577:
	s_or_saveexec_b64 s[6:7], s[6:7]
	v_mov_b32_e32 v10, s10
	s_xor_b64 exec, exec, s[6:7]
	s_cbranch_execnz .LBB45_3628
.LBB45_1578:
	s_or_b64 exec, exec, s[6:7]
	s_and_saveexec_b64 s[6:7], s[4:5]
	s_cbranch_execz .LBB45_1580
.LBB45_1579:
	v_bfe_u32 v10, v15, 8, 3
	v_ffbh_u32_e32 v21, v10
	v_min_u32_e32 v21, 32, v21
	v_lshrrev_b16_e32 v20, 3, v14
	v_subrev_u32_e32 v22, 28, v21
	v_and_b32_e32 v20, 15, v20
	v_lshlrev_b32_e32 v14, v22, v14
	v_sub_u32_e32 v21, 29, v21
	v_and_b32_e32 v14, 7, v14
	v_cmp_eq_u16_e32 vcc, 0, v20
	v_cndmask_b32_e32 v10, v10, v14, vcc
	v_cndmask_b32_e32 v14, v20, v21, vcc
	v_lshlrev_b32_e32 v20, 16, v15
	v_mov_b32_e32 v21, 0x3b800000
	v_lshlrev_b32_e32 v10, 20, v10
	v_and_b32_e32 v20, 0x80000000, v20
	v_lshl_add_u32 v14, v14, 23, v21
	v_or3_b32 v10, v20, v14, v10
.LBB45_1580:
	s_or_b64 exec, exec, s[6:7]
	v_lshrrev_b32_e32 v14, 8, v11
	s_movk_i32 s4, 0x7f
	v_cmp_gt_i16_sdwa s[6:7], v14, s4 src0_sel:BYTE_0 src1_sel:DWORD
	s_mov_b64 s[4:5], 0
                                        ; implicit-def: $sgpr10
	s_and_saveexec_b64 s[8:9], s[6:7]
	s_xor_b64 s[6:7], exec, s[8:9]
	s_cbranch_execnz .LBB45_3629
; %bb.1581:
	s_or_saveexec_b64 s[6:7], s[6:7]
	v_mov_b32_e32 v20, s10
	s_xor_b64 exec, exec, s[6:7]
	s_cbranch_execnz .LBB45_3632
.LBB45_1582:
	s_or_b64 exec, exec, s[6:7]
	s_and_saveexec_b64 s[6:7], s[4:5]
	s_cbranch_execz .LBB45_1584
.LBB45_1583:
	v_bfe_u32 v20, v11, 8, 3
	v_ffbh_u32_e32 v22, v20
	v_min_u32_e32 v22, 32, v22
	v_lshrrev_b16_e32 v21, 3, v14
	v_subrev_u32_e32 v23, 28, v22
	v_and_b32_e32 v21, 15, v21
	v_lshlrev_b32_e32 v14, v23, v14
	v_sub_u32_e32 v22, 29, v22
	v_and_b32_e32 v14, 7, v14
	v_cmp_eq_u16_e32 vcc, 0, v21
	v_cndmask_b32_e32 v14, v20, v14, vcc
	v_cndmask_b32_e32 v20, v21, v22, vcc
	v_lshlrev_b32_e32 v21, 16, v11
	v_mov_b32_e32 v22, 0x3b800000
	v_lshlrev_b32_e32 v14, 20, v14
	v_and_b32_e32 v21, 0x80000000, v21
	v_lshl_add_u32 v20, v20, 23, v22
	v_or3_b32 v20, v21, v20, v14
.LBB45_1584:
	s_or_b64 exec, exec, s[6:7]
	s_nop 0
	v_mfma_f32_16x16x4f32 a[0:3], v10, v20, a[0:3]
	s_movk_i32 s4, 0xff
	v_and_b32_sdwa v14, v15, s4 dst_sel:DWORD dst_unused:UNUSED_PAD src0_sel:WORD_1 src1_sel:DWORD
	s_movk_i32 s4, 0x7f
	v_cmp_lt_i16_e32 vcc, s4, v14
	s_mov_b64 s[4:5], 0
                                        ; implicit-def: $sgpr10
	s_and_saveexec_b64 s[6:7], vcc
	s_xor_b64 s[6:7], exec, s[6:7]
	s_cbranch_execnz .LBB45_3633
; %bb.1585:
	s_or_saveexec_b64 s[6:7], s[6:7]
	v_mov_b32_e32 v10, s10
	s_xor_b64 exec, exec, s[6:7]
	s_cbranch_execnz .LBB45_3636
.LBB45_1586:
	s_or_b64 exec, exec, s[6:7]
	s_and_saveexec_b64 s[6:7], s[4:5]
	s_cbranch_execz .LBB45_1588
.LBB45_1587:
	v_bfe_u32 v10, v15, 16, 3
	v_ffbh_u32_e32 v21, v10
	v_min_u32_e32 v21, 32, v21
	v_lshrrev_b32_e32 v14, 19, v15
	v_subrev_u32_e32 v22, 28, v21
	v_and_b32_e32 v14, 15, v14
	v_lshlrev_b32_sdwa v22, v22, v15 dst_sel:DWORD dst_unused:UNUSED_PAD src0_sel:DWORD src1_sel:WORD_1
	v_bfe_u32 v20, v15, 19, 4
	v_sub_u32_e32 v21, 29, v21
	v_and_b32_e32 v22, 7, v22
	v_cmp_eq_u16_e32 vcc, 0, v14
	v_cndmask_b32_e32 v10, v10, v22, vcc
	v_cndmask_b32_e32 v14, v20, v21, vcc
	v_lshlrev_b32_e32 v20, 8, v15
	v_mov_b32_e32 v21, 0x3b800000
	v_lshlrev_b32_e32 v10, 20, v10
	v_and_b32_e32 v20, 0x80000000, v20
	v_lshl_add_u32 v14, v14, 23, v21
	v_or3_b32 v10, v20, v14, v10
.LBB45_1588:
	s_or_b64 exec, exec, s[6:7]
	s_movk_i32 s4, 0xff
	v_and_b32_sdwa v14, v11, s4 dst_sel:DWORD dst_unused:UNUSED_PAD src0_sel:WORD_1 src1_sel:DWORD
	s_movk_i32 s4, 0x7f
	v_cmp_lt_i16_e32 vcc, s4, v14
	s_mov_b64 s[4:5], 0
                                        ; implicit-def: $sgpr10
	s_and_saveexec_b64 s[6:7], vcc
	s_xor_b64 s[6:7], exec, s[6:7]
	s_cbranch_execnz .LBB45_3637
; %bb.1589:
	s_or_saveexec_b64 s[6:7], s[6:7]
	v_mov_b32_e32 v20, s10
	s_xor_b64 exec, exec, s[6:7]
	s_cbranch_execnz .LBB45_3640
.LBB45_1590:
	s_or_b64 exec, exec, s[6:7]
	s_and_saveexec_b64 s[6:7], s[4:5]
	s_cbranch_execz .LBB45_1592
.LBB45_1591:
	v_bfe_u32 v14, v11, 16, 3
	v_ffbh_u32_e32 v22, v14
	v_min_u32_e32 v22, 32, v22
	v_lshrrev_b32_e32 v20, 19, v11
	v_subrev_u32_e32 v23, 28, v22
	v_and_b32_e32 v20, 15, v20
	v_lshlrev_b32_sdwa v23, v23, v11 dst_sel:DWORD dst_unused:UNUSED_PAD src0_sel:DWORD src1_sel:WORD_1
	v_bfe_u32 v21, v11, 19, 4
	v_sub_u32_e32 v22, 29, v22
	v_and_b32_e32 v23, 7, v23
	v_cmp_eq_u16_e32 vcc, 0, v20
	v_cndmask_b32_e32 v14, v14, v23, vcc
	v_cndmask_b32_e32 v20, v21, v22, vcc
	v_lshlrev_b32_e32 v21, 8, v11
	v_mov_b32_e32 v22, 0x3b800000
	v_lshlrev_b32_e32 v14, 20, v14
	v_and_b32_e32 v21, 0x80000000, v21
	v_lshl_add_u32 v20, v20, 23, v22
	v_or3_b32 v20, v21, v20, v14
.LBB45_1592:
	s_or_b64 exec, exec, s[6:7]
	s_nop 0
	v_mfma_f32_16x16x4f32 a[0:3], v10, v20, a[0:3]
	s_movk_i32 s4, 0x7f
	v_cmp_gt_i16_sdwa s[6:7], v15, s4 src0_sel:BYTE_3 src1_sel:DWORD
	s_mov_b64 s[4:5], 0
                                        ; implicit-def: $sgpr10
	s_and_saveexec_b64 s[8:9], s[6:7]
	s_xor_b64 s[6:7], exec, s[8:9]
	s_cbranch_execnz .LBB45_3641
; %bb.1593:
	s_or_saveexec_b64 s[6:7], s[6:7]
	v_mov_b32_e32 v10, s10
	s_xor_b64 exec, exec, s[6:7]
	s_cbranch_execnz .LBB45_3644
.LBB45_1594:
	s_or_b64 exec, exec, s[6:7]
	s_and_saveexec_b64 s[6:7], s[4:5]
	s_cbranch_execz .LBB45_1596
.LBB45_1595:
	v_bfe_u32 v10, v15, 24, 3
	v_ffbh_u32_e32 v22, v10
	v_min_u32_e32 v22, 32, v22
	v_lshrrev_b32_e32 v20, 27, v15
	v_subrev_u32_e32 v23, 28, v22
	v_and_b32_e32 v14, 0x80000000, v15
	v_and_b32_e32 v20, 15, v20
	v_bfe_u32 v21, v15, 27, 4
	v_lshlrev_b32_sdwa v15, v23, v15 dst_sel:DWORD dst_unused:UNUSED_PAD src0_sel:DWORD src1_sel:BYTE_3
	v_sub_u32_e32 v22, 29, v22
	v_and_b32_e32 v15, 7, v15
	v_cmp_eq_u16_e32 vcc, 0, v20
	v_cndmask_b32_e32 v10, v10, v15, vcc
	v_cndmask_b32_e32 v15, v21, v22, vcc
	v_mov_b32_e32 v20, 0x3b800000
	v_lshlrev_b32_e32 v10, 20, v10
	v_lshl_add_u32 v15, v15, 23, v20
	v_or3_b32 v10, v14, v15, v10
.LBB45_1596:
	s_or_b64 exec, exec, s[6:7]
	s_movk_i32 s4, 0x7f
	v_cmp_gt_i16_sdwa s[6:7], v11, s4 src0_sel:BYTE_3 src1_sel:DWORD
	s_mov_b64 s[4:5], 0
                                        ; implicit-def: $sgpr10
	s_and_saveexec_b64 s[8:9], s[6:7]
	s_xor_b64 s[6:7], exec, s[8:9]
	s_cbranch_execnz .LBB45_3645
; %bb.1597:
	s_or_saveexec_b64 s[6:7], s[6:7]
	v_mov_b32_e32 v14, s10
	s_xor_b64 exec, exec, s[6:7]
	s_cbranch_execnz .LBB45_3648
.LBB45_1598:
	s_or_b64 exec, exec, s[6:7]
	s_and_saveexec_b64 s[6:7], s[4:5]
	s_cbranch_execz .LBB45_1600
.LBB45_1599:
	v_bfe_u32 v14, v11, 24, 3
	v_ffbh_u32_e32 v22, v14
	v_min_u32_e32 v22, 32, v22
	v_lshrrev_b32_e32 v20, 27, v11
	v_subrev_u32_e32 v23, 28, v22
	v_and_b32_e32 v15, 0x80000000, v11
	v_and_b32_e32 v20, 15, v20
	v_bfe_u32 v21, v11, 27, 4
	v_lshlrev_b32_sdwa v11, v23, v11 dst_sel:DWORD dst_unused:UNUSED_PAD src0_sel:DWORD src1_sel:BYTE_3
	v_sub_u32_e32 v22, 29, v22
	v_and_b32_e32 v11, 7, v11
	v_cmp_eq_u16_e32 vcc, 0, v20
	v_cndmask_b32_e32 v11, v14, v11, vcc
	v_cndmask_b32_e32 v14, v21, v22, vcc
	v_mov_b32_e32 v20, 0x3b800000
	v_lshlrev_b32_e32 v11, 20, v11
	v_lshl_add_u32 v14, v14, 23, v20
	v_or3_b32 v14, v15, v14, v11
.LBB45_1600:
	s_or_b64 exec, exec, s[6:7]
	s_nop 0
	v_mfma_f32_16x16x4f32 a[0:3], v10, v14, a[0:3]
	s_movk_i32 s4, 0x7f
	v_cmp_gt_i16_sdwa s[6:7], v16, s4 src0_sel:BYTE_0 src1_sel:DWORD
	s_mov_b64 s[4:5], 0
                                        ; implicit-def: $sgpr10
	s_and_saveexec_b64 s[8:9], s[6:7]
	s_xor_b64 s[6:7], exec, s[8:9]
	s_cbranch_execnz .LBB45_3649
; %bb.1601:
	s_or_saveexec_b64 s[6:7], s[6:7]
	v_mov_b32_e32 v10, s10
	s_xor_b64 exec, exec, s[6:7]
	s_cbranch_execnz .LBB45_3652
.LBB45_1602:
	s_or_b64 exec, exec, s[6:7]
	s_and_saveexec_b64 s[6:7], s[4:5]
	s_cbranch_execz .LBB45_1604
.LBB45_1603:
	v_and_b32_e32 v10, 7, v16
	v_ffbh_u32_e32 v14, v10
	v_min_u32_e32 v14, 32, v14
	v_lshrrev_b16_e32 v11, 3, v16
	v_subrev_u32_e32 v15, 28, v14
	v_and_b32_e32 v11, 15, v11
	v_lshlrev_b32_e32 v15, v15, v16
	v_sub_u32_e32 v14, 29, v14
	v_and_b32_e32 v15, 7, v15
	v_cmp_eq_u16_e32 vcc, 0, v11
	v_cndmask_b32_e32 v10, v10, v15, vcc
	v_cndmask_b32_e32 v11, v11, v14, vcc
	v_lshlrev_b32_e32 v14, 24, v16
	v_mov_b32_e32 v15, 0x3b800000
	v_lshlrev_b32_e32 v10, 20, v10
	v_and_b32_e32 v14, 0x80000000, v14
	v_lshl_add_u32 v11, v11, 23, v15
	v_or3_b32 v10, v14, v11, v10
.LBB45_1604:
	s_or_b64 exec, exec, s[6:7]
	s_movk_i32 s4, 0x7f
	v_cmp_gt_i16_sdwa s[6:7], v12, s4 src0_sel:BYTE_0 src1_sel:DWORD
	s_mov_b64 s[4:5], 0
                                        ; implicit-def: $sgpr10
	s_and_saveexec_b64 s[8:9], s[6:7]
	s_xor_b64 s[6:7], exec, s[8:9]
	s_cbranch_execnz .LBB45_3653
; %bb.1605:
	s_or_saveexec_b64 s[6:7], s[6:7]
	v_mov_b32_e32 v11, s10
	s_xor_b64 exec, exec, s[6:7]
	s_cbranch_execnz .LBB45_3656
.LBB45_1606:
	s_or_b64 exec, exec, s[6:7]
	s_and_saveexec_b64 s[6:7], s[4:5]
	s_cbranch_execz .LBB45_1608
.LBB45_1607:
	v_and_b32_e32 v11, 7, v12
	v_ffbh_u32_e32 v15, v11
	v_min_u32_e32 v15, 32, v15
	v_lshrrev_b16_e32 v14, 3, v12
	v_subrev_u32_e32 v20, 28, v15
	v_and_b32_e32 v14, 15, v14
	v_lshlrev_b32_e32 v20, v20, v12
	v_sub_u32_e32 v15, 29, v15
	v_and_b32_e32 v20, 7, v20
	v_cmp_eq_u16_e32 vcc, 0, v14
	v_cndmask_b32_e32 v11, v11, v20, vcc
	v_cndmask_b32_e32 v14, v14, v15, vcc
	v_lshlrev_b32_e32 v15, 24, v12
	v_mov_b32_e32 v20, 0x3b800000
	v_lshlrev_b32_e32 v11, 20, v11
	v_and_b32_e32 v15, 0x80000000, v15
	v_lshl_add_u32 v14, v14, 23, v20
	v_or3_b32 v11, v15, v14, v11
.LBB45_1608:
	s_or_b64 exec, exec, s[6:7]
	s_nop 0
	v_mfma_f32_16x16x4f32 a[0:3], v10, v11, a[0:3]
	v_lshrrev_b32_e32 v11, 8, v16
	s_movk_i32 s4, 0x7f
	v_cmp_gt_i16_sdwa s[6:7], v11, s4 src0_sel:BYTE_0 src1_sel:DWORD
	s_mov_b64 s[4:5], 0
                                        ; implicit-def: $sgpr10
	s_and_saveexec_b64 s[8:9], s[6:7]
	s_xor_b64 s[6:7], exec, s[8:9]
	s_cbranch_execnz .LBB45_3657
; %bb.1609:
	s_or_saveexec_b64 s[6:7], s[6:7]
	v_mov_b32_e32 v10, s10
	s_xor_b64 exec, exec, s[6:7]
	s_cbranch_execnz .LBB45_3660
.LBB45_1610:
	s_or_b64 exec, exec, s[6:7]
	s_and_saveexec_b64 s[6:7], s[4:5]
	s_cbranch_execz .LBB45_1612
.LBB45_1611:
	v_bfe_u32 v10, v16, 8, 3
	v_ffbh_u32_e32 v15, v10
	v_min_u32_e32 v15, 32, v15
	v_lshrrev_b16_e32 v14, 3, v11
	v_subrev_u32_e32 v20, 28, v15
	v_and_b32_e32 v14, 15, v14
	v_lshlrev_b32_e32 v11, v20, v11
	v_sub_u32_e32 v15, 29, v15
	v_and_b32_e32 v11, 7, v11
	v_cmp_eq_u16_e32 vcc, 0, v14
	v_cndmask_b32_e32 v10, v10, v11, vcc
	v_cndmask_b32_e32 v11, v14, v15, vcc
	v_lshlrev_b32_e32 v14, 16, v16
	v_mov_b32_e32 v15, 0x3b800000
	v_lshlrev_b32_e32 v10, 20, v10
	v_and_b32_e32 v14, 0x80000000, v14
	v_lshl_add_u32 v11, v11, 23, v15
	v_or3_b32 v10, v14, v11, v10
.LBB45_1612:
	s_or_b64 exec, exec, s[6:7]
	v_lshrrev_b32_e32 v11, 8, v12
	s_movk_i32 s4, 0x7f
	v_cmp_gt_i16_sdwa s[6:7], v11, s4 src0_sel:BYTE_0 src1_sel:DWORD
	s_mov_b64 s[4:5], 0
                                        ; implicit-def: $sgpr10
	s_and_saveexec_b64 s[8:9], s[6:7]
	s_xor_b64 s[6:7], exec, s[8:9]
	s_cbranch_execnz .LBB45_3661
; %bb.1613:
	s_or_saveexec_b64 s[6:7], s[6:7]
	v_mov_b32_e32 v14, s10
	s_xor_b64 exec, exec, s[6:7]
	s_cbranch_execnz .LBB45_3664
.LBB45_1614:
	s_or_b64 exec, exec, s[6:7]
	s_and_saveexec_b64 s[6:7], s[4:5]
	s_cbranch_execz .LBB45_1616
.LBB45_1615:
	v_bfe_u32 v14, v12, 8, 3
	v_ffbh_u32_e32 v20, v14
	v_min_u32_e32 v20, 32, v20
	v_lshrrev_b16_e32 v15, 3, v11
	v_subrev_u32_e32 v21, 28, v20
	v_and_b32_e32 v15, 15, v15
	v_lshlrev_b32_e32 v11, v21, v11
	v_sub_u32_e32 v20, 29, v20
	v_and_b32_e32 v11, 7, v11
	v_cmp_eq_u16_e32 vcc, 0, v15
	v_cndmask_b32_e32 v11, v14, v11, vcc
	v_cndmask_b32_e32 v14, v15, v20, vcc
	v_lshlrev_b32_e32 v15, 16, v12
	v_mov_b32_e32 v20, 0x3b800000
	v_lshlrev_b32_e32 v11, 20, v11
	v_and_b32_e32 v15, 0x80000000, v15
	v_lshl_add_u32 v14, v14, 23, v20
	v_or3_b32 v14, v15, v14, v11
.LBB45_1616:
	s_or_b64 exec, exec, s[6:7]
	s_nop 0
	v_mfma_f32_16x16x4f32 a[0:3], v10, v14, a[0:3]
	s_movk_i32 s4, 0xff
	v_and_b32_sdwa v11, v16, s4 dst_sel:DWORD dst_unused:UNUSED_PAD src0_sel:WORD_1 src1_sel:DWORD
	s_movk_i32 s4, 0x7f
	v_cmp_lt_i16_e32 vcc, s4, v11
	s_mov_b64 s[4:5], 0
                                        ; implicit-def: $sgpr10
	s_and_saveexec_b64 s[6:7], vcc
	s_xor_b64 s[6:7], exec, s[6:7]
	s_cbranch_execnz .LBB45_3665
; %bb.1617:
	s_or_saveexec_b64 s[6:7], s[6:7]
	v_mov_b32_e32 v10, s10
	s_xor_b64 exec, exec, s[6:7]
	s_cbranch_execnz .LBB45_3668
.LBB45_1618:
	s_or_b64 exec, exec, s[6:7]
	s_and_saveexec_b64 s[6:7], s[4:5]
	s_cbranch_execz .LBB45_1620
.LBB45_1619:
	v_bfe_u32 v10, v16, 16, 3
	v_ffbh_u32_e32 v15, v10
	v_min_u32_e32 v15, 32, v15
	v_lshrrev_b32_e32 v11, 19, v16
	v_subrev_u32_e32 v20, 28, v15
	v_and_b32_e32 v11, 15, v11
	v_lshlrev_b32_sdwa v20, v20, v16 dst_sel:DWORD dst_unused:UNUSED_PAD src0_sel:DWORD src1_sel:WORD_1
	v_bfe_u32 v14, v16, 19, 4
	v_sub_u32_e32 v15, 29, v15
	v_and_b32_e32 v20, 7, v20
	v_cmp_eq_u16_e32 vcc, 0, v11
	v_cndmask_b32_e32 v10, v10, v20, vcc
	v_cndmask_b32_e32 v11, v14, v15, vcc
	v_lshlrev_b32_e32 v14, 8, v16
	v_mov_b32_e32 v15, 0x3b800000
	v_lshlrev_b32_e32 v10, 20, v10
	v_and_b32_e32 v14, 0x80000000, v14
	v_lshl_add_u32 v11, v11, 23, v15
	v_or3_b32 v10, v14, v11, v10
.LBB45_1620:
	s_or_b64 exec, exec, s[6:7]
	s_movk_i32 s4, 0xff
	v_and_b32_sdwa v11, v12, s4 dst_sel:DWORD dst_unused:UNUSED_PAD src0_sel:WORD_1 src1_sel:DWORD
	s_movk_i32 s4, 0x7f
	v_cmp_lt_i16_e32 vcc, s4, v11
	s_mov_b64 s[4:5], 0
                                        ; implicit-def: $sgpr10
	s_and_saveexec_b64 s[6:7], vcc
	s_xor_b64 s[6:7], exec, s[6:7]
	s_cbranch_execnz .LBB45_3669
; %bb.1621:
	s_or_saveexec_b64 s[6:7], s[6:7]
	v_mov_b32_e32 v14, s10
	s_xor_b64 exec, exec, s[6:7]
	s_cbranch_execnz .LBB45_3672
.LBB45_1622:
	s_or_b64 exec, exec, s[6:7]
	s_and_saveexec_b64 s[6:7], s[4:5]
	s_cbranch_execz .LBB45_1624
.LBB45_1623:
	v_bfe_u32 v11, v12, 16, 3
	v_ffbh_u32_e32 v20, v11
	v_min_u32_e32 v20, 32, v20
	v_lshrrev_b32_e32 v14, 19, v12
	v_subrev_u32_e32 v21, 28, v20
	v_and_b32_e32 v14, 15, v14
	v_lshlrev_b32_sdwa v21, v21, v12 dst_sel:DWORD dst_unused:UNUSED_PAD src0_sel:DWORD src1_sel:WORD_1
	v_bfe_u32 v15, v12, 19, 4
	v_sub_u32_e32 v20, 29, v20
	v_and_b32_e32 v21, 7, v21
	v_cmp_eq_u16_e32 vcc, 0, v14
	v_cndmask_b32_e32 v11, v11, v21, vcc
	v_cndmask_b32_e32 v14, v15, v20, vcc
	v_lshlrev_b32_e32 v15, 8, v12
	v_mov_b32_e32 v20, 0x3b800000
	v_lshlrev_b32_e32 v11, 20, v11
	v_and_b32_e32 v15, 0x80000000, v15
	v_lshl_add_u32 v14, v14, 23, v20
	v_or3_b32 v14, v15, v14, v11
.LBB45_1624:
	s_or_b64 exec, exec, s[6:7]
	s_nop 0
	v_mfma_f32_16x16x4f32 a[0:3], v10, v14, a[0:3]
	s_movk_i32 s4, 0x7f
	v_cmp_gt_i16_sdwa s[6:7], v16, s4 src0_sel:BYTE_3 src1_sel:DWORD
	s_mov_b64 s[4:5], 0
                                        ; implicit-def: $sgpr10
	s_and_saveexec_b64 s[8:9], s[6:7]
	s_xor_b64 s[6:7], exec, s[8:9]
	s_cbranch_execnz .LBB45_3673
; %bb.1625:
	s_or_saveexec_b64 s[6:7], s[6:7]
	v_mov_b32_e32 v10, s10
	s_xor_b64 exec, exec, s[6:7]
	s_cbranch_execnz .LBB45_3676
.LBB45_1626:
	s_or_b64 exec, exec, s[6:7]
	s_and_saveexec_b64 s[6:7], s[4:5]
	s_cbranch_execz .LBB45_1628
.LBB45_1627:
	v_bfe_u32 v10, v16, 24, 3
	v_ffbh_u32_e32 v20, v10
	v_min_u32_e32 v20, 32, v20
	v_lshrrev_b32_e32 v14, 27, v16
	v_subrev_u32_e32 v21, 28, v20
	v_and_b32_e32 v11, 0x80000000, v16
	v_and_b32_e32 v14, 15, v14
	v_bfe_u32 v15, v16, 27, 4
	v_lshlrev_b32_sdwa v16, v21, v16 dst_sel:DWORD dst_unused:UNUSED_PAD src0_sel:DWORD src1_sel:BYTE_3
	v_sub_u32_e32 v20, 29, v20
	v_and_b32_e32 v16, 7, v16
	v_cmp_eq_u16_e32 vcc, 0, v14
	v_cndmask_b32_e32 v10, v10, v16, vcc
	v_cndmask_b32_e32 v14, v15, v20, vcc
	v_mov_b32_e32 v15, 0x3b800000
	v_lshlrev_b32_e32 v10, 20, v10
	v_lshl_add_u32 v14, v14, 23, v15
	v_or3_b32 v10, v11, v14, v10
.LBB45_1628:
	s_or_b64 exec, exec, s[6:7]
	s_movk_i32 s4, 0x7f
	v_cmp_gt_i16_sdwa s[6:7], v12, s4 src0_sel:BYTE_3 src1_sel:DWORD
	s_mov_b64 s[4:5], 0
                                        ; implicit-def: $sgpr10
	s_and_saveexec_b64 s[8:9], s[6:7]
	s_xor_b64 s[6:7], exec, s[8:9]
	s_cbranch_execnz .LBB45_3677
; %bb.1629:
	s_or_saveexec_b64 s[6:7], s[6:7]
	v_mov_b32_e32 v11, s10
	s_xor_b64 exec, exec, s[6:7]
	s_cbranch_execnz .LBB45_3680
.LBB45_1630:
	s_or_b64 exec, exec, s[6:7]
	s_and_saveexec_b64 s[6:7], s[4:5]
	s_cbranch_execz .LBB45_1632
.LBB45_1631:
	v_bfe_u32 v11, v12, 24, 3
	v_ffbh_u32_e32 v20, v11
	v_min_u32_e32 v20, 32, v20
	v_lshrrev_b32_e32 v15, 27, v12
	v_subrev_u32_e32 v21, 28, v20
	v_and_b32_e32 v14, 0x80000000, v12
	v_and_b32_e32 v15, 15, v15
	v_bfe_u32 v16, v12, 27, 4
	v_lshlrev_b32_sdwa v12, v21, v12 dst_sel:DWORD dst_unused:UNUSED_PAD src0_sel:DWORD src1_sel:BYTE_3
	v_sub_u32_e32 v20, 29, v20
	v_and_b32_e32 v12, 7, v12
	v_cmp_eq_u16_e32 vcc, 0, v15
	v_cndmask_b32_e32 v11, v11, v12, vcc
	v_cndmask_b32_e32 v12, v16, v20, vcc
	v_mov_b32_e32 v15, 0x3b800000
	v_lshlrev_b32_e32 v11, 20, v11
	v_lshl_add_u32 v12, v12, 23, v15
	v_or3_b32 v11, v14, v12, v11
.LBB45_1632:
	s_or_b64 exec, exec, s[6:7]
	s_nop 0
	v_mfma_f32_16x16x4f32 a[0:3], v10, v11, a[0:3]
	s_movk_i32 s4, 0x7f
	v_cmp_gt_i16_sdwa s[6:7], v17, s4 src0_sel:BYTE_0 src1_sel:DWORD
	s_mov_b64 s[4:5], 0
                                        ; implicit-def: $sgpr10
	s_and_saveexec_b64 s[8:9], s[6:7]
	s_xor_b64 s[6:7], exec, s[8:9]
	s_cbranch_execnz .LBB45_3681
; %bb.1633:
	s_or_saveexec_b64 s[6:7], s[6:7]
	v_mov_b32_e32 v10, s10
	s_xor_b64 exec, exec, s[6:7]
	s_cbranch_execnz .LBB45_3684
.LBB45_1634:
	s_or_b64 exec, exec, s[6:7]
	s_and_saveexec_b64 s[6:7], s[4:5]
	s_cbranch_execz .LBB45_1636
.LBB45_1635:
	v_and_b32_e32 v10, 7, v17
	v_ffbh_u32_e32 v12, v10
	v_min_u32_e32 v12, 32, v12
	v_lshrrev_b16_e32 v11, 3, v17
	v_subrev_u32_e32 v14, 28, v12
	v_and_b32_e32 v11, 15, v11
	v_lshlrev_b32_e32 v14, v14, v17
	v_sub_u32_e32 v12, 29, v12
	v_and_b32_e32 v14, 7, v14
	v_cmp_eq_u16_e32 vcc, 0, v11
	v_cndmask_b32_e32 v10, v10, v14, vcc
	v_cndmask_b32_e32 v11, v11, v12, vcc
	v_lshlrev_b32_e32 v12, 24, v17
	v_mov_b32_e32 v14, 0x3b800000
	v_lshlrev_b32_e32 v10, 20, v10
	v_and_b32_e32 v12, 0x80000000, v12
	v_lshl_add_u32 v11, v11, 23, v14
	v_or3_b32 v10, v12, v11, v10
.LBB45_1636:
	s_or_b64 exec, exec, s[6:7]
	s_movk_i32 s4, 0x7f
	v_cmp_gt_i16_sdwa s[6:7], v13, s4 src0_sel:BYTE_0 src1_sel:DWORD
	s_mov_b64 s[4:5], 0
                                        ; implicit-def: $sgpr10
	s_and_saveexec_b64 s[8:9], s[6:7]
	s_xor_b64 s[6:7], exec, s[8:9]
	s_cbranch_execnz .LBB45_3685
; %bb.1637:
	s_or_saveexec_b64 s[6:7], s[6:7]
	v_mov_b32_e32 v11, s10
	s_xor_b64 exec, exec, s[6:7]
	s_cbranch_execnz .LBB45_3688
.LBB45_1638:
	s_or_b64 exec, exec, s[6:7]
	s_and_saveexec_b64 s[6:7], s[4:5]
	s_cbranch_execz .LBB45_1640
.LBB45_1639:
	v_and_b32_e32 v11, 7, v13
	v_ffbh_u32_e32 v14, v11
	v_min_u32_e32 v14, 32, v14
	v_lshrrev_b16_e32 v12, 3, v13
	v_subrev_u32_e32 v15, 28, v14
	v_and_b32_e32 v12, 15, v12
	v_lshlrev_b32_e32 v15, v15, v13
	v_sub_u32_e32 v14, 29, v14
	v_and_b32_e32 v15, 7, v15
	v_cmp_eq_u16_e32 vcc, 0, v12
	v_cndmask_b32_e32 v11, v11, v15, vcc
	v_cndmask_b32_e32 v12, v12, v14, vcc
	v_lshlrev_b32_e32 v14, 24, v13
	v_mov_b32_e32 v15, 0x3b800000
	v_lshlrev_b32_e32 v11, 20, v11
	v_and_b32_e32 v14, 0x80000000, v14
	v_lshl_add_u32 v12, v12, 23, v15
	v_or3_b32 v11, v14, v12, v11
.LBB45_1640:
	s_or_b64 exec, exec, s[6:7]
	s_nop 0
	v_mfma_f32_16x16x4f32 a[0:3], v10, v11, a[0:3]
	v_lshrrev_b32_e32 v11, 8, v17
	s_movk_i32 s4, 0x7f
	v_cmp_gt_i16_sdwa s[6:7], v11, s4 src0_sel:BYTE_0 src1_sel:DWORD
	s_mov_b64 s[4:5], 0
                                        ; implicit-def: $sgpr10
	s_and_saveexec_b64 s[8:9], s[6:7]
	s_xor_b64 s[6:7], exec, s[8:9]
	s_cbranch_execnz .LBB45_3689
; %bb.1641:
	s_or_saveexec_b64 s[6:7], s[6:7]
	v_mov_b32_e32 v10, s10
	s_xor_b64 exec, exec, s[6:7]
	s_cbranch_execnz .LBB45_3692
.LBB45_1642:
	s_or_b64 exec, exec, s[6:7]
	s_and_saveexec_b64 s[6:7], s[4:5]
	s_cbranch_execz .LBB45_1644
.LBB45_1643:
	v_bfe_u32 v10, v17, 8, 3
	v_ffbh_u32_e32 v14, v10
	v_min_u32_e32 v14, 32, v14
	v_lshrrev_b16_e32 v12, 3, v11
	v_subrev_u32_e32 v15, 28, v14
	v_and_b32_e32 v12, 15, v12
	v_lshlrev_b32_e32 v11, v15, v11
	v_sub_u32_e32 v14, 29, v14
	v_and_b32_e32 v11, 7, v11
	v_cmp_eq_u16_e32 vcc, 0, v12
	v_cndmask_b32_e32 v10, v10, v11, vcc
	v_cndmask_b32_e32 v11, v12, v14, vcc
	v_lshlrev_b32_e32 v12, 16, v17
	v_mov_b32_e32 v14, 0x3b800000
	v_lshlrev_b32_e32 v10, 20, v10
	v_and_b32_e32 v12, 0x80000000, v12
	v_lshl_add_u32 v11, v11, 23, v14
	v_or3_b32 v10, v12, v11, v10
.LBB45_1644:
	s_or_b64 exec, exec, s[6:7]
	v_lshrrev_b32_e32 v11, 8, v13
	s_movk_i32 s4, 0x7f
	v_cmp_gt_i16_sdwa s[6:7], v11, s4 src0_sel:BYTE_0 src1_sel:DWORD
	s_mov_b64 s[4:5], 0
                                        ; implicit-def: $sgpr10
	s_and_saveexec_b64 s[8:9], s[6:7]
	s_xor_b64 s[6:7], exec, s[8:9]
	s_cbranch_execnz .LBB45_3693
; %bb.1645:
	s_or_saveexec_b64 s[6:7], s[6:7]
	v_mov_b32_e32 v12, s10
	s_xor_b64 exec, exec, s[6:7]
	s_cbranch_execnz .LBB45_3696
.LBB45_1646:
	s_or_b64 exec, exec, s[6:7]
	s_and_saveexec_b64 s[6:7], s[4:5]
	s_cbranch_execz .LBB45_1648
.LBB45_1647:
	v_bfe_u32 v12, v13, 8, 3
	v_ffbh_u32_e32 v15, v12
	v_min_u32_e32 v15, 32, v15
	v_lshrrev_b16_e32 v14, 3, v11
	v_subrev_u32_e32 v16, 28, v15
	v_and_b32_e32 v14, 15, v14
	v_lshlrev_b32_e32 v11, v16, v11
	v_sub_u32_e32 v15, 29, v15
	v_and_b32_e32 v11, 7, v11
	v_cmp_eq_u16_e32 vcc, 0, v14
	v_cndmask_b32_e32 v11, v12, v11, vcc
	v_cndmask_b32_e32 v12, v14, v15, vcc
	v_lshlrev_b32_e32 v14, 16, v13
	v_mov_b32_e32 v15, 0x3b800000
	v_lshlrev_b32_e32 v11, 20, v11
	v_and_b32_e32 v14, 0x80000000, v14
	v_lshl_add_u32 v12, v12, 23, v15
	v_or3_b32 v12, v14, v12, v11
.LBB45_1648:
	s_or_b64 exec, exec, s[6:7]
	s_nop 0
	v_mfma_f32_16x16x4f32 a[0:3], v10, v12, a[0:3]
	s_movk_i32 s4, 0xff
	v_and_b32_sdwa v11, v17, s4 dst_sel:DWORD dst_unused:UNUSED_PAD src0_sel:WORD_1 src1_sel:DWORD
	s_movk_i32 s4, 0x7f
	v_cmp_lt_i16_e32 vcc, s4, v11
	s_mov_b64 s[4:5], 0
                                        ; implicit-def: $sgpr10
	s_and_saveexec_b64 s[6:7], vcc
	s_xor_b64 s[6:7], exec, s[6:7]
	s_cbranch_execnz .LBB45_3697
; %bb.1649:
	s_or_saveexec_b64 s[6:7], s[6:7]
	v_mov_b32_e32 v10, s10
	s_xor_b64 exec, exec, s[6:7]
	s_cbranch_execnz .LBB45_3700
.LBB45_1650:
	s_or_b64 exec, exec, s[6:7]
	s_and_saveexec_b64 s[6:7], s[4:5]
	s_cbranch_execz .LBB45_1652
.LBB45_1651:
	v_bfe_u32 v10, v17, 16, 3
	v_ffbh_u32_e32 v14, v10
	v_min_u32_e32 v14, 32, v14
	v_lshrrev_b32_e32 v11, 19, v17
	v_subrev_u32_e32 v15, 28, v14
	v_and_b32_e32 v11, 15, v11
	v_lshlrev_b32_sdwa v15, v15, v17 dst_sel:DWORD dst_unused:UNUSED_PAD src0_sel:DWORD src1_sel:WORD_1
	v_bfe_u32 v12, v17, 19, 4
	v_sub_u32_e32 v14, 29, v14
	v_and_b32_e32 v15, 7, v15
	v_cmp_eq_u16_e32 vcc, 0, v11
	v_cndmask_b32_e32 v10, v10, v15, vcc
	v_cndmask_b32_e32 v11, v12, v14, vcc
	v_lshlrev_b32_e32 v12, 8, v17
	v_mov_b32_e32 v14, 0x3b800000
	v_lshlrev_b32_e32 v10, 20, v10
	v_and_b32_e32 v12, 0x80000000, v12
	v_lshl_add_u32 v11, v11, 23, v14
	v_or3_b32 v10, v12, v11, v10
.LBB45_1652:
	s_or_b64 exec, exec, s[6:7]
	s_movk_i32 s4, 0xff
	v_and_b32_sdwa v11, v13, s4 dst_sel:DWORD dst_unused:UNUSED_PAD src0_sel:WORD_1 src1_sel:DWORD
	s_movk_i32 s4, 0x7f
	v_cmp_lt_i16_e32 vcc, s4, v11
	s_mov_b64 s[4:5], 0
                                        ; implicit-def: $sgpr10
	s_and_saveexec_b64 s[6:7], vcc
	s_xor_b64 s[6:7], exec, s[6:7]
	s_cbranch_execnz .LBB45_3701
; %bb.1653:
	s_or_saveexec_b64 s[6:7], s[6:7]
	v_mov_b32_e32 v12, s10
	s_xor_b64 exec, exec, s[6:7]
	s_cbranch_execnz .LBB45_3704
.LBB45_1654:
	s_or_b64 exec, exec, s[6:7]
	s_and_saveexec_b64 s[6:7], s[4:5]
	s_cbranch_execz .LBB45_1656
.LBB45_1655:
	v_bfe_u32 v11, v13, 16, 3
	v_ffbh_u32_e32 v15, v11
	v_min_u32_e32 v15, 32, v15
	v_lshrrev_b32_e32 v12, 19, v13
	v_subrev_u32_e32 v16, 28, v15
	v_and_b32_e32 v12, 15, v12
	v_lshlrev_b32_sdwa v16, v16, v13 dst_sel:DWORD dst_unused:UNUSED_PAD src0_sel:DWORD src1_sel:WORD_1
	v_bfe_u32 v14, v13, 19, 4
	v_sub_u32_e32 v15, 29, v15
	v_and_b32_e32 v16, 7, v16
	v_cmp_eq_u16_e32 vcc, 0, v12
	v_cndmask_b32_e32 v11, v11, v16, vcc
	v_cndmask_b32_e32 v12, v14, v15, vcc
	v_lshlrev_b32_e32 v14, 8, v13
	v_mov_b32_e32 v15, 0x3b800000
	v_lshlrev_b32_e32 v11, 20, v11
	v_and_b32_e32 v14, 0x80000000, v14
	v_lshl_add_u32 v12, v12, 23, v15
	v_or3_b32 v12, v14, v12, v11
.LBB45_1656:
	s_or_b64 exec, exec, s[6:7]
	s_nop 0
	v_mfma_f32_16x16x4f32 a[0:3], v10, v12, a[0:3]
	s_movk_i32 s4, 0x7f
	v_cmp_gt_i16_sdwa s[6:7], v17, s4 src0_sel:BYTE_3 src1_sel:DWORD
	s_mov_b64 s[4:5], 0
                                        ; implicit-def: $sgpr10
	s_and_saveexec_b64 s[8:9], s[6:7]
	s_xor_b64 s[6:7], exec, s[8:9]
	s_cbranch_execnz .LBB45_3705
; %bb.1657:
	s_or_saveexec_b64 s[6:7], s[6:7]
	v_mov_b32_e32 v10, s10
	s_xor_b64 exec, exec, s[6:7]
	s_cbranch_execnz .LBB45_3708
.LBB45_1658:
	s_or_b64 exec, exec, s[6:7]
	s_and_saveexec_b64 s[6:7], s[4:5]
	s_cbranch_execz .LBB45_1660
.LBB45_1659:
	v_bfe_u32 v10, v17, 24, 3
	v_ffbh_u32_e32 v15, v10
	v_min_u32_e32 v15, 32, v15
	v_lshrrev_b32_e32 v12, 27, v17
	v_subrev_u32_e32 v16, 28, v15
	v_and_b32_e32 v12, 15, v12
	v_lshlrev_b32_sdwa v16, v16, v17 dst_sel:DWORD dst_unused:UNUSED_PAD src0_sel:DWORD src1_sel:BYTE_3
	v_bfe_u32 v14, v17, 27, 4
	v_sub_u32_e32 v15, 29, v15
	v_and_b32_e32 v16, 7, v16
	v_cmp_eq_u16_e32 vcc, 0, v12
	v_cndmask_b32_e32 v10, v10, v16, vcc
	v_cndmask_b32_e32 v12, v14, v15, vcc
	v_mov_b32_e32 v14, 0x3b800000
	v_and_b32_e32 v11, 0x80000000, v17
	v_lshlrev_b32_e32 v10, 20, v10
	v_lshl_add_u32 v12, v12, 23, v14
	v_or3_b32 v10, v11, v12, v10
.LBB45_1660:
	s_or_b64 exec, exec, s[6:7]
	s_movk_i32 s4, 0x7f
	v_cmp_gt_i16_sdwa s[6:7], v13, s4 src0_sel:BYTE_3 src1_sel:DWORD
	s_mov_b64 s[4:5], 0
                                        ; implicit-def: $sgpr10
	s_and_saveexec_b64 s[8:9], s[6:7]
	s_xor_b64 s[6:7], exec, s[8:9]
	s_cbranch_execnz .LBB45_3709
; %bb.1661:
	s_or_saveexec_b64 s[6:7], s[6:7]
	v_mov_b32_e32 v11, s10
	s_xor_b64 exec, exec, s[6:7]
	s_cbranch_execnz .LBB45_3712
.LBB45_1662:
	s_or_b64 exec, exec, s[6:7]
	s_and_saveexec_b64 s[6:7], s[4:5]
	s_cbranch_execz .LBB45_1664
.LBB45_1663:
	v_bfe_u32 v11, v13, 24, 3
	v_ffbh_u32_e32 v16, v11
	v_min_u32_e32 v16, 32, v16
	v_lshrrev_b32_e32 v14, 27, v13
	v_subrev_u32_e32 v17, 28, v16
	v_and_b32_e32 v12, 0x80000000, v13
	v_and_b32_e32 v14, 15, v14
	v_bfe_u32 v15, v13, 27, 4
	v_lshlrev_b32_sdwa v13, v17, v13 dst_sel:DWORD dst_unused:UNUSED_PAD src0_sel:DWORD src1_sel:BYTE_3
	v_sub_u32_e32 v16, 29, v16
	v_and_b32_e32 v13, 7, v13
	v_cmp_eq_u16_e32 vcc, 0, v14
	v_cndmask_b32_e32 v11, v11, v13, vcc
	v_cndmask_b32_e32 v13, v15, v16, vcc
	v_mov_b32_e32 v14, 0x3b800000
	v_lshlrev_b32_e32 v11, 20, v11
	v_lshl_add_u32 v13, v13, 23, v14
	v_or3_b32 v11, v12, v13, v11
.LBB45_1664:
	s_or_b64 exec, exec, s[6:7]
	s_nop 0
	v_mfma_f32_16x16x4f32 a[0:3], v10, v11, a[0:3]
	s_movk_i32 s4, 0x7f
	v_cmp_gt_i16_sdwa s[6:7], v6, s4 src0_sel:BYTE_0 src1_sel:DWORD
	s_mov_b64 s[4:5], 0
                                        ; implicit-def: $sgpr10
	s_and_saveexec_b64 s[8:9], s[6:7]
	s_xor_b64 s[6:7], exec, s[8:9]
	s_cbranch_execnz .LBB45_3713
; %bb.1665:
	s_or_saveexec_b64 s[6:7], s[6:7]
	v_mov_b32_e32 v10, s10
	s_xor_b64 exec, exec, s[6:7]
	s_cbranch_execnz .LBB45_3716
.LBB45_1666:
	s_or_b64 exec, exec, s[6:7]
	s_and_saveexec_b64 s[6:7], s[4:5]
	s_cbranch_execz .LBB45_1668
.LBB45_1667:
	v_and_b32_e32 v10, 7, v6
	v_ffbh_u32_e32 v12, v10
	v_min_u32_e32 v12, 32, v12
	v_lshrrev_b16_e32 v11, 3, v6
	v_subrev_u32_e32 v13, 28, v12
	v_and_b32_e32 v11, 15, v11
	v_lshlrev_b32_e32 v13, v13, v6
	v_sub_u32_e32 v12, 29, v12
	v_and_b32_e32 v13, 7, v13
	v_cmp_eq_u16_e32 vcc, 0, v11
	v_cndmask_b32_e32 v10, v10, v13, vcc
	v_cndmask_b32_e32 v11, v11, v12, vcc
	v_lshlrev_b32_e32 v12, 24, v6
	v_mov_b32_e32 v13, 0x3b800000
	v_lshlrev_b32_e32 v10, 20, v10
	v_and_b32_e32 v12, 0x80000000, v12
	v_lshl_add_u32 v11, v11, 23, v13
	v_or3_b32 v10, v12, v11, v10
.LBB45_1668:
	s_or_b64 exec, exec, s[6:7]
	s_movk_i32 s4, 0x7f
	v_cmp_gt_i16_sdwa s[6:7], v2, s4 src0_sel:BYTE_0 src1_sel:DWORD
	s_mov_b64 s[4:5], 0
                                        ; implicit-def: $sgpr10
	s_and_saveexec_b64 s[8:9], s[6:7]
	s_xor_b64 s[6:7], exec, s[8:9]
	s_cbranch_execnz .LBB45_3717
; %bb.1669:
	s_or_saveexec_b64 s[6:7], s[6:7]
	v_mov_b32_e32 v11, s10
	s_xor_b64 exec, exec, s[6:7]
	s_cbranch_execnz .LBB45_3720
.LBB45_1670:
	s_or_b64 exec, exec, s[6:7]
	s_and_saveexec_b64 s[6:7], s[4:5]
	s_cbranch_execz .LBB45_1672
.LBB45_1671:
	v_and_b32_e32 v11, 7, v2
	v_ffbh_u32_e32 v13, v11
	v_min_u32_e32 v13, 32, v13
	v_lshrrev_b16_e32 v12, 3, v2
	v_subrev_u32_e32 v14, 28, v13
	v_and_b32_e32 v12, 15, v12
	v_lshlrev_b32_e32 v14, v14, v2
	v_sub_u32_e32 v13, 29, v13
	v_and_b32_e32 v14, 7, v14
	v_cmp_eq_u16_e32 vcc, 0, v12
	v_cndmask_b32_e32 v11, v11, v14, vcc
	v_cndmask_b32_e32 v12, v12, v13, vcc
	v_lshlrev_b32_e32 v13, 24, v2
	v_mov_b32_e32 v14, 0x3b800000
	v_lshlrev_b32_e32 v11, 20, v11
	v_and_b32_e32 v13, 0x80000000, v13
	v_lshl_add_u32 v12, v12, 23, v14
	v_or3_b32 v11, v13, v12, v11
.LBB45_1672:
	s_or_b64 exec, exec, s[6:7]
	s_nop 0
	v_mfma_f32_16x16x4f32 a[0:3], v10, v11, a[0:3]
	v_lshrrev_b32_e32 v11, 8, v6
	s_movk_i32 s4, 0x7f
	v_cmp_gt_i16_sdwa s[6:7], v11, s4 src0_sel:BYTE_0 src1_sel:DWORD
	s_mov_b64 s[4:5], 0
                                        ; implicit-def: $sgpr10
	s_and_saveexec_b64 s[8:9], s[6:7]
	s_xor_b64 s[6:7], exec, s[8:9]
	s_cbranch_execnz .LBB45_3721
; %bb.1673:
	s_or_saveexec_b64 s[6:7], s[6:7]
	v_mov_b32_e32 v10, s10
	s_xor_b64 exec, exec, s[6:7]
	s_cbranch_execnz .LBB45_3724
.LBB45_1674:
	s_or_b64 exec, exec, s[6:7]
	s_and_saveexec_b64 s[6:7], s[4:5]
	s_cbranch_execz .LBB45_1676
.LBB45_1675:
	v_bfe_u32 v10, v6, 8, 3
	v_ffbh_u32_e32 v13, v10
	v_min_u32_e32 v13, 32, v13
	v_lshrrev_b16_e32 v12, 3, v11
	v_subrev_u32_e32 v14, 28, v13
	v_and_b32_e32 v12, 15, v12
	v_lshlrev_b32_e32 v11, v14, v11
	v_sub_u32_e32 v13, 29, v13
	v_and_b32_e32 v11, 7, v11
	v_cmp_eq_u16_e32 vcc, 0, v12
	v_cndmask_b32_e32 v10, v10, v11, vcc
	v_cndmask_b32_e32 v11, v12, v13, vcc
	v_lshlrev_b32_e32 v12, 16, v6
	v_mov_b32_e32 v13, 0x3b800000
	v_lshlrev_b32_e32 v10, 20, v10
	v_and_b32_e32 v12, 0x80000000, v12
	v_lshl_add_u32 v11, v11, 23, v13
	v_or3_b32 v10, v12, v11, v10
.LBB45_1676:
	s_or_b64 exec, exec, s[6:7]
	v_lshrrev_b32_e32 v11, 8, v2
	s_movk_i32 s4, 0x7f
	v_cmp_gt_i16_sdwa s[6:7], v11, s4 src0_sel:BYTE_0 src1_sel:DWORD
	s_mov_b64 s[4:5], 0
                                        ; implicit-def: $sgpr10
	s_and_saveexec_b64 s[8:9], s[6:7]
	s_xor_b64 s[6:7], exec, s[8:9]
	s_cbranch_execnz .LBB45_3725
; %bb.1677:
	s_or_saveexec_b64 s[6:7], s[6:7]
	v_mov_b32_e32 v12, s10
	s_xor_b64 exec, exec, s[6:7]
	s_cbranch_execnz .LBB45_3728
.LBB45_1678:
	s_or_b64 exec, exec, s[6:7]
	s_and_saveexec_b64 s[6:7], s[4:5]
	s_cbranch_execz .LBB45_1680
.LBB45_1679:
	v_bfe_u32 v12, v2, 8, 3
	v_ffbh_u32_e32 v14, v12
	v_min_u32_e32 v14, 32, v14
	v_lshrrev_b16_e32 v13, 3, v11
	v_subrev_u32_e32 v15, 28, v14
	v_and_b32_e32 v13, 15, v13
	v_lshlrev_b32_e32 v11, v15, v11
	v_sub_u32_e32 v14, 29, v14
	v_and_b32_e32 v11, 7, v11
	v_cmp_eq_u16_e32 vcc, 0, v13
	v_cndmask_b32_e32 v11, v12, v11, vcc
	v_cndmask_b32_e32 v12, v13, v14, vcc
	v_lshlrev_b32_e32 v13, 16, v2
	v_mov_b32_e32 v14, 0x3b800000
	v_lshlrev_b32_e32 v11, 20, v11
	v_and_b32_e32 v13, 0x80000000, v13
	v_lshl_add_u32 v12, v12, 23, v14
	v_or3_b32 v12, v13, v12, v11
.LBB45_1680:
	s_or_b64 exec, exec, s[6:7]
	s_nop 0
	v_mfma_f32_16x16x4f32 a[0:3], v10, v12, a[0:3]
	s_movk_i32 s4, 0xff
	v_and_b32_sdwa v11, v6, s4 dst_sel:DWORD dst_unused:UNUSED_PAD src0_sel:WORD_1 src1_sel:DWORD
	s_movk_i32 s4, 0x7f
	v_cmp_lt_i16_e32 vcc, s4, v11
	s_mov_b64 s[4:5], 0
                                        ; implicit-def: $sgpr10
	s_and_saveexec_b64 s[6:7], vcc
	s_xor_b64 s[6:7], exec, s[6:7]
	s_cbranch_execnz .LBB45_3729
; %bb.1681:
	s_or_saveexec_b64 s[6:7], s[6:7]
	v_mov_b32_e32 v10, s10
	s_xor_b64 exec, exec, s[6:7]
	s_cbranch_execnz .LBB45_3732
.LBB45_1682:
	s_or_b64 exec, exec, s[6:7]
	s_and_saveexec_b64 s[6:7], s[4:5]
	s_cbranch_execz .LBB45_1684
.LBB45_1683:
	v_bfe_u32 v10, v6, 16, 3
	v_ffbh_u32_e32 v13, v10
	v_min_u32_e32 v13, 32, v13
	v_lshrrev_b32_e32 v11, 19, v6
	v_subrev_u32_e32 v14, 28, v13
	v_and_b32_e32 v11, 15, v11
	v_lshlrev_b32_sdwa v14, v14, v6 dst_sel:DWORD dst_unused:UNUSED_PAD src0_sel:DWORD src1_sel:WORD_1
	v_bfe_u32 v12, v6, 19, 4
	v_sub_u32_e32 v13, 29, v13
	v_and_b32_e32 v14, 7, v14
	v_cmp_eq_u16_e32 vcc, 0, v11
	v_cndmask_b32_e32 v10, v10, v14, vcc
	v_cndmask_b32_e32 v11, v12, v13, vcc
	v_lshlrev_b32_e32 v12, 8, v6
	v_mov_b32_e32 v13, 0x3b800000
	v_lshlrev_b32_e32 v10, 20, v10
	v_and_b32_e32 v12, 0x80000000, v12
	v_lshl_add_u32 v11, v11, 23, v13
	v_or3_b32 v10, v12, v11, v10
.LBB45_1684:
	s_or_b64 exec, exec, s[6:7]
	s_movk_i32 s4, 0xff
	v_and_b32_sdwa v11, v2, s4 dst_sel:DWORD dst_unused:UNUSED_PAD src0_sel:WORD_1 src1_sel:DWORD
	s_movk_i32 s4, 0x7f
	v_cmp_lt_i16_e32 vcc, s4, v11
	s_mov_b64 s[4:5], 0
                                        ; implicit-def: $sgpr10
	s_and_saveexec_b64 s[6:7], vcc
	s_xor_b64 s[6:7], exec, s[6:7]
	s_cbranch_execnz .LBB45_3733
; %bb.1685:
	s_or_saveexec_b64 s[6:7], s[6:7]
	v_mov_b32_e32 v12, s10
	s_xor_b64 exec, exec, s[6:7]
	s_cbranch_execnz .LBB45_3736
.LBB45_1686:
	s_or_b64 exec, exec, s[6:7]
	s_and_saveexec_b64 s[6:7], s[4:5]
	s_cbranch_execz .LBB45_1688
.LBB45_1687:
	v_bfe_u32 v11, v2, 16, 3
	v_ffbh_u32_e32 v14, v11
	v_min_u32_e32 v14, 32, v14
	v_lshrrev_b32_e32 v12, 19, v2
	v_subrev_u32_e32 v15, 28, v14
	v_and_b32_e32 v12, 15, v12
	v_lshlrev_b32_sdwa v15, v15, v2 dst_sel:DWORD dst_unused:UNUSED_PAD src0_sel:DWORD src1_sel:WORD_1
	v_bfe_u32 v13, v2, 19, 4
	v_sub_u32_e32 v14, 29, v14
	v_and_b32_e32 v15, 7, v15
	v_cmp_eq_u16_e32 vcc, 0, v12
	v_cndmask_b32_e32 v11, v11, v15, vcc
	v_cndmask_b32_e32 v12, v13, v14, vcc
	v_lshlrev_b32_e32 v13, 8, v2
	v_mov_b32_e32 v14, 0x3b800000
	v_lshlrev_b32_e32 v11, 20, v11
	v_and_b32_e32 v13, 0x80000000, v13
	v_lshl_add_u32 v12, v12, 23, v14
	v_or3_b32 v12, v13, v12, v11
.LBB45_1688:
	s_or_b64 exec, exec, s[6:7]
	s_nop 0
	v_mfma_f32_16x16x4f32 a[0:3], v10, v12, a[0:3]
	s_movk_i32 s4, 0x7f
	v_cmp_gt_i16_sdwa s[6:7], v6, s4 src0_sel:BYTE_3 src1_sel:DWORD
	s_mov_b64 s[4:5], 0
                                        ; implicit-def: $sgpr10
	s_and_saveexec_b64 s[8:9], s[6:7]
	s_xor_b64 s[6:7], exec, s[8:9]
	s_cbranch_execnz .LBB45_3737
; %bb.1689:
	s_or_saveexec_b64 s[6:7], s[6:7]
	v_mov_b32_e32 v10, s10
	s_xor_b64 exec, exec, s[6:7]
	s_cbranch_execnz .LBB45_3740
.LBB45_1690:
	s_or_b64 exec, exec, s[6:7]
	s_and_saveexec_b64 s[6:7], s[4:5]
	s_cbranch_execz .LBB45_1692
.LBB45_1691:
	v_bfe_u32 v10, v6, 24, 3
	v_ffbh_u32_e32 v14, v10
	v_min_u32_e32 v14, 32, v14
	v_lshrrev_b32_e32 v12, 27, v6
	v_subrev_u32_e32 v15, 28, v14
	v_and_b32_e32 v11, 0x80000000, v6
	v_and_b32_e32 v12, 15, v12
	v_bfe_u32 v13, v6, 27, 4
	v_lshlrev_b32_sdwa v6, v15, v6 dst_sel:DWORD dst_unused:UNUSED_PAD src0_sel:DWORD src1_sel:BYTE_3
	v_sub_u32_e32 v14, 29, v14
	v_and_b32_e32 v6, 7, v6
	v_cmp_eq_u16_e32 vcc, 0, v12
	v_cndmask_b32_e32 v6, v10, v6, vcc
	v_cndmask_b32_e32 v10, v13, v14, vcc
	v_mov_b32_e32 v12, 0x3b800000
	v_lshlrev_b32_e32 v6, 20, v6
	v_lshl_add_u32 v10, v10, 23, v12
	v_or3_b32 v10, v11, v10, v6
.LBB45_1692:
	s_or_b64 exec, exec, s[6:7]
	s_movk_i32 s4, 0x7f
	v_cmp_gt_i16_sdwa s[6:7], v2, s4 src0_sel:BYTE_3 src1_sel:DWORD
	s_mov_b64 s[4:5], 0
                                        ; implicit-def: $sgpr10
	s_and_saveexec_b64 s[8:9], s[6:7]
	s_xor_b64 s[6:7], exec, s[8:9]
	s_cbranch_execnz .LBB45_3741
; %bb.1693:
	s_or_saveexec_b64 s[6:7], s[6:7]
	v_mov_b32_e32 v6, s10
	s_xor_b64 exec, exec, s[6:7]
	s_cbranch_execnz .LBB45_3744
.LBB45_1694:
	s_or_b64 exec, exec, s[6:7]
	s_and_saveexec_b64 s[6:7], s[4:5]
	s_cbranch_execz .LBB45_1696
.LBB45_1695:
	v_bfe_u32 v6, v2, 24, 3
	v_ffbh_u32_e32 v14, v6
	v_min_u32_e32 v14, 32, v14
	v_lshrrev_b32_e32 v12, 27, v2
	v_subrev_u32_e32 v15, 28, v14
	v_and_b32_e32 v11, 0x80000000, v2
	v_and_b32_e32 v12, 15, v12
	v_bfe_u32 v13, v2, 27, 4
	v_lshlrev_b32_sdwa v2, v15, v2 dst_sel:DWORD dst_unused:UNUSED_PAD src0_sel:DWORD src1_sel:BYTE_3
	v_sub_u32_e32 v14, 29, v14
	v_and_b32_e32 v2, 7, v2
	v_cmp_eq_u16_e32 vcc, 0, v12
	v_cndmask_b32_e32 v2, v6, v2, vcc
	v_cndmask_b32_e32 v6, v13, v14, vcc
	v_mov_b32_e32 v12, 0x3b800000
	v_lshlrev_b32_e32 v2, 20, v2
	v_lshl_add_u32 v6, v6, 23, v12
	v_or3_b32 v6, v11, v6, v2
.LBB45_1696:
	s_or_b64 exec, exec, s[6:7]
	s_nop 0
	v_mfma_f32_16x16x4f32 a[0:3], v10, v6, a[0:3]
	s_movk_i32 s4, 0x7f
	v_cmp_gt_i16_sdwa s[6:7], v7, s4 src0_sel:BYTE_0 src1_sel:DWORD
	s_mov_b64 s[4:5], 0
                                        ; implicit-def: $sgpr10
	s_and_saveexec_b64 s[8:9], s[6:7]
	s_xor_b64 s[6:7], exec, s[8:9]
	s_cbranch_execnz .LBB45_3745
; %bb.1697:
	s_or_saveexec_b64 s[6:7], s[6:7]
	v_mov_b32_e32 v2, s10
	s_xor_b64 exec, exec, s[6:7]
	s_cbranch_execnz .LBB45_3748
.LBB45_1698:
	s_or_b64 exec, exec, s[6:7]
	s_and_saveexec_b64 s[6:7], s[4:5]
	s_cbranch_execz .LBB45_1700
.LBB45_1699:
	v_and_b32_e32 v2, 7, v7
	v_ffbh_u32_e32 v10, v2
	v_min_u32_e32 v10, 32, v10
	v_lshrrev_b16_e32 v6, 3, v7
	v_subrev_u32_e32 v11, 28, v10
	v_and_b32_e32 v6, 15, v6
	v_lshlrev_b32_e32 v11, v11, v7
	v_sub_u32_e32 v10, 29, v10
	v_and_b32_e32 v11, 7, v11
	v_cmp_eq_u16_e32 vcc, 0, v6
	v_cndmask_b32_e32 v2, v2, v11, vcc
	v_cndmask_b32_e32 v6, v6, v10, vcc
	v_lshlrev_b32_e32 v10, 24, v7
	v_mov_b32_e32 v11, 0x3b800000
	v_lshlrev_b32_e32 v2, 20, v2
	v_and_b32_e32 v10, 0x80000000, v10
	v_lshl_add_u32 v6, v6, 23, v11
	v_or3_b32 v2, v10, v6, v2
.LBB45_1700:
	s_or_b64 exec, exec, s[6:7]
	s_movk_i32 s4, 0x7f
	v_cmp_gt_i16_sdwa s[6:7], v3, s4 src0_sel:BYTE_0 src1_sel:DWORD
	s_mov_b64 s[4:5], 0
                                        ; implicit-def: $sgpr10
	s_and_saveexec_b64 s[8:9], s[6:7]
	s_xor_b64 s[6:7], exec, s[8:9]
	s_cbranch_execnz .LBB45_3749
; %bb.1701:
	s_or_saveexec_b64 s[6:7], s[6:7]
	v_mov_b32_e32 v6, s10
	s_xor_b64 exec, exec, s[6:7]
	s_cbranch_execnz .LBB45_3752
.LBB45_1702:
	s_or_b64 exec, exec, s[6:7]
	s_and_saveexec_b64 s[6:7], s[4:5]
	s_cbranch_execz .LBB45_1704
.LBB45_1703:
	v_and_b32_e32 v6, 7, v3
	v_ffbh_u32_e32 v11, v6
	v_min_u32_e32 v11, 32, v11
	v_lshrrev_b16_e32 v10, 3, v3
	v_subrev_u32_e32 v12, 28, v11
	v_and_b32_e32 v10, 15, v10
	v_lshlrev_b32_e32 v12, v12, v3
	v_sub_u32_e32 v11, 29, v11
	v_and_b32_e32 v12, 7, v12
	v_cmp_eq_u16_e32 vcc, 0, v10
	v_cndmask_b32_e32 v6, v6, v12, vcc
	v_cndmask_b32_e32 v10, v10, v11, vcc
	v_lshlrev_b32_e32 v11, 24, v3
	v_mov_b32_e32 v12, 0x3b800000
	v_lshlrev_b32_e32 v6, 20, v6
	v_and_b32_e32 v11, 0x80000000, v11
	v_lshl_add_u32 v10, v10, 23, v12
	v_or3_b32 v6, v11, v10, v6
.LBB45_1704:
	s_or_b64 exec, exec, s[6:7]
	s_nop 0
	v_mfma_f32_16x16x4f32 a[0:3], v2, v6, a[0:3]
	v_lshrrev_b32_e32 v6, 8, v7
	s_movk_i32 s4, 0x7f
	v_cmp_gt_i16_sdwa s[6:7], v6, s4 src0_sel:BYTE_0 src1_sel:DWORD
	s_mov_b64 s[4:5], 0
                                        ; implicit-def: $sgpr10
	s_and_saveexec_b64 s[8:9], s[6:7]
	s_xor_b64 s[6:7], exec, s[8:9]
	s_cbranch_execnz .LBB45_3753
; %bb.1705:
	s_or_saveexec_b64 s[6:7], s[6:7]
	v_mov_b32_e32 v2, s10
	s_xor_b64 exec, exec, s[6:7]
	s_cbranch_execnz .LBB45_3756
.LBB45_1706:
	s_or_b64 exec, exec, s[6:7]
	s_and_saveexec_b64 s[6:7], s[4:5]
	s_cbranch_execz .LBB45_1708
.LBB45_1707:
	v_bfe_u32 v2, v7, 8, 3
	v_ffbh_u32_e32 v11, v2
	v_min_u32_e32 v11, 32, v11
	v_lshrrev_b16_e32 v10, 3, v6
	v_subrev_u32_e32 v12, 28, v11
	v_and_b32_e32 v10, 15, v10
	v_lshlrev_b32_e32 v6, v12, v6
	v_sub_u32_e32 v11, 29, v11
	v_and_b32_e32 v6, 7, v6
	v_cmp_eq_u16_e32 vcc, 0, v10
	v_cndmask_b32_e32 v2, v2, v6, vcc
	v_cndmask_b32_e32 v6, v10, v11, vcc
	v_lshlrev_b32_e32 v10, 16, v7
	v_mov_b32_e32 v11, 0x3b800000
	v_lshlrev_b32_e32 v2, 20, v2
	v_and_b32_e32 v10, 0x80000000, v10
	v_lshl_add_u32 v6, v6, 23, v11
	v_or3_b32 v2, v10, v6, v2
.LBB45_1708:
	s_or_b64 exec, exec, s[6:7]
	v_lshrrev_b32_e32 v6, 8, v3
	s_movk_i32 s4, 0x7f
	v_cmp_gt_i16_sdwa s[6:7], v6, s4 src0_sel:BYTE_0 src1_sel:DWORD
	s_mov_b64 s[4:5], 0
                                        ; implicit-def: $sgpr10
	s_and_saveexec_b64 s[8:9], s[6:7]
	s_xor_b64 s[6:7], exec, s[8:9]
	s_cbranch_execnz .LBB45_3757
; %bb.1709:
	s_or_saveexec_b64 s[6:7], s[6:7]
	v_mov_b32_e32 v10, s10
	s_xor_b64 exec, exec, s[6:7]
	s_cbranch_execnz .LBB45_3760
.LBB45_1710:
	s_or_b64 exec, exec, s[6:7]
	s_and_saveexec_b64 s[6:7], s[4:5]
	s_cbranch_execz .LBB45_1712
.LBB45_1711:
	v_bfe_u32 v10, v3, 8, 3
	v_ffbh_u32_e32 v12, v10
	v_min_u32_e32 v12, 32, v12
	v_lshrrev_b16_e32 v11, 3, v6
	v_subrev_u32_e32 v13, 28, v12
	v_and_b32_e32 v11, 15, v11
	v_lshlrev_b32_e32 v6, v13, v6
	v_sub_u32_e32 v12, 29, v12
	v_and_b32_e32 v6, 7, v6
	v_cmp_eq_u16_e32 vcc, 0, v11
	v_cndmask_b32_e32 v6, v10, v6, vcc
	v_cndmask_b32_e32 v10, v11, v12, vcc
	v_lshlrev_b32_e32 v11, 16, v3
	v_mov_b32_e32 v12, 0x3b800000
	v_lshlrev_b32_e32 v6, 20, v6
	v_and_b32_e32 v11, 0x80000000, v11
	v_lshl_add_u32 v10, v10, 23, v12
	v_or3_b32 v10, v11, v10, v6
.LBB45_1712:
	s_or_b64 exec, exec, s[6:7]
	s_nop 0
	v_mfma_f32_16x16x4f32 a[0:3], v2, v10, a[0:3]
	s_movk_i32 s4, 0xff
	v_and_b32_sdwa v6, v7, s4 dst_sel:DWORD dst_unused:UNUSED_PAD src0_sel:WORD_1 src1_sel:DWORD
	s_movk_i32 s4, 0x7f
	v_cmp_lt_i16_e32 vcc, s4, v6
	s_mov_b64 s[4:5], 0
                                        ; implicit-def: $sgpr10
	s_and_saveexec_b64 s[6:7], vcc
	s_xor_b64 s[6:7], exec, s[6:7]
	s_cbranch_execnz .LBB45_3761
; %bb.1713:
	s_or_saveexec_b64 s[6:7], s[6:7]
	v_mov_b32_e32 v2, s10
	s_xor_b64 exec, exec, s[6:7]
	s_cbranch_execnz .LBB45_3764
.LBB45_1714:
	s_or_b64 exec, exec, s[6:7]
	s_and_saveexec_b64 s[6:7], s[4:5]
	s_cbranch_execz .LBB45_1716
.LBB45_1715:
	v_bfe_u32 v2, v7, 16, 3
	v_ffbh_u32_e32 v11, v2
	v_min_u32_e32 v11, 32, v11
	v_lshrrev_b32_e32 v6, 19, v7
	v_subrev_u32_e32 v12, 28, v11
	v_and_b32_e32 v6, 15, v6
	v_lshlrev_b32_sdwa v12, v12, v7 dst_sel:DWORD dst_unused:UNUSED_PAD src0_sel:DWORD src1_sel:WORD_1
	v_bfe_u32 v10, v7, 19, 4
	v_sub_u32_e32 v11, 29, v11
	v_and_b32_e32 v12, 7, v12
	v_cmp_eq_u16_e32 vcc, 0, v6
	v_cndmask_b32_e32 v2, v2, v12, vcc
	v_cndmask_b32_e32 v6, v10, v11, vcc
	v_lshlrev_b32_e32 v10, 8, v7
	v_mov_b32_e32 v11, 0x3b800000
	v_lshlrev_b32_e32 v2, 20, v2
	v_and_b32_e32 v10, 0x80000000, v10
	v_lshl_add_u32 v6, v6, 23, v11
	v_or3_b32 v2, v10, v6, v2
.LBB45_1716:
	s_or_b64 exec, exec, s[6:7]
	s_movk_i32 s4, 0xff
	v_and_b32_sdwa v6, v3, s4 dst_sel:DWORD dst_unused:UNUSED_PAD src0_sel:WORD_1 src1_sel:DWORD
	s_movk_i32 s4, 0x7f
	v_cmp_lt_i16_e32 vcc, s4, v6
	s_mov_b64 s[4:5], 0
                                        ; implicit-def: $sgpr10
	s_and_saveexec_b64 s[6:7], vcc
	s_xor_b64 s[6:7], exec, s[6:7]
	s_cbranch_execnz .LBB45_3765
; %bb.1717:
	s_or_saveexec_b64 s[6:7], s[6:7]
	v_mov_b32_e32 v10, s10
	s_xor_b64 exec, exec, s[6:7]
	s_cbranch_execnz .LBB45_3768
.LBB45_1718:
	s_or_b64 exec, exec, s[6:7]
	s_and_saveexec_b64 s[6:7], s[4:5]
	s_cbranch_execz .LBB45_1720
.LBB45_1719:
	v_bfe_u32 v6, v3, 16, 3
	v_ffbh_u32_e32 v12, v6
	v_min_u32_e32 v12, 32, v12
	v_lshrrev_b32_e32 v10, 19, v3
	v_subrev_u32_e32 v13, 28, v12
	v_and_b32_e32 v10, 15, v10
	v_lshlrev_b32_sdwa v13, v13, v3 dst_sel:DWORD dst_unused:UNUSED_PAD src0_sel:DWORD src1_sel:WORD_1
	v_bfe_u32 v11, v3, 19, 4
	v_sub_u32_e32 v12, 29, v12
	v_and_b32_e32 v13, 7, v13
	v_cmp_eq_u16_e32 vcc, 0, v10
	v_cndmask_b32_e32 v6, v6, v13, vcc
	v_cndmask_b32_e32 v10, v11, v12, vcc
	v_lshlrev_b32_e32 v11, 8, v3
	v_mov_b32_e32 v12, 0x3b800000
	v_lshlrev_b32_e32 v6, 20, v6
	v_and_b32_e32 v11, 0x80000000, v11
	v_lshl_add_u32 v10, v10, 23, v12
	v_or3_b32 v10, v11, v10, v6
.LBB45_1720:
	s_or_b64 exec, exec, s[6:7]
	s_nop 0
	v_mfma_f32_16x16x4f32 a[0:3], v2, v10, a[0:3]
	s_movk_i32 s4, 0x7f
	v_cmp_gt_i16_sdwa s[6:7], v7, s4 src0_sel:BYTE_3 src1_sel:DWORD
	s_mov_b64 s[4:5], 0
                                        ; implicit-def: $sgpr10
	s_and_saveexec_b64 s[8:9], s[6:7]
	s_xor_b64 s[6:7], exec, s[8:9]
	s_cbranch_execnz .LBB45_3769
; %bb.1721:
	s_or_saveexec_b64 s[6:7], s[6:7]
	v_mov_b32_e32 v2, s10
	s_xor_b64 exec, exec, s[6:7]
	s_cbranch_execnz .LBB45_3772
.LBB45_1722:
	s_or_b64 exec, exec, s[6:7]
	s_and_saveexec_b64 s[6:7], s[4:5]
	s_cbranch_execz .LBB45_1724
.LBB45_1723:
	v_bfe_u32 v2, v7, 24, 3
	v_ffbh_u32_e32 v12, v2
	v_min_u32_e32 v12, 32, v12
	v_lshrrev_b32_e32 v10, 27, v7
	v_subrev_u32_e32 v13, 28, v12
	v_and_b32_e32 v6, 0x80000000, v7
	v_and_b32_e32 v10, 15, v10
	v_bfe_u32 v11, v7, 27, 4
	v_lshlrev_b32_sdwa v7, v13, v7 dst_sel:DWORD dst_unused:UNUSED_PAD src0_sel:DWORD src1_sel:BYTE_3
	v_sub_u32_e32 v12, 29, v12
	v_and_b32_e32 v7, 7, v7
	v_cmp_eq_u16_e32 vcc, 0, v10
	v_cndmask_b32_e32 v2, v2, v7, vcc
	v_cndmask_b32_e32 v7, v11, v12, vcc
	v_mov_b32_e32 v10, 0x3b800000
	v_lshlrev_b32_e32 v2, 20, v2
	v_lshl_add_u32 v7, v7, 23, v10
	v_or3_b32 v2, v6, v7, v2
.LBB45_1724:
	s_or_b64 exec, exec, s[6:7]
	s_movk_i32 s4, 0x7f
	v_cmp_gt_i16_sdwa s[6:7], v3, s4 src0_sel:BYTE_3 src1_sel:DWORD
	s_mov_b64 s[4:5], 0
                                        ; implicit-def: $sgpr10
	s_and_saveexec_b64 s[8:9], s[6:7]
	s_xor_b64 s[6:7], exec, s[8:9]
	s_cbranch_execnz .LBB45_3773
; %bb.1725:
	s_or_saveexec_b64 s[6:7], s[6:7]
	v_mov_b32_e32 v6, s10
	s_xor_b64 exec, exec, s[6:7]
	s_cbranch_execnz .LBB45_3776
.LBB45_1726:
	s_or_b64 exec, exec, s[6:7]
	s_and_saveexec_b64 s[6:7], s[4:5]
	s_cbranch_execz .LBB45_1728
.LBB45_1727:
	v_bfe_u32 v6, v3, 24, 3
	v_ffbh_u32_e32 v12, v6
	v_min_u32_e32 v12, 32, v12
	v_lshrrev_b32_e32 v10, 27, v3
	v_subrev_u32_e32 v13, 28, v12
	v_and_b32_e32 v7, 0x80000000, v3
	v_and_b32_e32 v10, 15, v10
	v_bfe_u32 v11, v3, 27, 4
	v_lshlrev_b32_sdwa v3, v13, v3 dst_sel:DWORD dst_unused:UNUSED_PAD src0_sel:DWORD src1_sel:BYTE_3
	v_sub_u32_e32 v12, 29, v12
	v_and_b32_e32 v3, 7, v3
	v_cmp_eq_u16_e32 vcc, 0, v10
	v_cndmask_b32_e32 v3, v6, v3, vcc
	v_cndmask_b32_e32 v6, v11, v12, vcc
	v_mov_b32_e32 v10, 0x3b800000
	v_lshlrev_b32_e32 v3, 20, v3
	v_lshl_add_u32 v6, v6, 23, v10
	v_or3_b32 v6, v7, v6, v3
.LBB45_1728:
	s_or_b64 exec, exec, s[6:7]
	s_nop 0
	v_mfma_f32_16x16x4f32 a[0:3], v2, v6, a[0:3]
	s_movk_i32 s4, 0x7f
	v_cmp_gt_i16_sdwa s[6:7], v8, s4 src0_sel:BYTE_0 src1_sel:DWORD
	s_mov_b64 s[4:5], 0
                                        ; implicit-def: $sgpr10
	s_and_saveexec_b64 s[8:9], s[6:7]
	s_xor_b64 s[6:7], exec, s[8:9]
	s_cbranch_execnz .LBB45_3777
; %bb.1729:
	s_or_saveexec_b64 s[6:7], s[6:7]
	v_mov_b32_e32 v2, s10
	s_xor_b64 exec, exec, s[6:7]
	s_cbranch_execnz .LBB45_3780
.LBB45_1730:
	s_or_b64 exec, exec, s[6:7]
	s_and_saveexec_b64 s[6:7], s[4:5]
	s_cbranch_execz .LBB45_1732
.LBB45_1731:
	v_and_b32_e32 v2, 7, v8
	v_ffbh_u32_e32 v6, v2
	v_min_u32_e32 v6, 32, v6
	v_lshrrev_b16_e32 v3, 3, v8
	v_subrev_u32_e32 v7, 28, v6
	v_and_b32_e32 v3, 15, v3
	v_lshlrev_b32_e32 v7, v7, v8
	v_sub_u32_e32 v6, 29, v6
	v_and_b32_e32 v7, 7, v7
	v_cmp_eq_u16_e32 vcc, 0, v3
	v_cndmask_b32_e32 v2, v2, v7, vcc
	v_cndmask_b32_e32 v3, v3, v6, vcc
	v_lshlrev_b32_e32 v6, 24, v8
	v_mov_b32_e32 v7, 0x3b800000
	v_lshlrev_b32_e32 v2, 20, v2
	v_and_b32_e32 v6, 0x80000000, v6
	v_lshl_add_u32 v3, v3, 23, v7
	v_or3_b32 v2, v6, v3, v2
.LBB45_1732:
	s_or_b64 exec, exec, s[6:7]
	s_movk_i32 s4, 0x7f
	v_cmp_gt_i16_sdwa s[6:7], v4, s4 src0_sel:BYTE_0 src1_sel:DWORD
	s_mov_b64 s[4:5], 0
                                        ; implicit-def: $sgpr10
	s_and_saveexec_b64 s[8:9], s[6:7]
	s_xor_b64 s[6:7], exec, s[8:9]
	s_cbranch_execnz .LBB45_3781
; %bb.1733:
	s_or_saveexec_b64 s[6:7], s[6:7]
	v_mov_b32_e32 v3, s10
	s_xor_b64 exec, exec, s[6:7]
	s_cbranch_execnz .LBB45_3784
.LBB45_1734:
	s_or_b64 exec, exec, s[6:7]
	s_and_saveexec_b64 s[6:7], s[4:5]
	s_cbranch_execz .LBB45_1736
.LBB45_1735:
	v_and_b32_e32 v3, 7, v4
	v_ffbh_u32_e32 v7, v3
	v_min_u32_e32 v7, 32, v7
	v_lshrrev_b16_e32 v6, 3, v4
	v_subrev_u32_e32 v10, 28, v7
	v_and_b32_e32 v6, 15, v6
	v_lshlrev_b32_e32 v10, v10, v4
	v_sub_u32_e32 v7, 29, v7
	v_and_b32_e32 v10, 7, v10
	v_cmp_eq_u16_e32 vcc, 0, v6
	v_cndmask_b32_e32 v3, v3, v10, vcc
	v_cndmask_b32_e32 v6, v6, v7, vcc
	v_lshlrev_b32_e32 v7, 24, v4
	v_mov_b32_e32 v10, 0x3b800000
	v_lshlrev_b32_e32 v3, 20, v3
	v_and_b32_e32 v7, 0x80000000, v7
	v_lshl_add_u32 v6, v6, 23, v10
	v_or3_b32 v3, v7, v6, v3
.LBB45_1736:
	s_or_b64 exec, exec, s[6:7]
	s_nop 0
	v_mfma_f32_16x16x4f32 a[0:3], v2, v3, a[0:3]
	v_lshrrev_b32_e32 v3, 8, v8
	s_movk_i32 s4, 0x7f
	v_cmp_gt_i16_sdwa s[6:7], v3, s4 src0_sel:BYTE_0 src1_sel:DWORD
	s_mov_b64 s[4:5], 0
                                        ; implicit-def: $sgpr10
	s_and_saveexec_b64 s[8:9], s[6:7]
	s_xor_b64 s[6:7], exec, s[8:9]
	s_cbranch_execnz .LBB45_3785
; %bb.1737:
	s_or_saveexec_b64 s[6:7], s[6:7]
	v_mov_b32_e32 v2, s10
	s_xor_b64 exec, exec, s[6:7]
	s_cbranch_execnz .LBB45_3788
.LBB45_1738:
	s_or_b64 exec, exec, s[6:7]
	s_and_saveexec_b64 s[6:7], s[4:5]
	s_cbranch_execz .LBB45_1740
.LBB45_1739:
	v_bfe_u32 v2, v8, 8, 3
	v_ffbh_u32_e32 v7, v2
	v_min_u32_e32 v7, 32, v7
	v_lshrrev_b16_e32 v6, 3, v3
	v_subrev_u32_e32 v10, 28, v7
	v_and_b32_e32 v6, 15, v6
	v_lshlrev_b32_e32 v3, v10, v3
	v_sub_u32_e32 v7, 29, v7
	v_and_b32_e32 v3, 7, v3
	v_cmp_eq_u16_e32 vcc, 0, v6
	v_cndmask_b32_e32 v2, v2, v3, vcc
	v_cndmask_b32_e32 v3, v6, v7, vcc
	v_lshlrev_b32_e32 v6, 16, v8
	v_mov_b32_e32 v7, 0x3b800000
	v_lshlrev_b32_e32 v2, 20, v2
	v_and_b32_e32 v6, 0x80000000, v6
	v_lshl_add_u32 v3, v3, 23, v7
	v_or3_b32 v2, v6, v3, v2
.LBB45_1740:
	s_or_b64 exec, exec, s[6:7]
	v_lshrrev_b32_e32 v3, 8, v4
	s_movk_i32 s4, 0x7f
	v_cmp_gt_i16_sdwa s[6:7], v3, s4 src0_sel:BYTE_0 src1_sel:DWORD
	s_mov_b64 s[4:5], 0
                                        ; implicit-def: $sgpr10
	s_and_saveexec_b64 s[8:9], s[6:7]
	s_xor_b64 s[6:7], exec, s[8:9]
	s_cbranch_execnz .LBB45_3789
; %bb.1741:
	s_or_saveexec_b64 s[6:7], s[6:7]
	v_mov_b32_e32 v6, s10
	s_xor_b64 exec, exec, s[6:7]
	s_cbranch_execnz .LBB45_3792
.LBB45_1742:
	s_or_b64 exec, exec, s[6:7]
	s_and_saveexec_b64 s[6:7], s[4:5]
	s_cbranch_execz .LBB45_1744
.LBB45_1743:
	v_bfe_u32 v6, v4, 8, 3
	v_ffbh_u32_e32 v10, v6
	v_min_u32_e32 v10, 32, v10
	v_lshrrev_b16_e32 v7, 3, v3
	v_subrev_u32_e32 v11, 28, v10
	v_and_b32_e32 v7, 15, v7
	v_lshlrev_b32_e32 v3, v11, v3
	v_sub_u32_e32 v10, 29, v10
	v_and_b32_e32 v3, 7, v3
	v_cmp_eq_u16_e32 vcc, 0, v7
	v_cndmask_b32_e32 v3, v6, v3, vcc
	v_cndmask_b32_e32 v6, v7, v10, vcc
	v_lshlrev_b32_e32 v7, 16, v4
	v_mov_b32_e32 v10, 0x3b800000
	v_lshlrev_b32_e32 v3, 20, v3
	v_and_b32_e32 v7, 0x80000000, v7
	v_lshl_add_u32 v6, v6, 23, v10
	v_or3_b32 v6, v7, v6, v3
.LBB45_1744:
	s_or_b64 exec, exec, s[6:7]
	s_nop 0
	v_mfma_f32_16x16x4f32 a[0:3], v2, v6, a[0:3]
	s_movk_i32 s4, 0xff
	v_and_b32_sdwa v3, v8, s4 dst_sel:DWORD dst_unused:UNUSED_PAD src0_sel:WORD_1 src1_sel:DWORD
	s_movk_i32 s4, 0x7f
	v_cmp_lt_i16_e32 vcc, s4, v3
	s_mov_b64 s[4:5], 0
                                        ; implicit-def: $sgpr10
	s_and_saveexec_b64 s[6:7], vcc
	s_xor_b64 s[6:7], exec, s[6:7]
	s_cbranch_execnz .LBB45_3793
; %bb.1745:
	s_or_saveexec_b64 s[6:7], s[6:7]
	v_mov_b32_e32 v2, s10
	s_xor_b64 exec, exec, s[6:7]
	s_cbranch_execnz .LBB45_3796
.LBB45_1746:
	s_or_b64 exec, exec, s[6:7]
	s_and_saveexec_b64 s[6:7], s[4:5]
	s_cbranch_execz .LBB45_1748
.LBB45_1747:
	v_bfe_u32 v2, v8, 16, 3
	v_ffbh_u32_e32 v7, v2
	v_min_u32_e32 v7, 32, v7
	v_lshrrev_b32_e32 v3, 19, v8
	v_subrev_u32_e32 v10, 28, v7
	v_and_b32_e32 v3, 15, v3
	v_lshlrev_b32_sdwa v10, v10, v8 dst_sel:DWORD dst_unused:UNUSED_PAD src0_sel:DWORD src1_sel:WORD_1
	v_bfe_u32 v6, v8, 19, 4
	v_sub_u32_e32 v7, 29, v7
	v_and_b32_e32 v10, 7, v10
	v_cmp_eq_u16_e32 vcc, 0, v3
	v_cndmask_b32_e32 v2, v2, v10, vcc
	v_cndmask_b32_e32 v3, v6, v7, vcc
	v_lshlrev_b32_e32 v6, 8, v8
	v_mov_b32_e32 v7, 0x3b800000
	v_lshlrev_b32_e32 v2, 20, v2
	v_and_b32_e32 v6, 0x80000000, v6
	v_lshl_add_u32 v3, v3, 23, v7
	v_or3_b32 v2, v6, v3, v2
.LBB45_1748:
	s_or_b64 exec, exec, s[6:7]
	s_movk_i32 s4, 0xff
	v_and_b32_sdwa v3, v4, s4 dst_sel:DWORD dst_unused:UNUSED_PAD src0_sel:WORD_1 src1_sel:DWORD
	s_movk_i32 s4, 0x7f
	v_cmp_lt_i16_e32 vcc, s4, v3
	s_mov_b64 s[4:5], 0
                                        ; implicit-def: $sgpr10
	s_and_saveexec_b64 s[6:7], vcc
	s_xor_b64 s[6:7], exec, s[6:7]
	s_cbranch_execnz .LBB45_3797
; %bb.1749:
	s_or_saveexec_b64 s[6:7], s[6:7]
	v_mov_b32_e32 v6, s10
	s_xor_b64 exec, exec, s[6:7]
	s_cbranch_execnz .LBB45_3800
.LBB45_1750:
	s_or_b64 exec, exec, s[6:7]
	s_and_saveexec_b64 s[6:7], s[4:5]
	s_cbranch_execz .LBB45_1752
.LBB45_1751:
	v_bfe_u32 v3, v4, 16, 3
	v_ffbh_u32_e32 v10, v3
	v_min_u32_e32 v10, 32, v10
	v_lshrrev_b32_e32 v6, 19, v4
	v_subrev_u32_e32 v11, 28, v10
	v_and_b32_e32 v6, 15, v6
	v_lshlrev_b32_sdwa v11, v11, v4 dst_sel:DWORD dst_unused:UNUSED_PAD src0_sel:DWORD src1_sel:WORD_1
	v_bfe_u32 v7, v4, 19, 4
	v_sub_u32_e32 v10, 29, v10
	v_and_b32_e32 v11, 7, v11
	v_cmp_eq_u16_e32 vcc, 0, v6
	v_cndmask_b32_e32 v3, v3, v11, vcc
	v_cndmask_b32_e32 v6, v7, v10, vcc
	v_lshlrev_b32_e32 v7, 8, v4
	v_mov_b32_e32 v10, 0x3b800000
	v_lshlrev_b32_e32 v3, 20, v3
	v_and_b32_e32 v7, 0x80000000, v7
	v_lshl_add_u32 v6, v6, 23, v10
	v_or3_b32 v6, v7, v6, v3
.LBB45_1752:
	s_or_b64 exec, exec, s[6:7]
	s_nop 0
	v_mfma_f32_16x16x4f32 a[0:3], v2, v6, a[0:3]
	s_movk_i32 s4, 0x7f
	v_cmp_gt_i16_sdwa s[6:7], v8, s4 src0_sel:BYTE_3 src1_sel:DWORD
	s_mov_b64 s[4:5], 0
                                        ; implicit-def: $sgpr10
	s_and_saveexec_b64 s[8:9], s[6:7]
	s_xor_b64 s[6:7], exec, s[8:9]
	s_cbranch_execnz .LBB45_3801
; %bb.1753:
	s_or_saveexec_b64 s[6:7], s[6:7]
	v_mov_b32_e32 v2, s10
	s_xor_b64 exec, exec, s[6:7]
	s_cbranch_execnz .LBB45_3804
.LBB45_1754:
	s_or_b64 exec, exec, s[6:7]
	s_and_saveexec_b64 s[6:7], s[4:5]
	s_cbranch_execz .LBB45_1756
.LBB45_1755:
	v_bfe_u32 v2, v8, 24, 3
	v_ffbh_u32_e32 v10, v2
	v_min_u32_e32 v10, 32, v10
	v_lshrrev_b32_e32 v6, 27, v8
	v_subrev_u32_e32 v11, 28, v10
	v_and_b32_e32 v3, 0x80000000, v8
	v_and_b32_e32 v6, 15, v6
	v_bfe_u32 v7, v8, 27, 4
	v_lshlrev_b32_sdwa v8, v11, v8 dst_sel:DWORD dst_unused:UNUSED_PAD src0_sel:DWORD src1_sel:BYTE_3
	v_sub_u32_e32 v10, 29, v10
	v_and_b32_e32 v8, 7, v8
	v_cmp_eq_u16_e32 vcc, 0, v6
	v_cndmask_b32_e32 v2, v2, v8, vcc
	v_cndmask_b32_e32 v6, v7, v10, vcc
	v_mov_b32_e32 v7, 0x3b800000
	v_lshlrev_b32_e32 v2, 20, v2
	v_lshl_add_u32 v6, v6, 23, v7
	v_or3_b32 v2, v3, v6, v2
.LBB45_1756:
	s_or_b64 exec, exec, s[6:7]
	s_movk_i32 s4, 0x7f
	v_cmp_gt_i16_sdwa s[6:7], v4, s4 src0_sel:BYTE_3 src1_sel:DWORD
	s_mov_b64 s[4:5], 0
                                        ; implicit-def: $sgpr10
	s_and_saveexec_b64 s[8:9], s[6:7]
	s_xor_b64 s[6:7], exec, s[8:9]
	s_cbranch_execnz .LBB45_3805
; %bb.1757:
	s_or_saveexec_b64 s[6:7], s[6:7]
	v_mov_b32_e32 v3, s10
	s_xor_b64 exec, exec, s[6:7]
	s_cbranch_execnz .LBB45_3808
.LBB45_1758:
	s_or_b64 exec, exec, s[6:7]
	s_and_saveexec_b64 s[6:7], s[4:5]
	s_cbranch_execz .LBB45_1760
.LBB45_1759:
	v_bfe_u32 v3, v4, 24, 3
	v_ffbh_u32_e32 v10, v3
	v_min_u32_e32 v10, 32, v10
	v_lshrrev_b32_e32 v7, 27, v4
	v_subrev_u32_e32 v11, 28, v10
	v_and_b32_e32 v6, 0x80000000, v4
	v_and_b32_e32 v7, 15, v7
	v_bfe_u32 v8, v4, 27, 4
	v_lshlrev_b32_sdwa v4, v11, v4 dst_sel:DWORD dst_unused:UNUSED_PAD src0_sel:DWORD src1_sel:BYTE_3
	v_sub_u32_e32 v10, 29, v10
	v_and_b32_e32 v4, 7, v4
	v_cmp_eq_u16_e32 vcc, 0, v7
	v_cndmask_b32_e32 v3, v3, v4, vcc
	v_cndmask_b32_e32 v4, v8, v10, vcc
	v_mov_b32_e32 v7, 0x3b800000
	v_lshlrev_b32_e32 v3, 20, v3
	v_lshl_add_u32 v4, v4, 23, v7
	v_or3_b32 v3, v6, v4, v3
.LBB45_1760:
	s_or_b64 exec, exec, s[6:7]
	s_nop 0
	v_mfma_f32_16x16x4f32 a[0:3], v2, v3, a[0:3]
	s_movk_i32 s4, 0x7f
	v_cmp_gt_i16_sdwa s[6:7], v9, s4 src0_sel:BYTE_0 src1_sel:DWORD
	s_mov_b64 s[4:5], 0
                                        ; implicit-def: $sgpr10
	s_and_saveexec_b64 s[8:9], s[6:7]
	s_xor_b64 s[6:7], exec, s[8:9]
	s_cbranch_execnz .LBB45_3809
; %bb.1761:
	s_or_saveexec_b64 s[6:7], s[6:7]
	v_mov_b32_e32 v2, s10
	s_xor_b64 exec, exec, s[6:7]
	s_cbranch_execnz .LBB45_3812
.LBB45_1762:
	s_or_b64 exec, exec, s[6:7]
	s_and_saveexec_b64 s[6:7], s[4:5]
	s_cbranch_execz .LBB45_1764
.LBB45_1763:
	v_mov_b32_e32 v2, 8
	v_and_b32_e32 v3, 7, v9
	v_lshrrev_b32_sdwa v2, v2, v9 dst_sel:BYTE_1 dst_unused:UNUSED_PAD src0_sel:DWORD src1_sel:DWORD
	v_ffbh_u32_e32 v4, v3
	v_or_b32_sdwa v2, v9, v2 dst_sel:DWORD dst_unused:UNUSED_PAD src0_sel:BYTE_0 src1_sel:DWORD
	v_min_u32_e32 v4, 32, v4
	v_lshrrev_b16_e32 v2, 3, v2
	v_subrev_u32_e32 v6, 28, v4
	v_and_b32_e32 v2, 15, v2
	v_lshlrev_b32_e32 v6, v6, v9
	v_sub_u32_e32 v4, 29, v4
	v_and_b32_e32 v6, 7, v6
	v_cmp_eq_u16_e32 vcc, 0, v2
	v_cndmask_b32_e32 v3, v3, v6, vcc
	v_cndmask_b32_e32 v2, v2, v4, vcc
	v_lshlrev_b32_e32 v4, 24, v9
	v_mov_b32_e32 v6, 0x3b800000
	v_lshlrev_b32_e32 v3, 20, v3
	v_and_b32_e32 v4, 0x80000000, v4
	v_lshl_add_u32 v2, v2, 23, v6
	v_or3_b32 v2, v4, v2, v3
.LBB45_1764:
	s_or_b64 exec, exec, s[6:7]
	s_movk_i32 s4, 0x7f
	v_cmp_gt_i16_sdwa s[6:7], v5, s4 src0_sel:BYTE_0 src1_sel:DWORD
	s_mov_b64 s[4:5], 0
                                        ; implicit-def: $sgpr10
	s_and_saveexec_b64 s[8:9], s[6:7]
	s_xor_b64 s[6:7], exec, s[8:9]
	s_cbranch_execnz .LBB45_3813
; %bb.1765:
	s_or_saveexec_b64 s[6:7], s[6:7]
	v_mov_b32_e32 v3, s10
	s_xor_b64 exec, exec, s[6:7]
	s_cbranch_execnz .LBB45_3816
.LBB45_1766:
	s_or_b64 exec, exec, s[6:7]
	s_and_saveexec_b64 s[6:7], s[4:5]
	s_cbranch_execz .LBB45_1768
.LBB45_1767:
	v_mov_b32_e32 v3, 8
	v_and_b32_e32 v4, 7, v5
	v_lshrrev_b32_sdwa v3, v3, v5 dst_sel:BYTE_1 dst_unused:UNUSED_PAD src0_sel:DWORD src1_sel:DWORD
	v_ffbh_u32_e32 v6, v4
	v_or_b32_sdwa v3, v5, v3 dst_sel:DWORD dst_unused:UNUSED_PAD src0_sel:BYTE_0 src1_sel:DWORD
	v_min_u32_e32 v6, 32, v6
	v_lshrrev_b16_e32 v3, 3, v3
	v_subrev_u32_e32 v7, 28, v6
	v_and_b32_e32 v3, 15, v3
	v_lshlrev_b32_e32 v7, v7, v5
	v_sub_u32_e32 v6, 29, v6
	v_and_b32_e32 v7, 7, v7
	v_cmp_eq_u16_e32 vcc, 0, v3
	v_cndmask_b32_e32 v4, v4, v7, vcc
	v_cndmask_b32_e32 v3, v3, v6, vcc
	v_lshlrev_b32_e32 v6, 24, v5
	v_mov_b32_e32 v7, 0x3b800000
	v_lshlrev_b32_e32 v4, 20, v4
	v_and_b32_e32 v6, 0x80000000, v6
	v_lshl_add_u32 v3, v3, 23, v7
	v_or3_b32 v3, v6, v3, v4
.LBB45_1768:
	s_or_b64 exec, exec, s[6:7]
	s_nop 0
	v_mfma_f32_16x16x4f32 a[0:3], v2, v3, a[0:3]
	v_lshrrev_b32_e32 v3, 8, v9
	s_movk_i32 s4, 0x7f
	v_cmp_gt_i16_sdwa s[6:7], v3, s4 src0_sel:BYTE_0 src1_sel:DWORD
	s_mov_b64 s[4:5], 0
                                        ; implicit-def: $sgpr10
	s_and_saveexec_b64 s[8:9], s[6:7]
	s_xor_b64 s[6:7], exec, s[8:9]
	s_cbranch_execnz .LBB45_3817
; %bb.1769:
	s_or_saveexec_b64 s[6:7], s[6:7]
	v_mov_b32_e32 v2, s10
	s_xor_b64 exec, exec, s[6:7]
	s_cbranch_execnz .LBB45_3820
.LBB45_1770:
	s_or_b64 exec, exec, s[6:7]
	s_and_saveexec_b64 s[6:7], s[4:5]
	s_cbranch_execz .LBB45_1772
.LBB45_1771:
	v_bfe_u32 v2, v9, 8, 3
	v_ffbh_u32_e32 v6, v2
	v_min_u32_e32 v6, 32, v6
	v_lshrrev_b16_e32 v4, 3, v3
	v_subrev_u32_e32 v7, 28, v6
	v_and_b32_e32 v4, 15, v4
	v_lshlrev_b32_e32 v3, v7, v3
	v_sub_u32_e32 v6, 29, v6
	v_and_b32_e32 v3, 7, v3
	v_cmp_eq_u16_e32 vcc, 0, v4
	v_cndmask_b32_e32 v2, v2, v3, vcc
	v_cndmask_b32_e32 v3, v4, v6, vcc
	v_lshlrev_b32_e32 v4, 16, v9
	v_mov_b32_e32 v6, 0x3b800000
	v_lshlrev_b32_e32 v2, 20, v2
	v_and_b32_e32 v4, 0x80000000, v4
	v_lshl_add_u32 v3, v3, 23, v6
	v_or3_b32 v2, v4, v3, v2
.LBB45_1772:
	s_or_b64 exec, exec, s[6:7]
	v_lshrrev_b32_e32 v3, 8, v5
	s_movk_i32 s4, 0x7f
	v_cmp_gt_i16_sdwa s[6:7], v3, s4 src0_sel:BYTE_0 src1_sel:DWORD
	s_mov_b64 s[4:5], 0
                                        ; implicit-def: $sgpr10
	s_and_saveexec_b64 s[8:9], s[6:7]
	s_xor_b64 s[6:7], exec, s[8:9]
	s_cbranch_execnz .LBB45_3821
; %bb.1773:
	s_or_saveexec_b64 s[6:7], s[6:7]
	v_mov_b32_e32 v4, s10
	s_xor_b64 exec, exec, s[6:7]
	s_cbranch_execnz .LBB45_3824
.LBB45_1774:
	s_or_b64 exec, exec, s[6:7]
	s_and_saveexec_b64 s[6:7], s[4:5]
	s_cbranch_execz .LBB45_1776
.LBB45_1775:
	v_bfe_u32 v4, v5, 8, 3
	v_ffbh_u32_e32 v7, v4
	v_min_u32_e32 v7, 32, v7
	v_lshrrev_b16_e32 v6, 3, v3
	v_subrev_u32_e32 v8, 28, v7
	v_and_b32_e32 v6, 15, v6
	v_lshlrev_b32_e32 v3, v8, v3
	v_sub_u32_e32 v7, 29, v7
	v_and_b32_e32 v3, 7, v3
	v_cmp_eq_u16_e32 vcc, 0, v6
	v_cndmask_b32_e32 v3, v4, v3, vcc
	v_cndmask_b32_e32 v4, v6, v7, vcc
	v_lshlrev_b32_e32 v6, 16, v5
	v_mov_b32_e32 v7, 0x3b800000
	v_lshlrev_b32_e32 v3, 20, v3
	v_and_b32_e32 v6, 0x80000000, v6
	v_lshl_add_u32 v4, v4, 23, v7
	v_or3_b32 v4, v6, v4, v3
.LBB45_1776:
	s_or_b64 exec, exec, s[6:7]
	s_nop 0
	v_mfma_f32_16x16x4f32 a[0:3], v2, v4, a[0:3]
	s_movk_i32 s4, 0xff
	v_and_b32_sdwa v3, v9, s4 dst_sel:DWORD dst_unused:UNUSED_PAD src0_sel:WORD_1 src1_sel:DWORD
	s_movk_i32 s4, 0x7f
	v_cmp_lt_i16_e32 vcc, s4, v3
	s_mov_b64 s[4:5], 0
                                        ; implicit-def: $sgpr10
	s_and_saveexec_b64 s[6:7], vcc
	s_xor_b64 s[6:7], exec, s[6:7]
	s_cbranch_execnz .LBB45_3825
; %bb.1777:
	s_or_saveexec_b64 s[6:7], s[6:7]
	v_mov_b32_e32 v2, s10
	s_xor_b64 exec, exec, s[6:7]
	s_cbranch_execnz .LBB45_3828
.LBB45_1778:
	s_or_b64 exec, exec, s[6:7]
	s_and_saveexec_b64 s[6:7], s[4:5]
	s_cbranch_execz .LBB45_1780
.LBB45_1779:
	v_bfe_u32 v2, v9, 16, 3
	v_ffbh_u32_e32 v6, v2
	v_min_u32_e32 v6, 32, v6
	v_lshrrev_b32_e32 v3, 19, v9
	v_subrev_u32_e32 v7, 28, v6
	v_and_b32_e32 v3, 15, v3
	v_lshlrev_b32_sdwa v7, v7, v9 dst_sel:DWORD dst_unused:UNUSED_PAD src0_sel:DWORD src1_sel:WORD_1
	v_bfe_u32 v4, v9, 19, 4
	v_sub_u32_e32 v6, 29, v6
	v_and_b32_e32 v7, 7, v7
	v_cmp_eq_u16_e32 vcc, 0, v3
	v_cndmask_b32_e32 v2, v2, v7, vcc
	v_cndmask_b32_e32 v3, v4, v6, vcc
	v_lshlrev_b32_e32 v4, 8, v9
	v_mov_b32_e32 v6, 0x3b800000
	v_lshlrev_b32_e32 v2, 20, v2
	v_and_b32_e32 v4, 0x80000000, v4
	v_lshl_add_u32 v3, v3, 23, v6
	v_or3_b32 v2, v4, v3, v2
.LBB45_1780:
	s_or_b64 exec, exec, s[6:7]
	s_movk_i32 s4, 0xff
	v_and_b32_sdwa v3, v5, s4 dst_sel:DWORD dst_unused:UNUSED_PAD src0_sel:WORD_1 src1_sel:DWORD
	s_movk_i32 s4, 0x7f
	v_cmp_lt_i16_e32 vcc, s4, v3
	s_mov_b64 s[4:5], 0
                                        ; implicit-def: $sgpr10
	s_and_saveexec_b64 s[6:7], vcc
	s_xor_b64 s[6:7], exec, s[6:7]
	s_cbranch_execnz .LBB45_3829
; %bb.1781:
	s_or_saveexec_b64 s[6:7], s[6:7]
	v_mov_b32_e32 v4, s10
	s_xor_b64 exec, exec, s[6:7]
	s_cbranch_execnz .LBB45_3832
.LBB45_1782:
	s_or_b64 exec, exec, s[6:7]
	s_and_saveexec_b64 s[6:7], s[4:5]
	s_cbranch_execz .LBB45_1784
.LBB45_1783:
	v_bfe_u32 v3, v5, 16, 3
	v_ffbh_u32_e32 v7, v3
	v_min_u32_e32 v7, 32, v7
	v_lshrrev_b32_e32 v4, 19, v5
	v_subrev_u32_e32 v8, 28, v7
	v_and_b32_e32 v4, 15, v4
	v_lshlrev_b32_sdwa v8, v8, v5 dst_sel:DWORD dst_unused:UNUSED_PAD src0_sel:DWORD src1_sel:WORD_1
	v_bfe_u32 v6, v5, 19, 4
	v_sub_u32_e32 v7, 29, v7
	v_and_b32_e32 v8, 7, v8
	v_cmp_eq_u16_e32 vcc, 0, v4
	v_cndmask_b32_e32 v3, v3, v8, vcc
	v_cndmask_b32_e32 v4, v6, v7, vcc
	v_lshlrev_b32_e32 v6, 8, v5
	v_mov_b32_e32 v7, 0x3b800000
	v_lshlrev_b32_e32 v3, 20, v3
	v_and_b32_e32 v6, 0x80000000, v6
	v_lshl_add_u32 v4, v4, 23, v7
	v_or3_b32 v4, v6, v4, v3
.LBB45_1784:
	s_or_b64 exec, exec, s[6:7]
	s_nop 0
	v_mfma_f32_16x16x4f32 a[0:3], v2, v4, a[0:3]
	s_movk_i32 s4, 0x7f
	v_cmp_gt_i16_sdwa s[6:7], v9, s4 src0_sel:BYTE_3 src1_sel:DWORD
	s_mov_b64 s[4:5], 0
                                        ; implicit-def: $sgpr10
	s_and_saveexec_b64 s[8:9], s[6:7]
	s_xor_b64 s[6:7], exec, s[8:9]
	s_cbranch_execnz .LBB45_3833
; %bb.1785:
	s_or_saveexec_b64 s[6:7], s[6:7]
	v_mov_b32_e32 v2, s10
	s_xor_b64 exec, exec, s[6:7]
	s_cbranch_execnz .LBB45_3836
.LBB45_1786:
	s_or_b64 exec, exec, s[6:7]
	s_and_saveexec_b64 s[6:7], s[4:5]
	s_cbranch_execz .LBB45_1788
.LBB45_1787:
	v_bfe_u32 v2, v9, 24, 3
	v_ffbh_u32_e32 v7, v2
	v_min_u32_e32 v7, 32, v7
	v_lshrrev_b32_e32 v4, 27, v9
	v_subrev_u32_e32 v8, 28, v7
	v_and_b32_e32 v4, 15, v4
	v_lshlrev_b32_sdwa v8, v8, v9 dst_sel:DWORD dst_unused:UNUSED_PAD src0_sel:DWORD src1_sel:BYTE_3
	v_bfe_u32 v6, v9, 27, 4
	v_sub_u32_e32 v7, 29, v7
	v_and_b32_e32 v8, 7, v8
	v_cmp_eq_u16_e32 vcc, 0, v4
	v_cndmask_b32_e32 v2, v2, v8, vcc
	v_cndmask_b32_e32 v4, v6, v7, vcc
	v_mov_b32_e32 v6, 0x3b800000
	v_and_b32_e32 v3, 0x80000000, v9
	v_lshlrev_b32_e32 v2, 20, v2
	v_lshl_add_u32 v4, v4, 23, v6
	v_or3_b32 v2, v3, v4, v2
.LBB45_1788:
	s_or_b64 exec, exec, s[6:7]
	s_movk_i32 s4, 0x7f
	v_cmp_gt_i16_sdwa s[6:7], v5, s4 src0_sel:BYTE_3 src1_sel:DWORD
	s_mov_b64 s[4:5], 0
                                        ; implicit-def: $sgpr10
	s_and_saveexec_b64 s[8:9], s[6:7]
	s_xor_b64 s[6:7], exec, s[8:9]
	s_cbranch_execnz .LBB45_3837
; %bb.1789:
	s_or_saveexec_b64 s[6:7], s[6:7]
	v_mov_b32_e32 v3, s10
	s_xor_b64 exec, exec, s[6:7]
	s_cbranch_execnz .LBB45_3840
.LBB45_1790:
	s_or_b64 exec, exec, s[6:7]
	s_and_saveexec_b64 s[6:7], s[4:5]
	s_cbranch_execz .LBB45_1792
.LBB45_1791:
	v_bfe_u32 v3, v5, 24, 3
	v_ffbh_u32_e32 v8, v3
	v_min_u32_e32 v8, 32, v8
	v_lshrrev_b32_e32 v6, 27, v5
	v_subrev_u32_e32 v9, 28, v8
	v_and_b32_e32 v4, 0x80000000, v5
	v_and_b32_e32 v6, 15, v6
	v_bfe_u32 v7, v5, 27, 4
	v_lshlrev_b32_sdwa v5, v9, v5 dst_sel:DWORD dst_unused:UNUSED_PAD src0_sel:DWORD src1_sel:BYTE_3
	v_sub_u32_e32 v8, 29, v8
	v_and_b32_e32 v5, 7, v5
	v_cmp_eq_u16_e32 vcc, 0, v6
	v_cndmask_b32_e32 v3, v3, v5, vcc
	v_cndmask_b32_e32 v5, v7, v8, vcc
	v_mov_b32_e32 v6, 0x3b800000
	v_lshlrev_b32_e32 v3, 20, v3
	v_lshl_add_u32 v5, v5, 23, v6
	v_or3_b32 v3, v4, v5, v3
.LBB45_1792:
	s_or_b64 exec, exec, s[6:7]
	s_nop 0
	v_mfma_f32_16x16x4f32 a[0:3], v2, v3, a[0:3]
	s_movk_i32 s4, 0x7f
                                        ; implicit-def: $sgpr10
	s_nop 7
	s_nop 1
	flat_store_dwordx4 v[18:19], a[0:3] offset:224
	flat_load_dwordx4 v[18:21], v[0:1] offset:8
	s_nop 0
	flat_load_dwordx2 v[16:17], v[0:1] offset:24
	s_waitcnt vmcnt(0) lgkmcnt(0)
	flat_load_dwordx4 v[12:15], v[18:19] offset:32
	flat_load_dwordx4 v[4:7], v[18:19] offset:48
	;; [unrolled: 1-line block ×4, first 2 shown]
	s_waitcnt vmcnt(0) lgkmcnt(0)
	v_cmp_gt_i16_sdwa s[6:7], v12, s4 src0_sel:BYTE_0 src1_sel:DWORD
	s_mov_b64 s[4:5], 0
	s_and_saveexec_b64 s[8:9], s[6:7]
	s_xor_b64 s[6:7], exec, s[8:9]
	s_cbranch_execnz .LBB45_3841
; %bb.1793:
	s_or_saveexec_b64 s[6:7], s[6:7]
	v_mov_b32_e32 v18, s10
	s_xor_b64 exec, exec, s[6:7]
	s_cbranch_execnz .LBB45_3844
.LBB45_1794:
	s_or_b64 exec, exec, s[6:7]
	s_and_saveexec_b64 s[6:7], s[4:5]
	s_cbranch_execz .LBB45_1796
.LBB45_1795:
	v_and_b32_e32 v18, 7, v12
	v_ffbh_u32_e32 v20, v18
	v_min_u32_e32 v20, 32, v20
	v_lshrrev_b16_e32 v19, 3, v12
	v_subrev_u32_e32 v21, 28, v20
	v_and_b32_e32 v19, 15, v19
	v_lshlrev_b32_e32 v21, v21, v12
	v_sub_u32_e32 v20, 29, v20
	v_and_b32_e32 v21, 7, v21
	v_cmp_eq_u16_e32 vcc, 0, v19
	v_cndmask_b32_e32 v18, v18, v21, vcc
	v_cndmask_b32_e32 v19, v19, v20, vcc
	v_lshlrev_b32_e32 v20, 24, v12
	v_mov_b32_e32 v21, 0x3b800000
	v_lshlrev_b32_e32 v18, 20, v18
	v_and_b32_e32 v20, 0x80000000, v20
	v_lshl_add_u32 v19, v19, 23, v21
	v_or3_b32 v18, v20, v19, v18
.LBB45_1796:
	s_or_b64 exec, exec, s[6:7]
	s_movk_i32 s4, 0x7f
	v_cmp_gt_i16_sdwa s[6:7], v8, s4 src0_sel:BYTE_0 src1_sel:DWORD
	s_mov_b64 s[4:5], 0
                                        ; implicit-def: $sgpr10
	s_and_saveexec_b64 s[8:9], s[6:7]
	s_xor_b64 s[6:7], exec, s[8:9]
	s_cbranch_execnz .LBB45_3845
; %bb.1797:
	s_or_saveexec_b64 s[6:7], s[6:7]
	v_mov_b32_e32 v19, s10
	s_xor_b64 exec, exec, s[6:7]
	s_cbranch_execnz .LBB45_3848
.LBB45_1798:
	s_or_b64 exec, exec, s[6:7]
	s_and_saveexec_b64 s[6:7], s[4:5]
	s_cbranch_execz .LBB45_1800
.LBB45_1799:
	v_and_b32_e32 v19, 7, v8
	v_ffbh_u32_e32 v21, v19
	v_min_u32_e32 v21, 32, v21
	v_lshrrev_b16_e32 v20, 3, v8
	v_subrev_u32_e32 v22, 28, v21
	v_and_b32_e32 v20, 15, v20
	v_lshlrev_b32_e32 v22, v22, v8
	v_sub_u32_e32 v21, 29, v21
	v_and_b32_e32 v22, 7, v22
	v_cmp_eq_u16_e32 vcc, 0, v20
	v_cndmask_b32_e32 v19, v19, v22, vcc
	v_cndmask_b32_e32 v20, v20, v21, vcc
	v_lshlrev_b32_e32 v21, 24, v8
	v_mov_b32_e32 v22, 0x3b800000
	v_lshlrev_b32_e32 v19, 20, v19
	v_and_b32_e32 v21, 0x80000000, v21
	v_lshl_add_u32 v20, v20, 23, v22
	v_or3_b32 v19, v21, v20, v19
.LBB45_1800:
	s_or_b64 exec, exec, s[6:7]
	flat_load_dwordx4 a[0:3], v[16:17] offset:240
	s_movk_i32 s4, 0x7f
                                        ; implicit-def: $sgpr10
	s_waitcnt vmcnt(0) lgkmcnt(0)
	v_mfma_f32_16x16x4f32 a[0:3], v18, v19, a[0:3]
	v_lshrrev_b32_e32 v19, 8, v12
	v_cmp_gt_i16_sdwa s[6:7], v19, s4 src0_sel:BYTE_0 src1_sel:DWORD
	s_mov_b64 s[4:5], 0
	s_and_saveexec_b64 s[8:9], s[6:7]
	s_xor_b64 s[6:7], exec, s[8:9]
	s_cbranch_execnz .LBB45_3849
; %bb.1801:
	s_or_saveexec_b64 s[6:7], s[6:7]
	v_mov_b32_e32 v18, s10
	s_xor_b64 exec, exec, s[6:7]
	s_cbranch_execnz .LBB45_3852
.LBB45_1802:
	s_or_b64 exec, exec, s[6:7]
	s_and_saveexec_b64 s[6:7], s[4:5]
	s_cbranch_execz .LBB45_1804
.LBB45_1803:
	v_bfe_u32 v18, v12, 8, 3
	v_ffbh_u32_e32 v21, v18
	v_min_u32_e32 v21, 32, v21
	v_lshrrev_b16_e32 v20, 3, v19
	v_subrev_u32_e32 v22, 28, v21
	v_and_b32_e32 v20, 15, v20
	v_lshlrev_b32_e32 v19, v22, v19
	v_sub_u32_e32 v21, 29, v21
	v_and_b32_e32 v19, 7, v19
	v_cmp_eq_u16_e32 vcc, 0, v20
	v_cndmask_b32_e32 v18, v18, v19, vcc
	v_cndmask_b32_e32 v19, v20, v21, vcc
	v_lshlrev_b32_e32 v20, 16, v12
	v_mov_b32_e32 v21, 0x3b800000
	v_lshlrev_b32_e32 v18, 20, v18
	v_and_b32_e32 v20, 0x80000000, v20
	v_lshl_add_u32 v19, v19, 23, v21
	v_or3_b32 v18, v20, v19, v18
.LBB45_1804:
	s_or_b64 exec, exec, s[6:7]
	v_lshrrev_b32_e32 v19, 8, v8
	s_movk_i32 s4, 0x7f
	v_cmp_gt_i16_sdwa s[6:7], v19, s4 src0_sel:BYTE_0 src1_sel:DWORD
	s_mov_b64 s[4:5], 0
                                        ; implicit-def: $sgpr10
	s_and_saveexec_b64 s[8:9], s[6:7]
	s_xor_b64 s[6:7], exec, s[8:9]
	s_cbranch_execnz .LBB45_3853
; %bb.1805:
	s_or_saveexec_b64 s[6:7], s[6:7]
	v_mov_b32_e32 v20, s10
	s_xor_b64 exec, exec, s[6:7]
	s_cbranch_execnz .LBB45_3856
.LBB45_1806:
	s_or_b64 exec, exec, s[6:7]
	s_and_saveexec_b64 s[6:7], s[4:5]
	s_cbranch_execz .LBB45_1808
.LBB45_1807:
	v_bfe_u32 v20, v8, 8, 3
	v_ffbh_u32_e32 v22, v20
	v_min_u32_e32 v22, 32, v22
	v_lshrrev_b16_e32 v21, 3, v19
	v_subrev_u32_e32 v23, 28, v22
	v_and_b32_e32 v21, 15, v21
	v_lshlrev_b32_e32 v19, v23, v19
	v_sub_u32_e32 v22, 29, v22
	v_and_b32_e32 v19, 7, v19
	v_cmp_eq_u16_e32 vcc, 0, v21
	v_cndmask_b32_e32 v19, v20, v19, vcc
	v_cndmask_b32_e32 v20, v21, v22, vcc
	v_lshlrev_b32_e32 v21, 16, v8
	v_mov_b32_e32 v22, 0x3b800000
	v_lshlrev_b32_e32 v19, 20, v19
	v_and_b32_e32 v21, 0x80000000, v21
	v_lshl_add_u32 v20, v20, 23, v22
	v_or3_b32 v20, v21, v20, v19
.LBB45_1808:
	s_or_b64 exec, exec, s[6:7]
	s_nop 0
	v_mfma_f32_16x16x4f32 a[0:3], v18, v20, a[0:3]
	s_movk_i32 s4, 0xff
	v_and_b32_sdwa v19, v12, s4 dst_sel:DWORD dst_unused:UNUSED_PAD src0_sel:WORD_1 src1_sel:DWORD
	s_movk_i32 s4, 0x7f
	v_cmp_lt_i16_e32 vcc, s4, v19
	s_mov_b64 s[4:5], 0
                                        ; implicit-def: $sgpr10
	s_and_saveexec_b64 s[6:7], vcc
	s_xor_b64 s[6:7], exec, s[6:7]
	s_cbranch_execnz .LBB45_3857
; %bb.1809:
	s_or_saveexec_b64 s[6:7], s[6:7]
	v_mov_b32_e32 v18, s10
	s_xor_b64 exec, exec, s[6:7]
	s_cbranch_execnz .LBB45_3860
.LBB45_1810:
	s_or_b64 exec, exec, s[6:7]
	s_and_saveexec_b64 s[6:7], s[4:5]
	s_cbranch_execz .LBB45_1812
.LBB45_1811:
	v_bfe_u32 v18, v12, 16, 3
	v_ffbh_u32_e32 v21, v18
	v_min_u32_e32 v21, 32, v21
	v_lshrrev_b32_e32 v19, 19, v12
	v_subrev_u32_e32 v22, 28, v21
	v_and_b32_e32 v19, 15, v19
	v_lshlrev_b32_sdwa v22, v22, v12 dst_sel:DWORD dst_unused:UNUSED_PAD src0_sel:DWORD src1_sel:WORD_1
	v_bfe_u32 v20, v12, 19, 4
	v_sub_u32_e32 v21, 29, v21
	v_and_b32_e32 v22, 7, v22
	v_cmp_eq_u16_e32 vcc, 0, v19
	v_cndmask_b32_e32 v18, v18, v22, vcc
	v_cndmask_b32_e32 v19, v20, v21, vcc
	v_lshlrev_b32_e32 v20, 8, v12
	v_mov_b32_e32 v21, 0x3b800000
	v_lshlrev_b32_e32 v18, 20, v18
	v_and_b32_e32 v20, 0x80000000, v20
	v_lshl_add_u32 v19, v19, 23, v21
	v_or3_b32 v18, v20, v19, v18
.LBB45_1812:
	s_or_b64 exec, exec, s[6:7]
	s_movk_i32 s4, 0xff
	v_and_b32_sdwa v19, v8, s4 dst_sel:DWORD dst_unused:UNUSED_PAD src0_sel:WORD_1 src1_sel:DWORD
	s_movk_i32 s4, 0x7f
	v_cmp_lt_i16_e32 vcc, s4, v19
	s_mov_b64 s[4:5], 0
                                        ; implicit-def: $sgpr10
	s_and_saveexec_b64 s[6:7], vcc
	s_xor_b64 s[6:7], exec, s[6:7]
	s_cbranch_execnz .LBB45_3861
; %bb.1813:
	s_or_saveexec_b64 s[6:7], s[6:7]
	v_mov_b32_e32 v20, s10
	s_xor_b64 exec, exec, s[6:7]
	s_cbranch_execnz .LBB45_3864
.LBB45_1814:
	s_or_b64 exec, exec, s[6:7]
	s_and_saveexec_b64 s[6:7], s[4:5]
	s_cbranch_execz .LBB45_1816
.LBB45_1815:
	v_bfe_u32 v19, v8, 16, 3
	v_ffbh_u32_e32 v22, v19
	v_min_u32_e32 v22, 32, v22
	v_lshrrev_b32_e32 v20, 19, v8
	v_subrev_u32_e32 v23, 28, v22
	v_and_b32_e32 v20, 15, v20
	v_lshlrev_b32_sdwa v23, v23, v8 dst_sel:DWORD dst_unused:UNUSED_PAD src0_sel:DWORD src1_sel:WORD_1
	v_bfe_u32 v21, v8, 19, 4
	v_sub_u32_e32 v22, 29, v22
	v_and_b32_e32 v23, 7, v23
	v_cmp_eq_u16_e32 vcc, 0, v20
	v_cndmask_b32_e32 v19, v19, v23, vcc
	v_cndmask_b32_e32 v20, v21, v22, vcc
	v_lshlrev_b32_e32 v21, 8, v8
	v_mov_b32_e32 v22, 0x3b800000
	v_lshlrev_b32_e32 v19, 20, v19
	v_and_b32_e32 v21, 0x80000000, v21
	v_lshl_add_u32 v20, v20, 23, v22
	v_or3_b32 v20, v21, v20, v19
.LBB45_1816:
	s_or_b64 exec, exec, s[6:7]
	s_nop 0
	v_mfma_f32_16x16x4f32 a[0:3], v18, v20, a[0:3]
	s_movk_i32 s4, 0x7f
	v_cmp_gt_i16_sdwa s[6:7], v12, s4 src0_sel:BYTE_3 src1_sel:DWORD
	s_mov_b64 s[4:5], 0
                                        ; implicit-def: $sgpr10
	s_and_saveexec_b64 s[8:9], s[6:7]
	s_xor_b64 s[6:7], exec, s[8:9]
	s_cbranch_execnz .LBB45_3865
; %bb.1817:
	s_or_saveexec_b64 s[6:7], s[6:7]
	v_mov_b32_e32 v18, s10
	s_xor_b64 exec, exec, s[6:7]
	s_cbranch_execnz .LBB45_3868
.LBB45_1818:
	s_or_b64 exec, exec, s[6:7]
	s_and_saveexec_b64 s[6:7], s[4:5]
	s_cbranch_execz .LBB45_1820
.LBB45_1819:
	v_bfe_u32 v18, v12, 24, 3
	v_ffbh_u32_e32 v22, v18
	v_min_u32_e32 v22, 32, v22
	v_lshrrev_b32_e32 v20, 27, v12
	v_subrev_u32_e32 v23, 28, v22
	v_and_b32_e32 v19, 0x80000000, v12
	v_and_b32_e32 v20, 15, v20
	v_bfe_u32 v21, v12, 27, 4
	v_lshlrev_b32_sdwa v12, v23, v12 dst_sel:DWORD dst_unused:UNUSED_PAD src0_sel:DWORD src1_sel:BYTE_3
	v_sub_u32_e32 v22, 29, v22
	v_and_b32_e32 v12, 7, v12
	v_cmp_eq_u16_e32 vcc, 0, v20
	v_cndmask_b32_e32 v12, v18, v12, vcc
	v_cndmask_b32_e32 v18, v21, v22, vcc
	v_mov_b32_e32 v20, 0x3b800000
	v_lshlrev_b32_e32 v12, 20, v12
	v_lshl_add_u32 v18, v18, 23, v20
	v_or3_b32 v18, v19, v18, v12
.LBB45_1820:
	s_or_b64 exec, exec, s[6:7]
	s_movk_i32 s4, 0x7f
	v_cmp_gt_i16_sdwa s[6:7], v8, s4 src0_sel:BYTE_3 src1_sel:DWORD
	s_mov_b64 s[4:5], 0
                                        ; implicit-def: $sgpr10
	s_and_saveexec_b64 s[8:9], s[6:7]
	s_xor_b64 s[6:7], exec, s[8:9]
	s_cbranch_execnz .LBB45_3869
; %bb.1821:
	s_or_saveexec_b64 s[6:7], s[6:7]
	v_mov_b32_e32 v12, s10
	s_xor_b64 exec, exec, s[6:7]
	s_cbranch_execnz .LBB45_3872
.LBB45_1822:
	s_or_b64 exec, exec, s[6:7]
	s_and_saveexec_b64 s[6:7], s[4:5]
	s_cbranch_execz .LBB45_1824
.LBB45_1823:
	v_bfe_u32 v12, v8, 24, 3
	v_ffbh_u32_e32 v22, v12
	v_min_u32_e32 v22, 32, v22
	v_lshrrev_b32_e32 v20, 27, v8
	v_subrev_u32_e32 v23, 28, v22
	v_and_b32_e32 v19, 0x80000000, v8
	v_and_b32_e32 v20, 15, v20
	v_bfe_u32 v21, v8, 27, 4
	v_lshlrev_b32_sdwa v8, v23, v8 dst_sel:DWORD dst_unused:UNUSED_PAD src0_sel:DWORD src1_sel:BYTE_3
	v_sub_u32_e32 v22, 29, v22
	v_and_b32_e32 v8, 7, v8
	v_cmp_eq_u16_e32 vcc, 0, v20
	v_cndmask_b32_e32 v8, v12, v8, vcc
	v_cndmask_b32_e32 v12, v21, v22, vcc
	v_mov_b32_e32 v20, 0x3b800000
	v_lshlrev_b32_e32 v8, 20, v8
	v_lshl_add_u32 v12, v12, 23, v20
	v_or3_b32 v12, v19, v12, v8
.LBB45_1824:
	s_or_b64 exec, exec, s[6:7]
	s_nop 0
	v_mfma_f32_16x16x4f32 a[0:3], v18, v12, a[0:3]
	s_movk_i32 s4, 0x7f
	v_cmp_gt_i16_sdwa s[6:7], v13, s4 src0_sel:BYTE_0 src1_sel:DWORD
	s_mov_b64 s[4:5], 0
                                        ; implicit-def: $sgpr10
	s_and_saveexec_b64 s[8:9], s[6:7]
	s_xor_b64 s[6:7], exec, s[8:9]
	s_cbranch_execnz .LBB45_3873
; %bb.1825:
	s_or_saveexec_b64 s[6:7], s[6:7]
	v_mov_b32_e32 v8, s10
	s_xor_b64 exec, exec, s[6:7]
	s_cbranch_execnz .LBB45_3876
.LBB45_1826:
	s_or_b64 exec, exec, s[6:7]
	s_and_saveexec_b64 s[6:7], s[4:5]
	s_cbranch_execz .LBB45_1828
.LBB45_1827:
	v_and_b32_e32 v8, 7, v13
	v_ffbh_u32_e32 v18, v8
	v_min_u32_e32 v18, 32, v18
	v_lshrrev_b16_e32 v12, 3, v13
	v_subrev_u32_e32 v19, 28, v18
	v_and_b32_e32 v12, 15, v12
	v_lshlrev_b32_e32 v19, v19, v13
	v_sub_u32_e32 v18, 29, v18
	v_and_b32_e32 v19, 7, v19
	v_cmp_eq_u16_e32 vcc, 0, v12
	v_cndmask_b32_e32 v8, v8, v19, vcc
	v_cndmask_b32_e32 v12, v12, v18, vcc
	v_lshlrev_b32_e32 v18, 24, v13
	v_mov_b32_e32 v19, 0x3b800000
	v_lshlrev_b32_e32 v8, 20, v8
	v_and_b32_e32 v18, 0x80000000, v18
	v_lshl_add_u32 v12, v12, 23, v19
	v_or3_b32 v8, v18, v12, v8
.LBB45_1828:
	s_or_b64 exec, exec, s[6:7]
	s_movk_i32 s4, 0x7f
	v_cmp_gt_i16_sdwa s[6:7], v9, s4 src0_sel:BYTE_0 src1_sel:DWORD
	s_mov_b64 s[4:5], 0
                                        ; implicit-def: $sgpr10
	s_and_saveexec_b64 s[8:9], s[6:7]
	s_xor_b64 s[6:7], exec, s[8:9]
	s_cbranch_execnz .LBB45_3877
; %bb.1829:
	s_or_saveexec_b64 s[6:7], s[6:7]
	v_mov_b32_e32 v12, s10
	s_xor_b64 exec, exec, s[6:7]
	s_cbranch_execnz .LBB45_3880
.LBB45_1830:
	s_or_b64 exec, exec, s[6:7]
	s_and_saveexec_b64 s[6:7], s[4:5]
	s_cbranch_execz .LBB45_1832
.LBB45_1831:
	v_and_b32_e32 v12, 7, v9
	v_ffbh_u32_e32 v19, v12
	v_min_u32_e32 v19, 32, v19
	v_lshrrev_b16_e32 v18, 3, v9
	v_subrev_u32_e32 v20, 28, v19
	v_and_b32_e32 v18, 15, v18
	v_lshlrev_b32_e32 v20, v20, v9
	v_sub_u32_e32 v19, 29, v19
	v_and_b32_e32 v20, 7, v20
	v_cmp_eq_u16_e32 vcc, 0, v18
	v_cndmask_b32_e32 v12, v12, v20, vcc
	v_cndmask_b32_e32 v18, v18, v19, vcc
	v_lshlrev_b32_e32 v19, 24, v9
	v_mov_b32_e32 v20, 0x3b800000
	v_lshlrev_b32_e32 v12, 20, v12
	v_and_b32_e32 v19, 0x80000000, v19
	v_lshl_add_u32 v18, v18, 23, v20
	v_or3_b32 v12, v19, v18, v12
.LBB45_1832:
	s_or_b64 exec, exec, s[6:7]
	s_nop 0
	v_mfma_f32_16x16x4f32 a[0:3], v8, v12, a[0:3]
	v_lshrrev_b32_e32 v12, 8, v13
	s_movk_i32 s4, 0x7f
	v_cmp_gt_i16_sdwa s[6:7], v12, s4 src0_sel:BYTE_0 src1_sel:DWORD
	s_mov_b64 s[4:5], 0
                                        ; implicit-def: $sgpr10
	s_and_saveexec_b64 s[8:9], s[6:7]
	s_xor_b64 s[6:7], exec, s[8:9]
	s_cbranch_execnz .LBB45_3881
; %bb.1833:
	s_or_saveexec_b64 s[6:7], s[6:7]
	v_mov_b32_e32 v8, s10
	s_xor_b64 exec, exec, s[6:7]
	s_cbranch_execnz .LBB45_3884
.LBB45_1834:
	s_or_b64 exec, exec, s[6:7]
	s_and_saveexec_b64 s[6:7], s[4:5]
	s_cbranch_execz .LBB45_1836
.LBB45_1835:
	v_bfe_u32 v8, v13, 8, 3
	v_ffbh_u32_e32 v19, v8
	v_min_u32_e32 v19, 32, v19
	v_lshrrev_b16_e32 v18, 3, v12
	v_subrev_u32_e32 v20, 28, v19
	v_and_b32_e32 v18, 15, v18
	v_lshlrev_b32_e32 v12, v20, v12
	v_sub_u32_e32 v19, 29, v19
	v_and_b32_e32 v12, 7, v12
	v_cmp_eq_u16_e32 vcc, 0, v18
	v_cndmask_b32_e32 v8, v8, v12, vcc
	v_cndmask_b32_e32 v12, v18, v19, vcc
	v_lshlrev_b32_e32 v18, 16, v13
	v_mov_b32_e32 v19, 0x3b800000
	v_lshlrev_b32_e32 v8, 20, v8
	v_and_b32_e32 v18, 0x80000000, v18
	v_lshl_add_u32 v12, v12, 23, v19
	v_or3_b32 v8, v18, v12, v8
.LBB45_1836:
	s_or_b64 exec, exec, s[6:7]
	v_lshrrev_b32_e32 v12, 8, v9
	s_movk_i32 s4, 0x7f
	v_cmp_gt_i16_sdwa s[6:7], v12, s4 src0_sel:BYTE_0 src1_sel:DWORD
	s_mov_b64 s[4:5], 0
                                        ; implicit-def: $sgpr10
	s_and_saveexec_b64 s[8:9], s[6:7]
	s_xor_b64 s[6:7], exec, s[8:9]
	s_cbranch_execnz .LBB45_3885
; %bb.1837:
	s_or_saveexec_b64 s[6:7], s[6:7]
	v_mov_b32_e32 v18, s10
	s_xor_b64 exec, exec, s[6:7]
	s_cbranch_execnz .LBB45_3888
.LBB45_1838:
	s_or_b64 exec, exec, s[6:7]
	s_and_saveexec_b64 s[6:7], s[4:5]
	s_cbranch_execz .LBB45_1840
.LBB45_1839:
	v_bfe_u32 v18, v9, 8, 3
	v_ffbh_u32_e32 v20, v18
	v_min_u32_e32 v20, 32, v20
	v_lshrrev_b16_e32 v19, 3, v12
	v_subrev_u32_e32 v21, 28, v20
	v_and_b32_e32 v19, 15, v19
	v_lshlrev_b32_e32 v12, v21, v12
	v_sub_u32_e32 v20, 29, v20
	v_and_b32_e32 v12, 7, v12
	v_cmp_eq_u16_e32 vcc, 0, v19
	v_cndmask_b32_e32 v12, v18, v12, vcc
	v_cndmask_b32_e32 v18, v19, v20, vcc
	v_lshlrev_b32_e32 v19, 16, v9
	v_mov_b32_e32 v20, 0x3b800000
	v_lshlrev_b32_e32 v12, 20, v12
	v_and_b32_e32 v19, 0x80000000, v19
	v_lshl_add_u32 v18, v18, 23, v20
	v_or3_b32 v18, v19, v18, v12
.LBB45_1840:
	s_or_b64 exec, exec, s[6:7]
	s_nop 0
	v_mfma_f32_16x16x4f32 a[0:3], v8, v18, a[0:3]
	s_movk_i32 s4, 0xff
	v_and_b32_sdwa v12, v13, s4 dst_sel:DWORD dst_unused:UNUSED_PAD src0_sel:WORD_1 src1_sel:DWORD
	s_movk_i32 s4, 0x7f
	v_cmp_lt_i16_e32 vcc, s4, v12
	s_mov_b64 s[4:5], 0
                                        ; implicit-def: $sgpr10
	s_and_saveexec_b64 s[6:7], vcc
	s_xor_b64 s[6:7], exec, s[6:7]
	s_cbranch_execnz .LBB45_3889
; %bb.1841:
	s_or_saveexec_b64 s[6:7], s[6:7]
	v_mov_b32_e32 v8, s10
	s_xor_b64 exec, exec, s[6:7]
	s_cbranch_execnz .LBB45_3892
.LBB45_1842:
	s_or_b64 exec, exec, s[6:7]
	s_and_saveexec_b64 s[6:7], s[4:5]
	s_cbranch_execz .LBB45_1844
.LBB45_1843:
	v_bfe_u32 v8, v13, 16, 3
	v_ffbh_u32_e32 v19, v8
	v_min_u32_e32 v19, 32, v19
	v_lshrrev_b32_e32 v12, 19, v13
	v_subrev_u32_e32 v20, 28, v19
	v_and_b32_e32 v12, 15, v12
	v_lshlrev_b32_sdwa v20, v20, v13 dst_sel:DWORD dst_unused:UNUSED_PAD src0_sel:DWORD src1_sel:WORD_1
	v_bfe_u32 v18, v13, 19, 4
	v_sub_u32_e32 v19, 29, v19
	v_and_b32_e32 v20, 7, v20
	v_cmp_eq_u16_e32 vcc, 0, v12
	v_cndmask_b32_e32 v8, v8, v20, vcc
	v_cndmask_b32_e32 v12, v18, v19, vcc
	v_lshlrev_b32_e32 v18, 8, v13
	v_mov_b32_e32 v19, 0x3b800000
	v_lshlrev_b32_e32 v8, 20, v8
	v_and_b32_e32 v18, 0x80000000, v18
	v_lshl_add_u32 v12, v12, 23, v19
	v_or3_b32 v8, v18, v12, v8
.LBB45_1844:
	s_or_b64 exec, exec, s[6:7]
	s_movk_i32 s4, 0xff
	v_and_b32_sdwa v12, v9, s4 dst_sel:DWORD dst_unused:UNUSED_PAD src0_sel:WORD_1 src1_sel:DWORD
	s_movk_i32 s4, 0x7f
	v_cmp_lt_i16_e32 vcc, s4, v12
	s_mov_b64 s[4:5], 0
                                        ; implicit-def: $sgpr10
	s_and_saveexec_b64 s[6:7], vcc
	s_xor_b64 s[6:7], exec, s[6:7]
	s_cbranch_execnz .LBB45_3893
; %bb.1845:
	s_or_saveexec_b64 s[6:7], s[6:7]
	v_mov_b32_e32 v18, s10
	s_xor_b64 exec, exec, s[6:7]
	s_cbranch_execnz .LBB45_3896
.LBB45_1846:
	s_or_b64 exec, exec, s[6:7]
	s_and_saveexec_b64 s[6:7], s[4:5]
	s_cbranch_execz .LBB45_1848
.LBB45_1847:
	v_bfe_u32 v12, v9, 16, 3
	v_ffbh_u32_e32 v20, v12
	v_min_u32_e32 v20, 32, v20
	v_lshrrev_b32_e32 v18, 19, v9
	v_subrev_u32_e32 v21, 28, v20
	v_and_b32_e32 v18, 15, v18
	v_lshlrev_b32_sdwa v21, v21, v9 dst_sel:DWORD dst_unused:UNUSED_PAD src0_sel:DWORD src1_sel:WORD_1
	v_bfe_u32 v19, v9, 19, 4
	v_sub_u32_e32 v20, 29, v20
	v_and_b32_e32 v21, 7, v21
	v_cmp_eq_u16_e32 vcc, 0, v18
	v_cndmask_b32_e32 v12, v12, v21, vcc
	v_cndmask_b32_e32 v18, v19, v20, vcc
	v_lshlrev_b32_e32 v19, 8, v9
	v_mov_b32_e32 v20, 0x3b800000
	v_lshlrev_b32_e32 v12, 20, v12
	v_and_b32_e32 v19, 0x80000000, v19
	v_lshl_add_u32 v18, v18, 23, v20
	v_or3_b32 v18, v19, v18, v12
.LBB45_1848:
	s_or_b64 exec, exec, s[6:7]
	s_nop 0
	v_mfma_f32_16x16x4f32 a[0:3], v8, v18, a[0:3]
	s_movk_i32 s4, 0x7f
	v_cmp_gt_i16_sdwa s[6:7], v13, s4 src0_sel:BYTE_3 src1_sel:DWORD
	s_mov_b64 s[4:5], 0
                                        ; implicit-def: $sgpr10
	s_and_saveexec_b64 s[8:9], s[6:7]
	s_xor_b64 s[6:7], exec, s[8:9]
	s_cbranch_execnz .LBB45_3897
; %bb.1849:
	s_or_saveexec_b64 s[6:7], s[6:7]
	v_mov_b32_e32 v8, s10
	s_xor_b64 exec, exec, s[6:7]
	s_cbranch_execnz .LBB45_3900
.LBB45_1850:
	s_or_b64 exec, exec, s[6:7]
	s_and_saveexec_b64 s[6:7], s[4:5]
	s_cbranch_execz .LBB45_1852
.LBB45_1851:
	v_bfe_u32 v8, v13, 24, 3
	v_ffbh_u32_e32 v20, v8
	v_min_u32_e32 v20, 32, v20
	v_lshrrev_b32_e32 v18, 27, v13
	v_subrev_u32_e32 v21, 28, v20
	v_and_b32_e32 v12, 0x80000000, v13
	v_and_b32_e32 v18, 15, v18
	v_bfe_u32 v19, v13, 27, 4
	v_lshlrev_b32_sdwa v13, v21, v13 dst_sel:DWORD dst_unused:UNUSED_PAD src0_sel:DWORD src1_sel:BYTE_3
	v_sub_u32_e32 v20, 29, v20
	v_and_b32_e32 v13, 7, v13
	v_cmp_eq_u16_e32 vcc, 0, v18
	v_cndmask_b32_e32 v8, v8, v13, vcc
	v_cndmask_b32_e32 v13, v19, v20, vcc
	v_mov_b32_e32 v18, 0x3b800000
	v_lshlrev_b32_e32 v8, 20, v8
	v_lshl_add_u32 v13, v13, 23, v18
	v_or3_b32 v8, v12, v13, v8
.LBB45_1852:
	s_or_b64 exec, exec, s[6:7]
	s_movk_i32 s4, 0x7f
	v_cmp_gt_i16_sdwa s[6:7], v9, s4 src0_sel:BYTE_3 src1_sel:DWORD
	s_mov_b64 s[4:5], 0
                                        ; implicit-def: $sgpr10
	s_and_saveexec_b64 s[8:9], s[6:7]
	s_xor_b64 s[6:7], exec, s[8:9]
	s_cbranch_execnz .LBB45_3901
; %bb.1853:
	s_or_saveexec_b64 s[6:7], s[6:7]
	v_mov_b32_e32 v12, s10
	s_xor_b64 exec, exec, s[6:7]
	s_cbranch_execnz .LBB45_3904
.LBB45_1854:
	s_or_b64 exec, exec, s[6:7]
	s_and_saveexec_b64 s[6:7], s[4:5]
	s_cbranch_execz .LBB45_1856
.LBB45_1855:
	v_bfe_u32 v12, v9, 24, 3
	v_ffbh_u32_e32 v20, v12
	v_min_u32_e32 v20, 32, v20
	v_lshrrev_b32_e32 v18, 27, v9
	v_subrev_u32_e32 v21, 28, v20
	v_and_b32_e32 v13, 0x80000000, v9
	v_and_b32_e32 v18, 15, v18
	v_bfe_u32 v19, v9, 27, 4
	v_lshlrev_b32_sdwa v9, v21, v9 dst_sel:DWORD dst_unused:UNUSED_PAD src0_sel:DWORD src1_sel:BYTE_3
	v_sub_u32_e32 v20, 29, v20
	v_and_b32_e32 v9, 7, v9
	v_cmp_eq_u16_e32 vcc, 0, v18
	v_cndmask_b32_e32 v9, v12, v9, vcc
	v_cndmask_b32_e32 v12, v19, v20, vcc
	v_mov_b32_e32 v18, 0x3b800000
	v_lshlrev_b32_e32 v9, 20, v9
	v_lshl_add_u32 v12, v12, 23, v18
	v_or3_b32 v12, v13, v12, v9
.LBB45_1856:
	s_or_b64 exec, exec, s[6:7]
	s_nop 0
	v_mfma_f32_16x16x4f32 a[0:3], v8, v12, a[0:3]
	s_movk_i32 s4, 0x7f
	v_cmp_gt_i16_sdwa s[6:7], v14, s4 src0_sel:BYTE_0 src1_sel:DWORD
	s_mov_b64 s[4:5], 0
                                        ; implicit-def: $sgpr10
	s_and_saveexec_b64 s[8:9], s[6:7]
	s_xor_b64 s[6:7], exec, s[8:9]
	s_cbranch_execnz .LBB45_3905
; %bb.1857:
	s_or_saveexec_b64 s[6:7], s[6:7]
	v_mov_b32_e32 v8, s10
	s_xor_b64 exec, exec, s[6:7]
	s_cbranch_execnz .LBB45_3908
.LBB45_1858:
	s_or_b64 exec, exec, s[6:7]
	s_and_saveexec_b64 s[6:7], s[4:5]
	s_cbranch_execz .LBB45_1860
.LBB45_1859:
	v_and_b32_e32 v8, 7, v14
	v_ffbh_u32_e32 v12, v8
	v_min_u32_e32 v12, 32, v12
	v_lshrrev_b16_e32 v9, 3, v14
	v_subrev_u32_e32 v13, 28, v12
	v_and_b32_e32 v9, 15, v9
	v_lshlrev_b32_e32 v13, v13, v14
	v_sub_u32_e32 v12, 29, v12
	v_and_b32_e32 v13, 7, v13
	v_cmp_eq_u16_e32 vcc, 0, v9
	v_cndmask_b32_e32 v8, v8, v13, vcc
	v_cndmask_b32_e32 v9, v9, v12, vcc
	v_lshlrev_b32_e32 v12, 24, v14
	v_mov_b32_e32 v13, 0x3b800000
	v_lshlrev_b32_e32 v8, 20, v8
	v_and_b32_e32 v12, 0x80000000, v12
	v_lshl_add_u32 v9, v9, 23, v13
	v_or3_b32 v8, v12, v9, v8
.LBB45_1860:
	s_or_b64 exec, exec, s[6:7]
	s_movk_i32 s4, 0x7f
	v_cmp_gt_i16_sdwa s[6:7], v10, s4 src0_sel:BYTE_0 src1_sel:DWORD
	s_mov_b64 s[4:5], 0
                                        ; implicit-def: $sgpr10
	s_and_saveexec_b64 s[8:9], s[6:7]
	s_xor_b64 s[6:7], exec, s[8:9]
	s_cbranch_execnz .LBB45_3909
; %bb.1861:
	s_or_saveexec_b64 s[6:7], s[6:7]
	v_mov_b32_e32 v9, s10
	s_xor_b64 exec, exec, s[6:7]
	s_cbranch_execnz .LBB45_3912
.LBB45_1862:
	s_or_b64 exec, exec, s[6:7]
	s_and_saveexec_b64 s[6:7], s[4:5]
	s_cbranch_execz .LBB45_1864
.LBB45_1863:
	v_and_b32_e32 v9, 7, v10
	v_ffbh_u32_e32 v13, v9
	v_min_u32_e32 v13, 32, v13
	v_lshrrev_b16_e32 v12, 3, v10
	v_subrev_u32_e32 v18, 28, v13
	v_and_b32_e32 v12, 15, v12
	v_lshlrev_b32_e32 v18, v18, v10
	v_sub_u32_e32 v13, 29, v13
	v_and_b32_e32 v18, 7, v18
	v_cmp_eq_u16_e32 vcc, 0, v12
	v_cndmask_b32_e32 v9, v9, v18, vcc
	v_cndmask_b32_e32 v12, v12, v13, vcc
	v_lshlrev_b32_e32 v13, 24, v10
	v_mov_b32_e32 v18, 0x3b800000
	v_lshlrev_b32_e32 v9, 20, v9
	v_and_b32_e32 v13, 0x80000000, v13
	v_lshl_add_u32 v12, v12, 23, v18
	v_or3_b32 v9, v13, v12, v9
.LBB45_1864:
	s_or_b64 exec, exec, s[6:7]
	s_nop 0
	v_mfma_f32_16x16x4f32 a[0:3], v8, v9, a[0:3]
	v_lshrrev_b32_e32 v9, 8, v14
	s_movk_i32 s4, 0x7f
	v_cmp_gt_i16_sdwa s[6:7], v9, s4 src0_sel:BYTE_0 src1_sel:DWORD
	s_mov_b64 s[4:5], 0
                                        ; implicit-def: $sgpr10
	s_and_saveexec_b64 s[8:9], s[6:7]
	s_xor_b64 s[6:7], exec, s[8:9]
	s_cbranch_execnz .LBB45_3913
; %bb.1865:
	s_or_saveexec_b64 s[6:7], s[6:7]
	v_mov_b32_e32 v8, s10
	s_xor_b64 exec, exec, s[6:7]
	s_cbranch_execnz .LBB45_3916
.LBB45_1866:
	s_or_b64 exec, exec, s[6:7]
	s_and_saveexec_b64 s[6:7], s[4:5]
	s_cbranch_execz .LBB45_1868
.LBB45_1867:
	v_bfe_u32 v8, v14, 8, 3
	v_ffbh_u32_e32 v13, v8
	v_min_u32_e32 v13, 32, v13
	v_lshrrev_b16_e32 v12, 3, v9
	v_subrev_u32_e32 v18, 28, v13
	v_and_b32_e32 v12, 15, v12
	v_lshlrev_b32_e32 v9, v18, v9
	v_sub_u32_e32 v13, 29, v13
	v_and_b32_e32 v9, 7, v9
	v_cmp_eq_u16_e32 vcc, 0, v12
	v_cndmask_b32_e32 v8, v8, v9, vcc
	v_cndmask_b32_e32 v9, v12, v13, vcc
	v_lshlrev_b32_e32 v12, 16, v14
	v_mov_b32_e32 v13, 0x3b800000
	v_lshlrev_b32_e32 v8, 20, v8
	v_and_b32_e32 v12, 0x80000000, v12
	v_lshl_add_u32 v9, v9, 23, v13
	v_or3_b32 v8, v12, v9, v8
.LBB45_1868:
	s_or_b64 exec, exec, s[6:7]
	v_lshrrev_b32_e32 v9, 8, v10
	s_movk_i32 s4, 0x7f
	v_cmp_gt_i16_sdwa s[6:7], v9, s4 src0_sel:BYTE_0 src1_sel:DWORD
	s_mov_b64 s[4:5], 0
                                        ; implicit-def: $sgpr10
	s_and_saveexec_b64 s[8:9], s[6:7]
	s_xor_b64 s[6:7], exec, s[8:9]
	s_cbranch_execnz .LBB45_3917
; %bb.1869:
	s_or_saveexec_b64 s[6:7], s[6:7]
	v_mov_b32_e32 v12, s10
	s_xor_b64 exec, exec, s[6:7]
	s_cbranch_execnz .LBB45_3920
.LBB45_1870:
	s_or_b64 exec, exec, s[6:7]
	s_and_saveexec_b64 s[6:7], s[4:5]
	s_cbranch_execz .LBB45_1872
.LBB45_1871:
	v_bfe_u32 v12, v10, 8, 3
	v_ffbh_u32_e32 v18, v12
	v_min_u32_e32 v18, 32, v18
	v_lshrrev_b16_e32 v13, 3, v9
	v_subrev_u32_e32 v19, 28, v18
	v_and_b32_e32 v13, 15, v13
	v_lshlrev_b32_e32 v9, v19, v9
	v_sub_u32_e32 v18, 29, v18
	v_and_b32_e32 v9, 7, v9
	v_cmp_eq_u16_e32 vcc, 0, v13
	v_cndmask_b32_e32 v9, v12, v9, vcc
	v_cndmask_b32_e32 v12, v13, v18, vcc
	v_lshlrev_b32_e32 v13, 16, v10
	v_mov_b32_e32 v18, 0x3b800000
	v_lshlrev_b32_e32 v9, 20, v9
	v_and_b32_e32 v13, 0x80000000, v13
	v_lshl_add_u32 v12, v12, 23, v18
	v_or3_b32 v12, v13, v12, v9
.LBB45_1872:
	s_or_b64 exec, exec, s[6:7]
	s_nop 0
	v_mfma_f32_16x16x4f32 a[0:3], v8, v12, a[0:3]
	s_movk_i32 s4, 0xff
	v_and_b32_sdwa v9, v14, s4 dst_sel:DWORD dst_unused:UNUSED_PAD src0_sel:WORD_1 src1_sel:DWORD
	s_movk_i32 s4, 0x7f
	v_cmp_lt_i16_e32 vcc, s4, v9
	s_mov_b64 s[4:5], 0
                                        ; implicit-def: $sgpr10
	s_and_saveexec_b64 s[6:7], vcc
	s_xor_b64 s[6:7], exec, s[6:7]
	s_cbranch_execnz .LBB45_3921
; %bb.1873:
	s_or_saveexec_b64 s[6:7], s[6:7]
	v_mov_b32_e32 v8, s10
	s_xor_b64 exec, exec, s[6:7]
	s_cbranch_execnz .LBB45_3924
.LBB45_1874:
	s_or_b64 exec, exec, s[6:7]
	s_and_saveexec_b64 s[6:7], s[4:5]
	s_cbranch_execz .LBB45_1876
.LBB45_1875:
	v_bfe_u32 v8, v14, 16, 3
	v_ffbh_u32_e32 v13, v8
	v_min_u32_e32 v13, 32, v13
	v_lshrrev_b32_e32 v9, 19, v14
	v_subrev_u32_e32 v18, 28, v13
	v_and_b32_e32 v9, 15, v9
	v_lshlrev_b32_sdwa v18, v18, v14 dst_sel:DWORD dst_unused:UNUSED_PAD src0_sel:DWORD src1_sel:WORD_1
	v_bfe_u32 v12, v14, 19, 4
	v_sub_u32_e32 v13, 29, v13
	v_and_b32_e32 v18, 7, v18
	v_cmp_eq_u16_e32 vcc, 0, v9
	v_cndmask_b32_e32 v8, v8, v18, vcc
	v_cndmask_b32_e32 v9, v12, v13, vcc
	v_lshlrev_b32_e32 v12, 8, v14
	v_mov_b32_e32 v13, 0x3b800000
	v_lshlrev_b32_e32 v8, 20, v8
	v_and_b32_e32 v12, 0x80000000, v12
	v_lshl_add_u32 v9, v9, 23, v13
	v_or3_b32 v8, v12, v9, v8
.LBB45_1876:
	s_or_b64 exec, exec, s[6:7]
	s_movk_i32 s4, 0xff
	v_and_b32_sdwa v9, v10, s4 dst_sel:DWORD dst_unused:UNUSED_PAD src0_sel:WORD_1 src1_sel:DWORD
	s_movk_i32 s4, 0x7f
	v_cmp_lt_i16_e32 vcc, s4, v9
	s_mov_b64 s[4:5], 0
                                        ; implicit-def: $sgpr10
	s_and_saveexec_b64 s[6:7], vcc
	s_xor_b64 s[6:7], exec, s[6:7]
	s_cbranch_execnz .LBB45_3925
; %bb.1877:
	s_or_saveexec_b64 s[6:7], s[6:7]
	v_mov_b32_e32 v12, s10
	s_xor_b64 exec, exec, s[6:7]
	s_cbranch_execnz .LBB45_3928
.LBB45_1878:
	s_or_b64 exec, exec, s[6:7]
	s_and_saveexec_b64 s[6:7], s[4:5]
	s_cbranch_execz .LBB45_1880
.LBB45_1879:
	v_bfe_u32 v9, v10, 16, 3
	v_ffbh_u32_e32 v18, v9
	v_min_u32_e32 v18, 32, v18
	v_lshrrev_b32_e32 v12, 19, v10
	v_subrev_u32_e32 v19, 28, v18
	v_and_b32_e32 v12, 15, v12
	v_lshlrev_b32_sdwa v19, v19, v10 dst_sel:DWORD dst_unused:UNUSED_PAD src0_sel:DWORD src1_sel:WORD_1
	v_bfe_u32 v13, v10, 19, 4
	v_sub_u32_e32 v18, 29, v18
	v_and_b32_e32 v19, 7, v19
	v_cmp_eq_u16_e32 vcc, 0, v12
	v_cndmask_b32_e32 v9, v9, v19, vcc
	v_cndmask_b32_e32 v12, v13, v18, vcc
	v_lshlrev_b32_e32 v13, 8, v10
	v_mov_b32_e32 v18, 0x3b800000
	v_lshlrev_b32_e32 v9, 20, v9
	v_and_b32_e32 v13, 0x80000000, v13
	v_lshl_add_u32 v12, v12, 23, v18
	v_or3_b32 v12, v13, v12, v9
.LBB45_1880:
	s_or_b64 exec, exec, s[6:7]
	s_nop 0
	v_mfma_f32_16x16x4f32 a[0:3], v8, v12, a[0:3]
	s_movk_i32 s4, 0x7f
	v_cmp_gt_i16_sdwa s[6:7], v14, s4 src0_sel:BYTE_3 src1_sel:DWORD
	s_mov_b64 s[4:5], 0
                                        ; implicit-def: $sgpr10
	s_and_saveexec_b64 s[8:9], s[6:7]
	s_xor_b64 s[6:7], exec, s[8:9]
	s_cbranch_execnz .LBB45_3929
; %bb.1881:
	s_or_saveexec_b64 s[6:7], s[6:7]
	v_mov_b32_e32 v8, s10
	s_xor_b64 exec, exec, s[6:7]
	s_cbranch_execnz .LBB45_3932
.LBB45_1882:
	s_or_b64 exec, exec, s[6:7]
	s_and_saveexec_b64 s[6:7], s[4:5]
	s_cbranch_execz .LBB45_1884
.LBB45_1883:
	v_bfe_u32 v8, v14, 24, 3
	v_ffbh_u32_e32 v18, v8
	v_min_u32_e32 v18, 32, v18
	v_lshrrev_b32_e32 v12, 27, v14
	v_subrev_u32_e32 v19, 28, v18
	v_and_b32_e32 v9, 0x80000000, v14
	v_and_b32_e32 v12, 15, v12
	v_bfe_u32 v13, v14, 27, 4
	v_lshlrev_b32_sdwa v14, v19, v14 dst_sel:DWORD dst_unused:UNUSED_PAD src0_sel:DWORD src1_sel:BYTE_3
	v_sub_u32_e32 v18, 29, v18
	v_and_b32_e32 v14, 7, v14
	v_cmp_eq_u16_e32 vcc, 0, v12
	v_cndmask_b32_e32 v8, v8, v14, vcc
	v_cndmask_b32_e32 v12, v13, v18, vcc
	v_mov_b32_e32 v13, 0x3b800000
	v_lshlrev_b32_e32 v8, 20, v8
	v_lshl_add_u32 v12, v12, 23, v13
	v_or3_b32 v8, v9, v12, v8
.LBB45_1884:
	s_or_b64 exec, exec, s[6:7]
	s_movk_i32 s4, 0x7f
	v_cmp_gt_i16_sdwa s[6:7], v10, s4 src0_sel:BYTE_3 src1_sel:DWORD
	s_mov_b64 s[4:5], 0
                                        ; implicit-def: $sgpr10
	s_and_saveexec_b64 s[8:9], s[6:7]
	s_xor_b64 s[6:7], exec, s[8:9]
	s_cbranch_execnz .LBB45_3933
; %bb.1885:
	s_or_saveexec_b64 s[6:7], s[6:7]
	v_mov_b32_e32 v9, s10
	s_xor_b64 exec, exec, s[6:7]
	s_cbranch_execnz .LBB45_3936
.LBB45_1886:
	s_or_b64 exec, exec, s[6:7]
	s_and_saveexec_b64 s[6:7], s[4:5]
	s_cbranch_execz .LBB45_1888
.LBB45_1887:
	v_bfe_u32 v9, v10, 24, 3
	v_ffbh_u32_e32 v18, v9
	v_min_u32_e32 v18, 32, v18
	v_lshrrev_b32_e32 v13, 27, v10
	v_subrev_u32_e32 v19, 28, v18
	v_and_b32_e32 v12, 0x80000000, v10
	v_and_b32_e32 v13, 15, v13
	v_bfe_u32 v14, v10, 27, 4
	v_lshlrev_b32_sdwa v10, v19, v10 dst_sel:DWORD dst_unused:UNUSED_PAD src0_sel:DWORD src1_sel:BYTE_3
	v_sub_u32_e32 v18, 29, v18
	v_and_b32_e32 v10, 7, v10
	v_cmp_eq_u16_e32 vcc, 0, v13
	v_cndmask_b32_e32 v9, v9, v10, vcc
	v_cndmask_b32_e32 v10, v14, v18, vcc
	v_mov_b32_e32 v13, 0x3b800000
	v_lshlrev_b32_e32 v9, 20, v9
	v_lshl_add_u32 v10, v10, 23, v13
	v_or3_b32 v9, v12, v10, v9
.LBB45_1888:
	s_or_b64 exec, exec, s[6:7]
	s_nop 0
	v_mfma_f32_16x16x4f32 a[0:3], v8, v9, a[0:3]
	s_movk_i32 s4, 0x7f
	v_cmp_gt_i16_sdwa s[6:7], v15, s4 src0_sel:BYTE_0 src1_sel:DWORD
	s_mov_b64 s[4:5], 0
                                        ; implicit-def: $sgpr10
	s_and_saveexec_b64 s[8:9], s[6:7]
	s_xor_b64 s[6:7], exec, s[8:9]
	s_cbranch_execnz .LBB45_3937
; %bb.1889:
	s_or_saveexec_b64 s[6:7], s[6:7]
	v_mov_b32_e32 v8, s10
	s_xor_b64 exec, exec, s[6:7]
	s_cbranch_execnz .LBB45_3940
.LBB45_1890:
	s_or_b64 exec, exec, s[6:7]
	s_and_saveexec_b64 s[6:7], s[4:5]
	s_cbranch_execz .LBB45_1892
.LBB45_1891:
	v_and_b32_e32 v8, 7, v15
	v_ffbh_u32_e32 v10, v8
	v_min_u32_e32 v10, 32, v10
	v_lshrrev_b16_e32 v9, 3, v15
	v_subrev_u32_e32 v12, 28, v10
	v_and_b32_e32 v9, 15, v9
	v_lshlrev_b32_e32 v12, v12, v15
	v_sub_u32_e32 v10, 29, v10
	v_and_b32_e32 v12, 7, v12
	v_cmp_eq_u16_e32 vcc, 0, v9
	v_cndmask_b32_e32 v8, v8, v12, vcc
	v_cndmask_b32_e32 v9, v9, v10, vcc
	v_lshlrev_b32_e32 v10, 24, v15
	v_mov_b32_e32 v12, 0x3b800000
	v_lshlrev_b32_e32 v8, 20, v8
	v_and_b32_e32 v10, 0x80000000, v10
	v_lshl_add_u32 v9, v9, 23, v12
	v_or3_b32 v8, v10, v9, v8
.LBB45_1892:
	s_or_b64 exec, exec, s[6:7]
	s_movk_i32 s4, 0x7f
	v_cmp_gt_i16_sdwa s[6:7], v11, s4 src0_sel:BYTE_0 src1_sel:DWORD
	s_mov_b64 s[4:5], 0
                                        ; implicit-def: $sgpr10
	s_and_saveexec_b64 s[8:9], s[6:7]
	s_xor_b64 s[6:7], exec, s[8:9]
	s_cbranch_execnz .LBB45_3941
; %bb.1893:
	s_or_saveexec_b64 s[6:7], s[6:7]
	v_mov_b32_e32 v9, s10
	s_xor_b64 exec, exec, s[6:7]
	s_cbranch_execnz .LBB45_3944
.LBB45_1894:
	s_or_b64 exec, exec, s[6:7]
	s_and_saveexec_b64 s[6:7], s[4:5]
	s_cbranch_execz .LBB45_1896
.LBB45_1895:
	v_and_b32_e32 v9, 7, v11
	v_ffbh_u32_e32 v12, v9
	v_min_u32_e32 v12, 32, v12
	v_lshrrev_b16_e32 v10, 3, v11
	v_subrev_u32_e32 v13, 28, v12
	v_and_b32_e32 v10, 15, v10
	v_lshlrev_b32_e32 v13, v13, v11
	v_sub_u32_e32 v12, 29, v12
	v_and_b32_e32 v13, 7, v13
	v_cmp_eq_u16_e32 vcc, 0, v10
	v_cndmask_b32_e32 v9, v9, v13, vcc
	v_cndmask_b32_e32 v10, v10, v12, vcc
	v_lshlrev_b32_e32 v12, 24, v11
	v_mov_b32_e32 v13, 0x3b800000
	v_lshlrev_b32_e32 v9, 20, v9
	v_and_b32_e32 v12, 0x80000000, v12
	v_lshl_add_u32 v10, v10, 23, v13
	v_or3_b32 v9, v12, v10, v9
.LBB45_1896:
	s_or_b64 exec, exec, s[6:7]
	s_nop 0
	v_mfma_f32_16x16x4f32 a[0:3], v8, v9, a[0:3]
	v_lshrrev_b32_e32 v9, 8, v15
	s_movk_i32 s4, 0x7f
	v_cmp_gt_i16_sdwa s[6:7], v9, s4 src0_sel:BYTE_0 src1_sel:DWORD
	s_mov_b64 s[4:5], 0
                                        ; implicit-def: $sgpr10
	s_and_saveexec_b64 s[8:9], s[6:7]
	s_xor_b64 s[6:7], exec, s[8:9]
	s_cbranch_execnz .LBB45_3945
; %bb.1897:
	s_or_saveexec_b64 s[6:7], s[6:7]
	v_mov_b32_e32 v8, s10
	s_xor_b64 exec, exec, s[6:7]
	s_cbranch_execnz .LBB45_3948
.LBB45_1898:
	s_or_b64 exec, exec, s[6:7]
	s_and_saveexec_b64 s[6:7], s[4:5]
	s_cbranch_execz .LBB45_1900
.LBB45_1899:
	v_bfe_u32 v8, v15, 8, 3
	v_ffbh_u32_e32 v12, v8
	v_min_u32_e32 v12, 32, v12
	v_lshrrev_b16_e32 v10, 3, v9
	v_subrev_u32_e32 v13, 28, v12
	v_and_b32_e32 v10, 15, v10
	v_lshlrev_b32_e32 v9, v13, v9
	v_sub_u32_e32 v12, 29, v12
	v_and_b32_e32 v9, 7, v9
	v_cmp_eq_u16_e32 vcc, 0, v10
	v_cndmask_b32_e32 v8, v8, v9, vcc
	v_cndmask_b32_e32 v9, v10, v12, vcc
	v_lshlrev_b32_e32 v10, 16, v15
	v_mov_b32_e32 v12, 0x3b800000
	v_lshlrev_b32_e32 v8, 20, v8
	v_and_b32_e32 v10, 0x80000000, v10
	v_lshl_add_u32 v9, v9, 23, v12
	v_or3_b32 v8, v10, v9, v8
.LBB45_1900:
	s_or_b64 exec, exec, s[6:7]
	v_lshrrev_b32_e32 v9, 8, v11
	s_movk_i32 s4, 0x7f
	v_cmp_gt_i16_sdwa s[6:7], v9, s4 src0_sel:BYTE_0 src1_sel:DWORD
	s_mov_b64 s[4:5], 0
                                        ; implicit-def: $sgpr10
	s_and_saveexec_b64 s[8:9], s[6:7]
	s_xor_b64 s[6:7], exec, s[8:9]
	s_cbranch_execnz .LBB45_3949
; %bb.1901:
	s_or_saveexec_b64 s[6:7], s[6:7]
	v_mov_b32_e32 v10, s10
	s_xor_b64 exec, exec, s[6:7]
	s_cbranch_execnz .LBB45_3952
.LBB45_1902:
	s_or_b64 exec, exec, s[6:7]
	s_and_saveexec_b64 s[6:7], s[4:5]
	s_cbranch_execz .LBB45_1904
.LBB45_1903:
	v_bfe_u32 v10, v11, 8, 3
	v_ffbh_u32_e32 v13, v10
	v_min_u32_e32 v13, 32, v13
	v_lshrrev_b16_e32 v12, 3, v9
	v_subrev_u32_e32 v14, 28, v13
	v_and_b32_e32 v12, 15, v12
	v_lshlrev_b32_e32 v9, v14, v9
	v_sub_u32_e32 v13, 29, v13
	v_and_b32_e32 v9, 7, v9
	v_cmp_eq_u16_e32 vcc, 0, v12
	v_cndmask_b32_e32 v9, v10, v9, vcc
	v_cndmask_b32_e32 v10, v12, v13, vcc
	v_lshlrev_b32_e32 v12, 16, v11
	v_mov_b32_e32 v13, 0x3b800000
	v_lshlrev_b32_e32 v9, 20, v9
	v_and_b32_e32 v12, 0x80000000, v12
	v_lshl_add_u32 v10, v10, 23, v13
	v_or3_b32 v10, v12, v10, v9
.LBB45_1904:
	s_or_b64 exec, exec, s[6:7]
	s_nop 0
	v_mfma_f32_16x16x4f32 a[0:3], v8, v10, a[0:3]
	s_movk_i32 s4, 0xff
	v_and_b32_sdwa v9, v15, s4 dst_sel:DWORD dst_unused:UNUSED_PAD src0_sel:WORD_1 src1_sel:DWORD
	s_movk_i32 s4, 0x7f
	v_cmp_lt_i16_e32 vcc, s4, v9
	s_mov_b64 s[4:5], 0
                                        ; implicit-def: $sgpr10
	s_and_saveexec_b64 s[6:7], vcc
	s_xor_b64 s[6:7], exec, s[6:7]
	s_cbranch_execnz .LBB45_3953
; %bb.1905:
	s_or_saveexec_b64 s[6:7], s[6:7]
	v_mov_b32_e32 v8, s10
	s_xor_b64 exec, exec, s[6:7]
	s_cbranch_execnz .LBB45_3956
.LBB45_1906:
	s_or_b64 exec, exec, s[6:7]
	s_and_saveexec_b64 s[6:7], s[4:5]
	s_cbranch_execz .LBB45_1908
.LBB45_1907:
	v_bfe_u32 v8, v15, 16, 3
	v_ffbh_u32_e32 v12, v8
	v_min_u32_e32 v12, 32, v12
	v_lshrrev_b32_e32 v9, 19, v15
	v_subrev_u32_e32 v13, 28, v12
	v_and_b32_e32 v9, 15, v9
	v_lshlrev_b32_sdwa v13, v13, v15 dst_sel:DWORD dst_unused:UNUSED_PAD src0_sel:DWORD src1_sel:WORD_1
	v_bfe_u32 v10, v15, 19, 4
	v_sub_u32_e32 v12, 29, v12
	v_and_b32_e32 v13, 7, v13
	v_cmp_eq_u16_e32 vcc, 0, v9
	v_cndmask_b32_e32 v8, v8, v13, vcc
	v_cndmask_b32_e32 v9, v10, v12, vcc
	v_lshlrev_b32_e32 v10, 8, v15
	v_mov_b32_e32 v12, 0x3b800000
	v_lshlrev_b32_e32 v8, 20, v8
	v_and_b32_e32 v10, 0x80000000, v10
	v_lshl_add_u32 v9, v9, 23, v12
	v_or3_b32 v8, v10, v9, v8
.LBB45_1908:
	s_or_b64 exec, exec, s[6:7]
	s_movk_i32 s4, 0xff
	v_and_b32_sdwa v9, v11, s4 dst_sel:DWORD dst_unused:UNUSED_PAD src0_sel:WORD_1 src1_sel:DWORD
	s_movk_i32 s4, 0x7f
	v_cmp_lt_i16_e32 vcc, s4, v9
	s_mov_b64 s[4:5], 0
                                        ; implicit-def: $sgpr10
	s_and_saveexec_b64 s[6:7], vcc
	s_xor_b64 s[6:7], exec, s[6:7]
	s_cbranch_execnz .LBB45_3957
; %bb.1909:
	s_or_saveexec_b64 s[6:7], s[6:7]
	v_mov_b32_e32 v10, s10
	s_xor_b64 exec, exec, s[6:7]
	s_cbranch_execnz .LBB45_3960
.LBB45_1910:
	s_or_b64 exec, exec, s[6:7]
	s_and_saveexec_b64 s[6:7], s[4:5]
	s_cbranch_execz .LBB45_1912
.LBB45_1911:
	v_bfe_u32 v9, v11, 16, 3
	v_ffbh_u32_e32 v13, v9
	v_min_u32_e32 v13, 32, v13
	v_lshrrev_b32_e32 v10, 19, v11
	v_subrev_u32_e32 v14, 28, v13
	v_and_b32_e32 v10, 15, v10
	v_lshlrev_b32_sdwa v14, v14, v11 dst_sel:DWORD dst_unused:UNUSED_PAD src0_sel:DWORD src1_sel:WORD_1
	v_bfe_u32 v12, v11, 19, 4
	v_sub_u32_e32 v13, 29, v13
	v_and_b32_e32 v14, 7, v14
	v_cmp_eq_u16_e32 vcc, 0, v10
	v_cndmask_b32_e32 v9, v9, v14, vcc
	v_cndmask_b32_e32 v10, v12, v13, vcc
	v_lshlrev_b32_e32 v12, 8, v11
	v_mov_b32_e32 v13, 0x3b800000
	v_lshlrev_b32_e32 v9, 20, v9
	v_and_b32_e32 v12, 0x80000000, v12
	v_lshl_add_u32 v10, v10, 23, v13
	v_or3_b32 v10, v12, v10, v9
.LBB45_1912:
	s_or_b64 exec, exec, s[6:7]
	s_nop 0
	v_mfma_f32_16x16x4f32 a[0:3], v8, v10, a[0:3]
	s_movk_i32 s4, 0x7f
	v_cmp_gt_i16_sdwa s[6:7], v15, s4 src0_sel:BYTE_3 src1_sel:DWORD
	s_mov_b64 s[4:5], 0
                                        ; implicit-def: $sgpr10
	s_and_saveexec_b64 s[8:9], s[6:7]
	s_xor_b64 s[6:7], exec, s[8:9]
	s_cbranch_execnz .LBB45_3961
; %bb.1913:
	s_or_saveexec_b64 s[6:7], s[6:7]
	v_mov_b32_e32 v8, s10
	s_xor_b64 exec, exec, s[6:7]
	s_cbranch_execnz .LBB45_3964
.LBB45_1914:
	s_or_b64 exec, exec, s[6:7]
	s_and_saveexec_b64 s[6:7], s[4:5]
	s_cbranch_execz .LBB45_1916
.LBB45_1915:
	v_bfe_u32 v8, v15, 24, 3
	v_ffbh_u32_e32 v13, v8
	v_min_u32_e32 v13, 32, v13
	v_lshrrev_b32_e32 v10, 27, v15
	v_subrev_u32_e32 v14, 28, v13
	v_and_b32_e32 v10, 15, v10
	v_lshlrev_b32_sdwa v14, v14, v15 dst_sel:DWORD dst_unused:UNUSED_PAD src0_sel:DWORD src1_sel:BYTE_3
	v_bfe_u32 v12, v15, 27, 4
	v_sub_u32_e32 v13, 29, v13
	v_and_b32_e32 v14, 7, v14
	v_cmp_eq_u16_e32 vcc, 0, v10
	v_cndmask_b32_e32 v8, v8, v14, vcc
	v_cndmask_b32_e32 v10, v12, v13, vcc
	v_mov_b32_e32 v12, 0x3b800000
	v_and_b32_e32 v9, 0x80000000, v15
	v_lshlrev_b32_e32 v8, 20, v8
	v_lshl_add_u32 v10, v10, 23, v12
	v_or3_b32 v8, v9, v10, v8
.LBB45_1916:
	s_or_b64 exec, exec, s[6:7]
	s_movk_i32 s4, 0x7f
	v_cmp_gt_i16_sdwa s[6:7], v11, s4 src0_sel:BYTE_3 src1_sel:DWORD
	s_mov_b64 s[4:5], 0
                                        ; implicit-def: $sgpr10
	s_and_saveexec_b64 s[8:9], s[6:7]
	s_xor_b64 s[6:7], exec, s[8:9]
	s_cbranch_execnz .LBB45_3965
; %bb.1917:
	s_or_saveexec_b64 s[6:7], s[6:7]
	v_mov_b32_e32 v9, s10
	s_xor_b64 exec, exec, s[6:7]
	s_cbranch_execnz .LBB45_3968
.LBB45_1918:
	s_or_b64 exec, exec, s[6:7]
	s_and_saveexec_b64 s[6:7], s[4:5]
	s_cbranch_execz .LBB45_1920
.LBB45_1919:
	v_bfe_u32 v9, v11, 24, 3
	v_ffbh_u32_e32 v14, v9
	v_min_u32_e32 v14, 32, v14
	v_lshrrev_b32_e32 v12, 27, v11
	v_subrev_u32_e32 v15, 28, v14
	v_and_b32_e32 v10, 0x80000000, v11
	v_and_b32_e32 v12, 15, v12
	v_bfe_u32 v13, v11, 27, 4
	v_lshlrev_b32_sdwa v11, v15, v11 dst_sel:DWORD dst_unused:UNUSED_PAD src0_sel:DWORD src1_sel:BYTE_3
	v_sub_u32_e32 v14, 29, v14
	v_and_b32_e32 v11, 7, v11
	v_cmp_eq_u16_e32 vcc, 0, v12
	v_cndmask_b32_e32 v9, v9, v11, vcc
	v_cndmask_b32_e32 v11, v13, v14, vcc
	v_mov_b32_e32 v12, 0x3b800000
	v_lshlrev_b32_e32 v9, 20, v9
	v_lshl_add_u32 v11, v11, 23, v12
	v_or3_b32 v9, v10, v11, v9
.LBB45_1920:
	s_or_b64 exec, exec, s[6:7]
	s_nop 0
	v_mfma_f32_16x16x4f32 a[0:3], v8, v9, a[0:3]
	s_movk_i32 s4, 0x7f
	v_cmp_gt_i16_sdwa s[6:7], v4, s4 src0_sel:BYTE_0 src1_sel:DWORD
	s_mov_b64 s[4:5], 0
                                        ; implicit-def: $sgpr10
	s_and_saveexec_b64 s[8:9], s[6:7]
	s_xor_b64 s[6:7], exec, s[8:9]
	s_cbranch_execnz .LBB45_3969
; %bb.1921:
	s_or_saveexec_b64 s[6:7], s[6:7]
	v_mov_b32_e32 v8, s10
	s_xor_b64 exec, exec, s[6:7]
	s_cbranch_execnz .LBB45_3972
.LBB45_1922:
	s_or_b64 exec, exec, s[6:7]
	s_and_saveexec_b64 s[6:7], s[4:5]
	s_cbranch_execz .LBB45_1924
.LBB45_1923:
	v_and_b32_e32 v8, 7, v4
	v_ffbh_u32_e32 v10, v8
	v_min_u32_e32 v10, 32, v10
	v_lshrrev_b16_e32 v9, 3, v4
	v_subrev_u32_e32 v11, 28, v10
	v_and_b32_e32 v9, 15, v9
	v_lshlrev_b32_e32 v11, v11, v4
	v_sub_u32_e32 v10, 29, v10
	v_and_b32_e32 v11, 7, v11
	v_cmp_eq_u16_e32 vcc, 0, v9
	v_cndmask_b32_e32 v8, v8, v11, vcc
	v_cndmask_b32_e32 v9, v9, v10, vcc
	v_lshlrev_b32_e32 v10, 24, v4
	v_mov_b32_e32 v11, 0x3b800000
	v_lshlrev_b32_e32 v8, 20, v8
	v_and_b32_e32 v10, 0x80000000, v10
	v_lshl_add_u32 v9, v9, 23, v11
	v_or3_b32 v8, v10, v9, v8
.LBB45_1924:
	s_or_b64 exec, exec, s[6:7]
	s_movk_i32 s4, 0x7f
	v_cmp_gt_i16_sdwa s[6:7], v0, s4 src0_sel:BYTE_0 src1_sel:DWORD
	s_mov_b64 s[4:5], 0
                                        ; implicit-def: $sgpr10
	s_and_saveexec_b64 s[8:9], s[6:7]
	s_xor_b64 s[6:7], exec, s[8:9]
	s_cbranch_execnz .LBB45_3973
; %bb.1925:
	s_or_saveexec_b64 s[6:7], s[6:7]
	v_mov_b32_e32 v9, s10
	s_xor_b64 exec, exec, s[6:7]
	s_cbranch_execnz .LBB45_3976
.LBB45_1926:
	s_or_b64 exec, exec, s[6:7]
	s_and_saveexec_b64 s[6:7], s[4:5]
	s_cbranch_execz .LBB45_1928
.LBB45_1927:
	v_and_b32_e32 v9, 7, v0
	v_ffbh_u32_e32 v11, v9
	v_min_u32_e32 v11, 32, v11
	v_lshrrev_b16_e32 v10, 3, v0
	v_subrev_u32_e32 v12, 28, v11
	v_and_b32_e32 v10, 15, v10
	v_lshlrev_b32_e32 v12, v12, v0
	v_sub_u32_e32 v11, 29, v11
	v_and_b32_e32 v12, 7, v12
	v_cmp_eq_u16_e32 vcc, 0, v10
	v_cndmask_b32_e32 v9, v9, v12, vcc
	v_cndmask_b32_e32 v10, v10, v11, vcc
	v_lshlrev_b32_e32 v11, 24, v0
	v_mov_b32_e32 v12, 0x3b800000
	v_lshlrev_b32_e32 v9, 20, v9
	v_and_b32_e32 v11, 0x80000000, v11
	v_lshl_add_u32 v10, v10, 23, v12
	v_or3_b32 v9, v11, v10, v9
.LBB45_1928:
	s_or_b64 exec, exec, s[6:7]
	s_nop 0
	v_mfma_f32_16x16x4f32 a[0:3], v8, v9, a[0:3]
	v_lshrrev_b32_e32 v9, 8, v4
	s_movk_i32 s4, 0x7f
	v_cmp_gt_i16_sdwa s[6:7], v9, s4 src0_sel:BYTE_0 src1_sel:DWORD
	s_mov_b64 s[4:5], 0
                                        ; implicit-def: $sgpr10
	s_and_saveexec_b64 s[8:9], s[6:7]
	s_xor_b64 s[6:7], exec, s[8:9]
	s_cbranch_execnz .LBB45_3977
; %bb.1929:
	s_or_saveexec_b64 s[6:7], s[6:7]
	v_mov_b32_e32 v8, s10
	s_xor_b64 exec, exec, s[6:7]
	s_cbranch_execnz .LBB45_3980
.LBB45_1930:
	s_or_b64 exec, exec, s[6:7]
	s_and_saveexec_b64 s[6:7], s[4:5]
	s_cbranch_execz .LBB45_1932
.LBB45_1931:
	v_bfe_u32 v8, v4, 8, 3
	v_ffbh_u32_e32 v11, v8
	v_min_u32_e32 v11, 32, v11
	v_lshrrev_b16_e32 v10, 3, v9
	v_subrev_u32_e32 v12, 28, v11
	v_and_b32_e32 v10, 15, v10
	v_lshlrev_b32_e32 v9, v12, v9
	v_sub_u32_e32 v11, 29, v11
	v_and_b32_e32 v9, 7, v9
	v_cmp_eq_u16_e32 vcc, 0, v10
	v_cndmask_b32_e32 v8, v8, v9, vcc
	v_cndmask_b32_e32 v9, v10, v11, vcc
	v_lshlrev_b32_e32 v10, 16, v4
	v_mov_b32_e32 v11, 0x3b800000
	v_lshlrev_b32_e32 v8, 20, v8
	v_and_b32_e32 v10, 0x80000000, v10
	v_lshl_add_u32 v9, v9, 23, v11
	v_or3_b32 v8, v10, v9, v8
.LBB45_1932:
	s_or_b64 exec, exec, s[6:7]
	v_lshrrev_b32_e32 v9, 8, v0
	s_movk_i32 s4, 0x7f
	v_cmp_gt_i16_sdwa s[6:7], v9, s4 src0_sel:BYTE_0 src1_sel:DWORD
	s_mov_b64 s[4:5], 0
                                        ; implicit-def: $sgpr10
	s_and_saveexec_b64 s[8:9], s[6:7]
	s_xor_b64 s[6:7], exec, s[8:9]
	s_cbranch_execnz .LBB45_3981
; %bb.1933:
	s_or_saveexec_b64 s[6:7], s[6:7]
	v_mov_b32_e32 v10, s10
	s_xor_b64 exec, exec, s[6:7]
	s_cbranch_execnz .LBB45_3984
.LBB45_1934:
	s_or_b64 exec, exec, s[6:7]
	s_and_saveexec_b64 s[6:7], s[4:5]
	s_cbranch_execz .LBB45_1936
.LBB45_1935:
	v_bfe_u32 v10, v0, 8, 3
	v_ffbh_u32_e32 v12, v10
	v_min_u32_e32 v12, 32, v12
	v_lshrrev_b16_e32 v11, 3, v9
	v_subrev_u32_e32 v13, 28, v12
	v_and_b32_e32 v11, 15, v11
	v_lshlrev_b32_e32 v9, v13, v9
	v_sub_u32_e32 v12, 29, v12
	v_and_b32_e32 v9, 7, v9
	v_cmp_eq_u16_e32 vcc, 0, v11
	v_cndmask_b32_e32 v9, v10, v9, vcc
	v_cndmask_b32_e32 v10, v11, v12, vcc
	v_lshlrev_b32_e32 v11, 16, v0
	v_mov_b32_e32 v12, 0x3b800000
	v_lshlrev_b32_e32 v9, 20, v9
	v_and_b32_e32 v11, 0x80000000, v11
	v_lshl_add_u32 v10, v10, 23, v12
	v_or3_b32 v10, v11, v10, v9
.LBB45_1936:
	s_or_b64 exec, exec, s[6:7]
	s_nop 0
	v_mfma_f32_16x16x4f32 a[0:3], v8, v10, a[0:3]
	s_movk_i32 s4, 0xff
	v_and_b32_sdwa v9, v4, s4 dst_sel:DWORD dst_unused:UNUSED_PAD src0_sel:WORD_1 src1_sel:DWORD
	s_movk_i32 s4, 0x7f
	v_cmp_lt_i16_e32 vcc, s4, v9
	s_mov_b64 s[4:5], 0
                                        ; implicit-def: $sgpr10
	s_and_saveexec_b64 s[6:7], vcc
	s_xor_b64 s[6:7], exec, s[6:7]
	s_cbranch_execnz .LBB45_3985
; %bb.1937:
	s_or_saveexec_b64 s[6:7], s[6:7]
	v_mov_b32_e32 v8, s10
	s_xor_b64 exec, exec, s[6:7]
	s_cbranch_execnz .LBB45_3988
.LBB45_1938:
	s_or_b64 exec, exec, s[6:7]
	s_and_saveexec_b64 s[6:7], s[4:5]
	s_cbranch_execz .LBB45_1940
.LBB45_1939:
	v_bfe_u32 v8, v4, 16, 3
	v_ffbh_u32_e32 v11, v8
	v_min_u32_e32 v11, 32, v11
	v_lshrrev_b32_e32 v9, 19, v4
	v_subrev_u32_e32 v12, 28, v11
	v_and_b32_e32 v9, 15, v9
	v_lshlrev_b32_sdwa v12, v12, v4 dst_sel:DWORD dst_unused:UNUSED_PAD src0_sel:DWORD src1_sel:WORD_1
	v_bfe_u32 v10, v4, 19, 4
	v_sub_u32_e32 v11, 29, v11
	v_and_b32_e32 v12, 7, v12
	v_cmp_eq_u16_e32 vcc, 0, v9
	v_cndmask_b32_e32 v8, v8, v12, vcc
	v_cndmask_b32_e32 v9, v10, v11, vcc
	v_lshlrev_b32_e32 v10, 8, v4
	v_mov_b32_e32 v11, 0x3b800000
	v_lshlrev_b32_e32 v8, 20, v8
	v_and_b32_e32 v10, 0x80000000, v10
	v_lshl_add_u32 v9, v9, 23, v11
	v_or3_b32 v8, v10, v9, v8
.LBB45_1940:
	s_or_b64 exec, exec, s[6:7]
	s_movk_i32 s4, 0xff
	v_and_b32_sdwa v9, v0, s4 dst_sel:DWORD dst_unused:UNUSED_PAD src0_sel:WORD_1 src1_sel:DWORD
	s_movk_i32 s4, 0x7f
	v_cmp_lt_i16_e32 vcc, s4, v9
	s_mov_b64 s[4:5], 0
                                        ; implicit-def: $sgpr10
	s_and_saveexec_b64 s[6:7], vcc
	s_xor_b64 s[6:7], exec, s[6:7]
	s_cbranch_execnz .LBB45_3989
; %bb.1941:
	s_or_saveexec_b64 s[6:7], s[6:7]
	v_mov_b32_e32 v10, s10
	s_xor_b64 exec, exec, s[6:7]
	s_cbranch_execnz .LBB45_3992
.LBB45_1942:
	s_or_b64 exec, exec, s[6:7]
	s_and_saveexec_b64 s[6:7], s[4:5]
	s_cbranch_execz .LBB45_1944
.LBB45_1943:
	v_bfe_u32 v9, v0, 16, 3
	v_ffbh_u32_e32 v12, v9
	v_min_u32_e32 v12, 32, v12
	v_lshrrev_b32_e32 v10, 19, v0
	v_subrev_u32_e32 v13, 28, v12
	v_and_b32_e32 v10, 15, v10
	v_lshlrev_b32_sdwa v13, v13, v0 dst_sel:DWORD dst_unused:UNUSED_PAD src0_sel:DWORD src1_sel:WORD_1
	v_bfe_u32 v11, v0, 19, 4
	v_sub_u32_e32 v12, 29, v12
	v_and_b32_e32 v13, 7, v13
	v_cmp_eq_u16_e32 vcc, 0, v10
	v_cndmask_b32_e32 v9, v9, v13, vcc
	v_cndmask_b32_e32 v10, v11, v12, vcc
	v_lshlrev_b32_e32 v11, 8, v0
	v_mov_b32_e32 v12, 0x3b800000
	v_lshlrev_b32_e32 v9, 20, v9
	v_and_b32_e32 v11, 0x80000000, v11
	v_lshl_add_u32 v10, v10, 23, v12
	v_or3_b32 v10, v11, v10, v9
.LBB45_1944:
	s_or_b64 exec, exec, s[6:7]
	s_nop 0
	v_mfma_f32_16x16x4f32 a[0:3], v8, v10, a[0:3]
	s_movk_i32 s4, 0x7f
	v_cmp_gt_i16_sdwa s[6:7], v4, s4 src0_sel:BYTE_3 src1_sel:DWORD
	s_mov_b64 s[4:5], 0
                                        ; implicit-def: $sgpr10
	s_and_saveexec_b64 s[8:9], s[6:7]
	s_xor_b64 s[6:7], exec, s[8:9]
	s_cbranch_execnz .LBB45_3993
; %bb.1945:
	s_or_saveexec_b64 s[6:7], s[6:7]
	v_mov_b32_e32 v8, s10
	s_xor_b64 exec, exec, s[6:7]
	s_cbranch_execnz .LBB45_3996
.LBB45_1946:
	s_or_b64 exec, exec, s[6:7]
	s_and_saveexec_b64 s[6:7], s[4:5]
	s_cbranch_execz .LBB45_1948
.LBB45_1947:
	v_bfe_u32 v8, v4, 24, 3
	v_ffbh_u32_e32 v12, v8
	v_min_u32_e32 v12, 32, v12
	v_lshrrev_b32_e32 v10, 27, v4
	v_subrev_u32_e32 v13, 28, v12
	v_and_b32_e32 v9, 0x80000000, v4
	v_and_b32_e32 v10, 15, v10
	v_bfe_u32 v11, v4, 27, 4
	v_lshlrev_b32_sdwa v4, v13, v4 dst_sel:DWORD dst_unused:UNUSED_PAD src0_sel:DWORD src1_sel:BYTE_3
	v_sub_u32_e32 v12, 29, v12
	v_and_b32_e32 v4, 7, v4
	v_cmp_eq_u16_e32 vcc, 0, v10
	v_cndmask_b32_e32 v4, v8, v4, vcc
	v_cndmask_b32_e32 v8, v11, v12, vcc
	v_mov_b32_e32 v10, 0x3b800000
	v_lshlrev_b32_e32 v4, 20, v4
	v_lshl_add_u32 v8, v8, 23, v10
	v_or3_b32 v8, v9, v8, v4
.LBB45_1948:
	s_or_b64 exec, exec, s[6:7]
	s_movk_i32 s4, 0x7f
	v_cmp_gt_i16_sdwa s[6:7], v0, s4 src0_sel:BYTE_3 src1_sel:DWORD
	s_mov_b64 s[4:5], 0
                                        ; implicit-def: $sgpr10
	s_and_saveexec_b64 s[8:9], s[6:7]
	s_xor_b64 s[6:7], exec, s[8:9]
	s_cbranch_execnz .LBB45_3997
; %bb.1949:
	s_or_saveexec_b64 s[6:7], s[6:7]
	v_mov_b32_e32 v4, s10
	s_xor_b64 exec, exec, s[6:7]
	s_cbranch_execnz .LBB45_4000
.LBB45_1950:
	s_or_b64 exec, exec, s[6:7]
	s_and_saveexec_b64 s[6:7], s[4:5]
	s_cbranch_execz .LBB45_1952
.LBB45_1951:
	v_bfe_u32 v4, v0, 24, 3
	v_ffbh_u32_e32 v12, v4
	v_min_u32_e32 v12, 32, v12
	v_lshrrev_b32_e32 v10, 27, v0
	v_subrev_u32_e32 v13, 28, v12
	v_and_b32_e32 v9, 0x80000000, v0
	v_and_b32_e32 v10, 15, v10
	v_bfe_u32 v11, v0, 27, 4
	v_lshlrev_b32_sdwa v0, v13, v0 dst_sel:DWORD dst_unused:UNUSED_PAD src0_sel:DWORD src1_sel:BYTE_3
	v_sub_u32_e32 v12, 29, v12
	v_and_b32_e32 v0, 7, v0
	v_cmp_eq_u16_e32 vcc, 0, v10
	v_cndmask_b32_e32 v0, v4, v0, vcc
	v_cndmask_b32_e32 v4, v11, v12, vcc
	v_mov_b32_e32 v10, 0x3b800000
	v_lshlrev_b32_e32 v0, 20, v0
	v_lshl_add_u32 v4, v4, 23, v10
	v_or3_b32 v4, v9, v4, v0
.LBB45_1952:
	s_or_b64 exec, exec, s[6:7]
	s_nop 0
	v_mfma_f32_16x16x4f32 a[0:3], v8, v4, a[0:3]
	s_movk_i32 s4, 0x7f
	v_cmp_gt_i16_sdwa s[6:7], v5, s4 src0_sel:BYTE_0 src1_sel:DWORD
	s_mov_b64 s[4:5], 0
                                        ; implicit-def: $sgpr10
	s_and_saveexec_b64 s[8:9], s[6:7]
	s_xor_b64 s[6:7], exec, s[8:9]
	s_cbranch_execnz .LBB45_4001
; %bb.1953:
	s_or_saveexec_b64 s[6:7], s[6:7]
	v_mov_b32_e32 v0, s10
	s_xor_b64 exec, exec, s[6:7]
	s_cbranch_execnz .LBB45_4004
.LBB45_1954:
	s_or_b64 exec, exec, s[6:7]
	s_and_saveexec_b64 s[6:7], s[4:5]
	s_cbranch_execz .LBB45_1956
.LBB45_1955:
	v_and_b32_e32 v0, 7, v5
	v_ffbh_u32_e32 v8, v0
	v_min_u32_e32 v8, 32, v8
	v_lshrrev_b16_e32 v4, 3, v5
	v_subrev_u32_e32 v9, 28, v8
	v_and_b32_e32 v4, 15, v4
	v_lshlrev_b32_e32 v9, v9, v5
	v_sub_u32_e32 v8, 29, v8
	v_and_b32_e32 v9, 7, v9
	v_cmp_eq_u16_e32 vcc, 0, v4
	v_cndmask_b32_e32 v0, v0, v9, vcc
	v_cndmask_b32_e32 v4, v4, v8, vcc
	v_lshlrev_b32_e32 v8, 24, v5
	v_mov_b32_e32 v9, 0x3b800000
	v_lshlrev_b32_e32 v0, 20, v0
	v_and_b32_e32 v8, 0x80000000, v8
	v_lshl_add_u32 v4, v4, 23, v9
	v_or3_b32 v0, v8, v4, v0
.LBB45_1956:
	s_or_b64 exec, exec, s[6:7]
	s_movk_i32 s4, 0x7f
	v_cmp_gt_i16_sdwa s[6:7], v1, s4 src0_sel:BYTE_0 src1_sel:DWORD
	s_mov_b64 s[4:5], 0
                                        ; implicit-def: $sgpr10
	s_and_saveexec_b64 s[8:9], s[6:7]
	s_xor_b64 s[6:7], exec, s[8:9]
	s_cbranch_execnz .LBB45_4005
; %bb.1957:
	s_or_saveexec_b64 s[6:7], s[6:7]
	v_mov_b32_e32 v4, s10
	s_xor_b64 exec, exec, s[6:7]
	s_cbranch_execnz .LBB45_4008
.LBB45_1958:
	s_or_b64 exec, exec, s[6:7]
	s_and_saveexec_b64 s[6:7], s[4:5]
	s_cbranch_execz .LBB45_1960
.LBB45_1959:
	v_and_b32_e32 v4, 7, v1
	v_ffbh_u32_e32 v9, v4
	v_min_u32_e32 v9, 32, v9
	v_lshrrev_b16_e32 v8, 3, v1
	v_subrev_u32_e32 v10, 28, v9
	v_and_b32_e32 v8, 15, v8
	v_lshlrev_b32_e32 v10, v10, v1
	v_sub_u32_e32 v9, 29, v9
	v_and_b32_e32 v10, 7, v10
	v_cmp_eq_u16_e32 vcc, 0, v8
	v_cndmask_b32_e32 v4, v4, v10, vcc
	v_cndmask_b32_e32 v8, v8, v9, vcc
	v_lshlrev_b32_e32 v9, 24, v1
	v_mov_b32_e32 v10, 0x3b800000
	v_lshlrev_b32_e32 v4, 20, v4
	v_and_b32_e32 v9, 0x80000000, v9
	v_lshl_add_u32 v8, v8, 23, v10
	v_or3_b32 v4, v9, v8, v4
.LBB45_1960:
	s_or_b64 exec, exec, s[6:7]
	s_nop 0
	v_mfma_f32_16x16x4f32 a[0:3], v0, v4, a[0:3]
	v_lshrrev_b32_e32 v4, 8, v5
	s_movk_i32 s4, 0x7f
	v_cmp_gt_i16_sdwa s[6:7], v4, s4 src0_sel:BYTE_0 src1_sel:DWORD
	s_mov_b64 s[4:5], 0
                                        ; implicit-def: $sgpr10
	s_and_saveexec_b64 s[8:9], s[6:7]
	s_xor_b64 s[6:7], exec, s[8:9]
	s_cbranch_execnz .LBB45_4009
; %bb.1961:
	s_or_saveexec_b64 s[6:7], s[6:7]
	v_mov_b32_e32 v0, s10
	s_xor_b64 exec, exec, s[6:7]
	s_cbranch_execnz .LBB45_4012
.LBB45_1962:
	s_or_b64 exec, exec, s[6:7]
	s_and_saveexec_b64 s[6:7], s[4:5]
	s_cbranch_execz .LBB45_1964
.LBB45_1963:
	v_bfe_u32 v0, v5, 8, 3
	v_ffbh_u32_e32 v9, v0
	v_min_u32_e32 v9, 32, v9
	v_lshrrev_b16_e32 v8, 3, v4
	v_subrev_u32_e32 v10, 28, v9
	v_and_b32_e32 v8, 15, v8
	v_lshlrev_b32_e32 v4, v10, v4
	v_sub_u32_e32 v9, 29, v9
	v_and_b32_e32 v4, 7, v4
	v_cmp_eq_u16_e32 vcc, 0, v8
	v_cndmask_b32_e32 v0, v0, v4, vcc
	v_cndmask_b32_e32 v4, v8, v9, vcc
	v_lshlrev_b32_e32 v8, 16, v5
	v_mov_b32_e32 v9, 0x3b800000
	v_lshlrev_b32_e32 v0, 20, v0
	v_and_b32_e32 v8, 0x80000000, v8
	v_lshl_add_u32 v4, v4, 23, v9
	v_or3_b32 v0, v8, v4, v0
.LBB45_1964:
	s_or_b64 exec, exec, s[6:7]
	v_lshrrev_b32_e32 v4, 8, v1
	s_movk_i32 s4, 0x7f
	v_cmp_gt_i16_sdwa s[6:7], v4, s4 src0_sel:BYTE_0 src1_sel:DWORD
	s_mov_b64 s[4:5], 0
                                        ; implicit-def: $sgpr10
	s_and_saveexec_b64 s[8:9], s[6:7]
	s_xor_b64 s[6:7], exec, s[8:9]
	s_cbranch_execnz .LBB45_4013
; %bb.1965:
	s_or_saveexec_b64 s[6:7], s[6:7]
	v_mov_b32_e32 v8, s10
	s_xor_b64 exec, exec, s[6:7]
	s_cbranch_execnz .LBB45_4016
.LBB45_1966:
	s_or_b64 exec, exec, s[6:7]
	s_and_saveexec_b64 s[6:7], s[4:5]
	s_cbranch_execz .LBB45_1968
.LBB45_1967:
	v_bfe_u32 v8, v1, 8, 3
	v_ffbh_u32_e32 v10, v8
	v_min_u32_e32 v10, 32, v10
	v_lshrrev_b16_e32 v9, 3, v4
	v_subrev_u32_e32 v11, 28, v10
	v_and_b32_e32 v9, 15, v9
	v_lshlrev_b32_e32 v4, v11, v4
	v_sub_u32_e32 v10, 29, v10
	v_and_b32_e32 v4, 7, v4
	v_cmp_eq_u16_e32 vcc, 0, v9
	v_cndmask_b32_e32 v4, v8, v4, vcc
	v_cndmask_b32_e32 v8, v9, v10, vcc
	v_lshlrev_b32_e32 v9, 16, v1
	v_mov_b32_e32 v10, 0x3b800000
	v_lshlrev_b32_e32 v4, 20, v4
	v_and_b32_e32 v9, 0x80000000, v9
	v_lshl_add_u32 v8, v8, 23, v10
	v_or3_b32 v8, v9, v8, v4
.LBB45_1968:
	s_or_b64 exec, exec, s[6:7]
	s_nop 0
	v_mfma_f32_16x16x4f32 a[0:3], v0, v8, a[0:3]
	s_movk_i32 s4, 0xff
	v_and_b32_sdwa v4, v5, s4 dst_sel:DWORD dst_unused:UNUSED_PAD src0_sel:WORD_1 src1_sel:DWORD
	s_movk_i32 s4, 0x7f
	v_cmp_lt_i16_e32 vcc, s4, v4
	s_mov_b64 s[4:5], 0
                                        ; implicit-def: $sgpr10
	s_and_saveexec_b64 s[6:7], vcc
	s_xor_b64 s[6:7], exec, s[6:7]
	s_cbranch_execnz .LBB45_4017
; %bb.1969:
	s_or_saveexec_b64 s[6:7], s[6:7]
	v_mov_b32_e32 v0, s10
	s_xor_b64 exec, exec, s[6:7]
	s_cbranch_execnz .LBB45_4020
.LBB45_1970:
	s_or_b64 exec, exec, s[6:7]
	s_and_saveexec_b64 s[6:7], s[4:5]
	s_cbranch_execz .LBB45_1972
.LBB45_1971:
	v_bfe_u32 v0, v5, 16, 3
	v_ffbh_u32_e32 v9, v0
	v_min_u32_e32 v9, 32, v9
	v_lshrrev_b32_e32 v4, 19, v5
	v_subrev_u32_e32 v10, 28, v9
	v_and_b32_e32 v4, 15, v4
	v_lshlrev_b32_sdwa v10, v10, v5 dst_sel:DWORD dst_unused:UNUSED_PAD src0_sel:DWORD src1_sel:WORD_1
	v_bfe_u32 v8, v5, 19, 4
	v_sub_u32_e32 v9, 29, v9
	v_and_b32_e32 v10, 7, v10
	v_cmp_eq_u16_e32 vcc, 0, v4
	v_cndmask_b32_e32 v0, v0, v10, vcc
	v_cndmask_b32_e32 v4, v8, v9, vcc
	v_lshlrev_b32_e32 v8, 8, v5
	v_mov_b32_e32 v9, 0x3b800000
	v_lshlrev_b32_e32 v0, 20, v0
	v_and_b32_e32 v8, 0x80000000, v8
	v_lshl_add_u32 v4, v4, 23, v9
	v_or3_b32 v0, v8, v4, v0
.LBB45_1972:
	s_or_b64 exec, exec, s[6:7]
	s_movk_i32 s4, 0xff
	v_and_b32_sdwa v4, v1, s4 dst_sel:DWORD dst_unused:UNUSED_PAD src0_sel:WORD_1 src1_sel:DWORD
	s_movk_i32 s4, 0x7f
	v_cmp_lt_i16_e32 vcc, s4, v4
	s_mov_b64 s[4:5], 0
                                        ; implicit-def: $sgpr10
	s_and_saveexec_b64 s[6:7], vcc
	s_xor_b64 s[6:7], exec, s[6:7]
	s_cbranch_execnz .LBB45_4021
; %bb.1973:
	s_or_saveexec_b64 s[6:7], s[6:7]
	v_mov_b32_e32 v8, s10
	s_xor_b64 exec, exec, s[6:7]
	s_cbranch_execnz .LBB45_4024
.LBB45_1974:
	s_or_b64 exec, exec, s[6:7]
	s_and_saveexec_b64 s[6:7], s[4:5]
	s_cbranch_execz .LBB45_1976
.LBB45_1975:
	v_bfe_u32 v4, v1, 16, 3
	v_ffbh_u32_e32 v10, v4
	v_min_u32_e32 v10, 32, v10
	v_lshrrev_b32_e32 v8, 19, v1
	v_subrev_u32_e32 v11, 28, v10
	v_and_b32_e32 v8, 15, v8
	v_lshlrev_b32_sdwa v11, v11, v1 dst_sel:DWORD dst_unused:UNUSED_PAD src0_sel:DWORD src1_sel:WORD_1
	v_bfe_u32 v9, v1, 19, 4
	v_sub_u32_e32 v10, 29, v10
	v_and_b32_e32 v11, 7, v11
	v_cmp_eq_u16_e32 vcc, 0, v8
	v_cndmask_b32_e32 v4, v4, v11, vcc
	v_cndmask_b32_e32 v8, v9, v10, vcc
	v_lshlrev_b32_e32 v9, 8, v1
	v_mov_b32_e32 v10, 0x3b800000
	v_lshlrev_b32_e32 v4, 20, v4
	v_and_b32_e32 v9, 0x80000000, v9
	v_lshl_add_u32 v8, v8, 23, v10
	v_or3_b32 v8, v9, v8, v4
.LBB45_1976:
	s_or_b64 exec, exec, s[6:7]
	s_nop 0
	v_mfma_f32_16x16x4f32 a[0:3], v0, v8, a[0:3]
	s_movk_i32 s4, 0x7f
	v_cmp_gt_i16_sdwa s[6:7], v5, s4 src0_sel:BYTE_3 src1_sel:DWORD
	s_mov_b64 s[4:5], 0
                                        ; implicit-def: $sgpr10
	s_and_saveexec_b64 s[8:9], s[6:7]
	s_xor_b64 s[6:7], exec, s[8:9]
	s_cbranch_execnz .LBB45_4025
; %bb.1977:
	s_or_saveexec_b64 s[6:7], s[6:7]
	v_mov_b32_e32 v0, s10
	s_xor_b64 exec, exec, s[6:7]
	s_cbranch_execnz .LBB45_4028
.LBB45_1978:
	s_or_b64 exec, exec, s[6:7]
	s_and_saveexec_b64 s[6:7], s[4:5]
	s_cbranch_execz .LBB45_1980
.LBB45_1979:
	v_bfe_u32 v0, v5, 24, 3
	v_ffbh_u32_e32 v10, v0
	v_min_u32_e32 v10, 32, v10
	v_lshrrev_b32_e32 v8, 27, v5
	v_subrev_u32_e32 v11, 28, v10
	v_and_b32_e32 v4, 0x80000000, v5
	v_and_b32_e32 v8, 15, v8
	v_bfe_u32 v9, v5, 27, 4
	v_lshlrev_b32_sdwa v5, v11, v5 dst_sel:DWORD dst_unused:UNUSED_PAD src0_sel:DWORD src1_sel:BYTE_3
	v_sub_u32_e32 v10, 29, v10
	v_and_b32_e32 v5, 7, v5
	v_cmp_eq_u16_e32 vcc, 0, v8
	v_cndmask_b32_e32 v0, v0, v5, vcc
	v_cndmask_b32_e32 v5, v9, v10, vcc
	v_mov_b32_e32 v8, 0x3b800000
	v_lshlrev_b32_e32 v0, 20, v0
	v_lshl_add_u32 v5, v5, 23, v8
	v_or3_b32 v0, v4, v5, v0
.LBB45_1980:
	s_or_b64 exec, exec, s[6:7]
	s_movk_i32 s4, 0x7f
	v_cmp_gt_i16_sdwa s[6:7], v1, s4 src0_sel:BYTE_3 src1_sel:DWORD
	s_mov_b64 s[4:5], 0
                                        ; implicit-def: $sgpr10
	s_and_saveexec_b64 s[8:9], s[6:7]
	s_xor_b64 s[6:7], exec, s[8:9]
	s_cbranch_execnz .LBB45_4029
; %bb.1981:
	s_or_saveexec_b64 s[6:7], s[6:7]
	v_mov_b32_e32 v4, s10
	s_xor_b64 exec, exec, s[6:7]
	s_cbranch_execnz .LBB45_4032
.LBB45_1982:
	s_or_b64 exec, exec, s[6:7]
	s_and_saveexec_b64 s[6:7], s[4:5]
	s_cbranch_execz .LBB45_1984
.LBB45_1983:
	v_bfe_u32 v4, v1, 24, 3
	v_ffbh_u32_e32 v10, v4
	v_min_u32_e32 v10, 32, v10
	v_lshrrev_b32_e32 v8, 27, v1
	v_subrev_u32_e32 v11, 28, v10
	v_and_b32_e32 v5, 0x80000000, v1
	v_and_b32_e32 v8, 15, v8
	v_bfe_u32 v9, v1, 27, 4
	v_lshlrev_b32_sdwa v1, v11, v1 dst_sel:DWORD dst_unused:UNUSED_PAD src0_sel:DWORD src1_sel:BYTE_3
	v_sub_u32_e32 v10, 29, v10
	v_and_b32_e32 v1, 7, v1
	v_cmp_eq_u16_e32 vcc, 0, v8
	v_cndmask_b32_e32 v1, v4, v1, vcc
	v_cndmask_b32_e32 v4, v9, v10, vcc
	v_mov_b32_e32 v8, 0x3b800000
	v_lshlrev_b32_e32 v1, 20, v1
	v_lshl_add_u32 v4, v4, 23, v8
	v_or3_b32 v4, v5, v4, v1
.LBB45_1984:
	s_or_b64 exec, exec, s[6:7]
	s_nop 0
	v_mfma_f32_16x16x4f32 a[0:3], v0, v4, a[0:3]
	s_movk_i32 s4, 0x7f
	v_cmp_gt_i16_sdwa s[6:7], v6, s4 src0_sel:BYTE_0 src1_sel:DWORD
	s_mov_b64 s[4:5], 0
                                        ; implicit-def: $sgpr10
	s_and_saveexec_b64 s[8:9], s[6:7]
	s_xor_b64 s[6:7], exec, s[8:9]
	s_cbranch_execnz .LBB45_4033
; %bb.1985:
	s_or_saveexec_b64 s[6:7], s[6:7]
	v_mov_b32_e32 v0, s10
	s_xor_b64 exec, exec, s[6:7]
	s_cbranch_execnz .LBB45_4036
.LBB45_1986:
	s_or_b64 exec, exec, s[6:7]
	s_and_saveexec_b64 s[6:7], s[4:5]
	s_cbranch_execz .LBB45_1988
.LBB45_1987:
	v_and_b32_e32 v0, 7, v6
	v_ffbh_u32_e32 v4, v0
	v_min_u32_e32 v4, 32, v4
	v_lshrrev_b16_e32 v1, 3, v6
	v_subrev_u32_e32 v5, 28, v4
	v_and_b32_e32 v1, 15, v1
	v_lshlrev_b32_e32 v5, v5, v6
	v_sub_u32_e32 v4, 29, v4
	v_and_b32_e32 v5, 7, v5
	v_cmp_eq_u16_e32 vcc, 0, v1
	v_cndmask_b32_e32 v0, v0, v5, vcc
	v_cndmask_b32_e32 v1, v1, v4, vcc
	v_lshlrev_b32_e32 v4, 24, v6
	v_mov_b32_e32 v5, 0x3b800000
	v_lshlrev_b32_e32 v0, 20, v0
	v_and_b32_e32 v4, 0x80000000, v4
	v_lshl_add_u32 v1, v1, 23, v5
	v_or3_b32 v0, v4, v1, v0
.LBB45_1988:
	s_or_b64 exec, exec, s[6:7]
	s_movk_i32 s4, 0x7f
	v_cmp_gt_i16_sdwa s[6:7], v2, s4 src0_sel:BYTE_0 src1_sel:DWORD
	s_mov_b64 s[4:5], 0
                                        ; implicit-def: $sgpr10
	s_and_saveexec_b64 s[8:9], s[6:7]
	s_xor_b64 s[6:7], exec, s[8:9]
	s_cbranch_execnz .LBB45_4037
; %bb.1989:
	s_or_saveexec_b64 s[6:7], s[6:7]
	v_mov_b32_e32 v1, s10
	s_xor_b64 exec, exec, s[6:7]
	s_cbranch_execnz .LBB45_4040
.LBB45_1990:
	s_or_b64 exec, exec, s[6:7]
	s_and_saveexec_b64 s[6:7], s[4:5]
	s_cbranch_execz .LBB45_1992
.LBB45_1991:
	v_and_b32_e32 v1, 7, v2
	v_ffbh_u32_e32 v5, v1
	v_min_u32_e32 v5, 32, v5
	v_lshrrev_b16_e32 v4, 3, v2
	v_subrev_u32_e32 v8, 28, v5
	v_and_b32_e32 v4, 15, v4
	v_lshlrev_b32_e32 v8, v8, v2
	v_sub_u32_e32 v5, 29, v5
	v_and_b32_e32 v8, 7, v8
	v_cmp_eq_u16_e32 vcc, 0, v4
	v_cndmask_b32_e32 v1, v1, v8, vcc
	v_cndmask_b32_e32 v4, v4, v5, vcc
	v_lshlrev_b32_e32 v5, 24, v2
	v_mov_b32_e32 v8, 0x3b800000
	v_lshlrev_b32_e32 v1, 20, v1
	v_and_b32_e32 v5, 0x80000000, v5
	v_lshl_add_u32 v4, v4, 23, v8
	v_or3_b32 v1, v5, v4, v1
.LBB45_1992:
	s_or_b64 exec, exec, s[6:7]
	s_nop 0
	v_mfma_f32_16x16x4f32 a[0:3], v0, v1, a[0:3]
	v_lshrrev_b32_e32 v1, 8, v6
	s_movk_i32 s4, 0x7f
	v_cmp_gt_i16_sdwa s[6:7], v1, s4 src0_sel:BYTE_0 src1_sel:DWORD
	s_mov_b64 s[4:5], 0
                                        ; implicit-def: $sgpr10
	s_and_saveexec_b64 s[8:9], s[6:7]
	s_xor_b64 s[6:7], exec, s[8:9]
	s_cbranch_execnz .LBB45_4041
; %bb.1993:
	s_or_saveexec_b64 s[6:7], s[6:7]
	v_mov_b32_e32 v0, s10
	s_xor_b64 exec, exec, s[6:7]
	s_cbranch_execnz .LBB45_4044
.LBB45_1994:
	s_or_b64 exec, exec, s[6:7]
	s_and_saveexec_b64 s[6:7], s[4:5]
	s_cbranch_execz .LBB45_1996
.LBB45_1995:
	v_bfe_u32 v0, v6, 8, 3
	v_ffbh_u32_e32 v5, v0
	v_min_u32_e32 v5, 32, v5
	v_lshrrev_b16_e32 v4, 3, v1
	v_subrev_u32_e32 v8, 28, v5
	v_and_b32_e32 v4, 15, v4
	v_lshlrev_b32_e32 v1, v8, v1
	v_sub_u32_e32 v5, 29, v5
	v_and_b32_e32 v1, 7, v1
	v_cmp_eq_u16_e32 vcc, 0, v4
	v_cndmask_b32_e32 v0, v0, v1, vcc
	v_cndmask_b32_e32 v1, v4, v5, vcc
	v_lshlrev_b32_e32 v4, 16, v6
	v_mov_b32_e32 v5, 0x3b800000
	v_lshlrev_b32_e32 v0, 20, v0
	v_and_b32_e32 v4, 0x80000000, v4
	v_lshl_add_u32 v1, v1, 23, v5
	v_or3_b32 v0, v4, v1, v0
.LBB45_1996:
	s_or_b64 exec, exec, s[6:7]
	v_lshrrev_b32_e32 v1, 8, v2
	s_movk_i32 s4, 0x7f
	v_cmp_gt_i16_sdwa s[6:7], v1, s4 src0_sel:BYTE_0 src1_sel:DWORD
	s_mov_b64 s[4:5], 0
                                        ; implicit-def: $sgpr10
	s_and_saveexec_b64 s[8:9], s[6:7]
	s_xor_b64 s[6:7], exec, s[8:9]
	s_cbranch_execnz .LBB45_4045
; %bb.1997:
	s_or_saveexec_b64 s[6:7], s[6:7]
	v_mov_b32_e32 v4, s10
	s_xor_b64 exec, exec, s[6:7]
	s_cbranch_execnz .LBB45_4048
.LBB45_1998:
	s_or_b64 exec, exec, s[6:7]
	s_and_saveexec_b64 s[6:7], s[4:5]
	s_cbranch_execz .LBB45_2000
.LBB45_1999:
	v_bfe_u32 v4, v2, 8, 3
	v_ffbh_u32_e32 v8, v4
	v_min_u32_e32 v8, 32, v8
	v_lshrrev_b16_e32 v5, 3, v1
	v_subrev_u32_e32 v9, 28, v8
	v_and_b32_e32 v5, 15, v5
	v_lshlrev_b32_e32 v1, v9, v1
	v_sub_u32_e32 v8, 29, v8
	v_and_b32_e32 v1, 7, v1
	v_cmp_eq_u16_e32 vcc, 0, v5
	v_cndmask_b32_e32 v1, v4, v1, vcc
	v_cndmask_b32_e32 v4, v5, v8, vcc
	v_lshlrev_b32_e32 v5, 16, v2
	v_mov_b32_e32 v8, 0x3b800000
	v_lshlrev_b32_e32 v1, 20, v1
	v_and_b32_e32 v5, 0x80000000, v5
	v_lshl_add_u32 v4, v4, 23, v8
	v_or3_b32 v4, v5, v4, v1
.LBB45_2000:
	s_or_b64 exec, exec, s[6:7]
	s_nop 0
	v_mfma_f32_16x16x4f32 a[0:3], v0, v4, a[0:3]
	s_movk_i32 s4, 0xff
	v_and_b32_sdwa v1, v6, s4 dst_sel:DWORD dst_unused:UNUSED_PAD src0_sel:WORD_1 src1_sel:DWORD
	s_movk_i32 s4, 0x7f
	v_cmp_lt_i16_e32 vcc, s4, v1
	s_mov_b64 s[4:5], 0
                                        ; implicit-def: $sgpr10
	s_and_saveexec_b64 s[6:7], vcc
	s_xor_b64 s[6:7], exec, s[6:7]
	s_cbranch_execnz .LBB45_4049
; %bb.2001:
	s_or_saveexec_b64 s[6:7], s[6:7]
	v_mov_b32_e32 v0, s10
	s_xor_b64 exec, exec, s[6:7]
	s_cbranch_execnz .LBB45_4052
.LBB45_2002:
	s_or_b64 exec, exec, s[6:7]
	s_and_saveexec_b64 s[6:7], s[4:5]
	s_cbranch_execz .LBB45_2004
.LBB45_2003:
	v_bfe_u32 v0, v6, 16, 3
	v_ffbh_u32_e32 v5, v0
	v_min_u32_e32 v5, 32, v5
	v_lshrrev_b32_e32 v1, 19, v6
	v_subrev_u32_e32 v8, 28, v5
	v_and_b32_e32 v1, 15, v1
	v_lshlrev_b32_sdwa v8, v8, v6 dst_sel:DWORD dst_unused:UNUSED_PAD src0_sel:DWORD src1_sel:WORD_1
	v_bfe_u32 v4, v6, 19, 4
	v_sub_u32_e32 v5, 29, v5
	v_and_b32_e32 v8, 7, v8
	v_cmp_eq_u16_e32 vcc, 0, v1
	v_cndmask_b32_e32 v0, v0, v8, vcc
	v_cndmask_b32_e32 v1, v4, v5, vcc
	v_lshlrev_b32_e32 v4, 8, v6
	v_mov_b32_e32 v5, 0x3b800000
	v_lshlrev_b32_e32 v0, 20, v0
	v_and_b32_e32 v4, 0x80000000, v4
	v_lshl_add_u32 v1, v1, 23, v5
	v_or3_b32 v0, v4, v1, v0
.LBB45_2004:
	s_or_b64 exec, exec, s[6:7]
	s_movk_i32 s4, 0xff
	v_and_b32_sdwa v1, v2, s4 dst_sel:DWORD dst_unused:UNUSED_PAD src0_sel:WORD_1 src1_sel:DWORD
	s_movk_i32 s4, 0x7f
	v_cmp_lt_i16_e32 vcc, s4, v1
	s_mov_b64 s[4:5], 0
                                        ; implicit-def: $sgpr10
	s_and_saveexec_b64 s[6:7], vcc
	s_xor_b64 s[6:7], exec, s[6:7]
	s_cbranch_execnz .LBB45_4053
; %bb.2005:
	s_or_saveexec_b64 s[6:7], s[6:7]
	v_mov_b32_e32 v4, s10
	s_xor_b64 exec, exec, s[6:7]
	s_cbranch_execnz .LBB45_4056
.LBB45_2006:
	s_or_b64 exec, exec, s[6:7]
	s_and_saveexec_b64 s[6:7], s[4:5]
	s_cbranch_execz .LBB45_2008
.LBB45_2007:
	v_bfe_u32 v1, v2, 16, 3
	v_ffbh_u32_e32 v8, v1
	v_min_u32_e32 v8, 32, v8
	v_lshrrev_b32_e32 v4, 19, v2
	v_subrev_u32_e32 v9, 28, v8
	v_and_b32_e32 v4, 15, v4
	v_lshlrev_b32_sdwa v9, v9, v2 dst_sel:DWORD dst_unused:UNUSED_PAD src0_sel:DWORD src1_sel:WORD_1
	v_bfe_u32 v5, v2, 19, 4
	v_sub_u32_e32 v8, 29, v8
	v_and_b32_e32 v9, 7, v9
	v_cmp_eq_u16_e32 vcc, 0, v4
	v_cndmask_b32_e32 v1, v1, v9, vcc
	v_cndmask_b32_e32 v4, v5, v8, vcc
	v_lshlrev_b32_e32 v5, 8, v2
	v_mov_b32_e32 v8, 0x3b800000
	v_lshlrev_b32_e32 v1, 20, v1
	v_and_b32_e32 v5, 0x80000000, v5
	v_lshl_add_u32 v4, v4, 23, v8
	v_or3_b32 v4, v5, v4, v1
.LBB45_2008:
	s_or_b64 exec, exec, s[6:7]
	s_nop 0
	v_mfma_f32_16x16x4f32 a[0:3], v0, v4, a[0:3]
	s_movk_i32 s4, 0x7f
	v_cmp_gt_i16_sdwa s[6:7], v6, s4 src0_sel:BYTE_3 src1_sel:DWORD
	s_mov_b64 s[4:5], 0
                                        ; implicit-def: $sgpr10
	s_and_saveexec_b64 s[8:9], s[6:7]
	s_xor_b64 s[6:7], exec, s[8:9]
	s_cbranch_execnz .LBB45_4057
; %bb.2009:
	s_or_saveexec_b64 s[6:7], s[6:7]
	v_mov_b32_e32 v0, s10
	s_xor_b64 exec, exec, s[6:7]
	s_cbranch_execnz .LBB45_4060
.LBB45_2010:
	s_or_b64 exec, exec, s[6:7]
	s_and_saveexec_b64 s[6:7], s[4:5]
	s_cbranch_execz .LBB45_2012
.LBB45_2011:
	v_bfe_u32 v0, v6, 24, 3
	v_ffbh_u32_e32 v8, v0
	v_min_u32_e32 v8, 32, v8
	v_lshrrev_b32_e32 v4, 27, v6
	v_subrev_u32_e32 v9, 28, v8
	v_and_b32_e32 v1, 0x80000000, v6
	v_and_b32_e32 v4, 15, v4
	v_bfe_u32 v5, v6, 27, 4
	v_lshlrev_b32_sdwa v6, v9, v6 dst_sel:DWORD dst_unused:UNUSED_PAD src0_sel:DWORD src1_sel:BYTE_3
	v_sub_u32_e32 v8, 29, v8
	v_and_b32_e32 v6, 7, v6
	v_cmp_eq_u16_e32 vcc, 0, v4
	v_cndmask_b32_e32 v0, v0, v6, vcc
	v_cndmask_b32_e32 v4, v5, v8, vcc
	v_mov_b32_e32 v5, 0x3b800000
	v_lshlrev_b32_e32 v0, 20, v0
	v_lshl_add_u32 v4, v4, 23, v5
	v_or3_b32 v0, v1, v4, v0
.LBB45_2012:
	s_or_b64 exec, exec, s[6:7]
	s_movk_i32 s4, 0x7f
	v_cmp_gt_i16_sdwa s[6:7], v2, s4 src0_sel:BYTE_3 src1_sel:DWORD
	s_mov_b64 s[4:5], 0
                                        ; implicit-def: $sgpr10
	s_and_saveexec_b64 s[8:9], s[6:7]
	s_xor_b64 s[6:7], exec, s[8:9]
	s_cbranch_execnz .LBB45_4061
; %bb.2013:
	s_or_saveexec_b64 s[6:7], s[6:7]
	v_mov_b32_e32 v1, s10
	s_xor_b64 exec, exec, s[6:7]
	s_cbranch_execnz .LBB45_4064
.LBB45_2014:
	s_or_b64 exec, exec, s[6:7]
	s_and_saveexec_b64 s[6:7], s[4:5]
	s_cbranch_execz .LBB45_2016
.LBB45_2015:
	v_bfe_u32 v1, v2, 24, 3
	v_ffbh_u32_e32 v8, v1
	v_min_u32_e32 v8, 32, v8
	v_lshrrev_b32_e32 v5, 27, v2
	v_subrev_u32_e32 v9, 28, v8
	v_and_b32_e32 v4, 0x80000000, v2
	v_and_b32_e32 v5, 15, v5
	v_bfe_u32 v6, v2, 27, 4
	v_lshlrev_b32_sdwa v2, v9, v2 dst_sel:DWORD dst_unused:UNUSED_PAD src0_sel:DWORD src1_sel:BYTE_3
	v_sub_u32_e32 v8, 29, v8
	v_and_b32_e32 v2, 7, v2
	v_cmp_eq_u16_e32 vcc, 0, v5
	v_cndmask_b32_e32 v1, v1, v2, vcc
	v_cndmask_b32_e32 v2, v6, v8, vcc
	v_mov_b32_e32 v5, 0x3b800000
	v_lshlrev_b32_e32 v1, 20, v1
	v_lshl_add_u32 v2, v2, 23, v5
	v_or3_b32 v1, v4, v2, v1
.LBB45_2016:
	s_or_b64 exec, exec, s[6:7]
	s_nop 0
	v_mfma_f32_16x16x4f32 a[0:3], v0, v1, a[0:3]
	s_movk_i32 s4, 0x7f
	v_cmp_gt_i16_sdwa s[6:7], v7, s4 src0_sel:BYTE_0 src1_sel:DWORD
	s_mov_b64 s[4:5], 0
                                        ; implicit-def: $sgpr10
	s_and_saveexec_b64 s[8:9], s[6:7]
	s_xor_b64 s[6:7], exec, s[8:9]
	s_cbranch_execnz .LBB45_4065
; %bb.2017:
	s_or_saveexec_b64 s[6:7], s[6:7]
	v_mov_b32_e32 v0, s10
	s_xor_b64 exec, exec, s[6:7]
	s_cbranch_execnz .LBB45_4068
.LBB45_2018:
	s_or_b64 exec, exec, s[6:7]
	s_and_saveexec_b64 s[6:7], s[4:5]
	s_cbranch_execz .LBB45_2020
.LBB45_2019:
	v_mov_b32_e32 v0, 8
	v_and_b32_e32 v1, 7, v7
	v_lshrrev_b32_sdwa v0, v0, v7 dst_sel:BYTE_1 dst_unused:UNUSED_PAD src0_sel:DWORD src1_sel:DWORD
	v_ffbh_u32_e32 v2, v1
	v_or_b32_sdwa v0, v7, v0 dst_sel:DWORD dst_unused:UNUSED_PAD src0_sel:BYTE_0 src1_sel:DWORD
	v_min_u32_e32 v2, 32, v2
	v_lshrrev_b16_e32 v0, 3, v0
	v_subrev_u32_e32 v4, 28, v2
	v_and_b32_e32 v0, 15, v0
	v_lshlrev_b32_e32 v4, v4, v7
	v_sub_u32_e32 v2, 29, v2
	v_and_b32_e32 v4, 7, v4
	v_cmp_eq_u16_e32 vcc, 0, v0
	v_cndmask_b32_e32 v1, v1, v4, vcc
	v_cndmask_b32_e32 v0, v0, v2, vcc
	v_lshlrev_b32_e32 v2, 24, v7
	v_mov_b32_e32 v4, 0x3b800000
	v_lshlrev_b32_e32 v1, 20, v1
	v_and_b32_e32 v2, 0x80000000, v2
	v_lshl_add_u32 v0, v0, 23, v4
	v_or3_b32 v0, v2, v0, v1
.LBB45_2020:
	s_or_b64 exec, exec, s[6:7]
	s_movk_i32 s4, 0x7f
	v_cmp_gt_i16_sdwa s[6:7], v3, s4 src0_sel:BYTE_0 src1_sel:DWORD
	s_mov_b64 s[4:5], 0
                                        ; implicit-def: $sgpr10
	s_and_saveexec_b64 s[8:9], s[6:7]
	s_xor_b64 s[6:7], exec, s[8:9]
	s_cbranch_execnz .LBB45_4069
; %bb.2021:
	s_or_saveexec_b64 s[6:7], s[6:7]
	v_mov_b32_e32 v1, s10
	s_xor_b64 exec, exec, s[6:7]
	s_cbranch_execnz .LBB45_4072
.LBB45_2022:
	s_or_b64 exec, exec, s[6:7]
	s_and_saveexec_b64 s[6:7], s[4:5]
	s_cbranch_execz .LBB45_2024
.LBB45_2023:
	v_mov_b32_e32 v1, 8
	v_and_b32_e32 v2, 7, v3
	v_lshrrev_b32_sdwa v1, v1, v3 dst_sel:BYTE_1 dst_unused:UNUSED_PAD src0_sel:DWORD src1_sel:DWORD
	v_ffbh_u32_e32 v4, v2
	v_or_b32_sdwa v1, v3, v1 dst_sel:DWORD dst_unused:UNUSED_PAD src0_sel:BYTE_0 src1_sel:DWORD
	v_min_u32_e32 v4, 32, v4
	v_lshrrev_b16_e32 v1, 3, v1
	v_subrev_u32_e32 v5, 28, v4
	v_and_b32_e32 v1, 15, v1
	v_lshlrev_b32_e32 v5, v5, v3
	v_sub_u32_e32 v4, 29, v4
	v_and_b32_e32 v5, 7, v5
	v_cmp_eq_u16_e32 vcc, 0, v1
	v_cndmask_b32_e32 v2, v2, v5, vcc
	v_cndmask_b32_e32 v1, v1, v4, vcc
	v_lshlrev_b32_e32 v4, 24, v3
	v_mov_b32_e32 v5, 0x3b800000
	v_lshlrev_b32_e32 v2, 20, v2
	v_and_b32_e32 v4, 0x80000000, v4
	v_lshl_add_u32 v1, v1, 23, v5
	v_or3_b32 v1, v4, v1, v2
.LBB45_2024:
	s_or_b64 exec, exec, s[6:7]
	s_nop 0
	v_mfma_f32_16x16x4f32 a[0:3], v0, v1, a[0:3]
	v_lshrrev_b32_e32 v1, 8, v7
	s_movk_i32 s4, 0x7f
	v_cmp_gt_i16_sdwa s[6:7], v1, s4 src0_sel:BYTE_0 src1_sel:DWORD
	s_mov_b64 s[4:5], 0
                                        ; implicit-def: $sgpr10
	s_and_saveexec_b64 s[8:9], s[6:7]
	s_xor_b64 s[6:7], exec, s[8:9]
	s_cbranch_execnz .LBB45_4073
; %bb.2025:
	s_or_saveexec_b64 s[6:7], s[6:7]
	v_mov_b32_e32 v0, s10
	s_xor_b64 exec, exec, s[6:7]
	s_cbranch_execnz .LBB45_4076
.LBB45_2026:
	s_or_b64 exec, exec, s[6:7]
	s_and_saveexec_b64 s[6:7], s[4:5]
	s_cbranch_execz .LBB45_2028
.LBB45_2027:
	v_bfe_u32 v0, v7, 8, 3
	v_ffbh_u32_e32 v4, v0
	v_min_u32_e32 v4, 32, v4
	v_lshrrev_b16_e32 v2, 3, v1
	v_subrev_u32_e32 v5, 28, v4
	v_and_b32_e32 v2, 15, v2
	v_lshlrev_b32_e32 v1, v5, v1
	v_sub_u32_e32 v4, 29, v4
	v_and_b32_e32 v1, 7, v1
	v_cmp_eq_u16_e32 vcc, 0, v2
	v_cndmask_b32_e32 v0, v0, v1, vcc
	v_cndmask_b32_e32 v1, v2, v4, vcc
	v_lshlrev_b32_e32 v2, 16, v7
	v_mov_b32_e32 v4, 0x3b800000
	v_lshlrev_b32_e32 v0, 20, v0
	v_and_b32_e32 v2, 0x80000000, v2
	v_lshl_add_u32 v1, v1, 23, v4
	v_or3_b32 v0, v2, v1, v0
.LBB45_2028:
	s_or_b64 exec, exec, s[6:7]
	v_lshrrev_b32_e32 v1, 8, v3
	s_movk_i32 s4, 0x7f
	v_cmp_gt_i16_sdwa s[6:7], v1, s4 src0_sel:BYTE_0 src1_sel:DWORD
	s_mov_b64 s[4:5], 0
                                        ; implicit-def: $sgpr10
	s_and_saveexec_b64 s[8:9], s[6:7]
	s_xor_b64 s[6:7], exec, s[8:9]
	s_cbranch_execnz .LBB45_4077
; %bb.2029:
	s_or_saveexec_b64 s[6:7], s[6:7]
	v_mov_b32_e32 v2, s10
	s_xor_b64 exec, exec, s[6:7]
	s_cbranch_execnz .LBB45_4080
.LBB45_2030:
	s_or_b64 exec, exec, s[6:7]
	s_and_saveexec_b64 s[6:7], s[4:5]
	s_cbranch_execz .LBB45_2032
.LBB45_2031:
	v_bfe_u32 v2, v3, 8, 3
	v_ffbh_u32_e32 v5, v2
	v_min_u32_e32 v5, 32, v5
	v_lshrrev_b16_e32 v4, 3, v1
	v_subrev_u32_e32 v6, 28, v5
	v_and_b32_e32 v4, 15, v4
	v_lshlrev_b32_e32 v1, v6, v1
	v_sub_u32_e32 v5, 29, v5
	v_and_b32_e32 v1, 7, v1
	v_cmp_eq_u16_e32 vcc, 0, v4
	v_cndmask_b32_e32 v1, v2, v1, vcc
	v_cndmask_b32_e32 v2, v4, v5, vcc
	v_lshlrev_b32_e32 v4, 16, v3
	v_mov_b32_e32 v5, 0x3b800000
	v_lshlrev_b32_e32 v1, 20, v1
	v_and_b32_e32 v4, 0x80000000, v4
	v_lshl_add_u32 v2, v2, 23, v5
	v_or3_b32 v2, v4, v2, v1
.LBB45_2032:
	s_or_b64 exec, exec, s[6:7]
	s_nop 0
	v_mfma_f32_16x16x4f32 a[0:3], v0, v2, a[0:3]
	s_movk_i32 s4, 0xff
	v_and_b32_sdwa v1, v7, s4 dst_sel:DWORD dst_unused:UNUSED_PAD src0_sel:WORD_1 src1_sel:DWORD
	s_movk_i32 s4, 0x7f
	v_cmp_lt_i16_e32 vcc, s4, v1
	s_mov_b64 s[4:5], 0
                                        ; implicit-def: $sgpr10
	s_and_saveexec_b64 s[6:7], vcc
	s_xor_b64 s[6:7], exec, s[6:7]
	s_cbranch_execnz .LBB45_4081
; %bb.2033:
	s_or_saveexec_b64 s[6:7], s[6:7]
	v_mov_b32_e32 v0, s10
	s_xor_b64 exec, exec, s[6:7]
	s_cbranch_execnz .LBB45_4084
.LBB45_2034:
	s_or_b64 exec, exec, s[6:7]
	s_and_saveexec_b64 s[6:7], s[4:5]
	s_cbranch_execz .LBB45_2036
.LBB45_2035:
	v_bfe_u32 v0, v7, 16, 3
	v_ffbh_u32_e32 v4, v0
	v_min_u32_e32 v4, 32, v4
	v_lshrrev_b32_e32 v1, 19, v7
	v_subrev_u32_e32 v5, 28, v4
	v_and_b32_e32 v1, 15, v1
	v_lshlrev_b32_sdwa v5, v5, v7 dst_sel:DWORD dst_unused:UNUSED_PAD src0_sel:DWORD src1_sel:WORD_1
	v_bfe_u32 v2, v7, 19, 4
	v_sub_u32_e32 v4, 29, v4
	v_and_b32_e32 v5, 7, v5
	v_cmp_eq_u16_e32 vcc, 0, v1
	v_cndmask_b32_e32 v0, v0, v5, vcc
	v_cndmask_b32_e32 v1, v2, v4, vcc
	v_lshlrev_b32_e32 v2, 8, v7
	v_mov_b32_e32 v4, 0x3b800000
	v_lshlrev_b32_e32 v0, 20, v0
	v_and_b32_e32 v2, 0x80000000, v2
	v_lshl_add_u32 v1, v1, 23, v4
	v_or3_b32 v0, v2, v1, v0
.LBB45_2036:
	s_or_b64 exec, exec, s[6:7]
	s_movk_i32 s4, 0xff
	v_and_b32_sdwa v1, v3, s4 dst_sel:DWORD dst_unused:UNUSED_PAD src0_sel:WORD_1 src1_sel:DWORD
	s_movk_i32 s4, 0x7f
	v_cmp_lt_i16_e32 vcc, s4, v1
	s_mov_b64 s[4:5], 0
                                        ; implicit-def: $sgpr10
	s_and_saveexec_b64 s[6:7], vcc
	s_xor_b64 s[6:7], exec, s[6:7]
	s_cbranch_execnz .LBB45_4085
; %bb.2037:
	s_or_saveexec_b64 s[6:7], s[6:7]
	v_mov_b32_e32 v2, s10
	s_xor_b64 exec, exec, s[6:7]
	s_cbranch_execnz .LBB45_4088
.LBB45_2038:
	s_or_b64 exec, exec, s[6:7]
	s_and_saveexec_b64 s[6:7], s[4:5]
	s_cbranch_execz .LBB45_2040
.LBB45_2039:
	v_bfe_u32 v1, v3, 16, 3
	v_ffbh_u32_e32 v5, v1
	v_min_u32_e32 v5, 32, v5
	v_lshrrev_b32_e32 v2, 19, v3
	v_subrev_u32_e32 v6, 28, v5
	v_and_b32_e32 v2, 15, v2
	v_lshlrev_b32_sdwa v6, v6, v3 dst_sel:DWORD dst_unused:UNUSED_PAD src0_sel:DWORD src1_sel:WORD_1
	v_bfe_u32 v4, v3, 19, 4
	v_sub_u32_e32 v5, 29, v5
	v_and_b32_e32 v6, 7, v6
	v_cmp_eq_u16_e32 vcc, 0, v2
	v_cndmask_b32_e32 v1, v1, v6, vcc
	v_cndmask_b32_e32 v2, v4, v5, vcc
	v_lshlrev_b32_e32 v4, 8, v3
	v_mov_b32_e32 v5, 0x3b800000
	v_lshlrev_b32_e32 v1, 20, v1
	v_and_b32_e32 v4, 0x80000000, v4
	v_lshl_add_u32 v2, v2, 23, v5
	v_or3_b32 v2, v4, v2, v1
.LBB45_2040:
	s_or_b64 exec, exec, s[6:7]
	s_nop 0
	v_mfma_f32_16x16x4f32 a[0:3], v0, v2, a[0:3]
	s_movk_i32 s4, 0x7f
	v_cmp_gt_i16_sdwa s[6:7], v7, s4 src0_sel:BYTE_3 src1_sel:DWORD
	s_mov_b64 s[4:5], 0
                                        ; implicit-def: $sgpr10
	s_and_saveexec_b64 s[8:9], s[6:7]
	s_xor_b64 s[6:7], exec, s[8:9]
	s_cbranch_execnz .LBB45_4089
; %bb.2041:
	s_or_saveexec_b64 s[6:7], s[6:7]
	v_mov_b32_e32 v0, s10
	s_xor_b64 exec, exec, s[6:7]
	s_cbranch_execnz .LBB45_4092
.LBB45_2042:
	s_or_b64 exec, exec, s[6:7]
	s_and_saveexec_b64 s[6:7], s[4:5]
	s_cbranch_execz .LBB45_2044
.LBB45_2043:
	v_bfe_u32 v0, v7, 24, 3
	v_ffbh_u32_e32 v5, v0
	v_min_u32_e32 v5, 32, v5
	v_lshrrev_b32_e32 v2, 27, v7
	v_subrev_u32_e32 v6, 28, v5
	v_and_b32_e32 v2, 15, v2
	v_lshlrev_b32_sdwa v6, v6, v7 dst_sel:DWORD dst_unused:UNUSED_PAD src0_sel:DWORD src1_sel:BYTE_3
	v_bfe_u32 v4, v7, 27, 4
	v_sub_u32_e32 v5, 29, v5
	v_and_b32_e32 v6, 7, v6
	v_cmp_eq_u16_e32 vcc, 0, v2
	v_cndmask_b32_e32 v0, v0, v6, vcc
	v_cndmask_b32_e32 v2, v4, v5, vcc
	v_mov_b32_e32 v4, 0x3b800000
	v_and_b32_e32 v1, 0x80000000, v7
	v_lshlrev_b32_e32 v0, 20, v0
	v_lshl_add_u32 v2, v2, 23, v4
	v_or3_b32 v0, v1, v2, v0
.LBB45_2044:
	s_or_b64 exec, exec, s[6:7]
	s_movk_i32 s4, 0x7f
	v_cmp_gt_i16_sdwa s[6:7], v3, s4 src0_sel:BYTE_3 src1_sel:DWORD
	s_mov_b64 s[4:5], 0
                                        ; implicit-def: $sgpr10
	s_and_saveexec_b64 s[8:9], s[6:7]
	s_xor_b64 s[6:7], exec, s[8:9]
	s_cbranch_execnz .LBB45_4093
; %bb.2045:
	s_or_saveexec_b64 s[6:7], s[6:7]
	v_mov_b32_e32 v1, s10
	s_xor_b64 exec, exec, s[6:7]
	s_cbranch_execnz .LBB45_4096
.LBB45_2046:
	s_or_b64 exec, exec, s[6:7]
	s_and_saveexec_b64 s[6:7], s[4:5]
	s_cbranch_execz .LBB45_2048
.LBB45_2047:
	v_bfe_u32 v1, v3, 24, 3
	v_ffbh_u32_e32 v6, v1
	v_min_u32_e32 v6, 32, v6
	v_lshrrev_b32_e32 v4, 27, v3
	v_subrev_u32_e32 v7, 28, v6
	v_and_b32_e32 v2, 0x80000000, v3
	v_and_b32_e32 v4, 15, v4
	v_bfe_u32 v5, v3, 27, 4
	v_lshlrev_b32_sdwa v3, v7, v3 dst_sel:DWORD dst_unused:UNUSED_PAD src0_sel:DWORD src1_sel:BYTE_3
	v_sub_u32_e32 v6, 29, v6
	v_and_b32_e32 v3, 7, v3
	v_cmp_eq_u16_e32 vcc, 0, v4
	v_cndmask_b32_e32 v1, v1, v3, vcc
	v_cndmask_b32_e32 v3, v5, v6, vcc
	v_mov_b32_e32 v4, 0x3b800000
	v_lshlrev_b32_e32 v1, 20, v1
	v_lshl_add_u32 v3, v3, 23, v4
	v_or3_b32 v1, v2, v3, v1
.LBB45_2048:
	s_or_b64 exec, exec, s[6:7]
	s_nop 0
	v_mfma_f32_16x16x4f32 a[0:3], v0, v1, a[0:3]
	s_nop 7
	s_nop 2
	flat_store_dwordx4 v[16:17], a[0:3] offset:240
	s_waitcnt vmcnt(0) lgkmcnt(0)
	s_setpc_b64 s[30:31]
.LBB45_2049:
	s_movk_i32 s4, 0x80
	v_cmp_eq_u16_sdwa s[12:13], v14, s4 src0_sel:BYTE_0 src1_sel:DWORD
	s_mov_b64 s[4:5], -1
                                        ; implicit-def: $sgpr10
	s_and_saveexec_b64 s[8:9], s[12:13]
; %bb.2050:
	s_mov_b32 s10, 0x7f800001
	s_xor_b64 s[4:5], exec, -1
; %bb.2051:
	s_or_b64 exec, exec, s[8:9]
	s_and_b64 s[4:5], s[4:5], exec
	s_or_saveexec_b64 s[6:7], s[6:7]
	v_mov_b32_e32 v20, s10
	s_xor_b64 exec, exec, s[6:7]
	s_cbranch_execz .LBB45_2
.LBB45_2052:
	v_mov_b32_e32 v20, 0
	v_cmp_ne_u16_sdwa s[8:9], v14, v20 src0_sel:BYTE_0 src1_sel:DWORD
	s_andn2_b64 s[4:5], s[4:5], exec
	s_and_b64 s[8:9], s[8:9], exec
	s_or_b64 s[4:5], s[4:5], s[8:9]
	s_or_b64 exec, exec, s[6:7]
	s_and_saveexec_b64 s[6:7], s[4:5]
	s_cbranch_execnz .LBB45_3
	s_branch .LBB45_4
.LBB45_2053:
	s_movk_i32 s4, 0x80
	v_cmp_eq_u16_sdwa s[12:13], v10, s4 src0_sel:BYTE_0 src1_sel:DWORD
	s_mov_b64 s[4:5], -1
                                        ; implicit-def: $sgpr10
	s_and_saveexec_b64 s[8:9], s[12:13]
; %bb.2054:
	s_mov_b32 s10, 0x7f800001
	s_xor_b64 s[4:5], exec, -1
; %bb.2055:
	s_or_b64 exec, exec, s[8:9]
	s_and_b64 s[4:5], s[4:5], exec
	s_or_saveexec_b64 s[6:7], s[6:7]
	v_mov_b32_e32 v21, s10
	s_xor_b64 exec, exec, s[6:7]
	s_cbranch_execz .LBB45_6
.LBB45_2056:
	v_mov_b32_e32 v21, 0
	v_cmp_ne_u16_sdwa s[8:9], v10, v21 src0_sel:BYTE_0 src1_sel:DWORD
	s_andn2_b64 s[4:5], s[4:5], exec
	s_and_b64 s[8:9], s[8:9], exec
	s_or_b64 s[4:5], s[4:5], s[8:9]
	s_or_b64 exec, exec, s[6:7]
	s_and_saveexec_b64 s[6:7], s[4:5]
	s_cbranch_execnz .LBB45_7
	s_branch .LBB45_8
.LBB45_2057:
	s_movk_i32 s4, 0x80
	v_cmp_eq_u16_sdwa s[12:13], v21, s4 src0_sel:BYTE_0 src1_sel:DWORD
	s_mov_b64 s[4:5], -1
                                        ; implicit-def: $sgpr10
	s_and_saveexec_b64 s[8:9], s[12:13]
; %bb.2058:
	s_mov_b32 s10, 0x7f800001
	s_xor_b64 s[4:5], exec, -1
; %bb.2059:
	s_or_b64 exec, exec, s[8:9]
	s_and_b64 s[4:5], s[4:5], exec
	s_or_saveexec_b64 s[6:7], s[6:7]
	v_mov_b32_e32 v20, s10
	s_xor_b64 exec, exec, s[6:7]
	s_cbranch_execz .LBB45_10
.LBB45_2060:
	v_mov_b32_e32 v20, 0
	v_cmp_ne_u16_sdwa s[8:9], v21, v20 src0_sel:BYTE_0 src1_sel:DWORD
	s_andn2_b64 s[4:5], s[4:5], exec
	s_and_b64 s[8:9], s[8:9], exec
	s_or_b64 s[4:5], s[4:5], s[8:9]
	s_or_b64 exec, exec, s[6:7]
	s_and_saveexec_b64 s[6:7], s[4:5]
	s_cbranch_execnz .LBB45_11
	s_branch .LBB45_12
.LBB45_2061:
	s_movk_i32 s4, 0x80
	v_cmp_eq_u16_sdwa s[12:13], v21, s4 src0_sel:BYTE_0 src1_sel:DWORD
	s_mov_b64 s[4:5], -1
                                        ; implicit-def: $sgpr10
	s_and_saveexec_b64 s[8:9], s[12:13]
; %bb.2062:
	s_mov_b32 s10, 0x7f800001
	s_xor_b64 s[4:5], exec, -1
; %bb.2063:
	s_or_b64 exec, exec, s[8:9]
	s_and_b64 s[4:5], s[4:5], exec
	s_or_saveexec_b64 s[6:7], s[6:7]
	v_mov_b32_e32 v22, s10
	s_xor_b64 exec, exec, s[6:7]
	s_cbranch_execz .LBB45_14
.LBB45_2064:
	v_mov_b32_e32 v22, 0
	v_cmp_ne_u16_sdwa s[8:9], v21, v22 src0_sel:BYTE_0 src1_sel:DWORD
	s_andn2_b64 s[4:5], s[4:5], exec
	s_and_b64 s[8:9], s[8:9], exec
	s_or_b64 s[4:5], s[4:5], s[8:9]
	s_or_b64 exec, exec, s[6:7]
	s_and_saveexec_b64 s[6:7], s[4:5]
	s_cbranch_execnz .LBB45_15
	s_branch .LBB45_16
.LBB45_2065:
	s_movk_i32 s4, 0x80
	v_cmp_eq_u16_e32 vcc, s4, v21
	s_mov_b64 s[4:5], -1
                                        ; implicit-def: $sgpr10
	s_and_saveexec_b64 s[8:9], vcc
; %bb.2066:
	s_mov_b32 s10, 0x7f800001
	s_xor_b64 s[4:5], exec, -1
; %bb.2067:
	s_or_b64 exec, exec, s[8:9]
	s_and_b64 s[4:5], s[4:5], exec
                                        ; implicit-def: $vgpr21
	s_or_saveexec_b64 s[6:7], s[6:7]
	v_mov_b32_e32 v20, s10
	s_xor_b64 exec, exec, s[6:7]
	s_cbranch_execz .LBB45_18
.LBB45_2068:
	v_cmp_ne_u16_e32 vcc, 0, v21
	s_andn2_b64 s[4:5], s[4:5], exec
	s_and_b64 s[8:9], vcc, exec
	v_mov_b32_e32 v20, 0
	s_or_b64 s[4:5], s[4:5], s[8:9]
	s_or_b64 exec, exec, s[6:7]
	s_and_saveexec_b64 s[6:7], s[4:5]
	s_cbranch_execnz .LBB45_19
	s_branch .LBB45_20
.LBB45_2069:
	s_movk_i32 s4, 0x80
	v_cmp_eq_u16_e32 vcc, s4, v21
	s_mov_b64 s[4:5], -1
                                        ; implicit-def: $sgpr10
	s_and_saveexec_b64 s[8:9], vcc
; %bb.2070:
	s_mov_b32 s10, 0x7f800001
	s_xor_b64 s[4:5], exec, -1
; %bb.2071:
	s_or_b64 exec, exec, s[8:9]
	s_and_b64 s[4:5], s[4:5], exec
                                        ; implicit-def: $vgpr21
	s_or_saveexec_b64 s[6:7], s[6:7]
	v_mov_b32_e32 v22, s10
	s_xor_b64 exec, exec, s[6:7]
	s_cbranch_execz .LBB45_22
.LBB45_2072:
	v_cmp_ne_u16_e32 vcc, 0, v21
	s_andn2_b64 s[4:5], s[4:5], exec
	s_and_b64 s[8:9], vcc, exec
	v_mov_b32_e32 v22, 0
	s_or_b64 s[4:5], s[4:5], s[8:9]
	s_or_b64 exec, exec, s[6:7]
	s_and_saveexec_b64 s[6:7], s[4:5]
	s_cbranch_execnz .LBB45_23
	s_branch .LBB45_24
.LBB45_2073:
	s_movk_i32 s4, 0x80
	v_cmp_eq_u16_sdwa s[12:13], v14, s4 src0_sel:BYTE_3 src1_sel:DWORD
	s_mov_b64 s[4:5], -1
                                        ; implicit-def: $sgpr10
	s_and_saveexec_b64 s[8:9], s[12:13]
; %bb.2074:
	s_mov_b32 s10, 0x7f800001
	s_xor_b64 s[4:5], exec, -1
; %bb.2075:
	s_or_b64 exec, exec, s[8:9]
	s_and_b64 s[4:5], s[4:5], exec
	s_or_saveexec_b64 s[6:7], s[6:7]
	v_mov_b32_e32 v20, s10
	s_xor_b64 exec, exec, s[6:7]
	s_cbranch_execz .LBB45_26
.LBB45_2076:
	v_mov_b32_e32 v20, 0
	v_cmp_ne_u16_sdwa s[8:9], v14, v20 src0_sel:BYTE_3 src1_sel:DWORD
	s_andn2_b64 s[4:5], s[4:5], exec
	s_and_b64 s[8:9], s[8:9], exec
	s_or_b64 s[4:5], s[4:5], s[8:9]
	s_or_b64 exec, exec, s[6:7]
	s_and_saveexec_b64 s[6:7], s[4:5]
	s_cbranch_execnz .LBB45_27
	s_branch .LBB45_28
.LBB45_2077:
	s_movk_i32 s4, 0x80
	v_cmp_eq_u16_sdwa s[12:13], v10, s4 src0_sel:BYTE_3 src1_sel:DWORD
	s_mov_b64 s[4:5], -1
                                        ; implicit-def: $sgpr10
	s_and_saveexec_b64 s[8:9], s[12:13]
; %bb.2078:
	s_mov_b32 s10, 0x7f800001
	s_xor_b64 s[4:5], exec, -1
; %bb.2079:
	s_or_b64 exec, exec, s[8:9]
	s_and_b64 s[4:5], s[4:5], exec
	s_or_saveexec_b64 s[6:7], s[6:7]
	v_mov_b32_e32 v14, s10
	s_xor_b64 exec, exec, s[6:7]
	s_cbranch_execz .LBB45_30
.LBB45_2080:
	v_mov_b32_e32 v14, 0
	v_cmp_ne_u16_sdwa s[8:9], v10, v14 src0_sel:BYTE_3 src1_sel:DWORD
	s_andn2_b64 s[4:5], s[4:5], exec
	s_and_b64 s[8:9], s[8:9], exec
	s_or_b64 s[4:5], s[4:5], s[8:9]
	s_or_b64 exec, exec, s[6:7]
	s_and_saveexec_b64 s[6:7], s[4:5]
	s_cbranch_execnz .LBB45_31
	s_branch .LBB45_32
.LBB45_2081:
	s_movk_i32 s4, 0x80
	v_cmp_eq_u16_sdwa s[12:13], v15, s4 src0_sel:BYTE_0 src1_sel:DWORD
	s_mov_b64 s[4:5], -1
                                        ; implicit-def: $sgpr10
	s_and_saveexec_b64 s[8:9], s[12:13]
; %bb.2082:
	s_mov_b32 s10, 0x7f800001
	s_xor_b64 s[4:5], exec, -1
; %bb.2083:
	s_or_b64 exec, exec, s[8:9]
	s_and_b64 s[4:5], s[4:5], exec
	s_or_saveexec_b64 s[6:7], s[6:7]
	v_mov_b32_e32 v10, s10
	s_xor_b64 exec, exec, s[6:7]
	s_cbranch_execz .LBB45_34
.LBB45_2084:
	v_mov_b32_e32 v10, 0
	v_cmp_ne_u16_sdwa s[8:9], v15, v10 src0_sel:BYTE_0 src1_sel:DWORD
	s_andn2_b64 s[4:5], s[4:5], exec
	s_and_b64 s[8:9], s[8:9], exec
	s_or_b64 s[4:5], s[4:5], s[8:9]
	s_or_b64 exec, exec, s[6:7]
	s_and_saveexec_b64 s[6:7], s[4:5]
	s_cbranch_execnz .LBB45_35
	s_branch .LBB45_36
.LBB45_2085:
	s_movk_i32 s4, 0x80
	v_cmp_eq_u16_sdwa s[12:13], v11, s4 src0_sel:BYTE_0 src1_sel:DWORD
	s_mov_b64 s[4:5], -1
                                        ; implicit-def: $sgpr10
	s_and_saveexec_b64 s[8:9], s[12:13]
; %bb.2086:
	s_mov_b32 s10, 0x7f800001
	s_xor_b64 s[4:5], exec, -1
; %bb.2087:
	s_or_b64 exec, exec, s[8:9]
	s_and_b64 s[4:5], s[4:5], exec
	s_or_saveexec_b64 s[6:7], s[6:7]
	v_mov_b32_e32 v14, s10
	s_xor_b64 exec, exec, s[6:7]
	s_cbranch_execz .LBB45_38
.LBB45_2088:
	v_mov_b32_e32 v14, 0
	v_cmp_ne_u16_sdwa s[8:9], v11, v14 src0_sel:BYTE_0 src1_sel:DWORD
	s_andn2_b64 s[4:5], s[4:5], exec
	s_and_b64 s[8:9], s[8:9], exec
	s_or_b64 s[4:5], s[4:5], s[8:9]
	s_or_b64 exec, exec, s[6:7]
	s_and_saveexec_b64 s[6:7], s[4:5]
	s_cbranch_execnz .LBB45_39
	s_branch .LBB45_40
.LBB45_2089:
	s_movk_i32 s4, 0x80
	v_cmp_eq_u16_sdwa s[12:13], v14, s4 src0_sel:BYTE_0 src1_sel:DWORD
	s_mov_b64 s[4:5], -1
                                        ; implicit-def: $sgpr10
	s_and_saveexec_b64 s[8:9], s[12:13]
; %bb.2090:
	s_mov_b32 s10, 0x7f800001
	s_xor_b64 s[4:5], exec, -1
; %bb.2091:
	s_or_b64 exec, exec, s[8:9]
	s_and_b64 s[4:5], s[4:5], exec
	s_or_saveexec_b64 s[6:7], s[6:7]
	v_mov_b32_e32 v10, s10
	s_xor_b64 exec, exec, s[6:7]
	s_cbranch_execz .LBB45_42
.LBB45_2092:
	v_mov_b32_e32 v10, 0
	v_cmp_ne_u16_sdwa s[8:9], v14, v10 src0_sel:BYTE_0 src1_sel:DWORD
	s_andn2_b64 s[4:5], s[4:5], exec
	s_and_b64 s[8:9], s[8:9], exec
	s_or_b64 s[4:5], s[4:5], s[8:9]
	s_or_b64 exec, exec, s[6:7]
	s_and_saveexec_b64 s[6:7], s[4:5]
	s_cbranch_execnz .LBB45_43
	s_branch .LBB45_44
.LBB45_2093:
	s_movk_i32 s4, 0x80
	v_cmp_eq_u16_sdwa s[12:13], v14, s4 src0_sel:BYTE_0 src1_sel:DWORD
	s_mov_b64 s[4:5], -1
                                        ; implicit-def: $sgpr10
	s_and_saveexec_b64 s[8:9], s[12:13]
; %bb.2094:
	s_mov_b32 s10, 0x7f800001
	s_xor_b64 s[4:5], exec, -1
; %bb.2095:
	s_or_b64 exec, exec, s[8:9]
	s_and_b64 s[4:5], s[4:5], exec
	s_or_saveexec_b64 s[6:7], s[6:7]
	v_mov_b32_e32 v20, s10
	s_xor_b64 exec, exec, s[6:7]
	s_cbranch_execz .LBB45_46
.LBB45_2096:
	v_mov_b32_e32 v20, 0
	v_cmp_ne_u16_sdwa s[8:9], v14, v20 src0_sel:BYTE_0 src1_sel:DWORD
	s_andn2_b64 s[4:5], s[4:5], exec
	s_and_b64 s[8:9], s[8:9], exec
	s_or_b64 s[4:5], s[4:5], s[8:9]
	s_or_b64 exec, exec, s[6:7]
	s_and_saveexec_b64 s[6:7], s[4:5]
	s_cbranch_execnz .LBB45_47
	s_branch .LBB45_48
.LBB45_2097:
	s_movk_i32 s4, 0x80
	v_cmp_eq_u16_e32 vcc, s4, v14
	s_mov_b64 s[4:5], -1
                                        ; implicit-def: $sgpr10
	s_and_saveexec_b64 s[8:9], vcc
; %bb.2098:
	s_mov_b32 s10, 0x7f800001
	s_xor_b64 s[4:5], exec, -1
; %bb.2099:
	s_or_b64 exec, exec, s[8:9]
	s_and_b64 s[4:5], s[4:5], exec
                                        ; implicit-def: $vgpr14
	s_or_saveexec_b64 s[6:7], s[6:7]
	v_mov_b32_e32 v10, s10
	s_xor_b64 exec, exec, s[6:7]
	s_cbranch_execz .LBB45_50
.LBB45_2100:
	v_cmp_ne_u16_e32 vcc, 0, v14
	s_andn2_b64 s[4:5], s[4:5], exec
	s_and_b64 s[8:9], vcc, exec
	v_mov_b32_e32 v10, 0
	s_or_b64 s[4:5], s[4:5], s[8:9]
	s_or_b64 exec, exec, s[6:7]
	s_and_saveexec_b64 s[6:7], s[4:5]
	s_cbranch_execnz .LBB45_51
	s_branch .LBB45_52
.LBB45_2101:
	s_movk_i32 s4, 0x80
	v_cmp_eq_u16_e32 vcc, s4, v14
	s_mov_b64 s[4:5], -1
                                        ; implicit-def: $sgpr10
	s_and_saveexec_b64 s[8:9], vcc
; %bb.2102:
	s_mov_b32 s10, 0x7f800001
	s_xor_b64 s[4:5], exec, -1
; %bb.2103:
	s_or_b64 exec, exec, s[8:9]
	s_and_b64 s[4:5], s[4:5], exec
                                        ; implicit-def: $vgpr14
	s_or_saveexec_b64 s[6:7], s[6:7]
	v_mov_b32_e32 v20, s10
	s_xor_b64 exec, exec, s[6:7]
	s_cbranch_execz .LBB45_54
.LBB45_2104:
	v_cmp_ne_u16_e32 vcc, 0, v14
	s_andn2_b64 s[4:5], s[4:5], exec
	s_and_b64 s[8:9], vcc, exec
	v_mov_b32_e32 v20, 0
	s_or_b64 s[4:5], s[4:5], s[8:9]
	s_or_b64 exec, exec, s[6:7]
	s_and_saveexec_b64 s[6:7], s[4:5]
	s_cbranch_execnz .LBB45_55
	s_branch .LBB45_56
.LBB45_2105:
	s_movk_i32 s4, 0x80
	v_cmp_eq_u16_sdwa s[12:13], v15, s4 src0_sel:BYTE_3 src1_sel:DWORD
	s_mov_b64 s[4:5], -1
                                        ; implicit-def: $sgpr10
	s_and_saveexec_b64 s[8:9], s[12:13]
; %bb.2106:
	s_mov_b32 s10, 0x7f800001
	s_xor_b64 s[4:5], exec, -1
; %bb.2107:
	s_or_b64 exec, exec, s[8:9]
	s_and_b64 s[4:5], s[4:5], exec
	s_or_saveexec_b64 s[6:7], s[6:7]
	v_mov_b32_e32 v10, s10
	s_xor_b64 exec, exec, s[6:7]
	s_cbranch_execz .LBB45_58
.LBB45_2108:
	v_mov_b32_e32 v10, 0
	v_cmp_ne_u16_sdwa s[8:9], v15, v10 src0_sel:BYTE_3 src1_sel:DWORD
	s_andn2_b64 s[4:5], s[4:5], exec
	s_and_b64 s[8:9], s[8:9], exec
	s_or_b64 s[4:5], s[4:5], s[8:9]
	s_or_b64 exec, exec, s[6:7]
	s_and_saveexec_b64 s[6:7], s[4:5]
	s_cbranch_execnz .LBB45_59
	s_branch .LBB45_60
.LBB45_2109:
	s_movk_i32 s4, 0x80
	v_cmp_eq_u16_sdwa s[12:13], v11, s4 src0_sel:BYTE_3 src1_sel:DWORD
	s_mov_b64 s[4:5], -1
                                        ; implicit-def: $sgpr10
	s_and_saveexec_b64 s[8:9], s[12:13]
; %bb.2110:
	s_mov_b32 s10, 0x7f800001
	s_xor_b64 s[4:5], exec, -1
; %bb.2111:
	s_or_b64 exec, exec, s[8:9]
	s_and_b64 s[4:5], s[4:5], exec
	s_or_saveexec_b64 s[6:7], s[6:7]
	v_mov_b32_e32 v14, s10
	s_xor_b64 exec, exec, s[6:7]
	s_cbranch_execz .LBB45_62
.LBB45_2112:
	v_mov_b32_e32 v14, 0
	v_cmp_ne_u16_sdwa s[8:9], v11, v14 src0_sel:BYTE_3 src1_sel:DWORD
	s_andn2_b64 s[4:5], s[4:5], exec
	s_and_b64 s[8:9], s[8:9], exec
	s_or_b64 s[4:5], s[4:5], s[8:9]
	s_or_b64 exec, exec, s[6:7]
	s_and_saveexec_b64 s[6:7], s[4:5]
	s_cbranch_execnz .LBB45_63
	s_branch .LBB45_64
.LBB45_2113:
	s_movk_i32 s4, 0x80
	v_cmp_eq_u16_sdwa s[12:13], v16, s4 src0_sel:BYTE_0 src1_sel:DWORD
	s_mov_b64 s[4:5], -1
                                        ; implicit-def: $sgpr10
	s_and_saveexec_b64 s[8:9], s[12:13]
; %bb.2114:
	s_mov_b32 s10, 0x7f800001
	s_xor_b64 s[4:5], exec, -1
; %bb.2115:
	s_or_b64 exec, exec, s[8:9]
	s_and_b64 s[4:5], s[4:5], exec
	s_or_saveexec_b64 s[6:7], s[6:7]
	v_mov_b32_e32 v10, s10
	s_xor_b64 exec, exec, s[6:7]
	s_cbranch_execz .LBB45_66
.LBB45_2116:
	v_mov_b32_e32 v10, 0
	v_cmp_ne_u16_sdwa s[8:9], v16, v10 src0_sel:BYTE_0 src1_sel:DWORD
	s_andn2_b64 s[4:5], s[4:5], exec
	s_and_b64 s[8:9], s[8:9], exec
	s_or_b64 s[4:5], s[4:5], s[8:9]
	s_or_b64 exec, exec, s[6:7]
	s_and_saveexec_b64 s[6:7], s[4:5]
	s_cbranch_execnz .LBB45_67
	s_branch .LBB45_68
.LBB45_2117:
	s_movk_i32 s4, 0x80
	v_cmp_eq_u16_sdwa s[12:13], v12, s4 src0_sel:BYTE_0 src1_sel:DWORD
	s_mov_b64 s[4:5], -1
                                        ; implicit-def: $sgpr10
	s_and_saveexec_b64 s[8:9], s[12:13]
; %bb.2118:
	s_mov_b32 s10, 0x7f800001
	s_xor_b64 s[4:5], exec, -1
; %bb.2119:
	s_or_b64 exec, exec, s[8:9]
	s_and_b64 s[4:5], s[4:5], exec
	s_or_saveexec_b64 s[6:7], s[6:7]
	v_mov_b32_e32 v11, s10
	s_xor_b64 exec, exec, s[6:7]
	s_cbranch_execz .LBB45_70
.LBB45_2120:
	v_mov_b32_e32 v11, 0
	v_cmp_ne_u16_sdwa s[8:9], v12, v11 src0_sel:BYTE_0 src1_sel:DWORD
	s_andn2_b64 s[4:5], s[4:5], exec
	s_and_b64 s[8:9], s[8:9], exec
	s_or_b64 s[4:5], s[4:5], s[8:9]
	s_or_b64 exec, exec, s[6:7]
	s_and_saveexec_b64 s[6:7], s[4:5]
	s_cbranch_execnz .LBB45_71
	s_branch .LBB45_72
.LBB45_2121:
	s_movk_i32 s4, 0x80
	v_cmp_eq_u16_sdwa s[12:13], v11, s4 src0_sel:BYTE_0 src1_sel:DWORD
	s_mov_b64 s[4:5], -1
                                        ; implicit-def: $sgpr10
	s_and_saveexec_b64 s[8:9], s[12:13]
; %bb.2122:
	s_mov_b32 s10, 0x7f800001
	s_xor_b64 s[4:5], exec, -1
; %bb.2123:
	s_or_b64 exec, exec, s[8:9]
	s_and_b64 s[4:5], s[4:5], exec
	s_or_saveexec_b64 s[6:7], s[6:7]
	v_mov_b32_e32 v10, s10
	s_xor_b64 exec, exec, s[6:7]
	s_cbranch_execz .LBB45_74
.LBB45_2124:
	v_mov_b32_e32 v10, 0
	v_cmp_ne_u16_sdwa s[8:9], v11, v10 src0_sel:BYTE_0 src1_sel:DWORD
	s_andn2_b64 s[4:5], s[4:5], exec
	s_and_b64 s[8:9], s[8:9], exec
	s_or_b64 s[4:5], s[4:5], s[8:9]
	s_or_b64 exec, exec, s[6:7]
	s_and_saveexec_b64 s[6:7], s[4:5]
	s_cbranch_execnz .LBB45_75
	s_branch .LBB45_76
.LBB45_2125:
	s_movk_i32 s4, 0x80
	v_cmp_eq_u16_sdwa s[12:13], v11, s4 src0_sel:BYTE_0 src1_sel:DWORD
	s_mov_b64 s[4:5], -1
                                        ; implicit-def: $sgpr10
	s_and_saveexec_b64 s[8:9], s[12:13]
; %bb.2126:
	s_mov_b32 s10, 0x7f800001
	s_xor_b64 s[4:5], exec, -1
; %bb.2127:
	s_or_b64 exec, exec, s[8:9]
	s_and_b64 s[4:5], s[4:5], exec
	s_or_saveexec_b64 s[6:7], s[6:7]
	v_mov_b32_e32 v14, s10
	s_xor_b64 exec, exec, s[6:7]
	s_cbranch_execz .LBB45_78
.LBB45_2128:
	v_mov_b32_e32 v14, 0
	v_cmp_ne_u16_sdwa s[8:9], v11, v14 src0_sel:BYTE_0 src1_sel:DWORD
	s_andn2_b64 s[4:5], s[4:5], exec
	s_and_b64 s[8:9], s[8:9], exec
	s_or_b64 s[4:5], s[4:5], s[8:9]
	s_or_b64 exec, exec, s[6:7]
	s_and_saveexec_b64 s[6:7], s[4:5]
	s_cbranch_execnz .LBB45_79
	s_branch .LBB45_80
.LBB45_2129:
	s_movk_i32 s4, 0x80
	v_cmp_eq_u16_e32 vcc, s4, v11
	s_mov_b64 s[4:5], -1
                                        ; implicit-def: $sgpr10
	s_and_saveexec_b64 s[8:9], vcc
; %bb.2130:
	s_mov_b32 s10, 0x7f800001
	s_xor_b64 s[4:5], exec, -1
; %bb.2131:
	s_or_b64 exec, exec, s[8:9]
	s_and_b64 s[4:5], s[4:5], exec
                                        ; implicit-def: $vgpr11
	s_or_saveexec_b64 s[6:7], s[6:7]
	v_mov_b32_e32 v10, s10
	s_xor_b64 exec, exec, s[6:7]
	s_cbranch_execz .LBB45_82
.LBB45_2132:
	v_cmp_ne_u16_e32 vcc, 0, v11
	s_andn2_b64 s[4:5], s[4:5], exec
	s_and_b64 s[8:9], vcc, exec
	v_mov_b32_e32 v10, 0
	s_or_b64 s[4:5], s[4:5], s[8:9]
	s_or_b64 exec, exec, s[6:7]
	s_and_saveexec_b64 s[6:7], s[4:5]
	s_cbranch_execnz .LBB45_83
	s_branch .LBB45_84
.LBB45_2133:
	s_movk_i32 s4, 0x80
	v_cmp_eq_u16_e32 vcc, s4, v11
	s_mov_b64 s[4:5], -1
                                        ; implicit-def: $sgpr10
	s_and_saveexec_b64 s[8:9], vcc
; %bb.2134:
	s_mov_b32 s10, 0x7f800001
	s_xor_b64 s[4:5], exec, -1
; %bb.2135:
	s_or_b64 exec, exec, s[8:9]
	s_and_b64 s[4:5], s[4:5], exec
                                        ; implicit-def: $vgpr11
	s_or_saveexec_b64 s[6:7], s[6:7]
	v_mov_b32_e32 v14, s10
	s_xor_b64 exec, exec, s[6:7]
	s_cbranch_execz .LBB45_86
.LBB45_2136:
	v_cmp_ne_u16_e32 vcc, 0, v11
	s_andn2_b64 s[4:5], s[4:5], exec
	s_and_b64 s[8:9], vcc, exec
	v_mov_b32_e32 v14, 0
	s_or_b64 s[4:5], s[4:5], s[8:9]
	s_or_b64 exec, exec, s[6:7]
	s_and_saveexec_b64 s[6:7], s[4:5]
	s_cbranch_execnz .LBB45_87
	s_branch .LBB45_88
.LBB45_2137:
	s_movk_i32 s4, 0x80
	v_cmp_eq_u16_sdwa s[12:13], v16, s4 src0_sel:BYTE_3 src1_sel:DWORD
	s_mov_b64 s[4:5], -1
                                        ; implicit-def: $sgpr10
	s_and_saveexec_b64 s[8:9], s[12:13]
; %bb.2138:
	s_mov_b32 s10, 0x7f800001
	s_xor_b64 s[4:5], exec, -1
; %bb.2139:
	s_or_b64 exec, exec, s[8:9]
	s_and_b64 s[4:5], s[4:5], exec
	s_or_saveexec_b64 s[6:7], s[6:7]
	v_mov_b32_e32 v10, s10
	s_xor_b64 exec, exec, s[6:7]
	s_cbranch_execz .LBB45_90
.LBB45_2140:
	v_mov_b32_e32 v10, 0
	v_cmp_ne_u16_sdwa s[8:9], v16, v10 src0_sel:BYTE_3 src1_sel:DWORD
	s_andn2_b64 s[4:5], s[4:5], exec
	s_and_b64 s[8:9], s[8:9], exec
	s_or_b64 s[4:5], s[4:5], s[8:9]
	s_or_b64 exec, exec, s[6:7]
	s_and_saveexec_b64 s[6:7], s[4:5]
	s_cbranch_execnz .LBB45_91
	s_branch .LBB45_92
.LBB45_2141:
	s_movk_i32 s4, 0x80
	v_cmp_eq_u16_sdwa s[12:13], v12, s4 src0_sel:BYTE_3 src1_sel:DWORD
	s_mov_b64 s[4:5], -1
                                        ; implicit-def: $sgpr10
	s_and_saveexec_b64 s[8:9], s[12:13]
; %bb.2142:
	s_mov_b32 s10, 0x7f800001
	s_xor_b64 s[4:5], exec, -1
; %bb.2143:
	s_or_b64 exec, exec, s[8:9]
	s_and_b64 s[4:5], s[4:5], exec
	s_or_saveexec_b64 s[6:7], s[6:7]
	v_mov_b32_e32 v11, s10
	s_xor_b64 exec, exec, s[6:7]
	s_cbranch_execz .LBB45_94
.LBB45_2144:
	v_mov_b32_e32 v11, 0
	v_cmp_ne_u16_sdwa s[8:9], v12, v11 src0_sel:BYTE_3 src1_sel:DWORD
	s_andn2_b64 s[4:5], s[4:5], exec
	s_and_b64 s[8:9], s[8:9], exec
	s_or_b64 s[4:5], s[4:5], s[8:9]
	s_or_b64 exec, exec, s[6:7]
	s_and_saveexec_b64 s[6:7], s[4:5]
	s_cbranch_execnz .LBB45_95
	s_branch .LBB45_96
.LBB45_2145:
	s_movk_i32 s4, 0x80
	v_cmp_eq_u16_sdwa s[12:13], v17, s4 src0_sel:BYTE_0 src1_sel:DWORD
	s_mov_b64 s[4:5], -1
                                        ; implicit-def: $sgpr10
	s_and_saveexec_b64 s[8:9], s[12:13]
; %bb.2146:
	s_mov_b32 s10, 0x7f800001
	s_xor_b64 s[4:5], exec, -1
; %bb.2147:
	s_or_b64 exec, exec, s[8:9]
	s_and_b64 s[4:5], s[4:5], exec
	s_or_saveexec_b64 s[6:7], s[6:7]
	v_mov_b32_e32 v10, s10
	s_xor_b64 exec, exec, s[6:7]
	s_cbranch_execz .LBB45_98
.LBB45_2148:
	v_mov_b32_e32 v10, 0
	v_cmp_ne_u16_sdwa s[8:9], v17, v10 src0_sel:BYTE_0 src1_sel:DWORD
	s_andn2_b64 s[4:5], s[4:5], exec
	s_and_b64 s[8:9], s[8:9], exec
	s_or_b64 s[4:5], s[4:5], s[8:9]
	s_or_b64 exec, exec, s[6:7]
	s_and_saveexec_b64 s[6:7], s[4:5]
	s_cbranch_execnz .LBB45_99
	s_branch .LBB45_100
.LBB45_2149:
	s_movk_i32 s4, 0x80
	v_cmp_eq_u16_sdwa s[12:13], v13, s4 src0_sel:BYTE_0 src1_sel:DWORD
	s_mov_b64 s[4:5], -1
                                        ; implicit-def: $sgpr10
	s_and_saveexec_b64 s[8:9], s[12:13]
; %bb.2150:
	s_mov_b32 s10, 0x7f800001
	s_xor_b64 s[4:5], exec, -1
; %bb.2151:
	s_or_b64 exec, exec, s[8:9]
	s_and_b64 s[4:5], s[4:5], exec
	s_or_saveexec_b64 s[6:7], s[6:7]
	v_mov_b32_e32 v11, s10
	s_xor_b64 exec, exec, s[6:7]
	s_cbranch_execz .LBB45_102
.LBB45_2152:
	v_mov_b32_e32 v11, 0
	v_cmp_ne_u16_sdwa s[8:9], v13, v11 src0_sel:BYTE_0 src1_sel:DWORD
	s_andn2_b64 s[4:5], s[4:5], exec
	s_and_b64 s[8:9], s[8:9], exec
	s_or_b64 s[4:5], s[4:5], s[8:9]
	s_or_b64 exec, exec, s[6:7]
	s_and_saveexec_b64 s[6:7], s[4:5]
	s_cbranch_execnz .LBB45_103
	s_branch .LBB45_104
.LBB45_2153:
	s_movk_i32 s4, 0x80
	v_cmp_eq_u16_sdwa s[12:13], v11, s4 src0_sel:BYTE_0 src1_sel:DWORD
	s_mov_b64 s[4:5], -1
                                        ; implicit-def: $sgpr10
	s_and_saveexec_b64 s[8:9], s[12:13]
; %bb.2154:
	s_mov_b32 s10, 0x7f800001
	s_xor_b64 s[4:5], exec, -1
; %bb.2155:
	s_or_b64 exec, exec, s[8:9]
	s_and_b64 s[4:5], s[4:5], exec
	s_or_saveexec_b64 s[6:7], s[6:7]
	v_mov_b32_e32 v10, s10
	s_xor_b64 exec, exec, s[6:7]
	s_cbranch_execz .LBB45_106
.LBB45_2156:
	v_mov_b32_e32 v10, 0
	v_cmp_ne_u16_sdwa s[8:9], v11, v10 src0_sel:BYTE_0 src1_sel:DWORD
	s_andn2_b64 s[4:5], s[4:5], exec
	s_and_b64 s[8:9], s[8:9], exec
	s_or_b64 s[4:5], s[4:5], s[8:9]
	s_or_b64 exec, exec, s[6:7]
	s_and_saveexec_b64 s[6:7], s[4:5]
	s_cbranch_execnz .LBB45_107
	s_branch .LBB45_108
.LBB45_2157:
	s_movk_i32 s4, 0x80
	v_cmp_eq_u16_sdwa s[12:13], v11, s4 src0_sel:BYTE_0 src1_sel:DWORD
	s_mov_b64 s[4:5], -1
                                        ; implicit-def: $sgpr10
	s_and_saveexec_b64 s[8:9], s[12:13]
; %bb.2158:
	s_mov_b32 s10, 0x7f800001
	s_xor_b64 s[4:5], exec, -1
; %bb.2159:
	s_or_b64 exec, exec, s[8:9]
	s_and_b64 s[4:5], s[4:5], exec
	s_or_saveexec_b64 s[6:7], s[6:7]
	v_mov_b32_e32 v12, s10
	s_xor_b64 exec, exec, s[6:7]
	s_cbranch_execz .LBB45_110
.LBB45_2160:
	v_mov_b32_e32 v12, 0
	v_cmp_ne_u16_sdwa s[8:9], v11, v12 src0_sel:BYTE_0 src1_sel:DWORD
	s_andn2_b64 s[4:5], s[4:5], exec
	s_and_b64 s[8:9], s[8:9], exec
	s_or_b64 s[4:5], s[4:5], s[8:9]
	s_or_b64 exec, exec, s[6:7]
	s_and_saveexec_b64 s[6:7], s[4:5]
	s_cbranch_execnz .LBB45_111
	s_branch .LBB45_112
.LBB45_2161:
	s_movk_i32 s4, 0x80
	v_cmp_eq_u16_e32 vcc, s4, v11
	s_mov_b64 s[4:5], -1
                                        ; implicit-def: $sgpr10
	s_and_saveexec_b64 s[8:9], vcc
; %bb.2162:
	s_mov_b32 s10, 0x7f800001
	s_xor_b64 s[4:5], exec, -1
; %bb.2163:
	s_or_b64 exec, exec, s[8:9]
	s_and_b64 s[4:5], s[4:5], exec
                                        ; implicit-def: $vgpr11
	s_or_saveexec_b64 s[6:7], s[6:7]
	v_mov_b32_e32 v10, s10
	s_xor_b64 exec, exec, s[6:7]
	s_cbranch_execz .LBB45_114
.LBB45_2164:
	v_cmp_ne_u16_e32 vcc, 0, v11
	s_andn2_b64 s[4:5], s[4:5], exec
	s_and_b64 s[8:9], vcc, exec
	v_mov_b32_e32 v10, 0
	s_or_b64 s[4:5], s[4:5], s[8:9]
	s_or_b64 exec, exec, s[6:7]
	s_and_saveexec_b64 s[6:7], s[4:5]
	s_cbranch_execnz .LBB45_115
	s_branch .LBB45_116
.LBB45_2165:
	s_movk_i32 s4, 0x80
	v_cmp_eq_u16_e32 vcc, s4, v11
	s_mov_b64 s[4:5], -1
                                        ; implicit-def: $sgpr10
	s_and_saveexec_b64 s[8:9], vcc
; %bb.2166:
	s_mov_b32 s10, 0x7f800001
	s_xor_b64 s[4:5], exec, -1
; %bb.2167:
	s_or_b64 exec, exec, s[8:9]
	s_and_b64 s[4:5], s[4:5], exec
                                        ; implicit-def: $vgpr11
	s_or_saveexec_b64 s[6:7], s[6:7]
	v_mov_b32_e32 v12, s10
	s_xor_b64 exec, exec, s[6:7]
	s_cbranch_execz .LBB45_118
.LBB45_2168:
	v_cmp_ne_u16_e32 vcc, 0, v11
	s_andn2_b64 s[4:5], s[4:5], exec
	s_and_b64 s[8:9], vcc, exec
	v_mov_b32_e32 v12, 0
	s_or_b64 s[4:5], s[4:5], s[8:9]
	s_or_b64 exec, exec, s[6:7]
	s_and_saveexec_b64 s[6:7], s[4:5]
	s_cbranch_execnz .LBB45_119
	s_branch .LBB45_120
.LBB45_2169:
	s_movk_i32 s4, 0x80
	v_cmp_eq_u16_sdwa s[12:13], v17, s4 src0_sel:BYTE_3 src1_sel:DWORD
	s_mov_b64 s[4:5], -1
                                        ; implicit-def: $sgpr10
	s_and_saveexec_b64 s[8:9], s[12:13]
; %bb.2170:
	s_mov_b32 s10, 0x7f800001
	s_xor_b64 s[4:5], exec, -1
; %bb.2171:
	s_or_b64 exec, exec, s[8:9]
	s_and_b64 s[4:5], s[4:5], exec
	s_or_saveexec_b64 s[6:7], s[6:7]
	v_mov_b32_e32 v10, s10
	s_xor_b64 exec, exec, s[6:7]
	s_cbranch_execz .LBB45_122
.LBB45_2172:
	v_mov_b32_e32 v10, 0
	v_cmp_ne_u16_sdwa s[8:9], v17, v10 src0_sel:BYTE_3 src1_sel:DWORD
	s_andn2_b64 s[4:5], s[4:5], exec
	s_and_b64 s[8:9], s[8:9], exec
	s_or_b64 s[4:5], s[4:5], s[8:9]
	s_or_b64 exec, exec, s[6:7]
	s_and_saveexec_b64 s[6:7], s[4:5]
	s_cbranch_execnz .LBB45_123
	s_branch .LBB45_124
.LBB45_2173:
	s_movk_i32 s4, 0x80
	v_cmp_eq_u16_sdwa s[12:13], v13, s4 src0_sel:BYTE_3 src1_sel:DWORD
	s_mov_b64 s[4:5], -1
                                        ; implicit-def: $sgpr10
	s_and_saveexec_b64 s[8:9], s[12:13]
; %bb.2174:
	s_mov_b32 s10, 0x7f800001
	s_xor_b64 s[4:5], exec, -1
; %bb.2175:
	s_or_b64 exec, exec, s[8:9]
	s_and_b64 s[4:5], s[4:5], exec
	s_or_saveexec_b64 s[6:7], s[6:7]
	v_mov_b32_e32 v11, s10
	s_xor_b64 exec, exec, s[6:7]
	s_cbranch_execz .LBB45_126
.LBB45_2176:
	v_mov_b32_e32 v11, 0
	v_cmp_ne_u16_sdwa s[8:9], v13, v11 src0_sel:BYTE_3 src1_sel:DWORD
	s_andn2_b64 s[4:5], s[4:5], exec
	s_and_b64 s[8:9], s[8:9], exec
	s_or_b64 s[4:5], s[4:5], s[8:9]
	s_or_b64 exec, exec, s[6:7]
	s_and_saveexec_b64 s[6:7], s[4:5]
	s_cbranch_execnz .LBB45_127
	s_branch .LBB45_128
.LBB45_2177:
	s_movk_i32 s4, 0x80
	v_cmp_eq_u16_sdwa s[12:13], v6, s4 src0_sel:BYTE_0 src1_sel:DWORD
	s_mov_b64 s[4:5], -1
                                        ; implicit-def: $sgpr10
	s_and_saveexec_b64 s[8:9], s[12:13]
; %bb.2178:
	s_mov_b32 s10, 0x7f800001
	s_xor_b64 s[4:5], exec, -1
; %bb.2179:
	s_or_b64 exec, exec, s[8:9]
	s_and_b64 s[4:5], s[4:5], exec
	s_or_saveexec_b64 s[6:7], s[6:7]
	v_mov_b32_e32 v10, s10
	s_xor_b64 exec, exec, s[6:7]
	s_cbranch_execz .LBB45_130
.LBB45_2180:
	v_mov_b32_e32 v10, 0
	v_cmp_ne_u16_sdwa s[8:9], v6, v10 src0_sel:BYTE_0 src1_sel:DWORD
	s_andn2_b64 s[4:5], s[4:5], exec
	s_and_b64 s[8:9], s[8:9], exec
	s_or_b64 s[4:5], s[4:5], s[8:9]
	s_or_b64 exec, exec, s[6:7]
	s_and_saveexec_b64 s[6:7], s[4:5]
	s_cbranch_execnz .LBB45_131
	s_branch .LBB45_132
.LBB45_2181:
	s_movk_i32 s4, 0x80
	v_cmp_eq_u16_sdwa s[12:13], v2, s4 src0_sel:BYTE_0 src1_sel:DWORD
	s_mov_b64 s[4:5], -1
                                        ; implicit-def: $sgpr10
	s_and_saveexec_b64 s[8:9], s[12:13]
; %bb.2182:
	s_mov_b32 s10, 0x7f800001
	s_xor_b64 s[4:5], exec, -1
; %bb.2183:
	s_or_b64 exec, exec, s[8:9]
	s_and_b64 s[4:5], s[4:5], exec
	s_or_saveexec_b64 s[6:7], s[6:7]
	v_mov_b32_e32 v11, s10
	s_xor_b64 exec, exec, s[6:7]
	s_cbranch_execz .LBB45_134
.LBB45_2184:
	v_mov_b32_e32 v11, 0
	v_cmp_ne_u16_sdwa s[8:9], v2, v11 src0_sel:BYTE_0 src1_sel:DWORD
	s_andn2_b64 s[4:5], s[4:5], exec
	s_and_b64 s[8:9], s[8:9], exec
	s_or_b64 s[4:5], s[4:5], s[8:9]
	s_or_b64 exec, exec, s[6:7]
	s_and_saveexec_b64 s[6:7], s[4:5]
	s_cbranch_execnz .LBB45_135
	s_branch .LBB45_136
.LBB45_2185:
	s_movk_i32 s4, 0x80
	v_cmp_eq_u16_sdwa s[12:13], v11, s4 src0_sel:BYTE_0 src1_sel:DWORD
	s_mov_b64 s[4:5], -1
                                        ; implicit-def: $sgpr10
	s_and_saveexec_b64 s[8:9], s[12:13]
; %bb.2186:
	s_mov_b32 s10, 0x7f800001
	s_xor_b64 s[4:5], exec, -1
; %bb.2187:
	s_or_b64 exec, exec, s[8:9]
	s_and_b64 s[4:5], s[4:5], exec
	s_or_saveexec_b64 s[6:7], s[6:7]
	v_mov_b32_e32 v10, s10
	s_xor_b64 exec, exec, s[6:7]
	s_cbranch_execz .LBB45_138
.LBB45_2188:
	v_mov_b32_e32 v10, 0
	v_cmp_ne_u16_sdwa s[8:9], v11, v10 src0_sel:BYTE_0 src1_sel:DWORD
	s_andn2_b64 s[4:5], s[4:5], exec
	s_and_b64 s[8:9], s[8:9], exec
	s_or_b64 s[4:5], s[4:5], s[8:9]
	s_or_b64 exec, exec, s[6:7]
	s_and_saveexec_b64 s[6:7], s[4:5]
	s_cbranch_execnz .LBB45_139
	s_branch .LBB45_140
.LBB45_2189:
	s_movk_i32 s4, 0x80
	v_cmp_eq_u16_sdwa s[12:13], v11, s4 src0_sel:BYTE_0 src1_sel:DWORD
	s_mov_b64 s[4:5], -1
                                        ; implicit-def: $sgpr10
	s_and_saveexec_b64 s[8:9], s[12:13]
; %bb.2190:
	s_mov_b32 s10, 0x7f800001
	s_xor_b64 s[4:5], exec, -1
; %bb.2191:
	s_or_b64 exec, exec, s[8:9]
	s_and_b64 s[4:5], s[4:5], exec
	s_or_saveexec_b64 s[6:7], s[6:7]
	v_mov_b32_e32 v12, s10
	s_xor_b64 exec, exec, s[6:7]
	s_cbranch_execz .LBB45_142
.LBB45_2192:
	v_mov_b32_e32 v12, 0
	v_cmp_ne_u16_sdwa s[8:9], v11, v12 src0_sel:BYTE_0 src1_sel:DWORD
	s_andn2_b64 s[4:5], s[4:5], exec
	s_and_b64 s[8:9], s[8:9], exec
	s_or_b64 s[4:5], s[4:5], s[8:9]
	s_or_b64 exec, exec, s[6:7]
	s_and_saveexec_b64 s[6:7], s[4:5]
	s_cbranch_execnz .LBB45_143
	s_branch .LBB45_144
.LBB45_2193:
	s_movk_i32 s4, 0x80
	v_cmp_eq_u16_e32 vcc, s4, v11
	s_mov_b64 s[4:5], -1
                                        ; implicit-def: $sgpr10
	s_and_saveexec_b64 s[8:9], vcc
; %bb.2194:
	s_mov_b32 s10, 0x7f800001
	s_xor_b64 s[4:5], exec, -1
; %bb.2195:
	s_or_b64 exec, exec, s[8:9]
	s_and_b64 s[4:5], s[4:5], exec
                                        ; implicit-def: $vgpr11
	s_or_saveexec_b64 s[6:7], s[6:7]
	v_mov_b32_e32 v10, s10
	s_xor_b64 exec, exec, s[6:7]
	s_cbranch_execz .LBB45_146
.LBB45_2196:
	v_cmp_ne_u16_e32 vcc, 0, v11
	s_andn2_b64 s[4:5], s[4:5], exec
	s_and_b64 s[8:9], vcc, exec
	v_mov_b32_e32 v10, 0
	s_or_b64 s[4:5], s[4:5], s[8:9]
	s_or_b64 exec, exec, s[6:7]
	s_and_saveexec_b64 s[6:7], s[4:5]
	s_cbranch_execnz .LBB45_147
	s_branch .LBB45_148
.LBB45_2197:
	s_movk_i32 s4, 0x80
	v_cmp_eq_u16_e32 vcc, s4, v11
	s_mov_b64 s[4:5], -1
                                        ; implicit-def: $sgpr10
	s_and_saveexec_b64 s[8:9], vcc
; %bb.2198:
	s_mov_b32 s10, 0x7f800001
	s_xor_b64 s[4:5], exec, -1
; %bb.2199:
	s_or_b64 exec, exec, s[8:9]
	s_and_b64 s[4:5], s[4:5], exec
                                        ; implicit-def: $vgpr11
	s_or_saveexec_b64 s[6:7], s[6:7]
	v_mov_b32_e32 v12, s10
	s_xor_b64 exec, exec, s[6:7]
	s_cbranch_execz .LBB45_150
.LBB45_2200:
	v_cmp_ne_u16_e32 vcc, 0, v11
	s_andn2_b64 s[4:5], s[4:5], exec
	s_and_b64 s[8:9], vcc, exec
	v_mov_b32_e32 v12, 0
	s_or_b64 s[4:5], s[4:5], s[8:9]
	s_or_b64 exec, exec, s[6:7]
	s_and_saveexec_b64 s[6:7], s[4:5]
	s_cbranch_execnz .LBB45_151
	s_branch .LBB45_152
.LBB45_2201:
	s_movk_i32 s4, 0x80
	v_cmp_eq_u16_sdwa s[12:13], v6, s4 src0_sel:BYTE_3 src1_sel:DWORD
	s_mov_b64 s[4:5], -1
                                        ; implicit-def: $sgpr10
	s_and_saveexec_b64 s[8:9], s[12:13]
; %bb.2202:
	s_mov_b32 s10, 0x7f800001
	s_xor_b64 s[4:5], exec, -1
; %bb.2203:
	s_or_b64 exec, exec, s[8:9]
	s_and_b64 s[4:5], s[4:5], exec
	s_or_saveexec_b64 s[6:7], s[6:7]
	v_mov_b32_e32 v10, s10
	s_xor_b64 exec, exec, s[6:7]
	s_cbranch_execz .LBB45_154
.LBB45_2204:
	v_mov_b32_e32 v10, 0
	v_cmp_ne_u16_sdwa s[8:9], v6, v10 src0_sel:BYTE_3 src1_sel:DWORD
	s_andn2_b64 s[4:5], s[4:5], exec
	s_and_b64 s[8:9], s[8:9], exec
	s_or_b64 s[4:5], s[4:5], s[8:9]
	s_or_b64 exec, exec, s[6:7]
	s_and_saveexec_b64 s[6:7], s[4:5]
	s_cbranch_execnz .LBB45_155
	s_branch .LBB45_156
.LBB45_2205:
	s_movk_i32 s4, 0x80
	v_cmp_eq_u16_sdwa s[12:13], v2, s4 src0_sel:BYTE_3 src1_sel:DWORD
	s_mov_b64 s[4:5], -1
                                        ; implicit-def: $sgpr10
	s_and_saveexec_b64 s[8:9], s[12:13]
; %bb.2206:
	s_mov_b32 s10, 0x7f800001
	s_xor_b64 s[4:5], exec, -1
; %bb.2207:
	s_or_b64 exec, exec, s[8:9]
	s_and_b64 s[4:5], s[4:5], exec
	s_or_saveexec_b64 s[6:7], s[6:7]
	v_mov_b32_e32 v6, s10
	s_xor_b64 exec, exec, s[6:7]
	s_cbranch_execz .LBB45_158
.LBB45_2208:
	v_mov_b32_e32 v6, 0
	v_cmp_ne_u16_sdwa s[8:9], v2, v6 src0_sel:BYTE_3 src1_sel:DWORD
	s_andn2_b64 s[4:5], s[4:5], exec
	s_and_b64 s[8:9], s[8:9], exec
	s_or_b64 s[4:5], s[4:5], s[8:9]
	s_or_b64 exec, exec, s[6:7]
	s_and_saveexec_b64 s[6:7], s[4:5]
	s_cbranch_execnz .LBB45_159
	s_branch .LBB45_160
.LBB45_2209:
	s_movk_i32 s4, 0x80
	v_cmp_eq_u16_sdwa s[12:13], v7, s4 src0_sel:BYTE_0 src1_sel:DWORD
	s_mov_b64 s[4:5], -1
                                        ; implicit-def: $sgpr10
	s_and_saveexec_b64 s[8:9], s[12:13]
; %bb.2210:
	s_mov_b32 s10, 0x7f800001
	s_xor_b64 s[4:5], exec, -1
; %bb.2211:
	s_or_b64 exec, exec, s[8:9]
	s_and_b64 s[4:5], s[4:5], exec
	s_or_saveexec_b64 s[6:7], s[6:7]
	v_mov_b32_e32 v2, s10
	s_xor_b64 exec, exec, s[6:7]
	s_cbranch_execz .LBB45_162
.LBB45_2212:
	v_mov_b32_e32 v2, 0
	v_cmp_ne_u16_sdwa s[8:9], v7, v2 src0_sel:BYTE_0 src1_sel:DWORD
	s_andn2_b64 s[4:5], s[4:5], exec
	s_and_b64 s[8:9], s[8:9], exec
	s_or_b64 s[4:5], s[4:5], s[8:9]
	s_or_b64 exec, exec, s[6:7]
	s_and_saveexec_b64 s[6:7], s[4:5]
	s_cbranch_execnz .LBB45_163
	s_branch .LBB45_164
.LBB45_2213:
	s_movk_i32 s4, 0x80
	v_cmp_eq_u16_sdwa s[12:13], v3, s4 src0_sel:BYTE_0 src1_sel:DWORD
	s_mov_b64 s[4:5], -1
                                        ; implicit-def: $sgpr10
	s_and_saveexec_b64 s[8:9], s[12:13]
; %bb.2214:
	s_mov_b32 s10, 0x7f800001
	s_xor_b64 s[4:5], exec, -1
; %bb.2215:
	s_or_b64 exec, exec, s[8:9]
	s_and_b64 s[4:5], s[4:5], exec
	s_or_saveexec_b64 s[6:7], s[6:7]
	v_mov_b32_e32 v6, s10
	s_xor_b64 exec, exec, s[6:7]
	s_cbranch_execz .LBB45_166
.LBB45_2216:
	v_mov_b32_e32 v6, 0
	v_cmp_ne_u16_sdwa s[8:9], v3, v6 src0_sel:BYTE_0 src1_sel:DWORD
	s_andn2_b64 s[4:5], s[4:5], exec
	s_and_b64 s[8:9], s[8:9], exec
	s_or_b64 s[4:5], s[4:5], s[8:9]
	s_or_b64 exec, exec, s[6:7]
	s_and_saveexec_b64 s[6:7], s[4:5]
	s_cbranch_execnz .LBB45_167
	s_branch .LBB45_168
.LBB45_2217:
	s_movk_i32 s4, 0x80
	v_cmp_eq_u16_sdwa s[12:13], v6, s4 src0_sel:BYTE_0 src1_sel:DWORD
	s_mov_b64 s[4:5], -1
                                        ; implicit-def: $sgpr10
	s_and_saveexec_b64 s[8:9], s[12:13]
; %bb.2218:
	s_mov_b32 s10, 0x7f800001
	s_xor_b64 s[4:5], exec, -1
; %bb.2219:
	s_or_b64 exec, exec, s[8:9]
	s_and_b64 s[4:5], s[4:5], exec
	s_or_saveexec_b64 s[6:7], s[6:7]
	v_mov_b32_e32 v2, s10
	s_xor_b64 exec, exec, s[6:7]
	s_cbranch_execz .LBB45_170
.LBB45_2220:
	v_mov_b32_e32 v2, 0
	v_cmp_ne_u16_sdwa s[8:9], v6, v2 src0_sel:BYTE_0 src1_sel:DWORD
	s_andn2_b64 s[4:5], s[4:5], exec
	s_and_b64 s[8:9], s[8:9], exec
	s_or_b64 s[4:5], s[4:5], s[8:9]
	s_or_b64 exec, exec, s[6:7]
	s_and_saveexec_b64 s[6:7], s[4:5]
	s_cbranch_execnz .LBB45_171
	s_branch .LBB45_172
.LBB45_2221:
	s_movk_i32 s4, 0x80
	v_cmp_eq_u16_sdwa s[12:13], v6, s4 src0_sel:BYTE_0 src1_sel:DWORD
	s_mov_b64 s[4:5], -1
                                        ; implicit-def: $sgpr10
	s_and_saveexec_b64 s[8:9], s[12:13]
; %bb.2222:
	s_mov_b32 s10, 0x7f800001
	s_xor_b64 s[4:5], exec, -1
; %bb.2223:
	s_or_b64 exec, exec, s[8:9]
	s_and_b64 s[4:5], s[4:5], exec
	s_or_saveexec_b64 s[6:7], s[6:7]
	v_mov_b32_e32 v10, s10
	s_xor_b64 exec, exec, s[6:7]
	s_cbranch_execz .LBB45_174
.LBB45_2224:
	v_mov_b32_e32 v10, 0
	v_cmp_ne_u16_sdwa s[8:9], v6, v10 src0_sel:BYTE_0 src1_sel:DWORD
	s_andn2_b64 s[4:5], s[4:5], exec
	s_and_b64 s[8:9], s[8:9], exec
	s_or_b64 s[4:5], s[4:5], s[8:9]
	s_or_b64 exec, exec, s[6:7]
	s_and_saveexec_b64 s[6:7], s[4:5]
	s_cbranch_execnz .LBB45_175
	s_branch .LBB45_176
.LBB45_2225:
	s_movk_i32 s4, 0x80
	v_cmp_eq_u16_e32 vcc, s4, v6
	s_mov_b64 s[4:5], -1
                                        ; implicit-def: $sgpr10
	s_and_saveexec_b64 s[8:9], vcc
; %bb.2226:
	s_mov_b32 s10, 0x7f800001
	s_xor_b64 s[4:5], exec, -1
; %bb.2227:
	s_or_b64 exec, exec, s[8:9]
	s_and_b64 s[4:5], s[4:5], exec
                                        ; implicit-def: $vgpr6
	s_or_saveexec_b64 s[6:7], s[6:7]
	v_mov_b32_e32 v2, s10
	s_xor_b64 exec, exec, s[6:7]
	s_cbranch_execz .LBB45_178
.LBB45_2228:
	v_cmp_ne_u16_e32 vcc, 0, v6
	s_andn2_b64 s[4:5], s[4:5], exec
	s_and_b64 s[8:9], vcc, exec
	v_mov_b32_e32 v2, 0
	s_or_b64 s[4:5], s[4:5], s[8:9]
	s_or_b64 exec, exec, s[6:7]
	s_and_saveexec_b64 s[6:7], s[4:5]
	s_cbranch_execnz .LBB45_179
	s_branch .LBB45_180
.LBB45_2229:
	s_movk_i32 s4, 0x80
	v_cmp_eq_u16_e32 vcc, s4, v6
	s_mov_b64 s[4:5], -1
                                        ; implicit-def: $sgpr10
	s_and_saveexec_b64 s[8:9], vcc
; %bb.2230:
	s_mov_b32 s10, 0x7f800001
	s_xor_b64 s[4:5], exec, -1
; %bb.2231:
	s_or_b64 exec, exec, s[8:9]
	s_and_b64 s[4:5], s[4:5], exec
                                        ; implicit-def: $vgpr6
	s_or_saveexec_b64 s[6:7], s[6:7]
	v_mov_b32_e32 v10, s10
	s_xor_b64 exec, exec, s[6:7]
	s_cbranch_execz .LBB45_182
.LBB45_2232:
	v_cmp_ne_u16_e32 vcc, 0, v6
	s_andn2_b64 s[4:5], s[4:5], exec
	s_and_b64 s[8:9], vcc, exec
	v_mov_b32_e32 v10, 0
	s_or_b64 s[4:5], s[4:5], s[8:9]
	s_or_b64 exec, exec, s[6:7]
	s_and_saveexec_b64 s[6:7], s[4:5]
	s_cbranch_execnz .LBB45_183
	s_branch .LBB45_184
.LBB45_2233:
	s_movk_i32 s4, 0x80
	v_cmp_eq_u16_sdwa s[12:13], v7, s4 src0_sel:BYTE_3 src1_sel:DWORD
	s_mov_b64 s[4:5], -1
                                        ; implicit-def: $sgpr10
	s_and_saveexec_b64 s[8:9], s[12:13]
; %bb.2234:
	s_mov_b32 s10, 0x7f800001
	s_xor_b64 s[4:5], exec, -1
; %bb.2235:
	s_or_b64 exec, exec, s[8:9]
	s_and_b64 s[4:5], s[4:5], exec
	s_or_saveexec_b64 s[6:7], s[6:7]
	v_mov_b32_e32 v2, s10
	s_xor_b64 exec, exec, s[6:7]
	s_cbranch_execz .LBB45_186
.LBB45_2236:
	v_mov_b32_e32 v2, 0
	v_cmp_ne_u16_sdwa s[8:9], v7, v2 src0_sel:BYTE_3 src1_sel:DWORD
	s_andn2_b64 s[4:5], s[4:5], exec
	s_and_b64 s[8:9], s[8:9], exec
	s_or_b64 s[4:5], s[4:5], s[8:9]
	s_or_b64 exec, exec, s[6:7]
	s_and_saveexec_b64 s[6:7], s[4:5]
	s_cbranch_execnz .LBB45_187
	s_branch .LBB45_188
.LBB45_2237:
	s_movk_i32 s4, 0x80
	v_cmp_eq_u16_sdwa s[12:13], v3, s4 src0_sel:BYTE_3 src1_sel:DWORD
	s_mov_b64 s[4:5], -1
                                        ; implicit-def: $sgpr10
	s_and_saveexec_b64 s[8:9], s[12:13]
; %bb.2238:
	s_mov_b32 s10, 0x7f800001
	s_xor_b64 s[4:5], exec, -1
; %bb.2239:
	s_or_b64 exec, exec, s[8:9]
	s_and_b64 s[4:5], s[4:5], exec
	s_or_saveexec_b64 s[6:7], s[6:7]
	v_mov_b32_e32 v6, s10
	s_xor_b64 exec, exec, s[6:7]
	s_cbranch_execz .LBB45_190
.LBB45_2240:
	v_mov_b32_e32 v6, 0
	v_cmp_ne_u16_sdwa s[8:9], v3, v6 src0_sel:BYTE_3 src1_sel:DWORD
	s_andn2_b64 s[4:5], s[4:5], exec
	s_and_b64 s[8:9], s[8:9], exec
	s_or_b64 s[4:5], s[4:5], s[8:9]
	s_or_b64 exec, exec, s[6:7]
	s_and_saveexec_b64 s[6:7], s[4:5]
	s_cbranch_execnz .LBB45_191
	s_branch .LBB45_192
.LBB45_2241:
	s_movk_i32 s4, 0x80
	v_cmp_eq_u16_sdwa s[12:13], v8, s4 src0_sel:BYTE_0 src1_sel:DWORD
	s_mov_b64 s[4:5], -1
                                        ; implicit-def: $sgpr10
	s_and_saveexec_b64 s[8:9], s[12:13]
; %bb.2242:
	s_mov_b32 s10, 0x7f800001
	s_xor_b64 s[4:5], exec, -1
; %bb.2243:
	s_or_b64 exec, exec, s[8:9]
	s_and_b64 s[4:5], s[4:5], exec
	s_or_saveexec_b64 s[6:7], s[6:7]
	v_mov_b32_e32 v2, s10
	s_xor_b64 exec, exec, s[6:7]
	s_cbranch_execz .LBB45_194
.LBB45_2244:
	v_mov_b32_e32 v2, 0
	v_cmp_ne_u16_sdwa s[8:9], v8, v2 src0_sel:BYTE_0 src1_sel:DWORD
	s_andn2_b64 s[4:5], s[4:5], exec
	s_and_b64 s[8:9], s[8:9], exec
	s_or_b64 s[4:5], s[4:5], s[8:9]
	s_or_b64 exec, exec, s[6:7]
	s_and_saveexec_b64 s[6:7], s[4:5]
	s_cbranch_execnz .LBB45_195
	s_branch .LBB45_196
.LBB45_2245:
	s_movk_i32 s4, 0x80
	v_cmp_eq_u16_sdwa s[12:13], v4, s4 src0_sel:BYTE_0 src1_sel:DWORD
	s_mov_b64 s[4:5], -1
                                        ; implicit-def: $sgpr10
	s_and_saveexec_b64 s[8:9], s[12:13]
; %bb.2246:
	s_mov_b32 s10, 0x7f800001
	s_xor_b64 s[4:5], exec, -1
; %bb.2247:
	s_or_b64 exec, exec, s[8:9]
	s_and_b64 s[4:5], s[4:5], exec
	s_or_saveexec_b64 s[6:7], s[6:7]
	v_mov_b32_e32 v3, s10
	s_xor_b64 exec, exec, s[6:7]
	s_cbranch_execz .LBB45_198
.LBB45_2248:
	v_mov_b32_e32 v3, 0
	v_cmp_ne_u16_sdwa s[8:9], v4, v3 src0_sel:BYTE_0 src1_sel:DWORD
	s_andn2_b64 s[4:5], s[4:5], exec
	s_and_b64 s[8:9], s[8:9], exec
	s_or_b64 s[4:5], s[4:5], s[8:9]
	s_or_b64 exec, exec, s[6:7]
	s_and_saveexec_b64 s[6:7], s[4:5]
	s_cbranch_execnz .LBB45_199
	s_branch .LBB45_200
.LBB45_2249:
	s_movk_i32 s4, 0x80
	v_cmp_eq_u16_sdwa s[12:13], v3, s4 src0_sel:BYTE_0 src1_sel:DWORD
	s_mov_b64 s[4:5], -1
                                        ; implicit-def: $sgpr10
	s_and_saveexec_b64 s[8:9], s[12:13]
; %bb.2250:
	s_mov_b32 s10, 0x7f800001
	s_xor_b64 s[4:5], exec, -1
; %bb.2251:
	s_or_b64 exec, exec, s[8:9]
	s_and_b64 s[4:5], s[4:5], exec
	s_or_saveexec_b64 s[6:7], s[6:7]
	v_mov_b32_e32 v2, s10
	s_xor_b64 exec, exec, s[6:7]
	s_cbranch_execz .LBB45_202
.LBB45_2252:
	v_mov_b32_e32 v2, 0
	v_cmp_ne_u16_sdwa s[8:9], v3, v2 src0_sel:BYTE_0 src1_sel:DWORD
	s_andn2_b64 s[4:5], s[4:5], exec
	s_and_b64 s[8:9], s[8:9], exec
	s_or_b64 s[4:5], s[4:5], s[8:9]
	s_or_b64 exec, exec, s[6:7]
	s_and_saveexec_b64 s[6:7], s[4:5]
	s_cbranch_execnz .LBB45_203
	s_branch .LBB45_204
.LBB45_2253:
	s_movk_i32 s4, 0x80
	v_cmp_eq_u16_sdwa s[12:13], v3, s4 src0_sel:BYTE_0 src1_sel:DWORD
	s_mov_b64 s[4:5], -1
                                        ; implicit-def: $sgpr10
	s_and_saveexec_b64 s[8:9], s[12:13]
; %bb.2254:
	s_mov_b32 s10, 0x7f800001
	s_xor_b64 s[4:5], exec, -1
; %bb.2255:
	s_or_b64 exec, exec, s[8:9]
	s_and_b64 s[4:5], s[4:5], exec
	s_or_saveexec_b64 s[6:7], s[6:7]
	v_mov_b32_e32 v6, s10
	s_xor_b64 exec, exec, s[6:7]
	s_cbranch_execz .LBB45_206
.LBB45_2256:
	v_mov_b32_e32 v6, 0
	v_cmp_ne_u16_sdwa s[8:9], v3, v6 src0_sel:BYTE_0 src1_sel:DWORD
	s_andn2_b64 s[4:5], s[4:5], exec
	s_and_b64 s[8:9], s[8:9], exec
	s_or_b64 s[4:5], s[4:5], s[8:9]
	s_or_b64 exec, exec, s[6:7]
	s_and_saveexec_b64 s[6:7], s[4:5]
	s_cbranch_execnz .LBB45_207
	s_branch .LBB45_208
.LBB45_2257:
	s_movk_i32 s4, 0x80
	v_cmp_eq_u16_e32 vcc, s4, v3
	s_mov_b64 s[4:5], -1
                                        ; implicit-def: $sgpr10
	s_and_saveexec_b64 s[8:9], vcc
; %bb.2258:
	s_mov_b32 s10, 0x7f800001
	s_xor_b64 s[4:5], exec, -1
; %bb.2259:
	s_or_b64 exec, exec, s[8:9]
	s_and_b64 s[4:5], s[4:5], exec
                                        ; implicit-def: $vgpr3
	s_or_saveexec_b64 s[6:7], s[6:7]
	v_mov_b32_e32 v2, s10
	s_xor_b64 exec, exec, s[6:7]
	s_cbranch_execz .LBB45_210
.LBB45_2260:
	v_cmp_ne_u16_e32 vcc, 0, v3
	s_andn2_b64 s[4:5], s[4:5], exec
	s_and_b64 s[8:9], vcc, exec
	v_mov_b32_e32 v2, 0
	s_or_b64 s[4:5], s[4:5], s[8:9]
	s_or_b64 exec, exec, s[6:7]
	s_and_saveexec_b64 s[6:7], s[4:5]
	s_cbranch_execnz .LBB45_211
	s_branch .LBB45_212
.LBB45_2261:
	s_movk_i32 s4, 0x80
	v_cmp_eq_u16_e32 vcc, s4, v3
	s_mov_b64 s[4:5], -1
                                        ; implicit-def: $sgpr10
	s_and_saveexec_b64 s[8:9], vcc
; %bb.2262:
	s_mov_b32 s10, 0x7f800001
	s_xor_b64 s[4:5], exec, -1
; %bb.2263:
	s_or_b64 exec, exec, s[8:9]
	s_and_b64 s[4:5], s[4:5], exec
                                        ; implicit-def: $vgpr3
	s_or_saveexec_b64 s[6:7], s[6:7]
	v_mov_b32_e32 v6, s10
	s_xor_b64 exec, exec, s[6:7]
	s_cbranch_execz .LBB45_214
.LBB45_2264:
	v_cmp_ne_u16_e32 vcc, 0, v3
	s_andn2_b64 s[4:5], s[4:5], exec
	s_and_b64 s[8:9], vcc, exec
	v_mov_b32_e32 v6, 0
	s_or_b64 s[4:5], s[4:5], s[8:9]
	s_or_b64 exec, exec, s[6:7]
	s_and_saveexec_b64 s[6:7], s[4:5]
	s_cbranch_execnz .LBB45_215
	s_branch .LBB45_216
.LBB45_2265:
	s_movk_i32 s4, 0x80
	v_cmp_eq_u16_sdwa s[12:13], v8, s4 src0_sel:BYTE_3 src1_sel:DWORD
	s_mov_b64 s[4:5], -1
                                        ; implicit-def: $sgpr10
	s_and_saveexec_b64 s[8:9], s[12:13]
; %bb.2266:
	s_mov_b32 s10, 0x7f800001
	s_xor_b64 s[4:5], exec, -1
; %bb.2267:
	s_or_b64 exec, exec, s[8:9]
	s_and_b64 s[4:5], s[4:5], exec
	s_or_saveexec_b64 s[6:7], s[6:7]
	v_mov_b32_e32 v2, s10
	s_xor_b64 exec, exec, s[6:7]
	s_cbranch_execz .LBB45_218
.LBB45_2268:
	v_mov_b32_e32 v2, 0
	v_cmp_ne_u16_sdwa s[8:9], v8, v2 src0_sel:BYTE_3 src1_sel:DWORD
	s_andn2_b64 s[4:5], s[4:5], exec
	s_and_b64 s[8:9], s[8:9], exec
	s_or_b64 s[4:5], s[4:5], s[8:9]
	s_or_b64 exec, exec, s[6:7]
	s_and_saveexec_b64 s[6:7], s[4:5]
	s_cbranch_execnz .LBB45_219
	s_branch .LBB45_220
.LBB45_2269:
	s_movk_i32 s4, 0x80
	v_cmp_eq_u16_sdwa s[12:13], v4, s4 src0_sel:BYTE_3 src1_sel:DWORD
	s_mov_b64 s[4:5], -1
                                        ; implicit-def: $sgpr10
	s_and_saveexec_b64 s[8:9], s[12:13]
; %bb.2270:
	s_mov_b32 s10, 0x7f800001
	s_xor_b64 s[4:5], exec, -1
; %bb.2271:
	s_or_b64 exec, exec, s[8:9]
	s_and_b64 s[4:5], s[4:5], exec
	s_or_saveexec_b64 s[6:7], s[6:7]
	v_mov_b32_e32 v3, s10
	s_xor_b64 exec, exec, s[6:7]
	s_cbranch_execz .LBB45_222
.LBB45_2272:
	v_mov_b32_e32 v3, 0
	v_cmp_ne_u16_sdwa s[8:9], v4, v3 src0_sel:BYTE_3 src1_sel:DWORD
	s_andn2_b64 s[4:5], s[4:5], exec
	s_and_b64 s[8:9], s[8:9], exec
	s_or_b64 s[4:5], s[4:5], s[8:9]
	s_or_b64 exec, exec, s[6:7]
	s_and_saveexec_b64 s[6:7], s[4:5]
	s_cbranch_execnz .LBB45_223
	s_branch .LBB45_224
.LBB45_2273:
	s_movk_i32 s4, 0x80
	v_cmp_eq_u16_sdwa s[12:13], v9, s4 src0_sel:BYTE_0 src1_sel:DWORD
	s_mov_b64 s[4:5], -1
                                        ; implicit-def: $sgpr10
	s_and_saveexec_b64 s[8:9], s[12:13]
; %bb.2274:
	s_mov_b32 s10, 0x7f800001
	s_xor_b64 s[4:5], exec, -1
; %bb.2275:
	s_or_b64 exec, exec, s[8:9]
	s_and_b64 s[4:5], s[4:5], exec
	s_or_saveexec_b64 s[6:7], s[6:7]
	v_mov_b32_e32 v2, s10
	s_xor_b64 exec, exec, s[6:7]
	s_cbranch_execz .LBB45_226
.LBB45_2276:
	v_mov_b32_e32 v2, 0
	v_cmp_ne_u16_sdwa s[8:9], v9, v2 src0_sel:BYTE_0 src1_sel:DWORD
	s_andn2_b64 s[4:5], s[4:5], exec
	s_and_b64 s[8:9], s[8:9], exec
	s_or_b64 s[4:5], s[4:5], s[8:9]
	s_or_b64 exec, exec, s[6:7]
	s_and_saveexec_b64 s[6:7], s[4:5]
	s_cbranch_execnz .LBB45_227
	s_branch .LBB45_228
.LBB45_2277:
	s_movk_i32 s4, 0x80
	v_cmp_eq_u16_sdwa s[12:13], v5, s4 src0_sel:BYTE_0 src1_sel:DWORD
	s_mov_b64 s[4:5], -1
                                        ; implicit-def: $sgpr10
	s_and_saveexec_b64 s[8:9], s[12:13]
; %bb.2278:
	s_mov_b32 s10, 0x7f800001
	s_xor_b64 s[4:5], exec, -1
; %bb.2279:
	s_or_b64 exec, exec, s[8:9]
	s_and_b64 s[4:5], s[4:5], exec
	s_or_saveexec_b64 s[6:7], s[6:7]
	v_mov_b32_e32 v3, s10
	s_xor_b64 exec, exec, s[6:7]
	s_cbranch_execz .LBB45_230
.LBB45_2280:
	v_mov_b32_e32 v3, 0
	v_cmp_ne_u16_sdwa s[8:9], v5, v3 src0_sel:BYTE_0 src1_sel:DWORD
	s_andn2_b64 s[4:5], s[4:5], exec
	s_and_b64 s[8:9], s[8:9], exec
	s_or_b64 s[4:5], s[4:5], s[8:9]
	s_or_b64 exec, exec, s[6:7]
	s_and_saveexec_b64 s[6:7], s[4:5]
	s_cbranch_execnz .LBB45_231
	s_branch .LBB45_232
.LBB45_2281:
	s_movk_i32 s4, 0x80
	v_cmp_eq_u16_sdwa s[12:13], v3, s4 src0_sel:BYTE_0 src1_sel:DWORD
	s_mov_b64 s[4:5], -1
                                        ; implicit-def: $sgpr10
	s_and_saveexec_b64 s[8:9], s[12:13]
; %bb.2282:
	s_mov_b32 s10, 0x7f800001
	s_xor_b64 s[4:5], exec, -1
; %bb.2283:
	s_or_b64 exec, exec, s[8:9]
	s_and_b64 s[4:5], s[4:5], exec
	s_or_saveexec_b64 s[6:7], s[6:7]
	v_mov_b32_e32 v2, s10
	s_xor_b64 exec, exec, s[6:7]
	s_cbranch_execz .LBB45_234
.LBB45_2284:
	v_mov_b32_e32 v2, 0
	v_cmp_ne_u16_sdwa s[8:9], v3, v2 src0_sel:BYTE_0 src1_sel:DWORD
	s_andn2_b64 s[4:5], s[4:5], exec
	s_and_b64 s[8:9], s[8:9], exec
	s_or_b64 s[4:5], s[4:5], s[8:9]
	s_or_b64 exec, exec, s[6:7]
	s_and_saveexec_b64 s[6:7], s[4:5]
	s_cbranch_execnz .LBB45_235
	s_branch .LBB45_236
.LBB45_2285:
	s_movk_i32 s4, 0x80
	v_cmp_eq_u16_sdwa s[12:13], v3, s4 src0_sel:BYTE_0 src1_sel:DWORD
	s_mov_b64 s[4:5], -1
                                        ; implicit-def: $sgpr10
	s_and_saveexec_b64 s[8:9], s[12:13]
; %bb.2286:
	s_mov_b32 s10, 0x7f800001
	s_xor_b64 s[4:5], exec, -1
; %bb.2287:
	s_or_b64 exec, exec, s[8:9]
	s_and_b64 s[4:5], s[4:5], exec
	s_or_saveexec_b64 s[6:7], s[6:7]
	v_mov_b32_e32 v4, s10
	s_xor_b64 exec, exec, s[6:7]
	s_cbranch_execz .LBB45_238
.LBB45_2288:
	v_mov_b32_e32 v4, 0
	v_cmp_ne_u16_sdwa s[8:9], v3, v4 src0_sel:BYTE_0 src1_sel:DWORD
	s_andn2_b64 s[4:5], s[4:5], exec
	s_and_b64 s[8:9], s[8:9], exec
	s_or_b64 s[4:5], s[4:5], s[8:9]
	s_or_b64 exec, exec, s[6:7]
	s_and_saveexec_b64 s[6:7], s[4:5]
	s_cbranch_execnz .LBB45_239
	s_branch .LBB45_240
.LBB45_2289:
	s_movk_i32 s4, 0x80
	v_cmp_eq_u16_e32 vcc, s4, v3
	s_mov_b64 s[4:5], -1
                                        ; implicit-def: $sgpr10
	s_and_saveexec_b64 s[8:9], vcc
; %bb.2290:
	s_mov_b32 s10, 0x7f800001
	s_xor_b64 s[4:5], exec, -1
; %bb.2291:
	s_or_b64 exec, exec, s[8:9]
	s_and_b64 s[4:5], s[4:5], exec
                                        ; implicit-def: $vgpr3
	s_or_saveexec_b64 s[6:7], s[6:7]
	v_mov_b32_e32 v2, s10
	s_xor_b64 exec, exec, s[6:7]
	s_cbranch_execz .LBB45_242
.LBB45_2292:
	v_cmp_ne_u16_e32 vcc, 0, v3
	s_andn2_b64 s[4:5], s[4:5], exec
	s_and_b64 s[8:9], vcc, exec
	v_mov_b32_e32 v2, 0
	s_or_b64 s[4:5], s[4:5], s[8:9]
	s_or_b64 exec, exec, s[6:7]
	s_and_saveexec_b64 s[6:7], s[4:5]
	s_cbranch_execnz .LBB45_243
	s_branch .LBB45_244
.LBB45_2293:
	s_movk_i32 s4, 0x80
	v_cmp_eq_u16_e32 vcc, s4, v3
	s_mov_b64 s[4:5], -1
                                        ; implicit-def: $sgpr10
	s_and_saveexec_b64 s[8:9], vcc
; %bb.2294:
	s_mov_b32 s10, 0x7f800001
	s_xor_b64 s[4:5], exec, -1
; %bb.2295:
	s_or_b64 exec, exec, s[8:9]
	s_and_b64 s[4:5], s[4:5], exec
                                        ; implicit-def: $vgpr3
	s_or_saveexec_b64 s[6:7], s[6:7]
	v_mov_b32_e32 v4, s10
	s_xor_b64 exec, exec, s[6:7]
	s_cbranch_execz .LBB45_246
.LBB45_2296:
	v_cmp_ne_u16_e32 vcc, 0, v3
	s_andn2_b64 s[4:5], s[4:5], exec
	s_and_b64 s[8:9], vcc, exec
	v_mov_b32_e32 v4, 0
	s_or_b64 s[4:5], s[4:5], s[8:9]
	s_or_b64 exec, exec, s[6:7]
	s_and_saveexec_b64 s[6:7], s[4:5]
	s_cbranch_execnz .LBB45_247
	s_branch .LBB45_248
.LBB45_2297:
	s_movk_i32 s4, 0x80
	v_cmp_eq_u16_sdwa s[12:13], v9, s4 src0_sel:BYTE_3 src1_sel:DWORD
	s_mov_b64 s[4:5], -1
                                        ; implicit-def: $sgpr10
	s_and_saveexec_b64 s[8:9], s[12:13]
; %bb.2298:
	s_mov_b32 s10, 0x7f800001
	s_xor_b64 s[4:5], exec, -1
; %bb.2299:
	s_or_b64 exec, exec, s[8:9]
	s_and_b64 s[4:5], s[4:5], exec
	s_or_saveexec_b64 s[6:7], s[6:7]
	v_mov_b32_e32 v2, s10
	s_xor_b64 exec, exec, s[6:7]
	s_cbranch_execz .LBB45_250
.LBB45_2300:
	v_mov_b32_e32 v2, 0
	v_cmp_ne_u16_sdwa s[8:9], v9, v2 src0_sel:BYTE_3 src1_sel:DWORD
	s_andn2_b64 s[4:5], s[4:5], exec
	s_and_b64 s[8:9], s[8:9], exec
	s_or_b64 s[4:5], s[4:5], s[8:9]
	s_or_b64 exec, exec, s[6:7]
	s_and_saveexec_b64 s[6:7], s[4:5]
	s_cbranch_execnz .LBB45_251
	s_branch .LBB45_252
.LBB45_2301:
	s_movk_i32 s4, 0x80
	v_cmp_eq_u16_sdwa s[12:13], v5, s4 src0_sel:BYTE_3 src1_sel:DWORD
	s_mov_b64 s[4:5], -1
                                        ; implicit-def: $sgpr10
	s_and_saveexec_b64 s[8:9], s[12:13]
; %bb.2302:
	s_mov_b32 s10, 0x7f800001
	s_xor_b64 s[4:5], exec, -1
; %bb.2303:
	s_or_b64 exec, exec, s[8:9]
	s_and_b64 s[4:5], s[4:5], exec
	s_or_saveexec_b64 s[6:7], s[6:7]
	v_mov_b32_e32 v3, s10
	s_xor_b64 exec, exec, s[6:7]
	s_cbranch_execz .LBB45_254
.LBB45_2304:
	v_mov_b32_e32 v3, 0
	v_cmp_ne_u16_sdwa s[8:9], v5, v3 src0_sel:BYTE_3 src1_sel:DWORD
	s_andn2_b64 s[4:5], s[4:5], exec
	s_and_b64 s[8:9], s[8:9], exec
	s_or_b64 s[4:5], s[4:5], s[8:9]
	s_or_b64 exec, exec, s[6:7]
	s_and_saveexec_b64 s[6:7], s[4:5]
	s_cbranch_execnz .LBB45_255
	s_branch .LBB45_256
.LBB45_2305:
	s_movk_i32 s4, 0x80
	v_cmp_eq_u16_sdwa s[12:13], v14, s4 src0_sel:BYTE_0 src1_sel:DWORD
	s_mov_b64 s[4:5], -1
                                        ; implicit-def: $sgpr10
	s_and_saveexec_b64 s[8:9], s[12:13]
; %bb.2306:
	s_mov_b32 s10, 0x7f800001
	s_xor_b64 s[4:5], exec, -1
; %bb.2307:
	s_or_b64 exec, exec, s[8:9]
	s_and_b64 s[4:5], s[4:5], exec
	s_or_saveexec_b64 s[6:7], s[6:7]
	v_mov_b32_e32 v20, s10
	s_xor_b64 exec, exec, s[6:7]
	s_cbranch_execz .LBB45_258
.LBB45_2308:
	v_mov_b32_e32 v20, 0
	v_cmp_ne_u16_sdwa s[8:9], v14, v20 src0_sel:BYTE_0 src1_sel:DWORD
	s_andn2_b64 s[4:5], s[4:5], exec
	s_and_b64 s[8:9], s[8:9], exec
	s_or_b64 s[4:5], s[4:5], s[8:9]
	s_or_b64 exec, exec, s[6:7]
	s_and_saveexec_b64 s[6:7], s[4:5]
	s_cbranch_execnz .LBB45_259
	s_branch .LBB45_260
.LBB45_2309:
	s_movk_i32 s4, 0x80
	v_cmp_eq_u16_sdwa s[12:13], v10, s4 src0_sel:BYTE_0 src1_sel:DWORD
	s_mov_b64 s[4:5], -1
                                        ; implicit-def: $sgpr10
	s_and_saveexec_b64 s[8:9], s[12:13]
; %bb.2310:
	s_mov_b32 s10, 0x7f800001
	s_xor_b64 s[4:5], exec, -1
; %bb.2311:
	s_or_b64 exec, exec, s[8:9]
	s_and_b64 s[4:5], s[4:5], exec
	s_or_saveexec_b64 s[6:7], s[6:7]
	v_mov_b32_e32 v21, s10
	s_xor_b64 exec, exec, s[6:7]
	s_cbranch_execz .LBB45_262
.LBB45_2312:
	v_mov_b32_e32 v21, 0
	v_cmp_ne_u16_sdwa s[8:9], v10, v21 src0_sel:BYTE_0 src1_sel:DWORD
	s_andn2_b64 s[4:5], s[4:5], exec
	s_and_b64 s[8:9], s[8:9], exec
	s_or_b64 s[4:5], s[4:5], s[8:9]
	s_or_b64 exec, exec, s[6:7]
	s_and_saveexec_b64 s[6:7], s[4:5]
	s_cbranch_execnz .LBB45_263
	s_branch .LBB45_264
.LBB45_2313:
	s_movk_i32 s4, 0x80
	v_cmp_eq_u16_sdwa s[12:13], v21, s4 src0_sel:BYTE_0 src1_sel:DWORD
	s_mov_b64 s[4:5], -1
                                        ; implicit-def: $sgpr10
	s_and_saveexec_b64 s[8:9], s[12:13]
; %bb.2314:
	s_mov_b32 s10, 0x7f800001
	s_xor_b64 s[4:5], exec, -1
; %bb.2315:
	s_or_b64 exec, exec, s[8:9]
	s_and_b64 s[4:5], s[4:5], exec
	s_or_saveexec_b64 s[6:7], s[6:7]
	v_mov_b32_e32 v20, s10
	s_xor_b64 exec, exec, s[6:7]
	s_cbranch_execz .LBB45_266
.LBB45_2316:
	v_mov_b32_e32 v20, 0
	v_cmp_ne_u16_sdwa s[8:9], v21, v20 src0_sel:BYTE_0 src1_sel:DWORD
	s_andn2_b64 s[4:5], s[4:5], exec
	s_and_b64 s[8:9], s[8:9], exec
	s_or_b64 s[4:5], s[4:5], s[8:9]
	s_or_b64 exec, exec, s[6:7]
	s_and_saveexec_b64 s[6:7], s[4:5]
	s_cbranch_execnz .LBB45_267
	s_branch .LBB45_268
.LBB45_2317:
	s_movk_i32 s4, 0x80
	v_cmp_eq_u16_sdwa s[12:13], v21, s4 src0_sel:BYTE_0 src1_sel:DWORD
	s_mov_b64 s[4:5], -1
                                        ; implicit-def: $sgpr10
	s_and_saveexec_b64 s[8:9], s[12:13]
; %bb.2318:
	s_mov_b32 s10, 0x7f800001
	s_xor_b64 s[4:5], exec, -1
; %bb.2319:
	s_or_b64 exec, exec, s[8:9]
	s_and_b64 s[4:5], s[4:5], exec
	s_or_saveexec_b64 s[6:7], s[6:7]
	v_mov_b32_e32 v22, s10
	s_xor_b64 exec, exec, s[6:7]
	s_cbranch_execz .LBB45_270
.LBB45_2320:
	v_mov_b32_e32 v22, 0
	v_cmp_ne_u16_sdwa s[8:9], v21, v22 src0_sel:BYTE_0 src1_sel:DWORD
	s_andn2_b64 s[4:5], s[4:5], exec
	s_and_b64 s[8:9], s[8:9], exec
	s_or_b64 s[4:5], s[4:5], s[8:9]
	s_or_b64 exec, exec, s[6:7]
	s_and_saveexec_b64 s[6:7], s[4:5]
	s_cbranch_execnz .LBB45_271
	s_branch .LBB45_272
.LBB45_2321:
	s_movk_i32 s4, 0x80
	v_cmp_eq_u16_e32 vcc, s4, v21
	s_mov_b64 s[4:5], -1
                                        ; implicit-def: $sgpr10
	s_and_saveexec_b64 s[8:9], vcc
; %bb.2322:
	s_mov_b32 s10, 0x7f800001
	s_xor_b64 s[4:5], exec, -1
; %bb.2323:
	s_or_b64 exec, exec, s[8:9]
	s_and_b64 s[4:5], s[4:5], exec
                                        ; implicit-def: $vgpr21
	s_or_saveexec_b64 s[6:7], s[6:7]
	v_mov_b32_e32 v20, s10
	s_xor_b64 exec, exec, s[6:7]
	s_cbranch_execz .LBB45_274
.LBB45_2324:
	v_cmp_ne_u16_e32 vcc, 0, v21
	s_andn2_b64 s[4:5], s[4:5], exec
	s_and_b64 s[8:9], vcc, exec
	v_mov_b32_e32 v20, 0
	s_or_b64 s[4:5], s[4:5], s[8:9]
	s_or_b64 exec, exec, s[6:7]
	s_and_saveexec_b64 s[6:7], s[4:5]
	s_cbranch_execnz .LBB45_275
	s_branch .LBB45_276
.LBB45_2325:
	s_movk_i32 s4, 0x80
	v_cmp_eq_u16_e32 vcc, s4, v21
	s_mov_b64 s[4:5], -1
                                        ; implicit-def: $sgpr10
	s_and_saveexec_b64 s[8:9], vcc
; %bb.2326:
	s_mov_b32 s10, 0x7f800001
	s_xor_b64 s[4:5], exec, -1
; %bb.2327:
	s_or_b64 exec, exec, s[8:9]
	s_and_b64 s[4:5], s[4:5], exec
                                        ; implicit-def: $vgpr21
	s_or_saveexec_b64 s[6:7], s[6:7]
	v_mov_b32_e32 v22, s10
	s_xor_b64 exec, exec, s[6:7]
	s_cbranch_execz .LBB45_278
.LBB45_2328:
	v_cmp_ne_u16_e32 vcc, 0, v21
	s_andn2_b64 s[4:5], s[4:5], exec
	s_and_b64 s[8:9], vcc, exec
	v_mov_b32_e32 v22, 0
	s_or_b64 s[4:5], s[4:5], s[8:9]
	s_or_b64 exec, exec, s[6:7]
	s_and_saveexec_b64 s[6:7], s[4:5]
	s_cbranch_execnz .LBB45_279
	s_branch .LBB45_280
.LBB45_2329:
	s_movk_i32 s4, 0x80
	v_cmp_eq_u16_sdwa s[12:13], v14, s4 src0_sel:BYTE_3 src1_sel:DWORD
	s_mov_b64 s[4:5], -1
                                        ; implicit-def: $sgpr10
	s_and_saveexec_b64 s[8:9], s[12:13]
; %bb.2330:
	s_mov_b32 s10, 0x7f800001
	s_xor_b64 s[4:5], exec, -1
; %bb.2331:
	s_or_b64 exec, exec, s[8:9]
	s_and_b64 s[4:5], s[4:5], exec
	s_or_saveexec_b64 s[6:7], s[6:7]
	v_mov_b32_e32 v20, s10
	s_xor_b64 exec, exec, s[6:7]
	s_cbranch_execz .LBB45_282
.LBB45_2332:
	v_mov_b32_e32 v20, 0
	v_cmp_ne_u16_sdwa s[8:9], v14, v20 src0_sel:BYTE_3 src1_sel:DWORD
	s_andn2_b64 s[4:5], s[4:5], exec
	s_and_b64 s[8:9], s[8:9], exec
	s_or_b64 s[4:5], s[4:5], s[8:9]
	s_or_b64 exec, exec, s[6:7]
	s_and_saveexec_b64 s[6:7], s[4:5]
	s_cbranch_execnz .LBB45_283
	s_branch .LBB45_284
.LBB45_2333:
	s_movk_i32 s4, 0x80
	v_cmp_eq_u16_sdwa s[12:13], v10, s4 src0_sel:BYTE_3 src1_sel:DWORD
	s_mov_b64 s[4:5], -1
                                        ; implicit-def: $sgpr10
	s_and_saveexec_b64 s[8:9], s[12:13]
; %bb.2334:
	s_mov_b32 s10, 0x7f800001
	s_xor_b64 s[4:5], exec, -1
; %bb.2335:
	s_or_b64 exec, exec, s[8:9]
	s_and_b64 s[4:5], s[4:5], exec
	s_or_saveexec_b64 s[6:7], s[6:7]
	v_mov_b32_e32 v14, s10
	s_xor_b64 exec, exec, s[6:7]
	s_cbranch_execz .LBB45_286
.LBB45_2336:
	v_mov_b32_e32 v14, 0
	v_cmp_ne_u16_sdwa s[8:9], v10, v14 src0_sel:BYTE_3 src1_sel:DWORD
	s_andn2_b64 s[4:5], s[4:5], exec
	s_and_b64 s[8:9], s[8:9], exec
	s_or_b64 s[4:5], s[4:5], s[8:9]
	s_or_b64 exec, exec, s[6:7]
	s_and_saveexec_b64 s[6:7], s[4:5]
	s_cbranch_execnz .LBB45_287
	s_branch .LBB45_288
.LBB45_2337:
	s_movk_i32 s4, 0x80
	v_cmp_eq_u16_sdwa s[12:13], v15, s4 src0_sel:BYTE_0 src1_sel:DWORD
	s_mov_b64 s[4:5], -1
                                        ; implicit-def: $sgpr10
	s_and_saveexec_b64 s[8:9], s[12:13]
; %bb.2338:
	s_mov_b32 s10, 0x7f800001
	s_xor_b64 s[4:5], exec, -1
; %bb.2339:
	s_or_b64 exec, exec, s[8:9]
	s_and_b64 s[4:5], s[4:5], exec
	s_or_saveexec_b64 s[6:7], s[6:7]
	v_mov_b32_e32 v10, s10
	s_xor_b64 exec, exec, s[6:7]
	s_cbranch_execz .LBB45_290
.LBB45_2340:
	v_mov_b32_e32 v10, 0
	v_cmp_ne_u16_sdwa s[8:9], v15, v10 src0_sel:BYTE_0 src1_sel:DWORD
	s_andn2_b64 s[4:5], s[4:5], exec
	s_and_b64 s[8:9], s[8:9], exec
	s_or_b64 s[4:5], s[4:5], s[8:9]
	s_or_b64 exec, exec, s[6:7]
	s_and_saveexec_b64 s[6:7], s[4:5]
	s_cbranch_execnz .LBB45_291
	s_branch .LBB45_292
.LBB45_2341:
	s_movk_i32 s4, 0x80
	v_cmp_eq_u16_sdwa s[12:13], v11, s4 src0_sel:BYTE_0 src1_sel:DWORD
	s_mov_b64 s[4:5], -1
                                        ; implicit-def: $sgpr10
	s_and_saveexec_b64 s[8:9], s[12:13]
; %bb.2342:
	s_mov_b32 s10, 0x7f800001
	s_xor_b64 s[4:5], exec, -1
; %bb.2343:
	s_or_b64 exec, exec, s[8:9]
	s_and_b64 s[4:5], s[4:5], exec
	s_or_saveexec_b64 s[6:7], s[6:7]
	v_mov_b32_e32 v14, s10
	s_xor_b64 exec, exec, s[6:7]
	s_cbranch_execz .LBB45_294
.LBB45_2344:
	v_mov_b32_e32 v14, 0
	v_cmp_ne_u16_sdwa s[8:9], v11, v14 src0_sel:BYTE_0 src1_sel:DWORD
	s_andn2_b64 s[4:5], s[4:5], exec
	s_and_b64 s[8:9], s[8:9], exec
	s_or_b64 s[4:5], s[4:5], s[8:9]
	s_or_b64 exec, exec, s[6:7]
	s_and_saveexec_b64 s[6:7], s[4:5]
	s_cbranch_execnz .LBB45_295
	s_branch .LBB45_296
.LBB45_2345:
	s_movk_i32 s4, 0x80
	v_cmp_eq_u16_sdwa s[12:13], v14, s4 src0_sel:BYTE_0 src1_sel:DWORD
	s_mov_b64 s[4:5], -1
                                        ; implicit-def: $sgpr10
	s_and_saveexec_b64 s[8:9], s[12:13]
; %bb.2346:
	s_mov_b32 s10, 0x7f800001
	s_xor_b64 s[4:5], exec, -1
; %bb.2347:
	s_or_b64 exec, exec, s[8:9]
	s_and_b64 s[4:5], s[4:5], exec
	s_or_saveexec_b64 s[6:7], s[6:7]
	v_mov_b32_e32 v10, s10
	s_xor_b64 exec, exec, s[6:7]
	s_cbranch_execz .LBB45_298
.LBB45_2348:
	v_mov_b32_e32 v10, 0
	v_cmp_ne_u16_sdwa s[8:9], v14, v10 src0_sel:BYTE_0 src1_sel:DWORD
	s_andn2_b64 s[4:5], s[4:5], exec
	s_and_b64 s[8:9], s[8:9], exec
	s_or_b64 s[4:5], s[4:5], s[8:9]
	s_or_b64 exec, exec, s[6:7]
	s_and_saveexec_b64 s[6:7], s[4:5]
	s_cbranch_execnz .LBB45_299
	s_branch .LBB45_300
.LBB45_2349:
	s_movk_i32 s4, 0x80
	v_cmp_eq_u16_sdwa s[12:13], v14, s4 src0_sel:BYTE_0 src1_sel:DWORD
	s_mov_b64 s[4:5], -1
                                        ; implicit-def: $sgpr10
	s_and_saveexec_b64 s[8:9], s[12:13]
; %bb.2350:
	s_mov_b32 s10, 0x7f800001
	s_xor_b64 s[4:5], exec, -1
; %bb.2351:
	s_or_b64 exec, exec, s[8:9]
	s_and_b64 s[4:5], s[4:5], exec
	s_or_saveexec_b64 s[6:7], s[6:7]
	v_mov_b32_e32 v20, s10
	s_xor_b64 exec, exec, s[6:7]
	s_cbranch_execz .LBB45_302
.LBB45_2352:
	v_mov_b32_e32 v20, 0
	v_cmp_ne_u16_sdwa s[8:9], v14, v20 src0_sel:BYTE_0 src1_sel:DWORD
	s_andn2_b64 s[4:5], s[4:5], exec
	s_and_b64 s[8:9], s[8:9], exec
	s_or_b64 s[4:5], s[4:5], s[8:9]
	s_or_b64 exec, exec, s[6:7]
	s_and_saveexec_b64 s[6:7], s[4:5]
	s_cbranch_execnz .LBB45_303
	s_branch .LBB45_304
.LBB45_2353:
	s_movk_i32 s4, 0x80
	v_cmp_eq_u16_e32 vcc, s4, v14
	s_mov_b64 s[4:5], -1
                                        ; implicit-def: $sgpr10
	s_and_saveexec_b64 s[8:9], vcc
; %bb.2354:
	s_mov_b32 s10, 0x7f800001
	s_xor_b64 s[4:5], exec, -1
; %bb.2355:
	s_or_b64 exec, exec, s[8:9]
	s_and_b64 s[4:5], s[4:5], exec
                                        ; implicit-def: $vgpr14
	s_or_saveexec_b64 s[6:7], s[6:7]
	v_mov_b32_e32 v10, s10
	s_xor_b64 exec, exec, s[6:7]
	s_cbranch_execz .LBB45_306
.LBB45_2356:
	v_cmp_ne_u16_e32 vcc, 0, v14
	s_andn2_b64 s[4:5], s[4:5], exec
	s_and_b64 s[8:9], vcc, exec
	v_mov_b32_e32 v10, 0
	s_or_b64 s[4:5], s[4:5], s[8:9]
	s_or_b64 exec, exec, s[6:7]
	s_and_saveexec_b64 s[6:7], s[4:5]
	s_cbranch_execnz .LBB45_307
	s_branch .LBB45_308
.LBB45_2357:
	s_movk_i32 s4, 0x80
	v_cmp_eq_u16_e32 vcc, s4, v14
	s_mov_b64 s[4:5], -1
                                        ; implicit-def: $sgpr10
	s_and_saveexec_b64 s[8:9], vcc
; %bb.2358:
	s_mov_b32 s10, 0x7f800001
	s_xor_b64 s[4:5], exec, -1
; %bb.2359:
	s_or_b64 exec, exec, s[8:9]
	s_and_b64 s[4:5], s[4:5], exec
                                        ; implicit-def: $vgpr14
	s_or_saveexec_b64 s[6:7], s[6:7]
	v_mov_b32_e32 v20, s10
	s_xor_b64 exec, exec, s[6:7]
	s_cbranch_execz .LBB45_310
.LBB45_2360:
	v_cmp_ne_u16_e32 vcc, 0, v14
	s_andn2_b64 s[4:5], s[4:5], exec
	s_and_b64 s[8:9], vcc, exec
	v_mov_b32_e32 v20, 0
	s_or_b64 s[4:5], s[4:5], s[8:9]
	s_or_b64 exec, exec, s[6:7]
	s_and_saveexec_b64 s[6:7], s[4:5]
	s_cbranch_execnz .LBB45_311
	s_branch .LBB45_312
.LBB45_2361:
	s_movk_i32 s4, 0x80
	v_cmp_eq_u16_sdwa s[12:13], v15, s4 src0_sel:BYTE_3 src1_sel:DWORD
	s_mov_b64 s[4:5], -1
                                        ; implicit-def: $sgpr10
	s_and_saveexec_b64 s[8:9], s[12:13]
; %bb.2362:
	s_mov_b32 s10, 0x7f800001
	s_xor_b64 s[4:5], exec, -1
; %bb.2363:
	s_or_b64 exec, exec, s[8:9]
	s_and_b64 s[4:5], s[4:5], exec
	s_or_saveexec_b64 s[6:7], s[6:7]
	v_mov_b32_e32 v10, s10
	s_xor_b64 exec, exec, s[6:7]
	s_cbranch_execz .LBB45_314
.LBB45_2364:
	v_mov_b32_e32 v10, 0
	v_cmp_ne_u16_sdwa s[8:9], v15, v10 src0_sel:BYTE_3 src1_sel:DWORD
	s_andn2_b64 s[4:5], s[4:5], exec
	s_and_b64 s[8:9], s[8:9], exec
	s_or_b64 s[4:5], s[4:5], s[8:9]
	s_or_b64 exec, exec, s[6:7]
	s_and_saveexec_b64 s[6:7], s[4:5]
	s_cbranch_execnz .LBB45_315
	s_branch .LBB45_316
.LBB45_2365:
	s_movk_i32 s4, 0x80
	v_cmp_eq_u16_sdwa s[12:13], v11, s4 src0_sel:BYTE_3 src1_sel:DWORD
	s_mov_b64 s[4:5], -1
                                        ; implicit-def: $sgpr10
	s_and_saveexec_b64 s[8:9], s[12:13]
; %bb.2366:
	s_mov_b32 s10, 0x7f800001
	s_xor_b64 s[4:5], exec, -1
; %bb.2367:
	s_or_b64 exec, exec, s[8:9]
	s_and_b64 s[4:5], s[4:5], exec
	s_or_saveexec_b64 s[6:7], s[6:7]
	v_mov_b32_e32 v14, s10
	s_xor_b64 exec, exec, s[6:7]
	s_cbranch_execz .LBB45_318
.LBB45_2368:
	v_mov_b32_e32 v14, 0
	v_cmp_ne_u16_sdwa s[8:9], v11, v14 src0_sel:BYTE_3 src1_sel:DWORD
	s_andn2_b64 s[4:5], s[4:5], exec
	s_and_b64 s[8:9], s[8:9], exec
	s_or_b64 s[4:5], s[4:5], s[8:9]
	s_or_b64 exec, exec, s[6:7]
	s_and_saveexec_b64 s[6:7], s[4:5]
	s_cbranch_execnz .LBB45_319
	s_branch .LBB45_320
.LBB45_2369:
	s_movk_i32 s4, 0x80
	v_cmp_eq_u16_sdwa s[12:13], v16, s4 src0_sel:BYTE_0 src1_sel:DWORD
	s_mov_b64 s[4:5], -1
                                        ; implicit-def: $sgpr10
	s_and_saveexec_b64 s[8:9], s[12:13]
; %bb.2370:
	s_mov_b32 s10, 0x7f800001
	s_xor_b64 s[4:5], exec, -1
; %bb.2371:
	s_or_b64 exec, exec, s[8:9]
	s_and_b64 s[4:5], s[4:5], exec
	s_or_saveexec_b64 s[6:7], s[6:7]
	v_mov_b32_e32 v10, s10
	s_xor_b64 exec, exec, s[6:7]
	s_cbranch_execz .LBB45_322
.LBB45_2372:
	v_mov_b32_e32 v10, 0
	v_cmp_ne_u16_sdwa s[8:9], v16, v10 src0_sel:BYTE_0 src1_sel:DWORD
	s_andn2_b64 s[4:5], s[4:5], exec
	s_and_b64 s[8:9], s[8:9], exec
	s_or_b64 s[4:5], s[4:5], s[8:9]
	s_or_b64 exec, exec, s[6:7]
	s_and_saveexec_b64 s[6:7], s[4:5]
	s_cbranch_execnz .LBB45_323
	s_branch .LBB45_324
.LBB45_2373:
	s_movk_i32 s4, 0x80
	v_cmp_eq_u16_sdwa s[12:13], v12, s4 src0_sel:BYTE_0 src1_sel:DWORD
	s_mov_b64 s[4:5], -1
                                        ; implicit-def: $sgpr10
	s_and_saveexec_b64 s[8:9], s[12:13]
; %bb.2374:
	s_mov_b32 s10, 0x7f800001
	s_xor_b64 s[4:5], exec, -1
; %bb.2375:
	s_or_b64 exec, exec, s[8:9]
	s_and_b64 s[4:5], s[4:5], exec
	s_or_saveexec_b64 s[6:7], s[6:7]
	v_mov_b32_e32 v11, s10
	s_xor_b64 exec, exec, s[6:7]
	s_cbranch_execz .LBB45_326
.LBB45_2376:
	v_mov_b32_e32 v11, 0
	v_cmp_ne_u16_sdwa s[8:9], v12, v11 src0_sel:BYTE_0 src1_sel:DWORD
	s_andn2_b64 s[4:5], s[4:5], exec
	s_and_b64 s[8:9], s[8:9], exec
	s_or_b64 s[4:5], s[4:5], s[8:9]
	s_or_b64 exec, exec, s[6:7]
	s_and_saveexec_b64 s[6:7], s[4:5]
	s_cbranch_execnz .LBB45_327
	s_branch .LBB45_328
.LBB45_2377:
	s_movk_i32 s4, 0x80
	v_cmp_eq_u16_sdwa s[12:13], v11, s4 src0_sel:BYTE_0 src1_sel:DWORD
	s_mov_b64 s[4:5], -1
                                        ; implicit-def: $sgpr10
	s_and_saveexec_b64 s[8:9], s[12:13]
; %bb.2378:
	s_mov_b32 s10, 0x7f800001
	s_xor_b64 s[4:5], exec, -1
; %bb.2379:
	s_or_b64 exec, exec, s[8:9]
	s_and_b64 s[4:5], s[4:5], exec
	s_or_saveexec_b64 s[6:7], s[6:7]
	v_mov_b32_e32 v10, s10
	s_xor_b64 exec, exec, s[6:7]
	s_cbranch_execz .LBB45_330
.LBB45_2380:
	v_mov_b32_e32 v10, 0
	v_cmp_ne_u16_sdwa s[8:9], v11, v10 src0_sel:BYTE_0 src1_sel:DWORD
	s_andn2_b64 s[4:5], s[4:5], exec
	s_and_b64 s[8:9], s[8:9], exec
	s_or_b64 s[4:5], s[4:5], s[8:9]
	s_or_b64 exec, exec, s[6:7]
	s_and_saveexec_b64 s[6:7], s[4:5]
	s_cbranch_execnz .LBB45_331
	s_branch .LBB45_332
.LBB45_2381:
	s_movk_i32 s4, 0x80
	v_cmp_eq_u16_sdwa s[12:13], v11, s4 src0_sel:BYTE_0 src1_sel:DWORD
	s_mov_b64 s[4:5], -1
                                        ; implicit-def: $sgpr10
	s_and_saveexec_b64 s[8:9], s[12:13]
; %bb.2382:
	s_mov_b32 s10, 0x7f800001
	s_xor_b64 s[4:5], exec, -1
; %bb.2383:
	s_or_b64 exec, exec, s[8:9]
	s_and_b64 s[4:5], s[4:5], exec
	s_or_saveexec_b64 s[6:7], s[6:7]
	v_mov_b32_e32 v14, s10
	s_xor_b64 exec, exec, s[6:7]
	s_cbranch_execz .LBB45_334
.LBB45_2384:
	v_mov_b32_e32 v14, 0
	v_cmp_ne_u16_sdwa s[8:9], v11, v14 src0_sel:BYTE_0 src1_sel:DWORD
	s_andn2_b64 s[4:5], s[4:5], exec
	s_and_b64 s[8:9], s[8:9], exec
	s_or_b64 s[4:5], s[4:5], s[8:9]
	s_or_b64 exec, exec, s[6:7]
	s_and_saveexec_b64 s[6:7], s[4:5]
	s_cbranch_execnz .LBB45_335
	s_branch .LBB45_336
.LBB45_2385:
	s_movk_i32 s4, 0x80
	v_cmp_eq_u16_e32 vcc, s4, v11
	s_mov_b64 s[4:5], -1
                                        ; implicit-def: $sgpr10
	s_and_saveexec_b64 s[8:9], vcc
; %bb.2386:
	s_mov_b32 s10, 0x7f800001
	s_xor_b64 s[4:5], exec, -1
; %bb.2387:
	s_or_b64 exec, exec, s[8:9]
	s_and_b64 s[4:5], s[4:5], exec
                                        ; implicit-def: $vgpr11
	s_or_saveexec_b64 s[6:7], s[6:7]
	v_mov_b32_e32 v10, s10
	s_xor_b64 exec, exec, s[6:7]
	s_cbranch_execz .LBB45_338
.LBB45_2388:
	v_cmp_ne_u16_e32 vcc, 0, v11
	s_andn2_b64 s[4:5], s[4:5], exec
	s_and_b64 s[8:9], vcc, exec
	v_mov_b32_e32 v10, 0
	s_or_b64 s[4:5], s[4:5], s[8:9]
	s_or_b64 exec, exec, s[6:7]
	s_and_saveexec_b64 s[6:7], s[4:5]
	s_cbranch_execnz .LBB45_339
	s_branch .LBB45_340
.LBB45_2389:
	s_movk_i32 s4, 0x80
	v_cmp_eq_u16_e32 vcc, s4, v11
	s_mov_b64 s[4:5], -1
                                        ; implicit-def: $sgpr10
	s_and_saveexec_b64 s[8:9], vcc
; %bb.2390:
	s_mov_b32 s10, 0x7f800001
	s_xor_b64 s[4:5], exec, -1
; %bb.2391:
	s_or_b64 exec, exec, s[8:9]
	s_and_b64 s[4:5], s[4:5], exec
                                        ; implicit-def: $vgpr11
	s_or_saveexec_b64 s[6:7], s[6:7]
	v_mov_b32_e32 v14, s10
	s_xor_b64 exec, exec, s[6:7]
	s_cbranch_execz .LBB45_342
.LBB45_2392:
	v_cmp_ne_u16_e32 vcc, 0, v11
	s_andn2_b64 s[4:5], s[4:5], exec
	s_and_b64 s[8:9], vcc, exec
	v_mov_b32_e32 v14, 0
	s_or_b64 s[4:5], s[4:5], s[8:9]
	s_or_b64 exec, exec, s[6:7]
	s_and_saveexec_b64 s[6:7], s[4:5]
	s_cbranch_execnz .LBB45_343
	s_branch .LBB45_344
.LBB45_2393:
	s_movk_i32 s4, 0x80
	v_cmp_eq_u16_sdwa s[12:13], v16, s4 src0_sel:BYTE_3 src1_sel:DWORD
	s_mov_b64 s[4:5], -1
                                        ; implicit-def: $sgpr10
	s_and_saveexec_b64 s[8:9], s[12:13]
; %bb.2394:
	s_mov_b32 s10, 0x7f800001
	s_xor_b64 s[4:5], exec, -1
; %bb.2395:
	s_or_b64 exec, exec, s[8:9]
	s_and_b64 s[4:5], s[4:5], exec
	s_or_saveexec_b64 s[6:7], s[6:7]
	v_mov_b32_e32 v10, s10
	s_xor_b64 exec, exec, s[6:7]
	s_cbranch_execz .LBB45_346
.LBB45_2396:
	v_mov_b32_e32 v10, 0
	v_cmp_ne_u16_sdwa s[8:9], v16, v10 src0_sel:BYTE_3 src1_sel:DWORD
	s_andn2_b64 s[4:5], s[4:5], exec
	s_and_b64 s[8:9], s[8:9], exec
	s_or_b64 s[4:5], s[4:5], s[8:9]
	s_or_b64 exec, exec, s[6:7]
	s_and_saveexec_b64 s[6:7], s[4:5]
	s_cbranch_execnz .LBB45_347
	s_branch .LBB45_348
.LBB45_2397:
	s_movk_i32 s4, 0x80
	v_cmp_eq_u16_sdwa s[12:13], v12, s4 src0_sel:BYTE_3 src1_sel:DWORD
	s_mov_b64 s[4:5], -1
                                        ; implicit-def: $sgpr10
	s_and_saveexec_b64 s[8:9], s[12:13]
; %bb.2398:
	s_mov_b32 s10, 0x7f800001
	s_xor_b64 s[4:5], exec, -1
; %bb.2399:
	s_or_b64 exec, exec, s[8:9]
	s_and_b64 s[4:5], s[4:5], exec
	s_or_saveexec_b64 s[6:7], s[6:7]
	v_mov_b32_e32 v11, s10
	s_xor_b64 exec, exec, s[6:7]
	s_cbranch_execz .LBB45_350
.LBB45_2400:
	v_mov_b32_e32 v11, 0
	v_cmp_ne_u16_sdwa s[8:9], v12, v11 src0_sel:BYTE_3 src1_sel:DWORD
	s_andn2_b64 s[4:5], s[4:5], exec
	s_and_b64 s[8:9], s[8:9], exec
	s_or_b64 s[4:5], s[4:5], s[8:9]
	s_or_b64 exec, exec, s[6:7]
	s_and_saveexec_b64 s[6:7], s[4:5]
	s_cbranch_execnz .LBB45_351
	s_branch .LBB45_352
.LBB45_2401:
	s_movk_i32 s4, 0x80
	v_cmp_eq_u16_sdwa s[12:13], v17, s4 src0_sel:BYTE_0 src1_sel:DWORD
	s_mov_b64 s[4:5], -1
                                        ; implicit-def: $sgpr10
	s_and_saveexec_b64 s[8:9], s[12:13]
; %bb.2402:
	s_mov_b32 s10, 0x7f800001
	s_xor_b64 s[4:5], exec, -1
; %bb.2403:
	s_or_b64 exec, exec, s[8:9]
	s_and_b64 s[4:5], s[4:5], exec
	s_or_saveexec_b64 s[6:7], s[6:7]
	v_mov_b32_e32 v10, s10
	s_xor_b64 exec, exec, s[6:7]
	s_cbranch_execz .LBB45_354
.LBB45_2404:
	v_mov_b32_e32 v10, 0
	v_cmp_ne_u16_sdwa s[8:9], v17, v10 src0_sel:BYTE_0 src1_sel:DWORD
	s_andn2_b64 s[4:5], s[4:5], exec
	s_and_b64 s[8:9], s[8:9], exec
	s_or_b64 s[4:5], s[4:5], s[8:9]
	s_or_b64 exec, exec, s[6:7]
	s_and_saveexec_b64 s[6:7], s[4:5]
	s_cbranch_execnz .LBB45_355
	s_branch .LBB45_356
.LBB45_2405:
	s_movk_i32 s4, 0x80
	v_cmp_eq_u16_sdwa s[12:13], v13, s4 src0_sel:BYTE_0 src1_sel:DWORD
	s_mov_b64 s[4:5], -1
                                        ; implicit-def: $sgpr10
	s_and_saveexec_b64 s[8:9], s[12:13]
; %bb.2406:
	s_mov_b32 s10, 0x7f800001
	s_xor_b64 s[4:5], exec, -1
; %bb.2407:
	s_or_b64 exec, exec, s[8:9]
	s_and_b64 s[4:5], s[4:5], exec
	s_or_saveexec_b64 s[6:7], s[6:7]
	v_mov_b32_e32 v11, s10
	s_xor_b64 exec, exec, s[6:7]
	s_cbranch_execz .LBB45_358
.LBB45_2408:
	v_mov_b32_e32 v11, 0
	v_cmp_ne_u16_sdwa s[8:9], v13, v11 src0_sel:BYTE_0 src1_sel:DWORD
	s_andn2_b64 s[4:5], s[4:5], exec
	s_and_b64 s[8:9], s[8:9], exec
	s_or_b64 s[4:5], s[4:5], s[8:9]
	s_or_b64 exec, exec, s[6:7]
	s_and_saveexec_b64 s[6:7], s[4:5]
	s_cbranch_execnz .LBB45_359
	s_branch .LBB45_360
.LBB45_2409:
	s_movk_i32 s4, 0x80
	v_cmp_eq_u16_sdwa s[12:13], v11, s4 src0_sel:BYTE_0 src1_sel:DWORD
	s_mov_b64 s[4:5], -1
                                        ; implicit-def: $sgpr10
	s_and_saveexec_b64 s[8:9], s[12:13]
; %bb.2410:
	s_mov_b32 s10, 0x7f800001
	s_xor_b64 s[4:5], exec, -1
; %bb.2411:
	s_or_b64 exec, exec, s[8:9]
	s_and_b64 s[4:5], s[4:5], exec
	s_or_saveexec_b64 s[6:7], s[6:7]
	v_mov_b32_e32 v10, s10
	s_xor_b64 exec, exec, s[6:7]
	s_cbranch_execz .LBB45_362
.LBB45_2412:
	v_mov_b32_e32 v10, 0
	v_cmp_ne_u16_sdwa s[8:9], v11, v10 src0_sel:BYTE_0 src1_sel:DWORD
	s_andn2_b64 s[4:5], s[4:5], exec
	s_and_b64 s[8:9], s[8:9], exec
	s_or_b64 s[4:5], s[4:5], s[8:9]
	s_or_b64 exec, exec, s[6:7]
	s_and_saveexec_b64 s[6:7], s[4:5]
	s_cbranch_execnz .LBB45_363
	s_branch .LBB45_364
.LBB45_2413:
	s_movk_i32 s4, 0x80
	v_cmp_eq_u16_sdwa s[12:13], v11, s4 src0_sel:BYTE_0 src1_sel:DWORD
	s_mov_b64 s[4:5], -1
                                        ; implicit-def: $sgpr10
	s_and_saveexec_b64 s[8:9], s[12:13]
; %bb.2414:
	s_mov_b32 s10, 0x7f800001
	s_xor_b64 s[4:5], exec, -1
; %bb.2415:
	s_or_b64 exec, exec, s[8:9]
	s_and_b64 s[4:5], s[4:5], exec
	s_or_saveexec_b64 s[6:7], s[6:7]
	v_mov_b32_e32 v12, s10
	s_xor_b64 exec, exec, s[6:7]
	s_cbranch_execz .LBB45_366
.LBB45_2416:
	v_mov_b32_e32 v12, 0
	v_cmp_ne_u16_sdwa s[8:9], v11, v12 src0_sel:BYTE_0 src1_sel:DWORD
	s_andn2_b64 s[4:5], s[4:5], exec
	s_and_b64 s[8:9], s[8:9], exec
	s_or_b64 s[4:5], s[4:5], s[8:9]
	s_or_b64 exec, exec, s[6:7]
	s_and_saveexec_b64 s[6:7], s[4:5]
	s_cbranch_execnz .LBB45_367
	s_branch .LBB45_368
.LBB45_2417:
	s_movk_i32 s4, 0x80
	v_cmp_eq_u16_e32 vcc, s4, v11
	s_mov_b64 s[4:5], -1
                                        ; implicit-def: $sgpr10
	s_and_saveexec_b64 s[8:9], vcc
; %bb.2418:
	s_mov_b32 s10, 0x7f800001
	s_xor_b64 s[4:5], exec, -1
; %bb.2419:
	s_or_b64 exec, exec, s[8:9]
	s_and_b64 s[4:5], s[4:5], exec
                                        ; implicit-def: $vgpr11
	s_or_saveexec_b64 s[6:7], s[6:7]
	v_mov_b32_e32 v10, s10
	s_xor_b64 exec, exec, s[6:7]
	s_cbranch_execz .LBB45_370
.LBB45_2420:
	v_cmp_ne_u16_e32 vcc, 0, v11
	s_andn2_b64 s[4:5], s[4:5], exec
	s_and_b64 s[8:9], vcc, exec
	v_mov_b32_e32 v10, 0
	s_or_b64 s[4:5], s[4:5], s[8:9]
	s_or_b64 exec, exec, s[6:7]
	s_and_saveexec_b64 s[6:7], s[4:5]
	s_cbranch_execnz .LBB45_371
	s_branch .LBB45_372
.LBB45_2421:
	s_movk_i32 s4, 0x80
	v_cmp_eq_u16_e32 vcc, s4, v11
	s_mov_b64 s[4:5], -1
                                        ; implicit-def: $sgpr10
	s_and_saveexec_b64 s[8:9], vcc
; %bb.2422:
	s_mov_b32 s10, 0x7f800001
	s_xor_b64 s[4:5], exec, -1
; %bb.2423:
	s_or_b64 exec, exec, s[8:9]
	s_and_b64 s[4:5], s[4:5], exec
                                        ; implicit-def: $vgpr11
	s_or_saveexec_b64 s[6:7], s[6:7]
	v_mov_b32_e32 v12, s10
	s_xor_b64 exec, exec, s[6:7]
	s_cbranch_execz .LBB45_374
.LBB45_2424:
	v_cmp_ne_u16_e32 vcc, 0, v11
	s_andn2_b64 s[4:5], s[4:5], exec
	s_and_b64 s[8:9], vcc, exec
	v_mov_b32_e32 v12, 0
	s_or_b64 s[4:5], s[4:5], s[8:9]
	s_or_b64 exec, exec, s[6:7]
	s_and_saveexec_b64 s[6:7], s[4:5]
	s_cbranch_execnz .LBB45_375
	s_branch .LBB45_376
.LBB45_2425:
	s_movk_i32 s4, 0x80
	v_cmp_eq_u16_sdwa s[12:13], v17, s4 src0_sel:BYTE_3 src1_sel:DWORD
	s_mov_b64 s[4:5], -1
                                        ; implicit-def: $sgpr10
	s_and_saveexec_b64 s[8:9], s[12:13]
; %bb.2426:
	s_mov_b32 s10, 0x7f800001
	s_xor_b64 s[4:5], exec, -1
; %bb.2427:
	s_or_b64 exec, exec, s[8:9]
	s_and_b64 s[4:5], s[4:5], exec
	s_or_saveexec_b64 s[6:7], s[6:7]
	v_mov_b32_e32 v10, s10
	s_xor_b64 exec, exec, s[6:7]
	s_cbranch_execz .LBB45_378
.LBB45_2428:
	v_mov_b32_e32 v10, 0
	v_cmp_ne_u16_sdwa s[8:9], v17, v10 src0_sel:BYTE_3 src1_sel:DWORD
	s_andn2_b64 s[4:5], s[4:5], exec
	s_and_b64 s[8:9], s[8:9], exec
	s_or_b64 s[4:5], s[4:5], s[8:9]
	s_or_b64 exec, exec, s[6:7]
	s_and_saveexec_b64 s[6:7], s[4:5]
	s_cbranch_execnz .LBB45_379
	s_branch .LBB45_380
.LBB45_2429:
	s_movk_i32 s4, 0x80
	v_cmp_eq_u16_sdwa s[12:13], v13, s4 src0_sel:BYTE_3 src1_sel:DWORD
	s_mov_b64 s[4:5], -1
                                        ; implicit-def: $sgpr10
	s_and_saveexec_b64 s[8:9], s[12:13]
; %bb.2430:
	s_mov_b32 s10, 0x7f800001
	s_xor_b64 s[4:5], exec, -1
; %bb.2431:
	s_or_b64 exec, exec, s[8:9]
	s_and_b64 s[4:5], s[4:5], exec
	s_or_saveexec_b64 s[6:7], s[6:7]
	v_mov_b32_e32 v11, s10
	s_xor_b64 exec, exec, s[6:7]
	s_cbranch_execz .LBB45_382
.LBB45_2432:
	v_mov_b32_e32 v11, 0
	v_cmp_ne_u16_sdwa s[8:9], v13, v11 src0_sel:BYTE_3 src1_sel:DWORD
	s_andn2_b64 s[4:5], s[4:5], exec
	s_and_b64 s[8:9], s[8:9], exec
	s_or_b64 s[4:5], s[4:5], s[8:9]
	s_or_b64 exec, exec, s[6:7]
	s_and_saveexec_b64 s[6:7], s[4:5]
	s_cbranch_execnz .LBB45_383
	s_branch .LBB45_384
.LBB45_2433:
	s_movk_i32 s4, 0x80
	v_cmp_eq_u16_sdwa s[12:13], v6, s4 src0_sel:BYTE_0 src1_sel:DWORD
	s_mov_b64 s[4:5], -1
                                        ; implicit-def: $sgpr10
	s_and_saveexec_b64 s[8:9], s[12:13]
; %bb.2434:
	s_mov_b32 s10, 0x7f800001
	s_xor_b64 s[4:5], exec, -1
; %bb.2435:
	s_or_b64 exec, exec, s[8:9]
	s_and_b64 s[4:5], s[4:5], exec
	s_or_saveexec_b64 s[6:7], s[6:7]
	v_mov_b32_e32 v10, s10
	s_xor_b64 exec, exec, s[6:7]
	s_cbranch_execz .LBB45_386
.LBB45_2436:
	v_mov_b32_e32 v10, 0
	v_cmp_ne_u16_sdwa s[8:9], v6, v10 src0_sel:BYTE_0 src1_sel:DWORD
	s_andn2_b64 s[4:5], s[4:5], exec
	s_and_b64 s[8:9], s[8:9], exec
	s_or_b64 s[4:5], s[4:5], s[8:9]
	s_or_b64 exec, exec, s[6:7]
	s_and_saveexec_b64 s[6:7], s[4:5]
	s_cbranch_execnz .LBB45_387
	s_branch .LBB45_388
.LBB45_2437:
	s_movk_i32 s4, 0x80
	v_cmp_eq_u16_sdwa s[12:13], v2, s4 src0_sel:BYTE_0 src1_sel:DWORD
	s_mov_b64 s[4:5], -1
                                        ; implicit-def: $sgpr10
	s_and_saveexec_b64 s[8:9], s[12:13]
; %bb.2438:
	s_mov_b32 s10, 0x7f800001
	s_xor_b64 s[4:5], exec, -1
; %bb.2439:
	s_or_b64 exec, exec, s[8:9]
	s_and_b64 s[4:5], s[4:5], exec
	s_or_saveexec_b64 s[6:7], s[6:7]
	v_mov_b32_e32 v11, s10
	s_xor_b64 exec, exec, s[6:7]
	s_cbranch_execz .LBB45_390
.LBB45_2440:
	v_mov_b32_e32 v11, 0
	v_cmp_ne_u16_sdwa s[8:9], v2, v11 src0_sel:BYTE_0 src1_sel:DWORD
	s_andn2_b64 s[4:5], s[4:5], exec
	s_and_b64 s[8:9], s[8:9], exec
	s_or_b64 s[4:5], s[4:5], s[8:9]
	s_or_b64 exec, exec, s[6:7]
	s_and_saveexec_b64 s[6:7], s[4:5]
	s_cbranch_execnz .LBB45_391
	s_branch .LBB45_392
.LBB45_2441:
	s_movk_i32 s4, 0x80
	v_cmp_eq_u16_sdwa s[12:13], v11, s4 src0_sel:BYTE_0 src1_sel:DWORD
	s_mov_b64 s[4:5], -1
                                        ; implicit-def: $sgpr10
	s_and_saveexec_b64 s[8:9], s[12:13]
; %bb.2442:
	s_mov_b32 s10, 0x7f800001
	s_xor_b64 s[4:5], exec, -1
; %bb.2443:
	s_or_b64 exec, exec, s[8:9]
	s_and_b64 s[4:5], s[4:5], exec
	s_or_saveexec_b64 s[6:7], s[6:7]
	v_mov_b32_e32 v10, s10
	s_xor_b64 exec, exec, s[6:7]
	s_cbranch_execz .LBB45_394
.LBB45_2444:
	v_mov_b32_e32 v10, 0
	v_cmp_ne_u16_sdwa s[8:9], v11, v10 src0_sel:BYTE_0 src1_sel:DWORD
	s_andn2_b64 s[4:5], s[4:5], exec
	s_and_b64 s[8:9], s[8:9], exec
	s_or_b64 s[4:5], s[4:5], s[8:9]
	s_or_b64 exec, exec, s[6:7]
	s_and_saveexec_b64 s[6:7], s[4:5]
	s_cbranch_execnz .LBB45_395
	s_branch .LBB45_396
.LBB45_2445:
	s_movk_i32 s4, 0x80
	v_cmp_eq_u16_sdwa s[12:13], v11, s4 src0_sel:BYTE_0 src1_sel:DWORD
	s_mov_b64 s[4:5], -1
                                        ; implicit-def: $sgpr10
	s_and_saveexec_b64 s[8:9], s[12:13]
; %bb.2446:
	s_mov_b32 s10, 0x7f800001
	s_xor_b64 s[4:5], exec, -1
; %bb.2447:
	s_or_b64 exec, exec, s[8:9]
	s_and_b64 s[4:5], s[4:5], exec
	s_or_saveexec_b64 s[6:7], s[6:7]
	v_mov_b32_e32 v12, s10
	s_xor_b64 exec, exec, s[6:7]
	s_cbranch_execz .LBB45_398
.LBB45_2448:
	v_mov_b32_e32 v12, 0
	v_cmp_ne_u16_sdwa s[8:9], v11, v12 src0_sel:BYTE_0 src1_sel:DWORD
	s_andn2_b64 s[4:5], s[4:5], exec
	s_and_b64 s[8:9], s[8:9], exec
	s_or_b64 s[4:5], s[4:5], s[8:9]
	s_or_b64 exec, exec, s[6:7]
	s_and_saveexec_b64 s[6:7], s[4:5]
	s_cbranch_execnz .LBB45_399
	s_branch .LBB45_400
.LBB45_2449:
	s_movk_i32 s4, 0x80
	v_cmp_eq_u16_e32 vcc, s4, v11
	s_mov_b64 s[4:5], -1
                                        ; implicit-def: $sgpr10
	s_and_saveexec_b64 s[8:9], vcc
; %bb.2450:
	s_mov_b32 s10, 0x7f800001
	s_xor_b64 s[4:5], exec, -1
; %bb.2451:
	s_or_b64 exec, exec, s[8:9]
	s_and_b64 s[4:5], s[4:5], exec
                                        ; implicit-def: $vgpr11
	s_or_saveexec_b64 s[6:7], s[6:7]
	v_mov_b32_e32 v10, s10
	s_xor_b64 exec, exec, s[6:7]
	s_cbranch_execz .LBB45_402
.LBB45_2452:
	v_cmp_ne_u16_e32 vcc, 0, v11
	s_andn2_b64 s[4:5], s[4:5], exec
	s_and_b64 s[8:9], vcc, exec
	v_mov_b32_e32 v10, 0
	s_or_b64 s[4:5], s[4:5], s[8:9]
	s_or_b64 exec, exec, s[6:7]
	s_and_saveexec_b64 s[6:7], s[4:5]
	s_cbranch_execnz .LBB45_403
	s_branch .LBB45_404
.LBB45_2453:
	s_movk_i32 s4, 0x80
	v_cmp_eq_u16_e32 vcc, s4, v11
	s_mov_b64 s[4:5], -1
                                        ; implicit-def: $sgpr10
	s_and_saveexec_b64 s[8:9], vcc
; %bb.2454:
	s_mov_b32 s10, 0x7f800001
	s_xor_b64 s[4:5], exec, -1
; %bb.2455:
	s_or_b64 exec, exec, s[8:9]
	s_and_b64 s[4:5], s[4:5], exec
                                        ; implicit-def: $vgpr11
	s_or_saveexec_b64 s[6:7], s[6:7]
	v_mov_b32_e32 v12, s10
	s_xor_b64 exec, exec, s[6:7]
	s_cbranch_execz .LBB45_406
.LBB45_2456:
	v_cmp_ne_u16_e32 vcc, 0, v11
	s_andn2_b64 s[4:5], s[4:5], exec
	s_and_b64 s[8:9], vcc, exec
	v_mov_b32_e32 v12, 0
	s_or_b64 s[4:5], s[4:5], s[8:9]
	s_or_b64 exec, exec, s[6:7]
	s_and_saveexec_b64 s[6:7], s[4:5]
	s_cbranch_execnz .LBB45_407
	s_branch .LBB45_408
.LBB45_2457:
	s_movk_i32 s4, 0x80
	v_cmp_eq_u16_sdwa s[12:13], v6, s4 src0_sel:BYTE_3 src1_sel:DWORD
	s_mov_b64 s[4:5], -1
                                        ; implicit-def: $sgpr10
	s_and_saveexec_b64 s[8:9], s[12:13]
; %bb.2458:
	s_mov_b32 s10, 0x7f800001
	s_xor_b64 s[4:5], exec, -1
; %bb.2459:
	s_or_b64 exec, exec, s[8:9]
	s_and_b64 s[4:5], s[4:5], exec
	s_or_saveexec_b64 s[6:7], s[6:7]
	v_mov_b32_e32 v10, s10
	s_xor_b64 exec, exec, s[6:7]
	s_cbranch_execz .LBB45_410
.LBB45_2460:
	v_mov_b32_e32 v10, 0
	v_cmp_ne_u16_sdwa s[8:9], v6, v10 src0_sel:BYTE_3 src1_sel:DWORD
	s_andn2_b64 s[4:5], s[4:5], exec
	s_and_b64 s[8:9], s[8:9], exec
	s_or_b64 s[4:5], s[4:5], s[8:9]
	s_or_b64 exec, exec, s[6:7]
	s_and_saveexec_b64 s[6:7], s[4:5]
	s_cbranch_execnz .LBB45_411
	s_branch .LBB45_412
.LBB45_2461:
	s_movk_i32 s4, 0x80
	v_cmp_eq_u16_sdwa s[12:13], v2, s4 src0_sel:BYTE_3 src1_sel:DWORD
	s_mov_b64 s[4:5], -1
                                        ; implicit-def: $sgpr10
	s_and_saveexec_b64 s[8:9], s[12:13]
; %bb.2462:
	s_mov_b32 s10, 0x7f800001
	s_xor_b64 s[4:5], exec, -1
; %bb.2463:
	s_or_b64 exec, exec, s[8:9]
	s_and_b64 s[4:5], s[4:5], exec
	s_or_saveexec_b64 s[6:7], s[6:7]
	v_mov_b32_e32 v6, s10
	s_xor_b64 exec, exec, s[6:7]
	s_cbranch_execz .LBB45_414
.LBB45_2464:
	v_mov_b32_e32 v6, 0
	v_cmp_ne_u16_sdwa s[8:9], v2, v6 src0_sel:BYTE_3 src1_sel:DWORD
	s_andn2_b64 s[4:5], s[4:5], exec
	s_and_b64 s[8:9], s[8:9], exec
	s_or_b64 s[4:5], s[4:5], s[8:9]
	s_or_b64 exec, exec, s[6:7]
	s_and_saveexec_b64 s[6:7], s[4:5]
	s_cbranch_execnz .LBB45_415
	s_branch .LBB45_416
.LBB45_2465:
	s_movk_i32 s4, 0x80
	v_cmp_eq_u16_sdwa s[12:13], v7, s4 src0_sel:BYTE_0 src1_sel:DWORD
	s_mov_b64 s[4:5], -1
                                        ; implicit-def: $sgpr10
	s_and_saveexec_b64 s[8:9], s[12:13]
; %bb.2466:
	s_mov_b32 s10, 0x7f800001
	s_xor_b64 s[4:5], exec, -1
; %bb.2467:
	s_or_b64 exec, exec, s[8:9]
	s_and_b64 s[4:5], s[4:5], exec
	s_or_saveexec_b64 s[6:7], s[6:7]
	v_mov_b32_e32 v2, s10
	s_xor_b64 exec, exec, s[6:7]
	s_cbranch_execz .LBB45_418
.LBB45_2468:
	v_mov_b32_e32 v2, 0
	v_cmp_ne_u16_sdwa s[8:9], v7, v2 src0_sel:BYTE_0 src1_sel:DWORD
	s_andn2_b64 s[4:5], s[4:5], exec
	s_and_b64 s[8:9], s[8:9], exec
	s_or_b64 s[4:5], s[4:5], s[8:9]
	s_or_b64 exec, exec, s[6:7]
	s_and_saveexec_b64 s[6:7], s[4:5]
	s_cbranch_execnz .LBB45_419
	s_branch .LBB45_420
.LBB45_2469:
	s_movk_i32 s4, 0x80
	v_cmp_eq_u16_sdwa s[12:13], v3, s4 src0_sel:BYTE_0 src1_sel:DWORD
	s_mov_b64 s[4:5], -1
                                        ; implicit-def: $sgpr10
	s_and_saveexec_b64 s[8:9], s[12:13]
; %bb.2470:
	s_mov_b32 s10, 0x7f800001
	s_xor_b64 s[4:5], exec, -1
; %bb.2471:
	s_or_b64 exec, exec, s[8:9]
	s_and_b64 s[4:5], s[4:5], exec
	s_or_saveexec_b64 s[6:7], s[6:7]
	v_mov_b32_e32 v6, s10
	s_xor_b64 exec, exec, s[6:7]
	s_cbranch_execz .LBB45_422
.LBB45_2472:
	v_mov_b32_e32 v6, 0
	v_cmp_ne_u16_sdwa s[8:9], v3, v6 src0_sel:BYTE_0 src1_sel:DWORD
	s_andn2_b64 s[4:5], s[4:5], exec
	s_and_b64 s[8:9], s[8:9], exec
	s_or_b64 s[4:5], s[4:5], s[8:9]
	s_or_b64 exec, exec, s[6:7]
	s_and_saveexec_b64 s[6:7], s[4:5]
	s_cbranch_execnz .LBB45_423
	s_branch .LBB45_424
.LBB45_2473:
	s_movk_i32 s4, 0x80
	v_cmp_eq_u16_sdwa s[12:13], v6, s4 src0_sel:BYTE_0 src1_sel:DWORD
	s_mov_b64 s[4:5], -1
                                        ; implicit-def: $sgpr10
	s_and_saveexec_b64 s[8:9], s[12:13]
; %bb.2474:
	s_mov_b32 s10, 0x7f800001
	s_xor_b64 s[4:5], exec, -1
; %bb.2475:
	s_or_b64 exec, exec, s[8:9]
	s_and_b64 s[4:5], s[4:5], exec
	s_or_saveexec_b64 s[6:7], s[6:7]
	v_mov_b32_e32 v2, s10
	s_xor_b64 exec, exec, s[6:7]
	s_cbranch_execz .LBB45_426
.LBB45_2476:
	v_mov_b32_e32 v2, 0
	v_cmp_ne_u16_sdwa s[8:9], v6, v2 src0_sel:BYTE_0 src1_sel:DWORD
	s_andn2_b64 s[4:5], s[4:5], exec
	s_and_b64 s[8:9], s[8:9], exec
	s_or_b64 s[4:5], s[4:5], s[8:9]
	s_or_b64 exec, exec, s[6:7]
	s_and_saveexec_b64 s[6:7], s[4:5]
	s_cbranch_execnz .LBB45_427
	s_branch .LBB45_428
.LBB45_2477:
	s_movk_i32 s4, 0x80
	v_cmp_eq_u16_sdwa s[12:13], v6, s4 src0_sel:BYTE_0 src1_sel:DWORD
	s_mov_b64 s[4:5], -1
                                        ; implicit-def: $sgpr10
	s_and_saveexec_b64 s[8:9], s[12:13]
; %bb.2478:
	s_mov_b32 s10, 0x7f800001
	s_xor_b64 s[4:5], exec, -1
; %bb.2479:
	s_or_b64 exec, exec, s[8:9]
	s_and_b64 s[4:5], s[4:5], exec
	s_or_saveexec_b64 s[6:7], s[6:7]
	v_mov_b32_e32 v10, s10
	s_xor_b64 exec, exec, s[6:7]
	s_cbranch_execz .LBB45_430
.LBB45_2480:
	v_mov_b32_e32 v10, 0
	v_cmp_ne_u16_sdwa s[8:9], v6, v10 src0_sel:BYTE_0 src1_sel:DWORD
	s_andn2_b64 s[4:5], s[4:5], exec
	s_and_b64 s[8:9], s[8:9], exec
	s_or_b64 s[4:5], s[4:5], s[8:9]
	s_or_b64 exec, exec, s[6:7]
	s_and_saveexec_b64 s[6:7], s[4:5]
	s_cbranch_execnz .LBB45_431
	s_branch .LBB45_432
.LBB45_2481:
	s_movk_i32 s4, 0x80
	v_cmp_eq_u16_e32 vcc, s4, v6
	s_mov_b64 s[4:5], -1
                                        ; implicit-def: $sgpr10
	s_and_saveexec_b64 s[8:9], vcc
; %bb.2482:
	s_mov_b32 s10, 0x7f800001
	s_xor_b64 s[4:5], exec, -1
; %bb.2483:
	s_or_b64 exec, exec, s[8:9]
	s_and_b64 s[4:5], s[4:5], exec
                                        ; implicit-def: $vgpr6
	s_or_saveexec_b64 s[6:7], s[6:7]
	v_mov_b32_e32 v2, s10
	s_xor_b64 exec, exec, s[6:7]
	s_cbranch_execz .LBB45_434
.LBB45_2484:
	v_cmp_ne_u16_e32 vcc, 0, v6
	s_andn2_b64 s[4:5], s[4:5], exec
	s_and_b64 s[8:9], vcc, exec
	v_mov_b32_e32 v2, 0
	s_or_b64 s[4:5], s[4:5], s[8:9]
	s_or_b64 exec, exec, s[6:7]
	s_and_saveexec_b64 s[6:7], s[4:5]
	s_cbranch_execnz .LBB45_435
	s_branch .LBB45_436
.LBB45_2485:
	s_movk_i32 s4, 0x80
	v_cmp_eq_u16_e32 vcc, s4, v6
	s_mov_b64 s[4:5], -1
                                        ; implicit-def: $sgpr10
	s_and_saveexec_b64 s[8:9], vcc
; %bb.2486:
	s_mov_b32 s10, 0x7f800001
	s_xor_b64 s[4:5], exec, -1
; %bb.2487:
	s_or_b64 exec, exec, s[8:9]
	s_and_b64 s[4:5], s[4:5], exec
                                        ; implicit-def: $vgpr6
	s_or_saveexec_b64 s[6:7], s[6:7]
	v_mov_b32_e32 v10, s10
	s_xor_b64 exec, exec, s[6:7]
	s_cbranch_execz .LBB45_438
.LBB45_2488:
	v_cmp_ne_u16_e32 vcc, 0, v6
	s_andn2_b64 s[4:5], s[4:5], exec
	s_and_b64 s[8:9], vcc, exec
	v_mov_b32_e32 v10, 0
	s_or_b64 s[4:5], s[4:5], s[8:9]
	s_or_b64 exec, exec, s[6:7]
	s_and_saveexec_b64 s[6:7], s[4:5]
	s_cbranch_execnz .LBB45_439
	s_branch .LBB45_440
.LBB45_2489:
	s_movk_i32 s4, 0x80
	v_cmp_eq_u16_sdwa s[12:13], v7, s4 src0_sel:BYTE_3 src1_sel:DWORD
	s_mov_b64 s[4:5], -1
                                        ; implicit-def: $sgpr10
	s_and_saveexec_b64 s[8:9], s[12:13]
; %bb.2490:
	s_mov_b32 s10, 0x7f800001
	s_xor_b64 s[4:5], exec, -1
; %bb.2491:
	s_or_b64 exec, exec, s[8:9]
	s_and_b64 s[4:5], s[4:5], exec
	s_or_saveexec_b64 s[6:7], s[6:7]
	v_mov_b32_e32 v2, s10
	s_xor_b64 exec, exec, s[6:7]
	s_cbranch_execz .LBB45_442
.LBB45_2492:
	v_mov_b32_e32 v2, 0
	v_cmp_ne_u16_sdwa s[8:9], v7, v2 src0_sel:BYTE_3 src1_sel:DWORD
	s_andn2_b64 s[4:5], s[4:5], exec
	s_and_b64 s[8:9], s[8:9], exec
	s_or_b64 s[4:5], s[4:5], s[8:9]
	s_or_b64 exec, exec, s[6:7]
	s_and_saveexec_b64 s[6:7], s[4:5]
	s_cbranch_execnz .LBB45_443
	s_branch .LBB45_444
.LBB45_2493:
	s_movk_i32 s4, 0x80
	v_cmp_eq_u16_sdwa s[12:13], v3, s4 src0_sel:BYTE_3 src1_sel:DWORD
	s_mov_b64 s[4:5], -1
                                        ; implicit-def: $sgpr10
	s_and_saveexec_b64 s[8:9], s[12:13]
; %bb.2494:
	s_mov_b32 s10, 0x7f800001
	s_xor_b64 s[4:5], exec, -1
; %bb.2495:
	s_or_b64 exec, exec, s[8:9]
	s_and_b64 s[4:5], s[4:5], exec
	s_or_saveexec_b64 s[6:7], s[6:7]
	v_mov_b32_e32 v6, s10
	s_xor_b64 exec, exec, s[6:7]
	s_cbranch_execz .LBB45_446
.LBB45_2496:
	v_mov_b32_e32 v6, 0
	v_cmp_ne_u16_sdwa s[8:9], v3, v6 src0_sel:BYTE_3 src1_sel:DWORD
	s_andn2_b64 s[4:5], s[4:5], exec
	s_and_b64 s[8:9], s[8:9], exec
	s_or_b64 s[4:5], s[4:5], s[8:9]
	s_or_b64 exec, exec, s[6:7]
	s_and_saveexec_b64 s[6:7], s[4:5]
	s_cbranch_execnz .LBB45_447
	s_branch .LBB45_448
.LBB45_2497:
	s_movk_i32 s4, 0x80
	v_cmp_eq_u16_sdwa s[12:13], v8, s4 src0_sel:BYTE_0 src1_sel:DWORD
	s_mov_b64 s[4:5], -1
                                        ; implicit-def: $sgpr10
	s_and_saveexec_b64 s[8:9], s[12:13]
; %bb.2498:
	s_mov_b32 s10, 0x7f800001
	s_xor_b64 s[4:5], exec, -1
; %bb.2499:
	s_or_b64 exec, exec, s[8:9]
	s_and_b64 s[4:5], s[4:5], exec
	s_or_saveexec_b64 s[6:7], s[6:7]
	v_mov_b32_e32 v2, s10
	s_xor_b64 exec, exec, s[6:7]
	s_cbranch_execz .LBB45_450
.LBB45_2500:
	v_mov_b32_e32 v2, 0
	v_cmp_ne_u16_sdwa s[8:9], v8, v2 src0_sel:BYTE_0 src1_sel:DWORD
	s_andn2_b64 s[4:5], s[4:5], exec
	s_and_b64 s[8:9], s[8:9], exec
	s_or_b64 s[4:5], s[4:5], s[8:9]
	s_or_b64 exec, exec, s[6:7]
	s_and_saveexec_b64 s[6:7], s[4:5]
	s_cbranch_execnz .LBB45_451
	s_branch .LBB45_452
.LBB45_2501:
	s_movk_i32 s4, 0x80
	v_cmp_eq_u16_sdwa s[12:13], v4, s4 src0_sel:BYTE_0 src1_sel:DWORD
	s_mov_b64 s[4:5], -1
                                        ; implicit-def: $sgpr10
	s_and_saveexec_b64 s[8:9], s[12:13]
; %bb.2502:
	s_mov_b32 s10, 0x7f800001
	s_xor_b64 s[4:5], exec, -1
; %bb.2503:
	s_or_b64 exec, exec, s[8:9]
	s_and_b64 s[4:5], s[4:5], exec
	s_or_saveexec_b64 s[6:7], s[6:7]
	v_mov_b32_e32 v3, s10
	s_xor_b64 exec, exec, s[6:7]
	s_cbranch_execz .LBB45_454
.LBB45_2504:
	v_mov_b32_e32 v3, 0
	v_cmp_ne_u16_sdwa s[8:9], v4, v3 src0_sel:BYTE_0 src1_sel:DWORD
	s_andn2_b64 s[4:5], s[4:5], exec
	s_and_b64 s[8:9], s[8:9], exec
	s_or_b64 s[4:5], s[4:5], s[8:9]
	s_or_b64 exec, exec, s[6:7]
	s_and_saveexec_b64 s[6:7], s[4:5]
	s_cbranch_execnz .LBB45_455
	s_branch .LBB45_456
.LBB45_2505:
	s_movk_i32 s4, 0x80
	v_cmp_eq_u16_sdwa s[12:13], v3, s4 src0_sel:BYTE_0 src1_sel:DWORD
	s_mov_b64 s[4:5], -1
                                        ; implicit-def: $sgpr10
	s_and_saveexec_b64 s[8:9], s[12:13]
; %bb.2506:
	s_mov_b32 s10, 0x7f800001
	s_xor_b64 s[4:5], exec, -1
; %bb.2507:
	s_or_b64 exec, exec, s[8:9]
	s_and_b64 s[4:5], s[4:5], exec
	s_or_saveexec_b64 s[6:7], s[6:7]
	v_mov_b32_e32 v2, s10
	s_xor_b64 exec, exec, s[6:7]
	s_cbranch_execz .LBB45_458
.LBB45_2508:
	v_mov_b32_e32 v2, 0
	v_cmp_ne_u16_sdwa s[8:9], v3, v2 src0_sel:BYTE_0 src1_sel:DWORD
	s_andn2_b64 s[4:5], s[4:5], exec
	s_and_b64 s[8:9], s[8:9], exec
	s_or_b64 s[4:5], s[4:5], s[8:9]
	s_or_b64 exec, exec, s[6:7]
	s_and_saveexec_b64 s[6:7], s[4:5]
	s_cbranch_execnz .LBB45_459
	s_branch .LBB45_460
.LBB45_2509:
	s_movk_i32 s4, 0x80
	v_cmp_eq_u16_sdwa s[12:13], v3, s4 src0_sel:BYTE_0 src1_sel:DWORD
	s_mov_b64 s[4:5], -1
                                        ; implicit-def: $sgpr10
	s_and_saveexec_b64 s[8:9], s[12:13]
; %bb.2510:
	s_mov_b32 s10, 0x7f800001
	s_xor_b64 s[4:5], exec, -1
; %bb.2511:
	s_or_b64 exec, exec, s[8:9]
	s_and_b64 s[4:5], s[4:5], exec
	s_or_saveexec_b64 s[6:7], s[6:7]
	v_mov_b32_e32 v6, s10
	s_xor_b64 exec, exec, s[6:7]
	s_cbranch_execz .LBB45_462
.LBB45_2512:
	v_mov_b32_e32 v6, 0
	v_cmp_ne_u16_sdwa s[8:9], v3, v6 src0_sel:BYTE_0 src1_sel:DWORD
	s_andn2_b64 s[4:5], s[4:5], exec
	s_and_b64 s[8:9], s[8:9], exec
	s_or_b64 s[4:5], s[4:5], s[8:9]
	s_or_b64 exec, exec, s[6:7]
	s_and_saveexec_b64 s[6:7], s[4:5]
	s_cbranch_execnz .LBB45_463
	s_branch .LBB45_464
.LBB45_2513:
	s_movk_i32 s4, 0x80
	v_cmp_eq_u16_e32 vcc, s4, v3
	s_mov_b64 s[4:5], -1
                                        ; implicit-def: $sgpr10
	s_and_saveexec_b64 s[8:9], vcc
; %bb.2514:
	s_mov_b32 s10, 0x7f800001
	s_xor_b64 s[4:5], exec, -1
; %bb.2515:
	s_or_b64 exec, exec, s[8:9]
	s_and_b64 s[4:5], s[4:5], exec
                                        ; implicit-def: $vgpr3
	s_or_saveexec_b64 s[6:7], s[6:7]
	v_mov_b32_e32 v2, s10
	s_xor_b64 exec, exec, s[6:7]
	s_cbranch_execz .LBB45_466
.LBB45_2516:
	v_cmp_ne_u16_e32 vcc, 0, v3
	s_andn2_b64 s[4:5], s[4:5], exec
	s_and_b64 s[8:9], vcc, exec
	v_mov_b32_e32 v2, 0
	s_or_b64 s[4:5], s[4:5], s[8:9]
	s_or_b64 exec, exec, s[6:7]
	s_and_saveexec_b64 s[6:7], s[4:5]
	s_cbranch_execnz .LBB45_467
	s_branch .LBB45_468
.LBB45_2517:
	s_movk_i32 s4, 0x80
	v_cmp_eq_u16_e32 vcc, s4, v3
	s_mov_b64 s[4:5], -1
                                        ; implicit-def: $sgpr10
	s_and_saveexec_b64 s[8:9], vcc
; %bb.2518:
	s_mov_b32 s10, 0x7f800001
	s_xor_b64 s[4:5], exec, -1
; %bb.2519:
	s_or_b64 exec, exec, s[8:9]
	s_and_b64 s[4:5], s[4:5], exec
                                        ; implicit-def: $vgpr3
	s_or_saveexec_b64 s[6:7], s[6:7]
	v_mov_b32_e32 v6, s10
	s_xor_b64 exec, exec, s[6:7]
	s_cbranch_execz .LBB45_470
.LBB45_2520:
	v_cmp_ne_u16_e32 vcc, 0, v3
	s_andn2_b64 s[4:5], s[4:5], exec
	s_and_b64 s[8:9], vcc, exec
	v_mov_b32_e32 v6, 0
	s_or_b64 s[4:5], s[4:5], s[8:9]
	s_or_b64 exec, exec, s[6:7]
	s_and_saveexec_b64 s[6:7], s[4:5]
	s_cbranch_execnz .LBB45_471
	s_branch .LBB45_472
.LBB45_2521:
	s_movk_i32 s4, 0x80
	v_cmp_eq_u16_sdwa s[12:13], v8, s4 src0_sel:BYTE_3 src1_sel:DWORD
	s_mov_b64 s[4:5], -1
                                        ; implicit-def: $sgpr10
	s_and_saveexec_b64 s[8:9], s[12:13]
; %bb.2522:
	s_mov_b32 s10, 0x7f800001
	s_xor_b64 s[4:5], exec, -1
; %bb.2523:
	s_or_b64 exec, exec, s[8:9]
	s_and_b64 s[4:5], s[4:5], exec
	s_or_saveexec_b64 s[6:7], s[6:7]
	v_mov_b32_e32 v2, s10
	s_xor_b64 exec, exec, s[6:7]
	s_cbranch_execz .LBB45_474
.LBB45_2524:
	v_mov_b32_e32 v2, 0
	v_cmp_ne_u16_sdwa s[8:9], v8, v2 src0_sel:BYTE_3 src1_sel:DWORD
	s_andn2_b64 s[4:5], s[4:5], exec
	s_and_b64 s[8:9], s[8:9], exec
	s_or_b64 s[4:5], s[4:5], s[8:9]
	s_or_b64 exec, exec, s[6:7]
	s_and_saveexec_b64 s[6:7], s[4:5]
	s_cbranch_execnz .LBB45_475
	s_branch .LBB45_476
.LBB45_2525:
	s_movk_i32 s4, 0x80
	v_cmp_eq_u16_sdwa s[12:13], v4, s4 src0_sel:BYTE_3 src1_sel:DWORD
	s_mov_b64 s[4:5], -1
                                        ; implicit-def: $sgpr10
	s_and_saveexec_b64 s[8:9], s[12:13]
; %bb.2526:
	s_mov_b32 s10, 0x7f800001
	s_xor_b64 s[4:5], exec, -1
; %bb.2527:
	s_or_b64 exec, exec, s[8:9]
	s_and_b64 s[4:5], s[4:5], exec
	s_or_saveexec_b64 s[6:7], s[6:7]
	v_mov_b32_e32 v3, s10
	s_xor_b64 exec, exec, s[6:7]
	s_cbranch_execz .LBB45_478
.LBB45_2528:
	v_mov_b32_e32 v3, 0
	v_cmp_ne_u16_sdwa s[8:9], v4, v3 src0_sel:BYTE_3 src1_sel:DWORD
	s_andn2_b64 s[4:5], s[4:5], exec
	s_and_b64 s[8:9], s[8:9], exec
	s_or_b64 s[4:5], s[4:5], s[8:9]
	s_or_b64 exec, exec, s[6:7]
	s_and_saveexec_b64 s[6:7], s[4:5]
	s_cbranch_execnz .LBB45_479
	s_branch .LBB45_480
.LBB45_2529:
	s_movk_i32 s4, 0x80
	v_cmp_eq_u16_sdwa s[12:13], v9, s4 src0_sel:BYTE_0 src1_sel:DWORD
	s_mov_b64 s[4:5], -1
                                        ; implicit-def: $sgpr10
	s_and_saveexec_b64 s[8:9], s[12:13]
; %bb.2530:
	s_mov_b32 s10, 0x7f800001
	s_xor_b64 s[4:5], exec, -1
; %bb.2531:
	s_or_b64 exec, exec, s[8:9]
	s_and_b64 s[4:5], s[4:5], exec
	s_or_saveexec_b64 s[6:7], s[6:7]
	v_mov_b32_e32 v2, s10
	s_xor_b64 exec, exec, s[6:7]
	s_cbranch_execz .LBB45_482
.LBB45_2532:
	v_mov_b32_e32 v2, 0
	v_cmp_ne_u16_sdwa s[8:9], v9, v2 src0_sel:BYTE_0 src1_sel:DWORD
	s_andn2_b64 s[4:5], s[4:5], exec
	s_and_b64 s[8:9], s[8:9], exec
	s_or_b64 s[4:5], s[4:5], s[8:9]
	s_or_b64 exec, exec, s[6:7]
	s_and_saveexec_b64 s[6:7], s[4:5]
	s_cbranch_execnz .LBB45_483
	s_branch .LBB45_484
.LBB45_2533:
	s_movk_i32 s4, 0x80
	v_cmp_eq_u16_sdwa s[12:13], v5, s4 src0_sel:BYTE_0 src1_sel:DWORD
	s_mov_b64 s[4:5], -1
                                        ; implicit-def: $sgpr10
	s_and_saveexec_b64 s[8:9], s[12:13]
; %bb.2534:
	s_mov_b32 s10, 0x7f800001
	s_xor_b64 s[4:5], exec, -1
; %bb.2535:
	s_or_b64 exec, exec, s[8:9]
	s_and_b64 s[4:5], s[4:5], exec
	s_or_saveexec_b64 s[6:7], s[6:7]
	v_mov_b32_e32 v3, s10
	s_xor_b64 exec, exec, s[6:7]
	s_cbranch_execz .LBB45_486
.LBB45_2536:
	v_mov_b32_e32 v3, 0
	v_cmp_ne_u16_sdwa s[8:9], v5, v3 src0_sel:BYTE_0 src1_sel:DWORD
	s_andn2_b64 s[4:5], s[4:5], exec
	s_and_b64 s[8:9], s[8:9], exec
	s_or_b64 s[4:5], s[4:5], s[8:9]
	s_or_b64 exec, exec, s[6:7]
	s_and_saveexec_b64 s[6:7], s[4:5]
	s_cbranch_execnz .LBB45_487
	s_branch .LBB45_488
.LBB45_2537:
	s_movk_i32 s4, 0x80
	v_cmp_eq_u16_sdwa s[12:13], v3, s4 src0_sel:BYTE_0 src1_sel:DWORD
	s_mov_b64 s[4:5], -1
                                        ; implicit-def: $sgpr10
	s_and_saveexec_b64 s[8:9], s[12:13]
; %bb.2538:
	s_mov_b32 s10, 0x7f800001
	s_xor_b64 s[4:5], exec, -1
; %bb.2539:
	s_or_b64 exec, exec, s[8:9]
	s_and_b64 s[4:5], s[4:5], exec
	s_or_saveexec_b64 s[6:7], s[6:7]
	v_mov_b32_e32 v2, s10
	s_xor_b64 exec, exec, s[6:7]
	s_cbranch_execz .LBB45_490
.LBB45_2540:
	v_mov_b32_e32 v2, 0
	v_cmp_ne_u16_sdwa s[8:9], v3, v2 src0_sel:BYTE_0 src1_sel:DWORD
	s_andn2_b64 s[4:5], s[4:5], exec
	s_and_b64 s[8:9], s[8:9], exec
	s_or_b64 s[4:5], s[4:5], s[8:9]
	s_or_b64 exec, exec, s[6:7]
	s_and_saveexec_b64 s[6:7], s[4:5]
	s_cbranch_execnz .LBB45_491
	s_branch .LBB45_492
.LBB45_2541:
	s_movk_i32 s4, 0x80
	v_cmp_eq_u16_sdwa s[12:13], v3, s4 src0_sel:BYTE_0 src1_sel:DWORD
	s_mov_b64 s[4:5], -1
                                        ; implicit-def: $sgpr10
	s_and_saveexec_b64 s[8:9], s[12:13]
; %bb.2542:
	s_mov_b32 s10, 0x7f800001
	s_xor_b64 s[4:5], exec, -1
; %bb.2543:
	s_or_b64 exec, exec, s[8:9]
	s_and_b64 s[4:5], s[4:5], exec
	s_or_saveexec_b64 s[6:7], s[6:7]
	v_mov_b32_e32 v4, s10
	s_xor_b64 exec, exec, s[6:7]
	s_cbranch_execz .LBB45_494
.LBB45_2544:
	v_mov_b32_e32 v4, 0
	v_cmp_ne_u16_sdwa s[8:9], v3, v4 src0_sel:BYTE_0 src1_sel:DWORD
	s_andn2_b64 s[4:5], s[4:5], exec
	s_and_b64 s[8:9], s[8:9], exec
	s_or_b64 s[4:5], s[4:5], s[8:9]
	s_or_b64 exec, exec, s[6:7]
	s_and_saveexec_b64 s[6:7], s[4:5]
	s_cbranch_execnz .LBB45_495
	s_branch .LBB45_496
.LBB45_2545:
	s_movk_i32 s4, 0x80
	v_cmp_eq_u16_e32 vcc, s4, v3
	s_mov_b64 s[4:5], -1
                                        ; implicit-def: $sgpr10
	s_and_saveexec_b64 s[8:9], vcc
; %bb.2546:
	s_mov_b32 s10, 0x7f800001
	s_xor_b64 s[4:5], exec, -1
; %bb.2547:
	s_or_b64 exec, exec, s[8:9]
	s_and_b64 s[4:5], s[4:5], exec
                                        ; implicit-def: $vgpr3
	s_or_saveexec_b64 s[6:7], s[6:7]
	v_mov_b32_e32 v2, s10
	s_xor_b64 exec, exec, s[6:7]
	s_cbranch_execz .LBB45_498
.LBB45_2548:
	v_cmp_ne_u16_e32 vcc, 0, v3
	s_andn2_b64 s[4:5], s[4:5], exec
	s_and_b64 s[8:9], vcc, exec
	v_mov_b32_e32 v2, 0
	s_or_b64 s[4:5], s[4:5], s[8:9]
	s_or_b64 exec, exec, s[6:7]
	s_and_saveexec_b64 s[6:7], s[4:5]
	s_cbranch_execnz .LBB45_499
	s_branch .LBB45_500
.LBB45_2549:
	s_movk_i32 s4, 0x80
	v_cmp_eq_u16_e32 vcc, s4, v3
	s_mov_b64 s[4:5], -1
                                        ; implicit-def: $sgpr10
	s_and_saveexec_b64 s[8:9], vcc
; %bb.2550:
	s_mov_b32 s10, 0x7f800001
	s_xor_b64 s[4:5], exec, -1
; %bb.2551:
	s_or_b64 exec, exec, s[8:9]
	s_and_b64 s[4:5], s[4:5], exec
                                        ; implicit-def: $vgpr3
	s_or_saveexec_b64 s[6:7], s[6:7]
	v_mov_b32_e32 v4, s10
	s_xor_b64 exec, exec, s[6:7]
	s_cbranch_execz .LBB45_502
.LBB45_2552:
	v_cmp_ne_u16_e32 vcc, 0, v3
	s_andn2_b64 s[4:5], s[4:5], exec
	s_and_b64 s[8:9], vcc, exec
	v_mov_b32_e32 v4, 0
	s_or_b64 s[4:5], s[4:5], s[8:9]
	s_or_b64 exec, exec, s[6:7]
	s_and_saveexec_b64 s[6:7], s[4:5]
	s_cbranch_execnz .LBB45_503
	s_branch .LBB45_504
.LBB45_2553:
	s_movk_i32 s4, 0x80
	v_cmp_eq_u16_sdwa s[12:13], v9, s4 src0_sel:BYTE_3 src1_sel:DWORD
	s_mov_b64 s[4:5], -1
                                        ; implicit-def: $sgpr10
	s_and_saveexec_b64 s[8:9], s[12:13]
; %bb.2554:
	s_mov_b32 s10, 0x7f800001
	s_xor_b64 s[4:5], exec, -1
; %bb.2555:
	s_or_b64 exec, exec, s[8:9]
	s_and_b64 s[4:5], s[4:5], exec
	s_or_saveexec_b64 s[6:7], s[6:7]
	v_mov_b32_e32 v2, s10
	s_xor_b64 exec, exec, s[6:7]
	s_cbranch_execz .LBB45_506
.LBB45_2556:
	v_mov_b32_e32 v2, 0
	v_cmp_ne_u16_sdwa s[8:9], v9, v2 src0_sel:BYTE_3 src1_sel:DWORD
	s_andn2_b64 s[4:5], s[4:5], exec
	s_and_b64 s[8:9], s[8:9], exec
	s_or_b64 s[4:5], s[4:5], s[8:9]
	s_or_b64 exec, exec, s[6:7]
	s_and_saveexec_b64 s[6:7], s[4:5]
	s_cbranch_execnz .LBB45_507
	s_branch .LBB45_508
.LBB45_2557:
	s_movk_i32 s4, 0x80
	v_cmp_eq_u16_sdwa s[12:13], v5, s4 src0_sel:BYTE_3 src1_sel:DWORD
	s_mov_b64 s[4:5], -1
                                        ; implicit-def: $sgpr10
	s_and_saveexec_b64 s[8:9], s[12:13]
; %bb.2558:
	s_mov_b32 s10, 0x7f800001
	s_xor_b64 s[4:5], exec, -1
; %bb.2559:
	s_or_b64 exec, exec, s[8:9]
	s_and_b64 s[4:5], s[4:5], exec
	s_or_saveexec_b64 s[6:7], s[6:7]
	v_mov_b32_e32 v3, s10
	s_xor_b64 exec, exec, s[6:7]
	s_cbranch_execz .LBB45_510
.LBB45_2560:
	v_mov_b32_e32 v3, 0
	v_cmp_ne_u16_sdwa s[8:9], v5, v3 src0_sel:BYTE_3 src1_sel:DWORD
	s_andn2_b64 s[4:5], s[4:5], exec
	s_and_b64 s[8:9], s[8:9], exec
	s_or_b64 s[4:5], s[4:5], s[8:9]
	s_or_b64 exec, exec, s[6:7]
	s_and_saveexec_b64 s[6:7], s[4:5]
	s_cbranch_execnz .LBB45_511
	s_branch .LBB45_512
.LBB45_2561:
	s_movk_i32 s4, 0x80
	v_cmp_eq_u16_sdwa s[12:13], v14, s4 src0_sel:BYTE_0 src1_sel:DWORD
	s_mov_b64 s[4:5], -1
                                        ; implicit-def: $sgpr10
	s_and_saveexec_b64 s[8:9], s[12:13]
; %bb.2562:
	s_mov_b32 s10, 0x7f800001
	s_xor_b64 s[4:5], exec, -1
; %bb.2563:
	s_or_b64 exec, exec, s[8:9]
	s_and_b64 s[4:5], s[4:5], exec
	s_or_saveexec_b64 s[6:7], s[6:7]
	v_mov_b32_e32 v20, s10
	s_xor_b64 exec, exec, s[6:7]
	s_cbranch_execz .LBB45_514
.LBB45_2564:
	v_mov_b32_e32 v20, 0
	v_cmp_ne_u16_sdwa s[8:9], v14, v20 src0_sel:BYTE_0 src1_sel:DWORD
	s_andn2_b64 s[4:5], s[4:5], exec
	s_and_b64 s[8:9], s[8:9], exec
	s_or_b64 s[4:5], s[4:5], s[8:9]
	s_or_b64 exec, exec, s[6:7]
	s_and_saveexec_b64 s[6:7], s[4:5]
	s_cbranch_execnz .LBB45_515
	s_branch .LBB45_516
.LBB45_2565:
	s_movk_i32 s4, 0x80
	v_cmp_eq_u16_sdwa s[12:13], v10, s4 src0_sel:BYTE_0 src1_sel:DWORD
	s_mov_b64 s[4:5], -1
                                        ; implicit-def: $sgpr10
	s_and_saveexec_b64 s[8:9], s[12:13]
; %bb.2566:
	s_mov_b32 s10, 0x7f800001
	s_xor_b64 s[4:5], exec, -1
; %bb.2567:
	s_or_b64 exec, exec, s[8:9]
	s_and_b64 s[4:5], s[4:5], exec
	s_or_saveexec_b64 s[6:7], s[6:7]
	v_mov_b32_e32 v21, s10
	s_xor_b64 exec, exec, s[6:7]
	s_cbranch_execz .LBB45_518
.LBB45_2568:
	v_mov_b32_e32 v21, 0
	v_cmp_ne_u16_sdwa s[8:9], v10, v21 src0_sel:BYTE_0 src1_sel:DWORD
	s_andn2_b64 s[4:5], s[4:5], exec
	s_and_b64 s[8:9], s[8:9], exec
	s_or_b64 s[4:5], s[4:5], s[8:9]
	s_or_b64 exec, exec, s[6:7]
	s_and_saveexec_b64 s[6:7], s[4:5]
	s_cbranch_execnz .LBB45_519
	s_branch .LBB45_520
.LBB45_2569:
	s_movk_i32 s4, 0x80
	v_cmp_eq_u16_sdwa s[12:13], v21, s4 src0_sel:BYTE_0 src1_sel:DWORD
	s_mov_b64 s[4:5], -1
                                        ; implicit-def: $sgpr10
	s_and_saveexec_b64 s[8:9], s[12:13]
; %bb.2570:
	s_mov_b32 s10, 0x7f800001
	s_xor_b64 s[4:5], exec, -1
; %bb.2571:
	s_or_b64 exec, exec, s[8:9]
	s_and_b64 s[4:5], s[4:5], exec
	s_or_saveexec_b64 s[6:7], s[6:7]
	v_mov_b32_e32 v20, s10
	s_xor_b64 exec, exec, s[6:7]
	s_cbranch_execz .LBB45_522
.LBB45_2572:
	v_mov_b32_e32 v20, 0
	v_cmp_ne_u16_sdwa s[8:9], v21, v20 src0_sel:BYTE_0 src1_sel:DWORD
	s_andn2_b64 s[4:5], s[4:5], exec
	s_and_b64 s[8:9], s[8:9], exec
	s_or_b64 s[4:5], s[4:5], s[8:9]
	s_or_b64 exec, exec, s[6:7]
	s_and_saveexec_b64 s[6:7], s[4:5]
	s_cbranch_execnz .LBB45_523
	s_branch .LBB45_524
.LBB45_2573:
	s_movk_i32 s4, 0x80
	v_cmp_eq_u16_sdwa s[12:13], v21, s4 src0_sel:BYTE_0 src1_sel:DWORD
	s_mov_b64 s[4:5], -1
                                        ; implicit-def: $sgpr10
	s_and_saveexec_b64 s[8:9], s[12:13]
; %bb.2574:
	s_mov_b32 s10, 0x7f800001
	s_xor_b64 s[4:5], exec, -1
; %bb.2575:
	s_or_b64 exec, exec, s[8:9]
	s_and_b64 s[4:5], s[4:5], exec
	s_or_saveexec_b64 s[6:7], s[6:7]
	v_mov_b32_e32 v22, s10
	s_xor_b64 exec, exec, s[6:7]
	s_cbranch_execz .LBB45_526
.LBB45_2576:
	v_mov_b32_e32 v22, 0
	v_cmp_ne_u16_sdwa s[8:9], v21, v22 src0_sel:BYTE_0 src1_sel:DWORD
	s_andn2_b64 s[4:5], s[4:5], exec
	s_and_b64 s[8:9], s[8:9], exec
	s_or_b64 s[4:5], s[4:5], s[8:9]
	s_or_b64 exec, exec, s[6:7]
	s_and_saveexec_b64 s[6:7], s[4:5]
	s_cbranch_execnz .LBB45_527
	s_branch .LBB45_528
.LBB45_2577:
	s_movk_i32 s4, 0x80
	v_cmp_eq_u16_e32 vcc, s4, v21
	s_mov_b64 s[4:5], -1
                                        ; implicit-def: $sgpr10
	s_and_saveexec_b64 s[8:9], vcc
; %bb.2578:
	s_mov_b32 s10, 0x7f800001
	s_xor_b64 s[4:5], exec, -1
; %bb.2579:
	s_or_b64 exec, exec, s[8:9]
	s_and_b64 s[4:5], s[4:5], exec
                                        ; implicit-def: $vgpr21
	s_or_saveexec_b64 s[6:7], s[6:7]
	v_mov_b32_e32 v20, s10
	s_xor_b64 exec, exec, s[6:7]
	s_cbranch_execz .LBB45_530
.LBB45_2580:
	v_cmp_ne_u16_e32 vcc, 0, v21
	s_andn2_b64 s[4:5], s[4:5], exec
	s_and_b64 s[8:9], vcc, exec
	v_mov_b32_e32 v20, 0
	s_or_b64 s[4:5], s[4:5], s[8:9]
	s_or_b64 exec, exec, s[6:7]
	s_and_saveexec_b64 s[6:7], s[4:5]
	s_cbranch_execnz .LBB45_531
	s_branch .LBB45_532
.LBB45_2581:
	s_movk_i32 s4, 0x80
	v_cmp_eq_u16_e32 vcc, s4, v21
	s_mov_b64 s[4:5], -1
                                        ; implicit-def: $sgpr10
	s_and_saveexec_b64 s[8:9], vcc
; %bb.2582:
	s_mov_b32 s10, 0x7f800001
	s_xor_b64 s[4:5], exec, -1
; %bb.2583:
	s_or_b64 exec, exec, s[8:9]
	s_and_b64 s[4:5], s[4:5], exec
                                        ; implicit-def: $vgpr21
	s_or_saveexec_b64 s[6:7], s[6:7]
	v_mov_b32_e32 v22, s10
	s_xor_b64 exec, exec, s[6:7]
	s_cbranch_execz .LBB45_534
.LBB45_2584:
	v_cmp_ne_u16_e32 vcc, 0, v21
	s_andn2_b64 s[4:5], s[4:5], exec
	s_and_b64 s[8:9], vcc, exec
	v_mov_b32_e32 v22, 0
	s_or_b64 s[4:5], s[4:5], s[8:9]
	s_or_b64 exec, exec, s[6:7]
	s_and_saveexec_b64 s[6:7], s[4:5]
	s_cbranch_execnz .LBB45_535
	s_branch .LBB45_536
.LBB45_2585:
	s_movk_i32 s4, 0x80
	v_cmp_eq_u16_sdwa s[12:13], v14, s4 src0_sel:BYTE_3 src1_sel:DWORD
	s_mov_b64 s[4:5], -1
                                        ; implicit-def: $sgpr10
	s_and_saveexec_b64 s[8:9], s[12:13]
; %bb.2586:
	s_mov_b32 s10, 0x7f800001
	s_xor_b64 s[4:5], exec, -1
; %bb.2587:
	s_or_b64 exec, exec, s[8:9]
	s_and_b64 s[4:5], s[4:5], exec
	s_or_saveexec_b64 s[6:7], s[6:7]
	v_mov_b32_e32 v20, s10
	s_xor_b64 exec, exec, s[6:7]
	s_cbranch_execz .LBB45_538
.LBB45_2588:
	v_mov_b32_e32 v20, 0
	v_cmp_ne_u16_sdwa s[8:9], v14, v20 src0_sel:BYTE_3 src1_sel:DWORD
	s_andn2_b64 s[4:5], s[4:5], exec
	s_and_b64 s[8:9], s[8:9], exec
	s_or_b64 s[4:5], s[4:5], s[8:9]
	s_or_b64 exec, exec, s[6:7]
	s_and_saveexec_b64 s[6:7], s[4:5]
	s_cbranch_execnz .LBB45_539
	s_branch .LBB45_540
.LBB45_2589:
	s_movk_i32 s4, 0x80
	v_cmp_eq_u16_sdwa s[12:13], v10, s4 src0_sel:BYTE_3 src1_sel:DWORD
	s_mov_b64 s[4:5], -1
                                        ; implicit-def: $sgpr10
	s_and_saveexec_b64 s[8:9], s[12:13]
; %bb.2590:
	s_mov_b32 s10, 0x7f800001
	s_xor_b64 s[4:5], exec, -1
; %bb.2591:
	s_or_b64 exec, exec, s[8:9]
	s_and_b64 s[4:5], s[4:5], exec
	s_or_saveexec_b64 s[6:7], s[6:7]
	v_mov_b32_e32 v14, s10
	s_xor_b64 exec, exec, s[6:7]
	s_cbranch_execz .LBB45_542
.LBB45_2592:
	v_mov_b32_e32 v14, 0
	v_cmp_ne_u16_sdwa s[8:9], v10, v14 src0_sel:BYTE_3 src1_sel:DWORD
	s_andn2_b64 s[4:5], s[4:5], exec
	s_and_b64 s[8:9], s[8:9], exec
	s_or_b64 s[4:5], s[4:5], s[8:9]
	s_or_b64 exec, exec, s[6:7]
	s_and_saveexec_b64 s[6:7], s[4:5]
	s_cbranch_execnz .LBB45_543
	s_branch .LBB45_544
.LBB45_2593:
	s_movk_i32 s4, 0x80
	v_cmp_eq_u16_sdwa s[12:13], v15, s4 src0_sel:BYTE_0 src1_sel:DWORD
	s_mov_b64 s[4:5], -1
                                        ; implicit-def: $sgpr10
	s_and_saveexec_b64 s[8:9], s[12:13]
; %bb.2594:
	s_mov_b32 s10, 0x7f800001
	s_xor_b64 s[4:5], exec, -1
; %bb.2595:
	s_or_b64 exec, exec, s[8:9]
	s_and_b64 s[4:5], s[4:5], exec
	s_or_saveexec_b64 s[6:7], s[6:7]
	v_mov_b32_e32 v10, s10
	s_xor_b64 exec, exec, s[6:7]
	s_cbranch_execz .LBB45_546
.LBB45_2596:
	v_mov_b32_e32 v10, 0
	v_cmp_ne_u16_sdwa s[8:9], v15, v10 src0_sel:BYTE_0 src1_sel:DWORD
	s_andn2_b64 s[4:5], s[4:5], exec
	s_and_b64 s[8:9], s[8:9], exec
	s_or_b64 s[4:5], s[4:5], s[8:9]
	s_or_b64 exec, exec, s[6:7]
	s_and_saveexec_b64 s[6:7], s[4:5]
	s_cbranch_execnz .LBB45_547
	s_branch .LBB45_548
.LBB45_2597:
	s_movk_i32 s4, 0x80
	v_cmp_eq_u16_sdwa s[12:13], v11, s4 src0_sel:BYTE_0 src1_sel:DWORD
	s_mov_b64 s[4:5], -1
                                        ; implicit-def: $sgpr10
	s_and_saveexec_b64 s[8:9], s[12:13]
; %bb.2598:
	s_mov_b32 s10, 0x7f800001
	s_xor_b64 s[4:5], exec, -1
; %bb.2599:
	s_or_b64 exec, exec, s[8:9]
	s_and_b64 s[4:5], s[4:5], exec
	s_or_saveexec_b64 s[6:7], s[6:7]
	v_mov_b32_e32 v14, s10
	s_xor_b64 exec, exec, s[6:7]
	s_cbranch_execz .LBB45_550
.LBB45_2600:
	v_mov_b32_e32 v14, 0
	v_cmp_ne_u16_sdwa s[8:9], v11, v14 src0_sel:BYTE_0 src1_sel:DWORD
	s_andn2_b64 s[4:5], s[4:5], exec
	s_and_b64 s[8:9], s[8:9], exec
	s_or_b64 s[4:5], s[4:5], s[8:9]
	s_or_b64 exec, exec, s[6:7]
	s_and_saveexec_b64 s[6:7], s[4:5]
	s_cbranch_execnz .LBB45_551
	s_branch .LBB45_552
.LBB45_2601:
	s_movk_i32 s4, 0x80
	v_cmp_eq_u16_sdwa s[12:13], v14, s4 src0_sel:BYTE_0 src1_sel:DWORD
	s_mov_b64 s[4:5], -1
                                        ; implicit-def: $sgpr10
	s_and_saveexec_b64 s[8:9], s[12:13]
; %bb.2602:
	s_mov_b32 s10, 0x7f800001
	s_xor_b64 s[4:5], exec, -1
; %bb.2603:
	s_or_b64 exec, exec, s[8:9]
	s_and_b64 s[4:5], s[4:5], exec
	s_or_saveexec_b64 s[6:7], s[6:7]
	v_mov_b32_e32 v10, s10
	s_xor_b64 exec, exec, s[6:7]
	s_cbranch_execz .LBB45_554
.LBB45_2604:
	v_mov_b32_e32 v10, 0
	v_cmp_ne_u16_sdwa s[8:9], v14, v10 src0_sel:BYTE_0 src1_sel:DWORD
	s_andn2_b64 s[4:5], s[4:5], exec
	s_and_b64 s[8:9], s[8:9], exec
	s_or_b64 s[4:5], s[4:5], s[8:9]
	s_or_b64 exec, exec, s[6:7]
	s_and_saveexec_b64 s[6:7], s[4:5]
	s_cbranch_execnz .LBB45_555
	s_branch .LBB45_556
.LBB45_2605:
	s_movk_i32 s4, 0x80
	v_cmp_eq_u16_sdwa s[12:13], v14, s4 src0_sel:BYTE_0 src1_sel:DWORD
	s_mov_b64 s[4:5], -1
                                        ; implicit-def: $sgpr10
	s_and_saveexec_b64 s[8:9], s[12:13]
; %bb.2606:
	s_mov_b32 s10, 0x7f800001
	s_xor_b64 s[4:5], exec, -1
; %bb.2607:
	s_or_b64 exec, exec, s[8:9]
	s_and_b64 s[4:5], s[4:5], exec
	s_or_saveexec_b64 s[6:7], s[6:7]
	v_mov_b32_e32 v20, s10
	s_xor_b64 exec, exec, s[6:7]
	s_cbranch_execz .LBB45_558
.LBB45_2608:
	v_mov_b32_e32 v20, 0
	v_cmp_ne_u16_sdwa s[8:9], v14, v20 src0_sel:BYTE_0 src1_sel:DWORD
	s_andn2_b64 s[4:5], s[4:5], exec
	s_and_b64 s[8:9], s[8:9], exec
	s_or_b64 s[4:5], s[4:5], s[8:9]
	s_or_b64 exec, exec, s[6:7]
	s_and_saveexec_b64 s[6:7], s[4:5]
	s_cbranch_execnz .LBB45_559
	s_branch .LBB45_560
.LBB45_2609:
	s_movk_i32 s4, 0x80
	v_cmp_eq_u16_e32 vcc, s4, v14
	s_mov_b64 s[4:5], -1
                                        ; implicit-def: $sgpr10
	s_and_saveexec_b64 s[8:9], vcc
; %bb.2610:
	s_mov_b32 s10, 0x7f800001
	s_xor_b64 s[4:5], exec, -1
; %bb.2611:
	s_or_b64 exec, exec, s[8:9]
	s_and_b64 s[4:5], s[4:5], exec
                                        ; implicit-def: $vgpr14
	s_or_saveexec_b64 s[6:7], s[6:7]
	v_mov_b32_e32 v10, s10
	s_xor_b64 exec, exec, s[6:7]
	s_cbranch_execz .LBB45_562
.LBB45_2612:
	v_cmp_ne_u16_e32 vcc, 0, v14
	s_andn2_b64 s[4:5], s[4:5], exec
	s_and_b64 s[8:9], vcc, exec
	v_mov_b32_e32 v10, 0
	s_or_b64 s[4:5], s[4:5], s[8:9]
	s_or_b64 exec, exec, s[6:7]
	s_and_saveexec_b64 s[6:7], s[4:5]
	s_cbranch_execnz .LBB45_563
	s_branch .LBB45_564
.LBB45_2613:
	s_movk_i32 s4, 0x80
	v_cmp_eq_u16_e32 vcc, s4, v14
	s_mov_b64 s[4:5], -1
                                        ; implicit-def: $sgpr10
	s_and_saveexec_b64 s[8:9], vcc
; %bb.2614:
	s_mov_b32 s10, 0x7f800001
	s_xor_b64 s[4:5], exec, -1
; %bb.2615:
	s_or_b64 exec, exec, s[8:9]
	s_and_b64 s[4:5], s[4:5], exec
                                        ; implicit-def: $vgpr14
	s_or_saveexec_b64 s[6:7], s[6:7]
	v_mov_b32_e32 v20, s10
	s_xor_b64 exec, exec, s[6:7]
	s_cbranch_execz .LBB45_566
.LBB45_2616:
	v_cmp_ne_u16_e32 vcc, 0, v14
	s_andn2_b64 s[4:5], s[4:5], exec
	s_and_b64 s[8:9], vcc, exec
	v_mov_b32_e32 v20, 0
	s_or_b64 s[4:5], s[4:5], s[8:9]
	s_or_b64 exec, exec, s[6:7]
	s_and_saveexec_b64 s[6:7], s[4:5]
	s_cbranch_execnz .LBB45_567
	s_branch .LBB45_568
.LBB45_2617:
	s_movk_i32 s4, 0x80
	v_cmp_eq_u16_sdwa s[12:13], v15, s4 src0_sel:BYTE_3 src1_sel:DWORD
	s_mov_b64 s[4:5], -1
                                        ; implicit-def: $sgpr10
	s_and_saveexec_b64 s[8:9], s[12:13]
; %bb.2618:
	s_mov_b32 s10, 0x7f800001
	s_xor_b64 s[4:5], exec, -1
; %bb.2619:
	s_or_b64 exec, exec, s[8:9]
	s_and_b64 s[4:5], s[4:5], exec
	s_or_saveexec_b64 s[6:7], s[6:7]
	v_mov_b32_e32 v10, s10
	s_xor_b64 exec, exec, s[6:7]
	s_cbranch_execz .LBB45_570
.LBB45_2620:
	v_mov_b32_e32 v10, 0
	v_cmp_ne_u16_sdwa s[8:9], v15, v10 src0_sel:BYTE_3 src1_sel:DWORD
	s_andn2_b64 s[4:5], s[4:5], exec
	s_and_b64 s[8:9], s[8:9], exec
	s_or_b64 s[4:5], s[4:5], s[8:9]
	s_or_b64 exec, exec, s[6:7]
	s_and_saveexec_b64 s[6:7], s[4:5]
	s_cbranch_execnz .LBB45_571
	s_branch .LBB45_572
.LBB45_2621:
	s_movk_i32 s4, 0x80
	v_cmp_eq_u16_sdwa s[12:13], v11, s4 src0_sel:BYTE_3 src1_sel:DWORD
	s_mov_b64 s[4:5], -1
                                        ; implicit-def: $sgpr10
	s_and_saveexec_b64 s[8:9], s[12:13]
; %bb.2622:
	s_mov_b32 s10, 0x7f800001
	s_xor_b64 s[4:5], exec, -1
; %bb.2623:
	s_or_b64 exec, exec, s[8:9]
	s_and_b64 s[4:5], s[4:5], exec
	s_or_saveexec_b64 s[6:7], s[6:7]
	v_mov_b32_e32 v14, s10
	s_xor_b64 exec, exec, s[6:7]
	s_cbranch_execz .LBB45_574
.LBB45_2624:
	v_mov_b32_e32 v14, 0
	v_cmp_ne_u16_sdwa s[8:9], v11, v14 src0_sel:BYTE_3 src1_sel:DWORD
	s_andn2_b64 s[4:5], s[4:5], exec
	s_and_b64 s[8:9], s[8:9], exec
	s_or_b64 s[4:5], s[4:5], s[8:9]
	s_or_b64 exec, exec, s[6:7]
	s_and_saveexec_b64 s[6:7], s[4:5]
	s_cbranch_execnz .LBB45_575
	s_branch .LBB45_576
.LBB45_2625:
	s_movk_i32 s4, 0x80
	v_cmp_eq_u16_sdwa s[12:13], v16, s4 src0_sel:BYTE_0 src1_sel:DWORD
	s_mov_b64 s[4:5], -1
                                        ; implicit-def: $sgpr10
	s_and_saveexec_b64 s[8:9], s[12:13]
; %bb.2626:
	s_mov_b32 s10, 0x7f800001
	s_xor_b64 s[4:5], exec, -1
; %bb.2627:
	s_or_b64 exec, exec, s[8:9]
	s_and_b64 s[4:5], s[4:5], exec
	s_or_saveexec_b64 s[6:7], s[6:7]
	v_mov_b32_e32 v10, s10
	s_xor_b64 exec, exec, s[6:7]
	s_cbranch_execz .LBB45_578
.LBB45_2628:
	v_mov_b32_e32 v10, 0
	v_cmp_ne_u16_sdwa s[8:9], v16, v10 src0_sel:BYTE_0 src1_sel:DWORD
	s_andn2_b64 s[4:5], s[4:5], exec
	s_and_b64 s[8:9], s[8:9], exec
	s_or_b64 s[4:5], s[4:5], s[8:9]
	s_or_b64 exec, exec, s[6:7]
	s_and_saveexec_b64 s[6:7], s[4:5]
	s_cbranch_execnz .LBB45_579
	s_branch .LBB45_580
.LBB45_2629:
	s_movk_i32 s4, 0x80
	v_cmp_eq_u16_sdwa s[12:13], v12, s4 src0_sel:BYTE_0 src1_sel:DWORD
	s_mov_b64 s[4:5], -1
                                        ; implicit-def: $sgpr10
	s_and_saveexec_b64 s[8:9], s[12:13]
; %bb.2630:
	s_mov_b32 s10, 0x7f800001
	s_xor_b64 s[4:5], exec, -1
; %bb.2631:
	s_or_b64 exec, exec, s[8:9]
	s_and_b64 s[4:5], s[4:5], exec
	s_or_saveexec_b64 s[6:7], s[6:7]
	v_mov_b32_e32 v11, s10
	s_xor_b64 exec, exec, s[6:7]
	s_cbranch_execz .LBB45_582
.LBB45_2632:
	v_mov_b32_e32 v11, 0
	v_cmp_ne_u16_sdwa s[8:9], v12, v11 src0_sel:BYTE_0 src1_sel:DWORD
	s_andn2_b64 s[4:5], s[4:5], exec
	s_and_b64 s[8:9], s[8:9], exec
	s_or_b64 s[4:5], s[4:5], s[8:9]
	s_or_b64 exec, exec, s[6:7]
	s_and_saveexec_b64 s[6:7], s[4:5]
	s_cbranch_execnz .LBB45_583
	s_branch .LBB45_584
.LBB45_2633:
	s_movk_i32 s4, 0x80
	v_cmp_eq_u16_sdwa s[12:13], v11, s4 src0_sel:BYTE_0 src1_sel:DWORD
	s_mov_b64 s[4:5], -1
                                        ; implicit-def: $sgpr10
	s_and_saveexec_b64 s[8:9], s[12:13]
; %bb.2634:
	s_mov_b32 s10, 0x7f800001
	s_xor_b64 s[4:5], exec, -1
; %bb.2635:
	s_or_b64 exec, exec, s[8:9]
	s_and_b64 s[4:5], s[4:5], exec
	s_or_saveexec_b64 s[6:7], s[6:7]
	v_mov_b32_e32 v10, s10
	s_xor_b64 exec, exec, s[6:7]
	s_cbranch_execz .LBB45_586
.LBB45_2636:
	v_mov_b32_e32 v10, 0
	v_cmp_ne_u16_sdwa s[8:9], v11, v10 src0_sel:BYTE_0 src1_sel:DWORD
	s_andn2_b64 s[4:5], s[4:5], exec
	s_and_b64 s[8:9], s[8:9], exec
	s_or_b64 s[4:5], s[4:5], s[8:9]
	s_or_b64 exec, exec, s[6:7]
	s_and_saveexec_b64 s[6:7], s[4:5]
	s_cbranch_execnz .LBB45_587
	s_branch .LBB45_588
.LBB45_2637:
	s_movk_i32 s4, 0x80
	v_cmp_eq_u16_sdwa s[12:13], v11, s4 src0_sel:BYTE_0 src1_sel:DWORD
	s_mov_b64 s[4:5], -1
                                        ; implicit-def: $sgpr10
	s_and_saveexec_b64 s[8:9], s[12:13]
; %bb.2638:
	s_mov_b32 s10, 0x7f800001
	s_xor_b64 s[4:5], exec, -1
; %bb.2639:
	s_or_b64 exec, exec, s[8:9]
	s_and_b64 s[4:5], s[4:5], exec
	s_or_saveexec_b64 s[6:7], s[6:7]
	v_mov_b32_e32 v14, s10
	s_xor_b64 exec, exec, s[6:7]
	s_cbranch_execz .LBB45_590
.LBB45_2640:
	v_mov_b32_e32 v14, 0
	v_cmp_ne_u16_sdwa s[8:9], v11, v14 src0_sel:BYTE_0 src1_sel:DWORD
	s_andn2_b64 s[4:5], s[4:5], exec
	s_and_b64 s[8:9], s[8:9], exec
	s_or_b64 s[4:5], s[4:5], s[8:9]
	s_or_b64 exec, exec, s[6:7]
	s_and_saveexec_b64 s[6:7], s[4:5]
	s_cbranch_execnz .LBB45_591
	s_branch .LBB45_592
.LBB45_2641:
	s_movk_i32 s4, 0x80
	v_cmp_eq_u16_e32 vcc, s4, v11
	s_mov_b64 s[4:5], -1
                                        ; implicit-def: $sgpr10
	s_and_saveexec_b64 s[8:9], vcc
; %bb.2642:
	s_mov_b32 s10, 0x7f800001
	s_xor_b64 s[4:5], exec, -1
; %bb.2643:
	s_or_b64 exec, exec, s[8:9]
	s_and_b64 s[4:5], s[4:5], exec
                                        ; implicit-def: $vgpr11
	s_or_saveexec_b64 s[6:7], s[6:7]
	v_mov_b32_e32 v10, s10
	s_xor_b64 exec, exec, s[6:7]
	s_cbranch_execz .LBB45_594
.LBB45_2644:
	v_cmp_ne_u16_e32 vcc, 0, v11
	s_andn2_b64 s[4:5], s[4:5], exec
	s_and_b64 s[8:9], vcc, exec
	v_mov_b32_e32 v10, 0
	s_or_b64 s[4:5], s[4:5], s[8:9]
	s_or_b64 exec, exec, s[6:7]
	s_and_saveexec_b64 s[6:7], s[4:5]
	s_cbranch_execnz .LBB45_595
	s_branch .LBB45_596
.LBB45_2645:
	s_movk_i32 s4, 0x80
	v_cmp_eq_u16_e32 vcc, s4, v11
	s_mov_b64 s[4:5], -1
                                        ; implicit-def: $sgpr10
	s_and_saveexec_b64 s[8:9], vcc
; %bb.2646:
	s_mov_b32 s10, 0x7f800001
	s_xor_b64 s[4:5], exec, -1
; %bb.2647:
	s_or_b64 exec, exec, s[8:9]
	s_and_b64 s[4:5], s[4:5], exec
                                        ; implicit-def: $vgpr11
	s_or_saveexec_b64 s[6:7], s[6:7]
	v_mov_b32_e32 v14, s10
	s_xor_b64 exec, exec, s[6:7]
	s_cbranch_execz .LBB45_598
.LBB45_2648:
	v_cmp_ne_u16_e32 vcc, 0, v11
	s_andn2_b64 s[4:5], s[4:5], exec
	s_and_b64 s[8:9], vcc, exec
	v_mov_b32_e32 v14, 0
	s_or_b64 s[4:5], s[4:5], s[8:9]
	s_or_b64 exec, exec, s[6:7]
	s_and_saveexec_b64 s[6:7], s[4:5]
	s_cbranch_execnz .LBB45_599
	s_branch .LBB45_600
.LBB45_2649:
	s_movk_i32 s4, 0x80
	v_cmp_eq_u16_sdwa s[12:13], v16, s4 src0_sel:BYTE_3 src1_sel:DWORD
	s_mov_b64 s[4:5], -1
                                        ; implicit-def: $sgpr10
	s_and_saveexec_b64 s[8:9], s[12:13]
; %bb.2650:
	s_mov_b32 s10, 0x7f800001
	s_xor_b64 s[4:5], exec, -1
; %bb.2651:
	s_or_b64 exec, exec, s[8:9]
	s_and_b64 s[4:5], s[4:5], exec
	s_or_saveexec_b64 s[6:7], s[6:7]
	v_mov_b32_e32 v10, s10
	s_xor_b64 exec, exec, s[6:7]
	s_cbranch_execz .LBB45_602
.LBB45_2652:
	v_mov_b32_e32 v10, 0
	v_cmp_ne_u16_sdwa s[8:9], v16, v10 src0_sel:BYTE_3 src1_sel:DWORD
	s_andn2_b64 s[4:5], s[4:5], exec
	s_and_b64 s[8:9], s[8:9], exec
	s_or_b64 s[4:5], s[4:5], s[8:9]
	s_or_b64 exec, exec, s[6:7]
	s_and_saveexec_b64 s[6:7], s[4:5]
	s_cbranch_execnz .LBB45_603
	s_branch .LBB45_604
.LBB45_2653:
	s_movk_i32 s4, 0x80
	v_cmp_eq_u16_sdwa s[12:13], v12, s4 src0_sel:BYTE_3 src1_sel:DWORD
	s_mov_b64 s[4:5], -1
                                        ; implicit-def: $sgpr10
	s_and_saveexec_b64 s[8:9], s[12:13]
; %bb.2654:
	s_mov_b32 s10, 0x7f800001
	s_xor_b64 s[4:5], exec, -1
; %bb.2655:
	s_or_b64 exec, exec, s[8:9]
	s_and_b64 s[4:5], s[4:5], exec
	s_or_saveexec_b64 s[6:7], s[6:7]
	v_mov_b32_e32 v11, s10
	s_xor_b64 exec, exec, s[6:7]
	s_cbranch_execz .LBB45_606
.LBB45_2656:
	v_mov_b32_e32 v11, 0
	v_cmp_ne_u16_sdwa s[8:9], v12, v11 src0_sel:BYTE_3 src1_sel:DWORD
	s_andn2_b64 s[4:5], s[4:5], exec
	s_and_b64 s[8:9], s[8:9], exec
	s_or_b64 s[4:5], s[4:5], s[8:9]
	s_or_b64 exec, exec, s[6:7]
	s_and_saveexec_b64 s[6:7], s[4:5]
	s_cbranch_execnz .LBB45_607
	s_branch .LBB45_608
.LBB45_2657:
	s_movk_i32 s4, 0x80
	v_cmp_eq_u16_sdwa s[12:13], v17, s4 src0_sel:BYTE_0 src1_sel:DWORD
	s_mov_b64 s[4:5], -1
                                        ; implicit-def: $sgpr10
	s_and_saveexec_b64 s[8:9], s[12:13]
; %bb.2658:
	s_mov_b32 s10, 0x7f800001
	s_xor_b64 s[4:5], exec, -1
; %bb.2659:
	s_or_b64 exec, exec, s[8:9]
	s_and_b64 s[4:5], s[4:5], exec
	s_or_saveexec_b64 s[6:7], s[6:7]
	v_mov_b32_e32 v10, s10
	s_xor_b64 exec, exec, s[6:7]
	s_cbranch_execz .LBB45_610
.LBB45_2660:
	v_mov_b32_e32 v10, 0
	v_cmp_ne_u16_sdwa s[8:9], v17, v10 src0_sel:BYTE_0 src1_sel:DWORD
	s_andn2_b64 s[4:5], s[4:5], exec
	s_and_b64 s[8:9], s[8:9], exec
	s_or_b64 s[4:5], s[4:5], s[8:9]
	s_or_b64 exec, exec, s[6:7]
	s_and_saveexec_b64 s[6:7], s[4:5]
	s_cbranch_execnz .LBB45_611
	s_branch .LBB45_612
.LBB45_2661:
	s_movk_i32 s4, 0x80
	v_cmp_eq_u16_sdwa s[12:13], v13, s4 src0_sel:BYTE_0 src1_sel:DWORD
	s_mov_b64 s[4:5], -1
                                        ; implicit-def: $sgpr10
	s_and_saveexec_b64 s[8:9], s[12:13]
; %bb.2662:
	s_mov_b32 s10, 0x7f800001
	s_xor_b64 s[4:5], exec, -1
; %bb.2663:
	s_or_b64 exec, exec, s[8:9]
	s_and_b64 s[4:5], s[4:5], exec
	s_or_saveexec_b64 s[6:7], s[6:7]
	v_mov_b32_e32 v11, s10
	s_xor_b64 exec, exec, s[6:7]
	s_cbranch_execz .LBB45_614
.LBB45_2664:
	v_mov_b32_e32 v11, 0
	v_cmp_ne_u16_sdwa s[8:9], v13, v11 src0_sel:BYTE_0 src1_sel:DWORD
	s_andn2_b64 s[4:5], s[4:5], exec
	s_and_b64 s[8:9], s[8:9], exec
	s_or_b64 s[4:5], s[4:5], s[8:9]
	s_or_b64 exec, exec, s[6:7]
	s_and_saveexec_b64 s[6:7], s[4:5]
	s_cbranch_execnz .LBB45_615
	s_branch .LBB45_616
.LBB45_2665:
	s_movk_i32 s4, 0x80
	v_cmp_eq_u16_sdwa s[12:13], v11, s4 src0_sel:BYTE_0 src1_sel:DWORD
	s_mov_b64 s[4:5], -1
                                        ; implicit-def: $sgpr10
	s_and_saveexec_b64 s[8:9], s[12:13]
; %bb.2666:
	s_mov_b32 s10, 0x7f800001
	s_xor_b64 s[4:5], exec, -1
; %bb.2667:
	s_or_b64 exec, exec, s[8:9]
	s_and_b64 s[4:5], s[4:5], exec
	s_or_saveexec_b64 s[6:7], s[6:7]
	v_mov_b32_e32 v10, s10
	s_xor_b64 exec, exec, s[6:7]
	s_cbranch_execz .LBB45_618
.LBB45_2668:
	v_mov_b32_e32 v10, 0
	v_cmp_ne_u16_sdwa s[8:9], v11, v10 src0_sel:BYTE_0 src1_sel:DWORD
	s_andn2_b64 s[4:5], s[4:5], exec
	s_and_b64 s[8:9], s[8:9], exec
	s_or_b64 s[4:5], s[4:5], s[8:9]
	s_or_b64 exec, exec, s[6:7]
	s_and_saveexec_b64 s[6:7], s[4:5]
	s_cbranch_execnz .LBB45_619
	s_branch .LBB45_620
.LBB45_2669:
	s_movk_i32 s4, 0x80
	v_cmp_eq_u16_sdwa s[12:13], v11, s4 src0_sel:BYTE_0 src1_sel:DWORD
	s_mov_b64 s[4:5], -1
                                        ; implicit-def: $sgpr10
	s_and_saveexec_b64 s[8:9], s[12:13]
; %bb.2670:
	s_mov_b32 s10, 0x7f800001
	s_xor_b64 s[4:5], exec, -1
; %bb.2671:
	s_or_b64 exec, exec, s[8:9]
	s_and_b64 s[4:5], s[4:5], exec
	s_or_saveexec_b64 s[6:7], s[6:7]
	v_mov_b32_e32 v12, s10
	s_xor_b64 exec, exec, s[6:7]
	s_cbranch_execz .LBB45_622
.LBB45_2672:
	v_mov_b32_e32 v12, 0
	v_cmp_ne_u16_sdwa s[8:9], v11, v12 src0_sel:BYTE_0 src1_sel:DWORD
	s_andn2_b64 s[4:5], s[4:5], exec
	s_and_b64 s[8:9], s[8:9], exec
	s_or_b64 s[4:5], s[4:5], s[8:9]
	s_or_b64 exec, exec, s[6:7]
	s_and_saveexec_b64 s[6:7], s[4:5]
	s_cbranch_execnz .LBB45_623
	s_branch .LBB45_624
.LBB45_2673:
	s_movk_i32 s4, 0x80
	v_cmp_eq_u16_e32 vcc, s4, v11
	s_mov_b64 s[4:5], -1
                                        ; implicit-def: $sgpr10
	s_and_saveexec_b64 s[8:9], vcc
; %bb.2674:
	s_mov_b32 s10, 0x7f800001
	s_xor_b64 s[4:5], exec, -1
; %bb.2675:
	s_or_b64 exec, exec, s[8:9]
	s_and_b64 s[4:5], s[4:5], exec
                                        ; implicit-def: $vgpr11
	s_or_saveexec_b64 s[6:7], s[6:7]
	v_mov_b32_e32 v10, s10
	s_xor_b64 exec, exec, s[6:7]
	s_cbranch_execz .LBB45_626
.LBB45_2676:
	v_cmp_ne_u16_e32 vcc, 0, v11
	s_andn2_b64 s[4:5], s[4:5], exec
	s_and_b64 s[8:9], vcc, exec
	v_mov_b32_e32 v10, 0
	s_or_b64 s[4:5], s[4:5], s[8:9]
	s_or_b64 exec, exec, s[6:7]
	s_and_saveexec_b64 s[6:7], s[4:5]
	s_cbranch_execnz .LBB45_627
	s_branch .LBB45_628
.LBB45_2677:
	s_movk_i32 s4, 0x80
	v_cmp_eq_u16_e32 vcc, s4, v11
	s_mov_b64 s[4:5], -1
                                        ; implicit-def: $sgpr10
	s_and_saveexec_b64 s[8:9], vcc
; %bb.2678:
	s_mov_b32 s10, 0x7f800001
	s_xor_b64 s[4:5], exec, -1
; %bb.2679:
	s_or_b64 exec, exec, s[8:9]
	s_and_b64 s[4:5], s[4:5], exec
                                        ; implicit-def: $vgpr11
	s_or_saveexec_b64 s[6:7], s[6:7]
	v_mov_b32_e32 v12, s10
	s_xor_b64 exec, exec, s[6:7]
	s_cbranch_execz .LBB45_630
.LBB45_2680:
	v_cmp_ne_u16_e32 vcc, 0, v11
	s_andn2_b64 s[4:5], s[4:5], exec
	s_and_b64 s[8:9], vcc, exec
	v_mov_b32_e32 v12, 0
	s_or_b64 s[4:5], s[4:5], s[8:9]
	s_or_b64 exec, exec, s[6:7]
	s_and_saveexec_b64 s[6:7], s[4:5]
	s_cbranch_execnz .LBB45_631
	s_branch .LBB45_632
.LBB45_2681:
	s_movk_i32 s4, 0x80
	v_cmp_eq_u16_sdwa s[12:13], v17, s4 src0_sel:BYTE_3 src1_sel:DWORD
	s_mov_b64 s[4:5], -1
                                        ; implicit-def: $sgpr10
	s_and_saveexec_b64 s[8:9], s[12:13]
; %bb.2682:
	s_mov_b32 s10, 0x7f800001
	s_xor_b64 s[4:5], exec, -1
; %bb.2683:
	s_or_b64 exec, exec, s[8:9]
	s_and_b64 s[4:5], s[4:5], exec
	s_or_saveexec_b64 s[6:7], s[6:7]
	v_mov_b32_e32 v10, s10
	s_xor_b64 exec, exec, s[6:7]
	s_cbranch_execz .LBB45_634
.LBB45_2684:
	v_mov_b32_e32 v10, 0
	v_cmp_ne_u16_sdwa s[8:9], v17, v10 src0_sel:BYTE_3 src1_sel:DWORD
	s_andn2_b64 s[4:5], s[4:5], exec
	s_and_b64 s[8:9], s[8:9], exec
	s_or_b64 s[4:5], s[4:5], s[8:9]
	s_or_b64 exec, exec, s[6:7]
	s_and_saveexec_b64 s[6:7], s[4:5]
	s_cbranch_execnz .LBB45_635
	s_branch .LBB45_636
.LBB45_2685:
	s_movk_i32 s4, 0x80
	v_cmp_eq_u16_sdwa s[12:13], v13, s4 src0_sel:BYTE_3 src1_sel:DWORD
	s_mov_b64 s[4:5], -1
                                        ; implicit-def: $sgpr10
	s_and_saveexec_b64 s[8:9], s[12:13]
; %bb.2686:
	s_mov_b32 s10, 0x7f800001
	s_xor_b64 s[4:5], exec, -1
; %bb.2687:
	s_or_b64 exec, exec, s[8:9]
	s_and_b64 s[4:5], s[4:5], exec
	s_or_saveexec_b64 s[6:7], s[6:7]
	v_mov_b32_e32 v11, s10
	s_xor_b64 exec, exec, s[6:7]
	s_cbranch_execz .LBB45_638
.LBB45_2688:
	v_mov_b32_e32 v11, 0
	v_cmp_ne_u16_sdwa s[8:9], v13, v11 src0_sel:BYTE_3 src1_sel:DWORD
	s_andn2_b64 s[4:5], s[4:5], exec
	s_and_b64 s[8:9], s[8:9], exec
	s_or_b64 s[4:5], s[4:5], s[8:9]
	s_or_b64 exec, exec, s[6:7]
	s_and_saveexec_b64 s[6:7], s[4:5]
	s_cbranch_execnz .LBB45_639
	s_branch .LBB45_640
.LBB45_2689:
	s_movk_i32 s4, 0x80
	v_cmp_eq_u16_sdwa s[12:13], v6, s4 src0_sel:BYTE_0 src1_sel:DWORD
	s_mov_b64 s[4:5], -1
                                        ; implicit-def: $sgpr10
	s_and_saveexec_b64 s[8:9], s[12:13]
; %bb.2690:
	s_mov_b32 s10, 0x7f800001
	s_xor_b64 s[4:5], exec, -1
; %bb.2691:
	s_or_b64 exec, exec, s[8:9]
	s_and_b64 s[4:5], s[4:5], exec
	s_or_saveexec_b64 s[6:7], s[6:7]
	v_mov_b32_e32 v10, s10
	s_xor_b64 exec, exec, s[6:7]
	s_cbranch_execz .LBB45_642
.LBB45_2692:
	v_mov_b32_e32 v10, 0
	v_cmp_ne_u16_sdwa s[8:9], v6, v10 src0_sel:BYTE_0 src1_sel:DWORD
	s_andn2_b64 s[4:5], s[4:5], exec
	s_and_b64 s[8:9], s[8:9], exec
	s_or_b64 s[4:5], s[4:5], s[8:9]
	s_or_b64 exec, exec, s[6:7]
	s_and_saveexec_b64 s[6:7], s[4:5]
	s_cbranch_execnz .LBB45_643
	s_branch .LBB45_644
.LBB45_2693:
	s_movk_i32 s4, 0x80
	v_cmp_eq_u16_sdwa s[12:13], v2, s4 src0_sel:BYTE_0 src1_sel:DWORD
	s_mov_b64 s[4:5], -1
                                        ; implicit-def: $sgpr10
	s_and_saveexec_b64 s[8:9], s[12:13]
; %bb.2694:
	s_mov_b32 s10, 0x7f800001
	s_xor_b64 s[4:5], exec, -1
; %bb.2695:
	s_or_b64 exec, exec, s[8:9]
	s_and_b64 s[4:5], s[4:5], exec
	s_or_saveexec_b64 s[6:7], s[6:7]
	v_mov_b32_e32 v11, s10
	s_xor_b64 exec, exec, s[6:7]
	s_cbranch_execz .LBB45_646
.LBB45_2696:
	v_mov_b32_e32 v11, 0
	v_cmp_ne_u16_sdwa s[8:9], v2, v11 src0_sel:BYTE_0 src1_sel:DWORD
	s_andn2_b64 s[4:5], s[4:5], exec
	s_and_b64 s[8:9], s[8:9], exec
	s_or_b64 s[4:5], s[4:5], s[8:9]
	s_or_b64 exec, exec, s[6:7]
	s_and_saveexec_b64 s[6:7], s[4:5]
	s_cbranch_execnz .LBB45_647
	s_branch .LBB45_648
.LBB45_2697:
	s_movk_i32 s4, 0x80
	v_cmp_eq_u16_sdwa s[12:13], v11, s4 src0_sel:BYTE_0 src1_sel:DWORD
	s_mov_b64 s[4:5], -1
                                        ; implicit-def: $sgpr10
	s_and_saveexec_b64 s[8:9], s[12:13]
; %bb.2698:
	s_mov_b32 s10, 0x7f800001
	s_xor_b64 s[4:5], exec, -1
; %bb.2699:
	s_or_b64 exec, exec, s[8:9]
	s_and_b64 s[4:5], s[4:5], exec
	s_or_saveexec_b64 s[6:7], s[6:7]
	v_mov_b32_e32 v10, s10
	s_xor_b64 exec, exec, s[6:7]
	s_cbranch_execz .LBB45_650
.LBB45_2700:
	v_mov_b32_e32 v10, 0
	v_cmp_ne_u16_sdwa s[8:9], v11, v10 src0_sel:BYTE_0 src1_sel:DWORD
	s_andn2_b64 s[4:5], s[4:5], exec
	s_and_b64 s[8:9], s[8:9], exec
	s_or_b64 s[4:5], s[4:5], s[8:9]
	s_or_b64 exec, exec, s[6:7]
	s_and_saveexec_b64 s[6:7], s[4:5]
	s_cbranch_execnz .LBB45_651
	s_branch .LBB45_652
.LBB45_2701:
	s_movk_i32 s4, 0x80
	v_cmp_eq_u16_sdwa s[12:13], v11, s4 src0_sel:BYTE_0 src1_sel:DWORD
	s_mov_b64 s[4:5], -1
                                        ; implicit-def: $sgpr10
	s_and_saveexec_b64 s[8:9], s[12:13]
; %bb.2702:
	s_mov_b32 s10, 0x7f800001
	s_xor_b64 s[4:5], exec, -1
; %bb.2703:
	s_or_b64 exec, exec, s[8:9]
	s_and_b64 s[4:5], s[4:5], exec
	s_or_saveexec_b64 s[6:7], s[6:7]
	v_mov_b32_e32 v12, s10
	s_xor_b64 exec, exec, s[6:7]
	s_cbranch_execz .LBB45_654
.LBB45_2704:
	v_mov_b32_e32 v12, 0
	v_cmp_ne_u16_sdwa s[8:9], v11, v12 src0_sel:BYTE_0 src1_sel:DWORD
	s_andn2_b64 s[4:5], s[4:5], exec
	s_and_b64 s[8:9], s[8:9], exec
	s_or_b64 s[4:5], s[4:5], s[8:9]
	s_or_b64 exec, exec, s[6:7]
	s_and_saveexec_b64 s[6:7], s[4:5]
	s_cbranch_execnz .LBB45_655
	s_branch .LBB45_656
.LBB45_2705:
	s_movk_i32 s4, 0x80
	v_cmp_eq_u16_e32 vcc, s4, v11
	s_mov_b64 s[4:5], -1
                                        ; implicit-def: $sgpr10
	s_and_saveexec_b64 s[8:9], vcc
; %bb.2706:
	s_mov_b32 s10, 0x7f800001
	s_xor_b64 s[4:5], exec, -1
; %bb.2707:
	s_or_b64 exec, exec, s[8:9]
	s_and_b64 s[4:5], s[4:5], exec
                                        ; implicit-def: $vgpr11
	s_or_saveexec_b64 s[6:7], s[6:7]
	v_mov_b32_e32 v10, s10
	s_xor_b64 exec, exec, s[6:7]
	s_cbranch_execz .LBB45_658
.LBB45_2708:
	v_cmp_ne_u16_e32 vcc, 0, v11
	s_andn2_b64 s[4:5], s[4:5], exec
	s_and_b64 s[8:9], vcc, exec
	v_mov_b32_e32 v10, 0
	s_or_b64 s[4:5], s[4:5], s[8:9]
	s_or_b64 exec, exec, s[6:7]
	s_and_saveexec_b64 s[6:7], s[4:5]
	s_cbranch_execnz .LBB45_659
	s_branch .LBB45_660
.LBB45_2709:
	s_movk_i32 s4, 0x80
	v_cmp_eq_u16_e32 vcc, s4, v11
	s_mov_b64 s[4:5], -1
                                        ; implicit-def: $sgpr10
	s_and_saveexec_b64 s[8:9], vcc
; %bb.2710:
	s_mov_b32 s10, 0x7f800001
	s_xor_b64 s[4:5], exec, -1
; %bb.2711:
	s_or_b64 exec, exec, s[8:9]
	s_and_b64 s[4:5], s[4:5], exec
                                        ; implicit-def: $vgpr11
	s_or_saveexec_b64 s[6:7], s[6:7]
	v_mov_b32_e32 v12, s10
	s_xor_b64 exec, exec, s[6:7]
	s_cbranch_execz .LBB45_662
.LBB45_2712:
	v_cmp_ne_u16_e32 vcc, 0, v11
	s_andn2_b64 s[4:5], s[4:5], exec
	s_and_b64 s[8:9], vcc, exec
	v_mov_b32_e32 v12, 0
	s_or_b64 s[4:5], s[4:5], s[8:9]
	s_or_b64 exec, exec, s[6:7]
	s_and_saveexec_b64 s[6:7], s[4:5]
	s_cbranch_execnz .LBB45_663
	s_branch .LBB45_664
.LBB45_2713:
	s_movk_i32 s4, 0x80
	v_cmp_eq_u16_sdwa s[12:13], v6, s4 src0_sel:BYTE_3 src1_sel:DWORD
	s_mov_b64 s[4:5], -1
                                        ; implicit-def: $sgpr10
	s_and_saveexec_b64 s[8:9], s[12:13]
; %bb.2714:
	s_mov_b32 s10, 0x7f800001
	s_xor_b64 s[4:5], exec, -1
; %bb.2715:
	s_or_b64 exec, exec, s[8:9]
	s_and_b64 s[4:5], s[4:5], exec
	s_or_saveexec_b64 s[6:7], s[6:7]
	v_mov_b32_e32 v10, s10
	s_xor_b64 exec, exec, s[6:7]
	s_cbranch_execz .LBB45_666
.LBB45_2716:
	v_mov_b32_e32 v10, 0
	v_cmp_ne_u16_sdwa s[8:9], v6, v10 src0_sel:BYTE_3 src1_sel:DWORD
	s_andn2_b64 s[4:5], s[4:5], exec
	s_and_b64 s[8:9], s[8:9], exec
	s_or_b64 s[4:5], s[4:5], s[8:9]
	s_or_b64 exec, exec, s[6:7]
	s_and_saveexec_b64 s[6:7], s[4:5]
	s_cbranch_execnz .LBB45_667
	s_branch .LBB45_668
.LBB45_2717:
	s_movk_i32 s4, 0x80
	v_cmp_eq_u16_sdwa s[12:13], v2, s4 src0_sel:BYTE_3 src1_sel:DWORD
	s_mov_b64 s[4:5], -1
                                        ; implicit-def: $sgpr10
	s_and_saveexec_b64 s[8:9], s[12:13]
; %bb.2718:
	s_mov_b32 s10, 0x7f800001
	s_xor_b64 s[4:5], exec, -1
; %bb.2719:
	s_or_b64 exec, exec, s[8:9]
	s_and_b64 s[4:5], s[4:5], exec
	s_or_saveexec_b64 s[6:7], s[6:7]
	v_mov_b32_e32 v6, s10
	s_xor_b64 exec, exec, s[6:7]
	s_cbranch_execz .LBB45_670
.LBB45_2720:
	v_mov_b32_e32 v6, 0
	v_cmp_ne_u16_sdwa s[8:9], v2, v6 src0_sel:BYTE_3 src1_sel:DWORD
	s_andn2_b64 s[4:5], s[4:5], exec
	s_and_b64 s[8:9], s[8:9], exec
	s_or_b64 s[4:5], s[4:5], s[8:9]
	s_or_b64 exec, exec, s[6:7]
	s_and_saveexec_b64 s[6:7], s[4:5]
	s_cbranch_execnz .LBB45_671
	s_branch .LBB45_672
.LBB45_2721:
	s_movk_i32 s4, 0x80
	v_cmp_eq_u16_sdwa s[12:13], v7, s4 src0_sel:BYTE_0 src1_sel:DWORD
	s_mov_b64 s[4:5], -1
                                        ; implicit-def: $sgpr10
	s_and_saveexec_b64 s[8:9], s[12:13]
; %bb.2722:
	s_mov_b32 s10, 0x7f800001
	s_xor_b64 s[4:5], exec, -1
; %bb.2723:
	s_or_b64 exec, exec, s[8:9]
	s_and_b64 s[4:5], s[4:5], exec
	s_or_saveexec_b64 s[6:7], s[6:7]
	v_mov_b32_e32 v2, s10
	s_xor_b64 exec, exec, s[6:7]
	s_cbranch_execz .LBB45_674
.LBB45_2724:
	v_mov_b32_e32 v2, 0
	v_cmp_ne_u16_sdwa s[8:9], v7, v2 src0_sel:BYTE_0 src1_sel:DWORD
	s_andn2_b64 s[4:5], s[4:5], exec
	s_and_b64 s[8:9], s[8:9], exec
	s_or_b64 s[4:5], s[4:5], s[8:9]
	s_or_b64 exec, exec, s[6:7]
	s_and_saveexec_b64 s[6:7], s[4:5]
	s_cbranch_execnz .LBB45_675
	s_branch .LBB45_676
.LBB45_2725:
	s_movk_i32 s4, 0x80
	v_cmp_eq_u16_sdwa s[12:13], v3, s4 src0_sel:BYTE_0 src1_sel:DWORD
	s_mov_b64 s[4:5], -1
                                        ; implicit-def: $sgpr10
	s_and_saveexec_b64 s[8:9], s[12:13]
; %bb.2726:
	s_mov_b32 s10, 0x7f800001
	s_xor_b64 s[4:5], exec, -1
; %bb.2727:
	s_or_b64 exec, exec, s[8:9]
	s_and_b64 s[4:5], s[4:5], exec
	s_or_saveexec_b64 s[6:7], s[6:7]
	v_mov_b32_e32 v6, s10
	s_xor_b64 exec, exec, s[6:7]
	s_cbranch_execz .LBB45_678
.LBB45_2728:
	v_mov_b32_e32 v6, 0
	v_cmp_ne_u16_sdwa s[8:9], v3, v6 src0_sel:BYTE_0 src1_sel:DWORD
	s_andn2_b64 s[4:5], s[4:5], exec
	s_and_b64 s[8:9], s[8:9], exec
	s_or_b64 s[4:5], s[4:5], s[8:9]
	s_or_b64 exec, exec, s[6:7]
	s_and_saveexec_b64 s[6:7], s[4:5]
	s_cbranch_execnz .LBB45_679
	s_branch .LBB45_680
.LBB45_2729:
	s_movk_i32 s4, 0x80
	v_cmp_eq_u16_sdwa s[12:13], v6, s4 src0_sel:BYTE_0 src1_sel:DWORD
	s_mov_b64 s[4:5], -1
                                        ; implicit-def: $sgpr10
	s_and_saveexec_b64 s[8:9], s[12:13]
; %bb.2730:
	s_mov_b32 s10, 0x7f800001
	s_xor_b64 s[4:5], exec, -1
; %bb.2731:
	s_or_b64 exec, exec, s[8:9]
	s_and_b64 s[4:5], s[4:5], exec
	s_or_saveexec_b64 s[6:7], s[6:7]
	v_mov_b32_e32 v2, s10
	s_xor_b64 exec, exec, s[6:7]
	s_cbranch_execz .LBB45_682
.LBB45_2732:
	v_mov_b32_e32 v2, 0
	v_cmp_ne_u16_sdwa s[8:9], v6, v2 src0_sel:BYTE_0 src1_sel:DWORD
	s_andn2_b64 s[4:5], s[4:5], exec
	s_and_b64 s[8:9], s[8:9], exec
	s_or_b64 s[4:5], s[4:5], s[8:9]
	s_or_b64 exec, exec, s[6:7]
	s_and_saveexec_b64 s[6:7], s[4:5]
	s_cbranch_execnz .LBB45_683
	s_branch .LBB45_684
.LBB45_2733:
	s_movk_i32 s4, 0x80
	v_cmp_eq_u16_sdwa s[12:13], v6, s4 src0_sel:BYTE_0 src1_sel:DWORD
	s_mov_b64 s[4:5], -1
                                        ; implicit-def: $sgpr10
	s_and_saveexec_b64 s[8:9], s[12:13]
; %bb.2734:
	s_mov_b32 s10, 0x7f800001
	s_xor_b64 s[4:5], exec, -1
; %bb.2735:
	s_or_b64 exec, exec, s[8:9]
	s_and_b64 s[4:5], s[4:5], exec
	s_or_saveexec_b64 s[6:7], s[6:7]
	v_mov_b32_e32 v10, s10
	s_xor_b64 exec, exec, s[6:7]
	s_cbranch_execz .LBB45_686
.LBB45_2736:
	v_mov_b32_e32 v10, 0
	v_cmp_ne_u16_sdwa s[8:9], v6, v10 src0_sel:BYTE_0 src1_sel:DWORD
	s_andn2_b64 s[4:5], s[4:5], exec
	s_and_b64 s[8:9], s[8:9], exec
	s_or_b64 s[4:5], s[4:5], s[8:9]
	s_or_b64 exec, exec, s[6:7]
	s_and_saveexec_b64 s[6:7], s[4:5]
	s_cbranch_execnz .LBB45_687
	s_branch .LBB45_688
.LBB45_2737:
	s_movk_i32 s4, 0x80
	v_cmp_eq_u16_e32 vcc, s4, v6
	s_mov_b64 s[4:5], -1
                                        ; implicit-def: $sgpr10
	s_and_saveexec_b64 s[8:9], vcc
; %bb.2738:
	s_mov_b32 s10, 0x7f800001
	s_xor_b64 s[4:5], exec, -1
; %bb.2739:
	s_or_b64 exec, exec, s[8:9]
	s_and_b64 s[4:5], s[4:5], exec
                                        ; implicit-def: $vgpr6
	s_or_saveexec_b64 s[6:7], s[6:7]
	v_mov_b32_e32 v2, s10
	s_xor_b64 exec, exec, s[6:7]
	s_cbranch_execz .LBB45_690
.LBB45_2740:
	v_cmp_ne_u16_e32 vcc, 0, v6
	s_andn2_b64 s[4:5], s[4:5], exec
	s_and_b64 s[8:9], vcc, exec
	v_mov_b32_e32 v2, 0
	s_or_b64 s[4:5], s[4:5], s[8:9]
	s_or_b64 exec, exec, s[6:7]
	s_and_saveexec_b64 s[6:7], s[4:5]
	s_cbranch_execnz .LBB45_691
	s_branch .LBB45_692
.LBB45_2741:
	s_movk_i32 s4, 0x80
	v_cmp_eq_u16_e32 vcc, s4, v6
	s_mov_b64 s[4:5], -1
                                        ; implicit-def: $sgpr10
	s_and_saveexec_b64 s[8:9], vcc
; %bb.2742:
	s_mov_b32 s10, 0x7f800001
	s_xor_b64 s[4:5], exec, -1
; %bb.2743:
	s_or_b64 exec, exec, s[8:9]
	s_and_b64 s[4:5], s[4:5], exec
                                        ; implicit-def: $vgpr6
	s_or_saveexec_b64 s[6:7], s[6:7]
	v_mov_b32_e32 v10, s10
	s_xor_b64 exec, exec, s[6:7]
	s_cbranch_execz .LBB45_694
.LBB45_2744:
	v_cmp_ne_u16_e32 vcc, 0, v6
	s_andn2_b64 s[4:5], s[4:5], exec
	s_and_b64 s[8:9], vcc, exec
	v_mov_b32_e32 v10, 0
	s_or_b64 s[4:5], s[4:5], s[8:9]
	s_or_b64 exec, exec, s[6:7]
	s_and_saveexec_b64 s[6:7], s[4:5]
	s_cbranch_execnz .LBB45_695
	s_branch .LBB45_696
.LBB45_2745:
	s_movk_i32 s4, 0x80
	v_cmp_eq_u16_sdwa s[12:13], v7, s4 src0_sel:BYTE_3 src1_sel:DWORD
	s_mov_b64 s[4:5], -1
                                        ; implicit-def: $sgpr10
	s_and_saveexec_b64 s[8:9], s[12:13]
; %bb.2746:
	s_mov_b32 s10, 0x7f800001
	s_xor_b64 s[4:5], exec, -1
; %bb.2747:
	s_or_b64 exec, exec, s[8:9]
	s_and_b64 s[4:5], s[4:5], exec
	s_or_saveexec_b64 s[6:7], s[6:7]
	v_mov_b32_e32 v2, s10
	s_xor_b64 exec, exec, s[6:7]
	s_cbranch_execz .LBB45_698
.LBB45_2748:
	v_mov_b32_e32 v2, 0
	v_cmp_ne_u16_sdwa s[8:9], v7, v2 src0_sel:BYTE_3 src1_sel:DWORD
	s_andn2_b64 s[4:5], s[4:5], exec
	s_and_b64 s[8:9], s[8:9], exec
	s_or_b64 s[4:5], s[4:5], s[8:9]
	s_or_b64 exec, exec, s[6:7]
	s_and_saveexec_b64 s[6:7], s[4:5]
	s_cbranch_execnz .LBB45_699
	s_branch .LBB45_700
.LBB45_2749:
	s_movk_i32 s4, 0x80
	v_cmp_eq_u16_sdwa s[12:13], v3, s4 src0_sel:BYTE_3 src1_sel:DWORD
	s_mov_b64 s[4:5], -1
                                        ; implicit-def: $sgpr10
	s_and_saveexec_b64 s[8:9], s[12:13]
; %bb.2750:
	s_mov_b32 s10, 0x7f800001
	s_xor_b64 s[4:5], exec, -1
; %bb.2751:
	s_or_b64 exec, exec, s[8:9]
	s_and_b64 s[4:5], s[4:5], exec
	s_or_saveexec_b64 s[6:7], s[6:7]
	v_mov_b32_e32 v6, s10
	s_xor_b64 exec, exec, s[6:7]
	s_cbranch_execz .LBB45_702
.LBB45_2752:
	v_mov_b32_e32 v6, 0
	v_cmp_ne_u16_sdwa s[8:9], v3, v6 src0_sel:BYTE_3 src1_sel:DWORD
	s_andn2_b64 s[4:5], s[4:5], exec
	s_and_b64 s[8:9], s[8:9], exec
	s_or_b64 s[4:5], s[4:5], s[8:9]
	s_or_b64 exec, exec, s[6:7]
	s_and_saveexec_b64 s[6:7], s[4:5]
	s_cbranch_execnz .LBB45_703
	s_branch .LBB45_704
.LBB45_2753:
	s_movk_i32 s4, 0x80
	v_cmp_eq_u16_sdwa s[12:13], v8, s4 src0_sel:BYTE_0 src1_sel:DWORD
	s_mov_b64 s[4:5], -1
                                        ; implicit-def: $sgpr10
	s_and_saveexec_b64 s[8:9], s[12:13]
; %bb.2754:
	s_mov_b32 s10, 0x7f800001
	s_xor_b64 s[4:5], exec, -1
; %bb.2755:
	s_or_b64 exec, exec, s[8:9]
	s_and_b64 s[4:5], s[4:5], exec
	s_or_saveexec_b64 s[6:7], s[6:7]
	v_mov_b32_e32 v2, s10
	s_xor_b64 exec, exec, s[6:7]
	s_cbranch_execz .LBB45_706
.LBB45_2756:
	v_mov_b32_e32 v2, 0
	v_cmp_ne_u16_sdwa s[8:9], v8, v2 src0_sel:BYTE_0 src1_sel:DWORD
	s_andn2_b64 s[4:5], s[4:5], exec
	s_and_b64 s[8:9], s[8:9], exec
	s_or_b64 s[4:5], s[4:5], s[8:9]
	s_or_b64 exec, exec, s[6:7]
	s_and_saveexec_b64 s[6:7], s[4:5]
	s_cbranch_execnz .LBB45_707
	s_branch .LBB45_708
.LBB45_2757:
	s_movk_i32 s4, 0x80
	v_cmp_eq_u16_sdwa s[12:13], v4, s4 src0_sel:BYTE_0 src1_sel:DWORD
	s_mov_b64 s[4:5], -1
                                        ; implicit-def: $sgpr10
	s_and_saveexec_b64 s[8:9], s[12:13]
; %bb.2758:
	s_mov_b32 s10, 0x7f800001
	s_xor_b64 s[4:5], exec, -1
; %bb.2759:
	s_or_b64 exec, exec, s[8:9]
	s_and_b64 s[4:5], s[4:5], exec
	s_or_saveexec_b64 s[6:7], s[6:7]
	v_mov_b32_e32 v3, s10
	s_xor_b64 exec, exec, s[6:7]
	s_cbranch_execz .LBB45_710
.LBB45_2760:
	v_mov_b32_e32 v3, 0
	v_cmp_ne_u16_sdwa s[8:9], v4, v3 src0_sel:BYTE_0 src1_sel:DWORD
	s_andn2_b64 s[4:5], s[4:5], exec
	s_and_b64 s[8:9], s[8:9], exec
	s_or_b64 s[4:5], s[4:5], s[8:9]
	s_or_b64 exec, exec, s[6:7]
	s_and_saveexec_b64 s[6:7], s[4:5]
	s_cbranch_execnz .LBB45_711
	s_branch .LBB45_712
.LBB45_2761:
	s_movk_i32 s4, 0x80
	v_cmp_eq_u16_sdwa s[12:13], v3, s4 src0_sel:BYTE_0 src1_sel:DWORD
	s_mov_b64 s[4:5], -1
                                        ; implicit-def: $sgpr10
	s_and_saveexec_b64 s[8:9], s[12:13]
; %bb.2762:
	s_mov_b32 s10, 0x7f800001
	s_xor_b64 s[4:5], exec, -1
; %bb.2763:
	s_or_b64 exec, exec, s[8:9]
	s_and_b64 s[4:5], s[4:5], exec
	s_or_saveexec_b64 s[6:7], s[6:7]
	v_mov_b32_e32 v2, s10
	s_xor_b64 exec, exec, s[6:7]
	s_cbranch_execz .LBB45_714
.LBB45_2764:
	v_mov_b32_e32 v2, 0
	v_cmp_ne_u16_sdwa s[8:9], v3, v2 src0_sel:BYTE_0 src1_sel:DWORD
	s_andn2_b64 s[4:5], s[4:5], exec
	s_and_b64 s[8:9], s[8:9], exec
	s_or_b64 s[4:5], s[4:5], s[8:9]
	s_or_b64 exec, exec, s[6:7]
	s_and_saveexec_b64 s[6:7], s[4:5]
	s_cbranch_execnz .LBB45_715
	s_branch .LBB45_716
.LBB45_2765:
	s_movk_i32 s4, 0x80
	v_cmp_eq_u16_sdwa s[12:13], v3, s4 src0_sel:BYTE_0 src1_sel:DWORD
	s_mov_b64 s[4:5], -1
                                        ; implicit-def: $sgpr10
	s_and_saveexec_b64 s[8:9], s[12:13]
; %bb.2766:
	s_mov_b32 s10, 0x7f800001
	s_xor_b64 s[4:5], exec, -1
; %bb.2767:
	s_or_b64 exec, exec, s[8:9]
	s_and_b64 s[4:5], s[4:5], exec
	s_or_saveexec_b64 s[6:7], s[6:7]
	v_mov_b32_e32 v6, s10
	s_xor_b64 exec, exec, s[6:7]
	s_cbranch_execz .LBB45_718
.LBB45_2768:
	v_mov_b32_e32 v6, 0
	v_cmp_ne_u16_sdwa s[8:9], v3, v6 src0_sel:BYTE_0 src1_sel:DWORD
	s_andn2_b64 s[4:5], s[4:5], exec
	s_and_b64 s[8:9], s[8:9], exec
	s_or_b64 s[4:5], s[4:5], s[8:9]
	s_or_b64 exec, exec, s[6:7]
	s_and_saveexec_b64 s[6:7], s[4:5]
	s_cbranch_execnz .LBB45_719
	s_branch .LBB45_720
.LBB45_2769:
	s_movk_i32 s4, 0x80
	v_cmp_eq_u16_e32 vcc, s4, v3
	s_mov_b64 s[4:5], -1
                                        ; implicit-def: $sgpr10
	s_and_saveexec_b64 s[8:9], vcc
; %bb.2770:
	s_mov_b32 s10, 0x7f800001
	s_xor_b64 s[4:5], exec, -1
; %bb.2771:
	s_or_b64 exec, exec, s[8:9]
	s_and_b64 s[4:5], s[4:5], exec
                                        ; implicit-def: $vgpr3
	s_or_saveexec_b64 s[6:7], s[6:7]
	v_mov_b32_e32 v2, s10
	s_xor_b64 exec, exec, s[6:7]
	s_cbranch_execz .LBB45_722
.LBB45_2772:
	v_cmp_ne_u16_e32 vcc, 0, v3
	s_andn2_b64 s[4:5], s[4:5], exec
	s_and_b64 s[8:9], vcc, exec
	v_mov_b32_e32 v2, 0
	s_or_b64 s[4:5], s[4:5], s[8:9]
	s_or_b64 exec, exec, s[6:7]
	s_and_saveexec_b64 s[6:7], s[4:5]
	s_cbranch_execnz .LBB45_723
	s_branch .LBB45_724
.LBB45_2773:
	s_movk_i32 s4, 0x80
	v_cmp_eq_u16_e32 vcc, s4, v3
	s_mov_b64 s[4:5], -1
                                        ; implicit-def: $sgpr10
	s_and_saveexec_b64 s[8:9], vcc
; %bb.2774:
	s_mov_b32 s10, 0x7f800001
	s_xor_b64 s[4:5], exec, -1
; %bb.2775:
	s_or_b64 exec, exec, s[8:9]
	s_and_b64 s[4:5], s[4:5], exec
                                        ; implicit-def: $vgpr3
	s_or_saveexec_b64 s[6:7], s[6:7]
	v_mov_b32_e32 v6, s10
	s_xor_b64 exec, exec, s[6:7]
	s_cbranch_execz .LBB45_726
.LBB45_2776:
	v_cmp_ne_u16_e32 vcc, 0, v3
	s_andn2_b64 s[4:5], s[4:5], exec
	s_and_b64 s[8:9], vcc, exec
	v_mov_b32_e32 v6, 0
	s_or_b64 s[4:5], s[4:5], s[8:9]
	s_or_b64 exec, exec, s[6:7]
	s_and_saveexec_b64 s[6:7], s[4:5]
	s_cbranch_execnz .LBB45_727
	s_branch .LBB45_728
.LBB45_2777:
	s_movk_i32 s4, 0x80
	v_cmp_eq_u16_sdwa s[12:13], v8, s4 src0_sel:BYTE_3 src1_sel:DWORD
	s_mov_b64 s[4:5], -1
                                        ; implicit-def: $sgpr10
	s_and_saveexec_b64 s[8:9], s[12:13]
; %bb.2778:
	s_mov_b32 s10, 0x7f800001
	s_xor_b64 s[4:5], exec, -1
; %bb.2779:
	s_or_b64 exec, exec, s[8:9]
	s_and_b64 s[4:5], s[4:5], exec
	s_or_saveexec_b64 s[6:7], s[6:7]
	v_mov_b32_e32 v2, s10
	s_xor_b64 exec, exec, s[6:7]
	s_cbranch_execz .LBB45_730
.LBB45_2780:
	v_mov_b32_e32 v2, 0
	v_cmp_ne_u16_sdwa s[8:9], v8, v2 src0_sel:BYTE_3 src1_sel:DWORD
	s_andn2_b64 s[4:5], s[4:5], exec
	s_and_b64 s[8:9], s[8:9], exec
	s_or_b64 s[4:5], s[4:5], s[8:9]
	s_or_b64 exec, exec, s[6:7]
	s_and_saveexec_b64 s[6:7], s[4:5]
	s_cbranch_execnz .LBB45_731
	s_branch .LBB45_732
.LBB45_2781:
	s_movk_i32 s4, 0x80
	v_cmp_eq_u16_sdwa s[12:13], v4, s4 src0_sel:BYTE_3 src1_sel:DWORD
	s_mov_b64 s[4:5], -1
                                        ; implicit-def: $sgpr10
	s_and_saveexec_b64 s[8:9], s[12:13]
; %bb.2782:
	s_mov_b32 s10, 0x7f800001
	s_xor_b64 s[4:5], exec, -1
; %bb.2783:
	s_or_b64 exec, exec, s[8:9]
	s_and_b64 s[4:5], s[4:5], exec
	s_or_saveexec_b64 s[6:7], s[6:7]
	v_mov_b32_e32 v3, s10
	s_xor_b64 exec, exec, s[6:7]
	s_cbranch_execz .LBB45_734
.LBB45_2784:
	v_mov_b32_e32 v3, 0
	v_cmp_ne_u16_sdwa s[8:9], v4, v3 src0_sel:BYTE_3 src1_sel:DWORD
	s_andn2_b64 s[4:5], s[4:5], exec
	s_and_b64 s[8:9], s[8:9], exec
	s_or_b64 s[4:5], s[4:5], s[8:9]
	s_or_b64 exec, exec, s[6:7]
	s_and_saveexec_b64 s[6:7], s[4:5]
	s_cbranch_execnz .LBB45_735
	s_branch .LBB45_736
.LBB45_2785:
	s_movk_i32 s4, 0x80
	v_cmp_eq_u16_sdwa s[12:13], v9, s4 src0_sel:BYTE_0 src1_sel:DWORD
	s_mov_b64 s[4:5], -1
                                        ; implicit-def: $sgpr10
	s_and_saveexec_b64 s[8:9], s[12:13]
; %bb.2786:
	s_mov_b32 s10, 0x7f800001
	s_xor_b64 s[4:5], exec, -1
; %bb.2787:
	s_or_b64 exec, exec, s[8:9]
	s_and_b64 s[4:5], s[4:5], exec
	s_or_saveexec_b64 s[6:7], s[6:7]
	v_mov_b32_e32 v2, s10
	s_xor_b64 exec, exec, s[6:7]
	s_cbranch_execz .LBB45_738
.LBB45_2788:
	v_mov_b32_e32 v2, 0
	v_cmp_ne_u16_sdwa s[8:9], v9, v2 src0_sel:BYTE_0 src1_sel:DWORD
	s_andn2_b64 s[4:5], s[4:5], exec
	s_and_b64 s[8:9], s[8:9], exec
	s_or_b64 s[4:5], s[4:5], s[8:9]
	s_or_b64 exec, exec, s[6:7]
	s_and_saveexec_b64 s[6:7], s[4:5]
	s_cbranch_execnz .LBB45_739
	s_branch .LBB45_740
.LBB45_2789:
	s_movk_i32 s4, 0x80
	v_cmp_eq_u16_sdwa s[12:13], v5, s4 src0_sel:BYTE_0 src1_sel:DWORD
	s_mov_b64 s[4:5], -1
                                        ; implicit-def: $sgpr10
	s_and_saveexec_b64 s[8:9], s[12:13]
; %bb.2790:
	s_mov_b32 s10, 0x7f800001
	s_xor_b64 s[4:5], exec, -1
; %bb.2791:
	s_or_b64 exec, exec, s[8:9]
	s_and_b64 s[4:5], s[4:5], exec
	s_or_saveexec_b64 s[6:7], s[6:7]
	v_mov_b32_e32 v3, s10
	s_xor_b64 exec, exec, s[6:7]
	s_cbranch_execz .LBB45_742
.LBB45_2792:
	v_mov_b32_e32 v3, 0
	v_cmp_ne_u16_sdwa s[8:9], v5, v3 src0_sel:BYTE_0 src1_sel:DWORD
	s_andn2_b64 s[4:5], s[4:5], exec
	s_and_b64 s[8:9], s[8:9], exec
	s_or_b64 s[4:5], s[4:5], s[8:9]
	s_or_b64 exec, exec, s[6:7]
	s_and_saveexec_b64 s[6:7], s[4:5]
	s_cbranch_execnz .LBB45_743
	s_branch .LBB45_744
.LBB45_2793:
	s_movk_i32 s4, 0x80
	v_cmp_eq_u16_sdwa s[12:13], v3, s4 src0_sel:BYTE_0 src1_sel:DWORD
	s_mov_b64 s[4:5], -1
                                        ; implicit-def: $sgpr10
	s_and_saveexec_b64 s[8:9], s[12:13]
; %bb.2794:
	s_mov_b32 s10, 0x7f800001
	s_xor_b64 s[4:5], exec, -1
; %bb.2795:
	s_or_b64 exec, exec, s[8:9]
	s_and_b64 s[4:5], s[4:5], exec
	s_or_saveexec_b64 s[6:7], s[6:7]
	v_mov_b32_e32 v2, s10
	s_xor_b64 exec, exec, s[6:7]
	s_cbranch_execz .LBB45_746
.LBB45_2796:
	v_mov_b32_e32 v2, 0
	v_cmp_ne_u16_sdwa s[8:9], v3, v2 src0_sel:BYTE_0 src1_sel:DWORD
	s_andn2_b64 s[4:5], s[4:5], exec
	s_and_b64 s[8:9], s[8:9], exec
	s_or_b64 s[4:5], s[4:5], s[8:9]
	s_or_b64 exec, exec, s[6:7]
	s_and_saveexec_b64 s[6:7], s[4:5]
	s_cbranch_execnz .LBB45_747
	s_branch .LBB45_748
.LBB45_2797:
	s_movk_i32 s4, 0x80
	v_cmp_eq_u16_sdwa s[12:13], v3, s4 src0_sel:BYTE_0 src1_sel:DWORD
	s_mov_b64 s[4:5], -1
                                        ; implicit-def: $sgpr10
	s_and_saveexec_b64 s[8:9], s[12:13]
; %bb.2798:
	s_mov_b32 s10, 0x7f800001
	s_xor_b64 s[4:5], exec, -1
; %bb.2799:
	s_or_b64 exec, exec, s[8:9]
	s_and_b64 s[4:5], s[4:5], exec
	s_or_saveexec_b64 s[6:7], s[6:7]
	v_mov_b32_e32 v4, s10
	s_xor_b64 exec, exec, s[6:7]
	s_cbranch_execz .LBB45_750
.LBB45_2800:
	v_mov_b32_e32 v4, 0
	v_cmp_ne_u16_sdwa s[8:9], v3, v4 src0_sel:BYTE_0 src1_sel:DWORD
	s_andn2_b64 s[4:5], s[4:5], exec
	s_and_b64 s[8:9], s[8:9], exec
	s_or_b64 s[4:5], s[4:5], s[8:9]
	s_or_b64 exec, exec, s[6:7]
	s_and_saveexec_b64 s[6:7], s[4:5]
	s_cbranch_execnz .LBB45_751
	s_branch .LBB45_752
.LBB45_2801:
	s_movk_i32 s4, 0x80
	v_cmp_eq_u16_e32 vcc, s4, v3
	s_mov_b64 s[4:5], -1
                                        ; implicit-def: $sgpr10
	s_and_saveexec_b64 s[8:9], vcc
; %bb.2802:
	s_mov_b32 s10, 0x7f800001
	s_xor_b64 s[4:5], exec, -1
; %bb.2803:
	s_or_b64 exec, exec, s[8:9]
	s_and_b64 s[4:5], s[4:5], exec
                                        ; implicit-def: $vgpr3
	s_or_saveexec_b64 s[6:7], s[6:7]
	v_mov_b32_e32 v2, s10
	s_xor_b64 exec, exec, s[6:7]
	s_cbranch_execz .LBB45_754
.LBB45_2804:
	v_cmp_ne_u16_e32 vcc, 0, v3
	s_andn2_b64 s[4:5], s[4:5], exec
	s_and_b64 s[8:9], vcc, exec
	v_mov_b32_e32 v2, 0
	s_or_b64 s[4:5], s[4:5], s[8:9]
	s_or_b64 exec, exec, s[6:7]
	s_and_saveexec_b64 s[6:7], s[4:5]
	s_cbranch_execnz .LBB45_755
	s_branch .LBB45_756
.LBB45_2805:
	s_movk_i32 s4, 0x80
	v_cmp_eq_u16_e32 vcc, s4, v3
	s_mov_b64 s[4:5], -1
                                        ; implicit-def: $sgpr10
	s_and_saveexec_b64 s[8:9], vcc
; %bb.2806:
	s_mov_b32 s10, 0x7f800001
	s_xor_b64 s[4:5], exec, -1
; %bb.2807:
	s_or_b64 exec, exec, s[8:9]
	s_and_b64 s[4:5], s[4:5], exec
                                        ; implicit-def: $vgpr3
	s_or_saveexec_b64 s[6:7], s[6:7]
	v_mov_b32_e32 v4, s10
	s_xor_b64 exec, exec, s[6:7]
	s_cbranch_execz .LBB45_758
.LBB45_2808:
	v_cmp_ne_u16_e32 vcc, 0, v3
	s_andn2_b64 s[4:5], s[4:5], exec
	s_and_b64 s[8:9], vcc, exec
	v_mov_b32_e32 v4, 0
	s_or_b64 s[4:5], s[4:5], s[8:9]
	s_or_b64 exec, exec, s[6:7]
	s_and_saveexec_b64 s[6:7], s[4:5]
	s_cbranch_execnz .LBB45_759
	s_branch .LBB45_760
.LBB45_2809:
	s_movk_i32 s4, 0x80
	v_cmp_eq_u16_sdwa s[12:13], v9, s4 src0_sel:BYTE_3 src1_sel:DWORD
	s_mov_b64 s[4:5], -1
                                        ; implicit-def: $sgpr10
	s_and_saveexec_b64 s[8:9], s[12:13]
; %bb.2810:
	s_mov_b32 s10, 0x7f800001
	s_xor_b64 s[4:5], exec, -1
; %bb.2811:
	s_or_b64 exec, exec, s[8:9]
	s_and_b64 s[4:5], s[4:5], exec
	s_or_saveexec_b64 s[6:7], s[6:7]
	v_mov_b32_e32 v2, s10
	s_xor_b64 exec, exec, s[6:7]
	s_cbranch_execz .LBB45_762
.LBB45_2812:
	v_mov_b32_e32 v2, 0
	v_cmp_ne_u16_sdwa s[8:9], v9, v2 src0_sel:BYTE_3 src1_sel:DWORD
	s_andn2_b64 s[4:5], s[4:5], exec
	s_and_b64 s[8:9], s[8:9], exec
	s_or_b64 s[4:5], s[4:5], s[8:9]
	s_or_b64 exec, exec, s[6:7]
	s_and_saveexec_b64 s[6:7], s[4:5]
	s_cbranch_execnz .LBB45_763
	s_branch .LBB45_764
.LBB45_2813:
	s_movk_i32 s4, 0x80
	v_cmp_eq_u16_sdwa s[12:13], v5, s4 src0_sel:BYTE_3 src1_sel:DWORD
	s_mov_b64 s[4:5], -1
                                        ; implicit-def: $sgpr10
	s_and_saveexec_b64 s[8:9], s[12:13]
; %bb.2814:
	s_mov_b32 s10, 0x7f800001
	s_xor_b64 s[4:5], exec, -1
; %bb.2815:
	s_or_b64 exec, exec, s[8:9]
	s_and_b64 s[4:5], s[4:5], exec
	s_or_saveexec_b64 s[6:7], s[6:7]
	v_mov_b32_e32 v3, s10
	s_xor_b64 exec, exec, s[6:7]
	s_cbranch_execz .LBB45_766
.LBB45_2816:
	v_mov_b32_e32 v3, 0
	v_cmp_ne_u16_sdwa s[8:9], v5, v3 src0_sel:BYTE_3 src1_sel:DWORD
	s_andn2_b64 s[4:5], s[4:5], exec
	s_and_b64 s[8:9], s[8:9], exec
	s_or_b64 s[4:5], s[4:5], s[8:9]
	s_or_b64 exec, exec, s[6:7]
	s_and_saveexec_b64 s[6:7], s[4:5]
	s_cbranch_execnz .LBB45_767
	s_branch .LBB45_768
.LBB45_2817:
	s_movk_i32 s4, 0x80
	v_cmp_eq_u16_sdwa s[12:13], v14, s4 src0_sel:BYTE_0 src1_sel:DWORD
	s_mov_b64 s[4:5], -1
                                        ; implicit-def: $sgpr10
	s_and_saveexec_b64 s[8:9], s[12:13]
; %bb.2818:
	s_mov_b32 s10, 0x7f800001
	s_xor_b64 s[4:5], exec, -1
; %bb.2819:
	s_or_b64 exec, exec, s[8:9]
	s_and_b64 s[4:5], s[4:5], exec
	s_or_saveexec_b64 s[6:7], s[6:7]
	v_mov_b32_e32 v20, s10
	s_xor_b64 exec, exec, s[6:7]
	s_cbranch_execz .LBB45_770
.LBB45_2820:
	v_mov_b32_e32 v20, 0
	v_cmp_ne_u16_sdwa s[8:9], v14, v20 src0_sel:BYTE_0 src1_sel:DWORD
	s_andn2_b64 s[4:5], s[4:5], exec
	s_and_b64 s[8:9], s[8:9], exec
	s_or_b64 s[4:5], s[4:5], s[8:9]
	s_or_b64 exec, exec, s[6:7]
	s_and_saveexec_b64 s[6:7], s[4:5]
	s_cbranch_execnz .LBB45_771
	s_branch .LBB45_772
.LBB45_2821:
	s_movk_i32 s4, 0x80
	v_cmp_eq_u16_sdwa s[12:13], v10, s4 src0_sel:BYTE_0 src1_sel:DWORD
	s_mov_b64 s[4:5], -1
                                        ; implicit-def: $sgpr10
	s_and_saveexec_b64 s[8:9], s[12:13]
; %bb.2822:
	s_mov_b32 s10, 0x7f800001
	s_xor_b64 s[4:5], exec, -1
; %bb.2823:
	s_or_b64 exec, exec, s[8:9]
	s_and_b64 s[4:5], s[4:5], exec
	s_or_saveexec_b64 s[6:7], s[6:7]
	v_mov_b32_e32 v21, s10
	s_xor_b64 exec, exec, s[6:7]
	s_cbranch_execz .LBB45_774
.LBB45_2824:
	v_mov_b32_e32 v21, 0
	v_cmp_ne_u16_sdwa s[8:9], v10, v21 src0_sel:BYTE_0 src1_sel:DWORD
	s_andn2_b64 s[4:5], s[4:5], exec
	s_and_b64 s[8:9], s[8:9], exec
	s_or_b64 s[4:5], s[4:5], s[8:9]
	s_or_b64 exec, exec, s[6:7]
	s_and_saveexec_b64 s[6:7], s[4:5]
	s_cbranch_execnz .LBB45_775
	s_branch .LBB45_776
.LBB45_2825:
	s_movk_i32 s4, 0x80
	v_cmp_eq_u16_sdwa s[12:13], v21, s4 src0_sel:BYTE_0 src1_sel:DWORD
	s_mov_b64 s[4:5], -1
                                        ; implicit-def: $sgpr10
	s_and_saveexec_b64 s[8:9], s[12:13]
; %bb.2826:
	s_mov_b32 s10, 0x7f800001
	s_xor_b64 s[4:5], exec, -1
; %bb.2827:
	s_or_b64 exec, exec, s[8:9]
	s_and_b64 s[4:5], s[4:5], exec
	s_or_saveexec_b64 s[6:7], s[6:7]
	v_mov_b32_e32 v20, s10
	s_xor_b64 exec, exec, s[6:7]
	s_cbranch_execz .LBB45_778
.LBB45_2828:
	v_mov_b32_e32 v20, 0
	v_cmp_ne_u16_sdwa s[8:9], v21, v20 src0_sel:BYTE_0 src1_sel:DWORD
	s_andn2_b64 s[4:5], s[4:5], exec
	s_and_b64 s[8:9], s[8:9], exec
	s_or_b64 s[4:5], s[4:5], s[8:9]
	s_or_b64 exec, exec, s[6:7]
	s_and_saveexec_b64 s[6:7], s[4:5]
	s_cbranch_execnz .LBB45_779
	s_branch .LBB45_780
.LBB45_2829:
	s_movk_i32 s4, 0x80
	v_cmp_eq_u16_sdwa s[12:13], v21, s4 src0_sel:BYTE_0 src1_sel:DWORD
	s_mov_b64 s[4:5], -1
                                        ; implicit-def: $sgpr10
	s_and_saveexec_b64 s[8:9], s[12:13]
; %bb.2830:
	s_mov_b32 s10, 0x7f800001
	s_xor_b64 s[4:5], exec, -1
; %bb.2831:
	s_or_b64 exec, exec, s[8:9]
	s_and_b64 s[4:5], s[4:5], exec
	s_or_saveexec_b64 s[6:7], s[6:7]
	v_mov_b32_e32 v22, s10
	s_xor_b64 exec, exec, s[6:7]
	s_cbranch_execz .LBB45_782
.LBB45_2832:
	v_mov_b32_e32 v22, 0
	v_cmp_ne_u16_sdwa s[8:9], v21, v22 src0_sel:BYTE_0 src1_sel:DWORD
	s_andn2_b64 s[4:5], s[4:5], exec
	s_and_b64 s[8:9], s[8:9], exec
	s_or_b64 s[4:5], s[4:5], s[8:9]
	s_or_b64 exec, exec, s[6:7]
	s_and_saveexec_b64 s[6:7], s[4:5]
	s_cbranch_execnz .LBB45_783
	s_branch .LBB45_784
.LBB45_2833:
	s_movk_i32 s4, 0x80
	v_cmp_eq_u16_e32 vcc, s4, v21
	s_mov_b64 s[4:5], -1
                                        ; implicit-def: $sgpr10
	s_and_saveexec_b64 s[8:9], vcc
; %bb.2834:
	s_mov_b32 s10, 0x7f800001
	s_xor_b64 s[4:5], exec, -1
; %bb.2835:
	s_or_b64 exec, exec, s[8:9]
	s_and_b64 s[4:5], s[4:5], exec
                                        ; implicit-def: $vgpr21
	s_or_saveexec_b64 s[6:7], s[6:7]
	v_mov_b32_e32 v20, s10
	s_xor_b64 exec, exec, s[6:7]
	s_cbranch_execz .LBB45_786
.LBB45_2836:
	v_cmp_ne_u16_e32 vcc, 0, v21
	s_andn2_b64 s[4:5], s[4:5], exec
	s_and_b64 s[8:9], vcc, exec
	v_mov_b32_e32 v20, 0
	s_or_b64 s[4:5], s[4:5], s[8:9]
	s_or_b64 exec, exec, s[6:7]
	s_and_saveexec_b64 s[6:7], s[4:5]
	s_cbranch_execnz .LBB45_787
	s_branch .LBB45_788
.LBB45_2837:
	s_movk_i32 s4, 0x80
	v_cmp_eq_u16_e32 vcc, s4, v21
	s_mov_b64 s[4:5], -1
                                        ; implicit-def: $sgpr10
	s_and_saveexec_b64 s[8:9], vcc
; %bb.2838:
	s_mov_b32 s10, 0x7f800001
	s_xor_b64 s[4:5], exec, -1
; %bb.2839:
	s_or_b64 exec, exec, s[8:9]
	s_and_b64 s[4:5], s[4:5], exec
                                        ; implicit-def: $vgpr21
	s_or_saveexec_b64 s[6:7], s[6:7]
	v_mov_b32_e32 v22, s10
	s_xor_b64 exec, exec, s[6:7]
	s_cbranch_execz .LBB45_790
.LBB45_2840:
	v_cmp_ne_u16_e32 vcc, 0, v21
	s_andn2_b64 s[4:5], s[4:5], exec
	s_and_b64 s[8:9], vcc, exec
	v_mov_b32_e32 v22, 0
	s_or_b64 s[4:5], s[4:5], s[8:9]
	s_or_b64 exec, exec, s[6:7]
	s_and_saveexec_b64 s[6:7], s[4:5]
	s_cbranch_execnz .LBB45_791
	s_branch .LBB45_792
.LBB45_2841:
	s_movk_i32 s4, 0x80
	v_cmp_eq_u16_sdwa s[12:13], v14, s4 src0_sel:BYTE_3 src1_sel:DWORD
	s_mov_b64 s[4:5], -1
                                        ; implicit-def: $sgpr10
	s_and_saveexec_b64 s[8:9], s[12:13]
; %bb.2842:
	s_mov_b32 s10, 0x7f800001
	s_xor_b64 s[4:5], exec, -1
; %bb.2843:
	s_or_b64 exec, exec, s[8:9]
	s_and_b64 s[4:5], s[4:5], exec
	s_or_saveexec_b64 s[6:7], s[6:7]
	v_mov_b32_e32 v20, s10
	s_xor_b64 exec, exec, s[6:7]
	s_cbranch_execz .LBB45_794
.LBB45_2844:
	v_mov_b32_e32 v20, 0
	v_cmp_ne_u16_sdwa s[8:9], v14, v20 src0_sel:BYTE_3 src1_sel:DWORD
	s_andn2_b64 s[4:5], s[4:5], exec
	s_and_b64 s[8:9], s[8:9], exec
	s_or_b64 s[4:5], s[4:5], s[8:9]
	s_or_b64 exec, exec, s[6:7]
	s_and_saveexec_b64 s[6:7], s[4:5]
	s_cbranch_execnz .LBB45_795
	s_branch .LBB45_796
.LBB45_2845:
	s_movk_i32 s4, 0x80
	v_cmp_eq_u16_sdwa s[12:13], v10, s4 src0_sel:BYTE_3 src1_sel:DWORD
	s_mov_b64 s[4:5], -1
                                        ; implicit-def: $sgpr10
	s_and_saveexec_b64 s[8:9], s[12:13]
; %bb.2846:
	s_mov_b32 s10, 0x7f800001
	s_xor_b64 s[4:5], exec, -1
; %bb.2847:
	s_or_b64 exec, exec, s[8:9]
	s_and_b64 s[4:5], s[4:5], exec
	s_or_saveexec_b64 s[6:7], s[6:7]
	v_mov_b32_e32 v14, s10
	s_xor_b64 exec, exec, s[6:7]
	s_cbranch_execz .LBB45_798
.LBB45_2848:
	v_mov_b32_e32 v14, 0
	v_cmp_ne_u16_sdwa s[8:9], v10, v14 src0_sel:BYTE_3 src1_sel:DWORD
	s_andn2_b64 s[4:5], s[4:5], exec
	s_and_b64 s[8:9], s[8:9], exec
	s_or_b64 s[4:5], s[4:5], s[8:9]
	s_or_b64 exec, exec, s[6:7]
	s_and_saveexec_b64 s[6:7], s[4:5]
	s_cbranch_execnz .LBB45_799
	s_branch .LBB45_800
.LBB45_2849:
	s_movk_i32 s4, 0x80
	v_cmp_eq_u16_sdwa s[12:13], v15, s4 src0_sel:BYTE_0 src1_sel:DWORD
	s_mov_b64 s[4:5], -1
                                        ; implicit-def: $sgpr10
	s_and_saveexec_b64 s[8:9], s[12:13]
; %bb.2850:
	s_mov_b32 s10, 0x7f800001
	s_xor_b64 s[4:5], exec, -1
; %bb.2851:
	s_or_b64 exec, exec, s[8:9]
	s_and_b64 s[4:5], s[4:5], exec
	s_or_saveexec_b64 s[6:7], s[6:7]
	v_mov_b32_e32 v10, s10
	s_xor_b64 exec, exec, s[6:7]
	s_cbranch_execz .LBB45_802
.LBB45_2852:
	v_mov_b32_e32 v10, 0
	v_cmp_ne_u16_sdwa s[8:9], v15, v10 src0_sel:BYTE_0 src1_sel:DWORD
	s_andn2_b64 s[4:5], s[4:5], exec
	s_and_b64 s[8:9], s[8:9], exec
	s_or_b64 s[4:5], s[4:5], s[8:9]
	s_or_b64 exec, exec, s[6:7]
	s_and_saveexec_b64 s[6:7], s[4:5]
	s_cbranch_execnz .LBB45_803
	s_branch .LBB45_804
.LBB45_2853:
	s_movk_i32 s4, 0x80
	v_cmp_eq_u16_sdwa s[12:13], v11, s4 src0_sel:BYTE_0 src1_sel:DWORD
	s_mov_b64 s[4:5], -1
                                        ; implicit-def: $sgpr10
	s_and_saveexec_b64 s[8:9], s[12:13]
; %bb.2854:
	s_mov_b32 s10, 0x7f800001
	s_xor_b64 s[4:5], exec, -1
; %bb.2855:
	s_or_b64 exec, exec, s[8:9]
	s_and_b64 s[4:5], s[4:5], exec
	s_or_saveexec_b64 s[6:7], s[6:7]
	v_mov_b32_e32 v14, s10
	s_xor_b64 exec, exec, s[6:7]
	s_cbranch_execz .LBB45_806
.LBB45_2856:
	v_mov_b32_e32 v14, 0
	v_cmp_ne_u16_sdwa s[8:9], v11, v14 src0_sel:BYTE_0 src1_sel:DWORD
	s_andn2_b64 s[4:5], s[4:5], exec
	s_and_b64 s[8:9], s[8:9], exec
	s_or_b64 s[4:5], s[4:5], s[8:9]
	s_or_b64 exec, exec, s[6:7]
	s_and_saveexec_b64 s[6:7], s[4:5]
	s_cbranch_execnz .LBB45_807
	s_branch .LBB45_808
.LBB45_2857:
	s_movk_i32 s4, 0x80
	v_cmp_eq_u16_sdwa s[12:13], v14, s4 src0_sel:BYTE_0 src1_sel:DWORD
	s_mov_b64 s[4:5], -1
                                        ; implicit-def: $sgpr10
	s_and_saveexec_b64 s[8:9], s[12:13]
; %bb.2858:
	s_mov_b32 s10, 0x7f800001
	s_xor_b64 s[4:5], exec, -1
; %bb.2859:
	s_or_b64 exec, exec, s[8:9]
	s_and_b64 s[4:5], s[4:5], exec
	s_or_saveexec_b64 s[6:7], s[6:7]
	v_mov_b32_e32 v10, s10
	s_xor_b64 exec, exec, s[6:7]
	s_cbranch_execz .LBB45_810
.LBB45_2860:
	v_mov_b32_e32 v10, 0
	v_cmp_ne_u16_sdwa s[8:9], v14, v10 src0_sel:BYTE_0 src1_sel:DWORD
	s_andn2_b64 s[4:5], s[4:5], exec
	s_and_b64 s[8:9], s[8:9], exec
	s_or_b64 s[4:5], s[4:5], s[8:9]
	s_or_b64 exec, exec, s[6:7]
	s_and_saveexec_b64 s[6:7], s[4:5]
	s_cbranch_execnz .LBB45_811
	s_branch .LBB45_812
.LBB45_2861:
	s_movk_i32 s4, 0x80
	v_cmp_eq_u16_sdwa s[12:13], v14, s4 src0_sel:BYTE_0 src1_sel:DWORD
	s_mov_b64 s[4:5], -1
                                        ; implicit-def: $sgpr10
	s_and_saveexec_b64 s[8:9], s[12:13]
; %bb.2862:
	s_mov_b32 s10, 0x7f800001
	s_xor_b64 s[4:5], exec, -1
; %bb.2863:
	s_or_b64 exec, exec, s[8:9]
	s_and_b64 s[4:5], s[4:5], exec
	s_or_saveexec_b64 s[6:7], s[6:7]
	v_mov_b32_e32 v20, s10
	s_xor_b64 exec, exec, s[6:7]
	s_cbranch_execz .LBB45_814
.LBB45_2864:
	v_mov_b32_e32 v20, 0
	v_cmp_ne_u16_sdwa s[8:9], v14, v20 src0_sel:BYTE_0 src1_sel:DWORD
	s_andn2_b64 s[4:5], s[4:5], exec
	s_and_b64 s[8:9], s[8:9], exec
	s_or_b64 s[4:5], s[4:5], s[8:9]
	s_or_b64 exec, exec, s[6:7]
	s_and_saveexec_b64 s[6:7], s[4:5]
	s_cbranch_execnz .LBB45_815
	s_branch .LBB45_816
.LBB45_2865:
	s_movk_i32 s4, 0x80
	v_cmp_eq_u16_e32 vcc, s4, v14
	s_mov_b64 s[4:5], -1
                                        ; implicit-def: $sgpr10
	s_and_saveexec_b64 s[8:9], vcc
; %bb.2866:
	s_mov_b32 s10, 0x7f800001
	s_xor_b64 s[4:5], exec, -1
; %bb.2867:
	s_or_b64 exec, exec, s[8:9]
	s_and_b64 s[4:5], s[4:5], exec
                                        ; implicit-def: $vgpr14
	s_or_saveexec_b64 s[6:7], s[6:7]
	v_mov_b32_e32 v10, s10
	s_xor_b64 exec, exec, s[6:7]
	s_cbranch_execz .LBB45_818
.LBB45_2868:
	v_cmp_ne_u16_e32 vcc, 0, v14
	s_andn2_b64 s[4:5], s[4:5], exec
	s_and_b64 s[8:9], vcc, exec
	v_mov_b32_e32 v10, 0
	s_or_b64 s[4:5], s[4:5], s[8:9]
	s_or_b64 exec, exec, s[6:7]
	s_and_saveexec_b64 s[6:7], s[4:5]
	s_cbranch_execnz .LBB45_819
	s_branch .LBB45_820
.LBB45_2869:
	s_movk_i32 s4, 0x80
	v_cmp_eq_u16_e32 vcc, s4, v14
	s_mov_b64 s[4:5], -1
                                        ; implicit-def: $sgpr10
	s_and_saveexec_b64 s[8:9], vcc
; %bb.2870:
	s_mov_b32 s10, 0x7f800001
	s_xor_b64 s[4:5], exec, -1
; %bb.2871:
	s_or_b64 exec, exec, s[8:9]
	s_and_b64 s[4:5], s[4:5], exec
                                        ; implicit-def: $vgpr14
	s_or_saveexec_b64 s[6:7], s[6:7]
	v_mov_b32_e32 v20, s10
	s_xor_b64 exec, exec, s[6:7]
	s_cbranch_execz .LBB45_822
.LBB45_2872:
	v_cmp_ne_u16_e32 vcc, 0, v14
	s_andn2_b64 s[4:5], s[4:5], exec
	s_and_b64 s[8:9], vcc, exec
	v_mov_b32_e32 v20, 0
	s_or_b64 s[4:5], s[4:5], s[8:9]
	s_or_b64 exec, exec, s[6:7]
	s_and_saveexec_b64 s[6:7], s[4:5]
	s_cbranch_execnz .LBB45_823
	s_branch .LBB45_824
.LBB45_2873:
	s_movk_i32 s4, 0x80
	v_cmp_eq_u16_sdwa s[12:13], v15, s4 src0_sel:BYTE_3 src1_sel:DWORD
	s_mov_b64 s[4:5], -1
                                        ; implicit-def: $sgpr10
	s_and_saveexec_b64 s[8:9], s[12:13]
; %bb.2874:
	s_mov_b32 s10, 0x7f800001
	s_xor_b64 s[4:5], exec, -1
; %bb.2875:
	s_or_b64 exec, exec, s[8:9]
	s_and_b64 s[4:5], s[4:5], exec
	s_or_saveexec_b64 s[6:7], s[6:7]
	v_mov_b32_e32 v10, s10
	s_xor_b64 exec, exec, s[6:7]
	s_cbranch_execz .LBB45_826
.LBB45_2876:
	v_mov_b32_e32 v10, 0
	v_cmp_ne_u16_sdwa s[8:9], v15, v10 src0_sel:BYTE_3 src1_sel:DWORD
	s_andn2_b64 s[4:5], s[4:5], exec
	s_and_b64 s[8:9], s[8:9], exec
	s_or_b64 s[4:5], s[4:5], s[8:9]
	s_or_b64 exec, exec, s[6:7]
	s_and_saveexec_b64 s[6:7], s[4:5]
	s_cbranch_execnz .LBB45_827
	s_branch .LBB45_828
.LBB45_2877:
	s_movk_i32 s4, 0x80
	v_cmp_eq_u16_sdwa s[12:13], v11, s4 src0_sel:BYTE_3 src1_sel:DWORD
	s_mov_b64 s[4:5], -1
                                        ; implicit-def: $sgpr10
	s_and_saveexec_b64 s[8:9], s[12:13]
; %bb.2878:
	s_mov_b32 s10, 0x7f800001
	s_xor_b64 s[4:5], exec, -1
; %bb.2879:
	s_or_b64 exec, exec, s[8:9]
	s_and_b64 s[4:5], s[4:5], exec
	s_or_saveexec_b64 s[6:7], s[6:7]
	v_mov_b32_e32 v14, s10
	s_xor_b64 exec, exec, s[6:7]
	s_cbranch_execz .LBB45_830
.LBB45_2880:
	v_mov_b32_e32 v14, 0
	v_cmp_ne_u16_sdwa s[8:9], v11, v14 src0_sel:BYTE_3 src1_sel:DWORD
	s_andn2_b64 s[4:5], s[4:5], exec
	s_and_b64 s[8:9], s[8:9], exec
	s_or_b64 s[4:5], s[4:5], s[8:9]
	s_or_b64 exec, exec, s[6:7]
	s_and_saveexec_b64 s[6:7], s[4:5]
	s_cbranch_execnz .LBB45_831
	s_branch .LBB45_832
.LBB45_2881:
	s_movk_i32 s4, 0x80
	v_cmp_eq_u16_sdwa s[12:13], v16, s4 src0_sel:BYTE_0 src1_sel:DWORD
	s_mov_b64 s[4:5], -1
                                        ; implicit-def: $sgpr10
	s_and_saveexec_b64 s[8:9], s[12:13]
; %bb.2882:
	s_mov_b32 s10, 0x7f800001
	s_xor_b64 s[4:5], exec, -1
; %bb.2883:
	s_or_b64 exec, exec, s[8:9]
	s_and_b64 s[4:5], s[4:5], exec
	s_or_saveexec_b64 s[6:7], s[6:7]
	v_mov_b32_e32 v10, s10
	s_xor_b64 exec, exec, s[6:7]
	s_cbranch_execz .LBB45_834
.LBB45_2884:
	v_mov_b32_e32 v10, 0
	v_cmp_ne_u16_sdwa s[8:9], v16, v10 src0_sel:BYTE_0 src1_sel:DWORD
	s_andn2_b64 s[4:5], s[4:5], exec
	s_and_b64 s[8:9], s[8:9], exec
	s_or_b64 s[4:5], s[4:5], s[8:9]
	s_or_b64 exec, exec, s[6:7]
	s_and_saveexec_b64 s[6:7], s[4:5]
	s_cbranch_execnz .LBB45_835
	s_branch .LBB45_836
.LBB45_2885:
	s_movk_i32 s4, 0x80
	v_cmp_eq_u16_sdwa s[12:13], v12, s4 src0_sel:BYTE_0 src1_sel:DWORD
	s_mov_b64 s[4:5], -1
                                        ; implicit-def: $sgpr10
	s_and_saveexec_b64 s[8:9], s[12:13]
; %bb.2886:
	s_mov_b32 s10, 0x7f800001
	s_xor_b64 s[4:5], exec, -1
; %bb.2887:
	s_or_b64 exec, exec, s[8:9]
	s_and_b64 s[4:5], s[4:5], exec
	s_or_saveexec_b64 s[6:7], s[6:7]
	v_mov_b32_e32 v11, s10
	s_xor_b64 exec, exec, s[6:7]
	s_cbranch_execz .LBB45_838
.LBB45_2888:
	v_mov_b32_e32 v11, 0
	v_cmp_ne_u16_sdwa s[8:9], v12, v11 src0_sel:BYTE_0 src1_sel:DWORD
	s_andn2_b64 s[4:5], s[4:5], exec
	s_and_b64 s[8:9], s[8:9], exec
	s_or_b64 s[4:5], s[4:5], s[8:9]
	s_or_b64 exec, exec, s[6:7]
	s_and_saveexec_b64 s[6:7], s[4:5]
	s_cbranch_execnz .LBB45_839
	s_branch .LBB45_840
.LBB45_2889:
	s_movk_i32 s4, 0x80
	v_cmp_eq_u16_sdwa s[12:13], v11, s4 src0_sel:BYTE_0 src1_sel:DWORD
	s_mov_b64 s[4:5], -1
                                        ; implicit-def: $sgpr10
	s_and_saveexec_b64 s[8:9], s[12:13]
; %bb.2890:
	s_mov_b32 s10, 0x7f800001
	s_xor_b64 s[4:5], exec, -1
; %bb.2891:
	s_or_b64 exec, exec, s[8:9]
	s_and_b64 s[4:5], s[4:5], exec
	s_or_saveexec_b64 s[6:7], s[6:7]
	v_mov_b32_e32 v10, s10
	s_xor_b64 exec, exec, s[6:7]
	s_cbranch_execz .LBB45_842
.LBB45_2892:
	v_mov_b32_e32 v10, 0
	v_cmp_ne_u16_sdwa s[8:9], v11, v10 src0_sel:BYTE_0 src1_sel:DWORD
	s_andn2_b64 s[4:5], s[4:5], exec
	s_and_b64 s[8:9], s[8:9], exec
	s_or_b64 s[4:5], s[4:5], s[8:9]
	s_or_b64 exec, exec, s[6:7]
	s_and_saveexec_b64 s[6:7], s[4:5]
	s_cbranch_execnz .LBB45_843
	s_branch .LBB45_844
.LBB45_2893:
	s_movk_i32 s4, 0x80
	v_cmp_eq_u16_sdwa s[12:13], v11, s4 src0_sel:BYTE_0 src1_sel:DWORD
	s_mov_b64 s[4:5], -1
                                        ; implicit-def: $sgpr10
	s_and_saveexec_b64 s[8:9], s[12:13]
; %bb.2894:
	s_mov_b32 s10, 0x7f800001
	s_xor_b64 s[4:5], exec, -1
; %bb.2895:
	s_or_b64 exec, exec, s[8:9]
	s_and_b64 s[4:5], s[4:5], exec
	s_or_saveexec_b64 s[6:7], s[6:7]
	v_mov_b32_e32 v14, s10
	s_xor_b64 exec, exec, s[6:7]
	s_cbranch_execz .LBB45_846
.LBB45_2896:
	v_mov_b32_e32 v14, 0
	v_cmp_ne_u16_sdwa s[8:9], v11, v14 src0_sel:BYTE_0 src1_sel:DWORD
	s_andn2_b64 s[4:5], s[4:5], exec
	s_and_b64 s[8:9], s[8:9], exec
	s_or_b64 s[4:5], s[4:5], s[8:9]
	s_or_b64 exec, exec, s[6:7]
	s_and_saveexec_b64 s[6:7], s[4:5]
	s_cbranch_execnz .LBB45_847
	s_branch .LBB45_848
.LBB45_2897:
	s_movk_i32 s4, 0x80
	v_cmp_eq_u16_e32 vcc, s4, v11
	s_mov_b64 s[4:5], -1
                                        ; implicit-def: $sgpr10
	s_and_saveexec_b64 s[8:9], vcc
; %bb.2898:
	s_mov_b32 s10, 0x7f800001
	s_xor_b64 s[4:5], exec, -1
; %bb.2899:
	s_or_b64 exec, exec, s[8:9]
	s_and_b64 s[4:5], s[4:5], exec
                                        ; implicit-def: $vgpr11
	s_or_saveexec_b64 s[6:7], s[6:7]
	v_mov_b32_e32 v10, s10
	s_xor_b64 exec, exec, s[6:7]
	s_cbranch_execz .LBB45_850
.LBB45_2900:
	v_cmp_ne_u16_e32 vcc, 0, v11
	s_andn2_b64 s[4:5], s[4:5], exec
	s_and_b64 s[8:9], vcc, exec
	v_mov_b32_e32 v10, 0
	s_or_b64 s[4:5], s[4:5], s[8:9]
	s_or_b64 exec, exec, s[6:7]
	s_and_saveexec_b64 s[6:7], s[4:5]
	s_cbranch_execnz .LBB45_851
	s_branch .LBB45_852
.LBB45_2901:
	s_movk_i32 s4, 0x80
	v_cmp_eq_u16_e32 vcc, s4, v11
	s_mov_b64 s[4:5], -1
                                        ; implicit-def: $sgpr10
	s_and_saveexec_b64 s[8:9], vcc
; %bb.2902:
	s_mov_b32 s10, 0x7f800001
	s_xor_b64 s[4:5], exec, -1
; %bb.2903:
	s_or_b64 exec, exec, s[8:9]
	s_and_b64 s[4:5], s[4:5], exec
                                        ; implicit-def: $vgpr11
	s_or_saveexec_b64 s[6:7], s[6:7]
	v_mov_b32_e32 v14, s10
	s_xor_b64 exec, exec, s[6:7]
	s_cbranch_execz .LBB45_854
.LBB45_2904:
	v_cmp_ne_u16_e32 vcc, 0, v11
	s_andn2_b64 s[4:5], s[4:5], exec
	s_and_b64 s[8:9], vcc, exec
	v_mov_b32_e32 v14, 0
	s_or_b64 s[4:5], s[4:5], s[8:9]
	s_or_b64 exec, exec, s[6:7]
	s_and_saveexec_b64 s[6:7], s[4:5]
	s_cbranch_execnz .LBB45_855
	s_branch .LBB45_856
.LBB45_2905:
	s_movk_i32 s4, 0x80
	v_cmp_eq_u16_sdwa s[12:13], v16, s4 src0_sel:BYTE_3 src1_sel:DWORD
	s_mov_b64 s[4:5], -1
                                        ; implicit-def: $sgpr10
	s_and_saveexec_b64 s[8:9], s[12:13]
; %bb.2906:
	s_mov_b32 s10, 0x7f800001
	s_xor_b64 s[4:5], exec, -1
; %bb.2907:
	s_or_b64 exec, exec, s[8:9]
	s_and_b64 s[4:5], s[4:5], exec
	s_or_saveexec_b64 s[6:7], s[6:7]
	v_mov_b32_e32 v10, s10
	s_xor_b64 exec, exec, s[6:7]
	s_cbranch_execz .LBB45_858
.LBB45_2908:
	v_mov_b32_e32 v10, 0
	v_cmp_ne_u16_sdwa s[8:9], v16, v10 src0_sel:BYTE_3 src1_sel:DWORD
	s_andn2_b64 s[4:5], s[4:5], exec
	s_and_b64 s[8:9], s[8:9], exec
	s_or_b64 s[4:5], s[4:5], s[8:9]
	s_or_b64 exec, exec, s[6:7]
	s_and_saveexec_b64 s[6:7], s[4:5]
	s_cbranch_execnz .LBB45_859
	s_branch .LBB45_860
.LBB45_2909:
	s_movk_i32 s4, 0x80
	v_cmp_eq_u16_sdwa s[12:13], v12, s4 src0_sel:BYTE_3 src1_sel:DWORD
	s_mov_b64 s[4:5], -1
                                        ; implicit-def: $sgpr10
	s_and_saveexec_b64 s[8:9], s[12:13]
; %bb.2910:
	s_mov_b32 s10, 0x7f800001
	s_xor_b64 s[4:5], exec, -1
; %bb.2911:
	s_or_b64 exec, exec, s[8:9]
	s_and_b64 s[4:5], s[4:5], exec
	s_or_saveexec_b64 s[6:7], s[6:7]
	v_mov_b32_e32 v11, s10
	s_xor_b64 exec, exec, s[6:7]
	s_cbranch_execz .LBB45_862
.LBB45_2912:
	v_mov_b32_e32 v11, 0
	v_cmp_ne_u16_sdwa s[8:9], v12, v11 src0_sel:BYTE_3 src1_sel:DWORD
	s_andn2_b64 s[4:5], s[4:5], exec
	s_and_b64 s[8:9], s[8:9], exec
	s_or_b64 s[4:5], s[4:5], s[8:9]
	s_or_b64 exec, exec, s[6:7]
	s_and_saveexec_b64 s[6:7], s[4:5]
	s_cbranch_execnz .LBB45_863
	s_branch .LBB45_864
.LBB45_2913:
	s_movk_i32 s4, 0x80
	v_cmp_eq_u16_sdwa s[12:13], v17, s4 src0_sel:BYTE_0 src1_sel:DWORD
	s_mov_b64 s[4:5], -1
                                        ; implicit-def: $sgpr10
	s_and_saveexec_b64 s[8:9], s[12:13]
; %bb.2914:
	s_mov_b32 s10, 0x7f800001
	s_xor_b64 s[4:5], exec, -1
; %bb.2915:
	s_or_b64 exec, exec, s[8:9]
	s_and_b64 s[4:5], s[4:5], exec
	s_or_saveexec_b64 s[6:7], s[6:7]
	v_mov_b32_e32 v10, s10
	s_xor_b64 exec, exec, s[6:7]
	s_cbranch_execz .LBB45_866
.LBB45_2916:
	v_mov_b32_e32 v10, 0
	v_cmp_ne_u16_sdwa s[8:9], v17, v10 src0_sel:BYTE_0 src1_sel:DWORD
	s_andn2_b64 s[4:5], s[4:5], exec
	s_and_b64 s[8:9], s[8:9], exec
	s_or_b64 s[4:5], s[4:5], s[8:9]
	s_or_b64 exec, exec, s[6:7]
	s_and_saveexec_b64 s[6:7], s[4:5]
	s_cbranch_execnz .LBB45_867
	s_branch .LBB45_868
.LBB45_2917:
	s_movk_i32 s4, 0x80
	v_cmp_eq_u16_sdwa s[12:13], v13, s4 src0_sel:BYTE_0 src1_sel:DWORD
	s_mov_b64 s[4:5], -1
                                        ; implicit-def: $sgpr10
	s_and_saveexec_b64 s[8:9], s[12:13]
; %bb.2918:
	s_mov_b32 s10, 0x7f800001
	s_xor_b64 s[4:5], exec, -1
; %bb.2919:
	s_or_b64 exec, exec, s[8:9]
	s_and_b64 s[4:5], s[4:5], exec
	s_or_saveexec_b64 s[6:7], s[6:7]
	v_mov_b32_e32 v11, s10
	s_xor_b64 exec, exec, s[6:7]
	s_cbranch_execz .LBB45_870
.LBB45_2920:
	v_mov_b32_e32 v11, 0
	v_cmp_ne_u16_sdwa s[8:9], v13, v11 src0_sel:BYTE_0 src1_sel:DWORD
	s_andn2_b64 s[4:5], s[4:5], exec
	s_and_b64 s[8:9], s[8:9], exec
	s_or_b64 s[4:5], s[4:5], s[8:9]
	s_or_b64 exec, exec, s[6:7]
	s_and_saveexec_b64 s[6:7], s[4:5]
	s_cbranch_execnz .LBB45_871
	s_branch .LBB45_872
.LBB45_2921:
	s_movk_i32 s4, 0x80
	v_cmp_eq_u16_sdwa s[12:13], v11, s4 src0_sel:BYTE_0 src1_sel:DWORD
	s_mov_b64 s[4:5], -1
                                        ; implicit-def: $sgpr10
	s_and_saveexec_b64 s[8:9], s[12:13]
; %bb.2922:
	s_mov_b32 s10, 0x7f800001
	s_xor_b64 s[4:5], exec, -1
; %bb.2923:
	s_or_b64 exec, exec, s[8:9]
	s_and_b64 s[4:5], s[4:5], exec
	s_or_saveexec_b64 s[6:7], s[6:7]
	v_mov_b32_e32 v10, s10
	s_xor_b64 exec, exec, s[6:7]
	s_cbranch_execz .LBB45_874
.LBB45_2924:
	v_mov_b32_e32 v10, 0
	v_cmp_ne_u16_sdwa s[8:9], v11, v10 src0_sel:BYTE_0 src1_sel:DWORD
	s_andn2_b64 s[4:5], s[4:5], exec
	s_and_b64 s[8:9], s[8:9], exec
	s_or_b64 s[4:5], s[4:5], s[8:9]
	s_or_b64 exec, exec, s[6:7]
	s_and_saveexec_b64 s[6:7], s[4:5]
	s_cbranch_execnz .LBB45_875
	s_branch .LBB45_876
.LBB45_2925:
	s_movk_i32 s4, 0x80
	v_cmp_eq_u16_sdwa s[12:13], v11, s4 src0_sel:BYTE_0 src1_sel:DWORD
	s_mov_b64 s[4:5], -1
                                        ; implicit-def: $sgpr10
	s_and_saveexec_b64 s[8:9], s[12:13]
; %bb.2926:
	s_mov_b32 s10, 0x7f800001
	s_xor_b64 s[4:5], exec, -1
; %bb.2927:
	s_or_b64 exec, exec, s[8:9]
	s_and_b64 s[4:5], s[4:5], exec
	s_or_saveexec_b64 s[6:7], s[6:7]
	v_mov_b32_e32 v12, s10
	s_xor_b64 exec, exec, s[6:7]
	s_cbranch_execz .LBB45_878
.LBB45_2928:
	v_mov_b32_e32 v12, 0
	v_cmp_ne_u16_sdwa s[8:9], v11, v12 src0_sel:BYTE_0 src1_sel:DWORD
	s_andn2_b64 s[4:5], s[4:5], exec
	s_and_b64 s[8:9], s[8:9], exec
	s_or_b64 s[4:5], s[4:5], s[8:9]
	s_or_b64 exec, exec, s[6:7]
	s_and_saveexec_b64 s[6:7], s[4:5]
	s_cbranch_execnz .LBB45_879
	s_branch .LBB45_880
.LBB45_2929:
	s_movk_i32 s4, 0x80
	v_cmp_eq_u16_e32 vcc, s4, v11
	s_mov_b64 s[4:5], -1
                                        ; implicit-def: $sgpr10
	s_and_saveexec_b64 s[8:9], vcc
; %bb.2930:
	s_mov_b32 s10, 0x7f800001
	s_xor_b64 s[4:5], exec, -1
; %bb.2931:
	s_or_b64 exec, exec, s[8:9]
	s_and_b64 s[4:5], s[4:5], exec
                                        ; implicit-def: $vgpr11
	s_or_saveexec_b64 s[6:7], s[6:7]
	v_mov_b32_e32 v10, s10
	s_xor_b64 exec, exec, s[6:7]
	s_cbranch_execz .LBB45_882
.LBB45_2932:
	v_cmp_ne_u16_e32 vcc, 0, v11
	s_andn2_b64 s[4:5], s[4:5], exec
	s_and_b64 s[8:9], vcc, exec
	v_mov_b32_e32 v10, 0
	s_or_b64 s[4:5], s[4:5], s[8:9]
	s_or_b64 exec, exec, s[6:7]
	s_and_saveexec_b64 s[6:7], s[4:5]
	s_cbranch_execnz .LBB45_883
	s_branch .LBB45_884
.LBB45_2933:
	s_movk_i32 s4, 0x80
	v_cmp_eq_u16_e32 vcc, s4, v11
	s_mov_b64 s[4:5], -1
                                        ; implicit-def: $sgpr10
	s_and_saveexec_b64 s[8:9], vcc
; %bb.2934:
	s_mov_b32 s10, 0x7f800001
	s_xor_b64 s[4:5], exec, -1
; %bb.2935:
	s_or_b64 exec, exec, s[8:9]
	s_and_b64 s[4:5], s[4:5], exec
                                        ; implicit-def: $vgpr11
	s_or_saveexec_b64 s[6:7], s[6:7]
	v_mov_b32_e32 v12, s10
	s_xor_b64 exec, exec, s[6:7]
	s_cbranch_execz .LBB45_886
.LBB45_2936:
	v_cmp_ne_u16_e32 vcc, 0, v11
	s_andn2_b64 s[4:5], s[4:5], exec
	s_and_b64 s[8:9], vcc, exec
	v_mov_b32_e32 v12, 0
	s_or_b64 s[4:5], s[4:5], s[8:9]
	s_or_b64 exec, exec, s[6:7]
	s_and_saveexec_b64 s[6:7], s[4:5]
	s_cbranch_execnz .LBB45_887
	s_branch .LBB45_888
.LBB45_2937:
	s_movk_i32 s4, 0x80
	v_cmp_eq_u16_sdwa s[12:13], v17, s4 src0_sel:BYTE_3 src1_sel:DWORD
	s_mov_b64 s[4:5], -1
                                        ; implicit-def: $sgpr10
	s_and_saveexec_b64 s[8:9], s[12:13]
; %bb.2938:
	s_mov_b32 s10, 0x7f800001
	s_xor_b64 s[4:5], exec, -1
; %bb.2939:
	s_or_b64 exec, exec, s[8:9]
	s_and_b64 s[4:5], s[4:5], exec
	s_or_saveexec_b64 s[6:7], s[6:7]
	v_mov_b32_e32 v10, s10
	s_xor_b64 exec, exec, s[6:7]
	s_cbranch_execz .LBB45_890
.LBB45_2940:
	v_mov_b32_e32 v10, 0
	v_cmp_ne_u16_sdwa s[8:9], v17, v10 src0_sel:BYTE_3 src1_sel:DWORD
	s_andn2_b64 s[4:5], s[4:5], exec
	s_and_b64 s[8:9], s[8:9], exec
	s_or_b64 s[4:5], s[4:5], s[8:9]
	s_or_b64 exec, exec, s[6:7]
	s_and_saveexec_b64 s[6:7], s[4:5]
	s_cbranch_execnz .LBB45_891
	s_branch .LBB45_892
.LBB45_2941:
	s_movk_i32 s4, 0x80
	v_cmp_eq_u16_sdwa s[12:13], v13, s4 src0_sel:BYTE_3 src1_sel:DWORD
	s_mov_b64 s[4:5], -1
                                        ; implicit-def: $sgpr10
	s_and_saveexec_b64 s[8:9], s[12:13]
; %bb.2942:
	s_mov_b32 s10, 0x7f800001
	s_xor_b64 s[4:5], exec, -1
; %bb.2943:
	s_or_b64 exec, exec, s[8:9]
	s_and_b64 s[4:5], s[4:5], exec
	s_or_saveexec_b64 s[6:7], s[6:7]
	v_mov_b32_e32 v11, s10
	s_xor_b64 exec, exec, s[6:7]
	s_cbranch_execz .LBB45_894
.LBB45_2944:
	v_mov_b32_e32 v11, 0
	v_cmp_ne_u16_sdwa s[8:9], v13, v11 src0_sel:BYTE_3 src1_sel:DWORD
	s_andn2_b64 s[4:5], s[4:5], exec
	s_and_b64 s[8:9], s[8:9], exec
	s_or_b64 s[4:5], s[4:5], s[8:9]
	s_or_b64 exec, exec, s[6:7]
	s_and_saveexec_b64 s[6:7], s[4:5]
	s_cbranch_execnz .LBB45_895
	s_branch .LBB45_896
.LBB45_2945:
	s_movk_i32 s4, 0x80
	v_cmp_eq_u16_sdwa s[12:13], v6, s4 src0_sel:BYTE_0 src1_sel:DWORD
	s_mov_b64 s[4:5], -1
                                        ; implicit-def: $sgpr10
	s_and_saveexec_b64 s[8:9], s[12:13]
; %bb.2946:
	s_mov_b32 s10, 0x7f800001
	s_xor_b64 s[4:5], exec, -1
; %bb.2947:
	s_or_b64 exec, exec, s[8:9]
	s_and_b64 s[4:5], s[4:5], exec
	s_or_saveexec_b64 s[6:7], s[6:7]
	v_mov_b32_e32 v10, s10
	s_xor_b64 exec, exec, s[6:7]
	s_cbranch_execz .LBB45_898
.LBB45_2948:
	v_mov_b32_e32 v10, 0
	v_cmp_ne_u16_sdwa s[8:9], v6, v10 src0_sel:BYTE_0 src1_sel:DWORD
	s_andn2_b64 s[4:5], s[4:5], exec
	s_and_b64 s[8:9], s[8:9], exec
	s_or_b64 s[4:5], s[4:5], s[8:9]
	s_or_b64 exec, exec, s[6:7]
	s_and_saveexec_b64 s[6:7], s[4:5]
	s_cbranch_execnz .LBB45_899
	s_branch .LBB45_900
.LBB45_2949:
	s_movk_i32 s4, 0x80
	v_cmp_eq_u16_sdwa s[12:13], v2, s4 src0_sel:BYTE_0 src1_sel:DWORD
	s_mov_b64 s[4:5], -1
                                        ; implicit-def: $sgpr10
	s_and_saveexec_b64 s[8:9], s[12:13]
; %bb.2950:
	s_mov_b32 s10, 0x7f800001
	s_xor_b64 s[4:5], exec, -1
; %bb.2951:
	s_or_b64 exec, exec, s[8:9]
	s_and_b64 s[4:5], s[4:5], exec
	s_or_saveexec_b64 s[6:7], s[6:7]
	v_mov_b32_e32 v11, s10
	s_xor_b64 exec, exec, s[6:7]
	s_cbranch_execz .LBB45_902
.LBB45_2952:
	v_mov_b32_e32 v11, 0
	v_cmp_ne_u16_sdwa s[8:9], v2, v11 src0_sel:BYTE_0 src1_sel:DWORD
	s_andn2_b64 s[4:5], s[4:5], exec
	s_and_b64 s[8:9], s[8:9], exec
	s_or_b64 s[4:5], s[4:5], s[8:9]
	s_or_b64 exec, exec, s[6:7]
	s_and_saveexec_b64 s[6:7], s[4:5]
	s_cbranch_execnz .LBB45_903
	s_branch .LBB45_904
.LBB45_2953:
	s_movk_i32 s4, 0x80
	v_cmp_eq_u16_sdwa s[12:13], v11, s4 src0_sel:BYTE_0 src1_sel:DWORD
	s_mov_b64 s[4:5], -1
                                        ; implicit-def: $sgpr10
	s_and_saveexec_b64 s[8:9], s[12:13]
; %bb.2954:
	s_mov_b32 s10, 0x7f800001
	s_xor_b64 s[4:5], exec, -1
; %bb.2955:
	s_or_b64 exec, exec, s[8:9]
	s_and_b64 s[4:5], s[4:5], exec
	s_or_saveexec_b64 s[6:7], s[6:7]
	v_mov_b32_e32 v10, s10
	s_xor_b64 exec, exec, s[6:7]
	s_cbranch_execz .LBB45_906
.LBB45_2956:
	v_mov_b32_e32 v10, 0
	v_cmp_ne_u16_sdwa s[8:9], v11, v10 src0_sel:BYTE_0 src1_sel:DWORD
	s_andn2_b64 s[4:5], s[4:5], exec
	s_and_b64 s[8:9], s[8:9], exec
	s_or_b64 s[4:5], s[4:5], s[8:9]
	s_or_b64 exec, exec, s[6:7]
	s_and_saveexec_b64 s[6:7], s[4:5]
	s_cbranch_execnz .LBB45_907
	s_branch .LBB45_908
.LBB45_2957:
	s_movk_i32 s4, 0x80
	v_cmp_eq_u16_sdwa s[12:13], v11, s4 src0_sel:BYTE_0 src1_sel:DWORD
	s_mov_b64 s[4:5], -1
                                        ; implicit-def: $sgpr10
	s_and_saveexec_b64 s[8:9], s[12:13]
; %bb.2958:
	s_mov_b32 s10, 0x7f800001
	s_xor_b64 s[4:5], exec, -1
; %bb.2959:
	s_or_b64 exec, exec, s[8:9]
	s_and_b64 s[4:5], s[4:5], exec
	s_or_saveexec_b64 s[6:7], s[6:7]
	v_mov_b32_e32 v12, s10
	s_xor_b64 exec, exec, s[6:7]
	s_cbranch_execz .LBB45_910
.LBB45_2960:
	v_mov_b32_e32 v12, 0
	v_cmp_ne_u16_sdwa s[8:9], v11, v12 src0_sel:BYTE_0 src1_sel:DWORD
	s_andn2_b64 s[4:5], s[4:5], exec
	s_and_b64 s[8:9], s[8:9], exec
	s_or_b64 s[4:5], s[4:5], s[8:9]
	s_or_b64 exec, exec, s[6:7]
	s_and_saveexec_b64 s[6:7], s[4:5]
	s_cbranch_execnz .LBB45_911
	s_branch .LBB45_912
.LBB45_2961:
	s_movk_i32 s4, 0x80
	v_cmp_eq_u16_e32 vcc, s4, v11
	s_mov_b64 s[4:5], -1
                                        ; implicit-def: $sgpr10
	s_and_saveexec_b64 s[8:9], vcc
; %bb.2962:
	s_mov_b32 s10, 0x7f800001
	s_xor_b64 s[4:5], exec, -1
; %bb.2963:
	s_or_b64 exec, exec, s[8:9]
	s_and_b64 s[4:5], s[4:5], exec
                                        ; implicit-def: $vgpr11
	s_or_saveexec_b64 s[6:7], s[6:7]
	v_mov_b32_e32 v10, s10
	s_xor_b64 exec, exec, s[6:7]
	s_cbranch_execz .LBB45_914
.LBB45_2964:
	v_cmp_ne_u16_e32 vcc, 0, v11
	s_andn2_b64 s[4:5], s[4:5], exec
	s_and_b64 s[8:9], vcc, exec
	v_mov_b32_e32 v10, 0
	s_or_b64 s[4:5], s[4:5], s[8:9]
	s_or_b64 exec, exec, s[6:7]
	s_and_saveexec_b64 s[6:7], s[4:5]
	s_cbranch_execnz .LBB45_915
	s_branch .LBB45_916
.LBB45_2965:
	s_movk_i32 s4, 0x80
	v_cmp_eq_u16_e32 vcc, s4, v11
	s_mov_b64 s[4:5], -1
                                        ; implicit-def: $sgpr10
	s_and_saveexec_b64 s[8:9], vcc
; %bb.2966:
	s_mov_b32 s10, 0x7f800001
	s_xor_b64 s[4:5], exec, -1
; %bb.2967:
	s_or_b64 exec, exec, s[8:9]
	s_and_b64 s[4:5], s[4:5], exec
                                        ; implicit-def: $vgpr11
	s_or_saveexec_b64 s[6:7], s[6:7]
	v_mov_b32_e32 v12, s10
	s_xor_b64 exec, exec, s[6:7]
	s_cbranch_execz .LBB45_918
.LBB45_2968:
	v_cmp_ne_u16_e32 vcc, 0, v11
	s_andn2_b64 s[4:5], s[4:5], exec
	s_and_b64 s[8:9], vcc, exec
	v_mov_b32_e32 v12, 0
	s_or_b64 s[4:5], s[4:5], s[8:9]
	s_or_b64 exec, exec, s[6:7]
	s_and_saveexec_b64 s[6:7], s[4:5]
	s_cbranch_execnz .LBB45_919
	s_branch .LBB45_920
.LBB45_2969:
	s_movk_i32 s4, 0x80
	v_cmp_eq_u16_sdwa s[12:13], v6, s4 src0_sel:BYTE_3 src1_sel:DWORD
	s_mov_b64 s[4:5], -1
                                        ; implicit-def: $sgpr10
	s_and_saveexec_b64 s[8:9], s[12:13]
; %bb.2970:
	s_mov_b32 s10, 0x7f800001
	s_xor_b64 s[4:5], exec, -1
; %bb.2971:
	s_or_b64 exec, exec, s[8:9]
	s_and_b64 s[4:5], s[4:5], exec
	s_or_saveexec_b64 s[6:7], s[6:7]
	v_mov_b32_e32 v10, s10
	s_xor_b64 exec, exec, s[6:7]
	s_cbranch_execz .LBB45_922
.LBB45_2972:
	v_mov_b32_e32 v10, 0
	v_cmp_ne_u16_sdwa s[8:9], v6, v10 src0_sel:BYTE_3 src1_sel:DWORD
	s_andn2_b64 s[4:5], s[4:5], exec
	s_and_b64 s[8:9], s[8:9], exec
	s_or_b64 s[4:5], s[4:5], s[8:9]
	s_or_b64 exec, exec, s[6:7]
	s_and_saveexec_b64 s[6:7], s[4:5]
	s_cbranch_execnz .LBB45_923
	s_branch .LBB45_924
.LBB45_2973:
	s_movk_i32 s4, 0x80
	v_cmp_eq_u16_sdwa s[12:13], v2, s4 src0_sel:BYTE_3 src1_sel:DWORD
	s_mov_b64 s[4:5], -1
                                        ; implicit-def: $sgpr10
	s_and_saveexec_b64 s[8:9], s[12:13]
; %bb.2974:
	s_mov_b32 s10, 0x7f800001
	s_xor_b64 s[4:5], exec, -1
; %bb.2975:
	s_or_b64 exec, exec, s[8:9]
	s_and_b64 s[4:5], s[4:5], exec
	s_or_saveexec_b64 s[6:7], s[6:7]
	v_mov_b32_e32 v6, s10
	s_xor_b64 exec, exec, s[6:7]
	s_cbranch_execz .LBB45_926
.LBB45_2976:
	v_mov_b32_e32 v6, 0
	v_cmp_ne_u16_sdwa s[8:9], v2, v6 src0_sel:BYTE_3 src1_sel:DWORD
	s_andn2_b64 s[4:5], s[4:5], exec
	s_and_b64 s[8:9], s[8:9], exec
	s_or_b64 s[4:5], s[4:5], s[8:9]
	s_or_b64 exec, exec, s[6:7]
	s_and_saveexec_b64 s[6:7], s[4:5]
	s_cbranch_execnz .LBB45_927
	s_branch .LBB45_928
.LBB45_2977:
	s_movk_i32 s4, 0x80
	v_cmp_eq_u16_sdwa s[12:13], v7, s4 src0_sel:BYTE_0 src1_sel:DWORD
	s_mov_b64 s[4:5], -1
                                        ; implicit-def: $sgpr10
	s_and_saveexec_b64 s[8:9], s[12:13]
; %bb.2978:
	s_mov_b32 s10, 0x7f800001
	s_xor_b64 s[4:5], exec, -1
; %bb.2979:
	s_or_b64 exec, exec, s[8:9]
	s_and_b64 s[4:5], s[4:5], exec
	s_or_saveexec_b64 s[6:7], s[6:7]
	v_mov_b32_e32 v2, s10
	s_xor_b64 exec, exec, s[6:7]
	s_cbranch_execz .LBB45_930
.LBB45_2980:
	v_mov_b32_e32 v2, 0
	v_cmp_ne_u16_sdwa s[8:9], v7, v2 src0_sel:BYTE_0 src1_sel:DWORD
	s_andn2_b64 s[4:5], s[4:5], exec
	s_and_b64 s[8:9], s[8:9], exec
	s_or_b64 s[4:5], s[4:5], s[8:9]
	s_or_b64 exec, exec, s[6:7]
	s_and_saveexec_b64 s[6:7], s[4:5]
	s_cbranch_execnz .LBB45_931
	s_branch .LBB45_932
.LBB45_2981:
	s_movk_i32 s4, 0x80
	v_cmp_eq_u16_sdwa s[12:13], v3, s4 src0_sel:BYTE_0 src1_sel:DWORD
	s_mov_b64 s[4:5], -1
                                        ; implicit-def: $sgpr10
	s_and_saveexec_b64 s[8:9], s[12:13]
; %bb.2982:
	s_mov_b32 s10, 0x7f800001
	s_xor_b64 s[4:5], exec, -1
; %bb.2983:
	s_or_b64 exec, exec, s[8:9]
	s_and_b64 s[4:5], s[4:5], exec
	s_or_saveexec_b64 s[6:7], s[6:7]
	v_mov_b32_e32 v6, s10
	s_xor_b64 exec, exec, s[6:7]
	s_cbranch_execz .LBB45_934
.LBB45_2984:
	v_mov_b32_e32 v6, 0
	v_cmp_ne_u16_sdwa s[8:9], v3, v6 src0_sel:BYTE_0 src1_sel:DWORD
	s_andn2_b64 s[4:5], s[4:5], exec
	s_and_b64 s[8:9], s[8:9], exec
	s_or_b64 s[4:5], s[4:5], s[8:9]
	s_or_b64 exec, exec, s[6:7]
	s_and_saveexec_b64 s[6:7], s[4:5]
	s_cbranch_execnz .LBB45_935
	s_branch .LBB45_936
.LBB45_2985:
	s_movk_i32 s4, 0x80
	v_cmp_eq_u16_sdwa s[12:13], v6, s4 src0_sel:BYTE_0 src1_sel:DWORD
	s_mov_b64 s[4:5], -1
                                        ; implicit-def: $sgpr10
	s_and_saveexec_b64 s[8:9], s[12:13]
; %bb.2986:
	s_mov_b32 s10, 0x7f800001
	s_xor_b64 s[4:5], exec, -1
; %bb.2987:
	s_or_b64 exec, exec, s[8:9]
	s_and_b64 s[4:5], s[4:5], exec
	s_or_saveexec_b64 s[6:7], s[6:7]
	v_mov_b32_e32 v2, s10
	s_xor_b64 exec, exec, s[6:7]
	s_cbranch_execz .LBB45_938
.LBB45_2988:
	v_mov_b32_e32 v2, 0
	v_cmp_ne_u16_sdwa s[8:9], v6, v2 src0_sel:BYTE_0 src1_sel:DWORD
	s_andn2_b64 s[4:5], s[4:5], exec
	s_and_b64 s[8:9], s[8:9], exec
	s_or_b64 s[4:5], s[4:5], s[8:9]
	s_or_b64 exec, exec, s[6:7]
	s_and_saveexec_b64 s[6:7], s[4:5]
	s_cbranch_execnz .LBB45_939
	s_branch .LBB45_940
.LBB45_2989:
	s_movk_i32 s4, 0x80
	v_cmp_eq_u16_sdwa s[12:13], v6, s4 src0_sel:BYTE_0 src1_sel:DWORD
	s_mov_b64 s[4:5], -1
                                        ; implicit-def: $sgpr10
	s_and_saveexec_b64 s[8:9], s[12:13]
; %bb.2990:
	s_mov_b32 s10, 0x7f800001
	s_xor_b64 s[4:5], exec, -1
; %bb.2991:
	s_or_b64 exec, exec, s[8:9]
	s_and_b64 s[4:5], s[4:5], exec
	s_or_saveexec_b64 s[6:7], s[6:7]
	v_mov_b32_e32 v10, s10
	s_xor_b64 exec, exec, s[6:7]
	s_cbranch_execz .LBB45_942
.LBB45_2992:
	v_mov_b32_e32 v10, 0
	v_cmp_ne_u16_sdwa s[8:9], v6, v10 src0_sel:BYTE_0 src1_sel:DWORD
	s_andn2_b64 s[4:5], s[4:5], exec
	s_and_b64 s[8:9], s[8:9], exec
	s_or_b64 s[4:5], s[4:5], s[8:9]
	s_or_b64 exec, exec, s[6:7]
	s_and_saveexec_b64 s[6:7], s[4:5]
	s_cbranch_execnz .LBB45_943
	s_branch .LBB45_944
.LBB45_2993:
	s_movk_i32 s4, 0x80
	v_cmp_eq_u16_e32 vcc, s4, v6
	s_mov_b64 s[4:5], -1
                                        ; implicit-def: $sgpr10
	s_and_saveexec_b64 s[8:9], vcc
; %bb.2994:
	s_mov_b32 s10, 0x7f800001
	s_xor_b64 s[4:5], exec, -1
; %bb.2995:
	s_or_b64 exec, exec, s[8:9]
	s_and_b64 s[4:5], s[4:5], exec
                                        ; implicit-def: $vgpr6
	s_or_saveexec_b64 s[6:7], s[6:7]
	v_mov_b32_e32 v2, s10
	s_xor_b64 exec, exec, s[6:7]
	s_cbranch_execz .LBB45_946
.LBB45_2996:
	v_cmp_ne_u16_e32 vcc, 0, v6
	s_andn2_b64 s[4:5], s[4:5], exec
	s_and_b64 s[8:9], vcc, exec
	v_mov_b32_e32 v2, 0
	s_or_b64 s[4:5], s[4:5], s[8:9]
	s_or_b64 exec, exec, s[6:7]
	s_and_saveexec_b64 s[6:7], s[4:5]
	s_cbranch_execnz .LBB45_947
	s_branch .LBB45_948
.LBB45_2997:
	s_movk_i32 s4, 0x80
	v_cmp_eq_u16_e32 vcc, s4, v6
	s_mov_b64 s[4:5], -1
                                        ; implicit-def: $sgpr10
	s_and_saveexec_b64 s[8:9], vcc
; %bb.2998:
	s_mov_b32 s10, 0x7f800001
	s_xor_b64 s[4:5], exec, -1
; %bb.2999:
	s_or_b64 exec, exec, s[8:9]
	s_and_b64 s[4:5], s[4:5], exec
                                        ; implicit-def: $vgpr6
	s_or_saveexec_b64 s[6:7], s[6:7]
	v_mov_b32_e32 v10, s10
	s_xor_b64 exec, exec, s[6:7]
	s_cbranch_execz .LBB45_950
.LBB45_3000:
	v_cmp_ne_u16_e32 vcc, 0, v6
	s_andn2_b64 s[4:5], s[4:5], exec
	s_and_b64 s[8:9], vcc, exec
	v_mov_b32_e32 v10, 0
	s_or_b64 s[4:5], s[4:5], s[8:9]
	s_or_b64 exec, exec, s[6:7]
	s_and_saveexec_b64 s[6:7], s[4:5]
	s_cbranch_execnz .LBB45_951
	s_branch .LBB45_952
.LBB45_3001:
	s_movk_i32 s4, 0x80
	v_cmp_eq_u16_sdwa s[12:13], v7, s4 src0_sel:BYTE_3 src1_sel:DWORD
	s_mov_b64 s[4:5], -1
                                        ; implicit-def: $sgpr10
	s_and_saveexec_b64 s[8:9], s[12:13]
; %bb.3002:
	s_mov_b32 s10, 0x7f800001
	s_xor_b64 s[4:5], exec, -1
; %bb.3003:
	s_or_b64 exec, exec, s[8:9]
	s_and_b64 s[4:5], s[4:5], exec
	s_or_saveexec_b64 s[6:7], s[6:7]
	v_mov_b32_e32 v2, s10
	s_xor_b64 exec, exec, s[6:7]
	s_cbranch_execz .LBB45_954
.LBB45_3004:
	v_mov_b32_e32 v2, 0
	v_cmp_ne_u16_sdwa s[8:9], v7, v2 src0_sel:BYTE_3 src1_sel:DWORD
	s_andn2_b64 s[4:5], s[4:5], exec
	s_and_b64 s[8:9], s[8:9], exec
	s_or_b64 s[4:5], s[4:5], s[8:9]
	s_or_b64 exec, exec, s[6:7]
	s_and_saveexec_b64 s[6:7], s[4:5]
	s_cbranch_execnz .LBB45_955
	s_branch .LBB45_956
.LBB45_3005:
	s_movk_i32 s4, 0x80
	v_cmp_eq_u16_sdwa s[12:13], v3, s4 src0_sel:BYTE_3 src1_sel:DWORD
	s_mov_b64 s[4:5], -1
                                        ; implicit-def: $sgpr10
	s_and_saveexec_b64 s[8:9], s[12:13]
; %bb.3006:
	s_mov_b32 s10, 0x7f800001
	s_xor_b64 s[4:5], exec, -1
; %bb.3007:
	s_or_b64 exec, exec, s[8:9]
	s_and_b64 s[4:5], s[4:5], exec
	s_or_saveexec_b64 s[6:7], s[6:7]
	v_mov_b32_e32 v6, s10
	s_xor_b64 exec, exec, s[6:7]
	s_cbranch_execz .LBB45_958
.LBB45_3008:
	v_mov_b32_e32 v6, 0
	v_cmp_ne_u16_sdwa s[8:9], v3, v6 src0_sel:BYTE_3 src1_sel:DWORD
	s_andn2_b64 s[4:5], s[4:5], exec
	s_and_b64 s[8:9], s[8:9], exec
	s_or_b64 s[4:5], s[4:5], s[8:9]
	s_or_b64 exec, exec, s[6:7]
	s_and_saveexec_b64 s[6:7], s[4:5]
	s_cbranch_execnz .LBB45_959
	s_branch .LBB45_960
.LBB45_3009:
	s_movk_i32 s4, 0x80
	v_cmp_eq_u16_sdwa s[12:13], v8, s4 src0_sel:BYTE_0 src1_sel:DWORD
	s_mov_b64 s[4:5], -1
                                        ; implicit-def: $sgpr10
	s_and_saveexec_b64 s[8:9], s[12:13]
; %bb.3010:
	s_mov_b32 s10, 0x7f800001
	s_xor_b64 s[4:5], exec, -1
; %bb.3011:
	s_or_b64 exec, exec, s[8:9]
	s_and_b64 s[4:5], s[4:5], exec
	s_or_saveexec_b64 s[6:7], s[6:7]
	v_mov_b32_e32 v2, s10
	s_xor_b64 exec, exec, s[6:7]
	s_cbranch_execz .LBB45_962
.LBB45_3012:
	v_mov_b32_e32 v2, 0
	v_cmp_ne_u16_sdwa s[8:9], v8, v2 src0_sel:BYTE_0 src1_sel:DWORD
	s_andn2_b64 s[4:5], s[4:5], exec
	s_and_b64 s[8:9], s[8:9], exec
	s_or_b64 s[4:5], s[4:5], s[8:9]
	s_or_b64 exec, exec, s[6:7]
	s_and_saveexec_b64 s[6:7], s[4:5]
	s_cbranch_execnz .LBB45_963
	s_branch .LBB45_964
.LBB45_3013:
	s_movk_i32 s4, 0x80
	v_cmp_eq_u16_sdwa s[12:13], v4, s4 src0_sel:BYTE_0 src1_sel:DWORD
	s_mov_b64 s[4:5], -1
                                        ; implicit-def: $sgpr10
	s_and_saveexec_b64 s[8:9], s[12:13]
; %bb.3014:
	s_mov_b32 s10, 0x7f800001
	s_xor_b64 s[4:5], exec, -1
; %bb.3015:
	s_or_b64 exec, exec, s[8:9]
	s_and_b64 s[4:5], s[4:5], exec
	s_or_saveexec_b64 s[6:7], s[6:7]
	v_mov_b32_e32 v3, s10
	s_xor_b64 exec, exec, s[6:7]
	s_cbranch_execz .LBB45_966
.LBB45_3016:
	v_mov_b32_e32 v3, 0
	v_cmp_ne_u16_sdwa s[8:9], v4, v3 src0_sel:BYTE_0 src1_sel:DWORD
	s_andn2_b64 s[4:5], s[4:5], exec
	s_and_b64 s[8:9], s[8:9], exec
	s_or_b64 s[4:5], s[4:5], s[8:9]
	s_or_b64 exec, exec, s[6:7]
	s_and_saveexec_b64 s[6:7], s[4:5]
	s_cbranch_execnz .LBB45_967
	s_branch .LBB45_968
.LBB45_3017:
	s_movk_i32 s4, 0x80
	v_cmp_eq_u16_sdwa s[12:13], v3, s4 src0_sel:BYTE_0 src1_sel:DWORD
	s_mov_b64 s[4:5], -1
                                        ; implicit-def: $sgpr10
	s_and_saveexec_b64 s[8:9], s[12:13]
; %bb.3018:
	s_mov_b32 s10, 0x7f800001
	s_xor_b64 s[4:5], exec, -1
; %bb.3019:
	s_or_b64 exec, exec, s[8:9]
	s_and_b64 s[4:5], s[4:5], exec
	s_or_saveexec_b64 s[6:7], s[6:7]
	v_mov_b32_e32 v2, s10
	s_xor_b64 exec, exec, s[6:7]
	s_cbranch_execz .LBB45_970
.LBB45_3020:
	v_mov_b32_e32 v2, 0
	v_cmp_ne_u16_sdwa s[8:9], v3, v2 src0_sel:BYTE_0 src1_sel:DWORD
	s_andn2_b64 s[4:5], s[4:5], exec
	s_and_b64 s[8:9], s[8:9], exec
	s_or_b64 s[4:5], s[4:5], s[8:9]
	s_or_b64 exec, exec, s[6:7]
	s_and_saveexec_b64 s[6:7], s[4:5]
	s_cbranch_execnz .LBB45_971
	s_branch .LBB45_972
.LBB45_3021:
	s_movk_i32 s4, 0x80
	v_cmp_eq_u16_sdwa s[12:13], v3, s4 src0_sel:BYTE_0 src1_sel:DWORD
	s_mov_b64 s[4:5], -1
                                        ; implicit-def: $sgpr10
	s_and_saveexec_b64 s[8:9], s[12:13]
; %bb.3022:
	s_mov_b32 s10, 0x7f800001
	s_xor_b64 s[4:5], exec, -1
; %bb.3023:
	s_or_b64 exec, exec, s[8:9]
	s_and_b64 s[4:5], s[4:5], exec
	s_or_saveexec_b64 s[6:7], s[6:7]
	v_mov_b32_e32 v6, s10
	s_xor_b64 exec, exec, s[6:7]
	s_cbranch_execz .LBB45_974
.LBB45_3024:
	v_mov_b32_e32 v6, 0
	v_cmp_ne_u16_sdwa s[8:9], v3, v6 src0_sel:BYTE_0 src1_sel:DWORD
	s_andn2_b64 s[4:5], s[4:5], exec
	s_and_b64 s[8:9], s[8:9], exec
	s_or_b64 s[4:5], s[4:5], s[8:9]
	s_or_b64 exec, exec, s[6:7]
	s_and_saveexec_b64 s[6:7], s[4:5]
	s_cbranch_execnz .LBB45_975
	s_branch .LBB45_976
.LBB45_3025:
	s_movk_i32 s4, 0x80
	v_cmp_eq_u16_e32 vcc, s4, v3
	s_mov_b64 s[4:5], -1
                                        ; implicit-def: $sgpr10
	s_and_saveexec_b64 s[8:9], vcc
; %bb.3026:
	s_mov_b32 s10, 0x7f800001
	s_xor_b64 s[4:5], exec, -1
; %bb.3027:
	s_or_b64 exec, exec, s[8:9]
	s_and_b64 s[4:5], s[4:5], exec
                                        ; implicit-def: $vgpr3
	s_or_saveexec_b64 s[6:7], s[6:7]
	v_mov_b32_e32 v2, s10
	s_xor_b64 exec, exec, s[6:7]
	s_cbranch_execz .LBB45_978
.LBB45_3028:
	v_cmp_ne_u16_e32 vcc, 0, v3
	s_andn2_b64 s[4:5], s[4:5], exec
	s_and_b64 s[8:9], vcc, exec
	v_mov_b32_e32 v2, 0
	s_or_b64 s[4:5], s[4:5], s[8:9]
	s_or_b64 exec, exec, s[6:7]
	s_and_saveexec_b64 s[6:7], s[4:5]
	s_cbranch_execnz .LBB45_979
	s_branch .LBB45_980
.LBB45_3029:
	s_movk_i32 s4, 0x80
	v_cmp_eq_u16_e32 vcc, s4, v3
	s_mov_b64 s[4:5], -1
                                        ; implicit-def: $sgpr10
	s_and_saveexec_b64 s[8:9], vcc
; %bb.3030:
	s_mov_b32 s10, 0x7f800001
	s_xor_b64 s[4:5], exec, -1
; %bb.3031:
	s_or_b64 exec, exec, s[8:9]
	s_and_b64 s[4:5], s[4:5], exec
                                        ; implicit-def: $vgpr3
	s_or_saveexec_b64 s[6:7], s[6:7]
	v_mov_b32_e32 v6, s10
	s_xor_b64 exec, exec, s[6:7]
	s_cbranch_execz .LBB45_982
.LBB45_3032:
	v_cmp_ne_u16_e32 vcc, 0, v3
	s_andn2_b64 s[4:5], s[4:5], exec
	s_and_b64 s[8:9], vcc, exec
	v_mov_b32_e32 v6, 0
	s_or_b64 s[4:5], s[4:5], s[8:9]
	s_or_b64 exec, exec, s[6:7]
	s_and_saveexec_b64 s[6:7], s[4:5]
	s_cbranch_execnz .LBB45_983
	s_branch .LBB45_984
.LBB45_3033:
	s_movk_i32 s4, 0x80
	v_cmp_eq_u16_sdwa s[12:13], v8, s4 src0_sel:BYTE_3 src1_sel:DWORD
	s_mov_b64 s[4:5], -1
                                        ; implicit-def: $sgpr10
	s_and_saveexec_b64 s[8:9], s[12:13]
; %bb.3034:
	s_mov_b32 s10, 0x7f800001
	s_xor_b64 s[4:5], exec, -1
; %bb.3035:
	s_or_b64 exec, exec, s[8:9]
	s_and_b64 s[4:5], s[4:5], exec
	s_or_saveexec_b64 s[6:7], s[6:7]
	v_mov_b32_e32 v2, s10
	s_xor_b64 exec, exec, s[6:7]
	s_cbranch_execz .LBB45_986
.LBB45_3036:
	v_mov_b32_e32 v2, 0
	v_cmp_ne_u16_sdwa s[8:9], v8, v2 src0_sel:BYTE_3 src1_sel:DWORD
	s_andn2_b64 s[4:5], s[4:5], exec
	s_and_b64 s[8:9], s[8:9], exec
	s_or_b64 s[4:5], s[4:5], s[8:9]
	s_or_b64 exec, exec, s[6:7]
	s_and_saveexec_b64 s[6:7], s[4:5]
	s_cbranch_execnz .LBB45_987
	s_branch .LBB45_988
.LBB45_3037:
	s_movk_i32 s4, 0x80
	v_cmp_eq_u16_sdwa s[12:13], v4, s4 src0_sel:BYTE_3 src1_sel:DWORD
	s_mov_b64 s[4:5], -1
                                        ; implicit-def: $sgpr10
	s_and_saveexec_b64 s[8:9], s[12:13]
; %bb.3038:
	s_mov_b32 s10, 0x7f800001
	s_xor_b64 s[4:5], exec, -1
; %bb.3039:
	s_or_b64 exec, exec, s[8:9]
	s_and_b64 s[4:5], s[4:5], exec
	s_or_saveexec_b64 s[6:7], s[6:7]
	v_mov_b32_e32 v3, s10
	s_xor_b64 exec, exec, s[6:7]
	s_cbranch_execz .LBB45_990
.LBB45_3040:
	v_mov_b32_e32 v3, 0
	v_cmp_ne_u16_sdwa s[8:9], v4, v3 src0_sel:BYTE_3 src1_sel:DWORD
	s_andn2_b64 s[4:5], s[4:5], exec
	s_and_b64 s[8:9], s[8:9], exec
	s_or_b64 s[4:5], s[4:5], s[8:9]
	s_or_b64 exec, exec, s[6:7]
	s_and_saveexec_b64 s[6:7], s[4:5]
	s_cbranch_execnz .LBB45_991
	s_branch .LBB45_992
.LBB45_3041:
	s_movk_i32 s4, 0x80
	v_cmp_eq_u16_sdwa s[12:13], v9, s4 src0_sel:BYTE_0 src1_sel:DWORD
	s_mov_b64 s[4:5], -1
                                        ; implicit-def: $sgpr10
	s_and_saveexec_b64 s[8:9], s[12:13]
; %bb.3042:
	s_mov_b32 s10, 0x7f800001
	s_xor_b64 s[4:5], exec, -1
; %bb.3043:
	s_or_b64 exec, exec, s[8:9]
	s_and_b64 s[4:5], s[4:5], exec
	s_or_saveexec_b64 s[6:7], s[6:7]
	v_mov_b32_e32 v2, s10
	s_xor_b64 exec, exec, s[6:7]
	s_cbranch_execz .LBB45_994
.LBB45_3044:
	v_mov_b32_e32 v2, 0
	v_cmp_ne_u16_sdwa s[8:9], v9, v2 src0_sel:BYTE_0 src1_sel:DWORD
	s_andn2_b64 s[4:5], s[4:5], exec
	s_and_b64 s[8:9], s[8:9], exec
	s_or_b64 s[4:5], s[4:5], s[8:9]
	s_or_b64 exec, exec, s[6:7]
	s_and_saveexec_b64 s[6:7], s[4:5]
	s_cbranch_execnz .LBB45_995
	s_branch .LBB45_996
.LBB45_3045:
	s_movk_i32 s4, 0x80
	v_cmp_eq_u16_sdwa s[12:13], v5, s4 src0_sel:BYTE_0 src1_sel:DWORD
	s_mov_b64 s[4:5], -1
                                        ; implicit-def: $sgpr10
	s_and_saveexec_b64 s[8:9], s[12:13]
; %bb.3046:
	s_mov_b32 s10, 0x7f800001
	s_xor_b64 s[4:5], exec, -1
; %bb.3047:
	s_or_b64 exec, exec, s[8:9]
	s_and_b64 s[4:5], s[4:5], exec
	s_or_saveexec_b64 s[6:7], s[6:7]
	v_mov_b32_e32 v3, s10
	s_xor_b64 exec, exec, s[6:7]
	s_cbranch_execz .LBB45_998
.LBB45_3048:
	v_mov_b32_e32 v3, 0
	v_cmp_ne_u16_sdwa s[8:9], v5, v3 src0_sel:BYTE_0 src1_sel:DWORD
	s_andn2_b64 s[4:5], s[4:5], exec
	s_and_b64 s[8:9], s[8:9], exec
	s_or_b64 s[4:5], s[4:5], s[8:9]
	s_or_b64 exec, exec, s[6:7]
	s_and_saveexec_b64 s[6:7], s[4:5]
	s_cbranch_execnz .LBB45_999
	s_branch .LBB45_1000
.LBB45_3049:
	s_movk_i32 s4, 0x80
	v_cmp_eq_u16_sdwa s[12:13], v3, s4 src0_sel:BYTE_0 src1_sel:DWORD
	s_mov_b64 s[4:5], -1
                                        ; implicit-def: $sgpr10
	s_and_saveexec_b64 s[8:9], s[12:13]
; %bb.3050:
	s_mov_b32 s10, 0x7f800001
	s_xor_b64 s[4:5], exec, -1
; %bb.3051:
	s_or_b64 exec, exec, s[8:9]
	s_and_b64 s[4:5], s[4:5], exec
	s_or_saveexec_b64 s[6:7], s[6:7]
	v_mov_b32_e32 v2, s10
	s_xor_b64 exec, exec, s[6:7]
	s_cbranch_execz .LBB45_1002
.LBB45_3052:
	v_mov_b32_e32 v2, 0
	v_cmp_ne_u16_sdwa s[8:9], v3, v2 src0_sel:BYTE_0 src1_sel:DWORD
	s_andn2_b64 s[4:5], s[4:5], exec
	s_and_b64 s[8:9], s[8:9], exec
	s_or_b64 s[4:5], s[4:5], s[8:9]
	s_or_b64 exec, exec, s[6:7]
	s_and_saveexec_b64 s[6:7], s[4:5]
	s_cbranch_execnz .LBB45_1003
	s_branch .LBB45_1004
.LBB45_3053:
	s_movk_i32 s4, 0x80
	v_cmp_eq_u16_sdwa s[12:13], v3, s4 src0_sel:BYTE_0 src1_sel:DWORD
	s_mov_b64 s[4:5], -1
                                        ; implicit-def: $sgpr10
	s_and_saveexec_b64 s[8:9], s[12:13]
; %bb.3054:
	s_mov_b32 s10, 0x7f800001
	s_xor_b64 s[4:5], exec, -1
; %bb.3055:
	s_or_b64 exec, exec, s[8:9]
	s_and_b64 s[4:5], s[4:5], exec
	s_or_saveexec_b64 s[6:7], s[6:7]
	v_mov_b32_e32 v4, s10
	s_xor_b64 exec, exec, s[6:7]
	s_cbranch_execz .LBB45_1006
.LBB45_3056:
	v_mov_b32_e32 v4, 0
	v_cmp_ne_u16_sdwa s[8:9], v3, v4 src0_sel:BYTE_0 src1_sel:DWORD
	s_andn2_b64 s[4:5], s[4:5], exec
	s_and_b64 s[8:9], s[8:9], exec
	s_or_b64 s[4:5], s[4:5], s[8:9]
	s_or_b64 exec, exec, s[6:7]
	s_and_saveexec_b64 s[6:7], s[4:5]
	s_cbranch_execnz .LBB45_1007
	s_branch .LBB45_1008
.LBB45_3057:
	s_movk_i32 s4, 0x80
	v_cmp_eq_u16_e32 vcc, s4, v3
	s_mov_b64 s[4:5], -1
                                        ; implicit-def: $sgpr10
	s_and_saveexec_b64 s[8:9], vcc
; %bb.3058:
	s_mov_b32 s10, 0x7f800001
	s_xor_b64 s[4:5], exec, -1
; %bb.3059:
	s_or_b64 exec, exec, s[8:9]
	s_and_b64 s[4:5], s[4:5], exec
                                        ; implicit-def: $vgpr3
	s_or_saveexec_b64 s[6:7], s[6:7]
	v_mov_b32_e32 v2, s10
	s_xor_b64 exec, exec, s[6:7]
	s_cbranch_execz .LBB45_1010
.LBB45_3060:
	v_cmp_ne_u16_e32 vcc, 0, v3
	s_andn2_b64 s[4:5], s[4:5], exec
	s_and_b64 s[8:9], vcc, exec
	v_mov_b32_e32 v2, 0
	s_or_b64 s[4:5], s[4:5], s[8:9]
	s_or_b64 exec, exec, s[6:7]
	s_and_saveexec_b64 s[6:7], s[4:5]
	s_cbranch_execnz .LBB45_1011
	s_branch .LBB45_1012
.LBB45_3061:
	s_movk_i32 s4, 0x80
	v_cmp_eq_u16_e32 vcc, s4, v3
	s_mov_b64 s[4:5], -1
                                        ; implicit-def: $sgpr10
	s_and_saveexec_b64 s[8:9], vcc
; %bb.3062:
	s_mov_b32 s10, 0x7f800001
	s_xor_b64 s[4:5], exec, -1
; %bb.3063:
	s_or_b64 exec, exec, s[8:9]
	s_and_b64 s[4:5], s[4:5], exec
                                        ; implicit-def: $vgpr3
	s_or_saveexec_b64 s[6:7], s[6:7]
	v_mov_b32_e32 v4, s10
	s_xor_b64 exec, exec, s[6:7]
	s_cbranch_execz .LBB45_1014
.LBB45_3064:
	v_cmp_ne_u16_e32 vcc, 0, v3
	s_andn2_b64 s[4:5], s[4:5], exec
	s_and_b64 s[8:9], vcc, exec
	v_mov_b32_e32 v4, 0
	s_or_b64 s[4:5], s[4:5], s[8:9]
	s_or_b64 exec, exec, s[6:7]
	s_and_saveexec_b64 s[6:7], s[4:5]
	s_cbranch_execnz .LBB45_1015
	s_branch .LBB45_1016
.LBB45_3065:
	s_movk_i32 s4, 0x80
	v_cmp_eq_u16_sdwa s[12:13], v9, s4 src0_sel:BYTE_3 src1_sel:DWORD
	s_mov_b64 s[4:5], -1
                                        ; implicit-def: $sgpr10
	s_and_saveexec_b64 s[8:9], s[12:13]
; %bb.3066:
	s_mov_b32 s10, 0x7f800001
	s_xor_b64 s[4:5], exec, -1
; %bb.3067:
	s_or_b64 exec, exec, s[8:9]
	s_and_b64 s[4:5], s[4:5], exec
	s_or_saveexec_b64 s[6:7], s[6:7]
	v_mov_b32_e32 v2, s10
	s_xor_b64 exec, exec, s[6:7]
	s_cbranch_execz .LBB45_1018
.LBB45_3068:
	v_mov_b32_e32 v2, 0
	v_cmp_ne_u16_sdwa s[8:9], v9, v2 src0_sel:BYTE_3 src1_sel:DWORD
	s_andn2_b64 s[4:5], s[4:5], exec
	s_and_b64 s[8:9], s[8:9], exec
	s_or_b64 s[4:5], s[4:5], s[8:9]
	s_or_b64 exec, exec, s[6:7]
	s_and_saveexec_b64 s[6:7], s[4:5]
	s_cbranch_execnz .LBB45_1019
	s_branch .LBB45_1020
.LBB45_3069:
	s_movk_i32 s4, 0x80
	v_cmp_eq_u16_sdwa s[12:13], v5, s4 src0_sel:BYTE_3 src1_sel:DWORD
	s_mov_b64 s[4:5], -1
                                        ; implicit-def: $sgpr10
	s_and_saveexec_b64 s[8:9], s[12:13]
; %bb.3070:
	s_mov_b32 s10, 0x7f800001
	s_xor_b64 s[4:5], exec, -1
; %bb.3071:
	s_or_b64 exec, exec, s[8:9]
	s_and_b64 s[4:5], s[4:5], exec
	s_or_saveexec_b64 s[6:7], s[6:7]
	v_mov_b32_e32 v3, s10
	s_xor_b64 exec, exec, s[6:7]
	s_cbranch_execz .LBB45_1022
.LBB45_3072:
	v_mov_b32_e32 v3, 0
	v_cmp_ne_u16_sdwa s[8:9], v5, v3 src0_sel:BYTE_3 src1_sel:DWORD
	s_andn2_b64 s[4:5], s[4:5], exec
	s_and_b64 s[8:9], s[8:9], exec
	s_or_b64 s[4:5], s[4:5], s[8:9]
	s_or_b64 exec, exec, s[6:7]
	s_and_saveexec_b64 s[6:7], s[4:5]
	s_cbranch_execnz .LBB45_1023
	s_branch .LBB45_1024
.LBB45_3073:
	s_movk_i32 s4, 0x80
	v_cmp_eq_u16_sdwa s[12:13], v14, s4 src0_sel:BYTE_0 src1_sel:DWORD
	s_mov_b64 s[4:5], -1
                                        ; implicit-def: $sgpr10
	s_and_saveexec_b64 s[8:9], s[12:13]
; %bb.3074:
	s_mov_b32 s10, 0x7f800001
	s_xor_b64 s[4:5], exec, -1
; %bb.3075:
	s_or_b64 exec, exec, s[8:9]
	s_and_b64 s[4:5], s[4:5], exec
	s_or_saveexec_b64 s[6:7], s[6:7]
	v_mov_b32_e32 v20, s10
	s_xor_b64 exec, exec, s[6:7]
	s_cbranch_execz .LBB45_1026
.LBB45_3076:
	v_mov_b32_e32 v20, 0
	v_cmp_ne_u16_sdwa s[8:9], v14, v20 src0_sel:BYTE_0 src1_sel:DWORD
	s_andn2_b64 s[4:5], s[4:5], exec
	s_and_b64 s[8:9], s[8:9], exec
	s_or_b64 s[4:5], s[4:5], s[8:9]
	s_or_b64 exec, exec, s[6:7]
	s_and_saveexec_b64 s[6:7], s[4:5]
	s_cbranch_execnz .LBB45_1027
	s_branch .LBB45_1028
.LBB45_3077:
	s_movk_i32 s4, 0x80
	v_cmp_eq_u16_sdwa s[12:13], v10, s4 src0_sel:BYTE_0 src1_sel:DWORD
	s_mov_b64 s[4:5], -1
                                        ; implicit-def: $sgpr10
	s_and_saveexec_b64 s[8:9], s[12:13]
; %bb.3078:
	s_mov_b32 s10, 0x7f800001
	s_xor_b64 s[4:5], exec, -1
; %bb.3079:
	s_or_b64 exec, exec, s[8:9]
	s_and_b64 s[4:5], s[4:5], exec
	s_or_saveexec_b64 s[6:7], s[6:7]
	v_mov_b32_e32 v21, s10
	s_xor_b64 exec, exec, s[6:7]
	s_cbranch_execz .LBB45_1030
.LBB45_3080:
	v_mov_b32_e32 v21, 0
	v_cmp_ne_u16_sdwa s[8:9], v10, v21 src0_sel:BYTE_0 src1_sel:DWORD
	s_andn2_b64 s[4:5], s[4:5], exec
	s_and_b64 s[8:9], s[8:9], exec
	s_or_b64 s[4:5], s[4:5], s[8:9]
	s_or_b64 exec, exec, s[6:7]
	s_and_saveexec_b64 s[6:7], s[4:5]
	s_cbranch_execnz .LBB45_1031
	s_branch .LBB45_1032
.LBB45_3081:
	s_movk_i32 s4, 0x80
	v_cmp_eq_u16_sdwa s[12:13], v21, s4 src0_sel:BYTE_0 src1_sel:DWORD
	s_mov_b64 s[4:5], -1
                                        ; implicit-def: $sgpr10
	s_and_saveexec_b64 s[8:9], s[12:13]
; %bb.3082:
	s_mov_b32 s10, 0x7f800001
	s_xor_b64 s[4:5], exec, -1
; %bb.3083:
	s_or_b64 exec, exec, s[8:9]
	s_and_b64 s[4:5], s[4:5], exec
	s_or_saveexec_b64 s[6:7], s[6:7]
	v_mov_b32_e32 v20, s10
	s_xor_b64 exec, exec, s[6:7]
	s_cbranch_execz .LBB45_1034
.LBB45_3084:
	v_mov_b32_e32 v20, 0
	v_cmp_ne_u16_sdwa s[8:9], v21, v20 src0_sel:BYTE_0 src1_sel:DWORD
	s_andn2_b64 s[4:5], s[4:5], exec
	s_and_b64 s[8:9], s[8:9], exec
	s_or_b64 s[4:5], s[4:5], s[8:9]
	s_or_b64 exec, exec, s[6:7]
	s_and_saveexec_b64 s[6:7], s[4:5]
	s_cbranch_execnz .LBB45_1035
	s_branch .LBB45_1036
.LBB45_3085:
	s_movk_i32 s4, 0x80
	v_cmp_eq_u16_sdwa s[12:13], v21, s4 src0_sel:BYTE_0 src1_sel:DWORD
	s_mov_b64 s[4:5], -1
                                        ; implicit-def: $sgpr10
	s_and_saveexec_b64 s[8:9], s[12:13]
; %bb.3086:
	s_mov_b32 s10, 0x7f800001
	s_xor_b64 s[4:5], exec, -1
; %bb.3087:
	s_or_b64 exec, exec, s[8:9]
	s_and_b64 s[4:5], s[4:5], exec
	s_or_saveexec_b64 s[6:7], s[6:7]
	v_mov_b32_e32 v22, s10
	s_xor_b64 exec, exec, s[6:7]
	s_cbranch_execz .LBB45_1038
.LBB45_3088:
	v_mov_b32_e32 v22, 0
	v_cmp_ne_u16_sdwa s[8:9], v21, v22 src0_sel:BYTE_0 src1_sel:DWORD
	s_andn2_b64 s[4:5], s[4:5], exec
	s_and_b64 s[8:9], s[8:9], exec
	s_or_b64 s[4:5], s[4:5], s[8:9]
	s_or_b64 exec, exec, s[6:7]
	s_and_saveexec_b64 s[6:7], s[4:5]
	s_cbranch_execnz .LBB45_1039
	s_branch .LBB45_1040
.LBB45_3089:
	s_movk_i32 s4, 0x80
	v_cmp_eq_u16_e32 vcc, s4, v21
	s_mov_b64 s[4:5], -1
                                        ; implicit-def: $sgpr10
	s_and_saveexec_b64 s[8:9], vcc
; %bb.3090:
	s_mov_b32 s10, 0x7f800001
	s_xor_b64 s[4:5], exec, -1
; %bb.3091:
	s_or_b64 exec, exec, s[8:9]
	s_and_b64 s[4:5], s[4:5], exec
                                        ; implicit-def: $vgpr21
	s_or_saveexec_b64 s[6:7], s[6:7]
	v_mov_b32_e32 v20, s10
	s_xor_b64 exec, exec, s[6:7]
	s_cbranch_execz .LBB45_1042
.LBB45_3092:
	v_cmp_ne_u16_e32 vcc, 0, v21
	s_andn2_b64 s[4:5], s[4:5], exec
	s_and_b64 s[8:9], vcc, exec
	v_mov_b32_e32 v20, 0
	s_or_b64 s[4:5], s[4:5], s[8:9]
	s_or_b64 exec, exec, s[6:7]
	s_and_saveexec_b64 s[6:7], s[4:5]
	s_cbranch_execnz .LBB45_1043
	s_branch .LBB45_1044
.LBB45_3093:
	s_movk_i32 s4, 0x80
	v_cmp_eq_u16_e32 vcc, s4, v21
	s_mov_b64 s[4:5], -1
                                        ; implicit-def: $sgpr10
	s_and_saveexec_b64 s[8:9], vcc
; %bb.3094:
	s_mov_b32 s10, 0x7f800001
	s_xor_b64 s[4:5], exec, -1
; %bb.3095:
	s_or_b64 exec, exec, s[8:9]
	s_and_b64 s[4:5], s[4:5], exec
                                        ; implicit-def: $vgpr21
	s_or_saveexec_b64 s[6:7], s[6:7]
	v_mov_b32_e32 v22, s10
	s_xor_b64 exec, exec, s[6:7]
	s_cbranch_execz .LBB45_1046
.LBB45_3096:
	v_cmp_ne_u16_e32 vcc, 0, v21
	s_andn2_b64 s[4:5], s[4:5], exec
	s_and_b64 s[8:9], vcc, exec
	v_mov_b32_e32 v22, 0
	s_or_b64 s[4:5], s[4:5], s[8:9]
	s_or_b64 exec, exec, s[6:7]
	s_and_saveexec_b64 s[6:7], s[4:5]
	s_cbranch_execnz .LBB45_1047
	s_branch .LBB45_1048
.LBB45_3097:
	s_movk_i32 s4, 0x80
	v_cmp_eq_u16_sdwa s[12:13], v14, s4 src0_sel:BYTE_3 src1_sel:DWORD
	s_mov_b64 s[4:5], -1
                                        ; implicit-def: $sgpr10
	s_and_saveexec_b64 s[8:9], s[12:13]
; %bb.3098:
	s_mov_b32 s10, 0x7f800001
	s_xor_b64 s[4:5], exec, -1
; %bb.3099:
	s_or_b64 exec, exec, s[8:9]
	s_and_b64 s[4:5], s[4:5], exec
	s_or_saveexec_b64 s[6:7], s[6:7]
	v_mov_b32_e32 v20, s10
	s_xor_b64 exec, exec, s[6:7]
	s_cbranch_execz .LBB45_1050
.LBB45_3100:
	v_mov_b32_e32 v20, 0
	v_cmp_ne_u16_sdwa s[8:9], v14, v20 src0_sel:BYTE_3 src1_sel:DWORD
	s_andn2_b64 s[4:5], s[4:5], exec
	s_and_b64 s[8:9], s[8:9], exec
	s_or_b64 s[4:5], s[4:5], s[8:9]
	s_or_b64 exec, exec, s[6:7]
	s_and_saveexec_b64 s[6:7], s[4:5]
	s_cbranch_execnz .LBB45_1051
	s_branch .LBB45_1052
.LBB45_3101:
	s_movk_i32 s4, 0x80
	v_cmp_eq_u16_sdwa s[12:13], v10, s4 src0_sel:BYTE_3 src1_sel:DWORD
	s_mov_b64 s[4:5], -1
                                        ; implicit-def: $sgpr10
	s_and_saveexec_b64 s[8:9], s[12:13]
; %bb.3102:
	s_mov_b32 s10, 0x7f800001
	s_xor_b64 s[4:5], exec, -1
; %bb.3103:
	s_or_b64 exec, exec, s[8:9]
	s_and_b64 s[4:5], s[4:5], exec
	s_or_saveexec_b64 s[6:7], s[6:7]
	v_mov_b32_e32 v14, s10
	s_xor_b64 exec, exec, s[6:7]
	s_cbranch_execz .LBB45_1054
.LBB45_3104:
	v_mov_b32_e32 v14, 0
	v_cmp_ne_u16_sdwa s[8:9], v10, v14 src0_sel:BYTE_3 src1_sel:DWORD
	s_andn2_b64 s[4:5], s[4:5], exec
	s_and_b64 s[8:9], s[8:9], exec
	s_or_b64 s[4:5], s[4:5], s[8:9]
	s_or_b64 exec, exec, s[6:7]
	s_and_saveexec_b64 s[6:7], s[4:5]
	s_cbranch_execnz .LBB45_1055
	s_branch .LBB45_1056
.LBB45_3105:
	s_movk_i32 s4, 0x80
	v_cmp_eq_u16_sdwa s[12:13], v15, s4 src0_sel:BYTE_0 src1_sel:DWORD
	s_mov_b64 s[4:5], -1
                                        ; implicit-def: $sgpr10
	s_and_saveexec_b64 s[8:9], s[12:13]
; %bb.3106:
	s_mov_b32 s10, 0x7f800001
	s_xor_b64 s[4:5], exec, -1
; %bb.3107:
	s_or_b64 exec, exec, s[8:9]
	s_and_b64 s[4:5], s[4:5], exec
	s_or_saveexec_b64 s[6:7], s[6:7]
	v_mov_b32_e32 v10, s10
	s_xor_b64 exec, exec, s[6:7]
	s_cbranch_execz .LBB45_1058
.LBB45_3108:
	v_mov_b32_e32 v10, 0
	v_cmp_ne_u16_sdwa s[8:9], v15, v10 src0_sel:BYTE_0 src1_sel:DWORD
	s_andn2_b64 s[4:5], s[4:5], exec
	s_and_b64 s[8:9], s[8:9], exec
	s_or_b64 s[4:5], s[4:5], s[8:9]
	s_or_b64 exec, exec, s[6:7]
	s_and_saveexec_b64 s[6:7], s[4:5]
	s_cbranch_execnz .LBB45_1059
	s_branch .LBB45_1060
.LBB45_3109:
	s_movk_i32 s4, 0x80
	v_cmp_eq_u16_sdwa s[12:13], v11, s4 src0_sel:BYTE_0 src1_sel:DWORD
	s_mov_b64 s[4:5], -1
                                        ; implicit-def: $sgpr10
	s_and_saveexec_b64 s[8:9], s[12:13]
; %bb.3110:
	s_mov_b32 s10, 0x7f800001
	s_xor_b64 s[4:5], exec, -1
; %bb.3111:
	s_or_b64 exec, exec, s[8:9]
	s_and_b64 s[4:5], s[4:5], exec
	s_or_saveexec_b64 s[6:7], s[6:7]
	v_mov_b32_e32 v14, s10
	s_xor_b64 exec, exec, s[6:7]
	s_cbranch_execz .LBB45_1062
.LBB45_3112:
	v_mov_b32_e32 v14, 0
	v_cmp_ne_u16_sdwa s[8:9], v11, v14 src0_sel:BYTE_0 src1_sel:DWORD
	s_andn2_b64 s[4:5], s[4:5], exec
	s_and_b64 s[8:9], s[8:9], exec
	s_or_b64 s[4:5], s[4:5], s[8:9]
	s_or_b64 exec, exec, s[6:7]
	s_and_saveexec_b64 s[6:7], s[4:5]
	s_cbranch_execnz .LBB45_1063
	s_branch .LBB45_1064
.LBB45_3113:
	s_movk_i32 s4, 0x80
	v_cmp_eq_u16_sdwa s[12:13], v14, s4 src0_sel:BYTE_0 src1_sel:DWORD
	s_mov_b64 s[4:5], -1
                                        ; implicit-def: $sgpr10
	s_and_saveexec_b64 s[8:9], s[12:13]
; %bb.3114:
	s_mov_b32 s10, 0x7f800001
	s_xor_b64 s[4:5], exec, -1
; %bb.3115:
	s_or_b64 exec, exec, s[8:9]
	s_and_b64 s[4:5], s[4:5], exec
	s_or_saveexec_b64 s[6:7], s[6:7]
	v_mov_b32_e32 v10, s10
	s_xor_b64 exec, exec, s[6:7]
	s_cbranch_execz .LBB45_1066
.LBB45_3116:
	v_mov_b32_e32 v10, 0
	v_cmp_ne_u16_sdwa s[8:9], v14, v10 src0_sel:BYTE_0 src1_sel:DWORD
	s_andn2_b64 s[4:5], s[4:5], exec
	s_and_b64 s[8:9], s[8:9], exec
	s_or_b64 s[4:5], s[4:5], s[8:9]
	s_or_b64 exec, exec, s[6:7]
	s_and_saveexec_b64 s[6:7], s[4:5]
	s_cbranch_execnz .LBB45_1067
	s_branch .LBB45_1068
.LBB45_3117:
	s_movk_i32 s4, 0x80
	v_cmp_eq_u16_sdwa s[12:13], v14, s4 src0_sel:BYTE_0 src1_sel:DWORD
	s_mov_b64 s[4:5], -1
                                        ; implicit-def: $sgpr10
	s_and_saveexec_b64 s[8:9], s[12:13]
; %bb.3118:
	s_mov_b32 s10, 0x7f800001
	s_xor_b64 s[4:5], exec, -1
; %bb.3119:
	s_or_b64 exec, exec, s[8:9]
	s_and_b64 s[4:5], s[4:5], exec
	s_or_saveexec_b64 s[6:7], s[6:7]
	v_mov_b32_e32 v20, s10
	s_xor_b64 exec, exec, s[6:7]
	s_cbranch_execz .LBB45_1070
.LBB45_3120:
	v_mov_b32_e32 v20, 0
	v_cmp_ne_u16_sdwa s[8:9], v14, v20 src0_sel:BYTE_0 src1_sel:DWORD
	s_andn2_b64 s[4:5], s[4:5], exec
	s_and_b64 s[8:9], s[8:9], exec
	s_or_b64 s[4:5], s[4:5], s[8:9]
	s_or_b64 exec, exec, s[6:7]
	s_and_saveexec_b64 s[6:7], s[4:5]
	s_cbranch_execnz .LBB45_1071
	s_branch .LBB45_1072
.LBB45_3121:
	s_movk_i32 s4, 0x80
	v_cmp_eq_u16_e32 vcc, s4, v14
	s_mov_b64 s[4:5], -1
                                        ; implicit-def: $sgpr10
	s_and_saveexec_b64 s[8:9], vcc
; %bb.3122:
	s_mov_b32 s10, 0x7f800001
	s_xor_b64 s[4:5], exec, -1
; %bb.3123:
	s_or_b64 exec, exec, s[8:9]
	s_and_b64 s[4:5], s[4:5], exec
                                        ; implicit-def: $vgpr14
	s_or_saveexec_b64 s[6:7], s[6:7]
	v_mov_b32_e32 v10, s10
	s_xor_b64 exec, exec, s[6:7]
	s_cbranch_execz .LBB45_1074
.LBB45_3124:
	v_cmp_ne_u16_e32 vcc, 0, v14
	s_andn2_b64 s[4:5], s[4:5], exec
	s_and_b64 s[8:9], vcc, exec
	v_mov_b32_e32 v10, 0
	s_or_b64 s[4:5], s[4:5], s[8:9]
	s_or_b64 exec, exec, s[6:7]
	s_and_saveexec_b64 s[6:7], s[4:5]
	s_cbranch_execnz .LBB45_1075
	s_branch .LBB45_1076
.LBB45_3125:
	s_movk_i32 s4, 0x80
	v_cmp_eq_u16_e32 vcc, s4, v14
	s_mov_b64 s[4:5], -1
                                        ; implicit-def: $sgpr10
	s_and_saveexec_b64 s[8:9], vcc
; %bb.3126:
	s_mov_b32 s10, 0x7f800001
	s_xor_b64 s[4:5], exec, -1
; %bb.3127:
	s_or_b64 exec, exec, s[8:9]
	s_and_b64 s[4:5], s[4:5], exec
                                        ; implicit-def: $vgpr14
	s_or_saveexec_b64 s[6:7], s[6:7]
	v_mov_b32_e32 v20, s10
	s_xor_b64 exec, exec, s[6:7]
	s_cbranch_execz .LBB45_1078
.LBB45_3128:
	v_cmp_ne_u16_e32 vcc, 0, v14
	s_andn2_b64 s[4:5], s[4:5], exec
	s_and_b64 s[8:9], vcc, exec
	v_mov_b32_e32 v20, 0
	s_or_b64 s[4:5], s[4:5], s[8:9]
	s_or_b64 exec, exec, s[6:7]
	s_and_saveexec_b64 s[6:7], s[4:5]
	s_cbranch_execnz .LBB45_1079
	s_branch .LBB45_1080
.LBB45_3129:
	s_movk_i32 s4, 0x80
	v_cmp_eq_u16_sdwa s[12:13], v15, s4 src0_sel:BYTE_3 src1_sel:DWORD
	s_mov_b64 s[4:5], -1
                                        ; implicit-def: $sgpr10
	s_and_saveexec_b64 s[8:9], s[12:13]
; %bb.3130:
	s_mov_b32 s10, 0x7f800001
	s_xor_b64 s[4:5], exec, -1
; %bb.3131:
	s_or_b64 exec, exec, s[8:9]
	s_and_b64 s[4:5], s[4:5], exec
	s_or_saveexec_b64 s[6:7], s[6:7]
	v_mov_b32_e32 v10, s10
	s_xor_b64 exec, exec, s[6:7]
	s_cbranch_execz .LBB45_1082
.LBB45_3132:
	v_mov_b32_e32 v10, 0
	v_cmp_ne_u16_sdwa s[8:9], v15, v10 src0_sel:BYTE_3 src1_sel:DWORD
	s_andn2_b64 s[4:5], s[4:5], exec
	s_and_b64 s[8:9], s[8:9], exec
	s_or_b64 s[4:5], s[4:5], s[8:9]
	s_or_b64 exec, exec, s[6:7]
	s_and_saveexec_b64 s[6:7], s[4:5]
	s_cbranch_execnz .LBB45_1083
	s_branch .LBB45_1084
.LBB45_3133:
	s_movk_i32 s4, 0x80
	v_cmp_eq_u16_sdwa s[12:13], v11, s4 src0_sel:BYTE_3 src1_sel:DWORD
	s_mov_b64 s[4:5], -1
                                        ; implicit-def: $sgpr10
	s_and_saveexec_b64 s[8:9], s[12:13]
; %bb.3134:
	s_mov_b32 s10, 0x7f800001
	s_xor_b64 s[4:5], exec, -1
; %bb.3135:
	s_or_b64 exec, exec, s[8:9]
	s_and_b64 s[4:5], s[4:5], exec
	s_or_saveexec_b64 s[6:7], s[6:7]
	v_mov_b32_e32 v14, s10
	s_xor_b64 exec, exec, s[6:7]
	s_cbranch_execz .LBB45_1086
.LBB45_3136:
	v_mov_b32_e32 v14, 0
	v_cmp_ne_u16_sdwa s[8:9], v11, v14 src0_sel:BYTE_3 src1_sel:DWORD
	s_andn2_b64 s[4:5], s[4:5], exec
	s_and_b64 s[8:9], s[8:9], exec
	s_or_b64 s[4:5], s[4:5], s[8:9]
	s_or_b64 exec, exec, s[6:7]
	s_and_saveexec_b64 s[6:7], s[4:5]
	s_cbranch_execnz .LBB45_1087
	s_branch .LBB45_1088
.LBB45_3137:
	s_movk_i32 s4, 0x80
	v_cmp_eq_u16_sdwa s[12:13], v16, s4 src0_sel:BYTE_0 src1_sel:DWORD
	s_mov_b64 s[4:5], -1
                                        ; implicit-def: $sgpr10
	s_and_saveexec_b64 s[8:9], s[12:13]
; %bb.3138:
	s_mov_b32 s10, 0x7f800001
	s_xor_b64 s[4:5], exec, -1
; %bb.3139:
	s_or_b64 exec, exec, s[8:9]
	s_and_b64 s[4:5], s[4:5], exec
	s_or_saveexec_b64 s[6:7], s[6:7]
	v_mov_b32_e32 v10, s10
	s_xor_b64 exec, exec, s[6:7]
	s_cbranch_execz .LBB45_1090
.LBB45_3140:
	v_mov_b32_e32 v10, 0
	v_cmp_ne_u16_sdwa s[8:9], v16, v10 src0_sel:BYTE_0 src1_sel:DWORD
	s_andn2_b64 s[4:5], s[4:5], exec
	s_and_b64 s[8:9], s[8:9], exec
	s_or_b64 s[4:5], s[4:5], s[8:9]
	s_or_b64 exec, exec, s[6:7]
	s_and_saveexec_b64 s[6:7], s[4:5]
	s_cbranch_execnz .LBB45_1091
	s_branch .LBB45_1092
.LBB45_3141:
	s_movk_i32 s4, 0x80
	v_cmp_eq_u16_sdwa s[12:13], v12, s4 src0_sel:BYTE_0 src1_sel:DWORD
	s_mov_b64 s[4:5], -1
                                        ; implicit-def: $sgpr10
	s_and_saveexec_b64 s[8:9], s[12:13]
; %bb.3142:
	s_mov_b32 s10, 0x7f800001
	s_xor_b64 s[4:5], exec, -1
; %bb.3143:
	s_or_b64 exec, exec, s[8:9]
	s_and_b64 s[4:5], s[4:5], exec
	s_or_saveexec_b64 s[6:7], s[6:7]
	v_mov_b32_e32 v11, s10
	s_xor_b64 exec, exec, s[6:7]
	s_cbranch_execz .LBB45_1094
.LBB45_3144:
	v_mov_b32_e32 v11, 0
	v_cmp_ne_u16_sdwa s[8:9], v12, v11 src0_sel:BYTE_0 src1_sel:DWORD
	s_andn2_b64 s[4:5], s[4:5], exec
	s_and_b64 s[8:9], s[8:9], exec
	s_or_b64 s[4:5], s[4:5], s[8:9]
	s_or_b64 exec, exec, s[6:7]
	s_and_saveexec_b64 s[6:7], s[4:5]
	s_cbranch_execnz .LBB45_1095
	s_branch .LBB45_1096
.LBB45_3145:
	s_movk_i32 s4, 0x80
	v_cmp_eq_u16_sdwa s[12:13], v11, s4 src0_sel:BYTE_0 src1_sel:DWORD
	s_mov_b64 s[4:5], -1
                                        ; implicit-def: $sgpr10
	s_and_saveexec_b64 s[8:9], s[12:13]
; %bb.3146:
	s_mov_b32 s10, 0x7f800001
	s_xor_b64 s[4:5], exec, -1
; %bb.3147:
	s_or_b64 exec, exec, s[8:9]
	s_and_b64 s[4:5], s[4:5], exec
	s_or_saveexec_b64 s[6:7], s[6:7]
	v_mov_b32_e32 v10, s10
	s_xor_b64 exec, exec, s[6:7]
	s_cbranch_execz .LBB45_1098
.LBB45_3148:
	v_mov_b32_e32 v10, 0
	v_cmp_ne_u16_sdwa s[8:9], v11, v10 src0_sel:BYTE_0 src1_sel:DWORD
	s_andn2_b64 s[4:5], s[4:5], exec
	s_and_b64 s[8:9], s[8:9], exec
	s_or_b64 s[4:5], s[4:5], s[8:9]
	s_or_b64 exec, exec, s[6:7]
	s_and_saveexec_b64 s[6:7], s[4:5]
	s_cbranch_execnz .LBB45_1099
	s_branch .LBB45_1100
.LBB45_3149:
	s_movk_i32 s4, 0x80
	v_cmp_eq_u16_sdwa s[12:13], v11, s4 src0_sel:BYTE_0 src1_sel:DWORD
	s_mov_b64 s[4:5], -1
                                        ; implicit-def: $sgpr10
	s_and_saveexec_b64 s[8:9], s[12:13]
; %bb.3150:
	s_mov_b32 s10, 0x7f800001
	s_xor_b64 s[4:5], exec, -1
; %bb.3151:
	s_or_b64 exec, exec, s[8:9]
	s_and_b64 s[4:5], s[4:5], exec
	s_or_saveexec_b64 s[6:7], s[6:7]
	v_mov_b32_e32 v14, s10
	s_xor_b64 exec, exec, s[6:7]
	s_cbranch_execz .LBB45_1102
.LBB45_3152:
	v_mov_b32_e32 v14, 0
	v_cmp_ne_u16_sdwa s[8:9], v11, v14 src0_sel:BYTE_0 src1_sel:DWORD
	s_andn2_b64 s[4:5], s[4:5], exec
	s_and_b64 s[8:9], s[8:9], exec
	s_or_b64 s[4:5], s[4:5], s[8:9]
	s_or_b64 exec, exec, s[6:7]
	s_and_saveexec_b64 s[6:7], s[4:5]
	s_cbranch_execnz .LBB45_1103
	s_branch .LBB45_1104
.LBB45_3153:
	s_movk_i32 s4, 0x80
	v_cmp_eq_u16_e32 vcc, s4, v11
	s_mov_b64 s[4:5], -1
                                        ; implicit-def: $sgpr10
	s_and_saveexec_b64 s[8:9], vcc
; %bb.3154:
	s_mov_b32 s10, 0x7f800001
	s_xor_b64 s[4:5], exec, -1
; %bb.3155:
	s_or_b64 exec, exec, s[8:9]
	s_and_b64 s[4:5], s[4:5], exec
                                        ; implicit-def: $vgpr11
	s_or_saveexec_b64 s[6:7], s[6:7]
	v_mov_b32_e32 v10, s10
	s_xor_b64 exec, exec, s[6:7]
	s_cbranch_execz .LBB45_1106
.LBB45_3156:
	v_cmp_ne_u16_e32 vcc, 0, v11
	s_andn2_b64 s[4:5], s[4:5], exec
	s_and_b64 s[8:9], vcc, exec
	v_mov_b32_e32 v10, 0
	s_or_b64 s[4:5], s[4:5], s[8:9]
	s_or_b64 exec, exec, s[6:7]
	s_and_saveexec_b64 s[6:7], s[4:5]
	s_cbranch_execnz .LBB45_1107
	s_branch .LBB45_1108
.LBB45_3157:
	s_movk_i32 s4, 0x80
	v_cmp_eq_u16_e32 vcc, s4, v11
	s_mov_b64 s[4:5], -1
                                        ; implicit-def: $sgpr10
	s_and_saveexec_b64 s[8:9], vcc
; %bb.3158:
	s_mov_b32 s10, 0x7f800001
	s_xor_b64 s[4:5], exec, -1
; %bb.3159:
	s_or_b64 exec, exec, s[8:9]
	s_and_b64 s[4:5], s[4:5], exec
                                        ; implicit-def: $vgpr11
	s_or_saveexec_b64 s[6:7], s[6:7]
	v_mov_b32_e32 v14, s10
	s_xor_b64 exec, exec, s[6:7]
	s_cbranch_execz .LBB45_1110
.LBB45_3160:
	v_cmp_ne_u16_e32 vcc, 0, v11
	s_andn2_b64 s[4:5], s[4:5], exec
	s_and_b64 s[8:9], vcc, exec
	v_mov_b32_e32 v14, 0
	s_or_b64 s[4:5], s[4:5], s[8:9]
	s_or_b64 exec, exec, s[6:7]
	s_and_saveexec_b64 s[6:7], s[4:5]
	s_cbranch_execnz .LBB45_1111
	s_branch .LBB45_1112
.LBB45_3161:
	s_movk_i32 s4, 0x80
	v_cmp_eq_u16_sdwa s[12:13], v16, s4 src0_sel:BYTE_3 src1_sel:DWORD
	s_mov_b64 s[4:5], -1
                                        ; implicit-def: $sgpr10
	s_and_saveexec_b64 s[8:9], s[12:13]
; %bb.3162:
	s_mov_b32 s10, 0x7f800001
	s_xor_b64 s[4:5], exec, -1
; %bb.3163:
	s_or_b64 exec, exec, s[8:9]
	s_and_b64 s[4:5], s[4:5], exec
	s_or_saveexec_b64 s[6:7], s[6:7]
	v_mov_b32_e32 v10, s10
	s_xor_b64 exec, exec, s[6:7]
	s_cbranch_execz .LBB45_1114
.LBB45_3164:
	v_mov_b32_e32 v10, 0
	v_cmp_ne_u16_sdwa s[8:9], v16, v10 src0_sel:BYTE_3 src1_sel:DWORD
	s_andn2_b64 s[4:5], s[4:5], exec
	s_and_b64 s[8:9], s[8:9], exec
	s_or_b64 s[4:5], s[4:5], s[8:9]
	s_or_b64 exec, exec, s[6:7]
	s_and_saveexec_b64 s[6:7], s[4:5]
	s_cbranch_execnz .LBB45_1115
	s_branch .LBB45_1116
.LBB45_3165:
	s_movk_i32 s4, 0x80
	v_cmp_eq_u16_sdwa s[12:13], v12, s4 src0_sel:BYTE_3 src1_sel:DWORD
	s_mov_b64 s[4:5], -1
                                        ; implicit-def: $sgpr10
	s_and_saveexec_b64 s[8:9], s[12:13]
; %bb.3166:
	s_mov_b32 s10, 0x7f800001
	s_xor_b64 s[4:5], exec, -1
; %bb.3167:
	s_or_b64 exec, exec, s[8:9]
	s_and_b64 s[4:5], s[4:5], exec
	s_or_saveexec_b64 s[6:7], s[6:7]
	v_mov_b32_e32 v11, s10
	s_xor_b64 exec, exec, s[6:7]
	s_cbranch_execz .LBB45_1118
.LBB45_3168:
	v_mov_b32_e32 v11, 0
	v_cmp_ne_u16_sdwa s[8:9], v12, v11 src0_sel:BYTE_3 src1_sel:DWORD
	s_andn2_b64 s[4:5], s[4:5], exec
	s_and_b64 s[8:9], s[8:9], exec
	s_or_b64 s[4:5], s[4:5], s[8:9]
	s_or_b64 exec, exec, s[6:7]
	s_and_saveexec_b64 s[6:7], s[4:5]
	s_cbranch_execnz .LBB45_1119
	s_branch .LBB45_1120
.LBB45_3169:
	s_movk_i32 s4, 0x80
	v_cmp_eq_u16_sdwa s[12:13], v17, s4 src0_sel:BYTE_0 src1_sel:DWORD
	s_mov_b64 s[4:5], -1
                                        ; implicit-def: $sgpr10
	s_and_saveexec_b64 s[8:9], s[12:13]
; %bb.3170:
	s_mov_b32 s10, 0x7f800001
	s_xor_b64 s[4:5], exec, -1
; %bb.3171:
	s_or_b64 exec, exec, s[8:9]
	s_and_b64 s[4:5], s[4:5], exec
	s_or_saveexec_b64 s[6:7], s[6:7]
	v_mov_b32_e32 v10, s10
	s_xor_b64 exec, exec, s[6:7]
	s_cbranch_execz .LBB45_1122
.LBB45_3172:
	v_mov_b32_e32 v10, 0
	v_cmp_ne_u16_sdwa s[8:9], v17, v10 src0_sel:BYTE_0 src1_sel:DWORD
	s_andn2_b64 s[4:5], s[4:5], exec
	s_and_b64 s[8:9], s[8:9], exec
	s_or_b64 s[4:5], s[4:5], s[8:9]
	s_or_b64 exec, exec, s[6:7]
	s_and_saveexec_b64 s[6:7], s[4:5]
	s_cbranch_execnz .LBB45_1123
	s_branch .LBB45_1124
.LBB45_3173:
	s_movk_i32 s4, 0x80
	v_cmp_eq_u16_sdwa s[12:13], v13, s4 src0_sel:BYTE_0 src1_sel:DWORD
	s_mov_b64 s[4:5], -1
                                        ; implicit-def: $sgpr10
	s_and_saveexec_b64 s[8:9], s[12:13]
; %bb.3174:
	s_mov_b32 s10, 0x7f800001
	s_xor_b64 s[4:5], exec, -1
; %bb.3175:
	s_or_b64 exec, exec, s[8:9]
	s_and_b64 s[4:5], s[4:5], exec
	s_or_saveexec_b64 s[6:7], s[6:7]
	v_mov_b32_e32 v11, s10
	s_xor_b64 exec, exec, s[6:7]
	s_cbranch_execz .LBB45_1126
.LBB45_3176:
	v_mov_b32_e32 v11, 0
	v_cmp_ne_u16_sdwa s[8:9], v13, v11 src0_sel:BYTE_0 src1_sel:DWORD
	s_andn2_b64 s[4:5], s[4:5], exec
	s_and_b64 s[8:9], s[8:9], exec
	s_or_b64 s[4:5], s[4:5], s[8:9]
	s_or_b64 exec, exec, s[6:7]
	s_and_saveexec_b64 s[6:7], s[4:5]
	s_cbranch_execnz .LBB45_1127
	s_branch .LBB45_1128
.LBB45_3177:
	s_movk_i32 s4, 0x80
	v_cmp_eq_u16_sdwa s[12:13], v11, s4 src0_sel:BYTE_0 src1_sel:DWORD
	s_mov_b64 s[4:5], -1
                                        ; implicit-def: $sgpr10
	s_and_saveexec_b64 s[8:9], s[12:13]
; %bb.3178:
	s_mov_b32 s10, 0x7f800001
	s_xor_b64 s[4:5], exec, -1
; %bb.3179:
	s_or_b64 exec, exec, s[8:9]
	s_and_b64 s[4:5], s[4:5], exec
	s_or_saveexec_b64 s[6:7], s[6:7]
	v_mov_b32_e32 v10, s10
	s_xor_b64 exec, exec, s[6:7]
	s_cbranch_execz .LBB45_1130
.LBB45_3180:
	v_mov_b32_e32 v10, 0
	v_cmp_ne_u16_sdwa s[8:9], v11, v10 src0_sel:BYTE_0 src1_sel:DWORD
	s_andn2_b64 s[4:5], s[4:5], exec
	s_and_b64 s[8:9], s[8:9], exec
	s_or_b64 s[4:5], s[4:5], s[8:9]
	s_or_b64 exec, exec, s[6:7]
	s_and_saveexec_b64 s[6:7], s[4:5]
	s_cbranch_execnz .LBB45_1131
	s_branch .LBB45_1132
.LBB45_3181:
	s_movk_i32 s4, 0x80
	v_cmp_eq_u16_sdwa s[12:13], v11, s4 src0_sel:BYTE_0 src1_sel:DWORD
	s_mov_b64 s[4:5], -1
                                        ; implicit-def: $sgpr10
	s_and_saveexec_b64 s[8:9], s[12:13]
; %bb.3182:
	s_mov_b32 s10, 0x7f800001
	s_xor_b64 s[4:5], exec, -1
; %bb.3183:
	s_or_b64 exec, exec, s[8:9]
	s_and_b64 s[4:5], s[4:5], exec
	s_or_saveexec_b64 s[6:7], s[6:7]
	v_mov_b32_e32 v12, s10
	s_xor_b64 exec, exec, s[6:7]
	s_cbranch_execz .LBB45_1134
.LBB45_3184:
	v_mov_b32_e32 v12, 0
	v_cmp_ne_u16_sdwa s[8:9], v11, v12 src0_sel:BYTE_0 src1_sel:DWORD
	s_andn2_b64 s[4:5], s[4:5], exec
	s_and_b64 s[8:9], s[8:9], exec
	s_or_b64 s[4:5], s[4:5], s[8:9]
	s_or_b64 exec, exec, s[6:7]
	s_and_saveexec_b64 s[6:7], s[4:5]
	s_cbranch_execnz .LBB45_1135
	s_branch .LBB45_1136
.LBB45_3185:
	s_movk_i32 s4, 0x80
	v_cmp_eq_u16_e32 vcc, s4, v11
	s_mov_b64 s[4:5], -1
                                        ; implicit-def: $sgpr10
	s_and_saveexec_b64 s[8:9], vcc
; %bb.3186:
	s_mov_b32 s10, 0x7f800001
	s_xor_b64 s[4:5], exec, -1
; %bb.3187:
	s_or_b64 exec, exec, s[8:9]
	s_and_b64 s[4:5], s[4:5], exec
                                        ; implicit-def: $vgpr11
	s_or_saveexec_b64 s[6:7], s[6:7]
	v_mov_b32_e32 v10, s10
	s_xor_b64 exec, exec, s[6:7]
	s_cbranch_execz .LBB45_1138
.LBB45_3188:
	v_cmp_ne_u16_e32 vcc, 0, v11
	s_andn2_b64 s[4:5], s[4:5], exec
	s_and_b64 s[8:9], vcc, exec
	v_mov_b32_e32 v10, 0
	s_or_b64 s[4:5], s[4:5], s[8:9]
	s_or_b64 exec, exec, s[6:7]
	s_and_saveexec_b64 s[6:7], s[4:5]
	s_cbranch_execnz .LBB45_1139
	s_branch .LBB45_1140
.LBB45_3189:
	s_movk_i32 s4, 0x80
	v_cmp_eq_u16_e32 vcc, s4, v11
	s_mov_b64 s[4:5], -1
                                        ; implicit-def: $sgpr10
	s_and_saveexec_b64 s[8:9], vcc
; %bb.3190:
	s_mov_b32 s10, 0x7f800001
	s_xor_b64 s[4:5], exec, -1
; %bb.3191:
	s_or_b64 exec, exec, s[8:9]
	s_and_b64 s[4:5], s[4:5], exec
                                        ; implicit-def: $vgpr11
	s_or_saveexec_b64 s[6:7], s[6:7]
	v_mov_b32_e32 v12, s10
	s_xor_b64 exec, exec, s[6:7]
	s_cbranch_execz .LBB45_1142
.LBB45_3192:
	v_cmp_ne_u16_e32 vcc, 0, v11
	s_andn2_b64 s[4:5], s[4:5], exec
	s_and_b64 s[8:9], vcc, exec
	v_mov_b32_e32 v12, 0
	s_or_b64 s[4:5], s[4:5], s[8:9]
	s_or_b64 exec, exec, s[6:7]
	s_and_saveexec_b64 s[6:7], s[4:5]
	s_cbranch_execnz .LBB45_1143
	s_branch .LBB45_1144
.LBB45_3193:
	s_movk_i32 s4, 0x80
	v_cmp_eq_u16_sdwa s[12:13], v17, s4 src0_sel:BYTE_3 src1_sel:DWORD
	s_mov_b64 s[4:5], -1
                                        ; implicit-def: $sgpr10
	s_and_saveexec_b64 s[8:9], s[12:13]
; %bb.3194:
	s_mov_b32 s10, 0x7f800001
	s_xor_b64 s[4:5], exec, -1
; %bb.3195:
	s_or_b64 exec, exec, s[8:9]
	s_and_b64 s[4:5], s[4:5], exec
	s_or_saveexec_b64 s[6:7], s[6:7]
	v_mov_b32_e32 v10, s10
	s_xor_b64 exec, exec, s[6:7]
	s_cbranch_execz .LBB45_1146
.LBB45_3196:
	v_mov_b32_e32 v10, 0
	v_cmp_ne_u16_sdwa s[8:9], v17, v10 src0_sel:BYTE_3 src1_sel:DWORD
	s_andn2_b64 s[4:5], s[4:5], exec
	s_and_b64 s[8:9], s[8:9], exec
	s_or_b64 s[4:5], s[4:5], s[8:9]
	s_or_b64 exec, exec, s[6:7]
	s_and_saveexec_b64 s[6:7], s[4:5]
	s_cbranch_execnz .LBB45_1147
	s_branch .LBB45_1148
.LBB45_3197:
	s_movk_i32 s4, 0x80
	v_cmp_eq_u16_sdwa s[12:13], v13, s4 src0_sel:BYTE_3 src1_sel:DWORD
	s_mov_b64 s[4:5], -1
                                        ; implicit-def: $sgpr10
	s_and_saveexec_b64 s[8:9], s[12:13]
; %bb.3198:
	s_mov_b32 s10, 0x7f800001
	s_xor_b64 s[4:5], exec, -1
; %bb.3199:
	s_or_b64 exec, exec, s[8:9]
	s_and_b64 s[4:5], s[4:5], exec
	s_or_saveexec_b64 s[6:7], s[6:7]
	v_mov_b32_e32 v11, s10
	s_xor_b64 exec, exec, s[6:7]
	s_cbranch_execz .LBB45_1150
.LBB45_3200:
	v_mov_b32_e32 v11, 0
	v_cmp_ne_u16_sdwa s[8:9], v13, v11 src0_sel:BYTE_3 src1_sel:DWORD
	s_andn2_b64 s[4:5], s[4:5], exec
	s_and_b64 s[8:9], s[8:9], exec
	s_or_b64 s[4:5], s[4:5], s[8:9]
	s_or_b64 exec, exec, s[6:7]
	s_and_saveexec_b64 s[6:7], s[4:5]
	s_cbranch_execnz .LBB45_1151
	s_branch .LBB45_1152
.LBB45_3201:
	s_movk_i32 s4, 0x80
	v_cmp_eq_u16_sdwa s[12:13], v6, s4 src0_sel:BYTE_0 src1_sel:DWORD
	s_mov_b64 s[4:5], -1
                                        ; implicit-def: $sgpr10
	s_and_saveexec_b64 s[8:9], s[12:13]
; %bb.3202:
	s_mov_b32 s10, 0x7f800001
	s_xor_b64 s[4:5], exec, -1
; %bb.3203:
	s_or_b64 exec, exec, s[8:9]
	s_and_b64 s[4:5], s[4:5], exec
	s_or_saveexec_b64 s[6:7], s[6:7]
	v_mov_b32_e32 v10, s10
	s_xor_b64 exec, exec, s[6:7]
	s_cbranch_execz .LBB45_1154
.LBB45_3204:
	v_mov_b32_e32 v10, 0
	v_cmp_ne_u16_sdwa s[8:9], v6, v10 src0_sel:BYTE_0 src1_sel:DWORD
	s_andn2_b64 s[4:5], s[4:5], exec
	s_and_b64 s[8:9], s[8:9], exec
	s_or_b64 s[4:5], s[4:5], s[8:9]
	s_or_b64 exec, exec, s[6:7]
	s_and_saveexec_b64 s[6:7], s[4:5]
	s_cbranch_execnz .LBB45_1155
	s_branch .LBB45_1156
.LBB45_3205:
	s_movk_i32 s4, 0x80
	v_cmp_eq_u16_sdwa s[12:13], v2, s4 src0_sel:BYTE_0 src1_sel:DWORD
	s_mov_b64 s[4:5], -1
                                        ; implicit-def: $sgpr10
	s_and_saveexec_b64 s[8:9], s[12:13]
; %bb.3206:
	s_mov_b32 s10, 0x7f800001
	s_xor_b64 s[4:5], exec, -1
; %bb.3207:
	s_or_b64 exec, exec, s[8:9]
	s_and_b64 s[4:5], s[4:5], exec
	s_or_saveexec_b64 s[6:7], s[6:7]
	v_mov_b32_e32 v11, s10
	s_xor_b64 exec, exec, s[6:7]
	s_cbranch_execz .LBB45_1158
.LBB45_3208:
	v_mov_b32_e32 v11, 0
	v_cmp_ne_u16_sdwa s[8:9], v2, v11 src0_sel:BYTE_0 src1_sel:DWORD
	s_andn2_b64 s[4:5], s[4:5], exec
	s_and_b64 s[8:9], s[8:9], exec
	s_or_b64 s[4:5], s[4:5], s[8:9]
	s_or_b64 exec, exec, s[6:7]
	s_and_saveexec_b64 s[6:7], s[4:5]
	s_cbranch_execnz .LBB45_1159
	s_branch .LBB45_1160
.LBB45_3209:
	s_movk_i32 s4, 0x80
	v_cmp_eq_u16_sdwa s[12:13], v11, s4 src0_sel:BYTE_0 src1_sel:DWORD
	s_mov_b64 s[4:5], -1
                                        ; implicit-def: $sgpr10
	s_and_saveexec_b64 s[8:9], s[12:13]
; %bb.3210:
	s_mov_b32 s10, 0x7f800001
	s_xor_b64 s[4:5], exec, -1
; %bb.3211:
	s_or_b64 exec, exec, s[8:9]
	s_and_b64 s[4:5], s[4:5], exec
	s_or_saveexec_b64 s[6:7], s[6:7]
	v_mov_b32_e32 v10, s10
	s_xor_b64 exec, exec, s[6:7]
	s_cbranch_execz .LBB45_1162
.LBB45_3212:
	v_mov_b32_e32 v10, 0
	v_cmp_ne_u16_sdwa s[8:9], v11, v10 src0_sel:BYTE_0 src1_sel:DWORD
	s_andn2_b64 s[4:5], s[4:5], exec
	s_and_b64 s[8:9], s[8:9], exec
	s_or_b64 s[4:5], s[4:5], s[8:9]
	s_or_b64 exec, exec, s[6:7]
	s_and_saveexec_b64 s[6:7], s[4:5]
	s_cbranch_execnz .LBB45_1163
	s_branch .LBB45_1164
.LBB45_3213:
	s_movk_i32 s4, 0x80
	v_cmp_eq_u16_sdwa s[12:13], v11, s4 src0_sel:BYTE_0 src1_sel:DWORD
	s_mov_b64 s[4:5], -1
                                        ; implicit-def: $sgpr10
	s_and_saveexec_b64 s[8:9], s[12:13]
; %bb.3214:
	s_mov_b32 s10, 0x7f800001
	s_xor_b64 s[4:5], exec, -1
; %bb.3215:
	s_or_b64 exec, exec, s[8:9]
	s_and_b64 s[4:5], s[4:5], exec
	s_or_saveexec_b64 s[6:7], s[6:7]
	v_mov_b32_e32 v12, s10
	s_xor_b64 exec, exec, s[6:7]
	s_cbranch_execz .LBB45_1166
.LBB45_3216:
	v_mov_b32_e32 v12, 0
	v_cmp_ne_u16_sdwa s[8:9], v11, v12 src0_sel:BYTE_0 src1_sel:DWORD
	s_andn2_b64 s[4:5], s[4:5], exec
	s_and_b64 s[8:9], s[8:9], exec
	s_or_b64 s[4:5], s[4:5], s[8:9]
	s_or_b64 exec, exec, s[6:7]
	s_and_saveexec_b64 s[6:7], s[4:5]
	s_cbranch_execnz .LBB45_1167
	s_branch .LBB45_1168
.LBB45_3217:
	s_movk_i32 s4, 0x80
	v_cmp_eq_u16_e32 vcc, s4, v11
	s_mov_b64 s[4:5], -1
                                        ; implicit-def: $sgpr10
	s_and_saveexec_b64 s[8:9], vcc
; %bb.3218:
	s_mov_b32 s10, 0x7f800001
	s_xor_b64 s[4:5], exec, -1
; %bb.3219:
	s_or_b64 exec, exec, s[8:9]
	s_and_b64 s[4:5], s[4:5], exec
                                        ; implicit-def: $vgpr11
	s_or_saveexec_b64 s[6:7], s[6:7]
	v_mov_b32_e32 v10, s10
	s_xor_b64 exec, exec, s[6:7]
	s_cbranch_execz .LBB45_1170
.LBB45_3220:
	v_cmp_ne_u16_e32 vcc, 0, v11
	s_andn2_b64 s[4:5], s[4:5], exec
	s_and_b64 s[8:9], vcc, exec
	v_mov_b32_e32 v10, 0
	s_or_b64 s[4:5], s[4:5], s[8:9]
	s_or_b64 exec, exec, s[6:7]
	s_and_saveexec_b64 s[6:7], s[4:5]
	s_cbranch_execnz .LBB45_1171
	s_branch .LBB45_1172
.LBB45_3221:
	s_movk_i32 s4, 0x80
	v_cmp_eq_u16_e32 vcc, s4, v11
	s_mov_b64 s[4:5], -1
                                        ; implicit-def: $sgpr10
	s_and_saveexec_b64 s[8:9], vcc
; %bb.3222:
	s_mov_b32 s10, 0x7f800001
	s_xor_b64 s[4:5], exec, -1
; %bb.3223:
	s_or_b64 exec, exec, s[8:9]
	s_and_b64 s[4:5], s[4:5], exec
                                        ; implicit-def: $vgpr11
	s_or_saveexec_b64 s[6:7], s[6:7]
	v_mov_b32_e32 v12, s10
	s_xor_b64 exec, exec, s[6:7]
	s_cbranch_execz .LBB45_1174
.LBB45_3224:
	v_cmp_ne_u16_e32 vcc, 0, v11
	s_andn2_b64 s[4:5], s[4:5], exec
	s_and_b64 s[8:9], vcc, exec
	v_mov_b32_e32 v12, 0
	s_or_b64 s[4:5], s[4:5], s[8:9]
	s_or_b64 exec, exec, s[6:7]
	s_and_saveexec_b64 s[6:7], s[4:5]
	s_cbranch_execnz .LBB45_1175
	s_branch .LBB45_1176
.LBB45_3225:
	s_movk_i32 s4, 0x80
	v_cmp_eq_u16_sdwa s[12:13], v6, s4 src0_sel:BYTE_3 src1_sel:DWORD
	s_mov_b64 s[4:5], -1
                                        ; implicit-def: $sgpr10
	s_and_saveexec_b64 s[8:9], s[12:13]
; %bb.3226:
	s_mov_b32 s10, 0x7f800001
	s_xor_b64 s[4:5], exec, -1
; %bb.3227:
	s_or_b64 exec, exec, s[8:9]
	s_and_b64 s[4:5], s[4:5], exec
	s_or_saveexec_b64 s[6:7], s[6:7]
	v_mov_b32_e32 v10, s10
	s_xor_b64 exec, exec, s[6:7]
	s_cbranch_execz .LBB45_1178
.LBB45_3228:
	v_mov_b32_e32 v10, 0
	v_cmp_ne_u16_sdwa s[8:9], v6, v10 src0_sel:BYTE_3 src1_sel:DWORD
	s_andn2_b64 s[4:5], s[4:5], exec
	s_and_b64 s[8:9], s[8:9], exec
	s_or_b64 s[4:5], s[4:5], s[8:9]
	s_or_b64 exec, exec, s[6:7]
	s_and_saveexec_b64 s[6:7], s[4:5]
	s_cbranch_execnz .LBB45_1179
	s_branch .LBB45_1180
.LBB45_3229:
	s_movk_i32 s4, 0x80
	v_cmp_eq_u16_sdwa s[12:13], v2, s4 src0_sel:BYTE_3 src1_sel:DWORD
	s_mov_b64 s[4:5], -1
                                        ; implicit-def: $sgpr10
	s_and_saveexec_b64 s[8:9], s[12:13]
; %bb.3230:
	s_mov_b32 s10, 0x7f800001
	s_xor_b64 s[4:5], exec, -1
; %bb.3231:
	s_or_b64 exec, exec, s[8:9]
	s_and_b64 s[4:5], s[4:5], exec
	s_or_saveexec_b64 s[6:7], s[6:7]
	v_mov_b32_e32 v6, s10
	s_xor_b64 exec, exec, s[6:7]
	s_cbranch_execz .LBB45_1182
.LBB45_3232:
	v_mov_b32_e32 v6, 0
	v_cmp_ne_u16_sdwa s[8:9], v2, v6 src0_sel:BYTE_3 src1_sel:DWORD
	s_andn2_b64 s[4:5], s[4:5], exec
	s_and_b64 s[8:9], s[8:9], exec
	s_or_b64 s[4:5], s[4:5], s[8:9]
	s_or_b64 exec, exec, s[6:7]
	s_and_saveexec_b64 s[6:7], s[4:5]
	s_cbranch_execnz .LBB45_1183
	s_branch .LBB45_1184
.LBB45_3233:
	s_movk_i32 s4, 0x80
	v_cmp_eq_u16_sdwa s[12:13], v7, s4 src0_sel:BYTE_0 src1_sel:DWORD
	s_mov_b64 s[4:5], -1
                                        ; implicit-def: $sgpr10
	s_and_saveexec_b64 s[8:9], s[12:13]
; %bb.3234:
	s_mov_b32 s10, 0x7f800001
	s_xor_b64 s[4:5], exec, -1
; %bb.3235:
	s_or_b64 exec, exec, s[8:9]
	s_and_b64 s[4:5], s[4:5], exec
	s_or_saveexec_b64 s[6:7], s[6:7]
	v_mov_b32_e32 v2, s10
	s_xor_b64 exec, exec, s[6:7]
	s_cbranch_execz .LBB45_1186
.LBB45_3236:
	v_mov_b32_e32 v2, 0
	v_cmp_ne_u16_sdwa s[8:9], v7, v2 src0_sel:BYTE_0 src1_sel:DWORD
	s_andn2_b64 s[4:5], s[4:5], exec
	s_and_b64 s[8:9], s[8:9], exec
	s_or_b64 s[4:5], s[4:5], s[8:9]
	s_or_b64 exec, exec, s[6:7]
	s_and_saveexec_b64 s[6:7], s[4:5]
	s_cbranch_execnz .LBB45_1187
	s_branch .LBB45_1188
.LBB45_3237:
	s_movk_i32 s4, 0x80
	v_cmp_eq_u16_sdwa s[12:13], v3, s4 src0_sel:BYTE_0 src1_sel:DWORD
	s_mov_b64 s[4:5], -1
                                        ; implicit-def: $sgpr10
	s_and_saveexec_b64 s[8:9], s[12:13]
; %bb.3238:
	s_mov_b32 s10, 0x7f800001
	s_xor_b64 s[4:5], exec, -1
; %bb.3239:
	s_or_b64 exec, exec, s[8:9]
	s_and_b64 s[4:5], s[4:5], exec
	s_or_saveexec_b64 s[6:7], s[6:7]
	v_mov_b32_e32 v6, s10
	s_xor_b64 exec, exec, s[6:7]
	s_cbranch_execz .LBB45_1190
.LBB45_3240:
	v_mov_b32_e32 v6, 0
	v_cmp_ne_u16_sdwa s[8:9], v3, v6 src0_sel:BYTE_0 src1_sel:DWORD
	s_andn2_b64 s[4:5], s[4:5], exec
	s_and_b64 s[8:9], s[8:9], exec
	s_or_b64 s[4:5], s[4:5], s[8:9]
	s_or_b64 exec, exec, s[6:7]
	s_and_saveexec_b64 s[6:7], s[4:5]
	s_cbranch_execnz .LBB45_1191
	s_branch .LBB45_1192
.LBB45_3241:
	s_movk_i32 s4, 0x80
	v_cmp_eq_u16_sdwa s[12:13], v6, s4 src0_sel:BYTE_0 src1_sel:DWORD
	s_mov_b64 s[4:5], -1
                                        ; implicit-def: $sgpr10
	s_and_saveexec_b64 s[8:9], s[12:13]
; %bb.3242:
	s_mov_b32 s10, 0x7f800001
	s_xor_b64 s[4:5], exec, -1
; %bb.3243:
	s_or_b64 exec, exec, s[8:9]
	s_and_b64 s[4:5], s[4:5], exec
	s_or_saveexec_b64 s[6:7], s[6:7]
	v_mov_b32_e32 v2, s10
	s_xor_b64 exec, exec, s[6:7]
	s_cbranch_execz .LBB45_1194
.LBB45_3244:
	v_mov_b32_e32 v2, 0
	v_cmp_ne_u16_sdwa s[8:9], v6, v2 src0_sel:BYTE_0 src1_sel:DWORD
	s_andn2_b64 s[4:5], s[4:5], exec
	s_and_b64 s[8:9], s[8:9], exec
	s_or_b64 s[4:5], s[4:5], s[8:9]
	s_or_b64 exec, exec, s[6:7]
	s_and_saveexec_b64 s[6:7], s[4:5]
	s_cbranch_execnz .LBB45_1195
	s_branch .LBB45_1196
.LBB45_3245:
	s_movk_i32 s4, 0x80
	v_cmp_eq_u16_sdwa s[12:13], v6, s4 src0_sel:BYTE_0 src1_sel:DWORD
	s_mov_b64 s[4:5], -1
                                        ; implicit-def: $sgpr10
	s_and_saveexec_b64 s[8:9], s[12:13]
; %bb.3246:
	s_mov_b32 s10, 0x7f800001
	s_xor_b64 s[4:5], exec, -1
; %bb.3247:
	s_or_b64 exec, exec, s[8:9]
	s_and_b64 s[4:5], s[4:5], exec
	s_or_saveexec_b64 s[6:7], s[6:7]
	v_mov_b32_e32 v10, s10
	s_xor_b64 exec, exec, s[6:7]
	s_cbranch_execz .LBB45_1198
.LBB45_3248:
	v_mov_b32_e32 v10, 0
	v_cmp_ne_u16_sdwa s[8:9], v6, v10 src0_sel:BYTE_0 src1_sel:DWORD
	s_andn2_b64 s[4:5], s[4:5], exec
	s_and_b64 s[8:9], s[8:9], exec
	s_or_b64 s[4:5], s[4:5], s[8:9]
	s_or_b64 exec, exec, s[6:7]
	s_and_saveexec_b64 s[6:7], s[4:5]
	s_cbranch_execnz .LBB45_1199
	s_branch .LBB45_1200
.LBB45_3249:
	s_movk_i32 s4, 0x80
	v_cmp_eq_u16_e32 vcc, s4, v6
	s_mov_b64 s[4:5], -1
                                        ; implicit-def: $sgpr10
	s_and_saveexec_b64 s[8:9], vcc
; %bb.3250:
	s_mov_b32 s10, 0x7f800001
	s_xor_b64 s[4:5], exec, -1
; %bb.3251:
	s_or_b64 exec, exec, s[8:9]
	s_and_b64 s[4:5], s[4:5], exec
                                        ; implicit-def: $vgpr6
	s_or_saveexec_b64 s[6:7], s[6:7]
	v_mov_b32_e32 v2, s10
	s_xor_b64 exec, exec, s[6:7]
	s_cbranch_execz .LBB45_1202
.LBB45_3252:
	v_cmp_ne_u16_e32 vcc, 0, v6
	s_andn2_b64 s[4:5], s[4:5], exec
	s_and_b64 s[8:9], vcc, exec
	v_mov_b32_e32 v2, 0
	s_or_b64 s[4:5], s[4:5], s[8:9]
	s_or_b64 exec, exec, s[6:7]
	s_and_saveexec_b64 s[6:7], s[4:5]
	s_cbranch_execnz .LBB45_1203
	s_branch .LBB45_1204
.LBB45_3253:
	s_movk_i32 s4, 0x80
	v_cmp_eq_u16_e32 vcc, s4, v6
	s_mov_b64 s[4:5], -1
                                        ; implicit-def: $sgpr10
	s_and_saveexec_b64 s[8:9], vcc
; %bb.3254:
	s_mov_b32 s10, 0x7f800001
	s_xor_b64 s[4:5], exec, -1
; %bb.3255:
	s_or_b64 exec, exec, s[8:9]
	s_and_b64 s[4:5], s[4:5], exec
                                        ; implicit-def: $vgpr6
	s_or_saveexec_b64 s[6:7], s[6:7]
	v_mov_b32_e32 v10, s10
	s_xor_b64 exec, exec, s[6:7]
	s_cbranch_execz .LBB45_1206
.LBB45_3256:
	v_cmp_ne_u16_e32 vcc, 0, v6
	s_andn2_b64 s[4:5], s[4:5], exec
	s_and_b64 s[8:9], vcc, exec
	v_mov_b32_e32 v10, 0
	s_or_b64 s[4:5], s[4:5], s[8:9]
	s_or_b64 exec, exec, s[6:7]
	s_and_saveexec_b64 s[6:7], s[4:5]
	s_cbranch_execnz .LBB45_1207
	s_branch .LBB45_1208
.LBB45_3257:
	s_movk_i32 s4, 0x80
	v_cmp_eq_u16_sdwa s[12:13], v7, s4 src0_sel:BYTE_3 src1_sel:DWORD
	s_mov_b64 s[4:5], -1
                                        ; implicit-def: $sgpr10
	s_and_saveexec_b64 s[8:9], s[12:13]
; %bb.3258:
	s_mov_b32 s10, 0x7f800001
	s_xor_b64 s[4:5], exec, -1
; %bb.3259:
	s_or_b64 exec, exec, s[8:9]
	s_and_b64 s[4:5], s[4:5], exec
	s_or_saveexec_b64 s[6:7], s[6:7]
	v_mov_b32_e32 v2, s10
	s_xor_b64 exec, exec, s[6:7]
	s_cbranch_execz .LBB45_1210
.LBB45_3260:
	v_mov_b32_e32 v2, 0
	v_cmp_ne_u16_sdwa s[8:9], v7, v2 src0_sel:BYTE_3 src1_sel:DWORD
	s_andn2_b64 s[4:5], s[4:5], exec
	s_and_b64 s[8:9], s[8:9], exec
	s_or_b64 s[4:5], s[4:5], s[8:9]
	s_or_b64 exec, exec, s[6:7]
	s_and_saveexec_b64 s[6:7], s[4:5]
	s_cbranch_execnz .LBB45_1211
	s_branch .LBB45_1212
.LBB45_3261:
	s_movk_i32 s4, 0x80
	v_cmp_eq_u16_sdwa s[12:13], v3, s4 src0_sel:BYTE_3 src1_sel:DWORD
	s_mov_b64 s[4:5], -1
                                        ; implicit-def: $sgpr10
	s_and_saveexec_b64 s[8:9], s[12:13]
; %bb.3262:
	s_mov_b32 s10, 0x7f800001
	s_xor_b64 s[4:5], exec, -1
; %bb.3263:
	s_or_b64 exec, exec, s[8:9]
	s_and_b64 s[4:5], s[4:5], exec
	s_or_saveexec_b64 s[6:7], s[6:7]
	v_mov_b32_e32 v6, s10
	s_xor_b64 exec, exec, s[6:7]
	s_cbranch_execz .LBB45_1214
.LBB45_3264:
	v_mov_b32_e32 v6, 0
	v_cmp_ne_u16_sdwa s[8:9], v3, v6 src0_sel:BYTE_3 src1_sel:DWORD
	s_andn2_b64 s[4:5], s[4:5], exec
	s_and_b64 s[8:9], s[8:9], exec
	s_or_b64 s[4:5], s[4:5], s[8:9]
	s_or_b64 exec, exec, s[6:7]
	s_and_saveexec_b64 s[6:7], s[4:5]
	s_cbranch_execnz .LBB45_1215
	s_branch .LBB45_1216
.LBB45_3265:
	s_movk_i32 s4, 0x80
	v_cmp_eq_u16_sdwa s[12:13], v8, s4 src0_sel:BYTE_0 src1_sel:DWORD
	s_mov_b64 s[4:5], -1
                                        ; implicit-def: $sgpr10
	s_and_saveexec_b64 s[8:9], s[12:13]
; %bb.3266:
	s_mov_b32 s10, 0x7f800001
	s_xor_b64 s[4:5], exec, -1
; %bb.3267:
	s_or_b64 exec, exec, s[8:9]
	s_and_b64 s[4:5], s[4:5], exec
	s_or_saveexec_b64 s[6:7], s[6:7]
	v_mov_b32_e32 v2, s10
	s_xor_b64 exec, exec, s[6:7]
	s_cbranch_execz .LBB45_1218
.LBB45_3268:
	v_mov_b32_e32 v2, 0
	v_cmp_ne_u16_sdwa s[8:9], v8, v2 src0_sel:BYTE_0 src1_sel:DWORD
	s_andn2_b64 s[4:5], s[4:5], exec
	s_and_b64 s[8:9], s[8:9], exec
	s_or_b64 s[4:5], s[4:5], s[8:9]
	s_or_b64 exec, exec, s[6:7]
	s_and_saveexec_b64 s[6:7], s[4:5]
	s_cbranch_execnz .LBB45_1219
	s_branch .LBB45_1220
.LBB45_3269:
	s_movk_i32 s4, 0x80
	v_cmp_eq_u16_sdwa s[12:13], v4, s4 src0_sel:BYTE_0 src1_sel:DWORD
	s_mov_b64 s[4:5], -1
                                        ; implicit-def: $sgpr10
	s_and_saveexec_b64 s[8:9], s[12:13]
; %bb.3270:
	s_mov_b32 s10, 0x7f800001
	s_xor_b64 s[4:5], exec, -1
; %bb.3271:
	s_or_b64 exec, exec, s[8:9]
	s_and_b64 s[4:5], s[4:5], exec
	s_or_saveexec_b64 s[6:7], s[6:7]
	v_mov_b32_e32 v3, s10
	s_xor_b64 exec, exec, s[6:7]
	s_cbranch_execz .LBB45_1222
.LBB45_3272:
	v_mov_b32_e32 v3, 0
	v_cmp_ne_u16_sdwa s[8:9], v4, v3 src0_sel:BYTE_0 src1_sel:DWORD
	s_andn2_b64 s[4:5], s[4:5], exec
	s_and_b64 s[8:9], s[8:9], exec
	s_or_b64 s[4:5], s[4:5], s[8:9]
	s_or_b64 exec, exec, s[6:7]
	s_and_saveexec_b64 s[6:7], s[4:5]
	s_cbranch_execnz .LBB45_1223
	s_branch .LBB45_1224
.LBB45_3273:
	s_movk_i32 s4, 0x80
	v_cmp_eq_u16_sdwa s[12:13], v3, s4 src0_sel:BYTE_0 src1_sel:DWORD
	s_mov_b64 s[4:5], -1
                                        ; implicit-def: $sgpr10
	s_and_saveexec_b64 s[8:9], s[12:13]
; %bb.3274:
	s_mov_b32 s10, 0x7f800001
	s_xor_b64 s[4:5], exec, -1
; %bb.3275:
	s_or_b64 exec, exec, s[8:9]
	s_and_b64 s[4:5], s[4:5], exec
	s_or_saveexec_b64 s[6:7], s[6:7]
	v_mov_b32_e32 v2, s10
	s_xor_b64 exec, exec, s[6:7]
	s_cbranch_execz .LBB45_1226
.LBB45_3276:
	v_mov_b32_e32 v2, 0
	v_cmp_ne_u16_sdwa s[8:9], v3, v2 src0_sel:BYTE_0 src1_sel:DWORD
	s_andn2_b64 s[4:5], s[4:5], exec
	s_and_b64 s[8:9], s[8:9], exec
	s_or_b64 s[4:5], s[4:5], s[8:9]
	s_or_b64 exec, exec, s[6:7]
	s_and_saveexec_b64 s[6:7], s[4:5]
	s_cbranch_execnz .LBB45_1227
	s_branch .LBB45_1228
.LBB45_3277:
	s_movk_i32 s4, 0x80
	v_cmp_eq_u16_sdwa s[12:13], v3, s4 src0_sel:BYTE_0 src1_sel:DWORD
	s_mov_b64 s[4:5], -1
                                        ; implicit-def: $sgpr10
	s_and_saveexec_b64 s[8:9], s[12:13]
; %bb.3278:
	s_mov_b32 s10, 0x7f800001
	s_xor_b64 s[4:5], exec, -1
; %bb.3279:
	s_or_b64 exec, exec, s[8:9]
	s_and_b64 s[4:5], s[4:5], exec
	s_or_saveexec_b64 s[6:7], s[6:7]
	v_mov_b32_e32 v6, s10
	s_xor_b64 exec, exec, s[6:7]
	s_cbranch_execz .LBB45_1230
.LBB45_3280:
	v_mov_b32_e32 v6, 0
	v_cmp_ne_u16_sdwa s[8:9], v3, v6 src0_sel:BYTE_0 src1_sel:DWORD
	s_andn2_b64 s[4:5], s[4:5], exec
	s_and_b64 s[8:9], s[8:9], exec
	s_or_b64 s[4:5], s[4:5], s[8:9]
	s_or_b64 exec, exec, s[6:7]
	s_and_saveexec_b64 s[6:7], s[4:5]
	s_cbranch_execnz .LBB45_1231
	s_branch .LBB45_1232
.LBB45_3281:
	s_movk_i32 s4, 0x80
	v_cmp_eq_u16_e32 vcc, s4, v3
	s_mov_b64 s[4:5], -1
                                        ; implicit-def: $sgpr10
	s_and_saveexec_b64 s[8:9], vcc
; %bb.3282:
	s_mov_b32 s10, 0x7f800001
	s_xor_b64 s[4:5], exec, -1
; %bb.3283:
	s_or_b64 exec, exec, s[8:9]
	s_and_b64 s[4:5], s[4:5], exec
                                        ; implicit-def: $vgpr3
	s_or_saveexec_b64 s[6:7], s[6:7]
	v_mov_b32_e32 v2, s10
	s_xor_b64 exec, exec, s[6:7]
	s_cbranch_execz .LBB45_1234
.LBB45_3284:
	v_cmp_ne_u16_e32 vcc, 0, v3
	s_andn2_b64 s[4:5], s[4:5], exec
	s_and_b64 s[8:9], vcc, exec
	v_mov_b32_e32 v2, 0
	s_or_b64 s[4:5], s[4:5], s[8:9]
	s_or_b64 exec, exec, s[6:7]
	s_and_saveexec_b64 s[6:7], s[4:5]
	s_cbranch_execnz .LBB45_1235
	s_branch .LBB45_1236
.LBB45_3285:
	s_movk_i32 s4, 0x80
	v_cmp_eq_u16_e32 vcc, s4, v3
	s_mov_b64 s[4:5], -1
                                        ; implicit-def: $sgpr10
	s_and_saveexec_b64 s[8:9], vcc
; %bb.3286:
	s_mov_b32 s10, 0x7f800001
	s_xor_b64 s[4:5], exec, -1
; %bb.3287:
	s_or_b64 exec, exec, s[8:9]
	s_and_b64 s[4:5], s[4:5], exec
                                        ; implicit-def: $vgpr3
	s_or_saveexec_b64 s[6:7], s[6:7]
	v_mov_b32_e32 v6, s10
	s_xor_b64 exec, exec, s[6:7]
	s_cbranch_execz .LBB45_1238
.LBB45_3288:
	v_cmp_ne_u16_e32 vcc, 0, v3
	s_andn2_b64 s[4:5], s[4:5], exec
	s_and_b64 s[8:9], vcc, exec
	v_mov_b32_e32 v6, 0
	s_or_b64 s[4:5], s[4:5], s[8:9]
	s_or_b64 exec, exec, s[6:7]
	s_and_saveexec_b64 s[6:7], s[4:5]
	s_cbranch_execnz .LBB45_1239
	s_branch .LBB45_1240
.LBB45_3289:
	s_movk_i32 s4, 0x80
	v_cmp_eq_u16_sdwa s[12:13], v8, s4 src0_sel:BYTE_3 src1_sel:DWORD
	s_mov_b64 s[4:5], -1
                                        ; implicit-def: $sgpr10
	s_and_saveexec_b64 s[8:9], s[12:13]
; %bb.3290:
	s_mov_b32 s10, 0x7f800001
	s_xor_b64 s[4:5], exec, -1
; %bb.3291:
	s_or_b64 exec, exec, s[8:9]
	s_and_b64 s[4:5], s[4:5], exec
	s_or_saveexec_b64 s[6:7], s[6:7]
	v_mov_b32_e32 v2, s10
	s_xor_b64 exec, exec, s[6:7]
	s_cbranch_execz .LBB45_1242
.LBB45_3292:
	v_mov_b32_e32 v2, 0
	v_cmp_ne_u16_sdwa s[8:9], v8, v2 src0_sel:BYTE_3 src1_sel:DWORD
	s_andn2_b64 s[4:5], s[4:5], exec
	s_and_b64 s[8:9], s[8:9], exec
	s_or_b64 s[4:5], s[4:5], s[8:9]
	s_or_b64 exec, exec, s[6:7]
	s_and_saveexec_b64 s[6:7], s[4:5]
	s_cbranch_execnz .LBB45_1243
	s_branch .LBB45_1244
.LBB45_3293:
	s_movk_i32 s4, 0x80
	v_cmp_eq_u16_sdwa s[12:13], v4, s4 src0_sel:BYTE_3 src1_sel:DWORD
	s_mov_b64 s[4:5], -1
                                        ; implicit-def: $sgpr10
	s_and_saveexec_b64 s[8:9], s[12:13]
; %bb.3294:
	s_mov_b32 s10, 0x7f800001
	s_xor_b64 s[4:5], exec, -1
; %bb.3295:
	s_or_b64 exec, exec, s[8:9]
	s_and_b64 s[4:5], s[4:5], exec
	s_or_saveexec_b64 s[6:7], s[6:7]
	v_mov_b32_e32 v3, s10
	s_xor_b64 exec, exec, s[6:7]
	s_cbranch_execz .LBB45_1246
.LBB45_3296:
	v_mov_b32_e32 v3, 0
	v_cmp_ne_u16_sdwa s[8:9], v4, v3 src0_sel:BYTE_3 src1_sel:DWORD
	s_andn2_b64 s[4:5], s[4:5], exec
	s_and_b64 s[8:9], s[8:9], exec
	s_or_b64 s[4:5], s[4:5], s[8:9]
	s_or_b64 exec, exec, s[6:7]
	s_and_saveexec_b64 s[6:7], s[4:5]
	s_cbranch_execnz .LBB45_1247
	s_branch .LBB45_1248
.LBB45_3297:
	s_movk_i32 s4, 0x80
	v_cmp_eq_u16_sdwa s[12:13], v9, s4 src0_sel:BYTE_0 src1_sel:DWORD
	s_mov_b64 s[4:5], -1
                                        ; implicit-def: $sgpr10
	s_and_saveexec_b64 s[8:9], s[12:13]
; %bb.3298:
	s_mov_b32 s10, 0x7f800001
	s_xor_b64 s[4:5], exec, -1
; %bb.3299:
	s_or_b64 exec, exec, s[8:9]
	s_and_b64 s[4:5], s[4:5], exec
	s_or_saveexec_b64 s[6:7], s[6:7]
	v_mov_b32_e32 v2, s10
	s_xor_b64 exec, exec, s[6:7]
	s_cbranch_execz .LBB45_1250
.LBB45_3300:
	v_mov_b32_e32 v2, 0
	v_cmp_ne_u16_sdwa s[8:9], v9, v2 src0_sel:BYTE_0 src1_sel:DWORD
	s_andn2_b64 s[4:5], s[4:5], exec
	s_and_b64 s[8:9], s[8:9], exec
	s_or_b64 s[4:5], s[4:5], s[8:9]
	s_or_b64 exec, exec, s[6:7]
	s_and_saveexec_b64 s[6:7], s[4:5]
	s_cbranch_execnz .LBB45_1251
	s_branch .LBB45_1252
.LBB45_3301:
	s_movk_i32 s4, 0x80
	v_cmp_eq_u16_sdwa s[12:13], v5, s4 src0_sel:BYTE_0 src1_sel:DWORD
	s_mov_b64 s[4:5], -1
                                        ; implicit-def: $sgpr10
	s_and_saveexec_b64 s[8:9], s[12:13]
; %bb.3302:
	s_mov_b32 s10, 0x7f800001
	s_xor_b64 s[4:5], exec, -1
; %bb.3303:
	s_or_b64 exec, exec, s[8:9]
	s_and_b64 s[4:5], s[4:5], exec
	s_or_saveexec_b64 s[6:7], s[6:7]
	v_mov_b32_e32 v3, s10
	s_xor_b64 exec, exec, s[6:7]
	s_cbranch_execz .LBB45_1254
.LBB45_3304:
	v_mov_b32_e32 v3, 0
	v_cmp_ne_u16_sdwa s[8:9], v5, v3 src0_sel:BYTE_0 src1_sel:DWORD
	s_andn2_b64 s[4:5], s[4:5], exec
	s_and_b64 s[8:9], s[8:9], exec
	s_or_b64 s[4:5], s[4:5], s[8:9]
	s_or_b64 exec, exec, s[6:7]
	s_and_saveexec_b64 s[6:7], s[4:5]
	s_cbranch_execnz .LBB45_1255
	s_branch .LBB45_1256
.LBB45_3305:
	s_movk_i32 s4, 0x80
	v_cmp_eq_u16_sdwa s[12:13], v3, s4 src0_sel:BYTE_0 src1_sel:DWORD
	s_mov_b64 s[4:5], -1
                                        ; implicit-def: $sgpr10
	s_and_saveexec_b64 s[8:9], s[12:13]
; %bb.3306:
	s_mov_b32 s10, 0x7f800001
	s_xor_b64 s[4:5], exec, -1
; %bb.3307:
	s_or_b64 exec, exec, s[8:9]
	s_and_b64 s[4:5], s[4:5], exec
	s_or_saveexec_b64 s[6:7], s[6:7]
	v_mov_b32_e32 v2, s10
	s_xor_b64 exec, exec, s[6:7]
	s_cbranch_execz .LBB45_1258
.LBB45_3308:
	v_mov_b32_e32 v2, 0
	v_cmp_ne_u16_sdwa s[8:9], v3, v2 src0_sel:BYTE_0 src1_sel:DWORD
	s_andn2_b64 s[4:5], s[4:5], exec
	s_and_b64 s[8:9], s[8:9], exec
	s_or_b64 s[4:5], s[4:5], s[8:9]
	s_or_b64 exec, exec, s[6:7]
	s_and_saveexec_b64 s[6:7], s[4:5]
	s_cbranch_execnz .LBB45_1259
	s_branch .LBB45_1260
.LBB45_3309:
	s_movk_i32 s4, 0x80
	v_cmp_eq_u16_sdwa s[12:13], v3, s4 src0_sel:BYTE_0 src1_sel:DWORD
	s_mov_b64 s[4:5], -1
                                        ; implicit-def: $sgpr10
	s_and_saveexec_b64 s[8:9], s[12:13]
; %bb.3310:
	s_mov_b32 s10, 0x7f800001
	s_xor_b64 s[4:5], exec, -1
; %bb.3311:
	s_or_b64 exec, exec, s[8:9]
	s_and_b64 s[4:5], s[4:5], exec
	s_or_saveexec_b64 s[6:7], s[6:7]
	v_mov_b32_e32 v4, s10
	s_xor_b64 exec, exec, s[6:7]
	s_cbranch_execz .LBB45_1262
.LBB45_3312:
	v_mov_b32_e32 v4, 0
	v_cmp_ne_u16_sdwa s[8:9], v3, v4 src0_sel:BYTE_0 src1_sel:DWORD
	s_andn2_b64 s[4:5], s[4:5], exec
	s_and_b64 s[8:9], s[8:9], exec
	s_or_b64 s[4:5], s[4:5], s[8:9]
	s_or_b64 exec, exec, s[6:7]
	s_and_saveexec_b64 s[6:7], s[4:5]
	s_cbranch_execnz .LBB45_1263
	s_branch .LBB45_1264
.LBB45_3313:
	s_movk_i32 s4, 0x80
	v_cmp_eq_u16_e32 vcc, s4, v3
	s_mov_b64 s[4:5], -1
                                        ; implicit-def: $sgpr10
	s_and_saveexec_b64 s[8:9], vcc
; %bb.3314:
	s_mov_b32 s10, 0x7f800001
	s_xor_b64 s[4:5], exec, -1
; %bb.3315:
	s_or_b64 exec, exec, s[8:9]
	s_and_b64 s[4:5], s[4:5], exec
                                        ; implicit-def: $vgpr3
	s_or_saveexec_b64 s[6:7], s[6:7]
	v_mov_b32_e32 v2, s10
	s_xor_b64 exec, exec, s[6:7]
	s_cbranch_execz .LBB45_1266
.LBB45_3316:
	v_cmp_ne_u16_e32 vcc, 0, v3
	s_andn2_b64 s[4:5], s[4:5], exec
	s_and_b64 s[8:9], vcc, exec
	v_mov_b32_e32 v2, 0
	s_or_b64 s[4:5], s[4:5], s[8:9]
	s_or_b64 exec, exec, s[6:7]
	s_and_saveexec_b64 s[6:7], s[4:5]
	s_cbranch_execnz .LBB45_1267
	s_branch .LBB45_1268
.LBB45_3317:
	s_movk_i32 s4, 0x80
	v_cmp_eq_u16_e32 vcc, s4, v3
	s_mov_b64 s[4:5], -1
                                        ; implicit-def: $sgpr10
	s_and_saveexec_b64 s[8:9], vcc
; %bb.3318:
	s_mov_b32 s10, 0x7f800001
	s_xor_b64 s[4:5], exec, -1
; %bb.3319:
	s_or_b64 exec, exec, s[8:9]
	s_and_b64 s[4:5], s[4:5], exec
                                        ; implicit-def: $vgpr3
	s_or_saveexec_b64 s[6:7], s[6:7]
	v_mov_b32_e32 v4, s10
	s_xor_b64 exec, exec, s[6:7]
	s_cbranch_execz .LBB45_1270
.LBB45_3320:
	v_cmp_ne_u16_e32 vcc, 0, v3
	s_andn2_b64 s[4:5], s[4:5], exec
	s_and_b64 s[8:9], vcc, exec
	v_mov_b32_e32 v4, 0
	s_or_b64 s[4:5], s[4:5], s[8:9]
	s_or_b64 exec, exec, s[6:7]
	s_and_saveexec_b64 s[6:7], s[4:5]
	s_cbranch_execnz .LBB45_1271
	s_branch .LBB45_1272
.LBB45_3321:
	s_movk_i32 s4, 0x80
	v_cmp_eq_u16_sdwa s[12:13], v9, s4 src0_sel:BYTE_3 src1_sel:DWORD
	s_mov_b64 s[4:5], -1
                                        ; implicit-def: $sgpr10
	s_and_saveexec_b64 s[8:9], s[12:13]
; %bb.3322:
	s_mov_b32 s10, 0x7f800001
	s_xor_b64 s[4:5], exec, -1
; %bb.3323:
	s_or_b64 exec, exec, s[8:9]
	s_and_b64 s[4:5], s[4:5], exec
	s_or_saveexec_b64 s[6:7], s[6:7]
	v_mov_b32_e32 v2, s10
	s_xor_b64 exec, exec, s[6:7]
	s_cbranch_execz .LBB45_1274
.LBB45_3324:
	v_mov_b32_e32 v2, 0
	v_cmp_ne_u16_sdwa s[8:9], v9, v2 src0_sel:BYTE_3 src1_sel:DWORD
	s_andn2_b64 s[4:5], s[4:5], exec
	s_and_b64 s[8:9], s[8:9], exec
	s_or_b64 s[4:5], s[4:5], s[8:9]
	s_or_b64 exec, exec, s[6:7]
	s_and_saveexec_b64 s[6:7], s[4:5]
	s_cbranch_execnz .LBB45_1275
	s_branch .LBB45_1276
.LBB45_3325:
	s_movk_i32 s4, 0x80
	v_cmp_eq_u16_sdwa s[12:13], v5, s4 src0_sel:BYTE_3 src1_sel:DWORD
	s_mov_b64 s[4:5], -1
                                        ; implicit-def: $sgpr10
	s_and_saveexec_b64 s[8:9], s[12:13]
; %bb.3326:
	s_mov_b32 s10, 0x7f800001
	s_xor_b64 s[4:5], exec, -1
; %bb.3327:
	s_or_b64 exec, exec, s[8:9]
	s_and_b64 s[4:5], s[4:5], exec
	s_or_saveexec_b64 s[6:7], s[6:7]
	v_mov_b32_e32 v3, s10
	s_xor_b64 exec, exec, s[6:7]
	s_cbranch_execz .LBB45_1278
.LBB45_3328:
	v_mov_b32_e32 v3, 0
	v_cmp_ne_u16_sdwa s[8:9], v5, v3 src0_sel:BYTE_3 src1_sel:DWORD
	s_andn2_b64 s[4:5], s[4:5], exec
	s_and_b64 s[8:9], s[8:9], exec
	s_or_b64 s[4:5], s[4:5], s[8:9]
	s_or_b64 exec, exec, s[6:7]
	s_and_saveexec_b64 s[6:7], s[4:5]
	s_cbranch_execnz .LBB45_1279
	s_branch .LBB45_1280
.LBB45_3329:
	s_movk_i32 s4, 0x80
	v_cmp_eq_u16_sdwa s[12:13], v14, s4 src0_sel:BYTE_0 src1_sel:DWORD
	s_mov_b64 s[4:5], -1
                                        ; implicit-def: $sgpr10
	s_and_saveexec_b64 s[8:9], s[12:13]
; %bb.3330:
	s_mov_b32 s10, 0x7f800001
	s_xor_b64 s[4:5], exec, -1
; %bb.3331:
	s_or_b64 exec, exec, s[8:9]
	s_and_b64 s[4:5], s[4:5], exec
	s_or_saveexec_b64 s[6:7], s[6:7]
	v_mov_b32_e32 v20, s10
	s_xor_b64 exec, exec, s[6:7]
	s_cbranch_execz .LBB45_1282
.LBB45_3332:
	v_mov_b32_e32 v20, 0
	v_cmp_ne_u16_sdwa s[8:9], v14, v20 src0_sel:BYTE_0 src1_sel:DWORD
	s_andn2_b64 s[4:5], s[4:5], exec
	s_and_b64 s[8:9], s[8:9], exec
	s_or_b64 s[4:5], s[4:5], s[8:9]
	s_or_b64 exec, exec, s[6:7]
	s_and_saveexec_b64 s[6:7], s[4:5]
	s_cbranch_execnz .LBB45_1283
	s_branch .LBB45_1284
.LBB45_3333:
	s_movk_i32 s4, 0x80
	v_cmp_eq_u16_sdwa s[12:13], v10, s4 src0_sel:BYTE_0 src1_sel:DWORD
	s_mov_b64 s[4:5], -1
                                        ; implicit-def: $sgpr10
	s_and_saveexec_b64 s[8:9], s[12:13]
; %bb.3334:
	s_mov_b32 s10, 0x7f800001
	s_xor_b64 s[4:5], exec, -1
; %bb.3335:
	s_or_b64 exec, exec, s[8:9]
	s_and_b64 s[4:5], s[4:5], exec
	s_or_saveexec_b64 s[6:7], s[6:7]
	v_mov_b32_e32 v21, s10
	s_xor_b64 exec, exec, s[6:7]
	s_cbranch_execz .LBB45_1286
.LBB45_3336:
	v_mov_b32_e32 v21, 0
	v_cmp_ne_u16_sdwa s[8:9], v10, v21 src0_sel:BYTE_0 src1_sel:DWORD
	s_andn2_b64 s[4:5], s[4:5], exec
	s_and_b64 s[8:9], s[8:9], exec
	s_or_b64 s[4:5], s[4:5], s[8:9]
	s_or_b64 exec, exec, s[6:7]
	s_and_saveexec_b64 s[6:7], s[4:5]
	s_cbranch_execnz .LBB45_1287
	s_branch .LBB45_1288
.LBB45_3337:
	s_movk_i32 s4, 0x80
	v_cmp_eq_u16_sdwa s[12:13], v21, s4 src0_sel:BYTE_0 src1_sel:DWORD
	s_mov_b64 s[4:5], -1
                                        ; implicit-def: $sgpr10
	s_and_saveexec_b64 s[8:9], s[12:13]
; %bb.3338:
	s_mov_b32 s10, 0x7f800001
	s_xor_b64 s[4:5], exec, -1
; %bb.3339:
	s_or_b64 exec, exec, s[8:9]
	s_and_b64 s[4:5], s[4:5], exec
	s_or_saveexec_b64 s[6:7], s[6:7]
	v_mov_b32_e32 v20, s10
	s_xor_b64 exec, exec, s[6:7]
	s_cbranch_execz .LBB45_1290
.LBB45_3340:
	v_mov_b32_e32 v20, 0
	v_cmp_ne_u16_sdwa s[8:9], v21, v20 src0_sel:BYTE_0 src1_sel:DWORD
	s_andn2_b64 s[4:5], s[4:5], exec
	s_and_b64 s[8:9], s[8:9], exec
	s_or_b64 s[4:5], s[4:5], s[8:9]
	s_or_b64 exec, exec, s[6:7]
	s_and_saveexec_b64 s[6:7], s[4:5]
	s_cbranch_execnz .LBB45_1291
	s_branch .LBB45_1292
.LBB45_3341:
	s_movk_i32 s4, 0x80
	v_cmp_eq_u16_sdwa s[12:13], v21, s4 src0_sel:BYTE_0 src1_sel:DWORD
	s_mov_b64 s[4:5], -1
                                        ; implicit-def: $sgpr10
	s_and_saveexec_b64 s[8:9], s[12:13]
; %bb.3342:
	s_mov_b32 s10, 0x7f800001
	s_xor_b64 s[4:5], exec, -1
; %bb.3343:
	s_or_b64 exec, exec, s[8:9]
	s_and_b64 s[4:5], s[4:5], exec
	s_or_saveexec_b64 s[6:7], s[6:7]
	v_mov_b32_e32 v22, s10
	s_xor_b64 exec, exec, s[6:7]
	s_cbranch_execz .LBB45_1294
.LBB45_3344:
	v_mov_b32_e32 v22, 0
	v_cmp_ne_u16_sdwa s[8:9], v21, v22 src0_sel:BYTE_0 src1_sel:DWORD
	s_andn2_b64 s[4:5], s[4:5], exec
	s_and_b64 s[8:9], s[8:9], exec
	s_or_b64 s[4:5], s[4:5], s[8:9]
	s_or_b64 exec, exec, s[6:7]
	s_and_saveexec_b64 s[6:7], s[4:5]
	s_cbranch_execnz .LBB45_1295
	s_branch .LBB45_1296
.LBB45_3345:
	s_movk_i32 s4, 0x80
	v_cmp_eq_u16_e32 vcc, s4, v21
	s_mov_b64 s[4:5], -1
                                        ; implicit-def: $sgpr10
	s_and_saveexec_b64 s[8:9], vcc
; %bb.3346:
	s_mov_b32 s10, 0x7f800001
	s_xor_b64 s[4:5], exec, -1
; %bb.3347:
	s_or_b64 exec, exec, s[8:9]
	s_and_b64 s[4:5], s[4:5], exec
                                        ; implicit-def: $vgpr21
	s_or_saveexec_b64 s[6:7], s[6:7]
	v_mov_b32_e32 v20, s10
	s_xor_b64 exec, exec, s[6:7]
	s_cbranch_execz .LBB45_1298
.LBB45_3348:
	v_cmp_ne_u16_e32 vcc, 0, v21
	s_andn2_b64 s[4:5], s[4:5], exec
	s_and_b64 s[8:9], vcc, exec
	v_mov_b32_e32 v20, 0
	s_or_b64 s[4:5], s[4:5], s[8:9]
	s_or_b64 exec, exec, s[6:7]
	s_and_saveexec_b64 s[6:7], s[4:5]
	s_cbranch_execnz .LBB45_1299
	s_branch .LBB45_1300
.LBB45_3349:
	s_movk_i32 s4, 0x80
	v_cmp_eq_u16_e32 vcc, s4, v21
	s_mov_b64 s[4:5], -1
                                        ; implicit-def: $sgpr10
	s_and_saveexec_b64 s[8:9], vcc
; %bb.3350:
	s_mov_b32 s10, 0x7f800001
	s_xor_b64 s[4:5], exec, -1
; %bb.3351:
	s_or_b64 exec, exec, s[8:9]
	s_and_b64 s[4:5], s[4:5], exec
                                        ; implicit-def: $vgpr21
	s_or_saveexec_b64 s[6:7], s[6:7]
	v_mov_b32_e32 v22, s10
	s_xor_b64 exec, exec, s[6:7]
	s_cbranch_execz .LBB45_1302
.LBB45_3352:
	v_cmp_ne_u16_e32 vcc, 0, v21
	s_andn2_b64 s[4:5], s[4:5], exec
	s_and_b64 s[8:9], vcc, exec
	v_mov_b32_e32 v22, 0
	s_or_b64 s[4:5], s[4:5], s[8:9]
	s_or_b64 exec, exec, s[6:7]
	s_and_saveexec_b64 s[6:7], s[4:5]
	s_cbranch_execnz .LBB45_1303
	s_branch .LBB45_1304
.LBB45_3353:
	s_movk_i32 s4, 0x80
	v_cmp_eq_u16_sdwa s[12:13], v14, s4 src0_sel:BYTE_3 src1_sel:DWORD
	s_mov_b64 s[4:5], -1
                                        ; implicit-def: $sgpr10
	s_and_saveexec_b64 s[8:9], s[12:13]
; %bb.3354:
	s_mov_b32 s10, 0x7f800001
	s_xor_b64 s[4:5], exec, -1
; %bb.3355:
	s_or_b64 exec, exec, s[8:9]
	s_and_b64 s[4:5], s[4:5], exec
	s_or_saveexec_b64 s[6:7], s[6:7]
	v_mov_b32_e32 v20, s10
	s_xor_b64 exec, exec, s[6:7]
	s_cbranch_execz .LBB45_1306
.LBB45_3356:
	v_mov_b32_e32 v20, 0
	v_cmp_ne_u16_sdwa s[8:9], v14, v20 src0_sel:BYTE_3 src1_sel:DWORD
	s_andn2_b64 s[4:5], s[4:5], exec
	s_and_b64 s[8:9], s[8:9], exec
	s_or_b64 s[4:5], s[4:5], s[8:9]
	s_or_b64 exec, exec, s[6:7]
	s_and_saveexec_b64 s[6:7], s[4:5]
	s_cbranch_execnz .LBB45_1307
	s_branch .LBB45_1308
.LBB45_3357:
	s_movk_i32 s4, 0x80
	v_cmp_eq_u16_sdwa s[12:13], v10, s4 src0_sel:BYTE_3 src1_sel:DWORD
	s_mov_b64 s[4:5], -1
                                        ; implicit-def: $sgpr10
	s_and_saveexec_b64 s[8:9], s[12:13]
; %bb.3358:
	s_mov_b32 s10, 0x7f800001
	s_xor_b64 s[4:5], exec, -1
; %bb.3359:
	s_or_b64 exec, exec, s[8:9]
	s_and_b64 s[4:5], s[4:5], exec
	s_or_saveexec_b64 s[6:7], s[6:7]
	v_mov_b32_e32 v14, s10
	s_xor_b64 exec, exec, s[6:7]
	s_cbranch_execz .LBB45_1310
.LBB45_3360:
	v_mov_b32_e32 v14, 0
	v_cmp_ne_u16_sdwa s[8:9], v10, v14 src0_sel:BYTE_3 src1_sel:DWORD
	s_andn2_b64 s[4:5], s[4:5], exec
	s_and_b64 s[8:9], s[8:9], exec
	s_or_b64 s[4:5], s[4:5], s[8:9]
	s_or_b64 exec, exec, s[6:7]
	s_and_saveexec_b64 s[6:7], s[4:5]
	s_cbranch_execnz .LBB45_1311
	s_branch .LBB45_1312
.LBB45_3361:
	s_movk_i32 s4, 0x80
	v_cmp_eq_u16_sdwa s[12:13], v15, s4 src0_sel:BYTE_0 src1_sel:DWORD
	s_mov_b64 s[4:5], -1
                                        ; implicit-def: $sgpr10
	s_and_saveexec_b64 s[8:9], s[12:13]
; %bb.3362:
	s_mov_b32 s10, 0x7f800001
	s_xor_b64 s[4:5], exec, -1
; %bb.3363:
	s_or_b64 exec, exec, s[8:9]
	s_and_b64 s[4:5], s[4:5], exec
	s_or_saveexec_b64 s[6:7], s[6:7]
	v_mov_b32_e32 v10, s10
	s_xor_b64 exec, exec, s[6:7]
	s_cbranch_execz .LBB45_1314
.LBB45_3364:
	v_mov_b32_e32 v10, 0
	v_cmp_ne_u16_sdwa s[8:9], v15, v10 src0_sel:BYTE_0 src1_sel:DWORD
	s_andn2_b64 s[4:5], s[4:5], exec
	s_and_b64 s[8:9], s[8:9], exec
	s_or_b64 s[4:5], s[4:5], s[8:9]
	s_or_b64 exec, exec, s[6:7]
	s_and_saveexec_b64 s[6:7], s[4:5]
	s_cbranch_execnz .LBB45_1315
	s_branch .LBB45_1316
.LBB45_3365:
	s_movk_i32 s4, 0x80
	v_cmp_eq_u16_sdwa s[12:13], v11, s4 src0_sel:BYTE_0 src1_sel:DWORD
	s_mov_b64 s[4:5], -1
                                        ; implicit-def: $sgpr10
	s_and_saveexec_b64 s[8:9], s[12:13]
; %bb.3366:
	s_mov_b32 s10, 0x7f800001
	s_xor_b64 s[4:5], exec, -1
; %bb.3367:
	s_or_b64 exec, exec, s[8:9]
	s_and_b64 s[4:5], s[4:5], exec
	s_or_saveexec_b64 s[6:7], s[6:7]
	v_mov_b32_e32 v14, s10
	s_xor_b64 exec, exec, s[6:7]
	s_cbranch_execz .LBB45_1318
.LBB45_3368:
	v_mov_b32_e32 v14, 0
	v_cmp_ne_u16_sdwa s[8:9], v11, v14 src0_sel:BYTE_0 src1_sel:DWORD
	s_andn2_b64 s[4:5], s[4:5], exec
	s_and_b64 s[8:9], s[8:9], exec
	s_or_b64 s[4:5], s[4:5], s[8:9]
	s_or_b64 exec, exec, s[6:7]
	s_and_saveexec_b64 s[6:7], s[4:5]
	s_cbranch_execnz .LBB45_1319
	s_branch .LBB45_1320
.LBB45_3369:
	s_movk_i32 s4, 0x80
	v_cmp_eq_u16_sdwa s[12:13], v14, s4 src0_sel:BYTE_0 src1_sel:DWORD
	s_mov_b64 s[4:5], -1
                                        ; implicit-def: $sgpr10
	s_and_saveexec_b64 s[8:9], s[12:13]
; %bb.3370:
	s_mov_b32 s10, 0x7f800001
	s_xor_b64 s[4:5], exec, -1
; %bb.3371:
	s_or_b64 exec, exec, s[8:9]
	s_and_b64 s[4:5], s[4:5], exec
	s_or_saveexec_b64 s[6:7], s[6:7]
	v_mov_b32_e32 v10, s10
	s_xor_b64 exec, exec, s[6:7]
	s_cbranch_execz .LBB45_1322
.LBB45_3372:
	v_mov_b32_e32 v10, 0
	v_cmp_ne_u16_sdwa s[8:9], v14, v10 src0_sel:BYTE_0 src1_sel:DWORD
	s_andn2_b64 s[4:5], s[4:5], exec
	s_and_b64 s[8:9], s[8:9], exec
	s_or_b64 s[4:5], s[4:5], s[8:9]
	s_or_b64 exec, exec, s[6:7]
	s_and_saveexec_b64 s[6:7], s[4:5]
	s_cbranch_execnz .LBB45_1323
	s_branch .LBB45_1324
.LBB45_3373:
	s_movk_i32 s4, 0x80
	v_cmp_eq_u16_sdwa s[12:13], v14, s4 src0_sel:BYTE_0 src1_sel:DWORD
	s_mov_b64 s[4:5], -1
                                        ; implicit-def: $sgpr10
	s_and_saveexec_b64 s[8:9], s[12:13]
; %bb.3374:
	s_mov_b32 s10, 0x7f800001
	s_xor_b64 s[4:5], exec, -1
; %bb.3375:
	s_or_b64 exec, exec, s[8:9]
	s_and_b64 s[4:5], s[4:5], exec
	s_or_saveexec_b64 s[6:7], s[6:7]
	v_mov_b32_e32 v20, s10
	s_xor_b64 exec, exec, s[6:7]
	s_cbranch_execz .LBB45_1326
.LBB45_3376:
	v_mov_b32_e32 v20, 0
	v_cmp_ne_u16_sdwa s[8:9], v14, v20 src0_sel:BYTE_0 src1_sel:DWORD
	s_andn2_b64 s[4:5], s[4:5], exec
	s_and_b64 s[8:9], s[8:9], exec
	s_or_b64 s[4:5], s[4:5], s[8:9]
	s_or_b64 exec, exec, s[6:7]
	s_and_saveexec_b64 s[6:7], s[4:5]
	s_cbranch_execnz .LBB45_1327
	s_branch .LBB45_1328
.LBB45_3377:
	s_movk_i32 s4, 0x80
	v_cmp_eq_u16_e32 vcc, s4, v14
	s_mov_b64 s[4:5], -1
                                        ; implicit-def: $sgpr10
	s_and_saveexec_b64 s[8:9], vcc
; %bb.3378:
	s_mov_b32 s10, 0x7f800001
	s_xor_b64 s[4:5], exec, -1
; %bb.3379:
	s_or_b64 exec, exec, s[8:9]
	s_and_b64 s[4:5], s[4:5], exec
                                        ; implicit-def: $vgpr14
	s_or_saveexec_b64 s[6:7], s[6:7]
	v_mov_b32_e32 v10, s10
	s_xor_b64 exec, exec, s[6:7]
	s_cbranch_execz .LBB45_1330
.LBB45_3380:
	v_cmp_ne_u16_e32 vcc, 0, v14
	s_andn2_b64 s[4:5], s[4:5], exec
	s_and_b64 s[8:9], vcc, exec
	v_mov_b32_e32 v10, 0
	s_or_b64 s[4:5], s[4:5], s[8:9]
	s_or_b64 exec, exec, s[6:7]
	s_and_saveexec_b64 s[6:7], s[4:5]
	s_cbranch_execnz .LBB45_1331
	s_branch .LBB45_1332
.LBB45_3381:
	s_movk_i32 s4, 0x80
	v_cmp_eq_u16_e32 vcc, s4, v14
	s_mov_b64 s[4:5], -1
                                        ; implicit-def: $sgpr10
	s_and_saveexec_b64 s[8:9], vcc
; %bb.3382:
	s_mov_b32 s10, 0x7f800001
	s_xor_b64 s[4:5], exec, -1
; %bb.3383:
	s_or_b64 exec, exec, s[8:9]
	s_and_b64 s[4:5], s[4:5], exec
                                        ; implicit-def: $vgpr14
	s_or_saveexec_b64 s[6:7], s[6:7]
	v_mov_b32_e32 v20, s10
	s_xor_b64 exec, exec, s[6:7]
	s_cbranch_execz .LBB45_1334
.LBB45_3384:
	v_cmp_ne_u16_e32 vcc, 0, v14
	s_andn2_b64 s[4:5], s[4:5], exec
	s_and_b64 s[8:9], vcc, exec
	v_mov_b32_e32 v20, 0
	s_or_b64 s[4:5], s[4:5], s[8:9]
	s_or_b64 exec, exec, s[6:7]
	s_and_saveexec_b64 s[6:7], s[4:5]
	s_cbranch_execnz .LBB45_1335
	s_branch .LBB45_1336
.LBB45_3385:
	s_movk_i32 s4, 0x80
	v_cmp_eq_u16_sdwa s[12:13], v15, s4 src0_sel:BYTE_3 src1_sel:DWORD
	s_mov_b64 s[4:5], -1
                                        ; implicit-def: $sgpr10
	s_and_saveexec_b64 s[8:9], s[12:13]
; %bb.3386:
	s_mov_b32 s10, 0x7f800001
	s_xor_b64 s[4:5], exec, -1
; %bb.3387:
	s_or_b64 exec, exec, s[8:9]
	s_and_b64 s[4:5], s[4:5], exec
	s_or_saveexec_b64 s[6:7], s[6:7]
	v_mov_b32_e32 v10, s10
	s_xor_b64 exec, exec, s[6:7]
	s_cbranch_execz .LBB45_1338
.LBB45_3388:
	v_mov_b32_e32 v10, 0
	v_cmp_ne_u16_sdwa s[8:9], v15, v10 src0_sel:BYTE_3 src1_sel:DWORD
	s_andn2_b64 s[4:5], s[4:5], exec
	s_and_b64 s[8:9], s[8:9], exec
	s_or_b64 s[4:5], s[4:5], s[8:9]
	s_or_b64 exec, exec, s[6:7]
	s_and_saveexec_b64 s[6:7], s[4:5]
	s_cbranch_execnz .LBB45_1339
	s_branch .LBB45_1340
.LBB45_3389:
	s_movk_i32 s4, 0x80
	v_cmp_eq_u16_sdwa s[12:13], v11, s4 src0_sel:BYTE_3 src1_sel:DWORD
	s_mov_b64 s[4:5], -1
                                        ; implicit-def: $sgpr10
	s_and_saveexec_b64 s[8:9], s[12:13]
; %bb.3390:
	s_mov_b32 s10, 0x7f800001
	s_xor_b64 s[4:5], exec, -1
; %bb.3391:
	s_or_b64 exec, exec, s[8:9]
	s_and_b64 s[4:5], s[4:5], exec
	s_or_saveexec_b64 s[6:7], s[6:7]
	v_mov_b32_e32 v14, s10
	s_xor_b64 exec, exec, s[6:7]
	s_cbranch_execz .LBB45_1342
.LBB45_3392:
	v_mov_b32_e32 v14, 0
	v_cmp_ne_u16_sdwa s[8:9], v11, v14 src0_sel:BYTE_3 src1_sel:DWORD
	s_andn2_b64 s[4:5], s[4:5], exec
	s_and_b64 s[8:9], s[8:9], exec
	s_or_b64 s[4:5], s[4:5], s[8:9]
	s_or_b64 exec, exec, s[6:7]
	s_and_saveexec_b64 s[6:7], s[4:5]
	s_cbranch_execnz .LBB45_1343
	s_branch .LBB45_1344
.LBB45_3393:
	s_movk_i32 s4, 0x80
	v_cmp_eq_u16_sdwa s[12:13], v16, s4 src0_sel:BYTE_0 src1_sel:DWORD
	s_mov_b64 s[4:5], -1
                                        ; implicit-def: $sgpr10
	s_and_saveexec_b64 s[8:9], s[12:13]
; %bb.3394:
	s_mov_b32 s10, 0x7f800001
	s_xor_b64 s[4:5], exec, -1
; %bb.3395:
	s_or_b64 exec, exec, s[8:9]
	s_and_b64 s[4:5], s[4:5], exec
	s_or_saveexec_b64 s[6:7], s[6:7]
	v_mov_b32_e32 v10, s10
	s_xor_b64 exec, exec, s[6:7]
	s_cbranch_execz .LBB45_1346
.LBB45_3396:
	v_mov_b32_e32 v10, 0
	v_cmp_ne_u16_sdwa s[8:9], v16, v10 src0_sel:BYTE_0 src1_sel:DWORD
	s_andn2_b64 s[4:5], s[4:5], exec
	s_and_b64 s[8:9], s[8:9], exec
	s_or_b64 s[4:5], s[4:5], s[8:9]
	s_or_b64 exec, exec, s[6:7]
	s_and_saveexec_b64 s[6:7], s[4:5]
	s_cbranch_execnz .LBB45_1347
	s_branch .LBB45_1348
.LBB45_3397:
	s_movk_i32 s4, 0x80
	v_cmp_eq_u16_sdwa s[12:13], v12, s4 src0_sel:BYTE_0 src1_sel:DWORD
	s_mov_b64 s[4:5], -1
                                        ; implicit-def: $sgpr10
	s_and_saveexec_b64 s[8:9], s[12:13]
; %bb.3398:
	s_mov_b32 s10, 0x7f800001
	s_xor_b64 s[4:5], exec, -1
; %bb.3399:
	s_or_b64 exec, exec, s[8:9]
	s_and_b64 s[4:5], s[4:5], exec
	s_or_saveexec_b64 s[6:7], s[6:7]
	v_mov_b32_e32 v11, s10
	s_xor_b64 exec, exec, s[6:7]
	s_cbranch_execz .LBB45_1350
.LBB45_3400:
	v_mov_b32_e32 v11, 0
	v_cmp_ne_u16_sdwa s[8:9], v12, v11 src0_sel:BYTE_0 src1_sel:DWORD
	s_andn2_b64 s[4:5], s[4:5], exec
	s_and_b64 s[8:9], s[8:9], exec
	s_or_b64 s[4:5], s[4:5], s[8:9]
	s_or_b64 exec, exec, s[6:7]
	s_and_saveexec_b64 s[6:7], s[4:5]
	s_cbranch_execnz .LBB45_1351
	s_branch .LBB45_1352
.LBB45_3401:
	s_movk_i32 s4, 0x80
	v_cmp_eq_u16_sdwa s[12:13], v11, s4 src0_sel:BYTE_0 src1_sel:DWORD
	s_mov_b64 s[4:5], -1
                                        ; implicit-def: $sgpr10
	s_and_saveexec_b64 s[8:9], s[12:13]
; %bb.3402:
	s_mov_b32 s10, 0x7f800001
	s_xor_b64 s[4:5], exec, -1
; %bb.3403:
	s_or_b64 exec, exec, s[8:9]
	s_and_b64 s[4:5], s[4:5], exec
	s_or_saveexec_b64 s[6:7], s[6:7]
	v_mov_b32_e32 v10, s10
	s_xor_b64 exec, exec, s[6:7]
	s_cbranch_execz .LBB45_1354
.LBB45_3404:
	v_mov_b32_e32 v10, 0
	v_cmp_ne_u16_sdwa s[8:9], v11, v10 src0_sel:BYTE_0 src1_sel:DWORD
	s_andn2_b64 s[4:5], s[4:5], exec
	s_and_b64 s[8:9], s[8:9], exec
	s_or_b64 s[4:5], s[4:5], s[8:9]
	s_or_b64 exec, exec, s[6:7]
	s_and_saveexec_b64 s[6:7], s[4:5]
	s_cbranch_execnz .LBB45_1355
	s_branch .LBB45_1356
.LBB45_3405:
	s_movk_i32 s4, 0x80
	v_cmp_eq_u16_sdwa s[12:13], v11, s4 src0_sel:BYTE_0 src1_sel:DWORD
	s_mov_b64 s[4:5], -1
                                        ; implicit-def: $sgpr10
	s_and_saveexec_b64 s[8:9], s[12:13]
; %bb.3406:
	s_mov_b32 s10, 0x7f800001
	s_xor_b64 s[4:5], exec, -1
; %bb.3407:
	s_or_b64 exec, exec, s[8:9]
	s_and_b64 s[4:5], s[4:5], exec
	s_or_saveexec_b64 s[6:7], s[6:7]
	v_mov_b32_e32 v14, s10
	s_xor_b64 exec, exec, s[6:7]
	s_cbranch_execz .LBB45_1358
.LBB45_3408:
	v_mov_b32_e32 v14, 0
	v_cmp_ne_u16_sdwa s[8:9], v11, v14 src0_sel:BYTE_0 src1_sel:DWORD
	s_andn2_b64 s[4:5], s[4:5], exec
	s_and_b64 s[8:9], s[8:9], exec
	s_or_b64 s[4:5], s[4:5], s[8:9]
	s_or_b64 exec, exec, s[6:7]
	s_and_saveexec_b64 s[6:7], s[4:5]
	s_cbranch_execnz .LBB45_1359
	s_branch .LBB45_1360
.LBB45_3409:
	s_movk_i32 s4, 0x80
	v_cmp_eq_u16_e32 vcc, s4, v11
	s_mov_b64 s[4:5], -1
                                        ; implicit-def: $sgpr10
	s_and_saveexec_b64 s[8:9], vcc
; %bb.3410:
	s_mov_b32 s10, 0x7f800001
	s_xor_b64 s[4:5], exec, -1
; %bb.3411:
	s_or_b64 exec, exec, s[8:9]
	s_and_b64 s[4:5], s[4:5], exec
                                        ; implicit-def: $vgpr11
	s_or_saveexec_b64 s[6:7], s[6:7]
	v_mov_b32_e32 v10, s10
	s_xor_b64 exec, exec, s[6:7]
	s_cbranch_execz .LBB45_1362
.LBB45_3412:
	v_cmp_ne_u16_e32 vcc, 0, v11
	s_andn2_b64 s[4:5], s[4:5], exec
	s_and_b64 s[8:9], vcc, exec
	v_mov_b32_e32 v10, 0
	s_or_b64 s[4:5], s[4:5], s[8:9]
	s_or_b64 exec, exec, s[6:7]
	s_and_saveexec_b64 s[6:7], s[4:5]
	s_cbranch_execnz .LBB45_1363
	s_branch .LBB45_1364
.LBB45_3413:
	s_movk_i32 s4, 0x80
	v_cmp_eq_u16_e32 vcc, s4, v11
	s_mov_b64 s[4:5], -1
                                        ; implicit-def: $sgpr10
	s_and_saveexec_b64 s[8:9], vcc
; %bb.3414:
	s_mov_b32 s10, 0x7f800001
	s_xor_b64 s[4:5], exec, -1
; %bb.3415:
	s_or_b64 exec, exec, s[8:9]
	s_and_b64 s[4:5], s[4:5], exec
                                        ; implicit-def: $vgpr11
	s_or_saveexec_b64 s[6:7], s[6:7]
	v_mov_b32_e32 v14, s10
	s_xor_b64 exec, exec, s[6:7]
	s_cbranch_execz .LBB45_1366
.LBB45_3416:
	v_cmp_ne_u16_e32 vcc, 0, v11
	s_andn2_b64 s[4:5], s[4:5], exec
	s_and_b64 s[8:9], vcc, exec
	v_mov_b32_e32 v14, 0
	s_or_b64 s[4:5], s[4:5], s[8:9]
	s_or_b64 exec, exec, s[6:7]
	s_and_saveexec_b64 s[6:7], s[4:5]
	s_cbranch_execnz .LBB45_1367
	s_branch .LBB45_1368
.LBB45_3417:
	s_movk_i32 s4, 0x80
	v_cmp_eq_u16_sdwa s[12:13], v16, s4 src0_sel:BYTE_3 src1_sel:DWORD
	s_mov_b64 s[4:5], -1
                                        ; implicit-def: $sgpr10
	s_and_saveexec_b64 s[8:9], s[12:13]
; %bb.3418:
	s_mov_b32 s10, 0x7f800001
	s_xor_b64 s[4:5], exec, -1
; %bb.3419:
	s_or_b64 exec, exec, s[8:9]
	s_and_b64 s[4:5], s[4:5], exec
	s_or_saveexec_b64 s[6:7], s[6:7]
	v_mov_b32_e32 v10, s10
	s_xor_b64 exec, exec, s[6:7]
	s_cbranch_execz .LBB45_1370
.LBB45_3420:
	v_mov_b32_e32 v10, 0
	v_cmp_ne_u16_sdwa s[8:9], v16, v10 src0_sel:BYTE_3 src1_sel:DWORD
	s_andn2_b64 s[4:5], s[4:5], exec
	s_and_b64 s[8:9], s[8:9], exec
	s_or_b64 s[4:5], s[4:5], s[8:9]
	s_or_b64 exec, exec, s[6:7]
	s_and_saveexec_b64 s[6:7], s[4:5]
	s_cbranch_execnz .LBB45_1371
	s_branch .LBB45_1372
.LBB45_3421:
	s_movk_i32 s4, 0x80
	v_cmp_eq_u16_sdwa s[12:13], v12, s4 src0_sel:BYTE_3 src1_sel:DWORD
	s_mov_b64 s[4:5], -1
                                        ; implicit-def: $sgpr10
	s_and_saveexec_b64 s[8:9], s[12:13]
; %bb.3422:
	s_mov_b32 s10, 0x7f800001
	s_xor_b64 s[4:5], exec, -1
; %bb.3423:
	s_or_b64 exec, exec, s[8:9]
	s_and_b64 s[4:5], s[4:5], exec
	s_or_saveexec_b64 s[6:7], s[6:7]
	v_mov_b32_e32 v11, s10
	s_xor_b64 exec, exec, s[6:7]
	s_cbranch_execz .LBB45_1374
.LBB45_3424:
	v_mov_b32_e32 v11, 0
	v_cmp_ne_u16_sdwa s[8:9], v12, v11 src0_sel:BYTE_3 src1_sel:DWORD
	s_andn2_b64 s[4:5], s[4:5], exec
	s_and_b64 s[8:9], s[8:9], exec
	s_or_b64 s[4:5], s[4:5], s[8:9]
	s_or_b64 exec, exec, s[6:7]
	s_and_saveexec_b64 s[6:7], s[4:5]
	s_cbranch_execnz .LBB45_1375
	s_branch .LBB45_1376
.LBB45_3425:
	s_movk_i32 s4, 0x80
	v_cmp_eq_u16_sdwa s[12:13], v17, s4 src0_sel:BYTE_0 src1_sel:DWORD
	s_mov_b64 s[4:5], -1
                                        ; implicit-def: $sgpr10
	s_and_saveexec_b64 s[8:9], s[12:13]
; %bb.3426:
	s_mov_b32 s10, 0x7f800001
	s_xor_b64 s[4:5], exec, -1
; %bb.3427:
	s_or_b64 exec, exec, s[8:9]
	s_and_b64 s[4:5], s[4:5], exec
	s_or_saveexec_b64 s[6:7], s[6:7]
	v_mov_b32_e32 v10, s10
	s_xor_b64 exec, exec, s[6:7]
	s_cbranch_execz .LBB45_1378
.LBB45_3428:
	v_mov_b32_e32 v10, 0
	v_cmp_ne_u16_sdwa s[8:9], v17, v10 src0_sel:BYTE_0 src1_sel:DWORD
	s_andn2_b64 s[4:5], s[4:5], exec
	s_and_b64 s[8:9], s[8:9], exec
	s_or_b64 s[4:5], s[4:5], s[8:9]
	s_or_b64 exec, exec, s[6:7]
	s_and_saveexec_b64 s[6:7], s[4:5]
	s_cbranch_execnz .LBB45_1379
	s_branch .LBB45_1380
.LBB45_3429:
	s_movk_i32 s4, 0x80
	v_cmp_eq_u16_sdwa s[12:13], v13, s4 src0_sel:BYTE_0 src1_sel:DWORD
	s_mov_b64 s[4:5], -1
                                        ; implicit-def: $sgpr10
	s_and_saveexec_b64 s[8:9], s[12:13]
; %bb.3430:
	s_mov_b32 s10, 0x7f800001
	s_xor_b64 s[4:5], exec, -1
; %bb.3431:
	s_or_b64 exec, exec, s[8:9]
	s_and_b64 s[4:5], s[4:5], exec
	s_or_saveexec_b64 s[6:7], s[6:7]
	v_mov_b32_e32 v11, s10
	s_xor_b64 exec, exec, s[6:7]
	s_cbranch_execz .LBB45_1382
.LBB45_3432:
	v_mov_b32_e32 v11, 0
	v_cmp_ne_u16_sdwa s[8:9], v13, v11 src0_sel:BYTE_0 src1_sel:DWORD
	s_andn2_b64 s[4:5], s[4:5], exec
	s_and_b64 s[8:9], s[8:9], exec
	s_or_b64 s[4:5], s[4:5], s[8:9]
	s_or_b64 exec, exec, s[6:7]
	s_and_saveexec_b64 s[6:7], s[4:5]
	s_cbranch_execnz .LBB45_1383
	s_branch .LBB45_1384
.LBB45_3433:
	s_movk_i32 s4, 0x80
	v_cmp_eq_u16_sdwa s[12:13], v11, s4 src0_sel:BYTE_0 src1_sel:DWORD
	s_mov_b64 s[4:5], -1
                                        ; implicit-def: $sgpr10
	s_and_saveexec_b64 s[8:9], s[12:13]
; %bb.3434:
	s_mov_b32 s10, 0x7f800001
	s_xor_b64 s[4:5], exec, -1
; %bb.3435:
	s_or_b64 exec, exec, s[8:9]
	s_and_b64 s[4:5], s[4:5], exec
	s_or_saveexec_b64 s[6:7], s[6:7]
	v_mov_b32_e32 v10, s10
	s_xor_b64 exec, exec, s[6:7]
	s_cbranch_execz .LBB45_1386
.LBB45_3436:
	v_mov_b32_e32 v10, 0
	v_cmp_ne_u16_sdwa s[8:9], v11, v10 src0_sel:BYTE_0 src1_sel:DWORD
	s_andn2_b64 s[4:5], s[4:5], exec
	s_and_b64 s[8:9], s[8:9], exec
	s_or_b64 s[4:5], s[4:5], s[8:9]
	s_or_b64 exec, exec, s[6:7]
	s_and_saveexec_b64 s[6:7], s[4:5]
	s_cbranch_execnz .LBB45_1387
	s_branch .LBB45_1388
.LBB45_3437:
	s_movk_i32 s4, 0x80
	v_cmp_eq_u16_sdwa s[12:13], v11, s4 src0_sel:BYTE_0 src1_sel:DWORD
	s_mov_b64 s[4:5], -1
                                        ; implicit-def: $sgpr10
	s_and_saveexec_b64 s[8:9], s[12:13]
; %bb.3438:
	s_mov_b32 s10, 0x7f800001
	s_xor_b64 s[4:5], exec, -1
; %bb.3439:
	s_or_b64 exec, exec, s[8:9]
	s_and_b64 s[4:5], s[4:5], exec
	s_or_saveexec_b64 s[6:7], s[6:7]
	v_mov_b32_e32 v12, s10
	s_xor_b64 exec, exec, s[6:7]
	s_cbranch_execz .LBB45_1390
.LBB45_3440:
	v_mov_b32_e32 v12, 0
	v_cmp_ne_u16_sdwa s[8:9], v11, v12 src0_sel:BYTE_0 src1_sel:DWORD
	s_andn2_b64 s[4:5], s[4:5], exec
	s_and_b64 s[8:9], s[8:9], exec
	s_or_b64 s[4:5], s[4:5], s[8:9]
	s_or_b64 exec, exec, s[6:7]
	s_and_saveexec_b64 s[6:7], s[4:5]
	s_cbranch_execnz .LBB45_1391
	s_branch .LBB45_1392
.LBB45_3441:
	s_movk_i32 s4, 0x80
	v_cmp_eq_u16_e32 vcc, s4, v11
	s_mov_b64 s[4:5], -1
                                        ; implicit-def: $sgpr10
	s_and_saveexec_b64 s[8:9], vcc
; %bb.3442:
	s_mov_b32 s10, 0x7f800001
	s_xor_b64 s[4:5], exec, -1
; %bb.3443:
	s_or_b64 exec, exec, s[8:9]
	s_and_b64 s[4:5], s[4:5], exec
                                        ; implicit-def: $vgpr11
	s_or_saveexec_b64 s[6:7], s[6:7]
	v_mov_b32_e32 v10, s10
	s_xor_b64 exec, exec, s[6:7]
	s_cbranch_execz .LBB45_1394
.LBB45_3444:
	v_cmp_ne_u16_e32 vcc, 0, v11
	s_andn2_b64 s[4:5], s[4:5], exec
	s_and_b64 s[8:9], vcc, exec
	v_mov_b32_e32 v10, 0
	s_or_b64 s[4:5], s[4:5], s[8:9]
	s_or_b64 exec, exec, s[6:7]
	s_and_saveexec_b64 s[6:7], s[4:5]
	s_cbranch_execnz .LBB45_1395
	s_branch .LBB45_1396
.LBB45_3445:
	s_movk_i32 s4, 0x80
	v_cmp_eq_u16_e32 vcc, s4, v11
	s_mov_b64 s[4:5], -1
                                        ; implicit-def: $sgpr10
	s_and_saveexec_b64 s[8:9], vcc
; %bb.3446:
	s_mov_b32 s10, 0x7f800001
	s_xor_b64 s[4:5], exec, -1
; %bb.3447:
	s_or_b64 exec, exec, s[8:9]
	s_and_b64 s[4:5], s[4:5], exec
                                        ; implicit-def: $vgpr11
	s_or_saveexec_b64 s[6:7], s[6:7]
	v_mov_b32_e32 v12, s10
	s_xor_b64 exec, exec, s[6:7]
	s_cbranch_execz .LBB45_1398
.LBB45_3448:
	v_cmp_ne_u16_e32 vcc, 0, v11
	s_andn2_b64 s[4:5], s[4:5], exec
	s_and_b64 s[8:9], vcc, exec
	v_mov_b32_e32 v12, 0
	s_or_b64 s[4:5], s[4:5], s[8:9]
	s_or_b64 exec, exec, s[6:7]
	s_and_saveexec_b64 s[6:7], s[4:5]
	s_cbranch_execnz .LBB45_1399
	s_branch .LBB45_1400
.LBB45_3449:
	s_movk_i32 s4, 0x80
	v_cmp_eq_u16_sdwa s[12:13], v17, s4 src0_sel:BYTE_3 src1_sel:DWORD
	s_mov_b64 s[4:5], -1
                                        ; implicit-def: $sgpr10
	s_and_saveexec_b64 s[8:9], s[12:13]
; %bb.3450:
	s_mov_b32 s10, 0x7f800001
	s_xor_b64 s[4:5], exec, -1
; %bb.3451:
	s_or_b64 exec, exec, s[8:9]
	s_and_b64 s[4:5], s[4:5], exec
	s_or_saveexec_b64 s[6:7], s[6:7]
	v_mov_b32_e32 v10, s10
	s_xor_b64 exec, exec, s[6:7]
	s_cbranch_execz .LBB45_1402
.LBB45_3452:
	v_mov_b32_e32 v10, 0
	v_cmp_ne_u16_sdwa s[8:9], v17, v10 src0_sel:BYTE_3 src1_sel:DWORD
	s_andn2_b64 s[4:5], s[4:5], exec
	s_and_b64 s[8:9], s[8:9], exec
	s_or_b64 s[4:5], s[4:5], s[8:9]
	s_or_b64 exec, exec, s[6:7]
	s_and_saveexec_b64 s[6:7], s[4:5]
	s_cbranch_execnz .LBB45_1403
	s_branch .LBB45_1404
.LBB45_3453:
	s_movk_i32 s4, 0x80
	v_cmp_eq_u16_sdwa s[12:13], v13, s4 src0_sel:BYTE_3 src1_sel:DWORD
	s_mov_b64 s[4:5], -1
                                        ; implicit-def: $sgpr10
	s_and_saveexec_b64 s[8:9], s[12:13]
; %bb.3454:
	s_mov_b32 s10, 0x7f800001
	s_xor_b64 s[4:5], exec, -1
; %bb.3455:
	s_or_b64 exec, exec, s[8:9]
	s_and_b64 s[4:5], s[4:5], exec
	s_or_saveexec_b64 s[6:7], s[6:7]
	v_mov_b32_e32 v11, s10
	s_xor_b64 exec, exec, s[6:7]
	s_cbranch_execz .LBB45_1406
.LBB45_3456:
	v_mov_b32_e32 v11, 0
	v_cmp_ne_u16_sdwa s[8:9], v13, v11 src0_sel:BYTE_3 src1_sel:DWORD
	s_andn2_b64 s[4:5], s[4:5], exec
	s_and_b64 s[8:9], s[8:9], exec
	s_or_b64 s[4:5], s[4:5], s[8:9]
	s_or_b64 exec, exec, s[6:7]
	s_and_saveexec_b64 s[6:7], s[4:5]
	s_cbranch_execnz .LBB45_1407
	s_branch .LBB45_1408
.LBB45_3457:
	s_movk_i32 s4, 0x80
	v_cmp_eq_u16_sdwa s[12:13], v6, s4 src0_sel:BYTE_0 src1_sel:DWORD
	s_mov_b64 s[4:5], -1
                                        ; implicit-def: $sgpr10
	s_and_saveexec_b64 s[8:9], s[12:13]
; %bb.3458:
	s_mov_b32 s10, 0x7f800001
	s_xor_b64 s[4:5], exec, -1
; %bb.3459:
	s_or_b64 exec, exec, s[8:9]
	s_and_b64 s[4:5], s[4:5], exec
	s_or_saveexec_b64 s[6:7], s[6:7]
	v_mov_b32_e32 v10, s10
	s_xor_b64 exec, exec, s[6:7]
	s_cbranch_execz .LBB45_1410
.LBB45_3460:
	v_mov_b32_e32 v10, 0
	v_cmp_ne_u16_sdwa s[8:9], v6, v10 src0_sel:BYTE_0 src1_sel:DWORD
	s_andn2_b64 s[4:5], s[4:5], exec
	s_and_b64 s[8:9], s[8:9], exec
	s_or_b64 s[4:5], s[4:5], s[8:9]
	s_or_b64 exec, exec, s[6:7]
	s_and_saveexec_b64 s[6:7], s[4:5]
	s_cbranch_execnz .LBB45_1411
	s_branch .LBB45_1412
.LBB45_3461:
	s_movk_i32 s4, 0x80
	v_cmp_eq_u16_sdwa s[12:13], v2, s4 src0_sel:BYTE_0 src1_sel:DWORD
	s_mov_b64 s[4:5], -1
                                        ; implicit-def: $sgpr10
	s_and_saveexec_b64 s[8:9], s[12:13]
; %bb.3462:
	s_mov_b32 s10, 0x7f800001
	s_xor_b64 s[4:5], exec, -1
; %bb.3463:
	s_or_b64 exec, exec, s[8:9]
	s_and_b64 s[4:5], s[4:5], exec
	s_or_saveexec_b64 s[6:7], s[6:7]
	v_mov_b32_e32 v11, s10
	s_xor_b64 exec, exec, s[6:7]
	s_cbranch_execz .LBB45_1414
.LBB45_3464:
	v_mov_b32_e32 v11, 0
	v_cmp_ne_u16_sdwa s[8:9], v2, v11 src0_sel:BYTE_0 src1_sel:DWORD
	s_andn2_b64 s[4:5], s[4:5], exec
	s_and_b64 s[8:9], s[8:9], exec
	s_or_b64 s[4:5], s[4:5], s[8:9]
	s_or_b64 exec, exec, s[6:7]
	s_and_saveexec_b64 s[6:7], s[4:5]
	s_cbranch_execnz .LBB45_1415
	s_branch .LBB45_1416
.LBB45_3465:
	s_movk_i32 s4, 0x80
	v_cmp_eq_u16_sdwa s[12:13], v11, s4 src0_sel:BYTE_0 src1_sel:DWORD
	s_mov_b64 s[4:5], -1
                                        ; implicit-def: $sgpr10
	s_and_saveexec_b64 s[8:9], s[12:13]
; %bb.3466:
	s_mov_b32 s10, 0x7f800001
	s_xor_b64 s[4:5], exec, -1
; %bb.3467:
	s_or_b64 exec, exec, s[8:9]
	s_and_b64 s[4:5], s[4:5], exec
	s_or_saveexec_b64 s[6:7], s[6:7]
	v_mov_b32_e32 v10, s10
	s_xor_b64 exec, exec, s[6:7]
	s_cbranch_execz .LBB45_1418
.LBB45_3468:
	v_mov_b32_e32 v10, 0
	v_cmp_ne_u16_sdwa s[8:9], v11, v10 src0_sel:BYTE_0 src1_sel:DWORD
	s_andn2_b64 s[4:5], s[4:5], exec
	s_and_b64 s[8:9], s[8:9], exec
	s_or_b64 s[4:5], s[4:5], s[8:9]
	s_or_b64 exec, exec, s[6:7]
	s_and_saveexec_b64 s[6:7], s[4:5]
	s_cbranch_execnz .LBB45_1419
	s_branch .LBB45_1420
.LBB45_3469:
	s_movk_i32 s4, 0x80
	v_cmp_eq_u16_sdwa s[12:13], v11, s4 src0_sel:BYTE_0 src1_sel:DWORD
	s_mov_b64 s[4:5], -1
                                        ; implicit-def: $sgpr10
	s_and_saveexec_b64 s[8:9], s[12:13]
; %bb.3470:
	s_mov_b32 s10, 0x7f800001
	s_xor_b64 s[4:5], exec, -1
; %bb.3471:
	s_or_b64 exec, exec, s[8:9]
	s_and_b64 s[4:5], s[4:5], exec
	s_or_saveexec_b64 s[6:7], s[6:7]
	v_mov_b32_e32 v12, s10
	s_xor_b64 exec, exec, s[6:7]
	s_cbranch_execz .LBB45_1422
.LBB45_3472:
	v_mov_b32_e32 v12, 0
	v_cmp_ne_u16_sdwa s[8:9], v11, v12 src0_sel:BYTE_0 src1_sel:DWORD
	s_andn2_b64 s[4:5], s[4:5], exec
	s_and_b64 s[8:9], s[8:9], exec
	s_or_b64 s[4:5], s[4:5], s[8:9]
	s_or_b64 exec, exec, s[6:7]
	s_and_saveexec_b64 s[6:7], s[4:5]
	s_cbranch_execnz .LBB45_1423
	s_branch .LBB45_1424
.LBB45_3473:
	s_movk_i32 s4, 0x80
	v_cmp_eq_u16_e32 vcc, s4, v11
	s_mov_b64 s[4:5], -1
                                        ; implicit-def: $sgpr10
	s_and_saveexec_b64 s[8:9], vcc
; %bb.3474:
	s_mov_b32 s10, 0x7f800001
	s_xor_b64 s[4:5], exec, -1
; %bb.3475:
	s_or_b64 exec, exec, s[8:9]
	s_and_b64 s[4:5], s[4:5], exec
                                        ; implicit-def: $vgpr11
	s_or_saveexec_b64 s[6:7], s[6:7]
	v_mov_b32_e32 v10, s10
	s_xor_b64 exec, exec, s[6:7]
	s_cbranch_execz .LBB45_1426
.LBB45_3476:
	v_cmp_ne_u16_e32 vcc, 0, v11
	s_andn2_b64 s[4:5], s[4:5], exec
	s_and_b64 s[8:9], vcc, exec
	v_mov_b32_e32 v10, 0
	s_or_b64 s[4:5], s[4:5], s[8:9]
	s_or_b64 exec, exec, s[6:7]
	s_and_saveexec_b64 s[6:7], s[4:5]
	s_cbranch_execnz .LBB45_1427
	s_branch .LBB45_1428
.LBB45_3477:
	s_movk_i32 s4, 0x80
	v_cmp_eq_u16_e32 vcc, s4, v11
	s_mov_b64 s[4:5], -1
                                        ; implicit-def: $sgpr10
	s_and_saveexec_b64 s[8:9], vcc
; %bb.3478:
	s_mov_b32 s10, 0x7f800001
	s_xor_b64 s[4:5], exec, -1
; %bb.3479:
	s_or_b64 exec, exec, s[8:9]
	s_and_b64 s[4:5], s[4:5], exec
                                        ; implicit-def: $vgpr11
	s_or_saveexec_b64 s[6:7], s[6:7]
	v_mov_b32_e32 v12, s10
	s_xor_b64 exec, exec, s[6:7]
	s_cbranch_execz .LBB45_1430
.LBB45_3480:
	v_cmp_ne_u16_e32 vcc, 0, v11
	s_andn2_b64 s[4:5], s[4:5], exec
	s_and_b64 s[8:9], vcc, exec
	v_mov_b32_e32 v12, 0
	s_or_b64 s[4:5], s[4:5], s[8:9]
	s_or_b64 exec, exec, s[6:7]
	s_and_saveexec_b64 s[6:7], s[4:5]
	s_cbranch_execnz .LBB45_1431
	s_branch .LBB45_1432
.LBB45_3481:
	s_movk_i32 s4, 0x80
	v_cmp_eq_u16_sdwa s[12:13], v6, s4 src0_sel:BYTE_3 src1_sel:DWORD
	s_mov_b64 s[4:5], -1
                                        ; implicit-def: $sgpr10
	s_and_saveexec_b64 s[8:9], s[12:13]
; %bb.3482:
	s_mov_b32 s10, 0x7f800001
	s_xor_b64 s[4:5], exec, -1
; %bb.3483:
	s_or_b64 exec, exec, s[8:9]
	s_and_b64 s[4:5], s[4:5], exec
	s_or_saveexec_b64 s[6:7], s[6:7]
	v_mov_b32_e32 v10, s10
	s_xor_b64 exec, exec, s[6:7]
	s_cbranch_execz .LBB45_1434
.LBB45_3484:
	v_mov_b32_e32 v10, 0
	v_cmp_ne_u16_sdwa s[8:9], v6, v10 src0_sel:BYTE_3 src1_sel:DWORD
	s_andn2_b64 s[4:5], s[4:5], exec
	s_and_b64 s[8:9], s[8:9], exec
	s_or_b64 s[4:5], s[4:5], s[8:9]
	s_or_b64 exec, exec, s[6:7]
	s_and_saveexec_b64 s[6:7], s[4:5]
	s_cbranch_execnz .LBB45_1435
	s_branch .LBB45_1436
.LBB45_3485:
	s_movk_i32 s4, 0x80
	v_cmp_eq_u16_sdwa s[12:13], v2, s4 src0_sel:BYTE_3 src1_sel:DWORD
	s_mov_b64 s[4:5], -1
                                        ; implicit-def: $sgpr10
	s_and_saveexec_b64 s[8:9], s[12:13]
; %bb.3486:
	s_mov_b32 s10, 0x7f800001
	s_xor_b64 s[4:5], exec, -1
; %bb.3487:
	s_or_b64 exec, exec, s[8:9]
	s_and_b64 s[4:5], s[4:5], exec
	s_or_saveexec_b64 s[6:7], s[6:7]
	v_mov_b32_e32 v6, s10
	s_xor_b64 exec, exec, s[6:7]
	s_cbranch_execz .LBB45_1438
.LBB45_3488:
	v_mov_b32_e32 v6, 0
	v_cmp_ne_u16_sdwa s[8:9], v2, v6 src0_sel:BYTE_3 src1_sel:DWORD
	s_andn2_b64 s[4:5], s[4:5], exec
	s_and_b64 s[8:9], s[8:9], exec
	s_or_b64 s[4:5], s[4:5], s[8:9]
	s_or_b64 exec, exec, s[6:7]
	s_and_saveexec_b64 s[6:7], s[4:5]
	s_cbranch_execnz .LBB45_1439
	s_branch .LBB45_1440
.LBB45_3489:
	s_movk_i32 s4, 0x80
	v_cmp_eq_u16_sdwa s[12:13], v7, s4 src0_sel:BYTE_0 src1_sel:DWORD
	s_mov_b64 s[4:5], -1
                                        ; implicit-def: $sgpr10
	s_and_saveexec_b64 s[8:9], s[12:13]
; %bb.3490:
	s_mov_b32 s10, 0x7f800001
	s_xor_b64 s[4:5], exec, -1
; %bb.3491:
	s_or_b64 exec, exec, s[8:9]
	s_and_b64 s[4:5], s[4:5], exec
	s_or_saveexec_b64 s[6:7], s[6:7]
	v_mov_b32_e32 v2, s10
	s_xor_b64 exec, exec, s[6:7]
	s_cbranch_execz .LBB45_1442
.LBB45_3492:
	v_mov_b32_e32 v2, 0
	v_cmp_ne_u16_sdwa s[8:9], v7, v2 src0_sel:BYTE_0 src1_sel:DWORD
	s_andn2_b64 s[4:5], s[4:5], exec
	s_and_b64 s[8:9], s[8:9], exec
	s_or_b64 s[4:5], s[4:5], s[8:9]
	s_or_b64 exec, exec, s[6:7]
	s_and_saveexec_b64 s[6:7], s[4:5]
	s_cbranch_execnz .LBB45_1443
	s_branch .LBB45_1444
.LBB45_3493:
	s_movk_i32 s4, 0x80
	v_cmp_eq_u16_sdwa s[12:13], v3, s4 src0_sel:BYTE_0 src1_sel:DWORD
	s_mov_b64 s[4:5], -1
                                        ; implicit-def: $sgpr10
	s_and_saveexec_b64 s[8:9], s[12:13]
; %bb.3494:
	s_mov_b32 s10, 0x7f800001
	s_xor_b64 s[4:5], exec, -1
; %bb.3495:
	s_or_b64 exec, exec, s[8:9]
	s_and_b64 s[4:5], s[4:5], exec
	s_or_saveexec_b64 s[6:7], s[6:7]
	v_mov_b32_e32 v6, s10
	s_xor_b64 exec, exec, s[6:7]
	s_cbranch_execz .LBB45_1446
.LBB45_3496:
	v_mov_b32_e32 v6, 0
	v_cmp_ne_u16_sdwa s[8:9], v3, v6 src0_sel:BYTE_0 src1_sel:DWORD
	s_andn2_b64 s[4:5], s[4:5], exec
	s_and_b64 s[8:9], s[8:9], exec
	s_or_b64 s[4:5], s[4:5], s[8:9]
	s_or_b64 exec, exec, s[6:7]
	s_and_saveexec_b64 s[6:7], s[4:5]
	s_cbranch_execnz .LBB45_1447
	s_branch .LBB45_1448
.LBB45_3497:
	s_movk_i32 s4, 0x80
	v_cmp_eq_u16_sdwa s[12:13], v6, s4 src0_sel:BYTE_0 src1_sel:DWORD
	s_mov_b64 s[4:5], -1
                                        ; implicit-def: $sgpr10
	s_and_saveexec_b64 s[8:9], s[12:13]
; %bb.3498:
	s_mov_b32 s10, 0x7f800001
	s_xor_b64 s[4:5], exec, -1
; %bb.3499:
	s_or_b64 exec, exec, s[8:9]
	s_and_b64 s[4:5], s[4:5], exec
	s_or_saveexec_b64 s[6:7], s[6:7]
	v_mov_b32_e32 v2, s10
	s_xor_b64 exec, exec, s[6:7]
	s_cbranch_execz .LBB45_1450
.LBB45_3500:
	v_mov_b32_e32 v2, 0
	v_cmp_ne_u16_sdwa s[8:9], v6, v2 src0_sel:BYTE_0 src1_sel:DWORD
	s_andn2_b64 s[4:5], s[4:5], exec
	s_and_b64 s[8:9], s[8:9], exec
	s_or_b64 s[4:5], s[4:5], s[8:9]
	s_or_b64 exec, exec, s[6:7]
	s_and_saveexec_b64 s[6:7], s[4:5]
	s_cbranch_execnz .LBB45_1451
	s_branch .LBB45_1452
.LBB45_3501:
	s_movk_i32 s4, 0x80
	v_cmp_eq_u16_sdwa s[12:13], v6, s4 src0_sel:BYTE_0 src1_sel:DWORD
	s_mov_b64 s[4:5], -1
                                        ; implicit-def: $sgpr10
	s_and_saveexec_b64 s[8:9], s[12:13]
; %bb.3502:
	s_mov_b32 s10, 0x7f800001
	s_xor_b64 s[4:5], exec, -1
; %bb.3503:
	s_or_b64 exec, exec, s[8:9]
	s_and_b64 s[4:5], s[4:5], exec
	s_or_saveexec_b64 s[6:7], s[6:7]
	v_mov_b32_e32 v10, s10
	s_xor_b64 exec, exec, s[6:7]
	s_cbranch_execz .LBB45_1454
.LBB45_3504:
	v_mov_b32_e32 v10, 0
	v_cmp_ne_u16_sdwa s[8:9], v6, v10 src0_sel:BYTE_0 src1_sel:DWORD
	s_andn2_b64 s[4:5], s[4:5], exec
	s_and_b64 s[8:9], s[8:9], exec
	s_or_b64 s[4:5], s[4:5], s[8:9]
	s_or_b64 exec, exec, s[6:7]
	s_and_saveexec_b64 s[6:7], s[4:5]
	s_cbranch_execnz .LBB45_1455
	s_branch .LBB45_1456
.LBB45_3505:
	s_movk_i32 s4, 0x80
	v_cmp_eq_u16_e32 vcc, s4, v6
	s_mov_b64 s[4:5], -1
                                        ; implicit-def: $sgpr10
	s_and_saveexec_b64 s[8:9], vcc
; %bb.3506:
	s_mov_b32 s10, 0x7f800001
	s_xor_b64 s[4:5], exec, -1
; %bb.3507:
	s_or_b64 exec, exec, s[8:9]
	s_and_b64 s[4:5], s[4:5], exec
                                        ; implicit-def: $vgpr6
	s_or_saveexec_b64 s[6:7], s[6:7]
	v_mov_b32_e32 v2, s10
	s_xor_b64 exec, exec, s[6:7]
	s_cbranch_execz .LBB45_1458
.LBB45_3508:
	v_cmp_ne_u16_e32 vcc, 0, v6
	s_andn2_b64 s[4:5], s[4:5], exec
	s_and_b64 s[8:9], vcc, exec
	v_mov_b32_e32 v2, 0
	s_or_b64 s[4:5], s[4:5], s[8:9]
	s_or_b64 exec, exec, s[6:7]
	s_and_saveexec_b64 s[6:7], s[4:5]
	s_cbranch_execnz .LBB45_1459
	s_branch .LBB45_1460
.LBB45_3509:
	s_movk_i32 s4, 0x80
	v_cmp_eq_u16_e32 vcc, s4, v6
	s_mov_b64 s[4:5], -1
                                        ; implicit-def: $sgpr10
	s_and_saveexec_b64 s[8:9], vcc
; %bb.3510:
	s_mov_b32 s10, 0x7f800001
	s_xor_b64 s[4:5], exec, -1
; %bb.3511:
	s_or_b64 exec, exec, s[8:9]
	s_and_b64 s[4:5], s[4:5], exec
                                        ; implicit-def: $vgpr6
	s_or_saveexec_b64 s[6:7], s[6:7]
	v_mov_b32_e32 v10, s10
	s_xor_b64 exec, exec, s[6:7]
	s_cbranch_execz .LBB45_1462
.LBB45_3512:
	v_cmp_ne_u16_e32 vcc, 0, v6
	s_andn2_b64 s[4:5], s[4:5], exec
	s_and_b64 s[8:9], vcc, exec
	v_mov_b32_e32 v10, 0
	s_or_b64 s[4:5], s[4:5], s[8:9]
	s_or_b64 exec, exec, s[6:7]
	s_and_saveexec_b64 s[6:7], s[4:5]
	s_cbranch_execnz .LBB45_1463
	s_branch .LBB45_1464
.LBB45_3513:
	s_movk_i32 s4, 0x80
	v_cmp_eq_u16_sdwa s[12:13], v7, s4 src0_sel:BYTE_3 src1_sel:DWORD
	s_mov_b64 s[4:5], -1
                                        ; implicit-def: $sgpr10
	s_and_saveexec_b64 s[8:9], s[12:13]
; %bb.3514:
	s_mov_b32 s10, 0x7f800001
	s_xor_b64 s[4:5], exec, -1
; %bb.3515:
	s_or_b64 exec, exec, s[8:9]
	s_and_b64 s[4:5], s[4:5], exec
	s_or_saveexec_b64 s[6:7], s[6:7]
	v_mov_b32_e32 v2, s10
	s_xor_b64 exec, exec, s[6:7]
	s_cbranch_execz .LBB45_1466
.LBB45_3516:
	v_mov_b32_e32 v2, 0
	v_cmp_ne_u16_sdwa s[8:9], v7, v2 src0_sel:BYTE_3 src1_sel:DWORD
	s_andn2_b64 s[4:5], s[4:5], exec
	s_and_b64 s[8:9], s[8:9], exec
	s_or_b64 s[4:5], s[4:5], s[8:9]
	s_or_b64 exec, exec, s[6:7]
	s_and_saveexec_b64 s[6:7], s[4:5]
	s_cbranch_execnz .LBB45_1467
	s_branch .LBB45_1468
.LBB45_3517:
	s_movk_i32 s4, 0x80
	v_cmp_eq_u16_sdwa s[12:13], v3, s4 src0_sel:BYTE_3 src1_sel:DWORD
	s_mov_b64 s[4:5], -1
                                        ; implicit-def: $sgpr10
	s_and_saveexec_b64 s[8:9], s[12:13]
; %bb.3518:
	s_mov_b32 s10, 0x7f800001
	s_xor_b64 s[4:5], exec, -1
; %bb.3519:
	s_or_b64 exec, exec, s[8:9]
	s_and_b64 s[4:5], s[4:5], exec
	s_or_saveexec_b64 s[6:7], s[6:7]
	v_mov_b32_e32 v6, s10
	s_xor_b64 exec, exec, s[6:7]
	s_cbranch_execz .LBB45_1470
.LBB45_3520:
	v_mov_b32_e32 v6, 0
	v_cmp_ne_u16_sdwa s[8:9], v3, v6 src0_sel:BYTE_3 src1_sel:DWORD
	s_andn2_b64 s[4:5], s[4:5], exec
	s_and_b64 s[8:9], s[8:9], exec
	s_or_b64 s[4:5], s[4:5], s[8:9]
	s_or_b64 exec, exec, s[6:7]
	s_and_saveexec_b64 s[6:7], s[4:5]
	s_cbranch_execnz .LBB45_1471
	s_branch .LBB45_1472
.LBB45_3521:
	s_movk_i32 s4, 0x80
	v_cmp_eq_u16_sdwa s[12:13], v8, s4 src0_sel:BYTE_0 src1_sel:DWORD
	s_mov_b64 s[4:5], -1
                                        ; implicit-def: $sgpr10
	s_and_saveexec_b64 s[8:9], s[12:13]
; %bb.3522:
	s_mov_b32 s10, 0x7f800001
	s_xor_b64 s[4:5], exec, -1
; %bb.3523:
	s_or_b64 exec, exec, s[8:9]
	s_and_b64 s[4:5], s[4:5], exec
	s_or_saveexec_b64 s[6:7], s[6:7]
	v_mov_b32_e32 v2, s10
	s_xor_b64 exec, exec, s[6:7]
	s_cbranch_execz .LBB45_1474
.LBB45_3524:
	v_mov_b32_e32 v2, 0
	v_cmp_ne_u16_sdwa s[8:9], v8, v2 src0_sel:BYTE_0 src1_sel:DWORD
	s_andn2_b64 s[4:5], s[4:5], exec
	s_and_b64 s[8:9], s[8:9], exec
	s_or_b64 s[4:5], s[4:5], s[8:9]
	s_or_b64 exec, exec, s[6:7]
	s_and_saveexec_b64 s[6:7], s[4:5]
	s_cbranch_execnz .LBB45_1475
	s_branch .LBB45_1476
.LBB45_3525:
	s_movk_i32 s4, 0x80
	v_cmp_eq_u16_sdwa s[12:13], v4, s4 src0_sel:BYTE_0 src1_sel:DWORD
	s_mov_b64 s[4:5], -1
                                        ; implicit-def: $sgpr10
	s_and_saveexec_b64 s[8:9], s[12:13]
; %bb.3526:
	s_mov_b32 s10, 0x7f800001
	s_xor_b64 s[4:5], exec, -1
; %bb.3527:
	s_or_b64 exec, exec, s[8:9]
	s_and_b64 s[4:5], s[4:5], exec
	s_or_saveexec_b64 s[6:7], s[6:7]
	v_mov_b32_e32 v3, s10
	s_xor_b64 exec, exec, s[6:7]
	s_cbranch_execz .LBB45_1478
.LBB45_3528:
	v_mov_b32_e32 v3, 0
	v_cmp_ne_u16_sdwa s[8:9], v4, v3 src0_sel:BYTE_0 src1_sel:DWORD
	s_andn2_b64 s[4:5], s[4:5], exec
	s_and_b64 s[8:9], s[8:9], exec
	s_or_b64 s[4:5], s[4:5], s[8:9]
	s_or_b64 exec, exec, s[6:7]
	s_and_saveexec_b64 s[6:7], s[4:5]
	s_cbranch_execnz .LBB45_1479
	s_branch .LBB45_1480
.LBB45_3529:
	s_movk_i32 s4, 0x80
	v_cmp_eq_u16_sdwa s[12:13], v3, s4 src0_sel:BYTE_0 src1_sel:DWORD
	s_mov_b64 s[4:5], -1
                                        ; implicit-def: $sgpr10
	s_and_saveexec_b64 s[8:9], s[12:13]
; %bb.3530:
	s_mov_b32 s10, 0x7f800001
	s_xor_b64 s[4:5], exec, -1
; %bb.3531:
	s_or_b64 exec, exec, s[8:9]
	s_and_b64 s[4:5], s[4:5], exec
	s_or_saveexec_b64 s[6:7], s[6:7]
	v_mov_b32_e32 v2, s10
	s_xor_b64 exec, exec, s[6:7]
	s_cbranch_execz .LBB45_1482
.LBB45_3532:
	v_mov_b32_e32 v2, 0
	v_cmp_ne_u16_sdwa s[8:9], v3, v2 src0_sel:BYTE_0 src1_sel:DWORD
	s_andn2_b64 s[4:5], s[4:5], exec
	s_and_b64 s[8:9], s[8:9], exec
	s_or_b64 s[4:5], s[4:5], s[8:9]
	s_or_b64 exec, exec, s[6:7]
	s_and_saveexec_b64 s[6:7], s[4:5]
	s_cbranch_execnz .LBB45_1483
	s_branch .LBB45_1484
.LBB45_3533:
	s_movk_i32 s4, 0x80
	v_cmp_eq_u16_sdwa s[12:13], v3, s4 src0_sel:BYTE_0 src1_sel:DWORD
	s_mov_b64 s[4:5], -1
                                        ; implicit-def: $sgpr10
	s_and_saveexec_b64 s[8:9], s[12:13]
; %bb.3534:
	s_mov_b32 s10, 0x7f800001
	s_xor_b64 s[4:5], exec, -1
; %bb.3535:
	s_or_b64 exec, exec, s[8:9]
	s_and_b64 s[4:5], s[4:5], exec
	s_or_saveexec_b64 s[6:7], s[6:7]
	v_mov_b32_e32 v6, s10
	s_xor_b64 exec, exec, s[6:7]
	s_cbranch_execz .LBB45_1486
.LBB45_3536:
	v_mov_b32_e32 v6, 0
	v_cmp_ne_u16_sdwa s[8:9], v3, v6 src0_sel:BYTE_0 src1_sel:DWORD
	s_andn2_b64 s[4:5], s[4:5], exec
	s_and_b64 s[8:9], s[8:9], exec
	s_or_b64 s[4:5], s[4:5], s[8:9]
	s_or_b64 exec, exec, s[6:7]
	s_and_saveexec_b64 s[6:7], s[4:5]
	s_cbranch_execnz .LBB45_1487
	s_branch .LBB45_1488
.LBB45_3537:
	s_movk_i32 s4, 0x80
	v_cmp_eq_u16_e32 vcc, s4, v3
	s_mov_b64 s[4:5], -1
                                        ; implicit-def: $sgpr10
	s_and_saveexec_b64 s[8:9], vcc
; %bb.3538:
	s_mov_b32 s10, 0x7f800001
	s_xor_b64 s[4:5], exec, -1
; %bb.3539:
	s_or_b64 exec, exec, s[8:9]
	s_and_b64 s[4:5], s[4:5], exec
                                        ; implicit-def: $vgpr3
	s_or_saveexec_b64 s[6:7], s[6:7]
	v_mov_b32_e32 v2, s10
	s_xor_b64 exec, exec, s[6:7]
	s_cbranch_execz .LBB45_1490
.LBB45_3540:
	v_cmp_ne_u16_e32 vcc, 0, v3
	s_andn2_b64 s[4:5], s[4:5], exec
	s_and_b64 s[8:9], vcc, exec
	v_mov_b32_e32 v2, 0
	s_or_b64 s[4:5], s[4:5], s[8:9]
	s_or_b64 exec, exec, s[6:7]
	s_and_saveexec_b64 s[6:7], s[4:5]
	s_cbranch_execnz .LBB45_1491
	s_branch .LBB45_1492
.LBB45_3541:
	s_movk_i32 s4, 0x80
	v_cmp_eq_u16_e32 vcc, s4, v3
	s_mov_b64 s[4:5], -1
                                        ; implicit-def: $sgpr10
	s_and_saveexec_b64 s[8:9], vcc
; %bb.3542:
	s_mov_b32 s10, 0x7f800001
	s_xor_b64 s[4:5], exec, -1
; %bb.3543:
	s_or_b64 exec, exec, s[8:9]
	s_and_b64 s[4:5], s[4:5], exec
                                        ; implicit-def: $vgpr3
	s_or_saveexec_b64 s[6:7], s[6:7]
	v_mov_b32_e32 v6, s10
	s_xor_b64 exec, exec, s[6:7]
	s_cbranch_execz .LBB45_1494
.LBB45_3544:
	v_cmp_ne_u16_e32 vcc, 0, v3
	s_andn2_b64 s[4:5], s[4:5], exec
	s_and_b64 s[8:9], vcc, exec
	v_mov_b32_e32 v6, 0
	s_or_b64 s[4:5], s[4:5], s[8:9]
	s_or_b64 exec, exec, s[6:7]
	s_and_saveexec_b64 s[6:7], s[4:5]
	s_cbranch_execnz .LBB45_1495
	s_branch .LBB45_1496
.LBB45_3545:
	s_movk_i32 s4, 0x80
	v_cmp_eq_u16_sdwa s[12:13], v8, s4 src0_sel:BYTE_3 src1_sel:DWORD
	s_mov_b64 s[4:5], -1
                                        ; implicit-def: $sgpr10
	s_and_saveexec_b64 s[8:9], s[12:13]
; %bb.3546:
	s_mov_b32 s10, 0x7f800001
	s_xor_b64 s[4:5], exec, -1
; %bb.3547:
	s_or_b64 exec, exec, s[8:9]
	s_and_b64 s[4:5], s[4:5], exec
	s_or_saveexec_b64 s[6:7], s[6:7]
	v_mov_b32_e32 v2, s10
	s_xor_b64 exec, exec, s[6:7]
	s_cbranch_execz .LBB45_1498
.LBB45_3548:
	v_mov_b32_e32 v2, 0
	v_cmp_ne_u16_sdwa s[8:9], v8, v2 src0_sel:BYTE_3 src1_sel:DWORD
	s_andn2_b64 s[4:5], s[4:5], exec
	s_and_b64 s[8:9], s[8:9], exec
	s_or_b64 s[4:5], s[4:5], s[8:9]
	s_or_b64 exec, exec, s[6:7]
	s_and_saveexec_b64 s[6:7], s[4:5]
	s_cbranch_execnz .LBB45_1499
	s_branch .LBB45_1500
.LBB45_3549:
	s_movk_i32 s4, 0x80
	v_cmp_eq_u16_sdwa s[12:13], v4, s4 src0_sel:BYTE_3 src1_sel:DWORD
	s_mov_b64 s[4:5], -1
                                        ; implicit-def: $sgpr10
	s_and_saveexec_b64 s[8:9], s[12:13]
; %bb.3550:
	s_mov_b32 s10, 0x7f800001
	s_xor_b64 s[4:5], exec, -1
; %bb.3551:
	s_or_b64 exec, exec, s[8:9]
	s_and_b64 s[4:5], s[4:5], exec
	s_or_saveexec_b64 s[6:7], s[6:7]
	v_mov_b32_e32 v3, s10
	s_xor_b64 exec, exec, s[6:7]
	s_cbranch_execz .LBB45_1502
.LBB45_3552:
	v_mov_b32_e32 v3, 0
	v_cmp_ne_u16_sdwa s[8:9], v4, v3 src0_sel:BYTE_3 src1_sel:DWORD
	s_andn2_b64 s[4:5], s[4:5], exec
	s_and_b64 s[8:9], s[8:9], exec
	s_or_b64 s[4:5], s[4:5], s[8:9]
	s_or_b64 exec, exec, s[6:7]
	s_and_saveexec_b64 s[6:7], s[4:5]
	s_cbranch_execnz .LBB45_1503
	s_branch .LBB45_1504
.LBB45_3553:
	s_movk_i32 s4, 0x80
	v_cmp_eq_u16_sdwa s[12:13], v9, s4 src0_sel:BYTE_0 src1_sel:DWORD
	s_mov_b64 s[4:5], -1
                                        ; implicit-def: $sgpr10
	s_and_saveexec_b64 s[8:9], s[12:13]
; %bb.3554:
	s_mov_b32 s10, 0x7f800001
	s_xor_b64 s[4:5], exec, -1
; %bb.3555:
	s_or_b64 exec, exec, s[8:9]
	s_and_b64 s[4:5], s[4:5], exec
	s_or_saveexec_b64 s[6:7], s[6:7]
	v_mov_b32_e32 v2, s10
	s_xor_b64 exec, exec, s[6:7]
	s_cbranch_execz .LBB45_1506
.LBB45_3556:
	v_mov_b32_e32 v2, 0
	v_cmp_ne_u16_sdwa s[8:9], v9, v2 src0_sel:BYTE_0 src1_sel:DWORD
	s_andn2_b64 s[4:5], s[4:5], exec
	s_and_b64 s[8:9], s[8:9], exec
	s_or_b64 s[4:5], s[4:5], s[8:9]
	s_or_b64 exec, exec, s[6:7]
	s_and_saveexec_b64 s[6:7], s[4:5]
	s_cbranch_execnz .LBB45_1507
	s_branch .LBB45_1508
.LBB45_3557:
	s_movk_i32 s4, 0x80
	v_cmp_eq_u16_sdwa s[12:13], v5, s4 src0_sel:BYTE_0 src1_sel:DWORD
	s_mov_b64 s[4:5], -1
                                        ; implicit-def: $sgpr10
	s_and_saveexec_b64 s[8:9], s[12:13]
; %bb.3558:
	s_mov_b32 s10, 0x7f800001
	s_xor_b64 s[4:5], exec, -1
; %bb.3559:
	s_or_b64 exec, exec, s[8:9]
	s_and_b64 s[4:5], s[4:5], exec
	s_or_saveexec_b64 s[6:7], s[6:7]
	v_mov_b32_e32 v3, s10
	s_xor_b64 exec, exec, s[6:7]
	s_cbranch_execz .LBB45_1510
.LBB45_3560:
	v_mov_b32_e32 v3, 0
	v_cmp_ne_u16_sdwa s[8:9], v5, v3 src0_sel:BYTE_0 src1_sel:DWORD
	s_andn2_b64 s[4:5], s[4:5], exec
	s_and_b64 s[8:9], s[8:9], exec
	s_or_b64 s[4:5], s[4:5], s[8:9]
	s_or_b64 exec, exec, s[6:7]
	s_and_saveexec_b64 s[6:7], s[4:5]
	s_cbranch_execnz .LBB45_1511
	s_branch .LBB45_1512
.LBB45_3561:
	s_movk_i32 s4, 0x80
	v_cmp_eq_u16_sdwa s[12:13], v3, s4 src0_sel:BYTE_0 src1_sel:DWORD
	s_mov_b64 s[4:5], -1
                                        ; implicit-def: $sgpr10
	s_and_saveexec_b64 s[8:9], s[12:13]
; %bb.3562:
	s_mov_b32 s10, 0x7f800001
	s_xor_b64 s[4:5], exec, -1
; %bb.3563:
	s_or_b64 exec, exec, s[8:9]
	s_and_b64 s[4:5], s[4:5], exec
	s_or_saveexec_b64 s[6:7], s[6:7]
	v_mov_b32_e32 v2, s10
	s_xor_b64 exec, exec, s[6:7]
	s_cbranch_execz .LBB45_1514
.LBB45_3564:
	v_mov_b32_e32 v2, 0
	v_cmp_ne_u16_sdwa s[8:9], v3, v2 src0_sel:BYTE_0 src1_sel:DWORD
	s_andn2_b64 s[4:5], s[4:5], exec
	s_and_b64 s[8:9], s[8:9], exec
	s_or_b64 s[4:5], s[4:5], s[8:9]
	s_or_b64 exec, exec, s[6:7]
	s_and_saveexec_b64 s[6:7], s[4:5]
	s_cbranch_execnz .LBB45_1515
	s_branch .LBB45_1516
.LBB45_3565:
	s_movk_i32 s4, 0x80
	v_cmp_eq_u16_sdwa s[12:13], v3, s4 src0_sel:BYTE_0 src1_sel:DWORD
	s_mov_b64 s[4:5], -1
                                        ; implicit-def: $sgpr10
	s_and_saveexec_b64 s[8:9], s[12:13]
; %bb.3566:
	s_mov_b32 s10, 0x7f800001
	s_xor_b64 s[4:5], exec, -1
; %bb.3567:
	s_or_b64 exec, exec, s[8:9]
	s_and_b64 s[4:5], s[4:5], exec
	s_or_saveexec_b64 s[6:7], s[6:7]
	v_mov_b32_e32 v4, s10
	s_xor_b64 exec, exec, s[6:7]
	s_cbranch_execz .LBB45_1518
.LBB45_3568:
	v_mov_b32_e32 v4, 0
	v_cmp_ne_u16_sdwa s[8:9], v3, v4 src0_sel:BYTE_0 src1_sel:DWORD
	s_andn2_b64 s[4:5], s[4:5], exec
	s_and_b64 s[8:9], s[8:9], exec
	s_or_b64 s[4:5], s[4:5], s[8:9]
	s_or_b64 exec, exec, s[6:7]
	s_and_saveexec_b64 s[6:7], s[4:5]
	s_cbranch_execnz .LBB45_1519
	s_branch .LBB45_1520
.LBB45_3569:
	s_movk_i32 s4, 0x80
	v_cmp_eq_u16_e32 vcc, s4, v3
	s_mov_b64 s[4:5], -1
                                        ; implicit-def: $sgpr10
	s_and_saveexec_b64 s[8:9], vcc
; %bb.3570:
	s_mov_b32 s10, 0x7f800001
	s_xor_b64 s[4:5], exec, -1
; %bb.3571:
	s_or_b64 exec, exec, s[8:9]
	s_and_b64 s[4:5], s[4:5], exec
                                        ; implicit-def: $vgpr3
	s_or_saveexec_b64 s[6:7], s[6:7]
	v_mov_b32_e32 v2, s10
	s_xor_b64 exec, exec, s[6:7]
	s_cbranch_execz .LBB45_1522
.LBB45_3572:
	v_cmp_ne_u16_e32 vcc, 0, v3
	s_andn2_b64 s[4:5], s[4:5], exec
	s_and_b64 s[8:9], vcc, exec
	v_mov_b32_e32 v2, 0
	s_or_b64 s[4:5], s[4:5], s[8:9]
	s_or_b64 exec, exec, s[6:7]
	s_and_saveexec_b64 s[6:7], s[4:5]
	s_cbranch_execnz .LBB45_1523
	s_branch .LBB45_1524
.LBB45_3573:
	s_movk_i32 s4, 0x80
	v_cmp_eq_u16_e32 vcc, s4, v3
	s_mov_b64 s[4:5], -1
                                        ; implicit-def: $sgpr10
	s_and_saveexec_b64 s[8:9], vcc
; %bb.3574:
	s_mov_b32 s10, 0x7f800001
	s_xor_b64 s[4:5], exec, -1
; %bb.3575:
	s_or_b64 exec, exec, s[8:9]
	s_and_b64 s[4:5], s[4:5], exec
                                        ; implicit-def: $vgpr3
	s_or_saveexec_b64 s[6:7], s[6:7]
	v_mov_b32_e32 v4, s10
	s_xor_b64 exec, exec, s[6:7]
	s_cbranch_execz .LBB45_1526
.LBB45_3576:
	v_cmp_ne_u16_e32 vcc, 0, v3
	s_andn2_b64 s[4:5], s[4:5], exec
	s_and_b64 s[8:9], vcc, exec
	v_mov_b32_e32 v4, 0
	s_or_b64 s[4:5], s[4:5], s[8:9]
	s_or_b64 exec, exec, s[6:7]
	s_and_saveexec_b64 s[6:7], s[4:5]
	s_cbranch_execnz .LBB45_1527
	s_branch .LBB45_1528
.LBB45_3577:
	s_movk_i32 s4, 0x80
	v_cmp_eq_u16_sdwa s[12:13], v9, s4 src0_sel:BYTE_3 src1_sel:DWORD
	s_mov_b64 s[4:5], -1
                                        ; implicit-def: $sgpr10
	s_and_saveexec_b64 s[8:9], s[12:13]
; %bb.3578:
	s_mov_b32 s10, 0x7f800001
	s_xor_b64 s[4:5], exec, -1
; %bb.3579:
	s_or_b64 exec, exec, s[8:9]
	s_and_b64 s[4:5], s[4:5], exec
	s_or_saveexec_b64 s[6:7], s[6:7]
	v_mov_b32_e32 v2, s10
	s_xor_b64 exec, exec, s[6:7]
	s_cbranch_execz .LBB45_1530
.LBB45_3580:
	v_mov_b32_e32 v2, 0
	v_cmp_ne_u16_sdwa s[8:9], v9, v2 src0_sel:BYTE_3 src1_sel:DWORD
	s_andn2_b64 s[4:5], s[4:5], exec
	s_and_b64 s[8:9], s[8:9], exec
	s_or_b64 s[4:5], s[4:5], s[8:9]
	s_or_b64 exec, exec, s[6:7]
	s_and_saveexec_b64 s[6:7], s[4:5]
	s_cbranch_execnz .LBB45_1531
	s_branch .LBB45_1532
.LBB45_3581:
	s_movk_i32 s4, 0x80
	v_cmp_eq_u16_sdwa s[12:13], v5, s4 src0_sel:BYTE_3 src1_sel:DWORD
	s_mov_b64 s[4:5], -1
                                        ; implicit-def: $sgpr10
	s_and_saveexec_b64 s[8:9], s[12:13]
; %bb.3582:
	s_mov_b32 s10, 0x7f800001
	s_xor_b64 s[4:5], exec, -1
; %bb.3583:
	s_or_b64 exec, exec, s[8:9]
	s_and_b64 s[4:5], s[4:5], exec
	s_or_saveexec_b64 s[6:7], s[6:7]
	v_mov_b32_e32 v3, s10
	s_xor_b64 exec, exec, s[6:7]
	s_cbranch_execz .LBB45_1534
.LBB45_3584:
	v_mov_b32_e32 v3, 0
	v_cmp_ne_u16_sdwa s[8:9], v5, v3 src0_sel:BYTE_3 src1_sel:DWORD
	s_andn2_b64 s[4:5], s[4:5], exec
	s_and_b64 s[8:9], s[8:9], exec
	s_or_b64 s[4:5], s[4:5], s[8:9]
	s_or_b64 exec, exec, s[6:7]
	s_and_saveexec_b64 s[6:7], s[4:5]
	s_cbranch_execnz .LBB45_1535
	s_branch .LBB45_1536
.LBB45_3585:
	s_movk_i32 s4, 0x80
	v_cmp_eq_u16_sdwa s[12:13], v14, s4 src0_sel:BYTE_0 src1_sel:DWORD
	s_mov_b64 s[4:5], -1
                                        ; implicit-def: $sgpr10
	s_and_saveexec_b64 s[8:9], s[12:13]
; %bb.3586:
	s_mov_b32 s10, 0x7f800001
	s_xor_b64 s[4:5], exec, -1
; %bb.3587:
	s_or_b64 exec, exec, s[8:9]
	s_and_b64 s[4:5], s[4:5], exec
	s_or_saveexec_b64 s[6:7], s[6:7]
	v_mov_b32_e32 v20, s10
	s_xor_b64 exec, exec, s[6:7]
	s_cbranch_execz .LBB45_1538
.LBB45_3588:
	v_mov_b32_e32 v20, 0
	v_cmp_ne_u16_sdwa s[8:9], v14, v20 src0_sel:BYTE_0 src1_sel:DWORD
	s_andn2_b64 s[4:5], s[4:5], exec
	s_and_b64 s[8:9], s[8:9], exec
	s_or_b64 s[4:5], s[4:5], s[8:9]
	s_or_b64 exec, exec, s[6:7]
	s_and_saveexec_b64 s[6:7], s[4:5]
	s_cbranch_execnz .LBB45_1539
	s_branch .LBB45_1540
.LBB45_3589:
	s_movk_i32 s4, 0x80
	v_cmp_eq_u16_sdwa s[12:13], v10, s4 src0_sel:BYTE_0 src1_sel:DWORD
	s_mov_b64 s[4:5], -1
                                        ; implicit-def: $sgpr10
	s_and_saveexec_b64 s[8:9], s[12:13]
; %bb.3590:
	s_mov_b32 s10, 0x7f800001
	s_xor_b64 s[4:5], exec, -1
; %bb.3591:
	s_or_b64 exec, exec, s[8:9]
	s_and_b64 s[4:5], s[4:5], exec
	s_or_saveexec_b64 s[6:7], s[6:7]
	v_mov_b32_e32 v21, s10
	s_xor_b64 exec, exec, s[6:7]
	s_cbranch_execz .LBB45_1542
.LBB45_3592:
	v_mov_b32_e32 v21, 0
	v_cmp_ne_u16_sdwa s[8:9], v10, v21 src0_sel:BYTE_0 src1_sel:DWORD
	s_andn2_b64 s[4:5], s[4:5], exec
	s_and_b64 s[8:9], s[8:9], exec
	s_or_b64 s[4:5], s[4:5], s[8:9]
	s_or_b64 exec, exec, s[6:7]
	s_and_saveexec_b64 s[6:7], s[4:5]
	s_cbranch_execnz .LBB45_1543
	s_branch .LBB45_1544
.LBB45_3593:
	s_movk_i32 s4, 0x80
	v_cmp_eq_u16_sdwa s[12:13], v21, s4 src0_sel:BYTE_0 src1_sel:DWORD
	s_mov_b64 s[4:5], -1
                                        ; implicit-def: $sgpr10
	s_and_saveexec_b64 s[8:9], s[12:13]
; %bb.3594:
	s_mov_b32 s10, 0x7f800001
	s_xor_b64 s[4:5], exec, -1
; %bb.3595:
	s_or_b64 exec, exec, s[8:9]
	s_and_b64 s[4:5], s[4:5], exec
	s_or_saveexec_b64 s[6:7], s[6:7]
	v_mov_b32_e32 v20, s10
	s_xor_b64 exec, exec, s[6:7]
	s_cbranch_execz .LBB45_1546
.LBB45_3596:
	v_mov_b32_e32 v20, 0
	v_cmp_ne_u16_sdwa s[8:9], v21, v20 src0_sel:BYTE_0 src1_sel:DWORD
	s_andn2_b64 s[4:5], s[4:5], exec
	s_and_b64 s[8:9], s[8:9], exec
	s_or_b64 s[4:5], s[4:5], s[8:9]
	s_or_b64 exec, exec, s[6:7]
	s_and_saveexec_b64 s[6:7], s[4:5]
	s_cbranch_execnz .LBB45_1547
	s_branch .LBB45_1548
.LBB45_3597:
	s_movk_i32 s4, 0x80
	v_cmp_eq_u16_sdwa s[12:13], v21, s4 src0_sel:BYTE_0 src1_sel:DWORD
	s_mov_b64 s[4:5], -1
                                        ; implicit-def: $sgpr10
	s_and_saveexec_b64 s[8:9], s[12:13]
; %bb.3598:
	s_mov_b32 s10, 0x7f800001
	s_xor_b64 s[4:5], exec, -1
; %bb.3599:
	s_or_b64 exec, exec, s[8:9]
	s_and_b64 s[4:5], s[4:5], exec
	s_or_saveexec_b64 s[6:7], s[6:7]
	v_mov_b32_e32 v22, s10
	s_xor_b64 exec, exec, s[6:7]
	s_cbranch_execz .LBB45_1550
.LBB45_3600:
	v_mov_b32_e32 v22, 0
	v_cmp_ne_u16_sdwa s[8:9], v21, v22 src0_sel:BYTE_0 src1_sel:DWORD
	s_andn2_b64 s[4:5], s[4:5], exec
	s_and_b64 s[8:9], s[8:9], exec
	s_or_b64 s[4:5], s[4:5], s[8:9]
	s_or_b64 exec, exec, s[6:7]
	s_and_saveexec_b64 s[6:7], s[4:5]
	s_cbranch_execnz .LBB45_1551
	s_branch .LBB45_1552
.LBB45_3601:
	s_movk_i32 s4, 0x80
	v_cmp_eq_u16_e32 vcc, s4, v21
	s_mov_b64 s[4:5], -1
                                        ; implicit-def: $sgpr10
	s_and_saveexec_b64 s[8:9], vcc
; %bb.3602:
	s_mov_b32 s10, 0x7f800001
	s_xor_b64 s[4:5], exec, -1
; %bb.3603:
	s_or_b64 exec, exec, s[8:9]
	s_and_b64 s[4:5], s[4:5], exec
                                        ; implicit-def: $vgpr21
	s_or_saveexec_b64 s[6:7], s[6:7]
	v_mov_b32_e32 v20, s10
	s_xor_b64 exec, exec, s[6:7]
	s_cbranch_execz .LBB45_1554
.LBB45_3604:
	v_cmp_ne_u16_e32 vcc, 0, v21
	s_andn2_b64 s[4:5], s[4:5], exec
	s_and_b64 s[8:9], vcc, exec
	v_mov_b32_e32 v20, 0
	s_or_b64 s[4:5], s[4:5], s[8:9]
	s_or_b64 exec, exec, s[6:7]
	s_and_saveexec_b64 s[6:7], s[4:5]
	s_cbranch_execnz .LBB45_1555
	s_branch .LBB45_1556
.LBB45_3605:
	s_movk_i32 s4, 0x80
	v_cmp_eq_u16_e32 vcc, s4, v21
	s_mov_b64 s[4:5], -1
                                        ; implicit-def: $sgpr10
	s_and_saveexec_b64 s[8:9], vcc
; %bb.3606:
	s_mov_b32 s10, 0x7f800001
	s_xor_b64 s[4:5], exec, -1
; %bb.3607:
	s_or_b64 exec, exec, s[8:9]
	s_and_b64 s[4:5], s[4:5], exec
                                        ; implicit-def: $vgpr21
	s_or_saveexec_b64 s[6:7], s[6:7]
	v_mov_b32_e32 v22, s10
	s_xor_b64 exec, exec, s[6:7]
	s_cbranch_execz .LBB45_1558
.LBB45_3608:
	v_cmp_ne_u16_e32 vcc, 0, v21
	s_andn2_b64 s[4:5], s[4:5], exec
	s_and_b64 s[8:9], vcc, exec
	v_mov_b32_e32 v22, 0
	s_or_b64 s[4:5], s[4:5], s[8:9]
	s_or_b64 exec, exec, s[6:7]
	s_and_saveexec_b64 s[6:7], s[4:5]
	s_cbranch_execnz .LBB45_1559
	s_branch .LBB45_1560
.LBB45_3609:
	s_movk_i32 s4, 0x80
	v_cmp_eq_u16_sdwa s[12:13], v14, s4 src0_sel:BYTE_3 src1_sel:DWORD
	s_mov_b64 s[4:5], -1
                                        ; implicit-def: $sgpr10
	s_and_saveexec_b64 s[8:9], s[12:13]
; %bb.3610:
	s_mov_b32 s10, 0x7f800001
	s_xor_b64 s[4:5], exec, -1
; %bb.3611:
	s_or_b64 exec, exec, s[8:9]
	s_and_b64 s[4:5], s[4:5], exec
	s_or_saveexec_b64 s[6:7], s[6:7]
	v_mov_b32_e32 v20, s10
	s_xor_b64 exec, exec, s[6:7]
	s_cbranch_execz .LBB45_1562
.LBB45_3612:
	v_mov_b32_e32 v20, 0
	v_cmp_ne_u16_sdwa s[8:9], v14, v20 src0_sel:BYTE_3 src1_sel:DWORD
	s_andn2_b64 s[4:5], s[4:5], exec
	s_and_b64 s[8:9], s[8:9], exec
	s_or_b64 s[4:5], s[4:5], s[8:9]
	s_or_b64 exec, exec, s[6:7]
	s_and_saveexec_b64 s[6:7], s[4:5]
	s_cbranch_execnz .LBB45_1563
	s_branch .LBB45_1564
.LBB45_3613:
	s_movk_i32 s4, 0x80
	v_cmp_eq_u16_sdwa s[12:13], v10, s4 src0_sel:BYTE_3 src1_sel:DWORD
	s_mov_b64 s[4:5], -1
                                        ; implicit-def: $sgpr10
	s_and_saveexec_b64 s[8:9], s[12:13]
; %bb.3614:
	s_mov_b32 s10, 0x7f800001
	s_xor_b64 s[4:5], exec, -1
; %bb.3615:
	s_or_b64 exec, exec, s[8:9]
	s_and_b64 s[4:5], s[4:5], exec
	s_or_saveexec_b64 s[6:7], s[6:7]
	v_mov_b32_e32 v14, s10
	s_xor_b64 exec, exec, s[6:7]
	s_cbranch_execz .LBB45_1566
.LBB45_3616:
	v_mov_b32_e32 v14, 0
	v_cmp_ne_u16_sdwa s[8:9], v10, v14 src0_sel:BYTE_3 src1_sel:DWORD
	s_andn2_b64 s[4:5], s[4:5], exec
	s_and_b64 s[8:9], s[8:9], exec
	s_or_b64 s[4:5], s[4:5], s[8:9]
	s_or_b64 exec, exec, s[6:7]
	s_and_saveexec_b64 s[6:7], s[4:5]
	s_cbranch_execnz .LBB45_1567
	s_branch .LBB45_1568
.LBB45_3617:
	s_movk_i32 s4, 0x80
	v_cmp_eq_u16_sdwa s[12:13], v15, s4 src0_sel:BYTE_0 src1_sel:DWORD
	s_mov_b64 s[4:5], -1
                                        ; implicit-def: $sgpr10
	s_and_saveexec_b64 s[8:9], s[12:13]
; %bb.3618:
	s_mov_b32 s10, 0x7f800001
	s_xor_b64 s[4:5], exec, -1
; %bb.3619:
	s_or_b64 exec, exec, s[8:9]
	s_and_b64 s[4:5], s[4:5], exec
	s_or_saveexec_b64 s[6:7], s[6:7]
	v_mov_b32_e32 v10, s10
	s_xor_b64 exec, exec, s[6:7]
	s_cbranch_execz .LBB45_1570
.LBB45_3620:
	v_mov_b32_e32 v10, 0
	v_cmp_ne_u16_sdwa s[8:9], v15, v10 src0_sel:BYTE_0 src1_sel:DWORD
	s_andn2_b64 s[4:5], s[4:5], exec
	s_and_b64 s[8:9], s[8:9], exec
	s_or_b64 s[4:5], s[4:5], s[8:9]
	s_or_b64 exec, exec, s[6:7]
	s_and_saveexec_b64 s[6:7], s[4:5]
	s_cbranch_execnz .LBB45_1571
	s_branch .LBB45_1572
.LBB45_3621:
	s_movk_i32 s4, 0x80
	v_cmp_eq_u16_sdwa s[12:13], v11, s4 src0_sel:BYTE_0 src1_sel:DWORD
	s_mov_b64 s[4:5], -1
                                        ; implicit-def: $sgpr10
	s_and_saveexec_b64 s[8:9], s[12:13]
; %bb.3622:
	s_mov_b32 s10, 0x7f800001
	s_xor_b64 s[4:5], exec, -1
; %bb.3623:
	s_or_b64 exec, exec, s[8:9]
	s_and_b64 s[4:5], s[4:5], exec
	s_or_saveexec_b64 s[6:7], s[6:7]
	v_mov_b32_e32 v14, s10
	s_xor_b64 exec, exec, s[6:7]
	s_cbranch_execz .LBB45_1574
.LBB45_3624:
	v_mov_b32_e32 v14, 0
	v_cmp_ne_u16_sdwa s[8:9], v11, v14 src0_sel:BYTE_0 src1_sel:DWORD
	s_andn2_b64 s[4:5], s[4:5], exec
	s_and_b64 s[8:9], s[8:9], exec
	s_or_b64 s[4:5], s[4:5], s[8:9]
	s_or_b64 exec, exec, s[6:7]
	s_and_saveexec_b64 s[6:7], s[4:5]
	s_cbranch_execnz .LBB45_1575
	s_branch .LBB45_1576
.LBB45_3625:
	s_movk_i32 s4, 0x80
	v_cmp_eq_u16_sdwa s[12:13], v14, s4 src0_sel:BYTE_0 src1_sel:DWORD
	s_mov_b64 s[4:5], -1
                                        ; implicit-def: $sgpr10
	s_and_saveexec_b64 s[8:9], s[12:13]
; %bb.3626:
	s_mov_b32 s10, 0x7f800001
	s_xor_b64 s[4:5], exec, -1
; %bb.3627:
	s_or_b64 exec, exec, s[8:9]
	s_and_b64 s[4:5], s[4:5], exec
	s_or_saveexec_b64 s[6:7], s[6:7]
	v_mov_b32_e32 v10, s10
	s_xor_b64 exec, exec, s[6:7]
	s_cbranch_execz .LBB45_1578
.LBB45_3628:
	v_mov_b32_e32 v10, 0
	v_cmp_ne_u16_sdwa s[8:9], v14, v10 src0_sel:BYTE_0 src1_sel:DWORD
	s_andn2_b64 s[4:5], s[4:5], exec
	s_and_b64 s[8:9], s[8:9], exec
	s_or_b64 s[4:5], s[4:5], s[8:9]
	s_or_b64 exec, exec, s[6:7]
	s_and_saveexec_b64 s[6:7], s[4:5]
	s_cbranch_execnz .LBB45_1579
	s_branch .LBB45_1580
.LBB45_3629:
	s_movk_i32 s4, 0x80
	v_cmp_eq_u16_sdwa s[12:13], v14, s4 src0_sel:BYTE_0 src1_sel:DWORD
	s_mov_b64 s[4:5], -1
                                        ; implicit-def: $sgpr10
	s_and_saveexec_b64 s[8:9], s[12:13]
; %bb.3630:
	s_mov_b32 s10, 0x7f800001
	s_xor_b64 s[4:5], exec, -1
; %bb.3631:
	s_or_b64 exec, exec, s[8:9]
	s_and_b64 s[4:5], s[4:5], exec
	s_or_saveexec_b64 s[6:7], s[6:7]
	v_mov_b32_e32 v20, s10
	s_xor_b64 exec, exec, s[6:7]
	s_cbranch_execz .LBB45_1582
.LBB45_3632:
	v_mov_b32_e32 v20, 0
	v_cmp_ne_u16_sdwa s[8:9], v14, v20 src0_sel:BYTE_0 src1_sel:DWORD
	s_andn2_b64 s[4:5], s[4:5], exec
	s_and_b64 s[8:9], s[8:9], exec
	s_or_b64 s[4:5], s[4:5], s[8:9]
	s_or_b64 exec, exec, s[6:7]
	s_and_saveexec_b64 s[6:7], s[4:5]
	s_cbranch_execnz .LBB45_1583
	s_branch .LBB45_1584
.LBB45_3633:
	s_movk_i32 s4, 0x80
	v_cmp_eq_u16_e32 vcc, s4, v14
	s_mov_b64 s[4:5], -1
                                        ; implicit-def: $sgpr10
	s_and_saveexec_b64 s[8:9], vcc
; %bb.3634:
	s_mov_b32 s10, 0x7f800001
	s_xor_b64 s[4:5], exec, -1
; %bb.3635:
	s_or_b64 exec, exec, s[8:9]
	s_and_b64 s[4:5], s[4:5], exec
                                        ; implicit-def: $vgpr14
	s_or_saveexec_b64 s[6:7], s[6:7]
	v_mov_b32_e32 v10, s10
	s_xor_b64 exec, exec, s[6:7]
	s_cbranch_execz .LBB45_1586
.LBB45_3636:
	v_cmp_ne_u16_e32 vcc, 0, v14
	s_andn2_b64 s[4:5], s[4:5], exec
	s_and_b64 s[8:9], vcc, exec
	v_mov_b32_e32 v10, 0
	s_or_b64 s[4:5], s[4:5], s[8:9]
	s_or_b64 exec, exec, s[6:7]
	s_and_saveexec_b64 s[6:7], s[4:5]
	s_cbranch_execnz .LBB45_1587
	s_branch .LBB45_1588
.LBB45_3637:
	s_movk_i32 s4, 0x80
	v_cmp_eq_u16_e32 vcc, s4, v14
	s_mov_b64 s[4:5], -1
                                        ; implicit-def: $sgpr10
	s_and_saveexec_b64 s[8:9], vcc
; %bb.3638:
	s_mov_b32 s10, 0x7f800001
	s_xor_b64 s[4:5], exec, -1
; %bb.3639:
	s_or_b64 exec, exec, s[8:9]
	s_and_b64 s[4:5], s[4:5], exec
                                        ; implicit-def: $vgpr14
	s_or_saveexec_b64 s[6:7], s[6:7]
	v_mov_b32_e32 v20, s10
	s_xor_b64 exec, exec, s[6:7]
	s_cbranch_execz .LBB45_1590
.LBB45_3640:
	v_cmp_ne_u16_e32 vcc, 0, v14
	s_andn2_b64 s[4:5], s[4:5], exec
	s_and_b64 s[8:9], vcc, exec
	v_mov_b32_e32 v20, 0
	s_or_b64 s[4:5], s[4:5], s[8:9]
	s_or_b64 exec, exec, s[6:7]
	s_and_saveexec_b64 s[6:7], s[4:5]
	s_cbranch_execnz .LBB45_1591
	s_branch .LBB45_1592
.LBB45_3641:
	s_movk_i32 s4, 0x80
	v_cmp_eq_u16_sdwa s[12:13], v15, s4 src0_sel:BYTE_3 src1_sel:DWORD
	s_mov_b64 s[4:5], -1
                                        ; implicit-def: $sgpr10
	s_and_saveexec_b64 s[8:9], s[12:13]
; %bb.3642:
	s_mov_b32 s10, 0x7f800001
	s_xor_b64 s[4:5], exec, -1
; %bb.3643:
	s_or_b64 exec, exec, s[8:9]
	s_and_b64 s[4:5], s[4:5], exec
	s_or_saveexec_b64 s[6:7], s[6:7]
	v_mov_b32_e32 v10, s10
	s_xor_b64 exec, exec, s[6:7]
	s_cbranch_execz .LBB45_1594
.LBB45_3644:
	v_mov_b32_e32 v10, 0
	v_cmp_ne_u16_sdwa s[8:9], v15, v10 src0_sel:BYTE_3 src1_sel:DWORD
	s_andn2_b64 s[4:5], s[4:5], exec
	s_and_b64 s[8:9], s[8:9], exec
	s_or_b64 s[4:5], s[4:5], s[8:9]
	s_or_b64 exec, exec, s[6:7]
	s_and_saveexec_b64 s[6:7], s[4:5]
	s_cbranch_execnz .LBB45_1595
	s_branch .LBB45_1596
.LBB45_3645:
	s_movk_i32 s4, 0x80
	v_cmp_eq_u16_sdwa s[12:13], v11, s4 src0_sel:BYTE_3 src1_sel:DWORD
	s_mov_b64 s[4:5], -1
                                        ; implicit-def: $sgpr10
	s_and_saveexec_b64 s[8:9], s[12:13]
; %bb.3646:
	s_mov_b32 s10, 0x7f800001
	s_xor_b64 s[4:5], exec, -1
; %bb.3647:
	s_or_b64 exec, exec, s[8:9]
	s_and_b64 s[4:5], s[4:5], exec
	s_or_saveexec_b64 s[6:7], s[6:7]
	v_mov_b32_e32 v14, s10
	s_xor_b64 exec, exec, s[6:7]
	s_cbranch_execz .LBB45_1598
.LBB45_3648:
	v_mov_b32_e32 v14, 0
	v_cmp_ne_u16_sdwa s[8:9], v11, v14 src0_sel:BYTE_3 src1_sel:DWORD
	s_andn2_b64 s[4:5], s[4:5], exec
	s_and_b64 s[8:9], s[8:9], exec
	s_or_b64 s[4:5], s[4:5], s[8:9]
	s_or_b64 exec, exec, s[6:7]
	s_and_saveexec_b64 s[6:7], s[4:5]
	s_cbranch_execnz .LBB45_1599
	s_branch .LBB45_1600
.LBB45_3649:
	s_movk_i32 s4, 0x80
	v_cmp_eq_u16_sdwa s[12:13], v16, s4 src0_sel:BYTE_0 src1_sel:DWORD
	s_mov_b64 s[4:5], -1
                                        ; implicit-def: $sgpr10
	s_and_saveexec_b64 s[8:9], s[12:13]
; %bb.3650:
	s_mov_b32 s10, 0x7f800001
	s_xor_b64 s[4:5], exec, -1
; %bb.3651:
	s_or_b64 exec, exec, s[8:9]
	s_and_b64 s[4:5], s[4:5], exec
	s_or_saveexec_b64 s[6:7], s[6:7]
	v_mov_b32_e32 v10, s10
	s_xor_b64 exec, exec, s[6:7]
	s_cbranch_execz .LBB45_1602
.LBB45_3652:
	v_mov_b32_e32 v10, 0
	v_cmp_ne_u16_sdwa s[8:9], v16, v10 src0_sel:BYTE_0 src1_sel:DWORD
	s_andn2_b64 s[4:5], s[4:5], exec
	s_and_b64 s[8:9], s[8:9], exec
	s_or_b64 s[4:5], s[4:5], s[8:9]
	s_or_b64 exec, exec, s[6:7]
	s_and_saveexec_b64 s[6:7], s[4:5]
	s_cbranch_execnz .LBB45_1603
	s_branch .LBB45_1604
.LBB45_3653:
	s_movk_i32 s4, 0x80
	v_cmp_eq_u16_sdwa s[12:13], v12, s4 src0_sel:BYTE_0 src1_sel:DWORD
	s_mov_b64 s[4:5], -1
                                        ; implicit-def: $sgpr10
	s_and_saveexec_b64 s[8:9], s[12:13]
; %bb.3654:
	s_mov_b32 s10, 0x7f800001
	s_xor_b64 s[4:5], exec, -1
; %bb.3655:
	s_or_b64 exec, exec, s[8:9]
	s_and_b64 s[4:5], s[4:5], exec
	s_or_saveexec_b64 s[6:7], s[6:7]
	v_mov_b32_e32 v11, s10
	s_xor_b64 exec, exec, s[6:7]
	s_cbranch_execz .LBB45_1606
.LBB45_3656:
	v_mov_b32_e32 v11, 0
	v_cmp_ne_u16_sdwa s[8:9], v12, v11 src0_sel:BYTE_0 src1_sel:DWORD
	s_andn2_b64 s[4:5], s[4:5], exec
	s_and_b64 s[8:9], s[8:9], exec
	s_or_b64 s[4:5], s[4:5], s[8:9]
	s_or_b64 exec, exec, s[6:7]
	s_and_saveexec_b64 s[6:7], s[4:5]
	s_cbranch_execnz .LBB45_1607
	s_branch .LBB45_1608
.LBB45_3657:
	s_movk_i32 s4, 0x80
	v_cmp_eq_u16_sdwa s[12:13], v11, s4 src0_sel:BYTE_0 src1_sel:DWORD
	s_mov_b64 s[4:5], -1
                                        ; implicit-def: $sgpr10
	s_and_saveexec_b64 s[8:9], s[12:13]
; %bb.3658:
	s_mov_b32 s10, 0x7f800001
	s_xor_b64 s[4:5], exec, -1
; %bb.3659:
	s_or_b64 exec, exec, s[8:9]
	s_and_b64 s[4:5], s[4:5], exec
	s_or_saveexec_b64 s[6:7], s[6:7]
	v_mov_b32_e32 v10, s10
	s_xor_b64 exec, exec, s[6:7]
	s_cbranch_execz .LBB45_1610
.LBB45_3660:
	v_mov_b32_e32 v10, 0
	v_cmp_ne_u16_sdwa s[8:9], v11, v10 src0_sel:BYTE_0 src1_sel:DWORD
	s_andn2_b64 s[4:5], s[4:5], exec
	s_and_b64 s[8:9], s[8:9], exec
	s_or_b64 s[4:5], s[4:5], s[8:9]
	s_or_b64 exec, exec, s[6:7]
	s_and_saveexec_b64 s[6:7], s[4:5]
	s_cbranch_execnz .LBB45_1611
	s_branch .LBB45_1612
.LBB45_3661:
	s_movk_i32 s4, 0x80
	v_cmp_eq_u16_sdwa s[12:13], v11, s4 src0_sel:BYTE_0 src1_sel:DWORD
	s_mov_b64 s[4:5], -1
                                        ; implicit-def: $sgpr10
	s_and_saveexec_b64 s[8:9], s[12:13]
; %bb.3662:
	s_mov_b32 s10, 0x7f800001
	s_xor_b64 s[4:5], exec, -1
; %bb.3663:
	s_or_b64 exec, exec, s[8:9]
	s_and_b64 s[4:5], s[4:5], exec
	s_or_saveexec_b64 s[6:7], s[6:7]
	v_mov_b32_e32 v14, s10
	s_xor_b64 exec, exec, s[6:7]
	s_cbranch_execz .LBB45_1614
.LBB45_3664:
	v_mov_b32_e32 v14, 0
	v_cmp_ne_u16_sdwa s[8:9], v11, v14 src0_sel:BYTE_0 src1_sel:DWORD
	s_andn2_b64 s[4:5], s[4:5], exec
	s_and_b64 s[8:9], s[8:9], exec
	s_or_b64 s[4:5], s[4:5], s[8:9]
	s_or_b64 exec, exec, s[6:7]
	s_and_saveexec_b64 s[6:7], s[4:5]
	s_cbranch_execnz .LBB45_1615
	s_branch .LBB45_1616
.LBB45_3665:
	s_movk_i32 s4, 0x80
	v_cmp_eq_u16_e32 vcc, s4, v11
	s_mov_b64 s[4:5], -1
                                        ; implicit-def: $sgpr10
	s_and_saveexec_b64 s[8:9], vcc
; %bb.3666:
	s_mov_b32 s10, 0x7f800001
	s_xor_b64 s[4:5], exec, -1
; %bb.3667:
	s_or_b64 exec, exec, s[8:9]
	s_and_b64 s[4:5], s[4:5], exec
                                        ; implicit-def: $vgpr11
	s_or_saveexec_b64 s[6:7], s[6:7]
	v_mov_b32_e32 v10, s10
	s_xor_b64 exec, exec, s[6:7]
	s_cbranch_execz .LBB45_1618
.LBB45_3668:
	v_cmp_ne_u16_e32 vcc, 0, v11
	s_andn2_b64 s[4:5], s[4:5], exec
	s_and_b64 s[8:9], vcc, exec
	v_mov_b32_e32 v10, 0
	s_or_b64 s[4:5], s[4:5], s[8:9]
	s_or_b64 exec, exec, s[6:7]
	s_and_saveexec_b64 s[6:7], s[4:5]
	s_cbranch_execnz .LBB45_1619
	s_branch .LBB45_1620
.LBB45_3669:
	s_movk_i32 s4, 0x80
	v_cmp_eq_u16_e32 vcc, s4, v11
	s_mov_b64 s[4:5], -1
                                        ; implicit-def: $sgpr10
	s_and_saveexec_b64 s[8:9], vcc
; %bb.3670:
	s_mov_b32 s10, 0x7f800001
	s_xor_b64 s[4:5], exec, -1
; %bb.3671:
	s_or_b64 exec, exec, s[8:9]
	s_and_b64 s[4:5], s[4:5], exec
                                        ; implicit-def: $vgpr11
	s_or_saveexec_b64 s[6:7], s[6:7]
	v_mov_b32_e32 v14, s10
	s_xor_b64 exec, exec, s[6:7]
	s_cbranch_execz .LBB45_1622
.LBB45_3672:
	v_cmp_ne_u16_e32 vcc, 0, v11
	s_andn2_b64 s[4:5], s[4:5], exec
	s_and_b64 s[8:9], vcc, exec
	v_mov_b32_e32 v14, 0
	s_or_b64 s[4:5], s[4:5], s[8:9]
	s_or_b64 exec, exec, s[6:7]
	s_and_saveexec_b64 s[6:7], s[4:5]
	s_cbranch_execnz .LBB45_1623
	s_branch .LBB45_1624
.LBB45_3673:
	s_movk_i32 s4, 0x80
	v_cmp_eq_u16_sdwa s[12:13], v16, s4 src0_sel:BYTE_3 src1_sel:DWORD
	s_mov_b64 s[4:5], -1
                                        ; implicit-def: $sgpr10
	s_and_saveexec_b64 s[8:9], s[12:13]
; %bb.3674:
	s_mov_b32 s10, 0x7f800001
	s_xor_b64 s[4:5], exec, -1
; %bb.3675:
	s_or_b64 exec, exec, s[8:9]
	s_and_b64 s[4:5], s[4:5], exec
	s_or_saveexec_b64 s[6:7], s[6:7]
	v_mov_b32_e32 v10, s10
	s_xor_b64 exec, exec, s[6:7]
	s_cbranch_execz .LBB45_1626
.LBB45_3676:
	v_mov_b32_e32 v10, 0
	v_cmp_ne_u16_sdwa s[8:9], v16, v10 src0_sel:BYTE_3 src1_sel:DWORD
	s_andn2_b64 s[4:5], s[4:5], exec
	s_and_b64 s[8:9], s[8:9], exec
	s_or_b64 s[4:5], s[4:5], s[8:9]
	s_or_b64 exec, exec, s[6:7]
	s_and_saveexec_b64 s[6:7], s[4:5]
	s_cbranch_execnz .LBB45_1627
	s_branch .LBB45_1628
.LBB45_3677:
	s_movk_i32 s4, 0x80
	v_cmp_eq_u16_sdwa s[12:13], v12, s4 src0_sel:BYTE_3 src1_sel:DWORD
	s_mov_b64 s[4:5], -1
                                        ; implicit-def: $sgpr10
	s_and_saveexec_b64 s[8:9], s[12:13]
; %bb.3678:
	s_mov_b32 s10, 0x7f800001
	s_xor_b64 s[4:5], exec, -1
; %bb.3679:
	s_or_b64 exec, exec, s[8:9]
	s_and_b64 s[4:5], s[4:5], exec
	s_or_saveexec_b64 s[6:7], s[6:7]
	v_mov_b32_e32 v11, s10
	s_xor_b64 exec, exec, s[6:7]
	s_cbranch_execz .LBB45_1630
.LBB45_3680:
	v_mov_b32_e32 v11, 0
	v_cmp_ne_u16_sdwa s[8:9], v12, v11 src0_sel:BYTE_3 src1_sel:DWORD
	s_andn2_b64 s[4:5], s[4:5], exec
	s_and_b64 s[8:9], s[8:9], exec
	s_or_b64 s[4:5], s[4:5], s[8:9]
	s_or_b64 exec, exec, s[6:7]
	s_and_saveexec_b64 s[6:7], s[4:5]
	s_cbranch_execnz .LBB45_1631
	s_branch .LBB45_1632
.LBB45_3681:
	s_movk_i32 s4, 0x80
	v_cmp_eq_u16_sdwa s[12:13], v17, s4 src0_sel:BYTE_0 src1_sel:DWORD
	s_mov_b64 s[4:5], -1
                                        ; implicit-def: $sgpr10
	s_and_saveexec_b64 s[8:9], s[12:13]
; %bb.3682:
	s_mov_b32 s10, 0x7f800001
	s_xor_b64 s[4:5], exec, -1
; %bb.3683:
	s_or_b64 exec, exec, s[8:9]
	s_and_b64 s[4:5], s[4:5], exec
	s_or_saveexec_b64 s[6:7], s[6:7]
	v_mov_b32_e32 v10, s10
	s_xor_b64 exec, exec, s[6:7]
	s_cbranch_execz .LBB45_1634
.LBB45_3684:
	v_mov_b32_e32 v10, 0
	v_cmp_ne_u16_sdwa s[8:9], v17, v10 src0_sel:BYTE_0 src1_sel:DWORD
	s_andn2_b64 s[4:5], s[4:5], exec
	s_and_b64 s[8:9], s[8:9], exec
	s_or_b64 s[4:5], s[4:5], s[8:9]
	s_or_b64 exec, exec, s[6:7]
	s_and_saveexec_b64 s[6:7], s[4:5]
	s_cbranch_execnz .LBB45_1635
	s_branch .LBB45_1636
.LBB45_3685:
	s_movk_i32 s4, 0x80
	v_cmp_eq_u16_sdwa s[12:13], v13, s4 src0_sel:BYTE_0 src1_sel:DWORD
	s_mov_b64 s[4:5], -1
                                        ; implicit-def: $sgpr10
	s_and_saveexec_b64 s[8:9], s[12:13]
; %bb.3686:
	s_mov_b32 s10, 0x7f800001
	s_xor_b64 s[4:5], exec, -1
; %bb.3687:
	s_or_b64 exec, exec, s[8:9]
	s_and_b64 s[4:5], s[4:5], exec
	s_or_saveexec_b64 s[6:7], s[6:7]
	v_mov_b32_e32 v11, s10
	s_xor_b64 exec, exec, s[6:7]
	s_cbranch_execz .LBB45_1638
.LBB45_3688:
	v_mov_b32_e32 v11, 0
	v_cmp_ne_u16_sdwa s[8:9], v13, v11 src0_sel:BYTE_0 src1_sel:DWORD
	s_andn2_b64 s[4:5], s[4:5], exec
	s_and_b64 s[8:9], s[8:9], exec
	s_or_b64 s[4:5], s[4:5], s[8:9]
	s_or_b64 exec, exec, s[6:7]
	s_and_saveexec_b64 s[6:7], s[4:5]
	s_cbranch_execnz .LBB45_1639
	s_branch .LBB45_1640
.LBB45_3689:
	s_movk_i32 s4, 0x80
	v_cmp_eq_u16_sdwa s[12:13], v11, s4 src0_sel:BYTE_0 src1_sel:DWORD
	s_mov_b64 s[4:5], -1
                                        ; implicit-def: $sgpr10
	s_and_saveexec_b64 s[8:9], s[12:13]
; %bb.3690:
	s_mov_b32 s10, 0x7f800001
	s_xor_b64 s[4:5], exec, -1
; %bb.3691:
	s_or_b64 exec, exec, s[8:9]
	s_and_b64 s[4:5], s[4:5], exec
	s_or_saveexec_b64 s[6:7], s[6:7]
	v_mov_b32_e32 v10, s10
	s_xor_b64 exec, exec, s[6:7]
	s_cbranch_execz .LBB45_1642
.LBB45_3692:
	v_mov_b32_e32 v10, 0
	v_cmp_ne_u16_sdwa s[8:9], v11, v10 src0_sel:BYTE_0 src1_sel:DWORD
	s_andn2_b64 s[4:5], s[4:5], exec
	s_and_b64 s[8:9], s[8:9], exec
	s_or_b64 s[4:5], s[4:5], s[8:9]
	s_or_b64 exec, exec, s[6:7]
	s_and_saveexec_b64 s[6:7], s[4:5]
	s_cbranch_execnz .LBB45_1643
	s_branch .LBB45_1644
.LBB45_3693:
	s_movk_i32 s4, 0x80
	v_cmp_eq_u16_sdwa s[12:13], v11, s4 src0_sel:BYTE_0 src1_sel:DWORD
	s_mov_b64 s[4:5], -1
                                        ; implicit-def: $sgpr10
	s_and_saveexec_b64 s[8:9], s[12:13]
; %bb.3694:
	s_mov_b32 s10, 0x7f800001
	s_xor_b64 s[4:5], exec, -1
; %bb.3695:
	s_or_b64 exec, exec, s[8:9]
	s_and_b64 s[4:5], s[4:5], exec
	s_or_saveexec_b64 s[6:7], s[6:7]
	v_mov_b32_e32 v12, s10
	s_xor_b64 exec, exec, s[6:7]
	s_cbranch_execz .LBB45_1646
.LBB45_3696:
	v_mov_b32_e32 v12, 0
	v_cmp_ne_u16_sdwa s[8:9], v11, v12 src0_sel:BYTE_0 src1_sel:DWORD
	s_andn2_b64 s[4:5], s[4:5], exec
	s_and_b64 s[8:9], s[8:9], exec
	s_or_b64 s[4:5], s[4:5], s[8:9]
	s_or_b64 exec, exec, s[6:7]
	s_and_saveexec_b64 s[6:7], s[4:5]
	s_cbranch_execnz .LBB45_1647
	s_branch .LBB45_1648
.LBB45_3697:
	s_movk_i32 s4, 0x80
	v_cmp_eq_u16_e32 vcc, s4, v11
	s_mov_b64 s[4:5], -1
                                        ; implicit-def: $sgpr10
	s_and_saveexec_b64 s[8:9], vcc
; %bb.3698:
	s_mov_b32 s10, 0x7f800001
	s_xor_b64 s[4:5], exec, -1
; %bb.3699:
	s_or_b64 exec, exec, s[8:9]
	s_and_b64 s[4:5], s[4:5], exec
                                        ; implicit-def: $vgpr11
	s_or_saveexec_b64 s[6:7], s[6:7]
	v_mov_b32_e32 v10, s10
	s_xor_b64 exec, exec, s[6:7]
	s_cbranch_execz .LBB45_1650
.LBB45_3700:
	v_cmp_ne_u16_e32 vcc, 0, v11
	s_andn2_b64 s[4:5], s[4:5], exec
	s_and_b64 s[8:9], vcc, exec
	v_mov_b32_e32 v10, 0
	s_or_b64 s[4:5], s[4:5], s[8:9]
	s_or_b64 exec, exec, s[6:7]
	s_and_saveexec_b64 s[6:7], s[4:5]
	s_cbranch_execnz .LBB45_1651
	s_branch .LBB45_1652
.LBB45_3701:
	s_movk_i32 s4, 0x80
	v_cmp_eq_u16_e32 vcc, s4, v11
	s_mov_b64 s[4:5], -1
                                        ; implicit-def: $sgpr10
	s_and_saveexec_b64 s[8:9], vcc
; %bb.3702:
	s_mov_b32 s10, 0x7f800001
	s_xor_b64 s[4:5], exec, -1
; %bb.3703:
	s_or_b64 exec, exec, s[8:9]
	s_and_b64 s[4:5], s[4:5], exec
                                        ; implicit-def: $vgpr11
	s_or_saveexec_b64 s[6:7], s[6:7]
	v_mov_b32_e32 v12, s10
	s_xor_b64 exec, exec, s[6:7]
	s_cbranch_execz .LBB45_1654
.LBB45_3704:
	v_cmp_ne_u16_e32 vcc, 0, v11
	s_andn2_b64 s[4:5], s[4:5], exec
	s_and_b64 s[8:9], vcc, exec
	v_mov_b32_e32 v12, 0
	s_or_b64 s[4:5], s[4:5], s[8:9]
	s_or_b64 exec, exec, s[6:7]
	s_and_saveexec_b64 s[6:7], s[4:5]
	s_cbranch_execnz .LBB45_1655
	s_branch .LBB45_1656
.LBB45_3705:
	s_movk_i32 s4, 0x80
	v_cmp_eq_u16_sdwa s[12:13], v17, s4 src0_sel:BYTE_3 src1_sel:DWORD
	s_mov_b64 s[4:5], -1
                                        ; implicit-def: $sgpr10
	s_and_saveexec_b64 s[8:9], s[12:13]
; %bb.3706:
	s_mov_b32 s10, 0x7f800001
	s_xor_b64 s[4:5], exec, -1
; %bb.3707:
	s_or_b64 exec, exec, s[8:9]
	s_and_b64 s[4:5], s[4:5], exec
	s_or_saveexec_b64 s[6:7], s[6:7]
	v_mov_b32_e32 v10, s10
	s_xor_b64 exec, exec, s[6:7]
	s_cbranch_execz .LBB45_1658
.LBB45_3708:
	v_mov_b32_e32 v10, 0
	v_cmp_ne_u16_sdwa s[8:9], v17, v10 src0_sel:BYTE_3 src1_sel:DWORD
	s_andn2_b64 s[4:5], s[4:5], exec
	s_and_b64 s[8:9], s[8:9], exec
	s_or_b64 s[4:5], s[4:5], s[8:9]
	s_or_b64 exec, exec, s[6:7]
	s_and_saveexec_b64 s[6:7], s[4:5]
	s_cbranch_execnz .LBB45_1659
	s_branch .LBB45_1660
.LBB45_3709:
	s_movk_i32 s4, 0x80
	v_cmp_eq_u16_sdwa s[12:13], v13, s4 src0_sel:BYTE_3 src1_sel:DWORD
	s_mov_b64 s[4:5], -1
                                        ; implicit-def: $sgpr10
	s_and_saveexec_b64 s[8:9], s[12:13]
; %bb.3710:
	s_mov_b32 s10, 0x7f800001
	s_xor_b64 s[4:5], exec, -1
; %bb.3711:
	s_or_b64 exec, exec, s[8:9]
	s_and_b64 s[4:5], s[4:5], exec
	s_or_saveexec_b64 s[6:7], s[6:7]
	v_mov_b32_e32 v11, s10
	s_xor_b64 exec, exec, s[6:7]
	s_cbranch_execz .LBB45_1662
.LBB45_3712:
	v_mov_b32_e32 v11, 0
	v_cmp_ne_u16_sdwa s[8:9], v13, v11 src0_sel:BYTE_3 src1_sel:DWORD
	s_andn2_b64 s[4:5], s[4:5], exec
	s_and_b64 s[8:9], s[8:9], exec
	s_or_b64 s[4:5], s[4:5], s[8:9]
	s_or_b64 exec, exec, s[6:7]
	s_and_saveexec_b64 s[6:7], s[4:5]
	s_cbranch_execnz .LBB45_1663
	s_branch .LBB45_1664
.LBB45_3713:
	s_movk_i32 s4, 0x80
	v_cmp_eq_u16_sdwa s[12:13], v6, s4 src0_sel:BYTE_0 src1_sel:DWORD
	s_mov_b64 s[4:5], -1
                                        ; implicit-def: $sgpr10
	s_and_saveexec_b64 s[8:9], s[12:13]
; %bb.3714:
	s_mov_b32 s10, 0x7f800001
	s_xor_b64 s[4:5], exec, -1
; %bb.3715:
	s_or_b64 exec, exec, s[8:9]
	s_and_b64 s[4:5], s[4:5], exec
	s_or_saveexec_b64 s[6:7], s[6:7]
	v_mov_b32_e32 v10, s10
	s_xor_b64 exec, exec, s[6:7]
	s_cbranch_execz .LBB45_1666
.LBB45_3716:
	v_mov_b32_e32 v10, 0
	v_cmp_ne_u16_sdwa s[8:9], v6, v10 src0_sel:BYTE_0 src1_sel:DWORD
	s_andn2_b64 s[4:5], s[4:5], exec
	s_and_b64 s[8:9], s[8:9], exec
	s_or_b64 s[4:5], s[4:5], s[8:9]
	s_or_b64 exec, exec, s[6:7]
	s_and_saveexec_b64 s[6:7], s[4:5]
	s_cbranch_execnz .LBB45_1667
	s_branch .LBB45_1668
.LBB45_3717:
	s_movk_i32 s4, 0x80
	v_cmp_eq_u16_sdwa s[12:13], v2, s4 src0_sel:BYTE_0 src1_sel:DWORD
	s_mov_b64 s[4:5], -1
                                        ; implicit-def: $sgpr10
	s_and_saveexec_b64 s[8:9], s[12:13]
; %bb.3718:
	s_mov_b32 s10, 0x7f800001
	s_xor_b64 s[4:5], exec, -1
; %bb.3719:
	s_or_b64 exec, exec, s[8:9]
	s_and_b64 s[4:5], s[4:5], exec
	s_or_saveexec_b64 s[6:7], s[6:7]
	v_mov_b32_e32 v11, s10
	s_xor_b64 exec, exec, s[6:7]
	s_cbranch_execz .LBB45_1670
.LBB45_3720:
	v_mov_b32_e32 v11, 0
	v_cmp_ne_u16_sdwa s[8:9], v2, v11 src0_sel:BYTE_0 src1_sel:DWORD
	s_andn2_b64 s[4:5], s[4:5], exec
	s_and_b64 s[8:9], s[8:9], exec
	s_or_b64 s[4:5], s[4:5], s[8:9]
	s_or_b64 exec, exec, s[6:7]
	s_and_saveexec_b64 s[6:7], s[4:5]
	s_cbranch_execnz .LBB45_1671
	s_branch .LBB45_1672
.LBB45_3721:
	s_movk_i32 s4, 0x80
	v_cmp_eq_u16_sdwa s[12:13], v11, s4 src0_sel:BYTE_0 src1_sel:DWORD
	s_mov_b64 s[4:5], -1
                                        ; implicit-def: $sgpr10
	s_and_saveexec_b64 s[8:9], s[12:13]
; %bb.3722:
	s_mov_b32 s10, 0x7f800001
	s_xor_b64 s[4:5], exec, -1
; %bb.3723:
	s_or_b64 exec, exec, s[8:9]
	s_and_b64 s[4:5], s[4:5], exec
	s_or_saveexec_b64 s[6:7], s[6:7]
	v_mov_b32_e32 v10, s10
	s_xor_b64 exec, exec, s[6:7]
	s_cbranch_execz .LBB45_1674
.LBB45_3724:
	v_mov_b32_e32 v10, 0
	v_cmp_ne_u16_sdwa s[8:9], v11, v10 src0_sel:BYTE_0 src1_sel:DWORD
	s_andn2_b64 s[4:5], s[4:5], exec
	s_and_b64 s[8:9], s[8:9], exec
	s_or_b64 s[4:5], s[4:5], s[8:9]
	s_or_b64 exec, exec, s[6:7]
	s_and_saveexec_b64 s[6:7], s[4:5]
	s_cbranch_execnz .LBB45_1675
	s_branch .LBB45_1676
.LBB45_3725:
	s_movk_i32 s4, 0x80
	v_cmp_eq_u16_sdwa s[12:13], v11, s4 src0_sel:BYTE_0 src1_sel:DWORD
	s_mov_b64 s[4:5], -1
                                        ; implicit-def: $sgpr10
	s_and_saveexec_b64 s[8:9], s[12:13]
; %bb.3726:
	s_mov_b32 s10, 0x7f800001
	s_xor_b64 s[4:5], exec, -1
; %bb.3727:
	s_or_b64 exec, exec, s[8:9]
	s_and_b64 s[4:5], s[4:5], exec
	s_or_saveexec_b64 s[6:7], s[6:7]
	v_mov_b32_e32 v12, s10
	s_xor_b64 exec, exec, s[6:7]
	s_cbranch_execz .LBB45_1678
.LBB45_3728:
	v_mov_b32_e32 v12, 0
	v_cmp_ne_u16_sdwa s[8:9], v11, v12 src0_sel:BYTE_0 src1_sel:DWORD
	s_andn2_b64 s[4:5], s[4:5], exec
	s_and_b64 s[8:9], s[8:9], exec
	s_or_b64 s[4:5], s[4:5], s[8:9]
	s_or_b64 exec, exec, s[6:7]
	s_and_saveexec_b64 s[6:7], s[4:5]
	s_cbranch_execnz .LBB45_1679
	s_branch .LBB45_1680
.LBB45_3729:
	s_movk_i32 s4, 0x80
	v_cmp_eq_u16_e32 vcc, s4, v11
	s_mov_b64 s[4:5], -1
                                        ; implicit-def: $sgpr10
	s_and_saveexec_b64 s[8:9], vcc
; %bb.3730:
	s_mov_b32 s10, 0x7f800001
	s_xor_b64 s[4:5], exec, -1
; %bb.3731:
	s_or_b64 exec, exec, s[8:9]
	s_and_b64 s[4:5], s[4:5], exec
                                        ; implicit-def: $vgpr11
	s_or_saveexec_b64 s[6:7], s[6:7]
	v_mov_b32_e32 v10, s10
	s_xor_b64 exec, exec, s[6:7]
	s_cbranch_execz .LBB45_1682
.LBB45_3732:
	v_cmp_ne_u16_e32 vcc, 0, v11
	s_andn2_b64 s[4:5], s[4:5], exec
	s_and_b64 s[8:9], vcc, exec
	v_mov_b32_e32 v10, 0
	s_or_b64 s[4:5], s[4:5], s[8:9]
	s_or_b64 exec, exec, s[6:7]
	s_and_saveexec_b64 s[6:7], s[4:5]
	s_cbranch_execnz .LBB45_1683
	s_branch .LBB45_1684
.LBB45_3733:
	s_movk_i32 s4, 0x80
	v_cmp_eq_u16_e32 vcc, s4, v11
	s_mov_b64 s[4:5], -1
                                        ; implicit-def: $sgpr10
	s_and_saveexec_b64 s[8:9], vcc
; %bb.3734:
	s_mov_b32 s10, 0x7f800001
	s_xor_b64 s[4:5], exec, -1
; %bb.3735:
	s_or_b64 exec, exec, s[8:9]
	s_and_b64 s[4:5], s[4:5], exec
                                        ; implicit-def: $vgpr11
	s_or_saveexec_b64 s[6:7], s[6:7]
	v_mov_b32_e32 v12, s10
	s_xor_b64 exec, exec, s[6:7]
	s_cbranch_execz .LBB45_1686
.LBB45_3736:
	v_cmp_ne_u16_e32 vcc, 0, v11
	s_andn2_b64 s[4:5], s[4:5], exec
	s_and_b64 s[8:9], vcc, exec
	v_mov_b32_e32 v12, 0
	s_or_b64 s[4:5], s[4:5], s[8:9]
	s_or_b64 exec, exec, s[6:7]
	s_and_saveexec_b64 s[6:7], s[4:5]
	s_cbranch_execnz .LBB45_1687
	s_branch .LBB45_1688
.LBB45_3737:
	s_movk_i32 s4, 0x80
	v_cmp_eq_u16_sdwa s[12:13], v6, s4 src0_sel:BYTE_3 src1_sel:DWORD
	s_mov_b64 s[4:5], -1
                                        ; implicit-def: $sgpr10
	s_and_saveexec_b64 s[8:9], s[12:13]
; %bb.3738:
	s_mov_b32 s10, 0x7f800001
	s_xor_b64 s[4:5], exec, -1
; %bb.3739:
	s_or_b64 exec, exec, s[8:9]
	s_and_b64 s[4:5], s[4:5], exec
	s_or_saveexec_b64 s[6:7], s[6:7]
	v_mov_b32_e32 v10, s10
	s_xor_b64 exec, exec, s[6:7]
	s_cbranch_execz .LBB45_1690
.LBB45_3740:
	v_mov_b32_e32 v10, 0
	v_cmp_ne_u16_sdwa s[8:9], v6, v10 src0_sel:BYTE_3 src1_sel:DWORD
	s_andn2_b64 s[4:5], s[4:5], exec
	s_and_b64 s[8:9], s[8:9], exec
	s_or_b64 s[4:5], s[4:5], s[8:9]
	s_or_b64 exec, exec, s[6:7]
	s_and_saveexec_b64 s[6:7], s[4:5]
	s_cbranch_execnz .LBB45_1691
	s_branch .LBB45_1692
.LBB45_3741:
	s_movk_i32 s4, 0x80
	v_cmp_eq_u16_sdwa s[12:13], v2, s4 src0_sel:BYTE_3 src1_sel:DWORD
	s_mov_b64 s[4:5], -1
                                        ; implicit-def: $sgpr10
	s_and_saveexec_b64 s[8:9], s[12:13]
; %bb.3742:
	s_mov_b32 s10, 0x7f800001
	s_xor_b64 s[4:5], exec, -1
; %bb.3743:
	s_or_b64 exec, exec, s[8:9]
	s_and_b64 s[4:5], s[4:5], exec
	s_or_saveexec_b64 s[6:7], s[6:7]
	v_mov_b32_e32 v6, s10
	s_xor_b64 exec, exec, s[6:7]
	s_cbranch_execz .LBB45_1694
.LBB45_3744:
	v_mov_b32_e32 v6, 0
	v_cmp_ne_u16_sdwa s[8:9], v2, v6 src0_sel:BYTE_3 src1_sel:DWORD
	s_andn2_b64 s[4:5], s[4:5], exec
	s_and_b64 s[8:9], s[8:9], exec
	s_or_b64 s[4:5], s[4:5], s[8:9]
	s_or_b64 exec, exec, s[6:7]
	s_and_saveexec_b64 s[6:7], s[4:5]
	s_cbranch_execnz .LBB45_1695
	s_branch .LBB45_1696
.LBB45_3745:
	s_movk_i32 s4, 0x80
	v_cmp_eq_u16_sdwa s[12:13], v7, s4 src0_sel:BYTE_0 src1_sel:DWORD
	s_mov_b64 s[4:5], -1
                                        ; implicit-def: $sgpr10
	s_and_saveexec_b64 s[8:9], s[12:13]
; %bb.3746:
	s_mov_b32 s10, 0x7f800001
	s_xor_b64 s[4:5], exec, -1
; %bb.3747:
	s_or_b64 exec, exec, s[8:9]
	s_and_b64 s[4:5], s[4:5], exec
	s_or_saveexec_b64 s[6:7], s[6:7]
	v_mov_b32_e32 v2, s10
	s_xor_b64 exec, exec, s[6:7]
	s_cbranch_execz .LBB45_1698
.LBB45_3748:
	v_mov_b32_e32 v2, 0
	v_cmp_ne_u16_sdwa s[8:9], v7, v2 src0_sel:BYTE_0 src1_sel:DWORD
	s_andn2_b64 s[4:5], s[4:5], exec
	s_and_b64 s[8:9], s[8:9], exec
	s_or_b64 s[4:5], s[4:5], s[8:9]
	s_or_b64 exec, exec, s[6:7]
	s_and_saveexec_b64 s[6:7], s[4:5]
	s_cbranch_execnz .LBB45_1699
	s_branch .LBB45_1700
.LBB45_3749:
	s_movk_i32 s4, 0x80
	v_cmp_eq_u16_sdwa s[12:13], v3, s4 src0_sel:BYTE_0 src1_sel:DWORD
	s_mov_b64 s[4:5], -1
                                        ; implicit-def: $sgpr10
	s_and_saveexec_b64 s[8:9], s[12:13]
; %bb.3750:
	s_mov_b32 s10, 0x7f800001
	s_xor_b64 s[4:5], exec, -1
; %bb.3751:
	s_or_b64 exec, exec, s[8:9]
	s_and_b64 s[4:5], s[4:5], exec
	s_or_saveexec_b64 s[6:7], s[6:7]
	v_mov_b32_e32 v6, s10
	s_xor_b64 exec, exec, s[6:7]
	s_cbranch_execz .LBB45_1702
.LBB45_3752:
	v_mov_b32_e32 v6, 0
	v_cmp_ne_u16_sdwa s[8:9], v3, v6 src0_sel:BYTE_0 src1_sel:DWORD
	s_andn2_b64 s[4:5], s[4:5], exec
	s_and_b64 s[8:9], s[8:9], exec
	s_or_b64 s[4:5], s[4:5], s[8:9]
	s_or_b64 exec, exec, s[6:7]
	s_and_saveexec_b64 s[6:7], s[4:5]
	s_cbranch_execnz .LBB45_1703
	s_branch .LBB45_1704
.LBB45_3753:
	s_movk_i32 s4, 0x80
	v_cmp_eq_u16_sdwa s[12:13], v6, s4 src0_sel:BYTE_0 src1_sel:DWORD
	s_mov_b64 s[4:5], -1
                                        ; implicit-def: $sgpr10
	s_and_saveexec_b64 s[8:9], s[12:13]
; %bb.3754:
	s_mov_b32 s10, 0x7f800001
	s_xor_b64 s[4:5], exec, -1
; %bb.3755:
	s_or_b64 exec, exec, s[8:9]
	s_and_b64 s[4:5], s[4:5], exec
	s_or_saveexec_b64 s[6:7], s[6:7]
	v_mov_b32_e32 v2, s10
	s_xor_b64 exec, exec, s[6:7]
	s_cbranch_execz .LBB45_1706
.LBB45_3756:
	v_mov_b32_e32 v2, 0
	v_cmp_ne_u16_sdwa s[8:9], v6, v2 src0_sel:BYTE_0 src1_sel:DWORD
	s_andn2_b64 s[4:5], s[4:5], exec
	s_and_b64 s[8:9], s[8:9], exec
	s_or_b64 s[4:5], s[4:5], s[8:9]
	s_or_b64 exec, exec, s[6:7]
	s_and_saveexec_b64 s[6:7], s[4:5]
	s_cbranch_execnz .LBB45_1707
	s_branch .LBB45_1708
.LBB45_3757:
	s_movk_i32 s4, 0x80
	v_cmp_eq_u16_sdwa s[12:13], v6, s4 src0_sel:BYTE_0 src1_sel:DWORD
	s_mov_b64 s[4:5], -1
                                        ; implicit-def: $sgpr10
	s_and_saveexec_b64 s[8:9], s[12:13]
; %bb.3758:
	s_mov_b32 s10, 0x7f800001
	s_xor_b64 s[4:5], exec, -1
; %bb.3759:
	s_or_b64 exec, exec, s[8:9]
	s_and_b64 s[4:5], s[4:5], exec
	s_or_saveexec_b64 s[6:7], s[6:7]
	v_mov_b32_e32 v10, s10
	s_xor_b64 exec, exec, s[6:7]
	s_cbranch_execz .LBB45_1710
.LBB45_3760:
	v_mov_b32_e32 v10, 0
	v_cmp_ne_u16_sdwa s[8:9], v6, v10 src0_sel:BYTE_0 src1_sel:DWORD
	s_andn2_b64 s[4:5], s[4:5], exec
	s_and_b64 s[8:9], s[8:9], exec
	s_or_b64 s[4:5], s[4:5], s[8:9]
	s_or_b64 exec, exec, s[6:7]
	s_and_saveexec_b64 s[6:7], s[4:5]
	s_cbranch_execnz .LBB45_1711
	s_branch .LBB45_1712
.LBB45_3761:
	s_movk_i32 s4, 0x80
	v_cmp_eq_u16_e32 vcc, s4, v6
	s_mov_b64 s[4:5], -1
                                        ; implicit-def: $sgpr10
	s_and_saveexec_b64 s[8:9], vcc
; %bb.3762:
	s_mov_b32 s10, 0x7f800001
	s_xor_b64 s[4:5], exec, -1
; %bb.3763:
	s_or_b64 exec, exec, s[8:9]
	s_and_b64 s[4:5], s[4:5], exec
                                        ; implicit-def: $vgpr6
	s_or_saveexec_b64 s[6:7], s[6:7]
	v_mov_b32_e32 v2, s10
	s_xor_b64 exec, exec, s[6:7]
	s_cbranch_execz .LBB45_1714
.LBB45_3764:
	v_cmp_ne_u16_e32 vcc, 0, v6
	s_andn2_b64 s[4:5], s[4:5], exec
	s_and_b64 s[8:9], vcc, exec
	v_mov_b32_e32 v2, 0
	s_or_b64 s[4:5], s[4:5], s[8:9]
	s_or_b64 exec, exec, s[6:7]
	s_and_saveexec_b64 s[6:7], s[4:5]
	s_cbranch_execnz .LBB45_1715
	s_branch .LBB45_1716
.LBB45_3765:
	s_movk_i32 s4, 0x80
	v_cmp_eq_u16_e32 vcc, s4, v6
	s_mov_b64 s[4:5], -1
                                        ; implicit-def: $sgpr10
	s_and_saveexec_b64 s[8:9], vcc
; %bb.3766:
	s_mov_b32 s10, 0x7f800001
	s_xor_b64 s[4:5], exec, -1
; %bb.3767:
	s_or_b64 exec, exec, s[8:9]
	s_and_b64 s[4:5], s[4:5], exec
                                        ; implicit-def: $vgpr6
	s_or_saveexec_b64 s[6:7], s[6:7]
	v_mov_b32_e32 v10, s10
	s_xor_b64 exec, exec, s[6:7]
	s_cbranch_execz .LBB45_1718
.LBB45_3768:
	v_cmp_ne_u16_e32 vcc, 0, v6
	s_andn2_b64 s[4:5], s[4:5], exec
	s_and_b64 s[8:9], vcc, exec
	v_mov_b32_e32 v10, 0
	s_or_b64 s[4:5], s[4:5], s[8:9]
	s_or_b64 exec, exec, s[6:7]
	s_and_saveexec_b64 s[6:7], s[4:5]
	s_cbranch_execnz .LBB45_1719
	s_branch .LBB45_1720
.LBB45_3769:
	s_movk_i32 s4, 0x80
	v_cmp_eq_u16_sdwa s[12:13], v7, s4 src0_sel:BYTE_3 src1_sel:DWORD
	s_mov_b64 s[4:5], -1
                                        ; implicit-def: $sgpr10
	s_and_saveexec_b64 s[8:9], s[12:13]
; %bb.3770:
	s_mov_b32 s10, 0x7f800001
	s_xor_b64 s[4:5], exec, -1
; %bb.3771:
	s_or_b64 exec, exec, s[8:9]
	s_and_b64 s[4:5], s[4:5], exec
	s_or_saveexec_b64 s[6:7], s[6:7]
	v_mov_b32_e32 v2, s10
	s_xor_b64 exec, exec, s[6:7]
	s_cbranch_execz .LBB45_1722
.LBB45_3772:
	v_mov_b32_e32 v2, 0
	v_cmp_ne_u16_sdwa s[8:9], v7, v2 src0_sel:BYTE_3 src1_sel:DWORD
	s_andn2_b64 s[4:5], s[4:5], exec
	s_and_b64 s[8:9], s[8:9], exec
	s_or_b64 s[4:5], s[4:5], s[8:9]
	s_or_b64 exec, exec, s[6:7]
	s_and_saveexec_b64 s[6:7], s[4:5]
	s_cbranch_execnz .LBB45_1723
	s_branch .LBB45_1724
.LBB45_3773:
	s_movk_i32 s4, 0x80
	v_cmp_eq_u16_sdwa s[12:13], v3, s4 src0_sel:BYTE_3 src1_sel:DWORD
	s_mov_b64 s[4:5], -1
                                        ; implicit-def: $sgpr10
	s_and_saveexec_b64 s[8:9], s[12:13]
; %bb.3774:
	s_mov_b32 s10, 0x7f800001
	s_xor_b64 s[4:5], exec, -1
; %bb.3775:
	s_or_b64 exec, exec, s[8:9]
	s_and_b64 s[4:5], s[4:5], exec
	s_or_saveexec_b64 s[6:7], s[6:7]
	v_mov_b32_e32 v6, s10
	s_xor_b64 exec, exec, s[6:7]
	s_cbranch_execz .LBB45_1726
.LBB45_3776:
	v_mov_b32_e32 v6, 0
	v_cmp_ne_u16_sdwa s[8:9], v3, v6 src0_sel:BYTE_3 src1_sel:DWORD
	s_andn2_b64 s[4:5], s[4:5], exec
	s_and_b64 s[8:9], s[8:9], exec
	s_or_b64 s[4:5], s[4:5], s[8:9]
	s_or_b64 exec, exec, s[6:7]
	s_and_saveexec_b64 s[6:7], s[4:5]
	s_cbranch_execnz .LBB45_1727
	s_branch .LBB45_1728
.LBB45_3777:
	s_movk_i32 s4, 0x80
	v_cmp_eq_u16_sdwa s[12:13], v8, s4 src0_sel:BYTE_0 src1_sel:DWORD
	s_mov_b64 s[4:5], -1
                                        ; implicit-def: $sgpr10
	s_and_saveexec_b64 s[8:9], s[12:13]
; %bb.3778:
	s_mov_b32 s10, 0x7f800001
	s_xor_b64 s[4:5], exec, -1
; %bb.3779:
	s_or_b64 exec, exec, s[8:9]
	s_and_b64 s[4:5], s[4:5], exec
	s_or_saveexec_b64 s[6:7], s[6:7]
	v_mov_b32_e32 v2, s10
	s_xor_b64 exec, exec, s[6:7]
	s_cbranch_execz .LBB45_1730
.LBB45_3780:
	v_mov_b32_e32 v2, 0
	v_cmp_ne_u16_sdwa s[8:9], v8, v2 src0_sel:BYTE_0 src1_sel:DWORD
	s_andn2_b64 s[4:5], s[4:5], exec
	s_and_b64 s[8:9], s[8:9], exec
	s_or_b64 s[4:5], s[4:5], s[8:9]
	s_or_b64 exec, exec, s[6:7]
	s_and_saveexec_b64 s[6:7], s[4:5]
	s_cbranch_execnz .LBB45_1731
	s_branch .LBB45_1732
.LBB45_3781:
	s_movk_i32 s4, 0x80
	v_cmp_eq_u16_sdwa s[12:13], v4, s4 src0_sel:BYTE_0 src1_sel:DWORD
	s_mov_b64 s[4:5], -1
                                        ; implicit-def: $sgpr10
	s_and_saveexec_b64 s[8:9], s[12:13]
; %bb.3782:
	s_mov_b32 s10, 0x7f800001
	s_xor_b64 s[4:5], exec, -1
; %bb.3783:
	s_or_b64 exec, exec, s[8:9]
	s_and_b64 s[4:5], s[4:5], exec
	s_or_saveexec_b64 s[6:7], s[6:7]
	v_mov_b32_e32 v3, s10
	s_xor_b64 exec, exec, s[6:7]
	s_cbranch_execz .LBB45_1734
.LBB45_3784:
	v_mov_b32_e32 v3, 0
	v_cmp_ne_u16_sdwa s[8:9], v4, v3 src0_sel:BYTE_0 src1_sel:DWORD
	s_andn2_b64 s[4:5], s[4:5], exec
	s_and_b64 s[8:9], s[8:9], exec
	s_or_b64 s[4:5], s[4:5], s[8:9]
	s_or_b64 exec, exec, s[6:7]
	s_and_saveexec_b64 s[6:7], s[4:5]
	s_cbranch_execnz .LBB45_1735
	s_branch .LBB45_1736
.LBB45_3785:
	s_movk_i32 s4, 0x80
	v_cmp_eq_u16_sdwa s[12:13], v3, s4 src0_sel:BYTE_0 src1_sel:DWORD
	s_mov_b64 s[4:5], -1
                                        ; implicit-def: $sgpr10
	s_and_saveexec_b64 s[8:9], s[12:13]
; %bb.3786:
	s_mov_b32 s10, 0x7f800001
	s_xor_b64 s[4:5], exec, -1
; %bb.3787:
	s_or_b64 exec, exec, s[8:9]
	s_and_b64 s[4:5], s[4:5], exec
	s_or_saveexec_b64 s[6:7], s[6:7]
	v_mov_b32_e32 v2, s10
	s_xor_b64 exec, exec, s[6:7]
	s_cbranch_execz .LBB45_1738
.LBB45_3788:
	v_mov_b32_e32 v2, 0
	v_cmp_ne_u16_sdwa s[8:9], v3, v2 src0_sel:BYTE_0 src1_sel:DWORD
	s_andn2_b64 s[4:5], s[4:5], exec
	s_and_b64 s[8:9], s[8:9], exec
	s_or_b64 s[4:5], s[4:5], s[8:9]
	s_or_b64 exec, exec, s[6:7]
	s_and_saveexec_b64 s[6:7], s[4:5]
	s_cbranch_execnz .LBB45_1739
	s_branch .LBB45_1740
.LBB45_3789:
	s_movk_i32 s4, 0x80
	v_cmp_eq_u16_sdwa s[12:13], v3, s4 src0_sel:BYTE_0 src1_sel:DWORD
	s_mov_b64 s[4:5], -1
                                        ; implicit-def: $sgpr10
	s_and_saveexec_b64 s[8:9], s[12:13]
; %bb.3790:
	s_mov_b32 s10, 0x7f800001
	s_xor_b64 s[4:5], exec, -1
; %bb.3791:
	s_or_b64 exec, exec, s[8:9]
	s_and_b64 s[4:5], s[4:5], exec
	s_or_saveexec_b64 s[6:7], s[6:7]
	v_mov_b32_e32 v6, s10
	s_xor_b64 exec, exec, s[6:7]
	s_cbranch_execz .LBB45_1742
.LBB45_3792:
	v_mov_b32_e32 v6, 0
	v_cmp_ne_u16_sdwa s[8:9], v3, v6 src0_sel:BYTE_0 src1_sel:DWORD
	s_andn2_b64 s[4:5], s[4:5], exec
	s_and_b64 s[8:9], s[8:9], exec
	s_or_b64 s[4:5], s[4:5], s[8:9]
	s_or_b64 exec, exec, s[6:7]
	s_and_saveexec_b64 s[6:7], s[4:5]
	s_cbranch_execnz .LBB45_1743
	s_branch .LBB45_1744
.LBB45_3793:
	s_movk_i32 s4, 0x80
	v_cmp_eq_u16_e32 vcc, s4, v3
	s_mov_b64 s[4:5], -1
                                        ; implicit-def: $sgpr10
	s_and_saveexec_b64 s[8:9], vcc
; %bb.3794:
	s_mov_b32 s10, 0x7f800001
	s_xor_b64 s[4:5], exec, -1
; %bb.3795:
	s_or_b64 exec, exec, s[8:9]
	s_and_b64 s[4:5], s[4:5], exec
                                        ; implicit-def: $vgpr3
	s_or_saveexec_b64 s[6:7], s[6:7]
	v_mov_b32_e32 v2, s10
	s_xor_b64 exec, exec, s[6:7]
	s_cbranch_execz .LBB45_1746
.LBB45_3796:
	v_cmp_ne_u16_e32 vcc, 0, v3
	s_andn2_b64 s[4:5], s[4:5], exec
	s_and_b64 s[8:9], vcc, exec
	v_mov_b32_e32 v2, 0
	s_or_b64 s[4:5], s[4:5], s[8:9]
	s_or_b64 exec, exec, s[6:7]
	s_and_saveexec_b64 s[6:7], s[4:5]
	s_cbranch_execnz .LBB45_1747
	s_branch .LBB45_1748
.LBB45_3797:
	s_movk_i32 s4, 0x80
	v_cmp_eq_u16_e32 vcc, s4, v3
	s_mov_b64 s[4:5], -1
                                        ; implicit-def: $sgpr10
	s_and_saveexec_b64 s[8:9], vcc
; %bb.3798:
	s_mov_b32 s10, 0x7f800001
	s_xor_b64 s[4:5], exec, -1
; %bb.3799:
	s_or_b64 exec, exec, s[8:9]
	s_and_b64 s[4:5], s[4:5], exec
                                        ; implicit-def: $vgpr3
	s_or_saveexec_b64 s[6:7], s[6:7]
	v_mov_b32_e32 v6, s10
	s_xor_b64 exec, exec, s[6:7]
	s_cbranch_execz .LBB45_1750
.LBB45_3800:
	v_cmp_ne_u16_e32 vcc, 0, v3
	s_andn2_b64 s[4:5], s[4:5], exec
	s_and_b64 s[8:9], vcc, exec
	v_mov_b32_e32 v6, 0
	s_or_b64 s[4:5], s[4:5], s[8:9]
	s_or_b64 exec, exec, s[6:7]
	s_and_saveexec_b64 s[6:7], s[4:5]
	s_cbranch_execnz .LBB45_1751
	s_branch .LBB45_1752
.LBB45_3801:
	s_movk_i32 s4, 0x80
	v_cmp_eq_u16_sdwa s[12:13], v8, s4 src0_sel:BYTE_3 src1_sel:DWORD
	s_mov_b64 s[4:5], -1
                                        ; implicit-def: $sgpr10
	s_and_saveexec_b64 s[8:9], s[12:13]
; %bb.3802:
	s_mov_b32 s10, 0x7f800001
	s_xor_b64 s[4:5], exec, -1
; %bb.3803:
	s_or_b64 exec, exec, s[8:9]
	s_and_b64 s[4:5], s[4:5], exec
	s_or_saveexec_b64 s[6:7], s[6:7]
	v_mov_b32_e32 v2, s10
	s_xor_b64 exec, exec, s[6:7]
	s_cbranch_execz .LBB45_1754
.LBB45_3804:
	v_mov_b32_e32 v2, 0
	v_cmp_ne_u16_sdwa s[8:9], v8, v2 src0_sel:BYTE_3 src1_sel:DWORD
	s_andn2_b64 s[4:5], s[4:5], exec
	s_and_b64 s[8:9], s[8:9], exec
	s_or_b64 s[4:5], s[4:5], s[8:9]
	s_or_b64 exec, exec, s[6:7]
	s_and_saveexec_b64 s[6:7], s[4:5]
	s_cbranch_execnz .LBB45_1755
	s_branch .LBB45_1756
.LBB45_3805:
	s_movk_i32 s4, 0x80
	v_cmp_eq_u16_sdwa s[12:13], v4, s4 src0_sel:BYTE_3 src1_sel:DWORD
	s_mov_b64 s[4:5], -1
                                        ; implicit-def: $sgpr10
	s_and_saveexec_b64 s[8:9], s[12:13]
; %bb.3806:
	s_mov_b32 s10, 0x7f800001
	s_xor_b64 s[4:5], exec, -1
; %bb.3807:
	s_or_b64 exec, exec, s[8:9]
	s_and_b64 s[4:5], s[4:5], exec
	s_or_saveexec_b64 s[6:7], s[6:7]
	v_mov_b32_e32 v3, s10
	s_xor_b64 exec, exec, s[6:7]
	s_cbranch_execz .LBB45_1758
.LBB45_3808:
	v_mov_b32_e32 v3, 0
	v_cmp_ne_u16_sdwa s[8:9], v4, v3 src0_sel:BYTE_3 src1_sel:DWORD
	s_andn2_b64 s[4:5], s[4:5], exec
	s_and_b64 s[8:9], s[8:9], exec
	s_or_b64 s[4:5], s[4:5], s[8:9]
	s_or_b64 exec, exec, s[6:7]
	s_and_saveexec_b64 s[6:7], s[4:5]
	s_cbranch_execnz .LBB45_1759
	s_branch .LBB45_1760
.LBB45_3809:
	s_movk_i32 s4, 0x80
	v_cmp_eq_u16_sdwa s[12:13], v9, s4 src0_sel:BYTE_0 src1_sel:DWORD
	s_mov_b64 s[4:5], -1
                                        ; implicit-def: $sgpr10
	s_and_saveexec_b64 s[8:9], s[12:13]
; %bb.3810:
	s_mov_b32 s10, 0x7f800001
	s_xor_b64 s[4:5], exec, -1
; %bb.3811:
	s_or_b64 exec, exec, s[8:9]
	s_and_b64 s[4:5], s[4:5], exec
	s_or_saveexec_b64 s[6:7], s[6:7]
	v_mov_b32_e32 v2, s10
	s_xor_b64 exec, exec, s[6:7]
	s_cbranch_execz .LBB45_1762
.LBB45_3812:
	v_mov_b32_e32 v2, 0
	v_cmp_ne_u16_sdwa s[8:9], v9, v2 src0_sel:BYTE_0 src1_sel:DWORD
	s_andn2_b64 s[4:5], s[4:5], exec
	s_and_b64 s[8:9], s[8:9], exec
	s_or_b64 s[4:5], s[4:5], s[8:9]
	s_or_b64 exec, exec, s[6:7]
	s_and_saveexec_b64 s[6:7], s[4:5]
	s_cbranch_execnz .LBB45_1763
	s_branch .LBB45_1764
.LBB45_3813:
	s_movk_i32 s4, 0x80
	v_cmp_eq_u16_sdwa s[12:13], v5, s4 src0_sel:BYTE_0 src1_sel:DWORD
	s_mov_b64 s[4:5], -1
                                        ; implicit-def: $sgpr10
	s_and_saveexec_b64 s[8:9], s[12:13]
; %bb.3814:
	s_mov_b32 s10, 0x7f800001
	s_xor_b64 s[4:5], exec, -1
; %bb.3815:
	s_or_b64 exec, exec, s[8:9]
	s_and_b64 s[4:5], s[4:5], exec
	s_or_saveexec_b64 s[6:7], s[6:7]
	v_mov_b32_e32 v3, s10
	s_xor_b64 exec, exec, s[6:7]
	s_cbranch_execz .LBB45_1766
.LBB45_3816:
	v_mov_b32_e32 v3, 0
	v_cmp_ne_u16_sdwa s[8:9], v5, v3 src0_sel:BYTE_0 src1_sel:DWORD
	s_andn2_b64 s[4:5], s[4:5], exec
	s_and_b64 s[8:9], s[8:9], exec
	s_or_b64 s[4:5], s[4:5], s[8:9]
	s_or_b64 exec, exec, s[6:7]
	s_and_saveexec_b64 s[6:7], s[4:5]
	s_cbranch_execnz .LBB45_1767
	s_branch .LBB45_1768
.LBB45_3817:
	s_movk_i32 s4, 0x80
	v_cmp_eq_u16_sdwa s[12:13], v3, s4 src0_sel:BYTE_0 src1_sel:DWORD
	s_mov_b64 s[4:5], -1
                                        ; implicit-def: $sgpr10
	s_and_saveexec_b64 s[8:9], s[12:13]
; %bb.3818:
	s_mov_b32 s10, 0x7f800001
	s_xor_b64 s[4:5], exec, -1
; %bb.3819:
	s_or_b64 exec, exec, s[8:9]
	s_and_b64 s[4:5], s[4:5], exec
	s_or_saveexec_b64 s[6:7], s[6:7]
	v_mov_b32_e32 v2, s10
	s_xor_b64 exec, exec, s[6:7]
	s_cbranch_execz .LBB45_1770
.LBB45_3820:
	v_mov_b32_e32 v2, 0
	v_cmp_ne_u16_sdwa s[8:9], v3, v2 src0_sel:BYTE_0 src1_sel:DWORD
	s_andn2_b64 s[4:5], s[4:5], exec
	s_and_b64 s[8:9], s[8:9], exec
	s_or_b64 s[4:5], s[4:5], s[8:9]
	s_or_b64 exec, exec, s[6:7]
	s_and_saveexec_b64 s[6:7], s[4:5]
	s_cbranch_execnz .LBB45_1771
	s_branch .LBB45_1772
.LBB45_3821:
	s_movk_i32 s4, 0x80
	v_cmp_eq_u16_sdwa s[12:13], v3, s4 src0_sel:BYTE_0 src1_sel:DWORD
	s_mov_b64 s[4:5], -1
                                        ; implicit-def: $sgpr10
	s_and_saveexec_b64 s[8:9], s[12:13]
; %bb.3822:
	s_mov_b32 s10, 0x7f800001
	s_xor_b64 s[4:5], exec, -1
; %bb.3823:
	s_or_b64 exec, exec, s[8:9]
	s_and_b64 s[4:5], s[4:5], exec
	s_or_saveexec_b64 s[6:7], s[6:7]
	v_mov_b32_e32 v4, s10
	s_xor_b64 exec, exec, s[6:7]
	s_cbranch_execz .LBB45_1774
.LBB45_3824:
	v_mov_b32_e32 v4, 0
	v_cmp_ne_u16_sdwa s[8:9], v3, v4 src0_sel:BYTE_0 src1_sel:DWORD
	s_andn2_b64 s[4:5], s[4:5], exec
	s_and_b64 s[8:9], s[8:9], exec
	s_or_b64 s[4:5], s[4:5], s[8:9]
	s_or_b64 exec, exec, s[6:7]
	s_and_saveexec_b64 s[6:7], s[4:5]
	s_cbranch_execnz .LBB45_1775
	s_branch .LBB45_1776
.LBB45_3825:
	s_movk_i32 s4, 0x80
	v_cmp_eq_u16_e32 vcc, s4, v3
	s_mov_b64 s[4:5], -1
                                        ; implicit-def: $sgpr10
	s_and_saveexec_b64 s[8:9], vcc
; %bb.3826:
	s_mov_b32 s10, 0x7f800001
	s_xor_b64 s[4:5], exec, -1
; %bb.3827:
	s_or_b64 exec, exec, s[8:9]
	s_and_b64 s[4:5], s[4:5], exec
                                        ; implicit-def: $vgpr3
	s_or_saveexec_b64 s[6:7], s[6:7]
	v_mov_b32_e32 v2, s10
	s_xor_b64 exec, exec, s[6:7]
	s_cbranch_execz .LBB45_1778
.LBB45_3828:
	v_cmp_ne_u16_e32 vcc, 0, v3
	s_andn2_b64 s[4:5], s[4:5], exec
	s_and_b64 s[8:9], vcc, exec
	v_mov_b32_e32 v2, 0
	s_or_b64 s[4:5], s[4:5], s[8:9]
	s_or_b64 exec, exec, s[6:7]
	s_and_saveexec_b64 s[6:7], s[4:5]
	s_cbranch_execnz .LBB45_1779
	s_branch .LBB45_1780
.LBB45_3829:
	s_movk_i32 s4, 0x80
	v_cmp_eq_u16_e32 vcc, s4, v3
	s_mov_b64 s[4:5], -1
                                        ; implicit-def: $sgpr10
	s_and_saveexec_b64 s[8:9], vcc
; %bb.3830:
	s_mov_b32 s10, 0x7f800001
	s_xor_b64 s[4:5], exec, -1
; %bb.3831:
	s_or_b64 exec, exec, s[8:9]
	s_and_b64 s[4:5], s[4:5], exec
                                        ; implicit-def: $vgpr3
	s_or_saveexec_b64 s[6:7], s[6:7]
	v_mov_b32_e32 v4, s10
	s_xor_b64 exec, exec, s[6:7]
	s_cbranch_execz .LBB45_1782
.LBB45_3832:
	v_cmp_ne_u16_e32 vcc, 0, v3
	s_andn2_b64 s[4:5], s[4:5], exec
	s_and_b64 s[8:9], vcc, exec
	v_mov_b32_e32 v4, 0
	s_or_b64 s[4:5], s[4:5], s[8:9]
	s_or_b64 exec, exec, s[6:7]
	s_and_saveexec_b64 s[6:7], s[4:5]
	s_cbranch_execnz .LBB45_1783
	s_branch .LBB45_1784
.LBB45_3833:
	s_movk_i32 s4, 0x80
	v_cmp_eq_u16_sdwa s[12:13], v9, s4 src0_sel:BYTE_3 src1_sel:DWORD
	s_mov_b64 s[4:5], -1
                                        ; implicit-def: $sgpr10
	s_and_saveexec_b64 s[8:9], s[12:13]
; %bb.3834:
	s_mov_b32 s10, 0x7f800001
	s_xor_b64 s[4:5], exec, -1
; %bb.3835:
	s_or_b64 exec, exec, s[8:9]
	s_and_b64 s[4:5], s[4:5], exec
	s_or_saveexec_b64 s[6:7], s[6:7]
	v_mov_b32_e32 v2, s10
	s_xor_b64 exec, exec, s[6:7]
	s_cbranch_execz .LBB45_1786
.LBB45_3836:
	v_mov_b32_e32 v2, 0
	v_cmp_ne_u16_sdwa s[8:9], v9, v2 src0_sel:BYTE_3 src1_sel:DWORD
	s_andn2_b64 s[4:5], s[4:5], exec
	s_and_b64 s[8:9], s[8:9], exec
	s_or_b64 s[4:5], s[4:5], s[8:9]
	s_or_b64 exec, exec, s[6:7]
	s_and_saveexec_b64 s[6:7], s[4:5]
	s_cbranch_execnz .LBB45_1787
	s_branch .LBB45_1788
.LBB45_3837:
	s_movk_i32 s4, 0x80
	v_cmp_eq_u16_sdwa s[12:13], v5, s4 src0_sel:BYTE_3 src1_sel:DWORD
	s_mov_b64 s[4:5], -1
                                        ; implicit-def: $sgpr10
	s_and_saveexec_b64 s[8:9], s[12:13]
; %bb.3838:
	s_mov_b32 s10, 0x7f800001
	s_xor_b64 s[4:5], exec, -1
; %bb.3839:
	s_or_b64 exec, exec, s[8:9]
	s_and_b64 s[4:5], s[4:5], exec
	s_or_saveexec_b64 s[6:7], s[6:7]
	v_mov_b32_e32 v3, s10
	s_xor_b64 exec, exec, s[6:7]
	s_cbranch_execz .LBB45_1790
.LBB45_3840:
	v_mov_b32_e32 v3, 0
	v_cmp_ne_u16_sdwa s[8:9], v5, v3 src0_sel:BYTE_3 src1_sel:DWORD
	s_andn2_b64 s[4:5], s[4:5], exec
	s_and_b64 s[8:9], s[8:9], exec
	s_or_b64 s[4:5], s[4:5], s[8:9]
	s_or_b64 exec, exec, s[6:7]
	s_and_saveexec_b64 s[6:7], s[4:5]
	s_cbranch_execnz .LBB45_1791
	s_branch .LBB45_1792
.LBB45_3841:
	s_movk_i32 s4, 0x80
	v_cmp_eq_u16_sdwa s[12:13], v12, s4 src0_sel:BYTE_0 src1_sel:DWORD
	s_mov_b64 s[4:5], -1
                                        ; implicit-def: $sgpr10
	s_and_saveexec_b64 s[8:9], s[12:13]
; %bb.3842:
	s_mov_b32 s10, 0x7f800001
	s_xor_b64 s[4:5], exec, -1
; %bb.3843:
	s_or_b64 exec, exec, s[8:9]
	s_and_b64 s[4:5], s[4:5], exec
	s_or_saveexec_b64 s[6:7], s[6:7]
	v_mov_b32_e32 v18, s10
	s_xor_b64 exec, exec, s[6:7]
	s_cbranch_execz .LBB45_1794
.LBB45_3844:
	v_mov_b32_e32 v18, 0
	v_cmp_ne_u16_sdwa s[8:9], v12, v18 src0_sel:BYTE_0 src1_sel:DWORD
	s_andn2_b64 s[4:5], s[4:5], exec
	s_and_b64 s[8:9], s[8:9], exec
	s_or_b64 s[4:5], s[4:5], s[8:9]
	s_or_b64 exec, exec, s[6:7]
	s_and_saveexec_b64 s[6:7], s[4:5]
	s_cbranch_execnz .LBB45_1795
	s_branch .LBB45_1796
.LBB45_3845:
	s_movk_i32 s4, 0x80
	v_cmp_eq_u16_sdwa s[12:13], v8, s4 src0_sel:BYTE_0 src1_sel:DWORD
	s_mov_b64 s[4:5], -1
                                        ; implicit-def: $sgpr10
	s_and_saveexec_b64 s[8:9], s[12:13]
; %bb.3846:
	s_mov_b32 s10, 0x7f800001
	s_xor_b64 s[4:5], exec, -1
; %bb.3847:
	s_or_b64 exec, exec, s[8:9]
	s_and_b64 s[4:5], s[4:5], exec
	s_or_saveexec_b64 s[6:7], s[6:7]
	v_mov_b32_e32 v19, s10
	s_xor_b64 exec, exec, s[6:7]
	s_cbranch_execz .LBB45_1798
.LBB45_3848:
	v_mov_b32_e32 v19, 0
	v_cmp_ne_u16_sdwa s[8:9], v8, v19 src0_sel:BYTE_0 src1_sel:DWORD
	s_andn2_b64 s[4:5], s[4:5], exec
	s_and_b64 s[8:9], s[8:9], exec
	s_or_b64 s[4:5], s[4:5], s[8:9]
	s_or_b64 exec, exec, s[6:7]
	s_and_saveexec_b64 s[6:7], s[4:5]
	s_cbranch_execnz .LBB45_1799
	s_branch .LBB45_1800
.LBB45_3849:
	s_movk_i32 s4, 0x80
	v_cmp_eq_u16_sdwa s[12:13], v19, s4 src0_sel:BYTE_0 src1_sel:DWORD
	s_mov_b64 s[4:5], -1
                                        ; implicit-def: $sgpr10
	s_and_saveexec_b64 s[8:9], s[12:13]
; %bb.3850:
	s_mov_b32 s10, 0x7f800001
	s_xor_b64 s[4:5], exec, -1
; %bb.3851:
	s_or_b64 exec, exec, s[8:9]
	s_and_b64 s[4:5], s[4:5], exec
	s_or_saveexec_b64 s[6:7], s[6:7]
	v_mov_b32_e32 v18, s10
	s_xor_b64 exec, exec, s[6:7]
	s_cbranch_execz .LBB45_1802
.LBB45_3852:
	v_mov_b32_e32 v18, 0
	v_cmp_ne_u16_sdwa s[8:9], v19, v18 src0_sel:BYTE_0 src1_sel:DWORD
	s_andn2_b64 s[4:5], s[4:5], exec
	s_and_b64 s[8:9], s[8:9], exec
	s_or_b64 s[4:5], s[4:5], s[8:9]
	s_or_b64 exec, exec, s[6:7]
	s_and_saveexec_b64 s[6:7], s[4:5]
	s_cbranch_execnz .LBB45_1803
	s_branch .LBB45_1804
.LBB45_3853:
	s_movk_i32 s4, 0x80
	v_cmp_eq_u16_sdwa s[12:13], v19, s4 src0_sel:BYTE_0 src1_sel:DWORD
	s_mov_b64 s[4:5], -1
                                        ; implicit-def: $sgpr10
	s_and_saveexec_b64 s[8:9], s[12:13]
; %bb.3854:
	s_mov_b32 s10, 0x7f800001
	s_xor_b64 s[4:5], exec, -1
; %bb.3855:
	s_or_b64 exec, exec, s[8:9]
	s_and_b64 s[4:5], s[4:5], exec
	s_or_saveexec_b64 s[6:7], s[6:7]
	v_mov_b32_e32 v20, s10
	s_xor_b64 exec, exec, s[6:7]
	s_cbranch_execz .LBB45_1806
.LBB45_3856:
	v_mov_b32_e32 v20, 0
	v_cmp_ne_u16_sdwa s[8:9], v19, v20 src0_sel:BYTE_0 src1_sel:DWORD
	s_andn2_b64 s[4:5], s[4:5], exec
	s_and_b64 s[8:9], s[8:9], exec
	s_or_b64 s[4:5], s[4:5], s[8:9]
	s_or_b64 exec, exec, s[6:7]
	s_and_saveexec_b64 s[6:7], s[4:5]
	s_cbranch_execnz .LBB45_1807
	s_branch .LBB45_1808
.LBB45_3857:
	s_movk_i32 s4, 0x80
	v_cmp_eq_u16_e32 vcc, s4, v19
	s_mov_b64 s[4:5], -1
                                        ; implicit-def: $sgpr10
	s_and_saveexec_b64 s[8:9], vcc
; %bb.3858:
	s_mov_b32 s10, 0x7f800001
	s_xor_b64 s[4:5], exec, -1
; %bb.3859:
	s_or_b64 exec, exec, s[8:9]
	s_and_b64 s[4:5], s[4:5], exec
                                        ; implicit-def: $vgpr19
	s_or_saveexec_b64 s[6:7], s[6:7]
	v_mov_b32_e32 v18, s10
	s_xor_b64 exec, exec, s[6:7]
	s_cbranch_execz .LBB45_1810
.LBB45_3860:
	v_cmp_ne_u16_e32 vcc, 0, v19
	s_andn2_b64 s[4:5], s[4:5], exec
	s_and_b64 s[8:9], vcc, exec
	v_mov_b32_e32 v18, 0
	s_or_b64 s[4:5], s[4:5], s[8:9]
	s_or_b64 exec, exec, s[6:7]
	s_and_saveexec_b64 s[6:7], s[4:5]
	s_cbranch_execnz .LBB45_1811
	s_branch .LBB45_1812
.LBB45_3861:
	s_movk_i32 s4, 0x80
	v_cmp_eq_u16_e32 vcc, s4, v19
	s_mov_b64 s[4:5], -1
                                        ; implicit-def: $sgpr10
	s_and_saveexec_b64 s[8:9], vcc
; %bb.3862:
	s_mov_b32 s10, 0x7f800001
	s_xor_b64 s[4:5], exec, -1
; %bb.3863:
	s_or_b64 exec, exec, s[8:9]
	s_and_b64 s[4:5], s[4:5], exec
                                        ; implicit-def: $vgpr19
	s_or_saveexec_b64 s[6:7], s[6:7]
	v_mov_b32_e32 v20, s10
	s_xor_b64 exec, exec, s[6:7]
	s_cbranch_execz .LBB45_1814
.LBB45_3864:
	v_cmp_ne_u16_e32 vcc, 0, v19
	s_andn2_b64 s[4:5], s[4:5], exec
	s_and_b64 s[8:9], vcc, exec
	v_mov_b32_e32 v20, 0
	s_or_b64 s[4:5], s[4:5], s[8:9]
	s_or_b64 exec, exec, s[6:7]
	s_and_saveexec_b64 s[6:7], s[4:5]
	s_cbranch_execnz .LBB45_1815
	s_branch .LBB45_1816
.LBB45_3865:
	s_movk_i32 s4, 0x80
	v_cmp_eq_u16_sdwa s[12:13], v12, s4 src0_sel:BYTE_3 src1_sel:DWORD
	s_mov_b64 s[4:5], -1
                                        ; implicit-def: $sgpr10
	s_and_saveexec_b64 s[8:9], s[12:13]
; %bb.3866:
	s_mov_b32 s10, 0x7f800001
	s_xor_b64 s[4:5], exec, -1
; %bb.3867:
	s_or_b64 exec, exec, s[8:9]
	s_and_b64 s[4:5], s[4:5], exec
	s_or_saveexec_b64 s[6:7], s[6:7]
	v_mov_b32_e32 v18, s10
	s_xor_b64 exec, exec, s[6:7]
	s_cbranch_execz .LBB45_1818
.LBB45_3868:
	v_mov_b32_e32 v18, 0
	v_cmp_ne_u16_sdwa s[8:9], v12, v18 src0_sel:BYTE_3 src1_sel:DWORD
	s_andn2_b64 s[4:5], s[4:5], exec
	s_and_b64 s[8:9], s[8:9], exec
	s_or_b64 s[4:5], s[4:5], s[8:9]
	s_or_b64 exec, exec, s[6:7]
	s_and_saveexec_b64 s[6:7], s[4:5]
	s_cbranch_execnz .LBB45_1819
	s_branch .LBB45_1820
.LBB45_3869:
	s_movk_i32 s4, 0x80
	v_cmp_eq_u16_sdwa s[12:13], v8, s4 src0_sel:BYTE_3 src1_sel:DWORD
	s_mov_b64 s[4:5], -1
                                        ; implicit-def: $sgpr10
	s_and_saveexec_b64 s[8:9], s[12:13]
; %bb.3870:
	s_mov_b32 s10, 0x7f800001
	s_xor_b64 s[4:5], exec, -1
; %bb.3871:
	s_or_b64 exec, exec, s[8:9]
	s_and_b64 s[4:5], s[4:5], exec
	s_or_saveexec_b64 s[6:7], s[6:7]
	v_mov_b32_e32 v12, s10
	s_xor_b64 exec, exec, s[6:7]
	s_cbranch_execz .LBB45_1822
.LBB45_3872:
	v_mov_b32_e32 v12, 0
	v_cmp_ne_u16_sdwa s[8:9], v8, v12 src0_sel:BYTE_3 src1_sel:DWORD
	s_andn2_b64 s[4:5], s[4:5], exec
	s_and_b64 s[8:9], s[8:9], exec
	s_or_b64 s[4:5], s[4:5], s[8:9]
	s_or_b64 exec, exec, s[6:7]
	s_and_saveexec_b64 s[6:7], s[4:5]
	s_cbranch_execnz .LBB45_1823
	s_branch .LBB45_1824
.LBB45_3873:
	s_movk_i32 s4, 0x80
	v_cmp_eq_u16_sdwa s[12:13], v13, s4 src0_sel:BYTE_0 src1_sel:DWORD
	s_mov_b64 s[4:5], -1
                                        ; implicit-def: $sgpr10
	s_and_saveexec_b64 s[8:9], s[12:13]
; %bb.3874:
	s_mov_b32 s10, 0x7f800001
	s_xor_b64 s[4:5], exec, -1
; %bb.3875:
	s_or_b64 exec, exec, s[8:9]
	s_and_b64 s[4:5], s[4:5], exec
	s_or_saveexec_b64 s[6:7], s[6:7]
	v_mov_b32_e32 v8, s10
	s_xor_b64 exec, exec, s[6:7]
	s_cbranch_execz .LBB45_1826
.LBB45_3876:
	v_mov_b32_e32 v8, 0
	v_cmp_ne_u16_sdwa s[8:9], v13, v8 src0_sel:BYTE_0 src1_sel:DWORD
	s_andn2_b64 s[4:5], s[4:5], exec
	s_and_b64 s[8:9], s[8:9], exec
	s_or_b64 s[4:5], s[4:5], s[8:9]
	s_or_b64 exec, exec, s[6:7]
	s_and_saveexec_b64 s[6:7], s[4:5]
	s_cbranch_execnz .LBB45_1827
	s_branch .LBB45_1828
.LBB45_3877:
	s_movk_i32 s4, 0x80
	v_cmp_eq_u16_sdwa s[12:13], v9, s4 src0_sel:BYTE_0 src1_sel:DWORD
	s_mov_b64 s[4:5], -1
                                        ; implicit-def: $sgpr10
	s_and_saveexec_b64 s[8:9], s[12:13]
; %bb.3878:
	s_mov_b32 s10, 0x7f800001
	s_xor_b64 s[4:5], exec, -1
; %bb.3879:
	s_or_b64 exec, exec, s[8:9]
	s_and_b64 s[4:5], s[4:5], exec
	s_or_saveexec_b64 s[6:7], s[6:7]
	v_mov_b32_e32 v12, s10
	s_xor_b64 exec, exec, s[6:7]
	s_cbranch_execz .LBB45_1830
.LBB45_3880:
	v_mov_b32_e32 v12, 0
	v_cmp_ne_u16_sdwa s[8:9], v9, v12 src0_sel:BYTE_0 src1_sel:DWORD
	s_andn2_b64 s[4:5], s[4:5], exec
	s_and_b64 s[8:9], s[8:9], exec
	s_or_b64 s[4:5], s[4:5], s[8:9]
	s_or_b64 exec, exec, s[6:7]
	s_and_saveexec_b64 s[6:7], s[4:5]
	s_cbranch_execnz .LBB45_1831
	s_branch .LBB45_1832
.LBB45_3881:
	s_movk_i32 s4, 0x80
	v_cmp_eq_u16_sdwa s[12:13], v12, s4 src0_sel:BYTE_0 src1_sel:DWORD
	s_mov_b64 s[4:5], -1
                                        ; implicit-def: $sgpr10
	s_and_saveexec_b64 s[8:9], s[12:13]
; %bb.3882:
	s_mov_b32 s10, 0x7f800001
	s_xor_b64 s[4:5], exec, -1
; %bb.3883:
	s_or_b64 exec, exec, s[8:9]
	s_and_b64 s[4:5], s[4:5], exec
	s_or_saveexec_b64 s[6:7], s[6:7]
	v_mov_b32_e32 v8, s10
	s_xor_b64 exec, exec, s[6:7]
	s_cbranch_execz .LBB45_1834
.LBB45_3884:
	v_mov_b32_e32 v8, 0
	v_cmp_ne_u16_sdwa s[8:9], v12, v8 src0_sel:BYTE_0 src1_sel:DWORD
	s_andn2_b64 s[4:5], s[4:5], exec
	s_and_b64 s[8:9], s[8:9], exec
	s_or_b64 s[4:5], s[4:5], s[8:9]
	s_or_b64 exec, exec, s[6:7]
	s_and_saveexec_b64 s[6:7], s[4:5]
	s_cbranch_execnz .LBB45_1835
	s_branch .LBB45_1836
.LBB45_3885:
	s_movk_i32 s4, 0x80
	v_cmp_eq_u16_sdwa s[12:13], v12, s4 src0_sel:BYTE_0 src1_sel:DWORD
	s_mov_b64 s[4:5], -1
                                        ; implicit-def: $sgpr10
	s_and_saveexec_b64 s[8:9], s[12:13]
; %bb.3886:
	s_mov_b32 s10, 0x7f800001
	s_xor_b64 s[4:5], exec, -1
; %bb.3887:
	s_or_b64 exec, exec, s[8:9]
	s_and_b64 s[4:5], s[4:5], exec
	s_or_saveexec_b64 s[6:7], s[6:7]
	v_mov_b32_e32 v18, s10
	s_xor_b64 exec, exec, s[6:7]
	s_cbranch_execz .LBB45_1838
.LBB45_3888:
	v_mov_b32_e32 v18, 0
	v_cmp_ne_u16_sdwa s[8:9], v12, v18 src0_sel:BYTE_0 src1_sel:DWORD
	s_andn2_b64 s[4:5], s[4:5], exec
	s_and_b64 s[8:9], s[8:9], exec
	s_or_b64 s[4:5], s[4:5], s[8:9]
	s_or_b64 exec, exec, s[6:7]
	s_and_saveexec_b64 s[6:7], s[4:5]
	s_cbranch_execnz .LBB45_1839
	s_branch .LBB45_1840
.LBB45_3889:
	s_movk_i32 s4, 0x80
	v_cmp_eq_u16_e32 vcc, s4, v12
	s_mov_b64 s[4:5], -1
                                        ; implicit-def: $sgpr10
	s_and_saveexec_b64 s[8:9], vcc
; %bb.3890:
	s_mov_b32 s10, 0x7f800001
	s_xor_b64 s[4:5], exec, -1
; %bb.3891:
	s_or_b64 exec, exec, s[8:9]
	s_and_b64 s[4:5], s[4:5], exec
                                        ; implicit-def: $vgpr12
	s_or_saveexec_b64 s[6:7], s[6:7]
	v_mov_b32_e32 v8, s10
	s_xor_b64 exec, exec, s[6:7]
	s_cbranch_execz .LBB45_1842
.LBB45_3892:
	v_cmp_ne_u16_e32 vcc, 0, v12
	s_andn2_b64 s[4:5], s[4:5], exec
	s_and_b64 s[8:9], vcc, exec
	v_mov_b32_e32 v8, 0
	s_or_b64 s[4:5], s[4:5], s[8:9]
	s_or_b64 exec, exec, s[6:7]
	s_and_saveexec_b64 s[6:7], s[4:5]
	s_cbranch_execnz .LBB45_1843
	s_branch .LBB45_1844
.LBB45_3893:
	s_movk_i32 s4, 0x80
	v_cmp_eq_u16_e32 vcc, s4, v12
	s_mov_b64 s[4:5], -1
                                        ; implicit-def: $sgpr10
	s_and_saveexec_b64 s[8:9], vcc
; %bb.3894:
	s_mov_b32 s10, 0x7f800001
	s_xor_b64 s[4:5], exec, -1
; %bb.3895:
	s_or_b64 exec, exec, s[8:9]
	s_and_b64 s[4:5], s[4:5], exec
                                        ; implicit-def: $vgpr12
	s_or_saveexec_b64 s[6:7], s[6:7]
	v_mov_b32_e32 v18, s10
	s_xor_b64 exec, exec, s[6:7]
	s_cbranch_execz .LBB45_1846
.LBB45_3896:
	v_cmp_ne_u16_e32 vcc, 0, v12
	s_andn2_b64 s[4:5], s[4:5], exec
	s_and_b64 s[8:9], vcc, exec
	v_mov_b32_e32 v18, 0
	s_or_b64 s[4:5], s[4:5], s[8:9]
	s_or_b64 exec, exec, s[6:7]
	s_and_saveexec_b64 s[6:7], s[4:5]
	s_cbranch_execnz .LBB45_1847
	s_branch .LBB45_1848
.LBB45_3897:
	s_movk_i32 s4, 0x80
	v_cmp_eq_u16_sdwa s[12:13], v13, s4 src0_sel:BYTE_3 src1_sel:DWORD
	s_mov_b64 s[4:5], -1
                                        ; implicit-def: $sgpr10
	s_and_saveexec_b64 s[8:9], s[12:13]
; %bb.3898:
	s_mov_b32 s10, 0x7f800001
	s_xor_b64 s[4:5], exec, -1
; %bb.3899:
	s_or_b64 exec, exec, s[8:9]
	s_and_b64 s[4:5], s[4:5], exec
	s_or_saveexec_b64 s[6:7], s[6:7]
	v_mov_b32_e32 v8, s10
	s_xor_b64 exec, exec, s[6:7]
	s_cbranch_execz .LBB45_1850
.LBB45_3900:
	v_mov_b32_e32 v8, 0
	v_cmp_ne_u16_sdwa s[8:9], v13, v8 src0_sel:BYTE_3 src1_sel:DWORD
	s_andn2_b64 s[4:5], s[4:5], exec
	s_and_b64 s[8:9], s[8:9], exec
	s_or_b64 s[4:5], s[4:5], s[8:9]
	s_or_b64 exec, exec, s[6:7]
	s_and_saveexec_b64 s[6:7], s[4:5]
	s_cbranch_execnz .LBB45_1851
	s_branch .LBB45_1852
.LBB45_3901:
	s_movk_i32 s4, 0x80
	v_cmp_eq_u16_sdwa s[12:13], v9, s4 src0_sel:BYTE_3 src1_sel:DWORD
	s_mov_b64 s[4:5], -1
                                        ; implicit-def: $sgpr10
	s_and_saveexec_b64 s[8:9], s[12:13]
; %bb.3902:
	s_mov_b32 s10, 0x7f800001
	s_xor_b64 s[4:5], exec, -1
; %bb.3903:
	s_or_b64 exec, exec, s[8:9]
	s_and_b64 s[4:5], s[4:5], exec
	s_or_saveexec_b64 s[6:7], s[6:7]
	v_mov_b32_e32 v12, s10
	s_xor_b64 exec, exec, s[6:7]
	s_cbranch_execz .LBB45_1854
.LBB45_3904:
	v_mov_b32_e32 v12, 0
	v_cmp_ne_u16_sdwa s[8:9], v9, v12 src0_sel:BYTE_3 src1_sel:DWORD
	s_andn2_b64 s[4:5], s[4:5], exec
	s_and_b64 s[8:9], s[8:9], exec
	s_or_b64 s[4:5], s[4:5], s[8:9]
	s_or_b64 exec, exec, s[6:7]
	s_and_saveexec_b64 s[6:7], s[4:5]
	s_cbranch_execnz .LBB45_1855
	s_branch .LBB45_1856
.LBB45_3905:
	s_movk_i32 s4, 0x80
	v_cmp_eq_u16_sdwa s[12:13], v14, s4 src0_sel:BYTE_0 src1_sel:DWORD
	s_mov_b64 s[4:5], -1
                                        ; implicit-def: $sgpr10
	s_and_saveexec_b64 s[8:9], s[12:13]
; %bb.3906:
	s_mov_b32 s10, 0x7f800001
	s_xor_b64 s[4:5], exec, -1
; %bb.3907:
	s_or_b64 exec, exec, s[8:9]
	s_and_b64 s[4:5], s[4:5], exec
	s_or_saveexec_b64 s[6:7], s[6:7]
	v_mov_b32_e32 v8, s10
	s_xor_b64 exec, exec, s[6:7]
	s_cbranch_execz .LBB45_1858
.LBB45_3908:
	v_mov_b32_e32 v8, 0
	v_cmp_ne_u16_sdwa s[8:9], v14, v8 src0_sel:BYTE_0 src1_sel:DWORD
	s_andn2_b64 s[4:5], s[4:5], exec
	s_and_b64 s[8:9], s[8:9], exec
	s_or_b64 s[4:5], s[4:5], s[8:9]
	s_or_b64 exec, exec, s[6:7]
	s_and_saveexec_b64 s[6:7], s[4:5]
	s_cbranch_execnz .LBB45_1859
	s_branch .LBB45_1860
.LBB45_3909:
	s_movk_i32 s4, 0x80
	v_cmp_eq_u16_sdwa s[12:13], v10, s4 src0_sel:BYTE_0 src1_sel:DWORD
	s_mov_b64 s[4:5], -1
                                        ; implicit-def: $sgpr10
	s_and_saveexec_b64 s[8:9], s[12:13]
; %bb.3910:
	s_mov_b32 s10, 0x7f800001
	s_xor_b64 s[4:5], exec, -1
; %bb.3911:
	s_or_b64 exec, exec, s[8:9]
	s_and_b64 s[4:5], s[4:5], exec
	s_or_saveexec_b64 s[6:7], s[6:7]
	v_mov_b32_e32 v9, s10
	s_xor_b64 exec, exec, s[6:7]
	s_cbranch_execz .LBB45_1862
.LBB45_3912:
	v_mov_b32_e32 v9, 0
	v_cmp_ne_u16_sdwa s[8:9], v10, v9 src0_sel:BYTE_0 src1_sel:DWORD
	s_andn2_b64 s[4:5], s[4:5], exec
	s_and_b64 s[8:9], s[8:9], exec
	s_or_b64 s[4:5], s[4:5], s[8:9]
	s_or_b64 exec, exec, s[6:7]
	s_and_saveexec_b64 s[6:7], s[4:5]
	s_cbranch_execnz .LBB45_1863
	s_branch .LBB45_1864
.LBB45_3913:
	s_movk_i32 s4, 0x80
	v_cmp_eq_u16_sdwa s[12:13], v9, s4 src0_sel:BYTE_0 src1_sel:DWORD
	s_mov_b64 s[4:5], -1
                                        ; implicit-def: $sgpr10
	s_and_saveexec_b64 s[8:9], s[12:13]
; %bb.3914:
	s_mov_b32 s10, 0x7f800001
	s_xor_b64 s[4:5], exec, -1
; %bb.3915:
	s_or_b64 exec, exec, s[8:9]
	s_and_b64 s[4:5], s[4:5], exec
	s_or_saveexec_b64 s[6:7], s[6:7]
	v_mov_b32_e32 v8, s10
	s_xor_b64 exec, exec, s[6:7]
	s_cbranch_execz .LBB45_1866
.LBB45_3916:
	v_mov_b32_e32 v8, 0
	v_cmp_ne_u16_sdwa s[8:9], v9, v8 src0_sel:BYTE_0 src1_sel:DWORD
	s_andn2_b64 s[4:5], s[4:5], exec
	s_and_b64 s[8:9], s[8:9], exec
	s_or_b64 s[4:5], s[4:5], s[8:9]
	s_or_b64 exec, exec, s[6:7]
	s_and_saveexec_b64 s[6:7], s[4:5]
	s_cbranch_execnz .LBB45_1867
	s_branch .LBB45_1868
.LBB45_3917:
	s_movk_i32 s4, 0x80
	v_cmp_eq_u16_sdwa s[12:13], v9, s4 src0_sel:BYTE_0 src1_sel:DWORD
	s_mov_b64 s[4:5], -1
                                        ; implicit-def: $sgpr10
	s_and_saveexec_b64 s[8:9], s[12:13]
; %bb.3918:
	s_mov_b32 s10, 0x7f800001
	s_xor_b64 s[4:5], exec, -1
; %bb.3919:
	s_or_b64 exec, exec, s[8:9]
	s_and_b64 s[4:5], s[4:5], exec
	s_or_saveexec_b64 s[6:7], s[6:7]
	v_mov_b32_e32 v12, s10
	s_xor_b64 exec, exec, s[6:7]
	s_cbranch_execz .LBB45_1870
.LBB45_3920:
	v_mov_b32_e32 v12, 0
	v_cmp_ne_u16_sdwa s[8:9], v9, v12 src0_sel:BYTE_0 src1_sel:DWORD
	s_andn2_b64 s[4:5], s[4:5], exec
	s_and_b64 s[8:9], s[8:9], exec
	s_or_b64 s[4:5], s[4:5], s[8:9]
	s_or_b64 exec, exec, s[6:7]
	s_and_saveexec_b64 s[6:7], s[4:5]
	s_cbranch_execnz .LBB45_1871
	s_branch .LBB45_1872
.LBB45_3921:
	s_movk_i32 s4, 0x80
	v_cmp_eq_u16_e32 vcc, s4, v9
	s_mov_b64 s[4:5], -1
                                        ; implicit-def: $sgpr10
	s_and_saveexec_b64 s[8:9], vcc
; %bb.3922:
	s_mov_b32 s10, 0x7f800001
	s_xor_b64 s[4:5], exec, -1
; %bb.3923:
	s_or_b64 exec, exec, s[8:9]
	s_and_b64 s[4:5], s[4:5], exec
                                        ; implicit-def: $vgpr9
	s_or_saveexec_b64 s[6:7], s[6:7]
	v_mov_b32_e32 v8, s10
	s_xor_b64 exec, exec, s[6:7]
	s_cbranch_execz .LBB45_1874
.LBB45_3924:
	v_cmp_ne_u16_e32 vcc, 0, v9
	s_andn2_b64 s[4:5], s[4:5], exec
	s_and_b64 s[8:9], vcc, exec
	v_mov_b32_e32 v8, 0
	s_or_b64 s[4:5], s[4:5], s[8:9]
	s_or_b64 exec, exec, s[6:7]
	s_and_saveexec_b64 s[6:7], s[4:5]
	s_cbranch_execnz .LBB45_1875
	s_branch .LBB45_1876
.LBB45_3925:
	s_movk_i32 s4, 0x80
	v_cmp_eq_u16_e32 vcc, s4, v9
	s_mov_b64 s[4:5], -1
                                        ; implicit-def: $sgpr10
	s_and_saveexec_b64 s[8:9], vcc
; %bb.3926:
	s_mov_b32 s10, 0x7f800001
	s_xor_b64 s[4:5], exec, -1
; %bb.3927:
	s_or_b64 exec, exec, s[8:9]
	s_and_b64 s[4:5], s[4:5], exec
                                        ; implicit-def: $vgpr9
	s_or_saveexec_b64 s[6:7], s[6:7]
	v_mov_b32_e32 v12, s10
	s_xor_b64 exec, exec, s[6:7]
	s_cbranch_execz .LBB45_1878
.LBB45_3928:
	v_cmp_ne_u16_e32 vcc, 0, v9
	s_andn2_b64 s[4:5], s[4:5], exec
	s_and_b64 s[8:9], vcc, exec
	v_mov_b32_e32 v12, 0
	s_or_b64 s[4:5], s[4:5], s[8:9]
	s_or_b64 exec, exec, s[6:7]
	s_and_saveexec_b64 s[6:7], s[4:5]
	s_cbranch_execnz .LBB45_1879
	s_branch .LBB45_1880
.LBB45_3929:
	s_movk_i32 s4, 0x80
	v_cmp_eq_u16_sdwa s[12:13], v14, s4 src0_sel:BYTE_3 src1_sel:DWORD
	s_mov_b64 s[4:5], -1
                                        ; implicit-def: $sgpr10
	s_and_saveexec_b64 s[8:9], s[12:13]
; %bb.3930:
	s_mov_b32 s10, 0x7f800001
	s_xor_b64 s[4:5], exec, -1
; %bb.3931:
	s_or_b64 exec, exec, s[8:9]
	s_and_b64 s[4:5], s[4:5], exec
	s_or_saveexec_b64 s[6:7], s[6:7]
	v_mov_b32_e32 v8, s10
	s_xor_b64 exec, exec, s[6:7]
	s_cbranch_execz .LBB45_1882
.LBB45_3932:
	v_mov_b32_e32 v8, 0
	v_cmp_ne_u16_sdwa s[8:9], v14, v8 src0_sel:BYTE_3 src1_sel:DWORD
	s_andn2_b64 s[4:5], s[4:5], exec
	s_and_b64 s[8:9], s[8:9], exec
	s_or_b64 s[4:5], s[4:5], s[8:9]
	s_or_b64 exec, exec, s[6:7]
	s_and_saveexec_b64 s[6:7], s[4:5]
	s_cbranch_execnz .LBB45_1883
	s_branch .LBB45_1884
.LBB45_3933:
	s_movk_i32 s4, 0x80
	v_cmp_eq_u16_sdwa s[12:13], v10, s4 src0_sel:BYTE_3 src1_sel:DWORD
	s_mov_b64 s[4:5], -1
                                        ; implicit-def: $sgpr10
	s_and_saveexec_b64 s[8:9], s[12:13]
; %bb.3934:
	s_mov_b32 s10, 0x7f800001
	s_xor_b64 s[4:5], exec, -1
; %bb.3935:
	s_or_b64 exec, exec, s[8:9]
	s_and_b64 s[4:5], s[4:5], exec
	s_or_saveexec_b64 s[6:7], s[6:7]
	v_mov_b32_e32 v9, s10
	s_xor_b64 exec, exec, s[6:7]
	s_cbranch_execz .LBB45_1886
.LBB45_3936:
	v_mov_b32_e32 v9, 0
	v_cmp_ne_u16_sdwa s[8:9], v10, v9 src0_sel:BYTE_3 src1_sel:DWORD
	s_andn2_b64 s[4:5], s[4:5], exec
	s_and_b64 s[8:9], s[8:9], exec
	s_or_b64 s[4:5], s[4:5], s[8:9]
	s_or_b64 exec, exec, s[6:7]
	s_and_saveexec_b64 s[6:7], s[4:5]
	s_cbranch_execnz .LBB45_1887
	s_branch .LBB45_1888
.LBB45_3937:
	s_movk_i32 s4, 0x80
	v_cmp_eq_u16_sdwa s[12:13], v15, s4 src0_sel:BYTE_0 src1_sel:DWORD
	s_mov_b64 s[4:5], -1
                                        ; implicit-def: $sgpr10
	s_and_saveexec_b64 s[8:9], s[12:13]
; %bb.3938:
	s_mov_b32 s10, 0x7f800001
	s_xor_b64 s[4:5], exec, -1
; %bb.3939:
	s_or_b64 exec, exec, s[8:9]
	s_and_b64 s[4:5], s[4:5], exec
	s_or_saveexec_b64 s[6:7], s[6:7]
	v_mov_b32_e32 v8, s10
	s_xor_b64 exec, exec, s[6:7]
	s_cbranch_execz .LBB45_1890
.LBB45_3940:
	v_mov_b32_e32 v8, 0
	v_cmp_ne_u16_sdwa s[8:9], v15, v8 src0_sel:BYTE_0 src1_sel:DWORD
	s_andn2_b64 s[4:5], s[4:5], exec
	s_and_b64 s[8:9], s[8:9], exec
	s_or_b64 s[4:5], s[4:5], s[8:9]
	s_or_b64 exec, exec, s[6:7]
	s_and_saveexec_b64 s[6:7], s[4:5]
	s_cbranch_execnz .LBB45_1891
	s_branch .LBB45_1892
.LBB45_3941:
	s_movk_i32 s4, 0x80
	v_cmp_eq_u16_sdwa s[12:13], v11, s4 src0_sel:BYTE_0 src1_sel:DWORD
	s_mov_b64 s[4:5], -1
                                        ; implicit-def: $sgpr10
	s_and_saveexec_b64 s[8:9], s[12:13]
; %bb.3942:
	s_mov_b32 s10, 0x7f800001
	s_xor_b64 s[4:5], exec, -1
; %bb.3943:
	s_or_b64 exec, exec, s[8:9]
	s_and_b64 s[4:5], s[4:5], exec
	s_or_saveexec_b64 s[6:7], s[6:7]
	v_mov_b32_e32 v9, s10
	s_xor_b64 exec, exec, s[6:7]
	s_cbranch_execz .LBB45_1894
.LBB45_3944:
	v_mov_b32_e32 v9, 0
	v_cmp_ne_u16_sdwa s[8:9], v11, v9 src0_sel:BYTE_0 src1_sel:DWORD
	s_andn2_b64 s[4:5], s[4:5], exec
	s_and_b64 s[8:9], s[8:9], exec
	s_or_b64 s[4:5], s[4:5], s[8:9]
	s_or_b64 exec, exec, s[6:7]
	s_and_saveexec_b64 s[6:7], s[4:5]
	s_cbranch_execnz .LBB45_1895
	s_branch .LBB45_1896
.LBB45_3945:
	s_movk_i32 s4, 0x80
	v_cmp_eq_u16_sdwa s[12:13], v9, s4 src0_sel:BYTE_0 src1_sel:DWORD
	s_mov_b64 s[4:5], -1
                                        ; implicit-def: $sgpr10
	s_and_saveexec_b64 s[8:9], s[12:13]
; %bb.3946:
	s_mov_b32 s10, 0x7f800001
	s_xor_b64 s[4:5], exec, -1
; %bb.3947:
	s_or_b64 exec, exec, s[8:9]
	s_and_b64 s[4:5], s[4:5], exec
	s_or_saveexec_b64 s[6:7], s[6:7]
	v_mov_b32_e32 v8, s10
	s_xor_b64 exec, exec, s[6:7]
	s_cbranch_execz .LBB45_1898
.LBB45_3948:
	v_mov_b32_e32 v8, 0
	v_cmp_ne_u16_sdwa s[8:9], v9, v8 src0_sel:BYTE_0 src1_sel:DWORD
	s_andn2_b64 s[4:5], s[4:5], exec
	s_and_b64 s[8:9], s[8:9], exec
	s_or_b64 s[4:5], s[4:5], s[8:9]
	s_or_b64 exec, exec, s[6:7]
	s_and_saveexec_b64 s[6:7], s[4:5]
	s_cbranch_execnz .LBB45_1899
	s_branch .LBB45_1900
.LBB45_3949:
	s_movk_i32 s4, 0x80
	v_cmp_eq_u16_sdwa s[12:13], v9, s4 src0_sel:BYTE_0 src1_sel:DWORD
	s_mov_b64 s[4:5], -1
                                        ; implicit-def: $sgpr10
	s_and_saveexec_b64 s[8:9], s[12:13]
; %bb.3950:
	s_mov_b32 s10, 0x7f800001
	s_xor_b64 s[4:5], exec, -1
; %bb.3951:
	s_or_b64 exec, exec, s[8:9]
	s_and_b64 s[4:5], s[4:5], exec
	s_or_saveexec_b64 s[6:7], s[6:7]
	v_mov_b32_e32 v10, s10
	s_xor_b64 exec, exec, s[6:7]
	s_cbranch_execz .LBB45_1902
.LBB45_3952:
	v_mov_b32_e32 v10, 0
	v_cmp_ne_u16_sdwa s[8:9], v9, v10 src0_sel:BYTE_0 src1_sel:DWORD
	s_andn2_b64 s[4:5], s[4:5], exec
	s_and_b64 s[8:9], s[8:9], exec
	s_or_b64 s[4:5], s[4:5], s[8:9]
	s_or_b64 exec, exec, s[6:7]
	s_and_saveexec_b64 s[6:7], s[4:5]
	s_cbranch_execnz .LBB45_1903
	s_branch .LBB45_1904
.LBB45_3953:
	s_movk_i32 s4, 0x80
	v_cmp_eq_u16_e32 vcc, s4, v9
	s_mov_b64 s[4:5], -1
                                        ; implicit-def: $sgpr10
	s_and_saveexec_b64 s[8:9], vcc
; %bb.3954:
	s_mov_b32 s10, 0x7f800001
	s_xor_b64 s[4:5], exec, -1
; %bb.3955:
	s_or_b64 exec, exec, s[8:9]
	s_and_b64 s[4:5], s[4:5], exec
                                        ; implicit-def: $vgpr9
	s_or_saveexec_b64 s[6:7], s[6:7]
	v_mov_b32_e32 v8, s10
	s_xor_b64 exec, exec, s[6:7]
	s_cbranch_execz .LBB45_1906
.LBB45_3956:
	v_cmp_ne_u16_e32 vcc, 0, v9
	s_andn2_b64 s[4:5], s[4:5], exec
	s_and_b64 s[8:9], vcc, exec
	v_mov_b32_e32 v8, 0
	s_or_b64 s[4:5], s[4:5], s[8:9]
	s_or_b64 exec, exec, s[6:7]
	s_and_saveexec_b64 s[6:7], s[4:5]
	s_cbranch_execnz .LBB45_1907
	s_branch .LBB45_1908
.LBB45_3957:
	s_movk_i32 s4, 0x80
	v_cmp_eq_u16_e32 vcc, s4, v9
	s_mov_b64 s[4:5], -1
                                        ; implicit-def: $sgpr10
	s_and_saveexec_b64 s[8:9], vcc
; %bb.3958:
	s_mov_b32 s10, 0x7f800001
	s_xor_b64 s[4:5], exec, -1
; %bb.3959:
	s_or_b64 exec, exec, s[8:9]
	s_and_b64 s[4:5], s[4:5], exec
                                        ; implicit-def: $vgpr9
	s_or_saveexec_b64 s[6:7], s[6:7]
	v_mov_b32_e32 v10, s10
	s_xor_b64 exec, exec, s[6:7]
	s_cbranch_execz .LBB45_1910
.LBB45_3960:
	v_cmp_ne_u16_e32 vcc, 0, v9
	s_andn2_b64 s[4:5], s[4:5], exec
	s_and_b64 s[8:9], vcc, exec
	v_mov_b32_e32 v10, 0
	s_or_b64 s[4:5], s[4:5], s[8:9]
	s_or_b64 exec, exec, s[6:7]
	s_and_saveexec_b64 s[6:7], s[4:5]
	s_cbranch_execnz .LBB45_1911
	s_branch .LBB45_1912
.LBB45_3961:
	s_movk_i32 s4, 0x80
	v_cmp_eq_u16_sdwa s[12:13], v15, s4 src0_sel:BYTE_3 src1_sel:DWORD
	s_mov_b64 s[4:5], -1
                                        ; implicit-def: $sgpr10
	s_and_saveexec_b64 s[8:9], s[12:13]
; %bb.3962:
	s_mov_b32 s10, 0x7f800001
	s_xor_b64 s[4:5], exec, -1
; %bb.3963:
	s_or_b64 exec, exec, s[8:9]
	s_and_b64 s[4:5], s[4:5], exec
	s_or_saveexec_b64 s[6:7], s[6:7]
	v_mov_b32_e32 v8, s10
	s_xor_b64 exec, exec, s[6:7]
	s_cbranch_execz .LBB45_1914
.LBB45_3964:
	v_mov_b32_e32 v8, 0
	v_cmp_ne_u16_sdwa s[8:9], v15, v8 src0_sel:BYTE_3 src1_sel:DWORD
	s_andn2_b64 s[4:5], s[4:5], exec
	s_and_b64 s[8:9], s[8:9], exec
	s_or_b64 s[4:5], s[4:5], s[8:9]
	s_or_b64 exec, exec, s[6:7]
	s_and_saveexec_b64 s[6:7], s[4:5]
	s_cbranch_execnz .LBB45_1915
	s_branch .LBB45_1916
.LBB45_3965:
	s_movk_i32 s4, 0x80
	v_cmp_eq_u16_sdwa s[12:13], v11, s4 src0_sel:BYTE_3 src1_sel:DWORD
	s_mov_b64 s[4:5], -1
                                        ; implicit-def: $sgpr10
	s_and_saveexec_b64 s[8:9], s[12:13]
; %bb.3966:
	s_mov_b32 s10, 0x7f800001
	s_xor_b64 s[4:5], exec, -1
; %bb.3967:
	s_or_b64 exec, exec, s[8:9]
	s_and_b64 s[4:5], s[4:5], exec
	s_or_saveexec_b64 s[6:7], s[6:7]
	v_mov_b32_e32 v9, s10
	s_xor_b64 exec, exec, s[6:7]
	s_cbranch_execz .LBB45_1918
.LBB45_3968:
	v_mov_b32_e32 v9, 0
	v_cmp_ne_u16_sdwa s[8:9], v11, v9 src0_sel:BYTE_3 src1_sel:DWORD
	s_andn2_b64 s[4:5], s[4:5], exec
	s_and_b64 s[8:9], s[8:9], exec
	s_or_b64 s[4:5], s[4:5], s[8:9]
	s_or_b64 exec, exec, s[6:7]
	s_and_saveexec_b64 s[6:7], s[4:5]
	s_cbranch_execnz .LBB45_1919
	s_branch .LBB45_1920
.LBB45_3969:
	s_movk_i32 s4, 0x80
	v_cmp_eq_u16_sdwa s[12:13], v4, s4 src0_sel:BYTE_0 src1_sel:DWORD
	s_mov_b64 s[4:5], -1
                                        ; implicit-def: $sgpr10
	s_and_saveexec_b64 s[8:9], s[12:13]
; %bb.3970:
	s_mov_b32 s10, 0x7f800001
	s_xor_b64 s[4:5], exec, -1
; %bb.3971:
	s_or_b64 exec, exec, s[8:9]
	s_and_b64 s[4:5], s[4:5], exec
	s_or_saveexec_b64 s[6:7], s[6:7]
	v_mov_b32_e32 v8, s10
	s_xor_b64 exec, exec, s[6:7]
	s_cbranch_execz .LBB45_1922
.LBB45_3972:
	v_mov_b32_e32 v8, 0
	v_cmp_ne_u16_sdwa s[8:9], v4, v8 src0_sel:BYTE_0 src1_sel:DWORD
	s_andn2_b64 s[4:5], s[4:5], exec
	s_and_b64 s[8:9], s[8:9], exec
	s_or_b64 s[4:5], s[4:5], s[8:9]
	s_or_b64 exec, exec, s[6:7]
	s_and_saveexec_b64 s[6:7], s[4:5]
	s_cbranch_execnz .LBB45_1923
	s_branch .LBB45_1924
.LBB45_3973:
	s_movk_i32 s4, 0x80
	v_cmp_eq_u16_sdwa s[12:13], v0, s4 src0_sel:BYTE_0 src1_sel:DWORD
	s_mov_b64 s[4:5], -1
                                        ; implicit-def: $sgpr10
	s_and_saveexec_b64 s[8:9], s[12:13]
; %bb.3974:
	s_mov_b32 s10, 0x7f800001
	s_xor_b64 s[4:5], exec, -1
; %bb.3975:
	s_or_b64 exec, exec, s[8:9]
	s_and_b64 s[4:5], s[4:5], exec
	s_or_saveexec_b64 s[6:7], s[6:7]
	v_mov_b32_e32 v9, s10
	s_xor_b64 exec, exec, s[6:7]
	s_cbranch_execz .LBB45_1926
.LBB45_3976:
	v_mov_b32_e32 v9, 0
	v_cmp_ne_u16_sdwa s[8:9], v0, v9 src0_sel:BYTE_0 src1_sel:DWORD
	s_andn2_b64 s[4:5], s[4:5], exec
	s_and_b64 s[8:9], s[8:9], exec
	s_or_b64 s[4:5], s[4:5], s[8:9]
	s_or_b64 exec, exec, s[6:7]
	s_and_saveexec_b64 s[6:7], s[4:5]
	s_cbranch_execnz .LBB45_1927
	s_branch .LBB45_1928
.LBB45_3977:
	s_movk_i32 s4, 0x80
	v_cmp_eq_u16_sdwa s[12:13], v9, s4 src0_sel:BYTE_0 src1_sel:DWORD
	s_mov_b64 s[4:5], -1
                                        ; implicit-def: $sgpr10
	s_and_saveexec_b64 s[8:9], s[12:13]
; %bb.3978:
	s_mov_b32 s10, 0x7f800001
	s_xor_b64 s[4:5], exec, -1
; %bb.3979:
	s_or_b64 exec, exec, s[8:9]
	s_and_b64 s[4:5], s[4:5], exec
	s_or_saveexec_b64 s[6:7], s[6:7]
	v_mov_b32_e32 v8, s10
	s_xor_b64 exec, exec, s[6:7]
	s_cbranch_execz .LBB45_1930
.LBB45_3980:
	v_mov_b32_e32 v8, 0
	v_cmp_ne_u16_sdwa s[8:9], v9, v8 src0_sel:BYTE_0 src1_sel:DWORD
	s_andn2_b64 s[4:5], s[4:5], exec
	s_and_b64 s[8:9], s[8:9], exec
	s_or_b64 s[4:5], s[4:5], s[8:9]
	s_or_b64 exec, exec, s[6:7]
	s_and_saveexec_b64 s[6:7], s[4:5]
	s_cbranch_execnz .LBB45_1931
	s_branch .LBB45_1932
.LBB45_3981:
	s_movk_i32 s4, 0x80
	v_cmp_eq_u16_sdwa s[12:13], v9, s4 src0_sel:BYTE_0 src1_sel:DWORD
	s_mov_b64 s[4:5], -1
                                        ; implicit-def: $sgpr10
	s_and_saveexec_b64 s[8:9], s[12:13]
; %bb.3982:
	s_mov_b32 s10, 0x7f800001
	s_xor_b64 s[4:5], exec, -1
; %bb.3983:
	s_or_b64 exec, exec, s[8:9]
	s_and_b64 s[4:5], s[4:5], exec
	s_or_saveexec_b64 s[6:7], s[6:7]
	v_mov_b32_e32 v10, s10
	s_xor_b64 exec, exec, s[6:7]
	s_cbranch_execz .LBB45_1934
.LBB45_3984:
	v_mov_b32_e32 v10, 0
	v_cmp_ne_u16_sdwa s[8:9], v9, v10 src0_sel:BYTE_0 src1_sel:DWORD
	s_andn2_b64 s[4:5], s[4:5], exec
	s_and_b64 s[8:9], s[8:9], exec
	s_or_b64 s[4:5], s[4:5], s[8:9]
	s_or_b64 exec, exec, s[6:7]
	s_and_saveexec_b64 s[6:7], s[4:5]
	s_cbranch_execnz .LBB45_1935
	s_branch .LBB45_1936
.LBB45_3985:
	s_movk_i32 s4, 0x80
	v_cmp_eq_u16_e32 vcc, s4, v9
	s_mov_b64 s[4:5], -1
                                        ; implicit-def: $sgpr10
	s_and_saveexec_b64 s[8:9], vcc
; %bb.3986:
	s_mov_b32 s10, 0x7f800001
	s_xor_b64 s[4:5], exec, -1
; %bb.3987:
	s_or_b64 exec, exec, s[8:9]
	s_and_b64 s[4:5], s[4:5], exec
                                        ; implicit-def: $vgpr9
	s_or_saveexec_b64 s[6:7], s[6:7]
	v_mov_b32_e32 v8, s10
	s_xor_b64 exec, exec, s[6:7]
	s_cbranch_execz .LBB45_1938
.LBB45_3988:
	v_cmp_ne_u16_e32 vcc, 0, v9
	s_andn2_b64 s[4:5], s[4:5], exec
	s_and_b64 s[8:9], vcc, exec
	v_mov_b32_e32 v8, 0
	s_or_b64 s[4:5], s[4:5], s[8:9]
	s_or_b64 exec, exec, s[6:7]
	s_and_saveexec_b64 s[6:7], s[4:5]
	s_cbranch_execnz .LBB45_1939
	s_branch .LBB45_1940
.LBB45_3989:
	s_movk_i32 s4, 0x80
	v_cmp_eq_u16_e32 vcc, s4, v9
	s_mov_b64 s[4:5], -1
                                        ; implicit-def: $sgpr10
	s_and_saveexec_b64 s[8:9], vcc
; %bb.3990:
	s_mov_b32 s10, 0x7f800001
	s_xor_b64 s[4:5], exec, -1
; %bb.3991:
	s_or_b64 exec, exec, s[8:9]
	s_and_b64 s[4:5], s[4:5], exec
                                        ; implicit-def: $vgpr9
	s_or_saveexec_b64 s[6:7], s[6:7]
	v_mov_b32_e32 v10, s10
	s_xor_b64 exec, exec, s[6:7]
	s_cbranch_execz .LBB45_1942
.LBB45_3992:
	v_cmp_ne_u16_e32 vcc, 0, v9
	s_andn2_b64 s[4:5], s[4:5], exec
	s_and_b64 s[8:9], vcc, exec
	v_mov_b32_e32 v10, 0
	s_or_b64 s[4:5], s[4:5], s[8:9]
	s_or_b64 exec, exec, s[6:7]
	s_and_saveexec_b64 s[6:7], s[4:5]
	s_cbranch_execnz .LBB45_1943
	s_branch .LBB45_1944
.LBB45_3993:
	s_movk_i32 s4, 0x80
	v_cmp_eq_u16_sdwa s[12:13], v4, s4 src0_sel:BYTE_3 src1_sel:DWORD
	s_mov_b64 s[4:5], -1
                                        ; implicit-def: $sgpr10
	s_and_saveexec_b64 s[8:9], s[12:13]
; %bb.3994:
	s_mov_b32 s10, 0x7f800001
	s_xor_b64 s[4:5], exec, -1
; %bb.3995:
	s_or_b64 exec, exec, s[8:9]
	s_and_b64 s[4:5], s[4:5], exec
	s_or_saveexec_b64 s[6:7], s[6:7]
	v_mov_b32_e32 v8, s10
	s_xor_b64 exec, exec, s[6:7]
	s_cbranch_execz .LBB45_1946
.LBB45_3996:
	v_mov_b32_e32 v8, 0
	v_cmp_ne_u16_sdwa s[8:9], v4, v8 src0_sel:BYTE_3 src1_sel:DWORD
	s_andn2_b64 s[4:5], s[4:5], exec
	s_and_b64 s[8:9], s[8:9], exec
	s_or_b64 s[4:5], s[4:5], s[8:9]
	s_or_b64 exec, exec, s[6:7]
	s_and_saveexec_b64 s[6:7], s[4:5]
	s_cbranch_execnz .LBB45_1947
	s_branch .LBB45_1948
.LBB45_3997:
	s_movk_i32 s4, 0x80
	v_cmp_eq_u16_sdwa s[12:13], v0, s4 src0_sel:BYTE_3 src1_sel:DWORD
	s_mov_b64 s[4:5], -1
                                        ; implicit-def: $sgpr10
	s_and_saveexec_b64 s[8:9], s[12:13]
; %bb.3998:
	s_mov_b32 s10, 0x7f800001
	s_xor_b64 s[4:5], exec, -1
; %bb.3999:
	s_or_b64 exec, exec, s[8:9]
	s_and_b64 s[4:5], s[4:5], exec
	s_or_saveexec_b64 s[6:7], s[6:7]
	v_mov_b32_e32 v4, s10
	s_xor_b64 exec, exec, s[6:7]
	s_cbranch_execz .LBB45_1950
.LBB45_4000:
	v_mov_b32_e32 v4, 0
	v_cmp_ne_u16_sdwa s[8:9], v0, v4 src0_sel:BYTE_3 src1_sel:DWORD
	s_andn2_b64 s[4:5], s[4:5], exec
	s_and_b64 s[8:9], s[8:9], exec
	s_or_b64 s[4:5], s[4:5], s[8:9]
	s_or_b64 exec, exec, s[6:7]
	s_and_saveexec_b64 s[6:7], s[4:5]
	s_cbranch_execnz .LBB45_1951
	s_branch .LBB45_1952
.LBB45_4001:
	s_movk_i32 s4, 0x80
	v_cmp_eq_u16_sdwa s[12:13], v5, s4 src0_sel:BYTE_0 src1_sel:DWORD
	s_mov_b64 s[4:5], -1
                                        ; implicit-def: $sgpr10
	s_and_saveexec_b64 s[8:9], s[12:13]
; %bb.4002:
	s_mov_b32 s10, 0x7f800001
	s_xor_b64 s[4:5], exec, -1
; %bb.4003:
	s_or_b64 exec, exec, s[8:9]
	s_and_b64 s[4:5], s[4:5], exec
	s_or_saveexec_b64 s[6:7], s[6:7]
	v_mov_b32_e32 v0, s10
	s_xor_b64 exec, exec, s[6:7]
	s_cbranch_execz .LBB45_1954
.LBB45_4004:
	v_mov_b32_e32 v0, 0
	v_cmp_ne_u16_sdwa s[8:9], v5, v0 src0_sel:BYTE_0 src1_sel:DWORD
	s_andn2_b64 s[4:5], s[4:5], exec
	s_and_b64 s[8:9], s[8:9], exec
	s_or_b64 s[4:5], s[4:5], s[8:9]
	s_or_b64 exec, exec, s[6:7]
	s_and_saveexec_b64 s[6:7], s[4:5]
	s_cbranch_execnz .LBB45_1955
	s_branch .LBB45_1956
.LBB45_4005:
	s_movk_i32 s4, 0x80
	v_cmp_eq_u16_sdwa s[12:13], v1, s4 src0_sel:BYTE_0 src1_sel:DWORD
	s_mov_b64 s[4:5], -1
                                        ; implicit-def: $sgpr10
	s_and_saveexec_b64 s[8:9], s[12:13]
; %bb.4006:
	s_mov_b32 s10, 0x7f800001
	s_xor_b64 s[4:5], exec, -1
; %bb.4007:
	s_or_b64 exec, exec, s[8:9]
	s_and_b64 s[4:5], s[4:5], exec
	s_or_saveexec_b64 s[6:7], s[6:7]
	v_mov_b32_e32 v4, s10
	s_xor_b64 exec, exec, s[6:7]
	s_cbranch_execz .LBB45_1958
.LBB45_4008:
	v_mov_b32_e32 v4, 0
	v_cmp_ne_u16_sdwa s[8:9], v1, v4 src0_sel:BYTE_0 src1_sel:DWORD
	s_andn2_b64 s[4:5], s[4:5], exec
	s_and_b64 s[8:9], s[8:9], exec
	s_or_b64 s[4:5], s[4:5], s[8:9]
	s_or_b64 exec, exec, s[6:7]
	s_and_saveexec_b64 s[6:7], s[4:5]
	s_cbranch_execnz .LBB45_1959
	s_branch .LBB45_1960
.LBB45_4009:
	s_movk_i32 s4, 0x80
	v_cmp_eq_u16_sdwa s[12:13], v4, s4 src0_sel:BYTE_0 src1_sel:DWORD
	s_mov_b64 s[4:5], -1
                                        ; implicit-def: $sgpr10
	s_and_saveexec_b64 s[8:9], s[12:13]
; %bb.4010:
	s_mov_b32 s10, 0x7f800001
	s_xor_b64 s[4:5], exec, -1
; %bb.4011:
	s_or_b64 exec, exec, s[8:9]
	s_and_b64 s[4:5], s[4:5], exec
	s_or_saveexec_b64 s[6:7], s[6:7]
	v_mov_b32_e32 v0, s10
	s_xor_b64 exec, exec, s[6:7]
	s_cbranch_execz .LBB45_1962
.LBB45_4012:
	v_mov_b32_e32 v0, 0
	v_cmp_ne_u16_sdwa s[8:9], v4, v0 src0_sel:BYTE_0 src1_sel:DWORD
	s_andn2_b64 s[4:5], s[4:5], exec
	s_and_b64 s[8:9], s[8:9], exec
	s_or_b64 s[4:5], s[4:5], s[8:9]
	s_or_b64 exec, exec, s[6:7]
	s_and_saveexec_b64 s[6:7], s[4:5]
	s_cbranch_execnz .LBB45_1963
	s_branch .LBB45_1964
.LBB45_4013:
	s_movk_i32 s4, 0x80
	v_cmp_eq_u16_sdwa s[12:13], v4, s4 src0_sel:BYTE_0 src1_sel:DWORD
	s_mov_b64 s[4:5], -1
                                        ; implicit-def: $sgpr10
	s_and_saveexec_b64 s[8:9], s[12:13]
; %bb.4014:
	s_mov_b32 s10, 0x7f800001
	s_xor_b64 s[4:5], exec, -1
; %bb.4015:
	s_or_b64 exec, exec, s[8:9]
	s_and_b64 s[4:5], s[4:5], exec
	s_or_saveexec_b64 s[6:7], s[6:7]
	v_mov_b32_e32 v8, s10
	s_xor_b64 exec, exec, s[6:7]
	s_cbranch_execz .LBB45_1966
.LBB45_4016:
	v_mov_b32_e32 v8, 0
	v_cmp_ne_u16_sdwa s[8:9], v4, v8 src0_sel:BYTE_0 src1_sel:DWORD
	s_andn2_b64 s[4:5], s[4:5], exec
	s_and_b64 s[8:9], s[8:9], exec
	s_or_b64 s[4:5], s[4:5], s[8:9]
	s_or_b64 exec, exec, s[6:7]
	s_and_saveexec_b64 s[6:7], s[4:5]
	s_cbranch_execnz .LBB45_1967
	s_branch .LBB45_1968
.LBB45_4017:
	s_movk_i32 s4, 0x80
	v_cmp_eq_u16_e32 vcc, s4, v4
	s_mov_b64 s[4:5], -1
                                        ; implicit-def: $sgpr10
	s_and_saveexec_b64 s[8:9], vcc
; %bb.4018:
	s_mov_b32 s10, 0x7f800001
	s_xor_b64 s[4:5], exec, -1
; %bb.4019:
	s_or_b64 exec, exec, s[8:9]
	s_and_b64 s[4:5], s[4:5], exec
                                        ; implicit-def: $vgpr4
	s_or_saveexec_b64 s[6:7], s[6:7]
	v_mov_b32_e32 v0, s10
	s_xor_b64 exec, exec, s[6:7]
	s_cbranch_execz .LBB45_1970
.LBB45_4020:
	v_cmp_ne_u16_e32 vcc, 0, v4
	s_andn2_b64 s[4:5], s[4:5], exec
	s_and_b64 s[8:9], vcc, exec
	v_mov_b32_e32 v0, 0
	s_or_b64 s[4:5], s[4:5], s[8:9]
	s_or_b64 exec, exec, s[6:7]
	s_and_saveexec_b64 s[6:7], s[4:5]
	s_cbranch_execnz .LBB45_1971
	s_branch .LBB45_1972
.LBB45_4021:
	s_movk_i32 s4, 0x80
	v_cmp_eq_u16_e32 vcc, s4, v4
	s_mov_b64 s[4:5], -1
                                        ; implicit-def: $sgpr10
	s_and_saveexec_b64 s[8:9], vcc
; %bb.4022:
	s_mov_b32 s10, 0x7f800001
	s_xor_b64 s[4:5], exec, -1
; %bb.4023:
	s_or_b64 exec, exec, s[8:9]
	s_and_b64 s[4:5], s[4:5], exec
                                        ; implicit-def: $vgpr4
	s_or_saveexec_b64 s[6:7], s[6:7]
	v_mov_b32_e32 v8, s10
	s_xor_b64 exec, exec, s[6:7]
	s_cbranch_execz .LBB45_1974
.LBB45_4024:
	v_cmp_ne_u16_e32 vcc, 0, v4
	s_andn2_b64 s[4:5], s[4:5], exec
	s_and_b64 s[8:9], vcc, exec
	v_mov_b32_e32 v8, 0
	s_or_b64 s[4:5], s[4:5], s[8:9]
	s_or_b64 exec, exec, s[6:7]
	s_and_saveexec_b64 s[6:7], s[4:5]
	s_cbranch_execnz .LBB45_1975
	s_branch .LBB45_1976
.LBB45_4025:
	s_movk_i32 s4, 0x80
	v_cmp_eq_u16_sdwa s[12:13], v5, s4 src0_sel:BYTE_3 src1_sel:DWORD
	s_mov_b64 s[4:5], -1
                                        ; implicit-def: $sgpr10
	s_and_saveexec_b64 s[8:9], s[12:13]
; %bb.4026:
	s_mov_b32 s10, 0x7f800001
	s_xor_b64 s[4:5], exec, -1
; %bb.4027:
	s_or_b64 exec, exec, s[8:9]
	s_and_b64 s[4:5], s[4:5], exec
	s_or_saveexec_b64 s[6:7], s[6:7]
	v_mov_b32_e32 v0, s10
	s_xor_b64 exec, exec, s[6:7]
	s_cbranch_execz .LBB45_1978
.LBB45_4028:
	v_mov_b32_e32 v0, 0
	v_cmp_ne_u16_sdwa s[8:9], v5, v0 src0_sel:BYTE_3 src1_sel:DWORD
	s_andn2_b64 s[4:5], s[4:5], exec
	s_and_b64 s[8:9], s[8:9], exec
	s_or_b64 s[4:5], s[4:5], s[8:9]
	s_or_b64 exec, exec, s[6:7]
	s_and_saveexec_b64 s[6:7], s[4:5]
	s_cbranch_execnz .LBB45_1979
	s_branch .LBB45_1980
.LBB45_4029:
	s_movk_i32 s4, 0x80
	v_cmp_eq_u16_sdwa s[12:13], v1, s4 src0_sel:BYTE_3 src1_sel:DWORD
	s_mov_b64 s[4:5], -1
                                        ; implicit-def: $sgpr10
	s_and_saveexec_b64 s[8:9], s[12:13]
; %bb.4030:
	s_mov_b32 s10, 0x7f800001
	s_xor_b64 s[4:5], exec, -1
; %bb.4031:
	s_or_b64 exec, exec, s[8:9]
	s_and_b64 s[4:5], s[4:5], exec
	s_or_saveexec_b64 s[6:7], s[6:7]
	v_mov_b32_e32 v4, s10
	s_xor_b64 exec, exec, s[6:7]
	s_cbranch_execz .LBB45_1982
.LBB45_4032:
	v_mov_b32_e32 v4, 0
	v_cmp_ne_u16_sdwa s[8:9], v1, v4 src0_sel:BYTE_3 src1_sel:DWORD
	s_andn2_b64 s[4:5], s[4:5], exec
	s_and_b64 s[8:9], s[8:9], exec
	s_or_b64 s[4:5], s[4:5], s[8:9]
	s_or_b64 exec, exec, s[6:7]
	s_and_saveexec_b64 s[6:7], s[4:5]
	s_cbranch_execnz .LBB45_1983
	s_branch .LBB45_1984
.LBB45_4033:
	s_movk_i32 s4, 0x80
	v_cmp_eq_u16_sdwa s[12:13], v6, s4 src0_sel:BYTE_0 src1_sel:DWORD
	s_mov_b64 s[4:5], -1
                                        ; implicit-def: $sgpr10
	s_and_saveexec_b64 s[8:9], s[12:13]
; %bb.4034:
	s_mov_b32 s10, 0x7f800001
	s_xor_b64 s[4:5], exec, -1
; %bb.4035:
	s_or_b64 exec, exec, s[8:9]
	s_and_b64 s[4:5], s[4:5], exec
	s_or_saveexec_b64 s[6:7], s[6:7]
	v_mov_b32_e32 v0, s10
	s_xor_b64 exec, exec, s[6:7]
	s_cbranch_execz .LBB45_1986
.LBB45_4036:
	v_mov_b32_e32 v0, 0
	v_cmp_ne_u16_sdwa s[8:9], v6, v0 src0_sel:BYTE_0 src1_sel:DWORD
	s_andn2_b64 s[4:5], s[4:5], exec
	s_and_b64 s[8:9], s[8:9], exec
	s_or_b64 s[4:5], s[4:5], s[8:9]
	s_or_b64 exec, exec, s[6:7]
	s_and_saveexec_b64 s[6:7], s[4:5]
	s_cbranch_execnz .LBB45_1987
	s_branch .LBB45_1988
.LBB45_4037:
	s_movk_i32 s4, 0x80
	v_cmp_eq_u16_sdwa s[12:13], v2, s4 src0_sel:BYTE_0 src1_sel:DWORD
	s_mov_b64 s[4:5], -1
                                        ; implicit-def: $sgpr10
	s_and_saveexec_b64 s[8:9], s[12:13]
; %bb.4038:
	s_mov_b32 s10, 0x7f800001
	s_xor_b64 s[4:5], exec, -1
; %bb.4039:
	s_or_b64 exec, exec, s[8:9]
	s_and_b64 s[4:5], s[4:5], exec
	s_or_saveexec_b64 s[6:7], s[6:7]
	v_mov_b32_e32 v1, s10
	s_xor_b64 exec, exec, s[6:7]
	s_cbranch_execz .LBB45_1990
.LBB45_4040:
	v_mov_b32_e32 v1, 0
	v_cmp_ne_u16_sdwa s[8:9], v2, v1 src0_sel:BYTE_0 src1_sel:DWORD
	s_andn2_b64 s[4:5], s[4:5], exec
	s_and_b64 s[8:9], s[8:9], exec
	s_or_b64 s[4:5], s[4:5], s[8:9]
	s_or_b64 exec, exec, s[6:7]
	s_and_saveexec_b64 s[6:7], s[4:5]
	s_cbranch_execnz .LBB45_1991
	s_branch .LBB45_1992
.LBB45_4041:
	s_movk_i32 s4, 0x80
	v_cmp_eq_u16_sdwa s[12:13], v1, s4 src0_sel:BYTE_0 src1_sel:DWORD
	s_mov_b64 s[4:5], -1
                                        ; implicit-def: $sgpr10
	s_and_saveexec_b64 s[8:9], s[12:13]
; %bb.4042:
	s_mov_b32 s10, 0x7f800001
	s_xor_b64 s[4:5], exec, -1
; %bb.4043:
	s_or_b64 exec, exec, s[8:9]
	s_and_b64 s[4:5], s[4:5], exec
	s_or_saveexec_b64 s[6:7], s[6:7]
	v_mov_b32_e32 v0, s10
	s_xor_b64 exec, exec, s[6:7]
	s_cbranch_execz .LBB45_1994
.LBB45_4044:
	v_mov_b32_e32 v0, 0
	v_cmp_ne_u16_sdwa s[8:9], v1, v0 src0_sel:BYTE_0 src1_sel:DWORD
	s_andn2_b64 s[4:5], s[4:5], exec
	s_and_b64 s[8:9], s[8:9], exec
	s_or_b64 s[4:5], s[4:5], s[8:9]
	s_or_b64 exec, exec, s[6:7]
	s_and_saveexec_b64 s[6:7], s[4:5]
	s_cbranch_execnz .LBB45_1995
	s_branch .LBB45_1996
.LBB45_4045:
	s_movk_i32 s4, 0x80
	v_cmp_eq_u16_sdwa s[12:13], v1, s4 src0_sel:BYTE_0 src1_sel:DWORD
	s_mov_b64 s[4:5], -1
                                        ; implicit-def: $sgpr10
	s_and_saveexec_b64 s[8:9], s[12:13]
; %bb.4046:
	s_mov_b32 s10, 0x7f800001
	s_xor_b64 s[4:5], exec, -1
; %bb.4047:
	s_or_b64 exec, exec, s[8:9]
	s_and_b64 s[4:5], s[4:5], exec
	s_or_saveexec_b64 s[6:7], s[6:7]
	v_mov_b32_e32 v4, s10
	s_xor_b64 exec, exec, s[6:7]
	s_cbranch_execz .LBB45_1998
.LBB45_4048:
	v_mov_b32_e32 v4, 0
	v_cmp_ne_u16_sdwa s[8:9], v1, v4 src0_sel:BYTE_0 src1_sel:DWORD
	s_andn2_b64 s[4:5], s[4:5], exec
	s_and_b64 s[8:9], s[8:9], exec
	s_or_b64 s[4:5], s[4:5], s[8:9]
	s_or_b64 exec, exec, s[6:7]
	s_and_saveexec_b64 s[6:7], s[4:5]
	s_cbranch_execnz .LBB45_1999
	s_branch .LBB45_2000
.LBB45_4049:
	s_movk_i32 s4, 0x80
	v_cmp_eq_u16_e32 vcc, s4, v1
	s_mov_b64 s[4:5], -1
                                        ; implicit-def: $sgpr10
	s_and_saveexec_b64 s[8:9], vcc
; %bb.4050:
	s_mov_b32 s10, 0x7f800001
	s_xor_b64 s[4:5], exec, -1
; %bb.4051:
	s_or_b64 exec, exec, s[8:9]
	s_and_b64 s[4:5], s[4:5], exec
                                        ; implicit-def: $vgpr1
	s_or_saveexec_b64 s[6:7], s[6:7]
	v_mov_b32_e32 v0, s10
	s_xor_b64 exec, exec, s[6:7]
	s_cbranch_execz .LBB45_2002
.LBB45_4052:
	v_cmp_ne_u16_e32 vcc, 0, v1
	s_andn2_b64 s[4:5], s[4:5], exec
	s_and_b64 s[8:9], vcc, exec
	v_mov_b32_e32 v0, 0
	s_or_b64 s[4:5], s[4:5], s[8:9]
	s_or_b64 exec, exec, s[6:7]
	s_and_saveexec_b64 s[6:7], s[4:5]
	s_cbranch_execnz .LBB45_2003
	s_branch .LBB45_2004
.LBB45_4053:
	s_movk_i32 s4, 0x80
	v_cmp_eq_u16_e32 vcc, s4, v1
	s_mov_b64 s[4:5], -1
                                        ; implicit-def: $sgpr10
	s_and_saveexec_b64 s[8:9], vcc
; %bb.4054:
	s_mov_b32 s10, 0x7f800001
	s_xor_b64 s[4:5], exec, -1
; %bb.4055:
	s_or_b64 exec, exec, s[8:9]
	s_and_b64 s[4:5], s[4:5], exec
                                        ; implicit-def: $vgpr1
	s_or_saveexec_b64 s[6:7], s[6:7]
	v_mov_b32_e32 v4, s10
	s_xor_b64 exec, exec, s[6:7]
	s_cbranch_execz .LBB45_2006
.LBB45_4056:
	v_cmp_ne_u16_e32 vcc, 0, v1
	s_andn2_b64 s[4:5], s[4:5], exec
	s_and_b64 s[8:9], vcc, exec
	v_mov_b32_e32 v4, 0
	s_or_b64 s[4:5], s[4:5], s[8:9]
	s_or_b64 exec, exec, s[6:7]
	s_and_saveexec_b64 s[6:7], s[4:5]
	s_cbranch_execnz .LBB45_2007
	s_branch .LBB45_2008
.LBB45_4057:
	s_movk_i32 s4, 0x80
	v_cmp_eq_u16_sdwa s[12:13], v6, s4 src0_sel:BYTE_3 src1_sel:DWORD
	s_mov_b64 s[4:5], -1
                                        ; implicit-def: $sgpr10
	s_and_saveexec_b64 s[8:9], s[12:13]
; %bb.4058:
	s_mov_b32 s10, 0x7f800001
	s_xor_b64 s[4:5], exec, -1
; %bb.4059:
	s_or_b64 exec, exec, s[8:9]
	s_and_b64 s[4:5], s[4:5], exec
	s_or_saveexec_b64 s[6:7], s[6:7]
	v_mov_b32_e32 v0, s10
	s_xor_b64 exec, exec, s[6:7]
	s_cbranch_execz .LBB45_2010
.LBB45_4060:
	v_mov_b32_e32 v0, 0
	v_cmp_ne_u16_sdwa s[8:9], v6, v0 src0_sel:BYTE_3 src1_sel:DWORD
	s_andn2_b64 s[4:5], s[4:5], exec
	s_and_b64 s[8:9], s[8:9], exec
	s_or_b64 s[4:5], s[4:5], s[8:9]
	s_or_b64 exec, exec, s[6:7]
	s_and_saveexec_b64 s[6:7], s[4:5]
	s_cbranch_execnz .LBB45_2011
	s_branch .LBB45_2012
.LBB45_4061:
	s_movk_i32 s4, 0x80
	v_cmp_eq_u16_sdwa s[12:13], v2, s4 src0_sel:BYTE_3 src1_sel:DWORD
	s_mov_b64 s[4:5], -1
                                        ; implicit-def: $sgpr10
	s_and_saveexec_b64 s[8:9], s[12:13]
; %bb.4062:
	s_mov_b32 s10, 0x7f800001
	s_xor_b64 s[4:5], exec, -1
; %bb.4063:
	s_or_b64 exec, exec, s[8:9]
	s_and_b64 s[4:5], s[4:5], exec
	s_or_saveexec_b64 s[6:7], s[6:7]
	v_mov_b32_e32 v1, s10
	s_xor_b64 exec, exec, s[6:7]
	s_cbranch_execz .LBB45_2014
.LBB45_4064:
	v_mov_b32_e32 v1, 0
	v_cmp_ne_u16_sdwa s[8:9], v2, v1 src0_sel:BYTE_3 src1_sel:DWORD
	s_andn2_b64 s[4:5], s[4:5], exec
	s_and_b64 s[8:9], s[8:9], exec
	s_or_b64 s[4:5], s[4:5], s[8:9]
	s_or_b64 exec, exec, s[6:7]
	s_and_saveexec_b64 s[6:7], s[4:5]
	s_cbranch_execnz .LBB45_2015
	s_branch .LBB45_2016
.LBB45_4065:
	s_movk_i32 s4, 0x80
	v_cmp_eq_u16_sdwa s[12:13], v7, s4 src0_sel:BYTE_0 src1_sel:DWORD
	s_mov_b64 s[4:5], -1
                                        ; implicit-def: $sgpr10
	s_and_saveexec_b64 s[8:9], s[12:13]
; %bb.4066:
	s_mov_b32 s10, 0x7f800001
	s_xor_b64 s[4:5], exec, -1
; %bb.4067:
	s_or_b64 exec, exec, s[8:9]
	s_and_b64 s[4:5], s[4:5], exec
	s_or_saveexec_b64 s[6:7], s[6:7]
	v_mov_b32_e32 v0, s10
	s_xor_b64 exec, exec, s[6:7]
	s_cbranch_execz .LBB45_2018
.LBB45_4068:
	v_mov_b32_e32 v0, 0
	v_cmp_ne_u16_sdwa s[8:9], v7, v0 src0_sel:BYTE_0 src1_sel:DWORD
	s_andn2_b64 s[4:5], s[4:5], exec
	s_and_b64 s[8:9], s[8:9], exec
	s_or_b64 s[4:5], s[4:5], s[8:9]
	s_or_b64 exec, exec, s[6:7]
	s_and_saveexec_b64 s[6:7], s[4:5]
	s_cbranch_execnz .LBB45_2019
	s_branch .LBB45_2020
.LBB45_4069:
	s_movk_i32 s4, 0x80
	v_cmp_eq_u16_sdwa s[12:13], v3, s4 src0_sel:BYTE_0 src1_sel:DWORD
	s_mov_b64 s[4:5], -1
                                        ; implicit-def: $sgpr10
	s_and_saveexec_b64 s[8:9], s[12:13]
; %bb.4070:
	s_mov_b32 s10, 0x7f800001
	s_xor_b64 s[4:5], exec, -1
; %bb.4071:
	s_or_b64 exec, exec, s[8:9]
	s_and_b64 s[4:5], s[4:5], exec
	s_or_saveexec_b64 s[6:7], s[6:7]
	v_mov_b32_e32 v1, s10
	s_xor_b64 exec, exec, s[6:7]
	s_cbranch_execz .LBB45_2022
.LBB45_4072:
	v_mov_b32_e32 v1, 0
	v_cmp_ne_u16_sdwa s[8:9], v3, v1 src0_sel:BYTE_0 src1_sel:DWORD
	s_andn2_b64 s[4:5], s[4:5], exec
	s_and_b64 s[8:9], s[8:9], exec
	s_or_b64 s[4:5], s[4:5], s[8:9]
	s_or_b64 exec, exec, s[6:7]
	s_and_saveexec_b64 s[6:7], s[4:5]
	s_cbranch_execnz .LBB45_2023
	s_branch .LBB45_2024
.LBB45_4073:
	s_movk_i32 s4, 0x80
	v_cmp_eq_u16_sdwa s[12:13], v1, s4 src0_sel:BYTE_0 src1_sel:DWORD
	s_mov_b64 s[4:5], -1
                                        ; implicit-def: $sgpr10
	s_and_saveexec_b64 s[8:9], s[12:13]
; %bb.4074:
	s_mov_b32 s10, 0x7f800001
	s_xor_b64 s[4:5], exec, -1
; %bb.4075:
	s_or_b64 exec, exec, s[8:9]
	s_and_b64 s[4:5], s[4:5], exec
	s_or_saveexec_b64 s[6:7], s[6:7]
	v_mov_b32_e32 v0, s10
	s_xor_b64 exec, exec, s[6:7]
	s_cbranch_execz .LBB45_2026
.LBB45_4076:
	v_mov_b32_e32 v0, 0
	v_cmp_ne_u16_sdwa s[8:9], v1, v0 src0_sel:BYTE_0 src1_sel:DWORD
	s_andn2_b64 s[4:5], s[4:5], exec
	s_and_b64 s[8:9], s[8:9], exec
	s_or_b64 s[4:5], s[4:5], s[8:9]
	s_or_b64 exec, exec, s[6:7]
	s_and_saveexec_b64 s[6:7], s[4:5]
	s_cbranch_execnz .LBB45_2027
	s_branch .LBB45_2028
.LBB45_4077:
	s_movk_i32 s4, 0x80
	v_cmp_eq_u16_sdwa s[12:13], v1, s4 src0_sel:BYTE_0 src1_sel:DWORD
	s_mov_b64 s[4:5], -1
                                        ; implicit-def: $sgpr10
	s_and_saveexec_b64 s[8:9], s[12:13]
; %bb.4078:
	s_mov_b32 s10, 0x7f800001
	s_xor_b64 s[4:5], exec, -1
; %bb.4079:
	s_or_b64 exec, exec, s[8:9]
	s_and_b64 s[4:5], s[4:5], exec
	s_or_saveexec_b64 s[6:7], s[6:7]
	v_mov_b32_e32 v2, s10
	s_xor_b64 exec, exec, s[6:7]
	s_cbranch_execz .LBB45_2030
.LBB45_4080:
	v_mov_b32_e32 v2, 0
	v_cmp_ne_u16_sdwa s[8:9], v1, v2 src0_sel:BYTE_0 src1_sel:DWORD
	s_andn2_b64 s[4:5], s[4:5], exec
	s_and_b64 s[8:9], s[8:9], exec
	s_or_b64 s[4:5], s[4:5], s[8:9]
	s_or_b64 exec, exec, s[6:7]
	s_and_saveexec_b64 s[6:7], s[4:5]
	s_cbranch_execnz .LBB45_2031
	s_branch .LBB45_2032
.LBB45_4081:
	s_movk_i32 s4, 0x80
	v_cmp_eq_u16_e32 vcc, s4, v1
	s_mov_b64 s[4:5], -1
                                        ; implicit-def: $sgpr10
	s_and_saveexec_b64 s[8:9], vcc
; %bb.4082:
	s_mov_b32 s10, 0x7f800001
	s_xor_b64 s[4:5], exec, -1
; %bb.4083:
	s_or_b64 exec, exec, s[8:9]
	s_and_b64 s[4:5], s[4:5], exec
                                        ; implicit-def: $vgpr1
	s_or_saveexec_b64 s[6:7], s[6:7]
	v_mov_b32_e32 v0, s10
	s_xor_b64 exec, exec, s[6:7]
	s_cbranch_execz .LBB45_2034
.LBB45_4084:
	v_cmp_ne_u16_e32 vcc, 0, v1
	s_andn2_b64 s[4:5], s[4:5], exec
	s_and_b64 s[8:9], vcc, exec
	v_mov_b32_e32 v0, 0
	s_or_b64 s[4:5], s[4:5], s[8:9]
	s_or_b64 exec, exec, s[6:7]
	s_and_saveexec_b64 s[6:7], s[4:5]
	s_cbranch_execnz .LBB45_2035
	s_branch .LBB45_2036
.LBB45_4085:
	s_movk_i32 s4, 0x80
	v_cmp_eq_u16_e32 vcc, s4, v1
	s_mov_b64 s[4:5], -1
                                        ; implicit-def: $sgpr10
	s_and_saveexec_b64 s[8:9], vcc
; %bb.4086:
	s_mov_b32 s10, 0x7f800001
	s_xor_b64 s[4:5], exec, -1
; %bb.4087:
	s_or_b64 exec, exec, s[8:9]
	s_and_b64 s[4:5], s[4:5], exec
                                        ; implicit-def: $vgpr1
	s_or_saveexec_b64 s[6:7], s[6:7]
	v_mov_b32_e32 v2, s10
	s_xor_b64 exec, exec, s[6:7]
	s_cbranch_execz .LBB45_2038
.LBB45_4088:
	v_cmp_ne_u16_e32 vcc, 0, v1
	s_andn2_b64 s[4:5], s[4:5], exec
	s_and_b64 s[8:9], vcc, exec
	v_mov_b32_e32 v2, 0
	s_or_b64 s[4:5], s[4:5], s[8:9]
	s_or_b64 exec, exec, s[6:7]
	s_and_saveexec_b64 s[6:7], s[4:5]
	s_cbranch_execnz .LBB45_2039
	s_branch .LBB45_2040
.LBB45_4089:
	s_movk_i32 s4, 0x80
	v_cmp_eq_u16_sdwa s[12:13], v7, s4 src0_sel:BYTE_3 src1_sel:DWORD
	s_mov_b64 s[4:5], -1
                                        ; implicit-def: $sgpr10
	s_and_saveexec_b64 s[8:9], s[12:13]
; %bb.4090:
	s_mov_b32 s10, 0x7f800001
	s_xor_b64 s[4:5], exec, -1
; %bb.4091:
	s_or_b64 exec, exec, s[8:9]
	s_and_b64 s[4:5], s[4:5], exec
	s_or_saveexec_b64 s[6:7], s[6:7]
	v_mov_b32_e32 v0, s10
	s_xor_b64 exec, exec, s[6:7]
	s_cbranch_execz .LBB45_2042
.LBB45_4092:
	v_mov_b32_e32 v0, 0
	v_cmp_ne_u16_sdwa s[8:9], v7, v0 src0_sel:BYTE_3 src1_sel:DWORD
	s_andn2_b64 s[4:5], s[4:5], exec
	s_and_b64 s[8:9], s[8:9], exec
	s_or_b64 s[4:5], s[4:5], s[8:9]
	s_or_b64 exec, exec, s[6:7]
	s_and_saveexec_b64 s[6:7], s[4:5]
	s_cbranch_execnz .LBB45_2043
	s_branch .LBB45_2044
.LBB45_4093:
	s_movk_i32 s4, 0x80
	v_cmp_eq_u16_sdwa s[12:13], v3, s4 src0_sel:BYTE_3 src1_sel:DWORD
	s_mov_b64 s[4:5], -1
                                        ; implicit-def: $sgpr10
	s_and_saveexec_b64 s[8:9], s[12:13]
; %bb.4094:
	s_mov_b32 s10, 0x7f800001
	s_xor_b64 s[4:5], exec, -1
; %bb.4095:
	s_or_b64 exec, exec, s[8:9]
	s_and_b64 s[4:5], s[4:5], exec
	s_or_saveexec_b64 s[6:7], s[6:7]
	v_mov_b32_e32 v1, s10
	s_xor_b64 exec, exec, s[6:7]
	s_cbranch_execz .LBB45_2046
.LBB45_4096:
	v_mov_b32_e32 v1, 0
	v_cmp_ne_u16_sdwa s[8:9], v3, v1 src0_sel:BYTE_3 src1_sel:DWORD
	s_andn2_b64 s[4:5], s[4:5], exec
	s_and_b64 s[8:9], s[8:9], exec
	s_or_b64 s[4:5], s[4:5], s[8:9]
	s_or_b64 exec, exec, s[6:7]
	s_and_saveexec_b64 s[6:7], s[4:5]
	s_cbranch_execnz .LBB45_2047
	s_branch .LBB45_2048
.Lfunc_end45:
	.size	_ZNK2ck6detail7applierIiJLi0ELi1ELi2ELi3ELi4ELi5ELi6ELi7EEEclIZNKS_11static_fordINS_8SequenceIJLi1ELi8EEEENS5_IJLi0ELi1EEEEEclIZZNKS_52BlockwiseGemmXdlops_pipeline_bpreshuffle_bdequant_v3ILNS_26BlockGemmPipelineSchedulerE0ELi256ENS_9f8_fnuz_tENS_7pk_i4_tESC_fNS_16TensorDescriptorINS_5TupleIJNS_5EmbedINSF_IJNS_17integral_constantIiLi8EEENSH_IiLi256EEENSH_IiLi16EEEEEENSF_IJSK_NSH_IiLi128EEENSH_IiLi1EEEEEELb0EEENS_3XorINSF_IJSJ_SI_EEELb1EEENS_11PassThroughISK_EENS_7UnMergeINSF_IJSI_SN_EEELb0EEENST_ISJ_EESU_NST_ISI_EENS_21Merge_v3_division_modINSF_IJSJ_SN_EEEEESU_EEENSF_IJNS5_IJLi0EEEENS5_IJLi2ELi1EEEENS5_IJLi3EEEENS5_IJLi5EEEENS5_IJLi4EEEENS5_IJLi6EEEENS5_IJLi7EEEENS5_IJLi9ELi8EEEENS5_IJLi10EEEEEEENSF_IJNS5_IJLi1ELi2ELi3EEEENS5_IJLi4ELi5EEEES19_NS5_IJLi7ELi8EEEENS5_IJLi9EEEES1C_NS5_IJLi11EEEENS5_IJLi12EEEENS5_IJLi13EEEEEEENS5_IJLi11ELi12ELi13EEEENSH_IlLl32768EEEEENSE_INSF_IJNSV_INSF_IJSI_SN_SN_NSH_IiLi32EEEEEELb0EEEEEENSF_IJS14_EEENSF_IJNS5_IJLi1ELi2ELi3ELi4EEEEEEES1U_NSH_IlLl256EEEEENSE_INSF_IJSP_SS_SU_SX_SY_SU_SZ_S12_SU_NS10_INSF_IJSI_SK_EEEEENSV_INSF_IJSI_NSH_IiLi2EEESK_EEELb0EEEEEENSF_IJS14_S15_S16_S17_S18_S19_S1A_S1B_S1C_NS5_IJLi11ELi13EEEES1J_EEENSF_IJS1E_S1F_S19_S1G_S1H_S1C_S1I_S1J_S1K_NS5_IJLi14EEEENS5_IJLi15ELi16ELi17EEEEEEENS5_IJLi15ELi16ELi17ELi14EEEES1N_EENSE_INSF_IJS1R_NS10_ISW_EES22_EEENSF_IJS14_NS5_IJLi1ELi3EEEENS5_IJLi2EEEEEEENSF_IJS1U_S17_NS5_IJLi6ELi7ELi8EEEEEEENS5_IJLi6ELi7ELi8ELi5EEEES1W_EELi16ELi32ELi256ELi256ELi128ELi16ELi16ELi8ELi8ELi32ELb0EE3RunILb1ELNS_10TailNumberE1ENSE_INSF_IJNSG_INSF_IJiiEEENSF_IJiSN_EEELb0EEENSV_IS2N_Lb0EEENST_IiEEEEENSF_IJS14_S2E_NS5_IJLi1EEEEEEENSF_IJNS5_IJLi1ELi2EEEENS5_IJLi3ELi4EEEES17_EEENS5_IJLi3ELi5ELi4EEEElEES1O_NS_35ThreadGroupTensorSliceTransfer_v4r1INS_15ThisThreadBlockILi256EEENS_16tensor_operation12element_wise11PassThroughES35_LNS_25InMemoryDataOperationEnumE0ENS5_IJLi8ELi256ELi16EEEENS5_IJLi8ELi32ELi1EEEENS5_IJLi1ELi0ELi2EEEESC_SC_RKS2Z_KS1O_S39_NS5_IJLi0ELi1ELi2EEEELi2ELi2ELi16ELi16ELi1ELi1ELb0ELb1ELi2EiEENS_13DynamicBufferILNS_16AddressSpaceEnumE1EKSC_lLb1ELNS_22AmdBufferCoherenceEnumE0EiEENSF_IJNS3F_ILS3G_2ESC_S1N_Lb1ELS3I_0EiEES3K_EEENSF_IJiiiEEENSE_INSF_IJNSG_INSF_IJiiiiEEENSF_IJiiiSN_EEELb0EEEEEES1T_S1V_S1U_lEENS_32ThreadwiseTensorSliceTransfer_v2ISD_SD_RKS3R_KS1X_NS5_IJLi8ELi1ELi1ELi32EEEENS5_IJLi1ELi2ELi0ELi3EEEELi3ELi32ELi0ELb1ELb0ELb0EEENS3F_ILS3G_1EKSD_lLb1ELS3I_0EiEENSF_IJNS_12StaticBufferILS3G_4ESD_Li256ELb1EEES42_EEES3N_NS_25StaticBufferTupleOfVectorILS3G_4EfLi64ELi4ELb1ELb0EEEEEvRKT1_RKT2_RT3_RKT4_RT5_RKT6_RKT7_RT8_RKT9_RT10_RKT11_RT12_iENKUlT_E0_clISN_EEDaS51_EUlS51_E_EEvS51_EUlS51_E_EEvS51_, .Lfunc_end45-_ZNK2ck6detail7applierIiJLi0ELi1ELi2ELi3ELi4ELi5ELi6ELi7EEEclIZNKS_11static_fordINS_8SequenceIJLi1ELi8EEEENS5_IJLi0ELi1EEEEEclIZZNKS_52BlockwiseGemmXdlops_pipeline_bpreshuffle_bdequant_v3ILNS_26BlockGemmPipelineSchedulerE0ELi256ENS_9f8_fnuz_tENS_7pk_i4_tESC_fNS_16TensorDescriptorINS_5TupleIJNS_5EmbedINSF_IJNS_17integral_constantIiLi8EEENSH_IiLi256EEENSH_IiLi16EEEEEENSF_IJSK_NSH_IiLi128EEENSH_IiLi1EEEEEELb0EEENS_3XorINSF_IJSJ_SI_EEELb1EEENS_11PassThroughISK_EENS_7UnMergeINSF_IJSI_SN_EEELb0EEENST_ISJ_EESU_NST_ISI_EENS_21Merge_v3_division_modINSF_IJSJ_SN_EEEEESU_EEENSF_IJNS5_IJLi0EEEENS5_IJLi2ELi1EEEENS5_IJLi3EEEENS5_IJLi5EEEENS5_IJLi4EEEENS5_IJLi6EEEENS5_IJLi7EEEENS5_IJLi9ELi8EEEENS5_IJLi10EEEEEEENSF_IJNS5_IJLi1ELi2ELi3EEEENS5_IJLi4ELi5EEEES19_NS5_IJLi7ELi8EEEENS5_IJLi9EEEES1C_NS5_IJLi11EEEENS5_IJLi12EEEENS5_IJLi13EEEEEEENS5_IJLi11ELi12ELi13EEEENSH_IlLl32768EEEEENSE_INSF_IJNSV_INSF_IJSI_SN_SN_NSH_IiLi32EEEEEELb0EEEEEENSF_IJS14_EEENSF_IJNS5_IJLi1ELi2ELi3ELi4EEEEEEES1U_NSH_IlLl256EEEEENSE_INSF_IJSP_SS_SU_SX_SY_SU_SZ_S12_SU_NS10_INSF_IJSI_SK_EEEEENSV_INSF_IJSI_NSH_IiLi2EEESK_EEELb0EEEEEENSF_IJS14_S15_S16_S17_S18_S19_S1A_S1B_S1C_NS5_IJLi11ELi13EEEES1J_EEENSF_IJS1E_S1F_S19_S1G_S1H_S1C_S1I_S1J_S1K_NS5_IJLi14EEEENS5_IJLi15ELi16ELi17EEEEEEENS5_IJLi15ELi16ELi17ELi14EEEES1N_EENSE_INSF_IJS1R_NS10_ISW_EES22_EEENSF_IJS14_NS5_IJLi1ELi3EEEENS5_IJLi2EEEEEEENSF_IJS1U_S17_NS5_IJLi6ELi7ELi8EEEEEEENS5_IJLi6ELi7ELi8ELi5EEEES1W_EELi16ELi32ELi256ELi256ELi128ELi16ELi16ELi8ELi8ELi32ELb0EE3RunILb1ELNS_10TailNumberE1ENSE_INSF_IJNSG_INSF_IJiiEEENSF_IJiSN_EEELb0EEENSV_IS2N_Lb0EEENST_IiEEEEENSF_IJS14_S2E_NS5_IJLi1EEEEEEENSF_IJNS5_IJLi1ELi2EEEENS5_IJLi3ELi4EEEES17_EEENS5_IJLi3ELi5ELi4EEEElEES1O_NS_35ThreadGroupTensorSliceTransfer_v4r1INS_15ThisThreadBlockILi256EEENS_16tensor_operation12element_wise11PassThroughES35_LNS_25InMemoryDataOperationEnumE0ENS5_IJLi8ELi256ELi16EEEENS5_IJLi8ELi32ELi1EEEENS5_IJLi1ELi0ELi2EEEESC_SC_RKS2Z_KS1O_S39_NS5_IJLi0ELi1ELi2EEEELi2ELi2ELi16ELi16ELi1ELi1ELb0ELb1ELi2EiEENS_13DynamicBufferILNS_16AddressSpaceEnumE1EKSC_lLb1ELNS_22AmdBufferCoherenceEnumE0EiEENSF_IJNS3F_ILS3G_2ESC_S1N_Lb1ELS3I_0EiEES3K_EEENSF_IJiiiEEENSE_INSF_IJNSG_INSF_IJiiiiEEENSF_IJiiiSN_EEELb0EEEEEES1T_S1V_S1U_lEENS_32ThreadwiseTensorSliceTransfer_v2ISD_SD_RKS3R_KS1X_NS5_IJLi8ELi1ELi1ELi32EEEENS5_IJLi1ELi2ELi0ELi3EEEELi3ELi32ELi0ELb1ELb0ELb0EEENS3F_ILS3G_1EKSD_lLb1ELS3I_0EiEENSF_IJNS_12StaticBufferILS3G_4ESD_Li256ELb1EEES42_EEES3N_NS_25StaticBufferTupleOfVectorILS3G_4EfLi64ELi4ELb1ELb0EEEEEvRKT1_RKT2_RT3_RKT4_RT5_RKT6_RKT7_RT8_RKT9_RT10_RKT11_RT12_iENKUlT_E0_clISN_EEDaS51_EUlS51_E_EEvS51_EUlS51_E_EEvS51_
                                        ; -- End function
	.section	.AMDGPU.csdata,"",@progbits
; Function info:
; codeLenInByte = 133608
; NumSgprs: 36
; NumVgprs: 26
; NumAgprs: 4
; TotalNumVgprs: 32
; ScratchSize: 0
; MemoryBound: 1
	.text
	.p2align	2                               ; -- Begin function _ZNK2ck6detail7applierIiJLi0ELi1ELi2ELi3ELi4ELi5ELi6ELi7EEEclIZNKS_11static_fordINS_8SequenceIJLi1ELi8EEEENS5_IJLi0ELi1EEEEEclIZZNKS_52BlockwiseGemmXdlops_pipeline_bpreshuffle_bdequant_v3ILNS_26BlockGemmPipelineSchedulerE0ELi256ENS_9f8_fnuz_tENS_7pk_i4_tESC_fNS_16TensorDescriptorINS_5TupleIJNS_5EmbedINSF_IJNS_17integral_constantIiLi8EEENSH_IiLi256EEENSH_IiLi16EEEEEENSF_IJSK_NSH_IiLi128EEENSH_IiLi1EEEEEELb0EEENS_3XorINSF_IJSJ_SI_EEELb1EEENS_11PassThroughISK_EENS_7UnMergeINSF_IJSI_SN_EEELb0EEENST_ISJ_EESU_NST_ISI_EENS_21Merge_v3_division_modINSF_IJSJ_SN_EEEEESU_EEENSF_IJNS5_IJLi0EEEENS5_IJLi2ELi1EEEENS5_IJLi3EEEENS5_IJLi5EEEENS5_IJLi4EEEENS5_IJLi6EEEENS5_IJLi7EEEENS5_IJLi9ELi8EEEENS5_IJLi10EEEEEEENSF_IJNS5_IJLi1ELi2ELi3EEEENS5_IJLi4ELi5EEEES19_NS5_IJLi7ELi8EEEENS5_IJLi9EEEES1C_NS5_IJLi11EEEENS5_IJLi12EEEENS5_IJLi13EEEEEEENS5_IJLi11ELi12ELi13EEEENSH_IlLl32768EEEEENSE_INSF_IJNSV_INSF_IJSI_SN_SN_NSH_IiLi32EEEEEELb0EEEEEENSF_IJS14_EEENSF_IJNS5_IJLi1ELi2ELi3ELi4EEEEEEES1U_NSH_IlLl256EEEEENSE_INSF_IJSP_SS_SU_SX_SY_SU_SZ_S12_SU_NS10_INSF_IJSI_SK_EEEEENSV_INSF_IJSI_NSH_IiLi2EEESK_EEELb0EEEEEENSF_IJS14_S15_S16_S17_S18_S19_S1A_S1B_S1C_NS5_IJLi11ELi13EEEES1J_EEENSF_IJS1E_S1F_S19_S1G_S1H_S1C_S1I_S1J_S1K_NS5_IJLi14EEEENS5_IJLi15ELi16ELi17EEEEEEENS5_IJLi15ELi16ELi17ELi14EEEES1N_EENSE_INSF_IJS1R_NS10_ISW_EES22_EEENSF_IJS14_NS5_IJLi1ELi3EEEENS5_IJLi2EEEEEEENSF_IJS1U_S17_NS5_IJLi6ELi7ELi8EEEEEEENS5_IJLi6ELi7ELi8ELi5EEEES1W_EELi16ELi32ELi256ELi256ELi128ELi16ELi16ELi8ELi8ELi32ELb0EE3RunILb1ELNS_10TailNumberE1ENSE_INSF_IJNSG_INSF_IJiiEEENSF_IJiSN_EEELb0EEENSV_IS2N_Lb0EEENST_IiEEEEENSF_IJS14_S2E_NS5_IJLi1EEEEEEENSF_IJNS5_IJLi1ELi2EEEENS5_IJLi3ELi4EEEES17_EEENS5_IJLi3ELi5ELi4EEEElEES1O_NS_35ThreadGroupTensorSliceTransfer_v4r1INS_15ThisThreadBlockILi256EEENS_16tensor_operation12element_wise11PassThroughES35_LNS_25InMemoryDataOperationEnumE0ENS5_IJLi8ELi256ELi16EEEENS5_IJLi8ELi32ELi1EEEENS5_IJLi1ELi0ELi2EEEESC_SC_RKS2Z_KS1O_S39_NS5_IJLi0ELi1ELi2EEEELi2ELi2ELi16ELi16ELi1ELi1ELb0ELb1ELi2EiEENS_13DynamicBufferILNS_16AddressSpaceEnumE1EKSC_lLb1ELNS_22AmdBufferCoherenceEnumE0EiEENSF_IJNS3F_ILS3G_2ESC_S1N_Lb1ELS3I_0EiEES3K_EEENSF_IJiiiEEENSE_INSF_IJNSG_INSF_IJiiiiEEENSF_IJiiiSN_EEELb0EEEEEES1T_S1V_S1U_lEENS_32ThreadwiseTensorSliceTransfer_v2ISD_SD_RKS3R_KS1X_NS5_IJLi8ELi1ELi1ELi32EEEENS5_IJLi1ELi2ELi0ELi3EEEELi3ELi32ELi0ELb1ELb0ELb0EEENS3F_ILS3G_1EKSD_lLb1ELS3I_0EiEENSF_IJNS_12StaticBufferILS3G_4ESD_Li256ELb1EEES42_EEES3N_NS_25StaticBufferTupleOfVectorILS3G_4EfLi64ELi4ELb1ELb0EEEEEvRKT1_RKT2_RT3_RKT4_RT5_RKT6_RKT7_RT8_RKT9_RT10_RKT11_RT12_iENKUlT_E0_clIS20_EEDaS51_EUlS51_E_EEvS51_EUlS51_E_EEvS51_
	.type	_ZNK2ck6detail7applierIiJLi0ELi1ELi2ELi3ELi4ELi5ELi6ELi7EEEclIZNKS_11static_fordINS_8SequenceIJLi1ELi8EEEENS5_IJLi0ELi1EEEEEclIZZNKS_52BlockwiseGemmXdlops_pipeline_bpreshuffle_bdequant_v3ILNS_26BlockGemmPipelineSchedulerE0ELi256ENS_9f8_fnuz_tENS_7pk_i4_tESC_fNS_16TensorDescriptorINS_5TupleIJNS_5EmbedINSF_IJNS_17integral_constantIiLi8EEENSH_IiLi256EEENSH_IiLi16EEEEEENSF_IJSK_NSH_IiLi128EEENSH_IiLi1EEEEEELb0EEENS_3XorINSF_IJSJ_SI_EEELb1EEENS_11PassThroughISK_EENS_7UnMergeINSF_IJSI_SN_EEELb0EEENST_ISJ_EESU_NST_ISI_EENS_21Merge_v3_division_modINSF_IJSJ_SN_EEEEESU_EEENSF_IJNS5_IJLi0EEEENS5_IJLi2ELi1EEEENS5_IJLi3EEEENS5_IJLi5EEEENS5_IJLi4EEEENS5_IJLi6EEEENS5_IJLi7EEEENS5_IJLi9ELi8EEEENS5_IJLi10EEEEEEENSF_IJNS5_IJLi1ELi2ELi3EEEENS5_IJLi4ELi5EEEES19_NS5_IJLi7ELi8EEEENS5_IJLi9EEEES1C_NS5_IJLi11EEEENS5_IJLi12EEEENS5_IJLi13EEEEEEENS5_IJLi11ELi12ELi13EEEENSH_IlLl32768EEEEENSE_INSF_IJNSV_INSF_IJSI_SN_SN_NSH_IiLi32EEEEEELb0EEEEEENSF_IJS14_EEENSF_IJNS5_IJLi1ELi2ELi3ELi4EEEEEEES1U_NSH_IlLl256EEEEENSE_INSF_IJSP_SS_SU_SX_SY_SU_SZ_S12_SU_NS10_INSF_IJSI_SK_EEEEENSV_INSF_IJSI_NSH_IiLi2EEESK_EEELb0EEEEEENSF_IJS14_S15_S16_S17_S18_S19_S1A_S1B_S1C_NS5_IJLi11ELi13EEEES1J_EEENSF_IJS1E_S1F_S19_S1G_S1H_S1C_S1I_S1J_S1K_NS5_IJLi14EEEENS5_IJLi15ELi16ELi17EEEEEEENS5_IJLi15ELi16ELi17ELi14EEEES1N_EENSE_INSF_IJS1R_NS10_ISW_EES22_EEENSF_IJS14_NS5_IJLi1ELi3EEEENS5_IJLi2EEEEEEENSF_IJS1U_S17_NS5_IJLi6ELi7ELi8EEEEEEENS5_IJLi6ELi7ELi8ELi5EEEES1W_EELi16ELi32ELi256ELi256ELi128ELi16ELi16ELi8ELi8ELi32ELb0EE3RunILb1ELNS_10TailNumberE1ENSE_INSF_IJNSG_INSF_IJiiEEENSF_IJiSN_EEELb0EEENSV_IS2N_Lb0EEENST_IiEEEEENSF_IJS14_S2E_NS5_IJLi1EEEEEEENSF_IJNS5_IJLi1ELi2EEEENS5_IJLi3ELi4EEEES17_EEENS5_IJLi3ELi5ELi4EEEElEES1O_NS_35ThreadGroupTensorSliceTransfer_v4r1INS_15ThisThreadBlockILi256EEENS_16tensor_operation12element_wise11PassThroughES35_LNS_25InMemoryDataOperationEnumE0ENS5_IJLi8ELi256ELi16EEEENS5_IJLi8ELi32ELi1EEEENS5_IJLi1ELi0ELi2EEEESC_SC_RKS2Z_KS1O_S39_NS5_IJLi0ELi1ELi2EEEELi2ELi2ELi16ELi16ELi1ELi1ELb0ELb1ELi2EiEENS_13DynamicBufferILNS_16AddressSpaceEnumE1EKSC_lLb1ELNS_22AmdBufferCoherenceEnumE0EiEENSF_IJNS3F_ILS3G_2ESC_S1N_Lb1ELS3I_0EiEES3K_EEENSF_IJiiiEEENSE_INSF_IJNSG_INSF_IJiiiiEEENSF_IJiiiSN_EEELb0EEEEEES1T_S1V_S1U_lEENS_32ThreadwiseTensorSliceTransfer_v2ISD_SD_RKS3R_KS1X_NS5_IJLi8ELi1ELi1ELi32EEEENS5_IJLi1ELi2ELi0ELi3EEEELi3ELi32ELi0ELb1ELb0ELb0EEENS3F_ILS3G_1EKSD_lLb1ELS3I_0EiEENSF_IJNS_12StaticBufferILS3G_4ESD_Li256ELb1EEES42_EEES3N_NS_25StaticBufferTupleOfVectorILS3G_4EfLi64ELi4ELb1ELb0EEEEEvRKT1_RKT2_RT3_RKT4_RT5_RKT6_RKT7_RT8_RKT9_RT10_RKT11_RT12_iENKUlT_E0_clIS20_EEDaS51_EUlS51_E_EEvS51_EUlS51_E_EEvS51_,@function
_ZNK2ck6detail7applierIiJLi0ELi1ELi2ELi3ELi4ELi5ELi6ELi7EEEclIZNKS_11static_fordINS_8SequenceIJLi1ELi8EEEENS5_IJLi0ELi1EEEEEclIZZNKS_52BlockwiseGemmXdlops_pipeline_bpreshuffle_bdequant_v3ILNS_26BlockGemmPipelineSchedulerE0ELi256ENS_9f8_fnuz_tENS_7pk_i4_tESC_fNS_16TensorDescriptorINS_5TupleIJNS_5EmbedINSF_IJNS_17integral_constantIiLi8EEENSH_IiLi256EEENSH_IiLi16EEEEEENSF_IJSK_NSH_IiLi128EEENSH_IiLi1EEEEEELb0EEENS_3XorINSF_IJSJ_SI_EEELb1EEENS_11PassThroughISK_EENS_7UnMergeINSF_IJSI_SN_EEELb0EEENST_ISJ_EESU_NST_ISI_EENS_21Merge_v3_division_modINSF_IJSJ_SN_EEEEESU_EEENSF_IJNS5_IJLi0EEEENS5_IJLi2ELi1EEEENS5_IJLi3EEEENS5_IJLi5EEEENS5_IJLi4EEEENS5_IJLi6EEEENS5_IJLi7EEEENS5_IJLi9ELi8EEEENS5_IJLi10EEEEEEENSF_IJNS5_IJLi1ELi2ELi3EEEENS5_IJLi4ELi5EEEES19_NS5_IJLi7ELi8EEEENS5_IJLi9EEEES1C_NS5_IJLi11EEEENS5_IJLi12EEEENS5_IJLi13EEEEEEENS5_IJLi11ELi12ELi13EEEENSH_IlLl32768EEEEENSE_INSF_IJNSV_INSF_IJSI_SN_SN_NSH_IiLi32EEEEEELb0EEEEEENSF_IJS14_EEENSF_IJNS5_IJLi1ELi2ELi3ELi4EEEEEEES1U_NSH_IlLl256EEEEENSE_INSF_IJSP_SS_SU_SX_SY_SU_SZ_S12_SU_NS10_INSF_IJSI_SK_EEEEENSV_INSF_IJSI_NSH_IiLi2EEESK_EEELb0EEEEEENSF_IJS14_S15_S16_S17_S18_S19_S1A_S1B_S1C_NS5_IJLi11ELi13EEEES1J_EEENSF_IJS1E_S1F_S19_S1G_S1H_S1C_S1I_S1J_S1K_NS5_IJLi14EEEENS5_IJLi15ELi16ELi17EEEEEEENS5_IJLi15ELi16ELi17ELi14EEEES1N_EENSE_INSF_IJS1R_NS10_ISW_EES22_EEENSF_IJS14_NS5_IJLi1ELi3EEEENS5_IJLi2EEEEEEENSF_IJS1U_S17_NS5_IJLi6ELi7ELi8EEEEEEENS5_IJLi6ELi7ELi8ELi5EEEES1W_EELi16ELi32ELi256ELi256ELi128ELi16ELi16ELi8ELi8ELi32ELb0EE3RunILb1ELNS_10TailNumberE1ENSE_INSF_IJNSG_INSF_IJiiEEENSF_IJiSN_EEELb0EEENSV_IS2N_Lb0EEENST_IiEEEEENSF_IJS14_S2E_NS5_IJLi1EEEEEEENSF_IJNS5_IJLi1ELi2EEEENS5_IJLi3ELi4EEEES17_EEENS5_IJLi3ELi5ELi4EEEElEES1O_NS_35ThreadGroupTensorSliceTransfer_v4r1INS_15ThisThreadBlockILi256EEENS_16tensor_operation12element_wise11PassThroughES35_LNS_25InMemoryDataOperationEnumE0ENS5_IJLi8ELi256ELi16EEEENS5_IJLi8ELi32ELi1EEEENS5_IJLi1ELi0ELi2EEEESC_SC_RKS2Z_KS1O_S39_NS5_IJLi0ELi1ELi2EEEELi2ELi2ELi16ELi16ELi1ELi1ELb0ELb1ELi2EiEENS_13DynamicBufferILNS_16AddressSpaceEnumE1EKSC_lLb1ELNS_22AmdBufferCoherenceEnumE0EiEENSF_IJNS3F_ILS3G_2ESC_S1N_Lb1ELS3I_0EiEES3K_EEENSF_IJiiiEEENSE_INSF_IJNSG_INSF_IJiiiiEEENSF_IJiiiSN_EEELb0EEEEEES1T_S1V_S1U_lEENS_32ThreadwiseTensorSliceTransfer_v2ISD_SD_RKS3R_KS1X_NS5_IJLi8ELi1ELi1ELi32EEEENS5_IJLi1ELi2ELi0ELi3EEEELi3ELi32ELi0ELb1ELb0ELb0EEENS3F_ILS3G_1EKSD_lLb1ELS3I_0EiEENSF_IJNS_12StaticBufferILS3G_4ESD_Li256ELb1EEES42_EEES3N_NS_25StaticBufferTupleOfVectorILS3G_4EfLi64ELi4ELb1ELb0EEEEEvRKT1_RKT2_RT3_RKT4_RT5_RKT6_RKT7_RT8_RKT9_RT10_RKT11_RT12_iENKUlT_E0_clIS20_EEDaS51_EUlS51_E_EEvS51_EUlS51_E_EEvS51_: ; @_ZNK2ck6detail7applierIiJLi0ELi1ELi2ELi3ELi4ELi5ELi6ELi7EEEclIZNKS_11static_fordINS_8SequenceIJLi1ELi8EEEENS5_IJLi0ELi1EEEEEclIZZNKS_52BlockwiseGemmXdlops_pipeline_bpreshuffle_bdequant_v3ILNS_26BlockGemmPipelineSchedulerE0ELi256ENS_9f8_fnuz_tENS_7pk_i4_tESC_fNS_16TensorDescriptorINS_5TupleIJNS_5EmbedINSF_IJNS_17integral_constantIiLi8EEENSH_IiLi256EEENSH_IiLi16EEEEEENSF_IJSK_NSH_IiLi128EEENSH_IiLi1EEEEEELb0EEENS_3XorINSF_IJSJ_SI_EEELb1EEENS_11PassThroughISK_EENS_7UnMergeINSF_IJSI_SN_EEELb0EEENST_ISJ_EESU_NST_ISI_EENS_21Merge_v3_division_modINSF_IJSJ_SN_EEEEESU_EEENSF_IJNS5_IJLi0EEEENS5_IJLi2ELi1EEEENS5_IJLi3EEEENS5_IJLi5EEEENS5_IJLi4EEEENS5_IJLi6EEEENS5_IJLi7EEEENS5_IJLi9ELi8EEEENS5_IJLi10EEEEEEENSF_IJNS5_IJLi1ELi2ELi3EEEENS5_IJLi4ELi5EEEES19_NS5_IJLi7ELi8EEEENS5_IJLi9EEEES1C_NS5_IJLi11EEEENS5_IJLi12EEEENS5_IJLi13EEEEEEENS5_IJLi11ELi12ELi13EEEENSH_IlLl32768EEEEENSE_INSF_IJNSV_INSF_IJSI_SN_SN_NSH_IiLi32EEEEEELb0EEEEEENSF_IJS14_EEENSF_IJNS5_IJLi1ELi2ELi3ELi4EEEEEEES1U_NSH_IlLl256EEEEENSE_INSF_IJSP_SS_SU_SX_SY_SU_SZ_S12_SU_NS10_INSF_IJSI_SK_EEEEENSV_INSF_IJSI_NSH_IiLi2EEESK_EEELb0EEEEEENSF_IJS14_S15_S16_S17_S18_S19_S1A_S1B_S1C_NS5_IJLi11ELi13EEEES1J_EEENSF_IJS1E_S1F_S19_S1G_S1H_S1C_S1I_S1J_S1K_NS5_IJLi14EEEENS5_IJLi15ELi16ELi17EEEEEEENS5_IJLi15ELi16ELi17ELi14EEEES1N_EENSE_INSF_IJS1R_NS10_ISW_EES22_EEENSF_IJS14_NS5_IJLi1ELi3EEEENS5_IJLi2EEEEEEENSF_IJS1U_S17_NS5_IJLi6ELi7ELi8EEEEEEENS5_IJLi6ELi7ELi8ELi5EEEES1W_EELi16ELi32ELi256ELi256ELi128ELi16ELi16ELi8ELi8ELi32ELb0EE3RunILb1ELNS_10TailNumberE1ENSE_INSF_IJNSG_INSF_IJiiEEENSF_IJiSN_EEELb0EEENSV_IS2N_Lb0EEENST_IiEEEEENSF_IJS14_S2E_NS5_IJLi1EEEEEEENSF_IJNS5_IJLi1ELi2EEEENS5_IJLi3ELi4EEEES17_EEENS5_IJLi3ELi5ELi4EEEElEES1O_NS_35ThreadGroupTensorSliceTransfer_v4r1INS_15ThisThreadBlockILi256EEENS_16tensor_operation12element_wise11PassThroughES35_LNS_25InMemoryDataOperationEnumE0ENS5_IJLi8ELi256ELi16EEEENS5_IJLi8ELi32ELi1EEEENS5_IJLi1ELi0ELi2EEEESC_SC_RKS2Z_KS1O_S39_NS5_IJLi0ELi1ELi2EEEELi2ELi2ELi16ELi16ELi1ELi1ELb0ELb1ELi2EiEENS_13DynamicBufferILNS_16AddressSpaceEnumE1EKSC_lLb1ELNS_22AmdBufferCoherenceEnumE0EiEENSF_IJNS3F_ILS3G_2ESC_S1N_Lb1ELS3I_0EiEES3K_EEENSF_IJiiiEEENSE_INSF_IJNSG_INSF_IJiiiiEEENSF_IJiiiSN_EEELb0EEEEEES1T_S1V_S1U_lEENS_32ThreadwiseTensorSliceTransfer_v2ISD_SD_RKS3R_KS1X_NS5_IJLi8ELi1ELi1ELi32EEEENS5_IJLi1ELi2ELi0ELi3EEEELi3ELi32ELi0ELb1ELb0ELb0EEENS3F_ILS3G_1EKSD_lLb1ELS3I_0EiEENSF_IJNS_12StaticBufferILS3G_4ESD_Li256ELb1EEES42_EEES3N_NS_25StaticBufferTupleOfVectorILS3G_4EfLi64ELi4ELb1ELb0EEEEEvRKT1_RKT2_RT3_RKT4_RT5_RKT6_RKT7_RT8_RKT9_RT10_RKT11_RT12_iENKUlT_E0_clIS20_EEDaS51_EUlS51_E_EEvS51_EUlS51_E_EEvS51_
; %bb.0:
	s_waitcnt vmcnt(0) expcnt(0) lgkmcnt(0)
	flat_load_dwordx4 v[20:23], v[0:1] offset:8
	flat_load_dwordx2 v[18:19], v[0:1] offset:24
	s_movk_i32 s4, 0x7f
                                        ; implicit-def: $sgpr10
	s_waitcnt vmcnt(0) lgkmcnt(0)
	flat_load_dwordx4 v[14:17], v[20:21]
	flat_load_dwordx4 v[10:13], v[22:23]
	flat_load_dwordx4 v[6:9], v[20:21] offset:16
	flat_load_dwordx4 v[2:5], v[22:23] offset:16
	s_waitcnt vmcnt(0) lgkmcnt(0)
	v_cmp_gt_i16_sdwa s[6:7], v14, s4 src0_sel:BYTE_0 src1_sel:DWORD
	s_mov_b64 s[4:5], 0
	s_and_saveexec_b64 s[8:9], s[6:7]
	s_xor_b64 s[6:7], exec, s[8:9]
	s_cbranch_execnz .LBB46_2049
; %bb.1:
	s_or_saveexec_b64 s[6:7], s[6:7]
	v_mov_b32_e32 v20, s10
	s_xor_b64 exec, exec, s[6:7]
	s_cbranch_execnz .LBB46_2052
.LBB46_2:
	s_or_b64 exec, exec, s[6:7]
	s_and_saveexec_b64 s[6:7], s[4:5]
	s_cbranch_execz .LBB46_4
.LBB46_3:
	v_and_b32_e32 v20, 7, v14
	v_ffbh_u32_e32 v22, v20
	v_min_u32_e32 v22, 32, v22
	v_lshrrev_b16_e32 v21, 3, v14
	v_subrev_u32_e32 v23, 28, v22
	v_and_b32_e32 v21, 15, v21
	v_lshlrev_b32_e32 v23, v23, v14
	v_sub_u32_e32 v22, 29, v22
	v_and_b32_e32 v23, 7, v23
	v_cmp_eq_u16_e32 vcc, 0, v21
	v_cndmask_b32_e32 v20, v20, v23, vcc
	v_cndmask_b32_e32 v21, v21, v22, vcc
	v_lshlrev_b32_e32 v22, 24, v14
	v_mov_b32_e32 v23, 0x3b800000
	v_lshlrev_b32_e32 v20, 20, v20
	v_and_b32_e32 v22, 0x80000000, v22
	v_lshl_add_u32 v21, v21, 23, v23
	v_or3_b32 v20, v22, v21, v20
.LBB46_4:
	s_or_b64 exec, exec, s[6:7]
	s_movk_i32 s4, 0x7f
	v_cmp_gt_i16_sdwa s[6:7], v10, s4 src0_sel:BYTE_0 src1_sel:DWORD
	s_mov_b64 s[4:5], 0
                                        ; implicit-def: $sgpr10
	s_and_saveexec_b64 s[8:9], s[6:7]
	s_xor_b64 s[6:7], exec, s[8:9]
	s_cbranch_execnz .LBB46_2053
; %bb.5:
	s_or_saveexec_b64 s[6:7], s[6:7]
	v_mov_b32_e32 v21, s10
	s_xor_b64 exec, exec, s[6:7]
	s_cbranch_execnz .LBB46_2056
.LBB46_6:
	s_or_b64 exec, exec, s[6:7]
	s_and_saveexec_b64 s[6:7], s[4:5]
	s_cbranch_execz .LBB46_8
.LBB46_7:
	v_and_b32_e32 v21, 7, v10
	v_ffbh_u32_e32 v23, v21
	v_min_u32_e32 v23, 32, v23
	v_lshrrev_b16_e32 v22, 3, v10
	v_subrev_u32_e32 v24, 28, v23
	v_and_b32_e32 v22, 15, v22
	v_lshlrev_b32_e32 v24, v24, v10
	v_sub_u32_e32 v23, 29, v23
	v_and_b32_e32 v24, 7, v24
	v_cmp_eq_u16_e32 vcc, 0, v22
	v_cndmask_b32_e32 v21, v21, v24, vcc
	v_cndmask_b32_e32 v22, v22, v23, vcc
	v_lshlrev_b32_e32 v23, 24, v10
	v_mov_b32_e32 v24, 0x3b800000
	v_lshlrev_b32_e32 v21, 20, v21
	v_and_b32_e32 v23, 0x80000000, v23
	v_lshl_add_u32 v22, v22, 23, v24
	v_or3_b32 v21, v23, v22, v21
.LBB46_8:
	s_or_b64 exec, exec, s[6:7]
	flat_load_dwordx4 a[0:3], v[18:19] offset:256
	s_movk_i32 s4, 0x7f
                                        ; implicit-def: $sgpr10
	s_waitcnt vmcnt(0) lgkmcnt(0)
	v_mfma_f32_16x16x4f32 a[0:3], v20, v21, a[0:3]
	v_lshrrev_b32_e32 v21, 8, v14
	v_cmp_gt_i16_sdwa s[6:7], v21, s4 src0_sel:BYTE_0 src1_sel:DWORD
	s_mov_b64 s[4:5], 0
	s_and_saveexec_b64 s[8:9], s[6:7]
	s_xor_b64 s[6:7], exec, s[8:9]
	s_cbranch_execnz .LBB46_2057
; %bb.9:
	s_or_saveexec_b64 s[6:7], s[6:7]
	v_mov_b32_e32 v20, s10
	s_xor_b64 exec, exec, s[6:7]
	s_cbranch_execnz .LBB46_2060
.LBB46_10:
	s_or_b64 exec, exec, s[6:7]
	s_and_saveexec_b64 s[6:7], s[4:5]
	s_cbranch_execz .LBB46_12
.LBB46_11:
	v_bfe_u32 v20, v14, 8, 3
	v_ffbh_u32_e32 v23, v20
	v_min_u32_e32 v23, 32, v23
	v_lshrrev_b16_e32 v22, 3, v21
	v_subrev_u32_e32 v24, 28, v23
	v_and_b32_e32 v22, 15, v22
	v_lshlrev_b32_e32 v21, v24, v21
	v_sub_u32_e32 v23, 29, v23
	v_and_b32_e32 v21, 7, v21
	v_cmp_eq_u16_e32 vcc, 0, v22
	v_cndmask_b32_e32 v20, v20, v21, vcc
	v_cndmask_b32_e32 v21, v22, v23, vcc
	v_lshlrev_b32_e32 v22, 16, v14
	v_mov_b32_e32 v23, 0x3b800000
	v_lshlrev_b32_e32 v20, 20, v20
	v_and_b32_e32 v22, 0x80000000, v22
	v_lshl_add_u32 v21, v21, 23, v23
	v_or3_b32 v20, v22, v21, v20
.LBB46_12:
	s_or_b64 exec, exec, s[6:7]
	v_lshrrev_b32_e32 v21, 8, v10
	s_movk_i32 s4, 0x7f
	v_cmp_gt_i16_sdwa s[6:7], v21, s4 src0_sel:BYTE_0 src1_sel:DWORD
	s_mov_b64 s[4:5], 0
                                        ; implicit-def: $sgpr10
	s_and_saveexec_b64 s[8:9], s[6:7]
	s_xor_b64 s[6:7], exec, s[8:9]
	s_cbranch_execnz .LBB46_2061
; %bb.13:
	s_or_saveexec_b64 s[6:7], s[6:7]
	v_mov_b32_e32 v22, s10
	s_xor_b64 exec, exec, s[6:7]
	s_cbranch_execnz .LBB46_2064
.LBB46_14:
	s_or_b64 exec, exec, s[6:7]
	s_and_saveexec_b64 s[6:7], s[4:5]
	s_cbranch_execz .LBB46_16
.LBB46_15:
	v_bfe_u32 v22, v10, 8, 3
	v_ffbh_u32_e32 v24, v22
	v_min_u32_e32 v24, 32, v24
	v_lshrrev_b16_e32 v23, 3, v21
	v_subrev_u32_e32 v25, 28, v24
	v_and_b32_e32 v23, 15, v23
	v_lshlrev_b32_e32 v21, v25, v21
	v_sub_u32_e32 v24, 29, v24
	v_and_b32_e32 v21, 7, v21
	v_cmp_eq_u16_e32 vcc, 0, v23
	v_cndmask_b32_e32 v21, v22, v21, vcc
	v_cndmask_b32_e32 v22, v23, v24, vcc
	v_lshlrev_b32_e32 v23, 16, v10
	v_mov_b32_e32 v24, 0x3b800000
	v_lshlrev_b32_e32 v21, 20, v21
	v_and_b32_e32 v23, 0x80000000, v23
	v_lshl_add_u32 v22, v22, 23, v24
	v_or3_b32 v22, v23, v22, v21
.LBB46_16:
	s_or_b64 exec, exec, s[6:7]
	s_nop 0
	v_mfma_f32_16x16x4f32 a[0:3], v20, v22, a[0:3]
	s_movk_i32 s4, 0xff
	v_and_b32_sdwa v21, v14, s4 dst_sel:DWORD dst_unused:UNUSED_PAD src0_sel:WORD_1 src1_sel:DWORD
	s_movk_i32 s4, 0x7f
	v_cmp_lt_i16_e32 vcc, s4, v21
	s_mov_b64 s[4:5], 0
                                        ; implicit-def: $sgpr10
	s_and_saveexec_b64 s[6:7], vcc
	s_xor_b64 s[6:7], exec, s[6:7]
	s_cbranch_execnz .LBB46_2065
; %bb.17:
	s_or_saveexec_b64 s[6:7], s[6:7]
	v_mov_b32_e32 v20, s10
	s_xor_b64 exec, exec, s[6:7]
	s_cbranch_execnz .LBB46_2068
.LBB46_18:
	s_or_b64 exec, exec, s[6:7]
	s_and_saveexec_b64 s[6:7], s[4:5]
	s_cbranch_execz .LBB46_20
.LBB46_19:
	v_bfe_u32 v20, v14, 16, 3
	v_ffbh_u32_e32 v23, v20
	v_min_u32_e32 v23, 32, v23
	v_lshrrev_b32_e32 v21, 19, v14
	v_subrev_u32_e32 v24, 28, v23
	v_and_b32_e32 v21, 15, v21
	v_lshlrev_b32_sdwa v24, v24, v14 dst_sel:DWORD dst_unused:UNUSED_PAD src0_sel:DWORD src1_sel:WORD_1
	v_bfe_u32 v22, v14, 19, 4
	v_sub_u32_e32 v23, 29, v23
	v_and_b32_e32 v24, 7, v24
	v_cmp_eq_u16_e32 vcc, 0, v21
	v_cndmask_b32_e32 v20, v20, v24, vcc
	v_cndmask_b32_e32 v21, v22, v23, vcc
	v_lshlrev_b32_e32 v22, 8, v14
	v_mov_b32_e32 v23, 0x3b800000
	v_lshlrev_b32_e32 v20, 20, v20
	v_and_b32_e32 v22, 0x80000000, v22
	v_lshl_add_u32 v21, v21, 23, v23
	v_or3_b32 v20, v22, v21, v20
.LBB46_20:
	s_or_b64 exec, exec, s[6:7]
	s_movk_i32 s4, 0xff
	v_and_b32_sdwa v21, v10, s4 dst_sel:DWORD dst_unused:UNUSED_PAD src0_sel:WORD_1 src1_sel:DWORD
	s_movk_i32 s4, 0x7f
	v_cmp_lt_i16_e32 vcc, s4, v21
	s_mov_b64 s[4:5], 0
                                        ; implicit-def: $sgpr10
	s_and_saveexec_b64 s[6:7], vcc
	s_xor_b64 s[6:7], exec, s[6:7]
	s_cbranch_execnz .LBB46_2069
; %bb.21:
	s_or_saveexec_b64 s[6:7], s[6:7]
	v_mov_b32_e32 v22, s10
	s_xor_b64 exec, exec, s[6:7]
	s_cbranch_execnz .LBB46_2072
.LBB46_22:
	s_or_b64 exec, exec, s[6:7]
	s_and_saveexec_b64 s[6:7], s[4:5]
	s_cbranch_execz .LBB46_24
.LBB46_23:
	v_bfe_u32 v21, v10, 16, 3
	v_ffbh_u32_e32 v24, v21
	v_min_u32_e32 v24, 32, v24
	v_lshrrev_b32_e32 v22, 19, v10
	v_subrev_u32_e32 v25, 28, v24
	v_and_b32_e32 v22, 15, v22
	v_lshlrev_b32_sdwa v25, v25, v10 dst_sel:DWORD dst_unused:UNUSED_PAD src0_sel:DWORD src1_sel:WORD_1
	v_bfe_u32 v23, v10, 19, 4
	v_sub_u32_e32 v24, 29, v24
	v_and_b32_e32 v25, 7, v25
	v_cmp_eq_u16_e32 vcc, 0, v22
	v_cndmask_b32_e32 v21, v21, v25, vcc
	v_cndmask_b32_e32 v22, v23, v24, vcc
	v_lshlrev_b32_e32 v23, 8, v10
	v_mov_b32_e32 v24, 0x3b800000
	v_lshlrev_b32_e32 v21, 20, v21
	v_and_b32_e32 v23, 0x80000000, v23
	v_lshl_add_u32 v22, v22, 23, v24
	v_or3_b32 v22, v23, v22, v21
.LBB46_24:
	s_or_b64 exec, exec, s[6:7]
	s_nop 0
	v_mfma_f32_16x16x4f32 a[0:3], v20, v22, a[0:3]
	s_movk_i32 s4, 0x7f
	v_cmp_gt_i16_sdwa s[6:7], v14, s4 src0_sel:BYTE_3 src1_sel:DWORD
	s_mov_b64 s[4:5], 0
                                        ; implicit-def: $sgpr10
	s_and_saveexec_b64 s[8:9], s[6:7]
	s_xor_b64 s[6:7], exec, s[8:9]
	s_cbranch_execnz .LBB46_2073
; %bb.25:
	s_or_saveexec_b64 s[6:7], s[6:7]
	v_mov_b32_e32 v20, s10
	s_xor_b64 exec, exec, s[6:7]
	s_cbranch_execnz .LBB46_2076
.LBB46_26:
	s_or_b64 exec, exec, s[6:7]
	s_and_saveexec_b64 s[6:7], s[4:5]
	s_cbranch_execz .LBB46_28
.LBB46_27:
	v_bfe_u32 v20, v14, 24, 3
	v_ffbh_u32_e32 v24, v20
	v_min_u32_e32 v24, 32, v24
	v_lshrrev_b32_e32 v22, 27, v14
	v_subrev_u32_e32 v25, 28, v24
	v_and_b32_e32 v21, 0x80000000, v14
	v_and_b32_e32 v22, 15, v22
	v_bfe_u32 v23, v14, 27, 4
	v_lshlrev_b32_sdwa v14, v25, v14 dst_sel:DWORD dst_unused:UNUSED_PAD src0_sel:DWORD src1_sel:BYTE_3
	v_sub_u32_e32 v24, 29, v24
	v_and_b32_e32 v14, 7, v14
	v_cmp_eq_u16_e32 vcc, 0, v22
	v_cndmask_b32_e32 v14, v20, v14, vcc
	v_cndmask_b32_e32 v20, v23, v24, vcc
	v_mov_b32_e32 v22, 0x3b800000
	v_lshlrev_b32_e32 v14, 20, v14
	v_lshl_add_u32 v20, v20, 23, v22
	v_or3_b32 v20, v21, v20, v14
.LBB46_28:
	s_or_b64 exec, exec, s[6:7]
	s_movk_i32 s4, 0x7f
	v_cmp_gt_i16_sdwa s[6:7], v10, s4 src0_sel:BYTE_3 src1_sel:DWORD
	s_mov_b64 s[4:5], 0
                                        ; implicit-def: $sgpr10
	s_and_saveexec_b64 s[8:9], s[6:7]
	s_xor_b64 s[6:7], exec, s[8:9]
	s_cbranch_execnz .LBB46_2077
; %bb.29:
	s_or_saveexec_b64 s[6:7], s[6:7]
	v_mov_b32_e32 v14, s10
	s_xor_b64 exec, exec, s[6:7]
	s_cbranch_execnz .LBB46_2080
.LBB46_30:
	s_or_b64 exec, exec, s[6:7]
	s_and_saveexec_b64 s[6:7], s[4:5]
	s_cbranch_execz .LBB46_32
.LBB46_31:
	v_bfe_u32 v14, v10, 24, 3
	v_ffbh_u32_e32 v24, v14
	v_min_u32_e32 v24, 32, v24
	v_lshrrev_b32_e32 v22, 27, v10
	v_subrev_u32_e32 v25, 28, v24
	v_and_b32_e32 v21, 0x80000000, v10
	v_and_b32_e32 v22, 15, v22
	v_bfe_u32 v23, v10, 27, 4
	v_lshlrev_b32_sdwa v10, v25, v10 dst_sel:DWORD dst_unused:UNUSED_PAD src0_sel:DWORD src1_sel:BYTE_3
	v_sub_u32_e32 v24, 29, v24
	v_and_b32_e32 v10, 7, v10
	v_cmp_eq_u16_e32 vcc, 0, v22
	v_cndmask_b32_e32 v10, v14, v10, vcc
	v_cndmask_b32_e32 v14, v23, v24, vcc
	v_mov_b32_e32 v22, 0x3b800000
	v_lshlrev_b32_e32 v10, 20, v10
	v_lshl_add_u32 v14, v14, 23, v22
	v_or3_b32 v14, v21, v14, v10
.LBB46_32:
	s_or_b64 exec, exec, s[6:7]
	s_nop 0
	v_mfma_f32_16x16x4f32 a[0:3], v20, v14, a[0:3]
	s_movk_i32 s4, 0x7f
	v_cmp_gt_i16_sdwa s[6:7], v15, s4 src0_sel:BYTE_0 src1_sel:DWORD
	s_mov_b64 s[4:5], 0
                                        ; implicit-def: $sgpr10
	s_and_saveexec_b64 s[8:9], s[6:7]
	s_xor_b64 s[6:7], exec, s[8:9]
	s_cbranch_execnz .LBB46_2081
; %bb.33:
	s_or_saveexec_b64 s[6:7], s[6:7]
	v_mov_b32_e32 v10, s10
	s_xor_b64 exec, exec, s[6:7]
	s_cbranch_execnz .LBB46_2084
.LBB46_34:
	s_or_b64 exec, exec, s[6:7]
	s_and_saveexec_b64 s[6:7], s[4:5]
	s_cbranch_execz .LBB46_36
.LBB46_35:
	v_and_b32_e32 v10, 7, v15
	v_ffbh_u32_e32 v20, v10
	v_min_u32_e32 v20, 32, v20
	v_lshrrev_b16_e32 v14, 3, v15
	v_subrev_u32_e32 v21, 28, v20
	v_and_b32_e32 v14, 15, v14
	v_lshlrev_b32_e32 v21, v21, v15
	v_sub_u32_e32 v20, 29, v20
	v_and_b32_e32 v21, 7, v21
	v_cmp_eq_u16_e32 vcc, 0, v14
	v_cndmask_b32_e32 v10, v10, v21, vcc
	v_cndmask_b32_e32 v14, v14, v20, vcc
	v_lshlrev_b32_e32 v20, 24, v15
	v_mov_b32_e32 v21, 0x3b800000
	v_lshlrev_b32_e32 v10, 20, v10
	v_and_b32_e32 v20, 0x80000000, v20
	v_lshl_add_u32 v14, v14, 23, v21
	v_or3_b32 v10, v20, v14, v10
.LBB46_36:
	s_or_b64 exec, exec, s[6:7]
	s_movk_i32 s4, 0x7f
	v_cmp_gt_i16_sdwa s[6:7], v11, s4 src0_sel:BYTE_0 src1_sel:DWORD
	s_mov_b64 s[4:5], 0
                                        ; implicit-def: $sgpr10
	s_and_saveexec_b64 s[8:9], s[6:7]
	s_xor_b64 s[6:7], exec, s[8:9]
	s_cbranch_execnz .LBB46_2085
; %bb.37:
	s_or_saveexec_b64 s[6:7], s[6:7]
	v_mov_b32_e32 v14, s10
	s_xor_b64 exec, exec, s[6:7]
	s_cbranch_execnz .LBB46_2088
.LBB46_38:
	s_or_b64 exec, exec, s[6:7]
	s_and_saveexec_b64 s[6:7], s[4:5]
	s_cbranch_execz .LBB46_40
.LBB46_39:
	v_and_b32_e32 v14, 7, v11
	v_ffbh_u32_e32 v21, v14
	v_min_u32_e32 v21, 32, v21
	v_lshrrev_b16_e32 v20, 3, v11
	v_subrev_u32_e32 v22, 28, v21
	v_and_b32_e32 v20, 15, v20
	v_lshlrev_b32_e32 v22, v22, v11
	v_sub_u32_e32 v21, 29, v21
	v_and_b32_e32 v22, 7, v22
	v_cmp_eq_u16_e32 vcc, 0, v20
	v_cndmask_b32_e32 v14, v14, v22, vcc
	v_cndmask_b32_e32 v20, v20, v21, vcc
	v_lshlrev_b32_e32 v21, 24, v11
	v_mov_b32_e32 v22, 0x3b800000
	v_lshlrev_b32_e32 v14, 20, v14
	v_and_b32_e32 v21, 0x80000000, v21
	v_lshl_add_u32 v20, v20, 23, v22
	v_or3_b32 v14, v21, v20, v14
.LBB46_40:
	s_or_b64 exec, exec, s[6:7]
	s_nop 0
	v_mfma_f32_16x16x4f32 a[0:3], v10, v14, a[0:3]
	v_lshrrev_b32_e32 v14, 8, v15
	s_movk_i32 s4, 0x7f
	v_cmp_gt_i16_sdwa s[6:7], v14, s4 src0_sel:BYTE_0 src1_sel:DWORD
	s_mov_b64 s[4:5], 0
                                        ; implicit-def: $sgpr10
	s_and_saveexec_b64 s[8:9], s[6:7]
	s_xor_b64 s[6:7], exec, s[8:9]
	s_cbranch_execnz .LBB46_2089
; %bb.41:
	s_or_saveexec_b64 s[6:7], s[6:7]
	v_mov_b32_e32 v10, s10
	s_xor_b64 exec, exec, s[6:7]
	s_cbranch_execnz .LBB46_2092
.LBB46_42:
	s_or_b64 exec, exec, s[6:7]
	s_and_saveexec_b64 s[6:7], s[4:5]
	s_cbranch_execz .LBB46_44
.LBB46_43:
	v_bfe_u32 v10, v15, 8, 3
	v_ffbh_u32_e32 v21, v10
	v_min_u32_e32 v21, 32, v21
	v_lshrrev_b16_e32 v20, 3, v14
	v_subrev_u32_e32 v22, 28, v21
	v_and_b32_e32 v20, 15, v20
	v_lshlrev_b32_e32 v14, v22, v14
	v_sub_u32_e32 v21, 29, v21
	v_and_b32_e32 v14, 7, v14
	v_cmp_eq_u16_e32 vcc, 0, v20
	v_cndmask_b32_e32 v10, v10, v14, vcc
	v_cndmask_b32_e32 v14, v20, v21, vcc
	v_lshlrev_b32_e32 v20, 16, v15
	v_mov_b32_e32 v21, 0x3b800000
	v_lshlrev_b32_e32 v10, 20, v10
	v_and_b32_e32 v20, 0x80000000, v20
	v_lshl_add_u32 v14, v14, 23, v21
	v_or3_b32 v10, v20, v14, v10
.LBB46_44:
	s_or_b64 exec, exec, s[6:7]
	v_lshrrev_b32_e32 v14, 8, v11
	s_movk_i32 s4, 0x7f
	v_cmp_gt_i16_sdwa s[6:7], v14, s4 src0_sel:BYTE_0 src1_sel:DWORD
	s_mov_b64 s[4:5], 0
                                        ; implicit-def: $sgpr10
	s_and_saveexec_b64 s[8:9], s[6:7]
	s_xor_b64 s[6:7], exec, s[8:9]
	s_cbranch_execnz .LBB46_2093
; %bb.45:
	s_or_saveexec_b64 s[6:7], s[6:7]
	v_mov_b32_e32 v20, s10
	s_xor_b64 exec, exec, s[6:7]
	s_cbranch_execnz .LBB46_2096
.LBB46_46:
	s_or_b64 exec, exec, s[6:7]
	s_and_saveexec_b64 s[6:7], s[4:5]
	s_cbranch_execz .LBB46_48
.LBB46_47:
	v_bfe_u32 v20, v11, 8, 3
	v_ffbh_u32_e32 v22, v20
	v_min_u32_e32 v22, 32, v22
	v_lshrrev_b16_e32 v21, 3, v14
	v_subrev_u32_e32 v23, 28, v22
	v_and_b32_e32 v21, 15, v21
	v_lshlrev_b32_e32 v14, v23, v14
	v_sub_u32_e32 v22, 29, v22
	v_and_b32_e32 v14, 7, v14
	v_cmp_eq_u16_e32 vcc, 0, v21
	v_cndmask_b32_e32 v14, v20, v14, vcc
	v_cndmask_b32_e32 v20, v21, v22, vcc
	v_lshlrev_b32_e32 v21, 16, v11
	v_mov_b32_e32 v22, 0x3b800000
	v_lshlrev_b32_e32 v14, 20, v14
	v_and_b32_e32 v21, 0x80000000, v21
	v_lshl_add_u32 v20, v20, 23, v22
	v_or3_b32 v20, v21, v20, v14
.LBB46_48:
	s_or_b64 exec, exec, s[6:7]
	s_nop 0
	v_mfma_f32_16x16x4f32 a[0:3], v10, v20, a[0:3]
	s_movk_i32 s4, 0xff
	v_and_b32_sdwa v14, v15, s4 dst_sel:DWORD dst_unused:UNUSED_PAD src0_sel:WORD_1 src1_sel:DWORD
	s_movk_i32 s4, 0x7f
	v_cmp_lt_i16_e32 vcc, s4, v14
	s_mov_b64 s[4:5], 0
                                        ; implicit-def: $sgpr10
	s_and_saveexec_b64 s[6:7], vcc
	s_xor_b64 s[6:7], exec, s[6:7]
	s_cbranch_execnz .LBB46_2097
; %bb.49:
	s_or_saveexec_b64 s[6:7], s[6:7]
	v_mov_b32_e32 v10, s10
	s_xor_b64 exec, exec, s[6:7]
	s_cbranch_execnz .LBB46_2100
.LBB46_50:
	s_or_b64 exec, exec, s[6:7]
	s_and_saveexec_b64 s[6:7], s[4:5]
	s_cbranch_execz .LBB46_52
.LBB46_51:
	v_bfe_u32 v10, v15, 16, 3
	v_ffbh_u32_e32 v21, v10
	v_min_u32_e32 v21, 32, v21
	v_lshrrev_b32_e32 v14, 19, v15
	v_subrev_u32_e32 v22, 28, v21
	v_and_b32_e32 v14, 15, v14
	v_lshlrev_b32_sdwa v22, v22, v15 dst_sel:DWORD dst_unused:UNUSED_PAD src0_sel:DWORD src1_sel:WORD_1
	v_bfe_u32 v20, v15, 19, 4
	v_sub_u32_e32 v21, 29, v21
	v_and_b32_e32 v22, 7, v22
	v_cmp_eq_u16_e32 vcc, 0, v14
	v_cndmask_b32_e32 v10, v10, v22, vcc
	v_cndmask_b32_e32 v14, v20, v21, vcc
	v_lshlrev_b32_e32 v20, 8, v15
	v_mov_b32_e32 v21, 0x3b800000
	v_lshlrev_b32_e32 v10, 20, v10
	v_and_b32_e32 v20, 0x80000000, v20
	v_lshl_add_u32 v14, v14, 23, v21
	v_or3_b32 v10, v20, v14, v10
.LBB46_52:
	s_or_b64 exec, exec, s[6:7]
	s_movk_i32 s4, 0xff
	v_and_b32_sdwa v14, v11, s4 dst_sel:DWORD dst_unused:UNUSED_PAD src0_sel:WORD_1 src1_sel:DWORD
	s_movk_i32 s4, 0x7f
	v_cmp_lt_i16_e32 vcc, s4, v14
	s_mov_b64 s[4:5], 0
                                        ; implicit-def: $sgpr10
	s_and_saveexec_b64 s[6:7], vcc
	s_xor_b64 s[6:7], exec, s[6:7]
	s_cbranch_execnz .LBB46_2101
; %bb.53:
	s_or_saveexec_b64 s[6:7], s[6:7]
	v_mov_b32_e32 v20, s10
	s_xor_b64 exec, exec, s[6:7]
	s_cbranch_execnz .LBB46_2104
.LBB46_54:
	s_or_b64 exec, exec, s[6:7]
	s_and_saveexec_b64 s[6:7], s[4:5]
	s_cbranch_execz .LBB46_56
.LBB46_55:
	v_bfe_u32 v14, v11, 16, 3
	v_ffbh_u32_e32 v22, v14
	v_min_u32_e32 v22, 32, v22
	v_lshrrev_b32_e32 v20, 19, v11
	v_subrev_u32_e32 v23, 28, v22
	v_and_b32_e32 v20, 15, v20
	v_lshlrev_b32_sdwa v23, v23, v11 dst_sel:DWORD dst_unused:UNUSED_PAD src0_sel:DWORD src1_sel:WORD_1
	v_bfe_u32 v21, v11, 19, 4
	v_sub_u32_e32 v22, 29, v22
	v_and_b32_e32 v23, 7, v23
	v_cmp_eq_u16_e32 vcc, 0, v20
	v_cndmask_b32_e32 v14, v14, v23, vcc
	v_cndmask_b32_e32 v20, v21, v22, vcc
	v_lshlrev_b32_e32 v21, 8, v11
	v_mov_b32_e32 v22, 0x3b800000
	v_lshlrev_b32_e32 v14, 20, v14
	v_and_b32_e32 v21, 0x80000000, v21
	v_lshl_add_u32 v20, v20, 23, v22
	v_or3_b32 v20, v21, v20, v14
.LBB46_56:
	s_or_b64 exec, exec, s[6:7]
	s_nop 0
	v_mfma_f32_16x16x4f32 a[0:3], v10, v20, a[0:3]
	s_movk_i32 s4, 0x7f
	v_cmp_gt_i16_sdwa s[6:7], v15, s4 src0_sel:BYTE_3 src1_sel:DWORD
	s_mov_b64 s[4:5], 0
                                        ; implicit-def: $sgpr10
	s_and_saveexec_b64 s[8:9], s[6:7]
	s_xor_b64 s[6:7], exec, s[8:9]
	s_cbranch_execnz .LBB46_2105
; %bb.57:
	s_or_saveexec_b64 s[6:7], s[6:7]
	v_mov_b32_e32 v10, s10
	s_xor_b64 exec, exec, s[6:7]
	s_cbranch_execnz .LBB46_2108
.LBB46_58:
	s_or_b64 exec, exec, s[6:7]
	s_and_saveexec_b64 s[6:7], s[4:5]
	s_cbranch_execz .LBB46_60
.LBB46_59:
	v_bfe_u32 v10, v15, 24, 3
	v_ffbh_u32_e32 v22, v10
	v_min_u32_e32 v22, 32, v22
	v_lshrrev_b32_e32 v20, 27, v15
	v_subrev_u32_e32 v23, 28, v22
	v_and_b32_e32 v14, 0x80000000, v15
	v_and_b32_e32 v20, 15, v20
	v_bfe_u32 v21, v15, 27, 4
	v_lshlrev_b32_sdwa v15, v23, v15 dst_sel:DWORD dst_unused:UNUSED_PAD src0_sel:DWORD src1_sel:BYTE_3
	v_sub_u32_e32 v22, 29, v22
	v_and_b32_e32 v15, 7, v15
	v_cmp_eq_u16_e32 vcc, 0, v20
	v_cndmask_b32_e32 v10, v10, v15, vcc
	v_cndmask_b32_e32 v15, v21, v22, vcc
	v_mov_b32_e32 v20, 0x3b800000
	v_lshlrev_b32_e32 v10, 20, v10
	v_lshl_add_u32 v15, v15, 23, v20
	v_or3_b32 v10, v14, v15, v10
.LBB46_60:
	s_or_b64 exec, exec, s[6:7]
	s_movk_i32 s4, 0x7f
	v_cmp_gt_i16_sdwa s[6:7], v11, s4 src0_sel:BYTE_3 src1_sel:DWORD
	s_mov_b64 s[4:5], 0
                                        ; implicit-def: $sgpr10
	s_and_saveexec_b64 s[8:9], s[6:7]
	s_xor_b64 s[6:7], exec, s[8:9]
	s_cbranch_execnz .LBB46_2109
; %bb.61:
	s_or_saveexec_b64 s[6:7], s[6:7]
	v_mov_b32_e32 v14, s10
	s_xor_b64 exec, exec, s[6:7]
	s_cbranch_execnz .LBB46_2112
.LBB46_62:
	s_or_b64 exec, exec, s[6:7]
	s_and_saveexec_b64 s[6:7], s[4:5]
	s_cbranch_execz .LBB46_64
.LBB46_63:
	v_bfe_u32 v14, v11, 24, 3
	v_ffbh_u32_e32 v22, v14
	v_min_u32_e32 v22, 32, v22
	v_lshrrev_b32_e32 v20, 27, v11
	v_subrev_u32_e32 v23, 28, v22
	v_and_b32_e32 v15, 0x80000000, v11
	v_and_b32_e32 v20, 15, v20
	v_bfe_u32 v21, v11, 27, 4
	v_lshlrev_b32_sdwa v11, v23, v11 dst_sel:DWORD dst_unused:UNUSED_PAD src0_sel:DWORD src1_sel:BYTE_3
	v_sub_u32_e32 v22, 29, v22
	v_and_b32_e32 v11, 7, v11
	v_cmp_eq_u16_e32 vcc, 0, v20
	v_cndmask_b32_e32 v11, v14, v11, vcc
	v_cndmask_b32_e32 v14, v21, v22, vcc
	v_mov_b32_e32 v20, 0x3b800000
	v_lshlrev_b32_e32 v11, 20, v11
	v_lshl_add_u32 v14, v14, 23, v20
	v_or3_b32 v14, v15, v14, v11
.LBB46_64:
	s_or_b64 exec, exec, s[6:7]
	s_nop 0
	v_mfma_f32_16x16x4f32 a[0:3], v10, v14, a[0:3]
	s_movk_i32 s4, 0x7f
	v_cmp_gt_i16_sdwa s[6:7], v16, s4 src0_sel:BYTE_0 src1_sel:DWORD
	s_mov_b64 s[4:5], 0
                                        ; implicit-def: $sgpr10
	s_and_saveexec_b64 s[8:9], s[6:7]
	s_xor_b64 s[6:7], exec, s[8:9]
	s_cbranch_execnz .LBB46_2113
; %bb.65:
	s_or_saveexec_b64 s[6:7], s[6:7]
	v_mov_b32_e32 v10, s10
	s_xor_b64 exec, exec, s[6:7]
	s_cbranch_execnz .LBB46_2116
.LBB46_66:
	s_or_b64 exec, exec, s[6:7]
	s_and_saveexec_b64 s[6:7], s[4:5]
	s_cbranch_execz .LBB46_68
.LBB46_67:
	v_and_b32_e32 v10, 7, v16
	v_ffbh_u32_e32 v14, v10
	v_min_u32_e32 v14, 32, v14
	v_lshrrev_b16_e32 v11, 3, v16
	v_subrev_u32_e32 v15, 28, v14
	v_and_b32_e32 v11, 15, v11
	v_lshlrev_b32_e32 v15, v15, v16
	v_sub_u32_e32 v14, 29, v14
	v_and_b32_e32 v15, 7, v15
	v_cmp_eq_u16_e32 vcc, 0, v11
	v_cndmask_b32_e32 v10, v10, v15, vcc
	v_cndmask_b32_e32 v11, v11, v14, vcc
	v_lshlrev_b32_e32 v14, 24, v16
	v_mov_b32_e32 v15, 0x3b800000
	v_lshlrev_b32_e32 v10, 20, v10
	v_and_b32_e32 v14, 0x80000000, v14
	v_lshl_add_u32 v11, v11, 23, v15
	v_or3_b32 v10, v14, v11, v10
.LBB46_68:
	s_or_b64 exec, exec, s[6:7]
	s_movk_i32 s4, 0x7f
	v_cmp_gt_i16_sdwa s[6:7], v12, s4 src0_sel:BYTE_0 src1_sel:DWORD
	s_mov_b64 s[4:5], 0
                                        ; implicit-def: $sgpr10
	s_and_saveexec_b64 s[8:9], s[6:7]
	s_xor_b64 s[6:7], exec, s[8:9]
	s_cbranch_execnz .LBB46_2117
; %bb.69:
	s_or_saveexec_b64 s[6:7], s[6:7]
	v_mov_b32_e32 v11, s10
	s_xor_b64 exec, exec, s[6:7]
	s_cbranch_execnz .LBB46_2120
.LBB46_70:
	s_or_b64 exec, exec, s[6:7]
	s_and_saveexec_b64 s[6:7], s[4:5]
	s_cbranch_execz .LBB46_72
.LBB46_71:
	v_and_b32_e32 v11, 7, v12
	v_ffbh_u32_e32 v15, v11
	v_min_u32_e32 v15, 32, v15
	v_lshrrev_b16_e32 v14, 3, v12
	v_subrev_u32_e32 v20, 28, v15
	v_and_b32_e32 v14, 15, v14
	v_lshlrev_b32_e32 v20, v20, v12
	v_sub_u32_e32 v15, 29, v15
	v_and_b32_e32 v20, 7, v20
	v_cmp_eq_u16_e32 vcc, 0, v14
	v_cndmask_b32_e32 v11, v11, v20, vcc
	v_cndmask_b32_e32 v14, v14, v15, vcc
	v_lshlrev_b32_e32 v15, 24, v12
	v_mov_b32_e32 v20, 0x3b800000
	v_lshlrev_b32_e32 v11, 20, v11
	v_and_b32_e32 v15, 0x80000000, v15
	v_lshl_add_u32 v14, v14, 23, v20
	v_or3_b32 v11, v15, v14, v11
.LBB46_72:
	s_or_b64 exec, exec, s[6:7]
	s_nop 0
	v_mfma_f32_16x16x4f32 a[0:3], v10, v11, a[0:3]
	v_lshrrev_b32_e32 v11, 8, v16
	s_movk_i32 s4, 0x7f
	v_cmp_gt_i16_sdwa s[6:7], v11, s4 src0_sel:BYTE_0 src1_sel:DWORD
	s_mov_b64 s[4:5], 0
                                        ; implicit-def: $sgpr10
	s_and_saveexec_b64 s[8:9], s[6:7]
	s_xor_b64 s[6:7], exec, s[8:9]
	s_cbranch_execnz .LBB46_2121
; %bb.73:
	s_or_saveexec_b64 s[6:7], s[6:7]
	v_mov_b32_e32 v10, s10
	s_xor_b64 exec, exec, s[6:7]
	s_cbranch_execnz .LBB46_2124
.LBB46_74:
	s_or_b64 exec, exec, s[6:7]
	s_and_saveexec_b64 s[6:7], s[4:5]
	s_cbranch_execz .LBB46_76
.LBB46_75:
	v_bfe_u32 v10, v16, 8, 3
	v_ffbh_u32_e32 v15, v10
	v_min_u32_e32 v15, 32, v15
	v_lshrrev_b16_e32 v14, 3, v11
	v_subrev_u32_e32 v20, 28, v15
	v_and_b32_e32 v14, 15, v14
	v_lshlrev_b32_e32 v11, v20, v11
	v_sub_u32_e32 v15, 29, v15
	v_and_b32_e32 v11, 7, v11
	v_cmp_eq_u16_e32 vcc, 0, v14
	v_cndmask_b32_e32 v10, v10, v11, vcc
	v_cndmask_b32_e32 v11, v14, v15, vcc
	v_lshlrev_b32_e32 v14, 16, v16
	v_mov_b32_e32 v15, 0x3b800000
	v_lshlrev_b32_e32 v10, 20, v10
	v_and_b32_e32 v14, 0x80000000, v14
	v_lshl_add_u32 v11, v11, 23, v15
	v_or3_b32 v10, v14, v11, v10
.LBB46_76:
	s_or_b64 exec, exec, s[6:7]
	v_lshrrev_b32_e32 v11, 8, v12
	s_movk_i32 s4, 0x7f
	v_cmp_gt_i16_sdwa s[6:7], v11, s4 src0_sel:BYTE_0 src1_sel:DWORD
	s_mov_b64 s[4:5], 0
                                        ; implicit-def: $sgpr10
	s_and_saveexec_b64 s[8:9], s[6:7]
	s_xor_b64 s[6:7], exec, s[8:9]
	s_cbranch_execnz .LBB46_2125
; %bb.77:
	s_or_saveexec_b64 s[6:7], s[6:7]
	v_mov_b32_e32 v14, s10
	s_xor_b64 exec, exec, s[6:7]
	s_cbranch_execnz .LBB46_2128
.LBB46_78:
	s_or_b64 exec, exec, s[6:7]
	s_and_saveexec_b64 s[6:7], s[4:5]
	s_cbranch_execz .LBB46_80
.LBB46_79:
	v_bfe_u32 v14, v12, 8, 3
	v_ffbh_u32_e32 v20, v14
	v_min_u32_e32 v20, 32, v20
	v_lshrrev_b16_e32 v15, 3, v11
	v_subrev_u32_e32 v21, 28, v20
	v_and_b32_e32 v15, 15, v15
	v_lshlrev_b32_e32 v11, v21, v11
	v_sub_u32_e32 v20, 29, v20
	v_and_b32_e32 v11, 7, v11
	v_cmp_eq_u16_e32 vcc, 0, v15
	v_cndmask_b32_e32 v11, v14, v11, vcc
	v_cndmask_b32_e32 v14, v15, v20, vcc
	v_lshlrev_b32_e32 v15, 16, v12
	v_mov_b32_e32 v20, 0x3b800000
	v_lshlrev_b32_e32 v11, 20, v11
	v_and_b32_e32 v15, 0x80000000, v15
	v_lshl_add_u32 v14, v14, 23, v20
	v_or3_b32 v14, v15, v14, v11
.LBB46_80:
	s_or_b64 exec, exec, s[6:7]
	s_nop 0
	v_mfma_f32_16x16x4f32 a[0:3], v10, v14, a[0:3]
	s_movk_i32 s4, 0xff
	v_and_b32_sdwa v11, v16, s4 dst_sel:DWORD dst_unused:UNUSED_PAD src0_sel:WORD_1 src1_sel:DWORD
	s_movk_i32 s4, 0x7f
	v_cmp_lt_i16_e32 vcc, s4, v11
	s_mov_b64 s[4:5], 0
                                        ; implicit-def: $sgpr10
	s_and_saveexec_b64 s[6:7], vcc
	s_xor_b64 s[6:7], exec, s[6:7]
	s_cbranch_execnz .LBB46_2129
; %bb.81:
	s_or_saveexec_b64 s[6:7], s[6:7]
	v_mov_b32_e32 v10, s10
	s_xor_b64 exec, exec, s[6:7]
	s_cbranch_execnz .LBB46_2132
.LBB46_82:
	s_or_b64 exec, exec, s[6:7]
	s_and_saveexec_b64 s[6:7], s[4:5]
	s_cbranch_execz .LBB46_84
.LBB46_83:
	v_bfe_u32 v10, v16, 16, 3
	v_ffbh_u32_e32 v15, v10
	v_min_u32_e32 v15, 32, v15
	v_lshrrev_b32_e32 v11, 19, v16
	v_subrev_u32_e32 v20, 28, v15
	v_and_b32_e32 v11, 15, v11
	v_lshlrev_b32_sdwa v20, v20, v16 dst_sel:DWORD dst_unused:UNUSED_PAD src0_sel:DWORD src1_sel:WORD_1
	v_bfe_u32 v14, v16, 19, 4
	v_sub_u32_e32 v15, 29, v15
	v_and_b32_e32 v20, 7, v20
	v_cmp_eq_u16_e32 vcc, 0, v11
	v_cndmask_b32_e32 v10, v10, v20, vcc
	v_cndmask_b32_e32 v11, v14, v15, vcc
	v_lshlrev_b32_e32 v14, 8, v16
	v_mov_b32_e32 v15, 0x3b800000
	v_lshlrev_b32_e32 v10, 20, v10
	v_and_b32_e32 v14, 0x80000000, v14
	v_lshl_add_u32 v11, v11, 23, v15
	v_or3_b32 v10, v14, v11, v10
.LBB46_84:
	s_or_b64 exec, exec, s[6:7]
	s_movk_i32 s4, 0xff
	v_and_b32_sdwa v11, v12, s4 dst_sel:DWORD dst_unused:UNUSED_PAD src0_sel:WORD_1 src1_sel:DWORD
	s_movk_i32 s4, 0x7f
	v_cmp_lt_i16_e32 vcc, s4, v11
	s_mov_b64 s[4:5], 0
                                        ; implicit-def: $sgpr10
	s_and_saveexec_b64 s[6:7], vcc
	s_xor_b64 s[6:7], exec, s[6:7]
	s_cbranch_execnz .LBB46_2133
; %bb.85:
	s_or_saveexec_b64 s[6:7], s[6:7]
	v_mov_b32_e32 v14, s10
	s_xor_b64 exec, exec, s[6:7]
	s_cbranch_execnz .LBB46_2136
.LBB46_86:
	s_or_b64 exec, exec, s[6:7]
	s_and_saveexec_b64 s[6:7], s[4:5]
	s_cbranch_execz .LBB46_88
.LBB46_87:
	v_bfe_u32 v11, v12, 16, 3
	v_ffbh_u32_e32 v20, v11
	v_min_u32_e32 v20, 32, v20
	v_lshrrev_b32_e32 v14, 19, v12
	v_subrev_u32_e32 v21, 28, v20
	v_and_b32_e32 v14, 15, v14
	v_lshlrev_b32_sdwa v21, v21, v12 dst_sel:DWORD dst_unused:UNUSED_PAD src0_sel:DWORD src1_sel:WORD_1
	v_bfe_u32 v15, v12, 19, 4
	v_sub_u32_e32 v20, 29, v20
	v_and_b32_e32 v21, 7, v21
	v_cmp_eq_u16_e32 vcc, 0, v14
	v_cndmask_b32_e32 v11, v11, v21, vcc
	v_cndmask_b32_e32 v14, v15, v20, vcc
	v_lshlrev_b32_e32 v15, 8, v12
	v_mov_b32_e32 v20, 0x3b800000
	v_lshlrev_b32_e32 v11, 20, v11
	v_and_b32_e32 v15, 0x80000000, v15
	v_lshl_add_u32 v14, v14, 23, v20
	v_or3_b32 v14, v15, v14, v11
.LBB46_88:
	s_or_b64 exec, exec, s[6:7]
	s_nop 0
	v_mfma_f32_16x16x4f32 a[0:3], v10, v14, a[0:3]
	s_movk_i32 s4, 0x7f
	v_cmp_gt_i16_sdwa s[6:7], v16, s4 src0_sel:BYTE_3 src1_sel:DWORD
	s_mov_b64 s[4:5], 0
                                        ; implicit-def: $sgpr10
	s_and_saveexec_b64 s[8:9], s[6:7]
	s_xor_b64 s[6:7], exec, s[8:9]
	s_cbranch_execnz .LBB46_2137
; %bb.89:
	s_or_saveexec_b64 s[6:7], s[6:7]
	v_mov_b32_e32 v10, s10
	s_xor_b64 exec, exec, s[6:7]
	s_cbranch_execnz .LBB46_2140
.LBB46_90:
	s_or_b64 exec, exec, s[6:7]
	s_and_saveexec_b64 s[6:7], s[4:5]
	s_cbranch_execz .LBB46_92
.LBB46_91:
	v_bfe_u32 v10, v16, 24, 3
	v_ffbh_u32_e32 v20, v10
	v_min_u32_e32 v20, 32, v20
	v_lshrrev_b32_e32 v14, 27, v16
	v_subrev_u32_e32 v21, 28, v20
	v_and_b32_e32 v11, 0x80000000, v16
	v_and_b32_e32 v14, 15, v14
	v_bfe_u32 v15, v16, 27, 4
	v_lshlrev_b32_sdwa v16, v21, v16 dst_sel:DWORD dst_unused:UNUSED_PAD src0_sel:DWORD src1_sel:BYTE_3
	v_sub_u32_e32 v20, 29, v20
	v_and_b32_e32 v16, 7, v16
	v_cmp_eq_u16_e32 vcc, 0, v14
	v_cndmask_b32_e32 v10, v10, v16, vcc
	v_cndmask_b32_e32 v14, v15, v20, vcc
	v_mov_b32_e32 v15, 0x3b800000
	v_lshlrev_b32_e32 v10, 20, v10
	v_lshl_add_u32 v14, v14, 23, v15
	v_or3_b32 v10, v11, v14, v10
.LBB46_92:
	s_or_b64 exec, exec, s[6:7]
	s_movk_i32 s4, 0x7f
	v_cmp_gt_i16_sdwa s[6:7], v12, s4 src0_sel:BYTE_3 src1_sel:DWORD
	s_mov_b64 s[4:5], 0
                                        ; implicit-def: $sgpr10
	s_and_saveexec_b64 s[8:9], s[6:7]
	s_xor_b64 s[6:7], exec, s[8:9]
	s_cbranch_execnz .LBB46_2141
; %bb.93:
	s_or_saveexec_b64 s[6:7], s[6:7]
	v_mov_b32_e32 v11, s10
	s_xor_b64 exec, exec, s[6:7]
	s_cbranch_execnz .LBB46_2144
.LBB46_94:
	s_or_b64 exec, exec, s[6:7]
	s_and_saveexec_b64 s[6:7], s[4:5]
	s_cbranch_execz .LBB46_96
.LBB46_95:
	v_bfe_u32 v11, v12, 24, 3
	v_ffbh_u32_e32 v20, v11
	v_min_u32_e32 v20, 32, v20
	v_lshrrev_b32_e32 v15, 27, v12
	v_subrev_u32_e32 v21, 28, v20
	v_and_b32_e32 v14, 0x80000000, v12
	v_and_b32_e32 v15, 15, v15
	v_bfe_u32 v16, v12, 27, 4
	v_lshlrev_b32_sdwa v12, v21, v12 dst_sel:DWORD dst_unused:UNUSED_PAD src0_sel:DWORD src1_sel:BYTE_3
	v_sub_u32_e32 v20, 29, v20
	v_and_b32_e32 v12, 7, v12
	v_cmp_eq_u16_e32 vcc, 0, v15
	v_cndmask_b32_e32 v11, v11, v12, vcc
	v_cndmask_b32_e32 v12, v16, v20, vcc
	v_mov_b32_e32 v15, 0x3b800000
	v_lshlrev_b32_e32 v11, 20, v11
	v_lshl_add_u32 v12, v12, 23, v15
	v_or3_b32 v11, v14, v12, v11
.LBB46_96:
	s_or_b64 exec, exec, s[6:7]
	s_nop 0
	v_mfma_f32_16x16x4f32 a[0:3], v10, v11, a[0:3]
	s_movk_i32 s4, 0x7f
	v_cmp_gt_i16_sdwa s[6:7], v17, s4 src0_sel:BYTE_0 src1_sel:DWORD
	s_mov_b64 s[4:5], 0
                                        ; implicit-def: $sgpr10
	s_and_saveexec_b64 s[8:9], s[6:7]
	s_xor_b64 s[6:7], exec, s[8:9]
	s_cbranch_execnz .LBB46_2145
; %bb.97:
	s_or_saveexec_b64 s[6:7], s[6:7]
	v_mov_b32_e32 v10, s10
	s_xor_b64 exec, exec, s[6:7]
	s_cbranch_execnz .LBB46_2148
.LBB46_98:
	s_or_b64 exec, exec, s[6:7]
	s_and_saveexec_b64 s[6:7], s[4:5]
	s_cbranch_execz .LBB46_100
.LBB46_99:
	v_and_b32_e32 v10, 7, v17
	v_ffbh_u32_e32 v12, v10
	v_min_u32_e32 v12, 32, v12
	v_lshrrev_b16_e32 v11, 3, v17
	v_subrev_u32_e32 v14, 28, v12
	v_and_b32_e32 v11, 15, v11
	v_lshlrev_b32_e32 v14, v14, v17
	v_sub_u32_e32 v12, 29, v12
	v_and_b32_e32 v14, 7, v14
	v_cmp_eq_u16_e32 vcc, 0, v11
	v_cndmask_b32_e32 v10, v10, v14, vcc
	v_cndmask_b32_e32 v11, v11, v12, vcc
	v_lshlrev_b32_e32 v12, 24, v17
	v_mov_b32_e32 v14, 0x3b800000
	v_lshlrev_b32_e32 v10, 20, v10
	v_and_b32_e32 v12, 0x80000000, v12
	v_lshl_add_u32 v11, v11, 23, v14
	v_or3_b32 v10, v12, v11, v10
.LBB46_100:
	s_or_b64 exec, exec, s[6:7]
	s_movk_i32 s4, 0x7f
	v_cmp_gt_i16_sdwa s[6:7], v13, s4 src0_sel:BYTE_0 src1_sel:DWORD
	s_mov_b64 s[4:5], 0
                                        ; implicit-def: $sgpr10
	s_and_saveexec_b64 s[8:9], s[6:7]
	s_xor_b64 s[6:7], exec, s[8:9]
	s_cbranch_execnz .LBB46_2149
; %bb.101:
	s_or_saveexec_b64 s[6:7], s[6:7]
	v_mov_b32_e32 v11, s10
	s_xor_b64 exec, exec, s[6:7]
	s_cbranch_execnz .LBB46_2152
.LBB46_102:
	s_or_b64 exec, exec, s[6:7]
	s_and_saveexec_b64 s[6:7], s[4:5]
	s_cbranch_execz .LBB46_104
.LBB46_103:
	v_and_b32_e32 v11, 7, v13
	v_ffbh_u32_e32 v14, v11
	v_min_u32_e32 v14, 32, v14
	v_lshrrev_b16_e32 v12, 3, v13
	v_subrev_u32_e32 v15, 28, v14
	v_and_b32_e32 v12, 15, v12
	v_lshlrev_b32_e32 v15, v15, v13
	v_sub_u32_e32 v14, 29, v14
	v_and_b32_e32 v15, 7, v15
	v_cmp_eq_u16_e32 vcc, 0, v12
	v_cndmask_b32_e32 v11, v11, v15, vcc
	v_cndmask_b32_e32 v12, v12, v14, vcc
	v_lshlrev_b32_e32 v14, 24, v13
	v_mov_b32_e32 v15, 0x3b800000
	v_lshlrev_b32_e32 v11, 20, v11
	v_and_b32_e32 v14, 0x80000000, v14
	v_lshl_add_u32 v12, v12, 23, v15
	v_or3_b32 v11, v14, v12, v11
.LBB46_104:
	s_or_b64 exec, exec, s[6:7]
	s_nop 0
	v_mfma_f32_16x16x4f32 a[0:3], v10, v11, a[0:3]
	v_lshrrev_b32_e32 v11, 8, v17
	s_movk_i32 s4, 0x7f
	v_cmp_gt_i16_sdwa s[6:7], v11, s4 src0_sel:BYTE_0 src1_sel:DWORD
	s_mov_b64 s[4:5], 0
                                        ; implicit-def: $sgpr10
	s_and_saveexec_b64 s[8:9], s[6:7]
	s_xor_b64 s[6:7], exec, s[8:9]
	s_cbranch_execnz .LBB46_2153
; %bb.105:
	s_or_saveexec_b64 s[6:7], s[6:7]
	v_mov_b32_e32 v10, s10
	s_xor_b64 exec, exec, s[6:7]
	s_cbranch_execnz .LBB46_2156
.LBB46_106:
	s_or_b64 exec, exec, s[6:7]
	s_and_saveexec_b64 s[6:7], s[4:5]
	s_cbranch_execz .LBB46_108
.LBB46_107:
	v_bfe_u32 v10, v17, 8, 3
	v_ffbh_u32_e32 v14, v10
	v_min_u32_e32 v14, 32, v14
	v_lshrrev_b16_e32 v12, 3, v11
	v_subrev_u32_e32 v15, 28, v14
	v_and_b32_e32 v12, 15, v12
	v_lshlrev_b32_e32 v11, v15, v11
	v_sub_u32_e32 v14, 29, v14
	v_and_b32_e32 v11, 7, v11
	v_cmp_eq_u16_e32 vcc, 0, v12
	v_cndmask_b32_e32 v10, v10, v11, vcc
	v_cndmask_b32_e32 v11, v12, v14, vcc
	v_lshlrev_b32_e32 v12, 16, v17
	v_mov_b32_e32 v14, 0x3b800000
	v_lshlrev_b32_e32 v10, 20, v10
	v_and_b32_e32 v12, 0x80000000, v12
	v_lshl_add_u32 v11, v11, 23, v14
	v_or3_b32 v10, v12, v11, v10
.LBB46_108:
	s_or_b64 exec, exec, s[6:7]
	v_lshrrev_b32_e32 v11, 8, v13
	s_movk_i32 s4, 0x7f
	v_cmp_gt_i16_sdwa s[6:7], v11, s4 src0_sel:BYTE_0 src1_sel:DWORD
	s_mov_b64 s[4:5], 0
                                        ; implicit-def: $sgpr10
	s_and_saveexec_b64 s[8:9], s[6:7]
	s_xor_b64 s[6:7], exec, s[8:9]
	s_cbranch_execnz .LBB46_2157
; %bb.109:
	s_or_saveexec_b64 s[6:7], s[6:7]
	v_mov_b32_e32 v12, s10
	s_xor_b64 exec, exec, s[6:7]
	s_cbranch_execnz .LBB46_2160
.LBB46_110:
	s_or_b64 exec, exec, s[6:7]
	s_and_saveexec_b64 s[6:7], s[4:5]
	s_cbranch_execz .LBB46_112
.LBB46_111:
	v_bfe_u32 v12, v13, 8, 3
	v_ffbh_u32_e32 v15, v12
	v_min_u32_e32 v15, 32, v15
	v_lshrrev_b16_e32 v14, 3, v11
	v_subrev_u32_e32 v16, 28, v15
	v_and_b32_e32 v14, 15, v14
	v_lshlrev_b32_e32 v11, v16, v11
	v_sub_u32_e32 v15, 29, v15
	v_and_b32_e32 v11, 7, v11
	v_cmp_eq_u16_e32 vcc, 0, v14
	v_cndmask_b32_e32 v11, v12, v11, vcc
	v_cndmask_b32_e32 v12, v14, v15, vcc
	v_lshlrev_b32_e32 v14, 16, v13
	v_mov_b32_e32 v15, 0x3b800000
	v_lshlrev_b32_e32 v11, 20, v11
	v_and_b32_e32 v14, 0x80000000, v14
	v_lshl_add_u32 v12, v12, 23, v15
	v_or3_b32 v12, v14, v12, v11
.LBB46_112:
	s_or_b64 exec, exec, s[6:7]
	s_nop 0
	v_mfma_f32_16x16x4f32 a[0:3], v10, v12, a[0:3]
	s_movk_i32 s4, 0xff
	v_and_b32_sdwa v11, v17, s4 dst_sel:DWORD dst_unused:UNUSED_PAD src0_sel:WORD_1 src1_sel:DWORD
	s_movk_i32 s4, 0x7f
	v_cmp_lt_i16_e32 vcc, s4, v11
	s_mov_b64 s[4:5], 0
                                        ; implicit-def: $sgpr10
	s_and_saveexec_b64 s[6:7], vcc
	s_xor_b64 s[6:7], exec, s[6:7]
	s_cbranch_execnz .LBB46_2161
; %bb.113:
	s_or_saveexec_b64 s[6:7], s[6:7]
	v_mov_b32_e32 v10, s10
	s_xor_b64 exec, exec, s[6:7]
	s_cbranch_execnz .LBB46_2164
.LBB46_114:
	s_or_b64 exec, exec, s[6:7]
	s_and_saveexec_b64 s[6:7], s[4:5]
	s_cbranch_execz .LBB46_116
.LBB46_115:
	v_bfe_u32 v10, v17, 16, 3
	v_ffbh_u32_e32 v14, v10
	v_min_u32_e32 v14, 32, v14
	v_lshrrev_b32_e32 v11, 19, v17
	v_subrev_u32_e32 v15, 28, v14
	v_and_b32_e32 v11, 15, v11
	v_lshlrev_b32_sdwa v15, v15, v17 dst_sel:DWORD dst_unused:UNUSED_PAD src0_sel:DWORD src1_sel:WORD_1
	v_bfe_u32 v12, v17, 19, 4
	v_sub_u32_e32 v14, 29, v14
	v_and_b32_e32 v15, 7, v15
	v_cmp_eq_u16_e32 vcc, 0, v11
	v_cndmask_b32_e32 v10, v10, v15, vcc
	v_cndmask_b32_e32 v11, v12, v14, vcc
	v_lshlrev_b32_e32 v12, 8, v17
	v_mov_b32_e32 v14, 0x3b800000
	v_lshlrev_b32_e32 v10, 20, v10
	v_and_b32_e32 v12, 0x80000000, v12
	v_lshl_add_u32 v11, v11, 23, v14
	v_or3_b32 v10, v12, v11, v10
.LBB46_116:
	s_or_b64 exec, exec, s[6:7]
	s_movk_i32 s4, 0xff
	v_and_b32_sdwa v11, v13, s4 dst_sel:DWORD dst_unused:UNUSED_PAD src0_sel:WORD_1 src1_sel:DWORD
	s_movk_i32 s4, 0x7f
	v_cmp_lt_i16_e32 vcc, s4, v11
	s_mov_b64 s[4:5], 0
                                        ; implicit-def: $sgpr10
	s_and_saveexec_b64 s[6:7], vcc
	s_xor_b64 s[6:7], exec, s[6:7]
	s_cbranch_execnz .LBB46_2165
; %bb.117:
	s_or_saveexec_b64 s[6:7], s[6:7]
	v_mov_b32_e32 v12, s10
	s_xor_b64 exec, exec, s[6:7]
	s_cbranch_execnz .LBB46_2168
.LBB46_118:
	s_or_b64 exec, exec, s[6:7]
	s_and_saveexec_b64 s[6:7], s[4:5]
	s_cbranch_execz .LBB46_120
.LBB46_119:
	v_bfe_u32 v11, v13, 16, 3
	v_ffbh_u32_e32 v15, v11
	v_min_u32_e32 v15, 32, v15
	v_lshrrev_b32_e32 v12, 19, v13
	v_subrev_u32_e32 v16, 28, v15
	v_and_b32_e32 v12, 15, v12
	v_lshlrev_b32_sdwa v16, v16, v13 dst_sel:DWORD dst_unused:UNUSED_PAD src0_sel:DWORD src1_sel:WORD_1
	v_bfe_u32 v14, v13, 19, 4
	v_sub_u32_e32 v15, 29, v15
	v_and_b32_e32 v16, 7, v16
	v_cmp_eq_u16_e32 vcc, 0, v12
	v_cndmask_b32_e32 v11, v11, v16, vcc
	v_cndmask_b32_e32 v12, v14, v15, vcc
	v_lshlrev_b32_e32 v14, 8, v13
	v_mov_b32_e32 v15, 0x3b800000
	v_lshlrev_b32_e32 v11, 20, v11
	v_and_b32_e32 v14, 0x80000000, v14
	v_lshl_add_u32 v12, v12, 23, v15
	v_or3_b32 v12, v14, v12, v11
.LBB46_120:
	s_or_b64 exec, exec, s[6:7]
	s_nop 0
	v_mfma_f32_16x16x4f32 a[0:3], v10, v12, a[0:3]
	s_movk_i32 s4, 0x7f
	v_cmp_gt_i16_sdwa s[6:7], v17, s4 src0_sel:BYTE_3 src1_sel:DWORD
	s_mov_b64 s[4:5], 0
                                        ; implicit-def: $sgpr10
	s_and_saveexec_b64 s[8:9], s[6:7]
	s_xor_b64 s[6:7], exec, s[8:9]
	s_cbranch_execnz .LBB46_2169
; %bb.121:
	s_or_saveexec_b64 s[6:7], s[6:7]
	v_mov_b32_e32 v10, s10
	s_xor_b64 exec, exec, s[6:7]
	s_cbranch_execnz .LBB46_2172
.LBB46_122:
	s_or_b64 exec, exec, s[6:7]
	s_and_saveexec_b64 s[6:7], s[4:5]
	s_cbranch_execz .LBB46_124
.LBB46_123:
	v_bfe_u32 v10, v17, 24, 3
	v_ffbh_u32_e32 v15, v10
	v_min_u32_e32 v15, 32, v15
	v_lshrrev_b32_e32 v12, 27, v17
	v_subrev_u32_e32 v16, 28, v15
	v_and_b32_e32 v12, 15, v12
	v_lshlrev_b32_sdwa v16, v16, v17 dst_sel:DWORD dst_unused:UNUSED_PAD src0_sel:DWORD src1_sel:BYTE_3
	v_bfe_u32 v14, v17, 27, 4
	v_sub_u32_e32 v15, 29, v15
	v_and_b32_e32 v16, 7, v16
	v_cmp_eq_u16_e32 vcc, 0, v12
	v_cndmask_b32_e32 v10, v10, v16, vcc
	v_cndmask_b32_e32 v12, v14, v15, vcc
	v_mov_b32_e32 v14, 0x3b800000
	v_and_b32_e32 v11, 0x80000000, v17
	v_lshlrev_b32_e32 v10, 20, v10
	v_lshl_add_u32 v12, v12, 23, v14
	v_or3_b32 v10, v11, v12, v10
.LBB46_124:
	s_or_b64 exec, exec, s[6:7]
	s_movk_i32 s4, 0x7f
	v_cmp_gt_i16_sdwa s[6:7], v13, s4 src0_sel:BYTE_3 src1_sel:DWORD
	s_mov_b64 s[4:5], 0
                                        ; implicit-def: $sgpr10
	s_and_saveexec_b64 s[8:9], s[6:7]
	s_xor_b64 s[6:7], exec, s[8:9]
	s_cbranch_execnz .LBB46_2173
; %bb.125:
	s_or_saveexec_b64 s[6:7], s[6:7]
	v_mov_b32_e32 v11, s10
	s_xor_b64 exec, exec, s[6:7]
	s_cbranch_execnz .LBB46_2176
.LBB46_126:
	s_or_b64 exec, exec, s[6:7]
	s_and_saveexec_b64 s[6:7], s[4:5]
	s_cbranch_execz .LBB46_128
.LBB46_127:
	v_bfe_u32 v11, v13, 24, 3
	v_ffbh_u32_e32 v16, v11
	v_min_u32_e32 v16, 32, v16
	v_lshrrev_b32_e32 v14, 27, v13
	v_subrev_u32_e32 v17, 28, v16
	v_and_b32_e32 v12, 0x80000000, v13
	v_and_b32_e32 v14, 15, v14
	v_bfe_u32 v15, v13, 27, 4
	v_lshlrev_b32_sdwa v13, v17, v13 dst_sel:DWORD dst_unused:UNUSED_PAD src0_sel:DWORD src1_sel:BYTE_3
	v_sub_u32_e32 v16, 29, v16
	v_and_b32_e32 v13, 7, v13
	v_cmp_eq_u16_e32 vcc, 0, v14
	v_cndmask_b32_e32 v11, v11, v13, vcc
	v_cndmask_b32_e32 v13, v15, v16, vcc
	v_mov_b32_e32 v14, 0x3b800000
	v_lshlrev_b32_e32 v11, 20, v11
	v_lshl_add_u32 v13, v13, 23, v14
	v_or3_b32 v11, v12, v13, v11
.LBB46_128:
	s_or_b64 exec, exec, s[6:7]
	s_nop 0
	v_mfma_f32_16x16x4f32 a[0:3], v10, v11, a[0:3]
	s_movk_i32 s4, 0x7f
	v_cmp_gt_i16_sdwa s[6:7], v6, s4 src0_sel:BYTE_0 src1_sel:DWORD
	s_mov_b64 s[4:5], 0
                                        ; implicit-def: $sgpr10
	s_and_saveexec_b64 s[8:9], s[6:7]
	s_xor_b64 s[6:7], exec, s[8:9]
	s_cbranch_execnz .LBB46_2177
; %bb.129:
	s_or_saveexec_b64 s[6:7], s[6:7]
	v_mov_b32_e32 v10, s10
	s_xor_b64 exec, exec, s[6:7]
	s_cbranch_execnz .LBB46_2180
.LBB46_130:
	s_or_b64 exec, exec, s[6:7]
	s_and_saveexec_b64 s[6:7], s[4:5]
	s_cbranch_execz .LBB46_132
.LBB46_131:
	v_and_b32_e32 v10, 7, v6
	v_ffbh_u32_e32 v12, v10
	v_min_u32_e32 v12, 32, v12
	v_lshrrev_b16_e32 v11, 3, v6
	v_subrev_u32_e32 v13, 28, v12
	v_and_b32_e32 v11, 15, v11
	v_lshlrev_b32_e32 v13, v13, v6
	v_sub_u32_e32 v12, 29, v12
	v_and_b32_e32 v13, 7, v13
	v_cmp_eq_u16_e32 vcc, 0, v11
	v_cndmask_b32_e32 v10, v10, v13, vcc
	v_cndmask_b32_e32 v11, v11, v12, vcc
	v_lshlrev_b32_e32 v12, 24, v6
	v_mov_b32_e32 v13, 0x3b800000
	v_lshlrev_b32_e32 v10, 20, v10
	v_and_b32_e32 v12, 0x80000000, v12
	v_lshl_add_u32 v11, v11, 23, v13
	v_or3_b32 v10, v12, v11, v10
.LBB46_132:
	s_or_b64 exec, exec, s[6:7]
	s_movk_i32 s4, 0x7f
	v_cmp_gt_i16_sdwa s[6:7], v2, s4 src0_sel:BYTE_0 src1_sel:DWORD
	s_mov_b64 s[4:5], 0
                                        ; implicit-def: $sgpr10
	s_and_saveexec_b64 s[8:9], s[6:7]
	s_xor_b64 s[6:7], exec, s[8:9]
	s_cbranch_execnz .LBB46_2181
; %bb.133:
	s_or_saveexec_b64 s[6:7], s[6:7]
	v_mov_b32_e32 v11, s10
	s_xor_b64 exec, exec, s[6:7]
	s_cbranch_execnz .LBB46_2184
.LBB46_134:
	s_or_b64 exec, exec, s[6:7]
	s_and_saveexec_b64 s[6:7], s[4:5]
	s_cbranch_execz .LBB46_136
.LBB46_135:
	v_and_b32_e32 v11, 7, v2
	v_ffbh_u32_e32 v13, v11
	v_min_u32_e32 v13, 32, v13
	v_lshrrev_b16_e32 v12, 3, v2
	v_subrev_u32_e32 v14, 28, v13
	v_and_b32_e32 v12, 15, v12
	v_lshlrev_b32_e32 v14, v14, v2
	v_sub_u32_e32 v13, 29, v13
	v_and_b32_e32 v14, 7, v14
	v_cmp_eq_u16_e32 vcc, 0, v12
	v_cndmask_b32_e32 v11, v11, v14, vcc
	v_cndmask_b32_e32 v12, v12, v13, vcc
	v_lshlrev_b32_e32 v13, 24, v2
	v_mov_b32_e32 v14, 0x3b800000
	v_lshlrev_b32_e32 v11, 20, v11
	v_and_b32_e32 v13, 0x80000000, v13
	v_lshl_add_u32 v12, v12, 23, v14
	v_or3_b32 v11, v13, v12, v11
.LBB46_136:
	s_or_b64 exec, exec, s[6:7]
	s_nop 0
	v_mfma_f32_16x16x4f32 a[0:3], v10, v11, a[0:3]
	v_lshrrev_b32_e32 v11, 8, v6
	s_movk_i32 s4, 0x7f
	v_cmp_gt_i16_sdwa s[6:7], v11, s4 src0_sel:BYTE_0 src1_sel:DWORD
	s_mov_b64 s[4:5], 0
                                        ; implicit-def: $sgpr10
	s_and_saveexec_b64 s[8:9], s[6:7]
	s_xor_b64 s[6:7], exec, s[8:9]
	s_cbranch_execnz .LBB46_2185
; %bb.137:
	s_or_saveexec_b64 s[6:7], s[6:7]
	v_mov_b32_e32 v10, s10
	s_xor_b64 exec, exec, s[6:7]
	s_cbranch_execnz .LBB46_2188
.LBB46_138:
	s_or_b64 exec, exec, s[6:7]
	s_and_saveexec_b64 s[6:7], s[4:5]
	s_cbranch_execz .LBB46_140
.LBB46_139:
	v_bfe_u32 v10, v6, 8, 3
	v_ffbh_u32_e32 v13, v10
	v_min_u32_e32 v13, 32, v13
	v_lshrrev_b16_e32 v12, 3, v11
	v_subrev_u32_e32 v14, 28, v13
	v_and_b32_e32 v12, 15, v12
	v_lshlrev_b32_e32 v11, v14, v11
	v_sub_u32_e32 v13, 29, v13
	v_and_b32_e32 v11, 7, v11
	v_cmp_eq_u16_e32 vcc, 0, v12
	v_cndmask_b32_e32 v10, v10, v11, vcc
	v_cndmask_b32_e32 v11, v12, v13, vcc
	v_lshlrev_b32_e32 v12, 16, v6
	v_mov_b32_e32 v13, 0x3b800000
	v_lshlrev_b32_e32 v10, 20, v10
	v_and_b32_e32 v12, 0x80000000, v12
	v_lshl_add_u32 v11, v11, 23, v13
	v_or3_b32 v10, v12, v11, v10
.LBB46_140:
	s_or_b64 exec, exec, s[6:7]
	v_lshrrev_b32_e32 v11, 8, v2
	s_movk_i32 s4, 0x7f
	v_cmp_gt_i16_sdwa s[6:7], v11, s4 src0_sel:BYTE_0 src1_sel:DWORD
	s_mov_b64 s[4:5], 0
                                        ; implicit-def: $sgpr10
	s_and_saveexec_b64 s[8:9], s[6:7]
	s_xor_b64 s[6:7], exec, s[8:9]
	s_cbranch_execnz .LBB46_2189
; %bb.141:
	s_or_saveexec_b64 s[6:7], s[6:7]
	v_mov_b32_e32 v12, s10
	s_xor_b64 exec, exec, s[6:7]
	s_cbranch_execnz .LBB46_2192
.LBB46_142:
	s_or_b64 exec, exec, s[6:7]
	s_and_saveexec_b64 s[6:7], s[4:5]
	s_cbranch_execz .LBB46_144
.LBB46_143:
	v_bfe_u32 v12, v2, 8, 3
	v_ffbh_u32_e32 v14, v12
	v_min_u32_e32 v14, 32, v14
	v_lshrrev_b16_e32 v13, 3, v11
	v_subrev_u32_e32 v15, 28, v14
	v_and_b32_e32 v13, 15, v13
	v_lshlrev_b32_e32 v11, v15, v11
	v_sub_u32_e32 v14, 29, v14
	v_and_b32_e32 v11, 7, v11
	v_cmp_eq_u16_e32 vcc, 0, v13
	v_cndmask_b32_e32 v11, v12, v11, vcc
	v_cndmask_b32_e32 v12, v13, v14, vcc
	v_lshlrev_b32_e32 v13, 16, v2
	v_mov_b32_e32 v14, 0x3b800000
	v_lshlrev_b32_e32 v11, 20, v11
	v_and_b32_e32 v13, 0x80000000, v13
	v_lshl_add_u32 v12, v12, 23, v14
	v_or3_b32 v12, v13, v12, v11
.LBB46_144:
	s_or_b64 exec, exec, s[6:7]
	s_nop 0
	v_mfma_f32_16x16x4f32 a[0:3], v10, v12, a[0:3]
	s_movk_i32 s4, 0xff
	v_and_b32_sdwa v11, v6, s4 dst_sel:DWORD dst_unused:UNUSED_PAD src0_sel:WORD_1 src1_sel:DWORD
	s_movk_i32 s4, 0x7f
	v_cmp_lt_i16_e32 vcc, s4, v11
	s_mov_b64 s[4:5], 0
                                        ; implicit-def: $sgpr10
	s_and_saveexec_b64 s[6:7], vcc
	s_xor_b64 s[6:7], exec, s[6:7]
	s_cbranch_execnz .LBB46_2193
; %bb.145:
	s_or_saveexec_b64 s[6:7], s[6:7]
	v_mov_b32_e32 v10, s10
	s_xor_b64 exec, exec, s[6:7]
	s_cbranch_execnz .LBB46_2196
.LBB46_146:
	s_or_b64 exec, exec, s[6:7]
	s_and_saveexec_b64 s[6:7], s[4:5]
	s_cbranch_execz .LBB46_148
.LBB46_147:
	v_bfe_u32 v10, v6, 16, 3
	v_ffbh_u32_e32 v13, v10
	v_min_u32_e32 v13, 32, v13
	v_lshrrev_b32_e32 v11, 19, v6
	v_subrev_u32_e32 v14, 28, v13
	v_and_b32_e32 v11, 15, v11
	v_lshlrev_b32_sdwa v14, v14, v6 dst_sel:DWORD dst_unused:UNUSED_PAD src0_sel:DWORD src1_sel:WORD_1
	v_bfe_u32 v12, v6, 19, 4
	v_sub_u32_e32 v13, 29, v13
	v_and_b32_e32 v14, 7, v14
	v_cmp_eq_u16_e32 vcc, 0, v11
	v_cndmask_b32_e32 v10, v10, v14, vcc
	v_cndmask_b32_e32 v11, v12, v13, vcc
	v_lshlrev_b32_e32 v12, 8, v6
	v_mov_b32_e32 v13, 0x3b800000
	v_lshlrev_b32_e32 v10, 20, v10
	v_and_b32_e32 v12, 0x80000000, v12
	v_lshl_add_u32 v11, v11, 23, v13
	v_or3_b32 v10, v12, v11, v10
.LBB46_148:
	s_or_b64 exec, exec, s[6:7]
	s_movk_i32 s4, 0xff
	v_and_b32_sdwa v11, v2, s4 dst_sel:DWORD dst_unused:UNUSED_PAD src0_sel:WORD_1 src1_sel:DWORD
	s_movk_i32 s4, 0x7f
	v_cmp_lt_i16_e32 vcc, s4, v11
	s_mov_b64 s[4:5], 0
                                        ; implicit-def: $sgpr10
	s_and_saveexec_b64 s[6:7], vcc
	s_xor_b64 s[6:7], exec, s[6:7]
	s_cbranch_execnz .LBB46_2197
; %bb.149:
	s_or_saveexec_b64 s[6:7], s[6:7]
	v_mov_b32_e32 v12, s10
	s_xor_b64 exec, exec, s[6:7]
	s_cbranch_execnz .LBB46_2200
.LBB46_150:
	s_or_b64 exec, exec, s[6:7]
	s_and_saveexec_b64 s[6:7], s[4:5]
	s_cbranch_execz .LBB46_152
.LBB46_151:
	v_bfe_u32 v11, v2, 16, 3
	v_ffbh_u32_e32 v14, v11
	v_min_u32_e32 v14, 32, v14
	v_lshrrev_b32_e32 v12, 19, v2
	v_subrev_u32_e32 v15, 28, v14
	v_and_b32_e32 v12, 15, v12
	v_lshlrev_b32_sdwa v15, v15, v2 dst_sel:DWORD dst_unused:UNUSED_PAD src0_sel:DWORD src1_sel:WORD_1
	v_bfe_u32 v13, v2, 19, 4
	v_sub_u32_e32 v14, 29, v14
	v_and_b32_e32 v15, 7, v15
	v_cmp_eq_u16_e32 vcc, 0, v12
	v_cndmask_b32_e32 v11, v11, v15, vcc
	v_cndmask_b32_e32 v12, v13, v14, vcc
	v_lshlrev_b32_e32 v13, 8, v2
	v_mov_b32_e32 v14, 0x3b800000
	v_lshlrev_b32_e32 v11, 20, v11
	v_and_b32_e32 v13, 0x80000000, v13
	v_lshl_add_u32 v12, v12, 23, v14
	v_or3_b32 v12, v13, v12, v11
.LBB46_152:
	s_or_b64 exec, exec, s[6:7]
	s_nop 0
	v_mfma_f32_16x16x4f32 a[0:3], v10, v12, a[0:3]
	s_movk_i32 s4, 0x7f
	v_cmp_gt_i16_sdwa s[6:7], v6, s4 src0_sel:BYTE_3 src1_sel:DWORD
	s_mov_b64 s[4:5], 0
                                        ; implicit-def: $sgpr10
	s_and_saveexec_b64 s[8:9], s[6:7]
	s_xor_b64 s[6:7], exec, s[8:9]
	s_cbranch_execnz .LBB46_2201
; %bb.153:
	s_or_saveexec_b64 s[6:7], s[6:7]
	v_mov_b32_e32 v10, s10
	s_xor_b64 exec, exec, s[6:7]
	s_cbranch_execnz .LBB46_2204
.LBB46_154:
	s_or_b64 exec, exec, s[6:7]
	s_and_saveexec_b64 s[6:7], s[4:5]
	s_cbranch_execz .LBB46_156
.LBB46_155:
	v_bfe_u32 v10, v6, 24, 3
	v_ffbh_u32_e32 v14, v10
	v_min_u32_e32 v14, 32, v14
	v_lshrrev_b32_e32 v12, 27, v6
	v_subrev_u32_e32 v15, 28, v14
	v_and_b32_e32 v11, 0x80000000, v6
	v_and_b32_e32 v12, 15, v12
	v_bfe_u32 v13, v6, 27, 4
	v_lshlrev_b32_sdwa v6, v15, v6 dst_sel:DWORD dst_unused:UNUSED_PAD src0_sel:DWORD src1_sel:BYTE_3
	v_sub_u32_e32 v14, 29, v14
	v_and_b32_e32 v6, 7, v6
	v_cmp_eq_u16_e32 vcc, 0, v12
	v_cndmask_b32_e32 v6, v10, v6, vcc
	v_cndmask_b32_e32 v10, v13, v14, vcc
	v_mov_b32_e32 v12, 0x3b800000
	v_lshlrev_b32_e32 v6, 20, v6
	v_lshl_add_u32 v10, v10, 23, v12
	v_or3_b32 v10, v11, v10, v6
.LBB46_156:
	s_or_b64 exec, exec, s[6:7]
	s_movk_i32 s4, 0x7f
	v_cmp_gt_i16_sdwa s[6:7], v2, s4 src0_sel:BYTE_3 src1_sel:DWORD
	s_mov_b64 s[4:5], 0
                                        ; implicit-def: $sgpr10
	s_and_saveexec_b64 s[8:9], s[6:7]
	s_xor_b64 s[6:7], exec, s[8:9]
	s_cbranch_execnz .LBB46_2205
; %bb.157:
	s_or_saveexec_b64 s[6:7], s[6:7]
	v_mov_b32_e32 v6, s10
	s_xor_b64 exec, exec, s[6:7]
	s_cbranch_execnz .LBB46_2208
.LBB46_158:
	s_or_b64 exec, exec, s[6:7]
	s_and_saveexec_b64 s[6:7], s[4:5]
	s_cbranch_execz .LBB46_160
.LBB46_159:
	v_bfe_u32 v6, v2, 24, 3
	v_ffbh_u32_e32 v14, v6
	v_min_u32_e32 v14, 32, v14
	v_lshrrev_b32_e32 v12, 27, v2
	v_subrev_u32_e32 v15, 28, v14
	v_and_b32_e32 v11, 0x80000000, v2
	v_and_b32_e32 v12, 15, v12
	v_bfe_u32 v13, v2, 27, 4
	v_lshlrev_b32_sdwa v2, v15, v2 dst_sel:DWORD dst_unused:UNUSED_PAD src0_sel:DWORD src1_sel:BYTE_3
	v_sub_u32_e32 v14, 29, v14
	v_and_b32_e32 v2, 7, v2
	v_cmp_eq_u16_e32 vcc, 0, v12
	v_cndmask_b32_e32 v2, v6, v2, vcc
	v_cndmask_b32_e32 v6, v13, v14, vcc
	v_mov_b32_e32 v12, 0x3b800000
	v_lshlrev_b32_e32 v2, 20, v2
	v_lshl_add_u32 v6, v6, 23, v12
	v_or3_b32 v6, v11, v6, v2
.LBB46_160:
	s_or_b64 exec, exec, s[6:7]
	s_nop 0
	v_mfma_f32_16x16x4f32 a[0:3], v10, v6, a[0:3]
	s_movk_i32 s4, 0x7f
	v_cmp_gt_i16_sdwa s[6:7], v7, s4 src0_sel:BYTE_0 src1_sel:DWORD
	s_mov_b64 s[4:5], 0
                                        ; implicit-def: $sgpr10
	s_and_saveexec_b64 s[8:9], s[6:7]
	s_xor_b64 s[6:7], exec, s[8:9]
	s_cbranch_execnz .LBB46_2209
; %bb.161:
	s_or_saveexec_b64 s[6:7], s[6:7]
	v_mov_b32_e32 v2, s10
	s_xor_b64 exec, exec, s[6:7]
	s_cbranch_execnz .LBB46_2212
.LBB46_162:
	s_or_b64 exec, exec, s[6:7]
	s_and_saveexec_b64 s[6:7], s[4:5]
	s_cbranch_execz .LBB46_164
.LBB46_163:
	v_and_b32_e32 v2, 7, v7
	v_ffbh_u32_e32 v10, v2
	v_min_u32_e32 v10, 32, v10
	v_lshrrev_b16_e32 v6, 3, v7
	v_subrev_u32_e32 v11, 28, v10
	v_and_b32_e32 v6, 15, v6
	v_lshlrev_b32_e32 v11, v11, v7
	v_sub_u32_e32 v10, 29, v10
	v_and_b32_e32 v11, 7, v11
	v_cmp_eq_u16_e32 vcc, 0, v6
	v_cndmask_b32_e32 v2, v2, v11, vcc
	v_cndmask_b32_e32 v6, v6, v10, vcc
	v_lshlrev_b32_e32 v10, 24, v7
	v_mov_b32_e32 v11, 0x3b800000
	v_lshlrev_b32_e32 v2, 20, v2
	v_and_b32_e32 v10, 0x80000000, v10
	v_lshl_add_u32 v6, v6, 23, v11
	v_or3_b32 v2, v10, v6, v2
.LBB46_164:
	s_or_b64 exec, exec, s[6:7]
	s_movk_i32 s4, 0x7f
	v_cmp_gt_i16_sdwa s[6:7], v3, s4 src0_sel:BYTE_0 src1_sel:DWORD
	s_mov_b64 s[4:5], 0
                                        ; implicit-def: $sgpr10
	s_and_saveexec_b64 s[8:9], s[6:7]
	s_xor_b64 s[6:7], exec, s[8:9]
	s_cbranch_execnz .LBB46_2213
; %bb.165:
	s_or_saveexec_b64 s[6:7], s[6:7]
	v_mov_b32_e32 v6, s10
	s_xor_b64 exec, exec, s[6:7]
	s_cbranch_execnz .LBB46_2216
.LBB46_166:
	s_or_b64 exec, exec, s[6:7]
	s_and_saveexec_b64 s[6:7], s[4:5]
	s_cbranch_execz .LBB46_168
.LBB46_167:
	v_and_b32_e32 v6, 7, v3
	v_ffbh_u32_e32 v11, v6
	v_min_u32_e32 v11, 32, v11
	v_lshrrev_b16_e32 v10, 3, v3
	v_subrev_u32_e32 v12, 28, v11
	v_and_b32_e32 v10, 15, v10
	v_lshlrev_b32_e32 v12, v12, v3
	v_sub_u32_e32 v11, 29, v11
	v_and_b32_e32 v12, 7, v12
	v_cmp_eq_u16_e32 vcc, 0, v10
	v_cndmask_b32_e32 v6, v6, v12, vcc
	v_cndmask_b32_e32 v10, v10, v11, vcc
	v_lshlrev_b32_e32 v11, 24, v3
	v_mov_b32_e32 v12, 0x3b800000
	v_lshlrev_b32_e32 v6, 20, v6
	v_and_b32_e32 v11, 0x80000000, v11
	v_lshl_add_u32 v10, v10, 23, v12
	v_or3_b32 v6, v11, v10, v6
.LBB46_168:
	s_or_b64 exec, exec, s[6:7]
	s_nop 0
	v_mfma_f32_16x16x4f32 a[0:3], v2, v6, a[0:3]
	v_lshrrev_b32_e32 v6, 8, v7
	s_movk_i32 s4, 0x7f
	v_cmp_gt_i16_sdwa s[6:7], v6, s4 src0_sel:BYTE_0 src1_sel:DWORD
	s_mov_b64 s[4:5], 0
                                        ; implicit-def: $sgpr10
	s_and_saveexec_b64 s[8:9], s[6:7]
	s_xor_b64 s[6:7], exec, s[8:9]
	s_cbranch_execnz .LBB46_2217
; %bb.169:
	s_or_saveexec_b64 s[6:7], s[6:7]
	v_mov_b32_e32 v2, s10
	s_xor_b64 exec, exec, s[6:7]
	s_cbranch_execnz .LBB46_2220
.LBB46_170:
	s_or_b64 exec, exec, s[6:7]
	s_and_saveexec_b64 s[6:7], s[4:5]
	s_cbranch_execz .LBB46_172
.LBB46_171:
	v_bfe_u32 v2, v7, 8, 3
	v_ffbh_u32_e32 v11, v2
	v_min_u32_e32 v11, 32, v11
	v_lshrrev_b16_e32 v10, 3, v6
	v_subrev_u32_e32 v12, 28, v11
	v_and_b32_e32 v10, 15, v10
	v_lshlrev_b32_e32 v6, v12, v6
	v_sub_u32_e32 v11, 29, v11
	v_and_b32_e32 v6, 7, v6
	v_cmp_eq_u16_e32 vcc, 0, v10
	v_cndmask_b32_e32 v2, v2, v6, vcc
	v_cndmask_b32_e32 v6, v10, v11, vcc
	v_lshlrev_b32_e32 v10, 16, v7
	v_mov_b32_e32 v11, 0x3b800000
	v_lshlrev_b32_e32 v2, 20, v2
	v_and_b32_e32 v10, 0x80000000, v10
	v_lshl_add_u32 v6, v6, 23, v11
	v_or3_b32 v2, v10, v6, v2
.LBB46_172:
	s_or_b64 exec, exec, s[6:7]
	v_lshrrev_b32_e32 v6, 8, v3
	s_movk_i32 s4, 0x7f
	v_cmp_gt_i16_sdwa s[6:7], v6, s4 src0_sel:BYTE_0 src1_sel:DWORD
	s_mov_b64 s[4:5], 0
                                        ; implicit-def: $sgpr10
	s_and_saveexec_b64 s[8:9], s[6:7]
	s_xor_b64 s[6:7], exec, s[8:9]
	s_cbranch_execnz .LBB46_2221
; %bb.173:
	s_or_saveexec_b64 s[6:7], s[6:7]
	v_mov_b32_e32 v10, s10
	s_xor_b64 exec, exec, s[6:7]
	s_cbranch_execnz .LBB46_2224
.LBB46_174:
	s_or_b64 exec, exec, s[6:7]
	s_and_saveexec_b64 s[6:7], s[4:5]
	s_cbranch_execz .LBB46_176
.LBB46_175:
	v_bfe_u32 v10, v3, 8, 3
	v_ffbh_u32_e32 v12, v10
	v_min_u32_e32 v12, 32, v12
	v_lshrrev_b16_e32 v11, 3, v6
	v_subrev_u32_e32 v13, 28, v12
	v_and_b32_e32 v11, 15, v11
	v_lshlrev_b32_e32 v6, v13, v6
	v_sub_u32_e32 v12, 29, v12
	v_and_b32_e32 v6, 7, v6
	v_cmp_eq_u16_e32 vcc, 0, v11
	v_cndmask_b32_e32 v6, v10, v6, vcc
	v_cndmask_b32_e32 v10, v11, v12, vcc
	v_lshlrev_b32_e32 v11, 16, v3
	v_mov_b32_e32 v12, 0x3b800000
	v_lshlrev_b32_e32 v6, 20, v6
	v_and_b32_e32 v11, 0x80000000, v11
	v_lshl_add_u32 v10, v10, 23, v12
	v_or3_b32 v10, v11, v10, v6
.LBB46_176:
	s_or_b64 exec, exec, s[6:7]
	s_nop 0
	v_mfma_f32_16x16x4f32 a[0:3], v2, v10, a[0:3]
	s_movk_i32 s4, 0xff
	v_and_b32_sdwa v6, v7, s4 dst_sel:DWORD dst_unused:UNUSED_PAD src0_sel:WORD_1 src1_sel:DWORD
	s_movk_i32 s4, 0x7f
	v_cmp_lt_i16_e32 vcc, s4, v6
	s_mov_b64 s[4:5], 0
                                        ; implicit-def: $sgpr10
	s_and_saveexec_b64 s[6:7], vcc
	s_xor_b64 s[6:7], exec, s[6:7]
	s_cbranch_execnz .LBB46_2225
; %bb.177:
	s_or_saveexec_b64 s[6:7], s[6:7]
	v_mov_b32_e32 v2, s10
	s_xor_b64 exec, exec, s[6:7]
	s_cbranch_execnz .LBB46_2228
.LBB46_178:
	s_or_b64 exec, exec, s[6:7]
	s_and_saveexec_b64 s[6:7], s[4:5]
	s_cbranch_execz .LBB46_180
.LBB46_179:
	v_bfe_u32 v2, v7, 16, 3
	v_ffbh_u32_e32 v11, v2
	v_min_u32_e32 v11, 32, v11
	v_lshrrev_b32_e32 v6, 19, v7
	v_subrev_u32_e32 v12, 28, v11
	v_and_b32_e32 v6, 15, v6
	v_lshlrev_b32_sdwa v12, v12, v7 dst_sel:DWORD dst_unused:UNUSED_PAD src0_sel:DWORD src1_sel:WORD_1
	v_bfe_u32 v10, v7, 19, 4
	v_sub_u32_e32 v11, 29, v11
	v_and_b32_e32 v12, 7, v12
	v_cmp_eq_u16_e32 vcc, 0, v6
	v_cndmask_b32_e32 v2, v2, v12, vcc
	v_cndmask_b32_e32 v6, v10, v11, vcc
	v_lshlrev_b32_e32 v10, 8, v7
	v_mov_b32_e32 v11, 0x3b800000
	v_lshlrev_b32_e32 v2, 20, v2
	v_and_b32_e32 v10, 0x80000000, v10
	v_lshl_add_u32 v6, v6, 23, v11
	v_or3_b32 v2, v10, v6, v2
.LBB46_180:
	s_or_b64 exec, exec, s[6:7]
	s_movk_i32 s4, 0xff
	v_and_b32_sdwa v6, v3, s4 dst_sel:DWORD dst_unused:UNUSED_PAD src0_sel:WORD_1 src1_sel:DWORD
	s_movk_i32 s4, 0x7f
	v_cmp_lt_i16_e32 vcc, s4, v6
	s_mov_b64 s[4:5], 0
                                        ; implicit-def: $sgpr10
	s_and_saveexec_b64 s[6:7], vcc
	s_xor_b64 s[6:7], exec, s[6:7]
	s_cbranch_execnz .LBB46_2229
; %bb.181:
	s_or_saveexec_b64 s[6:7], s[6:7]
	v_mov_b32_e32 v10, s10
	s_xor_b64 exec, exec, s[6:7]
	s_cbranch_execnz .LBB46_2232
.LBB46_182:
	s_or_b64 exec, exec, s[6:7]
	s_and_saveexec_b64 s[6:7], s[4:5]
	s_cbranch_execz .LBB46_184
.LBB46_183:
	v_bfe_u32 v6, v3, 16, 3
	v_ffbh_u32_e32 v12, v6
	v_min_u32_e32 v12, 32, v12
	v_lshrrev_b32_e32 v10, 19, v3
	v_subrev_u32_e32 v13, 28, v12
	v_and_b32_e32 v10, 15, v10
	v_lshlrev_b32_sdwa v13, v13, v3 dst_sel:DWORD dst_unused:UNUSED_PAD src0_sel:DWORD src1_sel:WORD_1
	v_bfe_u32 v11, v3, 19, 4
	v_sub_u32_e32 v12, 29, v12
	v_and_b32_e32 v13, 7, v13
	v_cmp_eq_u16_e32 vcc, 0, v10
	v_cndmask_b32_e32 v6, v6, v13, vcc
	v_cndmask_b32_e32 v10, v11, v12, vcc
	v_lshlrev_b32_e32 v11, 8, v3
	v_mov_b32_e32 v12, 0x3b800000
	v_lshlrev_b32_e32 v6, 20, v6
	v_and_b32_e32 v11, 0x80000000, v11
	v_lshl_add_u32 v10, v10, 23, v12
	v_or3_b32 v10, v11, v10, v6
.LBB46_184:
	s_or_b64 exec, exec, s[6:7]
	s_nop 0
	v_mfma_f32_16x16x4f32 a[0:3], v2, v10, a[0:3]
	s_movk_i32 s4, 0x7f
	v_cmp_gt_i16_sdwa s[6:7], v7, s4 src0_sel:BYTE_3 src1_sel:DWORD
	s_mov_b64 s[4:5], 0
                                        ; implicit-def: $sgpr10
	s_and_saveexec_b64 s[8:9], s[6:7]
	s_xor_b64 s[6:7], exec, s[8:9]
	s_cbranch_execnz .LBB46_2233
; %bb.185:
	s_or_saveexec_b64 s[6:7], s[6:7]
	v_mov_b32_e32 v2, s10
	s_xor_b64 exec, exec, s[6:7]
	s_cbranch_execnz .LBB46_2236
.LBB46_186:
	s_or_b64 exec, exec, s[6:7]
	s_and_saveexec_b64 s[6:7], s[4:5]
	s_cbranch_execz .LBB46_188
.LBB46_187:
	v_bfe_u32 v2, v7, 24, 3
	v_ffbh_u32_e32 v12, v2
	v_min_u32_e32 v12, 32, v12
	v_lshrrev_b32_e32 v10, 27, v7
	v_subrev_u32_e32 v13, 28, v12
	v_and_b32_e32 v6, 0x80000000, v7
	v_and_b32_e32 v10, 15, v10
	v_bfe_u32 v11, v7, 27, 4
	v_lshlrev_b32_sdwa v7, v13, v7 dst_sel:DWORD dst_unused:UNUSED_PAD src0_sel:DWORD src1_sel:BYTE_3
	v_sub_u32_e32 v12, 29, v12
	v_and_b32_e32 v7, 7, v7
	v_cmp_eq_u16_e32 vcc, 0, v10
	v_cndmask_b32_e32 v2, v2, v7, vcc
	v_cndmask_b32_e32 v7, v11, v12, vcc
	v_mov_b32_e32 v10, 0x3b800000
	v_lshlrev_b32_e32 v2, 20, v2
	v_lshl_add_u32 v7, v7, 23, v10
	v_or3_b32 v2, v6, v7, v2
.LBB46_188:
	s_or_b64 exec, exec, s[6:7]
	s_movk_i32 s4, 0x7f
	v_cmp_gt_i16_sdwa s[6:7], v3, s4 src0_sel:BYTE_3 src1_sel:DWORD
	s_mov_b64 s[4:5], 0
                                        ; implicit-def: $sgpr10
	s_and_saveexec_b64 s[8:9], s[6:7]
	s_xor_b64 s[6:7], exec, s[8:9]
	s_cbranch_execnz .LBB46_2237
; %bb.189:
	s_or_saveexec_b64 s[6:7], s[6:7]
	v_mov_b32_e32 v6, s10
	s_xor_b64 exec, exec, s[6:7]
	s_cbranch_execnz .LBB46_2240
.LBB46_190:
	s_or_b64 exec, exec, s[6:7]
	s_and_saveexec_b64 s[6:7], s[4:5]
	s_cbranch_execz .LBB46_192
.LBB46_191:
	v_bfe_u32 v6, v3, 24, 3
	v_ffbh_u32_e32 v12, v6
	v_min_u32_e32 v12, 32, v12
	v_lshrrev_b32_e32 v10, 27, v3
	v_subrev_u32_e32 v13, 28, v12
	v_and_b32_e32 v7, 0x80000000, v3
	v_and_b32_e32 v10, 15, v10
	v_bfe_u32 v11, v3, 27, 4
	v_lshlrev_b32_sdwa v3, v13, v3 dst_sel:DWORD dst_unused:UNUSED_PAD src0_sel:DWORD src1_sel:BYTE_3
	v_sub_u32_e32 v12, 29, v12
	v_and_b32_e32 v3, 7, v3
	v_cmp_eq_u16_e32 vcc, 0, v10
	v_cndmask_b32_e32 v3, v6, v3, vcc
	v_cndmask_b32_e32 v6, v11, v12, vcc
	v_mov_b32_e32 v10, 0x3b800000
	v_lshlrev_b32_e32 v3, 20, v3
	v_lshl_add_u32 v6, v6, 23, v10
	v_or3_b32 v6, v7, v6, v3
.LBB46_192:
	s_or_b64 exec, exec, s[6:7]
	s_nop 0
	v_mfma_f32_16x16x4f32 a[0:3], v2, v6, a[0:3]
	s_movk_i32 s4, 0x7f
	v_cmp_gt_i16_sdwa s[6:7], v8, s4 src0_sel:BYTE_0 src1_sel:DWORD
	s_mov_b64 s[4:5], 0
                                        ; implicit-def: $sgpr10
	s_and_saveexec_b64 s[8:9], s[6:7]
	s_xor_b64 s[6:7], exec, s[8:9]
	s_cbranch_execnz .LBB46_2241
; %bb.193:
	s_or_saveexec_b64 s[6:7], s[6:7]
	v_mov_b32_e32 v2, s10
	s_xor_b64 exec, exec, s[6:7]
	s_cbranch_execnz .LBB46_2244
.LBB46_194:
	s_or_b64 exec, exec, s[6:7]
	s_and_saveexec_b64 s[6:7], s[4:5]
	s_cbranch_execz .LBB46_196
.LBB46_195:
	v_and_b32_e32 v2, 7, v8
	v_ffbh_u32_e32 v6, v2
	v_min_u32_e32 v6, 32, v6
	v_lshrrev_b16_e32 v3, 3, v8
	v_subrev_u32_e32 v7, 28, v6
	v_and_b32_e32 v3, 15, v3
	v_lshlrev_b32_e32 v7, v7, v8
	v_sub_u32_e32 v6, 29, v6
	v_and_b32_e32 v7, 7, v7
	v_cmp_eq_u16_e32 vcc, 0, v3
	v_cndmask_b32_e32 v2, v2, v7, vcc
	v_cndmask_b32_e32 v3, v3, v6, vcc
	v_lshlrev_b32_e32 v6, 24, v8
	v_mov_b32_e32 v7, 0x3b800000
	v_lshlrev_b32_e32 v2, 20, v2
	v_and_b32_e32 v6, 0x80000000, v6
	v_lshl_add_u32 v3, v3, 23, v7
	v_or3_b32 v2, v6, v3, v2
.LBB46_196:
	s_or_b64 exec, exec, s[6:7]
	s_movk_i32 s4, 0x7f
	v_cmp_gt_i16_sdwa s[6:7], v4, s4 src0_sel:BYTE_0 src1_sel:DWORD
	s_mov_b64 s[4:5], 0
                                        ; implicit-def: $sgpr10
	s_and_saveexec_b64 s[8:9], s[6:7]
	s_xor_b64 s[6:7], exec, s[8:9]
	s_cbranch_execnz .LBB46_2245
; %bb.197:
	s_or_saveexec_b64 s[6:7], s[6:7]
	v_mov_b32_e32 v3, s10
	s_xor_b64 exec, exec, s[6:7]
	s_cbranch_execnz .LBB46_2248
.LBB46_198:
	s_or_b64 exec, exec, s[6:7]
	s_and_saveexec_b64 s[6:7], s[4:5]
	s_cbranch_execz .LBB46_200
.LBB46_199:
	v_and_b32_e32 v3, 7, v4
	v_ffbh_u32_e32 v7, v3
	v_min_u32_e32 v7, 32, v7
	v_lshrrev_b16_e32 v6, 3, v4
	v_subrev_u32_e32 v10, 28, v7
	v_and_b32_e32 v6, 15, v6
	v_lshlrev_b32_e32 v10, v10, v4
	v_sub_u32_e32 v7, 29, v7
	v_and_b32_e32 v10, 7, v10
	v_cmp_eq_u16_e32 vcc, 0, v6
	v_cndmask_b32_e32 v3, v3, v10, vcc
	v_cndmask_b32_e32 v6, v6, v7, vcc
	v_lshlrev_b32_e32 v7, 24, v4
	v_mov_b32_e32 v10, 0x3b800000
	v_lshlrev_b32_e32 v3, 20, v3
	v_and_b32_e32 v7, 0x80000000, v7
	v_lshl_add_u32 v6, v6, 23, v10
	v_or3_b32 v3, v7, v6, v3
.LBB46_200:
	s_or_b64 exec, exec, s[6:7]
	s_nop 0
	v_mfma_f32_16x16x4f32 a[0:3], v2, v3, a[0:3]
	v_lshrrev_b32_e32 v3, 8, v8
	s_movk_i32 s4, 0x7f
	v_cmp_gt_i16_sdwa s[6:7], v3, s4 src0_sel:BYTE_0 src1_sel:DWORD
	s_mov_b64 s[4:5], 0
                                        ; implicit-def: $sgpr10
	s_and_saveexec_b64 s[8:9], s[6:7]
	s_xor_b64 s[6:7], exec, s[8:9]
	s_cbranch_execnz .LBB46_2249
; %bb.201:
	s_or_saveexec_b64 s[6:7], s[6:7]
	v_mov_b32_e32 v2, s10
	s_xor_b64 exec, exec, s[6:7]
	s_cbranch_execnz .LBB46_2252
.LBB46_202:
	s_or_b64 exec, exec, s[6:7]
	s_and_saveexec_b64 s[6:7], s[4:5]
	s_cbranch_execz .LBB46_204
.LBB46_203:
	v_bfe_u32 v2, v8, 8, 3
	v_ffbh_u32_e32 v7, v2
	v_min_u32_e32 v7, 32, v7
	v_lshrrev_b16_e32 v6, 3, v3
	v_subrev_u32_e32 v10, 28, v7
	v_and_b32_e32 v6, 15, v6
	v_lshlrev_b32_e32 v3, v10, v3
	v_sub_u32_e32 v7, 29, v7
	v_and_b32_e32 v3, 7, v3
	v_cmp_eq_u16_e32 vcc, 0, v6
	v_cndmask_b32_e32 v2, v2, v3, vcc
	v_cndmask_b32_e32 v3, v6, v7, vcc
	v_lshlrev_b32_e32 v6, 16, v8
	v_mov_b32_e32 v7, 0x3b800000
	v_lshlrev_b32_e32 v2, 20, v2
	v_and_b32_e32 v6, 0x80000000, v6
	v_lshl_add_u32 v3, v3, 23, v7
	v_or3_b32 v2, v6, v3, v2
.LBB46_204:
	s_or_b64 exec, exec, s[6:7]
	v_lshrrev_b32_e32 v3, 8, v4
	s_movk_i32 s4, 0x7f
	v_cmp_gt_i16_sdwa s[6:7], v3, s4 src0_sel:BYTE_0 src1_sel:DWORD
	s_mov_b64 s[4:5], 0
                                        ; implicit-def: $sgpr10
	s_and_saveexec_b64 s[8:9], s[6:7]
	s_xor_b64 s[6:7], exec, s[8:9]
	s_cbranch_execnz .LBB46_2253
; %bb.205:
	s_or_saveexec_b64 s[6:7], s[6:7]
	v_mov_b32_e32 v6, s10
	s_xor_b64 exec, exec, s[6:7]
	s_cbranch_execnz .LBB46_2256
.LBB46_206:
	s_or_b64 exec, exec, s[6:7]
	s_and_saveexec_b64 s[6:7], s[4:5]
	s_cbranch_execz .LBB46_208
.LBB46_207:
	v_bfe_u32 v6, v4, 8, 3
	v_ffbh_u32_e32 v10, v6
	v_min_u32_e32 v10, 32, v10
	v_lshrrev_b16_e32 v7, 3, v3
	v_subrev_u32_e32 v11, 28, v10
	v_and_b32_e32 v7, 15, v7
	v_lshlrev_b32_e32 v3, v11, v3
	v_sub_u32_e32 v10, 29, v10
	v_and_b32_e32 v3, 7, v3
	v_cmp_eq_u16_e32 vcc, 0, v7
	v_cndmask_b32_e32 v3, v6, v3, vcc
	v_cndmask_b32_e32 v6, v7, v10, vcc
	v_lshlrev_b32_e32 v7, 16, v4
	v_mov_b32_e32 v10, 0x3b800000
	v_lshlrev_b32_e32 v3, 20, v3
	v_and_b32_e32 v7, 0x80000000, v7
	v_lshl_add_u32 v6, v6, 23, v10
	v_or3_b32 v6, v7, v6, v3
.LBB46_208:
	s_or_b64 exec, exec, s[6:7]
	s_nop 0
	v_mfma_f32_16x16x4f32 a[0:3], v2, v6, a[0:3]
	s_movk_i32 s4, 0xff
	v_and_b32_sdwa v3, v8, s4 dst_sel:DWORD dst_unused:UNUSED_PAD src0_sel:WORD_1 src1_sel:DWORD
	s_movk_i32 s4, 0x7f
	v_cmp_lt_i16_e32 vcc, s4, v3
	s_mov_b64 s[4:5], 0
                                        ; implicit-def: $sgpr10
	s_and_saveexec_b64 s[6:7], vcc
	s_xor_b64 s[6:7], exec, s[6:7]
	s_cbranch_execnz .LBB46_2257
; %bb.209:
	s_or_saveexec_b64 s[6:7], s[6:7]
	v_mov_b32_e32 v2, s10
	s_xor_b64 exec, exec, s[6:7]
	s_cbranch_execnz .LBB46_2260
.LBB46_210:
	s_or_b64 exec, exec, s[6:7]
	s_and_saveexec_b64 s[6:7], s[4:5]
	s_cbranch_execz .LBB46_212
.LBB46_211:
	v_bfe_u32 v2, v8, 16, 3
	v_ffbh_u32_e32 v7, v2
	v_min_u32_e32 v7, 32, v7
	v_lshrrev_b32_e32 v3, 19, v8
	v_subrev_u32_e32 v10, 28, v7
	v_and_b32_e32 v3, 15, v3
	v_lshlrev_b32_sdwa v10, v10, v8 dst_sel:DWORD dst_unused:UNUSED_PAD src0_sel:DWORD src1_sel:WORD_1
	v_bfe_u32 v6, v8, 19, 4
	v_sub_u32_e32 v7, 29, v7
	v_and_b32_e32 v10, 7, v10
	v_cmp_eq_u16_e32 vcc, 0, v3
	v_cndmask_b32_e32 v2, v2, v10, vcc
	v_cndmask_b32_e32 v3, v6, v7, vcc
	v_lshlrev_b32_e32 v6, 8, v8
	v_mov_b32_e32 v7, 0x3b800000
	v_lshlrev_b32_e32 v2, 20, v2
	v_and_b32_e32 v6, 0x80000000, v6
	v_lshl_add_u32 v3, v3, 23, v7
	v_or3_b32 v2, v6, v3, v2
.LBB46_212:
	s_or_b64 exec, exec, s[6:7]
	s_movk_i32 s4, 0xff
	v_and_b32_sdwa v3, v4, s4 dst_sel:DWORD dst_unused:UNUSED_PAD src0_sel:WORD_1 src1_sel:DWORD
	s_movk_i32 s4, 0x7f
	v_cmp_lt_i16_e32 vcc, s4, v3
	s_mov_b64 s[4:5], 0
                                        ; implicit-def: $sgpr10
	s_and_saveexec_b64 s[6:7], vcc
	s_xor_b64 s[6:7], exec, s[6:7]
	s_cbranch_execnz .LBB46_2261
; %bb.213:
	s_or_saveexec_b64 s[6:7], s[6:7]
	v_mov_b32_e32 v6, s10
	s_xor_b64 exec, exec, s[6:7]
	s_cbranch_execnz .LBB46_2264
.LBB46_214:
	s_or_b64 exec, exec, s[6:7]
	s_and_saveexec_b64 s[6:7], s[4:5]
	s_cbranch_execz .LBB46_216
.LBB46_215:
	v_bfe_u32 v3, v4, 16, 3
	v_ffbh_u32_e32 v10, v3
	v_min_u32_e32 v10, 32, v10
	v_lshrrev_b32_e32 v6, 19, v4
	v_subrev_u32_e32 v11, 28, v10
	v_and_b32_e32 v6, 15, v6
	v_lshlrev_b32_sdwa v11, v11, v4 dst_sel:DWORD dst_unused:UNUSED_PAD src0_sel:DWORD src1_sel:WORD_1
	v_bfe_u32 v7, v4, 19, 4
	v_sub_u32_e32 v10, 29, v10
	v_and_b32_e32 v11, 7, v11
	v_cmp_eq_u16_e32 vcc, 0, v6
	v_cndmask_b32_e32 v3, v3, v11, vcc
	v_cndmask_b32_e32 v6, v7, v10, vcc
	v_lshlrev_b32_e32 v7, 8, v4
	v_mov_b32_e32 v10, 0x3b800000
	v_lshlrev_b32_e32 v3, 20, v3
	v_and_b32_e32 v7, 0x80000000, v7
	v_lshl_add_u32 v6, v6, 23, v10
	v_or3_b32 v6, v7, v6, v3
.LBB46_216:
	s_or_b64 exec, exec, s[6:7]
	s_nop 0
	v_mfma_f32_16x16x4f32 a[0:3], v2, v6, a[0:3]
	s_movk_i32 s4, 0x7f
	v_cmp_gt_i16_sdwa s[6:7], v8, s4 src0_sel:BYTE_3 src1_sel:DWORD
	s_mov_b64 s[4:5], 0
                                        ; implicit-def: $sgpr10
	s_and_saveexec_b64 s[8:9], s[6:7]
	s_xor_b64 s[6:7], exec, s[8:9]
	s_cbranch_execnz .LBB46_2265
; %bb.217:
	s_or_saveexec_b64 s[6:7], s[6:7]
	v_mov_b32_e32 v2, s10
	s_xor_b64 exec, exec, s[6:7]
	s_cbranch_execnz .LBB46_2268
.LBB46_218:
	s_or_b64 exec, exec, s[6:7]
	s_and_saveexec_b64 s[6:7], s[4:5]
	s_cbranch_execz .LBB46_220
.LBB46_219:
	v_bfe_u32 v2, v8, 24, 3
	v_ffbh_u32_e32 v10, v2
	v_min_u32_e32 v10, 32, v10
	v_lshrrev_b32_e32 v6, 27, v8
	v_subrev_u32_e32 v11, 28, v10
	v_and_b32_e32 v3, 0x80000000, v8
	v_and_b32_e32 v6, 15, v6
	v_bfe_u32 v7, v8, 27, 4
	v_lshlrev_b32_sdwa v8, v11, v8 dst_sel:DWORD dst_unused:UNUSED_PAD src0_sel:DWORD src1_sel:BYTE_3
	v_sub_u32_e32 v10, 29, v10
	v_and_b32_e32 v8, 7, v8
	v_cmp_eq_u16_e32 vcc, 0, v6
	v_cndmask_b32_e32 v2, v2, v8, vcc
	v_cndmask_b32_e32 v6, v7, v10, vcc
	v_mov_b32_e32 v7, 0x3b800000
	v_lshlrev_b32_e32 v2, 20, v2
	v_lshl_add_u32 v6, v6, 23, v7
	v_or3_b32 v2, v3, v6, v2
.LBB46_220:
	s_or_b64 exec, exec, s[6:7]
	s_movk_i32 s4, 0x7f
	v_cmp_gt_i16_sdwa s[6:7], v4, s4 src0_sel:BYTE_3 src1_sel:DWORD
	s_mov_b64 s[4:5], 0
                                        ; implicit-def: $sgpr10
	s_and_saveexec_b64 s[8:9], s[6:7]
	s_xor_b64 s[6:7], exec, s[8:9]
	s_cbranch_execnz .LBB46_2269
; %bb.221:
	s_or_saveexec_b64 s[6:7], s[6:7]
	v_mov_b32_e32 v3, s10
	s_xor_b64 exec, exec, s[6:7]
	s_cbranch_execnz .LBB46_2272
.LBB46_222:
	s_or_b64 exec, exec, s[6:7]
	s_and_saveexec_b64 s[6:7], s[4:5]
	s_cbranch_execz .LBB46_224
.LBB46_223:
	v_bfe_u32 v3, v4, 24, 3
	v_ffbh_u32_e32 v10, v3
	v_min_u32_e32 v10, 32, v10
	v_lshrrev_b32_e32 v7, 27, v4
	v_subrev_u32_e32 v11, 28, v10
	v_and_b32_e32 v6, 0x80000000, v4
	v_and_b32_e32 v7, 15, v7
	v_bfe_u32 v8, v4, 27, 4
	v_lshlrev_b32_sdwa v4, v11, v4 dst_sel:DWORD dst_unused:UNUSED_PAD src0_sel:DWORD src1_sel:BYTE_3
	v_sub_u32_e32 v10, 29, v10
	v_and_b32_e32 v4, 7, v4
	v_cmp_eq_u16_e32 vcc, 0, v7
	v_cndmask_b32_e32 v3, v3, v4, vcc
	v_cndmask_b32_e32 v4, v8, v10, vcc
	v_mov_b32_e32 v7, 0x3b800000
	v_lshlrev_b32_e32 v3, 20, v3
	v_lshl_add_u32 v4, v4, 23, v7
	v_or3_b32 v3, v6, v4, v3
.LBB46_224:
	s_or_b64 exec, exec, s[6:7]
	s_nop 0
	v_mfma_f32_16x16x4f32 a[0:3], v2, v3, a[0:3]
	s_movk_i32 s4, 0x7f
	v_cmp_gt_i16_sdwa s[6:7], v9, s4 src0_sel:BYTE_0 src1_sel:DWORD
	s_mov_b64 s[4:5], 0
                                        ; implicit-def: $sgpr10
	s_and_saveexec_b64 s[8:9], s[6:7]
	s_xor_b64 s[6:7], exec, s[8:9]
	s_cbranch_execnz .LBB46_2273
; %bb.225:
	s_or_saveexec_b64 s[6:7], s[6:7]
	v_mov_b32_e32 v2, s10
	s_xor_b64 exec, exec, s[6:7]
	s_cbranch_execnz .LBB46_2276
.LBB46_226:
	s_or_b64 exec, exec, s[6:7]
	s_and_saveexec_b64 s[6:7], s[4:5]
	s_cbranch_execz .LBB46_228
.LBB46_227:
	v_mov_b32_e32 v2, 8
	v_and_b32_e32 v3, 7, v9
	v_lshrrev_b32_sdwa v2, v2, v9 dst_sel:BYTE_1 dst_unused:UNUSED_PAD src0_sel:DWORD src1_sel:DWORD
	v_ffbh_u32_e32 v4, v3
	v_or_b32_sdwa v2, v9, v2 dst_sel:DWORD dst_unused:UNUSED_PAD src0_sel:BYTE_0 src1_sel:DWORD
	v_min_u32_e32 v4, 32, v4
	v_lshrrev_b16_e32 v2, 3, v2
	v_subrev_u32_e32 v6, 28, v4
	v_and_b32_e32 v2, 15, v2
	v_lshlrev_b32_e32 v6, v6, v9
	v_sub_u32_e32 v4, 29, v4
	v_and_b32_e32 v6, 7, v6
	v_cmp_eq_u16_e32 vcc, 0, v2
	v_cndmask_b32_e32 v3, v3, v6, vcc
	v_cndmask_b32_e32 v2, v2, v4, vcc
	v_lshlrev_b32_e32 v4, 24, v9
	v_mov_b32_e32 v6, 0x3b800000
	v_lshlrev_b32_e32 v3, 20, v3
	v_and_b32_e32 v4, 0x80000000, v4
	v_lshl_add_u32 v2, v2, 23, v6
	v_or3_b32 v2, v4, v2, v3
.LBB46_228:
	s_or_b64 exec, exec, s[6:7]
	s_movk_i32 s4, 0x7f
	v_cmp_gt_i16_sdwa s[6:7], v5, s4 src0_sel:BYTE_0 src1_sel:DWORD
	s_mov_b64 s[4:5], 0
                                        ; implicit-def: $sgpr10
	s_and_saveexec_b64 s[8:9], s[6:7]
	s_xor_b64 s[6:7], exec, s[8:9]
	s_cbranch_execnz .LBB46_2277
; %bb.229:
	s_or_saveexec_b64 s[6:7], s[6:7]
	v_mov_b32_e32 v3, s10
	s_xor_b64 exec, exec, s[6:7]
	s_cbranch_execnz .LBB46_2280
.LBB46_230:
	s_or_b64 exec, exec, s[6:7]
	s_and_saveexec_b64 s[6:7], s[4:5]
	s_cbranch_execz .LBB46_232
.LBB46_231:
	v_mov_b32_e32 v3, 8
	v_and_b32_e32 v4, 7, v5
	v_lshrrev_b32_sdwa v3, v3, v5 dst_sel:BYTE_1 dst_unused:UNUSED_PAD src0_sel:DWORD src1_sel:DWORD
	v_ffbh_u32_e32 v6, v4
	v_or_b32_sdwa v3, v5, v3 dst_sel:DWORD dst_unused:UNUSED_PAD src0_sel:BYTE_0 src1_sel:DWORD
	v_min_u32_e32 v6, 32, v6
	v_lshrrev_b16_e32 v3, 3, v3
	v_subrev_u32_e32 v7, 28, v6
	v_and_b32_e32 v3, 15, v3
	v_lshlrev_b32_e32 v7, v7, v5
	v_sub_u32_e32 v6, 29, v6
	v_and_b32_e32 v7, 7, v7
	v_cmp_eq_u16_e32 vcc, 0, v3
	v_cndmask_b32_e32 v4, v4, v7, vcc
	v_cndmask_b32_e32 v3, v3, v6, vcc
	v_lshlrev_b32_e32 v6, 24, v5
	v_mov_b32_e32 v7, 0x3b800000
	v_lshlrev_b32_e32 v4, 20, v4
	v_and_b32_e32 v6, 0x80000000, v6
	v_lshl_add_u32 v3, v3, 23, v7
	v_or3_b32 v3, v6, v3, v4
.LBB46_232:
	s_or_b64 exec, exec, s[6:7]
	s_nop 0
	v_mfma_f32_16x16x4f32 a[0:3], v2, v3, a[0:3]
	v_lshrrev_b32_e32 v3, 8, v9
	s_movk_i32 s4, 0x7f
	v_cmp_gt_i16_sdwa s[6:7], v3, s4 src0_sel:BYTE_0 src1_sel:DWORD
	s_mov_b64 s[4:5], 0
                                        ; implicit-def: $sgpr10
	s_and_saveexec_b64 s[8:9], s[6:7]
	s_xor_b64 s[6:7], exec, s[8:9]
	s_cbranch_execnz .LBB46_2281
; %bb.233:
	s_or_saveexec_b64 s[6:7], s[6:7]
	v_mov_b32_e32 v2, s10
	s_xor_b64 exec, exec, s[6:7]
	s_cbranch_execnz .LBB46_2284
.LBB46_234:
	s_or_b64 exec, exec, s[6:7]
	s_and_saveexec_b64 s[6:7], s[4:5]
	s_cbranch_execz .LBB46_236
.LBB46_235:
	v_bfe_u32 v2, v9, 8, 3
	v_ffbh_u32_e32 v6, v2
	v_min_u32_e32 v6, 32, v6
	v_lshrrev_b16_e32 v4, 3, v3
	v_subrev_u32_e32 v7, 28, v6
	v_and_b32_e32 v4, 15, v4
	v_lshlrev_b32_e32 v3, v7, v3
	v_sub_u32_e32 v6, 29, v6
	v_and_b32_e32 v3, 7, v3
	v_cmp_eq_u16_e32 vcc, 0, v4
	v_cndmask_b32_e32 v2, v2, v3, vcc
	v_cndmask_b32_e32 v3, v4, v6, vcc
	v_lshlrev_b32_e32 v4, 16, v9
	v_mov_b32_e32 v6, 0x3b800000
	v_lshlrev_b32_e32 v2, 20, v2
	v_and_b32_e32 v4, 0x80000000, v4
	v_lshl_add_u32 v3, v3, 23, v6
	v_or3_b32 v2, v4, v3, v2
.LBB46_236:
	s_or_b64 exec, exec, s[6:7]
	v_lshrrev_b32_e32 v3, 8, v5
	s_movk_i32 s4, 0x7f
	v_cmp_gt_i16_sdwa s[6:7], v3, s4 src0_sel:BYTE_0 src1_sel:DWORD
	s_mov_b64 s[4:5], 0
                                        ; implicit-def: $sgpr10
	s_and_saveexec_b64 s[8:9], s[6:7]
	s_xor_b64 s[6:7], exec, s[8:9]
	s_cbranch_execnz .LBB46_2285
; %bb.237:
	s_or_saveexec_b64 s[6:7], s[6:7]
	v_mov_b32_e32 v4, s10
	s_xor_b64 exec, exec, s[6:7]
	s_cbranch_execnz .LBB46_2288
.LBB46_238:
	s_or_b64 exec, exec, s[6:7]
	s_and_saveexec_b64 s[6:7], s[4:5]
	s_cbranch_execz .LBB46_240
.LBB46_239:
	v_bfe_u32 v4, v5, 8, 3
	v_ffbh_u32_e32 v7, v4
	v_min_u32_e32 v7, 32, v7
	v_lshrrev_b16_e32 v6, 3, v3
	v_subrev_u32_e32 v8, 28, v7
	v_and_b32_e32 v6, 15, v6
	v_lshlrev_b32_e32 v3, v8, v3
	v_sub_u32_e32 v7, 29, v7
	v_and_b32_e32 v3, 7, v3
	v_cmp_eq_u16_e32 vcc, 0, v6
	v_cndmask_b32_e32 v3, v4, v3, vcc
	v_cndmask_b32_e32 v4, v6, v7, vcc
	v_lshlrev_b32_e32 v6, 16, v5
	v_mov_b32_e32 v7, 0x3b800000
	v_lshlrev_b32_e32 v3, 20, v3
	v_and_b32_e32 v6, 0x80000000, v6
	v_lshl_add_u32 v4, v4, 23, v7
	v_or3_b32 v4, v6, v4, v3
.LBB46_240:
	s_or_b64 exec, exec, s[6:7]
	s_nop 0
	v_mfma_f32_16x16x4f32 a[0:3], v2, v4, a[0:3]
	s_movk_i32 s4, 0xff
	v_and_b32_sdwa v3, v9, s4 dst_sel:DWORD dst_unused:UNUSED_PAD src0_sel:WORD_1 src1_sel:DWORD
	s_movk_i32 s4, 0x7f
	v_cmp_lt_i16_e32 vcc, s4, v3
	s_mov_b64 s[4:5], 0
                                        ; implicit-def: $sgpr10
	s_and_saveexec_b64 s[6:7], vcc
	s_xor_b64 s[6:7], exec, s[6:7]
	s_cbranch_execnz .LBB46_2289
; %bb.241:
	s_or_saveexec_b64 s[6:7], s[6:7]
	v_mov_b32_e32 v2, s10
	s_xor_b64 exec, exec, s[6:7]
	s_cbranch_execnz .LBB46_2292
.LBB46_242:
	s_or_b64 exec, exec, s[6:7]
	s_and_saveexec_b64 s[6:7], s[4:5]
	s_cbranch_execz .LBB46_244
.LBB46_243:
	v_bfe_u32 v2, v9, 16, 3
	v_ffbh_u32_e32 v6, v2
	v_min_u32_e32 v6, 32, v6
	v_lshrrev_b32_e32 v3, 19, v9
	v_subrev_u32_e32 v7, 28, v6
	v_and_b32_e32 v3, 15, v3
	v_lshlrev_b32_sdwa v7, v7, v9 dst_sel:DWORD dst_unused:UNUSED_PAD src0_sel:DWORD src1_sel:WORD_1
	v_bfe_u32 v4, v9, 19, 4
	v_sub_u32_e32 v6, 29, v6
	v_and_b32_e32 v7, 7, v7
	v_cmp_eq_u16_e32 vcc, 0, v3
	v_cndmask_b32_e32 v2, v2, v7, vcc
	v_cndmask_b32_e32 v3, v4, v6, vcc
	v_lshlrev_b32_e32 v4, 8, v9
	v_mov_b32_e32 v6, 0x3b800000
	v_lshlrev_b32_e32 v2, 20, v2
	v_and_b32_e32 v4, 0x80000000, v4
	v_lshl_add_u32 v3, v3, 23, v6
	v_or3_b32 v2, v4, v3, v2
.LBB46_244:
	s_or_b64 exec, exec, s[6:7]
	s_movk_i32 s4, 0xff
	v_and_b32_sdwa v3, v5, s4 dst_sel:DWORD dst_unused:UNUSED_PAD src0_sel:WORD_1 src1_sel:DWORD
	s_movk_i32 s4, 0x7f
	v_cmp_lt_i16_e32 vcc, s4, v3
	s_mov_b64 s[4:5], 0
                                        ; implicit-def: $sgpr10
	s_and_saveexec_b64 s[6:7], vcc
	s_xor_b64 s[6:7], exec, s[6:7]
	s_cbranch_execnz .LBB46_2293
; %bb.245:
	s_or_saveexec_b64 s[6:7], s[6:7]
	v_mov_b32_e32 v4, s10
	s_xor_b64 exec, exec, s[6:7]
	s_cbranch_execnz .LBB46_2296
.LBB46_246:
	s_or_b64 exec, exec, s[6:7]
	s_and_saveexec_b64 s[6:7], s[4:5]
	s_cbranch_execz .LBB46_248
.LBB46_247:
	v_bfe_u32 v3, v5, 16, 3
	v_ffbh_u32_e32 v7, v3
	v_min_u32_e32 v7, 32, v7
	v_lshrrev_b32_e32 v4, 19, v5
	v_subrev_u32_e32 v8, 28, v7
	v_and_b32_e32 v4, 15, v4
	v_lshlrev_b32_sdwa v8, v8, v5 dst_sel:DWORD dst_unused:UNUSED_PAD src0_sel:DWORD src1_sel:WORD_1
	v_bfe_u32 v6, v5, 19, 4
	v_sub_u32_e32 v7, 29, v7
	v_and_b32_e32 v8, 7, v8
	v_cmp_eq_u16_e32 vcc, 0, v4
	v_cndmask_b32_e32 v3, v3, v8, vcc
	v_cndmask_b32_e32 v4, v6, v7, vcc
	v_lshlrev_b32_e32 v6, 8, v5
	v_mov_b32_e32 v7, 0x3b800000
	v_lshlrev_b32_e32 v3, 20, v3
	v_and_b32_e32 v6, 0x80000000, v6
	v_lshl_add_u32 v4, v4, 23, v7
	v_or3_b32 v4, v6, v4, v3
.LBB46_248:
	s_or_b64 exec, exec, s[6:7]
	s_nop 0
	v_mfma_f32_16x16x4f32 a[0:3], v2, v4, a[0:3]
	s_movk_i32 s4, 0x7f
	v_cmp_gt_i16_sdwa s[6:7], v9, s4 src0_sel:BYTE_3 src1_sel:DWORD
	s_mov_b64 s[4:5], 0
                                        ; implicit-def: $sgpr10
	s_and_saveexec_b64 s[8:9], s[6:7]
	s_xor_b64 s[6:7], exec, s[8:9]
	s_cbranch_execnz .LBB46_2297
; %bb.249:
	s_or_saveexec_b64 s[6:7], s[6:7]
	v_mov_b32_e32 v2, s10
	s_xor_b64 exec, exec, s[6:7]
	s_cbranch_execnz .LBB46_2300
.LBB46_250:
	s_or_b64 exec, exec, s[6:7]
	s_and_saveexec_b64 s[6:7], s[4:5]
	s_cbranch_execz .LBB46_252
.LBB46_251:
	v_bfe_u32 v2, v9, 24, 3
	v_ffbh_u32_e32 v7, v2
	v_min_u32_e32 v7, 32, v7
	v_lshrrev_b32_e32 v4, 27, v9
	v_subrev_u32_e32 v8, 28, v7
	v_and_b32_e32 v4, 15, v4
	v_lshlrev_b32_sdwa v8, v8, v9 dst_sel:DWORD dst_unused:UNUSED_PAD src0_sel:DWORD src1_sel:BYTE_3
	v_bfe_u32 v6, v9, 27, 4
	v_sub_u32_e32 v7, 29, v7
	v_and_b32_e32 v8, 7, v8
	v_cmp_eq_u16_e32 vcc, 0, v4
	v_cndmask_b32_e32 v2, v2, v8, vcc
	v_cndmask_b32_e32 v4, v6, v7, vcc
	v_mov_b32_e32 v6, 0x3b800000
	v_and_b32_e32 v3, 0x80000000, v9
	v_lshlrev_b32_e32 v2, 20, v2
	v_lshl_add_u32 v4, v4, 23, v6
	v_or3_b32 v2, v3, v4, v2
.LBB46_252:
	s_or_b64 exec, exec, s[6:7]
	s_movk_i32 s4, 0x7f
	v_cmp_gt_i16_sdwa s[6:7], v5, s4 src0_sel:BYTE_3 src1_sel:DWORD
	s_mov_b64 s[4:5], 0
                                        ; implicit-def: $sgpr10
	s_and_saveexec_b64 s[8:9], s[6:7]
	s_xor_b64 s[6:7], exec, s[8:9]
	s_cbranch_execnz .LBB46_2301
; %bb.253:
	s_or_saveexec_b64 s[6:7], s[6:7]
	v_mov_b32_e32 v3, s10
	s_xor_b64 exec, exec, s[6:7]
	s_cbranch_execnz .LBB46_2304
.LBB46_254:
	s_or_b64 exec, exec, s[6:7]
	s_and_saveexec_b64 s[6:7], s[4:5]
	s_cbranch_execz .LBB46_256
.LBB46_255:
	v_bfe_u32 v3, v5, 24, 3
	v_ffbh_u32_e32 v8, v3
	v_min_u32_e32 v8, 32, v8
	v_lshrrev_b32_e32 v6, 27, v5
	v_subrev_u32_e32 v9, 28, v8
	v_and_b32_e32 v4, 0x80000000, v5
	v_and_b32_e32 v6, 15, v6
	v_bfe_u32 v7, v5, 27, 4
	v_lshlrev_b32_sdwa v5, v9, v5 dst_sel:DWORD dst_unused:UNUSED_PAD src0_sel:DWORD src1_sel:BYTE_3
	v_sub_u32_e32 v8, 29, v8
	v_and_b32_e32 v5, 7, v5
	v_cmp_eq_u16_e32 vcc, 0, v6
	v_cndmask_b32_e32 v3, v3, v5, vcc
	v_cndmask_b32_e32 v5, v7, v8, vcc
	v_mov_b32_e32 v6, 0x3b800000
	v_lshlrev_b32_e32 v3, 20, v3
	v_lshl_add_u32 v5, v5, 23, v6
	v_or3_b32 v3, v4, v5, v3
.LBB46_256:
	s_or_b64 exec, exec, s[6:7]
	s_nop 0
	v_mfma_f32_16x16x4f32 a[0:3], v2, v3, a[0:3]
	s_movk_i32 s4, 0x7f
                                        ; implicit-def: $sgpr10
	s_nop 7
	s_nop 1
	flat_store_dwordx4 v[18:19], a[0:3] offset:256
	flat_load_dwordx4 v[20:23], v[0:1] offset:8
	s_nop 0
	flat_load_dwordx2 v[18:19], v[0:1] offset:24
	s_waitcnt vmcnt(0) lgkmcnt(0)
	flat_load_dwordx4 v[14:17], v[20:21]
	flat_load_dwordx4 v[6:9], v[20:21] offset:16
	flat_load_dwordx4 v[10:13], v[22:23] offset:32
	;; [unrolled: 1-line block ×3, first 2 shown]
	s_waitcnt vmcnt(0) lgkmcnt(0)
	v_cmp_gt_i16_sdwa s[6:7], v14, s4 src0_sel:BYTE_0 src1_sel:DWORD
	s_mov_b64 s[4:5], 0
	s_and_saveexec_b64 s[8:9], s[6:7]
	s_xor_b64 s[6:7], exec, s[8:9]
	s_cbranch_execnz .LBB46_2305
; %bb.257:
	s_or_saveexec_b64 s[6:7], s[6:7]
	v_mov_b32_e32 v20, s10
	s_xor_b64 exec, exec, s[6:7]
	s_cbranch_execnz .LBB46_2308
.LBB46_258:
	s_or_b64 exec, exec, s[6:7]
	s_and_saveexec_b64 s[6:7], s[4:5]
	s_cbranch_execz .LBB46_260
.LBB46_259:
	v_and_b32_e32 v20, 7, v14
	v_ffbh_u32_e32 v22, v20
	v_min_u32_e32 v22, 32, v22
	v_lshrrev_b16_e32 v21, 3, v14
	v_subrev_u32_e32 v23, 28, v22
	v_and_b32_e32 v21, 15, v21
	v_lshlrev_b32_e32 v23, v23, v14
	v_sub_u32_e32 v22, 29, v22
	v_and_b32_e32 v23, 7, v23
	v_cmp_eq_u16_e32 vcc, 0, v21
	v_cndmask_b32_e32 v20, v20, v23, vcc
	v_cndmask_b32_e32 v21, v21, v22, vcc
	v_lshlrev_b32_e32 v22, 24, v14
	v_mov_b32_e32 v23, 0x3b800000
	v_lshlrev_b32_e32 v20, 20, v20
	v_and_b32_e32 v22, 0x80000000, v22
	v_lshl_add_u32 v21, v21, 23, v23
	v_or3_b32 v20, v22, v21, v20
.LBB46_260:
	s_or_b64 exec, exec, s[6:7]
	s_movk_i32 s4, 0x7f
	v_cmp_gt_i16_sdwa s[6:7], v10, s4 src0_sel:BYTE_0 src1_sel:DWORD
	s_mov_b64 s[4:5], 0
                                        ; implicit-def: $sgpr10
	s_and_saveexec_b64 s[8:9], s[6:7]
	s_xor_b64 s[6:7], exec, s[8:9]
	s_cbranch_execnz .LBB46_2309
; %bb.261:
	s_or_saveexec_b64 s[6:7], s[6:7]
	v_mov_b32_e32 v21, s10
	s_xor_b64 exec, exec, s[6:7]
	s_cbranch_execnz .LBB46_2312
.LBB46_262:
	s_or_b64 exec, exec, s[6:7]
	s_and_saveexec_b64 s[6:7], s[4:5]
	s_cbranch_execz .LBB46_264
.LBB46_263:
	v_and_b32_e32 v21, 7, v10
	v_ffbh_u32_e32 v23, v21
	v_min_u32_e32 v23, 32, v23
	v_lshrrev_b16_e32 v22, 3, v10
	v_subrev_u32_e32 v24, 28, v23
	v_and_b32_e32 v22, 15, v22
	v_lshlrev_b32_e32 v24, v24, v10
	v_sub_u32_e32 v23, 29, v23
	v_and_b32_e32 v24, 7, v24
	v_cmp_eq_u16_e32 vcc, 0, v22
	v_cndmask_b32_e32 v21, v21, v24, vcc
	v_cndmask_b32_e32 v22, v22, v23, vcc
	v_lshlrev_b32_e32 v23, 24, v10
	v_mov_b32_e32 v24, 0x3b800000
	v_lshlrev_b32_e32 v21, 20, v21
	v_and_b32_e32 v23, 0x80000000, v23
	v_lshl_add_u32 v22, v22, 23, v24
	v_or3_b32 v21, v23, v22, v21
.LBB46_264:
	s_or_b64 exec, exec, s[6:7]
	flat_load_dwordx4 a[0:3], v[18:19] offset:272
	s_movk_i32 s4, 0x7f
                                        ; implicit-def: $sgpr10
	s_waitcnt vmcnt(0) lgkmcnt(0)
	v_mfma_f32_16x16x4f32 a[0:3], v20, v21, a[0:3]
	v_lshrrev_b32_e32 v21, 8, v14
	v_cmp_gt_i16_sdwa s[6:7], v21, s4 src0_sel:BYTE_0 src1_sel:DWORD
	s_mov_b64 s[4:5], 0
	s_and_saveexec_b64 s[8:9], s[6:7]
	s_xor_b64 s[6:7], exec, s[8:9]
	s_cbranch_execnz .LBB46_2313
; %bb.265:
	s_or_saveexec_b64 s[6:7], s[6:7]
	v_mov_b32_e32 v20, s10
	s_xor_b64 exec, exec, s[6:7]
	s_cbranch_execnz .LBB46_2316
.LBB46_266:
	s_or_b64 exec, exec, s[6:7]
	s_and_saveexec_b64 s[6:7], s[4:5]
	s_cbranch_execz .LBB46_268
.LBB46_267:
	v_bfe_u32 v20, v14, 8, 3
	v_ffbh_u32_e32 v23, v20
	v_min_u32_e32 v23, 32, v23
	v_lshrrev_b16_e32 v22, 3, v21
	v_subrev_u32_e32 v24, 28, v23
	v_and_b32_e32 v22, 15, v22
	v_lshlrev_b32_e32 v21, v24, v21
	v_sub_u32_e32 v23, 29, v23
	v_and_b32_e32 v21, 7, v21
	v_cmp_eq_u16_e32 vcc, 0, v22
	v_cndmask_b32_e32 v20, v20, v21, vcc
	v_cndmask_b32_e32 v21, v22, v23, vcc
	v_lshlrev_b32_e32 v22, 16, v14
	v_mov_b32_e32 v23, 0x3b800000
	v_lshlrev_b32_e32 v20, 20, v20
	v_and_b32_e32 v22, 0x80000000, v22
	v_lshl_add_u32 v21, v21, 23, v23
	v_or3_b32 v20, v22, v21, v20
.LBB46_268:
	s_or_b64 exec, exec, s[6:7]
	v_lshrrev_b32_e32 v21, 8, v10
	s_movk_i32 s4, 0x7f
	v_cmp_gt_i16_sdwa s[6:7], v21, s4 src0_sel:BYTE_0 src1_sel:DWORD
	s_mov_b64 s[4:5], 0
                                        ; implicit-def: $sgpr10
	s_and_saveexec_b64 s[8:9], s[6:7]
	s_xor_b64 s[6:7], exec, s[8:9]
	s_cbranch_execnz .LBB46_2317
; %bb.269:
	s_or_saveexec_b64 s[6:7], s[6:7]
	v_mov_b32_e32 v22, s10
	s_xor_b64 exec, exec, s[6:7]
	s_cbranch_execnz .LBB46_2320
.LBB46_270:
	s_or_b64 exec, exec, s[6:7]
	s_and_saveexec_b64 s[6:7], s[4:5]
	s_cbranch_execz .LBB46_272
.LBB46_271:
	v_bfe_u32 v22, v10, 8, 3
	v_ffbh_u32_e32 v24, v22
	v_min_u32_e32 v24, 32, v24
	v_lshrrev_b16_e32 v23, 3, v21
	v_subrev_u32_e32 v25, 28, v24
	v_and_b32_e32 v23, 15, v23
	v_lshlrev_b32_e32 v21, v25, v21
	v_sub_u32_e32 v24, 29, v24
	v_and_b32_e32 v21, 7, v21
	v_cmp_eq_u16_e32 vcc, 0, v23
	v_cndmask_b32_e32 v21, v22, v21, vcc
	v_cndmask_b32_e32 v22, v23, v24, vcc
	v_lshlrev_b32_e32 v23, 16, v10
	v_mov_b32_e32 v24, 0x3b800000
	v_lshlrev_b32_e32 v21, 20, v21
	v_and_b32_e32 v23, 0x80000000, v23
	v_lshl_add_u32 v22, v22, 23, v24
	v_or3_b32 v22, v23, v22, v21
.LBB46_272:
	s_or_b64 exec, exec, s[6:7]
	s_nop 0
	v_mfma_f32_16x16x4f32 a[0:3], v20, v22, a[0:3]
	s_movk_i32 s4, 0xff
	v_and_b32_sdwa v21, v14, s4 dst_sel:DWORD dst_unused:UNUSED_PAD src0_sel:WORD_1 src1_sel:DWORD
	s_movk_i32 s4, 0x7f
	v_cmp_lt_i16_e32 vcc, s4, v21
	s_mov_b64 s[4:5], 0
                                        ; implicit-def: $sgpr10
	s_and_saveexec_b64 s[6:7], vcc
	s_xor_b64 s[6:7], exec, s[6:7]
	s_cbranch_execnz .LBB46_2321
; %bb.273:
	s_or_saveexec_b64 s[6:7], s[6:7]
	v_mov_b32_e32 v20, s10
	s_xor_b64 exec, exec, s[6:7]
	s_cbranch_execnz .LBB46_2324
.LBB46_274:
	s_or_b64 exec, exec, s[6:7]
	s_and_saveexec_b64 s[6:7], s[4:5]
	s_cbranch_execz .LBB46_276
.LBB46_275:
	v_bfe_u32 v20, v14, 16, 3
	v_ffbh_u32_e32 v23, v20
	v_min_u32_e32 v23, 32, v23
	v_lshrrev_b32_e32 v21, 19, v14
	v_subrev_u32_e32 v24, 28, v23
	v_and_b32_e32 v21, 15, v21
	v_lshlrev_b32_sdwa v24, v24, v14 dst_sel:DWORD dst_unused:UNUSED_PAD src0_sel:DWORD src1_sel:WORD_1
	v_bfe_u32 v22, v14, 19, 4
	v_sub_u32_e32 v23, 29, v23
	v_and_b32_e32 v24, 7, v24
	v_cmp_eq_u16_e32 vcc, 0, v21
	v_cndmask_b32_e32 v20, v20, v24, vcc
	v_cndmask_b32_e32 v21, v22, v23, vcc
	v_lshlrev_b32_e32 v22, 8, v14
	v_mov_b32_e32 v23, 0x3b800000
	v_lshlrev_b32_e32 v20, 20, v20
	v_and_b32_e32 v22, 0x80000000, v22
	v_lshl_add_u32 v21, v21, 23, v23
	v_or3_b32 v20, v22, v21, v20
.LBB46_276:
	s_or_b64 exec, exec, s[6:7]
	s_movk_i32 s4, 0xff
	v_and_b32_sdwa v21, v10, s4 dst_sel:DWORD dst_unused:UNUSED_PAD src0_sel:WORD_1 src1_sel:DWORD
	s_movk_i32 s4, 0x7f
	v_cmp_lt_i16_e32 vcc, s4, v21
	s_mov_b64 s[4:5], 0
                                        ; implicit-def: $sgpr10
	s_and_saveexec_b64 s[6:7], vcc
	s_xor_b64 s[6:7], exec, s[6:7]
	s_cbranch_execnz .LBB46_2325
; %bb.277:
	s_or_saveexec_b64 s[6:7], s[6:7]
	v_mov_b32_e32 v22, s10
	s_xor_b64 exec, exec, s[6:7]
	s_cbranch_execnz .LBB46_2328
.LBB46_278:
	s_or_b64 exec, exec, s[6:7]
	s_and_saveexec_b64 s[6:7], s[4:5]
	s_cbranch_execz .LBB46_280
.LBB46_279:
	v_bfe_u32 v21, v10, 16, 3
	v_ffbh_u32_e32 v24, v21
	v_min_u32_e32 v24, 32, v24
	v_lshrrev_b32_e32 v22, 19, v10
	v_subrev_u32_e32 v25, 28, v24
	v_and_b32_e32 v22, 15, v22
	v_lshlrev_b32_sdwa v25, v25, v10 dst_sel:DWORD dst_unused:UNUSED_PAD src0_sel:DWORD src1_sel:WORD_1
	v_bfe_u32 v23, v10, 19, 4
	v_sub_u32_e32 v24, 29, v24
	v_and_b32_e32 v25, 7, v25
	v_cmp_eq_u16_e32 vcc, 0, v22
	v_cndmask_b32_e32 v21, v21, v25, vcc
	v_cndmask_b32_e32 v22, v23, v24, vcc
	v_lshlrev_b32_e32 v23, 8, v10
	v_mov_b32_e32 v24, 0x3b800000
	v_lshlrev_b32_e32 v21, 20, v21
	v_and_b32_e32 v23, 0x80000000, v23
	v_lshl_add_u32 v22, v22, 23, v24
	v_or3_b32 v22, v23, v22, v21
.LBB46_280:
	s_or_b64 exec, exec, s[6:7]
	s_nop 0
	v_mfma_f32_16x16x4f32 a[0:3], v20, v22, a[0:3]
	s_movk_i32 s4, 0x7f
	v_cmp_gt_i16_sdwa s[6:7], v14, s4 src0_sel:BYTE_3 src1_sel:DWORD
	s_mov_b64 s[4:5], 0
                                        ; implicit-def: $sgpr10
	s_and_saveexec_b64 s[8:9], s[6:7]
	s_xor_b64 s[6:7], exec, s[8:9]
	s_cbranch_execnz .LBB46_2329
; %bb.281:
	s_or_saveexec_b64 s[6:7], s[6:7]
	v_mov_b32_e32 v20, s10
	s_xor_b64 exec, exec, s[6:7]
	s_cbranch_execnz .LBB46_2332
.LBB46_282:
	s_or_b64 exec, exec, s[6:7]
	s_and_saveexec_b64 s[6:7], s[4:5]
	s_cbranch_execz .LBB46_284
.LBB46_283:
	v_bfe_u32 v20, v14, 24, 3
	v_ffbh_u32_e32 v24, v20
	v_min_u32_e32 v24, 32, v24
	v_lshrrev_b32_e32 v22, 27, v14
	v_subrev_u32_e32 v25, 28, v24
	v_and_b32_e32 v21, 0x80000000, v14
	v_and_b32_e32 v22, 15, v22
	v_bfe_u32 v23, v14, 27, 4
	v_lshlrev_b32_sdwa v14, v25, v14 dst_sel:DWORD dst_unused:UNUSED_PAD src0_sel:DWORD src1_sel:BYTE_3
	v_sub_u32_e32 v24, 29, v24
	v_and_b32_e32 v14, 7, v14
	v_cmp_eq_u16_e32 vcc, 0, v22
	v_cndmask_b32_e32 v14, v20, v14, vcc
	v_cndmask_b32_e32 v20, v23, v24, vcc
	v_mov_b32_e32 v22, 0x3b800000
	v_lshlrev_b32_e32 v14, 20, v14
	v_lshl_add_u32 v20, v20, 23, v22
	v_or3_b32 v20, v21, v20, v14
.LBB46_284:
	s_or_b64 exec, exec, s[6:7]
	s_movk_i32 s4, 0x7f
	v_cmp_gt_i16_sdwa s[6:7], v10, s4 src0_sel:BYTE_3 src1_sel:DWORD
	s_mov_b64 s[4:5], 0
                                        ; implicit-def: $sgpr10
	s_and_saveexec_b64 s[8:9], s[6:7]
	s_xor_b64 s[6:7], exec, s[8:9]
	s_cbranch_execnz .LBB46_2333
; %bb.285:
	s_or_saveexec_b64 s[6:7], s[6:7]
	v_mov_b32_e32 v14, s10
	s_xor_b64 exec, exec, s[6:7]
	s_cbranch_execnz .LBB46_2336
.LBB46_286:
	s_or_b64 exec, exec, s[6:7]
	s_and_saveexec_b64 s[6:7], s[4:5]
	s_cbranch_execz .LBB46_288
.LBB46_287:
	v_bfe_u32 v14, v10, 24, 3
	v_ffbh_u32_e32 v24, v14
	v_min_u32_e32 v24, 32, v24
	v_lshrrev_b32_e32 v22, 27, v10
	v_subrev_u32_e32 v25, 28, v24
	v_and_b32_e32 v21, 0x80000000, v10
	v_and_b32_e32 v22, 15, v22
	v_bfe_u32 v23, v10, 27, 4
	v_lshlrev_b32_sdwa v10, v25, v10 dst_sel:DWORD dst_unused:UNUSED_PAD src0_sel:DWORD src1_sel:BYTE_3
	v_sub_u32_e32 v24, 29, v24
	v_and_b32_e32 v10, 7, v10
	v_cmp_eq_u16_e32 vcc, 0, v22
	v_cndmask_b32_e32 v10, v14, v10, vcc
	v_cndmask_b32_e32 v14, v23, v24, vcc
	v_mov_b32_e32 v22, 0x3b800000
	v_lshlrev_b32_e32 v10, 20, v10
	v_lshl_add_u32 v14, v14, 23, v22
	v_or3_b32 v14, v21, v14, v10
.LBB46_288:
	s_or_b64 exec, exec, s[6:7]
	s_nop 0
	v_mfma_f32_16x16x4f32 a[0:3], v20, v14, a[0:3]
	s_movk_i32 s4, 0x7f
	v_cmp_gt_i16_sdwa s[6:7], v15, s4 src0_sel:BYTE_0 src1_sel:DWORD
	s_mov_b64 s[4:5], 0
                                        ; implicit-def: $sgpr10
	s_and_saveexec_b64 s[8:9], s[6:7]
	s_xor_b64 s[6:7], exec, s[8:9]
	s_cbranch_execnz .LBB46_2337
; %bb.289:
	s_or_saveexec_b64 s[6:7], s[6:7]
	v_mov_b32_e32 v10, s10
	s_xor_b64 exec, exec, s[6:7]
	s_cbranch_execnz .LBB46_2340
.LBB46_290:
	s_or_b64 exec, exec, s[6:7]
	s_and_saveexec_b64 s[6:7], s[4:5]
	s_cbranch_execz .LBB46_292
.LBB46_291:
	v_and_b32_e32 v10, 7, v15
	v_ffbh_u32_e32 v20, v10
	v_min_u32_e32 v20, 32, v20
	v_lshrrev_b16_e32 v14, 3, v15
	v_subrev_u32_e32 v21, 28, v20
	v_and_b32_e32 v14, 15, v14
	v_lshlrev_b32_e32 v21, v21, v15
	v_sub_u32_e32 v20, 29, v20
	v_and_b32_e32 v21, 7, v21
	v_cmp_eq_u16_e32 vcc, 0, v14
	v_cndmask_b32_e32 v10, v10, v21, vcc
	v_cndmask_b32_e32 v14, v14, v20, vcc
	v_lshlrev_b32_e32 v20, 24, v15
	v_mov_b32_e32 v21, 0x3b800000
	v_lshlrev_b32_e32 v10, 20, v10
	v_and_b32_e32 v20, 0x80000000, v20
	v_lshl_add_u32 v14, v14, 23, v21
	v_or3_b32 v10, v20, v14, v10
.LBB46_292:
	s_or_b64 exec, exec, s[6:7]
	s_movk_i32 s4, 0x7f
	v_cmp_gt_i16_sdwa s[6:7], v11, s4 src0_sel:BYTE_0 src1_sel:DWORD
	s_mov_b64 s[4:5], 0
                                        ; implicit-def: $sgpr10
	s_and_saveexec_b64 s[8:9], s[6:7]
	s_xor_b64 s[6:7], exec, s[8:9]
	s_cbranch_execnz .LBB46_2341
; %bb.293:
	s_or_saveexec_b64 s[6:7], s[6:7]
	v_mov_b32_e32 v14, s10
	s_xor_b64 exec, exec, s[6:7]
	s_cbranch_execnz .LBB46_2344
.LBB46_294:
	s_or_b64 exec, exec, s[6:7]
	s_and_saveexec_b64 s[6:7], s[4:5]
	s_cbranch_execz .LBB46_296
.LBB46_295:
	v_and_b32_e32 v14, 7, v11
	v_ffbh_u32_e32 v21, v14
	v_min_u32_e32 v21, 32, v21
	v_lshrrev_b16_e32 v20, 3, v11
	v_subrev_u32_e32 v22, 28, v21
	v_and_b32_e32 v20, 15, v20
	v_lshlrev_b32_e32 v22, v22, v11
	v_sub_u32_e32 v21, 29, v21
	v_and_b32_e32 v22, 7, v22
	v_cmp_eq_u16_e32 vcc, 0, v20
	v_cndmask_b32_e32 v14, v14, v22, vcc
	v_cndmask_b32_e32 v20, v20, v21, vcc
	v_lshlrev_b32_e32 v21, 24, v11
	v_mov_b32_e32 v22, 0x3b800000
	v_lshlrev_b32_e32 v14, 20, v14
	v_and_b32_e32 v21, 0x80000000, v21
	v_lshl_add_u32 v20, v20, 23, v22
	v_or3_b32 v14, v21, v20, v14
.LBB46_296:
	s_or_b64 exec, exec, s[6:7]
	s_nop 0
	v_mfma_f32_16x16x4f32 a[0:3], v10, v14, a[0:3]
	v_lshrrev_b32_e32 v14, 8, v15
	s_movk_i32 s4, 0x7f
	v_cmp_gt_i16_sdwa s[6:7], v14, s4 src0_sel:BYTE_0 src1_sel:DWORD
	s_mov_b64 s[4:5], 0
                                        ; implicit-def: $sgpr10
	s_and_saveexec_b64 s[8:9], s[6:7]
	s_xor_b64 s[6:7], exec, s[8:9]
	s_cbranch_execnz .LBB46_2345
; %bb.297:
	s_or_saveexec_b64 s[6:7], s[6:7]
	v_mov_b32_e32 v10, s10
	s_xor_b64 exec, exec, s[6:7]
	s_cbranch_execnz .LBB46_2348
.LBB46_298:
	s_or_b64 exec, exec, s[6:7]
	s_and_saveexec_b64 s[6:7], s[4:5]
	s_cbranch_execz .LBB46_300
.LBB46_299:
	v_bfe_u32 v10, v15, 8, 3
	v_ffbh_u32_e32 v21, v10
	v_min_u32_e32 v21, 32, v21
	v_lshrrev_b16_e32 v20, 3, v14
	v_subrev_u32_e32 v22, 28, v21
	v_and_b32_e32 v20, 15, v20
	v_lshlrev_b32_e32 v14, v22, v14
	v_sub_u32_e32 v21, 29, v21
	v_and_b32_e32 v14, 7, v14
	v_cmp_eq_u16_e32 vcc, 0, v20
	v_cndmask_b32_e32 v10, v10, v14, vcc
	v_cndmask_b32_e32 v14, v20, v21, vcc
	v_lshlrev_b32_e32 v20, 16, v15
	v_mov_b32_e32 v21, 0x3b800000
	v_lshlrev_b32_e32 v10, 20, v10
	v_and_b32_e32 v20, 0x80000000, v20
	v_lshl_add_u32 v14, v14, 23, v21
	v_or3_b32 v10, v20, v14, v10
.LBB46_300:
	s_or_b64 exec, exec, s[6:7]
	v_lshrrev_b32_e32 v14, 8, v11
	s_movk_i32 s4, 0x7f
	v_cmp_gt_i16_sdwa s[6:7], v14, s4 src0_sel:BYTE_0 src1_sel:DWORD
	s_mov_b64 s[4:5], 0
                                        ; implicit-def: $sgpr10
	s_and_saveexec_b64 s[8:9], s[6:7]
	s_xor_b64 s[6:7], exec, s[8:9]
	s_cbranch_execnz .LBB46_2349
; %bb.301:
	s_or_saveexec_b64 s[6:7], s[6:7]
	v_mov_b32_e32 v20, s10
	s_xor_b64 exec, exec, s[6:7]
	s_cbranch_execnz .LBB46_2352
.LBB46_302:
	s_or_b64 exec, exec, s[6:7]
	s_and_saveexec_b64 s[6:7], s[4:5]
	s_cbranch_execz .LBB46_304
.LBB46_303:
	v_bfe_u32 v20, v11, 8, 3
	v_ffbh_u32_e32 v22, v20
	v_min_u32_e32 v22, 32, v22
	v_lshrrev_b16_e32 v21, 3, v14
	v_subrev_u32_e32 v23, 28, v22
	v_and_b32_e32 v21, 15, v21
	v_lshlrev_b32_e32 v14, v23, v14
	v_sub_u32_e32 v22, 29, v22
	v_and_b32_e32 v14, 7, v14
	v_cmp_eq_u16_e32 vcc, 0, v21
	v_cndmask_b32_e32 v14, v20, v14, vcc
	v_cndmask_b32_e32 v20, v21, v22, vcc
	v_lshlrev_b32_e32 v21, 16, v11
	v_mov_b32_e32 v22, 0x3b800000
	v_lshlrev_b32_e32 v14, 20, v14
	v_and_b32_e32 v21, 0x80000000, v21
	v_lshl_add_u32 v20, v20, 23, v22
	v_or3_b32 v20, v21, v20, v14
.LBB46_304:
	s_or_b64 exec, exec, s[6:7]
	s_nop 0
	v_mfma_f32_16x16x4f32 a[0:3], v10, v20, a[0:3]
	s_movk_i32 s4, 0xff
	v_and_b32_sdwa v14, v15, s4 dst_sel:DWORD dst_unused:UNUSED_PAD src0_sel:WORD_1 src1_sel:DWORD
	s_movk_i32 s4, 0x7f
	v_cmp_lt_i16_e32 vcc, s4, v14
	s_mov_b64 s[4:5], 0
                                        ; implicit-def: $sgpr10
	s_and_saveexec_b64 s[6:7], vcc
	s_xor_b64 s[6:7], exec, s[6:7]
	s_cbranch_execnz .LBB46_2353
; %bb.305:
	s_or_saveexec_b64 s[6:7], s[6:7]
	v_mov_b32_e32 v10, s10
	s_xor_b64 exec, exec, s[6:7]
	s_cbranch_execnz .LBB46_2356
.LBB46_306:
	s_or_b64 exec, exec, s[6:7]
	s_and_saveexec_b64 s[6:7], s[4:5]
	s_cbranch_execz .LBB46_308
.LBB46_307:
	v_bfe_u32 v10, v15, 16, 3
	v_ffbh_u32_e32 v21, v10
	v_min_u32_e32 v21, 32, v21
	v_lshrrev_b32_e32 v14, 19, v15
	v_subrev_u32_e32 v22, 28, v21
	v_and_b32_e32 v14, 15, v14
	v_lshlrev_b32_sdwa v22, v22, v15 dst_sel:DWORD dst_unused:UNUSED_PAD src0_sel:DWORD src1_sel:WORD_1
	v_bfe_u32 v20, v15, 19, 4
	v_sub_u32_e32 v21, 29, v21
	v_and_b32_e32 v22, 7, v22
	v_cmp_eq_u16_e32 vcc, 0, v14
	v_cndmask_b32_e32 v10, v10, v22, vcc
	v_cndmask_b32_e32 v14, v20, v21, vcc
	v_lshlrev_b32_e32 v20, 8, v15
	v_mov_b32_e32 v21, 0x3b800000
	v_lshlrev_b32_e32 v10, 20, v10
	v_and_b32_e32 v20, 0x80000000, v20
	v_lshl_add_u32 v14, v14, 23, v21
	v_or3_b32 v10, v20, v14, v10
.LBB46_308:
	s_or_b64 exec, exec, s[6:7]
	s_movk_i32 s4, 0xff
	v_and_b32_sdwa v14, v11, s4 dst_sel:DWORD dst_unused:UNUSED_PAD src0_sel:WORD_1 src1_sel:DWORD
	s_movk_i32 s4, 0x7f
	v_cmp_lt_i16_e32 vcc, s4, v14
	s_mov_b64 s[4:5], 0
                                        ; implicit-def: $sgpr10
	s_and_saveexec_b64 s[6:7], vcc
	s_xor_b64 s[6:7], exec, s[6:7]
	s_cbranch_execnz .LBB46_2357
; %bb.309:
	s_or_saveexec_b64 s[6:7], s[6:7]
	v_mov_b32_e32 v20, s10
	s_xor_b64 exec, exec, s[6:7]
	s_cbranch_execnz .LBB46_2360
.LBB46_310:
	s_or_b64 exec, exec, s[6:7]
	s_and_saveexec_b64 s[6:7], s[4:5]
	s_cbranch_execz .LBB46_312
.LBB46_311:
	v_bfe_u32 v14, v11, 16, 3
	v_ffbh_u32_e32 v22, v14
	v_min_u32_e32 v22, 32, v22
	v_lshrrev_b32_e32 v20, 19, v11
	v_subrev_u32_e32 v23, 28, v22
	v_and_b32_e32 v20, 15, v20
	v_lshlrev_b32_sdwa v23, v23, v11 dst_sel:DWORD dst_unused:UNUSED_PAD src0_sel:DWORD src1_sel:WORD_1
	v_bfe_u32 v21, v11, 19, 4
	v_sub_u32_e32 v22, 29, v22
	v_and_b32_e32 v23, 7, v23
	v_cmp_eq_u16_e32 vcc, 0, v20
	v_cndmask_b32_e32 v14, v14, v23, vcc
	v_cndmask_b32_e32 v20, v21, v22, vcc
	v_lshlrev_b32_e32 v21, 8, v11
	v_mov_b32_e32 v22, 0x3b800000
	v_lshlrev_b32_e32 v14, 20, v14
	v_and_b32_e32 v21, 0x80000000, v21
	v_lshl_add_u32 v20, v20, 23, v22
	v_or3_b32 v20, v21, v20, v14
.LBB46_312:
	s_or_b64 exec, exec, s[6:7]
	s_nop 0
	v_mfma_f32_16x16x4f32 a[0:3], v10, v20, a[0:3]
	s_movk_i32 s4, 0x7f
	v_cmp_gt_i16_sdwa s[6:7], v15, s4 src0_sel:BYTE_3 src1_sel:DWORD
	s_mov_b64 s[4:5], 0
                                        ; implicit-def: $sgpr10
	s_and_saveexec_b64 s[8:9], s[6:7]
	s_xor_b64 s[6:7], exec, s[8:9]
	s_cbranch_execnz .LBB46_2361
; %bb.313:
	s_or_saveexec_b64 s[6:7], s[6:7]
	v_mov_b32_e32 v10, s10
	s_xor_b64 exec, exec, s[6:7]
	s_cbranch_execnz .LBB46_2364
.LBB46_314:
	s_or_b64 exec, exec, s[6:7]
	s_and_saveexec_b64 s[6:7], s[4:5]
	s_cbranch_execz .LBB46_316
.LBB46_315:
	v_bfe_u32 v10, v15, 24, 3
	v_ffbh_u32_e32 v22, v10
	v_min_u32_e32 v22, 32, v22
	v_lshrrev_b32_e32 v20, 27, v15
	v_subrev_u32_e32 v23, 28, v22
	v_and_b32_e32 v14, 0x80000000, v15
	v_and_b32_e32 v20, 15, v20
	v_bfe_u32 v21, v15, 27, 4
	v_lshlrev_b32_sdwa v15, v23, v15 dst_sel:DWORD dst_unused:UNUSED_PAD src0_sel:DWORD src1_sel:BYTE_3
	v_sub_u32_e32 v22, 29, v22
	v_and_b32_e32 v15, 7, v15
	v_cmp_eq_u16_e32 vcc, 0, v20
	v_cndmask_b32_e32 v10, v10, v15, vcc
	v_cndmask_b32_e32 v15, v21, v22, vcc
	v_mov_b32_e32 v20, 0x3b800000
	v_lshlrev_b32_e32 v10, 20, v10
	v_lshl_add_u32 v15, v15, 23, v20
	v_or3_b32 v10, v14, v15, v10
.LBB46_316:
	s_or_b64 exec, exec, s[6:7]
	s_movk_i32 s4, 0x7f
	v_cmp_gt_i16_sdwa s[6:7], v11, s4 src0_sel:BYTE_3 src1_sel:DWORD
	s_mov_b64 s[4:5], 0
                                        ; implicit-def: $sgpr10
	s_and_saveexec_b64 s[8:9], s[6:7]
	s_xor_b64 s[6:7], exec, s[8:9]
	s_cbranch_execnz .LBB46_2365
; %bb.317:
	s_or_saveexec_b64 s[6:7], s[6:7]
	v_mov_b32_e32 v14, s10
	s_xor_b64 exec, exec, s[6:7]
	s_cbranch_execnz .LBB46_2368
.LBB46_318:
	s_or_b64 exec, exec, s[6:7]
	s_and_saveexec_b64 s[6:7], s[4:5]
	s_cbranch_execz .LBB46_320
.LBB46_319:
	v_bfe_u32 v14, v11, 24, 3
	v_ffbh_u32_e32 v22, v14
	v_min_u32_e32 v22, 32, v22
	v_lshrrev_b32_e32 v20, 27, v11
	v_subrev_u32_e32 v23, 28, v22
	v_and_b32_e32 v15, 0x80000000, v11
	v_and_b32_e32 v20, 15, v20
	v_bfe_u32 v21, v11, 27, 4
	v_lshlrev_b32_sdwa v11, v23, v11 dst_sel:DWORD dst_unused:UNUSED_PAD src0_sel:DWORD src1_sel:BYTE_3
	v_sub_u32_e32 v22, 29, v22
	v_and_b32_e32 v11, 7, v11
	v_cmp_eq_u16_e32 vcc, 0, v20
	v_cndmask_b32_e32 v11, v14, v11, vcc
	v_cndmask_b32_e32 v14, v21, v22, vcc
	v_mov_b32_e32 v20, 0x3b800000
	v_lshlrev_b32_e32 v11, 20, v11
	v_lshl_add_u32 v14, v14, 23, v20
	v_or3_b32 v14, v15, v14, v11
.LBB46_320:
	s_or_b64 exec, exec, s[6:7]
	s_nop 0
	v_mfma_f32_16x16x4f32 a[0:3], v10, v14, a[0:3]
	s_movk_i32 s4, 0x7f
	v_cmp_gt_i16_sdwa s[6:7], v16, s4 src0_sel:BYTE_0 src1_sel:DWORD
	s_mov_b64 s[4:5], 0
                                        ; implicit-def: $sgpr10
	s_and_saveexec_b64 s[8:9], s[6:7]
	s_xor_b64 s[6:7], exec, s[8:9]
	s_cbranch_execnz .LBB46_2369
; %bb.321:
	s_or_saveexec_b64 s[6:7], s[6:7]
	v_mov_b32_e32 v10, s10
	s_xor_b64 exec, exec, s[6:7]
	s_cbranch_execnz .LBB46_2372
.LBB46_322:
	s_or_b64 exec, exec, s[6:7]
	s_and_saveexec_b64 s[6:7], s[4:5]
	s_cbranch_execz .LBB46_324
.LBB46_323:
	v_and_b32_e32 v10, 7, v16
	v_ffbh_u32_e32 v14, v10
	v_min_u32_e32 v14, 32, v14
	v_lshrrev_b16_e32 v11, 3, v16
	v_subrev_u32_e32 v15, 28, v14
	v_and_b32_e32 v11, 15, v11
	v_lshlrev_b32_e32 v15, v15, v16
	v_sub_u32_e32 v14, 29, v14
	v_and_b32_e32 v15, 7, v15
	v_cmp_eq_u16_e32 vcc, 0, v11
	v_cndmask_b32_e32 v10, v10, v15, vcc
	v_cndmask_b32_e32 v11, v11, v14, vcc
	v_lshlrev_b32_e32 v14, 24, v16
	v_mov_b32_e32 v15, 0x3b800000
	v_lshlrev_b32_e32 v10, 20, v10
	v_and_b32_e32 v14, 0x80000000, v14
	v_lshl_add_u32 v11, v11, 23, v15
	v_or3_b32 v10, v14, v11, v10
.LBB46_324:
	s_or_b64 exec, exec, s[6:7]
	s_movk_i32 s4, 0x7f
	v_cmp_gt_i16_sdwa s[6:7], v12, s4 src0_sel:BYTE_0 src1_sel:DWORD
	s_mov_b64 s[4:5], 0
                                        ; implicit-def: $sgpr10
	s_and_saveexec_b64 s[8:9], s[6:7]
	s_xor_b64 s[6:7], exec, s[8:9]
	s_cbranch_execnz .LBB46_2373
; %bb.325:
	s_or_saveexec_b64 s[6:7], s[6:7]
	v_mov_b32_e32 v11, s10
	s_xor_b64 exec, exec, s[6:7]
	s_cbranch_execnz .LBB46_2376
.LBB46_326:
	s_or_b64 exec, exec, s[6:7]
	s_and_saveexec_b64 s[6:7], s[4:5]
	s_cbranch_execz .LBB46_328
.LBB46_327:
	v_and_b32_e32 v11, 7, v12
	v_ffbh_u32_e32 v15, v11
	v_min_u32_e32 v15, 32, v15
	v_lshrrev_b16_e32 v14, 3, v12
	v_subrev_u32_e32 v20, 28, v15
	v_and_b32_e32 v14, 15, v14
	v_lshlrev_b32_e32 v20, v20, v12
	v_sub_u32_e32 v15, 29, v15
	v_and_b32_e32 v20, 7, v20
	v_cmp_eq_u16_e32 vcc, 0, v14
	v_cndmask_b32_e32 v11, v11, v20, vcc
	v_cndmask_b32_e32 v14, v14, v15, vcc
	v_lshlrev_b32_e32 v15, 24, v12
	v_mov_b32_e32 v20, 0x3b800000
	v_lshlrev_b32_e32 v11, 20, v11
	v_and_b32_e32 v15, 0x80000000, v15
	v_lshl_add_u32 v14, v14, 23, v20
	v_or3_b32 v11, v15, v14, v11
.LBB46_328:
	s_or_b64 exec, exec, s[6:7]
	s_nop 0
	v_mfma_f32_16x16x4f32 a[0:3], v10, v11, a[0:3]
	v_lshrrev_b32_e32 v11, 8, v16
	s_movk_i32 s4, 0x7f
	v_cmp_gt_i16_sdwa s[6:7], v11, s4 src0_sel:BYTE_0 src1_sel:DWORD
	s_mov_b64 s[4:5], 0
                                        ; implicit-def: $sgpr10
	s_and_saveexec_b64 s[8:9], s[6:7]
	s_xor_b64 s[6:7], exec, s[8:9]
	s_cbranch_execnz .LBB46_2377
; %bb.329:
	s_or_saveexec_b64 s[6:7], s[6:7]
	v_mov_b32_e32 v10, s10
	s_xor_b64 exec, exec, s[6:7]
	s_cbranch_execnz .LBB46_2380
.LBB46_330:
	s_or_b64 exec, exec, s[6:7]
	s_and_saveexec_b64 s[6:7], s[4:5]
	s_cbranch_execz .LBB46_332
.LBB46_331:
	v_bfe_u32 v10, v16, 8, 3
	v_ffbh_u32_e32 v15, v10
	v_min_u32_e32 v15, 32, v15
	v_lshrrev_b16_e32 v14, 3, v11
	v_subrev_u32_e32 v20, 28, v15
	v_and_b32_e32 v14, 15, v14
	v_lshlrev_b32_e32 v11, v20, v11
	v_sub_u32_e32 v15, 29, v15
	v_and_b32_e32 v11, 7, v11
	v_cmp_eq_u16_e32 vcc, 0, v14
	v_cndmask_b32_e32 v10, v10, v11, vcc
	v_cndmask_b32_e32 v11, v14, v15, vcc
	v_lshlrev_b32_e32 v14, 16, v16
	v_mov_b32_e32 v15, 0x3b800000
	v_lshlrev_b32_e32 v10, 20, v10
	v_and_b32_e32 v14, 0x80000000, v14
	v_lshl_add_u32 v11, v11, 23, v15
	v_or3_b32 v10, v14, v11, v10
.LBB46_332:
	s_or_b64 exec, exec, s[6:7]
	v_lshrrev_b32_e32 v11, 8, v12
	s_movk_i32 s4, 0x7f
	v_cmp_gt_i16_sdwa s[6:7], v11, s4 src0_sel:BYTE_0 src1_sel:DWORD
	s_mov_b64 s[4:5], 0
                                        ; implicit-def: $sgpr10
	s_and_saveexec_b64 s[8:9], s[6:7]
	s_xor_b64 s[6:7], exec, s[8:9]
	s_cbranch_execnz .LBB46_2381
; %bb.333:
	s_or_saveexec_b64 s[6:7], s[6:7]
	v_mov_b32_e32 v14, s10
	s_xor_b64 exec, exec, s[6:7]
	s_cbranch_execnz .LBB46_2384
.LBB46_334:
	s_or_b64 exec, exec, s[6:7]
	s_and_saveexec_b64 s[6:7], s[4:5]
	s_cbranch_execz .LBB46_336
.LBB46_335:
	v_bfe_u32 v14, v12, 8, 3
	v_ffbh_u32_e32 v20, v14
	v_min_u32_e32 v20, 32, v20
	v_lshrrev_b16_e32 v15, 3, v11
	v_subrev_u32_e32 v21, 28, v20
	v_and_b32_e32 v15, 15, v15
	v_lshlrev_b32_e32 v11, v21, v11
	v_sub_u32_e32 v20, 29, v20
	v_and_b32_e32 v11, 7, v11
	v_cmp_eq_u16_e32 vcc, 0, v15
	v_cndmask_b32_e32 v11, v14, v11, vcc
	v_cndmask_b32_e32 v14, v15, v20, vcc
	v_lshlrev_b32_e32 v15, 16, v12
	v_mov_b32_e32 v20, 0x3b800000
	v_lshlrev_b32_e32 v11, 20, v11
	v_and_b32_e32 v15, 0x80000000, v15
	v_lshl_add_u32 v14, v14, 23, v20
	v_or3_b32 v14, v15, v14, v11
.LBB46_336:
	s_or_b64 exec, exec, s[6:7]
	s_nop 0
	v_mfma_f32_16x16x4f32 a[0:3], v10, v14, a[0:3]
	s_movk_i32 s4, 0xff
	v_and_b32_sdwa v11, v16, s4 dst_sel:DWORD dst_unused:UNUSED_PAD src0_sel:WORD_1 src1_sel:DWORD
	s_movk_i32 s4, 0x7f
	v_cmp_lt_i16_e32 vcc, s4, v11
	s_mov_b64 s[4:5], 0
                                        ; implicit-def: $sgpr10
	s_and_saveexec_b64 s[6:7], vcc
	s_xor_b64 s[6:7], exec, s[6:7]
	s_cbranch_execnz .LBB46_2385
; %bb.337:
	s_or_saveexec_b64 s[6:7], s[6:7]
	v_mov_b32_e32 v10, s10
	s_xor_b64 exec, exec, s[6:7]
	s_cbranch_execnz .LBB46_2388
.LBB46_338:
	s_or_b64 exec, exec, s[6:7]
	s_and_saveexec_b64 s[6:7], s[4:5]
	s_cbranch_execz .LBB46_340
.LBB46_339:
	v_bfe_u32 v10, v16, 16, 3
	v_ffbh_u32_e32 v15, v10
	v_min_u32_e32 v15, 32, v15
	v_lshrrev_b32_e32 v11, 19, v16
	v_subrev_u32_e32 v20, 28, v15
	v_and_b32_e32 v11, 15, v11
	v_lshlrev_b32_sdwa v20, v20, v16 dst_sel:DWORD dst_unused:UNUSED_PAD src0_sel:DWORD src1_sel:WORD_1
	v_bfe_u32 v14, v16, 19, 4
	v_sub_u32_e32 v15, 29, v15
	v_and_b32_e32 v20, 7, v20
	v_cmp_eq_u16_e32 vcc, 0, v11
	v_cndmask_b32_e32 v10, v10, v20, vcc
	v_cndmask_b32_e32 v11, v14, v15, vcc
	v_lshlrev_b32_e32 v14, 8, v16
	v_mov_b32_e32 v15, 0x3b800000
	v_lshlrev_b32_e32 v10, 20, v10
	v_and_b32_e32 v14, 0x80000000, v14
	v_lshl_add_u32 v11, v11, 23, v15
	v_or3_b32 v10, v14, v11, v10
.LBB46_340:
	s_or_b64 exec, exec, s[6:7]
	s_movk_i32 s4, 0xff
	v_and_b32_sdwa v11, v12, s4 dst_sel:DWORD dst_unused:UNUSED_PAD src0_sel:WORD_1 src1_sel:DWORD
	s_movk_i32 s4, 0x7f
	v_cmp_lt_i16_e32 vcc, s4, v11
	s_mov_b64 s[4:5], 0
                                        ; implicit-def: $sgpr10
	s_and_saveexec_b64 s[6:7], vcc
	s_xor_b64 s[6:7], exec, s[6:7]
	s_cbranch_execnz .LBB46_2389
; %bb.341:
	s_or_saveexec_b64 s[6:7], s[6:7]
	v_mov_b32_e32 v14, s10
	s_xor_b64 exec, exec, s[6:7]
	s_cbranch_execnz .LBB46_2392
.LBB46_342:
	s_or_b64 exec, exec, s[6:7]
	s_and_saveexec_b64 s[6:7], s[4:5]
	s_cbranch_execz .LBB46_344
.LBB46_343:
	v_bfe_u32 v11, v12, 16, 3
	v_ffbh_u32_e32 v20, v11
	v_min_u32_e32 v20, 32, v20
	v_lshrrev_b32_e32 v14, 19, v12
	v_subrev_u32_e32 v21, 28, v20
	v_and_b32_e32 v14, 15, v14
	v_lshlrev_b32_sdwa v21, v21, v12 dst_sel:DWORD dst_unused:UNUSED_PAD src0_sel:DWORD src1_sel:WORD_1
	v_bfe_u32 v15, v12, 19, 4
	v_sub_u32_e32 v20, 29, v20
	v_and_b32_e32 v21, 7, v21
	v_cmp_eq_u16_e32 vcc, 0, v14
	v_cndmask_b32_e32 v11, v11, v21, vcc
	v_cndmask_b32_e32 v14, v15, v20, vcc
	v_lshlrev_b32_e32 v15, 8, v12
	v_mov_b32_e32 v20, 0x3b800000
	v_lshlrev_b32_e32 v11, 20, v11
	v_and_b32_e32 v15, 0x80000000, v15
	v_lshl_add_u32 v14, v14, 23, v20
	v_or3_b32 v14, v15, v14, v11
.LBB46_344:
	s_or_b64 exec, exec, s[6:7]
	s_nop 0
	v_mfma_f32_16x16x4f32 a[0:3], v10, v14, a[0:3]
	s_movk_i32 s4, 0x7f
	v_cmp_gt_i16_sdwa s[6:7], v16, s4 src0_sel:BYTE_3 src1_sel:DWORD
	s_mov_b64 s[4:5], 0
                                        ; implicit-def: $sgpr10
	s_and_saveexec_b64 s[8:9], s[6:7]
	s_xor_b64 s[6:7], exec, s[8:9]
	s_cbranch_execnz .LBB46_2393
; %bb.345:
	s_or_saveexec_b64 s[6:7], s[6:7]
	v_mov_b32_e32 v10, s10
	s_xor_b64 exec, exec, s[6:7]
	s_cbranch_execnz .LBB46_2396
.LBB46_346:
	s_or_b64 exec, exec, s[6:7]
	s_and_saveexec_b64 s[6:7], s[4:5]
	s_cbranch_execz .LBB46_348
.LBB46_347:
	v_bfe_u32 v10, v16, 24, 3
	v_ffbh_u32_e32 v20, v10
	v_min_u32_e32 v20, 32, v20
	v_lshrrev_b32_e32 v14, 27, v16
	v_subrev_u32_e32 v21, 28, v20
	v_and_b32_e32 v11, 0x80000000, v16
	v_and_b32_e32 v14, 15, v14
	v_bfe_u32 v15, v16, 27, 4
	v_lshlrev_b32_sdwa v16, v21, v16 dst_sel:DWORD dst_unused:UNUSED_PAD src0_sel:DWORD src1_sel:BYTE_3
	v_sub_u32_e32 v20, 29, v20
	v_and_b32_e32 v16, 7, v16
	v_cmp_eq_u16_e32 vcc, 0, v14
	v_cndmask_b32_e32 v10, v10, v16, vcc
	v_cndmask_b32_e32 v14, v15, v20, vcc
	v_mov_b32_e32 v15, 0x3b800000
	v_lshlrev_b32_e32 v10, 20, v10
	v_lshl_add_u32 v14, v14, 23, v15
	v_or3_b32 v10, v11, v14, v10
.LBB46_348:
	s_or_b64 exec, exec, s[6:7]
	s_movk_i32 s4, 0x7f
	v_cmp_gt_i16_sdwa s[6:7], v12, s4 src0_sel:BYTE_3 src1_sel:DWORD
	s_mov_b64 s[4:5], 0
                                        ; implicit-def: $sgpr10
	s_and_saveexec_b64 s[8:9], s[6:7]
	s_xor_b64 s[6:7], exec, s[8:9]
	s_cbranch_execnz .LBB46_2397
; %bb.349:
	s_or_saveexec_b64 s[6:7], s[6:7]
	v_mov_b32_e32 v11, s10
	s_xor_b64 exec, exec, s[6:7]
	s_cbranch_execnz .LBB46_2400
.LBB46_350:
	s_or_b64 exec, exec, s[6:7]
	s_and_saveexec_b64 s[6:7], s[4:5]
	s_cbranch_execz .LBB46_352
.LBB46_351:
	v_bfe_u32 v11, v12, 24, 3
	v_ffbh_u32_e32 v20, v11
	v_min_u32_e32 v20, 32, v20
	v_lshrrev_b32_e32 v15, 27, v12
	v_subrev_u32_e32 v21, 28, v20
	v_and_b32_e32 v14, 0x80000000, v12
	v_and_b32_e32 v15, 15, v15
	v_bfe_u32 v16, v12, 27, 4
	v_lshlrev_b32_sdwa v12, v21, v12 dst_sel:DWORD dst_unused:UNUSED_PAD src0_sel:DWORD src1_sel:BYTE_3
	v_sub_u32_e32 v20, 29, v20
	v_and_b32_e32 v12, 7, v12
	v_cmp_eq_u16_e32 vcc, 0, v15
	v_cndmask_b32_e32 v11, v11, v12, vcc
	v_cndmask_b32_e32 v12, v16, v20, vcc
	v_mov_b32_e32 v15, 0x3b800000
	v_lshlrev_b32_e32 v11, 20, v11
	v_lshl_add_u32 v12, v12, 23, v15
	v_or3_b32 v11, v14, v12, v11
.LBB46_352:
	s_or_b64 exec, exec, s[6:7]
	s_nop 0
	v_mfma_f32_16x16x4f32 a[0:3], v10, v11, a[0:3]
	s_movk_i32 s4, 0x7f
	v_cmp_gt_i16_sdwa s[6:7], v17, s4 src0_sel:BYTE_0 src1_sel:DWORD
	s_mov_b64 s[4:5], 0
                                        ; implicit-def: $sgpr10
	s_and_saveexec_b64 s[8:9], s[6:7]
	s_xor_b64 s[6:7], exec, s[8:9]
	s_cbranch_execnz .LBB46_2401
; %bb.353:
	s_or_saveexec_b64 s[6:7], s[6:7]
	v_mov_b32_e32 v10, s10
	s_xor_b64 exec, exec, s[6:7]
	s_cbranch_execnz .LBB46_2404
.LBB46_354:
	s_or_b64 exec, exec, s[6:7]
	s_and_saveexec_b64 s[6:7], s[4:5]
	s_cbranch_execz .LBB46_356
.LBB46_355:
	v_and_b32_e32 v10, 7, v17
	v_ffbh_u32_e32 v12, v10
	v_min_u32_e32 v12, 32, v12
	v_lshrrev_b16_e32 v11, 3, v17
	v_subrev_u32_e32 v14, 28, v12
	v_and_b32_e32 v11, 15, v11
	v_lshlrev_b32_e32 v14, v14, v17
	v_sub_u32_e32 v12, 29, v12
	v_and_b32_e32 v14, 7, v14
	v_cmp_eq_u16_e32 vcc, 0, v11
	v_cndmask_b32_e32 v10, v10, v14, vcc
	v_cndmask_b32_e32 v11, v11, v12, vcc
	v_lshlrev_b32_e32 v12, 24, v17
	v_mov_b32_e32 v14, 0x3b800000
	v_lshlrev_b32_e32 v10, 20, v10
	v_and_b32_e32 v12, 0x80000000, v12
	v_lshl_add_u32 v11, v11, 23, v14
	v_or3_b32 v10, v12, v11, v10
.LBB46_356:
	s_or_b64 exec, exec, s[6:7]
	s_movk_i32 s4, 0x7f
	v_cmp_gt_i16_sdwa s[6:7], v13, s4 src0_sel:BYTE_0 src1_sel:DWORD
	s_mov_b64 s[4:5], 0
                                        ; implicit-def: $sgpr10
	s_and_saveexec_b64 s[8:9], s[6:7]
	s_xor_b64 s[6:7], exec, s[8:9]
	s_cbranch_execnz .LBB46_2405
; %bb.357:
	s_or_saveexec_b64 s[6:7], s[6:7]
	v_mov_b32_e32 v11, s10
	s_xor_b64 exec, exec, s[6:7]
	s_cbranch_execnz .LBB46_2408
.LBB46_358:
	s_or_b64 exec, exec, s[6:7]
	s_and_saveexec_b64 s[6:7], s[4:5]
	s_cbranch_execz .LBB46_360
.LBB46_359:
	v_and_b32_e32 v11, 7, v13
	v_ffbh_u32_e32 v14, v11
	v_min_u32_e32 v14, 32, v14
	v_lshrrev_b16_e32 v12, 3, v13
	v_subrev_u32_e32 v15, 28, v14
	v_and_b32_e32 v12, 15, v12
	v_lshlrev_b32_e32 v15, v15, v13
	v_sub_u32_e32 v14, 29, v14
	v_and_b32_e32 v15, 7, v15
	v_cmp_eq_u16_e32 vcc, 0, v12
	v_cndmask_b32_e32 v11, v11, v15, vcc
	v_cndmask_b32_e32 v12, v12, v14, vcc
	v_lshlrev_b32_e32 v14, 24, v13
	v_mov_b32_e32 v15, 0x3b800000
	v_lshlrev_b32_e32 v11, 20, v11
	v_and_b32_e32 v14, 0x80000000, v14
	v_lshl_add_u32 v12, v12, 23, v15
	v_or3_b32 v11, v14, v12, v11
.LBB46_360:
	s_or_b64 exec, exec, s[6:7]
	s_nop 0
	v_mfma_f32_16x16x4f32 a[0:3], v10, v11, a[0:3]
	v_lshrrev_b32_e32 v11, 8, v17
	s_movk_i32 s4, 0x7f
	v_cmp_gt_i16_sdwa s[6:7], v11, s4 src0_sel:BYTE_0 src1_sel:DWORD
	s_mov_b64 s[4:5], 0
                                        ; implicit-def: $sgpr10
	s_and_saveexec_b64 s[8:9], s[6:7]
	s_xor_b64 s[6:7], exec, s[8:9]
	s_cbranch_execnz .LBB46_2409
; %bb.361:
	s_or_saveexec_b64 s[6:7], s[6:7]
	v_mov_b32_e32 v10, s10
	s_xor_b64 exec, exec, s[6:7]
	s_cbranch_execnz .LBB46_2412
.LBB46_362:
	s_or_b64 exec, exec, s[6:7]
	s_and_saveexec_b64 s[6:7], s[4:5]
	s_cbranch_execz .LBB46_364
.LBB46_363:
	v_bfe_u32 v10, v17, 8, 3
	v_ffbh_u32_e32 v14, v10
	v_min_u32_e32 v14, 32, v14
	v_lshrrev_b16_e32 v12, 3, v11
	v_subrev_u32_e32 v15, 28, v14
	v_and_b32_e32 v12, 15, v12
	v_lshlrev_b32_e32 v11, v15, v11
	v_sub_u32_e32 v14, 29, v14
	v_and_b32_e32 v11, 7, v11
	v_cmp_eq_u16_e32 vcc, 0, v12
	v_cndmask_b32_e32 v10, v10, v11, vcc
	v_cndmask_b32_e32 v11, v12, v14, vcc
	v_lshlrev_b32_e32 v12, 16, v17
	v_mov_b32_e32 v14, 0x3b800000
	v_lshlrev_b32_e32 v10, 20, v10
	v_and_b32_e32 v12, 0x80000000, v12
	v_lshl_add_u32 v11, v11, 23, v14
	v_or3_b32 v10, v12, v11, v10
.LBB46_364:
	s_or_b64 exec, exec, s[6:7]
	v_lshrrev_b32_e32 v11, 8, v13
	s_movk_i32 s4, 0x7f
	v_cmp_gt_i16_sdwa s[6:7], v11, s4 src0_sel:BYTE_0 src1_sel:DWORD
	s_mov_b64 s[4:5], 0
                                        ; implicit-def: $sgpr10
	s_and_saveexec_b64 s[8:9], s[6:7]
	s_xor_b64 s[6:7], exec, s[8:9]
	s_cbranch_execnz .LBB46_2413
; %bb.365:
	s_or_saveexec_b64 s[6:7], s[6:7]
	v_mov_b32_e32 v12, s10
	s_xor_b64 exec, exec, s[6:7]
	s_cbranch_execnz .LBB46_2416
.LBB46_366:
	s_or_b64 exec, exec, s[6:7]
	s_and_saveexec_b64 s[6:7], s[4:5]
	s_cbranch_execz .LBB46_368
.LBB46_367:
	v_bfe_u32 v12, v13, 8, 3
	v_ffbh_u32_e32 v15, v12
	v_min_u32_e32 v15, 32, v15
	v_lshrrev_b16_e32 v14, 3, v11
	v_subrev_u32_e32 v16, 28, v15
	v_and_b32_e32 v14, 15, v14
	v_lshlrev_b32_e32 v11, v16, v11
	v_sub_u32_e32 v15, 29, v15
	v_and_b32_e32 v11, 7, v11
	v_cmp_eq_u16_e32 vcc, 0, v14
	v_cndmask_b32_e32 v11, v12, v11, vcc
	v_cndmask_b32_e32 v12, v14, v15, vcc
	v_lshlrev_b32_e32 v14, 16, v13
	v_mov_b32_e32 v15, 0x3b800000
	v_lshlrev_b32_e32 v11, 20, v11
	v_and_b32_e32 v14, 0x80000000, v14
	v_lshl_add_u32 v12, v12, 23, v15
	v_or3_b32 v12, v14, v12, v11
.LBB46_368:
	s_or_b64 exec, exec, s[6:7]
	s_nop 0
	v_mfma_f32_16x16x4f32 a[0:3], v10, v12, a[0:3]
	s_movk_i32 s4, 0xff
	v_and_b32_sdwa v11, v17, s4 dst_sel:DWORD dst_unused:UNUSED_PAD src0_sel:WORD_1 src1_sel:DWORD
	s_movk_i32 s4, 0x7f
	v_cmp_lt_i16_e32 vcc, s4, v11
	s_mov_b64 s[4:5], 0
                                        ; implicit-def: $sgpr10
	s_and_saveexec_b64 s[6:7], vcc
	s_xor_b64 s[6:7], exec, s[6:7]
	s_cbranch_execnz .LBB46_2417
; %bb.369:
	s_or_saveexec_b64 s[6:7], s[6:7]
	v_mov_b32_e32 v10, s10
	s_xor_b64 exec, exec, s[6:7]
	s_cbranch_execnz .LBB46_2420
.LBB46_370:
	s_or_b64 exec, exec, s[6:7]
	s_and_saveexec_b64 s[6:7], s[4:5]
	s_cbranch_execz .LBB46_372
.LBB46_371:
	v_bfe_u32 v10, v17, 16, 3
	v_ffbh_u32_e32 v14, v10
	v_min_u32_e32 v14, 32, v14
	v_lshrrev_b32_e32 v11, 19, v17
	v_subrev_u32_e32 v15, 28, v14
	v_and_b32_e32 v11, 15, v11
	v_lshlrev_b32_sdwa v15, v15, v17 dst_sel:DWORD dst_unused:UNUSED_PAD src0_sel:DWORD src1_sel:WORD_1
	v_bfe_u32 v12, v17, 19, 4
	v_sub_u32_e32 v14, 29, v14
	v_and_b32_e32 v15, 7, v15
	v_cmp_eq_u16_e32 vcc, 0, v11
	v_cndmask_b32_e32 v10, v10, v15, vcc
	v_cndmask_b32_e32 v11, v12, v14, vcc
	v_lshlrev_b32_e32 v12, 8, v17
	v_mov_b32_e32 v14, 0x3b800000
	v_lshlrev_b32_e32 v10, 20, v10
	v_and_b32_e32 v12, 0x80000000, v12
	v_lshl_add_u32 v11, v11, 23, v14
	v_or3_b32 v10, v12, v11, v10
.LBB46_372:
	s_or_b64 exec, exec, s[6:7]
	s_movk_i32 s4, 0xff
	v_and_b32_sdwa v11, v13, s4 dst_sel:DWORD dst_unused:UNUSED_PAD src0_sel:WORD_1 src1_sel:DWORD
	s_movk_i32 s4, 0x7f
	v_cmp_lt_i16_e32 vcc, s4, v11
	s_mov_b64 s[4:5], 0
                                        ; implicit-def: $sgpr10
	s_and_saveexec_b64 s[6:7], vcc
	s_xor_b64 s[6:7], exec, s[6:7]
	s_cbranch_execnz .LBB46_2421
; %bb.373:
	s_or_saveexec_b64 s[6:7], s[6:7]
	v_mov_b32_e32 v12, s10
	s_xor_b64 exec, exec, s[6:7]
	s_cbranch_execnz .LBB46_2424
.LBB46_374:
	s_or_b64 exec, exec, s[6:7]
	s_and_saveexec_b64 s[6:7], s[4:5]
	s_cbranch_execz .LBB46_376
.LBB46_375:
	v_bfe_u32 v11, v13, 16, 3
	v_ffbh_u32_e32 v15, v11
	v_min_u32_e32 v15, 32, v15
	v_lshrrev_b32_e32 v12, 19, v13
	v_subrev_u32_e32 v16, 28, v15
	v_and_b32_e32 v12, 15, v12
	v_lshlrev_b32_sdwa v16, v16, v13 dst_sel:DWORD dst_unused:UNUSED_PAD src0_sel:DWORD src1_sel:WORD_1
	v_bfe_u32 v14, v13, 19, 4
	v_sub_u32_e32 v15, 29, v15
	v_and_b32_e32 v16, 7, v16
	v_cmp_eq_u16_e32 vcc, 0, v12
	v_cndmask_b32_e32 v11, v11, v16, vcc
	v_cndmask_b32_e32 v12, v14, v15, vcc
	v_lshlrev_b32_e32 v14, 8, v13
	v_mov_b32_e32 v15, 0x3b800000
	v_lshlrev_b32_e32 v11, 20, v11
	v_and_b32_e32 v14, 0x80000000, v14
	v_lshl_add_u32 v12, v12, 23, v15
	v_or3_b32 v12, v14, v12, v11
.LBB46_376:
	s_or_b64 exec, exec, s[6:7]
	s_nop 0
	v_mfma_f32_16x16x4f32 a[0:3], v10, v12, a[0:3]
	s_movk_i32 s4, 0x7f
	v_cmp_gt_i16_sdwa s[6:7], v17, s4 src0_sel:BYTE_3 src1_sel:DWORD
	s_mov_b64 s[4:5], 0
                                        ; implicit-def: $sgpr10
	s_and_saveexec_b64 s[8:9], s[6:7]
	s_xor_b64 s[6:7], exec, s[8:9]
	s_cbranch_execnz .LBB46_2425
; %bb.377:
	s_or_saveexec_b64 s[6:7], s[6:7]
	v_mov_b32_e32 v10, s10
	s_xor_b64 exec, exec, s[6:7]
	s_cbranch_execnz .LBB46_2428
.LBB46_378:
	s_or_b64 exec, exec, s[6:7]
	s_and_saveexec_b64 s[6:7], s[4:5]
	s_cbranch_execz .LBB46_380
.LBB46_379:
	v_bfe_u32 v10, v17, 24, 3
	v_ffbh_u32_e32 v15, v10
	v_min_u32_e32 v15, 32, v15
	v_lshrrev_b32_e32 v12, 27, v17
	v_subrev_u32_e32 v16, 28, v15
	v_and_b32_e32 v12, 15, v12
	v_lshlrev_b32_sdwa v16, v16, v17 dst_sel:DWORD dst_unused:UNUSED_PAD src0_sel:DWORD src1_sel:BYTE_3
	v_bfe_u32 v14, v17, 27, 4
	v_sub_u32_e32 v15, 29, v15
	v_and_b32_e32 v16, 7, v16
	v_cmp_eq_u16_e32 vcc, 0, v12
	v_cndmask_b32_e32 v10, v10, v16, vcc
	v_cndmask_b32_e32 v12, v14, v15, vcc
	v_mov_b32_e32 v14, 0x3b800000
	v_and_b32_e32 v11, 0x80000000, v17
	v_lshlrev_b32_e32 v10, 20, v10
	v_lshl_add_u32 v12, v12, 23, v14
	v_or3_b32 v10, v11, v12, v10
.LBB46_380:
	s_or_b64 exec, exec, s[6:7]
	s_movk_i32 s4, 0x7f
	v_cmp_gt_i16_sdwa s[6:7], v13, s4 src0_sel:BYTE_3 src1_sel:DWORD
	s_mov_b64 s[4:5], 0
                                        ; implicit-def: $sgpr10
	s_and_saveexec_b64 s[8:9], s[6:7]
	s_xor_b64 s[6:7], exec, s[8:9]
	s_cbranch_execnz .LBB46_2429
; %bb.381:
	s_or_saveexec_b64 s[6:7], s[6:7]
	v_mov_b32_e32 v11, s10
	s_xor_b64 exec, exec, s[6:7]
	s_cbranch_execnz .LBB46_2432
.LBB46_382:
	s_or_b64 exec, exec, s[6:7]
	s_and_saveexec_b64 s[6:7], s[4:5]
	s_cbranch_execz .LBB46_384
.LBB46_383:
	v_bfe_u32 v11, v13, 24, 3
	v_ffbh_u32_e32 v16, v11
	v_min_u32_e32 v16, 32, v16
	v_lshrrev_b32_e32 v14, 27, v13
	v_subrev_u32_e32 v17, 28, v16
	v_and_b32_e32 v12, 0x80000000, v13
	v_and_b32_e32 v14, 15, v14
	v_bfe_u32 v15, v13, 27, 4
	v_lshlrev_b32_sdwa v13, v17, v13 dst_sel:DWORD dst_unused:UNUSED_PAD src0_sel:DWORD src1_sel:BYTE_3
	v_sub_u32_e32 v16, 29, v16
	v_and_b32_e32 v13, 7, v13
	v_cmp_eq_u16_e32 vcc, 0, v14
	v_cndmask_b32_e32 v11, v11, v13, vcc
	v_cndmask_b32_e32 v13, v15, v16, vcc
	v_mov_b32_e32 v14, 0x3b800000
	v_lshlrev_b32_e32 v11, 20, v11
	v_lshl_add_u32 v13, v13, 23, v14
	v_or3_b32 v11, v12, v13, v11
.LBB46_384:
	s_or_b64 exec, exec, s[6:7]
	s_nop 0
	v_mfma_f32_16x16x4f32 a[0:3], v10, v11, a[0:3]
	s_movk_i32 s4, 0x7f
	v_cmp_gt_i16_sdwa s[6:7], v6, s4 src0_sel:BYTE_0 src1_sel:DWORD
	s_mov_b64 s[4:5], 0
                                        ; implicit-def: $sgpr10
	s_and_saveexec_b64 s[8:9], s[6:7]
	s_xor_b64 s[6:7], exec, s[8:9]
	s_cbranch_execnz .LBB46_2433
; %bb.385:
	s_or_saveexec_b64 s[6:7], s[6:7]
	v_mov_b32_e32 v10, s10
	s_xor_b64 exec, exec, s[6:7]
	s_cbranch_execnz .LBB46_2436
.LBB46_386:
	s_or_b64 exec, exec, s[6:7]
	s_and_saveexec_b64 s[6:7], s[4:5]
	s_cbranch_execz .LBB46_388
.LBB46_387:
	v_and_b32_e32 v10, 7, v6
	v_ffbh_u32_e32 v12, v10
	v_min_u32_e32 v12, 32, v12
	v_lshrrev_b16_e32 v11, 3, v6
	v_subrev_u32_e32 v13, 28, v12
	v_and_b32_e32 v11, 15, v11
	v_lshlrev_b32_e32 v13, v13, v6
	v_sub_u32_e32 v12, 29, v12
	v_and_b32_e32 v13, 7, v13
	v_cmp_eq_u16_e32 vcc, 0, v11
	v_cndmask_b32_e32 v10, v10, v13, vcc
	v_cndmask_b32_e32 v11, v11, v12, vcc
	v_lshlrev_b32_e32 v12, 24, v6
	v_mov_b32_e32 v13, 0x3b800000
	v_lshlrev_b32_e32 v10, 20, v10
	v_and_b32_e32 v12, 0x80000000, v12
	v_lshl_add_u32 v11, v11, 23, v13
	v_or3_b32 v10, v12, v11, v10
.LBB46_388:
	s_or_b64 exec, exec, s[6:7]
	s_movk_i32 s4, 0x7f
	v_cmp_gt_i16_sdwa s[6:7], v2, s4 src0_sel:BYTE_0 src1_sel:DWORD
	s_mov_b64 s[4:5], 0
                                        ; implicit-def: $sgpr10
	s_and_saveexec_b64 s[8:9], s[6:7]
	s_xor_b64 s[6:7], exec, s[8:9]
	s_cbranch_execnz .LBB46_2437
; %bb.389:
	s_or_saveexec_b64 s[6:7], s[6:7]
	v_mov_b32_e32 v11, s10
	s_xor_b64 exec, exec, s[6:7]
	s_cbranch_execnz .LBB46_2440
.LBB46_390:
	s_or_b64 exec, exec, s[6:7]
	s_and_saveexec_b64 s[6:7], s[4:5]
	s_cbranch_execz .LBB46_392
.LBB46_391:
	v_and_b32_e32 v11, 7, v2
	v_ffbh_u32_e32 v13, v11
	v_min_u32_e32 v13, 32, v13
	v_lshrrev_b16_e32 v12, 3, v2
	v_subrev_u32_e32 v14, 28, v13
	v_and_b32_e32 v12, 15, v12
	v_lshlrev_b32_e32 v14, v14, v2
	v_sub_u32_e32 v13, 29, v13
	v_and_b32_e32 v14, 7, v14
	v_cmp_eq_u16_e32 vcc, 0, v12
	v_cndmask_b32_e32 v11, v11, v14, vcc
	v_cndmask_b32_e32 v12, v12, v13, vcc
	v_lshlrev_b32_e32 v13, 24, v2
	v_mov_b32_e32 v14, 0x3b800000
	v_lshlrev_b32_e32 v11, 20, v11
	v_and_b32_e32 v13, 0x80000000, v13
	v_lshl_add_u32 v12, v12, 23, v14
	v_or3_b32 v11, v13, v12, v11
.LBB46_392:
	s_or_b64 exec, exec, s[6:7]
	s_nop 0
	v_mfma_f32_16x16x4f32 a[0:3], v10, v11, a[0:3]
	v_lshrrev_b32_e32 v11, 8, v6
	s_movk_i32 s4, 0x7f
	v_cmp_gt_i16_sdwa s[6:7], v11, s4 src0_sel:BYTE_0 src1_sel:DWORD
	s_mov_b64 s[4:5], 0
                                        ; implicit-def: $sgpr10
	s_and_saveexec_b64 s[8:9], s[6:7]
	s_xor_b64 s[6:7], exec, s[8:9]
	s_cbranch_execnz .LBB46_2441
; %bb.393:
	s_or_saveexec_b64 s[6:7], s[6:7]
	v_mov_b32_e32 v10, s10
	s_xor_b64 exec, exec, s[6:7]
	s_cbranch_execnz .LBB46_2444
.LBB46_394:
	s_or_b64 exec, exec, s[6:7]
	s_and_saveexec_b64 s[6:7], s[4:5]
	s_cbranch_execz .LBB46_396
.LBB46_395:
	v_bfe_u32 v10, v6, 8, 3
	v_ffbh_u32_e32 v13, v10
	v_min_u32_e32 v13, 32, v13
	v_lshrrev_b16_e32 v12, 3, v11
	v_subrev_u32_e32 v14, 28, v13
	v_and_b32_e32 v12, 15, v12
	v_lshlrev_b32_e32 v11, v14, v11
	v_sub_u32_e32 v13, 29, v13
	v_and_b32_e32 v11, 7, v11
	v_cmp_eq_u16_e32 vcc, 0, v12
	v_cndmask_b32_e32 v10, v10, v11, vcc
	v_cndmask_b32_e32 v11, v12, v13, vcc
	v_lshlrev_b32_e32 v12, 16, v6
	v_mov_b32_e32 v13, 0x3b800000
	v_lshlrev_b32_e32 v10, 20, v10
	v_and_b32_e32 v12, 0x80000000, v12
	v_lshl_add_u32 v11, v11, 23, v13
	v_or3_b32 v10, v12, v11, v10
.LBB46_396:
	s_or_b64 exec, exec, s[6:7]
	v_lshrrev_b32_e32 v11, 8, v2
	s_movk_i32 s4, 0x7f
	v_cmp_gt_i16_sdwa s[6:7], v11, s4 src0_sel:BYTE_0 src1_sel:DWORD
	s_mov_b64 s[4:5], 0
                                        ; implicit-def: $sgpr10
	s_and_saveexec_b64 s[8:9], s[6:7]
	s_xor_b64 s[6:7], exec, s[8:9]
	s_cbranch_execnz .LBB46_2445
; %bb.397:
	s_or_saveexec_b64 s[6:7], s[6:7]
	v_mov_b32_e32 v12, s10
	s_xor_b64 exec, exec, s[6:7]
	s_cbranch_execnz .LBB46_2448
.LBB46_398:
	s_or_b64 exec, exec, s[6:7]
	s_and_saveexec_b64 s[6:7], s[4:5]
	s_cbranch_execz .LBB46_400
.LBB46_399:
	v_bfe_u32 v12, v2, 8, 3
	v_ffbh_u32_e32 v14, v12
	v_min_u32_e32 v14, 32, v14
	v_lshrrev_b16_e32 v13, 3, v11
	v_subrev_u32_e32 v15, 28, v14
	v_and_b32_e32 v13, 15, v13
	v_lshlrev_b32_e32 v11, v15, v11
	v_sub_u32_e32 v14, 29, v14
	v_and_b32_e32 v11, 7, v11
	v_cmp_eq_u16_e32 vcc, 0, v13
	v_cndmask_b32_e32 v11, v12, v11, vcc
	v_cndmask_b32_e32 v12, v13, v14, vcc
	v_lshlrev_b32_e32 v13, 16, v2
	v_mov_b32_e32 v14, 0x3b800000
	v_lshlrev_b32_e32 v11, 20, v11
	v_and_b32_e32 v13, 0x80000000, v13
	v_lshl_add_u32 v12, v12, 23, v14
	v_or3_b32 v12, v13, v12, v11
.LBB46_400:
	s_or_b64 exec, exec, s[6:7]
	s_nop 0
	v_mfma_f32_16x16x4f32 a[0:3], v10, v12, a[0:3]
	s_movk_i32 s4, 0xff
	v_and_b32_sdwa v11, v6, s4 dst_sel:DWORD dst_unused:UNUSED_PAD src0_sel:WORD_1 src1_sel:DWORD
	s_movk_i32 s4, 0x7f
	v_cmp_lt_i16_e32 vcc, s4, v11
	s_mov_b64 s[4:5], 0
                                        ; implicit-def: $sgpr10
	s_and_saveexec_b64 s[6:7], vcc
	s_xor_b64 s[6:7], exec, s[6:7]
	s_cbranch_execnz .LBB46_2449
; %bb.401:
	s_or_saveexec_b64 s[6:7], s[6:7]
	v_mov_b32_e32 v10, s10
	s_xor_b64 exec, exec, s[6:7]
	s_cbranch_execnz .LBB46_2452
.LBB46_402:
	s_or_b64 exec, exec, s[6:7]
	s_and_saveexec_b64 s[6:7], s[4:5]
	s_cbranch_execz .LBB46_404
.LBB46_403:
	v_bfe_u32 v10, v6, 16, 3
	v_ffbh_u32_e32 v13, v10
	v_min_u32_e32 v13, 32, v13
	v_lshrrev_b32_e32 v11, 19, v6
	v_subrev_u32_e32 v14, 28, v13
	v_and_b32_e32 v11, 15, v11
	v_lshlrev_b32_sdwa v14, v14, v6 dst_sel:DWORD dst_unused:UNUSED_PAD src0_sel:DWORD src1_sel:WORD_1
	v_bfe_u32 v12, v6, 19, 4
	v_sub_u32_e32 v13, 29, v13
	v_and_b32_e32 v14, 7, v14
	v_cmp_eq_u16_e32 vcc, 0, v11
	v_cndmask_b32_e32 v10, v10, v14, vcc
	v_cndmask_b32_e32 v11, v12, v13, vcc
	v_lshlrev_b32_e32 v12, 8, v6
	v_mov_b32_e32 v13, 0x3b800000
	v_lshlrev_b32_e32 v10, 20, v10
	v_and_b32_e32 v12, 0x80000000, v12
	v_lshl_add_u32 v11, v11, 23, v13
	v_or3_b32 v10, v12, v11, v10
.LBB46_404:
	s_or_b64 exec, exec, s[6:7]
	s_movk_i32 s4, 0xff
	v_and_b32_sdwa v11, v2, s4 dst_sel:DWORD dst_unused:UNUSED_PAD src0_sel:WORD_1 src1_sel:DWORD
	s_movk_i32 s4, 0x7f
	v_cmp_lt_i16_e32 vcc, s4, v11
	s_mov_b64 s[4:5], 0
                                        ; implicit-def: $sgpr10
	s_and_saveexec_b64 s[6:7], vcc
	s_xor_b64 s[6:7], exec, s[6:7]
	s_cbranch_execnz .LBB46_2453
; %bb.405:
	s_or_saveexec_b64 s[6:7], s[6:7]
	v_mov_b32_e32 v12, s10
	s_xor_b64 exec, exec, s[6:7]
	s_cbranch_execnz .LBB46_2456
.LBB46_406:
	s_or_b64 exec, exec, s[6:7]
	s_and_saveexec_b64 s[6:7], s[4:5]
	s_cbranch_execz .LBB46_408
.LBB46_407:
	v_bfe_u32 v11, v2, 16, 3
	v_ffbh_u32_e32 v14, v11
	v_min_u32_e32 v14, 32, v14
	v_lshrrev_b32_e32 v12, 19, v2
	v_subrev_u32_e32 v15, 28, v14
	v_and_b32_e32 v12, 15, v12
	v_lshlrev_b32_sdwa v15, v15, v2 dst_sel:DWORD dst_unused:UNUSED_PAD src0_sel:DWORD src1_sel:WORD_1
	v_bfe_u32 v13, v2, 19, 4
	v_sub_u32_e32 v14, 29, v14
	v_and_b32_e32 v15, 7, v15
	v_cmp_eq_u16_e32 vcc, 0, v12
	v_cndmask_b32_e32 v11, v11, v15, vcc
	v_cndmask_b32_e32 v12, v13, v14, vcc
	v_lshlrev_b32_e32 v13, 8, v2
	v_mov_b32_e32 v14, 0x3b800000
	v_lshlrev_b32_e32 v11, 20, v11
	v_and_b32_e32 v13, 0x80000000, v13
	v_lshl_add_u32 v12, v12, 23, v14
	v_or3_b32 v12, v13, v12, v11
.LBB46_408:
	s_or_b64 exec, exec, s[6:7]
	s_nop 0
	v_mfma_f32_16x16x4f32 a[0:3], v10, v12, a[0:3]
	s_movk_i32 s4, 0x7f
	v_cmp_gt_i16_sdwa s[6:7], v6, s4 src0_sel:BYTE_3 src1_sel:DWORD
	s_mov_b64 s[4:5], 0
                                        ; implicit-def: $sgpr10
	s_and_saveexec_b64 s[8:9], s[6:7]
	s_xor_b64 s[6:7], exec, s[8:9]
	s_cbranch_execnz .LBB46_2457
; %bb.409:
	s_or_saveexec_b64 s[6:7], s[6:7]
	v_mov_b32_e32 v10, s10
	s_xor_b64 exec, exec, s[6:7]
	s_cbranch_execnz .LBB46_2460
.LBB46_410:
	s_or_b64 exec, exec, s[6:7]
	s_and_saveexec_b64 s[6:7], s[4:5]
	s_cbranch_execz .LBB46_412
.LBB46_411:
	v_bfe_u32 v10, v6, 24, 3
	v_ffbh_u32_e32 v14, v10
	v_min_u32_e32 v14, 32, v14
	v_lshrrev_b32_e32 v12, 27, v6
	v_subrev_u32_e32 v15, 28, v14
	v_and_b32_e32 v11, 0x80000000, v6
	v_and_b32_e32 v12, 15, v12
	v_bfe_u32 v13, v6, 27, 4
	v_lshlrev_b32_sdwa v6, v15, v6 dst_sel:DWORD dst_unused:UNUSED_PAD src0_sel:DWORD src1_sel:BYTE_3
	v_sub_u32_e32 v14, 29, v14
	v_and_b32_e32 v6, 7, v6
	v_cmp_eq_u16_e32 vcc, 0, v12
	v_cndmask_b32_e32 v6, v10, v6, vcc
	v_cndmask_b32_e32 v10, v13, v14, vcc
	v_mov_b32_e32 v12, 0x3b800000
	v_lshlrev_b32_e32 v6, 20, v6
	v_lshl_add_u32 v10, v10, 23, v12
	v_or3_b32 v10, v11, v10, v6
.LBB46_412:
	s_or_b64 exec, exec, s[6:7]
	s_movk_i32 s4, 0x7f
	v_cmp_gt_i16_sdwa s[6:7], v2, s4 src0_sel:BYTE_3 src1_sel:DWORD
	s_mov_b64 s[4:5], 0
                                        ; implicit-def: $sgpr10
	s_and_saveexec_b64 s[8:9], s[6:7]
	s_xor_b64 s[6:7], exec, s[8:9]
	s_cbranch_execnz .LBB46_2461
; %bb.413:
	s_or_saveexec_b64 s[6:7], s[6:7]
	v_mov_b32_e32 v6, s10
	s_xor_b64 exec, exec, s[6:7]
	s_cbranch_execnz .LBB46_2464
.LBB46_414:
	s_or_b64 exec, exec, s[6:7]
	s_and_saveexec_b64 s[6:7], s[4:5]
	s_cbranch_execz .LBB46_416
.LBB46_415:
	v_bfe_u32 v6, v2, 24, 3
	v_ffbh_u32_e32 v14, v6
	v_min_u32_e32 v14, 32, v14
	v_lshrrev_b32_e32 v12, 27, v2
	v_subrev_u32_e32 v15, 28, v14
	v_and_b32_e32 v11, 0x80000000, v2
	v_and_b32_e32 v12, 15, v12
	v_bfe_u32 v13, v2, 27, 4
	v_lshlrev_b32_sdwa v2, v15, v2 dst_sel:DWORD dst_unused:UNUSED_PAD src0_sel:DWORD src1_sel:BYTE_3
	v_sub_u32_e32 v14, 29, v14
	v_and_b32_e32 v2, 7, v2
	v_cmp_eq_u16_e32 vcc, 0, v12
	v_cndmask_b32_e32 v2, v6, v2, vcc
	v_cndmask_b32_e32 v6, v13, v14, vcc
	v_mov_b32_e32 v12, 0x3b800000
	v_lshlrev_b32_e32 v2, 20, v2
	v_lshl_add_u32 v6, v6, 23, v12
	v_or3_b32 v6, v11, v6, v2
.LBB46_416:
	s_or_b64 exec, exec, s[6:7]
	s_nop 0
	v_mfma_f32_16x16x4f32 a[0:3], v10, v6, a[0:3]
	s_movk_i32 s4, 0x7f
	v_cmp_gt_i16_sdwa s[6:7], v7, s4 src0_sel:BYTE_0 src1_sel:DWORD
	s_mov_b64 s[4:5], 0
                                        ; implicit-def: $sgpr10
	s_and_saveexec_b64 s[8:9], s[6:7]
	s_xor_b64 s[6:7], exec, s[8:9]
	s_cbranch_execnz .LBB46_2465
; %bb.417:
	s_or_saveexec_b64 s[6:7], s[6:7]
	v_mov_b32_e32 v2, s10
	s_xor_b64 exec, exec, s[6:7]
	s_cbranch_execnz .LBB46_2468
.LBB46_418:
	s_or_b64 exec, exec, s[6:7]
	s_and_saveexec_b64 s[6:7], s[4:5]
	s_cbranch_execz .LBB46_420
.LBB46_419:
	v_and_b32_e32 v2, 7, v7
	v_ffbh_u32_e32 v10, v2
	v_min_u32_e32 v10, 32, v10
	v_lshrrev_b16_e32 v6, 3, v7
	v_subrev_u32_e32 v11, 28, v10
	v_and_b32_e32 v6, 15, v6
	v_lshlrev_b32_e32 v11, v11, v7
	v_sub_u32_e32 v10, 29, v10
	v_and_b32_e32 v11, 7, v11
	v_cmp_eq_u16_e32 vcc, 0, v6
	v_cndmask_b32_e32 v2, v2, v11, vcc
	v_cndmask_b32_e32 v6, v6, v10, vcc
	v_lshlrev_b32_e32 v10, 24, v7
	v_mov_b32_e32 v11, 0x3b800000
	v_lshlrev_b32_e32 v2, 20, v2
	v_and_b32_e32 v10, 0x80000000, v10
	v_lshl_add_u32 v6, v6, 23, v11
	v_or3_b32 v2, v10, v6, v2
.LBB46_420:
	s_or_b64 exec, exec, s[6:7]
	s_movk_i32 s4, 0x7f
	v_cmp_gt_i16_sdwa s[6:7], v3, s4 src0_sel:BYTE_0 src1_sel:DWORD
	s_mov_b64 s[4:5], 0
                                        ; implicit-def: $sgpr10
	s_and_saveexec_b64 s[8:9], s[6:7]
	s_xor_b64 s[6:7], exec, s[8:9]
	s_cbranch_execnz .LBB46_2469
; %bb.421:
	s_or_saveexec_b64 s[6:7], s[6:7]
	v_mov_b32_e32 v6, s10
	s_xor_b64 exec, exec, s[6:7]
	s_cbranch_execnz .LBB46_2472
.LBB46_422:
	s_or_b64 exec, exec, s[6:7]
	s_and_saveexec_b64 s[6:7], s[4:5]
	s_cbranch_execz .LBB46_424
.LBB46_423:
	v_and_b32_e32 v6, 7, v3
	v_ffbh_u32_e32 v11, v6
	v_min_u32_e32 v11, 32, v11
	v_lshrrev_b16_e32 v10, 3, v3
	v_subrev_u32_e32 v12, 28, v11
	v_and_b32_e32 v10, 15, v10
	v_lshlrev_b32_e32 v12, v12, v3
	v_sub_u32_e32 v11, 29, v11
	v_and_b32_e32 v12, 7, v12
	v_cmp_eq_u16_e32 vcc, 0, v10
	v_cndmask_b32_e32 v6, v6, v12, vcc
	v_cndmask_b32_e32 v10, v10, v11, vcc
	v_lshlrev_b32_e32 v11, 24, v3
	v_mov_b32_e32 v12, 0x3b800000
	v_lshlrev_b32_e32 v6, 20, v6
	v_and_b32_e32 v11, 0x80000000, v11
	v_lshl_add_u32 v10, v10, 23, v12
	v_or3_b32 v6, v11, v10, v6
.LBB46_424:
	s_or_b64 exec, exec, s[6:7]
	s_nop 0
	v_mfma_f32_16x16x4f32 a[0:3], v2, v6, a[0:3]
	v_lshrrev_b32_e32 v6, 8, v7
	s_movk_i32 s4, 0x7f
	v_cmp_gt_i16_sdwa s[6:7], v6, s4 src0_sel:BYTE_0 src1_sel:DWORD
	s_mov_b64 s[4:5], 0
                                        ; implicit-def: $sgpr10
	s_and_saveexec_b64 s[8:9], s[6:7]
	s_xor_b64 s[6:7], exec, s[8:9]
	s_cbranch_execnz .LBB46_2473
; %bb.425:
	s_or_saveexec_b64 s[6:7], s[6:7]
	v_mov_b32_e32 v2, s10
	s_xor_b64 exec, exec, s[6:7]
	s_cbranch_execnz .LBB46_2476
.LBB46_426:
	s_or_b64 exec, exec, s[6:7]
	s_and_saveexec_b64 s[6:7], s[4:5]
	s_cbranch_execz .LBB46_428
.LBB46_427:
	v_bfe_u32 v2, v7, 8, 3
	v_ffbh_u32_e32 v11, v2
	v_min_u32_e32 v11, 32, v11
	v_lshrrev_b16_e32 v10, 3, v6
	v_subrev_u32_e32 v12, 28, v11
	v_and_b32_e32 v10, 15, v10
	v_lshlrev_b32_e32 v6, v12, v6
	v_sub_u32_e32 v11, 29, v11
	v_and_b32_e32 v6, 7, v6
	v_cmp_eq_u16_e32 vcc, 0, v10
	v_cndmask_b32_e32 v2, v2, v6, vcc
	v_cndmask_b32_e32 v6, v10, v11, vcc
	v_lshlrev_b32_e32 v10, 16, v7
	v_mov_b32_e32 v11, 0x3b800000
	v_lshlrev_b32_e32 v2, 20, v2
	v_and_b32_e32 v10, 0x80000000, v10
	v_lshl_add_u32 v6, v6, 23, v11
	v_or3_b32 v2, v10, v6, v2
.LBB46_428:
	s_or_b64 exec, exec, s[6:7]
	v_lshrrev_b32_e32 v6, 8, v3
	s_movk_i32 s4, 0x7f
	v_cmp_gt_i16_sdwa s[6:7], v6, s4 src0_sel:BYTE_0 src1_sel:DWORD
	s_mov_b64 s[4:5], 0
                                        ; implicit-def: $sgpr10
	s_and_saveexec_b64 s[8:9], s[6:7]
	s_xor_b64 s[6:7], exec, s[8:9]
	s_cbranch_execnz .LBB46_2477
; %bb.429:
	s_or_saveexec_b64 s[6:7], s[6:7]
	v_mov_b32_e32 v10, s10
	s_xor_b64 exec, exec, s[6:7]
	s_cbranch_execnz .LBB46_2480
.LBB46_430:
	s_or_b64 exec, exec, s[6:7]
	s_and_saveexec_b64 s[6:7], s[4:5]
	s_cbranch_execz .LBB46_432
.LBB46_431:
	v_bfe_u32 v10, v3, 8, 3
	v_ffbh_u32_e32 v12, v10
	v_min_u32_e32 v12, 32, v12
	v_lshrrev_b16_e32 v11, 3, v6
	v_subrev_u32_e32 v13, 28, v12
	v_and_b32_e32 v11, 15, v11
	v_lshlrev_b32_e32 v6, v13, v6
	v_sub_u32_e32 v12, 29, v12
	v_and_b32_e32 v6, 7, v6
	v_cmp_eq_u16_e32 vcc, 0, v11
	v_cndmask_b32_e32 v6, v10, v6, vcc
	v_cndmask_b32_e32 v10, v11, v12, vcc
	v_lshlrev_b32_e32 v11, 16, v3
	v_mov_b32_e32 v12, 0x3b800000
	v_lshlrev_b32_e32 v6, 20, v6
	v_and_b32_e32 v11, 0x80000000, v11
	v_lshl_add_u32 v10, v10, 23, v12
	v_or3_b32 v10, v11, v10, v6
.LBB46_432:
	s_or_b64 exec, exec, s[6:7]
	s_nop 0
	v_mfma_f32_16x16x4f32 a[0:3], v2, v10, a[0:3]
	s_movk_i32 s4, 0xff
	v_and_b32_sdwa v6, v7, s4 dst_sel:DWORD dst_unused:UNUSED_PAD src0_sel:WORD_1 src1_sel:DWORD
	s_movk_i32 s4, 0x7f
	v_cmp_lt_i16_e32 vcc, s4, v6
	s_mov_b64 s[4:5], 0
                                        ; implicit-def: $sgpr10
	s_and_saveexec_b64 s[6:7], vcc
	s_xor_b64 s[6:7], exec, s[6:7]
	s_cbranch_execnz .LBB46_2481
; %bb.433:
	s_or_saveexec_b64 s[6:7], s[6:7]
	v_mov_b32_e32 v2, s10
	s_xor_b64 exec, exec, s[6:7]
	s_cbranch_execnz .LBB46_2484
.LBB46_434:
	s_or_b64 exec, exec, s[6:7]
	s_and_saveexec_b64 s[6:7], s[4:5]
	s_cbranch_execz .LBB46_436
.LBB46_435:
	v_bfe_u32 v2, v7, 16, 3
	v_ffbh_u32_e32 v11, v2
	v_min_u32_e32 v11, 32, v11
	v_lshrrev_b32_e32 v6, 19, v7
	v_subrev_u32_e32 v12, 28, v11
	v_and_b32_e32 v6, 15, v6
	v_lshlrev_b32_sdwa v12, v12, v7 dst_sel:DWORD dst_unused:UNUSED_PAD src0_sel:DWORD src1_sel:WORD_1
	v_bfe_u32 v10, v7, 19, 4
	v_sub_u32_e32 v11, 29, v11
	v_and_b32_e32 v12, 7, v12
	v_cmp_eq_u16_e32 vcc, 0, v6
	v_cndmask_b32_e32 v2, v2, v12, vcc
	v_cndmask_b32_e32 v6, v10, v11, vcc
	v_lshlrev_b32_e32 v10, 8, v7
	v_mov_b32_e32 v11, 0x3b800000
	v_lshlrev_b32_e32 v2, 20, v2
	v_and_b32_e32 v10, 0x80000000, v10
	v_lshl_add_u32 v6, v6, 23, v11
	v_or3_b32 v2, v10, v6, v2
.LBB46_436:
	s_or_b64 exec, exec, s[6:7]
	s_movk_i32 s4, 0xff
	v_and_b32_sdwa v6, v3, s4 dst_sel:DWORD dst_unused:UNUSED_PAD src0_sel:WORD_1 src1_sel:DWORD
	s_movk_i32 s4, 0x7f
	v_cmp_lt_i16_e32 vcc, s4, v6
	s_mov_b64 s[4:5], 0
                                        ; implicit-def: $sgpr10
	s_and_saveexec_b64 s[6:7], vcc
	s_xor_b64 s[6:7], exec, s[6:7]
	s_cbranch_execnz .LBB46_2485
; %bb.437:
	s_or_saveexec_b64 s[6:7], s[6:7]
	v_mov_b32_e32 v10, s10
	s_xor_b64 exec, exec, s[6:7]
	s_cbranch_execnz .LBB46_2488
.LBB46_438:
	s_or_b64 exec, exec, s[6:7]
	s_and_saveexec_b64 s[6:7], s[4:5]
	s_cbranch_execz .LBB46_440
.LBB46_439:
	v_bfe_u32 v6, v3, 16, 3
	v_ffbh_u32_e32 v12, v6
	v_min_u32_e32 v12, 32, v12
	v_lshrrev_b32_e32 v10, 19, v3
	v_subrev_u32_e32 v13, 28, v12
	v_and_b32_e32 v10, 15, v10
	v_lshlrev_b32_sdwa v13, v13, v3 dst_sel:DWORD dst_unused:UNUSED_PAD src0_sel:DWORD src1_sel:WORD_1
	v_bfe_u32 v11, v3, 19, 4
	v_sub_u32_e32 v12, 29, v12
	v_and_b32_e32 v13, 7, v13
	v_cmp_eq_u16_e32 vcc, 0, v10
	v_cndmask_b32_e32 v6, v6, v13, vcc
	v_cndmask_b32_e32 v10, v11, v12, vcc
	v_lshlrev_b32_e32 v11, 8, v3
	v_mov_b32_e32 v12, 0x3b800000
	v_lshlrev_b32_e32 v6, 20, v6
	v_and_b32_e32 v11, 0x80000000, v11
	v_lshl_add_u32 v10, v10, 23, v12
	v_or3_b32 v10, v11, v10, v6
.LBB46_440:
	s_or_b64 exec, exec, s[6:7]
	s_nop 0
	v_mfma_f32_16x16x4f32 a[0:3], v2, v10, a[0:3]
	s_movk_i32 s4, 0x7f
	v_cmp_gt_i16_sdwa s[6:7], v7, s4 src0_sel:BYTE_3 src1_sel:DWORD
	s_mov_b64 s[4:5], 0
                                        ; implicit-def: $sgpr10
	s_and_saveexec_b64 s[8:9], s[6:7]
	s_xor_b64 s[6:7], exec, s[8:9]
	s_cbranch_execnz .LBB46_2489
; %bb.441:
	s_or_saveexec_b64 s[6:7], s[6:7]
	v_mov_b32_e32 v2, s10
	s_xor_b64 exec, exec, s[6:7]
	s_cbranch_execnz .LBB46_2492
.LBB46_442:
	s_or_b64 exec, exec, s[6:7]
	s_and_saveexec_b64 s[6:7], s[4:5]
	s_cbranch_execz .LBB46_444
.LBB46_443:
	v_bfe_u32 v2, v7, 24, 3
	v_ffbh_u32_e32 v12, v2
	v_min_u32_e32 v12, 32, v12
	v_lshrrev_b32_e32 v10, 27, v7
	v_subrev_u32_e32 v13, 28, v12
	v_and_b32_e32 v6, 0x80000000, v7
	v_and_b32_e32 v10, 15, v10
	v_bfe_u32 v11, v7, 27, 4
	v_lshlrev_b32_sdwa v7, v13, v7 dst_sel:DWORD dst_unused:UNUSED_PAD src0_sel:DWORD src1_sel:BYTE_3
	v_sub_u32_e32 v12, 29, v12
	v_and_b32_e32 v7, 7, v7
	v_cmp_eq_u16_e32 vcc, 0, v10
	v_cndmask_b32_e32 v2, v2, v7, vcc
	v_cndmask_b32_e32 v7, v11, v12, vcc
	v_mov_b32_e32 v10, 0x3b800000
	v_lshlrev_b32_e32 v2, 20, v2
	v_lshl_add_u32 v7, v7, 23, v10
	v_or3_b32 v2, v6, v7, v2
.LBB46_444:
	s_or_b64 exec, exec, s[6:7]
	s_movk_i32 s4, 0x7f
	v_cmp_gt_i16_sdwa s[6:7], v3, s4 src0_sel:BYTE_3 src1_sel:DWORD
	s_mov_b64 s[4:5], 0
                                        ; implicit-def: $sgpr10
	s_and_saveexec_b64 s[8:9], s[6:7]
	s_xor_b64 s[6:7], exec, s[8:9]
	s_cbranch_execnz .LBB46_2493
; %bb.445:
	s_or_saveexec_b64 s[6:7], s[6:7]
	v_mov_b32_e32 v6, s10
	s_xor_b64 exec, exec, s[6:7]
	s_cbranch_execnz .LBB46_2496
.LBB46_446:
	s_or_b64 exec, exec, s[6:7]
	s_and_saveexec_b64 s[6:7], s[4:5]
	s_cbranch_execz .LBB46_448
.LBB46_447:
	v_bfe_u32 v6, v3, 24, 3
	v_ffbh_u32_e32 v12, v6
	v_min_u32_e32 v12, 32, v12
	v_lshrrev_b32_e32 v10, 27, v3
	v_subrev_u32_e32 v13, 28, v12
	v_and_b32_e32 v7, 0x80000000, v3
	v_and_b32_e32 v10, 15, v10
	v_bfe_u32 v11, v3, 27, 4
	v_lshlrev_b32_sdwa v3, v13, v3 dst_sel:DWORD dst_unused:UNUSED_PAD src0_sel:DWORD src1_sel:BYTE_3
	v_sub_u32_e32 v12, 29, v12
	v_and_b32_e32 v3, 7, v3
	v_cmp_eq_u16_e32 vcc, 0, v10
	v_cndmask_b32_e32 v3, v6, v3, vcc
	v_cndmask_b32_e32 v6, v11, v12, vcc
	v_mov_b32_e32 v10, 0x3b800000
	v_lshlrev_b32_e32 v3, 20, v3
	v_lshl_add_u32 v6, v6, 23, v10
	v_or3_b32 v6, v7, v6, v3
.LBB46_448:
	s_or_b64 exec, exec, s[6:7]
	s_nop 0
	v_mfma_f32_16x16x4f32 a[0:3], v2, v6, a[0:3]
	s_movk_i32 s4, 0x7f
	v_cmp_gt_i16_sdwa s[6:7], v8, s4 src0_sel:BYTE_0 src1_sel:DWORD
	s_mov_b64 s[4:5], 0
                                        ; implicit-def: $sgpr10
	s_and_saveexec_b64 s[8:9], s[6:7]
	s_xor_b64 s[6:7], exec, s[8:9]
	s_cbranch_execnz .LBB46_2497
; %bb.449:
	s_or_saveexec_b64 s[6:7], s[6:7]
	v_mov_b32_e32 v2, s10
	s_xor_b64 exec, exec, s[6:7]
	s_cbranch_execnz .LBB46_2500
.LBB46_450:
	s_or_b64 exec, exec, s[6:7]
	s_and_saveexec_b64 s[6:7], s[4:5]
	s_cbranch_execz .LBB46_452
.LBB46_451:
	v_and_b32_e32 v2, 7, v8
	v_ffbh_u32_e32 v6, v2
	v_min_u32_e32 v6, 32, v6
	v_lshrrev_b16_e32 v3, 3, v8
	v_subrev_u32_e32 v7, 28, v6
	v_and_b32_e32 v3, 15, v3
	v_lshlrev_b32_e32 v7, v7, v8
	v_sub_u32_e32 v6, 29, v6
	v_and_b32_e32 v7, 7, v7
	v_cmp_eq_u16_e32 vcc, 0, v3
	v_cndmask_b32_e32 v2, v2, v7, vcc
	v_cndmask_b32_e32 v3, v3, v6, vcc
	v_lshlrev_b32_e32 v6, 24, v8
	v_mov_b32_e32 v7, 0x3b800000
	v_lshlrev_b32_e32 v2, 20, v2
	v_and_b32_e32 v6, 0x80000000, v6
	v_lshl_add_u32 v3, v3, 23, v7
	v_or3_b32 v2, v6, v3, v2
.LBB46_452:
	s_or_b64 exec, exec, s[6:7]
	s_movk_i32 s4, 0x7f
	v_cmp_gt_i16_sdwa s[6:7], v4, s4 src0_sel:BYTE_0 src1_sel:DWORD
	s_mov_b64 s[4:5], 0
                                        ; implicit-def: $sgpr10
	s_and_saveexec_b64 s[8:9], s[6:7]
	s_xor_b64 s[6:7], exec, s[8:9]
	s_cbranch_execnz .LBB46_2501
; %bb.453:
	s_or_saveexec_b64 s[6:7], s[6:7]
	v_mov_b32_e32 v3, s10
	s_xor_b64 exec, exec, s[6:7]
	s_cbranch_execnz .LBB46_2504
.LBB46_454:
	s_or_b64 exec, exec, s[6:7]
	s_and_saveexec_b64 s[6:7], s[4:5]
	s_cbranch_execz .LBB46_456
.LBB46_455:
	v_and_b32_e32 v3, 7, v4
	v_ffbh_u32_e32 v7, v3
	v_min_u32_e32 v7, 32, v7
	v_lshrrev_b16_e32 v6, 3, v4
	v_subrev_u32_e32 v10, 28, v7
	v_and_b32_e32 v6, 15, v6
	v_lshlrev_b32_e32 v10, v10, v4
	v_sub_u32_e32 v7, 29, v7
	v_and_b32_e32 v10, 7, v10
	v_cmp_eq_u16_e32 vcc, 0, v6
	v_cndmask_b32_e32 v3, v3, v10, vcc
	v_cndmask_b32_e32 v6, v6, v7, vcc
	v_lshlrev_b32_e32 v7, 24, v4
	v_mov_b32_e32 v10, 0x3b800000
	v_lshlrev_b32_e32 v3, 20, v3
	v_and_b32_e32 v7, 0x80000000, v7
	v_lshl_add_u32 v6, v6, 23, v10
	v_or3_b32 v3, v7, v6, v3
.LBB46_456:
	s_or_b64 exec, exec, s[6:7]
	s_nop 0
	v_mfma_f32_16x16x4f32 a[0:3], v2, v3, a[0:3]
	v_lshrrev_b32_e32 v3, 8, v8
	s_movk_i32 s4, 0x7f
	v_cmp_gt_i16_sdwa s[6:7], v3, s4 src0_sel:BYTE_0 src1_sel:DWORD
	s_mov_b64 s[4:5], 0
                                        ; implicit-def: $sgpr10
	s_and_saveexec_b64 s[8:9], s[6:7]
	s_xor_b64 s[6:7], exec, s[8:9]
	s_cbranch_execnz .LBB46_2505
; %bb.457:
	s_or_saveexec_b64 s[6:7], s[6:7]
	v_mov_b32_e32 v2, s10
	s_xor_b64 exec, exec, s[6:7]
	s_cbranch_execnz .LBB46_2508
.LBB46_458:
	s_or_b64 exec, exec, s[6:7]
	s_and_saveexec_b64 s[6:7], s[4:5]
	s_cbranch_execz .LBB46_460
.LBB46_459:
	v_bfe_u32 v2, v8, 8, 3
	v_ffbh_u32_e32 v7, v2
	v_min_u32_e32 v7, 32, v7
	v_lshrrev_b16_e32 v6, 3, v3
	v_subrev_u32_e32 v10, 28, v7
	v_and_b32_e32 v6, 15, v6
	v_lshlrev_b32_e32 v3, v10, v3
	v_sub_u32_e32 v7, 29, v7
	v_and_b32_e32 v3, 7, v3
	v_cmp_eq_u16_e32 vcc, 0, v6
	v_cndmask_b32_e32 v2, v2, v3, vcc
	v_cndmask_b32_e32 v3, v6, v7, vcc
	v_lshlrev_b32_e32 v6, 16, v8
	v_mov_b32_e32 v7, 0x3b800000
	v_lshlrev_b32_e32 v2, 20, v2
	v_and_b32_e32 v6, 0x80000000, v6
	v_lshl_add_u32 v3, v3, 23, v7
	v_or3_b32 v2, v6, v3, v2
.LBB46_460:
	s_or_b64 exec, exec, s[6:7]
	v_lshrrev_b32_e32 v3, 8, v4
	s_movk_i32 s4, 0x7f
	v_cmp_gt_i16_sdwa s[6:7], v3, s4 src0_sel:BYTE_0 src1_sel:DWORD
	s_mov_b64 s[4:5], 0
                                        ; implicit-def: $sgpr10
	s_and_saveexec_b64 s[8:9], s[6:7]
	s_xor_b64 s[6:7], exec, s[8:9]
	s_cbranch_execnz .LBB46_2509
; %bb.461:
	s_or_saveexec_b64 s[6:7], s[6:7]
	v_mov_b32_e32 v6, s10
	s_xor_b64 exec, exec, s[6:7]
	s_cbranch_execnz .LBB46_2512
.LBB46_462:
	s_or_b64 exec, exec, s[6:7]
	s_and_saveexec_b64 s[6:7], s[4:5]
	s_cbranch_execz .LBB46_464
.LBB46_463:
	v_bfe_u32 v6, v4, 8, 3
	v_ffbh_u32_e32 v10, v6
	v_min_u32_e32 v10, 32, v10
	v_lshrrev_b16_e32 v7, 3, v3
	v_subrev_u32_e32 v11, 28, v10
	v_and_b32_e32 v7, 15, v7
	v_lshlrev_b32_e32 v3, v11, v3
	v_sub_u32_e32 v10, 29, v10
	v_and_b32_e32 v3, 7, v3
	v_cmp_eq_u16_e32 vcc, 0, v7
	v_cndmask_b32_e32 v3, v6, v3, vcc
	v_cndmask_b32_e32 v6, v7, v10, vcc
	v_lshlrev_b32_e32 v7, 16, v4
	v_mov_b32_e32 v10, 0x3b800000
	v_lshlrev_b32_e32 v3, 20, v3
	v_and_b32_e32 v7, 0x80000000, v7
	v_lshl_add_u32 v6, v6, 23, v10
	v_or3_b32 v6, v7, v6, v3
.LBB46_464:
	s_or_b64 exec, exec, s[6:7]
	s_nop 0
	v_mfma_f32_16x16x4f32 a[0:3], v2, v6, a[0:3]
	s_movk_i32 s4, 0xff
	v_and_b32_sdwa v3, v8, s4 dst_sel:DWORD dst_unused:UNUSED_PAD src0_sel:WORD_1 src1_sel:DWORD
	s_movk_i32 s4, 0x7f
	v_cmp_lt_i16_e32 vcc, s4, v3
	s_mov_b64 s[4:5], 0
                                        ; implicit-def: $sgpr10
	s_and_saveexec_b64 s[6:7], vcc
	s_xor_b64 s[6:7], exec, s[6:7]
	s_cbranch_execnz .LBB46_2513
; %bb.465:
	s_or_saveexec_b64 s[6:7], s[6:7]
	v_mov_b32_e32 v2, s10
	s_xor_b64 exec, exec, s[6:7]
	s_cbranch_execnz .LBB46_2516
.LBB46_466:
	s_or_b64 exec, exec, s[6:7]
	s_and_saveexec_b64 s[6:7], s[4:5]
	s_cbranch_execz .LBB46_468
.LBB46_467:
	v_bfe_u32 v2, v8, 16, 3
	v_ffbh_u32_e32 v7, v2
	v_min_u32_e32 v7, 32, v7
	v_lshrrev_b32_e32 v3, 19, v8
	v_subrev_u32_e32 v10, 28, v7
	v_and_b32_e32 v3, 15, v3
	v_lshlrev_b32_sdwa v10, v10, v8 dst_sel:DWORD dst_unused:UNUSED_PAD src0_sel:DWORD src1_sel:WORD_1
	v_bfe_u32 v6, v8, 19, 4
	v_sub_u32_e32 v7, 29, v7
	v_and_b32_e32 v10, 7, v10
	v_cmp_eq_u16_e32 vcc, 0, v3
	v_cndmask_b32_e32 v2, v2, v10, vcc
	v_cndmask_b32_e32 v3, v6, v7, vcc
	v_lshlrev_b32_e32 v6, 8, v8
	v_mov_b32_e32 v7, 0x3b800000
	v_lshlrev_b32_e32 v2, 20, v2
	v_and_b32_e32 v6, 0x80000000, v6
	v_lshl_add_u32 v3, v3, 23, v7
	v_or3_b32 v2, v6, v3, v2
.LBB46_468:
	s_or_b64 exec, exec, s[6:7]
	s_movk_i32 s4, 0xff
	v_and_b32_sdwa v3, v4, s4 dst_sel:DWORD dst_unused:UNUSED_PAD src0_sel:WORD_1 src1_sel:DWORD
	s_movk_i32 s4, 0x7f
	v_cmp_lt_i16_e32 vcc, s4, v3
	s_mov_b64 s[4:5], 0
                                        ; implicit-def: $sgpr10
	s_and_saveexec_b64 s[6:7], vcc
	s_xor_b64 s[6:7], exec, s[6:7]
	s_cbranch_execnz .LBB46_2517
; %bb.469:
	s_or_saveexec_b64 s[6:7], s[6:7]
	v_mov_b32_e32 v6, s10
	s_xor_b64 exec, exec, s[6:7]
	s_cbranch_execnz .LBB46_2520
.LBB46_470:
	s_or_b64 exec, exec, s[6:7]
	s_and_saveexec_b64 s[6:7], s[4:5]
	s_cbranch_execz .LBB46_472
.LBB46_471:
	v_bfe_u32 v3, v4, 16, 3
	v_ffbh_u32_e32 v10, v3
	v_min_u32_e32 v10, 32, v10
	v_lshrrev_b32_e32 v6, 19, v4
	v_subrev_u32_e32 v11, 28, v10
	v_and_b32_e32 v6, 15, v6
	v_lshlrev_b32_sdwa v11, v11, v4 dst_sel:DWORD dst_unused:UNUSED_PAD src0_sel:DWORD src1_sel:WORD_1
	v_bfe_u32 v7, v4, 19, 4
	v_sub_u32_e32 v10, 29, v10
	v_and_b32_e32 v11, 7, v11
	v_cmp_eq_u16_e32 vcc, 0, v6
	v_cndmask_b32_e32 v3, v3, v11, vcc
	v_cndmask_b32_e32 v6, v7, v10, vcc
	v_lshlrev_b32_e32 v7, 8, v4
	v_mov_b32_e32 v10, 0x3b800000
	v_lshlrev_b32_e32 v3, 20, v3
	v_and_b32_e32 v7, 0x80000000, v7
	v_lshl_add_u32 v6, v6, 23, v10
	v_or3_b32 v6, v7, v6, v3
.LBB46_472:
	s_or_b64 exec, exec, s[6:7]
	s_nop 0
	v_mfma_f32_16x16x4f32 a[0:3], v2, v6, a[0:3]
	s_movk_i32 s4, 0x7f
	v_cmp_gt_i16_sdwa s[6:7], v8, s4 src0_sel:BYTE_3 src1_sel:DWORD
	s_mov_b64 s[4:5], 0
                                        ; implicit-def: $sgpr10
	s_and_saveexec_b64 s[8:9], s[6:7]
	s_xor_b64 s[6:7], exec, s[8:9]
	s_cbranch_execnz .LBB46_2521
; %bb.473:
	s_or_saveexec_b64 s[6:7], s[6:7]
	v_mov_b32_e32 v2, s10
	s_xor_b64 exec, exec, s[6:7]
	s_cbranch_execnz .LBB46_2524
.LBB46_474:
	s_or_b64 exec, exec, s[6:7]
	s_and_saveexec_b64 s[6:7], s[4:5]
	s_cbranch_execz .LBB46_476
.LBB46_475:
	v_bfe_u32 v2, v8, 24, 3
	v_ffbh_u32_e32 v10, v2
	v_min_u32_e32 v10, 32, v10
	v_lshrrev_b32_e32 v6, 27, v8
	v_subrev_u32_e32 v11, 28, v10
	v_and_b32_e32 v3, 0x80000000, v8
	v_and_b32_e32 v6, 15, v6
	v_bfe_u32 v7, v8, 27, 4
	v_lshlrev_b32_sdwa v8, v11, v8 dst_sel:DWORD dst_unused:UNUSED_PAD src0_sel:DWORD src1_sel:BYTE_3
	v_sub_u32_e32 v10, 29, v10
	v_and_b32_e32 v8, 7, v8
	v_cmp_eq_u16_e32 vcc, 0, v6
	v_cndmask_b32_e32 v2, v2, v8, vcc
	v_cndmask_b32_e32 v6, v7, v10, vcc
	v_mov_b32_e32 v7, 0x3b800000
	v_lshlrev_b32_e32 v2, 20, v2
	v_lshl_add_u32 v6, v6, 23, v7
	v_or3_b32 v2, v3, v6, v2
.LBB46_476:
	s_or_b64 exec, exec, s[6:7]
	s_movk_i32 s4, 0x7f
	v_cmp_gt_i16_sdwa s[6:7], v4, s4 src0_sel:BYTE_3 src1_sel:DWORD
	s_mov_b64 s[4:5], 0
                                        ; implicit-def: $sgpr10
	s_and_saveexec_b64 s[8:9], s[6:7]
	s_xor_b64 s[6:7], exec, s[8:9]
	s_cbranch_execnz .LBB46_2525
; %bb.477:
	s_or_saveexec_b64 s[6:7], s[6:7]
	v_mov_b32_e32 v3, s10
	s_xor_b64 exec, exec, s[6:7]
	s_cbranch_execnz .LBB46_2528
.LBB46_478:
	s_or_b64 exec, exec, s[6:7]
	s_and_saveexec_b64 s[6:7], s[4:5]
	s_cbranch_execz .LBB46_480
.LBB46_479:
	v_bfe_u32 v3, v4, 24, 3
	v_ffbh_u32_e32 v10, v3
	v_min_u32_e32 v10, 32, v10
	v_lshrrev_b32_e32 v7, 27, v4
	v_subrev_u32_e32 v11, 28, v10
	v_and_b32_e32 v6, 0x80000000, v4
	v_and_b32_e32 v7, 15, v7
	v_bfe_u32 v8, v4, 27, 4
	v_lshlrev_b32_sdwa v4, v11, v4 dst_sel:DWORD dst_unused:UNUSED_PAD src0_sel:DWORD src1_sel:BYTE_3
	v_sub_u32_e32 v10, 29, v10
	v_and_b32_e32 v4, 7, v4
	v_cmp_eq_u16_e32 vcc, 0, v7
	v_cndmask_b32_e32 v3, v3, v4, vcc
	v_cndmask_b32_e32 v4, v8, v10, vcc
	v_mov_b32_e32 v7, 0x3b800000
	v_lshlrev_b32_e32 v3, 20, v3
	v_lshl_add_u32 v4, v4, 23, v7
	v_or3_b32 v3, v6, v4, v3
.LBB46_480:
	s_or_b64 exec, exec, s[6:7]
	s_nop 0
	v_mfma_f32_16x16x4f32 a[0:3], v2, v3, a[0:3]
	s_movk_i32 s4, 0x7f
	v_cmp_gt_i16_sdwa s[6:7], v9, s4 src0_sel:BYTE_0 src1_sel:DWORD
	s_mov_b64 s[4:5], 0
                                        ; implicit-def: $sgpr10
	s_and_saveexec_b64 s[8:9], s[6:7]
	s_xor_b64 s[6:7], exec, s[8:9]
	s_cbranch_execnz .LBB46_2529
; %bb.481:
	s_or_saveexec_b64 s[6:7], s[6:7]
	v_mov_b32_e32 v2, s10
	s_xor_b64 exec, exec, s[6:7]
	s_cbranch_execnz .LBB46_2532
.LBB46_482:
	s_or_b64 exec, exec, s[6:7]
	s_and_saveexec_b64 s[6:7], s[4:5]
	s_cbranch_execz .LBB46_484
.LBB46_483:
	v_mov_b32_e32 v2, 8
	v_and_b32_e32 v3, 7, v9
	v_lshrrev_b32_sdwa v2, v2, v9 dst_sel:BYTE_1 dst_unused:UNUSED_PAD src0_sel:DWORD src1_sel:DWORD
	v_ffbh_u32_e32 v4, v3
	v_or_b32_sdwa v2, v9, v2 dst_sel:DWORD dst_unused:UNUSED_PAD src0_sel:BYTE_0 src1_sel:DWORD
	v_min_u32_e32 v4, 32, v4
	v_lshrrev_b16_e32 v2, 3, v2
	v_subrev_u32_e32 v6, 28, v4
	v_and_b32_e32 v2, 15, v2
	v_lshlrev_b32_e32 v6, v6, v9
	v_sub_u32_e32 v4, 29, v4
	v_and_b32_e32 v6, 7, v6
	v_cmp_eq_u16_e32 vcc, 0, v2
	v_cndmask_b32_e32 v3, v3, v6, vcc
	v_cndmask_b32_e32 v2, v2, v4, vcc
	v_lshlrev_b32_e32 v4, 24, v9
	v_mov_b32_e32 v6, 0x3b800000
	v_lshlrev_b32_e32 v3, 20, v3
	v_and_b32_e32 v4, 0x80000000, v4
	v_lshl_add_u32 v2, v2, 23, v6
	v_or3_b32 v2, v4, v2, v3
.LBB46_484:
	s_or_b64 exec, exec, s[6:7]
	s_movk_i32 s4, 0x7f
	v_cmp_gt_i16_sdwa s[6:7], v5, s4 src0_sel:BYTE_0 src1_sel:DWORD
	s_mov_b64 s[4:5], 0
                                        ; implicit-def: $sgpr10
	s_and_saveexec_b64 s[8:9], s[6:7]
	s_xor_b64 s[6:7], exec, s[8:9]
	s_cbranch_execnz .LBB46_2533
; %bb.485:
	s_or_saveexec_b64 s[6:7], s[6:7]
	v_mov_b32_e32 v3, s10
	s_xor_b64 exec, exec, s[6:7]
	s_cbranch_execnz .LBB46_2536
.LBB46_486:
	s_or_b64 exec, exec, s[6:7]
	s_and_saveexec_b64 s[6:7], s[4:5]
	s_cbranch_execz .LBB46_488
.LBB46_487:
	v_mov_b32_e32 v3, 8
	v_and_b32_e32 v4, 7, v5
	v_lshrrev_b32_sdwa v3, v3, v5 dst_sel:BYTE_1 dst_unused:UNUSED_PAD src0_sel:DWORD src1_sel:DWORD
	v_ffbh_u32_e32 v6, v4
	v_or_b32_sdwa v3, v5, v3 dst_sel:DWORD dst_unused:UNUSED_PAD src0_sel:BYTE_0 src1_sel:DWORD
	v_min_u32_e32 v6, 32, v6
	v_lshrrev_b16_e32 v3, 3, v3
	v_subrev_u32_e32 v7, 28, v6
	v_and_b32_e32 v3, 15, v3
	v_lshlrev_b32_e32 v7, v7, v5
	v_sub_u32_e32 v6, 29, v6
	v_and_b32_e32 v7, 7, v7
	v_cmp_eq_u16_e32 vcc, 0, v3
	v_cndmask_b32_e32 v4, v4, v7, vcc
	v_cndmask_b32_e32 v3, v3, v6, vcc
	v_lshlrev_b32_e32 v6, 24, v5
	v_mov_b32_e32 v7, 0x3b800000
	v_lshlrev_b32_e32 v4, 20, v4
	v_and_b32_e32 v6, 0x80000000, v6
	v_lshl_add_u32 v3, v3, 23, v7
	v_or3_b32 v3, v6, v3, v4
.LBB46_488:
	s_or_b64 exec, exec, s[6:7]
	s_nop 0
	v_mfma_f32_16x16x4f32 a[0:3], v2, v3, a[0:3]
	v_lshrrev_b32_e32 v3, 8, v9
	s_movk_i32 s4, 0x7f
	v_cmp_gt_i16_sdwa s[6:7], v3, s4 src0_sel:BYTE_0 src1_sel:DWORD
	s_mov_b64 s[4:5], 0
                                        ; implicit-def: $sgpr10
	s_and_saveexec_b64 s[8:9], s[6:7]
	s_xor_b64 s[6:7], exec, s[8:9]
	s_cbranch_execnz .LBB46_2537
; %bb.489:
	s_or_saveexec_b64 s[6:7], s[6:7]
	v_mov_b32_e32 v2, s10
	s_xor_b64 exec, exec, s[6:7]
	s_cbranch_execnz .LBB46_2540
.LBB46_490:
	s_or_b64 exec, exec, s[6:7]
	s_and_saveexec_b64 s[6:7], s[4:5]
	s_cbranch_execz .LBB46_492
.LBB46_491:
	v_bfe_u32 v2, v9, 8, 3
	v_ffbh_u32_e32 v6, v2
	v_min_u32_e32 v6, 32, v6
	v_lshrrev_b16_e32 v4, 3, v3
	v_subrev_u32_e32 v7, 28, v6
	v_and_b32_e32 v4, 15, v4
	v_lshlrev_b32_e32 v3, v7, v3
	v_sub_u32_e32 v6, 29, v6
	v_and_b32_e32 v3, 7, v3
	v_cmp_eq_u16_e32 vcc, 0, v4
	v_cndmask_b32_e32 v2, v2, v3, vcc
	v_cndmask_b32_e32 v3, v4, v6, vcc
	v_lshlrev_b32_e32 v4, 16, v9
	v_mov_b32_e32 v6, 0x3b800000
	v_lshlrev_b32_e32 v2, 20, v2
	v_and_b32_e32 v4, 0x80000000, v4
	v_lshl_add_u32 v3, v3, 23, v6
	v_or3_b32 v2, v4, v3, v2
.LBB46_492:
	s_or_b64 exec, exec, s[6:7]
	v_lshrrev_b32_e32 v3, 8, v5
	s_movk_i32 s4, 0x7f
	v_cmp_gt_i16_sdwa s[6:7], v3, s4 src0_sel:BYTE_0 src1_sel:DWORD
	s_mov_b64 s[4:5], 0
                                        ; implicit-def: $sgpr10
	s_and_saveexec_b64 s[8:9], s[6:7]
	s_xor_b64 s[6:7], exec, s[8:9]
	s_cbranch_execnz .LBB46_2541
; %bb.493:
	s_or_saveexec_b64 s[6:7], s[6:7]
	v_mov_b32_e32 v4, s10
	s_xor_b64 exec, exec, s[6:7]
	s_cbranch_execnz .LBB46_2544
.LBB46_494:
	s_or_b64 exec, exec, s[6:7]
	s_and_saveexec_b64 s[6:7], s[4:5]
	s_cbranch_execz .LBB46_496
.LBB46_495:
	v_bfe_u32 v4, v5, 8, 3
	v_ffbh_u32_e32 v7, v4
	v_min_u32_e32 v7, 32, v7
	v_lshrrev_b16_e32 v6, 3, v3
	v_subrev_u32_e32 v8, 28, v7
	v_and_b32_e32 v6, 15, v6
	v_lshlrev_b32_e32 v3, v8, v3
	v_sub_u32_e32 v7, 29, v7
	v_and_b32_e32 v3, 7, v3
	v_cmp_eq_u16_e32 vcc, 0, v6
	v_cndmask_b32_e32 v3, v4, v3, vcc
	v_cndmask_b32_e32 v4, v6, v7, vcc
	v_lshlrev_b32_e32 v6, 16, v5
	v_mov_b32_e32 v7, 0x3b800000
	v_lshlrev_b32_e32 v3, 20, v3
	v_and_b32_e32 v6, 0x80000000, v6
	v_lshl_add_u32 v4, v4, 23, v7
	v_or3_b32 v4, v6, v4, v3
.LBB46_496:
	s_or_b64 exec, exec, s[6:7]
	s_nop 0
	v_mfma_f32_16x16x4f32 a[0:3], v2, v4, a[0:3]
	s_movk_i32 s4, 0xff
	v_and_b32_sdwa v3, v9, s4 dst_sel:DWORD dst_unused:UNUSED_PAD src0_sel:WORD_1 src1_sel:DWORD
	s_movk_i32 s4, 0x7f
	v_cmp_lt_i16_e32 vcc, s4, v3
	s_mov_b64 s[4:5], 0
                                        ; implicit-def: $sgpr10
	s_and_saveexec_b64 s[6:7], vcc
	s_xor_b64 s[6:7], exec, s[6:7]
	s_cbranch_execnz .LBB46_2545
; %bb.497:
	s_or_saveexec_b64 s[6:7], s[6:7]
	v_mov_b32_e32 v2, s10
	s_xor_b64 exec, exec, s[6:7]
	s_cbranch_execnz .LBB46_2548
.LBB46_498:
	s_or_b64 exec, exec, s[6:7]
	s_and_saveexec_b64 s[6:7], s[4:5]
	s_cbranch_execz .LBB46_500
.LBB46_499:
	v_bfe_u32 v2, v9, 16, 3
	v_ffbh_u32_e32 v6, v2
	v_min_u32_e32 v6, 32, v6
	v_lshrrev_b32_e32 v3, 19, v9
	v_subrev_u32_e32 v7, 28, v6
	v_and_b32_e32 v3, 15, v3
	v_lshlrev_b32_sdwa v7, v7, v9 dst_sel:DWORD dst_unused:UNUSED_PAD src0_sel:DWORD src1_sel:WORD_1
	v_bfe_u32 v4, v9, 19, 4
	v_sub_u32_e32 v6, 29, v6
	v_and_b32_e32 v7, 7, v7
	v_cmp_eq_u16_e32 vcc, 0, v3
	v_cndmask_b32_e32 v2, v2, v7, vcc
	v_cndmask_b32_e32 v3, v4, v6, vcc
	v_lshlrev_b32_e32 v4, 8, v9
	v_mov_b32_e32 v6, 0x3b800000
	v_lshlrev_b32_e32 v2, 20, v2
	v_and_b32_e32 v4, 0x80000000, v4
	v_lshl_add_u32 v3, v3, 23, v6
	v_or3_b32 v2, v4, v3, v2
.LBB46_500:
	s_or_b64 exec, exec, s[6:7]
	s_movk_i32 s4, 0xff
	v_and_b32_sdwa v3, v5, s4 dst_sel:DWORD dst_unused:UNUSED_PAD src0_sel:WORD_1 src1_sel:DWORD
	s_movk_i32 s4, 0x7f
	v_cmp_lt_i16_e32 vcc, s4, v3
	s_mov_b64 s[4:5], 0
                                        ; implicit-def: $sgpr10
	s_and_saveexec_b64 s[6:7], vcc
	s_xor_b64 s[6:7], exec, s[6:7]
	s_cbranch_execnz .LBB46_2549
; %bb.501:
	s_or_saveexec_b64 s[6:7], s[6:7]
	v_mov_b32_e32 v4, s10
	s_xor_b64 exec, exec, s[6:7]
	s_cbranch_execnz .LBB46_2552
.LBB46_502:
	s_or_b64 exec, exec, s[6:7]
	s_and_saveexec_b64 s[6:7], s[4:5]
	s_cbranch_execz .LBB46_504
.LBB46_503:
	v_bfe_u32 v3, v5, 16, 3
	v_ffbh_u32_e32 v7, v3
	v_min_u32_e32 v7, 32, v7
	v_lshrrev_b32_e32 v4, 19, v5
	v_subrev_u32_e32 v8, 28, v7
	v_and_b32_e32 v4, 15, v4
	v_lshlrev_b32_sdwa v8, v8, v5 dst_sel:DWORD dst_unused:UNUSED_PAD src0_sel:DWORD src1_sel:WORD_1
	v_bfe_u32 v6, v5, 19, 4
	v_sub_u32_e32 v7, 29, v7
	v_and_b32_e32 v8, 7, v8
	v_cmp_eq_u16_e32 vcc, 0, v4
	v_cndmask_b32_e32 v3, v3, v8, vcc
	v_cndmask_b32_e32 v4, v6, v7, vcc
	v_lshlrev_b32_e32 v6, 8, v5
	v_mov_b32_e32 v7, 0x3b800000
	v_lshlrev_b32_e32 v3, 20, v3
	v_and_b32_e32 v6, 0x80000000, v6
	v_lshl_add_u32 v4, v4, 23, v7
	v_or3_b32 v4, v6, v4, v3
.LBB46_504:
	s_or_b64 exec, exec, s[6:7]
	s_nop 0
	v_mfma_f32_16x16x4f32 a[0:3], v2, v4, a[0:3]
	s_movk_i32 s4, 0x7f
	v_cmp_gt_i16_sdwa s[6:7], v9, s4 src0_sel:BYTE_3 src1_sel:DWORD
	s_mov_b64 s[4:5], 0
                                        ; implicit-def: $sgpr10
	s_and_saveexec_b64 s[8:9], s[6:7]
	s_xor_b64 s[6:7], exec, s[8:9]
	s_cbranch_execnz .LBB46_2553
; %bb.505:
	s_or_saveexec_b64 s[6:7], s[6:7]
	v_mov_b32_e32 v2, s10
	s_xor_b64 exec, exec, s[6:7]
	s_cbranch_execnz .LBB46_2556
.LBB46_506:
	s_or_b64 exec, exec, s[6:7]
	s_and_saveexec_b64 s[6:7], s[4:5]
	s_cbranch_execz .LBB46_508
.LBB46_507:
	v_bfe_u32 v2, v9, 24, 3
	v_ffbh_u32_e32 v7, v2
	v_min_u32_e32 v7, 32, v7
	v_lshrrev_b32_e32 v4, 27, v9
	v_subrev_u32_e32 v8, 28, v7
	v_and_b32_e32 v4, 15, v4
	v_lshlrev_b32_sdwa v8, v8, v9 dst_sel:DWORD dst_unused:UNUSED_PAD src0_sel:DWORD src1_sel:BYTE_3
	v_bfe_u32 v6, v9, 27, 4
	v_sub_u32_e32 v7, 29, v7
	v_and_b32_e32 v8, 7, v8
	v_cmp_eq_u16_e32 vcc, 0, v4
	v_cndmask_b32_e32 v2, v2, v8, vcc
	v_cndmask_b32_e32 v4, v6, v7, vcc
	v_mov_b32_e32 v6, 0x3b800000
	v_and_b32_e32 v3, 0x80000000, v9
	v_lshlrev_b32_e32 v2, 20, v2
	v_lshl_add_u32 v4, v4, 23, v6
	v_or3_b32 v2, v3, v4, v2
.LBB46_508:
	s_or_b64 exec, exec, s[6:7]
	s_movk_i32 s4, 0x7f
	v_cmp_gt_i16_sdwa s[6:7], v5, s4 src0_sel:BYTE_3 src1_sel:DWORD
	s_mov_b64 s[4:5], 0
                                        ; implicit-def: $sgpr10
	s_and_saveexec_b64 s[8:9], s[6:7]
	s_xor_b64 s[6:7], exec, s[8:9]
	s_cbranch_execnz .LBB46_2557
; %bb.509:
	s_or_saveexec_b64 s[6:7], s[6:7]
	v_mov_b32_e32 v3, s10
	s_xor_b64 exec, exec, s[6:7]
	s_cbranch_execnz .LBB46_2560
.LBB46_510:
	s_or_b64 exec, exec, s[6:7]
	s_and_saveexec_b64 s[6:7], s[4:5]
	s_cbranch_execz .LBB46_512
.LBB46_511:
	v_bfe_u32 v3, v5, 24, 3
	v_ffbh_u32_e32 v8, v3
	v_min_u32_e32 v8, 32, v8
	v_lshrrev_b32_e32 v6, 27, v5
	v_subrev_u32_e32 v9, 28, v8
	v_and_b32_e32 v4, 0x80000000, v5
	v_and_b32_e32 v6, 15, v6
	v_bfe_u32 v7, v5, 27, 4
	v_lshlrev_b32_sdwa v5, v9, v5 dst_sel:DWORD dst_unused:UNUSED_PAD src0_sel:DWORD src1_sel:BYTE_3
	v_sub_u32_e32 v8, 29, v8
	v_and_b32_e32 v5, 7, v5
	v_cmp_eq_u16_e32 vcc, 0, v6
	v_cndmask_b32_e32 v3, v3, v5, vcc
	v_cndmask_b32_e32 v5, v7, v8, vcc
	v_mov_b32_e32 v6, 0x3b800000
	v_lshlrev_b32_e32 v3, 20, v3
	v_lshl_add_u32 v5, v5, 23, v6
	v_or3_b32 v3, v4, v5, v3
.LBB46_512:
	s_or_b64 exec, exec, s[6:7]
	s_nop 0
	v_mfma_f32_16x16x4f32 a[0:3], v2, v3, a[0:3]
	s_movk_i32 s4, 0x7f
                                        ; implicit-def: $sgpr10
	s_nop 7
	s_nop 1
	flat_store_dwordx4 v[18:19], a[0:3] offset:272
	flat_load_dwordx4 v[20:23], v[0:1] offset:8
	s_nop 0
	flat_load_dwordx2 v[18:19], v[0:1] offset:24
	s_waitcnt vmcnt(0) lgkmcnt(0)
	flat_load_dwordx4 v[14:17], v[20:21]
	flat_load_dwordx4 v[6:9], v[20:21] offset:16
	flat_load_dwordx4 v[10:13], v[22:23] offset:64
	;; [unrolled: 1-line block ×3, first 2 shown]
	s_waitcnt vmcnt(0) lgkmcnt(0)
	v_cmp_gt_i16_sdwa s[6:7], v14, s4 src0_sel:BYTE_0 src1_sel:DWORD
	s_mov_b64 s[4:5], 0
	s_and_saveexec_b64 s[8:9], s[6:7]
	s_xor_b64 s[6:7], exec, s[8:9]
	s_cbranch_execnz .LBB46_2561
; %bb.513:
	s_or_saveexec_b64 s[6:7], s[6:7]
	v_mov_b32_e32 v20, s10
	s_xor_b64 exec, exec, s[6:7]
	s_cbranch_execnz .LBB46_2564
.LBB46_514:
	s_or_b64 exec, exec, s[6:7]
	s_and_saveexec_b64 s[6:7], s[4:5]
	s_cbranch_execz .LBB46_516
.LBB46_515:
	v_and_b32_e32 v20, 7, v14
	v_ffbh_u32_e32 v22, v20
	v_min_u32_e32 v22, 32, v22
	v_lshrrev_b16_e32 v21, 3, v14
	v_subrev_u32_e32 v23, 28, v22
	v_and_b32_e32 v21, 15, v21
	v_lshlrev_b32_e32 v23, v23, v14
	v_sub_u32_e32 v22, 29, v22
	v_and_b32_e32 v23, 7, v23
	v_cmp_eq_u16_e32 vcc, 0, v21
	v_cndmask_b32_e32 v20, v20, v23, vcc
	v_cndmask_b32_e32 v21, v21, v22, vcc
	v_lshlrev_b32_e32 v22, 24, v14
	v_mov_b32_e32 v23, 0x3b800000
	v_lshlrev_b32_e32 v20, 20, v20
	v_and_b32_e32 v22, 0x80000000, v22
	v_lshl_add_u32 v21, v21, 23, v23
	v_or3_b32 v20, v22, v21, v20
.LBB46_516:
	s_or_b64 exec, exec, s[6:7]
	s_movk_i32 s4, 0x7f
	v_cmp_gt_i16_sdwa s[6:7], v10, s4 src0_sel:BYTE_0 src1_sel:DWORD
	s_mov_b64 s[4:5], 0
                                        ; implicit-def: $sgpr10
	s_and_saveexec_b64 s[8:9], s[6:7]
	s_xor_b64 s[6:7], exec, s[8:9]
	s_cbranch_execnz .LBB46_2565
; %bb.517:
	s_or_saveexec_b64 s[6:7], s[6:7]
	v_mov_b32_e32 v21, s10
	s_xor_b64 exec, exec, s[6:7]
	s_cbranch_execnz .LBB46_2568
.LBB46_518:
	s_or_b64 exec, exec, s[6:7]
	s_and_saveexec_b64 s[6:7], s[4:5]
	s_cbranch_execz .LBB46_520
.LBB46_519:
	v_and_b32_e32 v21, 7, v10
	v_ffbh_u32_e32 v23, v21
	v_min_u32_e32 v23, 32, v23
	v_lshrrev_b16_e32 v22, 3, v10
	v_subrev_u32_e32 v24, 28, v23
	v_and_b32_e32 v22, 15, v22
	v_lshlrev_b32_e32 v24, v24, v10
	v_sub_u32_e32 v23, 29, v23
	v_and_b32_e32 v24, 7, v24
	v_cmp_eq_u16_e32 vcc, 0, v22
	v_cndmask_b32_e32 v21, v21, v24, vcc
	v_cndmask_b32_e32 v22, v22, v23, vcc
	v_lshlrev_b32_e32 v23, 24, v10
	v_mov_b32_e32 v24, 0x3b800000
	v_lshlrev_b32_e32 v21, 20, v21
	v_and_b32_e32 v23, 0x80000000, v23
	v_lshl_add_u32 v22, v22, 23, v24
	v_or3_b32 v21, v23, v22, v21
.LBB46_520:
	s_or_b64 exec, exec, s[6:7]
	flat_load_dwordx4 a[0:3], v[18:19] offset:288
	s_movk_i32 s4, 0x7f
                                        ; implicit-def: $sgpr10
	s_waitcnt vmcnt(0) lgkmcnt(0)
	v_mfma_f32_16x16x4f32 a[0:3], v20, v21, a[0:3]
	v_lshrrev_b32_e32 v21, 8, v14
	v_cmp_gt_i16_sdwa s[6:7], v21, s4 src0_sel:BYTE_0 src1_sel:DWORD
	s_mov_b64 s[4:5], 0
	s_and_saveexec_b64 s[8:9], s[6:7]
	s_xor_b64 s[6:7], exec, s[8:9]
	s_cbranch_execnz .LBB46_2569
; %bb.521:
	s_or_saveexec_b64 s[6:7], s[6:7]
	v_mov_b32_e32 v20, s10
	s_xor_b64 exec, exec, s[6:7]
	s_cbranch_execnz .LBB46_2572
.LBB46_522:
	s_or_b64 exec, exec, s[6:7]
	s_and_saveexec_b64 s[6:7], s[4:5]
	s_cbranch_execz .LBB46_524
.LBB46_523:
	v_bfe_u32 v20, v14, 8, 3
	v_ffbh_u32_e32 v23, v20
	v_min_u32_e32 v23, 32, v23
	v_lshrrev_b16_e32 v22, 3, v21
	v_subrev_u32_e32 v24, 28, v23
	v_and_b32_e32 v22, 15, v22
	v_lshlrev_b32_e32 v21, v24, v21
	v_sub_u32_e32 v23, 29, v23
	v_and_b32_e32 v21, 7, v21
	v_cmp_eq_u16_e32 vcc, 0, v22
	v_cndmask_b32_e32 v20, v20, v21, vcc
	v_cndmask_b32_e32 v21, v22, v23, vcc
	v_lshlrev_b32_e32 v22, 16, v14
	v_mov_b32_e32 v23, 0x3b800000
	v_lshlrev_b32_e32 v20, 20, v20
	v_and_b32_e32 v22, 0x80000000, v22
	v_lshl_add_u32 v21, v21, 23, v23
	v_or3_b32 v20, v22, v21, v20
.LBB46_524:
	s_or_b64 exec, exec, s[6:7]
	v_lshrrev_b32_e32 v21, 8, v10
	s_movk_i32 s4, 0x7f
	v_cmp_gt_i16_sdwa s[6:7], v21, s4 src0_sel:BYTE_0 src1_sel:DWORD
	s_mov_b64 s[4:5], 0
                                        ; implicit-def: $sgpr10
	s_and_saveexec_b64 s[8:9], s[6:7]
	s_xor_b64 s[6:7], exec, s[8:9]
	s_cbranch_execnz .LBB46_2573
; %bb.525:
	s_or_saveexec_b64 s[6:7], s[6:7]
	v_mov_b32_e32 v22, s10
	s_xor_b64 exec, exec, s[6:7]
	s_cbranch_execnz .LBB46_2576
.LBB46_526:
	s_or_b64 exec, exec, s[6:7]
	s_and_saveexec_b64 s[6:7], s[4:5]
	s_cbranch_execz .LBB46_528
.LBB46_527:
	v_bfe_u32 v22, v10, 8, 3
	v_ffbh_u32_e32 v24, v22
	v_min_u32_e32 v24, 32, v24
	v_lshrrev_b16_e32 v23, 3, v21
	v_subrev_u32_e32 v25, 28, v24
	v_and_b32_e32 v23, 15, v23
	v_lshlrev_b32_e32 v21, v25, v21
	v_sub_u32_e32 v24, 29, v24
	v_and_b32_e32 v21, 7, v21
	v_cmp_eq_u16_e32 vcc, 0, v23
	v_cndmask_b32_e32 v21, v22, v21, vcc
	v_cndmask_b32_e32 v22, v23, v24, vcc
	v_lshlrev_b32_e32 v23, 16, v10
	v_mov_b32_e32 v24, 0x3b800000
	v_lshlrev_b32_e32 v21, 20, v21
	v_and_b32_e32 v23, 0x80000000, v23
	v_lshl_add_u32 v22, v22, 23, v24
	v_or3_b32 v22, v23, v22, v21
.LBB46_528:
	s_or_b64 exec, exec, s[6:7]
	s_nop 0
	v_mfma_f32_16x16x4f32 a[0:3], v20, v22, a[0:3]
	s_movk_i32 s4, 0xff
	v_and_b32_sdwa v21, v14, s4 dst_sel:DWORD dst_unused:UNUSED_PAD src0_sel:WORD_1 src1_sel:DWORD
	s_movk_i32 s4, 0x7f
	v_cmp_lt_i16_e32 vcc, s4, v21
	s_mov_b64 s[4:5], 0
                                        ; implicit-def: $sgpr10
	s_and_saveexec_b64 s[6:7], vcc
	s_xor_b64 s[6:7], exec, s[6:7]
	s_cbranch_execnz .LBB46_2577
; %bb.529:
	s_or_saveexec_b64 s[6:7], s[6:7]
	v_mov_b32_e32 v20, s10
	s_xor_b64 exec, exec, s[6:7]
	s_cbranch_execnz .LBB46_2580
.LBB46_530:
	s_or_b64 exec, exec, s[6:7]
	s_and_saveexec_b64 s[6:7], s[4:5]
	s_cbranch_execz .LBB46_532
.LBB46_531:
	v_bfe_u32 v20, v14, 16, 3
	v_ffbh_u32_e32 v23, v20
	v_min_u32_e32 v23, 32, v23
	v_lshrrev_b32_e32 v21, 19, v14
	v_subrev_u32_e32 v24, 28, v23
	v_and_b32_e32 v21, 15, v21
	v_lshlrev_b32_sdwa v24, v24, v14 dst_sel:DWORD dst_unused:UNUSED_PAD src0_sel:DWORD src1_sel:WORD_1
	v_bfe_u32 v22, v14, 19, 4
	v_sub_u32_e32 v23, 29, v23
	v_and_b32_e32 v24, 7, v24
	v_cmp_eq_u16_e32 vcc, 0, v21
	v_cndmask_b32_e32 v20, v20, v24, vcc
	v_cndmask_b32_e32 v21, v22, v23, vcc
	v_lshlrev_b32_e32 v22, 8, v14
	v_mov_b32_e32 v23, 0x3b800000
	v_lshlrev_b32_e32 v20, 20, v20
	v_and_b32_e32 v22, 0x80000000, v22
	v_lshl_add_u32 v21, v21, 23, v23
	v_or3_b32 v20, v22, v21, v20
.LBB46_532:
	s_or_b64 exec, exec, s[6:7]
	s_movk_i32 s4, 0xff
	v_and_b32_sdwa v21, v10, s4 dst_sel:DWORD dst_unused:UNUSED_PAD src0_sel:WORD_1 src1_sel:DWORD
	s_movk_i32 s4, 0x7f
	v_cmp_lt_i16_e32 vcc, s4, v21
	s_mov_b64 s[4:5], 0
                                        ; implicit-def: $sgpr10
	s_and_saveexec_b64 s[6:7], vcc
	s_xor_b64 s[6:7], exec, s[6:7]
	s_cbranch_execnz .LBB46_2581
; %bb.533:
	s_or_saveexec_b64 s[6:7], s[6:7]
	v_mov_b32_e32 v22, s10
	s_xor_b64 exec, exec, s[6:7]
	s_cbranch_execnz .LBB46_2584
.LBB46_534:
	s_or_b64 exec, exec, s[6:7]
	s_and_saveexec_b64 s[6:7], s[4:5]
	s_cbranch_execz .LBB46_536
.LBB46_535:
	v_bfe_u32 v21, v10, 16, 3
	v_ffbh_u32_e32 v24, v21
	v_min_u32_e32 v24, 32, v24
	v_lshrrev_b32_e32 v22, 19, v10
	v_subrev_u32_e32 v25, 28, v24
	v_and_b32_e32 v22, 15, v22
	v_lshlrev_b32_sdwa v25, v25, v10 dst_sel:DWORD dst_unused:UNUSED_PAD src0_sel:DWORD src1_sel:WORD_1
	v_bfe_u32 v23, v10, 19, 4
	v_sub_u32_e32 v24, 29, v24
	v_and_b32_e32 v25, 7, v25
	v_cmp_eq_u16_e32 vcc, 0, v22
	v_cndmask_b32_e32 v21, v21, v25, vcc
	v_cndmask_b32_e32 v22, v23, v24, vcc
	v_lshlrev_b32_e32 v23, 8, v10
	v_mov_b32_e32 v24, 0x3b800000
	v_lshlrev_b32_e32 v21, 20, v21
	v_and_b32_e32 v23, 0x80000000, v23
	v_lshl_add_u32 v22, v22, 23, v24
	v_or3_b32 v22, v23, v22, v21
.LBB46_536:
	s_or_b64 exec, exec, s[6:7]
	s_nop 0
	v_mfma_f32_16x16x4f32 a[0:3], v20, v22, a[0:3]
	s_movk_i32 s4, 0x7f
	v_cmp_gt_i16_sdwa s[6:7], v14, s4 src0_sel:BYTE_3 src1_sel:DWORD
	s_mov_b64 s[4:5], 0
                                        ; implicit-def: $sgpr10
	s_and_saveexec_b64 s[8:9], s[6:7]
	s_xor_b64 s[6:7], exec, s[8:9]
	s_cbranch_execnz .LBB46_2585
; %bb.537:
	s_or_saveexec_b64 s[6:7], s[6:7]
	v_mov_b32_e32 v20, s10
	s_xor_b64 exec, exec, s[6:7]
	s_cbranch_execnz .LBB46_2588
.LBB46_538:
	s_or_b64 exec, exec, s[6:7]
	s_and_saveexec_b64 s[6:7], s[4:5]
	s_cbranch_execz .LBB46_540
.LBB46_539:
	v_bfe_u32 v20, v14, 24, 3
	v_ffbh_u32_e32 v24, v20
	v_min_u32_e32 v24, 32, v24
	v_lshrrev_b32_e32 v22, 27, v14
	v_subrev_u32_e32 v25, 28, v24
	v_and_b32_e32 v21, 0x80000000, v14
	v_and_b32_e32 v22, 15, v22
	v_bfe_u32 v23, v14, 27, 4
	v_lshlrev_b32_sdwa v14, v25, v14 dst_sel:DWORD dst_unused:UNUSED_PAD src0_sel:DWORD src1_sel:BYTE_3
	v_sub_u32_e32 v24, 29, v24
	v_and_b32_e32 v14, 7, v14
	v_cmp_eq_u16_e32 vcc, 0, v22
	v_cndmask_b32_e32 v14, v20, v14, vcc
	v_cndmask_b32_e32 v20, v23, v24, vcc
	v_mov_b32_e32 v22, 0x3b800000
	v_lshlrev_b32_e32 v14, 20, v14
	v_lshl_add_u32 v20, v20, 23, v22
	v_or3_b32 v20, v21, v20, v14
.LBB46_540:
	s_or_b64 exec, exec, s[6:7]
	s_movk_i32 s4, 0x7f
	v_cmp_gt_i16_sdwa s[6:7], v10, s4 src0_sel:BYTE_3 src1_sel:DWORD
	s_mov_b64 s[4:5], 0
                                        ; implicit-def: $sgpr10
	s_and_saveexec_b64 s[8:9], s[6:7]
	s_xor_b64 s[6:7], exec, s[8:9]
	s_cbranch_execnz .LBB46_2589
; %bb.541:
	s_or_saveexec_b64 s[6:7], s[6:7]
	v_mov_b32_e32 v14, s10
	s_xor_b64 exec, exec, s[6:7]
	s_cbranch_execnz .LBB46_2592
.LBB46_542:
	s_or_b64 exec, exec, s[6:7]
	s_and_saveexec_b64 s[6:7], s[4:5]
	s_cbranch_execz .LBB46_544
.LBB46_543:
	v_bfe_u32 v14, v10, 24, 3
	v_ffbh_u32_e32 v24, v14
	v_min_u32_e32 v24, 32, v24
	v_lshrrev_b32_e32 v22, 27, v10
	v_subrev_u32_e32 v25, 28, v24
	v_and_b32_e32 v21, 0x80000000, v10
	v_and_b32_e32 v22, 15, v22
	v_bfe_u32 v23, v10, 27, 4
	v_lshlrev_b32_sdwa v10, v25, v10 dst_sel:DWORD dst_unused:UNUSED_PAD src0_sel:DWORD src1_sel:BYTE_3
	v_sub_u32_e32 v24, 29, v24
	v_and_b32_e32 v10, 7, v10
	v_cmp_eq_u16_e32 vcc, 0, v22
	v_cndmask_b32_e32 v10, v14, v10, vcc
	v_cndmask_b32_e32 v14, v23, v24, vcc
	v_mov_b32_e32 v22, 0x3b800000
	v_lshlrev_b32_e32 v10, 20, v10
	v_lshl_add_u32 v14, v14, 23, v22
	v_or3_b32 v14, v21, v14, v10
.LBB46_544:
	s_or_b64 exec, exec, s[6:7]
	s_nop 0
	v_mfma_f32_16x16x4f32 a[0:3], v20, v14, a[0:3]
	s_movk_i32 s4, 0x7f
	v_cmp_gt_i16_sdwa s[6:7], v15, s4 src0_sel:BYTE_0 src1_sel:DWORD
	s_mov_b64 s[4:5], 0
                                        ; implicit-def: $sgpr10
	s_and_saveexec_b64 s[8:9], s[6:7]
	s_xor_b64 s[6:7], exec, s[8:9]
	s_cbranch_execnz .LBB46_2593
; %bb.545:
	s_or_saveexec_b64 s[6:7], s[6:7]
	v_mov_b32_e32 v10, s10
	s_xor_b64 exec, exec, s[6:7]
	s_cbranch_execnz .LBB46_2596
.LBB46_546:
	s_or_b64 exec, exec, s[6:7]
	s_and_saveexec_b64 s[6:7], s[4:5]
	s_cbranch_execz .LBB46_548
.LBB46_547:
	v_and_b32_e32 v10, 7, v15
	v_ffbh_u32_e32 v20, v10
	v_min_u32_e32 v20, 32, v20
	v_lshrrev_b16_e32 v14, 3, v15
	v_subrev_u32_e32 v21, 28, v20
	v_and_b32_e32 v14, 15, v14
	v_lshlrev_b32_e32 v21, v21, v15
	v_sub_u32_e32 v20, 29, v20
	v_and_b32_e32 v21, 7, v21
	v_cmp_eq_u16_e32 vcc, 0, v14
	v_cndmask_b32_e32 v10, v10, v21, vcc
	v_cndmask_b32_e32 v14, v14, v20, vcc
	v_lshlrev_b32_e32 v20, 24, v15
	v_mov_b32_e32 v21, 0x3b800000
	v_lshlrev_b32_e32 v10, 20, v10
	v_and_b32_e32 v20, 0x80000000, v20
	v_lshl_add_u32 v14, v14, 23, v21
	v_or3_b32 v10, v20, v14, v10
.LBB46_548:
	s_or_b64 exec, exec, s[6:7]
	s_movk_i32 s4, 0x7f
	v_cmp_gt_i16_sdwa s[6:7], v11, s4 src0_sel:BYTE_0 src1_sel:DWORD
	s_mov_b64 s[4:5], 0
                                        ; implicit-def: $sgpr10
	s_and_saveexec_b64 s[8:9], s[6:7]
	s_xor_b64 s[6:7], exec, s[8:9]
	s_cbranch_execnz .LBB46_2597
; %bb.549:
	s_or_saveexec_b64 s[6:7], s[6:7]
	v_mov_b32_e32 v14, s10
	s_xor_b64 exec, exec, s[6:7]
	s_cbranch_execnz .LBB46_2600
.LBB46_550:
	s_or_b64 exec, exec, s[6:7]
	s_and_saveexec_b64 s[6:7], s[4:5]
	s_cbranch_execz .LBB46_552
.LBB46_551:
	v_and_b32_e32 v14, 7, v11
	v_ffbh_u32_e32 v21, v14
	v_min_u32_e32 v21, 32, v21
	v_lshrrev_b16_e32 v20, 3, v11
	v_subrev_u32_e32 v22, 28, v21
	v_and_b32_e32 v20, 15, v20
	v_lshlrev_b32_e32 v22, v22, v11
	v_sub_u32_e32 v21, 29, v21
	v_and_b32_e32 v22, 7, v22
	v_cmp_eq_u16_e32 vcc, 0, v20
	v_cndmask_b32_e32 v14, v14, v22, vcc
	v_cndmask_b32_e32 v20, v20, v21, vcc
	v_lshlrev_b32_e32 v21, 24, v11
	v_mov_b32_e32 v22, 0x3b800000
	v_lshlrev_b32_e32 v14, 20, v14
	v_and_b32_e32 v21, 0x80000000, v21
	v_lshl_add_u32 v20, v20, 23, v22
	v_or3_b32 v14, v21, v20, v14
.LBB46_552:
	s_or_b64 exec, exec, s[6:7]
	s_nop 0
	v_mfma_f32_16x16x4f32 a[0:3], v10, v14, a[0:3]
	v_lshrrev_b32_e32 v14, 8, v15
	s_movk_i32 s4, 0x7f
	v_cmp_gt_i16_sdwa s[6:7], v14, s4 src0_sel:BYTE_0 src1_sel:DWORD
	s_mov_b64 s[4:5], 0
                                        ; implicit-def: $sgpr10
	s_and_saveexec_b64 s[8:9], s[6:7]
	s_xor_b64 s[6:7], exec, s[8:9]
	s_cbranch_execnz .LBB46_2601
; %bb.553:
	s_or_saveexec_b64 s[6:7], s[6:7]
	v_mov_b32_e32 v10, s10
	s_xor_b64 exec, exec, s[6:7]
	s_cbranch_execnz .LBB46_2604
.LBB46_554:
	s_or_b64 exec, exec, s[6:7]
	s_and_saveexec_b64 s[6:7], s[4:5]
	s_cbranch_execz .LBB46_556
.LBB46_555:
	v_bfe_u32 v10, v15, 8, 3
	v_ffbh_u32_e32 v21, v10
	v_min_u32_e32 v21, 32, v21
	v_lshrrev_b16_e32 v20, 3, v14
	v_subrev_u32_e32 v22, 28, v21
	v_and_b32_e32 v20, 15, v20
	v_lshlrev_b32_e32 v14, v22, v14
	v_sub_u32_e32 v21, 29, v21
	v_and_b32_e32 v14, 7, v14
	v_cmp_eq_u16_e32 vcc, 0, v20
	v_cndmask_b32_e32 v10, v10, v14, vcc
	v_cndmask_b32_e32 v14, v20, v21, vcc
	v_lshlrev_b32_e32 v20, 16, v15
	v_mov_b32_e32 v21, 0x3b800000
	v_lshlrev_b32_e32 v10, 20, v10
	v_and_b32_e32 v20, 0x80000000, v20
	v_lshl_add_u32 v14, v14, 23, v21
	v_or3_b32 v10, v20, v14, v10
.LBB46_556:
	s_or_b64 exec, exec, s[6:7]
	v_lshrrev_b32_e32 v14, 8, v11
	s_movk_i32 s4, 0x7f
	v_cmp_gt_i16_sdwa s[6:7], v14, s4 src0_sel:BYTE_0 src1_sel:DWORD
	s_mov_b64 s[4:5], 0
                                        ; implicit-def: $sgpr10
	s_and_saveexec_b64 s[8:9], s[6:7]
	s_xor_b64 s[6:7], exec, s[8:9]
	s_cbranch_execnz .LBB46_2605
; %bb.557:
	s_or_saveexec_b64 s[6:7], s[6:7]
	v_mov_b32_e32 v20, s10
	s_xor_b64 exec, exec, s[6:7]
	s_cbranch_execnz .LBB46_2608
.LBB46_558:
	s_or_b64 exec, exec, s[6:7]
	s_and_saveexec_b64 s[6:7], s[4:5]
	s_cbranch_execz .LBB46_560
.LBB46_559:
	v_bfe_u32 v20, v11, 8, 3
	v_ffbh_u32_e32 v22, v20
	v_min_u32_e32 v22, 32, v22
	v_lshrrev_b16_e32 v21, 3, v14
	v_subrev_u32_e32 v23, 28, v22
	v_and_b32_e32 v21, 15, v21
	v_lshlrev_b32_e32 v14, v23, v14
	v_sub_u32_e32 v22, 29, v22
	v_and_b32_e32 v14, 7, v14
	v_cmp_eq_u16_e32 vcc, 0, v21
	v_cndmask_b32_e32 v14, v20, v14, vcc
	v_cndmask_b32_e32 v20, v21, v22, vcc
	v_lshlrev_b32_e32 v21, 16, v11
	v_mov_b32_e32 v22, 0x3b800000
	v_lshlrev_b32_e32 v14, 20, v14
	v_and_b32_e32 v21, 0x80000000, v21
	v_lshl_add_u32 v20, v20, 23, v22
	v_or3_b32 v20, v21, v20, v14
.LBB46_560:
	s_or_b64 exec, exec, s[6:7]
	s_nop 0
	v_mfma_f32_16x16x4f32 a[0:3], v10, v20, a[0:3]
	s_movk_i32 s4, 0xff
	v_and_b32_sdwa v14, v15, s4 dst_sel:DWORD dst_unused:UNUSED_PAD src0_sel:WORD_1 src1_sel:DWORD
	s_movk_i32 s4, 0x7f
	v_cmp_lt_i16_e32 vcc, s4, v14
	s_mov_b64 s[4:5], 0
                                        ; implicit-def: $sgpr10
	s_and_saveexec_b64 s[6:7], vcc
	s_xor_b64 s[6:7], exec, s[6:7]
	s_cbranch_execnz .LBB46_2609
; %bb.561:
	s_or_saveexec_b64 s[6:7], s[6:7]
	v_mov_b32_e32 v10, s10
	s_xor_b64 exec, exec, s[6:7]
	s_cbranch_execnz .LBB46_2612
.LBB46_562:
	s_or_b64 exec, exec, s[6:7]
	s_and_saveexec_b64 s[6:7], s[4:5]
	s_cbranch_execz .LBB46_564
.LBB46_563:
	v_bfe_u32 v10, v15, 16, 3
	v_ffbh_u32_e32 v21, v10
	v_min_u32_e32 v21, 32, v21
	v_lshrrev_b32_e32 v14, 19, v15
	v_subrev_u32_e32 v22, 28, v21
	v_and_b32_e32 v14, 15, v14
	v_lshlrev_b32_sdwa v22, v22, v15 dst_sel:DWORD dst_unused:UNUSED_PAD src0_sel:DWORD src1_sel:WORD_1
	v_bfe_u32 v20, v15, 19, 4
	v_sub_u32_e32 v21, 29, v21
	v_and_b32_e32 v22, 7, v22
	v_cmp_eq_u16_e32 vcc, 0, v14
	v_cndmask_b32_e32 v10, v10, v22, vcc
	v_cndmask_b32_e32 v14, v20, v21, vcc
	v_lshlrev_b32_e32 v20, 8, v15
	v_mov_b32_e32 v21, 0x3b800000
	v_lshlrev_b32_e32 v10, 20, v10
	v_and_b32_e32 v20, 0x80000000, v20
	v_lshl_add_u32 v14, v14, 23, v21
	v_or3_b32 v10, v20, v14, v10
.LBB46_564:
	s_or_b64 exec, exec, s[6:7]
	s_movk_i32 s4, 0xff
	v_and_b32_sdwa v14, v11, s4 dst_sel:DWORD dst_unused:UNUSED_PAD src0_sel:WORD_1 src1_sel:DWORD
	s_movk_i32 s4, 0x7f
	v_cmp_lt_i16_e32 vcc, s4, v14
	s_mov_b64 s[4:5], 0
                                        ; implicit-def: $sgpr10
	s_and_saveexec_b64 s[6:7], vcc
	s_xor_b64 s[6:7], exec, s[6:7]
	s_cbranch_execnz .LBB46_2613
; %bb.565:
	s_or_saveexec_b64 s[6:7], s[6:7]
	v_mov_b32_e32 v20, s10
	s_xor_b64 exec, exec, s[6:7]
	s_cbranch_execnz .LBB46_2616
.LBB46_566:
	s_or_b64 exec, exec, s[6:7]
	s_and_saveexec_b64 s[6:7], s[4:5]
	s_cbranch_execz .LBB46_568
.LBB46_567:
	v_bfe_u32 v14, v11, 16, 3
	v_ffbh_u32_e32 v22, v14
	v_min_u32_e32 v22, 32, v22
	v_lshrrev_b32_e32 v20, 19, v11
	v_subrev_u32_e32 v23, 28, v22
	v_and_b32_e32 v20, 15, v20
	v_lshlrev_b32_sdwa v23, v23, v11 dst_sel:DWORD dst_unused:UNUSED_PAD src0_sel:DWORD src1_sel:WORD_1
	v_bfe_u32 v21, v11, 19, 4
	v_sub_u32_e32 v22, 29, v22
	v_and_b32_e32 v23, 7, v23
	v_cmp_eq_u16_e32 vcc, 0, v20
	v_cndmask_b32_e32 v14, v14, v23, vcc
	v_cndmask_b32_e32 v20, v21, v22, vcc
	v_lshlrev_b32_e32 v21, 8, v11
	v_mov_b32_e32 v22, 0x3b800000
	v_lshlrev_b32_e32 v14, 20, v14
	v_and_b32_e32 v21, 0x80000000, v21
	v_lshl_add_u32 v20, v20, 23, v22
	v_or3_b32 v20, v21, v20, v14
.LBB46_568:
	s_or_b64 exec, exec, s[6:7]
	s_nop 0
	v_mfma_f32_16x16x4f32 a[0:3], v10, v20, a[0:3]
	s_movk_i32 s4, 0x7f
	v_cmp_gt_i16_sdwa s[6:7], v15, s4 src0_sel:BYTE_3 src1_sel:DWORD
	s_mov_b64 s[4:5], 0
                                        ; implicit-def: $sgpr10
	s_and_saveexec_b64 s[8:9], s[6:7]
	s_xor_b64 s[6:7], exec, s[8:9]
	s_cbranch_execnz .LBB46_2617
; %bb.569:
	s_or_saveexec_b64 s[6:7], s[6:7]
	v_mov_b32_e32 v10, s10
	s_xor_b64 exec, exec, s[6:7]
	s_cbranch_execnz .LBB46_2620
.LBB46_570:
	s_or_b64 exec, exec, s[6:7]
	s_and_saveexec_b64 s[6:7], s[4:5]
	s_cbranch_execz .LBB46_572
.LBB46_571:
	v_bfe_u32 v10, v15, 24, 3
	v_ffbh_u32_e32 v22, v10
	v_min_u32_e32 v22, 32, v22
	v_lshrrev_b32_e32 v20, 27, v15
	v_subrev_u32_e32 v23, 28, v22
	v_and_b32_e32 v14, 0x80000000, v15
	v_and_b32_e32 v20, 15, v20
	v_bfe_u32 v21, v15, 27, 4
	v_lshlrev_b32_sdwa v15, v23, v15 dst_sel:DWORD dst_unused:UNUSED_PAD src0_sel:DWORD src1_sel:BYTE_3
	v_sub_u32_e32 v22, 29, v22
	v_and_b32_e32 v15, 7, v15
	v_cmp_eq_u16_e32 vcc, 0, v20
	v_cndmask_b32_e32 v10, v10, v15, vcc
	v_cndmask_b32_e32 v15, v21, v22, vcc
	v_mov_b32_e32 v20, 0x3b800000
	v_lshlrev_b32_e32 v10, 20, v10
	v_lshl_add_u32 v15, v15, 23, v20
	v_or3_b32 v10, v14, v15, v10
.LBB46_572:
	s_or_b64 exec, exec, s[6:7]
	s_movk_i32 s4, 0x7f
	v_cmp_gt_i16_sdwa s[6:7], v11, s4 src0_sel:BYTE_3 src1_sel:DWORD
	s_mov_b64 s[4:5], 0
                                        ; implicit-def: $sgpr10
	s_and_saveexec_b64 s[8:9], s[6:7]
	s_xor_b64 s[6:7], exec, s[8:9]
	s_cbranch_execnz .LBB46_2621
; %bb.573:
	s_or_saveexec_b64 s[6:7], s[6:7]
	v_mov_b32_e32 v14, s10
	s_xor_b64 exec, exec, s[6:7]
	s_cbranch_execnz .LBB46_2624
.LBB46_574:
	s_or_b64 exec, exec, s[6:7]
	s_and_saveexec_b64 s[6:7], s[4:5]
	s_cbranch_execz .LBB46_576
.LBB46_575:
	v_bfe_u32 v14, v11, 24, 3
	v_ffbh_u32_e32 v22, v14
	v_min_u32_e32 v22, 32, v22
	v_lshrrev_b32_e32 v20, 27, v11
	v_subrev_u32_e32 v23, 28, v22
	v_and_b32_e32 v15, 0x80000000, v11
	v_and_b32_e32 v20, 15, v20
	v_bfe_u32 v21, v11, 27, 4
	v_lshlrev_b32_sdwa v11, v23, v11 dst_sel:DWORD dst_unused:UNUSED_PAD src0_sel:DWORD src1_sel:BYTE_3
	v_sub_u32_e32 v22, 29, v22
	v_and_b32_e32 v11, 7, v11
	v_cmp_eq_u16_e32 vcc, 0, v20
	v_cndmask_b32_e32 v11, v14, v11, vcc
	v_cndmask_b32_e32 v14, v21, v22, vcc
	v_mov_b32_e32 v20, 0x3b800000
	v_lshlrev_b32_e32 v11, 20, v11
	v_lshl_add_u32 v14, v14, 23, v20
	v_or3_b32 v14, v15, v14, v11
.LBB46_576:
	s_or_b64 exec, exec, s[6:7]
	s_nop 0
	v_mfma_f32_16x16x4f32 a[0:3], v10, v14, a[0:3]
	s_movk_i32 s4, 0x7f
	v_cmp_gt_i16_sdwa s[6:7], v16, s4 src0_sel:BYTE_0 src1_sel:DWORD
	s_mov_b64 s[4:5], 0
                                        ; implicit-def: $sgpr10
	s_and_saveexec_b64 s[8:9], s[6:7]
	s_xor_b64 s[6:7], exec, s[8:9]
	s_cbranch_execnz .LBB46_2625
; %bb.577:
	s_or_saveexec_b64 s[6:7], s[6:7]
	v_mov_b32_e32 v10, s10
	s_xor_b64 exec, exec, s[6:7]
	s_cbranch_execnz .LBB46_2628
.LBB46_578:
	s_or_b64 exec, exec, s[6:7]
	s_and_saveexec_b64 s[6:7], s[4:5]
	s_cbranch_execz .LBB46_580
.LBB46_579:
	v_and_b32_e32 v10, 7, v16
	v_ffbh_u32_e32 v14, v10
	v_min_u32_e32 v14, 32, v14
	v_lshrrev_b16_e32 v11, 3, v16
	v_subrev_u32_e32 v15, 28, v14
	v_and_b32_e32 v11, 15, v11
	v_lshlrev_b32_e32 v15, v15, v16
	v_sub_u32_e32 v14, 29, v14
	v_and_b32_e32 v15, 7, v15
	v_cmp_eq_u16_e32 vcc, 0, v11
	v_cndmask_b32_e32 v10, v10, v15, vcc
	v_cndmask_b32_e32 v11, v11, v14, vcc
	v_lshlrev_b32_e32 v14, 24, v16
	v_mov_b32_e32 v15, 0x3b800000
	v_lshlrev_b32_e32 v10, 20, v10
	v_and_b32_e32 v14, 0x80000000, v14
	v_lshl_add_u32 v11, v11, 23, v15
	v_or3_b32 v10, v14, v11, v10
.LBB46_580:
	s_or_b64 exec, exec, s[6:7]
	s_movk_i32 s4, 0x7f
	v_cmp_gt_i16_sdwa s[6:7], v12, s4 src0_sel:BYTE_0 src1_sel:DWORD
	s_mov_b64 s[4:5], 0
                                        ; implicit-def: $sgpr10
	s_and_saveexec_b64 s[8:9], s[6:7]
	s_xor_b64 s[6:7], exec, s[8:9]
	s_cbranch_execnz .LBB46_2629
; %bb.581:
	s_or_saveexec_b64 s[6:7], s[6:7]
	v_mov_b32_e32 v11, s10
	s_xor_b64 exec, exec, s[6:7]
	s_cbranch_execnz .LBB46_2632
.LBB46_582:
	s_or_b64 exec, exec, s[6:7]
	s_and_saveexec_b64 s[6:7], s[4:5]
	s_cbranch_execz .LBB46_584
.LBB46_583:
	v_and_b32_e32 v11, 7, v12
	v_ffbh_u32_e32 v15, v11
	v_min_u32_e32 v15, 32, v15
	v_lshrrev_b16_e32 v14, 3, v12
	v_subrev_u32_e32 v20, 28, v15
	v_and_b32_e32 v14, 15, v14
	v_lshlrev_b32_e32 v20, v20, v12
	v_sub_u32_e32 v15, 29, v15
	v_and_b32_e32 v20, 7, v20
	v_cmp_eq_u16_e32 vcc, 0, v14
	v_cndmask_b32_e32 v11, v11, v20, vcc
	v_cndmask_b32_e32 v14, v14, v15, vcc
	v_lshlrev_b32_e32 v15, 24, v12
	v_mov_b32_e32 v20, 0x3b800000
	v_lshlrev_b32_e32 v11, 20, v11
	v_and_b32_e32 v15, 0x80000000, v15
	v_lshl_add_u32 v14, v14, 23, v20
	v_or3_b32 v11, v15, v14, v11
.LBB46_584:
	s_or_b64 exec, exec, s[6:7]
	s_nop 0
	v_mfma_f32_16x16x4f32 a[0:3], v10, v11, a[0:3]
	v_lshrrev_b32_e32 v11, 8, v16
	s_movk_i32 s4, 0x7f
	v_cmp_gt_i16_sdwa s[6:7], v11, s4 src0_sel:BYTE_0 src1_sel:DWORD
	s_mov_b64 s[4:5], 0
                                        ; implicit-def: $sgpr10
	s_and_saveexec_b64 s[8:9], s[6:7]
	s_xor_b64 s[6:7], exec, s[8:9]
	s_cbranch_execnz .LBB46_2633
; %bb.585:
	s_or_saveexec_b64 s[6:7], s[6:7]
	v_mov_b32_e32 v10, s10
	s_xor_b64 exec, exec, s[6:7]
	s_cbranch_execnz .LBB46_2636
.LBB46_586:
	s_or_b64 exec, exec, s[6:7]
	s_and_saveexec_b64 s[6:7], s[4:5]
	s_cbranch_execz .LBB46_588
.LBB46_587:
	v_bfe_u32 v10, v16, 8, 3
	v_ffbh_u32_e32 v15, v10
	v_min_u32_e32 v15, 32, v15
	v_lshrrev_b16_e32 v14, 3, v11
	v_subrev_u32_e32 v20, 28, v15
	v_and_b32_e32 v14, 15, v14
	v_lshlrev_b32_e32 v11, v20, v11
	v_sub_u32_e32 v15, 29, v15
	v_and_b32_e32 v11, 7, v11
	v_cmp_eq_u16_e32 vcc, 0, v14
	v_cndmask_b32_e32 v10, v10, v11, vcc
	v_cndmask_b32_e32 v11, v14, v15, vcc
	v_lshlrev_b32_e32 v14, 16, v16
	v_mov_b32_e32 v15, 0x3b800000
	v_lshlrev_b32_e32 v10, 20, v10
	v_and_b32_e32 v14, 0x80000000, v14
	v_lshl_add_u32 v11, v11, 23, v15
	v_or3_b32 v10, v14, v11, v10
.LBB46_588:
	s_or_b64 exec, exec, s[6:7]
	v_lshrrev_b32_e32 v11, 8, v12
	s_movk_i32 s4, 0x7f
	v_cmp_gt_i16_sdwa s[6:7], v11, s4 src0_sel:BYTE_0 src1_sel:DWORD
	s_mov_b64 s[4:5], 0
                                        ; implicit-def: $sgpr10
	s_and_saveexec_b64 s[8:9], s[6:7]
	s_xor_b64 s[6:7], exec, s[8:9]
	s_cbranch_execnz .LBB46_2637
; %bb.589:
	s_or_saveexec_b64 s[6:7], s[6:7]
	v_mov_b32_e32 v14, s10
	s_xor_b64 exec, exec, s[6:7]
	s_cbranch_execnz .LBB46_2640
.LBB46_590:
	s_or_b64 exec, exec, s[6:7]
	s_and_saveexec_b64 s[6:7], s[4:5]
	s_cbranch_execz .LBB46_592
.LBB46_591:
	v_bfe_u32 v14, v12, 8, 3
	v_ffbh_u32_e32 v20, v14
	v_min_u32_e32 v20, 32, v20
	v_lshrrev_b16_e32 v15, 3, v11
	v_subrev_u32_e32 v21, 28, v20
	v_and_b32_e32 v15, 15, v15
	v_lshlrev_b32_e32 v11, v21, v11
	v_sub_u32_e32 v20, 29, v20
	v_and_b32_e32 v11, 7, v11
	v_cmp_eq_u16_e32 vcc, 0, v15
	v_cndmask_b32_e32 v11, v14, v11, vcc
	v_cndmask_b32_e32 v14, v15, v20, vcc
	v_lshlrev_b32_e32 v15, 16, v12
	v_mov_b32_e32 v20, 0x3b800000
	v_lshlrev_b32_e32 v11, 20, v11
	v_and_b32_e32 v15, 0x80000000, v15
	v_lshl_add_u32 v14, v14, 23, v20
	v_or3_b32 v14, v15, v14, v11
.LBB46_592:
	s_or_b64 exec, exec, s[6:7]
	s_nop 0
	v_mfma_f32_16x16x4f32 a[0:3], v10, v14, a[0:3]
	s_movk_i32 s4, 0xff
	v_and_b32_sdwa v11, v16, s4 dst_sel:DWORD dst_unused:UNUSED_PAD src0_sel:WORD_1 src1_sel:DWORD
	s_movk_i32 s4, 0x7f
	v_cmp_lt_i16_e32 vcc, s4, v11
	s_mov_b64 s[4:5], 0
                                        ; implicit-def: $sgpr10
	s_and_saveexec_b64 s[6:7], vcc
	s_xor_b64 s[6:7], exec, s[6:7]
	s_cbranch_execnz .LBB46_2641
; %bb.593:
	s_or_saveexec_b64 s[6:7], s[6:7]
	v_mov_b32_e32 v10, s10
	s_xor_b64 exec, exec, s[6:7]
	s_cbranch_execnz .LBB46_2644
.LBB46_594:
	s_or_b64 exec, exec, s[6:7]
	s_and_saveexec_b64 s[6:7], s[4:5]
	s_cbranch_execz .LBB46_596
.LBB46_595:
	v_bfe_u32 v10, v16, 16, 3
	v_ffbh_u32_e32 v15, v10
	v_min_u32_e32 v15, 32, v15
	v_lshrrev_b32_e32 v11, 19, v16
	v_subrev_u32_e32 v20, 28, v15
	v_and_b32_e32 v11, 15, v11
	v_lshlrev_b32_sdwa v20, v20, v16 dst_sel:DWORD dst_unused:UNUSED_PAD src0_sel:DWORD src1_sel:WORD_1
	v_bfe_u32 v14, v16, 19, 4
	v_sub_u32_e32 v15, 29, v15
	v_and_b32_e32 v20, 7, v20
	v_cmp_eq_u16_e32 vcc, 0, v11
	v_cndmask_b32_e32 v10, v10, v20, vcc
	v_cndmask_b32_e32 v11, v14, v15, vcc
	v_lshlrev_b32_e32 v14, 8, v16
	v_mov_b32_e32 v15, 0x3b800000
	v_lshlrev_b32_e32 v10, 20, v10
	v_and_b32_e32 v14, 0x80000000, v14
	v_lshl_add_u32 v11, v11, 23, v15
	v_or3_b32 v10, v14, v11, v10
.LBB46_596:
	s_or_b64 exec, exec, s[6:7]
	s_movk_i32 s4, 0xff
	v_and_b32_sdwa v11, v12, s4 dst_sel:DWORD dst_unused:UNUSED_PAD src0_sel:WORD_1 src1_sel:DWORD
	s_movk_i32 s4, 0x7f
	v_cmp_lt_i16_e32 vcc, s4, v11
	s_mov_b64 s[4:5], 0
                                        ; implicit-def: $sgpr10
	s_and_saveexec_b64 s[6:7], vcc
	s_xor_b64 s[6:7], exec, s[6:7]
	s_cbranch_execnz .LBB46_2645
; %bb.597:
	s_or_saveexec_b64 s[6:7], s[6:7]
	v_mov_b32_e32 v14, s10
	s_xor_b64 exec, exec, s[6:7]
	s_cbranch_execnz .LBB46_2648
.LBB46_598:
	s_or_b64 exec, exec, s[6:7]
	s_and_saveexec_b64 s[6:7], s[4:5]
	s_cbranch_execz .LBB46_600
.LBB46_599:
	v_bfe_u32 v11, v12, 16, 3
	v_ffbh_u32_e32 v20, v11
	v_min_u32_e32 v20, 32, v20
	v_lshrrev_b32_e32 v14, 19, v12
	v_subrev_u32_e32 v21, 28, v20
	v_and_b32_e32 v14, 15, v14
	v_lshlrev_b32_sdwa v21, v21, v12 dst_sel:DWORD dst_unused:UNUSED_PAD src0_sel:DWORD src1_sel:WORD_1
	v_bfe_u32 v15, v12, 19, 4
	v_sub_u32_e32 v20, 29, v20
	v_and_b32_e32 v21, 7, v21
	v_cmp_eq_u16_e32 vcc, 0, v14
	v_cndmask_b32_e32 v11, v11, v21, vcc
	v_cndmask_b32_e32 v14, v15, v20, vcc
	v_lshlrev_b32_e32 v15, 8, v12
	v_mov_b32_e32 v20, 0x3b800000
	v_lshlrev_b32_e32 v11, 20, v11
	v_and_b32_e32 v15, 0x80000000, v15
	v_lshl_add_u32 v14, v14, 23, v20
	v_or3_b32 v14, v15, v14, v11
.LBB46_600:
	s_or_b64 exec, exec, s[6:7]
	s_nop 0
	v_mfma_f32_16x16x4f32 a[0:3], v10, v14, a[0:3]
	s_movk_i32 s4, 0x7f
	v_cmp_gt_i16_sdwa s[6:7], v16, s4 src0_sel:BYTE_3 src1_sel:DWORD
	s_mov_b64 s[4:5], 0
                                        ; implicit-def: $sgpr10
	s_and_saveexec_b64 s[8:9], s[6:7]
	s_xor_b64 s[6:7], exec, s[8:9]
	s_cbranch_execnz .LBB46_2649
; %bb.601:
	s_or_saveexec_b64 s[6:7], s[6:7]
	v_mov_b32_e32 v10, s10
	s_xor_b64 exec, exec, s[6:7]
	s_cbranch_execnz .LBB46_2652
.LBB46_602:
	s_or_b64 exec, exec, s[6:7]
	s_and_saveexec_b64 s[6:7], s[4:5]
	s_cbranch_execz .LBB46_604
.LBB46_603:
	v_bfe_u32 v10, v16, 24, 3
	v_ffbh_u32_e32 v20, v10
	v_min_u32_e32 v20, 32, v20
	v_lshrrev_b32_e32 v14, 27, v16
	v_subrev_u32_e32 v21, 28, v20
	v_and_b32_e32 v11, 0x80000000, v16
	v_and_b32_e32 v14, 15, v14
	v_bfe_u32 v15, v16, 27, 4
	v_lshlrev_b32_sdwa v16, v21, v16 dst_sel:DWORD dst_unused:UNUSED_PAD src0_sel:DWORD src1_sel:BYTE_3
	v_sub_u32_e32 v20, 29, v20
	v_and_b32_e32 v16, 7, v16
	v_cmp_eq_u16_e32 vcc, 0, v14
	v_cndmask_b32_e32 v10, v10, v16, vcc
	v_cndmask_b32_e32 v14, v15, v20, vcc
	v_mov_b32_e32 v15, 0x3b800000
	v_lshlrev_b32_e32 v10, 20, v10
	v_lshl_add_u32 v14, v14, 23, v15
	v_or3_b32 v10, v11, v14, v10
.LBB46_604:
	s_or_b64 exec, exec, s[6:7]
	s_movk_i32 s4, 0x7f
	v_cmp_gt_i16_sdwa s[6:7], v12, s4 src0_sel:BYTE_3 src1_sel:DWORD
	s_mov_b64 s[4:5], 0
                                        ; implicit-def: $sgpr10
	s_and_saveexec_b64 s[8:9], s[6:7]
	s_xor_b64 s[6:7], exec, s[8:9]
	s_cbranch_execnz .LBB46_2653
; %bb.605:
	s_or_saveexec_b64 s[6:7], s[6:7]
	v_mov_b32_e32 v11, s10
	s_xor_b64 exec, exec, s[6:7]
	s_cbranch_execnz .LBB46_2656
.LBB46_606:
	s_or_b64 exec, exec, s[6:7]
	s_and_saveexec_b64 s[6:7], s[4:5]
	s_cbranch_execz .LBB46_608
.LBB46_607:
	v_bfe_u32 v11, v12, 24, 3
	v_ffbh_u32_e32 v20, v11
	v_min_u32_e32 v20, 32, v20
	v_lshrrev_b32_e32 v15, 27, v12
	v_subrev_u32_e32 v21, 28, v20
	v_and_b32_e32 v14, 0x80000000, v12
	v_and_b32_e32 v15, 15, v15
	v_bfe_u32 v16, v12, 27, 4
	v_lshlrev_b32_sdwa v12, v21, v12 dst_sel:DWORD dst_unused:UNUSED_PAD src0_sel:DWORD src1_sel:BYTE_3
	v_sub_u32_e32 v20, 29, v20
	v_and_b32_e32 v12, 7, v12
	v_cmp_eq_u16_e32 vcc, 0, v15
	v_cndmask_b32_e32 v11, v11, v12, vcc
	v_cndmask_b32_e32 v12, v16, v20, vcc
	v_mov_b32_e32 v15, 0x3b800000
	v_lshlrev_b32_e32 v11, 20, v11
	v_lshl_add_u32 v12, v12, 23, v15
	v_or3_b32 v11, v14, v12, v11
.LBB46_608:
	s_or_b64 exec, exec, s[6:7]
	s_nop 0
	v_mfma_f32_16x16x4f32 a[0:3], v10, v11, a[0:3]
	s_movk_i32 s4, 0x7f
	v_cmp_gt_i16_sdwa s[6:7], v17, s4 src0_sel:BYTE_0 src1_sel:DWORD
	s_mov_b64 s[4:5], 0
                                        ; implicit-def: $sgpr10
	s_and_saveexec_b64 s[8:9], s[6:7]
	s_xor_b64 s[6:7], exec, s[8:9]
	s_cbranch_execnz .LBB46_2657
; %bb.609:
	s_or_saveexec_b64 s[6:7], s[6:7]
	v_mov_b32_e32 v10, s10
	s_xor_b64 exec, exec, s[6:7]
	s_cbranch_execnz .LBB46_2660
.LBB46_610:
	s_or_b64 exec, exec, s[6:7]
	s_and_saveexec_b64 s[6:7], s[4:5]
	s_cbranch_execz .LBB46_612
.LBB46_611:
	v_and_b32_e32 v10, 7, v17
	v_ffbh_u32_e32 v12, v10
	v_min_u32_e32 v12, 32, v12
	v_lshrrev_b16_e32 v11, 3, v17
	v_subrev_u32_e32 v14, 28, v12
	v_and_b32_e32 v11, 15, v11
	v_lshlrev_b32_e32 v14, v14, v17
	v_sub_u32_e32 v12, 29, v12
	v_and_b32_e32 v14, 7, v14
	v_cmp_eq_u16_e32 vcc, 0, v11
	v_cndmask_b32_e32 v10, v10, v14, vcc
	v_cndmask_b32_e32 v11, v11, v12, vcc
	v_lshlrev_b32_e32 v12, 24, v17
	v_mov_b32_e32 v14, 0x3b800000
	v_lshlrev_b32_e32 v10, 20, v10
	v_and_b32_e32 v12, 0x80000000, v12
	v_lshl_add_u32 v11, v11, 23, v14
	v_or3_b32 v10, v12, v11, v10
.LBB46_612:
	s_or_b64 exec, exec, s[6:7]
	s_movk_i32 s4, 0x7f
	v_cmp_gt_i16_sdwa s[6:7], v13, s4 src0_sel:BYTE_0 src1_sel:DWORD
	s_mov_b64 s[4:5], 0
                                        ; implicit-def: $sgpr10
	s_and_saveexec_b64 s[8:9], s[6:7]
	s_xor_b64 s[6:7], exec, s[8:9]
	s_cbranch_execnz .LBB46_2661
; %bb.613:
	s_or_saveexec_b64 s[6:7], s[6:7]
	v_mov_b32_e32 v11, s10
	s_xor_b64 exec, exec, s[6:7]
	s_cbranch_execnz .LBB46_2664
.LBB46_614:
	s_or_b64 exec, exec, s[6:7]
	s_and_saveexec_b64 s[6:7], s[4:5]
	s_cbranch_execz .LBB46_616
.LBB46_615:
	v_and_b32_e32 v11, 7, v13
	v_ffbh_u32_e32 v14, v11
	v_min_u32_e32 v14, 32, v14
	v_lshrrev_b16_e32 v12, 3, v13
	v_subrev_u32_e32 v15, 28, v14
	v_and_b32_e32 v12, 15, v12
	v_lshlrev_b32_e32 v15, v15, v13
	v_sub_u32_e32 v14, 29, v14
	v_and_b32_e32 v15, 7, v15
	v_cmp_eq_u16_e32 vcc, 0, v12
	v_cndmask_b32_e32 v11, v11, v15, vcc
	v_cndmask_b32_e32 v12, v12, v14, vcc
	v_lshlrev_b32_e32 v14, 24, v13
	v_mov_b32_e32 v15, 0x3b800000
	v_lshlrev_b32_e32 v11, 20, v11
	v_and_b32_e32 v14, 0x80000000, v14
	v_lshl_add_u32 v12, v12, 23, v15
	v_or3_b32 v11, v14, v12, v11
.LBB46_616:
	s_or_b64 exec, exec, s[6:7]
	s_nop 0
	v_mfma_f32_16x16x4f32 a[0:3], v10, v11, a[0:3]
	v_lshrrev_b32_e32 v11, 8, v17
	s_movk_i32 s4, 0x7f
	v_cmp_gt_i16_sdwa s[6:7], v11, s4 src0_sel:BYTE_0 src1_sel:DWORD
	s_mov_b64 s[4:5], 0
                                        ; implicit-def: $sgpr10
	s_and_saveexec_b64 s[8:9], s[6:7]
	s_xor_b64 s[6:7], exec, s[8:9]
	s_cbranch_execnz .LBB46_2665
; %bb.617:
	s_or_saveexec_b64 s[6:7], s[6:7]
	v_mov_b32_e32 v10, s10
	s_xor_b64 exec, exec, s[6:7]
	s_cbranch_execnz .LBB46_2668
.LBB46_618:
	s_or_b64 exec, exec, s[6:7]
	s_and_saveexec_b64 s[6:7], s[4:5]
	s_cbranch_execz .LBB46_620
.LBB46_619:
	v_bfe_u32 v10, v17, 8, 3
	v_ffbh_u32_e32 v14, v10
	v_min_u32_e32 v14, 32, v14
	v_lshrrev_b16_e32 v12, 3, v11
	v_subrev_u32_e32 v15, 28, v14
	v_and_b32_e32 v12, 15, v12
	v_lshlrev_b32_e32 v11, v15, v11
	v_sub_u32_e32 v14, 29, v14
	v_and_b32_e32 v11, 7, v11
	v_cmp_eq_u16_e32 vcc, 0, v12
	v_cndmask_b32_e32 v10, v10, v11, vcc
	v_cndmask_b32_e32 v11, v12, v14, vcc
	v_lshlrev_b32_e32 v12, 16, v17
	v_mov_b32_e32 v14, 0x3b800000
	v_lshlrev_b32_e32 v10, 20, v10
	v_and_b32_e32 v12, 0x80000000, v12
	v_lshl_add_u32 v11, v11, 23, v14
	v_or3_b32 v10, v12, v11, v10
.LBB46_620:
	s_or_b64 exec, exec, s[6:7]
	v_lshrrev_b32_e32 v11, 8, v13
	s_movk_i32 s4, 0x7f
	v_cmp_gt_i16_sdwa s[6:7], v11, s4 src0_sel:BYTE_0 src1_sel:DWORD
	s_mov_b64 s[4:5], 0
                                        ; implicit-def: $sgpr10
	s_and_saveexec_b64 s[8:9], s[6:7]
	s_xor_b64 s[6:7], exec, s[8:9]
	s_cbranch_execnz .LBB46_2669
; %bb.621:
	s_or_saveexec_b64 s[6:7], s[6:7]
	v_mov_b32_e32 v12, s10
	s_xor_b64 exec, exec, s[6:7]
	s_cbranch_execnz .LBB46_2672
.LBB46_622:
	s_or_b64 exec, exec, s[6:7]
	s_and_saveexec_b64 s[6:7], s[4:5]
	s_cbranch_execz .LBB46_624
.LBB46_623:
	v_bfe_u32 v12, v13, 8, 3
	v_ffbh_u32_e32 v15, v12
	v_min_u32_e32 v15, 32, v15
	v_lshrrev_b16_e32 v14, 3, v11
	v_subrev_u32_e32 v16, 28, v15
	v_and_b32_e32 v14, 15, v14
	v_lshlrev_b32_e32 v11, v16, v11
	v_sub_u32_e32 v15, 29, v15
	v_and_b32_e32 v11, 7, v11
	v_cmp_eq_u16_e32 vcc, 0, v14
	v_cndmask_b32_e32 v11, v12, v11, vcc
	v_cndmask_b32_e32 v12, v14, v15, vcc
	v_lshlrev_b32_e32 v14, 16, v13
	v_mov_b32_e32 v15, 0x3b800000
	v_lshlrev_b32_e32 v11, 20, v11
	v_and_b32_e32 v14, 0x80000000, v14
	v_lshl_add_u32 v12, v12, 23, v15
	v_or3_b32 v12, v14, v12, v11
.LBB46_624:
	s_or_b64 exec, exec, s[6:7]
	s_nop 0
	v_mfma_f32_16x16x4f32 a[0:3], v10, v12, a[0:3]
	s_movk_i32 s4, 0xff
	v_and_b32_sdwa v11, v17, s4 dst_sel:DWORD dst_unused:UNUSED_PAD src0_sel:WORD_1 src1_sel:DWORD
	s_movk_i32 s4, 0x7f
	v_cmp_lt_i16_e32 vcc, s4, v11
	s_mov_b64 s[4:5], 0
                                        ; implicit-def: $sgpr10
	s_and_saveexec_b64 s[6:7], vcc
	s_xor_b64 s[6:7], exec, s[6:7]
	s_cbranch_execnz .LBB46_2673
; %bb.625:
	s_or_saveexec_b64 s[6:7], s[6:7]
	v_mov_b32_e32 v10, s10
	s_xor_b64 exec, exec, s[6:7]
	s_cbranch_execnz .LBB46_2676
.LBB46_626:
	s_or_b64 exec, exec, s[6:7]
	s_and_saveexec_b64 s[6:7], s[4:5]
	s_cbranch_execz .LBB46_628
.LBB46_627:
	v_bfe_u32 v10, v17, 16, 3
	v_ffbh_u32_e32 v14, v10
	v_min_u32_e32 v14, 32, v14
	v_lshrrev_b32_e32 v11, 19, v17
	v_subrev_u32_e32 v15, 28, v14
	v_and_b32_e32 v11, 15, v11
	v_lshlrev_b32_sdwa v15, v15, v17 dst_sel:DWORD dst_unused:UNUSED_PAD src0_sel:DWORD src1_sel:WORD_1
	v_bfe_u32 v12, v17, 19, 4
	v_sub_u32_e32 v14, 29, v14
	v_and_b32_e32 v15, 7, v15
	v_cmp_eq_u16_e32 vcc, 0, v11
	v_cndmask_b32_e32 v10, v10, v15, vcc
	v_cndmask_b32_e32 v11, v12, v14, vcc
	v_lshlrev_b32_e32 v12, 8, v17
	v_mov_b32_e32 v14, 0x3b800000
	v_lshlrev_b32_e32 v10, 20, v10
	v_and_b32_e32 v12, 0x80000000, v12
	v_lshl_add_u32 v11, v11, 23, v14
	v_or3_b32 v10, v12, v11, v10
.LBB46_628:
	s_or_b64 exec, exec, s[6:7]
	s_movk_i32 s4, 0xff
	v_and_b32_sdwa v11, v13, s4 dst_sel:DWORD dst_unused:UNUSED_PAD src0_sel:WORD_1 src1_sel:DWORD
	s_movk_i32 s4, 0x7f
	v_cmp_lt_i16_e32 vcc, s4, v11
	s_mov_b64 s[4:5], 0
                                        ; implicit-def: $sgpr10
	s_and_saveexec_b64 s[6:7], vcc
	s_xor_b64 s[6:7], exec, s[6:7]
	s_cbranch_execnz .LBB46_2677
; %bb.629:
	s_or_saveexec_b64 s[6:7], s[6:7]
	v_mov_b32_e32 v12, s10
	s_xor_b64 exec, exec, s[6:7]
	s_cbranch_execnz .LBB46_2680
.LBB46_630:
	s_or_b64 exec, exec, s[6:7]
	s_and_saveexec_b64 s[6:7], s[4:5]
	s_cbranch_execz .LBB46_632
.LBB46_631:
	v_bfe_u32 v11, v13, 16, 3
	v_ffbh_u32_e32 v15, v11
	v_min_u32_e32 v15, 32, v15
	v_lshrrev_b32_e32 v12, 19, v13
	v_subrev_u32_e32 v16, 28, v15
	v_and_b32_e32 v12, 15, v12
	v_lshlrev_b32_sdwa v16, v16, v13 dst_sel:DWORD dst_unused:UNUSED_PAD src0_sel:DWORD src1_sel:WORD_1
	v_bfe_u32 v14, v13, 19, 4
	v_sub_u32_e32 v15, 29, v15
	v_and_b32_e32 v16, 7, v16
	v_cmp_eq_u16_e32 vcc, 0, v12
	v_cndmask_b32_e32 v11, v11, v16, vcc
	v_cndmask_b32_e32 v12, v14, v15, vcc
	v_lshlrev_b32_e32 v14, 8, v13
	v_mov_b32_e32 v15, 0x3b800000
	v_lshlrev_b32_e32 v11, 20, v11
	v_and_b32_e32 v14, 0x80000000, v14
	v_lshl_add_u32 v12, v12, 23, v15
	v_or3_b32 v12, v14, v12, v11
.LBB46_632:
	s_or_b64 exec, exec, s[6:7]
	s_nop 0
	v_mfma_f32_16x16x4f32 a[0:3], v10, v12, a[0:3]
	s_movk_i32 s4, 0x7f
	v_cmp_gt_i16_sdwa s[6:7], v17, s4 src0_sel:BYTE_3 src1_sel:DWORD
	s_mov_b64 s[4:5], 0
                                        ; implicit-def: $sgpr10
	s_and_saveexec_b64 s[8:9], s[6:7]
	s_xor_b64 s[6:7], exec, s[8:9]
	s_cbranch_execnz .LBB46_2681
; %bb.633:
	s_or_saveexec_b64 s[6:7], s[6:7]
	v_mov_b32_e32 v10, s10
	s_xor_b64 exec, exec, s[6:7]
	s_cbranch_execnz .LBB46_2684
.LBB46_634:
	s_or_b64 exec, exec, s[6:7]
	s_and_saveexec_b64 s[6:7], s[4:5]
	s_cbranch_execz .LBB46_636
.LBB46_635:
	v_bfe_u32 v10, v17, 24, 3
	v_ffbh_u32_e32 v15, v10
	v_min_u32_e32 v15, 32, v15
	v_lshrrev_b32_e32 v12, 27, v17
	v_subrev_u32_e32 v16, 28, v15
	v_and_b32_e32 v12, 15, v12
	v_lshlrev_b32_sdwa v16, v16, v17 dst_sel:DWORD dst_unused:UNUSED_PAD src0_sel:DWORD src1_sel:BYTE_3
	v_bfe_u32 v14, v17, 27, 4
	v_sub_u32_e32 v15, 29, v15
	v_and_b32_e32 v16, 7, v16
	v_cmp_eq_u16_e32 vcc, 0, v12
	v_cndmask_b32_e32 v10, v10, v16, vcc
	v_cndmask_b32_e32 v12, v14, v15, vcc
	v_mov_b32_e32 v14, 0x3b800000
	v_and_b32_e32 v11, 0x80000000, v17
	v_lshlrev_b32_e32 v10, 20, v10
	v_lshl_add_u32 v12, v12, 23, v14
	v_or3_b32 v10, v11, v12, v10
.LBB46_636:
	s_or_b64 exec, exec, s[6:7]
	s_movk_i32 s4, 0x7f
	v_cmp_gt_i16_sdwa s[6:7], v13, s4 src0_sel:BYTE_3 src1_sel:DWORD
	s_mov_b64 s[4:5], 0
                                        ; implicit-def: $sgpr10
	s_and_saveexec_b64 s[8:9], s[6:7]
	s_xor_b64 s[6:7], exec, s[8:9]
	s_cbranch_execnz .LBB46_2685
; %bb.637:
	s_or_saveexec_b64 s[6:7], s[6:7]
	v_mov_b32_e32 v11, s10
	s_xor_b64 exec, exec, s[6:7]
	s_cbranch_execnz .LBB46_2688
.LBB46_638:
	s_or_b64 exec, exec, s[6:7]
	s_and_saveexec_b64 s[6:7], s[4:5]
	s_cbranch_execz .LBB46_640
.LBB46_639:
	v_bfe_u32 v11, v13, 24, 3
	v_ffbh_u32_e32 v16, v11
	v_min_u32_e32 v16, 32, v16
	v_lshrrev_b32_e32 v14, 27, v13
	v_subrev_u32_e32 v17, 28, v16
	v_and_b32_e32 v12, 0x80000000, v13
	v_and_b32_e32 v14, 15, v14
	v_bfe_u32 v15, v13, 27, 4
	v_lshlrev_b32_sdwa v13, v17, v13 dst_sel:DWORD dst_unused:UNUSED_PAD src0_sel:DWORD src1_sel:BYTE_3
	v_sub_u32_e32 v16, 29, v16
	v_and_b32_e32 v13, 7, v13
	v_cmp_eq_u16_e32 vcc, 0, v14
	v_cndmask_b32_e32 v11, v11, v13, vcc
	v_cndmask_b32_e32 v13, v15, v16, vcc
	v_mov_b32_e32 v14, 0x3b800000
	v_lshlrev_b32_e32 v11, 20, v11
	v_lshl_add_u32 v13, v13, 23, v14
	v_or3_b32 v11, v12, v13, v11
.LBB46_640:
	s_or_b64 exec, exec, s[6:7]
	s_nop 0
	v_mfma_f32_16x16x4f32 a[0:3], v10, v11, a[0:3]
	s_movk_i32 s4, 0x7f
	v_cmp_gt_i16_sdwa s[6:7], v6, s4 src0_sel:BYTE_0 src1_sel:DWORD
	s_mov_b64 s[4:5], 0
                                        ; implicit-def: $sgpr10
	s_and_saveexec_b64 s[8:9], s[6:7]
	s_xor_b64 s[6:7], exec, s[8:9]
	s_cbranch_execnz .LBB46_2689
; %bb.641:
	s_or_saveexec_b64 s[6:7], s[6:7]
	v_mov_b32_e32 v10, s10
	s_xor_b64 exec, exec, s[6:7]
	s_cbranch_execnz .LBB46_2692
.LBB46_642:
	s_or_b64 exec, exec, s[6:7]
	s_and_saveexec_b64 s[6:7], s[4:5]
	s_cbranch_execz .LBB46_644
.LBB46_643:
	v_and_b32_e32 v10, 7, v6
	v_ffbh_u32_e32 v12, v10
	v_min_u32_e32 v12, 32, v12
	v_lshrrev_b16_e32 v11, 3, v6
	v_subrev_u32_e32 v13, 28, v12
	v_and_b32_e32 v11, 15, v11
	v_lshlrev_b32_e32 v13, v13, v6
	v_sub_u32_e32 v12, 29, v12
	v_and_b32_e32 v13, 7, v13
	v_cmp_eq_u16_e32 vcc, 0, v11
	v_cndmask_b32_e32 v10, v10, v13, vcc
	v_cndmask_b32_e32 v11, v11, v12, vcc
	v_lshlrev_b32_e32 v12, 24, v6
	v_mov_b32_e32 v13, 0x3b800000
	v_lshlrev_b32_e32 v10, 20, v10
	v_and_b32_e32 v12, 0x80000000, v12
	v_lshl_add_u32 v11, v11, 23, v13
	v_or3_b32 v10, v12, v11, v10
.LBB46_644:
	s_or_b64 exec, exec, s[6:7]
	s_movk_i32 s4, 0x7f
	v_cmp_gt_i16_sdwa s[6:7], v2, s4 src0_sel:BYTE_0 src1_sel:DWORD
	s_mov_b64 s[4:5], 0
                                        ; implicit-def: $sgpr10
	s_and_saveexec_b64 s[8:9], s[6:7]
	s_xor_b64 s[6:7], exec, s[8:9]
	s_cbranch_execnz .LBB46_2693
; %bb.645:
	s_or_saveexec_b64 s[6:7], s[6:7]
	v_mov_b32_e32 v11, s10
	s_xor_b64 exec, exec, s[6:7]
	s_cbranch_execnz .LBB46_2696
.LBB46_646:
	s_or_b64 exec, exec, s[6:7]
	s_and_saveexec_b64 s[6:7], s[4:5]
	s_cbranch_execz .LBB46_648
.LBB46_647:
	v_and_b32_e32 v11, 7, v2
	v_ffbh_u32_e32 v13, v11
	v_min_u32_e32 v13, 32, v13
	v_lshrrev_b16_e32 v12, 3, v2
	v_subrev_u32_e32 v14, 28, v13
	v_and_b32_e32 v12, 15, v12
	v_lshlrev_b32_e32 v14, v14, v2
	v_sub_u32_e32 v13, 29, v13
	v_and_b32_e32 v14, 7, v14
	v_cmp_eq_u16_e32 vcc, 0, v12
	v_cndmask_b32_e32 v11, v11, v14, vcc
	v_cndmask_b32_e32 v12, v12, v13, vcc
	v_lshlrev_b32_e32 v13, 24, v2
	v_mov_b32_e32 v14, 0x3b800000
	v_lshlrev_b32_e32 v11, 20, v11
	v_and_b32_e32 v13, 0x80000000, v13
	v_lshl_add_u32 v12, v12, 23, v14
	v_or3_b32 v11, v13, v12, v11
.LBB46_648:
	s_or_b64 exec, exec, s[6:7]
	s_nop 0
	v_mfma_f32_16x16x4f32 a[0:3], v10, v11, a[0:3]
	v_lshrrev_b32_e32 v11, 8, v6
	s_movk_i32 s4, 0x7f
	v_cmp_gt_i16_sdwa s[6:7], v11, s4 src0_sel:BYTE_0 src1_sel:DWORD
	s_mov_b64 s[4:5], 0
                                        ; implicit-def: $sgpr10
	s_and_saveexec_b64 s[8:9], s[6:7]
	s_xor_b64 s[6:7], exec, s[8:9]
	s_cbranch_execnz .LBB46_2697
; %bb.649:
	s_or_saveexec_b64 s[6:7], s[6:7]
	v_mov_b32_e32 v10, s10
	s_xor_b64 exec, exec, s[6:7]
	s_cbranch_execnz .LBB46_2700
.LBB46_650:
	s_or_b64 exec, exec, s[6:7]
	s_and_saveexec_b64 s[6:7], s[4:5]
	s_cbranch_execz .LBB46_652
.LBB46_651:
	v_bfe_u32 v10, v6, 8, 3
	v_ffbh_u32_e32 v13, v10
	v_min_u32_e32 v13, 32, v13
	v_lshrrev_b16_e32 v12, 3, v11
	v_subrev_u32_e32 v14, 28, v13
	v_and_b32_e32 v12, 15, v12
	v_lshlrev_b32_e32 v11, v14, v11
	v_sub_u32_e32 v13, 29, v13
	v_and_b32_e32 v11, 7, v11
	v_cmp_eq_u16_e32 vcc, 0, v12
	v_cndmask_b32_e32 v10, v10, v11, vcc
	v_cndmask_b32_e32 v11, v12, v13, vcc
	v_lshlrev_b32_e32 v12, 16, v6
	v_mov_b32_e32 v13, 0x3b800000
	v_lshlrev_b32_e32 v10, 20, v10
	v_and_b32_e32 v12, 0x80000000, v12
	v_lshl_add_u32 v11, v11, 23, v13
	v_or3_b32 v10, v12, v11, v10
.LBB46_652:
	s_or_b64 exec, exec, s[6:7]
	v_lshrrev_b32_e32 v11, 8, v2
	s_movk_i32 s4, 0x7f
	v_cmp_gt_i16_sdwa s[6:7], v11, s4 src0_sel:BYTE_0 src1_sel:DWORD
	s_mov_b64 s[4:5], 0
                                        ; implicit-def: $sgpr10
	s_and_saveexec_b64 s[8:9], s[6:7]
	s_xor_b64 s[6:7], exec, s[8:9]
	s_cbranch_execnz .LBB46_2701
; %bb.653:
	s_or_saveexec_b64 s[6:7], s[6:7]
	v_mov_b32_e32 v12, s10
	s_xor_b64 exec, exec, s[6:7]
	s_cbranch_execnz .LBB46_2704
.LBB46_654:
	s_or_b64 exec, exec, s[6:7]
	s_and_saveexec_b64 s[6:7], s[4:5]
	s_cbranch_execz .LBB46_656
.LBB46_655:
	v_bfe_u32 v12, v2, 8, 3
	v_ffbh_u32_e32 v14, v12
	v_min_u32_e32 v14, 32, v14
	v_lshrrev_b16_e32 v13, 3, v11
	v_subrev_u32_e32 v15, 28, v14
	v_and_b32_e32 v13, 15, v13
	v_lshlrev_b32_e32 v11, v15, v11
	v_sub_u32_e32 v14, 29, v14
	v_and_b32_e32 v11, 7, v11
	v_cmp_eq_u16_e32 vcc, 0, v13
	v_cndmask_b32_e32 v11, v12, v11, vcc
	v_cndmask_b32_e32 v12, v13, v14, vcc
	v_lshlrev_b32_e32 v13, 16, v2
	v_mov_b32_e32 v14, 0x3b800000
	v_lshlrev_b32_e32 v11, 20, v11
	v_and_b32_e32 v13, 0x80000000, v13
	v_lshl_add_u32 v12, v12, 23, v14
	v_or3_b32 v12, v13, v12, v11
.LBB46_656:
	s_or_b64 exec, exec, s[6:7]
	s_nop 0
	v_mfma_f32_16x16x4f32 a[0:3], v10, v12, a[0:3]
	s_movk_i32 s4, 0xff
	v_and_b32_sdwa v11, v6, s4 dst_sel:DWORD dst_unused:UNUSED_PAD src0_sel:WORD_1 src1_sel:DWORD
	s_movk_i32 s4, 0x7f
	v_cmp_lt_i16_e32 vcc, s4, v11
	s_mov_b64 s[4:5], 0
                                        ; implicit-def: $sgpr10
	s_and_saveexec_b64 s[6:7], vcc
	s_xor_b64 s[6:7], exec, s[6:7]
	s_cbranch_execnz .LBB46_2705
; %bb.657:
	s_or_saveexec_b64 s[6:7], s[6:7]
	v_mov_b32_e32 v10, s10
	s_xor_b64 exec, exec, s[6:7]
	s_cbranch_execnz .LBB46_2708
.LBB46_658:
	s_or_b64 exec, exec, s[6:7]
	s_and_saveexec_b64 s[6:7], s[4:5]
	s_cbranch_execz .LBB46_660
.LBB46_659:
	v_bfe_u32 v10, v6, 16, 3
	v_ffbh_u32_e32 v13, v10
	v_min_u32_e32 v13, 32, v13
	v_lshrrev_b32_e32 v11, 19, v6
	v_subrev_u32_e32 v14, 28, v13
	v_and_b32_e32 v11, 15, v11
	v_lshlrev_b32_sdwa v14, v14, v6 dst_sel:DWORD dst_unused:UNUSED_PAD src0_sel:DWORD src1_sel:WORD_1
	v_bfe_u32 v12, v6, 19, 4
	v_sub_u32_e32 v13, 29, v13
	v_and_b32_e32 v14, 7, v14
	v_cmp_eq_u16_e32 vcc, 0, v11
	v_cndmask_b32_e32 v10, v10, v14, vcc
	v_cndmask_b32_e32 v11, v12, v13, vcc
	v_lshlrev_b32_e32 v12, 8, v6
	v_mov_b32_e32 v13, 0x3b800000
	v_lshlrev_b32_e32 v10, 20, v10
	v_and_b32_e32 v12, 0x80000000, v12
	v_lshl_add_u32 v11, v11, 23, v13
	v_or3_b32 v10, v12, v11, v10
.LBB46_660:
	s_or_b64 exec, exec, s[6:7]
	s_movk_i32 s4, 0xff
	v_and_b32_sdwa v11, v2, s4 dst_sel:DWORD dst_unused:UNUSED_PAD src0_sel:WORD_1 src1_sel:DWORD
	s_movk_i32 s4, 0x7f
	v_cmp_lt_i16_e32 vcc, s4, v11
	s_mov_b64 s[4:5], 0
                                        ; implicit-def: $sgpr10
	s_and_saveexec_b64 s[6:7], vcc
	s_xor_b64 s[6:7], exec, s[6:7]
	s_cbranch_execnz .LBB46_2709
; %bb.661:
	s_or_saveexec_b64 s[6:7], s[6:7]
	v_mov_b32_e32 v12, s10
	s_xor_b64 exec, exec, s[6:7]
	s_cbranch_execnz .LBB46_2712
.LBB46_662:
	s_or_b64 exec, exec, s[6:7]
	s_and_saveexec_b64 s[6:7], s[4:5]
	s_cbranch_execz .LBB46_664
.LBB46_663:
	v_bfe_u32 v11, v2, 16, 3
	v_ffbh_u32_e32 v14, v11
	v_min_u32_e32 v14, 32, v14
	v_lshrrev_b32_e32 v12, 19, v2
	v_subrev_u32_e32 v15, 28, v14
	v_and_b32_e32 v12, 15, v12
	v_lshlrev_b32_sdwa v15, v15, v2 dst_sel:DWORD dst_unused:UNUSED_PAD src0_sel:DWORD src1_sel:WORD_1
	v_bfe_u32 v13, v2, 19, 4
	v_sub_u32_e32 v14, 29, v14
	v_and_b32_e32 v15, 7, v15
	v_cmp_eq_u16_e32 vcc, 0, v12
	v_cndmask_b32_e32 v11, v11, v15, vcc
	v_cndmask_b32_e32 v12, v13, v14, vcc
	v_lshlrev_b32_e32 v13, 8, v2
	v_mov_b32_e32 v14, 0x3b800000
	v_lshlrev_b32_e32 v11, 20, v11
	v_and_b32_e32 v13, 0x80000000, v13
	v_lshl_add_u32 v12, v12, 23, v14
	v_or3_b32 v12, v13, v12, v11
.LBB46_664:
	s_or_b64 exec, exec, s[6:7]
	s_nop 0
	v_mfma_f32_16x16x4f32 a[0:3], v10, v12, a[0:3]
	s_movk_i32 s4, 0x7f
	v_cmp_gt_i16_sdwa s[6:7], v6, s4 src0_sel:BYTE_3 src1_sel:DWORD
	s_mov_b64 s[4:5], 0
                                        ; implicit-def: $sgpr10
	s_and_saveexec_b64 s[8:9], s[6:7]
	s_xor_b64 s[6:7], exec, s[8:9]
	s_cbranch_execnz .LBB46_2713
; %bb.665:
	s_or_saveexec_b64 s[6:7], s[6:7]
	v_mov_b32_e32 v10, s10
	s_xor_b64 exec, exec, s[6:7]
	s_cbranch_execnz .LBB46_2716
.LBB46_666:
	s_or_b64 exec, exec, s[6:7]
	s_and_saveexec_b64 s[6:7], s[4:5]
	s_cbranch_execz .LBB46_668
.LBB46_667:
	v_bfe_u32 v10, v6, 24, 3
	v_ffbh_u32_e32 v14, v10
	v_min_u32_e32 v14, 32, v14
	v_lshrrev_b32_e32 v12, 27, v6
	v_subrev_u32_e32 v15, 28, v14
	v_and_b32_e32 v11, 0x80000000, v6
	v_and_b32_e32 v12, 15, v12
	v_bfe_u32 v13, v6, 27, 4
	v_lshlrev_b32_sdwa v6, v15, v6 dst_sel:DWORD dst_unused:UNUSED_PAD src0_sel:DWORD src1_sel:BYTE_3
	v_sub_u32_e32 v14, 29, v14
	v_and_b32_e32 v6, 7, v6
	v_cmp_eq_u16_e32 vcc, 0, v12
	v_cndmask_b32_e32 v6, v10, v6, vcc
	v_cndmask_b32_e32 v10, v13, v14, vcc
	v_mov_b32_e32 v12, 0x3b800000
	v_lshlrev_b32_e32 v6, 20, v6
	v_lshl_add_u32 v10, v10, 23, v12
	v_or3_b32 v10, v11, v10, v6
.LBB46_668:
	s_or_b64 exec, exec, s[6:7]
	s_movk_i32 s4, 0x7f
	v_cmp_gt_i16_sdwa s[6:7], v2, s4 src0_sel:BYTE_3 src1_sel:DWORD
	s_mov_b64 s[4:5], 0
                                        ; implicit-def: $sgpr10
	s_and_saveexec_b64 s[8:9], s[6:7]
	s_xor_b64 s[6:7], exec, s[8:9]
	s_cbranch_execnz .LBB46_2717
; %bb.669:
	s_or_saveexec_b64 s[6:7], s[6:7]
	v_mov_b32_e32 v6, s10
	s_xor_b64 exec, exec, s[6:7]
	s_cbranch_execnz .LBB46_2720
.LBB46_670:
	s_or_b64 exec, exec, s[6:7]
	s_and_saveexec_b64 s[6:7], s[4:5]
	s_cbranch_execz .LBB46_672
.LBB46_671:
	v_bfe_u32 v6, v2, 24, 3
	v_ffbh_u32_e32 v14, v6
	v_min_u32_e32 v14, 32, v14
	v_lshrrev_b32_e32 v12, 27, v2
	v_subrev_u32_e32 v15, 28, v14
	v_and_b32_e32 v11, 0x80000000, v2
	v_and_b32_e32 v12, 15, v12
	v_bfe_u32 v13, v2, 27, 4
	v_lshlrev_b32_sdwa v2, v15, v2 dst_sel:DWORD dst_unused:UNUSED_PAD src0_sel:DWORD src1_sel:BYTE_3
	v_sub_u32_e32 v14, 29, v14
	v_and_b32_e32 v2, 7, v2
	v_cmp_eq_u16_e32 vcc, 0, v12
	v_cndmask_b32_e32 v2, v6, v2, vcc
	v_cndmask_b32_e32 v6, v13, v14, vcc
	v_mov_b32_e32 v12, 0x3b800000
	v_lshlrev_b32_e32 v2, 20, v2
	v_lshl_add_u32 v6, v6, 23, v12
	v_or3_b32 v6, v11, v6, v2
.LBB46_672:
	s_or_b64 exec, exec, s[6:7]
	s_nop 0
	v_mfma_f32_16x16x4f32 a[0:3], v10, v6, a[0:3]
	s_movk_i32 s4, 0x7f
	v_cmp_gt_i16_sdwa s[6:7], v7, s4 src0_sel:BYTE_0 src1_sel:DWORD
	s_mov_b64 s[4:5], 0
                                        ; implicit-def: $sgpr10
	s_and_saveexec_b64 s[8:9], s[6:7]
	s_xor_b64 s[6:7], exec, s[8:9]
	s_cbranch_execnz .LBB46_2721
; %bb.673:
	s_or_saveexec_b64 s[6:7], s[6:7]
	v_mov_b32_e32 v2, s10
	s_xor_b64 exec, exec, s[6:7]
	s_cbranch_execnz .LBB46_2724
.LBB46_674:
	s_or_b64 exec, exec, s[6:7]
	s_and_saveexec_b64 s[6:7], s[4:5]
	s_cbranch_execz .LBB46_676
.LBB46_675:
	v_and_b32_e32 v2, 7, v7
	v_ffbh_u32_e32 v10, v2
	v_min_u32_e32 v10, 32, v10
	v_lshrrev_b16_e32 v6, 3, v7
	v_subrev_u32_e32 v11, 28, v10
	v_and_b32_e32 v6, 15, v6
	v_lshlrev_b32_e32 v11, v11, v7
	v_sub_u32_e32 v10, 29, v10
	v_and_b32_e32 v11, 7, v11
	v_cmp_eq_u16_e32 vcc, 0, v6
	v_cndmask_b32_e32 v2, v2, v11, vcc
	v_cndmask_b32_e32 v6, v6, v10, vcc
	v_lshlrev_b32_e32 v10, 24, v7
	v_mov_b32_e32 v11, 0x3b800000
	v_lshlrev_b32_e32 v2, 20, v2
	v_and_b32_e32 v10, 0x80000000, v10
	v_lshl_add_u32 v6, v6, 23, v11
	v_or3_b32 v2, v10, v6, v2
.LBB46_676:
	s_or_b64 exec, exec, s[6:7]
	s_movk_i32 s4, 0x7f
	v_cmp_gt_i16_sdwa s[6:7], v3, s4 src0_sel:BYTE_0 src1_sel:DWORD
	s_mov_b64 s[4:5], 0
                                        ; implicit-def: $sgpr10
	s_and_saveexec_b64 s[8:9], s[6:7]
	s_xor_b64 s[6:7], exec, s[8:9]
	s_cbranch_execnz .LBB46_2725
; %bb.677:
	s_or_saveexec_b64 s[6:7], s[6:7]
	v_mov_b32_e32 v6, s10
	s_xor_b64 exec, exec, s[6:7]
	s_cbranch_execnz .LBB46_2728
.LBB46_678:
	s_or_b64 exec, exec, s[6:7]
	s_and_saveexec_b64 s[6:7], s[4:5]
	s_cbranch_execz .LBB46_680
.LBB46_679:
	v_and_b32_e32 v6, 7, v3
	v_ffbh_u32_e32 v11, v6
	v_min_u32_e32 v11, 32, v11
	v_lshrrev_b16_e32 v10, 3, v3
	v_subrev_u32_e32 v12, 28, v11
	v_and_b32_e32 v10, 15, v10
	v_lshlrev_b32_e32 v12, v12, v3
	v_sub_u32_e32 v11, 29, v11
	v_and_b32_e32 v12, 7, v12
	v_cmp_eq_u16_e32 vcc, 0, v10
	v_cndmask_b32_e32 v6, v6, v12, vcc
	v_cndmask_b32_e32 v10, v10, v11, vcc
	v_lshlrev_b32_e32 v11, 24, v3
	v_mov_b32_e32 v12, 0x3b800000
	v_lshlrev_b32_e32 v6, 20, v6
	v_and_b32_e32 v11, 0x80000000, v11
	v_lshl_add_u32 v10, v10, 23, v12
	v_or3_b32 v6, v11, v10, v6
.LBB46_680:
	s_or_b64 exec, exec, s[6:7]
	s_nop 0
	v_mfma_f32_16x16x4f32 a[0:3], v2, v6, a[0:3]
	v_lshrrev_b32_e32 v6, 8, v7
	s_movk_i32 s4, 0x7f
	v_cmp_gt_i16_sdwa s[6:7], v6, s4 src0_sel:BYTE_0 src1_sel:DWORD
	s_mov_b64 s[4:5], 0
                                        ; implicit-def: $sgpr10
	s_and_saveexec_b64 s[8:9], s[6:7]
	s_xor_b64 s[6:7], exec, s[8:9]
	s_cbranch_execnz .LBB46_2729
; %bb.681:
	s_or_saveexec_b64 s[6:7], s[6:7]
	v_mov_b32_e32 v2, s10
	s_xor_b64 exec, exec, s[6:7]
	s_cbranch_execnz .LBB46_2732
.LBB46_682:
	s_or_b64 exec, exec, s[6:7]
	s_and_saveexec_b64 s[6:7], s[4:5]
	s_cbranch_execz .LBB46_684
.LBB46_683:
	v_bfe_u32 v2, v7, 8, 3
	v_ffbh_u32_e32 v11, v2
	v_min_u32_e32 v11, 32, v11
	v_lshrrev_b16_e32 v10, 3, v6
	v_subrev_u32_e32 v12, 28, v11
	v_and_b32_e32 v10, 15, v10
	v_lshlrev_b32_e32 v6, v12, v6
	v_sub_u32_e32 v11, 29, v11
	v_and_b32_e32 v6, 7, v6
	v_cmp_eq_u16_e32 vcc, 0, v10
	v_cndmask_b32_e32 v2, v2, v6, vcc
	v_cndmask_b32_e32 v6, v10, v11, vcc
	v_lshlrev_b32_e32 v10, 16, v7
	v_mov_b32_e32 v11, 0x3b800000
	v_lshlrev_b32_e32 v2, 20, v2
	v_and_b32_e32 v10, 0x80000000, v10
	v_lshl_add_u32 v6, v6, 23, v11
	v_or3_b32 v2, v10, v6, v2
.LBB46_684:
	s_or_b64 exec, exec, s[6:7]
	v_lshrrev_b32_e32 v6, 8, v3
	s_movk_i32 s4, 0x7f
	v_cmp_gt_i16_sdwa s[6:7], v6, s4 src0_sel:BYTE_0 src1_sel:DWORD
	s_mov_b64 s[4:5], 0
                                        ; implicit-def: $sgpr10
	s_and_saveexec_b64 s[8:9], s[6:7]
	s_xor_b64 s[6:7], exec, s[8:9]
	s_cbranch_execnz .LBB46_2733
; %bb.685:
	s_or_saveexec_b64 s[6:7], s[6:7]
	v_mov_b32_e32 v10, s10
	s_xor_b64 exec, exec, s[6:7]
	s_cbranch_execnz .LBB46_2736
.LBB46_686:
	s_or_b64 exec, exec, s[6:7]
	s_and_saveexec_b64 s[6:7], s[4:5]
	s_cbranch_execz .LBB46_688
.LBB46_687:
	v_bfe_u32 v10, v3, 8, 3
	v_ffbh_u32_e32 v12, v10
	v_min_u32_e32 v12, 32, v12
	v_lshrrev_b16_e32 v11, 3, v6
	v_subrev_u32_e32 v13, 28, v12
	v_and_b32_e32 v11, 15, v11
	v_lshlrev_b32_e32 v6, v13, v6
	v_sub_u32_e32 v12, 29, v12
	v_and_b32_e32 v6, 7, v6
	v_cmp_eq_u16_e32 vcc, 0, v11
	v_cndmask_b32_e32 v6, v10, v6, vcc
	v_cndmask_b32_e32 v10, v11, v12, vcc
	v_lshlrev_b32_e32 v11, 16, v3
	v_mov_b32_e32 v12, 0x3b800000
	v_lshlrev_b32_e32 v6, 20, v6
	v_and_b32_e32 v11, 0x80000000, v11
	v_lshl_add_u32 v10, v10, 23, v12
	v_or3_b32 v10, v11, v10, v6
.LBB46_688:
	s_or_b64 exec, exec, s[6:7]
	s_nop 0
	v_mfma_f32_16x16x4f32 a[0:3], v2, v10, a[0:3]
	s_movk_i32 s4, 0xff
	v_and_b32_sdwa v6, v7, s4 dst_sel:DWORD dst_unused:UNUSED_PAD src0_sel:WORD_1 src1_sel:DWORD
	s_movk_i32 s4, 0x7f
	v_cmp_lt_i16_e32 vcc, s4, v6
	s_mov_b64 s[4:5], 0
                                        ; implicit-def: $sgpr10
	s_and_saveexec_b64 s[6:7], vcc
	s_xor_b64 s[6:7], exec, s[6:7]
	s_cbranch_execnz .LBB46_2737
; %bb.689:
	s_or_saveexec_b64 s[6:7], s[6:7]
	v_mov_b32_e32 v2, s10
	s_xor_b64 exec, exec, s[6:7]
	s_cbranch_execnz .LBB46_2740
.LBB46_690:
	s_or_b64 exec, exec, s[6:7]
	s_and_saveexec_b64 s[6:7], s[4:5]
	s_cbranch_execz .LBB46_692
.LBB46_691:
	v_bfe_u32 v2, v7, 16, 3
	v_ffbh_u32_e32 v11, v2
	v_min_u32_e32 v11, 32, v11
	v_lshrrev_b32_e32 v6, 19, v7
	v_subrev_u32_e32 v12, 28, v11
	v_and_b32_e32 v6, 15, v6
	v_lshlrev_b32_sdwa v12, v12, v7 dst_sel:DWORD dst_unused:UNUSED_PAD src0_sel:DWORD src1_sel:WORD_1
	v_bfe_u32 v10, v7, 19, 4
	v_sub_u32_e32 v11, 29, v11
	v_and_b32_e32 v12, 7, v12
	v_cmp_eq_u16_e32 vcc, 0, v6
	v_cndmask_b32_e32 v2, v2, v12, vcc
	v_cndmask_b32_e32 v6, v10, v11, vcc
	v_lshlrev_b32_e32 v10, 8, v7
	v_mov_b32_e32 v11, 0x3b800000
	v_lshlrev_b32_e32 v2, 20, v2
	v_and_b32_e32 v10, 0x80000000, v10
	v_lshl_add_u32 v6, v6, 23, v11
	v_or3_b32 v2, v10, v6, v2
.LBB46_692:
	s_or_b64 exec, exec, s[6:7]
	s_movk_i32 s4, 0xff
	v_and_b32_sdwa v6, v3, s4 dst_sel:DWORD dst_unused:UNUSED_PAD src0_sel:WORD_1 src1_sel:DWORD
	s_movk_i32 s4, 0x7f
	v_cmp_lt_i16_e32 vcc, s4, v6
	s_mov_b64 s[4:5], 0
                                        ; implicit-def: $sgpr10
	s_and_saveexec_b64 s[6:7], vcc
	s_xor_b64 s[6:7], exec, s[6:7]
	s_cbranch_execnz .LBB46_2741
; %bb.693:
	s_or_saveexec_b64 s[6:7], s[6:7]
	v_mov_b32_e32 v10, s10
	s_xor_b64 exec, exec, s[6:7]
	s_cbranch_execnz .LBB46_2744
.LBB46_694:
	s_or_b64 exec, exec, s[6:7]
	s_and_saveexec_b64 s[6:7], s[4:5]
	s_cbranch_execz .LBB46_696
.LBB46_695:
	v_bfe_u32 v6, v3, 16, 3
	v_ffbh_u32_e32 v12, v6
	v_min_u32_e32 v12, 32, v12
	v_lshrrev_b32_e32 v10, 19, v3
	v_subrev_u32_e32 v13, 28, v12
	v_and_b32_e32 v10, 15, v10
	v_lshlrev_b32_sdwa v13, v13, v3 dst_sel:DWORD dst_unused:UNUSED_PAD src0_sel:DWORD src1_sel:WORD_1
	v_bfe_u32 v11, v3, 19, 4
	v_sub_u32_e32 v12, 29, v12
	v_and_b32_e32 v13, 7, v13
	v_cmp_eq_u16_e32 vcc, 0, v10
	v_cndmask_b32_e32 v6, v6, v13, vcc
	v_cndmask_b32_e32 v10, v11, v12, vcc
	v_lshlrev_b32_e32 v11, 8, v3
	v_mov_b32_e32 v12, 0x3b800000
	v_lshlrev_b32_e32 v6, 20, v6
	v_and_b32_e32 v11, 0x80000000, v11
	v_lshl_add_u32 v10, v10, 23, v12
	v_or3_b32 v10, v11, v10, v6
.LBB46_696:
	s_or_b64 exec, exec, s[6:7]
	s_nop 0
	v_mfma_f32_16x16x4f32 a[0:3], v2, v10, a[0:3]
	s_movk_i32 s4, 0x7f
	v_cmp_gt_i16_sdwa s[6:7], v7, s4 src0_sel:BYTE_3 src1_sel:DWORD
	s_mov_b64 s[4:5], 0
                                        ; implicit-def: $sgpr10
	s_and_saveexec_b64 s[8:9], s[6:7]
	s_xor_b64 s[6:7], exec, s[8:9]
	s_cbranch_execnz .LBB46_2745
; %bb.697:
	s_or_saveexec_b64 s[6:7], s[6:7]
	v_mov_b32_e32 v2, s10
	s_xor_b64 exec, exec, s[6:7]
	s_cbranch_execnz .LBB46_2748
.LBB46_698:
	s_or_b64 exec, exec, s[6:7]
	s_and_saveexec_b64 s[6:7], s[4:5]
	s_cbranch_execz .LBB46_700
.LBB46_699:
	v_bfe_u32 v2, v7, 24, 3
	v_ffbh_u32_e32 v12, v2
	v_min_u32_e32 v12, 32, v12
	v_lshrrev_b32_e32 v10, 27, v7
	v_subrev_u32_e32 v13, 28, v12
	v_and_b32_e32 v6, 0x80000000, v7
	v_and_b32_e32 v10, 15, v10
	v_bfe_u32 v11, v7, 27, 4
	v_lshlrev_b32_sdwa v7, v13, v7 dst_sel:DWORD dst_unused:UNUSED_PAD src0_sel:DWORD src1_sel:BYTE_3
	v_sub_u32_e32 v12, 29, v12
	v_and_b32_e32 v7, 7, v7
	v_cmp_eq_u16_e32 vcc, 0, v10
	v_cndmask_b32_e32 v2, v2, v7, vcc
	v_cndmask_b32_e32 v7, v11, v12, vcc
	v_mov_b32_e32 v10, 0x3b800000
	v_lshlrev_b32_e32 v2, 20, v2
	v_lshl_add_u32 v7, v7, 23, v10
	v_or3_b32 v2, v6, v7, v2
.LBB46_700:
	s_or_b64 exec, exec, s[6:7]
	s_movk_i32 s4, 0x7f
	v_cmp_gt_i16_sdwa s[6:7], v3, s4 src0_sel:BYTE_3 src1_sel:DWORD
	s_mov_b64 s[4:5], 0
                                        ; implicit-def: $sgpr10
	s_and_saveexec_b64 s[8:9], s[6:7]
	s_xor_b64 s[6:7], exec, s[8:9]
	s_cbranch_execnz .LBB46_2749
; %bb.701:
	s_or_saveexec_b64 s[6:7], s[6:7]
	v_mov_b32_e32 v6, s10
	s_xor_b64 exec, exec, s[6:7]
	s_cbranch_execnz .LBB46_2752
.LBB46_702:
	s_or_b64 exec, exec, s[6:7]
	s_and_saveexec_b64 s[6:7], s[4:5]
	s_cbranch_execz .LBB46_704
.LBB46_703:
	v_bfe_u32 v6, v3, 24, 3
	v_ffbh_u32_e32 v12, v6
	v_min_u32_e32 v12, 32, v12
	v_lshrrev_b32_e32 v10, 27, v3
	v_subrev_u32_e32 v13, 28, v12
	v_and_b32_e32 v7, 0x80000000, v3
	v_and_b32_e32 v10, 15, v10
	v_bfe_u32 v11, v3, 27, 4
	v_lshlrev_b32_sdwa v3, v13, v3 dst_sel:DWORD dst_unused:UNUSED_PAD src0_sel:DWORD src1_sel:BYTE_3
	v_sub_u32_e32 v12, 29, v12
	v_and_b32_e32 v3, 7, v3
	v_cmp_eq_u16_e32 vcc, 0, v10
	v_cndmask_b32_e32 v3, v6, v3, vcc
	v_cndmask_b32_e32 v6, v11, v12, vcc
	v_mov_b32_e32 v10, 0x3b800000
	v_lshlrev_b32_e32 v3, 20, v3
	v_lshl_add_u32 v6, v6, 23, v10
	v_or3_b32 v6, v7, v6, v3
.LBB46_704:
	s_or_b64 exec, exec, s[6:7]
	s_nop 0
	v_mfma_f32_16x16x4f32 a[0:3], v2, v6, a[0:3]
	s_movk_i32 s4, 0x7f
	v_cmp_gt_i16_sdwa s[6:7], v8, s4 src0_sel:BYTE_0 src1_sel:DWORD
	s_mov_b64 s[4:5], 0
                                        ; implicit-def: $sgpr10
	s_and_saveexec_b64 s[8:9], s[6:7]
	s_xor_b64 s[6:7], exec, s[8:9]
	s_cbranch_execnz .LBB46_2753
; %bb.705:
	s_or_saveexec_b64 s[6:7], s[6:7]
	v_mov_b32_e32 v2, s10
	s_xor_b64 exec, exec, s[6:7]
	s_cbranch_execnz .LBB46_2756
.LBB46_706:
	s_or_b64 exec, exec, s[6:7]
	s_and_saveexec_b64 s[6:7], s[4:5]
	s_cbranch_execz .LBB46_708
.LBB46_707:
	v_and_b32_e32 v2, 7, v8
	v_ffbh_u32_e32 v6, v2
	v_min_u32_e32 v6, 32, v6
	v_lshrrev_b16_e32 v3, 3, v8
	v_subrev_u32_e32 v7, 28, v6
	v_and_b32_e32 v3, 15, v3
	v_lshlrev_b32_e32 v7, v7, v8
	v_sub_u32_e32 v6, 29, v6
	v_and_b32_e32 v7, 7, v7
	v_cmp_eq_u16_e32 vcc, 0, v3
	v_cndmask_b32_e32 v2, v2, v7, vcc
	v_cndmask_b32_e32 v3, v3, v6, vcc
	v_lshlrev_b32_e32 v6, 24, v8
	v_mov_b32_e32 v7, 0x3b800000
	v_lshlrev_b32_e32 v2, 20, v2
	v_and_b32_e32 v6, 0x80000000, v6
	v_lshl_add_u32 v3, v3, 23, v7
	v_or3_b32 v2, v6, v3, v2
.LBB46_708:
	s_or_b64 exec, exec, s[6:7]
	s_movk_i32 s4, 0x7f
	v_cmp_gt_i16_sdwa s[6:7], v4, s4 src0_sel:BYTE_0 src1_sel:DWORD
	s_mov_b64 s[4:5], 0
                                        ; implicit-def: $sgpr10
	s_and_saveexec_b64 s[8:9], s[6:7]
	s_xor_b64 s[6:7], exec, s[8:9]
	s_cbranch_execnz .LBB46_2757
; %bb.709:
	s_or_saveexec_b64 s[6:7], s[6:7]
	v_mov_b32_e32 v3, s10
	s_xor_b64 exec, exec, s[6:7]
	s_cbranch_execnz .LBB46_2760
.LBB46_710:
	s_or_b64 exec, exec, s[6:7]
	s_and_saveexec_b64 s[6:7], s[4:5]
	s_cbranch_execz .LBB46_712
.LBB46_711:
	v_and_b32_e32 v3, 7, v4
	v_ffbh_u32_e32 v7, v3
	v_min_u32_e32 v7, 32, v7
	v_lshrrev_b16_e32 v6, 3, v4
	v_subrev_u32_e32 v10, 28, v7
	v_and_b32_e32 v6, 15, v6
	v_lshlrev_b32_e32 v10, v10, v4
	v_sub_u32_e32 v7, 29, v7
	v_and_b32_e32 v10, 7, v10
	v_cmp_eq_u16_e32 vcc, 0, v6
	v_cndmask_b32_e32 v3, v3, v10, vcc
	v_cndmask_b32_e32 v6, v6, v7, vcc
	v_lshlrev_b32_e32 v7, 24, v4
	v_mov_b32_e32 v10, 0x3b800000
	v_lshlrev_b32_e32 v3, 20, v3
	v_and_b32_e32 v7, 0x80000000, v7
	v_lshl_add_u32 v6, v6, 23, v10
	v_or3_b32 v3, v7, v6, v3
.LBB46_712:
	s_or_b64 exec, exec, s[6:7]
	s_nop 0
	v_mfma_f32_16x16x4f32 a[0:3], v2, v3, a[0:3]
	v_lshrrev_b32_e32 v3, 8, v8
	s_movk_i32 s4, 0x7f
	v_cmp_gt_i16_sdwa s[6:7], v3, s4 src0_sel:BYTE_0 src1_sel:DWORD
	s_mov_b64 s[4:5], 0
                                        ; implicit-def: $sgpr10
	s_and_saveexec_b64 s[8:9], s[6:7]
	s_xor_b64 s[6:7], exec, s[8:9]
	s_cbranch_execnz .LBB46_2761
; %bb.713:
	s_or_saveexec_b64 s[6:7], s[6:7]
	v_mov_b32_e32 v2, s10
	s_xor_b64 exec, exec, s[6:7]
	s_cbranch_execnz .LBB46_2764
.LBB46_714:
	s_or_b64 exec, exec, s[6:7]
	s_and_saveexec_b64 s[6:7], s[4:5]
	s_cbranch_execz .LBB46_716
.LBB46_715:
	v_bfe_u32 v2, v8, 8, 3
	v_ffbh_u32_e32 v7, v2
	v_min_u32_e32 v7, 32, v7
	v_lshrrev_b16_e32 v6, 3, v3
	v_subrev_u32_e32 v10, 28, v7
	v_and_b32_e32 v6, 15, v6
	v_lshlrev_b32_e32 v3, v10, v3
	v_sub_u32_e32 v7, 29, v7
	v_and_b32_e32 v3, 7, v3
	v_cmp_eq_u16_e32 vcc, 0, v6
	v_cndmask_b32_e32 v2, v2, v3, vcc
	v_cndmask_b32_e32 v3, v6, v7, vcc
	v_lshlrev_b32_e32 v6, 16, v8
	v_mov_b32_e32 v7, 0x3b800000
	v_lshlrev_b32_e32 v2, 20, v2
	v_and_b32_e32 v6, 0x80000000, v6
	v_lshl_add_u32 v3, v3, 23, v7
	v_or3_b32 v2, v6, v3, v2
.LBB46_716:
	s_or_b64 exec, exec, s[6:7]
	v_lshrrev_b32_e32 v3, 8, v4
	s_movk_i32 s4, 0x7f
	v_cmp_gt_i16_sdwa s[6:7], v3, s4 src0_sel:BYTE_0 src1_sel:DWORD
	s_mov_b64 s[4:5], 0
                                        ; implicit-def: $sgpr10
	s_and_saveexec_b64 s[8:9], s[6:7]
	s_xor_b64 s[6:7], exec, s[8:9]
	s_cbranch_execnz .LBB46_2765
; %bb.717:
	s_or_saveexec_b64 s[6:7], s[6:7]
	v_mov_b32_e32 v6, s10
	s_xor_b64 exec, exec, s[6:7]
	s_cbranch_execnz .LBB46_2768
.LBB46_718:
	s_or_b64 exec, exec, s[6:7]
	s_and_saveexec_b64 s[6:7], s[4:5]
	s_cbranch_execz .LBB46_720
.LBB46_719:
	v_bfe_u32 v6, v4, 8, 3
	v_ffbh_u32_e32 v10, v6
	v_min_u32_e32 v10, 32, v10
	v_lshrrev_b16_e32 v7, 3, v3
	v_subrev_u32_e32 v11, 28, v10
	v_and_b32_e32 v7, 15, v7
	v_lshlrev_b32_e32 v3, v11, v3
	v_sub_u32_e32 v10, 29, v10
	v_and_b32_e32 v3, 7, v3
	v_cmp_eq_u16_e32 vcc, 0, v7
	v_cndmask_b32_e32 v3, v6, v3, vcc
	v_cndmask_b32_e32 v6, v7, v10, vcc
	v_lshlrev_b32_e32 v7, 16, v4
	v_mov_b32_e32 v10, 0x3b800000
	v_lshlrev_b32_e32 v3, 20, v3
	v_and_b32_e32 v7, 0x80000000, v7
	v_lshl_add_u32 v6, v6, 23, v10
	v_or3_b32 v6, v7, v6, v3
.LBB46_720:
	s_or_b64 exec, exec, s[6:7]
	s_nop 0
	v_mfma_f32_16x16x4f32 a[0:3], v2, v6, a[0:3]
	s_movk_i32 s4, 0xff
	v_and_b32_sdwa v3, v8, s4 dst_sel:DWORD dst_unused:UNUSED_PAD src0_sel:WORD_1 src1_sel:DWORD
	s_movk_i32 s4, 0x7f
	v_cmp_lt_i16_e32 vcc, s4, v3
	s_mov_b64 s[4:5], 0
                                        ; implicit-def: $sgpr10
	s_and_saveexec_b64 s[6:7], vcc
	s_xor_b64 s[6:7], exec, s[6:7]
	s_cbranch_execnz .LBB46_2769
; %bb.721:
	s_or_saveexec_b64 s[6:7], s[6:7]
	v_mov_b32_e32 v2, s10
	s_xor_b64 exec, exec, s[6:7]
	s_cbranch_execnz .LBB46_2772
.LBB46_722:
	s_or_b64 exec, exec, s[6:7]
	s_and_saveexec_b64 s[6:7], s[4:5]
	s_cbranch_execz .LBB46_724
.LBB46_723:
	v_bfe_u32 v2, v8, 16, 3
	v_ffbh_u32_e32 v7, v2
	v_min_u32_e32 v7, 32, v7
	v_lshrrev_b32_e32 v3, 19, v8
	v_subrev_u32_e32 v10, 28, v7
	v_and_b32_e32 v3, 15, v3
	v_lshlrev_b32_sdwa v10, v10, v8 dst_sel:DWORD dst_unused:UNUSED_PAD src0_sel:DWORD src1_sel:WORD_1
	v_bfe_u32 v6, v8, 19, 4
	v_sub_u32_e32 v7, 29, v7
	v_and_b32_e32 v10, 7, v10
	v_cmp_eq_u16_e32 vcc, 0, v3
	v_cndmask_b32_e32 v2, v2, v10, vcc
	v_cndmask_b32_e32 v3, v6, v7, vcc
	v_lshlrev_b32_e32 v6, 8, v8
	v_mov_b32_e32 v7, 0x3b800000
	v_lshlrev_b32_e32 v2, 20, v2
	v_and_b32_e32 v6, 0x80000000, v6
	v_lshl_add_u32 v3, v3, 23, v7
	v_or3_b32 v2, v6, v3, v2
.LBB46_724:
	s_or_b64 exec, exec, s[6:7]
	s_movk_i32 s4, 0xff
	v_and_b32_sdwa v3, v4, s4 dst_sel:DWORD dst_unused:UNUSED_PAD src0_sel:WORD_1 src1_sel:DWORD
	s_movk_i32 s4, 0x7f
	v_cmp_lt_i16_e32 vcc, s4, v3
	s_mov_b64 s[4:5], 0
                                        ; implicit-def: $sgpr10
	s_and_saveexec_b64 s[6:7], vcc
	s_xor_b64 s[6:7], exec, s[6:7]
	s_cbranch_execnz .LBB46_2773
; %bb.725:
	s_or_saveexec_b64 s[6:7], s[6:7]
	v_mov_b32_e32 v6, s10
	s_xor_b64 exec, exec, s[6:7]
	s_cbranch_execnz .LBB46_2776
.LBB46_726:
	s_or_b64 exec, exec, s[6:7]
	s_and_saveexec_b64 s[6:7], s[4:5]
	s_cbranch_execz .LBB46_728
.LBB46_727:
	v_bfe_u32 v3, v4, 16, 3
	v_ffbh_u32_e32 v10, v3
	v_min_u32_e32 v10, 32, v10
	v_lshrrev_b32_e32 v6, 19, v4
	v_subrev_u32_e32 v11, 28, v10
	v_and_b32_e32 v6, 15, v6
	v_lshlrev_b32_sdwa v11, v11, v4 dst_sel:DWORD dst_unused:UNUSED_PAD src0_sel:DWORD src1_sel:WORD_1
	v_bfe_u32 v7, v4, 19, 4
	v_sub_u32_e32 v10, 29, v10
	v_and_b32_e32 v11, 7, v11
	v_cmp_eq_u16_e32 vcc, 0, v6
	v_cndmask_b32_e32 v3, v3, v11, vcc
	v_cndmask_b32_e32 v6, v7, v10, vcc
	v_lshlrev_b32_e32 v7, 8, v4
	v_mov_b32_e32 v10, 0x3b800000
	v_lshlrev_b32_e32 v3, 20, v3
	v_and_b32_e32 v7, 0x80000000, v7
	v_lshl_add_u32 v6, v6, 23, v10
	v_or3_b32 v6, v7, v6, v3
.LBB46_728:
	s_or_b64 exec, exec, s[6:7]
	s_nop 0
	v_mfma_f32_16x16x4f32 a[0:3], v2, v6, a[0:3]
	s_movk_i32 s4, 0x7f
	v_cmp_gt_i16_sdwa s[6:7], v8, s4 src0_sel:BYTE_3 src1_sel:DWORD
	s_mov_b64 s[4:5], 0
                                        ; implicit-def: $sgpr10
	s_and_saveexec_b64 s[8:9], s[6:7]
	s_xor_b64 s[6:7], exec, s[8:9]
	s_cbranch_execnz .LBB46_2777
; %bb.729:
	s_or_saveexec_b64 s[6:7], s[6:7]
	v_mov_b32_e32 v2, s10
	s_xor_b64 exec, exec, s[6:7]
	s_cbranch_execnz .LBB46_2780
.LBB46_730:
	s_or_b64 exec, exec, s[6:7]
	s_and_saveexec_b64 s[6:7], s[4:5]
	s_cbranch_execz .LBB46_732
.LBB46_731:
	v_bfe_u32 v2, v8, 24, 3
	v_ffbh_u32_e32 v10, v2
	v_min_u32_e32 v10, 32, v10
	v_lshrrev_b32_e32 v6, 27, v8
	v_subrev_u32_e32 v11, 28, v10
	v_and_b32_e32 v3, 0x80000000, v8
	v_and_b32_e32 v6, 15, v6
	v_bfe_u32 v7, v8, 27, 4
	v_lshlrev_b32_sdwa v8, v11, v8 dst_sel:DWORD dst_unused:UNUSED_PAD src0_sel:DWORD src1_sel:BYTE_3
	v_sub_u32_e32 v10, 29, v10
	v_and_b32_e32 v8, 7, v8
	v_cmp_eq_u16_e32 vcc, 0, v6
	v_cndmask_b32_e32 v2, v2, v8, vcc
	v_cndmask_b32_e32 v6, v7, v10, vcc
	v_mov_b32_e32 v7, 0x3b800000
	v_lshlrev_b32_e32 v2, 20, v2
	v_lshl_add_u32 v6, v6, 23, v7
	v_or3_b32 v2, v3, v6, v2
.LBB46_732:
	s_or_b64 exec, exec, s[6:7]
	s_movk_i32 s4, 0x7f
	v_cmp_gt_i16_sdwa s[6:7], v4, s4 src0_sel:BYTE_3 src1_sel:DWORD
	s_mov_b64 s[4:5], 0
                                        ; implicit-def: $sgpr10
	s_and_saveexec_b64 s[8:9], s[6:7]
	s_xor_b64 s[6:7], exec, s[8:9]
	s_cbranch_execnz .LBB46_2781
; %bb.733:
	s_or_saveexec_b64 s[6:7], s[6:7]
	v_mov_b32_e32 v3, s10
	s_xor_b64 exec, exec, s[6:7]
	s_cbranch_execnz .LBB46_2784
.LBB46_734:
	s_or_b64 exec, exec, s[6:7]
	s_and_saveexec_b64 s[6:7], s[4:5]
	s_cbranch_execz .LBB46_736
.LBB46_735:
	v_bfe_u32 v3, v4, 24, 3
	v_ffbh_u32_e32 v10, v3
	v_min_u32_e32 v10, 32, v10
	v_lshrrev_b32_e32 v7, 27, v4
	v_subrev_u32_e32 v11, 28, v10
	v_and_b32_e32 v6, 0x80000000, v4
	v_and_b32_e32 v7, 15, v7
	v_bfe_u32 v8, v4, 27, 4
	v_lshlrev_b32_sdwa v4, v11, v4 dst_sel:DWORD dst_unused:UNUSED_PAD src0_sel:DWORD src1_sel:BYTE_3
	v_sub_u32_e32 v10, 29, v10
	v_and_b32_e32 v4, 7, v4
	v_cmp_eq_u16_e32 vcc, 0, v7
	v_cndmask_b32_e32 v3, v3, v4, vcc
	v_cndmask_b32_e32 v4, v8, v10, vcc
	v_mov_b32_e32 v7, 0x3b800000
	v_lshlrev_b32_e32 v3, 20, v3
	v_lshl_add_u32 v4, v4, 23, v7
	v_or3_b32 v3, v6, v4, v3
.LBB46_736:
	s_or_b64 exec, exec, s[6:7]
	s_nop 0
	v_mfma_f32_16x16x4f32 a[0:3], v2, v3, a[0:3]
	s_movk_i32 s4, 0x7f
	v_cmp_gt_i16_sdwa s[6:7], v9, s4 src0_sel:BYTE_0 src1_sel:DWORD
	s_mov_b64 s[4:5], 0
                                        ; implicit-def: $sgpr10
	s_and_saveexec_b64 s[8:9], s[6:7]
	s_xor_b64 s[6:7], exec, s[8:9]
	s_cbranch_execnz .LBB46_2785
; %bb.737:
	s_or_saveexec_b64 s[6:7], s[6:7]
	v_mov_b32_e32 v2, s10
	s_xor_b64 exec, exec, s[6:7]
	s_cbranch_execnz .LBB46_2788
.LBB46_738:
	s_or_b64 exec, exec, s[6:7]
	s_and_saveexec_b64 s[6:7], s[4:5]
	s_cbranch_execz .LBB46_740
.LBB46_739:
	v_mov_b32_e32 v2, 8
	v_and_b32_e32 v3, 7, v9
	v_lshrrev_b32_sdwa v2, v2, v9 dst_sel:BYTE_1 dst_unused:UNUSED_PAD src0_sel:DWORD src1_sel:DWORD
	v_ffbh_u32_e32 v4, v3
	v_or_b32_sdwa v2, v9, v2 dst_sel:DWORD dst_unused:UNUSED_PAD src0_sel:BYTE_0 src1_sel:DWORD
	v_min_u32_e32 v4, 32, v4
	v_lshrrev_b16_e32 v2, 3, v2
	v_subrev_u32_e32 v6, 28, v4
	v_and_b32_e32 v2, 15, v2
	v_lshlrev_b32_e32 v6, v6, v9
	v_sub_u32_e32 v4, 29, v4
	v_and_b32_e32 v6, 7, v6
	v_cmp_eq_u16_e32 vcc, 0, v2
	v_cndmask_b32_e32 v3, v3, v6, vcc
	v_cndmask_b32_e32 v2, v2, v4, vcc
	v_lshlrev_b32_e32 v4, 24, v9
	v_mov_b32_e32 v6, 0x3b800000
	v_lshlrev_b32_e32 v3, 20, v3
	v_and_b32_e32 v4, 0x80000000, v4
	v_lshl_add_u32 v2, v2, 23, v6
	v_or3_b32 v2, v4, v2, v3
.LBB46_740:
	s_or_b64 exec, exec, s[6:7]
	s_movk_i32 s4, 0x7f
	v_cmp_gt_i16_sdwa s[6:7], v5, s4 src0_sel:BYTE_0 src1_sel:DWORD
	s_mov_b64 s[4:5], 0
                                        ; implicit-def: $sgpr10
	s_and_saveexec_b64 s[8:9], s[6:7]
	s_xor_b64 s[6:7], exec, s[8:9]
	s_cbranch_execnz .LBB46_2789
; %bb.741:
	s_or_saveexec_b64 s[6:7], s[6:7]
	v_mov_b32_e32 v3, s10
	s_xor_b64 exec, exec, s[6:7]
	s_cbranch_execnz .LBB46_2792
.LBB46_742:
	s_or_b64 exec, exec, s[6:7]
	s_and_saveexec_b64 s[6:7], s[4:5]
	s_cbranch_execz .LBB46_744
.LBB46_743:
	v_mov_b32_e32 v3, 8
	v_and_b32_e32 v4, 7, v5
	v_lshrrev_b32_sdwa v3, v3, v5 dst_sel:BYTE_1 dst_unused:UNUSED_PAD src0_sel:DWORD src1_sel:DWORD
	v_ffbh_u32_e32 v6, v4
	v_or_b32_sdwa v3, v5, v3 dst_sel:DWORD dst_unused:UNUSED_PAD src0_sel:BYTE_0 src1_sel:DWORD
	v_min_u32_e32 v6, 32, v6
	v_lshrrev_b16_e32 v3, 3, v3
	v_subrev_u32_e32 v7, 28, v6
	v_and_b32_e32 v3, 15, v3
	v_lshlrev_b32_e32 v7, v7, v5
	v_sub_u32_e32 v6, 29, v6
	v_and_b32_e32 v7, 7, v7
	v_cmp_eq_u16_e32 vcc, 0, v3
	v_cndmask_b32_e32 v4, v4, v7, vcc
	v_cndmask_b32_e32 v3, v3, v6, vcc
	v_lshlrev_b32_e32 v6, 24, v5
	v_mov_b32_e32 v7, 0x3b800000
	v_lshlrev_b32_e32 v4, 20, v4
	v_and_b32_e32 v6, 0x80000000, v6
	v_lshl_add_u32 v3, v3, 23, v7
	v_or3_b32 v3, v6, v3, v4
.LBB46_744:
	s_or_b64 exec, exec, s[6:7]
	s_nop 0
	v_mfma_f32_16x16x4f32 a[0:3], v2, v3, a[0:3]
	v_lshrrev_b32_e32 v3, 8, v9
	s_movk_i32 s4, 0x7f
	v_cmp_gt_i16_sdwa s[6:7], v3, s4 src0_sel:BYTE_0 src1_sel:DWORD
	s_mov_b64 s[4:5], 0
                                        ; implicit-def: $sgpr10
	s_and_saveexec_b64 s[8:9], s[6:7]
	s_xor_b64 s[6:7], exec, s[8:9]
	s_cbranch_execnz .LBB46_2793
; %bb.745:
	s_or_saveexec_b64 s[6:7], s[6:7]
	v_mov_b32_e32 v2, s10
	s_xor_b64 exec, exec, s[6:7]
	s_cbranch_execnz .LBB46_2796
.LBB46_746:
	s_or_b64 exec, exec, s[6:7]
	s_and_saveexec_b64 s[6:7], s[4:5]
	s_cbranch_execz .LBB46_748
.LBB46_747:
	v_bfe_u32 v2, v9, 8, 3
	v_ffbh_u32_e32 v6, v2
	v_min_u32_e32 v6, 32, v6
	v_lshrrev_b16_e32 v4, 3, v3
	v_subrev_u32_e32 v7, 28, v6
	v_and_b32_e32 v4, 15, v4
	v_lshlrev_b32_e32 v3, v7, v3
	v_sub_u32_e32 v6, 29, v6
	v_and_b32_e32 v3, 7, v3
	v_cmp_eq_u16_e32 vcc, 0, v4
	v_cndmask_b32_e32 v2, v2, v3, vcc
	v_cndmask_b32_e32 v3, v4, v6, vcc
	v_lshlrev_b32_e32 v4, 16, v9
	v_mov_b32_e32 v6, 0x3b800000
	v_lshlrev_b32_e32 v2, 20, v2
	v_and_b32_e32 v4, 0x80000000, v4
	v_lshl_add_u32 v3, v3, 23, v6
	v_or3_b32 v2, v4, v3, v2
.LBB46_748:
	s_or_b64 exec, exec, s[6:7]
	v_lshrrev_b32_e32 v3, 8, v5
	s_movk_i32 s4, 0x7f
	v_cmp_gt_i16_sdwa s[6:7], v3, s4 src0_sel:BYTE_0 src1_sel:DWORD
	s_mov_b64 s[4:5], 0
                                        ; implicit-def: $sgpr10
	s_and_saveexec_b64 s[8:9], s[6:7]
	s_xor_b64 s[6:7], exec, s[8:9]
	s_cbranch_execnz .LBB46_2797
; %bb.749:
	s_or_saveexec_b64 s[6:7], s[6:7]
	v_mov_b32_e32 v4, s10
	s_xor_b64 exec, exec, s[6:7]
	s_cbranch_execnz .LBB46_2800
.LBB46_750:
	s_or_b64 exec, exec, s[6:7]
	s_and_saveexec_b64 s[6:7], s[4:5]
	s_cbranch_execz .LBB46_752
.LBB46_751:
	v_bfe_u32 v4, v5, 8, 3
	v_ffbh_u32_e32 v7, v4
	v_min_u32_e32 v7, 32, v7
	v_lshrrev_b16_e32 v6, 3, v3
	v_subrev_u32_e32 v8, 28, v7
	v_and_b32_e32 v6, 15, v6
	v_lshlrev_b32_e32 v3, v8, v3
	v_sub_u32_e32 v7, 29, v7
	v_and_b32_e32 v3, 7, v3
	v_cmp_eq_u16_e32 vcc, 0, v6
	v_cndmask_b32_e32 v3, v4, v3, vcc
	v_cndmask_b32_e32 v4, v6, v7, vcc
	v_lshlrev_b32_e32 v6, 16, v5
	v_mov_b32_e32 v7, 0x3b800000
	v_lshlrev_b32_e32 v3, 20, v3
	v_and_b32_e32 v6, 0x80000000, v6
	v_lshl_add_u32 v4, v4, 23, v7
	v_or3_b32 v4, v6, v4, v3
.LBB46_752:
	s_or_b64 exec, exec, s[6:7]
	s_nop 0
	v_mfma_f32_16x16x4f32 a[0:3], v2, v4, a[0:3]
	s_movk_i32 s4, 0xff
	v_and_b32_sdwa v3, v9, s4 dst_sel:DWORD dst_unused:UNUSED_PAD src0_sel:WORD_1 src1_sel:DWORD
	s_movk_i32 s4, 0x7f
	v_cmp_lt_i16_e32 vcc, s4, v3
	s_mov_b64 s[4:5], 0
                                        ; implicit-def: $sgpr10
	s_and_saveexec_b64 s[6:7], vcc
	s_xor_b64 s[6:7], exec, s[6:7]
	s_cbranch_execnz .LBB46_2801
; %bb.753:
	s_or_saveexec_b64 s[6:7], s[6:7]
	v_mov_b32_e32 v2, s10
	s_xor_b64 exec, exec, s[6:7]
	s_cbranch_execnz .LBB46_2804
.LBB46_754:
	s_or_b64 exec, exec, s[6:7]
	s_and_saveexec_b64 s[6:7], s[4:5]
	s_cbranch_execz .LBB46_756
.LBB46_755:
	v_bfe_u32 v2, v9, 16, 3
	v_ffbh_u32_e32 v6, v2
	v_min_u32_e32 v6, 32, v6
	v_lshrrev_b32_e32 v3, 19, v9
	v_subrev_u32_e32 v7, 28, v6
	v_and_b32_e32 v3, 15, v3
	v_lshlrev_b32_sdwa v7, v7, v9 dst_sel:DWORD dst_unused:UNUSED_PAD src0_sel:DWORD src1_sel:WORD_1
	v_bfe_u32 v4, v9, 19, 4
	v_sub_u32_e32 v6, 29, v6
	v_and_b32_e32 v7, 7, v7
	v_cmp_eq_u16_e32 vcc, 0, v3
	v_cndmask_b32_e32 v2, v2, v7, vcc
	v_cndmask_b32_e32 v3, v4, v6, vcc
	v_lshlrev_b32_e32 v4, 8, v9
	v_mov_b32_e32 v6, 0x3b800000
	v_lshlrev_b32_e32 v2, 20, v2
	v_and_b32_e32 v4, 0x80000000, v4
	v_lshl_add_u32 v3, v3, 23, v6
	v_or3_b32 v2, v4, v3, v2
.LBB46_756:
	s_or_b64 exec, exec, s[6:7]
	s_movk_i32 s4, 0xff
	v_and_b32_sdwa v3, v5, s4 dst_sel:DWORD dst_unused:UNUSED_PAD src0_sel:WORD_1 src1_sel:DWORD
	s_movk_i32 s4, 0x7f
	v_cmp_lt_i16_e32 vcc, s4, v3
	s_mov_b64 s[4:5], 0
                                        ; implicit-def: $sgpr10
	s_and_saveexec_b64 s[6:7], vcc
	s_xor_b64 s[6:7], exec, s[6:7]
	s_cbranch_execnz .LBB46_2805
; %bb.757:
	s_or_saveexec_b64 s[6:7], s[6:7]
	v_mov_b32_e32 v4, s10
	s_xor_b64 exec, exec, s[6:7]
	s_cbranch_execnz .LBB46_2808
.LBB46_758:
	s_or_b64 exec, exec, s[6:7]
	s_and_saveexec_b64 s[6:7], s[4:5]
	s_cbranch_execz .LBB46_760
.LBB46_759:
	v_bfe_u32 v3, v5, 16, 3
	v_ffbh_u32_e32 v7, v3
	v_min_u32_e32 v7, 32, v7
	v_lshrrev_b32_e32 v4, 19, v5
	v_subrev_u32_e32 v8, 28, v7
	v_and_b32_e32 v4, 15, v4
	v_lshlrev_b32_sdwa v8, v8, v5 dst_sel:DWORD dst_unused:UNUSED_PAD src0_sel:DWORD src1_sel:WORD_1
	v_bfe_u32 v6, v5, 19, 4
	v_sub_u32_e32 v7, 29, v7
	v_and_b32_e32 v8, 7, v8
	v_cmp_eq_u16_e32 vcc, 0, v4
	v_cndmask_b32_e32 v3, v3, v8, vcc
	v_cndmask_b32_e32 v4, v6, v7, vcc
	v_lshlrev_b32_e32 v6, 8, v5
	v_mov_b32_e32 v7, 0x3b800000
	v_lshlrev_b32_e32 v3, 20, v3
	v_and_b32_e32 v6, 0x80000000, v6
	v_lshl_add_u32 v4, v4, 23, v7
	v_or3_b32 v4, v6, v4, v3
.LBB46_760:
	s_or_b64 exec, exec, s[6:7]
	s_nop 0
	v_mfma_f32_16x16x4f32 a[0:3], v2, v4, a[0:3]
	s_movk_i32 s4, 0x7f
	v_cmp_gt_i16_sdwa s[6:7], v9, s4 src0_sel:BYTE_3 src1_sel:DWORD
	s_mov_b64 s[4:5], 0
                                        ; implicit-def: $sgpr10
	s_and_saveexec_b64 s[8:9], s[6:7]
	s_xor_b64 s[6:7], exec, s[8:9]
	s_cbranch_execnz .LBB46_2809
; %bb.761:
	s_or_saveexec_b64 s[6:7], s[6:7]
	v_mov_b32_e32 v2, s10
	s_xor_b64 exec, exec, s[6:7]
	s_cbranch_execnz .LBB46_2812
.LBB46_762:
	s_or_b64 exec, exec, s[6:7]
	s_and_saveexec_b64 s[6:7], s[4:5]
	s_cbranch_execz .LBB46_764
.LBB46_763:
	v_bfe_u32 v2, v9, 24, 3
	v_ffbh_u32_e32 v7, v2
	v_min_u32_e32 v7, 32, v7
	v_lshrrev_b32_e32 v4, 27, v9
	v_subrev_u32_e32 v8, 28, v7
	v_and_b32_e32 v4, 15, v4
	v_lshlrev_b32_sdwa v8, v8, v9 dst_sel:DWORD dst_unused:UNUSED_PAD src0_sel:DWORD src1_sel:BYTE_3
	v_bfe_u32 v6, v9, 27, 4
	v_sub_u32_e32 v7, 29, v7
	v_and_b32_e32 v8, 7, v8
	v_cmp_eq_u16_e32 vcc, 0, v4
	v_cndmask_b32_e32 v2, v2, v8, vcc
	v_cndmask_b32_e32 v4, v6, v7, vcc
	v_mov_b32_e32 v6, 0x3b800000
	v_and_b32_e32 v3, 0x80000000, v9
	v_lshlrev_b32_e32 v2, 20, v2
	v_lshl_add_u32 v4, v4, 23, v6
	v_or3_b32 v2, v3, v4, v2
.LBB46_764:
	s_or_b64 exec, exec, s[6:7]
	s_movk_i32 s4, 0x7f
	v_cmp_gt_i16_sdwa s[6:7], v5, s4 src0_sel:BYTE_3 src1_sel:DWORD
	s_mov_b64 s[4:5], 0
                                        ; implicit-def: $sgpr10
	s_and_saveexec_b64 s[8:9], s[6:7]
	s_xor_b64 s[6:7], exec, s[8:9]
	s_cbranch_execnz .LBB46_2813
; %bb.765:
	s_or_saveexec_b64 s[6:7], s[6:7]
	v_mov_b32_e32 v3, s10
	s_xor_b64 exec, exec, s[6:7]
	s_cbranch_execnz .LBB46_2816
.LBB46_766:
	s_or_b64 exec, exec, s[6:7]
	s_and_saveexec_b64 s[6:7], s[4:5]
	s_cbranch_execz .LBB46_768
.LBB46_767:
	v_bfe_u32 v3, v5, 24, 3
	v_ffbh_u32_e32 v8, v3
	v_min_u32_e32 v8, 32, v8
	v_lshrrev_b32_e32 v6, 27, v5
	v_subrev_u32_e32 v9, 28, v8
	v_and_b32_e32 v4, 0x80000000, v5
	v_and_b32_e32 v6, 15, v6
	v_bfe_u32 v7, v5, 27, 4
	v_lshlrev_b32_sdwa v5, v9, v5 dst_sel:DWORD dst_unused:UNUSED_PAD src0_sel:DWORD src1_sel:BYTE_3
	v_sub_u32_e32 v8, 29, v8
	v_and_b32_e32 v5, 7, v5
	v_cmp_eq_u16_e32 vcc, 0, v6
	v_cndmask_b32_e32 v3, v3, v5, vcc
	v_cndmask_b32_e32 v5, v7, v8, vcc
	v_mov_b32_e32 v6, 0x3b800000
	v_lshlrev_b32_e32 v3, 20, v3
	v_lshl_add_u32 v5, v5, 23, v6
	v_or3_b32 v3, v4, v5, v3
.LBB46_768:
	s_or_b64 exec, exec, s[6:7]
	s_nop 0
	v_mfma_f32_16x16x4f32 a[0:3], v2, v3, a[0:3]
	s_movk_i32 s4, 0x7f
                                        ; implicit-def: $sgpr10
	s_nop 7
	s_nop 1
	flat_store_dwordx4 v[18:19], a[0:3] offset:288
	flat_load_dwordx4 v[20:23], v[0:1] offset:8
	s_nop 0
	flat_load_dwordx2 v[18:19], v[0:1] offset:24
	s_waitcnt vmcnt(0) lgkmcnt(0)
	flat_load_dwordx4 v[14:17], v[20:21]
	flat_load_dwordx4 v[6:9], v[20:21] offset:16
	flat_load_dwordx4 v[10:13], v[22:23] offset:96
	;; [unrolled: 1-line block ×3, first 2 shown]
	s_waitcnt vmcnt(0) lgkmcnt(0)
	v_cmp_gt_i16_sdwa s[6:7], v14, s4 src0_sel:BYTE_0 src1_sel:DWORD
	s_mov_b64 s[4:5], 0
	s_and_saveexec_b64 s[8:9], s[6:7]
	s_xor_b64 s[6:7], exec, s[8:9]
	s_cbranch_execnz .LBB46_2817
; %bb.769:
	s_or_saveexec_b64 s[6:7], s[6:7]
	v_mov_b32_e32 v20, s10
	s_xor_b64 exec, exec, s[6:7]
	s_cbranch_execnz .LBB46_2820
.LBB46_770:
	s_or_b64 exec, exec, s[6:7]
	s_and_saveexec_b64 s[6:7], s[4:5]
	s_cbranch_execz .LBB46_772
.LBB46_771:
	v_and_b32_e32 v20, 7, v14
	v_ffbh_u32_e32 v22, v20
	v_min_u32_e32 v22, 32, v22
	v_lshrrev_b16_e32 v21, 3, v14
	v_subrev_u32_e32 v23, 28, v22
	v_and_b32_e32 v21, 15, v21
	v_lshlrev_b32_e32 v23, v23, v14
	v_sub_u32_e32 v22, 29, v22
	v_and_b32_e32 v23, 7, v23
	v_cmp_eq_u16_e32 vcc, 0, v21
	v_cndmask_b32_e32 v20, v20, v23, vcc
	v_cndmask_b32_e32 v21, v21, v22, vcc
	v_lshlrev_b32_e32 v22, 24, v14
	v_mov_b32_e32 v23, 0x3b800000
	v_lshlrev_b32_e32 v20, 20, v20
	v_and_b32_e32 v22, 0x80000000, v22
	v_lshl_add_u32 v21, v21, 23, v23
	v_or3_b32 v20, v22, v21, v20
.LBB46_772:
	s_or_b64 exec, exec, s[6:7]
	s_movk_i32 s4, 0x7f
	v_cmp_gt_i16_sdwa s[6:7], v10, s4 src0_sel:BYTE_0 src1_sel:DWORD
	s_mov_b64 s[4:5], 0
                                        ; implicit-def: $sgpr10
	s_and_saveexec_b64 s[8:9], s[6:7]
	s_xor_b64 s[6:7], exec, s[8:9]
	s_cbranch_execnz .LBB46_2821
; %bb.773:
	s_or_saveexec_b64 s[6:7], s[6:7]
	v_mov_b32_e32 v21, s10
	s_xor_b64 exec, exec, s[6:7]
	s_cbranch_execnz .LBB46_2824
.LBB46_774:
	s_or_b64 exec, exec, s[6:7]
	s_and_saveexec_b64 s[6:7], s[4:5]
	s_cbranch_execz .LBB46_776
.LBB46_775:
	v_and_b32_e32 v21, 7, v10
	v_ffbh_u32_e32 v23, v21
	v_min_u32_e32 v23, 32, v23
	v_lshrrev_b16_e32 v22, 3, v10
	v_subrev_u32_e32 v24, 28, v23
	v_and_b32_e32 v22, 15, v22
	v_lshlrev_b32_e32 v24, v24, v10
	v_sub_u32_e32 v23, 29, v23
	v_and_b32_e32 v24, 7, v24
	v_cmp_eq_u16_e32 vcc, 0, v22
	v_cndmask_b32_e32 v21, v21, v24, vcc
	v_cndmask_b32_e32 v22, v22, v23, vcc
	v_lshlrev_b32_e32 v23, 24, v10
	v_mov_b32_e32 v24, 0x3b800000
	v_lshlrev_b32_e32 v21, 20, v21
	v_and_b32_e32 v23, 0x80000000, v23
	v_lshl_add_u32 v22, v22, 23, v24
	v_or3_b32 v21, v23, v22, v21
.LBB46_776:
	s_or_b64 exec, exec, s[6:7]
	flat_load_dwordx4 a[0:3], v[18:19] offset:304
	s_movk_i32 s4, 0x7f
                                        ; implicit-def: $sgpr10
	s_waitcnt vmcnt(0) lgkmcnt(0)
	v_mfma_f32_16x16x4f32 a[0:3], v20, v21, a[0:3]
	v_lshrrev_b32_e32 v21, 8, v14
	v_cmp_gt_i16_sdwa s[6:7], v21, s4 src0_sel:BYTE_0 src1_sel:DWORD
	s_mov_b64 s[4:5], 0
	s_and_saveexec_b64 s[8:9], s[6:7]
	s_xor_b64 s[6:7], exec, s[8:9]
	s_cbranch_execnz .LBB46_2825
; %bb.777:
	s_or_saveexec_b64 s[6:7], s[6:7]
	v_mov_b32_e32 v20, s10
	s_xor_b64 exec, exec, s[6:7]
	s_cbranch_execnz .LBB46_2828
.LBB46_778:
	s_or_b64 exec, exec, s[6:7]
	s_and_saveexec_b64 s[6:7], s[4:5]
	s_cbranch_execz .LBB46_780
.LBB46_779:
	v_bfe_u32 v20, v14, 8, 3
	v_ffbh_u32_e32 v23, v20
	v_min_u32_e32 v23, 32, v23
	v_lshrrev_b16_e32 v22, 3, v21
	v_subrev_u32_e32 v24, 28, v23
	v_and_b32_e32 v22, 15, v22
	v_lshlrev_b32_e32 v21, v24, v21
	v_sub_u32_e32 v23, 29, v23
	v_and_b32_e32 v21, 7, v21
	v_cmp_eq_u16_e32 vcc, 0, v22
	v_cndmask_b32_e32 v20, v20, v21, vcc
	v_cndmask_b32_e32 v21, v22, v23, vcc
	v_lshlrev_b32_e32 v22, 16, v14
	v_mov_b32_e32 v23, 0x3b800000
	v_lshlrev_b32_e32 v20, 20, v20
	v_and_b32_e32 v22, 0x80000000, v22
	v_lshl_add_u32 v21, v21, 23, v23
	v_or3_b32 v20, v22, v21, v20
.LBB46_780:
	s_or_b64 exec, exec, s[6:7]
	v_lshrrev_b32_e32 v21, 8, v10
	s_movk_i32 s4, 0x7f
	v_cmp_gt_i16_sdwa s[6:7], v21, s4 src0_sel:BYTE_0 src1_sel:DWORD
	s_mov_b64 s[4:5], 0
                                        ; implicit-def: $sgpr10
	s_and_saveexec_b64 s[8:9], s[6:7]
	s_xor_b64 s[6:7], exec, s[8:9]
	s_cbranch_execnz .LBB46_2829
; %bb.781:
	s_or_saveexec_b64 s[6:7], s[6:7]
	v_mov_b32_e32 v22, s10
	s_xor_b64 exec, exec, s[6:7]
	s_cbranch_execnz .LBB46_2832
.LBB46_782:
	s_or_b64 exec, exec, s[6:7]
	s_and_saveexec_b64 s[6:7], s[4:5]
	s_cbranch_execz .LBB46_784
.LBB46_783:
	v_bfe_u32 v22, v10, 8, 3
	v_ffbh_u32_e32 v24, v22
	v_min_u32_e32 v24, 32, v24
	v_lshrrev_b16_e32 v23, 3, v21
	v_subrev_u32_e32 v25, 28, v24
	v_and_b32_e32 v23, 15, v23
	v_lshlrev_b32_e32 v21, v25, v21
	v_sub_u32_e32 v24, 29, v24
	v_and_b32_e32 v21, 7, v21
	v_cmp_eq_u16_e32 vcc, 0, v23
	v_cndmask_b32_e32 v21, v22, v21, vcc
	v_cndmask_b32_e32 v22, v23, v24, vcc
	v_lshlrev_b32_e32 v23, 16, v10
	v_mov_b32_e32 v24, 0x3b800000
	v_lshlrev_b32_e32 v21, 20, v21
	v_and_b32_e32 v23, 0x80000000, v23
	v_lshl_add_u32 v22, v22, 23, v24
	v_or3_b32 v22, v23, v22, v21
.LBB46_784:
	s_or_b64 exec, exec, s[6:7]
	s_nop 0
	v_mfma_f32_16x16x4f32 a[0:3], v20, v22, a[0:3]
	s_movk_i32 s4, 0xff
	v_and_b32_sdwa v21, v14, s4 dst_sel:DWORD dst_unused:UNUSED_PAD src0_sel:WORD_1 src1_sel:DWORD
	s_movk_i32 s4, 0x7f
	v_cmp_lt_i16_e32 vcc, s4, v21
	s_mov_b64 s[4:5], 0
                                        ; implicit-def: $sgpr10
	s_and_saveexec_b64 s[6:7], vcc
	s_xor_b64 s[6:7], exec, s[6:7]
	s_cbranch_execnz .LBB46_2833
; %bb.785:
	s_or_saveexec_b64 s[6:7], s[6:7]
	v_mov_b32_e32 v20, s10
	s_xor_b64 exec, exec, s[6:7]
	s_cbranch_execnz .LBB46_2836
.LBB46_786:
	s_or_b64 exec, exec, s[6:7]
	s_and_saveexec_b64 s[6:7], s[4:5]
	s_cbranch_execz .LBB46_788
.LBB46_787:
	v_bfe_u32 v20, v14, 16, 3
	v_ffbh_u32_e32 v23, v20
	v_min_u32_e32 v23, 32, v23
	v_lshrrev_b32_e32 v21, 19, v14
	v_subrev_u32_e32 v24, 28, v23
	v_and_b32_e32 v21, 15, v21
	v_lshlrev_b32_sdwa v24, v24, v14 dst_sel:DWORD dst_unused:UNUSED_PAD src0_sel:DWORD src1_sel:WORD_1
	v_bfe_u32 v22, v14, 19, 4
	v_sub_u32_e32 v23, 29, v23
	v_and_b32_e32 v24, 7, v24
	v_cmp_eq_u16_e32 vcc, 0, v21
	v_cndmask_b32_e32 v20, v20, v24, vcc
	v_cndmask_b32_e32 v21, v22, v23, vcc
	v_lshlrev_b32_e32 v22, 8, v14
	v_mov_b32_e32 v23, 0x3b800000
	v_lshlrev_b32_e32 v20, 20, v20
	v_and_b32_e32 v22, 0x80000000, v22
	v_lshl_add_u32 v21, v21, 23, v23
	v_or3_b32 v20, v22, v21, v20
.LBB46_788:
	s_or_b64 exec, exec, s[6:7]
	s_movk_i32 s4, 0xff
	v_and_b32_sdwa v21, v10, s4 dst_sel:DWORD dst_unused:UNUSED_PAD src0_sel:WORD_1 src1_sel:DWORD
	s_movk_i32 s4, 0x7f
	v_cmp_lt_i16_e32 vcc, s4, v21
	s_mov_b64 s[4:5], 0
                                        ; implicit-def: $sgpr10
	s_and_saveexec_b64 s[6:7], vcc
	s_xor_b64 s[6:7], exec, s[6:7]
	s_cbranch_execnz .LBB46_2837
; %bb.789:
	s_or_saveexec_b64 s[6:7], s[6:7]
	v_mov_b32_e32 v22, s10
	s_xor_b64 exec, exec, s[6:7]
	s_cbranch_execnz .LBB46_2840
.LBB46_790:
	s_or_b64 exec, exec, s[6:7]
	s_and_saveexec_b64 s[6:7], s[4:5]
	s_cbranch_execz .LBB46_792
.LBB46_791:
	v_bfe_u32 v21, v10, 16, 3
	v_ffbh_u32_e32 v24, v21
	v_min_u32_e32 v24, 32, v24
	v_lshrrev_b32_e32 v22, 19, v10
	v_subrev_u32_e32 v25, 28, v24
	v_and_b32_e32 v22, 15, v22
	v_lshlrev_b32_sdwa v25, v25, v10 dst_sel:DWORD dst_unused:UNUSED_PAD src0_sel:DWORD src1_sel:WORD_1
	v_bfe_u32 v23, v10, 19, 4
	v_sub_u32_e32 v24, 29, v24
	v_and_b32_e32 v25, 7, v25
	v_cmp_eq_u16_e32 vcc, 0, v22
	v_cndmask_b32_e32 v21, v21, v25, vcc
	v_cndmask_b32_e32 v22, v23, v24, vcc
	v_lshlrev_b32_e32 v23, 8, v10
	v_mov_b32_e32 v24, 0x3b800000
	v_lshlrev_b32_e32 v21, 20, v21
	v_and_b32_e32 v23, 0x80000000, v23
	v_lshl_add_u32 v22, v22, 23, v24
	v_or3_b32 v22, v23, v22, v21
.LBB46_792:
	s_or_b64 exec, exec, s[6:7]
	s_nop 0
	v_mfma_f32_16x16x4f32 a[0:3], v20, v22, a[0:3]
	s_movk_i32 s4, 0x7f
	v_cmp_gt_i16_sdwa s[6:7], v14, s4 src0_sel:BYTE_3 src1_sel:DWORD
	s_mov_b64 s[4:5], 0
                                        ; implicit-def: $sgpr10
	s_and_saveexec_b64 s[8:9], s[6:7]
	s_xor_b64 s[6:7], exec, s[8:9]
	s_cbranch_execnz .LBB46_2841
; %bb.793:
	s_or_saveexec_b64 s[6:7], s[6:7]
	v_mov_b32_e32 v20, s10
	s_xor_b64 exec, exec, s[6:7]
	s_cbranch_execnz .LBB46_2844
.LBB46_794:
	s_or_b64 exec, exec, s[6:7]
	s_and_saveexec_b64 s[6:7], s[4:5]
	s_cbranch_execz .LBB46_796
.LBB46_795:
	v_bfe_u32 v20, v14, 24, 3
	v_ffbh_u32_e32 v24, v20
	v_min_u32_e32 v24, 32, v24
	v_lshrrev_b32_e32 v22, 27, v14
	v_subrev_u32_e32 v25, 28, v24
	v_and_b32_e32 v21, 0x80000000, v14
	v_and_b32_e32 v22, 15, v22
	v_bfe_u32 v23, v14, 27, 4
	v_lshlrev_b32_sdwa v14, v25, v14 dst_sel:DWORD dst_unused:UNUSED_PAD src0_sel:DWORD src1_sel:BYTE_3
	v_sub_u32_e32 v24, 29, v24
	v_and_b32_e32 v14, 7, v14
	v_cmp_eq_u16_e32 vcc, 0, v22
	v_cndmask_b32_e32 v14, v20, v14, vcc
	v_cndmask_b32_e32 v20, v23, v24, vcc
	v_mov_b32_e32 v22, 0x3b800000
	v_lshlrev_b32_e32 v14, 20, v14
	v_lshl_add_u32 v20, v20, 23, v22
	v_or3_b32 v20, v21, v20, v14
.LBB46_796:
	s_or_b64 exec, exec, s[6:7]
	s_movk_i32 s4, 0x7f
	v_cmp_gt_i16_sdwa s[6:7], v10, s4 src0_sel:BYTE_3 src1_sel:DWORD
	s_mov_b64 s[4:5], 0
                                        ; implicit-def: $sgpr10
	s_and_saveexec_b64 s[8:9], s[6:7]
	s_xor_b64 s[6:7], exec, s[8:9]
	s_cbranch_execnz .LBB46_2845
; %bb.797:
	s_or_saveexec_b64 s[6:7], s[6:7]
	v_mov_b32_e32 v14, s10
	s_xor_b64 exec, exec, s[6:7]
	s_cbranch_execnz .LBB46_2848
.LBB46_798:
	s_or_b64 exec, exec, s[6:7]
	s_and_saveexec_b64 s[6:7], s[4:5]
	s_cbranch_execz .LBB46_800
.LBB46_799:
	v_bfe_u32 v14, v10, 24, 3
	v_ffbh_u32_e32 v24, v14
	v_min_u32_e32 v24, 32, v24
	v_lshrrev_b32_e32 v22, 27, v10
	v_subrev_u32_e32 v25, 28, v24
	v_and_b32_e32 v21, 0x80000000, v10
	v_and_b32_e32 v22, 15, v22
	v_bfe_u32 v23, v10, 27, 4
	v_lshlrev_b32_sdwa v10, v25, v10 dst_sel:DWORD dst_unused:UNUSED_PAD src0_sel:DWORD src1_sel:BYTE_3
	v_sub_u32_e32 v24, 29, v24
	v_and_b32_e32 v10, 7, v10
	v_cmp_eq_u16_e32 vcc, 0, v22
	v_cndmask_b32_e32 v10, v14, v10, vcc
	v_cndmask_b32_e32 v14, v23, v24, vcc
	v_mov_b32_e32 v22, 0x3b800000
	v_lshlrev_b32_e32 v10, 20, v10
	v_lshl_add_u32 v14, v14, 23, v22
	v_or3_b32 v14, v21, v14, v10
.LBB46_800:
	s_or_b64 exec, exec, s[6:7]
	s_nop 0
	v_mfma_f32_16x16x4f32 a[0:3], v20, v14, a[0:3]
	s_movk_i32 s4, 0x7f
	v_cmp_gt_i16_sdwa s[6:7], v15, s4 src0_sel:BYTE_0 src1_sel:DWORD
	s_mov_b64 s[4:5], 0
                                        ; implicit-def: $sgpr10
	s_and_saveexec_b64 s[8:9], s[6:7]
	s_xor_b64 s[6:7], exec, s[8:9]
	s_cbranch_execnz .LBB46_2849
; %bb.801:
	s_or_saveexec_b64 s[6:7], s[6:7]
	v_mov_b32_e32 v10, s10
	s_xor_b64 exec, exec, s[6:7]
	s_cbranch_execnz .LBB46_2852
.LBB46_802:
	s_or_b64 exec, exec, s[6:7]
	s_and_saveexec_b64 s[6:7], s[4:5]
	s_cbranch_execz .LBB46_804
.LBB46_803:
	v_and_b32_e32 v10, 7, v15
	v_ffbh_u32_e32 v20, v10
	v_min_u32_e32 v20, 32, v20
	v_lshrrev_b16_e32 v14, 3, v15
	v_subrev_u32_e32 v21, 28, v20
	v_and_b32_e32 v14, 15, v14
	v_lshlrev_b32_e32 v21, v21, v15
	v_sub_u32_e32 v20, 29, v20
	v_and_b32_e32 v21, 7, v21
	v_cmp_eq_u16_e32 vcc, 0, v14
	v_cndmask_b32_e32 v10, v10, v21, vcc
	v_cndmask_b32_e32 v14, v14, v20, vcc
	v_lshlrev_b32_e32 v20, 24, v15
	v_mov_b32_e32 v21, 0x3b800000
	v_lshlrev_b32_e32 v10, 20, v10
	v_and_b32_e32 v20, 0x80000000, v20
	v_lshl_add_u32 v14, v14, 23, v21
	v_or3_b32 v10, v20, v14, v10
.LBB46_804:
	s_or_b64 exec, exec, s[6:7]
	s_movk_i32 s4, 0x7f
	v_cmp_gt_i16_sdwa s[6:7], v11, s4 src0_sel:BYTE_0 src1_sel:DWORD
	s_mov_b64 s[4:5], 0
                                        ; implicit-def: $sgpr10
	s_and_saveexec_b64 s[8:9], s[6:7]
	s_xor_b64 s[6:7], exec, s[8:9]
	s_cbranch_execnz .LBB46_2853
; %bb.805:
	s_or_saveexec_b64 s[6:7], s[6:7]
	v_mov_b32_e32 v14, s10
	s_xor_b64 exec, exec, s[6:7]
	s_cbranch_execnz .LBB46_2856
.LBB46_806:
	s_or_b64 exec, exec, s[6:7]
	s_and_saveexec_b64 s[6:7], s[4:5]
	s_cbranch_execz .LBB46_808
.LBB46_807:
	v_and_b32_e32 v14, 7, v11
	v_ffbh_u32_e32 v21, v14
	v_min_u32_e32 v21, 32, v21
	v_lshrrev_b16_e32 v20, 3, v11
	v_subrev_u32_e32 v22, 28, v21
	v_and_b32_e32 v20, 15, v20
	v_lshlrev_b32_e32 v22, v22, v11
	v_sub_u32_e32 v21, 29, v21
	v_and_b32_e32 v22, 7, v22
	v_cmp_eq_u16_e32 vcc, 0, v20
	v_cndmask_b32_e32 v14, v14, v22, vcc
	v_cndmask_b32_e32 v20, v20, v21, vcc
	v_lshlrev_b32_e32 v21, 24, v11
	v_mov_b32_e32 v22, 0x3b800000
	v_lshlrev_b32_e32 v14, 20, v14
	v_and_b32_e32 v21, 0x80000000, v21
	v_lshl_add_u32 v20, v20, 23, v22
	v_or3_b32 v14, v21, v20, v14
.LBB46_808:
	s_or_b64 exec, exec, s[6:7]
	s_nop 0
	v_mfma_f32_16x16x4f32 a[0:3], v10, v14, a[0:3]
	v_lshrrev_b32_e32 v14, 8, v15
	s_movk_i32 s4, 0x7f
	v_cmp_gt_i16_sdwa s[6:7], v14, s4 src0_sel:BYTE_0 src1_sel:DWORD
	s_mov_b64 s[4:5], 0
                                        ; implicit-def: $sgpr10
	s_and_saveexec_b64 s[8:9], s[6:7]
	s_xor_b64 s[6:7], exec, s[8:9]
	s_cbranch_execnz .LBB46_2857
; %bb.809:
	s_or_saveexec_b64 s[6:7], s[6:7]
	v_mov_b32_e32 v10, s10
	s_xor_b64 exec, exec, s[6:7]
	s_cbranch_execnz .LBB46_2860
.LBB46_810:
	s_or_b64 exec, exec, s[6:7]
	s_and_saveexec_b64 s[6:7], s[4:5]
	s_cbranch_execz .LBB46_812
.LBB46_811:
	v_bfe_u32 v10, v15, 8, 3
	v_ffbh_u32_e32 v21, v10
	v_min_u32_e32 v21, 32, v21
	v_lshrrev_b16_e32 v20, 3, v14
	v_subrev_u32_e32 v22, 28, v21
	v_and_b32_e32 v20, 15, v20
	v_lshlrev_b32_e32 v14, v22, v14
	v_sub_u32_e32 v21, 29, v21
	v_and_b32_e32 v14, 7, v14
	v_cmp_eq_u16_e32 vcc, 0, v20
	v_cndmask_b32_e32 v10, v10, v14, vcc
	v_cndmask_b32_e32 v14, v20, v21, vcc
	v_lshlrev_b32_e32 v20, 16, v15
	v_mov_b32_e32 v21, 0x3b800000
	v_lshlrev_b32_e32 v10, 20, v10
	v_and_b32_e32 v20, 0x80000000, v20
	v_lshl_add_u32 v14, v14, 23, v21
	v_or3_b32 v10, v20, v14, v10
.LBB46_812:
	s_or_b64 exec, exec, s[6:7]
	v_lshrrev_b32_e32 v14, 8, v11
	s_movk_i32 s4, 0x7f
	v_cmp_gt_i16_sdwa s[6:7], v14, s4 src0_sel:BYTE_0 src1_sel:DWORD
	s_mov_b64 s[4:5], 0
                                        ; implicit-def: $sgpr10
	s_and_saveexec_b64 s[8:9], s[6:7]
	s_xor_b64 s[6:7], exec, s[8:9]
	s_cbranch_execnz .LBB46_2861
; %bb.813:
	s_or_saveexec_b64 s[6:7], s[6:7]
	v_mov_b32_e32 v20, s10
	s_xor_b64 exec, exec, s[6:7]
	s_cbranch_execnz .LBB46_2864
.LBB46_814:
	s_or_b64 exec, exec, s[6:7]
	s_and_saveexec_b64 s[6:7], s[4:5]
	s_cbranch_execz .LBB46_816
.LBB46_815:
	v_bfe_u32 v20, v11, 8, 3
	v_ffbh_u32_e32 v22, v20
	v_min_u32_e32 v22, 32, v22
	v_lshrrev_b16_e32 v21, 3, v14
	v_subrev_u32_e32 v23, 28, v22
	v_and_b32_e32 v21, 15, v21
	v_lshlrev_b32_e32 v14, v23, v14
	v_sub_u32_e32 v22, 29, v22
	v_and_b32_e32 v14, 7, v14
	v_cmp_eq_u16_e32 vcc, 0, v21
	v_cndmask_b32_e32 v14, v20, v14, vcc
	v_cndmask_b32_e32 v20, v21, v22, vcc
	v_lshlrev_b32_e32 v21, 16, v11
	v_mov_b32_e32 v22, 0x3b800000
	v_lshlrev_b32_e32 v14, 20, v14
	v_and_b32_e32 v21, 0x80000000, v21
	v_lshl_add_u32 v20, v20, 23, v22
	v_or3_b32 v20, v21, v20, v14
.LBB46_816:
	s_or_b64 exec, exec, s[6:7]
	s_nop 0
	v_mfma_f32_16x16x4f32 a[0:3], v10, v20, a[0:3]
	s_movk_i32 s4, 0xff
	v_and_b32_sdwa v14, v15, s4 dst_sel:DWORD dst_unused:UNUSED_PAD src0_sel:WORD_1 src1_sel:DWORD
	s_movk_i32 s4, 0x7f
	v_cmp_lt_i16_e32 vcc, s4, v14
	s_mov_b64 s[4:5], 0
                                        ; implicit-def: $sgpr10
	s_and_saveexec_b64 s[6:7], vcc
	s_xor_b64 s[6:7], exec, s[6:7]
	s_cbranch_execnz .LBB46_2865
; %bb.817:
	s_or_saveexec_b64 s[6:7], s[6:7]
	v_mov_b32_e32 v10, s10
	s_xor_b64 exec, exec, s[6:7]
	s_cbranch_execnz .LBB46_2868
.LBB46_818:
	s_or_b64 exec, exec, s[6:7]
	s_and_saveexec_b64 s[6:7], s[4:5]
	s_cbranch_execz .LBB46_820
.LBB46_819:
	v_bfe_u32 v10, v15, 16, 3
	v_ffbh_u32_e32 v21, v10
	v_min_u32_e32 v21, 32, v21
	v_lshrrev_b32_e32 v14, 19, v15
	v_subrev_u32_e32 v22, 28, v21
	v_and_b32_e32 v14, 15, v14
	v_lshlrev_b32_sdwa v22, v22, v15 dst_sel:DWORD dst_unused:UNUSED_PAD src0_sel:DWORD src1_sel:WORD_1
	v_bfe_u32 v20, v15, 19, 4
	v_sub_u32_e32 v21, 29, v21
	v_and_b32_e32 v22, 7, v22
	v_cmp_eq_u16_e32 vcc, 0, v14
	v_cndmask_b32_e32 v10, v10, v22, vcc
	v_cndmask_b32_e32 v14, v20, v21, vcc
	v_lshlrev_b32_e32 v20, 8, v15
	v_mov_b32_e32 v21, 0x3b800000
	v_lshlrev_b32_e32 v10, 20, v10
	v_and_b32_e32 v20, 0x80000000, v20
	v_lshl_add_u32 v14, v14, 23, v21
	v_or3_b32 v10, v20, v14, v10
.LBB46_820:
	s_or_b64 exec, exec, s[6:7]
	s_movk_i32 s4, 0xff
	v_and_b32_sdwa v14, v11, s4 dst_sel:DWORD dst_unused:UNUSED_PAD src0_sel:WORD_1 src1_sel:DWORD
	s_movk_i32 s4, 0x7f
	v_cmp_lt_i16_e32 vcc, s4, v14
	s_mov_b64 s[4:5], 0
                                        ; implicit-def: $sgpr10
	s_and_saveexec_b64 s[6:7], vcc
	s_xor_b64 s[6:7], exec, s[6:7]
	s_cbranch_execnz .LBB46_2869
; %bb.821:
	s_or_saveexec_b64 s[6:7], s[6:7]
	v_mov_b32_e32 v20, s10
	s_xor_b64 exec, exec, s[6:7]
	s_cbranch_execnz .LBB46_2872
.LBB46_822:
	s_or_b64 exec, exec, s[6:7]
	s_and_saveexec_b64 s[6:7], s[4:5]
	s_cbranch_execz .LBB46_824
.LBB46_823:
	v_bfe_u32 v14, v11, 16, 3
	v_ffbh_u32_e32 v22, v14
	v_min_u32_e32 v22, 32, v22
	v_lshrrev_b32_e32 v20, 19, v11
	v_subrev_u32_e32 v23, 28, v22
	v_and_b32_e32 v20, 15, v20
	v_lshlrev_b32_sdwa v23, v23, v11 dst_sel:DWORD dst_unused:UNUSED_PAD src0_sel:DWORD src1_sel:WORD_1
	v_bfe_u32 v21, v11, 19, 4
	v_sub_u32_e32 v22, 29, v22
	v_and_b32_e32 v23, 7, v23
	v_cmp_eq_u16_e32 vcc, 0, v20
	v_cndmask_b32_e32 v14, v14, v23, vcc
	v_cndmask_b32_e32 v20, v21, v22, vcc
	v_lshlrev_b32_e32 v21, 8, v11
	v_mov_b32_e32 v22, 0x3b800000
	v_lshlrev_b32_e32 v14, 20, v14
	v_and_b32_e32 v21, 0x80000000, v21
	v_lshl_add_u32 v20, v20, 23, v22
	v_or3_b32 v20, v21, v20, v14
.LBB46_824:
	s_or_b64 exec, exec, s[6:7]
	s_nop 0
	v_mfma_f32_16x16x4f32 a[0:3], v10, v20, a[0:3]
	s_movk_i32 s4, 0x7f
	v_cmp_gt_i16_sdwa s[6:7], v15, s4 src0_sel:BYTE_3 src1_sel:DWORD
	s_mov_b64 s[4:5], 0
                                        ; implicit-def: $sgpr10
	s_and_saveexec_b64 s[8:9], s[6:7]
	s_xor_b64 s[6:7], exec, s[8:9]
	s_cbranch_execnz .LBB46_2873
; %bb.825:
	s_or_saveexec_b64 s[6:7], s[6:7]
	v_mov_b32_e32 v10, s10
	s_xor_b64 exec, exec, s[6:7]
	s_cbranch_execnz .LBB46_2876
.LBB46_826:
	s_or_b64 exec, exec, s[6:7]
	s_and_saveexec_b64 s[6:7], s[4:5]
	s_cbranch_execz .LBB46_828
.LBB46_827:
	v_bfe_u32 v10, v15, 24, 3
	v_ffbh_u32_e32 v22, v10
	v_min_u32_e32 v22, 32, v22
	v_lshrrev_b32_e32 v20, 27, v15
	v_subrev_u32_e32 v23, 28, v22
	v_and_b32_e32 v14, 0x80000000, v15
	v_and_b32_e32 v20, 15, v20
	v_bfe_u32 v21, v15, 27, 4
	v_lshlrev_b32_sdwa v15, v23, v15 dst_sel:DWORD dst_unused:UNUSED_PAD src0_sel:DWORD src1_sel:BYTE_3
	v_sub_u32_e32 v22, 29, v22
	v_and_b32_e32 v15, 7, v15
	v_cmp_eq_u16_e32 vcc, 0, v20
	v_cndmask_b32_e32 v10, v10, v15, vcc
	v_cndmask_b32_e32 v15, v21, v22, vcc
	v_mov_b32_e32 v20, 0x3b800000
	v_lshlrev_b32_e32 v10, 20, v10
	v_lshl_add_u32 v15, v15, 23, v20
	v_or3_b32 v10, v14, v15, v10
.LBB46_828:
	s_or_b64 exec, exec, s[6:7]
	s_movk_i32 s4, 0x7f
	v_cmp_gt_i16_sdwa s[6:7], v11, s4 src0_sel:BYTE_3 src1_sel:DWORD
	s_mov_b64 s[4:5], 0
                                        ; implicit-def: $sgpr10
	s_and_saveexec_b64 s[8:9], s[6:7]
	s_xor_b64 s[6:7], exec, s[8:9]
	s_cbranch_execnz .LBB46_2877
; %bb.829:
	s_or_saveexec_b64 s[6:7], s[6:7]
	v_mov_b32_e32 v14, s10
	s_xor_b64 exec, exec, s[6:7]
	s_cbranch_execnz .LBB46_2880
.LBB46_830:
	s_or_b64 exec, exec, s[6:7]
	s_and_saveexec_b64 s[6:7], s[4:5]
	s_cbranch_execz .LBB46_832
.LBB46_831:
	v_bfe_u32 v14, v11, 24, 3
	v_ffbh_u32_e32 v22, v14
	v_min_u32_e32 v22, 32, v22
	v_lshrrev_b32_e32 v20, 27, v11
	v_subrev_u32_e32 v23, 28, v22
	v_and_b32_e32 v15, 0x80000000, v11
	v_and_b32_e32 v20, 15, v20
	v_bfe_u32 v21, v11, 27, 4
	v_lshlrev_b32_sdwa v11, v23, v11 dst_sel:DWORD dst_unused:UNUSED_PAD src0_sel:DWORD src1_sel:BYTE_3
	v_sub_u32_e32 v22, 29, v22
	v_and_b32_e32 v11, 7, v11
	v_cmp_eq_u16_e32 vcc, 0, v20
	v_cndmask_b32_e32 v11, v14, v11, vcc
	v_cndmask_b32_e32 v14, v21, v22, vcc
	v_mov_b32_e32 v20, 0x3b800000
	v_lshlrev_b32_e32 v11, 20, v11
	v_lshl_add_u32 v14, v14, 23, v20
	v_or3_b32 v14, v15, v14, v11
.LBB46_832:
	s_or_b64 exec, exec, s[6:7]
	s_nop 0
	v_mfma_f32_16x16x4f32 a[0:3], v10, v14, a[0:3]
	s_movk_i32 s4, 0x7f
	v_cmp_gt_i16_sdwa s[6:7], v16, s4 src0_sel:BYTE_0 src1_sel:DWORD
	s_mov_b64 s[4:5], 0
                                        ; implicit-def: $sgpr10
	s_and_saveexec_b64 s[8:9], s[6:7]
	s_xor_b64 s[6:7], exec, s[8:9]
	s_cbranch_execnz .LBB46_2881
; %bb.833:
	s_or_saveexec_b64 s[6:7], s[6:7]
	v_mov_b32_e32 v10, s10
	s_xor_b64 exec, exec, s[6:7]
	s_cbranch_execnz .LBB46_2884
.LBB46_834:
	s_or_b64 exec, exec, s[6:7]
	s_and_saveexec_b64 s[6:7], s[4:5]
	s_cbranch_execz .LBB46_836
.LBB46_835:
	v_and_b32_e32 v10, 7, v16
	v_ffbh_u32_e32 v14, v10
	v_min_u32_e32 v14, 32, v14
	v_lshrrev_b16_e32 v11, 3, v16
	v_subrev_u32_e32 v15, 28, v14
	v_and_b32_e32 v11, 15, v11
	v_lshlrev_b32_e32 v15, v15, v16
	v_sub_u32_e32 v14, 29, v14
	v_and_b32_e32 v15, 7, v15
	v_cmp_eq_u16_e32 vcc, 0, v11
	v_cndmask_b32_e32 v10, v10, v15, vcc
	v_cndmask_b32_e32 v11, v11, v14, vcc
	v_lshlrev_b32_e32 v14, 24, v16
	v_mov_b32_e32 v15, 0x3b800000
	v_lshlrev_b32_e32 v10, 20, v10
	v_and_b32_e32 v14, 0x80000000, v14
	v_lshl_add_u32 v11, v11, 23, v15
	v_or3_b32 v10, v14, v11, v10
.LBB46_836:
	s_or_b64 exec, exec, s[6:7]
	s_movk_i32 s4, 0x7f
	v_cmp_gt_i16_sdwa s[6:7], v12, s4 src0_sel:BYTE_0 src1_sel:DWORD
	s_mov_b64 s[4:5], 0
                                        ; implicit-def: $sgpr10
	s_and_saveexec_b64 s[8:9], s[6:7]
	s_xor_b64 s[6:7], exec, s[8:9]
	s_cbranch_execnz .LBB46_2885
; %bb.837:
	s_or_saveexec_b64 s[6:7], s[6:7]
	v_mov_b32_e32 v11, s10
	s_xor_b64 exec, exec, s[6:7]
	s_cbranch_execnz .LBB46_2888
.LBB46_838:
	s_or_b64 exec, exec, s[6:7]
	s_and_saveexec_b64 s[6:7], s[4:5]
	s_cbranch_execz .LBB46_840
.LBB46_839:
	v_and_b32_e32 v11, 7, v12
	v_ffbh_u32_e32 v15, v11
	v_min_u32_e32 v15, 32, v15
	v_lshrrev_b16_e32 v14, 3, v12
	v_subrev_u32_e32 v20, 28, v15
	v_and_b32_e32 v14, 15, v14
	v_lshlrev_b32_e32 v20, v20, v12
	v_sub_u32_e32 v15, 29, v15
	v_and_b32_e32 v20, 7, v20
	v_cmp_eq_u16_e32 vcc, 0, v14
	v_cndmask_b32_e32 v11, v11, v20, vcc
	v_cndmask_b32_e32 v14, v14, v15, vcc
	v_lshlrev_b32_e32 v15, 24, v12
	v_mov_b32_e32 v20, 0x3b800000
	v_lshlrev_b32_e32 v11, 20, v11
	v_and_b32_e32 v15, 0x80000000, v15
	v_lshl_add_u32 v14, v14, 23, v20
	v_or3_b32 v11, v15, v14, v11
.LBB46_840:
	s_or_b64 exec, exec, s[6:7]
	s_nop 0
	v_mfma_f32_16x16x4f32 a[0:3], v10, v11, a[0:3]
	v_lshrrev_b32_e32 v11, 8, v16
	s_movk_i32 s4, 0x7f
	v_cmp_gt_i16_sdwa s[6:7], v11, s4 src0_sel:BYTE_0 src1_sel:DWORD
	s_mov_b64 s[4:5], 0
                                        ; implicit-def: $sgpr10
	s_and_saveexec_b64 s[8:9], s[6:7]
	s_xor_b64 s[6:7], exec, s[8:9]
	s_cbranch_execnz .LBB46_2889
; %bb.841:
	s_or_saveexec_b64 s[6:7], s[6:7]
	v_mov_b32_e32 v10, s10
	s_xor_b64 exec, exec, s[6:7]
	s_cbranch_execnz .LBB46_2892
.LBB46_842:
	s_or_b64 exec, exec, s[6:7]
	s_and_saveexec_b64 s[6:7], s[4:5]
	s_cbranch_execz .LBB46_844
.LBB46_843:
	v_bfe_u32 v10, v16, 8, 3
	v_ffbh_u32_e32 v15, v10
	v_min_u32_e32 v15, 32, v15
	v_lshrrev_b16_e32 v14, 3, v11
	v_subrev_u32_e32 v20, 28, v15
	v_and_b32_e32 v14, 15, v14
	v_lshlrev_b32_e32 v11, v20, v11
	v_sub_u32_e32 v15, 29, v15
	v_and_b32_e32 v11, 7, v11
	v_cmp_eq_u16_e32 vcc, 0, v14
	v_cndmask_b32_e32 v10, v10, v11, vcc
	v_cndmask_b32_e32 v11, v14, v15, vcc
	v_lshlrev_b32_e32 v14, 16, v16
	v_mov_b32_e32 v15, 0x3b800000
	v_lshlrev_b32_e32 v10, 20, v10
	v_and_b32_e32 v14, 0x80000000, v14
	v_lshl_add_u32 v11, v11, 23, v15
	v_or3_b32 v10, v14, v11, v10
.LBB46_844:
	s_or_b64 exec, exec, s[6:7]
	v_lshrrev_b32_e32 v11, 8, v12
	s_movk_i32 s4, 0x7f
	v_cmp_gt_i16_sdwa s[6:7], v11, s4 src0_sel:BYTE_0 src1_sel:DWORD
	s_mov_b64 s[4:5], 0
                                        ; implicit-def: $sgpr10
	s_and_saveexec_b64 s[8:9], s[6:7]
	s_xor_b64 s[6:7], exec, s[8:9]
	s_cbranch_execnz .LBB46_2893
; %bb.845:
	s_or_saveexec_b64 s[6:7], s[6:7]
	v_mov_b32_e32 v14, s10
	s_xor_b64 exec, exec, s[6:7]
	s_cbranch_execnz .LBB46_2896
.LBB46_846:
	s_or_b64 exec, exec, s[6:7]
	s_and_saveexec_b64 s[6:7], s[4:5]
	s_cbranch_execz .LBB46_848
.LBB46_847:
	v_bfe_u32 v14, v12, 8, 3
	v_ffbh_u32_e32 v20, v14
	v_min_u32_e32 v20, 32, v20
	v_lshrrev_b16_e32 v15, 3, v11
	v_subrev_u32_e32 v21, 28, v20
	v_and_b32_e32 v15, 15, v15
	v_lshlrev_b32_e32 v11, v21, v11
	v_sub_u32_e32 v20, 29, v20
	v_and_b32_e32 v11, 7, v11
	v_cmp_eq_u16_e32 vcc, 0, v15
	v_cndmask_b32_e32 v11, v14, v11, vcc
	v_cndmask_b32_e32 v14, v15, v20, vcc
	v_lshlrev_b32_e32 v15, 16, v12
	v_mov_b32_e32 v20, 0x3b800000
	v_lshlrev_b32_e32 v11, 20, v11
	v_and_b32_e32 v15, 0x80000000, v15
	v_lshl_add_u32 v14, v14, 23, v20
	v_or3_b32 v14, v15, v14, v11
.LBB46_848:
	s_or_b64 exec, exec, s[6:7]
	s_nop 0
	v_mfma_f32_16x16x4f32 a[0:3], v10, v14, a[0:3]
	s_movk_i32 s4, 0xff
	v_and_b32_sdwa v11, v16, s4 dst_sel:DWORD dst_unused:UNUSED_PAD src0_sel:WORD_1 src1_sel:DWORD
	s_movk_i32 s4, 0x7f
	v_cmp_lt_i16_e32 vcc, s4, v11
	s_mov_b64 s[4:5], 0
                                        ; implicit-def: $sgpr10
	s_and_saveexec_b64 s[6:7], vcc
	s_xor_b64 s[6:7], exec, s[6:7]
	s_cbranch_execnz .LBB46_2897
; %bb.849:
	s_or_saveexec_b64 s[6:7], s[6:7]
	v_mov_b32_e32 v10, s10
	s_xor_b64 exec, exec, s[6:7]
	s_cbranch_execnz .LBB46_2900
.LBB46_850:
	s_or_b64 exec, exec, s[6:7]
	s_and_saveexec_b64 s[6:7], s[4:5]
	s_cbranch_execz .LBB46_852
.LBB46_851:
	v_bfe_u32 v10, v16, 16, 3
	v_ffbh_u32_e32 v15, v10
	v_min_u32_e32 v15, 32, v15
	v_lshrrev_b32_e32 v11, 19, v16
	v_subrev_u32_e32 v20, 28, v15
	v_and_b32_e32 v11, 15, v11
	v_lshlrev_b32_sdwa v20, v20, v16 dst_sel:DWORD dst_unused:UNUSED_PAD src0_sel:DWORD src1_sel:WORD_1
	v_bfe_u32 v14, v16, 19, 4
	v_sub_u32_e32 v15, 29, v15
	v_and_b32_e32 v20, 7, v20
	v_cmp_eq_u16_e32 vcc, 0, v11
	v_cndmask_b32_e32 v10, v10, v20, vcc
	v_cndmask_b32_e32 v11, v14, v15, vcc
	v_lshlrev_b32_e32 v14, 8, v16
	v_mov_b32_e32 v15, 0x3b800000
	v_lshlrev_b32_e32 v10, 20, v10
	v_and_b32_e32 v14, 0x80000000, v14
	v_lshl_add_u32 v11, v11, 23, v15
	v_or3_b32 v10, v14, v11, v10
.LBB46_852:
	s_or_b64 exec, exec, s[6:7]
	s_movk_i32 s4, 0xff
	v_and_b32_sdwa v11, v12, s4 dst_sel:DWORD dst_unused:UNUSED_PAD src0_sel:WORD_1 src1_sel:DWORD
	s_movk_i32 s4, 0x7f
	v_cmp_lt_i16_e32 vcc, s4, v11
	s_mov_b64 s[4:5], 0
                                        ; implicit-def: $sgpr10
	s_and_saveexec_b64 s[6:7], vcc
	s_xor_b64 s[6:7], exec, s[6:7]
	s_cbranch_execnz .LBB46_2901
; %bb.853:
	s_or_saveexec_b64 s[6:7], s[6:7]
	v_mov_b32_e32 v14, s10
	s_xor_b64 exec, exec, s[6:7]
	s_cbranch_execnz .LBB46_2904
.LBB46_854:
	s_or_b64 exec, exec, s[6:7]
	s_and_saveexec_b64 s[6:7], s[4:5]
	s_cbranch_execz .LBB46_856
.LBB46_855:
	v_bfe_u32 v11, v12, 16, 3
	v_ffbh_u32_e32 v20, v11
	v_min_u32_e32 v20, 32, v20
	v_lshrrev_b32_e32 v14, 19, v12
	v_subrev_u32_e32 v21, 28, v20
	v_and_b32_e32 v14, 15, v14
	v_lshlrev_b32_sdwa v21, v21, v12 dst_sel:DWORD dst_unused:UNUSED_PAD src0_sel:DWORD src1_sel:WORD_1
	v_bfe_u32 v15, v12, 19, 4
	v_sub_u32_e32 v20, 29, v20
	v_and_b32_e32 v21, 7, v21
	v_cmp_eq_u16_e32 vcc, 0, v14
	v_cndmask_b32_e32 v11, v11, v21, vcc
	v_cndmask_b32_e32 v14, v15, v20, vcc
	v_lshlrev_b32_e32 v15, 8, v12
	v_mov_b32_e32 v20, 0x3b800000
	v_lshlrev_b32_e32 v11, 20, v11
	v_and_b32_e32 v15, 0x80000000, v15
	v_lshl_add_u32 v14, v14, 23, v20
	v_or3_b32 v14, v15, v14, v11
.LBB46_856:
	s_or_b64 exec, exec, s[6:7]
	s_nop 0
	v_mfma_f32_16x16x4f32 a[0:3], v10, v14, a[0:3]
	s_movk_i32 s4, 0x7f
	v_cmp_gt_i16_sdwa s[6:7], v16, s4 src0_sel:BYTE_3 src1_sel:DWORD
	s_mov_b64 s[4:5], 0
                                        ; implicit-def: $sgpr10
	s_and_saveexec_b64 s[8:9], s[6:7]
	s_xor_b64 s[6:7], exec, s[8:9]
	s_cbranch_execnz .LBB46_2905
; %bb.857:
	s_or_saveexec_b64 s[6:7], s[6:7]
	v_mov_b32_e32 v10, s10
	s_xor_b64 exec, exec, s[6:7]
	s_cbranch_execnz .LBB46_2908
.LBB46_858:
	s_or_b64 exec, exec, s[6:7]
	s_and_saveexec_b64 s[6:7], s[4:5]
	s_cbranch_execz .LBB46_860
.LBB46_859:
	v_bfe_u32 v10, v16, 24, 3
	v_ffbh_u32_e32 v20, v10
	v_min_u32_e32 v20, 32, v20
	v_lshrrev_b32_e32 v14, 27, v16
	v_subrev_u32_e32 v21, 28, v20
	v_and_b32_e32 v11, 0x80000000, v16
	v_and_b32_e32 v14, 15, v14
	v_bfe_u32 v15, v16, 27, 4
	v_lshlrev_b32_sdwa v16, v21, v16 dst_sel:DWORD dst_unused:UNUSED_PAD src0_sel:DWORD src1_sel:BYTE_3
	v_sub_u32_e32 v20, 29, v20
	v_and_b32_e32 v16, 7, v16
	v_cmp_eq_u16_e32 vcc, 0, v14
	v_cndmask_b32_e32 v10, v10, v16, vcc
	v_cndmask_b32_e32 v14, v15, v20, vcc
	v_mov_b32_e32 v15, 0x3b800000
	v_lshlrev_b32_e32 v10, 20, v10
	v_lshl_add_u32 v14, v14, 23, v15
	v_or3_b32 v10, v11, v14, v10
.LBB46_860:
	s_or_b64 exec, exec, s[6:7]
	s_movk_i32 s4, 0x7f
	v_cmp_gt_i16_sdwa s[6:7], v12, s4 src0_sel:BYTE_3 src1_sel:DWORD
	s_mov_b64 s[4:5], 0
                                        ; implicit-def: $sgpr10
	s_and_saveexec_b64 s[8:9], s[6:7]
	s_xor_b64 s[6:7], exec, s[8:9]
	s_cbranch_execnz .LBB46_2909
; %bb.861:
	s_or_saveexec_b64 s[6:7], s[6:7]
	v_mov_b32_e32 v11, s10
	s_xor_b64 exec, exec, s[6:7]
	s_cbranch_execnz .LBB46_2912
.LBB46_862:
	s_or_b64 exec, exec, s[6:7]
	s_and_saveexec_b64 s[6:7], s[4:5]
	s_cbranch_execz .LBB46_864
.LBB46_863:
	v_bfe_u32 v11, v12, 24, 3
	v_ffbh_u32_e32 v20, v11
	v_min_u32_e32 v20, 32, v20
	v_lshrrev_b32_e32 v15, 27, v12
	v_subrev_u32_e32 v21, 28, v20
	v_and_b32_e32 v14, 0x80000000, v12
	v_and_b32_e32 v15, 15, v15
	v_bfe_u32 v16, v12, 27, 4
	v_lshlrev_b32_sdwa v12, v21, v12 dst_sel:DWORD dst_unused:UNUSED_PAD src0_sel:DWORD src1_sel:BYTE_3
	v_sub_u32_e32 v20, 29, v20
	v_and_b32_e32 v12, 7, v12
	v_cmp_eq_u16_e32 vcc, 0, v15
	v_cndmask_b32_e32 v11, v11, v12, vcc
	v_cndmask_b32_e32 v12, v16, v20, vcc
	v_mov_b32_e32 v15, 0x3b800000
	v_lshlrev_b32_e32 v11, 20, v11
	v_lshl_add_u32 v12, v12, 23, v15
	v_or3_b32 v11, v14, v12, v11
.LBB46_864:
	s_or_b64 exec, exec, s[6:7]
	s_nop 0
	v_mfma_f32_16x16x4f32 a[0:3], v10, v11, a[0:3]
	s_movk_i32 s4, 0x7f
	v_cmp_gt_i16_sdwa s[6:7], v17, s4 src0_sel:BYTE_0 src1_sel:DWORD
	s_mov_b64 s[4:5], 0
                                        ; implicit-def: $sgpr10
	s_and_saveexec_b64 s[8:9], s[6:7]
	s_xor_b64 s[6:7], exec, s[8:9]
	s_cbranch_execnz .LBB46_2913
; %bb.865:
	s_or_saveexec_b64 s[6:7], s[6:7]
	v_mov_b32_e32 v10, s10
	s_xor_b64 exec, exec, s[6:7]
	s_cbranch_execnz .LBB46_2916
.LBB46_866:
	s_or_b64 exec, exec, s[6:7]
	s_and_saveexec_b64 s[6:7], s[4:5]
	s_cbranch_execz .LBB46_868
.LBB46_867:
	v_and_b32_e32 v10, 7, v17
	v_ffbh_u32_e32 v12, v10
	v_min_u32_e32 v12, 32, v12
	v_lshrrev_b16_e32 v11, 3, v17
	v_subrev_u32_e32 v14, 28, v12
	v_and_b32_e32 v11, 15, v11
	v_lshlrev_b32_e32 v14, v14, v17
	v_sub_u32_e32 v12, 29, v12
	v_and_b32_e32 v14, 7, v14
	v_cmp_eq_u16_e32 vcc, 0, v11
	v_cndmask_b32_e32 v10, v10, v14, vcc
	v_cndmask_b32_e32 v11, v11, v12, vcc
	v_lshlrev_b32_e32 v12, 24, v17
	v_mov_b32_e32 v14, 0x3b800000
	v_lshlrev_b32_e32 v10, 20, v10
	v_and_b32_e32 v12, 0x80000000, v12
	v_lshl_add_u32 v11, v11, 23, v14
	v_or3_b32 v10, v12, v11, v10
.LBB46_868:
	s_or_b64 exec, exec, s[6:7]
	s_movk_i32 s4, 0x7f
	v_cmp_gt_i16_sdwa s[6:7], v13, s4 src0_sel:BYTE_0 src1_sel:DWORD
	s_mov_b64 s[4:5], 0
                                        ; implicit-def: $sgpr10
	s_and_saveexec_b64 s[8:9], s[6:7]
	s_xor_b64 s[6:7], exec, s[8:9]
	s_cbranch_execnz .LBB46_2917
; %bb.869:
	s_or_saveexec_b64 s[6:7], s[6:7]
	v_mov_b32_e32 v11, s10
	s_xor_b64 exec, exec, s[6:7]
	s_cbranch_execnz .LBB46_2920
.LBB46_870:
	s_or_b64 exec, exec, s[6:7]
	s_and_saveexec_b64 s[6:7], s[4:5]
	s_cbranch_execz .LBB46_872
.LBB46_871:
	v_and_b32_e32 v11, 7, v13
	v_ffbh_u32_e32 v14, v11
	v_min_u32_e32 v14, 32, v14
	v_lshrrev_b16_e32 v12, 3, v13
	v_subrev_u32_e32 v15, 28, v14
	v_and_b32_e32 v12, 15, v12
	v_lshlrev_b32_e32 v15, v15, v13
	v_sub_u32_e32 v14, 29, v14
	v_and_b32_e32 v15, 7, v15
	v_cmp_eq_u16_e32 vcc, 0, v12
	v_cndmask_b32_e32 v11, v11, v15, vcc
	v_cndmask_b32_e32 v12, v12, v14, vcc
	v_lshlrev_b32_e32 v14, 24, v13
	v_mov_b32_e32 v15, 0x3b800000
	v_lshlrev_b32_e32 v11, 20, v11
	v_and_b32_e32 v14, 0x80000000, v14
	v_lshl_add_u32 v12, v12, 23, v15
	v_or3_b32 v11, v14, v12, v11
.LBB46_872:
	s_or_b64 exec, exec, s[6:7]
	s_nop 0
	v_mfma_f32_16x16x4f32 a[0:3], v10, v11, a[0:3]
	v_lshrrev_b32_e32 v11, 8, v17
	s_movk_i32 s4, 0x7f
	v_cmp_gt_i16_sdwa s[6:7], v11, s4 src0_sel:BYTE_0 src1_sel:DWORD
	s_mov_b64 s[4:5], 0
                                        ; implicit-def: $sgpr10
	s_and_saveexec_b64 s[8:9], s[6:7]
	s_xor_b64 s[6:7], exec, s[8:9]
	s_cbranch_execnz .LBB46_2921
; %bb.873:
	s_or_saveexec_b64 s[6:7], s[6:7]
	v_mov_b32_e32 v10, s10
	s_xor_b64 exec, exec, s[6:7]
	s_cbranch_execnz .LBB46_2924
.LBB46_874:
	s_or_b64 exec, exec, s[6:7]
	s_and_saveexec_b64 s[6:7], s[4:5]
	s_cbranch_execz .LBB46_876
.LBB46_875:
	v_bfe_u32 v10, v17, 8, 3
	v_ffbh_u32_e32 v14, v10
	v_min_u32_e32 v14, 32, v14
	v_lshrrev_b16_e32 v12, 3, v11
	v_subrev_u32_e32 v15, 28, v14
	v_and_b32_e32 v12, 15, v12
	v_lshlrev_b32_e32 v11, v15, v11
	v_sub_u32_e32 v14, 29, v14
	v_and_b32_e32 v11, 7, v11
	v_cmp_eq_u16_e32 vcc, 0, v12
	v_cndmask_b32_e32 v10, v10, v11, vcc
	v_cndmask_b32_e32 v11, v12, v14, vcc
	v_lshlrev_b32_e32 v12, 16, v17
	v_mov_b32_e32 v14, 0x3b800000
	v_lshlrev_b32_e32 v10, 20, v10
	v_and_b32_e32 v12, 0x80000000, v12
	v_lshl_add_u32 v11, v11, 23, v14
	v_or3_b32 v10, v12, v11, v10
.LBB46_876:
	s_or_b64 exec, exec, s[6:7]
	v_lshrrev_b32_e32 v11, 8, v13
	s_movk_i32 s4, 0x7f
	v_cmp_gt_i16_sdwa s[6:7], v11, s4 src0_sel:BYTE_0 src1_sel:DWORD
	s_mov_b64 s[4:5], 0
                                        ; implicit-def: $sgpr10
	s_and_saveexec_b64 s[8:9], s[6:7]
	s_xor_b64 s[6:7], exec, s[8:9]
	s_cbranch_execnz .LBB46_2925
; %bb.877:
	s_or_saveexec_b64 s[6:7], s[6:7]
	v_mov_b32_e32 v12, s10
	s_xor_b64 exec, exec, s[6:7]
	s_cbranch_execnz .LBB46_2928
.LBB46_878:
	s_or_b64 exec, exec, s[6:7]
	s_and_saveexec_b64 s[6:7], s[4:5]
	s_cbranch_execz .LBB46_880
.LBB46_879:
	v_bfe_u32 v12, v13, 8, 3
	v_ffbh_u32_e32 v15, v12
	v_min_u32_e32 v15, 32, v15
	v_lshrrev_b16_e32 v14, 3, v11
	v_subrev_u32_e32 v16, 28, v15
	v_and_b32_e32 v14, 15, v14
	v_lshlrev_b32_e32 v11, v16, v11
	v_sub_u32_e32 v15, 29, v15
	v_and_b32_e32 v11, 7, v11
	v_cmp_eq_u16_e32 vcc, 0, v14
	v_cndmask_b32_e32 v11, v12, v11, vcc
	v_cndmask_b32_e32 v12, v14, v15, vcc
	v_lshlrev_b32_e32 v14, 16, v13
	v_mov_b32_e32 v15, 0x3b800000
	v_lshlrev_b32_e32 v11, 20, v11
	v_and_b32_e32 v14, 0x80000000, v14
	v_lshl_add_u32 v12, v12, 23, v15
	v_or3_b32 v12, v14, v12, v11
.LBB46_880:
	s_or_b64 exec, exec, s[6:7]
	s_nop 0
	v_mfma_f32_16x16x4f32 a[0:3], v10, v12, a[0:3]
	s_movk_i32 s4, 0xff
	v_and_b32_sdwa v11, v17, s4 dst_sel:DWORD dst_unused:UNUSED_PAD src0_sel:WORD_1 src1_sel:DWORD
	s_movk_i32 s4, 0x7f
	v_cmp_lt_i16_e32 vcc, s4, v11
	s_mov_b64 s[4:5], 0
                                        ; implicit-def: $sgpr10
	s_and_saveexec_b64 s[6:7], vcc
	s_xor_b64 s[6:7], exec, s[6:7]
	s_cbranch_execnz .LBB46_2929
; %bb.881:
	s_or_saveexec_b64 s[6:7], s[6:7]
	v_mov_b32_e32 v10, s10
	s_xor_b64 exec, exec, s[6:7]
	s_cbranch_execnz .LBB46_2932
.LBB46_882:
	s_or_b64 exec, exec, s[6:7]
	s_and_saveexec_b64 s[6:7], s[4:5]
	s_cbranch_execz .LBB46_884
.LBB46_883:
	v_bfe_u32 v10, v17, 16, 3
	v_ffbh_u32_e32 v14, v10
	v_min_u32_e32 v14, 32, v14
	v_lshrrev_b32_e32 v11, 19, v17
	v_subrev_u32_e32 v15, 28, v14
	v_and_b32_e32 v11, 15, v11
	v_lshlrev_b32_sdwa v15, v15, v17 dst_sel:DWORD dst_unused:UNUSED_PAD src0_sel:DWORD src1_sel:WORD_1
	v_bfe_u32 v12, v17, 19, 4
	v_sub_u32_e32 v14, 29, v14
	v_and_b32_e32 v15, 7, v15
	v_cmp_eq_u16_e32 vcc, 0, v11
	v_cndmask_b32_e32 v10, v10, v15, vcc
	v_cndmask_b32_e32 v11, v12, v14, vcc
	v_lshlrev_b32_e32 v12, 8, v17
	v_mov_b32_e32 v14, 0x3b800000
	v_lshlrev_b32_e32 v10, 20, v10
	v_and_b32_e32 v12, 0x80000000, v12
	v_lshl_add_u32 v11, v11, 23, v14
	v_or3_b32 v10, v12, v11, v10
.LBB46_884:
	s_or_b64 exec, exec, s[6:7]
	s_movk_i32 s4, 0xff
	v_and_b32_sdwa v11, v13, s4 dst_sel:DWORD dst_unused:UNUSED_PAD src0_sel:WORD_1 src1_sel:DWORD
	s_movk_i32 s4, 0x7f
	v_cmp_lt_i16_e32 vcc, s4, v11
	s_mov_b64 s[4:5], 0
                                        ; implicit-def: $sgpr10
	s_and_saveexec_b64 s[6:7], vcc
	s_xor_b64 s[6:7], exec, s[6:7]
	s_cbranch_execnz .LBB46_2933
; %bb.885:
	s_or_saveexec_b64 s[6:7], s[6:7]
	v_mov_b32_e32 v12, s10
	s_xor_b64 exec, exec, s[6:7]
	s_cbranch_execnz .LBB46_2936
.LBB46_886:
	s_or_b64 exec, exec, s[6:7]
	s_and_saveexec_b64 s[6:7], s[4:5]
	s_cbranch_execz .LBB46_888
.LBB46_887:
	v_bfe_u32 v11, v13, 16, 3
	v_ffbh_u32_e32 v15, v11
	v_min_u32_e32 v15, 32, v15
	v_lshrrev_b32_e32 v12, 19, v13
	v_subrev_u32_e32 v16, 28, v15
	v_and_b32_e32 v12, 15, v12
	v_lshlrev_b32_sdwa v16, v16, v13 dst_sel:DWORD dst_unused:UNUSED_PAD src0_sel:DWORD src1_sel:WORD_1
	v_bfe_u32 v14, v13, 19, 4
	v_sub_u32_e32 v15, 29, v15
	v_and_b32_e32 v16, 7, v16
	v_cmp_eq_u16_e32 vcc, 0, v12
	v_cndmask_b32_e32 v11, v11, v16, vcc
	v_cndmask_b32_e32 v12, v14, v15, vcc
	v_lshlrev_b32_e32 v14, 8, v13
	v_mov_b32_e32 v15, 0x3b800000
	v_lshlrev_b32_e32 v11, 20, v11
	v_and_b32_e32 v14, 0x80000000, v14
	v_lshl_add_u32 v12, v12, 23, v15
	v_or3_b32 v12, v14, v12, v11
.LBB46_888:
	s_or_b64 exec, exec, s[6:7]
	s_nop 0
	v_mfma_f32_16x16x4f32 a[0:3], v10, v12, a[0:3]
	s_movk_i32 s4, 0x7f
	v_cmp_gt_i16_sdwa s[6:7], v17, s4 src0_sel:BYTE_3 src1_sel:DWORD
	s_mov_b64 s[4:5], 0
                                        ; implicit-def: $sgpr10
	s_and_saveexec_b64 s[8:9], s[6:7]
	s_xor_b64 s[6:7], exec, s[8:9]
	s_cbranch_execnz .LBB46_2937
; %bb.889:
	s_or_saveexec_b64 s[6:7], s[6:7]
	v_mov_b32_e32 v10, s10
	s_xor_b64 exec, exec, s[6:7]
	s_cbranch_execnz .LBB46_2940
.LBB46_890:
	s_or_b64 exec, exec, s[6:7]
	s_and_saveexec_b64 s[6:7], s[4:5]
	s_cbranch_execz .LBB46_892
.LBB46_891:
	v_bfe_u32 v10, v17, 24, 3
	v_ffbh_u32_e32 v15, v10
	v_min_u32_e32 v15, 32, v15
	v_lshrrev_b32_e32 v12, 27, v17
	v_subrev_u32_e32 v16, 28, v15
	v_and_b32_e32 v12, 15, v12
	v_lshlrev_b32_sdwa v16, v16, v17 dst_sel:DWORD dst_unused:UNUSED_PAD src0_sel:DWORD src1_sel:BYTE_3
	v_bfe_u32 v14, v17, 27, 4
	v_sub_u32_e32 v15, 29, v15
	v_and_b32_e32 v16, 7, v16
	v_cmp_eq_u16_e32 vcc, 0, v12
	v_cndmask_b32_e32 v10, v10, v16, vcc
	v_cndmask_b32_e32 v12, v14, v15, vcc
	v_mov_b32_e32 v14, 0x3b800000
	v_and_b32_e32 v11, 0x80000000, v17
	v_lshlrev_b32_e32 v10, 20, v10
	v_lshl_add_u32 v12, v12, 23, v14
	v_or3_b32 v10, v11, v12, v10
.LBB46_892:
	s_or_b64 exec, exec, s[6:7]
	s_movk_i32 s4, 0x7f
	v_cmp_gt_i16_sdwa s[6:7], v13, s4 src0_sel:BYTE_3 src1_sel:DWORD
	s_mov_b64 s[4:5], 0
                                        ; implicit-def: $sgpr10
	s_and_saveexec_b64 s[8:9], s[6:7]
	s_xor_b64 s[6:7], exec, s[8:9]
	s_cbranch_execnz .LBB46_2941
; %bb.893:
	s_or_saveexec_b64 s[6:7], s[6:7]
	v_mov_b32_e32 v11, s10
	s_xor_b64 exec, exec, s[6:7]
	s_cbranch_execnz .LBB46_2944
.LBB46_894:
	s_or_b64 exec, exec, s[6:7]
	s_and_saveexec_b64 s[6:7], s[4:5]
	s_cbranch_execz .LBB46_896
.LBB46_895:
	v_bfe_u32 v11, v13, 24, 3
	v_ffbh_u32_e32 v16, v11
	v_min_u32_e32 v16, 32, v16
	v_lshrrev_b32_e32 v14, 27, v13
	v_subrev_u32_e32 v17, 28, v16
	v_and_b32_e32 v12, 0x80000000, v13
	v_and_b32_e32 v14, 15, v14
	v_bfe_u32 v15, v13, 27, 4
	v_lshlrev_b32_sdwa v13, v17, v13 dst_sel:DWORD dst_unused:UNUSED_PAD src0_sel:DWORD src1_sel:BYTE_3
	v_sub_u32_e32 v16, 29, v16
	v_and_b32_e32 v13, 7, v13
	v_cmp_eq_u16_e32 vcc, 0, v14
	v_cndmask_b32_e32 v11, v11, v13, vcc
	v_cndmask_b32_e32 v13, v15, v16, vcc
	v_mov_b32_e32 v14, 0x3b800000
	v_lshlrev_b32_e32 v11, 20, v11
	v_lshl_add_u32 v13, v13, 23, v14
	v_or3_b32 v11, v12, v13, v11
.LBB46_896:
	s_or_b64 exec, exec, s[6:7]
	s_nop 0
	v_mfma_f32_16x16x4f32 a[0:3], v10, v11, a[0:3]
	s_movk_i32 s4, 0x7f
	v_cmp_gt_i16_sdwa s[6:7], v6, s4 src0_sel:BYTE_0 src1_sel:DWORD
	s_mov_b64 s[4:5], 0
                                        ; implicit-def: $sgpr10
	s_and_saveexec_b64 s[8:9], s[6:7]
	s_xor_b64 s[6:7], exec, s[8:9]
	s_cbranch_execnz .LBB46_2945
; %bb.897:
	s_or_saveexec_b64 s[6:7], s[6:7]
	v_mov_b32_e32 v10, s10
	s_xor_b64 exec, exec, s[6:7]
	s_cbranch_execnz .LBB46_2948
.LBB46_898:
	s_or_b64 exec, exec, s[6:7]
	s_and_saveexec_b64 s[6:7], s[4:5]
	s_cbranch_execz .LBB46_900
.LBB46_899:
	v_and_b32_e32 v10, 7, v6
	v_ffbh_u32_e32 v12, v10
	v_min_u32_e32 v12, 32, v12
	v_lshrrev_b16_e32 v11, 3, v6
	v_subrev_u32_e32 v13, 28, v12
	v_and_b32_e32 v11, 15, v11
	v_lshlrev_b32_e32 v13, v13, v6
	v_sub_u32_e32 v12, 29, v12
	v_and_b32_e32 v13, 7, v13
	v_cmp_eq_u16_e32 vcc, 0, v11
	v_cndmask_b32_e32 v10, v10, v13, vcc
	v_cndmask_b32_e32 v11, v11, v12, vcc
	v_lshlrev_b32_e32 v12, 24, v6
	v_mov_b32_e32 v13, 0x3b800000
	v_lshlrev_b32_e32 v10, 20, v10
	v_and_b32_e32 v12, 0x80000000, v12
	v_lshl_add_u32 v11, v11, 23, v13
	v_or3_b32 v10, v12, v11, v10
.LBB46_900:
	s_or_b64 exec, exec, s[6:7]
	s_movk_i32 s4, 0x7f
	v_cmp_gt_i16_sdwa s[6:7], v2, s4 src0_sel:BYTE_0 src1_sel:DWORD
	s_mov_b64 s[4:5], 0
                                        ; implicit-def: $sgpr10
	s_and_saveexec_b64 s[8:9], s[6:7]
	s_xor_b64 s[6:7], exec, s[8:9]
	s_cbranch_execnz .LBB46_2949
; %bb.901:
	s_or_saveexec_b64 s[6:7], s[6:7]
	v_mov_b32_e32 v11, s10
	s_xor_b64 exec, exec, s[6:7]
	s_cbranch_execnz .LBB46_2952
.LBB46_902:
	s_or_b64 exec, exec, s[6:7]
	s_and_saveexec_b64 s[6:7], s[4:5]
	s_cbranch_execz .LBB46_904
.LBB46_903:
	v_and_b32_e32 v11, 7, v2
	v_ffbh_u32_e32 v13, v11
	v_min_u32_e32 v13, 32, v13
	v_lshrrev_b16_e32 v12, 3, v2
	v_subrev_u32_e32 v14, 28, v13
	v_and_b32_e32 v12, 15, v12
	v_lshlrev_b32_e32 v14, v14, v2
	v_sub_u32_e32 v13, 29, v13
	v_and_b32_e32 v14, 7, v14
	v_cmp_eq_u16_e32 vcc, 0, v12
	v_cndmask_b32_e32 v11, v11, v14, vcc
	v_cndmask_b32_e32 v12, v12, v13, vcc
	v_lshlrev_b32_e32 v13, 24, v2
	v_mov_b32_e32 v14, 0x3b800000
	v_lshlrev_b32_e32 v11, 20, v11
	v_and_b32_e32 v13, 0x80000000, v13
	v_lshl_add_u32 v12, v12, 23, v14
	v_or3_b32 v11, v13, v12, v11
.LBB46_904:
	s_or_b64 exec, exec, s[6:7]
	s_nop 0
	v_mfma_f32_16x16x4f32 a[0:3], v10, v11, a[0:3]
	v_lshrrev_b32_e32 v11, 8, v6
	s_movk_i32 s4, 0x7f
	v_cmp_gt_i16_sdwa s[6:7], v11, s4 src0_sel:BYTE_0 src1_sel:DWORD
	s_mov_b64 s[4:5], 0
                                        ; implicit-def: $sgpr10
	s_and_saveexec_b64 s[8:9], s[6:7]
	s_xor_b64 s[6:7], exec, s[8:9]
	s_cbranch_execnz .LBB46_2953
; %bb.905:
	s_or_saveexec_b64 s[6:7], s[6:7]
	v_mov_b32_e32 v10, s10
	s_xor_b64 exec, exec, s[6:7]
	s_cbranch_execnz .LBB46_2956
.LBB46_906:
	s_or_b64 exec, exec, s[6:7]
	s_and_saveexec_b64 s[6:7], s[4:5]
	s_cbranch_execz .LBB46_908
.LBB46_907:
	v_bfe_u32 v10, v6, 8, 3
	v_ffbh_u32_e32 v13, v10
	v_min_u32_e32 v13, 32, v13
	v_lshrrev_b16_e32 v12, 3, v11
	v_subrev_u32_e32 v14, 28, v13
	v_and_b32_e32 v12, 15, v12
	v_lshlrev_b32_e32 v11, v14, v11
	v_sub_u32_e32 v13, 29, v13
	v_and_b32_e32 v11, 7, v11
	v_cmp_eq_u16_e32 vcc, 0, v12
	v_cndmask_b32_e32 v10, v10, v11, vcc
	v_cndmask_b32_e32 v11, v12, v13, vcc
	v_lshlrev_b32_e32 v12, 16, v6
	v_mov_b32_e32 v13, 0x3b800000
	v_lshlrev_b32_e32 v10, 20, v10
	v_and_b32_e32 v12, 0x80000000, v12
	v_lshl_add_u32 v11, v11, 23, v13
	v_or3_b32 v10, v12, v11, v10
.LBB46_908:
	s_or_b64 exec, exec, s[6:7]
	v_lshrrev_b32_e32 v11, 8, v2
	s_movk_i32 s4, 0x7f
	v_cmp_gt_i16_sdwa s[6:7], v11, s4 src0_sel:BYTE_0 src1_sel:DWORD
	s_mov_b64 s[4:5], 0
                                        ; implicit-def: $sgpr10
	s_and_saveexec_b64 s[8:9], s[6:7]
	s_xor_b64 s[6:7], exec, s[8:9]
	s_cbranch_execnz .LBB46_2957
; %bb.909:
	s_or_saveexec_b64 s[6:7], s[6:7]
	v_mov_b32_e32 v12, s10
	s_xor_b64 exec, exec, s[6:7]
	s_cbranch_execnz .LBB46_2960
.LBB46_910:
	s_or_b64 exec, exec, s[6:7]
	s_and_saveexec_b64 s[6:7], s[4:5]
	s_cbranch_execz .LBB46_912
.LBB46_911:
	v_bfe_u32 v12, v2, 8, 3
	v_ffbh_u32_e32 v14, v12
	v_min_u32_e32 v14, 32, v14
	v_lshrrev_b16_e32 v13, 3, v11
	v_subrev_u32_e32 v15, 28, v14
	v_and_b32_e32 v13, 15, v13
	v_lshlrev_b32_e32 v11, v15, v11
	v_sub_u32_e32 v14, 29, v14
	v_and_b32_e32 v11, 7, v11
	v_cmp_eq_u16_e32 vcc, 0, v13
	v_cndmask_b32_e32 v11, v12, v11, vcc
	v_cndmask_b32_e32 v12, v13, v14, vcc
	v_lshlrev_b32_e32 v13, 16, v2
	v_mov_b32_e32 v14, 0x3b800000
	v_lshlrev_b32_e32 v11, 20, v11
	v_and_b32_e32 v13, 0x80000000, v13
	v_lshl_add_u32 v12, v12, 23, v14
	v_or3_b32 v12, v13, v12, v11
.LBB46_912:
	s_or_b64 exec, exec, s[6:7]
	s_nop 0
	v_mfma_f32_16x16x4f32 a[0:3], v10, v12, a[0:3]
	s_movk_i32 s4, 0xff
	v_and_b32_sdwa v11, v6, s4 dst_sel:DWORD dst_unused:UNUSED_PAD src0_sel:WORD_1 src1_sel:DWORD
	s_movk_i32 s4, 0x7f
	v_cmp_lt_i16_e32 vcc, s4, v11
	s_mov_b64 s[4:5], 0
                                        ; implicit-def: $sgpr10
	s_and_saveexec_b64 s[6:7], vcc
	s_xor_b64 s[6:7], exec, s[6:7]
	s_cbranch_execnz .LBB46_2961
; %bb.913:
	s_or_saveexec_b64 s[6:7], s[6:7]
	v_mov_b32_e32 v10, s10
	s_xor_b64 exec, exec, s[6:7]
	s_cbranch_execnz .LBB46_2964
.LBB46_914:
	s_or_b64 exec, exec, s[6:7]
	s_and_saveexec_b64 s[6:7], s[4:5]
	s_cbranch_execz .LBB46_916
.LBB46_915:
	v_bfe_u32 v10, v6, 16, 3
	v_ffbh_u32_e32 v13, v10
	v_min_u32_e32 v13, 32, v13
	v_lshrrev_b32_e32 v11, 19, v6
	v_subrev_u32_e32 v14, 28, v13
	v_and_b32_e32 v11, 15, v11
	v_lshlrev_b32_sdwa v14, v14, v6 dst_sel:DWORD dst_unused:UNUSED_PAD src0_sel:DWORD src1_sel:WORD_1
	v_bfe_u32 v12, v6, 19, 4
	v_sub_u32_e32 v13, 29, v13
	v_and_b32_e32 v14, 7, v14
	v_cmp_eq_u16_e32 vcc, 0, v11
	v_cndmask_b32_e32 v10, v10, v14, vcc
	v_cndmask_b32_e32 v11, v12, v13, vcc
	v_lshlrev_b32_e32 v12, 8, v6
	v_mov_b32_e32 v13, 0x3b800000
	v_lshlrev_b32_e32 v10, 20, v10
	v_and_b32_e32 v12, 0x80000000, v12
	v_lshl_add_u32 v11, v11, 23, v13
	v_or3_b32 v10, v12, v11, v10
.LBB46_916:
	s_or_b64 exec, exec, s[6:7]
	s_movk_i32 s4, 0xff
	v_and_b32_sdwa v11, v2, s4 dst_sel:DWORD dst_unused:UNUSED_PAD src0_sel:WORD_1 src1_sel:DWORD
	s_movk_i32 s4, 0x7f
	v_cmp_lt_i16_e32 vcc, s4, v11
	s_mov_b64 s[4:5], 0
                                        ; implicit-def: $sgpr10
	s_and_saveexec_b64 s[6:7], vcc
	s_xor_b64 s[6:7], exec, s[6:7]
	s_cbranch_execnz .LBB46_2965
; %bb.917:
	s_or_saveexec_b64 s[6:7], s[6:7]
	v_mov_b32_e32 v12, s10
	s_xor_b64 exec, exec, s[6:7]
	s_cbranch_execnz .LBB46_2968
.LBB46_918:
	s_or_b64 exec, exec, s[6:7]
	s_and_saveexec_b64 s[6:7], s[4:5]
	s_cbranch_execz .LBB46_920
.LBB46_919:
	v_bfe_u32 v11, v2, 16, 3
	v_ffbh_u32_e32 v14, v11
	v_min_u32_e32 v14, 32, v14
	v_lshrrev_b32_e32 v12, 19, v2
	v_subrev_u32_e32 v15, 28, v14
	v_and_b32_e32 v12, 15, v12
	v_lshlrev_b32_sdwa v15, v15, v2 dst_sel:DWORD dst_unused:UNUSED_PAD src0_sel:DWORD src1_sel:WORD_1
	v_bfe_u32 v13, v2, 19, 4
	v_sub_u32_e32 v14, 29, v14
	v_and_b32_e32 v15, 7, v15
	v_cmp_eq_u16_e32 vcc, 0, v12
	v_cndmask_b32_e32 v11, v11, v15, vcc
	v_cndmask_b32_e32 v12, v13, v14, vcc
	v_lshlrev_b32_e32 v13, 8, v2
	v_mov_b32_e32 v14, 0x3b800000
	v_lshlrev_b32_e32 v11, 20, v11
	v_and_b32_e32 v13, 0x80000000, v13
	v_lshl_add_u32 v12, v12, 23, v14
	v_or3_b32 v12, v13, v12, v11
.LBB46_920:
	s_or_b64 exec, exec, s[6:7]
	s_nop 0
	v_mfma_f32_16x16x4f32 a[0:3], v10, v12, a[0:3]
	s_movk_i32 s4, 0x7f
	v_cmp_gt_i16_sdwa s[6:7], v6, s4 src0_sel:BYTE_3 src1_sel:DWORD
	s_mov_b64 s[4:5], 0
                                        ; implicit-def: $sgpr10
	s_and_saveexec_b64 s[8:9], s[6:7]
	s_xor_b64 s[6:7], exec, s[8:9]
	s_cbranch_execnz .LBB46_2969
; %bb.921:
	s_or_saveexec_b64 s[6:7], s[6:7]
	v_mov_b32_e32 v10, s10
	s_xor_b64 exec, exec, s[6:7]
	s_cbranch_execnz .LBB46_2972
.LBB46_922:
	s_or_b64 exec, exec, s[6:7]
	s_and_saveexec_b64 s[6:7], s[4:5]
	s_cbranch_execz .LBB46_924
.LBB46_923:
	v_bfe_u32 v10, v6, 24, 3
	v_ffbh_u32_e32 v14, v10
	v_min_u32_e32 v14, 32, v14
	v_lshrrev_b32_e32 v12, 27, v6
	v_subrev_u32_e32 v15, 28, v14
	v_and_b32_e32 v11, 0x80000000, v6
	v_and_b32_e32 v12, 15, v12
	v_bfe_u32 v13, v6, 27, 4
	v_lshlrev_b32_sdwa v6, v15, v6 dst_sel:DWORD dst_unused:UNUSED_PAD src0_sel:DWORD src1_sel:BYTE_3
	v_sub_u32_e32 v14, 29, v14
	v_and_b32_e32 v6, 7, v6
	v_cmp_eq_u16_e32 vcc, 0, v12
	v_cndmask_b32_e32 v6, v10, v6, vcc
	v_cndmask_b32_e32 v10, v13, v14, vcc
	v_mov_b32_e32 v12, 0x3b800000
	v_lshlrev_b32_e32 v6, 20, v6
	v_lshl_add_u32 v10, v10, 23, v12
	v_or3_b32 v10, v11, v10, v6
.LBB46_924:
	s_or_b64 exec, exec, s[6:7]
	s_movk_i32 s4, 0x7f
	v_cmp_gt_i16_sdwa s[6:7], v2, s4 src0_sel:BYTE_3 src1_sel:DWORD
	s_mov_b64 s[4:5], 0
                                        ; implicit-def: $sgpr10
	s_and_saveexec_b64 s[8:9], s[6:7]
	s_xor_b64 s[6:7], exec, s[8:9]
	s_cbranch_execnz .LBB46_2973
; %bb.925:
	s_or_saveexec_b64 s[6:7], s[6:7]
	v_mov_b32_e32 v6, s10
	s_xor_b64 exec, exec, s[6:7]
	s_cbranch_execnz .LBB46_2976
.LBB46_926:
	s_or_b64 exec, exec, s[6:7]
	s_and_saveexec_b64 s[6:7], s[4:5]
	s_cbranch_execz .LBB46_928
.LBB46_927:
	v_bfe_u32 v6, v2, 24, 3
	v_ffbh_u32_e32 v14, v6
	v_min_u32_e32 v14, 32, v14
	v_lshrrev_b32_e32 v12, 27, v2
	v_subrev_u32_e32 v15, 28, v14
	v_and_b32_e32 v11, 0x80000000, v2
	v_and_b32_e32 v12, 15, v12
	v_bfe_u32 v13, v2, 27, 4
	v_lshlrev_b32_sdwa v2, v15, v2 dst_sel:DWORD dst_unused:UNUSED_PAD src0_sel:DWORD src1_sel:BYTE_3
	v_sub_u32_e32 v14, 29, v14
	v_and_b32_e32 v2, 7, v2
	v_cmp_eq_u16_e32 vcc, 0, v12
	v_cndmask_b32_e32 v2, v6, v2, vcc
	v_cndmask_b32_e32 v6, v13, v14, vcc
	v_mov_b32_e32 v12, 0x3b800000
	v_lshlrev_b32_e32 v2, 20, v2
	v_lshl_add_u32 v6, v6, 23, v12
	v_or3_b32 v6, v11, v6, v2
.LBB46_928:
	s_or_b64 exec, exec, s[6:7]
	s_nop 0
	v_mfma_f32_16x16x4f32 a[0:3], v10, v6, a[0:3]
	s_movk_i32 s4, 0x7f
	v_cmp_gt_i16_sdwa s[6:7], v7, s4 src0_sel:BYTE_0 src1_sel:DWORD
	s_mov_b64 s[4:5], 0
                                        ; implicit-def: $sgpr10
	s_and_saveexec_b64 s[8:9], s[6:7]
	s_xor_b64 s[6:7], exec, s[8:9]
	s_cbranch_execnz .LBB46_2977
; %bb.929:
	s_or_saveexec_b64 s[6:7], s[6:7]
	v_mov_b32_e32 v2, s10
	s_xor_b64 exec, exec, s[6:7]
	s_cbranch_execnz .LBB46_2980
.LBB46_930:
	s_or_b64 exec, exec, s[6:7]
	s_and_saveexec_b64 s[6:7], s[4:5]
	s_cbranch_execz .LBB46_932
.LBB46_931:
	v_and_b32_e32 v2, 7, v7
	v_ffbh_u32_e32 v10, v2
	v_min_u32_e32 v10, 32, v10
	v_lshrrev_b16_e32 v6, 3, v7
	v_subrev_u32_e32 v11, 28, v10
	v_and_b32_e32 v6, 15, v6
	v_lshlrev_b32_e32 v11, v11, v7
	v_sub_u32_e32 v10, 29, v10
	v_and_b32_e32 v11, 7, v11
	v_cmp_eq_u16_e32 vcc, 0, v6
	v_cndmask_b32_e32 v2, v2, v11, vcc
	v_cndmask_b32_e32 v6, v6, v10, vcc
	v_lshlrev_b32_e32 v10, 24, v7
	v_mov_b32_e32 v11, 0x3b800000
	v_lshlrev_b32_e32 v2, 20, v2
	v_and_b32_e32 v10, 0x80000000, v10
	v_lshl_add_u32 v6, v6, 23, v11
	v_or3_b32 v2, v10, v6, v2
.LBB46_932:
	s_or_b64 exec, exec, s[6:7]
	s_movk_i32 s4, 0x7f
	v_cmp_gt_i16_sdwa s[6:7], v3, s4 src0_sel:BYTE_0 src1_sel:DWORD
	s_mov_b64 s[4:5], 0
                                        ; implicit-def: $sgpr10
	s_and_saveexec_b64 s[8:9], s[6:7]
	s_xor_b64 s[6:7], exec, s[8:9]
	s_cbranch_execnz .LBB46_2981
; %bb.933:
	s_or_saveexec_b64 s[6:7], s[6:7]
	v_mov_b32_e32 v6, s10
	s_xor_b64 exec, exec, s[6:7]
	s_cbranch_execnz .LBB46_2984
.LBB46_934:
	s_or_b64 exec, exec, s[6:7]
	s_and_saveexec_b64 s[6:7], s[4:5]
	s_cbranch_execz .LBB46_936
.LBB46_935:
	v_and_b32_e32 v6, 7, v3
	v_ffbh_u32_e32 v11, v6
	v_min_u32_e32 v11, 32, v11
	v_lshrrev_b16_e32 v10, 3, v3
	v_subrev_u32_e32 v12, 28, v11
	v_and_b32_e32 v10, 15, v10
	v_lshlrev_b32_e32 v12, v12, v3
	v_sub_u32_e32 v11, 29, v11
	v_and_b32_e32 v12, 7, v12
	v_cmp_eq_u16_e32 vcc, 0, v10
	v_cndmask_b32_e32 v6, v6, v12, vcc
	v_cndmask_b32_e32 v10, v10, v11, vcc
	v_lshlrev_b32_e32 v11, 24, v3
	v_mov_b32_e32 v12, 0x3b800000
	v_lshlrev_b32_e32 v6, 20, v6
	v_and_b32_e32 v11, 0x80000000, v11
	v_lshl_add_u32 v10, v10, 23, v12
	v_or3_b32 v6, v11, v10, v6
.LBB46_936:
	s_or_b64 exec, exec, s[6:7]
	s_nop 0
	v_mfma_f32_16x16x4f32 a[0:3], v2, v6, a[0:3]
	v_lshrrev_b32_e32 v6, 8, v7
	s_movk_i32 s4, 0x7f
	v_cmp_gt_i16_sdwa s[6:7], v6, s4 src0_sel:BYTE_0 src1_sel:DWORD
	s_mov_b64 s[4:5], 0
                                        ; implicit-def: $sgpr10
	s_and_saveexec_b64 s[8:9], s[6:7]
	s_xor_b64 s[6:7], exec, s[8:9]
	s_cbranch_execnz .LBB46_2985
; %bb.937:
	s_or_saveexec_b64 s[6:7], s[6:7]
	v_mov_b32_e32 v2, s10
	s_xor_b64 exec, exec, s[6:7]
	s_cbranch_execnz .LBB46_2988
.LBB46_938:
	s_or_b64 exec, exec, s[6:7]
	s_and_saveexec_b64 s[6:7], s[4:5]
	s_cbranch_execz .LBB46_940
.LBB46_939:
	v_bfe_u32 v2, v7, 8, 3
	v_ffbh_u32_e32 v11, v2
	v_min_u32_e32 v11, 32, v11
	v_lshrrev_b16_e32 v10, 3, v6
	v_subrev_u32_e32 v12, 28, v11
	v_and_b32_e32 v10, 15, v10
	v_lshlrev_b32_e32 v6, v12, v6
	v_sub_u32_e32 v11, 29, v11
	v_and_b32_e32 v6, 7, v6
	v_cmp_eq_u16_e32 vcc, 0, v10
	v_cndmask_b32_e32 v2, v2, v6, vcc
	v_cndmask_b32_e32 v6, v10, v11, vcc
	v_lshlrev_b32_e32 v10, 16, v7
	v_mov_b32_e32 v11, 0x3b800000
	v_lshlrev_b32_e32 v2, 20, v2
	v_and_b32_e32 v10, 0x80000000, v10
	v_lshl_add_u32 v6, v6, 23, v11
	v_or3_b32 v2, v10, v6, v2
.LBB46_940:
	s_or_b64 exec, exec, s[6:7]
	v_lshrrev_b32_e32 v6, 8, v3
	s_movk_i32 s4, 0x7f
	v_cmp_gt_i16_sdwa s[6:7], v6, s4 src0_sel:BYTE_0 src1_sel:DWORD
	s_mov_b64 s[4:5], 0
                                        ; implicit-def: $sgpr10
	s_and_saveexec_b64 s[8:9], s[6:7]
	s_xor_b64 s[6:7], exec, s[8:9]
	s_cbranch_execnz .LBB46_2989
; %bb.941:
	s_or_saveexec_b64 s[6:7], s[6:7]
	v_mov_b32_e32 v10, s10
	s_xor_b64 exec, exec, s[6:7]
	s_cbranch_execnz .LBB46_2992
.LBB46_942:
	s_or_b64 exec, exec, s[6:7]
	s_and_saveexec_b64 s[6:7], s[4:5]
	s_cbranch_execz .LBB46_944
.LBB46_943:
	v_bfe_u32 v10, v3, 8, 3
	v_ffbh_u32_e32 v12, v10
	v_min_u32_e32 v12, 32, v12
	v_lshrrev_b16_e32 v11, 3, v6
	v_subrev_u32_e32 v13, 28, v12
	v_and_b32_e32 v11, 15, v11
	v_lshlrev_b32_e32 v6, v13, v6
	v_sub_u32_e32 v12, 29, v12
	v_and_b32_e32 v6, 7, v6
	v_cmp_eq_u16_e32 vcc, 0, v11
	v_cndmask_b32_e32 v6, v10, v6, vcc
	v_cndmask_b32_e32 v10, v11, v12, vcc
	v_lshlrev_b32_e32 v11, 16, v3
	v_mov_b32_e32 v12, 0x3b800000
	v_lshlrev_b32_e32 v6, 20, v6
	v_and_b32_e32 v11, 0x80000000, v11
	v_lshl_add_u32 v10, v10, 23, v12
	v_or3_b32 v10, v11, v10, v6
.LBB46_944:
	s_or_b64 exec, exec, s[6:7]
	s_nop 0
	v_mfma_f32_16x16x4f32 a[0:3], v2, v10, a[0:3]
	s_movk_i32 s4, 0xff
	v_and_b32_sdwa v6, v7, s4 dst_sel:DWORD dst_unused:UNUSED_PAD src0_sel:WORD_1 src1_sel:DWORD
	s_movk_i32 s4, 0x7f
	v_cmp_lt_i16_e32 vcc, s4, v6
	s_mov_b64 s[4:5], 0
                                        ; implicit-def: $sgpr10
	s_and_saveexec_b64 s[6:7], vcc
	s_xor_b64 s[6:7], exec, s[6:7]
	s_cbranch_execnz .LBB46_2993
; %bb.945:
	s_or_saveexec_b64 s[6:7], s[6:7]
	v_mov_b32_e32 v2, s10
	s_xor_b64 exec, exec, s[6:7]
	s_cbranch_execnz .LBB46_2996
.LBB46_946:
	s_or_b64 exec, exec, s[6:7]
	s_and_saveexec_b64 s[6:7], s[4:5]
	s_cbranch_execz .LBB46_948
.LBB46_947:
	v_bfe_u32 v2, v7, 16, 3
	v_ffbh_u32_e32 v11, v2
	v_min_u32_e32 v11, 32, v11
	v_lshrrev_b32_e32 v6, 19, v7
	v_subrev_u32_e32 v12, 28, v11
	v_and_b32_e32 v6, 15, v6
	v_lshlrev_b32_sdwa v12, v12, v7 dst_sel:DWORD dst_unused:UNUSED_PAD src0_sel:DWORD src1_sel:WORD_1
	v_bfe_u32 v10, v7, 19, 4
	v_sub_u32_e32 v11, 29, v11
	v_and_b32_e32 v12, 7, v12
	v_cmp_eq_u16_e32 vcc, 0, v6
	v_cndmask_b32_e32 v2, v2, v12, vcc
	v_cndmask_b32_e32 v6, v10, v11, vcc
	v_lshlrev_b32_e32 v10, 8, v7
	v_mov_b32_e32 v11, 0x3b800000
	v_lshlrev_b32_e32 v2, 20, v2
	v_and_b32_e32 v10, 0x80000000, v10
	v_lshl_add_u32 v6, v6, 23, v11
	v_or3_b32 v2, v10, v6, v2
.LBB46_948:
	s_or_b64 exec, exec, s[6:7]
	s_movk_i32 s4, 0xff
	v_and_b32_sdwa v6, v3, s4 dst_sel:DWORD dst_unused:UNUSED_PAD src0_sel:WORD_1 src1_sel:DWORD
	s_movk_i32 s4, 0x7f
	v_cmp_lt_i16_e32 vcc, s4, v6
	s_mov_b64 s[4:5], 0
                                        ; implicit-def: $sgpr10
	s_and_saveexec_b64 s[6:7], vcc
	s_xor_b64 s[6:7], exec, s[6:7]
	s_cbranch_execnz .LBB46_2997
; %bb.949:
	s_or_saveexec_b64 s[6:7], s[6:7]
	v_mov_b32_e32 v10, s10
	s_xor_b64 exec, exec, s[6:7]
	s_cbranch_execnz .LBB46_3000
.LBB46_950:
	s_or_b64 exec, exec, s[6:7]
	s_and_saveexec_b64 s[6:7], s[4:5]
	s_cbranch_execz .LBB46_952
.LBB46_951:
	v_bfe_u32 v6, v3, 16, 3
	v_ffbh_u32_e32 v12, v6
	v_min_u32_e32 v12, 32, v12
	v_lshrrev_b32_e32 v10, 19, v3
	v_subrev_u32_e32 v13, 28, v12
	v_and_b32_e32 v10, 15, v10
	v_lshlrev_b32_sdwa v13, v13, v3 dst_sel:DWORD dst_unused:UNUSED_PAD src0_sel:DWORD src1_sel:WORD_1
	v_bfe_u32 v11, v3, 19, 4
	v_sub_u32_e32 v12, 29, v12
	v_and_b32_e32 v13, 7, v13
	v_cmp_eq_u16_e32 vcc, 0, v10
	v_cndmask_b32_e32 v6, v6, v13, vcc
	v_cndmask_b32_e32 v10, v11, v12, vcc
	v_lshlrev_b32_e32 v11, 8, v3
	v_mov_b32_e32 v12, 0x3b800000
	v_lshlrev_b32_e32 v6, 20, v6
	v_and_b32_e32 v11, 0x80000000, v11
	v_lshl_add_u32 v10, v10, 23, v12
	v_or3_b32 v10, v11, v10, v6
.LBB46_952:
	s_or_b64 exec, exec, s[6:7]
	s_nop 0
	v_mfma_f32_16x16x4f32 a[0:3], v2, v10, a[0:3]
	s_movk_i32 s4, 0x7f
	v_cmp_gt_i16_sdwa s[6:7], v7, s4 src0_sel:BYTE_3 src1_sel:DWORD
	s_mov_b64 s[4:5], 0
                                        ; implicit-def: $sgpr10
	s_and_saveexec_b64 s[8:9], s[6:7]
	s_xor_b64 s[6:7], exec, s[8:9]
	s_cbranch_execnz .LBB46_3001
; %bb.953:
	s_or_saveexec_b64 s[6:7], s[6:7]
	v_mov_b32_e32 v2, s10
	s_xor_b64 exec, exec, s[6:7]
	s_cbranch_execnz .LBB46_3004
.LBB46_954:
	s_or_b64 exec, exec, s[6:7]
	s_and_saveexec_b64 s[6:7], s[4:5]
	s_cbranch_execz .LBB46_956
.LBB46_955:
	v_bfe_u32 v2, v7, 24, 3
	v_ffbh_u32_e32 v12, v2
	v_min_u32_e32 v12, 32, v12
	v_lshrrev_b32_e32 v10, 27, v7
	v_subrev_u32_e32 v13, 28, v12
	v_and_b32_e32 v6, 0x80000000, v7
	v_and_b32_e32 v10, 15, v10
	v_bfe_u32 v11, v7, 27, 4
	v_lshlrev_b32_sdwa v7, v13, v7 dst_sel:DWORD dst_unused:UNUSED_PAD src0_sel:DWORD src1_sel:BYTE_3
	v_sub_u32_e32 v12, 29, v12
	v_and_b32_e32 v7, 7, v7
	v_cmp_eq_u16_e32 vcc, 0, v10
	v_cndmask_b32_e32 v2, v2, v7, vcc
	v_cndmask_b32_e32 v7, v11, v12, vcc
	v_mov_b32_e32 v10, 0x3b800000
	v_lshlrev_b32_e32 v2, 20, v2
	v_lshl_add_u32 v7, v7, 23, v10
	v_or3_b32 v2, v6, v7, v2
.LBB46_956:
	s_or_b64 exec, exec, s[6:7]
	s_movk_i32 s4, 0x7f
	v_cmp_gt_i16_sdwa s[6:7], v3, s4 src0_sel:BYTE_3 src1_sel:DWORD
	s_mov_b64 s[4:5], 0
                                        ; implicit-def: $sgpr10
	s_and_saveexec_b64 s[8:9], s[6:7]
	s_xor_b64 s[6:7], exec, s[8:9]
	s_cbranch_execnz .LBB46_3005
; %bb.957:
	s_or_saveexec_b64 s[6:7], s[6:7]
	v_mov_b32_e32 v6, s10
	s_xor_b64 exec, exec, s[6:7]
	s_cbranch_execnz .LBB46_3008
.LBB46_958:
	s_or_b64 exec, exec, s[6:7]
	s_and_saveexec_b64 s[6:7], s[4:5]
	s_cbranch_execz .LBB46_960
.LBB46_959:
	v_bfe_u32 v6, v3, 24, 3
	v_ffbh_u32_e32 v12, v6
	v_min_u32_e32 v12, 32, v12
	v_lshrrev_b32_e32 v10, 27, v3
	v_subrev_u32_e32 v13, 28, v12
	v_and_b32_e32 v7, 0x80000000, v3
	v_and_b32_e32 v10, 15, v10
	v_bfe_u32 v11, v3, 27, 4
	v_lshlrev_b32_sdwa v3, v13, v3 dst_sel:DWORD dst_unused:UNUSED_PAD src0_sel:DWORD src1_sel:BYTE_3
	v_sub_u32_e32 v12, 29, v12
	v_and_b32_e32 v3, 7, v3
	v_cmp_eq_u16_e32 vcc, 0, v10
	v_cndmask_b32_e32 v3, v6, v3, vcc
	v_cndmask_b32_e32 v6, v11, v12, vcc
	v_mov_b32_e32 v10, 0x3b800000
	v_lshlrev_b32_e32 v3, 20, v3
	v_lshl_add_u32 v6, v6, 23, v10
	v_or3_b32 v6, v7, v6, v3
.LBB46_960:
	s_or_b64 exec, exec, s[6:7]
	s_nop 0
	v_mfma_f32_16x16x4f32 a[0:3], v2, v6, a[0:3]
	s_movk_i32 s4, 0x7f
	v_cmp_gt_i16_sdwa s[6:7], v8, s4 src0_sel:BYTE_0 src1_sel:DWORD
	s_mov_b64 s[4:5], 0
                                        ; implicit-def: $sgpr10
	s_and_saveexec_b64 s[8:9], s[6:7]
	s_xor_b64 s[6:7], exec, s[8:9]
	s_cbranch_execnz .LBB46_3009
; %bb.961:
	s_or_saveexec_b64 s[6:7], s[6:7]
	v_mov_b32_e32 v2, s10
	s_xor_b64 exec, exec, s[6:7]
	s_cbranch_execnz .LBB46_3012
.LBB46_962:
	s_or_b64 exec, exec, s[6:7]
	s_and_saveexec_b64 s[6:7], s[4:5]
	s_cbranch_execz .LBB46_964
.LBB46_963:
	v_and_b32_e32 v2, 7, v8
	v_ffbh_u32_e32 v6, v2
	v_min_u32_e32 v6, 32, v6
	v_lshrrev_b16_e32 v3, 3, v8
	v_subrev_u32_e32 v7, 28, v6
	v_and_b32_e32 v3, 15, v3
	v_lshlrev_b32_e32 v7, v7, v8
	v_sub_u32_e32 v6, 29, v6
	v_and_b32_e32 v7, 7, v7
	v_cmp_eq_u16_e32 vcc, 0, v3
	v_cndmask_b32_e32 v2, v2, v7, vcc
	v_cndmask_b32_e32 v3, v3, v6, vcc
	v_lshlrev_b32_e32 v6, 24, v8
	v_mov_b32_e32 v7, 0x3b800000
	v_lshlrev_b32_e32 v2, 20, v2
	v_and_b32_e32 v6, 0x80000000, v6
	v_lshl_add_u32 v3, v3, 23, v7
	v_or3_b32 v2, v6, v3, v2
.LBB46_964:
	s_or_b64 exec, exec, s[6:7]
	s_movk_i32 s4, 0x7f
	v_cmp_gt_i16_sdwa s[6:7], v4, s4 src0_sel:BYTE_0 src1_sel:DWORD
	s_mov_b64 s[4:5], 0
                                        ; implicit-def: $sgpr10
	s_and_saveexec_b64 s[8:9], s[6:7]
	s_xor_b64 s[6:7], exec, s[8:9]
	s_cbranch_execnz .LBB46_3013
; %bb.965:
	s_or_saveexec_b64 s[6:7], s[6:7]
	v_mov_b32_e32 v3, s10
	s_xor_b64 exec, exec, s[6:7]
	s_cbranch_execnz .LBB46_3016
.LBB46_966:
	s_or_b64 exec, exec, s[6:7]
	s_and_saveexec_b64 s[6:7], s[4:5]
	s_cbranch_execz .LBB46_968
.LBB46_967:
	v_and_b32_e32 v3, 7, v4
	v_ffbh_u32_e32 v7, v3
	v_min_u32_e32 v7, 32, v7
	v_lshrrev_b16_e32 v6, 3, v4
	v_subrev_u32_e32 v10, 28, v7
	v_and_b32_e32 v6, 15, v6
	v_lshlrev_b32_e32 v10, v10, v4
	v_sub_u32_e32 v7, 29, v7
	v_and_b32_e32 v10, 7, v10
	v_cmp_eq_u16_e32 vcc, 0, v6
	v_cndmask_b32_e32 v3, v3, v10, vcc
	v_cndmask_b32_e32 v6, v6, v7, vcc
	v_lshlrev_b32_e32 v7, 24, v4
	v_mov_b32_e32 v10, 0x3b800000
	v_lshlrev_b32_e32 v3, 20, v3
	v_and_b32_e32 v7, 0x80000000, v7
	v_lshl_add_u32 v6, v6, 23, v10
	v_or3_b32 v3, v7, v6, v3
.LBB46_968:
	s_or_b64 exec, exec, s[6:7]
	s_nop 0
	v_mfma_f32_16x16x4f32 a[0:3], v2, v3, a[0:3]
	v_lshrrev_b32_e32 v3, 8, v8
	s_movk_i32 s4, 0x7f
	v_cmp_gt_i16_sdwa s[6:7], v3, s4 src0_sel:BYTE_0 src1_sel:DWORD
	s_mov_b64 s[4:5], 0
                                        ; implicit-def: $sgpr10
	s_and_saveexec_b64 s[8:9], s[6:7]
	s_xor_b64 s[6:7], exec, s[8:9]
	s_cbranch_execnz .LBB46_3017
; %bb.969:
	s_or_saveexec_b64 s[6:7], s[6:7]
	v_mov_b32_e32 v2, s10
	s_xor_b64 exec, exec, s[6:7]
	s_cbranch_execnz .LBB46_3020
.LBB46_970:
	s_or_b64 exec, exec, s[6:7]
	s_and_saveexec_b64 s[6:7], s[4:5]
	s_cbranch_execz .LBB46_972
.LBB46_971:
	v_bfe_u32 v2, v8, 8, 3
	v_ffbh_u32_e32 v7, v2
	v_min_u32_e32 v7, 32, v7
	v_lshrrev_b16_e32 v6, 3, v3
	v_subrev_u32_e32 v10, 28, v7
	v_and_b32_e32 v6, 15, v6
	v_lshlrev_b32_e32 v3, v10, v3
	v_sub_u32_e32 v7, 29, v7
	v_and_b32_e32 v3, 7, v3
	v_cmp_eq_u16_e32 vcc, 0, v6
	v_cndmask_b32_e32 v2, v2, v3, vcc
	v_cndmask_b32_e32 v3, v6, v7, vcc
	v_lshlrev_b32_e32 v6, 16, v8
	v_mov_b32_e32 v7, 0x3b800000
	v_lshlrev_b32_e32 v2, 20, v2
	v_and_b32_e32 v6, 0x80000000, v6
	v_lshl_add_u32 v3, v3, 23, v7
	v_or3_b32 v2, v6, v3, v2
.LBB46_972:
	s_or_b64 exec, exec, s[6:7]
	v_lshrrev_b32_e32 v3, 8, v4
	s_movk_i32 s4, 0x7f
	v_cmp_gt_i16_sdwa s[6:7], v3, s4 src0_sel:BYTE_0 src1_sel:DWORD
	s_mov_b64 s[4:5], 0
                                        ; implicit-def: $sgpr10
	s_and_saveexec_b64 s[8:9], s[6:7]
	s_xor_b64 s[6:7], exec, s[8:9]
	s_cbranch_execnz .LBB46_3021
; %bb.973:
	s_or_saveexec_b64 s[6:7], s[6:7]
	v_mov_b32_e32 v6, s10
	s_xor_b64 exec, exec, s[6:7]
	s_cbranch_execnz .LBB46_3024
.LBB46_974:
	s_or_b64 exec, exec, s[6:7]
	s_and_saveexec_b64 s[6:7], s[4:5]
	s_cbranch_execz .LBB46_976
.LBB46_975:
	v_bfe_u32 v6, v4, 8, 3
	v_ffbh_u32_e32 v10, v6
	v_min_u32_e32 v10, 32, v10
	v_lshrrev_b16_e32 v7, 3, v3
	v_subrev_u32_e32 v11, 28, v10
	v_and_b32_e32 v7, 15, v7
	v_lshlrev_b32_e32 v3, v11, v3
	v_sub_u32_e32 v10, 29, v10
	v_and_b32_e32 v3, 7, v3
	v_cmp_eq_u16_e32 vcc, 0, v7
	v_cndmask_b32_e32 v3, v6, v3, vcc
	v_cndmask_b32_e32 v6, v7, v10, vcc
	v_lshlrev_b32_e32 v7, 16, v4
	v_mov_b32_e32 v10, 0x3b800000
	v_lshlrev_b32_e32 v3, 20, v3
	v_and_b32_e32 v7, 0x80000000, v7
	v_lshl_add_u32 v6, v6, 23, v10
	v_or3_b32 v6, v7, v6, v3
.LBB46_976:
	s_or_b64 exec, exec, s[6:7]
	s_nop 0
	v_mfma_f32_16x16x4f32 a[0:3], v2, v6, a[0:3]
	s_movk_i32 s4, 0xff
	v_and_b32_sdwa v3, v8, s4 dst_sel:DWORD dst_unused:UNUSED_PAD src0_sel:WORD_1 src1_sel:DWORD
	s_movk_i32 s4, 0x7f
	v_cmp_lt_i16_e32 vcc, s4, v3
	s_mov_b64 s[4:5], 0
                                        ; implicit-def: $sgpr10
	s_and_saveexec_b64 s[6:7], vcc
	s_xor_b64 s[6:7], exec, s[6:7]
	s_cbranch_execnz .LBB46_3025
; %bb.977:
	s_or_saveexec_b64 s[6:7], s[6:7]
	v_mov_b32_e32 v2, s10
	s_xor_b64 exec, exec, s[6:7]
	s_cbranch_execnz .LBB46_3028
.LBB46_978:
	s_or_b64 exec, exec, s[6:7]
	s_and_saveexec_b64 s[6:7], s[4:5]
	s_cbranch_execz .LBB46_980
.LBB46_979:
	v_bfe_u32 v2, v8, 16, 3
	v_ffbh_u32_e32 v7, v2
	v_min_u32_e32 v7, 32, v7
	v_lshrrev_b32_e32 v3, 19, v8
	v_subrev_u32_e32 v10, 28, v7
	v_and_b32_e32 v3, 15, v3
	v_lshlrev_b32_sdwa v10, v10, v8 dst_sel:DWORD dst_unused:UNUSED_PAD src0_sel:DWORD src1_sel:WORD_1
	v_bfe_u32 v6, v8, 19, 4
	v_sub_u32_e32 v7, 29, v7
	v_and_b32_e32 v10, 7, v10
	v_cmp_eq_u16_e32 vcc, 0, v3
	v_cndmask_b32_e32 v2, v2, v10, vcc
	v_cndmask_b32_e32 v3, v6, v7, vcc
	v_lshlrev_b32_e32 v6, 8, v8
	v_mov_b32_e32 v7, 0x3b800000
	v_lshlrev_b32_e32 v2, 20, v2
	v_and_b32_e32 v6, 0x80000000, v6
	v_lshl_add_u32 v3, v3, 23, v7
	v_or3_b32 v2, v6, v3, v2
.LBB46_980:
	s_or_b64 exec, exec, s[6:7]
	s_movk_i32 s4, 0xff
	v_and_b32_sdwa v3, v4, s4 dst_sel:DWORD dst_unused:UNUSED_PAD src0_sel:WORD_1 src1_sel:DWORD
	s_movk_i32 s4, 0x7f
	v_cmp_lt_i16_e32 vcc, s4, v3
	s_mov_b64 s[4:5], 0
                                        ; implicit-def: $sgpr10
	s_and_saveexec_b64 s[6:7], vcc
	s_xor_b64 s[6:7], exec, s[6:7]
	s_cbranch_execnz .LBB46_3029
; %bb.981:
	s_or_saveexec_b64 s[6:7], s[6:7]
	v_mov_b32_e32 v6, s10
	s_xor_b64 exec, exec, s[6:7]
	s_cbranch_execnz .LBB46_3032
.LBB46_982:
	s_or_b64 exec, exec, s[6:7]
	s_and_saveexec_b64 s[6:7], s[4:5]
	s_cbranch_execz .LBB46_984
.LBB46_983:
	v_bfe_u32 v3, v4, 16, 3
	v_ffbh_u32_e32 v10, v3
	v_min_u32_e32 v10, 32, v10
	v_lshrrev_b32_e32 v6, 19, v4
	v_subrev_u32_e32 v11, 28, v10
	v_and_b32_e32 v6, 15, v6
	v_lshlrev_b32_sdwa v11, v11, v4 dst_sel:DWORD dst_unused:UNUSED_PAD src0_sel:DWORD src1_sel:WORD_1
	v_bfe_u32 v7, v4, 19, 4
	v_sub_u32_e32 v10, 29, v10
	v_and_b32_e32 v11, 7, v11
	v_cmp_eq_u16_e32 vcc, 0, v6
	v_cndmask_b32_e32 v3, v3, v11, vcc
	v_cndmask_b32_e32 v6, v7, v10, vcc
	v_lshlrev_b32_e32 v7, 8, v4
	v_mov_b32_e32 v10, 0x3b800000
	v_lshlrev_b32_e32 v3, 20, v3
	v_and_b32_e32 v7, 0x80000000, v7
	v_lshl_add_u32 v6, v6, 23, v10
	v_or3_b32 v6, v7, v6, v3
.LBB46_984:
	s_or_b64 exec, exec, s[6:7]
	s_nop 0
	v_mfma_f32_16x16x4f32 a[0:3], v2, v6, a[0:3]
	s_movk_i32 s4, 0x7f
	v_cmp_gt_i16_sdwa s[6:7], v8, s4 src0_sel:BYTE_3 src1_sel:DWORD
	s_mov_b64 s[4:5], 0
                                        ; implicit-def: $sgpr10
	s_and_saveexec_b64 s[8:9], s[6:7]
	s_xor_b64 s[6:7], exec, s[8:9]
	s_cbranch_execnz .LBB46_3033
; %bb.985:
	s_or_saveexec_b64 s[6:7], s[6:7]
	v_mov_b32_e32 v2, s10
	s_xor_b64 exec, exec, s[6:7]
	s_cbranch_execnz .LBB46_3036
.LBB46_986:
	s_or_b64 exec, exec, s[6:7]
	s_and_saveexec_b64 s[6:7], s[4:5]
	s_cbranch_execz .LBB46_988
.LBB46_987:
	v_bfe_u32 v2, v8, 24, 3
	v_ffbh_u32_e32 v10, v2
	v_min_u32_e32 v10, 32, v10
	v_lshrrev_b32_e32 v6, 27, v8
	v_subrev_u32_e32 v11, 28, v10
	v_and_b32_e32 v3, 0x80000000, v8
	v_and_b32_e32 v6, 15, v6
	v_bfe_u32 v7, v8, 27, 4
	v_lshlrev_b32_sdwa v8, v11, v8 dst_sel:DWORD dst_unused:UNUSED_PAD src0_sel:DWORD src1_sel:BYTE_3
	v_sub_u32_e32 v10, 29, v10
	v_and_b32_e32 v8, 7, v8
	v_cmp_eq_u16_e32 vcc, 0, v6
	v_cndmask_b32_e32 v2, v2, v8, vcc
	v_cndmask_b32_e32 v6, v7, v10, vcc
	v_mov_b32_e32 v7, 0x3b800000
	v_lshlrev_b32_e32 v2, 20, v2
	v_lshl_add_u32 v6, v6, 23, v7
	v_or3_b32 v2, v3, v6, v2
.LBB46_988:
	s_or_b64 exec, exec, s[6:7]
	s_movk_i32 s4, 0x7f
	v_cmp_gt_i16_sdwa s[6:7], v4, s4 src0_sel:BYTE_3 src1_sel:DWORD
	s_mov_b64 s[4:5], 0
                                        ; implicit-def: $sgpr10
	s_and_saveexec_b64 s[8:9], s[6:7]
	s_xor_b64 s[6:7], exec, s[8:9]
	s_cbranch_execnz .LBB46_3037
; %bb.989:
	s_or_saveexec_b64 s[6:7], s[6:7]
	v_mov_b32_e32 v3, s10
	s_xor_b64 exec, exec, s[6:7]
	s_cbranch_execnz .LBB46_3040
.LBB46_990:
	s_or_b64 exec, exec, s[6:7]
	s_and_saveexec_b64 s[6:7], s[4:5]
	s_cbranch_execz .LBB46_992
.LBB46_991:
	v_bfe_u32 v3, v4, 24, 3
	v_ffbh_u32_e32 v10, v3
	v_min_u32_e32 v10, 32, v10
	v_lshrrev_b32_e32 v7, 27, v4
	v_subrev_u32_e32 v11, 28, v10
	v_and_b32_e32 v6, 0x80000000, v4
	v_and_b32_e32 v7, 15, v7
	v_bfe_u32 v8, v4, 27, 4
	v_lshlrev_b32_sdwa v4, v11, v4 dst_sel:DWORD dst_unused:UNUSED_PAD src0_sel:DWORD src1_sel:BYTE_3
	v_sub_u32_e32 v10, 29, v10
	v_and_b32_e32 v4, 7, v4
	v_cmp_eq_u16_e32 vcc, 0, v7
	v_cndmask_b32_e32 v3, v3, v4, vcc
	v_cndmask_b32_e32 v4, v8, v10, vcc
	v_mov_b32_e32 v7, 0x3b800000
	v_lshlrev_b32_e32 v3, 20, v3
	v_lshl_add_u32 v4, v4, 23, v7
	v_or3_b32 v3, v6, v4, v3
.LBB46_992:
	s_or_b64 exec, exec, s[6:7]
	s_nop 0
	v_mfma_f32_16x16x4f32 a[0:3], v2, v3, a[0:3]
	s_movk_i32 s4, 0x7f
	v_cmp_gt_i16_sdwa s[6:7], v9, s4 src0_sel:BYTE_0 src1_sel:DWORD
	s_mov_b64 s[4:5], 0
                                        ; implicit-def: $sgpr10
	s_and_saveexec_b64 s[8:9], s[6:7]
	s_xor_b64 s[6:7], exec, s[8:9]
	s_cbranch_execnz .LBB46_3041
; %bb.993:
	s_or_saveexec_b64 s[6:7], s[6:7]
	v_mov_b32_e32 v2, s10
	s_xor_b64 exec, exec, s[6:7]
	s_cbranch_execnz .LBB46_3044
.LBB46_994:
	s_or_b64 exec, exec, s[6:7]
	s_and_saveexec_b64 s[6:7], s[4:5]
	s_cbranch_execz .LBB46_996
.LBB46_995:
	v_mov_b32_e32 v2, 8
	v_and_b32_e32 v3, 7, v9
	v_lshrrev_b32_sdwa v2, v2, v9 dst_sel:BYTE_1 dst_unused:UNUSED_PAD src0_sel:DWORD src1_sel:DWORD
	v_ffbh_u32_e32 v4, v3
	v_or_b32_sdwa v2, v9, v2 dst_sel:DWORD dst_unused:UNUSED_PAD src0_sel:BYTE_0 src1_sel:DWORD
	v_min_u32_e32 v4, 32, v4
	v_lshrrev_b16_e32 v2, 3, v2
	v_subrev_u32_e32 v6, 28, v4
	v_and_b32_e32 v2, 15, v2
	v_lshlrev_b32_e32 v6, v6, v9
	v_sub_u32_e32 v4, 29, v4
	v_and_b32_e32 v6, 7, v6
	v_cmp_eq_u16_e32 vcc, 0, v2
	v_cndmask_b32_e32 v3, v3, v6, vcc
	v_cndmask_b32_e32 v2, v2, v4, vcc
	v_lshlrev_b32_e32 v4, 24, v9
	v_mov_b32_e32 v6, 0x3b800000
	v_lshlrev_b32_e32 v3, 20, v3
	v_and_b32_e32 v4, 0x80000000, v4
	v_lshl_add_u32 v2, v2, 23, v6
	v_or3_b32 v2, v4, v2, v3
.LBB46_996:
	s_or_b64 exec, exec, s[6:7]
	s_movk_i32 s4, 0x7f
	v_cmp_gt_i16_sdwa s[6:7], v5, s4 src0_sel:BYTE_0 src1_sel:DWORD
	s_mov_b64 s[4:5], 0
                                        ; implicit-def: $sgpr10
	s_and_saveexec_b64 s[8:9], s[6:7]
	s_xor_b64 s[6:7], exec, s[8:9]
	s_cbranch_execnz .LBB46_3045
; %bb.997:
	s_or_saveexec_b64 s[6:7], s[6:7]
	v_mov_b32_e32 v3, s10
	s_xor_b64 exec, exec, s[6:7]
	s_cbranch_execnz .LBB46_3048
.LBB46_998:
	s_or_b64 exec, exec, s[6:7]
	s_and_saveexec_b64 s[6:7], s[4:5]
	s_cbranch_execz .LBB46_1000
.LBB46_999:
	v_mov_b32_e32 v3, 8
	v_and_b32_e32 v4, 7, v5
	v_lshrrev_b32_sdwa v3, v3, v5 dst_sel:BYTE_1 dst_unused:UNUSED_PAD src0_sel:DWORD src1_sel:DWORD
	v_ffbh_u32_e32 v6, v4
	v_or_b32_sdwa v3, v5, v3 dst_sel:DWORD dst_unused:UNUSED_PAD src0_sel:BYTE_0 src1_sel:DWORD
	v_min_u32_e32 v6, 32, v6
	v_lshrrev_b16_e32 v3, 3, v3
	v_subrev_u32_e32 v7, 28, v6
	v_and_b32_e32 v3, 15, v3
	v_lshlrev_b32_e32 v7, v7, v5
	v_sub_u32_e32 v6, 29, v6
	v_and_b32_e32 v7, 7, v7
	v_cmp_eq_u16_e32 vcc, 0, v3
	v_cndmask_b32_e32 v4, v4, v7, vcc
	v_cndmask_b32_e32 v3, v3, v6, vcc
	v_lshlrev_b32_e32 v6, 24, v5
	v_mov_b32_e32 v7, 0x3b800000
	v_lshlrev_b32_e32 v4, 20, v4
	v_and_b32_e32 v6, 0x80000000, v6
	v_lshl_add_u32 v3, v3, 23, v7
	v_or3_b32 v3, v6, v3, v4
.LBB46_1000:
	s_or_b64 exec, exec, s[6:7]
	s_nop 0
	v_mfma_f32_16x16x4f32 a[0:3], v2, v3, a[0:3]
	v_lshrrev_b32_e32 v3, 8, v9
	s_movk_i32 s4, 0x7f
	v_cmp_gt_i16_sdwa s[6:7], v3, s4 src0_sel:BYTE_0 src1_sel:DWORD
	s_mov_b64 s[4:5], 0
                                        ; implicit-def: $sgpr10
	s_and_saveexec_b64 s[8:9], s[6:7]
	s_xor_b64 s[6:7], exec, s[8:9]
	s_cbranch_execnz .LBB46_3049
; %bb.1001:
	s_or_saveexec_b64 s[6:7], s[6:7]
	v_mov_b32_e32 v2, s10
	s_xor_b64 exec, exec, s[6:7]
	s_cbranch_execnz .LBB46_3052
.LBB46_1002:
	s_or_b64 exec, exec, s[6:7]
	s_and_saveexec_b64 s[6:7], s[4:5]
	s_cbranch_execz .LBB46_1004
.LBB46_1003:
	v_bfe_u32 v2, v9, 8, 3
	v_ffbh_u32_e32 v6, v2
	v_min_u32_e32 v6, 32, v6
	v_lshrrev_b16_e32 v4, 3, v3
	v_subrev_u32_e32 v7, 28, v6
	v_and_b32_e32 v4, 15, v4
	v_lshlrev_b32_e32 v3, v7, v3
	v_sub_u32_e32 v6, 29, v6
	v_and_b32_e32 v3, 7, v3
	v_cmp_eq_u16_e32 vcc, 0, v4
	v_cndmask_b32_e32 v2, v2, v3, vcc
	v_cndmask_b32_e32 v3, v4, v6, vcc
	v_lshlrev_b32_e32 v4, 16, v9
	v_mov_b32_e32 v6, 0x3b800000
	v_lshlrev_b32_e32 v2, 20, v2
	v_and_b32_e32 v4, 0x80000000, v4
	v_lshl_add_u32 v3, v3, 23, v6
	v_or3_b32 v2, v4, v3, v2
.LBB46_1004:
	s_or_b64 exec, exec, s[6:7]
	v_lshrrev_b32_e32 v3, 8, v5
	s_movk_i32 s4, 0x7f
	v_cmp_gt_i16_sdwa s[6:7], v3, s4 src0_sel:BYTE_0 src1_sel:DWORD
	s_mov_b64 s[4:5], 0
                                        ; implicit-def: $sgpr10
	s_and_saveexec_b64 s[8:9], s[6:7]
	s_xor_b64 s[6:7], exec, s[8:9]
	s_cbranch_execnz .LBB46_3053
; %bb.1005:
	s_or_saveexec_b64 s[6:7], s[6:7]
	v_mov_b32_e32 v4, s10
	s_xor_b64 exec, exec, s[6:7]
	s_cbranch_execnz .LBB46_3056
.LBB46_1006:
	s_or_b64 exec, exec, s[6:7]
	s_and_saveexec_b64 s[6:7], s[4:5]
	s_cbranch_execz .LBB46_1008
.LBB46_1007:
	v_bfe_u32 v4, v5, 8, 3
	v_ffbh_u32_e32 v7, v4
	v_min_u32_e32 v7, 32, v7
	v_lshrrev_b16_e32 v6, 3, v3
	v_subrev_u32_e32 v8, 28, v7
	v_and_b32_e32 v6, 15, v6
	v_lshlrev_b32_e32 v3, v8, v3
	v_sub_u32_e32 v7, 29, v7
	v_and_b32_e32 v3, 7, v3
	v_cmp_eq_u16_e32 vcc, 0, v6
	v_cndmask_b32_e32 v3, v4, v3, vcc
	v_cndmask_b32_e32 v4, v6, v7, vcc
	v_lshlrev_b32_e32 v6, 16, v5
	v_mov_b32_e32 v7, 0x3b800000
	v_lshlrev_b32_e32 v3, 20, v3
	v_and_b32_e32 v6, 0x80000000, v6
	v_lshl_add_u32 v4, v4, 23, v7
	v_or3_b32 v4, v6, v4, v3
.LBB46_1008:
	s_or_b64 exec, exec, s[6:7]
	s_nop 0
	v_mfma_f32_16x16x4f32 a[0:3], v2, v4, a[0:3]
	s_movk_i32 s4, 0xff
	v_and_b32_sdwa v3, v9, s4 dst_sel:DWORD dst_unused:UNUSED_PAD src0_sel:WORD_1 src1_sel:DWORD
	s_movk_i32 s4, 0x7f
	v_cmp_lt_i16_e32 vcc, s4, v3
	s_mov_b64 s[4:5], 0
                                        ; implicit-def: $sgpr10
	s_and_saveexec_b64 s[6:7], vcc
	s_xor_b64 s[6:7], exec, s[6:7]
	s_cbranch_execnz .LBB46_3057
; %bb.1009:
	s_or_saveexec_b64 s[6:7], s[6:7]
	v_mov_b32_e32 v2, s10
	s_xor_b64 exec, exec, s[6:7]
	s_cbranch_execnz .LBB46_3060
.LBB46_1010:
	s_or_b64 exec, exec, s[6:7]
	s_and_saveexec_b64 s[6:7], s[4:5]
	s_cbranch_execz .LBB46_1012
.LBB46_1011:
	v_bfe_u32 v2, v9, 16, 3
	v_ffbh_u32_e32 v6, v2
	v_min_u32_e32 v6, 32, v6
	v_lshrrev_b32_e32 v3, 19, v9
	v_subrev_u32_e32 v7, 28, v6
	v_and_b32_e32 v3, 15, v3
	v_lshlrev_b32_sdwa v7, v7, v9 dst_sel:DWORD dst_unused:UNUSED_PAD src0_sel:DWORD src1_sel:WORD_1
	v_bfe_u32 v4, v9, 19, 4
	v_sub_u32_e32 v6, 29, v6
	v_and_b32_e32 v7, 7, v7
	v_cmp_eq_u16_e32 vcc, 0, v3
	v_cndmask_b32_e32 v2, v2, v7, vcc
	v_cndmask_b32_e32 v3, v4, v6, vcc
	v_lshlrev_b32_e32 v4, 8, v9
	v_mov_b32_e32 v6, 0x3b800000
	v_lshlrev_b32_e32 v2, 20, v2
	v_and_b32_e32 v4, 0x80000000, v4
	v_lshl_add_u32 v3, v3, 23, v6
	v_or3_b32 v2, v4, v3, v2
.LBB46_1012:
	s_or_b64 exec, exec, s[6:7]
	s_movk_i32 s4, 0xff
	v_and_b32_sdwa v3, v5, s4 dst_sel:DWORD dst_unused:UNUSED_PAD src0_sel:WORD_1 src1_sel:DWORD
	s_movk_i32 s4, 0x7f
	v_cmp_lt_i16_e32 vcc, s4, v3
	s_mov_b64 s[4:5], 0
                                        ; implicit-def: $sgpr10
	s_and_saveexec_b64 s[6:7], vcc
	s_xor_b64 s[6:7], exec, s[6:7]
	s_cbranch_execnz .LBB46_3061
; %bb.1013:
	s_or_saveexec_b64 s[6:7], s[6:7]
	v_mov_b32_e32 v4, s10
	s_xor_b64 exec, exec, s[6:7]
	s_cbranch_execnz .LBB46_3064
.LBB46_1014:
	s_or_b64 exec, exec, s[6:7]
	s_and_saveexec_b64 s[6:7], s[4:5]
	s_cbranch_execz .LBB46_1016
.LBB46_1015:
	v_bfe_u32 v3, v5, 16, 3
	v_ffbh_u32_e32 v7, v3
	v_min_u32_e32 v7, 32, v7
	v_lshrrev_b32_e32 v4, 19, v5
	v_subrev_u32_e32 v8, 28, v7
	v_and_b32_e32 v4, 15, v4
	v_lshlrev_b32_sdwa v8, v8, v5 dst_sel:DWORD dst_unused:UNUSED_PAD src0_sel:DWORD src1_sel:WORD_1
	v_bfe_u32 v6, v5, 19, 4
	v_sub_u32_e32 v7, 29, v7
	v_and_b32_e32 v8, 7, v8
	v_cmp_eq_u16_e32 vcc, 0, v4
	v_cndmask_b32_e32 v3, v3, v8, vcc
	v_cndmask_b32_e32 v4, v6, v7, vcc
	v_lshlrev_b32_e32 v6, 8, v5
	v_mov_b32_e32 v7, 0x3b800000
	v_lshlrev_b32_e32 v3, 20, v3
	v_and_b32_e32 v6, 0x80000000, v6
	v_lshl_add_u32 v4, v4, 23, v7
	v_or3_b32 v4, v6, v4, v3
.LBB46_1016:
	s_or_b64 exec, exec, s[6:7]
	s_nop 0
	v_mfma_f32_16x16x4f32 a[0:3], v2, v4, a[0:3]
	s_movk_i32 s4, 0x7f
	v_cmp_gt_i16_sdwa s[6:7], v9, s4 src0_sel:BYTE_3 src1_sel:DWORD
	s_mov_b64 s[4:5], 0
                                        ; implicit-def: $sgpr10
	s_and_saveexec_b64 s[8:9], s[6:7]
	s_xor_b64 s[6:7], exec, s[8:9]
	s_cbranch_execnz .LBB46_3065
; %bb.1017:
	s_or_saveexec_b64 s[6:7], s[6:7]
	v_mov_b32_e32 v2, s10
	s_xor_b64 exec, exec, s[6:7]
	s_cbranch_execnz .LBB46_3068
.LBB46_1018:
	s_or_b64 exec, exec, s[6:7]
	s_and_saveexec_b64 s[6:7], s[4:5]
	s_cbranch_execz .LBB46_1020
.LBB46_1019:
	v_bfe_u32 v2, v9, 24, 3
	v_ffbh_u32_e32 v7, v2
	v_min_u32_e32 v7, 32, v7
	v_lshrrev_b32_e32 v4, 27, v9
	v_subrev_u32_e32 v8, 28, v7
	v_and_b32_e32 v4, 15, v4
	v_lshlrev_b32_sdwa v8, v8, v9 dst_sel:DWORD dst_unused:UNUSED_PAD src0_sel:DWORD src1_sel:BYTE_3
	v_bfe_u32 v6, v9, 27, 4
	v_sub_u32_e32 v7, 29, v7
	v_and_b32_e32 v8, 7, v8
	v_cmp_eq_u16_e32 vcc, 0, v4
	v_cndmask_b32_e32 v2, v2, v8, vcc
	v_cndmask_b32_e32 v4, v6, v7, vcc
	v_mov_b32_e32 v6, 0x3b800000
	v_and_b32_e32 v3, 0x80000000, v9
	v_lshlrev_b32_e32 v2, 20, v2
	v_lshl_add_u32 v4, v4, 23, v6
	v_or3_b32 v2, v3, v4, v2
.LBB46_1020:
	s_or_b64 exec, exec, s[6:7]
	s_movk_i32 s4, 0x7f
	v_cmp_gt_i16_sdwa s[6:7], v5, s4 src0_sel:BYTE_3 src1_sel:DWORD
	s_mov_b64 s[4:5], 0
                                        ; implicit-def: $sgpr10
	s_and_saveexec_b64 s[8:9], s[6:7]
	s_xor_b64 s[6:7], exec, s[8:9]
	s_cbranch_execnz .LBB46_3069
; %bb.1021:
	s_or_saveexec_b64 s[6:7], s[6:7]
	v_mov_b32_e32 v3, s10
	s_xor_b64 exec, exec, s[6:7]
	s_cbranch_execnz .LBB46_3072
.LBB46_1022:
	s_or_b64 exec, exec, s[6:7]
	s_and_saveexec_b64 s[6:7], s[4:5]
	s_cbranch_execz .LBB46_1024
.LBB46_1023:
	v_bfe_u32 v3, v5, 24, 3
	v_ffbh_u32_e32 v8, v3
	v_min_u32_e32 v8, 32, v8
	v_lshrrev_b32_e32 v6, 27, v5
	v_subrev_u32_e32 v9, 28, v8
	v_and_b32_e32 v4, 0x80000000, v5
	v_and_b32_e32 v6, 15, v6
	v_bfe_u32 v7, v5, 27, 4
	v_lshlrev_b32_sdwa v5, v9, v5 dst_sel:DWORD dst_unused:UNUSED_PAD src0_sel:DWORD src1_sel:BYTE_3
	v_sub_u32_e32 v8, 29, v8
	v_and_b32_e32 v5, 7, v5
	v_cmp_eq_u16_e32 vcc, 0, v6
	v_cndmask_b32_e32 v3, v3, v5, vcc
	v_cndmask_b32_e32 v5, v7, v8, vcc
	v_mov_b32_e32 v6, 0x3b800000
	v_lshlrev_b32_e32 v3, 20, v3
	v_lshl_add_u32 v5, v5, 23, v6
	v_or3_b32 v3, v4, v5, v3
.LBB46_1024:
	s_or_b64 exec, exec, s[6:7]
	s_nop 0
	v_mfma_f32_16x16x4f32 a[0:3], v2, v3, a[0:3]
	s_movk_i32 s4, 0x7f
                                        ; implicit-def: $sgpr10
	s_nop 7
	s_nop 1
	flat_store_dwordx4 v[18:19], a[0:3] offset:304
	flat_load_dwordx4 v[20:23], v[0:1] offset:8
	s_nop 0
	flat_load_dwordx2 v[18:19], v[0:1] offset:24
	s_waitcnt vmcnt(0) lgkmcnt(0)
	flat_load_dwordx4 v[14:17], v[20:21]
	flat_load_dwordx4 v[6:9], v[20:21] offset:16
	flat_load_dwordx4 v[10:13], v[22:23] offset:128
	;; [unrolled: 1-line block ×3, first 2 shown]
	s_waitcnt vmcnt(0) lgkmcnt(0)
	v_cmp_gt_i16_sdwa s[6:7], v14, s4 src0_sel:BYTE_0 src1_sel:DWORD
	s_mov_b64 s[4:5], 0
	s_and_saveexec_b64 s[8:9], s[6:7]
	s_xor_b64 s[6:7], exec, s[8:9]
	s_cbranch_execnz .LBB46_3073
; %bb.1025:
	s_or_saveexec_b64 s[6:7], s[6:7]
	v_mov_b32_e32 v20, s10
	s_xor_b64 exec, exec, s[6:7]
	s_cbranch_execnz .LBB46_3076
.LBB46_1026:
	s_or_b64 exec, exec, s[6:7]
	s_and_saveexec_b64 s[6:7], s[4:5]
	s_cbranch_execz .LBB46_1028
.LBB46_1027:
	v_and_b32_e32 v20, 7, v14
	v_ffbh_u32_e32 v22, v20
	v_min_u32_e32 v22, 32, v22
	v_lshrrev_b16_e32 v21, 3, v14
	v_subrev_u32_e32 v23, 28, v22
	v_and_b32_e32 v21, 15, v21
	v_lshlrev_b32_e32 v23, v23, v14
	v_sub_u32_e32 v22, 29, v22
	v_and_b32_e32 v23, 7, v23
	v_cmp_eq_u16_e32 vcc, 0, v21
	v_cndmask_b32_e32 v20, v20, v23, vcc
	v_cndmask_b32_e32 v21, v21, v22, vcc
	v_lshlrev_b32_e32 v22, 24, v14
	v_mov_b32_e32 v23, 0x3b800000
	v_lshlrev_b32_e32 v20, 20, v20
	v_and_b32_e32 v22, 0x80000000, v22
	v_lshl_add_u32 v21, v21, 23, v23
	v_or3_b32 v20, v22, v21, v20
.LBB46_1028:
	s_or_b64 exec, exec, s[6:7]
	s_movk_i32 s4, 0x7f
	v_cmp_gt_i16_sdwa s[6:7], v10, s4 src0_sel:BYTE_0 src1_sel:DWORD
	s_mov_b64 s[4:5], 0
                                        ; implicit-def: $sgpr10
	s_and_saveexec_b64 s[8:9], s[6:7]
	s_xor_b64 s[6:7], exec, s[8:9]
	s_cbranch_execnz .LBB46_3077
; %bb.1029:
	s_or_saveexec_b64 s[6:7], s[6:7]
	v_mov_b32_e32 v21, s10
	s_xor_b64 exec, exec, s[6:7]
	s_cbranch_execnz .LBB46_3080
.LBB46_1030:
	s_or_b64 exec, exec, s[6:7]
	s_and_saveexec_b64 s[6:7], s[4:5]
	s_cbranch_execz .LBB46_1032
.LBB46_1031:
	v_and_b32_e32 v21, 7, v10
	v_ffbh_u32_e32 v23, v21
	v_min_u32_e32 v23, 32, v23
	v_lshrrev_b16_e32 v22, 3, v10
	v_subrev_u32_e32 v24, 28, v23
	v_and_b32_e32 v22, 15, v22
	v_lshlrev_b32_e32 v24, v24, v10
	v_sub_u32_e32 v23, 29, v23
	v_and_b32_e32 v24, 7, v24
	v_cmp_eq_u16_e32 vcc, 0, v22
	v_cndmask_b32_e32 v21, v21, v24, vcc
	v_cndmask_b32_e32 v22, v22, v23, vcc
	v_lshlrev_b32_e32 v23, 24, v10
	v_mov_b32_e32 v24, 0x3b800000
	v_lshlrev_b32_e32 v21, 20, v21
	v_and_b32_e32 v23, 0x80000000, v23
	v_lshl_add_u32 v22, v22, 23, v24
	v_or3_b32 v21, v23, v22, v21
.LBB46_1032:
	s_or_b64 exec, exec, s[6:7]
	flat_load_dwordx4 a[0:3], v[18:19] offset:320
	s_movk_i32 s4, 0x7f
                                        ; implicit-def: $sgpr10
	s_waitcnt vmcnt(0) lgkmcnt(0)
	v_mfma_f32_16x16x4f32 a[0:3], v20, v21, a[0:3]
	v_lshrrev_b32_e32 v21, 8, v14
	v_cmp_gt_i16_sdwa s[6:7], v21, s4 src0_sel:BYTE_0 src1_sel:DWORD
	s_mov_b64 s[4:5], 0
	s_and_saveexec_b64 s[8:9], s[6:7]
	s_xor_b64 s[6:7], exec, s[8:9]
	s_cbranch_execnz .LBB46_3081
; %bb.1033:
	s_or_saveexec_b64 s[6:7], s[6:7]
	v_mov_b32_e32 v20, s10
	s_xor_b64 exec, exec, s[6:7]
	s_cbranch_execnz .LBB46_3084
.LBB46_1034:
	s_or_b64 exec, exec, s[6:7]
	s_and_saveexec_b64 s[6:7], s[4:5]
	s_cbranch_execz .LBB46_1036
.LBB46_1035:
	v_bfe_u32 v20, v14, 8, 3
	v_ffbh_u32_e32 v23, v20
	v_min_u32_e32 v23, 32, v23
	v_lshrrev_b16_e32 v22, 3, v21
	v_subrev_u32_e32 v24, 28, v23
	v_and_b32_e32 v22, 15, v22
	v_lshlrev_b32_e32 v21, v24, v21
	v_sub_u32_e32 v23, 29, v23
	v_and_b32_e32 v21, 7, v21
	v_cmp_eq_u16_e32 vcc, 0, v22
	v_cndmask_b32_e32 v20, v20, v21, vcc
	v_cndmask_b32_e32 v21, v22, v23, vcc
	v_lshlrev_b32_e32 v22, 16, v14
	v_mov_b32_e32 v23, 0x3b800000
	v_lshlrev_b32_e32 v20, 20, v20
	v_and_b32_e32 v22, 0x80000000, v22
	v_lshl_add_u32 v21, v21, 23, v23
	v_or3_b32 v20, v22, v21, v20
.LBB46_1036:
	s_or_b64 exec, exec, s[6:7]
	v_lshrrev_b32_e32 v21, 8, v10
	s_movk_i32 s4, 0x7f
	v_cmp_gt_i16_sdwa s[6:7], v21, s4 src0_sel:BYTE_0 src1_sel:DWORD
	s_mov_b64 s[4:5], 0
                                        ; implicit-def: $sgpr10
	s_and_saveexec_b64 s[8:9], s[6:7]
	s_xor_b64 s[6:7], exec, s[8:9]
	s_cbranch_execnz .LBB46_3085
; %bb.1037:
	s_or_saveexec_b64 s[6:7], s[6:7]
	v_mov_b32_e32 v22, s10
	s_xor_b64 exec, exec, s[6:7]
	s_cbranch_execnz .LBB46_3088
.LBB46_1038:
	s_or_b64 exec, exec, s[6:7]
	s_and_saveexec_b64 s[6:7], s[4:5]
	s_cbranch_execz .LBB46_1040
.LBB46_1039:
	v_bfe_u32 v22, v10, 8, 3
	v_ffbh_u32_e32 v24, v22
	v_min_u32_e32 v24, 32, v24
	v_lshrrev_b16_e32 v23, 3, v21
	v_subrev_u32_e32 v25, 28, v24
	v_and_b32_e32 v23, 15, v23
	v_lshlrev_b32_e32 v21, v25, v21
	v_sub_u32_e32 v24, 29, v24
	v_and_b32_e32 v21, 7, v21
	v_cmp_eq_u16_e32 vcc, 0, v23
	v_cndmask_b32_e32 v21, v22, v21, vcc
	v_cndmask_b32_e32 v22, v23, v24, vcc
	v_lshlrev_b32_e32 v23, 16, v10
	v_mov_b32_e32 v24, 0x3b800000
	v_lshlrev_b32_e32 v21, 20, v21
	v_and_b32_e32 v23, 0x80000000, v23
	v_lshl_add_u32 v22, v22, 23, v24
	v_or3_b32 v22, v23, v22, v21
.LBB46_1040:
	s_or_b64 exec, exec, s[6:7]
	s_nop 0
	v_mfma_f32_16x16x4f32 a[0:3], v20, v22, a[0:3]
	s_movk_i32 s4, 0xff
	v_and_b32_sdwa v21, v14, s4 dst_sel:DWORD dst_unused:UNUSED_PAD src0_sel:WORD_1 src1_sel:DWORD
	s_movk_i32 s4, 0x7f
	v_cmp_lt_i16_e32 vcc, s4, v21
	s_mov_b64 s[4:5], 0
                                        ; implicit-def: $sgpr10
	s_and_saveexec_b64 s[6:7], vcc
	s_xor_b64 s[6:7], exec, s[6:7]
	s_cbranch_execnz .LBB46_3089
; %bb.1041:
	s_or_saveexec_b64 s[6:7], s[6:7]
	v_mov_b32_e32 v20, s10
	s_xor_b64 exec, exec, s[6:7]
	s_cbranch_execnz .LBB46_3092
.LBB46_1042:
	s_or_b64 exec, exec, s[6:7]
	s_and_saveexec_b64 s[6:7], s[4:5]
	s_cbranch_execz .LBB46_1044
.LBB46_1043:
	v_bfe_u32 v20, v14, 16, 3
	v_ffbh_u32_e32 v23, v20
	v_min_u32_e32 v23, 32, v23
	v_lshrrev_b32_e32 v21, 19, v14
	v_subrev_u32_e32 v24, 28, v23
	v_and_b32_e32 v21, 15, v21
	v_lshlrev_b32_sdwa v24, v24, v14 dst_sel:DWORD dst_unused:UNUSED_PAD src0_sel:DWORD src1_sel:WORD_1
	v_bfe_u32 v22, v14, 19, 4
	v_sub_u32_e32 v23, 29, v23
	v_and_b32_e32 v24, 7, v24
	v_cmp_eq_u16_e32 vcc, 0, v21
	v_cndmask_b32_e32 v20, v20, v24, vcc
	v_cndmask_b32_e32 v21, v22, v23, vcc
	v_lshlrev_b32_e32 v22, 8, v14
	v_mov_b32_e32 v23, 0x3b800000
	v_lshlrev_b32_e32 v20, 20, v20
	v_and_b32_e32 v22, 0x80000000, v22
	v_lshl_add_u32 v21, v21, 23, v23
	v_or3_b32 v20, v22, v21, v20
.LBB46_1044:
	s_or_b64 exec, exec, s[6:7]
	s_movk_i32 s4, 0xff
	v_and_b32_sdwa v21, v10, s4 dst_sel:DWORD dst_unused:UNUSED_PAD src0_sel:WORD_1 src1_sel:DWORD
	s_movk_i32 s4, 0x7f
	v_cmp_lt_i16_e32 vcc, s4, v21
	s_mov_b64 s[4:5], 0
                                        ; implicit-def: $sgpr10
	s_and_saveexec_b64 s[6:7], vcc
	s_xor_b64 s[6:7], exec, s[6:7]
	s_cbranch_execnz .LBB46_3093
; %bb.1045:
	s_or_saveexec_b64 s[6:7], s[6:7]
	v_mov_b32_e32 v22, s10
	s_xor_b64 exec, exec, s[6:7]
	s_cbranch_execnz .LBB46_3096
.LBB46_1046:
	s_or_b64 exec, exec, s[6:7]
	s_and_saveexec_b64 s[6:7], s[4:5]
	s_cbranch_execz .LBB46_1048
.LBB46_1047:
	v_bfe_u32 v21, v10, 16, 3
	v_ffbh_u32_e32 v24, v21
	v_min_u32_e32 v24, 32, v24
	v_lshrrev_b32_e32 v22, 19, v10
	v_subrev_u32_e32 v25, 28, v24
	v_and_b32_e32 v22, 15, v22
	v_lshlrev_b32_sdwa v25, v25, v10 dst_sel:DWORD dst_unused:UNUSED_PAD src0_sel:DWORD src1_sel:WORD_1
	v_bfe_u32 v23, v10, 19, 4
	v_sub_u32_e32 v24, 29, v24
	v_and_b32_e32 v25, 7, v25
	v_cmp_eq_u16_e32 vcc, 0, v22
	v_cndmask_b32_e32 v21, v21, v25, vcc
	v_cndmask_b32_e32 v22, v23, v24, vcc
	v_lshlrev_b32_e32 v23, 8, v10
	v_mov_b32_e32 v24, 0x3b800000
	v_lshlrev_b32_e32 v21, 20, v21
	v_and_b32_e32 v23, 0x80000000, v23
	v_lshl_add_u32 v22, v22, 23, v24
	v_or3_b32 v22, v23, v22, v21
.LBB46_1048:
	s_or_b64 exec, exec, s[6:7]
	s_nop 0
	v_mfma_f32_16x16x4f32 a[0:3], v20, v22, a[0:3]
	s_movk_i32 s4, 0x7f
	v_cmp_gt_i16_sdwa s[6:7], v14, s4 src0_sel:BYTE_3 src1_sel:DWORD
	s_mov_b64 s[4:5], 0
                                        ; implicit-def: $sgpr10
	s_and_saveexec_b64 s[8:9], s[6:7]
	s_xor_b64 s[6:7], exec, s[8:9]
	s_cbranch_execnz .LBB46_3097
; %bb.1049:
	s_or_saveexec_b64 s[6:7], s[6:7]
	v_mov_b32_e32 v20, s10
	s_xor_b64 exec, exec, s[6:7]
	s_cbranch_execnz .LBB46_3100
.LBB46_1050:
	s_or_b64 exec, exec, s[6:7]
	s_and_saveexec_b64 s[6:7], s[4:5]
	s_cbranch_execz .LBB46_1052
.LBB46_1051:
	v_bfe_u32 v20, v14, 24, 3
	v_ffbh_u32_e32 v24, v20
	v_min_u32_e32 v24, 32, v24
	v_lshrrev_b32_e32 v22, 27, v14
	v_subrev_u32_e32 v25, 28, v24
	v_and_b32_e32 v21, 0x80000000, v14
	v_and_b32_e32 v22, 15, v22
	v_bfe_u32 v23, v14, 27, 4
	v_lshlrev_b32_sdwa v14, v25, v14 dst_sel:DWORD dst_unused:UNUSED_PAD src0_sel:DWORD src1_sel:BYTE_3
	v_sub_u32_e32 v24, 29, v24
	v_and_b32_e32 v14, 7, v14
	v_cmp_eq_u16_e32 vcc, 0, v22
	v_cndmask_b32_e32 v14, v20, v14, vcc
	v_cndmask_b32_e32 v20, v23, v24, vcc
	v_mov_b32_e32 v22, 0x3b800000
	v_lshlrev_b32_e32 v14, 20, v14
	v_lshl_add_u32 v20, v20, 23, v22
	v_or3_b32 v20, v21, v20, v14
.LBB46_1052:
	s_or_b64 exec, exec, s[6:7]
	s_movk_i32 s4, 0x7f
	v_cmp_gt_i16_sdwa s[6:7], v10, s4 src0_sel:BYTE_3 src1_sel:DWORD
	s_mov_b64 s[4:5], 0
                                        ; implicit-def: $sgpr10
	s_and_saveexec_b64 s[8:9], s[6:7]
	s_xor_b64 s[6:7], exec, s[8:9]
	s_cbranch_execnz .LBB46_3101
; %bb.1053:
	s_or_saveexec_b64 s[6:7], s[6:7]
	v_mov_b32_e32 v14, s10
	s_xor_b64 exec, exec, s[6:7]
	s_cbranch_execnz .LBB46_3104
.LBB46_1054:
	s_or_b64 exec, exec, s[6:7]
	s_and_saveexec_b64 s[6:7], s[4:5]
	s_cbranch_execz .LBB46_1056
.LBB46_1055:
	v_bfe_u32 v14, v10, 24, 3
	v_ffbh_u32_e32 v24, v14
	v_min_u32_e32 v24, 32, v24
	v_lshrrev_b32_e32 v22, 27, v10
	v_subrev_u32_e32 v25, 28, v24
	v_and_b32_e32 v21, 0x80000000, v10
	v_and_b32_e32 v22, 15, v22
	v_bfe_u32 v23, v10, 27, 4
	v_lshlrev_b32_sdwa v10, v25, v10 dst_sel:DWORD dst_unused:UNUSED_PAD src0_sel:DWORD src1_sel:BYTE_3
	v_sub_u32_e32 v24, 29, v24
	v_and_b32_e32 v10, 7, v10
	v_cmp_eq_u16_e32 vcc, 0, v22
	v_cndmask_b32_e32 v10, v14, v10, vcc
	v_cndmask_b32_e32 v14, v23, v24, vcc
	v_mov_b32_e32 v22, 0x3b800000
	v_lshlrev_b32_e32 v10, 20, v10
	v_lshl_add_u32 v14, v14, 23, v22
	v_or3_b32 v14, v21, v14, v10
.LBB46_1056:
	s_or_b64 exec, exec, s[6:7]
	s_nop 0
	v_mfma_f32_16x16x4f32 a[0:3], v20, v14, a[0:3]
	s_movk_i32 s4, 0x7f
	v_cmp_gt_i16_sdwa s[6:7], v15, s4 src0_sel:BYTE_0 src1_sel:DWORD
	s_mov_b64 s[4:5], 0
                                        ; implicit-def: $sgpr10
	s_and_saveexec_b64 s[8:9], s[6:7]
	s_xor_b64 s[6:7], exec, s[8:9]
	s_cbranch_execnz .LBB46_3105
; %bb.1057:
	s_or_saveexec_b64 s[6:7], s[6:7]
	v_mov_b32_e32 v10, s10
	s_xor_b64 exec, exec, s[6:7]
	s_cbranch_execnz .LBB46_3108
.LBB46_1058:
	s_or_b64 exec, exec, s[6:7]
	s_and_saveexec_b64 s[6:7], s[4:5]
	s_cbranch_execz .LBB46_1060
.LBB46_1059:
	v_and_b32_e32 v10, 7, v15
	v_ffbh_u32_e32 v20, v10
	v_min_u32_e32 v20, 32, v20
	v_lshrrev_b16_e32 v14, 3, v15
	v_subrev_u32_e32 v21, 28, v20
	v_and_b32_e32 v14, 15, v14
	v_lshlrev_b32_e32 v21, v21, v15
	v_sub_u32_e32 v20, 29, v20
	v_and_b32_e32 v21, 7, v21
	v_cmp_eq_u16_e32 vcc, 0, v14
	v_cndmask_b32_e32 v10, v10, v21, vcc
	v_cndmask_b32_e32 v14, v14, v20, vcc
	v_lshlrev_b32_e32 v20, 24, v15
	v_mov_b32_e32 v21, 0x3b800000
	v_lshlrev_b32_e32 v10, 20, v10
	v_and_b32_e32 v20, 0x80000000, v20
	v_lshl_add_u32 v14, v14, 23, v21
	v_or3_b32 v10, v20, v14, v10
.LBB46_1060:
	s_or_b64 exec, exec, s[6:7]
	s_movk_i32 s4, 0x7f
	v_cmp_gt_i16_sdwa s[6:7], v11, s4 src0_sel:BYTE_0 src1_sel:DWORD
	s_mov_b64 s[4:5], 0
                                        ; implicit-def: $sgpr10
	s_and_saveexec_b64 s[8:9], s[6:7]
	s_xor_b64 s[6:7], exec, s[8:9]
	s_cbranch_execnz .LBB46_3109
; %bb.1061:
	s_or_saveexec_b64 s[6:7], s[6:7]
	v_mov_b32_e32 v14, s10
	s_xor_b64 exec, exec, s[6:7]
	s_cbranch_execnz .LBB46_3112
.LBB46_1062:
	s_or_b64 exec, exec, s[6:7]
	s_and_saveexec_b64 s[6:7], s[4:5]
	s_cbranch_execz .LBB46_1064
.LBB46_1063:
	v_and_b32_e32 v14, 7, v11
	v_ffbh_u32_e32 v21, v14
	v_min_u32_e32 v21, 32, v21
	v_lshrrev_b16_e32 v20, 3, v11
	v_subrev_u32_e32 v22, 28, v21
	v_and_b32_e32 v20, 15, v20
	v_lshlrev_b32_e32 v22, v22, v11
	v_sub_u32_e32 v21, 29, v21
	v_and_b32_e32 v22, 7, v22
	v_cmp_eq_u16_e32 vcc, 0, v20
	v_cndmask_b32_e32 v14, v14, v22, vcc
	v_cndmask_b32_e32 v20, v20, v21, vcc
	v_lshlrev_b32_e32 v21, 24, v11
	v_mov_b32_e32 v22, 0x3b800000
	v_lshlrev_b32_e32 v14, 20, v14
	v_and_b32_e32 v21, 0x80000000, v21
	v_lshl_add_u32 v20, v20, 23, v22
	v_or3_b32 v14, v21, v20, v14
.LBB46_1064:
	s_or_b64 exec, exec, s[6:7]
	s_nop 0
	v_mfma_f32_16x16x4f32 a[0:3], v10, v14, a[0:3]
	v_lshrrev_b32_e32 v14, 8, v15
	s_movk_i32 s4, 0x7f
	v_cmp_gt_i16_sdwa s[6:7], v14, s4 src0_sel:BYTE_0 src1_sel:DWORD
	s_mov_b64 s[4:5], 0
                                        ; implicit-def: $sgpr10
	s_and_saveexec_b64 s[8:9], s[6:7]
	s_xor_b64 s[6:7], exec, s[8:9]
	s_cbranch_execnz .LBB46_3113
; %bb.1065:
	s_or_saveexec_b64 s[6:7], s[6:7]
	v_mov_b32_e32 v10, s10
	s_xor_b64 exec, exec, s[6:7]
	s_cbranch_execnz .LBB46_3116
.LBB46_1066:
	s_or_b64 exec, exec, s[6:7]
	s_and_saveexec_b64 s[6:7], s[4:5]
	s_cbranch_execz .LBB46_1068
.LBB46_1067:
	v_bfe_u32 v10, v15, 8, 3
	v_ffbh_u32_e32 v21, v10
	v_min_u32_e32 v21, 32, v21
	v_lshrrev_b16_e32 v20, 3, v14
	v_subrev_u32_e32 v22, 28, v21
	v_and_b32_e32 v20, 15, v20
	v_lshlrev_b32_e32 v14, v22, v14
	v_sub_u32_e32 v21, 29, v21
	v_and_b32_e32 v14, 7, v14
	v_cmp_eq_u16_e32 vcc, 0, v20
	v_cndmask_b32_e32 v10, v10, v14, vcc
	v_cndmask_b32_e32 v14, v20, v21, vcc
	v_lshlrev_b32_e32 v20, 16, v15
	v_mov_b32_e32 v21, 0x3b800000
	v_lshlrev_b32_e32 v10, 20, v10
	v_and_b32_e32 v20, 0x80000000, v20
	v_lshl_add_u32 v14, v14, 23, v21
	v_or3_b32 v10, v20, v14, v10
.LBB46_1068:
	s_or_b64 exec, exec, s[6:7]
	v_lshrrev_b32_e32 v14, 8, v11
	s_movk_i32 s4, 0x7f
	v_cmp_gt_i16_sdwa s[6:7], v14, s4 src0_sel:BYTE_0 src1_sel:DWORD
	s_mov_b64 s[4:5], 0
                                        ; implicit-def: $sgpr10
	s_and_saveexec_b64 s[8:9], s[6:7]
	s_xor_b64 s[6:7], exec, s[8:9]
	s_cbranch_execnz .LBB46_3117
; %bb.1069:
	s_or_saveexec_b64 s[6:7], s[6:7]
	v_mov_b32_e32 v20, s10
	s_xor_b64 exec, exec, s[6:7]
	s_cbranch_execnz .LBB46_3120
.LBB46_1070:
	s_or_b64 exec, exec, s[6:7]
	s_and_saveexec_b64 s[6:7], s[4:5]
	s_cbranch_execz .LBB46_1072
.LBB46_1071:
	v_bfe_u32 v20, v11, 8, 3
	v_ffbh_u32_e32 v22, v20
	v_min_u32_e32 v22, 32, v22
	v_lshrrev_b16_e32 v21, 3, v14
	v_subrev_u32_e32 v23, 28, v22
	v_and_b32_e32 v21, 15, v21
	v_lshlrev_b32_e32 v14, v23, v14
	v_sub_u32_e32 v22, 29, v22
	v_and_b32_e32 v14, 7, v14
	v_cmp_eq_u16_e32 vcc, 0, v21
	v_cndmask_b32_e32 v14, v20, v14, vcc
	v_cndmask_b32_e32 v20, v21, v22, vcc
	v_lshlrev_b32_e32 v21, 16, v11
	v_mov_b32_e32 v22, 0x3b800000
	v_lshlrev_b32_e32 v14, 20, v14
	v_and_b32_e32 v21, 0x80000000, v21
	v_lshl_add_u32 v20, v20, 23, v22
	v_or3_b32 v20, v21, v20, v14
.LBB46_1072:
	s_or_b64 exec, exec, s[6:7]
	s_nop 0
	v_mfma_f32_16x16x4f32 a[0:3], v10, v20, a[0:3]
	s_movk_i32 s4, 0xff
	v_and_b32_sdwa v14, v15, s4 dst_sel:DWORD dst_unused:UNUSED_PAD src0_sel:WORD_1 src1_sel:DWORD
	s_movk_i32 s4, 0x7f
	v_cmp_lt_i16_e32 vcc, s4, v14
	s_mov_b64 s[4:5], 0
                                        ; implicit-def: $sgpr10
	s_and_saveexec_b64 s[6:7], vcc
	s_xor_b64 s[6:7], exec, s[6:7]
	s_cbranch_execnz .LBB46_3121
; %bb.1073:
	s_or_saveexec_b64 s[6:7], s[6:7]
	v_mov_b32_e32 v10, s10
	s_xor_b64 exec, exec, s[6:7]
	s_cbranch_execnz .LBB46_3124
.LBB46_1074:
	s_or_b64 exec, exec, s[6:7]
	s_and_saveexec_b64 s[6:7], s[4:5]
	s_cbranch_execz .LBB46_1076
.LBB46_1075:
	v_bfe_u32 v10, v15, 16, 3
	v_ffbh_u32_e32 v21, v10
	v_min_u32_e32 v21, 32, v21
	v_lshrrev_b32_e32 v14, 19, v15
	v_subrev_u32_e32 v22, 28, v21
	v_and_b32_e32 v14, 15, v14
	v_lshlrev_b32_sdwa v22, v22, v15 dst_sel:DWORD dst_unused:UNUSED_PAD src0_sel:DWORD src1_sel:WORD_1
	v_bfe_u32 v20, v15, 19, 4
	v_sub_u32_e32 v21, 29, v21
	v_and_b32_e32 v22, 7, v22
	v_cmp_eq_u16_e32 vcc, 0, v14
	v_cndmask_b32_e32 v10, v10, v22, vcc
	v_cndmask_b32_e32 v14, v20, v21, vcc
	v_lshlrev_b32_e32 v20, 8, v15
	v_mov_b32_e32 v21, 0x3b800000
	v_lshlrev_b32_e32 v10, 20, v10
	v_and_b32_e32 v20, 0x80000000, v20
	v_lshl_add_u32 v14, v14, 23, v21
	v_or3_b32 v10, v20, v14, v10
.LBB46_1076:
	s_or_b64 exec, exec, s[6:7]
	s_movk_i32 s4, 0xff
	v_and_b32_sdwa v14, v11, s4 dst_sel:DWORD dst_unused:UNUSED_PAD src0_sel:WORD_1 src1_sel:DWORD
	s_movk_i32 s4, 0x7f
	v_cmp_lt_i16_e32 vcc, s4, v14
	s_mov_b64 s[4:5], 0
                                        ; implicit-def: $sgpr10
	s_and_saveexec_b64 s[6:7], vcc
	s_xor_b64 s[6:7], exec, s[6:7]
	s_cbranch_execnz .LBB46_3125
; %bb.1077:
	s_or_saveexec_b64 s[6:7], s[6:7]
	v_mov_b32_e32 v20, s10
	s_xor_b64 exec, exec, s[6:7]
	s_cbranch_execnz .LBB46_3128
.LBB46_1078:
	s_or_b64 exec, exec, s[6:7]
	s_and_saveexec_b64 s[6:7], s[4:5]
	s_cbranch_execz .LBB46_1080
.LBB46_1079:
	v_bfe_u32 v14, v11, 16, 3
	v_ffbh_u32_e32 v22, v14
	v_min_u32_e32 v22, 32, v22
	v_lshrrev_b32_e32 v20, 19, v11
	v_subrev_u32_e32 v23, 28, v22
	v_and_b32_e32 v20, 15, v20
	v_lshlrev_b32_sdwa v23, v23, v11 dst_sel:DWORD dst_unused:UNUSED_PAD src0_sel:DWORD src1_sel:WORD_1
	v_bfe_u32 v21, v11, 19, 4
	v_sub_u32_e32 v22, 29, v22
	v_and_b32_e32 v23, 7, v23
	v_cmp_eq_u16_e32 vcc, 0, v20
	v_cndmask_b32_e32 v14, v14, v23, vcc
	v_cndmask_b32_e32 v20, v21, v22, vcc
	v_lshlrev_b32_e32 v21, 8, v11
	v_mov_b32_e32 v22, 0x3b800000
	v_lshlrev_b32_e32 v14, 20, v14
	v_and_b32_e32 v21, 0x80000000, v21
	v_lshl_add_u32 v20, v20, 23, v22
	v_or3_b32 v20, v21, v20, v14
.LBB46_1080:
	s_or_b64 exec, exec, s[6:7]
	s_nop 0
	v_mfma_f32_16x16x4f32 a[0:3], v10, v20, a[0:3]
	s_movk_i32 s4, 0x7f
	v_cmp_gt_i16_sdwa s[6:7], v15, s4 src0_sel:BYTE_3 src1_sel:DWORD
	s_mov_b64 s[4:5], 0
                                        ; implicit-def: $sgpr10
	s_and_saveexec_b64 s[8:9], s[6:7]
	s_xor_b64 s[6:7], exec, s[8:9]
	s_cbranch_execnz .LBB46_3129
; %bb.1081:
	s_or_saveexec_b64 s[6:7], s[6:7]
	v_mov_b32_e32 v10, s10
	s_xor_b64 exec, exec, s[6:7]
	s_cbranch_execnz .LBB46_3132
.LBB46_1082:
	s_or_b64 exec, exec, s[6:7]
	s_and_saveexec_b64 s[6:7], s[4:5]
	s_cbranch_execz .LBB46_1084
.LBB46_1083:
	v_bfe_u32 v10, v15, 24, 3
	v_ffbh_u32_e32 v22, v10
	v_min_u32_e32 v22, 32, v22
	v_lshrrev_b32_e32 v20, 27, v15
	v_subrev_u32_e32 v23, 28, v22
	v_and_b32_e32 v14, 0x80000000, v15
	v_and_b32_e32 v20, 15, v20
	v_bfe_u32 v21, v15, 27, 4
	v_lshlrev_b32_sdwa v15, v23, v15 dst_sel:DWORD dst_unused:UNUSED_PAD src0_sel:DWORD src1_sel:BYTE_3
	v_sub_u32_e32 v22, 29, v22
	v_and_b32_e32 v15, 7, v15
	v_cmp_eq_u16_e32 vcc, 0, v20
	v_cndmask_b32_e32 v10, v10, v15, vcc
	v_cndmask_b32_e32 v15, v21, v22, vcc
	v_mov_b32_e32 v20, 0x3b800000
	v_lshlrev_b32_e32 v10, 20, v10
	v_lshl_add_u32 v15, v15, 23, v20
	v_or3_b32 v10, v14, v15, v10
.LBB46_1084:
	s_or_b64 exec, exec, s[6:7]
	s_movk_i32 s4, 0x7f
	v_cmp_gt_i16_sdwa s[6:7], v11, s4 src0_sel:BYTE_3 src1_sel:DWORD
	s_mov_b64 s[4:5], 0
                                        ; implicit-def: $sgpr10
	s_and_saveexec_b64 s[8:9], s[6:7]
	s_xor_b64 s[6:7], exec, s[8:9]
	s_cbranch_execnz .LBB46_3133
; %bb.1085:
	s_or_saveexec_b64 s[6:7], s[6:7]
	v_mov_b32_e32 v14, s10
	s_xor_b64 exec, exec, s[6:7]
	s_cbranch_execnz .LBB46_3136
.LBB46_1086:
	s_or_b64 exec, exec, s[6:7]
	s_and_saveexec_b64 s[6:7], s[4:5]
	s_cbranch_execz .LBB46_1088
.LBB46_1087:
	v_bfe_u32 v14, v11, 24, 3
	v_ffbh_u32_e32 v22, v14
	v_min_u32_e32 v22, 32, v22
	v_lshrrev_b32_e32 v20, 27, v11
	v_subrev_u32_e32 v23, 28, v22
	v_and_b32_e32 v15, 0x80000000, v11
	v_and_b32_e32 v20, 15, v20
	v_bfe_u32 v21, v11, 27, 4
	v_lshlrev_b32_sdwa v11, v23, v11 dst_sel:DWORD dst_unused:UNUSED_PAD src0_sel:DWORD src1_sel:BYTE_3
	v_sub_u32_e32 v22, 29, v22
	v_and_b32_e32 v11, 7, v11
	v_cmp_eq_u16_e32 vcc, 0, v20
	v_cndmask_b32_e32 v11, v14, v11, vcc
	v_cndmask_b32_e32 v14, v21, v22, vcc
	v_mov_b32_e32 v20, 0x3b800000
	v_lshlrev_b32_e32 v11, 20, v11
	v_lshl_add_u32 v14, v14, 23, v20
	v_or3_b32 v14, v15, v14, v11
.LBB46_1088:
	s_or_b64 exec, exec, s[6:7]
	s_nop 0
	v_mfma_f32_16x16x4f32 a[0:3], v10, v14, a[0:3]
	s_movk_i32 s4, 0x7f
	v_cmp_gt_i16_sdwa s[6:7], v16, s4 src0_sel:BYTE_0 src1_sel:DWORD
	s_mov_b64 s[4:5], 0
                                        ; implicit-def: $sgpr10
	s_and_saveexec_b64 s[8:9], s[6:7]
	s_xor_b64 s[6:7], exec, s[8:9]
	s_cbranch_execnz .LBB46_3137
; %bb.1089:
	s_or_saveexec_b64 s[6:7], s[6:7]
	v_mov_b32_e32 v10, s10
	s_xor_b64 exec, exec, s[6:7]
	s_cbranch_execnz .LBB46_3140
.LBB46_1090:
	s_or_b64 exec, exec, s[6:7]
	s_and_saveexec_b64 s[6:7], s[4:5]
	s_cbranch_execz .LBB46_1092
.LBB46_1091:
	v_and_b32_e32 v10, 7, v16
	v_ffbh_u32_e32 v14, v10
	v_min_u32_e32 v14, 32, v14
	v_lshrrev_b16_e32 v11, 3, v16
	v_subrev_u32_e32 v15, 28, v14
	v_and_b32_e32 v11, 15, v11
	v_lshlrev_b32_e32 v15, v15, v16
	v_sub_u32_e32 v14, 29, v14
	v_and_b32_e32 v15, 7, v15
	v_cmp_eq_u16_e32 vcc, 0, v11
	v_cndmask_b32_e32 v10, v10, v15, vcc
	v_cndmask_b32_e32 v11, v11, v14, vcc
	v_lshlrev_b32_e32 v14, 24, v16
	v_mov_b32_e32 v15, 0x3b800000
	v_lshlrev_b32_e32 v10, 20, v10
	v_and_b32_e32 v14, 0x80000000, v14
	v_lshl_add_u32 v11, v11, 23, v15
	v_or3_b32 v10, v14, v11, v10
.LBB46_1092:
	s_or_b64 exec, exec, s[6:7]
	s_movk_i32 s4, 0x7f
	v_cmp_gt_i16_sdwa s[6:7], v12, s4 src0_sel:BYTE_0 src1_sel:DWORD
	s_mov_b64 s[4:5], 0
                                        ; implicit-def: $sgpr10
	s_and_saveexec_b64 s[8:9], s[6:7]
	s_xor_b64 s[6:7], exec, s[8:9]
	s_cbranch_execnz .LBB46_3141
; %bb.1093:
	s_or_saveexec_b64 s[6:7], s[6:7]
	v_mov_b32_e32 v11, s10
	s_xor_b64 exec, exec, s[6:7]
	s_cbranch_execnz .LBB46_3144
.LBB46_1094:
	s_or_b64 exec, exec, s[6:7]
	s_and_saveexec_b64 s[6:7], s[4:5]
	s_cbranch_execz .LBB46_1096
.LBB46_1095:
	v_and_b32_e32 v11, 7, v12
	v_ffbh_u32_e32 v15, v11
	v_min_u32_e32 v15, 32, v15
	v_lshrrev_b16_e32 v14, 3, v12
	v_subrev_u32_e32 v20, 28, v15
	v_and_b32_e32 v14, 15, v14
	v_lshlrev_b32_e32 v20, v20, v12
	v_sub_u32_e32 v15, 29, v15
	v_and_b32_e32 v20, 7, v20
	v_cmp_eq_u16_e32 vcc, 0, v14
	v_cndmask_b32_e32 v11, v11, v20, vcc
	v_cndmask_b32_e32 v14, v14, v15, vcc
	v_lshlrev_b32_e32 v15, 24, v12
	v_mov_b32_e32 v20, 0x3b800000
	v_lshlrev_b32_e32 v11, 20, v11
	v_and_b32_e32 v15, 0x80000000, v15
	v_lshl_add_u32 v14, v14, 23, v20
	v_or3_b32 v11, v15, v14, v11
.LBB46_1096:
	s_or_b64 exec, exec, s[6:7]
	s_nop 0
	v_mfma_f32_16x16x4f32 a[0:3], v10, v11, a[0:3]
	v_lshrrev_b32_e32 v11, 8, v16
	s_movk_i32 s4, 0x7f
	v_cmp_gt_i16_sdwa s[6:7], v11, s4 src0_sel:BYTE_0 src1_sel:DWORD
	s_mov_b64 s[4:5], 0
                                        ; implicit-def: $sgpr10
	s_and_saveexec_b64 s[8:9], s[6:7]
	s_xor_b64 s[6:7], exec, s[8:9]
	s_cbranch_execnz .LBB46_3145
; %bb.1097:
	s_or_saveexec_b64 s[6:7], s[6:7]
	v_mov_b32_e32 v10, s10
	s_xor_b64 exec, exec, s[6:7]
	s_cbranch_execnz .LBB46_3148
.LBB46_1098:
	s_or_b64 exec, exec, s[6:7]
	s_and_saveexec_b64 s[6:7], s[4:5]
	s_cbranch_execz .LBB46_1100
.LBB46_1099:
	v_bfe_u32 v10, v16, 8, 3
	v_ffbh_u32_e32 v15, v10
	v_min_u32_e32 v15, 32, v15
	v_lshrrev_b16_e32 v14, 3, v11
	v_subrev_u32_e32 v20, 28, v15
	v_and_b32_e32 v14, 15, v14
	v_lshlrev_b32_e32 v11, v20, v11
	v_sub_u32_e32 v15, 29, v15
	v_and_b32_e32 v11, 7, v11
	v_cmp_eq_u16_e32 vcc, 0, v14
	v_cndmask_b32_e32 v10, v10, v11, vcc
	v_cndmask_b32_e32 v11, v14, v15, vcc
	v_lshlrev_b32_e32 v14, 16, v16
	v_mov_b32_e32 v15, 0x3b800000
	v_lshlrev_b32_e32 v10, 20, v10
	v_and_b32_e32 v14, 0x80000000, v14
	v_lshl_add_u32 v11, v11, 23, v15
	v_or3_b32 v10, v14, v11, v10
.LBB46_1100:
	s_or_b64 exec, exec, s[6:7]
	v_lshrrev_b32_e32 v11, 8, v12
	s_movk_i32 s4, 0x7f
	v_cmp_gt_i16_sdwa s[6:7], v11, s4 src0_sel:BYTE_0 src1_sel:DWORD
	s_mov_b64 s[4:5], 0
                                        ; implicit-def: $sgpr10
	s_and_saveexec_b64 s[8:9], s[6:7]
	s_xor_b64 s[6:7], exec, s[8:9]
	s_cbranch_execnz .LBB46_3149
; %bb.1101:
	s_or_saveexec_b64 s[6:7], s[6:7]
	v_mov_b32_e32 v14, s10
	s_xor_b64 exec, exec, s[6:7]
	s_cbranch_execnz .LBB46_3152
.LBB46_1102:
	s_or_b64 exec, exec, s[6:7]
	s_and_saveexec_b64 s[6:7], s[4:5]
	s_cbranch_execz .LBB46_1104
.LBB46_1103:
	v_bfe_u32 v14, v12, 8, 3
	v_ffbh_u32_e32 v20, v14
	v_min_u32_e32 v20, 32, v20
	v_lshrrev_b16_e32 v15, 3, v11
	v_subrev_u32_e32 v21, 28, v20
	v_and_b32_e32 v15, 15, v15
	v_lshlrev_b32_e32 v11, v21, v11
	v_sub_u32_e32 v20, 29, v20
	v_and_b32_e32 v11, 7, v11
	v_cmp_eq_u16_e32 vcc, 0, v15
	v_cndmask_b32_e32 v11, v14, v11, vcc
	v_cndmask_b32_e32 v14, v15, v20, vcc
	v_lshlrev_b32_e32 v15, 16, v12
	v_mov_b32_e32 v20, 0x3b800000
	v_lshlrev_b32_e32 v11, 20, v11
	v_and_b32_e32 v15, 0x80000000, v15
	v_lshl_add_u32 v14, v14, 23, v20
	v_or3_b32 v14, v15, v14, v11
.LBB46_1104:
	s_or_b64 exec, exec, s[6:7]
	s_nop 0
	v_mfma_f32_16x16x4f32 a[0:3], v10, v14, a[0:3]
	s_movk_i32 s4, 0xff
	v_and_b32_sdwa v11, v16, s4 dst_sel:DWORD dst_unused:UNUSED_PAD src0_sel:WORD_1 src1_sel:DWORD
	s_movk_i32 s4, 0x7f
	v_cmp_lt_i16_e32 vcc, s4, v11
	s_mov_b64 s[4:5], 0
                                        ; implicit-def: $sgpr10
	s_and_saveexec_b64 s[6:7], vcc
	s_xor_b64 s[6:7], exec, s[6:7]
	s_cbranch_execnz .LBB46_3153
; %bb.1105:
	s_or_saveexec_b64 s[6:7], s[6:7]
	v_mov_b32_e32 v10, s10
	s_xor_b64 exec, exec, s[6:7]
	s_cbranch_execnz .LBB46_3156
.LBB46_1106:
	s_or_b64 exec, exec, s[6:7]
	s_and_saveexec_b64 s[6:7], s[4:5]
	s_cbranch_execz .LBB46_1108
.LBB46_1107:
	v_bfe_u32 v10, v16, 16, 3
	v_ffbh_u32_e32 v15, v10
	v_min_u32_e32 v15, 32, v15
	v_lshrrev_b32_e32 v11, 19, v16
	v_subrev_u32_e32 v20, 28, v15
	v_and_b32_e32 v11, 15, v11
	v_lshlrev_b32_sdwa v20, v20, v16 dst_sel:DWORD dst_unused:UNUSED_PAD src0_sel:DWORD src1_sel:WORD_1
	v_bfe_u32 v14, v16, 19, 4
	v_sub_u32_e32 v15, 29, v15
	v_and_b32_e32 v20, 7, v20
	v_cmp_eq_u16_e32 vcc, 0, v11
	v_cndmask_b32_e32 v10, v10, v20, vcc
	v_cndmask_b32_e32 v11, v14, v15, vcc
	v_lshlrev_b32_e32 v14, 8, v16
	v_mov_b32_e32 v15, 0x3b800000
	v_lshlrev_b32_e32 v10, 20, v10
	v_and_b32_e32 v14, 0x80000000, v14
	v_lshl_add_u32 v11, v11, 23, v15
	v_or3_b32 v10, v14, v11, v10
.LBB46_1108:
	s_or_b64 exec, exec, s[6:7]
	s_movk_i32 s4, 0xff
	v_and_b32_sdwa v11, v12, s4 dst_sel:DWORD dst_unused:UNUSED_PAD src0_sel:WORD_1 src1_sel:DWORD
	s_movk_i32 s4, 0x7f
	v_cmp_lt_i16_e32 vcc, s4, v11
	s_mov_b64 s[4:5], 0
                                        ; implicit-def: $sgpr10
	s_and_saveexec_b64 s[6:7], vcc
	s_xor_b64 s[6:7], exec, s[6:7]
	s_cbranch_execnz .LBB46_3157
; %bb.1109:
	s_or_saveexec_b64 s[6:7], s[6:7]
	v_mov_b32_e32 v14, s10
	s_xor_b64 exec, exec, s[6:7]
	s_cbranch_execnz .LBB46_3160
.LBB46_1110:
	s_or_b64 exec, exec, s[6:7]
	s_and_saveexec_b64 s[6:7], s[4:5]
	s_cbranch_execz .LBB46_1112
.LBB46_1111:
	v_bfe_u32 v11, v12, 16, 3
	v_ffbh_u32_e32 v20, v11
	v_min_u32_e32 v20, 32, v20
	v_lshrrev_b32_e32 v14, 19, v12
	v_subrev_u32_e32 v21, 28, v20
	v_and_b32_e32 v14, 15, v14
	v_lshlrev_b32_sdwa v21, v21, v12 dst_sel:DWORD dst_unused:UNUSED_PAD src0_sel:DWORD src1_sel:WORD_1
	v_bfe_u32 v15, v12, 19, 4
	v_sub_u32_e32 v20, 29, v20
	v_and_b32_e32 v21, 7, v21
	v_cmp_eq_u16_e32 vcc, 0, v14
	v_cndmask_b32_e32 v11, v11, v21, vcc
	v_cndmask_b32_e32 v14, v15, v20, vcc
	v_lshlrev_b32_e32 v15, 8, v12
	v_mov_b32_e32 v20, 0x3b800000
	v_lshlrev_b32_e32 v11, 20, v11
	v_and_b32_e32 v15, 0x80000000, v15
	v_lshl_add_u32 v14, v14, 23, v20
	v_or3_b32 v14, v15, v14, v11
.LBB46_1112:
	s_or_b64 exec, exec, s[6:7]
	s_nop 0
	v_mfma_f32_16x16x4f32 a[0:3], v10, v14, a[0:3]
	s_movk_i32 s4, 0x7f
	v_cmp_gt_i16_sdwa s[6:7], v16, s4 src0_sel:BYTE_3 src1_sel:DWORD
	s_mov_b64 s[4:5], 0
                                        ; implicit-def: $sgpr10
	s_and_saveexec_b64 s[8:9], s[6:7]
	s_xor_b64 s[6:7], exec, s[8:9]
	s_cbranch_execnz .LBB46_3161
; %bb.1113:
	s_or_saveexec_b64 s[6:7], s[6:7]
	v_mov_b32_e32 v10, s10
	s_xor_b64 exec, exec, s[6:7]
	s_cbranch_execnz .LBB46_3164
.LBB46_1114:
	s_or_b64 exec, exec, s[6:7]
	s_and_saveexec_b64 s[6:7], s[4:5]
	s_cbranch_execz .LBB46_1116
.LBB46_1115:
	v_bfe_u32 v10, v16, 24, 3
	v_ffbh_u32_e32 v20, v10
	v_min_u32_e32 v20, 32, v20
	v_lshrrev_b32_e32 v14, 27, v16
	v_subrev_u32_e32 v21, 28, v20
	v_and_b32_e32 v11, 0x80000000, v16
	v_and_b32_e32 v14, 15, v14
	v_bfe_u32 v15, v16, 27, 4
	v_lshlrev_b32_sdwa v16, v21, v16 dst_sel:DWORD dst_unused:UNUSED_PAD src0_sel:DWORD src1_sel:BYTE_3
	v_sub_u32_e32 v20, 29, v20
	v_and_b32_e32 v16, 7, v16
	v_cmp_eq_u16_e32 vcc, 0, v14
	v_cndmask_b32_e32 v10, v10, v16, vcc
	v_cndmask_b32_e32 v14, v15, v20, vcc
	v_mov_b32_e32 v15, 0x3b800000
	v_lshlrev_b32_e32 v10, 20, v10
	v_lshl_add_u32 v14, v14, 23, v15
	v_or3_b32 v10, v11, v14, v10
.LBB46_1116:
	s_or_b64 exec, exec, s[6:7]
	s_movk_i32 s4, 0x7f
	v_cmp_gt_i16_sdwa s[6:7], v12, s4 src0_sel:BYTE_3 src1_sel:DWORD
	s_mov_b64 s[4:5], 0
                                        ; implicit-def: $sgpr10
	s_and_saveexec_b64 s[8:9], s[6:7]
	s_xor_b64 s[6:7], exec, s[8:9]
	s_cbranch_execnz .LBB46_3165
; %bb.1117:
	s_or_saveexec_b64 s[6:7], s[6:7]
	v_mov_b32_e32 v11, s10
	s_xor_b64 exec, exec, s[6:7]
	s_cbranch_execnz .LBB46_3168
.LBB46_1118:
	s_or_b64 exec, exec, s[6:7]
	s_and_saveexec_b64 s[6:7], s[4:5]
	s_cbranch_execz .LBB46_1120
.LBB46_1119:
	v_bfe_u32 v11, v12, 24, 3
	v_ffbh_u32_e32 v20, v11
	v_min_u32_e32 v20, 32, v20
	v_lshrrev_b32_e32 v15, 27, v12
	v_subrev_u32_e32 v21, 28, v20
	v_and_b32_e32 v14, 0x80000000, v12
	v_and_b32_e32 v15, 15, v15
	v_bfe_u32 v16, v12, 27, 4
	v_lshlrev_b32_sdwa v12, v21, v12 dst_sel:DWORD dst_unused:UNUSED_PAD src0_sel:DWORD src1_sel:BYTE_3
	v_sub_u32_e32 v20, 29, v20
	v_and_b32_e32 v12, 7, v12
	v_cmp_eq_u16_e32 vcc, 0, v15
	v_cndmask_b32_e32 v11, v11, v12, vcc
	v_cndmask_b32_e32 v12, v16, v20, vcc
	v_mov_b32_e32 v15, 0x3b800000
	v_lshlrev_b32_e32 v11, 20, v11
	v_lshl_add_u32 v12, v12, 23, v15
	v_or3_b32 v11, v14, v12, v11
.LBB46_1120:
	s_or_b64 exec, exec, s[6:7]
	s_nop 0
	v_mfma_f32_16x16x4f32 a[0:3], v10, v11, a[0:3]
	s_movk_i32 s4, 0x7f
	v_cmp_gt_i16_sdwa s[6:7], v17, s4 src0_sel:BYTE_0 src1_sel:DWORD
	s_mov_b64 s[4:5], 0
                                        ; implicit-def: $sgpr10
	s_and_saveexec_b64 s[8:9], s[6:7]
	s_xor_b64 s[6:7], exec, s[8:9]
	s_cbranch_execnz .LBB46_3169
; %bb.1121:
	s_or_saveexec_b64 s[6:7], s[6:7]
	v_mov_b32_e32 v10, s10
	s_xor_b64 exec, exec, s[6:7]
	s_cbranch_execnz .LBB46_3172
.LBB46_1122:
	s_or_b64 exec, exec, s[6:7]
	s_and_saveexec_b64 s[6:7], s[4:5]
	s_cbranch_execz .LBB46_1124
.LBB46_1123:
	v_and_b32_e32 v10, 7, v17
	v_ffbh_u32_e32 v12, v10
	v_min_u32_e32 v12, 32, v12
	v_lshrrev_b16_e32 v11, 3, v17
	v_subrev_u32_e32 v14, 28, v12
	v_and_b32_e32 v11, 15, v11
	v_lshlrev_b32_e32 v14, v14, v17
	v_sub_u32_e32 v12, 29, v12
	v_and_b32_e32 v14, 7, v14
	v_cmp_eq_u16_e32 vcc, 0, v11
	v_cndmask_b32_e32 v10, v10, v14, vcc
	v_cndmask_b32_e32 v11, v11, v12, vcc
	v_lshlrev_b32_e32 v12, 24, v17
	v_mov_b32_e32 v14, 0x3b800000
	v_lshlrev_b32_e32 v10, 20, v10
	v_and_b32_e32 v12, 0x80000000, v12
	v_lshl_add_u32 v11, v11, 23, v14
	v_or3_b32 v10, v12, v11, v10
.LBB46_1124:
	s_or_b64 exec, exec, s[6:7]
	s_movk_i32 s4, 0x7f
	v_cmp_gt_i16_sdwa s[6:7], v13, s4 src0_sel:BYTE_0 src1_sel:DWORD
	s_mov_b64 s[4:5], 0
                                        ; implicit-def: $sgpr10
	s_and_saveexec_b64 s[8:9], s[6:7]
	s_xor_b64 s[6:7], exec, s[8:9]
	s_cbranch_execnz .LBB46_3173
; %bb.1125:
	s_or_saveexec_b64 s[6:7], s[6:7]
	v_mov_b32_e32 v11, s10
	s_xor_b64 exec, exec, s[6:7]
	s_cbranch_execnz .LBB46_3176
.LBB46_1126:
	s_or_b64 exec, exec, s[6:7]
	s_and_saveexec_b64 s[6:7], s[4:5]
	s_cbranch_execz .LBB46_1128
.LBB46_1127:
	v_and_b32_e32 v11, 7, v13
	v_ffbh_u32_e32 v14, v11
	v_min_u32_e32 v14, 32, v14
	v_lshrrev_b16_e32 v12, 3, v13
	v_subrev_u32_e32 v15, 28, v14
	v_and_b32_e32 v12, 15, v12
	v_lshlrev_b32_e32 v15, v15, v13
	v_sub_u32_e32 v14, 29, v14
	v_and_b32_e32 v15, 7, v15
	v_cmp_eq_u16_e32 vcc, 0, v12
	v_cndmask_b32_e32 v11, v11, v15, vcc
	v_cndmask_b32_e32 v12, v12, v14, vcc
	v_lshlrev_b32_e32 v14, 24, v13
	v_mov_b32_e32 v15, 0x3b800000
	v_lshlrev_b32_e32 v11, 20, v11
	v_and_b32_e32 v14, 0x80000000, v14
	v_lshl_add_u32 v12, v12, 23, v15
	v_or3_b32 v11, v14, v12, v11
.LBB46_1128:
	s_or_b64 exec, exec, s[6:7]
	s_nop 0
	v_mfma_f32_16x16x4f32 a[0:3], v10, v11, a[0:3]
	v_lshrrev_b32_e32 v11, 8, v17
	s_movk_i32 s4, 0x7f
	v_cmp_gt_i16_sdwa s[6:7], v11, s4 src0_sel:BYTE_0 src1_sel:DWORD
	s_mov_b64 s[4:5], 0
                                        ; implicit-def: $sgpr10
	s_and_saveexec_b64 s[8:9], s[6:7]
	s_xor_b64 s[6:7], exec, s[8:9]
	s_cbranch_execnz .LBB46_3177
; %bb.1129:
	s_or_saveexec_b64 s[6:7], s[6:7]
	v_mov_b32_e32 v10, s10
	s_xor_b64 exec, exec, s[6:7]
	s_cbranch_execnz .LBB46_3180
.LBB46_1130:
	s_or_b64 exec, exec, s[6:7]
	s_and_saveexec_b64 s[6:7], s[4:5]
	s_cbranch_execz .LBB46_1132
.LBB46_1131:
	v_bfe_u32 v10, v17, 8, 3
	v_ffbh_u32_e32 v14, v10
	v_min_u32_e32 v14, 32, v14
	v_lshrrev_b16_e32 v12, 3, v11
	v_subrev_u32_e32 v15, 28, v14
	v_and_b32_e32 v12, 15, v12
	v_lshlrev_b32_e32 v11, v15, v11
	v_sub_u32_e32 v14, 29, v14
	v_and_b32_e32 v11, 7, v11
	v_cmp_eq_u16_e32 vcc, 0, v12
	v_cndmask_b32_e32 v10, v10, v11, vcc
	v_cndmask_b32_e32 v11, v12, v14, vcc
	v_lshlrev_b32_e32 v12, 16, v17
	v_mov_b32_e32 v14, 0x3b800000
	v_lshlrev_b32_e32 v10, 20, v10
	v_and_b32_e32 v12, 0x80000000, v12
	v_lshl_add_u32 v11, v11, 23, v14
	v_or3_b32 v10, v12, v11, v10
.LBB46_1132:
	s_or_b64 exec, exec, s[6:7]
	v_lshrrev_b32_e32 v11, 8, v13
	s_movk_i32 s4, 0x7f
	v_cmp_gt_i16_sdwa s[6:7], v11, s4 src0_sel:BYTE_0 src1_sel:DWORD
	s_mov_b64 s[4:5], 0
                                        ; implicit-def: $sgpr10
	s_and_saveexec_b64 s[8:9], s[6:7]
	s_xor_b64 s[6:7], exec, s[8:9]
	s_cbranch_execnz .LBB46_3181
; %bb.1133:
	s_or_saveexec_b64 s[6:7], s[6:7]
	v_mov_b32_e32 v12, s10
	s_xor_b64 exec, exec, s[6:7]
	s_cbranch_execnz .LBB46_3184
.LBB46_1134:
	s_or_b64 exec, exec, s[6:7]
	s_and_saveexec_b64 s[6:7], s[4:5]
	s_cbranch_execz .LBB46_1136
.LBB46_1135:
	v_bfe_u32 v12, v13, 8, 3
	v_ffbh_u32_e32 v15, v12
	v_min_u32_e32 v15, 32, v15
	v_lshrrev_b16_e32 v14, 3, v11
	v_subrev_u32_e32 v16, 28, v15
	v_and_b32_e32 v14, 15, v14
	v_lshlrev_b32_e32 v11, v16, v11
	v_sub_u32_e32 v15, 29, v15
	v_and_b32_e32 v11, 7, v11
	v_cmp_eq_u16_e32 vcc, 0, v14
	v_cndmask_b32_e32 v11, v12, v11, vcc
	v_cndmask_b32_e32 v12, v14, v15, vcc
	v_lshlrev_b32_e32 v14, 16, v13
	v_mov_b32_e32 v15, 0x3b800000
	v_lshlrev_b32_e32 v11, 20, v11
	v_and_b32_e32 v14, 0x80000000, v14
	v_lshl_add_u32 v12, v12, 23, v15
	v_or3_b32 v12, v14, v12, v11
.LBB46_1136:
	s_or_b64 exec, exec, s[6:7]
	s_nop 0
	v_mfma_f32_16x16x4f32 a[0:3], v10, v12, a[0:3]
	s_movk_i32 s4, 0xff
	v_and_b32_sdwa v11, v17, s4 dst_sel:DWORD dst_unused:UNUSED_PAD src0_sel:WORD_1 src1_sel:DWORD
	s_movk_i32 s4, 0x7f
	v_cmp_lt_i16_e32 vcc, s4, v11
	s_mov_b64 s[4:5], 0
                                        ; implicit-def: $sgpr10
	s_and_saveexec_b64 s[6:7], vcc
	s_xor_b64 s[6:7], exec, s[6:7]
	s_cbranch_execnz .LBB46_3185
; %bb.1137:
	s_or_saveexec_b64 s[6:7], s[6:7]
	v_mov_b32_e32 v10, s10
	s_xor_b64 exec, exec, s[6:7]
	s_cbranch_execnz .LBB46_3188
.LBB46_1138:
	s_or_b64 exec, exec, s[6:7]
	s_and_saveexec_b64 s[6:7], s[4:5]
	s_cbranch_execz .LBB46_1140
.LBB46_1139:
	v_bfe_u32 v10, v17, 16, 3
	v_ffbh_u32_e32 v14, v10
	v_min_u32_e32 v14, 32, v14
	v_lshrrev_b32_e32 v11, 19, v17
	v_subrev_u32_e32 v15, 28, v14
	v_and_b32_e32 v11, 15, v11
	v_lshlrev_b32_sdwa v15, v15, v17 dst_sel:DWORD dst_unused:UNUSED_PAD src0_sel:DWORD src1_sel:WORD_1
	v_bfe_u32 v12, v17, 19, 4
	v_sub_u32_e32 v14, 29, v14
	v_and_b32_e32 v15, 7, v15
	v_cmp_eq_u16_e32 vcc, 0, v11
	v_cndmask_b32_e32 v10, v10, v15, vcc
	v_cndmask_b32_e32 v11, v12, v14, vcc
	v_lshlrev_b32_e32 v12, 8, v17
	v_mov_b32_e32 v14, 0x3b800000
	v_lshlrev_b32_e32 v10, 20, v10
	v_and_b32_e32 v12, 0x80000000, v12
	v_lshl_add_u32 v11, v11, 23, v14
	v_or3_b32 v10, v12, v11, v10
.LBB46_1140:
	s_or_b64 exec, exec, s[6:7]
	s_movk_i32 s4, 0xff
	v_and_b32_sdwa v11, v13, s4 dst_sel:DWORD dst_unused:UNUSED_PAD src0_sel:WORD_1 src1_sel:DWORD
	s_movk_i32 s4, 0x7f
	v_cmp_lt_i16_e32 vcc, s4, v11
	s_mov_b64 s[4:5], 0
                                        ; implicit-def: $sgpr10
	s_and_saveexec_b64 s[6:7], vcc
	s_xor_b64 s[6:7], exec, s[6:7]
	s_cbranch_execnz .LBB46_3189
; %bb.1141:
	s_or_saveexec_b64 s[6:7], s[6:7]
	v_mov_b32_e32 v12, s10
	s_xor_b64 exec, exec, s[6:7]
	s_cbranch_execnz .LBB46_3192
.LBB46_1142:
	s_or_b64 exec, exec, s[6:7]
	s_and_saveexec_b64 s[6:7], s[4:5]
	s_cbranch_execz .LBB46_1144
.LBB46_1143:
	v_bfe_u32 v11, v13, 16, 3
	v_ffbh_u32_e32 v15, v11
	v_min_u32_e32 v15, 32, v15
	v_lshrrev_b32_e32 v12, 19, v13
	v_subrev_u32_e32 v16, 28, v15
	v_and_b32_e32 v12, 15, v12
	v_lshlrev_b32_sdwa v16, v16, v13 dst_sel:DWORD dst_unused:UNUSED_PAD src0_sel:DWORD src1_sel:WORD_1
	v_bfe_u32 v14, v13, 19, 4
	v_sub_u32_e32 v15, 29, v15
	v_and_b32_e32 v16, 7, v16
	v_cmp_eq_u16_e32 vcc, 0, v12
	v_cndmask_b32_e32 v11, v11, v16, vcc
	v_cndmask_b32_e32 v12, v14, v15, vcc
	v_lshlrev_b32_e32 v14, 8, v13
	v_mov_b32_e32 v15, 0x3b800000
	v_lshlrev_b32_e32 v11, 20, v11
	v_and_b32_e32 v14, 0x80000000, v14
	v_lshl_add_u32 v12, v12, 23, v15
	v_or3_b32 v12, v14, v12, v11
.LBB46_1144:
	s_or_b64 exec, exec, s[6:7]
	s_nop 0
	v_mfma_f32_16x16x4f32 a[0:3], v10, v12, a[0:3]
	s_movk_i32 s4, 0x7f
	v_cmp_gt_i16_sdwa s[6:7], v17, s4 src0_sel:BYTE_3 src1_sel:DWORD
	s_mov_b64 s[4:5], 0
                                        ; implicit-def: $sgpr10
	s_and_saveexec_b64 s[8:9], s[6:7]
	s_xor_b64 s[6:7], exec, s[8:9]
	s_cbranch_execnz .LBB46_3193
; %bb.1145:
	s_or_saveexec_b64 s[6:7], s[6:7]
	v_mov_b32_e32 v10, s10
	s_xor_b64 exec, exec, s[6:7]
	s_cbranch_execnz .LBB46_3196
.LBB46_1146:
	s_or_b64 exec, exec, s[6:7]
	s_and_saveexec_b64 s[6:7], s[4:5]
	s_cbranch_execz .LBB46_1148
.LBB46_1147:
	v_bfe_u32 v10, v17, 24, 3
	v_ffbh_u32_e32 v15, v10
	v_min_u32_e32 v15, 32, v15
	v_lshrrev_b32_e32 v12, 27, v17
	v_subrev_u32_e32 v16, 28, v15
	v_and_b32_e32 v12, 15, v12
	v_lshlrev_b32_sdwa v16, v16, v17 dst_sel:DWORD dst_unused:UNUSED_PAD src0_sel:DWORD src1_sel:BYTE_3
	v_bfe_u32 v14, v17, 27, 4
	v_sub_u32_e32 v15, 29, v15
	v_and_b32_e32 v16, 7, v16
	v_cmp_eq_u16_e32 vcc, 0, v12
	v_cndmask_b32_e32 v10, v10, v16, vcc
	v_cndmask_b32_e32 v12, v14, v15, vcc
	v_mov_b32_e32 v14, 0x3b800000
	v_and_b32_e32 v11, 0x80000000, v17
	v_lshlrev_b32_e32 v10, 20, v10
	v_lshl_add_u32 v12, v12, 23, v14
	v_or3_b32 v10, v11, v12, v10
.LBB46_1148:
	s_or_b64 exec, exec, s[6:7]
	s_movk_i32 s4, 0x7f
	v_cmp_gt_i16_sdwa s[6:7], v13, s4 src0_sel:BYTE_3 src1_sel:DWORD
	s_mov_b64 s[4:5], 0
                                        ; implicit-def: $sgpr10
	s_and_saveexec_b64 s[8:9], s[6:7]
	s_xor_b64 s[6:7], exec, s[8:9]
	s_cbranch_execnz .LBB46_3197
; %bb.1149:
	s_or_saveexec_b64 s[6:7], s[6:7]
	v_mov_b32_e32 v11, s10
	s_xor_b64 exec, exec, s[6:7]
	s_cbranch_execnz .LBB46_3200
.LBB46_1150:
	s_or_b64 exec, exec, s[6:7]
	s_and_saveexec_b64 s[6:7], s[4:5]
	s_cbranch_execz .LBB46_1152
.LBB46_1151:
	v_bfe_u32 v11, v13, 24, 3
	v_ffbh_u32_e32 v16, v11
	v_min_u32_e32 v16, 32, v16
	v_lshrrev_b32_e32 v14, 27, v13
	v_subrev_u32_e32 v17, 28, v16
	v_and_b32_e32 v12, 0x80000000, v13
	v_and_b32_e32 v14, 15, v14
	v_bfe_u32 v15, v13, 27, 4
	v_lshlrev_b32_sdwa v13, v17, v13 dst_sel:DWORD dst_unused:UNUSED_PAD src0_sel:DWORD src1_sel:BYTE_3
	v_sub_u32_e32 v16, 29, v16
	v_and_b32_e32 v13, 7, v13
	v_cmp_eq_u16_e32 vcc, 0, v14
	v_cndmask_b32_e32 v11, v11, v13, vcc
	v_cndmask_b32_e32 v13, v15, v16, vcc
	v_mov_b32_e32 v14, 0x3b800000
	v_lshlrev_b32_e32 v11, 20, v11
	v_lshl_add_u32 v13, v13, 23, v14
	v_or3_b32 v11, v12, v13, v11
.LBB46_1152:
	s_or_b64 exec, exec, s[6:7]
	s_nop 0
	v_mfma_f32_16x16x4f32 a[0:3], v10, v11, a[0:3]
	s_movk_i32 s4, 0x7f
	v_cmp_gt_i16_sdwa s[6:7], v6, s4 src0_sel:BYTE_0 src1_sel:DWORD
	s_mov_b64 s[4:5], 0
                                        ; implicit-def: $sgpr10
	s_and_saveexec_b64 s[8:9], s[6:7]
	s_xor_b64 s[6:7], exec, s[8:9]
	s_cbranch_execnz .LBB46_3201
; %bb.1153:
	s_or_saveexec_b64 s[6:7], s[6:7]
	v_mov_b32_e32 v10, s10
	s_xor_b64 exec, exec, s[6:7]
	s_cbranch_execnz .LBB46_3204
.LBB46_1154:
	s_or_b64 exec, exec, s[6:7]
	s_and_saveexec_b64 s[6:7], s[4:5]
	s_cbranch_execz .LBB46_1156
.LBB46_1155:
	v_and_b32_e32 v10, 7, v6
	v_ffbh_u32_e32 v12, v10
	v_min_u32_e32 v12, 32, v12
	v_lshrrev_b16_e32 v11, 3, v6
	v_subrev_u32_e32 v13, 28, v12
	v_and_b32_e32 v11, 15, v11
	v_lshlrev_b32_e32 v13, v13, v6
	v_sub_u32_e32 v12, 29, v12
	v_and_b32_e32 v13, 7, v13
	v_cmp_eq_u16_e32 vcc, 0, v11
	v_cndmask_b32_e32 v10, v10, v13, vcc
	v_cndmask_b32_e32 v11, v11, v12, vcc
	v_lshlrev_b32_e32 v12, 24, v6
	v_mov_b32_e32 v13, 0x3b800000
	v_lshlrev_b32_e32 v10, 20, v10
	v_and_b32_e32 v12, 0x80000000, v12
	v_lshl_add_u32 v11, v11, 23, v13
	v_or3_b32 v10, v12, v11, v10
.LBB46_1156:
	s_or_b64 exec, exec, s[6:7]
	s_movk_i32 s4, 0x7f
	v_cmp_gt_i16_sdwa s[6:7], v2, s4 src0_sel:BYTE_0 src1_sel:DWORD
	s_mov_b64 s[4:5], 0
                                        ; implicit-def: $sgpr10
	s_and_saveexec_b64 s[8:9], s[6:7]
	s_xor_b64 s[6:7], exec, s[8:9]
	s_cbranch_execnz .LBB46_3205
; %bb.1157:
	s_or_saveexec_b64 s[6:7], s[6:7]
	v_mov_b32_e32 v11, s10
	s_xor_b64 exec, exec, s[6:7]
	s_cbranch_execnz .LBB46_3208
.LBB46_1158:
	s_or_b64 exec, exec, s[6:7]
	s_and_saveexec_b64 s[6:7], s[4:5]
	s_cbranch_execz .LBB46_1160
.LBB46_1159:
	v_and_b32_e32 v11, 7, v2
	v_ffbh_u32_e32 v13, v11
	v_min_u32_e32 v13, 32, v13
	v_lshrrev_b16_e32 v12, 3, v2
	v_subrev_u32_e32 v14, 28, v13
	v_and_b32_e32 v12, 15, v12
	v_lshlrev_b32_e32 v14, v14, v2
	v_sub_u32_e32 v13, 29, v13
	v_and_b32_e32 v14, 7, v14
	v_cmp_eq_u16_e32 vcc, 0, v12
	v_cndmask_b32_e32 v11, v11, v14, vcc
	v_cndmask_b32_e32 v12, v12, v13, vcc
	v_lshlrev_b32_e32 v13, 24, v2
	v_mov_b32_e32 v14, 0x3b800000
	v_lshlrev_b32_e32 v11, 20, v11
	v_and_b32_e32 v13, 0x80000000, v13
	v_lshl_add_u32 v12, v12, 23, v14
	v_or3_b32 v11, v13, v12, v11
.LBB46_1160:
	s_or_b64 exec, exec, s[6:7]
	s_nop 0
	v_mfma_f32_16x16x4f32 a[0:3], v10, v11, a[0:3]
	v_lshrrev_b32_e32 v11, 8, v6
	s_movk_i32 s4, 0x7f
	v_cmp_gt_i16_sdwa s[6:7], v11, s4 src0_sel:BYTE_0 src1_sel:DWORD
	s_mov_b64 s[4:5], 0
                                        ; implicit-def: $sgpr10
	s_and_saveexec_b64 s[8:9], s[6:7]
	s_xor_b64 s[6:7], exec, s[8:9]
	s_cbranch_execnz .LBB46_3209
; %bb.1161:
	s_or_saveexec_b64 s[6:7], s[6:7]
	v_mov_b32_e32 v10, s10
	s_xor_b64 exec, exec, s[6:7]
	s_cbranch_execnz .LBB46_3212
.LBB46_1162:
	s_or_b64 exec, exec, s[6:7]
	s_and_saveexec_b64 s[6:7], s[4:5]
	s_cbranch_execz .LBB46_1164
.LBB46_1163:
	v_bfe_u32 v10, v6, 8, 3
	v_ffbh_u32_e32 v13, v10
	v_min_u32_e32 v13, 32, v13
	v_lshrrev_b16_e32 v12, 3, v11
	v_subrev_u32_e32 v14, 28, v13
	v_and_b32_e32 v12, 15, v12
	v_lshlrev_b32_e32 v11, v14, v11
	v_sub_u32_e32 v13, 29, v13
	v_and_b32_e32 v11, 7, v11
	v_cmp_eq_u16_e32 vcc, 0, v12
	v_cndmask_b32_e32 v10, v10, v11, vcc
	v_cndmask_b32_e32 v11, v12, v13, vcc
	v_lshlrev_b32_e32 v12, 16, v6
	v_mov_b32_e32 v13, 0x3b800000
	v_lshlrev_b32_e32 v10, 20, v10
	v_and_b32_e32 v12, 0x80000000, v12
	v_lshl_add_u32 v11, v11, 23, v13
	v_or3_b32 v10, v12, v11, v10
.LBB46_1164:
	s_or_b64 exec, exec, s[6:7]
	v_lshrrev_b32_e32 v11, 8, v2
	s_movk_i32 s4, 0x7f
	v_cmp_gt_i16_sdwa s[6:7], v11, s4 src0_sel:BYTE_0 src1_sel:DWORD
	s_mov_b64 s[4:5], 0
                                        ; implicit-def: $sgpr10
	s_and_saveexec_b64 s[8:9], s[6:7]
	s_xor_b64 s[6:7], exec, s[8:9]
	s_cbranch_execnz .LBB46_3213
; %bb.1165:
	s_or_saveexec_b64 s[6:7], s[6:7]
	v_mov_b32_e32 v12, s10
	s_xor_b64 exec, exec, s[6:7]
	s_cbranch_execnz .LBB46_3216
.LBB46_1166:
	s_or_b64 exec, exec, s[6:7]
	s_and_saveexec_b64 s[6:7], s[4:5]
	s_cbranch_execz .LBB46_1168
.LBB46_1167:
	v_bfe_u32 v12, v2, 8, 3
	v_ffbh_u32_e32 v14, v12
	v_min_u32_e32 v14, 32, v14
	v_lshrrev_b16_e32 v13, 3, v11
	v_subrev_u32_e32 v15, 28, v14
	v_and_b32_e32 v13, 15, v13
	v_lshlrev_b32_e32 v11, v15, v11
	v_sub_u32_e32 v14, 29, v14
	v_and_b32_e32 v11, 7, v11
	v_cmp_eq_u16_e32 vcc, 0, v13
	v_cndmask_b32_e32 v11, v12, v11, vcc
	v_cndmask_b32_e32 v12, v13, v14, vcc
	v_lshlrev_b32_e32 v13, 16, v2
	v_mov_b32_e32 v14, 0x3b800000
	v_lshlrev_b32_e32 v11, 20, v11
	v_and_b32_e32 v13, 0x80000000, v13
	v_lshl_add_u32 v12, v12, 23, v14
	v_or3_b32 v12, v13, v12, v11
.LBB46_1168:
	s_or_b64 exec, exec, s[6:7]
	s_nop 0
	v_mfma_f32_16x16x4f32 a[0:3], v10, v12, a[0:3]
	s_movk_i32 s4, 0xff
	v_and_b32_sdwa v11, v6, s4 dst_sel:DWORD dst_unused:UNUSED_PAD src0_sel:WORD_1 src1_sel:DWORD
	s_movk_i32 s4, 0x7f
	v_cmp_lt_i16_e32 vcc, s4, v11
	s_mov_b64 s[4:5], 0
                                        ; implicit-def: $sgpr10
	s_and_saveexec_b64 s[6:7], vcc
	s_xor_b64 s[6:7], exec, s[6:7]
	s_cbranch_execnz .LBB46_3217
; %bb.1169:
	s_or_saveexec_b64 s[6:7], s[6:7]
	v_mov_b32_e32 v10, s10
	s_xor_b64 exec, exec, s[6:7]
	s_cbranch_execnz .LBB46_3220
.LBB46_1170:
	s_or_b64 exec, exec, s[6:7]
	s_and_saveexec_b64 s[6:7], s[4:5]
	s_cbranch_execz .LBB46_1172
.LBB46_1171:
	v_bfe_u32 v10, v6, 16, 3
	v_ffbh_u32_e32 v13, v10
	v_min_u32_e32 v13, 32, v13
	v_lshrrev_b32_e32 v11, 19, v6
	v_subrev_u32_e32 v14, 28, v13
	v_and_b32_e32 v11, 15, v11
	v_lshlrev_b32_sdwa v14, v14, v6 dst_sel:DWORD dst_unused:UNUSED_PAD src0_sel:DWORD src1_sel:WORD_1
	v_bfe_u32 v12, v6, 19, 4
	v_sub_u32_e32 v13, 29, v13
	v_and_b32_e32 v14, 7, v14
	v_cmp_eq_u16_e32 vcc, 0, v11
	v_cndmask_b32_e32 v10, v10, v14, vcc
	v_cndmask_b32_e32 v11, v12, v13, vcc
	v_lshlrev_b32_e32 v12, 8, v6
	v_mov_b32_e32 v13, 0x3b800000
	v_lshlrev_b32_e32 v10, 20, v10
	v_and_b32_e32 v12, 0x80000000, v12
	v_lshl_add_u32 v11, v11, 23, v13
	v_or3_b32 v10, v12, v11, v10
.LBB46_1172:
	s_or_b64 exec, exec, s[6:7]
	s_movk_i32 s4, 0xff
	v_and_b32_sdwa v11, v2, s4 dst_sel:DWORD dst_unused:UNUSED_PAD src0_sel:WORD_1 src1_sel:DWORD
	s_movk_i32 s4, 0x7f
	v_cmp_lt_i16_e32 vcc, s4, v11
	s_mov_b64 s[4:5], 0
                                        ; implicit-def: $sgpr10
	s_and_saveexec_b64 s[6:7], vcc
	s_xor_b64 s[6:7], exec, s[6:7]
	s_cbranch_execnz .LBB46_3221
; %bb.1173:
	s_or_saveexec_b64 s[6:7], s[6:7]
	v_mov_b32_e32 v12, s10
	s_xor_b64 exec, exec, s[6:7]
	s_cbranch_execnz .LBB46_3224
.LBB46_1174:
	s_or_b64 exec, exec, s[6:7]
	s_and_saveexec_b64 s[6:7], s[4:5]
	s_cbranch_execz .LBB46_1176
.LBB46_1175:
	v_bfe_u32 v11, v2, 16, 3
	v_ffbh_u32_e32 v14, v11
	v_min_u32_e32 v14, 32, v14
	v_lshrrev_b32_e32 v12, 19, v2
	v_subrev_u32_e32 v15, 28, v14
	v_and_b32_e32 v12, 15, v12
	v_lshlrev_b32_sdwa v15, v15, v2 dst_sel:DWORD dst_unused:UNUSED_PAD src0_sel:DWORD src1_sel:WORD_1
	v_bfe_u32 v13, v2, 19, 4
	v_sub_u32_e32 v14, 29, v14
	v_and_b32_e32 v15, 7, v15
	v_cmp_eq_u16_e32 vcc, 0, v12
	v_cndmask_b32_e32 v11, v11, v15, vcc
	v_cndmask_b32_e32 v12, v13, v14, vcc
	v_lshlrev_b32_e32 v13, 8, v2
	v_mov_b32_e32 v14, 0x3b800000
	v_lshlrev_b32_e32 v11, 20, v11
	v_and_b32_e32 v13, 0x80000000, v13
	v_lshl_add_u32 v12, v12, 23, v14
	v_or3_b32 v12, v13, v12, v11
.LBB46_1176:
	s_or_b64 exec, exec, s[6:7]
	s_nop 0
	v_mfma_f32_16x16x4f32 a[0:3], v10, v12, a[0:3]
	s_movk_i32 s4, 0x7f
	v_cmp_gt_i16_sdwa s[6:7], v6, s4 src0_sel:BYTE_3 src1_sel:DWORD
	s_mov_b64 s[4:5], 0
                                        ; implicit-def: $sgpr10
	s_and_saveexec_b64 s[8:9], s[6:7]
	s_xor_b64 s[6:7], exec, s[8:9]
	s_cbranch_execnz .LBB46_3225
; %bb.1177:
	s_or_saveexec_b64 s[6:7], s[6:7]
	v_mov_b32_e32 v10, s10
	s_xor_b64 exec, exec, s[6:7]
	s_cbranch_execnz .LBB46_3228
.LBB46_1178:
	s_or_b64 exec, exec, s[6:7]
	s_and_saveexec_b64 s[6:7], s[4:5]
	s_cbranch_execz .LBB46_1180
.LBB46_1179:
	v_bfe_u32 v10, v6, 24, 3
	v_ffbh_u32_e32 v14, v10
	v_min_u32_e32 v14, 32, v14
	v_lshrrev_b32_e32 v12, 27, v6
	v_subrev_u32_e32 v15, 28, v14
	v_and_b32_e32 v11, 0x80000000, v6
	v_and_b32_e32 v12, 15, v12
	v_bfe_u32 v13, v6, 27, 4
	v_lshlrev_b32_sdwa v6, v15, v6 dst_sel:DWORD dst_unused:UNUSED_PAD src0_sel:DWORD src1_sel:BYTE_3
	v_sub_u32_e32 v14, 29, v14
	v_and_b32_e32 v6, 7, v6
	v_cmp_eq_u16_e32 vcc, 0, v12
	v_cndmask_b32_e32 v6, v10, v6, vcc
	v_cndmask_b32_e32 v10, v13, v14, vcc
	v_mov_b32_e32 v12, 0x3b800000
	v_lshlrev_b32_e32 v6, 20, v6
	v_lshl_add_u32 v10, v10, 23, v12
	v_or3_b32 v10, v11, v10, v6
.LBB46_1180:
	s_or_b64 exec, exec, s[6:7]
	s_movk_i32 s4, 0x7f
	v_cmp_gt_i16_sdwa s[6:7], v2, s4 src0_sel:BYTE_3 src1_sel:DWORD
	s_mov_b64 s[4:5], 0
                                        ; implicit-def: $sgpr10
	s_and_saveexec_b64 s[8:9], s[6:7]
	s_xor_b64 s[6:7], exec, s[8:9]
	s_cbranch_execnz .LBB46_3229
; %bb.1181:
	s_or_saveexec_b64 s[6:7], s[6:7]
	v_mov_b32_e32 v6, s10
	s_xor_b64 exec, exec, s[6:7]
	s_cbranch_execnz .LBB46_3232
.LBB46_1182:
	s_or_b64 exec, exec, s[6:7]
	s_and_saveexec_b64 s[6:7], s[4:5]
	s_cbranch_execz .LBB46_1184
.LBB46_1183:
	v_bfe_u32 v6, v2, 24, 3
	v_ffbh_u32_e32 v14, v6
	v_min_u32_e32 v14, 32, v14
	v_lshrrev_b32_e32 v12, 27, v2
	v_subrev_u32_e32 v15, 28, v14
	v_and_b32_e32 v11, 0x80000000, v2
	v_and_b32_e32 v12, 15, v12
	v_bfe_u32 v13, v2, 27, 4
	v_lshlrev_b32_sdwa v2, v15, v2 dst_sel:DWORD dst_unused:UNUSED_PAD src0_sel:DWORD src1_sel:BYTE_3
	v_sub_u32_e32 v14, 29, v14
	v_and_b32_e32 v2, 7, v2
	v_cmp_eq_u16_e32 vcc, 0, v12
	v_cndmask_b32_e32 v2, v6, v2, vcc
	v_cndmask_b32_e32 v6, v13, v14, vcc
	v_mov_b32_e32 v12, 0x3b800000
	v_lshlrev_b32_e32 v2, 20, v2
	v_lshl_add_u32 v6, v6, 23, v12
	v_or3_b32 v6, v11, v6, v2
.LBB46_1184:
	s_or_b64 exec, exec, s[6:7]
	s_nop 0
	v_mfma_f32_16x16x4f32 a[0:3], v10, v6, a[0:3]
	s_movk_i32 s4, 0x7f
	v_cmp_gt_i16_sdwa s[6:7], v7, s4 src0_sel:BYTE_0 src1_sel:DWORD
	s_mov_b64 s[4:5], 0
                                        ; implicit-def: $sgpr10
	s_and_saveexec_b64 s[8:9], s[6:7]
	s_xor_b64 s[6:7], exec, s[8:9]
	s_cbranch_execnz .LBB46_3233
; %bb.1185:
	s_or_saveexec_b64 s[6:7], s[6:7]
	v_mov_b32_e32 v2, s10
	s_xor_b64 exec, exec, s[6:7]
	s_cbranch_execnz .LBB46_3236
.LBB46_1186:
	s_or_b64 exec, exec, s[6:7]
	s_and_saveexec_b64 s[6:7], s[4:5]
	s_cbranch_execz .LBB46_1188
.LBB46_1187:
	v_and_b32_e32 v2, 7, v7
	v_ffbh_u32_e32 v10, v2
	v_min_u32_e32 v10, 32, v10
	v_lshrrev_b16_e32 v6, 3, v7
	v_subrev_u32_e32 v11, 28, v10
	v_and_b32_e32 v6, 15, v6
	v_lshlrev_b32_e32 v11, v11, v7
	v_sub_u32_e32 v10, 29, v10
	v_and_b32_e32 v11, 7, v11
	v_cmp_eq_u16_e32 vcc, 0, v6
	v_cndmask_b32_e32 v2, v2, v11, vcc
	v_cndmask_b32_e32 v6, v6, v10, vcc
	v_lshlrev_b32_e32 v10, 24, v7
	v_mov_b32_e32 v11, 0x3b800000
	v_lshlrev_b32_e32 v2, 20, v2
	v_and_b32_e32 v10, 0x80000000, v10
	v_lshl_add_u32 v6, v6, 23, v11
	v_or3_b32 v2, v10, v6, v2
.LBB46_1188:
	s_or_b64 exec, exec, s[6:7]
	s_movk_i32 s4, 0x7f
	v_cmp_gt_i16_sdwa s[6:7], v3, s4 src0_sel:BYTE_0 src1_sel:DWORD
	s_mov_b64 s[4:5], 0
                                        ; implicit-def: $sgpr10
	s_and_saveexec_b64 s[8:9], s[6:7]
	s_xor_b64 s[6:7], exec, s[8:9]
	s_cbranch_execnz .LBB46_3237
; %bb.1189:
	s_or_saveexec_b64 s[6:7], s[6:7]
	v_mov_b32_e32 v6, s10
	s_xor_b64 exec, exec, s[6:7]
	s_cbranch_execnz .LBB46_3240
.LBB46_1190:
	s_or_b64 exec, exec, s[6:7]
	s_and_saveexec_b64 s[6:7], s[4:5]
	s_cbranch_execz .LBB46_1192
.LBB46_1191:
	v_and_b32_e32 v6, 7, v3
	v_ffbh_u32_e32 v11, v6
	v_min_u32_e32 v11, 32, v11
	v_lshrrev_b16_e32 v10, 3, v3
	v_subrev_u32_e32 v12, 28, v11
	v_and_b32_e32 v10, 15, v10
	v_lshlrev_b32_e32 v12, v12, v3
	v_sub_u32_e32 v11, 29, v11
	v_and_b32_e32 v12, 7, v12
	v_cmp_eq_u16_e32 vcc, 0, v10
	v_cndmask_b32_e32 v6, v6, v12, vcc
	v_cndmask_b32_e32 v10, v10, v11, vcc
	v_lshlrev_b32_e32 v11, 24, v3
	v_mov_b32_e32 v12, 0x3b800000
	v_lshlrev_b32_e32 v6, 20, v6
	v_and_b32_e32 v11, 0x80000000, v11
	v_lshl_add_u32 v10, v10, 23, v12
	v_or3_b32 v6, v11, v10, v6
.LBB46_1192:
	s_or_b64 exec, exec, s[6:7]
	s_nop 0
	v_mfma_f32_16x16x4f32 a[0:3], v2, v6, a[0:3]
	v_lshrrev_b32_e32 v6, 8, v7
	s_movk_i32 s4, 0x7f
	v_cmp_gt_i16_sdwa s[6:7], v6, s4 src0_sel:BYTE_0 src1_sel:DWORD
	s_mov_b64 s[4:5], 0
                                        ; implicit-def: $sgpr10
	s_and_saveexec_b64 s[8:9], s[6:7]
	s_xor_b64 s[6:7], exec, s[8:9]
	s_cbranch_execnz .LBB46_3241
; %bb.1193:
	s_or_saveexec_b64 s[6:7], s[6:7]
	v_mov_b32_e32 v2, s10
	s_xor_b64 exec, exec, s[6:7]
	s_cbranch_execnz .LBB46_3244
.LBB46_1194:
	s_or_b64 exec, exec, s[6:7]
	s_and_saveexec_b64 s[6:7], s[4:5]
	s_cbranch_execz .LBB46_1196
.LBB46_1195:
	v_bfe_u32 v2, v7, 8, 3
	v_ffbh_u32_e32 v11, v2
	v_min_u32_e32 v11, 32, v11
	v_lshrrev_b16_e32 v10, 3, v6
	v_subrev_u32_e32 v12, 28, v11
	v_and_b32_e32 v10, 15, v10
	v_lshlrev_b32_e32 v6, v12, v6
	v_sub_u32_e32 v11, 29, v11
	v_and_b32_e32 v6, 7, v6
	v_cmp_eq_u16_e32 vcc, 0, v10
	v_cndmask_b32_e32 v2, v2, v6, vcc
	v_cndmask_b32_e32 v6, v10, v11, vcc
	v_lshlrev_b32_e32 v10, 16, v7
	v_mov_b32_e32 v11, 0x3b800000
	v_lshlrev_b32_e32 v2, 20, v2
	v_and_b32_e32 v10, 0x80000000, v10
	v_lshl_add_u32 v6, v6, 23, v11
	v_or3_b32 v2, v10, v6, v2
.LBB46_1196:
	s_or_b64 exec, exec, s[6:7]
	v_lshrrev_b32_e32 v6, 8, v3
	s_movk_i32 s4, 0x7f
	v_cmp_gt_i16_sdwa s[6:7], v6, s4 src0_sel:BYTE_0 src1_sel:DWORD
	s_mov_b64 s[4:5], 0
                                        ; implicit-def: $sgpr10
	s_and_saveexec_b64 s[8:9], s[6:7]
	s_xor_b64 s[6:7], exec, s[8:9]
	s_cbranch_execnz .LBB46_3245
; %bb.1197:
	s_or_saveexec_b64 s[6:7], s[6:7]
	v_mov_b32_e32 v10, s10
	s_xor_b64 exec, exec, s[6:7]
	s_cbranch_execnz .LBB46_3248
.LBB46_1198:
	s_or_b64 exec, exec, s[6:7]
	s_and_saveexec_b64 s[6:7], s[4:5]
	s_cbranch_execz .LBB46_1200
.LBB46_1199:
	v_bfe_u32 v10, v3, 8, 3
	v_ffbh_u32_e32 v12, v10
	v_min_u32_e32 v12, 32, v12
	v_lshrrev_b16_e32 v11, 3, v6
	v_subrev_u32_e32 v13, 28, v12
	v_and_b32_e32 v11, 15, v11
	v_lshlrev_b32_e32 v6, v13, v6
	v_sub_u32_e32 v12, 29, v12
	v_and_b32_e32 v6, 7, v6
	v_cmp_eq_u16_e32 vcc, 0, v11
	v_cndmask_b32_e32 v6, v10, v6, vcc
	v_cndmask_b32_e32 v10, v11, v12, vcc
	v_lshlrev_b32_e32 v11, 16, v3
	v_mov_b32_e32 v12, 0x3b800000
	v_lshlrev_b32_e32 v6, 20, v6
	v_and_b32_e32 v11, 0x80000000, v11
	v_lshl_add_u32 v10, v10, 23, v12
	v_or3_b32 v10, v11, v10, v6
.LBB46_1200:
	s_or_b64 exec, exec, s[6:7]
	s_nop 0
	v_mfma_f32_16x16x4f32 a[0:3], v2, v10, a[0:3]
	s_movk_i32 s4, 0xff
	v_and_b32_sdwa v6, v7, s4 dst_sel:DWORD dst_unused:UNUSED_PAD src0_sel:WORD_1 src1_sel:DWORD
	s_movk_i32 s4, 0x7f
	v_cmp_lt_i16_e32 vcc, s4, v6
	s_mov_b64 s[4:5], 0
                                        ; implicit-def: $sgpr10
	s_and_saveexec_b64 s[6:7], vcc
	s_xor_b64 s[6:7], exec, s[6:7]
	s_cbranch_execnz .LBB46_3249
; %bb.1201:
	s_or_saveexec_b64 s[6:7], s[6:7]
	v_mov_b32_e32 v2, s10
	s_xor_b64 exec, exec, s[6:7]
	s_cbranch_execnz .LBB46_3252
.LBB46_1202:
	s_or_b64 exec, exec, s[6:7]
	s_and_saveexec_b64 s[6:7], s[4:5]
	s_cbranch_execz .LBB46_1204
.LBB46_1203:
	v_bfe_u32 v2, v7, 16, 3
	v_ffbh_u32_e32 v11, v2
	v_min_u32_e32 v11, 32, v11
	v_lshrrev_b32_e32 v6, 19, v7
	v_subrev_u32_e32 v12, 28, v11
	v_and_b32_e32 v6, 15, v6
	v_lshlrev_b32_sdwa v12, v12, v7 dst_sel:DWORD dst_unused:UNUSED_PAD src0_sel:DWORD src1_sel:WORD_1
	v_bfe_u32 v10, v7, 19, 4
	v_sub_u32_e32 v11, 29, v11
	v_and_b32_e32 v12, 7, v12
	v_cmp_eq_u16_e32 vcc, 0, v6
	v_cndmask_b32_e32 v2, v2, v12, vcc
	v_cndmask_b32_e32 v6, v10, v11, vcc
	v_lshlrev_b32_e32 v10, 8, v7
	v_mov_b32_e32 v11, 0x3b800000
	v_lshlrev_b32_e32 v2, 20, v2
	v_and_b32_e32 v10, 0x80000000, v10
	v_lshl_add_u32 v6, v6, 23, v11
	v_or3_b32 v2, v10, v6, v2
.LBB46_1204:
	s_or_b64 exec, exec, s[6:7]
	s_movk_i32 s4, 0xff
	v_and_b32_sdwa v6, v3, s4 dst_sel:DWORD dst_unused:UNUSED_PAD src0_sel:WORD_1 src1_sel:DWORD
	s_movk_i32 s4, 0x7f
	v_cmp_lt_i16_e32 vcc, s4, v6
	s_mov_b64 s[4:5], 0
                                        ; implicit-def: $sgpr10
	s_and_saveexec_b64 s[6:7], vcc
	s_xor_b64 s[6:7], exec, s[6:7]
	s_cbranch_execnz .LBB46_3253
; %bb.1205:
	s_or_saveexec_b64 s[6:7], s[6:7]
	v_mov_b32_e32 v10, s10
	s_xor_b64 exec, exec, s[6:7]
	s_cbranch_execnz .LBB46_3256
.LBB46_1206:
	s_or_b64 exec, exec, s[6:7]
	s_and_saveexec_b64 s[6:7], s[4:5]
	s_cbranch_execz .LBB46_1208
.LBB46_1207:
	v_bfe_u32 v6, v3, 16, 3
	v_ffbh_u32_e32 v12, v6
	v_min_u32_e32 v12, 32, v12
	v_lshrrev_b32_e32 v10, 19, v3
	v_subrev_u32_e32 v13, 28, v12
	v_and_b32_e32 v10, 15, v10
	v_lshlrev_b32_sdwa v13, v13, v3 dst_sel:DWORD dst_unused:UNUSED_PAD src0_sel:DWORD src1_sel:WORD_1
	v_bfe_u32 v11, v3, 19, 4
	v_sub_u32_e32 v12, 29, v12
	v_and_b32_e32 v13, 7, v13
	v_cmp_eq_u16_e32 vcc, 0, v10
	v_cndmask_b32_e32 v6, v6, v13, vcc
	v_cndmask_b32_e32 v10, v11, v12, vcc
	v_lshlrev_b32_e32 v11, 8, v3
	v_mov_b32_e32 v12, 0x3b800000
	v_lshlrev_b32_e32 v6, 20, v6
	v_and_b32_e32 v11, 0x80000000, v11
	v_lshl_add_u32 v10, v10, 23, v12
	v_or3_b32 v10, v11, v10, v6
.LBB46_1208:
	s_or_b64 exec, exec, s[6:7]
	s_nop 0
	v_mfma_f32_16x16x4f32 a[0:3], v2, v10, a[0:3]
	s_movk_i32 s4, 0x7f
	v_cmp_gt_i16_sdwa s[6:7], v7, s4 src0_sel:BYTE_3 src1_sel:DWORD
	s_mov_b64 s[4:5], 0
                                        ; implicit-def: $sgpr10
	s_and_saveexec_b64 s[8:9], s[6:7]
	s_xor_b64 s[6:7], exec, s[8:9]
	s_cbranch_execnz .LBB46_3257
; %bb.1209:
	s_or_saveexec_b64 s[6:7], s[6:7]
	v_mov_b32_e32 v2, s10
	s_xor_b64 exec, exec, s[6:7]
	s_cbranch_execnz .LBB46_3260
.LBB46_1210:
	s_or_b64 exec, exec, s[6:7]
	s_and_saveexec_b64 s[6:7], s[4:5]
	s_cbranch_execz .LBB46_1212
.LBB46_1211:
	v_bfe_u32 v2, v7, 24, 3
	v_ffbh_u32_e32 v12, v2
	v_min_u32_e32 v12, 32, v12
	v_lshrrev_b32_e32 v10, 27, v7
	v_subrev_u32_e32 v13, 28, v12
	v_and_b32_e32 v6, 0x80000000, v7
	v_and_b32_e32 v10, 15, v10
	v_bfe_u32 v11, v7, 27, 4
	v_lshlrev_b32_sdwa v7, v13, v7 dst_sel:DWORD dst_unused:UNUSED_PAD src0_sel:DWORD src1_sel:BYTE_3
	v_sub_u32_e32 v12, 29, v12
	v_and_b32_e32 v7, 7, v7
	v_cmp_eq_u16_e32 vcc, 0, v10
	v_cndmask_b32_e32 v2, v2, v7, vcc
	v_cndmask_b32_e32 v7, v11, v12, vcc
	v_mov_b32_e32 v10, 0x3b800000
	v_lshlrev_b32_e32 v2, 20, v2
	v_lshl_add_u32 v7, v7, 23, v10
	v_or3_b32 v2, v6, v7, v2
.LBB46_1212:
	s_or_b64 exec, exec, s[6:7]
	s_movk_i32 s4, 0x7f
	v_cmp_gt_i16_sdwa s[6:7], v3, s4 src0_sel:BYTE_3 src1_sel:DWORD
	s_mov_b64 s[4:5], 0
                                        ; implicit-def: $sgpr10
	s_and_saveexec_b64 s[8:9], s[6:7]
	s_xor_b64 s[6:7], exec, s[8:9]
	s_cbranch_execnz .LBB46_3261
; %bb.1213:
	s_or_saveexec_b64 s[6:7], s[6:7]
	v_mov_b32_e32 v6, s10
	s_xor_b64 exec, exec, s[6:7]
	s_cbranch_execnz .LBB46_3264
.LBB46_1214:
	s_or_b64 exec, exec, s[6:7]
	s_and_saveexec_b64 s[6:7], s[4:5]
	s_cbranch_execz .LBB46_1216
.LBB46_1215:
	v_bfe_u32 v6, v3, 24, 3
	v_ffbh_u32_e32 v12, v6
	v_min_u32_e32 v12, 32, v12
	v_lshrrev_b32_e32 v10, 27, v3
	v_subrev_u32_e32 v13, 28, v12
	v_and_b32_e32 v7, 0x80000000, v3
	v_and_b32_e32 v10, 15, v10
	v_bfe_u32 v11, v3, 27, 4
	v_lshlrev_b32_sdwa v3, v13, v3 dst_sel:DWORD dst_unused:UNUSED_PAD src0_sel:DWORD src1_sel:BYTE_3
	v_sub_u32_e32 v12, 29, v12
	v_and_b32_e32 v3, 7, v3
	v_cmp_eq_u16_e32 vcc, 0, v10
	v_cndmask_b32_e32 v3, v6, v3, vcc
	v_cndmask_b32_e32 v6, v11, v12, vcc
	v_mov_b32_e32 v10, 0x3b800000
	v_lshlrev_b32_e32 v3, 20, v3
	v_lshl_add_u32 v6, v6, 23, v10
	v_or3_b32 v6, v7, v6, v3
.LBB46_1216:
	s_or_b64 exec, exec, s[6:7]
	s_nop 0
	v_mfma_f32_16x16x4f32 a[0:3], v2, v6, a[0:3]
	s_movk_i32 s4, 0x7f
	v_cmp_gt_i16_sdwa s[6:7], v8, s4 src0_sel:BYTE_0 src1_sel:DWORD
	s_mov_b64 s[4:5], 0
                                        ; implicit-def: $sgpr10
	s_and_saveexec_b64 s[8:9], s[6:7]
	s_xor_b64 s[6:7], exec, s[8:9]
	s_cbranch_execnz .LBB46_3265
; %bb.1217:
	s_or_saveexec_b64 s[6:7], s[6:7]
	v_mov_b32_e32 v2, s10
	s_xor_b64 exec, exec, s[6:7]
	s_cbranch_execnz .LBB46_3268
.LBB46_1218:
	s_or_b64 exec, exec, s[6:7]
	s_and_saveexec_b64 s[6:7], s[4:5]
	s_cbranch_execz .LBB46_1220
.LBB46_1219:
	v_and_b32_e32 v2, 7, v8
	v_ffbh_u32_e32 v6, v2
	v_min_u32_e32 v6, 32, v6
	v_lshrrev_b16_e32 v3, 3, v8
	v_subrev_u32_e32 v7, 28, v6
	v_and_b32_e32 v3, 15, v3
	v_lshlrev_b32_e32 v7, v7, v8
	v_sub_u32_e32 v6, 29, v6
	v_and_b32_e32 v7, 7, v7
	v_cmp_eq_u16_e32 vcc, 0, v3
	v_cndmask_b32_e32 v2, v2, v7, vcc
	v_cndmask_b32_e32 v3, v3, v6, vcc
	v_lshlrev_b32_e32 v6, 24, v8
	v_mov_b32_e32 v7, 0x3b800000
	v_lshlrev_b32_e32 v2, 20, v2
	v_and_b32_e32 v6, 0x80000000, v6
	v_lshl_add_u32 v3, v3, 23, v7
	v_or3_b32 v2, v6, v3, v2
.LBB46_1220:
	s_or_b64 exec, exec, s[6:7]
	s_movk_i32 s4, 0x7f
	v_cmp_gt_i16_sdwa s[6:7], v4, s4 src0_sel:BYTE_0 src1_sel:DWORD
	s_mov_b64 s[4:5], 0
                                        ; implicit-def: $sgpr10
	s_and_saveexec_b64 s[8:9], s[6:7]
	s_xor_b64 s[6:7], exec, s[8:9]
	s_cbranch_execnz .LBB46_3269
; %bb.1221:
	s_or_saveexec_b64 s[6:7], s[6:7]
	v_mov_b32_e32 v3, s10
	s_xor_b64 exec, exec, s[6:7]
	s_cbranch_execnz .LBB46_3272
.LBB46_1222:
	s_or_b64 exec, exec, s[6:7]
	s_and_saveexec_b64 s[6:7], s[4:5]
	s_cbranch_execz .LBB46_1224
.LBB46_1223:
	v_and_b32_e32 v3, 7, v4
	v_ffbh_u32_e32 v7, v3
	v_min_u32_e32 v7, 32, v7
	v_lshrrev_b16_e32 v6, 3, v4
	v_subrev_u32_e32 v10, 28, v7
	v_and_b32_e32 v6, 15, v6
	v_lshlrev_b32_e32 v10, v10, v4
	v_sub_u32_e32 v7, 29, v7
	v_and_b32_e32 v10, 7, v10
	v_cmp_eq_u16_e32 vcc, 0, v6
	v_cndmask_b32_e32 v3, v3, v10, vcc
	v_cndmask_b32_e32 v6, v6, v7, vcc
	v_lshlrev_b32_e32 v7, 24, v4
	v_mov_b32_e32 v10, 0x3b800000
	v_lshlrev_b32_e32 v3, 20, v3
	v_and_b32_e32 v7, 0x80000000, v7
	v_lshl_add_u32 v6, v6, 23, v10
	v_or3_b32 v3, v7, v6, v3
.LBB46_1224:
	s_or_b64 exec, exec, s[6:7]
	s_nop 0
	v_mfma_f32_16x16x4f32 a[0:3], v2, v3, a[0:3]
	v_lshrrev_b32_e32 v3, 8, v8
	s_movk_i32 s4, 0x7f
	v_cmp_gt_i16_sdwa s[6:7], v3, s4 src0_sel:BYTE_0 src1_sel:DWORD
	s_mov_b64 s[4:5], 0
                                        ; implicit-def: $sgpr10
	s_and_saveexec_b64 s[8:9], s[6:7]
	s_xor_b64 s[6:7], exec, s[8:9]
	s_cbranch_execnz .LBB46_3273
; %bb.1225:
	s_or_saveexec_b64 s[6:7], s[6:7]
	v_mov_b32_e32 v2, s10
	s_xor_b64 exec, exec, s[6:7]
	s_cbranch_execnz .LBB46_3276
.LBB46_1226:
	s_or_b64 exec, exec, s[6:7]
	s_and_saveexec_b64 s[6:7], s[4:5]
	s_cbranch_execz .LBB46_1228
.LBB46_1227:
	v_bfe_u32 v2, v8, 8, 3
	v_ffbh_u32_e32 v7, v2
	v_min_u32_e32 v7, 32, v7
	v_lshrrev_b16_e32 v6, 3, v3
	v_subrev_u32_e32 v10, 28, v7
	v_and_b32_e32 v6, 15, v6
	v_lshlrev_b32_e32 v3, v10, v3
	v_sub_u32_e32 v7, 29, v7
	v_and_b32_e32 v3, 7, v3
	v_cmp_eq_u16_e32 vcc, 0, v6
	v_cndmask_b32_e32 v2, v2, v3, vcc
	v_cndmask_b32_e32 v3, v6, v7, vcc
	v_lshlrev_b32_e32 v6, 16, v8
	v_mov_b32_e32 v7, 0x3b800000
	v_lshlrev_b32_e32 v2, 20, v2
	v_and_b32_e32 v6, 0x80000000, v6
	v_lshl_add_u32 v3, v3, 23, v7
	v_or3_b32 v2, v6, v3, v2
.LBB46_1228:
	s_or_b64 exec, exec, s[6:7]
	v_lshrrev_b32_e32 v3, 8, v4
	s_movk_i32 s4, 0x7f
	v_cmp_gt_i16_sdwa s[6:7], v3, s4 src0_sel:BYTE_0 src1_sel:DWORD
	s_mov_b64 s[4:5], 0
                                        ; implicit-def: $sgpr10
	s_and_saveexec_b64 s[8:9], s[6:7]
	s_xor_b64 s[6:7], exec, s[8:9]
	s_cbranch_execnz .LBB46_3277
; %bb.1229:
	s_or_saveexec_b64 s[6:7], s[6:7]
	v_mov_b32_e32 v6, s10
	s_xor_b64 exec, exec, s[6:7]
	s_cbranch_execnz .LBB46_3280
.LBB46_1230:
	s_or_b64 exec, exec, s[6:7]
	s_and_saveexec_b64 s[6:7], s[4:5]
	s_cbranch_execz .LBB46_1232
.LBB46_1231:
	v_bfe_u32 v6, v4, 8, 3
	v_ffbh_u32_e32 v10, v6
	v_min_u32_e32 v10, 32, v10
	v_lshrrev_b16_e32 v7, 3, v3
	v_subrev_u32_e32 v11, 28, v10
	v_and_b32_e32 v7, 15, v7
	v_lshlrev_b32_e32 v3, v11, v3
	v_sub_u32_e32 v10, 29, v10
	v_and_b32_e32 v3, 7, v3
	v_cmp_eq_u16_e32 vcc, 0, v7
	v_cndmask_b32_e32 v3, v6, v3, vcc
	v_cndmask_b32_e32 v6, v7, v10, vcc
	v_lshlrev_b32_e32 v7, 16, v4
	v_mov_b32_e32 v10, 0x3b800000
	v_lshlrev_b32_e32 v3, 20, v3
	v_and_b32_e32 v7, 0x80000000, v7
	v_lshl_add_u32 v6, v6, 23, v10
	v_or3_b32 v6, v7, v6, v3
.LBB46_1232:
	s_or_b64 exec, exec, s[6:7]
	s_nop 0
	v_mfma_f32_16x16x4f32 a[0:3], v2, v6, a[0:3]
	s_movk_i32 s4, 0xff
	v_and_b32_sdwa v3, v8, s4 dst_sel:DWORD dst_unused:UNUSED_PAD src0_sel:WORD_1 src1_sel:DWORD
	s_movk_i32 s4, 0x7f
	v_cmp_lt_i16_e32 vcc, s4, v3
	s_mov_b64 s[4:5], 0
                                        ; implicit-def: $sgpr10
	s_and_saveexec_b64 s[6:7], vcc
	s_xor_b64 s[6:7], exec, s[6:7]
	s_cbranch_execnz .LBB46_3281
; %bb.1233:
	s_or_saveexec_b64 s[6:7], s[6:7]
	v_mov_b32_e32 v2, s10
	s_xor_b64 exec, exec, s[6:7]
	s_cbranch_execnz .LBB46_3284
.LBB46_1234:
	s_or_b64 exec, exec, s[6:7]
	s_and_saveexec_b64 s[6:7], s[4:5]
	s_cbranch_execz .LBB46_1236
.LBB46_1235:
	v_bfe_u32 v2, v8, 16, 3
	v_ffbh_u32_e32 v7, v2
	v_min_u32_e32 v7, 32, v7
	v_lshrrev_b32_e32 v3, 19, v8
	v_subrev_u32_e32 v10, 28, v7
	v_and_b32_e32 v3, 15, v3
	v_lshlrev_b32_sdwa v10, v10, v8 dst_sel:DWORD dst_unused:UNUSED_PAD src0_sel:DWORD src1_sel:WORD_1
	v_bfe_u32 v6, v8, 19, 4
	v_sub_u32_e32 v7, 29, v7
	v_and_b32_e32 v10, 7, v10
	v_cmp_eq_u16_e32 vcc, 0, v3
	v_cndmask_b32_e32 v2, v2, v10, vcc
	v_cndmask_b32_e32 v3, v6, v7, vcc
	v_lshlrev_b32_e32 v6, 8, v8
	v_mov_b32_e32 v7, 0x3b800000
	v_lshlrev_b32_e32 v2, 20, v2
	v_and_b32_e32 v6, 0x80000000, v6
	v_lshl_add_u32 v3, v3, 23, v7
	v_or3_b32 v2, v6, v3, v2
.LBB46_1236:
	s_or_b64 exec, exec, s[6:7]
	s_movk_i32 s4, 0xff
	v_and_b32_sdwa v3, v4, s4 dst_sel:DWORD dst_unused:UNUSED_PAD src0_sel:WORD_1 src1_sel:DWORD
	s_movk_i32 s4, 0x7f
	v_cmp_lt_i16_e32 vcc, s4, v3
	s_mov_b64 s[4:5], 0
                                        ; implicit-def: $sgpr10
	s_and_saveexec_b64 s[6:7], vcc
	s_xor_b64 s[6:7], exec, s[6:7]
	s_cbranch_execnz .LBB46_3285
; %bb.1237:
	s_or_saveexec_b64 s[6:7], s[6:7]
	v_mov_b32_e32 v6, s10
	s_xor_b64 exec, exec, s[6:7]
	s_cbranch_execnz .LBB46_3288
.LBB46_1238:
	s_or_b64 exec, exec, s[6:7]
	s_and_saveexec_b64 s[6:7], s[4:5]
	s_cbranch_execz .LBB46_1240
.LBB46_1239:
	v_bfe_u32 v3, v4, 16, 3
	v_ffbh_u32_e32 v10, v3
	v_min_u32_e32 v10, 32, v10
	v_lshrrev_b32_e32 v6, 19, v4
	v_subrev_u32_e32 v11, 28, v10
	v_and_b32_e32 v6, 15, v6
	v_lshlrev_b32_sdwa v11, v11, v4 dst_sel:DWORD dst_unused:UNUSED_PAD src0_sel:DWORD src1_sel:WORD_1
	v_bfe_u32 v7, v4, 19, 4
	v_sub_u32_e32 v10, 29, v10
	v_and_b32_e32 v11, 7, v11
	v_cmp_eq_u16_e32 vcc, 0, v6
	v_cndmask_b32_e32 v3, v3, v11, vcc
	v_cndmask_b32_e32 v6, v7, v10, vcc
	v_lshlrev_b32_e32 v7, 8, v4
	v_mov_b32_e32 v10, 0x3b800000
	v_lshlrev_b32_e32 v3, 20, v3
	v_and_b32_e32 v7, 0x80000000, v7
	v_lshl_add_u32 v6, v6, 23, v10
	v_or3_b32 v6, v7, v6, v3
.LBB46_1240:
	s_or_b64 exec, exec, s[6:7]
	s_nop 0
	v_mfma_f32_16x16x4f32 a[0:3], v2, v6, a[0:3]
	s_movk_i32 s4, 0x7f
	v_cmp_gt_i16_sdwa s[6:7], v8, s4 src0_sel:BYTE_3 src1_sel:DWORD
	s_mov_b64 s[4:5], 0
                                        ; implicit-def: $sgpr10
	s_and_saveexec_b64 s[8:9], s[6:7]
	s_xor_b64 s[6:7], exec, s[8:9]
	s_cbranch_execnz .LBB46_3289
; %bb.1241:
	s_or_saveexec_b64 s[6:7], s[6:7]
	v_mov_b32_e32 v2, s10
	s_xor_b64 exec, exec, s[6:7]
	s_cbranch_execnz .LBB46_3292
.LBB46_1242:
	s_or_b64 exec, exec, s[6:7]
	s_and_saveexec_b64 s[6:7], s[4:5]
	s_cbranch_execz .LBB46_1244
.LBB46_1243:
	v_bfe_u32 v2, v8, 24, 3
	v_ffbh_u32_e32 v10, v2
	v_min_u32_e32 v10, 32, v10
	v_lshrrev_b32_e32 v6, 27, v8
	v_subrev_u32_e32 v11, 28, v10
	v_and_b32_e32 v3, 0x80000000, v8
	v_and_b32_e32 v6, 15, v6
	v_bfe_u32 v7, v8, 27, 4
	v_lshlrev_b32_sdwa v8, v11, v8 dst_sel:DWORD dst_unused:UNUSED_PAD src0_sel:DWORD src1_sel:BYTE_3
	v_sub_u32_e32 v10, 29, v10
	v_and_b32_e32 v8, 7, v8
	v_cmp_eq_u16_e32 vcc, 0, v6
	v_cndmask_b32_e32 v2, v2, v8, vcc
	v_cndmask_b32_e32 v6, v7, v10, vcc
	v_mov_b32_e32 v7, 0x3b800000
	v_lshlrev_b32_e32 v2, 20, v2
	v_lshl_add_u32 v6, v6, 23, v7
	v_or3_b32 v2, v3, v6, v2
.LBB46_1244:
	s_or_b64 exec, exec, s[6:7]
	s_movk_i32 s4, 0x7f
	v_cmp_gt_i16_sdwa s[6:7], v4, s4 src0_sel:BYTE_3 src1_sel:DWORD
	s_mov_b64 s[4:5], 0
                                        ; implicit-def: $sgpr10
	s_and_saveexec_b64 s[8:9], s[6:7]
	s_xor_b64 s[6:7], exec, s[8:9]
	s_cbranch_execnz .LBB46_3293
; %bb.1245:
	s_or_saveexec_b64 s[6:7], s[6:7]
	v_mov_b32_e32 v3, s10
	s_xor_b64 exec, exec, s[6:7]
	s_cbranch_execnz .LBB46_3296
.LBB46_1246:
	s_or_b64 exec, exec, s[6:7]
	s_and_saveexec_b64 s[6:7], s[4:5]
	s_cbranch_execz .LBB46_1248
.LBB46_1247:
	v_bfe_u32 v3, v4, 24, 3
	v_ffbh_u32_e32 v10, v3
	v_min_u32_e32 v10, 32, v10
	v_lshrrev_b32_e32 v7, 27, v4
	v_subrev_u32_e32 v11, 28, v10
	v_and_b32_e32 v6, 0x80000000, v4
	v_and_b32_e32 v7, 15, v7
	v_bfe_u32 v8, v4, 27, 4
	v_lshlrev_b32_sdwa v4, v11, v4 dst_sel:DWORD dst_unused:UNUSED_PAD src0_sel:DWORD src1_sel:BYTE_3
	v_sub_u32_e32 v10, 29, v10
	v_and_b32_e32 v4, 7, v4
	v_cmp_eq_u16_e32 vcc, 0, v7
	v_cndmask_b32_e32 v3, v3, v4, vcc
	v_cndmask_b32_e32 v4, v8, v10, vcc
	v_mov_b32_e32 v7, 0x3b800000
	v_lshlrev_b32_e32 v3, 20, v3
	v_lshl_add_u32 v4, v4, 23, v7
	v_or3_b32 v3, v6, v4, v3
.LBB46_1248:
	s_or_b64 exec, exec, s[6:7]
	s_nop 0
	v_mfma_f32_16x16x4f32 a[0:3], v2, v3, a[0:3]
	s_movk_i32 s4, 0x7f
	v_cmp_gt_i16_sdwa s[6:7], v9, s4 src0_sel:BYTE_0 src1_sel:DWORD
	s_mov_b64 s[4:5], 0
                                        ; implicit-def: $sgpr10
	s_and_saveexec_b64 s[8:9], s[6:7]
	s_xor_b64 s[6:7], exec, s[8:9]
	s_cbranch_execnz .LBB46_3297
; %bb.1249:
	s_or_saveexec_b64 s[6:7], s[6:7]
	v_mov_b32_e32 v2, s10
	s_xor_b64 exec, exec, s[6:7]
	s_cbranch_execnz .LBB46_3300
.LBB46_1250:
	s_or_b64 exec, exec, s[6:7]
	s_and_saveexec_b64 s[6:7], s[4:5]
	s_cbranch_execz .LBB46_1252
.LBB46_1251:
	v_mov_b32_e32 v2, 8
	v_and_b32_e32 v3, 7, v9
	v_lshrrev_b32_sdwa v2, v2, v9 dst_sel:BYTE_1 dst_unused:UNUSED_PAD src0_sel:DWORD src1_sel:DWORD
	v_ffbh_u32_e32 v4, v3
	v_or_b32_sdwa v2, v9, v2 dst_sel:DWORD dst_unused:UNUSED_PAD src0_sel:BYTE_0 src1_sel:DWORD
	v_min_u32_e32 v4, 32, v4
	v_lshrrev_b16_e32 v2, 3, v2
	v_subrev_u32_e32 v6, 28, v4
	v_and_b32_e32 v2, 15, v2
	v_lshlrev_b32_e32 v6, v6, v9
	v_sub_u32_e32 v4, 29, v4
	v_and_b32_e32 v6, 7, v6
	v_cmp_eq_u16_e32 vcc, 0, v2
	v_cndmask_b32_e32 v3, v3, v6, vcc
	v_cndmask_b32_e32 v2, v2, v4, vcc
	v_lshlrev_b32_e32 v4, 24, v9
	v_mov_b32_e32 v6, 0x3b800000
	v_lshlrev_b32_e32 v3, 20, v3
	v_and_b32_e32 v4, 0x80000000, v4
	v_lshl_add_u32 v2, v2, 23, v6
	v_or3_b32 v2, v4, v2, v3
.LBB46_1252:
	s_or_b64 exec, exec, s[6:7]
	s_movk_i32 s4, 0x7f
	v_cmp_gt_i16_sdwa s[6:7], v5, s4 src0_sel:BYTE_0 src1_sel:DWORD
	s_mov_b64 s[4:5], 0
                                        ; implicit-def: $sgpr10
	s_and_saveexec_b64 s[8:9], s[6:7]
	s_xor_b64 s[6:7], exec, s[8:9]
	s_cbranch_execnz .LBB46_3301
; %bb.1253:
	s_or_saveexec_b64 s[6:7], s[6:7]
	v_mov_b32_e32 v3, s10
	s_xor_b64 exec, exec, s[6:7]
	s_cbranch_execnz .LBB46_3304
.LBB46_1254:
	s_or_b64 exec, exec, s[6:7]
	s_and_saveexec_b64 s[6:7], s[4:5]
	s_cbranch_execz .LBB46_1256
.LBB46_1255:
	v_mov_b32_e32 v3, 8
	v_and_b32_e32 v4, 7, v5
	v_lshrrev_b32_sdwa v3, v3, v5 dst_sel:BYTE_1 dst_unused:UNUSED_PAD src0_sel:DWORD src1_sel:DWORD
	v_ffbh_u32_e32 v6, v4
	v_or_b32_sdwa v3, v5, v3 dst_sel:DWORD dst_unused:UNUSED_PAD src0_sel:BYTE_0 src1_sel:DWORD
	v_min_u32_e32 v6, 32, v6
	v_lshrrev_b16_e32 v3, 3, v3
	v_subrev_u32_e32 v7, 28, v6
	v_and_b32_e32 v3, 15, v3
	v_lshlrev_b32_e32 v7, v7, v5
	v_sub_u32_e32 v6, 29, v6
	v_and_b32_e32 v7, 7, v7
	v_cmp_eq_u16_e32 vcc, 0, v3
	v_cndmask_b32_e32 v4, v4, v7, vcc
	v_cndmask_b32_e32 v3, v3, v6, vcc
	v_lshlrev_b32_e32 v6, 24, v5
	v_mov_b32_e32 v7, 0x3b800000
	v_lshlrev_b32_e32 v4, 20, v4
	v_and_b32_e32 v6, 0x80000000, v6
	v_lshl_add_u32 v3, v3, 23, v7
	v_or3_b32 v3, v6, v3, v4
.LBB46_1256:
	s_or_b64 exec, exec, s[6:7]
	s_nop 0
	v_mfma_f32_16x16x4f32 a[0:3], v2, v3, a[0:3]
	v_lshrrev_b32_e32 v3, 8, v9
	s_movk_i32 s4, 0x7f
	v_cmp_gt_i16_sdwa s[6:7], v3, s4 src0_sel:BYTE_0 src1_sel:DWORD
	s_mov_b64 s[4:5], 0
                                        ; implicit-def: $sgpr10
	s_and_saveexec_b64 s[8:9], s[6:7]
	s_xor_b64 s[6:7], exec, s[8:9]
	s_cbranch_execnz .LBB46_3305
; %bb.1257:
	s_or_saveexec_b64 s[6:7], s[6:7]
	v_mov_b32_e32 v2, s10
	s_xor_b64 exec, exec, s[6:7]
	s_cbranch_execnz .LBB46_3308
.LBB46_1258:
	s_or_b64 exec, exec, s[6:7]
	s_and_saveexec_b64 s[6:7], s[4:5]
	s_cbranch_execz .LBB46_1260
.LBB46_1259:
	v_bfe_u32 v2, v9, 8, 3
	v_ffbh_u32_e32 v6, v2
	v_min_u32_e32 v6, 32, v6
	v_lshrrev_b16_e32 v4, 3, v3
	v_subrev_u32_e32 v7, 28, v6
	v_and_b32_e32 v4, 15, v4
	v_lshlrev_b32_e32 v3, v7, v3
	v_sub_u32_e32 v6, 29, v6
	v_and_b32_e32 v3, 7, v3
	v_cmp_eq_u16_e32 vcc, 0, v4
	v_cndmask_b32_e32 v2, v2, v3, vcc
	v_cndmask_b32_e32 v3, v4, v6, vcc
	v_lshlrev_b32_e32 v4, 16, v9
	v_mov_b32_e32 v6, 0x3b800000
	v_lshlrev_b32_e32 v2, 20, v2
	v_and_b32_e32 v4, 0x80000000, v4
	v_lshl_add_u32 v3, v3, 23, v6
	v_or3_b32 v2, v4, v3, v2
.LBB46_1260:
	s_or_b64 exec, exec, s[6:7]
	v_lshrrev_b32_e32 v3, 8, v5
	s_movk_i32 s4, 0x7f
	v_cmp_gt_i16_sdwa s[6:7], v3, s4 src0_sel:BYTE_0 src1_sel:DWORD
	s_mov_b64 s[4:5], 0
                                        ; implicit-def: $sgpr10
	s_and_saveexec_b64 s[8:9], s[6:7]
	s_xor_b64 s[6:7], exec, s[8:9]
	s_cbranch_execnz .LBB46_3309
; %bb.1261:
	s_or_saveexec_b64 s[6:7], s[6:7]
	v_mov_b32_e32 v4, s10
	s_xor_b64 exec, exec, s[6:7]
	s_cbranch_execnz .LBB46_3312
.LBB46_1262:
	s_or_b64 exec, exec, s[6:7]
	s_and_saveexec_b64 s[6:7], s[4:5]
	s_cbranch_execz .LBB46_1264
.LBB46_1263:
	v_bfe_u32 v4, v5, 8, 3
	v_ffbh_u32_e32 v7, v4
	v_min_u32_e32 v7, 32, v7
	v_lshrrev_b16_e32 v6, 3, v3
	v_subrev_u32_e32 v8, 28, v7
	v_and_b32_e32 v6, 15, v6
	v_lshlrev_b32_e32 v3, v8, v3
	v_sub_u32_e32 v7, 29, v7
	v_and_b32_e32 v3, 7, v3
	v_cmp_eq_u16_e32 vcc, 0, v6
	v_cndmask_b32_e32 v3, v4, v3, vcc
	v_cndmask_b32_e32 v4, v6, v7, vcc
	v_lshlrev_b32_e32 v6, 16, v5
	v_mov_b32_e32 v7, 0x3b800000
	v_lshlrev_b32_e32 v3, 20, v3
	v_and_b32_e32 v6, 0x80000000, v6
	v_lshl_add_u32 v4, v4, 23, v7
	v_or3_b32 v4, v6, v4, v3
.LBB46_1264:
	s_or_b64 exec, exec, s[6:7]
	s_nop 0
	v_mfma_f32_16x16x4f32 a[0:3], v2, v4, a[0:3]
	s_movk_i32 s4, 0xff
	v_and_b32_sdwa v3, v9, s4 dst_sel:DWORD dst_unused:UNUSED_PAD src0_sel:WORD_1 src1_sel:DWORD
	s_movk_i32 s4, 0x7f
	v_cmp_lt_i16_e32 vcc, s4, v3
	s_mov_b64 s[4:5], 0
                                        ; implicit-def: $sgpr10
	s_and_saveexec_b64 s[6:7], vcc
	s_xor_b64 s[6:7], exec, s[6:7]
	s_cbranch_execnz .LBB46_3313
; %bb.1265:
	s_or_saveexec_b64 s[6:7], s[6:7]
	v_mov_b32_e32 v2, s10
	s_xor_b64 exec, exec, s[6:7]
	s_cbranch_execnz .LBB46_3316
.LBB46_1266:
	s_or_b64 exec, exec, s[6:7]
	s_and_saveexec_b64 s[6:7], s[4:5]
	s_cbranch_execz .LBB46_1268
.LBB46_1267:
	v_bfe_u32 v2, v9, 16, 3
	v_ffbh_u32_e32 v6, v2
	v_min_u32_e32 v6, 32, v6
	v_lshrrev_b32_e32 v3, 19, v9
	v_subrev_u32_e32 v7, 28, v6
	v_and_b32_e32 v3, 15, v3
	v_lshlrev_b32_sdwa v7, v7, v9 dst_sel:DWORD dst_unused:UNUSED_PAD src0_sel:DWORD src1_sel:WORD_1
	v_bfe_u32 v4, v9, 19, 4
	v_sub_u32_e32 v6, 29, v6
	v_and_b32_e32 v7, 7, v7
	v_cmp_eq_u16_e32 vcc, 0, v3
	v_cndmask_b32_e32 v2, v2, v7, vcc
	v_cndmask_b32_e32 v3, v4, v6, vcc
	v_lshlrev_b32_e32 v4, 8, v9
	v_mov_b32_e32 v6, 0x3b800000
	v_lshlrev_b32_e32 v2, 20, v2
	v_and_b32_e32 v4, 0x80000000, v4
	v_lshl_add_u32 v3, v3, 23, v6
	v_or3_b32 v2, v4, v3, v2
.LBB46_1268:
	s_or_b64 exec, exec, s[6:7]
	s_movk_i32 s4, 0xff
	v_and_b32_sdwa v3, v5, s4 dst_sel:DWORD dst_unused:UNUSED_PAD src0_sel:WORD_1 src1_sel:DWORD
	s_movk_i32 s4, 0x7f
	v_cmp_lt_i16_e32 vcc, s4, v3
	s_mov_b64 s[4:5], 0
                                        ; implicit-def: $sgpr10
	s_and_saveexec_b64 s[6:7], vcc
	s_xor_b64 s[6:7], exec, s[6:7]
	s_cbranch_execnz .LBB46_3317
; %bb.1269:
	s_or_saveexec_b64 s[6:7], s[6:7]
	v_mov_b32_e32 v4, s10
	s_xor_b64 exec, exec, s[6:7]
	s_cbranch_execnz .LBB46_3320
.LBB46_1270:
	s_or_b64 exec, exec, s[6:7]
	s_and_saveexec_b64 s[6:7], s[4:5]
	s_cbranch_execz .LBB46_1272
.LBB46_1271:
	v_bfe_u32 v3, v5, 16, 3
	v_ffbh_u32_e32 v7, v3
	v_min_u32_e32 v7, 32, v7
	v_lshrrev_b32_e32 v4, 19, v5
	v_subrev_u32_e32 v8, 28, v7
	v_and_b32_e32 v4, 15, v4
	v_lshlrev_b32_sdwa v8, v8, v5 dst_sel:DWORD dst_unused:UNUSED_PAD src0_sel:DWORD src1_sel:WORD_1
	v_bfe_u32 v6, v5, 19, 4
	v_sub_u32_e32 v7, 29, v7
	v_and_b32_e32 v8, 7, v8
	v_cmp_eq_u16_e32 vcc, 0, v4
	v_cndmask_b32_e32 v3, v3, v8, vcc
	v_cndmask_b32_e32 v4, v6, v7, vcc
	v_lshlrev_b32_e32 v6, 8, v5
	v_mov_b32_e32 v7, 0x3b800000
	v_lshlrev_b32_e32 v3, 20, v3
	v_and_b32_e32 v6, 0x80000000, v6
	v_lshl_add_u32 v4, v4, 23, v7
	v_or3_b32 v4, v6, v4, v3
.LBB46_1272:
	s_or_b64 exec, exec, s[6:7]
	s_nop 0
	v_mfma_f32_16x16x4f32 a[0:3], v2, v4, a[0:3]
	s_movk_i32 s4, 0x7f
	v_cmp_gt_i16_sdwa s[6:7], v9, s4 src0_sel:BYTE_3 src1_sel:DWORD
	s_mov_b64 s[4:5], 0
                                        ; implicit-def: $sgpr10
	s_and_saveexec_b64 s[8:9], s[6:7]
	s_xor_b64 s[6:7], exec, s[8:9]
	s_cbranch_execnz .LBB46_3321
; %bb.1273:
	s_or_saveexec_b64 s[6:7], s[6:7]
	v_mov_b32_e32 v2, s10
	s_xor_b64 exec, exec, s[6:7]
	s_cbranch_execnz .LBB46_3324
.LBB46_1274:
	s_or_b64 exec, exec, s[6:7]
	s_and_saveexec_b64 s[6:7], s[4:5]
	s_cbranch_execz .LBB46_1276
.LBB46_1275:
	v_bfe_u32 v2, v9, 24, 3
	v_ffbh_u32_e32 v7, v2
	v_min_u32_e32 v7, 32, v7
	v_lshrrev_b32_e32 v4, 27, v9
	v_subrev_u32_e32 v8, 28, v7
	v_and_b32_e32 v4, 15, v4
	v_lshlrev_b32_sdwa v8, v8, v9 dst_sel:DWORD dst_unused:UNUSED_PAD src0_sel:DWORD src1_sel:BYTE_3
	v_bfe_u32 v6, v9, 27, 4
	v_sub_u32_e32 v7, 29, v7
	v_and_b32_e32 v8, 7, v8
	v_cmp_eq_u16_e32 vcc, 0, v4
	v_cndmask_b32_e32 v2, v2, v8, vcc
	v_cndmask_b32_e32 v4, v6, v7, vcc
	v_mov_b32_e32 v6, 0x3b800000
	v_and_b32_e32 v3, 0x80000000, v9
	v_lshlrev_b32_e32 v2, 20, v2
	v_lshl_add_u32 v4, v4, 23, v6
	v_or3_b32 v2, v3, v4, v2
.LBB46_1276:
	s_or_b64 exec, exec, s[6:7]
	s_movk_i32 s4, 0x7f
	v_cmp_gt_i16_sdwa s[6:7], v5, s4 src0_sel:BYTE_3 src1_sel:DWORD
	s_mov_b64 s[4:5], 0
                                        ; implicit-def: $sgpr10
	s_and_saveexec_b64 s[8:9], s[6:7]
	s_xor_b64 s[6:7], exec, s[8:9]
	s_cbranch_execnz .LBB46_3325
; %bb.1277:
	s_or_saveexec_b64 s[6:7], s[6:7]
	v_mov_b32_e32 v3, s10
	s_xor_b64 exec, exec, s[6:7]
	s_cbranch_execnz .LBB46_3328
.LBB46_1278:
	s_or_b64 exec, exec, s[6:7]
	s_and_saveexec_b64 s[6:7], s[4:5]
	s_cbranch_execz .LBB46_1280
.LBB46_1279:
	v_bfe_u32 v3, v5, 24, 3
	v_ffbh_u32_e32 v8, v3
	v_min_u32_e32 v8, 32, v8
	v_lshrrev_b32_e32 v6, 27, v5
	v_subrev_u32_e32 v9, 28, v8
	v_and_b32_e32 v4, 0x80000000, v5
	v_and_b32_e32 v6, 15, v6
	v_bfe_u32 v7, v5, 27, 4
	v_lshlrev_b32_sdwa v5, v9, v5 dst_sel:DWORD dst_unused:UNUSED_PAD src0_sel:DWORD src1_sel:BYTE_3
	v_sub_u32_e32 v8, 29, v8
	v_and_b32_e32 v5, 7, v5
	v_cmp_eq_u16_e32 vcc, 0, v6
	v_cndmask_b32_e32 v3, v3, v5, vcc
	v_cndmask_b32_e32 v5, v7, v8, vcc
	v_mov_b32_e32 v6, 0x3b800000
	v_lshlrev_b32_e32 v3, 20, v3
	v_lshl_add_u32 v5, v5, 23, v6
	v_or3_b32 v3, v4, v5, v3
.LBB46_1280:
	s_or_b64 exec, exec, s[6:7]
	s_nop 0
	v_mfma_f32_16x16x4f32 a[0:3], v2, v3, a[0:3]
	s_movk_i32 s4, 0x7f
                                        ; implicit-def: $sgpr10
	s_nop 7
	s_nop 1
	flat_store_dwordx4 v[18:19], a[0:3] offset:320
	flat_load_dwordx4 v[20:23], v[0:1] offset:8
	s_nop 0
	flat_load_dwordx2 v[18:19], v[0:1] offset:24
	s_waitcnt vmcnt(0) lgkmcnt(0)
	flat_load_dwordx4 v[14:17], v[20:21]
	flat_load_dwordx4 v[6:9], v[20:21] offset:16
	flat_load_dwordx4 v[10:13], v[22:23] offset:160
	;; [unrolled: 1-line block ×3, first 2 shown]
	s_waitcnt vmcnt(0) lgkmcnt(0)
	v_cmp_gt_i16_sdwa s[6:7], v14, s4 src0_sel:BYTE_0 src1_sel:DWORD
	s_mov_b64 s[4:5], 0
	s_and_saveexec_b64 s[8:9], s[6:7]
	s_xor_b64 s[6:7], exec, s[8:9]
	s_cbranch_execnz .LBB46_3329
; %bb.1281:
	s_or_saveexec_b64 s[6:7], s[6:7]
	v_mov_b32_e32 v20, s10
	s_xor_b64 exec, exec, s[6:7]
	s_cbranch_execnz .LBB46_3332
.LBB46_1282:
	s_or_b64 exec, exec, s[6:7]
	s_and_saveexec_b64 s[6:7], s[4:5]
	s_cbranch_execz .LBB46_1284
.LBB46_1283:
	v_and_b32_e32 v20, 7, v14
	v_ffbh_u32_e32 v22, v20
	v_min_u32_e32 v22, 32, v22
	v_lshrrev_b16_e32 v21, 3, v14
	v_subrev_u32_e32 v23, 28, v22
	v_and_b32_e32 v21, 15, v21
	v_lshlrev_b32_e32 v23, v23, v14
	v_sub_u32_e32 v22, 29, v22
	v_and_b32_e32 v23, 7, v23
	v_cmp_eq_u16_e32 vcc, 0, v21
	v_cndmask_b32_e32 v20, v20, v23, vcc
	v_cndmask_b32_e32 v21, v21, v22, vcc
	v_lshlrev_b32_e32 v22, 24, v14
	v_mov_b32_e32 v23, 0x3b800000
	v_lshlrev_b32_e32 v20, 20, v20
	v_and_b32_e32 v22, 0x80000000, v22
	v_lshl_add_u32 v21, v21, 23, v23
	v_or3_b32 v20, v22, v21, v20
.LBB46_1284:
	s_or_b64 exec, exec, s[6:7]
	s_movk_i32 s4, 0x7f
	v_cmp_gt_i16_sdwa s[6:7], v10, s4 src0_sel:BYTE_0 src1_sel:DWORD
	s_mov_b64 s[4:5], 0
                                        ; implicit-def: $sgpr10
	s_and_saveexec_b64 s[8:9], s[6:7]
	s_xor_b64 s[6:7], exec, s[8:9]
	s_cbranch_execnz .LBB46_3333
; %bb.1285:
	s_or_saveexec_b64 s[6:7], s[6:7]
	v_mov_b32_e32 v21, s10
	s_xor_b64 exec, exec, s[6:7]
	s_cbranch_execnz .LBB46_3336
.LBB46_1286:
	s_or_b64 exec, exec, s[6:7]
	s_and_saveexec_b64 s[6:7], s[4:5]
	s_cbranch_execz .LBB46_1288
.LBB46_1287:
	v_and_b32_e32 v21, 7, v10
	v_ffbh_u32_e32 v23, v21
	v_min_u32_e32 v23, 32, v23
	v_lshrrev_b16_e32 v22, 3, v10
	v_subrev_u32_e32 v24, 28, v23
	v_and_b32_e32 v22, 15, v22
	v_lshlrev_b32_e32 v24, v24, v10
	v_sub_u32_e32 v23, 29, v23
	v_and_b32_e32 v24, 7, v24
	v_cmp_eq_u16_e32 vcc, 0, v22
	v_cndmask_b32_e32 v21, v21, v24, vcc
	v_cndmask_b32_e32 v22, v22, v23, vcc
	v_lshlrev_b32_e32 v23, 24, v10
	v_mov_b32_e32 v24, 0x3b800000
	v_lshlrev_b32_e32 v21, 20, v21
	v_and_b32_e32 v23, 0x80000000, v23
	v_lshl_add_u32 v22, v22, 23, v24
	v_or3_b32 v21, v23, v22, v21
.LBB46_1288:
	s_or_b64 exec, exec, s[6:7]
	flat_load_dwordx4 a[0:3], v[18:19] offset:336
	s_movk_i32 s4, 0x7f
                                        ; implicit-def: $sgpr10
	s_waitcnt vmcnt(0) lgkmcnt(0)
	v_mfma_f32_16x16x4f32 a[0:3], v20, v21, a[0:3]
	v_lshrrev_b32_e32 v21, 8, v14
	v_cmp_gt_i16_sdwa s[6:7], v21, s4 src0_sel:BYTE_0 src1_sel:DWORD
	s_mov_b64 s[4:5], 0
	s_and_saveexec_b64 s[8:9], s[6:7]
	s_xor_b64 s[6:7], exec, s[8:9]
	s_cbranch_execnz .LBB46_3337
; %bb.1289:
	s_or_saveexec_b64 s[6:7], s[6:7]
	v_mov_b32_e32 v20, s10
	s_xor_b64 exec, exec, s[6:7]
	s_cbranch_execnz .LBB46_3340
.LBB46_1290:
	s_or_b64 exec, exec, s[6:7]
	s_and_saveexec_b64 s[6:7], s[4:5]
	s_cbranch_execz .LBB46_1292
.LBB46_1291:
	v_bfe_u32 v20, v14, 8, 3
	v_ffbh_u32_e32 v23, v20
	v_min_u32_e32 v23, 32, v23
	v_lshrrev_b16_e32 v22, 3, v21
	v_subrev_u32_e32 v24, 28, v23
	v_and_b32_e32 v22, 15, v22
	v_lshlrev_b32_e32 v21, v24, v21
	v_sub_u32_e32 v23, 29, v23
	v_and_b32_e32 v21, 7, v21
	v_cmp_eq_u16_e32 vcc, 0, v22
	v_cndmask_b32_e32 v20, v20, v21, vcc
	v_cndmask_b32_e32 v21, v22, v23, vcc
	v_lshlrev_b32_e32 v22, 16, v14
	v_mov_b32_e32 v23, 0x3b800000
	v_lshlrev_b32_e32 v20, 20, v20
	v_and_b32_e32 v22, 0x80000000, v22
	v_lshl_add_u32 v21, v21, 23, v23
	v_or3_b32 v20, v22, v21, v20
.LBB46_1292:
	s_or_b64 exec, exec, s[6:7]
	v_lshrrev_b32_e32 v21, 8, v10
	s_movk_i32 s4, 0x7f
	v_cmp_gt_i16_sdwa s[6:7], v21, s4 src0_sel:BYTE_0 src1_sel:DWORD
	s_mov_b64 s[4:5], 0
                                        ; implicit-def: $sgpr10
	s_and_saveexec_b64 s[8:9], s[6:7]
	s_xor_b64 s[6:7], exec, s[8:9]
	s_cbranch_execnz .LBB46_3341
; %bb.1293:
	s_or_saveexec_b64 s[6:7], s[6:7]
	v_mov_b32_e32 v22, s10
	s_xor_b64 exec, exec, s[6:7]
	s_cbranch_execnz .LBB46_3344
.LBB46_1294:
	s_or_b64 exec, exec, s[6:7]
	s_and_saveexec_b64 s[6:7], s[4:5]
	s_cbranch_execz .LBB46_1296
.LBB46_1295:
	v_bfe_u32 v22, v10, 8, 3
	v_ffbh_u32_e32 v24, v22
	v_min_u32_e32 v24, 32, v24
	v_lshrrev_b16_e32 v23, 3, v21
	v_subrev_u32_e32 v25, 28, v24
	v_and_b32_e32 v23, 15, v23
	v_lshlrev_b32_e32 v21, v25, v21
	v_sub_u32_e32 v24, 29, v24
	v_and_b32_e32 v21, 7, v21
	v_cmp_eq_u16_e32 vcc, 0, v23
	v_cndmask_b32_e32 v21, v22, v21, vcc
	v_cndmask_b32_e32 v22, v23, v24, vcc
	v_lshlrev_b32_e32 v23, 16, v10
	v_mov_b32_e32 v24, 0x3b800000
	v_lshlrev_b32_e32 v21, 20, v21
	v_and_b32_e32 v23, 0x80000000, v23
	v_lshl_add_u32 v22, v22, 23, v24
	v_or3_b32 v22, v23, v22, v21
.LBB46_1296:
	s_or_b64 exec, exec, s[6:7]
	s_nop 0
	v_mfma_f32_16x16x4f32 a[0:3], v20, v22, a[0:3]
	s_movk_i32 s4, 0xff
	v_and_b32_sdwa v21, v14, s4 dst_sel:DWORD dst_unused:UNUSED_PAD src0_sel:WORD_1 src1_sel:DWORD
	s_movk_i32 s4, 0x7f
	v_cmp_lt_i16_e32 vcc, s4, v21
	s_mov_b64 s[4:5], 0
                                        ; implicit-def: $sgpr10
	s_and_saveexec_b64 s[6:7], vcc
	s_xor_b64 s[6:7], exec, s[6:7]
	s_cbranch_execnz .LBB46_3345
; %bb.1297:
	s_or_saveexec_b64 s[6:7], s[6:7]
	v_mov_b32_e32 v20, s10
	s_xor_b64 exec, exec, s[6:7]
	s_cbranch_execnz .LBB46_3348
.LBB46_1298:
	s_or_b64 exec, exec, s[6:7]
	s_and_saveexec_b64 s[6:7], s[4:5]
	s_cbranch_execz .LBB46_1300
.LBB46_1299:
	v_bfe_u32 v20, v14, 16, 3
	v_ffbh_u32_e32 v23, v20
	v_min_u32_e32 v23, 32, v23
	v_lshrrev_b32_e32 v21, 19, v14
	v_subrev_u32_e32 v24, 28, v23
	v_and_b32_e32 v21, 15, v21
	v_lshlrev_b32_sdwa v24, v24, v14 dst_sel:DWORD dst_unused:UNUSED_PAD src0_sel:DWORD src1_sel:WORD_1
	v_bfe_u32 v22, v14, 19, 4
	v_sub_u32_e32 v23, 29, v23
	v_and_b32_e32 v24, 7, v24
	v_cmp_eq_u16_e32 vcc, 0, v21
	v_cndmask_b32_e32 v20, v20, v24, vcc
	v_cndmask_b32_e32 v21, v22, v23, vcc
	v_lshlrev_b32_e32 v22, 8, v14
	v_mov_b32_e32 v23, 0x3b800000
	v_lshlrev_b32_e32 v20, 20, v20
	v_and_b32_e32 v22, 0x80000000, v22
	v_lshl_add_u32 v21, v21, 23, v23
	v_or3_b32 v20, v22, v21, v20
.LBB46_1300:
	s_or_b64 exec, exec, s[6:7]
	s_movk_i32 s4, 0xff
	v_and_b32_sdwa v21, v10, s4 dst_sel:DWORD dst_unused:UNUSED_PAD src0_sel:WORD_1 src1_sel:DWORD
	s_movk_i32 s4, 0x7f
	v_cmp_lt_i16_e32 vcc, s4, v21
	s_mov_b64 s[4:5], 0
                                        ; implicit-def: $sgpr10
	s_and_saveexec_b64 s[6:7], vcc
	s_xor_b64 s[6:7], exec, s[6:7]
	s_cbranch_execnz .LBB46_3349
; %bb.1301:
	s_or_saveexec_b64 s[6:7], s[6:7]
	v_mov_b32_e32 v22, s10
	s_xor_b64 exec, exec, s[6:7]
	s_cbranch_execnz .LBB46_3352
.LBB46_1302:
	s_or_b64 exec, exec, s[6:7]
	s_and_saveexec_b64 s[6:7], s[4:5]
	s_cbranch_execz .LBB46_1304
.LBB46_1303:
	v_bfe_u32 v21, v10, 16, 3
	v_ffbh_u32_e32 v24, v21
	v_min_u32_e32 v24, 32, v24
	v_lshrrev_b32_e32 v22, 19, v10
	v_subrev_u32_e32 v25, 28, v24
	v_and_b32_e32 v22, 15, v22
	v_lshlrev_b32_sdwa v25, v25, v10 dst_sel:DWORD dst_unused:UNUSED_PAD src0_sel:DWORD src1_sel:WORD_1
	v_bfe_u32 v23, v10, 19, 4
	v_sub_u32_e32 v24, 29, v24
	v_and_b32_e32 v25, 7, v25
	v_cmp_eq_u16_e32 vcc, 0, v22
	v_cndmask_b32_e32 v21, v21, v25, vcc
	v_cndmask_b32_e32 v22, v23, v24, vcc
	v_lshlrev_b32_e32 v23, 8, v10
	v_mov_b32_e32 v24, 0x3b800000
	v_lshlrev_b32_e32 v21, 20, v21
	v_and_b32_e32 v23, 0x80000000, v23
	v_lshl_add_u32 v22, v22, 23, v24
	v_or3_b32 v22, v23, v22, v21
.LBB46_1304:
	s_or_b64 exec, exec, s[6:7]
	s_nop 0
	v_mfma_f32_16x16x4f32 a[0:3], v20, v22, a[0:3]
	s_movk_i32 s4, 0x7f
	v_cmp_gt_i16_sdwa s[6:7], v14, s4 src0_sel:BYTE_3 src1_sel:DWORD
	s_mov_b64 s[4:5], 0
                                        ; implicit-def: $sgpr10
	s_and_saveexec_b64 s[8:9], s[6:7]
	s_xor_b64 s[6:7], exec, s[8:9]
	s_cbranch_execnz .LBB46_3353
; %bb.1305:
	s_or_saveexec_b64 s[6:7], s[6:7]
	v_mov_b32_e32 v20, s10
	s_xor_b64 exec, exec, s[6:7]
	s_cbranch_execnz .LBB46_3356
.LBB46_1306:
	s_or_b64 exec, exec, s[6:7]
	s_and_saveexec_b64 s[6:7], s[4:5]
	s_cbranch_execz .LBB46_1308
.LBB46_1307:
	v_bfe_u32 v20, v14, 24, 3
	v_ffbh_u32_e32 v24, v20
	v_min_u32_e32 v24, 32, v24
	v_lshrrev_b32_e32 v22, 27, v14
	v_subrev_u32_e32 v25, 28, v24
	v_and_b32_e32 v21, 0x80000000, v14
	v_and_b32_e32 v22, 15, v22
	v_bfe_u32 v23, v14, 27, 4
	v_lshlrev_b32_sdwa v14, v25, v14 dst_sel:DWORD dst_unused:UNUSED_PAD src0_sel:DWORD src1_sel:BYTE_3
	v_sub_u32_e32 v24, 29, v24
	v_and_b32_e32 v14, 7, v14
	v_cmp_eq_u16_e32 vcc, 0, v22
	v_cndmask_b32_e32 v14, v20, v14, vcc
	v_cndmask_b32_e32 v20, v23, v24, vcc
	v_mov_b32_e32 v22, 0x3b800000
	v_lshlrev_b32_e32 v14, 20, v14
	v_lshl_add_u32 v20, v20, 23, v22
	v_or3_b32 v20, v21, v20, v14
.LBB46_1308:
	s_or_b64 exec, exec, s[6:7]
	s_movk_i32 s4, 0x7f
	v_cmp_gt_i16_sdwa s[6:7], v10, s4 src0_sel:BYTE_3 src1_sel:DWORD
	s_mov_b64 s[4:5], 0
                                        ; implicit-def: $sgpr10
	s_and_saveexec_b64 s[8:9], s[6:7]
	s_xor_b64 s[6:7], exec, s[8:9]
	s_cbranch_execnz .LBB46_3357
; %bb.1309:
	s_or_saveexec_b64 s[6:7], s[6:7]
	v_mov_b32_e32 v14, s10
	s_xor_b64 exec, exec, s[6:7]
	s_cbranch_execnz .LBB46_3360
.LBB46_1310:
	s_or_b64 exec, exec, s[6:7]
	s_and_saveexec_b64 s[6:7], s[4:5]
	s_cbranch_execz .LBB46_1312
.LBB46_1311:
	v_bfe_u32 v14, v10, 24, 3
	v_ffbh_u32_e32 v24, v14
	v_min_u32_e32 v24, 32, v24
	v_lshrrev_b32_e32 v22, 27, v10
	v_subrev_u32_e32 v25, 28, v24
	v_and_b32_e32 v21, 0x80000000, v10
	v_and_b32_e32 v22, 15, v22
	v_bfe_u32 v23, v10, 27, 4
	v_lshlrev_b32_sdwa v10, v25, v10 dst_sel:DWORD dst_unused:UNUSED_PAD src0_sel:DWORD src1_sel:BYTE_3
	v_sub_u32_e32 v24, 29, v24
	v_and_b32_e32 v10, 7, v10
	v_cmp_eq_u16_e32 vcc, 0, v22
	v_cndmask_b32_e32 v10, v14, v10, vcc
	v_cndmask_b32_e32 v14, v23, v24, vcc
	v_mov_b32_e32 v22, 0x3b800000
	v_lshlrev_b32_e32 v10, 20, v10
	v_lshl_add_u32 v14, v14, 23, v22
	v_or3_b32 v14, v21, v14, v10
.LBB46_1312:
	s_or_b64 exec, exec, s[6:7]
	s_nop 0
	v_mfma_f32_16x16x4f32 a[0:3], v20, v14, a[0:3]
	s_movk_i32 s4, 0x7f
	v_cmp_gt_i16_sdwa s[6:7], v15, s4 src0_sel:BYTE_0 src1_sel:DWORD
	s_mov_b64 s[4:5], 0
                                        ; implicit-def: $sgpr10
	s_and_saveexec_b64 s[8:9], s[6:7]
	s_xor_b64 s[6:7], exec, s[8:9]
	s_cbranch_execnz .LBB46_3361
; %bb.1313:
	s_or_saveexec_b64 s[6:7], s[6:7]
	v_mov_b32_e32 v10, s10
	s_xor_b64 exec, exec, s[6:7]
	s_cbranch_execnz .LBB46_3364
.LBB46_1314:
	s_or_b64 exec, exec, s[6:7]
	s_and_saveexec_b64 s[6:7], s[4:5]
	s_cbranch_execz .LBB46_1316
.LBB46_1315:
	v_and_b32_e32 v10, 7, v15
	v_ffbh_u32_e32 v20, v10
	v_min_u32_e32 v20, 32, v20
	v_lshrrev_b16_e32 v14, 3, v15
	v_subrev_u32_e32 v21, 28, v20
	v_and_b32_e32 v14, 15, v14
	v_lshlrev_b32_e32 v21, v21, v15
	v_sub_u32_e32 v20, 29, v20
	v_and_b32_e32 v21, 7, v21
	v_cmp_eq_u16_e32 vcc, 0, v14
	v_cndmask_b32_e32 v10, v10, v21, vcc
	v_cndmask_b32_e32 v14, v14, v20, vcc
	v_lshlrev_b32_e32 v20, 24, v15
	v_mov_b32_e32 v21, 0x3b800000
	v_lshlrev_b32_e32 v10, 20, v10
	v_and_b32_e32 v20, 0x80000000, v20
	v_lshl_add_u32 v14, v14, 23, v21
	v_or3_b32 v10, v20, v14, v10
.LBB46_1316:
	s_or_b64 exec, exec, s[6:7]
	s_movk_i32 s4, 0x7f
	v_cmp_gt_i16_sdwa s[6:7], v11, s4 src0_sel:BYTE_0 src1_sel:DWORD
	s_mov_b64 s[4:5], 0
                                        ; implicit-def: $sgpr10
	s_and_saveexec_b64 s[8:9], s[6:7]
	s_xor_b64 s[6:7], exec, s[8:9]
	s_cbranch_execnz .LBB46_3365
; %bb.1317:
	s_or_saveexec_b64 s[6:7], s[6:7]
	v_mov_b32_e32 v14, s10
	s_xor_b64 exec, exec, s[6:7]
	s_cbranch_execnz .LBB46_3368
.LBB46_1318:
	s_or_b64 exec, exec, s[6:7]
	s_and_saveexec_b64 s[6:7], s[4:5]
	s_cbranch_execz .LBB46_1320
.LBB46_1319:
	v_and_b32_e32 v14, 7, v11
	v_ffbh_u32_e32 v21, v14
	v_min_u32_e32 v21, 32, v21
	v_lshrrev_b16_e32 v20, 3, v11
	v_subrev_u32_e32 v22, 28, v21
	v_and_b32_e32 v20, 15, v20
	v_lshlrev_b32_e32 v22, v22, v11
	v_sub_u32_e32 v21, 29, v21
	v_and_b32_e32 v22, 7, v22
	v_cmp_eq_u16_e32 vcc, 0, v20
	v_cndmask_b32_e32 v14, v14, v22, vcc
	v_cndmask_b32_e32 v20, v20, v21, vcc
	v_lshlrev_b32_e32 v21, 24, v11
	v_mov_b32_e32 v22, 0x3b800000
	v_lshlrev_b32_e32 v14, 20, v14
	v_and_b32_e32 v21, 0x80000000, v21
	v_lshl_add_u32 v20, v20, 23, v22
	v_or3_b32 v14, v21, v20, v14
.LBB46_1320:
	s_or_b64 exec, exec, s[6:7]
	s_nop 0
	v_mfma_f32_16x16x4f32 a[0:3], v10, v14, a[0:3]
	v_lshrrev_b32_e32 v14, 8, v15
	s_movk_i32 s4, 0x7f
	v_cmp_gt_i16_sdwa s[6:7], v14, s4 src0_sel:BYTE_0 src1_sel:DWORD
	s_mov_b64 s[4:5], 0
                                        ; implicit-def: $sgpr10
	s_and_saveexec_b64 s[8:9], s[6:7]
	s_xor_b64 s[6:7], exec, s[8:9]
	s_cbranch_execnz .LBB46_3369
; %bb.1321:
	s_or_saveexec_b64 s[6:7], s[6:7]
	v_mov_b32_e32 v10, s10
	s_xor_b64 exec, exec, s[6:7]
	s_cbranch_execnz .LBB46_3372
.LBB46_1322:
	s_or_b64 exec, exec, s[6:7]
	s_and_saveexec_b64 s[6:7], s[4:5]
	s_cbranch_execz .LBB46_1324
.LBB46_1323:
	v_bfe_u32 v10, v15, 8, 3
	v_ffbh_u32_e32 v21, v10
	v_min_u32_e32 v21, 32, v21
	v_lshrrev_b16_e32 v20, 3, v14
	v_subrev_u32_e32 v22, 28, v21
	v_and_b32_e32 v20, 15, v20
	v_lshlrev_b32_e32 v14, v22, v14
	v_sub_u32_e32 v21, 29, v21
	v_and_b32_e32 v14, 7, v14
	v_cmp_eq_u16_e32 vcc, 0, v20
	v_cndmask_b32_e32 v10, v10, v14, vcc
	v_cndmask_b32_e32 v14, v20, v21, vcc
	v_lshlrev_b32_e32 v20, 16, v15
	v_mov_b32_e32 v21, 0x3b800000
	v_lshlrev_b32_e32 v10, 20, v10
	v_and_b32_e32 v20, 0x80000000, v20
	v_lshl_add_u32 v14, v14, 23, v21
	v_or3_b32 v10, v20, v14, v10
.LBB46_1324:
	s_or_b64 exec, exec, s[6:7]
	v_lshrrev_b32_e32 v14, 8, v11
	s_movk_i32 s4, 0x7f
	v_cmp_gt_i16_sdwa s[6:7], v14, s4 src0_sel:BYTE_0 src1_sel:DWORD
	s_mov_b64 s[4:5], 0
                                        ; implicit-def: $sgpr10
	s_and_saveexec_b64 s[8:9], s[6:7]
	s_xor_b64 s[6:7], exec, s[8:9]
	s_cbranch_execnz .LBB46_3373
; %bb.1325:
	s_or_saveexec_b64 s[6:7], s[6:7]
	v_mov_b32_e32 v20, s10
	s_xor_b64 exec, exec, s[6:7]
	s_cbranch_execnz .LBB46_3376
.LBB46_1326:
	s_or_b64 exec, exec, s[6:7]
	s_and_saveexec_b64 s[6:7], s[4:5]
	s_cbranch_execz .LBB46_1328
.LBB46_1327:
	v_bfe_u32 v20, v11, 8, 3
	v_ffbh_u32_e32 v22, v20
	v_min_u32_e32 v22, 32, v22
	v_lshrrev_b16_e32 v21, 3, v14
	v_subrev_u32_e32 v23, 28, v22
	v_and_b32_e32 v21, 15, v21
	v_lshlrev_b32_e32 v14, v23, v14
	v_sub_u32_e32 v22, 29, v22
	v_and_b32_e32 v14, 7, v14
	v_cmp_eq_u16_e32 vcc, 0, v21
	v_cndmask_b32_e32 v14, v20, v14, vcc
	v_cndmask_b32_e32 v20, v21, v22, vcc
	v_lshlrev_b32_e32 v21, 16, v11
	v_mov_b32_e32 v22, 0x3b800000
	v_lshlrev_b32_e32 v14, 20, v14
	v_and_b32_e32 v21, 0x80000000, v21
	v_lshl_add_u32 v20, v20, 23, v22
	v_or3_b32 v20, v21, v20, v14
.LBB46_1328:
	s_or_b64 exec, exec, s[6:7]
	s_nop 0
	v_mfma_f32_16x16x4f32 a[0:3], v10, v20, a[0:3]
	s_movk_i32 s4, 0xff
	v_and_b32_sdwa v14, v15, s4 dst_sel:DWORD dst_unused:UNUSED_PAD src0_sel:WORD_1 src1_sel:DWORD
	s_movk_i32 s4, 0x7f
	v_cmp_lt_i16_e32 vcc, s4, v14
	s_mov_b64 s[4:5], 0
                                        ; implicit-def: $sgpr10
	s_and_saveexec_b64 s[6:7], vcc
	s_xor_b64 s[6:7], exec, s[6:7]
	s_cbranch_execnz .LBB46_3377
; %bb.1329:
	s_or_saveexec_b64 s[6:7], s[6:7]
	v_mov_b32_e32 v10, s10
	s_xor_b64 exec, exec, s[6:7]
	s_cbranch_execnz .LBB46_3380
.LBB46_1330:
	s_or_b64 exec, exec, s[6:7]
	s_and_saveexec_b64 s[6:7], s[4:5]
	s_cbranch_execz .LBB46_1332
.LBB46_1331:
	v_bfe_u32 v10, v15, 16, 3
	v_ffbh_u32_e32 v21, v10
	v_min_u32_e32 v21, 32, v21
	v_lshrrev_b32_e32 v14, 19, v15
	v_subrev_u32_e32 v22, 28, v21
	v_and_b32_e32 v14, 15, v14
	v_lshlrev_b32_sdwa v22, v22, v15 dst_sel:DWORD dst_unused:UNUSED_PAD src0_sel:DWORD src1_sel:WORD_1
	v_bfe_u32 v20, v15, 19, 4
	v_sub_u32_e32 v21, 29, v21
	v_and_b32_e32 v22, 7, v22
	v_cmp_eq_u16_e32 vcc, 0, v14
	v_cndmask_b32_e32 v10, v10, v22, vcc
	v_cndmask_b32_e32 v14, v20, v21, vcc
	v_lshlrev_b32_e32 v20, 8, v15
	v_mov_b32_e32 v21, 0x3b800000
	v_lshlrev_b32_e32 v10, 20, v10
	v_and_b32_e32 v20, 0x80000000, v20
	v_lshl_add_u32 v14, v14, 23, v21
	v_or3_b32 v10, v20, v14, v10
.LBB46_1332:
	s_or_b64 exec, exec, s[6:7]
	s_movk_i32 s4, 0xff
	v_and_b32_sdwa v14, v11, s4 dst_sel:DWORD dst_unused:UNUSED_PAD src0_sel:WORD_1 src1_sel:DWORD
	s_movk_i32 s4, 0x7f
	v_cmp_lt_i16_e32 vcc, s4, v14
	s_mov_b64 s[4:5], 0
                                        ; implicit-def: $sgpr10
	s_and_saveexec_b64 s[6:7], vcc
	s_xor_b64 s[6:7], exec, s[6:7]
	s_cbranch_execnz .LBB46_3381
; %bb.1333:
	s_or_saveexec_b64 s[6:7], s[6:7]
	v_mov_b32_e32 v20, s10
	s_xor_b64 exec, exec, s[6:7]
	s_cbranch_execnz .LBB46_3384
.LBB46_1334:
	s_or_b64 exec, exec, s[6:7]
	s_and_saveexec_b64 s[6:7], s[4:5]
	s_cbranch_execz .LBB46_1336
.LBB46_1335:
	v_bfe_u32 v14, v11, 16, 3
	v_ffbh_u32_e32 v22, v14
	v_min_u32_e32 v22, 32, v22
	v_lshrrev_b32_e32 v20, 19, v11
	v_subrev_u32_e32 v23, 28, v22
	v_and_b32_e32 v20, 15, v20
	v_lshlrev_b32_sdwa v23, v23, v11 dst_sel:DWORD dst_unused:UNUSED_PAD src0_sel:DWORD src1_sel:WORD_1
	v_bfe_u32 v21, v11, 19, 4
	v_sub_u32_e32 v22, 29, v22
	v_and_b32_e32 v23, 7, v23
	v_cmp_eq_u16_e32 vcc, 0, v20
	v_cndmask_b32_e32 v14, v14, v23, vcc
	v_cndmask_b32_e32 v20, v21, v22, vcc
	v_lshlrev_b32_e32 v21, 8, v11
	v_mov_b32_e32 v22, 0x3b800000
	v_lshlrev_b32_e32 v14, 20, v14
	v_and_b32_e32 v21, 0x80000000, v21
	v_lshl_add_u32 v20, v20, 23, v22
	v_or3_b32 v20, v21, v20, v14
.LBB46_1336:
	s_or_b64 exec, exec, s[6:7]
	s_nop 0
	v_mfma_f32_16x16x4f32 a[0:3], v10, v20, a[0:3]
	s_movk_i32 s4, 0x7f
	v_cmp_gt_i16_sdwa s[6:7], v15, s4 src0_sel:BYTE_3 src1_sel:DWORD
	s_mov_b64 s[4:5], 0
                                        ; implicit-def: $sgpr10
	s_and_saveexec_b64 s[8:9], s[6:7]
	s_xor_b64 s[6:7], exec, s[8:9]
	s_cbranch_execnz .LBB46_3385
; %bb.1337:
	s_or_saveexec_b64 s[6:7], s[6:7]
	v_mov_b32_e32 v10, s10
	s_xor_b64 exec, exec, s[6:7]
	s_cbranch_execnz .LBB46_3388
.LBB46_1338:
	s_or_b64 exec, exec, s[6:7]
	s_and_saveexec_b64 s[6:7], s[4:5]
	s_cbranch_execz .LBB46_1340
.LBB46_1339:
	v_bfe_u32 v10, v15, 24, 3
	v_ffbh_u32_e32 v22, v10
	v_min_u32_e32 v22, 32, v22
	v_lshrrev_b32_e32 v20, 27, v15
	v_subrev_u32_e32 v23, 28, v22
	v_and_b32_e32 v14, 0x80000000, v15
	v_and_b32_e32 v20, 15, v20
	v_bfe_u32 v21, v15, 27, 4
	v_lshlrev_b32_sdwa v15, v23, v15 dst_sel:DWORD dst_unused:UNUSED_PAD src0_sel:DWORD src1_sel:BYTE_3
	v_sub_u32_e32 v22, 29, v22
	v_and_b32_e32 v15, 7, v15
	v_cmp_eq_u16_e32 vcc, 0, v20
	v_cndmask_b32_e32 v10, v10, v15, vcc
	v_cndmask_b32_e32 v15, v21, v22, vcc
	v_mov_b32_e32 v20, 0x3b800000
	v_lshlrev_b32_e32 v10, 20, v10
	v_lshl_add_u32 v15, v15, 23, v20
	v_or3_b32 v10, v14, v15, v10
.LBB46_1340:
	s_or_b64 exec, exec, s[6:7]
	s_movk_i32 s4, 0x7f
	v_cmp_gt_i16_sdwa s[6:7], v11, s4 src0_sel:BYTE_3 src1_sel:DWORD
	s_mov_b64 s[4:5], 0
                                        ; implicit-def: $sgpr10
	s_and_saveexec_b64 s[8:9], s[6:7]
	s_xor_b64 s[6:7], exec, s[8:9]
	s_cbranch_execnz .LBB46_3389
; %bb.1341:
	s_or_saveexec_b64 s[6:7], s[6:7]
	v_mov_b32_e32 v14, s10
	s_xor_b64 exec, exec, s[6:7]
	s_cbranch_execnz .LBB46_3392
.LBB46_1342:
	s_or_b64 exec, exec, s[6:7]
	s_and_saveexec_b64 s[6:7], s[4:5]
	s_cbranch_execz .LBB46_1344
.LBB46_1343:
	v_bfe_u32 v14, v11, 24, 3
	v_ffbh_u32_e32 v22, v14
	v_min_u32_e32 v22, 32, v22
	v_lshrrev_b32_e32 v20, 27, v11
	v_subrev_u32_e32 v23, 28, v22
	v_and_b32_e32 v15, 0x80000000, v11
	v_and_b32_e32 v20, 15, v20
	v_bfe_u32 v21, v11, 27, 4
	v_lshlrev_b32_sdwa v11, v23, v11 dst_sel:DWORD dst_unused:UNUSED_PAD src0_sel:DWORD src1_sel:BYTE_3
	v_sub_u32_e32 v22, 29, v22
	v_and_b32_e32 v11, 7, v11
	v_cmp_eq_u16_e32 vcc, 0, v20
	v_cndmask_b32_e32 v11, v14, v11, vcc
	v_cndmask_b32_e32 v14, v21, v22, vcc
	v_mov_b32_e32 v20, 0x3b800000
	v_lshlrev_b32_e32 v11, 20, v11
	v_lshl_add_u32 v14, v14, 23, v20
	v_or3_b32 v14, v15, v14, v11
.LBB46_1344:
	s_or_b64 exec, exec, s[6:7]
	s_nop 0
	v_mfma_f32_16x16x4f32 a[0:3], v10, v14, a[0:3]
	s_movk_i32 s4, 0x7f
	v_cmp_gt_i16_sdwa s[6:7], v16, s4 src0_sel:BYTE_0 src1_sel:DWORD
	s_mov_b64 s[4:5], 0
                                        ; implicit-def: $sgpr10
	s_and_saveexec_b64 s[8:9], s[6:7]
	s_xor_b64 s[6:7], exec, s[8:9]
	s_cbranch_execnz .LBB46_3393
; %bb.1345:
	s_or_saveexec_b64 s[6:7], s[6:7]
	v_mov_b32_e32 v10, s10
	s_xor_b64 exec, exec, s[6:7]
	s_cbranch_execnz .LBB46_3396
.LBB46_1346:
	s_or_b64 exec, exec, s[6:7]
	s_and_saveexec_b64 s[6:7], s[4:5]
	s_cbranch_execz .LBB46_1348
.LBB46_1347:
	v_and_b32_e32 v10, 7, v16
	v_ffbh_u32_e32 v14, v10
	v_min_u32_e32 v14, 32, v14
	v_lshrrev_b16_e32 v11, 3, v16
	v_subrev_u32_e32 v15, 28, v14
	v_and_b32_e32 v11, 15, v11
	v_lshlrev_b32_e32 v15, v15, v16
	v_sub_u32_e32 v14, 29, v14
	v_and_b32_e32 v15, 7, v15
	v_cmp_eq_u16_e32 vcc, 0, v11
	v_cndmask_b32_e32 v10, v10, v15, vcc
	v_cndmask_b32_e32 v11, v11, v14, vcc
	v_lshlrev_b32_e32 v14, 24, v16
	v_mov_b32_e32 v15, 0x3b800000
	v_lshlrev_b32_e32 v10, 20, v10
	v_and_b32_e32 v14, 0x80000000, v14
	v_lshl_add_u32 v11, v11, 23, v15
	v_or3_b32 v10, v14, v11, v10
.LBB46_1348:
	s_or_b64 exec, exec, s[6:7]
	s_movk_i32 s4, 0x7f
	v_cmp_gt_i16_sdwa s[6:7], v12, s4 src0_sel:BYTE_0 src1_sel:DWORD
	s_mov_b64 s[4:5], 0
                                        ; implicit-def: $sgpr10
	s_and_saveexec_b64 s[8:9], s[6:7]
	s_xor_b64 s[6:7], exec, s[8:9]
	s_cbranch_execnz .LBB46_3397
; %bb.1349:
	s_or_saveexec_b64 s[6:7], s[6:7]
	v_mov_b32_e32 v11, s10
	s_xor_b64 exec, exec, s[6:7]
	s_cbranch_execnz .LBB46_3400
.LBB46_1350:
	s_or_b64 exec, exec, s[6:7]
	s_and_saveexec_b64 s[6:7], s[4:5]
	s_cbranch_execz .LBB46_1352
.LBB46_1351:
	v_and_b32_e32 v11, 7, v12
	v_ffbh_u32_e32 v15, v11
	v_min_u32_e32 v15, 32, v15
	v_lshrrev_b16_e32 v14, 3, v12
	v_subrev_u32_e32 v20, 28, v15
	v_and_b32_e32 v14, 15, v14
	v_lshlrev_b32_e32 v20, v20, v12
	v_sub_u32_e32 v15, 29, v15
	v_and_b32_e32 v20, 7, v20
	v_cmp_eq_u16_e32 vcc, 0, v14
	v_cndmask_b32_e32 v11, v11, v20, vcc
	v_cndmask_b32_e32 v14, v14, v15, vcc
	v_lshlrev_b32_e32 v15, 24, v12
	v_mov_b32_e32 v20, 0x3b800000
	v_lshlrev_b32_e32 v11, 20, v11
	v_and_b32_e32 v15, 0x80000000, v15
	v_lshl_add_u32 v14, v14, 23, v20
	v_or3_b32 v11, v15, v14, v11
.LBB46_1352:
	s_or_b64 exec, exec, s[6:7]
	s_nop 0
	v_mfma_f32_16x16x4f32 a[0:3], v10, v11, a[0:3]
	v_lshrrev_b32_e32 v11, 8, v16
	s_movk_i32 s4, 0x7f
	v_cmp_gt_i16_sdwa s[6:7], v11, s4 src0_sel:BYTE_0 src1_sel:DWORD
	s_mov_b64 s[4:5], 0
                                        ; implicit-def: $sgpr10
	s_and_saveexec_b64 s[8:9], s[6:7]
	s_xor_b64 s[6:7], exec, s[8:9]
	s_cbranch_execnz .LBB46_3401
; %bb.1353:
	s_or_saveexec_b64 s[6:7], s[6:7]
	v_mov_b32_e32 v10, s10
	s_xor_b64 exec, exec, s[6:7]
	s_cbranch_execnz .LBB46_3404
.LBB46_1354:
	s_or_b64 exec, exec, s[6:7]
	s_and_saveexec_b64 s[6:7], s[4:5]
	s_cbranch_execz .LBB46_1356
.LBB46_1355:
	v_bfe_u32 v10, v16, 8, 3
	v_ffbh_u32_e32 v15, v10
	v_min_u32_e32 v15, 32, v15
	v_lshrrev_b16_e32 v14, 3, v11
	v_subrev_u32_e32 v20, 28, v15
	v_and_b32_e32 v14, 15, v14
	v_lshlrev_b32_e32 v11, v20, v11
	v_sub_u32_e32 v15, 29, v15
	v_and_b32_e32 v11, 7, v11
	v_cmp_eq_u16_e32 vcc, 0, v14
	v_cndmask_b32_e32 v10, v10, v11, vcc
	v_cndmask_b32_e32 v11, v14, v15, vcc
	v_lshlrev_b32_e32 v14, 16, v16
	v_mov_b32_e32 v15, 0x3b800000
	v_lshlrev_b32_e32 v10, 20, v10
	v_and_b32_e32 v14, 0x80000000, v14
	v_lshl_add_u32 v11, v11, 23, v15
	v_or3_b32 v10, v14, v11, v10
.LBB46_1356:
	s_or_b64 exec, exec, s[6:7]
	v_lshrrev_b32_e32 v11, 8, v12
	s_movk_i32 s4, 0x7f
	v_cmp_gt_i16_sdwa s[6:7], v11, s4 src0_sel:BYTE_0 src1_sel:DWORD
	s_mov_b64 s[4:5], 0
                                        ; implicit-def: $sgpr10
	s_and_saveexec_b64 s[8:9], s[6:7]
	s_xor_b64 s[6:7], exec, s[8:9]
	s_cbranch_execnz .LBB46_3405
; %bb.1357:
	s_or_saveexec_b64 s[6:7], s[6:7]
	v_mov_b32_e32 v14, s10
	s_xor_b64 exec, exec, s[6:7]
	s_cbranch_execnz .LBB46_3408
.LBB46_1358:
	s_or_b64 exec, exec, s[6:7]
	s_and_saveexec_b64 s[6:7], s[4:5]
	s_cbranch_execz .LBB46_1360
.LBB46_1359:
	v_bfe_u32 v14, v12, 8, 3
	v_ffbh_u32_e32 v20, v14
	v_min_u32_e32 v20, 32, v20
	v_lshrrev_b16_e32 v15, 3, v11
	v_subrev_u32_e32 v21, 28, v20
	v_and_b32_e32 v15, 15, v15
	v_lshlrev_b32_e32 v11, v21, v11
	v_sub_u32_e32 v20, 29, v20
	v_and_b32_e32 v11, 7, v11
	v_cmp_eq_u16_e32 vcc, 0, v15
	v_cndmask_b32_e32 v11, v14, v11, vcc
	v_cndmask_b32_e32 v14, v15, v20, vcc
	v_lshlrev_b32_e32 v15, 16, v12
	v_mov_b32_e32 v20, 0x3b800000
	v_lshlrev_b32_e32 v11, 20, v11
	v_and_b32_e32 v15, 0x80000000, v15
	v_lshl_add_u32 v14, v14, 23, v20
	v_or3_b32 v14, v15, v14, v11
.LBB46_1360:
	s_or_b64 exec, exec, s[6:7]
	s_nop 0
	v_mfma_f32_16x16x4f32 a[0:3], v10, v14, a[0:3]
	s_movk_i32 s4, 0xff
	v_and_b32_sdwa v11, v16, s4 dst_sel:DWORD dst_unused:UNUSED_PAD src0_sel:WORD_1 src1_sel:DWORD
	s_movk_i32 s4, 0x7f
	v_cmp_lt_i16_e32 vcc, s4, v11
	s_mov_b64 s[4:5], 0
                                        ; implicit-def: $sgpr10
	s_and_saveexec_b64 s[6:7], vcc
	s_xor_b64 s[6:7], exec, s[6:7]
	s_cbranch_execnz .LBB46_3409
; %bb.1361:
	s_or_saveexec_b64 s[6:7], s[6:7]
	v_mov_b32_e32 v10, s10
	s_xor_b64 exec, exec, s[6:7]
	s_cbranch_execnz .LBB46_3412
.LBB46_1362:
	s_or_b64 exec, exec, s[6:7]
	s_and_saveexec_b64 s[6:7], s[4:5]
	s_cbranch_execz .LBB46_1364
.LBB46_1363:
	v_bfe_u32 v10, v16, 16, 3
	v_ffbh_u32_e32 v15, v10
	v_min_u32_e32 v15, 32, v15
	v_lshrrev_b32_e32 v11, 19, v16
	v_subrev_u32_e32 v20, 28, v15
	v_and_b32_e32 v11, 15, v11
	v_lshlrev_b32_sdwa v20, v20, v16 dst_sel:DWORD dst_unused:UNUSED_PAD src0_sel:DWORD src1_sel:WORD_1
	v_bfe_u32 v14, v16, 19, 4
	v_sub_u32_e32 v15, 29, v15
	v_and_b32_e32 v20, 7, v20
	v_cmp_eq_u16_e32 vcc, 0, v11
	v_cndmask_b32_e32 v10, v10, v20, vcc
	v_cndmask_b32_e32 v11, v14, v15, vcc
	v_lshlrev_b32_e32 v14, 8, v16
	v_mov_b32_e32 v15, 0x3b800000
	v_lshlrev_b32_e32 v10, 20, v10
	v_and_b32_e32 v14, 0x80000000, v14
	v_lshl_add_u32 v11, v11, 23, v15
	v_or3_b32 v10, v14, v11, v10
.LBB46_1364:
	s_or_b64 exec, exec, s[6:7]
	s_movk_i32 s4, 0xff
	v_and_b32_sdwa v11, v12, s4 dst_sel:DWORD dst_unused:UNUSED_PAD src0_sel:WORD_1 src1_sel:DWORD
	s_movk_i32 s4, 0x7f
	v_cmp_lt_i16_e32 vcc, s4, v11
	s_mov_b64 s[4:5], 0
                                        ; implicit-def: $sgpr10
	s_and_saveexec_b64 s[6:7], vcc
	s_xor_b64 s[6:7], exec, s[6:7]
	s_cbranch_execnz .LBB46_3413
; %bb.1365:
	s_or_saveexec_b64 s[6:7], s[6:7]
	v_mov_b32_e32 v14, s10
	s_xor_b64 exec, exec, s[6:7]
	s_cbranch_execnz .LBB46_3416
.LBB46_1366:
	s_or_b64 exec, exec, s[6:7]
	s_and_saveexec_b64 s[6:7], s[4:5]
	s_cbranch_execz .LBB46_1368
.LBB46_1367:
	v_bfe_u32 v11, v12, 16, 3
	v_ffbh_u32_e32 v20, v11
	v_min_u32_e32 v20, 32, v20
	v_lshrrev_b32_e32 v14, 19, v12
	v_subrev_u32_e32 v21, 28, v20
	v_and_b32_e32 v14, 15, v14
	v_lshlrev_b32_sdwa v21, v21, v12 dst_sel:DWORD dst_unused:UNUSED_PAD src0_sel:DWORD src1_sel:WORD_1
	v_bfe_u32 v15, v12, 19, 4
	v_sub_u32_e32 v20, 29, v20
	v_and_b32_e32 v21, 7, v21
	v_cmp_eq_u16_e32 vcc, 0, v14
	v_cndmask_b32_e32 v11, v11, v21, vcc
	v_cndmask_b32_e32 v14, v15, v20, vcc
	v_lshlrev_b32_e32 v15, 8, v12
	v_mov_b32_e32 v20, 0x3b800000
	v_lshlrev_b32_e32 v11, 20, v11
	v_and_b32_e32 v15, 0x80000000, v15
	v_lshl_add_u32 v14, v14, 23, v20
	v_or3_b32 v14, v15, v14, v11
.LBB46_1368:
	s_or_b64 exec, exec, s[6:7]
	s_nop 0
	v_mfma_f32_16x16x4f32 a[0:3], v10, v14, a[0:3]
	s_movk_i32 s4, 0x7f
	v_cmp_gt_i16_sdwa s[6:7], v16, s4 src0_sel:BYTE_3 src1_sel:DWORD
	s_mov_b64 s[4:5], 0
                                        ; implicit-def: $sgpr10
	s_and_saveexec_b64 s[8:9], s[6:7]
	s_xor_b64 s[6:7], exec, s[8:9]
	s_cbranch_execnz .LBB46_3417
; %bb.1369:
	s_or_saveexec_b64 s[6:7], s[6:7]
	v_mov_b32_e32 v10, s10
	s_xor_b64 exec, exec, s[6:7]
	s_cbranch_execnz .LBB46_3420
.LBB46_1370:
	s_or_b64 exec, exec, s[6:7]
	s_and_saveexec_b64 s[6:7], s[4:5]
	s_cbranch_execz .LBB46_1372
.LBB46_1371:
	v_bfe_u32 v10, v16, 24, 3
	v_ffbh_u32_e32 v20, v10
	v_min_u32_e32 v20, 32, v20
	v_lshrrev_b32_e32 v14, 27, v16
	v_subrev_u32_e32 v21, 28, v20
	v_and_b32_e32 v11, 0x80000000, v16
	v_and_b32_e32 v14, 15, v14
	v_bfe_u32 v15, v16, 27, 4
	v_lshlrev_b32_sdwa v16, v21, v16 dst_sel:DWORD dst_unused:UNUSED_PAD src0_sel:DWORD src1_sel:BYTE_3
	v_sub_u32_e32 v20, 29, v20
	v_and_b32_e32 v16, 7, v16
	v_cmp_eq_u16_e32 vcc, 0, v14
	v_cndmask_b32_e32 v10, v10, v16, vcc
	v_cndmask_b32_e32 v14, v15, v20, vcc
	v_mov_b32_e32 v15, 0x3b800000
	v_lshlrev_b32_e32 v10, 20, v10
	v_lshl_add_u32 v14, v14, 23, v15
	v_or3_b32 v10, v11, v14, v10
.LBB46_1372:
	s_or_b64 exec, exec, s[6:7]
	s_movk_i32 s4, 0x7f
	v_cmp_gt_i16_sdwa s[6:7], v12, s4 src0_sel:BYTE_3 src1_sel:DWORD
	s_mov_b64 s[4:5], 0
                                        ; implicit-def: $sgpr10
	s_and_saveexec_b64 s[8:9], s[6:7]
	s_xor_b64 s[6:7], exec, s[8:9]
	s_cbranch_execnz .LBB46_3421
; %bb.1373:
	s_or_saveexec_b64 s[6:7], s[6:7]
	v_mov_b32_e32 v11, s10
	s_xor_b64 exec, exec, s[6:7]
	s_cbranch_execnz .LBB46_3424
.LBB46_1374:
	s_or_b64 exec, exec, s[6:7]
	s_and_saveexec_b64 s[6:7], s[4:5]
	s_cbranch_execz .LBB46_1376
.LBB46_1375:
	v_bfe_u32 v11, v12, 24, 3
	v_ffbh_u32_e32 v20, v11
	v_min_u32_e32 v20, 32, v20
	v_lshrrev_b32_e32 v15, 27, v12
	v_subrev_u32_e32 v21, 28, v20
	v_and_b32_e32 v14, 0x80000000, v12
	v_and_b32_e32 v15, 15, v15
	v_bfe_u32 v16, v12, 27, 4
	v_lshlrev_b32_sdwa v12, v21, v12 dst_sel:DWORD dst_unused:UNUSED_PAD src0_sel:DWORD src1_sel:BYTE_3
	v_sub_u32_e32 v20, 29, v20
	v_and_b32_e32 v12, 7, v12
	v_cmp_eq_u16_e32 vcc, 0, v15
	v_cndmask_b32_e32 v11, v11, v12, vcc
	v_cndmask_b32_e32 v12, v16, v20, vcc
	v_mov_b32_e32 v15, 0x3b800000
	v_lshlrev_b32_e32 v11, 20, v11
	v_lshl_add_u32 v12, v12, 23, v15
	v_or3_b32 v11, v14, v12, v11
.LBB46_1376:
	s_or_b64 exec, exec, s[6:7]
	s_nop 0
	v_mfma_f32_16x16x4f32 a[0:3], v10, v11, a[0:3]
	s_movk_i32 s4, 0x7f
	v_cmp_gt_i16_sdwa s[6:7], v17, s4 src0_sel:BYTE_0 src1_sel:DWORD
	s_mov_b64 s[4:5], 0
                                        ; implicit-def: $sgpr10
	s_and_saveexec_b64 s[8:9], s[6:7]
	s_xor_b64 s[6:7], exec, s[8:9]
	s_cbranch_execnz .LBB46_3425
; %bb.1377:
	s_or_saveexec_b64 s[6:7], s[6:7]
	v_mov_b32_e32 v10, s10
	s_xor_b64 exec, exec, s[6:7]
	s_cbranch_execnz .LBB46_3428
.LBB46_1378:
	s_or_b64 exec, exec, s[6:7]
	s_and_saveexec_b64 s[6:7], s[4:5]
	s_cbranch_execz .LBB46_1380
.LBB46_1379:
	v_and_b32_e32 v10, 7, v17
	v_ffbh_u32_e32 v12, v10
	v_min_u32_e32 v12, 32, v12
	v_lshrrev_b16_e32 v11, 3, v17
	v_subrev_u32_e32 v14, 28, v12
	v_and_b32_e32 v11, 15, v11
	v_lshlrev_b32_e32 v14, v14, v17
	v_sub_u32_e32 v12, 29, v12
	v_and_b32_e32 v14, 7, v14
	v_cmp_eq_u16_e32 vcc, 0, v11
	v_cndmask_b32_e32 v10, v10, v14, vcc
	v_cndmask_b32_e32 v11, v11, v12, vcc
	v_lshlrev_b32_e32 v12, 24, v17
	v_mov_b32_e32 v14, 0x3b800000
	v_lshlrev_b32_e32 v10, 20, v10
	v_and_b32_e32 v12, 0x80000000, v12
	v_lshl_add_u32 v11, v11, 23, v14
	v_or3_b32 v10, v12, v11, v10
.LBB46_1380:
	s_or_b64 exec, exec, s[6:7]
	s_movk_i32 s4, 0x7f
	v_cmp_gt_i16_sdwa s[6:7], v13, s4 src0_sel:BYTE_0 src1_sel:DWORD
	s_mov_b64 s[4:5], 0
                                        ; implicit-def: $sgpr10
	s_and_saveexec_b64 s[8:9], s[6:7]
	s_xor_b64 s[6:7], exec, s[8:9]
	s_cbranch_execnz .LBB46_3429
; %bb.1381:
	s_or_saveexec_b64 s[6:7], s[6:7]
	v_mov_b32_e32 v11, s10
	s_xor_b64 exec, exec, s[6:7]
	s_cbranch_execnz .LBB46_3432
.LBB46_1382:
	s_or_b64 exec, exec, s[6:7]
	s_and_saveexec_b64 s[6:7], s[4:5]
	s_cbranch_execz .LBB46_1384
.LBB46_1383:
	v_and_b32_e32 v11, 7, v13
	v_ffbh_u32_e32 v14, v11
	v_min_u32_e32 v14, 32, v14
	v_lshrrev_b16_e32 v12, 3, v13
	v_subrev_u32_e32 v15, 28, v14
	v_and_b32_e32 v12, 15, v12
	v_lshlrev_b32_e32 v15, v15, v13
	v_sub_u32_e32 v14, 29, v14
	v_and_b32_e32 v15, 7, v15
	v_cmp_eq_u16_e32 vcc, 0, v12
	v_cndmask_b32_e32 v11, v11, v15, vcc
	v_cndmask_b32_e32 v12, v12, v14, vcc
	v_lshlrev_b32_e32 v14, 24, v13
	v_mov_b32_e32 v15, 0x3b800000
	v_lshlrev_b32_e32 v11, 20, v11
	v_and_b32_e32 v14, 0x80000000, v14
	v_lshl_add_u32 v12, v12, 23, v15
	v_or3_b32 v11, v14, v12, v11
.LBB46_1384:
	s_or_b64 exec, exec, s[6:7]
	s_nop 0
	v_mfma_f32_16x16x4f32 a[0:3], v10, v11, a[0:3]
	v_lshrrev_b32_e32 v11, 8, v17
	s_movk_i32 s4, 0x7f
	v_cmp_gt_i16_sdwa s[6:7], v11, s4 src0_sel:BYTE_0 src1_sel:DWORD
	s_mov_b64 s[4:5], 0
                                        ; implicit-def: $sgpr10
	s_and_saveexec_b64 s[8:9], s[6:7]
	s_xor_b64 s[6:7], exec, s[8:9]
	s_cbranch_execnz .LBB46_3433
; %bb.1385:
	s_or_saveexec_b64 s[6:7], s[6:7]
	v_mov_b32_e32 v10, s10
	s_xor_b64 exec, exec, s[6:7]
	s_cbranch_execnz .LBB46_3436
.LBB46_1386:
	s_or_b64 exec, exec, s[6:7]
	s_and_saveexec_b64 s[6:7], s[4:5]
	s_cbranch_execz .LBB46_1388
.LBB46_1387:
	v_bfe_u32 v10, v17, 8, 3
	v_ffbh_u32_e32 v14, v10
	v_min_u32_e32 v14, 32, v14
	v_lshrrev_b16_e32 v12, 3, v11
	v_subrev_u32_e32 v15, 28, v14
	v_and_b32_e32 v12, 15, v12
	v_lshlrev_b32_e32 v11, v15, v11
	v_sub_u32_e32 v14, 29, v14
	v_and_b32_e32 v11, 7, v11
	v_cmp_eq_u16_e32 vcc, 0, v12
	v_cndmask_b32_e32 v10, v10, v11, vcc
	v_cndmask_b32_e32 v11, v12, v14, vcc
	v_lshlrev_b32_e32 v12, 16, v17
	v_mov_b32_e32 v14, 0x3b800000
	v_lshlrev_b32_e32 v10, 20, v10
	v_and_b32_e32 v12, 0x80000000, v12
	v_lshl_add_u32 v11, v11, 23, v14
	v_or3_b32 v10, v12, v11, v10
.LBB46_1388:
	s_or_b64 exec, exec, s[6:7]
	v_lshrrev_b32_e32 v11, 8, v13
	s_movk_i32 s4, 0x7f
	v_cmp_gt_i16_sdwa s[6:7], v11, s4 src0_sel:BYTE_0 src1_sel:DWORD
	s_mov_b64 s[4:5], 0
                                        ; implicit-def: $sgpr10
	s_and_saveexec_b64 s[8:9], s[6:7]
	s_xor_b64 s[6:7], exec, s[8:9]
	s_cbranch_execnz .LBB46_3437
; %bb.1389:
	s_or_saveexec_b64 s[6:7], s[6:7]
	v_mov_b32_e32 v12, s10
	s_xor_b64 exec, exec, s[6:7]
	s_cbranch_execnz .LBB46_3440
.LBB46_1390:
	s_or_b64 exec, exec, s[6:7]
	s_and_saveexec_b64 s[6:7], s[4:5]
	s_cbranch_execz .LBB46_1392
.LBB46_1391:
	v_bfe_u32 v12, v13, 8, 3
	v_ffbh_u32_e32 v15, v12
	v_min_u32_e32 v15, 32, v15
	v_lshrrev_b16_e32 v14, 3, v11
	v_subrev_u32_e32 v16, 28, v15
	v_and_b32_e32 v14, 15, v14
	v_lshlrev_b32_e32 v11, v16, v11
	v_sub_u32_e32 v15, 29, v15
	v_and_b32_e32 v11, 7, v11
	v_cmp_eq_u16_e32 vcc, 0, v14
	v_cndmask_b32_e32 v11, v12, v11, vcc
	v_cndmask_b32_e32 v12, v14, v15, vcc
	v_lshlrev_b32_e32 v14, 16, v13
	v_mov_b32_e32 v15, 0x3b800000
	v_lshlrev_b32_e32 v11, 20, v11
	v_and_b32_e32 v14, 0x80000000, v14
	v_lshl_add_u32 v12, v12, 23, v15
	v_or3_b32 v12, v14, v12, v11
.LBB46_1392:
	s_or_b64 exec, exec, s[6:7]
	s_nop 0
	v_mfma_f32_16x16x4f32 a[0:3], v10, v12, a[0:3]
	s_movk_i32 s4, 0xff
	v_and_b32_sdwa v11, v17, s4 dst_sel:DWORD dst_unused:UNUSED_PAD src0_sel:WORD_1 src1_sel:DWORD
	s_movk_i32 s4, 0x7f
	v_cmp_lt_i16_e32 vcc, s4, v11
	s_mov_b64 s[4:5], 0
                                        ; implicit-def: $sgpr10
	s_and_saveexec_b64 s[6:7], vcc
	s_xor_b64 s[6:7], exec, s[6:7]
	s_cbranch_execnz .LBB46_3441
; %bb.1393:
	s_or_saveexec_b64 s[6:7], s[6:7]
	v_mov_b32_e32 v10, s10
	s_xor_b64 exec, exec, s[6:7]
	s_cbranch_execnz .LBB46_3444
.LBB46_1394:
	s_or_b64 exec, exec, s[6:7]
	s_and_saveexec_b64 s[6:7], s[4:5]
	s_cbranch_execz .LBB46_1396
.LBB46_1395:
	v_bfe_u32 v10, v17, 16, 3
	v_ffbh_u32_e32 v14, v10
	v_min_u32_e32 v14, 32, v14
	v_lshrrev_b32_e32 v11, 19, v17
	v_subrev_u32_e32 v15, 28, v14
	v_and_b32_e32 v11, 15, v11
	v_lshlrev_b32_sdwa v15, v15, v17 dst_sel:DWORD dst_unused:UNUSED_PAD src0_sel:DWORD src1_sel:WORD_1
	v_bfe_u32 v12, v17, 19, 4
	v_sub_u32_e32 v14, 29, v14
	v_and_b32_e32 v15, 7, v15
	v_cmp_eq_u16_e32 vcc, 0, v11
	v_cndmask_b32_e32 v10, v10, v15, vcc
	v_cndmask_b32_e32 v11, v12, v14, vcc
	v_lshlrev_b32_e32 v12, 8, v17
	v_mov_b32_e32 v14, 0x3b800000
	v_lshlrev_b32_e32 v10, 20, v10
	v_and_b32_e32 v12, 0x80000000, v12
	v_lshl_add_u32 v11, v11, 23, v14
	v_or3_b32 v10, v12, v11, v10
.LBB46_1396:
	s_or_b64 exec, exec, s[6:7]
	s_movk_i32 s4, 0xff
	v_and_b32_sdwa v11, v13, s4 dst_sel:DWORD dst_unused:UNUSED_PAD src0_sel:WORD_1 src1_sel:DWORD
	s_movk_i32 s4, 0x7f
	v_cmp_lt_i16_e32 vcc, s4, v11
	s_mov_b64 s[4:5], 0
                                        ; implicit-def: $sgpr10
	s_and_saveexec_b64 s[6:7], vcc
	s_xor_b64 s[6:7], exec, s[6:7]
	s_cbranch_execnz .LBB46_3445
; %bb.1397:
	s_or_saveexec_b64 s[6:7], s[6:7]
	v_mov_b32_e32 v12, s10
	s_xor_b64 exec, exec, s[6:7]
	s_cbranch_execnz .LBB46_3448
.LBB46_1398:
	s_or_b64 exec, exec, s[6:7]
	s_and_saveexec_b64 s[6:7], s[4:5]
	s_cbranch_execz .LBB46_1400
.LBB46_1399:
	v_bfe_u32 v11, v13, 16, 3
	v_ffbh_u32_e32 v15, v11
	v_min_u32_e32 v15, 32, v15
	v_lshrrev_b32_e32 v12, 19, v13
	v_subrev_u32_e32 v16, 28, v15
	v_and_b32_e32 v12, 15, v12
	v_lshlrev_b32_sdwa v16, v16, v13 dst_sel:DWORD dst_unused:UNUSED_PAD src0_sel:DWORD src1_sel:WORD_1
	v_bfe_u32 v14, v13, 19, 4
	v_sub_u32_e32 v15, 29, v15
	v_and_b32_e32 v16, 7, v16
	v_cmp_eq_u16_e32 vcc, 0, v12
	v_cndmask_b32_e32 v11, v11, v16, vcc
	v_cndmask_b32_e32 v12, v14, v15, vcc
	v_lshlrev_b32_e32 v14, 8, v13
	v_mov_b32_e32 v15, 0x3b800000
	v_lshlrev_b32_e32 v11, 20, v11
	v_and_b32_e32 v14, 0x80000000, v14
	v_lshl_add_u32 v12, v12, 23, v15
	v_or3_b32 v12, v14, v12, v11
.LBB46_1400:
	s_or_b64 exec, exec, s[6:7]
	s_nop 0
	v_mfma_f32_16x16x4f32 a[0:3], v10, v12, a[0:3]
	s_movk_i32 s4, 0x7f
	v_cmp_gt_i16_sdwa s[6:7], v17, s4 src0_sel:BYTE_3 src1_sel:DWORD
	s_mov_b64 s[4:5], 0
                                        ; implicit-def: $sgpr10
	s_and_saveexec_b64 s[8:9], s[6:7]
	s_xor_b64 s[6:7], exec, s[8:9]
	s_cbranch_execnz .LBB46_3449
; %bb.1401:
	s_or_saveexec_b64 s[6:7], s[6:7]
	v_mov_b32_e32 v10, s10
	s_xor_b64 exec, exec, s[6:7]
	s_cbranch_execnz .LBB46_3452
.LBB46_1402:
	s_or_b64 exec, exec, s[6:7]
	s_and_saveexec_b64 s[6:7], s[4:5]
	s_cbranch_execz .LBB46_1404
.LBB46_1403:
	v_bfe_u32 v10, v17, 24, 3
	v_ffbh_u32_e32 v15, v10
	v_min_u32_e32 v15, 32, v15
	v_lshrrev_b32_e32 v12, 27, v17
	v_subrev_u32_e32 v16, 28, v15
	v_and_b32_e32 v12, 15, v12
	v_lshlrev_b32_sdwa v16, v16, v17 dst_sel:DWORD dst_unused:UNUSED_PAD src0_sel:DWORD src1_sel:BYTE_3
	v_bfe_u32 v14, v17, 27, 4
	v_sub_u32_e32 v15, 29, v15
	v_and_b32_e32 v16, 7, v16
	v_cmp_eq_u16_e32 vcc, 0, v12
	v_cndmask_b32_e32 v10, v10, v16, vcc
	v_cndmask_b32_e32 v12, v14, v15, vcc
	v_mov_b32_e32 v14, 0x3b800000
	v_and_b32_e32 v11, 0x80000000, v17
	v_lshlrev_b32_e32 v10, 20, v10
	v_lshl_add_u32 v12, v12, 23, v14
	v_or3_b32 v10, v11, v12, v10
.LBB46_1404:
	s_or_b64 exec, exec, s[6:7]
	s_movk_i32 s4, 0x7f
	v_cmp_gt_i16_sdwa s[6:7], v13, s4 src0_sel:BYTE_3 src1_sel:DWORD
	s_mov_b64 s[4:5], 0
                                        ; implicit-def: $sgpr10
	s_and_saveexec_b64 s[8:9], s[6:7]
	s_xor_b64 s[6:7], exec, s[8:9]
	s_cbranch_execnz .LBB46_3453
; %bb.1405:
	s_or_saveexec_b64 s[6:7], s[6:7]
	v_mov_b32_e32 v11, s10
	s_xor_b64 exec, exec, s[6:7]
	s_cbranch_execnz .LBB46_3456
.LBB46_1406:
	s_or_b64 exec, exec, s[6:7]
	s_and_saveexec_b64 s[6:7], s[4:5]
	s_cbranch_execz .LBB46_1408
.LBB46_1407:
	v_bfe_u32 v11, v13, 24, 3
	v_ffbh_u32_e32 v16, v11
	v_min_u32_e32 v16, 32, v16
	v_lshrrev_b32_e32 v14, 27, v13
	v_subrev_u32_e32 v17, 28, v16
	v_and_b32_e32 v12, 0x80000000, v13
	v_and_b32_e32 v14, 15, v14
	v_bfe_u32 v15, v13, 27, 4
	v_lshlrev_b32_sdwa v13, v17, v13 dst_sel:DWORD dst_unused:UNUSED_PAD src0_sel:DWORD src1_sel:BYTE_3
	v_sub_u32_e32 v16, 29, v16
	v_and_b32_e32 v13, 7, v13
	v_cmp_eq_u16_e32 vcc, 0, v14
	v_cndmask_b32_e32 v11, v11, v13, vcc
	v_cndmask_b32_e32 v13, v15, v16, vcc
	v_mov_b32_e32 v14, 0x3b800000
	v_lshlrev_b32_e32 v11, 20, v11
	v_lshl_add_u32 v13, v13, 23, v14
	v_or3_b32 v11, v12, v13, v11
.LBB46_1408:
	s_or_b64 exec, exec, s[6:7]
	s_nop 0
	v_mfma_f32_16x16x4f32 a[0:3], v10, v11, a[0:3]
	s_movk_i32 s4, 0x7f
	v_cmp_gt_i16_sdwa s[6:7], v6, s4 src0_sel:BYTE_0 src1_sel:DWORD
	s_mov_b64 s[4:5], 0
                                        ; implicit-def: $sgpr10
	s_and_saveexec_b64 s[8:9], s[6:7]
	s_xor_b64 s[6:7], exec, s[8:9]
	s_cbranch_execnz .LBB46_3457
; %bb.1409:
	s_or_saveexec_b64 s[6:7], s[6:7]
	v_mov_b32_e32 v10, s10
	s_xor_b64 exec, exec, s[6:7]
	s_cbranch_execnz .LBB46_3460
.LBB46_1410:
	s_or_b64 exec, exec, s[6:7]
	s_and_saveexec_b64 s[6:7], s[4:5]
	s_cbranch_execz .LBB46_1412
.LBB46_1411:
	v_and_b32_e32 v10, 7, v6
	v_ffbh_u32_e32 v12, v10
	v_min_u32_e32 v12, 32, v12
	v_lshrrev_b16_e32 v11, 3, v6
	v_subrev_u32_e32 v13, 28, v12
	v_and_b32_e32 v11, 15, v11
	v_lshlrev_b32_e32 v13, v13, v6
	v_sub_u32_e32 v12, 29, v12
	v_and_b32_e32 v13, 7, v13
	v_cmp_eq_u16_e32 vcc, 0, v11
	v_cndmask_b32_e32 v10, v10, v13, vcc
	v_cndmask_b32_e32 v11, v11, v12, vcc
	v_lshlrev_b32_e32 v12, 24, v6
	v_mov_b32_e32 v13, 0x3b800000
	v_lshlrev_b32_e32 v10, 20, v10
	v_and_b32_e32 v12, 0x80000000, v12
	v_lshl_add_u32 v11, v11, 23, v13
	v_or3_b32 v10, v12, v11, v10
.LBB46_1412:
	s_or_b64 exec, exec, s[6:7]
	s_movk_i32 s4, 0x7f
	v_cmp_gt_i16_sdwa s[6:7], v2, s4 src0_sel:BYTE_0 src1_sel:DWORD
	s_mov_b64 s[4:5], 0
                                        ; implicit-def: $sgpr10
	s_and_saveexec_b64 s[8:9], s[6:7]
	s_xor_b64 s[6:7], exec, s[8:9]
	s_cbranch_execnz .LBB46_3461
; %bb.1413:
	s_or_saveexec_b64 s[6:7], s[6:7]
	v_mov_b32_e32 v11, s10
	s_xor_b64 exec, exec, s[6:7]
	s_cbranch_execnz .LBB46_3464
.LBB46_1414:
	s_or_b64 exec, exec, s[6:7]
	s_and_saveexec_b64 s[6:7], s[4:5]
	s_cbranch_execz .LBB46_1416
.LBB46_1415:
	v_and_b32_e32 v11, 7, v2
	v_ffbh_u32_e32 v13, v11
	v_min_u32_e32 v13, 32, v13
	v_lshrrev_b16_e32 v12, 3, v2
	v_subrev_u32_e32 v14, 28, v13
	v_and_b32_e32 v12, 15, v12
	v_lshlrev_b32_e32 v14, v14, v2
	v_sub_u32_e32 v13, 29, v13
	v_and_b32_e32 v14, 7, v14
	v_cmp_eq_u16_e32 vcc, 0, v12
	v_cndmask_b32_e32 v11, v11, v14, vcc
	v_cndmask_b32_e32 v12, v12, v13, vcc
	v_lshlrev_b32_e32 v13, 24, v2
	v_mov_b32_e32 v14, 0x3b800000
	v_lshlrev_b32_e32 v11, 20, v11
	v_and_b32_e32 v13, 0x80000000, v13
	v_lshl_add_u32 v12, v12, 23, v14
	v_or3_b32 v11, v13, v12, v11
.LBB46_1416:
	s_or_b64 exec, exec, s[6:7]
	s_nop 0
	v_mfma_f32_16x16x4f32 a[0:3], v10, v11, a[0:3]
	v_lshrrev_b32_e32 v11, 8, v6
	s_movk_i32 s4, 0x7f
	v_cmp_gt_i16_sdwa s[6:7], v11, s4 src0_sel:BYTE_0 src1_sel:DWORD
	s_mov_b64 s[4:5], 0
                                        ; implicit-def: $sgpr10
	s_and_saveexec_b64 s[8:9], s[6:7]
	s_xor_b64 s[6:7], exec, s[8:9]
	s_cbranch_execnz .LBB46_3465
; %bb.1417:
	s_or_saveexec_b64 s[6:7], s[6:7]
	v_mov_b32_e32 v10, s10
	s_xor_b64 exec, exec, s[6:7]
	s_cbranch_execnz .LBB46_3468
.LBB46_1418:
	s_or_b64 exec, exec, s[6:7]
	s_and_saveexec_b64 s[6:7], s[4:5]
	s_cbranch_execz .LBB46_1420
.LBB46_1419:
	v_bfe_u32 v10, v6, 8, 3
	v_ffbh_u32_e32 v13, v10
	v_min_u32_e32 v13, 32, v13
	v_lshrrev_b16_e32 v12, 3, v11
	v_subrev_u32_e32 v14, 28, v13
	v_and_b32_e32 v12, 15, v12
	v_lshlrev_b32_e32 v11, v14, v11
	v_sub_u32_e32 v13, 29, v13
	v_and_b32_e32 v11, 7, v11
	v_cmp_eq_u16_e32 vcc, 0, v12
	v_cndmask_b32_e32 v10, v10, v11, vcc
	v_cndmask_b32_e32 v11, v12, v13, vcc
	v_lshlrev_b32_e32 v12, 16, v6
	v_mov_b32_e32 v13, 0x3b800000
	v_lshlrev_b32_e32 v10, 20, v10
	v_and_b32_e32 v12, 0x80000000, v12
	v_lshl_add_u32 v11, v11, 23, v13
	v_or3_b32 v10, v12, v11, v10
.LBB46_1420:
	s_or_b64 exec, exec, s[6:7]
	v_lshrrev_b32_e32 v11, 8, v2
	s_movk_i32 s4, 0x7f
	v_cmp_gt_i16_sdwa s[6:7], v11, s4 src0_sel:BYTE_0 src1_sel:DWORD
	s_mov_b64 s[4:5], 0
                                        ; implicit-def: $sgpr10
	s_and_saveexec_b64 s[8:9], s[6:7]
	s_xor_b64 s[6:7], exec, s[8:9]
	s_cbranch_execnz .LBB46_3469
; %bb.1421:
	s_or_saveexec_b64 s[6:7], s[6:7]
	v_mov_b32_e32 v12, s10
	s_xor_b64 exec, exec, s[6:7]
	s_cbranch_execnz .LBB46_3472
.LBB46_1422:
	s_or_b64 exec, exec, s[6:7]
	s_and_saveexec_b64 s[6:7], s[4:5]
	s_cbranch_execz .LBB46_1424
.LBB46_1423:
	v_bfe_u32 v12, v2, 8, 3
	v_ffbh_u32_e32 v14, v12
	v_min_u32_e32 v14, 32, v14
	v_lshrrev_b16_e32 v13, 3, v11
	v_subrev_u32_e32 v15, 28, v14
	v_and_b32_e32 v13, 15, v13
	v_lshlrev_b32_e32 v11, v15, v11
	v_sub_u32_e32 v14, 29, v14
	v_and_b32_e32 v11, 7, v11
	v_cmp_eq_u16_e32 vcc, 0, v13
	v_cndmask_b32_e32 v11, v12, v11, vcc
	v_cndmask_b32_e32 v12, v13, v14, vcc
	v_lshlrev_b32_e32 v13, 16, v2
	v_mov_b32_e32 v14, 0x3b800000
	v_lshlrev_b32_e32 v11, 20, v11
	v_and_b32_e32 v13, 0x80000000, v13
	v_lshl_add_u32 v12, v12, 23, v14
	v_or3_b32 v12, v13, v12, v11
.LBB46_1424:
	s_or_b64 exec, exec, s[6:7]
	s_nop 0
	v_mfma_f32_16x16x4f32 a[0:3], v10, v12, a[0:3]
	s_movk_i32 s4, 0xff
	v_and_b32_sdwa v11, v6, s4 dst_sel:DWORD dst_unused:UNUSED_PAD src0_sel:WORD_1 src1_sel:DWORD
	s_movk_i32 s4, 0x7f
	v_cmp_lt_i16_e32 vcc, s4, v11
	s_mov_b64 s[4:5], 0
                                        ; implicit-def: $sgpr10
	s_and_saveexec_b64 s[6:7], vcc
	s_xor_b64 s[6:7], exec, s[6:7]
	s_cbranch_execnz .LBB46_3473
; %bb.1425:
	s_or_saveexec_b64 s[6:7], s[6:7]
	v_mov_b32_e32 v10, s10
	s_xor_b64 exec, exec, s[6:7]
	s_cbranch_execnz .LBB46_3476
.LBB46_1426:
	s_or_b64 exec, exec, s[6:7]
	s_and_saveexec_b64 s[6:7], s[4:5]
	s_cbranch_execz .LBB46_1428
.LBB46_1427:
	v_bfe_u32 v10, v6, 16, 3
	v_ffbh_u32_e32 v13, v10
	v_min_u32_e32 v13, 32, v13
	v_lshrrev_b32_e32 v11, 19, v6
	v_subrev_u32_e32 v14, 28, v13
	v_and_b32_e32 v11, 15, v11
	v_lshlrev_b32_sdwa v14, v14, v6 dst_sel:DWORD dst_unused:UNUSED_PAD src0_sel:DWORD src1_sel:WORD_1
	v_bfe_u32 v12, v6, 19, 4
	v_sub_u32_e32 v13, 29, v13
	v_and_b32_e32 v14, 7, v14
	v_cmp_eq_u16_e32 vcc, 0, v11
	v_cndmask_b32_e32 v10, v10, v14, vcc
	v_cndmask_b32_e32 v11, v12, v13, vcc
	v_lshlrev_b32_e32 v12, 8, v6
	v_mov_b32_e32 v13, 0x3b800000
	v_lshlrev_b32_e32 v10, 20, v10
	v_and_b32_e32 v12, 0x80000000, v12
	v_lshl_add_u32 v11, v11, 23, v13
	v_or3_b32 v10, v12, v11, v10
.LBB46_1428:
	s_or_b64 exec, exec, s[6:7]
	s_movk_i32 s4, 0xff
	v_and_b32_sdwa v11, v2, s4 dst_sel:DWORD dst_unused:UNUSED_PAD src0_sel:WORD_1 src1_sel:DWORD
	s_movk_i32 s4, 0x7f
	v_cmp_lt_i16_e32 vcc, s4, v11
	s_mov_b64 s[4:5], 0
                                        ; implicit-def: $sgpr10
	s_and_saveexec_b64 s[6:7], vcc
	s_xor_b64 s[6:7], exec, s[6:7]
	s_cbranch_execnz .LBB46_3477
; %bb.1429:
	s_or_saveexec_b64 s[6:7], s[6:7]
	v_mov_b32_e32 v12, s10
	s_xor_b64 exec, exec, s[6:7]
	s_cbranch_execnz .LBB46_3480
.LBB46_1430:
	s_or_b64 exec, exec, s[6:7]
	s_and_saveexec_b64 s[6:7], s[4:5]
	s_cbranch_execz .LBB46_1432
.LBB46_1431:
	v_bfe_u32 v11, v2, 16, 3
	v_ffbh_u32_e32 v14, v11
	v_min_u32_e32 v14, 32, v14
	v_lshrrev_b32_e32 v12, 19, v2
	v_subrev_u32_e32 v15, 28, v14
	v_and_b32_e32 v12, 15, v12
	v_lshlrev_b32_sdwa v15, v15, v2 dst_sel:DWORD dst_unused:UNUSED_PAD src0_sel:DWORD src1_sel:WORD_1
	v_bfe_u32 v13, v2, 19, 4
	v_sub_u32_e32 v14, 29, v14
	v_and_b32_e32 v15, 7, v15
	v_cmp_eq_u16_e32 vcc, 0, v12
	v_cndmask_b32_e32 v11, v11, v15, vcc
	v_cndmask_b32_e32 v12, v13, v14, vcc
	v_lshlrev_b32_e32 v13, 8, v2
	v_mov_b32_e32 v14, 0x3b800000
	v_lshlrev_b32_e32 v11, 20, v11
	v_and_b32_e32 v13, 0x80000000, v13
	v_lshl_add_u32 v12, v12, 23, v14
	v_or3_b32 v12, v13, v12, v11
.LBB46_1432:
	s_or_b64 exec, exec, s[6:7]
	s_nop 0
	v_mfma_f32_16x16x4f32 a[0:3], v10, v12, a[0:3]
	s_movk_i32 s4, 0x7f
	v_cmp_gt_i16_sdwa s[6:7], v6, s4 src0_sel:BYTE_3 src1_sel:DWORD
	s_mov_b64 s[4:5], 0
                                        ; implicit-def: $sgpr10
	s_and_saveexec_b64 s[8:9], s[6:7]
	s_xor_b64 s[6:7], exec, s[8:9]
	s_cbranch_execnz .LBB46_3481
; %bb.1433:
	s_or_saveexec_b64 s[6:7], s[6:7]
	v_mov_b32_e32 v10, s10
	s_xor_b64 exec, exec, s[6:7]
	s_cbranch_execnz .LBB46_3484
.LBB46_1434:
	s_or_b64 exec, exec, s[6:7]
	s_and_saveexec_b64 s[6:7], s[4:5]
	s_cbranch_execz .LBB46_1436
.LBB46_1435:
	v_bfe_u32 v10, v6, 24, 3
	v_ffbh_u32_e32 v14, v10
	v_min_u32_e32 v14, 32, v14
	v_lshrrev_b32_e32 v12, 27, v6
	v_subrev_u32_e32 v15, 28, v14
	v_and_b32_e32 v11, 0x80000000, v6
	v_and_b32_e32 v12, 15, v12
	v_bfe_u32 v13, v6, 27, 4
	v_lshlrev_b32_sdwa v6, v15, v6 dst_sel:DWORD dst_unused:UNUSED_PAD src0_sel:DWORD src1_sel:BYTE_3
	v_sub_u32_e32 v14, 29, v14
	v_and_b32_e32 v6, 7, v6
	v_cmp_eq_u16_e32 vcc, 0, v12
	v_cndmask_b32_e32 v6, v10, v6, vcc
	v_cndmask_b32_e32 v10, v13, v14, vcc
	v_mov_b32_e32 v12, 0x3b800000
	v_lshlrev_b32_e32 v6, 20, v6
	v_lshl_add_u32 v10, v10, 23, v12
	v_or3_b32 v10, v11, v10, v6
.LBB46_1436:
	s_or_b64 exec, exec, s[6:7]
	s_movk_i32 s4, 0x7f
	v_cmp_gt_i16_sdwa s[6:7], v2, s4 src0_sel:BYTE_3 src1_sel:DWORD
	s_mov_b64 s[4:5], 0
                                        ; implicit-def: $sgpr10
	s_and_saveexec_b64 s[8:9], s[6:7]
	s_xor_b64 s[6:7], exec, s[8:9]
	s_cbranch_execnz .LBB46_3485
; %bb.1437:
	s_or_saveexec_b64 s[6:7], s[6:7]
	v_mov_b32_e32 v6, s10
	s_xor_b64 exec, exec, s[6:7]
	s_cbranch_execnz .LBB46_3488
.LBB46_1438:
	s_or_b64 exec, exec, s[6:7]
	s_and_saveexec_b64 s[6:7], s[4:5]
	s_cbranch_execz .LBB46_1440
.LBB46_1439:
	v_bfe_u32 v6, v2, 24, 3
	v_ffbh_u32_e32 v14, v6
	v_min_u32_e32 v14, 32, v14
	v_lshrrev_b32_e32 v12, 27, v2
	v_subrev_u32_e32 v15, 28, v14
	v_and_b32_e32 v11, 0x80000000, v2
	v_and_b32_e32 v12, 15, v12
	v_bfe_u32 v13, v2, 27, 4
	v_lshlrev_b32_sdwa v2, v15, v2 dst_sel:DWORD dst_unused:UNUSED_PAD src0_sel:DWORD src1_sel:BYTE_3
	v_sub_u32_e32 v14, 29, v14
	v_and_b32_e32 v2, 7, v2
	v_cmp_eq_u16_e32 vcc, 0, v12
	v_cndmask_b32_e32 v2, v6, v2, vcc
	v_cndmask_b32_e32 v6, v13, v14, vcc
	v_mov_b32_e32 v12, 0x3b800000
	v_lshlrev_b32_e32 v2, 20, v2
	v_lshl_add_u32 v6, v6, 23, v12
	v_or3_b32 v6, v11, v6, v2
.LBB46_1440:
	s_or_b64 exec, exec, s[6:7]
	s_nop 0
	v_mfma_f32_16x16x4f32 a[0:3], v10, v6, a[0:3]
	s_movk_i32 s4, 0x7f
	v_cmp_gt_i16_sdwa s[6:7], v7, s4 src0_sel:BYTE_0 src1_sel:DWORD
	s_mov_b64 s[4:5], 0
                                        ; implicit-def: $sgpr10
	s_and_saveexec_b64 s[8:9], s[6:7]
	s_xor_b64 s[6:7], exec, s[8:9]
	s_cbranch_execnz .LBB46_3489
; %bb.1441:
	s_or_saveexec_b64 s[6:7], s[6:7]
	v_mov_b32_e32 v2, s10
	s_xor_b64 exec, exec, s[6:7]
	s_cbranch_execnz .LBB46_3492
.LBB46_1442:
	s_or_b64 exec, exec, s[6:7]
	s_and_saveexec_b64 s[6:7], s[4:5]
	s_cbranch_execz .LBB46_1444
.LBB46_1443:
	v_and_b32_e32 v2, 7, v7
	v_ffbh_u32_e32 v10, v2
	v_min_u32_e32 v10, 32, v10
	v_lshrrev_b16_e32 v6, 3, v7
	v_subrev_u32_e32 v11, 28, v10
	v_and_b32_e32 v6, 15, v6
	v_lshlrev_b32_e32 v11, v11, v7
	v_sub_u32_e32 v10, 29, v10
	v_and_b32_e32 v11, 7, v11
	v_cmp_eq_u16_e32 vcc, 0, v6
	v_cndmask_b32_e32 v2, v2, v11, vcc
	v_cndmask_b32_e32 v6, v6, v10, vcc
	v_lshlrev_b32_e32 v10, 24, v7
	v_mov_b32_e32 v11, 0x3b800000
	v_lshlrev_b32_e32 v2, 20, v2
	v_and_b32_e32 v10, 0x80000000, v10
	v_lshl_add_u32 v6, v6, 23, v11
	v_or3_b32 v2, v10, v6, v2
.LBB46_1444:
	s_or_b64 exec, exec, s[6:7]
	s_movk_i32 s4, 0x7f
	v_cmp_gt_i16_sdwa s[6:7], v3, s4 src0_sel:BYTE_0 src1_sel:DWORD
	s_mov_b64 s[4:5], 0
                                        ; implicit-def: $sgpr10
	s_and_saveexec_b64 s[8:9], s[6:7]
	s_xor_b64 s[6:7], exec, s[8:9]
	s_cbranch_execnz .LBB46_3493
; %bb.1445:
	s_or_saveexec_b64 s[6:7], s[6:7]
	v_mov_b32_e32 v6, s10
	s_xor_b64 exec, exec, s[6:7]
	s_cbranch_execnz .LBB46_3496
.LBB46_1446:
	s_or_b64 exec, exec, s[6:7]
	s_and_saveexec_b64 s[6:7], s[4:5]
	s_cbranch_execz .LBB46_1448
.LBB46_1447:
	v_and_b32_e32 v6, 7, v3
	v_ffbh_u32_e32 v11, v6
	v_min_u32_e32 v11, 32, v11
	v_lshrrev_b16_e32 v10, 3, v3
	v_subrev_u32_e32 v12, 28, v11
	v_and_b32_e32 v10, 15, v10
	v_lshlrev_b32_e32 v12, v12, v3
	v_sub_u32_e32 v11, 29, v11
	v_and_b32_e32 v12, 7, v12
	v_cmp_eq_u16_e32 vcc, 0, v10
	v_cndmask_b32_e32 v6, v6, v12, vcc
	v_cndmask_b32_e32 v10, v10, v11, vcc
	v_lshlrev_b32_e32 v11, 24, v3
	v_mov_b32_e32 v12, 0x3b800000
	v_lshlrev_b32_e32 v6, 20, v6
	v_and_b32_e32 v11, 0x80000000, v11
	v_lshl_add_u32 v10, v10, 23, v12
	v_or3_b32 v6, v11, v10, v6
.LBB46_1448:
	s_or_b64 exec, exec, s[6:7]
	s_nop 0
	v_mfma_f32_16x16x4f32 a[0:3], v2, v6, a[0:3]
	v_lshrrev_b32_e32 v6, 8, v7
	s_movk_i32 s4, 0x7f
	v_cmp_gt_i16_sdwa s[6:7], v6, s4 src0_sel:BYTE_0 src1_sel:DWORD
	s_mov_b64 s[4:5], 0
                                        ; implicit-def: $sgpr10
	s_and_saveexec_b64 s[8:9], s[6:7]
	s_xor_b64 s[6:7], exec, s[8:9]
	s_cbranch_execnz .LBB46_3497
; %bb.1449:
	s_or_saveexec_b64 s[6:7], s[6:7]
	v_mov_b32_e32 v2, s10
	s_xor_b64 exec, exec, s[6:7]
	s_cbranch_execnz .LBB46_3500
.LBB46_1450:
	s_or_b64 exec, exec, s[6:7]
	s_and_saveexec_b64 s[6:7], s[4:5]
	s_cbranch_execz .LBB46_1452
.LBB46_1451:
	v_bfe_u32 v2, v7, 8, 3
	v_ffbh_u32_e32 v11, v2
	v_min_u32_e32 v11, 32, v11
	v_lshrrev_b16_e32 v10, 3, v6
	v_subrev_u32_e32 v12, 28, v11
	v_and_b32_e32 v10, 15, v10
	v_lshlrev_b32_e32 v6, v12, v6
	v_sub_u32_e32 v11, 29, v11
	v_and_b32_e32 v6, 7, v6
	v_cmp_eq_u16_e32 vcc, 0, v10
	v_cndmask_b32_e32 v2, v2, v6, vcc
	v_cndmask_b32_e32 v6, v10, v11, vcc
	v_lshlrev_b32_e32 v10, 16, v7
	v_mov_b32_e32 v11, 0x3b800000
	v_lshlrev_b32_e32 v2, 20, v2
	v_and_b32_e32 v10, 0x80000000, v10
	v_lshl_add_u32 v6, v6, 23, v11
	v_or3_b32 v2, v10, v6, v2
.LBB46_1452:
	s_or_b64 exec, exec, s[6:7]
	v_lshrrev_b32_e32 v6, 8, v3
	s_movk_i32 s4, 0x7f
	v_cmp_gt_i16_sdwa s[6:7], v6, s4 src0_sel:BYTE_0 src1_sel:DWORD
	s_mov_b64 s[4:5], 0
                                        ; implicit-def: $sgpr10
	s_and_saveexec_b64 s[8:9], s[6:7]
	s_xor_b64 s[6:7], exec, s[8:9]
	s_cbranch_execnz .LBB46_3501
; %bb.1453:
	s_or_saveexec_b64 s[6:7], s[6:7]
	v_mov_b32_e32 v10, s10
	s_xor_b64 exec, exec, s[6:7]
	s_cbranch_execnz .LBB46_3504
.LBB46_1454:
	s_or_b64 exec, exec, s[6:7]
	s_and_saveexec_b64 s[6:7], s[4:5]
	s_cbranch_execz .LBB46_1456
.LBB46_1455:
	v_bfe_u32 v10, v3, 8, 3
	v_ffbh_u32_e32 v12, v10
	v_min_u32_e32 v12, 32, v12
	v_lshrrev_b16_e32 v11, 3, v6
	v_subrev_u32_e32 v13, 28, v12
	v_and_b32_e32 v11, 15, v11
	v_lshlrev_b32_e32 v6, v13, v6
	v_sub_u32_e32 v12, 29, v12
	v_and_b32_e32 v6, 7, v6
	v_cmp_eq_u16_e32 vcc, 0, v11
	v_cndmask_b32_e32 v6, v10, v6, vcc
	v_cndmask_b32_e32 v10, v11, v12, vcc
	v_lshlrev_b32_e32 v11, 16, v3
	v_mov_b32_e32 v12, 0x3b800000
	v_lshlrev_b32_e32 v6, 20, v6
	v_and_b32_e32 v11, 0x80000000, v11
	v_lshl_add_u32 v10, v10, 23, v12
	v_or3_b32 v10, v11, v10, v6
.LBB46_1456:
	s_or_b64 exec, exec, s[6:7]
	s_nop 0
	v_mfma_f32_16x16x4f32 a[0:3], v2, v10, a[0:3]
	s_movk_i32 s4, 0xff
	v_and_b32_sdwa v6, v7, s4 dst_sel:DWORD dst_unused:UNUSED_PAD src0_sel:WORD_1 src1_sel:DWORD
	s_movk_i32 s4, 0x7f
	v_cmp_lt_i16_e32 vcc, s4, v6
	s_mov_b64 s[4:5], 0
                                        ; implicit-def: $sgpr10
	s_and_saveexec_b64 s[6:7], vcc
	s_xor_b64 s[6:7], exec, s[6:7]
	s_cbranch_execnz .LBB46_3505
; %bb.1457:
	s_or_saveexec_b64 s[6:7], s[6:7]
	v_mov_b32_e32 v2, s10
	s_xor_b64 exec, exec, s[6:7]
	s_cbranch_execnz .LBB46_3508
.LBB46_1458:
	s_or_b64 exec, exec, s[6:7]
	s_and_saveexec_b64 s[6:7], s[4:5]
	s_cbranch_execz .LBB46_1460
.LBB46_1459:
	v_bfe_u32 v2, v7, 16, 3
	v_ffbh_u32_e32 v11, v2
	v_min_u32_e32 v11, 32, v11
	v_lshrrev_b32_e32 v6, 19, v7
	v_subrev_u32_e32 v12, 28, v11
	v_and_b32_e32 v6, 15, v6
	v_lshlrev_b32_sdwa v12, v12, v7 dst_sel:DWORD dst_unused:UNUSED_PAD src0_sel:DWORD src1_sel:WORD_1
	v_bfe_u32 v10, v7, 19, 4
	v_sub_u32_e32 v11, 29, v11
	v_and_b32_e32 v12, 7, v12
	v_cmp_eq_u16_e32 vcc, 0, v6
	v_cndmask_b32_e32 v2, v2, v12, vcc
	v_cndmask_b32_e32 v6, v10, v11, vcc
	v_lshlrev_b32_e32 v10, 8, v7
	v_mov_b32_e32 v11, 0x3b800000
	v_lshlrev_b32_e32 v2, 20, v2
	v_and_b32_e32 v10, 0x80000000, v10
	v_lshl_add_u32 v6, v6, 23, v11
	v_or3_b32 v2, v10, v6, v2
.LBB46_1460:
	s_or_b64 exec, exec, s[6:7]
	s_movk_i32 s4, 0xff
	v_and_b32_sdwa v6, v3, s4 dst_sel:DWORD dst_unused:UNUSED_PAD src0_sel:WORD_1 src1_sel:DWORD
	s_movk_i32 s4, 0x7f
	v_cmp_lt_i16_e32 vcc, s4, v6
	s_mov_b64 s[4:5], 0
                                        ; implicit-def: $sgpr10
	s_and_saveexec_b64 s[6:7], vcc
	s_xor_b64 s[6:7], exec, s[6:7]
	s_cbranch_execnz .LBB46_3509
; %bb.1461:
	s_or_saveexec_b64 s[6:7], s[6:7]
	v_mov_b32_e32 v10, s10
	s_xor_b64 exec, exec, s[6:7]
	s_cbranch_execnz .LBB46_3512
.LBB46_1462:
	s_or_b64 exec, exec, s[6:7]
	s_and_saveexec_b64 s[6:7], s[4:5]
	s_cbranch_execz .LBB46_1464
.LBB46_1463:
	v_bfe_u32 v6, v3, 16, 3
	v_ffbh_u32_e32 v12, v6
	v_min_u32_e32 v12, 32, v12
	v_lshrrev_b32_e32 v10, 19, v3
	v_subrev_u32_e32 v13, 28, v12
	v_and_b32_e32 v10, 15, v10
	v_lshlrev_b32_sdwa v13, v13, v3 dst_sel:DWORD dst_unused:UNUSED_PAD src0_sel:DWORD src1_sel:WORD_1
	v_bfe_u32 v11, v3, 19, 4
	v_sub_u32_e32 v12, 29, v12
	v_and_b32_e32 v13, 7, v13
	v_cmp_eq_u16_e32 vcc, 0, v10
	v_cndmask_b32_e32 v6, v6, v13, vcc
	v_cndmask_b32_e32 v10, v11, v12, vcc
	v_lshlrev_b32_e32 v11, 8, v3
	v_mov_b32_e32 v12, 0x3b800000
	v_lshlrev_b32_e32 v6, 20, v6
	v_and_b32_e32 v11, 0x80000000, v11
	v_lshl_add_u32 v10, v10, 23, v12
	v_or3_b32 v10, v11, v10, v6
.LBB46_1464:
	s_or_b64 exec, exec, s[6:7]
	s_nop 0
	v_mfma_f32_16x16x4f32 a[0:3], v2, v10, a[0:3]
	s_movk_i32 s4, 0x7f
	v_cmp_gt_i16_sdwa s[6:7], v7, s4 src0_sel:BYTE_3 src1_sel:DWORD
	s_mov_b64 s[4:5], 0
                                        ; implicit-def: $sgpr10
	s_and_saveexec_b64 s[8:9], s[6:7]
	s_xor_b64 s[6:7], exec, s[8:9]
	s_cbranch_execnz .LBB46_3513
; %bb.1465:
	s_or_saveexec_b64 s[6:7], s[6:7]
	v_mov_b32_e32 v2, s10
	s_xor_b64 exec, exec, s[6:7]
	s_cbranch_execnz .LBB46_3516
.LBB46_1466:
	s_or_b64 exec, exec, s[6:7]
	s_and_saveexec_b64 s[6:7], s[4:5]
	s_cbranch_execz .LBB46_1468
.LBB46_1467:
	v_bfe_u32 v2, v7, 24, 3
	v_ffbh_u32_e32 v12, v2
	v_min_u32_e32 v12, 32, v12
	v_lshrrev_b32_e32 v10, 27, v7
	v_subrev_u32_e32 v13, 28, v12
	v_and_b32_e32 v6, 0x80000000, v7
	v_and_b32_e32 v10, 15, v10
	v_bfe_u32 v11, v7, 27, 4
	v_lshlrev_b32_sdwa v7, v13, v7 dst_sel:DWORD dst_unused:UNUSED_PAD src0_sel:DWORD src1_sel:BYTE_3
	v_sub_u32_e32 v12, 29, v12
	v_and_b32_e32 v7, 7, v7
	v_cmp_eq_u16_e32 vcc, 0, v10
	v_cndmask_b32_e32 v2, v2, v7, vcc
	v_cndmask_b32_e32 v7, v11, v12, vcc
	v_mov_b32_e32 v10, 0x3b800000
	v_lshlrev_b32_e32 v2, 20, v2
	v_lshl_add_u32 v7, v7, 23, v10
	v_or3_b32 v2, v6, v7, v2
.LBB46_1468:
	s_or_b64 exec, exec, s[6:7]
	s_movk_i32 s4, 0x7f
	v_cmp_gt_i16_sdwa s[6:7], v3, s4 src0_sel:BYTE_3 src1_sel:DWORD
	s_mov_b64 s[4:5], 0
                                        ; implicit-def: $sgpr10
	s_and_saveexec_b64 s[8:9], s[6:7]
	s_xor_b64 s[6:7], exec, s[8:9]
	s_cbranch_execnz .LBB46_3517
; %bb.1469:
	s_or_saveexec_b64 s[6:7], s[6:7]
	v_mov_b32_e32 v6, s10
	s_xor_b64 exec, exec, s[6:7]
	s_cbranch_execnz .LBB46_3520
.LBB46_1470:
	s_or_b64 exec, exec, s[6:7]
	s_and_saveexec_b64 s[6:7], s[4:5]
	s_cbranch_execz .LBB46_1472
.LBB46_1471:
	v_bfe_u32 v6, v3, 24, 3
	v_ffbh_u32_e32 v12, v6
	v_min_u32_e32 v12, 32, v12
	v_lshrrev_b32_e32 v10, 27, v3
	v_subrev_u32_e32 v13, 28, v12
	v_and_b32_e32 v7, 0x80000000, v3
	v_and_b32_e32 v10, 15, v10
	v_bfe_u32 v11, v3, 27, 4
	v_lshlrev_b32_sdwa v3, v13, v3 dst_sel:DWORD dst_unused:UNUSED_PAD src0_sel:DWORD src1_sel:BYTE_3
	v_sub_u32_e32 v12, 29, v12
	v_and_b32_e32 v3, 7, v3
	v_cmp_eq_u16_e32 vcc, 0, v10
	v_cndmask_b32_e32 v3, v6, v3, vcc
	v_cndmask_b32_e32 v6, v11, v12, vcc
	v_mov_b32_e32 v10, 0x3b800000
	v_lshlrev_b32_e32 v3, 20, v3
	v_lshl_add_u32 v6, v6, 23, v10
	v_or3_b32 v6, v7, v6, v3
.LBB46_1472:
	s_or_b64 exec, exec, s[6:7]
	s_nop 0
	v_mfma_f32_16x16x4f32 a[0:3], v2, v6, a[0:3]
	s_movk_i32 s4, 0x7f
	v_cmp_gt_i16_sdwa s[6:7], v8, s4 src0_sel:BYTE_0 src1_sel:DWORD
	s_mov_b64 s[4:5], 0
                                        ; implicit-def: $sgpr10
	s_and_saveexec_b64 s[8:9], s[6:7]
	s_xor_b64 s[6:7], exec, s[8:9]
	s_cbranch_execnz .LBB46_3521
; %bb.1473:
	s_or_saveexec_b64 s[6:7], s[6:7]
	v_mov_b32_e32 v2, s10
	s_xor_b64 exec, exec, s[6:7]
	s_cbranch_execnz .LBB46_3524
.LBB46_1474:
	s_or_b64 exec, exec, s[6:7]
	s_and_saveexec_b64 s[6:7], s[4:5]
	s_cbranch_execz .LBB46_1476
.LBB46_1475:
	v_and_b32_e32 v2, 7, v8
	v_ffbh_u32_e32 v6, v2
	v_min_u32_e32 v6, 32, v6
	v_lshrrev_b16_e32 v3, 3, v8
	v_subrev_u32_e32 v7, 28, v6
	v_and_b32_e32 v3, 15, v3
	v_lshlrev_b32_e32 v7, v7, v8
	v_sub_u32_e32 v6, 29, v6
	v_and_b32_e32 v7, 7, v7
	v_cmp_eq_u16_e32 vcc, 0, v3
	v_cndmask_b32_e32 v2, v2, v7, vcc
	v_cndmask_b32_e32 v3, v3, v6, vcc
	v_lshlrev_b32_e32 v6, 24, v8
	v_mov_b32_e32 v7, 0x3b800000
	v_lshlrev_b32_e32 v2, 20, v2
	v_and_b32_e32 v6, 0x80000000, v6
	v_lshl_add_u32 v3, v3, 23, v7
	v_or3_b32 v2, v6, v3, v2
.LBB46_1476:
	s_or_b64 exec, exec, s[6:7]
	s_movk_i32 s4, 0x7f
	v_cmp_gt_i16_sdwa s[6:7], v4, s4 src0_sel:BYTE_0 src1_sel:DWORD
	s_mov_b64 s[4:5], 0
                                        ; implicit-def: $sgpr10
	s_and_saveexec_b64 s[8:9], s[6:7]
	s_xor_b64 s[6:7], exec, s[8:9]
	s_cbranch_execnz .LBB46_3525
; %bb.1477:
	s_or_saveexec_b64 s[6:7], s[6:7]
	v_mov_b32_e32 v3, s10
	s_xor_b64 exec, exec, s[6:7]
	s_cbranch_execnz .LBB46_3528
.LBB46_1478:
	s_or_b64 exec, exec, s[6:7]
	s_and_saveexec_b64 s[6:7], s[4:5]
	s_cbranch_execz .LBB46_1480
.LBB46_1479:
	v_and_b32_e32 v3, 7, v4
	v_ffbh_u32_e32 v7, v3
	v_min_u32_e32 v7, 32, v7
	v_lshrrev_b16_e32 v6, 3, v4
	v_subrev_u32_e32 v10, 28, v7
	v_and_b32_e32 v6, 15, v6
	v_lshlrev_b32_e32 v10, v10, v4
	v_sub_u32_e32 v7, 29, v7
	v_and_b32_e32 v10, 7, v10
	v_cmp_eq_u16_e32 vcc, 0, v6
	v_cndmask_b32_e32 v3, v3, v10, vcc
	v_cndmask_b32_e32 v6, v6, v7, vcc
	v_lshlrev_b32_e32 v7, 24, v4
	v_mov_b32_e32 v10, 0x3b800000
	v_lshlrev_b32_e32 v3, 20, v3
	v_and_b32_e32 v7, 0x80000000, v7
	v_lshl_add_u32 v6, v6, 23, v10
	v_or3_b32 v3, v7, v6, v3
.LBB46_1480:
	s_or_b64 exec, exec, s[6:7]
	s_nop 0
	v_mfma_f32_16x16x4f32 a[0:3], v2, v3, a[0:3]
	v_lshrrev_b32_e32 v3, 8, v8
	s_movk_i32 s4, 0x7f
	v_cmp_gt_i16_sdwa s[6:7], v3, s4 src0_sel:BYTE_0 src1_sel:DWORD
	s_mov_b64 s[4:5], 0
                                        ; implicit-def: $sgpr10
	s_and_saveexec_b64 s[8:9], s[6:7]
	s_xor_b64 s[6:7], exec, s[8:9]
	s_cbranch_execnz .LBB46_3529
; %bb.1481:
	s_or_saveexec_b64 s[6:7], s[6:7]
	v_mov_b32_e32 v2, s10
	s_xor_b64 exec, exec, s[6:7]
	s_cbranch_execnz .LBB46_3532
.LBB46_1482:
	s_or_b64 exec, exec, s[6:7]
	s_and_saveexec_b64 s[6:7], s[4:5]
	s_cbranch_execz .LBB46_1484
.LBB46_1483:
	v_bfe_u32 v2, v8, 8, 3
	v_ffbh_u32_e32 v7, v2
	v_min_u32_e32 v7, 32, v7
	v_lshrrev_b16_e32 v6, 3, v3
	v_subrev_u32_e32 v10, 28, v7
	v_and_b32_e32 v6, 15, v6
	v_lshlrev_b32_e32 v3, v10, v3
	v_sub_u32_e32 v7, 29, v7
	v_and_b32_e32 v3, 7, v3
	v_cmp_eq_u16_e32 vcc, 0, v6
	v_cndmask_b32_e32 v2, v2, v3, vcc
	v_cndmask_b32_e32 v3, v6, v7, vcc
	v_lshlrev_b32_e32 v6, 16, v8
	v_mov_b32_e32 v7, 0x3b800000
	v_lshlrev_b32_e32 v2, 20, v2
	v_and_b32_e32 v6, 0x80000000, v6
	v_lshl_add_u32 v3, v3, 23, v7
	v_or3_b32 v2, v6, v3, v2
.LBB46_1484:
	s_or_b64 exec, exec, s[6:7]
	v_lshrrev_b32_e32 v3, 8, v4
	s_movk_i32 s4, 0x7f
	v_cmp_gt_i16_sdwa s[6:7], v3, s4 src0_sel:BYTE_0 src1_sel:DWORD
	s_mov_b64 s[4:5], 0
                                        ; implicit-def: $sgpr10
	s_and_saveexec_b64 s[8:9], s[6:7]
	s_xor_b64 s[6:7], exec, s[8:9]
	s_cbranch_execnz .LBB46_3533
; %bb.1485:
	s_or_saveexec_b64 s[6:7], s[6:7]
	v_mov_b32_e32 v6, s10
	s_xor_b64 exec, exec, s[6:7]
	s_cbranch_execnz .LBB46_3536
.LBB46_1486:
	s_or_b64 exec, exec, s[6:7]
	s_and_saveexec_b64 s[6:7], s[4:5]
	s_cbranch_execz .LBB46_1488
.LBB46_1487:
	v_bfe_u32 v6, v4, 8, 3
	v_ffbh_u32_e32 v10, v6
	v_min_u32_e32 v10, 32, v10
	v_lshrrev_b16_e32 v7, 3, v3
	v_subrev_u32_e32 v11, 28, v10
	v_and_b32_e32 v7, 15, v7
	v_lshlrev_b32_e32 v3, v11, v3
	v_sub_u32_e32 v10, 29, v10
	v_and_b32_e32 v3, 7, v3
	v_cmp_eq_u16_e32 vcc, 0, v7
	v_cndmask_b32_e32 v3, v6, v3, vcc
	v_cndmask_b32_e32 v6, v7, v10, vcc
	v_lshlrev_b32_e32 v7, 16, v4
	v_mov_b32_e32 v10, 0x3b800000
	v_lshlrev_b32_e32 v3, 20, v3
	v_and_b32_e32 v7, 0x80000000, v7
	v_lshl_add_u32 v6, v6, 23, v10
	v_or3_b32 v6, v7, v6, v3
.LBB46_1488:
	s_or_b64 exec, exec, s[6:7]
	s_nop 0
	v_mfma_f32_16x16x4f32 a[0:3], v2, v6, a[0:3]
	s_movk_i32 s4, 0xff
	v_and_b32_sdwa v3, v8, s4 dst_sel:DWORD dst_unused:UNUSED_PAD src0_sel:WORD_1 src1_sel:DWORD
	s_movk_i32 s4, 0x7f
	v_cmp_lt_i16_e32 vcc, s4, v3
	s_mov_b64 s[4:5], 0
                                        ; implicit-def: $sgpr10
	s_and_saveexec_b64 s[6:7], vcc
	s_xor_b64 s[6:7], exec, s[6:7]
	s_cbranch_execnz .LBB46_3537
; %bb.1489:
	s_or_saveexec_b64 s[6:7], s[6:7]
	v_mov_b32_e32 v2, s10
	s_xor_b64 exec, exec, s[6:7]
	s_cbranch_execnz .LBB46_3540
.LBB46_1490:
	s_or_b64 exec, exec, s[6:7]
	s_and_saveexec_b64 s[6:7], s[4:5]
	s_cbranch_execz .LBB46_1492
.LBB46_1491:
	v_bfe_u32 v2, v8, 16, 3
	v_ffbh_u32_e32 v7, v2
	v_min_u32_e32 v7, 32, v7
	v_lshrrev_b32_e32 v3, 19, v8
	v_subrev_u32_e32 v10, 28, v7
	v_and_b32_e32 v3, 15, v3
	v_lshlrev_b32_sdwa v10, v10, v8 dst_sel:DWORD dst_unused:UNUSED_PAD src0_sel:DWORD src1_sel:WORD_1
	v_bfe_u32 v6, v8, 19, 4
	v_sub_u32_e32 v7, 29, v7
	v_and_b32_e32 v10, 7, v10
	v_cmp_eq_u16_e32 vcc, 0, v3
	v_cndmask_b32_e32 v2, v2, v10, vcc
	v_cndmask_b32_e32 v3, v6, v7, vcc
	v_lshlrev_b32_e32 v6, 8, v8
	v_mov_b32_e32 v7, 0x3b800000
	v_lshlrev_b32_e32 v2, 20, v2
	v_and_b32_e32 v6, 0x80000000, v6
	v_lshl_add_u32 v3, v3, 23, v7
	v_or3_b32 v2, v6, v3, v2
.LBB46_1492:
	s_or_b64 exec, exec, s[6:7]
	s_movk_i32 s4, 0xff
	v_and_b32_sdwa v3, v4, s4 dst_sel:DWORD dst_unused:UNUSED_PAD src0_sel:WORD_1 src1_sel:DWORD
	s_movk_i32 s4, 0x7f
	v_cmp_lt_i16_e32 vcc, s4, v3
	s_mov_b64 s[4:5], 0
                                        ; implicit-def: $sgpr10
	s_and_saveexec_b64 s[6:7], vcc
	s_xor_b64 s[6:7], exec, s[6:7]
	s_cbranch_execnz .LBB46_3541
; %bb.1493:
	s_or_saveexec_b64 s[6:7], s[6:7]
	v_mov_b32_e32 v6, s10
	s_xor_b64 exec, exec, s[6:7]
	s_cbranch_execnz .LBB46_3544
.LBB46_1494:
	s_or_b64 exec, exec, s[6:7]
	s_and_saveexec_b64 s[6:7], s[4:5]
	s_cbranch_execz .LBB46_1496
.LBB46_1495:
	v_bfe_u32 v3, v4, 16, 3
	v_ffbh_u32_e32 v10, v3
	v_min_u32_e32 v10, 32, v10
	v_lshrrev_b32_e32 v6, 19, v4
	v_subrev_u32_e32 v11, 28, v10
	v_and_b32_e32 v6, 15, v6
	v_lshlrev_b32_sdwa v11, v11, v4 dst_sel:DWORD dst_unused:UNUSED_PAD src0_sel:DWORD src1_sel:WORD_1
	v_bfe_u32 v7, v4, 19, 4
	v_sub_u32_e32 v10, 29, v10
	v_and_b32_e32 v11, 7, v11
	v_cmp_eq_u16_e32 vcc, 0, v6
	v_cndmask_b32_e32 v3, v3, v11, vcc
	v_cndmask_b32_e32 v6, v7, v10, vcc
	v_lshlrev_b32_e32 v7, 8, v4
	v_mov_b32_e32 v10, 0x3b800000
	v_lshlrev_b32_e32 v3, 20, v3
	v_and_b32_e32 v7, 0x80000000, v7
	v_lshl_add_u32 v6, v6, 23, v10
	v_or3_b32 v6, v7, v6, v3
.LBB46_1496:
	s_or_b64 exec, exec, s[6:7]
	s_nop 0
	v_mfma_f32_16x16x4f32 a[0:3], v2, v6, a[0:3]
	s_movk_i32 s4, 0x7f
	v_cmp_gt_i16_sdwa s[6:7], v8, s4 src0_sel:BYTE_3 src1_sel:DWORD
	s_mov_b64 s[4:5], 0
                                        ; implicit-def: $sgpr10
	s_and_saveexec_b64 s[8:9], s[6:7]
	s_xor_b64 s[6:7], exec, s[8:9]
	s_cbranch_execnz .LBB46_3545
; %bb.1497:
	s_or_saveexec_b64 s[6:7], s[6:7]
	v_mov_b32_e32 v2, s10
	s_xor_b64 exec, exec, s[6:7]
	s_cbranch_execnz .LBB46_3548
.LBB46_1498:
	s_or_b64 exec, exec, s[6:7]
	s_and_saveexec_b64 s[6:7], s[4:5]
	s_cbranch_execz .LBB46_1500
.LBB46_1499:
	v_bfe_u32 v2, v8, 24, 3
	v_ffbh_u32_e32 v10, v2
	v_min_u32_e32 v10, 32, v10
	v_lshrrev_b32_e32 v6, 27, v8
	v_subrev_u32_e32 v11, 28, v10
	v_and_b32_e32 v3, 0x80000000, v8
	v_and_b32_e32 v6, 15, v6
	v_bfe_u32 v7, v8, 27, 4
	v_lshlrev_b32_sdwa v8, v11, v8 dst_sel:DWORD dst_unused:UNUSED_PAD src0_sel:DWORD src1_sel:BYTE_3
	v_sub_u32_e32 v10, 29, v10
	v_and_b32_e32 v8, 7, v8
	v_cmp_eq_u16_e32 vcc, 0, v6
	v_cndmask_b32_e32 v2, v2, v8, vcc
	v_cndmask_b32_e32 v6, v7, v10, vcc
	v_mov_b32_e32 v7, 0x3b800000
	v_lshlrev_b32_e32 v2, 20, v2
	v_lshl_add_u32 v6, v6, 23, v7
	v_or3_b32 v2, v3, v6, v2
.LBB46_1500:
	s_or_b64 exec, exec, s[6:7]
	s_movk_i32 s4, 0x7f
	v_cmp_gt_i16_sdwa s[6:7], v4, s4 src0_sel:BYTE_3 src1_sel:DWORD
	s_mov_b64 s[4:5], 0
                                        ; implicit-def: $sgpr10
	s_and_saveexec_b64 s[8:9], s[6:7]
	s_xor_b64 s[6:7], exec, s[8:9]
	s_cbranch_execnz .LBB46_3549
; %bb.1501:
	s_or_saveexec_b64 s[6:7], s[6:7]
	v_mov_b32_e32 v3, s10
	s_xor_b64 exec, exec, s[6:7]
	s_cbranch_execnz .LBB46_3552
.LBB46_1502:
	s_or_b64 exec, exec, s[6:7]
	s_and_saveexec_b64 s[6:7], s[4:5]
	s_cbranch_execz .LBB46_1504
.LBB46_1503:
	v_bfe_u32 v3, v4, 24, 3
	v_ffbh_u32_e32 v10, v3
	v_min_u32_e32 v10, 32, v10
	v_lshrrev_b32_e32 v7, 27, v4
	v_subrev_u32_e32 v11, 28, v10
	v_and_b32_e32 v6, 0x80000000, v4
	v_and_b32_e32 v7, 15, v7
	v_bfe_u32 v8, v4, 27, 4
	v_lshlrev_b32_sdwa v4, v11, v4 dst_sel:DWORD dst_unused:UNUSED_PAD src0_sel:DWORD src1_sel:BYTE_3
	v_sub_u32_e32 v10, 29, v10
	v_and_b32_e32 v4, 7, v4
	v_cmp_eq_u16_e32 vcc, 0, v7
	v_cndmask_b32_e32 v3, v3, v4, vcc
	v_cndmask_b32_e32 v4, v8, v10, vcc
	v_mov_b32_e32 v7, 0x3b800000
	v_lshlrev_b32_e32 v3, 20, v3
	v_lshl_add_u32 v4, v4, 23, v7
	v_or3_b32 v3, v6, v4, v3
.LBB46_1504:
	s_or_b64 exec, exec, s[6:7]
	s_nop 0
	v_mfma_f32_16x16x4f32 a[0:3], v2, v3, a[0:3]
	s_movk_i32 s4, 0x7f
	v_cmp_gt_i16_sdwa s[6:7], v9, s4 src0_sel:BYTE_0 src1_sel:DWORD
	s_mov_b64 s[4:5], 0
                                        ; implicit-def: $sgpr10
	s_and_saveexec_b64 s[8:9], s[6:7]
	s_xor_b64 s[6:7], exec, s[8:9]
	s_cbranch_execnz .LBB46_3553
; %bb.1505:
	s_or_saveexec_b64 s[6:7], s[6:7]
	v_mov_b32_e32 v2, s10
	s_xor_b64 exec, exec, s[6:7]
	s_cbranch_execnz .LBB46_3556
.LBB46_1506:
	s_or_b64 exec, exec, s[6:7]
	s_and_saveexec_b64 s[6:7], s[4:5]
	s_cbranch_execz .LBB46_1508
.LBB46_1507:
	v_mov_b32_e32 v2, 8
	v_and_b32_e32 v3, 7, v9
	v_lshrrev_b32_sdwa v2, v2, v9 dst_sel:BYTE_1 dst_unused:UNUSED_PAD src0_sel:DWORD src1_sel:DWORD
	v_ffbh_u32_e32 v4, v3
	v_or_b32_sdwa v2, v9, v2 dst_sel:DWORD dst_unused:UNUSED_PAD src0_sel:BYTE_0 src1_sel:DWORD
	v_min_u32_e32 v4, 32, v4
	v_lshrrev_b16_e32 v2, 3, v2
	v_subrev_u32_e32 v6, 28, v4
	v_and_b32_e32 v2, 15, v2
	v_lshlrev_b32_e32 v6, v6, v9
	v_sub_u32_e32 v4, 29, v4
	v_and_b32_e32 v6, 7, v6
	v_cmp_eq_u16_e32 vcc, 0, v2
	v_cndmask_b32_e32 v3, v3, v6, vcc
	v_cndmask_b32_e32 v2, v2, v4, vcc
	v_lshlrev_b32_e32 v4, 24, v9
	v_mov_b32_e32 v6, 0x3b800000
	v_lshlrev_b32_e32 v3, 20, v3
	v_and_b32_e32 v4, 0x80000000, v4
	v_lshl_add_u32 v2, v2, 23, v6
	v_or3_b32 v2, v4, v2, v3
.LBB46_1508:
	s_or_b64 exec, exec, s[6:7]
	s_movk_i32 s4, 0x7f
	v_cmp_gt_i16_sdwa s[6:7], v5, s4 src0_sel:BYTE_0 src1_sel:DWORD
	s_mov_b64 s[4:5], 0
                                        ; implicit-def: $sgpr10
	s_and_saveexec_b64 s[8:9], s[6:7]
	s_xor_b64 s[6:7], exec, s[8:9]
	s_cbranch_execnz .LBB46_3557
; %bb.1509:
	s_or_saveexec_b64 s[6:7], s[6:7]
	v_mov_b32_e32 v3, s10
	s_xor_b64 exec, exec, s[6:7]
	s_cbranch_execnz .LBB46_3560
.LBB46_1510:
	s_or_b64 exec, exec, s[6:7]
	s_and_saveexec_b64 s[6:7], s[4:5]
	s_cbranch_execz .LBB46_1512
.LBB46_1511:
	v_mov_b32_e32 v3, 8
	v_and_b32_e32 v4, 7, v5
	v_lshrrev_b32_sdwa v3, v3, v5 dst_sel:BYTE_1 dst_unused:UNUSED_PAD src0_sel:DWORD src1_sel:DWORD
	v_ffbh_u32_e32 v6, v4
	v_or_b32_sdwa v3, v5, v3 dst_sel:DWORD dst_unused:UNUSED_PAD src0_sel:BYTE_0 src1_sel:DWORD
	v_min_u32_e32 v6, 32, v6
	v_lshrrev_b16_e32 v3, 3, v3
	v_subrev_u32_e32 v7, 28, v6
	v_and_b32_e32 v3, 15, v3
	v_lshlrev_b32_e32 v7, v7, v5
	v_sub_u32_e32 v6, 29, v6
	v_and_b32_e32 v7, 7, v7
	v_cmp_eq_u16_e32 vcc, 0, v3
	v_cndmask_b32_e32 v4, v4, v7, vcc
	v_cndmask_b32_e32 v3, v3, v6, vcc
	v_lshlrev_b32_e32 v6, 24, v5
	v_mov_b32_e32 v7, 0x3b800000
	v_lshlrev_b32_e32 v4, 20, v4
	v_and_b32_e32 v6, 0x80000000, v6
	v_lshl_add_u32 v3, v3, 23, v7
	v_or3_b32 v3, v6, v3, v4
.LBB46_1512:
	s_or_b64 exec, exec, s[6:7]
	s_nop 0
	v_mfma_f32_16x16x4f32 a[0:3], v2, v3, a[0:3]
	v_lshrrev_b32_e32 v3, 8, v9
	s_movk_i32 s4, 0x7f
	v_cmp_gt_i16_sdwa s[6:7], v3, s4 src0_sel:BYTE_0 src1_sel:DWORD
	s_mov_b64 s[4:5], 0
                                        ; implicit-def: $sgpr10
	s_and_saveexec_b64 s[8:9], s[6:7]
	s_xor_b64 s[6:7], exec, s[8:9]
	s_cbranch_execnz .LBB46_3561
; %bb.1513:
	s_or_saveexec_b64 s[6:7], s[6:7]
	v_mov_b32_e32 v2, s10
	s_xor_b64 exec, exec, s[6:7]
	s_cbranch_execnz .LBB46_3564
.LBB46_1514:
	s_or_b64 exec, exec, s[6:7]
	s_and_saveexec_b64 s[6:7], s[4:5]
	s_cbranch_execz .LBB46_1516
.LBB46_1515:
	v_bfe_u32 v2, v9, 8, 3
	v_ffbh_u32_e32 v6, v2
	v_min_u32_e32 v6, 32, v6
	v_lshrrev_b16_e32 v4, 3, v3
	v_subrev_u32_e32 v7, 28, v6
	v_and_b32_e32 v4, 15, v4
	v_lshlrev_b32_e32 v3, v7, v3
	v_sub_u32_e32 v6, 29, v6
	v_and_b32_e32 v3, 7, v3
	v_cmp_eq_u16_e32 vcc, 0, v4
	v_cndmask_b32_e32 v2, v2, v3, vcc
	v_cndmask_b32_e32 v3, v4, v6, vcc
	v_lshlrev_b32_e32 v4, 16, v9
	v_mov_b32_e32 v6, 0x3b800000
	v_lshlrev_b32_e32 v2, 20, v2
	v_and_b32_e32 v4, 0x80000000, v4
	v_lshl_add_u32 v3, v3, 23, v6
	v_or3_b32 v2, v4, v3, v2
.LBB46_1516:
	s_or_b64 exec, exec, s[6:7]
	v_lshrrev_b32_e32 v3, 8, v5
	s_movk_i32 s4, 0x7f
	v_cmp_gt_i16_sdwa s[6:7], v3, s4 src0_sel:BYTE_0 src1_sel:DWORD
	s_mov_b64 s[4:5], 0
                                        ; implicit-def: $sgpr10
	s_and_saveexec_b64 s[8:9], s[6:7]
	s_xor_b64 s[6:7], exec, s[8:9]
	s_cbranch_execnz .LBB46_3565
; %bb.1517:
	s_or_saveexec_b64 s[6:7], s[6:7]
	v_mov_b32_e32 v4, s10
	s_xor_b64 exec, exec, s[6:7]
	s_cbranch_execnz .LBB46_3568
.LBB46_1518:
	s_or_b64 exec, exec, s[6:7]
	s_and_saveexec_b64 s[6:7], s[4:5]
	s_cbranch_execz .LBB46_1520
.LBB46_1519:
	v_bfe_u32 v4, v5, 8, 3
	v_ffbh_u32_e32 v7, v4
	v_min_u32_e32 v7, 32, v7
	v_lshrrev_b16_e32 v6, 3, v3
	v_subrev_u32_e32 v8, 28, v7
	v_and_b32_e32 v6, 15, v6
	v_lshlrev_b32_e32 v3, v8, v3
	v_sub_u32_e32 v7, 29, v7
	v_and_b32_e32 v3, 7, v3
	v_cmp_eq_u16_e32 vcc, 0, v6
	v_cndmask_b32_e32 v3, v4, v3, vcc
	v_cndmask_b32_e32 v4, v6, v7, vcc
	v_lshlrev_b32_e32 v6, 16, v5
	v_mov_b32_e32 v7, 0x3b800000
	v_lshlrev_b32_e32 v3, 20, v3
	v_and_b32_e32 v6, 0x80000000, v6
	v_lshl_add_u32 v4, v4, 23, v7
	v_or3_b32 v4, v6, v4, v3
.LBB46_1520:
	s_or_b64 exec, exec, s[6:7]
	s_nop 0
	v_mfma_f32_16x16x4f32 a[0:3], v2, v4, a[0:3]
	s_movk_i32 s4, 0xff
	v_and_b32_sdwa v3, v9, s4 dst_sel:DWORD dst_unused:UNUSED_PAD src0_sel:WORD_1 src1_sel:DWORD
	s_movk_i32 s4, 0x7f
	v_cmp_lt_i16_e32 vcc, s4, v3
	s_mov_b64 s[4:5], 0
                                        ; implicit-def: $sgpr10
	s_and_saveexec_b64 s[6:7], vcc
	s_xor_b64 s[6:7], exec, s[6:7]
	s_cbranch_execnz .LBB46_3569
; %bb.1521:
	s_or_saveexec_b64 s[6:7], s[6:7]
	v_mov_b32_e32 v2, s10
	s_xor_b64 exec, exec, s[6:7]
	s_cbranch_execnz .LBB46_3572
.LBB46_1522:
	s_or_b64 exec, exec, s[6:7]
	s_and_saveexec_b64 s[6:7], s[4:5]
	s_cbranch_execz .LBB46_1524
.LBB46_1523:
	v_bfe_u32 v2, v9, 16, 3
	v_ffbh_u32_e32 v6, v2
	v_min_u32_e32 v6, 32, v6
	v_lshrrev_b32_e32 v3, 19, v9
	v_subrev_u32_e32 v7, 28, v6
	v_and_b32_e32 v3, 15, v3
	v_lshlrev_b32_sdwa v7, v7, v9 dst_sel:DWORD dst_unused:UNUSED_PAD src0_sel:DWORD src1_sel:WORD_1
	v_bfe_u32 v4, v9, 19, 4
	v_sub_u32_e32 v6, 29, v6
	v_and_b32_e32 v7, 7, v7
	v_cmp_eq_u16_e32 vcc, 0, v3
	v_cndmask_b32_e32 v2, v2, v7, vcc
	v_cndmask_b32_e32 v3, v4, v6, vcc
	v_lshlrev_b32_e32 v4, 8, v9
	v_mov_b32_e32 v6, 0x3b800000
	v_lshlrev_b32_e32 v2, 20, v2
	v_and_b32_e32 v4, 0x80000000, v4
	v_lshl_add_u32 v3, v3, 23, v6
	v_or3_b32 v2, v4, v3, v2
.LBB46_1524:
	s_or_b64 exec, exec, s[6:7]
	s_movk_i32 s4, 0xff
	v_and_b32_sdwa v3, v5, s4 dst_sel:DWORD dst_unused:UNUSED_PAD src0_sel:WORD_1 src1_sel:DWORD
	s_movk_i32 s4, 0x7f
	v_cmp_lt_i16_e32 vcc, s4, v3
	s_mov_b64 s[4:5], 0
                                        ; implicit-def: $sgpr10
	s_and_saveexec_b64 s[6:7], vcc
	s_xor_b64 s[6:7], exec, s[6:7]
	s_cbranch_execnz .LBB46_3573
; %bb.1525:
	s_or_saveexec_b64 s[6:7], s[6:7]
	v_mov_b32_e32 v4, s10
	s_xor_b64 exec, exec, s[6:7]
	s_cbranch_execnz .LBB46_3576
.LBB46_1526:
	s_or_b64 exec, exec, s[6:7]
	s_and_saveexec_b64 s[6:7], s[4:5]
	s_cbranch_execz .LBB46_1528
.LBB46_1527:
	v_bfe_u32 v3, v5, 16, 3
	v_ffbh_u32_e32 v7, v3
	v_min_u32_e32 v7, 32, v7
	v_lshrrev_b32_e32 v4, 19, v5
	v_subrev_u32_e32 v8, 28, v7
	v_and_b32_e32 v4, 15, v4
	v_lshlrev_b32_sdwa v8, v8, v5 dst_sel:DWORD dst_unused:UNUSED_PAD src0_sel:DWORD src1_sel:WORD_1
	v_bfe_u32 v6, v5, 19, 4
	v_sub_u32_e32 v7, 29, v7
	v_and_b32_e32 v8, 7, v8
	v_cmp_eq_u16_e32 vcc, 0, v4
	v_cndmask_b32_e32 v3, v3, v8, vcc
	v_cndmask_b32_e32 v4, v6, v7, vcc
	v_lshlrev_b32_e32 v6, 8, v5
	v_mov_b32_e32 v7, 0x3b800000
	v_lshlrev_b32_e32 v3, 20, v3
	v_and_b32_e32 v6, 0x80000000, v6
	v_lshl_add_u32 v4, v4, 23, v7
	v_or3_b32 v4, v6, v4, v3
.LBB46_1528:
	s_or_b64 exec, exec, s[6:7]
	s_nop 0
	v_mfma_f32_16x16x4f32 a[0:3], v2, v4, a[0:3]
	s_movk_i32 s4, 0x7f
	v_cmp_gt_i16_sdwa s[6:7], v9, s4 src0_sel:BYTE_3 src1_sel:DWORD
	s_mov_b64 s[4:5], 0
                                        ; implicit-def: $sgpr10
	s_and_saveexec_b64 s[8:9], s[6:7]
	s_xor_b64 s[6:7], exec, s[8:9]
	s_cbranch_execnz .LBB46_3577
; %bb.1529:
	s_or_saveexec_b64 s[6:7], s[6:7]
	v_mov_b32_e32 v2, s10
	s_xor_b64 exec, exec, s[6:7]
	s_cbranch_execnz .LBB46_3580
.LBB46_1530:
	s_or_b64 exec, exec, s[6:7]
	s_and_saveexec_b64 s[6:7], s[4:5]
	s_cbranch_execz .LBB46_1532
.LBB46_1531:
	v_bfe_u32 v2, v9, 24, 3
	v_ffbh_u32_e32 v7, v2
	v_min_u32_e32 v7, 32, v7
	v_lshrrev_b32_e32 v4, 27, v9
	v_subrev_u32_e32 v8, 28, v7
	v_and_b32_e32 v4, 15, v4
	v_lshlrev_b32_sdwa v8, v8, v9 dst_sel:DWORD dst_unused:UNUSED_PAD src0_sel:DWORD src1_sel:BYTE_3
	v_bfe_u32 v6, v9, 27, 4
	v_sub_u32_e32 v7, 29, v7
	v_and_b32_e32 v8, 7, v8
	v_cmp_eq_u16_e32 vcc, 0, v4
	v_cndmask_b32_e32 v2, v2, v8, vcc
	v_cndmask_b32_e32 v4, v6, v7, vcc
	v_mov_b32_e32 v6, 0x3b800000
	v_and_b32_e32 v3, 0x80000000, v9
	v_lshlrev_b32_e32 v2, 20, v2
	v_lshl_add_u32 v4, v4, 23, v6
	v_or3_b32 v2, v3, v4, v2
.LBB46_1532:
	s_or_b64 exec, exec, s[6:7]
	s_movk_i32 s4, 0x7f
	v_cmp_gt_i16_sdwa s[6:7], v5, s4 src0_sel:BYTE_3 src1_sel:DWORD
	s_mov_b64 s[4:5], 0
                                        ; implicit-def: $sgpr10
	s_and_saveexec_b64 s[8:9], s[6:7]
	s_xor_b64 s[6:7], exec, s[8:9]
	s_cbranch_execnz .LBB46_3581
; %bb.1533:
	s_or_saveexec_b64 s[6:7], s[6:7]
	v_mov_b32_e32 v3, s10
	s_xor_b64 exec, exec, s[6:7]
	s_cbranch_execnz .LBB46_3584
.LBB46_1534:
	s_or_b64 exec, exec, s[6:7]
	s_and_saveexec_b64 s[6:7], s[4:5]
	s_cbranch_execz .LBB46_1536
.LBB46_1535:
	v_bfe_u32 v3, v5, 24, 3
	v_ffbh_u32_e32 v8, v3
	v_min_u32_e32 v8, 32, v8
	v_lshrrev_b32_e32 v6, 27, v5
	v_subrev_u32_e32 v9, 28, v8
	v_and_b32_e32 v4, 0x80000000, v5
	v_and_b32_e32 v6, 15, v6
	v_bfe_u32 v7, v5, 27, 4
	v_lshlrev_b32_sdwa v5, v9, v5 dst_sel:DWORD dst_unused:UNUSED_PAD src0_sel:DWORD src1_sel:BYTE_3
	v_sub_u32_e32 v8, 29, v8
	v_and_b32_e32 v5, 7, v5
	v_cmp_eq_u16_e32 vcc, 0, v6
	v_cndmask_b32_e32 v3, v3, v5, vcc
	v_cndmask_b32_e32 v5, v7, v8, vcc
	v_mov_b32_e32 v6, 0x3b800000
	v_lshlrev_b32_e32 v3, 20, v3
	v_lshl_add_u32 v5, v5, 23, v6
	v_or3_b32 v3, v4, v5, v3
.LBB46_1536:
	s_or_b64 exec, exec, s[6:7]
	s_nop 0
	v_mfma_f32_16x16x4f32 a[0:3], v2, v3, a[0:3]
	s_movk_i32 s4, 0x7f
                                        ; implicit-def: $sgpr10
	s_nop 7
	s_nop 1
	flat_store_dwordx4 v[18:19], a[0:3] offset:336
	flat_load_dwordx4 v[20:23], v[0:1] offset:8
	s_nop 0
	flat_load_dwordx2 v[18:19], v[0:1] offset:24
	s_waitcnt vmcnt(0) lgkmcnt(0)
	flat_load_dwordx4 v[14:17], v[20:21]
	flat_load_dwordx4 v[6:9], v[20:21] offset:16
	flat_load_dwordx4 v[10:13], v[22:23] offset:192
	;; [unrolled: 1-line block ×3, first 2 shown]
	s_waitcnt vmcnt(0) lgkmcnt(0)
	v_cmp_gt_i16_sdwa s[6:7], v14, s4 src0_sel:BYTE_0 src1_sel:DWORD
	s_mov_b64 s[4:5], 0
	s_and_saveexec_b64 s[8:9], s[6:7]
	s_xor_b64 s[6:7], exec, s[8:9]
	s_cbranch_execnz .LBB46_3585
; %bb.1537:
	s_or_saveexec_b64 s[6:7], s[6:7]
	v_mov_b32_e32 v20, s10
	s_xor_b64 exec, exec, s[6:7]
	s_cbranch_execnz .LBB46_3588
.LBB46_1538:
	s_or_b64 exec, exec, s[6:7]
	s_and_saveexec_b64 s[6:7], s[4:5]
	s_cbranch_execz .LBB46_1540
.LBB46_1539:
	v_and_b32_e32 v20, 7, v14
	v_ffbh_u32_e32 v22, v20
	v_min_u32_e32 v22, 32, v22
	v_lshrrev_b16_e32 v21, 3, v14
	v_subrev_u32_e32 v23, 28, v22
	v_and_b32_e32 v21, 15, v21
	v_lshlrev_b32_e32 v23, v23, v14
	v_sub_u32_e32 v22, 29, v22
	v_and_b32_e32 v23, 7, v23
	v_cmp_eq_u16_e32 vcc, 0, v21
	v_cndmask_b32_e32 v20, v20, v23, vcc
	v_cndmask_b32_e32 v21, v21, v22, vcc
	v_lshlrev_b32_e32 v22, 24, v14
	v_mov_b32_e32 v23, 0x3b800000
	v_lshlrev_b32_e32 v20, 20, v20
	v_and_b32_e32 v22, 0x80000000, v22
	v_lshl_add_u32 v21, v21, 23, v23
	v_or3_b32 v20, v22, v21, v20
.LBB46_1540:
	s_or_b64 exec, exec, s[6:7]
	s_movk_i32 s4, 0x7f
	v_cmp_gt_i16_sdwa s[6:7], v10, s4 src0_sel:BYTE_0 src1_sel:DWORD
	s_mov_b64 s[4:5], 0
                                        ; implicit-def: $sgpr10
	s_and_saveexec_b64 s[8:9], s[6:7]
	s_xor_b64 s[6:7], exec, s[8:9]
	s_cbranch_execnz .LBB46_3589
; %bb.1541:
	s_or_saveexec_b64 s[6:7], s[6:7]
	v_mov_b32_e32 v21, s10
	s_xor_b64 exec, exec, s[6:7]
	s_cbranch_execnz .LBB46_3592
.LBB46_1542:
	s_or_b64 exec, exec, s[6:7]
	s_and_saveexec_b64 s[6:7], s[4:5]
	s_cbranch_execz .LBB46_1544
.LBB46_1543:
	v_and_b32_e32 v21, 7, v10
	v_ffbh_u32_e32 v23, v21
	v_min_u32_e32 v23, 32, v23
	v_lshrrev_b16_e32 v22, 3, v10
	v_subrev_u32_e32 v24, 28, v23
	v_and_b32_e32 v22, 15, v22
	v_lshlrev_b32_e32 v24, v24, v10
	v_sub_u32_e32 v23, 29, v23
	v_and_b32_e32 v24, 7, v24
	v_cmp_eq_u16_e32 vcc, 0, v22
	v_cndmask_b32_e32 v21, v21, v24, vcc
	v_cndmask_b32_e32 v22, v22, v23, vcc
	v_lshlrev_b32_e32 v23, 24, v10
	v_mov_b32_e32 v24, 0x3b800000
	v_lshlrev_b32_e32 v21, 20, v21
	v_and_b32_e32 v23, 0x80000000, v23
	v_lshl_add_u32 v22, v22, 23, v24
	v_or3_b32 v21, v23, v22, v21
.LBB46_1544:
	s_or_b64 exec, exec, s[6:7]
	flat_load_dwordx4 a[0:3], v[18:19] offset:352
	s_movk_i32 s4, 0x7f
                                        ; implicit-def: $sgpr10
	s_waitcnt vmcnt(0) lgkmcnt(0)
	v_mfma_f32_16x16x4f32 a[0:3], v20, v21, a[0:3]
	v_lshrrev_b32_e32 v21, 8, v14
	v_cmp_gt_i16_sdwa s[6:7], v21, s4 src0_sel:BYTE_0 src1_sel:DWORD
	s_mov_b64 s[4:5], 0
	s_and_saveexec_b64 s[8:9], s[6:7]
	s_xor_b64 s[6:7], exec, s[8:9]
	s_cbranch_execnz .LBB46_3593
; %bb.1545:
	s_or_saveexec_b64 s[6:7], s[6:7]
	v_mov_b32_e32 v20, s10
	s_xor_b64 exec, exec, s[6:7]
	s_cbranch_execnz .LBB46_3596
.LBB46_1546:
	s_or_b64 exec, exec, s[6:7]
	s_and_saveexec_b64 s[6:7], s[4:5]
	s_cbranch_execz .LBB46_1548
.LBB46_1547:
	v_bfe_u32 v20, v14, 8, 3
	v_ffbh_u32_e32 v23, v20
	v_min_u32_e32 v23, 32, v23
	v_lshrrev_b16_e32 v22, 3, v21
	v_subrev_u32_e32 v24, 28, v23
	v_and_b32_e32 v22, 15, v22
	v_lshlrev_b32_e32 v21, v24, v21
	v_sub_u32_e32 v23, 29, v23
	v_and_b32_e32 v21, 7, v21
	v_cmp_eq_u16_e32 vcc, 0, v22
	v_cndmask_b32_e32 v20, v20, v21, vcc
	v_cndmask_b32_e32 v21, v22, v23, vcc
	v_lshlrev_b32_e32 v22, 16, v14
	v_mov_b32_e32 v23, 0x3b800000
	v_lshlrev_b32_e32 v20, 20, v20
	v_and_b32_e32 v22, 0x80000000, v22
	v_lshl_add_u32 v21, v21, 23, v23
	v_or3_b32 v20, v22, v21, v20
.LBB46_1548:
	s_or_b64 exec, exec, s[6:7]
	v_lshrrev_b32_e32 v21, 8, v10
	s_movk_i32 s4, 0x7f
	v_cmp_gt_i16_sdwa s[6:7], v21, s4 src0_sel:BYTE_0 src1_sel:DWORD
	s_mov_b64 s[4:5], 0
                                        ; implicit-def: $sgpr10
	s_and_saveexec_b64 s[8:9], s[6:7]
	s_xor_b64 s[6:7], exec, s[8:9]
	s_cbranch_execnz .LBB46_3597
; %bb.1549:
	s_or_saveexec_b64 s[6:7], s[6:7]
	v_mov_b32_e32 v22, s10
	s_xor_b64 exec, exec, s[6:7]
	s_cbranch_execnz .LBB46_3600
.LBB46_1550:
	s_or_b64 exec, exec, s[6:7]
	s_and_saveexec_b64 s[6:7], s[4:5]
	s_cbranch_execz .LBB46_1552
.LBB46_1551:
	v_bfe_u32 v22, v10, 8, 3
	v_ffbh_u32_e32 v24, v22
	v_min_u32_e32 v24, 32, v24
	v_lshrrev_b16_e32 v23, 3, v21
	v_subrev_u32_e32 v25, 28, v24
	v_and_b32_e32 v23, 15, v23
	v_lshlrev_b32_e32 v21, v25, v21
	v_sub_u32_e32 v24, 29, v24
	v_and_b32_e32 v21, 7, v21
	v_cmp_eq_u16_e32 vcc, 0, v23
	v_cndmask_b32_e32 v21, v22, v21, vcc
	v_cndmask_b32_e32 v22, v23, v24, vcc
	v_lshlrev_b32_e32 v23, 16, v10
	v_mov_b32_e32 v24, 0x3b800000
	v_lshlrev_b32_e32 v21, 20, v21
	v_and_b32_e32 v23, 0x80000000, v23
	v_lshl_add_u32 v22, v22, 23, v24
	v_or3_b32 v22, v23, v22, v21
.LBB46_1552:
	s_or_b64 exec, exec, s[6:7]
	s_nop 0
	v_mfma_f32_16x16x4f32 a[0:3], v20, v22, a[0:3]
	s_movk_i32 s4, 0xff
	v_and_b32_sdwa v21, v14, s4 dst_sel:DWORD dst_unused:UNUSED_PAD src0_sel:WORD_1 src1_sel:DWORD
	s_movk_i32 s4, 0x7f
	v_cmp_lt_i16_e32 vcc, s4, v21
	s_mov_b64 s[4:5], 0
                                        ; implicit-def: $sgpr10
	s_and_saveexec_b64 s[6:7], vcc
	s_xor_b64 s[6:7], exec, s[6:7]
	s_cbranch_execnz .LBB46_3601
; %bb.1553:
	s_or_saveexec_b64 s[6:7], s[6:7]
	v_mov_b32_e32 v20, s10
	s_xor_b64 exec, exec, s[6:7]
	s_cbranch_execnz .LBB46_3604
.LBB46_1554:
	s_or_b64 exec, exec, s[6:7]
	s_and_saveexec_b64 s[6:7], s[4:5]
	s_cbranch_execz .LBB46_1556
.LBB46_1555:
	v_bfe_u32 v20, v14, 16, 3
	v_ffbh_u32_e32 v23, v20
	v_min_u32_e32 v23, 32, v23
	v_lshrrev_b32_e32 v21, 19, v14
	v_subrev_u32_e32 v24, 28, v23
	v_and_b32_e32 v21, 15, v21
	v_lshlrev_b32_sdwa v24, v24, v14 dst_sel:DWORD dst_unused:UNUSED_PAD src0_sel:DWORD src1_sel:WORD_1
	v_bfe_u32 v22, v14, 19, 4
	v_sub_u32_e32 v23, 29, v23
	v_and_b32_e32 v24, 7, v24
	v_cmp_eq_u16_e32 vcc, 0, v21
	v_cndmask_b32_e32 v20, v20, v24, vcc
	v_cndmask_b32_e32 v21, v22, v23, vcc
	v_lshlrev_b32_e32 v22, 8, v14
	v_mov_b32_e32 v23, 0x3b800000
	v_lshlrev_b32_e32 v20, 20, v20
	v_and_b32_e32 v22, 0x80000000, v22
	v_lshl_add_u32 v21, v21, 23, v23
	v_or3_b32 v20, v22, v21, v20
.LBB46_1556:
	s_or_b64 exec, exec, s[6:7]
	s_movk_i32 s4, 0xff
	v_and_b32_sdwa v21, v10, s4 dst_sel:DWORD dst_unused:UNUSED_PAD src0_sel:WORD_1 src1_sel:DWORD
	s_movk_i32 s4, 0x7f
	v_cmp_lt_i16_e32 vcc, s4, v21
	s_mov_b64 s[4:5], 0
                                        ; implicit-def: $sgpr10
	s_and_saveexec_b64 s[6:7], vcc
	s_xor_b64 s[6:7], exec, s[6:7]
	s_cbranch_execnz .LBB46_3605
; %bb.1557:
	s_or_saveexec_b64 s[6:7], s[6:7]
	v_mov_b32_e32 v22, s10
	s_xor_b64 exec, exec, s[6:7]
	s_cbranch_execnz .LBB46_3608
.LBB46_1558:
	s_or_b64 exec, exec, s[6:7]
	s_and_saveexec_b64 s[6:7], s[4:5]
	s_cbranch_execz .LBB46_1560
.LBB46_1559:
	v_bfe_u32 v21, v10, 16, 3
	v_ffbh_u32_e32 v24, v21
	v_min_u32_e32 v24, 32, v24
	v_lshrrev_b32_e32 v22, 19, v10
	v_subrev_u32_e32 v25, 28, v24
	v_and_b32_e32 v22, 15, v22
	v_lshlrev_b32_sdwa v25, v25, v10 dst_sel:DWORD dst_unused:UNUSED_PAD src0_sel:DWORD src1_sel:WORD_1
	v_bfe_u32 v23, v10, 19, 4
	v_sub_u32_e32 v24, 29, v24
	v_and_b32_e32 v25, 7, v25
	v_cmp_eq_u16_e32 vcc, 0, v22
	v_cndmask_b32_e32 v21, v21, v25, vcc
	v_cndmask_b32_e32 v22, v23, v24, vcc
	v_lshlrev_b32_e32 v23, 8, v10
	v_mov_b32_e32 v24, 0x3b800000
	v_lshlrev_b32_e32 v21, 20, v21
	v_and_b32_e32 v23, 0x80000000, v23
	v_lshl_add_u32 v22, v22, 23, v24
	v_or3_b32 v22, v23, v22, v21
.LBB46_1560:
	s_or_b64 exec, exec, s[6:7]
	s_nop 0
	v_mfma_f32_16x16x4f32 a[0:3], v20, v22, a[0:3]
	s_movk_i32 s4, 0x7f
	v_cmp_gt_i16_sdwa s[6:7], v14, s4 src0_sel:BYTE_3 src1_sel:DWORD
	s_mov_b64 s[4:5], 0
                                        ; implicit-def: $sgpr10
	s_and_saveexec_b64 s[8:9], s[6:7]
	s_xor_b64 s[6:7], exec, s[8:9]
	s_cbranch_execnz .LBB46_3609
; %bb.1561:
	s_or_saveexec_b64 s[6:7], s[6:7]
	v_mov_b32_e32 v20, s10
	s_xor_b64 exec, exec, s[6:7]
	s_cbranch_execnz .LBB46_3612
.LBB46_1562:
	s_or_b64 exec, exec, s[6:7]
	s_and_saveexec_b64 s[6:7], s[4:5]
	s_cbranch_execz .LBB46_1564
.LBB46_1563:
	v_bfe_u32 v20, v14, 24, 3
	v_ffbh_u32_e32 v24, v20
	v_min_u32_e32 v24, 32, v24
	v_lshrrev_b32_e32 v22, 27, v14
	v_subrev_u32_e32 v25, 28, v24
	v_and_b32_e32 v21, 0x80000000, v14
	v_and_b32_e32 v22, 15, v22
	v_bfe_u32 v23, v14, 27, 4
	v_lshlrev_b32_sdwa v14, v25, v14 dst_sel:DWORD dst_unused:UNUSED_PAD src0_sel:DWORD src1_sel:BYTE_3
	v_sub_u32_e32 v24, 29, v24
	v_and_b32_e32 v14, 7, v14
	v_cmp_eq_u16_e32 vcc, 0, v22
	v_cndmask_b32_e32 v14, v20, v14, vcc
	v_cndmask_b32_e32 v20, v23, v24, vcc
	v_mov_b32_e32 v22, 0x3b800000
	v_lshlrev_b32_e32 v14, 20, v14
	v_lshl_add_u32 v20, v20, 23, v22
	v_or3_b32 v20, v21, v20, v14
.LBB46_1564:
	s_or_b64 exec, exec, s[6:7]
	s_movk_i32 s4, 0x7f
	v_cmp_gt_i16_sdwa s[6:7], v10, s4 src0_sel:BYTE_3 src1_sel:DWORD
	s_mov_b64 s[4:5], 0
                                        ; implicit-def: $sgpr10
	s_and_saveexec_b64 s[8:9], s[6:7]
	s_xor_b64 s[6:7], exec, s[8:9]
	s_cbranch_execnz .LBB46_3613
; %bb.1565:
	s_or_saveexec_b64 s[6:7], s[6:7]
	v_mov_b32_e32 v14, s10
	s_xor_b64 exec, exec, s[6:7]
	s_cbranch_execnz .LBB46_3616
.LBB46_1566:
	s_or_b64 exec, exec, s[6:7]
	s_and_saveexec_b64 s[6:7], s[4:5]
	s_cbranch_execz .LBB46_1568
.LBB46_1567:
	v_bfe_u32 v14, v10, 24, 3
	v_ffbh_u32_e32 v24, v14
	v_min_u32_e32 v24, 32, v24
	v_lshrrev_b32_e32 v22, 27, v10
	v_subrev_u32_e32 v25, 28, v24
	v_and_b32_e32 v21, 0x80000000, v10
	v_and_b32_e32 v22, 15, v22
	v_bfe_u32 v23, v10, 27, 4
	v_lshlrev_b32_sdwa v10, v25, v10 dst_sel:DWORD dst_unused:UNUSED_PAD src0_sel:DWORD src1_sel:BYTE_3
	v_sub_u32_e32 v24, 29, v24
	v_and_b32_e32 v10, 7, v10
	v_cmp_eq_u16_e32 vcc, 0, v22
	v_cndmask_b32_e32 v10, v14, v10, vcc
	v_cndmask_b32_e32 v14, v23, v24, vcc
	v_mov_b32_e32 v22, 0x3b800000
	v_lshlrev_b32_e32 v10, 20, v10
	v_lshl_add_u32 v14, v14, 23, v22
	v_or3_b32 v14, v21, v14, v10
.LBB46_1568:
	s_or_b64 exec, exec, s[6:7]
	s_nop 0
	v_mfma_f32_16x16x4f32 a[0:3], v20, v14, a[0:3]
	s_movk_i32 s4, 0x7f
	v_cmp_gt_i16_sdwa s[6:7], v15, s4 src0_sel:BYTE_0 src1_sel:DWORD
	s_mov_b64 s[4:5], 0
                                        ; implicit-def: $sgpr10
	s_and_saveexec_b64 s[8:9], s[6:7]
	s_xor_b64 s[6:7], exec, s[8:9]
	s_cbranch_execnz .LBB46_3617
; %bb.1569:
	s_or_saveexec_b64 s[6:7], s[6:7]
	v_mov_b32_e32 v10, s10
	s_xor_b64 exec, exec, s[6:7]
	s_cbranch_execnz .LBB46_3620
.LBB46_1570:
	s_or_b64 exec, exec, s[6:7]
	s_and_saveexec_b64 s[6:7], s[4:5]
	s_cbranch_execz .LBB46_1572
.LBB46_1571:
	v_and_b32_e32 v10, 7, v15
	v_ffbh_u32_e32 v20, v10
	v_min_u32_e32 v20, 32, v20
	v_lshrrev_b16_e32 v14, 3, v15
	v_subrev_u32_e32 v21, 28, v20
	v_and_b32_e32 v14, 15, v14
	v_lshlrev_b32_e32 v21, v21, v15
	v_sub_u32_e32 v20, 29, v20
	v_and_b32_e32 v21, 7, v21
	v_cmp_eq_u16_e32 vcc, 0, v14
	v_cndmask_b32_e32 v10, v10, v21, vcc
	v_cndmask_b32_e32 v14, v14, v20, vcc
	v_lshlrev_b32_e32 v20, 24, v15
	v_mov_b32_e32 v21, 0x3b800000
	v_lshlrev_b32_e32 v10, 20, v10
	v_and_b32_e32 v20, 0x80000000, v20
	v_lshl_add_u32 v14, v14, 23, v21
	v_or3_b32 v10, v20, v14, v10
.LBB46_1572:
	s_or_b64 exec, exec, s[6:7]
	s_movk_i32 s4, 0x7f
	v_cmp_gt_i16_sdwa s[6:7], v11, s4 src0_sel:BYTE_0 src1_sel:DWORD
	s_mov_b64 s[4:5], 0
                                        ; implicit-def: $sgpr10
	s_and_saveexec_b64 s[8:9], s[6:7]
	s_xor_b64 s[6:7], exec, s[8:9]
	s_cbranch_execnz .LBB46_3621
; %bb.1573:
	s_or_saveexec_b64 s[6:7], s[6:7]
	v_mov_b32_e32 v14, s10
	s_xor_b64 exec, exec, s[6:7]
	s_cbranch_execnz .LBB46_3624
.LBB46_1574:
	s_or_b64 exec, exec, s[6:7]
	s_and_saveexec_b64 s[6:7], s[4:5]
	s_cbranch_execz .LBB46_1576
.LBB46_1575:
	v_and_b32_e32 v14, 7, v11
	v_ffbh_u32_e32 v21, v14
	v_min_u32_e32 v21, 32, v21
	v_lshrrev_b16_e32 v20, 3, v11
	v_subrev_u32_e32 v22, 28, v21
	v_and_b32_e32 v20, 15, v20
	v_lshlrev_b32_e32 v22, v22, v11
	v_sub_u32_e32 v21, 29, v21
	v_and_b32_e32 v22, 7, v22
	v_cmp_eq_u16_e32 vcc, 0, v20
	v_cndmask_b32_e32 v14, v14, v22, vcc
	v_cndmask_b32_e32 v20, v20, v21, vcc
	v_lshlrev_b32_e32 v21, 24, v11
	v_mov_b32_e32 v22, 0x3b800000
	v_lshlrev_b32_e32 v14, 20, v14
	v_and_b32_e32 v21, 0x80000000, v21
	v_lshl_add_u32 v20, v20, 23, v22
	v_or3_b32 v14, v21, v20, v14
.LBB46_1576:
	s_or_b64 exec, exec, s[6:7]
	s_nop 0
	v_mfma_f32_16x16x4f32 a[0:3], v10, v14, a[0:3]
	v_lshrrev_b32_e32 v14, 8, v15
	s_movk_i32 s4, 0x7f
	v_cmp_gt_i16_sdwa s[6:7], v14, s4 src0_sel:BYTE_0 src1_sel:DWORD
	s_mov_b64 s[4:5], 0
                                        ; implicit-def: $sgpr10
	s_and_saveexec_b64 s[8:9], s[6:7]
	s_xor_b64 s[6:7], exec, s[8:9]
	s_cbranch_execnz .LBB46_3625
; %bb.1577:
	s_or_saveexec_b64 s[6:7], s[6:7]
	v_mov_b32_e32 v10, s10
	s_xor_b64 exec, exec, s[6:7]
	s_cbranch_execnz .LBB46_3628
.LBB46_1578:
	s_or_b64 exec, exec, s[6:7]
	s_and_saveexec_b64 s[6:7], s[4:5]
	s_cbranch_execz .LBB46_1580
.LBB46_1579:
	v_bfe_u32 v10, v15, 8, 3
	v_ffbh_u32_e32 v21, v10
	v_min_u32_e32 v21, 32, v21
	v_lshrrev_b16_e32 v20, 3, v14
	v_subrev_u32_e32 v22, 28, v21
	v_and_b32_e32 v20, 15, v20
	v_lshlrev_b32_e32 v14, v22, v14
	v_sub_u32_e32 v21, 29, v21
	v_and_b32_e32 v14, 7, v14
	v_cmp_eq_u16_e32 vcc, 0, v20
	v_cndmask_b32_e32 v10, v10, v14, vcc
	v_cndmask_b32_e32 v14, v20, v21, vcc
	v_lshlrev_b32_e32 v20, 16, v15
	v_mov_b32_e32 v21, 0x3b800000
	v_lshlrev_b32_e32 v10, 20, v10
	v_and_b32_e32 v20, 0x80000000, v20
	v_lshl_add_u32 v14, v14, 23, v21
	v_or3_b32 v10, v20, v14, v10
.LBB46_1580:
	s_or_b64 exec, exec, s[6:7]
	v_lshrrev_b32_e32 v14, 8, v11
	s_movk_i32 s4, 0x7f
	v_cmp_gt_i16_sdwa s[6:7], v14, s4 src0_sel:BYTE_0 src1_sel:DWORD
	s_mov_b64 s[4:5], 0
                                        ; implicit-def: $sgpr10
	s_and_saveexec_b64 s[8:9], s[6:7]
	s_xor_b64 s[6:7], exec, s[8:9]
	s_cbranch_execnz .LBB46_3629
; %bb.1581:
	s_or_saveexec_b64 s[6:7], s[6:7]
	v_mov_b32_e32 v20, s10
	s_xor_b64 exec, exec, s[6:7]
	s_cbranch_execnz .LBB46_3632
.LBB46_1582:
	s_or_b64 exec, exec, s[6:7]
	s_and_saveexec_b64 s[6:7], s[4:5]
	s_cbranch_execz .LBB46_1584
.LBB46_1583:
	v_bfe_u32 v20, v11, 8, 3
	v_ffbh_u32_e32 v22, v20
	v_min_u32_e32 v22, 32, v22
	v_lshrrev_b16_e32 v21, 3, v14
	v_subrev_u32_e32 v23, 28, v22
	v_and_b32_e32 v21, 15, v21
	v_lshlrev_b32_e32 v14, v23, v14
	v_sub_u32_e32 v22, 29, v22
	v_and_b32_e32 v14, 7, v14
	v_cmp_eq_u16_e32 vcc, 0, v21
	v_cndmask_b32_e32 v14, v20, v14, vcc
	v_cndmask_b32_e32 v20, v21, v22, vcc
	v_lshlrev_b32_e32 v21, 16, v11
	v_mov_b32_e32 v22, 0x3b800000
	v_lshlrev_b32_e32 v14, 20, v14
	v_and_b32_e32 v21, 0x80000000, v21
	v_lshl_add_u32 v20, v20, 23, v22
	v_or3_b32 v20, v21, v20, v14
.LBB46_1584:
	s_or_b64 exec, exec, s[6:7]
	s_nop 0
	v_mfma_f32_16x16x4f32 a[0:3], v10, v20, a[0:3]
	s_movk_i32 s4, 0xff
	v_and_b32_sdwa v14, v15, s4 dst_sel:DWORD dst_unused:UNUSED_PAD src0_sel:WORD_1 src1_sel:DWORD
	s_movk_i32 s4, 0x7f
	v_cmp_lt_i16_e32 vcc, s4, v14
	s_mov_b64 s[4:5], 0
                                        ; implicit-def: $sgpr10
	s_and_saveexec_b64 s[6:7], vcc
	s_xor_b64 s[6:7], exec, s[6:7]
	s_cbranch_execnz .LBB46_3633
; %bb.1585:
	s_or_saveexec_b64 s[6:7], s[6:7]
	v_mov_b32_e32 v10, s10
	s_xor_b64 exec, exec, s[6:7]
	s_cbranch_execnz .LBB46_3636
.LBB46_1586:
	s_or_b64 exec, exec, s[6:7]
	s_and_saveexec_b64 s[6:7], s[4:5]
	s_cbranch_execz .LBB46_1588
.LBB46_1587:
	v_bfe_u32 v10, v15, 16, 3
	v_ffbh_u32_e32 v21, v10
	v_min_u32_e32 v21, 32, v21
	v_lshrrev_b32_e32 v14, 19, v15
	v_subrev_u32_e32 v22, 28, v21
	v_and_b32_e32 v14, 15, v14
	v_lshlrev_b32_sdwa v22, v22, v15 dst_sel:DWORD dst_unused:UNUSED_PAD src0_sel:DWORD src1_sel:WORD_1
	v_bfe_u32 v20, v15, 19, 4
	v_sub_u32_e32 v21, 29, v21
	v_and_b32_e32 v22, 7, v22
	v_cmp_eq_u16_e32 vcc, 0, v14
	v_cndmask_b32_e32 v10, v10, v22, vcc
	v_cndmask_b32_e32 v14, v20, v21, vcc
	v_lshlrev_b32_e32 v20, 8, v15
	v_mov_b32_e32 v21, 0x3b800000
	v_lshlrev_b32_e32 v10, 20, v10
	v_and_b32_e32 v20, 0x80000000, v20
	v_lshl_add_u32 v14, v14, 23, v21
	v_or3_b32 v10, v20, v14, v10
.LBB46_1588:
	s_or_b64 exec, exec, s[6:7]
	s_movk_i32 s4, 0xff
	v_and_b32_sdwa v14, v11, s4 dst_sel:DWORD dst_unused:UNUSED_PAD src0_sel:WORD_1 src1_sel:DWORD
	s_movk_i32 s4, 0x7f
	v_cmp_lt_i16_e32 vcc, s4, v14
	s_mov_b64 s[4:5], 0
                                        ; implicit-def: $sgpr10
	s_and_saveexec_b64 s[6:7], vcc
	s_xor_b64 s[6:7], exec, s[6:7]
	s_cbranch_execnz .LBB46_3637
; %bb.1589:
	s_or_saveexec_b64 s[6:7], s[6:7]
	v_mov_b32_e32 v20, s10
	s_xor_b64 exec, exec, s[6:7]
	s_cbranch_execnz .LBB46_3640
.LBB46_1590:
	s_or_b64 exec, exec, s[6:7]
	s_and_saveexec_b64 s[6:7], s[4:5]
	s_cbranch_execz .LBB46_1592
.LBB46_1591:
	v_bfe_u32 v14, v11, 16, 3
	v_ffbh_u32_e32 v22, v14
	v_min_u32_e32 v22, 32, v22
	v_lshrrev_b32_e32 v20, 19, v11
	v_subrev_u32_e32 v23, 28, v22
	v_and_b32_e32 v20, 15, v20
	v_lshlrev_b32_sdwa v23, v23, v11 dst_sel:DWORD dst_unused:UNUSED_PAD src0_sel:DWORD src1_sel:WORD_1
	v_bfe_u32 v21, v11, 19, 4
	v_sub_u32_e32 v22, 29, v22
	v_and_b32_e32 v23, 7, v23
	v_cmp_eq_u16_e32 vcc, 0, v20
	v_cndmask_b32_e32 v14, v14, v23, vcc
	v_cndmask_b32_e32 v20, v21, v22, vcc
	v_lshlrev_b32_e32 v21, 8, v11
	v_mov_b32_e32 v22, 0x3b800000
	v_lshlrev_b32_e32 v14, 20, v14
	v_and_b32_e32 v21, 0x80000000, v21
	v_lshl_add_u32 v20, v20, 23, v22
	v_or3_b32 v20, v21, v20, v14
.LBB46_1592:
	s_or_b64 exec, exec, s[6:7]
	s_nop 0
	v_mfma_f32_16x16x4f32 a[0:3], v10, v20, a[0:3]
	s_movk_i32 s4, 0x7f
	v_cmp_gt_i16_sdwa s[6:7], v15, s4 src0_sel:BYTE_3 src1_sel:DWORD
	s_mov_b64 s[4:5], 0
                                        ; implicit-def: $sgpr10
	s_and_saveexec_b64 s[8:9], s[6:7]
	s_xor_b64 s[6:7], exec, s[8:9]
	s_cbranch_execnz .LBB46_3641
; %bb.1593:
	s_or_saveexec_b64 s[6:7], s[6:7]
	v_mov_b32_e32 v10, s10
	s_xor_b64 exec, exec, s[6:7]
	s_cbranch_execnz .LBB46_3644
.LBB46_1594:
	s_or_b64 exec, exec, s[6:7]
	s_and_saveexec_b64 s[6:7], s[4:5]
	s_cbranch_execz .LBB46_1596
.LBB46_1595:
	v_bfe_u32 v10, v15, 24, 3
	v_ffbh_u32_e32 v22, v10
	v_min_u32_e32 v22, 32, v22
	v_lshrrev_b32_e32 v20, 27, v15
	v_subrev_u32_e32 v23, 28, v22
	v_and_b32_e32 v14, 0x80000000, v15
	v_and_b32_e32 v20, 15, v20
	v_bfe_u32 v21, v15, 27, 4
	v_lshlrev_b32_sdwa v15, v23, v15 dst_sel:DWORD dst_unused:UNUSED_PAD src0_sel:DWORD src1_sel:BYTE_3
	v_sub_u32_e32 v22, 29, v22
	v_and_b32_e32 v15, 7, v15
	v_cmp_eq_u16_e32 vcc, 0, v20
	v_cndmask_b32_e32 v10, v10, v15, vcc
	v_cndmask_b32_e32 v15, v21, v22, vcc
	v_mov_b32_e32 v20, 0x3b800000
	v_lshlrev_b32_e32 v10, 20, v10
	v_lshl_add_u32 v15, v15, 23, v20
	v_or3_b32 v10, v14, v15, v10
.LBB46_1596:
	s_or_b64 exec, exec, s[6:7]
	s_movk_i32 s4, 0x7f
	v_cmp_gt_i16_sdwa s[6:7], v11, s4 src0_sel:BYTE_3 src1_sel:DWORD
	s_mov_b64 s[4:5], 0
                                        ; implicit-def: $sgpr10
	s_and_saveexec_b64 s[8:9], s[6:7]
	s_xor_b64 s[6:7], exec, s[8:9]
	s_cbranch_execnz .LBB46_3645
; %bb.1597:
	s_or_saveexec_b64 s[6:7], s[6:7]
	v_mov_b32_e32 v14, s10
	s_xor_b64 exec, exec, s[6:7]
	s_cbranch_execnz .LBB46_3648
.LBB46_1598:
	s_or_b64 exec, exec, s[6:7]
	s_and_saveexec_b64 s[6:7], s[4:5]
	s_cbranch_execz .LBB46_1600
.LBB46_1599:
	v_bfe_u32 v14, v11, 24, 3
	v_ffbh_u32_e32 v22, v14
	v_min_u32_e32 v22, 32, v22
	v_lshrrev_b32_e32 v20, 27, v11
	v_subrev_u32_e32 v23, 28, v22
	v_and_b32_e32 v15, 0x80000000, v11
	v_and_b32_e32 v20, 15, v20
	v_bfe_u32 v21, v11, 27, 4
	v_lshlrev_b32_sdwa v11, v23, v11 dst_sel:DWORD dst_unused:UNUSED_PAD src0_sel:DWORD src1_sel:BYTE_3
	v_sub_u32_e32 v22, 29, v22
	v_and_b32_e32 v11, 7, v11
	v_cmp_eq_u16_e32 vcc, 0, v20
	v_cndmask_b32_e32 v11, v14, v11, vcc
	v_cndmask_b32_e32 v14, v21, v22, vcc
	v_mov_b32_e32 v20, 0x3b800000
	v_lshlrev_b32_e32 v11, 20, v11
	v_lshl_add_u32 v14, v14, 23, v20
	v_or3_b32 v14, v15, v14, v11
.LBB46_1600:
	s_or_b64 exec, exec, s[6:7]
	s_nop 0
	v_mfma_f32_16x16x4f32 a[0:3], v10, v14, a[0:3]
	s_movk_i32 s4, 0x7f
	v_cmp_gt_i16_sdwa s[6:7], v16, s4 src0_sel:BYTE_0 src1_sel:DWORD
	s_mov_b64 s[4:5], 0
                                        ; implicit-def: $sgpr10
	s_and_saveexec_b64 s[8:9], s[6:7]
	s_xor_b64 s[6:7], exec, s[8:9]
	s_cbranch_execnz .LBB46_3649
; %bb.1601:
	s_or_saveexec_b64 s[6:7], s[6:7]
	v_mov_b32_e32 v10, s10
	s_xor_b64 exec, exec, s[6:7]
	s_cbranch_execnz .LBB46_3652
.LBB46_1602:
	s_or_b64 exec, exec, s[6:7]
	s_and_saveexec_b64 s[6:7], s[4:5]
	s_cbranch_execz .LBB46_1604
.LBB46_1603:
	v_and_b32_e32 v10, 7, v16
	v_ffbh_u32_e32 v14, v10
	v_min_u32_e32 v14, 32, v14
	v_lshrrev_b16_e32 v11, 3, v16
	v_subrev_u32_e32 v15, 28, v14
	v_and_b32_e32 v11, 15, v11
	v_lshlrev_b32_e32 v15, v15, v16
	v_sub_u32_e32 v14, 29, v14
	v_and_b32_e32 v15, 7, v15
	v_cmp_eq_u16_e32 vcc, 0, v11
	v_cndmask_b32_e32 v10, v10, v15, vcc
	v_cndmask_b32_e32 v11, v11, v14, vcc
	v_lshlrev_b32_e32 v14, 24, v16
	v_mov_b32_e32 v15, 0x3b800000
	v_lshlrev_b32_e32 v10, 20, v10
	v_and_b32_e32 v14, 0x80000000, v14
	v_lshl_add_u32 v11, v11, 23, v15
	v_or3_b32 v10, v14, v11, v10
.LBB46_1604:
	s_or_b64 exec, exec, s[6:7]
	s_movk_i32 s4, 0x7f
	v_cmp_gt_i16_sdwa s[6:7], v12, s4 src0_sel:BYTE_0 src1_sel:DWORD
	s_mov_b64 s[4:5], 0
                                        ; implicit-def: $sgpr10
	s_and_saveexec_b64 s[8:9], s[6:7]
	s_xor_b64 s[6:7], exec, s[8:9]
	s_cbranch_execnz .LBB46_3653
; %bb.1605:
	s_or_saveexec_b64 s[6:7], s[6:7]
	v_mov_b32_e32 v11, s10
	s_xor_b64 exec, exec, s[6:7]
	s_cbranch_execnz .LBB46_3656
.LBB46_1606:
	s_or_b64 exec, exec, s[6:7]
	s_and_saveexec_b64 s[6:7], s[4:5]
	s_cbranch_execz .LBB46_1608
.LBB46_1607:
	v_and_b32_e32 v11, 7, v12
	v_ffbh_u32_e32 v15, v11
	v_min_u32_e32 v15, 32, v15
	v_lshrrev_b16_e32 v14, 3, v12
	v_subrev_u32_e32 v20, 28, v15
	v_and_b32_e32 v14, 15, v14
	v_lshlrev_b32_e32 v20, v20, v12
	v_sub_u32_e32 v15, 29, v15
	v_and_b32_e32 v20, 7, v20
	v_cmp_eq_u16_e32 vcc, 0, v14
	v_cndmask_b32_e32 v11, v11, v20, vcc
	v_cndmask_b32_e32 v14, v14, v15, vcc
	v_lshlrev_b32_e32 v15, 24, v12
	v_mov_b32_e32 v20, 0x3b800000
	v_lshlrev_b32_e32 v11, 20, v11
	v_and_b32_e32 v15, 0x80000000, v15
	v_lshl_add_u32 v14, v14, 23, v20
	v_or3_b32 v11, v15, v14, v11
.LBB46_1608:
	s_or_b64 exec, exec, s[6:7]
	s_nop 0
	v_mfma_f32_16x16x4f32 a[0:3], v10, v11, a[0:3]
	v_lshrrev_b32_e32 v11, 8, v16
	s_movk_i32 s4, 0x7f
	v_cmp_gt_i16_sdwa s[6:7], v11, s4 src0_sel:BYTE_0 src1_sel:DWORD
	s_mov_b64 s[4:5], 0
                                        ; implicit-def: $sgpr10
	s_and_saveexec_b64 s[8:9], s[6:7]
	s_xor_b64 s[6:7], exec, s[8:9]
	s_cbranch_execnz .LBB46_3657
; %bb.1609:
	s_or_saveexec_b64 s[6:7], s[6:7]
	v_mov_b32_e32 v10, s10
	s_xor_b64 exec, exec, s[6:7]
	s_cbranch_execnz .LBB46_3660
.LBB46_1610:
	s_or_b64 exec, exec, s[6:7]
	s_and_saveexec_b64 s[6:7], s[4:5]
	s_cbranch_execz .LBB46_1612
.LBB46_1611:
	v_bfe_u32 v10, v16, 8, 3
	v_ffbh_u32_e32 v15, v10
	v_min_u32_e32 v15, 32, v15
	v_lshrrev_b16_e32 v14, 3, v11
	v_subrev_u32_e32 v20, 28, v15
	v_and_b32_e32 v14, 15, v14
	v_lshlrev_b32_e32 v11, v20, v11
	v_sub_u32_e32 v15, 29, v15
	v_and_b32_e32 v11, 7, v11
	v_cmp_eq_u16_e32 vcc, 0, v14
	v_cndmask_b32_e32 v10, v10, v11, vcc
	v_cndmask_b32_e32 v11, v14, v15, vcc
	v_lshlrev_b32_e32 v14, 16, v16
	v_mov_b32_e32 v15, 0x3b800000
	v_lshlrev_b32_e32 v10, 20, v10
	v_and_b32_e32 v14, 0x80000000, v14
	v_lshl_add_u32 v11, v11, 23, v15
	v_or3_b32 v10, v14, v11, v10
.LBB46_1612:
	s_or_b64 exec, exec, s[6:7]
	v_lshrrev_b32_e32 v11, 8, v12
	s_movk_i32 s4, 0x7f
	v_cmp_gt_i16_sdwa s[6:7], v11, s4 src0_sel:BYTE_0 src1_sel:DWORD
	s_mov_b64 s[4:5], 0
                                        ; implicit-def: $sgpr10
	s_and_saveexec_b64 s[8:9], s[6:7]
	s_xor_b64 s[6:7], exec, s[8:9]
	s_cbranch_execnz .LBB46_3661
; %bb.1613:
	s_or_saveexec_b64 s[6:7], s[6:7]
	v_mov_b32_e32 v14, s10
	s_xor_b64 exec, exec, s[6:7]
	s_cbranch_execnz .LBB46_3664
.LBB46_1614:
	s_or_b64 exec, exec, s[6:7]
	s_and_saveexec_b64 s[6:7], s[4:5]
	s_cbranch_execz .LBB46_1616
.LBB46_1615:
	v_bfe_u32 v14, v12, 8, 3
	v_ffbh_u32_e32 v20, v14
	v_min_u32_e32 v20, 32, v20
	v_lshrrev_b16_e32 v15, 3, v11
	v_subrev_u32_e32 v21, 28, v20
	v_and_b32_e32 v15, 15, v15
	v_lshlrev_b32_e32 v11, v21, v11
	v_sub_u32_e32 v20, 29, v20
	v_and_b32_e32 v11, 7, v11
	v_cmp_eq_u16_e32 vcc, 0, v15
	v_cndmask_b32_e32 v11, v14, v11, vcc
	v_cndmask_b32_e32 v14, v15, v20, vcc
	v_lshlrev_b32_e32 v15, 16, v12
	v_mov_b32_e32 v20, 0x3b800000
	v_lshlrev_b32_e32 v11, 20, v11
	v_and_b32_e32 v15, 0x80000000, v15
	v_lshl_add_u32 v14, v14, 23, v20
	v_or3_b32 v14, v15, v14, v11
.LBB46_1616:
	s_or_b64 exec, exec, s[6:7]
	s_nop 0
	v_mfma_f32_16x16x4f32 a[0:3], v10, v14, a[0:3]
	s_movk_i32 s4, 0xff
	v_and_b32_sdwa v11, v16, s4 dst_sel:DWORD dst_unused:UNUSED_PAD src0_sel:WORD_1 src1_sel:DWORD
	s_movk_i32 s4, 0x7f
	v_cmp_lt_i16_e32 vcc, s4, v11
	s_mov_b64 s[4:5], 0
                                        ; implicit-def: $sgpr10
	s_and_saveexec_b64 s[6:7], vcc
	s_xor_b64 s[6:7], exec, s[6:7]
	s_cbranch_execnz .LBB46_3665
; %bb.1617:
	s_or_saveexec_b64 s[6:7], s[6:7]
	v_mov_b32_e32 v10, s10
	s_xor_b64 exec, exec, s[6:7]
	s_cbranch_execnz .LBB46_3668
.LBB46_1618:
	s_or_b64 exec, exec, s[6:7]
	s_and_saveexec_b64 s[6:7], s[4:5]
	s_cbranch_execz .LBB46_1620
.LBB46_1619:
	v_bfe_u32 v10, v16, 16, 3
	v_ffbh_u32_e32 v15, v10
	v_min_u32_e32 v15, 32, v15
	v_lshrrev_b32_e32 v11, 19, v16
	v_subrev_u32_e32 v20, 28, v15
	v_and_b32_e32 v11, 15, v11
	v_lshlrev_b32_sdwa v20, v20, v16 dst_sel:DWORD dst_unused:UNUSED_PAD src0_sel:DWORD src1_sel:WORD_1
	v_bfe_u32 v14, v16, 19, 4
	v_sub_u32_e32 v15, 29, v15
	v_and_b32_e32 v20, 7, v20
	v_cmp_eq_u16_e32 vcc, 0, v11
	v_cndmask_b32_e32 v10, v10, v20, vcc
	v_cndmask_b32_e32 v11, v14, v15, vcc
	v_lshlrev_b32_e32 v14, 8, v16
	v_mov_b32_e32 v15, 0x3b800000
	v_lshlrev_b32_e32 v10, 20, v10
	v_and_b32_e32 v14, 0x80000000, v14
	v_lshl_add_u32 v11, v11, 23, v15
	v_or3_b32 v10, v14, v11, v10
.LBB46_1620:
	s_or_b64 exec, exec, s[6:7]
	s_movk_i32 s4, 0xff
	v_and_b32_sdwa v11, v12, s4 dst_sel:DWORD dst_unused:UNUSED_PAD src0_sel:WORD_1 src1_sel:DWORD
	s_movk_i32 s4, 0x7f
	v_cmp_lt_i16_e32 vcc, s4, v11
	s_mov_b64 s[4:5], 0
                                        ; implicit-def: $sgpr10
	s_and_saveexec_b64 s[6:7], vcc
	s_xor_b64 s[6:7], exec, s[6:7]
	s_cbranch_execnz .LBB46_3669
; %bb.1621:
	s_or_saveexec_b64 s[6:7], s[6:7]
	v_mov_b32_e32 v14, s10
	s_xor_b64 exec, exec, s[6:7]
	s_cbranch_execnz .LBB46_3672
.LBB46_1622:
	s_or_b64 exec, exec, s[6:7]
	s_and_saveexec_b64 s[6:7], s[4:5]
	s_cbranch_execz .LBB46_1624
.LBB46_1623:
	v_bfe_u32 v11, v12, 16, 3
	v_ffbh_u32_e32 v20, v11
	v_min_u32_e32 v20, 32, v20
	v_lshrrev_b32_e32 v14, 19, v12
	v_subrev_u32_e32 v21, 28, v20
	v_and_b32_e32 v14, 15, v14
	v_lshlrev_b32_sdwa v21, v21, v12 dst_sel:DWORD dst_unused:UNUSED_PAD src0_sel:DWORD src1_sel:WORD_1
	v_bfe_u32 v15, v12, 19, 4
	v_sub_u32_e32 v20, 29, v20
	v_and_b32_e32 v21, 7, v21
	v_cmp_eq_u16_e32 vcc, 0, v14
	v_cndmask_b32_e32 v11, v11, v21, vcc
	v_cndmask_b32_e32 v14, v15, v20, vcc
	v_lshlrev_b32_e32 v15, 8, v12
	v_mov_b32_e32 v20, 0x3b800000
	v_lshlrev_b32_e32 v11, 20, v11
	v_and_b32_e32 v15, 0x80000000, v15
	v_lshl_add_u32 v14, v14, 23, v20
	v_or3_b32 v14, v15, v14, v11
.LBB46_1624:
	s_or_b64 exec, exec, s[6:7]
	s_nop 0
	v_mfma_f32_16x16x4f32 a[0:3], v10, v14, a[0:3]
	s_movk_i32 s4, 0x7f
	v_cmp_gt_i16_sdwa s[6:7], v16, s4 src0_sel:BYTE_3 src1_sel:DWORD
	s_mov_b64 s[4:5], 0
                                        ; implicit-def: $sgpr10
	s_and_saveexec_b64 s[8:9], s[6:7]
	s_xor_b64 s[6:7], exec, s[8:9]
	s_cbranch_execnz .LBB46_3673
; %bb.1625:
	s_or_saveexec_b64 s[6:7], s[6:7]
	v_mov_b32_e32 v10, s10
	s_xor_b64 exec, exec, s[6:7]
	s_cbranch_execnz .LBB46_3676
.LBB46_1626:
	s_or_b64 exec, exec, s[6:7]
	s_and_saveexec_b64 s[6:7], s[4:5]
	s_cbranch_execz .LBB46_1628
.LBB46_1627:
	v_bfe_u32 v10, v16, 24, 3
	v_ffbh_u32_e32 v20, v10
	v_min_u32_e32 v20, 32, v20
	v_lshrrev_b32_e32 v14, 27, v16
	v_subrev_u32_e32 v21, 28, v20
	v_and_b32_e32 v11, 0x80000000, v16
	v_and_b32_e32 v14, 15, v14
	v_bfe_u32 v15, v16, 27, 4
	v_lshlrev_b32_sdwa v16, v21, v16 dst_sel:DWORD dst_unused:UNUSED_PAD src0_sel:DWORD src1_sel:BYTE_3
	v_sub_u32_e32 v20, 29, v20
	v_and_b32_e32 v16, 7, v16
	v_cmp_eq_u16_e32 vcc, 0, v14
	v_cndmask_b32_e32 v10, v10, v16, vcc
	v_cndmask_b32_e32 v14, v15, v20, vcc
	v_mov_b32_e32 v15, 0x3b800000
	v_lshlrev_b32_e32 v10, 20, v10
	v_lshl_add_u32 v14, v14, 23, v15
	v_or3_b32 v10, v11, v14, v10
.LBB46_1628:
	s_or_b64 exec, exec, s[6:7]
	s_movk_i32 s4, 0x7f
	v_cmp_gt_i16_sdwa s[6:7], v12, s4 src0_sel:BYTE_3 src1_sel:DWORD
	s_mov_b64 s[4:5], 0
                                        ; implicit-def: $sgpr10
	s_and_saveexec_b64 s[8:9], s[6:7]
	s_xor_b64 s[6:7], exec, s[8:9]
	s_cbranch_execnz .LBB46_3677
; %bb.1629:
	s_or_saveexec_b64 s[6:7], s[6:7]
	v_mov_b32_e32 v11, s10
	s_xor_b64 exec, exec, s[6:7]
	s_cbranch_execnz .LBB46_3680
.LBB46_1630:
	s_or_b64 exec, exec, s[6:7]
	s_and_saveexec_b64 s[6:7], s[4:5]
	s_cbranch_execz .LBB46_1632
.LBB46_1631:
	v_bfe_u32 v11, v12, 24, 3
	v_ffbh_u32_e32 v20, v11
	v_min_u32_e32 v20, 32, v20
	v_lshrrev_b32_e32 v15, 27, v12
	v_subrev_u32_e32 v21, 28, v20
	v_and_b32_e32 v14, 0x80000000, v12
	v_and_b32_e32 v15, 15, v15
	v_bfe_u32 v16, v12, 27, 4
	v_lshlrev_b32_sdwa v12, v21, v12 dst_sel:DWORD dst_unused:UNUSED_PAD src0_sel:DWORD src1_sel:BYTE_3
	v_sub_u32_e32 v20, 29, v20
	v_and_b32_e32 v12, 7, v12
	v_cmp_eq_u16_e32 vcc, 0, v15
	v_cndmask_b32_e32 v11, v11, v12, vcc
	v_cndmask_b32_e32 v12, v16, v20, vcc
	v_mov_b32_e32 v15, 0x3b800000
	v_lshlrev_b32_e32 v11, 20, v11
	v_lshl_add_u32 v12, v12, 23, v15
	v_or3_b32 v11, v14, v12, v11
.LBB46_1632:
	s_or_b64 exec, exec, s[6:7]
	s_nop 0
	v_mfma_f32_16x16x4f32 a[0:3], v10, v11, a[0:3]
	s_movk_i32 s4, 0x7f
	v_cmp_gt_i16_sdwa s[6:7], v17, s4 src0_sel:BYTE_0 src1_sel:DWORD
	s_mov_b64 s[4:5], 0
                                        ; implicit-def: $sgpr10
	s_and_saveexec_b64 s[8:9], s[6:7]
	s_xor_b64 s[6:7], exec, s[8:9]
	s_cbranch_execnz .LBB46_3681
; %bb.1633:
	s_or_saveexec_b64 s[6:7], s[6:7]
	v_mov_b32_e32 v10, s10
	s_xor_b64 exec, exec, s[6:7]
	s_cbranch_execnz .LBB46_3684
.LBB46_1634:
	s_or_b64 exec, exec, s[6:7]
	s_and_saveexec_b64 s[6:7], s[4:5]
	s_cbranch_execz .LBB46_1636
.LBB46_1635:
	v_and_b32_e32 v10, 7, v17
	v_ffbh_u32_e32 v12, v10
	v_min_u32_e32 v12, 32, v12
	v_lshrrev_b16_e32 v11, 3, v17
	v_subrev_u32_e32 v14, 28, v12
	v_and_b32_e32 v11, 15, v11
	v_lshlrev_b32_e32 v14, v14, v17
	v_sub_u32_e32 v12, 29, v12
	v_and_b32_e32 v14, 7, v14
	v_cmp_eq_u16_e32 vcc, 0, v11
	v_cndmask_b32_e32 v10, v10, v14, vcc
	v_cndmask_b32_e32 v11, v11, v12, vcc
	v_lshlrev_b32_e32 v12, 24, v17
	v_mov_b32_e32 v14, 0x3b800000
	v_lshlrev_b32_e32 v10, 20, v10
	v_and_b32_e32 v12, 0x80000000, v12
	v_lshl_add_u32 v11, v11, 23, v14
	v_or3_b32 v10, v12, v11, v10
.LBB46_1636:
	s_or_b64 exec, exec, s[6:7]
	s_movk_i32 s4, 0x7f
	v_cmp_gt_i16_sdwa s[6:7], v13, s4 src0_sel:BYTE_0 src1_sel:DWORD
	s_mov_b64 s[4:5], 0
                                        ; implicit-def: $sgpr10
	s_and_saveexec_b64 s[8:9], s[6:7]
	s_xor_b64 s[6:7], exec, s[8:9]
	s_cbranch_execnz .LBB46_3685
; %bb.1637:
	s_or_saveexec_b64 s[6:7], s[6:7]
	v_mov_b32_e32 v11, s10
	s_xor_b64 exec, exec, s[6:7]
	s_cbranch_execnz .LBB46_3688
.LBB46_1638:
	s_or_b64 exec, exec, s[6:7]
	s_and_saveexec_b64 s[6:7], s[4:5]
	s_cbranch_execz .LBB46_1640
.LBB46_1639:
	v_and_b32_e32 v11, 7, v13
	v_ffbh_u32_e32 v14, v11
	v_min_u32_e32 v14, 32, v14
	v_lshrrev_b16_e32 v12, 3, v13
	v_subrev_u32_e32 v15, 28, v14
	v_and_b32_e32 v12, 15, v12
	v_lshlrev_b32_e32 v15, v15, v13
	v_sub_u32_e32 v14, 29, v14
	v_and_b32_e32 v15, 7, v15
	v_cmp_eq_u16_e32 vcc, 0, v12
	v_cndmask_b32_e32 v11, v11, v15, vcc
	v_cndmask_b32_e32 v12, v12, v14, vcc
	v_lshlrev_b32_e32 v14, 24, v13
	v_mov_b32_e32 v15, 0x3b800000
	v_lshlrev_b32_e32 v11, 20, v11
	v_and_b32_e32 v14, 0x80000000, v14
	v_lshl_add_u32 v12, v12, 23, v15
	v_or3_b32 v11, v14, v12, v11
.LBB46_1640:
	s_or_b64 exec, exec, s[6:7]
	s_nop 0
	v_mfma_f32_16x16x4f32 a[0:3], v10, v11, a[0:3]
	v_lshrrev_b32_e32 v11, 8, v17
	s_movk_i32 s4, 0x7f
	v_cmp_gt_i16_sdwa s[6:7], v11, s4 src0_sel:BYTE_0 src1_sel:DWORD
	s_mov_b64 s[4:5], 0
                                        ; implicit-def: $sgpr10
	s_and_saveexec_b64 s[8:9], s[6:7]
	s_xor_b64 s[6:7], exec, s[8:9]
	s_cbranch_execnz .LBB46_3689
; %bb.1641:
	s_or_saveexec_b64 s[6:7], s[6:7]
	v_mov_b32_e32 v10, s10
	s_xor_b64 exec, exec, s[6:7]
	s_cbranch_execnz .LBB46_3692
.LBB46_1642:
	s_or_b64 exec, exec, s[6:7]
	s_and_saveexec_b64 s[6:7], s[4:5]
	s_cbranch_execz .LBB46_1644
.LBB46_1643:
	v_bfe_u32 v10, v17, 8, 3
	v_ffbh_u32_e32 v14, v10
	v_min_u32_e32 v14, 32, v14
	v_lshrrev_b16_e32 v12, 3, v11
	v_subrev_u32_e32 v15, 28, v14
	v_and_b32_e32 v12, 15, v12
	v_lshlrev_b32_e32 v11, v15, v11
	v_sub_u32_e32 v14, 29, v14
	v_and_b32_e32 v11, 7, v11
	v_cmp_eq_u16_e32 vcc, 0, v12
	v_cndmask_b32_e32 v10, v10, v11, vcc
	v_cndmask_b32_e32 v11, v12, v14, vcc
	v_lshlrev_b32_e32 v12, 16, v17
	v_mov_b32_e32 v14, 0x3b800000
	v_lshlrev_b32_e32 v10, 20, v10
	v_and_b32_e32 v12, 0x80000000, v12
	v_lshl_add_u32 v11, v11, 23, v14
	v_or3_b32 v10, v12, v11, v10
.LBB46_1644:
	s_or_b64 exec, exec, s[6:7]
	v_lshrrev_b32_e32 v11, 8, v13
	s_movk_i32 s4, 0x7f
	v_cmp_gt_i16_sdwa s[6:7], v11, s4 src0_sel:BYTE_0 src1_sel:DWORD
	s_mov_b64 s[4:5], 0
                                        ; implicit-def: $sgpr10
	s_and_saveexec_b64 s[8:9], s[6:7]
	s_xor_b64 s[6:7], exec, s[8:9]
	s_cbranch_execnz .LBB46_3693
; %bb.1645:
	s_or_saveexec_b64 s[6:7], s[6:7]
	v_mov_b32_e32 v12, s10
	s_xor_b64 exec, exec, s[6:7]
	s_cbranch_execnz .LBB46_3696
.LBB46_1646:
	s_or_b64 exec, exec, s[6:7]
	s_and_saveexec_b64 s[6:7], s[4:5]
	s_cbranch_execz .LBB46_1648
.LBB46_1647:
	v_bfe_u32 v12, v13, 8, 3
	v_ffbh_u32_e32 v15, v12
	v_min_u32_e32 v15, 32, v15
	v_lshrrev_b16_e32 v14, 3, v11
	v_subrev_u32_e32 v16, 28, v15
	v_and_b32_e32 v14, 15, v14
	v_lshlrev_b32_e32 v11, v16, v11
	v_sub_u32_e32 v15, 29, v15
	v_and_b32_e32 v11, 7, v11
	v_cmp_eq_u16_e32 vcc, 0, v14
	v_cndmask_b32_e32 v11, v12, v11, vcc
	v_cndmask_b32_e32 v12, v14, v15, vcc
	v_lshlrev_b32_e32 v14, 16, v13
	v_mov_b32_e32 v15, 0x3b800000
	v_lshlrev_b32_e32 v11, 20, v11
	v_and_b32_e32 v14, 0x80000000, v14
	v_lshl_add_u32 v12, v12, 23, v15
	v_or3_b32 v12, v14, v12, v11
.LBB46_1648:
	s_or_b64 exec, exec, s[6:7]
	s_nop 0
	v_mfma_f32_16x16x4f32 a[0:3], v10, v12, a[0:3]
	s_movk_i32 s4, 0xff
	v_and_b32_sdwa v11, v17, s4 dst_sel:DWORD dst_unused:UNUSED_PAD src0_sel:WORD_1 src1_sel:DWORD
	s_movk_i32 s4, 0x7f
	v_cmp_lt_i16_e32 vcc, s4, v11
	s_mov_b64 s[4:5], 0
                                        ; implicit-def: $sgpr10
	s_and_saveexec_b64 s[6:7], vcc
	s_xor_b64 s[6:7], exec, s[6:7]
	s_cbranch_execnz .LBB46_3697
; %bb.1649:
	s_or_saveexec_b64 s[6:7], s[6:7]
	v_mov_b32_e32 v10, s10
	s_xor_b64 exec, exec, s[6:7]
	s_cbranch_execnz .LBB46_3700
.LBB46_1650:
	s_or_b64 exec, exec, s[6:7]
	s_and_saveexec_b64 s[6:7], s[4:5]
	s_cbranch_execz .LBB46_1652
.LBB46_1651:
	v_bfe_u32 v10, v17, 16, 3
	v_ffbh_u32_e32 v14, v10
	v_min_u32_e32 v14, 32, v14
	v_lshrrev_b32_e32 v11, 19, v17
	v_subrev_u32_e32 v15, 28, v14
	v_and_b32_e32 v11, 15, v11
	v_lshlrev_b32_sdwa v15, v15, v17 dst_sel:DWORD dst_unused:UNUSED_PAD src0_sel:DWORD src1_sel:WORD_1
	v_bfe_u32 v12, v17, 19, 4
	v_sub_u32_e32 v14, 29, v14
	v_and_b32_e32 v15, 7, v15
	v_cmp_eq_u16_e32 vcc, 0, v11
	v_cndmask_b32_e32 v10, v10, v15, vcc
	v_cndmask_b32_e32 v11, v12, v14, vcc
	v_lshlrev_b32_e32 v12, 8, v17
	v_mov_b32_e32 v14, 0x3b800000
	v_lshlrev_b32_e32 v10, 20, v10
	v_and_b32_e32 v12, 0x80000000, v12
	v_lshl_add_u32 v11, v11, 23, v14
	v_or3_b32 v10, v12, v11, v10
.LBB46_1652:
	s_or_b64 exec, exec, s[6:7]
	s_movk_i32 s4, 0xff
	v_and_b32_sdwa v11, v13, s4 dst_sel:DWORD dst_unused:UNUSED_PAD src0_sel:WORD_1 src1_sel:DWORD
	s_movk_i32 s4, 0x7f
	v_cmp_lt_i16_e32 vcc, s4, v11
	s_mov_b64 s[4:5], 0
                                        ; implicit-def: $sgpr10
	s_and_saveexec_b64 s[6:7], vcc
	s_xor_b64 s[6:7], exec, s[6:7]
	s_cbranch_execnz .LBB46_3701
; %bb.1653:
	s_or_saveexec_b64 s[6:7], s[6:7]
	v_mov_b32_e32 v12, s10
	s_xor_b64 exec, exec, s[6:7]
	s_cbranch_execnz .LBB46_3704
.LBB46_1654:
	s_or_b64 exec, exec, s[6:7]
	s_and_saveexec_b64 s[6:7], s[4:5]
	s_cbranch_execz .LBB46_1656
.LBB46_1655:
	v_bfe_u32 v11, v13, 16, 3
	v_ffbh_u32_e32 v15, v11
	v_min_u32_e32 v15, 32, v15
	v_lshrrev_b32_e32 v12, 19, v13
	v_subrev_u32_e32 v16, 28, v15
	v_and_b32_e32 v12, 15, v12
	v_lshlrev_b32_sdwa v16, v16, v13 dst_sel:DWORD dst_unused:UNUSED_PAD src0_sel:DWORD src1_sel:WORD_1
	v_bfe_u32 v14, v13, 19, 4
	v_sub_u32_e32 v15, 29, v15
	v_and_b32_e32 v16, 7, v16
	v_cmp_eq_u16_e32 vcc, 0, v12
	v_cndmask_b32_e32 v11, v11, v16, vcc
	v_cndmask_b32_e32 v12, v14, v15, vcc
	v_lshlrev_b32_e32 v14, 8, v13
	v_mov_b32_e32 v15, 0x3b800000
	v_lshlrev_b32_e32 v11, 20, v11
	v_and_b32_e32 v14, 0x80000000, v14
	v_lshl_add_u32 v12, v12, 23, v15
	v_or3_b32 v12, v14, v12, v11
.LBB46_1656:
	s_or_b64 exec, exec, s[6:7]
	s_nop 0
	v_mfma_f32_16x16x4f32 a[0:3], v10, v12, a[0:3]
	s_movk_i32 s4, 0x7f
	v_cmp_gt_i16_sdwa s[6:7], v17, s4 src0_sel:BYTE_3 src1_sel:DWORD
	s_mov_b64 s[4:5], 0
                                        ; implicit-def: $sgpr10
	s_and_saveexec_b64 s[8:9], s[6:7]
	s_xor_b64 s[6:7], exec, s[8:9]
	s_cbranch_execnz .LBB46_3705
; %bb.1657:
	s_or_saveexec_b64 s[6:7], s[6:7]
	v_mov_b32_e32 v10, s10
	s_xor_b64 exec, exec, s[6:7]
	s_cbranch_execnz .LBB46_3708
.LBB46_1658:
	s_or_b64 exec, exec, s[6:7]
	s_and_saveexec_b64 s[6:7], s[4:5]
	s_cbranch_execz .LBB46_1660
.LBB46_1659:
	v_bfe_u32 v10, v17, 24, 3
	v_ffbh_u32_e32 v15, v10
	v_min_u32_e32 v15, 32, v15
	v_lshrrev_b32_e32 v12, 27, v17
	v_subrev_u32_e32 v16, 28, v15
	v_and_b32_e32 v12, 15, v12
	v_lshlrev_b32_sdwa v16, v16, v17 dst_sel:DWORD dst_unused:UNUSED_PAD src0_sel:DWORD src1_sel:BYTE_3
	v_bfe_u32 v14, v17, 27, 4
	v_sub_u32_e32 v15, 29, v15
	v_and_b32_e32 v16, 7, v16
	v_cmp_eq_u16_e32 vcc, 0, v12
	v_cndmask_b32_e32 v10, v10, v16, vcc
	v_cndmask_b32_e32 v12, v14, v15, vcc
	v_mov_b32_e32 v14, 0x3b800000
	v_and_b32_e32 v11, 0x80000000, v17
	v_lshlrev_b32_e32 v10, 20, v10
	v_lshl_add_u32 v12, v12, 23, v14
	v_or3_b32 v10, v11, v12, v10
.LBB46_1660:
	s_or_b64 exec, exec, s[6:7]
	s_movk_i32 s4, 0x7f
	v_cmp_gt_i16_sdwa s[6:7], v13, s4 src0_sel:BYTE_3 src1_sel:DWORD
	s_mov_b64 s[4:5], 0
                                        ; implicit-def: $sgpr10
	s_and_saveexec_b64 s[8:9], s[6:7]
	s_xor_b64 s[6:7], exec, s[8:9]
	s_cbranch_execnz .LBB46_3709
; %bb.1661:
	s_or_saveexec_b64 s[6:7], s[6:7]
	v_mov_b32_e32 v11, s10
	s_xor_b64 exec, exec, s[6:7]
	s_cbranch_execnz .LBB46_3712
.LBB46_1662:
	s_or_b64 exec, exec, s[6:7]
	s_and_saveexec_b64 s[6:7], s[4:5]
	s_cbranch_execz .LBB46_1664
.LBB46_1663:
	v_bfe_u32 v11, v13, 24, 3
	v_ffbh_u32_e32 v16, v11
	v_min_u32_e32 v16, 32, v16
	v_lshrrev_b32_e32 v14, 27, v13
	v_subrev_u32_e32 v17, 28, v16
	v_and_b32_e32 v12, 0x80000000, v13
	v_and_b32_e32 v14, 15, v14
	v_bfe_u32 v15, v13, 27, 4
	v_lshlrev_b32_sdwa v13, v17, v13 dst_sel:DWORD dst_unused:UNUSED_PAD src0_sel:DWORD src1_sel:BYTE_3
	v_sub_u32_e32 v16, 29, v16
	v_and_b32_e32 v13, 7, v13
	v_cmp_eq_u16_e32 vcc, 0, v14
	v_cndmask_b32_e32 v11, v11, v13, vcc
	v_cndmask_b32_e32 v13, v15, v16, vcc
	v_mov_b32_e32 v14, 0x3b800000
	v_lshlrev_b32_e32 v11, 20, v11
	v_lshl_add_u32 v13, v13, 23, v14
	v_or3_b32 v11, v12, v13, v11
.LBB46_1664:
	s_or_b64 exec, exec, s[6:7]
	s_nop 0
	v_mfma_f32_16x16x4f32 a[0:3], v10, v11, a[0:3]
	s_movk_i32 s4, 0x7f
	v_cmp_gt_i16_sdwa s[6:7], v6, s4 src0_sel:BYTE_0 src1_sel:DWORD
	s_mov_b64 s[4:5], 0
                                        ; implicit-def: $sgpr10
	s_and_saveexec_b64 s[8:9], s[6:7]
	s_xor_b64 s[6:7], exec, s[8:9]
	s_cbranch_execnz .LBB46_3713
; %bb.1665:
	s_or_saveexec_b64 s[6:7], s[6:7]
	v_mov_b32_e32 v10, s10
	s_xor_b64 exec, exec, s[6:7]
	s_cbranch_execnz .LBB46_3716
.LBB46_1666:
	s_or_b64 exec, exec, s[6:7]
	s_and_saveexec_b64 s[6:7], s[4:5]
	s_cbranch_execz .LBB46_1668
.LBB46_1667:
	v_and_b32_e32 v10, 7, v6
	v_ffbh_u32_e32 v12, v10
	v_min_u32_e32 v12, 32, v12
	v_lshrrev_b16_e32 v11, 3, v6
	v_subrev_u32_e32 v13, 28, v12
	v_and_b32_e32 v11, 15, v11
	v_lshlrev_b32_e32 v13, v13, v6
	v_sub_u32_e32 v12, 29, v12
	v_and_b32_e32 v13, 7, v13
	v_cmp_eq_u16_e32 vcc, 0, v11
	v_cndmask_b32_e32 v10, v10, v13, vcc
	v_cndmask_b32_e32 v11, v11, v12, vcc
	v_lshlrev_b32_e32 v12, 24, v6
	v_mov_b32_e32 v13, 0x3b800000
	v_lshlrev_b32_e32 v10, 20, v10
	v_and_b32_e32 v12, 0x80000000, v12
	v_lshl_add_u32 v11, v11, 23, v13
	v_or3_b32 v10, v12, v11, v10
.LBB46_1668:
	s_or_b64 exec, exec, s[6:7]
	s_movk_i32 s4, 0x7f
	v_cmp_gt_i16_sdwa s[6:7], v2, s4 src0_sel:BYTE_0 src1_sel:DWORD
	s_mov_b64 s[4:5], 0
                                        ; implicit-def: $sgpr10
	s_and_saveexec_b64 s[8:9], s[6:7]
	s_xor_b64 s[6:7], exec, s[8:9]
	s_cbranch_execnz .LBB46_3717
; %bb.1669:
	s_or_saveexec_b64 s[6:7], s[6:7]
	v_mov_b32_e32 v11, s10
	s_xor_b64 exec, exec, s[6:7]
	s_cbranch_execnz .LBB46_3720
.LBB46_1670:
	s_or_b64 exec, exec, s[6:7]
	s_and_saveexec_b64 s[6:7], s[4:5]
	s_cbranch_execz .LBB46_1672
.LBB46_1671:
	v_and_b32_e32 v11, 7, v2
	v_ffbh_u32_e32 v13, v11
	v_min_u32_e32 v13, 32, v13
	v_lshrrev_b16_e32 v12, 3, v2
	v_subrev_u32_e32 v14, 28, v13
	v_and_b32_e32 v12, 15, v12
	v_lshlrev_b32_e32 v14, v14, v2
	v_sub_u32_e32 v13, 29, v13
	v_and_b32_e32 v14, 7, v14
	v_cmp_eq_u16_e32 vcc, 0, v12
	v_cndmask_b32_e32 v11, v11, v14, vcc
	v_cndmask_b32_e32 v12, v12, v13, vcc
	v_lshlrev_b32_e32 v13, 24, v2
	v_mov_b32_e32 v14, 0x3b800000
	v_lshlrev_b32_e32 v11, 20, v11
	v_and_b32_e32 v13, 0x80000000, v13
	v_lshl_add_u32 v12, v12, 23, v14
	v_or3_b32 v11, v13, v12, v11
.LBB46_1672:
	s_or_b64 exec, exec, s[6:7]
	s_nop 0
	v_mfma_f32_16x16x4f32 a[0:3], v10, v11, a[0:3]
	v_lshrrev_b32_e32 v11, 8, v6
	s_movk_i32 s4, 0x7f
	v_cmp_gt_i16_sdwa s[6:7], v11, s4 src0_sel:BYTE_0 src1_sel:DWORD
	s_mov_b64 s[4:5], 0
                                        ; implicit-def: $sgpr10
	s_and_saveexec_b64 s[8:9], s[6:7]
	s_xor_b64 s[6:7], exec, s[8:9]
	s_cbranch_execnz .LBB46_3721
; %bb.1673:
	s_or_saveexec_b64 s[6:7], s[6:7]
	v_mov_b32_e32 v10, s10
	s_xor_b64 exec, exec, s[6:7]
	s_cbranch_execnz .LBB46_3724
.LBB46_1674:
	s_or_b64 exec, exec, s[6:7]
	s_and_saveexec_b64 s[6:7], s[4:5]
	s_cbranch_execz .LBB46_1676
.LBB46_1675:
	v_bfe_u32 v10, v6, 8, 3
	v_ffbh_u32_e32 v13, v10
	v_min_u32_e32 v13, 32, v13
	v_lshrrev_b16_e32 v12, 3, v11
	v_subrev_u32_e32 v14, 28, v13
	v_and_b32_e32 v12, 15, v12
	v_lshlrev_b32_e32 v11, v14, v11
	v_sub_u32_e32 v13, 29, v13
	v_and_b32_e32 v11, 7, v11
	v_cmp_eq_u16_e32 vcc, 0, v12
	v_cndmask_b32_e32 v10, v10, v11, vcc
	v_cndmask_b32_e32 v11, v12, v13, vcc
	v_lshlrev_b32_e32 v12, 16, v6
	v_mov_b32_e32 v13, 0x3b800000
	v_lshlrev_b32_e32 v10, 20, v10
	v_and_b32_e32 v12, 0x80000000, v12
	v_lshl_add_u32 v11, v11, 23, v13
	v_or3_b32 v10, v12, v11, v10
.LBB46_1676:
	s_or_b64 exec, exec, s[6:7]
	v_lshrrev_b32_e32 v11, 8, v2
	s_movk_i32 s4, 0x7f
	v_cmp_gt_i16_sdwa s[6:7], v11, s4 src0_sel:BYTE_0 src1_sel:DWORD
	s_mov_b64 s[4:5], 0
                                        ; implicit-def: $sgpr10
	s_and_saveexec_b64 s[8:9], s[6:7]
	s_xor_b64 s[6:7], exec, s[8:9]
	s_cbranch_execnz .LBB46_3725
; %bb.1677:
	s_or_saveexec_b64 s[6:7], s[6:7]
	v_mov_b32_e32 v12, s10
	s_xor_b64 exec, exec, s[6:7]
	s_cbranch_execnz .LBB46_3728
.LBB46_1678:
	s_or_b64 exec, exec, s[6:7]
	s_and_saveexec_b64 s[6:7], s[4:5]
	s_cbranch_execz .LBB46_1680
.LBB46_1679:
	v_bfe_u32 v12, v2, 8, 3
	v_ffbh_u32_e32 v14, v12
	v_min_u32_e32 v14, 32, v14
	v_lshrrev_b16_e32 v13, 3, v11
	v_subrev_u32_e32 v15, 28, v14
	v_and_b32_e32 v13, 15, v13
	v_lshlrev_b32_e32 v11, v15, v11
	v_sub_u32_e32 v14, 29, v14
	v_and_b32_e32 v11, 7, v11
	v_cmp_eq_u16_e32 vcc, 0, v13
	v_cndmask_b32_e32 v11, v12, v11, vcc
	v_cndmask_b32_e32 v12, v13, v14, vcc
	v_lshlrev_b32_e32 v13, 16, v2
	v_mov_b32_e32 v14, 0x3b800000
	v_lshlrev_b32_e32 v11, 20, v11
	v_and_b32_e32 v13, 0x80000000, v13
	v_lshl_add_u32 v12, v12, 23, v14
	v_or3_b32 v12, v13, v12, v11
.LBB46_1680:
	s_or_b64 exec, exec, s[6:7]
	s_nop 0
	v_mfma_f32_16x16x4f32 a[0:3], v10, v12, a[0:3]
	s_movk_i32 s4, 0xff
	v_and_b32_sdwa v11, v6, s4 dst_sel:DWORD dst_unused:UNUSED_PAD src0_sel:WORD_1 src1_sel:DWORD
	s_movk_i32 s4, 0x7f
	v_cmp_lt_i16_e32 vcc, s4, v11
	s_mov_b64 s[4:5], 0
                                        ; implicit-def: $sgpr10
	s_and_saveexec_b64 s[6:7], vcc
	s_xor_b64 s[6:7], exec, s[6:7]
	s_cbranch_execnz .LBB46_3729
; %bb.1681:
	s_or_saveexec_b64 s[6:7], s[6:7]
	v_mov_b32_e32 v10, s10
	s_xor_b64 exec, exec, s[6:7]
	s_cbranch_execnz .LBB46_3732
.LBB46_1682:
	s_or_b64 exec, exec, s[6:7]
	s_and_saveexec_b64 s[6:7], s[4:5]
	s_cbranch_execz .LBB46_1684
.LBB46_1683:
	v_bfe_u32 v10, v6, 16, 3
	v_ffbh_u32_e32 v13, v10
	v_min_u32_e32 v13, 32, v13
	v_lshrrev_b32_e32 v11, 19, v6
	v_subrev_u32_e32 v14, 28, v13
	v_and_b32_e32 v11, 15, v11
	v_lshlrev_b32_sdwa v14, v14, v6 dst_sel:DWORD dst_unused:UNUSED_PAD src0_sel:DWORD src1_sel:WORD_1
	v_bfe_u32 v12, v6, 19, 4
	v_sub_u32_e32 v13, 29, v13
	v_and_b32_e32 v14, 7, v14
	v_cmp_eq_u16_e32 vcc, 0, v11
	v_cndmask_b32_e32 v10, v10, v14, vcc
	v_cndmask_b32_e32 v11, v12, v13, vcc
	v_lshlrev_b32_e32 v12, 8, v6
	v_mov_b32_e32 v13, 0x3b800000
	v_lshlrev_b32_e32 v10, 20, v10
	v_and_b32_e32 v12, 0x80000000, v12
	v_lshl_add_u32 v11, v11, 23, v13
	v_or3_b32 v10, v12, v11, v10
.LBB46_1684:
	s_or_b64 exec, exec, s[6:7]
	s_movk_i32 s4, 0xff
	v_and_b32_sdwa v11, v2, s4 dst_sel:DWORD dst_unused:UNUSED_PAD src0_sel:WORD_1 src1_sel:DWORD
	s_movk_i32 s4, 0x7f
	v_cmp_lt_i16_e32 vcc, s4, v11
	s_mov_b64 s[4:5], 0
                                        ; implicit-def: $sgpr10
	s_and_saveexec_b64 s[6:7], vcc
	s_xor_b64 s[6:7], exec, s[6:7]
	s_cbranch_execnz .LBB46_3733
; %bb.1685:
	s_or_saveexec_b64 s[6:7], s[6:7]
	v_mov_b32_e32 v12, s10
	s_xor_b64 exec, exec, s[6:7]
	s_cbranch_execnz .LBB46_3736
.LBB46_1686:
	s_or_b64 exec, exec, s[6:7]
	s_and_saveexec_b64 s[6:7], s[4:5]
	s_cbranch_execz .LBB46_1688
.LBB46_1687:
	v_bfe_u32 v11, v2, 16, 3
	v_ffbh_u32_e32 v14, v11
	v_min_u32_e32 v14, 32, v14
	v_lshrrev_b32_e32 v12, 19, v2
	v_subrev_u32_e32 v15, 28, v14
	v_and_b32_e32 v12, 15, v12
	v_lshlrev_b32_sdwa v15, v15, v2 dst_sel:DWORD dst_unused:UNUSED_PAD src0_sel:DWORD src1_sel:WORD_1
	v_bfe_u32 v13, v2, 19, 4
	v_sub_u32_e32 v14, 29, v14
	v_and_b32_e32 v15, 7, v15
	v_cmp_eq_u16_e32 vcc, 0, v12
	v_cndmask_b32_e32 v11, v11, v15, vcc
	v_cndmask_b32_e32 v12, v13, v14, vcc
	v_lshlrev_b32_e32 v13, 8, v2
	v_mov_b32_e32 v14, 0x3b800000
	v_lshlrev_b32_e32 v11, 20, v11
	v_and_b32_e32 v13, 0x80000000, v13
	v_lshl_add_u32 v12, v12, 23, v14
	v_or3_b32 v12, v13, v12, v11
.LBB46_1688:
	s_or_b64 exec, exec, s[6:7]
	s_nop 0
	v_mfma_f32_16x16x4f32 a[0:3], v10, v12, a[0:3]
	s_movk_i32 s4, 0x7f
	v_cmp_gt_i16_sdwa s[6:7], v6, s4 src0_sel:BYTE_3 src1_sel:DWORD
	s_mov_b64 s[4:5], 0
                                        ; implicit-def: $sgpr10
	s_and_saveexec_b64 s[8:9], s[6:7]
	s_xor_b64 s[6:7], exec, s[8:9]
	s_cbranch_execnz .LBB46_3737
; %bb.1689:
	s_or_saveexec_b64 s[6:7], s[6:7]
	v_mov_b32_e32 v10, s10
	s_xor_b64 exec, exec, s[6:7]
	s_cbranch_execnz .LBB46_3740
.LBB46_1690:
	s_or_b64 exec, exec, s[6:7]
	s_and_saveexec_b64 s[6:7], s[4:5]
	s_cbranch_execz .LBB46_1692
.LBB46_1691:
	v_bfe_u32 v10, v6, 24, 3
	v_ffbh_u32_e32 v14, v10
	v_min_u32_e32 v14, 32, v14
	v_lshrrev_b32_e32 v12, 27, v6
	v_subrev_u32_e32 v15, 28, v14
	v_and_b32_e32 v11, 0x80000000, v6
	v_and_b32_e32 v12, 15, v12
	v_bfe_u32 v13, v6, 27, 4
	v_lshlrev_b32_sdwa v6, v15, v6 dst_sel:DWORD dst_unused:UNUSED_PAD src0_sel:DWORD src1_sel:BYTE_3
	v_sub_u32_e32 v14, 29, v14
	v_and_b32_e32 v6, 7, v6
	v_cmp_eq_u16_e32 vcc, 0, v12
	v_cndmask_b32_e32 v6, v10, v6, vcc
	v_cndmask_b32_e32 v10, v13, v14, vcc
	v_mov_b32_e32 v12, 0x3b800000
	v_lshlrev_b32_e32 v6, 20, v6
	v_lshl_add_u32 v10, v10, 23, v12
	v_or3_b32 v10, v11, v10, v6
.LBB46_1692:
	s_or_b64 exec, exec, s[6:7]
	s_movk_i32 s4, 0x7f
	v_cmp_gt_i16_sdwa s[6:7], v2, s4 src0_sel:BYTE_3 src1_sel:DWORD
	s_mov_b64 s[4:5], 0
                                        ; implicit-def: $sgpr10
	s_and_saveexec_b64 s[8:9], s[6:7]
	s_xor_b64 s[6:7], exec, s[8:9]
	s_cbranch_execnz .LBB46_3741
; %bb.1693:
	s_or_saveexec_b64 s[6:7], s[6:7]
	v_mov_b32_e32 v6, s10
	s_xor_b64 exec, exec, s[6:7]
	s_cbranch_execnz .LBB46_3744
.LBB46_1694:
	s_or_b64 exec, exec, s[6:7]
	s_and_saveexec_b64 s[6:7], s[4:5]
	s_cbranch_execz .LBB46_1696
.LBB46_1695:
	v_bfe_u32 v6, v2, 24, 3
	v_ffbh_u32_e32 v14, v6
	v_min_u32_e32 v14, 32, v14
	v_lshrrev_b32_e32 v12, 27, v2
	v_subrev_u32_e32 v15, 28, v14
	v_and_b32_e32 v11, 0x80000000, v2
	v_and_b32_e32 v12, 15, v12
	v_bfe_u32 v13, v2, 27, 4
	v_lshlrev_b32_sdwa v2, v15, v2 dst_sel:DWORD dst_unused:UNUSED_PAD src0_sel:DWORD src1_sel:BYTE_3
	v_sub_u32_e32 v14, 29, v14
	v_and_b32_e32 v2, 7, v2
	v_cmp_eq_u16_e32 vcc, 0, v12
	v_cndmask_b32_e32 v2, v6, v2, vcc
	v_cndmask_b32_e32 v6, v13, v14, vcc
	v_mov_b32_e32 v12, 0x3b800000
	v_lshlrev_b32_e32 v2, 20, v2
	v_lshl_add_u32 v6, v6, 23, v12
	v_or3_b32 v6, v11, v6, v2
.LBB46_1696:
	s_or_b64 exec, exec, s[6:7]
	s_nop 0
	v_mfma_f32_16x16x4f32 a[0:3], v10, v6, a[0:3]
	s_movk_i32 s4, 0x7f
	v_cmp_gt_i16_sdwa s[6:7], v7, s4 src0_sel:BYTE_0 src1_sel:DWORD
	s_mov_b64 s[4:5], 0
                                        ; implicit-def: $sgpr10
	s_and_saveexec_b64 s[8:9], s[6:7]
	s_xor_b64 s[6:7], exec, s[8:9]
	s_cbranch_execnz .LBB46_3745
; %bb.1697:
	s_or_saveexec_b64 s[6:7], s[6:7]
	v_mov_b32_e32 v2, s10
	s_xor_b64 exec, exec, s[6:7]
	s_cbranch_execnz .LBB46_3748
.LBB46_1698:
	s_or_b64 exec, exec, s[6:7]
	s_and_saveexec_b64 s[6:7], s[4:5]
	s_cbranch_execz .LBB46_1700
.LBB46_1699:
	v_and_b32_e32 v2, 7, v7
	v_ffbh_u32_e32 v10, v2
	v_min_u32_e32 v10, 32, v10
	v_lshrrev_b16_e32 v6, 3, v7
	v_subrev_u32_e32 v11, 28, v10
	v_and_b32_e32 v6, 15, v6
	v_lshlrev_b32_e32 v11, v11, v7
	v_sub_u32_e32 v10, 29, v10
	v_and_b32_e32 v11, 7, v11
	v_cmp_eq_u16_e32 vcc, 0, v6
	v_cndmask_b32_e32 v2, v2, v11, vcc
	v_cndmask_b32_e32 v6, v6, v10, vcc
	v_lshlrev_b32_e32 v10, 24, v7
	v_mov_b32_e32 v11, 0x3b800000
	v_lshlrev_b32_e32 v2, 20, v2
	v_and_b32_e32 v10, 0x80000000, v10
	v_lshl_add_u32 v6, v6, 23, v11
	v_or3_b32 v2, v10, v6, v2
.LBB46_1700:
	s_or_b64 exec, exec, s[6:7]
	s_movk_i32 s4, 0x7f
	v_cmp_gt_i16_sdwa s[6:7], v3, s4 src0_sel:BYTE_0 src1_sel:DWORD
	s_mov_b64 s[4:5], 0
                                        ; implicit-def: $sgpr10
	s_and_saveexec_b64 s[8:9], s[6:7]
	s_xor_b64 s[6:7], exec, s[8:9]
	s_cbranch_execnz .LBB46_3749
; %bb.1701:
	s_or_saveexec_b64 s[6:7], s[6:7]
	v_mov_b32_e32 v6, s10
	s_xor_b64 exec, exec, s[6:7]
	s_cbranch_execnz .LBB46_3752
.LBB46_1702:
	s_or_b64 exec, exec, s[6:7]
	s_and_saveexec_b64 s[6:7], s[4:5]
	s_cbranch_execz .LBB46_1704
.LBB46_1703:
	v_and_b32_e32 v6, 7, v3
	v_ffbh_u32_e32 v11, v6
	v_min_u32_e32 v11, 32, v11
	v_lshrrev_b16_e32 v10, 3, v3
	v_subrev_u32_e32 v12, 28, v11
	v_and_b32_e32 v10, 15, v10
	v_lshlrev_b32_e32 v12, v12, v3
	v_sub_u32_e32 v11, 29, v11
	v_and_b32_e32 v12, 7, v12
	v_cmp_eq_u16_e32 vcc, 0, v10
	v_cndmask_b32_e32 v6, v6, v12, vcc
	v_cndmask_b32_e32 v10, v10, v11, vcc
	v_lshlrev_b32_e32 v11, 24, v3
	v_mov_b32_e32 v12, 0x3b800000
	v_lshlrev_b32_e32 v6, 20, v6
	v_and_b32_e32 v11, 0x80000000, v11
	v_lshl_add_u32 v10, v10, 23, v12
	v_or3_b32 v6, v11, v10, v6
.LBB46_1704:
	s_or_b64 exec, exec, s[6:7]
	s_nop 0
	v_mfma_f32_16x16x4f32 a[0:3], v2, v6, a[0:3]
	v_lshrrev_b32_e32 v6, 8, v7
	s_movk_i32 s4, 0x7f
	v_cmp_gt_i16_sdwa s[6:7], v6, s4 src0_sel:BYTE_0 src1_sel:DWORD
	s_mov_b64 s[4:5], 0
                                        ; implicit-def: $sgpr10
	s_and_saveexec_b64 s[8:9], s[6:7]
	s_xor_b64 s[6:7], exec, s[8:9]
	s_cbranch_execnz .LBB46_3753
; %bb.1705:
	s_or_saveexec_b64 s[6:7], s[6:7]
	v_mov_b32_e32 v2, s10
	s_xor_b64 exec, exec, s[6:7]
	s_cbranch_execnz .LBB46_3756
.LBB46_1706:
	s_or_b64 exec, exec, s[6:7]
	s_and_saveexec_b64 s[6:7], s[4:5]
	s_cbranch_execz .LBB46_1708
.LBB46_1707:
	v_bfe_u32 v2, v7, 8, 3
	v_ffbh_u32_e32 v11, v2
	v_min_u32_e32 v11, 32, v11
	v_lshrrev_b16_e32 v10, 3, v6
	v_subrev_u32_e32 v12, 28, v11
	v_and_b32_e32 v10, 15, v10
	v_lshlrev_b32_e32 v6, v12, v6
	v_sub_u32_e32 v11, 29, v11
	v_and_b32_e32 v6, 7, v6
	v_cmp_eq_u16_e32 vcc, 0, v10
	v_cndmask_b32_e32 v2, v2, v6, vcc
	v_cndmask_b32_e32 v6, v10, v11, vcc
	v_lshlrev_b32_e32 v10, 16, v7
	v_mov_b32_e32 v11, 0x3b800000
	v_lshlrev_b32_e32 v2, 20, v2
	v_and_b32_e32 v10, 0x80000000, v10
	v_lshl_add_u32 v6, v6, 23, v11
	v_or3_b32 v2, v10, v6, v2
.LBB46_1708:
	s_or_b64 exec, exec, s[6:7]
	v_lshrrev_b32_e32 v6, 8, v3
	s_movk_i32 s4, 0x7f
	v_cmp_gt_i16_sdwa s[6:7], v6, s4 src0_sel:BYTE_0 src1_sel:DWORD
	s_mov_b64 s[4:5], 0
                                        ; implicit-def: $sgpr10
	s_and_saveexec_b64 s[8:9], s[6:7]
	s_xor_b64 s[6:7], exec, s[8:9]
	s_cbranch_execnz .LBB46_3757
; %bb.1709:
	s_or_saveexec_b64 s[6:7], s[6:7]
	v_mov_b32_e32 v10, s10
	s_xor_b64 exec, exec, s[6:7]
	s_cbranch_execnz .LBB46_3760
.LBB46_1710:
	s_or_b64 exec, exec, s[6:7]
	s_and_saveexec_b64 s[6:7], s[4:5]
	s_cbranch_execz .LBB46_1712
.LBB46_1711:
	v_bfe_u32 v10, v3, 8, 3
	v_ffbh_u32_e32 v12, v10
	v_min_u32_e32 v12, 32, v12
	v_lshrrev_b16_e32 v11, 3, v6
	v_subrev_u32_e32 v13, 28, v12
	v_and_b32_e32 v11, 15, v11
	v_lshlrev_b32_e32 v6, v13, v6
	v_sub_u32_e32 v12, 29, v12
	v_and_b32_e32 v6, 7, v6
	v_cmp_eq_u16_e32 vcc, 0, v11
	v_cndmask_b32_e32 v6, v10, v6, vcc
	v_cndmask_b32_e32 v10, v11, v12, vcc
	v_lshlrev_b32_e32 v11, 16, v3
	v_mov_b32_e32 v12, 0x3b800000
	v_lshlrev_b32_e32 v6, 20, v6
	v_and_b32_e32 v11, 0x80000000, v11
	v_lshl_add_u32 v10, v10, 23, v12
	v_or3_b32 v10, v11, v10, v6
.LBB46_1712:
	s_or_b64 exec, exec, s[6:7]
	s_nop 0
	v_mfma_f32_16x16x4f32 a[0:3], v2, v10, a[0:3]
	s_movk_i32 s4, 0xff
	v_and_b32_sdwa v6, v7, s4 dst_sel:DWORD dst_unused:UNUSED_PAD src0_sel:WORD_1 src1_sel:DWORD
	s_movk_i32 s4, 0x7f
	v_cmp_lt_i16_e32 vcc, s4, v6
	s_mov_b64 s[4:5], 0
                                        ; implicit-def: $sgpr10
	s_and_saveexec_b64 s[6:7], vcc
	s_xor_b64 s[6:7], exec, s[6:7]
	s_cbranch_execnz .LBB46_3761
; %bb.1713:
	s_or_saveexec_b64 s[6:7], s[6:7]
	v_mov_b32_e32 v2, s10
	s_xor_b64 exec, exec, s[6:7]
	s_cbranch_execnz .LBB46_3764
.LBB46_1714:
	s_or_b64 exec, exec, s[6:7]
	s_and_saveexec_b64 s[6:7], s[4:5]
	s_cbranch_execz .LBB46_1716
.LBB46_1715:
	v_bfe_u32 v2, v7, 16, 3
	v_ffbh_u32_e32 v11, v2
	v_min_u32_e32 v11, 32, v11
	v_lshrrev_b32_e32 v6, 19, v7
	v_subrev_u32_e32 v12, 28, v11
	v_and_b32_e32 v6, 15, v6
	v_lshlrev_b32_sdwa v12, v12, v7 dst_sel:DWORD dst_unused:UNUSED_PAD src0_sel:DWORD src1_sel:WORD_1
	v_bfe_u32 v10, v7, 19, 4
	v_sub_u32_e32 v11, 29, v11
	v_and_b32_e32 v12, 7, v12
	v_cmp_eq_u16_e32 vcc, 0, v6
	v_cndmask_b32_e32 v2, v2, v12, vcc
	v_cndmask_b32_e32 v6, v10, v11, vcc
	v_lshlrev_b32_e32 v10, 8, v7
	v_mov_b32_e32 v11, 0x3b800000
	v_lshlrev_b32_e32 v2, 20, v2
	v_and_b32_e32 v10, 0x80000000, v10
	v_lshl_add_u32 v6, v6, 23, v11
	v_or3_b32 v2, v10, v6, v2
.LBB46_1716:
	s_or_b64 exec, exec, s[6:7]
	s_movk_i32 s4, 0xff
	v_and_b32_sdwa v6, v3, s4 dst_sel:DWORD dst_unused:UNUSED_PAD src0_sel:WORD_1 src1_sel:DWORD
	s_movk_i32 s4, 0x7f
	v_cmp_lt_i16_e32 vcc, s4, v6
	s_mov_b64 s[4:5], 0
                                        ; implicit-def: $sgpr10
	s_and_saveexec_b64 s[6:7], vcc
	s_xor_b64 s[6:7], exec, s[6:7]
	s_cbranch_execnz .LBB46_3765
; %bb.1717:
	s_or_saveexec_b64 s[6:7], s[6:7]
	v_mov_b32_e32 v10, s10
	s_xor_b64 exec, exec, s[6:7]
	s_cbranch_execnz .LBB46_3768
.LBB46_1718:
	s_or_b64 exec, exec, s[6:7]
	s_and_saveexec_b64 s[6:7], s[4:5]
	s_cbranch_execz .LBB46_1720
.LBB46_1719:
	v_bfe_u32 v6, v3, 16, 3
	v_ffbh_u32_e32 v12, v6
	v_min_u32_e32 v12, 32, v12
	v_lshrrev_b32_e32 v10, 19, v3
	v_subrev_u32_e32 v13, 28, v12
	v_and_b32_e32 v10, 15, v10
	v_lshlrev_b32_sdwa v13, v13, v3 dst_sel:DWORD dst_unused:UNUSED_PAD src0_sel:DWORD src1_sel:WORD_1
	v_bfe_u32 v11, v3, 19, 4
	v_sub_u32_e32 v12, 29, v12
	v_and_b32_e32 v13, 7, v13
	v_cmp_eq_u16_e32 vcc, 0, v10
	v_cndmask_b32_e32 v6, v6, v13, vcc
	v_cndmask_b32_e32 v10, v11, v12, vcc
	v_lshlrev_b32_e32 v11, 8, v3
	v_mov_b32_e32 v12, 0x3b800000
	v_lshlrev_b32_e32 v6, 20, v6
	v_and_b32_e32 v11, 0x80000000, v11
	v_lshl_add_u32 v10, v10, 23, v12
	v_or3_b32 v10, v11, v10, v6
.LBB46_1720:
	s_or_b64 exec, exec, s[6:7]
	s_nop 0
	v_mfma_f32_16x16x4f32 a[0:3], v2, v10, a[0:3]
	s_movk_i32 s4, 0x7f
	v_cmp_gt_i16_sdwa s[6:7], v7, s4 src0_sel:BYTE_3 src1_sel:DWORD
	s_mov_b64 s[4:5], 0
                                        ; implicit-def: $sgpr10
	s_and_saveexec_b64 s[8:9], s[6:7]
	s_xor_b64 s[6:7], exec, s[8:9]
	s_cbranch_execnz .LBB46_3769
; %bb.1721:
	s_or_saveexec_b64 s[6:7], s[6:7]
	v_mov_b32_e32 v2, s10
	s_xor_b64 exec, exec, s[6:7]
	s_cbranch_execnz .LBB46_3772
.LBB46_1722:
	s_or_b64 exec, exec, s[6:7]
	s_and_saveexec_b64 s[6:7], s[4:5]
	s_cbranch_execz .LBB46_1724
.LBB46_1723:
	v_bfe_u32 v2, v7, 24, 3
	v_ffbh_u32_e32 v12, v2
	v_min_u32_e32 v12, 32, v12
	v_lshrrev_b32_e32 v10, 27, v7
	v_subrev_u32_e32 v13, 28, v12
	v_and_b32_e32 v6, 0x80000000, v7
	v_and_b32_e32 v10, 15, v10
	v_bfe_u32 v11, v7, 27, 4
	v_lshlrev_b32_sdwa v7, v13, v7 dst_sel:DWORD dst_unused:UNUSED_PAD src0_sel:DWORD src1_sel:BYTE_3
	v_sub_u32_e32 v12, 29, v12
	v_and_b32_e32 v7, 7, v7
	v_cmp_eq_u16_e32 vcc, 0, v10
	v_cndmask_b32_e32 v2, v2, v7, vcc
	v_cndmask_b32_e32 v7, v11, v12, vcc
	v_mov_b32_e32 v10, 0x3b800000
	v_lshlrev_b32_e32 v2, 20, v2
	v_lshl_add_u32 v7, v7, 23, v10
	v_or3_b32 v2, v6, v7, v2
.LBB46_1724:
	s_or_b64 exec, exec, s[6:7]
	s_movk_i32 s4, 0x7f
	v_cmp_gt_i16_sdwa s[6:7], v3, s4 src0_sel:BYTE_3 src1_sel:DWORD
	s_mov_b64 s[4:5], 0
                                        ; implicit-def: $sgpr10
	s_and_saveexec_b64 s[8:9], s[6:7]
	s_xor_b64 s[6:7], exec, s[8:9]
	s_cbranch_execnz .LBB46_3773
; %bb.1725:
	s_or_saveexec_b64 s[6:7], s[6:7]
	v_mov_b32_e32 v6, s10
	s_xor_b64 exec, exec, s[6:7]
	s_cbranch_execnz .LBB46_3776
.LBB46_1726:
	s_or_b64 exec, exec, s[6:7]
	s_and_saveexec_b64 s[6:7], s[4:5]
	s_cbranch_execz .LBB46_1728
.LBB46_1727:
	v_bfe_u32 v6, v3, 24, 3
	v_ffbh_u32_e32 v12, v6
	v_min_u32_e32 v12, 32, v12
	v_lshrrev_b32_e32 v10, 27, v3
	v_subrev_u32_e32 v13, 28, v12
	v_and_b32_e32 v7, 0x80000000, v3
	v_and_b32_e32 v10, 15, v10
	v_bfe_u32 v11, v3, 27, 4
	v_lshlrev_b32_sdwa v3, v13, v3 dst_sel:DWORD dst_unused:UNUSED_PAD src0_sel:DWORD src1_sel:BYTE_3
	v_sub_u32_e32 v12, 29, v12
	v_and_b32_e32 v3, 7, v3
	v_cmp_eq_u16_e32 vcc, 0, v10
	v_cndmask_b32_e32 v3, v6, v3, vcc
	v_cndmask_b32_e32 v6, v11, v12, vcc
	v_mov_b32_e32 v10, 0x3b800000
	v_lshlrev_b32_e32 v3, 20, v3
	v_lshl_add_u32 v6, v6, 23, v10
	v_or3_b32 v6, v7, v6, v3
.LBB46_1728:
	s_or_b64 exec, exec, s[6:7]
	s_nop 0
	v_mfma_f32_16x16x4f32 a[0:3], v2, v6, a[0:3]
	s_movk_i32 s4, 0x7f
	v_cmp_gt_i16_sdwa s[6:7], v8, s4 src0_sel:BYTE_0 src1_sel:DWORD
	s_mov_b64 s[4:5], 0
                                        ; implicit-def: $sgpr10
	s_and_saveexec_b64 s[8:9], s[6:7]
	s_xor_b64 s[6:7], exec, s[8:9]
	s_cbranch_execnz .LBB46_3777
; %bb.1729:
	s_or_saveexec_b64 s[6:7], s[6:7]
	v_mov_b32_e32 v2, s10
	s_xor_b64 exec, exec, s[6:7]
	s_cbranch_execnz .LBB46_3780
.LBB46_1730:
	s_or_b64 exec, exec, s[6:7]
	s_and_saveexec_b64 s[6:7], s[4:5]
	s_cbranch_execz .LBB46_1732
.LBB46_1731:
	v_and_b32_e32 v2, 7, v8
	v_ffbh_u32_e32 v6, v2
	v_min_u32_e32 v6, 32, v6
	v_lshrrev_b16_e32 v3, 3, v8
	v_subrev_u32_e32 v7, 28, v6
	v_and_b32_e32 v3, 15, v3
	v_lshlrev_b32_e32 v7, v7, v8
	v_sub_u32_e32 v6, 29, v6
	v_and_b32_e32 v7, 7, v7
	v_cmp_eq_u16_e32 vcc, 0, v3
	v_cndmask_b32_e32 v2, v2, v7, vcc
	v_cndmask_b32_e32 v3, v3, v6, vcc
	v_lshlrev_b32_e32 v6, 24, v8
	v_mov_b32_e32 v7, 0x3b800000
	v_lshlrev_b32_e32 v2, 20, v2
	v_and_b32_e32 v6, 0x80000000, v6
	v_lshl_add_u32 v3, v3, 23, v7
	v_or3_b32 v2, v6, v3, v2
.LBB46_1732:
	s_or_b64 exec, exec, s[6:7]
	s_movk_i32 s4, 0x7f
	v_cmp_gt_i16_sdwa s[6:7], v4, s4 src0_sel:BYTE_0 src1_sel:DWORD
	s_mov_b64 s[4:5], 0
                                        ; implicit-def: $sgpr10
	s_and_saveexec_b64 s[8:9], s[6:7]
	s_xor_b64 s[6:7], exec, s[8:9]
	s_cbranch_execnz .LBB46_3781
; %bb.1733:
	s_or_saveexec_b64 s[6:7], s[6:7]
	v_mov_b32_e32 v3, s10
	s_xor_b64 exec, exec, s[6:7]
	s_cbranch_execnz .LBB46_3784
.LBB46_1734:
	s_or_b64 exec, exec, s[6:7]
	s_and_saveexec_b64 s[6:7], s[4:5]
	s_cbranch_execz .LBB46_1736
.LBB46_1735:
	v_and_b32_e32 v3, 7, v4
	v_ffbh_u32_e32 v7, v3
	v_min_u32_e32 v7, 32, v7
	v_lshrrev_b16_e32 v6, 3, v4
	v_subrev_u32_e32 v10, 28, v7
	v_and_b32_e32 v6, 15, v6
	v_lshlrev_b32_e32 v10, v10, v4
	v_sub_u32_e32 v7, 29, v7
	v_and_b32_e32 v10, 7, v10
	v_cmp_eq_u16_e32 vcc, 0, v6
	v_cndmask_b32_e32 v3, v3, v10, vcc
	v_cndmask_b32_e32 v6, v6, v7, vcc
	v_lshlrev_b32_e32 v7, 24, v4
	v_mov_b32_e32 v10, 0x3b800000
	v_lshlrev_b32_e32 v3, 20, v3
	v_and_b32_e32 v7, 0x80000000, v7
	v_lshl_add_u32 v6, v6, 23, v10
	v_or3_b32 v3, v7, v6, v3
.LBB46_1736:
	s_or_b64 exec, exec, s[6:7]
	s_nop 0
	v_mfma_f32_16x16x4f32 a[0:3], v2, v3, a[0:3]
	v_lshrrev_b32_e32 v3, 8, v8
	s_movk_i32 s4, 0x7f
	v_cmp_gt_i16_sdwa s[6:7], v3, s4 src0_sel:BYTE_0 src1_sel:DWORD
	s_mov_b64 s[4:5], 0
                                        ; implicit-def: $sgpr10
	s_and_saveexec_b64 s[8:9], s[6:7]
	s_xor_b64 s[6:7], exec, s[8:9]
	s_cbranch_execnz .LBB46_3785
; %bb.1737:
	s_or_saveexec_b64 s[6:7], s[6:7]
	v_mov_b32_e32 v2, s10
	s_xor_b64 exec, exec, s[6:7]
	s_cbranch_execnz .LBB46_3788
.LBB46_1738:
	s_or_b64 exec, exec, s[6:7]
	s_and_saveexec_b64 s[6:7], s[4:5]
	s_cbranch_execz .LBB46_1740
.LBB46_1739:
	v_bfe_u32 v2, v8, 8, 3
	v_ffbh_u32_e32 v7, v2
	v_min_u32_e32 v7, 32, v7
	v_lshrrev_b16_e32 v6, 3, v3
	v_subrev_u32_e32 v10, 28, v7
	v_and_b32_e32 v6, 15, v6
	v_lshlrev_b32_e32 v3, v10, v3
	v_sub_u32_e32 v7, 29, v7
	v_and_b32_e32 v3, 7, v3
	v_cmp_eq_u16_e32 vcc, 0, v6
	v_cndmask_b32_e32 v2, v2, v3, vcc
	v_cndmask_b32_e32 v3, v6, v7, vcc
	v_lshlrev_b32_e32 v6, 16, v8
	v_mov_b32_e32 v7, 0x3b800000
	v_lshlrev_b32_e32 v2, 20, v2
	v_and_b32_e32 v6, 0x80000000, v6
	v_lshl_add_u32 v3, v3, 23, v7
	v_or3_b32 v2, v6, v3, v2
.LBB46_1740:
	s_or_b64 exec, exec, s[6:7]
	v_lshrrev_b32_e32 v3, 8, v4
	s_movk_i32 s4, 0x7f
	v_cmp_gt_i16_sdwa s[6:7], v3, s4 src0_sel:BYTE_0 src1_sel:DWORD
	s_mov_b64 s[4:5], 0
                                        ; implicit-def: $sgpr10
	s_and_saveexec_b64 s[8:9], s[6:7]
	s_xor_b64 s[6:7], exec, s[8:9]
	s_cbranch_execnz .LBB46_3789
; %bb.1741:
	s_or_saveexec_b64 s[6:7], s[6:7]
	v_mov_b32_e32 v6, s10
	s_xor_b64 exec, exec, s[6:7]
	s_cbranch_execnz .LBB46_3792
.LBB46_1742:
	s_or_b64 exec, exec, s[6:7]
	s_and_saveexec_b64 s[6:7], s[4:5]
	s_cbranch_execz .LBB46_1744
.LBB46_1743:
	v_bfe_u32 v6, v4, 8, 3
	v_ffbh_u32_e32 v10, v6
	v_min_u32_e32 v10, 32, v10
	v_lshrrev_b16_e32 v7, 3, v3
	v_subrev_u32_e32 v11, 28, v10
	v_and_b32_e32 v7, 15, v7
	v_lshlrev_b32_e32 v3, v11, v3
	v_sub_u32_e32 v10, 29, v10
	v_and_b32_e32 v3, 7, v3
	v_cmp_eq_u16_e32 vcc, 0, v7
	v_cndmask_b32_e32 v3, v6, v3, vcc
	v_cndmask_b32_e32 v6, v7, v10, vcc
	v_lshlrev_b32_e32 v7, 16, v4
	v_mov_b32_e32 v10, 0x3b800000
	v_lshlrev_b32_e32 v3, 20, v3
	v_and_b32_e32 v7, 0x80000000, v7
	v_lshl_add_u32 v6, v6, 23, v10
	v_or3_b32 v6, v7, v6, v3
.LBB46_1744:
	s_or_b64 exec, exec, s[6:7]
	s_nop 0
	v_mfma_f32_16x16x4f32 a[0:3], v2, v6, a[0:3]
	s_movk_i32 s4, 0xff
	v_and_b32_sdwa v3, v8, s4 dst_sel:DWORD dst_unused:UNUSED_PAD src0_sel:WORD_1 src1_sel:DWORD
	s_movk_i32 s4, 0x7f
	v_cmp_lt_i16_e32 vcc, s4, v3
	s_mov_b64 s[4:5], 0
                                        ; implicit-def: $sgpr10
	s_and_saveexec_b64 s[6:7], vcc
	s_xor_b64 s[6:7], exec, s[6:7]
	s_cbranch_execnz .LBB46_3793
; %bb.1745:
	s_or_saveexec_b64 s[6:7], s[6:7]
	v_mov_b32_e32 v2, s10
	s_xor_b64 exec, exec, s[6:7]
	s_cbranch_execnz .LBB46_3796
.LBB46_1746:
	s_or_b64 exec, exec, s[6:7]
	s_and_saveexec_b64 s[6:7], s[4:5]
	s_cbranch_execz .LBB46_1748
.LBB46_1747:
	v_bfe_u32 v2, v8, 16, 3
	v_ffbh_u32_e32 v7, v2
	v_min_u32_e32 v7, 32, v7
	v_lshrrev_b32_e32 v3, 19, v8
	v_subrev_u32_e32 v10, 28, v7
	v_and_b32_e32 v3, 15, v3
	v_lshlrev_b32_sdwa v10, v10, v8 dst_sel:DWORD dst_unused:UNUSED_PAD src0_sel:DWORD src1_sel:WORD_1
	v_bfe_u32 v6, v8, 19, 4
	v_sub_u32_e32 v7, 29, v7
	v_and_b32_e32 v10, 7, v10
	v_cmp_eq_u16_e32 vcc, 0, v3
	v_cndmask_b32_e32 v2, v2, v10, vcc
	v_cndmask_b32_e32 v3, v6, v7, vcc
	v_lshlrev_b32_e32 v6, 8, v8
	v_mov_b32_e32 v7, 0x3b800000
	v_lshlrev_b32_e32 v2, 20, v2
	v_and_b32_e32 v6, 0x80000000, v6
	v_lshl_add_u32 v3, v3, 23, v7
	v_or3_b32 v2, v6, v3, v2
.LBB46_1748:
	s_or_b64 exec, exec, s[6:7]
	s_movk_i32 s4, 0xff
	v_and_b32_sdwa v3, v4, s4 dst_sel:DWORD dst_unused:UNUSED_PAD src0_sel:WORD_1 src1_sel:DWORD
	s_movk_i32 s4, 0x7f
	v_cmp_lt_i16_e32 vcc, s4, v3
	s_mov_b64 s[4:5], 0
                                        ; implicit-def: $sgpr10
	s_and_saveexec_b64 s[6:7], vcc
	s_xor_b64 s[6:7], exec, s[6:7]
	s_cbranch_execnz .LBB46_3797
; %bb.1749:
	s_or_saveexec_b64 s[6:7], s[6:7]
	v_mov_b32_e32 v6, s10
	s_xor_b64 exec, exec, s[6:7]
	s_cbranch_execnz .LBB46_3800
.LBB46_1750:
	s_or_b64 exec, exec, s[6:7]
	s_and_saveexec_b64 s[6:7], s[4:5]
	s_cbranch_execz .LBB46_1752
.LBB46_1751:
	v_bfe_u32 v3, v4, 16, 3
	v_ffbh_u32_e32 v10, v3
	v_min_u32_e32 v10, 32, v10
	v_lshrrev_b32_e32 v6, 19, v4
	v_subrev_u32_e32 v11, 28, v10
	v_and_b32_e32 v6, 15, v6
	v_lshlrev_b32_sdwa v11, v11, v4 dst_sel:DWORD dst_unused:UNUSED_PAD src0_sel:DWORD src1_sel:WORD_1
	v_bfe_u32 v7, v4, 19, 4
	v_sub_u32_e32 v10, 29, v10
	v_and_b32_e32 v11, 7, v11
	v_cmp_eq_u16_e32 vcc, 0, v6
	v_cndmask_b32_e32 v3, v3, v11, vcc
	v_cndmask_b32_e32 v6, v7, v10, vcc
	v_lshlrev_b32_e32 v7, 8, v4
	v_mov_b32_e32 v10, 0x3b800000
	v_lshlrev_b32_e32 v3, 20, v3
	v_and_b32_e32 v7, 0x80000000, v7
	v_lshl_add_u32 v6, v6, 23, v10
	v_or3_b32 v6, v7, v6, v3
.LBB46_1752:
	s_or_b64 exec, exec, s[6:7]
	s_nop 0
	v_mfma_f32_16x16x4f32 a[0:3], v2, v6, a[0:3]
	s_movk_i32 s4, 0x7f
	v_cmp_gt_i16_sdwa s[6:7], v8, s4 src0_sel:BYTE_3 src1_sel:DWORD
	s_mov_b64 s[4:5], 0
                                        ; implicit-def: $sgpr10
	s_and_saveexec_b64 s[8:9], s[6:7]
	s_xor_b64 s[6:7], exec, s[8:9]
	s_cbranch_execnz .LBB46_3801
; %bb.1753:
	s_or_saveexec_b64 s[6:7], s[6:7]
	v_mov_b32_e32 v2, s10
	s_xor_b64 exec, exec, s[6:7]
	s_cbranch_execnz .LBB46_3804
.LBB46_1754:
	s_or_b64 exec, exec, s[6:7]
	s_and_saveexec_b64 s[6:7], s[4:5]
	s_cbranch_execz .LBB46_1756
.LBB46_1755:
	v_bfe_u32 v2, v8, 24, 3
	v_ffbh_u32_e32 v10, v2
	v_min_u32_e32 v10, 32, v10
	v_lshrrev_b32_e32 v6, 27, v8
	v_subrev_u32_e32 v11, 28, v10
	v_and_b32_e32 v3, 0x80000000, v8
	v_and_b32_e32 v6, 15, v6
	v_bfe_u32 v7, v8, 27, 4
	v_lshlrev_b32_sdwa v8, v11, v8 dst_sel:DWORD dst_unused:UNUSED_PAD src0_sel:DWORD src1_sel:BYTE_3
	v_sub_u32_e32 v10, 29, v10
	v_and_b32_e32 v8, 7, v8
	v_cmp_eq_u16_e32 vcc, 0, v6
	v_cndmask_b32_e32 v2, v2, v8, vcc
	v_cndmask_b32_e32 v6, v7, v10, vcc
	v_mov_b32_e32 v7, 0x3b800000
	v_lshlrev_b32_e32 v2, 20, v2
	v_lshl_add_u32 v6, v6, 23, v7
	v_or3_b32 v2, v3, v6, v2
.LBB46_1756:
	s_or_b64 exec, exec, s[6:7]
	s_movk_i32 s4, 0x7f
	v_cmp_gt_i16_sdwa s[6:7], v4, s4 src0_sel:BYTE_3 src1_sel:DWORD
	s_mov_b64 s[4:5], 0
                                        ; implicit-def: $sgpr10
	s_and_saveexec_b64 s[8:9], s[6:7]
	s_xor_b64 s[6:7], exec, s[8:9]
	s_cbranch_execnz .LBB46_3805
; %bb.1757:
	s_or_saveexec_b64 s[6:7], s[6:7]
	v_mov_b32_e32 v3, s10
	s_xor_b64 exec, exec, s[6:7]
	s_cbranch_execnz .LBB46_3808
.LBB46_1758:
	s_or_b64 exec, exec, s[6:7]
	s_and_saveexec_b64 s[6:7], s[4:5]
	s_cbranch_execz .LBB46_1760
.LBB46_1759:
	v_bfe_u32 v3, v4, 24, 3
	v_ffbh_u32_e32 v10, v3
	v_min_u32_e32 v10, 32, v10
	v_lshrrev_b32_e32 v7, 27, v4
	v_subrev_u32_e32 v11, 28, v10
	v_and_b32_e32 v6, 0x80000000, v4
	v_and_b32_e32 v7, 15, v7
	v_bfe_u32 v8, v4, 27, 4
	v_lshlrev_b32_sdwa v4, v11, v4 dst_sel:DWORD dst_unused:UNUSED_PAD src0_sel:DWORD src1_sel:BYTE_3
	v_sub_u32_e32 v10, 29, v10
	v_and_b32_e32 v4, 7, v4
	v_cmp_eq_u16_e32 vcc, 0, v7
	v_cndmask_b32_e32 v3, v3, v4, vcc
	v_cndmask_b32_e32 v4, v8, v10, vcc
	v_mov_b32_e32 v7, 0x3b800000
	v_lshlrev_b32_e32 v3, 20, v3
	v_lshl_add_u32 v4, v4, 23, v7
	v_or3_b32 v3, v6, v4, v3
.LBB46_1760:
	s_or_b64 exec, exec, s[6:7]
	s_nop 0
	v_mfma_f32_16x16x4f32 a[0:3], v2, v3, a[0:3]
	s_movk_i32 s4, 0x7f
	v_cmp_gt_i16_sdwa s[6:7], v9, s4 src0_sel:BYTE_0 src1_sel:DWORD
	s_mov_b64 s[4:5], 0
                                        ; implicit-def: $sgpr10
	s_and_saveexec_b64 s[8:9], s[6:7]
	s_xor_b64 s[6:7], exec, s[8:9]
	s_cbranch_execnz .LBB46_3809
; %bb.1761:
	s_or_saveexec_b64 s[6:7], s[6:7]
	v_mov_b32_e32 v2, s10
	s_xor_b64 exec, exec, s[6:7]
	s_cbranch_execnz .LBB46_3812
.LBB46_1762:
	s_or_b64 exec, exec, s[6:7]
	s_and_saveexec_b64 s[6:7], s[4:5]
	s_cbranch_execz .LBB46_1764
.LBB46_1763:
	v_mov_b32_e32 v2, 8
	v_and_b32_e32 v3, 7, v9
	v_lshrrev_b32_sdwa v2, v2, v9 dst_sel:BYTE_1 dst_unused:UNUSED_PAD src0_sel:DWORD src1_sel:DWORD
	v_ffbh_u32_e32 v4, v3
	v_or_b32_sdwa v2, v9, v2 dst_sel:DWORD dst_unused:UNUSED_PAD src0_sel:BYTE_0 src1_sel:DWORD
	v_min_u32_e32 v4, 32, v4
	v_lshrrev_b16_e32 v2, 3, v2
	v_subrev_u32_e32 v6, 28, v4
	v_and_b32_e32 v2, 15, v2
	v_lshlrev_b32_e32 v6, v6, v9
	v_sub_u32_e32 v4, 29, v4
	v_and_b32_e32 v6, 7, v6
	v_cmp_eq_u16_e32 vcc, 0, v2
	v_cndmask_b32_e32 v3, v3, v6, vcc
	v_cndmask_b32_e32 v2, v2, v4, vcc
	v_lshlrev_b32_e32 v4, 24, v9
	v_mov_b32_e32 v6, 0x3b800000
	v_lshlrev_b32_e32 v3, 20, v3
	v_and_b32_e32 v4, 0x80000000, v4
	v_lshl_add_u32 v2, v2, 23, v6
	v_or3_b32 v2, v4, v2, v3
.LBB46_1764:
	s_or_b64 exec, exec, s[6:7]
	s_movk_i32 s4, 0x7f
	v_cmp_gt_i16_sdwa s[6:7], v5, s4 src0_sel:BYTE_0 src1_sel:DWORD
	s_mov_b64 s[4:5], 0
                                        ; implicit-def: $sgpr10
	s_and_saveexec_b64 s[8:9], s[6:7]
	s_xor_b64 s[6:7], exec, s[8:9]
	s_cbranch_execnz .LBB46_3813
; %bb.1765:
	s_or_saveexec_b64 s[6:7], s[6:7]
	v_mov_b32_e32 v3, s10
	s_xor_b64 exec, exec, s[6:7]
	s_cbranch_execnz .LBB46_3816
.LBB46_1766:
	s_or_b64 exec, exec, s[6:7]
	s_and_saveexec_b64 s[6:7], s[4:5]
	s_cbranch_execz .LBB46_1768
.LBB46_1767:
	v_mov_b32_e32 v3, 8
	v_and_b32_e32 v4, 7, v5
	v_lshrrev_b32_sdwa v3, v3, v5 dst_sel:BYTE_1 dst_unused:UNUSED_PAD src0_sel:DWORD src1_sel:DWORD
	v_ffbh_u32_e32 v6, v4
	v_or_b32_sdwa v3, v5, v3 dst_sel:DWORD dst_unused:UNUSED_PAD src0_sel:BYTE_0 src1_sel:DWORD
	v_min_u32_e32 v6, 32, v6
	v_lshrrev_b16_e32 v3, 3, v3
	v_subrev_u32_e32 v7, 28, v6
	v_and_b32_e32 v3, 15, v3
	v_lshlrev_b32_e32 v7, v7, v5
	v_sub_u32_e32 v6, 29, v6
	v_and_b32_e32 v7, 7, v7
	v_cmp_eq_u16_e32 vcc, 0, v3
	v_cndmask_b32_e32 v4, v4, v7, vcc
	v_cndmask_b32_e32 v3, v3, v6, vcc
	v_lshlrev_b32_e32 v6, 24, v5
	v_mov_b32_e32 v7, 0x3b800000
	v_lshlrev_b32_e32 v4, 20, v4
	v_and_b32_e32 v6, 0x80000000, v6
	v_lshl_add_u32 v3, v3, 23, v7
	v_or3_b32 v3, v6, v3, v4
.LBB46_1768:
	s_or_b64 exec, exec, s[6:7]
	s_nop 0
	v_mfma_f32_16x16x4f32 a[0:3], v2, v3, a[0:3]
	v_lshrrev_b32_e32 v3, 8, v9
	s_movk_i32 s4, 0x7f
	v_cmp_gt_i16_sdwa s[6:7], v3, s4 src0_sel:BYTE_0 src1_sel:DWORD
	s_mov_b64 s[4:5], 0
                                        ; implicit-def: $sgpr10
	s_and_saveexec_b64 s[8:9], s[6:7]
	s_xor_b64 s[6:7], exec, s[8:9]
	s_cbranch_execnz .LBB46_3817
; %bb.1769:
	s_or_saveexec_b64 s[6:7], s[6:7]
	v_mov_b32_e32 v2, s10
	s_xor_b64 exec, exec, s[6:7]
	s_cbranch_execnz .LBB46_3820
.LBB46_1770:
	s_or_b64 exec, exec, s[6:7]
	s_and_saveexec_b64 s[6:7], s[4:5]
	s_cbranch_execz .LBB46_1772
.LBB46_1771:
	v_bfe_u32 v2, v9, 8, 3
	v_ffbh_u32_e32 v6, v2
	v_min_u32_e32 v6, 32, v6
	v_lshrrev_b16_e32 v4, 3, v3
	v_subrev_u32_e32 v7, 28, v6
	v_and_b32_e32 v4, 15, v4
	v_lshlrev_b32_e32 v3, v7, v3
	v_sub_u32_e32 v6, 29, v6
	v_and_b32_e32 v3, 7, v3
	v_cmp_eq_u16_e32 vcc, 0, v4
	v_cndmask_b32_e32 v2, v2, v3, vcc
	v_cndmask_b32_e32 v3, v4, v6, vcc
	v_lshlrev_b32_e32 v4, 16, v9
	v_mov_b32_e32 v6, 0x3b800000
	v_lshlrev_b32_e32 v2, 20, v2
	v_and_b32_e32 v4, 0x80000000, v4
	v_lshl_add_u32 v3, v3, 23, v6
	v_or3_b32 v2, v4, v3, v2
.LBB46_1772:
	s_or_b64 exec, exec, s[6:7]
	v_lshrrev_b32_e32 v3, 8, v5
	s_movk_i32 s4, 0x7f
	v_cmp_gt_i16_sdwa s[6:7], v3, s4 src0_sel:BYTE_0 src1_sel:DWORD
	s_mov_b64 s[4:5], 0
                                        ; implicit-def: $sgpr10
	s_and_saveexec_b64 s[8:9], s[6:7]
	s_xor_b64 s[6:7], exec, s[8:9]
	s_cbranch_execnz .LBB46_3821
; %bb.1773:
	s_or_saveexec_b64 s[6:7], s[6:7]
	v_mov_b32_e32 v4, s10
	s_xor_b64 exec, exec, s[6:7]
	s_cbranch_execnz .LBB46_3824
.LBB46_1774:
	s_or_b64 exec, exec, s[6:7]
	s_and_saveexec_b64 s[6:7], s[4:5]
	s_cbranch_execz .LBB46_1776
.LBB46_1775:
	v_bfe_u32 v4, v5, 8, 3
	v_ffbh_u32_e32 v7, v4
	v_min_u32_e32 v7, 32, v7
	v_lshrrev_b16_e32 v6, 3, v3
	v_subrev_u32_e32 v8, 28, v7
	v_and_b32_e32 v6, 15, v6
	v_lshlrev_b32_e32 v3, v8, v3
	v_sub_u32_e32 v7, 29, v7
	v_and_b32_e32 v3, 7, v3
	v_cmp_eq_u16_e32 vcc, 0, v6
	v_cndmask_b32_e32 v3, v4, v3, vcc
	v_cndmask_b32_e32 v4, v6, v7, vcc
	v_lshlrev_b32_e32 v6, 16, v5
	v_mov_b32_e32 v7, 0x3b800000
	v_lshlrev_b32_e32 v3, 20, v3
	v_and_b32_e32 v6, 0x80000000, v6
	v_lshl_add_u32 v4, v4, 23, v7
	v_or3_b32 v4, v6, v4, v3
.LBB46_1776:
	s_or_b64 exec, exec, s[6:7]
	s_nop 0
	v_mfma_f32_16x16x4f32 a[0:3], v2, v4, a[0:3]
	s_movk_i32 s4, 0xff
	v_and_b32_sdwa v3, v9, s4 dst_sel:DWORD dst_unused:UNUSED_PAD src0_sel:WORD_1 src1_sel:DWORD
	s_movk_i32 s4, 0x7f
	v_cmp_lt_i16_e32 vcc, s4, v3
	s_mov_b64 s[4:5], 0
                                        ; implicit-def: $sgpr10
	s_and_saveexec_b64 s[6:7], vcc
	s_xor_b64 s[6:7], exec, s[6:7]
	s_cbranch_execnz .LBB46_3825
; %bb.1777:
	s_or_saveexec_b64 s[6:7], s[6:7]
	v_mov_b32_e32 v2, s10
	s_xor_b64 exec, exec, s[6:7]
	s_cbranch_execnz .LBB46_3828
.LBB46_1778:
	s_or_b64 exec, exec, s[6:7]
	s_and_saveexec_b64 s[6:7], s[4:5]
	s_cbranch_execz .LBB46_1780
.LBB46_1779:
	v_bfe_u32 v2, v9, 16, 3
	v_ffbh_u32_e32 v6, v2
	v_min_u32_e32 v6, 32, v6
	v_lshrrev_b32_e32 v3, 19, v9
	v_subrev_u32_e32 v7, 28, v6
	v_and_b32_e32 v3, 15, v3
	v_lshlrev_b32_sdwa v7, v7, v9 dst_sel:DWORD dst_unused:UNUSED_PAD src0_sel:DWORD src1_sel:WORD_1
	v_bfe_u32 v4, v9, 19, 4
	v_sub_u32_e32 v6, 29, v6
	v_and_b32_e32 v7, 7, v7
	v_cmp_eq_u16_e32 vcc, 0, v3
	v_cndmask_b32_e32 v2, v2, v7, vcc
	v_cndmask_b32_e32 v3, v4, v6, vcc
	v_lshlrev_b32_e32 v4, 8, v9
	v_mov_b32_e32 v6, 0x3b800000
	v_lshlrev_b32_e32 v2, 20, v2
	v_and_b32_e32 v4, 0x80000000, v4
	v_lshl_add_u32 v3, v3, 23, v6
	v_or3_b32 v2, v4, v3, v2
.LBB46_1780:
	s_or_b64 exec, exec, s[6:7]
	s_movk_i32 s4, 0xff
	v_and_b32_sdwa v3, v5, s4 dst_sel:DWORD dst_unused:UNUSED_PAD src0_sel:WORD_1 src1_sel:DWORD
	s_movk_i32 s4, 0x7f
	v_cmp_lt_i16_e32 vcc, s4, v3
	s_mov_b64 s[4:5], 0
                                        ; implicit-def: $sgpr10
	s_and_saveexec_b64 s[6:7], vcc
	s_xor_b64 s[6:7], exec, s[6:7]
	s_cbranch_execnz .LBB46_3829
; %bb.1781:
	s_or_saveexec_b64 s[6:7], s[6:7]
	v_mov_b32_e32 v4, s10
	s_xor_b64 exec, exec, s[6:7]
	s_cbranch_execnz .LBB46_3832
.LBB46_1782:
	s_or_b64 exec, exec, s[6:7]
	s_and_saveexec_b64 s[6:7], s[4:5]
	s_cbranch_execz .LBB46_1784
.LBB46_1783:
	v_bfe_u32 v3, v5, 16, 3
	v_ffbh_u32_e32 v7, v3
	v_min_u32_e32 v7, 32, v7
	v_lshrrev_b32_e32 v4, 19, v5
	v_subrev_u32_e32 v8, 28, v7
	v_and_b32_e32 v4, 15, v4
	v_lshlrev_b32_sdwa v8, v8, v5 dst_sel:DWORD dst_unused:UNUSED_PAD src0_sel:DWORD src1_sel:WORD_1
	v_bfe_u32 v6, v5, 19, 4
	v_sub_u32_e32 v7, 29, v7
	v_and_b32_e32 v8, 7, v8
	v_cmp_eq_u16_e32 vcc, 0, v4
	v_cndmask_b32_e32 v3, v3, v8, vcc
	v_cndmask_b32_e32 v4, v6, v7, vcc
	v_lshlrev_b32_e32 v6, 8, v5
	v_mov_b32_e32 v7, 0x3b800000
	v_lshlrev_b32_e32 v3, 20, v3
	v_and_b32_e32 v6, 0x80000000, v6
	v_lshl_add_u32 v4, v4, 23, v7
	v_or3_b32 v4, v6, v4, v3
.LBB46_1784:
	s_or_b64 exec, exec, s[6:7]
	s_nop 0
	v_mfma_f32_16x16x4f32 a[0:3], v2, v4, a[0:3]
	s_movk_i32 s4, 0x7f
	v_cmp_gt_i16_sdwa s[6:7], v9, s4 src0_sel:BYTE_3 src1_sel:DWORD
	s_mov_b64 s[4:5], 0
                                        ; implicit-def: $sgpr10
	s_and_saveexec_b64 s[8:9], s[6:7]
	s_xor_b64 s[6:7], exec, s[8:9]
	s_cbranch_execnz .LBB46_3833
; %bb.1785:
	s_or_saveexec_b64 s[6:7], s[6:7]
	v_mov_b32_e32 v2, s10
	s_xor_b64 exec, exec, s[6:7]
	s_cbranch_execnz .LBB46_3836
.LBB46_1786:
	s_or_b64 exec, exec, s[6:7]
	s_and_saveexec_b64 s[6:7], s[4:5]
	s_cbranch_execz .LBB46_1788
.LBB46_1787:
	v_bfe_u32 v2, v9, 24, 3
	v_ffbh_u32_e32 v7, v2
	v_min_u32_e32 v7, 32, v7
	v_lshrrev_b32_e32 v4, 27, v9
	v_subrev_u32_e32 v8, 28, v7
	v_and_b32_e32 v4, 15, v4
	v_lshlrev_b32_sdwa v8, v8, v9 dst_sel:DWORD dst_unused:UNUSED_PAD src0_sel:DWORD src1_sel:BYTE_3
	v_bfe_u32 v6, v9, 27, 4
	v_sub_u32_e32 v7, 29, v7
	v_and_b32_e32 v8, 7, v8
	v_cmp_eq_u16_e32 vcc, 0, v4
	v_cndmask_b32_e32 v2, v2, v8, vcc
	v_cndmask_b32_e32 v4, v6, v7, vcc
	v_mov_b32_e32 v6, 0x3b800000
	v_and_b32_e32 v3, 0x80000000, v9
	v_lshlrev_b32_e32 v2, 20, v2
	v_lshl_add_u32 v4, v4, 23, v6
	v_or3_b32 v2, v3, v4, v2
.LBB46_1788:
	s_or_b64 exec, exec, s[6:7]
	s_movk_i32 s4, 0x7f
	v_cmp_gt_i16_sdwa s[6:7], v5, s4 src0_sel:BYTE_3 src1_sel:DWORD
	s_mov_b64 s[4:5], 0
                                        ; implicit-def: $sgpr10
	s_and_saveexec_b64 s[8:9], s[6:7]
	s_xor_b64 s[6:7], exec, s[8:9]
	s_cbranch_execnz .LBB46_3837
; %bb.1789:
	s_or_saveexec_b64 s[6:7], s[6:7]
	v_mov_b32_e32 v3, s10
	s_xor_b64 exec, exec, s[6:7]
	s_cbranch_execnz .LBB46_3840
.LBB46_1790:
	s_or_b64 exec, exec, s[6:7]
	s_and_saveexec_b64 s[6:7], s[4:5]
	s_cbranch_execz .LBB46_1792
.LBB46_1791:
	v_bfe_u32 v3, v5, 24, 3
	v_ffbh_u32_e32 v8, v3
	v_min_u32_e32 v8, 32, v8
	v_lshrrev_b32_e32 v6, 27, v5
	v_subrev_u32_e32 v9, 28, v8
	v_and_b32_e32 v4, 0x80000000, v5
	v_and_b32_e32 v6, 15, v6
	v_bfe_u32 v7, v5, 27, 4
	v_lshlrev_b32_sdwa v5, v9, v5 dst_sel:DWORD dst_unused:UNUSED_PAD src0_sel:DWORD src1_sel:BYTE_3
	v_sub_u32_e32 v8, 29, v8
	v_and_b32_e32 v5, 7, v5
	v_cmp_eq_u16_e32 vcc, 0, v6
	v_cndmask_b32_e32 v3, v3, v5, vcc
	v_cndmask_b32_e32 v5, v7, v8, vcc
	v_mov_b32_e32 v6, 0x3b800000
	v_lshlrev_b32_e32 v3, 20, v3
	v_lshl_add_u32 v5, v5, 23, v6
	v_or3_b32 v3, v4, v5, v3
.LBB46_1792:
	s_or_b64 exec, exec, s[6:7]
	s_nop 0
	v_mfma_f32_16x16x4f32 a[0:3], v2, v3, a[0:3]
	s_movk_i32 s4, 0x7f
                                        ; implicit-def: $sgpr10
	s_nop 7
	s_nop 1
	flat_store_dwordx4 v[18:19], a[0:3] offset:352
	flat_load_dwordx4 v[18:21], v[0:1] offset:8
	s_nop 0
	flat_load_dwordx2 v[16:17], v[0:1] offset:24
	s_waitcnt vmcnt(0) lgkmcnt(0)
	flat_load_dwordx4 v[12:15], v[18:19]
	flat_load_dwordx4 v[4:7], v[18:19] offset:16
	flat_load_dwordx4 v[8:11], v[20:21] offset:224
	;; [unrolled: 1-line block ×3, first 2 shown]
	s_waitcnt vmcnt(0) lgkmcnt(0)
	v_cmp_gt_i16_sdwa s[6:7], v12, s4 src0_sel:BYTE_0 src1_sel:DWORD
	s_mov_b64 s[4:5], 0
	s_and_saveexec_b64 s[8:9], s[6:7]
	s_xor_b64 s[6:7], exec, s[8:9]
	s_cbranch_execnz .LBB46_3841
; %bb.1793:
	s_or_saveexec_b64 s[6:7], s[6:7]
	v_mov_b32_e32 v18, s10
	s_xor_b64 exec, exec, s[6:7]
	s_cbranch_execnz .LBB46_3844
.LBB46_1794:
	s_or_b64 exec, exec, s[6:7]
	s_and_saveexec_b64 s[6:7], s[4:5]
	s_cbranch_execz .LBB46_1796
.LBB46_1795:
	v_and_b32_e32 v18, 7, v12
	v_ffbh_u32_e32 v20, v18
	v_min_u32_e32 v20, 32, v20
	v_lshrrev_b16_e32 v19, 3, v12
	v_subrev_u32_e32 v21, 28, v20
	v_and_b32_e32 v19, 15, v19
	v_lshlrev_b32_e32 v21, v21, v12
	v_sub_u32_e32 v20, 29, v20
	v_and_b32_e32 v21, 7, v21
	v_cmp_eq_u16_e32 vcc, 0, v19
	v_cndmask_b32_e32 v18, v18, v21, vcc
	v_cndmask_b32_e32 v19, v19, v20, vcc
	v_lshlrev_b32_e32 v20, 24, v12
	v_mov_b32_e32 v21, 0x3b800000
	v_lshlrev_b32_e32 v18, 20, v18
	v_and_b32_e32 v20, 0x80000000, v20
	v_lshl_add_u32 v19, v19, 23, v21
	v_or3_b32 v18, v20, v19, v18
.LBB46_1796:
	s_or_b64 exec, exec, s[6:7]
	s_movk_i32 s4, 0x7f
	v_cmp_gt_i16_sdwa s[6:7], v8, s4 src0_sel:BYTE_0 src1_sel:DWORD
	s_mov_b64 s[4:5], 0
                                        ; implicit-def: $sgpr10
	s_and_saveexec_b64 s[8:9], s[6:7]
	s_xor_b64 s[6:7], exec, s[8:9]
	s_cbranch_execnz .LBB46_3845
; %bb.1797:
	s_or_saveexec_b64 s[6:7], s[6:7]
	v_mov_b32_e32 v19, s10
	s_xor_b64 exec, exec, s[6:7]
	s_cbranch_execnz .LBB46_3848
.LBB46_1798:
	s_or_b64 exec, exec, s[6:7]
	s_and_saveexec_b64 s[6:7], s[4:5]
	s_cbranch_execz .LBB46_1800
.LBB46_1799:
	v_and_b32_e32 v19, 7, v8
	v_ffbh_u32_e32 v21, v19
	v_min_u32_e32 v21, 32, v21
	v_lshrrev_b16_e32 v20, 3, v8
	v_subrev_u32_e32 v22, 28, v21
	v_and_b32_e32 v20, 15, v20
	v_lshlrev_b32_e32 v22, v22, v8
	v_sub_u32_e32 v21, 29, v21
	v_and_b32_e32 v22, 7, v22
	v_cmp_eq_u16_e32 vcc, 0, v20
	v_cndmask_b32_e32 v19, v19, v22, vcc
	v_cndmask_b32_e32 v20, v20, v21, vcc
	v_lshlrev_b32_e32 v21, 24, v8
	v_mov_b32_e32 v22, 0x3b800000
	v_lshlrev_b32_e32 v19, 20, v19
	v_and_b32_e32 v21, 0x80000000, v21
	v_lshl_add_u32 v20, v20, 23, v22
	v_or3_b32 v19, v21, v20, v19
.LBB46_1800:
	s_or_b64 exec, exec, s[6:7]
	flat_load_dwordx4 a[0:3], v[16:17] offset:368
	s_movk_i32 s4, 0x7f
                                        ; implicit-def: $sgpr10
	s_waitcnt vmcnt(0) lgkmcnt(0)
	v_mfma_f32_16x16x4f32 a[0:3], v18, v19, a[0:3]
	v_lshrrev_b32_e32 v19, 8, v12
	v_cmp_gt_i16_sdwa s[6:7], v19, s4 src0_sel:BYTE_0 src1_sel:DWORD
	s_mov_b64 s[4:5], 0
	s_and_saveexec_b64 s[8:9], s[6:7]
	s_xor_b64 s[6:7], exec, s[8:9]
	s_cbranch_execnz .LBB46_3849
; %bb.1801:
	s_or_saveexec_b64 s[6:7], s[6:7]
	v_mov_b32_e32 v18, s10
	s_xor_b64 exec, exec, s[6:7]
	s_cbranch_execnz .LBB46_3852
.LBB46_1802:
	s_or_b64 exec, exec, s[6:7]
	s_and_saveexec_b64 s[6:7], s[4:5]
	s_cbranch_execz .LBB46_1804
.LBB46_1803:
	v_bfe_u32 v18, v12, 8, 3
	v_ffbh_u32_e32 v21, v18
	v_min_u32_e32 v21, 32, v21
	v_lshrrev_b16_e32 v20, 3, v19
	v_subrev_u32_e32 v22, 28, v21
	v_and_b32_e32 v20, 15, v20
	v_lshlrev_b32_e32 v19, v22, v19
	v_sub_u32_e32 v21, 29, v21
	v_and_b32_e32 v19, 7, v19
	v_cmp_eq_u16_e32 vcc, 0, v20
	v_cndmask_b32_e32 v18, v18, v19, vcc
	v_cndmask_b32_e32 v19, v20, v21, vcc
	v_lshlrev_b32_e32 v20, 16, v12
	v_mov_b32_e32 v21, 0x3b800000
	v_lshlrev_b32_e32 v18, 20, v18
	v_and_b32_e32 v20, 0x80000000, v20
	v_lshl_add_u32 v19, v19, 23, v21
	v_or3_b32 v18, v20, v19, v18
.LBB46_1804:
	s_or_b64 exec, exec, s[6:7]
	v_lshrrev_b32_e32 v19, 8, v8
	s_movk_i32 s4, 0x7f
	v_cmp_gt_i16_sdwa s[6:7], v19, s4 src0_sel:BYTE_0 src1_sel:DWORD
	s_mov_b64 s[4:5], 0
                                        ; implicit-def: $sgpr10
	s_and_saveexec_b64 s[8:9], s[6:7]
	s_xor_b64 s[6:7], exec, s[8:9]
	s_cbranch_execnz .LBB46_3853
; %bb.1805:
	s_or_saveexec_b64 s[6:7], s[6:7]
	v_mov_b32_e32 v20, s10
	s_xor_b64 exec, exec, s[6:7]
	s_cbranch_execnz .LBB46_3856
.LBB46_1806:
	s_or_b64 exec, exec, s[6:7]
	s_and_saveexec_b64 s[6:7], s[4:5]
	s_cbranch_execz .LBB46_1808
.LBB46_1807:
	v_bfe_u32 v20, v8, 8, 3
	v_ffbh_u32_e32 v22, v20
	v_min_u32_e32 v22, 32, v22
	v_lshrrev_b16_e32 v21, 3, v19
	v_subrev_u32_e32 v23, 28, v22
	v_and_b32_e32 v21, 15, v21
	v_lshlrev_b32_e32 v19, v23, v19
	v_sub_u32_e32 v22, 29, v22
	v_and_b32_e32 v19, 7, v19
	v_cmp_eq_u16_e32 vcc, 0, v21
	v_cndmask_b32_e32 v19, v20, v19, vcc
	v_cndmask_b32_e32 v20, v21, v22, vcc
	v_lshlrev_b32_e32 v21, 16, v8
	v_mov_b32_e32 v22, 0x3b800000
	v_lshlrev_b32_e32 v19, 20, v19
	v_and_b32_e32 v21, 0x80000000, v21
	v_lshl_add_u32 v20, v20, 23, v22
	v_or3_b32 v20, v21, v20, v19
.LBB46_1808:
	s_or_b64 exec, exec, s[6:7]
	s_nop 0
	v_mfma_f32_16x16x4f32 a[0:3], v18, v20, a[0:3]
	s_movk_i32 s4, 0xff
	v_and_b32_sdwa v19, v12, s4 dst_sel:DWORD dst_unused:UNUSED_PAD src0_sel:WORD_1 src1_sel:DWORD
	s_movk_i32 s4, 0x7f
	v_cmp_lt_i16_e32 vcc, s4, v19
	s_mov_b64 s[4:5], 0
                                        ; implicit-def: $sgpr10
	s_and_saveexec_b64 s[6:7], vcc
	s_xor_b64 s[6:7], exec, s[6:7]
	s_cbranch_execnz .LBB46_3857
; %bb.1809:
	s_or_saveexec_b64 s[6:7], s[6:7]
	v_mov_b32_e32 v18, s10
	s_xor_b64 exec, exec, s[6:7]
	s_cbranch_execnz .LBB46_3860
.LBB46_1810:
	s_or_b64 exec, exec, s[6:7]
	s_and_saveexec_b64 s[6:7], s[4:5]
	s_cbranch_execz .LBB46_1812
.LBB46_1811:
	v_bfe_u32 v18, v12, 16, 3
	v_ffbh_u32_e32 v21, v18
	v_min_u32_e32 v21, 32, v21
	v_lshrrev_b32_e32 v19, 19, v12
	v_subrev_u32_e32 v22, 28, v21
	v_and_b32_e32 v19, 15, v19
	v_lshlrev_b32_sdwa v22, v22, v12 dst_sel:DWORD dst_unused:UNUSED_PAD src0_sel:DWORD src1_sel:WORD_1
	v_bfe_u32 v20, v12, 19, 4
	v_sub_u32_e32 v21, 29, v21
	v_and_b32_e32 v22, 7, v22
	v_cmp_eq_u16_e32 vcc, 0, v19
	v_cndmask_b32_e32 v18, v18, v22, vcc
	v_cndmask_b32_e32 v19, v20, v21, vcc
	v_lshlrev_b32_e32 v20, 8, v12
	v_mov_b32_e32 v21, 0x3b800000
	v_lshlrev_b32_e32 v18, 20, v18
	v_and_b32_e32 v20, 0x80000000, v20
	v_lshl_add_u32 v19, v19, 23, v21
	v_or3_b32 v18, v20, v19, v18
.LBB46_1812:
	s_or_b64 exec, exec, s[6:7]
	s_movk_i32 s4, 0xff
	v_and_b32_sdwa v19, v8, s4 dst_sel:DWORD dst_unused:UNUSED_PAD src0_sel:WORD_1 src1_sel:DWORD
	s_movk_i32 s4, 0x7f
	v_cmp_lt_i16_e32 vcc, s4, v19
	s_mov_b64 s[4:5], 0
                                        ; implicit-def: $sgpr10
	s_and_saveexec_b64 s[6:7], vcc
	s_xor_b64 s[6:7], exec, s[6:7]
	s_cbranch_execnz .LBB46_3861
; %bb.1813:
	s_or_saveexec_b64 s[6:7], s[6:7]
	v_mov_b32_e32 v20, s10
	s_xor_b64 exec, exec, s[6:7]
	s_cbranch_execnz .LBB46_3864
.LBB46_1814:
	s_or_b64 exec, exec, s[6:7]
	s_and_saveexec_b64 s[6:7], s[4:5]
	s_cbranch_execz .LBB46_1816
.LBB46_1815:
	v_bfe_u32 v19, v8, 16, 3
	v_ffbh_u32_e32 v22, v19
	v_min_u32_e32 v22, 32, v22
	v_lshrrev_b32_e32 v20, 19, v8
	v_subrev_u32_e32 v23, 28, v22
	v_and_b32_e32 v20, 15, v20
	v_lshlrev_b32_sdwa v23, v23, v8 dst_sel:DWORD dst_unused:UNUSED_PAD src0_sel:DWORD src1_sel:WORD_1
	v_bfe_u32 v21, v8, 19, 4
	v_sub_u32_e32 v22, 29, v22
	v_and_b32_e32 v23, 7, v23
	v_cmp_eq_u16_e32 vcc, 0, v20
	v_cndmask_b32_e32 v19, v19, v23, vcc
	v_cndmask_b32_e32 v20, v21, v22, vcc
	v_lshlrev_b32_e32 v21, 8, v8
	v_mov_b32_e32 v22, 0x3b800000
	v_lshlrev_b32_e32 v19, 20, v19
	v_and_b32_e32 v21, 0x80000000, v21
	v_lshl_add_u32 v20, v20, 23, v22
	v_or3_b32 v20, v21, v20, v19
.LBB46_1816:
	s_or_b64 exec, exec, s[6:7]
	s_nop 0
	v_mfma_f32_16x16x4f32 a[0:3], v18, v20, a[0:3]
	s_movk_i32 s4, 0x7f
	v_cmp_gt_i16_sdwa s[6:7], v12, s4 src0_sel:BYTE_3 src1_sel:DWORD
	s_mov_b64 s[4:5], 0
                                        ; implicit-def: $sgpr10
	s_and_saveexec_b64 s[8:9], s[6:7]
	s_xor_b64 s[6:7], exec, s[8:9]
	s_cbranch_execnz .LBB46_3865
; %bb.1817:
	s_or_saveexec_b64 s[6:7], s[6:7]
	v_mov_b32_e32 v18, s10
	s_xor_b64 exec, exec, s[6:7]
	s_cbranch_execnz .LBB46_3868
.LBB46_1818:
	s_or_b64 exec, exec, s[6:7]
	s_and_saveexec_b64 s[6:7], s[4:5]
	s_cbranch_execz .LBB46_1820
.LBB46_1819:
	v_bfe_u32 v18, v12, 24, 3
	v_ffbh_u32_e32 v22, v18
	v_min_u32_e32 v22, 32, v22
	v_lshrrev_b32_e32 v20, 27, v12
	v_subrev_u32_e32 v23, 28, v22
	v_and_b32_e32 v19, 0x80000000, v12
	v_and_b32_e32 v20, 15, v20
	v_bfe_u32 v21, v12, 27, 4
	v_lshlrev_b32_sdwa v12, v23, v12 dst_sel:DWORD dst_unused:UNUSED_PAD src0_sel:DWORD src1_sel:BYTE_3
	v_sub_u32_e32 v22, 29, v22
	v_and_b32_e32 v12, 7, v12
	v_cmp_eq_u16_e32 vcc, 0, v20
	v_cndmask_b32_e32 v12, v18, v12, vcc
	v_cndmask_b32_e32 v18, v21, v22, vcc
	v_mov_b32_e32 v20, 0x3b800000
	v_lshlrev_b32_e32 v12, 20, v12
	v_lshl_add_u32 v18, v18, 23, v20
	v_or3_b32 v18, v19, v18, v12
.LBB46_1820:
	s_or_b64 exec, exec, s[6:7]
	s_movk_i32 s4, 0x7f
	v_cmp_gt_i16_sdwa s[6:7], v8, s4 src0_sel:BYTE_3 src1_sel:DWORD
	s_mov_b64 s[4:5], 0
                                        ; implicit-def: $sgpr10
	s_and_saveexec_b64 s[8:9], s[6:7]
	s_xor_b64 s[6:7], exec, s[8:9]
	s_cbranch_execnz .LBB46_3869
; %bb.1821:
	s_or_saveexec_b64 s[6:7], s[6:7]
	v_mov_b32_e32 v12, s10
	s_xor_b64 exec, exec, s[6:7]
	s_cbranch_execnz .LBB46_3872
.LBB46_1822:
	s_or_b64 exec, exec, s[6:7]
	s_and_saveexec_b64 s[6:7], s[4:5]
	s_cbranch_execz .LBB46_1824
.LBB46_1823:
	v_bfe_u32 v12, v8, 24, 3
	v_ffbh_u32_e32 v22, v12
	v_min_u32_e32 v22, 32, v22
	v_lshrrev_b32_e32 v20, 27, v8
	v_subrev_u32_e32 v23, 28, v22
	v_and_b32_e32 v19, 0x80000000, v8
	v_and_b32_e32 v20, 15, v20
	v_bfe_u32 v21, v8, 27, 4
	v_lshlrev_b32_sdwa v8, v23, v8 dst_sel:DWORD dst_unused:UNUSED_PAD src0_sel:DWORD src1_sel:BYTE_3
	v_sub_u32_e32 v22, 29, v22
	v_and_b32_e32 v8, 7, v8
	v_cmp_eq_u16_e32 vcc, 0, v20
	v_cndmask_b32_e32 v8, v12, v8, vcc
	v_cndmask_b32_e32 v12, v21, v22, vcc
	v_mov_b32_e32 v20, 0x3b800000
	v_lshlrev_b32_e32 v8, 20, v8
	v_lshl_add_u32 v12, v12, 23, v20
	v_or3_b32 v12, v19, v12, v8
.LBB46_1824:
	s_or_b64 exec, exec, s[6:7]
	s_nop 0
	v_mfma_f32_16x16x4f32 a[0:3], v18, v12, a[0:3]
	s_movk_i32 s4, 0x7f
	v_cmp_gt_i16_sdwa s[6:7], v13, s4 src0_sel:BYTE_0 src1_sel:DWORD
	s_mov_b64 s[4:5], 0
                                        ; implicit-def: $sgpr10
	s_and_saveexec_b64 s[8:9], s[6:7]
	s_xor_b64 s[6:7], exec, s[8:9]
	s_cbranch_execnz .LBB46_3873
; %bb.1825:
	s_or_saveexec_b64 s[6:7], s[6:7]
	v_mov_b32_e32 v8, s10
	s_xor_b64 exec, exec, s[6:7]
	s_cbranch_execnz .LBB46_3876
.LBB46_1826:
	s_or_b64 exec, exec, s[6:7]
	s_and_saveexec_b64 s[6:7], s[4:5]
	s_cbranch_execz .LBB46_1828
.LBB46_1827:
	v_and_b32_e32 v8, 7, v13
	v_ffbh_u32_e32 v18, v8
	v_min_u32_e32 v18, 32, v18
	v_lshrrev_b16_e32 v12, 3, v13
	v_subrev_u32_e32 v19, 28, v18
	v_and_b32_e32 v12, 15, v12
	v_lshlrev_b32_e32 v19, v19, v13
	v_sub_u32_e32 v18, 29, v18
	v_and_b32_e32 v19, 7, v19
	v_cmp_eq_u16_e32 vcc, 0, v12
	v_cndmask_b32_e32 v8, v8, v19, vcc
	v_cndmask_b32_e32 v12, v12, v18, vcc
	v_lshlrev_b32_e32 v18, 24, v13
	v_mov_b32_e32 v19, 0x3b800000
	v_lshlrev_b32_e32 v8, 20, v8
	v_and_b32_e32 v18, 0x80000000, v18
	v_lshl_add_u32 v12, v12, 23, v19
	v_or3_b32 v8, v18, v12, v8
.LBB46_1828:
	s_or_b64 exec, exec, s[6:7]
	s_movk_i32 s4, 0x7f
	v_cmp_gt_i16_sdwa s[6:7], v9, s4 src0_sel:BYTE_0 src1_sel:DWORD
	s_mov_b64 s[4:5], 0
                                        ; implicit-def: $sgpr10
	s_and_saveexec_b64 s[8:9], s[6:7]
	s_xor_b64 s[6:7], exec, s[8:9]
	s_cbranch_execnz .LBB46_3877
; %bb.1829:
	s_or_saveexec_b64 s[6:7], s[6:7]
	v_mov_b32_e32 v12, s10
	s_xor_b64 exec, exec, s[6:7]
	s_cbranch_execnz .LBB46_3880
.LBB46_1830:
	s_or_b64 exec, exec, s[6:7]
	s_and_saveexec_b64 s[6:7], s[4:5]
	s_cbranch_execz .LBB46_1832
.LBB46_1831:
	v_and_b32_e32 v12, 7, v9
	v_ffbh_u32_e32 v19, v12
	v_min_u32_e32 v19, 32, v19
	v_lshrrev_b16_e32 v18, 3, v9
	v_subrev_u32_e32 v20, 28, v19
	v_and_b32_e32 v18, 15, v18
	v_lshlrev_b32_e32 v20, v20, v9
	v_sub_u32_e32 v19, 29, v19
	v_and_b32_e32 v20, 7, v20
	v_cmp_eq_u16_e32 vcc, 0, v18
	v_cndmask_b32_e32 v12, v12, v20, vcc
	v_cndmask_b32_e32 v18, v18, v19, vcc
	v_lshlrev_b32_e32 v19, 24, v9
	v_mov_b32_e32 v20, 0x3b800000
	v_lshlrev_b32_e32 v12, 20, v12
	v_and_b32_e32 v19, 0x80000000, v19
	v_lshl_add_u32 v18, v18, 23, v20
	v_or3_b32 v12, v19, v18, v12
.LBB46_1832:
	s_or_b64 exec, exec, s[6:7]
	s_nop 0
	v_mfma_f32_16x16x4f32 a[0:3], v8, v12, a[0:3]
	v_lshrrev_b32_e32 v12, 8, v13
	s_movk_i32 s4, 0x7f
	v_cmp_gt_i16_sdwa s[6:7], v12, s4 src0_sel:BYTE_0 src1_sel:DWORD
	s_mov_b64 s[4:5], 0
                                        ; implicit-def: $sgpr10
	s_and_saveexec_b64 s[8:9], s[6:7]
	s_xor_b64 s[6:7], exec, s[8:9]
	s_cbranch_execnz .LBB46_3881
; %bb.1833:
	s_or_saveexec_b64 s[6:7], s[6:7]
	v_mov_b32_e32 v8, s10
	s_xor_b64 exec, exec, s[6:7]
	s_cbranch_execnz .LBB46_3884
.LBB46_1834:
	s_or_b64 exec, exec, s[6:7]
	s_and_saveexec_b64 s[6:7], s[4:5]
	s_cbranch_execz .LBB46_1836
.LBB46_1835:
	v_bfe_u32 v8, v13, 8, 3
	v_ffbh_u32_e32 v19, v8
	v_min_u32_e32 v19, 32, v19
	v_lshrrev_b16_e32 v18, 3, v12
	v_subrev_u32_e32 v20, 28, v19
	v_and_b32_e32 v18, 15, v18
	v_lshlrev_b32_e32 v12, v20, v12
	v_sub_u32_e32 v19, 29, v19
	v_and_b32_e32 v12, 7, v12
	v_cmp_eq_u16_e32 vcc, 0, v18
	v_cndmask_b32_e32 v8, v8, v12, vcc
	v_cndmask_b32_e32 v12, v18, v19, vcc
	v_lshlrev_b32_e32 v18, 16, v13
	v_mov_b32_e32 v19, 0x3b800000
	v_lshlrev_b32_e32 v8, 20, v8
	v_and_b32_e32 v18, 0x80000000, v18
	v_lshl_add_u32 v12, v12, 23, v19
	v_or3_b32 v8, v18, v12, v8
.LBB46_1836:
	s_or_b64 exec, exec, s[6:7]
	v_lshrrev_b32_e32 v12, 8, v9
	s_movk_i32 s4, 0x7f
	v_cmp_gt_i16_sdwa s[6:7], v12, s4 src0_sel:BYTE_0 src1_sel:DWORD
	s_mov_b64 s[4:5], 0
                                        ; implicit-def: $sgpr10
	s_and_saveexec_b64 s[8:9], s[6:7]
	s_xor_b64 s[6:7], exec, s[8:9]
	s_cbranch_execnz .LBB46_3885
; %bb.1837:
	s_or_saveexec_b64 s[6:7], s[6:7]
	v_mov_b32_e32 v18, s10
	s_xor_b64 exec, exec, s[6:7]
	s_cbranch_execnz .LBB46_3888
.LBB46_1838:
	s_or_b64 exec, exec, s[6:7]
	s_and_saveexec_b64 s[6:7], s[4:5]
	s_cbranch_execz .LBB46_1840
.LBB46_1839:
	v_bfe_u32 v18, v9, 8, 3
	v_ffbh_u32_e32 v20, v18
	v_min_u32_e32 v20, 32, v20
	v_lshrrev_b16_e32 v19, 3, v12
	v_subrev_u32_e32 v21, 28, v20
	v_and_b32_e32 v19, 15, v19
	v_lshlrev_b32_e32 v12, v21, v12
	v_sub_u32_e32 v20, 29, v20
	v_and_b32_e32 v12, 7, v12
	v_cmp_eq_u16_e32 vcc, 0, v19
	v_cndmask_b32_e32 v12, v18, v12, vcc
	v_cndmask_b32_e32 v18, v19, v20, vcc
	v_lshlrev_b32_e32 v19, 16, v9
	v_mov_b32_e32 v20, 0x3b800000
	v_lshlrev_b32_e32 v12, 20, v12
	v_and_b32_e32 v19, 0x80000000, v19
	v_lshl_add_u32 v18, v18, 23, v20
	v_or3_b32 v18, v19, v18, v12
.LBB46_1840:
	s_or_b64 exec, exec, s[6:7]
	s_nop 0
	v_mfma_f32_16x16x4f32 a[0:3], v8, v18, a[0:3]
	s_movk_i32 s4, 0xff
	v_and_b32_sdwa v12, v13, s4 dst_sel:DWORD dst_unused:UNUSED_PAD src0_sel:WORD_1 src1_sel:DWORD
	s_movk_i32 s4, 0x7f
	v_cmp_lt_i16_e32 vcc, s4, v12
	s_mov_b64 s[4:5], 0
                                        ; implicit-def: $sgpr10
	s_and_saveexec_b64 s[6:7], vcc
	s_xor_b64 s[6:7], exec, s[6:7]
	s_cbranch_execnz .LBB46_3889
; %bb.1841:
	s_or_saveexec_b64 s[6:7], s[6:7]
	v_mov_b32_e32 v8, s10
	s_xor_b64 exec, exec, s[6:7]
	s_cbranch_execnz .LBB46_3892
.LBB46_1842:
	s_or_b64 exec, exec, s[6:7]
	s_and_saveexec_b64 s[6:7], s[4:5]
	s_cbranch_execz .LBB46_1844
.LBB46_1843:
	v_bfe_u32 v8, v13, 16, 3
	v_ffbh_u32_e32 v19, v8
	v_min_u32_e32 v19, 32, v19
	v_lshrrev_b32_e32 v12, 19, v13
	v_subrev_u32_e32 v20, 28, v19
	v_and_b32_e32 v12, 15, v12
	v_lshlrev_b32_sdwa v20, v20, v13 dst_sel:DWORD dst_unused:UNUSED_PAD src0_sel:DWORD src1_sel:WORD_1
	v_bfe_u32 v18, v13, 19, 4
	v_sub_u32_e32 v19, 29, v19
	v_and_b32_e32 v20, 7, v20
	v_cmp_eq_u16_e32 vcc, 0, v12
	v_cndmask_b32_e32 v8, v8, v20, vcc
	v_cndmask_b32_e32 v12, v18, v19, vcc
	v_lshlrev_b32_e32 v18, 8, v13
	v_mov_b32_e32 v19, 0x3b800000
	v_lshlrev_b32_e32 v8, 20, v8
	v_and_b32_e32 v18, 0x80000000, v18
	v_lshl_add_u32 v12, v12, 23, v19
	v_or3_b32 v8, v18, v12, v8
.LBB46_1844:
	s_or_b64 exec, exec, s[6:7]
	s_movk_i32 s4, 0xff
	v_and_b32_sdwa v12, v9, s4 dst_sel:DWORD dst_unused:UNUSED_PAD src0_sel:WORD_1 src1_sel:DWORD
	s_movk_i32 s4, 0x7f
	v_cmp_lt_i16_e32 vcc, s4, v12
	s_mov_b64 s[4:5], 0
                                        ; implicit-def: $sgpr10
	s_and_saveexec_b64 s[6:7], vcc
	s_xor_b64 s[6:7], exec, s[6:7]
	s_cbranch_execnz .LBB46_3893
; %bb.1845:
	s_or_saveexec_b64 s[6:7], s[6:7]
	v_mov_b32_e32 v18, s10
	s_xor_b64 exec, exec, s[6:7]
	s_cbranch_execnz .LBB46_3896
.LBB46_1846:
	s_or_b64 exec, exec, s[6:7]
	s_and_saveexec_b64 s[6:7], s[4:5]
	s_cbranch_execz .LBB46_1848
.LBB46_1847:
	v_bfe_u32 v12, v9, 16, 3
	v_ffbh_u32_e32 v20, v12
	v_min_u32_e32 v20, 32, v20
	v_lshrrev_b32_e32 v18, 19, v9
	v_subrev_u32_e32 v21, 28, v20
	v_and_b32_e32 v18, 15, v18
	v_lshlrev_b32_sdwa v21, v21, v9 dst_sel:DWORD dst_unused:UNUSED_PAD src0_sel:DWORD src1_sel:WORD_1
	v_bfe_u32 v19, v9, 19, 4
	v_sub_u32_e32 v20, 29, v20
	v_and_b32_e32 v21, 7, v21
	v_cmp_eq_u16_e32 vcc, 0, v18
	v_cndmask_b32_e32 v12, v12, v21, vcc
	v_cndmask_b32_e32 v18, v19, v20, vcc
	v_lshlrev_b32_e32 v19, 8, v9
	v_mov_b32_e32 v20, 0x3b800000
	v_lshlrev_b32_e32 v12, 20, v12
	v_and_b32_e32 v19, 0x80000000, v19
	v_lshl_add_u32 v18, v18, 23, v20
	v_or3_b32 v18, v19, v18, v12
.LBB46_1848:
	s_or_b64 exec, exec, s[6:7]
	s_nop 0
	v_mfma_f32_16x16x4f32 a[0:3], v8, v18, a[0:3]
	s_movk_i32 s4, 0x7f
	v_cmp_gt_i16_sdwa s[6:7], v13, s4 src0_sel:BYTE_3 src1_sel:DWORD
	s_mov_b64 s[4:5], 0
                                        ; implicit-def: $sgpr10
	s_and_saveexec_b64 s[8:9], s[6:7]
	s_xor_b64 s[6:7], exec, s[8:9]
	s_cbranch_execnz .LBB46_3897
; %bb.1849:
	s_or_saveexec_b64 s[6:7], s[6:7]
	v_mov_b32_e32 v8, s10
	s_xor_b64 exec, exec, s[6:7]
	s_cbranch_execnz .LBB46_3900
.LBB46_1850:
	s_or_b64 exec, exec, s[6:7]
	s_and_saveexec_b64 s[6:7], s[4:5]
	s_cbranch_execz .LBB46_1852
.LBB46_1851:
	v_bfe_u32 v8, v13, 24, 3
	v_ffbh_u32_e32 v20, v8
	v_min_u32_e32 v20, 32, v20
	v_lshrrev_b32_e32 v18, 27, v13
	v_subrev_u32_e32 v21, 28, v20
	v_and_b32_e32 v12, 0x80000000, v13
	v_and_b32_e32 v18, 15, v18
	v_bfe_u32 v19, v13, 27, 4
	v_lshlrev_b32_sdwa v13, v21, v13 dst_sel:DWORD dst_unused:UNUSED_PAD src0_sel:DWORD src1_sel:BYTE_3
	v_sub_u32_e32 v20, 29, v20
	v_and_b32_e32 v13, 7, v13
	v_cmp_eq_u16_e32 vcc, 0, v18
	v_cndmask_b32_e32 v8, v8, v13, vcc
	v_cndmask_b32_e32 v13, v19, v20, vcc
	v_mov_b32_e32 v18, 0x3b800000
	v_lshlrev_b32_e32 v8, 20, v8
	v_lshl_add_u32 v13, v13, 23, v18
	v_or3_b32 v8, v12, v13, v8
.LBB46_1852:
	s_or_b64 exec, exec, s[6:7]
	s_movk_i32 s4, 0x7f
	v_cmp_gt_i16_sdwa s[6:7], v9, s4 src0_sel:BYTE_3 src1_sel:DWORD
	s_mov_b64 s[4:5], 0
                                        ; implicit-def: $sgpr10
	s_and_saveexec_b64 s[8:9], s[6:7]
	s_xor_b64 s[6:7], exec, s[8:9]
	s_cbranch_execnz .LBB46_3901
; %bb.1853:
	s_or_saveexec_b64 s[6:7], s[6:7]
	v_mov_b32_e32 v12, s10
	s_xor_b64 exec, exec, s[6:7]
	s_cbranch_execnz .LBB46_3904
.LBB46_1854:
	s_or_b64 exec, exec, s[6:7]
	s_and_saveexec_b64 s[6:7], s[4:5]
	s_cbranch_execz .LBB46_1856
.LBB46_1855:
	v_bfe_u32 v12, v9, 24, 3
	v_ffbh_u32_e32 v20, v12
	v_min_u32_e32 v20, 32, v20
	v_lshrrev_b32_e32 v18, 27, v9
	v_subrev_u32_e32 v21, 28, v20
	v_and_b32_e32 v13, 0x80000000, v9
	v_and_b32_e32 v18, 15, v18
	v_bfe_u32 v19, v9, 27, 4
	v_lshlrev_b32_sdwa v9, v21, v9 dst_sel:DWORD dst_unused:UNUSED_PAD src0_sel:DWORD src1_sel:BYTE_3
	v_sub_u32_e32 v20, 29, v20
	v_and_b32_e32 v9, 7, v9
	v_cmp_eq_u16_e32 vcc, 0, v18
	v_cndmask_b32_e32 v9, v12, v9, vcc
	v_cndmask_b32_e32 v12, v19, v20, vcc
	v_mov_b32_e32 v18, 0x3b800000
	v_lshlrev_b32_e32 v9, 20, v9
	v_lshl_add_u32 v12, v12, 23, v18
	v_or3_b32 v12, v13, v12, v9
.LBB46_1856:
	s_or_b64 exec, exec, s[6:7]
	s_nop 0
	v_mfma_f32_16x16x4f32 a[0:3], v8, v12, a[0:3]
	s_movk_i32 s4, 0x7f
	v_cmp_gt_i16_sdwa s[6:7], v14, s4 src0_sel:BYTE_0 src1_sel:DWORD
	s_mov_b64 s[4:5], 0
                                        ; implicit-def: $sgpr10
	s_and_saveexec_b64 s[8:9], s[6:7]
	s_xor_b64 s[6:7], exec, s[8:9]
	s_cbranch_execnz .LBB46_3905
; %bb.1857:
	s_or_saveexec_b64 s[6:7], s[6:7]
	v_mov_b32_e32 v8, s10
	s_xor_b64 exec, exec, s[6:7]
	s_cbranch_execnz .LBB46_3908
.LBB46_1858:
	s_or_b64 exec, exec, s[6:7]
	s_and_saveexec_b64 s[6:7], s[4:5]
	s_cbranch_execz .LBB46_1860
.LBB46_1859:
	v_and_b32_e32 v8, 7, v14
	v_ffbh_u32_e32 v12, v8
	v_min_u32_e32 v12, 32, v12
	v_lshrrev_b16_e32 v9, 3, v14
	v_subrev_u32_e32 v13, 28, v12
	v_and_b32_e32 v9, 15, v9
	v_lshlrev_b32_e32 v13, v13, v14
	v_sub_u32_e32 v12, 29, v12
	v_and_b32_e32 v13, 7, v13
	v_cmp_eq_u16_e32 vcc, 0, v9
	v_cndmask_b32_e32 v8, v8, v13, vcc
	v_cndmask_b32_e32 v9, v9, v12, vcc
	v_lshlrev_b32_e32 v12, 24, v14
	v_mov_b32_e32 v13, 0x3b800000
	v_lshlrev_b32_e32 v8, 20, v8
	v_and_b32_e32 v12, 0x80000000, v12
	v_lshl_add_u32 v9, v9, 23, v13
	v_or3_b32 v8, v12, v9, v8
.LBB46_1860:
	s_or_b64 exec, exec, s[6:7]
	s_movk_i32 s4, 0x7f
	v_cmp_gt_i16_sdwa s[6:7], v10, s4 src0_sel:BYTE_0 src1_sel:DWORD
	s_mov_b64 s[4:5], 0
                                        ; implicit-def: $sgpr10
	s_and_saveexec_b64 s[8:9], s[6:7]
	s_xor_b64 s[6:7], exec, s[8:9]
	s_cbranch_execnz .LBB46_3909
; %bb.1861:
	s_or_saveexec_b64 s[6:7], s[6:7]
	v_mov_b32_e32 v9, s10
	s_xor_b64 exec, exec, s[6:7]
	s_cbranch_execnz .LBB46_3912
.LBB46_1862:
	s_or_b64 exec, exec, s[6:7]
	s_and_saveexec_b64 s[6:7], s[4:5]
	s_cbranch_execz .LBB46_1864
.LBB46_1863:
	v_and_b32_e32 v9, 7, v10
	v_ffbh_u32_e32 v13, v9
	v_min_u32_e32 v13, 32, v13
	v_lshrrev_b16_e32 v12, 3, v10
	v_subrev_u32_e32 v18, 28, v13
	v_and_b32_e32 v12, 15, v12
	v_lshlrev_b32_e32 v18, v18, v10
	v_sub_u32_e32 v13, 29, v13
	v_and_b32_e32 v18, 7, v18
	v_cmp_eq_u16_e32 vcc, 0, v12
	v_cndmask_b32_e32 v9, v9, v18, vcc
	v_cndmask_b32_e32 v12, v12, v13, vcc
	v_lshlrev_b32_e32 v13, 24, v10
	v_mov_b32_e32 v18, 0x3b800000
	v_lshlrev_b32_e32 v9, 20, v9
	v_and_b32_e32 v13, 0x80000000, v13
	v_lshl_add_u32 v12, v12, 23, v18
	v_or3_b32 v9, v13, v12, v9
.LBB46_1864:
	s_or_b64 exec, exec, s[6:7]
	s_nop 0
	v_mfma_f32_16x16x4f32 a[0:3], v8, v9, a[0:3]
	v_lshrrev_b32_e32 v9, 8, v14
	s_movk_i32 s4, 0x7f
	v_cmp_gt_i16_sdwa s[6:7], v9, s4 src0_sel:BYTE_0 src1_sel:DWORD
	s_mov_b64 s[4:5], 0
                                        ; implicit-def: $sgpr10
	s_and_saveexec_b64 s[8:9], s[6:7]
	s_xor_b64 s[6:7], exec, s[8:9]
	s_cbranch_execnz .LBB46_3913
; %bb.1865:
	s_or_saveexec_b64 s[6:7], s[6:7]
	v_mov_b32_e32 v8, s10
	s_xor_b64 exec, exec, s[6:7]
	s_cbranch_execnz .LBB46_3916
.LBB46_1866:
	s_or_b64 exec, exec, s[6:7]
	s_and_saveexec_b64 s[6:7], s[4:5]
	s_cbranch_execz .LBB46_1868
.LBB46_1867:
	v_bfe_u32 v8, v14, 8, 3
	v_ffbh_u32_e32 v13, v8
	v_min_u32_e32 v13, 32, v13
	v_lshrrev_b16_e32 v12, 3, v9
	v_subrev_u32_e32 v18, 28, v13
	v_and_b32_e32 v12, 15, v12
	v_lshlrev_b32_e32 v9, v18, v9
	v_sub_u32_e32 v13, 29, v13
	v_and_b32_e32 v9, 7, v9
	v_cmp_eq_u16_e32 vcc, 0, v12
	v_cndmask_b32_e32 v8, v8, v9, vcc
	v_cndmask_b32_e32 v9, v12, v13, vcc
	v_lshlrev_b32_e32 v12, 16, v14
	v_mov_b32_e32 v13, 0x3b800000
	v_lshlrev_b32_e32 v8, 20, v8
	v_and_b32_e32 v12, 0x80000000, v12
	v_lshl_add_u32 v9, v9, 23, v13
	v_or3_b32 v8, v12, v9, v8
.LBB46_1868:
	s_or_b64 exec, exec, s[6:7]
	v_lshrrev_b32_e32 v9, 8, v10
	s_movk_i32 s4, 0x7f
	v_cmp_gt_i16_sdwa s[6:7], v9, s4 src0_sel:BYTE_0 src1_sel:DWORD
	s_mov_b64 s[4:5], 0
                                        ; implicit-def: $sgpr10
	s_and_saveexec_b64 s[8:9], s[6:7]
	s_xor_b64 s[6:7], exec, s[8:9]
	s_cbranch_execnz .LBB46_3917
; %bb.1869:
	s_or_saveexec_b64 s[6:7], s[6:7]
	v_mov_b32_e32 v12, s10
	s_xor_b64 exec, exec, s[6:7]
	s_cbranch_execnz .LBB46_3920
.LBB46_1870:
	s_or_b64 exec, exec, s[6:7]
	s_and_saveexec_b64 s[6:7], s[4:5]
	s_cbranch_execz .LBB46_1872
.LBB46_1871:
	v_bfe_u32 v12, v10, 8, 3
	v_ffbh_u32_e32 v18, v12
	v_min_u32_e32 v18, 32, v18
	v_lshrrev_b16_e32 v13, 3, v9
	v_subrev_u32_e32 v19, 28, v18
	v_and_b32_e32 v13, 15, v13
	v_lshlrev_b32_e32 v9, v19, v9
	v_sub_u32_e32 v18, 29, v18
	v_and_b32_e32 v9, 7, v9
	v_cmp_eq_u16_e32 vcc, 0, v13
	v_cndmask_b32_e32 v9, v12, v9, vcc
	v_cndmask_b32_e32 v12, v13, v18, vcc
	v_lshlrev_b32_e32 v13, 16, v10
	v_mov_b32_e32 v18, 0x3b800000
	v_lshlrev_b32_e32 v9, 20, v9
	v_and_b32_e32 v13, 0x80000000, v13
	v_lshl_add_u32 v12, v12, 23, v18
	v_or3_b32 v12, v13, v12, v9
.LBB46_1872:
	s_or_b64 exec, exec, s[6:7]
	s_nop 0
	v_mfma_f32_16x16x4f32 a[0:3], v8, v12, a[0:3]
	s_movk_i32 s4, 0xff
	v_and_b32_sdwa v9, v14, s4 dst_sel:DWORD dst_unused:UNUSED_PAD src0_sel:WORD_1 src1_sel:DWORD
	s_movk_i32 s4, 0x7f
	v_cmp_lt_i16_e32 vcc, s4, v9
	s_mov_b64 s[4:5], 0
                                        ; implicit-def: $sgpr10
	s_and_saveexec_b64 s[6:7], vcc
	s_xor_b64 s[6:7], exec, s[6:7]
	s_cbranch_execnz .LBB46_3921
; %bb.1873:
	s_or_saveexec_b64 s[6:7], s[6:7]
	v_mov_b32_e32 v8, s10
	s_xor_b64 exec, exec, s[6:7]
	s_cbranch_execnz .LBB46_3924
.LBB46_1874:
	s_or_b64 exec, exec, s[6:7]
	s_and_saveexec_b64 s[6:7], s[4:5]
	s_cbranch_execz .LBB46_1876
.LBB46_1875:
	v_bfe_u32 v8, v14, 16, 3
	v_ffbh_u32_e32 v13, v8
	v_min_u32_e32 v13, 32, v13
	v_lshrrev_b32_e32 v9, 19, v14
	v_subrev_u32_e32 v18, 28, v13
	v_and_b32_e32 v9, 15, v9
	v_lshlrev_b32_sdwa v18, v18, v14 dst_sel:DWORD dst_unused:UNUSED_PAD src0_sel:DWORD src1_sel:WORD_1
	v_bfe_u32 v12, v14, 19, 4
	v_sub_u32_e32 v13, 29, v13
	v_and_b32_e32 v18, 7, v18
	v_cmp_eq_u16_e32 vcc, 0, v9
	v_cndmask_b32_e32 v8, v8, v18, vcc
	v_cndmask_b32_e32 v9, v12, v13, vcc
	v_lshlrev_b32_e32 v12, 8, v14
	v_mov_b32_e32 v13, 0x3b800000
	v_lshlrev_b32_e32 v8, 20, v8
	v_and_b32_e32 v12, 0x80000000, v12
	v_lshl_add_u32 v9, v9, 23, v13
	v_or3_b32 v8, v12, v9, v8
.LBB46_1876:
	s_or_b64 exec, exec, s[6:7]
	s_movk_i32 s4, 0xff
	v_and_b32_sdwa v9, v10, s4 dst_sel:DWORD dst_unused:UNUSED_PAD src0_sel:WORD_1 src1_sel:DWORD
	s_movk_i32 s4, 0x7f
	v_cmp_lt_i16_e32 vcc, s4, v9
	s_mov_b64 s[4:5], 0
                                        ; implicit-def: $sgpr10
	s_and_saveexec_b64 s[6:7], vcc
	s_xor_b64 s[6:7], exec, s[6:7]
	s_cbranch_execnz .LBB46_3925
; %bb.1877:
	s_or_saveexec_b64 s[6:7], s[6:7]
	v_mov_b32_e32 v12, s10
	s_xor_b64 exec, exec, s[6:7]
	s_cbranch_execnz .LBB46_3928
.LBB46_1878:
	s_or_b64 exec, exec, s[6:7]
	s_and_saveexec_b64 s[6:7], s[4:5]
	s_cbranch_execz .LBB46_1880
.LBB46_1879:
	v_bfe_u32 v9, v10, 16, 3
	v_ffbh_u32_e32 v18, v9
	v_min_u32_e32 v18, 32, v18
	v_lshrrev_b32_e32 v12, 19, v10
	v_subrev_u32_e32 v19, 28, v18
	v_and_b32_e32 v12, 15, v12
	v_lshlrev_b32_sdwa v19, v19, v10 dst_sel:DWORD dst_unused:UNUSED_PAD src0_sel:DWORD src1_sel:WORD_1
	v_bfe_u32 v13, v10, 19, 4
	v_sub_u32_e32 v18, 29, v18
	v_and_b32_e32 v19, 7, v19
	v_cmp_eq_u16_e32 vcc, 0, v12
	v_cndmask_b32_e32 v9, v9, v19, vcc
	v_cndmask_b32_e32 v12, v13, v18, vcc
	v_lshlrev_b32_e32 v13, 8, v10
	v_mov_b32_e32 v18, 0x3b800000
	v_lshlrev_b32_e32 v9, 20, v9
	v_and_b32_e32 v13, 0x80000000, v13
	v_lshl_add_u32 v12, v12, 23, v18
	v_or3_b32 v12, v13, v12, v9
.LBB46_1880:
	s_or_b64 exec, exec, s[6:7]
	s_nop 0
	v_mfma_f32_16x16x4f32 a[0:3], v8, v12, a[0:3]
	s_movk_i32 s4, 0x7f
	v_cmp_gt_i16_sdwa s[6:7], v14, s4 src0_sel:BYTE_3 src1_sel:DWORD
	s_mov_b64 s[4:5], 0
                                        ; implicit-def: $sgpr10
	s_and_saveexec_b64 s[8:9], s[6:7]
	s_xor_b64 s[6:7], exec, s[8:9]
	s_cbranch_execnz .LBB46_3929
; %bb.1881:
	s_or_saveexec_b64 s[6:7], s[6:7]
	v_mov_b32_e32 v8, s10
	s_xor_b64 exec, exec, s[6:7]
	s_cbranch_execnz .LBB46_3932
.LBB46_1882:
	s_or_b64 exec, exec, s[6:7]
	s_and_saveexec_b64 s[6:7], s[4:5]
	s_cbranch_execz .LBB46_1884
.LBB46_1883:
	v_bfe_u32 v8, v14, 24, 3
	v_ffbh_u32_e32 v18, v8
	v_min_u32_e32 v18, 32, v18
	v_lshrrev_b32_e32 v12, 27, v14
	v_subrev_u32_e32 v19, 28, v18
	v_and_b32_e32 v9, 0x80000000, v14
	v_and_b32_e32 v12, 15, v12
	v_bfe_u32 v13, v14, 27, 4
	v_lshlrev_b32_sdwa v14, v19, v14 dst_sel:DWORD dst_unused:UNUSED_PAD src0_sel:DWORD src1_sel:BYTE_3
	v_sub_u32_e32 v18, 29, v18
	v_and_b32_e32 v14, 7, v14
	v_cmp_eq_u16_e32 vcc, 0, v12
	v_cndmask_b32_e32 v8, v8, v14, vcc
	v_cndmask_b32_e32 v12, v13, v18, vcc
	v_mov_b32_e32 v13, 0x3b800000
	v_lshlrev_b32_e32 v8, 20, v8
	v_lshl_add_u32 v12, v12, 23, v13
	v_or3_b32 v8, v9, v12, v8
.LBB46_1884:
	s_or_b64 exec, exec, s[6:7]
	s_movk_i32 s4, 0x7f
	v_cmp_gt_i16_sdwa s[6:7], v10, s4 src0_sel:BYTE_3 src1_sel:DWORD
	s_mov_b64 s[4:5], 0
                                        ; implicit-def: $sgpr10
	s_and_saveexec_b64 s[8:9], s[6:7]
	s_xor_b64 s[6:7], exec, s[8:9]
	s_cbranch_execnz .LBB46_3933
; %bb.1885:
	s_or_saveexec_b64 s[6:7], s[6:7]
	v_mov_b32_e32 v9, s10
	s_xor_b64 exec, exec, s[6:7]
	s_cbranch_execnz .LBB46_3936
.LBB46_1886:
	s_or_b64 exec, exec, s[6:7]
	s_and_saveexec_b64 s[6:7], s[4:5]
	s_cbranch_execz .LBB46_1888
.LBB46_1887:
	v_bfe_u32 v9, v10, 24, 3
	v_ffbh_u32_e32 v18, v9
	v_min_u32_e32 v18, 32, v18
	v_lshrrev_b32_e32 v13, 27, v10
	v_subrev_u32_e32 v19, 28, v18
	v_and_b32_e32 v12, 0x80000000, v10
	v_and_b32_e32 v13, 15, v13
	v_bfe_u32 v14, v10, 27, 4
	v_lshlrev_b32_sdwa v10, v19, v10 dst_sel:DWORD dst_unused:UNUSED_PAD src0_sel:DWORD src1_sel:BYTE_3
	v_sub_u32_e32 v18, 29, v18
	v_and_b32_e32 v10, 7, v10
	v_cmp_eq_u16_e32 vcc, 0, v13
	v_cndmask_b32_e32 v9, v9, v10, vcc
	v_cndmask_b32_e32 v10, v14, v18, vcc
	v_mov_b32_e32 v13, 0x3b800000
	v_lshlrev_b32_e32 v9, 20, v9
	v_lshl_add_u32 v10, v10, 23, v13
	v_or3_b32 v9, v12, v10, v9
.LBB46_1888:
	s_or_b64 exec, exec, s[6:7]
	s_nop 0
	v_mfma_f32_16x16x4f32 a[0:3], v8, v9, a[0:3]
	s_movk_i32 s4, 0x7f
	v_cmp_gt_i16_sdwa s[6:7], v15, s4 src0_sel:BYTE_0 src1_sel:DWORD
	s_mov_b64 s[4:5], 0
                                        ; implicit-def: $sgpr10
	s_and_saveexec_b64 s[8:9], s[6:7]
	s_xor_b64 s[6:7], exec, s[8:9]
	s_cbranch_execnz .LBB46_3937
; %bb.1889:
	s_or_saveexec_b64 s[6:7], s[6:7]
	v_mov_b32_e32 v8, s10
	s_xor_b64 exec, exec, s[6:7]
	s_cbranch_execnz .LBB46_3940
.LBB46_1890:
	s_or_b64 exec, exec, s[6:7]
	s_and_saveexec_b64 s[6:7], s[4:5]
	s_cbranch_execz .LBB46_1892
.LBB46_1891:
	v_and_b32_e32 v8, 7, v15
	v_ffbh_u32_e32 v10, v8
	v_min_u32_e32 v10, 32, v10
	v_lshrrev_b16_e32 v9, 3, v15
	v_subrev_u32_e32 v12, 28, v10
	v_and_b32_e32 v9, 15, v9
	v_lshlrev_b32_e32 v12, v12, v15
	v_sub_u32_e32 v10, 29, v10
	v_and_b32_e32 v12, 7, v12
	v_cmp_eq_u16_e32 vcc, 0, v9
	v_cndmask_b32_e32 v8, v8, v12, vcc
	v_cndmask_b32_e32 v9, v9, v10, vcc
	v_lshlrev_b32_e32 v10, 24, v15
	v_mov_b32_e32 v12, 0x3b800000
	v_lshlrev_b32_e32 v8, 20, v8
	v_and_b32_e32 v10, 0x80000000, v10
	v_lshl_add_u32 v9, v9, 23, v12
	v_or3_b32 v8, v10, v9, v8
.LBB46_1892:
	s_or_b64 exec, exec, s[6:7]
	s_movk_i32 s4, 0x7f
	v_cmp_gt_i16_sdwa s[6:7], v11, s4 src0_sel:BYTE_0 src1_sel:DWORD
	s_mov_b64 s[4:5], 0
                                        ; implicit-def: $sgpr10
	s_and_saveexec_b64 s[8:9], s[6:7]
	s_xor_b64 s[6:7], exec, s[8:9]
	s_cbranch_execnz .LBB46_3941
; %bb.1893:
	s_or_saveexec_b64 s[6:7], s[6:7]
	v_mov_b32_e32 v9, s10
	s_xor_b64 exec, exec, s[6:7]
	s_cbranch_execnz .LBB46_3944
.LBB46_1894:
	s_or_b64 exec, exec, s[6:7]
	s_and_saveexec_b64 s[6:7], s[4:5]
	s_cbranch_execz .LBB46_1896
.LBB46_1895:
	v_and_b32_e32 v9, 7, v11
	v_ffbh_u32_e32 v12, v9
	v_min_u32_e32 v12, 32, v12
	v_lshrrev_b16_e32 v10, 3, v11
	v_subrev_u32_e32 v13, 28, v12
	v_and_b32_e32 v10, 15, v10
	v_lshlrev_b32_e32 v13, v13, v11
	v_sub_u32_e32 v12, 29, v12
	v_and_b32_e32 v13, 7, v13
	v_cmp_eq_u16_e32 vcc, 0, v10
	v_cndmask_b32_e32 v9, v9, v13, vcc
	v_cndmask_b32_e32 v10, v10, v12, vcc
	v_lshlrev_b32_e32 v12, 24, v11
	v_mov_b32_e32 v13, 0x3b800000
	v_lshlrev_b32_e32 v9, 20, v9
	v_and_b32_e32 v12, 0x80000000, v12
	v_lshl_add_u32 v10, v10, 23, v13
	v_or3_b32 v9, v12, v10, v9
.LBB46_1896:
	s_or_b64 exec, exec, s[6:7]
	s_nop 0
	v_mfma_f32_16x16x4f32 a[0:3], v8, v9, a[0:3]
	v_lshrrev_b32_e32 v9, 8, v15
	s_movk_i32 s4, 0x7f
	v_cmp_gt_i16_sdwa s[6:7], v9, s4 src0_sel:BYTE_0 src1_sel:DWORD
	s_mov_b64 s[4:5], 0
                                        ; implicit-def: $sgpr10
	s_and_saveexec_b64 s[8:9], s[6:7]
	s_xor_b64 s[6:7], exec, s[8:9]
	s_cbranch_execnz .LBB46_3945
; %bb.1897:
	s_or_saveexec_b64 s[6:7], s[6:7]
	v_mov_b32_e32 v8, s10
	s_xor_b64 exec, exec, s[6:7]
	s_cbranch_execnz .LBB46_3948
.LBB46_1898:
	s_or_b64 exec, exec, s[6:7]
	s_and_saveexec_b64 s[6:7], s[4:5]
	s_cbranch_execz .LBB46_1900
.LBB46_1899:
	v_bfe_u32 v8, v15, 8, 3
	v_ffbh_u32_e32 v12, v8
	v_min_u32_e32 v12, 32, v12
	v_lshrrev_b16_e32 v10, 3, v9
	v_subrev_u32_e32 v13, 28, v12
	v_and_b32_e32 v10, 15, v10
	v_lshlrev_b32_e32 v9, v13, v9
	v_sub_u32_e32 v12, 29, v12
	v_and_b32_e32 v9, 7, v9
	v_cmp_eq_u16_e32 vcc, 0, v10
	v_cndmask_b32_e32 v8, v8, v9, vcc
	v_cndmask_b32_e32 v9, v10, v12, vcc
	v_lshlrev_b32_e32 v10, 16, v15
	v_mov_b32_e32 v12, 0x3b800000
	v_lshlrev_b32_e32 v8, 20, v8
	v_and_b32_e32 v10, 0x80000000, v10
	v_lshl_add_u32 v9, v9, 23, v12
	v_or3_b32 v8, v10, v9, v8
.LBB46_1900:
	s_or_b64 exec, exec, s[6:7]
	v_lshrrev_b32_e32 v9, 8, v11
	s_movk_i32 s4, 0x7f
	v_cmp_gt_i16_sdwa s[6:7], v9, s4 src0_sel:BYTE_0 src1_sel:DWORD
	s_mov_b64 s[4:5], 0
                                        ; implicit-def: $sgpr10
	s_and_saveexec_b64 s[8:9], s[6:7]
	s_xor_b64 s[6:7], exec, s[8:9]
	s_cbranch_execnz .LBB46_3949
; %bb.1901:
	s_or_saveexec_b64 s[6:7], s[6:7]
	v_mov_b32_e32 v10, s10
	s_xor_b64 exec, exec, s[6:7]
	s_cbranch_execnz .LBB46_3952
.LBB46_1902:
	s_or_b64 exec, exec, s[6:7]
	s_and_saveexec_b64 s[6:7], s[4:5]
	s_cbranch_execz .LBB46_1904
.LBB46_1903:
	v_bfe_u32 v10, v11, 8, 3
	v_ffbh_u32_e32 v13, v10
	v_min_u32_e32 v13, 32, v13
	v_lshrrev_b16_e32 v12, 3, v9
	v_subrev_u32_e32 v14, 28, v13
	v_and_b32_e32 v12, 15, v12
	v_lshlrev_b32_e32 v9, v14, v9
	v_sub_u32_e32 v13, 29, v13
	v_and_b32_e32 v9, 7, v9
	v_cmp_eq_u16_e32 vcc, 0, v12
	v_cndmask_b32_e32 v9, v10, v9, vcc
	v_cndmask_b32_e32 v10, v12, v13, vcc
	v_lshlrev_b32_e32 v12, 16, v11
	v_mov_b32_e32 v13, 0x3b800000
	v_lshlrev_b32_e32 v9, 20, v9
	v_and_b32_e32 v12, 0x80000000, v12
	v_lshl_add_u32 v10, v10, 23, v13
	v_or3_b32 v10, v12, v10, v9
.LBB46_1904:
	s_or_b64 exec, exec, s[6:7]
	s_nop 0
	v_mfma_f32_16x16x4f32 a[0:3], v8, v10, a[0:3]
	s_movk_i32 s4, 0xff
	v_and_b32_sdwa v9, v15, s4 dst_sel:DWORD dst_unused:UNUSED_PAD src0_sel:WORD_1 src1_sel:DWORD
	s_movk_i32 s4, 0x7f
	v_cmp_lt_i16_e32 vcc, s4, v9
	s_mov_b64 s[4:5], 0
                                        ; implicit-def: $sgpr10
	s_and_saveexec_b64 s[6:7], vcc
	s_xor_b64 s[6:7], exec, s[6:7]
	s_cbranch_execnz .LBB46_3953
; %bb.1905:
	s_or_saveexec_b64 s[6:7], s[6:7]
	v_mov_b32_e32 v8, s10
	s_xor_b64 exec, exec, s[6:7]
	s_cbranch_execnz .LBB46_3956
.LBB46_1906:
	s_or_b64 exec, exec, s[6:7]
	s_and_saveexec_b64 s[6:7], s[4:5]
	s_cbranch_execz .LBB46_1908
.LBB46_1907:
	v_bfe_u32 v8, v15, 16, 3
	v_ffbh_u32_e32 v12, v8
	v_min_u32_e32 v12, 32, v12
	v_lshrrev_b32_e32 v9, 19, v15
	v_subrev_u32_e32 v13, 28, v12
	v_and_b32_e32 v9, 15, v9
	v_lshlrev_b32_sdwa v13, v13, v15 dst_sel:DWORD dst_unused:UNUSED_PAD src0_sel:DWORD src1_sel:WORD_1
	v_bfe_u32 v10, v15, 19, 4
	v_sub_u32_e32 v12, 29, v12
	v_and_b32_e32 v13, 7, v13
	v_cmp_eq_u16_e32 vcc, 0, v9
	v_cndmask_b32_e32 v8, v8, v13, vcc
	v_cndmask_b32_e32 v9, v10, v12, vcc
	v_lshlrev_b32_e32 v10, 8, v15
	v_mov_b32_e32 v12, 0x3b800000
	v_lshlrev_b32_e32 v8, 20, v8
	v_and_b32_e32 v10, 0x80000000, v10
	v_lshl_add_u32 v9, v9, 23, v12
	v_or3_b32 v8, v10, v9, v8
.LBB46_1908:
	s_or_b64 exec, exec, s[6:7]
	s_movk_i32 s4, 0xff
	v_and_b32_sdwa v9, v11, s4 dst_sel:DWORD dst_unused:UNUSED_PAD src0_sel:WORD_1 src1_sel:DWORD
	s_movk_i32 s4, 0x7f
	v_cmp_lt_i16_e32 vcc, s4, v9
	s_mov_b64 s[4:5], 0
                                        ; implicit-def: $sgpr10
	s_and_saveexec_b64 s[6:7], vcc
	s_xor_b64 s[6:7], exec, s[6:7]
	s_cbranch_execnz .LBB46_3957
; %bb.1909:
	s_or_saveexec_b64 s[6:7], s[6:7]
	v_mov_b32_e32 v10, s10
	s_xor_b64 exec, exec, s[6:7]
	s_cbranch_execnz .LBB46_3960
.LBB46_1910:
	s_or_b64 exec, exec, s[6:7]
	s_and_saveexec_b64 s[6:7], s[4:5]
	s_cbranch_execz .LBB46_1912
.LBB46_1911:
	v_bfe_u32 v9, v11, 16, 3
	v_ffbh_u32_e32 v13, v9
	v_min_u32_e32 v13, 32, v13
	v_lshrrev_b32_e32 v10, 19, v11
	v_subrev_u32_e32 v14, 28, v13
	v_and_b32_e32 v10, 15, v10
	v_lshlrev_b32_sdwa v14, v14, v11 dst_sel:DWORD dst_unused:UNUSED_PAD src0_sel:DWORD src1_sel:WORD_1
	v_bfe_u32 v12, v11, 19, 4
	v_sub_u32_e32 v13, 29, v13
	v_and_b32_e32 v14, 7, v14
	v_cmp_eq_u16_e32 vcc, 0, v10
	v_cndmask_b32_e32 v9, v9, v14, vcc
	v_cndmask_b32_e32 v10, v12, v13, vcc
	v_lshlrev_b32_e32 v12, 8, v11
	v_mov_b32_e32 v13, 0x3b800000
	v_lshlrev_b32_e32 v9, 20, v9
	v_and_b32_e32 v12, 0x80000000, v12
	v_lshl_add_u32 v10, v10, 23, v13
	v_or3_b32 v10, v12, v10, v9
.LBB46_1912:
	s_or_b64 exec, exec, s[6:7]
	s_nop 0
	v_mfma_f32_16x16x4f32 a[0:3], v8, v10, a[0:3]
	s_movk_i32 s4, 0x7f
	v_cmp_gt_i16_sdwa s[6:7], v15, s4 src0_sel:BYTE_3 src1_sel:DWORD
	s_mov_b64 s[4:5], 0
                                        ; implicit-def: $sgpr10
	s_and_saveexec_b64 s[8:9], s[6:7]
	s_xor_b64 s[6:7], exec, s[8:9]
	s_cbranch_execnz .LBB46_3961
; %bb.1913:
	s_or_saveexec_b64 s[6:7], s[6:7]
	v_mov_b32_e32 v8, s10
	s_xor_b64 exec, exec, s[6:7]
	s_cbranch_execnz .LBB46_3964
.LBB46_1914:
	s_or_b64 exec, exec, s[6:7]
	s_and_saveexec_b64 s[6:7], s[4:5]
	s_cbranch_execz .LBB46_1916
.LBB46_1915:
	v_bfe_u32 v8, v15, 24, 3
	v_ffbh_u32_e32 v13, v8
	v_min_u32_e32 v13, 32, v13
	v_lshrrev_b32_e32 v10, 27, v15
	v_subrev_u32_e32 v14, 28, v13
	v_and_b32_e32 v10, 15, v10
	v_lshlrev_b32_sdwa v14, v14, v15 dst_sel:DWORD dst_unused:UNUSED_PAD src0_sel:DWORD src1_sel:BYTE_3
	v_bfe_u32 v12, v15, 27, 4
	v_sub_u32_e32 v13, 29, v13
	v_and_b32_e32 v14, 7, v14
	v_cmp_eq_u16_e32 vcc, 0, v10
	v_cndmask_b32_e32 v8, v8, v14, vcc
	v_cndmask_b32_e32 v10, v12, v13, vcc
	v_mov_b32_e32 v12, 0x3b800000
	v_and_b32_e32 v9, 0x80000000, v15
	v_lshlrev_b32_e32 v8, 20, v8
	v_lshl_add_u32 v10, v10, 23, v12
	v_or3_b32 v8, v9, v10, v8
.LBB46_1916:
	s_or_b64 exec, exec, s[6:7]
	s_movk_i32 s4, 0x7f
	v_cmp_gt_i16_sdwa s[6:7], v11, s4 src0_sel:BYTE_3 src1_sel:DWORD
	s_mov_b64 s[4:5], 0
                                        ; implicit-def: $sgpr10
	s_and_saveexec_b64 s[8:9], s[6:7]
	s_xor_b64 s[6:7], exec, s[8:9]
	s_cbranch_execnz .LBB46_3965
; %bb.1917:
	s_or_saveexec_b64 s[6:7], s[6:7]
	v_mov_b32_e32 v9, s10
	s_xor_b64 exec, exec, s[6:7]
	s_cbranch_execnz .LBB46_3968
.LBB46_1918:
	s_or_b64 exec, exec, s[6:7]
	s_and_saveexec_b64 s[6:7], s[4:5]
	s_cbranch_execz .LBB46_1920
.LBB46_1919:
	v_bfe_u32 v9, v11, 24, 3
	v_ffbh_u32_e32 v14, v9
	v_min_u32_e32 v14, 32, v14
	v_lshrrev_b32_e32 v12, 27, v11
	v_subrev_u32_e32 v15, 28, v14
	v_and_b32_e32 v10, 0x80000000, v11
	v_and_b32_e32 v12, 15, v12
	v_bfe_u32 v13, v11, 27, 4
	v_lshlrev_b32_sdwa v11, v15, v11 dst_sel:DWORD dst_unused:UNUSED_PAD src0_sel:DWORD src1_sel:BYTE_3
	v_sub_u32_e32 v14, 29, v14
	v_and_b32_e32 v11, 7, v11
	v_cmp_eq_u16_e32 vcc, 0, v12
	v_cndmask_b32_e32 v9, v9, v11, vcc
	v_cndmask_b32_e32 v11, v13, v14, vcc
	v_mov_b32_e32 v12, 0x3b800000
	v_lshlrev_b32_e32 v9, 20, v9
	v_lshl_add_u32 v11, v11, 23, v12
	v_or3_b32 v9, v10, v11, v9
.LBB46_1920:
	s_or_b64 exec, exec, s[6:7]
	s_nop 0
	v_mfma_f32_16x16x4f32 a[0:3], v8, v9, a[0:3]
	s_movk_i32 s4, 0x7f
	v_cmp_gt_i16_sdwa s[6:7], v4, s4 src0_sel:BYTE_0 src1_sel:DWORD
	s_mov_b64 s[4:5], 0
                                        ; implicit-def: $sgpr10
	s_and_saveexec_b64 s[8:9], s[6:7]
	s_xor_b64 s[6:7], exec, s[8:9]
	s_cbranch_execnz .LBB46_3969
; %bb.1921:
	s_or_saveexec_b64 s[6:7], s[6:7]
	v_mov_b32_e32 v8, s10
	s_xor_b64 exec, exec, s[6:7]
	s_cbranch_execnz .LBB46_3972
.LBB46_1922:
	s_or_b64 exec, exec, s[6:7]
	s_and_saveexec_b64 s[6:7], s[4:5]
	s_cbranch_execz .LBB46_1924
.LBB46_1923:
	v_and_b32_e32 v8, 7, v4
	v_ffbh_u32_e32 v10, v8
	v_min_u32_e32 v10, 32, v10
	v_lshrrev_b16_e32 v9, 3, v4
	v_subrev_u32_e32 v11, 28, v10
	v_and_b32_e32 v9, 15, v9
	v_lshlrev_b32_e32 v11, v11, v4
	v_sub_u32_e32 v10, 29, v10
	v_and_b32_e32 v11, 7, v11
	v_cmp_eq_u16_e32 vcc, 0, v9
	v_cndmask_b32_e32 v8, v8, v11, vcc
	v_cndmask_b32_e32 v9, v9, v10, vcc
	v_lshlrev_b32_e32 v10, 24, v4
	v_mov_b32_e32 v11, 0x3b800000
	v_lshlrev_b32_e32 v8, 20, v8
	v_and_b32_e32 v10, 0x80000000, v10
	v_lshl_add_u32 v9, v9, 23, v11
	v_or3_b32 v8, v10, v9, v8
.LBB46_1924:
	s_or_b64 exec, exec, s[6:7]
	s_movk_i32 s4, 0x7f
	v_cmp_gt_i16_sdwa s[6:7], v0, s4 src0_sel:BYTE_0 src1_sel:DWORD
	s_mov_b64 s[4:5], 0
                                        ; implicit-def: $sgpr10
	s_and_saveexec_b64 s[8:9], s[6:7]
	s_xor_b64 s[6:7], exec, s[8:9]
	s_cbranch_execnz .LBB46_3973
; %bb.1925:
	s_or_saveexec_b64 s[6:7], s[6:7]
	v_mov_b32_e32 v9, s10
	s_xor_b64 exec, exec, s[6:7]
	s_cbranch_execnz .LBB46_3976
.LBB46_1926:
	s_or_b64 exec, exec, s[6:7]
	s_and_saveexec_b64 s[6:7], s[4:5]
	s_cbranch_execz .LBB46_1928
.LBB46_1927:
	v_and_b32_e32 v9, 7, v0
	v_ffbh_u32_e32 v11, v9
	v_min_u32_e32 v11, 32, v11
	v_lshrrev_b16_e32 v10, 3, v0
	v_subrev_u32_e32 v12, 28, v11
	v_and_b32_e32 v10, 15, v10
	v_lshlrev_b32_e32 v12, v12, v0
	v_sub_u32_e32 v11, 29, v11
	v_and_b32_e32 v12, 7, v12
	v_cmp_eq_u16_e32 vcc, 0, v10
	v_cndmask_b32_e32 v9, v9, v12, vcc
	v_cndmask_b32_e32 v10, v10, v11, vcc
	v_lshlrev_b32_e32 v11, 24, v0
	v_mov_b32_e32 v12, 0x3b800000
	v_lshlrev_b32_e32 v9, 20, v9
	v_and_b32_e32 v11, 0x80000000, v11
	v_lshl_add_u32 v10, v10, 23, v12
	v_or3_b32 v9, v11, v10, v9
.LBB46_1928:
	s_or_b64 exec, exec, s[6:7]
	s_nop 0
	v_mfma_f32_16x16x4f32 a[0:3], v8, v9, a[0:3]
	v_lshrrev_b32_e32 v9, 8, v4
	s_movk_i32 s4, 0x7f
	v_cmp_gt_i16_sdwa s[6:7], v9, s4 src0_sel:BYTE_0 src1_sel:DWORD
	s_mov_b64 s[4:5], 0
                                        ; implicit-def: $sgpr10
	s_and_saveexec_b64 s[8:9], s[6:7]
	s_xor_b64 s[6:7], exec, s[8:9]
	s_cbranch_execnz .LBB46_3977
; %bb.1929:
	s_or_saveexec_b64 s[6:7], s[6:7]
	v_mov_b32_e32 v8, s10
	s_xor_b64 exec, exec, s[6:7]
	s_cbranch_execnz .LBB46_3980
.LBB46_1930:
	s_or_b64 exec, exec, s[6:7]
	s_and_saveexec_b64 s[6:7], s[4:5]
	s_cbranch_execz .LBB46_1932
.LBB46_1931:
	v_bfe_u32 v8, v4, 8, 3
	v_ffbh_u32_e32 v11, v8
	v_min_u32_e32 v11, 32, v11
	v_lshrrev_b16_e32 v10, 3, v9
	v_subrev_u32_e32 v12, 28, v11
	v_and_b32_e32 v10, 15, v10
	v_lshlrev_b32_e32 v9, v12, v9
	v_sub_u32_e32 v11, 29, v11
	v_and_b32_e32 v9, 7, v9
	v_cmp_eq_u16_e32 vcc, 0, v10
	v_cndmask_b32_e32 v8, v8, v9, vcc
	v_cndmask_b32_e32 v9, v10, v11, vcc
	v_lshlrev_b32_e32 v10, 16, v4
	v_mov_b32_e32 v11, 0x3b800000
	v_lshlrev_b32_e32 v8, 20, v8
	v_and_b32_e32 v10, 0x80000000, v10
	v_lshl_add_u32 v9, v9, 23, v11
	v_or3_b32 v8, v10, v9, v8
.LBB46_1932:
	s_or_b64 exec, exec, s[6:7]
	v_lshrrev_b32_e32 v9, 8, v0
	s_movk_i32 s4, 0x7f
	v_cmp_gt_i16_sdwa s[6:7], v9, s4 src0_sel:BYTE_0 src1_sel:DWORD
	s_mov_b64 s[4:5], 0
                                        ; implicit-def: $sgpr10
	s_and_saveexec_b64 s[8:9], s[6:7]
	s_xor_b64 s[6:7], exec, s[8:9]
	s_cbranch_execnz .LBB46_3981
; %bb.1933:
	s_or_saveexec_b64 s[6:7], s[6:7]
	v_mov_b32_e32 v10, s10
	s_xor_b64 exec, exec, s[6:7]
	s_cbranch_execnz .LBB46_3984
.LBB46_1934:
	s_or_b64 exec, exec, s[6:7]
	s_and_saveexec_b64 s[6:7], s[4:5]
	s_cbranch_execz .LBB46_1936
.LBB46_1935:
	v_bfe_u32 v10, v0, 8, 3
	v_ffbh_u32_e32 v12, v10
	v_min_u32_e32 v12, 32, v12
	v_lshrrev_b16_e32 v11, 3, v9
	v_subrev_u32_e32 v13, 28, v12
	v_and_b32_e32 v11, 15, v11
	v_lshlrev_b32_e32 v9, v13, v9
	v_sub_u32_e32 v12, 29, v12
	v_and_b32_e32 v9, 7, v9
	v_cmp_eq_u16_e32 vcc, 0, v11
	v_cndmask_b32_e32 v9, v10, v9, vcc
	v_cndmask_b32_e32 v10, v11, v12, vcc
	v_lshlrev_b32_e32 v11, 16, v0
	v_mov_b32_e32 v12, 0x3b800000
	v_lshlrev_b32_e32 v9, 20, v9
	v_and_b32_e32 v11, 0x80000000, v11
	v_lshl_add_u32 v10, v10, 23, v12
	v_or3_b32 v10, v11, v10, v9
.LBB46_1936:
	s_or_b64 exec, exec, s[6:7]
	s_nop 0
	v_mfma_f32_16x16x4f32 a[0:3], v8, v10, a[0:3]
	s_movk_i32 s4, 0xff
	v_and_b32_sdwa v9, v4, s4 dst_sel:DWORD dst_unused:UNUSED_PAD src0_sel:WORD_1 src1_sel:DWORD
	s_movk_i32 s4, 0x7f
	v_cmp_lt_i16_e32 vcc, s4, v9
	s_mov_b64 s[4:5], 0
                                        ; implicit-def: $sgpr10
	s_and_saveexec_b64 s[6:7], vcc
	s_xor_b64 s[6:7], exec, s[6:7]
	s_cbranch_execnz .LBB46_3985
; %bb.1937:
	s_or_saveexec_b64 s[6:7], s[6:7]
	v_mov_b32_e32 v8, s10
	s_xor_b64 exec, exec, s[6:7]
	s_cbranch_execnz .LBB46_3988
.LBB46_1938:
	s_or_b64 exec, exec, s[6:7]
	s_and_saveexec_b64 s[6:7], s[4:5]
	s_cbranch_execz .LBB46_1940
.LBB46_1939:
	v_bfe_u32 v8, v4, 16, 3
	v_ffbh_u32_e32 v11, v8
	v_min_u32_e32 v11, 32, v11
	v_lshrrev_b32_e32 v9, 19, v4
	v_subrev_u32_e32 v12, 28, v11
	v_and_b32_e32 v9, 15, v9
	v_lshlrev_b32_sdwa v12, v12, v4 dst_sel:DWORD dst_unused:UNUSED_PAD src0_sel:DWORD src1_sel:WORD_1
	v_bfe_u32 v10, v4, 19, 4
	v_sub_u32_e32 v11, 29, v11
	v_and_b32_e32 v12, 7, v12
	v_cmp_eq_u16_e32 vcc, 0, v9
	v_cndmask_b32_e32 v8, v8, v12, vcc
	v_cndmask_b32_e32 v9, v10, v11, vcc
	v_lshlrev_b32_e32 v10, 8, v4
	v_mov_b32_e32 v11, 0x3b800000
	v_lshlrev_b32_e32 v8, 20, v8
	v_and_b32_e32 v10, 0x80000000, v10
	v_lshl_add_u32 v9, v9, 23, v11
	v_or3_b32 v8, v10, v9, v8
.LBB46_1940:
	s_or_b64 exec, exec, s[6:7]
	s_movk_i32 s4, 0xff
	v_and_b32_sdwa v9, v0, s4 dst_sel:DWORD dst_unused:UNUSED_PAD src0_sel:WORD_1 src1_sel:DWORD
	s_movk_i32 s4, 0x7f
	v_cmp_lt_i16_e32 vcc, s4, v9
	s_mov_b64 s[4:5], 0
                                        ; implicit-def: $sgpr10
	s_and_saveexec_b64 s[6:7], vcc
	s_xor_b64 s[6:7], exec, s[6:7]
	s_cbranch_execnz .LBB46_3989
; %bb.1941:
	s_or_saveexec_b64 s[6:7], s[6:7]
	v_mov_b32_e32 v10, s10
	s_xor_b64 exec, exec, s[6:7]
	s_cbranch_execnz .LBB46_3992
.LBB46_1942:
	s_or_b64 exec, exec, s[6:7]
	s_and_saveexec_b64 s[6:7], s[4:5]
	s_cbranch_execz .LBB46_1944
.LBB46_1943:
	v_bfe_u32 v9, v0, 16, 3
	v_ffbh_u32_e32 v12, v9
	v_min_u32_e32 v12, 32, v12
	v_lshrrev_b32_e32 v10, 19, v0
	v_subrev_u32_e32 v13, 28, v12
	v_and_b32_e32 v10, 15, v10
	v_lshlrev_b32_sdwa v13, v13, v0 dst_sel:DWORD dst_unused:UNUSED_PAD src0_sel:DWORD src1_sel:WORD_1
	v_bfe_u32 v11, v0, 19, 4
	v_sub_u32_e32 v12, 29, v12
	v_and_b32_e32 v13, 7, v13
	v_cmp_eq_u16_e32 vcc, 0, v10
	v_cndmask_b32_e32 v9, v9, v13, vcc
	v_cndmask_b32_e32 v10, v11, v12, vcc
	v_lshlrev_b32_e32 v11, 8, v0
	v_mov_b32_e32 v12, 0x3b800000
	v_lshlrev_b32_e32 v9, 20, v9
	v_and_b32_e32 v11, 0x80000000, v11
	v_lshl_add_u32 v10, v10, 23, v12
	v_or3_b32 v10, v11, v10, v9
.LBB46_1944:
	s_or_b64 exec, exec, s[6:7]
	s_nop 0
	v_mfma_f32_16x16x4f32 a[0:3], v8, v10, a[0:3]
	s_movk_i32 s4, 0x7f
	v_cmp_gt_i16_sdwa s[6:7], v4, s4 src0_sel:BYTE_3 src1_sel:DWORD
	s_mov_b64 s[4:5], 0
                                        ; implicit-def: $sgpr10
	s_and_saveexec_b64 s[8:9], s[6:7]
	s_xor_b64 s[6:7], exec, s[8:9]
	s_cbranch_execnz .LBB46_3993
; %bb.1945:
	s_or_saveexec_b64 s[6:7], s[6:7]
	v_mov_b32_e32 v8, s10
	s_xor_b64 exec, exec, s[6:7]
	s_cbranch_execnz .LBB46_3996
.LBB46_1946:
	s_or_b64 exec, exec, s[6:7]
	s_and_saveexec_b64 s[6:7], s[4:5]
	s_cbranch_execz .LBB46_1948
.LBB46_1947:
	v_bfe_u32 v8, v4, 24, 3
	v_ffbh_u32_e32 v12, v8
	v_min_u32_e32 v12, 32, v12
	v_lshrrev_b32_e32 v10, 27, v4
	v_subrev_u32_e32 v13, 28, v12
	v_and_b32_e32 v9, 0x80000000, v4
	v_and_b32_e32 v10, 15, v10
	v_bfe_u32 v11, v4, 27, 4
	v_lshlrev_b32_sdwa v4, v13, v4 dst_sel:DWORD dst_unused:UNUSED_PAD src0_sel:DWORD src1_sel:BYTE_3
	v_sub_u32_e32 v12, 29, v12
	v_and_b32_e32 v4, 7, v4
	v_cmp_eq_u16_e32 vcc, 0, v10
	v_cndmask_b32_e32 v4, v8, v4, vcc
	v_cndmask_b32_e32 v8, v11, v12, vcc
	v_mov_b32_e32 v10, 0x3b800000
	v_lshlrev_b32_e32 v4, 20, v4
	v_lshl_add_u32 v8, v8, 23, v10
	v_or3_b32 v8, v9, v8, v4
.LBB46_1948:
	s_or_b64 exec, exec, s[6:7]
	s_movk_i32 s4, 0x7f
	v_cmp_gt_i16_sdwa s[6:7], v0, s4 src0_sel:BYTE_3 src1_sel:DWORD
	s_mov_b64 s[4:5], 0
                                        ; implicit-def: $sgpr10
	s_and_saveexec_b64 s[8:9], s[6:7]
	s_xor_b64 s[6:7], exec, s[8:9]
	s_cbranch_execnz .LBB46_3997
; %bb.1949:
	s_or_saveexec_b64 s[6:7], s[6:7]
	v_mov_b32_e32 v4, s10
	s_xor_b64 exec, exec, s[6:7]
	s_cbranch_execnz .LBB46_4000
.LBB46_1950:
	s_or_b64 exec, exec, s[6:7]
	s_and_saveexec_b64 s[6:7], s[4:5]
	s_cbranch_execz .LBB46_1952
.LBB46_1951:
	v_bfe_u32 v4, v0, 24, 3
	v_ffbh_u32_e32 v12, v4
	v_min_u32_e32 v12, 32, v12
	v_lshrrev_b32_e32 v10, 27, v0
	v_subrev_u32_e32 v13, 28, v12
	v_and_b32_e32 v9, 0x80000000, v0
	v_and_b32_e32 v10, 15, v10
	v_bfe_u32 v11, v0, 27, 4
	v_lshlrev_b32_sdwa v0, v13, v0 dst_sel:DWORD dst_unused:UNUSED_PAD src0_sel:DWORD src1_sel:BYTE_3
	v_sub_u32_e32 v12, 29, v12
	v_and_b32_e32 v0, 7, v0
	v_cmp_eq_u16_e32 vcc, 0, v10
	v_cndmask_b32_e32 v0, v4, v0, vcc
	v_cndmask_b32_e32 v4, v11, v12, vcc
	v_mov_b32_e32 v10, 0x3b800000
	v_lshlrev_b32_e32 v0, 20, v0
	v_lshl_add_u32 v4, v4, 23, v10
	v_or3_b32 v4, v9, v4, v0
.LBB46_1952:
	s_or_b64 exec, exec, s[6:7]
	s_nop 0
	v_mfma_f32_16x16x4f32 a[0:3], v8, v4, a[0:3]
	s_movk_i32 s4, 0x7f
	v_cmp_gt_i16_sdwa s[6:7], v5, s4 src0_sel:BYTE_0 src1_sel:DWORD
	s_mov_b64 s[4:5], 0
                                        ; implicit-def: $sgpr10
	s_and_saveexec_b64 s[8:9], s[6:7]
	s_xor_b64 s[6:7], exec, s[8:9]
	s_cbranch_execnz .LBB46_4001
; %bb.1953:
	s_or_saveexec_b64 s[6:7], s[6:7]
	v_mov_b32_e32 v0, s10
	s_xor_b64 exec, exec, s[6:7]
	s_cbranch_execnz .LBB46_4004
.LBB46_1954:
	s_or_b64 exec, exec, s[6:7]
	s_and_saveexec_b64 s[6:7], s[4:5]
	s_cbranch_execz .LBB46_1956
.LBB46_1955:
	v_and_b32_e32 v0, 7, v5
	v_ffbh_u32_e32 v8, v0
	v_min_u32_e32 v8, 32, v8
	v_lshrrev_b16_e32 v4, 3, v5
	v_subrev_u32_e32 v9, 28, v8
	v_and_b32_e32 v4, 15, v4
	v_lshlrev_b32_e32 v9, v9, v5
	v_sub_u32_e32 v8, 29, v8
	v_and_b32_e32 v9, 7, v9
	v_cmp_eq_u16_e32 vcc, 0, v4
	v_cndmask_b32_e32 v0, v0, v9, vcc
	v_cndmask_b32_e32 v4, v4, v8, vcc
	v_lshlrev_b32_e32 v8, 24, v5
	v_mov_b32_e32 v9, 0x3b800000
	v_lshlrev_b32_e32 v0, 20, v0
	v_and_b32_e32 v8, 0x80000000, v8
	v_lshl_add_u32 v4, v4, 23, v9
	v_or3_b32 v0, v8, v4, v0
.LBB46_1956:
	s_or_b64 exec, exec, s[6:7]
	s_movk_i32 s4, 0x7f
	v_cmp_gt_i16_sdwa s[6:7], v1, s4 src0_sel:BYTE_0 src1_sel:DWORD
	s_mov_b64 s[4:5], 0
                                        ; implicit-def: $sgpr10
	s_and_saveexec_b64 s[8:9], s[6:7]
	s_xor_b64 s[6:7], exec, s[8:9]
	s_cbranch_execnz .LBB46_4005
; %bb.1957:
	s_or_saveexec_b64 s[6:7], s[6:7]
	v_mov_b32_e32 v4, s10
	s_xor_b64 exec, exec, s[6:7]
	s_cbranch_execnz .LBB46_4008
.LBB46_1958:
	s_or_b64 exec, exec, s[6:7]
	s_and_saveexec_b64 s[6:7], s[4:5]
	s_cbranch_execz .LBB46_1960
.LBB46_1959:
	v_and_b32_e32 v4, 7, v1
	v_ffbh_u32_e32 v9, v4
	v_min_u32_e32 v9, 32, v9
	v_lshrrev_b16_e32 v8, 3, v1
	v_subrev_u32_e32 v10, 28, v9
	v_and_b32_e32 v8, 15, v8
	v_lshlrev_b32_e32 v10, v10, v1
	v_sub_u32_e32 v9, 29, v9
	v_and_b32_e32 v10, 7, v10
	v_cmp_eq_u16_e32 vcc, 0, v8
	v_cndmask_b32_e32 v4, v4, v10, vcc
	v_cndmask_b32_e32 v8, v8, v9, vcc
	v_lshlrev_b32_e32 v9, 24, v1
	v_mov_b32_e32 v10, 0x3b800000
	v_lshlrev_b32_e32 v4, 20, v4
	v_and_b32_e32 v9, 0x80000000, v9
	v_lshl_add_u32 v8, v8, 23, v10
	v_or3_b32 v4, v9, v8, v4
.LBB46_1960:
	s_or_b64 exec, exec, s[6:7]
	s_nop 0
	v_mfma_f32_16x16x4f32 a[0:3], v0, v4, a[0:3]
	v_lshrrev_b32_e32 v4, 8, v5
	s_movk_i32 s4, 0x7f
	v_cmp_gt_i16_sdwa s[6:7], v4, s4 src0_sel:BYTE_0 src1_sel:DWORD
	s_mov_b64 s[4:5], 0
                                        ; implicit-def: $sgpr10
	s_and_saveexec_b64 s[8:9], s[6:7]
	s_xor_b64 s[6:7], exec, s[8:9]
	s_cbranch_execnz .LBB46_4009
; %bb.1961:
	s_or_saveexec_b64 s[6:7], s[6:7]
	v_mov_b32_e32 v0, s10
	s_xor_b64 exec, exec, s[6:7]
	s_cbranch_execnz .LBB46_4012
.LBB46_1962:
	s_or_b64 exec, exec, s[6:7]
	s_and_saveexec_b64 s[6:7], s[4:5]
	s_cbranch_execz .LBB46_1964
.LBB46_1963:
	v_bfe_u32 v0, v5, 8, 3
	v_ffbh_u32_e32 v9, v0
	v_min_u32_e32 v9, 32, v9
	v_lshrrev_b16_e32 v8, 3, v4
	v_subrev_u32_e32 v10, 28, v9
	v_and_b32_e32 v8, 15, v8
	v_lshlrev_b32_e32 v4, v10, v4
	v_sub_u32_e32 v9, 29, v9
	v_and_b32_e32 v4, 7, v4
	v_cmp_eq_u16_e32 vcc, 0, v8
	v_cndmask_b32_e32 v0, v0, v4, vcc
	v_cndmask_b32_e32 v4, v8, v9, vcc
	v_lshlrev_b32_e32 v8, 16, v5
	v_mov_b32_e32 v9, 0x3b800000
	v_lshlrev_b32_e32 v0, 20, v0
	v_and_b32_e32 v8, 0x80000000, v8
	v_lshl_add_u32 v4, v4, 23, v9
	v_or3_b32 v0, v8, v4, v0
.LBB46_1964:
	s_or_b64 exec, exec, s[6:7]
	v_lshrrev_b32_e32 v4, 8, v1
	s_movk_i32 s4, 0x7f
	v_cmp_gt_i16_sdwa s[6:7], v4, s4 src0_sel:BYTE_0 src1_sel:DWORD
	s_mov_b64 s[4:5], 0
                                        ; implicit-def: $sgpr10
	s_and_saveexec_b64 s[8:9], s[6:7]
	s_xor_b64 s[6:7], exec, s[8:9]
	s_cbranch_execnz .LBB46_4013
; %bb.1965:
	s_or_saveexec_b64 s[6:7], s[6:7]
	v_mov_b32_e32 v8, s10
	s_xor_b64 exec, exec, s[6:7]
	s_cbranch_execnz .LBB46_4016
.LBB46_1966:
	s_or_b64 exec, exec, s[6:7]
	s_and_saveexec_b64 s[6:7], s[4:5]
	s_cbranch_execz .LBB46_1968
.LBB46_1967:
	v_bfe_u32 v8, v1, 8, 3
	v_ffbh_u32_e32 v10, v8
	v_min_u32_e32 v10, 32, v10
	v_lshrrev_b16_e32 v9, 3, v4
	v_subrev_u32_e32 v11, 28, v10
	v_and_b32_e32 v9, 15, v9
	v_lshlrev_b32_e32 v4, v11, v4
	v_sub_u32_e32 v10, 29, v10
	v_and_b32_e32 v4, 7, v4
	v_cmp_eq_u16_e32 vcc, 0, v9
	v_cndmask_b32_e32 v4, v8, v4, vcc
	v_cndmask_b32_e32 v8, v9, v10, vcc
	v_lshlrev_b32_e32 v9, 16, v1
	v_mov_b32_e32 v10, 0x3b800000
	v_lshlrev_b32_e32 v4, 20, v4
	v_and_b32_e32 v9, 0x80000000, v9
	v_lshl_add_u32 v8, v8, 23, v10
	v_or3_b32 v8, v9, v8, v4
.LBB46_1968:
	s_or_b64 exec, exec, s[6:7]
	s_nop 0
	v_mfma_f32_16x16x4f32 a[0:3], v0, v8, a[0:3]
	s_movk_i32 s4, 0xff
	v_and_b32_sdwa v4, v5, s4 dst_sel:DWORD dst_unused:UNUSED_PAD src0_sel:WORD_1 src1_sel:DWORD
	s_movk_i32 s4, 0x7f
	v_cmp_lt_i16_e32 vcc, s4, v4
	s_mov_b64 s[4:5], 0
                                        ; implicit-def: $sgpr10
	s_and_saveexec_b64 s[6:7], vcc
	s_xor_b64 s[6:7], exec, s[6:7]
	s_cbranch_execnz .LBB46_4017
; %bb.1969:
	s_or_saveexec_b64 s[6:7], s[6:7]
	v_mov_b32_e32 v0, s10
	s_xor_b64 exec, exec, s[6:7]
	s_cbranch_execnz .LBB46_4020
.LBB46_1970:
	s_or_b64 exec, exec, s[6:7]
	s_and_saveexec_b64 s[6:7], s[4:5]
	s_cbranch_execz .LBB46_1972
.LBB46_1971:
	v_bfe_u32 v0, v5, 16, 3
	v_ffbh_u32_e32 v9, v0
	v_min_u32_e32 v9, 32, v9
	v_lshrrev_b32_e32 v4, 19, v5
	v_subrev_u32_e32 v10, 28, v9
	v_and_b32_e32 v4, 15, v4
	v_lshlrev_b32_sdwa v10, v10, v5 dst_sel:DWORD dst_unused:UNUSED_PAD src0_sel:DWORD src1_sel:WORD_1
	v_bfe_u32 v8, v5, 19, 4
	v_sub_u32_e32 v9, 29, v9
	v_and_b32_e32 v10, 7, v10
	v_cmp_eq_u16_e32 vcc, 0, v4
	v_cndmask_b32_e32 v0, v0, v10, vcc
	v_cndmask_b32_e32 v4, v8, v9, vcc
	v_lshlrev_b32_e32 v8, 8, v5
	v_mov_b32_e32 v9, 0x3b800000
	v_lshlrev_b32_e32 v0, 20, v0
	v_and_b32_e32 v8, 0x80000000, v8
	v_lshl_add_u32 v4, v4, 23, v9
	v_or3_b32 v0, v8, v4, v0
.LBB46_1972:
	s_or_b64 exec, exec, s[6:7]
	s_movk_i32 s4, 0xff
	v_and_b32_sdwa v4, v1, s4 dst_sel:DWORD dst_unused:UNUSED_PAD src0_sel:WORD_1 src1_sel:DWORD
	s_movk_i32 s4, 0x7f
	v_cmp_lt_i16_e32 vcc, s4, v4
	s_mov_b64 s[4:5], 0
                                        ; implicit-def: $sgpr10
	s_and_saveexec_b64 s[6:7], vcc
	s_xor_b64 s[6:7], exec, s[6:7]
	s_cbranch_execnz .LBB46_4021
; %bb.1973:
	s_or_saveexec_b64 s[6:7], s[6:7]
	v_mov_b32_e32 v8, s10
	s_xor_b64 exec, exec, s[6:7]
	s_cbranch_execnz .LBB46_4024
.LBB46_1974:
	s_or_b64 exec, exec, s[6:7]
	s_and_saveexec_b64 s[6:7], s[4:5]
	s_cbranch_execz .LBB46_1976
.LBB46_1975:
	v_bfe_u32 v4, v1, 16, 3
	v_ffbh_u32_e32 v10, v4
	v_min_u32_e32 v10, 32, v10
	v_lshrrev_b32_e32 v8, 19, v1
	v_subrev_u32_e32 v11, 28, v10
	v_and_b32_e32 v8, 15, v8
	v_lshlrev_b32_sdwa v11, v11, v1 dst_sel:DWORD dst_unused:UNUSED_PAD src0_sel:DWORD src1_sel:WORD_1
	v_bfe_u32 v9, v1, 19, 4
	v_sub_u32_e32 v10, 29, v10
	v_and_b32_e32 v11, 7, v11
	v_cmp_eq_u16_e32 vcc, 0, v8
	v_cndmask_b32_e32 v4, v4, v11, vcc
	v_cndmask_b32_e32 v8, v9, v10, vcc
	v_lshlrev_b32_e32 v9, 8, v1
	v_mov_b32_e32 v10, 0x3b800000
	v_lshlrev_b32_e32 v4, 20, v4
	v_and_b32_e32 v9, 0x80000000, v9
	v_lshl_add_u32 v8, v8, 23, v10
	v_or3_b32 v8, v9, v8, v4
.LBB46_1976:
	s_or_b64 exec, exec, s[6:7]
	s_nop 0
	v_mfma_f32_16x16x4f32 a[0:3], v0, v8, a[0:3]
	s_movk_i32 s4, 0x7f
	v_cmp_gt_i16_sdwa s[6:7], v5, s4 src0_sel:BYTE_3 src1_sel:DWORD
	s_mov_b64 s[4:5], 0
                                        ; implicit-def: $sgpr10
	s_and_saveexec_b64 s[8:9], s[6:7]
	s_xor_b64 s[6:7], exec, s[8:9]
	s_cbranch_execnz .LBB46_4025
; %bb.1977:
	s_or_saveexec_b64 s[6:7], s[6:7]
	v_mov_b32_e32 v0, s10
	s_xor_b64 exec, exec, s[6:7]
	s_cbranch_execnz .LBB46_4028
.LBB46_1978:
	s_or_b64 exec, exec, s[6:7]
	s_and_saveexec_b64 s[6:7], s[4:5]
	s_cbranch_execz .LBB46_1980
.LBB46_1979:
	v_bfe_u32 v0, v5, 24, 3
	v_ffbh_u32_e32 v10, v0
	v_min_u32_e32 v10, 32, v10
	v_lshrrev_b32_e32 v8, 27, v5
	v_subrev_u32_e32 v11, 28, v10
	v_and_b32_e32 v4, 0x80000000, v5
	v_and_b32_e32 v8, 15, v8
	v_bfe_u32 v9, v5, 27, 4
	v_lshlrev_b32_sdwa v5, v11, v5 dst_sel:DWORD dst_unused:UNUSED_PAD src0_sel:DWORD src1_sel:BYTE_3
	v_sub_u32_e32 v10, 29, v10
	v_and_b32_e32 v5, 7, v5
	v_cmp_eq_u16_e32 vcc, 0, v8
	v_cndmask_b32_e32 v0, v0, v5, vcc
	v_cndmask_b32_e32 v5, v9, v10, vcc
	v_mov_b32_e32 v8, 0x3b800000
	v_lshlrev_b32_e32 v0, 20, v0
	v_lshl_add_u32 v5, v5, 23, v8
	v_or3_b32 v0, v4, v5, v0
.LBB46_1980:
	s_or_b64 exec, exec, s[6:7]
	s_movk_i32 s4, 0x7f
	v_cmp_gt_i16_sdwa s[6:7], v1, s4 src0_sel:BYTE_3 src1_sel:DWORD
	s_mov_b64 s[4:5], 0
                                        ; implicit-def: $sgpr10
	s_and_saveexec_b64 s[8:9], s[6:7]
	s_xor_b64 s[6:7], exec, s[8:9]
	s_cbranch_execnz .LBB46_4029
; %bb.1981:
	s_or_saveexec_b64 s[6:7], s[6:7]
	v_mov_b32_e32 v4, s10
	s_xor_b64 exec, exec, s[6:7]
	s_cbranch_execnz .LBB46_4032
.LBB46_1982:
	s_or_b64 exec, exec, s[6:7]
	s_and_saveexec_b64 s[6:7], s[4:5]
	s_cbranch_execz .LBB46_1984
.LBB46_1983:
	v_bfe_u32 v4, v1, 24, 3
	v_ffbh_u32_e32 v10, v4
	v_min_u32_e32 v10, 32, v10
	v_lshrrev_b32_e32 v8, 27, v1
	v_subrev_u32_e32 v11, 28, v10
	v_and_b32_e32 v5, 0x80000000, v1
	v_and_b32_e32 v8, 15, v8
	v_bfe_u32 v9, v1, 27, 4
	v_lshlrev_b32_sdwa v1, v11, v1 dst_sel:DWORD dst_unused:UNUSED_PAD src0_sel:DWORD src1_sel:BYTE_3
	v_sub_u32_e32 v10, 29, v10
	v_and_b32_e32 v1, 7, v1
	v_cmp_eq_u16_e32 vcc, 0, v8
	v_cndmask_b32_e32 v1, v4, v1, vcc
	v_cndmask_b32_e32 v4, v9, v10, vcc
	v_mov_b32_e32 v8, 0x3b800000
	v_lshlrev_b32_e32 v1, 20, v1
	v_lshl_add_u32 v4, v4, 23, v8
	v_or3_b32 v4, v5, v4, v1
.LBB46_1984:
	s_or_b64 exec, exec, s[6:7]
	s_nop 0
	v_mfma_f32_16x16x4f32 a[0:3], v0, v4, a[0:3]
	s_movk_i32 s4, 0x7f
	v_cmp_gt_i16_sdwa s[6:7], v6, s4 src0_sel:BYTE_0 src1_sel:DWORD
	s_mov_b64 s[4:5], 0
                                        ; implicit-def: $sgpr10
	s_and_saveexec_b64 s[8:9], s[6:7]
	s_xor_b64 s[6:7], exec, s[8:9]
	s_cbranch_execnz .LBB46_4033
; %bb.1985:
	s_or_saveexec_b64 s[6:7], s[6:7]
	v_mov_b32_e32 v0, s10
	s_xor_b64 exec, exec, s[6:7]
	s_cbranch_execnz .LBB46_4036
.LBB46_1986:
	s_or_b64 exec, exec, s[6:7]
	s_and_saveexec_b64 s[6:7], s[4:5]
	s_cbranch_execz .LBB46_1988
.LBB46_1987:
	v_and_b32_e32 v0, 7, v6
	v_ffbh_u32_e32 v4, v0
	v_min_u32_e32 v4, 32, v4
	v_lshrrev_b16_e32 v1, 3, v6
	v_subrev_u32_e32 v5, 28, v4
	v_and_b32_e32 v1, 15, v1
	v_lshlrev_b32_e32 v5, v5, v6
	v_sub_u32_e32 v4, 29, v4
	v_and_b32_e32 v5, 7, v5
	v_cmp_eq_u16_e32 vcc, 0, v1
	v_cndmask_b32_e32 v0, v0, v5, vcc
	v_cndmask_b32_e32 v1, v1, v4, vcc
	v_lshlrev_b32_e32 v4, 24, v6
	v_mov_b32_e32 v5, 0x3b800000
	v_lshlrev_b32_e32 v0, 20, v0
	v_and_b32_e32 v4, 0x80000000, v4
	v_lshl_add_u32 v1, v1, 23, v5
	v_or3_b32 v0, v4, v1, v0
.LBB46_1988:
	s_or_b64 exec, exec, s[6:7]
	s_movk_i32 s4, 0x7f
	v_cmp_gt_i16_sdwa s[6:7], v2, s4 src0_sel:BYTE_0 src1_sel:DWORD
	s_mov_b64 s[4:5], 0
                                        ; implicit-def: $sgpr10
	s_and_saveexec_b64 s[8:9], s[6:7]
	s_xor_b64 s[6:7], exec, s[8:9]
	s_cbranch_execnz .LBB46_4037
; %bb.1989:
	s_or_saveexec_b64 s[6:7], s[6:7]
	v_mov_b32_e32 v1, s10
	s_xor_b64 exec, exec, s[6:7]
	s_cbranch_execnz .LBB46_4040
.LBB46_1990:
	s_or_b64 exec, exec, s[6:7]
	s_and_saveexec_b64 s[6:7], s[4:5]
	s_cbranch_execz .LBB46_1992
.LBB46_1991:
	v_and_b32_e32 v1, 7, v2
	v_ffbh_u32_e32 v5, v1
	v_min_u32_e32 v5, 32, v5
	v_lshrrev_b16_e32 v4, 3, v2
	v_subrev_u32_e32 v8, 28, v5
	v_and_b32_e32 v4, 15, v4
	v_lshlrev_b32_e32 v8, v8, v2
	v_sub_u32_e32 v5, 29, v5
	v_and_b32_e32 v8, 7, v8
	v_cmp_eq_u16_e32 vcc, 0, v4
	v_cndmask_b32_e32 v1, v1, v8, vcc
	v_cndmask_b32_e32 v4, v4, v5, vcc
	v_lshlrev_b32_e32 v5, 24, v2
	v_mov_b32_e32 v8, 0x3b800000
	v_lshlrev_b32_e32 v1, 20, v1
	v_and_b32_e32 v5, 0x80000000, v5
	v_lshl_add_u32 v4, v4, 23, v8
	v_or3_b32 v1, v5, v4, v1
.LBB46_1992:
	s_or_b64 exec, exec, s[6:7]
	s_nop 0
	v_mfma_f32_16x16x4f32 a[0:3], v0, v1, a[0:3]
	v_lshrrev_b32_e32 v1, 8, v6
	s_movk_i32 s4, 0x7f
	v_cmp_gt_i16_sdwa s[6:7], v1, s4 src0_sel:BYTE_0 src1_sel:DWORD
	s_mov_b64 s[4:5], 0
                                        ; implicit-def: $sgpr10
	s_and_saveexec_b64 s[8:9], s[6:7]
	s_xor_b64 s[6:7], exec, s[8:9]
	s_cbranch_execnz .LBB46_4041
; %bb.1993:
	s_or_saveexec_b64 s[6:7], s[6:7]
	v_mov_b32_e32 v0, s10
	s_xor_b64 exec, exec, s[6:7]
	s_cbranch_execnz .LBB46_4044
.LBB46_1994:
	s_or_b64 exec, exec, s[6:7]
	s_and_saveexec_b64 s[6:7], s[4:5]
	s_cbranch_execz .LBB46_1996
.LBB46_1995:
	v_bfe_u32 v0, v6, 8, 3
	v_ffbh_u32_e32 v5, v0
	v_min_u32_e32 v5, 32, v5
	v_lshrrev_b16_e32 v4, 3, v1
	v_subrev_u32_e32 v8, 28, v5
	v_and_b32_e32 v4, 15, v4
	v_lshlrev_b32_e32 v1, v8, v1
	v_sub_u32_e32 v5, 29, v5
	v_and_b32_e32 v1, 7, v1
	v_cmp_eq_u16_e32 vcc, 0, v4
	v_cndmask_b32_e32 v0, v0, v1, vcc
	v_cndmask_b32_e32 v1, v4, v5, vcc
	v_lshlrev_b32_e32 v4, 16, v6
	v_mov_b32_e32 v5, 0x3b800000
	v_lshlrev_b32_e32 v0, 20, v0
	v_and_b32_e32 v4, 0x80000000, v4
	v_lshl_add_u32 v1, v1, 23, v5
	v_or3_b32 v0, v4, v1, v0
.LBB46_1996:
	s_or_b64 exec, exec, s[6:7]
	v_lshrrev_b32_e32 v1, 8, v2
	s_movk_i32 s4, 0x7f
	v_cmp_gt_i16_sdwa s[6:7], v1, s4 src0_sel:BYTE_0 src1_sel:DWORD
	s_mov_b64 s[4:5], 0
                                        ; implicit-def: $sgpr10
	s_and_saveexec_b64 s[8:9], s[6:7]
	s_xor_b64 s[6:7], exec, s[8:9]
	s_cbranch_execnz .LBB46_4045
; %bb.1997:
	s_or_saveexec_b64 s[6:7], s[6:7]
	v_mov_b32_e32 v4, s10
	s_xor_b64 exec, exec, s[6:7]
	s_cbranch_execnz .LBB46_4048
.LBB46_1998:
	s_or_b64 exec, exec, s[6:7]
	s_and_saveexec_b64 s[6:7], s[4:5]
	s_cbranch_execz .LBB46_2000
.LBB46_1999:
	v_bfe_u32 v4, v2, 8, 3
	v_ffbh_u32_e32 v8, v4
	v_min_u32_e32 v8, 32, v8
	v_lshrrev_b16_e32 v5, 3, v1
	v_subrev_u32_e32 v9, 28, v8
	v_and_b32_e32 v5, 15, v5
	v_lshlrev_b32_e32 v1, v9, v1
	v_sub_u32_e32 v8, 29, v8
	v_and_b32_e32 v1, 7, v1
	v_cmp_eq_u16_e32 vcc, 0, v5
	v_cndmask_b32_e32 v1, v4, v1, vcc
	v_cndmask_b32_e32 v4, v5, v8, vcc
	v_lshlrev_b32_e32 v5, 16, v2
	v_mov_b32_e32 v8, 0x3b800000
	v_lshlrev_b32_e32 v1, 20, v1
	v_and_b32_e32 v5, 0x80000000, v5
	v_lshl_add_u32 v4, v4, 23, v8
	v_or3_b32 v4, v5, v4, v1
.LBB46_2000:
	s_or_b64 exec, exec, s[6:7]
	s_nop 0
	v_mfma_f32_16x16x4f32 a[0:3], v0, v4, a[0:3]
	s_movk_i32 s4, 0xff
	v_and_b32_sdwa v1, v6, s4 dst_sel:DWORD dst_unused:UNUSED_PAD src0_sel:WORD_1 src1_sel:DWORD
	s_movk_i32 s4, 0x7f
	v_cmp_lt_i16_e32 vcc, s4, v1
	s_mov_b64 s[4:5], 0
                                        ; implicit-def: $sgpr10
	s_and_saveexec_b64 s[6:7], vcc
	s_xor_b64 s[6:7], exec, s[6:7]
	s_cbranch_execnz .LBB46_4049
; %bb.2001:
	s_or_saveexec_b64 s[6:7], s[6:7]
	v_mov_b32_e32 v0, s10
	s_xor_b64 exec, exec, s[6:7]
	s_cbranch_execnz .LBB46_4052
.LBB46_2002:
	s_or_b64 exec, exec, s[6:7]
	s_and_saveexec_b64 s[6:7], s[4:5]
	s_cbranch_execz .LBB46_2004
.LBB46_2003:
	v_bfe_u32 v0, v6, 16, 3
	v_ffbh_u32_e32 v5, v0
	v_min_u32_e32 v5, 32, v5
	v_lshrrev_b32_e32 v1, 19, v6
	v_subrev_u32_e32 v8, 28, v5
	v_and_b32_e32 v1, 15, v1
	v_lshlrev_b32_sdwa v8, v8, v6 dst_sel:DWORD dst_unused:UNUSED_PAD src0_sel:DWORD src1_sel:WORD_1
	v_bfe_u32 v4, v6, 19, 4
	v_sub_u32_e32 v5, 29, v5
	v_and_b32_e32 v8, 7, v8
	v_cmp_eq_u16_e32 vcc, 0, v1
	v_cndmask_b32_e32 v0, v0, v8, vcc
	v_cndmask_b32_e32 v1, v4, v5, vcc
	v_lshlrev_b32_e32 v4, 8, v6
	v_mov_b32_e32 v5, 0x3b800000
	v_lshlrev_b32_e32 v0, 20, v0
	v_and_b32_e32 v4, 0x80000000, v4
	v_lshl_add_u32 v1, v1, 23, v5
	v_or3_b32 v0, v4, v1, v0
.LBB46_2004:
	s_or_b64 exec, exec, s[6:7]
	s_movk_i32 s4, 0xff
	v_and_b32_sdwa v1, v2, s4 dst_sel:DWORD dst_unused:UNUSED_PAD src0_sel:WORD_1 src1_sel:DWORD
	s_movk_i32 s4, 0x7f
	v_cmp_lt_i16_e32 vcc, s4, v1
	s_mov_b64 s[4:5], 0
                                        ; implicit-def: $sgpr10
	s_and_saveexec_b64 s[6:7], vcc
	s_xor_b64 s[6:7], exec, s[6:7]
	s_cbranch_execnz .LBB46_4053
; %bb.2005:
	s_or_saveexec_b64 s[6:7], s[6:7]
	v_mov_b32_e32 v4, s10
	s_xor_b64 exec, exec, s[6:7]
	s_cbranch_execnz .LBB46_4056
.LBB46_2006:
	s_or_b64 exec, exec, s[6:7]
	s_and_saveexec_b64 s[6:7], s[4:5]
	s_cbranch_execz .LBB46_2008
.LBB46_2007:
	v_bfe_u32 v1, v2, 16, 3
	v_ffbh_u32_e32 v8, v1
	v_min_u32_e32 v8, 32, v8
	v_lshrrev_b32_e32 v4, 19, v2
	v_subrev_u32_e32 v9, 28, v8
	v_and_b32_e32 v4, 15, v4
	v_lshlrev_b32_sdwa v9, v9, v2 dst_sel:DWORD dst_unused:UNUSED_PAD src0_sel:DWORD src1_sel:WORD_1
	v_bfe_u32 v5, v2, 19, 4
	v_sub_u32_e32 v8, 29, v8
	v_and_b32_e32 v9, 7, v9
	v_cmp_eq_u16_e32 vcc, 0, v4
	v_cndmask_b32_e32 v1, v1, v9, vcc
	v_cndmask_b32_e32 v4, v5, v8, vcc
	v_lshlrev_b32_e32 v5, 8, v2
	v_mov_b32_e32 v8, 0x3b800000
	v_lshlrev_b32_e32 v1, 20, v1
	v_and_b32_e32 v5, 0x80000000, v5
	v_lshl_add_u32 v4, v4, 23, v8
	v_or3_b32 v4, v5, v4, v1
.LBB46_2008:
	s_or_b64 exec, exec, s[6:7]
	s_nop 0
	v_mfma_f32_16x16x4f32 a[0:3], v0, v4, a[0:3]
	s_movk_i32 s4, 0x7f
	v_cmp_gt_i16_sdwa s[6:7], v6, s4 src0_sel:BYTE_3 src1_sel:DWORD
	s_mov_b64 s[4:5], 0
                                        ; implicit-def: $sgpr10
	s_and_saveexec_b64 s[8:9], s[6:7]
	s_xor_b64 s[6:7], exec, s[8:9]
	s_cbranch_execnz .LBB46_4057
; %bb.2009:
	s_or_saveexec_b64 s[6:7], s[6:7]
	v_mov_b32_e32 v0, s10
	s_xor_b64 exec, exec, s[6:7]
	s_cbranch_execnz .LBB46_4060
.LBB46_2010:
	s_or_b64 exec, exec, s[6:7]
	s_and_saveexec_b64 s[6:7], s[4:5]
	s_cbranch_execz .LBB46_2012
.LBB46_2011:
	v_bfe_u32 v0, v6, 24, 3
	v_ffbh_u32_e32 v8, v0
	v_min_u32_e32 v8, 32, v8
	v_lshrrev_b32_e32 v4, 27, v6
	v_subrev_u32_e32 v9, 28, v8
	v_and_b32_e32 v1, 0x80000000, v6
	v_and_b32_e32 v4, 15, v4
	v_bfe_u32 v5, v6, 27, 4
	v_lshlrev_b32_sdwa v6, v9, v6 dst_sel:DWORD dst_unused:UNUSED_PAD src0_sel:DWORD src1_sel:BYTE_3
	v_sub_u32_e32 v8, 29, v8
	v_and_b32_e32 v6, 7, v6
	v_cmp_eq_u16_e32 vcc, 0, v4
	v_cndmask_b32_e32 v0, v0, v6, vcc
	v_cndmask_b32_e32 v4, v5, v8, vcc
	v_mov_b32_e32 v5, 0x3b800000
	v_lshlrev_b32_e32 v0, 20, v0
	v_lshl_add_u32 v4, v4, 23, v5
	v_or3_b32 v0, v1, v4, v0
.LBB46_2012:
	s_or_b64 exec, exec, s[6:7]
	s_movk_i32 s4, 0x7f
	v_cmp_gt_i16_sdwa s[6:7], v2, s4 src0_sel:BYTE_3 src1_sel:DWORD
	s_mov_b64 s[4:5], 0
                                        ; implicit-def: $sgpr10
	s_and_saveexec_b64 s[8:9], s[6:7]
	s_xor_b64 s[6:7], exec, s[8:9]
	s_cbranch_execnz .LBB46_4061
; %bb.2013:
	s_or_saveexec_b64 s[6:7], s[6:7]
	v_mov_b32_e32 v1, s10
	s_xor_b64 exec, exec, s[6:7]
	s_cbranch_execnz .LBB46_4064
.LBB46_2014:
	s_or_b64 exec, exec, s[6:7]
	s_and_saveexec_b64 s[6:7], s[4:5]
	s_cbranch_execz .LBB46_2016
.LBB46_2015:
	v_bfe_u32 v1, v2, 24, 3
	v_ffbh_u32_e32 v8, v1
	v_min_u32_e32 v8, 32, v8
	v_lshrrev_b32_e32 v5, 27, v2
	v_subrev_u32_e32 v9, 28, v8
	v_and_b32_e32 v4, 0x80000000, v2
	v_and_b32_e32 v5, 15, v5
	v_bfe_u32 v6, v2, 27, 4
	v_lshlrev_b32_sdwa v2, v9, v2 dst_sel:DWORD dst_unused:UNUSED_PAD src0_sel:DWORD src1_sel:BYTE_3
	v_sub_u32_e32 v8, 29, v8
	v_and_b32_e32 v2, 7, v2
	v_cmp_eq_u16_e32 vcc, 0, v5
	v_cndmask_b32_e32 v1, v1, v2, vcc
	v_cndmask_b32_e32 v2, v6, v8, vcc
	v_mov_b32_e32 v5, 0x3b800000
	v_lshlrev_b32_e32 v1, 20, v1
	v_lshl_add_u32 v2, v2, 23, v5
	v_or3_b32 v1, v4, v2, v1
.LBB46_2016:
	s_or_b64 exec, exec, s[6:7]
	s_nop 0
	v_mfma_f32_16x16x4f32 a[0:3], v0, v1, a[0:3]
	s_movk_i32 s4, 0x7f
	v_cmp_gt_i16_sdwa s[6:7], v7, s4 src0_sel:BYTE_0 src1_sel:DWORD
	s_mov_b64 s[4:5], 0
                                        ; implicit-def: $sgpr10
	s_and_saveexec_b64 s[8:9], s[6:7]
	s_xor_b64 s[6:7], exec, s[8:9]
	s_cbranch_execnz .LBB46_4065
; %bb.2017:
	s_or_saveexec_b64 s[6:7], s[6:7]
	v_mov_b32_e32 v0, s10
	s_xor_b64 exec, exec, s[6:7]
	s_cbranch_execnz .LBB46_4068
.LBB46_2018:
	s_or_b64 exec, exec, s[6:7]
	s_and_saveexec_b64 s[6:7], s[4:5]
	s_cbranch_execz .LBB46_2020
.LBB46_2019:
	v_mov_b32_e32 v0, 8
	v_and_b32_e32 v1, 7, v7
	v_lshrrev_b32_sdwa v0, v0, v7 dst_sel:BYTE_1 dst_unused:UNUSED_PAD src0_sel:DWORD src1_sel:DWORD
	v_ffbh_u32_e32 v2, v1
	v_or_b32_sdwa v0, v7, v0 dst_sel:DWORD dst_unused:UNUSED_PAD src0_sel:BYTE_0 src1_sel:DWORD
	v_min_u32_e32 v2, 32, v2
	v_lshrrev_b16_e32 v0, 3, v0
	v_subrev_u32_e32 v4, 28, v2
	v_and_b32_e32 v0, 15, v0
	v_lshlrev_b32_e32 v4, v4, v7
	v_sub_u32_e32 v2, 29, v2
	v_and_b32_e32 v4, 7, v4
	v_cmp_eq_u16_e32 vcc, 0, v0
	v_cndmask_b32_e32 v1, v1, v4, vcc
	v_cndmask_b32_e32 v0, v0, v2, vcc
	v_lshlrev_b32_e32 v2, 24, v7
	v_mov_b32_e32 v4, 0x3b800000
	v_lshlrev_b32_e32 v1, 20, v1
	v_and_b32_e32 v2, 0x80000000, v2
	v_lshl_add_u32 v0, v0, 23, v4
	v_or3_b32 v0, v2, v0, v1
.LBB46_2020:
	s_or_b64 exec, exec, s[6:7]
	s_movk_i32 s4, 0x7f
	v_cmp_gt_i16_sdwa s[6:7], v3, s4 src0_sel:BYTE_0 src1_sel:DWORD
	s_mov_b64 s[4:5], 0
                                        ; implicit-def: $sgpr10
	s_and_saveexec_b64 s[8:9], s[6:7]
	s_xor_b64 s[6:7], exec, s[8:9]
	s_cbranch_execnz .LBB46_4069
; %bb.2021:
	s_or_saveexec_b64 s[6:7], s[6:7]
	v_mov_b32_e32 v1, s10
	s_xor_b64 exec, exec, s[6:7]
	s_cbranch_execnz .LBB46_4072
.LBB46_2022:
	s_or_b64 exec, exec, s[6:7]
	s_and_saveexec_b64 s[6:7], s[4:5]
	s_cbranch_execz .LBB46_2024
.LBB46_2023:
	v_mov_b32_e32 v1, 8
	v_and_b32_e32 v2, 7, v3
	v_lshrrev_b32_sdwa v1, v1, v3 dst_sel:BYTE_1 dst_unused:UNUSED_PAD src0_sel:DWORD src1_sel:DWORD
	v_ffbh_u32_e32 v4, v2
	v_or_b32_sdwa v1, v3, v1 dst_sel:DWORD dst_unused:UNUSED_PAD src0_sel:BYTE_0 src1_sel:DWORD
	v_min_u32_e32 v4, 32, v4
	v_lshrrev_b16_e32 v1, 3, v1
	v_subrev_u32_e32 v5, 28, v4
	v_and_b32_e32 v1, 15, v1
	v_lshlrev_b32_e32 v5, v5, v3
	v_sub_u32_e32 v4, 29, v4
	v_and_b32_e32 v5, 7, v5
	v_cmp_eq_u16_e32 vcc, 0, v1
	v_cndmask_b32_e32 v2, v2, v5, vcc
	v_cndmask_b32_e32 v1, v1, v4, vcc
	v_lshlrev_b32_e32 v4, 24, v3
	v_mov_b32_e32 v5, 0x3b800000
	v_lshlrev_b32_e32 v2, 20, v2
	v_and_b32_e32 v4, 0x80000000, v4
	v_lshl_add_u32 v1, v1, 23, v5
	v_or3_b32 v1, v4, v1, v2
.LBB46_2024:
	s_or_b64 exec, exec, s[6:7]
	s_nop 0
	v_mfma_f32_16x16x4f32 a[0:3], v0, v1, a[0:3]
	v_lshrrev_b32_e32 v1, 8, v7
	s_movk_i32 s4, 0x7f
	v_cmp_gt_i16_sdwa s[6:7], v1, s4 src0_sel:BYTE_0 src1_sel:DWORD
	s_mov_b64 s[4:5], 0
                                        ; implicit-def: $sgpr10
	s_and_saveexec_b64 s[8:9], s[6:7]
	s_xor_b64 s[6:7], exec, s[8:9]
	s_cbranch_execnz .LBB46_4073
; %bb.2025:
	s_or_saveexec_b64 s[6:7], s[6:7]
	v_mov_b32_e32 v0, s10
	s_xor_b64 exec, exec, s[6:7]
	s_cbranch_execnz .LBB46_4076
.LBB46_2026:
	s_or_b64 exec, exec, s[6:7]
	s_and_saveexec_b64 s[6:7], s[4:5]
	s_cbranch_execz .LBB46_2028
.LBB46_2027:
	v_bfe_u32 v0, v7, 8, 3
	v_ffbh_u32_e32 v4, v0
	v_min_u32_e32 v4, 32, v4
	v_lshrrev_b16_e32 v2, 3, v1
	v_subrev_u32_e32 v5, 28, v4
	v_and_b32_e32 v2, 15, v2
	v_lshlrev_b32_e32 v1, v5, v1
	v_sub_u32_e32 v4, 29, v4
	v_and_b32_e32 v1, 7, v1
	v_cmp_eq_u16_e32 vcc, 0, v2
	v_cndmask_b32_e32 v0, v0, v1, vcc
	v_cndmask_b32_e32 v1, v2, v4, vcc
	v_lshlrev_b32_e32 v2, 16, v7
	v_mov_b32_e32 v4, 0x3b800000
	v_lshlrev_b32_e32 v0, 20, v0
	v_and_b32_e32 v2, 0x80000000, v2
	v_lshl_add_u32 v1, v1, 23, v4
	v_or3_b32 v0, v2, v1, v0
.LBB46_2028:
	s_or_b64 exec, exec, s[6:7]
	v_lshrrev_b32_e32 v1, 8, v3
	s_movk_i32 s4, 0x7f
	v_cmp_gt_i16_sdwa s[6:7], v1, s4 src0_sel:BYTE_0 src1_sel:DWORD
	s_mov_b64 s[4:5], 0
                                        ; implicit-def: $sgpr10
	s_and_saveexec_b64 s[8:9], s[6:7]
	s_xor_b64 s[6:7], exec, s[8:9]
	s_cbranch_execnz .LBB46_4077
; %bb.2029:
	s_or_saveexec_b64 s[6:7], s[6:7]
	v_mov_b32_e32 v2, s10
	s_xor_b64 exec, exec, s[6:7]
	s_cbranch_execnz .LBB46_4080
.LBB46_2030:
	s_or_b64 exec, exec, s[6:7]
	s_and_saveexec_b64 s[6:7], s[4:5]
	s_cbranch_execz .LBB46_2032
.LBB46_2031:
	v_bfe_u32 v2, v3, 8, 3
	v_ffbh_u32_e32 v5, v2
	v_min_u32_e32 v5, 32, v5
	v_lshrrev_b16_e32 v4, 3, v1
	v_subrev_u32_e32 v6, 28, v5
	v_and_b32_e32 v4, 15, v4
	v_lshlrev_b32_e32 v1, v6, v1
	v_sub_u32_e32 v5, 29, v5
	v_and_b32_e32 v1, 7, v1
	v_cmp_eq_u16_e32 vcc, 0, v4
	v_cndmask_b32_e32 v1, v2, v1, vcc
	v_cndmask_b32_e32 v2, v4, v5, vcc
	v_lshlrev_b32_e32 v4, 16, v3
	v_mov_b32_e32 v5, 0x3b800000
	v_lshlrev_b32_e32 v1, 20, v1
	v_and_b32_e32 v4, 0x80000000, v4
	v_lshl_add_u32 v2, v2, 23, v5
	v_or3_b32 v2, v4, v2, v1
.LBB46_2032:
	s_or_b64 exec, exec, s[6:7]
	s_nop 0
	v_mfma_f32_16x16x4f32 a[0:3], v0, v2, a[0:3]
	s_movk_i32 s4, 0xff
	v_and_b32_sdwa v1, v7, s4 dst_sel:DWORD dst_unused:UNUSED_PAD src0_sel:WORD_1 src1_sel:DWORD
	s_movk_i32 s4, 0x7f
	v_cmp_lt_i16_e32 vcc, s4, v1
	s_mov_b64 s[4:5], 0
                                        ; implicit-def: $sgpr10
	s_and_saveexec_b64 s[6:7], vcc
	s_xor_b64 s[6:7], exec, s[6:7]
	s_cbranch_execnz .LBB46_4081
; %bb.2033:
	s_or_saveexec_b64 s[6:7], s[6:7]
	v_mov_b32_e32 v0, s10
	s_xor_b64 exec, exec, s[6:7]
	s_cbranch_execnz .LBB46_4084
.LBB46_2034:
	s_or_b64 exec, exec, s[6:7]
	s_and_saveexec_b64 s[6:7], s[4:5]
	s_cbranch_execz .LBB46_2036
.LBB46_2035:
	v_bfe_u32 v0, v7, 16, 3
	v_ffbh_u32_e32 v4, v0
	v_min_u32_e32 v4, 32, v4
	v_lshrrev_b32_e32 v1, 19, v7
	v_subrev_u32_e32 v5, 28, v4
	v_and_b32_e32 v1, 15, v1
	v_lshlrev_b32_sdwa v5, v5, v7 dst_sel:DWORD dst_unused:UNUSED_PAD src0_sel:DWORD src1_sel:WORD_1
	v_bfe_u32 v2, v7, 19, 4
	v_sub_u32_e32 v4, 29, v4
	v_and_b32_e32 v5, 7, v5
	v_cmp_eq_u16_e32 vcc, 0, v1
	v_cndmask_b32_e32 v0, v0, v5, vcc
	v_cndmask_b32_e32 v1, v2, v4, vcc
	v_lshlrev_b32_e32 v2, 8, v7
	v_mov_b32_e32 v4, 0x3b800000
	v_lshlrev_b32_e32 v0, 20, v0
	v_and_b32_e32 v2, 0x80000000, v2
	v_lshl_add_u32 v1, v1, 23, v4
	v_or3_b32 v0, v2, v1, v0
.LBB46_2036:
	s_or_b64 exec, exec, s[6:7]
	s_movk_i32 s4, 0xff
	v_and_b32_sdwa v1, v3, s4 dst_sel:DWORD dst_unused:UNUSED_PAD src0_sel:WORD_1 src1_sel:DWORD
	s_movk_i32 s4, 0x7f
	v_cmp_lt_i16_e32 vcc, s4, v1
	s_mov_b64 s[4:5], 0
                                        ; implicit-def: $sgpr10
	s_and_saveexec_b64 s[6:7], vcc
	s_xor_b64 s[6:7], exec, s[6:7]
	s_cbranch_execnz .LBB46_4085
; %bb.2037:
	s_or_saveexec_b64 s[6:7], s[6:7]
	v_mov_b32_e32 v2, s10
	s_xor_b64 exec, exec, s[6:7]
	s_cbranch_execnz .LBB46_4088
.LBB46_2038:
	s_or_b64 exec, exec, s[6:7]
	s_and_saveexec_b64 s[6:7], s[4:5]
	s_cbranch_execz .LBB46_2040
.LBB46_2039:
	v_bfe_u32 v1, v3, 16, 3
	v_ffbh_u32_e32 v5, v1
	v_min_u32_e32 v5, 32, v5
	v_lshrrev_b32_e32 v2, 19, v3
	v_subrev_u32_e32 v6, 28, v5
	v_and_b32_e32 v2, 15, v2
	v_lshlrev_b32_sdwa v6, v6, v3 dst_sel:DWORD dst_unused:UNUSED_PAD src0_sel:DWORD src1_sel:WORD_1
	v_bfe_u32 v4, v3, 19, 4
	v_sub_u32_e32 v5, 29, v5
	v_and_b32_e32 v6, 7, v6
	v_cmp_eq_u16_e32 vcc, 0, v2
	v_cndmask_b32_e32 v1, v1, v6, vcc
	v_cndmask_b32_e32 v2, v4, v5, vcc
	v_lshlrev_b32_e32 v4, 8, v3
	v_mov_b32_e32 v5, 0x3b800000
	v_lshlrev_b32_e32 v1, 20, v1
	v_and_b32_e32 v4, 0x80000000, v4
	v_lshl_add_u32 v2, v2, 23, v5
	v_or3_b32 v2, v4, v2, v1
.LBB46_2040:
	s_or_b64 exec, exec, s[6:7]
	s_nop 0
	v_mfma_f32_16x16x4f32 a[0:3], v0, v2, a[0:3]
	s_movk_i32 s4, 0x7f
	v_cmp_gt_i16_sdwa s[6:7], v7, s4 src0_sel:BYTE_3 src1_sel:DWORD
	s_mov_b64 s[4:5], 0
                                        ; implicit-def: $sgpr10
	s_and_saveexec_b64 s[8:9], s[6:7]
	s_xor_b64 s[6:7], exec, s[8:9]
	s_cbranch_execnz .LBB46_4089
; %bb.2041:
	s_or_saveexec_b64 s[6:7], s[6:7]
	v_mov_b32_e32 v0, s10
	s_xor_b64 exec, exec, s[6:7]
	s_cbranch_execnz .LBB46_4092
.LBB46_2042:
	s_or_b64 exec, exec, s[6:7]
	s_and_saveexec_b64 s[6:7], s[4:5]
	s_cbranch_execz .LBB46_2044
.LBB46_2043:
	v_bfe_u32 v0, v7, 24, 3
	v_ffbh_u32_e32 v5, v0
	v_min_u32_e32 v5, 32, v5
	v_lshrrev_b32_e32 v2, 27, v7
	v_subrev_u32_e32 v6, 28, v5
	v_and_b32_e32 v2, 15, v2
	v_lshlrev_b32_sdwa v6, v6, v7 dst_sel:DWORD dst_unused:UNUSED_PAD src0_sel:DWORD src1_sel:BYTE_3
	v_bfe_u32 v4, v7, 27, 4
	v_sub_u32_e32 v5, 29, v5
	v_and_b32_e32 v6, 7, v6
	v_cmp_eq_u16_e32 vcc, 0, v2
	v_cndmask_b32_e32 v0, v0, v6, vcc
	v_cndmask_b32_e32 v2, v4, v5, vcc
	v_mov_b32_e32 v4, 0x3b800000
	v_and_b32_e32 v1, 0x80000000, v7
	v_lshlrev_b32_e32 v0, 20, v0
	v_lshl_add_u32 v2, v2, 23, v4
	v_or3_b32 v0, v1, v2, v0
.LBB46_2044:
	s_or_b64 exec, exec, s[6:7]
	s_movk_i32 s4, 0x7f
	v_cmp_gt_i16_sdwa s[6:7], v3, s4 src0_sel:BYTE_3 src1_sel:DWORD
	s_mov_b64 s[4:5], 0
                                        ; implicit-def: $sgpr10
	s_and_saveexec_b64 s[8:9], s[6:7]
	s_xor_b64 s[6:7], exec, s[8:9]
	s_cbranch_execnz .LBB46_4093
; %bb.2045:
	s_or_saveexec_b64 s[6:7], s[6:7]
	v_mov_b32_e32 v1, s10
	s_xor_b64 exec, exec, s[6:7]
	s_cbranch_execnz .LBB46_4096
.LBB46_2046:
	s_or_b64 exec, exec, s[6:7]
	s_and_saveexec_b64 s[6:7], s[4:5]
	s_cbranch_execz .LBB46_2048
.LBB46_2047:
	v_bfe_u32 v1, v3, 24, 3
	v_ffbh_u32_e32 v6, v1
	v_min_u32_e32 v6, 32, v6
	v_lshrrev_b32_e32 v4, 27, v3
	v_subrev_u32_e32 v7, 28, v6
	v_and_b32_e32 v2, 0x80000000, v3
	v_and_b32_e32 v4, 15, v4
	v_bfe_u32 v5, v3, 27, 4
	v_lshlrev_b32_sdwa v3, v7, v3 dst_sel:DWORD dst_unused:UNUSED_PAD src0_sel:DWORD src1_sel:BYTE_3
	v_sub_u32_e32 v6, 29, v6
	v_and_b32_e32 v3, 7, v3
	v_cmp_eq_u16_e32 vcc, 0, v4
	v_cndmask_b32_e32 v1, v1, v3, vcc
	v_cndmask_b32_e32 v3, v5, v6, vcc
	v_mov_b32_e32 v4, 0x3b800000
	v_lshlrev_b32_e32 v1, 20, v1
	v_lshl_add_u32 v3, v3, 23, v4
	v_or3_b32 v1, v2, v3, v1
.LBB46_2048:
	s_or_b64 exec, exec, s[6:7]
	s_nop 0
	v_mfma_f32_16x16x4f32 a[0:3], v0, v1, a[0:3]
	s_nop 7
	s_nop 2
	flat_store_dwordx4 v[16:17], a[0:3] offset:368
	s_waitcnt vmcnt(0) lgkmcnt(0)
	s_setpc_b64 s[30:31]
.LBB46_2049:
	s_movk_i32 s4, 0x80
	v_cmp_eq_u16_sdwa s[12:13], v14, s4 src0_sel:BYTE_0 src1_sel:DWORD
	s_mov_b64 s[4:5], -1
                                        ; implicit-def: $sgpr10
	s_and_saveexec_b64 s[8:9], s[12:13]
; %bb.2050:
	s_mov_b32 s10, 0x7f800001
	s_xor_b64 s[4:5], exec, -1
; %bb.2051:
	s_or_b64 exec, exec, s[8:9]
	s_and_b64 s[4:5], s[4:5], exec
	s_or_saveexec_b64 s[6:7], s[6:7]
	v_mov_b32_e32 v20, s10
	s_xor_b64 exec, exec, s[6:7]
	s_cbranch_execz .LBB46_2
.LBB46_2052:
	v_mov_b32_e32 v20, 0
	v_cmp_ne_u16_sdwa s[8:9], v14, v20 src0_sel:BYTE_0 src1_sel:DWORD
	s_andn2_b64 s[4:5], s[4:5], exec
	s_and_b64 s[8:9], s[8:9], exec
	s_or_b64 s[4:5], s[4:5], s[8:9]
	s_or_b64 exec, exec, s[6:7]
	s_and_saveexec_b64 s[6:7], s[4:5]
	s_cbranch_execnz .LBB46_3
	s_branch .LBB46_4
.LBB46_2053:
	s_movk_i32 s4, 0x80
	v_cmp_eq_u16_sdwa s[12:13], v10, s4 src0_sel:BYTE_0 src1_sel:DWORD
	s_mov_b64 s[4:5], -1
                                        ; implicit-def: $sgpr10
	s_and_saveexec_b64 s[8:9], s[12:13]
; %bb.2054:
	s_mov_b32 s10, 0x7f800001
	s_xor_b64 s[4:5], exec, -1
; %bb.2055:
	s_or_b64 exec, exec, s[8:9]
	s_and_b64 s[4:5], s[4:5], exec
	s_or_saveexec_b64 s[6:7], s[6:7]
	v_mov_b32_e32 v21, s10
	s_xor_b64 exec, exec, s[6:7]
	s_cbranch_execz .LBB46_6
.LBB46_2056:
	v_mov_b32_e32 v21, 0
	v_cmp_ne_u16_sdwa s[8:9], v10, v21 src0_sel:BYTE_0 src1_sel:DWORD
	s_andn2_b64 s[4:5], s[4:5], exec
	s_and_b64 s[8:9], s[8:9], exec
	s_or_b64 s[4:5], s[4:5], s[8:9]
	s_or_b64 exec, exec, s[6:7]
	s_and_saveexec_b64 s[6:7], s[4:5]
	s_cbranch_execnz .LBB46_7
	s_branch .LBB46_8
.LBB46_2057:
	s_movk_i32 s4, 0x80
	v_cmp_eq_u16_sdwa s[12:13], v21, s4 src0_sel:BYTE_0 src1_sel:DWORD
	s_mov_b64 s[4:5], -1
                                        ; implicit-def: $sgpr10
	s_and_saveexec_b64 s[8:9], s[12:13]
; %bb.2058:
	s_mov_b32 s10, 0x7f800001
	s_xor_b64 s[4:5], exec, -1
; %bb.2059:
	s_or_b64 exec, exec, s[8:9]
	s_and_b64 s[4:5], s[4:5], exec
	s_or_saveexec_b64 s[6:7], s[6:7]
	v_mov_b32_e32 v20, s10
	s_xor_b64 exec, exec, s[6:7]
	s_cbranch_execz .LBB46_10
.LBB46_2060:
	v_mov_b32_e32 v20, 0
	v_cmp_ne_u16_sdwa s[8:9], v21, v20 src0_sel:BYTE_0 src1_sel:DWORD
	s_andn2_b64 s[4:5], s[4:5], exec
	s_and_b64 s[8:9], s[8:9], exec
	s_or_b64 s[4:5], s[4:5], s[8:9]
	s_or_b64 exec, exec, s[6:7]
	s_and_saveexec_b64 s[6:7], s[4:5]
	s_cbranch_execnz .LBB46_11
	s_branch .LBB46_12
.LBB46_2061:
	s_movk_i32 s4, 0x80
	v_cmp_eq_u16_sdwa s[12:13], v21, s4 src0_sel:BYTE_0 src1_sel:DWORD
	s_mov_b64 s[4:5], -1
                                        ; implicit-def: $sgpr10
	s_and_saveexec_b64 s[8:9], s[12:13]
; %bb.2062:
	s_mov_b32 s10, 0x7f800001
	s_xor_b64 s[4:5], exec, -1
; %bb.2063:
	s_or_b64 exec, exec, s[8:9]
	s_and_b64 s[4:5], s[4:5], exec
	s_or_saveexec_b64 s[6:7], s[6:7]
	v_mov_b32_e32 v22, s10
	s_xor_b64 exec, exec, s[6:7]
	s_cbranch_execz .LBB46_14
.LBB46_2064:
	v_mov_b32_e32 v22, 0
	v_cmp_ne_u16_sdwa s[8:9], v21, v22 src0_sel:BYTE_0 src1_sel:DWORD
	s_andn2_b64 s[4:5], s[4:5], exec
	s_and_b64 s[8:9], s[8:9], exec
	s_or_b64 s[4:5], s[4:5], s[8:9]
	s_or_b64 exec, exec, s[6:7]
	s_and_saveexec_b64 s[6:7], s[4:5]
	s_cbranch_execnz .LBB46_15
	s_branch .LBB46_16
.LBB46_2065:
	s_movk_i32 s4, 0x80
	v_cmp_eq_u16_e32 vcc, s4, v21
	s_mov_b64 s[4:5], -1
                                        ; implicit-def: $sgpr10
	s_and_saveexec_b64 s[8:9], vcc
; %bb.2066:
	s_mov_b32 s10, 0x7f800001
	s_xor_b64 s[4:5], exec, -1
; %bb.2067:
	s_or_b64 exec, exec, s[8:9]
	s_and_b64 s[4:5], s[4:5], exec
                                        ; implicit-def: $vgpr21
	s_or_saveexec_b64 s[6:7], s[6:7]
	v_mov_b32_e32 v20, s10
	s_xor_b64 exec, exec, s[6:7]
	s_cbranch_execz .LBB46_18
.LBB46_2068:
	v_cmp_ne_u16_e32 vcc, 0, v21
	s_andn2_b64 s[4:5], s[4:5], exec
	s_and_b64 s[8:9], vcc, exec
	v_mov_b32_e32 v20, 0
	s_or_b64 s[4:5], s[4:5], s[8:9]
	s_or_b64 exec, exec, s[6:7]
	s_and_saveexec_b64 s[6:7], s[4:5]
	s_cbranch_execnz .LBB46_19
	s_branch .LBB46_20
.LBB46_2069:
	s_movk_i32 s4, 0x80
	v_cmp_eq_u16_e32 vcc, s4, v21
	s_mov_b64 s[4:5], -1
                                        ; implicit-def: $sgpr10
	s_and_saveexec_b64 s[8:9], vcc
; %bb.2070:
	s_mov_b32 s10, 0x7f800001
	s_xor_b64 s[4:5], exec, -1
; %bb.2071:
	s_or_b64 exec, exec, s[8:9]
	s_and_b64 s[4:5], s[4:5], exec
                                        ; implicit-def: $vgpr21
	s_or_saveexec_b64 s[6:7], s[6:7]
	v_mov_b32_e32 v22, s10
	s_xor_b64 exec, exec, s[6:7]
	s_cbranch_execz .LBB46_22
.LBB46_2072:
	v_cmp_ne_u16_e32 vcc, 0, v21
	s_andn2_b64 s[4:5], s[4:5], exec
	s_and_b64 s[8:9], vcc, exec
	v_mov_b32_e32 v22, 0
	s_or_b64 s[4:5], s[4:5], s[8:9]
	s_or_b64 exec, exec, s[6:7]
	s_and_saveexec_b64 s[6:7], s[4:5]
	s_cbranch_execnz .LBB46_23
	s_branch .LBB46_24
.LBB46_2073:
	s_movk_i32 s4, 0x80
	v_cmp_eq_u16_sdwa s[12:13], v14, s4 src0_sel:BYTE_3 src1_sel:DWORD
	s_mov_b64 s[4:5], -1
                                        ; implicit-def: $sgpr10
	s_and_saveexec_b64 s[8:9], s[12:13]
; %bb.2074:
	s_mov_b32 s10, 0x7f800001
	s_xor_b64 s[4:5], exec, -1
; %bb.2075:
	s_or_b64 exec, exec, s[8:9]
	s_and_b64 s[4:5], s[4:5], exec
	s_or_saveexec_b64 s[6:7], s[6:7]
	v_mov_b32_e32 v20, s10
	s_xor_b64 exec, exec, s[6:7]
	s_cbranch_execz .LBB46_26
.LBB46_2076:
	v_mov_b32_e32 v20, 0
	v_cmp_ne_u16_sdwa s[8:9], v14, v20 src0_sel:BYTE_3 src1_sel:DWORD
	s_andn2_b64 s[4:5], s[4:5], exec
	s_and_b64 s[8:9], s[8:9], exec
	s_or_b64 s[4:5], s[4:5], s[8:9]
	s_or_b64 exec, exec, s[6:7]
	s_and_saveexec_b64 s[6:7], s[4:5]
	s_cbranch_execnz .LBB46_27
	s_branch .LBB46_28
.LBB46_2077:
	s_movk_i32 s4, 0x80
	v_cmp_eq_u16_sdwa s[12:13], v10, s4 src0_sel:BYTE_3 src1_sel:DWORD
	s_mov_b64 s[4:5], -1
                                        ; implicit-def: $sgpr10
	s_and_saveexec_b64 s[8:9], s[12:13]
; %bb.2078:
	s_mov_b32 s10, 0x7f800001
	s_xor_b64 s[4:5], exec, -1
; %bb.2079:
	s_or_b64 exec, exec, s[8:9]
	s_and_b64 s[4:5], s[4:5], exec
	s_or_saveexec_b64 s[6:7], s[6:7]
	v_mov_b32_e32 v14, s10
	s_xor_b64 exec, exec, s[6:7]
	s_cbranch_execz .LBB46_30
.LBB46_2080:
	v_mov_b32_e32 v14, 0
	v_cmp_ne_u16_sdwa s[8:9], v10, v14 src0_sel:BYTE_3 src1_sel:DWORD
	s_andn2_b64 s[4:5], s[4:5], exec
	s_and_b64 s[8:9], s[8:9], exec
	s_or_b64 s[4:5], s[4:5], s[8:9]
	s_or_b64 exec, exec, s[6:7]
	s_and_saveexec_b64 s[6:7], s[4:5]
	s_cbranch_execnz .LBB46_31
	s_branch .LBB46_32
.LBB46_2081:
	s_movk_i32 s4, 0x80
	v_cmp_eq_u16_sdwa s[12:13], v15, s4 src0_sel:BYTE_0 src1_sel:DWORD
	s_mov_b64 s[4:5], -1
                                        ; implicit-def: $sgpr10
	s_and_saveexec_b64 s[8:9], s[12:13]
; %bb.2082:
	s_mov_b32 s10, 0x7f800001
	s_xor_b64 s[4:5], exec, -1
; %bb.2083:
	s_or_b64 exec, exec, s[8:9]
	s_and_b64 s[4:5], s[4:5], exec
	s_or_saveexec_b64 s[6:7], s[6:7]
	v_mov_b32_e32 v10, s10
	s_xor_b64 exec, exec, s[6:7]
	s_cbranch_execz .LBB46_34
.LBB46_2084:
	v_mov_b32_e32 v10, 0
	v_cmp_ne_u16_sdwa s[8:9], v15, v10 src0_sel:BYTE_0 src1_sel:DWORD
	s_andn2_b64 s[4:5], s[4:5], exec
	s_and_b64 s[8:9], s[8:9], exec
	s_or_b64 s[4:5], s[4:5], s[8:9]
	s_or_b64 exec, exec, s[6:7]
	s_and_saveexec_b64 s[6:7], s[4:5]
	s_cbranch_execnz .LBB46_35
	s_branch .LBB46_36
.LBB46_2085:
	s_movk_i32 s4, 0x80
	v_cmp_eq_u16_sdwa s[12:13], v11, s4 src0_sel:BYTE_0 src1_sel:DWORD
	s_mov_b64 s[4:5], -1
                                        ; implicit-def: $sgpr10
	s_and_saveexec_b64 s[8:9], s[12:13]
; %bb.2086:
	s_mov_b32 s10, 0x7f800001
	s_xor_b64 s[4:5], exec, -1
; %bb.2087:
	s_or_b64 exec, exec, s[8:9]
	s_and_b64 s[4:5], s[4:5], exec
	s_or_saveexec_b64 s[6:7], s[6:7]
	v_mov_b32_e32 v14, s10
	s_xor_b64 exec, exec, s[6:7]
	s_cbranch_execz .LBB46_38
.LBB46_2088:
	v_mov_b32_e32 v14, 0
	v_cmp_ne_u16_sdwa s[8:9], v11, v14 src0_sel:BYTE_0 src1_sel:DWORD
	s_andn2_b64 s[4:5], s[4:5], exec
	s_and_b64 s[8:9], s[8:9], exec
	s_or_b64 s[4:5], s[4:5], s[8:9]
	s_or_b64 exec, exec, s[6:7]
	s_and_saveexec_b64 s[6:7], s[4:5]
	s_cbranch_execnz .LBB46_39
	s_branch .LBB46_40
.LBB46_2089:
	s_movk_i32 s4, 0x80
	v_cmp_eq_u16_sdwa s[12:13], v14, s4 src0_sel:BYTE_0 src1_sel:DWORD
	s_mov_b64 s[4:5], -1
                                        ; implicit-def: $sgpr10
	s_and_saveexec_b64 s[8:9], s[12:13]
; %bb.2090:
	s_mov_b32 s10, 0x7f800001
	s_xor_b64 s[4:5], exec, -1
; %bb.2091:
	s_or_b64 exec, exec, s[8:9]
	s_and_b64 s[4:5], s[4:5], exec
	s_or_saveexec_b64 s[6:7], s[6:7]
	v_mov_b32_e32 v10, s10
	s_xor_b64 exec, exec, s[6:7]
	s_cbranch_execz .LBB46_42
.LBB46_2092:
	v_mov_b32_e32 v10, 0
	v_cmp_ne_u16_sdwa s[8:9], v14, v10 src0_sel:BYTE_0 src1_sel:DWORD
	s_andn2_b64 s[4:5], s[4:5], exec
	s_and_b64 s[8:9], s[8:9], exec
	s_or_b64 s[4:5], s[4:5], s[8:9]
	s_or_b64 exec, exec, s[6:7]
	s_and_saveexec_b64 s[6:7], s[4:5]
	s_cbranch_execnz .LBB46_43
	s_branch .LBB46_44
.LBB46_2093:
	s_movk_i32 s4, 0x80
	v_cmp_eq_u16_sdwa s[12:13], v14, s4 src0_sel:BYTE_0 src1_sel:DWORD
	s_mov_b64 s[4:5], -1
                                        ; implicit-def: $sgpr10
	s_and_saveexec_b64 s[8:9], s[12:13]
; %bb.2094:
	s_mov_b32 s10, 0x7f800001
	s_xor_b64 s[4:5], exec, -1
; %bb.2095:
	s_or_b64 exec, exec, s[8:9]
	s_and_b64 s[4:5], s[4:5], exec
	s_or_saveexec_b64 s[6:7], s[6:7]
	v_mov_b32_e32 v20, s10
	s_xor_b64 exec, exec, s[6:7]
	s_cbranch_execz .LBB46_46
.LBB46_2096:
	v_mov_b32_e32 v20, 0
	v_cmp_ne_u16_sdwa s[8:9], v14, v20 src0_sel:BYTE_0 src1_sel:DWORD
	s_andn2_b64 s[4:5], s[4:5], exec
	s_and_b64 s[8:9], s[8:9], exec
	s_or_b64 s[4:5], s[4:5], s[8:9]
	s_or_b64 exec, exec, s[6:7]
	s_and_saveexec_b64 s[6:7], s[4:5]
	s_cbranch_execnz .LBB46_47
	s_branch .LBB46_48
.LBB46_2097:
	s_movk_i32 s4, 0x80
	v_cmp_eq_u16_e32 vcc, s4, v14
	s_mov_b64 s[4:5], -1
                                        ; implicit-def: $sgpr10
	s_and_saveexec_b64 s[8:9], vcc
; %bb.2098:
	s_mov_b32 s10, 0x7f800001
	s_xor_b64 s[4:5], exec, -1
; %bb.2099:
	s_or_b64 exec, exec, s[8:9]
	s_and_b64 s[4:5], s[4:5], exec
                                        ; implicit-def: $vgpr14
	s_or_saveexec_b64 s[6:7], s[6:7]
	v_mov_b32_e32 v10, s10
	s_xor_b64 exec, exec, s[6:7]
	s_cbranch_execz .LBB46_50
.LBB46_2100:
	v_cmp_ne_u16_e32 vcc, 0, v14
	s_andn2_b64 s[4:5], s[4:5], exec
	s_and_b64 s[8:9], vcc, exec
	v_mov_b32_e32 v10, 0
	s_or_b64 s[4:5], s[4:5], s[8:9]
	s_or_b64 exec, exec, s[6:7]
	s_and_saveexec_b64 s[6:7], s[4:5]
	s_cbranch_execnz .LBB46_51
	s_branch .LBB46_52
.LBB46_2101:
	s_movk_i32 s4, 0x80
	v_cmp_eq_u16_e32 vcc, s4, v14
	s_mov_b64 s[4:5], -1
                                        ; implicit-def: $sgpr10
	s_and_saveexec_b64 s[8:9], vcc
; %bb.2102:
	s_mov_b32 s10, 0x7f800001
	s_xor_b64 s[4:5], exec, -1
; %bb.2103:
	s_or_b64 exec, exec, s[8:9]
	s_and_b64 s[4:5], s[4:5], exec
                                        ; implicit-def: $vgpr14
	s_or_saveexec_b64 s[6:7], s[6:7]
	v_mov_b32_e32 v20, s10
	s_xor_b64 exec, exec, s[6:7]
	s_cbranch_execz .LBB46_54
.LBB46_2104:
	v_cmp_ne_u16_e32 vcc, 0, v14
	s_andn2_b64 s[4:5], s[4:5], exec
	s_and_b64 s[8:9], vcc, exec
	v_mov_b32_e32 v20, 0
	s_or_b64 s[4:5], s[4:5], s[8:9]
	s_or_b64 exec, exec, s[6:7]
	s_and_saveexec_b64 s[6:7], s[4:5]
	s_cbranch_execnz .LBB46_55
	s_branch .LBB46_56
.LBB46_2105:
	s_movk_i32 s4, 0x80
	v_cmp_eq_u16_sdwa s[12:13], v15, s4 src0_sel:BYTE_3 src1_sel:DWORD
	s_mov_b64 s[4:5], -1
                                        ; implicit-def: $sgpr10
	s_and_saveexec_b64 s[8:9], s[12:13]
; %bb.2106:
	s_mov_b32 s10, 0x7f800001
	s_xor_b64 s[4:5], exec, -1
; %bb.2107:
	s_or_b64 exec, exec, s[8:9]
	s_and_b64 s[4:5], s[4:5], exec
	s_or_saveexec_b64 s[6:7], s[6:7]
	v_mov_b32_e32 v10, s10
	s_xor_b64 exec, exec, s[6:7]
	s_cbranch_execz .LBB46_58
.LBB46_2108:
	v_mov_b32_e32 v10, 0
	v_cmp_ne_u16_sdwa s[8:9], v15, v10 src0_sel:BYTE_3 src1_sel:DWORD
	s_andn2_b64 s[4:5], s[4:5], exec
	s_and_b64 s[8:9], s[8:9], exec
	s_or_b64 s[4:5], s[4:5], s[8:9]
	s_or_b64 exec, exec, s[6:7]
	s_and_saveexec_b64 s[6:7], s[4:5]
	s_cbranch_execnz .LBB46_59
	s_branch .LBB46_60
.LBB46_2109:
	s_movk_i32 s4, 0x80
	v_cmp_eq_u16_sdwa s[12:13], v11, s4 src0_sel:BYTE_3 src1_sel:DWORD
	s_mov_b64 s[4:5], -1
                                        ; implicit-def: $sgpr10
	s_and_saveexec_b64 s[8:9], s[12:13]
; %bb.2110:
	s_mov_b32 s10, 0x7f800001
	s_xor_b64 s[4:5], exec, -1
; %bb.2111:
	s_or_b64 exec, exec, s[8:9]
	s_and_b64 s[4:5], s[4:5], exec
	s_or_saveexec_b64 s[6:7], s[6:7]
	v_mov_b32_e32 v14, s10
	s_xor_b64 exec, exec, s[6:7]
	s_cbranch_execz .LBB46_62
.LBB46_2112:
	v_mov_b32_e32 v14, 0
	v_cmp_ne_u16_sdwa s[8:9], v11, v14 src0_sel:BYTE_3 src1_sel:DWORD
	s_andn2_b64 s[4:5], s[4:5], exec
	s_and_b64 s[8:9], s[8:9], exec
	s_or_b64 s[4:5], s[4:5], s[8:9]
	s_or_b64 exec, exec, s[6:7]
	s_and_saveexec_b64 s[6:7], s[4:5]
	s_cbranch_execnz .LBB46_63
	s_branch .LBB46_64
.LBB46_2113:
	s_movk_i32 s4, 0x80
	v_cmp_eq_u16_sdwa s[12:13], v16, s4 src0_sel:BYTE_0 src1_sel:DWORD
	s_mov_b64 s[4:5], -1
                                        ; implicit-def: $sgpr10
	s_and_saveexec_b64 s[8:9], s[12:13]
; %bb.2114:
	s_mov_b32 s10, 0x7f800001
	s_xor_b64 s[4:5], exec, -1
; %bb.2115:
	s_or_b64 exec, exec, s[8:9]
	s_and_b64 s[4:5], s[4:5], exec
	s_or_saveexec_b64 s[6:7], s[6:7]
	v_mov_b32_e32 v10, s10
	s_xor_b64 exec, exec, s[6:7]
	s_cbranch_execz .LBB46_66
.LBB46_2116:
	v_mov_b32_e32 v10, 0
	v_cmp_ne_u16_sdwa s[8:9], v16, v10 src0_sel:BYTE_0 src1_sel:DWORD
	s_andn2_b64 s[4:5], s[4:5], exec
	s_and_b64 s[8:9], s[8:9], exec
	s_or_b64 s[4:5], s[4:5], s[8:9]
	s_or_b64 exec, exec, s[6:7]
	s_and_saveexec_b64 s[6:7], s[4:5]
	s_cbranch_execnz .LBB46_67
	s_branch .LBB46_68
.LBB46_2117:
	s_movk_i32 s4, 0x80
	v_cmp_eq_u16_sdwa s[12:13], v12, s4 src0_sel:BYTE_0 src1_sel:DWORD
	s_mov_b64 s[4:5], -1
                                        ; implicit-def: $sgpr10
	s_and_saveexec_b64 s[8:9], s[12:13]
; %bb.2118:
	s_mov_b32 s10, 0x7f800001
	s_xor_b64 s[4:5], exec, -1
; %bb.2119:
	s_or_b64 exec, exec, s[8:9]
	s_and_b64 s[4:5], s[4:5], exec
	s_or_saveexec_b64 s[6:7], s[6:7]
	v_mov_b32_e32 v11, s10
	s_xor_b64 exec, exec, s[6:7]
	s_cbranch_execz .LBB46_70
.LBB46_2120:
	v_mov_b32_e32 v11, 0
	v_cmp_ne_u16_sdwa s[8:9], v12, v11 src0_sel:BYTE_0 src1_sel:DWORD
	s_andn2_b64 s[4:5], s[4:5], exec
	s_and_b64 s[8:9], s[8:9], exec
	s_or_b64 s[4:5], s[4:5], s[8:9]
	s_or_b64 exec, exec, s[6:7]
	s_and_saveexec_b64 s[6:7], s[4:5]
	s_cbranch_execnz .LBB46_71
	s_branch .LBB46_72
.LBB46_2121:
	s_movk_i32 s4, 0x80
	v_cmp_eq_u16_sdwa s[12:13], v11, s4 src0_sel:BYTE_0 src1_sel:DWORD
	s_mov_b64 s[4:5], -1
                                        ; implicit-def: $sgpr10
	s_and_saveexec_b64 s[8:9], s[12:13]
; %bb.2122:
	s_mov_b32 s10, 0x7f800001
	s_xor_b64 s[4:5], exec, -1
; %bb.2123:
	s_or_b64 exec, exec, s[8:9]
	s_and_b64 s[4:5], s[4:5], exec
	s_or_saveexec_b64 s[6:7], s[6:7]
	v_mov_b32_e32 v10, s10
	s_xor_b64 exec, exec, s[6:7]
	s_cbranch_execz .LBB46_74
.LBB46_2124:
	v_mov_b32_e32 v10, 0
	v_cmp_ne_u16_sdwa s[8:9], v11, v10 src0_sel:BYTE_0 src1_sel:DWORD
	s_andn2_b64 s[4:5], s[4:5], exec
	s_and_b64 s[8:9], s[8:9], exec
	s_or_b64 s[4:5], s[4:5], s[8:9]
	s_or_b64 exec, exec, s[6:7]
	s_and_saveexec_b64 s[6:7], s[4:5]
	s_cbranch_execnz .LBB46_75
	s_branch .LBB46_76
.LBB46_2125:
	s_movk_i32 s4, 0x80
	v_cmp_eq_u16_sdwa s[12:13], v11, s4 src0_sel:BYTE_0 src1_sel:DWORD
	s_mov_b64 s[4:5], -1
                                        ; implicit-def: $sgpr10
	s_and_saveexec_b64 s[8:9], s[12:13]
; %bb.2126:
	s_mov_b32 s10, 0x7f800001
	s_xor_b64 s[4:5], exec, -1
; %bb.2127:
	s_or_b64 exec, exec, s[8:9]
	s_and_b64 s[4:5], s[4:5], exec
	s_or_saveexec_b64 s[6:7], s[6:7]
	v_mov_b32_e32 v14, s10
	s_xor_b64 exec, exec, s[6:7]
	s_cbranch_execz .LBB46_78
.LBB46_2128:
	v_mov_b32_e32 v14, 0
	v_cmp_ne_u16_sdwa s[8:9], v11, v14 src0_sel:BYTE_0 src1_sel:DWORD
	s_andn2_b64 s[4:5], s[4:5], exec
	s_and_b64 s[8:9], s[8:9], exec
	s_or_b64 s[4:5], s[4:5], s[8:9]
	s_or_b64 exec, exec, s[6:7]
	s_and_saveexec_b64 s[6:7], s[4:5]
	s_cbranch_execnz .LBB46_79
	s_branch .LBB46_80
.LBB46_2129:
	s_movk_i32 s4, 0x80
	v_cmp_eq_u16_e32 vcc, s4, v11
	s_mov_b64 s[4:5], -1
                                        ; implicit-def: $sgpr10
	s_and_saveexec_b64 s[8:9], vcc
; %bb.2130:
	s_mov_b32 s10, 0x7f800001
	s_xor_b64 s[4:5], exec, -1
; %bb.2131:
	s_or_b64 exec, exec, s[8:9]
	s_and_b64 s[4:5], s[4:5], exec
                                        ; implicit-def: $vgpr11
	s_or_saveexec_b64 s[6:7], s[6:7]
	v_mov_b32_e32 v10, s10
	s_xor_b64 exec, exec, s[6:7]
	s_cbranch_execz .LBB46_82
.LBB46_2132:
	v_cmp_ne_u16_e32 vcc, 0, v11
	s_andn2_b64 s[4:5], s[4:5], exec
	s_and_b64 s[8:9], vcc, exec
	v_mov_b32_e32 v10, 0
	s_or_b64 s[4:5], s[4:5], s[8:9]
	s_or_b64 exec, exec, s[6:7]
	s_and_saveexec_b64 s[6:7], s[4:5]
	s_cbranch_execnz .LBB46_83
	s_branch .LBB46_84
.LBB46_2133:
	s_movk_i32 s4, 0x80
	v_cmp_eq_u16_e32 vcc, s4, v11
	s_mov_b64 s[4:5], -1
                                        ; implicit-def: $sgpr10
	s_and_saveexec_b64 s[8:9], vcc
; %bb.2134:
	s_mov_b32 s10, 0x7f800001
	s_xor_b64 s[4:5], exec, -1
; %bb.2135:
	s_or_b64 exec, exec, s[8:9]
	s_and_b64 s[4:5], s[4:5], exec
                                        ; implicit-def: $vgpr11
	s_or_saveexec_b64 s[6:7], s[6:7]
	v_mov_b32_e32 v14, s10
	s_xor_b64 exec, exec, s[6:7]
	s_cbranch_execz .LBB46_86
.LBB46_2136:
	v_cmp_ne_u16_e32 vcc, 0, v11
	s_andn2_b64 s[4:5], s[4:5], exec
	s_and_b64 s[8:9], vcc, exec
	v_mov_b32_e32 v14, 0
	s_or_b64 s[4:5], s[4:5], s[8:9]
	s_or_b64 exec, exec, s[6:7]
	s_and_saveexec_b64 s[6:7], s[4:5]
	s_cbranch_execnz .LBB46_87
	s_branch .LBB46_88
.LBB46_2137:
	s_movk_i32 s4, 0x80
	v_cmp_eq_u16_sdwa s[12:13], v16, s4 src0_sel:BYTE_3 src1_sel:DWORD
	s_mov_b64 s[4:5], -1
                                        ; implicit-def: $sgpr10
	s_and_saveexec_b64 s[8:9], s[12:13]
; %bb.2138:
	s_mov_b32 s10, 0x7f800001
	s_xor_b64 s[4:5], exec, -1
; %bb.2139:
	s_or_b64 exec, exec, s[8:9]
	s_and_b64 s[4:5], s[4:5], exec
	s_or_saveexec_b64 s[6:7], s[6:7]
	v_mov_b32_e32 v10, s10
	s_xor_b64 exec, exec, s[6:7]
	s_cbranch_execz .LBB46_90
.LBB46_2140:
	v_mov_b32_e32 v10, 0
	v_cmp_ne_u16_sdwa s[8:9], v16, v10 src0_sel:BYTE_3 src1_sel:DWORD
	s_andn2_b64 s[4:5], s[4:5], exec
	s_and_b64 s[8:9], s[8:9], exec
	s_or_b64 s[4:5], s[4:5], s[8:9]
	s_or_b64 exec, exec, s[6:7]
	s_and_saveexec_b64 s[6:7], s[4:5]
	s_cbranch_execnz .LBB46_91
	s_branch .LBB46_92
.LBB46_2141:
	s_movk_i32 s4, 0x80
	v_cmp_eq_u16_sdwa s[12:13], v12, s4 src0_sel:BYTE_3 src1_sel:DWORD
	s_mov_b64 s[4:5], -1
                                        ; implicit-def: $sgpr10
	s_and_saveexec_b64 s[8:9], s[12:13]
; %bb.2142:
	s_mov_b32 s10, 0x7f800001
	s_xor_b64 s[4:5], exec, -1
; %bb.2143:
	s_or_b64 exec, exec, s[8:9]
	s_and_b64 s[4:5], s[4:5], exec
	s_or_saveexec_b64 s[6:7], s[6:7]
	v_mov_b32_e32 v11, s10
	s_xor_b64 exec, exec, s[6:7]
	s_cbranch_execz .LBB46_94
.LBB46_2144:
	v_mov_b32_e32 v11, 0
	v_cmp_ne_u16_sdwa s[8:9], v12, v11 src0_sel:BYTE_3 src1_sel:DWORD
	s_andn2_b64 s[4:5], s[4:5], exec
	s_and_b64 s[8:9], s[8:9], exec
	s_or_b64 s[4:5], s[4:5], s[8:9]
	s_or_b64 exec, exec, s[6:7]
	s_and_saveexec_b64 s[6:7], s[4:5]
	s_cbranch_execnz .LBB46_95
	s_branch .LBB46_96
.LBB46_2145:
	s_movk_i32 s4, 0x80
	v_cmp_eq_u16_sdwa s[12:13], v17, s4 src0_sel:BYTE_0 src1_sel:DWORD
	s_mov_b64 s[4:5], -1
                                        ; implicit-def: $sgpr10
	s_and_saveexec_b64 s[8:9], s[12:13]
; %bb.2146:
	s_mov_b32 s10, 0x7f800001
	s_xor_b64 s[4:5], exec, -1
; %bb.2147:
	s_or_b64 exec, exec, s[8:9]
	s_and_b64 s[4:5], s[4:5], exec
	s_or_saveexec_b64 s[6:7], s[6:7]
	v_mov_b32_e32 v10, s10
	s_xor_b64 exec, exec, s[6:7]
	s_cbranch_execz .LBB46_98
.LBB46_2148:
	v_mov_b32_e32 v10, 0
	v_cmp_ne_u16_sdwa s[8:9], v17, v10 src0_sel:BYTE_0 src1_sel:DWORD
	s_andn2_b64 s[4:5], s[4:5], exec
	s_and_b64 s[8:9], s[8:9], exec
	s_or_b64 s[4:5], s[4:5], s[8:9]
	s_or_b64 exec, exec, s[6:7]
	s_and_saveexec_b64 s[6:7], s[4:5]
	s_cbranch_execnz .LBB46_99
	s_branch .LBB46_100
.LBB46_2149:
	s_movk_i32 s4, 0x80
	v_cmp_eq_u16_sdwa s[12:13], v13, s4 src0_sel:BYTE_0 src1_sel:DWORD
	s_mov_b64 s[4:5], -1
                                        ; implicit-def: $sgpr10
	s_and_saveexec_b64 s[8:9], s[12:13]
; %bb.2150:
	s_mov_b32 s10, 0x7f800001
	s_xor_b64 s[4:5], exec, -1
; %bb.2151:
	s_or_b64 exec, exec, s[8:9]
	s_and_b64 s[4:5], s[4:5], exec
	s_or_saveexec_b64 s[6:7], s[6:7]
	v_mov_b32_e32 v11, s10
	s_xor_b64 exec, exec, s[6:7]
	s_cbranch_execz .LBB46_102
.LBB46_2152:
	v_mov_b32_e32 v11, 0
	v_cmp_ne_u16_sdwa s[8:9], v13, v11 src0_sel:BYTE_0 src1_sel:DWORD
	s_andn2_b64 s[4:5], s[4:5], exec
	s_and_b64 s[8:9], s[8:9], exec
	s_or_b64 s[4:5], s[4:5], s[8:9]
	s_or_b64 exec, exec, s[6:7]
	s_and_saveexec_b64 s[6:7], s[4:5]
	s_cbranch_execnz .LBB46_103
	s_branch .LBB46_104
.LBB46_2153:
	s_movk_i32 s4, 0x80
	v_cmp_eq_u16_sdwa s[12:13], v11, s4 src0_sel:BYTE_0 src1_sel:DWORD
	s_mov_b64 s[4:5], -1
                                        ; implicit-def: $sgpr10
	s_and_saveexec_b64 s[8:9], s[12:13]
; %bb.2154:
	s_mov_b32 s10, 0x7f800001
	s_xor_b64 s[4:5], exec, -1
; %bb.2155:
	s_or_b64 exec, exec, s[8:9]
	s_and_b64 s[4:5], s[4:5], exec
	s_or_saveexec_b64 s[6:7], s[6:7]
	v_mov_b32_e32 v10, s10
	s_xor_b64 exec, exec, s[6:7]
	s_cbranch_execz .LBB46_106
.LBB46_2156:
	v_mov_b32_e32 v10, 0
	v_cmp_ne_u16_sdwa s[8:9], v11, v10 src0_sel:BYTE_0 src1_sel:DWORD
	s_andn2_b64 s[4:5], s[4:5], exec
	s_and_b64 s[8:9], s[8:9], exec
	s_or_b64 s[4:5], s[4:5], s[8:9]
	s_or_b64 exec, exec, s[6:7]
	s_and_saveexec_b64 s[6:7], s[4:5]
	s_cbranch_execnz .LBB46_107
	s_branch .LBB46_108
.LBB46_2157:
	s_movk_i32 s4, 0x80
	v_cmp_eq_u16_sdwa s[12:13], v11, s4 src0_sel:BYTE_0 src1_sel:DWORD
	s_mov_b64 s[4:5], -1
                                        ; implicit-def: $sgpr10
	s_and_saveexec_b64 s[8:9], s[12:13]
; %bb.2158:
	s_mov_b32 s10, 0x7f800001
	s_xor_b64 s[4:5], exec, -1
; %bb.2159:
	s_or_b64 exec, exec, s[8:9]
	s_and_b64 s[4:5], s[4:5], exec
	s_or_saveexec_b64 s[6:7], s[6:7]
	v_mov_b32_e32 v12, s10
	s_xor_b64 exec, exec, s[6:7]
	s_cbranch_execz .LBB46_110
.LBB46_2160:
	v_mov_b32_e32 v12, 0
	v_cmp_ne_u16_sdwa s[8:9], v11, v12 src0_sel:BYTE_0 src1_sel:DWORD
	s_andn2_b64 s[4:5], s[4:5], exec
	s_and_b64 s[8:9], s[8:9], exec
	s_or_b64 s[4:5], s[4:5], s[8:9]
	s_or_b64 exec, exec, s[6:7]
	s_and_saveexec_b64 s[6:7], s[4:5]
	s_cbranch_execnz .LBB46_111
	s_branch .LBB46_112
.LBB46_2161:
	s_movk_i32 s4, 0x80
	v_cmp_eq_u16_e32 vcc, s4, v11
	s_mov_b64 s[4:5], -1
                                        ; implicit-def: $sgpr10
	s_and_saveexec_b64 s[8:9], vcc
; %bb.2162:
	s_mov_b32 s10, 0x7f800001
	s_xor_b64 s[4:5], exec, -1
; %bb.2163:
	s_or_b64 exec, exec, s[8:9]
	s_and_b64 s[4:5], s[4:5], exec
                                        ; implicit-def: $vgpr11
	s_or_saveexec_b64 s[6:7], s[6:7]
	v_mov_b32_e32 v10, s10
	s_xor_b64 exec, exec, s[6:7]
	s_cbranch_execz .LBB46_114
.LBB46_2164:
	v_cmp_ne_u16_e32 vcc, 0, v11
	s_andn2_b64 s[4:5], s[4:5], exec
	s_and_b64 s[8:9], vcc, exec
	v_mov_b32_e32 v10, 0
	s_or_b64 s[4:5], s[4:5], s[8:9]
	s_or_b64 exec, exec, s[6:7]
	s_and_saveexec_b64 s[6:7], s[4:5]
	s_cbranch_execnz .LBB46_115
	s_branch .LBB46_116
.LBB46_2165:
	s_movk_i32 s4, 0x80
	v_cmp_eq_u16_e32 vcc, s4, v11
	s_mov_b64 s[4:5], -1
                                        ; implicit-def: $sgpr10
	s_and_saveexec_b64 s[8:9], vcc
; %bb.2166:
	s_mov_b32 s10, 0x7f800001
	s_xor_b64 s[4:5], exec, -1
; %bb.2167:
	s_or_b64 exec, exec, s[8:9]
	s_and_b64 s[4:5], s[4:5], exec
                                        ; implicit-def: $vgpr11
	s_or_saveexec_b64 s[6:7], s[6:7]
	v_mov_b32_e32 v12, s10
	s_xor_b64 exec, exec, s[6:7]
	s_cbranch_execz .LBB46_118
.LBB46_2168:
	v_cmp_ne_u16_e32 vcc, 0, v11
	s_andn2_b64 s[4:5], s[4:5], exec
	s_and_b64 s[8:9], vcc, exec
	v_mov_b32_e32 v12, 0
	s_or_b64 s[4:5], s[4:5], s[8:9]
	s_or_b64 exec, exec, s[6:7]
	s_and_saveexec_b64 s[6:7], s[4:5]
	s_cbranch_execnz .LBB46_119
	s_branch .LBB46_120
.LBB46_2169:
	s_movk_i32 s4, 0x80
	v_cmp_eq_u16_sdwa s[12:13], v17, s4 src0_sel:BYTE_3 src1_sel:DWORD
	s_mov_b64 s[4:5], -1
                                        ; implicit-def: $sgpr10
	s_and_saveexec_b64 s[8:9], s[12:13]
; %bb.2170:
	s_mov_b32 s10, 0x7f800001
	s_xor_b64 s[4:5], exec, -1
; %bb.2171:
	s_or_b64 exec, exec, s[8:9]
	s_and_b64 s[4:5], s[4:5], exec
	s_or_saveexec_b64 s[6:7], s[6:7]
	v_mov_b32_e32 v10, s10
	s_xor_b64 exec, exec, s[6:7]
	s_cbranch_execz .LBB46_122
.LBB46_2172:
	v_mov_b32_e32 v10, 0
	v_cmp_ne_u16_sdwa s[8:9], v17, v10 src0_sel:BYTE_3 src1_sel:DWORD
	s_andn2_b64 s[4:5], s[4:5], exec
	s_and_b64 s[8:9], s[8:9], exec
	s_or_b64 s[4:5], s[4:5], s[8:9]
	s_or_b64 exec, exec, s[6:7]
	s_and_saveexec_b64 s[6:7], s[4:5]
	s_cbranch_execnz .LBB46_123
	s_branch .LBB46_124
.LBB46_2173:
	s_movk_i32 s4, 0x80
	v_cmp_eq_u16_sdwa s[12:13], v13, s4 src0_sel:BYTE_3 src1_sel:DWORD
	s_mov_b64 s[4:5], -1
                                        ; implicit-def: $sgpr10
	s_and_saveexec_b64 s[8:9], s[12:13]
; %bb.2174:
	s_mov_b32 s10, 0x7f800001
	s_xor_b64 s[4:5], exec, -1
; %bb.2175:
	s_or_b64 exec, exec, s[8:9]
	s_and_b64 s[4:5], s[4:5], exec
	s_or_saveexec_b64 s[6:7], s[6:7]
	v_mov_b32_e32 v11, s10
	s_xor_b64 exec, exec, s[6:7]
	s_cbranch_execz .LBB46_126
.LBB46_2176:
	v_mov_b32_e32 v11, 0
	v_cmp_ne_u16_sdwa s[8:9], v13, v11 src0_sel:BYTE_3 src1_sel:DWORD
	s_andn2_b64 s[4:5], s[4:5], exec
	s_and_b64 s[8:9], s[8:9], exec
	s_or_b64 s[4:5], s[4:5], s[8:9]
	s_or_b64 exec, exec, s[6:7]
	s_and_saveexec_b64 s[6:7], s[4:5]
	s_cbranch_execnz .LBB46_127
	s_branch .LBB46_128
.LBB46_2177:
	s_movk_i32 s4, 0x80
	v_cmp_eq_u16_sdwa s[12:13], v6, s4 src0_sel:BYTE_0 src1_sel:DWORD
	s_mov_b64 s[4:5], -1
                                        ; implicit-def: $sgpr10
	s_and_saveexec_b64 s[8:9], s[12:13]
; %bb.2178:
	s_mov_b32 s10, 0x7f800001
	s_xor_b64 s[4:5], exec, -1
; %bb.2179:
	s_or_b64 exec, exec, s[8:9]
	s_and_b64 s[4:5], s[4:5], exec
	s_or_saveexec_b64 s[6:7], s[6:7]
	v_mov_b32_e32 v10, s10
	s_xor_b64 exec, exec, s[6:7]
	s_cbranch_execz .LBB46_130
.LBB46_2180:
	v_mov_b32_e32 v10, 0
	v_cmp_ne_u16_sdwa s[8:9], v6, v10 src0_sel:BYTE_0 src1_sel:DWORD
	s_andn2_b64 s[4:5], s[4:5], exec
	s_and_b64 s[8:9], s[8:9], exec
	s_or_b64 s[4:5], s[4:5], s[8:9]
	s_or_b64 exec, exec, s[6:7]
	s_and_saveexec_b64 s[6:7], s[4:5]
	s_cbranch_execnz .LBB46_131
	s_branch .LBB46_132
.LBB46_2181:
	s_movk_i32 s4, 0x80
	v_cmp_eq_u16_sdwa s[12:13], v2, s4 src0_sel:BYTE_0 src1_sel:DWORD
	s_mov_b64 s[4:5], -1
                                        ; implicit-def: $sgpr10
	s_and_saveexec_b64 s[8:9], s[12:13]
; %bb.2182:
	s_mov_b32 s10, 0x7f800001
	s_xor_b64 s[4:5], exec, -1
; %bb.2183:
	s_or_b64 exec, exec, s[8:9]
	s_and_b64 s[4:5], s[4:5], exec
	s_or_saveexec_b64 s[6:7], s[6:7]
	v_mov_b32_e32 v11, s10
	s_xor_b64 exec, exec, s[6:7]
	s_cbranch_execz .LBB46_134
.LBB46_2184:
	v_mov_b32_e32 v11, 0
	v_cmp_ne_u16_sdwa s[8:9], v2, v11 src0_sel:BYTE_0 src1_sel:DWORD
	s_andn2_b64 s[4:5], s[4:5], exec
	s_and_b64 s[8:9], s[8:9], exec
	s_or_b64 s[4:5], s[4:5], s[8:9]
	s_or_b64 exec, exec, s[6:7]
	s_and_saveexec_b64 s[6:7], s[4:5]
	s_cbranch_execnz .LBB46_135
	s_branch .LBB46_136
.LBB46_2185:
	s_movk_i32 s4, 0x80
	v_cmp_eq_u16_sdwa s[12:13], v11, s4 src0_sel:BYTE_0 src1_sel:DWORD
	s_mov_b64 s[4:5], -1
                                        ; implicit-def: $sgpr10
	s_and_saveexec_b64 s[8:9], s[12:13]
; %bb.2186:
	s_mov_b32 s10, 0x7f800001
	s_xor_b64 s[4:5], exec, -1
; %bb.2187:
	s_or_b64 exec, exec, s[8:9]
	s_and_b64 s[4:5], s[4:5], exec
	s_or_saveexec_b64 s[6:7], s[6:7]
	v_mov_b32_e32 v10, s10
	s_xor_b64 exec, exec, s[6:7]
	s_cbranch_execz .LBB46_138
.LBB46_2188:
	v_mov_b32_e32 v10, 0
	v_cmp_ne_u16_sdwa s[8:9], v11, v10 src0_sel:BYTE_0 src1_sel:DWORD
	s_andn2_b64 s[4:5], s[4:5], exec
	s_and_b64 s[8:9], s[8:9], exec
	s_or_b64 s[4:5], s[4:5], s[8:9]
	s_or_b64 exec, exec, s[6:7]
	s_and_saveexec_b64 s[6:7], s[4:5]
	s_cbranch_execnz .LBB46_139
	s_branch .LBB46_140
.LBB46_2189:
	s_movk_i32 s4, 0x80
	v_cmp_eq_u16_sdwa s[12:13], v11, s4 src0_sel:BYTE_0 src1_sel:DWORD
	s_mov_b64 s[4:5], -1
                                        ; implicit-def: $sgpr10
	s_and_saveexec_b64 s[8:9], s[12:13]
; %bb.2190:
	s_mov_b32 s10, 0x7f800001
	s_xor_b64 s[4:5], exec, -1
; %bb.2191:
	s_or_b64 exec, exec, s[8:9]
	s_and_b64 s[4:5], s[4:5], exec
	s_or_saveexec_b64 s[6:7], s[6:7]
	v_mov_b32_e32 v12, s10
	s_xor_b64 exec, exec, s[6:7]
	s_cbranch_execz .LBB46_142
.LBB46_2192:
	v_mov_b32_e32 v12, 0
	v_cmp_ne_u16_sdwa s[8:9], v11, v12 src0_sel:BYTE_0 src1_sel:DWORD
	s_andn2_b64 s[4:5], s[4:5], exec
	s_and_b64 s[8:9], s[8:9], exec
	s_or_b64 s[4:5], s[4:5], s[8:9]
	s_or_b64 exec, exec, s[6:7]
	s_and_saveexec_b64 s[6:7], s[4:5]
	s_cbranch_execnz .LBB46_143
	s_branch .LBB46_144
.LBB46_2193:
	s_movk_i32 s4, 0x80
	v_cmp_eq_u16_e32 vcc, s4, v11
	s_mov_b64 s[4:5], -1
                                        ; implicit-def: $sgpr10
	s_and_saveexec_b64 s[8:9], vcc
; %bb.2194:
	s_mov_b32 s10, 0x7f800001
	s_xor_b64 s[4:5], exec, -1
; %bb.2195:
	s_or_b64 exec, exec, s[8:9]
	s_and_b64 s[4:5], s[4:5], exec
                                        ; implicit-def: $vgpr11
	s_or_saveexec_b64 s[6:7], s[6:7]
	v_mov_b32_e32 v10, s10
	s_xor_b64 exec, exec, s[6:7]
	s_cbranch_execz .LBB46_146
.LBB46_2196:
	v_cmp_ne_u16_e32 vcc, 0, v11
	s_andn2_b64 s[4:5], s[4:5], exec
	s_and_b64 s[8:9], vcc, exec
	v_mov_b32_e32 v10, 0
	s_or_b64 s[4:5], s[4:5], s[8:9]
	s_or_b64 exec, exec, s[6:7]
	s_and_saveexec_b64 s[6:7], s[4:5]
	s_cbranch_execnz .LBB46_147
	s_branch .LBB46_148
.LBB46_2197:
	s_movk_i32 s4, 0x80
	v_cmp_eq_u16_e32 vcc, s4, v11
	s_mov_b64 s[4:5], -1
                                        ; implicit-def: $sgpr10
	s_and_saveexec_b64 s[8:9], vcc
; %bb.2198:
	s_mov_b32 s10, 0x7f800001
	s_xor_b64 s[4:5], exec, -1
; %bb.2199:
	s_or_b64 exec, exec, s[8:9]
	s_and_b64 s[4:5], s[4:5], exec
                                        ; implicit-def: $vgpr11
	s_or_saveexec_b64 s[6:7], s[6:7]
	v_mov_b32_e32 v12, s10
	s_xor_b64 exec, exec, s[6:7]
	s_cbranch_execz .LBB46_150
.LBB46_2200:
	v_cmp_ne_u16_e32 vcc, 0, v11
	s_andn2_b64 s[4:5], s[4:5], exec
	s_and_b64 s[8:9], vcc, exec
	v_mov_b32_e32 v12, 0
	s_or_b64 s[4:5], s[4:5], s[8:9]
	s_or_b64 exec, exec, s[6:7]
	s_and_saveexec_b64 s[6:7], s[4:5]
	s_cbranch_execnz .LBB46_151
	s_branch .LBB46_152
.LBB46_2201:
	s_movk_i32 s4, 0x80
	v_cmp_eq_u16_sdwa s[12:13], v6, s4 src0_sel:BYTE_3 src1_sel:DWORD
	s_mov_b64 s[4:5], -1
                                        ; implicit-def: $sgpr10
	s_and_saveexec_b64 s[8:9], s[12:13]
; %bb.2202:
	s_mov_b32 s10, 0x7f800001
	s_xor_b64 s[4:5], exec, -1
; %bb.2203:
	s_or_b64 exec, exec, s[8:9]
	s_and_b64 s[4:5], s[4:5], exec
	s_or_saveexec_b64 s[6:7], s[6:7]
	v_mov_b32_e32 v10, s10
	s_xor_b64 exec, exec, s[6:7]
	s_cbranch_execz .LBB46_154
.LBB46_2204:
	v_mov_b32_e32 v10, 0
	v_cmp_ne_u16_sdwa s[8:9], v6, v10 src0_sel:BYTE_3 src1_sel:DWORD
	s_andn2_b64 s[4:5], s[4:5], exec
	s_and_b64 s[8:9], s[8:9], exec
	s_or_b64 s[4:5], s[4:5], s[8:9]
	s_or_b64 exec, exec, s[6:7]
	s_and_saveexec_b64 s[6:7], s[4:5]
	s_cbranch_execnz .LBB46_155
	s_branch .LBB46_156
.LBB46_2205:
	s_movk_i32 s4, 0x80
	v_cmp_eq_u16_sdwa s[12:13], v2, s4 src0_sel:BYTE_3 src1_sel:DWORD
	s_mov_b64 s[4:5], -1
                                        ; implicit-def: $sgpr10
	s_and_saveexec_b64 s[8:9], s[12:13]
; %bb.2206:
	s_mov_b32 s10, 0x7f800001
	s_xor_b64 s[4:5], exec, -1
; %bb.2207:
	s_or_b64 exec, exec, s[8:9]
	s_and_b64 s[4:5], s[4:5], exec
	s_or_saveexec_b64 s[6:7], s[6:7]
	v_mov_b32_e32 v6, s10
	s_xor_b64 exec, exec, s[6:7]
	s_cbranch_execz .LBB46_158
.LBB46_2208:
	v_mov_b32_e32 v6, 0
	v_cmp_ne_u16_sdwa s[8:9], v2, v6 src0_sel:BYTE_3 src1_sel:DWORD
	s_andn2_b64 s[4:5], s[4:5], exec
	s_and_b64 s[8:9], s[8:9], exec
	s_or_b64 s[4:5], s[4:5], s[8:9]
	s_or_b64 exec, exec, s[6:7]
	s_and_saveexec_b64 s[6:7], s[4:5]
	s_cbranch_execnz .LBB46_159
	s_branch .LBB46_160
.LBB46_2209:
	s_movk_i32 s4, 0x80
	v_cmp_eq_u16_sdwa s[12:13], v7, s4 src0_sel:BYTE_0 src1_sel:DWORD
	s_mov_b64 s[4:5], -1
                                        ; implicit-def: $sgpr10
	s_and_saveexec_b64 s[8:9], s[12:13]
; %bb.2210:
	s_mov_b32 s10, 0x7f800001
	s_xor_b64 s[4:5], exec, -1
; %bb.2211:
	s_or_b64 exec, exec, s[8:9]
	s_and_b64 s[4:5], s[4:5], exec
	s_or_saveexec_b64 s[6:7], s[6:7]
	v_mov_b32_e32 v2, s10
	s_xor_b64 exec, exec, s[6:7]
	s_cbranch_execz .LBB46_162
.LBB46_2212:
	v_mov_b32_e32 v2, 0
	v_cmp_ne_u16_sdwa s[8:9], v7, v2 src0_sel:BYTE_0 src1_sel:DWORD
	s_andn2_b64 s[4:5], s[4:5], exec
	s_and_b64 s[8:9], s[8:9], exec
	s_or_b64 s[4:5], s[4:5], s[8:9]
	s_or_b64 exec, exec, s[6:7]
	s_and_saveexec_b64 s[6:7], s[4:5]
	s_cbranch_execnz .LBB46_163
	s_branch .LBB46_164
.LBB46_2213:
	s_movk_i32 s4, 0x80
	v_cmp_eq_u16_sdwa s[12:13], v3, s4 src0_sel:BYTE_0 src1_sel:DWORD
	s_mov_b64 s[4:5], -1
                                        ; implicit-def: $sgpr10
	s_and_saveexec_b64 s[8:9], s[12:13]
; %bb.2214:
	s_mov_b32 s10, 0x7f800001
	s_xor_b64 s[4:5], exec, -1
; %bb.2215:
	s_or_b64 exec, exec, s[8:9]
	s_and_b64 s[4:5], s[4:5], exec
	s_or_saveexec_b64 s[6:7], s[6:7]
	v_mov_b32_e32 v6, s10
	s_xor_b64 exec, exec, s[6:7]
	s_cbranch_execz .LBB46_166
.LBB46_2216:
	v_mov_b32_e32 v6, 0
	v_cmp_ne_u16_sdwa s[8:9], v3, v6 src0_sel:BYTE_0 src1_sel:DWORD
	s_andn2_b64 s[4:5], s[4:5], exec
	s_and_b64 s[8:9], s[8:9], exec
	s_or_b64 s[4:5], s[4:5], s[8:9]
	s_or_b64 exec, exec, s[6:7]
	s_and_saveexec_b64 s[6:7], s[4:5]
	s_cbranch_execnz .LBB46_167
	s_branch .LBB46_168
.LBB46_2217:
	s_movk_i32 s4, 0x80
	v_cmp_eq_u16_sdwa s[12:13], v6, s4 src0_sel:BYTE_0 src1_sel:DWORD
	s_mov_b64 s[4:5], -1
                                        ; implicit-def: $sgpr10
	s_and_saveexec_b64 s[8:9], s[12:13]
; %bb.2218:
	s_mov_b32 s10, 0x7f800001
	s_xor_b64 s[4:5], exec, -1
; %bb.2219:
	s_or_b64 exec, exec, s[8:9]
	s_and_b64 s[4:5], s[4:5], exec
	s_or_saveexec_b64 s[6:7], s[6:7]
	v_mov_b32_e32 v2, s10
	s_xor_b64 exec, exec, s[6:7]
	s_cbranch_execz .LBB46_170
.LBB46_2220:
	v_mov_b32_e32 v2, 0
	v_cmp_ne_u16_sdwa s[8:9], v6, v2 src0_sel:BYTE_0 src1_sel:DWORD
	s_andn2_b64 s[4:5], s[4:5], exec
	s_and_b64 s[8:9], s[8:9], exec
	s_or_b64 s[4:5], s[4:5], s[8:9]
	s_or_b64 exec, exec, s[6:7]
	s_and_saveexec_b64 s[6:7], s[4:5]
	s_cbranch_execnz .LBB46_171
	s_branch .LBB46_172
.LBB46_2221:
	s_movk_i32 s4, 0x80
	v_cmp_eq_u16_sdwa s[12:13], v6, s4 src0_sel:BYTE_0 src1_sel:DWORD
	s_mov_b64 s[4:5], -1
                                        ; implicit-def: $sgpr10
	s_and_saveexec_b64 s[8:9], s[12:13]
; %bb.2222:
	s_mov_b32 s10, 0x7f800001
	s_xor_b64 s[4:5], exec, -1
; %bb.2223:
	s_or_b64 exec, exec, s[8:9]
	s_and_b64 s[4:5], s[4:5], exec
	s_or_saveexec_b64 s[6:7], s[6:7]
	v_mov_b32_e32 v10, s10
	s_xor_b64 exec, exec, s[6:7]
	s_cbranch_execz .LBB46_174
.LBB46_2224:
	v_mov_b32_e32 v10, 0
	v_cmp_ne_u16_sdwa s[8:9], v6, v10 src0_sel:BYTE_0 src1_sel:DWORD
	s_andn2_b64 s[4:5], s[4:5], exec
	s_and_b64 s[8:9], s[8:9], exec
	s_or_b64 s[4:5], s[4:5], s[8:9]
	s_or_b64 exec, exec, s[6:7]
	s_and_saveexec_b64 s[6:7], s[4:5]
	s_cbranch_execnz .LBB46_175
	s_branch .LBB46_176
.LBB46_2225:
	s_movk_i32 s4, 0x80
	v_cmp_eq_u16_e32 vcc, s4, v6
	s_mov_b64 s[4:5], -1
                                        ; implicit-def: $sgpr10
	s_and_saveexec_b64 s[8:9], vcc
; %bb.2226:
	s_mov_b32 s10, 0x7f800001
	s_xor_b64 s[4:5], exec, -1
; %bb.2227:
	s_or_b64 exec, exec, s[8:9]
	s_and_b64 s[4:5], s[4:5], exec
                                        ; implicit-def: $vgpr6
	s_or_saveexec_b64 s[6:7], s[6:7]
	v_mov_b32_e32 v2, s10
	s_xor_b64 exec, exec, s[6:7]
	s_cbranch_execz .LBB46_178
.LBB46_2228:
	v_cmp_ne_u16_e32 vcc, 0, v6
	s_andn2_b64 s[4:5], s[4:5], exec
	s_and_b64 s[8:9], vcc, exec
	v_mov_b32_e32 v2, 0
	s_or_b64 s[4:5], s[4:5], s[8:9]
	s_or_b64 exec, exec, s[6:7]
	s_and_saveexec_b64 s[6:7], s[4:5]
	s_cbranch_execnz .LBB46_179
	s_branch .LBB46_180
.LBB46_2229:
	s_movk_i32 s4, 0x80
	v_cmp_eq_u16_e32 vcc, s4, v6
	s_mov_b64 s[4:5], -1
                                        ; implicit-def: $sgpr10
	s_and_saveexec_b64 s[8:9], vcc
; %bb.2230:
	s_mov_b32 s10, 0x7f800001
	s_xor_b64 s[4:5], exec, -1
; %bb.2231:
	s_or_b64 exec, exec, s[8:9]
	s_and_b64 s[4:5], s[4:5], exec
                                        ; implicit-def: $vgpr6
	s_or_saveexec_b64 s[6:7], s[6:7]
	v_mov_b32_e32 v10, s10
	s_xor_b64 exec, exec, s[6:7]
	s_cbranch_execz .LBB46_182
.LBB46_2232:
	v_cmp_ne_u16_e32 vcc, 0, v6
	s_andn2_b64 s[4:5], s[4:5], exec
	s_and_b64 s[8:9], vcc, exec
	v_mov_b32_e32 v10, 0
	s_or_b64 s[4:5], s[4:5], s[8:9]
	s_or_b64 exec, exec, s[6:7]
	s_and_saveexec_b64 s[6:7], s[4:5]
	s_cbranch_execnz .LBB46_183
	s_branch .LBB46_184
.LBB46_2233:
	s_movk_i32 s4, 0x80
	v_cmp_eq_u16_sdwa s[12:13], v7, s4 src0_sel:BYTE_3 src1_sel:DWORD
	s_mov_b64 s[4:5], -1
                                        ; implicit-def: $sgpr10
	s_and_saveexec_b64 s[8:9], s[12:13]
; %bb.2234:
	s_mov_b32 s10, 0x7f800001
	s_xor_b64 s[4:5], exec, -1
; %bb.2235:
	s_or_b64 exec, exec, s[8:9]
	s_and_b64 s[4:5], s[4:5], exec
	s_or_saveexec_b64 s[6:7], s[6:7]
	v_mov_b32_e32 v2, s10
	s_xor_b64 exec, exec, s[6:7]
	s_cbranch_execz .LBB46_186
.LBB46_2236:
	v_mov_b32_e32 v2, 0
	v_cmp_ne_u16_sdwa s[8:9], v7, v2 src0_sel:BYTE_3 src1_sel:DWORD
	s_andn2_b64 s[4:5], s[4:5], exec
	s_and_b64 s[8:9], s[8:9], exec
	s_or_b64 s[4:5], s[4:5], s[8:9]
	s_or_b64 exec, exec, s[6:7]
	s_and_saveexec_b64 s[6:7], s[4:5]
	s_cbranch_execnz .LBB46_187
	s_branch .LBB46_188
.LBB46_2237:
	s_movk_i32 s4, 0x80
	v_cmp_eq_u16_sdwa s[12:13], v3, s4 src0_sel:BYTE_3 src1_sel:DWORD
	s_mov_b64 s[4:5], -1
                                        ; implicit-def: $sgpr10
	s_and_saveexec_b64 s[8:9], s[12:13]
; %bb.2238:
	s_mov_b32 s10, 0x7f800001
	s_xor_b64 s[4:5], exec, -1
; %bb.2239:
	s_or_b64 exec, exec, s[8:9]
	s_and_b64 s[4:5], s[4:5], exec
	s_or_saveexec_b64 s[6:7], s[6:7]
	v_mov_b32_e32 v6, s10
	s_xor_b64 exec, exec, s[6:7]
	s_cbranch_execz .LBB46_190
.LBB46_2240:
	v_mov_b32_e32 v6, 0
	v_cmp_ne_u16_sdwa s[8:9], v3, v6 src0_sel:BYTE_3 src1_sel:DWORD
	s_andn2_b64 s[4:5], s[4:5], exec
	s_and_b64 s[8:9], s[8:9], exec
	s_or_b64 s[4:5], s[4:5], s[8:9]
	s_or_b64 exec, exec, s[6:7]
	s_and_saveexec_b64 s[6:7], s[4:5]
	s_cbranch_execnz .LBB46_191
	s_branch .LBB46_192
.LBB46_2241:
	s_movk_i32 s4, 0x80
	v_cmp_eq_u16_sdwa s[12:13], v8, s4 src0_sel:BYTE_0 src1_sel:DWORD
	s_mov_b64 s[4:5], -1
                                        ; implicit-def: $sgpr10
	s_and_saveexec_b64 s[8:9], s[12:13]
; %bb.2242:
	s_mov_b32 s10, 0x7f800001
	s_xor_b64 s[4:5], exec, -1
; %bb.2243:
	s_or_b64 exec, exec, s[8:9]
	s_and_b64 s[4:5], s[4:5], exec
	s_or_saveexec_b64 s[6:7], s[6:7]
	v_mov_b32_e32 v2, s10
	s_xor_b64 exec, exec, s[6:7]
	s_cbranch_execz .LBB46_194
.LBB46_2244:
	v_mov_b32_e32 v2, 0
	v_cmp_ne_u16_sdwa s[8:9], v8, v2 src0_sel:BYTE_0 src1_sel:DWORD
	s_andn2_b64 s[4:5], s[4:5], exec
	s_and_b64 s[8:9], s[8:9], exec
	s_or_b64 s[4:5], s[4:5], s[8:9]
	s_or_b64 exec, exec, s[6:7]
	s_and_saveexec_b64 s[6:7], s[4:5]
	s_cbranch_execnz .LBB46_195
	s_branch .LBB46_196
.LBB46_2245:
	s_movk_i32 s4, 0x80
	v_cmp_eq_u16_sdwa s[12:13], v4, s4 src0_sel:BYTE_0 src1_sel:DWORD
	s_mov_b64 s[4:5], -1
                                        ; implicit-def: $sgpr10
	s_and_saveexec_b64 s[8:9], s[12:13]
; %bb.2246:
	s_mov_b32 s10, 0x7f800001
	s_xor_b64 s[4:5], exec, -1
; %bb.2247:
	s_or_b64 exec, exec, s[8:9]
	s_and_b64 s[4:5], s[4:5], exec
	s_or_saveexec_b64 s[6:7], s[6:7]
	v_mov_b32_e32 v3, s10
	s_xor_b64 exec, exec, s[6:7]
	s_cbranch_execz .LBB46_198
.LBB46_2248:
	v_mov_b32_e32 v3, 0
	v_cmp_ne_u16_sdwa s[8:9], v4, v3 src0_sel:BYTE_0 src1_sel:DWORD
	s_andn2_b64 s[4:5], s[4:5], exec
	s_and_b64 s[8:9], s[8:9], exec
	s_or_b64 s[4:5], s[4:5], s[8:9]
	s_or_b64 exec, exec, s[6:7]
	s_and_saveexec_b64 s[6:7], s[4:5]
	s_cbranch_execnz .LBB46_199
	s_branch .LBB46_200
.LBB46_2249:
	s_movk_i32 s4, 0x80
	v_cmp_eq_u16_sdwa s[12:13], v3, s4 src0_sel:BYTE_0 src1_sel:DWORD
	s_mov_b64 s[4:5], -1
                                        ; implicit-def: $sgpr10
	s_and_saveexec_b64 s[8:9], s[12:13]
; %bb.2250:
	s_mov_b32 s10, 0x7f800001
	s_xor_b64 s[4:5], exec, -1
; %bb.2251:
	s_or_b64 exec, exec, s[8:9]
	s_and_b64 s[4:5], s[4:5], exec
	s_or_saveexec_b64 s[6:7], s[6:7]
	v_mov_b32_e32 v2, s10
	s_xor_b64 exec, exec, s[6:7]
	s_cbranch_execz .LBB46_202
.LBB46_2252:
	v_mov_b32_e32 v2, 0
	v_cmp_ne_u16_sdwa s[8:9], v3, v2 src0_sel:BYTE_0 src1_sel:DWORD
	s_andn2_b64 s[4:5], s[4:5], exec
	s_and_b64 s[8:9], s[8:9], exec
	s_or_b64 s[4:5], s[4:5], s[8:9]
	s_or_b64 exec, exec, s[6:7]
	s_and_saveexec_b64 s[6:7], s[4:5]
	s_cbranch_execnz .LBB46_203
	s_branch .LBB46_204
.LBB46_2253:
	s_movk_i32 s4, 0x80
	v_cmp_eq_u16_sdwa s[12:13], v3, s4 src0_sel:BYTE_0 src1_sel:DWORD
	s_mov_b64 s[4:5], -1
                                        ; implicit-def: $sgpr10
	s_and_saveexec_b64 s[8:9], s[12:13]
; %bb.2254:
	s_mov_b32 s10, 0x7f800001
	s_xor_b64 s[4:5], exec, -1
; %bb.2255:
	s_or_b64 exec, exec, s[8:9]
	s_and_b64 s[4:5], s[4:5], exec
	s_or_saveexec_b64 s[6:7], s[6:7]
	v_mov_b32_e32 v6, s10
	s_xor_b64 exec, exec, s[6:7]
	s_cbranch_execz .LBB46_206
.LBB46_2256:
	v_mov_b32_e32 v6, 0
	v_cmp_ne_u16_sdwa s[8:9], v3, v6 src0_sel:BYTE_0 src1_sel:DWORD
	s_andn2_b64 s[4:5], s[4:5], exec
	s_and_b64 s[8:9], s[8:9], exec
	s_or_b64 s[4:5], s[4:5], s[8:9]
	s_or_b64 exec, exec, s[6:7]
	s_and_saveexec_b64 s[6:7], s[4:5]
	s_cbranch_execnz .LBB46_207
	s_branch .LBB46_208
.LBB46_2257:
	s_movk_i32 s4, 0x80
	v_cmp_eq_u16_e32 vcc, s4, v3
	s_mov_b64 s[4:5], -1
                                        ; implicit-def: $sgpr10
	s_and_saveexec_b64 s[8:9], vcc
; %bb.2258:
	s_mov_b32 s10, 0x7f800001
	s_xor_b64 s[4:5], exec, -1
; %bb.2259:
	s_or_b64 exec, exec, s[8:9]
	s_and_b64 s[4:5], s[4:5], exec
                                        ; implicit-def: $vgpr3
	s_or_saveexec_b64 s[6:7], s[6:7]
	v_mov_b32_e32 v2, s10
	s_xor_b64 exec, exec, s[6:7]
	s_cbranch_execz .LBB46_210
.LBB46_2260:
	v_cmp_ne_u16_e32 vcc, 0, v3
	s_andn2_b64 s[4:5], s[4:5], exec
	s_and_b64 s[8:9], vcc, exec
	v_mov_b32_e32 v2, 0
	s_or_b64 s[4:5], s[4:5], s[8:9]
	s_or_b64 exec, exec, s[6:7]
	s_and_saveexec_b64 s[6:7], s[4:5]
	s_cbranch_execnz .LBB46_211
	s_branch .LBB46_212
.LBB46_2261:
	s_movk_i32 s4, 0x80
	v_cmp_eq_u16_e32 vcc, s4, v3
	s_mov_b64 s[4:5], -1
                                        ; implicit-def: $sgpr10
	s_and_saveexec_b64 s[8:9], vcc
; %bb.2262:
	s_mov_b32 s10, 0x7f800001
	s_xor_b64 s[4:5], exec, -1
; %bb.2263:
	s_or_b64 exec, exec, s[8:9]
	s_and_b64 s[4:5], s[4:5], exec
                                        ; implicit-def: $vgpr3
	s_or_saveexec_b64 s[6:7], s[6:7]
	v_mov_b32_e32 v6, s10
	s_xor_b64 exec, exec, s[6:7]
	s_cbranch_execz .LBB46_214
.LBB46_2264:
	v_cmp_ne_u16_e32 vcc, 0, v3
	s_andn2_b64 s[4:5], s[4:5], exec
	s_and_b64 s[8:9], vcc, exec
	v_mov_b32_e32 v6, 0
	s_or_b64 s[4:5], s[4:5], s[8:9]
	s_or_b64 exec, exec, s[6:7]
	s_and_saveexec_b64 s[6:7], s[4:5]
	s_cbranch_execnz .LBB46_215
	s_branch .LBB46_216
.LBB46_2265:
	s_movk_i32 s4, 0x80
	v_cmp_eq_u16_sdwa s[12:13], v8, s4 src0_sel:BYTE_3 src1_sel:DWORD
	s_mov_b64 s[4:5], -1
                                        ; implicit-def: $sgpr10
	s_and_saveexec_b64 s[8:9], s[12:13]
; %bb.2266:
	s_mov_b32 s10, 0x7f800001
	s_xor_b64 s[4:5], exec, -1
; %bb.2267:
	s_or_b64 exec, exec, s[8:9]
	s_and_b64 s[4:5], s[4:5], exec
	s_or_saveexec_b64 s[6:7], s[6:7]
	v_mov_b32_e32 v2, s10
	s_xor_b64 exec, exec, s[6:7]
	s_cbranch_execz .LBB46_218
.LBB46_2268:
	v_mov_b32_e32 v2, 0
	v_cmp_ne_u16_sdwa s[8:9], v8, v2 src0_sel:BYTE_3 src1_sel:DWORD
	s_andn2_b64 s[4:5], s[4:5], exec
	s_and_b64 s[8:9], s[8:9], exec
	s_or_b64 s[4:5], s[4:5], s[8:9]
	s_or_b64 exec, exec, s[6:7]
	s_and_saveexec_b64 s[6:7], s[4:5]
	s_cbranch_execnz .LBB46_219
	s_branch .LBB46_220
.LBB46_2269:
	s_movk_i32 s4, 0x80
	v_cmp_eq_u16_sdwa s[12:13], v4, s4 src0_sel:BYTE_3 src1_sel:DWORD
	s_mov_b64 s[4:5], -1
                                        ; implicit-def: $sgpr10
	s_and_saveexec_b64 s[8:9], s[12:13]
; %bb.2270:
	s_mov_b32 s10, 0x7f800001
	s_xor_b64 s[4:5], exec, -1
; %bb.2271:
	s_or_b64 exec, exec, s[8:9]
	s_and_b64 s[4:5], s[4:5], exec
	s_or_saveexec_b64 s[6:7], s[6:7]
	v_mov_b32_e32 v3, s10
	s_xor_b64 exec, exec, s[6:7]
	s_cbranch_execz .LBB46_222
.LBB46_2272:
	v_mov_b32_e32 v3, 0
	v_cmp_ne_u16_sdwa s[8:9], v4, v3 src0_sel:BYTE_3 src1_sel:DWORD
	s_andn2_b64 s[4:5], s[4:5], exec
	s_and_b64 s[8:9], s[8:9], exec
	s_or_b64 s[4:5], s[4:5], s[8:9]
	s_or_b64 exec, exec, s[6:7]
	s_and_saveexec_b64 s[6:7], s[4:5]
	s_cbranch_execnz .LBB46_223
	s_branch .LBB46_224
.LBB46_2273:
	s_movk_i32 s4, 0x80
	v_cmp_eq_u16_sdwa s[12:13], v9, s4 src0_sel:BYTE_0 src1_sel:DWORD
	s_mov_b64 s[4:5], -1
                                        ; implicit-def: $sgpr10
	s_and_saveexec_b64 s[8:9], s[12:13]
; %bb.2274:
	s_mov_b32 s10, 0x7f800001
	s_xor_b64 s[4:5], exec, -1
; %bb.2275:
	s_or_b64 exec, exec, s[8:9]
	s_and_b64 s[4:5], s[4:5], exec
	s_or_saveexec_b64 s[6:7], s[6:7]
	v_mov_b32_e32 v2, s10
	s_xor_b64 exec, exec, s[6:7]
	s_cbranch_execz .LBB46_226
.LBB46_2276:
	v_mov_b32_e32 v2, 0
	v_cmp_ne_u16_sdwa s[8:9], v9, v2 src0_sel:BYTE_0 src1_sel:DWORD
	s_andn2_b64 s[4:5], s[4:5], exec
	s_and_b64 s[8:9], s[8:9], exec
	s_or_b64 s[4:5], s[4:5], s[8:9]
	s_or_b64 exec, exec, s[6:7]
	s_and_saveexec_b64 s[6:7], s[4:5]
	s_cbranch_execnz .LBB46_227
	s_branch .LBB46_228
.LBB46_2277:
	s_movk_i32 s4, 0x80
	v_cmp_eq_u16_sdwa s[12:13], v5, s4 src0_sel:BYTE_0 src1_sel:DWORD
	s_mov_b64 s[4:5], -1
                                        ; implicit-def: $sgpr10
	s_and_saveexec_b64 s[8:9], s[12:13]
; %bb.2278:
	s_mov_b32 s10, 0x7f800001
	s_xor_b64 s[4:5], exec, -1
; %bb.2279:
	s_or_b64 exec, exec, s[8:9]
	s_and_b64 s[4:5], s[4:5], exec
	s_or_saveexec_b64 s[6:7], s[6:7]
	v_mov_b32_e32 v3, s10
	s_xor_b64 exec, exec, s[6:7]
	s_cbranch_execz .LBB46_230
.LBB46_2280:
	v_mov_b32_e32 v3, 0
	v_cmp_ne_u16_sdwa s[8:9], v5, v3 src0_sel:BYTE_0 src1_sel:DWORD
	s_andn2_b64 s[4:5], s[4:5], exec
	s_and_b64 s[8:9], s[8:9], exec
	s_or_b64 s[4:5], s[4:5], s[8:9]
	s_or_b64 exec, exec, s[6:7]
	s_and_saveexec_b64 s[6:7], s[4:5]
	s_cbranch_execnz .LBB46_231
	s_branch .LBB46_232
.LBB46_2281:
	s_movk_i32 s4, 0x80
	v_cmp_eq_u16_sdwa s[12:13], v3, s4 src0_sel:BYTE_0 src1_sel:DWORD
	s_mov_b64 s[4:5], -1
                                        ; implicit-def: $sgpr10
	s_and_saveexec_b64 s[8:9], s[12:13]
; %bb.2282:
	s_mov_b32 s10, 0x7f800001
	s_xor_b64 s[4:5], exec, -1
; %bb.2283:
	s_or_b64 exec, exec, s[8:9]
	s_and_b64 s[4:5], s[4:5], exec
	s_or_saveexec_b64 s[6:7], s[6:7]
	v_mov_b32_e32 v2, s10
	s_xor_b64 exec, exec, s[6:7]
	s_cbranch_execz .LBB46_234
.LBB46_2284:
	v_mov_b32_e32 v2, 0
	v_cmp_ne_u16_sdwa s[8:9], v3, v2 src0_sel:BYTE_0 src1_sel:DWORD
	s_andn2_b64 s[4:5], s[4:5], exec
	s_and_b64 s[8:9], s[8:9], exec
	s_or_b64 s[4:5], s[4:5], s[8:9]
	s_or_b64 exec, exec, s[6:7]
	s_and_saveexec_b64 s[6:7], s[4:5]
	s_cbranch_execnz .LBB46_235
	s_branch .LBB46_236
.LBB46_2285:
	s_movk_i32 s4, 0x80
	v_cmp_eq_u16_sdwa s[12:13], v3, s4 src0_sel:BYTE_0 src1_sel:DWORD
	s_mov_b64 s[4:5], -1
                                        ; implicit-def: $sgpr10
	s_and_saveexec_b64 s[8:9], s[12:13]
; %bb.2286:
	s_mov_b32 s10, 0x7f800001
	s_xor_b64 s[4:5], exec, -1
; %bb.2287:
	s_or_b64 exec, exec, s[8:9]
	s_and_b64 s[4:5], s[4:5], exec
	s_or_saveexec_b64 s[6:7], s[6:7]
	v_mov_b32_e32 v4, s10
	s_xor_b64 exec, exec, s[6:7]
	s_cbranch_execz .LBB46_238
.LBB46_2288:
	v_mov_b32_e32 v4, 0
	v_cmp_ne_u16_sdwa s[8:9], v3, v4 src0_sel:BYTE_0 src1_sel:DWORD
	s_andn2_b64 s[4:5], s[4:5], exec
	s_and_b64 s[8:9], s[8:9], exec
	s_or_b64 s[4:5], s[4:5], s[8:9]
	s_or_b64 exec, exec, s[6:7]
	s_and_saveexec_b64 s[6:7], s[4:5]
	s_cbranch_execnz .LBB46_239
	s_branch .LBB46_240
.LBB46_2289:
	s_movk_i32 s4, 0x80
	v_cmp_eq_u16_e32 vcc, s4, v3
	s_mov_b64 s[4:5], -1
                                        ; implicit-def: $sgpr10
	s_and_saveexec_b64 s[8:9], vcc
; %bb.2290:
	s_mov_b32 s10, 0x7f800001
	s_xor_b64 s[4:5], exec, -1
; %bb.2291:
	s_or_b64 exec, exec, s[8:9]
	s_and_b64 s[4:5], s[4:5], exec
                                        ; implicit-def: $vgpr3
	s_or_saveexec_b64 s[6:7], s[6:7]
	v_mov_b32_e32 v2, s10
	s_xor_b64 exec, exec, s[6:7]
	s_cbranch_execz .LBB46_242
.LBB46_2292:
	v_cmp_ne_u16_e32 vcc, 0, v3
	s_andn2_b64 s[4:5], s[4:5], exec
	s_and_b64 s[8:9], vcc, exec
	v_mov_b32_e32 v2, 0
	s_or_b64 s[4:5], s[4:5], s[8:9]
	s_or_b64 exec, exec, s[6:7]
	s_and_saveexec_b64 s[6:7], s[4:5]
	s_cbranch_execnz .LBB46_243
	s_branch .LBB46_244
.LBB46_2293:
	s_movk_i32 s4, 0x80
	v_cmp_eq_u16_e32 vcc, s4, v3
	s_mov_b64 s[4:5], -1
                                        ; implicit-def: $sgpr10
	s_and_saveexec_b64 s[8:9], vcc
; %bb.2294:
	s_mov_b32 s10, 0x7f800001
	s_xor_b64 s[4:5], exec, -1
; %bb.2295:
	s_or_b64 exec, exec, s[8:9]
	s_and_b64 s[4:5], s[4:5], exec
                                        ; implicit-def: $vgpr3
	s_or_saveexec_b64 s[6:7], s[6:7]
	v_mov_b32_e32 v4, s10
	s_xor_b64 exec, exec, s[6:7]
	s_cbranch_execz .LBB46_246
.LBB46_2296:
	v_cmp_ne_u16_e32 vcc, 0, v3
	s_andn2_b64 s[4:5], s[4:5], exec
	s_and_b64 s[8:9], vcc, exec
	v_mov_b32_e32 v4, 0
	s_or_b64 s[4:5], s[4:5], s[8:9]
	s_or_b64 exec, exec, s[6:7]
	s_and_saveexec_b64 s[6:7], s[4:5]
	s_cbranch_execnz .LBB46_247
	s_branch .LBB46_248
.LBB46_2297:
	s_movk_i32 s4, 0x80
	v_cmp_eq_u16_sdwa s[12:13], v9, s4 src0_sel:BYTE_3 src1_sel:DWORD
	s_mov_b64 s[4:5], -1
                                        ; implicit-def: $sgpr10
	s_and_saveexec_b64 s[8:9], s[12:13]
; %bb.2298:
	s_mov_b32 s10, 0x7f800001
	s_xor_b64 s[4:5], exec, -1
; %bb.2299:
	s_or_b64 exec, exec, s[8:9]
	s_and_b64 s[4:5], s[4:5], exec
	s_or_saveexec_b64 s[6:7], s[6:7]
	v_mov_b32_e32 v2, s10
	s_xor_b64 exec, exec, s[6:7]
	s_cbranch_execz .LBB46_250
.LBB46_2300:
	v_mov_b32_e32 v2, 0
	v_cmp_ne_u16_sdwa s[8:9], v9, v2 src0_sel:BYTE_3 src1_sel:DWORD
	s_andn2_b64 s[4:5], s[4:5], exec
	s_and_b64 s[8:9], s[8:9], exec
	s_or_b64 s[4:5], s[4:5], s[8:9]
	s_or_b64 exec, exec, s[6:7]
	s_and_saveexec_b64 s[6:7], s[4:5]
	s_cbranch_execnz .LBB46_251
	s_branch .LBB46_252
.LBB46_2301:
	s_movk_i32 s4, 0x80
	v_cmp_eq_u16_sdwa s[12:13], v5, s4 src0_sel:BYTE_3 src1_sel:DWORD
	s_mov_b64 s[4:5], -1
                                        ; implicit-def: $sgpr10
	s_and_saveexec_b64 s[8:9], s[12:13]
; %bb.2302:
	s_mov_b32 s10, 0x7f800001
	s_xor_b64 s[4:5], exec, -1
; %bb.2303:
	s_or_b64 exec, exec, s[8:9]
	s_and_b64 s[4:5], s[4:5], exec
	s_or_saveexec_b64 s[6:7], s[6:7]
	v_mov_b32_e32 v3, s10
	s_xor_b64 exec, exec, s[6:7]
	s_cbranch_execz .LBB46_254
.LBB46_2304:
	v_mov_b32_e32 v3, 0
	v_cmp_ne_u16_sdwa s[8:9], v5, v3 src0_sel:BYTE_3 src1_sel:DWORD
	s_andn2_b64 s[4:5], s[4:5], exec
	s_and_b64 s[8:9], s[8:9], exec
	s_or_b64 s[4:5], s[4:5], s[8:9]
	s_or_b64 exec, exec, s[6:7]
	s_and_saveexec_b64 s[6:7], s[4:5]
	s_cbranch_execnz .LBB46_255
	s_branch .LBB46_256
.LBB46_2305:
	s_movk_i32 s4, 0x80
	v_cmp_eq_u16_sdwa s[12:13], v14, s4 src0_sel:BYTE_0 src1_sel:DWORD
	s_mov_b64 s[4:5], -1
                                        ; implicit-def: $sgpr10
	s_and_saveexec_b64 s[8:9], s[12:13]
; %bb.2306:
	s_mov_b32 s10, 0x7f800001
	s_xor_b64 s[4:5], exec, -1
; %bb.2307:
	s_or_b64 exec, exec, s[8:9]
	s_and_b64 s[4:5], s[4:5], exec
	s_or_saveexec_b64 s[6:7], s[6:7]
	v_mov_b32_e32 v20, s10
	s_xor_b64 exec, exec, s[6:7]
	s_cbranch_execz .LBB46_258
.LBB46_2308:
	v_mov_b32_e32 v20, 0
	v_cmp_ne_u16_sdwa s[8:9], v14, v20 src0_sel:BYTE_0 src1_sel:DWORD
	s_andn2_b64 s[4:5], s[4:5], exec
	s_and_b64 s[8:9], s[8:9], exec
	s_or_b64 s[4:5], s[4:5], s[8:9]
	s_or_b64 exec, exec, s[6:7]
	s_and_saveexec_b64 s[6:7], s[4:5]
	s_cbranch_execnz .LBB46_259
	s_branch .LBB46_260
.LBB46_2309:
	s_movk_i32 s4, 0x80
	v_cmp_eq_u16_sdwa s[12:13], v10, s4 src0_sel:BYTE_0 src1_sel:DWORD
	s_mov_b64 s[4:5], -1
                                        ; implicit-def: $sgpr10
	s_and_saveexec_b64 s[8:9], s[12:13]
; %bb.2310:
	s_mov_b32 s10, 0x7f800001
	s_xor_b64 s[4:5], exec, -1
; %bb.2311:
	s_or_b64 exec, exec, s[8:9]
	s_and_b64 s[4:5], s[4:5], exec
	s_or_saveexec_b64 s[6:7], s[6:7]
	v_mov_b32_e32 v21, s10
	s_xor_b64 exec, exec, s[6:7]
	s_cbranch_execz .LBB46_262
.LBB46_2312:
	v_mov_b32_e32 v21, 0
	v_cmp_ne_u16_sdwa s[8:9], v10, v21 src0_sel:BYTE_0 src1_sel:DWORD
	s_andn2_b64 s[4:5], s[4:5], exec
	s_and_b64 s[8:9], s[8:9], exec
	s_or_b64 s[4:5], s[4:5], s[8:9]
	s_or_b64 exec, exec, s[6:7]
	s_and_saveexec_b64 s[6:7], s[4:5]
	s_cbranch_execnz .LBB46_263
	s_branch .LBB46_264
.LBB46_2313:
	s_movk_i32 s4, 0x80
	v_cmp_eq_u16_sdwa s[12:13], v21, s4 src0_sel:BYTE_0 src1_sel:DWORD
	s_mov_b64 s[4:5], -1
                                        ; implicit-def: $sgpr10
	s_and_saveexec_b64 s[8:9], s[12:13]
; %bb.2314:
	s_mov_b32 s10, 0x7f800001
	s_xor_b64 s[4:5], exec, -1
; %bb.2315:
	s_or_b64 exec, exec, s[8:9]
	s_and_b64 s[4:5], s[4:5], exec
	s_or_saveexec_b64 s[6:7], s[6:7]
	v_mov_b32_e32 v20, s10
	s_xor_b64 exec, exec, s[6:7]
	s_cbranch_execz .LBB46_266
.LBB46_2316:
	v_mov_b32_e32 v20, 0
	v_cmp_ne_u16_sdwa s[8:9], v21, v20 src0_sel:BYTE_0 src1_sel:DWORD
	s_andn2_b64 s[4:5], s[4:5], exec
	s_and_b64 s[8:9], s[8:9], exec
	s_or_b64 s[4:5], s[4:5], s[8:9]
	s_or_b64 exec, exec, s[6:7]
	s_and_saveexec_b64 s[6:7], s[4:5]
	s_cbranch_execnz .LBB46_267
	s_branch .LBB46_268
.LBB46_2317:
	s_movk_i32 s4, 0x80
	v_cmp_eq_u16_sdwa s[12:13], v21, s4 src0_sel:BYTE_0 src1_sel:DWORD
	s_mov_b64 s[4:5], -1
                                        ; implicit-def: $sgpr10
	s_and_saveexec_b64 s[8:9], s[12:13]
; %bb.2318:
	s_mov_b32 s10, 0x7f800001
	s_xor_b64 s[4:5], exec, -1
; %bb.2319:
	s_or_b64 exec, exec, s[8:9]
	s_and_b64 s[4:5], s[4:5], exec
	s_or_saveexec_b64 s[6:7], s[6:7]
	v_mov_b32_e32 v22, s10
	s_xor_b64 exec, exec, s[6:7]
	s_cbranch_execz .LBB46_270
.LBB46_2320:
	v_mov_b32_e32 v22, 0
	v_cmp_ne_u16_sdwa s[8:9], v21, v22 src0_sel:BYTE_0 src1_sel:DWORD
	s_andn2_b64 s[4:5], s[4:5], exec
	s_and_b64 s[8:9], s[8:9], exec
	s_or_b64 s[4:5], s[4:5], s[8:9]
	s_or_b64 exec, exec, s[6:7]
	s_and_saveexec_b64 s[6:7], s[4:5]
	s_cbranch_execnz .LBB46_271
	s_branch .LBB46_272
.LBB46_2321:
	s_movk_i32 s4, 0x80
	v_cmp_eq_u16_e32 vcc, s4, v21
	s_mov_b64 s[4:5], -1
                                        ; implicit-def: $sgpr10
	s_and_saveexec_b64 s[8:9], vcc
; %bb.2322:
	s_mov_b32 s10, 0x7f800001
	s_xor_b64 s[4:5], exec, -1
; %bb.2323:
	s_or_b64 exec, exec, s[8:9]
	s_and_b64 s[4:5], s[4:5], exec
                                        ; implicit-def: $vgpr21
	s_or_saveexec_b64 s[6:7], s[6:7]
	v_mov_b32_e32 v20, s10
	s_xor_b64 exec, exec, s[6:7]
	s_cbranch_execz .LBB46_274
.LBB46_2324:
	v_cmp_ne_u16_e32 vcc, 0, v21
	s_andn2_b64 s[4:5], s[4:5], exec
	s_and_b64 s[8:9], vcc, exec
	v_mov_b32_e32 v20, 0
	s_or_b64 s[4:5], s[4:5], s[8:9]
	s_or_b64 exec, exec, s[6:7]
	s_and_saveexec_b64 s[6:7], s[4:5]
	s_cbranch_execnz .LBB46_275
	s_branch .LBB46_276
.LBB46_2325:
	s_movk_i32 s4, 0x80
	v_cmp_eq_u16_e32 vcc, s4, v21
	s_mov_b64 s[4:5], -1
                                        ; implicit-def: $sgpr10
	s_and_saveexec_b64 s[8:9], vcc
; %bb.2326:
	s_mov_b32 s10, 0x7f800001
	s_xor_b64 s[4:5], exec, -1
; %bb.2327:
	s_or_b64 exec, exec, s[8:9]
	s_and_b64 s[4:5], s[4:5], exec
                                        ; implicit-def: $vgpr21
	s_or_saveexec_b64 s[6:7], s[6:7]
	v_mov_b32_e32 v22, s10
	s_xor_b64 exec, exec, s[6:7]
	s_cbranch_execz .LBB46_278
.LBB46_2328:
	v_cmp_ne_u16_e32 vcc, 0, v21
	s_andn2_b64 s[4:5], s[4:5], exec
	s_and_b64 s[8:9], vcc, exec
	v_mov_b32_e32 v22, 0
	s_or_b64 s[4:5], s[4:5], s[8:9]
	s_or_b64 exec, exec, s[6:7]
	s_and_saveexec_b64 s[6:7], s[4:5]
	s_cbranch_execnz .LBB46_279
	s_branch .LBB46_280
.LBB46_2329:
	s_movk_i32 s4, 0x80
	v_cmp_eq_u16_sdwa s[12:13], v14, s4 src0_sel:BYTE_3 src1_sel:DWORD
	s_mov_b64 s[4:5], -1
                                        ; implicit-def: $sgpr10
	s_and_saveexec_b64 s[8:9], s[12:13]
; %bb.2330:
	s_mov_b32 s10, 0x7f800001
	s_xor_b64 s[4:5], exec, -1
; %bb.2331:
	s_or_b64 exec, exec, s[8:9]
	s_and_b64 s[4:5], s[4:5], exec
	s_or_saveexec_b64 s[6:7], s[6:7]
	v_mov_b32_e32 v20, s10
	s_xor_b64 exec, exec, s[6:7]
	s_cbranch_execz .LBB46_282
.LBB46_2332:
	v_mov_b32_e32 v20, 0
	v_cmp_ne_u16_sdwa s[8:9], v14, v20 src0_sel:BYTE_3 src1_sel:DWORD
	s_andn2_b64 s[4:5], s[4:5], exec
	s_and_b64 s[8:9], s[8:9], exec
	s_or_b64 s[4:5], s[4:5], s[8:9]
	s_or_b64 exec, exec, s[6:7]
	s_and_saveexec_b64 s[6:7], s[4:5]
	s_cbranch_execnz .LBB46_283
	s_branch .LBB46_284
.LBB46_2333:
	s_movk_i32 s4, 0x80
	v_cmp_eq_u16_sdwa s[12:13], v10, s4 src0_sel:BYTE_3 src1_sel:DWORD
	s_mov_b64 s[4:5], -1
                                        ; implicit-def: $sgpr10
	s_and_saveexec_b64 s[8:9], s[12:13]
; %bb.2334:
	s_mov_b32 s10, 0x7f800001
	s_xor_b64 s[4:5], exec, -1
; %bb.2335:
	s_or_b64 exec, exec, s[8:9]
	s_and_b64 s[4:5], s[4:5], exec
	s_or_saveexec_b64 s[6:7], s[6:7]
	v_mov_b32_e32 v14, s10
	s_xor_b64 exec, exec, s[6:7]
	s_cbranch_execz .LBB46_286
.LBB46_2336:
	v_mov_b32_e32 v14, 0
	v_cmp_ne_u16_sdwa s[8:9], v10, v14 src0_sel:BYTE_3 src1_sel:DWORD
	s_andn2_b64 s[4:5], s[4:5], exec
	s_and_b64 s[8:9], s[8:9], exec
	s_or_b64 s[4:5], s[4:5], s[8:9]
	s_or_b64 exec, exec, s[6:7]
	s_and_saveexec_b64 s[6:7], s[4:5]
	s_cbranch_execnz .LBB46_287
	s_branch .LBB46_288
.LBB46_2337:
	s_movk_i32 s4, 0x80
	v_cmp_eq_u16_sdwa s[12:13], v15, s4 src0_sel:BYTE_0 src1_sel:DWORD
	s_mov_b64 s[4:5], -1
                                        ; implicit-def: $sgpr10
	s_and_saveexec_b64 s[8:9], s[12:13]
; %bb.2338:
	s_mov_b32 s10, 0x7f800001
	s_xor_b64 s[4:5], exec, -1
; %bb.2339:
	s_or_b64 exec, exec, s[8:9]
	s_and_b64 s[4:5], s[4:5], exec
	s_or_saveexec_b64 s[6:7], s[6:7]
	v_mov_b32_e32 v10, s10
	s_xor_b64 exec, exec, s[6:7]
	s_cbranch_execz .LBB46_290
.LBB46_2340:
	v_mov_b32_e32 v10, 0
	v_cmp_ne_u16_sdwa s[8:9], v15, v10 src0_sel:BYTE_0 src1_sel:DWORD
	s_andn2_b64 s[4:5], s[4:5], exec
	s_and_b64 s[8:9], s[8:9], exec
	s_or_b64 s[4:5], s[4:5], s[8:9]
	s_or_b64 exec, exec, s[6:7]
	s_and_saveexec_b64 s[6:7], s[4:5]
	s_cbranch_execnz .LBB46_291
	s_branch .LBB46_292
.LBB46_2341:
	s_movk_i32 s4, 0x80
	v_cmp_eq_u16_sdwa s[12:13], v11, s4 src0_sel:BYTE_0 src1_sel:DWORD
	s_mov_b64 s[4:5], -1
                                        ; implicit-def: $sgpr10
	s_and_saveexec_b64 s[8:9], s[12:13]
; %bb.2342:
	s_mov_b32 s10, 0x7f800001
	s_xor_b64 s[4:5], exec, -1
; %bb.2343:
	s_or_b64 exec, exec, s[8:9]
	s_and_b64 s[4:5], s[4:5], exec
	s_or_saveexec_b64 s[6:7], s[6:7]
	v_mov_b32_e32 v14, s10
	s_xor_b64 exec, exec, s[6:7]
	s_cbranch_execz .LBB46_294
.LBB46_2344:
	v_mov_b32_e32 v14, 0
	v_cmp_ne_u16_sdwa s[8:9], v11, v14 src0_sel:BYTE_0 src1_sel:DWORD
	s_andn2_b64 s[4:5], s[4:5], exec
	s_and_b64 s[8:9], s[8:9], exec
	s_or_b64 s[4:5], s[4:5], s[8:9]
	s_or_b64 exec, exec, s[6:7]
	s_and_saveexec_b64 s[6:7], s[4:5]
	s_cbranch_execnz .LBB46_295
	s_branch .LBB46_296
.LBB46_2345:
	s_movk_i32 s4, 0x80
	v_cmp_eq_u16_sdwa s[12:13], v14, s4 src0_sel:BYTE_0 src1_sel:DWORD
	s_mov_b64 s[4:5], -1
                                        ; implicit-def: $sgpr10
	s_and_saveexec_b64 s[8:9], s[12:13]
; %bb.2346:
	s_mov_b32 s10, 0x7f800001
	s_xor_b64 s[4:5], exec, -1
; %bb.2347:
	s_or_b64 exec, exec, s[8:9]
	s_and_b64 s[4:5], s[4:5], exec
	s_or_saveexec_b64 s[6:7], s[6:7]
	v_mov_b32_e32 v10, s10
	s_xor_b64 exec, exec, s[6:7]
	s_cbranch_execz .LBB46_298
.LBB46_2348:
	v_mov_b32_e32 v10, 0
	v_cmp_ne_u16_sdwa s[8:9], v14, v10 src0_sel:BYTE_0 src1_sel:DWORD
	s_andn2_b64 s[4:5], s[4:5], exec
	s_and_b64 s[8:9], s[8:9], exec
	s_or_b64 s[4:5], s[4:5], s[8:9]
	s_or_b64 exec, exec, s[6:7]
	s_and_saveexec_b64 s[6:7], s[4:5]
	s_cbranch_execnz .LBB46_299
	s_branch .LBB46_300
.LBB46_2349:
	s_movk_i32 s4, 0x80
	v_cmp_eq_u16_sdwa s[12:13], v14, s4 src0_sel:BYTE_0 src1_sel:DWORD
	s_mov_b64 s[4:5], -1
                                        ; implicit-def: $sgpr10
	s_and_saveexec_b64 s[8:9], s[12:13]
; %bb.2350:
	s_mov_b32 s10, 0x7f800001
	s_xor_b64 s[4:5], exec, -1
; %bb.2351:
	s_or_b64 exec, exec, s[8:9]
	s_and_b64 s[4:5], s[4:5], exec
	s_or_saveexec_b64 s[6:7], s[6:7]
	v_mov_b32_e32 v20, s10
	s_xor_b64 exec, exec, s[6:7]
	s_cbranch_execz .LBB46_302
.LBB46_2352:
	v_mov_b32_e32 v20, 0
	v_cmp_ne_u16_sdwa s[8:9], v14, v20 src0_sel:BYTE_0 src1_sel:DWORD
	s_andn2_b64 s[4:5], s[4:5], exec
	s_and_b64 s[8:9], s[8:9], exec
	s_or_b64 s[4:5], s[4:5], s[8:9]
	s_or_b64 exec, exec, s[6:7]
	s_and_saveexec_b64 s[6:7], s[4:5]
	s_cbranch_execnz .LBB46_303
	s_branch .LBB46_304
.LBB46_2353:
	s_movk_i32 s4, 0x80
	v_cmp_eq_u16_e32 vcc, s4, v14
	s_mov_b64 s[4:5], -1
                                        ; implicit-def: $sgpr10
	s_and_saveexec_b64 s[8:9], vcc
; %bb.2354:
	s_mov_b32 s10, 0x7f800001
	s_xor_b64 s[4:5], exec, -1
; %bb.2355:
	s_or_b64 exec, exec, s[8:9]
	s_and_b64 s[4:5], s[4:5], exec
                                        ; implicit-def: $vgpr14
	s_or_saveexec_b64 s[6:7], s[6:7]
	v_mov_b32_e32 v10, s10
	s_xor_b64 exec, exec, s[6:7]
	s_cbranch_execz .LBB46_306
.LBB46_2356:
	v_cmp_ne_u16_e32 vcc, 0, v14
	s_andn2_b64 s[4:5], s[4:5], exec
	s_and_b64 s[8:9], vcc, exec
	v_mov_b32_e32 v10, 0
	s_or_b64 s[4:5], s[4:5], s[8:9]
	s_or_b64 exec, exec, s[6:7]
	s_and_saveexec_b64 s[6:7], s[4:5]
	s_cbranch_execnz .LBB46_307
	s_branch .LBB46_308
.LBB46_2357:
	s_movk_i32 s4, 0x80
	v_cmp_eq_u16_e32 vcc, s4, v14
	s_mov_b64 s[4:5], -1
                                        ; implicit-def: $sgpr10
	s_and_saveexec_b64 s[8:9], vcc
; %bb.2358:
	s_mov_b32 s10, 0x7f800001
	s_xor_b64 s[4:5], exec, -1
; %bb.2359:
	s_or_b64 exec, exec, s[8:9]
	s_and_b64 s[4:5], s[4:5], exec
                                        ; implicit-def: $vgpr14
	s_or_saveexec_b64 s[6:7], s[6:7]
	v_mov_b32_e32 v20, s10
	s_xor_b64 exec, exec, s[6:7]
	s_cbranch_execz .LBB46_310
.LBB46_2360:
	v_cmp_ne_u16_e32 vcc, 0, v14
	s_andn2_b64 s[4:5], s[4:5], exec
	s_and_b64 s[8:9], vcc, exec
	v_mov_b32_e32 v20, 0
	s_or_b64 s[4:5], s[4:5], s[8:9]
	s_or_b64 exec, exec, s[6:7]
	s_and_saveexec_b64 s[6:7], s[4:5]
	s_cbranch_execnz .LBB46_311
	s_branch .LBB46_312
.LBB46_2361:
	s_movk_i32 s4, 0x80
	v_cmp_eq_u16_sdwa s[12:13], v15, s4 src0_sel:BYTE_3 src1_sel:DWORD
	s_mov_b64 s[4:5], -1
                                        ; implicit-def: $sgpr10
	s_and_saveexec_b64 s[8:9], s[12:13]
; %bb.2362:
	s_mov_b32 s10, 0x7f800001
	s_xor_b64 s[4:5], exec, -1
; %bb.2363:
	s_or_b64 exec, exec, s[8:9]
	s_and_b64 s[4:5], s[4:5], exec
	s_or_saveexec_b64 s[6:7], s[6:7]
	v_mov_b32_e32 v10, s10
	s_xor_b64 exec, exec, s[6:7]
	s_cbranch_execz .LBB46_314
.LBB46_2364:
	v_mov_b32_e32 v10, 0
	v_cmp_ne_u16_sdwa s[8:9], v15, v10 src0_sel:BYTE_3 src1_sel:DWORD
	s_andn2_b64 s[4:5], s[4:5], exec
	s_and_b64 s[8:9], s[8:9], exec
	s_or_b64 s[4:5], s[4:5], s[8:9]
	s_or_b64 exec, exec, s[6:7]
	s_and_saveexec_b64 s[6:7], s[4:5]
	s_cbranch_execnz .LBB46_315
	s_branch .LBB46_316
.LBB46_2365:
	s_movk_i32 s4, 0x80
	v_cmp_eq_u16_sdwa s[12:13], v11, s4 src0_sel:BYTE_3 src1_sel:DWORD
	s_mov_b64 s[4:5], -1
                                        ; implicit-def: $sgpr10
	s_and_saveexec_b64 s[8:9], s[12:13]
; %bb.2366:
	s_mov_b32 s10, 0x7f800001
	s_xor_b64 s[4:5], exec, -1
; %bb.2367:
	s_or_b64 exec, exec, s[8:9]
	s_and_b64 s[4:5], s[4:5], exec
	s_or_saveexec_b64 s[6:7], s[6:7]
	v_mov_b32_e32 v14, s10
	s_xor_b64 exec, exec, s[6:7]
	s_cbranch_execz .LBB46_318
.LBB46_2368:
	v_mov_b32_e32 v14, 0
	v_cmp_ne_u16_sdwa s[8:9], v11, v14 src0_sel:BYTE_3 src1_sel:DWORD
	s_andn2_b64 s[4:5], s[4:5], exec
	s_and_b64 s[8:9], s[8:9], exec
	s_or_b64 s[4:5], s[4:5], s[8:9]
	s_or_b64 exec, exec, s[6:7]
	s_and_saveexec_b64 s[6:7], s[4:5]
	s_cbranch_execnz .LBB46_319
	s_branch .LBB46_320
.LBB46_2369:
	s_movk_i32 s4, 0x80
	v_cmp_eq_u16_sdwa s[12:13], v16, s4 src0_sel:BYTE_0 src1_sel:DWORD
	s_mov_b64 s[4:5], -1
                                        ; implicit-def: $sgpr10
	s_and_saveexec_b64 s[8:9], s[12:13]
; %bb.2370:
	s_mov_b32 s10, 0x7f800001
	s_xor_b64 s[4:5], exec, -1
; %bb.2371:
	s_or_b64 exec, exec, s[8:9]
	s_and_b64 s[4:5], s[4:5], exec
	s_or_saveexec_b64 s[6:7], s[6:7]
	v_mov_b32_e32 v10, s10
	s_xor_b64 exec, exec, s[6:7]
	s_cbranch_execz .LBB46_322
.LBB46_2372:
	v_mov_b32_e32 v10, 0
	v_cmp_ne_u16_sdwa s[8:9], v16, v10 src0_sel:BYTE_0 src1_sel:DWORD
	s_andn2_b64 s[4:5], s[4:5], exec
	s_and_b64 s[8:9], s[8:9], exec
	s_or_b64 s[4:5], s[4:5], s[8:9]
	s_or_b64 exec, exec, s[6:7]
	s_and_saveexec_b64 s[6:7], s[4:5]
	s_cbranch_execnz .LBB46_323
	s_branch .LBB46_324
.LBB46_2373:
	s_movk_i32 s4, 0x80
	v_cmp_eq_u16_sdwa s[12:13], v12, s4 src0_sel:BYTE_0 src1_sel:DWORD
	s_mov_b64 s[4:5], -1
                                        ; implicit-def: $sgpr10
	s_and_saveexec_b64 s[8:9], s[12:13]
; %bb.2374:
	s_mov_b32 s10, 0x7f800001
	s_xor_b64 s[4:5], exec, -1
; %bb.2375:
	s_or_b64 exec, exec, s[8:9]
	s_and_b64 s[4:5], s[4:5], exec
	s_or_saveexec_b64 s[6:7], s[6:7]
	v_mov_b32_e32 v11, s10
	s_xor_b64 exec, exec, s[6:7]
	s_cbranch_execz .LBB46_326
.LBB46_2376:
	v_mov_b32_e32 v11, 0
	v_cmp_ne_u16_sdwa s[8:9], v12, v11 src0_sel:BYTE_0 src1_sel:DWORD
	s_andn2_b64 s[4:5], s[4:5], exec
	s_and_b64 s[8:9], s[8:9], exec
	s_or_b64 s[4:5], s[4:5], s[8:9]
	s_or_b64 exec, exec, s[6:7]
	s_and_saveexec_b64 s[6:7], s[4:5]
	s_cbranch_execnz .LBB46_327
	s_branch .LBB46_328
.LBB46_2377:
	s_movk_i32 s4, 0x80
	v_cmp_eq_u16_sdwa s[12:13], v11, s4 src0_sel:BYTE_0 src1_sel:DWORD
	s_mov_b64 s[4:5], -1
                                        ; implicit-def: $sgpr10
	s_and_saveexec_b64 s[8:9], s[12:13]
; %bb.2378:
	s_mov_b32 s10, 0x7f800001
	s_xor_b64 s[4:5], exec, -1
; %bb.2379:
	s_or_b64 exec, exec, s[8:9]
	s_and_b64 s[4:5], s[4:5], exec
	s_or_saveexec_b64 s[6:7], s[6:7]
	v_mov_b32_e32 v10, s10
	s_xor_b64 exec, exec, s[6:7]
	s_cbranch_execz .LBB46_330
.LBB46_2380:
	v_mov_b32_e32 v10, 0
	v_cmp_ne_u16_sdwa s[8:9], v11, v10 src0_sel:BYTE_0 src1_sel:DWORD
	s_andn2_b64 s[4:5], s[4:5], exec
	s_and_b64 s[8:9], s[8:9], exec
	s_or_b64 s[4:5], s[4:5], s[8:9]
	s_or_b64 exec, exec, s[6:7]
	s_and_saveexec_b64 s[6:7], s[4:5]
	s_cbranch_execnz .LBB46_331
	s_branch .LBB46_332
.LBB46_2381:
	s_movk_i32 s4, 0x80
	v_cmp_eq_u16_sdwa s[12:13], v11, s4 src0_sel:BYTE_0 src1_sel:DWORD
	s_mov_b64 s[4:5], -1
                                        ; implicit-def: $sgpr10
	s_and_saveexec_b64 s[8:9], s[12:13]
; %bb.2382:
	s_mov_b32 s10, 0x7f800001
	s_xor_b64 s[4:5], exec, -1
; %bb.2383:
	s_or_b64 exec, exec, s[8:9]
	s_and_b64 s[4:5], s[4:5], exec
	s_or_saveexec_b64 s[6:7], s[6:7]
	v_mov_b32_e32 v14, s10
	s_xor_b64 exec, exec, s[6:7]
	s_cbranch_execz .LBB46_334
.LBB46_2384:
	v_mov_b32_e32 v14, 0
	v_cmp_ne_u16_sdwa s[8:9], v11, v14 src0_sel:BYTE_0 src1_sel:DWORD
	s_andn2_b64 s[4:5], s[4:5], exec
	s_and_b64 s[8:9], s[8:9], exec
	s_or_b64 s[4:5], s[4:5], s[8:9]
	s_or_b64 exec, exec, s[6:7]
	s_and_saveexec_b64 s[6:7], s[4:5]
	s_cbranch_execnz .LBB46_335
	s_branch .LBB46_336
.LBB46_2385:
	s_movk_i32 s4, 0x80
	v_cmp_eq_u16_e32 vcc, s4, v11
	s_mov_b64 s[4:5], -1
                                        ; implicit-def: $sgpr10
	s_and_saveexec_b64 s[8:9], vcc
; %bb.2386:
	s_mov_b32 s10, 0x7f800001
	s_xor_b64 s[4:5], exec, -1
; %bb.2387:
	s_or_b64 exec, exec, s[8:9]
	s_and_b64 s[4:5], s[4:5], exec
                                        ; implicit-def: $vgpr11
	s_or_saveexec_b64 s[6:7], s[6:7]
	v_mov_b32_e32 v10, s10
	s_xor_b64 exec, exec, s[6:7]
	s_cbranch_execz .LBB46_338
.LBB46_2388:
	v_cmp_ne_u16_e32 vcc, 0, v11
	s_andn2_b64 s[4:5], s[4:5], exec
	s_and_b64 s[8:9], vcc, exec
	v_mov_b32_e32 v10, 0
	s_or_b64 s[4:5], s[4:5], s[8:9]
	s_or_b64 exec, exec, s[6:7]
	s_and_saveexec_b64 s[6:7], s[4:5]
	s_cbranch_execnz .LBB46_339
	s_branch .LBB46_340
.LBB46_2389:
	s_movk_i32 s4, 0x80
	v_cmp_eq_u16_e32 vcc, s4, v11
	s_mov_b64 s[4:5], -1
                                        ; implicit-def: $sgpr10
	s_and_saveexec_b64 s[8:9], vcc
; %bb.2390:
	s_mov_b32 s10, 0x7f800001
	s_xor_b64 s[4:5], exec, -1
; %bb.2391:
	s_or_b64 exec, exec, s[8:9]
	s_and_b64 s[4:5], s[4:5], exec
                                        ; implicit-def: $vgpr11
	s_or_saveexec_b64 s[6:7], s[6:7]
	v_mov_b32_e32 v14, s10
	s_xor_b64 exec, exec, s[6:7]
	s_cbranch_execz .LBB46_342
.LBB46_2392:
	v_cmp_ne_u16_e32 vcc, 0, v11
	s_andn2_b64 s[4:5], s[4:5], exec
	s_and_b64 s[8:9], vcc, exec
	v_mov_b32_e32 v14, 0
	s_or_b64 s[4:5], s[4:5], s[8:9]
	s_or_b64 exec, exec, s[6:7]
	s_and_saveexec_b64 s[6:7], s[4:5]
	s_cbranch_execnz .LBB46_343
	s_branch .LBB46_344
.LBB46_2393:
	s_movk_i32 s4, 0x80
	v_cmp_eq_u16_sdwa s[12:13], v16, s4 src0_sel:BYTE_3 src1_sel:DWORD
	s_mov_b64 s[4:5], -1
                                        ; implicit-def: $sgpr10
	s_and_saveexec_b64 s[8:9], s[12:13]
; %bb.2394:
	s_mov_b32 s10, 0x7f800001
	s_xor_b64 s[4:5], exec, -1
; %bb.2395:
	s_or_b64 exec, exec, s[8:9]
	s_and_b64 s[4:5], s[4:5], exec
	s_or_saveexec_b64 s[6:7], s[6:7]
	v_mov_b32_e32 v10, s10
	s_xor_b64 exec, exec, s[6:7]
	s_cbranch_execz .LBB46_346
.LBB46_2396:
	v_mov_b32_e32 v10, 0
	v_cmp_ne_u16_sdwa s[8:9], v16, v10 src0_sel:BYTE_3 src1_sel:DWORD
	s_andn2_b64 s[4:5], s[4:5], exec
	s_and_b64 s[8:9], s[8:9], exec
	s_or_b64 s[4:5], s[4:5], s[8:9]
	s_or_b64 exec, exec, s[6:7]
	s_and_saveexec_b64 s[6:7], s[4:5]
	s_cbranch_execnz .LBB46_347
	s_branch .LBB46_348
.LBB46_2397:
	s_movk_i32 s4, 0x80
	v_cmp_eq_u16_sdwa s[12:13], v12, s4 src0_sel:BYTE_3 src1_sel:DWORD
	s_mov_b64 s[4:5], -1
                                        ; implicit-def: $sgpr10
	s_and_saveexec_b64 s[8:9], s[12:13]
; %bb.2398:
	s_mov_b32 s10, 0x7f800001
	s_xor_b64 s[4:5], exec, -1
; %bb.2399:
	s_or_b64 exec, exec, s[8:9]
	s_and_b64 s[4:5], s[4:5], exec
	s_or_saveexec_b64 s[6:7], s[6:7]
	v_mov_b32_e32 v11, s10
	s_xor_b64 exec, exec, s[6:7]
	s_cbranch_execz .LBB46_350
.LBB46_2400:
	v_mov_b32_e32 v11, 0
	v_cmp_ne_u16_sdwa s[8:9], v12, v11 src0_sel:BYTE_3 src1_sel:DWORD
	s_andn2_b64 s[4:5], s[4:5], exec
	s_and_b64 s[8:9], s[8:9], exec
	s_or_b64 s[4:5], s[4:5], s[8:9]
	s_or_b64 exec, exec, s[6:7]
	s_and_saveexec_b64 s[6:7], s[4:5]
	s_cbranch_execnz .LBB46_351
	s_branch .LBB46_352
.LBB46_2401:
	s_movk_i32 s4, 0x80
	v_cmp_eq_u16_sdwa s[12:13], v17, s4 src0_sel:BYTE_0 src1_sel:DWORD
	s_mov_b64 s[4:5], -1
                                        ; implicit-def: $sgpr10
	s_and_saveexec_b64 s[8:9], s[12:13]
; %bb.2402:
	s_mov_b32 s10, 0x7f800001
	s_xor_b64 s[4:5], exec, -1
; %bb.2403:
	s_or_b64 exec, exec, s[8:9]
	s_and_b64 s[4:5], s[4:5], exec
	s_or_saveexec_b64 s[6:7], s[6:7]
	v_mov_b32_e32 v10, s10
	s_xor_b64 exec, exec, s[6:7]
	s_cbranch_execz .LBB46_354
.LBB46_2404:
	v_mov_b32_e32 v10, 0
	v_cmp_ne_u16_sdwa s[8:9], v17, v10 src0_sel:BYTE_0 src1_sel:DWORD
	s_andn2_b64 s[4:5], s[4:5], exec
	s_and_b64 s[8:9], s[8:9], exec
	s_or_b64 s[4:5], s[4:5], s[8:9]
	s_or_b64 exec, exec, s[6:7]
	s_and_saveexec_b64 s[6:7], s[4:5]
	s_cbranch_execnz .LBB46_355
	s_branch .LBB46_356
.LBB46_2405:
	s_movk_i32 s4, 0x80
	v_cmp_eq_u16_sdwa s[12:13], v13, s4 src0_sel:BYTE_0 src1_sel:DWORD
	s_mov_b64 s[4:5], -1
                                        ; implicit-def: $sgpr10
	s_and_saveexec_b64 s[8:9], s[12:13]
; %bb.2406:
	s_mov_b32 s10, 0x7f800001
	s_xor_b64 s[4:5], exec, -1
; %bb.2407:
	s_or_b64 exec, exec, s[8:9]
	s_and_b64 s[4:5], s[4:5], exec
	s_or_saveexec_b64 s[6:7], s[6:7]
	v_mov_b32_e32 v11, s10
	s_xor_b64 exec, exec, s[6:7]
	s_cbranch_execz .LBB46_358
.LBB46_2408:
	v_mov_b32_e32 v11, 0
	v_cmp_ne_u16_sdwa s[8:9], v13, v11 src0_sel:BYTE_0 src1_sel:DWORD
	s_andn2_b64 s[4:5], s[4:5], exec
	s_and_b64 s[8:9], s[8:9], exec
	s_or_b64 s[4:5], s[4:5], s[8:9]
	s_or_b64 exec, exec, s[6:7]
	s_and_saveexec_b64 s[6:7], s[4:5]
	s_cbranch_execnz .LBB46_359
	s_branch .LBB46_360
.LBB46_2409:
	s_movk_i32 s4, 0x80
	v_cmp_eq_u16_sdwa s[12:13], v11, s4 src0_sel:BYTE_0 src1_sel:DWORD
	s_mov_b64 s[4:5], -1
                                        ; implicit-def: $sgpr10
	s_and_saveexec_b64 s[8:9], s[12:13]
; %bb.2410:
	s_mov_b32 s10, 0x7f800001
	s_xor_b64 s[4:5], exec, -1
; %bb.2411:
	s_or_b64 exec, exec, s[8:9]
	s_and_b64 s[4:5], s[4:5], exec
	s_or_saveexec_b64 s[6:7], s[6:7]
	v_mov_b32_e32 v10, s10
	s_xor_b64 exec, exec, s[6:7]
	s_cbranch_execz .LBB46_362
.LBB46_2412:
	v_mov_b32_e32 v10, 0
	v_cmp_ne_u16_sdwa s[8:9], v11, v10 src0_sel:BYTE_0 src1_sel:DWORD
	s_andn2_b64 s[4:5], s[4:5], exec
	s_and_b64 s[8:9], s[8:9], exec
	s_or_b64 s[4:5], s[4:5], s[8:9]
	s_or_b64 exec, exec, s[6:7]
	s_and_saveexec_b64 s[6:7], s[4:5]
	s_cbranch_execnz .LBB46_363
	s_branch .LBB46_364
.LBB46_2413:
	s_movk_i32 s4, 0x80
	v_cmp_eq_u16_sdwa s[12:13], v11, s4 src0_sel:BYTE_0 src1_sel:DWORD
	s_mov_b64 s[4:5], -1
                                        ; implicit-def: $sgpr10
	s_and_saveexec_b64 s[8:9], s[12:13]
; %bb.2414:
	s_mov_b32 s10, 0x7f800001
	s_xor_b64 s[4:5], exec, -1
; %bb.2415:
	s_or_b64 exec, exec, s[8:9]
	s_and_b64 s[4:5], s[4:5], exec
	s_or_saveexec_b64 s[6:7], s[6:7]
	v_mov_b32_e32 v12, s10
	s_xor_b64 exec, exec, s[6:7]
	s_cbranch_execz .LBB46_366
.LBB46_2416:
	v_mov_b32_e32 v12, 0
	v_cmp_ne_u16_sdwa s[8:9], v11, v12 src0_sel:BYTE_0 src1_sel:DWORD
	s_andn2_b64 s[4:5], s[4:5], exec
	s_and_b64 s[8:9], s[8:9], exec
	s_or_b64 s[4:5], s[4:5], s[8:9]
	s_or_b64 exec, exec, s[6:7]
	s_and_saveexec_b64 s[6:7], s[4:5]
	s_cbranch_execnz .LBB46_367
	s_branch .LBB46_368
.LBB46_2417:
	s_movk_i32 s4, 0x80
	v_cmp_eq_u16_e32 vcc, s4, v11
	s_mov_b64 s[4:5], -1
                                        ; implicit-def: $sgpr10
	s_and_saveexec_b64 s[8:9], vcc
; %bb.2418:
	s_mov_b32 s10, 0x7f800001
	s_xor_b64 s[4:5], exec, -1
; %bb.2419:
	s_or_b64 exec, exec, s[8:9]
	s_and_b64 s[4:5], s[4:5], exec
                                        ; implicit-def: $vgpr11
	s_or_saveexec_b64 s[6:7], s[6:7]
	v_mov_b32_e32 v10, s10
	s_xor_b64 exec, exec, s[6:7]
	s_cbranch_execz .LBB46_370
.LBB46_2420:
	v_cmp_ne_u16_e32 vcc, 0, v11
	s_andn2_b64 s[4:5], s[4:5], exec
	s_and_b64 s[8:9], vcc, exec
	v_mov_b32_e32 v10, 0
	s_or_b64 s[4:5], s[4:5], s[8:9]
	s_or_b64 exec, exec, s[6:7]
	s_and_saveexec_b64 s[6:7], s[4:5]
	s_cbranch_execnz .LBB46_371
	s_branch .LBB46_372
.LBB46_2421:
	s_movk_i32 s4, 0x80
	v_cmp_eq_u16_e32 vcc, s4, v11
	s_mov_b64 s[4:5], -1
                                        ; implicit-def: $sgpr10
	s_and_saveexec_b64 s[8:9], vcc
; %bb.2422:
	s_mov_b32 s10, 0x7f800001
	s_xor_b64 s[4:5], exec, -1
; %bb.2423:
	s_or_b64 exec, exec, s[8:9]
	s_and_b64 s[4:5], s[4:5], exec
                                        ; implicit-def: $vgpr11
	s_or_saveexec_b64 s[6:7], s[6:7]
	v_mov_b32_e32 v12, s10
	s_xor_b64 exec, exec, s[6:7]
	s_cbranch_execz .LBB46_374
.LBB46_2424:
	v_cmp_ne_u16_e32 vcc, 0, v11
	s_andn2_b64 s[4:5], s[4:5], exec
	s_and_b64 s[8:9], vcc, exec
	v_mov_b32_e32 v12, 0
	s_or_b64 s[4:5], s[4:5], s[8:9]
	s_or_b64 exec, exec, s[6:7]
	s_and_saveexec_b64 s[6:7], s[4:5]
	s_cbranch_execnz .LBB46_375
	s_branch .LBB46_376
.LBB46_2425:
	s_movk_i32 s4, 0x80
	v_cmp_eq_u16_sdwa s[12:13], v17, s4 src0_sel:BYTE_3 src1_sel:DWORD
	s_mov_b64 s[4:5], -1
                                        ; implicit-def: $sgpr10
	s_and_saveexec_b64 s[8:9], s[12:13]
; %bb.2426:
	s_mov_b32 s10, 0x7f800001
	s_xor_b64 s[4:5], exec, -1
; %bb.2427:
	s_or_b64 exec, exec, s[8:9]
	s_and_b64 s[4:5], s[4:5], exec
	s_or_saveexec_b64 s[6:7], s[6:7]
	v_mov_b32_e32 v10, s10
	s_xor_b64 exec, exec, s[6:7]
	s_cbranch_execz .LBB46_378
.LBB46_2428:
	v_mov_b32_e32 v10, 0
	v_cmp_ne_u16_sdwa s[8:9], v17, v10 src0_sel:BYTE_3 src1_sel:DWORD
	s_andn2_b64 s[4:5], s[4:5], exec
	s_and_b64 s[8:9], s[8:9], exec
	s_or_b64 s[4:5], s[4:5], s[8:9]
	s_or_b64 exec, exec, s[6:7]
	s_and_saveexec_b64 s[6:7], s[4:5]
	s_cbranch_execnz .LBB46_379
	s_branch .LBB46_380
.LBB46_2429:
	s_movk_i32 s4, 0x80
	v_cmp_eq_u16_sdwa s[12:13], v13, s4 src0_sel:BYTE_3 src1_sel:DWORD
	s_mov_b64 s[4:5], -1
                                        ; implicit-def: $sgpr10
	s_and_saveexec_b64 s[8:9], s[12:13]
; %bb.2430:
	s_mov_b32 s10, 0x7f800001
	s_xor_b64 s[4:5], exec, -1
; %bb.2431:
	s_or_b64 exec, exec, s[8:9]
	s_and_b64 s[4:5], s[4:5], exec
	s_or_saveexec_b64 s[6:7], s[6:7]
	v_mov_b32_e32 v11, s10
	s_xor_b64 exec, exec, s[6:7]
	s_cbranch_execz .LBB46_382
.LBB46_2432:
	v_mov_b32_e32 v11, 0
	v_cmp_ne_u16_sdwa s[8:9], v13, v11 src0_sel:BYTE_3 src1_sel:DWORD
	s_andn2_b64 s[4:5], s[4:5], exec
	s_and_b64 s[8:9], s[8:9], exec
	s_or_b64 s[4:5], s[4:5], s[8:9]
	s_or_b64 exec, exec, s[6:7]
	s_and_saveexec_b64 s[6:7], s[4:5]
	s_cbranch_execnz .LBB46_383
	s_branch .LBB46_384
.LBB46_2433:
	s_movk_i32 s4, 0x80
	v_cmp_eq_u16_sdwa s[12:13], v6, s4 src0_sel:BYTE_0 src1_sel:DWORD
	s_mov_b64 s[4:5], -1
                                        ; implicit-def: $sgpr10
	s_and_saveexec_b64 s[8:9], s[12:13]
; %bb.2434:
	s_mov_b32 s10, 0x7f800001
	s_xor_b64 s[4:5], exec, -1
; %bb.2435:
	s_or_b64 exec, exec, s[8:9]
	s_and_b64 s[4:5], s[4:5], exec
	s_or_saveexec_b64 s[6:7], s[6:7]
	v_mov_b32_e32 v10, s10
	s_xor_b64 exec, exec, s[6:7]
	s_cbranch_execz .LBB46_386
.LBB46_2436:
	v_mov_b32_e32 v10, 0
	v_cmp_ne_u16_sdwa s[8:9], v6, v10 src0_sel:BYTE_0 src1_sel:DWORD
	s_andn2_b64 s[4:5], s[4:5], exec
	s_and_b64 s[8:9], s[8:9], exec
	s_or_b64 s[4:5], s[4:5], s[8:9]
	s_or_b64 exec, exec, s[6:7]
	s_and_saveexec_b64 s[6:7], s[4:5]
	s_cbranch_execnz .LBB46_387
	s_branch .LBB46_388
.LBB46_2437:
	s_movk_i32 s4, 0x80
	v_cmp_eq_u16_sdwa s[12:13], v2, s4 src0_sel:BYTE_0 src1_sel:DWORD
	s_mov_b64 s[4:5], -1
                                        ; implicit-def: $sgpr10
	s_and_saveexec_b64 s[8:9], s[12:13]
; %bb.2438:
	s_mov_b32 s10, 0x7f800001
	s_xor_b64 s[4:5], exec, -1
; %bb.2439:
	s_or_b64 exec, exec, s[8:9]
	s_and_b64 s[4:5], s[4:5], exec
	s_or_saveexec_b64 s[6:7], s[6:7]
	v_mov_b32_e32 v11, s10
	s_xor_b64 exec, exec, s[6:7]
	s_cbranch_execz .LBB46_390
.LBB46_2440:
	v_mov_b32_e32 v11, 0
	v_cmp_ne_u16_sdwa s[8:9], v2, v11 src0_sel:BYTE_0 src1_sel:DWORD
	s_andn2_b64 s[4:5], s[4:5], exec
	s_and_b64 s[8:9], s[8:9], exec
	s_or_b64 s[4:5], s[4:5], s[8:9]
	s_or_b64 exec, exec, s[6:7]
	s_and_saveexec_b64 s[6:7], s[4:5]
	s_cbranch_execnz .LBB46_391
	s_branch .LBB46_392
.LBB46_2441:
	s_movk_i32 s4, 0x80
	v_cmp_eq_u16_sdwa s[12:13], v11, s4 src0_sel:BYTE_0 src1_sel:DWORD
	s_mov_b64 s[4:5], -1
                                        ; implicit-def: $sgpr10
	s_and_saveexec_b64 s[8:9], s[12:13]
; %bb.2442:
	s_mov_b32 s10, 0x7f800001
	s_xor_b64 s[4:5], exec, -1
; %bb.2443:
	s_or_b64 exec, exec, s[8:9]
	s_and_b64 s[4:5], s[4:5], exec
	s_or_saveexec_b64 s[6:7], s[6:7]
	v_mov_b32_e32 v10, s10
	s_xor_b64 exec, exec, s[6:7]
	s_cbranch_execz .LBB46_394
.LBB46_2444:
	v_mov_b32_e32 v10, 0
	v_cmp_ne_u16_sdwa s[8:9], v11, v10 src0_sel:BYTE_0 src1_sel:DWORD
	s_andn2_b64 s[4:5], s[4:5], exec
	s_and_b64 s[8:9], s[8:9], exec
	s_or_b64 s[4:5], s[4:5], s[8:9]
	s_or_b64 exec, exec, s[6:7]
	s_and_saveexec_b64 s[6:7], s[4:5]
	s_cbranch_execnz .LBB46_395
	s_branch .LBB46_396
.LBB46_2445:
	s_movk_i32 s4, 0x80
	v_cmp_eq_u16_sdwa s[12:13], v11, s4 src0_sel:BYTE_0 src1_sel:DWORD
	s_mov_b64 s[4:5], -1
                                        ; implicit-def: $sgpr10
	s_and_saveexec_b64 s[8:9], s[12:13]
; %bb.2446:
	s_mov_b32 s10, 0x7f800001
	s_xor_b64 s[4:5], exec, -1
; %bb.2447:
	s_or_b64 exec, exec, s[8:9]
	s_and_b64 s[4:5], s[4:5], exec
	s_or_saveexec_b64 s[6:7], s[6:7]
	v_mov_b32_e32 v12, s10
	s_xor_b64 exec, exec, s[6:7]
	s_cbranch_execz .LBB46_398
.LBB46_2448:
	v_mov_b32_e32 v12, 0
	v_cmp_ne_u16_sdwa s[8:9], v11, v12 src0_sel:BYTE_0 src1_sel:DWORD
	s_andn2_b64 s[4:5], s[4:5], exec
	s_and_b64 s[8:9], s[8:9], exec
	s_or_b64 s[4:5], s[4:5], s[8:9]
	s_or_b64 exec, exec, s[6:7]
	s_and_saveexec_b64 s[6:7], s[4:5]
	s_cbranch_execnz .LBB46_399
	s_branch .LBB46_400
.LBB46_2449:
	s_movk_i32 s4, 0x80
	v_cmp_eq_u16_e32 vcc, s4, v11
	s_mov_b64 s[4:5], -1
                                        ; implicit-def: $sgpr10
	s_and_saveexec_b64 s[8:9], vcc
; %bb.2450:
	s_mov_b32 s10, 0x7f800001
	s_xor_b64 s[4:5], exec, -1
; %bb.2451:
	s_or_b64 exec, exec, s[8:9]
	s_and_b64 s[4:5], s[4:5], exec
                                        ; implicit-def: $vgpr11
	s_or_saveexec_b64 s[6:7], s[6:7]
	v_mov_b32_e32 v10, s10
	s_xor_b64 exec, exec, s[6:7]
	s_cbranch_execz .LBB46_402
.LBB46_2452:
	v_cmp_ne_u16_e32 vcc, 0, v11
	s_andn2_b64 s[4:5], s[4:5], exec
	s_and_b64 s[8:9], vcc, exec
	v_mov_b32_e32 v10, 0
	s_or_b64 s[4:5], s[4:5], s[8:9]
	s_or_b64 exec, exec, s[6:7]
	s_and_saveexec_b64 s[6:7], s[4:5]
	s_cbranch_execnz .LBB46_403
	s_branch .LBB46_404
.LBB46_2453:
	s_movk_i32 s4, 0x80
	v_cmp_eq_u16_e32 vcc, s4, v11
	s_mov_b64 s[4:5], -1
                                        ; implicit-def: $sgpr10
	s_and_saveexec_b64 s[8:9], vcc
; %bb.2454:
	s_mov_b32 s10, 0x7f800001
	s_xor_b64 s[4:5], exec, -1
; %bb.2455:
	s_or_b64 exec, exec, s[8:9]
	s_and_b64 s[4:5], s[4:5], exec
                                        ; implicit-def: $vgpr11
	s_or_saveexec_b64 s[6:7], s[6:7]
	v_mov_b32_e32 v12, s10
	s_xor_b64 exec, exec, s[6:7]
	s_cbranch_execz .LBB46_406
.LBB46_2456:
	v_cmp_ne_u16_e32 vcc, 0, v11
	s_andn2_b64 s[4:5], s[4:5], exec
	s_and_b64 s[8:9], vcc, exec
	v_mov_b32_e32 v12, 0
	s_or_b64 s[4:5], s[4:5], s[8:9]
	s_or_b64 exec, exec, s[6:7]
	s_and_saveexec_b64 s[6:7], s[4:5]
	s_cbranch_execnz .LBB46_407
	s_branch .LBB46_408
.LBB46_2457:
	s_movk_i32 s4, 0x80
	v_cmp_eq_u16_sdwa s[12:13], v6, s4 src0_sel:BYTE_3 src1_sel:DWORD
	s_mov_b64 s[4:5], -1
                                        ; implicit-def: $sgpr10
	s_and_saveexec_b64 s[8:9], s[12:13]
; %bb.2458:
	s_mov_b32 s10, 0x7f800001
	s_xor_b64 s[4:5], exec, -1
; %bb.2459:
	s_or_b64 exec, exec, s[8:9]
	s_and_b64 s[4:5], s[4:5], exec
	s_or_saveexec_b64 s[6:7], s[6:7]
	v_mov_b32_e32 v10, s10
	s_xor_b64 exec, exec, s[6:7]
	s_cbranch_execz .LBB46_410
.LBB46_2460:
	v_mov_b32_e32 v10, 0
	v_cmp_ne_u16_sdwa s[8:9], v6, v10 src0_sel:BYTE_3 src1_sel:DWORD
	s_andn2_b64 s[4:5], s[4:5], exec
	s_and_b64 s[8:9], s[8:9], exec
	s_or_b64 s[4:5], s[4:5], s[8:9]
	s_or_b64 exec, exec, s[6:7]
	s_and_saveexec_b64 s[6:7], s[4:5]
	s_cbranch_execnz .LBB46_411
	s_branch .LBB46_412
.LBB46_2461:
	s_movk_i32 s4, 0x80
	v_cmp_eq_u16_sdwa s[12:13], v2, s4 src0_sel:BYTE_3 src1_sel:DWORD
	s_mov_b64 s[4:5], -1
                                        ; implicit-def: $sgpr10
	s_and_saveexec_b64 s[8:9], s[12:13]
; %bb.2462:
	s_mov_b32 s10, 0x7f800001
	s_xor_b64 s[4:5], exec, -1
; %bb.2463:
	s_or_b64 exec, exec, s[8:9]
	s_and_b64 s[4:5], s[4:5], exec
	s_or_saveexec_b64 s[6:7], s[6:7]
	v_mov_b32_e32 v6, s10
	s_xor_b64 exec, exec, s[6:7]
	s_cbranch_execz .LBB46_414
.LBB46_2464:
	v_mov_b32_e32 v6, 0
	v_cmp_ne_u16_sdwa s[8:9], v2, v6 src0_sel:BYTE_3 src1_sel:DWORD
	s_andn2_b64 s[4:5], s[4:5], exec
	s_and_b64 s[8:9], s[8:9], exec
	s_or_b64 s[4:5], s[4:5], s[8:9]
	s_or_b64 exec, exec, s[6:7]
	s_and_saveexec_b64 s[6:7], s[4:5]
	s_cbranch_execnz .LBB46_415
	s_branch .LBB46_416
.LBB46_2465:
	s_movk_i32 s4, 0x80
	v_cmp_eq_u16_sdwa s[12:13], v7, s4 src0_sel:BYTE_0 src1_sel:DWORD
	s_mov_b64 s[4:5], -1
                                        ; implicit-def: $sgpr10
	s_and_saveexec_b64 s[8:9], s[12:13]
; %bb.2466:
	s_mov_b32 s10, 0x7f800001
	s_xor_b64 s[4:5], exec, -1
; %bb.2467:
	s_or_b64 exec, exec, s[8:9]
	s_and_b64 s[4:5], s[4:5], exec
	s_or_saveexec_b64 s[6:7], s[6:7]
	v_mov_b32_e32 v2, s10
	s_xor_b64 exec, exec, s[6:7]
	s_cbranch_execz .LBB46_418
.LBB46_2468:
	v_mov_b32_e32 v2, 0
	v_cmp_ne_u16_sdwa s[8:9], v7, v2 src0_sel:BYTE_0 src1_sel:DWORD
	s_andn2_b64 s[4:5], s[4:5], exec
	s_and_b64 s[8:9], s[8:9], exec
	s_or_b64 s[4:5], s[4:5], s[8:9]
	s_or_b64 exec, exec, s[6:7]
	s_and_saveexec_b64 s[6:7], s[4:5]
	s_cbranch_execnz .LBB46_419
	s_branch .LBB46_420
.LBB46_2469:
	s_movk_i32 s4, 0x80
	v_cmp_eq_u16_sdwa s[12:13], v3, s4 src0_sel:BYTE_0 src1_sel:DWORD
	s_mov_b64 s[4:5], -1
                                        ; implicit-def: $sgpr10
	s_and_saveexec_b64 s[8:9], s[12:13]
; %bb.2470:
	s_mov_b32 s10, 0x7f800001
	s_xor_b64 s[4:5], exec, -1
; %bb.2471:
	s_or_b64 exec, exec, s[8:9]
	s_and_b64 s[4:5], s[4:5], exec
	s_or_saveexec_b64 s[6:7], s[6:7]
	v_mov_b32_e32 v6, s10
	s_xor_b64 exec, exec, s[6:7]
	s_cbranch_execz .LBB46_422
.LBB46_2472:
	v_mov_b32_e32 v6, 0
	v_cmp_ne_u16_sdwa s[8:9], v3, v6 src0_sel:BYTE_0 src1_sel:DWORD
	s_andn2_b64 s[4:5], s[4:5], exec
	s_and_b64 s[8:9], s[8:9], exec
	s_or_b64 s[4:5], s[4:5], s[8:9]
	s_or_b64 exec, exec, s[6:7]
	s_and_saveexec_b64 s[6:7], s[4:5]
	s_cbranch_execnz .LBB46_423
	s_branch .LBB46_424
.LBB46_2473:
	s_movk_i32 s4, 0x80
	v_cmp_eq_u16_sdwa s[12:13], v6, s4 src0_sel:BYTE_0 src1_sel:DWORD
	s_mov_b64 s[4:5], -1
                                        ; implicit-def: $sgpr10
	s_and_saveexec_b64 s[8:9], s[12:13]
; %bb.2474:
	s_mov_b32 s10, 0x7f800001
	s_xor_b64 s[4:5], exec, -1
; %bb.2475:
	s_or_b64 exec, exec, s[8:9]
	s_and_b64 s[4:5], s[4:5], exec
	s_or_saveexec_b64 s[6:7], s[6:7]
	v_mov_b32_e32 v2, s10
	s_xor_b64 exec, exec, s[6:7]
	s_cbranch_execz .LBB46_426
.LBB46_2476:
	v_mov_b32_e32 v2, 0
	v_cmp_ne_u16_sdwa s[8:9], v6, v2 src0_sel:BYTE_0 src1_sel:DWORD
	s_andn2_b64 s[4:5], s[4:5], exec
	s_and_b64 s[8:9], s[8:9], exec
	s_or_b64 s[4:5], s[4:5], s[8:9]
	s_or_b64 exec, exec, s[6:7]
	s_and_saveexec_b64 s[6:7], s[4:5]
	s_cbranch_execnz .LBB46_427
	s_branch .LBB46_428
.LBB46_2477:
	s_movk_i32 s4, 0x80
	v_cmp_eq_u16_sdwa s[12:13], v6, s4 src0_sel:BYTE_0 src1_sel:DWORD
	s_mov_b64 s[4:5], -1
                                        ; implicit-def: $sgpr10
	s_and_saveexec_b64 s[8:9], s[12:13]
; %bb.2478:
	s_mov_b32 s10, 0x7f800001
	s_xor_b64 s[4:5], exec, -1
; %bb.2479:
	s_or_b64 exec, exec, s[8:9]
	s_and_b64 s[4:5], s[4:5], exec
	s_or_saveexec_b64 s[6:7], s[6:7]
	v_mov_b32_e32 v10, s10
	s_xor_b64 exec, exec, s[6:7]
	s_cbranch_execz .LBB46_430
.LBB46_2480:
	v_mov_b32_e32 v10, 0
	v_cmp_ne_u16_sdwa s[8:9], v6, v10 src0_sel:BYTE_0 src1_sel:DWORD
	s_andn2_b64 s[4:5], s[4:5], exec
	s_and_b64 s[8:9], s[8:9], exec
	s_or_b64 s[4:5], s[4:5], s[8:9]
	s_or_b64 exec, exec, s[6:7]
	s_and_saveexec_b64 s[6:7], s[4:5]
	s_cbranch_execnz .LBB46_431
	s_branch .LBB46_432
.LBB46_2481:
	s_movk_i32 s4, 0x80
	v_cmp_eq_u16_e32 vcc, s4, v6
	s_mov_b64 s[4:5], -1
                                        ; implicit-def: $sgpr10
	s_and_saveexec_b64 s[8:9], vcc
; %bb.2482:
	s_mov_b32 s10, 0x7f800001
	s_xor_b64 s[4:5], exec, -1
; %bb.2483:
	s_or_b64 exec, exec, s[8:9]
	s_and_b64 s[4:5], s[4:5], exec
                                        ; implicit-def: $vgpr6
	s_or_saveexec_b64 s[6:7], s[6:7]
	v_mov_b32_e32 v2, s10
	s_xor_b64 exec, exec, s[6:7]
	s_cbranch_execz .LBB46_434
.LBB46_2484:
	v_cmp_ne_u16_e32 vcc, 0, v6
	s_andn2_b64 s[4:5], s[4:5], exec
	s_and_b64 s[8:9], vcc, exec
	v_mov_b32_e32 v2, 0
	s_or_b64 s[4:5], s[4:5], s[8:9]
	s_or_b64 exec, exec, s[6:7]
	s_and_saveexec_b64 s[6:7], s[4:5]
	s_cbranch_execnz .LBB46_435
	s_branch .LBB46_436
.LBB46_2485:
	s_movk_i32 s4, 0x80
	v_cmp_eq_u16_e32 vcc, s4, v6
	s_mov_b64 s[4:5], -1
                                        ; implicit-def: $sgpr10
	s_and_saveexec_b64 s[8:9], vcc
; %bb.2486:
	s_mov_b32 s10, 0x7f800001
	s_xor_b64 s[4:5], exec, -1
; %bb.2487:
	s_or_b64 exec, exec, s[8:9]
	s_and_b64 s[4:5], s[4:5], exec
                                        ; implicit-def: $vgpr6
	s_or_saveexec_b64 s[6:7], s[6:7]
	v_mov_b32_e32 v10, s10
	s_xor_b64 exec, exec, s[6:7]
	s_cbranch_execz .LBB46_438
.LBB46_2488:
	v_cmp_ne_u16_e32 vcc, 0, v6
	s_andn2_b64 s[4:5], s[4:5], exec
	s_and_b64 s[8:9], vcc, exec
	v_mov_b32_e32 v10, 0
	s_or_b64 s[4:5], s[4:5], s[8:9]
	s_or_b64 exec, exec, s[6:7]
	s_and_saveexec_b64 s[6:7], s[4:5]
	s_cbranch_execnz .LBB46_439
	s_branch .LBB46_440
.LBB46_2489:
	s_movk_i32 s4, 0x80
	v_cmp_eq_u16_sdwa s[12:13], v7, s4 src0_sel:BYTE_3 src1_sel:DWORD
	s_mov_b64 s[4:5], -1
                                        ; implicit-def: $sgpr10
	s_and_saveexec_b64 s[8:9], s[12:13]
; %bb.2490:
	s_mov_b32 s10, 0x7f800001
	s_xor_b64 s[4:5], exec, -1
; %bb.2491:
	s_or_b64 exec, exec, s[8:9]
	s_and_b64 s[4:5], s[4:5], exec
	s_or_saveexec_b64 s[6:7], s[6:7]
	v_mov_b32_e32 v2, s10
	s_xor_b64 exec, exec, s[6:7]
	s_cbranch_execz .LBB46_442
.LBB46_2492:
	v_mov_b32_e32 v2, 0
	v_cmp_ne_u16_sdwa s[8:9], v7, v2 src0_sel:BYTE_3 src1_sel:DWORD
	s_andn2_b64 s[4:5], s[4:5], exec
	s_and_b64 s[8:9], s[8:9], exec
	s_or_b64 s[4:5], s[4:5], s[8:9]
	s_or_b64 exec, exec, s[6:7]
	s_and_saveexec_b64 s[6:7], s[4:5]
	s_cbranch_execnz .LBB46_443
	s_branch .LBB46_444
.LBB46_2493:
	s_movk_i32 s4, 0x80
	v_cmp_eq_u16_sdwa s[12:13], v3, s4 src0_sel:BYTE_3 src1_sel:DWORD
	s_mov_b64 s[4:5], -1
                                        ; implicit-def: $sgpr10
	s_and_saveexec_b64 s[8:9], s[12:13]
; %bb.2494:
	s_mov_b32 s10, 0x7f800001
	s_xor_b64 s[4:5], exec, -1
; %bb.2495:
	s_or_b64 exec, exec, s[8:9]
	s_and_b64 s[4:5], s[4:5], exec
	s_or_saveexec_b64 s[6:7], s[6:7]
	v_mov_b32_e32 v6, s10
	s_xor_b64 exec, exec, s[6:7]
	s_cbranch_execz .LBB46_446
.LBB46_2496:
	v_mov_b32_e32 v6, 0
	v_cmp_ne_u16_sdwa s[8:9], v3, v6 src0_sel:BYTE_3 src1_sel:DWORD
	s_andn2_b64 s[4:5], s[4:5], exec
	s_and_b64 s[8:9], s[8:9], exec
	s_or_b64 s[4:5], s[4:5], s[8:9]
	s_or_b64 exec, exec, s[6:7]
	s_and_saveexec_b64 s[6:7], s[4:5]
	s_cbranch_execnz .LBB46_447
	s_branch .LBB46_448
.LBB46_2497:
	s_movk_i32 s4, 0x80
	v_cmp_eq_u16_sdwa s[12:13], v8, s4 src0_sel:BYTE_0 src1_sel:DWORD
	s_mov_b64 s[4:5], -1
                                        ; implicit-def: $sgpr10
	s_and_saveexec_b64 s[8:9], s[12:13]
; %bb.2498:
	s_mov_b32 s10, 0x7f800001
	s_xor_b64 s[4:5], exec, -1
; %bb.2499:
	s_or_b64 exec, exec, s[8:9]
	s_and_b64 s[4:5], s[4:5], exec
	s_or_saveexec_b64 s[6:7], s[6:7]
	v_mov_b32_e32 v2, s10
	s_xor_b64 exec, exec, s[6:7]
	s_cbranch_execz .LBB46_450
.LBB46_2500:
	v_mov_b32_e32 v2, 0
	v_cmp_ne_u16_sdwa s[8:9], v8, v2 src0_sel:BYTE_0 src1_sel:DWORD
	s_andn2_b64 s[4:5], s[4:5], exec
	s_and_b64 s[8:9], s[8:9], exec
	s_or_b64 s[4:5], s[4:5], s[8:9]
	s_or_b64 exec, exec, s[6:7]
	s_and_saveexec_b64 s[6:7], s[4:5]
	s_cbranch_execnz .LBB46_451
	s_branch .LBB46_452
.LBB46_2501:
	s_movk_i32 s4, 0x80
	v_cmp_eq_u16_sdwa s[12:13], v4, s4 src0_sel:BYTE_0 src1_sel:DWORD
	s_mov_b64 s[4:5], -1
                                        ; implicit-def: $sgpr10
	s_and_saveexec_b64 s[8:9], s[12:13]
; %bb.2502:
	s_mov_b32 s10, 0x7f800001
	s_xor_b64 s[4:5], exec, -1
; %bb.2503:
	s_or_b64 exec, exec, s[8:9]
	s_and_b64 s[4:5], s[4:5], exec
	s_or_saveexec_b64 s[6:7], s[6:7]
	v_mov_b32_e32 v3, s10
	s_xor_b64 exec, exec, s[6:7]
	s_cbranch_execz .LBB46_454
.LBB46_2504:
	v_mov_b32_e32 v3, 0
	v_cmp_ne_u16_sdwa s[8:9], v4, v3 src0_sel:BYTE_0 src1_sel:DWORD
	s_andn2_b64 s[4:5], s[4:5], exec
	s_and_b64 s[8:9], s[8:9], exec
	s_or_b64 s[4:5], s[4:5], s[8:9]
	s_or_b64 exec, exec, s[6:7]
	s_and_saveexec_b64 s[6:7], s[4:5]
	s_cbranch_execnz .LBB46_455
	s_branch .LBB46_456
.LBB46_2505:
	s_movk_i32 s4, 0x80
	v_cmp_eq_u16_sdwa s[12:13], v3, s4 src0_sel:BYTE_0 src1_sel:DWORD
	s_mov_b64 s[4:5], -1
                                        ; implicit-def: $sgpr10
	s_and_saveexec_b64 s[8:9], s[12:13]
; %bb.2506:
	s_mov_b32 s10, 0x7f800001
	s_xor_b64 s[4:5], exec, -1
; %bb.2507:
	s_or_b64 exec, exec, s[8:9]
	s_and_b64 s[4:5], s[4:5], exec
	s_or_saveexec_b64 s[6:7], s[6:7]
	v_mov_b32_e32 v2, s10
	s_xor_b64 exec, exec, s[6:7]
	s_cbranch_execz .LBB46_458
.LBB46_2508:
	v_mov_b32_e32 v2, 0
	v_cmp_ne_u16_sdwa s[8:9], v3, v2 src0_sel:BYTE_0 src1_sel:DWORD
	s_andn2_b64 s[4:5], s[4:5], exec
	s_and_b64 s[8:9], s[8:9], exec
	s_or_b64 s[4:5], s[4:5], s[8:9]
	s_or_b64 exec, exec, s[6:7]
	s_and_saveexec_b64 s[6:7], s[4:5]
	s_cbranch_execnz .LBB46_459
	s_branch .LBB46_460
.LBB46_2509:
	s_movk_i32 s4, 0x80
	v_cmp_eq_u16_sdwa s[12:13], v3, s4 src0_sel:BYTE_0 src1_sel:DWORD
	s_mov_b64 s[4:5], -1
                                        ; implicit-def: $sgpr10
	s_and_saveexec_b64 s[8:9], s[12:13]
; %bb.2510:
	s_mov_b32 s10, 0x7f800001
	s_xor_b64 s[4:5], exec, -1
; %bb.2511:
	s_or_b64 exec, exec, s[8:9]
	s_and_b64 s[4:5], s[4:5], exec
	s_or_saveexec_b64 s[6:7], s[6:7]
	v_mov_b32_e32 v6, s10
	s_xor_b64 exec, exec, s[6:7]
	s_cbranch_execz .LBB46_462
.LBB46_2512:
	v_mov_b32_e32 v6, 0
	v_cmp_ne_u16_sdwa s[8:9], v3, v6 src0_sel:BYTE_0 src1_sel:DWORD
	s_andn2_b64 s[4:5], s[4:5], exec
	s_and_b64 s[8:9], s[8:9], exec
	s_or_b64 s[4:5], s[4:5], s[8:9]
	s_or_b64 exec, exec, s[6:7]
	s_and_saveexec_b64 s[6:7], s[4:5]
	s_cbranch_execnz .LBB46_463
	s_branch .LBB46_464
.LBB46_2513:
	s_movk_i32 s4, 0x80
	v_cmp_eq_u16_e32 vcc, s4, v3
	s_mov_b64 s[4:5], -1
                                        ; implicit-def: $sgpr10
	s_and_saveexec_b64 s[8:9], vcc
; %bb.2514:
	s_mov_b32 s10, 0x7f800001
	s_xor_b64 s[4:5], exec, -1
; %bb.2515:
	s_or_b64 exec, exec, s[8:9]
	s_and_b64 s[4:5], s[4:5], exec
                                        ; implicit-def: $vgpr3
	s_or_saveexec_b64 s[6:7], s[6:7]
	v_mov_b32_e32 v2, s10
	s_xor_b64 exec, exec, s[6:7]
	s_cbranch_execz .LBB46_466
.LBB46_2516:
	v_cmp_ne_u16_e32 vcc, 0, v3
	s_andn2_b64 s[4:5], s[4:5], exec
	s_and_b64 s[8:9], vcc, exec
	v_mov_b32_e32 v2, 0
	s_or_b64 s[4:5], s[4:5], s[8:9]
	s_or_b64 exec, exec, s[6:7]
	s_and_saveexec_b64 s[6:7], s[4:5]
	s_cbranch_execnz .LBB46_467
	s_branch .LBB46_468
.LBB46_2517:
	s_movk_i32 s4, 0x80
	v_cmp_eq_u16_e32 vcc, s4, v3
	s_mov_b64 s[4:5], -1
                                        ; implicit-def: $sgpr10
	s_and_saveexec_b64 s[8:9], vcc
; %bb.2518:
	s_mov_b32 s10, 0x7f800001
	s_xor_b64 s[4:5], exec, -1
; %bb.2519:
	s_or_b64 exec, exec, s[8:9]
	s_and_b64 s[4:5], s[4:5], exec
                                        ; implicit-def: $vgpr3
	s_or_saveexec_b64 s[6:7], s[6:7]
	v_mov_b32_e32 v6, s10
	s_xor_b64 exec, exec, s[6:7]
	s_cbranch_execz .LBB46_470
.LBB46_2520:
	v_cmp_ne_u16_e32 vcc, 0, v3
	s_andn2_b64 s[4:5], s[4:5], exec
	s_and_b64 s[8:9], vcc, exec
	v_mov_b32_e32 v6, 0
	s_or_b64 s[4:5], s[4:5], s[8:9]
	s_or_b64 exec, exec, s[6:7]
	s_and_saveexec_b64 s[6:7], s[4:5]
	s_cbranch_execnz .LBB46_471
	s_branch .LBB46_472
.LBB46_2521:
	s_movk_i32 s4, 0x80
	v_cmp_eq_u16_sdwa s[12:13], v8, s4 src0_sel:BYTE_3 src1_sel:DWORD
	s_mov_b64 s[4:5], -1
                                        ; implicit-def: $sgpr10
	s_and_saveexec_b64 s[8:9], s[12:13]
; %bb.2522:
	s_mov_b32 s10, 0x7f800001
	s_xor_b64 s[4:5], exec, -1
; %bb.2523:
	s_or_b64 exec, exec, s[8:9]
	s_and_b64 s[4:5], s[4:5], exec
	s_or_saveexec_b64 s[6:7], s[6:7]
	v_mov_b32_e32 v2, s10
	s_xor_b64 exec, exec, s[6:7]
	s_cbranch_execz .LBB46_474
.LBB46_2524:
	v_mov_b32_e32 v2, 0
	v_cmp_ne_u16_sdwa s[8:9], v8, v2 src0_sel:BYTE_3 src1_sel:DWORD
	s_andn2_b64 s[4:5], s[4:5], exec
	s_and_b64 s[8:9], s[8:9], exec
	s_or_b64 s[4:5], s[4:5], s[8:9]
	s_or_b64 exec, exec, s[6:7]
	s_and_saveexec_b64 s[6:7], s[4:5]
	s_cbranch_execnz .LBB46_475
	s_branch .LBB46_476
.LBB46_2525:
	s_movk_i32 s4, 0x80
	v_cmp_eq_u16_sdwa s[12:13], v4, s4 src0_sel:BYTE_3 src1_sel:DWORD
	s_mov_b64 s[4:5], -1
                                        ; implicit-def: $sgpr10
	s_and_saveexec_b64 s[8:9], s[12:13]
; %bb.2526:
	s_mov_b32 s10, 0x7f800001
	s_xor_b64 s[4:5], exec, -1
; %bb.2527:
	s_or_b64 exec, exec, s[8:9]
	s_and_b64 s[4:5], s[4:5], exec
	s_or_saveexec_b64 s[6:7], s[6:7]
	v_mov_b32_e32 v3, s10
	s_xor_b64 exec, exec, s[6:7]
	s_cbranch_execz .LBB46_478
.LBB46_2528:
	v_mov_b32_e32 v3, 0
	v_cmp_ne_u16_sdwa s[8:9], v4, v3 src0_sel:BYTE_3 src1_sel:DWORD
	s_andn2_b64 s[4:5], s[4:5], exec
	s_and_b64 s[8:9], s[8:9], exec
	s_or_b64 s[4:5], s[4:5], s[8:9]
	s_or_b64 exec, exec, s[6:7]
	s_and_saveexec_b64 s[6:7], s[4:5]
	s_cbranch_execnz .LBB46_479
	s_branch .LBB46_480
.LBB46_2529:
	s_movk_i32 s4, 0x80
	v_cmp_eq_u16_sdwa s[12:13], v9, s4 src0_sel:BYTE_0 src1_sel:DWORD
	s_mov_b64 s[4:5], -1
                                        ; implicit-def: $sgpr10
	s_and_saveexec_b64 s[8:9], s[12:13]
; %bb.2530:
	s_mov_b32 s10, 0x7f800001
	s_xor_b64 s[4:5], exec, -1
; %bb.2531:
	s_or_b64 exec, exec, s[8:9]
	s_and_b64 s[4:5], s[4:5], exec
	s_or_saveexec_b64 s[6:7], s[6:7]
	v_mov_b32_e32 v2, s10
	s_xor_b64 exec, exec, s[6:7]
	s_cbranch_execz .LBB46_482
.LBB46_2532:
	v_mov_b32_e32 v2, 0
	v_cmp_ne_u16_sdwa s[8:9], v9, v2 src0_sel:BYTE_0 src1_sel:DWORD
	s_andn2_b64 s[4:5], s[4:5], exec
	s_and_b64 s[8:9], s[8:9], exec
	s_or_b64 s[4:5], s[4:5], s[8:9]
	s_or_b64 exec, exec, s[6:7]
	s_and_saveexec_b64 s[6:7], s[4:5]
	s_cbranch_execnz .LBB46_483
	s_branch .LBB46_484
.LBB46_2533:
	s_movk_i32 s4, 0x80
	v_cmp_eq_u16_sdwa s[12:13], v5, s4 src0_sel:BYTE_0 src1_sel:DWORD
	s_mov_b64 s[4:5], -1
                                        ; implicit-def: $sgpr10
	s_and_saveexec_b64 s[8:9], s[12:13]
; %bb.2534:
	s_mov_b32 s10, 0x7f800001
	s_xor_b64 s[4:5], exec, -1
; %bb.2535:
	s_or_b64 exec, exec, s[8:9]
	s_and_b64 s[4:5], s[4:5], exec
	s_or_saveexec_b64 s[6:7], s[6:7]
	v_mov_b32_e32 v3, s10
	s_xor_b64 exec, exec, s[6:7]
	s_cbranch_execz .LBB46_486
.LBB46_2536:
	v_mov_b32_e32 v3, 0
	v_cmp_ne_u16_sdwa s[8:9], v5, v3 src0_sel:BYTE_0 src1_sel:DWORD
	s_andn2_b64 s[4:5], s[4:5], exec
	s_and_b64 s[8:9], s[8:9], exec
	s_or_b64 s[4:5], s[4:5], s[8:9]
	s_or_b64 exec, exec, s[6:7]
	s_and_saveexec_b64 s[6:7], s[4:5]
	s_cbranch_execnz .LBB46_487
	s_branch .LBB46_488
.LBB46_2537:
	s_movk_i32 s4, 0x80
	v_cmp_eq_u16_sdwa s[12:13], v3, s4 src0_sel:BYTE_0 src1_sel:DWORD
	s_mov_b64 s[4:5], -1
                                        ; implicit-def: $sgpr10
	s_and_saveexec_b64 s[8:9], s[12:13]
; %bb.2538:
	s_mov_b32 s10, 0x7f800001
	s_xor_b64 s[4:5], exec, -1
; %bb.2539:
	s_or_b64 exec, exec, s[8:9]
	s_and_b64 s[4:5], s[4:5], exec
	s_or_saveexec_b64 s[6:7], s[6:7]
	v_mov_b32_e32 v2, s10
	s_xor_b64 exec, exec, s[6:7]
	s_cbranch_execz .LBB46_490
.LBB46_2540:
	v_mov_b32_e32 v2, 0
	v_cmp_ne_u16_sdwa s[8:9], v3, v2 src0_sel:BYTE_0 src1_sel:DWORD
	s_andn2_b64 s[4:5], s[4:5], exec
	s_and_b64 s[8:9], s[8:9], exec
	s_or_b64 s[4:5], s[4:5], s[8:9]
	s_or_b64 exec, exec, s[6:7]
	s_and_saveexec_b64 s[6:7], s[4:5]
	s_cbranch_execnz .LBB46_491
	s_branch .LBB46_492
.LBB46_2541:
	s_movk_i32 s4, 0x80
	v_cmp_eq_u16_sdwa s[12:13], v3, s4 src0_sel:BYTE_0 src1_sel:DWORD
	s_mov_b64 s[4:5], -1
                                        ; implicit-def: $sgpr10
	s_and_saveexec_b64 s[8:9], s[12:13]
; %bb.2542:
	s_mov_b32 s10, 0x7f800001
	s_xor_b64 s[4:5], exec, -1
; %bb.2543:
	s_or_b64 exec, exec, s[8:9]
	s_and_b64 s[4:5], s[4:5], exec
	s_or_saveexec_b64 s[6:7], s[6:7]
	v_mov_b32_e32 v4, s10
	s_xor_b64 exec, exec, s[6:7]
	s_cbranch_execz .LBB46_494
.LBB46_2544:
	v_mov_b32_e32 v4, 0
	v_cmp_ne_u16_sdwa s[8:9], v3, v4 src0_sel:BYTE_0 src1_sel:DWORD
	s_andn2_b64 s[4:5], s[4:5], exec
	s_and_b64 s[8:9], s[8:9], exec
	s_or_b64 s[4:5], s[4:5], s[8:9]
	s_or_b64 exec, exec, s[6:7]
	s_and_saveexec_b64 s[6:7], s[4:5]
	s_cbranch_execnz .LBB46_495
	s_branch .LBB46_496
.LBB46_2545:
	s_movk_i32 s4, 0x80
	v_cmp_eq_u16_e32 vcc, s4, v3
	s_mov_b64 s[4:5], -1
                                        ; implicit-def: $sgpr10
	s_and_saveexec_b64 s[8:9], vcc
; %bb.2546:
	s_mov_b32 s10, 0x7f800001
	s_xor_b64 s[4:5], exec, -1
; %bb.2547:
	s_or_b64 exec, exec, s[8:9]
	s_and_b64 s[4:5], s[4:5], exec
                                        ; implicit-def: $vgpr3
	s_or_saveexec_b64 s[6:7], s[6:7]
	v_mov_b32_e32 v2, s10
	s_xor_b64 exec, exec, s[6:7]
	s_cbranch_execz .LBB46_498
.LBB46_2548:
	v_cmp_ne_u16_e32 vcc, 0, v3
	s_andn2_b64 s[4:5], s[4:5], exec
	s_and_b64 s[8:9], vcc, exec
	v_mov_b32_e32 v2, 0
	s_or_b64 s[4:5], s[4:5], s[8:9]
	s_or_b64 exec, exec, s[6:7]
	s_and_saveexec_b64 s[6:7], s[4:5]
	s_cbranch_execnz .LBB46_499
	s_branch .LBB46_500
.LBB46_2549:
	s_movk_i32 s4, 0x80
	v_cmp_eq_u16_e32 vcc, s4, v3
	s_mov_b64 s[4:5], -1
                                        ; implicit-def: $sgpr10
	s_and_saveexec_b64 s[8:9], vcc
; %bb.2550:
	s_mov_b32 s10, 0x7f800001
	s_xor_b64 s[4:5], exec, -1
; %bb.2551:
	s_or_b64 exec, exec, s[8:9]
	s_and_b64 s[4:5], s[4:5], exec
                                        ; implicit-def: $vgpr3
	s_or_saveexec_b64 s[6:7], s[6:7]
	v_mov_b32_e32 v4, s10
	s_xor_b64 exec, exec, s[6:7]
	s_cbranch_execz .LBB46_502
.LBB46_2552:
	v_cmp_ne_u16_e32 vcc, 0, v3
	s_andn2_b64 s[4:5], s[4:5], exec
	s_and_b64 s[8:9], vcc, exec
	v_mov_b32_e32 v4, 0
	s_or_b64 s[4:5], s[4:5], s[8:9]
	s_or_b64 exec, exec, s[6:7]
	s_and_saveexec_b64 s[6:7], s[4:5]
	s_cbranch_execnz .LBB46_503
	s_branch .LBB46_504
.LBB46_2553:
	s_movk_i32 s4, 0x80
	v_cmp_eq_u16_sdwa s[12:13], v9, s4 src0_sel:BYTE_3 src1_sel:DWORD
	s_mov_b64 s[4:5], -1
                                        ; implicit-def: $sgpr10
	s_and_saveexec_b64 s[8:9], s[12:13]
; %bb.2554:
	s_mov_b32 s10, 0x7f800001
	s_xor_b64 s[4:5], exec, -1
; %bb.2555:
	s_or_b64 exec, exec, s[8:9]
	s_and_b64 s[4:5], s[4:5], exec
	s_or_saveexec_b64 s[6:7], s[6:7]
	v_mov_b32_e32 v2, s10
	s_xor_b64 exec, exec, s[6:7]
	s_cbranch_execz .LBB46_506
.LBB46_2556:
	v_mov_b32_e32 v2, 0
	v_cmp_ne_u16_sdwa s[8:9], v9, v2 src0_sel:BYTE_3 src1_sel:DWORD
	s_andn2_b64 s[4:5], s[4:5], exec
	s_and_b64 s[8:9], s[8:9], exec
	s_or_b64 s[4:5], s[4:5], s[8:9]
	s_or_b64 exec, exec, s[6:7]
	s_and_saveexec_b64 s[6:7], s[4:5]
	s_cbranch_execnz .LBB46_507
	s_branch .LBB46_508
.LBB46_2557:
	s_movk_i32 s4, 0x80
	v_cmp_eq_u16_sdwa s[12:13], v5, s4 src0_sel:BYTE_3 src1_sel:DWORD
	s_mov_b64 s[4:5], -1
                                        ; implicit-def: $sgpr10
	s_and_saveexec_b64 s[8:9], s[12:13]
; %bb.2558:
	s_mov_b32 s10, 0x7f800001
	s_xor_b64 s[4:5], exec, -1
; %bb.2559:
	s_or_b64 exec, exec, s[8:9]
	s_and_b64 s[4:5], s[4:5], exec
	s_or_saveexec_b64 s[6:7], s[6:7]
	v_mov_b32_e32 v3, s10
	s_xor_b64 exec, exec, s[6:7]
	s_cbranch_execz .LBB46_510
.LBB46_2560:
	v_mov_b32_e32 v3, 0
	v_cmp_ne_u16_sdwa s[8:9], v5, v3 src0_sel:BYTE_3 src1_sel:DWORD
	s_andn2_b64 s[4:5], s[4:5], exec
	s_and_b64 s[8:9], s[8:9], exec
	s_or_b64 s[4:5], s[4:5], s[8:9]
	s_or_b64 exec, exec, s[6:7]
	s_and_saveexec_b64 s[6:7], s[4:5]
	s_cbranch_execnz .LBB46_511
	s_branch .LBB46_512
.LBB46_2561:
	s_movk_i32 s4, 0x80
	v_cmp_eq_u16_sdwa s[12:13], v14, s4 src0_sel:BYTE_0 src1_sel:DWORD
	s_mov_b64 s[4:5], -1
                                        ; implicit-def: $sgpr10
	s_and_saveexec_b64 s[8:9], s[12:13]
; %bb.2562:
	s_mov_b32 s10, 0x7f800001
	s_xor_b64 s[4:5], exec, -1
; %bb.2563:
	s_or_b64 exec, exec, s[8:9]
	s_and_b64 s[4:5], s[4:5], exec
	s_or_saveexec_b64 s[6:7], s[6:7]
	v_mov_b32_e32 v20, s10
	s_xor_b64 exec, exec, s[6:7]
	s_cbranch_execz .LBB46_514
.LBB46_2564:
	v_mov_b32_e32 v20, 0
	v_cmp_ne_u16_sdwa s[8:9], v14, v20 src0_sel:BYTE_0 src1_sel:DWORD
	s_andn2_b64 s[4:5], s[4:5], exec
	s_and_b64 s[8:9], s[8:9], exec
	s_or_b64 s[4:5], s[4:5], s[8:9]
	s_or_b64 exec, exec, s[6:7]
	s_and_saveexec_b64 s[6:7], s[4:5]
	s_cbranch_execnz .LBB46_515
	s_branch .LBB46_516
.LBB46_2565:
	s_movk_i32 s4, 0x80
	v_cmp_eq_u16_sdwa s[12:13], v10, s4 src0_sel:BYTE_0 src1_sel:DWORD
	s_mov_b64 s[4:5], -1
                                        ; implicit-def: $sgpr10
	s_and_saveexec_b64 s[8:9], s[12:13]
; %bb.2566:
	s_mov_b32 s10, 0x7f800001
	s_xor_b64 s[4:5], exec, -1
; %bb.2567:
	s_or_b64 exec, exec, s[8:9]
	s_and_b64 s[4:5], s[4:5], exec
	s_or_saveexec_b64 s[6:7], s[6:7]
	v_mov_b32_e32 v21, s10
	s_xor_b64 exec, exec, s[6:7]
	s_cbranch_execz .LBB46_518
.LBB46_2568:
	v_mov_b32_e32 v21, 0
	v_cmp_ne_u16_sdwa s[8:9], v10, v21 src0_sel:BYTE_0 src1_sel:DWORD
	s_andn2_b64 s[4:5], s[4:5], exec
	s_and_b64 s[8:9], s[8:9], exec
	s_or_b64 s[4:5], s[4:5], s[8:9]
	s_or_b64 exec, exec, s[6:7]
	s_and_saveexec_b64 s[6:7], s[4:5]
	s_cbranch_execnz .LBB46_519
	s_branch .LBB46_520
.LBB46_2569:
	s_movk_i32 s4, 0x80
	v_cmp_eq_u16_sdwa s[12:13], v21, s4 src0_sel:BYTE_0 src1_sel:DWORD
	s_mov_b64 s[4:5], -1
                                        ; implicit-def: $sgpr10
	s_and_saveexec_b64 s[8:9], s[12:13]
; %bb.2570:
	s_mov_b32 s10, 0x7f800001
	s_xor_b64 s[4:5], exec, -1
; %bb.2571:
	s_or_b64 exec, exec, s[8:9]
	s_and_b64 s[4:5], s[4:5], exec
	s_or_saveexec_b64 s[6:7], s[6:7]
	v_mov_b32_e32 v20, s10
	s_xor_b64 exec, exec, s[6:7]
	s_cbranch_execz .LBB46_522
.LBB46_2572:
	v_mov_b32_e32 v20, 0
	v_cmp_ne_u16_sdwa s[8:9], v21, v20 src0_sel:BYTE_0 src1_sel:DWORD
	s_andn2_b64 s[4:5], s[4:5], exec
	s_and_b64 s[8:9], s[8:9], exec
	s_or_b64 s[4:5], s[4:5], s[8:9]
	s_or_b64 exec, exec, s[6:7]
	s_and_saveexec_b64 s[6:7], s[4:5]
	s_cbranch_execnz .LBB46_523
	s_branch .LBB46_524
.LBB46_2573:
	s_movk_i32 s4, 0x80
	v_cmp_eq_u16_sdwa s[12:13], v21, s4 src0_sel:BYTE_0 src1_sel:DWORD
	s_mov_b64 s[4:5], -1
                                        ; implicit-def: $sgpr10
	s_and_saveexec_b64 s[8:9], s[12:13]
; %bb.2574:
	s_mov_b32 s10, 0x7f800001
	s_xor_b64 s[4:5], exec, -1
; %bb.2575:
	s_or_b64 exec, exec, s[8:9]
	s_and_b64 s[4:5], s[4:5], exec
	s_or_saveexec_b64 s[6:7], s[6:7]
	v_mov_b32_e32 v22, s10
	s_xor_b64 exec, exec, s[6:7]
	s_cbranch_execz .LBB46_526
.LBB46_2576:
	v_mov_b32_e32 v22, 0
	v_cmp_ne_u16_sdwa s[8:9], v21, v22 src0_sel:BYTE_0 src1_sel:DWORD
	s_andn2_b64 s[4:5], s[4:5], exec
	s_and_b64 s[8:9], s[8:9], exec
	s_or_b64 s[4:5], s[4:5], s[8:9]
	s_or_b64 exec, exec, s[6:7]
	s_and_saveexec_b64 s[6:7], s[4:5]
	s_cbranch_execnz .LBB46_527
	s_branch .LBB46_528
.LBB46_2577:
	s_movk_i32 s4, 0x80
	v_cmp_eq_u16_e32 vcc, s4, v21
	s_mov_b64 s[4:5], -1
                                        ; implicit-def: $sgpr10
	s_and_saveexec_b64 s[8:9], vcc
; %bb.2578:
	s_mov_b32 s10, 0x7f800001
	s_xor_b64 s[4:5], exec, -1
; %bb.2579:
	s_or_b64 exec, exec, s[8:9]
	s_and_b64 s[4:5], s[4:5], exec
                                        ; implicit-def: $vgpr21
	s_or_saveexec_b64 s[6:7], s[6:7]
	v_mov_b32_e32 v20, s10
	s_xor_b64 exec, exec, s[6:7]
	s_cbranch_execz .LBB46_530
.LBB46_2580:
	v_cmp_ne_u16_e32 vcc, 0, v21
	s_andn2_b64 s[4:5], s[4:5], exec
	s_and_b64 s[8:9], vcc, exec
	v_mov_b32_e32 v20, 0
	s_or_b64 s[4:5], s[4:5], s[8:9]
	s_or_b64 exec, exec, s[6:7]
	s_and_saveexec_b64 s[6:7], s[4:5]
	s_cbranch_execnz .LBB46_531
	s_branch .LBB46_532
.LBB46_2581:
	s_movk_i32 s4, 0x80
	v_cmp_eq_u16_e32 vcc, s4, v21
	s_mov_b64 s[4:5], -1
                                        ; implicit-def: $sgpr10
	s_and_saveexec_b64 s[8:9], vcc
; %bb.2582:
	s_mov_b32 s10, 0x7f800001
	s_xor_b64 s[4:5], exec, -1
; %bb.2583:
	s_or_b64 exec, exec, s[8:9]
	s_and_b64 s[4:5], s[4:5], exec
                                        ; implicit-def: $vgpr21
	s_or_saveexec_b64 s[6:7], s[6:7]
	v_mov_b32_e32 v22, s10
	s_xor_b64 exec, exec, s[6:7]
	s_cbranch_execz .LBB46_534
.LBB46_2584:
	v_cmp_ne_u16_e32 vcc, 0, v21
	s_andn2_b64 s[4:5], s[4:5], exec
	s_and_b64 s[8:9], vcc, exec
	v_mov_b32_e32 v22, 0
	s_or_b64 s[4:5], s[4:5], s[8:9]
	s_or_b64 exec, exec, s[6:7]
	s_and_saveexec_b64 s[6:7], s[4:5]
	s_cbranch_execnz .LBB46_535
	s_branch .LBB46_536
.LBB46_2585:
	s_movk_i32 s4, 0x80
	v_cmp_eq_u16_sdwa s[12:13], v14, s4 src0_sel:BYTE_3 src1_sel:DWORD
	s_mov_b64 s[4:5], -1
                                        ; implicit-def: $sgpr10
	s_and_saveexec_b64 s[8:9], s[12:13]
; %bb.2586:
	s_mov_b32 s10, 0x7f800001
	s_xor_b64 s[4:5], exec, -1
; %bb.2587:
	s_or_b64 exec, exec, s[8:9]
	s_and_b64 s[4:5], s[4:5], exec
	s_or_saveexec_b64 s[6:7], s[6:7]
	v_mov_b32_e32 v20, s10
	s_xor_b64 exec, exec, s[6:7]
	s_cbranch_execz .LBB46_538
.LBB46_2588:
	v_mov_b32_e32 v20, 0
	v_cmp_ne_u16_sdwa s[8:9], v14, v20 src0_sel:BYTE_3 src1_sel:DWORD
	s_andn2_b64 s[4:5], s[4:5], exec
	s_and_b64 s[8:9], s[8:9], exec
	s_or_b64 s[4:5], s[4:5], s[8:9]
	s_or_b64 exec, exec, s[6:7]
	s_and_saveexec_b64 s[6:7], s[4:5]
	s_cbranch_execnz .LBB46_539
	s_branch .LBB46_540
.LBB46_2589:
	s_movk_i32 s4, 0x80
	v_cmp_eq_u16_sdwa s[12:13], v10, s4 src0_sel:BYTE_3 src1_sel:DWORD
	s_mov_b64 s[4:5], -1
                                        ; implicit-def: $sgpr10
	s_and_saveexec_b64 s[8:9], s[12:13]
; %bb.2590:
	s_mov_b32 s10, 0x7f800001
	s_xor_b64 s[4:5], exec, -1
; %bb.2591:
	s_or_b64 exec, exec, s[8:9]
	s_and_b64 s[4:5], s[4:5], exec
	s_or_saveexec_b64 s[6:7], s[6:7]
	v_mov_b32_e32 v14, s10
	s_xor_b64 exec, exec, s[6:7]
	s_cbranch_execz .LBB46_542
.LBB46_2592:
	v_mov_b32_e32 v14, 0
	v_cmp_ne_u16_sdwa s[8:9], v10, v14 src0_sel:BYTE_3 src1_sel:DWORD
	s_andn2_b64 s[4:5], s[4:5], exec
	s_and_b64 s[8:9], s[8:9], exec
	s_or_b64 s[4:5], s[4:5], s[8:9]
	s_or_b64 exec, exec, s[6:7]
	s_and_saveexec_b64 s[6:7], s[4:5]
	s_cbranch_execnz .LBB46_543
	s_branch .LBB46_544
.LBB46_2593:
	s_movk_i32 s4, 0x80
	v_cmp_eq_u16_sdwa s[12:13], v15, s4 src0_sel:BYTE_0 src1_sel:DWORD
	s_mov_b64 s[4:5], -1
                                        ; implicit-def: $sgpr10
	s_and_saveexec_b64 s[8:9], s[12:13]
; %bb.2594:
	s_mov_b32 s10, 0x7f800001
	s_xor_b64 s[4:5], exec, -1
; %bb.2595:
	s_or_b64 exec, exec, s[8:9]
	s_and_b64 s[4:5], s[4:5], exec
	s_or_saveexec_b64 s[6:7], s[6:7]
	v_mov_b32_e32 v10, s10
	s_xor_b64 exec, exec, s[6:7]
	s_cbranch_execz .LBB46_546
.LBB46_2596:
	v_mov_b32_e32 v10, 0
	v_cmp_ne_u16_sdwa s[8:9], v15, v10 src0_sel:BYTE_0 src1_sel:DWORD
	s_andn2_b64 s[4:5], s[4:5], exec
	s_and_b64 s[8:9], s[8:9], exec
	s_or_b64 s[4:5], s[4:5], s[8:9]
	s_or_b64 exec, exec, s[6:7]
	s_and_saveexec_b64 s[6:7], s[4:5]
	s_cbranch_execnz .LBB46_547
	s_branch .LBB46_548
.LBB46_2597:
	s_movk_i32 s4, 0x80
	v_cmp_eq_u16_sdwa s[12:13], v11, s4 src0_sel:BYTE_0 src1_sel:DWORD
	s_mov_b64 s[4:5], -1
                                        ; implicit-def: $sgpr10
	s_and_saveexec_b64 s[8:9], s[12:13]
; %bb.2598:
	s_mov_b32 s10, 0x7f800001
	s_xor_b64 s[4:5], exec, -1
; %bb.2599:
	s_or_b64 exec, exec, s[8:9]
	s_and_b64 s[4:5], s[4:5], exec
	s_or_saveexec_b64 s[6:7], s[6:7]
	v_mov_b32_e32 v14, s10
	s_xor_b64 exec, exec, s[6:7]
	s_cbranch_execz .LBB46_550
.LBB46_2600:
	v_mov_b32_e32 v14, 0
	v_cmp_ne_u16_sdwa s[8:9], v11, v14 src0_sel:BYTE_0 src1_sel:DWORD
	s_andn2_b64 s[4:5], s[4:5], exec
	s_and_b64 s[8:9], s[8:9], exec
	s_or_b64 s[4:5], s[4:5], s[8:9]
	s_or_b64 exec, exec, s[6:7]
	s_and_saveexec_b64 s[6:7], s[4:5]
	s_cbranch_execnz .LBB46_551
	s_branch .LBB46_552
.LBB46_2601:
	s_movk_i32 s4, 0x80
	v_cmp_eq_u16_sdwa s[12:13], v14, s4 src0_sel:BYTE_0 src1_sel:DWORD
	s_mov_b64 s[4:5], -1
                                        ; implicit-def: $sgpr10
	s_and_saveexec_b64 s[8:9], s[12:13]
; %bb.2602:
	s_mov_b32 s10, 0x7f800001
	s_xor_b64 s[4:5], exec, -1
; %bb.2603:
	s_or_b64 exec, exec, s[8:9]
	s_and_b64 s[4:5], s[4:5], exec
	s_or_saveexec_b64 s[6:7], s[6:7]
	v_mov_b32_e32 v10, s10
	s_xor_b64 exec, exec, s[6:7]
	s_cbranch_execz .LBB46_554
.LBB46_2604:
	v_mov_b32_e32 v10, 0
	v_cmp_ne_u16_sdwa s[8:9], v14, v10 src0_sel:BYTE_0 src1_sel:DWORD
	s_andn2_b64 s[4:5], s[4:5], exec
	s_and_b64 s[8:9], s[8:9], exec
	s_or_b64 s[4:5], s[4:5], s[8:9]
	s_or_b64 exec, exec, s[6:7]
	s_and_saveexec_b64 s[6:7], s[4:5]
	s_cbranch_execnz .LBB46_555
	s_branch .LBB46_556
.LBB46_2605:
	s_movk_i32 s4, 0x80
	v_cmp_eq_u16_sdwa s[12:13], v14, s4 src0_sel:BYTE_0 src1_sel:DWORD
	s_mov_b64 s[4:5], -1
                                        ; implicit-def: $sgpr10
	s_and_saveexec_b64 s[8:9], s[12:13]
; %bb.2606:
	s_mov_b32 s10, 0x7f800001
	s_xor_b64 s[4:5], exec, -1
; %bb.2607:
	s_or_b64 exec, exec, s[8:9]
	s_and_b64 s[4:5], s[4:5], exec
	s_or_saveexec_b64 s[6:7], s[6:7]
	v_mov_b32_e32 v20, s10
	s_xor_b64 exec, exec, s[6:7]
	s_cbranch_execz .LBB46_558
.LBB46_2608:
	v_mov_b32_e32 v20, 0
	v_cmp_ne_u16_sdwa s[8:9], v14, v20 src0_sel:BYTE_0 src1_sel:DWORD
	s_andn2_b64 s[4:5], s[4:5], exec
	s_and_b64 s[8:9], s[8:9], exec
	s_or_b64 s[4:5], s[4:5], s[8:9]
	s_or_b64 exec, exec, s[6:7]
	s_and_saveexec_b64 s[6:7], s[4:5]
	s_cbranch_execnz .LBB46_559
	s_branch .LBB46_560
.LBB46_2609:
	s_movk_i32 s4, 0x80
	v_cmp_eq_u16_e32 vcc, s4, v14
	s_mov_b64 s[4:5], -1
                                        ; implicit-def: $sgpr10
	s_and_saveexec_b64 s[8:9], vcc
; %bb.2610:
	s_mov_b32 s10, 0x7f800001
	s_xor_b64 s[4:5], exec, -1
; %bb.2611:
	s_or_b64 exec, exec, s[8:9]
	s_and_b64 s[4:5], s[4:5], exec
                                        ; implicit-def: $vgpr14
	s_or_saveexec_b64 s[6:7], s[6:7]
	v_mov_b32_e32 v10, s10
	s_xor_b64 exec, exec, s[6:7]
	s_cbranch_execz .LBB46_562
.LBB46_2612:
	v_cmp_ne_u16_e32 vcc, 0, v14
	s_andn2_b64 s[4:5], s[4:5], exec
	s_and_b64 s[8:9], vcc, exec
	v_mov_b32_e32 v10, 0
	s_or_b64 s[4:5], s[4:5], s[8:9]
	s_or_b64 exec, exec, s[6:7]
	s_and_saveexec_b64 s[6:7], s[4:5]
	s_cbranch_execnz .LBB46_563
	s_branch .LBB46_564
.LBB46_2613:
	s_movk_i32 s4, 0x80
	v_cmp_eq_u16_e32 vcc, s4, v14
	s_mov_b64 s[4:5], -1
                                        ; implicit-def: $sgpr10
	s_and_saveexec_b64 s[8:9], vcc
; %bb.2614:
	s_mov_b32 s10, 0x7f800001
	s_xor_b64 s[4:5], exec, -1
; %bb.2615:
	s_or_b64 exec, exec, s[8:9]
	s_and_b64 s[4:5], s[4:5], exec
                                        ; implicit-def: $vgpr14
	s_or_saveexec_b64 s[6:7], s[6:7]
	v_mov_b32_e32 v20, s10
	s_xor_b64 exec, exec, s[6:7]
	s_cbranch_execz .LBB46_566
.LBB46_2616:
	v_cmp_ne_u16_e32 vcc, 0, v14
	s_andn2_b64 s[4:5], s[4:5], exec
	s_and_b64 s[8:9], vcc, exec
	v_mov_b32_e32 v20, 0
	s_or_b64 s[4:5], s[4:5], s[8:9]
	s_or_b64 exec, exec, s[6:7]
	s_and_saveexec_b64 s[6:7], s[4:5]
	s_cbranch_execnz .LBB46_567
	s_branch .LBB46_568
.LBB46_2617:
	s_movk_i32 s4, 0x80
	v_cmp_eq_u16_sdwa s[12:13], v15, s4 src0_sel:BYTE_3 src1_sel:DWORD
	s_mov_b64 s[4:5], -1
                                        ; implicit-def: $sgpr10
	s_and_saveexec_b64 s[8:9], s[12:13]
; %bb.2618:
	s_mov_b32 s10, 0x7f800001
	s_xor_b64 s[4:5], exec, -1
; %bb.2619:
	s_or_b64 exec, exec, s[8:9]
	s_and_b64 s[4:5], s[4:5], exec
	s_or_saveexec_b64 s[6:7], s[6:7]
	v_mov_b32_e32 v10, s10
	s_xor_b64 exec, exec, s[6:7]
	s_cbranch_execz .LBB46_570
.LBB46_2620:
	v_mov_b32_e32 v10, 0
	v_cmp_ne_u16_sdwa s[8:9], v15, v10 src0_sel:BYTE_3 src1_sel:DWORD
	s_andn2_b64 s[4:5], s[4:5], exec
	s_and_b64 s[8:9], s[8:9], exec
	s_or_b64 s[4:5], s[4:5], s[8:9]
	s_or_b64 exec, exec, s[6:7]
	s_and_saveexec_b64 s[6:7], s[4:5]
	s_cbranch_execnz .LBB46_571
	s_branch .LBB46_572
.LBB46_2621:
	s_movk_i32 s4, 0x80
	v_cmp_eq_u16_sdwa s[12:13], v11, s4 src0_sel:BYTE_3 src1_sel:DWORD
	s_mov_b64 s[4:5], -1
                                        ; implicit-def: $sgpr10
	s_and_saveexec_b64 s[8:9], s[12:13]
; %bb.2622:
	s_mov_b32 s10, 0x7f800001
	s_xor_b64 s[4:5], exec, -1
; %bb.2623:
	s_or_b64 exec, exec, s[8:9]
	s_and_b64 s[4:5], s[4:5], exec
	s_or_saveexec_b64 s[6:7], s[6:7]
	v_mov_b32_e32 v14, s10
	s_xor_b64 exec, exec, s[6:7]
	s_cbranch_execz .LBB46_574
.LBB46_2624:
	v_mov_b32_e32 v14, 0
	v_cmp_ne_u16_sdwa s[8:9], v11, v14 src0_sel:BYTE_3 src1_sel:DWORD
	s_andn2_b64 s[4:5], s[4:5], exec
	s_and_b64 s[8:9], s[8:9], exec
	s_or_b64 s[4:5], s[4:5], s[8:9]
	s_or_b64 exec, exec, s[6:7]
	s_and_saveexec_b64 s[6:7], s[4:5]
	s_cbranch_execnz .LBB46_575
	s_branch .LBB46_576
.LBB46_2625:
	s_movk_i32 s4, 0x80
	v_cmp_eq_u16_sdwa s[12:13], v16, s4 src0_sel:BYTE_0 src1_sel:DWORD
	s_mov_b64 s[4:5], -1
                                        ; implicit-def: $sgpr10
	s_and_saveexec_b64 s[8:9], s[12:13]
; %bb.2626:
	s_mov_b32 s10, 0x7f800001
	s_xor_b64 s[4:5], exec, -1
; %bb.2627:
	s_or_b64 exec, exec, s[8:9]
	s_and_b64 s[4:5], s[4:5], exec
	s_or_saveexec_b64 s[6:7], s[6:7]
	v_mov_b32_e32 v10, s10
	s_xor_b64 exec, exec, s[6:7]
	s_cbranch_execz .LBB46_578
.LBB46_2628:
	v_mov_b32_e32 v10, 0
	v_cmp_ne_u16_sdwa s[8:9], v16, v10 src0_sel:BYTE_0 src1_sel:DWORD
	s_andn2_b64 s[4:5], s[4:5], exec
	s_and_b64 s[8:9], s[8:9], exec
	s_or_b64 s[4:5], s[4:5], s[8:9]
	s_or_b64 exec, exec, s[6:7]
	s_and_saveexec_b64 s[6:7], s[4:5]
	s_cbranch_execnz .LBB46_579
	s_branch .LBB46_580
.LBB46_2629:
	s_movk_i32 s4, 0x80
	v_cmp_eq_u16_sdwa s[12:13], v12, s4 src0_sel:BYTE_0 src1_sel:DWORD
	s_mov_b64 s[4:5], -1
                                        ; implicit-def: $sgpr10
	s_and_saveexec_b64 s[8:9], s[12:13]
; %bb.2630:
	s_mov_b32 s10, 0x7f800001
	s_xor_b64 s[4:5], exec, -1
; %bb.2631:
	s_or_b64 exec, exec, s[8:9]
	s_and_b64 s[4:5], s[4:5], exec
	s_or_saveexec_b64 s[6:7], s[6:7]
	v_mov_b32_e32 v11, s10
	s_xor_b64 exec, exec, s[6:7]
	s_cbranch_execz .LBB46_582
.LBB46_2632:
	v_mov_b32_e32 v11, 0
	v_cmp_ne_u16_sdwa s[8:9], v12, v11 src0_sel:BYTE_0 src1_sel:DWORD
	s_andn2_b64 s[4:5], s[4:5], exec
	s_and_b64 s[8:9], s[8:9], exec
	s_or_b64 s[4:5], s[4:5], s[8:9]
	s_or_b64 exec, exec, s[6:7]
	s_and_saveexec_b64 s[6:7], s[4:5]
	s_cbranch_execnz .LBB46_583
	s_branch .LBB46_584
.LBB46_2633:
	s_movk_i32 s4, 0x80
	v_cmp_eq_u16_sdwa s[12:13], v11, s4 src0_sel:BYTE_0 src1_sel:DWORD
	s_mov_b64 s[4:5], -1
                                        ; implicit-def: $sgpr10
	s_and_saveexec_b64 s[8:9], s[12:13]
; %bb.2634:
	s_mov_b32 s10, 0x7f800001
	s_xor_b64 s[4:5], exec, -1
; %bb.2635:
	s_or_b64 exec, exec, s[8:9]
	s_and_b64 s[4:5], s[4:5], exec
	s_or_saveexec_b64 s[6:7], s[6:7]
	v_mov_b32_e32 v10, s10
	s_xor_b64 exec, exec, s[6:7]
	s_cbranch_execz .LBB46_586
.LBB46_2636:
	v_mov_b32_e32 v10, 0
	v_cmp_ne_u16_sdwa s[8:9], v11, v10 src0_sel:BYTE_0 src1_sel:DWORD
	s_andn2_b64 s[4:5], s[4:5], exec
	s_and_b64 s[8:9], s[8:9], exec
	s_or_b64 s[4:5], s[4:5], s[8:9]
	s_or_b64 exec, exec, s[6:7]
	s_and_saveexec_b64 s[6:7], s[4:5]
	s_cbranch_execnz .LBB46_587
	s_branch .LBB46_588
.LBB46_2637:
	s_movk_i32 s4, 0x80
	v_cmp_eq_u16_sdwa s[12:13], v11, s4 src0_sel:BYTE_0 src1_sel:DWORD
	s_mov_b64 s[4:5], -1
                                        ; implicit-def: $sgpr10
	s_and_saveexec_b64 s[8:9], s[12:13]
; %bb.2638:
	s_mov_b32 s10, 0x7f800001
	s_xor_b64 s[4:5], exec, -1
; %bb.2639:
	s_or_b64 exec, exec, s[8:9]
	s_and_b64 s[4:5], s[4:5], exec
	s_or_saveexec_b64 s[6:7], s[6:7]
	v_mov_b32_e32 v14, s10
	s_xor_b64 exec, exec, s[6:7]
	s_cbranch_execz .LBB46_590
.LBB46_2640:
	v_mov_b32_e32 v14, 0
	v_cmp_ne_u16_sdwa s[8:9], v11, v14 src0_sel:BYTE_0 src1_sel:DWORD
	s_andn2_b64 s[4:5], s[4:5], exec
	s_and_b64 s[8:9], s[8:9], exec
	s_or_b64 s[4:5], s[4:5], s[8:9]
	s_or_b64 exec, exec, s[6:7]
	s_and_saveexec_b64 s[6:7], s[4:5]
	s_cbranch_execnz .LBB46_591
	s_branch .LBB46_592
.LBB46_2641:
	s_movk_i32 s4, 0x80
	v_cmp_eq_u16_e32 vcc, s4, v11
	s_mov_b64 s[4:5], -1
                                        ; implicit-def: $sgpr10
	s_and_saveexec_b64 s[8:9], vcc
; %bb.2642:
	s_mov_b32 s10, 0x7f800001
	s_xor_b64 s[4:5], exec, -1
; %bb.2643:
	s_or_b64 exec, exec, s[8:9]
	s_and_b64 s[4:5], s[4:5], exec
                                        ; implicit-def: $vgpr11
	s_or_saveexec_b64 s[6:7], s[6:7]
	v_mov_b32_e32 v10, s10
	s_xor_b64 exec, exec, s[6:7]
	s_cbranch_execz .LBB46_594
.LBB46_2644:
	v_cmp_ne_u16_e32 vcc, 0, v11
	s_andn2_b64 s[4:5], s[4:5], exec
	s_and_b64 s[8:9], vcc, exec
	v_mov_b32_e32 v10, 0
	s_or_b64 s[4:5], s[4:5], s[8:9]
	s_or_b64 exec, exec, s[6:7]
	s_and_saveexec_b64 s[6:7], s[4:5]
	s_cbranch_execnz .LBB46_595
	s_branch .LBB46_596
.LBB46_2645:
	s_movk_i32 s4, 0x80
	v_cmp_eq_u16_e32 vcc, s4, v11
	s_mov_b64 s[4:5], -1
                                        ; implicit-def: $sgpr10
	s_and_saveexec_b64 s[8:9], vcc
; %bb.2646:
	s_mov_b32 s10, 0x7f800001
	s_xor_b64 s[4:5], exec, -1
; %bb.2647:
	s_or_b64 exec, exec, s[8:9]
	s_and_b64 s[4:5], s[4:5], exec
                                        ; implicit-def: $vgpr11
	s_or_saveexec_b64 s[6:7], s[6:7]
	v_mov_b32_e32 v14, s10
	s_xor_b64 exec, exec, s[6:7]
	s_cbranch_execz .LBB46_598
.LBB46_2648:
	v_cmp_ne_u16_e32 vcc, 0, v11
	s_andn2_b64 s[4:5], s[4:5], exec
	s_and_b64 s[8:9], vcc, exec
	v_mov_b32_e32 v14, 0
	s_or_b64 s[4:5], s[4:5], s[8:9]
	s_or_b64 exec, exec, s[6:7]
	s_and_saveexec_b64 s[6:7], s[4:5]
	s_cbranch_execnz .LBB46_599
	s_branch .LBB46_600
.LBB46_2649:
	s_movk_i32 s4, 0x80
	v_cmp_eq_u16_sdwa s[12:13], v16, s4 src0_sel:BYTE_3 src1_sel:DWORD
	s_mov_b64 s[4:5], -1
                                        ; implicit-def: $sgpr10
	s_and_saveexec_b64 s[8:9], s[12:13]
; %bb.2650:
	s_mov_b32 s10, 0x7f800001
	s_xor_b64 s[4:5], exec, -1
; %bb.2651:
	s_or_b64 exec, exec, s[8:9]
	s_and_b64 s[4:5], s[4:5], exec
	s_or_saveexec_b64 s[6:7], s[6:7]
	v_mov_b32_e32 v10, s10
	s_xor_b64 exec, exec, s[6:7]
	s_cbranch_execz .LBB46_602
.LBB46_2652:
	v_mov_b32_e32 v10, 0
	v_cmp_ne_u16_sdwa s[8:9], v16, v10 src0_sel:BYTE_3 src1_sel:DWORD
	s_andn2_b64 s[4:5], s[4:5], exec
	s_and_b64 s[8:9], s[8:9], exec
	s_or_b64 s[4:5], s[4:5], s[8:9]
	s_or_b64 exec, exec, s[6:7]
	s_and_saveexec_b64 s[6:7], s[4:5]
	s_cbranch_execnz .LBB46_603
	s_branch .LBB46_604
.LBB46_2653:
	s_movk_i32 s4, 0x80
	v_cmp_eq_u16_sdwa s[12:13], v12, s4 src0_sel:BYTE_3 src1_sel:DWORD
	s_mov_b64 s[4:5], -1
                                        ; implicit-def: $sgpr10
	s_and_saveexec_b64 s[8:9], s[12:13]
; %bb.2654:
	s_mov_b32 s10, 0x7f800001
	s_xor_b64 s[4:5], exec, -1
; %bb.2655:
	s_or_b64 exec, exec, s[8:9]
	s_and_b64 s[4:5], s[4:5], exec
	s_or_saveexec_b64 s[6:7], s[6:7]
	v_mov_b32_e32 v11, s10
	s_xor_b64 exec, exec, s[6:7]
	s_cbranch_execz .LBB46_606
.LBB46_2656:
	v_mov_b32_e32 v11, 0
	v_cmp_ne_u16_sdwa s[8:9], v12, v11 src0_sel:BYTE_3 src1_sel:DWORD
	s_andn2_b64 s[4:5], s[4:5], exec
	s_and_b64 s[8:9], s[8:9], exec
	s_or_b64 s[4:5], s[4:5], s[8:9]
	s_or_b64 exec, exec, s[6:7]
	s_and_saveexec_b64 s[6:7], s[4:5]
	s_cbranch_execnz .LBB46_607
	s_branch .LBB46_608
.LBB46_2657:
	s_movk_i32 s4, 0x80
	v_cmp_eq_u16_sdwa s[12:13], v17, s4 src0_sel:BYTE_0 src1_sel:DWORD
	s_mov_b64 s[4:5], -1
                                        ; implicit-def: $sgpr10
	s_and_saveexec_b64 s[8:9], s[12:13]
; %bb.2658:
	s_mov_b32 s10, 0x7f800001
	s_xor_b64 s[4:5], exec, -1
; %bb.2659:
	s_or_b64 exec, exec, s[8:9]
	s_and_b64 s[4:5], s[4:5], exec
	s_or_saveexec_b64 s[6:7], s[6:7]
	v_mov_b32_e32 v10, s10
	s_xor_b64 exec, exec, s[6:7]
	s_cbranch_execz .LBB46_610
.LBB46_2660:
	v_mov_b32_e32 v10, 0
	v_cmp_ne_u16_sdwa s[8:9], v17, v10 src0_sel:BYTE_0 src1_sel:DWORD
	s_andn2_b64 s[4:5], s[4:5], exec
	s_and_b64 s[8:9], s[8:9], exec
	s_or_b64 s[4:5], s[4:5], s[8:9]
	s_or_b64 exec, exec, s[6:7]
	s_and_saveexec_b64 s[6:7], s[4:5]
	s_cbranch_execnz .LBB46_611
	s_branch .LBB46_612
.LBB46_2661:
	s_movk_i32 s4, 0x80
	v_cmp_eq_u16_sdwa s[12:13], v13, s4 src0_sel:BYTE_0 src1_sel:DWORD
	s_mov_b64 s[4:5], -1
                                        ; implicit-def: $sgpr10
	s_and_saveexec_b64 s[8:9], s[12:13]
; %bb.2662:
	s_mov_b32 s10, 0x7f800001
	s_xor_b64 s[4:5], exec, -1
; %bb.2663:
	s_or_b64 exec, exec, s[8:9]
	s_and_b64 s[4:5], s[4:5], exec
	s_or_saveexec_b64 s[6:7], s[6:7]
	v_mov_b32_e32 v11, s10
	s_xor_b64 exec, exec, s[6:7]
	s_cbranch_execz .LBB46_614
.LBB46_2664:
	v_mov_b32_e32 v11, 0
	v_cmp_ne_u16_sdwa s[8:9], v13, v11 src0_sel:BYTE_0 src1_sel:DWORD
	s_andn2_b64 s[4:5], s[4:5], exec
	s_and_b64 s[8:9], s[8:9], exec
	s_or_b64 s[4:5], s[4:5], s[8:9]
	s_or_b64 exec, exec, s[6:7]
	s_and_saveexec_b64 s[6:7], s[4:5]
	s_cbranch_execnz .LBB46_615
	s_branch .LBB46_616
.LBB46_2665:
	s_movk_i32 s4, 0x80
	v_cmp_eq_u16_sdwa s[12:13], v11, s4 src0_sel:BYTE_0 src1_sel:DWORD
	s_mov_b64 s[4:5], -1
                                        ; implicit-def: $sgpr10
	s_and_saveexec_b64 s[8:9], s[12:13]
; %bb.2666:
	s_mov_b32 s10, 0x7f800001
	s_xor_b64 s[4:5], exec, -1
; %bb.2667:
	s_or_b64 exec, exec, s[8:9]
	s_and_b64 s[4:5], s[4:5], exec
	s_or_saveexec_b64 s[6:7], s[6:7]
	v_mov_b32_e32 v10, s10
	s_xor_b64 exec, exec, s[6:7]
	s_cbranch_execz .LBB46_618
.LBB46_2668:
	v_mov_b32_e32 v10, 0
	v_cmp_ne_u16_sdwa s[8:9], v11, v10 src0_sel:BYTE_0 src1_sel:DWORD
	s_andn2_b64 s[4:5], s[4:5], exec
	s_and_b64 s[8:9], s[8:9], exec
	s_or_b64 s[4:5], s[4:5], s[8:9]
	s_or_b64 exec, exec, s[6:7]
	s_and_saveexec_b64 s[6:7], s[4:5]
	s_cbranch_execnz .LBB46_619
	s_branch .LBB46_620
.LBB46_2669:
	s_movk_i32 s4, 0x80
	v_cmp_eq_u16_sdwa s[12:13], v11, s4 src0_sel:BYTE_0 src1_sel:DWORD
	s_mov_b64 s[4:5], -1
                                        ; implicit-def: $sgpr10
	s_and_saveexec_b64 s[8:9], s[12:13]
; %bb.2670:
	s_mov_b32 s10, 0x7f800001
	s_xor_b64 s[4:5], exec, -1
; %bb.2671:
	s_or_b64 exec, exec, s[8:9]
	s_and_b64 s[4:5], s[4:5], exec
	s_or_saveexec_b64 s[6:7], s[6:7]
	v_mov_b32_e32 v12, s10
	s_xor_b64 exec, exec, s[6:7]
	s_cbranch_execz .LBB46_622
.LBB46_2672:
	v_mov_b32_e32 v12, 0
	v_cmp_ne_u16_sdwa s[8:9], v11, v12 src0_sel:BYTE_0 src1_sel:DWORD
	s_andn2_b64 s[4:5], s[4:5], exec
	s_and_b64 s[8:9], s[8:9], exec
	s_or_b64 s[4:5], s[4:5], s[8:9]
	s_or_b64 exec, exec, s[6:7]
	s_and_saveexec_b64 s[6:7], s[4:5]
	s_cbranch_execnz .LBB46_623
	s_branch .LBB46_624
.LBB46_2673:
	s_movk_i32 s4, 0x80
	v_cmp_eq_u16_e32 vcc, s4, v11
	s_mov_b64 s[4:5], -1
                                        ; implicit-def: $sgpr10
	s_and_saveexec_b64 s[8:9], vcc
; %bb.2674:
	s_mov_b32 s10, 0x7f800001
	s_xor_b64 s[4:5], exec, -1
; %bb.2675:
	s_or_b64 exec, exec, s[8:9]
	s_and_b64 s[4:5], s[4:5], exec
                                        ; implicit-def: $vgpr11
	s_or_saveexec_b64 s[6:7], s[6:7]
	v_mov_b32_e32 v10, s10
	s_xor_b64 exec, exec, s[6:7]
	s_cbranch_execz .LBB46_626
.LBB46_2676:
	v_cmp_ne_u16_e32 vcc, 0, v11
	s_andn2_b64 s[4:5], s[4:5], exec
	s_and_b64 s[8:9], vcc, exec
	v_mov_b32_e32 v10, 0
	s_or_b64 s[4:5], s[4:5], s[8:9]
	s_or_b64 exec, exec, s[6:7]
	s_and_saveexec_b64 s[6:7], s[4:5]
	s_cbranch_execnz .LBB46_627
	s_branch .LBB46_628
.LBB46_2677:
	s_movk_i32 s4, 0x80
	v_cmp_eq_u16_e32 vcc, s4, v11
	s_mov_b64 s[4:5], -1
                                        ; implicit-def: $sgpr10
	s_and_saveexec_b64 s[8:9], vcc
; %bb.2678:
	s_mov_b32 s10, 0x7f800001
	s_xor_b64 s[4:5], exec, -1
; %bb.2679:
	s_or_b64 exec, exec, s[8:9]
	s_and_b64 s[4:5], s[4:5], exec
                                        ; implicit-def: $vgpr11
	s_or_saveexec_b64 s[6:7], s[6:7]
	v_mov_b32_e32 v12, s10
	s_xor_b64 exec, exec, s[6:7]
	s_cbranch_execz .LBB46_630
.LBB46_2680:
	v_cmp_ne_u16_e32 vcc, 0, v11
	s_andn2_b64 s[4:5], s[4:5], exec
	s_and_b64 s[8:9], vcc, exec
	v_mov_b32_e32 v12, 0
	s_or_b64 s[4:5], s[4:5], s[8:9]
	s_or_b64 exec, exec, s[6:7]
	s_and_saveexec_b64 s[6:7], s[4:5]
	s_cbranch_execnz .LBB46_631
	s_branch .LBB46_632
.LBB46_2681:
	s_movk_i32 s4, 0x80
	v_cmp_eq_u16_sdwa s[12:13], v17, s4 src0_sel:BYTE_3 src1_sel:DWORD
	s_mov_b64 s[4:5], -1
                                        ; implicit-def: $sgpr10
	s_and_saveexec_b64 s[8:9], s[12:13]
; %bb.2682:
	s_mov_b32 s10, 0x7f800001
	s_xor_b64 s[4:5], exec, -1
; %bb.2683:
	s_or_b64 exec, exec, s[8:9]
	s_and_b64 s[4:5], s[4:5], exec
	s_or_saveexec_b64 s[6:7], s[6:7]
	v_mov_b32_e32 v10, s10
	s_xor_b64 exec, exec, s[6:7]
	s_cbranch_execz .LBB46_634
.LBB46_2684:
	v_mov_b32_e32 v10, 0
	v_cmp_ne_u16_sdwa s[8:9], v17, v10 src0_sel:BYTE_3 src1_sel:DWORD
	s_andn2_b64 s[4:5], s[4:5], exec
	s_and_b64 s[8:9], s[8:9], exec
	s_or_b64 s[4:5], s[4:5], s[8:9]
	s_or_b64 exec, exec, s[6:7]
	s_and_saveexec_b64 s[6:7], s[4:5]
	s_cbranch_execnz .LBB46_635
	s_branch .LBB46_636
.LBB46_2685:
	s_movk_i32 s4, 0x80
	v_cmp_eq_u16_sdwa s[12:13], v13, s4 src0_sel:BYTE_3 src1_sel:DWORD
	s_mov_b64 s[4:5], -1
                                        ; implicit-def: $sgpr10
	s_and_saveexec_b64 s[8:9], s[12:13]
; %bb.2686:
	s_mov_b32 s10, 0x7f800001
	s_xor_b64 s[4:5], exec, -1
; %bb.2687:
	s_or_b64 exec, exec, s[8:9]
	s_and_b64 s[4:5], s[4:5], exec
	s_or_saveexec_b64 s[6:7], s[6:7]
	v_mov_b32_e32 v11, s10
	s_xor_b64 exec, exec, s[6:7]
	s_cbranch_execz .LBB46_638
.LBB46_2688:
	v_mov_b32_e32 v11, 0
	v_cmp_ne_u16_sdwa s[8:9], v13, v11 src0_sel:BYTE_3 src1_sel:DWORD
	s_andn2_b64 s[4:5], s[4:5], exec
	s_and_b64 s[8:9], s[8:9], exec
	s_or_b64 s[4:5], s[4:5], s[8:9]
	s_or_b64 exec, exec, s[6:7]
	s_and_saveexec_b64 s[6:7], s[4:5]
	s_cbranch_execnz .LBB46_639
	s_branch .LBB46_640
.LBB46_2689:
	s_movk_i32 s4, 0x80
	v_cmp_eq_u16_sdwa s[12:13], v6, s4 src0_sel:BYTE_0 src1_sel:DWORD
	s_mov_b64 s[4:5], -1
                                        ; implicit-def: $sgpr10
	s_and_saveexec_b64 s[8:9], s[12:13]
; %bb.2690:
	s_mov_b32 s10, 0x7f800001
	s_xor_b64 s[4:5], exec, -1
; %bb.2691:
	s_or_b64 exec, exec, s[8:9]
	s_and_b64 s[4:5], s[4:5], exec
	s_or_saveexec_b64 s[6:7], s[6:7]
	v_mov_b32_e32 v10, s10
	s_xor_b64 exec, exec, s[6:7]
	s_cbranch_execz .LBB46_642
.LBB46_2692:
	v_mov_b32_e32 v10, 0
	v_cmp_ne_u16_sdwa s[8:9], v6, v10 src0_sel:BYTE_0 src1_sel:DWORD
	s_andn2_b64 s[4:5], s[4:5], exec
	s_and_b64 s[8:9], s[8:9], exec
	s_or_b64 s[4:5], s[4:5], s[8:9]
	s_or_b64 exec, exec, s[6:7]
	s_and_saveexec_b64 s[6:7], s[4:5]
	s_cbranch_execnz .LBB46_643
	s_branch .LBB46_644
.LBB46_2693:
	s_movk_i32 s4, 0x80
	v_cmp_eq_u16_sdwa s[12:13], v2, s4 src0_sel:BYTE_0 src1_sel:DWORD
	s_mov_b64 s[4:5], -1
                                        ; implicit-def: $sgpr10
	s_and_saveexec_b64 s[8:9], s[12:13]
; %bb.2694:
	s_mov_b32 s10, 0x7f800001
	s_xor_b64 s[4:5], exec, -1
; %bb.2695:
	s_or_b64 exec, exec, s[8:9]
	s_and_b64 s[4:5], s[4:5], exec
	s_or_saveexec_b64 s[6:7], s[6:7]
	v_mov_b32_e32 v11, s10
	s_xor_b64 exec, exec, s[6:7]
	s_cbranch_execz .LBB46_646
.LBB46_2696:
	v_mov_b32_e32 v11, 0
	v_cmp_ne_u16_sdwa s[8:9], v2, v11 src0_sel:BYTE_0 src1_sel:DWORD
	s_andn2_b64 s[4:5], s[4:5], exec
	s_and_b64 s[8:9], s[8:9], exec
	s_or_b64 s[4:5], s[4:5], s[8:9]
	s_or_b64 exec, exec, s[6:7]
	s_and_saveexec_b64 s[6:7], s[4:5]
	s_cbranch_execnz .LBB46_647
	s_branch .LBB46_648
.LBB46_2697:
	s_movk_i32 s4, 0x80
	v_cmp_eq_u16_sdwa s[12:13], v11, s4 src0_sel:BYTE_0 src1_sel:DWORD
	s_mov_b64 s[4:5], -1
                                        ; implicit-def: $sgpr10
	s_and_saveexec_b64 s[8:9], s[12:13]
; %bb.2698:
	s_mov_b32 s10, 0x7f800001
	s_xor_b64 s[4:5], exec, -1
; %bb.2699:
	s_or_b64 exec, exec, s[8:9]
	s_and_b64 s[4:5], s[4:5], exec
	s_or_saveexec_b64 s[6:7], s[6:7]
	v_mov_b32_e32 v10, s10
	s_xor_b64 exec, exec, s[6:7]
	s_cbranch_execz .LBB46_650
.LBB46_2700:
	v_mov_b32_e32 v10, 0
	v_cmp_ne_u16_sdwa s[8:9], v11, v10 src0_sel:BYTE_0 src1_sel:DWORD
	s_andn2_b64 s[4:5], s[4:5], exec
	s_and_b64 s[8:9], s[8:9], exec
	s_or_b64 s[4:5], s[4:5], s[8:9]
	s_or_b64 exec, exec, s[6:7]
	s_and_saveexec_b64 s[6:7], s[4:5]
	s_cbranch_execnz .LBB46_651
	s_branch .LBB46_652
.LBB46_2701:
	s_movk_i32 s4, 0x80
	v_cmp_eq_u16_sdwa s[12:13], v11, s4 src0_sel:BYTE_0 src1_sel:DWORD
	s_mov_b64 s[4:5], -1
                                        ; implicit-def: $sgpr10
	s_and_saveexec_b64 s[8:9], s[12:13]
; %bb.2702:
	s_mov_b32 s10, 0x7f800001
	s_xor_b64 s[4:5], exec, -1
; %bb.2703:
	s_or_b64 exec, exec, s[8:9]
	s_and_b64 s[4:5], s[4:5], exec
	s_or_saveexec_b64 s[6:7], s[6:7]
	v_mov_b32_e32 v12, s10
	s_xor_b64 exec, exec, s[6:7]
	s_cbranch_execz .LBB46_654
.LBB46_2704:
	v_mov_b32_e32 v12, 0
	v_cmp_ne_u16_sdwa s[8:9], v11, v12 src0_sel:BYTE_0 src1_sel:DWORD
	s_andn2_b64 s[4:5], s[4:5], exec
	s_and_b64 s[8:9], s[8:9], exec
	s_or_b64 s[4:5], s[4:5], s[8:9]
	s_or_b64 exec, exec, s[6:7]
	s_and_saveexec_b64 s[6:7], s[4:5]
	s_cbranch_execnz .LBB46_655
	s_branch .LBB46_656
.LBB46_2705:
	s_movk_i32 s4, 0x80
	v_cmp_eq_u16_e32 vcc, s4, v11
	s_mov_b64 s[4:5], -1
                                        ; implicit-def: $sgpr10
	s_and_saveexec_b64 s[8:9], vcc
; %bb.2706:
	s_mov_b32 s10, 0x7f800001
	s_xor_b64 s[4:5], exec, -1
; %bb.2707:
	s_or_b64 exec, exec, s[8:9]
	s_and_b64 s[4:5], s[4:5], exec
                                        ; implicit-def: $vgpr11
	s_or_saveexec_b64 s[6:7], s[6:7]
	v_mov_b32_e32 v10, s10
	s_xor_b64 exec, exec, s[6:7]
	s_cbranch_execz .LBB46_658
.LBB46_2708:
	v_cmp_ne_u16_e32 vcc, 0, v11
	s_andn2_b64 s[4:5], s[4:5], exec
	s_and_b64 s[8:9], vcc, exec
	v_mov_b32_e32 v10, 0
	s_or_b64 s[4:5], s[4:5], s[8:9]
	s_or_b64 exec, exec, s[6:7]
	s_and_saveexec_b64 s[6:7], s[4:5]
	s_cbranch_execnz .LBB46_659
	s_branch .LBB46_660
.LBB46_2709:
	s_movk_i32 s4, 0x80
	v_cmp_eq_u16_e32 vcc, s4, v11
	s_mov_b64 s[4:5], -1
                                        ; implicit-def: $sgpr10
	s_and_saveexec_b64 s[8:9], vcc
; %bb.2710:
	s_mov_b32 s10, 0x7f800001
	s_xor_b64 s[4:5], exec, -1
; %bb.2711:
	s_or_b64 exec, exec, s[8:9]
	s_and_b64 s[4:5], s[4:5], exec
                                        ; implicit-def: $vgpr11
	s_or_saveexec_b64 s[6:7], s[6:7]
	v_mov_b32_e32 v12, s10
	s_xor_b64 exec, exec, s[6:7]
	s_cbranch_execz .LBB46_662
.LBB46_2712:
	v_cmp_ne_u16_e32 vcc, 0, v11
	s_andn2_b64 s[4:5], s[4:5], exec
	s_and_b64 s[8:9], vcc, exec
	v_mov_b32_e32 v12, 0
	s_or_b64 s[4:5], s[4:5], s[8:9]
	s_or_b64 exec, exec, s[6:7]
	s_and_saveexec_b64 s[6:7], s[4:5]
	s_cbranch_execnz .LBB46_663
	s_branch .LBB46_664
.LBB46_2713:
	s_movk_i32 s4, 0x80
	v_cmp_eq_u16_sdwa s[12:13], v6, s4 src0_sel:BYTE_3 src1_sel:DWORD
	s_mov_b64 s[4:5], -1
                                        ; implicit-def: $sgpr10
	s_and_saveexec_b64 s[8:9], s[12:13]
; %bb.2714:
	s_mov_b32 s10, 0x7f800001
	s_xor_b64 s[4:5], exec, -1
; %bb.2715:
	s_or_b64 exec, exec, s[8:9]
	s_and_b64 s[4:5], s[4:5], exec
	s_or_saveexec_b64 s[6:7], s[6:7]
	v_mov_b32_e32 v10, s10
	s_xor_b64 exec, exec, s[6:7]
	s_cbranch_execz .LBB46_666
.LBB46_2716:
	v_mov_b32_e32 v10, 0
	v_cmp_ne_u16_sdwa s[8:9], v6, v10 src0_sel:BYTE_3 src1_sel:DWORD
	s_andn2_b64 s[4:5], s[4:5], exec
	s_and_b64 s[8:9], s[8:9], exec
	s_or_b64 s[4:5], s[4:5], s[8:9]
	s_or_b64 exec, exec, s[6:7]
	s_and_saveexec_b64 s[6:7], s[4:5]
	s_cbranch_execnz .LBB46_667
	s_branch .LBB46_668
.LBB46_2717:
	s_movk_i32 s4, 0x80
	v_cmp_eq_u16_sdwa s[12:13], v2, s4 src0_sel:BYTE_3 src1_sel:DWORD
	s_mov_b64 s[4:5], -1
                                        ; implicit-def: $sgpr10
	s_and_saveexec_b64 s[8:9], s[12:13]
; %bb.2718:
	s_mov_b32 s10, 0x7f800001
	s_xor_b64 s[4:5], exec, -1
; %bb.2719:
	s_or_b64 exec, exec, s[8:9]
	s_and_b64 s[4:5], s[4:5], exec
	s_or_saveexec_b64 s[6:7], s[6:7]
	v_mov_b32_e32 v6, s10
	s_xor_b64 exec, exec, s[6:7]
	s_cbranch_execz .LBB46_670
.LBB46_2720:
	v_mov_b32_e32 v6, 0
	v_cmp_ne_u16_sdwa s[8:9], v2, v6 src0_sel:BYTE_3 src1_sel:DWORD
	s_andn2_b64 s[4:5], s[4:5], exec
	s_and_b64 s[8:9], s[8:9], exec
	s_or_b64 s[4:5], s[4:5], s[8:9]
	s_or_b64 exec, exec, s[6:7]
	s_and_saveexec_b64 s[6:7], s[4:5]
	s_cbranch_execnz .LBB46_671
	s_branch .LBB46_672
.LBB46_2721:
	s_movk_i32 s4, 0x80
	v_cmp_eq_u16_sdwa s[12:13], v7, s4 src0_sel:BYTE_0 src1_sel:DWORD
	s_mov_b64 s[4:5], -1
                                        ; implicit-def: $sgpr10
	s_and_saveexec_b64 s[8:9], s[12:13]
; %bb.2722:
	s_mov_b32 s10, 0x7f800001
	s_xor_b64 s[4:5], exec, -1
; %bb.2723:
	s_or_b64 exec, exec, s[8:9]
	s_and_b64 s[4:5], s[4:5], exec
	s_or_saveexec_b64 s[6:7], s[6:7]
	v_mov_b32_e32 v2, s10
	s_xor_b64 exec, exec, s[6:7]
	s_cbranch_execz .LBB46_674
.LBB46_2724:
	v_mov_b32_e32 v2, 0
	v_cmp_ne_u16_sdwa s[8:9], v7, v2 src0_sel:BYTE_0 src1_sel:DWORD
	s_andn2_b64 s[4:5], s[4:5], exec
	s_and_b64 s[8:9], s[8:9], exec
	s_or_b64 s[4:5], s[4:5], s[8:9]
	s_or_b64 exec, exec, s[6:7]
	s_and_saveexec_b64 s[6:7], s[4:5]
	s_cbranch_execnz .LBB46_675
	s_branch .LBB46_676
.LBB46_2725:
	s_movk_i32 s4, 0x80
	v_cmp_eq_u16_sdwa s[12:13], v3, s4 src0_sel:BYTE_0 src1_sel:DWORD
	s_mov_b64 s[4:5], -1
                                        ; implicit-def: $sgpr10
	s_and_saveexec_b64 s[8:9], s[12:13]
; %bb.2726:
	s_mov_b32 s10, 0x7f800001
	s_xor_b64 s[4:5], exec, -1
; %bb.2727:
	s_or_b64 exec, exec, s[8:9]
	s_and_b64 s[4:5], s[4:5], exec
	s_or_saveexec_b64 s[6:7], s[6:7]
	v_mov_b32_e32 v6, s10
	s_xor_b64 exec, exec, s[6:7]
	s_cbranch_execz .LBB46_678
.LBB46_2728:
	v_mov_b32_e32 v6, 0
	v_cmp_ne_u16_sdwa s[8:9], v3, v6 src0_sel:BYTE_0 src1_sel:DWORD
	s_andn2_b64 s[4:5], s[4:5], exec
	s_and_b64 s[8:9], s[8:9], exec
	s_or_b64 s[4:5], s[4:5], s[8:9]
	s_or_b64 exec, exec, s[6:7]
	s_and_saveexec_b64 s[6:7], s[4:5]
	s_cbranch_execnz .LBB46_679
	s_branch .LBB46_680
.LBB46_2729:
	s_movk_i32 s4, 0x80
	v_cmp_eq_u16_sdwa s[12:13], v6, s4 src0_sel:BYTE_0 src1_sel:DWORD
	s_mov_b64 s[4:5], -1
                                        ; implicit-def: $sgpr10
	s_and_saveexec_b64 s[8:9], s[12:13]
; %bb.2730:
	s_mov_b32 s10, 0x7f800001
	s_xor_b64 s[4:5], exec, -1
; %bb.2731:
	s_or_b64 exec, exec, s[8:9]
	s_and_b64 s[4:5], s[4:5], exec
	s_or_saveexec_b64 s[6:7], s[6:7]
	v_mov_b32_e32 v2, s10
	s_xor_b64 exec, exec, s[6:7]
	s_cbranch_execz .LBB46_682
.LBB46_2732:
	v_mov_b32_e32 v2, 0
	v_cmp_ne_u16_sdwa s[8:9], v6, v2 src0_sel:BYTE_0 src1_sel:DWORD
	s_andn2_b64 s[4:5], s[4:5], exec
	s_and_b64 s[8:9], s[8:9], exec
	s_or_b64 s[4:5], s[4:5], s[8:9]
	s_or_b64 exec, exec, s[6:7]
	s_and_saveexec_b64 s[6:7], s[4:5]
	s_cbranch_execnz .LBB46_683
	s_branch .LBB46_684
.LBB46_2733:
	s_movk_i32 s4, 0x80
	v_cmp_eq_u16_sdwa s[12:13], v6, s4 src0_sel:BYTE_0 src1_sel:DWORD
	s_mov_b64 s[4:5], -1
                                        ; implicit-def: $sgpr10
	s_and_saveexec_b64 s[8:9], s[12:13]
; %bb.2734:
	s_mov_b32 s10, 0x7f800001
	s_xor_b64 s[4:5], exec, -1
; %bb.2735:
	s_or_b64 exec, exec, s[8:9]
	s_and_b64 s[4:5], s[4:5], exec
	s_or_saveexec_b64 s[6:7], s[6:7]
	v_mov_b32_e32 v10, s10
	s_xor_b64 exec, exec, s[6:7]
	s_cbranch_execz .LBB46_686
.LBB46_2736:
	v_mov_b32_e32 v10, 0
	v_cmp_ne_u16_sdwa s[8:9], v6, v10 src0_sel:BYTE_0 src1_sel:DWORD
	s_andn2_b64 s[4:5], s[4:5], exec
	s_and_b64 s[8:9], s[8:9], exec
	s_or_b64 s[4:5], s[4:5], s[8:9]
	s_or_b64 exec, exec, s[6:7]
	s_and_saveexec_b64 s[6:7], s[4:5]
	s_cbranch_execnz .LBB46_687
	s_branch .LBB46_688
.LBB46_2737:
	s_movk_i32 s4, 0x80
	v_cmp_eq_u16_e32 vcc, s4, v6
	s_mov_b64 s[4:5], -1
                                        ; implicit-def: $sgpr10
	s_and_saveexec_b64 s[8:9], vcc
; %bb.2738:
	s_mov_b32 s10, 0x7f800001
	s_xor_b64 s[4:5], exec, -1
; %bb.2739:
	s_or_b64 exec, exec, s[8:9]
	s_and_b64 s[4:5], s[4:5], exec
                                        ; implicit-def: $vgpr6
	s_or_saveexec_b64 s[6:7], s[6:7]
	v_mov_b32_e32 v2, s10
	s_xor_b64 exec, exec, s[6:7]
	s_cbranch_execz .LBB46_690
.LBB46_2740:
	v_cmp_ne_u16_e32 vcc, 0, v6
	s_andn2_b64 s[4:5], s[4:5], exec
	s_and_b64 s[8:9], vcc, exec
	v_mov_b32_e32 v2, 0
	s_or_b64 s[4:5], s[4:5], s[8:9]
	s_or_b64 exec, exec, s[6:7]
	s_and_saveexec_b64 s[6:7], s[4:5]
	s_cbranch_execnz .LBB46_691
	s_branch .LBB46_692
.LBB46_2741:
	s_movk_i32 s4, 0x80
	v_cmp_eq_u16_e32 vcc, s4, v6
	s_mov_b64 s[4:5], -1
                                        ; implicit-def: $sgpr10
	s_and_saveexec_b64 s[8:9], vcc
; %bb.2742:
	s_mov_b32 s10, 0x7f800001
	s_xor_b64 s[4:5], exec, -1
; %bb.2743:
	s_or_b64 exec, exec, s[8:9]
	s_and_b64 s[4:5], s[4:5], exec
                                        ; implicit-def: $vgpr6
	s_or_saveexec_b64 s[6:7], s[6:7]
	v_mov_b32_e32 v10, s10
	s_xor_b64 exec, exec, s[6:7]
	s_cbranch_execz .LBB46_694
.LBB46_2744:
	v_cmp_ne_u16_e32 vcc, 0, v6
	s_andn2_b64 s[4:5], s[4:5], exec
	s_and_b64 s[8:9], vcc, exec
	v_mov_b32_e32 v10, 0
	s_or_b64 s[4:5], s[4:5], s[8:9]
	s_or_b64 exec, exec, s[6:7]
	s_and_saveexec_b64 s[6:7], s[4:5]
	s_cbranch_execnz .LBB46_695
	s_branch .LBB46_696
.LBB46_2745:
	s_movk_i32 s4, 0x80
	v_cmp_eq_u16_sdwa s[12:13], v7, s4 src0_sel:BYTE_3 src1_sel:DWORD
	s_mov_b64 s[4:5], -1
                                        ; implicit-def: $sgpr10
	s_and_saveexec_b64 s[8:9], s[12:13]
; %bb.2746:
	s_mov_b32 s10, 0x7f800001
	s_xor_b64 s[4:5], exec, -1
; %bb.2747:
	s_or_b64 exec, exec, s[8:9]
	s_and_b64 s[4:5], s[4:5], exec
	s_or_saveexec_b64 s[6:7], s[6:7]
	v_mov_b32_e32 v2, s10
	s_xor_b64 exec, exec, s[6:7]
	s_cbranch_execz .LBB46_698
.LBB46_2748:
	v_mov_b32_e32 v2, 0
	v_cmp_ne_u16_sdwa s[8:9], v7, v2 src0_sel:BYTE_3 src1_sel:DWORD
	s_andn2_b64 s[4:5], s[4:5], exec
	s_and_b64 s[8:9], s[8:9], exec
	s_or_b64 s[4:5], s[4:5], s[8:9]
	s_or_b64 exec, exec, s[6:7]
	s_and_saveexec_b64 s[6:7], s[4:5]
	s_cbranch_execnz .LBB46_699
	s_branch .LBB46_700
.LBB46_2749:
	s_movk_i32 s4, 0x80
	v_cmp_eq_u16_sdwa s[12:13], v3, s4 src0_sel:BYTE_3 src1_sel:DWORD
	s_mov_b64 s[4:5], -1
                                        ; implicit-def: $sgpr10
	s_and_saveexec_b64 s[8:9], s[12:13]
; %bb.2750:
	s_mov_b32 s10, 0x7f800001
	s_xor_b64 s[4:5], exec, -1
; %bb.2751:
	s_or_b64 exec, exec, s[8:9]
	s_and_b64 s[4:5], s[4:5], exec
	s_or_saveexec_b64 s[6:7], s[6:7]
	v_mov_b32_e32 v6, s10
	s_xor_b64 exec, exec, s[6:7]
	s_cbranch_execz .LBB46_702
.LBB46_2752:
	v_mov_b32_e32 v6, 0
	v_cmp_ne_u16_sdwa s[8:9], v3, v6 src0_sel:BYTE_3 src1_sel:DWORD
	s_andn2_b64 s[4:5], s[4:5], exec
	s_and_b64 s[8:9], s[8:9], exec
	s_or_b64 s[4:5], s[4:5], s[8:9]
	s_or_b64 exec, exec, s[6:7]
	s_and_saveexec_b64 s[6:7], s[4:5]
	s_cbranch_execnz .LBB46_703
	s_branch .LBB46_704
.LBB46_2753:
	s_movk_i32 s4, 0x80
	v_cmp_eq_u16_sdwa s[12:13], v8, s4 src0_sel:BYTE_0 src1_sel:DWORD
	s_mov_b64 s[4:5], -1
                                        ; implicit-def: $sgpr10
	s_and_saveexec_b64 s[8:9], s[12:13]
; %bb.2754:
	s_mov_b32 s10, 0x7f800001
	s_xor_b64 s[4:5], exec, -1
; %bb.2755:
	s_or_b64 exec, exec, s[8:9]
	s_and_b64 s[4:5], s[4:5], exec
	s_or_saveexec_b64 s[6:7], s[6:7]
	v_mov_b32_e32 v2, s10
	s_xor_b64 exec, exec, s[6:7]
	s_cbranch_execz .LBB46_706
.LBB46_2756:
	v_mov_b32_e32 v2, 0
	v_cmp_ne_u16_sdwa s[8:9], v8, v2 src0_sel:BYTE_0 src1_sel:DWORD
	s_andn2_b64 s[4:5], s[4:5], exec
	s_and_b64 s[8:9], s[8:9], exec
	s_or_b64 s[4:5], s[4:5], s[8:9]
	s_or_b64 exec, exec, s[6:7]
	s_and_saveexec_b64 s[6:7], s[4:5]
	s_cbranch_execnz .LBB46_707
	s_branch .LBB46_708
.LBB46_2757:
	s_movk_i32 s4, 0x80
	v_cmp_eq_u16_sdwa s[12:13], v4, s4 src0_sel:BYTE_0 src1_sel:DWORD
	s_mov_b64 s[4:5], -1
                                        ; implicit-def: $sgpr10
	s_and_saveexec_b64 s[8:9], s[12:13]
; %bb.2758:
	s_mov_b32 s10, 0x7f800001
	s_xor_b64 s[4:5], exec, -1
; %bb.2759:
	s_or_b64 exec, exec, s[8:9]
	s_and_b64 s[4:5], s[4:5], exec
	s_or_saveexec_b64 s[6:7], s[6:7]
	v_mov_b32_e32 v3, s10
	s_xor_b64 exec, exec, s[6:7]
	s_cbranch_execz .LBB46_710
.LBB46_2760:
	v_mov_b32_e32 v3, 0
	v_cmp_ne_u16_sdwa s[8:9], v4, v3 src0_sel:BYTE_0 src1_sel:DWORD
	s_andn2_b64 s[4:5], s[4:5], exec
	s_and_b64 s[8:9], s[8:9], exec
	s_or_b64 s[4:5], s[4:5], s[8:9]
	s_or_b64 exec, exec, s[6:7]
	s_and_saveexec_b64 s[6:7], s[4:5]
	s_cbranch_execnz .LBB46_711
	s_branch .LBB46_712
.LBB46_2761:
	s_movk_i32 s4, 0x80
	v_cmp_eq_u16_sdwa s[12:13], v3, s4 src0_sel:BYTE_0 src1_sel:DWORD
	s_mov_b64 s[4:5], -1
                                        ; implicit-def: $sgpr10
	s_and_saveexec_b64 s[8:9], s[12:13]
; %bb.2762:
	s_mov_b32 s10, 0x7f800001
	s_xor_b64 s[4:5], exec, -1
; %bb.2763:
	s_or_b64 exec, exec, s[8:9]
	s_and_b64 s[4:5], s[4:5], exec
	s_or_saveexec_b64 s[6:7], s[6:7]
	v_mov_b32_e32 v2, s10
	s_xor_b64 exec, exec, s[6:7]
	s_cbranch_execz .LBB46_714
.LBB46_2764:
	v_mov_b32_e32 v2, 0
	v_cmp_ne_u16_sdwa s[8:9], v3, v2 src0_sel:BYTE_0 src1_sel:DWORD
	s_andn2_b64 s[4:5], s[4:5], exec
	s_and_b64 s[8:9], s[8:9], exec
	s_or_b64 s[4:5], s[4:5], s[8:9]
	s_or_b64 exec, exec, s[6:7]
	s_and_saveexec_b64 s[6:7], s[4:5]
	s_cbranch_execnz .LBB46_715
	s_branch .LBB46_716
.LBB46_2765:
	s_movk_i32 s4, 0x80
	v_cmp_eq_u16_sdwa s[12:13], v3, s4 src0_sel:BYTE_0 src1_sel:DWORD
	s_mov_b64 s[4:5], -1
                                        ; implicit-def: $sgpr10
	s_and_saveexec_b64 s[8:9], s[12:13]
; %bb.2766:
	s_mov_b32 s10, 0x7f800001
	s_xor_b64 s[4:5], exec, -1
; %bb.2767:
	s_or_b64 exec, exec, s[8:9]
	s_and_b64 s[4:5], s[4:5], exec
	s_or_saveexec_b64 s[6:7], s[6:7]
	v_mov_b32_e32 v6, s10
	s_xor_b64 exec, exec, s[6:7]
	s_cbranch_execz .LBB46_718
.LBB46_2768:
	v_mov_b32_e32 v6, 0
	v_cmp_ne_u16_sdwa s[8:9], v3, v6 src0_sel:BYTE_0 src1_sel:DWORD
	s_andn2_b64 s[4:5], s[4:5], exec
	s_and_b64 s[8:9], s[8:9], exec
	s_or_b64 s[4:5], s[4:5], s[8:9]
	s_or_b64 exec, exec, s[6:7]
	s_and_saveexec_b64 s[6:7], s[4:5]
	s_cbranch_execnz .LBB46_719
	s_branch .LBB46_720
.LBB46_2769:
	s_movk_i32 s4, 0x80
	v_cmp_eq_u16_e32 vcc, s4, v3
	s_mov_b64 s[4:5], -1
                                        ; implicit-def: $sgpr10
	s_and_saveexec_b64 s[8:9], vcc
; %bb.2770:
	s_mov_b32 s10, 0x7f800001
	s_xor_b64 s[4:5], exec, -1
; %bb.2771:
	s_or_b64 exec, exec, s[8:9]
	s_and_b64 s[4:5], s[4:5], exec
                                        ; implicit-def: $vgpr3
	s_or_saveexec_b64 s[6:7], s[6:7]
	v_mov_b32_e32 v2, s10
	s_xor_b64 exec, exec, s[6:7]
	s_cbranch_execz .LBB46_722
.LBB46_2772:
	v_cmp_ne_u16_e32 vcc, 0, v3
	s_andn2_b64 s[4:5], s[4:5], exec
	s_and_b64 s[8:9], vcc, exec
	v_mov_b32_e32 v2, 0
	s_or_b64 s[4:5], s[4:5], s[8:9]
	s_or_b64 exec, exec, s[6:7]
	s_and_saveexec_b64 s[6:7], s[4:5]
	s_cbranch_execnz .LBB46_723
	s_branch .LBB46_724
.LBB46_2773:
	s_movk_i32 s4, 0x80
	v_cmp_eq_u16_e32 vcc, s4, v3
	s_mov_b64 s[4:5], -1
                                        ; implicit-def: $sgpr10
	s_and_saveexec_b64 s[8:9], vcc
; %bb.2774:
	s_mov_b32 s10, 0x7f800001
	s_xor_b64 s[4:5], exec, -1
; %bb.2775:
	s_or_b64 exec, exec, s[8:9]
	s_and_b64 s[4:5], s[4:5], exec
                                        ; implicit-def: $vgpr3
	s_or_saveexec_b64 s[6:7], s[6:7]
	v_mov_b32_e32 v6, s10
	s_xor_b64 exec, exec, s[6:7]
	s_cbranch_execz .LBB46_726
.LBB46_2776:
	v_cmp_ne_u16_e32 vcc, 0, v3
	s_andn2_b64 s[4:5], s[4:5], exec
	s_and_b64 s[8:9], vcc, exec
	v_mov_b32_e32 v6, 0
	s_or_b64 s[4:5], s[4:5], s[8:9]
	s_or_b64 exec, exec, s[6:7]
	s_and_saveexec_b64 s[6:7], s[4:5]
	s_cbranch_execnz .LBB46_727
	s_branch .LBB46_728
.LBB46_2777:
	s_movk_i32 s4, 0x80
	v_cmp_eq_u16_sdwa s[12:13], v8, s4 src0_sel:BYTE_3 src1_sel:DWORD
	s_mov_b64 s[4:5], -1
                                        ; implicit-def: $sgpr10
	s_and_saveexec_b64 s[8:9], s[12:13]
; %bb.2778:
	s_mov_b32 s10, 0x7f800001
	s_xor_b64 s[4:5], exec, -1
; %bb.2779:
	s_or_b64 exec, exec, s[8:9]
	s_and_b64 s[4:5], s[4:5], exec
	s_or_saveexec_b64 s[6:7], s[6:7]
	v_mov_b32_e32 v2, s10
	s_xor_b64 exec, exec, s[6:7]
	s_cbranch_execz .LBB46_730
.LBB46_2780:
	v_mov_b32_e32 v2, 0
	v_cmp_ne_u16_sdwa s[8:9], v8, v2 src0_sel:BYTE_3 src1_sel:DWORD
	s_andn2_b64 s[4:5], s[4:5], exec
	s_and_b64 s[8:9], s[8:9], exec
	s_or_b64 s[4:5], s[4:5], s[8:9]
	s_or_b64 exec, exec, s[6:7]
	s_and_saveexec_b64 s[6:7], s[4:5]
	s_cbranch_execnz .LBB46_731
	s_branch .LBB46_732
.LBB46_2781:
	s_movk_i32 s4, 0x80
	v_cmp_eq_u16_sdwa s[12:13], v4, s4 src0_sel:BYTE_3 src1_sel:DWORD
	s_mov_b64 s[4:5], -1
                                        ; implicit-def: $sgpr10
	s_and_saveexec_b64 s[8:9], s[12:13]
; %bb.2782:
	s_mov_b32 s10, 0x7f800001
	s_xor_b64 s[4:5], exec, -1
; %bb.2783:
	s_or_b64 exec, exec, s[8:9]
	s_and_b64 s[4:5], s[4:5], exec
	s_or_saveexec_b64 s[6:7], s[6:7]
	v_mov_b32_e32 v3, s10
	s_xor_b64 exec, exec, s[6:7]
	s_cbranch_execz .LBB46_734
.LBB46_2784:
	v_mov_b32_e32 v3, 0
	v_cmp_ne_u16_sdwa s[8:9], v4, v3 src0_sel:BYTE_3 src1_sel:DWORD
	s_andn2_b64 s[4:5], s[4:5], exec
	s_and_b64 s[8:9], s[8:9], exec
	s_or_b64 s[4:5], s[4:5], s[8:9]
	s_or_b64 exec, exec, s[6:7]
	s_and_saveexec_b64 s[6:7], s[4:5]
	s_cbranch_execnz .LBB46_735
	s_branch .LBB46_736
.LBB46_2785:
	s_movk_i32 s4, 0x80
	v_cmp_eq_u16_sdwa s[12:13], v9, s4 src0_sel:BYTE_0 src1_sel:DWORD
	s_mov_b64 s[4:5], -1
                                        ; implicit-def: $sgpr10
	s_and_saveexec_b64 s[8:9], s[12:13]
; %bb.2786:
	s_mov_b32 s10, 0x7f800001
	s_xor_b64 s[4:5], exec, -1
; %bb.2787:
	s_or_b64 exec, exec, s[8:9]
	s_and_b64 s[4:5], s[4:5], exec
	s_or_saveexec_b64 s[6:7], s[6:7]
	v_mov_b32_e32 v2, s10
	s_xor_b64 exec, exec, s[6:7]
	s_cbranch_execz .LBB46_738
.LBB46_2788:
	v_mov_b32_e32 v2, 0
	v_cmp_ne_u16_sdwa s[8:9], v9, v2 src0_sel:BYTE_0 src1_sel:DWORD
	s_andn2_b64 s[4:5], s[4:5], exec
	s_and_b64 s[8:9], s[8:9], exec
	s_or_b64 s[4:5], s[4:5], s[8:9]
	s_or_b64 exec, exec, s[6:7]
	s_and_saveexec_b64 s[6:7], s[4:5]
	s_cbranch_execnz .LBB46_739
	s_branch .LBB46_740
.LBB46_2789:
	s_movk_i32 s4, 0x80
	v_cmp_eq_u16_sdwa s[12:13], v5, s4 src0_sel:BYTE_0 src1_sel:DWORD
	s_mov_b64 s[4:5], -1
                                        ; implicit-def: $sgpr10
	s_and_saveexec_b64 s[8:9], s[12:13]
; %bb.2790:
	s_mov_b32 s10, 0x7f800001
	s_xor_b64 s[4:5], exec, -1
; %bb.2791:
	s_or_b64 exec, exec, s[8:9]
	s_and_b64 s[4:5], s[4:5], exec
	s_or_saveexec_b64 s[6:7], s[6:7]
	v_mov_b32_e32 v3, s10
	s_xor_b64 exec, exec, s[6:7]
	s_cbranch_execz .LBB46_742
.LBB46_2792:
	v_mov_b32_e32 v3, 0
	v_cmp_ne_u16_sdwa s[8:9], v5, v3 src0_sel:BYTE_0 src1_sel:DWORD
	s_andn2_b64 s[4:5], s[4:5], exec
	s_and_b64 s[8:9], s[8:9], exec
	s_or_b64 s[4:5], s[4:5], s[8:9]
	s_or_b64 exec, exec, s[6:7]
	s_and_saveexec_b64 s[6:7], s[4:5]
	s_cbranch_execnz .LBB46_743
	s_branch .LBB46_744
.LBB46_2793:
	s_movk_i32 s4, 0x80
	v_cmp_eq_u16_sdwa s[12:13], v3, s4 src0_sel:BYTE_0 src1_sel:DWORD
	s_mov_b64 s[4:5], -1
                                        ; implicit-def: $sgpr10
	s_and_saveexec_b64 s[8:9], s[12:13]
; %bb.2794:
	s_mov_b32 s10, 0x7f800001
	s_xor_b64 s[4:5], exec, -1
; %bb.2795:
	s_or_b64 exec, exec, s[8:9]
	s_and_b64 s[4:5], s[4:5], exec
	s_or_saveexec_b64 s[6:7], s[6:7]
	v_mov_b32_e32 v2, s10
	s_xor_b64 exec, exec, s[6:7]
	s_cbranch_execz .LBB46_746
.LBB46_2796:
	v_mov_b32_e32 v2, 0
	v_cmp_ne_u16_sdwa s[8:9], v3, v2 src0_sel:BYTE_0 src1_sel:DWORD
	s_andn2_b64 s[4:5], s[4:5], exec
	s_and_b64 s[8:9], s[8:9], exec
	s_or_b64 s[4:5], s[4:5], s[8:9]
	s_or_b64 exec, exec, s[6:7]
	s_and_saveexec_b64 s[6:7], s[4:5]
	s_cbranch_execnz .LBB46_747
	s_branch .LBB46_748
.LBB46_2797:
	s_movk_i32 s4, 0x80
	v_cmp_eq_u16_sdwa s[12:13], v3, s4 src0_sel:BYTE_0 src1_sel:DWORD
	s_mov_b64 s[4:5], -1
                                        ; implicit-def: $sgpr10
	s_and_saveexec_b64 s[8:9], s[12:13]
; %bb.2798:
	s_mov_b32 s10, 0x7f800001
	s_xor_b64 s[4:5], exec, -1
; %bb.2799:
	s_or_b64 exec, exec, s[8:9]
	s_and_b64 s[4:5], s[4:5], exec
	s_or_saveexec_b64 s[6:7], s[6:7]
	v_mov_b32_e32 v4, s10
	s_xor_b64 exec, exec, s[6:7]
	s_cbranch_execz .LBB46_750
.LBB46_2800:
	v_mov_b32_e32 v4, 0
	v_cmp_ne_u16_sdwa s[8:9], v3, v4 src0_sel:BYTE_0 src1_sel:DWORD
	s_andn2_b64 s[4:5], s[4:5], exec
	s_and_b64 s[8:9], s[8:9], exec
	s_or_b64 s[4:5], s[4:5], s[8:9]
	s_or_b64 exec, exec, s[6:7]
	s_and_saveexec_b64 s[6:7], s[4:5]
	s_cbranch_execnz .LBB46_751
	s_branch .LBB46_752
.LBB46_2801:
	s_movk_i32 s4, 0x80
	v_cmp_eq_u16_e32 vcc, s4, v3
	s_mov_b64 s[4:5], -1
                                        ; implicit-def: $sgpr10
	s_and_saveexec_b64 s[8:9], vcc
; %bb.2802:
	s_mov_b32 s10, 0x7f800001
	s_xor_b64 s[4:5], exec, -1
; %bb.2803:
	s_or_b64 exec, exec, s[8:9]
	s_and_b64 s[4:5], s[4:5], exec
                                        ; implicit-def: $vgpr3
	s_or_saveexec_b64 s[6:7], s[6:7]
	v_mov_b32_e32 v2, s10
	s_xor_b64 exec, exec, s[6:7]
	s_cbranch_execz .LBB46_754
.LBB46_2804:
	v_cmp_ne_u16_e32 vcc, 0, v3
	s_andn2_b64 s[4:5], s[4:5], exec
	s_and_b64 s[8:9], vcc, exec
	v_mov_b32_e32 v2, 0
	s_or_b64 s[4:5], s[4:5], s[8:9]
	s_or_b64 exec, exec, s[6:7]
	s_and_saveexec_b64 s[6:7], s[4:5]
	s_cbranch_execnz .LBB46_755
	s_branch .LBB46_756
.LBB46_2805:
	s_movk_i32 s4, 0x80
	v_cmp_eq_u16_e32 vcc, s4, v3
	s_mov_b64 s[4:5], -1
                                        ; implicit-def: $sgpr10
	s_and_saveexec_b64 s[8:9], vcc
; %bb.2806:
	s_mov_b32 s10, 0x7f800001
	s_xor_b64 s[4:5], exec, -1
; %bb.2807:
	s_or_b64 exec, exec, s[8:9]
	s_and_b64 s[4:5], s[4:5], exec
                                        ; implicit-def: $vgpr3
	s_or_saveexec_b64 s[6:7], s[6:7]
	v_mov_b32_e32 v4, s10
	s_xor_b64 exec, exec, s[6:7]
	s_cbranch_execz .LBB46_758
.LBB46_2808:
	v_cmp_ne_u16_e32 vcc, 0, v3
	s_andn2_b64 s[4:5], s[4:5], exec
	s_and_b64 s[8:9], vcc, exec
	v_mov_b32_e32 v4, 0
	s_or_b64 s[4:5], s[4:5], s[8:9]
	s_or_b64 exec, exec, s[6:7]
	s_and_saveexec_b64 s[6:7], s[4:5]
	s_cbranch_execnz .LBB46_759
	s_branch .LBB46_760
.LBB46_2809:
	s_movk_i32 s4, 0x80
	v_cmp_eq_u16_sdwa s[12:13], v9, s4 src0_sel:BYTE_3 src1_sel:DWORD
	s_mov_b64 s[4:5], -1
                                        ; implicit-def: $sgpr10
	s_and_saveexec_b64 s[8:9], s[12:13]
; %bb.2810:
	s_mov_b32 s10, 0x7f800001
	s_xor_b64 s[4:5], exec, -1
; %bb.2811:
	s_or_b64 exec, exec, s[8:9]
	s_and_b64 s[4:5], s[4:5], exec
	s_or_saveexec_b64 s[6:7], s[6:7]
	v_mov_b32_e32 v2, s10
	s_xor_b64 exec, exec, s[6:7]
	s_cbranch_execz .LBB46_762
.LBB46_2812:
	v_mov_b32_e32 v2, 0
	v_cmp_ne_u16_sdwa s[8:9], v9, v2 src0_sel:BYTE_3 src1_sel:DWORD
	s_andn2_b64 s[4:5], s[4:5], exec
	s_and_b64 s[8:9], s[8:9], exec
	s_or_b64 s[4:5], s[4:5], s[8:9]
	s_or_b64 exec, exec, s[6:7]
	s_and_saveexec_b64 s[6:7], s[4:5]
	s_cbranch_execnz .LBB46_763
	s_branch .LBB46_764
.LBB46_2813:
	s_movk_i32 s4, 0x80
	v_cmp_eq_u16_sdwa s[12:13], v5, s4 src0_sel:BYTE_3 src1_sel:DWORD
	s_mov_b64 s[4:5], -1
                                        ; implicit-def: $sgpr10
	s_and_saveexec_b64 s[8:9], s[12:13]
; %bb.2814:
	s_mov_b32 s10, 0x7f800001
	s_xor_b64 s[4:5], exec, -1
; %bb.2815:
	s_or_b64 exec, exec, s[8:9]
	s_and_b64 s[4:5], s[4:5], exec
	s_or_saveexec_b64 s[6:7], s[6:7]
	v_mov_b32_e32 v3, s10
	s_xor_b64 exec, exec, s[6:7]
	s_cbranch_execz .LBB46_766
.LBB46_2816:
	v_mov_b32_e32 v3, 0
	v_cmp_ne_u16_sdwa s[8:9], v5, v3 src0_sel:BYTE_3 src1_sel:DWORD
	s_andn2_b64 s[4:5], s[4:5], exec
	s_and_b64 s[8:9], s[8:9], exec
	s_or_b64 s[4:5], s[4:5], s[8:9]
	s_or_b64 exec, exec, s[6:7]
	s_and_saveexec_b64 s[6:7], s[4:5]
	s_cbranch_execnz .LBB46_767
	s_branch .LBB46_768
.LBB46_2817:
	s_movk_i32 s4, 0x80
	v_cmp_eq_u16_sdwa s[12:13], v14, s4 src0_sel:BYTE_0 src1_sel:DWORD
	s_mov_b64 s[4:5], -1
                                        ; implicit-def: $sgpr10
	s_and_saveexec_b64 s[8:9], s[12:13]
; %bb.2818:
	s_mov_b32 s10, 0x7f800001
	s_xor_b64 s[4:5], exec, -1
; %bb.2819:
	s_or_b64 exec, exec, s[8:9]
	s_and_b64 s[4:5], s[4:5], exec
	s_or_saveexec_b64 s[6:7], s[6:7]
	v_mov_b32_e32 v20, s10
	s_xor_b64 exec, exec, s[6:7]
	s_cbranch_execz .LBB46_770
.LBB46_2820:
	v_mov_b32_e32 v20, 0
	v_cmp_ne_u16_sdwa s[8:9], v14, v20 src0_sel:BYTE_0 src1_sel:DWORD
	s_andn2_b64 s[4:5], s[4:5], exec
	s_and_b64 s[8:9], s[8:9], exec
	s_or_b64 s[4:5], s[4:5], s[8:9]
	s_or_b64 exec, exec, s[6:7]
	s_and_saveexec_b64 s[6:7], s[4:5]
	s_cbranch_execnz .LBB46_771
	s_branch .LBB46_772
.LBB46_2821:
	s_movk_i32 s4, 0x80
	v_cmp_eq_u16_sdwa s[12:13], v10, s4 src0_sel:BYTE_0 src1_sel:DWORD
	s_mov_b64 s[4:5], -1
                                        ; implicit-def: $sgpr10
	s_and_saveexec_b64 s[8:9], s[12:13]
; %bb.2822:
	s_mov_b32 s10, 0x7f800001
	s_xor_b64 s[4:5], exec, -1
; %bb.2823:
	s_or_b64 exec, exec, s[8:9]
	s_and_b64 s[4:5], s[4:5], exec
	s_or_saveexec_b64 s[6:7], s[6:7]
	v_mov_b32_e32 v21, s10
	s_xor_b64 exec, exec, s[6:7]
	s_cbranch_execz .LBB46_774
.LBB46_2824:
	v_mov_b32_e32 v21, 0
	v_cmp_ne_u16_sdwa s[8:9], v10, v21 src0_sel:BYTE_0 src1_sel:DWORD
	s_andn2_b64 s[4:5], s[4:5], exec
	s_and_b64 s[8:9], s[8:9], exec
	s_or_b64 s[4:5], s[4:5], s[8:9]
	s_or_b64 exec, exec, s[6:7]
	s_and_saveexec_b64 s[6:7], s[4:5]
	s_cbranch_execnz .LBB46_775
	s_branch .LBB46_776
.LBB46_2825:
	s_movk_i32 s4, 0x80
	v_cmp_eq_u16_sdwa s[12:13], v21, s4 src0_sel:BYTE_0 src1_sel:DWORD
	s_mov_b64 s[4:5], -1
                                        ; implicit-def: $sgpr10
	s_and_saveexec_b64 s[8:9], s[12:13]
; %bb.2826:
	s_mov_b32 s10, 0x7f800001
	s_xor_b64 s[4:5], exec, -1
; %bb.2827:
	s_or_b64 exec, exec, s[8:9]
	s_and_b64 s[4:5], s[4:5], exec
	s_or_saveexec_b64 s[6:7], s[6:7]
	v_mov_b32_e32 v20, s10
	s_xor_b64 exec, exec, s[6:7]
	s_cbranch_execz .LBB46_778
.LBB46_2828:
	v_mov_b32_e32 v20, 0
	v_cmp_ne_u16_sdwa s[8:9], v21, v20 src0_sel:BYTE_0 src1_sel:DWORD
	s_andn2_b64 s[4:5], s[4:5], exec
	s_and_b64 s[8:9], s[8:9], exec
	s_or_b64 s[4:5], s[4:5], s[8:9]
	s_or_b64 exec, exec, s[6:7]
	s_and_saveexec_b64 s[6:7], s[4:5]
	s_cbranch_execnz .LBB46_779
	s_branch .LBB46_780
.LBB46_2829:
	s_movk_i32 s4, 0x80
	v_cmp_eq_u16_sdwa s[12:13], v21, s4 src0_sel:BYTE_0 src1_sel:DWORD
	s_mov_b64 s[4:5], -1
                                        ; implicit-def: $sgpr10
	s_and_saveexec_b64 s[8:9], s[12:13]
; %bb.2830:
	s_mov_b32 s10, 0x7f800001
	s_xor_b64 s[4:5], exec, -1
; %bb.2831:
	s_or_b64 exec, exec, s[8:9]
	s_and_b64 s[4:5], s[4:5], exec
	s_or_saveexec_b64 s[6:7], s[6:7]
	v_mov_b32_e32 v22, s10
	s_xor_b64 exec, exec, s[6:7]
	s_cbranch_execz .LBB46_782
.LBB46_2832:
	v_mov_b32_e32 v22, 0
	v_cmp_ne_u16_sdwa s[8:9], v21, v22 src0_sel:BYTE_0 src1_sel:DWORD
	s_andn2_b64 s[4:5], s[4:5], exec
	s_and_b64 s[8:9], s[8:9], exec
	s_or_b64 s[4:5], s[4:5], s[8:9]
	s_or_b64 exec, exec, s[6:7]
	s_and_saveexec_b64 s[6:7], s[4:5]
	s_cbranch_execnz .LBB46_783
	s_branch .LBB46_784
.LBB46_2833:
	s_movk_i32 s4, 0x80
	v_cmp_eq_u16_e32 vcc, s4, v21
	s_mov_b64 s[4:5], -1
                                        ; implicit-def: $sgpr10
	s_and_saveexec_b64 s[8:9], vcc
; %bb.2834:
	s_mov_b32 s10, 0x7f800001
	s_xor_b64 s[4:5], exec, -1
; %bb.2835:
	s_or_b64 exec, exec, s[8:9]
	s_and_b64 s[4:5], s[4:5], exec
                                        ; implicit-def: $vgpr21
	s_or_saveexec_b64 s[6:7], s[6:7]
	v_mov_b32_e32 v20, s10
	s_xor_b64 exec, exec, s[6:7]
	s_cbranch_execz .LBB46_786
.LBB46_2836:
	v_cmp_ne_u16_e32 vcc, 0, v21
	s_andn2_b64 s[4:5], s[4:5], exec
	s_and_b64 s[8:9], vcc, exec
	v_mov_b32_e32 v20, 0
	s_or_b64 s[4:5], s[4:5], s[8:9]
	s_or_b64 exec, exec, s[6:7]
	s_and_saveexec_b64 s[6:7], s[4:5]
	s_cbranch_execnz .LBB46_787
	s_branch .LBB46_788
.LBB46_2837:
	s_movk_i32 s4, 0x80
	v_cmp_eq_u16_e32 vcc, s4, v21
	s_mov_b64 s[4:5], -1
                                        ; implicit-def: $sgpr10
	s_and_saveexec_b64 s[8:9], vcc
; %bb.2838:
	s_mov_b32 s10, 0x7f800001
	s_xor_b64 s[4:5], exec, -1
; %bb.2839:
	s_or_b64 exec, exec, s[8:9]
	s_and_b64 s[4:5], s[4:5], exec
                                        ; implicit-def: $vgpr21
	s_or_saveexec_b64 s[6:7], s[6:7]
	v_mov_b32_e32 v22, s10
	s_xor_b64 exec, exec, s[6:7]
	s_cbranch_execz .LBB46_790
.LBB46_2840:
	v_cmp_ne_u16_e32 vcc, 0, v21
	s_andn2_b64 s[4:5], s[4:5], exec
	s_and_b64 s[8:9], vcc, exec
	v_mov_b32_e32 v22, 0
	s_or_b64 s[4:5], s[4:5], s[8:9]
	s_or_b64 exec, exec, s[6:7]
	s_and_saveexec_b64 s[6:7], s[4:5]
	s_cbranch_execnz .LBB46_791
	s_branch .LBB46_792
.LBB46_2841:
	s_movk_i32 s4, 0x80
	v_cmp_eq_u16_sdwa s[12:13], v14, s4 src0_sel:BYTE_3 src1_sel:DWORD
	s_mov_b64 s[4:5], -1
                                        ; implicit-def: $sgpr10
	s_and_saveexec_b64 s[8:9], s[12:13]
; %bb.2842:
	s_mov_b32 s10, 0x7f800001
	s_xor_b64 s[4:5], exec, -1
; %bb.2843:
	s_or_b64 exec, exec, s[8:9]
	s_and_b64 s[4:5], s[4:5], exec
	s_or_saveexec_b64 s[6:7], s[6:7]
	v_mov_b32_e32 v20, s10
	s_xor_b64 exec, exec, s[6:7]
	s_cbranch_execz .LBB46_794
.LBB46_2844:
	v_mov_b32_e32 v20, 0
	v_cmp_ne_u16_sdwa s[8:9], v14, v20 src0_sel:BYTE_3 src1_sel:DWORD
	s_andn2_b64 s[4:5], s[4:5], exec
	s_and_b64 s[8:9], s[8:9], exec
	s_or_b64 s[4:5], s[4:5], s[8:9]
	s_or_b64 exec, exec, s[6:7]
	s_and_saveexec_b64 s[6:7], s[4:5]
	s_cbranch_execnz .LBB46_795
	s_branch .LBB46_796
.LBB46_2845:
	s_movk_i32 s4, 0x80
	v_cmp_eq_u16_sdwa s[12:13], v10, s4 src0_sel:BYTE_3 src1_sel:DWORD
	s_mov_b64 s[4:5], -1
                                        ; implicit-def: $sgpr10
	s_and_saveexec_b64 s[8:9], s[12:13]
; %bb.2846:
	s_mov_b32 s10, 0x7f800001
	s_xor_b64 s[4:5], exec, -1
; %bb.2847:
	s_or_b64 exec, exec, s[8:9]
	s_and_b64 s[4:5], s[4:5], exec
	s_or_saveexec_b64 s[6:7], s[6:7]
	v_mov_b32_e32 v14, s10
	s_xor_b64 exec, exec, s[6:7]
	s_cbranch_execz .LBB46_798
.LBB46_2848:
	v_mov_b32_e32 v14, 0
	v_cmp_ne_u16_sdwa s[8:9], v10, v14 src0_sel:BYTE_3 src1_sel:DWORD
	s_andn2_b64 s[4:5], s[4:5], exec
	s_and_b64 s[8:9], s[8:9], exec
	s_or_b64 s[4:5], s[4:5], s[8:9]
	s_or_b64 exec, exec, s[6:7]
	s_and_saveexec_b64 s[6:7], s[4:5]
	s_cbranch_execnz .LBB46_799
	s_branch .LBB46_800
.LBB46_2849:
	s_movk_i32 s4, 0x80
	v_cmp_eq_u16_sdwa s[12:13], v15, s4 src0_sel:BYTE_0 src1_sel:DWORD
	s_mov_b64 s[4:5], -1
                                        ; implicit-def: $sgpr10
	s_and_saveexec_b64 s[8:9], s[12:13]
; %bb.2850:
	s_mov_b32 s10, 0x7f800001
	s_xor_b64 s[4:5], exec, -1
; %bb.2851:
	s_or_b64 exec, exec, s[8:9]
	s_and_b64 s[4:5], s[4:5], exec
	s_or_saveexec_b64 s[6:7], s[6:7]
	v_mov_b32_e32 v10, s10
	s_xor_b64 exec, exec, s[6:7]
	s_cbranch_execz .LBB46_802
.LBB46_2852:
	v_mov_b32_e32 v10, 0
	v_cmp_ne_u16_sdwa s[8:9], v15, v10 src0_sel:BYTE_0 src1_sel:DWORD
	s_andn2_b64 s[4:5], s[4:5], exec
	s_and_b64 s[8:9], s[8:9], exec
	s_or_b64 s[4:5], s[4:5], s[8:9]
	s_or_b64 exec, exec, s[6:7]
	s_and_saveexec_b64 s[6:7], s[4:5]
	s_cbranch_execnz .LBB46_803
	s_branch .LBB46_804
.LBB46_2853:
	s_movk_i32 s4, 0x80
	v_cmp_eq_u16_sdwa s[12:13], v11, s4 src0_sel:BYTE_0 src1_sel:DWORD
	s_mov_b64 s[4:5], -1
                                        ; implicit-def: $sgpr10
	s_and_saveexec_b64 s[8:9], s[12:13]
; %bb.2854:
	s_mov_b32 s10, 0x7f800001
	s_xor_b64 s[4:5], exec, -1
; %bb.2855:
	s_or_b64 exec, exec, s[8:9]
	s_and_b64 s[4:5], s[4:5], exec
	s_or_saveexec_b64 s[6:7], s[6:7]
	v_mov_b32_e32 v14, s10
	s_xor_b64 exec, exec, s[6:7]
	s_cbranch_execz .LBB46_806
.LBB46_2856:
	v_mov_b32_e32 v14, 0
	v_cmp_ne_u16_sdwa s[8:9], v11, v14 src0_sel:BYTE_0 src1_sel:DWORD
	s_andn2_b64 s[4:5], s[4:5], exec
	s_and_b64 s[8:9], s[8:9], exec
	s_or_b64 s[4:5], s[4:5], s[8:9]
	s_or_b64 exec, exec, s[6:7]
	s_and_saveexec_b64 s[6:7], s[4:5]
	s_cbranch_execnz .LBB46_807
	s_branch .LBB46_808
.LBB46_2857:
	s_movk_i32 s4, 0x80
	v_cmp_eq_u16_sdwa s[12:13], v14, s4 src0_sel:BYTE_0 src1_sel:DWORD
	s_mov_b64 s[4:5], -1
                                        ; implicit-def: $sgpr10
	s_and_saveexec_b64 s[8:9], s[12:13]
; %bb.2858:
	s_mov_b32 s10, 0x7f800001
	s_xor_b64 s[4:5], exec, -1
; %bb.2859:
	s_or_b64 exec, exec, s[8:9]
	s_and_b64 s[4:5], s[4:5], exec
	s_or_saveexec_b64 s[6:7], s[6:7]
	v_mov_b32_e32 v10, s10
	s_xor_b64 exec, exec, s[6:7]
	s_cbranch_execz .LBB46_810
.LBB46_2860:
	v_mov_b32_e32 v10, 0
	v_cmp_ne_u16_sdwa s[8:9], v14, v10 src0_sel:BYTE_0 src1_sel:DWORD
	s_andn2_b64 s[4:5], s[4:5], exec
	s_and_b64 s[8:9], s[8:9], exec
	s_or_b64 s[4:5], s[4:5], s[8:9]
	s_or_b64 exec, exec, s[6:7]
	s_and_saveexec_b64 s[6:7], s[4:5]
	s_cbranch_execnz .LBB46_811
	s_branch .LBB46_812
.LBB46_2861:
	s_movk_i32 s4, 0x80
	v_cmp_eq_u16_sdwa s[12:13], v14, s4 src0_sel:BYTE_0 src1_sel:DWORD
	s_mov_b64 s[4:5], -1
                                        ; implicit-def: $sgpr10
	s_and_saveexec_b64 s[8:9], s[12:13]
; %bb.2862:
	s_mov_b32 s10, 0x7f800001
	s_xor_b64 s[4:5], exec, -1
; %bb.2863:
	s_or_b64 exec, exec, s[8:9]
	s_and_b64 s[4:5], s[4:5], exec
	s_or_saveexec_b64 s[6:7], s[6:7]
	v_mov_b32_e32 v20, s10
	s_xor_b64 exec, exec, s[6:7]
	s_cbranch_execz .LBB46_814
.LBB46_2864:
	v_mov_b32_e32 v20, 0
	v_cmp_ne_u16_sdwa s[8:9], v14, v20 src0_sel:BYTE_0 src1_sel:DWORD
	s_andn2_b64 s[4:5], s[4:5], exec
	s_and_b64 s[8:9], s[8:9], exec
	s_or_b64 s[4:5], s[4:5], s[8:9]
	s_or_b64 exec, exec, s[6:7]
	s_and_saveexec_b64 s[6:7], s[4:5]
	s_cbranch_execnz .LBB46_815
	s_branch .LBB46_816
.LBB46_2865:
	s_movk_i32 s4, 0x80
	v_cmp_eq_u16_e32 vcc, s4, v14
	s_mov_b64 s[4:5], -1
                                        ; implicit-def: $sgpr10
	s_and_saveexec_b64 s[8:9], vcc
; %bb.2866:
	s_mov_b32 s10, 0x7f800001
	s_xor_b64 s[4:5], exec, -1
; %bb.2867:
	s_or_b64 exec, exec, s[8:9]
	s_and_b64 s[4:5], s[4:5], exec
                                        ; implicit-def: $vgpr14
	s_or_saveexec_b64 s[6:7], s[6:7]
	v_mov_b32_e32 v10, s10
	s_xor_b64 exec, exec, s[6:7]
	s_cbranch_execz .LBB46_818
.LBB46_2868:
	v_cmp_ne_u16_e32 vcc, 0, v14
	s_andn2_b64 s[4:5], s[4:5], exec
	s_and_b64 s[8:9], vcc, exec
	v_mov_b32_e32 v10, 0
	s_or_b64 s[4:5], s[4:5], s[8:9]
	s_or_b64 exec, exec, s[6:7]
	s_and_saveexec_b64 s[6:7], s[4:5]
	s_cbranch_execnz .LBB46_819
	s_branch .LBB46_820
.LBB46_2869:
	s_movk_i32 s4, 0x80
	v_cmp_eq_u16_e32 vcc, s4, v14
	s_mov_b64 s[4:5], -1
                                        ; implicit-def: $sgpr10
	s_and_saveexec_b64 s[8:9], vcc
; %bb.2870:
	s_mov_b32 s10, 0x7f800001
	s_xor_b64 s[4:5], exec, -1
; %bb.2871:
	s_or_b64 exec, exec, s[8:9]
	s_and_b64 s[4:5], s[4:5], exec
                                        ; implicit-def: $vgpr14
	s_or_saveexec_b64 s[6:7], s[6:7]
	v_mov_b32_e32 v20, s10
	s_xor_b64 exec, exec, s[6:7]
	s_cbranch_execz .LBB46_822
.LBB46_2872:
	v_cmp_ne_u16_e32 vcc, 0, v14
	s_andn2_b64 s[4:5], s[4:5], exec
	s_and_b64 s[8:9], vcc, exec
	v_mov_b32_e32 v20, 0
	s_or_b64 s[4:5], s[4:5], s[8:9]
	s_or_b64 exec, exec, s[6:7]
	s_and_saveexec_b64 s[6:7], s[4:5]
	s_cbranch_execnz .LBB46_823
	s_branch .LBB46_824
.LBB46_2873:
	s_movk_i32 s4, 0x80
	v_cmp_eq_u16_sdwa s[12:13], v15, s4 src0_sel:BYTE_3 src1_sel:DWORD
	s_mov_b64 s[4:5], -1
                                        ; implicit-def: $sgpr10
	s_and_saveexec_b64 s[8:9], s[12:13]
; %bb.2874:
	s_mov_b32 s10, 0x7f800001
	s_xor_b64 s[4:5], exec, -1
; %bb.2875:
	s_or_b64 exec, exec, s[8:9]
	s_and_b64 s[4:5], s[4:5], exec
	s_or_saveexec_b64 s[6:7], s[6:7]
	v_mov_b32_e32 v10, s10
	s_xor_b64 exec, exec, s[6:7]
	s_cbranch_execz .LBB46_826
.LBB46_2876:
	v_mov_b32_e32 v10, 0
	v_cmp_ne_u16_sdwa s[8:9], v15, v10 src0_sel:BYTE_3 src1_sel:DWORD
	s_andn2_b64 s[4:5], s[4:5], exec
	s_and_b64 s[8:9], s[8:9], exec
	s_or_b64 s[4:5], s[4:5], s[8:9]
	s_or_b64 exec, exec, s[6:7]
	s_and_saveexec_b64 s[6:7], s[4:5]
	s_cbranch_execnz .LBB46_827
	s_branch .LBB46_828
.LBB46_2877:
	s_movk_i32 s4, 0x80
	v_cmp_eq_u16_sdwa s[12:13], v11, s4 src0_sel:BYTE_3 src1_sel:DWORD
	s_mov_b64 s[4:5], -1
                                        ; implicit-def: $sgpr10
	s_and_saveexec_b64 s[8:9], s[12:13]
; %bb.2878:
	s_mov_b32 s10, 0x7f800001
	s_xor_b64 s[4:5], exec, -1
; %bb.2879:
	s_or_b64 exec, exec, s[8:9]
	s_and_b64 s[4:5], s[4:5], exec
	s_or_saveexec_b64 s[6:7], s[6:7]
	v_mov_b32_e32 v14, s10
	s_xor_b64 exec, exec, s[6:7]
	s_cbranch_execz .LBB46_830
.LBB46_2880:
	v_mov_b32_e32 v14, 0
	v_cmp_ne_u16_sdwa s[8:9], v11, v14 src0_sel:BYTE_3 src1_sel:DWORD
	s_andn2_b64 s[4:5], s[4:5], exec
	s_and_b64 s[8:9], s[8:9], exec
	s_or_b64 s[4:5], s[4:5], s[8:9]
	s_or_b64 exec, exec, s[6:7]
	s_and_saveexec_b64 s[6:7], s[4:5]
	s_cbranch_execnz .LBB46_831
	s_branch .LBB46_832
.LBB46_2881:
	s_movk_i32 s4, 0x80
	v_cmp_eq_u16_sdwa s[12:13], v16, s4 src0_sel:BYTE_0 src1_sel:DWORD
	s_mov_b64 s[4:5], -1
                                        ; implicit-def: $sgpr10
	s_and_saveexec_b64 s[8:9], s[12:13]
; %bb.2882:
	s_mov_b32 s10, 0x7f800001
	s_xor_b64 s[4:5], exec, -1
; %bb.2883:
	s_or_b64 exec, exec, s[8:9]
	s_and_b64 s[4:5], s[4:5], exec
	s_or_saveexec_b64 s[6:7], s[6:7]
	v_mov_b32_e32 v10, s10
	s_xor_b64 exec, exec, s[6:7]
	s_cbranch_execz .LBB46_834
.LBB46_2884:
	v_mov_b32_e32 v10, 0
	v_cmp_ne_u16_sdwa s[8:9], v16, v10 src0_sel:BYTE_0 src1_sel:DWORD
	s_andn2_b64 s[4:5], s[4:5], exec
	s_and_b64 s[8:9], s[8:9], exec
	s_or_b64 s[4:5], s[4:5], s[8:9]
	s_or_b64 exec, exec, s[6:7]
	s_and_saveexec_b64 s[6:7], s[4:5]
	s_cbranch_execnz .LBB46_835
	s_branch .LBB46_836
.LBB46_2885:
	s_movk_i32 s4, 0x80
	v_cmp_eq_u16_sdwa s[12:13], v12, s4 src0_sel:BYTE_0 src1_sel:DWORD
	s_mov_b64 s[4:5], -1
                                        ; implicit-def: $sgpr10
	s_and_saveexec_b64 s[8:9], s[12:13]
; %bb.2886:
	s_mov_b32 s10, 0x7f800001
	s_xor_b64 s[4:5], exec, -1
; %bb.2887:
	s_or_b64 exec, exec, s[8:9]
	s_and_b64 s[4:5], s[4:5], exec
	s_or_saveexec_b64 s[6:7], s[6:7]
	v_mov_b32_e32 v11, s10
	s_xor_b64 exec, exec, s[6:7]
	s_cbranch_execz .LBB46_838
.LBB46_2888:
	v_mov_b32_e32 v11, 0
	v_cmp_ne_u16_sdwa s[8:9], v12, v11 src0_sel:BYTE_0 src1_sel:DWORD
	s_andn2_b64 s[4:5], s[4:5], exec
	s_and_b64 s[8:9], s[8:9], exec
	s_or_b64 s[4:5], s[4:5], s[8:9]
	s_or_b64 exec, exec, s[6:7]
	s_and_saveexec_b64 s[6:7], s[4:5]
	s_cbranch_execnz .LBB46_839
	s_branch .LBB46_840
.LBB46_2889:
	s_movk_i32 s4, 0x80
	v_cmp_eq_u16_sdwa s[12:13], v11, s4 src0_sel:BYTE_0 src1_sel:DWORD
	s_mov_b64 s[4:5], -1
                                        ; implicit-def: $sgpr10
	s_and_saveexec_b64 s[8:9], s[12:13]
; %bb.2890:
	s_mov_b32 s10, 0x7f800001
	s_xor_b64 s[4:5], exec, -1
; %bb.2891:
	s_or_b64 exec, exec, s[8:9]
	s_and_b64 s[4:5], s[4:5], exec
	s_or_saveexec_b64 s[6:7], s[6:7]
	v_mov_b32_e32 v10, s10
	s_xor_b64 exec, exec, s[6:7]
	s_cbranch_execz .LBB46_842
.LBB46_2892:
	v_mov_b32_e32 v10, 0
	v_cmp_ne_u16_sdwa s[8:9], v11, v10 src0_sel:BYTE_0 src1_sel:DWORD
	s_andn2_b64 s[4:5], s[4:5], exec
	s_and_b64 s[8:9], s[8:9], exec
	s_or_b64 s[4:5], s[4:5], s[8:9]
	s_or_b64 exec, exec, s[6:7]
	s_and_saveexec_b64 s[6:7], s[4:5]
	s_cbranch_execnz .LBB46_843
	s_branch .LBB46_844
.LBB46_2893:
	s_movk_i32 s4, 0x80
	v_cmp_eq_u16_sdwa s[12:13], v11, s4 src0_sel:BYTE_0 src1_sel:DWORD
	s_mov_b64 s[4:5], -1
                                        ; implicit-def: $sgpr10
	s_and_saveexec_b64 s[8:9], s[12:13]
; %bb.2894:
	s_mov_b32 s10, 0x7f800001
	s_xor_b64 s[4:5], exec, -1
; %bb.2895:
	s_or_b64 exec, exec, s[8:9]
	s_and_b64 s[4:5], s[4:5], exec
	s_or_saveexec_b64 s[6:7], s[6:7]
	v_mov_b32_e32 v14, s10
	s_xor_b64 exec, exec, s[6:7]
	s_cbranch_execz .LBB46_846
.LBB46_2896:
	v_mov_b32_e32 v14, 0
	v_cmp_ne_u16_sdwa s[8:9], v11, v14 src0_sel:BYTE_0 src1_sel:DWORD
	s_andn2_b64 s[4:5], s[4:5], exec
	s_and_b64 s[8:9], s[8:9], exec
	s_or_b64 s[4:5], s[4:5], s[8:9]
	s_or_b64 exec, exec, s[6:7]
	s_and_saveexec_b64 s[6:7], s[4:5]
	s_cbranch_execnz .LBB46_847
	s_branch .LBB46_848
.LBB46_2897:
	s_movk_i32 s4, 0x80
	v_cmp_eq_u16_e32 vcc, s4, v11
	s_mov_b64 s[4:5], -1
                                        ; implicit-def: $sgpr10
	s_and_saveexec_b64 s[8:9], vcc
; %bb.2898:
	s_mov_b32 s10, 0x7f800001
	s_xor_b64 s[4:5], exec, -1
; %bb.2899:
	s_or_b64 exec, exec, s[8:9]
	s_and_b64 s[4:5], s[4:5], exec
                                        ; implicit-def: $vgpr11
	s_or_saveexec_b64 s[6:7], s[6:7]
	v_mov_b32_e32 v10, s10
	s_xor_b64 exec, exec, s[6:7]
	s_cbranch_execz .LBB46_850
.LBB46_2900:
	v_cmp_ne_u16_e32 vcc, 0, v11
	s_andn2_b64 s[4:5], s[4:5], exec
	s_and_b64 s[8:9], vcc, exec
	v_mov_b32_e32 v10, 0
	s_or_b64 s[4:5], s[4:5], s[8:9]
	s_or_b64 exec, exec, s[6:7]
	s_and_saveexec_b64 s[6:7], s[4:5]
	s_cbranch_execnz .LBB46_851
	s_branch .LBB46_852
.LBB46_2901:
	s_movk_i32 s4, 0x80
	v_cmp_eq_u16_e32 vcc, s4, v11
	s_mov_b64 s[4:5], -1
                                        ; implicit-def: $sgpr10
	s_and_saveexec_b64 s[8:9], vcc
; %bb.2902:
	s_mov_b32 s10, 0x7f800001
	s_xor_b64 s[4:5], exec, -1
; %bb.2903:
	s_or_b64 exec, exec, s[8:9]
	s_and_b64 s[4:5], s[4:5], exec
                                        ; implicit-def: $vgpr11
	s_or_saveexec_b64 s[6:7], s[6:7]
	v_mov_b32_e32 v14, s10
	s_xor_b64 exec, exec, s[6:7]
	s_cbranch_execz .LBB46_854
.LBB46_2904:
	v_cmp_ne_u16_e32 vcc, 0, v11
	s_andn2_b64 s[4:5], s[4:5], exec
	s_and_b64 s[8:9], vcc, exec
	v_mov_b32_e32 v14, 0
	s_or_b64 s[4:5], s[4:5], s[8:9]
	s_or_b64 exec, exec, s[6:7]
	s_and_saveexec_b64 s[6:7], s[4:5]
	s_cbranch_execnz .LBB46_855
	s_branch .LBB46_856
.LBB46_2905:
	s_movk_i32 s4, 0x80
	v_cmp_eq_u16_sdwa s[12:13], v16, s4 src0_sel:BYTE_3 src1_sel:DWORD
	s_mov_b64 s[4:5], -1
                                        ; implicit-def: $sgpr10
	s_and_saveexec_b64 s[8:9], s[12:13]
; %bb.2906:
	s_mov_b32 s10, 0x7f800001
	s_xor_b64 s[4:5], exec, -1
; %bb.2907:
	s_or_b64 exec, exec, s[8:9]
	s_and_b64 s[4:5], s[4:5], exec
	s_or_saveexec_b64 s[6:7], s[6:7]
	v_mov_b32_e32 v10, s10
	s_xor_b64 exec, exec, s[6:7]
	s_cbranch_execz .LBB46_858
.LBB46_2908:
	v_mov_b32_e32 v10, 0
	v_cmp_ne_u16_sdwa s[8:9], v16, v10 src0_sel:BYTE_3 src1_sel:DWORD
	s_andn2_b64 s[4:5], s[4:5], exec
	s_and_b64 s[8:9], s[8:9], exec
	s_or_b64 s[4:5], s[4:5], s[8:9]
	s_or_b64 exec, exec, s[6:7]
	s_and_saveexec_b64 s[6:7], s[4:5]
	s_cbranch_execnz .LBB46_859
	s_branch .LBB46_860
.LBB46_2909:
	s_movk_i32 s4, 0x80
	v_cmp_eq_u16_sdwa s[12:13], v12, s4 src0_sel:BYTE_3 src1_sel:DWORD
	s_mov_b64 s[4:5], -1
                                        ; implicit-def: $sgpr10
	s_and_saveexec_b64 s[8:9], s[12:13]
; %bb.2910:
	s_mov_b32 s10, 0x7f800001
	s_xor_b64 s[4:5], exec, -1
; %bb.2911:
	s_or_b64 exec, exec, s[8:9]
	s_and_b64 s[4:5], s[4:5], exec
	s_or_saveexec_b64 s[6:7], s[6:7]
	v_mov_b32_e32 v11, s10
	s_xor_b64 exec, exec, s[6:7]
	s_cbranch_execz .LBB46_862
.LBB46_2912:
	v_mov_b32_e32 v11, 0
	v_cmp_ne_u16_sdwa s[8:9], v12, v11 src0_sel:BYTE_3 src1_sel:DWORD
	s_andn2_b64 s[4:5], s[4:5], exec
	s_and_b64 s[8:9], s[8:9], exec
	s_or_b64 s[4:5], s[4:5], s[8:9]
	s_or_b64 exec, exec, s[6:7]
	s_and_saveexec_b64 s[6:7], s[4:5]
	s_cbranch_execnz .LBB46_863
	s_branch .LBB46_864
.LBB46_2913:
	s_movk_i32 s4, 0x80
	v_cmp_eq_u16_sdwa s[12:13], v17, s4 src0_sel:BYTE_0 src1_sel:DWORD
	s_mov_b64 s[4:5], -1
                                        ; implicit-def: $sgpr10
	s_and_saveexec_b64 s[8:9], s[12:13]
; %bb.2914:
	s_mov_b32 s10, 0x7f800001
	s_xor_b64 s[4:5], exec, -1
; %bb.2915:
	s_or_b64 exec, exec, s[8:9]
	s_and_b64 s[4:5], s[4:5], exec
	s_or_saveexec_b64 s[6:7], s[6:7]
	v_mov_b32_e32 v10, s10
	s_xor_b64 exec, exec, s[6:7]
	s_cbranch_execz .LBB46_866
.LBB46_2916:
	v_mov_b32_e32 v10, 0
	v_cmp_ne_u16_sdwa s[8:9], v17, v10 src0_sel:BYTE_0 src1_sel:DWORD
	s_andn2_b64 s[4:5], s[4:5], exec
	s_and_b64 s[8:9], s[8:9], exec
	s_or_b64 s[4:5], s[4:5], s[8:9]
	s_or_b64 exec, exec, s[6:7]
	s_and_saveexec_b64 s[6:7], s[4:5]
	s_cbranch_execnz .LBB46_867
	s_branch .LBB46_868
.LBB46_2917:
	s_movk_i32 s4, 0x80
	v_cmp_eq_u16_sdwa s[12:13], v13, s4 src0_sel:BYTE_0 src1_sel:DWORD
	s_mov_b64 s[4:5], -1
                                        ; implicit-def: $sgpr10
	s_and_saveexec_b64 s[8:9], s[12:13]
; %bb.2918:
	s_mov_b32 s10, 0x7f800001
	s_xor_b64 s[4:5], exec, -1
; %bb.2919:
	s_or_b64 exec, exec, s[8:9]
	s_and_b64 s[4:5], s[4:5], exec
	s_or_saveexec_b64 s[6:7], s[6:7]
	v_mov_b32_e32 v11, s10
	s_xor_b64 exec, exec, s[6:7]
	s_cbranch_execz .LBB46_870
.LBB46_2920:
	v_mov_b32_e32 v11, 0
	v_cmp_ne_u16_sdwa s[8:9], v13, v11 src0_sel:BYTE_0 src1_sel:DWORD
	s_andn2_b64 s[4:5], s[4:5], exec
	s_and_b64 s[8:9], s[8:9], exec
	s_or_b64 s[4:5], s[4:5], s[8:9]
	s_or_b64 exec, exec, s[6:7]
	s_and_saveexec_b64 s[6:7], s[4:5]
	s_cbranch_execnz .LBB46_871
	s_branch .LBB46_872
.LBB46_2921:
	s_movk_i32 s4, 0x80
	v_cmp_eq_u16_sdwa s[12:13], v11, s4 src0_sel:BYTE_0 src1_sel:DWORD
	s_mov_b64 s[4:5], -1
                                        ; implicit-def: $sgpr10
	s_and_saveexec_b64 s[8:9], s[12:13]
; %bb.2922:
	s_mov_b32 s10, 0x7f800001
	s_xor_b64 s[4:5], exec, -1
; %bb.2923:
	s_or_b64 exec, exec, s[8:9]
	s_and_b64 s[4:5], s[4:5], exec
	s_or_saveexec_b64 s[6:7], s[6:7]
	v_mov_b32_e32 v10, s10
	s_xor_b64 exec, exec, s[6:7]
	s_cbranch_execz .LBB46_874
.LBB46_2924:
	v_mov_b32_e32 v10, 0
	v_cmp_ne_u16_sdwa s[8:9], v11, v10 src0_sel:BYTE_0 src1_sel:DWORD
	s_andn2_b64 s[4:5], s[4:5], exec
	s_and_b64 s[8:9], s[8:9], exec
	s_or_b64 s[4:5], s[4:5], s[8:9]
	s_or_b64 exec, exec, s[6:7]
	s_and_saveexec_b64 s[6:7], s[4:5]
	s_cbranch_execnz .LBB46_875
	s_branch .LBB46_876
.LBB46_2925:
	s_movk_i32 s4, 0x80
	v_cmp_eq_u16_sdwa s[12:13], v11, s4 src0_sel:BYTE_0 src1_sel:DWORD
	s_mov_b64 s[4:5], -1
                                        ; implicit-def: $sgpr10
	s_and_saveexec_b64 s[8:9], s[12:13]
; %bb.2926:
	s_mov_b32 s10, 0x7f800001
	s_xor_b64 s[4:5], exec, -1
; %bb.2927:
	s_or_b64 exec, exec, s[8:9]
	s_and_b64 s[4:5], s[4:5], exec
	s_or_saveexec_b64 s[6:7], s[6:7]
	v_mov_b32_e32 v12, s10
	s_xor_b64 exec, exec, s[6:7]
	s_cbranch_execz .LBB46_878
.LBB46_2928:
	v_mov_b32_e32 v12, 0
	v_cmp_ne_u16_sdwa s[8:9], v11, v12 src0_sel:BYTE_0 src1_sel:DWORD
	s_andn2_b64 s[4:5], s[4:5], exec
	s_and_b64 s[8:9], s[8:9], exec
	s_or_b64 s[4:5], s[4:5], s[8:9]
	s_or_b64 exec, exec, s[6:7]
	s_and_saveexec_b64 s[6:7], s[4:5]
	s_cbranch_execnz .LBB46_879
	s_branch .LBB46_880
.LBB46_2929:
	s_movk_i32 s4, 0x80
	v_cmp_eq_u16_e32 vcc, s4, v11
	s_mov_b64 s[4:5], -1
                                        ; implicit-def: $sgpr10
	s_and_saveexec_b64 s[8:9], vcc
; %bb.2930:
	s_mov_b32 s10, 0x7f800001
	s_xor_b64 s[4:5], exec, -1
; %bb.2931:
	s_or_b64 exec, exec, s[8:9]
	s_and_b64 s[4:5], s[4:5], exec
                                        ; implicit-def: $vgpr11
	s_or_saveexec_b64 s[6:7], s[6:7]
	v_mov_b32_e32 v10, s10
	s_xor_b64 exec, exec, s[6:7]
	s_cbranch_execz .LBB46_882
.LBB46_2932:
	v_cmp_ne_u16_e32 vcc, 0, v11
	s_andn2_b64 s[4:5], s[4:5], exec
	s_and_b64 s[8:9], vcc, exec
	v_mov_b32_e32 v10, 0
	s_or_b64 s[4:5], s[4:5], s[8:9]
	s_or_b64 exec, exec, s[6:7]
	s_and_saveexec_b64 s[6:7], s[4:5]
	s_cbranch_execnz .LBB46_883
	s_branch .LBB46_884
.LBB46_2933:
	s_movk_i32 s4, 0x80
	v_cmp_eq_u16_e32 vcc, s4, v11
	s_mov_b64 s[4:5], -1
                                        ; implicit-def: $sgpr10
	s_and_saveexec_b64 s[8:9], vcc
; %bb.2934:
	s_mov_b32 s10, 0x7f800001
	s_xor_b64 s[4:5], exec, -1
; %bb.2935:
	s_or_b64 exec, exec, s[8:9]
	s_and_b64 s[4:5], s[4:5], exec
                                        ; implicit-def: $vgpr11
	s_or_saveexec_b64 s[6:7], s[6:7]
	v_mov_b32_e32 v12, s10
	s_xor_b64 exec, exec, s[6:7]
	s_cbranch_execz .LBB46_886
.LBB46_2936:
	v_cmp_ne_u16_e32 vcc, 0, v11
	s_andn2_b64 s[4:5], s[4:5], exec
	s_and_b64 s[8:9], vcc, exec
	v_mov_b32_e32 v12, 0
	s_or_b64 s[4:5], s[4:5], s[8:9]
	s_or_b64 exec, exec, s[6:7]
	s_and_saveexec_b64 s[6:7], s[4:5]
	s_cbranch_execnz .LBB46_887
	s_branch .LBB46_888
.LBB46_2937:
	s_movk_i32 s4, 0x80
	v_cmp_eq_u16_sdwa s[12:13], v17, s4 src0_sel:BYTE_3 src1_sel:DWORD
	s_mov_b64 s[4:5], -1
                                        ; implicit-def: $sgpr10
	s_and_saveexec_b64 s[8:9], s[12:13]
; %bb.2938:
	s_mov_b32 s10, 0x7f800001
	s_xor_b64 s[4:5], exec, -1
; %bb.2939:
	s_or_b64 exec, exec, s[8:9]
	s_and_b64 s[4:5], s[4:5], exec
	s_or_saveexec_b64 s[6:7], s[6:7]
	v_mov_b32_e32 v10, s10
	s_xor_b64 exec, exec, s[6:7]
	s_cbranch_execz .LBB46_890
.LBB46_2940:
	v_mov_b32_e32 v10, 0
	v_cmp_ne_u16_sdwa s[8:9], v17, v10 src0_sel:BYTE_3 src1_sel:DWORD
	s_andn2_b64 s[4:5], s[4:5], exec
	s_and_b64 s[8:9], s[8:9], exec
	s_or_b64 s[4:5], s[4:5], s[8:9]
	s_or_b64 exec, exec, s[6:7]
	s_and_saveexec_b64 s[6:7], s[4:5]
	s_cbranch_execnz .LBB46_891
	s_branch .LBB46_892
.LBB46_2941:
	s_movk_i32 s4, 0x80
	v_cmp_eq_u16_sdwa s[12:13], v13, s4 src0_sel:BYTE_3 src1_sel:DWORD
	s_mov_b64 s[4:5], -1
                                        ; implicit-def: $sgpr10
	s_and_saveexec_b64 s[8:9], s[12:13]
; %bb.2942:
	s_mov_b32 s10, 0x7f800001
	s_xor_b64 s[4:5], exec, -1
; %bb.2943:
	s_or_b64 exec, exec, s[8:9]
	s_and_b64 s[4:5], s[4:5], exec
	s_or_saveexec_b64 s[6:7], s[6:7]
	v_mov_b32_e32 v11, s10
	s_xor_b64 exec, exec, s[6:7]
	s_cbranch_execz .LBB46_894
.LBB46_2944:
	v_mov_b32_e32 v11, 0
	v_cmp_ne_u16_sdwa s[8:9], v13, v11 src0_sel:BYTE_3 src1_sel:DWORD
	s_andn2_b64 s[4:5], s[4:5], exec
	s_and_b64 s[8:9], s[8:9], exec
	s_or_b64 s[4:5], s[4:5], s[8:9]
	s_or_b64 exec, exec, s[6:7]
	s_and_saveexec_b64 s[6:7], s[4:5]
	s_cbranch_execnz .LBB46_895
	s_branch .LBB46_896
.LBB46_2945:
	s_movk_i32 s4, 0x80
	v_cmp_eq_u16_sdwa s[12:13], v6, s4 src0_sel:BYTE_0 src1_sel:DWORD
	s_mov_b64 s[4:5], -1
                                        ; implicit-def: $sgpr10
	s_and_saveexec_b64 s[8:9], s[12:13]
; %bb.2946:
	s_mov_b32 s10, 0x7f800001
	s_xor_b64 s[4:5], exec, -1
; %bb.2947:
	s_or_b64 exec, exec, s[8:9]
	s_and_b64 s[4:5], s[4:5], exec
	s_or_saveexec_b64 s[6:7], s[6:7]
	v_mov_b32_e32 v10, s10
	s_xor_b64 exec, exec, s[6:7]
	s_cbranch_execz .LBB46_898
.LBB46_2948:
	v_mov_b32_e32 v10, 0
	v_cmp_ne_u16_sdwa s[8:9], v6, v10 src0_sel:BYTE_0 src1_sel:DWORD
	s_andn2_b64 s[4:5], s[4:5], exec
	s_and_b64 s[8:9], s[8:9], exec
	s_or_b64 s[4:5], s[4:5], s[8:9]
	s_or_b64 exec, exec, s[6:7]
	s_and_saveexec_b64 s[6:7], s[4:5]
	s_cbranch_execnz .LBB46_899
	s_branch .LBB46_900
.LBB46_2949:
	s_movk_i32 s4, 0x80
	v_cmp_eq_u16_sdwa s[12:13], v2, s4 src0_sel:BYTE_0 src1_sel:DWORD
	s_mov_b64 s[4:5], -1
                                        ; implicit-def: $sgpr10
	s_and_saveexec_b64 s[8:9], s[12:13]
; %bb.2950:
	s_mov_b32 s10, 0x7f800001
	s_xor_b64 s[4:5], exec, -1
; %bb.2951:
	s_or_b64 exec, exec, s[8:9]
	s_and_b64 s[4:5], s[4:5], exec
	s_or_saveexec_b64 s[6:7], s[6:7]
	v_mov_b32_e32 v11, s10
	s_xor_b64 exec, exec, s[6:7]
	s_cbranch_execz .LBB46_902
.LBB46_2952:
	v_mov_b32_e32 v11, 0
	v_cmp_ne_u16_sdwa s[8:9], v2, v11 src0_sel:BYTE_0 src1_sel:DWORD
	s_andn2_b64 s[4:5], s[4:5], exec
	s_and_b64 s[8:9], s[8:9], exec
	s_or_b64 s[4:5], s[4:5], s[8:9]
	s_or_b64 exec, exec, s[6:7]
	s_and_saveexec_b64 s[6:7], s[4:5]
	s_cbranch_execnz .LBB46_903
	s_branch .LBB46_904
.LBB46_2953:
	s_movk_i32 s4, 0x80
	v_cmp_eq_u16_sdwa s[12:13], v11, s4 src0_sel:BYTE_0 src1_sel:DWORD
	s_mov_b64 s[4:5], -1
                                        ; implicit-def: $sgpr10
	s_and_saveexec_b64 s[8:9], s[12:13]
; %bb.2954:
	s_mov_b32 s10, 0x7f800001
	s_xor_b64 s[4:5], exec, -1
; %bb.2955:
	s_or_b64 exec, exec, s[8:9]
	s_and_b64 s[4:5], s[4:5], exec
	s_or_saveexec_b64 s[6:7], s[6:7]
	v_mov_b32_e32 v10, s10
	s_xor_b64 exec, exec, s[6:7]
	s_cbranch_execz .LBB46_906
.LBB46_2956:
	v_mov_b32_e32 v10, 0
	v_cmp_ne_u16_sdwa s[8:9], v11, v10 src0_sel:BYTE_0 src1_sel:DWORD
	s_andn2_b64 s[4:5], s[4:5], exec
	s_and_b64 s[8:9], s[8:9], exec
	s_or_b64 s[4:5], s[4:5], s[8:9]
	s_or_b64 exec, exec, s[6:7]
	s_and_saveexec_b64 s[6:7], s[4:5]
	s_cbranch_execnz .LBB46_907
	s_branch .LBB46_908
.LBB46_2957:
	s_movk_i32 s4, 0x80
	v_cmp_eq_u16_sdwa s[12:13], v11, s4 src0_sel:BYTE_0 src1_sel:DWORD
	s_mov_b64 s[4:5], -1
                                        ; implicit-def: $sgpr10
	s_and_saveexec_b64 s[8:9], s[12:13]
; %bb.2958:
	s_mov_b32 s10, 0x7f800001
	s_xor_b64 s[4:5], exec, -1
; %bb.2959:
	s_or_b64 exec, exec, s[8:9]
	s_and_b64 s[4:5], s[4:5], exec
	s_or_saveexec_b64 s[6:7], s[6:7]
	v_mov_b32_e32 v12, s10
	s_xor_b64 exec, exec, s[6:7]
	s_cbranch_execz .LBB46_910
.LBB46_2960:
	v_mov_b32_e32 v12, 0
	v_cmp_ne_u16_sdwa s[8:9], v11, v12 src0_sel:BYTE_0 src1_sel:DWORD
	s_andn2_b64 s[4:5], s[4:5], exec
	s_and_b64 s[8:9], s[8:9], exec
	s_or_b64 s[4:5], s[4:5], s[8:9]
	s_or_b64 exec, exec, s[6:7]
	s_and_saveexec_b64 s[6:7], s[4:5]
	s_cbranch_execnz .LBB46_911
	s_branch .LBB46_912
.LBB46_2961:
	s_movk_i32 s4, 0x80
	v_cmp_eq_u16_e32 vcc, s4, v11
	s_mov_b64 s[4:5], -1
                                        ; implicit-def: $sgpr10
	s_and_saveexec_b64 s[8:9], vcc
; %bb.2962:
	s_mov_b32 s10, 0x7f800001
	s_xor_b64 s[4:5], exec, -1
; %bb.2963:
	s_or_b64 exec, exec, s[8:9]
	s_and_b64 s[4:5], s[4:5], exec
                                        ; implicit-def: $vgpr11
	s_or_saveexec_b64 s[6:7], s[6:7]
	v_mov_b32_e32 v10, s10
	s_xor_b64 exec, exec, s[6:7]
	s_cbranch_execz .LBB46_914
.LBB46_2964:
	v_cmp_ne_u16_e32 vcc, 0, v11
	s_andn2_b64 s[4:5], s[4:5], exec
	s_and_b64 s[8:9], vcc, exec
	v_mov_b32_e32 v10, 0
	s_or_b64 s[4:5], s[4:5], s[8:9]
	s_or_b64 exec, exec, s[6:7]
	s_and_saveexec_b64 s[6:7], s[4:5]
	s_cbranch_execnz .LBB46_915
	s_branch .LBB46_916
.LBB46_2965:
	s_movk_i32 s4, 0x80
	v_cmp_eq_u16_e32 vcc, s4, v11
	s_mov_b64 s[4:5], -1
                                        ; implicit-def: $sgpr10
	s_and_saveexec_b64 s[8:9], vcc
; %bb.2966:
	s_mov_b32 s10, 0x7f800001
	s_xor_b64 s[4:5], exec, -1
; %bb.2967:
	s_or_b64 exec, exec, s[8:9]
	s_and_b64 s[4:5], s[4:5], exec
                                        ; implicit-def: $vgpr11
	s_or_saveexec_b64 s[6:7], s[6:7]
	v_mov_b32_e32 v12, s10
	s_xor_b64 exec, exec, s[6:7]
	s_cbranch_execz .LBB46_918
.LBB46_2968:
	v_cmp_ne_u16_e32 vcc, 0, v11
	s_andn2_b64 s[4:5], s[4:5], exec
	s_and_b64 s[8:9], vcc, exec
	v_mov_b32_e32 v12, 0
	s_or_b64 s[4:5], s[4:5], s[8:9]
	s_or_b64 exec, exec, s[6:7]
	s_and_saveexec_b64 s[6:7], s[4:5]
	s_cbranch_execnz .LBB46_919
	s_branch .LBB46_920
.LBB46_2969:
	s_movk_i32 s4, 0x80
	v_cmp_eq_u16_sdwa s[12:13], v6, s4 src0_sel:BYTE_3 src1_sel:DWORD
	s_mov_b64 s[4:5], -1
                                        ; implicit-def: $sgpr10
	s_and_saveexec_b64 s[8:9], s[12:13]
; %bb.2970:
	s_mov_b32 s10, 0x7f800001
	s_xor_b64 s[4:5], exec, -1
; %bb.2971:
	s_or_b64 exec, exec, s[8:9]
	s_and_b64 s[4:5], s[4:5], exec
	s_or_saveexec_b64 s[6:7], s[6:7]
	v_mov_b32_e32 v10, s10
	s_xor_b64 exec, exec, s[6:7]
	s_cbranch_execz .LBB46_922
.LBB46_2972:
	v_mov_b32_e32 v10, 0
	v_cmp_ne_u16_sdwa s[8:9], v6, v10 src0_sel:BYTE_3 src1_sel:DWORD
	s_andn2_b64 s[4:5], s[4:5], exec
	s_and_b64 s[8:9], s[8:9], exec
	s_or_b64 s[4:5], s[4:5], s[8:9]
	s_or_b64 exec, exec, s[6:7]
	s_and_saveexec_b64 s[6:7], s[4:5]
	s_cbranch_execnz .LBB46_923
	s_branch .LBB46_924
.LBB46_2973:
	s_movk_i32 s4, 0x80
	v_cmp_eq_u16_sdwa s[12:13], v2, s4 src0_sel:BYTE_3 src1_sel:DWORD
	s_mov_b64 s[4:5], -1
                                        ; implicit-def: $sgpr10
	s_and_saveexec_b64 s[8:9], s[12:13]
; %bb.2974:
	s_mov_b32 s10, 0x7f800001
	s_xor_b64 s[4:5], exec, -1
; %bb.2975:
	s_or_b64 exec, exec, s[8:9]
	s_and_b64 s[4:5], s[4:5], exec
	s_or_saveexec_b64 s[6:7], s[6:7]
	v_mov_b32_e32 v6, s10
	s_xor_b64 exec, exec, s[6:7]
	s_cbranch_execz .LBB46_926
.LBB46_2976:
	v_mov_b32_e32 v6, 0
	v_cmp_ne_u16_sdwa s[8:9], v2, v6 src0_sel:BYTE_3 src1_sel:DWORD
	s_andn2_b64 s[4:5], s[4:5], exec
	s_and_b64 s[8:9], s[8:9], exec
	s_or_b64 s[4:5], s[4:5], s[8:9]
	s_or_b64 exec, exec, s[6:7]
	s_and_saveexec_b64 s[6:7], s[4:5]
	s_cbranch_execnz .LBB46_927
	s_branch .LBB46_928
.LBB46_2977:
	s_movk_i32 s4, 0x80
	v_cmp_eq_u16_sdwa s[12:13], v7, s4 src0_sel:BYTE_0 src1_sel:DWORD
	s_mov_b64 s[4:5], -1
                                        ; implicit-def: $sgpr10
	s_and_saveexec_b64 s[8:9], s[12:13]
; %bb.2978:
	s_mov_b32 s10, 0x7f800001
	s_xor_b64 s[4:5], exec, -1
; %bb.2979:
	s_or_b64 exec, exec, s[8:9]
	s_and_b64 s[4:5], s[4:5], exec
	s_or_saveexec_b64 s[6:7], s[6:7]
	v_mov_b32_e32 v2, s10
	s_xor_b64 exec, exec, s[6:7]
	s_cbranch_execz .LBB46_930
.LBB46_2980:
	v_mov_b32_e32 v2, 0
	v_cmp_ne_u16_sdwa s[8:9], v7, v2 src0_sel:BYTE_0 src1_sel:DWORD
	s_andn2_b64 s[4:5], s[4:5], exec
	s_and_b64 s[8:9], s[8:9], exec
	s_or_b64 s[4:5], s[4:5], s[8:9]
	s_or_b64 exec, exec, s[6:7]
	s_and_saveexec_b64 s[6:7], s[4:5]
	s_cbranch_execnz .LBB46_931
	s_branch .LBB46_932
.LBB46_2981:
	s_movk_i32 s4, 0x80
	v_cmp_eq_u16_sdwa s[12:13], v3, s4 src0_sel:BYTE_0 src1_sel:DWORD
	s_mov_b64 s[4:5], -1
                                        ; implicit-def: $sgpr10
	s_and_saveexec_b64 s[8:9], s[12:13]
; %bb.2982:
	s_mov_b32 s10, 0x7f800001
	s_xor_b64 s[4:5], exec, -1
; %bb.2983:
	s_or_b64 exec, exec, s[8:9]
	s_and_b64 s[4:5], s[4:5], exec
	s_or_saveexec_b64 s[6:7], s[6:7]
	v_mov_b32_e32 v6, s10
	s_xor_b64 exec, exec, s[6:7]
	s_cbranch_execz .LBB46_934
.LBB46_2984:
	v_mov_b32_e32 v6, 0
	v_cmp_ne_u16_sdwa s[8:9], v3, v6 src0_sel:BYTE_0 src1_sel:DWORD
	s_andn2_b64 s[4:5], s[4:5], exec
	s_and_b64 s[8:9], s[8:9], exec
	s_or_b64 s[4:5], s[4:5], s[8:9]
	s_or_b64 exec, exec, s[6:7]
	s_and_saveexec_b64 s[6:7], s[4:5]
	s_cbranch_execnz .LBB46_935
	s_branch .LBB46_936
.LBB46_2985:
	s_movk_i32 s4, 0x80
	v_cmp_eq_u16_sdwa s[12:13], v6, s4 src0_sel:BYTE_0 src1_sel:DWORD
	s_mov_b64 s[4:5], -1
                                        ; implicit-def: $sgpr10
	s_and_saveexec_b64 s[8:9], s[12:13]
; %bb.2986:
	s_mov_b32 s10, 0x7f800001
	s_xor_b64 s[4:5], exec, -1
; %bb.2987:
	s_or_b64 exec, exec, s[8:9]
	s_and_b64 s[4:5], s[4:5], exec
	s_or_saveexec_b64 s[6:7], s[6:7]
	v_mov_b32_e32 v2, s10
	s_xor_b64 exec, exec, s[6:7]
	s_cbranch_execz .LBB46_938
.LBB46_2988:
	v_mov_b32_e32 v2, 0
	v_cmp_ne_u16_sdwa s[8:9], v6, v2 src0_sel:BYTE_0 src1_sel:DWORD
	s_andn2_b64 s[4:5], s[4:5], exec
	s_and_b64 s[8:9], s[8:9], exec
	s_or_b64 s[4:5], s[4:5], s[8:9]
	s_or_b64 exec, exec, s[6:7]
	s_and_saveexec_b64 s[6:7], s[4:5]
	s_cbranch_execnz .LBB46_939
	s_branch .LBB46_940
.LBB46_2989:
	s_movk_i32 s4, 0x80
	v_cmp_eq_u16_sdwa s[12:13], v6, s4 src0_sel:BYTE_0 src1_sel:DWORD
	s_mov_b64 s[4:5], -1
                                        ; implicit-def: $sgpr10
	s_and_saveexec_b64 s[8:9], s[12:13]
; %bb.2990:
	s_mov_b32 s10, 0x7f800001
	s_xor_b64 s[4:5], exec, -1
; %bb.2991:
	s_or_b64 exec, exec, s[8:9]
	s_and_b64 s[4:5], s[4:5], exec
	s_or_saveexec_b64 s[6:7], s[6:7]
	v_mov_b32_e32 v10, s10
	s_xor_b64 exec, exec, s[6:7]
	s_cbranch_execz .LBB46_942
.LBB46_2992:
	v_mov_b32_e32 v10, 0
	v_cmp_ne_u16_sdwa s[8:9], v6, v10 src0_sel:BYTE_0 src1_sel:DWORD
	s_andn2_b64 s[4:5], s[4:5], exec
	s_and_b64 s[8:9], s[8:9], exec
	s_or_b64 s[4:5], s[4:5], s[8:9]
	s_or_b64 exec, exec, s[6:7]
	s_and_saveexec_b64 s[6:7], s[4:5]
	s_cbranch_execnz .LBB46_943
	s_branch .LBB46_944
.LBB46_2993:
	s_movk_i32 s4, 0x80
	v_cmp_eq_u16_e32 vcc, s4, v6
	s_mov_b64 s[4:5], -1
                                        ; implicit-def: $sgpr10
	s_and_saveexec_b64 s[8:9], vcc
; %bb.2994:
	s_mov_b32 s10, 0x7f800001
	s_xor_b64 s[4:5], exec, -1
; %bb.2995:
	s_or_b64 exec, exec, s[8:9]
	s_and_b64 s[4:5], s[4:5], exec
                                        ; implicit-def: $vgpr6
	s_or_saveexec_b64 s[6:7], s[6:7]
	v_mov_b32_e32 v2, s10
	s_xor_b64 exec, exec, s[6:7]
	s_cbranch_execz .LBB46_946
.LBB46_2996:
	v_cmp_ne_u16_e32 vcc, 0, v6
	s_andn2_b64 s[4:5], s[4:5], exec
	s_and_b64 s[8:9], vcc, exec
	v_mov_b32_e32 v2, 0
	s_or_b64 s[4:5], s[4:5], s[8:9]
	s_or_b64 exec, exec, s[6:7]
	s_and_saveexec_b64 s[6:7], s[4:5]
	s_cbranch_execnz .LBB46_947
	s_branch .LBB46_948
.LBB46_2997:
	s_movk_i32 s4, 0x80
	v_cmp_eq_u16_e32 vcc, s4, v6
	s_mov_b64 s[4:5], -1
                                        ; implicit-def: $sgpr10
	s_and_saveexec_b64 s[8:9], vcc
; %bb.2998:
	s_mov_b32 s10, 0x7f800001
	s_xor_b64 s[4:5], exec, -1
; %bb.2999:
	s_or_b64 exec, exec, s[8:9]
	s_and_b64 s[4:5], s[4:5], exec
                                        ; implicit-def: $vgpr6
	s_or_saveexec_b64 s[6:7], s[6:7]
	v_mov_b32_e32 v10, s10
	s_xor_b64 exec, exec, s[6:7]
	s_cbranch_execz .LBB46_950
.LBB46_3000:
	v_cmp_ne_u16_e32 vcc, 0, v6
	s_andn2_b64 s[4:5], s[4:5], exec
	s_and_b64 s[8:9], vcc, exec
	v_mov_b32_e32 v10, 0
	s_or_b64 s[4:5], s[4:5], s[8:9]
	s_or_b64 exec, exec, s[6:7]
	s_and_saveexec_b64 s[6:7], s[4:5]
	s_cbranch_execnz .LBB46_951
	s_branch .LBB46_952
.LBB46_3001:
	s_movk_i32 s4, 0x80
	v_cmp_eq_u16_sdwa s[12:13], v7, s4 src0_sel:BYTE_3 src1_sel:DWORD
	s_mov_b64 s[4:5], -1
                                        ; implicit-def: $sgpr10
	s_and_saveexec_b64 s[8:9], s[12:13]
; %bb.3002:
	s_mov_b32 s10, 0x7f800001
	s_xor_b64 s[4:5], exec, -1
; %bb.3003:
	s_or_b64 exec, exec, s[8:9]
	s_and_b64 s[4:5], s[4:5], exec
	s_or_saveexec_b64 s[6:7], s[6:7]
	v_mov_b32_e32 v2, s10
	s_xor_b64 exec, exec, s[6:7]
	s_cbranch_execz .LBB46_954
.LBB46_3004:
	v_mov_b32_e32 v2, 0
	v_cmp_ne_u16_sdwa s[8:9], v7, v2 src0_sel:BYTE_3 src1_sel:DWORD
	s_andn2_b64 s[4:5], s[4:5], exec
	s_and_b64 s[8:9], s[8:9], exec
	s_or_b64 s[4:5], s[4:5], s[8:9]
	s_or_b64 exec, exec, s[6:7]
	s_and_saveexec_b64 s[6:7], s[4:5]
	s_cbranch_execnz .LBB46_955
	s_branch .LBB46_956
.LBB46_3005:
	s_movk_i32 s4, 0x80
	v_cmp_eq_u16_sdwa s[12:13], v3, s4 src0_sel:BYTE_3 src1_sel:DWORD
	s_mov_b64 s[4:5], -1
                                        ; implicit-def: $sgpr10
	s_and_saveexec_b64 s[8:9], s[12:13]
; %bb.3006:
	s_mov_b32 s10, 0x7f800001
	s_xor_b64 s[4:5], exec, -1
; %bb.3007:
	s_or_b64 exec, exec, s[8:9]
	s_and_b64 s[4:5], s[4:5], exec
	s_or_saveexec_b64 s[6:7], s[6:7]
	v_mov_b32_e32 v6, s10
	s_xor_b64 exec, exec, s[6:7]
	s_cbranch_execz .LBB46_958
.LBB46_3008:
	v_mov_b32_e32 v6, 0
	v_cmp_ne_u16_sdwa s[8:9], v3, v6 src0_sel:BYTE_3 src1_sel:DWORD
	s_andn2_b64 s[4:5], s[4:5], exec
	s_and_b64 s[8:9], s[8:9], exec
	s_or_b64 s[4:5], s[4:5], s[8:9]
	s_or_b64 exec, exec, s[6:7]
	s_and_saveexec_b64 s[6:7], s[4:5]
	s_cbranch_execnz .LBB46_959
	s_branch .LBB46_960
.LBB46_3009:
	s_movk_i32 s4, 0x80
	v_cmp_eq_u16_sdwa s[12:13], v8, s4 src0_sel:BYTE_0 src1_sel:DWORD
	s_mov_b64 s[4:5], -1
                                        ; implicit-def: $sgpr10
	s_and_saveexec_b64 s[8:9], s[12:13]
; %bb.3010:
	s_mov_b32 s10, 0x7f800001
	s_xor_b64 s[4:5], exec, -1
; %bb.3011:
	s_or_b64 exec, exec, s[8:9]
	s_and_b64 s[4:5], s[4:5], exec
	s_or_saveexec_b64 s[6:7], s[6:7]
	v_mov_b32_e32 v2, s10
	s_xor_b64 exec, exec, s[6:7]
	s_cbranch_execz .LBB46_962
.LBB46_3012:
	v_mov_b32_e32 v2, 0
	v_cmp_ne_u16_sdwa s[8:9], v8, v2 src0_sel:BYTE_0 src1_sel:DWORD
	s_andn2_b64 s[4:5], s[4:5], exec
	s_and_b64 s[8:9], s[8:9], exec
	s_or_b64 s[4:5], s[4:5], s[8:9]
	s_or_b64 exec, exec, s[6:7]
	s_and_saveexec_b64 s[6:7], s[4:5]
	s_cbranch_execnz .LBB46_963
	s_branch .LBB46_964
.LBB46_3013:
	s_movk_i32 s4, 0x80
	v_cmp_eq_u16_sdwa s[12:13], v4, s4 src0_sel:BYTE_0 src1_sel:DWORD
	s_mov_b64 s[4:5], -1
                                        ; implicit-def: $sgpr10
	s_and_saveexec_b64 s[8:9], s[12:13]
; %bb.3014:
	s_mov_b32 s10, 0x7f800001
	s_xor_b64 s[4:5], exec, -1
; %bb.3015:
	s_or_b64 exec, exec, s[8:9]
	s_and_b64 s[4:5], s[4:5], exec
	s_or_saveexec_b64 s[6:7], s[6:7]
	v_mov_b32_e32 v3, s10
	s_xor_b64 exec, exec, s[6:7]
	s_cbranch_execz .LBB46_966
.LBB46_3016:
	v_mov_b32_e32 v3, 0
	v_cmp_ne_u16_sdwa s[8:9], v4, v3 src0_sel:BYTE_0 src1_sel:DWORD
	s_andn2_b64 s[4:5], s[4:5], exec
	s_and_b64 s[8:9], s[8:9], exec
	s_or_b64 s[4:5], s[4:5], s[8:9]
	s_or_b64 exec, exec, s[6:7]
	s_and_saveexec_b64 s[6:7], s[4:5]
	s_cbranch_execnz .LBB46_967
	s_branch .LBB46_968
.LBB46_3017:
	s_movk_i32 s4, 0x80
	v_cmp_eq_u16_sdwa s[12:13], v3, s4 src0_sel:BYTE_0 src1_sel:DWORD
	s_mov_b64 s[4:5], -1
                                        ; implicit-def: $sgpr10
	s_and_saveexec_b64 s[8:9], s[12:13]
; %bb.3018:
	s_mov_b32 s10, 0x7f800001
	s_xor_b64 s[4:5], exec, -1
; %bb.3019:
	s_or_b64 exec, exec, s[8:9]
	s_and_b64 s[4:5], s[4:5], exec
	s_or_saveexec_b64 s[6:7], s[6:7]
	v_mov_b32_e32 v2, s10
	s_xor_b64 exec, exec, s[6:7]
	s_cbranch_execz .LBB46_970
.LBB46_3020:
	v_mov_b32_e32 v2, 0
	v_cmp_ne_u16_sdwa s[8:9], v3, v2 src0_sel:BYTE_0 src1_sel:DWORD
	s_andn2_b64 s[4:5], s[4:5], exec
	s_and_b64 s[8:9], s[8:9], exec
	s_or_b64 s[4:5], s[4:5], s[8:9]
	s_or_b64 exec, exec, s[6:7]
	s_and_saveexec_b64 s[6:7], s[4:5]
	s_cbranch_execnz .LBB46_971
	s_branch .LBB46_972
.LBB46_3021:
	s_movk_i32 s4, 0x80
	v_cmp_eq_u16_sdwa s[12:13], v3, s4 src0_sel:BYTE_0 src1_sel:DWORD
	s_mov_b64 s[4:5], -1
                                        ; implicit-def: $sgpr10
	s_and_saveexec_b64 s[8:9], s[12:13]
; %bb.3022:
	s_mov_b32 s10, 0x7f800001
	s_xor_b64 s[4:5], exec, -1
; %bb.3023:
	s_or_b64 exec, exec, s[8:9]
	s_and_b64 s[4:5], s[4:5], exec
	s_or_saveexec_b64 s[6:7], s[6:7]
	v_mov_b32_e32 v6, s10
	s_xor_b64 exec, exec, s[6:7]
	s_cbranch_execz .LBB46_974
.LBB46_3024:
	v_mov_b32_e32 v6, 0
	v_cmp_ne_u16_sdwa s[8:9], v3, v6 src0_sel:BYTE_0 src1_sel:DWORD
	s_andn2_b64 s[4:5], s[4:5], exec
	s_and_b64 s[8:9], s[8:9], exec
	s_or_b64 s[4:5], s[4:5], s[8:9]
	s_or_b64 exec, exec, s[6:7]
	s_and_saveexec_b64 s[6:7], s[4:5]
	s_cbranch_execnz .LBB46_975
	s_branch .LBB46_976
.LBB46_3025:
	s_movk_i32 s4, 0x80
	v_cmp_eq_u16_e32 vcc, s4, v3
	s_mov_b64 s[4:5], -1
                                        ; implicit-def: $sgpr10
	s_and_saveexec_b64 s[8:9], vcc
; %bb.3026:
	s_mov_b32 s10, 0x7f800001
	s_xor_b64 s[4:5], exec, -1
; %bb.3027:
	s_or_b64 exec, exec, s[8:9]
	s_and_b64 s[4:5], s[4:5], exec
                                        ; implicit-def: $vgpr3
	s_or_saveexec_b64 s[6:7], s[6:7]
	v_mov_b32_e32 v2, s10
	s_xor_b64 exec, exec, s[6:7]
	s_cbranch_execz .LBB46_978
.LBB46_3028:
	v_cmp_ne_u16_e32 vcc, 0, v3
	s_andn2_b64 s[4:5], s[4:5], exec
	s_and_b64 s[8:9], vcc, exec
	v_mov_b32_e32 v2, 0
	s_or_b64 s[4:5], s[4:5], s[8:9]
	s_or_b64 exec, exec, s[6:7]
	s_and_saveexec_b64 s[6:7], s[4:5]
	s_cbranch_execnz .LBB46_979
	s_branch .LBB46_980
.LBB46_3029:
	s_movk_i32 s4, 0x80
	v_cmp_eq_u16_e32 vcc, s4, v3
	s_mov_b64 s[4:5], -1
                                        ; implicit-def: $sgpr10
	s_and_saveexec_b64 s[8:9], vcc
; %bb.3030:
	s_mov_b32 s10, 0x7f800001
	s_xor_b64 s[4:5], exec, -1
; %bb.3031:
	s_or_b64 exec, exec, s[8:9]
	s_and_b64 s[4:5], s[4:5], exec
                                        ; implicit-def: $vgpr3
	s_or_saveexec_b64 s[6:7], s[6:7]
	v_mov_b32_e32 v6, s10
	s_xor_b64 exec, exec, s[6:7]
	s_cbranch_execz .LBB46_982
.LBB46_3032:
	v_cmp_ne_u16_e32 vcc, 0, v3
	s_andn2_b64 s[4:5], s[4:5], exec
	s_and_b64 s[8:9], vcc, exec
	v_mov_b32_e32 v6, 0
	s_or_b64 s[4:5], s[4:5], s[8:9]
	s_or_b64 exec, exec, s[6:7]
	s_and_saveexec_b64 s[6:7], s[4:5]
	s_cbranch_execnz .LBB46_983
	s_branch .LBB46_984
.LBB46_3033:
	s_movk_i32 s4, 0x80
	v_cmp_eq_u16_sdwa s[12:13], v8, s4 src0_sel:BYTE_3 src1_sel:DWORD
	s_mov_b64 s[4:5], -1
                                        ; implicit-def: $sgpr10
	s_and_saveexec_b64 s[8:9], s[12:13]
; %bb.3034:
	s_mov_b32 s10, 0x7f800001
	s_xor_b64 s[4:5], exec, -1
; %bb.3035:
	s_or_b64 exec, exec, s[8:9]
	s_and_b64 s[4:5], s[4:5], exec
	s_or_saveexec_b64 s[6:7], s[6:7]
	v_mov_b32_e32 v2, s10
	s_xor_b64 exec, exec, s[6:7]
	s_cbranch_execz .LBB46_986
.LBB46_3036:
	v_mov_b32_e32 v2, 0
	v_cmp_ne_u16_sdwa s[8:9], v8, v2 src0_sel:BYTE_3 src1_sel:DWORD
	s_andn2_b64 s[4:5], s[4:5], exec
	s_and_b64 s[8:9], s[8:9], exec
	s_or_b64 s[4:5], s[4:5], s[8:9]
	s_or_b64 exec, exec, s[6:7]
	s_and_saveexec_b64 s[6:7], s[4:5]
	s_cbranch_execnz .LBB46_987
	s_branch .LBB46_988
.LBB46_3037:
	s_movk_i32 s4, 0x80
	v_cmp_eq_u16_sdwa s[12:13], v4, s4 src0_sel:BYTE_3 src1_sel:DWORD
	s_mov_b64 s[4:5], -1
                                        ; implicit-def: $sgpr10
	s_and_saveexec_b64 s[8:9], s[12:13]
; %bb.3038:
	s_mov_b32 s10, 0x7f800001
	s_xor_b64 s[4:5], exec, -1
; %bb.3039:
	s_or_b64 exec, exec, s[8:9]
	s_and_b64 s[4:5], s[4:5], exec
	s_or_saveexec_b64 s[6:7], s[6:7]
	v_mov_b32_e32 v3, s10
	s_xor_b64 exec, exec, s[6:7]
	s_cbranch_execz .LBB46_990
.LBB46_3040:
	v_mov_b32_e32 v3, 0
	v_cmp_ne_u16_sdwa s[8:9], v4, v3 src0_sel:BYTE_3 src1_sel:DWORD
	s_andn2_b64 s[4:5], s[4:5], exec
	s_and_b64 s[8:9], s[8:9], exec
	s_or_b64 s[4:5], s[4:5], s[8:9]
	s_or_b64 exec, exec, s[6:7]
	s_and_saveexec_b64 s[6:7], s[4:5]
	s_cbranch_execnz .LBB46_991
	s_branch .LBB46_992
.LBB46_3041:
	s_movk_i32 s4, 0x80
	v_cmp_eq_u16_sdwa s[12:13], v9, s4 src0_sel:BYTE_0 src1_sel:DWORD
	s_mov_b64 s[4:5], -1
                                        ; implicit-def: $sgpr10
	s_and_saveexec_b64 s[8:9], s[12:13]
; %bb.3042:
	s_mov_b32 s10, 0x7f800001
	s_xor_b64 s[4:5], exec, -1
; %bb.3043:
	s_or_b64 exec, exec, s[8:9]
	s_and_b64 s[4:5], s[4:5], exec
	s_or_saveexec_b64 s[6:7], s[6:7]
	v_mov_b32_e32 v2, s10
	s_xor_b64 exec, exec, s[6:7]
	s_cbranch_execz .LBB46_994
.LBB46_3044:
	v_mov_b32_e32 v2, 0
	v_cmp_ne_u16_sdwa s[8:9], v9, v2 src0_sel:BYTE_0 src1_sel:DWORD
	s_andn2_b64 s[4:5], s[4:5], exec
	s_and_b64 s[8:9], s[8:9], exec
	s_or_b64 s[4:5], s[4:5], s[8:9]
	s_or_b64 exec, exec, s[6:7]
	s_and_saveexec_b64 s[6:7], s[4:5]
	s_cbranch_execnz .LBB46_995
	s_branch .LBB46_996
.LBB46_3045:
	s_movk_i32 s4, 0x80
	v_cmp_eq_u16_sdwa s[12:13], v5, s4 src0_sel:BYTE_0 src1_sel:DWORD
	s_mov_b64 s[4:5], -1
                                        ; implicit-def: $sgpr10
	s_and_saveexec_b64 s[8:9], s[12:13]
; %bb.3046:
	s_mov_b32 s10, 0x7f800001
	s_xor_b64 s[4:5], exec, -1
; %bb.3047:
	s_or_b64 exec, exec, s[8:9]
	s_and_b64 s[4:5], s[4:5], exec
	s_or_saveexec_b64 s[6:7], s[6:7]
	v_mov_b32_e32 v3, s10
	s_xor_b64 exec, exec, s[6:7]
	s_cbranch_execz .LBB46_998
.LBB46_3048:
	v_mov_b32_e32 v3, 0
	v_cmp_ne_u16_sdwa s[8:9], v5, v3 src0_sel:BYTE_0 src1_sel:DWORD
	s_andn2_b64 s[4:5], s[4:5], exec
	s_and_b64 s[8:9], s[8:9], exec
	s_or_b64 s[4:5], s[4:5], s[8:9]
	s_or_b64 exec, exec, s[6:7]
	s_and_saveexec_b64 s[6:7], s[4:5]
	s_cbranch_execnz .LBB46_999
	s_branch .LBB46_1000
.LBB46_3049:
	s_movk_i32 s4, 0x80
	v_cmp_eq_u16_sdwa s[12:13], v3, s4 src0_sel:BYTE_0 src1_sel:DWORD
	s_mov_b64 s[4:5], -1
                                        ; implicit-def: $sgpr10
	s_and_saveexec_b64 s[8:9], s[12:13]
; %bb.3050:
	s_mov_b32 s10, 0x7f800001
	s_xor_b64 s[4:5], exec, -1
; %bb.3051:
	s_or_b64 exec, exec, s[8:9]
	s_and_b64 s[4:5], s[4:5], exec
	s_or_saveexec_b64 s[6:7], s[6:7]
	v_mov_b32_e32 v2, s10
	s_xor_b64 exec, exec, s[6:7]
	s_cbranch_execz .LBB46_1002
.LBB46_3052:
	v_mov_b32_e32 v2, 0
	v_cmp_ne_u16_sdwa s[8:9], v3, v2 src0_sel:BYTE_0 src1_sel:DWORD
	s_andn2_b64 s[4:5], s[4:5], exec
	s_and_b64 s[8:9], s[8:9], exec
	s_or_b64 s[4:5], s[4:5], s[8:9]
	s_or_b64 exec, exec, s[6:7]
	s_and_saveexec_b64 s[6:7], s[4:5]
	s_cbranch_execnz .LBB46_1003
	s_branch .LBB46_1004
.LBB46_3053:
	s_movk_i32 s4, 0x80
	v_cmp_eq_u16_sdwa s[12:13], v3, s4 src0_sel:BYTE_0 src1_sel:DWORD
	s_mov_b64 s[4:5], -1
                                        ; implicit-def: $sgpr10
	s_and_saveexec_b64 s[8:9], s[12:13]
; %bb.3054:
	s_mov_b32 s10, 0x7f800001
	s_xor_b64 s[4:5], exec, -1
; %bb.3055:
	s_or_b64 exec, exec, s[8:9]
	s_and_b64 s[4:5], s[4:5], exec
	s_or_saveexec_b64 s[6:7], s[6:7]
	v_mov_b32_e32 v4, s10
	s_xor_b64 exec, exec, s[6:7]
	s_cbranch_execz .LBB46_1006
.LBB46_3056:
	v_mov_b32_e32 v4, 0
	v_cmp_ne_u16_sdwa s[8:9], v3, v4 src0_sel:BYTE_0 src1_sel:DWORD
	s_andn2_b64 s[4:5], s[4:5], exec
	s_and_b64 s[8:9], s[8:9], exec
	s_or_b64 s[4:5], s[4:5], s[8:9]
	s_or_b64 exec, exec, s[6:7]
	s_and_saveexec_b64 s[6:7], s[4:5]
	s_cbranch_execnz .LBB46_1007
	s_branch .LBB46_1008
.LBB46_3057:
	s_movk_i32 s4, 0x80
	v_cmp_eq_u16_e32 vcc, s4, v3
	s_mov_b64 s[4:5], -1
                                        ; implicit-def: $sgpr10
	s_and_saveexec_b64 s[8:9], vcc
; %bb.3058:
	s_mov_b32 s10, 0x7f800001
	s_xor_b64 s[4:5], exec, -1
; %bb.3059:
	s_or_b64 exec, exec, s[8:9]
	s_and_b64 s[4:5], s[4:5], exec
                                        ; implicit-def: $vgpr3
	s_or_saveexec_b64 s[6:7], s[6:7]
	v_mov_b32_e32 v2, s10
	s_xor_b64 exec, exec, s[6:7]
	s_cbranch_execz .LBB46_1010
.LBB46_3060:
	v_cmp_ne_u16_e32 vcc, 0, v3
	s_andn2_b64 s[4:5], s[4:5], exec
	s_and_b64 s[8:9], vcc, exec
	v_mov_b32_e32 v2, 0
	s_or_b64 s[4:5], s[4:5], s[8:9]
	s_or_b64 exec, exec, s[6:7]
	s_and_saveexec_b64 s[6:7], s[4:5]
	s_cbranch_execnz .LBB46_1011
	s_branch .LBB46_1012
.LBB46_3061:
	s_movk_i32 s4, 0x80
	v_cmp_eq_u16_e32 vcc, s4, v3
	s_mov_b64 s[4:5], -1
                                        ; implicit-def: $sgpr10
	s_and_saveexec_b64 s[8:9], vcc
; %bb.3062:
	s_mov_b32 s10, 0x7f800001
	s_xor_b64 s[4:5], exec, -1
; %bb.3063:
	s_or_b64 exec, exec, s[8:9]
	s_and_b64 s[4:5], s[4:5], exec
                                        ; implicit-def: $vgpr3
	s_or_saveexec_b64 s[6:7], s[6:7]
	v_mov_b32_e32 v4, s10
	s_xor_b64 exec, exec, s[6:7]
	s_cbranch_execz .LBB46_1014
.LBB46_3064:
	v_cmp_ne_u16_e32 vcc, 0, v3
	s_andn2_b64 s[4:5], s[4:5], exec
	s_and_b64 s[8:9], vcc, exec
	v_mov_b32_e32 v4, 0
	s_or_b64 s[4:5], s[4:5], s[8:9]
	s_or_b64 exec, exec, s[6:7]
	s_and_saveexec_b64 s[6:7], s[4:5]
	s_cbranch_execnz .LBB46_1015
	s_branch .LBB46_1016
.LBB46_3065:
	s_movk_i32 s4, 0x80
	v_cmp_eq_u16_sdwa s[12:13], v9, s4 src0_sel:BYTE_3 src1_sel:DWORD
	s_mov_b64 s[4:5], -1
                                        ; implicit-def: $sgpr10
	s_and_saveexec_b64 s[8:9], s[12:13]
; %bb.3066:
	s_mov_b32 s10, 0x7f800001
	s_xor_b64 s[4:5], exec, -1
; %bb.3067:
	s_or_b64 exec, exec, s[8:9]
	s_and_b64 s[4:5], s[4:5], exec
	s_or_saveexec_b64 s[6:7], s[6:7]
	v_mov_b32_e32 v2, s10
	s_xor_b64 exec, exec, s[6:7]
	s_cbranch_execz .LBB46_1018
.LBB46_3068:
	v_mov_b32_e32 v2, 0
	v_cmp_ne_u16_sdwa s[8:9], v9, v2 src0_sel:BYTE_3 src1_sel:DWORD
	s_andn2_b64 s[4:5], s[4:5], exec
	s_and_b64 s[8:9], s[8:9], exec
	s_or_b64 s[4:5], s[4:5], s[8:9]
	s_or_b64 exec, exec, s[6:7]
	s_and_saveexec_b64 s[6:7], s[4:5]
	s_cbranch_execnz .LBB46_1019
	s_branch .LBB46_1020
.LBB46_3069:
	s_movk_i32 s4, 0x80
	v_cmp_eq_u16_sdwa s[12:13], v5, s4 src0_sel:BYTE_3 src1_sel:DWORD
	s_mov_b64 s[4:5], -1
                                        ; implicit-def: $sgpr10
	s_and_saveexec_b64 s[8:9], s[12:13]
; %bb.3070:
	s_mov_b32 s10, 0x7f800001
	s_xor_b64 s[4:5], exec, -1
; %bb.3071:
	s_or_b64 exec, exec, s[8:9]
	s_and_b64 s[4:5], s[4:5], exec
	s_or_saveexec_b64 s[6:7], s[6:7]
	v_mov_b32_e32 v3, s10
	s_xor_b64 exec, exec, s[6:7]
	s_cbranch_execz .LBB46_1022
.LBB46_3072:
	v_mov_b32_e32 v3, 0
	v_cmp_ne_u16_sdwa s[8:9], v5, v3 src0_sel:BYTE_3 src1_sel:DWORD
	s_andn2_b64 s[4:5], s[4:5], exec
	s_and_b64 s[8:9], s[8:9], exec
	s_or_b64 s[4:5], s[4:5], s[8:9]
	s_or_b64 exec, exec, s[6:7]
	s_and_saveexec_b64 s[6:7], s[4:5]
	s_cbranch_execnz .LBB46_1023
	s_branch .LBB46_1024
.LBB46_3073:
	s_movk_i32 s4, 0x80
	v_cmp_eq_u16_sdwa s[12:13], v14, s4 src0_sel:BYTE_0 src1_sel:DWORD
	s_mov_b64 s[4:5], -1
                                        ; implicit-def: $sgpr10
	s_and_saveexec_b64 s[8:9], s[12:13]
; %bb.3074:
	s_mov_b32 s10, 0x7f800001
	s_xor_b64 s[4:5], exec, -1
; %bb.3075:
	s_or_b64 exec, exec, s[8:9]
	s_and_b64 s[4:5], s[4:5], exec
	s_or_saveexec_b64 s[6:7], s[6:7]
	v_mov_b32_e32 v20, s10
	s_xor_b64 exec, exec, s[6:7]
	s_cbranch_execz .LBB46_1026
.LBB46_3076:
	v_mov_b32_e32 v20, 0
	v_cmp_ne_u16_sdwa s[8:9], v14, v20 src0_sel:BYTE_0 src1_sel:DWORD
	s_andn2_b64 s[4:5], s[4:5], exec
	s_and_b64 s[8:9], s[8:9], exec
	s_or_b64 s[4:5], s[4:5], s[8:9]
	s_or_b64 exec, exec, s[6:7]
	s_and_saveexec_b64 s[6:7], s[4:5]
	s_cbranch_execnz .LBB46_1027
	s_branch .LBB46_1028
.LBB46_3077:
	s_movk_i32 s4, 0x80
	v_cmp_eq_u16_sdwa s[12:13], v10, s4 src0_sel:BYTE_0 src1_sel:DWORD
	s_mov_b64 s[4:5], -1
                                        ; implicit-def: $sgpr10
	s_and_saveexec_b64 s[8:9], s[12:13]
; %bb.3078:
	s_mov_b32 s10, 0x7f800001
	s_xor_b64 s[4:5], exec, -1
; %bb.3079:
	s_or_b64 exec, exec, s[8:9]
	s_and_b64 s[4:5], s[4:5], exec
	s_or_saveexec_b64 s[6:7], s[6:7]
	v_mov_b32_e32 v21, s10
	s_xor_b64 exec, exec, s[6:7]
	s_cbranch_execz .LBB46_1030
.LBB46_3080:
	v_mov_b32_e32 v21, 0
	v_cmp_ne_u16_sdwa s[8:9], v10, v21 src0_sel:BYTE_0 src1_sel:DWORD
	s_andn2_b64 s[4:5], s[4:5], exec
	s_and_b64 s[8:9], s[8:9], exec
	s_or_b64 s[4:5], s[4:5], s[8:9]
	s_or_b64 exec, exec, s[6:7]
	s_and_saveexec_b64 s[6:7], s[4:5]
	s_cbranch_execnz .LBB46_1031
	s_branch .LBB46_1032
.LBB46_3081:
	s_movk_i32 s4, 0x80
	v_cmp_eq_u16_sdwa s[12:13], v21, s4 src0_sel:BYTE_0 src1_sel:DWORD
	s_mov_b64 s[4:5], -1
                                        ; implicit-def: $sgpr10
	s_and_saveexec_b64 s[8:9], s[12:13]
; %bb.3082:
	s_mov_b32 s10, 0x7f800001
	s_xor_b64 s[4:5], exec, -1
; %bb.3083:
	s_or_b64 exec, exec, s[8:9]
	s_and_b64 s[4:5], s[4:5], exec
	s_or_saveexec_b64 s[6:7], s[6:7]
	v_mov_b32_e32 v20, s10
	s_xor_b64 exec, exec, s[6:7]
	s_cbranch_execz .LBB46_1034
.LBB46_3084:
	v_mov_b32_e32 v20, 0
	v_cmp_ne_u16_sdwa s[8:9], v21, v20 src0_sel:BYTE_0 src1_sel:DWORD
	s_andn2_b64 s[4:5], s[4:5], exec
	s_and_b64 s[8:9], s[8:9], exec
	s_or_b64 s[4:5], s[4:5], s[8:9]
	s_or_b64 exec, exec, s[6:7]
	s_and_saveexec_b64 s[6:7], s[4:5]
	s_cbranch_execnz .LBB46_1035
	s_branch .LBB46_1036
.LBB46_3085:
	s_movk_i32 s4, 0x80
	v_cmp_eq_u16_sdwa s[12:13], v21, s4 src0_sel:BYTE_0 src1_sel:DWORD
	s_mov_b64 s[4:5], -1
                                        ; implicit-def: $sgpr10
	s_and_saveexec_b64 s[8:9], s[12:13]
; %bb.3086:
	s_mov_b32 s10, 0x7f800001
	s_xor_b64 s[4:5], exec, -1
; %bb.3087:
	s_or_b64 exec, exec, s[8:9]
	s_and_b64 s[4:5], s[4:5], exec
	s_or_saveexec_b64 s[6:7], s[6:7]
	v_mov_b32_e32 v22, s10
	s_xor_b64 exec, exec, s[6:7]
	s_cbranch_execz .LBB46_1038
.LBB46_3088:
	v_mov_b32_e32 v22, 0
	v_cmp_ne_u16_sdwa s[8:9], v21, v22 src0_sel:BYTE_0 src1_sel:DWORD
	s_andn2_b64 s[4:5], s[4:5], exec
	s_and_b64 s[8:9], s[8:9], exec
	s_or_b64 s[4:5], s[4:5], s[8:9]
	s_or_b64 exec, exec, s[6:7]
	s_and_saveexec_b64 s[6:7], s[4:5]
	s_cbranch_execnz .LBB46_1039
	s_branch .LBB46_1040
.LBB46_3089:
	s_movk_i32 s4, 0x80
	v_cmp_eq_u16_e32 vcc, s4, v21
	s_mov_b64 s[4:5], -1
                                        ; implicit-def: $sgpr10
	s_and_saveexec_b64 s[8:9], vcc
; %bb.3090:
	s_mov_b32 s10, 0x7f800001
	s_xor_b64 s[4:5], exec, -1
; %bb.3091:
	s_or_b64 exec, exec, s[8:9]
	s_and_b64 s[4:5], s[4:5], exec
                                        ; implicit-def: $vgpr21
	s_or_saveexec_b64 s[6:7], s[6:7]
	v_mov_b32_e32 v20, s10
	s_xor_b64 exec, exec, s[6:7]
	s_cbranch_execz .LBB46_1042
.LBB46_3092:
	v_cmp_ne_u16_e32 vcc, 0, v21
	s_andn2_b64 s[4:5], s[4:5], exec
	s_and_b64 s[8:9], vcc, exec
	v_mov_b32_e32 v20, 0
	s_or_b64 s[4:5], s[4:5], s[8:9]
	s_or_b64 exec, exec, s[6:7]
	s_and_saveexec_b64 s[6:7], s[4:5]
	s_cbranch_execnz .LBB46_1043
	s_branch .LBB46_1044
.LBB46_3093:
	s_movk_i32 s4, 0x80
	v_cmp_eq_u16_e32 vcc, s4, v21
	s_mov_b64 s[4:5], -1
                                        ; implicit-def: $sgpr10
	s_and_saveexec_b64 s[8:9], vcc
; %bb.3094:
	s_mov_b32 s10, 0x7f800001
	s_xor_b64 s[4:5], exec, -1
; %bb.3095:
	s_or_b64 exec, exec, s[8:9]
	s_and_b64 s[4:5], s[4:5], exec
                                        ; implicit-def: $vgpr21
	s_or_saveexec_b64 s[6:7], s[6:7]
	v_mov_b32_e32 v22, s10
	s_xor_b64 exec, exec, s[6:7]
	s_cbranch_execz .LBB46_1046
.LBB46_3096:
	v_cmp_ne_u16_e32 vcc, 0, v21
	s_andn2_b64 s[4:5], s[4:5], exec
	s_and_b64 s[8:9], vcc, exec
	v_mov_b32_e32 v22, 0
	s_or_b64 s[4:5], s[4:5], s[8:9]
	s_or_b64 exec, exec, s[6:7]
	s_and_saveexec_b64 s[6:7], s[4:5]
	s_cbranch_execnz .LBB46_1047
	s_branch .LBB46_1048
.LBB46_3097:
	s_movk_i32 s4, 0x80
	v_cmp_eq_u16_sdwa s[12:13], v14, s4 src0_sel:BYTE_3 src1_sel:DWORD
	s_mov_b64 s[4:5], -1
                                        ; implicit-def: $sgpr10
	s_and_saveexec_b64 s[8:9], s[12:13]
; %bb.3098:
	s_mov_b32 s10, 0x7f800001
	s_xor_b64 s[4:5], exec, -1
; %bb.3099:
	s_or_b64 exec, exec, s[8:9]
	s_and_b64 s[4:5], s[4:5], exec
	s_or_saveexec_b64 s[6:7], s[6:7]
	v_mov_b32_e32 v20, s10
	s_xor_b64 exec, exec, s[6:7]
	s_cbranch_execz .LBB46_1050
.LBB46_3100:
	v_mov_b32_e32 v20, 0
	v_cmp_ne_u16_sdwa s[8:9], v14, v20 src0_sel:BYTE_3 src1_sel:DWORD
	s_andn2_b64 s[4:5], s[4:5], exec
	s_and_b64 s[8:9], s[8:9], exec
	s_or_b64 s[4:5], s[4:5], s[8:9]
	s_or_b64 exec, exec, s[6:7]
	s_and_saveexec_b64 s[6:7], s[4:5]
	s_cbranch_execnz .LBB46_1051
	s_branch .LBB46_1052
.LBB46_3101:
	s_movk_i32 s4, 0x80
	v_cmp_eq_u16_sdwa s[12:13], v10, s4 src0_sel:BYTE_3 src1_sel:DWORD
	s_mov_b64 s[4:5], -1
                                        ; implicit-def: $sgpr10
	s_and_saveexec_b64 s[8:9], s[12:13]
; %bb.3102:
	s_mov_b32 s10, 0x7f800001
	s_xor_b64 s[4:5], exec, -1
; %bb.3103:
	s_or_b64 exec, exec, s[8:9]
	s_and_b64 s[4:5], s[4:5], exec
	s_or_saveexec_b64 s[6:7], s[6:7]
	v_mov_b32_e32 v14, s10
	s_xor_b64 exec, exec, s[6:7]
	s_cbranch_execz .LBB46_1054
.LBB46_3104:
	v_mov_b32_e32 v14, 0
	v_cmp_ne_u16_sdwa s[8:9], v10, v14 src0_sel:BYTE_3 src1_sel:DWORD
	s_andn2_b64 s[4:5], s[4:5], exec
	s_and_b64 s[8:9], s[8:9], exec
	s_or_b64 s[4:5], s[4:5], s[8:9]
	s_or_b64 exec, exec, s[6:7]
	s_and_saveexec_b64 s[6:7], s[4:5]
	s_cbranch_execnz .LBB46_1055
	s_branch .LBB46_1056
.LBB46_3105:
	s_movk_i32 s4, 0x80
	v_cmp_eq_u16_sdwa s[12:13], v15, s4 src0_sel:BYTE_0 src1_sel:DWORD
	s_mov_b64 s[4:5], -1
                                        ; implicit-def: $sgpr10
	s_and_saveexec_b64 s[8:9], s[12:13]
; %bb.3106:
	s_mov_b32 s10, 0x7f800001
	s_xor_b64 s[4:5], exec, -1
; %bb.3107:
	s_or_b64 exec, exec, s[8:9]
	s_and_b64 s[4:5], s[4:5], exec
	s_or_saveexec_b64 s[6:7], s[6:7]
	v_mov_b32_e32 v10, s10
	s_xor_b64 exec, exec, s[6:7]
	s_cbranch_execz .LBB46_1058
.LBB46_3108:
	v_mov_b32_e32 v10, 0
	v_cmp_ne_u16_sdwa s[8:9], v15, v10 src0_sel:BYTE_0 src1_sel:DWORD
	s_andn2_b64 s[4:5], s[4:5], exec
	s_and_b64 s[8:9], s[8:9], exec
	s_or_b64 s[4:5], s[4:5], s[8:9]
	s_or_b64 exec, exec, s[6:7]
	s_and_saveexec_b64 s[6:7], s[4:5]
	s_cbranch_execnz .LBB46_1059
	s_branch .LBB46_1060
.LBB46_3109:
	s_movk_i32 s4, 0x80
	v_cmp_eq_u16_sdwa s[12:13], v11, s4 src0_sel:BYTE_0 src1_sel:DWORD
	s_mov_b64 s[4:5], -1
                                        ; implicit-def: $sgpr10
	s_and_saveexec_b64 s[8:9], s[12:13]
; %bb.3110:
	s_mov_b32 s10, 0x7f800001
	s_xor_b64 s[4:5], exec, -1
; %bb.3111:
	s_or_b64 exec, exec, s[8:9]
	s_and_b64 s[4:5], s[4:5], exec
	s_or_saveexec_b64 s[6:7], s[6:7]
	v_mov_b32_e32 v14, s10
	s_xor_b64 exec, exec, s[6:7]
	s_cbranch_execz .LBB46_1062
.LBB46_3112:
	v_mov_b32_e32 v14, 0
	v_cmp_ne_u16_sdwa s[8:9], v11, v14 src0_sel:BYTE_0 src1_sel:DWORD
	s_andn2_b64 s[4:5], s[4:5], exec
	s_and_b64 s[8:9], s[8:9], exec
	s_or_b64 s[4:5], s[4:5], s[8:9]
	s_or_b64 exec, exec, s[6:7]
	s_and_saveexec_b64 s[6:7], s[4:5]
	s_cbranch_execnz .LBB46_1063
	s_branch .LBB46_1064
.LBB46_3113:
	s_movk_i32 s4, 0x80
	v_cmp_eq_u16_sdwa s[12:13], v14, s4 src0_sel:BYTE_0 src1_sel:DWORD
	s_mov_b64 s[4:5], -1
                                        ; implicit-def: $sgpr10
	s_and_saveexec_b64 s[8:9], s[12:13]
; %bb.3114:
	s_mov_b32 s10, 0x7f800001
	s_xor_b64 s[4:5], exec, -1
; %bb.3115:
	s_or_b64 exec, exec, s[8:9]
	s_and_b64 s[4:5], s[4:5], exec
	s_or_saveexec_b64 s[6:7], s[6:7]
	v_mov_b32_e32 v10, s10
	s_xor_b64 exec, exec, s[6:7]
	s_cbranch_execz .LBB46_1066
.LBB46_3116:
	v_mov_b32_e32 v10, 0
	v_cmp_ne_u16_sdwa s[8:9], v14, v10 src0_sel:BYTE_0 src1_sel:DWORD
	s_andn2_b64 s[4:5], s[4:5], exec
	s_and_b64 s[8:9], s[8:9], exec
	s_or_b64 s[4:5], s[4:5], s[8:9]
	s_or_b64 exec, exec, s[6:7]
	s_and_saveexec_b64 s[6:7], s[4:5]
	s_cbranch_execnz .LBB46_1067
	s_branch .LBB46_1068
.LBB46_3117:
	s_movk_i32 s4, 0x80
	v_cmp_eq_u16_sdwa s[12:13], v14, s4 src0_sel:BYTE_0 src1_sel:DWORD
	s_mov_b64 s[4:5], -1
                                        ; implicit-def: $sgpr10
	s_and_saveexec_b64 s[8:9], s[12:13]
; %bb.3118:
	s_mov_b32 s10, 0x7f800001
	s_xor_b64 s[4:5], exec, -1
; %bb.3119:
	s_or_b64 exec, exec, s[8:9]
	s_and_b64 s[4:5], s[4:5], exec
	s_or_saveexec_b64 s[6:7], s[6:7]
	v_mov_b32_e32 v20, s10
	s_xor_b64 exec, exec, s[6:7]
	s_cbranch_execz .LBB46_1070
.LBB46_3120:
	v_mov_b32_e32 v20, 0
	v_cmp_ne_u16_sdwa s[8:9], v14, v20 src0_sel:BYTE_0 src1_sel:DWORD
	s_andn2_b64 s[4:5], s[4:5], exec
	s_and_b64 s[8:9], s[8:9], exec
	s_or_b64 s[4:5], s[4:5], s[8:9]
	s_or_b64 exec, exec, s[6:7]
	s_and_saveexec_b64 s[6:7], s[4:5]
	s_cbranch_execnz .LBB46_1071
	s_branch .LBB46_1072
.LBB46_3121:
	s_movk_i32 s4, 0x80
	v_cmp_eq_u16_e32 vcc, s4, v14
	s_mov_b64 s[4:5], -1
                                        ; implicit-def: $sgpr10
	s_and_saveexec_b64 s[8:9], vcc
; %bb.3122:
	s_mov_b32 s10, 0x7f800001
	s_xor_b64 s[4:5], exec, -1
; %bb.3123:
	s_or_b64 exec, exec, s[8:9]
	s_and_b64 s[4:5], s[4:5], exec
                                        ; implicit-def: $vgpr14
	s_or_saveexec_b64 s[6:7], s[6:7]
	v_mov_b32_e32 v10, s10
	s_xor_b64 exec, exec, s[6:7]
	s_cbranch_execz .LBB46_1074
.LBB46_3124:
	v_cmp_ne_u16_e32 vcc, 0, v14
	s_andn2_b64 s[4:5], s[4:5], exec
	s_and_b64 s[8:9], vcc, exec
	v_mov_b32_e32 v10, 0
	s_or_b64 s[4:5], s[4:5], s[8:9]
	s_or_b64 exec, exec, s[6:7]
	s_and_saveexec_b64 s[6:7], s[4:5]
	s_cbranch_execnz .LBB46_1075
	s_branch .LBB46_1076
.LBB46_3125:
	s_movk_i32 s4, 0x80
	v_cmp_eq_u16_e32 vcc, s4, v14
	s_mov_b64 s[4:5], -1
                                        ; implicit-def: $sgpr10
	s_and_saveexec_b64 s[8:9], vcc
; %bb.3126:
	s_mov_b32 s10, 0x7f800001
	s_xor_b64 s[4:5], exec, -1
; %bb.3127:
	s_or_b64 exec, exec, s[8:9]
	s_and_b64 s[4:5], s[4:5], exec
                                        ; implicit-def: $vgpr14
	s_or_saveexec_b64 s[6:7], s[6:7]
	v_mov_b32_e32 v20, s10
	s_xor_b64 exec, exec, s[6:7]
	s_cbranch_execz .LBB46_1078
.LBB46_3128:
	v_cmp_ne_u16_e32 vcc, 0, v14
	s_andn2_b64 s[4:5], s[4:5], exec
	s_and_b64 s[8:9], vcc, exec
	v_mov_b32_e32 v20, 0
	s_or_b64 s[4:5], s[4:5], s[8:9]
	s_or_b64 exec, exec, s[6:7]
	s_and_saveexec_b64 s[6:7], s[4:5]
	s_cbranch_execnz .LBB46_1079
	s_branch .LBB46_1080
.LBB46_3129:
	s_movk_i32 s4, 0x80
	v_cmp_eq_u16_sdwa s[12:13], v15, s4 src0_sel:BYTE_3 src1_sel:DWORD
	s_mov_b64 s[4:5], -1
                                        ; implicit-def: $sgpr10
	s_and_saveexec_b64 s[8:9], s[12:13]
; %bb.3130:
	s_mov_b32 s10, 0x7f800001
	s_xor_b64 s[4:5], exec, -1
; %bb.3131:
	s_or_b64 exec, exec, s[8:9]
	s_and_b64 s[4:5], s[4:5], exec
	s_or_saveexec_b64 s[6:7], s[6:7]
	v_mov_b32_e32 v10, s10
	s_xor_b64 exec, exec, s[6:7]
	s_cbranch_execz .LBB46_1082
.LBB46_3132:
	v_mov_b32_e32 v10, 0
	v_cmp_ne_u16_sdwa s[8:9], v15, v10 src0_sel:BYTE_3 src1_sel:DWORD
	s_andn2_b64 s[4:5], s[4:5], exec
	s_and_b64 s[8:9], s[8:9], exec
	s_or_b64 s[4:5], s[4:5], s[8:9]
	s_or_b64 exec, exec, s[6:7]
	s_and_saveexec_b64 s[6:7], s[4:5]
	s_cbranch_execnz .LBB46_1083
	s_branch .LBB46_1084
.LBB46_3133:
	s_movk_i32 s4, 0x80
	v_cmp_eq_u16_sdwa s[12:13], v11, s4 src0_sel:BYTE_3 src1_sel:DWORD
	s_mov_b64 s[4:5], -1
                                        ; implicit-def: $sgpr10
	s_and_saveexec_b64 s[8:9], s[12:13]
; %bb.3134:
	s_mov_b32 s10, 0x7f800001
	s_xor_b64 s[4:5], exec, -1
; %bb.3135:
	s_or_b64 exec, exec, s[8:9]
	s_and_b64 s[4:5], s[4:5], exec
	s_or_saveexec_b64 s[6:7], s[6:7]
	v_mov_b32_e32 v14, s10
	s_xor_b64 exec, exec, s[6:7]
	s_cbranch_execz .LBB46_1086
.LBB46_3136:
	v_mov_b32_e32 v14, 0
	v_cmp_ne_u16_sdwa s[8:9], v11, v14 src0_sel:BYTE_3 src1_sel:DWORD
	s_andn2_b64 s[4:5], s[4:5], exec
	s_and_b64 s[8:9], s[8:9], exec
	s_or_b64 s[4:5], s[4:5], s[8:9]
	s_or_b64 exec, exec, s[6:7]
	s_and_saveexec_b64 s[6:7], s[4:5]
	s_cbranch_execnz .LBB46_1087
	s_branch .LBB46_1088
.LBB46_3137:
	s_movk_i32 s4, 0x80
	v_cmp_eq_u16_sdwa s[12:13], v16, s4 src0_sel:BYTE_0 src1_sel:DWORD
	s_mov_b64 s[4:5], -1
                                        ; implicit-def: $sgpr10
	s_and_saveexec_b64 s[8:9], s[12:13]
; %bb.3138:
	s_mov_b32 s10, 0x7f800001
	s_xor_b64 s[4:5], exec, -1
; %bb.3139:
	s_or_b64 exec, exec, s[8:9]
	s_and_b64 s[4:5], s[4:5], exec
	s_or_saveexec_b64 s[6:7], s[6:7]
	v_mov_b32_e32 v10, s10
	s_xor_b64 exec, exec, s[6:7]
	s_cbranch_execz .LBB46_1090
.LBB46_3140:
	v_mov_b32_e32 v10, 0
	v_cmp_ne_u16_sdwa s[8:9], v16, v10 src0_sel:BYTE_0 src1_sel:DWORD
	s_andn2_b64 s[4:5], s[4:5], exec
	s_and_b64 s[8:9], s[8:9], exec
	s_or_b64 s[4:5], s[4:5], s[8:9]
	s_or_b64 exec, exec, s[6:7]
	s_and_saveexec_b64 s[6:7], s[4:5]
	s_cbranch_execnz .LBB46_1091
	s_branch .LBB46_1092
.LBB46_3141:
	s_movk_i32 s4, 0x80
	v_cmp_eq_u16_sdwa s[12:13], v12, s4 src0_sel:BYTE_0 src1_sel:DWORD
	s_mov_b64 s[4:5], -1
                                        ; implicit-def: $sgpr10
	s_and_saveexec_b64 s[8:9], s[12:13]
; %bb.3142:
	s_mov_b32 s10, 0x7f800001
	s_xor_b64 s[4:5], exec, -1
; %bb.3143:
	s_or_b64 exec, exec, s[8:9]
	s_and_b64 s[4:5], s[4:5], exec
	s_or_saveexec_b64 s[6:7], s[6:7]
	v_mov_b32_e32 v11, s10
	s_xor_b64 exec, exec, s[6:7]
	s_cbranch_execz .LBB46_1094
.LBB46_3144:
	v_mov_b32_e32 v11, 0
	v_cmp_ne_u16_sdwa s[8:9], v12, v11 src0_sel:BYTE_0 src1_sel:DWORD
	s_andn2_b64 s[4:5], s[4:5], exec
	s_and_b64 s[8:9], s[8:9], exec
	s_or_b64 s[4:5], s[4:5], s[8:9]
	s_or_b64 exec, exec, s[6:7]
	s_and_saveexec_b64 s[6:7], s[4:5]
	s_cbranch_execnz .LBB46_1095
	s_branch .LBB46_1096
.LBB46_3145:
	s_movk_i32 s4, 0x80
	v_cmp_eq_u16_sdwa s[12:13], v11, s4 src0_sel:BYTE_0 src1_sel:DWORD
	s_mov_b64 s[4:5], -1
                                        ; implicit-def: $sgpr10
	s_and_saveexec_b64 s[8:9], s[12:13]
; %bb.3146:
	s_mov_b32 s10, 0x7f800001
	s_xor_b64 s[4:5], exec, -1
; %bb.3147:
	s_or_b64 exec, exec, s[8:9]
	s_and_b64 s[4:5], s[4:5], exec
	s_or_saveexec_b64 s[6:7], s[6:7]
	v_mov_b32_e32 v10, s10
	s_xor_b64 exec, exec, s[6:7]
	s_cbranch_execz .LBB46_1098
.LBB46_3148:
	v_mov_b32_e32 v10, 0
	v_cmp_ne_u16_sdwa s[8:9], v11, v10 src0_sel:BYTE_0 src1_sel:DWORD
	s_andn2_b64 s[4:5], s[4:5], exec
	s_and_b64 s[8:9], s[8:9], exec
	s_or_b64 s[4:5], s[4:5], s[8:9]
	s_or_b64 exec, exec, s[6:7]
	s_and_saveexec_b64 s[6:7], s[4:5]
	s_cbranch_execnz .LBB46_1099
	s_branch .LBB46_1100
.LBB46_3149:
	s_movk_i32 s4, 0x80
	v_cmp_eq_u16_sdwa s[12:13], v11, s4 src0_sel:BYTE_0 src1_sel:DWORD
	s_mov_b64 s[4:5], -1
                                        ; implicit-def: $sgpr10
	s_and_saveexec_b64 s[8:9], s[12:13]
; %bb.3150:
	s_mov_b32 s10, 0x7f800001
	s_xor_b64 s[4:5], exec, -1
; %bb.3151:
	s_or_b64 exec, exec, s[8:9]
	s_and_b64 s[4:5], s[4:5], exec
	s_or_saveexec_b64 s[6:7], s[6:7]
	v_mov_b32_e32 v14, s10
	s_xor_b64 exec, exec, s[6:7]
	s_cbranch_execz .LBB46_1102
.LBB46_3152:
	v_mov_b32_e32 v14, 0
	v_cmp_ne_u16_sdwa s[8:9], v11, v14 src0_sel:BYTE_0 src1_sel:DWORD
	s_andn2_b64 s[4:5], s[4:5], exec
	s_and_b64 s[8:9], s[8:9], exec
	s_or_b64 s[4:5], s[4:5], s[8:9]
	s_or_b64 exec, exec, s[6:7]
	s_and_saveexec_b64 s[6:7], s[4:5]
	s_cbranch_execnz .LBB46_1103
	s_branch .LBB46_1104
.LBB46_3153:
	s_movk_i32 s4, 0x80
	v_cmp_eq_u16_e32 vcc, s4, v11
	s_mov_b64 s[4:5], -1
                                        ; implicit-def: $sgpr10
	s_and_saveexec_b64 s[8:9], vcc
; %bb.3154:
	s_mov_b32 s10, 0x7f800001
	s_xor_b64 s[4:5], exec, -1
; %bb.3155:
	s_or_b64 exec, exec, s[8:9]
	s_and_b64 s[4:5], s[4:5], exec
                                        ; implicit-def: $vgpr11
	s_or_saveexec_b64 s[6:7], s[6:7]
	v_mov_b32_e32 v10, s10
	s_xor_b64 exec, exec, s[6:7]
	s_cbranch_execz .LBB46_1106
.LBB46_3156:
	v_cmp_ne_u16_e32 vcc, 0, v11
	s_andn2_b64 s[4:5], s[4:5], exec
	s_and_b64 s[8:9], vcc, exec
	v_mov_b32_e32 v10, 0
	s_or_b64 s[4:5], s[4:5], s[8:9]
	s_or_b64 exec, exec, s[6:7]
	s_and_saveexec_b64 s[6:7], s[4:5]
	s_cbranch_execnz .LBB46_1107
	s_branch .LBB46_1108
.LBB46_3157:
	s_movk_i32 s4, 0x80
	v_cmp_eq_u16_e32 vcc, s4, v11
	s_mov_b64 s[4:5], -1
                                        ; implicit-def: $sgpr10
	s_and_saveexec_b64 s[8:9], vcc
; %bb.3158:
	s_mov_b32 s10, 0x7f800001
	s_xor_b64 s[4:5], exec, -1
; %bb.3159:
	s_or_b64 exec, exec, s[8:9]
	s_and_b64 s[4:5], s[4:5], exec
                                        ; implicit-def: $vgpr11
	s_or_saveexec_b64 s[6:7], s[6:7]
	v_mov_b32_e32 v14, s10
	s_xor_b64 exec, exec, s[6:7]
	s_cbranch_execz .LBB46_1110
.LBB46_3160:
	v_cmp_ne_u16_e32 vcc, 0, v11
	s_andn2_b64 s[4:5], s[4:5], exec
	s_and_b64 s[8:9], vcc, exec
	v_mov_b32_e32 v14, 0
	s_or_b64 s[4:5], s[4:5], s[8:9]
	s_or_b64 exec, exec, s[6:7]
	s_and_saveexec_b64 s[6:7], s[4:5]
	s_cbranch_execnz .LBB46_1111
	s_branch .LBB46_1112
.LBB46_3161:
	s_movk_i32 s4, 0x80
	v_cmp_eq_u16_sdwa s[12:13], v16, s4 src0_sel:BYTE_3 src1_sel:DWORD
	s_mov_b64 s[4:5], -1
                                        ; implicit-def: $sgpr10
	s_and_saveexec_b64 s[8:9], s[12:13]
; %bb.3162:
	s_mov_b32 s10, 0x7f800001
	s_xor_b64 s[4:5], exec, -1
; %bb.3163:
	s_or_b64 exec, exec, s[8:9]
	s_and_b64 s[4:5], s[4:5], exec
	s_or_saveexec_b64 s[6:7], s[6:7]
	v_mov_b32_e32 v10, s10
	s_xor_b64 exec, exec, s[6:7]
	s_cbranch_execz .LBB46_1114
.LBB46_3164:
	v_mov_b32_e32 v10, 0
	v_cmp_ne_u16_sdwa s[8:9], v16, v10 src0_sel:BYTE_3 src1_sel:DWORD
	s_andn2_b64 s[4:5], s[4:5], exec
	s_and_b64 s[8:9], s[8:9], exec
	s_or_b64 s[4:5], s[4:5], s[8:9]
	s_or_b64 exec, exec, s[6:7]
	s_and_saveexec_b64 s[6:7], s[4:5]
	s_cbranch_execnz .LBB46_1115
	s_branch .LBB46_1116
.LBB46_3165:
	s_movk_i32 s4, 0x80
	v_cmp_eq_u16_sdwa s[12:13], v12, s4 src0_sel:BYTE_3 src1_sel:DWORD
	s_mov_b64 s[4:5], -1
                                        ; implicit-def: $sgpr10
	s_and_saveexec_b64 s[8:9], s[12:13]
; %bb.3166:
	s_mov_b32 s10, 0x7f800001
	s_xor_b64 s[4:5], exec, -1
; %bb.3167:
	s_or_b64 exec, exec, s[8:9]
	s_and_b64 s[4:5], s[4:5], exec
	s_or_saveexec_b64 s[6:7], s[6:7]
	v_mov_b32_e32 v11, s10
	s_xor_b64 exec, exec, s[6:7]
	s_cbranch_execz .LBB46_1118
.LBB46_3168:
	v_mov_b32_e32 v11, 0
	v_cmp_ne_u16_sdwa s[8:9], v12, v11 src0_sel:BYTE_3 src1_sel:DWORD
	s_andn2_b64 s[4:5], s[4:5], exec
	s_and_b64 s[8:9], s[8:9], exec
	s_or_b64 s[4:5], s[4:5], s[8:9]
	s_or_b64 exec, exec, s[6:7]
	s_and_saveexec_b64 s[6:7], s[4:5]
	s_cbranch_execnz .LBB46_1119
	s_branch .LBB46_1120
.LBB46_3169:
	s_movk_i32 s4, 0x80
	v_cmp_eq_u16_sdwa s[12:13], v17, s4 src0_sel:BYTE_0 src1_sel:DWORD
	s_mov_b64 s[4:5], -1
                                        ; implicit-def: $sgpr10
	s_and_saveexec_b64 s[8:9], s[12:13]
; %bb.3170:
	s_mov_b32 s10, 0x7f800001
	s_xor_b64 s[4:5], exec, -1
; %bb.3171:
	s_or_b64 exec, exec, s[8:9]
	s_and_b64 s[4:5], s[4:5], exec
	s_or_saveexec_b64 s[6:7], s[6:7]
	v_mov_b32_e32 v10, s10
	s_xor_b64 exec, exec, s[6:7]
	s_cbranch_execz .LBB46_1122
.LBB46_3172:
	v_mov_b32_e32 v10, 0
	v_cmp_ne_u16_sdwa s[8:9], v17, v10 src0_sel:BYTE_0 src1_sel:DWORD
	s_andn2_b64 s[4:5], s[4:5], exec
	s_and_b64 s[8:9], s[8:9], exec
	s_or_b64 s[4:5], s[4:5], s[8:9]
	s_or_b64 exec, exec, s[6:7]
	s_and_saveexec_b64 s[6:7], s[4:5]
	s_cbranch_execnz .LBB46_1123
	s_branch .LBB46_1124
.LBB46_3173:
	s_movk_i32 s4, 0x80
	v_cmp_eq_u16_sdwa s[12:13], v13, s4 src0_sel:BYTE_0 src1_sel:DWORD
	s_mov_b64 s[4:5], -1
                                        ; implicit-def: $sgpr10
	s_and_saveexec_b64 s[8:9], s[12:13]
; %bb.3174:
	s_mov_b32 s10, 0x7f800001
	s_xor_b64 s[4:5], exec, -1
; %bb.3175:
	s_or_b64 exec, exec, s[8:9]
	s_and_b64 s[4:5], s[4:5], exec
	s_or_saveexec_b64 s[6:7], s[6:7]
	v_mov_b32_e32 v11, s10
	s_xor_b64 exec, exec, s[6:7]
	s_cbranch_execz .LBB46_1126
.LBB46_3176:
	v_mov_b32_e32 v11, 0
	v_cmp_ne_u16_sdwa s[8:9], v13, v11 src0_sel:BYTE_0 src1_sel:DWORD
	s_andn2_b64 s[4:5], s[4:5], exec
	s_and_b64 s[8:9], s[8:9], exec
	s_or_b64 s[4:5], s[4:5], s[8:9]
	s_or_b64 exec, exec, s[6:7]
	s_and_saveexec_b64 s[6:7], s[4:5]
	s_cbranch_execnz .LBB46_1127
	s_branch .LBB46_1128
.LBB46_3177:
	s_movk_i32 s4, 0x80
	v_cmp_eq_u16_sdwa s[12:13], v11, s4 src0_sel:BYTE_0 src1_sel:DWORD
	s_mov_b64 s[4:5], -1
                                        ; implicit-def: $sgpr10
	s_and_saveexec_b64 s[8:9], s[12:13]
; %bb.3178:
	s_mov_b32 s10, 0x7f800001
	s_xor_b64 s[4:5], exec, -1
; %bb.3179:
	s_or_b64 exec, exec, s[8:9]
	s_and_b64 s[4:5], s[4:5], exec
	s_or_saveexec_b64 s[6:7], s[6:7]
	v_mov_b32_e32 v10, s10
	s_xor_b64 exec, exec, s[6:7]
	s_cbranch_execz .LBB46_1130
.LBB46_3180:
	v_mov_b32_e32 v10, 0
	v_cmp_ne_u16_sdwa s[8:9], v11, v10 src0_sel:BYTE_0 src1_sel:DWORD
	s_andn2_b64 s[4:5], s[4:5], exec
	s_and_b64 s[8:9], s[8:9], exec
	s_or_b64 s[4:5], s[4:5], s[8:9]
	s_or_b64 exec, exec, s[6:7]
	s_and_saveexec_b64 s[6:7], s[4:5]
	s_cbranch_execnz .LBB46_1131
	s_branch .LBB46_1132
.LBB46_3181:
	s_movk_i32 s4, 0x80
	v_cmp_eq_u16_sdwa s[12:13], v11, s4 src0_sel:BYTE_0 src1_sel:DWORD
	s_mov_b64 s[4:5], -1
                                        ; implicit-def: $sgpr10
	s_and_saveexec_b64 s[8:9], s[12:13]
; %bb.3182:
	s_mov_b32 s10, 0x7f800001
	s_xor_b64 s[4:5], exec, -1
; %bb.3183:
	s_or_b64 exec, exec, s[8:9]
	s_and_b64 s[4:5], s[4:5], exec
	s_or_saveexec_b64 s[6:7], s[6:7]
	v_mov_b32_e32 v12, s10
	s_xor_b64 exec, exec, s[6:7]
	s_cbranch_execz .LBB46_1134
.LBB46_3184:
	v_mov_b32_e32 v12, 0
	v_cmp_ne_u16_sdwa s[8:9], v11, v12 src0_sel:BYTE_0 src1_sel:DWORD
	s_andn2_b64 s[4:5], s[4:5], exec
	s_and_b64 s[8:9], s[8:9], exec
	s_or_b64 s[4:5], s[4:5], s[8:9]
	s_or_b64 exec, exec, s[6:7]
	s_and_saveexec_b64 s[6:7], s[4:5]
	s_cbranch_execnz .LBB46_1135
	s_branch .LBB46_1136
.LBB46_3185:
	s_movk_i32 s4, 0x80
	v_cmp_eq_u16_e32 vcc, s4, v11
	s_mov_b64 s[4:5], -1
                                        ; implicit-def: $sgpr10
	s_and_saveexec_b64 s[8:9], vcc
; %bb.3186:
	s_mov_b32 s10, 0x7f800001
	s_xor_b64 s[4:5], exec, -1
; %bb.3187:
	s_or_b64 exec, exec, s[8:9]
	s_and_b64 s[4:5], s[4:5], exec
                                        ; implicit-def: $vgpr11
	s_or_saveexec_b64 s[6:7], s[6:7]
	v_mov_b32_e32 v10, s10
	s_xor_b64 exec, exec, s[6:7]
	s_cbranch_execz .LBB46_1138
.LBB46_3188:
	v_cmp_ne_u16_e32 vcc, 0, v11
	s_andn2_b64 s[4:5], s[4:5], exec
	s_and_b64 s[8:9], vcc, exec
	v_mov_b32_e32 v10, 0
	s_or_b64 s[4:5], s[4:5], s[8:9]
	s_or_b64 exec, exec, s[6:7]
	s_and_saveexec_b64 s[6:7], s[4:5]
	s_cbranch_execnz .LBB46_1139
	s_branch .LBB46_1140
.LBB46_3189:
	s_movk_i32 s4, 0x80
	v_cmp_eq_u16_e32 vcc, s4, v11
	s_mov_b64 s[4:5], -1
                                        ; implicit-def: $sgpr10
	s_and_saveexec_b64 s[8:9], vcc
; %bb.3190:
	s_mov_b32 s10, 0x7f800001
	s_xor_b64 s[4:5], exec, -1
; %bb.3191:
	s_or_b64 exec, exec, s[8:9]
	s_and_b64 s[4:5], s[4:5], exec
                                        ; implicit-def: $vgpr11
	s_or_saveexec_b64 s[6:7], s[6:7]
	v_mov_b32_e32 v12, s10
	s_xor_b64 exec, exec, s[6:7]
	s_cbranch_execz .LBB46_1142
.LBB46_3192:
	v_cmp_ne_u16_e32 vcc, 0, v11
	s_andn2_b64 s[4:5], s[4:5], exec
	s_and_b64 s[8:9], vcc, exec
	v_mov_b32_e32 v12, 0
	s_or_b64 s[4:5], s[4:5], s[8:9]
	s_or_b64 exec, exec, s[6:7]
	s_and_saveexec_b64 s[6:7], s[4:5]
	s_cbranch_execnz .LBB46_1143
	s_branch .LBB46_1144
.LBB46_3193:
	s_movk_i32 s4, 0x80
	v_cmp_eq_u16_sdwa s[12:13], v17, s4 src0_sel:BYTE_3 src1_sel:DWORD
	s_mov_b64 s[4:5], -1
                                        ; implicit-def: $sgpr10
	s_and_saveexec_b64 s[8:9], s[12:13]
; %bb.3194:
	s_mov_b32 s10, 0x7f800001
	s_xor_b64 s[4:5], exec, -1
; %bb.3195:
	s_or_b64 exec, exec, s[8:9]
	s_and_b64 s[4:5], s[4:5], exec
	s_or_saveexec_b64 s[6:7], s[6:7]
	v_mov_b32_e32 v10, s10
	s_xor_b64 exec, exec, s[6:7]
	s_cbranch_execz .LBB46_1146
.LBB46_3196:
	v_mov_b32_e32 v10, 0
	v_cmp_ne_u16_sdwa s[8:9], v17, v10 src0_sel:BYTE_3 src1_sel:DWORD
	s_andn2_b64 s[4:5], s[4:5], exec
	s_and_b64 s[8:9], s[8:9], exec
	s_or_b64 s[4:5], s[4:5], s[8:9]
	s_or_b64 exec, exec, s[6:7]
	s_and_saveexec_b64 s[6:7], s[4:5]
	s_cbranch_execnz .LBB46_1147
	s_branch .LBB46_1148
.LBB46_3197:
	s_movk_i32 s4, 0x80
	v_cmp_eq_u16_sdwa s[12:13], v13, s4 src0_sel:BYTE_3 src1_sel:DWORD
	s_mov_b64 s[4:5], -1
                                        ; implicit-def: $sgpr10
	s_and_saveexec_b64 s[8:9], s[12:13]
; %bb.3198:
	s_mov_b32 s10, 0x7f800001
	s_xor_b64 s[4:5], exec, -1
; %bb.3199:
	s_or_b64 exec, exec, s[8:9]
	s_and_b64 s[4:5], s[4:5], exec
	s_or_saveexec_b64 s[6:7], s[6:7]
	v_mov_b32_e32 v11, s10
	s_xor_b64 exec, exec, s[6:7]
	s_cbranch_execz .LBB46_1150
.LBB46_3200:
	v_mov_b32_e32 v11, 0
	v_cmp_ne_u16_sdwa s[8:9], v13, v11 src0_sel:BYTE_3 src1_sel:DWORD
	s_andn2_b64 s[4:5], s[4:5], exec
	s_and_b64 s[8:9], s[8:9], exec
	s_or_b64 s[4:5], s[4:5], s[8:9]
	s_or_b64 exec, exec, s[6:7]
	s_and_saveexec_b64 s[6:7], s[4:5]
	s_cbranch_execnz .LBB46_1151
	s_branch .LBB46_1152
.LBB46_3201:
	s_movk_i32 s4, 0x80
	v_cmp_eq_u16_sdwa s[12:13], v6, s4 src0_sel:BYTE_0 src1_sel:DWORD
	s_mov_b64 s[4:5], -1
                                        ; implicit-def: $sgpr10
	s_and_saveexec_b64 s[8:9], s[12:13]
; %bb.3202:
	s_mov_b32 s10, 0x7f800001
	s_xor_b64 s[4:5], exec, -1
; %bb.3203:
	s_or_b64 exec, exec, s[8:9]
	s_and_b64 s[4:5], s[4:5], exec
	s_or_saveexec_b64 s[6:7], s[6:7]
	v_mov_b32_e32 v10, s10
	s_xor_b64 exec, exec, s[6:7]
	s_cbranch_execz .LBB46_1154
.LBB46_3204:
	v_mov_b32_e32 v10, 0
	v_cmp_ne_u16_sdwa s[8:9], v6, v10 src0_sel:BYTE_0 src1_sel:DWORD
	s_andn2_b64 s[4:5], s[4:5], exec
	s_and_b64 s[8:9], s[8:9], exec
	s_or_b64 s[4:5], s[4:5], s[8:9]
	s_or_b64 exec, exec, s[6:7]
	s_and_saveexec_b64 s[6:7], s[4:5]
	s_cbranch_execnz .LBB46_1155
	s_branch .LBB46_1156
.LBB46_3205:
	s_movk_i32 s4, 0x80
	v_cmp_eq_u16_sdwa s[12:13], v2, s4 src0_sel:BYTE_0 src1_sel:DWORD
	s_mov_b64 s[4:5], -1
                                        ; implicit-def: $sgpr10
	s_and_saveexec_b64 s[8:9], s[12:13]
; %bb.3206:
	s_mov_b32 s10, 0x7f800001
	s_xor_b64 s[4:5], exec, -1
; %bb.3207:
	s_or_b64 exec, exec, s[8:9]
	s_and_b64 s[4:5], s[4:5], exec
	s_or_saveexec_b64 s[6:7], s[6:7]
	v_mov_b32_e32 v11, s10
	s_xor_b64 exec, exec, s[6:7]
	s_cbranch_execz .LBB46_1158
.LBB46_3208:
	v_mov_b32_e32 v11, 0
	v_cmp_ne_u16_sdwa s[8:9], v2, v11 src0_sel:BYTE_0 src1_sel:DWORD
	s_andn2_b64 s[4:5], s[4:5], exec
	s_and_b64 s[8:9], s[8:9], exec
	s_or_b64 s[4:5], s[4:5], s[8:9]
	s_or_b64 exec, exec, s[6:7]
	s_and_saveexec_b64 s[6:7], s[4:5]
	s_cbranch_execnz .LBB46_1159
	s_branch .LBB46_1160
.LBB46_3209:
	s_movk_i32 s4, 0x80
	v_cmp_eq_u16_sdwa s[12:13], v11, s4 src0_sel:BYTE_0 src1_sel:DWORD
	s_mov_b64 s[4:5], -1
                                        ; implicit-def: $sgpr10
	s_and_saveexec_b64 s[8:9], s[12:13]
; %bb.3210:
	s_mov_b32 s10, 0x7f800001
	s_xor_b64 s[4:5], exec, -1
; %bb.3211:
	s_or_b64 exec, exec, s[8:9]
	s_and_b64 s[4:5], s[4:5], exec
	s_or_saveexec_b64 s[6:7], s[6:7]
	v_mov_b32_e32 v10, s10
	s_xor_b64 exec, exec, s[6:7]
	s_cbranch_execz .LBB46_1162
.LBB46_3212:
	v_mov_b32_e32 v10, 0
	v_cmp_ne_u16_sdwa s[8:9], v11, v10 src0_sel:BYTE_0 src1_sel:DWORD
	s_andn2_b64 s[4:5], s[4:5], exec
	s_and_b64 s[8:9], s[8:9], exec
	s_or_b64 s[4:5], s[4:5], s[8:9]
	s_or_b64 exec, exec, s[6:7]
	s_and_saveexec_b64 s[6:7], s[4:5]
	s_cbranch_execnz .LBB46_1163
	s_branch .LBB46_1164
.LBB46_3213:
	s_movk_i32 s4, 0x80
	v_cmp_eq_u16_sdwa s[12:13], v11, s4 src0_sel:BYTE_0 src1_sel:DWORD
	s_mov_b64 s[4:5], -1
                                        ; implicit-def: $sgpr10
	s_and_saveexec_b64 s[8:9], s[12:13]
; %bb.3214:
	s_mov_b32 s10, 0x7f800001
	s_xor_b64 s[4:5], exec, -1
; %bb.3215:
	s_or_b64 exec, exec, s[8:9]
	s_and_b64 s[4:5], s[4:5], exec
	s_or_saveexec_b64 s[6:7], s[6:7]
	v_mov_b32_e32 v12, s10
	s_xor_b64 exec, exec, s[6:7]
	s_cbranch_execz .LBB46_1166
.LBB46_3216:
	v_mov_b32_e32 v12, 0
	v_cmp_ne_u16_sdwa s[8:9], v11, v12 src0_sel:BYTE_0 src1_sel:DWORD
	s_andn2_b64 s[4:5], s[4:5], exec
	s_and_b64 s[8:9], s[8:9], exec
	s_or_b64 s[4:5], s[4:5], s[8:9]
	s_or_b64 exec, exec, s[6:7]
	s_and_saveexec_b64 s[6:7], s[4:5]
	s_cbranch_execnz .LBB46_1167
	s_branch .LBB46_1168
.LBB46_3217:
	s_movk_i32 s4, 0x80
	v_cmp_eq_u16_e32 vcc, s4, v11
	s_mov_b64 s[4:5], -1
                                        ; implicit-def: $sgpr10
	s_and_saveexec_b64 s[8:9], vcc
; %bb.3218:
	s_mov_b32 s10, 0x7f800001
	s_xor_b64 s[4:5], exec, -1
; %bb.3219:
	s_or_b64 exec, exec, s[8:9]
	s_and_b64 s[4:5], s[4:5], exec
                                        ; implicit-def: $vgpr11
	s_or_saveexec_b64 s[6:7], s[6:7]
	v_mov_b32_e32 v10, s10
	s_xor_b64 exec, exec, s[6:7]
	s_cbranch_execz .LBB46_1170
.LBB46_3220:
	v_cmp_ne_u16_e32 vcc, 0, v11
	s_andn2_b64 s[4:5], s[4:5], exec
	s_and_b64 s[8:9], vcc, exec
	v_mov_b32_e32 v10, 0
	s_or_b64 s[4:5], s[4:5], s[8:9]
	s_or_b64 exec, exec, s[6:7]
	s_and_saveexec_b64 s[6:7], s[4:5]
	s_cbranch_execnz .LBB46_1171
	s_branch .LBB46_1172
.LBB46_3221:
	s_movk_i32 s4, 0x80
	v_cmp_eq_u16_e32 vcc, s4, v11
	s_mov_b64 s[4:5], -1
                                        ; implicit-def: $sgpr10
	s_and_saveexec_b64 s[8:9], vcc
; %bb.3222:
	s_mov_b32 s10, 0x7f800001
	s_xor_b64 s[4:5], exec, -1
; %bb.3223:
	s_or_b64 exec, exec, s[8:9]
	s_and_b64 s[4:5], s[4:5], exec
                                        ; implicit-def: $vgpr11
	s_or_saveexec_b64 s[6:7], s[6:7]
	v_mov_b32_e32 v12, s10
	s_xor_b64 exec, exec, s[6:7]
	s_cbranch_execz .LBB46_1174
.LBB46_3224:
	v_cmp_ne_u16_e32 vcc, 0, v11
	s_andn2_b64 s[4:5], s[4:5], exec
	s_and_b64 s[8:9], vcc, exec
	v_mov_b32_e32 v12, 0
	s_or_b64 s[4:5], s[4:5], s[8:9]
	s_or_b64 exec, exec, s[6:7]
	s_and_saveexec_b64 s[6:7], s[4:5]
	s_cbranch_execnz .LBB46_1175
	s_branch .LBB46_1176
.LBB46_3225:
	s_movk_i32 s4, 0x80
	v_cmp_eq_u16_sdwa s[12:13], v6, s4 src0_sel:BYTE_3 src1_sel:DWORD
	s_mov_b64 s[4:5], -1
                                        ; implicit-def: $sgpr10
	s_and_saveexec_b64 s[8:9], s[12:13]
; %bb.3226:
	s_mov_b32 s10, 0x7f800001
	s_xor_b64 s[4:5], exec, -1
; %bb.3227:
	s_or_b64 exec, exec, s[8:9]
	s_and_b64 s[4:5], s[4:5], exec
	s_or_saveexec_b64 s[6:7], s[6:7]
	v_mov_b32_e32 v10, s10
	s_xor_b64 exec, exec, s[6:7]
	s_cbranch_execz .LBB46_1178
.LBB46_3228:
	v_mov_b32_e32 v10, 0
	v_cmp_ne_u16_sdwa s[8:9], v6, v10 src0_sel:BYTE_3 src1_sel:DWORD
	s_andn2_b64 s[4:5], s[4:5], exec
	s_and_b64 s[8:9], s[8:9], exec
	s_or_b64 s[4:5], s[4:5], s[8:9]
	s_or_b64 exec, exec, s[6:7]
	s_and_saveexec_b64 s[6:7], s[4:5]
	s_cbranch_execnz .LBB46_1179
	s_branch .LBB46_1180
.LBB46_3229:
	s_movk_i32 s4, 0x80
	v_cmp_eq_u16_sdwa s[12:13], v2, s4 src0_sel:BYTE_3 src1_sel:DWORD
	s_mov_b64 s[4:5], -1
                                        ; implicit-def: $sgpr10
	s_and_saveexec_b64 s[8:9], s[12:13]
; %bb.3230:
	s_mov_b32 s10, 0x7f800001
	s_xor_b64 s[4:5], exec, -1
; %bb.3231:
	s_or_b64 exec, exec, s[8:9]
	s_and_b64 s[4:5], s[4:5], exec
	s_or_saveexec_b64 s[6:7], s[6:7]
	v_mov_b32_e32 v6, s10
	s_xor_b64 exec, exec, s[6:7]
	s_cbranch_execz .LBB46_1182
.LBB46_3232:
	v_mov_b32_e32 v6, 0
	v_cmp_ne_u16_sdwa s[8:9], v2, v6 src0_sel:BYTE_3 src1_sel:DWORD
	s_andn2_b64 s[4:5], s[4:5], exec
	s_and_b64 s[8:9], s[8:9], exec
	s_or_b64 s[4:5], s[4:5], s[8:9]
	s_or_b64 exec, exec, s[6:7]
	s_and_saveexec_b64 s[6:7], s[4:5]
	s_cbranch_execnz .LBB46_1183
	s_branch .LBB46_1184
.LBB46_3233:
	s_movk_i32 s4, 0x80
	v_cmp_eq_u16_sdwa s[12:13], v7, s4 src0_sel:BYTE_0 src1_sel:DWORD
	s_mov_b64 s[4:5], -1
                                        ; implicit-def: $sgpr10
	s_and_saveexec_b64 s[8:9], s[12:13]
; %bb.3234:
	s_mov_b32 s10, 0x7f800001
	s_xor_b64 s[4:5], exec, -1
; %bb.3235:
	s_or_b64 exec, exec, s[8:9]
	s_and_b64 s[4:5], s[4:5], exec
	s_or_saveexec_b64 s[6:7], s[6:7]
	v_mov_b32_e32 v2, s10
	s_xor_b64 exec, exec, s[6:7]
	s_cbranch_execz .LBB46_1186
.LBB46_3236:
	v_mov_b32_e32 v2, 0
	v_cmp_ne_u16_sdwa s[8:9], v7, v2 src0_sel:BYTE_0 src1_sel:DWORD
	s_andn2_b64 s[4:5], s[4:5], exec
	s_and_b64 s[8:9], s[8:9], exec
	s_or_b64 s[4:5], s[4:5], s[8:9]
	s_or_b64 exec, exec, s[6:7]
	s_and_saveexec_b64 s[6:7], s[4:5]
	s_cbranch_execnz .LBB46_1187
	s_branch .LBB46_1188
.LBB46_3237:
	s_movk_i32 s4, 0x80
	v_cmp_eq_u16_sdwa s[12:13], v3, s4 src0_sel:BYTE_0 src1_sel:DWORD
	s_mov_b64 s[4:5], -1
                                        ; implicit-def: $sgpr10
	s_and_saveexec_b64 s[8:9], s[12:13]
; %bb.3238:
	s_mov_b32 s10, 0x7f800001
	s_xor_b64 s[4:5], exec, -1
; %bb.3239:
	s_or_b64 exec, exec, s[8:9]
	s_and_b64 s[4:5], s[4:5], exec
	s_or_saveexec_b64 s[6:7], s[6:7]
	v_mov_b32_e32 v6, s10
	s_xor_b64 exec, exec, s[6:7]
	s_cbranch_execz .LBB46_1190
.LBB46_3240:
	v_mov_b32_e32 v6, 0
	v_cmp_ne_u16_sdwa s[8:9], v3, v6 src0_sel:BYTE_0 src1_sel:DWORD
	s_andn2_b64 s[4:5], s[4:5], exec
	s_and_b64 s[8:9], s[8:9], exec
	s_or_b64 s[4:5], s[4:5], s[8:9]
	s_or_b64 exec, exec, s[6:7]
	s_and_saveexec_b64 s[6:7], s[4:5]
	s_cbranch_execnz .LBB46_1191
	s_branch .LBB46_1192
.LBB46_3241:
	s_movk_i32 s4, 0x80
	v_cmp_eq_u16_sdwa s[12:13], v6, s4 src0_sel:BYTE_0 src1_sel:DWORD
	s_mov_b64 s[4:5], -1
                                        ; implicit-def: $sgpr10
	s_and_saveexec_b64 s[8:9], s[12:13]
; %bb.3242:
	s_mov_b32 s10, 0x7f800001
	s_xor_b64 s[4:5], exec, -1
; %bb.3243:
	s_or_b64 exec, exec, s[8:9]
	s_and_b64 s[4:5], s[4:5], exec
	s_or_saveexec_b64 s[6:7], s[6:7]
	v_mov_b32_e32 v2, s10
	s_xor_b64 exec, exec, s[6:7]
	s_cbranch_execz .LBB46_1194
.LBB46_3244:
	v_mov_b32_e32 v2, 0
	v_cmp_ne_u16_sdwa s[8:9], v6, v2 src0_sel:BYTE_0 src1_sel:DWORD
	s_andn2_b64 s[4:5], s[4:5], exec
	s_and_b64 s[8:9], s[8:9], exec
	s_or_b64 s[4:5], s[4:5], s[8:9]
	s_or_b64 exec, exec, s[6:7]
	s_and_saveexec_b64 s[6:7], s[4:5]
	s_cbranch_execnz .LBB46_1195
	s_branch .LBB46_1196
.LBB46_3245:
	s_movk_i32 s4, 0x80
	v_cmp_eq_u16_sdwa s[12:13], v6, s4 src0_sel:BYTE_0 src1_sel:DWORD
	s_mov_b64 s[4:5], -1
                                        ; implicit-def: $sgpr10
	s_and_saveexec_b64 s[8:9], s[12:13]
; %bb.3246:
	s_mov_b32 s10, 0x7f800001
	s_xor_b64 s[4:5], exec, -1
; %bb.3247:
	s_or_b64 exec, exec, s[8:9]
	s_and_b64 s[4:5], s[4:5], exec
	s_or_saveexec_b64 s[6:7], s[6:7]
	v_mov_b32_e32 v10, s10
	s_xor_b64 exec, exec, s[6:7]
	s_cbranch_execz .LBB46_1198
.LBB46_3248:
	v_mov_b32_e32 v10, 0
	v_cmp_ne_u16_sdwa s[8:9], v6, v10 src0_sel:BYTE_0 src1_sel:DWORD
	s_andn2_b64 s[4:5], s[4:5], exec
	s_and_b64 s[8:9], s[8:9], exec
	s_or_b64 s[4:5], s[4:5], s[8:9]
	s_or_b64 exec, exec, s[6:7]
	s_and_saveexec_b64 s[6:7], s[4:5]
	s_cbranch_execnz .LBB46_1199
	s_branch .LBB46_1200
.LBB46_3249:
	s_movk_i32 s4, 0x80
	v_cmp_eq_u16_e32 vcc, s4, v6
	s_mov_b64 s[4:5], -1
                                        ; implicit-def: $sgpr10
	s_and_saveexec_b64 s[8:9], vcc
; %bb.3250:
	s_mov_b32 s10, 0x7f800001
	s_xor_b64 s[4:5], exec, -1
; %bb.3251:
	s_or_b64 exec, exec, s[8:9]
	s_and_b64 s[4:5], s[4:5], exec
                                        ; implicit-def: $vgpr6
	s_or_saveexec_b64 s[6:7], s[6:7]
	v_mov_b32_e32 v2, s10
	s_xor_b64 exec, exec, s[6:7]
	s_cbranch_execz .LBB46_1202
.LBB46_3252:
	v_cmp_ne_u16_e32 vcc, 0, v6
	s_andn2_b64 s[4:5], s[4:5], exec
	s_and_b64 s[8:9], vcc, exec
	v_mov_b32_e32 v2, 0
	s_or_b64 s[4:5], s[4:5], s[8:9]
	s_or_b64 exec, exec, s[6:7]
	s_and_saveexec_b64 s[6:7], s[4:5]
	s_cbranch_execnz .LBB46_1203
	s_branch .LBB46_1204
.LBB46_3253:
	s_movk_i32 s4, 0x80
	v_cmp_eq_u16_e32 vcc, s4, v6
	s_mov_b64 s[4:5], -1
                                        ; implicit-def: $sgpr10
	s_and_saveexec_b64 s[8:9], vcc
; %bb.3254:
	s_mov_b32 s10, 0x7f800001
	s_xor_b64 s[4:5], exec, -1
; %bb.3255:
	s_or_b64 exec, exec, s[8:9]
	s_and_b64 s[4:5], s[4:5], exec
                                        ; implicit-def: $vgpr6
	s_or_saveexec_b64 s[6:7], s[6:7]
	v_mov_b32_e32 v10, s10
	s_xor_b64 exec, exec, s[6:7]
	s_cbranch_execz .LBB46_1206
.LBB46_3256:
	v_cmp_ne_u16_e32 vcc, 0, v6
	s_andn2_b64 s[4:5], s[4:5], exec
	s_and_b64 s[8:9], vcc, exec
	v_mov_b32_e32 v10, 0
	s_or_b64 s[4:5], s[4:5], s[8:9]
	s_or_b64 exec, exec, s[6:7]
	s_and_saveexec_b64 s[6:7], s[4:5]
	s_cbranch_execnz .LBB46_1207
	s_branch .LBB46_1208
.LBB46_3257:
	s_movk_i32 s4, 0x80
	v_cmp_eq_u16_sdwa s[12:13], v7, s4 src0_sel:BYTE_3 src1_sel:DWORD
	s_mov_b64 s[4:5], -1
                                        ; implicit-def: $sgpr10
	s_and_saveexec_b64 s[8:9], s[12:13]
; %bb.3258:
	s_mov_b32 s10, 0x7f800001
	s_xor_b64 s[4:5], exec, -1
; %bb.3259:
	s_or_b64 exec, exec, s[8:9]
	s_and_b64 s[4:5], s[4:5], exec
	s_or_saveexec_b64 s[6:7], s[6:7]
	v_mov_b32_e32 v2, s10
	s_xor_b64 exec, exec, s[6:7]
	s_cbranch_execz .LBB46_1210
.LBB46_3260:
	v_mov_b32_e32 v2, 0
	v_cmp_ne_u16_sdwa s[8:9], v7, v2 src0_sel:BYTE_3 src1_sel:DWORD
	s_andn2_b64 s[4:5], s[4:5], exec
	s_and_b64 s[8:9], s[8:9], exec
	s_or_b64 s[4:5], s[4:5], s[8:9]
	s_or_b64 exec, exec, s[6:7]
	s_and_saveexec_b64 s[6:7], s[4:5]
	s_cbranch_execnz .LBB46_1211
	s_branch .LBB46_1212
.LBB46_3261:
	s_movk_i32 s4, 0x80
	v_cmp_eq_u16_sdwa s[12:13], v3, s4 src0_sel:BYTE_3 src1_sel:DWORD
	s_mov_b64 s[4:5], -1
                                        ; implicit-def: $sgpr10
	s_and_saveexec_b64 s[8:9], s[12:13]
; %bb.3262:
	s_mov_b32 s10, 0x7f800001
	s_xor_b64 s[4:5], exec, -1
; %bb.3263:
	s_or_b64 exec, exec, s[8:9]
	s_and_b64 s[4:5], s[4:5], exec
	s_or_saveexec_b64 s[6:7], s[6:7]
	v_mov_b32_e32 v6, s10
	s_xor_b64 exec, exec, s[6:7]
	s_cbranch_execz .LBB46_1214
.LBB46_3264:
	v_mov_b32_e32 v6, 0
	v_cmp_ne_u16_sdwa s[8:9], v3, v6 src0_sel:BYTE_3 src1_sel:DWORD
	s_andn2_b64 s[4:5], s[4:5], exec
	s_and_b64 s[8:9], s[8:9], exec
	s_or_b64 s[4:5], s[4:5], s[8:9]
	s_or_b64 exec, exec, s[6:7]
	s_and_saveexec_b64 s[6:7], s[4:5]
	s_cbranch_execnz .LBB46_1215
	s_branch .LBB46_1216
.LBB46_3265:
	s_movk_i32 s4, 0x80
	v_cmp_eq_u16_sdwa s[12:13], v8, s4 src0_sel:BYTE_0 src1_sel:DWORD
	s_mov_b64 s[4:5], -1
                                        ; implicit-def: $sgpr10
	s_and_saveexec_b64 s[8:9], s[12:13]
; %bb.3266:
	s_mov_b32 s10, 0x7f800001
	s_xor_b64 s[4:5], exec, -1
; %bb.3267:
	s_or_b64 exec, exec, s[8:9]
	s_and_b64 s[4:5], s[4:5], exec
	s_or_saveexec_b64 s[6:7], s[6:7]
	v_mov_b32_e32 v2, s10
	s_xor_b64 exec, exec, s[6:7]
	s_cbranch_execz .LBB46_1218
.LBB46_3268:
	v_mov_b32_e32 v2, 0
	v_cmp_ne_u16_sdwa s[8:9], v8, v2 src0_sel:BYTE_0 src1_sel:DWORD
	s_andn2_b64 s[4:5], s[4:5], exec
	s_and_b64 s[8:9], s[8:9], exec
	s_or_b64 s[4:5], s[4:5], s[8:9]
	s_or_b64 exec, exec, s[6:7]
	s_and_saveexec_b64 s[6:7], s[4:5]
	s_cbranch_execnz .LBB46_1219
	s_branch .LBB46_1220
.LBB46_3269:
	s_movk_i32 s4, 0x80
	v_cmp_eq_u16_sdwa s[12:13], v4, s4 src0_sel:BYTE_0 src1_sel:DWORD
	s_mov_b64 s[4:5], -1
                                        ; implicit-def: $sgpr10
	s_and_saveexec_b64 s[8:9], s[12:13]
; %bb.3270:
	s_mov_b32 s10, 0x7f800001
	s_xor_b64 s[4:5], exec, -1
; %bb.3271:
	s_or_b64 exec, exec, s[8:9]
	s_and_b64 s[4:5], s[4:5], exec
	s_or_saveexec_b64 s[6:7], s[6:7]
	v_mov_b32_e32 v3, s10
	s_xor_b64 exec, exec, s[6:7]
	s_cbranch_execz .LBB46_1222
.LBB46_3272:
	v_mov_b32_e32 v3, 0
	v_cmp_ne_u16_sdwa s[8:9], v4, v3 src0_sel:BYTE_0 src1_sel:DWORD
	s_andn2_b64 s[4:5], s[4:5], exec
	s_and_b64 s[8:9], s[8:9], exec
	s_or_b64 s[4:5], s[4:5], s[8:9]
	s_or_b64 exec, exec, s[6:7]
	s_and_saveexec_b64 s[6:7], s[4:5]
	s_cbranch_execnz .LBB46_1223
	s_branch .LBB46_1224
.LBB46_3273:
	s_movk_i32 s4, 0x80
	v_cmp_eq_u16_sdwa s[12:13], v3, s4 src0_sel:BYTE_0 src1_sel:DWORD
	s_mov_b64 s[4:5], -1
                                        ; implicit-def: $sgpr10
	s_and_saveexec_b64 s[8:9], s[12:13]
; %bb.3274:
	s_mov_b32 s10, 0x7f800001
	s_xor_b64 s[4:5], exec, -1
; %bb.3275:
	s_or_b64 exec, exec, s[8:9]
	s_and_b64 s[4:5], s[4:5], exec
	s_or_saveexec_b64 s[6:7], s[6:7]
	v_mov_b32_e32 v2, s10
	s_xor_b64 exec, exec, s[6:7]
	s_cbranch_execz .LBB46_1226
.LBB46_3276:
	v_mov_b32_e32 v2, 0
	v_cmp_ne_u16_sdwa s[8:9], v3, v2 src0_sel:BYTE_0 src1_sel:DWORD
	s_andn2_b64 s[4:5], s[4:5], exec
	s_and_b64 s[8:9], s[8:9], exec
	s_or_b64 s[4:5], s[4:5], s[8:9]
	s_or_b64 exec, exec, s[6:7]
	s_and_saveexec_b64 s[6:7], s[4:5]
	s_cbranch_execnz .LBB46_1227
	s_branch .LBB46_1228
.LBB46_3277:
	s_movk_i32 s4, 0x80
	v_cmp_eq_u16_sdwa s[12:13], v3, s4 src0_sel:BYTE_0 src1_sel:DWORD
	s_mov_b64 s[4:5], -1
                                        ; implicit-def: $sgpr10
	s_and_saveexec_b64 s[8:9], s[12:13]
; %bb.3278:
	s_mov_b32 s10, 0x7f800001
	s_xor_b64 s[4:5], exec, -1
; %bb.3279:
	s_or_b64 exec, exec, s[8:9]
	s_and_b64 s[4:5], s[4:5], exec
	s_or_saveexec_b64 s[6:7], s[6:7]
	v_mov_b32_e32 v6, s10
	s_xor_b64 exec, exec, s[6:7]
	s_cbranch_execz .LBB46_1230
.LBB46_3280:
	v_mov_b32_e32 v6, 0
	v_cmp_ne_u16_sdwa s[8:9], v3, v6 src0_sel:BYTE_0 src1_sel:DWORD
	s_andn2_b64 s[4:5], s[4:5], exec
	s_and_b64 s[8:9], s[8:9], exec
	s_or_b64 s[4:5], s[4:5], s[8:9]
	s_or_b64 exec, exec, s[6:7]
	s_and_saveexec_b64 s[6:7], s[4:5]
	s_cbranch_execnz .LBB46_1231
	s_branch .LBB46_1232
.LBB46_3281:
	s_movk_i32 s4, 0x80
	v_cmp_eq_u16_e32 vcc, s4, v3
	s_mov_b64 s[4:5], -1
                                        ; implicit-def: $sgpr10
	s_and_saveexec_b64 s[8:9], vcc
; %bb.3282:
	s_mov_b32 s10, 0x7f800001
	s_xor_b64 s[4:5], exec, -1
; %bb.3283:
	s_or_b64 exec, exec, s[8:9]
	s_and_b64 s[4:5], s[4:5], exec
                                        ; implicit-def: $vgpr3
	s_or_saveexec_b64 s[6:7], s[6:7]
	v_mov_b32_e32 v2, s10
	s_xor_b64 exec, exec, s[6:7]
	s_cbranch_execz .LBB46_1234
.LBB46_3284:
	v_cmp_ne_u16_e32 vcc, 0, v3
	s_andn2_b64 s[4:5], s[4:5], exec
	s_and_b64 s[8:9], vcc, exec
	v_mov_b32_e32 v2, 0
	s_or_b64 s[4:5], s[4:5], s[8:9]
	s_or_b64 exec, exec, s[6:7]
	s_and_saveexec_b64 s[6:7], s[4:5]
	s_cbranch_execnz .LBB46_1235
	s_branch .LBB46_1236
.LBB46_3285:
	s_movk_i32 s4, 0x80
	v_cmp_eq_u16_e32 vcc, s4, v3
	s_mov_b64 s[4:5], -1
                                        ; implicit-def: $sgpr10
	s_and_saveexec_b64 s[8:9], vcc
; %bb.3286:
	s_mov_b32 s10, 0x7f800001
	s_xor_b64 s[4:5], exec, -1
; %bb.3287:
	s_or_b64 exec, exec, s[8:9]
	s_and_b64 s[4:5], s[4:5], exec
                                        ; implicit-def: $vgpr3
	s_or_saveexec_b64 s[6:7], s[6:7]
	v_mov_b32_e32 v6, s10
	s_xor_b64 exec, exec, s[6:7]
	s_cbranch_execz .LBB46_1238
.LBB46_3288:
	v_cmp_ne_u16_e32 vcc, 0, v3
	s_andn2_b64 s[4:5], s[4:5], exec
	s_and_b64 s[8:9], vcc, exec
	v_mov_b32_e32 v6, 0
	s_or_b64 s[4:5], s[4:5], s[8:9]
	s_or_b64 exec, exec, s[6:7]
	s_and_saveexec_b64 s[6:7], s[4:5]
	s_cbranch_execnz .LBB46_1239
	s_branch .LBB46_1240
.LBB46_3289:
	s_movk_i32 s4, 0x80
	v_cmp_eq_u16_sdwa s[12:13], v8, s4 src0_sel:BYTE_3 src1_sel:DWORD
	s_mov_b64 s[4:5], -1
                                        ; implicit-def: $sgpr10
	s_and_saveexec_b64 s[8:9], s[12:13]
; %bb.3290:
	s_mov_b32 s10, 0x7f800001
	s_xor_b64 s[4:5], exec, -1
; %bb.3291:
	s_or_b64 exec, exec, s[8:9]
	s_and_b64 s[4:5], s[4:5], exec
	s_or_saveexec_b64 s[6:7], s[6:7]
	v_mov_b32_e32 v2, s10
	s_xor_b64 exec, exec, s[6:7]
	s_cbranch_execz .LBB46_1242
.LBB46_3292:
	v_mov_b32_e32 v2, 0
	v_cmp_ne_u16_sdwa s[8:9], v8, v2 src0_sel:BYTE_3 src1_sel:DWORD
	s_andn2_b64 s[4:5], s[4:5], exec
	s_and_b64 s[8:9], s[8:9], exec
	s_or_b64 s[4:5], s[4:5], s[8:9]
	s_or_b64 exec, exec, s[6:7]
	s_and_saveexec_b64 s[6:7], s[4:5]
	s_cbranch_execnz .LBB46_1243
	s_branch .LBB46_1244
.LBB46_3293:
	s_movk_i32 s4, 0x80
	v_cmp_eq_u16_sdwa s[12:13], v4, s4 src0_sel:BYTE_3 src1_sel:DWORD
	s_mov_b64 s[4:5], -1
                                        ; implicit-def: $sgpr10
	s_and_saveexec_b64 s[8:9], s[12:13]
; %bb.3294:
	s_mov_b32 s10, 0x7f800001
	s_xor_b64 s[4:5], exec, -1
; %bb.3295:
	s_or_b64 exec, exec, s[8:9]
	s_and_b64 s[4:5], s[4:5], exec
	s_or_saveexec_b64 s[6:7], s[6:7]
	v_mov_b32_e32 v3, s10
	s_xor_b64 exec, exec, s[6:7]
	s_cbranch_execz .LBB46_1246
.LBB46_3296:
	v_mov_b32_e32 v3, 0
	v_cmp_ne_u16_sdwa s[8:9], v4, v3 src0_sel:BYTE_3 src1_sel:DWORD
	s_andn2_b64 s[4:5], s[4:5], exec
	s_and_b64 s[8:9], s[8:9], exec
	s_or_b64 s[4:5], s[4:5], s[8:9]
	s_or_b64 exec, exec, s[6:7]
	s_and_saveexec_b64 s[6:7], s[4:5]
	s_cbranch_execnz .LBB46_1247
	s_branch .LBB46_1248
.LBB46_3297:
	s_movk_i32 s4, 0x80
	v_cmp_eq_u16_sdwa s[12:13], v9, s4 src0_sel:BYTE_0 src1_sel:DWORD
	s_mov_b64 s[4:5], -1
                                        ; implicit-def: $sgpr10
	s_and_saveexec_b64 s[8:9], s[12:13]
; %bb.3298:
	s_mov_b32 s10, 0x7f800001
	s_xor_b64 s[4:5], exec, -1
; %bb.3299:
	s_or_b64 exec, exec, s[8:9]
	s_and_b64 s[4:5], s[4:5], exec
	s_or_saveexec_b64 s[6:7], s[6:7]
	v_mov_b32_e32 v2, s10
	s_xor_b64 exec, exec, s[6:7]
	s_cbranch_execz .LBB46_1250
.LBB46_3300:
	v_mov_b32_e32 v2, 0
	v_cmp_ne_u16_sdwa s[8:9], v9, v2 src0_sel:BYTE_0 src1_sel:DWORD
	s_andn2_b64 s[4:5], s[4:5], exec
	s_and_b64 s[8:9], s[8:9], exec
	s_or_b64 s[4:5], s[4:5], s[8:9]
	s_or_b64 exec, exec, s[6:7]
	s_and_saveexec_b64 s[6:7], s[4:5]
	s_cbranch_execnz .LBB46_1251
	s_branch .LBB46_1252
.LBB46_3301:
	s_movk_i32 s4, 0x80
	v_cmp_eq_u16_sdwa s[12:13], v5, s4 src0_sel:BYTE_0 src1_sel:DWORD
	s_mov_b64 s[4:5], -1
                                        ; implicit-def: $sgpr10
	s_and_saveexec_b64 s[8:9], s[12:13]
; %bb.3302:
	s_mov_b32 s10, 0x7f800001
	s_xor_b64 s[4:5], exec, -1
; %bb.3303:
	s_or_b64 exec, exec, s[8:9]
	s_and_b64 s[4:5], s[4:5], exec
	s_or_saveexec_b64 s[6:7], s[6:7]
	v_mov_b32_e32 v3, s10
	s_xor_b64 exec, exec, s[6:7]
	s_cbranch_execz .LBB46_1254
.LBB46_3304:
	v_mov_b32_e32 v3, 0
	v_cmp_ne_u16_sdwa s[8:9], v5, v3 src0_sel:BYTE_0 src1_sel:DWORD
	s_andn2_b64 s[4:5], s[4:5], exec
	s_and_b64 s[8:9], s[8:9], exec
	s_or_b64 s[4:5], s[4:5], s[8:9]
	s_or_b64 exec, exec, s[6:7]
	s_and_saveexec_b64 s[6:7], s[4:5]
	s_cbranch_execnz .LBB46_1255
	s_branch .LBB46_1256
.LBB46_3305:
	s_movk_i32 s4, 0x80
	v_cmp_eq_u16_sdwa s[12:13], v3, s4 src0_sel:BYTE_0 src1_sel:DWORD
	s_mov_b64 s[4:5], -1
                                        ; implicit-def: $sgpr10
	s_and_saveexec_b64 s[8:9], s[12:13]
; %bb.3306:
	s_mov_b32 s10, 0x7f800001
	s_xor_b64 s[4:5], exec, -1
; %bb.3307:
	s_or_b64 exec, exec, s[8:9]
	s_and_b64 s[4:5], s[4:5], exec
	s_or_saveexec_b64 s[6:7], s[6:7]
	v_mov_b32_e32 v2, s10
	s_xor_b64 exec, exec, s[6:7]
	s_cbranch_execz .LBB46_1258
.LBB46_3308:
	v_mov_b32_e32 v2, 0
	v_cmp_ne_u16_sdwa s[8:9], v3, v2 src0_sel:BYTE_0 src1_sel:DWORD
	s_andn2_b64 s[4:5], s[4:5], exec
	s_and_b64 s[8:9], s[8:9], exec
	s_or_b64 s[4:5], s[4:5], s[8:9]
	s_or_b64 exec, exec, s[6:7]
	s_and_saveexec_b64 s[6:7], s[4:5]
	s_cbranch_execnz .LBB46_1259
	s_branch .LBB46_1260
.LBB46_3309:
	s_movk_i32 s4, 0x80
	v_cmp_eq_u16_sdwa s[12:13], v3, s4 src0_sel:BYTE_0 src1_sel:DWORD
	s_mov_b64 s[4:5], -1
                                        ; implicit-def: $sgpr10
	s_and_saveexec_b64 s[8:9], s[12:13]
; %bb.3310:
	s_mov_b32 s10, 0x7f800001
	s_xor_b64 s[4:5], exec, -1
; %bb.3311:
	s_or_b64 exec, exec, s[8:9]
	s_and_b64 s[4:5], s[4:5], exec
	s_or_saveexec_b64 s[6:7], s[6:7]
	v_mov_b32_e32 v4, s10
	s_xor_b64 exec, exec, s[6:7]
	s_cbranch_execz .LBB46_1262
.LBB46_3312:
	v_mov_b32_e32 v4, 0
	v_cmp_ne_u16_sdwa s[8:9], v3, v4 src0_sel:BYTE_0 src1_sel:DWORD
	s_andn2_b64 s[4:5], s[4:5], exec
	s_and_b64 s[8:9], s[8:9], exec
	s_or_b64 s[4:5], s[4:5], s[8:9]
	s_or_b64 exec, exec, s[6:7]
	s_and_saveexec_b64 s[6:7], s[4:5]
	s_cbranch_execnz .LBB46_1263
	s_branch .LBB46_1264
.LBB46_3313:
	s_movk_i32 s4, 0x80
	v_cmp_eq_u16_e32 vcc, s4, v3
	s_mov_b64 s[4:5], -1
                                        ; implicit-def: $sgpr10
	s_and_saveexec_b64 s[8:9], vcc
; %bb.3314:
	s_mov_b32 s10, 0x7f800001
	s_xor_b64 s[4:5], exec, -1
; %bb.3315:
	s_or_b64 exec, exec, s[8:9]
	s_and_b64 s[4:5], s[4:5], exec
                                        ; implicit-def: $vgpr3
	s_or_saveexec_b64 s[6:7], s[6:7]
	v_mov_b32_e32 v2, s10
	s_xor_b64 exec, exec, s[6:7]
	s_cbranch_execz .LBB46_1266
.LBB46_3316:
	v_cmp_ne_u16_e32 vcc, 0, v3
	s_andn2_b64 s[4:5], s[4:5], exec
	s_and_b64 s[8:9], vcc, exec
	v_mov_b32_e32 v2, 0
	s_or_b64 s[4:5], s[4:5], s[8:9]
	s_or_b64 exec, exec, s[6:7]
	s_and_saveexec_b64 s[6:7], s[4:5]
	s_cbranch_execnz .LBB46_1267
	s_branch .LBB46_1268
.LBB46_3317:
	s_movk_i32 s4, 0x80
	v_cmp_eq_u16_e32 vcc, s4, v3
	s_mov_b64 s[4:5], -1
                                        ; implicit-def: $sgpr10
	s_and_saveexec_b64 s[8:9], vcc
; %bb.3318:
	s_mov_b32 s10, 0x7f800001
	s_xor_b64 s[4:5], exec, -1
; %bb.3319:
	s_or_b64 exec, exec, s[8:9]
	s_and_b64 s[4:5], s[4:5], exec
                                        ; implicit-def: $vgpr3
	s_or_saveexec_b64 s[6:7], s[6:7]
	v_mov_b32_e32 v4, s10
	s_xor_b64 exec, exec, s[6:7]
	s_cbranch_execz .LBB46_1270
.LBB46_3320:
	v_cmp_ne_u16_e32 vcc, 0, v3
	s_andn2_b64 s[4:5], s[4:5], exec
	s_and_b64 s[8:9], vcc, exec
	v_mov_b32_e32 v4, 0
	s_or_b64 s[4:5], s[4:5], s[8:9]
	s_or_b64 exec, exec, s[6:7]
	s_and_saveexec_b64 s[6:7], s[4:5]
	s_cbranch_execnz .LBB46_1271
	s_branch .LBB46_1272
.LBB46_3321:
	s_movk_i32 s4, 0x80
	v_cmp_eq_u16_sdwa s[12:13], v9, s4 src0_sel:BYTE_3 src1_sel:DWORD
	s_mov_b64 s[4:5], -1
                                        ; implicit-def: $sgpr10
	s_and_saveexec_b64 s[8:9], s[12:13]
; %bb.3322:
	s_mov_b32 s10, 0x7f800001
	s_xor_b64 s[4:5], exec, -1
; %bb.3323:
	s_or_b64 exec, exec, s[8:9]
	s_and_b64 s[4:5], s[4:5], exec
	s_or_saveexec_b64 s[6:7], s[6:7]
	v_mov_b32_e32 v2, s10
	s_xor_b64 exec, exec, s[6:7]
	s_cbranch_execz .LBB46_1274
.LBB46_3324:
	v_mov_b32_e32 v2, 0
	v_cmp_ne_u16_sdwa s[8:9], v9, v2 src0_sel:BYTE_3 src1_sel:DWORD
	s_andn2_b64 s[4:5], s[4:5], exec
	s_and_b64 s[8:9], s[8:9], exec
	s_or_b64 s[4:5], s[4:5], s[8:9]
	s_or_b64 exec, exec, s[6:7]
	s_and_saveexec_b64 s[6:7], s[4:5]
	s_cbranch_execnz .LBB46_1275
	s_branch .LBB46_1276
.LBB46_3325:
	s_movk_i32 s4, 0x80
	v_cmp_eq_u16_sdwa s[12:13], v5, s4 src0_sel:BYTE_3 src1_sel:DWORD
	s_mov_b64 s[4:5], -1
                                        ; implicit-def: $sgpr10
	s_and_saveexec_b64 s[8:9], s[12:13]
; %bb.3326:
	s_mov_b32 s10, 0x7f800001
	s_xor_b64 s[4:5], exec, -1
; %bb.3327:
	s_or_b64 exec, exec, s[8:9]
	s_and_b64 s[4:5], s[4:5], exec
	s_or_saveexec_b64 s[6:7], s[6:7]
	v_mov_b32_e32 v3, s10
	s_xor_b64 exec, exec, s[6:7]
	s_cbranch_execz .LBB46_1278
.LBB46_3328:
	v_mov_b32_e32 v3, 0
	v_cmp_ne_u16_sdwa s[8:9], v5, v3 src0_sel:BYTE_3 src1_sel:DWORD
	s_andn2_b64 s[4:5], s[4:5], exec
	s_and_b64 s[8:9], s[8:9], exec
	s_or_b64 s[4:5], s[4:5], s[8:9]
	s_or_b64 exec, exec, s[6:7]
	s_and_saveexec_b64 s[6:7], s[4:5]
	s_cbranch_execnz .LBB46_1279
	s_branch .LBB46_1280
.LBB46_3329:
	s_movk_i32 s4, 0x80
	v_cmp_eq_u16_sdwa s[12:13], v14, s4 src0_sel:BYTE_0 src1_sel:DWORD
	s_mov_b64 s[4:5], -1
                                        ; implicit-def: $sgpr10
	s_and_saveexec_b64 s[8:9], s[12:13]
; %bb.3330:
	s_mov_b32 s10, 0x7f800001
	s_xor_b64 s[4:5], exec, -1
; %bb.3331:
	s_or_b64 exec, exec, s[8:9]
	s_and_b64 s[4:5], s[4:5], exec
	s_or_saveexec_b64 s[6:7], s[6:7]
	v_mov_b32_e32 v20, s10
	s_xor_b64 exec, exec, s[6:7]
	s_cbranch_execz .LBB46_1282
.LBB46_3332:
	v_mov_b32_e32 v20, 0
	v_cmp_ne_u16_sdwa s[8:9], v14, v20 src0_sel:BYTE_0 src1_sel:DWORD
	s_andn2_b64 s[4:5], s[4:5], exec
	s_and_b64 s[8:9], s[8:9], exec
	s_or_b64 s[4:5], s[4:5], s[8:9]
	s_or_b64 exec, exec, s[6:7]
	s_and_saveexec_b64 s[6:7], s[4:5]
	s_cbranch_execnz .LBB46_1283
	s_branch .LBB46_1284
.LBB46_3333:
	s_movk_i32 s4, 0x80
	v_cmp_eq_u16_sdwa s[12:13], v10, s4 src0_sel:BYTE_0 src1_sel:DWORD
	s_mov_b64 s[4:5], -1
                                        ; implicit-def: $sgpr10
	s_and_saveexec_b64 s[8:9], s[12:13]
; %bb.3334:
	s_mov_b32 s10, 0x7f800001
	s_xor_b64 s[4:5], exec, -1
; %bb.3335:
	s_or_b64 exec, exec, s[8:9]
	s_and_b64 s[4:5], s[4:5], exec
	s_or_saveexec_b64 s[6:7], s[6:7]
	v_mov_b32_e32 v21, s10
	s_xor_b64 exec, exec, s[6:7]
	s_cbranch_execz .LBB46_1286
.LBB46_3336:
	v_mov_b32_e32 v21, 0
	v_cmp_ne_u16_sdwa s[8:9], v10, v21 src0_sel:BYTE_0 src1_sel:DWORD
	s_andn2_b64 s[4:5], s[4:5], exec
	s_and_b64 s[8:9], s[8:9], exec
	s_or_b64 s[4:5], s[4:5], s[8:9]
	s_or_b64 exec, exec, s[6:7]
	s_and_saveexec_b64 s[6:7], s[4:5]
	s_cbranch_execnz .LBB46_1287
	s_branch .LBB46_1288
.LBB46_3337:
	s_movk_i32 s4, 0x80
	v_cmp_eq_u16_sdwa s[12:13], v21, s4 src0_sel:BYTE_0 src1_sel:DWORD
	s_mov_b64 s[4:5], -1
                                        ; implicit-def: $sgpr10
	s_and_saveexec_b64 s[8:9], s[12:13]
; %bb.3338:
	s_mov_b32 s10, 0x7f800001
	s_xor_b64 s[4:5], exec, -1
; %bb.3339:
	s_or_b64 exec, exec, s[8:9]
	s_and_b64 s[4:5], s[4:5], exec
	s_or_saveexec_b64 s[6:7], s[6:7]
	v_mov_b32_e32 v20, s10
	s_xor_b64 exec, exec, s[6:7]
	s_cbranch_execz .LBB46_1290
.LBB46_3340:
	v_mov_b32_e32 v20, 0
	v_cmp_ne_u16_sdwa s[8:9], v21, v20 src0_sel:BYTE_0 src1_sel:DWORD
	s_andn2_b64 s[4:5], s[4:5], exec
	s_and_b64 s[8:9], s[8:9], exec
	s_or_b64 s[4:5], s[4:5], s[8:9]
	s_or_b64 exec, exec, s[6:7]
	s_and_saveexec_b64 s[6:7], s[4:5]
	s_cbranch_execnz .LBB46_1291
	s_branch .LBB46_1292
.LBB46_3341:
	s_movk_i32 s4, 0x80
	v_cmp_eq_u16_sdwa s[12:13], v21, s4 src0_sel:BYTE_0 src1_sel:DWORD
	s_mov_b64 s[4:5], -1
                                        ; implicit-def: $sgpr10
	s_and_saveexec_b64 s[8:9], s[12:13]
; %bb.3342:
	s_mov_b32 s10, 0x7f800001
	s_xor_b64 s[4:5], exec, -1
; %bb.3343:
	s_or_b64 exec, exec, s[8:9]
	s_and_b64 s[4:5], s[4:5], exec
	s_or_saveexec_b64 s[6:7], s[6:7]
	v_mov_b32_e32 v22, s10
	s_xor_b64 exec, exec, s[6:7]
	s_cbranch_execz .LBB46_1294
.LBB46_3344:
	v_mov_b32_e32 v22, 0
	v_cmp_ne_u16_sdwa s[8:9], v21, v22 src0_sel:BYTE_0 src1_sel:DWORD
	s_andn2_b64 s[4:5], s[4:5], exec
	s_and_b64 s[8:9], s[8:9], exec
	s_or_b64 s[4:5], s[4:5], s[8:9]
	s_or_b64 exec, exec, s[6:7]
	s_and_saveexec_b64 s[6:7], s[4:5]
	s_cbranch_execnz .LBB46_1295
	s_branch .LBB46_1296
.LBB46_3345:
	s_movk_i32 s4, 0x80
	v_cmp_eq_u16_e32 vcc, s4, v21
	s_mov_b64 s[4:5], -1
                                        ; implicit-def: $sgpr10
	s_and_saveexec_b64 s[8:9], vcc
; %bb.3346:
	s_mov_b32 s10, 0x7f800001
	s_xor_b64 s[4:5], exec, -1
; %bb.3347:
	s_or_b64 exec, exec, s[8:9]
	s_and_b64 s[4:5], s[4:5], exec
                                        ; implicit-def: $vgpr21
	s_or_saveexec_b64 s[6:7], s[6:7]
	v_mov_b32_e32 v20, s10
	s_xor_b64 exec, exec, s[6:7]
	s_cbranch_execz .LBB46_1298
.LBB46_3348:
	v_cmp_ne_u16_e32 vcc, 0, v21
	s_andn2_b64 s[4:5], s[4:5], exec
	s_and_b64 s[8:9], vcc, exec
	v_mov_b32_e32 v20, 0
	s_or_b64 s[4:5], s[4:5], s[8:9]
	s_or_b64 exec, exec, s[6:7]
	s_and_saveexec_b64 s[6:7], s[4:5]
	s_cbranch_execnz .LBB46_1299
	s_branch .LBB46_1300
.LBB46_3349:
	s_movk_i32 s4, 0x80
	v_cmp_eq_u16_e32 vcc, s4, v21
	s_mov_b64 s[4:5], -1
                                        ; implicit-def: $sgpr10
	s_and_saveexec_b64 s[8:9], vcc
; %bb.3350:
	s_mov_b32 s10, 0x7f800001
	s_xor_b64 s[4:5], exec, -1
; %bb.3351:
	s_or_b64 exec, exec, s[8:9]
	s_and_b64 s[4:5], s[4:5], exec
                                        ; implicit-def: $vgpr21
	s_or_saveexec_b64 s[6:7], s[6:7]
	v_mov_b32_e32 v22, s10
	s_xor_b64 exec, exec, s[6:7]
	s_cbranch_execz .LBB46_1302
.LBB46_3352:
	v_cmp_ne_u16_e32 vcc, 0, v21
	s_andn2_b64 s[4:5], s[4:5], exec
	s_and_b64 s[8:9], vcc, exec
	v_mov_b32_e32 v22, 0
	s_or_b64 s[4:5], s[4:5], s[8:9]
	s_or_b64 exec, exec, s[6:7]
	s_and_saveexec_b64 s[6:7], s[4:5]
	s_cbranch_execnz .LBB46_1303
	s_branch .LBB46_1304
.LBB46_3353:
	s_movk_i32 s4, 0x80
	v_cmp_eq_u16_sdwa s[12:13], v14, s4 src0_sel:BYTE_3 src1_sel:DWORD
	s_mov_b64 s[4:5], -1
                                        ; implicit-def: $sgpr10
	s_and_saveexec_b64 s[8:9], s[12:13]
; %bb.3354:
	s_mov_b32 s10, 0x7f800001
	s_xor_b64 s[4:5], exec, -1
; %bb.3355:
	s_or_b64 exec, exec, s[8:9]
	s_and_b64 s[4:5], s[4:5], exec
	s_or_saveexec_b64 s[6:7], s[6:7]
	v_mov_b32_e32 v20, s10
	s_xor_b64 exec, exec, s[6:7]
	s_cbranch_execz .LBB46_1306
.LBB46_3356:
	v_mov_b32_e32 v20, 0
	v_cmp_ne_u16_sdwa s[8:9], v14, v20 src0_sel:BYTE_3 src1_sel:DWORD
	s_andn2_b64 s[4:5], s[4:5], exec
	s_and_b64 s[8:9], s[8:9], exec
	s_or_b64 s[4:5], s[4:5], s[8:9]
	s_or_b64 exec, exec, s[6:7]
	s_and_saveexec_b64 s[6:7], s[4:5]
	s_cbranch_execnz .LBB46_1307
	s_branch .LBB46_1308
.LBB46_3357:
	s_movk_i32 s4, 0x80
	v_cmp_eq_u16_sdwa s[12:13], v10, s4 src0_sel:BYTE_3 src1_sel:DWORD
	s_mov_b64 s[4:5], -1
                                        ; implicit-def: $sgpr10
	s_and_saveexec_b64 s[8:9], s[12:13]
; %bb.3358:
	s_mov_b32 s10, 0x7f800001
	s_xor_b64 s[4:5], exec, -1
; %bb.3359:
	s_or_b64 exec, exec, s[8:9]
	s_and_b64 s[4:5], s[4:5], exec
	s_or_saveexec_b64 s[6:7], s[6:7]
	v_mov_b32_e32 v14, s10
	s_xor_b64 exec, exec, s[6:7]
	s_cbranch_execz .LBB46_1310
.LBB46_3360:
	v_mov_b32_e32 v14, 0
	v_cmp_ne_u16_sdwa s[8:9], v10, v14 src0_sel:BYTE_3 src1_sel:DWORD
	s_andn2_b64 s[4:5], s[4:5], exec
	s_and_b64 s[8:9], s[8:9], exec
	s_or_b64 s[4:5], s[4:5], s[8:9]
	s_or_b64 exec, exec, s[6:7]
	s_and_saveexec_b64 s[6:7], s[4:5]
	s_cbranch_execnz .LBB46_1311
	s_branch .LBB46_1312
.LBB46_3361:
	s_movk_i32 s4, 0x80
	v_cmp_eq_u16_sdwa s[12:13], v15, s4 src0_sel:BYTE_0 src1_sel:DWORD
	s_mov_b64 s[4:5], -1
                                        ; implicit-def: $sgpr10
	s_and_saveexec_b64 s[8:9], s[12:13]
; %bb.3362:
	s_mov_b32 s10, 0x7f800001
	s_xor_b64 s[4:5], exec, -1
; %bb.3363:
	s_or_b64 exec, exec, s[8:9]
	s_and_b64 s[4:5], s[4:5], exec
	s_or_saveexec_b64 s[6:7], s[6:7]
	v_mov_b32_e32 v10, s10
	s_xor_b64 exec, exec, s[6:7]
	s_cbranch_execz .LBB46_1314
.LBB46_3364:
	v_mov_b32_e32 v10, 0
	v_cmp_ne_u16_sdwa s[8:9], v15, v10 src0_sel:BYTE_0 src1_sel:DWORD
	s_andn2_b64 s[4:5], s[4:5], exec
	s_and_b64 s[8:9], s[8:9], exec
	s_or_b64 s[4:5], s[4:5], s[8:9]
	s_or_b64 exec, exec, s[6:7]
	s_and_saveexec_b64 s[6:7], s[4:5]
	s_cbranch_execnz .LBB46_1315
	s_branch .LBB46_1316
.LBB46_3365:
	s_movk_i32 s4, 0x80
	v_cmp_eq_u16_sdwa s[12:13], v11, s4 src0_sel:BYTE_0 src1_sel:DWORD
	s_mov_b64 s[4:5], -1
                                        ; implicit-def: $sgpr10
	s_and_saveexec_b64 s[8:9], s[12:13]
; %bb.3366:
	s_mov_b32 s10, 0x7f800001
	s_xor_b64 s[4:5], exec, -1
; %bb.3367:
	s_or_b64 exec, exec, s[8:9]
	s_and_b64 s[4:5], s[4:5], exec
	s_or_saveexec_b64 s[6:7], s[6:7]
	v_mov_b32_e32 v14, s10
	s_xor_b64 exec, exec, s[6:7]
	s_cbranch_execz .LBB46_1318
.LBB46_3368:
	v_mov_b32_e32 v14, 0
	v_cmp_ne_u16_sdwa s[8:9], v11, v14 src0_sel:BYTE_0 src1_sel:DWORD
	s_andn2_b64 s[4:5], s[4:5], exec
	s_and_b64 s[8:9], s[8:9], exec
	s_or_b64 s[4:5], s[4:5], s[8:9]
	s_or_b64 exec, exec, s[6:7]
	s_and_saveexec_b64 s[6:7], s[4:5]
	s_cbranch_execnz .LBB46_1319
	s_branch .LBB46_1320
.LBB46_3369:
	s_movk_i32 s4, 0x80
	v_cmp_eq_u16_sdwa s[12:13], v14, s4 src0_sel:BYTE_0 src1_sel:DWORD
	s_mov_b64 s[4:5], -1
                                        ; implicit-def: $sgpr10
	s_and_saveexec_b64 s[8:9], s[12:13]
; %bb.3370:
	s_mov_b32 s10, 0x7f800001
	s_xor_b64 s[4:5], exec, -1
; %bb.3371:
	s_or_b64 exec, exec, s[8:9]
	s_and_b64 s[4:5], s[4:5], exec
	s_or_saveexec_b64 s[6:7], s[6:7]
	v_mov_b32_e32 v10, s10
	s_xor_b64 exec, exec, s[6:7]
	s_cbranch_execz .LBB46_1322
.LBB46_3372:
	v_mov_b32_e32 v10, 0
	v_cmp_ne_u16_sdwa s[8:9], v14, v10 src0_sel:BYTE_0 src1_sel:DWORD
	s_andn2_b64 s[4:5], s[4:5], exec
	s_and_b64 s[8:9], s[8:9], exec
	s_or_b64 s[4:5], s[4:5], s[8:9]
	s_or_b64 exec, exec, s[6:7]
	s_and_saveexec_b64 s[6:7], s[4:5]
	s_cbranch_execnz .LBB46_1323
	s_branch .LBB46_1324
.LBB46_3373:
	s_movk_i32 s4, 0x80
	v_cmp_eq_u16_sdwa s[12:13], v14, s4 src0_sel:BYTE_0 src1_sel:DWORD
	s_mov_b64 s[4:5], -1
                                        ; implicit-def: $sgpr10
	s_and_saveexec_b64 s[8:9], s[12:13]
; %bb.3374:
	s_mov_b32 s10, 0x7f800001
	s_xor_b64 s[4:5], exec, -1
; %bb.3375:
	s_or_b64 exec, exec, s[8:9]
	s_and_b64 s[4:5], s[4:5], exec
	s_or_saveexec_b64 s[6:7], s[6:7]
	v_mov_b32_e32 v20, s10
	s_xor_b64 exec, exec, s[6:7]
	s_cbranch_execz .LBB46_1326
.LBB46_3376:
	v_mov_b32_e32 v20, 0
	v_cmp_ne_u16_sdwa s[8:9], v14, v20 src0_sel:BYTE_0 src1_sel:DWORD
	s_andn2_b64 s[4:5], s[4:5], exec
	s_and_b64 s[8:9], s[8:9], exec
	s_or_b64 s[4:5], s[4:5], s[8:9]
	s_or_b64 exec, exec, s[6:7]
	s_and_saveexec_b64 s[6:7], s[4:5]
	s_cbranch_execnz .LBB46_1327
	s_branch .LBB46_1328
.LBB46_3377:
	s_movk_i32 s4, 0x80
	v_cmp_eq_u16_e32 vcc, s4, v14
	s_mov_b64 s[4:5], -1
                                        ; implicit-def: $sgpr10
	s_and_saveexec_b64 s[8:9], vcc
; %bb.3378:
	s_mov_b32 s10, 0x7f800001
	s_xor_b64 s[4:5], exec, -1
; %bb.3379:
	s_or_b64 exec, exec, s[8:9]
	s_and_b64 s[4:5], s[4:5], exec
                                        ; implicit-def: $vgpr14
	s_or_saveexec_b64 s[6:7], s[6:7]
	v_mov_b32_e32 v10, s10
	s_xor_b64 exec, exec, s[6:7]
	s_cbranch_execz .LBB46_1330
.LBB46_3380:
	v_cmp_ne_u16_e32 vcc, 0, v14
	s_andn2_b64 s[4:5], s[4:5], exec
	s_and_b64 s[8:9], vcc, exec
	v_mov_b32_e32 v10, 0
	s_or_b64 s[4:5], s[4:5], s[8:9]
	s_or_b64 exec, exec, s[6:7]
	s_and_saveexec_b64 s[6:7], s[4:5]
	s_cbranch_execnz .LBB46_1331
	s_branch .LBB46_1332
.LBB46_3381:
	s_movk_i32 s4, 0x80
	v_cmp_eq_u16_e32 vcc, s4, v14
	s_mov_b64 s[4:5], -1
                                        ; implicit-def: $sgpr10
	s_and_saveexec_b64 s[8:9], vcc
; %bb.3382:
	s_mov_b32 s10, 0x7f800001
	s_xor_b64 s[4:5], exec, -1
; %bb.3383:
	s_or_b64 exec, exec, s[8:9]
	s_and_b64 s[4:5], s[4:5], exec
                                        ; implicit-def: $vgpr14
	s_or_saveexec_b64 s[6:7], s[6:7]
	v_mov_b32_e32 v20, s10
	s_xor_b64 exec, exec, s[6:7]
	s_cbranch_execz .LBB46_1334
.LBB46_3384:
	v_cmp_ne_u16_e32 vcc, 0, v14
	s_andn2_b64 s[4:5], s[4:5], exec
	s_and_b64 s[8:9], vcc, exec
	v_mov_b32_e32 v20, 0
	s_or_b64 s[4:5], s[4:5], s[8:9]
	s_or_b64 exec, exec, s[6:7]
	s_and_saveexec_b64 s[6:7], s[4:5]
	s_cbranch_execnz .LBB46_1335
	s_branch .LBB46_1336
.LBB46_3385:
	s_movk_i32 s4, 0x80
	v_cmp_eq_u16_sdwa s[12:13], v15, s4 src0_sel:BYTE_3 src1_sel:DWORD
	s_mov_b64 s[4:5], -1
                                        ; implicit-def: $sgpr10
	s_and_saveexec_b64 s[8:9], s[12:13]
; %bb.3386:
	s_mov_b32 s10, 0x7f800001
	s_xor_b64 s[4:5], exec, -1
; %bb.3387:
	s_or_b64 exec, exec, s[8:9]
	s_and_b64 s[4:5], s[4:5], exec
	s_or_saveexec_b64 s[6:7], s[6:7]
	v_mov_b32_e32 v10, s10
	s_xor_b64 exec, exec, s[6:7]
	s_cbranch_execz .LBB46_1338
.LBB46_3388:
	v_mov_b32_e32 v10, 0
	v_cmp_ne_u16_sdwa s[8:9], v15, v10 src0_sel:BYTE_3 src1_sel:DWORD
	s_andn2_b64 s[4:5], s[4:5], exec
	s_and_b64 s[8:9], s[8:9], exec
	s_or_b64 s[4:5], s[4:5], s[8:9]
	s_or_b64 exec, exec, s[6:7]
	s_and_saveexec_b64 s[6:7], s[4:5]
	s_cbranch_execnz .LBB46_1339
	s_branch .LBB46_1340
.LBB46_3389:
	s_movk_i32 s4, 0x80
	v_cmp_eq_u16_sdwa s[12:13], v11, s4 src0_sel:BYTE_3 src1_sel:DWORD
	s_mov_b64 s[4:5], -1
                                        ; implicit-def: $sgpr10
	s_and_saveexec_b64 s[8:9], s[12:13]
; %bb.3390:
	s_mov_b32 s10, 0x7f800001
	s_xor_b64 s[4:5], exec, -1
; %bb.3391:
	s_or_b64 exec, exec, s[8:9]
	s_and_b64 s[4:5], s[4:5], exec
	s_or_saveexec_b64 s[6:7], s[6:7]
	v_mov_b32_e32 v14, s10
	s_xor_b64 exec, exec, s[6:7]
	s_cbranch_execz .LBB46_1342
.LBB46_3392:
	v_mov_b32_e32 v14, 0
	v_cmp_ne_u16_sdwa s[8:9], v11, v14 src0_sel:BYTE_3 src1_sel:DWORD
	s_andn2_b64 s[4:5], s[4:5], exec
	s_and_b64 s[8:9], s[8:9], exec
	s_or_b64 s[4:5], s[4:5], s[8:9]
	s_or_b64 exec, exec, s[6:7]
	s_and_saveexec_b64 s[6:7], s[4:5]
	s_cbranch_execnz .LBB46_1343
	s_branch .LBB46_1344
.LBB46_3393:
	s_movk_i32 s4, 0x80
	v_cmp_eq_u16_sdwa s[12:13], v16, s4 src0_sel:BYTE_0 src1_sel:DWORD
	s_mov_b64 s[4:5], -1
                                        ; implicit-def: $sgpr10
	s_and_saveexec_b64 s[8:9], s[12:13]
; %bb.3394:
	s_mov_b32 s10, 0x7f800001
	s_xor_b64 s[4:5], exec, -1
; %bb.3395:
	s_or_b64 exec, exec, s[8:9]
	s_and_b64 s[4:5], s[4:5], exec
	s_or_saveexec_b64 s[6:7], s[6:7]
	v_mov_b32_e32 v10, s10
	s_xor_b64 exec, exec, s[6:7]
	s_cbranch_execz .LBB46_1346
.LBB46_3396:
	v_mov_b32_e32 v10, 0
	v_cmp_ne_u16_sdwa s[8:9], v16, v10 src0_sel:BYTE_0 src1_sel:DWORD
	s_andn2_b64 s[4:5], s[4:5], exec
	s_and_b64 s[8:9], s[8:9], exec
	s_or_b64 s[4:5], s[4:5], s[8:9]
	s_or_b64 exec, exec, s[6:7]
	s_and_saveexec_b64 s[6:7], s[4:5]
	s_cbranch_execnz .LBB46_1347
	s_branch .LBB46_1348
.LBB46_3397:
	s_movk_i32 s4, 0x80
	v_cmp_eq_u16_sdwa s[12:13], v12, s4 src0_sel:BYTE_0 src1_sel:DWORD
	s_mov_b64 s[4:5], -1
                                        ; implicit-def: $sgpr10
	s_and_saveexec_b64 s[8:9], s[12:13]
; %bb.3398:
	s_mov_b32 s10, 0x7f800001
	s_xor_b64 s[4:5], exec, -1
; %bb.3399:
	s_or_b64 exec, exec, s[8:9]
	s_and_b64 s[4:5], s[4:5], exec
	s_or_saveexec_b64 s[6:7], s[6:7]
	v_mov_b32_e32 v11, s10
	s_xor_b64 exec, exec, s[6:7]
	s_cbranch_execz .LBB46_1350
.LBB46_3400:
	v_mov_b32_e32 v11, 0
	v_cmp_ne_u16_sdwa s[8:9], v12, v11 src0_sel:BYTE_0 src1_sel:DWORD
	s_andn2_b64 s[4:5], s[4:5], exec
	s_and_b64 s[8:9], s[8:9], exec
	s_or_b64 s[4:5], s[4:5], s[8:9]
	s_or_b64 exec, exec, s[6:7]
	s_and_saveexec_b64 s[6:7], s[4:5]
	s_cbranch_execnz .LBB46_1351
	s_branch .LBB46_1352
.LBB46_3401:
	s_movk_i32 s4, 0x80
	v_cmp_eq_u16_sdwa s[12:13], v11, s4 src0_sel:BYTE_0 src1_sel:DWORD
	s_mov_b64 s[4:5], -1
                                        ; implicit-def: $sgpr10
	s_and_saveexec_b64 s[8:9], s[12:13]
; %bb.3402:
	s_mov_b32 s10, 0x7f800001
	s_xor_b64 s[4:5], exec, -1
; %bb.3403:
	s_or_b64 exec, exec, s[8:9]
	s_and_b64 s[4:5], s[4:5], exec
	s_or_saveexec_b64 s[6:7], s[6:7]
	v_mov_b32_e32 v10, s10
	s_xor_b64 exec, exec, s[6:7]
	s_cbranch_execz .LBB46_1354
.LBB46_3404:
	v_mov_b32_e32 v10, 0
	v_cmp_ne_u16_sdwa s[8:9], v11, v10 src0_sel:BYTE_0 src1_sel:DWORD
	s_andn2_b64 s[4:5], s[4:5], exec
	s_and_b64 s[8:9], s[8:9], exec
	s_or_b64 s[4:5], s[4:5], s[8:9]
	s_or_b64 exec, exec, s[6:7]
	s_and_saveexec_b64 s[6:7], s[4:5]
	s_cbranch_execnz .LBB46_1355
	s_branch .LBB46_1356
.LBB46_3405:
	s_movk_i32 s4, 0x80
	v_cmp_eq_u16_sdwa s[12:13], v11, s4 src0_sel:BYTE_0 src1_sel:DWORD
	s_mov_b64 s[4:5], -1
                                        ; implicit-def: $sgpr10
	s_and_saveexec_b64 s[8:9], s[12:13]
; %bb.3406:
	s_mov_b32 s10, 0x7f800001
	s_xor_b64 s[4:5], exec, -1
; %bb.3407:
	s_or_b64 exec, exec, s[8:9]
	s_and_b64 s[4:5], s[4:5], exec
	s_or_saveexec_b64 s[6:7], s[6:7]
	v_mov_b32_e32 v14, s10
	s_xor_b64 exec, exec, s[6:7]
	s_cbranch_execz .LBB46_1358
.LBB46_3408:
	v_mov_b32_e32 v14, 0
	v_cmp_ne_u16_sdwa s[8:9], v11, v14 src0_sel:BYTE_0 src1_sel:DWORD
	s_andn2_b64 s[4:5], s[4:5], exec
	s_and_b64 s[8:9], s[8:9], exec
	s_or_b64 s[4:5], s[4:5], s[8:9]
	s_or_b64 exec, exec, s[6:7]
	s_and_saveexec_b64 s[6:7], s[4:5]
	s_cbranch_execnz .LBB46_1359
	s_branch .LBB46_1360
.LBB46_3409:
	s_movk_i32 s4, 0x80
	v_cmp_eq_u16_e32 vcc, s4, v11
	s_mov_b64 s[4:5], -1
                                        ; implicit-def: $sgpr10
	s_and_saveexec_b64 s[8:9], vcc
; %bb.3410:
	s_mov_b32 s10, 0x7f800001
	s_xor_b64 s[4:5], exec, -1
; %bb.3411:
	s_or_b64 exec, exec, s[8:9]
	s_and_b64 s[4:5], s[4:5], exec
                                        ; implicit-def: $vgpr11
	s_or_saveexec_b64 s[6:7], s[6:7]
	v_mov_b32_e32 v10, s10
	s_xor_b64 exec, exec, s[6:7]
	s_cbranch_execz .LBB46_1362
.LBB46_3412:
	v_cmp_ne_u16_e32 vcc, 0, v11
	s_andn2_b64 s[4:5], s[4:5], exec
	s_and_b64 s[8:9], vcc, exec
	v_mov_b32_e32 v10, 0
	s_or_b64 s[4:5], s[4:5], s[8:9]
	s_or_b64 exec, exec, s[6:7]
	s_and_saveexec_b64 s[6:7], s[4:5]
	s_cbranch_execnz .LBB46_1363
	s_branch .LBB46_1364
.LBB46_3413:
	s_movk_i32 s4, 0x80
	v_cmp_eq_u16_e32 vcc, s4, v11
	s_mov_b64 s[4:5], -1
                                        ; implicit-def: $sgpr10
	s_and_saveexec_b64 s[8:9], vcc
; %bb.3414:
	s_mov_b32 s10, 0x7f800001
	s_xor_b64 s[4:5], exec, -1
; %bb.3415:
	s_or_b64 exec, exec, s[8:9]
	s_and_b64 s[4:5], s[4:5], exec
                                        ; implicit-def: $vgpr11
	s_or_saveexec_b64 s[6:7], s[6:7]
	v_mov_b32_e32 v14, s10
	s_xor_b64 exec, exec, s[6:7]
	s_cbranch_execz .LBB46_1366
.LBB46_3416:
	v_cmp_ne_u16_e32 vcc, 0, v11
	s_andn2_b64 s[4:5], s[4:5], exec
	s_and_b64 s[8:9], vcc, exec
	v_mov_b32_e32 v14, 0
	s_or_b64 s[4:5], s[4:5], s[8:9]
	s_or_b64 exec, exec, s[6:7]
	s_and_saveexec_b64 s[6:7], s[4:5]
	s_cbranch_execnz .LBB46_1367
	s_branch .LBB46_1368
.LBB46_3417:
	s_movk_i32 s4, 0x80
	v_cmp_eq_u16_sdwa s[12:13], v16, s4 src0_sel:BYTE_3 src1_sel:DWORD
	s_mov_b64 s[4:5], -1
                                        ; implicit-def: $sgpr10
	s_and_saveexec_b64 s[8:9], s[12:13]
; %bb.3418:
	s_mov_b32 s10, 0x7f800001
	s_xor_b64 s[4:5], exec, -1
; %bb.3419:
	s_or_b64 exec, exec, s[8:9]
	s_and_b64 s[4:5], s[4:5], exec
	s_or_saveexec_b64 s[6:7], s[6:7]
	v_mov_b32_e32 v10, s10
	s_xor_b64 exec, exec, s[6:7]
	s_cbranch_execz .LBB46_1370
.LBB46_3420:
	v_mov_b32_e32 v10, 0
	v_cmp_ne_u16_sdwa s[8:9], v16, v10 src0_sel:BYTE_3 src1_sel:DWORD
	s_andn2_b64 s[4:5], s[4:5], exec
	s_and_b64 s[8:9], s[8:9], exec
	s_or_b64 s[4:5], s[4:5], s[8:9]
	s_or_b64 exec, exec, s[6:7]
	s_and_saveexec_b64 s[6:7], s[4:5]
	s_cbranch_execnz .LBB46_1371
	s_branch .LBB46_1372
.LBB46_3421:
	s_movk_i32 s4, 0x80
	v_cmp_eq_u16_sdwa s[12:13], v12, s4 src0_sel:BYTE_3 src1_sel:DWORD
	s_mov_b64 s[4:5], -1
                                        ; implicit-def: $sgpr10
	s_and_saveexec_b64 s[8:9], s[12:13]
; %bb.3422:
	s_mov_b32 s10, 0x7f800001
	s_xor_b64 s[4:5], exec, -1
; %bb.3423:
	s_or_b64 exec, exec, s[8:9]
	s_and_b64 s[4:5], s[4:5], exec
	s_or_saveexec_b64 s[6:7], s[6:7]
	v_mov_b32_e32 v11, s10
	s_xor_b64 exec, exec, s[6:7]
	s_cbranch_execz .LBB46_1374
.LBB46_3424:
	v_mov_b32_e32 v11, 0
	v_cmp_ne_u16_sdwa s[8:9], v12, v11 src0_sel:BYTE_3 src1_sel:DWORD
	s_andn2_b64 s[4:5], s[4:5], exec
	s_and_b64 s[8:9], s[8:9], exec
	s_or_b64 s[4:5], s[4:5], s[8:9]
	s_or_b64 exec, exec, s[6:7]
	s_and_saveexec_b64 s[6:7], s[4:5]
	s_cbranch_execnz .LBB46_1375
	s_branch .LBB46_1376
.LBB46_3425:
	s_movk_i32 s4, 0x80
	v_cmp_eq_u16_sdwa s[12:13], v17, s4 src0_sel:BYTE_0 src1_sel:DWORD
	s_mov_b64 s[4:5], -1
                                        ; implicit-def: $sgpr10
	s_and_saveexec_b64 s[8:9], s[12:13]
; %bb.3426:
	s_mov_b32 s10, 0x7f800001
	s_xor_b64 s[4:5], exec, -1
; %bb.3427:
	s_or_b64 exec, exec, s[8:9]
	s_and_b64 s[4:5], s[4:5], exec
	s_or_saveexec_b64 s[6:7], s[6:7]
	v_mov_b32_e32 v10, s10
	s_xor_b64 exec, exec, s[6:7]
	s_cbranch_execz .LBB46_1378
.LBB46_3428:
	v_mov_b32_e32 v10, 0
	v_cmp_ne_u16_sdwa s[8:9], v17, v10 src0_sel:BYTE_0 src1_sel:DWORD
	s_andn2_b64 s[4:5], s[4:5], exec
	s_and_b64 s[8:9], s[8:9], exec
	s_or_b64 s[4:5], s[4:5], s[8:9]
	s_or_b64 exec, exec, s[6:7]
	s_and_saveexec_b64 s[6:7], s[4:5]
	s_cbranch_execnz .LBB46_1379
	s_branch .LBB46_1380
.LBB46_3429:
	s_movk_i32 s4, 0x80
	v_cmp_eq_u16_sdwa s[12:13], v13, s4 src0_sel:BYTE_0 src1_sel:DWORD
	s_mov_b64 s[4:5], -1
                                        ; implicit-def: $sgpr10
	s_and_saveexec_b64 s[8:9], s[12:13]
; %bb.3430:
	s_mov_b32 s10, 0x7f800001
	s_xor_b64 s[4:5], exec, -1
; %bb.3431:
	s_or_b64 exec, exec, s[8:9]
	s_and_b64 s[4:5], s[4:5], exec
	s_or_saveexec_b64 s[6:7], s[6:7]
	v_mov_b32_e32 v11, s10
	s_xor_b64 exec, exec, s[6:7]
	s_cbranch_execz .LBB46_1382
.LBB46_3432:
	v_mov_b32_e32 v11, 0
	v_cmp_ne_u16_sdwa s[8:9], v13, v11 src0_sel:BYTE_0 src1_sel:DWORD
	s_andn2_b64 s[4:5], s[4:5], exec
	s_and_b64 s[8:9], s[8:9], exec
	s_or_b64 s[4:5], s[4:5], s[8:9]
	s_or_b64 exec, exec, s[6:7]
	s_and_saveexec_b64 s[6:7], s[4:5]
	s_cbranch_execnz .LBB46_1383
	s_branch .LBB46_1384
.LBB46_3433:
	s_movk_i32 s4, 0x80
	v_cmp_eq_u16_sdwa s[12:13], v11, s4 src0_sel:BYTE_0 src1_sel:DWORD
	s_mov_b64 s[4:5], -1
                                        ; implicit-def: $sgpr10
	s_and_saveexec_b64 s[8:9], s[12:13]
; %bb.3434:
	s_mov_b32 s10, 0x7f800001
	s_xor_b64 s[4:5], exec, -1
; %bb.3435:
	s_or_b64 exec, exec, s[8:9]
	s_and_b64 s[4:5], s[4:5], exec
	s_or_saveexec_b64 s[6:7], s[6:7]
	v_mov_b32_e32 v10, s10
	s_xor_b64 exec, exec, s[6:7]
	s_cbranch_execz .LBB46_1386
.LBB46_3436:
	v_mov_b32_e32 v10, 0
	v_cmp_ne_u16_sdwa s[8:9], v11, v10 src0_sel:BYTE_0 src1_sel:DWORD
	s_andn2_b64 s[4:5], s[4:5], exec
	s_and_b64 s[8:9], s[8:9], exec
	s_or_b64 s[4:5], s[4:5], s[8:9]
	s_or_b64 exec, exec, s[6:7]
	s_and_saveexec_b64 s[6:7], s[4:5]
	s_cbranch_execnz .LBB46_1387
	s_branch .LBB46_1388
.LBB46_3437:
	s_movk_i32 s4, 0x80
	v_cmp_eq_u16_sdwa s[12:13], v11, s4 src0_sel:BYTE_0 src1_sel:DWORD
	s_mov_b64 s[4:5], -1
                                        ; implicit-def: $sgpr10
	s_and_saveexec_b64 s[8:9], s[12:13]
; %bb.3438:
	s_mov_b32 s10, 0x7f800001
	s_xor_b64 s[4:5], exec, -1
; %bb.3439:
	s_or_b64 exec, exec, s[8:9]
	s_and_b64 s[4:5], s[4:5], exec
	s_or_saveexec_b64 s[6:7], s[6:7]
	v_mov_b32_e32 v12, s10
	s_xor_b64 exec, exec, s[6:7]
	s_cbranch_execz .LBB46_1390
.LBB46_3440:
	v_mov_b32_e32 v12, 0
	v_cmp_ne_u16_sdwa s[8:9], v11, v12 src0_sel:BYTE_0 src1_sel:DWORD
	s_andn2_b64 s[4:5], s[4:5], exec
	s_and_b64 s[8:9], s[8:9], exec
	s_or_b64 s[4:5], s[4:5], s[8:9]
	s_or_b64 exec, exec, s[6:7]
	s_and_saveexec_b64 s[6:7], s[4:5]
	s_cbranch_execnz .LBB46_1391
	s_branch .LBB46_1392
.LBB46_3441:
	s_movk_i32 s4, 0x80
	v_cmp_eq_u16_e32 vcc, s4, v11
	s_mov_b64 s[4:5], -1
                                        ; implicit-def: $sgpr10
	s_and_saveexec_b64 s[8:9], vcc
; %bb.3442:
	s_mov_b32 s10, 0x7f800001
	s_xor_b64 s[4:5], exec, -1
; %bb.3443:
	s_or_b64 exec, exec, s[8:9]
	s_and_b64 s[4:5], s[4:5], exec
                                        ; implicit-def: $vgpr11
	s_or_saveexec_b64 s[6:7], s[6:7]
	v_mov_b32_e32 v10, s10
	s_xor_b64 exec, exec, s[6:7]
	s_cbranch_execz .LBB46_1394
.LBB46_3444:
	v_cmp_ne_u16_e32 vcc, 0, v11
	s_andn2_b64 s[4:5], s[4:5], exec
	s_and_b64 s[8:9], vcc, exec
	v_mov_b32_e32 v10, 0
	s_or_b64 s[4:5], s[4:5], s[8:9]
	s_or_b64 exec, exec, s[6:7]
	s_and_saveexec_b64 s[6:7], s[4:5]
	s_cbranch_execnz .LBB46_1395
	s_branch .LBB46_1396
.LBB46_3445:
	s_movk_i32 s4, 0x80
	v_cmp_eq_u16_e32 vcc, s4, v11
	s_mov_b64 s[4:5], -1
                                        ; implicit-def: $sgpr10
	s_and_saveexec_b64 s[8:9], vcc
; %bb.3446:
	s_mov_b32 s10, 0x7f800001
	s_xor_b64 s[4:5], exec, -1
; %bb.3447:
	s_or_b64 exec, exec, s[8:9]
	s_and_b64 s[4:5], s[4:5], exec
                                        ; implicit-def: $vgpr11
	s_or_saveexec_b64 s[6:7], s[6:7]
	v_mov_b32_e32 v12, s10
	s_xor_b64 exec, exec, s[6:7]
	s_cbranch_execz .LBB46_1398
.LBB46_3448:
	v_cmp_ne_u16_e32 vcc, 0, v11
	s_andn2_b64 s[4:5], s[4:5], exec
	s_and_b64 s[8:9], vcc, exec
	v_mov_b32_e32 v12, 0
	s_or_b64 s[4:5], s[4:5], s[8:9]
	s_or_b64 exec, exec, s[6:7]
	s_and_saveexec_b64 s[6:7], s[4:5]
	s_cbranch_execnz .LBB46_1399
	s_branch .LBB46_1400
.LBB46_3449:
	s_movk_i32 s4, 0x80
	v_cmp_eq_u16_sdwa s[12:13], v17, s4 src0_sel:BYTE_3 src1_sel:DWORD
	s_mov_b64 s[4:5], -1
                                        ; implicit-def: $sgpr10
	s_and_saveexec_b64 s[8:9], s[12:13]
; %bb.3450:
	s_mov_b32 s10, 0x7f800001
	s_xor_b64 s[4:5], exec, -1
; %bb.3451:
	s_or_b64 exec, exec, s[8:9]
	s_and_b64 s[4:5], s[4:5], exec
	s_or_saveexec_b64 s[6:7], s[6:7]
	v_mov_b32_e32 v10, s10
	s_xor_b64 exec, exec, s[6:7]
	s_cbranch_execz .LBB46_1402
.LBB46_3452:
	v_mov_b32_e32 v10, 0
	v_cmp_ne_u16_sdwa s[8:9], v17, v10 src0_sel:BYTE_3 src1_sel:DWORD
	s_andn2_b64 s[4:5], s[4:5], exec
	s_and_b64 s[8:9], s[8:9], exec
	s_or_b64 s[4:5], s[4:5], s[8:9]
	s_or_b64 exec, exec, s[6:7]
	s_and_saveexec_b64 s[6:7], s[4:5]
	s_cbranch_execnz .LBB46_1403
	s_branch .LBB46_1404
.LBB46_3453:
	s_movk_i32 s4, 0x80
	v_cmp_eq_u16_sdwa s[12:13], v13, s4 src0_sel:BYTE_3 src1_sel:DWORD
	s_mov_b64 s[4:5], -1
                                        ; implicit-def: $sgpr10
	s_and_saveexec_b64 s[8:9], s[12:13]
; %bb.3454:
	s_mov_b32 s10, 0x7f800001
	s_xor_b64 s[4:5], exec, -1
; %bb.3455:
	s_or_b64 exec, exec, s[8:9]
	s_and_b64 s[4:5], s[4:5], exec
	s_or_saveexec_b64 s[6:7], s[6:7]
	v_mov_b32_e32 v11, s10
	s_xor_b64 exec, exec, s[6:7]
	s_cbranch_execz .LBB46_1406
.LBB46_3456:
	v_mov_b32_e32 v11, 0
	v_cmp_ne_u16_sdwa s[8:9], v13, v11 src0_sel:BYTE_3 src1_sel:DWORD
	s_andn2_b64 s[4:5], s[4:5], exec
	s_and_b64 s[8:9], s[8:9], exec
	s_or_b64 s[4:5], s[4:5], s[8:9]
	s_or_b64 exec, exec, s[6:7]
	s_and_saveexec_b64 s[6:7], s[4:5]
	s_cbranch_execnz .LBB46_1407
	s_branch .LBB46_1408
.LBB46_3457:
	s_movk_i32 s4, 0x80
	v_cmp_eq_u16_sdwa s[12:13], v6, s4 src0_sel:BYTE_0 src1_sel:DWORD
	s_mov_b64 s[4:5], -1
                                        ; implicit-def: $sgpr10
	s_and_saveexec_b64 s[8:9], s[12:13]
; %bb.3458:
	s_mov_b32 s10, 0x7f800001
	s_xor_b64 s[4:5], exec, -1
; %bb.3459:
	s_or_b64 exec, exec, s[8:9]
	s_and_b64 s[4:5], s[4:5], exec
	s_or_saveexec_b64 s[6:7], s[6:7]
	v_mov_b32_e32 v10, s10
	s_xor_b64 exec, exec, s[6:7]
	s_cbranch_execz .LBB46_1410
.LBB46_3460:
	v_mov_b32_e32 v10, 0
	v_cmp_ne_u16_sdwa s[8:9], v6, v10 src0_sel:BYTE_0 src1_sel:DWORD
	s_andn2_b64 s[4:5], s[4:5], exec
	s_and_b64 s[8:9], s[8:9], exec
	s_or_b64 s[4:5], s[4:5], s[8:9]
	s_or_b64 exec, exec, s[6:7]
	s_and_saveexec_b64 s[6:7], s[4:5]
	s_cbranch_execnz .LBB46_1411
	s_branch .LBB46_1412
.LBB46_3461:
	s_movk_i32 s4, 0x80
	v_cmp_eq_u16_sdwa s[12:13], v2, s4 src0_sel:BYTE_0 src1_sel:DWORD
	s_mov_b64 s[4:5], -1
                                        ; implicit-def: $sgpr10
	s_and_saveexec_b64 s[8:9], s[12:13]
; %bb.3462:
	s_mov_b32 s10, 0x7f800001
	s_xor_b64 s[4:5], exec, -1
; %bb.3463:
	s_or_b64 exec, exec, s[8:9]
	s_and_b64 s[4:5], s[4:5], exec
	s_or_saveexec_b64 s[6:7], s[6:7]
	v_mov_b32_e32 v11, s10
	s_xor_b64 exec, exec, s[6:7]
	s_cbranch_execz .LBB46_1414
.LBB46_3464:
	v_mov_b32_e32 v11, 0
	v_cmp_ne_u16_sdwa s[8:9], v2, v11 src0_sel:BYTE_0 src1_sel:DWORD
	s_andn2_b64 s[4:5], s[4:5], exec
	s_and_b64 s[8:9], s[8:9], exec
	s_or_b64 s[4:5], s[4:5], s[8:9]
	s_or_b64 exec, exec, s[6:7]
	s_and_saveexec_b64 s[6:7], s[4:5]
	s_cbranch_execnz .LBB46_1415
	s_branch .LBB46_1416
.LBB46_3465:
	s_movk_i32 s4, 0x80
	v_cmp_eq_u16_sdwa s[12:13], v11, s4 src0_sel:BYTE_0 src1_sel:DWORD
	s_mov_b64 s[4:5], -1
                                        ; implicit-def: $sgpr10
	s_and_saveexec_b64 s[8:9], s[12:13]
; %bb.3466:
	s_mov_b32 s10, 0x7f800001
	s_xor_b64 s[4:5], exec, -1
; %bb.3467:
	s_or_b64 exec, exec, s[8:9]
	s_and_b64 s[4:5], s[4:5], exec
	s_or_saveexec_b64 s[6:7], s[6:7]
	v_mov_b32_e32 v10, s10
	s_xor_b64 exec, exec, s[6:7]
	s_cbranch_execz .LBB46_1418
.LBB46_3468:
	v_mov_b32_e32 v10, 0
	v_cmp_ne_u16_sdwa s[8:9], v11, v10 src0_sel:BYTE_0 src1_sel:DWORD
	s_andn2_b64 s[4:5], s[4:5], exec
	s_and_b64 s[8:9], s[8:9], exec
	s_or_b64 s[4:5], s[4:5], s[8:9]
	s_or_b64 exec, exec, s[6:7]
	s_and_saveexec_b64 s[6:7], s[4:5]
	s_cbranch_execnz .LBB46_1419
	s_branch .LBB46_1420
.LBB46_3469:
	s_movk_i32 s4, 0x80
	v_cmp_eq_u16_sdwa s[12:13], v11, s4 src0_sel:BYTE_0 src1_sel:DWORD
	s_mov_b64 s[4:5], -1
                                        ; implicit-def: $sgpr10
	s_and_saveexec_b64 s[8:9], s[12:13]
; %bb.3470:
	s_mov_b32 s10, 0x7f800001
	s_xor_b64 s[4:5], exec, -1
; %bb.3471:
	s_or_b64 exec, exec, s[8:9]
	s_and_b64 s[4:5], s[4:5], exec
	s_or_saveexec_b64 s[6:7], s[6:7]
	v_mov_b32_e32 v12, s10
	s_xor_b64 exec, exec, s[6:7]
	s_cbranch_execz .LBB46_1422
.LBB46_3472:
	v_mov_b32_e32 v12, 0
	v_cmp_ne_u16_sdwa s[8:9], v11, v12 src0_sel:BYTE_0 src1_sel:DWORD
	s_andn2_b64 s[4:5], s[4:5], exec
	s_and_b64 s[8:9], s[8:9], exec
	s_or_b64 s[4:5], s[4:5], s[8:9]
	s_or_b64 exec, exec, s[6:7]
	s_and_saveexec_b64 s[6:7], s[4:5]
	s_cbranch_execnz .LBB46_1423
	s_branch .LBB46_1424
.LBB46_3473:
	s_movk_i32 s4, 0x80
	v_cmp_eq_u16_e32 vcc, s4, v11
	s_mov_b64 s[4:5], -1
                                        ; implicit-def: $sgpr10
	s_and_saveexec_b64 s[8:9], vcc
; %bb.3474:
	s_mov_b32 s10, 0x7f800001
	s_xor_b64 s[4:5], exec, -1
; %bb.3475:
	s_or_b64 exec, exec, s[8:9]
	s_and_b64 s[4:5], s[4:5], exec
                                        ; implicit-def: $vgpr11
	s_or_saveexec_b64 s[6:7], s[6:7]
	v_mov_b32_e32 v10, s10
	s_xor_b64 exec, exec, s[6:7]
	s_cbranch_execz .LBB46_1426
.LBB46_3476:
	v_cmp_ne_u16_e32 vcc, 0, v11
	s_andn2_b64 s[4:5], s[4:5], exec
	s_and_b64 s[8:9], vcc, exec
	v_mov_b32_e32 v10, 0
	s_or_b64 s[4:5], s[4:5], s[8:9]
	s_or_b64 exec, exec, s[6:7]
	s_and_saveexec_b64 s[6:7], s[4:5]
	s_cbranch_execnz .LBB46_1427
	s_branch .LBB46_1428
.LBB46_3477:
	s_movk_i32 s4, 0x80
	v_cmp_eq_u16_e32 vcc, s4, v11
	s_mov_b64 s[4:5], -1
                                        ; implicit-def: $sgpr10
	s_and_saveexec_b64 s[8:9], vcc
; %bb.3478:
	s_mov_b32 s10, 0x7f800001
	s_xor_b64 s[4:5], exec, -1
; %bb.3479:
	s_or_b64 exec, exec, s[8:9]
	s_and_b64 s[4:5], s[4:5], exec
                                        ; implicit-def: $vgpr11
	s_or_saveexec_b64 s[6:7], s[6:7]
	v_mov_b32_e32 v12, s10
	s_xor_b64 exec, exec, s[6:7]
	s_cbranch_execz .LBB46_1430
.LBB46_3480:
	v_cmp_ne_u16_e32 vcc, 0, v11
	s_andn2_b64 s[4:5], s[4:5], exec
	s_and_b64 s[8:9], vcc, exec
	v_mov_b32_e32 v12, 0
	s_or_b64 s[4:5], s[4:5], s[8:9]
	s_or_b64 exec, exec, s[6:7]
	s_and_saveexec_b64 s[6:7], s[4:5]
	s_cbranch_execnz .LBB46_1431
	s_branch .LBB46_1432
.LBB46_3481:
	s_movk_i32 s4, 0x80
	v_cmp_eq_u16_sdwa s[12:13], v6, s4 src0_sel:BYTE_3 src1_sel:DWORD
	s_mov_b64 s[4:5], -1
                                        ; implicit-def: $sgpr10
	s_and_saveexec_b64 s[8:9], s[12:13]
; %bb.3482:
	s_mov_b32 s10, 0x7f800001
	s_xor_b64 s[4:5], exec, -1
; %bb.3483:
	s_or_b64 exec, exec, s[8:9]
	s_and_b64 s[4:5], s[4:5], exec
	s_or_saveexec_b64 s[6:7], s[6:7]
	v_mov_b32_e32 v10, s10
	s_xor_b64 exec, exec, s[6:7]
	s_cbranch_execz .LBB46_1434
.LBB46_3484:
	v_mov_b32_e32 v10, 0
	v_cmp_ne_u16_sdwa s[8:9], v6, v10 src0_sel:BYTE_3 src1_sel:DWORD
	s_andn2_b64 s[4:5], s[4:5], exec
	s_and_b64 s[8:9], s[8:9], exec
	s_or_b64 s[4:5], s[4:5], s[8:9]
	s_or_b64 exec, exec, s[6:7]
	s_and_saveexec_b64 s[6:7], s[4:5]
	s_cbranch_execnz .LBB46_1435
	s_branch .LBB46_1436
.LBB46_3485:
	s_movk_i32 s4, 0x80
	v_cmp_eq_u16_sdwa s[12:13], v2, s4 src0_sel:BYTE_3 src1_sel:DWORD
	s_mov_b64 s[4:5], -1
                                        ; implicit-def: $sgpr10
	s_and_saveexec_b64 s[8:9], s[12:13]
; %bb.3486:
	s_mov_b32 s10, 0x7f800001
	s_xor_b64 s[4:5], exec, -1
; %bb.3487:
	s_or_b64 exec, exec, s[8:9]
	s_and_b64 s[4:5], s[4:5], exec
	s_or_saveexec_b64 s[6:7], s[6:7]
	v_mov_b32_e32 v6, s10
	s_xor_b64 exec, exec, s[6:7]
	s_cbranch_execz .LBB46_1438
.LBB46_3488:
	v_mov_b32_e32 v6, 0
	v_cmp_ne_u16_sdwa s[8:9], v2, v6 src0_sel:BYTE_3 src1_sel:DWORD
	s_andn2_b64 s[4:5], s[4:5], exec
	s_and_b64 s[8:9], s[8:9], exec
	s_or_b64 s[4:5], s[4:5], s[8:9]
	s_or_b64 exec, exec, s[6:7]
	s_and_saveexec_b64 s[6:7], s[4:5]
	s_cbranch_execnz .LBB46_1439
	s_branch .LBB46_1440
.LBB46_3489:
	s_movk_i32 s4, 0x80
	v_cmp_eq_u16_sdwa s[12:13], v7, s4 src0_sel:BYTE_0 src1_sel:DWORD
	s_mov_b64 s[4:5], -1
                                        ; implicit-def: $sgpr10
	s_and_saveexec_b64 s[8:9], s[12:13]
; %bb.3490:
	s_mov_b32 s10, 0x7f800001
	s_xor_b64 s[4:5], exec, -1
; %bb.3491:
	s_or_b64 exec, exec, s[8:9]
	s_and_b64 s[4:5], s[4:5], exec
	s_or_saveexec_b64 s[6:7], s[6:7]
	v_mov_b32_e32 v2, s10
	s_xor_b64 exec, exec, s[6:7]
	s_cbranch_execz .LBB46_1442
.LBB46_3492:
	v_mov_b32_e32 v2, 0
	v_cmp_ne_u16_sdwa s[8:9], v7, v2 src0_sel:BYTE_0 src1_sel:DWORD
	s_andn2_b64 s[4:5], s[4:5], exec
	s_and_b64 s[8:9], s[8:9], exec
	s_or_b64 s[4:5], s[4:5], s[8:9]
	s_or_b64 exec, exec, s[6:7]
	s_and_saveexec_b64 s[6:7], s[4:5]
	s_cbranch_execnz .LBB46_1443
	s_branch .LBB46_1444
.LBB46_3493:
	s_movk_i32 s4, 0x80
	v_cmp_eq_u16_sdwa s[12:13], v3, s4 src0_sel:BYTE_0 src1_sel:DWORD
	s_mov_b64 s[4:5], -1
                                        ; implicit-def: $sgpr10
	s_and_saveexec_b64 s[8:9], s[12:13]
; %bb.3494:
	s_mov_b32 s10, 0x7f800001
	s_xor_b64 s[4:5], exec, -1
; %bb.3495:
	s_or_b64 exec, exec, s[8:9]
	s_and_b64 s[4:5], s[4:5], exec
	s_or_saveexec_b64 s[6:7], s[6:7]
	v_mov_b32_e32 v6, s10
	s_xor_b64 exec, exec, s[6:7]
	s_cbranch_execz .LBB46_1446
.LBB46_3496:
	v_mov_b32_e32 v6, 0
	v_cmp_ne_u16_sdwa s[8:9], v3, v6 src0_sel:BYTE_0 src1_sel:DWORD
	s_andn2_b64 s[4:5], s[4:5], exec
	s_and_b64 s[8:9], s[8:9], exec
	s_or_b64 s[4:5], s[4:5], s[8:9]
	s_or_b64 exec, exec, s[6:7]
	s_and_saveexec_b64 s[6:7], s[4:5]
	s_cbranch_execnz .LBB46_1447
	s_branch .LBB46_1448
.LBB46_3497:
	s_movk_i32 s4, 0x80
	v_cmp_eq_u16_sdwa s[12:13], v6, s4 src0_sel:BYTE_0 src1_sel:DWORD
	s_mov_b64 s[4:5], -1
                                        ; implicit-def: $sgpr10
	s_and_saveexec_b64 s[8:9], s[12:13]
; %bb.3498:
	s_mov_b32 s10, 0x7f800001
	s_xor_b64 s[4:5], exec, -1
; %bb.3499:
	s_or_b64 exec, exec, s[8:9]
	s_and_b64 s[4:5], s[4:5], exec
	s_or_saveexec_b64 s[6:7], s[6:7]
	v_mov_b32_e32 v2, s10
	s_xor_b64 exec, exec, s[6:7]
	s_cbranch_execz .LBB46_1450
.LBB46_3500:
	v_mov_b32_e32 v2, 0
	v_cmp_ne_u16_sdwa s[8:9], v6, v2 src0_sel:BYTE_0 src1_sel:DWORD
	s_andn2_b64 s[4:5], s[4:5], exec
	s_and_b64 s[8:9], s[8:9], exec
	s_or_b64 s[4:5], s[4:5], s[8:9]
	s_or_b64 exec, exec, s[6:7]
	s_and_saveexec_b64 s[6:7], s[4:5]
	s_cbranch_execnz .LBB46_1451
	s_branch .LBB46_1452
.LBB46_3501:
	s_movk_i32 s4, 0x80
	v_cmp_eq_u16_sdwa s[12:13], v6, s4 src0_sel:BYTE_0 src1_sel:DWORD
	s_mov_b64 s[4:5], -1
                                        ; implicit-def: $sgpr10
	s_and_saveexec_b64 s[8:9], s[12:13]
; %bb.3502:
	s_mov_b32 s10, 0x7f800001
	s_xor_b64 s[4:5], exec, -1
; %bb.3503:
	s_or_b64 exec, exec, s[8:9]
	s_and_b64 s[4:5], s[4:5], exec
	s_or_saveexec_b64 s[6:7], s[6:7]
	v_mov_b32_e32 v10, s10
	s_xor_b64 exec, exec, s[6:7]
	s_cbranch_execz .LBB46_1454
.LBB46_3504:
	v_mov_b32_e32 v10, 0
	v_cmp_ne_u16_sdwa s[8:9], v6, v10 src0_sel:BYTE_0 src1_sel:DWORD
	s_andn2_b64 s[4:5], s[4:5], exec
	s_and_b64 s[8:9], s[8:9], exec
	s_or_b64 s[4:5], s[4:5], s[8:9]
	s_or_b64 exec, exec, s[6:7]
	s_and_saveexec_b64 s[6:7], s[4:5]
	s_cbranch_execnz .LBB46_1455
	s_branch .LBB46_1456
.LBB46_3505:
	s_movk_i32 s4, 0x80
	v_cmp_eq_u16_e32 vcc, s4, v6
	s_mov_b64 s[4:5], -1
                                        ; implicit-def: $sgpr10
	s_and_saveexec_b64 s[8:9], vcc
; %bb.3506:
	s_mov_b32 s10, 0x7f800001
	s_xor_b64 s[4:5], exec, -1
; %bb.3507:
	s_or_b64 exec, exec, s[8:9]
	s_and_b64 s[4:5], s[4:5], exec
                                        ; implicit-def: $vgpr6
	s_or_saveexec_b64 s[6:7], s[6:7]
	v_mov_b32_e32 v2, s10
	s_xor_b64 exec, exec, s[6:7]
	s_cbranch_execz .LBB46_1458
.LBB46_3508:
	v_cmp_ne_u16_e32 vcc, 0, v6
	s_andn2_b64 s[4:5], s[4:5], exec
	s_and_b64 s[8:9], vcc, exec
	v_mov_b32_e32 v2, 0
	s_or_b64 s[4:5], s[4:5], s[8:9]
	s_or_b64 exec, exec, s[6:7]
	s_and_saveexec_b64 s[6:7], s[4:5]
	s_cbranch_execnz .LBB46_1459
	s_branch .LBB46_1460
.LBB46_3509:
	s_movk_i32 s4, 0x80
	v_cmp_eq_u16_e32 vcc, s4, v6
	s_mov_b64 s[4:5], -1
                                        ; implicit-def: $sgpr10
	s_and_saveexec_b64 s[8:9], vcc
; %bb.3510:
	s_mov_b32 s10, 0x7f800001
	s_xor_b64 s[4:5], exec, -1
; %bb.3511:
	s_or_b64 exec, exec, s[8:9]
	s_and_b64 s[4:5], s[4:5], exec
                                        ; implicit-def: $vgpr6
	s_or_saveexec_b64 s[6:7], s[6:7]
	v_mov_b32_e32 v10, s10
	s_xor_b64 exec, exec, s[6:7]
	s_cbranch_execz .LBB46_1462
.LBB46_3512:
	v_cmp_ne_u16_e32 vcc, 0, v6
	s_andn2_b64 s[4:5], s[4:5], exec
	s_and_b64 s[8:9], vcc, exec
	v_mov_b32_e32 v10, 0
	s_or_b64 s[4:5], s[4:5], s[8:9]
	s_or_b64 exec, exec, s[6:7]
	s_and_saveexec_b64 s[6:7], s[4:5]
	s_cbranch_execnz .LBB46_1463
	s_branch .LBB46_1464
.LBB46_3513:
	s_movk_i32 s4, 0x80
	v_cmp_eq_u16_sdwa s[12:13], v7, s4 src0_sel:BYTE_3 src1_sel:DWORD
	s_mov_b64 s[4:5], -1
                                        ; implicit-def: $sgpr10
	s_and_saveexec_b64 s[8:9], s[12:13]
; %bb.3514:
	s_mov_b32 s10, 0x7f800001
	s_xor_b64 s[4:5], exec, -1
; %bb.3515:
	s_or_b64 exec, exec, s[8:9]
	s_and_b64 s[4:5], s[4:5], exec
	s_or_saveexec_b64 s[6:7], s[6:7]
	v_mov_b32_e32 v2, s10
	s_xor_b64 exec, exec, s[6:7]
	s_cbranch_execz .LBB46_1466
.LBB46_3516:
	v_mov_b32_e32 v2, 0
	v_cmp_ne_u16_sdwa s[8:9], v7, v2 src0_sel:BYTE_3 src1_sel:DWORD
	s_andn2_b64 s[4:5], s[4:5], exec
	s_and_b64 s[8:9], s[8:9], exec
	s_or_b64 s[4:5], s[4:5], s[8:9]
	s_or_b64 exec, exec, s[6:7]
	s_and_saveexec_b64 s[6:7], s[4:5]
	s_cbranch_execnz .LBB46_1467
	s_branch .LBB46_1468
.LBB46_3517:
	s_movk_i32 s4, 0x80
	v_cmp_eq_u16_sdwa s[12:13], v3, s4 src0_sel:BYTE_3 src1_sel:DWORD
	s_mov_b64 s[4:5], -1
                                        ; implicit-def: $sgpr10
	s_and_saveexec_b64 s[8:9], s[12:13]
; %bb.3518:
	s_mov_b32 s10, 0x7f800001
	s_xor_b64 s[4:5], exec, -1
; %bb.3519:
	s_or_b64 exec, exec, s[8:9]
	s_and_b64 s[4:5], s[4:5], exec
	s_or_saveexec_b64 s[6:7], s[6:7]
	v_mov_b32_e32 v6, s10
	s_xor_b64 exec, exec, s[6:7]
	s_cbranch_execz .LBB46_1470
.LBB46_3520:
	v_mov_b32_e32 v6, 0
	v_cmp_ne_u16_sdwa s[8:9], v3, v6 src0_sel:BYTE_3 src1_sel:DWORD
	s_andn2_b64 s[4:5], s[4:5], exec
	s_and_b64 s[8:9], s[8:9], exec
	s_or_b64 s[4:5], s[4:5], s[8:9]
	s_or_b64 exec, exec, s[6:7]
	s_and_saveexec_b64 s[6:7], s[4:5]
	s_cbranch_execnz .LBB46_1471
	s_branch .LBB46_1472
.LBB46_3521:
	s_movk_i32 s4, 0x80
	v_cmp_eq_u16_sdwa s[12:13], v8, s4 src0_sel:BYTE_0 src1_sel:DWORD
	s_mov_b64 s[4:5], -1
                                        ; implicit-def: $sgpr10
	s_and_saveexec_b64 s[8:9], s[12:13]
; %bb.3522:
	s_mov_b32 s10, 0x7f800001
	s_xor_b64 s[4:5], exec, -1
; %bb.3523:
	s_or_b64 exec, exec, s[8:9]
	s_and_b64 s[4:5], s[4:5], exec
	s_or_saveexec_b64 s[6:7], s[6:7]
	v_mov_b32_e32 v2, s10
	s_xor_b64 exec, exec, s[6:7]
	s_cbranch_execz .LBB46_1474
.LBB46_3524:
	v_mov_b32_e32 v2, 0
	v_cmp_ne_u16_sdwa s[8:9], v8, v2 src0_sel:BYTE_0 src1_sel:DWORD
	s_andn2_b64 s[4:5], s[4:5], exec
	s_and_b64 s[8:9], s[8:9], exec
	s_or_b64 s[4:5], s[4:5], s[8:9]
	s_or_b64 exec, exec, s[6:7]
	s_and_saveexec_b64 s[6:7], s[4:5]
	s_cbranch_execnz .LBB46_1475
	s_branch .LBB46_1476
.LBB46_3525:
	s_movk_i32 s4, 0x80
	v_cmp_eq_u16_sdwa s[12:13], v4, s4 src0_sel:BYTE_0 src1_sel:DWORD
	s_mov_b64 s[4:5], -1
                                        ; implicit-def: $sgpr10
	s_and_saveexec_b64 s[8:9], s[12:13]
; %bb.3526:
	s_mov_b32 s10, 0x7f800001
	s_xor_b64 s[4:5], exec, -1
; %bb.3527:
	s_or_b64 exec, exec, s[8:9]
	s_and_b64 s[4:5], s[4:5], exec
	s_or_saveexec_b64 s[6:7], s[6:7]
	v_mov_b32_e32 v3, s10
	s_xor_b64 exec, exec, s[6:7]
	s_cbranch_execz .LBB46_1478
.LBB46_3528:
	v_mov_b32_e32 v3, 0
	v_cmp_ne_u16_sdwa s[8:9], v4, v3 src0_sel:BYTE_0 src1_sel:DWORD
	s_andn2_b64 s[4:5], s[4:5], exec
	s_and_b64 s[8:9], s[8:9], exec
	s_or_b64 s[4:5], s[4:5], s[8:9]
	s_or_b64 exec, exec, s[6:7]
	s_and_saveexec_b64 s[6:7], s[4:5]
	s_cbranch_execnz .LBB46_1479
	s_branch .LBB46_1480
.LBB46_3529:
	s_movk_i32 s4, 0x80
	v_cmp_eq_u16_sdwa s[12:13], v3, s4 src0_sel:BYTE_0 src1_sel:DWORD
	s_mov_b64 s[4:5], -1
                                        ; implicit-def: $sgpr10
	s_and_saveexec_b64 s[8:9], s[12:13]
; %bb.3530:
	s_mov_b32 s10, 0x7f800001
	s_xor_b64 s[4:5], exec, -1
; %bb.3531:
	s_or_b64 exec, exec, s[8:9]
	s_and_b64 s[4:5], s[4:5], exec
	s_or_saveexec_b64 s[6:7], s[6:7]
	v_mov_b32_e32 v2, s10
	s_xor_b64 exec, exec, s[6:7]
	s_cbranch_execz .LBB46_1482
.LBB46_3532:
	v_mov_b32_e32 v2, 0
	v_cmp_ne_u16_sdwa s[8:9], v3, v2 src0_sel:BYTE_0 src1_sel:DWORD
	s_andn2_b64 s[4:5], s[4:5], exec
	s_and_b64 s[8:9], s[8:9], exec
	s_or_b64 s[4:5], s[4:5], s[8:9]
	s_or_b64 exec, exec, s[6:7]
	s_and_saveexec_b64 s[6:7], s[4:5]
	s_cbranch_execnz .LBB46_1483
	s_branch .LBB46_1484
.LBB46_3533:
	s_movk_i32 s4, 0x80
	v_cmp_eq_u16_sdwa s[12:13], v3, s4 src0_sel:BYTE_0 src1_sel:DWORD
	s_mov_b64 s[4:5], -1
                                        ; implicit-def: $sgpr10
	s_and_saveexec_b64 s[8:9], s[12:13]
; %bb.3534:
	s_mov_b32 s10, 0x7f800001
	s_xor_b64 s[4:5], exec, -1
; %bb.3535:
	s_or_b64 exec, exec, s[8:9]
	s_and_b64 s[4:5], s[4:5], exec
	s_or_saveexec_b64 s[6:7], s[6:7]
	v_mov_b32_e32 v6, s10
	s_xor_b64 exec, exec, s[6:7]
	s_cbranch_execz .LBB46_1486
.LBB46_3536:
	v_mov_b32_e32 v6, 0
	v_cmp_ne_u16_sdwa s[8:9], v3, v6 src0_sel:BYTE_0 src1_sel:DWORD
	s_andn2_b64 s[4:5], s[4:5], exec
	s_and_b64 s[8:9], s[8:9], exec
	s_or_b64 s[4:5], s[4:5], s[8:9]
	s_or_b64 exec, exec, s[6:7]
	s_and_saveexec_b64 s[6:7], s[4:5]
	s_cbranch_execnz .LBB46_1487
	s_branch .LBB46_1488
.LBB46_3537:
	s_movk_i32 s4, 0x80
	v_cmp_eq_u16_e32 vcc, s4, v3
	s_mov_b64 s[4:5], -1
                                        ; implicit-def: $sgpr10
	s_and_saveexec_b64 s[8:9], vcc
; %bb.3538:
	s_mov_b32 s10, 0x7f800001
	s_xor_b64 s[4:5], exec, -1
; %bb.3539:
	s_or_b64 exec, exec, s[8:9]
	s_and_b64 s[4:5], s[4:5], exec
                                        ; implicit-def: $vgpr3
	s_or_saveexec_b64 s[6:7], s[6:7]
	v_mov_b32_e32 v2, s10
	s_xor_b64 exec, exec, s[6:7]
	s_cbranch_execz .LBB46_1490
.LBB46_3540:
	v_cmp_ne_u16_e32 vcc, 0, v3
	s_andn2_b64 s[4:5], s[4:5], exec
	s_and_b64 s[8:9], vcc, exec
	v_mov_b32_e32 v2, 0
	s_or_b64 s[4:5], s[4:5], s[8:9]
	s_or_b64 exec, exec, s[6:7]
	s_and_saveexec_b64 s[6:7], s[4:5]
	s_cbranch_execnz .LBB46_1491
	s_branch .LBB46_1492
.LBB46_3541:
	s_movk_i32 s4, 0x80
	v_cmp_eq_u16_e32 vcc, s4, v3
	s_mov_b64 s[4:5], -1
                                        ; implicit-def: $sgpr10
	s_and_saveexec_b64 s[8:9], vcc
; %bb.3542:
	s_mov_b32 s10, 0x7f800001
	s_xor_b64 s[4:5], exec, -1
; %bb.3543:
	s_or_b64 exec, exec, s[8:9]
	s_and_b64 s[4:5], s[4:5], exec
                                        ; implicit-def: $vgpr3
	s_or_saveexec_b64 s[6:7], s[6:7]
	v_mov_b32_e32 v6, s10
	s_xor_b64 exec, exec, s[6:7]
	s_cbranch_execz .LBB46_1494
.LBB46_3544:
	v_cmp_ne_u16_e32 vcc, 0, v3
	s_andn2_b64 s[4:5], s[4:5], exec
	s_and_b64 s[8:9], vcc, exec
	v_mov_b32_e32 v6, 0
	s_or_b64 s[4:5], s[4:5], s[8:9]
	s_or_b64 exec, exec, s[6:7]
	s_and_saveexec_b64 s[6:7], s[4:5]
	s_cbranch_execnz .LBB46_1495
	s_branch .LBB46_1496
.LBB46_3545:
	s_movk_i32 s4, 0x80
	v_cmp_eq_u16_sdwa s[12:13], v8, s4 src0_sel:BYTE_3 src1_sel:DWORD
	s_mov_b64 s[4:5], -1
                                        ; implicit-def: $sgpr10
	s_and_saveexec_b64 s[8:9], s[12:13]
; %bb.3546:
	s_mov_b32 s10, 0x7f800001
	s_xor_b64 s[4:5], exec, -1
; %bb.3547:
	s_or_b64 exec, exec, s[8:9]
	s_and_b64 s[4:5], s[4:5], exec
	s_or_saveexec_b64 s[6:7], s[6:7]
	v_mov_b32_e32 v2, s10
	s_xor_b64 exec, exec, s[6:7]
	s_cbranch_execz .LBB46_1498
.LBB46_3548:
	v_mov_b32_e32 v2, 0
	v_cmp_ne_u16_sdwa s[8:9], v8, v2 src0_sel:BYTE_3 src1_sel:DWORD
	s_andn2_b64 s[4:5], s[4:5], exec
	s_and_b64 s[8:9], s[8:9], exec
	s_or_b64 s[4:5], s[4:5], s[8:9]
	s_or_b64 exec, exec, s[6:7]
	s_and_saveexec_b64 s[6:7], s[4:5]
	s_cbranch_execnz .LBB46_1499
	s_branch .LBB46_1500
.LBB46_3549:
	s_movk_i32 s4, 0x80
	v_cmp_eq_u16_sdwa s[12:13], v4, s4 src0_sel:BYTE_3 src1_sel:DWORD
	s_mov_b64 s[4:5], -1
                                        ; implicit-def: $sgpr10
	s_and_saveexec_b64 s[8:9], s[12:13]
; %bb.3550:
	s_mov_b32 s10, 0x7f800001
	s_xor_b64 s[4:5], exec, -1
; %bb.3551:
	s_or_b64 exec, exec, s[8:9]
	s_and_b64 s[4:5], s[4:5], exec
	s_or_saveexec_b64 s[6:7], s[6:7]
	v_mov_b32_e32 v3, s10
	s_xor_b64 exec, exec, s[6:7]
	s_cbranch_execz .LBB46_1502
.LBB46_3552:
	v_mov_b32_e32 v3, 0
	v_cmp_ne_u16_sdwa s[8:9], v4, v3 src0_sel:BYTE_3 src1_sel:DWORD
	s_andn2_b64 s[4:5], s[4:5], exec
	s_and_b64 s[8:9], s[8:9], exec
	s_or_b64 s[4:5], s[4:5], s[8:9]
	s_or_b64 exec, exec, s[6:7]
	s_and_saveexec_b64 s[6:7], s[4:5]
	s_cbranch_execnz .LBB46_1503
	s_branch .LBB46_1504
.LBB46_3553:
	s_movk_i32 s4, 0x80
	v_cmp_eq_u16_sdwa s[12:13], v9, s4 src0_sel:BYTE_0 src1_sel:DWORD
	s_mov_b64 s[4:5], -1
                                        ; implicit-def: $sgpr10
	s_and_saveexec_b64 s[8:9], s[12:13]
; %bb.3554:
	s_mov_b32 s10, 0x7f800001
	s_xor_b64 s[4:5], exec, -1
; %bb.3555:
	s_or_b64 exec, exec, s[8:9]
	s_and_b64 s[4:5], s[4:5], exec
	s_or_saveexec_b64 s[6:7], s[6:7]
	v_mov_b32_e32 v2, s10
	s_xor_b64 exec, exec, s[6:7]
	s_cbranch_execz .LBB46_1506
.LBB46_3556:
	v_mov_b32_e32 v2, 0
	v_cmp_ne_u16_sdwa s[8:9], v9, v2 src0_sel:BYTE_0 src1_sel:DWORD
	s_andn2_b64 s[4:5], s[4:5], exec
	s_and_b64 s[8:9], s[8:9], exec
	s_or_b64 s[4:5], s[4:5], s[8:9]
	s_or_b64 exec, exec, s[6:7]
	s_and_saveexec_b64 s[6:7], s[4:5]
	s_cbranch_execnz .LBB46_1507
	s_branch .LBB46_1508
.LBB46_3557:
	s_movk_i32 s4, 0x80
	v_cmp_eq_u16_sdwa s[12:13], v5, s4 src0_sel:BYTE_0 src1_sel:DWORD
	s_mov_b64 s[4:5], -1
                                        ; implicit-def: $sgpr10
	s_and_saveexec_b64 s[8:9], s[12:13]
; %bb.3558:
	s_mov_b32 s10, 0x7f800001
	s_xor_b64 s[4:5], exec, -1
; %bb.3559:
	s_or_b64 exec, exec, s[8:9]
	s_and_b64 s[4:5], s[4:5], exec
	s_or_saveexec_b64 s[6:7], s[6:7]
	v_mov_b32_e32 v3, s10
	s_xor_b64 exec, exec, s[6:7]
	s_cbranch_execz .LBB46_1510
.LBB46_3560:
	v_mov_b32_e32 v3, 0
	v_cmp_ne_u16_sdwa s[8:9], v5, v3 src0_sel:BYTE_0 src1_sel:DWORD
	s_andn2_b64 s[4:5], s[4:5], exec
	s_and_b64 s[8:9], s[8:9], exec
	s_or_b64 s[4:5], s[4:5], s[8:9]
	s_or_b64 exec, exec, s[6:7]
	s_and_saveexec_b64 s[6:7], s[4:5]
	s_cbranch_execnz .LBB46_1511
	s_branch .LBB46_1512
.LBB46_3561:
	s_movk_i32 s4, 0x80
	v_cmp_eq_u16_sdwa s[12:13], v3, s4 src0_sel:BYTE_0 src1_sel:DWORD
	s_mov_b64 s[4:5], -1
                                        ; implicit-def: $sgpr10
	s_and_saveexec_b64 s[8:9], s[12:13]
; %bb.3562:
	s_mov_b32 s10, 0x7f800001
	s_xor_b64 s[4:5], exec, -1
; %bb.3563:
	s_or_b64 exec, exec, s[8:9]
	s_and_b64 s[4:5], s[4:5], exec
	s_or_saveexec_b64 s[6:7], s[6:7]
	v_mov_b32_e32 v2, s10
	s_xor_b64 exec, exec, s[6:7]
	s_cbranch_execz .LBB46_1514
.LBB46_3564:
	v_mov_b32_e32 v2, 0
	v_cmp_ne_u16_sdwa s[8:9], v3, v2 src0_sel:BYTE_0 src1_sel:DWORD
	s_andn2_b64 s[4:5], s[4:5], exec
	s_and_b64 s[8:9], s[8:9], exec
	s_or_b64 s[4:5], s[4:5], s[8:9]
	s_or_b64 exec, exec, s[6:7]
	s_and_saveexec_b64 s[6:7], s[4:5]
	s_cbranch_execnz .LBB46_1515
	s_branch .LBB46_1516
.LBB46_3565:
	s_movk_i32 s4, 0x80
	v_cmp_eq_u16_sdwa s[12:13], v3, s4 src0_sel:BYTE_0 src1_sel:DWORD
	s_mov_b64 s[4:5], -1
                                        ; implicit-def: $sgpr10
	s_and_saveexec_b64 s[8:9], s[12:13]
; %bb.3566:
	s_mov_b32 s10, 0x7f800001
	s_xor_b64 s[4:5], exec, -1
; %bb.3567:
	s_or_b64 exec, exec, s[8:9]
	s_and_b64 s[4:5], s[4:5], exec
	s_or_saveexec_b64 s[6:7], s[6:7]
	v_mov_b32_e32 v4, s10
	s_xor_b64 exec, exec, s[6:7]
	s_cbranch_execz .LBB46_1518
.LBB46_3568:
	v_mov_b32_e32 v4, 0
	v_cmp_ne_u16_sdwa s[8:9], v3, v4 src0_sel:BYTE_0 src1_sel:DWORD
	s_andn2_b64 s[4:5], s[4:5], exec
	s_and_b64 s[8:9], s[8:9], exec
	s_or_b64 s[4:5], s[4:5], s[8:9]
	s_or_b64 exec, exec, s[6:7]
	s_and_saveexec_b64 s[6:7], s[4:5]
	s_cbranch_execnz .LBB46_1519
	s_branch .LBB46_1520
.LBB46_3569:
	s_movk_i32 s4, 0x80
	v_cmp_eq_u16_e32 vcc, s4, v3
	s_mov_b64 s[4:5], -1
                                        ; implicit-def: $sgpr10
	s_and_saveexec_b64 s[8:9], vcc
; %bb.3570:
	s_mov_b32 s10, 0x7f800001
	s_xor_b64 s[4:5], exec, -1
; %bb.3571:
	s_or_b64 exec, exec, s[8:9]
	s_and_b64 s[4:5], s[4:5], exec
                                        ; implicit-def: $vgpr3
	s_or_saveexec_b64 s[6:7], s[6:7]
	v_mov_b32_e32 v2, s10
	s_xor_b64 exec, exec, s[6:7]
	s_cbranch_execz .LBB46_1522
.LBB46_3572:
	v_cmp_ne_u16_e32 vcc, 0, v3
	s_andn2_b64 s[4:5], s[4:5], exec
	s_and_b64 s[8:9], vcc, exec
	v_mov_b32_e32 v2, 0
	s_or_b64 s[4:5], s[4:5], s[8:9]
	s_or_b64 exec, exec, s[6:7]
	s_and_saveexec_b64 s[6:7], s[4:5]
	s_cbranch_execnz .LBB46_1523
	s_branch .LBB46_1524
.LBB46_3573:
	s_movk_i32 s4, 0x80
	v_cmp_eq_u16_e32 vcc, s4, v3
	s_mov_b64 s[4:5], -1
                                        ; implicit-def: $sgpr10
	s_and_saveexec_b64 s[8:9], vcc
; %bb.3574:
	s_mov_b32 s10, 0x7f800001
	s_xor_b64 s[4:5], exec, -1
; %bb.3575:
	s_or_b64 exec, exec, s[8:9]
	s_and_b64 s[4:5], s[4:5], exec
                                        ; implicit-def: $vgpr3
	s_or_saveexec_b64 s[6:7], s[6:7]
	v_mov_b32_e32 v4, s10
	s_xor_b64 exec, exec, s[6:7]
	s_cbranch_execz .LBB46_1526
.LBB46_3576:
	v_cmp_ne_u16_e32 vcc, 0, v3
	s_andn2_b64 s[4:5], s[4:5], exec
	s_and_b64 s[8:9], vcc, exec
	v_mov_b32_e32 v4, 0
	s_or_b64 s[4:5], s[4:5], s[8:9]
	s_or_b64 exec, exec, s[6:7]
	s_and_saveexec_b64 s[6:7], s[4:5]
	s_cbranch_execnz .LBB46_1527
	s_branch .LBB46_1528
.LBB46_3577:
	s_movk_i32 s4, 0x80
	v_cmp_eq_u16_sdwa s[12:13], v9, s4 src0_sel:BYTE_3 src1_sel:DWORD
	s_mov_b64 s[4:5], -1
                                        ; implicit-def: $sgpr10
	s_and_saveexec_b64 s[8:9], s[12:13]
; %bb.3578:
	s_mov_b32 s10, 0x7f800001
	s_xor_b64 s[4:5], exec, -1
; %bb.3579:
	s_or_b64 exec, exec, s[8:9]
	s_and_b64 s[4:5], s[4:5], exec
	s_or_saveexec_b64 s[6:7], s[6:7]
	v_mov_b32_e32 v2, s10
	s_xor_b64 exec, exec, s[6:7]
	s_cbranch_execz .LBB46_1530
.LBB46_3580:
	v_mov_b32_e32 v2, 0
	v_cmp_ne_u16_sdwa s[8:9], v9, v2 src0_sel:BYTE_3 src1_sel:DWORD
	s_andn2_b64 s[4:5], s[4:5], exec
	s_and_b64 s[8:9], s[8:9], exec
	s_or_b64 s[4:5], s[4:5], s[8:9]
	s_or_b64 exec, exec, s[6:7]
	s_and_saveexec_b64 s[6:7], s[4:5]
	s_cbranch_execnz .LBB46_1531
	s_branch .LBB46_1532
.LBB46_3581:
	s_movk_i32 s4, 0x80
	v_cmp_eq_u16_sdwa s[12:13], v5, s4 src0_sel:BYTE_3 src1_sel:DWORD
	s_mov_b64 s[4:5], -1
                                        ; implicit-def: $sgpr10
	s_and_saveexec_b64 s[8:9], s[12:13]
; %bb.3582:
	s_mov_b32 s10, 0x7f800001
	s_xor_b64 s[4:5], exec, -1
; %bb.3583:
	s_or_b64 exec, exec, s[8:9]
	s_and_b64 s[4:5], s[4:5], exec
	s_or_saveexec_b64 s[6:7], s[6:7]
	v_mov_b32_e32 v3, s10
	s_xor_b64 exec, exec, s[6:7]
	s_cbranch_execz .LBB46_1534
.LBB46_3584:
	v_mov_b32_e32 v3, 0
	v_cmp_ne_u16_sdwa s[8:9], v5, v3 src0_sel:BYTE_3 src1_sel:DWORD
	s_andn2_b64 s[4:5], s[4:5], exec
	s_and_b64 s[8:9], s[8:9], exec
	s_or_b64 s[4:5], s[4:5], s[8:9]
	s_or_b64 exec, exec, s[6:7]
	s_and_saveexec_b64 s[6:7], s[4:5]
	s_cbranch_execnz .LBB46_1535
	s_branch .LBB46_1536
.LBB46_3585:
	s_movk_i32 s4, 0x80
	v_cmp_eq_u16_sdwa s[12:13], v14, s4 src0_sel:BYTE_0 src1_sel:DWORD
	s_mov_b64 s[4:5], -1
                                        ; implicit-def: $sgpr10
	s_and_saveexec_b64 s[8:9], s[12:13]
; %bb.3586:
	s_mov_b32 s10, 0x7f800001
	s_xor_b64 s[4:5], exec, -1
; %bb.3587:
	s_or_b64 exec, exec, s[8:9]
	s_and_b64 s[4:5], s[4:5], exec
	s_or_saveexec_b64 s[6:7], s[6:7]
	v_mov_b32_e32 v20, s10
	s_xor_b64 exec, exec, s[6:7]
	s_cbranch_execz .LBB46_1538
.LBB46_3588:
	v_mov_b32_e32 v20, 0
	v_cmp_ne_u16_sdwa s[8:9], v14, v20 src0_sel:BYTE_0 src1_sel:DWORD
	s_andn2_b64 s[4:5], s[4:5], exec
	s_and_b64 s[8:9], s[8:9], exec
	s_or_b64 s[4:5], s[4:5], s[8:9]
	s_or_b64 exec, exec, s[6:7]
	s_and_saveexec_b64 s[6:7], s[4:5]
	s_cbranch_execnz .LBB46_1539
	s_branch .LBB46_1540
.LBB46_3589:
	s_movk_i32 s4, 0x80
	v_cmp_eq_u16_sdwa s[12:13], v10, s4 src0_sel:BYTE_0 src1_sel:DWORD
	s_mov_b64 s[4:5], -1
                                        ; implicit-def: $sgpr10
	s_and_saveexec_b64 s[8:9], s[12:13]
; %bb.3590:
	s_mov_b32 s10, 0x7f800001
	s_xor_b64 s[4:5], exec, -1
; %bb.3591:
	s_or_b64 exec, exec, s[8:9]
	s_and_b64 s[4:5], s[4:5], exec
	s_or_saveexec_b64 s[6:7], s[6:7]
	v_mov_b32_e32 v21, s10
	s_xor_b64 exec, exec, s[6:7]
	s_cbranch_execz .LBB46_1542
.LBB46_3592:
	v_mov_b32_e32 v21, 0
	v_cmp_ne_u16_sdwa s[8:9], v10, v21 src0_sel:BYTE_0 src1_sel:DWORD
	s_andn2_b64 s[4:5], s[4:5], exec
	s_and_b64 s[8:9], s[8:9], exec
	s_or_b64 s[4:5], s[4:5], s[8:9]
	s_or_b64 exec, exec, s[6:7]
	s_and_saveexec_b64 s[6:7], s[4:5]
	s_cbranch_execnz .LBB46_1543
	s_branch .LBB46_1544
.LBB46_3593:
	s_movk_i32 s4, 0x80
	v_cmp_eq_u16_sdwa s[12:13], v21, s4 src0_sel:BYTE_0 src1_sel:DWORD
	s_mov_b64 s[4:5], -1
                                        ; implicit-def: $sgpr10
	s_and_saveexec_b64 s[8:9], s[12:13]
; %bb.3594:
	s_mov_b32 s10, 0x7f800001
	s_xor_b64 s[4:5], exec, -1
; %bb.3595:
	s_or_b64 exec, exec, s[8:9]
	s_and_b64 s[4:5], s[4:5], exec
	s_or_saveexec_b64 s[6:7], s[6:7]
	v_mov_b32_e32 v20, s10
	s_xor_b64 exec, exec, s[6:7]
	s_cbranch_execz .LBB46_1546
.LBB46_3596:
	v_mov_b32_e32 v20, 0
	v_cmp_ne_u16_sdwa s[8:9], v21, v20 src0_sel:BYTE_0 src1_sel:DWORD
	s_andn2_b64 s[4:5], s[4:5], exec
	s_and_b64 s[8:9], s[8:9], exec
	s_or_b64 s[4:5], s[4:5], s[8:9]
	s_or_b64 exec, exec, s[6:7]
	s_and_saveexec_b64 s[6:7], s[4:5]
	s_cbranch_execnz .LBB46_1547
	s_branch .LBB46_1548
.LBB46_3597:
	s_movk_i32 s4, 0x80
	v_cmp_eq_u16_sdwa s[12:13], v21, s4 src0_sel:BYTE_0 src1_sel:DWORD
	s_mov_b64 s[4:5], -1
                                        ; implicit-def: $sgpr10
	s_and_saveexec_b64 s[8:9], s[12:13]
; %bb.3598:
	s_mov_b32 s10, 0x7f800001
	s_xor_b64 s[4:5], exec, -1
; %bb.3599:
	s_or_b64 exec, exec, s[8:9]
	s_and_b64 s[4:5], s[4:5], exec
	s_or_saveexec_b64 s[6:7], s[6:7]
	v_mov_b32_e32 v22, s10
	s_xor_b64 exec, exec, s[6:7]
	s_cbranch_execz .LBB46_1550
.LBB46_3600:
	v_mov_b32_e32 v22, 0
	v_cmp_ne_u16_sdwa s[8:9], v21, v22 src0_sel:BYTE_0 src1_sel:DWORD
	s_andn2_b64 s[4:5], s[4:5], exec
	s_and_b64 s[8:9], s[8:9], exec
	s_or_b64 s[4:5], s[4:5], s[8:9]
	s_or_b64 exec, exec, s[6:7]
	s_and_saveexec_b64 s[6:7], s[4:5]
	s_cbranch_execnz .LBB46_1551
	s_branch .LBB46_1552
.LBB46_3601:
	s_movk_i32 s4, 0x80
	v_cmp_eq_u16_e32 vcc, s4, v21
	s_mov_b64 s[4:5], -1
                                        ; implicit-def: $sgpr10
	s_and_saveexec_b64 s[8:9], vcc
; %bb.3602:
	s_mov_b32 s10, 0x7f800001
	s_xor_b64 s[4:5], exec, -1
; %bb.3603:
	s_or_b64 exec, exec, s[8:9]
	s_and_b64 s[4:5], s[4:5], exec
                                        ; implicit-def: $vgpr21
	s_or_saveexec_b64 s[6:7], s[6:7]
	v_mov_b32_e32 v20, s10
	s_xor_b64 exec, exec, s[6:7]
	s_cbranch_execz .LBB46_1554
.LBB46_3604:
	v_cmp_ne_u16_e32 vcc, 0, v21
	s_andn2_b64 s[4:5], s[4:5], exec
	s_and_b64 s[8:9], vcc, exec
	v_mov_b32_e32 v20, 0
	s_or_b64 s[4:5], s[4:5], s[8:9]
	s_or_b64 exec, exec, s[6:7]
	s_and_saveexec_b64 s[6:7], s[4:5]
	s_cbranch_execnz .LBB46_1555
	s_branch .LBB46_1556
.LBB46_3605:
	s_movk_i32 s4, 0x80
	v_cmp_eq_u16_e32 vcc, s4, v21
	s_mov_b64 s[4:5], -1
                                        ; implicit-def: $sgpr10
	s_and_saveexec_b64 s[8:9], vcc
; %bb.3606:
	s_mov_b32 s10, 0x7f800001
	s_xor_b64 s[4:5], exec, -1
; %bb.3607:
	s_or_b64 exec, exec, s[8:9]
	s_and_b64 s[4:5], s[4:5], exec
                                        ; implicit-def: $vgpr21
	s_or_saveexec_b64 s[6:7], s[6:7]
	v_mov_b32_e32 v22, s10
	s_xor_b64 exec, exec, s[6:7]
	s_cbranch_execz .LBB46_1558
.LBB46_3608:
	v_cmp_ne_u16_e32 vcc, 0, v21
	s_andn2_b64 s[4:5], s[4:5], exec
	s_and_b64 s[8:9], vcc, exec
	v_mov_b32_e32 v22, 0
	s_or_b64 s[4:5], s[4:5], s[8:9]
	s_or_b64 exec, exec, s[6:7]
	s_and_saveexec_b64 s[6:7], s[4:5]
	s_cbranch_execnz .LBB46_1559
	s_branch .LBB46_1560
.LBB46_3609:
	s_movk_i32 s4, 0x80
	v_cmp_eq_u16_sdwa s[12:13], v14, s4 src0_sel:BYTE_3 src1_sel:DWORD
	s_mov_b64 s[4:5], -1
                                        ; implicit-def: $sgpr10
	s_and_saveexec_b64 s[8:9], s[12:13]
; %bb.3610:
	s_mov_b32 s10, 0x7f800001
	s_xor_b64 s[4:5], exec, -1
; %bb.3611:
	s_or_b64 exec, exec, s[8:9]
	s_and_b64 s[4:5], s[4:5], exec
	s_or_saveexec_b64 s[6:7], s[6:7]
	v_mov_b32_e32 v20, s10
	s_xor_b64 exec, exec, s[6:7]
	s_cbranch_execz .LBB46_1562
.LBB46_3612:
	v_mov_b32_e32 v20, 0
	v_cmp_ne_u16_sdwa s[8:9], v14, v20 src0_sel:BYTE_3 src1_sel:DWORD
	s_andn2_b64 s[4:5], s[4:5], exec
	s_and_b64 s[8:9], s[8:9], exec
	s_or_b64 s[4:5], s[4:5], s[8:9]
	s_or_b64 exec, exec, s[6:7]
	s_and_saveexec_b64 s[6:7], s[4:5]
	s_cbranch_execnz .LBB46_1563
	s_branch .LBB46_1564
.LBB46_3613:
	s_movk_i32 s4, 0x80
	v_cmp_eq_u16_sdwa s[12:13], v10, s4 src0_sel:BYTE_3 src1_sel:DWORD
	s_mov_b64 s[4:5], -1
                                        ; implicit-def: $sgpr10
	s_and_saveexec_b64 s[8:9], s[12:13]
; %bb.3614:
	s_mov_b32 s10, 0x7f800001
	s_xor_b64 s[4:5], exec, -1
; %bb.3615:
	s_or_b64 exec, exec, s[8:9]
	s_and_b64 s[4:5], s[4:5], exec
	s_or_saveexec_b64 s[6:7], s[6:7]
	v_mov_b32_e32 v14, s10
	s_xor_b64 exec, exec, s[6:7]
	s_cbranch_execz .LBB46_1566
.LBB46_3616:
	v_mov_b32_e32 v14, 0
	v_cmp_ne_u16_sdwa s[8:9], v10, v14 src0_sel:BYTE_3 src1_sel:DWORD
	s_andn2_b64 s[4:5], s[4:5], exec
	s_and_b64 s[8:9], s[8:9], exec
	s_or_b64 s[4:5], s[4:5], s[8:9]
	s_or_b64 exec, exec, s[6:7]
	s_and_saveexec_b64 s[6:7], s[4:5]
	s_cbranch_execnz .LBB46_1567
	s_branch .LBB46_1568
.LBB46_3617:
	s_movk_i32 s4, 0x80
	v_cmp_eq_u16_sdwa s[12:13], v15, s4 src0_sel:BYTE_0 src1_sel:DWORD
	s_mov_b64 s[4:5], -1
                                        ; implicit-def: $sgpr10
	s_and_saveexec_b64 s[8:9], s[12:13]
; %bb.3618:
	s_mov_b32 s10, 0x7f800001
	s_xor_b64 s[4:5], exec, -1
; %bb.3619:
	s_or_b64 exec, exec, s[8:9]
	s_and_b64 s[4:5], s[4:5], exec
	s_or_saveexec_b64 s[6:7], s[6:7]
	v_mov_b32_e32 v10, s10
	s_xor_b64 exec, exec, s[6:7]
	s_cbranch_execz .LBB46_1570
.LBB46_3620:
	v_mov_b32_e32 v10, 0
	v_cmp_ne_u16_sdwa s[8:9], v15, v10 src0_sel:BYTE_0 src1_sel:DWORD
	s_andn2_b64 s[4:5], s[4:5], exec
	s_and_b64 s[8:9], s[8:9], exec
	s_or_b64 s[4:5], s[4:5], s[8:9]
	s_or_b64 exec, exec, s[6:7]
	s_and_saveexec_b64 s[6:7], s[4:5]
	s_cbranch_execnz .LBB46_1571
	s_branch .LBB46_1572
.LBB46_3621:
	s_movk_i32 s4, 0x80
	v_cmp_eq_u16_sdwa s[12:13], v11, s4 src0_sel:BYTE_0 src1_sel:DWORD
	s_mov_b64 s[4:5], -1
                                        ; implicit-def: $sgpr10
	s_and_saveexec_b64 s[8:9], s[12:13]
; %bb.3622:
	s_mov_b32 s10, 0x7f800001
	s_xor_b64 s[4:5], exec, -1
; %bb.3623:
	s_or_b64 exec, exec, s[8:9]
	s_and_b64 s[4:5], s[4:5], exec
	s_or_saveexec_b64 s[6:7], s[6:7]
	v_mov_b32_e32 v14, s10
	s_xor_b64 exec, exec, s[6:7]
	s_cbranch_execz .LBB46_1574
.LBB46_3624:
	v_mov_b32_e32 v14, 0
	v_cmp_ne_u16_sdwa s[8:9], v11, v14 src0_sel:BYTE_0 src1_sel:DWORD
	s_andn2_b64 s[4:5], s[4:5], exec
	s_and_b64 s[8:9], s[8:9], exec
	s_or_b64 s[4:5], s[4:5], s[8:9]
	s_or_b64 exec, exec, s[6:7]
	s_and_saveexec_b64 s[6:7], s[4:5]
	s_cbranch_execnz .LBB46_1575
	s_branch .LBB46_1576
.LBB46_3625:
	s_movk_i32 s4, 0x80
	v_cmp_eq_u16_sdwa s[12:13], v14, s4 src0_sel:BYTE_0 src1_sel:DWORD
	s_mov_b64 s[4:5], -1
                                        ; implicit-def: $sgpr10
	s_and_saveexec_b64 s[8:9], s[12:13]
; %bb.3626:
	s_mov_b32 s10, 0x7f800001
	s_xor_b64 s[4:5], exec, -1
; %bb.3627:
	s_or_b64 exec, exec, s[8:9]
	s_and_b64 s[4:5], s[4:5], exec
	s_or_saveexec_b64 s[6:7], s[6:7]
	v_mov_b32_e32 v10, s10
	s_xor_b64 exec, exec, s[6:7]
	s_cbranch_execz .LBB46_1578
.LBB46_3628:
	v_mov_b32_e32 v10, 0
	v_cmp_ne_u16_sdwa s[8:9], v14, v10 src0_sel:BYTE_0 src1_sel:DWORD
	s_andn2_b64 s[4:5], s[4:5], exec
	s_and_b64 s[8:9], s[8:9], exec
	s_or_b64 s[4:5], s[4:5], s[8:9]
	s_or_b64 exec, exec, s[6:7]
	s_and_saveexec_b64 s[6:7], s[4:5]
	s_cbranch_execnz .LBB46_1579
	s_branch .LBB46_1580
.LBB46_3629:
	s_movk_i32 s4, 0x80
	v_cmp_eq_u16_sdwa s[12:13], v14, s4 src0_sel:BYTE_0 src1_sel:DWORD
	s_mov_b64 s[4:5], -1
                                        ; implicit-def: $sgpr10
	s_and_saveexec_b64 s[8:9], s[12:13]
; %bb.3630:
	s_mov_b32 s10, 0x7f800001
	s_xor_b64 s[4:5], exec, -1
; %bb.3631:
	s_or_b64 exec, exec, s[8:9]
	s_and_b64 s[4:5], s[4:5], exec
	s_or_saveexec_b64 s[6:7], s[6:7]
	v_mov_b32_e32 v20, s10
	s_xor_b64 exec, exec, s[6:7]
	s_cbranch_execz .LBB46_1582
.LBB46_3632:
	v_mov_b32_e32 v20, 0
	v_cmp_ne_u16_sdwa s[8:9], v14, v20 src0_sel:BYTE_0 src1_sel:DWORD
	s_andn2_b64 s[4:5], s[4:5], exec
	s_and_b64 s[8:9], s[8:9], exec
	s_or_b64 s[4:5], s[4:5], s[8:9]
	s_or_b64 exec, exec, s[6:7]
	s_and_saveexec_b64 s[6:7], s[4:5]
	s_cbranch_execnz .LBB46_1583
	s_branch .LBB46_1584
.LBB46_3633:
	s_movk_i32 s4, 0x80
	v_cmp_eq_u16_e32 vcc, s4, v14
	s_mov_b64 s[4:5], -1
                                        ; implicit-def: $sgpr10
	s_and_saveexec_b64 s[8:9], vcc
; %bb.3634:
	s_mov_b32 s10, 0x7f800001
	s_xor_b64 s[4:5], exec, -1
; %bb.3635:
	s_or_b64 exec, exec, s[8:9]
	s_and_b64 s[4:5], s[4:5], exec
                                        ; implicit-def: $vgpr14
	s_or_saveexec_b64 s[6:7], s[6:7]
	v_mov_b32_e32 v10, s10
	s_xor_b64 exec, exec, s[6:7]
	s_cbranch_execz .LBB46_1586
.LBB46_3636:
	v_cmp_ne_u16_e32 vcc, 0, v14
	s_andn2_b64 s[4:5], s[4:5], exec
	s_and_b64 s[8:9], vcc, exec
	v_mov_b32_e32 v10, 0
	s_or_b64 s[4:5], s[4:5], s[8:9]
	s_or_b64 exec, exec, s[6:7]
	s_and_saveexec_b64 s[6:7], s[4:5]
	s_cbranch_execnz .LBB46_1587
	s_branch .LBB46_1588
.LBB46_3637:
	s_movk_i32 s4, 0x80
	v_cmp_eq_u16_e32 vcc, s4, v14
	s_mov_b64 s[4:5], -1
                                        ; implicit-def: $sgpr10
	s_and_saveexec_b64 s[8:9], vcc
; %bb.3638:
	s_mov_b32 s10, 0x7f800001
	s_xor_b64 s[4:5], exec, -1
; %bb.3639:
	s_or_b64 exec, exec, s[8:9]
	s_and_b64 s[4:5], s[4:5], exec
                                        ; implicit-def: $vgpr14
	s_or_saveexec_b64 s[6:7], s[6:7]
	v_mov_b32_e32 v20, s10
	s_xor_b64 exec, exec, s[6:7]
	s_cbranch_execz .LBB46_1590
.LBB46_3640:
	v_cmp_ne_u16_e32 vcc, 0, v14
	s_andn2_b64 s[4:5], s[4:5], exec
	s_and_b64 s[8:9], vcc, exec
	v_mov_b32_e32 v20, 0
	s_or_b64 s[4:5], s[4:5], s[8:9]
	s_or_b64 exec, exec, s[6:7]
	s_and_saveexec_b64 s[6:7], s[4:5]
	s_cbranch_execnz .LBB46_1591
	s_branch .LBB46_1592
.LBB46_3641:
	s_movk_i32 s4, 0x80
	v_cmp_eq_u16_sdwa s[12:13], v15, s4 src0_sel:BYTE_3 src1_sel:DWORD
	s_mov_b64 s[4:5], -1
                                        ; implicit-def: $sgpr10
	s_and_saveexec_b64 s[8:9], s[12:13]
; %bb.3642:
	s_mov_b32 s10, 0x7f800001
	s_xor_b64 s[4:5], exec, -1
; %bb.3643:
	s_or_b64 exec, exec, s[8:9]
	s_and_b64 s[4:5], s[4:5], exec
	s_or_saveexec_b64 s[6:7], s[6:7]
	v_mov_b32_e32 v10, s10
	s_xor_b64 exec, exec, s[6:7]
	s_cbranch_execz .LBB46_1594
.LBB46_3644:
	v_mov_b32_e32 v10, 0
	v_cmp_ne_u16_sdwa s[8:9], v15, v10 src0_sel:BYTE_3 src1_sel:DWORD
	s_andn2_b64 s[4:5], s[4:5], exec
	s_and_b64 s[8:9], s[8:9], exec
	s_or_b64 s[4:5], s[4:5], s[8:9]
	s_or_b64 exec, exec, s[6:7]
	s_and_saveexec_b64 s[6:7], s[4:5]
	s_cbranch_execnz .LBB46_1595
	s_branch .LBB46_1596
.LBB46_3645:
	s_movk_i32 s4, 0x80
	v_cmp_eq_u16_sdwa s[12:13], v11, s4 src0_sel:BYTE_3 src1_sel:DWORD
	s_mov_b64 s[4:5], -1
                                        ; implicit-def: $sgpr10
	s_and_saveexec_b64 s[8:9], s[12:13]
; %bb.3646:
	s_mov_b32 s10, 0x7f800001
	s_xor_b64 s[4:5], exec, -1
; %bb.3647:
	s_or_b64 exec, exec, s[8:9]
	s_and_b64 s[4:5], s[4:5], exec
	s_or_saveexec_b64 s[6:7], s[6:7]
	v_mov_b32_e32 v14, s10
	s_xor_b64 exec, exec, s[6:7]
	s_cbranch_execz .LBB46_1598
.LBB46_3648:
	v_mov_b32_e32 v14, 0
	v_cmp_ne_u16_sdwa s[8:9], v11, v14 src0_sel:BYTE_3 src1_sel:DWORD
	s_andn2_b64 s[4:5], s[4:5], exec
	s_and_b64 s[8:9], s[8:9], exec
	s_or_b64 s[4:5], s[4:5], s[8:9]
	s_or_b64 exec, exec, s[6:7]
	s_and_saveexec_b64 s[6:7], s[4:5]
	s_cbranch_execnz .LBB46_1599
	s_branch .LBB46_1600
.LBB46_3649:
	s_movk_i32 s4, 0x80
	v_cmp_eq_u16_sdwa s[12:13], v16, s4 src0_sel:BYTE_0 src1_sel:DWORD
	s_mov_b64 s[4:5], -1
                                        ; implicit-def: $sgpr10
	s_and_saveexec_b64 s[8:9], s[12:13]
; %bb.3650:
	s_mov_b32 s10, 0x7f800001
	s_xor_b64 s[4:5], exec, -1
; %bb.3651:
	s_or_b64 exec, exec, s[8:9]
	s_and_b64 s[4:5], s[4:5], exec
	s_or_saveexec_b64 s[6:7], s[6:7]
	v_mov_b32_e32 v10, s10
	s_xor_b64 exec, exec, s[6:7]
	s_cbranch_execz .LBB46_1602
.LBB46_3652:
	v_mov_b32_e32 v10, 0
	v_cmp_ne_u16_sdwa s[8:9], v16, v10 src0_sel:BYTE_0 src1_sel:DWORD
	s_andn2_b64 s[4:5], s[4:5], exec
	s_and_b64 s[8:9], s[8:9], exec
	s_or_b64 s[4:5], s[4:5], s[8:9]
	s_or_b64 exec, exec, s[6:7]
	s_and_saveexec_b64 s[6:7], s[4:5]
	s_cbranch_execnz .LBB46_1603
	s_branch .LBB46_1604
.LBB46_3653:
	s_movk_i32 s4, 0x80
	v_cmp_eq_u16_sdwa s[12:13], v12, s4 src0_sel:BYTE_0 src1_sel:DWORD
	s_mov_b64 s[4:5], -1
                                        ; implicit-def: $sgpr10
	s_and_saveexec_b64 s[8:9], s[12:13]
; %bb.3654:
	s_mov_b32 s10, 0x7f800001
	s_xor_b64 s[4:5], exec, -1
; %bb.3655:
	s_or_b64 exec, exec, s[8:9]
	s_and_b64 s[4:5], s[4:5], exec
	s_or_saveexec_b64 s[6:7], s[6:7]
	v_mov_b32_e32 v11, s10
	s_xor_b64 exec, exec, s[6:7]
	s_cbranch_execz .LBB46_1606
.LBB46_3656:
	v_mov_b32_e32 v11, 0
	v_cmp_ne_u16_sdwa s[8:9], v12, v11 src0_sel:BYTE_0 src1_sel:DWORD
	s_andn2_b64 s[4:5], s[4:5], exec
	s_and_b64 s[8:9], s[8:9], exec
	s_or_b64 s[4:5], s[4:5], s[8:9]
	s_or_b64 exec, exec, s[6:7]
	s_and_saveexec_b64 s[6:7], s[4:5]
	s_cbranch_execnz .LBB46_1607
	s_branch .LBB46_1608
.LBB46_3657:
	s_movk_i32 s4, 0x80
	v_cmp_eq_u16_sdwa s[12:13], v11, s4 src0_sel:BYTE_0 src1_sel:DWORD
	s_mov_b64 s[4:5], -1
                                        ; implicit-def: $sgpr10
	s_and_saveexec_b64 s[8:9], s[12:13]
; %bb.3658:
	s_mov_b32 s10, 0x7f800001
	s_xor_b64 s[4:5], exec, -1
; %bb.3659:
	s_or_b64 exec, exec, s[8:9]
	s_and_b64 s[4:5], s[4:5], exec
	s_or_saveexec_b64 s[6:7], s[6:7]
	v_mov_b32_e32 v10, s10
	s_xor_b64 exec, exec, s[6:7]
	s_cbranch_execz .LBB46_1610
.LBB46_3660:
	v_mov_b32_e32 v10, 0
	v_cmp_ne_u16_sdwa s[8:9], v11, v10 src0_sel:BYTE_0 src1_sel:DWORD
	s_andn2_b64 s[4:5], s[4:5], exec
	s_and_b64 s[8:9], s[8:9], exec
	s_or_b64 s[4:5], s[4:5], s[8:9]
	s_or_b64 exec, exec, s[6:7]
	s_and_saveexec_b64 s[6:7], s[4:5]
	s_cbranch_execnz .LBB46_1611
	s_branch .LBB46_1612
.LBB46_3661:
	s_movk_i32 s4, 0x80
	v_cmp_eq_u16_sdwa s[12:13], v11, s4 src0_sel:BYTE_0 src1_sel:DWORD
	s_mov_b64 s[4:5], -1
                                        ; implicit-def: $sgpr10
	s_and_saveexec_b64 s[8:9], s[12:13]
; %bb.3662:
	s_mov_b32 s10, 0x7f800001
	s_xor_b64 s[4:5], exec, -1
; %bb.3663:
	s_or_b64 exec, exec, s[8:9]
	s_and_b64 s[4:5], s[4:5], exec
	s_or_saveexec_b64 s[6:7], s[6:7]
	v_mov_b32_e32 v14, s10
	s_xor_b64 exec, exec, s[6:7]
	s_cbranch_execz .LBB46_1614
.LBB46_3664:
	v_mov_b32_e32 v14, 0
	v_cmp_ne_u16_sdwa s[8:9], v11, v14 src0_sel:BYTE_0 src1_sel:DWORD
	s_andn2_b64 s[4:5], s[4:5], exec
	s_and_b64 s[8:9], s[8:9], exec
	s_or_b64 s[4:5], s[4:5], s[8:9]
	s_or_b64 exec, exec, s[6:7]
	s_and_saveexec_b64 s[6:7], s[4:5]
	s_cbranch_execnz .LBB46_1615
	s_branch .LBB46_1616
.LBB46_3665:
	s_movk_i32 s4, 0x80
	v_cmp_eq_u16_e32 vcc, s4, v11
	s_mov_b64 s[4:5], -1
                                        ; implicit-def: $sgpr10
	s_and_saveexec_b64 s[8:9], vcc
; %bb.3666:
	s_mov_b32 s10, 0x7f800001
	s_xor_b64 s[4:5], exec, -1
; %bb.3667:
	s_or_b64 exec, exec, s[8:9]
	s_and_b64 s[4:5], s[4:5], exec
                                        ; implicit-def: $vgpr11
	s_or_saveexec_b64 s[6:7], s[6:7]
	v_mov_b32_e32 v10, s10
	s_xor_b64 exec, exec, s[6:7]
	s_cbranch_execz .LBB46_1618
.LBB46_3668:
	v_cmp_ne_u16_e32 vcc, 0, v11
	s_andn2_b64 s[4:5], s[4:5], exec
	s_and_b64 s[8:9], vcc, exec
	v_mov_b32_e32 v10, 0
	s_or_b64 s[4:5], s[4:5], s[8:9]
	s_or_b64 exec, exec, s[6:7]
	s_and_saveexec_b64 s[6:7], s[4:5]
	s_cbranch_execnz .LBB46_1619
	s_branch .LBB46_1620
.LBB46_3669:
	s_movk_i32 s4, 0x80
	v_cmp_eq_u16_e32 vcc, s4, v11
	s_mov_b64 s[4:5], -1
                                        ; implicit-def: $sgpr10
	s_and_saveexec_b64 s[8:9], vcc
; %bb.3670:
	s_mov_b32 s10, 0x7f800001
	s_xor_b64 s[4:5], exec, -1
; %bb.3671:
	s_or_b64 exec, exec, s[8:9]
	s_and_b64 s[4:5], s[4:5], exec
                                        ; implicit-def: $vgpr11
	s_or_saveexec_b64 s[6:7], s[6:7]
	v_mov_b32_e32 v14, s10
	s_xor_b64 exec, exec, s[6:7]
	s_cbranch_execz .LBB46_1622
.LBB46_3672:
	v_cmp_ne_u16_e32 vcc, 0, v11
	s_andn2_b64 s[4:5], s[4:5], exec
	s_and_b64 s[8:9], vcc, exec
	v_mov_b32_e32 v14, 0
	s_or_b64 s[4:5], s[4:5], s[8:9]
	s_or_b64 exec, exec, s[6:7]
	s_and_saveexec_b64 s[6:7], s[4:5]
	s_cbranch_execnz .LBB46_1623
	s_branch .LBB46_1624
.LBB46_3673:
	s_movk_i32 s4, 0x80
	v_cmp_eq_u16_sdwa s[12:13], v16, s4 src0_sel:BYTE_3 src1_sel:DWORD
	s_mov_b64 s[4:5], -1
                                        ; implicit-def: $sgpr10
	s_and_saveexec_b64 s[8:9], s[12:13]
; %bb.3674:
	s_mov_b32 s10, 0x7f800001
	s_xor_b64 s[4:5], exec, -1
; %bb.3675:
	s_or_b64 exec, exec, s[8:9]
	s_and_b64 s[4:5], s[4:5], exec
	s_or_saveexec_b64 s[6:7], s[6:7]
	v_mov_b32_e32 v10, s10
	s_xor_b64 exec, exec, s[6:7]
	s_cbranch_execz .LBB46_1626
.LBB46_3676:
	v_mov_b32_e32 v10, 0
	v_cmp_ne_u16_sdwa s[8:9], v16, v10 src0_sel:BYTE_3 src1_sel:DWORD
	s_andn2_b64 s[4:5], s[4:5], exec
	s_and_b64 s[8:9], s[8:9], exec
	s_or_b64 s[4:5], s[4:5], s[8:9]
	s_or_b64 exec, exec, s[6:7]
	s_and_saveexec_b64 s[6:7], s[4:5]
	s_cbranch_execnz .LBB46_1627
	s_branch .LBB46_1628
.LBB46_3677:
	s_movk_i32 s4, 0x80
	v_cmp_eq_u16_sdwa s[12:13], v12, s4 src0_sel:BYTE_3 src1_sel:DWORD
	s_mov_b64 s[4:5], -1
                                        ; implicit-def: $sgpr10
	s_and_saveexec_b64 s[8:9], s[12:13]
; %bb.3678:
	s_mov_b32 s10, 0x7f800001
	s_xor_b64 s[4:5], exec, -1
; %bb.3679:
	s_or_b64 exec, exec, s[8:9]
	s_and_b64 s[4:5], s[4:5], exec
	s_or_saveexec_b64 s[6:7], s[6:7]
	v_mov_b32_e32 v11, s10
	s_xor_b64 exec, exec, s[6:7]
	s_cbranch_execz .LBB46_1630
.LBB46_3680:
	v_mov_b32_e32 v11, 0
	v_cmp_ne_u16_sdwa s[8:9], v12, v11 src0_sel:BYTE_3 src1_sel:DWORD
	s_andn2_b64 s[4:5], s[4:5], exec
	s_and_b64 s[8:9], s[8:9], exec
	s_or_b64 s[4:5], s[4:5], s[8:9]
	s_or_b64 exec, exec, s[6:7]
	s_and_saveexec_b64 s[6:7], s[4:5]
	s_cbranch_execnz .LBB46_1631
	s_branch .LBB46_1632
.LBB46_3681:
	s_movk_i32 s4, 0x80
	v_cmp_eq_u16_sdwa s[12:13], v17, s4 src0_sel:BYTE_0 src1_sel:DWORD
	s_mov_b64 s[4:5], -1
                                        ; implicit-def: $sgpr10
	s_and_saveexec_b64 s[8:9], s[12:13]
; %bb.3682:
	s_mov_b32 s10, 0x7f800001
	s_xor_b64 s[4:5], exec, -1
; %bb.3683:
	s_or_b64 exec, exec, s[8:9]
	s_and_b64 s[4:5], s[4:5], exec
	s_or_saveexec_b64 s[6:7], s[6:7]
	v_mov_b32_e32 v10, s10
	s_xor_b64 exec, exec, s[6:7]
	s_cbranch_execz .LBB46_1634
.LBB46_3684:
	v_mov_b32_e32 v10, 0
	v_cmp_ne_u16_sdwa s[8:9], v17, v10 src0_sel:BYTE_0 src1_sel:DWORD
	s_andn2_b64 s[4:5], s[4:5], exec
	s_and_b64 s[8:9], s[8:9], exec
	s_or_b64 s[4:5], s[4:5], s[8:9]
	s_or_b64 exec, exec, s[6:7]
	s_and_saveexec_b64 s[6:7], s[4:5]
	s_cbranch_execnz .LBB46_1635
	s_branch .LBB46_1636
.LBB46_3685:
	s_movk_i32 s4, 0x80
	v_cmp_eq_u16_sdwa s[12:13], v13, s4 src0_sel:BYTE_0 src1_sel:DWORD
	s_mov_b64 s[4:5], -1
                                        ; implicit-def: $sgpr10
	s_and_saveexec_b64 s[8:9], s[12:13]
; %bb.3686:
	s_mov_b32 s10, 0x7f800001
	s_xor_b64 s[4:5], exec, -1
; %bb.3687:
	s_or_b64 exec, exec, s[8:9]
	s_and_b64 s[4:5], s[4:5], exec
	s_or_saveexec_b64 s[6:7], s[6:7]
	v_mov_b32_e32 v11, s10
	s_xor_b64 exec, exec, s[6:7]
	s_cbranch_execz .LBB46_1638
.LBB46_3688:
	v_mov_b32_e32 v11, 0
	v_cmp_ne_u16_sdwa s[8:9], v13, v11 src0_sel:BYTE_0 src1_sel:DWORD
	s_andn2_b64 s[4:5], s[4:5], exec
	s_and_b64 s[8:9], s[8:9], exec
	s_or_b64 s[4:5], s[4:5], s[8:9]
	s_or_b64 exec, exec, s[6:7]
	s_and_saveexec_b64 s[6:7], s[4:5]
	s_cbranch_execnz .LBB46_1639
	s_branch .LBB46_1640
.LBB46_3689:
	s_movk_i32 s4, 0x80
	v_cmp_eq_u16_sdwa s[12:13], v11, s4 src0_sel:BYTE_0 src1_sel:DWORD
	s_mov_b64 s[4:5], -1
                                        ; implicit-def: $sgpr10
	s_and_saveexec_b64 s[8:9], s[12:13]
; %bb.3690:
	s_mov_b32 s10, 0x7f800001
	s_xor_b64 s[4:5], exec, -1
; %bb.3691:
	s_or_b64 exec, exec, s[8:9]
	s_and_b64 s[4:5], s[4:5], exec
	s_or_saveexec_b64 s[6:7], s[6:7]
	v_mov_b32_e32 v10, s10
	s_xor_b64 exec, exec, s[6:7]
	s_cbranch_execz .LBB46_1642
.LBB46_3692:
	v_mov_b32_e32 v10, 0
	v_cmp_ne_u16_sdwa s[8:9], v11, v10 src0_sel:BYTE_0 src1_sel:DWORD
	s_andn2_b64 s[4:5], s[4:5], exec
	s_and_b64 s[8:9], s[8:9], exec
	s_or_b64 s[4:5], s[4:5], s[8:9]
	s_or_b64 exec, exec, s[6:7]
	s_and_saveexec_b64 s[6:7], s[4:5]
	s_cbranch_execnz .LBB46_1643
	s_branch .LBB46_1644
.LBB46_3693:
	s_movk_i32 s4, 0x80
	v_cmp_eq_u16_sdwa s[12:13], v11, s4 src0_sel:BYTE_0 src1_sel:DWORD
	s_mov_b64 s[4:5], -1
                                        ; implicit-def: $sgpr10
	s_and_saveexec_b64 s[8:9], s[12:13]
; %bb.3694:
	s_mov_b32 s10, 0x7f800001
	s_xor_b64 s[4:5], exec, -1
; %bb.3695:
	s_or_b64 exec, exec, s[8:9]
	s_and_b64 s[4:5], s[4:5], exec
	s_or_saveexec_b64 s[6:7], s[6:7]
	v_mov_b32_e32 v12, s10
	s_xor_b64 exec, exec, s[6:7]
	s_cbranch_execz .LBB46_1646
.LBB46_3696:
	v_mov_b32_e32 v12, 0
	v_cmp_ne_u16_sdwa s[8:9], v11, v12 src0_sel:BYTE_0 src1_sel:DWORD
	s_andn2_b64 s[4:5], s[4:5], exec
	s_and_b64 s[8:9], s[8:9], exec
	s_or_b64 s[4:5], s[4:5], s[8:9]
	s_or_b64 exec, exec, s[6:7]
	s_and_saveexec_b64 s[6:7], s[4:5]
	s_cbranch_execnz .LBB46_1647
	s_branch .LBB46_1648
.LBB46_3697:
	s_movk_i32 s4, 0x80
	v_cmp_eq_u16_e32 vcc, s4, v11
	s_mov_b64 s[4:5], -1
                                        ; implicit-def: $sgpr10
	s_and_saveexec_b64 s[8:9], vcc
; %bb.3698:
	s_mov_b32 s10, 0x7f800001
	s_xor_b64 s[4:5], exec, -1
; %bb.3699:
	s_or_b64 exec, exec, s[8:9]
	s_and_b64 s[4:5], s[4:5], exec
                                        ; implicit-def: $vgpr11
	s_or_saveexec_b64 s[6:7], s[6:7]
	v_mov_b32_e32 v10, s10
	s_xor_b64 exec, exec, s[6:7]
	s_cbranch_execz .LBB46_1650
.LBB46_3700:
	v_cmp_ne_u16_e32 vcc, 0, v11
	s_andn2_b64 s[4:5], s[4:5], exec
	s_and_b64 s[8:9], vcc, exec
	v_mov_b32_e32 v10, 0
	s_or_b64 s[4:5], s[4:5], s[8:9]
	s_or_b64 exec, exec, s[6:7]
	s_and_saveexec_b64 s[6:7], s[4:5]
	s_cbranch_execnz .LBB46_1651
	s_branch .LBB46_1652
.LBB46_3701:
	s_movk_i32 s4, 0x80
	v_cmp_eq_u16_e32 vcc, s4, v11
	s_mov_b64 s[4:5], -1
                                        ; implicit-def: $sgpr10
	s_and_saveexec_b64 s[8:9], vcc
; %bb.3702:
	s_mov_b32 s10, 0x7f800001
	s_xor_b64 s[4:5], exec, -1
; %bb.3703:
	s_or_b64 exec, exec, s[8:9]
	s_and_b64 s[4:5], s[4:5], exec
                                        ; implicit-def: $vgpr11
	s_or_saveexec_b64 s[6:7], s[6:7]
	v_mov_b32_e32 v12, s10
	s_xor_b64 exec, exec, s[6:7]
	s_cbranch_execz .LBB46_1654
.LBB46_3704:
	v_cmp_ne_u16_e32 vcc, 0, v11
	s_andn2_b64 s[4:5], s[4:5], exec
	s_and_b64 s[8:9], vcc, exec
	v_mov_b32_e32 v12, 0
	s_or_b64 s[4:5], s[4:5], s[8:9]
	s_or_b64 exec, exec, s[6:7]
	s_and_saveexec_b64 s[6:7], s[4:5]
	s_cbranch_execnz .LBB46_1655
	s_branch .LBB46_1656
.LBB46_3705:
	s_movk_i32 s4, 0x80
	v_cmp_eq_u16_sdwa s[12:13], v17, s4 src0_sel:BYTE_3 src1_sel:DWORD
	s_mov_b64 s[4:5], -1
                                        ; implicit-def: $sgpr10
	s_and_saveexec_b64 s[8:9], s[12:13]
; %bb.3706:
	s_mov_b32 s10, 0x7f800001
	s_xor_b64 s[4:5], exec, -1
; %bb.3707:
	s_or_b64 exec, exec, s[8:9]
	s_and_b64 s[4:5], s[4:5], exec
	s_or_saveexec_b64 s[6:7], s[6:7]
	v_mov_b32_e32 v10, s10
	s_xor_b64 exec, exec, s[6:7]
	s_cbranch_execz .LBB46_1658
.LBB46_3708:
	v_mov_b32_e32 v10, 0
	v_cmp_ne_u16_sdwa s[8:9], v17, v10 src0_sel:BYTE_3 src1_sel:DWORD
	s_andn2_b64 s[4:5], s[4:5], exec
	s_and_b64 s[8:9], s[8:9], exec
	s_or_b64 s[4:5], s[4:5], s[8:9]
	s_or_b64 exec, exec, s[6:7]
	s_and_saveexec_b64 s[6:7], s[4:5]
	s_cbranch_execnz .LBB46_1659
	s_branch .LBB46_1660
.LBB46_3709:
	s_movk_i32 s4, 0x80
	v_cmp_eq_u16_sdwa s[12:13], v13, s4 src0_sel:BYTE_3 src1_sel:DWORD
	s_mov_b64 s[4:5], -1
                                        ; implicit-def: $sgpr10
	s_and_saveexec_b64 s[8:9], s[12:13]
; %bb.3710:
	s_mov_b32 s10, 0x7f800001
	s_xor_b64 s[4:5], exec, -1
; %bb.3711:
	s_or_b64 exec, exec, s[8:9]
	s_and_b64 s[4:5], s[4:5], exec
	s_or_saveexec_b64 s[6:7], s[6:7]
	v_mov_b32_e32 v11, s10
	s_xor_b64 exec, exec, s[6:7]
	s_cbranch_execz .LBB46_1662
.LBB46_3712:
	v_mov_b32_e32 v11, 0
	v_cmp_ne_u16_sdwa s[8:9], v13, v11 src0_sel:BYTE_3 src1_sel:DWORD
	s_andn2_b64 s[4:5], s[4:5], exec
	s_and_b64 s[8:9], s[8:9], exec
	s_or_b64 s[4:5], s[4:5], s[8:9]
	s_or_b64 exec, exec, s[6:7]
	s_and_saveexec_b64 s[6:7], s[4:5]
	s_cbranch_execnz .LBB46_1663
	s_branch .LBB46_1664
.LBB46_3713:
	s_movk_i32 s4, 0x80
	v_cmp_eq_u16_sdwa s[12:13], v6, s4 src0_sel:BYTE_0 src1_sel:DWORD
	s_mov_b64 s[4:5], -1
                                        ; implicit-def: $sgpr10
	s_and_saveexec_b64 s[8:9], s[12:13]
; %bb.3714:
	s_mov_b32 s10, 0x7f800001
	s_xor_b64 s[4:5], exec, -1
; %bb.3715:
	s_or_b64 exec, exec, s[8:9]
	s_and_b64 s[4:5], s[4:5], exec
	s_or_saveexec_b64 s[6:7], s[6:7]
	v_mov_b32_e32 v10, s10
	s_xor_b64 exec, exec, s[6:7]
	s_cbranch_execz .LBB46_1666
.LBB46_3716:
	v_mov_b32_e32 v10, 0
	v_cmp_ne_u16_sdwa s[8:9], v6, v10 src0_sel:BYTE_0 src1_sel:DWORD
	s_andn2_b64 s[4:5], s[4:5], exec
	s_and_b64 s[8:9], s[8:9], exec
	s_or_b64 s[4:5], s[4:5], s[8:9]
	s_or_b64 exec, exec, s[6:7]
	s_and_saveexec_b64 s[6:7], s[4:5]
	s_cbranch_execnz .LBB46_1667
	s_branch .LBB46_1668
.LBB46_3717:
	s_movk_i32 s4, 0x80
	v_cmp_eq_u16_sdwa s[12:13], v2, s4 src0_sel:BYTE_0 src1_sel:DWORD
	s_mov_b64 s[4:5], -1
                                        ; implicit-def: $sgpr10
	s_and_saveexec_b64 s[8:9], s[12:13]
; %bb.3718:
	s_mov_b32 s10, 0x7f800001
	s_xor_b64 s[4:5], exec, -1
; %bb.3719:
	s_or_b64 exec, exec, s[8:9]
	s_and_b64 s[4:5], s[4:5], exec
	s_or_saveexec_b64 s[6:7], s[6:7]
	v_mov_b32_e32 v11, s10
	s_xor_b64 exec, exec, s[6:7]
	s_cbranch_execz .LBB46_1670
.LBB46_3720:
	v_mov_b32_e32 v11, 0
	v_cmp_ne_u16_sdwa s[8:9], v2, v11 src0_sel:BYTE_0 src1_sel:DWORD
	s_andn2_b64 s[4:5], s[4:5], exec
	s_and_b64 s[8:9], s[8:9], exec
	s_or_b64 s[4:5], s[4:5], s[8:9]
	s_or_b64 exec, exec, s[6:7]
	s_and_saveexec_b64 s[6:7], s[4:5]
	s_cbranch_execnz .LBB46_1671
	s_branch .LBB46_1672
.LBB46_3721:
	s_movk_i32 s4, 0x80
	v_cmp_eq_u16_sdwa s[12:13], v11, s4 src0_sel:BYTE_0 src1_sel:DWORD
	s_mov_b64 s[4:5], -1
                                        ; implicit-def: $sgpr10
	s_and_saveexec_b64 s[8:9], s[12:13]
; %bb.3722:
	s_mov_b32 s10, 0x7f800001
	s_xor_b64 s[4:5], exec, -1
; %bb.3723:
	s_or_b64 exec, exec, s[8:9]
	s_and_b64 s[4:5], s[4:5], exec
	s_or_saveexec_b64 s[6:7], s[6:7]
	v_mov_b32_e32 v10, s10
	s_xor_b64 exec, exec, s[6:7]
	s_cbranch_execz .LBB46_1674
.LBB46_3724:
	v_mov_b32_e32 v10, 0
	v_cmp_ne_u16_sdwa s[8:9], v11, v10 src0_sel:BYTE_0 src1_sel:DWORD
	s_andn2_b64 s[4:5], s[4:5], exec
	s_and_b64 s[8:9], s[8:9], exec
	s_or_b64 s[4:5], s[4:5], s[8:9]
	s_or_b64 exec, exec, s[6:7]
	s_and_saveexec_b64 s[6:7], s[4:5]
	s_cbranch_execnz .LBB46_1675
	s_branch .LBB46_1676
.LBB46_3725:
	s_movk_i32 s4, 0x80
	v_cmp_eq_u16_sdwa s[12:13], v11, s4 src0_sel:BYTE_0 src1_sel:DWORD
	s_mov_b64 s[4:5], -1
                                        ; implicit-def: $sgpr10
	s_and_saveexec_b64 s[8:9], s[12:13]
; %bb.3726:
	s_mov_b32 s10, 0x7f800001
	s_xor_b64 s[4:5], exec, -1
; %bb.3727:
	s_or_b64 exec, exec, s[8:9]
	s_and_b64 s[4:5], s[4:5], exec
	s_or_saveexec_b64 s[6:7], s[6:7]
	v_mov_b32_e32 v12, s10
	s_xor_b64 exec, exec, s[6:7]
	s_cbranch_execz .LBB46_1678
.LBB46_3728:
	v_mov_b32_e32 v12, 0
	v_cmp_ne_u16_sdwa s[8:9], v11, v12 src0_sel:BYTE_0 src1_sel:DWORD
	s_andn2_b64 s[4:5], s[4:5], exec
	s_and_b64 s[8:9], s[8:9], exec
	s_or_b64 s[4:5], s[4:5], s[8:9]
	s_or_b64 exec, exec, s[6:7]
	s_and_saveexec_b64 s[6:7], s[4:5]
	s_cbranch_execnz .LBB46_1679
	s_branch .LBB46_1680
.LBB46_3729:
	s_movk_i32 s4, 0x80
	v_cmp_eq_u16_e32 vcc, s4, v11
	s_mov_b64 s[4:5], -1
                                        ; implicit-def: $sgpr10
	s_and_saveexec_b64 s[8:9], vcc
; %bb.3730:
	s_mov_b32 s10, 0x7f800001
	s_xor_b64 s[4:5], exec, -1
; %bb.3731:
	s_or_b64 exec, exec, s[8:9]
	s_and_b64 s[4:5], s[4:5], exec
                                        ; implicit-def: $vgpr11
	s_or_saveexec_b64 s[6:7], s[6:7]
	v_mov_b32_e32 v10, s10
	s_xor_b64 exec, exec, s[6:7]
	s_cbranch_execz .LBB46_1682
.LBB46_3732:
	v_cmp_ne_u16_e32 vcc, 0, v11
	s_andn2_b64 s[4:5], s[4:5], exec
	s_and_b64 s[8:9], vcc, exec
	v_mov_b32_e32 v10, 0
	s_or_b64 s[4:5], s[4:5], s[8:9]
	s_or_b64 exec, exec, s[6:7]
	s_and_saveexec_b64 s[6:7], s[4:5]
	s_cbranch_execnz .LBB46_1683
	s_branch .LBB46_1684
.LBB46_3733:
	s_movk_i32 s4, 0x80
	v_cmp_eq_u16_e32 vcc, s4, v11
	s_mov_b64 s[4:5], -1
                                        ; implicit-def: $sgpr10
	s_and_saveexec_b64 s[8:9], vcc
; %bb.3734:
	s_mov_b32 s10, 0x7f800001
	s_xor_b64 s[4:5], exec, -1
; %bb.3735:
	s_or_b64 exec, exec, s[8:9]
	s_and_b64 s[4:5], s[4:5], exec
                                        ; implicit-def: $vgpr11
	s_or_saveexec_b64 s[6:7], s[6:7]
	v_mov_b32_e32 v12, s10
	s_xor_b64 exec, exec, s[6:7]
	s_cbranch_execz .LBB46_1686
.LBB46_3736:
	v_cmp_ne_u16_e32 vcc, 0, v11
	s_andn2_b64 s[4:5], s[4:5], exec
	s_and_b64 s[8:9], vcc, exec
	v_mov_b32_e32 v12, 0
	s_or_b64 s[4:5], s[4:5], s[8:9]
	s_or_b64 exec, exec, s[6:7]
	s_and_saveexec_b64 s[6:7], s[4:5]
	s_cbranch_execnz .LBB46_1687
	s_branch .LBB46_1688
.LBB46_3737:
	s_movk_i32 s4, 0x80
	v_cmp_eq_u16_sdwa s[12:13], v6, s4 src0_sel:BYTE_3 src1_sel:DWORD
	s_mov_b64 s[4:5], -1
                                        ; implicit-def: $sgpr10
	s_and_saveexec_b64 s[8:9], s[12:13]
; %bb.3738:
	s_mov_b32 s10, 0x7f800001
	s_xor_b64 s[4:5], exec, -1
; %bb.3739:
	s_or_b64 exec, exec, s[8:9]
	s_and_b64 s[4:5], s[4:5], exec
	s_or_saveexec_b64 s[6:7], s[6:7]
	v_mov_b32_e32 v10, s10
	s_xor_b64 exec, exec, s[6:7]
	s_cbranch_execz .LBB46_1690
.LBB46_3740:
	v_mov_b32_e32 v10, 0
	v_cmp_ne_u16_sdwa s[8:9], v6, v10 src0_sel:BYTE_3 src1_sel:DWORD
	s_andn2_b64 s[4:5], s[4:5], exec
	s_and_b64 s[8:9], s[8:9], exec
	s_or_b64 s[4:5], s[4:5], s[8:9]
	s_or_b64 exec, exec, s[6:7]
	s_and_saveexec_b64 s[6:7], s[4:5]
	s_cbranch_execnz .LBB46_1691
	s_branch .LBB46_1692
.LBB46_3741:
	s_movk_i32 s4, 0x80
	v_cmp_eq_u16_sdwa s[12:13], v2, s4 src0_sel:BYTE_3 src1_sel:DWORD
	s_mov_b64 s[4:5], -1
                                        ; implicit-def: $sgpr10
	s_and_saveexec_b64 s[8:9], s[12:13]
; %bb.3742:
	s_mov_b32 s10, 0x7f800001
	s_xor_b64 s[4:5], exec, -1
; %bb.3743:
	s_or_b64 exec, exec, s[8:9]
	s_and_b64 s[4:5], s[4:5], exec
	s_or_saveexec_b64 s[6:7], s[6:7]
	v_mov_b32_e32 v6, s10
	s_xor_b64 exec, exec, s[6:7]
	s_cbranch_execz .LBB46_1694
.LBB46_3744:
	v_mov_b32_e32 v6, 0
	v_cmp_ne_u16_sdwa s[8:9], v2, v6 src0_sel:BYTE_3 src1_sel:DWORD
	s_andn2_b64 s[4:5], s[4:5], exec
	s_and_b64 s[8:9], s[8:9], exec
	s_or_b64 s[4:5], s[4:5], s[8:9]
	s_or_b64 exec, exec, s[6:7]
	s_and_saveexec_b64 s[6:7], s[4:5]
	s_cbranch_execnz .LBB46_1695
	s_branch .LBB46_1696
.LBB46_3745:
	s_movk_i32 s4, 0x80
	v_cmp_eq_u16_sdwa s[12:13], v7, s4 src0_sel:BYTE_0 src1_sel:DWORD
	s_mov_b64 s[4:5], -1
                                        ; implicit-def: $sgpr10
	s_and_saveexec_b64 s[8:9], s[12:13]
; %bb.3746:
	s_mov_b32 s10, 0x7f800001
	s_xor_b64 s[4:5], exec, -1
; %bb.3747:
	s_or_b64 exec, exec, s[8:9]
	s_and_b64 s[4:5], s[4:5], exec
	s_or_saveexec_b64 s[6:7], s[6:7]
	v_mov_b32_e32 v2, s10
	s_xor_b64 exec, exec, s[6:7]
	s_cbranch_execz .LBB46_1698
.LBB46_3748:
	v_mov_b32_e32 v2, 0
	v_cmp_ne_u16_sdwa s[8:9], v7, v2 src0_sel:BYTE_0 src1_sel:DWORD
	s_andn2_b64 s[4:5], s[4:5], exec
	s_and_b64 s[8:9], s[8:9], exec
	s_or_b64 s[4:5], s[4:5], s[8:9]
	s_or_b64 exec, exec, s[6:7]
	s_and_saveexec_b64 s[6:7], s[4:5]
	s_cbranch_execnz .LBB46_1699
	s_branch .LBB46_1700
.LBB46_3749:
	s_movk_i32 s4, 0x80
	v_cmp_eq_u16_sdwa s[12:13], v3, s4 src0_sel:BYTE_0 src1_sel:DWORD
	s_mov_b64 s[4:5], -1
                                        ; implicit-def: $sgpr10
	s_and_saveexec_b64 s[8:9], s[12:13]
; %bb.3750:
	s_mov_b32 s10, 0x7f800001
	s_xor_b64 s[4:5], exec, -1
; %bb.3751:
	s_or_b64 exec, exec, s[8:9]
	s_and_b64 s[4:5], s[4:5], exec
	s_or_saveexec_b64 s[6:7], s[6:7]
	v_mov_b32_e32 v6, s10
	s_xor_b64 exec, exec, s[6:7]
	s_cbranch_execz .LBB46_1702
.LBB46_3752:
	v_mov_b32_e32 v6, 0
	v_cmp_ne_u16_sdwa s[8:9], v3, v6 src0_sel:BYTE_0 src1_sel:DWORD
	s_andn2_b64 s[4:5], s[4:5], exec
	s_and_b64 s[8:9], s[8:9], exec
	s_or_b64 s[4:5], s[4:5], s[8:9]
	s_or_b64 exec, exec, s[6:7]
	s_and_saveexec_b64 s[6:7], s[4:5]
	s_cbranch_execnz .LBB46_1703
	s_branch .LBB46_1704
.LBB46_3753:
	s_movk_i32 s4, 0x80
	v_cmp_eq_u16_sdwa s[12:13], v6, s4 src0_sel:BYTE_0 src1_sel:DWORD
	s_mov_b64 s[4:5], -1
                                        ; implicit-def: $sgpr10
	s_and_saveexec_b64 s[8:9], s[12:13]
; %bb.3754:
	s_mov_b32 s10, 0x7f800001
	s_xor_b64 s[4:5], exec, -1
; %bb.3755:
	s_or_b64 exec, exec, s[8:9]
	s_and_b64 s[4:5], s[4:5], exec
	s_or_saveexec_b64 s[6:7], s[6:7]
	v_mov_b32_e32 v2, s10
	s_xor_b64 exec, exec, s[6:7]
	s_cbranch_execz .LBB46_1706
.LBB46_3756:
	v_mov_b32_e32 v2, 0
	v_cmp_ne_u16_sdwa s[8:9], v6, v2 src0_sel:BYTE_0 src1_sel:DWORD
	s_andn2_b64 s[4:5], s[4:5], exec
	s_and_b64 s[8:9], s[8:9], exec
	s_or_b64 s[4:5], s[4:5], s[8:9]
	s_or_b64 exec, exec, s[6:7]
	s_and_saveexec_b64 s[6:7], s[4:5]
	s_cbranch_execnz .LBB46_1707
	s_branch .LBB46_1708
.LBB46_3757:
	s_movk_i32 s4, 0x80
	v_cmp_eq_u16_sdwa s[12:13], v6, s4 src0_sel:BYTE_0 src1_sel:DWORD
	s_mov_b64 s[4:5], -1
                                        ; implicit-def: $sgpr10
	s_and_saveexec_b64 s[8:9], s[12:13]
; %bb.3758:
	s_mov_b32 s10, 0x7f800001
	s_xor_b64 s[4:5], exec, -1
; %bb.3759:
	s_or_b64 exec, exec, s[8:9]
	s_and_b64 s[4:5], s[4:5], exec
	s_or_saveexec_b64 s[6:7], s[6:7]
	v_mov_b32_e32 v10, s10
	s_xor_b64 exec, exec, s[6:7]
	s_cbranch_execz .LBB46_1710
.LBB46_3760:
	v_mov_b32_e32 v10, 0
	v_cmp_ne_u16_sdwa s[8:9], v6, v10 src0_sel:BYTE_0 src1_sel:DWORD
	s_andn2_b64 s[4:5], s[4:5], exec
	s_and_b64 s[8:9], s[8:9], exec
	s_or_b64 s[4:5], s[4:5], s[8:9]
	s_or_b64 exec, exec, s[6:7]
	s_and_saveexec_b64 s[6:7], s[4:5]
	s_cbranch_execnz .LBB46_1711
	s_branch .LBB46_1712
.LBB46_3761:
	s_movk_i32 s4, 0x80
	v_cmp_eq_u16_e32 vcc, s4, v6
	s_mov_b64 s[4:5], -1
                                        ; implicit-def: $sgpr10
	s_and_saveexec_b64 s[8:9], vcc
; %bb.3762:
	s_mov_b32 s10, 0x7f800001
	s_xor_b64 s[4:5], exec, -1
; %bb.3763:
	s_or_b64 exec, exec, s[8:9]
	s_and_b64 s[4:5], s[4:5], exec
                                        ; implicit-def: $vgpr6
	s_or_saveexec_b64 s[6:7], s[6:7]
	v_mov_b32_e32 v2, s10
	s_xor_b64 exec, exec, s[6:7]
	s_cbranch_execz .LBB46_1714
.LBB46_3764:
	v_cmp_ne_u16_e32 vcc, 0, v6
	s_andn2_b64 s[4:5], s[4:5], exec
	s_and_b64 s[8:9], vcc, exec
	v_mov_b32_e32 v2, 0
	s_or_b64 s[4:5], s[4:5], s[8:9]
	s_or_b64 exec, exec, s[6:7]
	s_and_saveexec_b64 s[6:7], s[4:5]
	s_cbranch_execnz .LBB46_1715
	s_branch .LBB46_1716
.LBB46_3765:
	s_movk_i32 s4, 0x80
	v_cmp_eq_u16_e32 vcc, s4, v6
	s_mov_b64 s[4:5], -1
                                        ; implicit-def: $sgpr10
	s_and_saveexec_b64 s[8:9], vcc
; %bb.3766:
	s_mov_b32 s10, 0x7f800001
	s_xor_b64 s[4:5], exec, -1
; %bb.3767:
	s_or_b64 exec, exec, s[8:9]
	s_and_b64 s[4:5], s[4:5], exec
                                        ; implicit-def: $vgpr6
	s_or_saveexec_b64 s[6:7], s[6:7]
	v_mov_b32_e32 v10, s10
	s_xor_b64 exec, exec, s[6:7]
	s_cbranch_execz .LBB46_1718
.LBB46_3768:
	v_cmp_ne_u16_e32 vcc, 0, v6
	s_andn2_b64 s[4:5], s[4:5], exec
	s_and_b64 s[8:9], vcc, exec
	v_mov_b32_e32 v10, 0
	s_or_b64 s[4:5], s[4:5], s[8:9]
	s_or_b64 exec, exec, s[6:7]
	s_and_saveexec_b64 s[6:7], s[4:5]
	s_cbranch_execnz .LBB46_1719
	s_branch .LBB46_1720
.LBB46_3769:
	s_movk_i32 s4, 0x80
	v_cmp_eq_u16_sdwa s[12:13], v7, s4 src0_sel:BYTE_3 src1_sel:DWORD
	s_mov_b64 s[4:5], -1
                                        ; implicit-def: $sgpr10
	s_and_saveexec_b64 s[8:9], s[12:13]
; %bb.3770:
	s_mov_b32 s10, 0x7f800001
	s_xor_b64 s[4:5], exec, -1
; %bb.3771:
	s_or_b64 exec, exec, s[8:9]
	s_and_b64 s[4:5], s[4:5], exec
	s_or_saveexec_b64 s[6:7], s[6:7]
	v_mov_b32_e32 v2, s10
	s_xor_b64 exec, exec, s[6:7]
	s_cbranch_execz .LBB46_1722
.LBB46_3772:
	v_mov_b32_e32 v2, 0
	v_cmp_ne_u16_sdwa s[8:9], v7, v2 src0_sel:BYTE_3 src1_sel:DWORD
	s_andn2_b64 s[4:5], s[4:5], exec
	s_and_b64 s[8:9], s[8:9], exec
	s_or_b64 s[4:5], s[4:5], s[8:9]
	s_or_b64 exec, exec, s[6:7]
	s_and_saveexec_b64 s[6:7], s[4:5]
	s_cbranch_execnz .LBB46_1723
	s_branch .LBB46_1724
.LBB46_3773:
	s_movk_i32 s4, 0x80
	v_cmp_eq_u16_sdwa s[12:13], v3, s4 src0_sel:BYTE_3 src1_sel:DWORD
	s_mov_b64 s[4:5], -1
                                        ; implicit-def: $sgpr10
	s_and_saveexec_b64 s[8:9], s[12:13]
; %bb.3774:
	s_mov_b32 s10, 0x7f800001
	s_xor_b64 s[4:5], exec, -1
; %bb.3775:
	s_or_b64 exec, exec, s[8:9]
	s_and_b64 s[4:5], s[4:5], exec
	s_or_saveexec_b64 s[6:7], s[6:7]
	v_mov_b32_e32 v6, s10
	s_xor_b64 exec, exec, s[6:7]
	s_cbranch_execz .LBB46_1726
.LBB46_3776:
	v_mov_b32_e32 v6, 0
	v_cmp_ne_u16_sdwa s[8:9], v3, v6 src0_sel:BYTE_3 src1_sel:DWORD
	s_andn2_b64 s[4:5], s[4:5], exec
	s_and_b64 s[8:9], s[8:9], exec
	s_or_b64 s[4:5], s[4:5], s[8:9]
	s_or_b64 exec, exec, s[6:7]
	s_and_saveexec_b64 s[6:7], s[4:5]
	s_cbranch_execnz .LBB46_1727
	s_branch .LBB46_1728
.LBB46_3777:
	s_movk_i32 s4, 0x80
	v_cmp_eq_u16_sdwa s[12:13], v8, s4 src0_sel:BYTE_0 src1_sel:DWORD
	s_mov_b64 s[4:5], -1
                                        ; implicit-def: $sgpr10
	s_and_saveexec_b64 s[8:9], s[12:13]
; %bb.3778:
	s_mov_b32 s10, 0x7f800001
	s_xor_b64 s[4:5], exec, -1
; %bb.3779:
	s_or_b64 exec, exec, s[8:9]
	s_and_b64 s[4:5], s[4:5], exec
	s_or_saveexec_b64 s[6:7], s[6:7]
	v_mov_b32_e32 v2, s10
	s_xor_b64 exec, exec, s[6:7]
	s_cbranch_execz .LBB46_1730
.LBB46_3780:
	v_mov_b32_e32 v2, 0
	v_cmp_ne_u16_sdwa s[8:9], v8, v2 src0_sel:BYTE_0 src1_sel:DWORD
	s_andn2_b64 s[4:5], s[4:5], exec
	s_and_b64 s[8:9], s[8:9], exec
	s_or_b64 s[4:5], s[4:5], s[8:9]
	s_or_b64 exec, exec, s[6:7]
	s_and_saveexec_b64 s[6:7], s[4:5]
	s_cbranch_execnz .LBB46_1731
	s_branch .LBB46_1732
.LBB46_3781:
	s_movk_i32 s4, 0x80
	v_cmp_eq_u16_sdwa s[12:13], v4, s4 src0_sel:BYTE_0 src1_sel:DWORD
	s_mov_b64 s[4:5], -1
                                        ; implicit-def: $sgpr10
	s_and_saveexec_b64 s[8:9], s[12:13]
; %bb.3782:
	s_mov_b32 s10, 0x7f800001
	s_xor_b64 s[4:5], exec, -1
; %bb.3783:
	s_or_b64 exec, exec, s[8:9]
	s_and_b64 s[4:5], s[4:5], exec
	s_or_saveexec_b64 s[6:7], s[6:7]
	v_mov_b32_e32 v3, s10
	s_xor_b64 exec, exec, s[6:7]
	s_cbranch_execz .LBB46_1734
.LBB46_3784:
	v_mov_b32_e32 v3, 0
	v_cmp_ne_u16_sdwa s[8:9], v4, v3 src0_sel:BYTE_0 src1_sel:DWORD
	s_andn2_b64 s[4:5], s[4:5], exec
	s_and_b64 s[8:9], s[8:9], exec
	s_or_b64 s[4:5], s[4:5], s[8:9]
	s_or_b64 exec, exec, s[6:7]
	s_and_saveexec_b64 s[6:7], s[4:5]
	s_cbranch_execnz .LBB46_1735
	s_branch .LBB46_1736
.LBB46_3785:
	s_movk_i32 s4, 0x80
	v_cmp_eq_u16_sdwa s[12:13], v3, s4 src0_sel:BYTE_0 src1_sel:DWORD
	s_mov_b64 s[4:5], -1
                                        ; implicit-def: $sgpr10
	s_and_saveexec_b64 s[8:9], s[12:13]
; %bb.3786:
	s_mov_b32 s10, 0x7f800001
	s_xor_b64 s[4:5], exec, -1
; %bb.3787:
	s_or_b64 exec, exec, s[8:9]
	s_and_b64 s[4:5], s[4:5], exec
	s_or_saveexec_b64 s[6:7], s[6:7]
	v_mov_b32_e32 v2, s10
	s_xor_b64 exec, exec, s[6:7]
	s_cbranch_execz .LBB46_1738
.LBB46_3788:
	v_mov_b32_e32 v2, 0
	v_cmp_ne_u16_sdwa s[8:9], v3, v2 src0_sel:BYTE_0 src1_sel:DWORD
	s_andn2_b64 s[4:5], s[4:5], exec
	s_and_b64 s[8:9], s[8:9], exec
	s_or_b64 s[4:5], s[4:5], s[8:9]
	s_or_b64 exec, exec, s[6:7]
	s_and_saveexec_b64 s[6:7], s[4:5]
	s_cbranch_execnz .LBB46_1739
	s_branch .LBB46_1740
.LBB46_3789:
	s_movk_i32 s4, 0x80
	v_cmp_eq_u16_sdwa s[12:13], v3, s4 src0_sel:BYTE_0 src1_sel:DWORD
	s_mov_b64 s[4:5], -1
                                        ; implicit-def: $sgpr10
	s_and_saveexec_b64 s[8:9], s[12:13]
; %bb.3790:
	s_mov_b32 s10, 0x7f800001
	s_xor_b64 s[4:5], exec, -1
; %bb.3791:
	s_or_b64 exec, exec, s[8:9]
	s_and_b64 s[4:5], s[4:5], exec
	s_or_saveexec_b64 s[6:7], s[6:7]
	v_mov_b32_e32 v6, s10
	s_xor_b64 exec, exec, s[6:7]
	s_cbranch_execz .LBB46_1742
.LBB46_3792:
	v_mov_b32_e32 v6, 0
	v_cmp_ne_u16_sdwa s[8:9], v3, v6 src0_sel:BYTE_0 src1_sel:DWORD
	s_andn2_b64 s[4:5], s[4:5], exec
	s_and_b64 s[8:9], s[8:9], exec
	s_or_b64 s[4:5], s[4:5], s[8:9]
	s_or_b64 exec, exec, s[6:7]
	s_and_saveexec_b64 s[6:7], s[4:5]
	s_cbranch_execnz .LBB46_1743
	s_branch .LBB46_1744
.LBB46_3793:
	s_movk_i32 s4, 0x80
	v_cmp_eq_u16_e32 vcc, s4, v3
	s_mov_b64 s[4:5], -1
                                        ; implicit-def: $sgpr10
	s_and_saveexec_b64 s[8:9], vcc
; %bb.3794:
	s_mov_b32 s10, 0x7f800001
	s_xor_b64 s[4:5], exec, -1
; %bb.3795:
	s_or_b64 exec, exec, s[8:9]
	s_and_b64 s[4:5], s[4:5], exec
                                        ; implicit-def: $vgpr3
	s_or_saveexec_b64 s[6:7], s[6:7]
	v_mov_b32_e32 v2, s10
	s_xor_b64 exec, exec, s[6:7]
	s_cbranch_execz .LBB46_1746
.LBB46_3796:
	v_cmp_ne_u16_e32 vcc, 0, v3
	s_andn2_b64 s[4:5], s[4:5], exec
	s_and_b64 s[8:9], vcc, exec
	v_mov_b32_e32 v2, 0
	s_or_b64 s[4:5], s[4:5], s[8:9]
	s_or_b64 exec, exec, s[6:7]
	s_and_saveexec_b64 s[6:7], s[4:5]
	s_cbranch_execnz .LBB46_1747
	s_branch .LBB46_1748
.LBB46_3797:
	s_movk_i32 s4, 0x80
	v_cmp_eq_u16_e32 vcc, s4, v3
	s_mov_b64 s[4:5], -1
                                        ; implicit-def: $sgpr10
	s_and_saveexec_b64 s[8:9], vcc
; %bb.3798:
	s_mov_b32 s10, 0x7f800001
	s_xor_b64 s[4:5], exec, -1
; %bb.3799:
	s_or_b64 exec, exec, s[8:9]
	s_and_b64 s[4:5], s[4:5], exec
                                        ; implicit-def: $vgpr3
	s_or_saveexec_b64 s[6:7], s[6:7]
	v_mov_b32_e32 v6, s10
	s_xor_b64 exec, exec, s[6:7]
	s_cbranch_execz .LBB46_1750
.LBB46_3800:
	v_cmp_ne_u16_e32 vcc, 0, v3
	s_andn2_b64 s[4:5], s[4:5], exec
	s_and_b64 s[8:9], vcc, exec
	v_mov_b32_e32 v6, 0
	s_or_b64 s[4:5], s[4:5], s[8:9]
	s_or_b64 exec, exec, s[6:7]
	s_and_saveexec_b64 s[6:7], s[4:5]
	s_cbranch_execnz .LBB46_1751
	s_branch .LBB46_1752
.LBB46_3801:
	s_movk_i32 s4, 0x80
	v_cmp_eq_u16_sdwa s[12:13], v8, s4 src0_sel:BYTE_3 src1_sel:DWORD
	s_mov_b64 s[4:5], -1
                                        ; implicit-def: $sgpr10
	s_and_saveexec_b64 s[8:9], s[12:13]
; %bb.3802:
	s_mov_b32 s10, 0x7f800001
	s_xor_b64 s[4:5], exec, -1
; %bb.3803:
	s_or_b64 exec, exec, s[8:9]
	s_and_b64 s[4:5], s[4:5], exec
	s_or_saveexec_b64 s[6:7], s[6:7]
	v_mov_b32_e32 v2, s10
	s_xor_b64 exec, exec, s[6:7]
	s_cbranch_execz .LBB46_1754
.LBB46_3804:
	v_mov_b32_e32 v2, 0
	v_cmp_ne_u16_sdwa s[8:9], v8, v2 src0_sel:BYTE_3 src1_sel:DWORD
	s_andn2_b64 s[4:5], s[4:5], exec
	s_and_b64 s[8:9], s[8:9], exec
	s_or_b64 s[4:5], s[4:5], s[8:9]
	s_or_b64 exec, exec, s[6:7]
	s_and_saveexec_b64 s[6:7], s[4:5]
	s_cbranch_execnz .LBB46_1755
	s_branch .LBB46_1756
.LBB46_3805:
	s_movk_i32 s4, 0x80
	v_cmp_eq_u16_sdwa s[12:13], v4, s4 src0_sel:BYTE_3 src1_sel:DWORD
	s_mov_b64 s[4:5], -1
                                        ; implicit-def: $sgpr10
	s_and_saveexec_b64 s[8:9], s[12:13]
; %bb.3806:
	s_mov_b32 s10, 0x7f800001
	s_xor_b64 s[4:5], exec, -1
; %bb.3807:
	s_or_b64 exec, exec, s[8:9]
	s_and_b64 s[4:5], s[4:5], exec
	s_or_saveexec_b64 s[6:7], s[6:7]
	v_mov_b32_e32 v3, s10
	s_xor_b64 exec, exec, s[6:7]
	s_cbranch_execz .LBB46_1758
.LBB46_3808:
	v_mov_b32_e32 v3, 0
	v_cmp_ne_u16_sdwa s[8:9], v4, v3 src0_sel:BYTE_3 src1_sel:DWORD
	s_andn2_b64 s[4:5], s[4:5], exec
	s_and_b64 s[8:9], s[8:9], exec
	s_or_b64 s[4:5], s[4:5], s[8:9]
	s_or_b64 exec, exec, s[6:7]
	s_and_saveexec_b64 s[6:7], s[4:5]
	s_cbranch_execnz .LBB46_1759
	s_branch .LBB46_1760
.LBB46_3809:
	s_movk_i32 s4, 0x80
	v_cmp_eq_u16_sdwa s[12:13], v9, s4 src0_sel:BYTE_0 src1_sel:DWORD
	s_mov_b64 s[4:5], -1
                                        ; implicit-def: $sgpr10
	s_and_saveexec_b64 s[8:9], s[12:13]
; %bb.3810:
	s_mov_b32 s10, 0x7f800001
	s_xor_b64 s[4:5], exec, -1
; %bb.3811:
	s_or_b64 exec, exec, s[8:9]
	s_and_b64 s[4:5], s[4:5], exec
	s_or_saveexec_b64 s[6:7], s[6:7]
	v_mov_b32_e32 v2, s10
	s_xor_b64 exec, exec, s[6:7]
	s_cbranch_execz .LBB46_1762
.LBB46_3812:
	v_mov_b32_e32 v2, 0
	v_cmp_ne_u16_sdwa s[8:9], v9, v2 src0_sel:BYTE_0 src1_sel:DWORD
	s_andn2_b64 s[4:5], s[4:5], exec
	s_and_b64 s[8:9], s[8:9], exec
	s_or_b64 s[4:5], s[4:5], s[8:9]
	s_or_b64 exec, exec, s[6:7]
	s_and_saveexec_b64 s[6:7], s[4:5]
	s_cbranch_execnz .LBB46_1763
	s_branch .LBB46_1764
.LBB46_3813:
	s_movk_i32 s4, 0x80
	v_cmp_eq_u16_sdwa s[12:13], v5, s4 src0_sel:BYTE_0 src1_sel:DWORD
	s_mov_b64 s[4:5], -1
                                        ; implicit-def: $sgpr10
	s_and_saveexec_b64 s[8:9], s[12:13]
; %bb.3814:
	s_mov_b32 s10, 0x7f800001
	s_xor_b64 s[4:5], exec, -1
; %bb.3815:
	s_or_b64 exec, exec, s[8:9]
	s_and_b64 s[4:5], s[4:5], exec
	s_or_saveexec_b64 s[6:7], s[6:7]
	v_mov_b32_e32 v3, s10
	s_xor_b64 exec, exec, s[6:7]
	s_cbranch_execz .LBB46_1766
.LBB46_3816:
	v_mov_b32_e32 v3, 0
	v_cmp_ne_u16_sdwa s[8:9], v5, v3 src0_sel:BYTE_0 src1_sel:DWORD
	s_andn2_b64 s[4:5], s[4:5], exec
	s_and_b64 s[8:9], s[8:9], exec
	s_or_b64 s[4:5], s[4:5], s[8:9]
	s_or_b64 exec, exec, s[6:7]
	s_and_saveexec_b64 s[6:7], s[4:5]
	s_cbranch_execnz .LBB46_1767
	s_branch .LBB46_1768
.LBB46_3817:
	s_movk_i32 s4, 0x80
	v_cmp_eq_u16_sdwa s[12:13], v3, s4 src0_sel:BYTE_0 src1_sel:DWORD
	s_mov_b64 s[4:5], -1
                                        ; implicit-def: $sgpr10
	s_and_saveexec_b64 s[8:9], s[12:13]
; %bb.3818:
	s_mov_b32 s10, 0x7f800001
	s_xor_b64 s[4:5], exec, -1
; %bb.3819:
	s_or_b64 exec, exec, s[8:9]
	s_and_b64 s[4:5], s[4:5], exec
	s_or_saveexec_b64 s[6:7], s[6:7]
	v_mov_b32_e32 v2, s10
	s_xor_b64 exec, exec, s[6:7]
	s_cbranch_execz .LBB46_1770
.LBB46_3820:
	v_mov_b32_e32 v2, 0
	v_cmp_ne_u16_sdwa s[8:9], v3, v2 src0_sel:BYTE_0 src1_sel:DWORD
	s_andn2_b64 s[4:5], s[4:5], exec
	s_and_b64 s[8:9], s[8:9], exec
	s_or_b64 s[4:5], s[4:5], s[8:9]
	s_or_b64 exec, exec, s[6:7]
	s_and_saveexec_b64 s[6:7], s[4:5]
	s_cbranch_execnz .LBB46_1771
	s_branch .LBB46_1772
.LBB46_3821:
	s_movk_i32 s4, 0x80
	v_cmp_eq_u16_sdwa s[12:13], v3, s4 src0_sel:BYTE_0 src1_sel:DWORD
	s_mov_b64 s[4:5], -1
                                        ; implicit-def: $sgpr10
	s_and_saveexec_b64 s[8:9], s[12:13]
; %bb.3822:
	s_mov_b32 s10, 0x7f800001
	s_xor_b64 s[4:5], exec, -1
; %bb.3823:
	s_or_b64 exec, exec, s[8:9]
	s_and_b64 s[4:5], s[4:5], exec
	s_or_saveexec_b64 s[6:7], s[6:7]
	v_mov_b32_e32 v4, s10
	s_xor_b64 exec, exec, s[6:7]
	s_cbranch_execz .LBB46_1774
.LBB46_3824:
	v_mov_b32_e32 v4, 0
	v_cmp_ne_u16_sdwa s[8:9], v3, v4 src0_sel:BYTE_0 src1_sel:DWORD
	s_andn2_b64 s[4:5], s[4:5], exec
	s_and_b64 s[8:9], s[8:9], exec
	s_or_b64 s[4:5], s[4:5], s[8:9]
	s_or_b64 exec, exec, s[6:7]
	s_and_saveexec_b64 s[6:7], s[4:5]
	s_cbranch_execnz .LBB46_1775
	s_branch .LBB46_1776
.LBB46_3825:
	s_movk_i32 s4, 0x80
	v_cmp_eq_u16_e32 vcc, s4, v3
	s_mov_b64 s[4:5], -1
                                        ; implicit-def: $sgpr10
	s_and_saveexec_b64 s[8:9], vcc
; %bb.3826:
	s_mov_b32 s10, 0x7f800001
	s_xor_b64 s[4:5], exec, -1
; %bb.3827:
	s_or_b64 exec, exec, s[8:9]
	s_and_b64 s[4:5], s[4:5], exec
                                        ; implicit-def: $vgpr3
	s_or_saveexec_b64 s[6:7], s[6:7]
	v_mov_b32_e32 v2, s10
	s_xor_b64 exec, exec, s[6:7]
	s_cbranch_execz .LBB46_1778
.LBB46_3828:
	v_cmp_ne_u16_e32 vcc, 0, v3
	s_andn2_b64 s[4:5], s[4:5], exec
	s_and_b64 s[8:9], vcc, exec
	v_mov_b32_e32 v2, 0
	s_or_b64 s[4:5], s[4:5], s[8:9]
	s_or_b64 exec, exec, s[6:7]
	s_and_saveexec_b64 s[6:7], s[4:5]
	s_cbranch_execnz .LBB46_1779
	s_branch .LBB46_1780
.LBB46_3829:
	s_movk_i32 s4, 0x80
	v_cmp_eq_u16_e32 vcc, s4, v3
	s_mov_b64 s[4:5], -1
                                        ; implicit-def: $sgpr10
	s_and_saveexec_b64 s[8:9], vcc
; %bb.3830:
	s_mov_b32 s10, 0x7f800001
	s_xor_b64 s[4:5], exec, -1
; %bb.3831:
	s_or_b64 exec, exec, s[8:9]
	s_and_b64 s[4:5], s[4:5], exec
                                        ; implicit-def: $vgpr3
	s_or_saveexec_b64 s[6:7], s[6:7]
	v_mov_b32_e32 v4, s10
	s_xor_b64 exec, exec, s[6:7]
	s_cbranch_execz .LBB46_1782
.LBB46_3832:
	v_cmp_ne_u16_e32 vcc, 0, v3
	s_andn2_b64 s[4:5], s[4:5], exec
	s_and_b64 s[8:9], vcc, exec
	v_mov_b32_e32 v4, 0
	s_or_b64 s[4:5], s[4:5], s[8:9]
	s_or_b64 exec, exec, s[6:7]
	s_and_saveexec_b64 s[6:7], s[4:5]
	s_cbranch_execnz .LBB46_1783
	s_branch .LBB46_1784
.LBB46_3833:
	s_movk_i32 s4, 0x80
	v_cmp_eq_u16_sdwa s[12:13], v9, s4 src0_sel:BYTE_3 src1_sel:DWORD
	s_mov_b64 s[4:5], -1
                                        ; implicit-def: $sgpr10
	s_and_saveexec_b64 s[8:9], s[12:13]
; %bb.3834:
	s_mov_b32 s10, 0x7f800001
	s_xor_b64 s[4:5], exec, -1
; %bb.3835:
	s_or_b64 exec, exec, s[8:9]
	s_and_b64 s[4:5], s[4:5], exec
	s_or_saveexec_b64 s[6:7], s[6:7]
	v_mov_b32_e32 v2, s10
	s_xor_b64 exec, exec, s[6:7]
	s_cbranch_execz .LBB46_1786
.LBB46_3836:
	v_mov_b32_e32 v2, 0
	v_cmp_ne_u16_sdwa s[8:9], v9, v2 src0_sel:BYTE_3 src1_sel:DWORD
	s_andn2_b64 s[4:5], s[4:5], exec
	s_and_b64 s[8:9], s[8:9], exec
	s_or_b64 s[4:5], s[4:5], s[8:9]
	s_or_b64 exec, exec, s[6:7]
	s_and_saveexec_b64 s[6:7], s[4:5]
	s_cbranch_execnz .LBB46_1787
	s_branch .LBB46_1788
.LBB46_3837:
	s_movk_i32 s4, 0x80
	v_cmp_eq_u16_sdwa s[12:13], v5, s4 src0_sel:BYTE_3 src1_sel:DWORD
	s_mov_b64 s[4:5], -1
                                        ; implicit-def: $sgpr10
	s_and_saveexec_b64 s[8:9], s[12:13]
; %bb.3838:
	s_mov_b32 s10, 0x7f800001
	s_xor_b64 s[4:5], exec, -1
; %bb.3839:
	s_or_b64 exec, exec, s[8:9]
	s_and_b64 s[4:5], s[4:5], exec
	s_or_saveexec_b64 s[6:7], s[6:7]
	v_mov_b32_e32 v3, s10
	s_xor_b64 exec, exec, s[6:7]
	s_cbranch_execz .LBB46_1790
.LBB46_3840:
	v_mov_b32_e32 v3, 0
	v_cmp_ne_u16_sdwa s[8:9], v5, v3 src0_sel:BYTE_3 src1_sel:DWORD
	s_andn2_b64 s[4:5], s[4:5], exec
	s_and_b64 s[8:9], s[8:9], exec
	s_or_b64 s[4:5], s[4:5], s[8:9]
	s_or_b64 exec, exec, s[6:7]
	s_and_saveexec_b64 s[6:7], s[4:5]
	s_cbranch_execnz .LBB46_1791
	s_branch .LBB46_1792
.LBB46_3841:
	s_movk_i32 s4, 0x80
	v_cmp_eq_u16_sdwa s[12:13], v12, s4 src0_sel:BYTE_0 src1_sel:DWORD
	s_mov_b64 s[4:5], -1
                                        ; implicit-def: $sgpr10
	s_and_saveexec_b64 s[8:9], s[12:13]
; %bb.3842:
	s_mov_b32 s10, 0x7f800001
	s_xor_b64 s[4:5], exec, -1
; %bb.3843:
	s_or_b64 exec, exec, s[8:9]
	s_and_b64 s[4:5], s[4:5], exec
	s_or_saveexec_b64 s[6:7], s[6:7]
	v_mov_b32_e32 v18, s10
	s_xor_b64 exec, exec, s[6:7]
	s_cbranch_execz .LBB46_1794
.LBB46_3844:
	v_mov_b32_e32 v18, 0
	v_cmp_ne_u16_sdwa s[8:9], v12, v18 src0_sel:BYTE_0 src1_sel:DWORD
	s_andn2_b64 s[4:5], s[4:5], exec
	s_and_b64 s[8:9], s[8:9], exec
	s_or_b64 s[4:5], s[4:5], s[8:9]
	s_or_b64 exec, exec, s[6:7]
	s_and_saveexec_b64 s[6:7], s[4:5]
	s_cbranch_execnz .LBB46_1795
	s_branch .LBB46_1796
.LBB46_3845:
	s_movk_i32 s4, 0x80
	v_cmp_eq_u16_sdwa s[12:13], v8, s4 src0_sel:BYTE_0 src1_sel:DWORD
	s_mov_b64 s[4:5], -1
                                        ; implicit-def: $sgpr10
	s_and_saveexec_b64 s[8:9], s[12:13]
; %bb.3846:
	s_mov_b32 s10, 0x7f800001
	s_xor_b64 s[4:5], exec, -1
; %bb.3847:
	s_or_b64 exec, exec, s[8:9]
	s_and_b64 s[4:5], s[4:5], exec
	s_or_saveexec_b64 s[6:7], s[6:7]
	v_mov_b32_e32 v19, s10
	s_xor_b64 exec, exec, s[6:7]
	s_cbranch_execz .LBB46_1798
.LBB46_3848:
	v_mov_b32_e32 v19, 0
	v_cmp_ne_u16_sdwa s[8:9], v8, v19 src0_sel:BYTE_0 src1_sel:DWORD
	s_andn2_b64 s[4:5], s[4:5], exec
	s_and_b64 s[8:9], s[8:9], exec
	s_or_b64 s[4:5], s[4:5], s[8:9]
	s_or_b64 exec, exec, s[6:7]
	s_and_saveexec_b64 s[6:7], s[4:5]
	s_cbranch_execnz .LBB46_1799
	s_branch .LBB46_1800
.LBB46_3849:
	s_movk_i32 s4, 0x80
	v_cmp_eq_u16_sdwa s[12:13], v19, s4 src0_sel:BYTE_0 src1_sel:DWORD
	s_mov_b64 s[4:5], -1
                                        ; implicit-def: $sgpr10
	s_and_saveexec_b64 s[8:9], s[12:13]
; %bb.3850:
	s_mov_b32 s10, 0x7f800001
	s_xor_b64 s[4:5], exec, -1
; %bb.3851:
	s_or_b64 exec, exec, s[8:9]
	s_and_b64 s[4:5], s[4:5], exec
	s_or_saveexec_b64 s[6:7], s[6:7]
	v_mov_b32_e32 v18, s10
	s_xor_b64 exec, exec, s[6:7]
	s_cbranch_execz .LBB46_1802
.LBB46_3852:
	v_mov_b32_e32 v18, 0
	v_cmp_ne_u16_sdwa s[8:9], v19, v18 src0_sel:BYTE_0 src1_sel:DWORD
	s_andn2_b64 s[4:5], s[4:5], exec
	s_and_b64 s[8:9], s[8:9], exec
	s_or_b64 s[4:5], s[4:5], s[8:9]
	s_or_b64 exec, exec, s[6:7]
	s_and_saveexec_b64 s[6:7], s[4:5]
	s_cbranch_execnz .LBB46_1803
	s_branch .LBB46_1804
.LBB46_3853:
	s_movk_i32 s4, 0x80
	v_cmp_eq_u16_sdwa s[12:13], v19, s4 src0_sel:BYTE_0 src1_sel:DWORD
	s_mov_b64 s[4:5], -1
                                        ; implicit-def: $sgpr10
	s_and_saveexec_b64 s[8:9], s[12:13]
; %bb.3854:
	s_mov_b32 s10, 0x7f800001
	s_xor_b64 s[4:5], exec, -1
; %bb.3855:
	s_or_b64 exec, exec, s[8:9]
	s_and_b64 s[4:5], s[4:5], exec
	s_or_saveexec_b64 s[6:7], s[6:7]
	v_mov_b32_e32 v20, s10
	s_xor_b64 exec, exec, s[6:7]
	s_cbranch_execz .LBB46_1806
.LBB46_3856:
	v_mov_b32_e32 v20, 0
	v_cmp_ne_u16_sdwa s[8:9], v19, v20 src0_sel:BYTE_0 src1_sel:DWORD
	s_andn2_b64 s[4:5], s[4:5], exec
	s_and_b64 s[8:9], s[8:9], exec
	s_or_b64 s[4:5], s[4:5], s[8:9]
	s_or_b64 exec, exec, s[6:7]
	s_and_saveexec_b64 s[6:7], s[4:5]
	s_cbranch_execnz .LBB46_1807
	s_branch .LBB46_1808
.LBB46_3857:
	s_movk_i32 s4, 0x80
	v_cmp_eq_u16_e32 vcc, s4, v19
	s_mov_b64 s[4:5], -1
                                        ; implicit-def: $sgpr10
	s_and_saveexec_b64 s[8:9], vcc
; %bb.3858:
	s_mov_b32 s10, 0x7f800001
	s_xor_b64 s[4:5], exec, -1
; %bb.3859:
	s_or_b64 exec, exec, s[8:9]
	s_and_b64 s[4:5], s[4:5], exec
                                        ; implicit-def: $vgpr19
	s_or_saveexec_b64 s[6:7], s[6:7]
	v_mov_b32_e32 v18, s10
	s_xor_b64 exec, exec, s[6:7]
	s_cbranch_execz .LBB46_1810
.LBB46_3860:
	v_cmp_ne_u16_e32 vcc, 0, v19
	s_andn2_b64 s[4:5], s[4:5], exec
	s_and_b64 s[8:9], vcc, exec
	v_mov_b32_e32 v18, 0
	s_or_b64 s[4:5], s[4:5], s[8:9]
	s_or_b64 exec, exec, s[6:7]
	s_and_saveexec_b64 s[6:7], s[4:5]
	s_cbranch_execnz .LBB46_1811
	s_branch .LBB46_1812
.LBB46_3861:
	s_movk_i32 s4, 0x80
	v_cmp_eq_u16_e32 vcc, s4, v19
	s_mov_b64 s[4:5], -1
                                        ; implicit-def: $sgpr10
	s_and_saveexec_b64 s[8:9], vcc
; %bb.3862:
	s_mov_b32 s10, 0x7f800001
	s_xor_b64 s[4:5], exec, -1
; %bb.3863:
	s_or_b64 exec, exec, s[8:9]
	s_and_b64 s[4:5], s[4:5], exec
                                        ; implicit-def: $vgpr19
	s_or_saveexec_b64 s[6:7], s[6:7]
	v_mov_b32_e32 v20, s10
	s_xor_b64 exec, exec, s[6:7]
	s_cbranch_execz .LBB46_1814
.LBB46_3864:
	v_cmp_ne_u16_e32 vcc, 0, v19
	s_andn2_b64 s[4:5], s[4:5], exec
	s_and_b64 s[8:9], vcc, exec
	v_mov_b32_e32 v20, 0
	s_or_b64 s[4:5], s[4:5], s[8:9]
	s_or_b64 exec, exec, s[6:7]
	s_and_saveexec_b64 s[6:7], s[4:5]
	s_cbranch_execnz .LBB46_1815
	s_branch .LBB46_1816
.LBB46_3865:
	s_movk_i32 s4, 0x80
	v_cmp_eq_u16_sdwa s[12:13], v12, s4 src0_sel:BYTE_3 src1_sel:DWORD
	s_mov_b64 s[4:5], -1
                                        ; implicit-def: $sgpr10
	s_and_saveexec_b64 s[8:9], s[12:13]
; %bb.3866:
	s_mov_b32 s10, 0x7f800001
	s_xor_b64 s[4:5], exec, -1
; %bb.3867:
	s_or_b64 exec, exec, s[8:9]
	s_and_b64 s[4:5], s[4:5], exec
	s_or_saveexec_b64 s[6:7], s[6:7]
	v_mov_b32_e32 v18, s10
	s_xor_b64 exec, exec, s[6:7]
	s_cbranch_execz .LBB46_1818
.LBB46_3868:
	v_mov_b32_e32 v18, 0
	v_cmp_ne_u16_sdwa s[8:9], v12, v18 src0_sel:BYTE_3 src1_sel:DWORD
	s_andn2_b64 s[4:5], s[4:5], exec
	s_and_b64 s[8:9], s[8:9], exec
	s_or_b64 s[4:5], s[4:5], s[8:9]
	s_or_b64 exec, exec, s[6:7]
	s_and_saveexec_b64 s[6:7], s[4:5]
	s_cbranch_execnz .LBB46_1819
	s_branch .LBB46_1820
.LBB46_3869:
	s_movk_i32 s4, 0x80
	v_cmp_eq_u16_sdwa s[12:13], v8, s4 src0_sel:BYTE_3 src1_sel:DWORD
	s_mov_b64 s[4:5], -1
                                        ; implicit-def: $sgpr10
	s_and_saveexec_b64 s[8:9], s[12:13]
; %bb.3870:
	s_mov_b32 s10, 0x7f800001
	s_xor_b64 s[4:5], exec, -1
; %bb.3871:
	s_or_b64 exec, exec, s[8:9]
	s_and_b64 s[4:5], s[4:5], exec
	s_or_saveexec_b64 s[6:7], s[6:7]
	v_mov_b32_e32 v12, s10
	s_xor_b64 exec, exec, s[6:7]
	s_cbranch_execz .LBB46_1822
.LBB46_3872:
	v_mov_b32_e32 v12, 0
	v_cmp_ne_u16_sdwa s[8:9], v8, v12 src0_sel:BYTE_3 src1_sel:DWORD
	s_andn2_b64 s[4:5], s[4:5], exec
	s_and_b64 s[8:9], s[8:9], exec
	s_or_b64 s[4:5], s[4:5], s[8:9]
	s_or_b64 exec, exec, s[6:7]
	s_and_saveexec_b64 s[6:7], s[4:5]
	s_cbranch_execnz .LBB46_1823
	s_branch .LBB46_1824
.LBB46_3873:
	s_movk_i32 s4, 0x80
	v_cmp_eq_u16_sdwa s[12:13], v13, s4 src0_sel:BYTE_0 src1_sel:DWORD
	s_mov_b64 s[4:5], -1
                                        ; implicit-def: $sgpr10
	s_and_saveexec_b64 s[8:9], s[12:13]
; %bb.3874:
	s_mov_b32 s10, 0x7f800001
	s_xor_b64 s[4:5], exec, -1
; %bb.3875:
	s_or_b64 exec, exec, s[8:9]
	s_and_b64 s[4:5], s[4:5], exec
	s_or_saveexec_b64 s[6:7], s[6:7]
	v_mov_b32_e32 v8, s10
	s_xor_b64 exec, exec, s[6:7]
	s_cbranch_execz .LBB46_1826
.LBB46_3876:
	v_mov_b32_e32 v8, 0
	v_cmp_ne_u16_sdwa s[8:9], v13, v8 src0_sel:BYTE_0 src1_sel:DWORD
	s_andn2_b64 s[4:5], s[4:5], exec
	s_and_b64 s[8:9], s[8:9], exec
	s_or_b64 s[4:5], s[4:5], s[8:9]
	s_or_b64 exec, exec, s[6:7]
	s_and_saveexec_b64 s[6:7], s[4:5]
	s_cbranch_execnz .LBB46_1827
	s_branch .LBB46_1828
.LBB46_3877:
	s_movk_i32 s4, 0x80
	v_cmp_eq_u16_sdwa s[12:13], v9, s4 src0_sel:BYTE_0 src1_sel:DWORD
	s_mov_b64 s[4:5], -1
                                        ; implicit-def: $sgpr10
	s_and_saveexec_b64 s[8:9], s[12:13]
; %bb.3878:
	s_mov_b32 s10, 0x7f800001
	s_xor_b64 s[4:5], exec, -1
; %bb.3879:
	s_or_b64 exec, exec, s[8:9]
	s_and_b64 s[4:5], s[4:5], exec
	s_or_saveexec_b64 s[6:7], s[6:7]
	v_mov_b32_e32 v12, s10
	s_xor_b64 exec, exec, s[6:7]
	s_cbranch_execz .LBB46_1830
.LBB46_3880:
	v_mov_b32_e32 v12, 0
	v_cmp_ne_u16_sdwa s[8:9], v9, v12 src0_sel:BYTE_0 src1_sel:DWORD
	s_andn2_b64 s[4:5], s[4:5], exec
	s_and_b64 s[8:9], s[8:9], exec
	s_or_b64 s[4:5], s[4:5], s[8:9]
	s_or_b64 exec, exec, s[6:7]
	s_and_saveexec_b64 s[6:7], s[4:5]
	s_cbranch_execnz .LBB46_1831
	s_branch .LBB46_1832
.LBB46_3881:
	s_movk_i32 s4, 0x80
	v_cmp_eq_u16_sdwa s[12:13], v12, s4 src0_sel:BYTE_0 src1_sel:DWORD
	s_mov_b64 s[4:5], -1
                                        ; implicit-def: $sgpr10
	s_and_saveexec_b64 s[8:9], s[12:13]
; %bb.3882:
	s_mov_b32 s10, 0x7f800001
	s_xor_b64 s[4:5], exec, -1
; %bb.3883:
	s_or_b64 exec, exec, s[8:9]
	s_and_b64 s[4:5], s[4:5], exec
	s_or_saveexec_b64 s[6:7], s[6:7]
	v_mov_b32_e32 v8, s10
	s_xor_b64 exec, exec, s[6:7]
	s_cbranch_execz .LBB46_1834
.LBB46_3884:
	v_mov_b32_e32 v8, 0
	v_cmp_ne_u16_sdwa s[8:9], v12, v8 src0_sel:BYTE_0 src1_sel:DWORD
	s_andn2_b64 s[4:5], s[4:5], exec
	s_and_b64 s[8:9], s[8:9], exec
	s_or_b64 s[4:5], s[4:5], s[8:9]
	s_or_b64 exec, exec, s[6:7]
	s_and_saveexec_b64 s[6:7], s[4:5]
	s_cbranch_execnz .LBB46_1835
	s_branch .LBB46_1836
.LBB46_3885:
	s_movk_i32 s4, 0x80
	v_cmp_eq_u16_sdwa s[12:13], v12, s4 src0_sel:BYTE_0 src1_sel:DWORD
	s_mov_b64 s[4:5], -1
                                        ; implicit-def: $sgpr10
	s_and_saveexec_b64 s[8:9], s[12:13]
; %bb.3886:
	s_mov_b32 s10, 0x7f800001
	s_xor_b64 s[4:5], exec, -1
; %bb.3887:
	s_or_b64 exec, exec, s[8:9]
	s_and_b64 s[4:5], s[4:5], exec
	s_or_saveexec_b64 s[6:7], s[6:7]
	v_mov_b32_e32 v18, s10
	s_xor_b64 exec, exec, s[6:7]
	s_cbranch_execz .LBB46_1838
.LBB46_3888:
	v_mov_b32_e32 v18, 0
	v_cmp_ne_u16_sdwa s[8:9], v12, v18 src0_sel:BYTE_0 src1_sel:DWORD
	s_andn2_b64 s[4:5], s[4:5], exec
	s_and_b64 s[8:9], s[8:9], exec
	s_or_b64 s[4:5], s[4:5], s[8:9]
	s_or_b64 exec, exec, s[6:7]
	s_and_saveexec_b64 s[6:7], s[4:5]
	s_cbranch_execnz .LBB46_1839
	s_branch .LBB46_1840
.LBB46_3889:
	s_movk_i32 s4, 0x80
	v_cmp_eq_u16_e32 vcc, s4, v12
	s_mov_b64 s[4:5], -1
                                        ; implicit-def: $sgpr10
	s_and_saveexec_b64 s[8:9], vcc
; %bb.3890:
	s_mov_b32 s10, 0x7f800001
	s_xor_b64 s[4:5], exec, -1
; %bb.3891:
	s_or_b64 exec, exec, s[8:9]
	s_and_b64 s[4:5], s[4:5], exec
                                        ; implicit-def: $vgpr12
	s_or_saveexec_b64 s[6:7], s[6:7]
	v_mov_b32_e32 v8, s10
	s_xor_b64 exec, exec, s[6:7]
	s_cbranch_execz .LBB46_1842
.LBB46_3892:
	v_cmp_ne_u16_e32 vcc, 0, v12
	s_andn2_b64 s[4:5], s[4:5], exec
	s_and_b64 s[8:9], vcc, exec
	v_mov_b32_e32 v8, 0
	s_or_b64 s[4:5], s[4:5], s[8:9]
	s_or_b64 exec, exec, s[6:7]
	s_and_saveexec_b64 s[6:7], s[4:5]
	s_cbranch_execnz .LBB46_1843
	s_branch .LBB46_1844
.LBB46_3893:
	s_movk_i32 s4, 0x80
	v_cmp_eq_u16_e32 vcc, s4, v12
	s_mov_b64 s[4:5], -1
                                        ; implicit-def: $sgpr10
	s_and_saveexec_b64 s[8:9], vcc
; %bb.3894:
	s_mov_b32 s10, 0x7f800001
	s_xor_b64 s[4:5], exec, -1
; %bb.3895:
	s_or_b64 exec, exec, s[8:9]
	s_and_b64 s[4:5], s[4:5], exec
                                        ; implicit-def: $vgpr12
	s_or_saveexec_b64 s[6:7], s[6:7]
	v_mov_b32_e32 v18, s10
	s_xor_b64 exec, exec, s[6:7]
	s_cbranch_execz .LBB46_1846
.LBB46_3896:
	v_cmp_ne_u16_e32 vcc, 0, v12
	s_andn2_b64 s[4:5], s[4:5], exec
	s_and_b64 s[8:9], vcc, exec
	v_mov_b32_e32 v18, 0
	s_or_b64 s[4:5], s[4:5], s[8:9]
	s_or_b64 exec, exec, s[6:7]
	s_and_saveexec_b64 s[6:7], s[4:5]
	s_cbranch_execnz .LBB46_1847
	s_branch .LBB46_1848
.LBB46_3897:
	s_movk_i32 s4, 0x80
	v_cmp_eq_u16_sdwa s[12:13], v13, s4 src0_sel:BYTE_3 src1_sel:DWORD
	s_mov_b64 s[4:5], -1
                                        ; implicit-def: $sgpr10
	s_and_saveexec_b64 s[8:9], s[12:13]
; %bb.3898:
	s_mov_b32 s10, 0x7f800001
	s_xor_b64 s[4:5], exec, -1
; %bb.3899:
	s_or_b64 exec, exec, s[8:9]
	s_and_b64 s[4:5], s[4:5], exec
	s_or_saveexec_b64 s[6:7], s[6:7]
	v_mov_b32_e32 v8, s10
	s_xor_b64 exec, exec, s[6:7]
	s_cbranch_execz .LBB46_1850
.LBB46_3900:
	v_mov_b32_e32 v8, 0
	v_cmp_ne_u16_sdwa s[8:9], v13, v8 src0_sel:BYTE_3 src1_sel:DWORD
	s_andn2_b64 s[4:5], s[4:5], exec
	s_and_b64 s[8:9], s[8:9], exec
	s_or_b64 s[4:5], s[4:5], s[8:9]
	s_or_b64 exec, exec, s[6:7]
	s_and_saveexec_b64 s[6:7], s[4:5]
	s_cbranch_execnz .LBB46_1851
	s_branch .LBB46_1852
.LBB46_3901:
	s_movk_i32 s4, 0x80
	v_cmp_eq_u16_sdwa s[12:13], v9, s4 src0_sel:BYTE_3 src1_sel:DWORD
	s_mov_b64 s[4:5], -1
                                        ; implicit-def: $sgpr10
	s_and_saveexec_b64 s[8:9], s[12:13]
; %bb.3902:
	s_mov_b32 s10, 0x7f800001
	s_xor_b64 s[4:5], exec, -1
; %bb.3903:
	s_or_b64 exec, exec, s[8:9]
	s_and_b64 s[4:5], s[4:5], exec
	s_or_saveexec_b64 s[6:7], s[6:7]
	v_mov_b32_e32 v12, s10
	s_xor_b64 exec, exec, s[6:7]
	s_cbranch_execz .LBB46_1854
.LBB46_3904:
	v_mov_b32_e32 v12, 0
	v_cmp_ne_u16_sdwa s[8:9], v9, v12 src0_sel:BYTE_3 src1_sel:DWORD
	s_andn2_b64 s[4:5], s[4:5], exec
	s_and_b64 s[8:9], s[8:9], exec
	s_or_b64 s[4:5], s[4:5], s[8:9]
	s_or_b64 exec, exec, s[6:7]
	s_and_saveexec_b64 s[6:7], s[4:5]
	s_cbranch_execnz .LBB46_1855
	s_branch .LBB46_1856
.LBB46_3905:
	s_movk_i32 s4, 0x80
	v_cmp_eq_u16_sdwa s[12:13], v14, s4 src0_sel:BYTE_0 src1_sel:DWORD
	s_mov_b64 s[4:5], -1
                                        ; implicit-def: $sgpr10
	s_and_saveexec_b64 s[8:9], s[12:13]
; %bb.3906:
	s_mov_b32 s10, 0x7f800001
	s_xor_b64 s[4:5], exec, -1
; %bb.3907:
	s_or_b64 exec, exec, s[8:9]
	s_and_b64 s[4:5], s[4:5], exec
	s_or_saveexec_b64 s[6:7], s[6:7]
	v_mov_b32_e32 v8, s10
	s_xor_b64 exec, exec, s[6:7]
	s_cbranch_execz .LBB46_1858
.LBB46_3908:
	v_mov_b32_e32 v8, 0
	v_cmp_ne_u16_sdwa s[8:9], v14, v8 src0_sel:BYTE_0 src1_sel:DWORD
	s_andn2_b64 s[4:5], s[4:5], exec
	s_and_b64 s[8:9], s[8:9], exec
	s_or_b64 s[4:5], s[4:5], s[8:9]
	s_or_b64 exec, exec, s[6:7]
	s_and_saveexec_b64 s[6:7], s[4:5]
	s_cbranch_execnz .LBB46_1859
	s_branch .LBB46_1860
.LBB46_3909:
	s_movk_i32 s4, 0x80
	v_cmp_eq_u16_sdwa s[12:13], v10, s4 src0_sel:BYTE_0 src1_sel:DWORD
	s_mov_b64 s[4:5], -1
                                        ; implicit-def: $sgpr10
	s_and_saveexec_b64 s[8:9], s[12:13]
; %bb.3910:
	s_mov_b32 s10, 0x7f800001
	s_xor_b64 s[4:5], exec, -1
; %bb.3911:
	s_or_b64 exec, exec, s[8:9]
	s_and_b64 s[4:5], s[4:5], exec
	s_or_saveexec_b64 s[6:7], s[6:7]
	v_mov_b32_e32 v9, s10
	s_xor_b64 exec, exec, s[6:7]
	s_cbranch_execz .LBB46_1862
.LBB46_3912:
	v_mov_b32_e32 v9, 0
	v_cmp_ne_u16_sdwa s[8:9], v10, v9 src0_sel:BYTE_0 src1_sel:DWORD
	s_andn2_b64 s[4:5], s[4:5], exec
	s_and_b64 s[8:9], s[8:9], exec
	s_or_b64 s[4:5], s[4:5], s[8:9]
	s_or_b64 exec, exec, s[6:7]
	s_and_saveexec_b64 s[6:7], s[4:5]
	s_cbranch_execnz .LBB46_1863
	s_branch .LBB46_1864
.LBB46_3913:
	s_movk_i32 s4, 0x80
	v_cmp_eq_u16_sdwa s[12:13], v9, s4 src0_sel:BYTE_0 src1_sel:DWORD
	s_mov_b64 s[4:5], -1
                                        ; implicit-def: $sgpr10
	s_and_saveexec_b64 s[8:9], s[12:13]
; %bb.3914:
	s_mov_b32 s10, 0x7f800001
	s_xor_b64 s[4:5], exec, -1
; %bb.3915:
	s_or_b64 exec, exec, s[8:9]
	s_and_b64 s[4:5], s[4:5], exec
	s_or_saveexec_b64 s[6:7], s[6:7]
	v_mov_b32_e32 v8, s10
	s_xor_b64 exec, exec, s[6:7]
	s_cbranch_execz .LBB46_1866
.LBB46_3916:
	v_mov_b32_e32 v8, 0
	v_cmp_ne_u16_sdwa s[8:9], v9, v8 src0_sel:BYTE_0 src1_sel:DWORD
	s_andn2_b64 s[4:5], s[4:5], exec
	s_and_b64 s[8:9], s[8:9], exec
	s_or_b64 s[4:5], s[4:5], s[8:9]
	s_or_b64 exec, exec, s[6:7]
	s_and_saveexec_b64 s[6:7], s[4:5]
	s_cbranch_execnz .LBB46_1867
	s_branch .LBB46_1868
.LBB46_3917:
	s_movk_i32 s4, 0x80
	v_cmp_eq_u16_sdwa s[12:13], v9, s4 src0_sel:BYTE_0 src1_sel:DWORD
	s_mov_b64 s[4:5], -1
                                        ; implicit-def: $sgpr10
	s_and_saveexec_b64 s[8:9], s[12:13]
; %bb.3918:
	s_mov_b32 s10, 0x7f800001
	s_xor_b64 s[4:5], exec, -1
; %bb.3919:
	s_or_b64 exec, exec, s[8:9]
	s_and_b64 s[4:5], s[4:5], exec
	s_or_saveexec_b64 s[6:7], s[6:7]
	v_mov_b32_e32 v12, s10
	s_xor_b64 exec, exec, s[6:7]
	s_cbranch_execz .LBB46_1870
.LBB46_3920:
	v_mov_b32_e32 v12, 0
	v_cmp_ne_u16_sdwa s[8:9], v9, v12 src0_sel:BYTE_0 src1_sel:DWORD
	s_andn2_b64 s[4:5], s[4:5], exec
	s_and_b64 s[8:9], s[8:9], exec
	s_or_b64 s[4:5], s[4:5], s[8:9]
	s_or_b64 exec, exec, s[6:7]
	s_and_saveexec_b64 s[6:7], s[4:5]
	s_cbranch_execnz .LBB46_1871
	s_branch .LBB46_1872
.LBB46_3921:
	s_movk_i32 s4, 0x80
	v_cmp_eq_u16_e32 vcc, s4, v9
	s_mov_b64 s[4:5], -1
                                        ; implicit-def: $sgpr10
	s_and_saveexec_b64 s[8:9], vcc
; %bb.3922:
	s_mov_b32 s10, 0x7f800001
	s_xor_b64 s[4:5], exec, -1
; %bb.3923:
	s_or_b64 exec, exec, s[8:9]
	s_and_b64 s[4:5], s[4:5], exec
                                        ; implicit-def: $vgpr9
	s_or_saveexec_b64 s[6:7], s[6:7]
	v_mov_b32_e32 v8, s10
	s_xor_b64 exec, exec, s[6:7]
	s_cbranch_execz .LBB46_1874
.LBB46_3924:
	v_cmp_ne_u16_e32 vcc, 0, v9
	s_andn2_b64 s[4:5], s[4:5], exec
	s_and_b64 s[8:9], vcc, exec
	v_mov_b32_e32 v8, 0
	s_or_b64 s[4:5], s[4:5], s[8:9]
	s_or_b64 exec, exec, s[6:7]
	s_and_saveexec_b64 s[6:7], s[4:5]
	s_cbranch_execnz .LBB46_1875
	s_branch .LBB46_1876
.LBB46_3925:
	s_movk_i32 s4, 0x80
	v_cmp_eq_u16_e32 vcc, s4, v9
	s_mov_b64 s[4:5], -1
                                        ; implicit-def: $sgpr10
	s_and_saveexec_b64 s[8:9], vcc
; %bb.3926:
	s_mov_b32 s10, 0x7f800001
	s_xor_b64 s[4:5], exec, -1
; %bb.3927:
	s_or_b64 exec, exec, s[8:9]
	s_and_b64 s[4:5], s[4:5], exec
                                        ; implicit-def: $vgpr9
	s_or_saveexec_b64 s[6:7], s[6:7]
	v_mov_b32_e32 v12, s10
	s_xor_b64 exec, exec, s[6:7]
	s_cbranch_execz .LBB46_1878
.LBB46_3928:
	v_cmp_ne_u16_e32 vcc, 0, v9
	s_andn2_b64 s[4:5], s[4:5], exec
	s_and_b64 s[8:9], vcc, exec
	v_mov_b32_e32 v12, 0
	s_or_b64 s[4:5], s[4:5], s[8:9]
	s_or_b64 exec, exec, s[6:7]
	s_and_saveexec_b64 s[6:7], s[4:5]
	s_cbranch_execnz .LBB46_1879
	s_branch .LBB46_1880
.LBB46_3929:
	s_movk_i32 s4, 0x80
	v_cmp_eq_u16_sdwa s[12:13], v14, s4 src0_sel:BYTE_3 src1_sel:DWORD
	s_mov_b64 s[4:5], -1
                                        ; implicit-def: $sgpr10
	s_and_saveexec_b64 s[8:9], s[12:13]
; %bb.3930:
	s_mov_b32 s10, 0x7f800001
	s_xor_b64 s[4:5], exec, -1
; %bb.3931:
	s_or_b64 exec, exec, s[8:9]
	s_and_b64 s[4:5], s[4:5], exec
	s_or_saveexec_b64 s[6:7], s[6:7]
	v_mov_b32_e32 v8, s10
	s_xor_b64 exec, exec, s[6:7]
	s_cbranch_execz .LBB46_1882
.LBB46_3932:
	v_mov_b32_e32 v8, 0
	v_cmp_ne_u16_sdwa s[8:9], v14, v8 src0_sel:BYTE_3 src1_sel:DWORD
	s_andn2_b64 s[4:5], s[4:5], exec
	s_and_b64 s[8:9], s[8:9], exec
	s_or_b64 s[4:5], s[4:5], s[8:9]
	s_or_b64 exec, exec, s[6:7]
	s_and_saveexec_b64 s[6:7], s[4:5]
	s_cbranch_execnz .LBB46_1883
	s_branch .LBB46_1884
.LBB46_3933:
	s_movk_i32 s4, 0x80
	v_cmp_eq_u16_sdwa s[12:13], v10, s4 src0_sel:BYTE_3 src1_sel:DWORD
	s_mov_b64 s[4:5], -1
                                        ; implicit-def: $sgpr10
	s_and_saveexec_b64 s[8:9], s[12:13]
; %bb.3934:
	s_mov_b32 s10, 0x7f800001
	s_xor_b64 s[4:5], exec, -1
; %bb.3935:
	s_or_b64 exec, exec, s[8:9]
	s_and_b64 s[4:5], s[4:5], exec
	s_or_saveexec_b64 s[6:7], s[6:7]
	v_mov_b32_e32 v9, s10
	s_xor_b64 exec, exec, s[6:7]
	s_cbranch_execz .LBB46_1886
.LBB46_3936:
	v_mov_b32_e32 v9, 0
	v_cmp_ne_u16_sdwa s[8:9], v10, v9 src0_sel:BYTE_3 src1_sel:DWORD
	s_andn2_b64 s[4:5], s[4:5], exec
	s_and_b64 s[8:9], s[8:9], exec
	s_or_b64 s[4:5], s[4:5], s[8:9]
	s_or_b64 exec, exec, s[6:7]
	s_and_saveexec_b64 s[6:7], s[4:5]
	s_cbranch_execnz .LBB46_1887
	s_branch .LBB46_1888
.LBB46_3937:
	s_movk_i32 s4, 0x80
	v_cmp_eq_u16_sdwa s[12:13], v15, s4 src0_sel:BYTE_0 src1_sel:DWORD
	s_mov_b64 s[4:5], -1
                                        ; implicit-def: $sgpr10
	s_and_saveexec_b64 s[8:9], s[12:13]
; %bb.3938:
	s_mov_b32 s10, 0x7f800001
	s_xor_b64 s[4:5], exec, -1
; %bb.3939:
	s_or_b64 exec, exec, s[8:9]
	s_and_b64 s[4:5], s[4:5], exec
	s_or_saveexec_b64 s[6:7], s[6:7]
	v_mov_b32_e32 v8, s10
	s_xor_b64 exec, exec, s[6:7]
	s_cbranch_execz .LBB46_1890
.LBB46_3940:
	v_mov_b32_e32 v8, 0
	v_cmp_ne_u16_sdwa s[8:9], v15, v8 src0_sel:BYTE_0 src1_sel:DWORD
	s_andn2_b64 s[4:5], s[4:5], exec
	s_and_b64 s[8:9], s[8:9], exec
	s_or_b64 s[4:5], s[4:5], s[8:9]
	s_or_b64 exec, exec, s[6:7]
	s_and_saveexec_b64 s[6:7], s[4:5]
	s_cbranch_execnz .LBB46_1891
	s_branch .LBB46_1892
.LBB46_3941:
	s_movk_i32 s4, 0x80
	v_cmp_eq_u16_sdwa s[12:13], v11, s4 src0_sel:BYTE_0 src1_sel:DWORD
	s_mov_b64 s[4:5], -1
                                        ; implicit-def: $sgpr10
	s_and_saveexec_b64 s[8:9], s[12:13]
; %bb.3942:
	s_mov_b32 s10, 0x7f800001
	s_xor_b64 s[4:5], exec, -1
; %bb.3943:
	s_or_b64 exec, exec, s[8:9]
	s_and_b64 s[4:5], s[4:5], exec
	s_or_saveexec_b64 s[6:7], s[6:7]
	v_mov_b32_e32 v9, s10
	s_xor_b64 exec, exec, s[6:7]
	s_cbranch_execz .LBB46_1894
.LBB46_3944:
	v_mov_b32_e32 v9, 0
	v_cmp_ne_u16_sdwa s[8:9], v11, v9 src0_sel:BYTE_0 src1_sel:DWORD
	s_andn2_b64 s[4:5], s[4:5], exec
	s_and_b64 s[8:9], s[8:9], exec
	s_or_b64 s[4:5], s[4:5], s[8:9]
	s_or_b64 exec, exec, s[6:7]
	s_and_saveexec_b64 s[6:7], s[4:5]
	s_cbranch_execnz .LBB46_1895
	s_branch .LBB46_1896
.LBB46_3945:
	s_movk_i32 s4, 0x80
	v_cmp_eq_u16_sdwa s[12:13], v9, s4 src0_sel:BYTE_0 src1_sel:DWORD
	s_mov_b64 s[4:5], -1
                                        ; implicit-def: $sgpr10
	s_and_saveexec_b64 s[8:9], s[12:13]
; %bb.3946:
	s_mov_b32 s10, 0x7f800001
	s_xor_b64 s[4:5], exec, -1
; %bb.3947:
	s_or_b64 exec, exec, s[8:9]
	s_and_b64 s[4:5], s[4:5], exec
	s_or_saveexec_b64 s[6:7], s[6:7]
	v_mov_b32_e32 v8, s10
	s_xor_b64 exec, exec, s[6:7]
	s_cbranch_execz .LBB46_1898
.LBB46_3948:
	v_mov_b32_e32 v8, 0
	v_cmp_ne_u16_sdwa s[8:9], v9, v8 src0_sel:BYTE_0 src1_sel:DWORD
	s_andn2_b64 s[4:5], s[4:5], exec
	s_and_b64 s[8:9], s[8:9], exec
	s_or_b64 s[4:5], s[4:5], s[8:9]
	s_or_b64 exec, exec, s[6:7]
	s_and_saveexec_b64 s[6:7], s[4:5]
	s_cbranch_execnz .LBB46_1899
	s_branch .LBB46_1900
.LBB46_3949:
	s_movk_i32 s4, 0x80
	v_cmp_eq_u16_sdwa s[12:13], v9, s4 src0_sel:BYTE_0 src1_sel:DWORD
	s_mov_b64 s[4:5], -1
                                        ; implicit-def: $sgpr10
	s_and_saveexec_b64 s[8:9], s[12:13]
; %bb.3950:
	s_mov_b32 s10, 0x7f800001
	s_xor_b64 s[4:5], exec, -1
; %bb.3951:
	s_or_b64 exec, exec, s[8:9]
	s_and_b64 s[4:5], s[4:5], exec
	s_or_saveexec_b64 s[6:7], s[6:7]
	v_mov_b32_e32 v10, s10
	s_xor_b64 exec, exec, s[6:7]
	s_cbranch_execz .LBB46_1902
.LBB46_3952:
	v_mov_b32_e32 v10, 0
	v_cmp_ne_u16_sdwa s[8:9], v9, v10 src0_sel:BYTE_0 src1_sel:DWORD
	s_andn2_b64 s[4:5], s[4:5], exec
	s_and_b64 s[8:9], s[8:9], exec
	s_or_b64 s[4:5], s[4:5], s[8:9]
	s_or_b64 exec, exec, s[6:7]
	s_and_saveexec_b64 s[6:7], s[4:5]
	s_cbranch_execnz .LBB46_1903
	s_branch .LBB46_1904
.LBB46_3953:
	s_movk_i32 s4, 0x80
	v_cmp_eq_u16_e32 vcc, s4, v9
	s_mov_b64 s[4:5], -1
                                        ; implicit-def: $sgpr10
	s_and_saveexec_b64 s[8:9], vcc
; %bb.3954:
	s_mov_b32 s10, 0x7f800001
	s_xor_b64 s[4:5], exec, -1
; %bb.3955:
	s_or_b64 exec, exec, s[8:9]
	s_and_b64 s[4:5], s[4:5], exec
                                        ; implicit-def: $vgpr9
	s_or_saveexec_b64 s[6:7], s[6:7]
	v_mov_b32_e32 v8, s10
	s_xor_b64 exec, exec, s[6:7]
	s_cbranch_execz .LBB46_1906
.LBB46_3956:
	v_cmp_ne_u16_e32 vcc, 0, v9
	s_andn2_b64 s[4:5], s[4:5], exec
	s_and_b64 s[8:9], vcc, exec
	v_mov_b32_e32 v8, 0
	s_or_b64 s[4:5], s[4:5], s[8:9]
	s_or_b64 exec, exec, s[6:7]
	s_and_saveexec_b64 s[6:7], s[4:5]
	s_cbranch_execnz .LBB46_1907
	s_branch .LBB46_1908
.LBB46_3957:
	s_movk_i32 s4, 0x80
	v_cmp_eq_u16_e32 vcc, s4, v9
	s_mov_b64 s[4:5], -1
                                        ; implicit-def: $sgpr10
	s_and_saveexec_b64 s[8:9], vcc
; %bb.3958:
	s_mov_b32 s10, 0x7f800001
	s_xor_b64 s[4:5], exec, -1
; %bb.3959:
	s_or_b64 exec, exec, s[8:9]
	s_and_b64 s[4:5], s[4:5], exec
                                        ; implicit-def: $vgpr9
	s_or_saveexec_b64 s[6:7], s[6:7]
	v_mov_b32_e32 v10, s10
	s_xor_b64 exec, exec, s[6:7]
	s_cbranch_execz .LBB46_1910
.LBB46_3960:
	v_cmp_ne_u16_e32 vcc, 0, v9
	s_andn2_b64 s[4:5], s[4:5], exec
	s_and_b64 s[8:9], vcc, exec
	v_mov_b32_e32 v10, 0
	s_or_b64 s[4:5], s[4:5], s[8:9]
	s_or_b64 exec, exec, s[6:7]
	s_and_saveexec_b64 s[6:7], s[4:5]
	s_cbranch_execnz .LBB46_1911
	s_branch .LBB46_1912
.LBB46_3961:
	s_movk_i32 s4, 0x80
	v_cmp_eq_u16_sdwa s[12:13], v15, s4 src0_sel:BYTE_3 src1_sel:DWORD
	s_mov_b64 s[4:5], -1
                                        ; implicit-def: $sgpr10
	s_and_saveexec_b64 s[8:9], s[12:13]
; %bb.3962:
	s_mov_b32 s10, 0x7f800001
	s_xor_b64 s[4:5], exec, -1
; %bb.3963:
	s_or_b64 exec, exec, s[8:9]
	s_and_b64 s[4:5], s[4:5], exec
	s_or_saveexec_b64 s[6:7], s[6:7]
	v_mov_b32_e32 v8, s10
	s_xor_b64 exec, exec, s[6:7]
	s_cbranch_execz .LBB46_1914
.LBB46_3964:
	v_mov_b32_e32 v8, 0
	v_cmp_ne_u16_sdwa s[8:9], v15, v8 src0_sel:BYTE_3 src1_sel:DWORD
	s_andn2_b64 s[4:5], s[4:5], exec
	s_and_b64 s[8:9], s[8:9], exec
	s_or_b64 s[4:5], s[4:5], s[8:9]
	s_or_b64 exec, exec, s[6:7]
	s_and_saveexec_b64 s[6:7], s[4:5]
	s_cbranch_execnz .LBB46_1915
	s_branch .LBB46_1916
.LBB46_3965:
	s_movk_i32 s4, 0x80
	v_cmp_eq_u16_sdwa s[12:13], v11, s4 src0_sel:BYTE_3 src1_sel:DWORD
	s_mov_b64 s[4:5], -1
                                        ; implicit-def: $sgpr10
	s_and_saveexec_b64 s[8:9], s[12:13]
; %bb.3966:
	s_mov_b32 s10, 0x7f800001
	s_xor_b64 s[4:5], exec, -1
; %bb.3967:
	s_or_b64 exec, exec, s[8:9]
	s_and_b64 s[4:5], s[4:5], exec
	s_or_saveexec_b64 s[6:7], s[6:7]
	v_mov_b32_e32 v9, s10
	s_xor_b64 exec, exec, s[6:7]
	s_cbranch_execz .LBB46_1918
.LBB46_3968:
	v_mov_b32_e32 v9, 0
	v_cmp_ne_u16_sdwa s[8:9], v11, v9 src0_sel:BYTE_3 src1_sel:DWORD
	s_andn2_b64 s[4:5], s[4:5], exec
	s_and_b64 s[8:9], s[8:9], exec
	s_or_b64 s[4:5], s[4:5], s[8:9]
	s_or_b64 exec, exec, s[6:7]
	s_and_saveexec_b64 s[6:7], s[4:5]
	s_cbranch_execnz .LBB46_1919
	s_branch .LBB46_1920
.LBB46_3969:
	s_movk_i32 s4, 0x80
	v_cmp_eq_u16_sdwa s[12:13], v4, s4 src0_sel:BYTE_0 src1_sel:DWORD
	s_mov_b64 s[4:5], -1
                                        ; implicit-def: $sgpr10
	s_and_saveexec_b64 s[8:9], s[12:13]
; %bb.3970:
	s_mov_b32 s10, 0x7f800001
	s_xor_b64 s[4:5], exec, -1
; %bb.3971:
	s_or_b64 exec, exec, s[8:9]
	s_and_b64 s[4:5], s[4:5], exec
	s_or_saveexec_b64 s[6:7], s[6:7]
	v_mov_b32_e32 v8, s10
	s_xor_b64 exec, exec, s[6:7]
	s_cbranch_execz .LBB46_1922
.LBB46_3972:
	v_mov_b32_e32 v8, 0
	v_cmp_ne_u16_sdwa s[8:9], v4, v8 src0_sel:BYTE_0 src1_sel:DWORD
	s_andn2_b64 s[4:5], s[4:5], exec
	s_and_b64 s[8:9], s[8:9], exec
	s_or_b64 s[4:5], s[4:5], s[8:9]
	s_or_b64 exec, exec, s[6:7]
	s_and_saveexec_b64 s[6:7], s[4:5]
	s_cbranch_execnz .LBB46_1923
	s_branch .LBB46_1924
.LBB46_3973:
	s_movk_i32 s4, 0x80
	v_cmp_eq_u16_sdwa s[12:13], v0, s4 src0_sel:BYTE_0 src1_sel:DWORD
	s_mov_b64 s[4:5], -1
                                        ; implicit-def: $sgpr10
	s_and_saveexec_b64 s[8:9], s[12:13]
; %bb.3974:
	s_mov_b32 s10, 0x7f800001
	s_xor_b64 s[4:5], exec, -1
; %bb.3975:
	s_or_b64 exec, exec, s[8:9]
	s_and_b64 s[4:5], s[4:5], exec
	s_or_saveexec_b64 s[6:7], s[6:7]
	v_mov_b32_e32 v9, s10
	s_xor_b64 exec, exec, s[6:7]
	s_cbranch_execz .LBB46_1926
.LBB46_3976:
	v_mov_b32_e32 v9, 0
	v_cmp_ne_u16_sdwa s[8:9], v0, v9 src0_sel:BYTE_0 src1_sel:DWORD
	s_andn2_b64 s[4:5], s[4:5], exec
	s_and_b64 s[8:9], s[8:9], exec
	s_or_b64 s[4:5], s[4:5], s[8:9]
	s_or_b64 exec, exec, s[6:7]
	s_and_saveexec_b64 s[6:7], s[4:5]
	s_cbranch_execnz .LBB46_1927
	s_branch .LBB46_1928
.LBB46_3977:
	s_movk_i32 s4, 0x80
	v_cmp_eq_u16_sdwa s[12:13], v9, s4 src0_sel:BYTE_0 src1_sel:DWORD
	s_mov_b64 s[4:5], -1
                                        ; implicit-def: $sgpr10
	s_and_saveexec_b64 s[8:9], s[12:13]
; %bb.3978:
	s_mov_b32 s10, 0x7f800001
	s_xor_b64 s[4:5], exec, -1
; %bb.3979:
	s_or_b64 exec, exec, s[8:9]
	s_and_b64 s[4:5], s[4:5], exec
	s_or_saveexec_b64 s[6:7], s[6:7]
	v_mov_b32_e32 v8, s10
	s_xor_b64 exec, exec, s[6:7]
	s_cbranch_execz .LBB46_1930
.LBB46_3980:
	v_mov_b32_e32 v8, 0
	v_cmp_ne_u16_sdwa s[8:9], v9, v8 src0_sel:BYTE_0 src1_sel:DWORD
	s_andn2_b64 s[4:5], s[4:5], exec
	s_and_b64 s[8:9], s[8:9], exec
	s_or_b64 s[4:5], s[4:5], s[8:9]
	s_or_b64 exec, exec, s[6:7]
	s_and_saveexec_b64 s[6:7], s[4:5]
	s_cbranch_execnz .LBB46_1931
	s_branch .LBB46_1932
.LBB46_3981:
	s_movk_i32 s4, 0x80
	v_cmp_eq_u16_sdwa s[12:13], v9, s4 src0_sel:BYTE_0 src1_sel:DWORD
	s_mov_b64 s[4:5], -1
                                        ; implicit-def: $sgpr10
	s_and_saveexec_b64 s[8:9], s[12:13]
; %bb.3982:
	s_mov_b32 s10, 0x7f800001
	s_xor_b64 s[4:5], exec, -1
; %bb.3983:
	s_or_b64 exec, exec, s[8:9]
	s_and_b64 s[4:5], s[4:5], exec
	s_or_saveexec_b64 s[6:7], s[6:7]
	v_mov_b32_e32 v10, s10
	s_xor_b64 exec, exec, s[6:7]
	s_cbranch_execz .LBB46_1934
.LBB46_3984:
	v_mov_b32_e32 v10, 0
	v_cmp_ne_u16_sdwa s[8:9], v9, v10 src0_sel:BYTE_0 src1_sel:DWORD
	s_andn2_b64 s[4:5], s[4:5], exec
	s_and_b64 s[8:9], s[8:9], exec
	s_or_b64 s[4:5], s[4:5], s[8:9]
	s_or_b64 exec, exec, s[6:7]
	s_and_saveexec_b64 s[6:7], s[4:5]
	s_cbranch_execnz .LBB46_1935
	s_branch .LBB46_1936
.LBB46_3985:
	s_movk_i32 s4, 0x80
	v_cmp_eq_u16_e32 vcc, s4, v9
	s_mov_b64 s[4:5], -1
                                        ; implicit-def: $sgpr10
	s_and_saveexec_b64 s[8:9], vcc
; %bb.3986:
	s_mov_b32 s10, 0x7f800001
	s_xor_b64 s[4:5], exec, -1
; %bb.3987:
	s_or_b64 exec, exec, s[8:9]
	s_and_b64 s[4:5], s[4:5], exec
                                        ; implicit-def: $vgpr9
	s_or_saveexec_b64 s[6:7], s[6:7]
	v_mov_b32_e32 v8, s10
	s_xor_b64 exec, exec, s[6:7]
	s_cbranch_execz .LBB46_1938
.LBB46_3988:
	v_cmp_ne_u16_e32 vcc, 0, v9
	s_andn2_b64 s[4:5], s[4:5], exec
	s_and_b64 s[8:9], vcc, exec
	v_mov_b32_e32 v8, 0
	s_or_b64 s[4:5], s[4:5], s[8:9]
	s_or_b64 exec, exec, s[6:7]
	s_and_saveexec_b64 s[6:7], s[4:5]
	s_cbranch_execnz .LBB46_1939
	s_branch .LBB46_1940
.LBB46_3989:
	s_movk_i32 s4, 0x80
	v_cmp_eq_u16_e32 vcc, s4, v9
	s_mov_b64 s[4:5], -1
                                        ; implicit-def: $sgpr10
	s_and_saveexec_b64 s[8:9], vcc
; %bb.3990:
	s_mov_b32 s10, 0x7f800001
	s_xor_b64 s[4:5], exec, -1
; %bb.3991:
	s_or_b64 exec, exec, s[8:9]
	s_and_b64 s[4:5], s[4:5], exec
                                        ; implicit-def: $vgpr9
	s_or_saveexec_b64 s[6:7], s[6:7]
	v_mov_b32_e32 v10, s10
	s_xor_b64 exec, exec, s[6:7]
	s_cbranch_execz .LBB46_1942
.LBB46_3992:
	v_cmp_ne_u16_e32 vcc, 0, v9
	s_andn2_b64 s[4:5], s[4:5], exec
	s_and_b64 s[8:9], vcc, exec
	v_mov_b32_e32 v10, 0
	s_or_b64 s[4:5], s[4:5], s[8:9]
	s_or_b64 exec, exec, s[6:7]
	s_and_saveexec_b64 s[6:7], s[4:5]
	s_cbranch_execnz .LBB46_1943
	s_branch .LBB46_1944
.LBB46_3993:
	s_movk_i32 s4, 0x80
	v_cmp_eq_u16_sdwa s[12:13], v4, s4 src0_sel:BYTE_3 src1_sel:DWORD
	s_mov_b64 s[4:5], -1
                                        ; implicit-def: $sgpr10
	s_and_saveexec_b64 s[8:9], s[12:13]
; %bb.3994:
	s_mov_b32 s10, 0x7f800001
	s_xor_b64 s[4:5], exec, -1
; %bb.3995:
	s_or_b64 exec, exec, s[8:9]
	s_and_b64 s[4:5], s[4:5], exec
	s_or_saveexec_b64 s[6:7], s[6:7]
	v_mov_b32_e32 v8, s10
	s_xor_b64 exec, exec, s[6:7]
	s_cbranch_execz .LBB46_1946
.LBB46_3996:
	v_mov_b32_e32 v8, 0
	v_cmp_ne_u16_sdwa s[8:9], v4, v8 src0_sel:BYTE_3 src1_sel:DWORD
	s_andn2_b64 s[4:5], s[4:5], exec
	s_and_b64 s[8:9], s[8:9], exec
	s_or_b64 s[4:5], s[4:5], s[8:9]
	s_or_b64 exec, exec, s[6:7]
	s_and_saveexec_b64 s[6:7], s[4:5]
	s_cbranch_execnz .LBB46_1947
	s_branch .LBB46_1948
.LBB46_3997:
	s_movk_i32 s4, 0x80
	v_cmp_eq_u16_sdwa s[12:13], v0, s4 src0_sel:BYTE_3 src1_sel:DWORD
	s_mov_b64 s[4:5], -1
                                        ; implicit-def: $sgpr10
	s_and_saveexec_b64 s[8:9], s[12:13]
; %bb.3998:
	s_mov_b32 s10, 0x7f800001
	s_xor_b64 s[4:5], exec, -1
; %bb.3999:
	s_or_b64 exec, exec, s[8:9]
	s_and_b64 s[4:5], s[4:5], exec
	s_or_saveexec_b64 s[6:7], s[6:7]
	v_mov_b32_e32 v4, s10
	s_xor_b64 exec, exec, s[6:7]
	s_cbranch_execz .LBB46_1950
.LBB46_4000:
	v_mov_b32_e32 v4, 0
	v_cmp_ne_u16_sdwa s[8:9], v0, v4 src0_sel:BYTE_3 src1_sel:DWORD
	s_andn2_b64 s[4:5], s[4:5], exec
	s_and_b64 s[8:9], s[8:9], exec
	s_or_b64 s[4:5], s[4:5], s[8:9]
	s_or_b64 exec, exec, s[6:7]
	s_and_saveexec_b64 s[6:7], s[4:5]
	s_cbranch_execnz .LBB46_1951
	s_branch .LBB46_1952
.LBB46_4001:
	s_movk_i32 s4, 0x80
	v_cmp_eq_u16_sdwa s[12:13], v5, s4 src0_sel:BYTE_0 src1_sel:DWORD
	s_mov_b64 s[4:5], -1
                                        ; implicit-def: $sgpr10
	s_and_saveexec_b64 s[8:9], s[12:13]
; %bb.4002:
	s_mov_b32 s10, 0x7f800001
	s_xor_b64 s[4:5], exec, -1
; %bb.4003:
	s_or_b64 exec, exec, s[8:9]
	s_and_b64 s[4:5], s[4:5], exec
	s_or_saveexec_b64 s[6:7], s[6:7]
	v_mov_b32_e32 v0, s10
	s_xor_b64 exec, exec, s[6:7]
	s_cbranch_execz .LBB46_1954
.LBB46_4004:
	v_mov_b32_e32 v0, 0
	v_cmp_ne_u16_sdwa s[8:9], v5, v0 src0_sel:BYTE_0 src1_sel:DWORD
	s_andn2_b64 s[4:5], s[4:5], exec
	s_and_b64 s[8:9], s[8:9], exec
	s_or_b64 s[4:5], s[4:5], s[8:9]
	s_or_b64 exec, exec, s[6:7]
	s_and_saveexec_b64 s[6:7], s[4:5]
	s_cbranch_execnz .LBB46_1955
	s_branch .LBB46_1956
.LBB46_4005:
	s_movk_i32 s4, 0x80
	v_cmp_eq_u16_sdwa s[12:13], v1, s4 src0_sel:BYTE_0 src1_sel:DWORD
	s_mov_b64 s[4:5], -1
                                        ; implicit-def: $sgpr10
	s_and_saveexec_b64 s[8:9], s[12:13]
; %bb.4006:
	s_mov_b32 s10, 0x7f800001
	s_xor_b64 s[4:5], exec, -1
; %bb.4007:
	s_or_b64 exec, exec, s[8:9]
	s_and_b64 s[4:5], s[4:5], exec
	s_or_saveexec_b64 s[6:7], s[6:7]
	v_mov_b32_e32 v4, s10
	s_xor_b64 exec, exec, s[6:7]
	s_cbranch_execz .LBB46_1958
.LBB46_4008:
	v_mov_b32_e32 v4, 0
	v_cmp_ne_u16_sdwa s[8:9], v1, v4 src0_sel:BYTE_0 src1_sel:DWORD
	s_andn2_b64 s[4:5], s[4:5], exec
	s_and_b64 s[8:9], s[8:9], exec
	s_or_b64 s[4:5], s[4:5], s[8:9]
	s_or_b64 exec, exec, s[6:7]
	s_and_saveexec_b64 s[6:7], s[4:5]
	s_cbranch_execnz .LBB46_1959
	s_branch .LBB46_1960
.LBB46_4009:
	s_movk_i32 s4, 0x80
	v_cmp_eq_u16_sdwa s[12:13], v4, s4 src0_sel:BYTE_0 src1_sel:DWORD
	s_mov_b64 s[4:5], -1
                                        ; implicit-def: $sgpr10
	s_and_saveexec_b64 s[8:9], s[12:13]
; %bb.4010:
	s_mov_b32 s10, 0x7f800001
	s_xor_b64 s[4:5], exec, -1
; %bb.4011:
	s_or_b64 exec, exec, s[8:9]
	s_and_b64 s[4:5], s[4:5], exec
	s_or_saveexec_b64 s[6:7], s[6:7]
	v_mov_b32_e32 v0, s10
	s_xor_b64 exec, exec, s[6:7]
	s_cbranch_execz .LBB46_1962
.LBB46_4012:
	v_mov_b32_e32 v0, 0
	v_cmp_ne_u16_sdwa s[8:9], v4, v0 src0_sel:BYTE_0 src1_sel:DWORD
	s_andn2_b64 s[4:5], s[4:5], exec
	s_and_b64 s[8:9], s[8:9], exec
	s_or_b64 s[4:5], s[4:5], s[8:9]
	s_or_b64 exec, exec, s[6:7]
	s_and_saveexec_b64 s[6:7], s[4:5]
	s_cbranch_execnz .LBB46_1963
	s_branch .LBB46_1964
.LBB46_4013:
	s_movk_i32 s4, 0x80
	v_cmp_eq_u16_sdwa s[12:13], v4, s4 src0_sel:BYTE_0 src1_sel:DWORD
	s_mov_b64 s[4:5], -1
                                        ; implicit-def: $sgpr10
	s_and_saveexec_b64 s[8:9], s[12:13]
; %bb.4014:
	s_mov_b32 s10, 0x7f800001
	s_xor_b64 s[4:5], exec, -1
; %bb.4015:
	s_or_b64 exec, exec, s[8:9]
	s_and_b64 s[4:5], s[4:5], exec
	s_or_saveexec_b64 s[6:7], s[6:7]
	v_mov_b32_e32 v8, s10
	s_xor_b64 exec, exec, s[6:7]
	s_cbranch_execz .LBB46_1966
.LBB46_4016:
	v_mov_b32_e32 v8, 0
	v_cmp_ne_u16_sdwa s[8:9], v4, v8 src0_sel:BYTE_0 src1_sel:DWORD
	s_andn2_b64 s[4:5], s[4:5], exec
	s_and_b64 s[8:9], s[8:9], exec
	s_or_b64 s[4:5], s[4:5], s[8:9]
	s_or_b64 exec, exec, s[6:7]
	s_and_saveexec_b64 s[6:7], s[4:5]
	s_cbranch_execnz .LBB46_1967
	s_branch .LBB46_1968
.LBB46_4017:
	s_movk_i32 s4, 0x80
	v_cmp_eq_u16_e32 vcc, s4, v4
	s_mov_b64 s[4:5], -1
                                        ; implicit-def: $sgpr10
	s_and_saveexec_b64 s[8:9], vcc
; %bb.4018:
	s_mov_b32 s10, 0x7f800001
	s_xor_b64 s[4:5], exec, -1
; %bb.4019:
	s_or_b64 exec, exec, s[8:9]
	s_and_b64 s[4:5], s[4:5], exec
                                        ; implicit-def: $vgpr4
	s_or_saveexec_b64 s[6:7], s[6:7]
	v_mov_b32_e32 v0, s10
	s_xor_b64 exec, exec, s[6:7]
	s_cbranch_execz .LBB46_1970
.LBB46_4020:
	v_cmp_ne_u16_e32 vcc, 0, v4
	s_andn2_b64 s[4:5], s[4:5], exec
	s_and_b64 s[8:9], vcc, exec
	v_mov_b32_e32 v0, 0
	s_or_b64 s[4:5], s[4:5], s[8:9]
	s_or_b64 exec, exec, s[6:7]
	s_and_saveexec_b64 s[6:7], s[4:5]
	s_cbranch_execnz .LBB46_1971
	s_branch .LBB46_1972
.LBB46_4021:
	s_movk_i32 s4, 0x80
	v_cmp_eq_u16_e32 vcc, s4, v4
	s_mov_b64 s[4:5], -1
                                        ; implicit-def: $sgpr10
	s_and_saveexec_b64 s[8:9], vcc
; %bb.4022:
	s_mov_b32 s10, 0x7f800001
	s_xor_b64 s[4:5], exec, -1
; %bb.4023:
	s_or_b64 exec, exec, s[8:9]
	s_and_b64 s[4:5], s[4:5], exec
                                        ; implicit-def: $vgpr4
	s_or_saveexec_b64 s[6:7], s[6:7]
	v_mov_b32_e32 v8, s10
	s_xor_b64 exec, exec, s[6:7]
	s_cbranch_execz .LBB46_1974
.LBB46_4024:
	v_cmp_ne_u16_e32 vcc, 0, v4
	s_andn2_b64 s[4:5], s[4:5], exec
	s_and_b64 s[8:9], vcc, exec
	v_mov_b32_e32 v8, 0
	s_or_b64 s[4:5], s[4:5], s[8:9]
	s_or_b64 exec, exec, s[6:7]
	s_and_saveexec_b64 s[6:7], s[4:5]
	s_cbranch_execnz .LBB46_1975
	s_branch .LBB46_1976
.LBB46_4025:
	s_movk_i32 s4, 0x80
	v_cmp_eq_u16_sdwa s[12:13], v5, s4 src0_sel:BYTE_3 src1_sel:DWORD
	s_mov_b64 s[4:5], -1
                                        ; implicit-def: $sgpr10
	s_and_saveexec_b64 s[8:9], s[12:13]
; %bb.4026:
	s_mov_b32 s10, 0x7f800001
	s_xor_b64 s[4:5], exec, -1
; %bb.4027:
	s_or_b64 exec, exec, s[8:9]
	s_and_b64 s[4:5], s[4:5], exec
	s_or_saveexec_b64 s[6:7], s[6:7]
	v_mov_b32_e32 v0, s10
	s_xor_b64 exec, exec, s[6:7]
	s_cbranch_execz .LBB46_1978
.LBB46_4028:
	v_mov_b32_e32 v0, 0
	v_cmp_ne_u16_sdwa s[8:9], v5, v0 src0_sel:BYTE_3 src1_sel:DWORD
	s_andn2_b64 s[4:5], s[4:5], exec
	s_and_b64 s[8:9], s[8:9], exec
	s_or_b64 s[4:5], s[4:5], s[8:9]
	s_or_b64 exec, exec, s[6:7]
	s_and_saveexec_b64 s[6:7], s[4:5]
	s_cbranch_execnz .LBB46_1979
	s_branch .LBB46_1980
.LBB46_4029:
	s_movk_i32 s4, 0x80
	v_cmp_eq_u16_sdwa s[12:13], v1, s4 src0_sel:BYTE_3 src1_sel:DWORD
	s_mov_b64 s[4:5], -1
                                        ; implicit-def: $sgpr10
	s_and_saveexec_b64 s[8:9], s[12:13]
; %bb.4030:
	s_mov_b32 s10, 0x7f800001
	s_xor_b64 s[4:5], exec, -1
; %bb.4031:
	s_or_b64 exec, exec, s[8:9]
	s_and_b64 s[4:5], s[4:5], exec
	s_or_saveexec_b64 s[6:7], s[6:7]
	v_mov_b32_e32 v4, s10
	s_xor_b64 exec, exec, s[6:7]
	s_cbranch_execz .LBB46_1982
.LBB46_4032:
	v_mov_b32_e32 v4, 0
	v_cmp_ne_u16_sdwa s[8:9], v1, v4 src0_sel:BYTE_3 src1_sel:DWORD
	s_andn2_b64 s[4:5], s[4:5], exec
	s_and_b64 s[8:9], s[8:9], exec
	s_or_b64 s[4:5], s[4:5], s[8:9]
	s_or_b64 exec, exec, s[6:7]
	s_and_saveexec_b64 s[6:7], s[4:5]
	s_cbranch_execnz .LBB46_1983
	s_branch .LBB46_1984
.LBB46_4033:
	s_movk_i32 s4, 0x80
	v_cmp_eq_u16_sdwa s[12:13], v6, s4 src0_sel:BYTE_0 src1_sel:DWORD
	s_mov_b64 s[4:5], -1
                                        ; implicit-def: $sgpr10
	s_and_saveexec_b64 s[8:9], s[12:13]
; %bb.4034:
	s_mov_b32 s10, 0x7f800001
	s_xor_b64 s[4:5], exec, -1
; %bb.4035:
	s_or_b64 exec, exec, s[8:9]
	s_and_b64 s[4:5], s[4:5], exec
	s_or_saveexec_b64 s[6:7], s[6:7]
	v_mov_b32_e32 v0, s10
	s_xor_b64 exec, exec, s[6:7]
	s_cbranch_execz .LBB46_1986
.LBB46_4036:
	v_mov_b32_e32 v0, 0
	v_cmp_ne_u16_sdwa s[8:9], v6, v0 src0_sel:BYTE_0 src1_sel:DWORD
	s_andn2_b64 s[4:5], s[4:5], exec
	s_and_b64 s[8:9], s[8:9], exec
	s_or_b64 s[4:5], s[4:5], s[8:9]
	s_or_b64 exec, exec, s[6:7]
	s_and_saveexec_b64 s[6:7], s[4:5]
	s_cbranch_execnz .LBB46_1987
	s_branch .LBB46_1988
.LBB46_4037:
	s_movk_i32 s4, 0x80
	v_cmp_eq_u16_sdwa s[12:13], v2, s4 src0_sel:BYTE_0 src1_sel:DWORD
	s_mov_b64 s[4:5], -1
                                        ; implicit-def: $sgpr10
	s_and_saveexec_b64 s[8:9], s[12:13]
; %bb.4038:
	s_mov_b32 s10, 0x7f800001
	s_xor_b64 s[4:5], exec, -1
; %bb.4039:
	s_or_b64 exec, exec, s[8:9]
	s_and_b64 s[4:5], s[4:5], exec
	s_or_saveexec_b64 s[6:7], s[6:7]
	v_mov_b32_e32 v1, s10
	s_xor_b64 exec, exec, s[6:7]
	s_cbranch_execz .LBB46_1990
.LBB46_4040:
	v_mov_b32_e32 v1, 0
	v_cmp_ne_u16_sdwa s[8:9], v2, v1 src0_sel:BYTE_0 src1_sel:DWORD
	s_andn2_b64 s[4:5], s[4:5], exec
	s_and_b64 s[8:9], s[8:9], exec
	s_or_b64 s[4:5], s[4:5], s[8:9]
	s_or_b64 exec, exec, s[6:7]
	s_and_saveexec_b64 s[6:7], s[4:5]
	s_cbranch_execnz .LBB46_1991
	s_branch .LBB46_1992
.LBB46_4041:
	s_movk_i32 s4, 0x80
	v_cmp_eq_u16_sdwa s[12:13], v1, s4 src0_sel:BYTE_0 src1_sel:DWORD
	s_mov_b64 s[4:5], -1
                                        ; implicit-def: $sgpr10
	s_and_saveexec_b64 s[8:9], s[12:13]
; %bb.4042:
	s_mov_b32 s10, 0x7f800001
	s_xor_b64 s[4:5], exec, -1
; %bb.4043:
	s_or_b64 exec, exec, s[8:9]
	s_and_b64 s[4:5], s[4:5], exec
	s_or_saveexec_b64 s[6:7], s[6:7]
	v_mov_b32_e32 v0, s10
	s_xor_b64 exec, exec, s[6:7]
	s_cbranch_execz .LBB46_1994
.LBB46_4044:
	v_mov_b32_e32 v0, 0
	v_cmp_ne_u16_sdwa s[8:9], v1, v0 src0_sel:BYTE_0 src1_sel:DWORD
	s_andn2_b64 s[4:5], s[4:5], exec
	s_and_b64 s[8:9], s[8:9], exec
	s_or_b64 s[4:5], s[4:5], s[8:9]
	s_or_b64 exec, exec, s[6:7]
	s_and_saveexec_b64 s[6:7], s[4:5]
	s_cbranch_execnz .LBB46_1995
	s_branch .LBB46_1996
.LBB46_4045:
	s_movk_i32 s4, 0x80
	v_cmp_eq_u16_sdwa s[12:13], v1, s4 src0_sel:BYTE_0 src1_sel:DWORD
	s_mov_b64 s[4:5], -1
                                        ; implicit-def: $sgpr10
	s_and_saveexec_b64 s[8:9], s[12:13]
; %bb.4046:
	s_mov_b32 s10, 0x7f800001
	s_xor_b64 s[4:5], exec, -1
; %bb.4047:
	s_or_b64 exec, exec, s[8:9]
	s_and_b64 s[4:5], s[4:5], exec
	s_or_saveexec_b64 s[6:7], s[6:7]
	v_mov_b32_e32 v4, s10
	s_xor_b64 exec, exec, s[6:7]
	s_cbranch_execz .LBB46_1998
.LBB46_4048:
	v_mov_b32_e32 v4, 0
	v_cmp_ne_u16_sdwa s[8:9], v1, v4 src0_sel:BYTE_0 src1_sel:DWORD
	s_andn2_b64 s[4:5], s[4:5], exec
	s_and_b64 s[8:9], s[8:9], exec
	s_or_b64 s[4:5], s[4:5], s[8:9]
	s_or_b64 exec, exec, s[6:7]
	s_and_saveexec_b64 s[6:7], s[4:5]
	s_cbranch_execnz .LBB46_1999
	s_branch .LBB46_2000
.LBB46_4049:
	s_movk_i32 s4, 0x80
	v_cmp_eq_u16_e32 vcc, s4, v1
	s_mov_b64 s[4:5], -1
                                        ; implicit-def: $sgpr10
	s_and_saveexec_b64 s[8:9], vcc
; %bb.4050:
	s_mov_b32 s10, 0x7f800001
	s_xor_b64 s[4:5], exec, -1
; %bb.4051:
	s_or_b64 exec, exec, s[8:9]
	s_and_b64 s[4:5], s[4:5], exec
                                        ; implicit-def: $vgpr1
	s_or_saveexec_b64 s[6:7], s[6:7]
	v_mov_b32_e32 v0, s10
	s_xor_b64 exec, exec, s[6:7]
	s_cbranch_execz .LBB46_2002
.LBB46_4052:
	v_cmp_ne_u16_e32 vcc, 0, v1
	s_andn2_b64 s[4:5], s[4:5], exec
	s_and_b64 s[8:9], vcc, exec
	v_mov_b32_e32 v0, 0
	s_or_b64 s[4:5], s[4:5], s[8:9]
	s_or_b64 exec, exec, s[6:7]
	s_and_saveexec_b64 s[6:7], s[4:5]
	s_cbranch_execnz .LBB46_2003
	s_branch .LBB46_2004
.LBB46_4053:
	s_movk_i32 s4, 0x80
	v_cmp_eq_u16_e32 vcc, s4, v1
	s_mov_b64 s[4:5], -1
                                        ; implicit-def: $sgpr10
	s_and_saveexec_b64 s[8:9], vcc
; %bb.4054:
	s_mov_b32 s10, 0x7f800001
	s_xor_b64 s[4:5], exec, -1
; %bb.4055:
	s_or_b64 exec, exec, s[8:9]
	s_and_b64 s[4:5], s[4:5], exec
                                        ; implicit-def: $vgpr1
	s_or_saveexec_b64 s[6:7], s[6:7]
	v_mov_b32_e32 v4, s10
	s_xor_b64 exec, exec, s[6:7]
	s_cbranch_execz .LBB46_2006
.LBB46_4056:
	v_cmp_ne_u16_e32 vcc, 0, v1
	s_andn2_b64 s[4:5], s[4:5], exec
	s_and_b64 s[8:9], vcc, exec
	v_mov_b32_e32 v4, 0
	s_or_b64 s[4:5], s[4:5], s[8:9]
	s_or_b64 exec, exec, s[6:7]
	s_and_saveexec_b64 s[6:7], s[4:5]
	s_cbranch_execnz .LBB46_2007
	s_branch .LBB46_2008
.LBB46_4057:
	s_movk_i32 s4, 0x80
	v_cmp_eq_u16_sdwa s[12:13], v6, s4 src0_sel:BYTE_3 src1_sel:DWORD
	s_mov_b64 s[4:5], -1
                                        ; implicit-def: $sgpr10
	s_and_saveexec_b64 s[8:9], s[12:13]
; %bb.4058:
	s_mov_b32 s10, 0x7f800001
	s_xor_b64 s[4:5], exec, -1
; %bb.4059:
	s_or_b64 exec, exec, s[8:9]
	s_and_b64 s[4:5], s[4:5], exec
	s_or_saveexec_b64 s[6:7], s[6:7]
	v_mov_b32_e32 v0, s10
	s_xor_b64 exec, exec, s[6:7]
	s_cbranch_execz .LBB46_2010
.LBB46_4060:
	v_mov_b32_e32 v0, 0
	v_cmp_ne_u16_sdwa s[8:9], v6, v0 src0_sel:BYTE_3 src1_sel:DWORD
	s_andn2_b64 s[4:5], s[4:5], exec
	s_and_b64 s[8:9], s[8:9], exec
	s_or_b64 s[4:5], s[4:5], s[8:9]
	s_or_b64 exec, exec, s[6:7]
	s_and_saveexec_b64 s[6:7], s[4:5]
	s_cbranch_execnz .LBB46_2011
	s_branch .LBB46_2012
.LBB46_4061:
	s_movk_i32 s4, 0x80
	v_cmp_eq_u16_sdwa s[12:13], v2, s4 src0_sel:BYTE_3 src1_sel:DWORD
	s_mov_b64 s[4:5], -1
                                        ; implicit-def: $sgpr10
	s_and_saveexec_b64 s[8:9], s[12:13]
; %bb.4062:
	s_mov_b32 s10, 0x7f800001
	s_xor_b64 s[4:5], exec, -1
; %bb.4063:
	s_or_b64 exec, exec, s[8:9]
	s_and_b64 s[4:5], s[4:5], exec
	s_or_saveexec_b64 s[6:7], s[6:7]
	v_mov_b32_e32 v1, s10
	s_xor_b64 exec, exec, s[6:7]
	s_cbranch_execz .LBB46_2014
.LBB46_4064:
	v_mov_b32_e32 v1, 0
	v_cmp_ne_u16_sdwa s[8:9], v2, v1 src0_sel:BYTE_3 src1_sel:DWORD
	s_andn2_b64 s[4:5], s[4:5], exec
	s_and_b64 s[8:9], s[8:9], exec
	s_or_b64 s[4:5], s[4:5], s[8:9]
	s_or_b64 exec, exec, s[6:7]
	s_and_saveexec_b64 s[6:7], s[4:5]
	s_cbranch_execnz .LBB46_2015
	s_branch .LBB46_2016
.LBB46_4065:
	s_movk_i32 s4, 0x80
	v_cmp_eq_u16_sdwa s[12:13], v7, s4 src0_sel:BYTE_0 src1_sel:DWORD
	s_mov_b64 s[4:5], -1
                                        ; implicit-def: $sgpr10
	s_and_saveexec_b64 s[8:9], s[12:13]
; %bb.4066:
	s_mov_b32 s10, 0x7f800001
	s_xor_b64 s[4:5], exec, -1
; %bb.4067:
	s_or_b64 exec, exec, s[8:9]
	s_and_b64 s[4:5], s[4:5], exec
	s_or_saveexec_b64 s[6:7], s[6:7]
	v_mov_b32_e32 v0, s10
	s_xor_b64 exec, exec, s[6:7]
	s_cbranch_execz .LBB46_2018
.LBB46_4068:
	v_mov_b32_e32 v0, 0
	v_cmp_ne_u16_sdwa s[8:9], v7, v0 src0_sel:BYTE_0 src1_sel:DWORD
	s_andn2_b64 s[4:5], s[4:5], exec
	s_and_b64 s[8:9], s[8:9], exec
	s_or_b64 s[4:5], s[4:5], s[8:9]
	s_or_b64 exec, exec, s[6:7]
	s_and_saveexec_b64 s[6:7], s[4:5]
	s_cbranch_execnz .LBB46_2019
	s_branch .LBB46_2020
.LBB46_4069:
	s_movk_i32 s4, 0x80
	v_cmp_eq_u16_sdwa s[12:13], v3, s4 src0_sel:BYTE_0 src1_sel:DWORD
	s_mov_b64 s[4:5], -1
                                        ; implicit-def: $sgpr10
	s_and_saveexec_b64 s[8:9], s[12:13]
; %bb.4070:
	s_mov_b32 s10, 0x7f800001
	s_xor_b64 s[4:5], exec, -1
; %bb.4071:
	s_or_b64 exec, exec, s[8:9]
	s_and_b64 s[4:5], s[4:5], exec
	s_or_saveexec_b64 s[6:7], s[6:7]
	v_mov_b32_e32 v1, s10
	s_xor_b64 exec, exec, s[6:7]
	s_cbranch_execz .LBB46_2022
.LBB46_4072:
	v_mov_b32_e32 v1, 0
	v_cmp_ne_u16_sdwa s[8:9], v3, v1 src0_sel:BYTE_0 src1_sel:DWORD
	s_andn2_b64 s[4:5], s[4:5], exec
	s_and_b64 s[8:9], s[8:9], exec
	s_or_b64 s[4:5], s[4:5], s[8:9]
	s_or_b64 exec, exec, s[6:7]
	s_and_saveexec_b64 s[6:7], s[4:5]
	s_cbranch_execnz .LBB46_2023
	s_branch .LBB46_2024
.LBB46_4073:
	s_movk_i32 s4, 0x80
	v_cmp_eq_u16_sdwa s[12:13], v1, s4 src0_sel:BYTE_0 src1_sel:DWORD
	s_mov_b64 s[4:5], -1
                                        ; implicit-def: $sgpr10
	s_and_saveexec_b64 s[8:9], s[12:13]
; %bb.4074:
	s_mov_b32 s10, 0x7f800001
	s_xor_b64 s[4:5], exec, -1
; %bb.4075:
	s_or_b64 exec, exec, s[8:9]
	s_and_b64 s[4:5], s[4:5], exec
	s_or_saveexec_b64 s[6:7], s[6:7]
	v_mov_b32_e32 v0, s10
	s_xor_b64 exec, exec, s[6:7]
	s_cbranch_execz .LBB46_2026
.LBB46_4076:
	v_mov_b32_e32 v0, 0
	v_cmp_ne_u16_sdwa s[8:9], v1, v0 src0_sel:BYTE_0 src1_sel:DWORD
	s_andn2_b64 s[4:5], s[4:5], exec
	s_and_b64 s[8:9], s[8:9], exec
	s_or_b64 s[4:5], s[4:5], s[8:9]
	s_or_b64 exec, exec, s[6:7]
	s_and_saveexec_b64 s[6:7], s[4:5]
	s_cbranch_execnz .LBB46_2027
	s_branch .LBB46_2028
.LBB46_4077:
	s_movk_i32 s4, 0x80
	v_cmp_eq_u16_sdwa s[12:13], v1, s4 src0_sel:BYTE_0 src1_sel:DWORD
	s_mov_b64 s[4:5], -1
                                        ; implicit-def: $sgpr10
	s_and_saveexec_b64 s[8:9], s[12:13]
; %bb.4078:
	s_mov_b32 s10, 0x7f800001
	s_xor_b64 s[4:5], exec, -1
; %bb.4079:
	s_or_b64 exec, exec, s[8:9]
	s_and_b64 s[4:5], s[4:5], exec
	s_or_saveexec_b64 s[6:7], s[6:7]
	v_mov_b32_e32 v2, s10
	s_xor_b64 exec, exec, s[6:7]
	s_cbranch_execz .LBB46_2030
.LBB46_4080:
	v_mov_b32_e32 v2, 0
	v_cmp_ne_u16_sdwa s[8:9], v1, v2 src0_sel:BYTE_0 src1_sel:DWORD
	s_andn2_b64 s[4:5], s[4:5], exec
	s_and_b64 s[8:9], s[8:9], exec
	s_or_b64 s[4:5], s[4:5], s[8:9]
	s_or_b64 exec, exec, s[6:7]
	s_and_saveexec_b64 s[6:7], s[4:5]
	s_cbranch_execnz .LBB46_2031
	s_branch .LBB46_2032
.LBB46_4081:
	s_movk_i32 s4, 0x80
	v_cmp_eq_u16_e32 vcc, s4, v1
	s_mov_b64 s[4:5], -1
                                        ; implicit-def: $sgpr10
	s_and_saveexec_b64 s[8:9], vcc
; %bb.4082:
	s_mov_b32 s10, 0x7f800001
	s_xor_b64 s[4:5], exec, -1
; %bb.4083:
	s_or_b64 exec, exec, s[8:9]
	s_and_b64 s[4:5], s[4:5], exec
                                        ; implicit-def: $vgpr1
	s_or_saveexec_b64 s[6:7], s[6:7]
	v_mov_b32_e32 v0, s10
	s_xor_b64 exec, exec, s[6:7]
	s_cbranch_execz .LBB46_2034
.LBB46_4084:
	v_cmp_ne_u16_e32 vcc, 0, v1
	s_andn2_b64 s[4:5], s[4:5], exec
	s_and_b64 s[8:9], vcc, exec
	v_mov_b32_e32 v0, 0
	s_or_b64 s[4:5], s[4:5], s[8:9]
	s_or_b64 exec, exec, s[6:7]
	s_and_saveexec_b64 s[6:7], s[4:5]
	s_cbranch_execnz .LBB46_2035
	s_branch .LBB46_2036
.LBB46_4085:
	s_movk_i32 s4, 0x80
	v_cmp_eq_u16_e32 vcc, s4, v1
	s_mov_b64 s[4:5], -1
                                        ; implicit-def: $sgpr10
	s_and_saveexec_b64 s[8:9], vcc
; %bb.4086:
	s_mov_b32 s10, 0x7f800001
	s_xor_b64 s[4:5], exec, -1
; %bb.4087:
	s_or_b64 exec, exec, s[8:9]
	s_and_b64 s[4:5], s[4:5], exec
                                        ; implicit-def: $vgpr1
	s_or_saveexec_b64 s[6:7], s[6:7]
	v_mov_b32_e32 v2, s10
	s_xor_b64 exec, exec, s[6:7]
	s_cbranch_execz .LBB46_2038
.LBB46_4088:
	v_cmp_ne_u16_e32 vcc, 0, v1
	s_andn2_b64 s[4:5], s[4:5], exec
	s_and_b64 s[8:9], vcc, exec
	v_mov_b32_e32 v2, 0
	s_or_b64 s[4:5], s[4:5], s[8:9]
	s_or_b64 exec, exec, s[6:7]
	s_and_saveexec_b64 s[6:7], s[4:5]
	s_cbranch_execnz .LBB46_2039
	s_branch .LBB46_2040
.LBB46_4089:
	s_movk_i32 s4, 0x80
	v_cmp_eq_u16_sdwa s[12:13], v7, s4 src0_sel:BYTE_3 src1_sel:DWORD
	s_mov_b64 s[4:5], -1
                                        ; implicit-def: $sgpr10
	s_and_saveexec_b64 s[8:9], s[12:13]
; %bb.4090:
	s_mov_b32 s10, 0x7f800001
	s_xor_b64 s[4:5], exec, -1
; %bb.4091:
	s_or_b64 exec, exec, s[8:9]
	s_and_b64 s[4:5], s[4:5], exec
	s_or_saveexec_b64 s[6:7], s[6:7]
	v_mov_b32_e32 v0, s10
	s_xor_b64 exec, exec, s[6:7]
	s_cbranch_execz .LBB46_2042
.LBB46_4092:
	v_mov_b32_e32 v0, 0
	v_cmp_ne_u16_sdwa s[8:9], v7, v0 src0_sel:BYTE_3 src1_sel:DWORD
	s_andn2_b64 s[4:5], s[4:5], exec
	s_and_b64 s[8:9], s[8:9], exec
	s_or_b64 s[4:5], s[4:5], s[8:9]
	s_or_b64 exec, exec, s[6:7]
	s_and_saveexec_b64 s[6:7], s[4:5]
	s_cbranch_execnz .LBB46_2043
	s_branch .LBB46_2044
.LBB46_4093:
	s_movk_i32 s4, 0x80
	v_cmp_eq_u16_sdwa s[12:13], v3, s4 src0_sel:BYTE_3 src1_sel:DWORD
	s_mov_b64 s[4:5], -1
                                        ; implicit-def: $sgpr10
	s_and_saveexec_b64 s[8:9], s[12:13]
; %bb.4094:
	s_mov_b32 s10, 0x7f800001
	s_xor_b64 s[4:5], exec, -1
; %bb.4095:
	s_or_b64 exec, exec, s[8:9]
	s_and_b64 s[4:5], s[4:5], exec
	s_or_saveexec_b64 s[6:7], s[6:7]
	v_mov_b32_e32 v1, s10
	s_xor_b64 exec, exec, s[6:7]
	s_cbranch_execz .LBB46_2046
.LBB46_4096:
	v_mov_b32_e32 v1, 0
	v_cmp_ne_u16_sdwa s[8:9], v3, v1 src0_sel:BYTE_3 src1_sel:DWORD
	s_andn2_b64 s[4:5], s[4:5], exec
	s_and_b64 s[8:9], s[8:9], exec
	s_or_b64 s[4:5], s[4:5], s[8:9]
	s_or_b64 exec, exec, s[6:7]
	s_and_saveexec_b64 s[6:7], s[4:5]
	s_cbranch_execnz .LBB46_2047
	s_branch .LBB46_2048
.Lfunc_end46:
	.size	_ZNK2ck6detail7applierIiJLi0ELi1ELi2ELi3ELi4ELi5ELi6ELi7EEEclIZNKS_11static_fordINS_8SequenceIJLi1ELi8EEEENS5_IJLi0ELi1EEEEEclIZZNKS_52BlockwiseGemmXdlops_pipeline_bpreshuffle_bdequant_v3ILNS_26BlockGemmPipelineSchedulerE0ELi256ENS_9f8_fnuz_tENS_7pk_i4_tESC_fNS_16TensorDescriptorINS_5TupleIJNS_5EmbedINSF_IJNS_17integral_constantIiLi8EEENSH_IiLi256EEENSH_IiLi16EEEEEENSF_IJSK_NSH_IiLi128EEENSH_IiLi1EEEEEELb0EEENS_3XorINSF_IJSJ_SI_EEELb1EEENS_11PassThroughISK_EENS_7UnMergeINSF_IJSI_SN_EEELb0EEENST_ISJ_EESU_NST_ISI_EENS_21Merge_v3_division_modINSF_IJSJ_SN_EEEEESU_EEENSF_IJNS5_IJLi0EEEENS5_IJLi2ELi1EEEENS5_IJLi3EEEENS5_IJLi5EEEENS5_IJLi4EEEENS5_IJLi6EEEENS5_IJLi7EEEENS5_IJLi9ELi8EEEENS5_IJLi10EEEEEEENSF_IJNS5_IJLi1ELi2ELi3EEEENS5_IJLi4ELi5EEEES19_NS5_IJLi7ELi8EEEENS5_IJLi9EEEES1C_NS5_IJLi11EEEENS5_IJLi12EEEENS5_IJLi13EEEEEEENS5_IJLi11ELi12ELi13EEEENSH_IlLl32768EEEEENSE_INSF_IJNSV_INSF_IJSI_SN_SN_NSH_IiLi32EEEEEELb0EEEEEENSF_IJS14_EEENSF_IJNS5_IJLi1ELi2ELi3ELi4EEEEEEES1U_NSH_IlLl256EEEEENSE_INSF_IJSP_SS_SU_SX_SY_SU_SZ_S12_SU_NS10_INSF_IJSI_SK_EEEEENSV_INSF_IJSI_NSH_IiLi2EEESK_EEELb0EEEEEENSF_IJS14_S15_S16_S17_S18_S19_S1A_S1B_S1C_NS5_IJLi11ELi13EEEES1J_EEENSF_IJS1E_S1F_S19_S1G_S1H_S1C_S1I_S1J_S1K_NS5_IJLi14EEEENS5_IJLi15ELi16ELi17EEEEEEENS5_IJLi15ELi16ELi17ELi14EEEES1N_EENSE_INSF_IJS1R_NS10_ISW_EES22_EEENSF_IJS14_NS5_IJLi1ELi3EEEENS5_IJLi2EEEEEEENSF_IJS1U_S17_NS5_IJLi6ELi7ELi8EEEEEEENS5_IJLi6ELi7ELi8ELi5EEEES1W_EELi16ELi32ELi256ELi256ELi128ELi16ELi16ELi8ELi8ELi32ELb0EE3RunILb1ELNS_10TailNumberE1ENSE_INSF_IJNSG_INSF_IJiiEEENSF_IJiSN_EEELb0EEENSV_IS2N_Lb0EEENST_IiEEEEENSF_IJS14_S2E_NS5_IJLi1EEEEEEENSF_IJNS5_IJLi1ELi2EEEENS5_IJLi3ELi4EEEES17_EEENS5_IJLi3ELi5ELi4EEEElEES1O_NS_35ThreadGroupTensorSliceTransfer_v4r1INS_15ThisThreadBlockILi256EEENS_16tensor_operation12element_wise11PassThroughES35_LNS_25InMemoryDataOperationEnumE0ENS5_IJLi8ELi256ELi16EEEENS5_IJLi8ELi32ELi1EEEENS5_IJLi1ELi0ELi2EEEESC_SC_RKS2Z_KS1O_S39_NS5_IJLi0ELi1ELi2EEEELi2ELi2ELi16ELi16ELi1ELi1ELb0ELb1ELi2EiEENS_13DynamicBufferILNS_16AddressSpaceEnumE1EKSC_lLb1ELNS_22AmdBufferCoherenceEnumE0EiEENSF_IJNS3F_ILS3G_2ESC_S1N_Lb1ELS3I_0EiEES3K_EEENSF_IJiiiEEENSE_INSF_IJNSG_INSF_IJiiiiEEENSF_IJiiiSN_EEELb0EEEEEES1T_S1V_S1U_lEENS_32ThreadwiseTensorSliceTransfer_v2ISD_SD_RKS3R_KS1X_NS5_IJLi8ELi1ELi1ELi32EEEENS5_IJLi1ELi2ELi0ELi3EEEELi3ELi32ELi0ELb1ELb0ELb0EEENS3F_ILS3G_1EKSD_lLb1ELS3I_0EiEENSF_IJNS_12StaticBufferILS3G_4ESD_Li256ELb1EEES42_EEES3N_NS_25StaticBufferTupleOfVectorILS3G_4EfLi64ELi4ELb1ELb0EEEEEvRKT1_RKT2_RT3_RKT4_RT5_RKT6_RKT7_RT8_RKT9_RT10_RKT11_RT12_iENKUlT_E0_clIS20_EEDaS51_EUlS51_E_EEvS51_EUlS51_E_EEvS51_, .Lfunc_end46-_ZNK2ck6detail7applierIiJLi0ELi1ELi2ELi3ELi4ELi5ELi6ELi7EEEclIZNKS_11static_fordINS_8SequenceIJLi1ELi8EEEENS5_IJLi0ELi1EEEEEclIZZNKS_52BlockwiseGemmXdlops_pipeline_bpreshuffle_bdequant_v3ILNS_26BlockGemmPipelineSchedulerE0ELi256ENS_9f8_fnuz_tENS_7pk_i4_tESC_fNS_16TensorDescriptorINS_5TupleIJNS_5EmbedINSF_IJNS_17integral_constantIiLi8EEENSH_IiLi256EEENSH_IiLi16EEEEEENSF_IJSK_NSH_IiLi128EEENSH_IiLi1EEEEEELb0EEENS_3XorINSF_IJSJ_SI_EEELb1EEENS_11PassThroughISK_EENS_7UnMergeINSF_IJSI_SN_EEELb0EEENST_ISJ_EESU_NST_ISI_EENS_21Merge_v3_division_modINSF_IJSJ_SN_EEEEESU_EEENSF_IJNS5_IJLi0EEEENS5_IJLi2ELi1EEEENS5_IJLi3EEEENS5_IJLi5EEEENS5_IJLi4EEEENS5_IJLi6EEEENS5_IJLi7EEEENS5_IJLi9ELi8EEEENS5_IJLi10EEEEEEENSF_IJNS5_IJLi1ELi2ELi3EEEENS5_IJLi4ELi5EEEES19_NS5_IJLi7ELi8EEEENS5_IJLi9EEEES1C_NS5_IJLi11EEEENS5_IJLi12EEEENS5_IJLi13EEEEEEENS5_IJLi11ELi12ELi13EEEENSH_IlLl32768EEEEENSE_INSF_IJNSV_INSF_IJSI_SN_SN_NSH_IiLi32EEEEEELb0EEEEEENSF_IJS14_EEENSF_IJNS5_IJLi1ELi2ELi3ELi4EEEEEEES1U_NSH_IlLl256EEEEENSE_INSF_IJSP_SS_SU_SX_SY_SU_SZ_S12_SU_NS10_INSF_IJSI_SK_EEEEENSV_INSF_IJSI_NSH_IiLi2EEESK_EEELb0EEEEEENSF_IJS14_S15_S16_S17_S18_S19_S1A_S1B_S1C_NS5_IJLi11ELi13EEEES1J_EEENSF_IJS1E_S1F_S19_S1G_S1H_S1C_S1I_S1J_S1K_NS5_IJLi14EEEENS5_IJLi15ELi16ELi17EEEEEEENS5_IJLi15ELi16ELi17ELi14EEEES1N_EENSE_INSF_IJS1R_NS10_ISW_EES22_EEENSF_IJS14_NS5_IJLi1ELi3EEEENS5_IJLi2EEEEEEENSF_IJS1U_S17_NS5_IJLi6ELi7ELi8EEEEEEENS5_IJLi6ELi7ELi8ELi5EEEES1W_EELi16ELi32ELi256ELi256ELi128ELi16ELi16ELi8ELi8ELi32ELb0EE3RunILb1ELNS_10TailNumberE1ENSE_INSF_IJNSG_INSF_IJiiEEENSF_IJiSN_EEELb0EEENSV_IS2N_Lb0EEENST_IiEEEEENSF_IJS14_S2E_NS5_IJLi1EEEEEEENSF_IJNS5_IJLi1ELi2EEEENS5_IJLi3ELi4EEEES17_EEENS5_IJLi3ELi5ELi4EEEElEES1O_NS_35ThreadGroupTensorSliceTransfer_v4r1INS_15ThisThreadBlockILi256EEENS_16tensor_operation12element_wise11PassThroughES35_LNS_25InMemoryDataOperationEnumE0ENS5_IJLi8ELi256ELi16EEEENS5_IJLi8ELi32ELi1EEEENS5_IJLi1ELi0ELi2EEEESC_SC_RKS2Z_KS1O_S39_NS5_IJLi0ELi1ELi2EEEELi2ELi2ELi16ELi16ELi1ELi1ELb0ELb1ELi2EiEENS_13DynamicBufferILNS_16AddressSpaceEnumE1EKSC_lLb1ELNS_22AmdBufferCoherenceEnumE0EiEENSF_IJNS3F_ILS3G_2ESC_S1N_Lb1ELS3I_0EiEES3K_EEENSF_IJiiiEEENSE_INSF_IJNSG_INSF_IJiiiiEEENSF_IJiiiSN_EEELb0EEEEEES1T_S1V_S1U_lEENS_32ThreadwiseTensorSliceTransfer_v2ISD_SD_RKS3R_KS1X_NS5_IJLi8ELi1ELi1ELi32EEEENS5_IJLi1ELi2ELi0ELi3EEEELi3ELi32ELi0ELb1ELb0ELb0EEENS3F_ILS3G_1EKSD_lLb1ELS3I_0EiEENSF_IJNS_12StaticBufferILS3G_4ESD_Li256ELb1EEES42_EEES3N_NS_25StaticBufferTupleOfVectorILS3G_4EfLi64ELi4ELb1ELb0EEEEEvRKT1_RKT2_RT3_RKT4_RT5_RKT6_RKT7_RT8_RKT9_RT10_RKT11_RT12_iENKUlT_E0_clIS20_EEDaS51_EUlS51_E_EEvS51_EUlS51_E_EEvS51_
                                        ; -- End function
	.section	.AMDGPU.csdata,"",@progbits
; Function info:
; codeLenInByte = 133608
; NumSgprs: 36
; NumVgprs: 26
; NumAgprs: 4
; TotalNumVgprs: 32
; ScratchSize: 0
; MemoryBound: 1
	.text
	.p2align	2                               ; -- Begin function _ZNK2ck6detail7applierIiJLi0ELi1ELi2ELi3ELi4ELi5ELi6ELi7EEEclIZNKS_11static_fordINS_8SequenceIJLi1ELi8EEEENS5_IJLi0ELi1EEEEEclIZZNKS_52BlockwiseGemmXdlops_pipeline_bpreshuffle_bdequant_v3ILNS_26BlockGemmPipelineSchedulerE0ELi256ENS_9f8_fnuz_tENS_7pk_i4_tESC_fNS_16TensorDescriptorINS_5TupleIJNS_5EmbedINSF_IJNS_17integral_constantIiLi8EEENSH_IiLi256EEENSH_IiLi16EEEEEENSF_IJSK_NSH_IiLi128EEENSH_IiLi1EEEEEELb0EEENS_3XorINSF_IJSJ_SI_EEELb1EEENS_11PassThroughISK_EENS_7UnMergeINSF_IJSI_SN_EEELb0EEENST_ISJ_EESU_NST_ISI_EENS_21Merge_v3_division_modINSF_IJSJ_SN_EEEEESU_EEENSF_IJNS5_IJLi0EEEENS5_IJLi2ELi1EEEENS5_IJLi3EEEENS5_IJLi5EEEENS5_IJLi4EEEENS5_IJLi6EEEENS5_IJLi7EEEENS5_IJLi9ELi8EEEENS5_IJLi10EEEEEEENSF_IJNS5_IJLi1ELi2ELi3EEEENS5_IJLi4ELi5EEEES19_NS5_IJLi7ELi8EEEENS5_IJLi9EEEES1C_NS5_IJLi11EEEENS5_IJLi12EEEENS5_IJLi13EEEEEEENS5_IJLi11ELi12ELi13EEEENSH_IlLl32768EEEEENSE_INSF_IJNSV_INSF_IJSI_SN_SN_NSH_IiLi32EEEEEELb0EEEEEENSF_IJS14_EEENSF_IJNS5_IJLi1ELi2ELi3ELi4EEEEEEES1U_NSH_IlLl256EEEEENSE_INSF_IJSP_SS_SU_SX_SY_SU_SZ_S12_SU_NS10_INSF_IJSI_SK_EEEEENSV_INSF_IJSI_NSH_IiLi2EEESK_EEELb0EEEEEENSF_IJS14_S15_S16_S17_S18_S19_S1A_S1B_S1C_NS5_IJLi11ELi13EEEES1J_EEENSF_IJS1E_S1F_S19_S1G_S1H_S1C_S1I_S1J_S1K_NS5_IJLi14EEEENS5_IJLi15ELi16ELi17EEEEEEENS5_IJLi15ELi16ELi17ELi14EEEES1N_EENSE_INSF_IJS1R_NS10_ISW_EES22_EEENSF_IJS14_NS5_IJLi1ELi3EEEENS5_IJLi2EEEEEEENSF_IJS1U_S17_NS5_IJLi6ELi7ELi8EEEEEEENS5_IJLi6ELi7ELi8ELi5EEEES1W_EELi16ELi32ELi256ELi256ELi128ELi16ELi16ELi8ELi8ELi32ELb0EE3RunILb1ELNS_10TailNumberE1ENSE_INSF_IJNSG_INSF_IJiiEEENSF_IJiSN_EEELb0EEENSV_IS2N_Lb0EEENST_IiEEEEENSF_IJS14_S2E_NS5_IJLi1EEEEEEENSF_IJNS5_IJLi1ELi2EEEENS5_IJLi3ELi4EEEES17_EEENS5_IJLi3ELi5ELi4EEEElEES1O_NS_35ThreadGroupTensorSliceTransfer_v4r1INS_15ThisThreadBlockILi256EEENS_16tensor_operation12element_wise11PassThroughES35_LNS_25InMemoryDataOperationEnumE0ENS5_IJLi8ELi256ELi16EEEENS5_IJLi8ELi32ELi1EEEENS5_IJLi1ELi0ELi2EEEESC_SC_RKS2Z_KS1O_S39_NS5_IJLi0ELi1ELi2EEEELi2ELi2ELi16ELi16ELi1ELi1ELb0ELb1ELi2EiEENS_13DynamicBufferILNS_16AddressSpaceEnumE1EKSC_lLb1ELNS_22AmdBufferCoherenceEnumE0EiEENSF_IJNS3F_ILS3G_2ESC_S1N_Lb1ELS3I_0EiEES3K_EEENSF_IJiiiEEENSE_INSF_IJNSG_INSF_IJiiiiEEENSF_IJiiiSN_EEELb0EEEEEES1T_S1V_S1U_lEENS_32ThreadwiseTensorSliceTransfer_v2ISD_SD_RKS3R_KS1X_NS5_IJLi8ELi1ELi1ELi32EEEENS5_IJLi1ELi2ELi0ELi3EEEELi3ELi32ELi0ELb1ELb0ELb0EEENS3F_ILS3G_1EKSD_lLb1ELS3I_0EiEENSF_IJNS_12StaticBufferILS3G_4ESD_Li256ELb1EEES42_EEES3N_NS_25StaticBufferTupleOfVectorILS3G_4EfLi64ELi4ELb1ELb0EEEEEvRKT1_RKT2_RT3_RKT4_RT5_RKT6_RKT7_RT8_RKT9_RT10_RKT11_RT12_iENKUlT_E0_clINSH_IiLi3EEEEEDaS51_EUlS51_E_EEvS51_EUlS51_E_EEvS51_
	.type	_ZNK2ck6detail7applierIiJLi0ELi1ELi2ELi3ELi4ELi5ELi6ELi7EEEclIZNKS_11static_fordINS_8SequenceIJLi1ELi8EEEENS5_IJLi0ELi1EEEEEclIZZNKS_52BlockwiseGemmXdlops_pipeline_bpreshuffle_bdequant_v3ILNS_26BlockGemmPipelineSchedulerE0ELi256ENS_9f8_fnuz_tENS_7pk_i4_tESC_fNS_16TensorDescriptorINS_5TupleIJNS_5EmbedINSF_IJNS_17integral_constantIiLi8EEENSH_IiLi256EEENSH_IiLi16EEEEEENSF_IJSK_NSH_IiLi128EEENSH_IiLi1EEEEEELb0EEENS_3XorINSF_IJSJ_SI_EEELb1EEENS_11PassThroughISK_EENS_7UnMergeINSF_IJSI_SN_EEELb0EEENST_ISJ_EESU_NST_ISI_EENS_21Merge_v3_division_modINSF_IJSJ_SN_EEEEESU_EEENSF_IJNS5_IJLi0EEEENS5_IJLi2ELi1EEEENS5_IJLi3EEEENS5_IJLi5EEEENS5_IJLi4EEEENS5_IJLi6EEEENS5_IJLi7EEEENS5_IJLi9ELi8EEEENS5_IJLi10EEEEEEENSF_IJNS5_IJLi1ELi2ELi3EEEENS5_IJLi4ELi5EEEES19_NS5_IJLi7ELi8EEEENS5_IJLi9EEEES1C_NS5_IJLi11EEEENS5_IJLi12EEEENS5_IJLi13EEEEEEENS5_IJLi11ELi12ELi13EEEENSH_IlLl32768EEEEENSE_INSF_IJNSV_INSF_IJSI_SN_SN_NSH_IiLi32EEEEEELb0EEEEEENSF_IJS14_EEENSF_IJNS5_IJLi1ELi2ELi3ELi4EEEEEEES1U_NSH_IlLl256EEEEENSE_INSF_IJSP_SS_SU_SX_SY_SU_SZ_S12_SU_NS10_INSF_IJSI_SK_EEEEENSV_INSF_IJSI_NSH_IiLi2EEESK_EEELb0EEEEEENSF_IJS14_S15_S16_S17_S18_S19_S1A_S1B_S1C_NS5_IJLi11ELi13EEEES1J_EEENSF_IJS1E_S1F_S19_S1G_S1H_S1C_S1I_S1J_S1K_NS5_IJLi14EEEENS5_IJLi15ELi16ELi17EEEEEEENS5_IJLi15ELi16ELi17ELi14EEEES1N_EENSE_INSF_IJS1R_NS10_ISW_EES22_EEENSF_IJS14_NS5_IJLi1ELi3EEEENS5_IJLi2EEEEEEENSF_IJS1U_S17_NS5_IJLi6ELi7ELi8EEEEEEENS5_IJLi6ELi7ELi8ELi5EEEES1W_EELi16ELi32ELi256ELi256ELi128ELi16ELi16ELi8ELi8ELi32ELb0EE3RunILb1ELNS_10TailNumberE1ENSE_INSF_IJNSG_INSF_IJiiEEENSF_IJiSN_EEELb0EEENSV_IS2N_Lb0EEENST_IiEEEEENSF_IJS14_S2E_NS5_IJLi1EEEEEEENSF_IJNS5_IJLi1ELi2EEEENS5_IJLi3ELi4EEEES17_EEENS5_IJLi3ELi5ELi4EEEElEES1O_NS_35ThreadGroupTensorSliceTransfer_v4r1INS_15ThisThreadBlockILi256EEENS_16tensor_operation12element_wise11PassThroughES35_LNS_25InMemoryDataOperationEnumE0ENS5_IJLi8ELi256ELi16EEEENS5_IJLi8ELi32ELi1EEEENS5_IJLi1ELi0ELi2EEEESC_SC_RKS2Z_KS1O_S39_NS5_IJLi0ELi1ELi2EEEELi2ELi2ELi16ELi16ELi1ELi1ELb0ELb1ELi2EiEENS_13DynamicBufferILNS_16AddressSpaceEnumE1EKSC_lLb1ELNS_22AmdBufferCoherenceEnumE0EiEENSF_IJNS3F_ILS3G_2ESC_S1N_Lb1ELS3I_0EiEES3K_EEENSF_IJiiiEEENSE_INSF_IJNSG_INSF_IJiiiiEEENSF_IJiiiSN_EEELb0EEEEEES1T_S1V_S1U_lEENS_32ThreadwiseTensorSliceTransfer_v2ISD_SD_RKS3R_KS1X_NS5_IJLi8ELi1ELi1ELi32EEEENS5_IJLi1ELi2ELi0ELi3EEEELi3ELi32ELi0ELb1ELb0ELb0EEENS3F_ILS3G_1EKSD_lLb1ELS3I_0EiEENSF_IJNS_12StaticBufferILS3G_4ESD_Li256ELb1EEES42_EEES3N_NS_25StaticBufferTupleOfVectorILS3G_4EfLi64ELi4ELb1ELb0EEEEEvRKT1_RKT2_RT3_RKT4_RT5_RKT6_RKT7_RT8_RKT9_RT10_RKT11_RT12_iENKUlT_E0_clINSH_IiLi3EEEEEDaS51_EUlS51_E_EEvS51_EUlS51_E_EEvS51_,@function
_ZNK2ck6detail7applierIiJLi0ELi1ELi2ELi3ELi4ELi5ELi6ELi7EEEclIZNKS_11static_fordINS_8SequenceIJLi1ELi8EEEENS5_IJLi0ELi1EEEEEclIZZNKS_52BlockwiseGemmXdlops_pipeline_bpreshuffle_bdequant_v3ILNS_26BlockGemmPipelineSchedulerE0ELi256ENS_9f8_fnuz_tENS_7pk_i4_tESC_fNS_16TensorDescriptorINS_5TupleIJNS_5EmbedINSF_IJNS_17integral_constantIiLi8EEENSH_IiLi256EEENSH_IiLi16EEEEEENSF_IJSK_NSH_IiLi128EEENSH_IiLi1EEEEEELb0EEENS_3XorINSF_IJSJ_SI_EEELb1EEENS_11PassThroughISK_EENS_7UnMergeINSF_IJSI_SN_EEELb0EEENST_ISJ_EESU_NST_ISI_EENS_21Merge_v3_division_modINSF_IJSJ_SN_EEEEESU_EEENSF_IJNS5_IJLi0EEEENS5_IJLi2ELi1EEEENS5_IJLi3EEEENS5_IJLi5EEEENS5_IJLi4EEEENS5_IJLi6EEEENS5_IJLi7EEEENS5_IJLi9ELi8EEEENS5_IJLi10EEEEEEENSF_IJNS5_IJLi1ELi2ELi3EEEENS5_IJLi4ELi5EEEES19_NS5_IJLi7ELi8EEEENS5_IJLi9EEEES1C_NS5_IJLi11EEEENS5_IJLi12EEEENS5_IJLi13EEEEEEENS5_IJLi11ELi12ELi13EEEENSH_IlLl32768EEEEENSE_INSF_IJNSV_INSF_IJSI_SN_SN_NSH_IiLi32EEEEEELb0EEEEEENSF_IJS14_EEENSF_IJNS5_IJLi1ELi2ELi3ELi4EEEEEEES1U_NSH_IlLl256EEEEENSE_INSF_IJSP_SS_SU_SX_SY_SU_SZ_S12_SU_NS10_INSF_IJSI_SK_EEEEENSV_INSF_IJSI_NSH_IiLi2EEESK_EEELb0EEEEEENSF_IJS14_S15_S16_S17_S18_S19_S1A_S1B_S1C_NS5_IJLi11ELi13EEEES1J_EEENSF_IJS1E_S1F_S19_S1G_S1H_S1C_S1I_S1J_S1K_NS5_IJLi14EEEENS5_IJLi15ELi16ELi17EEEEEEENS5_IJLi15ELi16ELi17ELi14EEEES1N_EENSE_INSF_IJS1R_NS10_ISW_EES22_EEENSF_IJS14_NS5_IJLi1ELi3EEEENS5_IJLi2EEEEEEENSF_IJS1U_S17_NS5_IJLi6ELi7ELi8EEEEEEENS5_IJLi6ELi7ELi8ELi5EEEES1W_EELi16ELi32ELi256ELi256ELi128ELi16ELi16ELi8ELi8ELi32ELb0EE3RunILb1ELNS_10TailNumberE1ENSE_INSF_IJNSG_INSF_IJiiEEENSF_IJiSN_EEELb0EEENSV_IS2N_Lb0EEENST_IiEEEEENSF_IJS14_S2E_NS5_IJLi1EEEEEEENSF_IJNS5_IJLi1ELi2EEEENS5_IJLi3ELi4EEEES17_EEENS5_IJLi3ELi5ELi4EEEElEES1O_NS_35ThreadGroupTensorSliceTransfer_v4r1INS_15ThisThreadBlockILi256EEENS_16tensor_operation12element_wise11PassThroughES35_LNS_25InMemoryDataOperationEnumE0ENS5_IJLi8ELi256ELi16EEEENS5_IJLi8ELi32ELi1EEEENS5_IJLi1ELi0ELi2EEEESC_SC_RKS2Z_KS1O_S39_NS5_IJLi0ELi1ELi2EEEELi2ELi2ELi16ELi16ELi1ELi1ELb0ELb1ELi2EiEENS_13DynamicBufferILNS_16AddressSpaceEnumE1EKSC_lLb1ELNS_22AmdBufferCoherenceEnumE0EiEENSF_IJNS3F_ILS3G_2ESC_S1N_Lb1ELS3I_0EiEES3K_EEENSF_IJiiiEEENSE_INSF_IJNSG_INSF_IJiiiiEEENSF_IJiiiSN_EEELb0EEEEEES1T_S1V_S1U_lEENS_32ThreadwiseTensorSliceTransfer_v2ISD_SD_RKS3R_KS1X_NS5_IJLi8ELi1ELi1ELi32EEEENS5_IJLi1ELi2ELi0ELi3EEEELi3ELi32ELi0ELb1ELb0ELb0EEENS3F_ILS3G_1EKSD_lLb1ELS3I_0EiEENSF_IJNS_12StaticBufferILS3G_4ESD_Li256ELb1EEES42_EEES3N_NS_25StaticBufferTupleOfVectorILS3G_4EfLi64ELi4ELb1ELb0EEEEEvRKT1_RKT2_RT3_RKT4_RT5_RKT6_RKT7_RT8_RKT9_RT10_RKT11_RT12_iENKUlT_E0_clINSH_IiLi3EEEEEDaS51_EUlS51_E_EEvS51_EUlS51_E_EEvS51_: ; @_ZNK2ck6detail7applierIiJLi0ELi1ELi2ELi3ELi4ELi5ELi6ELi7EEEclIZNKS_11static_fordINS_8SequenceIJLi1ELi8EEEENS5_IJLi0ELi1EEEEEclIZZNKS_52BlockwiseGemmXdlops_pipeline_bpreshuffle_bdequant_v3ILNS_26BlockGemmPipelineSchedulerE0ELi256ENS_9f8_fnuz_tENS_7pk_i4_tESC_fNS_16TensorDescriptorINS_5TupleIJNS_5EmbedINSF_IJNS_17integral_constantIiLi8EEENSH_IiLi256EEENSH_IiLi16EEEEEENSF_IJSK_NSH_IiLi128EEENSH_IiLi1EEEEEELb0EEENS_3XorINSF_IJSJ_SI_EEELb1EEENS_11PassThroughISK_EENS_7UnMergeINSF_IJSI_SN_EEELb0EEENST_ISJ_EESU_NST_ISI_EENS_21Merge_v3_division_modINSF_IJSJ_SN_EEEEESU_EEENSF_IJNS5_IJLi0EEEENS5_IJLi2ELi1EEEENS5_IJLi3EEEENS5_IJLi5EEEENS5_IJLi4EEEENS5_IJLi6EEEENS5_IJLi7EEEENS5_IJLi9ELi8EEEENS5_IJLi10EEEEEEENSF_IJNS5_IJLi1ELi2ELi3EEEENS5_IJLi4ELi5EEEES19_NS5_IJLi7ELi8EEEENS5_IJLi9EEEES1C_NS5_IJLi11EEEENS5_IJLi12EEEENS5_IJLi13EEEEEEENS5_IJLi11ELi12ELi13EEEENSH_IlLl32768EEEEENSE_INSF_IJNSV_INSF_IJSI_SN_SN_NSH_IiLi32EEEEEELb0EEEEEENSF_IJS14_EEENSF_IJNS5_IJLi1ELi2ELi3ELi4EEEEEEES1U_NSH_IlLl256EEEEENSE_INSF_IJSP_SS_SU_SX_SY_SU_SZ_S12_SU_NS10_INSF_IJSI_SK_EEEEENSV_INSF_IJSI_NSH_IiLi2EEESK_EEELb0EEEEEENSF_IJS14_S15_S16_S17_S18_S19_S1A_S1B_S1C_NS5_IJLi11ELi13EEEES1J_EEENSF_IJS1E_S1F_S19_S1G_S1H_S1C_S1I_S1J_S1K_NS5_IJLi14EEEENS5_IJLi15ELi16ELi17EEEEEEENS5_IJLi15ELi16ELi17ELi14EEEES1N_EENSE_INSF_IJS1R_NS10_ISW_EES22_EEENSF_IJS14_NS5_IJLi1ELi3EEEENS5_IJLi2EEEEEEENSF_IJS1U_S17_NS5_IJLi6ELi7ELi8EEEEEEENS5_IJLi6ELi7ELi8ELi5EEEES1W_EELi16ELi32ELi256ELi256ELi128ELi16ELi16ELi8ELi8ELi32ELb0EE3RunILb1ELNS_10TailNumberE1ENSE_INSF_IJNSG_INSF_IJiiEEENSF_IJiSN_EEELb0EEENSV_IS2N_Lb0EEENST_IiEEEEENSF_IJS14_S2E_NS5_IJLi1EEEEEEENSF_IJNS5_IJLi1ELi2EEEENS5_IJLi3ELi4EEEES17_EEENS5_IJLi3ELi5ELi4EEEElEES1O_NS_35ThreadGroupTensorSliceTransfer_v4r1INS_15ThisThreadBlockILi256EEENS_16tensor_operation12element_wise11PassThroughES35_LNS_25InMemoryDataOperationEnumE0ENS5_IJLi8ELi256ELi16EEEENS5_IJLi8ELi32ELi1EEEENS5_IJLi1ELi0ELi2EEEESC_SC_RKS2Z_KS1O_S39_NS5_IJLi0ELi1ELi2EEEELi2ELi2ELi16ELi16ELi1ELi1ELb0ELb1ELi2EiEENS_13DynamicBufferILNS_16AddressSpaceEnumE1EKSC_lLb1ELNS_22AmdBufferCoherenceEnumE0EiEENSF_IJNS3F_ILS3G_2ESC_S1N_Lb1ELS3I_0EiEES3K_EEENSF_IJiiiEEENSE_INSF_IJNSG_INSF_IJiiiiEEENSF_IJiiiSN_EEELb0EEEEEES1T_S1V_S1U_lEENS_32ThreadwiseTensorSliceTransfer_v2ISD_SD_RKS3R_KS1X_NS5_IJLi8ELi1ELi1ELi32EEEENS5_IJLi1ELi2ELi0ELi3EEEELi3ELi32ELi0ELb1ELb0ELb0EEENS3F_ILS3G_1EKSD_lLb1ELS3I_0EiEENSF_IJNS_12StaticBufferILS3G_4ESD_Li256ELb1EEES42_EEES3N_NS_25StaticBufferTupleOfVectorILS3G_4EfLi64ELi4ELb1ELb0EEEEEvRKT1_RKT2_RT3_RKT4_RT5_RKT6_RKT7_RT8_RKT9_RT10_RKT11_RT12_iENKUlT_E0_clINSH_IiLi3EEEEEDaS51_EUlS51_E_EEvS51_EUlS51_E_EEvS51_
; %bb.0:
	s_waitcnt vmcnt(0) expcnt(0) lgkmcnt(0)
	flat_load_dwordx4 v[20:23], v[0:1] offset:8
	flat_load_dwordx2 v[18:19], v[0:1] offset:24
	s_movk_i32 s4, 0x7f
                                        ; implicit-def: $sgpr10
	s_waitcnt vmcnt(0) lgkmcnt(0)
	flat_load_dwordx4 v[14:17], v[20:21] offset:32
	flat_load_dwordx4 v[6:9], v[20:21] offset:48
	flat_load_dwordx4 v[10:13], v[22:23]
	flat_load_dwordx4 v[2:5], v[22:23] offset:16
	s_waitcnt vmcnt(0) lgkmcnt(0)
	v_cmp_gt_i16_sdwa s[6:7], v14, s4 src0_sel:BYTE_0 src1_sel:DWORD
	s_mov_b64 s[4:5], 0
	s_and_saveexec_b64 s[8:9], s[6:7]
	s_xor_b64 s[6:7], exec, s[8:9]
	s_cbranch_execnz .LBB47_2049
; %bb.1:
	s_or_saveexec_b64 s[6:7], s[6:7]
	v_mov_b32_e32 v20, s10
	s_xor_b64 exec, exec, s[6:7]
	s_cbranch_execnz .LBB47_2052
.LBB47_2:
	s_or_b64 exec, exec, s[6:7]
	s_and_saveexec_b64 s[6:7], s[4:5]
	s_cbranch_execz .LBB47_4
.LBB47_3:
	v_and_b32_e32 v20, 7, v14
	v_ffbh_u32_e32 v22, v20
	v_min_u32_e32 v22, 32, v22
	v_lshrrev_b16_e32 v21, 3, v14
	v_subrev_u32_e32 v23, 28, v22
	v_and_b32_e32 v21, 15, v21
	v_lshlrev_b32_e32 v23, v23, v14
	v_sub_u32_e32 v22, 29, v22
	v_and_b32_e32 v23, 7, v23
	v_cmp_eq_u16_e32 vcc, 0, v21
	v_cndmask_b32_e32 v20, v20, v23, vcc
	v_cndmask_b32_e32 v21, v21, v22, vcc
	v_lshlrev_b32_e32 v22, 24, v14
	v_mov_b32_e32 v23, 0x3b800000
	v_lshlrev_b32_e32 v20, 20, v20
	v_and_b32_e32 v22, 0x80000000, v22
	v_lshl_add_u32 v21, v21, 23, v23
	v_or3_b32 v20, v22, v21, v20
.LBB47_4:
	s_or_b64 exec, exec, s[6:7]
	s_movk_i32 s4, 0x7f
	v_cmp_gt_i16_sdwa s[6:7], v10, s4 src0_sel:BYTE_0 src1_sel:DWORD
	s_mov_b64 s[4:5], 0
                                        ; implicit-def: $sgpr10
	s_and_saveexec_b64 s[8:9], s[6:7]
	s_xor_b64 s[6:7], exec, s[8:9]
	s_cbranch_execnz .LBB47_2053
; %bb.5:
	s_or_saveexec_b64 s[6:7], s[6:7]
	v_mov_b32_e32 v21, s10
	s_xor_b64 exec, exec, s[6:7]
	s_cbranch_execnz .LBB47_2056
.LBB47_6:
	s_or_b64 exec, exec, s[6:7]
	s_and_saveexec_b64 s[6:7], s[4:5]
	s_cbranch_execz .LBB47_8
.LBB47_7:
	v_and_b32_e32 v21, 7, v10
	v_ffbh_u32_e32 v23, v21
	v_min_u32_e32 v23, 32, v23
	v_lshrrev_b16_e32 v22, 3, v10
	v_subrev_u32_e32 v24, 28, v23
	v_and_b32_e32 v22, 15, v22
	v_lshlrev_b32_e32 v24, v24, v10
	v_sub_u32_e32 v23, 29, v23
	v_and_b32_e32 v24, 7, v24
	v_cmp_eq_u16_e32 vcc, 0, v22
	v_cndmask_b32_e32 v21, v21, v24, vcc
	v_cndmask_b32_e32 v22, v22, v23, vcc
	v_lshlrev_b32_e32 v23, 24, v10
	v_mov_b32_e32 v24, 0x3b800000
	v_lshlrev_b32_e32 v21, 20, v21
	v_and_b32_e32 v23, 0x80000000, v23
	v_lshl_add_u32 v22, v22, 23, v24
	v_or3_b32 v21, v23, v22, v21
.LBB47_8:
	s_or_b64 exec, exec, s[6:7]
	flat_load_dwordx4 a[0:3], v[18:19] offset:384
	s_movk_i32 s4, 0x7f
                                        ; implicit-def: $sgpr10
	s_waitcnt vmcnt(0) lgkmcnt(0)
	v_mfma_f32_16x16x4f32 a[0:3], v20, v21, a[0:3]
	v_lshrrev_b32_e32 v21, 8, v14
	v_cmp_gt_i16_sdwa s[6:7], v21, s4 src0_sel:BYTE_0 src1_sel:DWORD
	s_mov_b64 s[4:5], 0
	s_and_saveexec_b64 s[8:9], s[6:7]
	s_xor_b64 s[6:7], exec, s[8:9]
	s_cbranch_execnz .LBB47_2057
; %bb.9:
	s_or_saveexec_b64 s[6:7], s[6:7]
	v_mov_b32_e32 v20, s10
	s_xor_b64 exec, exec, s[6:7]
	s_cbranch_execnz .LBB47_2060
.LBB47_10:
	s_or_b64 exec, exec, s[6:7]
	s_and_saveexec_b64 s[6:7], s[4:5]
	s_cbranch_execz .LBB47_12
.LBB47_11:
	v_bfe_u32 v20, v14, 8, 3
	v_ffbh_u32_e32 v23, v20
	v_min_u32_e32 v23, 32, v23
	v_lshrrev_b16_e32 v22, 3, v21
	v_subrev_u32_e32 v24, 28, v23
	v_and_b32_e32 v22, 15, v22
	v_lshlrev_b32_e32 v21, v24, v21
	v_sub_u32_e32 v23, 29, v23
	v_and_b32_e32 v21, 7, v21
	v_cmp_eq_u16_e32 vcc, 0, v22
	v_cndmask_b32_e32 v20, v20, v21, vcc
	v_cndmask_b32_e32 v21, v22, v23, vcc
	v_lshlrev_b32_e32 v22, 16, v14
	v_mov_b32_e32 v23, 0x3b800000
	v_lshlrev_b32_e32 v20, 20, v20
	v_and_b32_e32 v22, 0x80000000, v22
	v_lshl_add_u32 v21, v21, 23, v23
	v_or3_b32 v20, v22, v21, v20
.LBB47_12:
	s_or_b64 exec, exec, s[6:7]
	v_lshrrev_b32_e32 v21, 8, v10
	s_movk_i32 s4, 0x7f
	v_cmp_gt_i16_sdwa s[6:7], v21, s4 src0_sel:BYTE_0 src1_sel:DWORD
	s_mov_b64 s[4:5], 0
                                        ; implicit-def: $sgpr10
	s_and_saveexec_b64 s[8:9], s[6:7]
	s_xor_b64 s[6:7], exec, s[8:9]
	s_cbranch_execnz .LBB47_2061
; %bb.13:
	s_or_saveexec_b64 s[6:7], s[6:7]
	v_mov_b32_e32 v22, s10
	s_xor_b64 exec, exec, s[6:7]
	s_cbranch_execnz .LBB47_2064
.LBB47_14:
	s_or_b64 exec, exec, s[6:7]
	s_and_saveexec_b64 s[6:7], s[4:5]
	s_cbranch_execz .LBB47_16
.LBB47_15:
	v_bfe_u32 v22, v10, 8, 3
	v_ffbh_u32_e32 v24, v22
	v_min_u32_e32 v24, 32, v24
	v_lshrrev_b16_e32 v23, 3, v21
	v_subrev_u32_e32 v25, 28, v24
	v_and_b32_e32 v23, 15, v23
	v_lshlrev_b32_e32 v21, v25, v21
	v_sub_u32_e32 v24, 29, v24
	v_and_b32_e32 v21, 7, v21
	v_cmp_eq_u16_e32 vcc, 0, v23
	v_cndmask_b32_e32 v21, v22, v21, vcc
	v_cndmask_b32_e32 v22, v23, v24, vcc
	v_lshlrev_b32_e32 v23, 16, v10
	v_mov_b32_e32 v24, 0x3b800000
	v_lshlrev_b32_e32 v21, 20, v21
	v_and_b32_e32 v23, 0x80000000, v23
	v_lshl_add_u32 v22, v22, 23, v24
	v_or3_b32 v22, v23, v22, v21
.LBB47_16:
	s_or_b64 exec, exec, s[6:7]
	s_nop 0
	v_mfma_f32_16x16x4f32 a[0:3], v20, v22, a[0:3]
	s_movk_i32 s4, 0xff
	v_and_b32_sdwa v21, v14, s4 dst_sel:DWORD dst_unused:UNUSED_PAD src0_sel:WORD_1 src1_sel:DWORD
	s_movk_i32 s4, 0x7f
	v_cmp_lt_i16_e32 vcc, s4, v21
	s_mov_b64 s[4:5], 0
                                        ; implicit-def: $sgpr10
	s_and_saveexec_b64 s[6:7], vcc
	s_xor_b64 s[6:7], exec, s[6:7]
	s_cbranch_execnz .LBB47_2065
; %bb.17:
	s_or_saveexec_b64 s[6:7], s[6:7]
	v_mov_b32_e32 v20, s10
	s_xor_b64 exec, exec, s[6:7]
	s_cbranch_execnz .LBB47_2068
.LBB47_18:
	s_or_b64 exec, exec, s[6:7]
	s_and_saveexec_b64 s[6:7], s[4:5]
	s_cbranch_execz .LBB47_20
.LBB47_19:
	v_bfe_u32 v20, v14, 16, 3
	v_ffbh_u32_e32 v23, v20
	v_min_u32_e32 v23, 32, v23
	v_lshrrev_b32_e32 v21, 19, v14
	v_subrev_u32_e32 v24, 28, v23
	v_and_b32_e32 v21, 15, v21
	v_lshlrev_b32_sdwa v24, v24, v14 dst_sel:DWORD dst_unused:UNUSED_PAD src0_sel:DWORD src1_sel:WORD_1
	v_bfe_u32 v22, v14, 19, 4
	v_sub_u32_e32 v23, 29, v23
	v_and_b32_e32 v24, 7, v24
	v_cmp_eq_u16_e32 vcc, 0, v21
	v_cndmask_b32_e32 v20, v20, v24, vcc
	v_cndmask_b32_e32 v21, v22, v23, vcc
	v_lshlrev_b32_e32 v22, 8, v14
	v_mov_b32_e32 v23, 0x3b800000
	v_lshlrev_b32_e32 v20, 20, v20
	v_and_b32_e32 v22, 0x80000000, v22
	v_lshl_add_u32 v21, v21, 23, v23
	v_or3_b32 v20, v22, v21, v20
.LBB47_20:
	s_or_b64 exec, exec, s[6:7]
	s_movk_i32 s4, 0xff
	v_and_b32_sdwa v21, v10, s4 dst_sel:DWORD dst_unused:UNUSED_PAD src0_sel:WORD_1 src1_sel:DWORD
	s_movk_i32 s4, 0x7f
	v_cmp_lt_i16_e32 vcc, s4, v21
	s_mov_b64 s[4:5], 0
                                        ; implicit-def: $sgpr10
	s_and_saveexec_b64 s[6:7], vcc
	s_xor_b64 s[6:7], exec, s[6:7]
	s_cbranch_execnz .LBB47_2069
; %bb.21:
	s_or_saveexec_b64 s[6:7], s[6:7]
	v_mov_b32_e32 v22, s10
	s_xor_b64 exec, exec, s[6:7]
	s_cbranch_execnz .LBB47_2072
.LBB47_22:
	s_or_b64 exec, exec, s[6:7]
	s_and_saveexec_b64 s[6:7], s[4:5]
	s_cbranch_execz .LBB47_24
.LBB47_23:
	v_bfe_u32 v21, v10, 16, 3
	v_ffbh_u32_e32 v24, v21
	v_min_u32_e32 v24, 32, v24
	v_lshrrev_b32_e32 v22, 19, v10
	v_subrev_u32_e32 v25, 28, v24
	v_and_b32_e32 v22, 15, v22
	v_lshlrev_b32_sdwa v25, v25, v10 dst_sel:DWORD dst_unused:UNUSED_PAD src0_sel:DWORD src1_sel:WORD_1
	v_bfe_u32 v23, v10, 19, 4
	v_sub_u32_e32 v24, 29, v24
	v_and_b32_e32 v25, 7, v25
	v_cmp_eq_u16_e32 vcc, 0, v22
	v_cndmask_b32_e32 v21, v21, v25, vcc
	v_cndmask_b32_e32 v22, v23, v24, vcc
	v_lshlrev_b32_e32 v23, 8, v10
	v_mov_b32_e32 v24, 0x3b800000
	v_lshlrev_b32_e32 v21, 20, v21
	v_and_b32_e32 v23, 0x80000000, v23
	v_lshl_add_u32 v22, v22, 23, v24
	v_or3_b32 v22, v23, v22, v21
.LBB47_24:
	s_or_b64 exec, exec, s[6:7]
	s_nop 0
	v_mfma_f32_16x16x4f32 a[0:3], v20, v22, a[0:3]
	s_movk_i32 s4, 0x7f
	v_cmp_gt_i16_sdwa s[6:7], v14, s4 src0_sel:BYTE_3 src1_sel:DWORD
	s_mov_b64 s[4:5], 0
                                        ; implicit-def: $sgpr10
	s_and_saveexec_b64 s[8:9], s[6:7]
	s_xor_b64 s[6:7], exec, s[8:9]
	s_cbranch_execnz .LBB47_2073
; %bb.25:
	s_or_saveexec_b64 s[6:7], s[6:7]
	v_mov_b32_e32 v20, s10
	s_xor_b64 exec, exec, s[6:7]
	s_cbranch_execnz .LBB47_2076
.LBB47_26:
	s_or_b64 exec, exec, s[6:7]
	s_and_saveexec_b64 s[6:7], s[4:5]
	s_cbranch_execz .LBB47_28
.LBB47_27:
	v_bfe_u32 v20, v14, 24, 3
	v_ffbh_u32_e32 v24, v20
	v_min_u32_e32 v24, 32, v24
	v_lshrrev_b32_e32 v22, 27, v14
	v_subrev_u32_e32 v25, 28, v24
	v_and_b32_e32 v21, 0x80000000, v14
	v_and_b32_e32 v22, 15, v22
	v_bfe_u32 v23, v14, 27, 4
	v_lshlrev_b32_sdwa v14, v25, v14 dst_sel:DWORD dst_unused:UNUSED_PAD src0_sel:DWORD src1_sel:BYTE_3
	v_sub_u32_e32 v24, 29, v24
	v_and_b32_e32 v14, 7, v14
	v_cmp_eq_u16_e32 vcc, 0, v22
	v_cndmask_b32_e32 v14, v20, v14, vcc
	v_cndmask_b32_e32 v20, v23, v24, vcc
	v_mov_b32_e32 v22, 0x3b800000
	v_lshlrev_b32_e32 v14, 20, v14
	v_lshl_add_u32 v20, v20, 23, v22
	v_or3_b32 v20, v21, v20, v14
.LBB47_28:
	s_or_b64 exec, exec, s[6:7]
	s_movk_i32 s4, 0x7f
	v_cmp_gt_i16_sdwa s[6:7], v10, s4 src0_sel:BYTE_3 src1_sel:DWORD
	s_mov_b64 s[4:5], 0
                                        ; implicit-def: $sgpr10
	s_and_saveexec_b64 s[8:9], s[6:7]
	s_xor_b64 s[6:7], exec, s[8:9]
	s_cbranch_execnz .LBB47_2077
; %bb.29:
	s_or_saveexec_b64 s[6:7], s[6:7]
	v_mov_b32_e32 v14, s10
	s_xor_b64 exec, exec, s[6:7]
	s_cbranch_execnz .LBB47_2080
.LBB47_30:
	s_or_b64 exec, exec, s[6:7]
	s_and_saveexec_b64 s[6:7], s[4:5]
	s_cbranch_execz .LBB47_32
.LBB47_31:
	v_bfe_u32 v14, v10, 24, 3
	v_ffbh_u32_e32 v24, v14
	v_min_u32_e32 v24, 32, v24
	v_lshrrev_b32_e32 v22, 27, v10
	v_subrev_u32_e32 v25, 28, v24
	v_and_b32_e32 v21, 0x80000000, v10
	v_and_b32_e32 v22, 15, v22
	v_bfe_u32 v23, v10, 27, 4
	v_lshlrev_b32_sdwa v10, v25, v10 dst_sel:DWORD dst_unused:UNUSED_PAD src0_sel:DWORD src1_sel:BYTE_3
	v_sub_u32_e32 v24, 29, v24
	v_and_b32_e32 v10, 7, v10
	v_cmp_eq_u16_e32 vcc, 0, v22
	v_cndmask_b32_e32 v10, v14, v10, vcc
	v_cndmask_b32_e32 v14, v23, v24, vcc
	v_mov_b32_e32 v22, 0x3b800000
	v_lshlrev_b32_e32 v10, 20, v10
	v_lshl_add_u32 v14, v14, 23, v22
	v_or3_b32 v14, v21, v14, v10
.LBB47_32:
	s_or_b64 exec, exec, s[6:7]
	s_nop 0
	v_mfma_f32_16x16x4f32 a[0:3], v20, v14, a[0:3]
	s_movk_i32 s4, 0x7f
	v_cmp_gt_i16_sdwa s[6:7], v15, s4 src0_sel:BYTE_0 src1_sel:DWORD
	s_mov_b64 s[4:5], 0
                                        ; implicit-def: $sgpr10
	s_and_saveexec_b64 s[8:9], s[6:7]
	s_xor_b64 s[6:7], exec, s[8:9]
	s_cbranch_execnz .LBB47_2081
; %bb.33:
	s_or_saveexec_b64 s[6:7], s[6:7]
	v_mov_b32_e32 v10, s10
	s_xor_b64 exec, exec, s[6:7]
	s_cbranch_execnz .LBB47_2084
.LBB47_34:
	s_or_b64 exec, exec, s[6:7]
	s_and_saveexec_b64 s[6:7], s[4:5]
	s_cbranch_execz .LBB47_36
.LBB47_35:
	v_and_b32_e32 v10, 7, v15
	v_ffbh_u32_e32 v20, v10
	v_min_u32_e32 v20, 32, v20
	v_lshrrev_b16_e32 v14, 3, v15
	v_subrev_u32_e32 v21, 28, v20
	v_and_b32_e32 v14, 15, v14
	v_lshlrev_b32_e32 v21, v21, v15
	v_sub_u32_e32 v20, 29, v20
	v_and_b32_e32 v21, 7, v21
	v_cmp_eq_u16_e32 vcc, 0, v14
	v_cndmask_b32_e32 v10, v10, v21, vcc
	v_cndmask_b32_e32 v14, v14, v20, vcc
	v_lshlrev_b32_e32 v20, 24, v15
	v_mov_b32_e32 v21, 0x3b800000
	v_lshlrev_b32_e32 v10, 20, v10
	v_and_b32_e32 v20, 0x80000000, v20
	v_lshl_add_u32 v14, v14, 23, v21
	v_or3_b32 v10, v20, v14, v10
.LBB47_36:
	s_or_b64 exec, exec, s[6:7]
	s_movk_i32 s4, 0x7f
	v_cmp_gt_i16_sdwa s[6:7], v11, s4 src0_sel:BYTE_0 src1_sel:DWORD
	s_mov_b64 s[4:5], 0
                                        ; implicit-def: $sgpr10
	s_and_saveexec_b64 s[8:9], s[6:7]
	s_xor_b64 s[6:7], exec, s[8:9]
	s_cbranch_execnz .LBB47_2085
; %bb.37:
	s_or_saveexec_b64 s[6:7], s[6:7]
	v_mov_b32_e32 v14, s10
	s_xor_b64 exec, exec, s[6:7]
	s_cbranch_execnz .LBB47_2088
.LBB47_38:
	s_or_b64 exec, exec, s[6:7]
	s_and_saveexec_b64 s[6:7], s[4:5]
	s_cbranch_execz .LBB47_40
.LBB47_39:
	v_and_b32_e32 v14, 7, v11
	v_ffbh_u32_e32 v21, v14
	v_min_u32_e32 v21, 32, v21
	v_lshrrev_b16_e32 v20, 3, v11
	v_subrev_u32_e32 v22, 28, v21
	v_and_b32_e32 v20, 15, v20
	v_lshlrev_b32_e32 v22, v22, v11
	v_sub_u32_e32 v21, 29, v21
	v_and_b32_e32 v22, 7, v22
	v_cmp_eq_u16_e32 vcc, 0, v20
	v_cndmask_b32_e32 v14, v14, v22, vcc
	v_cndmask_b32_e32 v20, v20, v21, vcc
	v_lshlrev_b32_e32 v21, 24, v11
	v_mov_b32_e32 v22, 0x3b800000
	v_lshlrev_b32_e32 v14, 20, v14
	v_and_b32_e32 v21, 0x80000000, v21
	v_lshl_add_u32 v20, v20, 23, v22
	v_or3_b32 v14, v21, v20, v14
.LBB47_40:
	s_or_b64 exec, exec, s[6:7]
	s_nop 0
	v_mfma_f32_16x16x4f32 a[0:3], v10, v14, a[0:3]
	v_lshrrev_b32_e32 v14, 8, v15
	s_movk_i32 s4, 0x7f
	v_cmp_gt_i16_sdwa s[6:7], v14, s4 src0_sel:BYTE_0 src1_sel:DWORD
	s_mov_b64 s[4:5], 0
                                        ; implicit-def: $sgpr10
	s_and_saveexec_b64 s[8:9], s[6:7]
	s_xor_b64 s[6:7], exec, s[8:9]
	s_cbranch_execnz .LBB47_2089
; %bb.41:
	s_or_saveexec_b64 s[6:7], s[6:7]
	v_mov_b32_e32 v10, s10
	s_xor_b64 exec, exec, s[6:7]
	s_cbranch_execnz .LBB47_2092
.LBB47_42:
	s_or_b64 exec, exec, s[6:7]
	s_and_saveexec_b64 s[6:7], s[4:5]
	s_cbranch_execz .LBB47_44
.LBB47_43:
	v_bfe_u32 v10, v15, 8, 3
	v_ffbh_u32_e32 v21, v10
	v_min_u32_e32 v21, 32, v21
	v_lshrrev_b16_e32 v20, 3, v14
	v_subrev_u32_e32 v22, 28, v21
	v_and_b32_e32 v20, 15, v20
	v_lshlrev_b32_e32 v14, v22, v14
	v_sub_u32_e32 v21, 29, v21
	v_and_b32_e32 v14, 7, v14
	v_cmp_eq_u16_e32 vcc, 0, v20
	v_cndmask_b32_e32 v10, v10, v14, vcc
	v_cndmask_b32_e32 v14, v20, v21, vcc
	v_lshlrev_b32_e32 v20, 16, v15
	v_mov_b32_e32 v21, 0x3b800000
	v_lshlrev_b32_e32 v10, 20, v10
	v_and_b32_e32 v20, 0x80000000, v20
	v_lshl_add_u32 v14, v14, 23, v21
	v_or3_b32 v10, v20, v14, v10
.LBB47_44:
	s_or_b64 exec, exec, s[6:7]
	v_lshrrev_b32_e32 v14, 8, v11
	s_movk_i32 s4, 0x7f
	v_cmp_gt_i16_sdwa s[6:7], v14, s4 src0_sel:BYTE_0 src1_sel:DWORD
	s_mov_b64 s[4:5], 0
                                        ; implicit-def: $sgpr10
	s_and_saveexec_b64 s[8:9], s[6:7]
	s_xor_b64 s[6:7], exec, s[8:9]
	s_cbranch_execnz .LBB47_2093
; %bb.45:
	s_or_saveexec_b64 s[6:7], s[6:7]
	v_mov_b32_e32 v20, s10
	s_xor_b64 exec, exec, s[6:7]
	s_cbranch_execnz .LBB47_2096
.LBB47_46:
	s_or_b64 exec, exec, s[6:7]
	s_and_saveexec_b64 s[6:7], s[4:5]
	s_cbranch_execz .LBB47_48
.LBB47_47:
	v_bfe_u32 v20, v11, 8, 3
	v_ffbh_u32_e32 v22, v20
	v_min_u32_e32 v22, 32, v22
	v_lshrrev_b16_e32 v21, 3, v14
	v_subrev_u32_e32 v23, 28, v22
	v_and_b32_e32 v21, 15, v21
	v_lshlrev_b32_e32 v14, v23, v14
	v_sub_u32_e32 v22, 29, v22
	v_and_b32_e32 v14, 7, v14
	v_cmp_eq_u16_e32 vcc, 0, v21
	v_cndmask_b32_e32 v14, v20, v14, vcc
	v_cndmask_b32_e32 v20, v21, v22, vcc
	v_lshlrev_b32_e32 v21, 16, v11
	v_mov_b32_e32 v22, 0x3b800000
	v_lshlrev_b32_e32 v14, 20, v14
	v_and_b32_e32 v21, 0x80000000, v21
	v_lshl_add_u32 v20, v20, 23, v22
	v_or3_b32 v20, v21, v20, v14
.LBB47_48:
	s_or_b64 exec, exec, s[6:7]
	s_nop 0
	v_mfma_f32_16x16x4f32 a[0:3], v10, v20, a[0:3]
	s_movk_i32 s4, 0xff
	v_and_b32_sdwa v14, v15, s4 dst_sel:DWORD dst_unused:UNUSED_PAD src0_sel:WORD_1 src1_sel:DWORD
	s_movk_i32 s4, 0x7f
	v_cmp_lt_i16_e32 vcc, s4, v14
	s_mov_b64 s[4:5], 0
                                        ; implicit-def: $sgpr10
	s_and_saveexec_b64 s[6:7], vcc
	s_xor_b64 s[6:7], exec, s[6:7]
	s_cbranch_execnz .LBB47_2097
; %bb.49:
	s_or_saveexec_b64 s[6:7], s[6:7]
	v_mov_b32_e32 v10, s10
	s_xor_b64 exec, exec, s[6:7]
	s_cbranch_execnz .LBB47_2100
.LBB47_50:
	s_or_b64 exec, exec, s[6:7]
	s_and_saveexec_b64 s[6:7], s[4:5]
	s_cbranch_execz .LBB47_52
.LBB47_51:
	v_bfe_u32 v10, v15, 16, 3
	v_ffbh_u32_e32 v21, v10
	v_min_u32_e32 v21, 32, v21
	v_lshrrev_b32_e32 v14, 19, v15
	v_subrev_u32_e32 v22, 28, v21
	v_and_b32_e32 v14, 15, v14
	v_lshlrev_b32_sdwa v22, v22, v15 dst_sel:DWORD dst_unused:UNUSED_PAD src0_sel:DWORD src1_sel:WORD_1
	v_bfe_u32 v20, v15, 19, 4
	v_sub_u32_e32 v21, 29, v21
	v_and_b32_e32 v22, 7, v22
	v_cmp_eq_u16_e32 vcc, 0, v14
	v_cndmask_b32_e32 v10, v10, v22, vcc
	v_cndmask_b32_e32 v14, v20, v21, vcc
	v_lshlrev_b32_e32 v20, 8, v15
	v_mov_b32_e32 v21, 0x3b800000
	v_lshlrev_b32_e32 v10, 20, v10
	v_and_b32_e32 v20, 0x80000000, v20
	v_lshl_add_u32 v14, v14, 23, v21
	v_or3_b32 v10, v20, v14, v10
.LBB47_52:
	s_or_b64 exec, exec, s[6:7]
	s_movk_i32 s4, 0xff
	v_and_b32_sdwa v14, v11, s4 dst_sel:DWORD dst_unused:UNUSED_PAD src0_sel:WORD_1 src1_sel:DWORD
	s_movk_i32 s4, 0x7f
	v_cmp_lt_i16_e32 vcc, s4, v14
	s_mov_b64 s[4:5], 0
                                        ; implicit-def: $sgpr10
	s_and_saveexec_b64 s[6:7], vcc
	s_xor_b64 s[6:7], exec, s[6:7]
	s_cbranch_execnz .LBB47_2101
; %bb.53:
	s_or_saveexec_b64 s[6:7], s[6:7]
	v_mov_b32_e32 v20, s10
	s_xor_b64 exec, exec, s[6:7]
	s_cbranch_execnz .LBB47_2104
.LBB47_54:
	s_or_b64 exec, exec, s[6:7]
	s_and_saveexec_b64 s[6:7], s[4:5]
	s_cbranch_execz .LBB47_56
.LBB47_55:
	v_bfe_u32 v14, v11, 16, 3
	v_ffbh_u32_e32 v22, v14
	v_min_u32_e32 v22, 32, v22
	v_lshrrev_b32_e32 v20, 19, v11
	v_subrev_u32_e32 v23, 28, v22
	v_and_b32_e32 v20, 15, v20
	v_lshlrev_b32_sdwa v23, v23, v11 dst_sel:DWORD dst_unused:UNUSED_PAD src0_sel:DWORD src1_sel:WORD_1
	v_bfe_u32 v21, v11, 19, 4
	v_sub_u32_e32 v22, 29, v22
	v_and_b32_e32 v23, 7, v23
	v_cmp_eq_u16_e32 vcc, 0, v20
	v_cndmask_b32_e32 v14, v14, v23, vcc
	v_cndmask_b32_e32 v20, v21, v22, vcc
	v_lshlrev_b32_e32 v21, 8, v11
	v_mov_b32_e32 v22, 0x3b800000
	v_lshlrev_b32_e32 v14, 20, v14
	v_and_b32_e32 v21, 0x80000000, v21
	v_lshl_add_u32 v20, v20, 23, v22
	v_or3_b32 v20, v21, v20, v14
.LBB47_56:
	s_or_b64 exec, exec, s[6:7]
	s_nop 0
	v_mfma_f32_16x16x4f32 a[0:3], v10, v20, a[0:3]
	s_movk_i32 s4, 0x7f
	v_cmp_gt_i16_sdwa s[6:7], v15, s4 src0_sel:BYTE_3 src1_sel:DWORD
	s_mov_b64 s[4:5], 0
                                        ; implicit-def: $sgpr10
	s_and_saveexec_b64 s[8:9], s[6:7]
	s_xor_b64 s[6:7], exec, s[8:9]
	s_cbranch_execnz .LBB47_2105
; %bb.57:
	s_or_saveexec_b64 s[6:7], s[6:7]
	v_mov_b32_e32 v10, s10
	s_xor_b64 exec, exec, s[6:7]
	s_cbranch_execnz .LBB47_2108
.LBB47_58:
	s_or_b64 exec, exec, s[6:7]
	s_and_saveexec_b64 s[6:7], s[4:5]
	s_cbranch_execz .LBB47_60
.LBB47_59:
	v_bfe_u32 v10, v15, 24, 3
	v_ffbh_u32_e32 v22, v10
	v_min_u32_e32 v22, 32, v22
	v_lshrrev_b32_e32 v20, 27, v15
	v_subrev_u32_e32 v23, 28, v22
	v_and_b32_e32 v14, 0x80000000, v15
	v_and_b32_e32 v20, 15, v20
	v_bfe_u32 v21, v15, 27, 4
	v_lshlrev_b32_sdwa v15, v23, v15 dst_sel:DWORD dst_unused:UNUSED_PAD src0_sel:DWORD src1_sel:BYTE_3
	v_sub_u32_e32 v22, 29, v22
	v_and_b32_e32 v15, 7, v15
	v_cmp_eq_u16_e32 vcc, 0, v20
	v_cndmask_b32_e32 v10, v10, v15, vcc
	v_cndmask_b32_e32 v15, v21, v22, vcc
	v_mov_b32_e32 v20, 0x3b800000
	v_lshlrev_b32_e32 v10, 20, v10
	v_lshl_add_u32 v15, v15, 23, v20
	v_or3_b32 v10, v14, v15, v10
.LBB47_60:
	s_or_b64 exec, exec, s[6:7]
	s_movk_i32 s4, 0x7f
	v_cmp_gt_i16_sdwa s[6:7], v11, s4 src0_sel:BYTE_3 src1_sel:DWORD
	s_mov_b64 s[4:5], 0
                                        ; implicit-def: $sgpr10
	s_and_saveexec_b64 s[8:9], s[6:7]
	s_xor_b64 s[6:7], exec, s[8:9]
	s_cbranch_execnz .LBB47_2109
; %bb.61:
	s_or_saveexec_b64 s[6:7], s[6:7]
	v_mov_b32_e32 v14, s10
	s_xor_b64 exec, exec, s[6:7]
	s_cbranch_execnz .LBB47_2112
.LBB47_62:
	s_or_b64 exec, exec, s[6:7]
	s_and_saveexec_b64 s[6:7], s[4:5]
	s_cbranch_execz .LBB47_64
.LBB47_63:
	v_bfe_u32 v14, v11, 24, 3
	v_ffbh_u32_e32 v22, v14
	v_min_u32_e32 v22, 32, v22
	v_lshrrev_b32_e32 v20, 27, v11
	v_subrev_u32_e32 v23, 28, v22
	v_and_b32_e32 v15, 0x80000000, v11
	v_and_b32_e32 v20, 15, v20
	v_bfe_u32 v21, v11, 27, 4
	v_lshlrev_b32_sdwa v11, v23, v11 dst_sel:DWORD dst_unused:UNUSED_PAD src0_sel:DWORD src1_sel:BYTE_3
	v_sub_u32_e32 v22, 29, v22
	v_and_b32_e32 v11, 7, v11
	v_cmp_eq_u16_e32 vcc, 0, v20
	v_cndmask_b32_e32 v11, v14, v11, vcc
	v_cndmask_b32_e32 v14, v21, v22, vcc
	v_mov_b32_e32 v20, 0x3b800000
	v_lshlrev_b32_e32 v11, 20, v11
	v_lshl_add_u32 v14, v14, 23, v20
	v_or3_b32 v14, v15, v14, v11
.LBB47_64:
	s_or_b64 exec, exec, s[6:7]
	s_nop 0
	v_mfma_f32_16x16x4f32 a[0:3], v10, v14, a[0:3]
	s_movk_i32 s4, 0x7f
	v_cmp_gt_i16_sdwa s[6:7], v16, s4 src0_sel:BYTE_0 src1_sel:DWORD
	s_mov_b64 s[4:5], 0
                                        ; implicit-def: $sgpr10
	s_and_saveexec_b64 s[8:9], s[6:7]
	s_xor_b64 s[6:7], exec, s[8:9]
	s_cbranch_execnz .LBB47_2113
; %bb.65:
	s_or_saveexec_b64 s[6:7], s[6:7]
	v_mov_b32_e32 v10, s10
	s_xor_b64 exec, exec, s[6:7]
	s_cbranch_execnz .LBB47_2116
.LBB47_66:
	s_or_b64 exec, exec, s[6:7]
	s_and_saveexec_b64 s[6:7], s[4:5]
	s_cbranch_execz .LBB47_68
.LBB47_67:
	v_and_b32_e32 v10, 7, v16
	v_ffbh_u32_e32 v14, v10
	v_min_u32_e32 v14, 32, v14
	v_lshrrev_b16_e32 v11, 3, v16
	v_subrev_u32_e32 v15, 28, v14
	v_and_b32_e32 v11, 15, v11
	v_lshlrev_b32_e32 v15, v15, v16
	v_sub_u32_e32 v14, 29, v14
	v_and_b32_e32 v15, 7, v15
	v_cmp_eq_u16_e32 vcc, 0, v11
	v_cndmask_b32_e32 v10, v10, v15, vcc
	v_cndmask_b32_e32 v11, v11, v14, vcc
	v_lshlrev_b32_e32 v14, 24, v16
	v_mov_b32_e32 v15, 0x3b800000
	v_lshlrev_b32_e32 v10, 20, v10
	v_and_b32_e32 v14, 0x80000000, v14
	v_lshl_add_u32 v11, v11, 23, v15
	v_or3_b32 v10, v14, v11, v10
.LBB47_68:
	s_or_b64 exec, exec, s[6:7]
	s_movk_i32 s4, 0x7f
	v_cmp_gt_i16_sdwa s[6:7], v12, s4 src0_sel:BYTE_0 src1_sel:DWORD
	s_mov_b64 s[4:5], 0
                                        ; implicit-def: $sgpr10
	s_and_saveexec_b64 s[8:9], s[6:7]
	s_xor_b64 s[6:7], exec, s[8:9]
	s_cbranch_execnz .LBB47_2117
; %bb.69:
	s_or_saveexec_b64 s[6:7], s[6:7]
	v_mov_b32_e32 v11, s10
	s_xor_b64 exec, exec, s[6:7]
	s_cbranch_execnz .LBB47_2120
.LBB47_70:
	s_or_b64 exec, exec, s[6:7]
	s_and_saveexec_b64 s[6:7], s[4:5]
	s_cbranch_execz .LBB47_72
.LBB47_71:
	v_and_b32_e32 v11, 7, v12
	v_ffbh_u32_e32 v15, v11
	v_min_u32_e32 v15, 32, v15
	v_lshrrev_b16_e32 v14, 3, v12
	v_subrev_u32_e32 v20, 28, v15
	v_and_b32_e32 v14, 15, v14
	v_lshlrev_b32_e32 v20, v20, v12
	v_sub_u32_e32 v15, 29, v15
	v_and_b32_e32 v20, 7, v20
	v_cmp_eq_u16_e32 vcc, 0, v14
	v_cndmask_b32_e32 v11, v11, v20, vcc
	v_cndmask_b32_e32 v14, v14, v15, vcc
	v_lshlrev_b32_e32 v15, 24, v12
	v_mov_b32_e32 v20, 0x3b800000
	v_lshlrev_b32_e32 v11, 20, v11
	v_and_b32_e32 v15, 0x80000000, v15
	v_lshl_add_u32 v14, v14, 23, v20
	v_or3_b32 v11, v15, v14, v11
.LBB47_72:
	s_or_b64 exec, exec, s[6:7]
	s_nop 0
	v_mfma_f32_16x16x4f32 a[0:3], v10, v11, a[0:3]
	v_lshrrev_b32_e32 v11, 8, v16
	s_movk_i32 s4, 0x7f
	v_cmp_gt_i16_sdwa s[6:7], v11, s4 src0_sel:BYTE_0 src1_sel:DWORD
	s_mov_b64 s[4:5], 0
                                        ; implicit-def: $sgpr10
	s_and_saveexec_b64 s[8:9], s[6:7]
	s_xor_b64 s[6:7], exec, s[8:9]
	s_cbranch_execnz .LBB47_2121
; %bb.73:
	s_or_saveexec_b64 s[6:7], s[6:7]
	v_mov_b32_e32 v10, s10
	s_xor_b64 exec, exec, s[6:7]
	s_cbranch_execnz .LBB47_2124
.LBB47_74:
	s_or_b64 exec, exec, s[6:7]
	s_and_saveexec_b64 s[6:7], s[4:5]
	s_cbranch_execz .LBB47_76
.LBB47_75:
	v_bfe_u32 v10, v16, 8, 3
	v_ffbh_u32_e32 v15, v10
	v_min_u32_e32 v15, 32, v15
	v_lshrrev_b16_e32 v14, 3, v11
	v_subrev_u32_e32 v20, 28, v15
	v_and_b32_e32 v14, 15, v14
	v_lshlrev_b32_e32 v11, v20, v11
	v_sub_u32_e32 v15, 29, v15
	v_and_b32_e32 v11, 7, v11
	v_cmp_eq_u16_e32 vcc, 0, v14
	v_cndmask_b32_e32 v10, v10, v11, vcc
	v_cndmask_b32_e32 v11, v14, v15, vcc
	v_lshlrev_b32_e32 v14, 16, v16
	v_mov_b32_e32 v15, 0x3b800000
	v_lshlrev_b32_e32 v10, 20, v10
	v_and_b32_e32 v14, 0x80000000, v14
	v_lshl_add_u32 v11, v11, 23, v15
	v_or3_b32 v10, v14, v11, v10
.LBB47_76:
	s_or_b64 exec, exec, s[6:7]
	v_lshrrev_b32_e32 v11, 8, v12
	s_movk_i32 s4, 0x7f
	v_cmp_gt_i16_sdwa s[6:7], v11, s4 src0_sel:BYTE_0 src1_sel:DWORD
	s_mov_b64 s[4:5], 0
                                        ; implicit-def: $sgpr10
	s_and_saveexec_b64 s[8:9], s[6:7]
	s_xor_b64 s[6:7], exec, s[8:9]
	s_cbranch_execnz .LBB47_2125
; %bb.77:
	s_or_saveexec_b64 s[6:7], s[6:7]
	v_mov_b32_e32 v14, s10
	s_xor_b64 exec, exec, s[6:7]
	s_cbranch_execnz .LBB47_2128
.LBB47_78:
	s_or_b64 exec, exec, s[6:7]
	s_and_saveexec_b64 s[6:7], s[4:5]
	s_cbranch_execz .LBB47_80
.LBB47_79:
	v_bfe_u32 v14, v12, 8, 3
	v_ffbh_u32_e32 v20, v14
	v_min_u32_e32 v20, 32, v20
	v_lshrrev_b16_e32 v15, 3, v11
	v_subrev_u32_e32 v21, 28, v20
	v_and_b32_e32 v15, 15, v15
	v_lshlrev_b32_e32 v11, v21, v11
	v_sub_u32_e32 v20, 29, v20
	v_and_b32_e32 v11, 7, v11
	v_cmp_eq_u16_e32 vcc, 0, v15
	v_cndmask_b32_e32 v11, v14, v11, vcc
	v_cndmask_b32_e32 v14, v15, v20, vcc
	v_lshlrev_b32_e32 v15, 16, v12
	v_mov_b32_e32 v20, 0x3b800000
	v_lshlrev_b32_e32 v11, 20, v11
	v_and_b32_e32 v15, 0x80000000, v15
	v_lshl_add_u32 v14, v14, 23, v20
	v_or3_b32 v14, v15, v14, v11
.LBB47_80:
	s_or_b64 exec, exec, s[6:7]
	s_nop 0
	v_mfma_f32_16x16x4f32 a[0:3], v10, v14, a[0:3]
	s_movk_i32 s4, 0xff
	v_and_b32_sdwa v11, v16, s4 dst_sel:DWORD dst_unused:UNUSED_PAD src0_sel:WORD_1 src1_sel:DWORD
	s_movk_i32 s4, 0x7f
	v_cmp_lt_i16_e32 vcc, s4, v11
	s_mov_b64 s[4:5], 0
                                        ; implicit-def: $sgpr10
	s_and_saveexec_b64 s[6:7], vcc
	s_xor_b64 s[6:7], exec, s[6:7]
	s_cbranch_execnz .LBB47_2129
; %bb.81:
	s_or_saveexec_b64 s[6:7], s[6:7]
	v_mov_b32_e32 v10, s10
	s_xor_b64 exec, exec, s[6:7]
	s_cbranch_execnz .LBB47_2132
.LBB47_82:
	s_or_b64 exec, exec, s[6:7]
	s_and_saveexec_b64 s[6:7], s[4:5]
	s_cbranch_execz .LBB47_84
.LBB47_83:
	v_bfe_u32 v10, v16, 16, 3
	v_ffbh_u32_e32 v15, v10
	v_min_u32_e32 v15, 32, v15
	v_lshrrev_b32_e32 v11, 19, v16
	v_subrev_u32_e32 v20, 28, v15
	v_and_b32_e32 v11, 15, v11
	v_lshlrev_b32_sdwa v20, v20, v16 dst_sel:DWORD dst_unused:UNUSED_PAD src0_sel:DWORD src1_sel:WORD_1
	v_bfe_u32 v14, v16, 19, 4
	v_sub_u32_e32 v15, 29, v15
	v_and_b32_e32 v20, 7, v20
	v_cmp_eq_u16_e32 vcc, 0, v11
	v_cndmask_b32_e32 v10, v10, v20, vcc
	v_cndmask_b32_e32 v11, v14, v15, vcc
	v_lshlrev_b32_e32 v14, 8, v16
	v_mov_b32_e32 v15, 0x3b800000
	v_lshlrev_b32_e32 v10, 20, v10
	v_and_b32_e32 v14, 0x80000000, v14
	v_lshl_add_u32 v11, v11, 23, v15
	v_or3_b32 v10, v14, v11, v10
.LBB47_84:
	s_or_b64 exec, exec, s[6:7]
	s_movk_i32 s4, 0xff
	v_and_b32_sdwa v11, v12, s4 dst_sel:DWORD dst_unused:UNUSED_PAD src0_sel:WORD_1 src1_sel:DWORD
	s_movk_i32 s4, 0x7f
	v_cmp_lt_i16_e32 vcc, s4, v11
	s_mov_b64 s[4:5], 0
                                        ; implicit-def: $sgpr10
	s_and_saveexec_b64 s[6:7], vcc
	s_xor_b64 s[6:7], exec, s[6:7]
	s_cbranch_execnz .LBB47_2133
; %bb.85:
	s_or_saveexec_b64 s[6:7], s[6:7]
	v_mov_b32_e32 v14, s10
	s_xor_b64 exec, exec, s[6:7]
	s_cbranch_execnz .LBB47_2136
.LBB47_86:
	s_or_b64 exec, exec, s[6:7]
	s_and_saveexec_b64 s[6:7], s[4:5]
	s_cbranch_execz .LBB47_88
.LBB47_87:
	v_bfe_u32 v11, v12, 16, 3
	v_ffbh_u32_e32 v20, v11
	v_min_u32_e32 v20, 32, v20
	v_lshrrev_b32_e32 v14, 19, v12
	v_subrev_u32_e32 v21, 28, v20
	v_and_b32_e32 v14, 15, v14
	v_lshlrev_b32_sdwa v21, v21, v12 dst_sel:DWORD dst_unused:UNUSED_PAD src0_sel:DWORD src1_sel:WORD_1
	v_bfe_u32 v15, v12, 19, 4
	v_sub_u32_e32 v20, 29, v20
	v_and_b32_e32 v21, 7, v21
	v_cmp_eq_u16_e32 vcc, 0, v14
	v_cndmask_b32_e32 v11, v11, v21, vcc
	v_cndmask_b32_e32 v14, v15, v20, vcc
	v_lshlrev_b32_e32 v15, 8, v12
	v_mov_b32_e32 v20, 0x3b800000
	v_lshlrev_b32_e32 v11, 20, v11
	v_and_b32_e32 v15, 0x80000000, v15
	v_lshl_add_u32 v14, v14, 23, v20
	v_or3_b32 v14, v15, v14, v11
.LBB47_88:
	s_or_b64 exec, exec, s[6:7]
	s_nop 0
	v_mfma_f32_16x16x4f32 a[0:3], v10, v14, a[0:3]
	s_movk_i32 s4, 0x7f
	v_cmp_gt_i16_sdwa s[6:7], v16, s4 src0_sel:BYTE_3 src1_sel:DWORD
	s_mov_b64 s[4:5], 0
                                        ; implicit-def: $sgpr10
	s_and_saveexec_b64 s[8:9], s[6:7]
	s_xor_b64 s[6:7], exec, s[8:9]
	s_cbranch_execnz .LBB47_2137
; %bb.89:
	s_or_saveexec_b64 s[6:7], s[6:7]
	v_mov_b32_e32 v10, s10
	s_xor_b64 exec, exec, s[6:7]
	s_cbranch_execnz .LBB47_2140
.LBB47_90:
	s_or_b64 exec, exec, s[6:7]
	s_and_saveexec_b64 s[6:7], s[4:5]
	s_cbranch_execz .LBB47_92
.LBB47_91:
	v_bfe_u32 v10, v16, 24, 3
	v_ffbh_u32_e32 v20, v10
	v_min_u32_e32 v20, 32, v20
	v_lshrrev_b32_e32 v14, 27, v16
	v_subrev_u32_e32 v21, 28, v20
	v_and_b32_e32 v11, 0x80000000, v16
	v_and_b32_e32 v14, 15, v14
	v_bfe_u32 v15, v16, 27, 4
	v_lshlrev_b32_sdwa v16, v21, v16 dst_sel:DWORD dst_unused:UNUSED_PAD src0_sel:DWORD src1_sel:BYTE_3
	v_sub_u32_e32 v20, 29, v20
	v_and_b32_e32 v16, 7, v16
	v_cmp_eq_u16_e32 vcc, 0, v14
	v_cndmask_b32_e32 v10, v10, v16, vcc
	v_cndmask_b32_e32 v14, v15, v20, vcc
	v_mov_b32_e32 v15, 0x3b800000
	v_lshlrev_b32_e32 v10, 20, v10
	v_lshl_add_u32 v14, v14, 23, v15
	v_or3_b32 v10, v11, v14, v10
.LBB47_92:
	s_or_b64 exec, exec, s[6:7]
	s_movk_i32 s4, 0x7f
	v_cmp_gt_i16_sdwa s[6:7], v12, s4 src0_sel:BYTE_3 src1_sel:DWORD
	s_mov_b64 s[4:5], 0
                                        ; implicit-def: $sgpr10
	s_and_saveexec_b64 s[8:9], s[6:7]
	s_xor_b64 s[6:7], exec, s[8:9]
	s_cbranch_execnz .LBB47_2141
; %bb.93:
	s_or_saveexec_b64 s[6:7], s[6:7]
	v_mov_b32_e32 v11, s10
	s_xor_b64 exec, exec, s[6:7]
	s_cbranch_execnz .LBB47_2144
.LBB47_94:
	s_or_b64 exec, exec, s[6:7]
	s_and_saveexec_b64 s[6:7], s[4:5]
	s_cbranch_execz .LBB47_96
.LBB47_95:
	v_bfe_u32 v11, v12, 24, 3
	v_ffbh_u32_e32 v20, v11
	v_min_u32_e32 v20, 32, v20
	v_lshrrev_b32_e32 v15, 27, v12
	v_subrev_u32_e32 v21, 28, v20
	v_and_b32_e32 v14, 0x80000000, v12
	v_and_b32_e32 v15, 15, v15
	v_bfe_u32 v16, v12, 27, 4
	v_lshlrev_b32_sdwa v12, v21, v12 dst_sel:DWORD dst_unused:UNUSED_PAD src0_sel:DWORD src1_sel:BYTE_3
	v_sub_u32_e32 v20, 29, v20
	v_and_b32_e32 v12, 7, v12
	v_cmp_eq_u16_e32 vcc, 0, v15
	v_cndmask_b32_e32 v11, v11, v12, vcc
	v_cndmask_b32_e32 v12, v16, v20, vcc
	v_mov_b32_e32 v15, 0x3b800000
	v_lshlrev_b32_e32 v11, 20, v11
	v_lshl_add_u32 v12, v12, 23, v15
	v_or3_b32 v11, v14, v12, v11
.LBB47_96:
	s_or_b64 exec, exec, s[6:7]
	s_nop 0
	v_mfma_f32_16x16x4f32 a[0:3], v10, v11, a[0:3]
	s_movk_i32 s4, 0x7f
	v_cmp_gt_i16_sdwa s[6:7], v17, s4 src0_sel:BYTE_0 src1_sel:DWORD
	s_mov_b64 s[4:5], 0
                                        ; implicit-def: $sgpr10
	s_and_saveexec_b64 s[8:9], s[6:7]
	s_xor_b64 s[6:7], exec, s[8:9]
	s_cbranch_execnz .LBB47_2145
; %bb.97:
	s_or_saveexec_b64 s[6:7], s[6:7]
	v_mov_b32_e32 v10, s10
	s_xor_b64 exec, exec, s[6:7]
	s_cbranch_execnz .LBB47_2148
.LBB47_98:
	s_or_b64 exec, exec, s[6:7]
	s_and_saveexec_b64 s[6:7], s[4:5]
	s_cbranch_execz .LBB47_100
.LBB47_99:
	v_and_b32_e32 v10, 7, v17
	v_ffbh_u32_e32 v12, v10
	v_min_u32_e32 v12, 32, v12
	v_lshrrev_b16_e32 v11, 3, v17
	v_subrev_u32_e32 v14, 28, v12
	v_and_b32_e32 v11, 15, v11
	v_lshlrev_b32_e32 v14, v14, v17
	v_sub_u32_e32 v12, 29, v12
	v_and_b32_e32 v14, 7, v14
	v_cmp_eq_u16_e32 vcc, 0, v11
	v_cndmask_b32_e32 v10, v10, v14, vcc
	v_cndmask_b32_e32 v11, v11, v12, vcc
	v_lshlrev_b32_e32 v12, 24, v17
	v_mov_b32_e32 v14, 0x3b800000
	v_lshlrev_b32_e32 v10, 20, v10
	v_and_b32_e32 v12, 0x80000000, v12
	v_lshl_add_u32 v11, v11, 23, v14
	v_or3_b32 v10, v12, v11, v10
.LBB47_100:
	s_or_b64 exec, exec, s[6:7]
	s_movk_i32 s4, 0x7f
	v_cmp_gt_i16_sdwa s[6:7], v13, s4 src0_sel:BYTE_0 src1_sel:DWORD
	s_mov_b64 s[4:5], 0
                                        ; implicit-def: $sgpr10
	s_and_saveexec_b64 s[8:9], s[6:7]
	s_xor_b64 s[6:7], exec, s[8:9]
	s_cbranch_execnz .LBB47_2149
; %bb.101:
	s_or_saveexec_b64 s[6:7], s[6:7]
	v_mov_b32_e32 v11, s10
	s_xor_b64 exec, exec, s[6:7]
	s_cbranch_execnz .LBB47_2152
.LBB47_102:
	s_or_b64 exec, exec, s[6:7]
	s_and_saveexec_b64 s[6:7], s[4:5]
	s_cbranch_execz .LBB47_104
.LBB47_103:
	v_and_b32_e32 v11, 7, v13
	v_ffbh_u32_e32 v14, v11
	v_min_u32_e32 v14, 32, v14
	v_lshrrev_b16_e32 v12, 3, v13
	v_subrev_u32_e32 v15, 28, v14
	v_and_b32_e32 v12, 15, v12
	v_lshlrev_b32_e32 v15, v15, v13
	v_sub_u32_e32 v14, 29, v14
	v_and_b32_e32 v15, 7, v15
	v_cmp_eq_u16_e32 vcc, 0, v12
	v_cndmask_b32_e32 v11, v11, v15, vcc
	v_cndmask_b32_e32 v12, v12, v14, vcc
	v_lshlrev_b32_e32 v14, 24, v13
	v_mov_b32_e32 v15, 0x3b800000
	v_lshlrev_b32_e32 v11, 20, v11
	v_and_b32_e32 v14, 0x80000000, v14
	v_lshl_add_u32 v12, v12, 23, v15
	v_or3_b32 v11, v14, v12, v11
.LBB47_104:
	s_or_b64 exec, exec, s[6:7]
	s_nop 0
	v_mfma_f32_16x16x4f32 a[0:3], v10, v11, a[0:3]
	v_lshrrev_b32_e32 v11, 8, v17
	s_movk_i32 s4, 0x7f
	v_cmp_gt_i16_sdwa s[6:7], v11, s4 src0_sel:BYTE_0 src1_sel:DWORD
	s_mov_b64 s[4:5], 0
                                        ; implicit-def: $sgpr10
	s_and_saveexec_b64 s[8:9], s[6:7]
	s_xor_b64 s[6:7], exec, s[8:9]
	s_cbranch_execnz .LBB47_2153
; %bb.105:
	s_or_saveexec_b64 s[6:7], s[6:7]
	v_mov_b32_e32 v10, s10
	s_xor_b64 exec, exec, s[6:7]
	s_cbranch_execnz .LBB47_2156
.LBB47_106:
	s_or_b64 exec, exec, s[6:7]
	s_and_saveexec_b64 s[6:7], s[4:5]
	s_cbranch_execz .LBB47_108
.LBB47_107:
	v_bfe_u32 v10, v17, 8, 3
	v_ffbh_u32_e32 v14, v10
	v_min_u32_e32 v14, 32, v14
	v_lshrrev_b16_e32 v12, 3, v11
	v_subrev_u32_e32 v15, 28, v14
	v_and_b32_e32 v12, 15, v12
	v_lshlrev_b32_e32 v11, v15, v11
	v_sub_u32_e32 v14, 29, v14
	v_and_b32_e32 v11, 7, v11
	v_cmp_eq_u16_e32 vcc, 0, v12
	v_cndmask_b32_e32 v10, v10, v11, vcc
	v_cndmask_b32_e32 v11, v12, v14, vcc
	v_lshlrev_b32_e32 v12, 16, v17
	v_mov_b32_e32 v14, 0x3b800000
	v_lshlrev_b32_e32 v10, 20, v10
	v_and_b32_e32 v12, 0x80000000, v12
	v_lshl_add_u32 v11, v11, 23, v14
	v_or3_b32 v10, v12, v11, v10
.LBB47_108:
	s_or_b64 exec, exec, s[6:7]
	v_lshrrev_b32_e32 v11, 8, v13
	s_movk_i32 s4, 0x7f
	v_cmp_gt_i16_sdwa s[6:7], v11, s4 src0_sel:BYTE_0 src1_sel:DWORD
	s_mov_b64 s[4:5], 0
                                        ; implicit-def: $sgpr10
	s_and_saveexec_b64 s[8:9], s[6:7]
	s_xor_b64 s[6:7], exec, s[8:9]
	s_cbranch_execnz .LBB47_2157
; %bb.109:
	s_or_saveexec_b64 s[6:7], s[6:7]
	v_mov_b32_e32 v12, s10
	s_xor_b64 exec, exec, s[6:7]
	s_cbranch_execnz .LBB47_2160
.LBB47_110:
	s_or_b64 exec, exec, s[6:7]
	s_and_saveexec_b64 s[6:7], s[4:5]
	s_cbranch_execz .LBB47_112
.LBB47_111:
	v_bfe_u32 v12, v13, 8, 3
	v_ffbh_u32_e32 v15, v12
	v_min_u32_e32 v15, 32, v15
	v_lshrrev_b16_e32 v14, 3, v11
	v_subrev_u32_e32 v16, 28, v15
	v_and_b32_e32 v14, 15, v14
	v_lshlrev_b32_e32 v11, v16, v11
	v_sub_u32_e32 v15, 29, v15
	v_and_b32_e32 v11, 7, v11
	v_cmp_eq_u16_e32 vcc, 0, v14
	v_cndmask_b32_e32 v11, v12, v11, vcc
	v_cndmask_b32_e32 v12, v14, v15, vcc
	v_lshlrev_b32_e32 v14, 16, v13
	v_mov_b32_e32 v15, 0x3b800000
	v_lshlrev_b32_e32 v11, 20, v11
	v_and_b32_e32 v14, 0x80000000, v14
	v_lshl_add_u32 v12, v12, 23, v15
	v_or3_b32 v12, v14, v12, v11
.LBB47_112:
	s_or_b64 exec, exec, s[6:7]
	s_nop 0
	v_mfma_f32_16x16x4f32 a[0:3], v10, v12, a[0:3]
	s_movk_i32 s4, 0xff
	v_and_b32_sdwa v11, v17, s4 dst_sel:DWORD dst_unused:UNUSED_PAD src0_sel:WORD_1 src1_sel:DWORD
	s_movk_i32 s4, 0x7f
	v_cmp_lt_i16_e32 vcc, s4, v11
	s_mov_b64 s[4:5], 0
                                        ; implicit-def: $sgpr10
	s_and_saveexec_b64 s[6:7], vcc
	s_xor_b64 s[6:7], exec, s[6:7]
	s_cbranch_execnz .LBB47_2161
; %bb.113:
	s_or_saveexec_b64 s[6:7], s[6:7]
	v_mov_b32_e32 v10, s10
	s_xor_b64 exec, exec, s[6:7]
	s_cbranch_execnz .LBB47_2164
.LBB47_114:
	s_or_b64 exec, exec, s[6:7]
	s_and_saveexec_b64 s[6:7], s[4:5]
	s_cbranch_execz .LBB47_116
.LBB47_115:
	v_bfe_u32 v10, v17, 16, 3
	v_ffbh_u32_e32 v14, v10
	v_min_u32_e32 v14, 32, v14
	v_lshrrev_b32_e32 v11, 19, v17
	v_subrev_u32_e32 v15, 28, v14
	v_and_b32_e32 v11, 15, v11
	v_lshlrev_b32_sdwa v15, v15, v17 dst_sel:DWORD dst_unused:UNUSED_PAD src0_sel:DWORD src1_sel:WORD_1
	v_bfe_u32 v12, v17, 19, 4
	v_sub_u32_e32 v14, 29, v14
	v_and_b32_e32 v15, 7, v15
	v_cmp_eq_u16_e32 vcc, 0, v11
	v_cndmask_b32_e32 v10, v10, v15, vcc
	v_cndmask_b32_e32 v11, v12, v14, vcc
	v_lshlrev_b32_e32 v12, 8, v17
	v_mov_b32_e32 v14, 0x3b800000
	v_lshlrev_b32_e32 v10, 20, v10
	v_and_b32_e32 v12, 0x80000000, v12
	v_lshl_add_u32 v11, v11, 23, v14
	v_or3_b32 v10, v12, v11, v10
.LBB47_116:
	s_or_b64 exec, exec, s[6:7]
	s_movk_i32 s4, 0xff
	v_and_b32_sdwa v11, v13, s4 dst_sel:DWORD dst_unused:UNUSED_PAD src0_sel:WORD_1 src1_sel:DWORD
	s_movk_i32 s4, 0x7f
	v_cmp_lt_i16_e32 vcc, s4, v11
	s_mov_b64 s[4:5], 0
                                        ; implicit-def: $sgpr10
	s_and_saveexec_b64 s[6:7], vcc
	s_xor_b64 s[6:7], exec, s[6:7]
	s_cbranch_execnz .LBB47_2165
; %bb.117:
	s_or_saveexec_b64 s[6:7], s[6:7]
	v_mov_b32_e32 v12, s10
	s_xor_b64 exec, exec, s[6:7]
	s_cbranch_execnz .LBB47_2168
.LBB47_118:
	s_or_b64 exec, exec, s[6:7]
	s_and_saveexec_b64 s[6:7], s[4:5]
	s_cbranch_execz .LBB47_120
.LBB47_119:
	v_bfe_u32 v11, v13, 16, 3
	v_ffbh_u32_e32 v15, v11
	v_min_u32_e32 v15, 32, v15
	v_lshrrev_b32_e32 v12, 19, v13
	v_subrev_u32_e32 v16, 28, v15
	v_and_b32_e32 v12, 15, v12
	v_lshlrev_b32_sdwa v16, v16, v13 dst_sel:DWORD dst_unused:UNUSED_PAD src0_sel:DWORD src1_sel:WORD_1
	v_bfe_u32 v14, v13, 19, 4
	v_sub_u32_e32 v15, 29, v15
	v_and_b32_e32 v16, 7, v16
	v_cmp_eq_u16_e32 vcc, 0, v12
	v_cndmask_b32_e32 v11, v11, v16, vcc
	v_cndmask_b32_e32 v12, v14, v15, vcc
	v_lshlrev_b32_e32 v14, 8, v13
	v_mov_b32_e32 v15, 0x3b800000
	v_lshlrev_b32_e32 v11, 20, v11
	v_and_b32_e32 v14, 0x80000000, v14
	v_lshl_add_u32 v12, v12, 23, v15
	v_or3_b32 v12, v14, v12, v11
.LBB47_120:
	s_or_b64 exec, exec, s[6:7]
	s_nop 0
	v_mfma_f32_16x16x4f32 a[0:3], v10, v12, a[0:3]
	s_movk_i32 s4, 0x7f
	v_cmp_gt_i16_sdwa s[6:7], v17, s4 src0_sel:BYTE_3 src1_sel:DWORD
	s_mov_b64 s[4:5], 0
                                        ; implicit-def: $sgpr10
	s_and_saveexec_b64 s[8:9], s[6:7]
	s_xor_b64 s[6:7], exec, s[8:9]
	s_cbranch_execnz .LBB47_2169
; %bb.121:
	s_or_saveexec_b64 s[6:7], s[6:7]
	v_mov_b32_e32 v10, s10
	s_xor_b64 exec, exec, s[6:7]
	s_cbranch_execnz .LBB47_2172
.LBB47_122:
	s_or_b64 exec, exec, s[6:7]
	s_and_saveexec_b64 s[6:7], s[4:5]
	s_cbranch_execz .LBB47_124
.LBB47_123:
	v_bfe_u32 v10, v17, 24, 3
	v_ffbh_u32_e32 v15, v10
	v_min_u32_e32 v15, 32, v15
	v_lshrrev_b32_e32 v12, 27, v17
	v_subrev_u32_e32 v16, 28, v15
	v_and_b32_e32 v12, 15, v12
	v_lshlrev_b32_sdwa v16, v16, v17 dst_sel:DWORD dst_unused:UNUSED_PAD src0_sel:DWORD src1_sel:BYTE_3
	v_bfe_u32 v14, v17, 27, 4
	v_sub_u32_e32 v15, 29, v15
	v_and_b32_e32 v16, 7, v16
	v_cmp_eq_u16_e32 vcc, 0, v12
	v_cndmask_b32_e32 v10, v10, v16, vcc
	v_cndmask_b32_e32 v12, v14, v15, vcc
	v_mov_b32_e32 v14, 0x3b800000
	v_and_b32_e32 v11, 0x80000000, v17
	v_lshlrev_b32_e32 v10, 20, v10
	v_lshl_add_u32 v12, v12, 23, v14
	v_or3_b32 v10, v11, v12, v10
.LBB47_124:
	s_or_b64 exec, exec, s[6:7]
	s_movk_i32 s4, 0x7f
	v_cmp_gt_i16_sdwa s[6:7], v13, s4 src0_sel:BYTE_3 src1_sel:DWORD
	s_mov_b64 s[4:5], 0
                                        ; implicit-def: $sgpr10
	s_and_saveexec_b64 s[8:9], s[6:7]
	s_xor_b64 s[6:7], exec, s[8:9]
	s_cbranch_execnz .LBB47_2173
; %bb.125:
	s_or_saveexec_b64 s[6:7], s[6:7]
	v_mov_b32_e32 v11, s10
	s_xor_b64 exec, exec, s[6:7]
	s_cbranch_execnz .LBB47_2176
.LBB47_126:
	s_or_b64 exec, exec, s[6:7]
	s_and_saveexec_b64 s[6:7], s[4:5]
	s_cbranch_execz .LBB47_128
.LBB47_127:
	v_bfe_u32 v11, v13, 24, 3
	v_ffbh_u32_e32 v16, v11
	v_min_u32_e32 v16, 32, v16
	v_lshrrev_b32_e32 v14, 27, v13
	v_subrev_u32_e32 v17, 28, v16
	v_and_b32_e32 v12, 0x80000000, v13
	v_and_b32_e32 v14, 15, v14
	v_bfe_u32 v15, v13, 27, 4
	v_lshlrev_b32_sdwa v13, v17, v13 dst_sel:DWORD dst_unused:UNUSED_PAD src0_sel:DWORD src1_sel:BYTE_3
	v_sub_u32_e32 v16, 29, v16
	v_and_b32_e32 v13, 7, v13
	v_cmp_eq_u16_e32 vcc, 0, v14
	v_cndmask_b32_e32 v11, v11, v13, vcc
	v_cndmask_b32_e32 v13, v15, v16, vcc
	v_mov_b32_e32 v14, 0x3b800000
	v_lshlrev_b32_e32 v11, 20, v11
	v_lshl_add_u32 v13, v13, 23, v14
	v_or3_b32 v11, v12, v13, v11
.LBB47_128:
	s_or_b64 exec, exec, s[6:7]
	s_nop 0
	v_mfma_f32_16x16x4f32 a[0:3], v10, v11, a[0:3]
	s_movk_i32 s4, 0x7f
	v_cmp_gt_i16_sdwa s[6:7], v6, s4 src0_sel:BYTE_0 src1_sel:DWORD
	s_mov_b64 s[4:5], 0
                                        ; implicit-def: $sgpr10
	s_and_saveexec_b64 s[8:9], s[6:7]
	s_xor_b64 s[6:7], exec, s[8:9]
	s_cbranch_execnz .LBB47_2177
; %bb.129:
	s_or_saveexec_b64 s[6:7], s[6:7]
	v_mov_b32_e32 v10, s10
	s_xor_b64 exec, exec, s[6:7]
	s_cbranch_execnz .LBB47_2180
.LBB47_130:
	s_or_b64 exec, exec, s[6:7]
	s_and_saveexec_b64 s[6:7], s[4:5]
	s_cbranch_execz .LBB47_132
.LBB47_131:
	v_and_b32_e32 v10, 7, v6
	v_ffbh_u32_e32 v12, v10
	v_min_u32_e32 v12, 32, v12
	v_lshrrev_b16_e32 v11, 3, v6
	v_subrev_u32_e32 v13, 28, v12
	v_and_b32_e32 v11, 15, v11
	v_lshlrev_b32_e32 v13, v13, v6
	v_sub_u32_e32 v12, 29, v12
	v_and_b32_e32 v13, 7, v13
	v_cmp_eq_u16_e32 vcc, 0, v11
	v_cndmask_b32_e32 v10, v10, v13, vcc
	v_cndmask_b32_e32 v11, v11, v12, vcc
	v_lshlrev_b32_e32 v12, 24, v6
	v_mov_b32_e32 v13, 0x3b800000
	v_lshlrev_b32_e32 v10, 20, v10
	v_and_b32_e32 v12, 0x80000000, v12
	v_lshl_add_u32 v11, v11, 23, v13
	v_or3_b32 v10, v12, v11, v10
.LBB47_132:
	s_or_b64 exec, exec, s[6:7]
	s_movk_i32 s4, 0x7f
	v_cmp_gt_i16_sdwa s[6:7], v2, s4 src0_sel:BYTE_0 src1_sel:DWORD
	s_mov_b64 s[4:5], 0
                                        ; implicit-def: $sgpr10
	s_and_saveexec_b64 s[8:9], s[6:7]
	s_xor_b64 s[6:7], exec, s[8:9]
	s_cbranch_execnz .LBB47_2181
; %bb.133:
	s_or_saveexec_b64 s[6:7], s[6:7]
	v_mov_b32_e32 v11, s10
	s_xor_b64 exec, exec, s[6:7]
	s_cbranch_execnz .LBB47_2184
.LBB47_134:
	s_or_b64 exec, exec, s[6:7]
	s_and_saveexec_b64 s[6:7], s[4:5]
	s_cbranch_execz .LBB47_136
.LBB47_135:
	v_and_b32_e32 v11, 7, v2
	v_ffbh_u32_e32 v13, v11
	v_min_u32_e32 v13, 32, v13
	v_lshrrev_b16_e32 v12, 3, v2
	v_subrev_u32_e32 v14, 28, v13
	v_and_b32_e32 v12, 15, v12
	v_lshlrev_b32_e32 v14, v14, v2
	v_sub_u32_e32 v13, 29, v13
	v_and_b32_e32 v14, 7, v14
	v_cmp_eq_u16_e32 vcc, 0, v12
	v_cndmask_b32_e32 v11, v11, v14, vcc
	v_cndmask_b32_e32 v12, v12, v13, vcc
	v_lshlrev_b32_e32 v13, 24, v2
	v_mov_b32_e32 v14, 0x3b800000
	v_lshlrev_b32_e32 v11, 20, v11
	v_and_b32_e32 v13, 0x80000000, v13
	v_lshl_add_u32 v12, v12, 23, v14
	v_or3_b32 v11, v13, v12, v11
.LBB47_136:
	s_or_b64 exec, exec, s[6:7]
	s_nop 0
	v_mfma_f32_16x16x4f32 a[0:3], v10, v11, a[0:3]
	v_lshrrev_b32_e32 v11, 8, v6
	s_movk_i32 s4, 0x7f
	v_cmp_gt_i16_sdwa s[6:7], v11, s4 src0_sel:BYTE_0 src1_sel:DWORD
	s_mov_b64 s[4:5], 0
                                        ; implicit-def: $sgpr10
	s_and_saveexec_b64 s[8:9], s[6:7]
	s_xor_b64 s[6:7], exec, s[8:9]
	s_cbranch_execnz .LBB47_2185
; %bb.137:
	s_or_saveexec_b64 s[6:7], s[6:7]
	v_mov_b32_e32 v10, s10
	s_xor_b64 exec, exec, s[6:7]
	s_cbranch_execnz .LBB47_2188
.LBB47_138:
	s_or_b64 exec, exec, s[6:7]
	s_and_saveexec_b64 s[6:7], s[4:5]
	s_cbranch_execz .LBB47_140
.LBB47_139:
	v_bfe_u32 v10, v6, 8, 3
	v_ffbh_u32_e32 v13, v10
	v_min_u32_e32 v13, 32, v13
	v_lshrrev_b16_e32 v12, 3, v11
	v_subrev_u32_e32 v14, 28, v13
	v_and_b32_e32 v12, 15, v12
	v_lshlrev_b32_e32 v11, v14, v11
	v_sub_u32_e32 v13, 29, v13
	v_and_b32_e32 v11, 7, v11
	v_cmp_eq_u16_e32 vcc, 0, v12
	v_cndmask_b32_e32 v10, v10, v11, vcc
	v_cndmask_b32_e32 v11, v12, v13, vcc
	v_lshlrev_b32_e32 v12, 16, v6
	v_mov_b32_e32 v13, 0x3b800000
	v_lshlrev_b32_e32 v10, 20, v10
	v_and_b32_e32 v12, 0x80000000, v12
	v_lshl_add_u32 v11, v11, 23, v13
	v_or3_b32 v10, v12, v11, v10
.LBB47_140:
	s_or_b64 exec, exec, s[6:7]
	v_lshrrev_b32_e32 v11, 8, v2
	s_movk_i32 s4, 0x7f
	v_cmp_gt_i16_sdwa s[6:7], v11, s4 src0_sel:BYTE_0 src1_sel:DWORD
	s_mov_b64 s[4:5], 0
                                        ; implicit-def: $sgpr10
	s_and_saveexec_b64 s[8:9], s[6:7]
	s_xor_b64 s[6:7], exec, s[8:9]
	s_cbranch_execnz .LBB47_2189
; %bb.141:
	s_or_saveexec_b64 s[6:7], s[6:7]
	v_mov_b32_e32 v12, s10
	s_xor_b64 exec, exec, s[6:7]
	s_cbranch_execnz .LBB47_2192
.LBB47_142:
	s_or_b64 exec, exec, s[6:7]
	s_and_saveexec_b64 s[6:7], s[4:5]
	s_cbranch_execz .LBB47_144
.LBB47_143:
	v_bfe_u32 v12, v2, 8, 3
	v_ffbh_u32_e32 v14, v12
	v_min_u32_e32 v14, 32, v14
	v_lshrrev_b16_e32 v13, 3, v11
	v_subrev_u32_e32 v15, 28, v14
	v_and_b32_e32 v13, 15, v13
	v_lshlrev_b32_e32 v11, v15, v11
	v_sub_u32_e32 v14, 29, v14
	v_and_b32_e32 v11, 7, v11
	v_cmp_eq_u16_e32 vcc, 0, v13
	v_cndmask_b32_e32 v11, v12, v11, vcc
	v_cndmask_b32_e32 v12, v13, v14, vcc
	v_lshlrev_b32_e32 v13, 16, v2
	v_mov_b32_e32 v14, 0x3b800000
	v_lshlrev_b32_e32 v11, 20, v11
	v_and_b32_e32 v13, 0x80000000, v13
	v_lshl_add_u32 v12, v12, 23, v14
	v_or3_b32 v12, v13, v12, v11
.LBB47_144:
	s_or_b64 exec, exec, s[6:7]
	s_nop 0
	v_mfma_f32_16x16x4f32 a[0:3], v10, v12, a[0:3]
	s_movk_i32 s4, 0xff
	v_and_b32_sdwa v11, v6, s4 dst_sel:DWORD dst_unused:UNUSED_PAD src0_sel:WORD_1 src1_sel:DWORD
	s_movk_i32 s4, 0x7f
	v_cmp_lt_i16_e32 vcc, s4, v11
	s_mov_b64 s[4:5], 0
                                        ; implicit-def: $sgpr10
	s_and_saveexec_b64 s[6:7], vcc
	s_xor_b64 s[6:7], exec, s[6:7]
	s_cbranch_execnz .LBB47_2193
; %bb.145:
	s_or_saveexec_b64 s[6:7], s[6:7]
	v_mov_b32_e32 v10, s10
	s_xor_b64 exec, exec, s[6:7]
	s_cbranch_execnz .LBB47_2196
.LBB47_146:
	s_or_b64 exec, exec, s[6:7]
	s_and_saveexec_b64 s[6:7], s[4:5]
	s_cbranch_execz .LBB47_148
.LBB47_147:
	v_bfe_u32 v10, v6, 16, 3
	v_ffbh_u32_e32 v13, v10
	v_min_u32_e32 v13, 32, v13
	v_lshrrev_b32_e32 v11, 19, v6
	v_subrev_u32_e32 v14, 28, v13
	v_and_b32_e32 v11, 15, v11
	v_lshlrev_b32_sdwa v14, v14, v6 dst_sel:DWORD dst_unused:UNUSED_PAD src0_sel:DWORD src1_sel:WORD_1
	v_bfe_u32 v12, v6, 19, 4
	v_sub_u32_e32 v13, 29, v13
	v_and_b32_e32 v14, 7, v14
	v_cmp_eq_u16_e32 vcc, 0, v11
	v_cndmask_b32_e32 v10, v10, v14, vcc
	v_cndmask_b32_e32 v11, v12, v13, vcc
	v_lshlrev_b32_e32 v12, 8, v6
	v_mov_b32_e32 v13, 0x3b800000
	v_lshlrev_b32_e32 v10, 20, v10
	v_and_b32_e32 v12, 0x80000000, v12
	v_lshl_add_u32 v11, v11, 23, v13
	v_or3_b32 v10, v12, v11, v10
.LBB47_148:
	s_or_b64 exec, exec, s[6:7]
	s_movk_i32 s4, 0xff
	v_and_b32_sdwa v11, v2, s4 dst_sel:DWORD dst_unused:UNUSED_PAD src0_sel:WORD_1 src1_sel:DWORD
	s_movk_i32 s4, 0x7f
	v_cmp_lt_i16_e32 vcc, s4, v11
	s_mov_b64 s[4:5], 0
                                        ; implicit-def: $sgpr10
	s_and_saveexec_b64 s[6:7], vcc
	s_xor_b64 s[6:7], exec, s[6:7]
	s_cbranch_execnz .LBB47_2197
; %bb.149:
	s_or_saveexec_b64 s[6:7], s[6:7]
	v_mov_b32_e32 v12, s10
	s_xor_b64 exec, exec, s[6:7]
	s_cbranch_execnz .LBB47_2200
.LBB47_150:
	s_or_b64 exec, exec, s[6:7]
	s_and_saveexec_b64 s[6:7], s[4:5]
	s_cbranch_execz .LBB47_152
.LBB47_151:
	v_bfe_u32 v11, v2, 16, 3
	v_ffbh_u32_e32 v14, v11
	v_min_u32_e32 v14, 32, v14
	v_lshrrev_b32_e32 v12, 19, v2
	v_subrev_u32_e32 v15, 28, v14
	v_and_b32_e32 v12, 15, v12
	v_lshlrev_b32_sdwa v15, v15, v2 dst_sel:DWORD dst_unused:UNUSED_PAD src0_sel:DWORD src1_sel:WORD_1
	v_bfe_u32 v13, v2, 19, 4
	v_sub_u32_e32 v14, 29, v14
	v_and_b32_e32 v15, 7, v15
	v_cmp_eq_u16_e32 vcc, 0, v12
	v_cndmask_b32_e32 v11, v11, v15, vcc
	v_cndmask_b32_e32 v12, v13, v14, vcc
	v_lshlrev_b32_e32 v13, 8, v2
	v_mov_b32_e32 v14, 0x3b800000
	v_lshlrev_b32_e32 v11, 20, v11
	v_and_b32_e32 v13, 0x80000000, v13
	v_lshl_add_u32 v12, v12, 23, v14
	v_or3_b32 v12, v13, v12, v11
.LBB47_152:
	s_or_b64 exec, exec, s[6:7]
	s_nop 0
	v_mfma_f32_16x16x4f32 a[0:3], v10, v12, a[0:3]
	s_movk_i32 s4, 0x7f
	v_cmp_gt_i16_sdwa s[6:7], v6, s4 src0_sel:BYTE_3 src1_sel:DWORD
	s_mov_b64 s[4:5], 0
                                        ; implicit-def: $sgpr10
	s_and_saveexec_b64 s[8:9], s[6:7]
	s_xor_b64 s[6:7], exec, s[8:9]
	s_cbranch_execnz .LBB47_2201
; %bb.153:
	s_or_saveexec_b64 s[6:7], s[6:7]
	v_mov_b32_e32 v10, s10
	s_xor_b64 exec, exec, s[6:7]
	s_cbranch_execnz .LBB47_2204
.LBB47_154:
	s_or_b64 exec, exec, s[6:7]
	s_and_saveexec_b64 s[6:7], s[4:5]
	s_cbranch_execz .LBB47_156
.LBB47_155:
	v_bfe_u32 v10, v6, 24, 3
	v_ffbh_u32_e32 v14, v10
	v_min_u32_e32 v14, 32, v14
	v_lshrrev_b32_e32 v12, 27, v6
	v_subrev_u32_e32 v15, 28, v14
	v_and_b32_e32 v11, 0x80000000, v6
	v_and_b32_e32 v12, 15, v12
	v_bfe_u32 v13, v6, 27, 4
	v_lshlrev_b32_sdwa v6, v15, v6 dst_sel:DWORD dst_unused:UNUSED_PAD src0_sel:DWORD src1_sel:BYTE_3
	v_sub_u32_e32 v14, 29, v14
	v_and_b32_e32 v6, 7, v6
	v_cmp_eq_u16_e32 vcc, 0, v12
	v_cndmask_b32_e32 v6, v10, v6, vcc
	v_cndmask_b32_e32 v10, v13, v14, vcc
	v_mov_b32_e32 v12, 0x3b800000
	v_lshlrev_b32_e32 v6, 20, v6
	v_lshl_add_u32 v10, v10, 23, v12
	v_or3_b32 v10, v11, v10, v6
.LBB47_156:
	s_or_b64 exec, exec, s[6:7]
	s_movk_i32 s4, 0x7f
	v_cmp_gt_i16_sdwa s[6:7], v2, s4 src0_sel:BYTE_3 src1_sel:DWORD
	s_mov_b64 s[4:5], 0
                                        ; implicit-def: $sgpr10
	s_and_saveexec_b64 s[8:9], s[6:7]
	s_xor_b64 s[6:7], exec, s[8:9]
	s_cbranch_execnz .LBB47_2205
; %bb.157:
	s_or_saveexec_b64 s[6:7], s[6:7]
	v_mov_b32_e32 v6, s10
	s_xor_b64 exec, exec, s[6:7]
	s_cbranch_execnz .LBB47_2208
.LBB47_158:
	s_or_b64 exec, exec, s[6:7]
	s_and_saveexec_b64 s[6:7], s[4:5]
	s_cbranch_execz .LBB47_160
.LBB47_159:
	v_bfe_u32 v6, v2, 24, 3
	v_ffbh_u32_e32 v14, v6
	v_min_u32_e32 v14, 32, v14
	v_lshrrev_b32_e32 v12, 27, v2
	v_subrev_u32_e32 v15, 28, v14
	v_and_b32_e32 v11, 0x80000000, v2
	v_and_b32_e32 v12, 15, v12
	v_bfe_u32 v13, v2, 27, 4
	v_lshlrev_b32_sdwa v2, v15, v2 dst_sel:DWORD dst_unused:UNUSED_PAD src0_sel:DWORD src1_sel:BYTE_3
	v_sub_u32_e32 v14, 29, v14
	v_and_b32_e32 v2, 7, v2
	v_cmp_eq_u16_e32 vcc, 0, v12
	v_cndmask_b32_e32 v2, v6, v2, vcc
	v_cndmask_b32_e32 v6, v13, v14, vcc
	v_mov_b32_e32 v12, 0x3b800000
	v_lshlrev_b32_e32 v2, 20, v2
	v_lshl_add_u32 v6, v6, 23, v12
	v_or3_b32 v6, v11, v6, v2
.LBB47_160:
	s_or_b64 exec, exec, s[6:7]
	s_nop 0
	v_mfma_f32_16x16x4f32 a[0:3], v10, v6, a[0:3]
	s_movk_i32 s4, 0x7f
	v_cmp_gt_i16_sdwa s[6:7], v7, s4 src0_sel:BYTE_0 src1_sel:DWORD
	s_mov_b64 s[4:5], 0
                                        ; implicit-def: $sgpr10
	s_and_saveexec_b64 s[8:9], s[6:7]
	s_xor_b64 s[6:7], exec, s[8:9]
	s_cbranch_execnz .LBB47_2209
; %bb.161:
	s_or_saveexec_b64 s[6:7], s[6:7]
	v_mov_b32_e32 v2, s10
	s_xor_b64 exec, exec, s[6:7]
	s_cbranch_execnz .LBB47_2212
.LBB47_162:
	s_or_b64 exec, exec, s[6:7]
	s_and_saveexec_b64 s[6:7], s[4:5]
	s_cbranch_execz .LBB47_164
.LBB47_163:
	v_and_b32_e32 v2, 7, v7
	v_ffbh_u32_e32 v10, v2
	v_min_u32_e32 v10, 32, v10
	v_lshrrev_b16_e32 v6, 3, v7
	v_subrev_u32_e32 v11, 28, v10
	v_and_b32_e32 v6, 15, v6
	v_lshlrev_b32_e32 v11, v11, v7
	v_sub_u32_e32 v10, 29, v10
	v_and_b32_e32 v11, 7, v11
	v_cmp_eq_u16_e32 vcc, 0, v6
	v_cndmask_b32_e32 v2, v2, v11, vcc
	v_cndmask_b32_e32 v6, v6, v10, vcc
	v_lshlrev_b32_e32 v10, 24, v7
	v_mov_b32_e32 v11, 0x3b800000
	v_lshlrev_b32_e32 v2, 20, v2
	v_and_b32_e32 v10, 0x80000000, v10
	v_lshl_add_u32 v6, v6, 23, v11
	v_or3_b32 v2, v10, v6, v2
.LBB47_164:
	s_or_b64 exec, exec, s[6:7]
	s_movk_i32 s4, 0x7f
	v_cmp_gt_i16_sdwa s[6:7], v3, s4 src0_sel:BYTE_0 src1_sel:DWORD
	s_mov_b64 s[4:5], 0
                                        ; implicit-def: $sgpr10
	s_and_saveexec_b64 s[8:9], s[6:7]
	s_xor_b64 s[6:7], exec, s[8:9]
	s_cbranch_execnz .LBB47_2213
; %bb.165:
	s_or_saveexec_b64 s[6:7], s[6:7]
	v_mov_b32_e32 v6, s10
	s_xor_b64 exec, exec, s[6:7]
	s_cbranch_execnz .LBB47_2216
.LBB47_166:
	s_or_b64 exec, exec, s[6:7]
	s_and_saveexec_b64 s[6:7], s[4:5]
	s_cbranch_execz .LBB47_168
.LBB47_167:
	v_and_b32_e32 v6, 7, v3
	v_ffbh_u32_e32 v11, v6
	v_min_u32_e32 v11, 32, v11
	v_lshrrev_b16_e32 v10, 3, v3
	v_subrev_u32_e32 v12, 28, v11
	v_and_b32_e32 v10, 15, v10
	v_lshlrev_b32_e32 v12, v12, v3
	v_sub_u32_e32 v11, 29, v11
	v_and_b32_e32 v12, 7, v12
	v_cmp_eq_u16_e32 vcc, 0, v10
	v_cndmask_b32_e32 v6, v6, v12, vcc
	v_cndmask_b32_e32 v10, v10, v11, vcc
	v_lshlrev_b32_e32 v11, 24, v3
	v_mov_b32_e32 v12, 0x3b800000
	v_lshlrev_b32_e32 v6, 20, v6
	v_and_b32_e32 v11, 0x80000000, v11
	v_lshl_add_u32 v10, v10, 23, v12
	v_or3_b32 v6, v11, v10, v6
.LBB47_168:
	s_or_b64 exec, exec, s[6:7]
	s_nop 0
	v_mfma_f32_16x16x4f32 a[0:3], v2, v6, a[0:3]
	v_lshrrev_b32_e32 v6, 8, v7
	s_movk_i32 s4, 0x7f
	v_cmp_gt_i16_sdwa s[6:7], v6, s4 src0_sel:BYTE_0 src1_sel:DWORD
	s_mov_b64 s[4:5], 0
                                        ; implicit-def: $sgpr10
	s_and_saveexec_b64 s[8:9], s[6:7]
	s_xor_b64 s[6:7], exec, s[8:9]
	s_cbranch_execnz .LBB47_2217
; %bb.169:
	s_or_saveexec_b64 s[6:7], s[6:7]
	v_mov_b32_e32 v2, s10
	s_xor_b64 exec, exec, s[6:7]
	s_cbranch_execnz .LBB47_2220
.LBB47_170:
	s_or_b64 exec, exec, s[6:7]
	s_and_saveexec_b64 s[6:7], s[4:5]
	s_cbranch_execz .LBB47_172
.LBB47_171:
	v_bfe_u32 v2, v7, 8, 3
	v_ffbh_u32_e32 v11, v2
	v_min_u32_e32 v11, 32, v11
	v_lshrrev_b16_e32 v10, 3, v6
	v_subrev_u32_e32 v12, 28, v11
	v_and_b32_e32 v10, 15, v10
	v_lshlrev_b32_e32 v6, v12, v6
	v_sub_u32_e32 v11, 29, v11
	v_and_b32_e32 v6, 7, v6
	v_cmp_eq_u16_e32 vcc, 0, v10
	v_cndmask_b32_e32 v2, v2, v6, vcc
	v_cndmask_b32_e32 v6, v10, v11, vcc
	v_lshlrev_b32_e32 v10, 16, v7
	v_mov_b32_e32 v11, 0x3b800000
	v_lshlrev_b32_e32 v2, 20, v2
	v_and_b32_e32 v10, 0x80000000, v10
	v_lshl_add_u32 v6, v6, 23, v11
	v_or3_b32 v2, v10, v6, v2
.LBB47_172:
	s_or_b64 exec, exec, s[6:7]
	v_lshrrev_b32_e32 v6, 8, v3
	s_movk_i32 s4, 0x7f
	v_cmp_gt_i16_sdwa s[6:7], v6, s4 src0_sel:BYTE_0 src1_sel:DWORD
	s_mov_b64 s[4:5], 0
                                        ; implicit-def: $sgpr10
	s_and_saveexec_b64 s[8:9], s[6:7]
	s_xor_b64 s[6:7], exec, s[8:9]
	s_cbranch_execnz .LBB47_2221
; %bb.173:
	s_or_saveexec_b64 s[6:7], s[6:7]
	v_mov_b32_e32 v10, s10
	s_xor_b64 exec, exec, s[6:7]
	s_cbranch_execnz .LBB47_2224
.LBB47_174:
	s_or_b64 exec, exec, s[6:7]
	s_and_saveexec_b64 s[6:7], s[4:5]
	s_cbranch_execz .LBB47_176
.LBB47_175:
	v_bfe_u32 v10, v3, 8, 3
	v_ffbh_u32_e32 v12, v10
	v_min_u32_e32 v12, 32, v12
	v_lshrrev_b16_e32 v11, 3, v6
	v_subrev_u32_e32 v13, 28, v12
	v_and_b32_e32 v11, 15, v11
	v_lshlrev_b32_e32 v6, v13, v6
	v_sub_u32_e32 v12, 29, v12
	v_and_b32_e32 v6, 7, v6
	v_cmp_eq_u16_e32 vcc, 0, v11
	v_cndmask_b32_e32 v6, v10, v6, vcc
	v_cndmask_b32_e32 v10, v11, v12, vcc
	v_lshlrev_b32_e32 v11, 16, v3
	v_mov_b32_e32 v12, 0x3b800000
	v_lshlrev_b32_e32 v6, 20, v6
	v_and_b32_e32 v11, 0x80000000, v11
	v_lshl_add_u32 v10, v10, 23, v12
	v_or3_b32 v10, v11, v10, v6
.LBB47_176:
	s_or_b64 exec, exec, s[6:7]
	s_nop 0
	v_mfma_f32_16x16x4f32 a[0:3], v2, v10, a[0:3]
	s_movk_i32 s4, 0xff
	v_and_b32_sdwa v6, v7, s4 dst_sel:DWORD dst_unused:UNUSED_PAD src0_sel:WORD_1 src1_sel:DWORD
	s_movk_i32 s4, 0x7f
	v_cmp_lt_i16_e32 vcc, s4, v6
	s_mov_b64 s[4:5], 0
                                        ; implicit-def: $sgpr10
	s_and_saveexec_b64 s[6:7], vcc
	s_xor_b64 s[6:7], exec, s[6:7]
	s_cbranch_execnz .LBB47_2225
; %bb.177:
	s_or_saveexec_b64 s[6:7], s[6:7]
	v_mov_b32_e32 v2, s10
	s_xor_b64 exec, exec, s[6:7]
	s_cbranch_execnz .LBB47_2228
.LBB47_178:
	s_or_b64 exec, exec, s[6:7]
	s_and_saveexec_b64 s[6:7], s[4:5]
	s_cbranch_execz .LBB47_180
.LBB47_179:
	v_bfe_u32 v2, v7, 16, 3
	v_ffbh_u32_e32 v11, v2
	v_min_u32_e32 v11, 32, v11
	v_lshrrev_b32_e32 v6, 19, v7
	v_subrev_u32_e32 v12, 28, v11
	v_and_b32_e32 v6, 15, v6
	v_lshlrev_b32_sdwa v12, v12, v7 dst_sel:DWORD dst_unused:UNUSED_PAD src0_sel:DWORD src1_sel:WORD_1
	v_bfe_u32 v10, v7, 19, 4
	v_sub_u32_e32 v11, 29, v11
	v_and_b32_e32 v12, 7, v12
	v_cmp_eq_u16_e32 vcc, 0, v6
	v_cndmask_b32_e32 v2, v2, v12, vcc
	v_cndmask_b32_e32 v6, v10, v11, vcc
	v_lshlrev_b32_e32 v10, 8, v7
	v_mov_b32_e32 v11, 0x3b800000
	v_lshlrev_b32_e32 v2, 20, v2
	v_and_b32_e32 v10, 0x80000000, v10
	v_lshl_add_u32 v6, v6, 23, v11
	v_or3_b32 v2, v10, v6, v2
.LBB47_180:
	s_or_b64 exec, exec, s[6:7]
	s_movk_i32 s4, 0xff
	v_and_b32_sdwa v6, v3, s4 dst_sel:DWORD dst_unused:UNUSED_PAD src0_sel:WORD_1 src1_sel:DWORD
	s_movk_i32 s4, 0x7f
	v_cmp_lt_i16_e32 vcc, s4, v6
	s_mov_b64 s[4:5], 0
                                        ; implicit-def: $sgpr10
	s_and_saveexec_b64 s[6:7], vcc
	s_xor_b64 s[6:7], exec, s[6:7]
	s_cbranch_execnz .LBB47_2229
; %bb.181:
	s_or_saveexec_b64 s[6:7], s[6:7]
	v_mov_b32_e32 v10, s10
	s_xor_b64 exec, exec, s[6:7]
	s_cbranch_execnz .LBB47_2232
.LBB47_182:
	s_or_b64 exec, exec, s[6:7]
	s_and_saveexec_b64 s[6:7], s[4:5]
	s_cbranch_execz .LBB47_184
.LBB47_183:
	v_bfe_u32 v6, v3, 16, 3
	v_ffbh_u32_e32 v12, v6
	v_min_u32_e32 v12, 32, v12
	v_lshrrev_b32_e32 v10, 19, v3
	v_subrev_u32_e32 v13, 28, v12
	v_and_b32_e32 v10, 15, v10
	v_lshlrev_b32_sdwa v13, v13, v3 dst_sel:DWORD dst_unused:UNUSED_PAD src0_sel:DWORD src1_sel:WORD_1
	v_bfe_u32 v11, v3, 19, 4
	v_sub_u32_e32 v12, 29, v12
	v_and_b32_e32 v13, 7, v13
	v_cmp_eq_u16_e32 vcc, 0, v10
	v_cndmask_b32_e32 v6, v6, v13, vcc
	v_cndmask_b32_e32 v10, v11, v12, vcc
	v_lshlrev_b32_e32 v11, 8, v3
	v_mov_b32_e32 v12, 0x3b800000
	v_lshlrev_b32_e32 v6, 20, v6
	v_and_b32_e32 v11, 0x80000000, v11
	v_lshl_add_u32 v10, v10, 23, v12
	v_or3_b32 v10, v11, v10, v6
.LBB47_184:
	s_or_b64 exec, exec, s[6:7]
	s_nop 0
	v_mfma_f32_16x16x4f32 a[0:3], v2, v10, a[0:3]
	s_movk_i32 s4, 0x7f
	v_cmp_gt_i16_sdwa s[6:7], v7, s4 src0_sel:BYTE_3 src1_sel:DWORD
	s_mov_b64 s[4:5], 0
                                        ; implicit-def: $sgpr10
	s_and_saveexec_b64 s[8:9], s[6:7]
	s_xor_b64 s[6:7], exec, s[8:9]
	s_cbranch_execnz .LBB47_2233
; %bb.185:
	s_or_saveexec_b64 s[6:7], s[6:7]
	v_mov_b32_e32 v2, s10
	s_xor_b64 exec, exec, s[6:7]
	s_cbranch_execnz .LBB47_2236
.LBB47_186:
	s_or_b64 exec, exec, s[6:7]
	s_and_saveexec_b64 s[6:7], s[4:5]
	s_cbranch_execz .LBB47_188
.LBB47_187:
	v_bfe_u32 v2, v7, 24, 3
	v_ffbh_u32_e32 v12, v2
	v_min_u32_e32 v12, 32, v12
	v_lshrrev_b32_e32 v10, 27, v7
	v_subrev_u32_e32 v13, 28, v12
	v_and_b32_e32 v6, 0x80000000, v7
	v_and_b32_e32 v10, 15, v10
	v_bfe_u32 v11, v7, 27, 4
	v_lshlrev_b32_sdwa v7, v13, v7 dst_sel:DWORD dst_unused:UNUSED_PAD src0_sel:DWORD src1_sel:BYTE_3
	v_sub_u32_e32 v12, 29, v12
	v_and_b32_e32 v7, 7, v7
	v_cmp_eq_u16_e32 vcc, 0, v10
	v_cndmask_b32_e32 v2, v2, v7, vcc
	v_cndmask_b32_e32 v7, v11, v12, vcc
	v_mov_b32_e32 v10, 0x3b800000
	v_lshlrev_b32_e32 v2, 20, v2
	v_lshl_add_u32 v7, v7, 23, v10
	v_or3_b32 v2, v6, v7, v2
.LBB47_188:
	s_or_b64 exec, exec, s[6:7]
	s_movk_i32 s4, 0x7f
	v_cmp_gt_i16_sdwa s[6:7], v3, s4 src0_sel:BYTE_3 src1_sel:DWORD
	s_mov_b64 s[4:5], 0
                                        ; implicit-def: $sgpr10
	s_and_saveexec_b64 s[8:9], s[6:7]
	s_xor_b64 s[6:7], exec, s[8:9]
	s_cbranch_execnz .LBB47_2237
; %bb.189:
	s_or_saveexec_b64 s[6:7], s[6:7]
	v_mov_b32_e32 v6, s10
	s_xor_b64 exec, exec, s[6:7]
	s_cbranch_execnz .LBB47_2240
.LBB47_190:
	s_or_b64 exec, exec, s[6:7]
	s_and_saveexec_b64 s[6:7], s[4:5]
	s_cbranch_execz .LBB47_192
.LBB47_191:
	v_bfe_u32 v6, v3, 24, 3
	v_ffbh_u32_e32 v12, v6
	v_min_u32_e32 v12, 32, v12
	v_lshrrev_b32_e32 v10, 27, v3
	v_subrev_u32_e32 v13, 28, v12
	v_and_b32_e32 v7, 0x80000000, v3
	v_and_b32_e32 v10, 15, v10
	v_bfe_u32 v11, v3, 27, 4
	v_lshlrev_b32_sdwa v3, v13, v3 dst_sel:DWORD dst_unused:UNUSED_PAD src0_sel:DWORD src1_sel:BYTE_3
	v_sub_u32_e32 v12, 29, v12
	v_and_b32_e32 v3, 7, v3
	v_cmp_eq_u16_e32 vcc, 0, v10
	v_cndmask_b32_e32 v3, v6, v3, vcc
	v_cndmask_b32_e32 v6, v11, v12, vcc
	v_mov_b32_e32 v10, 0x3b800000
	v_lshlrev_b32_e32 v3, 20, v3
	v_lshl_add_u32 v6, v6, 23, v10
	v_or3_b32 v6, v7, v6, v3
.LBB47_192:
	s_or_b64 exec, exec, s[6:7]
	s_nop 0
	v_mfma_f32_16x16x4f32 a[0:3], v2, v6, a[0:3]
	s_movk_i32 s4, 0x7f
	v_cmp_gt_i16_sdwa s[6:7], v8, s4 src0_sel:BYTE_0 src1_sel:DWORD
	s_mov_b64 s[4:5], 0
                                        ; implicit-def: $sgpr10
	s_and_saveexec_b64 s[8:9], s[6:7]
	s_xor_b64 s[6:7], exec, s[8:9]
	s_cbranch_execnz .LBB47_2241
; %bb.193:
	s_or_saveexec_b64 s[6:7], s[6:7]
	v_mov_b32_e32 v2, s10
	s_xor_b64 exec, exec, s[6:7]
	s_cbranch_execnz .LBB47_2244
.LBB47_194:
	s_or_b64 exec, exec, s[6:7]
	s_and_saveexec_b64 s[6:7], s[4:5]
	s_cbranch_execz .LBB47_196
.LBB47_195:
	v_and_b32_e32 v2, 7, v8
	v_ffbh_u32_e32 v6, v2
	v_min_u32_e32 v6, 32, v6
	v_lshrrev_b16_e32 v3, 3, v8
	v_subrev_u32_e32 v7, 28, v6
	v_and_b32_e32 v3, 15, v3
	v_lshlrev_b32_e32 v7, v7, v8
	v_sub_u32_e32 v6, 29, v6
	v_and_b32_e32 v7, 7, v7
	v_cmp_eq_u16_e32 vcc, 0, v3
	v_cndmask_b32_e32 v2, v2, v7, vcc
	v_cndmask_b32_e32 v3, v3, v6, vcc
	v_lshlrev_b32_e32 v6, 24, v8
	v_mov_b32_e32 v7, 0x3b800000
	v_lshlrev_b32_e32 v2, 20, v2
	v_and_b32_e32 v6, 0x80000000, v6
	v_lshl_add_u32 v3, v3, 23, v7
	v_or3_b32 v2, v6, v3, v2
.LBB47_196:
	s_or_b64 exec, exec, s[6:7]
	s_movk_i32 s4, 0x7f
	v_cmp_gt_i16_sdwa s[6:7], v4, s4 src0_sel:BYTE_0 src1_sel:DWORD
	s_mov_b64 s[4:5], 0
                                        ; implicit-def: $sgpr10
	s_and_saveexec_b64 s[8:9], s[6:7]
	s_xor_b64 s[6:7], exec, s[8:9]
	s_cbranch_execnz .LBB47_2245
; %bb.197:
	s_or_saveexec_b64 s[6:7], s[6:7]
	v_mov_b32_e32 v3, s10
	s_xor_b64 exec, exec, s[6:7]
	s_cbranch_execnz .LBB47_2248
.LBB47_198:
	s_or_b64 exec, exec, s[6:7]
	s_and_saveexec_b64 s[6:7], s[4:5]
	s_cbranch_execz .LBB47_200
.LBB47_199:
	v_and_b32_e32 v3, 7, v4
	v_ffbh_u32_e32 v7, v3
	v_min_u32_e32 v7, 32, v7
	v_lshrrev_b16_e32 v6, 3, v4
	v_subrev_u32_e32 v10, 28, v7
	v_and_b32_e32 v6, 15, v6
	v_lshlrev_b32_e32 v10, v10, v4
	v_sub_u32_e32 v7, 29, v7
	v_and_b32_e32 v10, 7, v10
	v_cmp_eq_u16_e32 vcc, 0, v6
	v_cndmask_b32_e32 v3, v3, v10, vcc
	v_cndmask_b32_e32 v6, v6, v7, vcc
	v_lshlrev_b32_e32 v7, 24, v4
	v_mov_b32_e32 v10, 0x3b800000
	v_lshlrev_b32_e32 v3, 20, v3
	v_and_b32_e32 v7, 0x80000000, v7
	v_lshl_add_u32 v6, v6, 23, v10
	v_or3_b32 v3, v7, v6, v3
.LBB47_200:
	s_or_b64 exec, exec, s[6:7]
	s_nop 0
	v_mfma_f32_16x16x4f32 a[0:3], v2, v3, a[0:3]
	v_lshrrev_b32_e32 v3, 8, v8
	s_movk_i32 s4, 0x7f
	v_cmp_gt_i16_sdwa s[6:7], v3, s4 src0_sel:BYTE_0 src1_sel:DWORD
	s_mov_b64 s[4:5], 0
                                        ; implicit-def: $sgpr10
	s_and_saveexec_b64 s[8:9], s[6:7]
	s_xor_b64 s[6:7], exec, s[8:9]
	s_cbranch_execnz .LBB47_2249
; %bb.201:
	s_or_saveexec_b64 s[6:7], s[6:7]
	v_mov_b32_e32 v2, s10
	s_xor_b64 exec, exec, s[6:7]
	s_cbranch_execnz .LBB47_2252
.LBB47_202:
	s_or_b64 exec, exec, s[6:7]
	s_and_saveexec_b64 s[6:7], s[4:5]
	s_cbranch_execz .LBB47_204
.LBB47_203:
	v_bfe_u32 v2, v8, 8, 3
	v_ffbh_u32_e32 v7, v2
	v_min_u32_e32 v7, 32, v7
	v_lshrrev_b16_e32 v6, 3, v3
	v_subrev_u32_e32 v10, 28, v7
	v_and_b32_e32 v6, 15, v6
	v_lshlrev_b32_e32 v3, v10, v3
	v_sub_u32_e32 v7, 29, v7
	v_and_b32_e32 v3, 7, v3
	v_cmp_eq_u16_e32 vcc, 0, v6
	v_cndmask_b32_e32 v2, v2, v3, vcc
	v_cndmask_b32_e32 v3, v6, v7, vcc
	v_lshlrev_b32_e32 v6, 16, v8
	v_mov_b32_e32 v7, 0x3b800000
	v_lshlrev_b32_e32 v2, 20, v2
	v_and_b32_e32 v6, 0x80000000, v6
	v_lshl_add_u32 v3, v3, 23, v7
	v_or3_b32 v2, v6, v3, v2
.LBB47_204:
	s_or_b64 exec, exec, s[6:7]
	v_lshrrev_b32_e32 v3, 8, v4
	s_movk_i32 s4, 0x7f
	v_cmp_gt_i16_sdwa s[6:7], v3, s4 src0_sel:BYTE_0 src1_sel:DWORD
	s_mov_b64 s[4:5], 0
                                        ; implicit-def: $sgpr10
	s_and_saveexec_b64 s[8:9], s[6:7]
	s_xor_b64 s[6:7], exec, s[8:9]
	s_cbranch_execnz .LBB47_2253
; %bb.205:
	s_or_saveexec_b64 s[6:7], s[6:7]
	v_mov_b32_e32 v6, s10
	s_xor_b64 exec, exec, s[6:7]
	s_cbranch_execnz .LBB47_2256
.LBB47_206:
	s_or_b64 exec, exec, s[6:7]
	s_and_saveexec_b64 s[6:7], s[4:5]
	s_cbranch_execz .LBB47_208
.LBB47_207:
	v_bfe_u32 v6, v4, 8, 3
	v_ffbh_u32_e32 v10, v6
	v_min_u32_e32 v10, 32, v10
	v_lshrrev_b16_e32 v7, 3, v3
	v_subrev_u32_e32 v11, 28, v10
	v_and_b32_e32 v7, 15, v7
	v_lshlrev_b32_e32 v3, v11, v3
	v_sub_u32_e32 v10, 29, v10
	v_and_b32_e32 v3, 7, v3
	v_cmp_eq_u16_e32 vcc, 0, v7
	v_cndmask_b32_e32 v3, v6, v3, vcc
	v_cndmask_b32_e32 v6, v7, v10, vcc
	v_lshlrev_b32_e32 v7, 16, v4
	v_mov_b32_e32 v10, 0x3b800000
	v_lshlrev_b32_e32 v3, 20, v3
	v_and_b32_e32 v7, 0x80000000, v7
	v_lshl_add_u32 v6, v6, 23, v10
	v_or3_b32 v6, v7, v6, v3
.LBB47_208:
	s_or_b64 exec, exec, s[6:7]
	s_nop 0
	v_mfma_f32_16x16x4f32 a[0:3], v2, v6, a[0:3]
	s_movk_i32 s4, 0xff
	v_and_b32_sdwa v3, v8, s4 dst_sel:DWORD dst_unused:UNUSED_PAD src0_sel:WORD_1 src1_sel:DWORD
	s_movk_i32 s4, 0x7f
	v_cmp_lt_i16_e32 vcc, s4, v3
	s_mov_b64 s[4:5], 0
                                        ; implicit-def: $sgpr10
	s_and_saveexec_b64 s[6:7], vcc
	s_xor_b64 s[6:7], exec, s[6:7]
	s_cbranch_execnz .LBB47_2257
; %bb.209:
	s_or_saveexec_b64 s[6:7], s[6:7]
	v_mov_b32_e32 v2, s10
	s_xor_b64 exec, exec, s[6:7]
	s_cbranch_execnz .LBB47_2260
.LBB47_210:
	s_or_b64 exec, exec, s[6:7]
	s_and_saveexec_b64 s[6:7], s[4:5]
	s_cbranch_execz .LBB47_212
.LBB47_211:
	v_bfe_u32 v2, v8, 16, 3
	v_ffbh_u32_e32 v7, v2
	v_min_u32_e32 v7, 32, v7
	v_lshrrev_b32_e32 v3, 19, v8
	v_subrev_u32_e32 v10, 28, v7
	v_and_b32_e32 v3, 15, v3
	v_lshlrev_b32_sdwa v10, v10, v8 dst_sel:DWORD dst_unused:UNUSED_PAD src0_sel:DWORD src1_sel:WORD_1
	v_bfe_u32 v6, v8, 19, 4
	v_sub_u32_e32 v7, 29, v7
	v_and_b32_e32 v10, 7, v10
	v_cmp_eq_u16_e32 vcc, 0, v3
	v_cndmask_b32_e32 v2, v2, v10, vcc
	v_cndmask_b32_e32 v3, v6, v7, vcc
	v_lshlrev_b32_e32 v6, 8, v8
	v_mov_b32_e32 v7, 0x3b800000
	v_lshlrev_b32_e32 v2, 20, v2
	v_and_b32_e32 v6, 0x80000000, v6
	v_lshl_add_u32 v3, v3, 23, v7
	v_or3_b32 v2, v6, v3, v2
.LBB47_212:
	s_or_b64 exec, exec, s[6:7]
	s_movk_i32 s4, 0xff
	v_and_b32_sdwa v3, v4, s4 dst_sel:DWORD dst_unused:UNUSED_PAD src0_sel:WORD_1 src1_sel:DWORD
	s_movk_i32 s4, 0x7f
	v_cmp_lt_i16_e32 vcc, s4, v3
	s_mov_b64 s[4:5], 0
                                        ; implicit-def: $sgpr10
	s_and_saveexec_b64 s[6:7], vcc
	s_xor_b64 s[6:7], exec, s[6:7]
	s_cbranch_execnz .LBB47_2261
; %bb.213:
	s_or_saveexec_b64 s[6:7], s[6:7]
	v_mov_b32_e32 v6, s10
	s_xor_b64 exec, exec, s[6:7]
	s_cbranch_execnz .LBB47_2264
.LBB47_214:
	s_or_b64 exec, exec, s[6:7]
	s_and_saveexec_b64 s[6:7], s[4:5]
	s_cbranch_execz .LBB47_216
.LBB47_215:
	v_bfe_u32 v3, v4, 16, 3
	v_ffbh_u32_e32 v10, v3
	v_min_u32_e32 v10, 32, v10
	v_lshrrev_b32_e32 v6, 19, v4
	v_subrev_u32_e32 v11, 28, v10
	v_and_b32_e32 v6, 15, v6
	v_lshlrev_b32_sdwa v11, v11, v4 dst_sel:DWORD dst_unused:UNUSED_PAD src0_sel:DWORD src1_sel:WORD_1
	v_bfe_u32 v7, v4, 19, 4
	v_sub_u32_e32 v10, 29, v10
	v_and_b32_e32 v11, 7, v11
	v_cmp_eq_u16_e32 vcc, 0, v6
	v_cndmask_b32_e32 v3, v3, v11, vcc
	v_cndmask_b32_e32 v6, v7, v10, vcc
	v_lshlrev_b32_e32 v7, 8, v4
	v_mov_b32_e32 v10, 0x3b800000
	v_lshlrev_b32_e32 v3, 20, v3
	v_and_b32_e32 v7, 0x80000000, v7
	v_lshl_add_u32 v6, v6, 23, v10
	v_or3_b32 v6, v7, v6, v3
.LBB47_216:
	s_or_b64 exec, exec, s[6:7]
	s_nop 0
	v_mfma_f32_16x16x4f32 a[0:3], v2, v6, a[0:3]
	s_movk_i32 s4, 0x7f
	v_cmp_gt_i16_sdwa s[6:7], v8, s4 src0_sel:BYTE_3 src1_sel:DWORD
	s_mov_b64 s[4:5], 0
                                        ; implicit-def: $sgpr10
	s_and_saveexec_b64 s[8:9], s[6:7]
	s_xor_b64 s[6:7], exec, s[8:9]
	s_cbranch_execnz .LBB47_2265
; %bb.217:
	s_or_saveexec_b64 s[6:7], s[6:7]
	v_mov_b32_e32 v2, s10
	s_xor_b64 exec, exec, s[6:7]
	s_cbranch_execnz .LBB47_2268
.LBB47_218:
	s_or_b64 exec, exec, s[6:7]
	s_and_saveexec_b64 s[6:7], s[4:5]
	s_cbranch_execz .LBB47_220
.LBB47_219:
	v_bfe_u32 v2, v8, 24, 3
	v_ffbh_u32_e32 v10, v2
	v_min_u32_e32 v10, 32, v10
	v_lshrrev_b32_e32 v6, 27, v8
	v_subrev_u32_e32 v11, 28, v10
	v_and_b32_e32 v3, 0x80000000, v8
	v_and_b32_e32 v6, 15, v6
	v_bfe_u32 v7, v8, 27, 4
	v_lshlrev_b32_sdwa v8, v11, v8 dst_sel:DWORD dst_unused:UNUSED_PAD src0_sel:DWORD src1_sel:BYTE_3
	v_sub_u32_e32 v10, 29, v10
	v_and_b32_e32 v8, 7, v8
	v_cmp_eq_u16_e32 vcc, 0, v6
	v_cndmask_b32_e32 v2, v2, v8, vcc
	v_cndmask_b32_e32 v6, v7, v10, vcc
	v_mov_b32_e32 v7, 0x3b800000
	v_lshlrev_b32_e32 v2, 20, v2
	v_lshl_add_u32 v6, v6, 23, v7
	v_or3_b32 v2, v3, v6, v2
.LBB47_220:
	s_or_b64 exec, exec, s[6:7]
	s_movk_i32 s4, 0x7f
	v_cmp_gt_i16_sdwa s[6:7], v4, s4 src0_sel:BYTE_3 src1_sel:DWORD
	s_mov_b64 s[4:5], 0
                                        ; implicit-def: $sgpr10
	s_and_saveexec_b64 s[8:9], s[6:7]
	s_xor_b64 s[6:7], exec, s[8:9]
	s_cbranch_execnz .LBB47_2269
; %bb.221:
	s_or_saveexec_b64 s[6:7], s[6:7]
	v_mov_b32_e32 v3, s10
	s_xor_b64 exec, exec, s[6:7]
	s_cbranch_execnz .LBB47_2272
.LBB47_222:
	s_or_b64 exec, exec, s[6:7]
	s_and_saveexec_b64 s[6:7], s[4:5]
	s_cbranch_execz .LBB47_224
.LBB47_223:
	v_bfe_u32 v3, v4, 24, 3
	v_ffbh_u32_e32 v10, v3
	v_min_u32_e32 v10, 32, v10
	v_lshrrev_b32_e32 v7, 27, v4
	v_subrev_u32_e32 v11, 28, v10
	v_and_b32_e32 v6, 0x80000000, v4
	v_and_b32_e32 v7, 15, v7
	v_bfe_u32 v8, v4, 27, 4
	v_lshlrev_b32_sdwa v4, v11, v4 dst_sel:DWORD dst_unused:UNUSED_PAD src0_sel:DWORD src1_sel:BYTE_3
	v_sub_u32_e32 v10, 29, v10
	v_and_b32_e32 v4, 7, v4
	v_cmp_eq_u16_e32 vcc, 0, v7
	v_cndmask_b32_e32 v3, v3, v4, vcc
	v_cndmask_b32_e32 v4, v8, v10, vcc
	v_mov_b32_e32 v7, 0x3b800000
	v_lshlrev_b32_e32 v3, 20, v3
	v_lshl_add_u32 v4, v4, 23, v7
	v_or3_b32 v3, v6, v4, v3
.LBB47_224:
	s_or_b64 exec, exec, s[6:7]
	s_nop 0
	v_mfma_f32_16x16x4f32 a[0:3], v2, v3, a[0:3]
	s_movk_i32 s4, 0x7f
	v_cmp_gt_i16_sdwa s[6:7], v9, s4 src0_sel:BYTE_0 src1_sel:DWORD
	s_mov_b64 s[4:5], 0
                                        ; implicit-def: $sgpr10
	s_and_saveexec_b64 s[8:9], s[6:7]
	s_xor_b64 s[6:7], exec, s[8:9]
	s_cbranch_execnz .LBB47_2273
; %bb.225:
	s_or_saveexec_b64 s[6:7], s[6:7]
	v_mov_b32_e32 v2, s10
	s_xor_b64 exec, exec, s[6:7]
	s_cbranch_execnz .LBB47_2276
.LBB47_226:
	s_or_b64 exec, exec, s[6:7]
	s_and_saveexec_b64 s[6:7], s[4:5]
	s_cbranch_execz .LBB47_228
.LBB47_227:
	v_mov_b32_e32 v2, 8
	v_and_b32_e32 v3, 7, v9
	v_lshrrev_b32_sdwa v2, v2, v9 dst_sel:BYTE_1 dst_unused:UNUSED_PAD src0_sel:DWORD src1_sel:DWORD
	v_ffbh_u32_e32 v4, v3
	v_or_b32_sdwa v2, v9, v2 dst_sel:DWORD dst_unused:UNUSED_PAD src0_sel:BYTE_0 src1_sel:DWORD
	v_min_u32_e32 v4, 32, v4
	v_lshrrev_b16_e32 v2, 3, v2
	v_subrev_u32_e32 v6, 28, v4
	v_and_b32_e32 v2, 15, v2
	v_lshlrev_b32_e32 v6, v6, v9
	v_sub_u32_e32 v4, 29, v4
	v_and_b32_e32 v6, 7, v6
	v_cmp_eq_u16_e32 vcc, 0, v2
	v_cndmask_b32_e32 v3, v3, v6, vcc
	v_cndmask_b32_e32 v2, v2, v4, vcc
	v_lshlrev_b32_e32 v4, 24, v9
	v_mov_b32_e32 v6, 0x3b800000
	v_lshlrev_b32_e32 v3, 20, v3
	v_and_b32_e32 v4, 0x80000000, v4
	v_lshl_add_u32 v2, v2, 23, v6
	v_or3_b32 v2, v4, v2, v3
.LBB47_228:
	s_or_b64 exec, exec, s[6:7]
	s_movk_i32 s4, 0x7f
	v_cmp_gt_i16_sdwa s[6:7], v5, s4 src0_sel:BYTE_0 src1_sel:DWORD
	s_mov_b64 s[4:5], 0
                                        ; implicit-def: $sgpr10
	s_and_saveexec_b64 s[8:9], s[6:7]
	s_xor_b64 s[6:7], exec, s[8:9]
	s_cbranch_execnz .LBB47_2277
; %bb.229:
	s_or_saveexec_b64 s[6:7], s[6:7]
	v_mov_b32_e32 v3, s10
	s_xor_b64 exec, exec, s[6:7]
	s_cbranch_execnz .LBB47_2280
.LBB47_230:
	s_or_b64 exec, exec, s[6:7]
	s_and_saveexec_b64 s[6:7], s[4:5]
	s_cbranch_execz .LBB47_232
.LBB47_231:
	v_mov_b32_e32 v3, 8
	v_and_b32_e32 v4, 7, v5
	v_lshrrev_b32_sdwa v3, v3, v5 dst_sel:BYTE_1 dst_unused:UNUSED_PAD src0_sel:DWORD src1_sel:DWORD
	v_ffbh_u32_e32 v6, v4
	v_or_b32_sdwa v3, v5, v3 dst_sel:DWORD dst_unused:UNUSED_PAD src0_sel:BYTE_0 src1_sel:DWORD
	v_min_u32_e32 v6, 32, v6
	v_lshrrev_b16_e32 v3, 3, v3
	v_subrev_u32_e32 v7, 28, v6
	v_and_b32_e32 v3, 15, v3
	v_lshlrev_b32_e32 v7, v7, v5
	v_sub_u32_e32 v6, 29, v6
	v_and_b32_e32 v7, 7, v7
	v_cmp_eq_u16_e32 vcc, 0, v3
	v_cndmask_b32_e32 v4, v4, v7, vcc
	v_cndmask_b32_e32 v3, v3, v6, vcc
	v_lshlrev_b32_e32 v6, 24, v5
	v_mov_b32_e32 v7, 0x3b800000
	v_lshlrev_b32_e32 v4, 20, v4
	v_and_b32_e32 v6, 0x80000000, v6
	v_lshl_add_u32 v3, v3, 23, v7
	v_or3_b32 v3, v6, v3, v4
.LBB47_232:
	s_or_b64 exec, exec, s[6:7]
	s_nop 0
	v_mfma_f32_16x16x4f32 a[0:3], v2, v3, a[0:3]
	v_lshrrev_b32_e32 v3, 8, v9
	s_movk_i32 s4, 0x7f
	v_cmp_gt_i16_sdwa s[6:7], v3, s4 src0_sel:BYTE_0 src1_sel:DWORD
	s_mov_b64 s[4:5], 0
                                        ; implicit-def: $sgpr10
	s_and_saveexec_b64 s[8:9], s[6:7]
	s_xor_b64 s[6:7], exec, s[8:9]
	s_cbranch_execnz .LBB47_2281
; %bb.233:
	s_or_saveexec_b64 s[6:7], s[6:7]
	v_mov_b32_e32 v2, s10
	s_xor_b64 exec, exec, s[6:7]
	s_cbranch_execnz .LBB47_2284
.LBB47_234:
	s_or_b64 exec, exec, s[6:7]
	s_and_saveexec_b64 s[6:7], s[4:5]
	s_cbranch_execz .LBB47_236
.LBB47_235:
	v_bfe_u32 v2, v9, 8, 3
	v_ffbh_u32_e32 v6, v2
	v_min_u32_e32 v6, 32, v6
	v_lshrrev_b16_e32 v4, 3, v3
	v_subrev_u32_e32 v7, 28, v6
	v_and_b32_e32 v4, 15, v4
	v_lshlrev_b32_e32 v3, v7, v3
	v_sub_u32_e32 v6, 29, v6
	v_and_b32_e32 v3, 7, v3
	v_cmp_eq_u16_e32 vcc, 0, v4
	v_cndmask_b32_e32 v2, v2, v3, vcc
	v_cndmask_b32_e32 v3, v4, v6, vcc
	v_lshlrev_b32_e32 v4, 16, v9
	v_mov_b32_e32 v6, 0x3b800000
	v_lshlrev_b32_e32 v2, 20, v2
	v_and_b32_e32 v4, 0x80000000, v4
	v_lshl_add_u32 v3, v3, 23, v6
	v_or3_b32 v2, v4, v3, v2
.LBB47_236:
	s_or_b64 exec, exec, s[6:7]
	v_lshrrev_b32_e32 v3, 8, v5
	s_movk_i32 s4, 0x7f
	v_cmp_gt_i16_sdwa s[6:7], v3, s4 src0_sel:BYTE_0 src1_sel:DWORD
	s_mov_b64 s[4:5], 0
                                        ; implicit-def: $sgpr10
	s_and_saveexec_b64 s[8:9], s[6:7]
	s_xor_b64 s[6:7], exec, s[8:9]
	s_cbranch_execnz .LBB47_2285
; %bb.237:
	s_or_saveexec_b64 s[6:7], s[6:7]
	v_mov_b32_e32 v4, s10
	s_xor_b64 exec, exec, s[6:7]
	s_cbranch_execnz .LBB47_2288
.LBB47_238:
	s_or_b64 exec, exec, s[6:7]
	s_and_saveexec_b64 s[6:7], s[4:5]
	s_cbranch_execz .LBB47_240
.LBB47_239:
	v_bfe_u32 v4, v5, 8, 3
	v_ffbh_u32_e32 v7, v4
	v_min_u32_e32 v7, 32, v7
	v_lshrrev_b16_e32 v6, 3, v3
	v_subrev_u32_e32 v8, 28, v7
	v_and_b32_e32 v6, 15, v6
	v_lshlrev_b32_e32 v3, v8, v3
	v_sub_u32_e32 v7, 29, v7
	v_and_b32_e32 v3, 7, v3
	v_cmp_eq_u16_e32 vcc, 0, v6
	v_cndmask_b32_e32 v3, v4, v3, vcc
	v_cndmask_b32_e32 v4, v6, v7, vcc
	v_lshlrev_b32_e32 v6, 16, v5
	v_mov_b32_e32 v7, 0x3b800000
	v_lshlrev_b32_e32 v3, 20, v3
	v_and_b32_e32 v6, 0x80000000, v6
	v_lshl_add_u32 v4, v4, 23, v7
	v_or3_b32 v4, v6, v4, v3
.LBB47_240:
	s_or_b64 exec, exec, s[6:7]
	s_nop 0
	v_mfma_f32_16x16x4f32 a[0:3], v2, v4, a[0:3]
	s_movk_i32 s4, 0xff
	v_and_b32_sdwa v3, v9, s4 dst_sel:DWORD dst_unused:UNUSED_PAD src0_sel:WORD_1 src1_sel:DWORD
	s_movk_i32 s4, 0x7f
	v_cmp_lt_i16_e32 vcc, s4, v3
	s_mov_b64 s[4:5], 0
                                        ; implicit-def: $sgpr10
	s_and_saveexec_b64 s[6:7], vcc
	s_xor_b64 s[6:7], exec, s[6:7]
	s_cbranch_execnz .LBB47_2289
; %bb.241:
	s_or_saveexec_b64 s[6:7], s[6:7]
	v_mov_b32_e32 v2, s10
	s_xor_b64 exec, exec, s[6:7]
	s_cbranch_execnz .LBB47_2292
.LBB47_242:
	s_or_b64 exec, exec, s[6:7]
	s_and_saveexec_b64 s[6:7], s[4:5]
	s_cbranch_execz .LBB47_244
.LBB47_243:
	v_bfe_u32 v2, v9, 16, 3
	v_ffbh_u32_e32 v6, v2
	v_min_u32_e32 v6, 32, v6
	v_lshrrev_b32_e32 v3, 19, v9
	v_subrev_u32_e32 v7, 28, v6
	v_and_b32_e32 v3, 15, v3
	v_lshlrev_b32_sdwa v7, v7, v9 dst_sel:DWORD dst_unused:UNUSED_PAD src0_sel:DWORD src1_sel:WORD_1
	v_bfe_u32 v4, v9, 19, 4
	v_sub_u32_e32 v6, 29, v6
	v_and_b32_e32 v7, 7, v7
	v_cmp_eq_u16_e32 vcc, 0, v3
	v_cndmask_b32_e32 v2, v2, v7, vcc
	v_cndmask_b32_e32 v3, v4, v6, vcc
	v_lshlrev_b32_e32 v4, 8, v9
	v_mov_b32_e32 v6, 0x3b800000
	v_lshlrev_b32_e32 v2, 20, v2
	v_and_b32_e32 v4, 0x80000000, v4
	v_lshl_add_u32 v3, v3, 23, v6
	v_or3_b32 v2, v4, v3, v2
.LBB47_244:
	s_or_b64 exec, exec, s[6:7]
	s_movk_i32 s4, 0xff
	v_and_b32_sdwa v3, v5, s4 dst_sel:DWORD dst_unused:UNUSED_PAD src0_sel:WORD_1 src1_sel:DWORD
	s_movk_i32 s4, 0x7f
	v_cmp_lt_i16_e32 vcc, s4, v3
	s_mov_b64 s[4:5], 0
                                        ; implicit-def: $sgpr10
	s_and_saveexec_b64 s[6:7], vcc
	s_xor_b64 s[6:7], exec, s[6:7]
	s_cbranch_execnz .LBB47_2293
; %bb.245:
	s_or_saveexec_b64 s[6:7], s[6:7]
	v_mov_b32_e32 v4, s10
	s_xor_b64 exec, exec, s[6:7]
	s_cbranch_execnz .LBB47_2296
.LBB47_246:
	s_or_b64 exec, exec, s[6:7]
	s_and_saveexec_b64 s[6:7], s[4:5]
	s_cbranch_execz .LBB47_248
.LBB47_247:
	v_bfe_u32 v3, v5, 16, 3
	v_ffbh_u32_e32 v7, v3
	v_min_u32_e32 v7, 32, v7
	v_lshrrev_b32_e32 v4, 19, v5
	v_subrev_u32_e32 v8, 28, v7
	v_and_b32_e32 v4, 15, v4
	v_lshlrev_b32_sdwa v8, v8, v5 dst_sel:DWORD dst_unused:UNUSED_PAD src0_sel:DWORD src1_sel:WORD_1
	v_bfe_u32 v6, v5, 19, 4
	v_sub_u32_e32 v7, 29, v7
	v_and_b32_e32 v8, 7, v8
	v_cmp_eq_u16_e32 vcc, 0, v4
	v_cndmask_b32_e32 v3, v3, v8, vcc
	v_cndmask_b32_e32 v4, v6, v7, vcc
	v_lshlrev_b32_e32 v6, 8, v5
	v_mov_b32_e32 v7, 0x3b800000
	v_lshlrev_b32_e32 v3, 20, v3
	v_and_b32_e32 v6, 0x80000000, v6
	v_lshl_add_u32 v4, v4, 23, v7
	v_or3_b32 v4, v6, v4, v3
.LBB47_248:
	s_or_b64 exec, exec, s[6:7]
	s_nop 0
	v_mfma_f32_16x16x4f32 a[0:3], v2, v4, a[0:3]
	s_movk_i32 s4, 0x7f
	v_cmp_gt_i16_sdwa s[6:7], v9, s4 src0_sel:BYTE_3 src1_sel:DWORD
	s_mov_b64 s[4:5], 0
                                        ; implicit-def: $sgpr10
	s_and_saveexec_b64 s[8:9], s[6:7]
	s_xor_b64 s[6:7], exec, s[8:9]
	s_cbranch_execnz .LBB47_2297
; %bb.249:
	s_or_saveexec_b64 s[6:7], s[6:7]
	v_mov_b32_e32 v2, s10
	s_xor_b64 exec, exec, s[6:7]
	s_cbranch_execnz .LBB47_2300
.LBB47_250:
	s_or_b64 exec, exec, s[6:7]
	s_and_saveexec_b64 s[6:7], s[4:5]
	s_cbranch_execz .LBB47_252
.LBB47_251:
	v_bfe_u32 v2, v9, 24, 3
	v_ffbh_u32_e32 v7, v2
	v_min_u32_e32 v7, 32, v7
	v_lshrrev_b32_e32 v4, 27, v9
	v_subrev_u32_e32 v8, 28, v7
	v_and_b32_e32 v4, 15, v4
	v_lshlrev_b32_sdwa v8, v8, v9 dst_sel:DWORD dst_unused:UNUSED_PAD src0_sel:DWORD src1_sel:BYTE_3
	v_bfe_u32 v6, v9, 27, 4
	v_sub_u32_e32 v7, 29, v7
	v_and_b32_e32 v8, 7, v8
	v_cmp_eq_u16_e32 vcc, 0, v4
	v_cndmask_b32_e32 v2, v2, v8, vcc
	v_cndmask_b32_e32 v4, v6, v7, vcc
	v_mov_b32_e32 v6, 0x3b800000
	v_and_b32_e32 v3, 0x80000000, v9
	v_lshlrev_b32_e32 v2, 20, v2
	v_lshl_add_u32 v4, v4, 23, v6
	v_or3_b32 v2, v3, v4, v2
.LBB47_252:
	s_or_b64 exec, exec, s[6:7]
	s_movk_i32 s4, 0x7f
	v_cmp_gt_i16_sdwa s[6:7], v5, s4 src0_sel:BYTE_3 src1_sel:DWORD
	s_mov_b64 s[4:5], 0
                                        ; implicit-def: $sgpr10
	s_and_saveexec_b64 s[8:9], s[6:7]
	s_xor_b64 s[6:7], exec, s[8:9]
	s_cbranch_execnz .LBB47_2301
; %bb.253:
	s_or_saveexec_b64 s[6:7], s[6:7]
	v_mov_b32_e32 v3, s10
	s_xor_b64 exec, exec, s[6:7]
	s_cbranch_execnz .LBB47_2304
.LBB47_254:
	s_or_b64 exec, exec, s[6:7]
	s_and_saveexec_b64 s[6:7], s[4:5]
	s_cbranch_execz .LBB47_256
.LBB47_255:
	v_bfe_u32 v3, v5, 24, 3
	v_ffbh_u32_e32 v8, v3
	v_min_u32_e32 v8, 32, v8
	v_lshrrev_b32_e32 v6, 27, v5
	v_subrev_u32_e32 v9, 28, v8
	v_and_b32_e32 v4, 0x80000000, v5
	v_and_b32_e32 v6, 15, v6
	v_bfe_u32 v7, v5, 27, 4
	v_lshlrev_b32_sdwa v5, v9, v5 dst_sel:DWORD dst_unused:UNUSED_PAD src0_sel:DWORD src1_sel:BYTE_3
	v_sub_u32_e32 v8, 29, v8
	v_and_b32_e32 v5, 7, v5
	v_cmp_eq_u16_e32 vcc, 0, v6
	v_cndmask_b32_e32 v3, v3, v5, vcc
	v_cndmask_b32_e32 v5, v7, v8, vcc
	v_mov_b32_e32 v6, 0x3b800000
	v_lshlrev_b32_e32 v3, 20, v3
	v_lshl_add_u32 v5, v5, 23, v6
	v_or3_b32 v3, v4, v5, v3
.LBB47_256:
	s_or_b64 exec, exec, s[6:7]
	s_nop 0
	v_mfma_f32_16x16x4f32 a[0:3], v2, v3, a[0:3]
	s_movk_i32 s4, 0x7f
                                        ; implicit-def: $sgpr10
	s_nop 7
	s_nop 1
	flat_store_dwordx4 v[18:19], a[0:3] offset:384
	flat_load_dwordx4 v[20:23], v[0:1] offset:8
	s_nop 0
	flat_load_dwordx2 v[18:19], v[0:1] offset:24
	s_waitcnt vmcnt(0) lgkmcnt(0)
	flat_load_dwordx4 v[14:17], v[20:21] offset:32
	flat_load_dwordx4 v[10:13], v[22:23] offset:32
	;; [unrolled: 1-line block ×4, first 2 shown]
	s_waitcnt vmcnt(0) lgkmcnt(0)
	v_cmp_gt_i16_sdwa s[6:7], v14, s4 src0_sel:BYTE_0 src1_sel:DWORD
	s_mov_b64 s[4:5], 0
	s_and_saveexec_b64 s[8:9], s[6:7]
	s_xor_b64 s[6:7], exec, s[8:9]
	s_cbranch_execnz .LBB47_2305
; %bb.257:
	s_or_saveexec_b64 s[6:7], s[6:7]
	v_mov_b32_e32 v20, s10
	s_xor_b64 exec, exec, s[6:7]
	s_cbranch_execnz .LBB47_2308
.LBB47_258:
	s_or_b64 exec, exec, s[6:7]
	s_and_saveexec_b64 s[6:7], s[4:5]
	s_cbranch_execz .LBB47_260
.LBB47_259:
	v_and_b32_e32 v20, 7, v14
	v_ffbh_u32_e32 v22, v20
	v_min_u32_e32 v22, 32, v22
	v_lshrrev_b16_e32 v21, 3, v14
	v_subrev_u32_e32 v23, 28, v22
	v_and_b32_e32 v21, 15, v21
	v_lshlrev_b32_e32 v23, v23, v14
	v_sub_u32_e32 v22, 29, v22
	v_and_b32_e32 v23, 7, v23
	v_cmp_eq_u16_e32 vcc, 0, v21
	v_cndmask_b32_e32 v20, v20, v23, vcc
	v_cndmask_b32_e32 v21, v21, v22, vcc
	v_lshlrev_b32_e32 v22, 24, v14
	v_mov_b32_e32 v23, 0x3b800000
	v_lshlrev_b32_e32 v20, 20, v20
	v_and_b32_e32 v22, 0x80000000, v22
	v_lshl_add_u32 v21, v21, 23, v23
	v_or3_b32 v20, v22, v21, v20
.LBB47_260:
	s_or_b64 exec, exec, s[6:7]
	s_movk_i32 s4, 0x7f
	v_cmp_gt_i16_sdwa s[6:7], v10, s4 src0_sel:BYTE_0 src1_sel:DWORD
	s_mov_b64 s[4:5], 0
                                        ; implicit-def: $sgpr10
	s_and_saveexec_b64 s[8:9], s[6:7]
	s_xor_b64 s[6:7], exec, s[8:9]
	s_cbranch_execnz .LBB47_2309
; %bb.261:
	s_or_saveexec_b64 s[6:7], s[6:7]
	v_mov_b32_e32 v21, s10
	s_xor_b64 exec, exec, s[6:7]
	s_cbranch_execnz .LBB47_2312
.LBB47_262:
	s_or_b64 exec, exec, s[6:7]
	s_and_saveexec_b64 s[6:7], s[4:5]
	s_cbranch_execz .LBB47_264
.LBB47_263:
	v_and_b32_e32 v21, 7, v10
	v_ffbh_u32_e32 v23, v21
	v_min_u32_e32 v23, 32, v23
	v_lshrrev_b16_e32 v22, 3, v10
	v_subrev_u32_e32 v24, 28, v23
	v_and_b32_e32 v22, 15, v22
	v_lshlrev_b32_e32 v24, v24, v10
	v_sub_u32_e32 v23, 29, v23
	v_and_b32_e32 v24, 7, v24
	v_cmp_eq_u16_e32 vcc, 0, v22
	v_cndmask_b32_e32 v21, v21, v24, vcc
	v_cndmask_b32_e32 v22, v22, v23, vcc
	v_lshlrev_b32_e32 v23, 24, v10
	v_mov_b32_e32 v24, 0x3b800000
	v_lshlrev_b32_e32 v21, 20, v21
	v_and_b32_e32 v23, 0x80000000, v23
	v_lshl_add_u32 v22, v22, 23, v24
	v_or3_b32 v21, v23, v22, v21
.LBB47_264:
	s_or_b64 exec, exec, s[6:7]
	flat_load_dwordx4 a[0:3], v[18:19] offset:400
	s_movk_i32 s4, 0x7f
                                        ; implicit-def: $sgpr10
	s_waitcnt vmcnt(0) lgkmcnt(0)
	v_mfma_f32_16x16x4f32 a[0:3], v20, v21, a[0:3]
	v_lshrrev_b32_e32 v21, 8, v14
	v_cmp_gt_i16_sdwa s[6:7], v21, s4 src0_sel:BYTE_0 src1_sel:DWORD
	s_mov_b64 s[4:5], 0
	s_and_saveexec_b64 s[8:9], s[6:7]
	s_xor_b64 s[6:7], exec, s[8:9]
	s_cbranch_execnz .LBB47_2313
; %bb.265:
	s_or_saveexec_b64 s[6:7], s[6:7]
	v_mov_b32_e32 v20, s10
	s_xor_b64 exec, exec, s[6:7]
	s_cbranch_execnz .LBB47_2316
.LBB47_266:
	s_or_b64 exec, exec, s[6:7]
	s_and_saveexec_b64 s[6:7], s[4:5]
	s_cbranch_execz .LBB47_268
.LBB47_267:
	v_bfe_u32 v20, v14, 8, 3
	v_ffbh_u32_e32 v23, v20
	v_min_u32_e32 v23, 32, v23
	v_lshrrev_b16_e32 v22, 3, v21
	v_subrev_u32_e32 v24, 28, v23
	v_and_b32_e32 v22, 15, v22
	v_lshlrev_b32_e32 v21, v24, v21
	v_sub_u32_e32 v23, 29, v23
	v_and_b32_e32 v21, 7, v21
	v_cmp_eq_u16_e32 vcc, 0, v22
	v_cndmask_b32_e32 v20, v20, v21, vcc
	v_cndmask_b32_e32 v21, v22, v23, vcc
	v_lshlrev_b32_e32 v22, 16, v14
	v_mov_b32_e32 v23, 0x3b800000
	v_lshlrev_b32_e32 v20, 20, v20
	v_and_b32_e32 v22, 0x80000000, v22
	v_lshl_add_u32 v21, v21, 23, v23
	v_or3_b32 v20, v22, v21, v20
.LBB47_268:
	s_or_b64 exec, exec, s[6:7]
	v_lshrrev_b32_e32 v21, 8, v10
	s_movk_i32 s4, 0x7f
	v_cmp_gt_i16_sdwa s[6:7], v21, s4 src0_sel:BYTE_0 src1_sel:DWORD
	s_mov_b64 s[4:5], 0
                                        ; implicit-def: $sgpr10
	s_and_saveexec_b64 s[8:9], s[6:7]
	s_xor_b64 s[6:7], exec, s[8:9]
	s_cbranch_execnz .LBB47_2317
; %bb.269:
	s_or_saveexec_b64 s[6:7], s[6:7]
	v_mov_b32_e32 v22, s10
	s_xor_b64 exec, exec, s[6:7]
	s_cbranch_execnz .LBB47_2320
.LBB47_270:
	s_or_b64 exec, exec, s[6:7]
	s_and_saveexec_b64 s[6:7], s[4:5]
	s_cbranch_execz .LBB47_272
.LBB47_271:
	v_bfe_u32 v22, v10, 8, 3
	v_ffbh_u32_e32 v24, v22
	v_min_u32_e32 v24, 32, v24
	v_lshrrev_b16_e32 v23, 3, v21
	v_subrev_u32_e32 v25, 28, v24
	v_and_b32_e32 v23, 15, v23
	v_lshlrev_b32_e32 v21, v25, v21
	v_sub_u32_e32 v24, 29, v24
	v_and_b32_e32 v21, 7, v21
	v_cmp_eq_u16_e32 vcc, 0, v23
	v_cndmask_b32_e32 v21, v22, v21, vcc
	v_cndmask_b32_e32 v22, v23, v24, vcc
	v_lshlrev_b32_e32 v23, 16, v10
	v_mov_b32_e32 v24, 0x3b800000
	v_lshlrev_b32_e32 v21, 20, v21
	v_and_b32_e32 v23, 0x80000000, v23
	v_lshl_add_u32 v22, v22, 23, v24
	v_or3_b32 v22, v23, v22, v21
.LBB47_272:
	s_or_b64 exec, exec, s[6:7]
	s_nop 0
	v_mfma_f32_16x16x4f32 a[0:3], v20, v22, a[0:3]
	s_movk_i32 s4, 0xff
	v_and_b32_sdwa v21, v14, s4 dst_sel:DWORD dst_unused:UNUSED_PAD src0_sel:WORD_1 src1_sel:DWORD
	s_movk_i32 s4, 0x7f
	v_cmp_lt_i16_e32 vcc, s4, v21
	s_mov_b64 s[4:5], 0
                                        ; implicit-def: $sgpr10
	s_and_saveexec_b64 s[6:7], vcc
	s_xor_b64 s[6:7], exec, s[6:7]
	s_cbranch_execnz .LBB47_2321
; %bb.273:
	s_or_saveexec_b64 s[6:7], s[6:7]
	v_mov_b32_e32 v20, s10
	s_xor_b64 exec, exec, s[6:7]
	s_cbranch_execnz .LBB47_2324
.LBB47_274:
	s_or_b64 exec, exec, s[6:7]
	s_and_saveexec_b64 s[6:7], s[4:5]
	s_cbranch_execz .LBB47_276
.LBB47_275:
	v_bfe_u32 v20, v14, 16, 3
	v_ffbh_u32_e32 v23, v20
	v_min_u32_e32 v23, 32, v23
	v_lshrrev_b32_e32 v21, 19, v14
	v_subrev_u32_e32 v24, 28, v23
	v_and_b32_e32 v21, 15, v21
	v_lshlrev_b32_sdwa v24, v24, v14 dst_sel:DWORD dst_unused:UNUSED_PAD src0_sel:DWORD src1_sel:WORD_1
	v_bfe_u32 v22, v14, 19, 4
	v_sub_u32_e32 v23, 29, v23
	v_and_b32_e32 v24, 7, v24
	v_cmp_eq_u16_e32 vcc, 0, v21
	v_cndmask_b32_e32 v20, v20, v24, vcc
	v_cndmask_b32_e32 v21, v22, v23, vcc
	v_lshlrev_b32_e32 v22, 8, v14
	v_mov_b32_e32 v23, 0x3b800000
	v_lshlrev_b32_e32 v20, 20, v20
	v_and_b32_e32 v22, 0x80000000, v22
	v_lshl_add_u32 v21, v21, 23, v23
	v_or3_b32 v20, v22, v21, v20
.LBB47_276:
	s_or_b64 exec, exec, s[6:7]
	s_movk_i32 s4, 0xff
	v_and_b32_sdwa v21, v10, s4 dst_sel:DWORD dst_unused:UNUSED_PAD src0_sel:WORD_1 src1_sel:DWORD
	s_movk_i32 s4, 0x7f
	v_cmp_lt_i16_e32 vcc, s4, v21
	s_mov_b64 s[4:5], 0
                                        ; implicit-def: $sgpr10
	s_and_saveexec_b64 s[6:7], vcc
	s_xor_b64 s[6:7], exec, s[6:7]
	s_cbranch_execnz .LBB47_2325
; %bb.277:
	s_or_saveexec_b64 s[6:7], s[6:7]
	v_mov_b32_e32 v22, s10
	s_xor_b64 exec, exec, s[6:7]
	s_cbranch_execnz .LBB47_2328
.LBB47_278:
	s_or_b64 exec, exec, s[6:7]
	s_and_saveexec_b64 s[6:7], s[4:5]
	s_cbranch_execz .LBB47_280
.LBB47_279:
	v_bfe_u32 v21, v10, 16, 3
	v_ffbh_u32_e32 v24, v21
	v_min_u32_e32 v24, 32, v24
	v_lshrrev_b32_e32 v22, 19, v10
	v_subrev_u32_e32 v25, 28, v24
	v_and_b32_e32 v22, 15, v22
	v_lshlrev_b32_sdwa v25, v25, v10 dst_sel:DWORD dst_unused:UNUSED_PAD src0_sel:DWORD src1_sel:WORD_1
	v_bfe_u32 v23, v10, 19, 4
	v_sub_u32_e32 v24, 29, v24
	v_and_b32_e32 v25, 7, v25
	v_cmp_eq_u16_e32 vcc, 0, v22
	v_cndmask_b32_e32 v21, v21, v25, vcc
	v_cndmask_b32_e32 v22, v23, v24, vcc
	v_lshlrev_b32_e32 v23, 8, v10
	v_mov_b32_e32 v24, 0x3b800000
	v_lshlrev_b32_e32 v21, 20, v21
	v_and_b32_e32 v23, 0x80000000, v23
	v_lshl_add_u32 v22, v22, 23, v24
	v_or3_b32 v22, v23, v22, v21
.LBB47_280:
	s_or_b64 exec, exec, s[6:7]
	s_nop 0
	v_mfma_f32_16x16x4f32 a[0:3], v20, v22, a[0:3]
	s_movk_i32 s4, 0x7f
	v_cmp_gt_i16_sdwa s[6:7], v14, s4 src0_sel:BYTE_3 src1_sel:DWORD
	s_mov_b64 s[4:5], 0
                                        ; implicit-def: $sgpr10
	s_and_saveexec_b64 s[8:9], s[6:7]
	s_xor_b64 s[6:7], exec, s[8:9]
	s_cbranch_execnz .LBB47_2329
; %bb.281:
	s_or_saveexec_b64 s[6:7], s[6:7]
	v_mov_b32_e32 v20, s10
	s_xor_b64 exec, exec, s[6:7]
	s_cbranch_execnz .LBB47_2332
.LBB47_282:
	s_or_b64 exec, exec, s[6:7]
	s_and_saveexec_b64 s[6:7], s[4:5]
	s_cbranch_execz .LBB47_284
.LBB47_283:
	v_bfe_u32 v20, v14, 24, 3
	v_ffbh_u32_e32 v24, v20
	v_min_u32_e32 v24, 32, v24
	v_lshrrev_b32_e32 v22, 27, v14
	v_subrev_u32_e32 v25, 28, v24
	v_and_b32_e32 v21, 0x80000000, v14
	v_and_b32_e32 v22, 15, v22
	v_bfe_u32 v23, v14, 27, 4
	v_lshlrev_b32_sdwa v14, v25, v14 dst_sel:DWORD dst_unused:UNUSED_PAD src0_sel:DWORD src1_sel:BYTE_3
	v_sub_u32_e32 v24, 29, v24
	v_and_b32_e32 v14, 7, v14
	v_cmp_eq_u16_e32 vcc, 0, v22
	v_cndmask_b32_e32 v14, v20, v14, vcc
	v_cndmask_b32_e32 v20, v23, v24, vcc
	v_mov_b32_e32 v22, 0x3b800000
	v_lshlrev_b32_e32 v14, 20, v14
	v_lshl_add_u32 v20, v20, 23, v22
	v_or3_b32 v20, v21, v20, v14
.LBB47_284:
	s_or_b64 exec, exec, s[6:7]
	s_movk_i32 s4, 0x7f
	v_cmp_gt_i16_sdwa s[6:7], v10, s4 src0_sel:BYTE_3 src1_sel:DWORD
	s_mov_b64 s[4:5], 0
                                        ; implicit-def: $sgpr10
	s_and_saveexec_b64 s[8:9], s[6:7]
	s_xor_b64 s[6:7], exec, s[8:9]
	s_cbranch_execnz .LBB47_2333
; %bb.285:
	s_or_saveexec_b64 s[6:7], s[6:7]
	v_mov_b32_e32 v14, s10
	s_xor_b64 exec, exec, s[6:7]
	s_cbranch_execnz .LBB47_2336
.LBB47_286:
	s_or_b64 exec, exec, s[6:7]
	s_and_saveexec_b64 s[6:7], s[4:5]
	s_cbranch_execz .LBB47_288
.LBB47_287:
	v_bfe_u32 v14, v10, 24, 3
	v_ffbh_u32_e32 v24, v14
	v_min_u32_e32 v24, 32, v24
	v_lshrrev_b32_e32 v22, 27, v10
	v_subrev_u32_e32 v25, 28, v24
	v_and_b32_e32 v21, 0x80000000, v10
	v_and_b32_e32 v22, 15, v22
	v_bfe_u32 v23, v10, 27, 4
	v_lshlrev_b32_sdwa v10, v25, v10 dst_sel:DWORD dst_unused:UNUSED_PAD src0_sel:DWORD src1_sel:BYTE_3
	v_sub_u32_e32 v24, 29, v24
	v_and_b32_e32 v10, 7, v10
	v_cmp_eq_u16_e32 vcc, 0, v22
	v_cndmask_b32_e32 v10, v14, v10, vcc
	v_cndmask_b32_e32 v14, v23, v24, vcc
	v_mov_b32_e32 v22, 0x3b800000
	v_lshlrev_b32_e32 v10, 20, v10
	v_lshl_add_u32 v14, v14, 23, v22
	v_or3_b32 v14, v21, v14, v10
.LBB47_288:
	s_or_b64 exec, exec, s[6:7]
	s_nop 0
	v_mfma_f32_16x16x4f32 a[0:3], v20, v14, a[0:3]
	s_movk_i32 s4, 0x7f
	v_cmp_gt_i16_sdwa s[6:7], v15, s4 src0_sel:BYTE_0 src1_sel:DWORD
	s_mov_b64 s[4:5], 0
                                        ; implicit-def: $sgpr10
	s_and_saveexec_b64 s[8:9], s[6:7]
	s_xor_b64 s[6:7], exec, s[8:9]
	s_cbranch_execnz .LBB47_2337
; %bb.289:
	s_or_saveexec_b64 s[6:7], s[6:7]
	v_mov_b32_e32 v10, s10
	s_xor_b64 exec, exec, s[6:7]
	s_cbranch_execnz .LBB47_2340
.LBB47_290:
	s_or_b64 exec, exec, s[6:7]
	s_and_saveexec_b64 s[6:7], s[4:5]
	s_cbranch_execz .LBB47_292
.LBB47_291:
	v_and_b32_e32 v10, 7, v15
	v_ffbh_u32_e32 v20, v10
	v_min_u32_e32 v20, 32, v20
	v_lshrrev_b16_e32 v14, 3, v15
	v_subrev_u32_e32 v21, 28, v20
	v_and_b32_e32 v14, 15, v14
	v_lshlrev_b32_e32 v21, v21, v15
	v_sub_u32_e32 v20, 29, v20
	v_and_b32_e32 v21, 7, v21
	v_cmp_eq_u16_e32 vcc, 0, v14
	v_cndmask_b32_e32 v10, v10, v21, vcc
	v_cndmask_b32_e32 v14, v14, v20, vcc
	v_lshlrev_b32_e32 v20, 24, v15
	v_mov_b32_e32 v21, 0x3b800000
	v_lshlrev_b32_e32 v10, 20, v10
	v_and_b32_e32 v20, 0x80000000, v20
	v_lshl_add_u32 v14, v14, 23, v21
	v_or3_b32 v10, v20, v14, v10
.LBB47_292:
	s_or_b64 exec, exec, s[6:7]
	s_movk_i32 s4, 0x7f
	v_cmp_gt_i16_sdwa s[6:7], v11, s4 src0_sel:BYTE_0 src1_sel:DWORD
	s_mov_b64 s[4:5], 0
                                        ; implicit-def: $sgpr10
	s_and_saveexec_b64 s[8:9], s[6:7]
	s_xor_b64 s[6:7], exec, s[8:9]
	s_cbranch_execnz .LBB47_2341
; %bb.293:
	s_or_saveexec_b64 s[6:7], s[6:7]
	v_mov_b32_e32 v14, s10
	s_xor_b64 exec, exec, s[6:7]
	s_cbranch_execnz .LBB47_2344
.LBB47_294:
	s_or_b64 exec, exec, s[6:7]
	s_and_saveexec_b64 s[6:7], s[4:5]
	s_cbranch_execz .LBB47_296
.LBB47_295:
	v_and_b32_e32 v14, 7, v11
	v_ffbh_u32_e32 v21, v14
	v_min_u32_e32 v21, 32, v21
	v_lshrrev_b16_e32 v20, 3, v11
	v_subrev_u32_e32 v22, 28, v21
	v_and_b32_e32 v20, 15, v20
	v_lshlrev_b32_e32 v22, v22, v11
	v_sub_u32_e32 v21, 29, v21
	v_and_b32_e32 v22, 7, v22
	v_cmp_eq_u16_e32 vcc, 0, v20
	v_cndmask_b32_e32 v14, v14, v22, vcc
	v_cndmask_b32_e32 v20, v20, v21, vcc
	v_lshlrev_b32_e32 v21, 24, v11
	v_mov_b32_e32 v22, 0x3b800000
	v_lshlrev_b32_e32 v14, 20, v14
	v_and_b32_e32 v21, 0x80000000, v21
	v_lshl_add_u32 v20, v20, 23, v22
	v_or3_b32 v14, v21, v20, v14
.LBB47_296:
	s_or_b64 exec, exec, s[6:7]
	s_nop 0
	v_mfma_f32_16x16x4f32 a[0:3], v10, v14, a[0:3]
	v_lshrrev_b32_e32 v14, 8, v15
	s_movk_i32 s4, 0x7f
	v_cmp_gt_i16_sdwa s[6:7], v14, s4 src0_sel:BYTE_0 src1_sel:DWORD
	s_mov_b64 s[4:5], 0
                                        ; implicit-def: $sgpr10
	s_and_saveexec_b64 s[8:9], s[6:7]
	s_xor_b64 s[6:7], exec, s[8:9]
	s_cbranch_execnz .LBB47_2345
; %bb.297:
	s_or_saveexec_b64 s[6:7], s[6:7]
	v_mov_b32_e32 v10, s10
	s_xor_b64 exec, exec, s[6:7]
	s_cbranch_execnz .LBB47_2348
.LBB47_298:
	s_or_b64 exec, exec, s[6:7]
	s_and_saveexec_b64 s[6:7], s[4:5]
	s_cbranch_execz .LBB47_300
.LBB47_299:
	v_bfe_u32 v10, v15, 8, 3
	v_ffbh_u32_e32 v21, v10
	v_min_u32_e32 v21, 32, v21
	v_lshrrev_b16_e32 v20, 3, v14
	v_subrev_u32_e32 v22, 28, v21
	v_and_b32_e32 v20, 15, v20
	v_lshlrev_b32_e32 v14, v22, v14
	v_sub_u32_e32 v21, 29, v21
	v_and_b32_e32 v14, 7, v14
	v_cmp_eq_u16_e32 vcc, 0, v20
	v_cndmask_b32_e32 v10, v10, v14, vcc
	v_cndmask_b32_e32 v14, v20, v21, vcc
	v_lshlrev_b32_e32 v20, 16, v15
	v_mov_b32_e32 v21, 0x3b800000
	v_lshlrev_b32_e32 v10, 20, v10
	v_and_b32_e32 v20, 0x80000000, v20
	v_lshl_add_u32 v14, v14, 23, v21
	v_or3_b32 v10, v20, v14, v10
.LBB47_300:
	s_or_b64 exec, exec, s[6:7]
	v_lshrrev_b32_e32 v14, 8, v11
	s_movk_i32 s4, 0x7f
	v_cmp_gt_i16_sdwa s[6:7], v14, s4 src0_sel:BYTE_0 src1_sel:DWORD
	s_mov_b64 s[4:5], 0
                                        ; implicit-def: $sgpr10
	s_and_saveexec_b64 s[8:9], s[6:7]
	s_xor_b64 s[6:7], exec, s[8:9]
	s_cbranch_execnz .LBB47_2349
; %bb.301:
	s_or_saveexec_b64 s[6:7], s[6:7]
	v_mov_b32_e32 v20, s10
	s_xor_b64 exec, exec, s[6:7]
	s_cbranch_execnz .LBB47_2352
.LBB47_302:
	s_or_b64 exec, exec, s[6:7]
	s_and_saveexec_b64 s[6:7], s[4:5]
	s_cbranch_execz .LBB47_304
.LBB47_303:
	v_bfe_u32 v20, v11, 8, 3
	v_ffbh_u32_e32 v22, v20
	v_min_u32_e32 v22, 32, v22
	v_lshrrev_b16_e32 v21, 3, v14
	v_subrev_u32_e32 v23, 28, v22
	v_and_b32_e32 v21, 15, v21
	v_lshlrev_b32_e32 v14, v23, v14
	v_sub_u32_e32 v22, 29, v22
	v_and_b32_e32 v14, 7, v14
	v_cmp_eq_u16_e32 vcc, 0, v21
	v_cndmask_b32_e32 v14, v20, v14, vcc
	v_cndmask_b32_e32 v20, v21, v22, vcc
	v_lshlrev_b32_e32 v21, 16, v11
	v_mov_b32_e32 v22, 0x3b800000
	v_lshlrev_b32_e32 v14, 20, v14
	v_and_b32_e32 v21, 0x80000000, v21
	v_lshl_add_u32 v20, v20, 23, v22
	v_or3_b32 v20, v21, v20, v14
.LBB47_304:
	s_or_b64 exec, exec, s[6:7]
	s_nop 0
	v_mfma_f32_16x16x4f32 a[0:3], v10, v20, a[0:3]
	s_movk_i32 s4, 0xff
	v_and_b32_sdwa v14, v15, s4 dst_sel:DWORD dst_unused:UNUSED_PAD src0_sel:WORD_1 src1_sel:DWORD
	s_movk_i32 s4, 0x7f
	v_cmp_lt_i16_e32 vcc, s4, v14
	s_mov_b64 s[4:5], 0
                                        ; implicit-def: $sgpr10
	s_and_saveexec_b64 s[6:7], vcc
	s_xor_b64 s[6:7], exec, s[6:7]
	s_cbranch_execnz .LBB47_2353
; %bb.305:
	s_or_saveexec_b64 s[6:7], s[6:7]
	v_mov_b32_e32 v10, s10
	s_xor_b64 exec, exec, s[6:7]
	s_cbranch_execnz .LBB47_2356
.LBB47_306:
	s_or_b64 exec, exec, s[6:7]
	s_and_saveexec_b64 s[6:7], s[4:5]
	s_cbranch_execz .LBB47_308
.LBB47_307:
	v_bfe_u32 v10, v15, 16, 3
	v_ffbh_u32_e32 v21, v10
	v_min_u32_e32 v21, 32, v21
	v_lshrrev_b32_e32 v14, 19, v15
	v_subrev_u32_e32 v22, 28, v21
	v_and_b32_e32 v14, 15, v14
	v_lshlrev_b32_sdwa v22, v22, v15 dst_sel:DWORD dst_unused:UNUSED_PAD src0_sel:DWORD src1_sel:WORD_1
	v_bfe_u32 v20, v15, 19, 4
	v_sub_u32_e32 v21, 29, v21
	v_and_b32_e32 v22, 7, v22
	v_cmp_eq_u16_e32 vcc, 0, v14
	v_cndmask_b32_e32 v10, v10, v22, vcc
	v_cndmask_b32_e32 v14, v20, v21, vcc
	v_lshlrev_b32_e32 v20, 8, v15
	v_mov_b32_e32 v21, 0x3b800000
	v_lshlrev_b32_e32 v10, 20, v10
	v_and_b32_e32 v20, 0x80000000, v20
	v_lshl_add_u32 v14, v14, 23, v21
	v_or3_b32 v10, v20, v14, v10
.LBB47_308:
	s_or_b64 exec, exec, s[6:7]
	s_movk_i32 s4, 0xff
	v_and_b32_sdwa v14, v11, s4 dst_sel:DWORD dst_unused:UNUSED_PAD src0_sel:WORD_1 src1_sel:DWORD
	s_movk_i32 s4, 0x7f
	v_cmp_lt_i16_e32 vcc, s4, v14
	s_mov_b64 s[4:5], 0
                                        ; implicit-def: $sgpr10
	s_and_saveexec_b64 s[6:7], vcc
	s_xor_b64 s[6:7], exec, s[6:7]
	s_cbranch_execnz .LBB47_2357
; %bb.309:
	s_or_saveexec_b64 s[6:7], s[6:7]
	v_mov_b32_e32 v20, s10
	s_xor_b64 exec, exec, s[6:7]
	s_cbranch_execnz .LBB47_2360
.LBB47_310:
	s_or_b64 exec, exec, s[6:7]
	s_and_saveexec_b64 s[6:7], s[4:5]
	s_cbranch_execz .LBB47_312
.LBB47_311:
	v_bfe_u32 v14, v11, 16, 3
	v_ffbh_u32_e32 v22, v14
	v_min_u32_e32 v22, 32, v22
	v_lshrrev_b32_e32 v20, 19, v11
	v_subrev_u32_e32 v23, 28, v22
	v_and_b32_e32 v20, 15, v20
	v_lshlrev_b32_sdwa v23, v23, v11 dst_sel:DWORD dst_unused:UNUSED_PAD src0_sel:DWORD src1_sel:WORD_1
	v_bfe_u32 v21, v11, 19, 4
	v_sub_u32_e32 v22, 29, v22
	v_and_b32_e32 v23, 7, v23
	v_cmp_eq_u16_e32 vcc, 0, v20
	v_cndmask_b32_e32 v14, v14, v23, vcc
	v_cndmask_b32_e32 v20, v21, v22, vcc
	v_lshlrev_b32_e32 v21, 8, v11
	v_mov_b32_e32 v22, 0x3b800000
	v_lshlrev_b32_e32 v14, 20, v14
	v_and_b32_e32 v21, 0x80000000, v21
	v_lshl_add_u32 v20, v20, 23, v22
	v_or3_b32 v20, v21, v20, v14
.LBB47_312:
	s_or_b64 exec, exec, s[6:7]
	s_nop 0
	v_mfma_f32_16x16x4f32 a[0:3], v10, v20, a[0:3]
	s_movk_i32 s4, 0x7f
	v_cmp_gt_i16_sdwa s[6:7], v15, s4 src0_sel:BYTE_3 src1_sel:DWORD
	s_mov_b64 s[4:5], 0
                                        ; implicit-def: $sgpr10
	s_and_saveexec_b64 s[8:9], s[6:7]
	s_xor_b64 s[6:7], exec, s[8:9]
	s_cbranch_execnz .LBB47_2361
; %bb.313:
	s_or_saveexec_b64 s[6:7], s[6:7]
	v_mov_b32_e32 v10, s10
	s_xor_b64 exec, exec, s[6:7]
	s_cbranch_execnz .LBB47_2364
.LBB47_314:
	s_or_b64 exec, exec, s[6:7]
	s_and_saveexec_b64 s[6:7], s[4:5]
	s_cbranch_execz .LBB47_316
.LBB47_315:
	v_bfe_u32 v10, v15, 24, 3
	v_ffbh_u32_e32 v22, v10
	v_min_u32_e32 v22, 32, v22
	v_lshrrev_b32_e32 v20, 27, v15
	v_subrev_u32_e32 v23, 28, v22
	v_and_b32_e32 v14, 0x80000000, v15
	v_and_b32_e32 v20, 15, v20
	v_bfe_u32 v21, v15, 27, 4
	v_lshlrev_b32_sdwa v15, v23, v15 dst_sel:DWORD dst_unused:UNUSED_PAD src0_sel:DWORD src1_sel:BYTE_3
	v_sub_u32_e32 v22, 29, v22
	v_and_b32_e32 v15, 7, v15
	v_cmp_eq_u16_e32 vcc, 0, v20
	v_cndmask_b32_e32 v10, v10, v15, vcc
	v_cndmask_b32_e32 v15, v21, v22, vcc
	v_mov_b32_e32 v20, 0x3b800000
	v_lshlrev_b32_e32 v10, 20, v10
	v_lshl_add_u32 v15, v15, 23, v20
	v_or3_b32 v10, v14, v15, v10
.LBB47_316:
	s_or_b64 exec, exec, s[6:7]
	s_movk_i32 s4, 0x7f
	v_cmp_gt_i16_sdwa s[6:7], v11, s4 src0_sel:BYTE_3 src1_sel:DWORD
	s_mov_b64 s[4:5], 0
                                        ; implicit-def: $sgpr10
	s_and_saveexec_b64 s[8:9], s[6:7]
	s_xor_b64 s[6:7], exec, s[8:9]
	s_cbranch_execnz .LBB47_2365
; %bb.317:
	s_or_saveexec_b64 s[6:7], s[6:7]
	v_mov_b32_e32 v14, s10
	s_xor_b64 exec, exec, s[6:7]
	s_cbranch_execnz .LBB47_2368
.LBB47_318:
	s_or_b64 exec, exec, s[6:7]
	s_and_saveexec_b64 s[6:7], s[4:5]
	s_cbranch_execz .LBB47_320
.LBB47_319:
	v_bfe_u32 v14, v11, 24, 3
	v_ffbh_u32_e32 v22, v14
	v_min_u32_e32 v22, 32, v22
	v_lshrrev_b32_e32 v20, 27, v11
	v_subrev_u32_e32 v23, 28, v22
	v_and_b32_e32 v15, 0x80000000, v11
	v_and_b32_e32 v20, 15, v20
	v_bfe_u32 v21, v11, 27, 4
	v_lshlrev_b32_sdwa v11, v23, v11 dst_sel:DWORD dst_unused:UNUSED_PAD src0_sel:DWORD src1_sel:BYTE_3
	v_sub_u32_e32 v22, 29, v22
	v_and_b32_e32 v11, 7, v11
	v_cmp_eq_u16_e32 vcc, 0, v20
	v_cndmask_b32_e32 v11, v14, v11, vcc
	v_cndmask_b32_e32 v14, v21, v22, vcc
	v_mov_b32_e32 v20, 0x3b800000
	v_lshlrev_b32_e32 v11, 20, v11
	v_lshl_add_u32 v14, v14, 23, v20
	v_or3_b32 v14, v15, v14, v11
.LBB47_320:
	s_or_b64 exec, exec, s[6:7]
	s_nop 0
	v_mfma_f32_16x16x4f32 a[0:3], v10, v14, a[0:3]
	s_movk_i32 s4, 0x7f
	v_cmp_gt_i16_sdwa s[6:7], v16, s4 src0_sel:BYTE_0 src1_sel:DWORD
	s_mov_b64 s[4:5], 0
                                        ; implicit-def: $sgpr10
	s_and_saveexec_b64 s[8:9], s[6:7]
	s_xor_b64 s[6:7], exec, s[8:9]
	s_cbranch_execnz .LBB47_2369
; %bb.321:
	s_or_saveexec_b64 s[6:7], s[6:7]
	v_mov_b32_e32 v10, s10
	s_xor_b64 exec, exec, s[6:7]
	s_cbranch_execnz .LBB47_2372
.LBB47_322:
	s_or_b64 exec, exec, s[6:7]
	s_and_saveexec_b64 s[6:7], s[4:5]
	s_cbranch_execz .LBB47_324
.LBB47_323:
	v_and_b32_e32 v10, 7, v16
	v_ffbh_u32_e32 v14, v10
	v_min_u32_e32 v14, 32, v14
	v_lshrrev_b16_e32 v11, 3, v16
	v_subrev_u32_e32 v15, 28, v14
	v_and_b32_e32 v11, 15, v11
	v_lshlrev_b32_e32 v15, v15, v16
	v_sub_u32_e32 v14, 29, v14
	v_and_b32_e32 v15, 7, v15
	v_cmp_eq_u16_e32 vcc, 0, v11
	v_cndmask_b32_e32 v10, v10, v15, vcc
	v_cndmask_b32_e32 v11, v11, v14, vcc
	v_lshlrev_b32_e32 v14, 24, v16
	v_mov_b32_e32 v15, 0x3b800000
	v_lshlrev_b32_e32 v10, 20, v10
	v_and_b32_e32 v14, 0x80000000, v14
	v_lshl_add_u32 v11, v11, 23, v15
	v_or3_b32 v10, v14, v11, v10
.LBB47_324:
	s_or_b64 exec, exec, s[6:7]
	s_movk_i32 s4, 0x7f
	v_cmp_gt_i16_sdwa s[6:7], v12, s4 src0_sel:BYTE_0 src1_sel:DWORD
	s_mov_b64 s[4:5], 0
                                        ; implicit-def: $sgpr10
	s_and_saveexec_b64 s[8:9], s[6:7]
	s_xor_b64 s[6:7], exec, s[8:9]
	s_cbranch_execnz .LBB47_2373
; %bb.325:
	s_or_saveexec_b64 s[6:7], s[6:7]
	v_mov_b32_e32 v11, s10
	s_xor_b64 exec, exec, s[6:7]
	s_cbranch_execnz .LBB47_2376
.LBB47_326:
	s_or_b64 exec, exec, s[6:7]
	s_and_saveexec_b64 s[6:7], s[4:5]
	s_cbranch_execz .LBB47_328
.LBB47_327:
	v_and_b32_e32 v11, 7, v12
	v_ffbh_u32_e32 v15, v11
	v_min_u32_e32 v15, 32, v15
	v_lshrrev_b16_e32 v14, 3, v12
	v_subrev_u32_e32 v20, 28, v15
	v_and_b32_e32 v14, 15, v14
	v_lshlrev_b32_e32 v20, v20, v12
	v_sub_u32_e32 v15, 29, v15
	v_and_b32_e32 v20, 7, v20
	v_cmp_eq_u16_e32 vcc, 0, v14
	v_cndmask_b32_e32 v11, v11, v20, vcc
	v_cndmask_b32_e32 v14, v14, v15, vcc
	v_lshlrev_b32_e32 v15, 24, v12
	v_mov_b32_e32 v20, 0x3b800000
	v_lshlrev_b32_e32 v11, 20, v11
	v_and_b32_e32 v15, 0x80000000, v15
	v_lshl_add_u32 v14, v14, 23, v20
	v_or3_b32 v11, v15, v14, v11
.LBB47_328:
	s_or_b64 exec, exec, s[6:7]
	s_nop 0
	v_mfma_f32_16x16x4f32 a[0:3], v10, v11, a[0:3]
	v_lshrrev_b32_e32 v11, 8, v16
	s_movk_i32 s4, 0x7f
	v_cmp_gt_i16_sdwa s[6:7], v11, s4 src0_sel:BYTE_0 src1_sel:DWORD
	s_mov_b64 s[4:5], 0
                                        ; implicit-def: $sgpr10
	s_and_saveexec_b64 s[8:9], s[6:7]
	s_xor_b64 s[6:7], exec, s[8:9]
	s_cbranch_execnz .LBB47_2377
; %bb.329:
	s_or_saveexec_b64 s[6:7], s[6:7]
	v_mov_b32_e32 v10, s10
	s_xor_b64 exec, exec, s[6:7]
	s_cbranch_execnz .LBB47_2380
.LBB47_330:
	s_or_b64 exec, exec, s[6:7]
	s_and_saveexec_b64 s[6:7], s[4:5]
	s_cbranch_execz .LBB47_332
.LBB47_331:
	v_bfe_u32 v10, v16, 8, 3
	v_ffbh_u32_e32 v15, v10
	v_min_u32_e32 v15, 32, v15
	v_lshrrev_b16_e32 v14, 3, v11
	v_subrev_u32_e32 v20, 28, v15
	v_and_b32_e32 v14, 15, v14
	v_lshlrev_b32_e32 v11, v20, v11
	v_sub_u32_e32 v15, 29, v15
	v_and_b32_e32 v11, 7, v11
	v_cmp_eq_u16_e32 vcc, 0, v14
	v_cndmask_b32_e32 v10, v10, v11, vcc
	v_cndmask_b32_e32 v11, v14, v15, vcc
	v_lshlrev_b32_e32 v14, 16, v16
	v_mov_b32_e32 v15, 0x3b800000
	v_lshlrev_b32_e32 v10, 20, v10
	v_and_b32_e32 v14, 0x80000000, v14
	v_lshl_add_u32 v11, v11, 23, v15
	v_or3_b32 v10, v14, v11, v10
.LBB47_332:
	s_or_b64 exec, exec, s[6:7]
	v_lshrrev_b32_e32 v11, 8, v12
	s_movk_i32 s4, 0x7f
	v_cmp_gt_i16_sdwa s[6:7], v11, s4 src0_sel:BYTE_0 src1_sel:DWORD
	s_mov_b64 s[4:5], 0
                                        ; implicit-def: $sgpr10
	s_and_saveexec_b64 s[8:9], s[6:7]
	s_xor_b64 s[6:7], exec, s[8:9]
	s_cbranch_execnz .LBB47_2381
; %bb.333:
	s_or_saveexec_b64 s[6:7], s[6:7]
	v_mov_b32_e32 v14, s10
	s_xor_b64 exec, exec, s[6:7]
	s_cbranch_execnz .LBB47_2384
.LBB47_334:
	s_or_b64 exec, exec, s[6:7]
	s_and_saveexec_b64 s[6:7], s[4:5]
	s_cbranch_execz .LBB47_336
.LBB47_335:
	v_bfe_u32 v14, v12, 8, 3
	v_ffbh_u32_e32 v20, v14
	v_min_u32_e32 v20, 32, v20
	v_lshrrev_b16_e32 v15, 3, v11
	v_subrev_u32_e32 v21, 28, v20
	v_and_b32_e32 v15, 15, v15
	v_lshlrev_b32_e32 v11, v21, v11
	v_sub_u32_e32 v20, 29, v20
	v_and_b32_e32 v11, 7, v11
	v_cmp_eq_u16_e32 vcc, 0, v15
	v_cndmask_b32_e32 v11, v14, v11, vcc
	v_cndmask_b32_e32 v14, v15, v20, vcc
	v_lshlrev_b32_e32 v15, 16, v12
	v_mov_b32_e32 v20, 0x3b800000
	v_lshlrev_b32_e32 v11, 20, v11
	v_and_b32_e32 v15, 0x80000000, v15
	v_lshl_add_u32 v14, v14, 23, v20
	v_or3_b32 v14, v15, v14, v11
.LBB47_336:
	s_or_b64 exec, exec, s[6:7]
	s_nop 0
	v_mfma_f32_16x16x4f32 a[0:3], v10, v14, a[0:3]
	s_movk_i32 s4, 0xff
	v_and_b32_sdwa v11, v16, s4 dst_sel:DWORD dst_unused:UNUSED_PAD src0_sel:WORD_1 src1_sel:DWORD
	s_movk_i32 s4, 0x7f
	v_cmp_lt_i16_e32 vcc, s4, v11
	s_mov_b64 s[4:5], 0
                                        ; implicit-def: $sgpr10
	s_and_saveexec_b64 s[6:7], vcc
	s_xor_b64 s[6:7], exec, s[6:7]
	s_cbranch_execnz .LBB47_2385
; %bb.337:
	s_or_saveexec_b64 s[6:7], s[6:7]
	v_mov_b32_e32 v10, s10
	s_xor_b64 exec, exec, s[6:7]
	s_cbranch_execnz .LBB47_2388
.LBB47_338:
	s_or_b64 exec, exec, s[6:7]
	s_and_saveexec_b64 s[6:7], s[4:5]
	s_cbranch_execz .LBB47_340
.LBB47_339:
	v_bfe_u32 v10, v16, 16, 3
	v_ffbh_u32_e32 v15, v10
	v_min_u32_e32 v15, 32, v15
	v_lshrrev_b32_e32 v11, 19, v16
	v_subrev_u32_e32 v20, 28, v15
	v_and_b32_e32 v11, 15, v11
	v_lshlrev_b32_sdwa v20, v20, v16 dst_sel:DWORD dst_unused:UNUSED_PAD src0_sel:DWORD src1_sel:WORD_1
	v_bfe_u32 v14, v16, 19, 4
	v_sub_u32_e32 v15, 29, v15
	v_and_b32_e32 v20, 7, v20
	v_cmp_eq_u16_e32 vcc, 0, v11
	v_cndmask_b32_e32 v10, v10, v20, vcc
	v_cndmask_b32_e32 v11, v14, v15, vcc
	v_lshlrev_b32_e32 v14, 8, v16
	v_mov_b32_e32 v15, 0x3b800000
	v_lshlrev_b32_e32 v10, 20, v10
	v_and_b32_e32 v14, 0x80000000, v14
	v_lshl_add_u32 v11, v11, 23, v15
	v_or3_b32 v10, v14, v11, v10
.LBB47_340:
	s_or_b64 exec, exec, s[6:7]
	s_movk_i32 s4, 0xff
	v_and_b32_sdwa v11, v12, s4 dst_sel:DWORD dst_unused:UNUSED_PAD src0_sel:WORD_1 src1_sel:DWORD
	s_movk_i32 s4, 0x7f
	v_cmp_lt_i16_e32 vcc, s4, v11
	s_mov_b64 s[4:5], 0
                                        ; implicit-def: $sgpr10
	s_and_saveexec_b64 s[6:7], vcc
	s_xor_b64 s[6:7], exec, s[6:7]
	s_cbranch_execnz .LBB47_2389
; %bb.341:
	s_or_saveexec_b64 s[6:7], s[6:7]
	v_mov_b32_e32 v14, s10
	s_xor_b64 exec, exec, s[6:7]
	s_cbranch_execnz .LBB47_2392
.LBB47_342:
	s_or_b64 exec, exec, s[6:7]
	s_and_saveexec_b64 s[6:7], s[4:5]
	s_cbranch_execz .LBB47_344
.LBB47_343:
	v_bfe_u32 v11, v12, 16, 3
	v_ffbh_u32_e32 v20, v11
	v_min_u32_e32 v20, 32, v20
	v_lshrrev_b32_e32 v14, 19, v12
	v_subrev_u32_e32 v21, 28, v20
	v_and_b32_e32 v14, 15, v14
	v_lshlrev_b32_sdwa v21, v21, v12 dst_sel:DWORD dst_unused:UNUSED_PAD src0_sel:DWORD src1_sel:WORD_1
	v_bfe_u32 v15, v12, 19, 4
	v_sub_u32_e32 v20, 29, v20
	v_and_b32_e32 v21, 7, v21
	v_cmp_eq_u16_e32 vcc, 0, v14
	v_cndmask_b32_e32 v11, v11, v21, vcc
	v_cndmask_b32_e32 v14, v15, v20, vcc
	v_lshlrev_b32_e32 v15, 8, v12
	v_mov_b32_e32 v20, 0x3b800000
	v_lshlrev_b32_e32 v11, 20, v11
	v_and_b32_e32 v15, 0x80000000, v15
	v_lshl_add_u32 v14, v14, 23, v20
	v_or3_b32 v14, v15, v14, v11
.LBB47_344:
	s_or_b64 exec, exec, s[6:7]
	s_nop 0
	v_mfma_f32_16x16x4f32 a[0:3], v10, v14, a[0:3]
	s_movk_i32 s4, 0x7f
	v_cmp_gt_i16_sdwa s[6:7], v16, s4 src0_sel:BYTE_3 src1_sel:DWORD
	s_mov_b64 s[4:5], 0
                                        ; implicit-def: $sgpr10
	s_and_saveexec_b64 s[8:9], s[6:7]
	s_xor_b64 s[6:7], exec, s[8:9]
	s_cbranch_execnz .LBB47_2393
; %bb.345:
	s_or_saveexec_b64 s[6:7], s[6:7]
	v_mov_b32_e32 v10, s10
	s_xor_b64 exec, exec, s[6:7]
	s_cbranch_execnz .LBB47_2396
.LBB47_346:
	s_or_b64 exec, exec, s[6:7]
	s_and_saveexec_b64 s[6:7], s[4:5]
	s_cbranch_execz .LBB47_348
.LBB47_347:
	v_bfe_u32 v10, v16, 24, 3
	v_ffbh_u32_e32 v20, v10
	v_min_u32_e32 v20, 32, v20
	v_lshrrev_b32_e32 v14, 27, v16
	v_subrev_u32_e32 v21, 28, v20
	v_and_b32_e32 v11, 0x80000000, v16
	v_and_b32_e32 v14, 15, v14
	v_bfe_u32 v15, v16, 27, 4
	v_lshlrev_b32_sdwa v16, v21, v16 dst_sel:DWORD dst_unused:UNUSED_PAD src0_sel:DWORD src1_sel:BYTE_3
	v_sub_u32_e32 v20, 29, v20
	v_and_b32_e32 v16, 7, v16
	v_cmp_eq_u16_e32 vcc, 0, v14
	v_cndmask_b32_e32 v10, v10, v16, vcc
	v_cndmask_b32_e32 v14, v15, v20, vcc
	v_mov_b32_e32 v15, 0x3b800000
	v_lshlrev_b32_e32 v10, 20, v10
	v_lshl_add_u32 v14, v14, 23, v15
	v_or3_b32 v10, v11, v14, v10
.LBB47_348:
	s_or_b64 exec, exec, s[6:7]
	s_movk_i32 s4, 0x7f
	v_cmp_gt_i16_sdwa s[6:7], v12, s4 src0_sel:BYTE_3 src1_sel:DWORD
	s_mov_b64 s[4:5], 0
                                        ; implicit-def: $sgpr10
	s_and_saveexec_b64 s[8:9], s[6:7]
	s_xor_b64 s[6:7], exec, s[8:9]
	s_cbranch_execnz .LBB47_2397
; %bb.349:
	s_or_saveexec_b64 s[6:7], s[6:7]
	v_mov_b32_e32 v11, s10
	s_xor_b64 exec, exec, s[6:7]
	s_cbranch_execnz .LBB47_2400
.LBB47_350:
	s_or_b64 exec, exec, s[6:7]
	s_and_saveexec_b64 s[6:7], s[4:5]
	s_cbranch_execz .LBB47_352
.LBB47_351:
	v_bfe_u32 v11, v12, 24, 3
	v_ffbh_u32_e32 v20, v11
	v_min_u32_e32 v20, 32, v20
	v_lshrrev_b32_e32 v15, 27, v12
	v_subrev_u32_e32 v21, 28, v20
	v_and_b32_e32 v14, 0x80000000, v12
	v_and_b32_e32 v15, 15, v15
	v_bfe_u32 v16, v12, 27, 4
	v_lshlrev_b32_sdwa v12, v21, v12 dst_sel:DWORD dst_unused:UNUSED_PAD src0_sel:DWORD src1_sel:BYTE_3
	v_sub_u32_e32 v20, 29, v20
	v_and_b32_e32 v12, 7, v12
	v_cmp_eq_u16_e32 vcc, 0, v15
	v_cndmask_b32_e32 v11, v11, v12, vcc
	v_cndmask_b32_e32 v12, v16, v20, vcc
	v_mov_b32_e32 v15, 0x3b800000
	v_lshlrev_b32_e32 v11, 20, v11
	v_lshl_add_u32 v12, v12, 23, v15
	v_or3_b32 v11, v14, v12, v11
.LBB47_352:
	s_or_b64 exec, exec, s[6:7]
	s_nop 0
	v_mfma_f32_16x16x4f32 a[0:3], v10, v11, a[0:3]
	s_movk_i32 s4, 0x7f
	v_cmp_gt_i16_sdwa s[6:7], v17, s4 src0_sel:BYTE_0 src1_sel:DWORD
	s_mov_b64 s[4:5], 0
                                        ; implicit-def: $sgpr10
	s_and_saveexec_b64 s[8:9], s[6:7]
	s_xor_b64 s[6:7], exec, s[8:9]
	s_cbranch_execnz .LBB47_2401
; %bb.353:
	s_or_saveexec_b64 s[6:7], s[6:7]
	v_mov_b32_e32 v10, s10
	s_xor_b64 exec, exec, s[6:7]
	s_cbranch_execnz .LBB47_2404
.LBB47_354:
	s_or_b64 exec, exec, s[6:7]
	s_and_saveexec_b64 s[6:7], s[4:5]
	s_cbranch_execz .LBB47_356
.LBB47_355:
	v_and_b32_e32 v10, 7, v17
	v_ffbh_u32_e32 v12, v10
	v_min_u32_e32 v12, 32, v12
	v_lshrrev_b16_e32 v11, 3, v17
	v_subrev_u32_e32 v14, 28, v12
	v_and_b32_e32 v11, 15, v11
	v_lshlrev_b32_e32 v14, v14, v17
	v_sub_u32_e32 v12, 29, v12
	v_and_b32_e32 v14, 7, v14
	v_cmp_eq_u16_e32 vcc, 0, v11
	v_cndmask_b32_e32 v10, v10, v14, vcc
	v_cndmask_b32_e32 v11, v11, v12, vcc
	v_lshlrev_b32_e32 v12, 24, v17
	v_mov_b32_e32 v14, 0x3b800000
	v_lshlrev_b32_e32 v10, 20, v10
	v_and_b32_e32 v12, 0x80000000, v12
	v_lshl_add_u32 v11, v11, 23, v14
	v_or3_b32 v10, v12, v11, v10
.LBB47_356:
	s_or_b64 exec, exec, s[6:7]
	s_movk_i32 s4, 0x7f
	v_cmp_gt_i16_sdwa s[6:7], v13, s4 src0_sel:BYTE_0 src1_sel:DWORD
	s_mov_b64 s[4:5], 0
                                        ; implicit-def: $sgpr10
	s_and_saveexec_b64 s[8:9], s[6:7]
	s_xor_b64 s[6:7], exec, s[8:9]
	s_cbranch_execnz .LBB47_2405
; %bb.357:
	s_or_saveexec_b64 s[6:7], s[6:7]
	v_mov_b32_e32 v11, s10
	s_xor_b64 exec, exec, s[6:7]
	s_cbranch_execnz .LBB47_2408
.LBB47_358:
	s_or_b64 exec, exec, s[6:7]
	s_and_saveexec_b64 s[6:7], s[4:5]
	s_cbranch_execz .LBB47_360
.LBB47_359:
	v_and_b32_e32 v11, 7, v13
	v_ffbh_u32_e32 v14, v11
	v_min_u32_e32 v14, 32, v14
	v_lshrrev_b16_e32 v12, 3, v13
	v_subrev_u32_e32 v15, 28, v14
	v_and_b32_e32 v12, 15, v12
	v_lshlrev_b32_e32 v15, v15, v13
	v_sub_u32_e32 v14, 29, v14
	v_and_b32_e32 v15, 7, v15
	v_cmp_eq_u16_e32 vcc, 0, v12
	v_cndmask_b32_e32 v11, v11, v15, vcc
	v_cndmask_b32_e32 v12, v12, v14, vcc
	v_lshlrev_b32_e32 v14, 24, v13
	v_mov_b32_e32 v15, 0x3b800000
	v_lshlrev_b32_e32 v11, 20, v11
	v_and_b32_e32 v14, 0x80000000, v14
	v_lshl_add_u32 v12, v12, 23, v15
	v_or3_b32 v11, v14, v12, v11
.LBB47_360:
	s_or_b64 exec, exec, s[6:7]
	s_nop 0
	v_mfma_f32_16x16x4f32 a[0:3], v10, v11, a[0:3]
	v_lshrrev_b32_e32 v11, 8, v17
	s_movk_i32 s4, 0x7f
	v_cmp_gt_i16_sdwa s[6:7], v11, s4 src0_sel:BYTE_0 src1_sel:DWORD
	s_mov_b64 s[4:5], 0
                                        ; implicit-def: $sgpr10
	s_and_saveexec_b64 s[8:9], s[6:7]
	s_xor_b64 s[6:7], exec, s[8:9]
	s_cbranch_execnz .LBB47_2409
; %bb.361:
	s_or_saveexec_b64 s[6:7], s[6:7]
	v_mov_b32_e32 v10, s10
	s_xor_b64 exec, exec, s[6:7]
	s_cbranch_execnz .LBB47_2412
.LBB47_362:
	s_or_b64 exec, exec, s[6:7]
	s_and_saveexec_b64 s[6:7], s[4:5]
	s_cbranch_execz .LBB47_364
.LBB47_363:
	v_bfe_u32 v10, v17, 8, 3
	v_ffbh_u32_e32 v14, v10
	v_min_u32_e32 v14, 32, v14
	v_lshrrev_b16_e32 v12, 3, v11
	v_subrev_u32_e32 v15, 28, v14
	v_and_b32_e32 v12, 15, v12
	v_lshlrev_b32_e32 v11, v15, v11
	v_sub_u32_e32 v14, 29, v14
	v_and_b32_e32 v11, 7, v11
	v_cmp_eq_u16_e32 vcc, 0, v12
	v_cndmask_b32_e32 v10, v10, v11, vcc
	v_cndmask_b32_e32 v11, v12, v14, vcc
	v_lshlrev_b32_e32 v12, 16, v17
	v_mov_b32_e32 v14, 0x3b800000
	v_lshlrev_b32_e32 v10, 20, v10
	v_and_b32_e32 v12, 0x80000000, v12
	v_lshl_add_u32 v11, v11, 23, v14
	v_or3_b32 v10, v12, v11, v10
.LBB47_364:
	s_or_b64 exec, exec, s[6:7]
	v_lshrrev_b32_e32 v11, 8, v13
	s_movk_i32 s4, 0x7f
	v_cmp_gt_i16_sdwa s[6:7], v11, s4 src0_sel:BYTE_0 src1_sel:DWORD
	s_mov_b64 s[4:5], 0
                                        ; implicit-def: $sgpr10
	s_and_saveexec_b64 s[8:9], s[6:7]
	s_xor_b64 s[6:7], exec, s[8:9]
	s_cbranch_execnz .LBB47_2413
; %bb.365:
	s_or_saveexec_b64 s[6:7], s[6:7]
	v_mov_b32_e32 v12, s10
	s_xor_b64 exec, exec, s[6:7]
	s_cbranch_execnz .LBB47_2416
.LBB47_366:
	s_or_b64 exec, exec, s[6:7]
	s_and_saveexec_b64 s[6:7], s[4:5]
	s_cbranch_execz .LBB47_368
.LBB47_367:
	v_bfe_u32 v12, v13, 8, 3
	v_ffbh_u32_e32 v15, v12
	v_min_u32_e32 v15, 32, v15
	v_lshrrev_b16_e32 v14, 3, v11
	v_subrev_u32_e32 v16, 28, v15
	v_and_b32_e32 v14, 15, v14
	v_lshlrev_b32_e32 v11, v16, v11
	v_sub_u32_e32 v15, 29, v15
	v_and_b32_e32 v11, 7, v11
	v_cmp_eq_u16_e32 vcc, 0, v14
	v_cndmask_b32_e32 v11, v12, v11, vcc
	v_cndmask_b32_e32 v12, v14, v15, vcc
	v_lshlrev_b32_e32 v14, 16, v13
	v_mov_b32_e32 v15, 0x3b800000
	v_lshlrev_b32_e32 v11, 20, v11
	v_and_b32_e32 v14, 0x80000000, v14
	v_lshl_add_u32 v12, v12, 23, v15
	v_or3_b32 v12, v14, v12, v11
.LBB47_368:
	s_or_b64 exec, exec, s[6:7]
	s_nop 0
	v_mfma_f32_16x16x4f32 a[0:3], v10, v12, a[0:3]
	s_movk_i32 s4, 0xff
	v_and_b32_sdwa v11, v17, s4 dst_sel:DWORD dst_unused:UNUSED_PAD src0_sel:WORD_1 src1_sel:DWORD
	s_movk_i32 s4, 0x7f
	v_cmp_lt_i16_e32 vcc, s4, v11
	s_mov_b64 s[4:5], 0
                                        ; implicit-def: $sgpr10
	s_and_saveexec_b64 s[6:7], vcc
	s_xor_b64 s[6:7], exec, s[6:7]
	s_cbranch_execnz .LBB47_2417
; %bb.369:
	s_or_saveexec_b64 s[6:7], s[6:7]
	v_mov_b32_e32 v10, s10
	s_xor_b64 exec, exec, s[6:7]
	s_cbranch_execnz .LBB47_2420
.LBB47_370:
	s_or_b64 exec, exec, s[6:7]
	s_and_saveexec_b64 s[6:7], s[4:5]
	s_cbranch_execz .LBB47_372
.LBB47_371:
	v_bfe_u32 v10, v17, 16, 3
	v_ffbh_u32_e32 v14, v10
	v_min_u32_e32 v14, 32, v14
	v_lshrrev_b32_e32 v11, 19, v17
	v_subrev_u32_e32 v15, 28, v14
	v_and_b32_e32 v11, 15, v11
	v_lshlrev_b32_sdwa v15, v15, v17 dst_sel:DWORD dst_unused:UNUSED_PAD src0_sel:DWORD src1_sel:WORD_1
	v_bfe_u32 v12, v17, 19, 4
	v_sub_u32_e32 v14, 29, v14
	v_and_b32_e32 v15, 7, v15
	v_cmp_eq_u16_e32 vcc, 0, v11
	v_cndmask_b32_e32 v10, v10, v15, vcc
	v_cndmask_b32_e32 v11, v12, v14, vcc
	v_lshlrev_b32_e32 v12, 8, v17
	v_mov_b32_e32 v14, 0x3b800000
	v_lshlrev_b32_e32 v10, 20, v10
	v_and_b32_e32 v12, 0x80000000, v12
	v_lshl_add_u32 v11, v11, 23, v14
	v_or3_b32 v10, v12, v11, v10
.LBB47_372:
	s_or_b64 exec, exec, s[6:7]
	s_movk_i32 s4, 0xff
	v_and_b32_sdwa v11, v13, s4 dst_sel:DWORD dst_unused:UNUSED_PAD src0_sel:WORD_1 src1_sel:DWORD
	s_movk_i32 s4, 0x7f
	v_cmp_lt_i16_e32 vcc, s4, v11
	s_mov_b64 s[4:5], 0
                                        ; implicit-def: $sgpr10
	s_and_saveexec_b64 s[6:7], vcc
	s_xor_b64 s[6:7], exec, s[6:7]
	s_cbranch_execnz .LBB47_2421
; %bb.373:
	s_or_saveexec_b64 s[6:7], s[6:7]
	v_mov_b32_e32 v12, s10
	s_xor_b64 exec, exec, s[6:7]
	s_cbranch_execnz .LBB47_2424
.LBB47_374:
	s_or_b64 exec, exec, s[6:7]
	s_and_saveexec_b64 s[6:7], s[4:5]
	s_cbranch_execz .LBB47_376
.LBB47_375:
	v_bfe_u32 v11, v13, 16, 3
	v_ffbh_u32_e32 v15, v11
	v_min_u32_e32 v15, 32, v15
	v_lshrrev_b32_e32 v12, 19, v13
	v_subrev_u32_e32 v16, 28, v15
	v_and_b32_e32 v12, 15, v12
	v_lshlrev_b32_sdwa v16, v16, v13 dst_sel:DWORD dst_unused:UNUSED_PAD src0_sel:DWORD src1_sel:WORD_1
	v_bfe_u32 v14, v13, 19, 4
	v_sub_u32_e32 v15, 29, v15
	v_and_b32_e32 v16, 7, v16
	v_cmp_eq_u16_e32 vcc, 0, v12
	v_cndmask_b32_e32 v11, v11, v16, vcc
	v_cndmask_b32_e32 v12, v14, v15, vcc
	v_lshlrev_b32_e32 v14, 8, v13
	v_mov_b32_e32 v15, 0x3b800000
	v_lshlrev_b32_e32 v11, 20, v11
	v_and_b32_e32 v14, 0x80000000, v14
	v_lshl_add_u32 v12, v12, 23, v15
	v_or3_b32 v12, v14, v12, v11
.LBB47_376:
	s_or_b64 exec, exec, s[6:7]
	s_nop 0
	v_mfma_f32_16x16x4f32 a[0:3], v10, v12, a[0:3]
	s_movk_i32 s4, 0x7f
	v_cmp_gt_i16_sdwa s[6:7], v17, s4 src0_sel:BYTE_3 src1_sel:DWORD
	s_mov_b64 s[4:5], 0
                                        ; implicit-def: $sgpr10
	s_and_saveexec_b64 s[8:9], s[6:7]
	s_xor_b64 s[6:7], exec, s[8:9]
	s_cbranch_execnz .LBB47_2425
; %bb.377:
	s_or_saveexec_b64 s[6:7], s[6:7]
	v_mov_b32_e32 v10, s10
	s_xor_b64 exec, exec, s[6:7]
	s_cbranch_execnz .LBB47_2428
.LBB47_378:
	s_or_b64 exec, exec, s[6:7]
	s_and_saveexec_b64 s[6:7], s[4:5]
	s_cbranch_execz .LBB47_380
.LBB47_379:
	v_bfe_u32 v10, v17, 24, 3
	v_ffbh_u32_e32 v15, v10
	v_min_u32_e32 v15, 32, v15
	v_lshrrev_b32_e32 v12, 27, v17
	v_subrev_u32_e32 v16, 28, v15
	v_and_b32_e32 v12, 15, v12
	v_lshlrev_b32_sdwa v16, v16, v17 dst_sel:DWORD dst_unused:UNUSED_PAD src0_sel:DWORD src1_sel:BYTE_3
	v_bfe_u32 v14, v17, 27, 4
	v_sub_u32_e32 v15, 29, v15
	v_and_b32_e32 v16, 7, v16
	v_cmp_eq_u16_e32 vcc, 0, v12
	v_cndmask_b32_e32 v10, v10, v16, vcc
	v_cndmask_b32_e32 v12, v14, v15, vcc
	v_mov_b32_e32 v14, 0x3b800000
	v_and_b32_e32 v11, 0x80000000, v17
	v_lshlrev_b32_e32 v10, 20, v10
	v_lshl_add_u32 v12, v12, 23, v14
	v_or3_b32 v10, v11, v12, v10
.LBB47_380:
	s_or_b64 exec, exec, s[6:7]
	s_movk_i32 s4, 0x7f
	v_cmp_gt_i16_sdwa s[6:7], v13, s4 src0_sel:BYTE_3 src1_sel:DWORD
	s_mov_b64 s[4:5], 0
                                        ; implicit-def: $sgpr10
	s_and_saveexec_b64 s[8:9], s[6:7]
	s_xor_b64 s[6:7], exec, s[8:9]
	s_cbranch_execnz .LBB47_2429
; %bb.381:
	s_or_saveexec_b64 s[6:7], s[6:7]
	v_mov_b32_e32 v11, s10
	s_xor_b64 exec, exec, s[6:7]
	s_cbranch_execnz .LBB47_2432
.LBB47_382:
	s_or_b64 exec, exec, s[6:7]
	s_and_saveexec_b64 s[6:7], s[4:5]
	s_cbranch_execz .LBB47_384
.LBB47_383:
	v_bfe_u32 v11, v13, 24, 3
	v_ffbh_u32_e32 v16, v11
	v_min_u32_e32 v16, 32, v16
	v_lshrrev_b32_e32 v14, 27, v13
	v_subrev_u32_e32 v17, 28, v16
	v_and_b32_e32 v12, 0x80000000, v13
	v_and_b32_e32 v14, 15, v14
	v_bfe_u32 v15, v13, 27, 4
	v_lshlrev_b32_sdwa v13, v17, v13 dst_sel:DWORD dst_unused:UNUSED_PAD src0_sel:DWORD src1_sel:BYTE_3
	v_sub_u32_e32 v16, 29, v16
	v_and_b32_e32 v13, 7, v13
	v_cmp_eq_u16_e32 vcc, 0, v14
	v_cndmask_b32_e32 v11, v11, v13, vcc
	v_cndmask_b32_e32 v13, v15, v16, vcc
	v_mov_b32_e32 v14, 0x3b800000
	v_lshlrev_b32_e32 v11, 20, v11
	v_lshl_add_u32 v13, v13, 23, v14
	v_or3_b32 v11, v12, v13, v11
.LBB47_384:
	s_or_b64 exec, exec, s[6:7]
	s_nop 0
	v_mfma_f32_16x16x4f32 a[0:3], v10, v11, a[0:3]
	s_movk_i32 s4, 0x7f
	v_cmp_gt_i16_sdwa s[6:7], v6, s4 src0_sel:BYTE_0 src1_sel:DWORD
	s_mov_b64 s[4:5], 0
                                        ; implicit-def: $sgpr10
	s_and_saveexec_b64 s[8:9], s[6:7]
	s_xor_b64 s[6:7], exec, s[8:9]
	s_cbranch_execnz .LBB47_2433
; %bb.385:
	s_or_saveexec_b64 s[6:7], s[6:7]
	v_mov_b32_e32 v10, s10
	s_xor_b64 exec, exec, s[6:7]
	s_cbranch_execnz .LBB47_2436
.LBB47_386:
	s_or_b64 exec, exec, s[6:7]
	s_and_saveexec_b64 s[6:7], s[4:5]
	s_cbranch_execz .LBB47_388
.LBB47_387:
	v_and_b32_e32 v10, 7, v6
	v_ffbh_u32_e32 v12, v10
	v_min_u32_e32 v12, 32, v12
	v_lshrrev_b16_e32 v11, 3, v6
	v_subrev_u32_e32 v13, 28, v12
	v_and_b32_e32 v11, 15, v11
	v_lshlrev_b32_e32 v13, v13, v6
	v_sub_u32_e32 v12, 29, v12
	v_and_b32_e32 v13, 7, v13
	v_cmp_eq_u16_e32 vcc, 0, v11
	v_cndmask_b32_e32 v10, v10, v13, vcc
	v_cndmask_b32_e32 v11, v11, v12, vcc
	v_lshlrev_b32_e32 v12, 24, v6
	v_mov_b32_e32 v13, 0x3b800000
	v_lshlrev_b32_e32 v10, 20, v10
	v_and_b32_e32 v12, 0x80000000, v12
	v_lshl_add_u32 v11, v11, 23, v13
	v_or3_b32 v10, v12, v11, v10
.LBB47_388:
	s_or_b64 exec, exec, s[6:7]
	s_movk_i32 s4, 0x7f
	v_cmp_gt_i16_sdwa s[6:7], v2, s4 src0_sel:BYTE_0 src1_sel:DWORD
	s_mov_b64 s[4:5], 0
                                        ; implicit-def: $sgpr10
	s_and_saveexec_b64 s[8:9], s[6:7]
	s_xor_b64 s[6:7], exec, s[8:9]
	s_cbranch_execnz .LBB47_2437
; %bb.389:
	s_or_saveexec_b64 s[6:7], s[6:7]
	v_mov_b32_e32 v11, s10
	s_xor_b64 exec, exec, s[6:7]
	s_cbranch_execnz .LBB47_2440
.LBB47_390:
	s_or_b64 exec, exec, s[6:7]
	s_and_saveexec_b64 s[6:7], s[4:5]
	s_cbranch_execz .LBB47_392
.LBB47_391:
	v_and_b32_e32 v11, 7, v2
	v_ffbh_u32_e32 v13, v11
	v_min_u32_e32 v13, 32, v13
	v_lshrrev_b16_e32 v12, 3, v2
	v_subrev_u32_e32 v14, 28, v13
	v_and_b32_e32 v12, 15, v12
	v_lshlrev_b32_e32 v14, v14, v2
	v_sub_u32_e32 v13, 29, v13
	v_and_b32_e32 v14, 7, v14
	v_cmp_eq_u16_e32 vcc, 0, v12
	v_cndmask_b32_e32 v11, v11, v14, vcc
	v_cndmask_b32_e32 v12, v12, v13, vcc
	v_lshlrev_b32_e32 v13, 24, v2
	v_mov_b32_e32 v14, 0x3b800000
	v_lshlrev_b32_e32 v11, 20, v11
	v_and_b32_e32 v13, 0x80000000, v13
	v_lshl_add_u32 v12, v12, 23, v14
	v_or3_b32 v11, v13, v12, v11
.LBB47_392:
	s_or_b64 exec, exec, s[6:7]
	s_nop 0
	v_mfma_f32_16x16x4f32 a[0:3], v10, v11, a[0:3]
	v_lshrrev_b32_e32 v11, 8, v6
	s_movk_i32 s4, 0x7f
	v_cmp_gt_i16_sdwa s[6:7], v11, s4 src0_sel:BYTE_0 src1_sel:DWORD
	s_mov_b64 s[4:5], 0
                                        ; implicit-def: $sgpr10
	s_and_saveexec_b64 s[8:9], s[6:7]
	s_xor_b64 s[6:7], exec, s[8:9]
	s_cbranch_execnz .LBB47_2441
; %bb.393:
	s_or_saveexec_b64 s[6:7], s[6:7]
	v_mov_b32_e32 v10, s10
	s_xor_b64 exec, exec, s[6:7]
	s_cbranch_execnz .LBB47_2444
.LBB47_394:
	s_or_b64 exec, exec, s[6:7]
	s_and_saveexec_b64 s[6:7], s[4:5]
	s_cbranch_execz .LBB47_396
.LBB47_395:
	v_bfe_u32 v10, v6, 8, 3
	v_ffbh_u32_e32 v13, v10
	v_min_u32_e32 v13, 32, v13
	v_lshrrev_b16_e32 v12, 3, v11
	v_subrev_u32_e32 v14, 28, v13
	v_and_b32_e32 v12, 15, v12
	v_lshlrev_b32_e32 v11, v14, v11
	v_sub_u32_e32 v13, 29, v13
	v_and_b32_e32 v11, 7, v11
	v_cmp_eq_u16_e32 vcc, 0, v12
	v_cndmask_b32_e32 v10, v10, v11, vcc
	v_cndmask_b32_e32 v11, v12, v13, vcc
	v_lshlrev_b32_e32 v12, 16, v6
	v_mov_b32_e32 v13, 0x3b800000
	v_lshlrev_b32_e32 v10, 20, v10
	v_and_b32_e32 v12, 0x80000000, v12
	v_lshl_add_u32 v11, v11, 23, v13
	v_or3_b32 v10, v12, v11, v10
.LBB47_396:
	s_or_b64 exec, exec, s[6:7]
	v_lshrrev_b32_e32 v11, 8, v2
	s_movk_i32 s4, 0x7f
	v_cmp_gt_i16_sdwa s[6:7], v11, s4 src0_sel:BYTE_0 src1_sel:DWORD
	s_mov_b64 s[4:5], 0
                                        ; implicit-def: $sgpr10
	s_and_saveexec_b64 s[8:9], s[6:7]
	s_xor_b64 s[6:7], exec, s[8:9]
	s_cbranch_execnz .LBB47_2445
; %bb.397:
	s_or_saveexec_b64 s[6:7], s[6:7]
	v_mov_b32_e32 v12, s10
	s_xor_b64 exec, exec, s[6:7]
	s_cbranch_execnz .LBB47_2448
.LBB47_398:
	s_or_b64 exec, exec, s[6:7]
	s_and_saveexec_b64 s[6:7], s[4:5]
	s_cbranch_execz .LBB47_400
.LBB47_399:
	v_bfe_u32 v12, v2, 8, 3
	v_ffbh_u32_e32 v14, v12
	v_min_u32_e32 v14, 32, v14
	v_lshrrev_b16_e32 v13, 3, v11
	v_subrev_u32_e32 v15, 28, v14
	v_and_b32_e32 v13, 15, v13
	v_lshlrev_b32_e32 v11, v15, v11
	v_sub_u32_e32 v14, 29, v14
	v_and_b32_e32 v11, 7, v11
	v_cmp_eq_u16_e32 vcc, 0, v13
	v_cndmask_b32_e32 v11, v12, v11, vcc
	v_cndmask_b32_e32 v12, v13, v14, vcc
	v_lshlrev_b32_e32 v13, 16, v2
	v_mov_b32_e32 v14, 0x3b800000
	v_lshlrev_b32_e32 v11, 20, v11
	v_and_b32_e32 v13, 0x80000000, v13
	v_lshl_add_u32 v12, v12, 23, v14
	v_or3_b32 v12, v13, v12, v11
.LBB47_400:
	s_or_b64 exec, exec, s[6:7]
	s_nop 0
	v_mfma_f32_16x16x4f32 a[0:3], v10, v12, a[0:3]
	s_movk_i32 s4, 0xff
	v_and_b32_sdwa v11, v6, s4 dst_sel:DWORD dst_unused:UNUSED_PAD src0_sel:WORD_1 src1_sel:DWORD
	s_movk_i32 s4, 0x7f
	v_cmp_lt_i16_e32 vcc, s4, v11
	s_mov_b64 s[4:5], 0
                                        ; implicit-def: $sgpr10
	s_and_saveexec_b64 s[6:7], vcc
	s_xor_b64 s[6:7], exec, s[6:7]
	s_cbranch_execnz .LBB47_2449
; %bb.401:
	s_or_saveexec_b64 s[6:7], s[6:7]
	v_mov_b32_e32 v10, s10
	s_xor_b64 exec, exec, s[6:7]
	s_cbranch_execnz .LBB47_2452
.LBB47_402:
	s_or_b64 exec, exec, s[6:7]
	s_and_saveexec_b64 s[6:7], s[4:5]
	s_cbranch_execz .LBB47_404
.LBB47_403:
	v_bfe_u32 v10, v6, 16, 3
	v_ffbh_u32_e32 v13, v10
	v_min_u32_e32 v13, 32, v13
	v_lshrrev_b32_e32 v11, 19, v6
	v_subrev_u32_e32 v14, 28, v13
	v_and_b32_e32 v11, 15, v11
	v_lshlrev_b32_sdwa v14, v14, v6 dst_sel:DWORD dst_unused:UNUSED_PAD src0_sel:DWORD src1_sel:WORD_1
	v_bfe_u32 v12, v6, 19, 4
	v_sub_u32_e32 v13, 29, v13
	v_and_b32_e32 v14, 7, v14
	v_cmp_eq_u16_e32 vcc, 0, v11
	v_cndmask_b32_e32 v10, v10, v14, vcc
	v_cndmask_b32_e32 v11, v12, v13, vcc
	v_lshlrev_b32_e32 v12, 8, v6
	v_mov_b32_e32 v13, 0x3b800000
	v_lshlrev_b32_e32 v10, 20, v10
	v_and_b32_e32 v12, 0x80000000, v12
	v_lshl_add_u32 v11, v11, 23, v13
	v_or3_b32 v10, v12, v11, v10
.LBB47_404:
	s_or_b64 exec, exec, s[6:7]
	s_movk_i32 s4, 0xff
	v_and_b32_sdwa v11, v2, s4 dst_sel:DWORD dst_unused:UNUSED_PAD src0_sel:WORD_1 src1_sel:DWORD
	s_movk_i32 s4, 0x7f
	v_cmp_lt_i16_e32 vcc, s4, v11
	s_mov_b64 s[4:5], 0
                                        ; implicit-def: $sgpr10
	s_and_saveexec_b64 s[6:7], vcc
	s_xor_b64 s[6:7], exec, s[6:7]
	s_cbranch_execnz .LBB47_2453
; %bb.405:
	s_or_saveexec_b64 s[6:7], s[6:7]
	v_mov_b32_e32 v12, s10
	s_xor_b64 exec, exec, s[6:7]
	s_cbranch_execnz .LBB47_2456
.LBB47_406:
	s_or_b64 exec, exec, s[6:7]
	s_and_saveexec_b64 s[6:7], s[4:5]
	s_cbranch_execz .LBB47_408
.LBB47_407:
	v_bfe_u32 v11, v2, 16, 3
	v_ffbh_u32_e32 v14, v11
	v_min_u32_e32 v14, 32, v14
	v_lshrrev_b32_e32 v12, 19, v2
	v_subrev_u32_e32 v15, 28, v14
	v_and_b32_e32 v12, 15, v12
	v_lshlrev_b32_sdwa v15, v15, v2 dst_sel:DWORD dst_unused:UNUSED_PAD src0_sel:DWORD src1_sel:WORD_1
	v_bfe_u32 v13, v2, 19, 4
	v_sub_u32_e32 v14, 29, v14
	v_and_b32_e32 v15, 7, v15
	v_cmp_eq_u16_e32 vcc, 0, v12
	v_cndmask_b32_e32 v11, v11, v15, vcc
	v_cndmask_b32_e32 v12, v13, v14, vcc
	v_lshlrev_b32_e32 v13, 8, v2
	v_mov_b32_e32 v14, 0x3b800000
	v_lshlrev_b32_e32 v11, 20, v11
	v_and_b32_e32 v13, 0x80000000, v13
	v_lshl_add_u32 v12, v12, 23, v14
	v_or3_b32 v12, v13, v12, v11
.LBB47_408:
	s_or_b64 exec, exec, s[6:7]
	s_nop 0
	v_mfma_f32_16x16x4f32 a[0:3], v10, v12, a[0:3]
	s_movk_i32 s4, 0x7f
	v_cmp_gt_i16_sdwa s[6:7], v6, s4 src0_sel:BYTE_3 src1_sel:DWORD
	s_mov_b64 s[4:5], 0
                                        ; implicit-def: $sgpr10
	s_and_saveexec_b64 s[8:9], s[6:7]
	s_xor_b64 s[6:7], exec, s[8:9]
	s_cbranch_execnz .LBB47_2457
; %bb.409:
	s_or_saveexec_b64 s[6:7], s[6:7]
	v_mov_b32_e32 v10, s10
	s_xor_b64 exec, exec, s[6:7]
	s_cbranch_execnz .LBB47_2460
.LBB47_410:
	s_or_b64 exec, exec, s[6:7]
	s_and_saveexec_b64 s[6:7], s[4:5]
	s_cbranch_execz .LBB47_412
.LBB47_411:
	v_bfe_u32 v10, v6, 24, 3
	v_ffbh_u32_e32 v14, v10
	v_min_u32_e32 v14, 32, v14
	v_lshrrev_b32_e32 v12, 27, v6
	v_subrev_u32_e32 v15, 28, v14
	v_and_b32_e32 v11, 0x80000000, v6
	v_and_b32_e32 v12, 15, v12
	v_bfe_u32 v13, v6, 27, 4
	v_lshlrev_b32_sdwa v6, v15, v6 dst_sel:DWORD dst_unused:UNUSED_PAD src0_sel:DWORD src1_sel:BYTE_3
	v_sub_u32_e32 v14, 29, v14
	v_and_b32_e32 v6, 7, v6
	v_cmp_eq_u16_e32 vcc, 0, v12
	v_cndmask_b32_e32 v6, v10, v6, vcc
	v_cndmask_b32_e32 v10, v13, v14, vcc
	v_mov_b32_e32 v12, 0x3b800000
	v_lshlrev_b32_e32 v6, 20, v6
	v_lshl_add_u32 v10, v10, 23, v12
	v_or3_b32 v10, v11, v10, v6
.LBB47_412:
	s_or_b64 exec, exec, s[6:7]
	s_movk_i32 s4, 0x7f
	v_cmp_gt_i16_sdwa s[6:7], v2, s4 src0_sel:BYTE_3 src1_sel:DWORD
	s_mov_b64 s[4:5], 0
                                        ; implicit-def: $sgpr10
	s_and_saveexec_b64 s[8:9], s[6:7]
	s_xor_b64 s[6:7], exec, s[8:9]
	s_cbranch_execnz .LBB47_2461
; %bb.413:
	s_or_saveexec_b64 s[6:7], s[6:7]
	v_mov_b32_e32 v6, s10
	s_xor_b64 exec, exec, s[6:7]
	s_cbranch_execnz .LBB47_2464
.LBB47_414:
	s_or_b64 exec, exec, s[6:7]
	s_and_saveexec_b64 s[6:7], s[4:5]
	s_cbranch_execz .LBB47_416
.LBB47_415:
	v_bfe_u32 v6, v2, 24, 3
	v_ffbh_u32_e32 v14, v6
	v_min_u32_e32 v14, 32, v14
	v_lshrrev_b32_e32 v12, 27, v2
	v_subrev_u32_e32 v15, 28, v14
	v_and_b32_e32 v11, 0x80000000, v2
	v_and_b32_e32 v12, 15, v12
	v_bfe_u32 v13, v2, 27, 4
	v_lshlrev_b32_sdwa v2, v15, v2 dst_sel:DWORD dst_unused:UNUSED_PAD src0_sel:DWORD src1_sel:BYTE_3
	v_sub_u32_e32 v14, 29, v14
	v_and_b32_e32 v2, 7, v2
	v_cmp_eq_u16_e32 vcc, 0, v12
	v_cndmask_b32_e32 v2, v6, v2, vcc
	v_cndmask_b32_e32 v6, v13, v14, vcc
	v_mov_b32_e32 v12, 0x3b800000
	v_lshlrev_b32_e32 v2, 20, v2
	v_lshl_add_u32 v6, v6, 23, v12
	v_or3_b32 v6, v11, v6, v2
.LBB47_416:
	s_or_b64 exec, exec, s[6:7]
	s_nop 0
	v_mfma_f32_16x16x4f32 a[0:3], v10, v6, a[0:3]
	s_movk_i32 s4, 0x7f
	v_cmp_gt_i16_sdwa s[6:7], v7, s4 src0_sel:BYTE_0 src1_sel:DWORD
	s_mov_b64 s[4:5], 0
                                        ; implicit-def: $sgpr10
	s_and_saveexec_b64 s[8:9], s[6:7]
	s_xor_b64 s[6:7], exec, s[8:9]
	s_cbranch_execnz .LBB47_2465
; %bb.417:
	s_or_saveexec_b64 s[6:7], s[6:7]
	v_mov_b32_e32 v2, s10
	s_xor_b64 exec, exec, s[6:7]
	s_cbranch_execnz .LBB47_2468
.LBB47_418:
	s_or_b64 exec, exec, s[6:7]
	s_and_saveexec_b64 s[6:7], s[4:5]
	s_cbranch_execz .LBB47_420
.LBB47_419:
	v_and_b32_e32 v2, 7, v7
	v_ffbh_u32_e32 v10, v2
	v_min_u32_e32 v10, 32, v10
	v_lshrrev_b16_e32 v6, 3, v7
	v_subrev_u32_e32 v11, 28, v10
	v_and_b32_e32 v6, 15, v6
	v_lshlrev_b32_e32 v11, v11, v7
	v_sub_u32_e32 v10, 29, v10
	v_and_b32_e32 v11, 7, v11
	v_cmp_eq_u16_e32 vcc, 0, v6
	v_cndmask_b32_e32 v2, v2, v11, vcc
	v_cndmask_b32_e32 v6, v6, v10, vcc
	v_lshlrev_b32_e32 v10, 24, v7
	v_mov_b32_e32 v11, 0x3b800000
	v_lshlrev_b32_e32 v2, 20, v2
	v_and_b32_e32 v10, 0x80000000, v10
	v_lshl_add_u32 v6, v6, 23, v11
	v_or3_b32 v2, v10, v6, v2
.LBB47_420:
	s_or_b64 exec, exec, s[6:7]
	s_movk_i32 s4, 0x7f
	v_cmp_gt_i16_sdwa s[6:7], v3, s4 src0_sel:BYTE_0 src1_sel:DWORD
	s_mov_b64 s[4:5], 0
                                        ; implicit-def: $sgpr10
	s_and_saveexec_b64 s[8:9], s[6:7]
	s_xor_b64 s[6:7], exec, s[8:9]
	s_cbranch_execnz .LBB47_2469
; %bb.421:
	s_or_saveexec_b64 s[6:7], s[6:7]
	v_mov_b32_e32 v6, s10
	s_xor_b64 exec, exec, s[6:7]
	s_cbranch_execnz .LBB47_2472
.LBB47_422:
	s_or_b64 exec, exec, s[6:7]
	s_and_saveexec_b64 s[6:7], s[4:5]
	s_cbranch_execz .LBB47_424
.LBB47_423:
	v_and_b32_e32 v6, 7, v3
	v_ffbh_u32_e32 v11, v6
	v_min_u32_e32 v11, 32, v11
	v_lshrrev_b16_e32 v10, 3, v3
	v_subrev_u32_e32 v12, 28, v11
	v_and_b32_e32 v10, 15, v10
	v_lshlrev_b32_e32 v12, v12, v3
	v_sub_u32_e32 v11, 29, v11
	v_and_b32_e32 v12, 7, v12
	v_cmp_eq_u16_e32 vcc, 0, v10
	v_cndmask_b32_e32 v6, v6, v12, vcc
	v_cndmask_b32_e32 v10, v10, v11, vcc
	v_lshlrev_b32_e32 v11, 24, v3
	v_mov_b32_e32 v12, 0x3b800000
	v_lshlrev_b32_e32 v6, 20, v6
	v_and_b32_e32 v11, 0x80000000, v11
	v_lshl_add_u32 v10, v10, 23, v12
	v_or3_b32 v6, v11, v10, v6
.LBB47_424:
	s_or_b64 exec, exec, s[6:7]
	s_nop 0
	v_mfma_f32_16x16x4f32 a[0:3], v2, v6, a[0:3]
	v_lshrrev_b32_e32 v6, 8, v7
	s_movk_i32 s4, 0x7f
	v_cmp_gt_i16_sdwa s[6:7], v6, s4 src0_sel:BYTE_0 src1_sel:DWORD
	s_mov_b64 s[4:5], 0
                                        ; implicit-def: $sgpr10
	s_and_saveexec_b64 s[8:9], s[6:7]
	s_xor_b64 s[6:7], exec, s[8:9]
	s_cbranch_execnz .LBB47_2473
; %bb.425:
	s_or_saveexec_b64 s[6:7], s[6:7]
	v_mov_b32_e32 v2, s10
	s_xor_b64 exec, exec, s[6:7]
	s_cbranch_execnz .LBB47_2476
.LBB47_426:
	s_or_b64 exec, exec, s[6:7]
	s_and_saveexec_b64 s[6:7], s[4:5]
	s_cbranch_execz .LBB47_428
.LBB47_427:
	v_bfe_u32 v2, v7, 8, 3
	v_ffbh_u32_e32 v11, v2
	v_min_u32_e32 v11, 32, v11
	v_lshrrev_b16_e32 v10, 3, v6
	v_subrev_u32_e32 v12, 28, v11
	v_and_b32_e32 v10, 15, v10
	v_lshlrev_b32_e32 v6, v12, v6
	v_sub_u32_e32 v11, 29, v11
	v_and_b32_e32 v6, 7, v6
	v_cmp_eq_u16_e32 vcc, 0, v10
	v_cndmask_b32_e32 v2, v2, v6, vcc
	v_cndmask_b32_e32 v6, v10, v11, vcc
	v_lshlrev_b32_e32 v10, 16, v7
	v_mov_b32_e32 v11, 0x3b800000
	v_lshlrev_b32_e32 v2, 20, v2
	v_and_b32_e32 v10, 0x80000000, v10
	v_lshl_add_u32 v6, v6, 23, v11
	v_or3_b32 v2, v10, v6, v2
.LBB47_428:
	s_or_b64 exec, exec, s[6:7]
	v_lshrrev_b32_e32 v6, 8, v3
	s_movk_i32 s4, 0x7f
	v_cmp_gt_i16_sdwa s[6:7], v6, s4 src0_sel:BYTE_0 src1_sel:DWORD
	s_mov_b64 s[4:5], 0
                                        ; implicit-def: $sgpr10
	s_and_saveexec_b64 s[8:9], s[6:7]
	s_xor_b64 s[6:7], exec, s[8:9]
	s_cbranch_execnz .LBB47_2477
; %bb.429:
	s_or_saveexec_b64 s[6:7], s[6:7]
	v_mov_b32_e32 v10, s10
	s_xor_b64 exec, exec, s[6:7]
	s_cbranch_execnz .LBB47_2480
.LBB47_430:
	s_or_b64 exec, exec, s[6:7]
	s_and_saveexec_b64 s[6:7], s[4:5]
	s_cbranch_execz .LBB47_432
.LBB47_431:
	v_bfe_u32 v10, v3, 8, 3
	v_ffbh_u32_e32 v12, v10
	v_min_u32_e32 v12, 32, v12
	v_lshrrev_b16_e32 v11, 3, v6
	v_subrev_u32_e32 v13, 28, v12
	v_and_b32_e32 v11, 15, v11
	v_lshlrev_b32_e32 v6, v13, v6
	v_sub_u32_e32 v12, 29, v12
	v_and_b32_e32 v6, 7, v6
	v_cmp_eq_u16_e32 vcc, 0, v11
	v_cndmask_b32_e32 v6, v10, v6, vcc
	v_cndmask_b32_e32 v10, v11, v12, vcc
	v_lshlrev_b32_e32 v11, 16, v3
	v_mov_b32_e32 v12, 0x3b800000
	v_lshlrev_b32_e32 v6, 20, v6
	v_and_b32_e32 v11, 0x80000000, v11
	v_lshl_add_u32 v10, v10, 23, v12
	v_or3_b32 v10, v11, v10, v6
.LBB47_432:
	s_or_b64 exec, exec, s[6:7]
	s_nop 0
	v_mfma_f32_16x16x4f32 a[0:3], v2, v10, a[0:3]
	s_movk_i32 s4, 0xff
	v_and_b32_sdwa v6, v7, s4 dst_sel:DWORD dst_unused:UNUSED_PAD src0_sel:WORD_1 src1_sel:DWORD
	s_movk_i32 s4, 0x7f
	v_cmp_lt_i16_e32 vcc, s4, v6
	s_mov_b64 s[4:5], 0
                                        ; implicit-def: $sgpr10
	s_and_saveexec_b64 s[6:7], vcc
	s_xor_b64 s[6:7], exec, s[6:7]
	s_cbranch_execnz .LBB47_2481
; %bb.433:
	s_or_saveexec_b64 s[6:7], s[6:7]
	v_mov_b32_e32 v2, s10
	s_xor_b64 exec, exec, s[6:7]
	s_cbranch_execnz .LBB47_2484
.LBB47_434:
	s_or_b64 exec, exec, s[6:7]
	s_and_saveexec_b64 s[6:7], s[4:5]
	s_cbranch_execz .LBB47_436
.LBB47_435:
	v_bfe_u32 v2, v7, 16, 3
	v_ffbh_u32_e32 v11, v2
	v_min_u32_e32 v11, 32, v11
	v_lshrrev_b32_e32 v6, 19, v7
	v_subrev_u32_e32 v12, 28, v11
	v_and_b32_e32 v6, 15, v6
	v_lshlrev_b32_sdwa v12, v12, v7 dst_sel:DWORD dst_unused:UNUSED_PAD src0_sel:DWORD src1_sel:WORD_1
	v_bfe_u32 v10, v7, 19, 4
	v_sub_u32_e32 v11, 29, v11
	v_and_b32_e32 v12, 7, v12
	v_cmp_eq_u16_e32 vcc, 0, v6
	v_cndmask_b32_e32 v2, v2, v12, vcc
	v_cndmask_b32_e32 v6, v10, v11, vcc
	v_lshlrev_b32_e32 v10, 8, v7
	v_mov_b32_e32 v11, 0x3b800000
	v_lshlrev_b32_e32 v2, 20, v2
	v_and_b32_e32 v10, 0x80000000, v10
	v_lshl_add_u32 v6, v6, 23, v11
	v_or3_b32 v2, v10, v6, v2
.LBB47_436:
	s_or_b64 exec, exec, s[6:7]
	s_movk_i32 s4, 0xff
	v_and_b32_sdwa v6, v3, s4 dst_sel:DWORD dst_unused:UNUSED_PAD src0_sel:WORD_1 src1_sel:DWORD
	s_movk_i32 s4, 0x7f
	v_cmp_lt_i16_e32 vcc, s4, v6
	s_mov_b64 s[4:5], 0
                                        ; implicit-def: $sgpr10
	s_and_saveexec_b64 s[6:7], vcc
	s_xor_b64 s[6:7], exec, s[6:7]
	s_cbranch_execnz .LBB47_2485
; %bb.437:
	s_or_saveexec_b64 s[6:7], s[6:7]
	v_mov_b32_e32 v10, s10
	s_xor_b64 exec, exec, s[6:7]
	s_cbranch_execnz .LBB47_2488
.LBB47_438:
	s_or_b64 exec, exec, s[6:7]
	s_and_saveexec_b64 s[6:7], s[4:5]
	s_cbranch_execz .LBB47_440
.LBB47_439:
	v_bfe_u32 v6, v3, 16, 3
	v_ffbh_u32_e32 v12, v6
	v_min_u32_e32 v12, 32, v12
	v_lshrrev_b32_e32 v10, 19, v3
	v_subrev_u32_e32 v13, 28, v12
	v_and_b32_e32 v10, 15, v10
	v_lshlrev_b32_sdwa v13, v13, v3 dst_sel:DWORD dst_unused:UNUSED_PAD src0_sel:DWORD src1_sel:WORD_1
	v_bfe_u32 v11, v3, 19, 4
	v_sub_u32_e32 v12, 29, v12
	v_and_b32_e32 v13, 7, v13
	v_cmp_eq_u16_e32 vcc, 0, v10
	v_cndmask_b32_e32 v6, v6, v13, vcc
	v_cndmask_b32_e32 v10, v11, v12, vcc
	v_lshlrev_b32_e32 v11, 8, v3
	v_mov_b32_e32 v12, 0x3b800000
	v_lshlrev_b32_e32 v6, 20, v6
	v_and_b32_e32 v11, 0x80000000, v11
	v_lshl_add_u32 v10, v10, 23, v12
	v_or3_b32 v10, v11, v10, v6
.LBB47_440:
	s_or_b64 exec, exec, s[6:7]
	s_nop 0
	v_mfma_f32_16x16x4f32 a[0:3], v2, v10, a[0:3]
	s_movk_i32 s4, 0x7f
	v_cmp_gt_i16_sdwa s[6:7], v7, s4 src0_sel:BYTE_3 src1_sel:DWORD
	s_mov_b64 s[4:5], 0
                                        ; implicit-def: $sgpr10
	s_and_saveexec_b64 s[8:9], s[6:7]
	s_xor_b64 s[6:7], exec, s[8:9]
	s_cbranch_execnz .LBB47_2489
; %bb.441:
	s_or_saveexec_b64 s[6:7], s[6:7]
	v_mov_b32_e32 v2, s10
	s_xor_b64 exec, exec, s[6:7]
	s_cbranch_execnz .LBB47_2492
.LBB47_442:
	s_or_b64 exec, exec, s[6:7]
	s_and_saveexec_b64 s[6:7], s[4:5]
	s_cbranch_execz .LBB47_444
.LBB47_443:
	v_bfe_u32 v2, v7, 24, 3
	v_ffbh_u32_e32 v12, v2
	v_min_u32_e32 v12, 32, v12
	v_lshrrev_b32_e32 v10, 27, v7
	v_subrev_u32_e32 v13, 28, v12
	v_and_b32_e32 v6, 0x80000000, v7
	v_and_b32_e32 v10, 15, v10
	v_bfe_u32 v11, v7, 27, 4
	v_lshlrev_b32_sdwa v7, v13, v7 dst_sel:DWORD dst_unused:UNUSED_PAD src0_sel:DWORD src1_sel:BYTE_3
	v_sub_u32_e32 v12, 29, v12
	v_and_b32_e32 v7, 7, v7
	v_cmp_eq_u16_e32 vcc, 0, v10
	v_cndmask_b32_e32 v2, v2, v7, vcc
	v_cndmask_b32_e32 v7, v11, v12, vcc
	v_mov_b32_e32 v10, 0x3b800000
	v_lshlrev_b32_e32 v2, 20, v2
	v_lshl_add_u32 v7, v7, 23, v10
	v_or3_b32 v2, v6, v7, v2
.LBB47_444:
	s_or_b64 exec, exec, s[6:7]
	s_movk_i32 s4, 0x7f
	v_cmp_gt_i16_sdwa s[6:7], v3, s4 src0_sel:BYTE_3 src1_sel:DWORD
	s_mov_b64 s[4:5], 0
                                        ; implicit-def: $sgpr10
	s_and_saveexec_b64 s[8:9], s[6:7]
	s_xor_b64 s[6:7], exec, s[8:9]
	s_cbranch_execnz .LBB47_2493
; %bb.445:
	s_or_saveexec_b64 s[6:7], s[6:7]
	v_mov_b32_e32 v6, s10
	s_xor_b64 exec, exec, s[6:7]
	s_cbranch_execnz .LBB47_2496
.LBB47_446:
	s_or_b64 exec, exec, s[6:7]
	s_and_saveexec_b64 s[6:7], s[4:5]
	s_cbranch_execz .LBB47_448
.LBB47_447:
	v_bfe_u32 v6, v3, 24, 3
	v_ffbh_u32_e32 v12, v6
	v_min_u32_e32 v12, 32, v12
	v_lshrrev_b32_e32 v10, 27, v3
	v_subrev_u32_e32 v13, 28, v12
	v_and_b32_e32 v7, 0x80000000, v3
	v_and_b32_e32 v10, 15, v10
	v_bfe_u32 v11, v3, 27, 4
	v_lshlrev_b32_sdwa v3, v13, v3 dst_sel:DWORD dst_unused:UNUSED_PAD src0_sel:DWORD src1_sel:BYTE_3
	v_sub_u32_e32 v12, 29, v12
	v_and_b32_e32 v3, 7, v3
	v_cmp_eq_u16_e32 vcc, 0, v10
	v_cndmask_b32_e32 v3, v6, v3, vcc
	v_cndmask_b32_e32 v6, v11, v12, vcc
	v_mov_b32_e32 v10, 0x3b800000
	v_lshlrev_b32_e32 v3, 20, v3
	v_lshl_add_u32 v6, v6, 23, v10
	v_or3_b32 v6, v7, v6, v3
.LBB47_448:
	s_or_b64 exec, exec, s[6:7]
	s_nop 0
	v_mfma_f32_16x16x4f32 a[0:3], v2, v6, a[0:3]
	s_movk_i32 s4, 0x7f
	v_cmp_gt_i16_sdwa s[6:7], v8, s4 src0_sel:BYTE_0 src1_sel:DWORD
	s_mov_b64 s[4:5], 0
                                        ; implicit-def: $sgpr10
	s_and_saveexec_b64 s[8:9], s[6:7]
	s_xor_b64 s[6:7], exec, s[8:9]
	s_cbranch_execnz .LBB47_2497
; %bb.449:
	s_or_saveexec_b64 s[6:7], s[6:7]
	v_mov_b32_e32 v2, s10
	s_xor_b64 exec, exec, s[6:7]
	s_cbranch_execnz .LBB47_2500
.LBB47_450:
	s_or_b64 exec, exec, s[6:7]
	s_and_saveexec_b64 s[6:7], s[4:5]
	s_cbranch_execz .LBB47_452
.LBB47_451:
	v_and_b32_e32 v2, 7, v8
	v_ffbh_u32_e32 v6, v2
	v_min_u32_e32 v6, 32, v6
	v_lshrrev_b16_e32 v3, 3, v8
	v_subrev_u32_e32 v7, 28, v6
	v_and_b32_e32 v3, 15, v3
	v_lshlrev_b32_e32 v7, v7, v8
	v_sub_u32_e32 v6, 29, v6
	v_and_b32_e32 v7, 7, v7
	v_cmp_eq_u16_e32 vcc, 0, v3
	v_cndmask_b32_e32 v2, v2, v7, vcc
	v_cndmask_b32_e32 v3, v3, v6, vcc
	v_lshlrev_b32_e32 v6, 24, v8
	v_mov_b32_e32 v7, 0x3b800000
	v_lshlrev_b32_e32 v2, 20, v2
	v_and_b32_e32 v6, 0x80000000, v6
	v_lshl_add_u32 v3, v3, 23, v7
	v_or3_b32 v2, v6, v3, v2
.LBB47_452:
	s_or_b64 exec, exec, s[6:7]
	s_movk_i32 s4, 0x7f
	v_cmp_gt_i16_sdwa s[6:7], v4, s4 src0_sel:BYTE_0 src1_sel:DWORD
	s_mov_b64 s[4:5], 0
                                        ; implicit-def: $sgpr10
	s_and_saveexec_b64 s[8:9], s[6:7]
	s_xor_b64 s[6:7], exec, s[8:9]
	s_cbranch_execnz .LBB47_2501
; %bb.453:
	s_or_saveexec_b64 s[6:7], s[6:7]
	v_mov_b32_e32 v3, s10
	s_xor_b64 exec, exec, s[6:7]
	s_cbranch_execnz .LBB47_2504
.LBB47_454:
	s_or_b64 exec, exec, s[6:7]
	s_and_saveexec_b64 s[6:7], s[4:5]
	s_cbranch_execz .LBB47_456
.LBB47_455:
	v_and_b32_e32 v3, 7, v4
	v_ffbh_u32_e32 v7, v3
	v_min_u32_e32 v7, 32, v7
	v_lshrrev_b16_e32 v6, 3, v4
	v_subrev_u32_e32 v10, 28, v7
	v_and_b32_e32 v6, 15, v6
	v_lshlrev_b32_e32 v10, v10, v4
	v_sub_u32_e32 v7, 29, v7
	v_and_b32_e32 v10, 7, v10
	v_cmp_eq_u16_e32 vcc, 0, v6
	v_cndmask_b32_e32 v3, v3, v10, vcc
	v_cndmask_b32_e32 v6, v6, v7, vcc
	v_lshlrev_b32_e32 v7, 24, v4
	v_mov_b32_e32 v10, 0x3b800000
	v_lshlrev_b32_e32 v3, 20, v3
	v_and_b32_e32 v7, 0x80000000, v7
	v_lshl_add_u32 v6, v6, 23, v10
	v_or3_b32 v3, v7, v6, v3
.LBB47_456:
	s_or_b64 exec, exec, s[6:7]
	s_nop 0
	v_mfma_f32_16x16x4f32 a[0:3], v2, v3, a[0:3]
	v_lshrrev_b32_e32 v3, 8, v8
	s_movk_i32 s4, 0x7f
	v_cmp_gt_i16_sdwa s[6:7], v3, s4 src0_sel:BYTE_0 src1_sel:DWORD
	s_mov_b64 s[4:5], 0
                                        ; implicit-def: $sgpr10
	s_and_saveexec_b64 s[8:9], s[6:7]
	s_xor_b64 s[6:7], exec, s[8:9]
	s_cbranch_execnz .LBB47_2505
; %bb.457:
	s_or_saveexec_b64 s[6:7], s[6:7]
	v_mov_b32_e32 v2, s10
	s_xor_b64 exec, exec, s[6:7]
	s_cbranch_execnz .LBB47_2508
.LBB47_458:
	s_or_b64 exec, exec, s[6:7]
	s_and_saveexec_b64 s[6:7], s[4:5]
	s_cbranch_execz .LBB47_460
.LBB47_459:
	v_bfe_u32 v2, v8, 8, 3
	v_ffbh_u32_e32 v7, v2
	v_min_u32_e32 v7, 32, v7
	v_lshrrev_b16_e32 v6, 3, v3
	v_subrev_u32_e32 v10, 28, v7
	v_and_b32_e32 v6, 15, v6
	v_lshlrev_b32_e32 v3, v10, v3
	v_sub_u32_e32 v7, 29, v7
	v_and_b32_e32 v3, 7, v3
	v_cmp_eq_u16_e32 vcc, 0, v6
	v_cndmask_b32_e32 v2, v2, v3, vcc
	v_cndmask_b32_e32 v3, v6, v7, vcc
	v_lshlrev_b32_e32 v6, 16, v8
	v_mov_b32_e32 v7, 0x3b800000
	v_lshlrev_b32_e32 v2, 20, v2
	v_and_b32_e32 v6, 0x80000000, v6
	v_lshl_add_u32 v3, v3, 23, v7
	v_or3_b32 v2, v6, v3, v2
.LBB47_460:
	s_or_b64 exec, exec, s[6:7]
	v_lshrrev_b32_e32 v3, 8, v4
	s_movk_i32 s4, 0x7f
	v_cmp_gt_i16_sdwa s[6:7], v3, s4 src0_sel:BYTE_0 src1_sel:DWORD
	s_mov_b64 s[4:5], 0
                                        ; implicit-def: $sgpr10
	s_and_saveexec_b64 s[8:9], s[6:7]
	s_xor_b64 s[6:7], exec, s[8:9]
	s_cbranch_execnz .LBB47_2509
; %bb.461:
	s_or_saveexec_b64 s[6:7], s[6:7]
	v_mov_b32_e32 v6, s10
	s_xor_b64 exec, exec, s[6:7]
	s_cbranch_execnz .LBB47_2512
.LBB47_462:
	s_or_b64 exec, exec, s[6:7]
	s_and_saveexec_b64 s[6:7], s[4:5]
	s_cbranch_execz .LBB47_464
.LBB47_463:
	v_bfe_u32 v6, v4, 8, 3
	v_ffbh_u32_e32 v10, v6
	v_min_u32_e32 v10, 32, v10
	v_lshrrev_b16_e32 v7, 3, v3
	v_subrev_u32_e32 v11, 28, v10
	v_and_b32_e32 v7, 15, v7
	v_lshlrev_b32_e32 v3, v11, v3
	v_sub_u32_e32 v10, 29, v10
	v_and_b32_e32 v3, 7, v3
	v_cmp_eq_u16_e32 vcc, 0, v7
	v_cndmask_b32_e32 v3, v6, v3, vcc
	v_cndmask_b32_e32 v6, v7, v10, vcc
	v_lshlrev_b32_e32 v7, 16, v4
	v_mov_b32_e32 v10, 0x3b800000
	v_lshlrev_b32_e32 v3, 20, v3
	v_and_b32_e32 v7, 0x80000000, v7
	v_lshl_add_u32 v6, v6, 23, v10
	v_or3_b32 v6, v7, v6, v3
.LBB47_464:
	s_or_b64 exec, exec, s[6:7]
	s_nop 0
	v_mfma_f32_16x16x4f32 a[0:3], v2, v6, a[0:3]
	s_movk_i32 s4, 0xff
	v_and_b32_sdwa v3, v8, s4 dst_sel:DWORD dst_unused:UNUSED_PAD src0_sel:WORD_1 src1_sel:DWORD
	s_movk_i32 s4, 0x7f
	v_cmp_lt_i16_e32 vcc, s4, v3
	s_mov_b64 s[4:5], 0
                                        ; implicit-def: $sgpr10
	s_and_saveexec_b64 s[6:7], vcc
	s_xor_b64 s[6:7], exec, s[6:7]
	s_cbranch_execnz .LBB47_2513
; %bb.465:
	s_or_saveexec_b64 s[6:7], s[6:7]
	v_mov_b32_e32 v2, s10
	s_xor_b64 exec, exec, s[6:7]
	s_cbranch_execnz .LBB47_2516
.LBB47_466:
	s_or_b64 exec, exec, s[6:7]
	s_and_saveexec_b64 s[6:7], s[4:5]
	s_cbranch_execz .LBB47_468
.LBB47_467:
	v_bfe_u32 v2, v8, 16, 3
	v_ffbh_u32_e32 v7, v2
	v_min_u32_e32 v7, 32, v7
	v_lshrrev_b32_e32 v3, 19, v8
	v_subrev_u32_e32 v10, 28, v7
	v_and_b32_e32 v3, 15, v3
	v_lshlrev_b32_sdwa v10, v10, v8 dst_sel:DWORD dst_unused:UNUSED_PAD src0_sel:DWORD src1_sel:WORD_1
	v_bfe_u32 v6, v8, 19, 4
	v_sub_u32_e32 v7, 29, v7
	v_and_b32_e32 v10, 7, v10
	v_cmp_eq_u16_e32 vcc, 0, v3
	v_cndmask_b32_e32 v2, v2, v10, vcc
	v_cndmask_b32_e32 v3, v6, v7, vcc
	v_lshlrev_b32_e32 v6, 8, v8
	v_mov_b32_e32 v7, 0x3b800000
	v_lshlrev_b32_e32 v2, 20, v2
	v_and_b32_e32 v6, 0x80000000, v6
	v_lshl_add_u32 v3, v3, 23, v7
	v_or3_b32 v2, v6, v3, v2
.LBB47_468:
	s_or_b64 exec, exec, s[6:7]
	s_movk_i32 s4, 0xff
	v_and_b32_sdwa v3, v4, s4 dst_sel:DWORD dst_unused:UNUSED_PAD src0_sel:WORD_1 src1_sel:DWORD
	s_movk_i32 s4, 0x7f
	v_cmp_lt_i16_e32 vcc, s4, v3
	s_mov_b64 s[4:5], 0
                                        ; implicit-def: $sgpr10
	s_and_saveexec_b64 s[6:7], vcc
	s_xor_b64 s[6:7], exec, s[6:7]
	s_cbranch_execnz .LBB47_2517
; %bb.469:
	s_or_saveexec_b64 s[6:7], s[6:7]
	v_mov_b32_e32 v6, s10
	s_xor_b64 exec, exec, s[6:7]
	s_cbranch_execnz .LBB47_2520
.LBB47_470:
	s_or_b64 exec, exec, s[6:7]
	s_and_saveexec_b64 s[6:7], s[4:5]
	s_cbranch_execz .LBB47_472
.LBB47_471:
	v_bfe_u32 v3, v4, 16, 3
	v_ffbh_u32_e32 v10, v3
	v_min_u32_e32 v10, 32, v10
	v_lshrrev_b32_e32 v6, 19, v4
	v_subrev_u32_e32 v11, 28, v10
	v_and_b32_e32 v6, 15, v6
	v_lshlrev_b32_sdwa v11, v11, v4 dst_sel:DWORD dst_unused:UNUSED_PAD src0_sel:DWORD src1_sel:WORD_1
	v_bfe_u32 v7, v4, 19, 4
	v_sub_u32_e32 v10, 29, v10
	v_and_b32_e32 v11, 7, v11
	v_cmp_eq_u16_e32 vcc, 0, v6
	v_cndmask_b32_e32 v3, v3, v11, vcc
	v_cndmask_b32_e32 v6, v7, v10, vcc
	v_lshlrev_b32_e32 v7, 8, v4
	v_mov_b32_e32 v10, 0x3b800000
	v_lshlrev_b32_e32 v3, 20, v3
	v_and_b32_e32 v7, 0x80000000, v7
	v_lshl_add_u32 v6, v6, 23, v10
	v_or3_b32 v6, v7, v6, v3
.LBB47_472:
	s_or_b64 exec, exec, s[6:7]
	s_nop 0
	v_mfma_f32_16x16x4f32 a[0:3], v2, v6, a[0:3]
	s_movk_i32 s4, 0x7f
	v_cmp_gt_i16_sdwa s[6:7], v8, s4 src0_sel:BYTE_3 src1_sel:DWORD
	s_mov_b64 s[4:5], 0
                                        ; implicit-def: $sgpr10
	s_and_saveexec_b64 s[8:9], s[6:7]
	s_xor_b64 s[6:7], exec, s[8:9]
	s_cbranch_execnz .LBB47_2521
; %bb.473:
	s_or_saveexec_b64 s[6:7], s[6:7]
	v_mov_b32_e32 v2, s10
	s_xor_b64 exec, exec, s[6:7]
	s_cbranch_execnz .LBB47_2524
.LBB47_474:
	s_or_b64 exec, exec, s[6:7]
	s_and_saveexec_b64 s[6:7], s[4:5]
	s_cbranch_execz .LBB47_476
.LBB47_475:
	v_bfe_u32 v2, v8, 24, 3
	v_ffbh_u32_e32 v10, v2
	v_min_u32_e32 v10, 32, v10
	v_lshrrev_b32_e32 v6, 27, v8
	v_subrev_u32_e32 v11, 28, v10
	v_and_b32_e32 v3, 0x80000000, v8
	v_and_b32_e32 v6, 15, v6
	v_bfe_u32 v7, v8, 27, 4
	v_lshlrev_b32_sdwa v8, v11, v8 dst_sel:DWORD dst_unused:UNUSED_PAD src0_sel:DWORD src1_sel:BYTE_3
	v_sub_u32_e32 v10, 29, v10
	v_and_b32_e32 v8, 7, v8
	v_cmp_eq_u16_e32 vcc, 0, v6
	v_cndmask_b32_e32 v2, v2, v8, vcc
	v_cndmask_b32_e32 v6, v7, v10, vcc
	v_mov_b32_e32 v7, 0x3b800000
	v_lshlrev_b32_e32 v2, 20, v2
	v_lshl_add_u32 v6, v6, 23, v7
	v_or3_b32 v2, v3, v6, v2
.LBB47_476:
	s_or_b64 exec, exec, s[6:7]
	s_movk_i32 s4, 0x7f
	v_cmp_gt_i16_sdwa s[6:7], v4, s4 src0_sel:BYTE_3 src1_sel:DWORD
	s_mov_b64 s[4:5], 0
                                        ; implicit-def: $sgpr10
	s_and_saveexec_b64 s[8:9], s[6:7]
	s_xor_b64 s[6:7], exec, s[8:9]
	s_cbranch_execnz .LBB47_2525
; %bb.477:
	s_or_saveexec_b64 s[6:7], s[6:7]
	v_mov_b32_e32 v3, s10
	s_xor_b64 exec, exec, s[6:7]
	s_cbranch_execnz .LBB47_2528
.LBB47_478:
	s_or_b64 exec, exec, s[6:7]
	s_and_saveexec_b64 s[6:7], s[4:5]
	s_cbranch_execz .LBB47_480
.LBB47_479:
	v_bfe_u32 v3, v4, 24, 3
	v_ffbh_u32_e32 v10, v3
	v_min_u32_e32 v10, 32, v10
	v_lshrrev_b32_e32 v7, 27, v4
	v_subrev_u32_e32 v11, 28, v10
	v_and_b32_e32 v6, 0x80000000, v4
	v_and_b32_e32 v7, 15, v7
	v_bfe_u32 v8, v4, 27, 4
	v_lshlrev_b32_sdwa v4, v11, v4 dst_sel:DWORD dst_unused:UNUSED_PAD src0_sel:DWORD src1_sel:BYTE_3
	v_sub_u32_e32 v10, 29, v10
	v_and_b32_e32 v4, 7, v4
	v_cmp_eq_u16_e32 vcc, 0, v7
	v_cndmask_b32_e32 v3, v3, v4, vcc
	v_cndmask_b32_e32 v4, v8, v10, vcc
	v_mov_b32_e32 v7, 0x3b800000
	v_lshlrev_b32_e32 v3, 20, v3
	v_lshl_add_u32 v4, v4, 23, v7
	v_or3_b32 v3, v6, v4, v3
.LBB47_480:
	s_or_b64 exec, exec, s[6:7]
	s_nop 0
	v_mfma_f32_16x16x4f32 a[0:3], v2, v3, a[0:3]
	s_movk_i32 s4, 0x7f
	v_cmp_gt_i16_sdwa s[6:7], v9, s4 src0_sel:BYTE_0 src1_sel:DWORD
	s_mov_b64 s[4:5], 0
                                        ; implicit-def: $sgpr10
	s_and_saveexec_b64 s[8:9], s[6:7]
	s_xor_b64 s[6:7], exec, s[8:9]
	s_cbranch_execnz .LBB47_2529
; %bb.481:
	s_or_saveexec_b64 s[6:7], s[6:7]
	v_mov_b32_e32 v2, s10
	s_xor_b64 exec, exec, s[6:7]
	s_cbranch_execnz .LBB47_2532
.LBB47_482:
	s_or_b64 exec, exec, s[6:7]
	s_and_saveexec_b64 s[6:7], s[4:5]
	s_cbranch_execz .LBB47_484
.LBB47_483:
	v_mov_b32_e32 v2, 8
	v_and_b32_e32 v3, 7, v9
	v_lshrrev_b32_sdwa v2, v2, v9 dst_sel:BYTE_1 dst_unused:UNUSED_PAD src0_sel:DWORD src1_sel:DWORD
	v_ffbh_u32_e32 v4, v3
	v_or_b32_sdwa v2, v9, v2 dst_sel:DWORD dst_unused:UNUSED_PAD src0_sel:BYTE_0 src1_sel:DWORD
	v_min_u32_e32 v4, 32, v4
	v_lshrrev_b16_e32 v2, 3, v2
	v_subrev_u32_e32 v6, 28, v4
	v_and_b32_e32 v2, 15, v2
	v_lshlrev_b32_e32 v6, v6, v9
	v_sub_u32_e32 v4, 29, v4
	v_and_b32_e32 v6, 7, v6
	v_cmp_eq_u16_e32 vcc, 0, v2
	v_cndmask_b32_e32 v3, v3, v6, vcc
	v_cndmask_b32_e32 v2, v2, v4, vcc
	v_lshlrev_b32_e32 v4, 24, v9
	v_mov_b32_e32 v6, 0x3b800000
	v_lshlrev_b32_e32 v3, 20, v3
	v_and_b32_e32 v4, 0x80000000, v4
	v_lshl_add_u32 v2, v2, 23, v6
	v_or3_b32 v2, v4, v2, v3
.LBB47_484:
	s_or_b64 exec, exec, s[6:7]
	s_movk_i32 s4, 0x7f
	v_cmp_gt_i16_sdwa s[6:7], v5, s4 src0_sel:BYTE_0 src1_sel:DWORD
	s_mov_b64 s[4:5], 0
                                        ; implicit-def: $sgpr10
	s_and_saveexec_b64 s[8:9], s[6:7]
	s_xor_b64 s[6:7], exec, s[8:9]
	s_cbranch_execnz .LBB47_2533
; %bb.485:
	s_or_saveexec_b64 s[6:7], s[6:7]
	v_mov_b32_e32 v3, s10
	s_xor_b64 exec, exec, s[6:7]
	s_cbranch_execnz .LBB47_2536
.LBB47_486:
	s_or_b64 exec, exec, s[6:7]
	s_and_saveexec_b64 s[6:7], s[4:5]
	s_cbranch_execz .LBB47_488
.LBB47_487:
	v_mov_b32_e32 v3, 8
	v_and_b32_e32 v4, 7, v5
	v_lshrrev_b32_sdwa v3, v3, v5 dst_sel:BYTE_1 dst_unused:UNUSED_PAD src0_sel:DWORD src1_sel:DWORD
	v_ffbh_u32_e32 v6, v4
	v_or_b32_sdwa v3, v5, v3 dst_sel:DWORD dst_unused:UNUSED_PAD src0_sel:BYTE_0 src1_sel:DWORD
	v_min_u32_e32 v6, 32, v6
	v_lshrrev_b16_e32 v3, 3, v3
	v_subrev_u32_e32 v7, 28, v6
	v_and_b32_e32 v3, 15, v3
	v_lshlrev_b32_e32 v7, v7, v5
	v_sub_u32_e32 v6, 29, v6
	v_and_b32_e32 v7, 7, v7
	v_cmp_eq_u16_e32 vcc, 0, v3
	v_cndmask_b32_e32 v4, v4, v7, vcc
	v_cndmask_b32_e32 v3, v3, v6, vcc
	v_lshlrev_b32_e32 v6, 24, v5
	v_mov_b32_e32 v7, 0x3b800000
	v_lshlrev_b32_e32 v4, 20, v4
	v_and_b32_e32 v6, 0x80000000, v6
	v_lshl_add_u32 v3, v3, 23, v7
	v_or3_b32 v3, v6, v3, v4
.LBB47_488:
	s_or_b64 exec, exec, s[6:7]
	s_nop 0
	v_mfma_f32_16x16x4f32 a[0:3], v2, v3, a[0:3]
	v_lshrrev_b32_e32 v3, 8, v9
	s_movk_i32 s4, 0x7f
	v_cmp_gt_i16_sdwa s[6:7], v3, s4 src0_sel:BYTE_0 src1_sel:DWORD
	s_mov_b64 s[4:5], 0
                                        ; implicit-def: $sgpr10
	s_and_saveexec_b64 s[8:9], s[6:7]
	s_xor_b64 s[6:7], exec, s[8:9]
	s_cbranch_execnz .LBB47_2537
; %bb.489:
	s_or_saveexec_b64 s[6:7], s[6:7]
	v_mov_b32_e32 v2, s10
	s_xor_b64 exec, exec, s[6:7]
	s_cbranch_execnz .LBB47_2540
.LBB47_490:
	s_or_b64 exec, exec, s[6:7]
	s_and_saveexec_b64 s[6:7], s[4:5]
	s_cbranch_execz .LBB47_492
.LBB47_491:
	v_bfe_u32 v2, v9, 8, 3
	v_ffbh_u32_e32 v6, v2
	v_min_u32_e32 v6, 32, v6
	v_lshrrev_b16_e32 v4, 3, v3
	v_subrev_u32_e32 v7, 28, v6
	v_and_b32_e32 v4, 15, v4
	v_lshlrev_b32_e32 v3, v7, v3
	v_sub_u32_e32 v6, 29, v6
	v_and_b32_e32 v3, 7, v3
	v_cmp_eq_u16_e32 vcc, 0, v4
	v_cndmask_b32_e32 v2, v2, v3, vcc
	v_cndmask_b32_e32 v3, v4, v6, vcc
	v_lshlrev_b32_e32 v4, 16, v9
	v_mov_b32_e32 v6, 0x3b800000
	v_lshlrev_b32_e32 v2, 20, v2
	v_and_b32_e32 v4, 0x80000000, v4
	v_lshl_add_u32 v3, v3, 23, v6
	v_or3_b32 v2, v4, v3, v2
.LBB47_492:
	s_or_b64 exec, exec, s[6:7]
	v_lshrrev_b32_e32 v3, 8, v5
	s_movk_i32 s4, 0x7f
	v_cmp_gt_i16_sdwa s[6:7], v3, s4 src0_sel:BYTE_0 src1_sel:DWORD
	s_mov_b64 s[4:5], 0
                                        ; implicit-def: $sgpr10
	s_and_saveexec_b64 s[8:9], s[6:7]
	s_xor_b64 s[6:7], exec, s[8:9]
	s_cbranch_execnz .LBB47_2541
; %bb.493:
	s_or_saveexec_b64 s[6:7], s[6:7]
	v_mov_b32_e32 v4, s10
	s_xor_b64 exec, exec, s[6:7]
	s_cbranch_execnz .LBB47_2544
.LBB47_494:
	s_or_b64 exec, exec, s[6:7]
	s_and_saveexec_b64 s[6:7], s[4:5]
	s_cbranch_execz .LBB47_496
.LBB47_495:
	v_bfe_u32 v4, v5, 8, 3
	v_ffbh_u32_e32 v7, v4
	v_min_u32_e32 v7, 32, v7
	v_lshrrev_b16_e32 v6, 3, v3
	v_subrev_u32_e32 v8, 28, v7
	v_and_b32_e32 v6, 15, v6
	v_lshlrev_b32_e32 v3, v8, v3
	v_sub_u32_e32 v7, 29, v7
	v_and_b32_e32 v3, 7, v3
	v_cmp_eq_u16_e32 vcc, 0, v6
	v_cndmask_b32_e32 v3, v4, v3, vcc
	v_cndmask_b32_e32 v4, v6, v7, vcc
	v_lshlrev_b32_e32 v6, 16, v5
	v_mov_b32_e32 v7, 0x3b800000
	v_lshlrev_b32_e32 v3, 20, v3
	v_and_b32_e32 v6, 0x80000000, v6
	v_lshl_add_u32 v4, v4, 23, v7
	v_or3_b32 v4, v6, v4, v3
.LBB47_496:
	s_or_b64 exec, exec, s[6:7]
	s_nop 0
	v_mfma_f32_16x16x4f32 a[0:3], v2, v4, a[0:3]
	s_movk_i32 s4, 0xff
	v_and_b32_sdwa v3, v9, s4 dst_sel:DWORD dst_unused:UNUSED_PAD src0_sel:WORD_1 src1_sel:DWORD
	s_movk_i32 s4, 0x7f
	v_cmp_lt_i16_e32 vcc, s4, v3
	s_mov_b64 s[4:5], 0
                                        ; implicit-def: $sgpr10
	s_and_saveexec_b64 s[6:7], vcc
	s_xor_b64 s[6:7], exec, s[6:7]
	s_cbranch_execnz .LBB47_2545
; %bb.497:
	s_or_saveexec_b64 s[6:7], s[6:7]
	v_mov_b32_e32 v2, s10
	s_xor_b64 exec, exec, s[6:7]
	s_cbranch_execnz .LBB47_2548
.LBB47_498:
	s_or_b64 exec, exec, s[6:7]
	s_and_saveexec_b64 s[6:7], s[4:5]
	s_cbranch_execz .LBB47_500
.LBB47_499:
	v_bfe_u32 v2, v9, 16, 3
	v_ffbh_u32_e32 v6, v2
	v_min_u32_e32 v6, 32, v6
	v_lshrrev_b32_e32 v3, 19, v9
	v_subrev_u32_e32 v7, 28, v6
	v_and_b32_e32 v3, 15, v3
	v_lshlrev_b32_sdwa v7, v7, v9 dst_sel:DWORD dst_unused:UNUSED_PAD src0_sel:DWORD src1_sel:WORD_1
	v_bfe_u32 v4, v9, 19, 4
	v_sub_u32_e32 v6, 29, v6
	v_and_b32_e32 v7, 7, v7
	v_cmp_eq_u16_e32 vcc, 0, v3
	v_cndmask_b32_e32 v2, v2, v7, vcc
	v_cndmask_b32_e32 v3, v4, v6, vcc
	v_lshlrev_b32_e32 v4, 8, v9
	v_mov_b32_e32 v6, 0x3b800000
	v_lshlrev_b32_e32 v2, 20, v2
	v_and_b32_e32 v4, 0x80000000, v4
	v_lshl_add_u32 v3, v3, 23, v6
	v_or3_b32 v2, v4, v3, v2
.LBB47_500:
	s_or_b64 exec, exec, s[6:7]
	s_movk_i32 s4, 0xff
	v_and_b32_sdwa v3, v5, s4 dst_sel:DWORD dst_unused:UNUSED_PAD src0_sel:WORD_1 src1_sel:DWORD
	s_movk_i32 s4, 0x7f
	v_cmp_lt_i16_e32 vcc, s4, v3
	s_mov_b64 s[4:5], 0
                                        ; implicit-def: $sgpr10
	s_and_saveexec_b64 s[6:7], vcc
	s_xor_b64 s[6:7], exec, s[6:7]
	s_cbranch_execnz .LBB47_2549
; %bb.501:
	s_or_saveexec_b64 s[6:7], s[6:7]
	v_mov_b32_e32 v4, s10
	s_xor_b64 exec, exec, s[6:7]
	s_cbranch_execnz .LBB47_2552
.LBB47_502:
	s_or_b64 exec, exec, s[6:7]
	s_and_saveexec_b64 s[6:7], s[4:5]
	s_cbranch_execz .LBB47_504
.LBB47_503:
	v_bfe_u32 v3, v5, 16, 3
	v_ffbh_u32_e32 v7, v3
	v_min_u32_e32 v7, 32, v7
	v_lshrrev_b32_e32 v4, 19, v5
	v_subrev_u32_e32 v8, 28, v7
	v_and_b32_e32 v4, 15, v4
	v_lshlrev_b32_sdwa v8, v8, v5 dst_sel:DWORD dst_unused:UNUSED_PAD src0_sel:DWORD src1_sel:WORD_1
	v_bfe_u32 v6, v5, 19, 4
	v_sub_u32_e32 v7, 29, v7
	v_and_b32_e32 v8, 7, v8
	v_cmp_eq_u16_e32 vcc, 0, v4
	v_cndmask_b32_e32 v3, v3, v8, vcc
	v_cndmask_b32_e32 v4, v6, v7, vcc
	v_lshlrev_b32_e32 v6, 8, v5
	v_mov_b32_e32 v7, 0x3b800000
	v_lshlrev_b32_e32 v3, 20, v3
	v_and_b32_e32 v6, 0x80000000, v6
	v_lshl_add_u32 v4, v4, 23, v7
	v_or3_b32 v4, v6, v4, v3
.LBB47_504:
	s_or_b64 exec, exec, s[6:7]
	s_nop 0
	v_mfma_f32_16x16x4f32 a[0:3], v2, v4, a[0:3]
	s_movk_i32 s4, 0x7f
	v_cmp_gt_i16_sdwa s[6:7], v9, s4 src0_sel:BYTE_3 src1_sel:DWORD
	s_mov_b64 s[4:5], 0
                                        ; implicit-def: $sgpr10
	s_and_saveexec_b64 s[8:9], s[6:7]
	s_xor_b64 s[6:7], exec, s[8:9]
	s_cbranch_execnz .LBB47_2553
; %bb.505:
	s_or_saveexec_b64 s[6:7], s[6:7]
	v_mov_b32_e32 v2, s10
	s_xor_b64 exec, exec, s[6:7]
	s_cbranch_execnz .LBB47_2556
.LBB47_506:
	s_or_b64 exec, exec, s[6:7]
	s_and_saveexec_b64 s[6:7], s[4:5]
	s_cbranch_execz .LBB47_508
.LBB47_507:
	v_bfe_u32 v2, v9, 24, 3
	v_ffbh_u32_e32 v7, v2
	v_min_u32_e32 v7, 32, v7
	v_lshrrev_b32_e32 v4, 27, v9
	v_subrev_u32_e32 v8, 28, v7
	v_and_b32_e32 v4, 15, v4
	v_lshlrev_b32_sdwa v8, v8, v9 dst_sel:DWORD dst_unused:UNUSED_PAD src0_sel:DWORD src1_sel:BYTE_3
	v_bfe_u32 v6, v9, 27, 4
	v_sub_u32_e32 v7, 29, v7
	v_and_b32_e32 v8, 7, v8
	v_cmp_eq_u16_e32 vcc, 0, v4
	v_cndmask_b32_e32 v2, v2, v8, vcc
	v_cndmask_b32_e32 v4, v6, v7, vcc
	v_mov_b32_e32 v6, 0x3b800000
	v_and_b32_e32 v3, 0x80000000, v9
	v_lshlrev_b32_e32 v2, 20, v2
	v_lshl_add_u32 v4, v4, 23, v6
	v_or3_b32 v2, v3, v4, v2
.LBB47_508:
	s_or_b64 exec, exec, s[6:7]
	s_movk_i32 s4, 0x7f
	v_cmp_gt_i16_sdwa s[6:7], v5, s4 src0_sel:BYTE_3 src1_sel:DWORD
	s_mov_b64 s[4:5], 0
                                        ; implicit-def: $sgpr10
	s_and_saveexec_b64 s[8:9], s[6:7]
	s_xor_b64 s[6:7], exec, s[8:9]
	s_cbranch_execnz .LBB47_2557
; %bb.509:
	s_or_saveexec_b64 s[6:7], s[6:7]
	v_mov_b32_e32 v3, s10
	s_xor_b64 exec, exec, s[6:7]
	s_cbranch_execnz .LBB47_2560
.LBB47_510:
	s_or_b64 exec, exec, s[6:7]
	s_and_saveexec_b64 s[6:7], s[4:5]
	s_cbranch_execz .LBB47_512
.LBB47_511:
	v_bfe_u32 v3, v5, 24, 3
	v_ffbh_u32_e32 v8, v3
	v_min_u32_e32 v8, 32, v8
	v_lshrrev_b32_e32 v6, 27, v5
	v_subrev_u32_e32 v9, 28, v8
	v_and_b32_e32 v4, 0x80000000, v5
	v_and_b32_e32 v6, 15, v6
	v_bfe_u32 v7, v5, 27, 4
	v_lshlrev_b32_sdwa v5, v9, v5 dst_sel:DWORD dst_unused:UNUSED_PAD src0_sel:DWORD src1_sel:BYTE_3
	v_sub_u32_e32 v8, 29, v8
	v_and_b32_e32 v5, 7, v5
	v_cmp_eq_u16_e32 vcc, 0, v6
	v_cndmask_b32_e32 v3, v3, v5, vcc
	v_cndmask_b32_e32 v5, v7, v8, vcc
	v_mov_b32_e32 v6, 0x3b800000
	v_lshlrev_b32_e32 v3, 20, v3
	v_lshl_add_u32 v5, v5, 23, v6
	v_or3_b32 v3, v4, v5, v3
.LBB47_512:
	s_or_b64 exec, exec, s[6:7]
	s_nop 0
	v_mfma_f32_16x16x4f32 a[0:3], v2, v3, a[0:3]
	s_movk_i32 s4, 0x7f
                                        ; implicit-def: $sgpr10
	s_nop 7
	s_nop 1
	flat_store_dwordx4 v[18:19], a[0:3] offset:400
	flat_load_dwordx4 v[20:23], v[0:1] offset:8
	s_nop 0
	flat_load_dwordx2 v[18:19], v[0:1] offset:24
	s_waitcnt vmcnt(0) lgkmcnt(0)
	flat_load_dwordx4 v[14:17], v[20:21] offset:32
	flat_load_dwordx4 v[6:9], v[20:21] offset:48
	;; [unrolled: 1-line block ×4, first 2 shown]
	s_waitcnt vmcnt(0) lgkmcnt(0)
	v_cmp_gt_i16_sdwa s[6:7], v14, s4 src0_sel:BYTE_0 src1_sel:DWORD
	s_mov_b64 s[4:5], 0
	s_and_saveexec_b64 s[8:9], s[6:7]
	s_xor_b64 s[6:7], exec, s[8:9]
	s_cbranch_execnz .LBB47_2561
; %bb.513:
	s_or_saveexec_b64 s[6:7], s[6:7]
	v_mov_b32_e32 v20, s10
	s_xor_b64 exec, exec, s[6:7]
	s_cbranch_execnz .LBB47_2564
.LBB47_514:
	s_or_b64 exec, exec, s[6:7]
	s_and_saveexec_b64 s[6:7], s[4:5]
	s_cbranch_execz .LBB47_516
.LBB47_515:
	v_and_b32_e32 v20, 7, v14
	v_ffbh_u32_e32 v22, v20
	v_min_u32_e32 v22, 32, v22
	v_lshrrev_b16_e32 v21, 3, v14
	v_subrev_u32_e32 v23, 28, v22
	v_and_b32_e32 v21, 15, v21
	v_lshlrev_b32_e32 v23, v23, v14
	v_sub_u32_e32 v22, 29, v22
	v_and_b32_e32 v23, 7, v23
	v_cmp_eq_u16_e32 vcc, 0, v21
	v_cndmask_b32_e32 v20, v20, v23, vcc
	v_cndmask_b32_e32 v21, v21, v22, vcc
	v_lshlrev_b32_e32 v22, 24, v14
	v_mov_b32_e32 v23, 0x3b800000
	v_lshlrev_b32_e32 v20, 20, v20
	v_and_b32_e32 v22, 0x80000000, v22
	v_lshl_add_u32 v21, v21, 23, v23
	v_or3_b32 v20, v22, v21, v20
.LBB47_516:
	s_or_b64 exec, exec, s[6:7]
	s_movk_i32 s4, 0x7f
	v_cmp_gt_i16_sdwa s[6:7], v10, s4 src0_sel:BYTE_0 src1_sel:DWORD
	s_mov_b64 s[4:5], 0
                                        ; implicit-def: $sgpr10
	s_and_saveexec_b64 s[8:9], s[6:7]
	s_xor_b64 s[6:7], exec, s[8:9]
	s_cbranch_execnz .LBB47_2565
; %bb.517:
	s_or_saveexec_b64 s[6:7], s[6:7]
	v_mov_b32_e32 v21, s10
	s_xor_b64 exec, exec, s[6:7]
	s_cbranch_execnz .LBB47_2568
.LBB47_518:
	s_or_b64 exec, exec, s[6:7]
	s_and_saveexec_b64 s[6:7], s[4:5]
	s_cbranch_execz .LBB47_520
.LBB47_519:
	v_and_b32_e32 v21, 7, v10
	v_ffbh_u32_e32 v23, v21
	v_min_u32_e32 v23, 32, v23
	v_lshrrev_b16_e32 v22, 3, v10
	v_subrev_u32_e32 v24, 28, v23
	v_and_b32_e32 v22, 15, v22
	v_lshlrev_b32_e32 v24, v24, v10
	v_sub_u32_e32 v23, 29, v23
	v_and_b32_e32 v24, 7, v24
	v_cmp_eq_u16_e32 vcc, 0, v22
	v_cndmask_b32_e32 v21, v21, v24, vcc
	v_cndmask_b32_e32 v22, v22, v23, vcc
	v_lshlrev_b32_e32 v23, 24, v10
	v_mov_b32_e32 v24, 0x3b800000
	v_lshlrev_b32_e32 v21, 20, v21
	v_and_b32_e32 v23, 0x80000000, v23
	v_lshl_add_u32 v22, v22, 23, v24
	v_or3_b32 v21, v23, v22, v21
.LBB47_520:
	s_or_b64 exec, exec, s[6:7]
	flat_load_dwordx4 a[0:3], v[18:19] offset:416
	s_movk_i32 s4, 0x7f
                                        ; implicit-def: $sgpr10
	s_waitcnt vmcnt(0) lgkmcnt(0)
	v_mfma_f32_16x16x4f32 a[0:3], v20, v21, a[0:3]
	v_lshrrev_b32_e32 v21, 8, v14
	v_cmp_gt_i16_sdwa s[6:7], v21, s4 src0_sel:BYTE_0 src1_sel:DWORD
	s_mov_b64 s[4:5], 0
	s_and_saveexec_b64 s[8:9], s[6:7]
	s_xor_b64 s[6:7], exec, s[8:9]
	s_cbranch_execnz .LBB47_2569
; %bb.521:
	s_or_saveexec_b64 s[6:7], s[6:7]
	v_mov_b32_e32 v20, s10
	s_xor_b64 exec, exec, s[6:7]
	s_cbranch_execnz .LBB47_2572
.LBB47_522:
	s_or_b64 exec, exec, s[6:7]
	s_and_saveexec_b64 s[6:7], s[4:5]
	s_cbranch_execz .LBB47_524
.LBB47_523:
	v_bfe_u32 v20, v14, 8, 3
	v_ffbh_u32_e32 v23, v20
	v_min_u32_e32 v23, 32, v23
	v_lshrrev_b16_e32 v22, 3, v21
	v_subrev_u32_e32 v24, 28, v23
	v_and_b32_e32 v22, 15, v22
	v_lshlrev_b32_e32 v21, v24, v21
	v_sub_u32_e32 v23, 29, v23
	v_and_b32_e32 v21, 7, v21
	v_cmp_eq_u16_e32 vcc, 0, v22
	v_cndmask_b32_e32 v20, v20, v21, vcc
	v_cndmask_b32_e32 v21, v22, v23, vcc
	v_lshlrev_b32_e32 v22, 16, v14
	v_mov_b32_e32 v23, 0x3b800000
	v_lshlrev_b32_e32 v20, 20, v20
	v_and_b32_e32 v22, 0x80000000, v22
	v_lshl_add_u32 v21, v21, 23, v23
	v_or3_b32 v20, v22, v21, v20
.LBB47_524:
	s_or_b64 exec, exec, s[6:7]
	v_lshrrev_b32_e32 v21, 8, v10
	s_movk_i32 s4, 0x7f
	v_cmp_gt_i16_sdwa s[6:7], v21, s4 src0_sel:BYTE_0 src1_sel:DWORD
	s_mov_b64 s[4:5], 0
                                        ; implicit-def: $sgpr10
	s_and_saveexec_b64 s[8:9], s[6:7]
	s_xor_b64 s[6:7], exec, s[8:9]
	s_cbranch_execnz .LBB47_2573
; %bb.525:
	s_or_saveexec_b64 s[6:7], s[6:7]
	v_mov_b32_e32 v22, s10
	s_xor_b64 exec, exec, s[6:7]
	s_cbranch_execnz .LBB47_2576
.LBB47_526:
	s_or_b64 exec, exec, s[6:7]
	s_and_saveexec_b64 s[6:7], s[4:5]
	s_cbranch_execz .LBB47_528
.LBB47_527:
	v_bfe_u32 v22, v10, 8, 3
	v_ffbh_u32_e32 v24, v22
	v_min_u32_e32 v24, 32, v24
	v_lshrrev_b16_e32 v23, 3, v21
	v_subrev_u32_e32 v25, 28, v24
	v_and_b32_e32 v23, 15, v23
	v_lshlrev_b32_e32 v21, v25, v21
	v_sub_u32_e32 v24, 29, v24
	v_and_b32_e32 v21, 7, v21
	v_cmp_eq_u16_e32 vcc, 0, v23
	v_cndmask_b32_e32 v21, v22, v21, vcc
	v_cndmask_b32_e32 v22, v23, v24, vcc
	v_lshlrev_b32_e32 v23, 16, v10
	v_mov_b32_e32 v24, 0x3b800000
	v_lshlrev_b32_e32 v21, 20, v21
	v_and_b32_e32 v23, 0x80000000, v23
	v_lshl_add_u32 v22, v22, 23, v24
	v_or3_b32 v22, v23, v22, v21
.LBB47_528:
	s_or_b64 exec, exec, s[6:7]
	s_nop 0
	v_mfma_f32_16x16x4f32 a[0:3], v20, v22, a[0:3]
	s_movk_i32 s4, 0xff
	v_and_b32_sdwa v21, v14, s4 dst_sel:DWORD dst_unused:UNUSED_PAD src0_sel:WORD_1 src1_sel:DWORD
	s_movk_i32 s4, 0x7f
	v_cmp_lt_i16_e32 vcc, s4, v21
	s_mov_b64 s[4:5], 0
                                        ; implicit-def: $sgpr10
	s_and_saveexec_b64 s[6:7], vcc
	s_xor_b64 s[6:7], exec, s[6:7]
	s_cbranch_execnz .LBB47_2577
; %bb.529:
	s_or_saveexec_b64 s[6:7], s[6:7]
	v_mov_b32_e32 v20, s10
	s_xor_b64 exec, exec, s[6:7]
	s_cbranch_execnz .LBB47_2580
.LBB47_530:
	s_or_b64 exec, exec, s[6:7]
	s_and_saveexec_b64 s[6:7], s[4:5]
	s_cbranch_execz .LBB47_532
.LBB47_531:
	v_bfe_u32 v20, v14, 16, 3
	v_ffbh_u32_e32 v23, v20
	v_min_u32_e32 v23, 32, v23
	v_lshrrev_b32_e32 v21, 19, v14
	v_subrev_u32_e32 v24, 28, v23
	v_and_b32_e32 v21, 15, v21
	v_lshlrev_b32_sdwa v24, v24, v14 dst_sel:DWORD dst_unused:UNUSED_PAD src0_sel:DWORD src1_sel:WORD_1
	v_bfe_u32 v22, v14, 19, 4
	v_sub_u32_e32 v23, 29, v23
	v_and_b32_e32 v24, 7, v24
	v_cmp_eq_u16_e32 vcc, 0, v21
	v_cndmask_b32_e32 v20, v20, v24, vcc
	v_cndmask_b32_e32 v21, v22, v23, vcc
	v_lshlrev_b32_e32 v22, 8, v14
	v_mov_b32_e32 v23, 0x3b800000
	v_lshlrev_b32_e32 v20, 20, v20
	v_and_b32_e32 v22, 0x80000000, v22
	v_lshl_add_u32 v21, v21, 23, v23
	v_or3_b32 v20, v22, v21, v20
.LBB47_532:
	s_or_b64 exec, exec, s[6:7]
	s_movk_i32 s4, 0xff
	v_and_b32_sdwa v21, v10, s4 dst_sel:DWORD dst_unused:UNUSED_PAD src0_sel:WORD_1 src1_sel:DWORD
	s_movk_i32 s4, 0x7f
	v_cmp_lt_i16_e32 vcc, s4, v21
	s_mov_b64 s[4:5], 0
                                        ; implicit-def: $sgpr10
	s_and_saveexec_b64 s[6:7], vcc
	s_xor_b64 s[6:7], exec, s[6:7]
	s_cbranch_execnz .LBB47_2581
; %bb.533:
	s_or_saveexec_b64 s[6:7], s[6:7]
	v_mov_b32_e32 v22, s10
	s_xor_b64 exec, exec, s[6:7]
	s_cbranch_execnz .LBB47_2584
.LBB47_534:
	s_or_b64 exec, exec, s[6:7]
	s_and_saveexec_b64 s[6:7], s[4:5]
	s_cbranch_execz .LBB47_536
.LBB47_535:
	v_bfe_u32 v21, v10, 16, 3
	v_ffbh_u32_e32 v24, v21
	v_min_u32_e32 v24, 32, v24
	v_lshrrev_b32_e32 v22, 19, v10
	v_subrev_u32_e32 v25, 28, v24
	v_and_b32_e32 v22, 15, v22
	v_lshlrev_b32_sdwa v25, v25, v10 dst_sel:DWORD dst_unused:UNUSED_PAD src0_sel:DWORD src1_sel:WORD_1
	v_bfe_u32 v23, v10, 19, 4
	v_sub_u32_e32 v24, 29, v24
	v_and_b32_e32 v25, 7, v25
	v_cmp_eq_u16_e32 vcc, 0, v22
	v_cndmask_b32_e32 v21, v21, v25, vcc
	v_cndmask_b32_e32 v22, v23, v24, vcc
	v_lshlrev_b32_e32 v23, 8, v10
	v_mov_b32_e32 v24, 0x3b800000
	v_lshlrev_b32_e32 v21, 20, v21
	v_and_b32_e32 v23, 0x80000000, v23
	v_lshl_add_u32 v22, v22, 23, v24
	v_or3_b32 v22, v23, v22, v21
.LBB47_536:
	s_or_b64 exec, exec, s[6:7]
	s_nop 0
	v_mfma_f32_16x16x4f32 a[0:3], v20, v22, a[0:3]
	s_movk_i32 s4, 0x7f
	v_cmp_gt_i16_sdwa s[6:7], v14, s4 src0_sel:BYTE_3 src1_sel:DWORD
	s_mov_b64 s[4:5], 0
                                        ; implicit-def: $sgpr10
	s_and_saveexec_b64 s[8:9], s[6:7]
	s_xor_b64 s[6:7], exec, s[8:9]
	s_cbranch_execnz .LBB47_2585
; %bb.537:
	s_or_saveexec_b64 s[6:7], s[6:7]
	v_mov_b32_e32 v20, s10
	s_xor_b64 exec, exec, s[6:7]
	s_cbranch_execnz .LBB47_2588
.LBB47_538:
	s_or_b64 exec, exec, s[6:7]
	s_and_saveexec_b64 s[6:7], s[4:5]
	s_cbranch_execz .LBB47_540
.LBB47_539:
	v_bfe_u32 v20, v14, 24, 3
	v_ffbh_u32_e32 v24, v20
	v_min_u32_e32 v24, 32, v24
	v_lshrrev_b32_e32 v22, 27, v14
	v_subrev_u32_e32 v25, 28, v24
	v_and_b32_e32 v21, 0x80000000, v14
	v_and_b32_e32 v22, 15, v22
	v_bfe_u32 v23, v14, 27, 4
	v_lshlrev_b32_sdwa v14, v25, v14 dst_sel:DWORD dst_unused:UNUSED_PAD src0_sel:DWORD src1_sel:BYTE_3
	v_sub_u32_e32 v24, 29, v24
	v_and_b32_e32 v14, 7, v14
	v_cmp_eq_u16_e32 vcc, 0, v22
	v_cndmask_b32_e32 v14, v20, v14, vcc
	v_cndmask_b32_e32 v20, v23, v24, vcc
	v_mov_b32_e32 v22, 0x3b800000
	v_lshlrev_b32_e32 v14, 20, v14
	v_lshl_add_u32 v20, v20, 23, v22
	v_or3_b32 v20, v21, v20, v14
.LBB47_540:
	s_or_b64 exec, exec, s[6:7]
	s_movk_i32 s4, 0x7f
	v_cmp_gt_i16_sdwa s[6:7], v10, s4 src0_sel:BYTE_3 src1_sel:DWORD
	s_mov_b64 s[4:5], 0
                                        ; implicit-def: $sgpr10
	s_and_saveexec_b64 s[8:9], s[6:7]
	s_xor_b64 s[6:7], exec, s[8:9]
	s_cbranch_execnz .LBB47_2589
; %bb.541:
	s_or_saveexec_b64 s[6:7], s[6:7]
	v_mov_b32_e32 v14, s10
	s_xor_b64 exec, exec, s[6:7]
	s_cbranch_execnz .LBB47_2592
.LBB47_542:
	s_or_b64 exec, exec, s[6:7]
	s_and_saveexec_b64 s[6:7], s[4:5]
	s_cbranch_execz .LBB47_544
.LBB47_543:
	v_bfe_u32 v14, v10, 24, 3
	v_ffbh_u32_e32 v24, v14
	v_min_u32_e32 v24, 32, v24
	v_lshrrev_b32_e32 v22, 27, v10
	v_subrev_u32_e32 v25, 28, v24
	v_and_b32_e32 v21, 0x80000000, v10
	v_and_b32_e32 v22, 15, v22
	v_bfe_u32 v23, v10, 27, 4
	v_lshlrev_b32_sdwa v10, v25, v10 dst_sel:DWORD dst_unused:UNUSED_PAD src0_sel:DWORD src1_sel:BYTE_3
	v_sub_u32_e32 v24, 29, v24
	v_and_b32_e32 v10, 7, v10
	v_cmp_eq_u16_e32 vcc, 0, v22
	v_cndmask_b32_e32 v10, v14, v10, vcc
	v_cndmask_b32_e32 v14, v23, v24, vcc
	v_mov_b32_e32 v22, 0x3b800000
	v_lshlrev_b32_e32 v10, 20, v10
	v_lshl_add_u32 v14, v14, 23, v22
	v_or3_b32 v14, v21, v14, v10
.LBB47_544:
	s_or_b64 exec, exec, s[6:7]
	s_nop 0
	v_mfma_f32_16x16x4f32 a[0:3], v20, v14, a[0:3]
	s_movk_i32 s4, 0x7f
	v_cmp_gt_i16_sdwa s[6:7], v15, s4 src0_sel:BYTE_0 src1_sel:DWORD
	s_mov_b64 s[4:5], 0
                                        ; implicit-def: $sgpr10
	s_and_saveexec_b64 s[8:9], s[6:7]
	s_xor_b64 s[6:7], exec, s[8:9]
	s_cbranch_execnz .LBB47_2593
; %bb.545:
	s_or_saveexec_b64 s[6:7], s[6:7]
	v_mov_b32_e32 v10, s10
	s_xor_b64 exec, exec, s[6:7]
	s_cbranch_execnz .LBB47_2596
.LBB47_546:
	s_or_b64 exec, exec, s[6:7]
	s_and_saveexec_b64 s[6:7], s[4:5]
	s_cbranch_execz .LBB47_548
.LBB47_547:
	v_and_b32_e32 v10, 7, v15
	v_ffbh_u32_e32 v20, v10
	v_min_u32_e32 v20, 32, v20
	v_lshrrev_b16_e32 v14, 3, v15
	v_subrev_u32_e32 v21, 28, v20
	v_and_b32_e32 v14, 15, v14
	v_lshlrev_b32_e32 v21, v21, v15
	v_sub_u32_e32 v20, 29, v20
	v_and_b32_e32 v21, 7, v21
	v_cmp_eq_u16_e32 vcc, 0, v14
	v_cndmask_b32_e32 v10, v10, v21, vcc
	v_cndmask_b32_e32 v14, v14, v20, vcc
	v_lshlrev_b32_e32 v20, 24, v15
	v_mov_b32_e32 v21, 0x3b800000
	v_lshlrev_b32_e32 v10, 20, v10
	v_and_b32_e32 v20, 0x80000000, v20
	v_lshl_add_u32 v14, v14, 23, v21
	v_or3_b32 v10, v20, v14, v10
.LBB47_548:
	s_or_b64 exec, exec, s[6:7]
	s_movk_i32 s4, 0x7f
	v_cmp_gt_i16_sdwa s[6:7], v11, s4 src0_sel:BYTE_0 src1_sel:DWORD
	s_mov_b64 s[4:5], 0
                                        ; implicit-def: $sgpr10
	s_and_saveexec_b64 s[8:9], s[6:7]
	s_xor_b64 s[6:7], exec, s[8:9]
	s_cbranch_execnz .LBB47_2597
; %bb.549:
	s_or_saveexec_b64 s[6:7], s[6:7]
	v_mov_b32_e32 v14, s10
	s_xor_b64 exec, exec, s[6:7]
	s_cbranch_execnz .LBB47_2600
.LBB47_550:
	s_or_b64 exec, exec, s[6:7]
	s_and_saveexec_b64 s[6:7], s[4:5]
	s_cbranch_execz .LBB47_552
.LBB47_551:
	v_and_b32_e32 v14, 7, v11
	v_ffbh_u32_e32 v21, v14
	v_min_u32_e32 v21, 32, v21
	v_lshrrev_b16_e32 v20, 3, v11
	v_subrev_u32_e32 v22, 28, v21
	v_and_b32_e32 v20, 15, v20
	v_lshlrev_b32_e32 v22, v22, v11
	v_sub_u32_e32 v21, 29, v21
	v_and_b32_e32 v22, 7, v22
	v_cmp_eq_u16_e32 vcc, 0, v20
	v_cndmask_b32_e32 v14, v14, v22, vcc
	v_cndmask_b32_e32 v20, v20, v21, vcc
	v_lshlrev_b32_e32 v21, 24, v11
	v_mov_b32_e32 v22, 0x3b800000
	v_lshlrev_b32_e32 v14, 20, v14
	v_and_b32_e32 v21, 0x80000000, v21
	v_lshl_add_u32 v20, v20, 23, v22
	v_or3_b32 v14, v21, v20, v14
.LBB47_552:
	s_or_b64 exec, exec, s[6:7]
	s_nop 0
	v_mfma_f32_16x16x4f32 a[0:3], v10, v14, a[0:3]
	v_lshrrev_b32_e32 v14, 8, v15
	s_movk_i32 s4, 0x7f
	v_cmp_gt_i16_sdwa s[6:7], v14, s4 src0_sel:BYTE_0 src1_sel:DWORD
	s_mov_b64 s[4:5], 0
                                        ; implicit-def: $sgpr10
	s_and_saveexec_b64 s[8:9], s[6:7]
	s_xor_b64 s[6:7], exec, s[8:9]
	s_cbranch_execnz .LBB47_2601
; %bb.553:
	s_or_saveexec_b64 s[6:7], s[6:7]
	v_mov_b32_e32 v10, s10
	s_xor_b64 exec, exec, s[6:7]
	s_cbranch_execnz .LBB47_2604
.LBB47_554:
	s_or_b64 exec, exec, s[6:7]
	s_and_saveexec_b64 s[6:7], s[4:5]
	s_cbranch_execz .LBB47_556
.LBB47_555:
	v_bfe_u32 v10, v15, 8, 3
	v_ffbh_u32_e32 v21, v10
	v_min_u32_e32 v21, 32, v21
	v_lshrrev_b16_e32 v20, 3, v14
	v_subrev_u32_e32 v22, 28, v21
	v_and_b32_e32 v20, 15, v20
	v_lshlrev_b32_e32 v14, v22, v14
	v_sub_u32_e32 v21, 29, v21
	v_and_b32_e32 v14, 7, v14
	v_cmp_eq_u16_e32 vcc, 0, v20
	v_cndmask_b32_e32 v10, v10, v14, vcc
	v_cndmask_b32_e32 v14, v20, v21, vcc
	v_lshlrev_b32_e32 v20, 16, v15
	v_mov_b32_e32 v21, 0x3b800000
	v_lshlrev_b32_e32 v10, 20, v10
	v_and_b32_e32 v20, 0x80000000, v20
	v_lshl_add_u32 v14, v14, 23, v21
	v_or3_b32 v10, v20, v14, v10
.LBB47_556:
	s_or_b64 exec, exec, s[6:7]
	v_lshrrev_b32_e32 v14, 8, v11
	s_movk_i32 s4, 0x7f
	v_cmp_gt_i16_sdwa s[6:7], v14, s4 src0_sel:BYTE_0 src1_sel:DWORD
	s_mov_b64 s[4:5], 0
                                        ; implicit-def: $sgpr10
	s_and_saveexec_b64 s[8:9], s[6:7]
	s_xor_b64 s[6:7], exec, s[8:9]
	s_cbranch_execnz .LBB47_2605
; %bb.557:
	s_or_saveexec_b64 s[6:7], s[6:7]
	v_mov_b32_e32 v20, s10
	s_xor_b64 exec, exec, s[6:7]
	s_cbranch_execnz .LBB47_2608
.LBB47_558:
	s_or_b64 exec, exec, s[6:7]
	s_and_saveexec_b64 s[6:7], s[4:5]
	s_cbranch_execz .LBB47_560
.LBB47_559:
	v_bfe_u32 v20, v11, 8, 3
	v_ffbh_u32_e32 v22, v20
	v_min_u32_e32 v22, 32, v22
	v_lshrrev_b16_e32 v21, 3, v14
	v_subrev_u32_e32 v23, 28, v22
	v_and_b32_e32 v21, 15, v21
	v_lshlrev_b32_e32 v14, v23, v14
	v_sub_u32_e32 v22, 29, v22
	v_and_b32_e32 v14, 7, v14
	v_cmp_eq_u16_e32 vcc, 0, v21
	v_cndmask_b32_e32 v14, v20, v14, vcc
	v_cndmask_b32_e32 v20, v21, v22, vcc
	v_lshlrev_b32_e32 v21, 16, v11
	v_mov_b32_e32 v22, 0x3b800000
	v_lshlrev_b32_e32 v14, 20, v14
	v_and_b32_e32 v21, 0x80000000, v21
	v_lshl_add_u32 v20, v20, 23, v22
	v_or3_b32 v20, v21, v20, v14
.LBB47_560:
	s_or_b64 exec, exec, s[6:7]
	s_nop 0
	v_mfma_f32_16x16x4f32 a[0:3], v10, v20, a[0:3]
	s_movk_i32 s4, 0xff
	v_and_b32_sdwa v14, v15, s4 dst_sel:DWORD dst_unused:UNUSED_PAD src0_sel:WORD_1 src1_sel:DWORD
	s_movk_i32 s4, 0x7f
	v_cmp_lt_i16_e32 vcc, s4, v14
	s_mov_b64 s[4:5], 0
                                        ; implicit-def: $sgpr10
	s_and_saveexec_b64 s[6:7], vcc
	s_xor_b64 s[6:7], exec, s[6:7]
	s_cbranch_execnz .LBB47_2609
; %bb.561:
	s_or_saveexec_b64 s[6:7], s[6:7]
	v_mov_b32_e32 v10, s10
	s_xor_b64 exec, exec, s[6:7]
	s_cbranch_execnz .LBB47_2612
.LBB47_562:
	s_or_b64 exec, exec, s[6:7]
	s_and_saveexec_b64 s[6:7], s[4:5]
	s_cbranch_execz .LBB47_564
.LBB47_563:
	v_bfe_u32 v10, v15, 16, 3
	v_ffbh_u32_e32 v21, v10
	v_min_u32_e32 v21, 32, v21
	v_lshrrev_b32_e32 v14, 19, v15
	v_subrev_u32_e32 v22, 28, v21
	v_and_b32_e32 v14, 15, v14
	v_lshlrev_b32_sdwa v22, v22, v15 dst_sel:DWORD dst_unused:UNUSED_PAD src0_sel:DWORD src1_sel:WORD_1
	v_bfe_u32 v20, v15, 19, 4
	v_sub_u32_e32 v21, 29, v21
	v_and_b32_e32 v22, 7, v22
	v_cmp_eq_u16_e32 vcc, 0, v14
	v_cndmask_b32_e32 v10, v10, v22, vcc
	v_cndmask_b32_e32 v14, v20, v21, vcc
	v_lshlrev_b32_e32 v20, 8, v15
	v_mov_b32_e32 v21, 0x3b800000
	v_lshlrev_b32_e32 v10, 20, v10
	v_and_b32_e32 v20, 0x80000000, v20
	v_lshl_add_u32 v14, v14, 23, v21
	v_or3_b32 v10, v20, v14, v10
.LBB47_564:
	s_or_b64 exec, exec, s[6:7]
	s_movk_i32 s4, 0xff
	v_and_b32_sdwa v14, v11, s4 dst_sel:DWORD dst_unused:UNUSED_PAD src0_sel:WORD_1 src1_sel:DWORD
	s_movk_i32 s4, 0x7f
	v_cmp_lt_i16_e32 vcc, s4, v14
	s_mov_b64 s[4:5], 0
                                        ; implicit-def: $sgpr10
	s_and_saveexec_b64 s[6:7], vcc
	s_xor_b64 s[6:7], exec, s[6:7]
	s_cbranch_execnz .LBB47_2613
; %bb.565:
	s_or_saveexec_b64 s[6:7], s[6:7]
	v_mov_b32_e32 v20, s10
	s_xor_b64 exec, exec, s[6:7]
	s_cbranch_execnz .LBB47_2616
.LBB47_566:
	s_or_b64 exec, exec, s[6:7]
	s_and_saveexec_b64 s[6:7], s[4:5]
	s_cbranch_execz .LBB47_568
.LBB47_567:
	v_bfe_u32 v14, v11, 16, 3
	v_ffbh_u32_e32 v22, v14
	v_min_u32_e32 v22, 32, v22
	v_lshrrev_b32_e32 v20, 19, v11
	v_subrev_u32_e32 v23, 28, v22
	v_and_b32_e32 v20, 15, v20
	v_lshlrev_b32_sdwa v23, v23, v11 dst_sel:DWORD dst_unused:UNUSED_PAD src0_sel:DWORD src1_sel:WORD_1
	v_bfe_u32 v21, v11, 19, 4
	v_sub_u32_e32 v22, 29, v22
	v_and_b32_e32 v23, 7, v23
	v_cmp_eq_u16_e32 vcc, 0, v20
	v_cndmask_b32_e32 v14, v14, v23, vcc
	v_cndmask_b32_e32 v20, v21, v22, vcc
	v_lshlrev_b32_e32 v21, 8, v11
	v_mov_b32_e32 v22, 0x3b800000
	v_lshlrev_b32_e32 v14, 20, v14
	v_and_b32_e32 v21, 0x80000000, v21
	v_lshl_add_u32 v20, v20, 23, v22
	v_or3_b32 v20, v21, v20, v14
.LBB47_568:
	s_or_b64 exec, exec, s[6:7]
	s_nop 0
	v_mfma_f32_16x16x4f32 a[0:3], v10, v20, a[0:3]
	s_movk_i32 s4, 0x7f
	v_cmp_gt_i16_sdwa s[6:7], v15, s4 src0_sel:BYTE_3 src1_sel:DWORD
	s_mov_b64 s[4:5], 0
                                        ; implicit-def: $sgpr10
	s_and_saveexec_b64 s[8:9], s[6:7]
	s_xor_b64 s[6:7], exec, s[8:9]
	s_cbranch_execnz .LBB47_2617
; %bb.569:
	s_or_saveexec_b64 s[6:7], s[6:7]
	v_mov_b32_e32 v10, s10
	s_xor_b64 exec, exec, s[6:7]
	s_cbranch_execnz .LBB47_2620
.LBB47_570:
	s_or_b64 exec, exec, s[6:7]
	s_and_saveexec_b64 s[6:7], s[4:5]
	s_cbranch_execz .LBB47_572
.LBB47_571:
	v_bfe_u32 v10, v15, 24, 3
	v_ffbh_u32_e32 v22, v10
	v_min_u32_e32 v22, 32, v22
	v_lshrrev_b32_e32 v20, 27, v15
	v_subrev_u32_e32 v23, 28, v22
	v_and_b32_e32 v14, 0x80000000, v15
	v_and_b32_e32 v20, 15, v20
	v_bfe_u32 v21, v15, 27, 4
	v_lshlrev_b32_sdwa v15, v23, v15 dst_sel:DWORD dst_unused:UNUSED_PAD src0_sel:DWORD src1_sel:BYTE_3
	v_sub_u32_e32 v22, 29, v22
	v_and_b32_e32 v15, 7, v15
	v_cmp_eq_u16_e32 vcc, 0, v20
	v_cndmask_b32_e32 v10, v10, v15, vcc
	v_cndmask_b32_e32 v15, v21, v22, vcc
	v_mov_b32_e32 v20, 0x3b800000
	v_lshlrev_b32_e32 v10, 20, v10
	v_lshl_add_u32 v15, v15, 23, v20
	v_or3_b32 v10, v14, v15, v10
.LBB47_572:
	s_or_b64 exec, exec, s[6:7]
	s_movk_i32 s4, 0x7f
	v_cmp_gt_i16_sdwa s[6:7], v11, s4 src0_sel:BYTE_3 src1_sel:DWORD
	s_mov_b64 s[4:5], 0
                                        ; implicit-def: $sgpr10
	s_and_saveexec_b64 s[8:9], s[6:7]
	s_xor_b64 s[6:7], exec, s[8:9]
	s_cbranch_execnz .LBB47_2621
; %bb.573:
	s_or_saveexec_b64 s[6:7], s[6:7]
	v_mov_b32_e32 v14, s10
	s_xor_b64 exec, exec, s[6:7]
	s_cbranch_execnz .LBB47_2624
.LBB47_574:
	s_or_b64 exec, exec, s[6:7]
	s_and_saveexec_b64 s[6:7], s[4:5]
	s_cbranch_execz .LBB47_576
.LBB47_575:
	v_bfe_u32 v14, v11, 24, 3
	v_ffbh_u32_e32 v22, v14
	v_min_u32_e32 v22, 32, v22
	v_lshrrev_b32_e32 v20, 27, v11
	v_subrev_u32_e32 v23, 28, v22
	v_and_b32_e32 v15, 0x80000000, v11
	v_and_b32_e32 v20, 15, v20
	v_bfe_u32 v21, v11, 27, 4
	v_lshlrev_b32_sdwa v11, v23, v11 dst_sel:DWORD dst_unused:UNUSED_PAD src0_sel:DWORD src1_sel:BYTE_3
	v_sub_u32_e32 v22, 29, v22
	v_and_b32_e32 v11, 7, v11
	v_cmp_eq_u16_e32 vcc, 0, v20
	v_cndmask_b32_e32 v11, v14, v11, vcc
	v_cndmask_b32_e32 v14, v21, v22, vcc
	v_mov_b32_e32 v20, 0x3b800000
	v_lshlrev_b32_e32 v11, 20, v11
	v_lshl_add_u32 v14, v14, 23, v20
	v_or3_b32 v14, v15, v14, v11
.LBB47_576:
	s_or_b64 exec, exec, s[6:7]
	s_nop 0
	v_mfma_f32_16x16x4f32 a[0:3], v10, v14, a[0:3]
	s_movk_i32 s4, 0x7f
	v_cmp_gt_i16_sdwa s[6:7], v16, s4 src0_sel:BYTE_0 src1_sel:DWORD
	s_mov_b64 s[4:5], 0
                                        ; implicit-def: $sgpr10
	s_and_saveexec_b64 s[8:9], s[6:7]
	s_xor_b64 s[6:7], exec, s[8:9]
	s_cbranch_execnz .LBB47_2625
; %bb.577:
	s_or_saveexec_b64 s[6:7], s[6:7]
	v_mov_b32_e32 v10, s10
	s_xor_b64 exec, exec, s[6:7]
	s_cbranch_execnz .LBB47_2628
.LBB47_578:
	s_or_b64 exec, exec, s[6:7]
	s_and_saveexec_b64 s[6:7], s[4:5]
	s_cbranch_execz .LBB47_580
.LBB47_579:
	v_and_b32_e32 v10, 7, v16
	v_ffbh_u32_e32 v14, v10
	v_min_u32_e32 v14, 32, v14
	v_lshrrev_b16_e32 v11, 3, v16
	v_subrev_u32_e32 v15, 28, v14
	v_and_b32_e32 v11, 15, v11
	v_lshlrev_b32_e32 v15, v15, v16
	v_sub_u32_e32 v14, 29, v14
	v_and_b32_e32 v15, 7, v15
	v_cmp_eq_u16_e32 vcc, 0, v11
	v_cndmask_b32_e32 v10, v10, v15, vcc
	v_cndmask_b32_e32 v11, v11, v14, vcc
	v_lshlrev_b32_e32 v14, 24, v16
	v_mov_b32_e32 v15, 0x3b800000
	v_lshlrev_b32_e32 v10, 20, v10
	v_and_b32_e32 v14, 0x80000000, v14
	v_lshl_add_u32 v11, v11, 23, v15
	v_or3_b32 v10, v14, v11, v10
.LBB47_580:
	s_or_b64 exec, exec, s[6:7]
	s_movk_i32 s4, 0x7f
	v_cmp_gt_i16_sdwa s[6:7], v12, s4 src0_sel:BYTE_0 src1_sel:DWORD
	s_mov_b64 s[4:5], 0
                                        ; implicit-def: $sgpr10
	s_and_saveexec_b64 s[8:9], s[6:7]
	s_xor_b64 s[6:7], exec, s[8:9]
	s_cbranch_execnz .LBB47_2629
; %bb.581:
	s_or_saveexec_b64 s[6:7], s[6:7]
	v_mov_b32_e32 v11, s10
	s_xor_b64 exec, exec, s[6:7]
	s_cbranch_execnz .LBB47_2632
.LBB47_582:
	s_or_b64 exec, exec, s[6:7]
	s_and_saveexec_b64 s[6:7], s[4:5]
	s_cbranch_execz .LBB47_584
.LBB47_583:
	v_and_b32_e32 v11, 7, v12
	v_ffbh_u32_e32 v15, v11
	v_min_u32_e32 v15, 32, v15
	v_lshrrev_b16_e32 v14, 3, v12
	v_subrev_u32_e32 v20, 28, v15
	v_and_b32_e32 v14, 15, v14
	v_lshlrev_b32_e32 v20, v20, v12
	v_sub_u32_e32 v15, 29, v15
	v_and_b32_e32 v20, 7, v20
	v_cmp_eq_u16_e32 vcc, 0, v14
	v_cndmask_b32_e32 v11, v11, v20, vcc
	v_cndmask_b32_e32 v14, v14, v15, vcc
	v_lshlrev_b32_e32 v15, 24, v12
	v_mov_b32_e32 v20, 0x3b800000
	v_lshlrev_b32_e32 v11, 20, v11
	v_and_b32_e32 v15, 0x80000000, v15
	v_lshl_add_u32 v14, v14, 23, v20
	v_or3_b32 v11, v15, v14, v11
.LBB47_584:
	s_or_b64 exec, exec, s[6:7]
	s_nop 0
	v_mfma_f32_16x16x4f32 a[0:3], v10, v11, a[0:3]
	v_lshrrev_b32_e32 v11, 8, v16
	s_movk_i32 s4, 0x7f
	v_cmp_gt_i16_sdwa s[6:7], v11, s4 src0_sel:BYTE_0 src1_sel:DWORD
	s_mov_b64 s[4:5], 0
                                        ; implicit-def: $sgpr10
	s_and_saveexec_b64 s[8:9], s[6:7]
	s_xor_b64 s[6:7], exec, s[8:9]
	s_cbranch_execnz .LBB47_2633
; %bb.585:
	s_or_saveexec_b64 s[6:7], s[6:7]
	v_mov_b32_e32 v10, s10
	s_xor_b64 exec, exec, s[6:7]
	s_cbranch_execnz .LBB47_2636
.LBB47_586:
	s_or_b64 exec, exec, s[6:7]
	s_and_saveexec_b64 s[6:7], s[4:5]
	s_cbranch_execz .LBB47_588
.LBB47_587:
	v_bfe_u32 v10, v16, 8, 3
	v_ffbh_u32_e32 v15, v10
	v_min_u32_e32 v15, 32, v15
	v_lshrrev_b16_e32 v14, 3, v11
	v_subrev_u32_e32 v20, 28, v15
	v_and_b32_e32 v14, 15, v14
	v_lshlrev_b32_e32 v11, v20, v11
	v_sub_u32_e32 v15, 29, v15
	v_and_b32_e32 v11, 7, v11
	v_cmp_eq_u16_e32 vcc, 0, v14
	v_cndmask_b32_e32 v10, v10, v11, vcc
	v_cndmask_b32_e32 v11, v14, v15, vcc
	v_lshlrev_b32_e32 v14, 16, v16
	v_mov_b32_e32 v15, 0x3b800000
	v_lshlrev_b32_e32 v10, 20, v10
	v_and_b32_e32 v14, 0x80000000, v14
	v_lshl_add_u32 v11, v11, 23, v15
	v_or3_b32 v10, v14, v11, v10
.LBB47_588:
	s_or_b64 exec, exec, s[6:7]
	v_lshrrev_b32_e32 v11, 8, v12
	s_movk_i32 s4, 0x7f
	v_cmp_gt_i16_sdwa s[6:7], v11, s4 src0_sel:BYTE_0 src1_sel:DWORD
	s_mov_b64 s[4:5], 0
                                        ; implicit-def: $sgpr10
	s_and_saveexec_b64 s[8:9], s[6:7]
	s_xor_b64 s[6:7], exec, s[8:9]
	s_cbranch_execnz .LBB47_2637
; %bb.589:
	s_or_saveexec_b64 s[6:7], s[6:7]
	v_mov_b32_e32 v14, s10
	s_xor_b64 exec, exec, s[6:7]
	s_cbranch_execnz .LBB47_2640
.LBB47_590:
	s_or_b64 exec, exec, s[6:7]
	s_and_saveexec_b64 s[6:7], s[4:5]
	s_cbranch_execz .LBB47_592
.LBB47_591:
	v_bfe_u32 v14, v12, 8, 3
	v_ffbh_u32_e32 v20, v14
	v_min_u32_e32 v20, 32, v20
	v_lshrrev_b16_e32 v15, 3, v11
	v_subrev_u32_e32 v21, 28, v20
	v_and_b32_e32 v15, 15, v15
	v_lshlrev_b32_e32 v11, v21, v11
	v_sub_u32_e32 v20, 29, v20
	v_and_b32_e32 v11, 7, v11
	v_cmp_eq_u16_e32 vcc, 0, v15
	v_cndmask_b32_e32 v11, v14, v11, vcc
	v_cndmask_b32_e32 v14, v15, v20, vcc
	v_lshlrev_b32_e32 v15, 16, v12
	v_mov_b32_e32 v20, 0x3b800000
	v_lshlrev_b32_e32 v11, 20, v11
	v_and_b32_e32 v15, 0x80000000, v15
	v_lshl_add_u32 v14, v14, 23, v20
	v_or3_b32 v14, v15, v14, v11
.LBB47_592:
	s_or_b64 exec, exec, s[6:7]
	s_nop 0
	v_mfma_f32_16x16x4f32 a[0:3], v10, v14, a[0:3]
	s_movk_i32 s4, 0xff
	v_and_b32_sdwa v11, v16, s4 dst_sel:DWORD dst_unused:UNUSED_PAD src0_sel:WORD_1 src1_sel:DWORD
	s_movk_i32 s4, 0x7f
	v_cmp_lt_i16_e32 vcc, s4, v11
	s_mov_b64 s[4:5], 0
                                        ; implicit-def: $sgpr10
	s_and_saveexec_b64 s[6:7], vcc
	s_xor_b64 s[6:7], exec, s[6:7]
	s_cbranch_execnz .LBB47_2641
; %bb.593:
	s_or_saveexec_b64 s[6:7], s[6:7]
	v_mov_b32_e32 v10, s10
	s_xor_b64 exec, exec, s[6:7]
	s_cbranch_execnz .LBB47_2644
.LBB47_594:
	s_or_b64 exec, exec, s[6:7]
	s_and_saveexec_b64 s[6:7], s[4:5]
	s_cbranch_execz .LBB47_596
.LBB47_595:
	v_bfe_u32 v10, v16, 16, 3
	v_ffbh_u32_e32 v15, v10
	v_min_u32_e32 v15, 32, v15
	v_lshrrev_b32_e32 v11, 19, v16
	v_subrev_u32_e32 v20, 28, v15
	v_and_b32_e32 v11, 15, v11
	v_lshlrev_b32_sdwa v20, v20, v16 dst_sel:DWORD dst_unused:UNUSED_PAD src0_sel:DWORD src1_sel:WORD_1
	v_bfe_u32 v14, v16, 19, 4
	v_sub_u32_e32 v15, 29, v15
	v_and_b32_e32 v20, 7, v20
	v_cmp_eq_u16_e32 vcc, 0, v11
	v_cndmask_b32_e32 v10, v10, v20, vcc
	v_cndmask_b32_e32 v11, v14, v15, vcc
	v_lshlrev_b32_e32 v14, 8, v16
	v_mov_b32_e32 v15, 0x3b800000
	v_lshlrev_b32_e32 v10, 20, v10
	v_and_b32_e32 v14, 0x80000000, v14
	v_lshl_add_u32 v11, v11, 23, v15
	v_or3_b32 v10, v14, v11, v10
.LBB47_596:
	s_or_b64 exec, exec, s[6:7]
	s_movk_i32 s4, 0xff
	v_and_b32_sdwa v11, v12, s4 dst_sel:DWORD dst_unused:UNUSED_PAD src0_sel:WORD_1 src1_sel:DWORD
	s_movk_i32 s4, 0x7f
	v_cmp_lt_i16_e32 vcc, s4, v11
	s_mov_b64 s[4:5], 0
                                        ; implicit-def: $sgpr10
	s_and_saveexec_b64 s[6:7], vcc
	s_xor_b64 s[6:7], exec, s[6:7]
	s_cbranch_execnz .LBB47_2645
; %bb.597:
	s_or_saveexec_b64 s[6:7], s[6:7]
	v_mov_b32_e32 v14, s10
	s_xor_b64 exec, exec, s[6:7]
	s_cbranch_execnz .LBB47_2648
.LBB47_598:
	s_or_b64 exec, exec, s[6:7]
	s_and_saveexec_b64 s[6:7], s[4:5]
	s_cbranch_execz .LBB47_600
.LBB47_599:
	v_bfe_u32 v11, v12, 16, 3
	v_ffbh_u32_e32 v20, v11
	v_min_u32_e32 v20, 32, v20
	v_lshrrev_b32_e32 v14, 19, v12
	v_subrev_u32_e32 v21, 28, v20
	v_and_b32_e32 v14, 15, v14
	v_lshlrev_b32_sdwa v21, v21, v12 dst_sel:DWORD dst_unused:UNUSED_PAD src0_sel:DWORD src1_sel:WORD_1
	v_bfe_u32 v15, v12, 19, 4
	v_sub_u32_e32 v20, 29, v20
	v_and_b32_e32 v21, 7, v21
	v_cmp_eq_u16_e32 vcc, 0, v14
	v_cndmask_b32_e32 v11, v11, v21, vcc
	v_cndmask_b32_e32 v14, v15, v20, vcc
	v_lshlrev_b32_e32 v15, 8, v12
	v_mov_b32_e32 v20, 0x3b800000
	v_lshlrev_b32_e32 v11, 20, v11
	v_and_b32_e32 v15, 0x80000000, v15
	v_lshl_add_u32 v14, v14, 23, v20
	v_or3_b32 v14, v15, v14, v11
.LBB47_600:
	s_or_b64 exec, exec, s[6:7]
	s_nop 0
	v_mfma_f32_16x16x4f32 a[0:3], v10, v14, a[0:3]
	s_movk_i32 s4, 0x7f
	v_cmp_gt_i16_sdwa s[6:7], v16, s4 src0_sel:BYTE_3 src1_sel:DWORD
	s_mov_b64 s[4:5], 0
                                        ; implicit-def: $sgpr10
	s_and_saveexec_b64 s[8:9], s[6:7]
	s_xor_b64 s[6:7], exec, s[8:9]
	s_cbranch_execnz .LBB47_2649
; %bb.601:
	s_or_saveexec_b64 s[6:7], s[6:7]
	v_mov_b32_e32 v10, s10
	s_xor_b64 exec, exec, s[6:7]
	s_cbranch_execnz .LBB47_2652
.LBB47_602:
	s_or_b64 exec, exec, s[6:7]
	s_and_saveexec_b64 s[6:7], s[4:5]
	s_cbranch_execz .LBB47_604
.LBB47_603:
	v_bfe_u32 v10, v16, 24, 3
	v_ffbh_u32_e32 v20, v10
	v_min_u32_e32 v20, 32, v20
	v_lshrrev_b32_e32 v14, 27, v16
	v_subrev_u32_e32 v21, 28, v20
	v_and_b32_e32 v11, 0x80000000, v16
	v_and_b32_e32 v14, 15, v14
	v_bfe_u32 v15, v16, 27, 4
	v_lshlrev_b32_sdwa v16, v21, v16 dst_sel:DWORD dst_unused:UNUSED_PAD src0_sel:DWORD src1_sel:BYTE_3
	v_sub_u32_e32 v20, 29, v20
	v_and_b32_e32 v16, 7, v16
	v_cmp_eq_u16_e32 vcc, 0, v14
	v_cndmask_b32_e32 v10, v10, v16, vcc
	v_cndmask_b32_e32 v14, v15, v20, vcc
	v_mov_b32_e32 v15, 0x3b800000
	v_lshlrev_b32_e32 v10, 20, v10
	v_lshl_add_u32 v14, v14, 23, v15
	v_or3_b32 v10, v11, v14, v10
.LBB47_604:
	s_or_b64 exec, exec, s[6:7]
	s_movk_i32 s4, 0x7f
	v_cmp_gt_i16_sdwa s[6:7], v12, s4 src0_sel:BYTE_3 src1_sel:DWORD
	s_mov_b64 s[4:5], 0
                                        ; implicit-def: $sgpr10
	s_and_saveexec_b64 s[8:9], s[6:7]
	s_xor_b64 s[6:7], exec, s[8:9]
	s_cbranch_execnz .LBB47_2653
; %bb.605:
	s_or_saveexec_b64 s[6:7], s[6:7]
	v_mov_b32_e32 v11, s10
	s_xor_b64 exec, exec, s[6:7]
	s_cbranch_execnz .LBB47_2656
.LBB47_606:
	s_or_b64 exec, exec, s[6:7]
	s_and_saveexec_b64 s[6:7], s[4:5]
	s_cbranch_execz .LBB47_608
.LBB47_607:
	v_bfe_u32 v11, v12, 24, 3
	v_ffbh_u32_e32 v20, v11
	v_min_u32_e32 v20, 32, v20
	v_lshrrev_b32_e32 v15, 27, v12
	v_subrev_u32_e32 v21, 28, v20
	v_and_b32_e32 v14, 0x80000000, v12
	v_and_b32_e32 v15, 15, v15
	v_bfe_u32 v16, v12, 27, 4
	v_lshlrev_b32_sdwa v12, v21, v12 dst_sel:DWORD dst_unused:UNUSED_PAD src0_sel:DWORD src1_sel:BYTE_3
	v_sub_u32_e32 v20, 29, v20
	v_and_b32_e32 v12, 7, v12
	v_cmp_eq_u16_e32 vcc, 0, v15
	v_cndmask_b32_e32 v11, v11, v12, vcc
	v_cndmask_b32_e32 v12, v16, v20, vcc
	v_mov_b32_e32 v15, 0x3b800000
	v_lshlrev_b32_e32 v11, 20, v11
	v_lshl_add_u32 v12, v12, 23, v15
	v_or3_b32 v11, v14, v12, v11
.LBB47_608:
	s_or_b64 exec, exec, s[6:7]
	s_nop 0
	v_mfma_f32_16x16x4f32 a[0:3], v10, v11, a[0:3]
	s_movk_i32 s4, 0x7f
	v_cmp_gt_i16_sdwa s[6:7], v17, s4 src0_sel:BYTE_0 src1_sel:DWORD
	s_mov_b64 s[4:5], 0
                                        ; implicit-def: $sgpr10
	s_and_saveexec_b64 s[8:9], s[6:7]
	s_xor_b64 s[6:7], exec, s[8:9]
	s_cbranch_execnz .LBB47_2657
; %bb.609:
	s_or_saveexec_b64 s[6:7], s[6:7]
	v_mov_b32_e32 v10, s10
	s_xor_b64 exec, exec, s[6:7]
	s_cbranch_execnz .LBB47_2660
.LBB47_610:
	s_or_b64 exec, exec, s[6:7]
	s_and_saveexec_b64 s[6:7], s[4:5]
	s_cbranch_execz .LBB47_612
.LBB47_611:
	v_and_b32_e32 v10, 7, v17
	v_ffbh_u32_e32 v12, v10
	v_min_u32_e32 v12, 32, v12
	v_lshrrev_b16_e32 v11, 3, v17
	v_subrev_u32_e32 v14, 28, v12
	v_and_b32_e32 v11, 15, v11
	v_lshlrev_b32_e32 v14, v14, v17
	v_sub_u32_e32 v12, 29, v12
	v_and_b32_e32 v14, 7, v14
	v_cmp_eq_u16_e32 vcc, 0, v11
	v_cndmask_b32_e32 v10, v10, v14, vcc
	v_cndmask_b32_e32 v11, v11, v12, vcc
	v_lshlrev_b32_e32 v12, 24, v17
	v_mov_b32_e32 v14, 0x3b800000
	v_lshlrev_b32_e32 v10, 20, v10
	v_and_b32_e32 v12, 0x80000000, v12
	v_lshl_add_u32 v11, v11, 23, v14
	v_or3_b32 v10, v12, v11, v10
.LBB47_612:
	s_or_b64 exec, exec, s[6:7]
	s_movk_i32 s4, 0x7f
	v_cmp_gt_i16_sdwa s[6:7], v13, s4 src0_sel:BYTE_0 src1_sel:DWORD
	s_mov_b64 s[4:5], 0
                                        ; implicit-def: $sgpr10
	s_and_saveexec_b64 s[8:9], s[6:7]
	s_xor_b64 s[6:7], exec, s[8:9]
	s_cbranch_execnz .LBB47_2661
; %bb.613:
	s_or_saveexec_b64 s[6:7], s[6:7]
	v_mov_b32_e32 v11, s10
	s_xor_b64 exec, exec, s[6:7]
	s_cbranch_execnz .LBB47_2664
.LBB47_614:
	s_or_b64 exec, exec, s[6:7]
	s_and_saveexec_b64 s[6:7], s[4:5]
	s_cbranch_execz .LBB47_616
.LBB47_615:
	v_and_b32_e32 v11, 7, v13
	v_ffbh_u32_e32 v14, v11
	v_min_u32_e32 v14, 32, v14
	v_lshrrev_b16_e32 v12, 3, v13
	v_subrev_u32_e32 v15, 28, v14
	v_and_b32_e32 v12, 15, v12
	v_lshlrev_b32_e32 v15, v15, v13
	v_sub_u32_e32 v14, 29, v14
	v_and_b32_e32 v15, 7, v15
	v_cmp_eq_u16_e32 vcc, 0, v12
	v_cndmask_b32_e32 v11, v11, v15, vcc
	v_cndmask_b32_e32 v12, v12, v14, vcc
	v_lshlrev_b32_e32 v14, 24, v13
	v_mov_b32_e32 v15, 0x3b800000
	v_lshlrev_b32_e32 v11, 20, v11
	v_and_b32_e32 v14, 0x80000000, v14
	v_lshl_add_u32 v12, v12, 23, v15
	v_or3_b32 v11, v14, v12, v11
.LBB47_616:
	s_or_b64 exec, exec, s[6:7]
	s_nop 0
	v_mfma_f32_16x16x4f32 a[0:3], v10, v11, a[0:3]
	v_lshrrev_b32_e32 v11, 8, v17
	s_movk_i32 s4, 0x7f
	v_cmp_gt_i16_sdwa s[6:7], v11, s4 src0_sel:BYTE_0 src1_sel:DWORD
	s_mov_b64 s[4:5], 0
                                        ; implicit-def: $sgpr10
	s_and_saveexec_b64 s[8:9], s[6:7]
	s_xor_b64 s[6:7], exec, s[8:9]
	s_cbranch_execnz .LBB47_2665
; %bb.617:
	s_or_saveexec_b64 s[6:7], s[6:7]
	v_mov_b32_e32 v10, s10
	s_xor_b64 exec, exec, s[6:7]
	s_cbranch_execnz .LBB47_2668
.LBB47_618:
	s_or_b64 exec, exec, s[6:7]
	s_and_saveexec_b64 s[6:7], s[4:5]
	s_cbranch_execz .LBB47_620
.LBB47_619:
	v_bfe_u32 v10, v17, 8, 3
	v_ffbh_u32_e32 v14, v10
	v_min_u32_e32 v14, 32, v14
	v_lshrrev_b16_e32 v12, 3, v11
	v_subrev_u32_e32 v15, 28, v14
	v_and_b32_e32 v12, 15, v12
	v_lshlrev_b32_e32 v11, v15, v11
	v_sub_u32_e32 v14, 29, v14
	v_and_b32_e32 v11, 7, v11
	v_cmp_eq_u16_e32 vcc, 0, v12
	v_cndmask_b32_e32 v10, v10, v11, vcc
	v_cndmask_b32_e32 v11, v12, v14, vcc
	v_lshlrev_b32_e32 v12, 16, v17
	v_mov_b32_e32 v14, 0x3b800000
	v_lshlrev_b32_e32 v10, 20, v10
	v_and_b32_e32 v12, 0x80000000, v12
	v_lshl_add_u32 v11, v11, 23, v14
	v_or3_b32 v10, v12, v11, v10
.LBB47_620:
	s_or_b64 exec, exec, s[6:7]
	v_lshrrev_b32_e32 v11, 8, v13
	s_movk_i32 s4, 0x7f
	v_cmp_gt_i16_sdwa s[6:7], v11, s4 src0_sel:BYTE_0 src1_sel:DWORD
	s_mov_b64 s[4:5], 0
                                        ; implicit-def: $sgpr10
	s_and_saveexec_b64 s[8:9], s[6:7]
	s_xor_b64 s[6:7], exec, s[8:9]
	s_cbranch_execnz .LBB47_2669
; %bb.621:
	s_or_saveexec_b64 s[6:7], s[6:7]
	v_mov_b32_e32 v12, s10
	s_xor_b64 exec, exec, s[6:7]
	s_cbranch_execnz .LBB47_2672
.LBB47_622:
	s_or_b64 exec, exec, s[6:7]
	s_and_saveexec_b64 s[6:7], s[4:5]
	s_cbranch_execz .LBB47_624
.LBB47_623:
	v_bfe_u32 v12, v13, 8, 3
	v_ffbh_u32_e32 v15, v12
	v_min_u32_e32 v15, 32, v15
	v_lshrrev_b16_e32 v14, 3, v11
	v_subrev_u32_e32 v16, 28, v15
	v_and_b32_e32 v14, 15, v14
	v_lshlrev_b32_e32 v11, v16, v11
	v_sub_u32_e32 v15, 29, v15
	v_and_b32_e32 v11, 7, v11
	v_cmp_eq_u16_e32 vcc, 0, v14
	v_cndmask_b32_e32 v11, v12, v11, vcc
	v_cndmask_b32_e32 v12, v14, v15, vcc
	v_lshlrev_b32_e32 v14, 16, v13
	v_mov_b32_e32 v15, 0x3b800000
	v_lshlrev_b32_e32 v11, 20, v11
	v_and_b32_e32 v14, 0x80000000, v14
	v_lshl_add_u32 v12, v12, 23, v15
	v_or3_b32 v12, v14, v12, v11
.LBB47_624:
	s_or_b64 exec, exec, s[6:7]
	s_nop 0
	v_mfma_f32_16x16x4f32 a[0:3], v10, v12, a[0:3]
	s_movk_i32 s4, 0xff
	v_and_b32_sdwa v11, v17, s4 dst_sel:DWORD dst_unused:UNUSED_PAD src0_sel:WORD_1 src1_sel:DWORD
	s_movk_i32 s4, 0x7f
	v_cmp_lt_i16_e32 vcc, s4, v11
	s_mov_b64 s[4:5], 0
                                        ; implicit-def: $sgpr10
	s_and_saveexec_b64 s[6:7], vcc
	s_xor_b64 s[6:7], exec, s[6:7]
	s_cbranch_execnz .LBB47_2673
; %bb.625:
	s_or_saveexec_b64 s[6:7], s[6:7]
	v_mov_b32_e32 v10, s10
	s_xor_b64 exec, exec, s[6:7]
	s_cbranch_execnz .LBB47_2676
.LBB47_626:
	s_or_b64 exec, exec, s[6:7]
	s_and_saveexec_b64 s[6:7], s[4:5]
	s_cbranch_execz .LBB47_628
.LBB47_627:
	v_bfe_u32 v10, v17, 16, 3
	v_ffbh_u32_e32 v14, v10
	v_min_u32_e32 v14, 32, v14
	v_lshrrev_b32_e32 v11, 19, v17
	v_subrev_u32_e32 v15, 28, v14
	v_and_b32_e32 v11, 15, v11
	v_lshlrev_b32_sdwa v15, v15, v17 dst_sel:DWORD dst_unused:UNUSED_PAD src0_sel:DWORD src1_sel:WORD_1
	v_bfe_u32 v12, v17, 19, 4
	v_sub_u32_e32 v14, 29, v14
	v_and_b32_e32 v15, 7, v15
	v_cmp_eq_u16_e32 vcc, 0, v11
	v_cndmask_b32_e32 v10, v10, v15, vcc
	v_cndmask_b32_e32 v11, v12, v14, vcc
	v_lshlrev_b32_e32 v12, 8, v17
	v_mov_b32_e32 v14, 0x3b800000
	v_lshlrev_b32_e32 v10, 20, v10
	v_and_b32_e32 v12, 0x80000000, v12
	v_lshl_add_u32 v11, v11, 23, v14
	v_or3_b32 v10, v12, v11, v10
.LBB47_628:
	s_or_b64 exec, exec, s[6:7]
	s_movk_i32 s4, 0xff
	v_and_b32_sdwa v11, v13, s4 dst_sel:DWORD dst_unused:UNUSED_PAD src0_sel:WORD_1 src1_sel:DWORD
	s_movk_i32 s4, 0x7f
	v_cmp_lt_i16_e32 vcc, s4, v11
	s_mov_b64 s[4:5], 0
                                        ; implicit-def: $sgpr10
	s_and_saveexec_b64 s[6:7], vcc
	s_xor_b64 s[6:7], exec, s[6:7]
	s_cbranch_execnz .LBB47_2677
; %bb.629:
	s_or_saveexec_b64 s[6:7], s[6:7]
	v_mov_b32_e32 v12, s10
	s_xor_b64 exec, exec, s[6:7]
	s_cbranch_execnz .LBB47_2680
.LBB47_630:
	s_or_b64 exec, exec, s[6:7]
	s_and_saveexec_b64 s[6:7], s[4:5]
	s_cbranch_execz .LBB47_632
.LBB47_631:
	v_bfe_u32 v11, v13, 16, 3
	v_ffbh_u32_e32 v15, v11
	v_min_u32_e32 v15, 32, v15
	v_lshrrev_b32_e32 v12, 19, v13
	v_subrev_u32_e32 v16, 28, v15
	v_and_b32_e32 v12, 15, v12
	v_lshlrev_b32_sdwa v16, v16, v13 dst_sel:DWORD dst_unused:UNUSED_PAD src0_sel:DWORD src1_sel:WORD_1
	v_bfe_u32 v14, v13, 19, 4
	v_sub_u32_e32 v15, 29, v15
	v_and_b32_e32 v16, 7, v16
	v_cmp_eq_u16_e32 vcc, 0, v12
	v_cndmask_b32_e32 v11, v11, v16, vcc
	v_cndmask_b32_e32 v12, v14, v15, vcc
	v_lshlrev_b32_e32 v14, 8, v13
	v_mov_b32_e32 v15, 0x3b800000
	v_lshlrev_b32_e32 v11, 20, v11
	v_and_b32_e32 v14, 0x80000000, v14
	v_lshl_add_u32 v12, v12, 23, v15
	v_or3_b32 v12, v14, v12, v11
.LBB47_632:
	s_or_b64 exec, exec, s[6:7]
	s_nop 0
	v_mfma_f32_16x16x4f32 a[0:3], v10, v12, a[0:3]
	s_movk_i32 s4, 0x7f
	v_cmp_gt_i16_sdwa s[6:7], v17, s4 src0_sel:BYTE_3 src1_sel:DWORD
	s_mov_b64 s[4:5], 0
                                        ; implicit-def: $sgpr10
	s_and_saveexec_b64 s[8:9], s[6:7]
	s_xor_b64 s[6:7], exec, s[8:9]
	s_cbranch_execnz .LBB47_2681
; %bb.633:
	s_or_saveexec_b64 s[6:7], s[6:7]
	v_mov_b32_e32 v10, s10
	s_xor_b64 exec, exec, s[6:7]
	s_cbranch_execnz .LBB47_2684
.LBB47_634:
	s_or_b64 exec, exec, s[6:7]
	s_and_saveexec_b64 s[6:7], s[4:5]
	s_cbranch_execz .LBB47_636
.LBB47_635:
	v_bfe_u32 v10, v17, 24, 3
	v_ffbh_u32_e32 v15, v10
	v_min_u32_e32 v15, 32, v15
	v_lshrrev_b32_e32 v12, 27, v17
	v_subrev_u32_e32 v16, 28, v15
	v_and_b32_e32 v12, 15, v12
	v_lshlrev_b32_sdwa v16, v16, v17 dst_sel:DWORD dst_unused:UNUSED_PAD src0_sel:DWORD src1_sel:BYTE_3
	v_bfe_u32 v14, v17, 27, 4
	v_sub_u32_e32 v15, 29, v15
	v_and_b32_e32 v16, 7, v16
	v_cmp_eq_u16_e32 vcc, 0, v12
	v_cndmask_b32_e32 v10, v10, v16, vcc
	v_cndmask_b32_e32 v12, v14, v15, vcc
	v_mov_b32_e32 v14, 0x3b800000
	v_and_b32_e32 v11, 0x80000000, v17
	v_lshlrev_b32_e32 v10, 20, v10
	v_lshl_add_u32 v12, v12, 23, v14
	v_or3_b32 v10, v11, v12, v10
.LBB47_636:
	s_or_b64 exec, exec, s[6:7]
	s_movk_i32 s4, 0x7f
	v_cmp_gt_i16_sdwa s[6:7], v13, s4 src0_sel:BYTE_3 src1_sel:DWORD
	s_mov_b64 s[4:5], 0
                                        ; implicit-def: $sgpr10
	s_and_saveexec_b64 s[8:9], s[6:7]
	s_xor_b64 s[6:7], exec, s[8:9]
	s_cbranch_execnz .LBB47_2685
; %bb.637:
	s_or_saveexec_b64 s[6:7], s[6:7]
	v_mov_b32_e32 v11, s10
	s_xor_b64 exec, exec, s[6:7]
	s_cbranch_execnz .LBB47_2688
.LBB47_638:
	s_or_b64 exec, exec, s[6:7]
	s_and_saveexec_b64 s[6:7], s[4:5]
	s_cbranch_execz .LBB47_640
.LBB47_639:
	v_bfe_u32 v11, v13, 24, 3
	v_ffbh_u32_e32 v16, v11
	v_min_u32_e32 v16, 32, v16
	v_lshrrev_b32_e32 v14, 27, v13
	v_subrev_u32_e32 v17, 28, v16
	v_and_b32_e32 v12, 0x80000000, v13
	v_and_b32_e32 v14, 15, v14
	v_bfe_u32 v15, v13, 27, 4
	v_lshlrev_b32_sdwa v13, v17, v13 dst_sel:DWORD dst_unused:UNUSED_PAD src0_sel:DWORD src1_sel:BYTE_3
	v_sub_u32_e32 v16, 29, v16
	v_and_b32_e32 v13, 7, v13
	v_cmp_eq_u16_e32 vcc, 0, v14
	v_cndmask_b32_e32 v11, v11, v13, vcc
	v_cndmask_b32_e32 v13, v15, v16, vcc
	v_mov_b32_e32 v14, 0x3b800000
	v_lshlrev_b32_e32 v11, 20, v11
	v_lshl_add_u32 v13, v13, 23, v14
	v_or3_b32 v11, v12, v13, v11
.LBB47_640:
	s_or_b64 exec, exec, s[6:7]
	s_nop 0
	v_mfma_f32_16x16x4f32 a[0:3], v10, v11, a[0:3]
	s_movk_i32 s4, 0x7f
	v_cmp_gt_i16_sdwa s[6:7], v6, s4 src0_sel:BYTE_0 src1_sel:DWORD
	s_mov_b64 s[4:5], 0
                                        ; implicit-def: $sgpr10
	s_and_saveexec_b64 s[8:9], s[6:7]
	s_xor_b64 s[6:7], exec, s[8:9]
	s_cbranch_execnz .LBB47_2689
; %bb.641:
	s_or_saveexec_b64 s[6:7], s[6:7]
	v_mov_b32_e32 v10, s10
	s_xor_b64 exec, exec, s[6:7]
	s_cbranch_execnz .LBB47_2692
.LBB47_642:
	s_or_b64 exec, exec, s[6:7]
	s_and_saveexec_b64 s[6:7], s[4:5]
	s_cbranch_execz .LBB47_644
.LBB47_643:
	v_and_b32_e32 v10, 7, v6
	v_ffbh_u32_e32 v12, v10
	v_min_u32_e32 v12, 32, v12
	v_lshrrev_b16_e32 v11, 3, v6
	v_subrev_u32_e32 v13, 28, v12
	v_and_b32_e32 v11, 15, v11
	v_lshlrev_b32_e32 v13, v13, v6
	v_sub_u32_e32 v12, 29, v12
	v_and_b32_e32 v13, 7, v13
	v_cmp_eq_u16_e32 vcc, 0, v11
	v_cndmask_b32_e32 v10, v10, v13, vcc
	v_cndmask_b32_e32 v11, v11, v12, vcc
	v_lshlrev_b32_e32 v12, 24, v6
	v_mov_b32_e32 v13, 0x3b800000
	v_lshlrev_b32_e32 v10, 20, v10
	v_and_b32_e32 v12, 0x80000000, v12
	v_lshl_add_u32 v11, v11, 23, v13
	v_or3_b32 v10, v12, v11, v10
.LBB47_644:
	s_or_b64 exec, exec, s[6:7]
	s_movk_i32 s4, 0x7f
	v_cmp_gt_i16_sdwa s[6:7], v2, s4 src0_sel:BYTE_0 src1_sel:DWORD
	s_mov_b64 s[4:5], 0
                                        ; implicit-def: $sgpr10
	s_and_saveexec_b64 s[8:9], s[6:7]
	s_xor_b64 s[6:7], exec, s[8:9]
	s_cbranch_execnz .LBB47_2693
; %bb.645:
	s_or_saveexec_b64 s[6:7], s[6:7]
	v_mov_b32_e32 v11, s10
	s_xor_b64 exec, exec, s[6:7]
	s_cbranch_execnz .LBB47_2696
.LBB47_646:
	s_or_b64 exec, exec, s[6:7]
	s_and_saveexec_b64 s[6:7], s[4:5]
	s_cbranch_execz .LBB47_648
.LBB47_647:
	v_and_b32_e32 v11, 7, v2
	v_ffbh_u32_e32 v13, v11
	v_min_u32_e32 v13, 32, v13
	v_lshrrev_b16_e32 v12, 3, v2
	v_subrev_u32_e32 v14, 28, v13
	v_and_b32_e32 v12, 15, v12
	v_lshlrev_b32_e32 v14, v14, v2
	v_sub_u32_e32 v13, 29, v13
	v_and_b32_e32 v14, 7, v14
	v_cmp_eq_u16_e32 vcc, 0, v12
	v_cndmask_b32_e32 v11, v11, v14, vcc
	v_cndmask_b32_e32 v12, v12, v13, vcc
	v_lshlrev_b32_e32 v13, 24, v2
	v_mov_b32_e32 v14, 0x3b800000
	v_lshlrev_b32_e32 v11, 20, v11
	v_and_b32_e32 v13, 0x80000000, v13
	v_lshl_add_u32 v12, v12, 23, v14
	v_or3_b32 v11, v13, v12, v11
.LBB47_648:
	s_or_b64 exec, exec, s[6:7]
	s_nop 0
	v_mfma_f32_16x16x4f32 a[0:3], v10, v11, a[0:3]
	v_lshrrev_b32_e32 v11, 8, v6
	s_movk_i32 s4, 0x7f
	v_cmp_gt_i16_sdwa s[6:7], v11, s4 src0_sel:BYTE_0 src1_sel:DWORD
	s_mov_b64 s[4:5], 0
                                        ; implicit-def: $sgpr10
	s_and_saveexec_b64 s[8:9], s[6:7]
	s_xor_b64 s[6:7], exec, s[8:9]
	s_cbranch_execnz .LBB47_2697
; %bb.649:
	s_or_saveexec_b64 s[6:7], s[6:7]
	v_mov_b32_e32 v10, s10
	s_xor_b64 exec, exec, s[6:7]
	s_cbranch_execnz .LBB47_2700
.LBB47_650:
	s_or_b64 exec, exec, s[6:7]
	s_and_saveexec_b64 s[6:7], s[4:5]
	s_cbranch_execz .LBB47_652
.LBB47_651:
	v_bfe_u32 v10, v6, 8, 3
	v_ffbh_u32_e32 v13, v10
	v_min_u32_e32 v13, 32, v13
	v_lshrrev_b16_e32 v12, 3, v11
	v_subrev_u32_e32 v14, 28, v13
	v_and_b32_e32 v12, 15, v12
	v_lshlrev_b32_e32 v11, v14, v11
	v_sub_u32_e32 v13, 29, v13
	v_and_b32_e32 v11, 7, v11
	v_cmp_eq_u16_e32 vcc, 0, v12
	v_cndmask_b32_e32 v10, v10, v11, vcc
	v_cndmask_b32_e32 v11, v12, v13, vcc
	v_lshlrev_b32_e32 v12, 16, v6
	v_mov_b32_e32 v13, 0x3b800000
	v_lshlrev_b32_e32 v10, 20, v10
	v_and_b32_e32 v12, 0x80000000, v12
	v_lshl_add_u32 v11, v11, 23, v13
	v_or3_b32 v10, v12, v11, v10
.LBB47_652:
	s_or_b64 exec, exec, s[6:7]
	v_lshrrev_b32_e32 v11, 8, v2
	s_movk_i32 s4, 0x7f
	v_cmp_gt_i16_sdwa s[6:7], v11, s4 src0_sel:BYTE_0 src1_sel:DWORD
	s_mov_b64 s[4:5], 0
                                        ; implicit-def: $sgpr10
	s_and_saveexec_b64 s[8:9], s[6:7]
	s_xor_b64 s[6:7], exec, s[8:9]
	s_cbranch_execnz .LBB47_2701
; %bb.653:
	s_or_saveexec_b64 s[6:7], s[6:7]
	v_mov_b32_e32 v12, s10
	s_xor_b64 exec, exec, s[6:7]
	s_cbranch_execnz .LBB47_2704
.LBB47_654:
	s_or_b64 exec, exec, s[6:7]
	s_and_saveexec_b64 s[6:7], s[4:5]
	s_cbranch_execz .LBB47_656
.LBB47_655:
	v_bfe_u32 v12, v2, 8, 3
	v_ffbh_u32_e32 v14, v12
	v_min_u32_e32 v14, 32, v14
	v_lshrrev_b16_e32 v13, 3, v11
	v_subrev_u32_e32 v15, 28, v14
	v_and_b32_e32 v13, 15, v13
	v_lshlrev_b32_e32 v11, v15, v11
	v_sub_u32_e32 v14, 29, v14
	v_and_b32_e32 v11, 7, v11
	v_cmp_eq_u16_e32 vcc, 0, v13
	v_cndmask_b32_e32 v11, v12, v11, vcc
	v_cndmask_b32_e32 v12, v13, v14, vcc
	v_lshlrev_b32_e32 v13, 16, v2
	v_mov_b32_e32 v14, 0x3b800000
	v_lshlrev_b32_e32 v11, 20, v11
	v_and_b32_e32 v13, 0x80000000, v13
	v_lshl_add_u32 v12, v12, 23, v14
	v_or3_b32 v12, v13, v12, v11
.LBB47_656:
	s_or_b64 exec, exec, s[6:7]
	s_nop 0
	v_mfma_f32_16x16x4f32 a[0:3], v10, v12, a[0:3]
	s_movk_i32 s4, 0xff
	v_and_b32_sdwa v11, v6, s4 dst_sel:DWORD dst_unused:UNUSED_PAD src0_sel:WORD_1 src1_sel:DWORD
	s_movk_i32 s4, 0x7f
	v_cmp_lt_i16_e32 vcc, s4, v11
	s_mov_b64 s[4:5], 0
                                        ; implicit-def: $sgpr10
	s_and_saveexec_b64 s[6:7], vcc
	s_xor_b64 s[6:7], exec, s[6:7]
	s_cbranch_execnz .LBB47_2705
; %bb.657:
	s_or_saveexec_b64 s[6:7], s[6:7]
	v_mov_b32_e32 v10, s10
	s_xor_b64 exec, exec, s[6:7]
	s_cbranch_execnz .LBB47_2708
.LBB47_658:
	s_or_b64 exec, exec, s[6:7]
	s_and_saveexec_b64 s[6:7], s[4:5]
	s_cbranch_execz .LBB47_660
.LBB47_659:
	v_bfe_u32 v10, v6, 16, 3
	v_ffbh_u32_e32 v13, v10
	v_min_u32_e32 v13, 32, v13
	v_lshrrev_b32_e32 v11, 19, v6
	v_subrev_u32_e32 v14, 28, v13
	v_and_b32_e32 v11, 15, v11
	v_lshlrev_b32_sdwa v14, v14, v6 dst_sel:DWORD dst_unused:UNUSED_PAD src0_sel:DWORD src1_sel:WORD_1
	v_bfe_u32 v12, v6, 19, 4
	v_sub_u32_e32 v13, 29, v13
	v_and_b32_e32 v14, 7, v14
	v_cmp_eq_u16_e32 vcc, 0, v11
	v_cndmask_b32_e32 v10, v10, v14, vcc
	v_cndmask_b32_e32 v11, v12, v13, vcc
	v_lshlrev_b32_e32 v12, 8, v6
	v_mov_b32_e32 v13, 0x3b800000
	v_lshlrev_b32_e32 v10, 20, v10
	v_and_b32_e32 v12, 0x80000000, v12
	v_lshl_add_u32 v11, v11, 23, v13
	v_or3_b32 v10, v12, v11, v10
.LBB47_660:
	s_or_b64 exec, exec, s[6:7]
	s_movk_i32 s4, 0xff
	v_and_b32_sdwa v11, v2, s4 dst_sel:DWORD dst_unused:UNUSED_PAD src0_sel:WORD_1 src1_sel:DWORD
	s_movk_i32 s4, 0x7f
	v_cmp_lt_i16_e32 vcc, s4, v11
	s_mov_b64 s[4:5], 0
                                        ; implicit-def: $sgpr10
	s_and_saveexec_b64 s[6:7], vcc
	s_xor_b64 s[6:7], exec, s[6:7]
	s_cbranch_execnz .LBB47_2709
; %bb.661:
	s_or_saveexec_b64 s[6:7], s[6:7]
	v_mov_b32_e32 v12, s10
	s_xor_b64 exec, exec, s[6:7]
	s_cbranch_execnz .LBB47_2712
.LBB47_662:
	s_or_b64 exec, exec, s[6:7]
	s_and_saveexec_b64 s[6:7], s[4:5]
	s_cbranch_execz .LBB47_664
.LBB47_663:
	v_bfe_u32 v11, v2, 16, 3
	v_ffbh_u32_e32 v14, v11
	v_min_u32_e32 v14, 32, v14
	v_lshrrev_b32_e32 v12, 19, v2
	v_subrev_u32_e32 v15, 28, v14
	v_and_b32_e32 v12, 15, v12
	v_lshlrev_b32_sdwa v15, v15, v2 dst_sel:DWORD dst_unused:UNUSED_PAD src0_sel:DWORD src1_sel:WORD_1
	v_bfe_u32 v13, v2, 19, 4
	v_sub_u32_e32 v14, 29, v14
	v_and_b32_e32 v15, 7, v15
	v_cmp_eq_u16_e32 vcc, 0, v12
	v_cndmask_b32_e32 v11, v11, v15, vcc
	v_cndmask_b32_e32 v12, v13, v14, vcc
	v_lshlrev_b32_e32 v13, 8, v2
	v_mov_b32_e32 v14, 0x3b800000
	v_lshlrev_b32_e32 v11, 20, v11
	v_and_b32_e32 v13, 0x80000000, v13
	v_lshl_add_u32 v12, v12, 23, v14
	v_or3_b32 v12, v13, v12, v11
.LBB47_664:
	s_or_b64 exec, exec, s[6:7]
	s_nop 0
	v_mfma_f32_16x16x4f32 a[0:3], v10, v12, a[0:3]
	s_movk_i32 s4, 0x7f
	v_cmp_gt_i16_sdwa s[6:7], v6, s4 src0_sel:BYTE_3 src1_sel:DWORD
	s_mov_b64 s[4:5], 0
                                        ; implicit-def: $sgpr10
	s_and_saveexec_b64 s[8:9], s[6:7]
	s_xor_b64 s[6:7], exec, s[8:9]
	s_cbranch_execnz .LBB47_2713
; %bb.665:
	s_or_saveexec_b64 s[6:7], s[6:7]
	v_mov_b32_e32 v10, s10
	s_xor_b64 exec, exec, s[6:7]
	s_cbranch_execnz .LBB47_2716
.LBB47_666:
	s_or_b64 exec, exec, s[6:7]
	s_and_saveexec_b64 s[6:7], s[4:5]
	s_cbranch_execz .LBB47_668
.LBB47_667:
	v_bfe_u32 v10, v6, 24, 3
	v_ffbh_u32_e32 v14, v10
	v_min_u32_e32 v14, 32, v14
	v_lshrrev_b32_e32 v12, 27, v6
	v_subrev_u32_e32 v15, 28, v14
	v_and_b32_e32 v11, 0x80000000, v6
	v_and_b32_e32 v12, 15, v12
	v_bfe_u32 v13, v6, 27, 4
	v_lshlrev_b32_sdwa v6, v15, v6 dst_sel:DWORD dst_unused:UNUSED_PAD src0_sel:DWORD src1_sel:BYTE_3
	v_sub_u32_e32 v14, 29, v14
	v_and_b32_e32 v6, 7, v6
	v_cmp_eq_u16_e32 vcc, 0, v12
	v_cndmask_b32_e32 v6, v10, v6, vcc
	v_cndmask_b32_e32 v10, v13, v14, vcc
	v_mov_b32_e32 v12, 0x3b800000
	v_lshlrev_b32_e32 v6, 20, v6
	v_lshl_add_u32 v10, v10, 23, v12
	v_or3_b32 v10, v11, v10, v6
.LBB47_668:
	s_or_b64 exec, exec, s[6:7]
	s_movk_i32 s4, 0x7f
	v_cmp_gt_i16_sdwa s[6:7], v2, s4 src0_sel:BYTE_3 src1_sel:DWORD
	s_mov_b64 s[4:5], 0
                                        ; implicit-def: $sgpr10
	s_and_saveexec_b64 s[8:9], s[6:7]
	s_xor_b64 s[6:7], exec, s[8:9]
	s_cbranch_execnz .LBB47_2717
; %bb.669:
	s_or_saveexec_b64 s[6:7], s[6:7]
	v_mov_b32_e32 v6, s10
	s_xor_b64 exec, exec, s[6:7]
	s_cbranch_execnz .LBB47_2720
.LBB47_670:
	s_or_b64 exec, exec, s[6:7]
	s_and_saveexec_b64 s[6:7], s[4:5]
	s_cbranch_execz .LBB47_672
.LBB47_671:
	v_bfe_u32 v6, v2, 24, 3
	v_ffbh_u32_e32 v14, v6
	v_min_u32_e32 v14, 32, v14
	v_lshrrev_b32_e32 v12, 27, v2
	v_subrev_u32_e32 v15, 28, v14
	v_and_b32_e32 v11, 0x80000000, v2
	v_and_b32_e32 v12, 15, v12
	v_bfe_u32 v13, v2, 27, 4
	v_lshlrev_b32_sdwa v2, v15, v2 dst_sel:DWORD dst_unused:UNUSED_PAD src0_sel:DWORD src1_sel:BYTE_3
	v_sub_u32_e32 v14, 29, v14
	v_and_b32_e32 v2, 7, v2
	v_cmp_eq_u16_e32 vcc, 0, v12
	v_cndmask_b32_e32 v2, v6, v2, vcc
	v_cndmask_b32_e32 v6, v13, v14, vcc
	v_mov_b32_e32 v12, 0x3b800000
	v_lshlrev_b32_e32 v2, 20, v2
	v_lshl_add_u32 v6, v6, 23, v12
	v_or3_b32 v6, v11, v6, v2
.LBB47_672:
	s_or_b64 exec, exec, s[6:7]
	s_nop 0
	v_mfma_f32_16x16x4f32 a[0:3], v10, v6, a[0:3]
	s_movk_i32 s4, 0x7f
	v_cmp_gt_i16_sdwa s[6:7], v7, s4 src0_sel:BYTE_0 src1_sel:DWORD
	s_mov_b64 s[4:5], 0
                                        ; implicit-def: $sgpr10
	s_and_saveexec_b64 s[8:9], s[6:7]
	s_xor_b64 s[6:7], exec, s[8:9]
	s_cbranch_execnz .LBB47_2721
; %bb.673:
	s_or_saveexec_b64 s[6:7], s[6:7]
	v_mov_b32_e32 v2, s10
	s_xor_b64 exec, exec, s[6:7]
	s_cbranch_execnz .LBB47_2724
.LBB47_674:
	s_or_b64 exec, exec, s[6:7]
	s_and_saveexec_b64 s[6:7], s[4:5]
	s_cbranch_execz .LBB47_676
.LBB47_675:
	v_and_b32_e32 v2, 7, v7
	v_ffbh_u32_e32 v10, v2
	v_min_u32_e32 v10, 32, v10
	v_lshrrev_b16_e32 v6, 3, v7
	v_subrev_u32_e32 v11, 28, v10
	v_and_b32_e32 v6, 15, v6
	v_lshlrev_b32_e32 v11, v11, v7
	v_sub_u32_e32 v10, 29, v10
	v_and_b32_e32 v11, 7, v11
	v_cmp_eq_u16_e32 vcc, 0, v6
	v_cndmask_b32_e32 v2, v2, v11, vcc
	v_cndmask_b32_e32 v6, v6, v10, vcc
	v_lshlrev_b32_e32 v10, 24, v7
	v_mov_b32_e32 v11, 0x3b800000
	v_lshlrev_b32_e32 v2, 20, v2
	v_and_b32_e32 v10, 0x80000000, v10
	v_lshl_add_u32 v6, v6, 23, v11
	v_or3_b32 v2, v10, v6, v2
.LBB47_676:
	s_or_b64 exec, exec, s[6:7]
	s_movk_i32 s4, 0x7f
	v_cmp_gt_i16_sdwa s[6:7], v3, s4 src0_sel:BYTE_0 src1_sel:DWORD
	s_mov_b64 s[4:5], 0
                                        ; implicit-def: $sgpr10
	s_and_saveexec_b64 s[8:9], s[6:7]
	s_xor_b64 s[6:7], exec, s[8:9]
	s_cbranch_execnz .LBB47_2725
; %bb.677:
	s_or_saveexec_b64 s[6:7], s[6:7]
	v_mov_b32_e32 v6, s10
	s_xor_b64 exec, exec, s[6:7]
	s_cbranch_execnz .LBB47_2728
.LBB47_678:
	s_or_b64 exec, exec, s[6:7]
	s_and_saveexec_b64 s[6:7], s[4:5]
	s_cbranch_execz .LBB47_680
.LBB47_679:
	v_and_b32_e32 v6, 7, v3
	v_ffbh_u32_e32 v11, v6
	v_min_u32_e32 v11, 32, v11
	v_lshrrev_b16_e32 v10, 3, v3
	v_subrev_u32_e32 v12, 28, v11
	v_and_b32_e32 v10, 15, v10
	v_lshlrev_b32_e32 v12, v12, v3
	v_sub_u32_e32 v11, 29, v11
	v_and_b32_e32 v12, 7, v12
	v_cmp_eq_u16_e32 vcc, 0, v10
	v_cndmask_b32_e32 v6, v6, v12, vcc
	v_cndmask_b32_e32 v10, v10, v11, vcc
	v_lshlrev_b32_e32 v11, 24, v3
	v_mov_b32_e32 v12, 0x3b800000
	v_lshlrev_b32_e32 v6, 20, v6
	v_and_b32_e32 v11, 0x80000000, v11
	v_lshl_add_u32 v10, v10, 23, v12
	v_or3_b32 v6, v11, v10, v6
.LBB47_680:
	s_or_b64 exec, exec, s[6:7]
	s_nop 0
	v_mfma_f32_16x16x4f32 a[0:3], v2, v6, a[0:3]
	v_lshrrev_b32_e32 v6, 8, v7
	s_movk_i32 s4, 0x7f
	v_cmp_gt_i16_sdwa s[6:7], v6, s4 src0_sel:BYTE_0 src1_sel:DWORD
	s_mov_b64 s[4:5], 0
                                        ; implicit-def: $sgpr10
	s_and_saveexec_b64 s[8:9], s[6:7]
	s_xor_b64 s[6:7], exec, s[8:9]
	s_cbranch_execnz .LBB47_2729
; %bb.681:
	s_or_saveexec_b64 s[6:7], s[6:7]
	v_mov_b32_e32 v2, s10
	s_xor_b64 exec, exec, s[6:7]
	s_cbranch_execnz .LBB47_2732
.LBB47_682:
	s_or_b64 exec, exec, s[6:7]
	s_and_saveexec_b64 s[6:7], s[4:5]
	s_cbranch_execz .LBB47_684
.LBB47_683:
	v_bfe_u32 v2, v7, 8, 3
	v_ffbh_u32_e32 v11, v2
	v_min_u32_e32 v11, 32, v11
	v_lshrrev_b16_e32 v10, 3, v6
	v_subrev_u32_e32 v12, 28, v11
	v_and_b32_e32 v10, 15, v10
	v_lshlrev_b32_e32 v6, v12, v6
	v_sub_u32_e32 v11, 29, v11
	v_and_b32_e32 v6, 7, v6
	v_cmp_eq_u16_e32 vcc, 0, v10
	v_cndmask_b32_e32 v2, v2, v6, vcc
	v_cndmask_b32_e32 v6, v10, v11, vcc
	v_lshlrev_b32_e32 v10, 16, v7
	v_mov_b32_e32 v11, 0x3b800000
	v_lshlrev_b32_e32 v2, 20, v2
	v_and_b32_e32 v10, 0x80000000, v10
	v_lshl_add_u32 v6, v6, 23, v11
	v_or3_b32 v2, v10, v6, v2
.LBB47_684:
	s_or_b64 exec, exec, s[6:7]
	v_lshrrev_b32_e32 v6, 8, v3
	s_movk_i32 s4, 0x7f
	v_cmp_gt_i16_sdwa s[6:7], v6, s4 src0_sel:BYTE_0 src1_sel:DWORD
	s_mov_b64 s[4:5], 0
                                        ; implicit-def: $sgpr10
	s_and_saveexec_b64 s[8:9], s[6:7]
	s_xor_b64 s[6:7], exec, s[8:9]
	s_cbranch_execnz .LBB47_2733
; %bb.685:
	s_or_saveexec_b64 s[6:7], s[6:7]
	v_mov_b32_e32 v10, s10
	s_xor_b64 exec, exec, s[6:7]
	s_cbranch_execnz .LBB47_2736
.LBB47_686:
	s_or_b64 exec, exec, s[6:7]
	s_and_saveexec_b64 s[6:7], s[4:5]
	s_cbranch_execz .LBB47_688
.LBB47_687:
	v_bfe_u32 v10, v3, 8, 3
	v_ffbh_u32_e32 v12, v10
	v_min_u32_e32 v12, 32, v12
	v_lshrrev_b16_e32 v11, 3, v6
	v_subrev_u32_e32 v13, 28, v12
	v_and_b32_e32 v11, 15, v11
	v_lshlrev_b32_e32 v6, v13, v6
	v_sub_u32_e32 v12, 29, v12
	v_and_b32_e32 v6, 7, v6
	v_cmp_eq_u16_e32 vcc, 0, v11
	v_cndmask_b32_e32 v6, v10, v6, vcc
	v_cndmask_b32_e32 v10, v11, v12, vcc
	v_lshlrev_b32_e32 v11, 16, v3
	v_mov_b32_e32 v12, 0x3b800000
	v_lshlrev_b32_e32 v6, 20, v6
	v_and_b32_e32 v11, 0x80000000, v11
	v_lshl_add_u32 v10, v10, 23, v12
	v_or3_b32 v10, v11, v10, v6
.LBB47_688:
	s_or_b64 exec, exec, s[6:7]
	s_nop 0
	v_mfma_f32_16x16x4f32 a[0:3], v2, v10, a[0:3]
	s_movk_i32 s4, 0xff
	v_and_b32_sdwa v6, v7, s4 dst_sel:DWORD dst_unused:UNUSED_PAD src0_sel:WORD_1 src1_sel:DWORD
	s_movk_i32 s4, 0x7f
	v_cmp_lt_i16_e32 vcc, s4, v6
	s_mov_b64 s[4:5], 0
                                        ; implicit-def: $sgpr10
	s_and_saveexec_b64 s[6:7], vcc
	s_xor_b64 s[6:7], exec, s[6:7]
	s_cbranch_execnz .LBB47_2737
; %bb.689:
	s_or_saveexec_b64 s[6:7], s[6:7]
	v_mov_b32_e32 v2, s10
	s_xor_b64 exec, exec, s[6:7]
	s_cbranch_execnz .LBB47_2740
.LBB47_690:
	s_or_b64 exec, exec, s[6:7]
	s_and_saveexec_b64 s[6:7], s[4:5]
	s_cbranch_execz .LBB47_692
.LBB47_691:
	v_bfe_u32 v2, v7, 16, 3
	v_ffbh_u32_e32 v11, v2
	v_min_u32_e32 v11, 32, v11
	v_lshrrev_b32_e32 v6, 19, v7
	v_subrev_u32_e32 v12, 28, v11
	v_and_b32_e32 v6, 15, v6
	v_lshlrev_b32_sdwa v12, v12, v7 dst_sel:DWORD dst_unused:UNUSED_PAD src0_sel:DWORD src1_sel:WORD_1
	v_bfe_u32 v10, v7, 19, 4
	v_sub_u32_e32 v11, 29, v11
	v_and_b32_e32 v12, 7, v12
	v_cmp_eq_u16_e32 vcc, 0, v6
	v_cndmask_b32_e32 v2, v2, v12, vcc
	v_cndmask_b32_e32 v6, v10, v11, vcc
	v_lshlrev_b32_e32 v10, 8, v7
	v_mov_b32_e32 v11, 0x3b800000
	v_lshlrev_b32_e32 v2, 20, v2
	v_and_b32_e32 v10, 0x80000000, v10
	v_lshl_add_u32 v6, v6, 23, v11
	v_or3_b32 v2, v10, v6, v2
.LBB47_692:
	s_or_b64 exec, exec, s[6:7]
	s_movk_i32 s4, 0xff
	v_and_b32_sdwa v6, v3, s4 dst_sel:DWORD dst_unused:UNUSED_PAD src0_sel:WORD_1 src1_sel:DWORD
	s_movk_i32 s4, 0x7f
	v_cmp_lt_i16_e32 vcc, s4, v6
	s_mov_b64 s[4:5], 0
                                        ; implicit-def: $sgpr10
	s_and_saveexec_b64 s[6:7], vcc
	s_xor_b64 s[6:7], exec, s[6:7]
	s_cbranch_execnz .LBB47_2741
; %bb.693:
	s_or_saveexec_b64 s[6:7], s[6:7]
	v_mov_b32_e32 v10, s10
	s_xor_b64 exec, exec, s[6:7]
	s_cbranch_execnz .LBB47_2744
.LBB47_694:
	s_or_b64 exec, exec, s[6:7]
	s_and_saveexec_b64 s[6:7], s[4:5]
	s_cbranch_execz .LBB47_696
.LBB47_695:
	v_bfe_u32 v6, v3, 16, 3
	v_ffbh_u32_e32 v12, v6
	v_min_u32_e32 v12, 32, v12
	v_lshrrev_b32_e32 v10, 19, v3
	v_subrev_u32_e32 v13, 28, v12
	v_and_b32_e32 v10, 15, v10
	v_lshlrev_b32_sdwa v13, v13, v3 dst_sel:DWORD dst_unused:UNUSED_PAD src0_sel:DWORD src1_sel:WORD_1
	v_bfe_u32 v11, v3, 19, 4
	v_sub_u32_e32 v12, 29, v12
	v_and_b32_e32 v13, 7, v13
	v_cmp_eq_u16_e32 vcc, 0, v10
	v_cndmask_b32_e32 v6, v6, v13, vcc
	v_cndmask_b32_e32 v10, v11, v12, vcc
	v_lshlrev_b32_e32 v11, 8, v3
	v_mov_b32_e32 v12, 0x3b800000
	v_lshlrev_b32_e32 v6, 20, v6
	v_and_b32_e32 v11, 0x80000000, v11
	v_lshl_add_u32 v10, v10, 23, v12
	v_or3_b32 v10, v11, v10, v6
.LBB47_696:
	s_or_b64 exec, exec, s[6:7]
	s_nop 0
	v_mfma_f32_16x16x4f32 a[0:3], v2, v10, a[0:3]
	s_movk_i32 s4, 0x7f
	v_cmp_gt_i16_sdwa s[6:7], v7, s4 src0_sel:BYTE_3 src1_sel:DWORD
	s_mov_b64 s[4:5], 0
                                        ; implicit-def: $sgpr10
	s_and_saveexec_b64 s[8:9], s[6:7]
	s_xor_b64 s[6:7], exec, s[8:9]
	s_cbranch_execnz .LBB47_2745
; %bb.697:
	s_or_saveexec_b64 s[6:7], s[6:7]
	v_mov_b32_e32 v2, s10
	s_xor_b64 exec, exec, s[6:7]
	s_cbranch_execnz .LBB47_2748
.LBB47_698:
	s_or_b64 exec, exec, s[6:7]
	s_and_saveexec_b64 s[6:7], s[4:5]
	s_cbranch_execz .LBB47_700
.LBB47_699:
	v_bfe_u32 v2, v7, 24, 3
	v_ffbh_u32_e32 v12, v2
	v_min_u32_e32 v12, 32, v12
	v_lshrrev_b32_e32 v10, 27, v7
	v_subrev_u32_e32 v13, 28, v12
	v_and_b32_e32 v6, 0x80000000, v7
	v_and_b32_e32 v10, 15, v10
	v_bfe_u32 v11, v7, 27, 4
	v_lshlrev_b32_sdwa v7, v13, v7 dst_sel:DWORD dst_unused:UNUSED_PAD src0_sel:DWORD src1_sel:BYTE_3
	v_sub_u32_e32 v12, 29, v12
	v_and_b32_e32 v7, 7, v7
	v_cmp_eq_u16_e32 vcc, 0, v10
	v_cndmask_b32_e32 v2, v2, v7, vcc
	v_cndmask_b32_e32 v7, v11, v12, vcc
	v_mov_b32_e32 v10, 0x3b800000
	v_lshlrev_b32_e32 v2, 20, v2
	v_lshl_add_u32 v7, v7, 23, v10
	v_or3_b32 v2, v6, v7, v2
.LBB47_700:
	s_or_b64 exec, exec, s[6:7]
	s_movk_i32 s4, 0x7f
	v_cmp_gt_i16_sdwa s[6:7], v3, s4 src0_sel:BYTE_3 src1_sel:DWORD
	s_mov_b64 s[4:5], 0
                                        ; implicit-def: $sgpr10
	s_and_saveexec_b64 s[8:9], s[6:7]
	s_xor_b64 s[6:7], exec, s[8:9]
	s_cbranch_execnz .LBB47_2749
; %bb.701:
	s_or_saveexec_b64 s[6:7], s[6:7]
	v_mov_b32_e32 v6, s10
	s_xor_b64 exec, exec, s[6:7]
	s_cbranch_execnz .LBB47_2752
.LBB47_702:
	s_or_b64 exec, exec, s[6:7]
	s_and_saveexec_b64 s[6:7], s[4:5]
	s_cbranch_execz .LBB47_704
.LBB47_703:
	v_bfe_u32 v6, v3, 24, 3
	v_ffbh_u32_e32 v12, v6
	v_min_u32_e32 v12, 32, v12
	v_lshrrev_b32_e32 v10, 27, v3
	v_subrev_u32_e32 v13, 28, v12
	v_and_b32_e32 v7, 0x80000000, v3
	v_and_b32_e32 v10, 15, v10
	v_bfe_u32 v11, v3, 27, 4
	v_lshlrev_b32_sdwa v3, v13, v3 dst_sel:DWORD dst_unused:UNUSED_PAD src0_sel:DWORD src1_sel:BYTE_3
	v_sub_u32_e32 v12, 29, v12
	v_and_b32_e32 v3, 7, v3
	v_cmp_eq_u16_e32 vcc, 0, v10
	v_cndmask_b32_e32 v3, v6, v3, vcc
	v_cndmask_b32_e32 v6, v11, v12, vcc
	v_mov_b32_e32 v10, 0x3b800000
	v_lshlrev_b32_e32 v3, 20, v3
	v_lshl_add_u32 v6, v6, 23, v10
	v_or3_b32 v6, v7, v6, v3
.LBB47_704:
	s_or_b64 exec, exec, s[6:7]
	s_nop 0
	v_mfma_f32_16x16x4f32 a[0:3], v2, v6, a[0:3]
	s_movk_i32 s4, 0x7f
	v_cmp_gt_i16_sdwa s[6:7], v8, s4 src0_sel:BYTE_0 src1_sel:DWORD
	s_mov_b64 s[4:5], 0
                                        ; implicit-def: $sgpr10
	s_and_saveexec_b64 s[8:9], s[6:7]
	s_xor_b64 s[6:7], exec, s[8:9]
	s_cbranch_execnz .LBB47_2753
; %bb.705:
	s_or_saveexec_b64 s[6:7], s[6:7]
	v_mov_b32_e32 v2, s10
	s_xor_b64 exec, exec, s[6:7]
	s_cbranch_execnz .LBB47_2756
.LBB47_706:
	s_or_b64 exec, exec, s[6:7]
	s_and_saveexec_b64 s[6:7], s[4:5]
	s_cbranch_execz .LBB47_708
.LBB47_707:
	v_and_b32_e32 v2, 7, v8
	v_ffbh_u32_e32 v6, v2
	v_min_u32_e32 v6, 32, v6
	v_lshrrev_b16_e32 v3, 3, v8
	v_subrev_u32_e32 v7, 28, v6
	v_and_b32_e32 v3, 15, v3
	v_lshlrev_b32_e32 v7, v7, v8
	v_sub_u32_e32 v6, 29, v6
	v_and_b32_e32 v7, 7, v7
	v_cmp_eq_u16_e32 vcc, 0, v3
	v_cndmask_b32_e32 v2, v2, v7, vcc
	v_cndmask_b32_e32 v3, v3, v6, vcc
	v_lshlrev_b32_e32 v6, 24, v8
	v_mov_b32_e32 v7, 0x3b800000
	v_lshlrev_b32_e32 v2, 20, v2
	v_and_b32_e32 v6, 0x80000000, v6
	v_lshl_add_u32 v3, v3, 23, v7
	v_or3_b32 v2, v6, v3, v2
.LBB47_708:
	s_or_b64 exec, exec, s[6:7]
	s_movk_i32 s4, 0x7f
	v_cmp_gt_i16_sdwa s[6:7], v4, s4 src0_sel:BYTE_0 src1_sel:DWORD
	s_mov_b64 s[4:5], 0
                                        ; implicit-def: $sgpr10
	s_and_saveexec_b64 s[8:9], s[6:7]
	s_xor_b64 s[6:7], exec, s[8:9]
	s_cbranch_execnz .LBB47_2757
; %bb.709:
	s_or_saveexec_b64 s[6:7], s[6:7]
	v_mov_b32_e32 v3, s10
	s_xor_b64 exec, exec, s[6:7]
	s_cbranch_execnz .LBB47_2760
.LBB47_710:
	s_or_b64 exec, exec, s[6:7]
	s_and_saveexec_b64 s[6:7], s[4:5]
	s_cbranch_execz .LBB47_712
.LBB47_711:
	v_and_b32_e32 v3, 7, v4
	v_ffbh_u32_e32 v7, v3
	v_min_u32_e32 v7, 32, v7
	v_lshrrev_b16_e32 v6, 3, v4
	v_subrev_u32_e32 v10, 28, v7
	v_and_b32_e32 v6, 15, v6
	v_lshlrev_b32_e32 v10, v10, v4
	v_sub_u32_e32 v7, 29, v7
	v_and_b32_e32 v10, 7, v10
	v_cmp_eq_u16_e32 vcc, 0, v6
	v_cndmask_b32_e32 v3, v3, v10, vcc
	v_cndmask_b32_e32 v6, v6, v7, vcc
	v_lshlrev_b32_e32 v7, 24, v4
	v_mov_b32_e32 v10, 0x3b800000
	v_lshlrev_b32_e32 v3, 20, v3
	v_and_b32_e32 v7, 0x80000000, v7
	v_lshl_add_u32 v6, v6, 23, v10
	v_or3_b32 v3, v7, v6, v3
.LBB47_712:
	s_or_b64 exec, exec, s[6:7]
	s_nop 0
	v_mfma_f32_16x16x4f32 a[0:3], v2, v3, a[0:3]
	v_lshrrev_b32_e32 v3, 8, v8
	s_movk_i32 s4, 0x7f
	v_cmp_gt_i16_sdwa s[6:7], v3, s4 src0_sel:BYTE_0 src1_sel:DWORD
	s_mov_b64 s[4:5], 0
                                        ; implicit-def: $sgpr10
	s_and_saveexec_b64 s[8:9], s[6:7]
	s_xor_b64 s[6:7], exec, s[8:9]
	s_cbranch_execnz .LBB47_2761
; %bb.713:
	s_or_saveexec_b64 s[6:7], s[6:7]
	v_mov_b32_e32 v2, s10
	s_xor_b64 exec, exec, s[6:7]
	s_cbranch_execnz .LBB47_2764
.LBB47_714:
	s_or_b64 exec, exec, s[6:7]
	s_and_saveexec_b64 s[6:7], s[4:5]
	s_cbranch_execz .LBB47_716
.LBB47_715:
	v_bfe_u32 v2, v8, 8, 3
	v_ffbh_u32_e32 v7, v2
	v_min_u32_e32 v7, 32, v7
	v_lshrrev_b16_e32 v6, 3, v3
	v_subrev_u32_e32 v10, 28, v7
	v_and_b32_e32 v6, 15, v6
	v_lshlrev_b32_e32 v3, v10, v3
	v_sub_u32_e32 v7, 29, v7
	v_and_b32_e32 v3, 7, v3
	v_cmp_eq_u16_e32 vcc, 0, v6
	v_cndmask_b32_e32 v2, v2, v3, vcc
	v_cndmask_b32_e32 v3, v6, v7, vcc
	v_lshlrev_b32_e32 v6, 16, v8
	v_mov_b32_e32 v7, 0x3b800000
	v_lshlrev_b32_e32 v2, 20, v2
	v_and_b32_e32 v6, 0x80000000, v6
	v_lshl_add_u32 v3, v3, 23, v7
	v_or3_b32 v2, v6, v3, v2
.LBB47_716:
	s_or_b64 exec, exec, s[6:7]
	v_lshrrev_b32_e32 v3, 8, v4
	s_movk_i32 s4, 0x7f
	v_cmp_gt_i16_sdwa s[6:7], v3, s4 src0_sel:BYTE_0 src1_sel:DWORD
	s_mov_b64 s[4:5], 0
                                        ; implicit-def: $sgpr10
	s_and_saveexec_b64 s[8:9], s[6:7]
	s_xor_b64 s[6:7], exec, s[8:9]
	s_cbranch_execnz .LBB47_2765
; %bb.717:
	s_or_saveexec_b64 s[6:7], s[6:7]
	v_mov_b32_e32 v6, s10
	s_xor_b64 exec, exec, s[6:7]
	s_cbranch_execnz .LBB47_2768
.LBB47_718:
	s_or_b64 exec, exec, s[6:7]
	s_and_saveexec_b64 s[6:7], s[4:5]
	s_cbranch_execz .LBB47_720
.LBB47_719:
	v_bfe_u32 v6, v4, 8, 3
	v_ffbh_u32_e32 v10, v6
	v_min_u32_e32 v10, 32, v10
	v_lshrrev_b16_e32 v7, 3, v3
	v_subrev_u32_e32 v11, 28, v10
	v_and_b32_e32 v7, 15, v7
	v_lshlrev_b32_e32 v3, v11, v3
	v_sub_u32_e32 v10, 29, v10
	v_and_b32_e32 v3, 7, v3
	v_cmp_eq_u16_e32 vcc, 0, v7
	v_cndmask_b32_e32 v3, v6, v3, vcc
	v_cndmask_b32_e32 v6, v7, v10, vcc
	v_lshlrev_b32_e32 v7, 16, v4
	v_mov_b32_e32 v10, 0x3b800000
	v_lshlrev_b32_e32 v3, 20, v3
	v_and_b32_e32 v7, 0x80000000, v7
	v_lshl_add_u32 v6, v6, 23, v10
	v_or3_b32 v6, v7, v6, v3
.LBB47_720:
	s_or_b64 exec, exec, s[6:7]
	s_nop 0
	v_mfma_f32_16x16x4f32 a[0:3], v2, v6, a[0:3]
	s_movk_i32 s4, 0xff
	v_and_b32_sdwa v3, v8, s4 dst_sel:DWORD dst_unused:UNUSED_PAD src0_sel:WORD_1 src1_sel:DWORD
	s_movk_i32 s4, 0x7f
	v_cmp_lt_i16_e32 vcc, s4, v3
	s_mov_b64 s[4:5], 0
                                        ; implicit-def: $sgpr10
	s_and_saveexec_b64 s[6:7], vcc
	s_xor_b64 s[6:7], exec, s[6:7]
	s_cbranch_execnz .LBB47_2769
; %bb.721:
	s_or_saveexec_b64 s[6:7], s[6:7]
	v_mov_b32_e32 v2, s10
	s_xor_b64 exec, exec, s[6:7]
	s_cbranch_execnz .LBB47_2772
.LBB47_722:
	s_or_b64 exec, exec, s[6:7]
	s_and_saveexec_b64 s[6:7], s[4:5]
	s_cbranch_execz .LBB47_724
.LBB47_723:
	v_bfe_u32 v2, v8, 16, 3
	v_ffbh_u32_e32 v7, v2
	v_min_u32_e32 v7, 32, v7
	v_lshrrev_b32_e32 v3, 19, v8
	v_subrev_u32_e32 v10, 28, v7
	v_and_b32_e32 v3, 15, v3
	v_lshlrev_b32_sdwa v10, v10, v8 dst_sel:DWORD dst_unused:UNUSED_PAD src0_sel:DWORD src1_sel:WORD_1
	v_bfe_u32 v6, v8, 19, 4
	v_sub_u32_e32 v7, 29, v7
	v_and_b32_e32 v10, 7, v10
	v_cmp_eq_u16_e32 vcc, 0, v3
	v_cndmask_b32_e32 v2, v2, v10, vcc
	v_cndmask_b32_e32 v3, v6, v7, vcc
	v_lshlrev_b32_e32 v6, 8, v8
	v_mov_b32_e32 v7, 0x3b800000
	v_lshlrev_b32_e32 v2, 20, v2
	v_and_b32_e32 v6, 0x80000000, v6
	v_lshl_add_u32 v3, v3, 23, v7
	v_or3_b32 v2, v6, v3, v2
.LBB47_724:
	s_or_b64 exec, exec, s[6:7]
	s_movk_i32 s4, 0xff
	v_and_b32_sdwa v3, v4, s4 dst_sel:DWORD dst_unused:UNUSED_PAD src0_sel:WORD_1 src1_sel:DWORD
	s_movk_i32 s4, 0x7f
	v_cmp_lt_i16_e32 vcc, s4, v3
	s_mov_b64 s[4:5], 0
                                        ; implicit-def: $sgpr10
	s_and_saveexec_b64 s[6:7], vcc
	s_xor_b64 s[6:7], exec, s[6:7]
	s_cbranch_execnz .LBB47_2773
; %bb.725:
	s_or_saveexec_b64 s[6:7], s[6:7]
	v_mov_b32_e32 v6, s10
	s_xor_b64 exec, exec, s[6:7]
	s_cbranch_execnz .LBB47_2776
.LBB47_726:
	s_or_b64 exec, exec, s[6:7]
	s_and_saveexec_b64 s[6:7], s[4:5]
	s_cbranch_execz .LBB47_728
.LBB47_727:
	v_bfe_u32 v3, v4, 16, 3
	v_ffbh_u32_e32 v10, v3
	v_min_u32_e32 v10, 32, v10
	v_lshrrev_b32_e32 v6, 19, v4
	v_subrev_u32_e32 v11, 28, v10
	v_and_b32_e32 v6, 15, v6
	v_lshlrev_b32_sdwa v11, v11, v4 dst_sel:DWORD dst_unused:UNUSED_PAD src0_sel:DWORD src1_sel:WORD_1
	v_bfe_u32 v7, v4, 19, 4
	v_sub_u32_e32 v10, 29, v10
	v_and_b32_e32 v11, 7, v11
	v_cmp_eq_u16_e32 vcc, 0, v6
	v_cndmask_b32_e32 v3, v3, v11, vcc
	v_cndmask_b32_e32 v6, v7, v10, vcc
	v_lshlrev_b32_e32 v7, 8, v4
	v_mov_b32_e32 v10, 0x3b800000
	v_lshlrev_b32_e32 v3, 20, v3
	v_and_b32_e32 v7, 0x80000000, v7
	v_lshl_add_u32 v6, v6, 23, v10
	v_or3_b32 v6, v7, v6, v3
.LBB47_728:
	s_or_b64 exec, exec, s[6:7]
	s_nop 0
	v_mfma_f32_16x16x4f32 a[0:3], v2, v6, a[0:3]
	s_movk_i32 s4, 0x7f
	v_cmp_gt_i16_sdwa s[6:7], v8, s4 src0_sel:BYTE_3 src1_sel:DWORD
	s_mov_b64 s[4:5], 0
                                        ; implicit-def: $sgpr10
	s_and_saveexec_b64 s[8:9], s[6:7]
	s_xor_b64 s[6:7], exec, s[8:9]
	s_cbranch_execnz .LBB47_2777
; %bb.729:
	s_or_saveexec_b64 s[6:7], s[6:7]
	v_mov_b32_e32 v2, s10
	s_xor_b64 exec, exec, s[6:7]
	s_cbranch_execnz .LBB47_2780
.LBB47_730:
	s_or_b64 exec, exec, s[6:7]
	s_and_saveexec_b64 s[6:7], s[4:5]
	s_cbranch_execz .LBB47_732
.LBB47_731:
	v_bfe_u32 v2, v8, 24, 3
	v_ffbh_u32_e32 v10, v2
	v_min_u32_e32 v10, 32, v10
	v_lshrrev_b32_e32 v6, 27, v8
	v_subrev_u32_e32 v11, 28, v10
	v_and_b32_e32 v3, 0x80000000, v8
	v_and_b32_e32 v6, 15, v6
	v_bfe_u32 v7, v8, 27, 4
	v_lshlrev_b32_sdwa v8, v11, v8 dst_sel:DWORD dst_unused:UNUSED_PAD src0_sel:DWORD src1_sel:BYTE_3
	v_sub_u32_e32 v10, 29, v10
	v_and_b32_e32 v8, 7, v8
	v_cmp_eq_u16_e32 vcc, 0, v6
	v_cndmask_b32_e32 v2, v2, v8, vcc
	v_cndmask_b32_e32 v6, v7, v10, vcc
	v_mov_b32_e32 v7, 0x3b800000
	v_lshlrev_b32_e32 v2, 20, v2
	v_lshl_add_u32 v6, v6, 23, v7
	v_or3_b32 v2, v3, v6, v2
.LBB47_732:
	s_or_b64 exec, exec, s[6:7]
	s_movk_i32 s4, 0x7f
	v_cmp_gt_i16_sdwa s[6:7], v4, s4 src0_sel:BYTE_3 src1_sel:DWORD
	s_mov_b64 s[4:5], 0
                                        ; implicit-def: $sgpr10
	s_and_saveexec_b64 s[8:9], s[6:7]
	s_xor_b64 s[6:7], exec, s[8:9]
	s_cbranch_execnz .LBB47_2781
; %bb.733:
	s_or_saveexec_b64 s[6:7], s[6:7]
	v_mov_b32_e32 v3, s10
	s_xor_b64 exec, exec, s[6:7]
	s_cbranch_execnz .LBB47_2784
.LBB47_734:
	s_or_b64 exec, exec, s[6:7]
	s_and_saveexec_b64 s[6:7], s[4:5]
	s_cbranch_execz .LBB47_736
.LBB47_735:
	v_bfe_u32 v3, v4, 24, 3
	v_ffbh_u32_e32 v10, v3
	v_min_u32_e32 v10, 32, v10
	v_lshrrev_b32_e32 v7, 27, v4
	v_subrev_u32_e32 v11, 28, v10
	v_and_b32_e32 v6, 0x80000000, v4
	v_and_b32_e32 v7, 15, v7
	v_bfe_u32 v8, v4, 27, 4
	v_lshlrev_b32_sdwa v4, v11, v4 dst_sel:DWORD dst_unused:UNUSED_PAD src0_sel:DWORD src1_sel:BYTE_3
	v_sub_u32_e32 v10, 29, v10
	v_and_b32_e32 v4, 7, v4
	v_cmp_eq_u16_e32 vcc, 0, v7
	v_cndmask_b32_e32 v3, v3, v4, vcc
	v_cndmask_b32_e32 v4, v8, v10, vcc
	v_mov_b32_e32 v7, 0x3b800000
	v_lshlrev_b32_e32 v3, 20, v3
	v_lshl_add_u32 v4, v4, 23, v7
	v_or3_b32 v3, v6, v4, v3
.LBB47_736:
	s_or_b64 exec, exec, s[6:7]
	s_nop 0
	v_mfma_f32_16x16x4f32 a[0:3], v2, v3, a[0:3]
	s_movk_i32 s4, 0x7f
	v_cmp_gt_i16_sdwa s[6:7], v9, s4 src0_sel:BYTE_0 src1_sel:DWORD
	s_mov_b64 s[4:5], 0
                                        ; implicit-def: $sgpr10
	s_and_saveexec_b64 s[8:9], s[6:7]
	s_xor_b64 s[6:7], exec, s[8:9]
	s_cbranch_execnz .LBB47_2785
; %bb.737:
	s_or_saveexec_b64 s[6:7], s[6:7]
	v_mov_b32_e32 v2, s10
	s_xor_b64 exec, exec, s[6:7]
	s_cbranch_execnz .LBB47_2788
.LBB47_738:
	s_or_b64 exec, exec, s[6:7]
	s_and_saveexec_b64 s[6:7], s[4:5]
	s_cbranch_execz .LBB47_740
.LBB47_739:
	v_mov_b32_e32 v2, 8
	v_and_b32_e32 v3, 7, v9
	v_lshrrev_b32_sdwa v2, v2, v9 dst_sel:BYTE_1 dst_unused:UNUSED_PAD src0_sel:DWORD src1_sel:DWORD
	v_ffbh_u32_e32 v4, v3
	v_or_b32_sdwa v2, v9, v2 dst_sel:DWORD dst_unused:UNUSED_PAD src0_sel:BYTE_0 src1_sel:DWORD
	v_min_u32_e32 v4, 32, v4
	v_lshrrev_b16_e32 v2, 3, v2
	v_subrev_u32_e32 v6, 28, v4
	v_and_b32_e32 v2, 15, v2
	v_lshlrev_b32_e32 v6, v6, v9
	v_sub_u32_e32 v4, 29, v4
	v_and_b32_e32 v6, 7, v6
	v_cmp_eq_u16_e32 vcc, 0, v2
	v_cndmask_b32_e32 v3, v3, v6, vcc
	v_cndmask_b32_e32 v2, v2, v4, vcc
	v_lshlrev_b32_e32 v4, 24, v9
	v_mov_b32_e32 v6, 0x3b800000
	v_lshlrev_b32_e32 v3, 20, v3
	v_and_b32_e32 v4, 0x80000000, v4
	v_lshl_add_u32 v2, v2, 23, v6
	v_or3_b32 v2, v4, v2, v3
.LBB47_740:
	s_or_b64 exec, exec, s[6:7]
	s_movk_i32 s4, 0x7f
	v_cmp_gt_i16_sdwa s[6:7], v5, s4 src0_sel:BYTE_0 src1_sel:DWORD
	s_mov_b64 s[4:5], 0
                                        ; implicit-def: $sgpr10
	s_and_saveexec_b64 s[8:9], s[6:7]
	s_xor_b64 s[6:7], exec, s[8:9]
	s_cbranch_execnz .LBB47_2789
; %bb.741:
	s_or_saveexec_b64 s[6:7], s[6:7]
	v_mov_b32_e32 v3, s10
	s_xor_b64 exec, exec, s[6:7]
	s_cbranch_execnz .LBB47_2792
.LBB47_742:
	s_or_b64 exec, exec, s[6:7]
	s_and_saveexec_b64 s[6:7], s[4:5]
	s_cbranch_execz .LBB47_744
.LBB47_743:
	v_mov_b32_e32 v3, 8
	v_and_b32_e32 v4, 7, v5
	v_lshrrev_b32_sdwa v3, v3, v5 dst_sel:BYTE_1 dst_unused:UNUSED_PAD src0_sel:DWORD src1_sel:DWORD
	v_ffbh_u32_e32 v6, v4
	v_or_b32_sdwa v3, v5, v3 dst_sel:DWORD dst_unused:UNUSED_PAD src0_sel:BYTE_0 src1_sel:DWORD
	v_min_u32_e32 v6, 32, v6
	v_lshrrev_b16_e32 v3, 3, v3
	v_subrev_u32_e32 v7, 28, v6
	v_and_b32_e32 v3, 15, v3
	v_lshlrev_b32_e32 v7, v7, v5
	v_sub_u32_e32 v6, 29, v6
	v_and_b32_e32 v7, 7, v7
	v_cmp_eq_u16_e32 vcc, 0, v3
	v_cndmask_b32_e32 v4, v4, v7, vcc
	v_cndmask_b32_e32 v3, v3, v6, vcc
	v_lshlrev_b32_e32 v6, 24, v5
	v_mov_b32_e32 v7, 0x3b800000
	v_lshlrev_b32_e32 v4, 20, v4
	v_and_b32_e32 v6, 0x80000000, v6
	v_lshl_add_u32 v3, v3, 23, v7
	v_or3_b32 v3, v6, v3, v4
.LBB47_744:
	s_or_b64 exec, exec, s[6:7]
	s_nop 0
	v_mfma_f32_16x16x4f32 a[0:3], v2, v3, a[0:3]
	v_lshrrev_b32_e32 v3, 8, v9
	s_movk_i32 s4, 0x7f
	v_cmp_gt_i16_sdwa s[6:7], v3, s4 src0_sel:BYTE_0 src1_sel:DWORD
	s_mov_b64 s[4:5], 0
                                        ; implicit-def: $sgpr10
	s_and_saveexec_b64 s[8:9], s[6:7]
	s_xor_b64 s[6:7], exec, s[8:9]
	s_cbranch_execnz .LBB47_2793
; %bb.745:
	s_or_saveexec_b64 s[6:7], s[6:7]
	v_mov_b32_e32 v2, s10
	s_xor_b64 exec, exec, s[6:7]
	s_cbranch_execnz .LBB47_2796
.LBB47_746:
	s_or_b64 exec, exec, s[6:7]
	s_and_saveexec_b64 s[6:7], s[4:5]
	s_cbranch_execz .LBB47_748
.LBB47_747:
	v_bfe_u32 v2, v9, 8, 3
	v_ffbh_u32_e32 v6, v2
	v_min_u32_e32 v6, 32, v6
	v_lshrrev_b16_e32 v4, 3, v3
	v_subrev_u32_e32 v7, 28, v6
	v_and_b32_e32 v4, 15, v4
	v_lshlrev_b32_e32 v3, v7, v3
	v_sub_u32_e32 v6, 29, v6
	v_and_b32_e32 v3, 7, v3
	v_cmp_eq_u16_e32 vcc, 0, v4
	v_cndmask_b32_e32 v2, v2, v3, vcc
	v_cndmask_b32_e32 v3, v4, v6, vcc
	v_lshlrev_b32_e32 v4, 16, v9
	v_mov_b32_e32 v6, 0x3b800000
	v_lshlrev_b32_e32 v2, 20, v2
	v_and_b32_e32 v4, 0x80000000, v4
	v_lshl_add_u32 v3, v3, 23, v6
	v_or3_b32 v2, v4, v3, v2
.LBB47_748:
	s_or_b64 exec, exec, s[6:7]
	v_lshrrev_b32_e32 v3, 8, v5
	s_movk_i32 s4, 0x7f
	v_cmp_gt_i16_sdwa s[6:7], v3, s4 src0_sel:BYTE_0 src1_sel:DWORD
	s_mov_b64 s[4:5], 0
                                        ; implicit-def: $sgpr10
	s_and_saveexec_b64 s[8:9], s[6:7]
	s_xor_b64 s[6:7], exec, s[8:9]
	s_cbranch_execnz .LBB47_2797
; %bb.749:
	s_or_saveexec_b64 s[6:7], s[6:7]
	v_mov_b32_e32 v4, s10
	s_xor_b64 exec, exec, s[6:7]
	s_cbranch_execnz .LBB47_2800
.LBB47_750:
	s_or_b64 exec, exec, s[6:7]
	s_and_saveexec_b64 s[6:7], s[4:5]
	s_cbranch_execz .LBB47_752
.LBB47_751:
	v_bfe_u32 v4, v5, 8, 3
	v_ffbh_u32_e32 v7, v4
	v_min_u32_e32 v7, 32, v7
	v_lshrrev_b16_e32 v6, 3, v3
	v_subrev_u32_e32 v8, 28, v7
	v_and_b32_e32 v6, 15, v6
	v_lshlrev_b32_e32 v3, v8, v3
	v_sub_u32_e32 v7, 29, v7
	v_and_b32_e32 v3, 7, v3
	v_cmp_eq_u16_e32 vcc, 0, v6
	v_cndmask_b32_e32 v3, v4, v3, vcc
	v_cndmask_b32_e32 v4, v6, v7, vcc
	v_lshlrev_b32_e32 v6, 16, v5
	v_mov_b32_e32 v7, 0x3b800000
	v_lshlrev_b32_e32 v3, 20, v3
	v_and_b32_e32 v6, 0x80000000, v6
	v_lshl_add_u32 v4, v4, 23, v7
	v_or3_b32 v4, v6, v4, v3
.LBB47_752:
	s_or_b64 exec, exec, s[6:7]
	s_nop 0
	v_mfma_f32_16x16x4f32 a[0:3], v2, v4, a[0:3]
	s_movk_i32 s4, 0xff
	v_and_b32_sdwa v3, v9, s4 dst_sel:DWORD dst_unused:UNUSED_PAD src0_sel:WORD_1 src1_sel:DWORD
	s_movk_i32 s4, 0x7f
	v_cmp_lt_i16_e32 vcc, s4, v3
	s_mov_b64 s[4:5], 0
                                        ; implicit-def: $sgpr10
	s_and_saveexec_b64 s[6:7], vcc
	s_xor_b64 s[6:7], exec, s[6:7]
	s_cbranch_execnz .LBB47_2801
; %bb.753:
	s_or_saveexec_b64 s[6:7], s[6:7]
	v_mov_b32_e32 v2, s10
	s_xor_b64 exec, exec, s[6:7]
	s_cbranch_execnz .LBB47_2804
.LBB47_754:
	s_or_b64 exec, exec, s[6:7]
	s_and_saveexec_b64 s[6:7], s[4:5]
	s_cbranch_execz .LBB47_756
.LBB47_755:
	v_bfe_u32 v2, v9, 16, 3
	v_ffbh_u32_e32 v6, v2
	v_min_u32_e32 v6, 32, v6
	v_lshrrev_b32_e32 v3, 19, v9
	v_subrev_u32_e32 v7, 28, v6
	v_and_b32_e32 v3, 15, v3
	v_lshlrev_b32_sdwa v7, v7, v9 dst_sel:DWORD dst_unused:UNUSED_PAD src0_sel:DWORD src1_sel:WORD_1
	v_bfe_u32 v4, v9, 19, 4
	v_sub_u32_e32 v6, 29, v6
	v_and_b32_e32 v7, 7, v7
	v_cmp_eq_u16_e32 vcc, 0, v3
	v_cndmask_b32_e32 v2, v2, v7, vcc
	v_cndmask_b32_e32 v3, v4, v6, vcc
	v_lshlrev_b32_e32 v4, 8, v9
	v_mov_b32_e32 v6, 0x3b800000
	v_lshlrev_b32_e32 v2, 20, v2
	v_and_b32_e32 v4, 0x80000000, v4
	v_lshl_add_u32 v3, v3, 23, v6
	v_or3_b32 v2, v4, v3, v2
.LBB47_756:
	s_or_b64 exec, exec, s[6:7]
	s_movk_i32 s4, 0xff
	v_and_b32_sdwa v3, v5, s4 dst_sel:DWORD dst_unused:UNUSED_PAD src0_sel:WORD_1 src1_sel:DWORD
	s_movk_i32 s4, 0x7f
	v_cmp_lt_i16_e32 vcc, s4, v3
	s_mov_b64 s[4:5], 0
                                        ; implicit-def: $sgpr10
	s_and_saveexec_b64 s[6:7], vcc
	s_xor_b64 s[6:7], exec, s[6:7]
	s_cbranch_execnz .LBB47_2805
; %bb.757:
	s_or_saveexec_b64 s[6:7], s[6:7]
	v_mov_b32_e32 v4, s10
	s_xor_b64 exec, exec, s[6:7]
	s_cbranch_execnz .LBB47_2808
.LBB47_758:
	s_or_b64 exec, exec, s[6:7]
	s_and_saveexec_b64 s[6:7], s[4:5]
	s_cbranch_execz .LBB47_760
.LBB47_759:
	v_bfe_u32 v3, v5, 16, 3
	v_ffbh_u32_e32 v7, v3
	v_min_u32_e32 v7, 32, v7
	v_lshrrev_b32_e32 v4, 19, v5
	v_subrev_u32_e32 v8, 28, v7
	v_and_b32_e32 v4, 15, v4
	v_lshlrev_b32_sdwa v8, v8, v5 dst_sel:DWORD dst_unused:UNUSED_PAD src0_sel:DWORD src1_sel:WORD_1
	v_bfe_u32 v6, v5, 19, 4
	v_sub_u32_e32 v7, 29, v7
	v_and_b32_e32 v8, 7, v8
	v_cmp_eq_u16_e32 vcc, 0, v4
	v_cndmask_b32_e32 v3, v3, v8, vcc
	v_cndmask_b32_e32 v4, v6, v7, vcc
	v_lshlrev_b32_e32 v6, 8, v5
	v_mov_b32_e32 v7, 0x3b800000
	v_lshlrev_b32_e32 v3, 20, v3
	v_and_b32_e32 v6, 0x80000000, v6
	v_lshl_add_u32 v4, v4, 23, v7
	v_or3_b32 v4, v6, v4, v3
.LBB47_760:
	s_or_b64 exec, exec, s[6:7]
	s_nop 0
	v_mfma_f32_16x16x4f32 a[0:3], v2, v4, a[0:3]
	s_movk_i32 s4, 0x7f
	v_cmp_gt_i16_sdwa s[6:7], v9, s4 src0_sel:BYTE_3 src1_sel:DWORD
	s_mov_b64 s[4:5], 0
                                        ; implicit-def: $sgpr10
	s_and_saveexec_b64 s[8:9], s[6:7]
	s_xor_b64 s[6:7], exec, s[8:9]
	s_cbranch_execnz .LBB47_2809
; %bb.761:
	s_or_saveexec_b64 s[6:7], s[6:7]
	v_mov_b32_e32 v2, s10
	s_xor_b64 exec, exec, s[6:7]
	s_cbranch_execnz .LBB47_2812
.LBB47_762:
	s_or_b64 exec, exec, s[6:7]
	s_and_saveexec_b64 s[6:7], s[4:5]
	s_cbranch_execz .LBB47_764
.LBB47_763:
	v_bfe_u32 v2, v9, 24, 3
	v_ffbh_u32_e32 v7, v2
	v_min_u32_e32 v7, 32, v7
	v_lshrrev_b32_e32 v4, 27, v9
	v_subrev_u32_e32 v8, 28, v7
	v_and_b32_e32 v4, 15, v4
	v_lshlrev_b32_sdwa v8, v8, v9 dst_sel:DWORD dst_unused:UNUSED_PAD src0_sel:DWORD src1_sel:BYTE_3
	v_bfe_u32 v6, v9, 27, 4
	v_sub_u32_e32 v7, 29, v7
	v_and_b32_e32 v8, 7, v8
	v_cmp_eq_u16_e32 vcc, 0, v4
	v_cndmask_b32_e32 v2, v2, v8, vcc
	v_cndmask_b32_e32 v4, v6, v7, vcc
	v_mov_b32_e32 v6, 0x3b800000
	v_and_b32_e32 v3, 0x80000000, v9
	v_lshlrev_b32_e32 v2, 20, v2
	v_lshl_add_u32 v4, v4, 23, v6
	v_or3_b32 v2, v3, v4, v2
.LBB47_764:
	s_or_b64 exec, exec, s[6:7]
	s_movk_i32 s4, 0x7f
	v_cmp_gt_i16_sdwa s[6:7], v5, s4 src0_sel:BYTE_3 src1_sel:DWORD
	s_mov_b64 s[4:5], 0
                                        ; implicit-def: $sgpr10
	s_and_saveexec_b64 s[8:9], s[6:7]
	s_xor_b64 s[6:7], exec, s[8:9]
	s_cbranch_execnz .LBB47_2813
; %bb.765:
	s_or_saveexec_b64 s[6:7], s[6:7]
	v_mov_b32_e32 v3, s10
	s_xor_b64 exec, exec, s[6:7]
	s_cbranch_execnz .LBB47_2816
.LBB47_766:
	s_or_b64 exec, exec, s[6:7]
	s_and_saveexec_b64 s[6:7], s[4:5]
	s_cbranch_execz .LBB47_768
.LBB47_767:
	v_bfe_u32 v3, v5, 24, 3
	v_ffbh_u32_e32 v8, v3
	v_min_u32_e32 v8, 32, v8
	v_lshrrev_b32_e32 v6, 27, v5
	v_subrev_u32_e32 v9, 28, v8
	v_and_b32_e32 v4, 0x80000000, v5
	v_and_b32_e32 v6, 15, v6
	v_bfe_u32 v7, v5, 27, 4
	v_lshlrev_b32_sdwa v5, v9, v5 dst_sel:DWORD dst_unused:UNUSED_PAD src0_sel:DWORD src1_sel:BYTE_3
	v_sub_u32_e32 v8, 29, v8
	v_and_b32_e32 v5, 7, v5
	v_cmp_eq_u16_e32 vcc, 0, v6
	v_cndmask_b32_e32 v3, v3, v5, vcc
	v_cndmask_b32_e32 v5, v7, v8, vcc
	v_mov_b32_e32 v6, 0x3b800000
	v_lshlrev_b32_e32 v3, 20, v3
	v_lshl_add_u32 v5, v5, 23, v6
	v_or3_b32 v3, v4, v5, v3
.LBB47_768:
	s_or_b64 exec, exec, s[6:7]
	s_nop 0
	v_mfma_f32_16x16x4f32 a[0:3], v2, v3, a[0:3]
	s_movk_i32 s4, 0x7f
                                        ; implicit-def: $sgpr10
	s_nop 7
	s_nop 1
	flat_store_dwordx4 v[18:19], a[0:3] offset:416
	flat_load_dwordx4 v[20:23], v[0:1] offset:8
	s_nop 0
	flat_load_dwordx2 v[18:19], v[0:1] offset:24
	s_waitcnt vmcnt(0) lgkmcnt(0)
	flat_load_dwordx4 v[14:17], v[20:21] offset:32
	flat_load_dwordx4 v[6:9], v[20:21] offset:48
	;; [unrolled: 1-line block ×4, first 2 shown]
	s_waitcnt vmcnt(0) lgkmcnt(0)
	v_cmp_gt_i16_sdwa s[6:7], v14, s4 src0_sel:BYTE_0 src1_sel:DWORD
	s_mov_b64 s[4:5], 0
	s_and_saveexec_b64 s[8:9], s[6:7]
	s_xor_b64 s[6:7], exec, s[8:9]
	s_cbranch_execnz .LBB47_2817
; %bb.769:
	s_or_saveexec_b64 s[6:7], s[6:7]
	v_mov_b32_e32 v20, s10
	s_xor_b64 exec, exec, s[6:7]
	s_cbranch_execnz .LBB47_2820
.LBB47_770:
	s_or_b64 exec, exec, s[6:7]
	s_and_saveexec_b64 s[6:7], s[4:5]
	s_cbranch_execz .LBB47_772
.LBB47_771:
	v_and_b32_e32 v20, 7, v14
	v_ffbh_u32_e32 v22, v20
	v_min_u32_e32 v22, 32, v22
	v_lshrrev_b16_e32 v21, 3, v14
	v_subrev_u32_e32 v23, 28, v22
	v_and_b32_e32 v21, 15, v21
	v_lshlrev_b32_e32 v23, v23, v14
	v_sub_u32_e32 v22, 29, v22
	v_and_b32_e32 v23, 7, v23
	v_cmp_eq_u16_e32 vcc, 0, v21
	v_cndmask_b32_e32 v20, v20, v23, vcc
	v_cndmask_b32_e32 v21, v21, v22, vcc
	v_lshlrev_b32_e32 v22, 24, v14
	v_mov_b32_e32 v23, 0x3b800000
	v_lshlrev_b32_e32 v20, 20, v20
	v_and_b32_e32 v22, 0x80000000, v22
	v_lshl_add_u32 v21, v21, 23, v23
	v_or3_b32 v20, v22, v21, v20
.LBB47_772:
	s_or_b64 exec, exec, s[6:7]
	s_movk_i32 s4, 0x7f
	v_cmp_gt_i16_sdwa s[6:7], v10, s4 src0_sel:BYTE_0 src1_sel:DWORD
	s_mov_b64 s[4:5], 0
                                        ; implicit-def: $sgpr10
	s_and_saveexec_b64 s[8:9], s[6:7]
	s_xor_b64 s[6:7], exec, s[8:9]
	s_cbranch_execnz .LBB47_2821
; %bb.773:
	s_or_saveexec_b64 s[6:7], s[6:7]
	v_mov_b32_e32 v21, s10
	s_xor_b64 exec, exec, s[6:7]
	s_cbranch_execnz .LBB47_2824
.LBB47_774:
	s_or_b64 exec, exec, s[6:7]
	s_and_saveexec_b64 s[6:7], s[4:5]
	s_cbranch_execz .LBB47_776
.LBB47_775:
	v_and_b32_e32 v21, 7, v10
	v_ffbh_u32_e32 v23, v21
	v_min_u32_e32 v23, 32, v23
	v_lshrrev_b16_e32 v22, 3, v10
	v_subrev_u32_e32 v24, 28, v23
	v_and_b32_e32 v22, 15, v22
	v_lshlrev_b32_e32 v24, v24, v10
	v_sub_u32_e32 v23, 29, v23
	v_and_b32_e32 v24, 7, v24
	v_cmp_eq_u16_e32 vcc, 0, v22
	v_cndmask_b32_e32 v21, v21, v24, vcc
	v_cndmask_b32_e32 v22, v22, v23, vcc
	v_lshlrev_b32_e32 v23, 24, v10
	v_mov_b32_e32 v24, 0x3b800000
	v_lshlrev_b32_e32 v21, 20, v21
	v_and_b32_e32 v23, 0x80000000, v23
	v_lshl_add_u32 v22, v22, 23, v24
	v_or3_b32 v21, v23, v22, v21
.LBB47_776:
	s_or_b64 exec, exec, s[6:7]
	flat_load_dwordx4 a[0:3], v[18:19] offset:432
	s_movk_i32 s4, 0x7f
                                        ; implicit-def: $sgpr10
	s_waitcnt vmcnt(0) lgkmcnt(0)
	v_mfma_f32_16x16x4f32 a[0:3], v20, v21, a[0:3]
	v_lshrrev_b32_e32 v21, 8, v14
	v_cmp_gt_i16_sdwa s[6:7], v21, s4 src0_sel:BYTE_0 src1_sel:DWORD
	s_mov_b64 s[4:5], 0
	s_and_saveexec_b64 s[8:9], s[6:7]
	s_xor_b64 s[6:7], exec, s[8:9]
	s_cbranch_execnz .LBB47_2825
; %bb.777:
	s_or_saveexec_b64 s[6:7], s[6:7]
	v_mov_b32_e32 v20, s10
	s_xor_b64 exec, exec, s[6:7]
	s_cbranch_execnz .LBB47_2828
.LBB47_778:
	s_or_b64 exec, exec, s[6:7]
	s_and_saveexec_b64 s[6:7], s[4:5]
	s_cbranch_execz .LBB47_780
.LBB47_779:
	v_bfe_u32 v20, v14, 8, 3
	v_ffbh_u32_e32 v23, v20
	v_min_u32_e32 v23, 32, v23
	v_lshrrev_b16_e32 v22, 3, v21
	v_subrev_u32_e32 v24, 28, v23
	v_and_b32_e32 v22, 15, v22
	v_lshlrev_b32_e32 v21, v24, v21
	v_sub_u32_e32 v23, 29, v23
	v_and_b32_e32 v21, 7, v21
	v_cmp_eq_u16_e32 vcc, 0, v22
	v_cndmask_b32_e32 v20, v20, v21, vcc
	v_cndmask_b32_e32 v21, v22, v23, vcc
	v_lshlrev_b32_e32 v22, 16, v14
	v_mov_b32_e32 v23, 0x3b800000
	v_lshlrev_b32_e32 v20, 20, v20
	v_and_b32_e32 v22, 0x80000000, v22
	v_lshl_add_u32 v21, v21, 23, v23
	v_or3_b32 v20, v22, v21, v20
.LBB47_780:
	s_or_b64 exec, exec, s[6:7]
	v_lshrrev_b32_e32 v21, 8, v10
	s_movk_i32 s4, 0x7f
	v_cmp_gt_i16_sdwa s[6:7], v21, s4 src0_sel:BYTE_0 src1_sel:DWORD
	s_mov_b64 s[4:5], 0
                                        ; implicit-def: $sgpr10
	s_and_saveexec_b64 s[8:9], s[6:7]
	s_xor_b64 s[6:7], exec, s[8:9]
	s_cbranch_execnz .LBB47_2829
; %bb.781:
	s_or_saveexec_b64 s[6:7], s[6:7]
	v_mov_b32_e32 v22, s10
	s_xor_b64 exec, exec, s[6:7]
	s_cbranch_execnz .LBB47_2832
.LBB47_782:
	s_or_b64 exec, exec, s[6:7]
	s_and_saveexec_b64 s[6:7], s[4:5]
	s_cbranch_execz .LBB47_784
.LBB47_783:
	v_bfe_u32 v22, v10, 8, 3
	v_ffbh_u32_e32 v24, v22
	v_min_u32_e32 v24, 32, v24
	v_lshrrev_b16_e32 v23, 3, v21
	v_subrev_u32_e32 v25, 28, v24
	v_and_b32_e32 v23, 15, v23
	v_lshlrev_b32_e32 v21, v25, v21
	v_sub_u32_e32 v24, 29, v24
	v_and_b32_e32 v21, 7, v21
	v_cmp_eq_u16_e32 vcc, 0, v23
	v_cndmask_b32_e32 v21, v22, v21, vcc
	v_cndmask_b32_e32 v22, v23, v24, vcc
	v_lshlrev_b32_e32 v23, 16, v10
	v_mov_b32_e32 v24, 0x3b800000
	v_lshlrev_b32_e32 v21, 20, v21
	v_and_b32_e32 v23, 0x80000000, v23
	v_lshl_add_u32 v22, v22, 23, v24
	v_or3_b32 v22, v23, v22, v21
.LBB47_784:
	s_or_b64 exec, exec, s[6:7]
	s_nop 0
	v_mfma_f32_16x16x4f32 a[0:3], v20, v22, a[0:3]
	s_movk_i32 s4, 0xff
	v_and_b32_sdwa v21, v14, s4 dst_sel:DWORD dst_unused:UNUSED_PAD src0_sel:WORD_1 src1_sel:DWORD
	s_movk_i32 s4, 0x7f
	v_cmp_lt_i16_e32 vcc, s4, v21
	s_mov_b64 s[4:5], 0
                                        ; implicit-def: $sgpr10
	s_and_saveexec_b64 s[6:7], vcc
	s_xor_b64 s[6:7], exec, s[6:7]
	s_cbranch_execnz .LBB47_2833
; %bb.785:
	s_or_saveexec_b64 s[6:7], s[6:7]
	v_mov_b32_e32 v20, s10
	s_xor_b64 exec, exec, s[6:7]
	s_cbranch_execnz .LBB47_2836
.LBB47_786:
	s_or_b64 exec, exec, s[6:7]
	s_and_saveexec_b64 s[6:7], s[4:5]
	s_cbranch_execz .LBB47_788
.LBB47_787:
	v_bfe_u32 v20, v14, 16, 3
	v_ffbh_u32_e32 v23, v20
	v_min_u32_e32 v23, 32, v23
	v_lshrrev_b32_e32 v21, 19, v14
	v_subrev_u32_e32 v24, 28, v23
	v_and_b32_e32 v21, 15, v21
	v_lshlrev_b32_sdwa v24, v24, v14 dst_sel:DWORD dst_unused:UNUSED_PAD src0_sel:DWORD src1_sel:WORD_1
	v_bfe_u32 v22, v14, 19, 4
	v_sub_u32_e32 v23, 29, v23
	v_and_b32_e32 v24, 7, v24
	v_cmp_eq_u16_e32 vcc, 0, v21
	v_cndmask_b32_e32 v20, v20, v24, vcc
	v_cndmask_b32_e32 v21, v22, v23, vcc
	v_lshlrev_b32_e32 v22, 8, v14
	v_mov_b32_e32 v23, 0x3b800000
	v_lshlrev_b32_e32 v20, 20, v20
	v_and_b32_e32 v22, 0x80000000, v22
	v_lshl_add_u32 v21, v21, 23, v23
	v_or3_b32 v20, v22, v21, v20
.LBB47_788:
	s_or_b64 exec, exec, s[6:7]
	s_movk_i32 s4, 0xff
	v_and_b32_sdwa v21, v10, s4 dst_sel:DWORD dst_unused:UNUSED_PAD src0_sel:WORD_1 src1_sel:DWORD
	s_movk_i32 s4, 0x7f
	v_cmp_lt_i16_e32 vcc, s4, v21
	s_mov_b64 s[4:5], 0
                                        ; implicit-def: $sgpr10
	s_and_saveexec_b64 s[6:7], vcc
	s_xor_b64 s[6:7], exec, s[6:7]
	s_cbranch_execnz .LBB47_2837
; %bb.789:
	s_or_saveexec_b64 s[6:7], s[6:7]
	v_mov_b32_e32 v22, s10
	s_xor_b64 exec, exec, s[6:7]
	s_cbranch_execnz .LBB47_2840
.LBB47_790:
	s_or_b64 exec, exec, s[6:7]
	s_and_saveexec_b64 s[6:7], s[4:5]
	s_cbranch_execz .LBB47_792
.LBB47_791:
	v_bfe_u32 v21, v10, 16, 3
	v_ffbh_u32_e32 v24, v21
	v_min_u32_e32 v24, 32, v24
	v_lshrrev_b32_e32 v22, 19, v10
	v_subrev_u32_e32 v25, 28, v24
	v_and_b32_e32 v22, 15, v22
	v_lshlrev_b32_sdwa v25, v25, v10 dst_sel:DWORD dst_unused:UNUSED_PAD src0_sel:DWORD src1_sel:WORD_1
	v_bfe_u32 v23, v10, 19, 4
	v_sub_u32_e32 v24, 29, v24
	v_and_b32_e32 v25, 7, v25
	v_cmp_eq_u16_e32 vcc, 0, v22
	v_cndmask_b32_e32 v21, v21, v25, vcc
	v_cndmask_b32_e32 v22, v23, v24, vcc
	v_lshlrev_b32_e32 v23, 8, v10
	v_mov_b32_e32 v24, 0x3b800000
	v_lshlrev_b32_e32 v21, 20, v21
	v_and_b32_e32 v23, 0x80000000, v23
	v_lshl_add_u32 v22, v22, 23, v24
	v_or3_b32 v22, v23, v22, v21
.LBB47_792:
	s_or_b64 exec, exec, s[6:7]
	s_nop 0
	v_mfma_f32_16x16x4f32 a[0:3], v20, v22, a[0:3]
	s_movk_i32 s4, 0x7f
	v_cmp_gt_i16_sdwa s[6:7], v14, s4 src0_sel:BYTE_3 src1_sel:DWORD
	s_mov_b64 s[4:5], 0
                                        ; implicit-def: $sgpr10
	s_and_saveexec_b64 s[8:9], s[6:7]
	s_xor_b64 s[6:7], exec, s[8:9]
	s_cbranch_execnz .LBB47_2841
; %bb.793:
	s_or_saveexec_b64 s[6:7], s[6:7]
	v_mov_b32_e32 v20, s10
	s_xor_b64 exec, exec, s[6:7]
	s_cbranch_execnz .LBB47_2844
.LBB47_794:
	s_or_b64 exec, exec, s[6:7]
	s_and_saveexec_b64 s[6:7], s[4:5]
	s_cbranch_execz .LBB47_796
.LBB47_795:
	v_bfe_u32 v20, v14, 24, 3
	v_ffbh_u32_e32 v24, v20
	v_min_u32_e32 v24, 32, v24
	v_lshrrev_b32_e32 v22, 27, v14
	v_subrev_u32_e32 v25, 28, v24
	v_and_b32_e32 v21, 0x80000000, v14
	v_and_b32_e32 v22, 15, v22
	v_bfe_u32 v23, v14, 27, 4
	v_lshlrev_b32_sdwa v14, v25, v14 dst_sel:DWORD dst_unused:UNUSED_PAD src0_sel:DWORD src1_sel:BYTE_3
	v_sub_u32_e32 v24, 29, v24
	v_and_b32_e32 v14, 7, v14
	v_cmp_eq_u16_e32 vcc, 0, v22
	v_cndmask_b32_e32 v14, v20, v14, vcc
	v_cndmask_b32_e32 v20, v23, v24, vcc
	v_mov_b32_e32 v22, 0x3b800000
	v_lshlrev_b32_e32 v14, 20, v14
	v_lshl_add_u32 v20, v20, 23, v22
	v_or3_b32 v20, v21, v20, v14
.LBB47_796:
	s_or_b64 exec, exec, s[6:7]
	s_movk_i32 s4, 0x7f
	v_cmp_gt_i16_sdwa s[6:7], v10, s4 src0_sel:BYTE_3 src1_sel:DWORD
	s_mov_b64 s[4:5], 0
                                        ; implicit-def: $sgpr10
	s_and_saveexec_b64 s[8:9], s[6:7]
	s_xor_b64 s[6:7], exec, s[8:9]
	s_cbranch_execnz .LBB47_2845
; %bb.797:
	s_or_saveexec_b64 s[6:7], s[6:7]
	v_mov_b32_e32 v14, s10
	s_xor_b64 exec, exec, s[6:7]
	s_cbranch_execnz .LBB47_2848
.LBB47_798:
	s_or_b64 exec, exec, s[6:7]
	s_and_saveexec_b64 s[6:7], s[4:5]
	s_cbranch_execz .LBB47_800
.LBB47_799:
	v_bfe_u32 v14, v10, 24, 3
	v_ffbh_u32_e32 v24, v14
	v_min_u32_e32 v24, 32, v24
	v_lshrrev_b32_e32 v22, 27, v10
	v_subrev_u32_e32 v25, 28, v24
	v_and_b32_e32 v21, 0x80000000, v10
	v_and_b32_e32 v22, 15, v22
	v_bfe_u32 v23, v10, 27, 4
	v_lshlrev_b32_sdwa v10, v25, v10 dst_sel:DWORD dst_unused:UNUSED_PAD src0_sel:DWORD src1_sel:BYTE_3
	v_sub_u32_e32 v24, 29, v24
	v_and_b32_e32 v10, 7, v10
	v_cmp_eq_u16_e32 vcc, 0, v22
	v_cndmask_b32_e32 v10, v14, v10, vcc
	v_cndmask_b32_e32 v14, v23, v24, vcc
	v_mov_b32_e32 v22, 0x3b800000
	v_lshlrev_b32_e32 v10, 20, v10
	v_lshl_add_u32 v14, v14, 23, v22
	v_or3_b32 v14, v21, v14, v10
.LBB47_800:
	s_or_b64 exec, exec, s[6:7]
	s_nop 0
	v_mfma_f32_16x16x4f32 a[0:3], v20, v14, a[0:3]
	s_movk_i32 s4, 0x7f
	v_cmp_gt_i16_sdwa s[6:7], v15, s4 src0_sel:BYTE_0 src1_sel:DWORD
	s_mov_b64 s[4:5], 0
                                        ; implicit-def: $sgpr10
	s_and_saveexec_b64 s[8:9], s[6:7]
	s_xor_b64 s[6:7], exec, s[8:9]
	s_cbranch_execnz .LBB47_2849
; %bb.801:
	s_or_saveexec_b64 s[6:7], s[6:7]
	v_mov_b32_e32 v10, s10
	s_xor_b64 exec, exec, s[6:7]
	s_cbranch_execnz .LBB47_2852
.LBB47_802:
	s_or_b64 exec, exec, s[6:7]
	s_and_saveexec_b64 s[6:7], s[4:5]
	s_cbranch_execz .LBB47_804
.LBB47_803:
	v_and_b32_e32 v10, 7, v15
	v_ffbh_u32_e32 v20, v10
	v_min_u32_e32 v20, 32, v20
	v_lshrrev_b16_e32 v14, 3, v15
	v_subrev_u32_e32 v21, 28, v20
	v_and_b32_e32 v14, 15, v14
	v_lshlrev_b32_e32 v21, v21, v15
	v_sub_u32_e32 v20, 29, v20
	v_and_b32_e32 v21, 7, v21
	v_cmp_eq_u16_e32 vcc, 0, v14
	v_cndmask_b32_e32 v10, v10, v21, vcc
	v_cndmask_b32_e32 v14, v14, v20, vcc
	v_lshlrev_b32_e32 v20, 24, v15
	v_mov_b32_e32 v21, 0x3b800000
	v_lshlrev_b32_e32 v10, 20, v10
	v_and_b32_e32 v20, 0x80000000, v20
	v_lshl_add_u32 v14, v14, 23, v21
	v_or3_b32 v10, v20, v14, v10
.LBB47_804:
	s_or_b64 exec, exec, s[6:7]
	s_movk_i32 s4, 0x7f
	v_cmp_gt_i16_sdwa s[6:7], v11, s4 src0_sel:BYTE_0 src1_sel:DWORD
	s_mov_b64 s[4:5], 0
                                        ; implicit-def: $sgpr10
	s_and_saveexec_b64 s[8:9], s[6:7]
	s_xor_b64 s[6:7], exec, s[8:9]
	s_cbranch_execnz .LBB47_2853
; %bb.805:
	s_or_saveexec_b64 s[6:7], s[6:7]
	v_mov_b32_e32 v14, s10
	s_xor_b64 exec, exec, s[6:7]
	s_cbranch_execnz .LBB47_2856
.LBB47_806:
	s_or_b64 exec, exec, s[6:7]
	s_and_saveexec_b64 s[6:7], s[4:5]
	s_cbranch_execz .LBB47_808
.LBB47_807:
	v_and_b32_e32 v14, 7, v11
	v_ffbh_u32_e32 v21, v14
	v_min_u32_e32 v21, 32, v21
	v_lshrrev_b16_e32 v20, 3, v11
	v_subrev_u32_e32 v22, 28, v21
	v_and_b32_e32 v20, 15, v20
	v_lshlrev_b32_e32 v22, v22, v11
	v_sub_u32_e32 v21, 29, v21
	v_and_b32_e32 v22, 7, v22
	v_cmp_eq_u16_e32 vcc, 0, v20
	v_cndmask_b32_e32 v14, v14, v22, vcc
	v_cndmask_b32_e32 v20, v20, v21, vcc
	v_lshlrev_b32_e32 v21, 24, v11
	v_mov_b32_e32 v22, 0x3b800000
	v_lshlrev_b32_e32 v14, 20, v14
	v_and_b32_e32 v21, 0x80000000, v21
	v_lshl_add_u32 v20, v20, 23, v22
	v_or3_b32 v14, v21, v20, v14
.LBB47_808:
	s_or_b64 exec, exec, s[6:7]
	s_nop 0
	v_mfma_f32_16x16x4f32 a[0:3], v10, v14, a[0:3]
	v_lshrrev_b32_e32 v14, 8, v15
	s_movk_i32 s4, 0x7f
	v_cmp_gt_i16_sdwa s[6:7], v14, s4 src0_sel:BYTE_0 src1_sel:DWORD
	s_mov_b64 s[4:5], 0
                                        ; implicit-def: $sgpr10
	s_and_saveexec_b64 s[8:9], s[6:7]
	s_xor_b64 s[6:7], exec, s[8:9]
	s_cbranch_execnz .LBB47_2857
; %bb.809:
	s_or_saveexec_b64 s[6:7], s[6:7]
	v_mov_b32_e32 v10, s10
	s_xor_b64 exec, exec, s[6:7]
	s_cbranch_execnz .LBB47_2860
.LBB47_810:
	s_or_b64 exec, exec, s[6:7]
	s_and_saveexec_b64 s[6:7], s[4:5]
	s_cbranch_execz .LBB47_812
.LBB47_811:
	v_bfe_u32 v10, v15, 8, 3
	v_ffbh_u32_e32 v21, v10
	v_min_u32_e32 v21, 32, v21
	v_lshrrev_b16_e32 v20, 3, v14
	v_subrev_u32_e32 v22, 28, v21
	v_and_b32_e32 v20, 15, v20
	v_lshlrev_b32_e32 v14, v22, v14
	v_sub_u32_e32 v21, 29, v21
	v_and_b32_e32 v14, 7, v14
	v_cmp_eq_u16_e32 vcc, 0, v20
	v_cndmask_b32_e32 v10, v10, v14, vcc
	v_cndmask_b32_e32 v14, v20, v21, vcc
	v_lshlrev_b32_e32 v20, 16, v15
	v_mov_b32_e32 v21, 0x3b800000
	v_lshlrev_b32_e32 v10, 20, v10
	v_and_b32_e32 v20, 0x80000000, v20
	v_lshl_add_u32 v14, v14, 23, v21
	v_or3_b32 v10, v20, v14, v10
.LBB47_812:
	s_or_b64 exec, exec, s[6:7]
	v_lshrrev_b32_e32 v14, 8, v11
	s_movk_i32 s4, 0x7f
	v_cmp_gt_i16_sdwa s[6:7], v14, s4 src0_sel:BYTE_0 src1_sel:DWORD
	s_mov_b64 s[4:5], 0
                                        ; implicit-def: $sgpr10
	s_and_saveexec_b64 s[8:9], s[6:7]
	s_xor_b64 s[6:7], exec, s[8:9]
	s_cbranch_execnz .LBB47_2861
; %bb.813:
	s_or_saveexec_b64 s[6:7], s[6:7]
	v_mov_b32_e32 v20, s10
	s_xor_b64 exec, exec, s[6:7]
	s_cbranch_execnz .LBB47_2864
.LBB47_814:
	s_or_b64 exec, exec, s[6:7]
	s_and_saveexec_b64 s[6:7], s[4:5]
	s_cbranch_execz .LBB47_816
.LBB47_815:
	v_bfe_u32 v20, v11, 8, 3
	v_ffbh_u32_e32 v22, v20
	v_min_u32_e32 v22, 32, v22
	v_lshrrev_b16_e32 v21, 3, v14
	v_subrev_u32_e32 v23, 28, v22
	v_and_b32_e32 v21, 15, v21
	v_lshlrev_b32_e32 v14, v23, v14
	v_sub_u32_e32 v22, 29, v22
	v_and_b32_e32 v14, 7, v14
	v_cmp_eq_u16_e32 vcc, 0, v21
	v_cndmask_b32_e32 v14, v20, v14, vcc
	v_cndmask_b32_e32 v20, v21, v22, vcc
	v_lshlrev_b32_e32 v21, 16, v11
	v_mov_b32_e32 v22, 0x3b800000
	v_lshlrev_b32_e32 v14, 20, v14
	v_and_b32_e32 v21, 0x80000000, v21
	v_lshl_add_u32 v20, v20, 23, v22
	v_or3_b32 v20, v21, v20, v14
.LBB47_816:
	s_or_b64 exec, exec, s[6:7]
	s_nop 0
	v_mfma_f32_16x16x4f32 a[0:3], v10, v20, a[0:3]
	s_movk_i32 s4, 0xff
	v_and_b32_sdwa v14, v15, s4 dst_sel:DWORD dst_unused:UNUSED_PAD src0_sel:WORD_1 src1_sel:DWORD
	s_movk_i32 s4, 0x7f
	v_cmp_lt_i16_e32 vcc, s4, v14
	s_mov_b64 s[4:5], 0
                                        ; implicit-def: $sgpr10
	s_and_saveexec_b64 s[6:7], vcc
	s_xor_b64 s[6:7], exec, s[6:7]
	s_cbranch_execnz .LBB47_2865
; %bb.817:
	s_or_saveexec_b64 s[6:7], s[6:7]
	v_mov_b32_e32 v10, s10
	s_xor_b64 exec, exec, s[6:7]
	s_cbranch_execnz .LBB47_2868
.LBB47_818:
	s_or_b64 exec, exec, s[6:7]
	s_and_saveexec_b64 s[6:7], s[4:5]
	s_cbranch_execz .LBB47_820
.LBB47_819:
	v_bfe_u32 v10, v15, 16, 3
	v_ffbh_u32_e32 v21, v10
	v_min_u32_e32 v21, 32, v21
	v_lshrrev_b32_e32 v14, 19, v15
	v_subrev_u32_e32 v22, 28, v21
	v_and_b32_e32 v14, 15, v14
	v_lshlrev_b32_sdwa v22, v22, v15 dst_sel:DWORD dst_unused:UNUSED_PAD src0_sel:DWORD src1_sel:WORD_1
	v_bfe_u32 v20, v15, 19, 4
	v_sub_u32_e32 v21, 29, v21
	v_and_b32_e32 v22, 7, v22
	v_cmp_eq_u16_e32 vcc, 0, v14
	v_cndmask_b32_e32 v10, v10, v22, vcc
	v_cndmask_b32_e32 v14, v20, v21, vcc
	v_lshlrev_b32_e32 v20, 8, v15
	v_mov_b32_e32 v21, 0x3b800000
	v_lshlrev_b32_e32 v10, 20, v10
	v_and_b32_e32 v20, 0x80000000, v20
	v_lshl_add_u32 v14, v14, 23, v21
	v_or3_b32 v10, v20, v14, v10
.LBB47_820:
	s_or_b64 exec, exec, s[6:7]
	s_movk_i32 s4, 0xff
	v_and_b32_sdwa v14, v11, s4 dst_sel:DWORD dst_unused:UNUSED_PAD src0_sel:WORD_1 src1_sel:DWORD
	s_movk_i32 s4, 0x7f
	v_cmp_lt_i16_e32 vcc, s4, v14
	s_mov_b64 s[4:5], 0
                                        ; implicit-def: $sgpr10
	s_and_saveexec_b64 s[6:7], vcc
	s_xor_b64 s[6:7], exec, s[6:7]
	s_cbranch_execnz .LBB47_2869
; %bb.821:
	s_or_saveexec_b64 s[6:7], s[6:7]
	v_mov_b32_e32 v20, s10
	s_xor_b64 exec, exec, s[6:7]
	s_cbranch_execnz .LBB47_2872
.LBB47_822:
	s_or_b64 exec, exec, s[6:7]
	s_and_saveexec_b64 s[6:7], s[4:5]
	s_cbranch_execz .LBB47_824
.LBB47_823:
	v_bfe_u32 v14, v11, 16, 3
	v_ffbh_u32_e32 v22, v14
	v_min_u32_e32 v22, 32, v22
	v_lshrrev_b32_e32 v20, 19, v11
	v_subrev_u32_e32 v23, 28, v22
	v_and_b32_e32 v20, 15, v20
	v_lshlrev_b32_sdwa v23, v23, v11 dst_sel:DWORD dst_unused:UNUSED_PAD src0_sel:DWORD src1_sel:WORD_1
	v_bfe_u32 v21, v11, 19, 4
	v_sub_u32_e32 v22, 29, v22
	v_and_b32_e32 v23, 7, v23
	v_cmp_eq_u16_e32 vcc, 0, v20
	v_cndmask_b32_e32 v14, v14, v23, vcc
	v_cndmask_b32_e32 v20, v21, v22, vcc
	v_lshlrev_b32_e32 v21, 8, v11
	v_mov_b32_e32 v22, 0x3b800000
	v_lshlrev_b32_e32 v14, 20, v14
	v_and_b32_e32 v21, 0x80000000, v21
	v_lshl_add_u32 v20, v20, 23, v22
	v_or3_b32 v20, v21, v20, v14
.LBB47_824:
	s_or_b64 exec, exec, s[6:7]
	s_nop 0
	v_mfma_f32_16x16x4f32 a[0:3], v10, v20, a[0:3]
	s_movk_i32 s4, 0x7f
	v_cmp_gt_i16_sdwa s[6:7], v15, s4 src0_sel:BYTE_3 src1_sel:DWORD
	s_mov_b64 s[4:5], 0
                                        ; implicit-def: $sgpr10
	s_and_saveexec_b64 s[8:9], s[6:7]
	s_xor_b64 s[6:7], exec, s[8:9]
	s_cbranch_execnz .LBB47_2873
; %bb.825:
	s_or_saveexec_b64 s[6:7], s[6:7]
	v_mov_b32_e32 v10, s10
	s_xor_b64 exec, exec, s[6:7]
	s_cbranch_execnz .LBB47_2876
.LBB47_826:
	s_or_b64 exec, exec, s[6:7]
	s_and_saveexec_b64 s[6:7], s[4:5]
	s_cbranch_execz .LBB47_828
.LBB47_827:
	v_bfe_u32 v10, v15, 24, 3
	v_ffbh_u32_e32 v22, v10
	v_min_u32_e32 v22, 32, v22
	v_lshrrev_b32_e32 v20, 27, v15
	v_subrev_u32_e32 v23, 28, v22
	v_and_b32_e32 v14, 0x80000000, v15
	v_and_b32_e32 v20, 15, v20
	v_bfe_u32 v21, v15, 27, 4
	v_lshlrev_b32_sdwa v15, v23, v15 dst_sel:DWORD dst_unused:UNUSED_PAD src0_sel:DWORD src1_sel:BYTE_3
	v_sub_u32_e32 v22, 29, v22
	v_and_b32_e32 v15, 7, v15
	v_cmp_eq_u16_e32 vcc, 0, v20
	v_cndmask_b32_e32 v10, v10, v15, vcc
	v_cndmask_b32_e32 v15, v21, v22, vcc
	v_mov_b32_e32 v20, 0x3b800000
	v_lshlrev_b32_e32 v10, 20, v10
	v_lshl_add_u32 v15, v15, 23, v20
	v_or3_b32 v10, v14, v15, v10
.LBB47_828:
	s_or_b64 exec, exec, s[6:7]
	s_movk_i32 s4, 0x7f
	v_cmp_gt_i16_sdwa s[6:7], v11, s4 src0_sel:BYTE_3 src1_sel:DWORD
	s_mov_b64 s[4:5], 0
                                        ; implicit-def: $sgpr10
	s_and_saveexec_b64 s[8:9], s[6:7]
	s_xor_b64 s[6:7], exec, s[8:9]
	s_cbranch_execnz .LBB47_2877
; %bb.829:
	s_or_saveexec_b64 s[6:7], s[6:7]
	v_mov_b32_e32 v14, s10
	s_xor_b64 exec, exec, s[6:7]
	s_cbranch_execnz .LBB47_2880
.LBB47_830:
	s_or_b64 exec, exec, s[6:7]
	s_and_saveexec_b64 s[6:7], s[4:5]
	s_cbranch_execz .LBB47_832
.LBB47_831:
	v_bfe_u32 v14, v11, 24, 3
	v_ffbh_u32_e32 v22, v14
	v_min_u32_e32 v22, 32, v22
	v_lshrrev_b32_e32 v20, 27, v11
	v_subrev_u32_e32 v23, 28, v22
	v_and_b32_e32 v15, 0x80000000, v11
	v_and_b32_e32 v20, 15, v20
	v_bfe_u32 v21, v11, 27, 4
	v_lshlrev_b32_sdwa v11, v23, v11 dst_sel:DWORD dst_unused:UNUSED_PAD src0_sel:DWORD src1_sel:BYTE_3
	v_sub_u32_e32 v22, 29, v22
	v_and_b32_e32 v11, 7, v11
	v_cmp_eq_u16_e32 vcc, 0, v20
	v_cndmask_b32_e32 v11, v14, v11, vcc
	v_cndmask_b32_e32 v14, v21, v22, vcc
	v_mov_b32_e32 v20, 0x3b800000
	v_lshlrev_b32_e32 v11, 20, v11
	v_lshl_add_u32 v14, v14, 23, v20
	v_or3_b32 v14, v15, v14, v11
.LBB47_832:
	s_or_b64 exec, exec, s[6:7]
	s_nop 0
	v_mfma_f32_16x16x4f32 a[0:3], v10, v14, a[0:3]
	s_movk_i32 s4, 0x7f
	v_cmp_gt_i16_sdwa s[6:7], v16, s4 src0_sel:BYTE_0 src1_sel:DWORD
	s_mov_b64 s[4:5], 0
                                        ; implicit-def: $sgpr10
	s_and_saveexec_b64 s[8:9], s[6:7]
	s_xor_b64 s[6:7], exec, s[8:9]
	s_cbranch_execnz .LBB47_2881
; %bb.833:
	s_or_saveexec_b64 s[6:7], s[6:7]
	v_mov_b32_e32 v10, s10
	s_xor_b64 exec, exec, s[6:7]
	s_cbranch_execnz .LBB47_2884
.LBB47_834:
	s_or_b64 exec, exec, s[6:7]
	s_and_saveexec_b64 s[6:7], s[4:5]
	s_cbranch_execz .LBB47_836
.LBB47_835:
	v_and_b32_e32 v10, 7, v16
	v_ffbh_u32_e32 v14, v10
	v_min_u32_e32 v14, 32, v14
	v_lshrrev_b16_e32 v11, 3, v16
	v_subrev_u32_e32 v15, 28, v14
	v_and_b32_e32 v11, 15, v11
	v_lshlrev_b32_e32 v15, v15, v16
	v_sub_u32_e32 v14, 29, v14
	v_and_b32_e32 v15, 7, v15
	v_cmp_eq_u16_e32 vcc, 0, v11
	v_cndmask_b32_e32 v10, v10, v15, vcc
	v_cndmask_b32_e32 v11, v11, v14, vcc
	v_lshlrev_b32_e32 v14, 24, v16
	v_mov_b32_e32 v15, 0x3b800000
	v_lshlrev_b32_e32 v10, 20, v10
	v_and_b32_e32 v14, 0x80000000, v14
	v_lshl_add_u32 v11, v11, 23, v15
	v_or3_b32 v10, v14, v11, v10
.LBB47_836:
	s_or_b64 exec, exec, s[6:7]
	s_movk_i32 s4, 0x7f
	v_cmp_gt_i16_sdwa s[6:7], v12, s4 src0_sel:BYTE_0 src1_sel:DWORD
	s_mov_b64 s[4:5], 0
                                        ; implicit-def: $sgpr10
	s_and_saveexec_b64 s[8:9], s[6:7]
	s_xor_b64 s[6:7], exec, s[8:9]
	s_cbranch_execnz .LBB47_2885
; %bb.837:
	s_or_saveexec_b64 s[6:7], s[6:7]
	v_mov_b32_e32 v11, s10
	s_xor_b64 exec, exec, s[6:7]
	s_cbranch_execnz .LBB47_2888
.LBB47_838:
	s_or_b64 exec, exec, s[6:7]
	s_and_saveexec_b64 s[6:7], s[4:5]
	s_cbranch_execz .LBB47_840
.LBB47_839:
	v_and_b32_e32 v11, 7, v12
	v_ffbh_u32_e32 v15, v11
	v_min_u32_e32 v15, 32, v15
	v_lshrrev_b16_e32 v14, 3, v12
	v_subrev_u32_e32 v20, 28, v15
	v_and_b32_e32 v14, 15, v14
	v_lshlrev_b32_e32 v20, v20, v12
	v_sub_u32_e32 v15, 29, v15
	v_and_b32_e32 v20, 7, v20
	v_cmp_eq_u16_e32 vcc, 0, v14
	v_cndmask_b32_e32 v11, v11, v20, vcc
	v_cndmask_b32_e32 v14, v14, v15, vcc
	v_lshlrev_b32_e32 v15, 24, v12
	v_mov_b32_e32 v20, 0x3b800000
	v_lshlrev_b32_e32 v11, 20, v11
	v_and_b32_e32 v15, 0x80000000, v15
	v_lshl_add_u32 v14, v14, 23, v20
	v_or3_b32 v11, v15, v14, v11
.LBB47_840:
	s_or_b64 exec, exec, s[6:7]
	s_nop 0
	v_mfma_f32_16x16x4f32 a[0:3], v10, v11, a[0:3]
	v_lshrrev_b32_e32 v11, 8, v16
	s_movk_i32 s4, 0x7f
	v_cmp_gt_i16_sdwa s[6:7], v11, s4 src0_sel:BYTE_0 src1_sel:DWORD
	s_mov_b64 s[4:5], 0
                                        ; implicit-def: $sgpr10
	s_and_saveexec_b64 s[8:9], s[6:7]
	s_xor_b64 s[6:7], exec, s[8:9]
	s_cbranch_execnz .LBB47_2889
; %bb.841:
	s_or_saveexec_b64 s[6:7], s[6:7]
	v_mov_b32_e32 v10, s10
	s_xor_b64 exec, exec, s[6:7]
	s_cbranch_execnz .LBB47_2892
.LBB47_842:
	s_or_b64 exec, exec, s[6:7]
	s_and_saveexec_b64 s[6:7], s[4:5]
	s_cbranch_execz .LBB47_844
.LBB47_843:
	v_bfe_u32 v10, v16, 8, 3
	v_ffbh_u32_e32 v15, v10
	v_min_u32_e32 v15, 32, v15
	v_lshrrev_b16_e32 v14, 3, v11
	v_subrev_u32_e32 v20, 28, v15
	v_and_b32_e32 v14, 15, v14
	v_lshlrev_b32_e32 v11, v20, v11
	v_sub_u32_e32 v15, 29, v15
	v_and_b32_e32 v11, 7, v11
	v_cmp_eq_u16_e32 vcc, 0, v14
	v_cndmask_b32_e32 v10, v10, v11, vcc
	v_cndmask_b32_e32 v11, v14, v15, vcc
	v_lshlrev_b32_e32 v14, 16, v16
	v_mov_b32_e32 v15, 0x3b800000
	v_lshlrev_b32_e32 v10, 20, v10
	v_and_b32_e32 v14, 0x80000000, v14
	v_lshl_add_u32 v11, v11, 23, v15
	v_or3_b32 v10, v14, v11, v10
.LBB47_844:
	s_or_b64 exec, exec, s[6:7]
	v_lshrrev_b32_e32 v11, 8, v12
	s_movk_i32 s4, 0x7f
	v_cmp_gt_i16_sdwa s[6:7], v11, s4 src0_sel:BYTE_0 src1_sel:DWORD
	s_mov_b64 s[4:5], 0
                                        ; implicit-def: $sgpr10
	s_and_saveexec_b64 s[8:9], s[6:7]
	s_xor_b64 s[6:7], exec, s[8:9]
	s_cbranch_execnz .LBB47_2893
; %bb.845:
	s_or_saveexec_b64 s[6:7], s[6:7]
	v_mov_b32_e32 v14, s10
	s_xor_b64 exec, exec, s[6:7]
	s_cbranch_execnz .LBB47_2896
.LBB47_846:
	s_or_b64 exec, exec, s[6:7]
	s_and_saveexec_b64 s[6:7], s[4:5]
	s_cbranch_execz .LBB47_848
.LBB47_847:
	v_bfe_u32 v14, v12, 8, 3
	v_ffbh_u32_e32 v20, v14
	v_min_u32_e32 v20, 32, v20
	v_lshrrev_b16_e32 v15, 3, v11
	v_subrev_u32_e32 v21, 28, v20
	v_and_b32_e32 v15, 15, v15
	v_lshlrev_b32_e32 v11, v21, v11
	v_sub_u32_e32 v20, 29, v20
	v_and_b32_e32 v11, 7, v11
	v_cmp_eq_u16_e32 vcc, 0, v15
	v_cndmask_b32_e32 v11, v14, v11, vcc
	v_cndmask_b32_e32 v14, v15, v20, vcc
	v_lshlrev_b32_e32 v15, 16, v12
	v_mov_b32_e32 v20, 0x3b800000
	v_lshlrev_b32_e32 v11, 20, v11
	v_and_b32_e32 v15, 0x80000000, v15
	v_lshl_add_u32 v14, v14, 23, v20
	v_or3_b32 v14, v15, v14, v11
.LBB47_848:
	s_or_b64 exec, exec, s[6:7]
	s_nop 0
	v_mfma_f32_16x16x4f32 a[0:3], v10, v14, a[0:3]
	s_movk_i32 s4, 0xff
	v_and_b32_sdwa v11, v16, s4 dst_sel:DWORD dst_unused:UNUSED_PAD src0_sel:WORD_1 src1_sel:DWORD
	s_movk_i32 s4, 0x7f
	v_cmp_lt_i16_e32 vcc, s4, v11
	s_mov_b64 s[4:5], 0
                                        ; implicit-def: $sgpr10
	s_and_saveexec_b64 s[6:7], vcc
	s_xor_b64 s[6:7], exec, s[6:7]
	s_cbranch_execnz .LBB47_2897
; %bb.849:
	s_or_saveexec_b64 s[6:7], s[6:7]
	v_mov_b32_e32 v10, s10
	s_xor_b64 exec, exec, s[6:7]
	s_cbranch_execnz .LBB47_2900
.LBB47_850:
	s_or_b64 exec, exec, s[6:7]
	s_and_saveexec_b64 s[6:7], s[4:5]
	s_cbranch_execz .LBB47_852
.LBB47_851:
	v_bfe_u32 v10, v16, 16, 3
	v_ffbh_u32_e32 v15, v10
	v_min_u32_e32 v15, 32, v15
	v_lshrrev_b32_e32 v11, 19, v16
	v_subrev_u32_e32 v20, 28, v15
	v_and_b32_e32 v11, 15, v11
	v_lshlrev_b32_sdwa v20, v20, v16 dst_sel:DWORD dst_unused:UNUSED_PAD src0_sel:DWORD src1_sel:WORD_1
	v_bfe_u32 v14, v16, 19, 4
	v_sub_u32_e32 v15, 29, v15
	v_and_b32_e32 v20, 7, v20
	v_cmp_eq_u16_e32 vcc, 0, v11
	v_cndmask_b32_e32 v10, v10, v20, vcc
	v_cndmask_b32_e32 v11, v14, v15, vcc
	v_lshlrev_b32_e32 v14, 8, v16
	v_mov_b32_e32 v15, 0x3b800000
	v_lshlrev_b32_e32 v10, 20, v10
	v_and_b32_e32 v14, 0x80000000, v14
	v_lshl_add_u32 v11, v11, 23, v15
	v_or3_b32 v10, v14, v11, v10
.LBB47_852:
	s_or_b64 exec, exec, s[6:7]
	s_movk_i32 s4, 0xff
	v_and_b32_sdwa v11, v12, s4 dst_sel:DWORD dst_unused:UNUSED_PAD src0_sel:WORD_1 src1_sel:DWORD
	s_movk_i32 s4, 0x7f
	v_cmp_lt_i16_e32 vcc, s4, v11
	s_mov_b64 s[4:5], 0
                                        ; implicit-def: $sgpr10
	s_and_saveexec_b64 s[6:7], vcc
	s_xor_b64 s[6:7], exec, s[6:7]
	s_cbranch_execnz .LBB47_2901
; %bb.853:
	s_or_saveexec_b64 s[6:7], s[6:7]
	v_mov_b32_e32 v14, s10
	s_xor_b64 exec, exec, s[6:7]
	s_cbranch_execnz .LBB47_2904
.LBB47_854:
	s_or_b64 exec, exec, s[6:7]
	s_and_saveexec_b64 s[6:7], s[4:5]
	s_cbranch_execz .LBB47_856
.LBB47_855:
	v_bfe_u32 v11, v12, 16, 3
	v_ffbh_u32_e32 v20, v11
	v_min_u32_e32 v20, 32, v20
	v_lshrrev_b32_e32 v14, 19, v12
	v_subrev_u32_e32 v21, 28, v20
	v_and_b32_e32 v14, 15, v14
	v_lshlrev_b32_sdwa v21, v21, v12 dst_sel:DWORD dst_unused:UNUSED_PAD src0_sel:DWORD src1_sel:WORD_1
	v_bfe_u32 v15, v12, 19, 4
	v_sub_u32_e32 v20, 29, v20
	v_and_b32_e32 v21, 7, v21
	v_cmp_eq_u16_e32 vcc, 0, v14
	v_cndmask_b32_e32 v11, v11, v21, vcc
	v_cndmask_b32_e32 v14, v15, v20, vcc
	v_lshlrev_b32_e32 v15, 8, v12
	v_mov_b32_e32 v20, 0x3b800000
	v_lshlrev_b32_e32 v11, 20, v11
	v_and_b32_e32 v15, 0x80000000, v15
	v_lshl_add_u32 v14, v14, 23, v20
	v_or3_b32 v14, v15, v14, v11
.LBB47_856:
	s_or_b64 exec, exec, s[6:7]
	s_nop 0
	v_mfma_f32_16x16x4f32 a[0:3], v10, v14, a[0:3]
	s_movk_i32 s4, 0x7f
	v_cmp_gt_i16_sdwa s[6:7], v16, s4 src0_sel:BYTE_3 src1_sel:DWORD
	s_mov_b64 s[4:5], 0
                                        ; implicit-def: $sgpr10
	s_and_saveexec_b64 s[8:9], s[6:7]
	s_xor_b64 s[6:7], exec, s[8:9]
	s_cbranch_execnz .LBB47_2905
; %bb.857:
	s_or_saveexec_b64 s[6:7], s[6:7]
	v_mov_b32_e32 v10, s10
	s_xor_b64 exec, exec, s[6:7]
	s_cbranch_execnz .LBB47_2908
.LBB47_858:
	s_or_b64 exec, exec, s[6:7]
	s_and_saveexec_b64 s[6:7], s[4:5]
	s_cbranch_execz .LBB47_860
.LBB47_859:
	v_bfe_u32 v10, v16, 24, 3
	v_ffbh_u32_e32 v20, v10
	v_min_u32_e32 v20, 32, v20
	v_lshrrev_b32_e32 v14, 27, v16
	v_subrev_u32_e32 v21, 28, v20
	v_and_b32_e32 v11, 0x80000000, v16
	v_and_b32_e32 v14, 15, v14
	v_bfe_u32 v15, v16, 27, 4
	v_lshlrev_b32_sdwa v16, v21, v16 dst_sel:DWORD dst_unused:UNUSED_PAD src0_sel:DWORD src1_sel:BYTE_3
	v_sub_u32_e32 v20, 29, v20
	v_and_b32_e32 v16, 7, v16
	v_cmp_eq_u16_e32 vcc, 0, v14
	v_cndmask_b32_e32 v10, v10, v16, vcc
	v_cndmask_b32_e32 v14, v15, v20, vcc
	v_mov_b32_e32 v15, 0x3b800000
	v_lshlrev_b32_e32 v10, 20, v10
	v_lshl_add_u32 v14, v14, 23, v15
	v_or3_b32 v10, v11, v14, v10
.LBB47_860:
	s_or_b64 exec, exec, s[6:7]
	s_movk_i32 s4, 0x7f
	v_cmp_gt_i16_sdwa s[6:7], v12, s4 src0_sel:BYTE_3 src1_sel:DWORD
	s_mov_b64 s[4:5], 0
                                        ; implicit-def: $sgpr10
	s_and_saveexec_b64 s[8:9], s[6:7]
	s_xor_b64 s[6:7], exec, s[8:9]
	s_cbranch_execnz .LBB47_2909
; %bb.861:
	s_or_saveexec_b64 s[6:7], s[6:7]
	v_mov_b32_e32 v11, s10
	s_xor_b64 exec, exec, s[6:7]
	s_cbranch_execnz .LBB47_2912
.LBB47_862:
	s_or_b64 exec, exec, s[6:7]
	s_and_saveexec_b64 s[6:7], s[4:5]
	s_cbranch_execz .LBB47_864
.LBB47_863:
	v_bfe_u32 v11, v12, 24, 3
	v_ffbh_u32_e32 v20, v11
	v_min_u32_e32 v20, 32, v20
	v_lshrrev_b32_e32 v15, 27, v12
	v_subrev_u32_e32 v21, 28, v20
	v_and_b32_e32 v14, 0x80000000, v12
	v_and_b32_e32 v15, 15, v15
	v_bfe_u32 v16, v12, 27, 4
	v_lshlrev_b32_sdwa v12, v21, v12 dst_sel:DWORD dst_unused:UNUSED_PAD src0_sel:DWORD src1_sel:BYTE_3
	v_sub_u32_e32 v20, 29, v20
	v_and_b32_e32 v12, 7, v12
	v_cmp_eq_u16_e32 vcc, 0, v15
	v_cndmask_b32_e32 v11, v11, v12, vcc
	v_cndmask_b32_e32 v12, v16, v20, vcc
	v_mov_b32_e32 v15, 0x3b800000
	v_lshlrev_b32_e32 v11, 20, v11
	v_lshl_add_u32 v12, v12, 23, v15
	v_or3_b32 v11, v14, v12, v11
.LBB47_864:
	s_or_b64 exec, exec, s[6:7]
	s_nop 0
	v_mfma_f32_16x16x4f32 a[0:3], v10, v11, a[0:3]
	s_movk_i32 s4, 0x7f
	v_cmp_gt_i16_sdwa s[6:7], v17, s4 src0_sel:BYTE_0 src1_sel:DWORD
	s_mov_b64 s[4:5], 0
                                        ; implicit-def: $sgpr10
	s_and_saveexec_b64 s[8:9], s[6:7]
	s_xor_b64 s[6:7], exec, s[8:9]
	s_cbranch_execnz .LBB47_2913
; %bb.865:
	s_or_saveexec_b64 s[6:7], s[6:7]
	v_mov_b32_e32 v10, s10
	s_xor_b64 exec, exec, s[6:7]
	s_cbranch_execnz .LBB47_2916
.LBB47_866:
	s_or_b64 exec, exec, s[6:7]
	s_and_saveexec_b64 s[6:7], s[4:5]
	s_cbranch_execz .LBB47_868
.LBB47_867:
	v_and_b32_e32 v10, 7, v17
	v_ffbh_u32_e32 v12, v10
	v_min_u32_e32 v12, 32, v12
	v_lshrrev_b16_e32 v11, 3, v17
	v_subrev_u32_e32 v14, 28, v12
	v_and_b32_e32 v11, 15, v11
	v_lshlrev_b32_e32 v14, v14, v17
	v_sub_u32_e32 v12, 29, v12
	v_and_b32_e32 v14, 7, v14
	v_cmp_eq_u16_e32 vcc, 0, v11
	v_cndmask_b32_e32 v10, v10, v14, vcc
	v_cndmask_b32_e32 v11, v11, v12, vcc
	v_lshlrev_b32_e32 v12, 24, v17
	v_mov_b32_e32 v14, 0x3b800000
	v_lshlrev_b32_e32 v10, 20, v10
	v_and_b32_e32 v12, 0x80000000, v12
	v_lshl_add_u32 v11, v11, 23, v14
	v_or3_b32 v10, v12, v11, v10
.LBB47_868:
	s_or_b64 exec, exec, s[6:7]
	s_movk_i32 s4, 0x7f
	v_cmp_gt_i16_sdwa s[6:7], v13, s4 src0_sel:BYTE_0 src1_sel:DWORD
	s_mov_b64 s[4:5], 0
                                        ; implicit-def: $sgpr10
	s_and_saveexec_b64 s[8:9], s[6:7]
	s_xor_b64 s[6:7], exec, s[8:9]
	s_cbranch_execnz .LBB47_2917
; %bb.869:
	s_or_saveexec_b64 s[6:7], s[6:7]
	v_mov_b32_e32 v11, s10
	s_xor_b64 exec, exec, s[6:7]
	s_cbranch_execnz .LBB47_2920
.LBB47_870:
	s_or_b64 exec, exec, s[6:7]
	s_and_saveexec_b64 s[6:7], s[4:5]
	s_cbranch_execz .LBB47_872
.LBB47_871:
	v_and_b32_e32 v11, 7, v13
	v_ffbh_u32_e32 v14, v11
	v_min_u32_e32 v14, 32, v14
	v_lshrrev_b16_e32 v12, 3, v13
	v_subrev_u32_e32 v15, 28, v14
	v_and_b32_e32 v12, 15, v12
	v_lshlrev_b32_e32 v15, v15, v13
	v_sub_u32_e32 v14, 29, v14
	v_and_b32_e32 v15, 7, v15
	v_cmp_eq_u16_e32 vcc, 0, v12
	v_cndmask_b32_e32 v11, v11, v15, vcc
	v_cndmask_b32_e32 v12, v12, v14, vcc
	v_lshlrev_b32_e32 v14, 24, v13
	v_mov_b32_e32 v15, 0x3b800000
	v_lshlrev_b32_e32 v11, 20, v11
	v_and_b32_e32 v14, 0x80000000, v14
	v_lshl_add_u32 v12, v12, 23, v15
	v_or3_b32 v11, v14, v12, v11
.LBB47_872:
	s_or_b64 exec, exec, s[6:7]
	s_nop 0
	v_mfma_f32_16x16x4f32 a[0:3], v10, v11, a[0:3]
	v_lshrrev_b32_e32 v11, 8, v17
	s_movk_i32 s4, 0x7f
	v_cmp_gt_i16_sdwa s[6:7], v11, s4 src0_sel:BYTE_0 src1_sel:DWORD
	s_mov_b64 s[4:5], 0
                                        ; implicit-def: $sgpr10
	s_and_saveexec_b64 s[8:9], s[6:7]
	s_xor_b64 s[6:7], exec, s[8:9]
	s_cbranch_execnz .LBB47_2921
; %bb.873:
	s_or_saveexec_b64 s[6:7], s[6:7]
	v_mov_b32_e32 v10, s10
	s_xor_b64 exec, exec, s[6:7]
	s_cbranch_execnz .LBB47_2924
.LBB47_874:
	s_or_b64 exec, exec, s[6:7]
	s_and_saveexec_b64 s[6:7], s[4:5]
	s_cbranch_execz .LBB47_876
.LBB47_875:
	v_bfe_u32 v10, v17, 8, 3
	v_ffbh_u32_e32 v14, v10
	v_min_u32_e32 v14, 32, v14
	v_lshrrev_b16_e32 v12, 3, v11
	v_subrev_u32_e32 v15, 28, v14
	v_and_b32_e32 v12, 15, v12
	v_lshlrev_b32_e32 v11, v15, v11
	v_sub_u32_e32 v14, 29, v14
	v_and_b32_e32 v11, 7, v11
	v_cmp_eq_u16_e32 vcc, 0, v12
	v_cndmask_b32_e32 v10, v10, v11, vcc
	v_cndmask_b32_e32 v11, v12, v14, vcc
	v_lshlrev_b32_e32 v12, 16, v17
	v_mov_b32_e32 v14, 0x3b800000
	v_lshlrev_b32_e32 v10, 20, v10
	v_and_b32_e32 v12, 0x80000000, v12
	v_lshl_add_u32 v11, v11, 23, v14
	v_or3_b32 v10, v12, v11, v10
.LBB47_876:
	s_or_b64 exec, exec, s[6:7]
	v_lshrrev_b32_e32 v11, 8, v13
	s_movk_i32 s4, 0x7f
	v_cmp_gt_i16_sdwa s[6:7], v11, s4 src0_sel:BYTE_0 src1_sel:DWORD
	s_mov_b64 s[4:5], 0
                                        ; implicit-def: $sgpr10
	s_and_saveexec_b64 s[8:9], s[6:7]
	s_xor_b64 s[6:7], exec, s[8:9]
	s_cbranch_execnz .LBB47_2925
; %bb.877:
	s_or_saveexec_b64 s[6:7], s[6:7]
	v_mov_b32_e32 v12, s10
	s_xor_b64 exec, exec, s[6:7]
	s_cbranch_execnz .LBB47_2928
.LBB47_878:
	s_or_b64 exec, exec, s[6:7]
	s_and_saveexec_b64 s[6:7], s[4:5]
	s_cbranch_execz .LBB47_880
.LBB47_879:
	v_bfe_u32 v12, v13, 8, 3
	v_ffbh_u32_e32 v15, v12
	v_min_u32_e32 v15, 32, v15
	v_lshrrev_b16_e32 v14, 3, v11
	v_subrev_u32_e32 v16, 28, v15
	v_and_b32_e32 v14, 15, v14
	v_lshlrev_b32_e32 v11, v16, v11
	v_sub_u32_e32 v15, 29, v15
	v_and_b32_e32 v11, 7, v11
	v_cmp_eq_u16_e32 vcc, 0, v14
	v_cndmask_b32_e32 v11, v12, v11, vcc
	v_cndmask_b32_e32 v12, v14, v15, vcc
	v_lshlrev_b32_e32 v14, 16, v13
	v_mov_b32_e32 v15, 0x3b800000
	v_lshlrev_b32_e32 v11, 20, v11
	v_and_b32_e32 v14, 0x80000000, v14
	v_lshl_add_u32 v12, v12, 23, v15
	v_or3_b32 v12, v14, v12, v11
.LBB47_880:
	s_or_b64 exec, exec, s[6:7]
	s_nop 0
	v_mfma_f32_16x16x4f32 a[0:3], v10, v12, a[0:3]
	s_movk_i32 s4, 0xff
	v_and_b32_sdwa v11, v17, s4 dst_sel:DWORD dst_unused:UNUSED_PAD src0_sel:WORD_1 src1_sel:DWORD
	s_movk_i32 s4, 0x7f
	v_cmp_lt_i16_e32 vcc, s4, v11
	s_mov_b64 s[4:5], 0
                                        ; implicit-def: $sgpr10
	s_and_saveexec_b64 s[6:7], vcc
	s_xor_b64 s[6:7], exec, s[6:7]
	s_cbranch_execnz .LBB47_2929
; %bb.881:
	s_or_saveexec_b64 s[6:7], s[6:7]
	v_mov_b32_e32 v10, s10
	s_xor_b64 exec, exec, s[6:7]
	s_cbranch_execnz .LBB47_2932
.LBB47_882:
	s_or_b64 exec, exec, s[6:7]
	s_and_saveexec_b64 s[6:7], s[4:5]
	s_cbranch_execz .LBB47_884
.LBB47_883:
	v_bfe_u32 v10, v17, 16, 3
	v_ffbh_u32_e32 v14, v10
	v_min_u32_e32 v14, 32, v14
	v_lshrrev_b32_e32 v11, 19, v17
	v_subrev_u32_e32 v15, 28, v14
	v_and_b32_e32 v11, 15, v11
	v_lshlrev_b32_sdwa v15, v15, v17 dst_sel:DWORD dst_unused:UNUSED_PAD src0_sel:DWORD src1_sel:WORD_1
	v_bfe_u32 v12, v17, 19, 4
	v_sub_u32_e32 v14, 29, v14
	v_and_b32_e32 v15, 7, v15
	v_cmp_eq_u16_e32 vcc, 0, v11
	v_cndmask_b32_e32 v10, v10, v15, vcc
	v_cndmask_b32_e32 v11, v12, v14, vcc
	v_lshlrev_b32_e32 v12, 8, v17
	v_mov_b32_e32 v14, 0x3b800000
	v_lshlrev_b32_e32 v10, 20, v10
	v_and_b32_e32 v12, 0x80000000, v12
	v_lshl_add_u32 v11, v11, 23, v14
	v_or3_b32 v10, v12, v11, v10
.LBB47_884:
	s_or_b64 exec, exec, s[6:7]
	s_movk_i32 s4, 0xff
	v_and_b32_sdwa v11, v13, s4 dst_sel:DWORD dst_unused:UNUSED_PAD src0_sel:WORD_1 src1_sel:DWORD
	s_movk_i32 s4, 0x7f
	v_cmp_lt_i16_e32 vcc, s4, v11
	s_mov_b64 s[4:5], 0
                                        ; implicit-def: $sgpr10
	s_and_saveexec_b64 s[6:7], vcc
	s_xor_b64 s[6:7], exec, s[6:7]
	s_cbranch_execnz .LBB47_2933
; %bb.885:
	s_or_saveexec_b64 s[6:7], s[6:7]
	v_mov_b32_e32 v12, s10
	s_xor_b64 exec, exec, s[6:7]
	s_cbranch_execnz .LBB47_2936
.LBB47_886:
	s_or_b64 exec, exec, s[6:7]
	s_and_saveexec_b64 s[6:7], s[4:5]
	s_cbranch_execz .LBB47_888
.LBB47_887:
	v_bfe_u32 v11, v13, 16, 3
	v_ffbh_u32_e32 v15, v11
	v_min_u32_e32 v15, 32, v15
	v_lshrrev_b32_e32 v12, 19, v13
	v_subrev_u32_e32 v16, 28, v15
	v_and_b32_e32 v12, 15, v12
	v_lshlrev_b32_sdwa v16, v16, v13 dst_sel:DWORD dst_unused:UNUSED_PAD src0_sel:DWORD src1_sel:WORD_1
	v_bfe_u32 v14, v13, 19, 4
	v_sub_u32_e32 v15, 29, v15
	v_and_b32_e32 v16, 7, v16
	v_cmp_eq_u16_e32 vcc, 0, v12
	v_cndmask_b32_e32 v11, v11, v16, vcc
	v_cndmask_b32_e32 v12, v14, v15, vcc
	v_lshlrev_b32_e32 v14, 8, v13
	v_mov_b32_e32 v15, 0x3b800000
	v_lshlrev_b32_e32 v11, 20, v11
	v_and_b32_e32 v14, 0x80000000, v14
	v_lshl_add_u32 v12, v12, 23, v15
	v_or3_b32 v12, v14, v12, v11
.LBB47_888:
	s_or_b64 exec, exec, s[6:7]
	s_nop 0
	v_mfma_f32_16x16x4f32 a[0:3], v10, v12, a[0:3]
	s_movk_i32 s4, 0x7f
	v_cmp_gt_i16_sdwa s[6:7], v17, s4 src0_sel:BYTE_3 src1_sel:DWORD
	s_mov_b64 s[4:5], 0
                                        ; implicit-def: $sgpr10
	s_and_saveexec_b64 s[8:9], s[6:7]
	s_xor_b64 s[6:7], exec, s[8:9]
	s_cbranch_execnz .LBB47_2937
; %bb.889:
	s_or_saveexec_b64 s[6:7], s[6:7]
	v_mov_b32_e32 v10, s10
	s_xor_b64 exec, exec, s[6:7]
	s_cbranch_execnz .LBB47_2940
.LBB47_890:
	s_or_b64 exec, exec, s[6:7]
	s_and_saveexec_b64 s[6:7], s[4:5]
	s_cbranch_execz .LBB47_892
.LBB47_891:
	v_bfe_u32 v10, v17, 24, 3
	v_ffbh_u32_e32 v15, v10
	v_min_u32_e32 v15, 32, v15
	v_lshrrev_b32_e32 v12, 27, v17
	v_subrev_u32_e32 v16, 28, v15
	v_and_b32_e32 v12, 15, v12
	v_lshlrev_b32_sdwa v16, v16, v17 dst_sel:DWORD dst_unused:UNUSED_PAD src0_sel:DWORD src1_sel:BYTE_3
	v_bfe_u32 v14, v17, 27, 4
	v_sub_u32_e32 v15, 29, v15
	v_and_b32_e32 v16, 7, v16
	v_cmp_eq_u16_e32 vcc, 0, v12
	v_cndmask_b32_e32 v10, v10, v16, vcc
	v_cndmask_b32_e32 v12, v14, v15, vcc
	v_mov_b32_e32 v14, 0x3b800000
	v_and_b32_e32 v11, 0x80000000, v17
	v_lshlrev_b32_e32 v10, 20, v10
	v_lshl_add_u32 v12, v12, 23, v14
	v_or3_b32 v10, v11, v12, v10
.LBB47_892:
	s_or_b64 exec, exec, s[6:7]
	s_movk_i32 s4, 0x7f
	v_cmp_gt_i16_sdwa s[6:7], v13, s4 src0_sel:BYTE_3 src1_sel:DWORD
	s_mov_b64 s[4:5], 0
                                        ; implicit-def: $sgpr10
	s_and_saveexec_b64 s[8:9], s[6:7]
	s_xor_b64 s[6:7], exec, s[8:9]
	s_cbranch_execnz .LBB47_2941
; %bb.893:
	s_or_saveexec_b64 s[6:7], s[6:7]
	v_mov_b32_e32 v11, s10
	s_xor_b64 exec, exec, s[6:7]
	s_cbranch_execnz .LBB47_2944
.LBB47_894:
	s_or_b64 exec, exec, s[6:7]
	s_and_saveexec_b64 s[6:7], s[4:5]
	s_cbranch_execz .LBB47_896
.LBB47_895:
	v_bfe_u32 v11, v13, 24, 3
	v_ffbh_u32_e32 v16, v11
	v_min_u32_e32 v16, 32, v16
	v_lshrrev_b32_e32 v14, 27, v13
	v_subrev_u32_e32 v17, 28, v16
	v_and_b32_e32 v12, 0x80000000, v13
	v_and_b32_e32 v14, 15, v14
	v_bfe_u32 v15, v13, 27, 4
	v_lshlrev_b32_sdwa v13, v17, v13 dst_sel:DWORD dst_unused:UNUSED_PAD src0_sel:DWORD src1_sel:BYTE_3
	v_sub_u32_e32 v16, 29, v16
	v_and_b32_e32 v13, 7, v13
	v_cmp_eq_u16_e32 vcc, 0, v14
	v_cndmask_b32_e32 v11, v11, v13, vcc
	v_cndmask_b32_e32 v13, v15, v16, vcc
	v_mov_b32_e32 v14, 0x3b800000
	v_lshlrev_b32_e32 v11, 20, v11
	v_lshl_add_u32 v13, v13, 23, v14
	v_or3_b32 v11, v12, v13, v11
.LBB47_896:
	s_or_b64 exec, exec, s[6:7]
	s_nop 0
	v_mfma_f32_16x16x4f32 a[0:3], v10, v11, a[0:3]
	s_movk_i32 s4, 0x7f
	v_cmp_gt_i16_sdwa s[6:7], v6, s4 src0_sel:BYTE_0 src1_sel:DWORD
	s_mov_b64 s[4:5], 0
                                        ; implicit-def: $sgpr10
	s_and_saveexec_b64 s[8:9], s[6:7]
	s_xor_b64 s[6:7], exec, s[8:9]
	s_cbranch_execnz .LBB47_2945
; %bb.897:
	s_or_saveexec_b64 s[6:7], s[6:7]
	v_mov_b32_e32 v10, s10
	s_xor_b64 exec, exec, s[6:7]
	s_cbranch_execnz .LBB47_2948
.LBB47_898:
	s_or_b64 exec, exec, s[6:7]
	s_and_saveexec_b64 s[6:7], s[4:5]
	s_cbranch_execz .LBB47_900
.LBB47_899:
	v_and_b32_e32 v10, 7, v6
	v_ffbh_u32_e32 v12, v10
	v_min_u32_e32 v12, 32, v12
	v_lshrrev_b16_e32 v11, 3, v6
	v_subrev_u32_e32 v13, 28, v12
	v_and_b32_e32 v11, 15, v11
	v_lshlrev_b32_e32 v13, v13, v6
	v_sub_u32_e32 v12, 29, v12
	v_and_b32_e32 v13, 7, v13
	v_cmp_eq_u16_e32 vcc, 0, v11
	v_cndmask_b32_e32 v10, v10, v13, vcc
	v_cndmask_b32_e32 v11, v11, v12, vcc
	v_lshlrev_b32_e32 v12, 24, v6
	v_mov_b32_e32 v13, 0x3b800000
	v_lshlrev_b32_e32 v10, 20, v10
	v_and_b32_e32 v12, 0x80000000, v12
	v_lshl_add_u32 v11, v11, 23, v13
	v_or3_b32 v10, v12, v11, v10
.LBB47_900:
	s_or_b64 exec, exec, s[6:7]
	s_movk_i32 s4, 0x7f
	v_cmp_gt_i16_sdwa s[6:7], v2, s4 src0_sel:BYTE_0 src1_sel:DWORD
	s_mov_b64 s[4:5], 0
                                        ; implicit-def: $sgpr10
	s_and_saveexec_b64 s[8:9], s[6:7]
	s_xor_b64 s[6:7], exec, s[8:9]
	s_cbranch_execnz .LBB47_2949
; %bb.901:
	s_or_saveexec_b64 s[6:7], s[6:7]
	v_mov_b32_e32 v11, s10
	s_xor_b64 exec, exec, s[6:7]
	s_cbranch_execnz .LBB47_2952
.LBB47_902:
	s_or_b64 exec, exec, s[6:7]
	s_and_saveexec_b64 s[6:7], s[4:5]
	s_cbranch_execz .LBB47_904
.LBB47_903:
	v_and_b32_e32 v11, 7, v2
	v_ffbh_u32_e32 v13, v11
	v_min_u32_e32 v13, 32, v13
	v_lshrrev_b16_e32 v12, 3, v2
	v_subrev_u32_e32 v14, 28, v13
	v_and_b32_e32 v12, 15, v12
	v_lshlrev_b32_e32 v14, v14, v2
	v_sub_u32_e32 v13, 29, v13
	v_and_b32_e32 v14, 7, v14
	v_cmp_eq_u16_e32 vcc, 0, v12
	v_cndmask_b32_e32 v11, v11, v14, vcc
	v_cndmask_b32_e32 v12, v12, v13, vcc
	v_lshlrev_b32_e32 v13, 24, v2
	v_mov_b32_e32 v14, 0x3b800000
	v_lshlrev_b32_e32 v11, 20, v11
	v_and_b32_e32 v13, 0x80000000, v13
	v_lshl_add_u32 v12, v12, 23, v14
	v_or3_b32 v11, v13, v12, v11
.LBB47_904:
	s_or_b64 exec, exec, s[6:7]
	s_nop 0
	v_mfma_f32_16x16x4f32 a[0:3], v10, v11, a[0:3]
	v_lshrrev_b32_e32 v11, 8, v6
	s_movk_i32 s4, 0x7f
	v_cmp_gt_i16_sdwa s[6:7], v11, s4 src0_sel:BYTE_0 src1_sel:DWORD
	s_mov_b64 s[4:5], 0
                                        ; implicit-def: $sgpr10
	s_and_saveexec_b64 s[8:9], s[6:7]
	s_xor_b64 s[6:7], exec, s[8:9]
	s_cbranch_execnz .LBB47_2953
; %bb.905:
	s_or_saveexec_b64 s[6:7], s[6:7]
	v_mov_b32_e32 v10, s10
	s_xor_b64 exec, exec, s[6:7]
	s_cbranch_execnz .LBB47_2956
.LBB47_906:
	s_or_b64 exec, exec, s[6:7]
	s_and_saveexec_b64 s[6:7], s[4:5]
	s_cbranch_execz .LBB47_908
.LBB47_907:
	v_bfe_u32 v10, v6, 8, 3
	v_ffbh_u32_e32 v13, v10
	v_min_u32_e32 v13, 32, v13
	v_lshrrev_b16_e32 v12, 3, v11
	v_subrev_u32_e32 v14, 28, v13
	v_and_b32_e32 v12, 15, v12
	v_lshlrev_b32_e32 v11, v14, v11
	v_sub_u32_e32 v13, 29, v13
	v_and_b32_e32 v11, 7, v11
	v_cmp_eq_u16_e32 vcc, 0, v12
	v_cndmask_b32_e32 v10, v10, v11, vcc
	v_cndmask_b32_e32 v11, v12, v13, vcc
	v_lshlrev_b32_e32 v12, 16, v6
	v_mov_b32_e32 v13, 0x3b800000
	v_lshlrev_b32_e32 v10, 20, v10
	v_and_b32_e32 v12, 0x80000000, v12
	v_lshl_add_u32 v11, v11, 23, v13
	v_or3_b32 v10, v12, v11, v10
.LBB47_908:
	s_or_b64 exec, exec, s[6:7]
	v_lshrrev_b32_e32 v11, 8, v2
	s_movk_i32 s4, 0x7f
	v_cmp_gt_i16_sdwa s[6:7], v11, s4 src0_sel:BYTE_0 src1_sel:DWORD
	s_mov_b64 s[4:5], 0
                                        ; implicit-def: $sgpr10
	s_and_saveexec_b64 s[8:9], s[6:7]
	s_xor_b64 s[6:7], exec, s[8:9]
	s_cbranch_execnz .LBB47_2957
; %bb.909:
	s_or_saveexec_b64 s[6:7], s[6:7]
	v_mov_b32_e32 v12, s10
	s_xor_b64 exec, exec, s[6:7]
	s_cbranch_execnz .LBB47_2960
.LBB47_910:
	s_or_b64 exec, exec, s[6:7]
	s_and_saveexec_b64 s[6:7], s[4:5]
	s_cbranch_execz .LBB47_912
.LBB47_911:
	v_bfe_u32 v12, v2, 8, 3
	v_ffbh_u32_e32 v14, v12
	v_min_u32_e32 v14, 32, v14
	v_lshrrev_b16_e32 v13, 3, v11
	v_subrev_u32_e32 v15, 28, v14
	v_and_b32_e32 v13, 15, v13
	v_lshlrev_b32_e32 v11, v15, v11
	v_sub_u32_e32 v14, 29, v14
	v_and_b32_e32 v11, 7, v11
	v_cmp_eq_u16_e32 vcc, 0, v13
	v_cndmask_b32_e32 v11, v12, v11, vcc
	v_cndmask_b32_e32 v12, v13, v14, vcc
	v_lshlrev_b32_e32 v13, 16, v2
	v_mov_b32_e32 v14, 0x3b800000
	v_lshlrev_b32_e32 v11, 20, v11
	v_and_b32_e32 v13, 0x80000000, v13
	v_lshl_add_u32 v12, v12, 23, v14
	v_or3_b32 v12, v13, v12, v11
.LBB47_912:
	s_or_b64 exec, exec, s[6:7]
	s_nop 0
	v_mfma_f32_16x16x4f32 a[0:3], v10, v12, a[0:3]
	s_movk_i32 s4, 0xff
	v_and_b32_sdwa v11, v6, s4 dst_sel:DWORD dst_unused:UNUSED_PAD src0_sel:WORD_1 src1_sel:DWORD
	s_movk_i32 s4, 0x7f
	v_cmp_lt_i16_e32 vcc, s4, v11
	s_mov_b64 s[4:5], 0
                                        ; implicit-def: $sgpr10
	s_and_saveexec_b64 s[6:7], vcc
	s_xor_b64 s[6:7], exec, s[6:7]
	s_cbranch_execnz .LBB47_2961
; %bb.913:
	s_or_saveexec_b64 s[6:7], s[6:7]
	v_mov_b32_e32 v10, s10
	s_xor_b64 exec, exec, s[6:7]
	s_cbranch_execnz .LBB47_2964
.LBB47_914:
	s_or_b64 exec, exec, s[6:7]
	s_and_saveexec_b64 s[6:7], s[4:5]
	s_cbranch_execz .LBB47_916
.LBB47_915:
	v_bfe_u32 v10, v6, 16, 3
	v_ffbh_u32_e32 v13, v10
	v_min_u32_e32 v13, 32, v13
	v_lshrrev_b32_e32 v11, 19, v6
	v_subrev_u32_e32 v14, 28, v13
	v_and_b32_e32 v11, 15, v11
	v_lshlrev_b32_sdwa v14, v14, v6 dst_sel:DWORD dst_unused:UNUSED_PAD src0_sel:DWORD src1_sel:WORD_1
	v_bfe_u32 v12, v6, 19, 4
	v_sub_u32_e32 v13, 29, v13
	v_and_b32_e32 v14, 7, v14
	v_cmp_eq_u16_e32 vcc, 0, v11
	v_cndmask_b32_e32 v10, v10, v14, vcc
	v_cndmask_b32_e32 v11, v12, v13, vcc
	v_lshlrev_b32_e32 v12, 8, v6
	v_mov_b32_e32 v13, 0x3b800000
	v_lshlrev_b32_e32 v10, 20, v10
	v_and_b32_e32 v12, 0x80000000, v12
	v_lshl_add_u32 v11, v11, 23, v13
	v_or3_b32 v10, v12, v11, v10
.LBB47_916:
	s_or_b64 exec, exec, s[6:7]
	s_movk_i32 s4, 0xff
	v_and_b32_sdwa v11, v2, s4 dst_sel:DWORD dst_unused:UNUSED_PAD src0_sel:WORD_1 src1_sel:DWORD
	s_movk_i32 s4, 0x7f
	v_cmp_lt_i16_e32 vcc, s4, v11
	s_mov_b64 s[4:5], 0
                                        ; implicit-def: $sgpr10
	s_and_saveexec_b64 s[6:7], vcc
	s_xor_b64 s[6:7], exec, s[6:7]
	s_cbranch_execnz .LBB47_2965
; %bb.917:
	s_or_saveexec_b64 s[6:7], s[6:7]
	v_mov_b32_e32 v12, s10
	s_xor_b64 exec, exec, s[6:7]
	s_cbranch_execnz .LBB47_2968
.LBB47_918:
	s_or_b64 exec, exec, s[6:7]
	s_and_saveexec_b64 s[6:7], s[4:5]
	s_cbranch_execz .LBB47_920
.LBB47_919:
	v_bfe_u32 v11, v2, 16, 3
	v_ffbh_u32_e32 v14, v11
	v_min_u32_e32 v14, 32, v14
	v_lshrrev_b32_e32 v12, 19, v2
	v_subrev_u32_e32 v15, 28, v14
	v_and_b32_e32 v12, 15, v12
	v_lshlrev_b32_sdwa v15, v15, v2 dst_sel:DWORD dst_unused:UNUSED_PAD src0_sel:DWORD src1_sel:WORD_1
	v_bfe_u32 v13, v2, 19, 4
	v_sub_u32_e32 v14, 29, v14
	v_and_b32_e32 v15, 7, v15
	v_cmp_eq_u16_e32 vcc, 0, v12
	v_cndmask_b32_e32 v11, v11, v15, vcc
	v_cndmask_b32_e32 v12, v13, v14, vcc
	v_lshlrev_b32_e32 v13, 8, v2
	v_mov_b32_e32 v14, 0x3b800000
	v_lshlrev_b32_e32 v11, 20, v11
	v_and_b32_e32 v13, 0x80000000, v13
	v_lshl_add_u32 v12, v12, 23, v14
	v_or3_b32 v12, v13, v12, v11
.LBB47_920:
	s_or_b64 exec, exec, s[6:7]
	s_nop 0
	v_mfma_f32_16x16x4f32 a[0:3], v10, v12, a[0:3]
	s_movk_i32 s4, 0x7f
	v_cmp_gt_i16_sdwa s[6:7], v6, s4 src0_sel:BYTE_3 src1_sel:DWORD
	s_mov_b64 s[4:5], 0
                                        ; implicit-def: $sgpr10
	s_and_saveexec_b64 s[8:9], s[6:7]
	s_xor_b64 s[6:7], exec, s[8:9]
	s_cbranch_execnz .LBB47_2969
; %bb.921:
	s_or_saveexec_b64 s[6:7], s[6:7]
	v_mov_b32_e32 v10, s10
	s_xor_b64 exec, exec, s[6:7]
	s_cbranch_execnz .LBB47_2972
.LBB47_922:
	s_or_b64 exec, exec, s[6:7]
	s_and_saveexec_b64 s[6:7], s[4:5]
	s_cbranch_execz .LBB47_924
.LBB47_923:
	v_bfe_u32 v10, v6, 24, 3
	v_ffbh_u32_e32 v14, v10
	v_min_u32_e32 v14, 32, v14
	v_lshrrev_b32_e32 v12, 27, v6
	v_subrev_u32_e32 v15, 28, v14
	v_and_b32_e32 v11, 0x80000000, v6
	v_and_b32_e32 v12, 15, v12
	v_bfe_u32 v13, v6, 27, 4
	v_lshlrev_b32_sdwa v6, v15, v6 dst_sel:DWORD dst_unused:UNUSED_PAD src0_sel:DWORD src1_sel:BYTE_3
	v_sub_u32_e32 v14, 29, v14
	v_and_b32_e32 v6, 7, v6
	v_cmp_eq_u16_e32 vcc, 0, v12
	v_cndmask_b32_e32 v6, v10, v6, vcc
	v_cndmask_b32_e32 v10, v13, v14, vcc
	v_mov_b32_e32 v12, 0x3b800000
	v_lshlrev_b32_e32 v6, 20, v6
	v_lshl_add_u32 v10, v10, 23, v12
	v_or3_b32 v10, v11, v10, v6
.LBB47_924:
	s_or_b64 exec, exec, s[6:7]
	s_movk_i32 s4, 0x7f
	v_cmp_gt_i16_sdwa s[6:7], v2, s4 src0_sel:BYTE_3 src1_sel:DWORD
	s_mov_b64 s[4:5], 0
                                        ; implicit-def: $sgpr10
	s_and_saveexec_b64 s[8:9], s[6:7]
	s_xor_b64 s[6:7], exec, s[8:9]
	s_cbranch_execnz .LBB47_2973
; %bb.925:
	s_or_saveexec_b64 s[6:7], s[6:7]
	v_mov_b32_e32 v6, s10
	s_xor_b64 exec, exec, s[6:7]
	s_cbranch_execnz .LBB47_2976
.LBB47_926:
	s_or_b64 exec, exec, s[6:7]
	s_and_saveexec_b64 s[6:7], s[4:5]
	s_cbranch_execz .LBB47_928
.LBB47_927:
	v_bfe_u32 v6, v2, 24, 3
	v_ffbh_u32_e32 v14, v6
	v_min_u32_e32 v14, 32, v14
	v_lshrrev_b32_e32 v12, 27, v2
	v_subrev_u32_e32 v15, 28, v14
	v_and_b32_e32 v11, 0x80000000, v2
	v_and_b32_e32 v12, 15, v12
	v_bfe_u32 v13, v2, 27, 4
	v_lshlrev_b32_sdwa v2, v15, v2 dst_sel:DWORD dst_unused:UNUSED_PAD src0_sel:DWORD src1_sel:BYTE_3
	v_sub_u32_e32 v14, 29, v14
	v_and_b32_e32 v2, 7, v2
	v_cmp_eq_u16_e32 vcc, 0, v12
	v_cndmask_b32_e32 v2, v6, v2, vcc
	v_cndmask_b32_e32 v6, v13, v14, vcc
	v_mov_b32_e32 v12, 0x3b800000
	v_lshlrev_b32_e32 v2, 20, v2
	v_lshl_add_u32 v6, v6, 23, v12
	v_or3_b32 v6, v11, v6, v2
.LBB47_928:
	s_or_b64 exec, exec, s[6:7]
	s_nop 0
	v_mfma_f32_16x16x4f32 a[0:3], v10, v6, a[0:3]
	s_movk_i32 s4, 0x7f
	v_cmp_gt_i16_sdwa s[6:7], v7, s4 src0_sel:BYTE_0 src1_sel:DWORD
	s_mov_b64 s[4:5], 0
                                        ; implicit-def: $sgpr10
	s_and_saveexec_b64 s[8:9], s[6:7]
	s_xor_b64 s[6:7], exec, s[8:9]
	s_cbranch_execnz .LBB47_2977
; %bb.929:
	s_or_saveexec_b64 s[6:7], s[6:7]
	v_mov_b32_e32 v2, s10
	s_xor_b64 exec, exec, s[6:7]
	s_cbranch_execnz .LBB47_2980
.LBB47_930:
	s_or_b64 exec, exec, s[6:7]
	s_and_saveexec_b64 s[6:7], s[4:5]
	s_cbranch_execz .LBB47_932
.LBB47_931:
	v_and_b32_e32 v2, 7, v7
	v_ffbh_u32_e32 v10, v2
	v_min_u32_e32 v10, 32, v10
	v_lshrrev_b16_e32 v6, 3, v7
	v_subrev_u32_e32 v11, 28, v10
	v_and_b32_e32 v6, 15, v6
	v_lshlrev_b32_e32 v11, v11, v7
	v_sub_u32_e32 v10, 29, v10
	v_and_b32_e32 v11, 7, v11
	v_cmp_eq_u16_e32 vcc, 0, v6
	v_cndmask_b32_e32 v2, v2, v11, vcc
	v_cndmask_b32_e32 v6, v6, v10, vcc
	v_lshlrev_b32_e32 v10, 24, v7
	v_mov_b32_e32 v11, 0x3b800000
	v_lshlrev_b32_e32 v2, 20, v2
	v_and_b32_e32 v10, 0x80000000, v10
	v_lshl_add_u32 v6, v6, 23, v11
	v_or3_b32 v2, v10, v6, v2
.LBB47_932:
	s_or_b64 exec, exec, s[6:7]
	s_movk_i32 s4, 0x7f
	v_cmp_gt_i16_sdwa s[6:7], v3, s4 src0_sel:BYTE_0 src1_sel:DWORD
	s_mov_b64 s[4:5], 0
                                        ; implicit-def: $sgpr10
	s_and_saveexec_b64 s[8:9], s[6:7]
	s_xor_b64 s[6:7], exec, s[8:9]
	s_cbranch_execnz .LBB47_2981
; %bb.933:
	s_or_saveexec_b64 s[6:7], s[6:7]
	v_mov_b32_e32 v6, s10
	s_xor_b64 exec, exec, s[6:7]
	s_cbranch_execnz .LBB47_2984
.LBB47_934:
	s_or_b64 exec, exec, s[6:7]
	s_and_saveexec_b64 s[6:7], s[4:5]
	s_cbranch_execz .LBB47_936
.LBB47_935:
	v_and_b32_e32 v6, 7, v3
	v_ffbh_u32_e32 v11, v6
	v_min_u32_e32 v11, 32, v11
	v_lshrrev_b16_e32 v10, 3, v3
	v_subrev_u32_e32 v12, 28, v11
	v_and_b32_e32 v10, 15, v10
	v_lshlrev_b32_e32 v12, v12, v3
	v_sub_u32_e32 v11, 29, v11
	v_and_b32_e32 v12, 7, v12
	v_cmp_eq_u16_e32 vcc, 0, v10
	v_cndmask_b32_e32 v6, v6, v12, vcc
	v_cndmask_b32_e32 v10, v10, v11, vcc
	v_lshlrev_b32_e32 v11, 24, v3
	v_mov_b32_e32 v12, 0x3b800000
	v_lshlrev_b32_e32 v6, 20, v6
	v_and_b32_e32 v11, 0x80000000, v11
	v_lshl_add_u32 v10, v10, 23, v12
	v_or3_b32 v6, v11, v10, v6
.LBB47_936:
	s_or_b64 exec, exec, s[6:7]
	s_nop 0
	v_mfma_f32_16x16x4f32 a[0:3], v2, v6, a[0:3]
	v_lshrrev_b32_e32 v6, 8, v7
	s_movk_i32 s4, 0x7f
	v_cmp_gt_i16_sdwa s[6:7], v6, s4 src0_sel:BYTE_0 src1_sel:DWORD
	s_mov_b64 s[4:5], 0
                                        ; implicit-def: $sgpr10
	s_and_saveexec_b64 s[8:9], s[6:7]
	s_xor_b64 s[6:7], exec, s[8:9]
	s_cbranch_execnz .LBB47_2985
; %bb.937:
	s_or_saveexec_b64 s[6:7], s[6:7]
	v_mov_b32_e32 v2, s10
	s_xor_b64 exec, exec, s[6:7]
	s_cbranch_execnz .LBB47_2988
.LBB47_938:
	s_or_b64 exec, exec, s[6:7]
	s_and_saveexec_b64 s[6:7], s[4:5]
	s_cbranch_execz .LBB47_940
.LBB47_939:
	v_bfe_u32 v2, v7, 8, 3
	v_ffbh_u32_e32 v11, v2
	v_min_u32_e32 v11, 32, v11
	v_lshrrev_b16_e32 v10, 3, v6
	v_subrev_u32_e32 v12, 28, v11
	v_and_b32_e32 v10, 15, v10
	v_lshlrev_b32_e32 v6, v12, v6
	v_sub_u32_e32 v11, 29, v11
	v_and_b32_e32 v6, 7, v6
	v_cmp_eq_u16_e32 vcc, 0, v10
	v_cndmask_b32_e32 v2, v2, v6, vcc
	v_cndmask_b32_e32 v6, v10, v11, vcc
	v_lshlrev_b32_e32 v10, 16, v7
	v_mov_b32_e32 v11, 0x3b800000
	v_lshlrev_b32_e32 v2, 20, v2
	v_and_b32_e32 v10, 0x80000000, v10
	v_lshl_add_u32 v6, v6, 23, v11
	v_or3_b32 v2, v10, v6, v2
.LBB47_940:
	s_or_b64 exec, exec, s[6:7]
	v_lshrrev_b32_e32 v6, 8, v3
	s_movk_i32 s4, 0x7f
	v_cmp_gt_i16_sdwa s[6:7], v6, s4 src0_sel:BYTE_0 src1_sel:DWORD
	s_mov_b64 s[4:5], 0
                                        ; implicit-def: $sgpr10
	s_and_saveexec_b64 s[8:9], s[6:7]
	s_xor_b64 s[6:7], exec, s[8:9]
	s_cbranch_execnz .LBB47_2989
; %bb.941:
	s_or_saveexec_b64 s[6:7], s[6:7]
	v_mov_b32_e32 v10, s10
	s_xor_b64 exec, exec, s[6:7]
	s_cbranch_execnz .LBB47_2992
.LBB47_942:
	s_or_b64 exec, exec, s[6:7]
	s_and_saveexec_b64 s[6:7], s[4:5]
	s_cbranch_execz .LBB47_944
.LBB47_943:
	v_bfe_u32 v10, v3, 8, 3
	v_ffbh_u32_e32 v12, v10
	v_min_u32_e32 v12, 32, v12
	v_lshrrev_b16_e32 v11, 3, v6
	v_subrev_u32_e32 v13, 28, v12
	v_and_b32_e32 v11, 15, v11
	v_lshlrev_b32_e32 v6, v13, v6
	v_sub_u32_e32 v12, 29, v12
	v_and_b32_e32 v6, 7, v6
	v_cmp_eq_u16_e32 vcc, 0, v11
	v_cndmask_b32_e32 v6, v10, v6, vcc
	v_cndmask_b32_e32 v10, v11, v12, vcc
	v_lshlrev_b32_e32 v11, 16, v3
	v_mov_b32_e32 v12, 0x3b800000
	v_lshlrev_b32_e32 v6, 20, v6
	v_and_b32_e32 v11, 0x80000000, v11
	v_lshl_add_u32 v10, v10, 23, v12
	v_or3_b32 v10, v11, v10, v6
.LBB47_944:
	s_or_b64 exec, exec, s[6:7]
	s_nop 0
	v_mfma_f32_16x16x4f32 a[0:3], v2, v10, a[0:3]
	s_movk_i32 s4, 0xff
	v_and_b32_sdwa v6, v7, s4 dst_sel:DWORD dst_unused:UNUSED_PAD src0_sel:WORD_1 src1_sel:DWORD
	s_movk_i32 s4, 0x7f
	v_cmp_lt_i16_e32 vcc, s4, v6
	s_mov_b64 s[4:5], 0
                                        ; implicit-def: $sgpr10
	s_and_saveexec_b64 s[6:7], vcc
	s_xor_b64 s[6:7], exec, s[6:7]
	s_cbranch_execnz .LBB47_2993
; %bb.945:
	s_or_saveexec_b64 s[6:7], s[6:7]
	v_mov_b32_e32 v2, s10
	s_xor_b64 exec, exec, s[6:7]
	s_cbranch_execnz .LBB47_2996
.LBB47_946:
	s_or_b64 exec, exec, s[6:7]
	s_and_saveexec_b64 s[6:7], s[4:5]
	s_cbranch_execz .LBB47_948
.LBB47_947:
	v_bfe_u32 v2, v7, 16, 3
	v_ffbh_u32_e32 v11, v2
	v_min_u32_e32 v11, 32, v11
	v_lshrrev_b32_e32 v6, 19, v7
	v_subrev_u32_e32 v12, 28, v11
	v_and_b32_e32 v6, 15, v6
	v_lshlrev_b32_sdwa v12, v12, v7 dst_sel:DWORD dst_unused:UNUSED_PAD src0_sel:DWORD src1_sel:WORD_1
	v_bfe_u32 v10, v7, 19, 4
	v_sub_u32_e32 v11, 29, v11
	v_and_b32_e32 v12, 7, v12
	v_cmp_eq_u16_e32 vcc, 0, v6
	v_cndmask_b32_e32 v2, v2, v12, vcc
	v_cndmask_b32_e32 v6, v10, v11, vcc
	v_lshlrev_b32_e32 v10, 8, v7
	v_mov_b32_e32 v11, 0x3b800000
	v_lshlrev_b32_e32 v2, 20, v2
	v_and_b32_e32 v10, 0x80000000, v10
	v_lshl_add_u32 v6, v6, 23, v11
	v_or3_b32 v2, v10, v6, v2
.LBB47_948:
	s_or_b64 exec, exec, s[6:7]
	s_movk_i32 s4, 0xff
	v_and_b32_sdwa v6, v3, s4 dst_sel:DWORD dst_unused:UNUSED_PAD src0_sel:WORD_1 src1_sel:DWORD
	s_movk_i32 s4, 0x7f
	v_cmp_lt_i16_e32 vcc, s4, v6
	s_mov_b64 s[4:5], 0
                                        ; implicit-def: $sgpr10
	s_and_saveexec_b64 s[6:7], vcc
	s_xor_b64 s[6:7], exec, s[6:7]
	s_cbranch_execnz .LBB47_2997
; %bb.949:
	s_or_saveexec_b64 s[6:7], s[6:7]
	v_mov_b32_e32 v10, s10
	s_xor_b64 exec, exec, s[6:7]
	s_cbranch_execnz .LBB47_3000
.LBB47_950:
	s_or_b64 exec, exec, s[6:7]
	s_and_saveexec_b64 s[6:7], s[4:5]
	s_cbranch_execz .LBB47_952
.LBB47_951:
	v_bfe_u32 v6, v3, 16, 3
	v_ffbh_u32_e32 v12, v6
	v_min_u32_e32 v12, 32, v12
	v_lshrrev_b32_e32 v10, 19, v3
	v_subrev_u32_e32 v13, 28, v12
	v_and_b32_e32 v10, 15, v10
	v_lshlrev_b32_sdwa v13, v13, v3 dst_sel:DWORD dst_unused:UNUSED_PAD src0_sel:DWORD src1_sel:WORD_1
	v_bfe_u32 v11, v3, 19, 4
	v_sub_u32_e32 v12, 29, v12
	v_and_b32_e32 v13, 7, v13
	v_cmp_eq_u16_e32 vcc, 0, v10
	v_cndmask_b32_e32 v6, v6, v13, vcc
	v_cndmask_b32_e32 v10, v11, v12, vcc
	v_lshlrev_b32_e32 v11, 8, v3
	v_mov_b32_e32 v12, 0x3b800000
	v_lshlrev_b32_e32 v6, 20, v6
	v_and_b32_e32 v11, 0x80000000, v11
	v_lshl_add_u32 v10, v10, 23, v12
	v_or3_b32 v10, v11, v10, v6
.LBB47_952:
	s_or_b64 exec, exec, s[6:7]
	s_nop 0
	v_mfma_f32_16x16x4f32 a[0:3], v2, v10, a[0:3]
	s_movk_i32 s4, 0x7f
	v_cmp_gt_i16_sdwa s[6:7], v7, s4 src0_sel:BYTE_3 src1_sel:DWORD
	s_mov_b64 s[4:5], 0
                                        ; implicit-def: $sgpr10
	s_and_saveexec_b64 s[8:9], s[6:7]
	s_xor_b64 s[6:7], exec, s[8:9]
	s_cbranch_execnz .LBB47_3001
; %bb.953:
	s_or_saveexec_b64 s[6:7], s[6:7]
	v_mov_b32_e32 v2, s10
	s_xor_b64 exec, exec, s[6:7]
	s_cbranch_execnz .LBB47_3004
.LBB47_954:
	s_or_b64 exec, exec, s[6:7]
	s_and_saveexec_b64 s[6:7], s[4:5]
	s_cbranch_execz .LBB47_956
.LBB47_955:
	v_bfe_u32 v2, v7, 24, 3
	v_ffbh_u32_e32 v12, v2
	v_min_u32_e32 v12, 32, v12
	v_lshrrev_b32_e32 v10, 27, v7
	v_subrev_u32_e32 v13, 28, v12
	v_and_b32_e32 v6, 0x80000000, v7
	v_and_b32_e32 v10, 15, v10
	v_bfe_u32 v11, v7, 27, 4
	v_lshlrev_b32_sdwa v7, v13, v7 dst_sel:DWORD dst_unused:UNUSED_PAD src0_sel:DWORD src1_sel:BYTE_3
	v_sub_u32_e32 v12, 29, v12
	v_and_b32_e32 v7, 7, v7
	v_cmp_eq_u16_e32 vcc, 0, v10
	v_cndmask_b32_e32 v2, v2, v7, vcc
	v_cndmask_b32_e32 v7, v11, v12, vcc
	v_mov_b32_e32 v10, 0x3b800000
	v_lshlrev_b32_e32 v2, 20, v2
	v_lshl_add_u32 v7, v7, 23, v10
	v_or3_b32 v2, v6, v7, v2
.LBB47_956:
	s_or_b64 exec, exec, s[6:7]
	s_movk_i32 s4, 0x7f
	v_cmp_gt_i16_sdwa s[6:7], v3, s4 src0_sel:BYTE_3 src1_sel:DWORD
	s_mov_b64 s[4:5], 0
                                        ; implicit-def: $sgpr10
	s_and_saveexec_b64 s[8:9], s[6:7]
	s_xor_b64 s[6:7], exec, s[8:9]
	s_cbranch_execnz .LBB47_3005
; %bb.957:
	s_or_saveexec_b64 s[6:7], s[6:7]
	v_mov_b32_e32 v6, s10
	s_xor_b64 exec, exec, s[6:7]
	s_cbranch_execnz .LBB47_3008
.LBB47_958:
	s_or_b64 exec, exec, s[6:7]
	s_and_saveexec_b64 s[6:7], s[4:5]
	s_cbranch_execz .LBB47_960
.LBB47_959:
	v_bfe_u32 v6, v3, 24, 3
	v_ffbh_u32_e32 v12, v6
	v_min_u32_e32 v12, 32, v12
	v_lshrrev_b32_e32 v10, 27, v3
	v_subrev_u32_e32 v13, 28, v12
	v_and_b32_e32 v7, 0x80000000, v3
	v_and_b32_e32 v10, 15, v10
	v_bfe_u32 v11, v3, 27, 4
	v_lshlrev_b32_sdwa v3, v13, v3 dst_sel:DWORD dst_unused:UNUSED_PAD src0_sel:DWORD src1_sel:BYTE_3
	v_sub_u32_e32 v12, 29, v12
	v_and_b32_e32 v3, 7, v3
	v_cmp_eq_u16_e32 vcc, 0, v10
	v_cndmask_b32_e32 v3, v6, v3, vcc
	v_cndmask_b32_e32 v6, v11, v12, vcc
	v_mov_b32_e32 v10, 0x3b800000
	v_lshlrev_b32_e32 v3, 20, v3
	v_lshl_add_u32 v6, v6, 23, v10
	v_or3_b32 v6, v7, v6, v3
.LBB47_960:
	s_or_b64 exec, exec, s[6:7]
	s_nop 0
	v_mfma_f32_16x16x4f32 a[0:3], v2, v6, a[0:3]
	s_movk_i32 s4, 0x7f
	v_cmp_gt_i16_sdwa s[6:7], v8, s4 src0_sel:BYTE_0 src1_sel:DWORD
	s_mov_b64 s[4:5], 0
                                        ; implicit-def: $sgpr10
	s_and_saveexec_b64 s[8:9], s[6:7]
	s_xor_b64 s[6:7], exec, s[8:9]
	s_cbranch_execnz .LBB47_3009
; %bb.961:
	s_or_saveexec_b64 s[6:7], s[6:7]
	v_mov_b32_e32 v2, s10
	s_xor_b64 exec, exec, s[6:7]
	s_cbranch_execnz .LBB47_3012
.LBB47_962:
	s_or_b64 exec, exec, s[6:7]
	s_and_saveexec_b64 s[6:7], s[4:5]
	s_cbranch_execz .LBB47_964
.LBB47_963:
	v_and_b32_e32 v2, 7, v8
	v_ffbh_u32_e32 v6, v2
	v_min_u32_e32 v6, 32, v6
	v_lshrrev_b16_e32 v3, 3, v8
	v_subrev_u32_e32 v7, 28, v6
	v_and_b32_e32 v3, 15, v3
	v_lshlrev_b32_e32 v7, v7, v8
	v_sub_u32_e32 v6, 29, v6
	v_and_b32_e32 v7, 7, v7
	v_cmp_eq_u16_e32 vcc, 0, v3
	v_cndmask_b32_e32 v2, v2, v7, vcc
	v_cndmask_b32_e32 v3, v3, v6, vcc
	v_lshlrev_b32_e32 v6, 24, v8
	v_mov_b32_e32 v7, 0x3b800000
	v_lshlrev_b32_e32 v2, 20, v2
	v_and_b32_e32 v6, 0x80000000, v6
	v_lshl_add_u32 v3, v3, 23, v7
	v_or3_b32 v2, v6, v3, v2
.LBB47_964:
	s_or_b64 exec, exec, s[6:7]
	s_movk_i32 s4, 0x7f
	v_cmp_gt_i16_sdwa s[6:7], v4, s4 src0_sel:BYTE_0 src1_sel:DWORD
	s_mov_b64 s[4:5], 0
                                        ; implicit-def: $sgpr10
	s_and_saveexec_b64 s[8:9], s[6:7]
	s_xor_b64 s[6:7], exec, s[8:9]
	s_cbranch_execnz .LBB47_3013
; %bb.965:
	s_or_saveexec_b64 s[6:7], s[6:7]
	v_mov_b32_e32 v3, s10
	s_xor_b64 exec, exec, s[6:7]
	s_cbranch_execnz .LBB47_3016
.LBB47_966:
	s_or_b64 exec, exec, s[6:7]
	s_and_saveexec_b64 s[6:7], s[4:5]
	s_cbranch_execz .LBB47_968
.LBB47_967:
	v_and_b32_e32 v3, 7, v4
	v_ffbh_u32_e32 v7, v3
	v_min_u32_e32 v7, 32, v7
	v_lshrrev_b16_e32 v6, 3, v4
	v_subrev_u32_e32 v10, 28, v7
	v_and_b32_e32 v6, 15, v6
	v_lshlrev_b32_e32 v10, v10, v4
	v_sub_u32_e32 v7, 29, v7
	v_and_b32_e32 v10, 7, v10
	v_cmp_eq_u16_e32 vcc, 0, v6
	v_cndmask_b32_e32 v3, v3, v10, vcc
	v_cndmask_b32_e32 v6, v6, v7, vcc
	v_lshlrev_b32_e32 v7, 24, v4
	v_mov_b32_e32 v10, 0x3b800000
	v_lshlrev_b32_e32 v3, 20, v3
	v_and_b32_e32 v7, 0x80000000, v7
	v_lshl_add_u32 v6, v6, 23, v10
	v_or3_b32 v3, v7, v6, v3
.LBB47_968:
	s_or_b64 exec, exec, s[6:7]
	s_nop 0
	v_mfma_f32_16x16x4f32 a[0:3], v2, v3, a[0:3]
	v_lshrrev_b32_e32 v3, 8, v8
	s_movk_i32 s4, 0x7f
	v_cmp_gt_i16_sdwa s[6:7], v3, s4 src0_sel:BYTE_0 src1_sel:DWORD
	s_mov_b64 s[4:5], 0
                                        ; implicit-def: $sgpr10
	s_and_saveexec_b64 s[8:9], s[6:7]
	s_xor_b64 s[6:7], exec, s[8:9]
	s_cbranch_execnz .LBB47_3017
; %bb.969:
	s_or_saveexec_b64 s[6:7], s[6:7]
	v_mov_b32_e32 v2, s10
	s_xor_b64 exec, exec, s[6:7]
	s_cbranch_execnz .LBB47_3020
.LBB47_970:
	s_or_b64 exec, exec, s[6:7]
	s_and_saveexec_b64 s[6:7], s[4:5]
	s_cbranch_execz .LBB47_972
.LBB47_971:
	v_bfe_u32 v2, v8, 8, 3
	v_ffbh_u32_e32 v7, v2
	v_min_u32_e32 v7, 32, v7
	v_lshrrev_b16_e32 v6, 3, v3
	v_subrev_u32_e32 v10, 28, v7
	v_and_b32_e32 v6, 15, v6
	v_lshlrev_b32_e32 v3, v10, v3
	v_sub_u32_e32 v7, 29, v7
	v_and_b32_e32 v3, 7, v3
	v_cmp_eq_u16_e32 vcc, 0, v6
	v_cndmask_b32_e32 v2, v2, v3, vcc
	v_cndmask_b32_e32 v3, v6, v7, vcc
	v_lshlrev_b32_e32 v6, 16, v8
	v_mov_b32_e32 v7, 0x3b800000
	v_lshlrev_b32_e32 v2, 20, v2
	v_and_b32_e32 v6, 0x80000000, v6
	v_lshl_add_u32 v3, v3, 23, v7
	v_or3_b32 v2, v6, v3, v2
.LBB47_972:
	s_or_b64 exec, exec, s[6:7]
	v_lshrrev_b32_e32 v3, 8, v4
	s_movk_i32 s4, 0x7f
	v_cmp_gt_i16_sdwa s[6:7], v3, s4 src0_sel:BYTE_0 src1_sel:DWORD
	s_mov_b64 s[4:5], 0
                                        ; implicit-def: $sgpr10
	s_and_saveexec_b64 s[8:9], s[6:7]
	s_xor_b64 s[6:7], exec, s[8:9]
	s_cbranch_execnz .LBB47_3021
; %bb.973:
	s_or_saveexec_b64 s[6:7], s[6:7]
	v_mov_b32_e32 v6, s10
	s_xor_b64 exec, exec, s[6:7]
	s_cbranch_execnz .LBB47_3024
.LBB47_974:
	s_or_b64 exec, exec, s[6:7]
	s_and_saveexec_b64 s[6:7], s[4:5]
	s_cbranch_execz .LBB47_976
.LBB47_975:
	v_bfe_u32 v6, v4, 8, 3
	v_ffbh_u32_e32 v10, v6
	v_min_u32_e32 v10, 32, v10
	v_lshrrev_b16_e32 v7, 3, v3
	v_subrev_u32_e32 v11, 28, v10
	v_and_b32_e32 v7, 15, v7
	v_lshlrev_b32_e32 v3, v11, v3
	v_sub_u32_e32 v10, 29, v10
	v_and_b32_e32 v3, 7, v3
	v_cmp_eq_u16_e32 vcc, 0, v7
	v_cndmask_b32_e32 v3, v6, v3, vcc
	v_cndmask_b32_e32 v6, v7, v10, vcc
	v_lshlrev_b32_e32 v7, 16, v4
	v_mov_b32_e32 v10, 0x3b800000
	v_lshlrev_b32_e32 v3, 20, v3
	v_and_b32_e32 v7, 0x80000000, v7
	v_lshl_add_u32 v6, v6, 23, v10
	v_or3_b32 v6, v7, v6, v3
.LBB47_976:
	s_or_b64 exec, exec, s[6:7]
	s_nop 0
	v_mfma_f32_16x16x4f32 a[0:3], v2, v6, a[0:3]
	s_movk_i32 s4, 0xff
	v_and_b32_sdwa v3, v8, s4 dst_sel:DWORD dst_unused:UNUSED_PAD src0_sel:WORD_1 src1_sel:DWORD
	s_movk_i32 s4, 0x7f
	v_cmp_lt_i16_e32 vcc, s4, v3
	s_mov_b64 s[4:5], 0
                                        ; implicit-def: $sgpr10
	s_and_saveexec_b64 s[6:7], vcc
	s_xor_b64 s[6:7], exec, s[6:7]
	s_cbranch_execnz .LBB47_3025
; %bb.977:
	s_or_saveexec_b64 s[6:7], s[6:7]
	v_mov_b32_e32 v2, s10
	s_xor_b64 exec, exec, s[6:7]
	s_cbranch_execnz .LBB47_3028
.LBB47_978:
	s_or_b64 exec, exec, s[6:7]
	s_and_saveexec_b64 s[6:7], s[4:5]
	s_cbranch_execz .LBB47_980
.LBB47_979:
	v_bfe_u32 v2, v8, 16, 3
	v_ffbh_u32_e32 v7, v2
	v_min_u32_e32 v7, 32, v7
	v_lshrrev_b32_e32 v3, 19, v8
	v_subrev_u32_e32 v10, 28, v7
	v_and_b32_e32 v3, 15, v3
	v_lshlrev_b32_sdwa v10, v10, v8 dst_sel:DWORD dst_unused:UNUSED_PAD src0_sel:DWORD src1_sel:WORD_1
	v_bfe_u32 v6, v8, 19, 4
	v_sub_u32_e32 v7, 29, v7
	v_and_b32_e32 v10, 7, v10
	v_cmp_eq_u16_e32 vcc, 0, v3
	v_cndmask_b32_e32 v2, v2, v10, vcc
	v_cndmask_b32_e32 v3, v6, v7, vcc
	v_lshlrev_b32_e32 v6, 8, v8
	v_mov_b32_e32 v7, 0x3b800000
	v_lshlrev_b32_e32 v2, 20, v2
	v_and_b32_e32 v6, 0x80000000, v6
	v_lshl_add_u32 v3, v3, 23, v7
	v_or3_b32 v2, v6, v3, v2
.LBB47_980:
	s_or_b64 exec, exec, s[6:7]
	s_movk_i32 s4, 0xff
	v_and_b32_sdwa v3, v4, s4 dst_sel:DWORD dst_unused:UNUSED_PAD src0_sel:WORD_1 src1_sel:DWORD
	s_movk_i32 s4, 0x7f
	v_cmp_lt_i16_e32 vcc, s4, v3
	s_mov_b64 s[4:5], 0
                                        ; implicit-def: $sgpr10
	s_and_saveexec_b64 s[6:7], vcc
	s_xor_b64 s[6:7], exec, s[6:7]
	s_cbranch_execnz .LBB47_3029
; %bb.981:
	s_or_saveexec_b64 s[6:7], s[6:7]
	v_mov_b32_e32 v6, s10
	s_xor_b64 exec, exec, s[6:7]
	s_cbranch_execnz .LBB47_3032
.LBB47_982:
	s_or_b64 exec, exec, s[6:7]
	s_and_saveexec_b64 s[6:7], s[4:5]
	s_cbranch_execz .LBB47_984
.LBB47_983:
	v_bfe_u32 v3, v4, 16, 3
	v_ffbh_u32_e32 v10, v3
	v_min_u32_e32 v10, 32, v10
	v_lshrrev_b32_e32 v6, 19, v4
	v_subrev_u32_e32 v11, 28, v10
	v_and_b32_e32 v6, 15, v6
	v_lshlrev_b32_sdwa v11, v11, v4 dst_sel:DWORD dst_unused:UNUSED_PAD src0_sel:DWORD src1_sel:WORD_1
	v_bfe_u32 v7, v4, 19, 4
	v_sub_u32_e32 v10, 29, v10
	v_and_b32_e32 v11, 7, v11
	v_cmp_eq_u16_e32 vcc, 0, v6
	v_cndmask_b32_e32 v3, v3, v11, vcc
	v_cndmask_b32_e32 v6, v7, v10, vcc
	v_lshlrev_b32_e32 v7, 8, v4
	v_mov_b32_e32 v10, 0x3b800000
	v_lshlrev_b32_e32 v3, 20, v3
	v_and_b32_e32 v7, 0x80000000, v7
	v_lshl_add_u32 v6, v6, 23, v10
	v_or3_b32 v6, v7, v6, v3
.LBB47_984:
	s_or_b64 exec, exec, s[6:7]
	s_nop 0
	v_mfma_f32_16x16x4f32 a[0:3], v2, v6, a[0:3]
	s_movk_i32 s4, 0x7f
	v_cmp_gt_i16_sdwa s[6:7], v8, s4 src0_sel:BYTE_3 src1_sel:DWORD
	s_mov_b64 s[4:5], 0
                                        ; implicit-def: $sgpr10
	s_and_saveexec_b64 s[8:9], s[6:7]
	s_xor_b64 s[6:7], exec, s[8:9]
	s_cbranch_execnz .LBB47_3033
; %bb.985:
	s_or_saveexec_b64 s[6:7], s[6:7]
	v_mov_b32_e32 v2, s10
	s_xor_b64 exec, exec, s[6:7]
	s_cbranch_execnz .LBB47_3036
.LBB47_986:
	s_or_b64 exec, exec, s[6:7]
	s_and_saveexec_b64 s[6:7], s[4:5]
	s_cbranch_execz .LBB47_988
.LBB47_987:
	v_bfe_u32 v2, v8, 24, 3
	v_ffbh_u32_e32 v10, v2
	v_min_u32_e32 v10, 32, v10
	v_lshrrev_b32_e32 v6, 27, v8
	v_subrev_u32_e32 v11, 28, v10
	v_and_b32_e32 v3, 0x80000000, v8
	v_and_b32_e32 v6, 15, v6
	v_bfe_u32 v7, v8, 27, 4
	v_lshlrev_b32_sdwa v8, v11, v8 dst_sel:DWORD dst_unused:UNUSED_PAD src0_sel:DWORD src1_sel:BYTE_3
	v_sub_u32_e32 v10, 29, v10
	v_and_b32_e32 v8, 7, v8
	v_cmp_eq_u16_e32 vcc, 0, v6
	v_cndmask_b32_e32 v2, v2, v8, vcc
	v_cndmask_b32_e32 v6, v7, v10, vcc
	v_mov_b32_e32 v7, 0x3b800000
	v_lshlrev_b32_e32 v2, 20, v2
	v_lshl_add_u32 v6, v6, 23, v7
	v_or3_b32 v2, v3, v6, v2
.LBB47_988:
	s_or_b64 exec, exec, s[6:7]
	s_movk_i32 s4, 0x7f
	v_cmp_gt_i16_sdwa s[6:7], v4, s4 src0_sel:BYTE_3 src1_sel:DWORD
	s_mov_b64 s[4:5], 0
                                        ; implicit-def: $sgpr10
	s_and_saveexec_b64 s[8:9], s[6:7]
	s_xor_b64 s[6:7], exec, s[8:9]
	s_cbranch_execnz .LBB47_3037
; %bb.989:
	s_or_saveexec_b64 s[6:7], s[6:7]
	v_mov_b32_e32 v3, s10
	s_xor_b64 exec, exec, s[6:7]
	s_cbranch_execnz .LBB47_3040
.LBB47_990:
	s_or_b64 exec, exec, s[6:7]
	s_and_saveexec_b64 s[6:7], s[4:5]
	s_cbranch_execz .LBB47_992
.LBB47_991:
	v_bfe_u32 v3, v4, 24, 3
	v_ffbh_u32_e32 v10, v3
	v_min_u32_e32 v10, 32, v10
	v_lshrrev_b32_e32 v7, 27, v4
	v_subrev_u32_e32 v11, 28, v10
	v_and_b32_e32 v6, 0x80000000, v4
	v_and_b32_e32 v7, 15, v7
	v_bfe_u32 v8, v4, 27, 4
	v_lshlrev_b32_sdwa v4, v11, v4 dst_sel:DWORD dst_unused:UNUSED_PAD src0_sel:DWORD src1_sel:BYTE_3
	v_sub_u32_e32 v10, 29, v10
	v_and_b32_e32 v4, 7, v4
	v_cmp_eq_u16_e32 vcc, 0, v7
	v_cndmask_b32_e32 v3, v3, v4, vcc
	v_cndmask_b32_e32 v4, v8, v10, vcc
	v_mov_b32_e32 v7, 0x3b800000
	v_lshlrev_b32_e32 v3, 20, v3
	v_lshl_add_u32 v4, v4, 23, v7
	v_or3_b32 v3, v6, v4, v3
.LBB47_992:
	s_or_b64 exec, exec, s[6:7]
	s_nop 0
	v_mfma_f32_16x16x4f32 a[0:3], v2, v3, a[0:3]
	s_movk_i32 s4, 0x7f
	v_cmp_gt_i16_sdwa s[6:7], v9, s4 src0_sel:BYTE_0 src1_sel:DWORD
	s_mov_b64 s[4:5], 0
                                        ; implicit-def: $sgpr10
	s_and_saveexec_b64 s[8:9], s[6:7]
	s_xor_b64 s[6:7], exec, s[8:9]
	s_cbranch_execnz .LBB47_3041
; %bb.993:
	s_or_saveexec_b64 s[6:7], s[6:7]
	v_mov_b32_e32 v2, s10
	s_xor_b64 exec, exec, s[6:7]
	s_cbranch_execnz .LBB47_3044
.LBB47_994:
	s_or_b64 exec, exec, s[6:7]
	s_and_saveexec_b64 s[6:7], s[4:5]
	s_cbranch_execz .LBB47_996
.LBB47_995:
	v_mov_b32_e32 v2, 8
	v_and_b32_e32 v3, 7, v9
	v_lshrrev_b32_sdwa v2, v2, v9 dst_sel:BYTE_1 dst_unused:UNUSED_PAD src0_sel:DWORD src1_sel:DWORD
	v_ffbh_u32_e32 v4, v3
	v_or_b32_sdwa v2, v9, v2 dst_sel:DWORD dst_unused:UNUSED_PAD src0_sel:BYTE_0 src1_sel:DWORD
	v_min_u32_e32 v4, 32, v4
	v_lshrrev_b16_e32 v2, 3, v2
	v_subrev_u32_e32 v6, 28, v4
	v_and_b32_e32 v2, 15, v2
	v_lshlrev_b32_e32 v6, v6, v9
	v_sub_u32_e32 v4, 29, v4
	v_and_b32_e32 v6, 7, v6
	v_cmp_eq_u16_e32 vcc, 0, v2
	v_cndmask_b32_e32 v3, v3, v6, vcc
	v_cndmask_b32_e32 v2, v2, v4, vcc
	v_lshlrev_b32_e32 v4, 24, v9
	v_mov_b32_e32 v6, 0x3b800000
	v_lshlrev_b32_e32 v3, 20, v3
	v_and_b32_e32 v4, 0x80000000, v4
	v_lshl_add_u32 v2, v2, 23, v6
	v_or3_b32 v2, v4, v2, v3
.LBB47_996:
	s_or_b64 exec, exec, s[6:7]
	s_movk_i32 s4, 0x7f
	v_cmp_gt_i16_sdwa s[6:7], v5, s4 src0_sel:BYTE_0 src1_sel:DWORD
	s_mov_b64 s[4:5], 0
                                        ; implicit-def: $sgpr10
	s_and_saveexec_b64 s[8:9], s[6:7]
	s_xor_b64 s[6:7], exec, s[8:9]
	s_cbranch_execnz .LBB47_3045
; %bb.997:
	s_or_saveexec_b64 s[6:7], s[6:7]
	v_mov_b32_e32 v3, s10
	s_xor_b64 exec, exec, s[6:7]
	s_cbranch_execnz .LBB47_3048
.LBB47_998:
	s_or_b64 exec, exec, s[6:7]
	s_and_saveexec_b64 s[6:7], s[4:5]
	s_cbranch_execz .LBB47_1000
.LBB47_999:
	v_mov_b32_e32 v3, 8
	v_and_b32_e32 v4, 7, v5
	v_lshrrev_b32_sdwa v3, v3, v5 dst_sel:BYTE_1 dst_unused:UNUSED_PAD src0_sel:DWORD src1_sel:DWORD
	v_ffbh_u32_e32 v6, v4
	v_or_b32_sdwa v3, v5, v3 dst_sel:DWORD dst_unused:UNUSED_PAD src0_sel:BYTE_0 src1_sel:DWORD
	v_min_u32_e32 v6, 32, v6
	v_lshrrev_b16_e32 v3, 3, v3
	v_subrev_u32_e32 v7, 28, v6
	v_and_b32_e32 v3, 15, v3
	v_lshlrev_b32_e32 v7, v7, v5
	v_sub_u32_e32 v6, 29, v6
	v_and_b32_e32 v7, 7, v7
	v_cmp_eq_u16_e32 vcc, 0, v3
	v_cndmask_b32_e32 v4, v4, v7, vcc
	v_cndmask_b32_e32 v3, v3, v6, vcc
	v_lshlrev_b32_e32 v6, 24, v5
	v_mov_b32_e32 v7, 0x3b800000
	v_lshlrev_b32_e32 v4, 20, v4
	v_and_b32_e32 v6, 0x80000000, v6
	v_lshl_add_u32 v3, v3, 23, v7
	v_or3_b32 v3, v6, v3, v4
.LBB47_1000:
	s_or_b64 exec, exec, s[6:7]
	s_nop 0
	v_mfma_f32_16x16x4f32 a[0:3], v2, v3, a[0:3]
	v_lshrrev_b32_e32 v3, 8, v9
	s_movk_i32 s4, 0x7f
	v_cmp_gt_i16_sdwa s[6:7], v3, s4 src0_sel:BYTE_0 src1_sel:DWORD
	s_mov_b64 s[4:5], 0
                                        ; implicit-def: $sgpr10
	s_and_saveexec_b64 s[8:9], s[6:7]
	s_xor_b64 s[6:7], exec, s[8:9]
	s_cbranch_execnz .LBB47_3049
; %bb.1001:
	s_or_saveexec_b64 s[6:7], s[6:7]
	v_mov_b32_e32 v2, s10
	s_xor_b64 exec, exec, s[6:7]
	s_cbranch_execnz .LBB47_3052
.LBB47_1002:
	s_or_b64 exec, exec, s[6:7]
	s_and_saveexec_b64 s[6:7], s[4:5]
	s_cbranch_execz .LBB47_1004
.LBB47_1003:
	v_bfe_u32 v2, v9, 8, 3
	v_ffbh_u32_e32 v6, v2
	v_min_u32_e32 v6, 32, v6
	v_lshrrev_b16_e32 v4, 3, v3
	v_subrev_u32_e32 v7, 28, v6
	v_and_b32_e32 v4, 15, v4
	v_lshlrev_b32_e32 v3, v7, v3
	v_sub_u32_e32 v6, 29, v6
	v_and_b32_e32 v3, 7, v3
	v_cmp_eq_u16_e32 vcc, 0, v4
	v_cndmask_b32_e32 v2, v2, v3, vcc
	v_cndmask_b32_e32 v3, v4, v6, vcc
	v_lshlrev_b32_e32 v4, 16, v9
	v_mov_b32_e32 v6, 0x3b800000
	v_lshlrev_b32_e32 v2, 20, v2
	v_and_b32_e32 v4, 0x80000000, v4
	v_lshl_add_u32 v3, v3, 23, v6
	v_or3_b32 v2, v4, v3, v2
.LBB47_1004:
	s_or_b64 exec, exec, s[6:7]
	v_lshrrev_b32_e32 v3, 8, v5
	s_movk_i32 s4, 0x7f
	v_cmp_gt_i16_sdwa s[6:7], v3, s4 src0_sel:BYTE_0 src1_sel:DWORD
	s_mov_b64 s[4:5], 0
                                        ; implicit-def: $sgpr10
	s_and_saveexec_b64 s[8:9], s[6:7]
	s_xor_b64 s[6:7], exec, s[8:9]
	s_cbranch_execnz .LBB47_3053
; %bb.1005:
	s_or_saveexec_b64 s[6:7], s[6:7]
	v_mov_b32_e32 v4, s10
	s_xor_b64 exec, exec, s[6:7]
	s_cbranch_execnz .LBB47_3056
.LBB47_1006:
	s_or_b64 exec, exec, s[6:7]
	s_and_saveexec_b64 s[6:7], s[4:5]
	s_cbranch_execz .LBB47_1008
.LBB47_1007:
	v_bfe_u32 v4, v5, 8, 3
	v_ffbh_u32_e32 v7, v4
	v_min_u32_e32 v7, 32, v7
	v_lshrrev_b16_e32 v6, 3, v3
	v_subrev_u32_e32 v8, 28, v7
	v_and_b32_e32 v6, 15, v6
	v_lshlrev_b32_e32 v3, v8, v3
	v_sub_u32_e32 v7, 29, v7
	v_and_b32_e32 v3, 7, v3
	v_cmp_eq_u16_e32 vcc, 0, v6
	v_cndmask_b32_e32 v3, v4, v3, vcc
	v_cndmask_b32_e32 v4, v6, v7, vcc
	v_lshlrev_b32_e32 v6, 16, v5
	v_mov_b32_e32 v7, 0x3b800000
	v_lshlrev_b32_e32 v3, 20, v3
	v_and_b32_e32 v6, 0x80000000, v6
	v_lshl_add_u32 v4, v4, 23, v7
	v_or3_b32 v4, v6, v4, v3
.LBB47_1008:
	s_or_b64 exec, exec, s[6:7]
	s_nop 0
	v_mfma_f32_16x16x4f32 a[0:3], v2, v4, a[0:3]
	s_movk_i32 s4, 0xff
	v_and_b32_sdwa v3, v9, s4 dst_sel:DWORD dst_unused:UNUSED_PAD src0_sel:WORD_1 src1_sel:DWORD
	s_movk_i32 s4, 0x7f
	v_cmp_lt_i16_e32 vcc, s4, v3
	s_mov_b64 s[4:5], 0
                                        ; implicit-def: $sgpr10
	s_and_saveexec_b64 s[6:7], vcc
	s_xor_b64 s[6:7], exec, s[6:7]
	s_cbranch_execnz .LBB47_3057
; %bb.1009:
	s_or_saveexec_b64 s[6:7], s[6:7]
	v_mov_b32_e32 v2, s10
	s_xor_b64 exec, exec, s[6:7]
	s_cbranch_execnz .LBB47_3060
.LBB47_1010:
	s_or_b64 exec, exec, s[6:7]
	s_and_saveexec_b64 s[6:7], s[4:5]
	s_cbranch_execz .LBB47_1012
.LBB47_1011:
	v_bfe_u32 v2, v9, 16, 3
	v_ffbh_u32_e32 v6, v2
	v_min_u32_e32 v6, 32, v6
	v_lshrrev_b32_e32 v3, 19, v9
	v_subrev_u32_e32 v7, 28, v6
	v_and_b32_e32 v3, 15, v3
	v_lshlrev_b32_sdwa v7, v7, v9 dst_sel:DWORD dst_unused:UNUSED_PAD src0_sel:DWORD src1_sel:WORD_1
	v_bfe_u32 v4, v9, 19, 4
	v_sub_u32_e32 v6, 29, v6
	v_and_b32_e32 v7, 7, v7
	v_cmp_eq_u16_e32 vcc, 0, v3
	v_cndmask_b32_e32 v2, v2, v7, vcc
	v_cndmask_b32_e32 v3, v4, v6, vcc
	v_lshlrev_b32_e32 v4, 8, v9
	v_mov_b32_e32 v6, 0x3b800000
	v_lshlrev_b32_e32 v2, 20, v2
	v_and_b32_e32 v4, 0x80000000, v4
	v_lshl_add_u32 v3, v3, 23, v6
	v_or3_b32 v2, v4, v3, v2
.LBB47_1012:
	s_or_b64 exec, exec, s[6:7]
	s_movk_i32 s4, 0xff
	v_and_b32_sdwa v3, v5, s4 dst_sel:DWORD dst_unused:UNUSED_PAD src0_sel:WORD_1 src1_sel:DWORD
	s_movk_i32 s4, 0x7f
	v_cmp_lt_i16_e32 vcc, s4, v3
	s_mov_b64 s[4:5], 0
                                        ; implicit-def: $sgpr10
	s_and_saveexec_b64 s[6:7], vcc
	s_xor_b64 s[6:7], exec, s[6:7]
	s_cbranch_execnz .LBB47_3061
; %bb.1013:
	s_or_saveexec_b64 s[6:7], s[6:7]
	v_mov_b32_e32 v4, s10
	s_xor_b64 exec, exec, s[6:7]
	s_cbranch_execnz .LBB47_3064
.LBB47_1014:
	s_or_b64 exec, exec, s[6:7]
	s_and_saveexec_b64 s[6:7], s[4:5]
	s_cbranch_execz .LBB47_1016
.LBB47_1015:
	v_bfe_u32 v3, v5, 16, 3
	v_ffbh_u32_e32 v7, v3
	v_min_u32_e32 v7, 32, v7
	v_lshrrev_b32_e32 v4, 19, v5
	v_subrev_u32_e32 v8, 28, v7
	v_and_b32_e32 v4, 15, v4
	v_lshlrev_b32_sdwa v8, v8, v5 dst_sel:DWORD dst_unused:UNUSED_PAD src0_sel:DWORD src1_sel:WORD_1
	v_bfe_u32 v6, v5, 19, 4
	v_sub_u32_e32 v7, 29, v7
	v_and_b32_e32 v8, 7, v8
	v_cmp_eq_u16_e32 vcc, 0, v4
	v_cndmask_b32_e32 v3, v3, v8, vcc
	v_cndmask_b32_e32 v4, v6, v7, vcc
	v_lshlrev_b32_e32 v6, 8, v5
	v_mov_b32_e32 v7, 0x3b800000
	v_lshlrev_b32_e32 v3, 20, v3
	v_and_b32_e32 v6, 0x80000000, v6
	v_lshl_add_u32 v4, v4, 23, v7
	v_or3_b32 v4, v6, v4, v3
.LBB47_1016:
	s_or_b64 exec, exec, s[6:7]
	s_nop 0
	v_mfma_f32_16x16x4f32 a[0:3], v2, v4, a[0:3]
	s_movk_i32 s4, 0x7f
	v_cmp_gt_i16_sdwa s[6:7], v9, s4 src0_sel:BYTE_3 src1_sel:DWORD
	s_mov_b64 s[4:5], 0
                                        ; implicit-def: $sgpr10
	s_and_saveexec_b64 s[8:9], s[6:7]
	s_xor_b64 s[6:7], exec, s[8:9]
	s_cbranch_execnz .LBB47_3065
; %bb.1017:
	s_or_saveexec_b64 s[6:7], s[6:7]
	v_mov_b32_e32 v2, s10
	s_xor_b64 exec, exec, s[6:7]
	s_cbranch_execnz .LBB47_3068
.LBB47_1018:
	s_or_b64 exec, exec, s[6:7]
	s_and_saveexec_b64 s[6:7], s[4:5]
	s_cbranch_execz .LBB47_1020
.LBB47_1019:
	v_bfe_u32 v2, v9, 24, 3
	v_ffbh_u32_e32 v7, v2
	v_min_u32_e32 v7, 32, v7
	v_lshrrev_b32_e32 v4, 27, v9
	v_subrev_u32_e32 v8, 28, v7
	v_and_b32_e32 v4, 15, v4
	v_lshlrev_b32_sdwa v8, v8, v9 dst_sel:DWORD dst_unused:UNUSED_PAD src0_sel:DWORD src1_sel:BYTE_3
	v_bfe_u32 v6, v9, 27, 4
	v_sub_u32_e32 v7, 29, v7
	v_and_b32_e32 v8, 7, v8
	v_cmp_eq_u16_e32 vcc, 0, v4
	v_cndmask_b32_e32 v2, v2, v8, vcc
	v_cndmask_b32_e32 v4, v6, v7, vcc
	v_mov_b32_e32 v6, 0x3b800000
	v_and_b32_e32 v3, 0x80000000, v9
	v_lshlrev_b32_e32 v2, 20, v2
	v_lshl_add_u32 v4, v4, 23, v6
	v_or3_b32 v2, v3, v4, v2
.LBB47_1020:
	s_or_b64 exec, exec, s[6:7]
	s_movk_i32 s4, 0x7f
	v_cmp_gt_i16_sdwa s[6:7], v5, s4 src0_sel:BYTE_3 src1_sel:DWORD
	s_mov_b64 s[4:5], 0
                                        ; implicit-def: $sgpr10
	s_and_saveexec_b64 s[8:9], s[6:7]
	s_xor_b64 s[6:7], exec, s[8:9]
	s_cbranch_execnz .LBB47_3069
; %bb.1021:
	s_or_saveexec_b64 s[6:7], s[6:7]
	v_mov_b32_e32 v3, s10
	s_xor_b64 exec, exec, s[6:7]
	s_cbranch_execnz .LBB47_3072
.LBB47_1022:
	s_or_b64 exec, exec, s[6:7]
	s_and_saveexec_b64 s[6:7], s[4:5]
	s_cbranch_execz .LBB47_1024
.LBB47_1023:
	v_bfe_u32 v3, v5, 24, 3
	v_ffbh_u32_e32 v8, v3
	v_min_u32_e32 v8, 32, v8
	v_lshrrev_b32_e32 v6, 27, v5
	v_subrev_u32_e32 v9, 28, v8
	v_and_b32_e32 v4, 0x80000000, v5
	v_and_b32_e32 v6, 15, v6
	v_bfe_u32 v7, v5, 27, 4
	v_lshlrev_b32_sdwa v5, v9, v5 dst_sel:DWORD dst_unused:UNUSED_PAD src0_sel:DWORD src1_sel:BYTE_3
	v_sub_u32_e32 v8, 29, v8
	v_and_b32_e32 v5, 7, v5
	v_cmp_eq_u16_e32 vcc, 0, v6
	v_cndmask_b32_e32 v3, v3, v5, vcc
	v_cndmask_b32_e32 v5, v7, v8, vcc
	v_mov_b32_e32 v6, 0x3b800000
	v_lshlrev_b32_e32 v3, 20, v3
	v_lshl_add_u32 v5, v5, 23, v6
	v_or3_b32 v3, v4, v5, v3
.LBB47_1024:
	s_or_b64 exec, exec, s[6:7]
	s_nop 0
	v_mfma_f32_16x16x4f32 a[0:3], v2, v3, a[0:3]
	s_movk_i32 s4, 0x7f
                                        ; implicit-def: $sgpr10
	s_nop 7
	s_nop 1
	flat_store_dwordx4 v[18:19], a[0:3] offset:432
	flat_load_dwordx4 v[20:23], v[0:1] offset:8
	s_nop 0
	flat_load_dwordx2 v[18:19], v[0:1] offset:24
	s_waitcnt vmcnt(0) lgkmcnt(0)
	flat_load_dwordx4 v[14:17], v[20:21] offset:32
	flat_load_dwordx4 v[6:9], v[20:21] offset:48
	;; [unrolled: 1-line block ×4, first 2 shown]
	s_waitcnt vmcnt(0) lgkmcnt(0)
	v_cmp_gt_i16_sdwa s[6:7], v14, s4 src0_sel:BYTE_0 src1_sel:DWORD
	s_mov_b64 s[4:5], 0
	s_and_saveexec_b64 s[8:9], s[6:7]
	s_xor_b64 s[6:7], exec, s[8:9]
	s_cbranch_execnz .LBB47_3073
; %bb.1025:
	s_or_saveexec_b64 s[6:7], s[6:7]
	v_mov_b32_e32 v20, s10
	s_xor_b64 exec, exec, s[6:7]
	s_cbranch_execnz .LBB47_3076
.LBB47_1026:
	s_or_b64 exec, exec, s[6:7]
	s_and_saveexec_b64 s[6:7], s[4:5]
	s_cbranch_execz .LBB47_1028
.LBB47_1027:
	v_and_b32_e32 v20, 7, v14
	v_ffbh_u32_e32 v22, v20
	v_min_u32_e32 v22, 32, v22
	v_lshrrev_b16_e32 v21, 3, v14
	v_subrev_u32_e32 v23, 28, v22
	v_and_b32_e32 v21, 15, v21
	v_lshlrev_b32_e32 v23, v23, v14
	v_sub_u32_e32 v22, 29, v22
	v_and_b32_e32 v23, 7, v23
	v_cmp_eq_u16_e32 vcc, 0, v21
	v_cndmask_b32_e32 v20, v20, v23, vcc
	v_cndmask_b32_e32 v21, v21, v22, vcc
	v_lshlrev_b32_e32 v22, 24, v14
	v_mov_b32_e32 v23, 0x3b800000
	v_lshlrev_b32_e32 v20, 20, v20
	v_and_b32_e32 v22, 0x80000000, v22
	v_lshl_add_u32 v21, v21, 23, v23
	v_or3_b32 v20, v22, v21, v20
.LBB47_1028:
	s_or_b64 exec, exec, s[6:7]
	s_movk_i32 s4, 0x7f
	v_cmp_gt_i16_sdwa s[6:7], v10, s4 src0_sel:BYTE_0 src1_sel:DWORD
	s_mov_b64 s[4:5], 0
                                        ; implicit-def: $sgpr10
	s_and_saveexec_b64 s[8:9], s[6:7]
	s_xor_b64 s[6:7], exec, s[8:9]
	s_cbranch_execnz .LBB47_3077
; %bb.1029:
	s_or_saveexec_b64 s[6:7], s[6:7]
	v_mov_b32_e32 v21, s10
	s_xor_b64 exec, exec, s[6:7]
	s_cbranch_execnz .LBB47_3080
.LBB47_1030:
	s_or_b64 exec, exec, s[6:7]
	s_and_saveexec_b64 s[6:7], s[4:5]
	s_cbranch_execz .LBB47_1032
.LBB47_1031:
	v_and_b32_e32 v21, 7, v10
	v_ffbh_u32_e32 v23, v21
	v_min_u32_e32 v23, 32, v23
	v_lshrrev_b16_e32 v22, 3, v10
	v_subrev_u32_e32 v24, 28, v23
	v_and_b32_e32 v22, 15, v22
	v_lshlrev_b32_e32 v24, v24, v10
	v_sub_u32_e32 v23, 29, v23
	v_and_b32_e32 v24, 7, v24
	v_cmp_eq_u16_e32 vcc, 0, v22
	v_cndmask_b32_e32 v21, v21, v24, vcc
	v_cndmask_b32_e32 v22, v22, v23, vcc
	v_lshlrev_b32_e32 v23, 24, v10
	v_mov_b32_e32 v24, 0x3b800000
	v_lshlrev_b32_e32 v21, 20, v21
	v_and_b32_e32 v23, 0x80000000, v23
	v_lshl_add_u32 v22, v22, 23, v24
	v_or3_b32 v21, v23, v22, v21
.LBB47_1032:
	s_or_b64 exec, exec, s[6:7]
	flat_load_dwordx4 a[0:3], v[18:19] offset:448
	s_movk_i32 s4, 0x7f
                                        ; implicit-def: $sgpr10
	s_waitcnt vmcnt(0) lgkmcnt(0)
	v_mfma_f32_16x16x4f32 a[0:3], v20, v21, a[0:3]
	v_lshrrev_b32_e32 v21, 8, v14
	v_cmp_gt_i16_sdwa s[6:7], v21, s4 src0_sel:BYTE_0 src1_sel:DWORD
	s_mov_b64 s[4:5], 0
	s_and_saveexec_b64 s[8:9], s[6:7]
	s_xor_b64 s[6:7], exec, s[8:9]
	s_cbranch_execnz .LBB47_3081
; %bb.1033:
	s_or_saveexec_b64 s[6:7], s[6:7]
	v_mov_b32_e32 v20, s10
	s_xor_b64 exec, exec, s[6:7]
	s_cbranch_execnz .LBB47_3084
.LBB47_1034:
	s_or_b64 exec, exec, s[6:7]
	s_and_saveexec_b64 s[6:7], s[4:5]
	s_cbranch_execz .LBB47_1036
.LBB47_1035:
	v_bfe_u32 v20, v14, 8, 3
	v_ffbh_u32_e32 v23, v20
	v_min_u32_e32 v23, 32, v23
	v_lshrrev_b16_e32 v22, 3, v21
	v_subrev_u32_e32 v24, 28, v23
	v_and_b32_e32 v22, 15, v22
	v_lshlrev_b32_e32 v21, v24, v21
	v_sub_u32_e32 v23, 29, v23
	v_and_b32_e32 v21, 7, v21
	v_cmp_eq_u16_e32 vcc, 0, v22
	v_cndmask_b32_e32 v20, v20, v21, vcc
	v_cndmask_b32_e32 v21, v22, v23, vcc
	v_lshlrev_b32_e32 v22, 16, v14
	v_mov_b32_e32 v23, 0x3b800000
	v_lshlrev_b32_e32 v20, 20, v20
	v_and_b32_e32 v22, 0x80000000, v22
	v_lshl_add_u32 v21, v21, 23, v23
	v_or3_b32 v20, v22, v21, v20
.LBB47_1036:
	s_or_b64 exec, exec, s[6:7]
	v_lshrrev_b32_e32 v21, 8, v10
	s_movk_i32 s4, 0x7f
	v_cmp_gt_i16_sdwa s[6:7], v21, s4 src0_sel:BYTE_0 src1_sel:DWORD
	s_mov_b64 s[4:5], 0
                                        ; implicit-def: $sgpr10
	s_and_saveexec_b64 s[8:9], s[6:7]
	s_xor_b64 s[6:7], exec, s[8:9]
	s_cbranch_execnz .LBB47_3085
; %bb.1037:
	s_or_saveexec_b64 s[6:7], s[6:7]
	v_mov_b32_e32 v22, s10
	s_xor_b64 exec, exec, s[6:7]
	s_cbranch_execnz .LBB47_3088
.LBB47_1038:
	s_or_b64 exec, exec, s[6:7]
	s_and_saveexec_b64 s[6:7], s[4:5]
	s_cbranch_execz .LBB47_1040
.LBB47_1039:
	v_bfe_u32 v22, v10, 8, 3
	v_ffbh_u32_e32 v24, v22
	v_min_u32_e32 v24, 32, v24
	v_lshrrev_b16_e32 v23, 3, v21
	v_subrev_u32_e32 v25, 28, v24
	v_and_b32_e32 v23, 15, v23
	v_lshlrev_b32_e32 v21, v25, v21
	v_sub_u32_e32 v24, 29, v24
	v_and_b32_e32 v21, 7, v21
	v_cmp_eq_u16_e32 vcc, 0, v23
	v_cndmask_b32_e32 v21, v22, v21, vcc
	v_cndmask_b32_e32 v22, v23, v24, vcc
	v_lshlrev_b32_e32 v23, 16, v10
	v_mov_b32_e32 v24, 0x3b800000
	v_lshlrev_b32_e32 v21, 20, v21
	v_and_b32_e32 v23, 0x80000000, v23
	v_lshl_add_u32 v22, v22, 23, v24
	v_or3_b32 v22, v23, v22, v21
.LBB47_1040:
	s_or_b64 exec, exec, s[6:7]
	s_nop 0
	v_mfma_f32_16x16x4f32 a[0:3], v20, v22, a[0:3]
	s_movk_i32 s4, 0xff
	v_and_b32_sdwa v21, v14, s4 dst_sel:DWORD dst_unused:UNUSED_PAD src0_sel:WORD_1 src1_sel:DWORD
	s_movk_i32 s4, 0x7f
	v_cmp_lt_i16_e32 vcc, s4, v21
	s_mov_b64 s[4:5], 0
                                        ; implicit-def: $sgpr10
	s_and_saveexec_b64 s[6:7], vcc
	s_xor_b64 s[6:7], exec, s[6:7]
	s_cbranch_execnz .LBB47_3089
; %bb.1041:
	s_or_saveexec_b64 s[6:7], s[6:7]
	v_mov_b32_e32 v20, s10
	s_xor_b64 exec, exec, s[6:7]
	s_cbranch_execnz .LBB47_3092
.LBB47_1042:
	s_or_b64 exec, exec, s[6:7]
	s_and_saveexec_b64 s[6:7], s[4:5]
	s_cbranch_execz .LBB47_1044
.LBB47_1043:
	v_bfe_u32 v20, v14, 16, 3
	v_ffbh_u32_e32 v23, v20
	v_min_u32_e32 v23, 32, v23
	v_lshrrev_b32_e32 v21, 19, v14
	v_subrev_u32_e32 v24, 28, v23
	v_and_b32_e32 v21, 15, v21
	v_lshlrev_b32_sdwa v24, v24, v14 dst_sel:DWORD dst_unused:UNUSED_PAD src0_sel:DWORD src1_sel:WORD_1
	v_bfe_u32 v22, v14, 19, 4
	v_sub_u32_e32 v23, 29, v23
	v_and_b32_e32 v24, 7, v24
	v_cmp_eq_u16_e32 vcc, 0, v21
	v_cndmask_b32_e32 v20, v20, v24, vcc
	v_cndmask_b32_e32 v21, v22, v23, vcc
	v_lshlrev_b32_e32 v22, 8, v14
	v_mov_b32_e32 v23, 0x3b800000
	v_lshlrev_b32_e32 v20, 20, v20
	v_and_b32_e32 v22, 0x80000000, v22
	v_lshl_add_u32 v21, v21, 23, v23
	v_or3_b32 v20, v22, v21, v20
.LBB47_1044:
	s_or_b64 exec, exec, s[6:7]
	s_movk_i32 s4, 0xff
	v_and_b32_sdwa v21, v10, s4 dst_sel:DWORD dst_unused:UNUSED_PAD src0_sel:WORD_1 src1_sel:DWORD
	s_movk_i32 s4, 0x7f
	v_cmp_lt_i16_e32 vcc, s4, v21
	s_mov_b64 s[4:5], 0
                                        ; implicit-def: $sgpr10
	s_and_saveexec_b64 s[6:7], vcc
	s_xor_b64 s[6:7], exec, s[6:7]
	s_cbranch_execnz .LBB47_3093
; %bb.1045:
	s_or_saveexec_b64 s[6:7], s[6:7]
	v_mov_b32_e32 v22, s10
	s_xor_b64 exec, exec, s[6:7]
	s_cbranch_execnz .LBB47_3096
.LBB47_1046:
	s_or_b64 exec, exec, s[6:7]
	s_and_saveexec_b64 s[6:7], s[4:5]
	s_cbranch_execz .LBB47_1048
.LBB47_1047:
	v_bfe_u32 v21, v10, 16, 3
	v_ffbh_u32_e32 v24, v21
	v_min_u32_e32 v24, 32, v24
	v_lshrrev_b32_e32 v22, 19, v10
	v_subrev_u32_e32 v25, 28, v24
	v_and_b32_e32 v22, 15, v22
	v_lshlrev_b32_sdwa v25, v25, v10 dst_sel:DWORD dst_unused:UNUSED_PAD src0_sel:DWORD src1_sel:WORD_1
	v_bfe_u32 v23, v10, 19, 4
	v_sub_u32_e32 v24, 29, v24
	v_and_b32_e32 v25, 7, v25
	v_cmp_eq_u16_e32 vcc, 0, v22
	v_cndmask_b32_e32 v21, v21, v25, vcc
	v_cndmask_b32_e32 v22, v23, v24, vcc
	v_lshlrev_b32_e32 v23, 8, v10
	v_mov_b32_e32 v24, 0x3b800000
	v_lshlrev_b32_e32 v21, 20, v21
	v_and_b32_e32 v23, 0x80000000, v23
	v_lshl_add_u32 v22, v22, 23, v24
	v_or3_b32 v22, v23, v22, v21
.LBB47_1048:
	s_or_b64 exec, exec, s[6:7]
	s_nop 0
	v_mfma_f32_16x16x4f32 a[0:3], v20, v22, a[0:3]
	s_movk_i32 s4, 0x7f
	v_cmp_gt_i16_sdwa s[6:7], v14, s4 src0_sel:BYTE_3 src1_sel:DWORD
	s_mov_b64 s[4:5], 0
                                        ; implicit-def: $sgpr10
	s_and_saveexec_b64 s[8:9], s[6:7]
	s_xor_b64 s[6:7], exec, s[8:9]
	s_cbranch_execnz .LBB47_3097
; %bb.1049:
	s_or_saveexec_b64 s[6:7], s[6:7]
	v_mov_b32_e32 v20, s10
	s_xor_b64 exec, exec, s[6:7]
	s_cbranch_execnz .LBB47_3100
.LBB47_1050:
	s_or_b64 exec, exec, s[6:7]
	s_and_saveexec_b64 s[6:7], s[4:5]
	s_cbranch_execz .LBB47_1052
.LBB47_1051:
	v_bfe_u32 v20, v14, 24, 3
	v_ffbh_u32_e32 v24, v20
	v_min_u32_e32 v24, 32, v24
	v_lshrrev_b32_e32 v22, 27, v14
	v_subrev_u32_e32 v25, 28, v24
	v_and_b32_e32 v21, 0x80000000, v14
	v_and_b32_e32 v22, 15, v22
	v_bfe_u32 v23, v14, 27, 4
	v_lshlrev_b32_sdwa v14, v25, v14 dst_sel:DWORD dst_unused:UNUSED_PAD src0_sel:DWORD src1_sel:BYTE_3
	v_sub_u32_e32 v24, 29, v24
	v_and_b32_e32 v14, 7, v14
	v_cmp_eq_u16_e32 vcc, 0, v22
	v_cndmask_b32_e32 v14, v20, v14, vcc
	v_cndmask_b32_e32 v20, v23, v24, vcc
	v_mov_b32_e32 v22, 0x3b800000
	v_lshlrev_b32_e32 v14, 20, v14
	v_lshl_add_u32 v20, v20, 23, v22
	v_or3_b32 v20, v21, v20, v14
.LBB47_1052:
	s_or_b64 exec, exec, s[6:7]
	s_movk_i32 s4, 0x7f
	v_cmp_gt_i16_sdwa s[6:7], v10, s4 src0_sel:BYTE_3 src1_sel:DWORD
	s_mov_b64 s[4:5], 0
                                        ; implicit-def: $sgpr10
	s_and_saveexec_b64 s[8:9], s[6:7]
	s_xor_b64 s[6:7], exec, s[8:9]
	s_cbranch_execnz .LBB47_3101
; %bb.1053:
	s_or_saveexec_b64 s[6:7], s[6:7]
	v_mov_b32_e32 v14, s10
	s_xor_b64 exec, exec, s[6:7]
	s_cbranch_execnz .LBB47_3104
.LBB47_1054:
	s_or_b64 exec, exec, s[6:7]
	s_and_saveexec_b64 s[6:7], s[4:5]
	s_cbranch_execz .LBB47_1056
.LBB47_1055:
	v_bfe_u32 v14, v10, 24, 3
	v_ffbh_u32_e32 v24, v14
	v_min_u32_e32 v24, 32, v24
	v_lshrrev_b32_e32 v22, 27, v10
	v_subrev_u32_e32 v25, 28, v24
	v_and_b32_e32 v21, 0x80000000, v10
	v_and_b32_e32 v22, 15, v22
	v_bfe_u32 v23, v10, 27, 4
	v_lshlrev_b32_sdwa v10, v25, v10 dst_sel:DWORD dst_unused:UNUSED_PAD src0_sel:DWORD src1_sel:BYTE_3
	v_sub_u32_e32 v24, 29, v24
	v_and_b32_e32 v10, 7, v10
	v_cmp_eq_u16_e32 vcc, 0, v22
	v_cndmask_b32_e32 v10, v14, v10, vcc
	v_cndmask_b32_e32 v14, v23, v24, vcc
	v_mov_b32_e32 v22, 0x3b800000
	v_lshlrev_b32_e32 v10, 20, v10
	v_lshl_add_u32 v14, v14, 23, v22
	v_or3_b32 v14, v21, v14, v10
.LBB47_1056:
	s_or_b64 exec, exec, s[6:7]
	s_nop 0
	v_mfma_f32_16x16x4f32 a[0:3], v20, v14, a[0:3]
	s_movk_i32 s4, 0x7f
	v_cmp_gt_i16_sdwa s[6:7], v15, s4 src0_sel:BYTE_0 src1_sel:DWORD
	s_mov_b64 s[4:5], 0
                                        ; implicit-def: $sgpr10
	s_and_saveexec_b64 s[8:9], s[6:7]
	s_xor_b64 s[6:7], exec, s[8:9]
	s_cbranch_execnz .LBB47_3105
; %bb.1057:
	s_or_saveexec_b64 s[6:7], s[6:7]
	v_mov_b32_e32 v10, s10
	s_xor_b64 exec, exec, s[6:7]
	s_cbranch_execnz .LBB47_3108
.LBB47_1058:
	s_or_b64 exec, exec, s[6:7]
	s_and_saveexec_b64 s[6:7], s[4:5]
	s_cbranch_execz .LBB47_1060
.LBB47_1059:
	v_and_b32_e32 v10, 7, v15
	v_ffbh_u32_e32 v20, v10
	v_min_u32_e32 v20, 32, v20
	v_lshrrev_b16_e32 v14, 3, v15
	v_subrev_u32_e32 v21, 28, v20
	v_and_b32_e32 v14, 15, v14
	v_lshlrev_b32_e32 v21, v21, v15
	v_sub_u32_e32 v20, 29, v20
	v_and_b32_e32 v21, 7, v21
	v_cmp_eq_u16_e32 vcc, 0, v14
	v_cndmask_b32_e32 v10, v10, v21, vcc
	v_cndmask_b32_e32 v14, v14, v20, vcc
	v_lshlrev_b32_e32 v20, 24, v15
	v_mov_b32_e32 v21, 0x3b800000
	v_lshlrev_b32_e32 v10, 20, v10
	v_and_b32_e32 v20, 0x80000000, v20
	v_lshl_add_u32 v14, v14, 23, v21
	v_or3_b32 v10, v20, v14, v10
.LBB47_1060:
	s_or_b64 exec, exec, s[6:7]
	s_movk_i32 s4, 0x7f
	v_cmp_gt_i16_sdwa s[6:7], v11, s4 src0_sel:BYTE_0 src1_sel:DWORD
	s_mov_b64 s[4:5], 0
                                        ; implicit-def: $sgpr10
	s_and_saveexec_b64 s[8:9], s[6:7]
	s_xor_b64 s[6:7], exec, s[8:9]
	s_cbranch_execnz .LBB47_3109
; %bb.1061:
	s_or_saveexec_b64 s[6:7], s[6:7]
	v_mov_b32_e32 v14, s10
	s_xor_b64 exec, exec, s[6:7]
	s_cbranch_execnz .LBB47_3112
.LBB47_1062:
	s_or_b64 exec, exec, s[6:7]
	s_and_saveexec_b64 s[6:7], s[4:5]
	s_cbranch_execz .LBB47_1064
.LBB47_1063:
	v_and_b32_e32 v14, 7, v11
	v_ffbh_u32_e32 v21, v14
	v_min_u32_e32 v21, 32, v21
	v_lshrrev_b16_e32 v20, 3, v11
	v_subrev_u32_e32 v22, 28, v21
	v_and_b32_e32 v20, 15, v20
	v_lshlrev_b32_e32 v22, v22, v11
	v_sub_u32_e32 v21, 29, v21
	v_and_b32_e32 v22, 7, v22
	v_cmp_eq_u16_e32 vcc, 0, v20
	v_cndmask_b32_e32 v14, v14, v22, vcc
	v_cndmask_b32_e32 v20, v20, v21, vcc
	v_lshlrev_b32_e32 v21, 24, v11
	v_mov_b32_e32 v22, 0x3b800000
	v_lshlrev_b32_e32 v14, 20, v14
	v_and_b32_e32 v21, 0x80000000, v21
	v_lshl_add_u32 v20, v20, 23, v22
	v_or3_b32 v14, v21, v20, v14
.LBB47_1064:
	s_or_b64 exec, exec, s[6:7]
	s_nop 0
	v_mfma_f32_16x16x4f32 a[0:3], v10, v14, a[0:3]
	v_lshrrev_b32_e32 v14, 8, v15
	s_movk_i32 s4, 0x7f
	v_cmp_gt_i16_sdwa s[6:7], v14, s4 src0_sel:BYTE_0 src1_sel:DWORD
	s_mov_b64 s[4:5], 0
                                        ; implicit-def: $sgpr10
	s_and_saveexec_b64 s[8:9], s[6:7]
	s_xor_b64 s[6:7], exec, s[8:9]
	s_cbranch_execnz .LBB47_3113
; %bb.1065:
	s_or_saveexec_b64 s[6:7], s[6:7]
	v_mov_b32_e32 v10, s10
	s_xor_b64 exec, exec, s[6:7]
	s_cbranch_execnz .LBB47_3116
.LBB47_1066:
	s_or_b64 exec, exec, s[6:7]
	s_and_saveexec_b64 s[6:7], s[4:5]
	s_cbranch_execz .LBB47_1068
.LBB47_1067:
	v_bfe_u32 v10, v15, 8, 3
	v_ffbh_u32_e32 v21, v10
	v_min_u32_e32 v21, 32, v21
	v_lshrrev_b16_e32 v20, 3, v14
	v_subrev_u32_e32 v22, 28, v21
	v_and_b32_e32 v20, 15, v20
	v_lshlrev_b32_e32 v14, v22, v14
	v_sub_u32_e32 v21, 29, v21
	v_and_b32_e32 v14, 7, v14
	v_cmp_eq_u16_e32 vcc, 0, v20
	v_cndmask_b32_e32 v10, v10, v14, vcc
	v_cndmask_b32_e32 v14, v20, v21, vcc
	v_lshlrev_b32_e32 v20, 16, v15
	v_mov_b32_e32 v21, 0x3b800000
	v_lshlrev_b32_e32 v10, 20, v10
	v_and_b32_e32 v20, 0x80000000, v20
	v_lshl_add_u32 v14, v14, 23, v21
	v_or3_b32 v10, v20, v14, v10
.LBB47_1068:
	s_or_b64 exec, exec, s[6:7]
	v_lshrrev_b32_e32 v14, 8, v11
	s_movk_i32 s4, 0x7f
	v_cmp_gt_i16_sdwa s[6:7], v14, s4 src0_sel:BYTE_0 src1_sel:DWORD
	s_mov_b64 s[4:5], 0
                                        ; implicit-def: $sgpr10
	s_and_saveexec_b64 s[8:9], s[6:7]
	s_xor_b64 s[6:7], exec, s[8:9]
	s_cbranch_execnz .LBB47_3117
; %bb.1069:
	s_or_saveexec_b64 s[6:7], s[6:7]
	v_mov_b32_e32 v20, s10
	s_xor_b64 exec, exec, s[6:7]
	s_cbranch_execnz .LBB47_3120
.LBB47_1070:
	s_or_b64 exec, exec, s[6:7]
	s_and_saveexec_b64 s[6:7], s[4:5]
	s_cbranch_execz .LBB47_1072
.LBB47_1071:
	v_bfe_u32 v20, v11, 8, 3
	v_ffbh_u32_e32 v22, v20
	v_min_u32_e32 v22, 32, v22
	v_lshrrev_b16_e32 v21, 3, v14
	v_subrev_u32_e32 v23, 28, v22
	v_and_b32_e32 v21, 15, v21
	v_lshlrev_b32_e32 v14, v23, v14
	v_sub_u32_e32 v22, 29, v22
	v_and_b32_e32 v14, 7, v14
	v_cmp_eq_u16_e32 vcc, 0, v21
	v_cndmask_b32_e32 v14, v20, v14, vcc
	v_cndmask_b32_e32 v20, v21, v22, vcc
	v_lshlrev_b32_e32 v21, 16, v11
	v_mov_b32_e32 v22, 0x3b800000
	v_lshlrev_b32_e32 v14, 20, v14
	v_and_b32_e32 v21, 0x80000000, v21
	v_lshl_add_u32 v20, v20, 23, v22
	v_or3_b32 v20, v21, v20, v14
.LBB47_1072:
	s_or_b64 exec, exec, s[6:7]
	s_nop 0
	v_mfma_f32_16x16x4f32 a[0:3], v10, v20, a[0:3]
	s_movk_i32 s4, 0xff
	v_and_b32_sdwa v14, v15, s4 dst_sel:DWORD dst_unused:UNUSED_PAD src0_sel:WORD_1 src1_sel:DWORD
	s_movk_i32 s4, 0x7f
	v_cmp_lt_i16_e32 vcc, s4, v14
	s_mov_b64 s[4:5], 0
                                        ; implicit-def: $sgpr10
	s_and_saveexec_b64 s[6:7], vcc
	s_xor_b64 s[6:7], exec, s[6:7]
	s_cbranch_execnz .LBB47_3121
; %bb.1073:
	s_or_saveexec_b64 s[6:7], s[6:7]
	v_mov_b32_e32 v10, s10
	s_xor_b64 exec, exec, s[6:7]
	s_cbranch_execnz .LBB47_3124
.LBB47_1074:
	s_or_b64 exec, exec, s[6:7]
	s_and_saveexec_b64 s[6:7], s[4:5]
	s_cbranch_execz .LBB47_1076
.LBB47_1075:
	v_bfe_u32 v10, v15, 16, 3
	v_ffbh_u32_e32 v21, v10
	v_min_u32_e32 v21, 32, v21
	v_lshrrev_b32_e32 v14, 19, v15
	v_subrev_u32_e32 v22, 28, v21
	v_and_b32_e32 v14, 15, v14
	v_lshlrev_b32_sdwa v22, v22, v15 dst_sel:DWORD dst_unused:UNUSED_PAD src0_sel:DWORD src1_sel:WORD_1
	v_bfe_u32 v20, v15, 19, 4
	v_sub_u32_e32 v21, 29, v21
	v_and_b32_e32 v22, 7, v22
	v_cmp_eq_u16_e32 vcc, 0, v14
	v_cndmask_b32_e32 v10, v10, v22, vcc
	v_cndmask_b32_e32 v14, v20, v21, vcc
	v_lshlrev_b32_e32 v20, 8, v15
	v_mov_b32_e32 v21, 0x3b800000
	v_lshlrev_b32_e32 v10, 20, v10
	v_and_b32_e32 v20, 0x80000000, v20
	v_lshl_add_u32 v14, v14, 23, v21
	v_or3_b32 v10, v20, v14, v10
.LBB47_1076:
	s_or_b64 exec, exec, s[6:7]
	s_movk_i32 s4, 0xff
	v_and_b32_sdwa v14, v11, s4 dst_sel:DWORD dst_unused:UNUSED_PAD src0_sel:WORD_1 src1_sel:DWORD
	s_movk_i32 s4, 0x7f
	v_cmp_lt_i16_e32 vcc, s4, v14
	s_mov_b64 s[4:5], 0
                                        ; implicit-def: $sgpr10
	s_and_saveexec_b64 s[6:7], vcc
	s_xor_b64 s[6:7], exec, s[6:7]
	s_cbranch_execnz .LBB47_3125
; %bb.1077:
	s_or_saveexec_b64 s[6:7], s[6:7]
	v_mov_b32_e32 v20, s10
	s_xor_b64 exec, exec, s[6:7]
	s_cbranch_execnz .LBB47_3128
.LBB47_1078:
	s_or_b64 exec, exec, s[6:7]
	s_and_saveexec_b64 s[6:7], s[4:5]
	s_cbranch_execz .LBB47_1080
.LBB47_1079:
	v_bfe_u32 v14, v11, 16, 3
	v_ffbh_u32_e32 v22, v14
	v_min_u32_e32 v22, 32, v22
	v_lshrrev_b32_e32 v20, 19, v11
	v_subrev_u32_e32 v23, 28, v22
	v_and_b32_e32 v20, 15, v20
	v_lshlrev_b32_sdwa v23, v23, v11 dst_sel:DWORD dst_unused:UNUSED_PAD src0_sel:DWORD src1_sel:WORD_1
	v_bfe_u32 v21, v11, 19, 4
	v_sub_u32_e32 v22, 29, v22
	v_and_b32_e32 v23, 7, v23
	v_cmp_eq_u16_e32 vcc, 0, v20
	v_cndmask_b32_e32 v14, v14, v23, vcc
	v_cndmask_b32_e32 v20, v21, v22, vcc
	v_lshlrev_b32_e32 v21, 8, v11
	v_mov_b32_e32 v22, 0x3b800000
	v_lshlrev_b32_e32 v14, 20, v14
	v_and_b32_e32 v21, 0x80000000, v21
	v_lshl_add_u32 v20, v20, 23, v22
	v_or3_b32 v20, v21, v20, v14
.LBB47_1080:
	s_or_b64 exec, exec, s[6:7]
	s_nop 0
	v_mfma_f32_16x16x4f32 a[0:3], v10, v20, a[0:3]
	s_movk_i32 s4, 0x7f
	v_cmp_gt_i16_sdwa s[6:7], v15, s4 src0_sel:BYTE_3 src1_sel:DWORD
	s_mov_b64 s[4:5], 0
                                        ; implicit-def: $sgpr10
	s_and_saveexec_b64 s[8:9], s[6:7]
	s_xor_b64 s[6:7], exec, s[8:9]
	s_cbranch_execnz .LBB47_3129
; %bb.1081:
	s_or_saveexec_b64 s[6:7], s[6:7]
	v_mov_b32_e32 v10, s10
	s_xor_b64 exec, exec, s[6:7]
	s_cbranch_execnz .LBB47_3132
.LBB47_1082:
	s_or_b64 exec, exec, s[6:7]
	s_and_saveexec_b64 s[6:7], s[4:5]
	s_cbranch_execz .LBB47_1084
.LBB47_1083:
	v_bfe_u32 v10, v15, 24, 3
	v_ffbh_u32_e32 v22, v10
	v_min_u32_e32 v22, 32, v22
	v_lshrrev_b32_e32 v20, 27, v15
	v_subrev_u32_e32 v23, 28, v22
	v_and_b32_e32 v14, 0x80000000, v15
	v_and_b32_e32 v20, 15, v20
	v_bfe_u32 v21, v15, 27, 4
	v_lshlrev_b32_sdwa v15, v23, v15 dst_sel:DWORD dst_unused:UNUSED_PAD src0_sel:DWORD src1_sel:BYTE_3
	v_sub_u32_e32 v22, 29, v22
	v_and_b32_e32 v15, 7, v15
	v_cmp_eq_u16_e32 vcc, 0, v20
	v_cndmask_b32_e32 v10, v10, v15, vcc
	v_cndmask_b32_e32 v15, v21, v22, vcc
	v_mov_b32_e32 v20, 0x3b800000
	v_lshlrev_b32_e32 v10, 20, v10
	v_lshl_add_u32 v15, v15, 23, v20
	v_or3_b32 v10, v14, v15, v10
.LBB47_1084:
	s_or_b64 exec, exec, s[6:7]
	s_movk_i32 s4, 0x7f
	v_cmp_gt_i16_sdwa s[6:7], v11, s4 src0_sel:BYTE_3 src1_sel:DWORD
	s_mov_b64 s[4:5], 0
                                        ; implicit-def: $sgpr10
	s_and_saveexec_b64 s[8:9], s[6:7]
	s_xor_b64 s[6:7], exec, s[8:9]
	s_cbranch_execnz .LBB47_3133
; %bb.1085:
	s_or_saveexec_b64 s[6:7], s[6:7]
	v_mov_b32_e32 v14, s10
	s_xor_b64 exec, exec, s[6:7]
	s_cbranch_execnz .LBB47_3136
.LBB47_1086:
	s_or_b64 exec, exec, s[6:7]
	s_and_saveexec_b64 s[6:7], s[4:5]
	s_cbranch_execz .LBB47_1088
.LBB47_1087:
	v_bfe_u32 v14, v11, 24, 3
	v_ffbh_u32_e32 v22, v14
	v_min_u32_e32 v22, 32, v22
	v_lshrrev_b32_e32 v20, 27, v11
	v_subrev_u32_e32 v23, 28, v22
	v_and_b32_e32 v15, 0x80000000, v11
	v_and_b32_e32 v20, 15, v20
	v_bfe_u32 v21, v11, 27, 4
	v_lshlrev_b32_sdwa v11, v23, v11 dst_sel:DWORD dst_unused:UNUSED_PAD src0_sel:DWORD src1_sel:BYTE_3
	v_sub_u32_e32 v22, 29, v22
	v_and_b32_e32 v11, 7, v11
	v_cmp_eq_u16_e32 vcc, 0, v20
	v_cndmask_b32_e32 v11, v14, v11, vcc
	v_cndmask_b32_e32 v14, v21, v22, vcc
	v_mov_b32_e32 v20, 0x3b800000
	v_lshlrev_b32_e32 v11, 20, v11
	v_lshl_add_u32 v14, v14, 23, v20
	v_or3_b32 v14, v15, v14, v11
.LBB47_1088:
	s_or_b64 exec, exec, s[6:7]
	s_nop 0
	v_mfma_f32_16x16x4f32 a[0:3], v10, v14, a[0:3]
	s_movk_i32 s4, 0x7f
	v_cmp_gt_i16_sdwa s[6:7], v16, s4 src0_sel:BYTE_0 src1_sel:DWORD
	s_mov_b64 s[4:5], 0
                                        ; implicit-def: $sgpr10
	s_and_saveexec_b64 s[8:9], s[6:7]
	s_xor_b64 s[6:7], exec, s[8:9]
	s_cbranch_execnz .LBB47_3137
; %bb.1089:
	s_or_saveexec_b64 s[6:7], s[6:7]
	v_mov_b32_e32 v10, s10
	s_xor_b64 exec, exec, s[6:7]
	s_cbranch_execnz .LBB47_3140
.LBB47_1090:
	s_or_b64 exec, exec, s[6:7]
	s_and_saveexec_b64 s[6:7], s[4:5]
	s_cbranch_execz .LBB47_1092
.LBB47_1091:
	v_and_b32_e32 v10, 7, v16
	v_ffbh_u32_e32 v14, v10
	v_min_u32_e32 v14, 32, v14
	v_lshrrev_b16_e32 v11, 3, v16
	v_subrev_u32_e32 v15, 28, v14
	v_and_b32_e32 v11, 15, v11
	v_lshlrev_b32_e32 v15, v15, v16
	v_sub_u32_e32 v14, 29, v14
	v_and_b32_e32 v15, 7, v15
	v_cmp_eq_u16_e32 vcc, 0, v11
	v_cndmask_b32_e32 v10, v10, v15, vcc
	v_cndmask_b32_e32 v11, v11, v14, vcc
	v_lshlrev_b32_e32 v14, 24, v16
	v_mov_b32_e32 v15, 0x3b800000
	v_lshlrev_b32_e32 v10, 20, v10
	v_and_b32_e32 v14, 0x80000000, v14
	v_lshl_add_u32 v11, v11, 23, v15
	v_or3_b32 v10, v14, v11, v10
.LBB47_1092:
	s_or_b64 exec, exec, s[6:7]
	s_movk_i32 s4, 0x7f
	v_cmp_gt_i16_sdwa s[6:7], v12, s4 src0_sel:BYTE_0 src1_sel:DWORD
	s_mov_b64 s[4:5], 0
                                        ; implicit-def: $sgpr10
	s_and_saveexec_b64 s[8:9], s[6:7]
	s_xor_b64 s[6:7], exec, s[8:9]
	s_cbranch_execnz .LBB47_3141
; %bb.1093:
	s_or_saveexec_b64 s[6:7], s[6:7]
	v_mov_b32_e32 v11, s10
	s_xor_b64 exec, exec, s[6:7]
	s_cbranch_execnz .LBB47_3144
.LBB47_1094:
	s_or_b64 exec, exec, s[6:7]
	s_and_saveexec_b64 s[6:7], s[4:5]
	s_cbranch_execz .LBB47_1096
.LBB47_1095:
	v_and_b32_e32 v11, 7, v12
	v_ffbh_u32_e32 v15, v11
	v_min_u32_e32 v15, 32, v15
	v_lshrrev_b16_e32 v14, 3, v12
	v_subrev_u32_e32 v20, 28, v15
	v_and_b32_e32 v14, 15, v14
	v_lshlrev_b32_e32 v20, v20, v12
	v_sub_u32_e32 v15, 29, v15
	v_and_b32_e32 v20, 7, v20
	v_cmp_eq_u16_e32 vcc, 0, v14
	v_cndmask_b32_e32 v11, v11, v20, vcc
	v_cndmask_b32_e32 v14, v14, v15, vcc
	v_lshlrev_b32_e32 v15, 24, v12
	v_mov_b32_e32 v20, 0x3b800000
	v_lshlrev_b32_e32 v11, 20, v11
	v_and_b32_e32 v15, 0x80000000, v15
	v_lshl_add_u32 v14, v14, 23, v20
	v_or3_b32 v11, v15, v14, v11
.LBB47_1096:
	s_or_b64 exec, exec, s[6:7]
	s_nop 0
	v_mfma_f32_16x16x4f32 a[0:3], v10, v11, a[0:3]
	v_lshrrev_b32_e32 v11, 8, v16
	s_movk_i32 s4, 0x7f
	v_cmp_gt_i16_sdwa s[6:7], v11, s4 src0_sel:BYTE_0 src1_sel:DWORD
	s_mov_b64 s[4:5], 0
                                        ; implicit-def: $sgpr10
	s_and_saveexec_b64 s[8:9], s[6:7]
	s_xor_b64 s[6:7], exec, s[8:9]
	s_cbranch_execnz .LBB47_3145
; %bb.1097:
	s_or_saveexec_b64 s[6:7], s[6:7]
	v_mov_b32_e32 v10, s10
	s_xor_b64 exec, exec, s[6:7]
	s_cbranch_execnz .LBB47_3148
.LBB47_1098:
	s_or_b64 exec, exec, s[6:7]
	s_and_saveexec_b64 s[6:7], s[4:5]
	s_cbranch_execz .LBB47_1100
.LBB47_1099:
	v_bfe_u32 v10, v16, 8, 3
	v_ffbh_u32_e32 v15, v10
	v_min_u32_e32 v15, 32, v15
	v_lshrrev_b16_e32 v14, 3, v11
	v_subrev_u32_e32 v20, 28, v15
	v_and_b32_e32 v14, 15, v14
	v_lshlrev_b32_e32 v11, v20, v11
	v_sub_u32_e32 v15, 29, v15
	v_and_b32_e32 v11, 7, v11
	v_cmp_eq_u16_e32 vcc, 0, v14
	v_cndmask_b32_e32 v10, v10, v11, vcc
	v_cndmask_b32_e32 v11, v14, v15, vcc
	v_lshlrev_b32_e32 v14, 16, v16
	v_mov_b32_e32 v15, 0x3b800000
	v_lshlrev_b32_e32 v10, 20, v10
	v_and_b32_e32 v14, 0x80000000, v14
	v_lshl_add_u32 v11, v11, 23, v15
	v_or3_b32 v10, v14, v11, v10
.LBB47_1100:
	s_or_b64 exec, exec, s[6:7]
	v_lshrrev_b32_e32 v11, 8, v12
	s_movk_i32 s4, 0x7f
	v_cmp_gt_i16_sdwa s[6:7], v11, s4 src0_sel:BYTE_0 src1_sel:DWORD
	s_mov_b64 s[4:5], 0
                                        ; implicit-def: $sgpr10
	s_and_saveexec_b64 s[8:9], s[6:7]
	s_xor_b64 s[6:7], exec, s[8:9]
	s_cbranch_execnz .LBB47_3149
; %bb.1101:
	s_or_saveexec_b64 s[6:7], s[6:7]
	v_mov_b32_e32 v14, s10
	s_xor_b64 exec, exec, s[6:7]
	s_cbranch_execnz .LBB47_3152
.LBB47_1102:
	s_or_b64 exec, exec, s[6:7]
	s_and_saveexec_b64 s[6:7], s[4:5]
	s_cbranch_execz .LBB47_1104
.LBB47_1103:
	v_bfe_u32 v14, v12, 8, 3
	v_ffbh_u32_e32 v20, v14
	v_min_u32_e32 v20, 32, v20
	v_lshrrev_b16_e32 v15, 3, v11
	v_subrev_u32_e32 v21, 28, v20
	v_and_b32_e32 v15, 15, v15
	v_lshlrev_b32_e32 v11, v21, v11
	v_sub_u32_e32 v20, 29, v20
	v_and_b32_e32 v11, 7, v11
	v_cmp_eq_u16_e32 vcc, 0, v15
	v_cndmask_b32_e32 v11, v14, v11, vcc
	v_cndmask_b32_e32 v14, v15, v20, vcc
	v_lshlrev_b32_e32 v15, 16, v12
	v_mov_b32_e32 v20, 0x3b800000
	v_lshlrev_b32_e32 v11, 20, v11
	v_and_b32_e32 v15, 0x80000000, v15
	v_lshl_add_u32 v14, v14, 23, v20
	v_or3_b32 v14, v15, v14, v11
.LBB47_1104:
	s_or_b64 exec, exec, s[6:7]
	s_nop 0
	v_mfma_f32_16x16x4f32 a[0:3], v10, v14, a[0:3]
	s_movk_i32 s4, 0xff
	v_and_b32_sdwa v11, v16, s4 dst_sel:DWORD dst_unused:UNUSED_PAD src0_sel:WORD_1 src1_sel:DWORD
	s_movk_i32 s4, 0x7f
	v_cmp_lt_i16_e32 vcc, s4, v11
	s_mov_b64 s[4:5], 0
                                        ; implicit-def: $sgpr10
	s_and_saveexec_b64 s[6:7], vcc
	s_xor_b64 s[6:7], exec, s[6:7]
	s_cbranch_execnz .LBB47_3153
; %bb.1105:
	s_or_saveexec_b64 s[6:7], s[6:7]
	v_mov_b32_e32 v10, s10
	s_xor_b64 exec, exec, s[6:7]
	s_cbranch_execnz .LBB47_3156
.LBB47_1106:
	s_or_b64 exec, exec, s[6:7]
	s_and_saveexec_b64 s[6:7], s[4:5]
	s_cbranch_execz .LBB47_1108
.LBB47_1107:
	v_bfe_u32 v10, v16, 16, 3
	v_ffbh_u32_e32 v15, v10
	v_min_u32_e32 v15, 32, v15
	v_lshrrev_b32_e32 v11, 19, v16
	v_subrev_u32_e32 v20, 28, v15
	v_and_b32_e32 v11, 15, v11
	v_lshlrev_b32_sdwa v20, v20, v16 dst_sel:DWORD dst_unused:UNUSED_PAD src0_sel:DWORD src1_sel:WORD_1
	v_bfe_u32 v14, v16, 19, 4
	v_sub_u32_e32 v15, 29, v15
	v_and_b32_e32 v20, 7, v20
	v_cmp_eq_u16_e32 vcc, 0, v11
	v_cndmask_b32_e32 v10, v10, v20, vcc
	v_cndmask_b32_e32 v11, v14, v15, vcc
	v_lshlrev_b32_e32 v14, 8, v16
	v_mov_b32_e32 v15, 0x3b800000
	v_lshlrev_b32_e32 v10, 20, v10
	v_and_b32_e32 v14, 0x80000000, v14
	v_lshl_add_u32 v11, v11, 23, v15
	v_or3_b32 v10, v14, v11, v10
.LBB47_1108:
	s_or_b64 exec, exec, s[6:7]
	s_movk_i32 s4, 0xff
	v_and_b32_sdwa v11, v12, s4 dst_sel:DWORD dst_unused:UNUSED_PAD src0_sel:WORD_1 src1_sel:DWORD
	s_movk_i32 s4, 0x7f
	v_cmp_lt_i16_e32 vcc, s4, v11
	s_mov_b64 s[4:5], 0
                                        ; implicit-def: $sgpr10
	s_and_saveexec_b64 s[6:7], vcc
	s_xor_b64 s[6:7], exec, s[6:7]
	s_cbranch_execnz .LBB47_3157
; %bb.1109:
	s_or_saveexec_b64 s[6:7], s[6:7]
	v_mov_b32_e32 v14, s10
	s_xor_b64 exec, exec, s[6:7]
	s_cbranch_execnz .LBB47_3160
.LBB47_1110:
	s_or_b64 exec, exec, s[6:7]
	s_and_saveexec_b64 s[6:7], s[4:5]
	s_cbranch_execz .LBB47_1112
.LBB47_1111:
	v_bfe_u32 v11, v12, 16, 3
	v_ffbh_u32_e32 v20, v11
	v_min_u32_e32 v20, 32, v20
	v_lshrrev_b32_e32 v14, 19, v12
	v_subrev_u32_e32 v21, 28, v20
	v_and_b32_e32 v14, 15, v14
	v_lshlrev_b32_sdwa v21, v21, v12 dst_sel:DWORD dst_unused:UNUSED_PAD src0_sel:DWORD src1_sel:WORD_1
	v_bfe_u32 v15, v12, 19, 4
	v_sub_u32_e32 v20, 29, v20
	v_and_b32_e32 v21, 7, v21
	v_cmp_eq_u16_e32 vcc, 0, v14
	v_cndmask_b32_e32 v11, v11, v21, vcc
	v_cndmask_b32_e32 v14, v15, v20, vcc
	v_lshlrev_b32_e32 v15, 8, v12
	v_mov_b32_e32 v20, 0x3b800000
	v_lshlrev_b32_e32 v11, 20, v11
	v_and_b32_e32 v15, 0x80000000, v15
	v_lshl_add_u32 v14, v14, 23, v20
	v_or3_b32 v14, v15, v14, v11
.LBB47_1112:
	s_or_b64 exec, exec, s[6:7]
	s_nop 0
	v_mfma_f32_16x16x4f32 a[0:3], v10, v14, a[0:3]
	s_movk_i32 s4, 0x7f
	v_cmp_gt_i16_sdwa s[6:7], v16, s4 src0_sel:BYTE_3 src1_sel:DWORD
	s_mov_b64 s[4:5], 0
                                        ; implicit-def: $sgpr10
	s_and_saveexec_b64 s[8:9], s[6:7]
	s_xor_b64 s[6:7], exec, s[8:9]
	s_cbranch_execnz .LBB47_3161
; %bb.1113:
	s_or_saveexec_b64 s[6:7], s[6:7]
	v_mov_b32_e32 v10, s10
	s_xor_b64 exec, exec, s[6:7]
	s_cbranch_execnz .LBB47_3164
.LBB47_1114:
	s_or_b64 exec, exec, s[6:7]
	s_and_saveexec_b64 s[6:7], s[4:5]
	s_cbranch_execz .LBB47_1116
.LBB47_1115:
	v_bfe_u32 v10, v16, 24, 3
	v_ffbh_u32_e32 v20, v10
	v_min_u32_e32 v20, 32, v20
	v_lshrrev_b32_e32 v14, 27, v16
	v_subrev_u32_e32 v21, 28, v20
	v_and_b32_e32 v11, 0x80000000, v16
	v_and_b32_e32 v14, 15, v14
	v_bfe_u32 v15, v16, 27, 4
	v_lshlrev_b32_sdwa v16, v21, v16 dst_sel:DWORD dst_unused:UNUSED_PAD src0_sel:DWORD src1_sel:BYTE_3
	v_sub_u32_e32 v20, 29, v20
	v_and_b32_e32 v16, 7, v16
	v_cmp_eq_u16_e32 vcc, 0, v14
	v_cndmask_b32_e32 v10, v10, v16, vcc
	v_cndmask_b32_e32 v14, v15, v20, vcc
	v_mov_b32_e32 v15, 0x3b800000
	v_lshlrev_b32_e32 v10, 20, v10
	v_lshl_add_u32 v14, v14, 23, v15
	v_or3_b32 v10, v11, v14, v10
.LBB47_1116:
	s_or_b64 exec, exec, s[6:7]
	s_movk_i32 s4, 0x7f
	v_cmp_gt_i16_sdwa s[6:7], v12, s4 src0_sel:BYTE_3 src1_sel:DWORD
	s_mov_b64 s[4:5], 0
                                        ; implicit-def: $sgpr10
	s_and_saveexec_b64 s[8:9], s[6:7]
	s_xor_b64 s[6:7], exec, s[8:9]
	s_cbranch_execnz .LBB47_3165
; %bb.1117:
	s_or_saveexec_b64 s[6:7], s[6:7]
	v_mov_b32_e32 v11, s10
	s_xor_b64 exec, exec, s[6:7]
	s_cbranch_execnz .LBB47_3168
.LBB47_1118:
	s_or_b64 exec, exec, s[6:7]
	s_and_saveexec_b64 s[6:7], s[4:5]
	s_cbranch_execz .LBB47_1120
.LBB47_1119:
	v_bfe_u32 v11, v12, 24, 3
	v_ffbh_u32_e32 v20, v11
	v_min_u32_e32 v20, 32, v20
	v_lshrrev_b32_e32 v15, 27, v12
	v_subrev_u32_e32 v21, 28, v20
	v_and_b32_e32 v14, 0x80000000, v12
	v_and_b32_e32 v15, 15, v15
	v_bfe_u32 v16, v12, 27, 4
	v_lshlrev_b32_sdwa v12, v21, v12 dst_sel:DWORD dst_unused:UNUSED_PAD src0_sel:DWORD src1_sel:BYTE_3
	v_sub_u32_e32 v20, 29, v20
	v_and_b32_e32 v12, 7, v12
	v_cmp_eq_u16_e32 vcc, 0, v15
	v_cndmask_b32_e32 v11, v11, v12, vcc
	v_cndmask_b32_e32 v12, v16, v20, vcc
	v_mov_b32_e32 v15, 0x3b800000
	v_lshlrev_b32_e32 v11, 20, v11
	v_lshl_add_u32 v12, v12, 23, v15
	v_or3_b32 v11, v14, v12, v11
.LBB47_1120:
	s_or_b64 exec, exec, s[6:7]
	s_nop 0
	v_mfma_f32_16x16x4f32 a[0:3], v10, v11, a[0:3]
	s_movk_i32 s4, 0x7f
	v_cmp_gt_i16_sdwa s[6:7], v17, s4 src0_sel:BYTE_0 src1_sel:DWORD
	s_mov_b64 s[4:5], 0
                                        ; implicit-def: $sgpr10
	s_and_saveexec_b64 s[8:9], s[6:7]
	s_xor_b64 s[6:7], exec, s[8:9]
	s_cbranch_execnz .LBB47_3169
; %bb.1121:
	s_or_saveexec_b64 s[6:7], s[6:7]
	v_mov_b32_e32 v10, s10
	s_xor_b64 exec, exec, s[6:7]
	s_cbranch_execnz .LBB47_3172
.LBB47_1122:
	s_or_b64 exec, exec, s[6:7]
	s_and_saveexec_b64 s[6:7], s[4:5]
	s_cbranch_execz .LBB47_1124
.LBB47_1123:
	v_and_b32_e32 v10, 7, v17
	v_ffbh_u32_e32 v12, v10
	v_min_u32_e32 v12, 32, v12
	v_lshrrev_b16_e32 v11, 3, v17
	v_subrev_u32_e32 v14, 28, v12
	v_and_b32_e32 v11, 15, v11
	v_lshlrev_b32_e32 v14, v14, v17
	v_sub_u32_e32 v12, 29, v12
	v_and_b32_e32 v14, 7, v14
	v_cmp_eq_u16_e32 vcc, 0, v11
	v_cndmask_b32_e32 v10, v10, v14, vcc
	v_cndmask_b32_e32 v11, v11, v12, vcc
	v_lshlrev_b32_e32 v12, 24, v17
	v_mov_b32_e32 v14, 0x3b800000
	v_lshlrev_b32_e32 v10, 20, v10
	v_and_b32_e32 v12, 0x80000000, v12
	v_lshl_add_u32 v11, v11, 23, v14
	v_or3_b32 v10, v12, v11, v10
.LBB47_1124:
	s_or_b64 exec, exec, s[6:7]
	s_movk_i32 s4, 0x7f
	v_cmp_gt_i16_sdwa s[6:7], v13, s4 src0_sel:BYTE_0 src1_sel:DWORD
	s_mov_b64 s[4:5], 0
                                        ; implicit-def: $sgpr10
	s_and_saveexec_b64 s[8:9], s[6:7]
	s_xor_b64 s[6:7], exec, s[8:9]
	s_cbranch_execnz .LBB47_3173
; %bb.1125:
	s_or_saveexec_b64 s[6:7], s[6:7]
	v_mov_b32_e32 v11, s10
	s_xor_b64 exec, exec, s[6:7]
	s_cbranch_execnz .LBB47_3176
.LBB47_1126:
	s_or_b64 exec, exec, s[6:7]
	s_and_saveexec_b64 s[6:7], s[4:5]
	s_cbranch_execz .LBB47_1128
.LBB47_1127:
	v_and_b32_e32 v11, 7, v13
	v_ffbh_u32_e32 v14, v11
	v_min_u32_e32 v14, 32, v14
	v_lshrrev_b16_e32 v12, 3, v13
	v_subrev_u32_e32 v15, 28, v14
	v_and_b32_e32 v12, 15, v12
	v_lshlrev_b32_e32 v15, v15, v13
	v_sub_u32_e32 v14, 29, v14
	v_and_b32_e32 v15, 7, v15
	v_cmp_eq_u16_e32 vcc, 0, v12
	v_cndmask_b32_e32 v11, v11, v15, vcc
	v_cndmask_b32_e32 v12, v12, v14, vcc
	v_lshlrev_b32_e32 v14, 24, v13
	v_mov_b32_e32 v15, 0x3b800000
	v_lshlrev_b32_e32 v11, 20, v11
	v_and_b32_e32 v14, 0x80000000, v14
	v_lshl_add_u32 v12, v12, 23, v15
	v_or3_b32 v11, v14, v12, v11
.LBB47_1128:
	s_or_b64 exec, exec, s[6:7]
	s_nop 0
	v_mfma_f32_16x16x4f32 a[0:3], v10, v11, a[0:3]
	v_lshrrev_b32_e32 v11, 8, v17
	s_movk_i32 s4, 0x7f
	v_cmp_gt_i16_sdwa s[6:7], v11, s4 src0_sel:BYTE_0 src1_sel:DWORD
	s_mov_b64 s[4:5], 0
                                        ; implicit-def: $sgpr10
	s_and_saveexec_b64 s[8:9], s[6:7]
	s_xor_b64 s[6:7], exec, s[8:9]
	s_cbranch_execnz .LBB47_3177
; %bb.1129:
	s_or_saveexec_b64 s[6:7], s[6:7]
	v_mov_b32_e32 v10, s10
	s_xor_b64 exec, exec, s[6:7]
	s_cbranch_execnz .LBB47_3180
.LBB47_1130:
	s_or_b64 exec, exec, s[6:7]
	s_and_saveexec_b64 s[6:7], s[4:5]
	s_cbranch_execz .LBB47_1132
.LBB47_1131:
	v_bfe_u32 v10, v17, 8, 3
	v_ffbh_u32_e32 v14, v10
	v_min_u32_e32 v14, 32, v14
	v_lshrrev_b16_e32 v12, 3, v11
	v_subrev_u32_e32 v15, 28, v14
	v_and_b32_e32 v12, 15, v12
	v_lshlrev_b32_e32 v11, v15, v11
	v_sub_u32_e32 v14, 29, v14
	v_and_b32_e32 v11, 7, v11
	v_cmp_eq_u16_e32 vcc, 0, v12
	v_cndmask_b32_e32 v10, v10, v11, vcc
	v_cndmask_b32_e32 v11, v12, v14, vcc
	v_lshlrev_b32_e32 v12, 16, v17
	v_mov_b32_e32 v14, 0x3b800000
	v_lshlrev_b32_e32 v10, 20, v10
	v_and_b32_e32 v12, 0x80000000, v12
	v_lshl_add_u32 v11, v11, 23, v14
	v_or3_b32 v10, v12, v11, v10
.LBB47_1132:
	s_or_b64 exec, exec, s[6:7]
	v_lshrrev_b32_e32 v11, 8, v13
	s_movk_i32 s4, 0x7f
	v_cmp_gt_i16_sdwa s[6:7], v11, s4 src0_sel:BYTE_0 src1_sel:DWORD
	s_mov_b64 s[4:5], 0
                                        ; implicit-def: $sgpr10
	s_and_saveexec_b64 s[8:9], s[6:7]
	s_xor_b64 s[6:7], exec, s[8:9]
	s_cbranch_execnz .LBB47_3181
; %bb.1133:
	s_or_saveexec_b64 s[6:7], s[6:7]
	v_mov_b32_e32 v12, s10
	s_xor_b64 exec, exec, s[6:7]
	s_cbranch_execnz .LBB47_3184
.LBB47_1134:
	s_or_b64 exec, exec, s[6:7]
	s_and_saveexec_b64 s[6:7], s[4:5]
	s_cbranch_execz .LBB47_1136
.LBB47_1135:
	v_bfe_u32 v12, v13, 8, 3
	v_ffbh_u32_e32 v15, v12
	v_min_u32_e32 v15, 32, v15
	v_lshrrev_b16_e32 v14, 3, v11
	v_subrev_u32_e32 v16, 28, v15
	v_and_b32_e32 v14, 15, v14
	v_lshlrev_b32_e32 v11, v16, v11
	v_sub_u32_e32 v15, 29, v15
	v_and_b32_e32 v11, 7, v11
	v_cmp_eq_u16_e32 vcc, 0, v14
	v_cndmask_b32_e32 v11, v12, v11, vcc
	v_cndmask_b32_e32 v12, v14, v15, vcc
	v_lshlrev_b32_e32 v14, 16, v13
	v_mov_b32_e32 v15, 0x3b800000
	v_lshlrev_b32_e32 v11, 20, v11
	v_and_b32_e32 v14, 0x80000000, v14
	v_lshl_add_u32 v12, v12, 23, v15
	v_or3_b32 v12, v14, v12, v11
.LBB47_1136:
	s_or_b64 exec, exec, s[6:7]
	s_nop 0
	v_mfma_f32_16x16x4f32 a[0:3], v10, v12, a[0:3]
	s_movk_i32 s4, 0xff
	v_and_b32_sdwa v11, v17, s4 dst_sel:DWORD dst_unused:UNUSED_PAD src0_sel:WORD_1 src1_sel:DWORD
	s_movk_i32 s4, 0x7f
	v_cmp_lt_i16_e32 vcc, s4, v11
	s_mov_b64 s[4:5], 0
                                        ; implicit-def: $sgpr10
	s_and_saveexec_b64 s[6:7], vcc
	s_xor_b64 s[6:7], exec, s[6:7]
	s_cbranch_execnz .LBB47_3185
; %bb.1137:
	s_or_saveexec_b64 s[6:7], s[6:7]
	v_mov_b32_e32 v10, s10
	s_xor_b64 exec, exec, s[6:7]
	s_cbranch_execnz .LBB47_3188
.LBB47_1138:
	s_or_b64 exec, exec, s[6:7]
	s_and_saveexec_b64 s[6:7], s[4:5]
	s_cbranch_execz .LBB47_1140
.LBB47_1139:
	v_bfe_u32 v10, v17, 16, 3
	v_ffbh_u32_e32 v14, v10
	v_min_u32_e32 v14, 32, v14
	v_lshrrev_b32_e32 v11, 19, v17
	v_subrev_u32_e32 v15, 28, v14
	v_and_b32_e32 v11, 15, v11
	v_lshlrev_b32_sdwa v15, v15, v17 dst_sel:DWORD dst_unused:UNUSED_PAD src0_sel:DWORD src1_sel:WORD_1
	v_bfe_u32 v12, v17, 19, 4
	v_sub_u32_e32 v14, 29, v14
	v_and_b32_e32 v15, 7, v15
	v_cmp_eq_u16_e32 vcc, 0, v11
	v_cndmask_b32_e32 v10, v10, v15, vcc
	v_cndmask_b32_e32 v11, v12, v14, vcc
	v_lshlrev_b32_e32 v12, 8, v17
	v_mov_b32_e32 v14, 0x3b800000
	v_lshlrev_b32_e32 v10, 20, v10
	v_and_b32_e32 v12, 0x80000000, v12
	v_lshl_add_u32 v11, v11, 23, v14
	v_or3_b32 v10, v12, v11, v10
.LBB47_1140:
	s_or_b64 exec, exec, s[6:7]
	s_movk_i32 s4, 0xff
	v_and_b32_sdwa v11, v13, s4 dst_sel:DWORD dst_unused:UNUSED_PAD src0_sel:WORD_1 src1_sel:DWORD
	s_movk_i32 s4, 0x7f
	v_cmp_lt_i16_e32 vcc, s4, v11
	s_mov_b64 s[4:5], 0
                                        ; implicit-def: $sgpr10
	s_and_saveexec_b64 s[6:7], vcc
	s_xor_b64 s[6:7], exec, s[6:7]
	s_cbranch_execnz .LBB47_3189
; %bb.1141:
	s_or_saveexec_b64 s[6:7], s[6:7]
	v_mov_b32_e32 v12, s10
	s_xor_b64 exec, exec, s[6:7]
	s_cbranch_execnz .LBB47_3192
.LBB47_1142:
	s_or_b64 exec, exec, s[6:7]
	s_and_saveexec_b64 s[6:7], s[4:5]
	s_cbranch_execz .LBB47_1144
.LBB47_1143:
	v_bfe_u32 v11, v13, 16, 3
	v_ffbh_u32_e32 v15, v11
	v_min_u32_e32 v15, 32, v15
	v_lshrrev_b32_e32 v12, 19, v13
	v_subrev_u32_e32 v16, 28, v15
	v_and_b32_e32 v12, 15, v12
	v_lshlrev_b32_sdwa v16, v16, v13 dst_sel:DWORD dst_unused:UNUSED_PAD src0_sel:DWORD src1_sel:WORD_1
	v_bfe_u32 v14, v13, 19, 4
	v_sub_u32_e32 v15, 29, v15
	v_and_b32_e32 v16, 7, v16
	v_cmp_eq_u16_e32 vcc, 0, v12
	v_cndmask_b32_e32 v11, v11, v16, vcc
	v_cndmask_b32_e32 v12, v14, v15, vcc
	v_lshlrev_b32_e32 v14, 8, v13
	v_mov_b32_e32 v15, 0x3b800000
	v_lshlrev_b32_e32 v11, 20, v11
	v_and_b32_e32 v14, 0x80000000, v14
	v_lshl_add_u32 v12, v12, 23, v15
	v_or3_b32 v12, v14, v12, v11
.LBB47_1144:
	s_or_b64 exec, exec, s[6:7]
	s_nop 0
	v_mfma_f32_16x16x4f32 a[0:3], v10, v12, a[0:3]
	s_movk_i32 s4, 0x7f
	v_cmp_gt_i16_sdwa s[6:7], v17, s4 src0_sel:BYTE_3 src1_sel:DWORD
	s_mov_b64 s[4:5], 0
                                        ; implicit-def: $sgpr10
	s_and_saveexec_b64 s[8:9], s[6:7]
	s_xor_b64 s[6:7], exec, s[8:9]
	s_cbranch_execnz .LBB47_3193
; %bb.1145:
	s_or_saveexec_b64 s[6:7], s[6:7]
	v_mov_b32_e32 v10, s10
	s_xor_b64 exec, exec, s[6:7]
	s_cbranch_execnz .LBB47_3196
.LBB47_1146:
	s_or_b64 exec, exec, s[6:7]
	s_and_saveexec_b64 s[6:7], s[4:5]
	s_cbranch_execz .LBB47_1148
.LBB47_1147:
	v_bfe_u32 v10, v17, 24, 3
	v_ffbh_u32_e32 v15, v10
	v_min_u32_e32 v15, 32, v15
	v_lshrrev_b32_e32 v12, 27, v17
	v_subrev_u32_e32 v16, 28, v15
	v_and_b32_e32 v12, 15, v12
	v_lshlrev_b32_sdwa v16, v16, v17 dst_sel:DWORD dst_unused:UNUSED_PAD src0_sel:DWORD src1_sel:BYTE_3
	v_bfe_u32 v14, v17, 27, 4
	v_sub_u32_e32 v15, 29, v15
	v_and_b32_e32 v16, 7, v16
	v_cmp_eq_u16_e32 vcc, 0, v12
	v_cndmask_b32_e32 v10, v10, v16, vcc
	v_cndmask_b32_e32 v12, v14, v15, vcc
	v_mov_b32_e32 v14, 0x3b800000
	v_and_b32_e32 v11, 0x80000000, v17
	v_lshlrev_b32_e32 v10, 20, v10
	v_lshl_add_u32 v12, v12, 23, v14
	v_or3_b32 v10, v11, v12, v10
.LBB47_1148:
	s_or_b64 exec, exec, s[6:7]
	s_movk_i32 s4, 0x7f
	v_cmp_gt_i16_sdwa s[6:7], v13, s4 src0_sel:BYTE_3 src1_sel:DWORD
	s_mov_b64 s[4:5], 0
                                        ; implicit-def: $sgpr10
	s_and_saveexec_b64 s[8:9], s[6:7]
	s_xor_b64 s[6:7], exec, s[8:9]
	s_cbranch_execnz .LBB47_3197
; %bb.1149:
	s_or_saveexec_b64 s[6:7], s[6:7]
	v_mov_b32_e32 v11, s10
	s_xor_b64 exec, exec, s[6:7]
	s_cbranch_execnz .LBB47_3200
.LBB47_1150:
	s_or_b64 exec, exec, s[6:7]
	s_and_saveexec_b64 s[6:7], s[4:5]
	s_cbranch_execz .LBB47_1152
.LBB47_1151:
	v_bfe_u32 v11, v13, 24, 3
	v_ffbh_u32_e32 v16, v11
	v_min_u32_e32 v16, 32, v16
	v_lshrrev_b32_e32 v14, 27, v13
	v_subrev_u32_e32 v17, 28, v16
	v_and_b32_e32 v12, 0x80000000, v13
	v_and_b32_e32 v14, 15, v14
	v_bfe_u32 v15, v13, 27, 4
	v_lshlrev_b32_sdwa v13, v17, v13 dst_sel:DWORD dst_unused:UNUSED_PAD src0_sel:DWORD src1_sel:BYTE_3
	v_sub_u32_e32 v16, 29, v16
	v_and_b32_e32 v13, 7, v13
	v_cmp_eq_u16_e32 vcc, 0, v14
	v_cndmask_b32_e32 v11, v11, v13, vcc
	v_cndmask_b32_e32 v13, v15, v16, vcc
	v_mov_b32_e32 v14, 0x3b800000
	v_lshlrev_b32_e32 v11, 20, v11
	v_lshl_add_u32 v13, v13, 23, v14
	v_or3_b32 v11, v12, v13, v11
.LBB47_1152:
	s_or_b64 exec, exec, s[6:7]
	s_nop 0
	v_mfma_f32_16x16x4f32 a[0:3], v10, v11, a[0:3]
	s_movk_i32 s4, 0x7f
	v_cmp_gt_i16_sdwa s[6:7], v6, s4 src0_sel:BYTE_0 src1_sel:DWORD
	s_mov_b64 s[4:5], 0
                                        ; implicit-def: $sgpr10
	s_and_saveexec_b64 s[8:9], s[6:7]
	s_xor_b64 s[6:7], exec, s[8:9]
	s_cbranch_execnz .LBB47_3201
; %bb.1153:
	s_or_saveexec_b64 s[6:7], s[6:7]
	v_mov_b32_e32 v10, s10
	s_xor_b64 exec, exec, s[6:7]
	s_cbranch_execnz .LBB47_3204
.LBB47_1154:
	s_or_b64 exec, exec, s[6:7]
	s_and_saveexec_b64 s[6:7], s[4:5]
	s_cbranch_execz .LBB47_1156
.LBB47_1155:
	v_and_b32_e32 v10, 7, v6
	v_ffbh_u32_e32 v12, v10
	v_min_u32_e32 v12, 32, v12
	v_lshrrev_b16_e32 v11, 3, v6
	v_subrev_u32_e32 v13, 28, v12
	v_and_b32_e32 v11, 15, v11
	v_lshlrev_b32_e32 v13, v13, v6
	v_sub_u32_e32 v12, 29, v12
	v_and_b32_e32 v13, 7, v13
	v_cmp_eq_u16_e32 vcc, 0, v11
	v_cndmask_b32_e32 v10, v10, v13, vcc
	v_cndmask_b32_e32 v11, v11, v12, vcc
	v_lshlrev_b32_e32 v12, 24, v6
	v_mov_b32_e32 v13, 0x3b800000
	v_lshlrev_b32_e32 v10, 20, v10
	v_and_b32_e32 v12, 0x80000000, v12
	v_lshl_add_u32 v11, v11, 23, v13
	v_or3_b32 v10, v12, v11, v10
.LBB47_1156:
	s_or_b64 exec, exec, s[6:7]
	s_movk_i32 s4, 0x7f
	v_cmp_gt_i16_sdwa s[6:7], v2, s4 src0_sel:BYTE_0 src1_sel:DWORD
	s_mov_b64 s[4:5], 0
                                        ; implicit-def: $sgpr10
	s_and_saveexec_b64 s[8:9], s[6:7]
	s_xor_b64 s[6:7], exec, s[8:9]
	s_cbranch_execnz .LBB47_3205
; %bb.1157:
	s_or_saveexec_b64 s[6:7], s[6:7]
	v_mov_b32_e32 v11, s10
	s_xor_b64 exec, exec, s[6:7]
	s_cbranch_execnz .LBB47_3208
.LBB47_1158:
	s_or_b64 exec, exec, s[6:7]
	s_and_saveexec_b64 s[6:7], s[4:5]
	s_cbranch_execz .LBB47_1160
.LBB47_1159:
	v_and_b32_e32 v11, 7, v2
	v_ffbh_u32_e32 v13, v11
	v_min_u32_e32 v13, 32, v13
	v_lshrrev_b16_e32 v12, 3, v2
	v_subrev_u32_e32 v14, 28, v13
	v_and_b32_e32 v12, 15, v12
	v_lshlrev_b32_e32 v14, v14, v2
	v_sub_u32_e32 v13, 29, v13
	v_and_b32_e32 v14, 7, v14
	v_cmp_eq_u16_e32 vcc, 0, v12
	v_cndmask_b32_e32 v11, v11, v14, vcc
	v_cndmask_b32_e32 v12, v12, v13, vcc
	v_lshlrev_b32_e32 v13, 24, v2
	v_mov_b32_e32 v14, 0x3b800000
	v_lshlrev_b32_e32 v11, 20, v11
	v_and_b32_e32 v13, 0x80000000, v13
	v_lshl_add_u32 v12, v12, 23, v14
	v_or3_b32 v11, v13, v12, v11
.LBB47_1160:
	s_or_b64 exec, exec, s[6:7]
	s_nop 0
	v_mfma_f32_16x16x4f32 a[0:3], v10, v11, a[0:3]
	v_lshrrev_b32_e32 v11, 8, v6
	s_movk_i32 s4, 0x7f
	v_cmp_gt_i16_sdwa s[6:7], v11, s4 src0_sel:BYTE_0 src1_sel:DWORD
	s_mov_b64 s[4:5], 0
                                        ; implicit-def: $sgpr10
	s_and_saveexec_b64 s[8:9], s[6:7]
	s_xor_b64 s[6:7], exec, s[8:9]
	s_cbranch_execnz .LBB47_3209
; %bb.1161:
	s_or_saveexec_b64 s[6:7], s[6:7]
	v_mov_b32_e32 v10, s10
	s_xor_b64 exec, exec, s[6:7]
	s_cbranch_execnz .LBB47_3212
.LBB47_1162:
	s_or_b64 exec, exec, s[6:7]
	s_and_saveexec_b64 s[6:7], s[4:5]
	s_cbranch_execz .LBB47_1164
.LBB47_1163:
	v_bfe_u32 v10, v6, 8, 3
	v_ffbh_u32_e32 v13, v10
	v_min_u32_e32 v13, 32, v13
	v_lshrrev_b16_e32 v12, 3, v11
	v_subrev_u32_e32 v14, 28, v13
	v_and_b32_e32 v12, 15, v12
	v_lshlrev_b32_e32 v11, v14, v11
	v_sub_u32_e32 v13, 29, v13
	v_and_b32_e32 v11, 7, v11
	v_cmp_eq_u16_e32 vcc, 0, v12
	v_cndmask_b32_e32 v10, v10, v11, vcc
	v_cndmask_b32_e32 v11, v12, v13, vcc
	v_lshlrev_b32_e32 v12, 16, v6
	v_mov_b32_e32 v13, 0x3b800000
	v_lshlrev_b32_e32 v10, 20, v10
	v_and_b32_e32 v12, 0x80000000, v12
	v_lshl_add_u32 v11, v11, 23, v13
	v_or3_b32 v10, v12, v11, v10
.LBB47_1164:
	s_or_b64 exec, exec, s[6:7]
	v_lshrrev_b32_e32 v11, 8, v2
	s_movk_i32 s4, 0x7f
	v_cmp_gt_i16_sdwa s[6:7], v11, s4 src0_sel:BYTE_0 src1_sel:DWORD
	s_mov_b64 s[4:5], 0
                                        ; implicit-def: $sgpr10
	s_and_saveexec_b64 s[8:9], s[6:7]
	s_xor_b64 s[6:7], exec, s[8:9]
	s_cbranch_execnz .LBB47_3213
; %bb.1165:
	s_or_saveexec_b64 s[6:7], s[6:7]
	v_mov_b32_e32 v12, s10
	s_xor_b64 exec, exec, s[6:7]
	s_cbranch_execnz .LBB47_3216
.LBB47_1166:
	s_or_b64 exec, exec, s[6:7]
	s_and_saveexec_b64 s[6:7], s[4:5]
	s_cbranch_execz .LBB47_1168
.LBB47_1167:
	v_bfe_u32 v12, v2, 8, 3
	v_ffbh_u32_e32 v14, v12
	v_min_u32_e32 v14, 32, v14
	v_lshrrev_b16_e32 v13, 3, v11
	v_subrev_u32_e32 v15, 28, v14
	v_and_b32_e32 v13, 15, v13
	v_lshlrev_b32_e32 v11, v15, v11
	v_sub_u32_e32 v14, 29, v14
	v_and_b32_e32 v11, 7, v11
	v_cmp_eq_u16_e32 vcc, 0, v13
	v_cndmask_b32_e32 v11, v12, v11, vcc
	v_cndmask_b32_e32 v12, v13, v14, vcc
	v_lshlrev_b32_e32 v13, 16, v2
	v_mov_b32_e32 v14, 0x3b800000
	v_lshlrev_b32_e32 v11, 20, v11
	v_and_b32_e32 v13, 0x80000000, v13
	v_lshl_add_u32 v12, v12, 23, v14
	v_or3_b32 v12, v13, v12, v11
.LBB47_1168:
	s_or_b64 exec, exec, s[6:7]
	s_nop 0
	v_mfma_f32_16x16x4f32 a[0:3], v10, v12, a[0:3]
	s_movk_i32 s4, 0xff
	v_and_b32_sdwa v11, v6, s4 dst_sel:DWORD dst_unused:UNUSED_PAD src0_sel:WORD_1 src1_sel:DWORD
	s_movk_i32 s4, 0x7f
	v_cmp_lt_i16_e32 vcc, s4, v11
	s_mov_b64 s[4:5], 0
                                        ; implicit-def: $sgpr10
	s_and_saveexec_b64 s[6:7], vcc
	s_xor_b64 s[6:7], exec, s[6:7]
	s_cbranch_execnz .LBB47_3217
; %bb.1169:
	s_or_saveexec_b64 s[6:7], s[6:7]
	v_mov_b32_e32 v10, s10
	s_xor_b64 exec, exec, s[6:7]
	s_cbranch_execnz .LBB47_3220
.LBB47_1170:
	s_or_b64 exec, exec, s[6:7]
	s_and_saveexec_b64 s[6:7], s[4:5]
	s_cbranch_execz .LBB47_1172
.LBB47_1171:
	v_bfe_u32 v10, v6, 16, 3
	v_ffbh_u32_e32 v13, v10
	v_min_u32_e32 v13, 32, v13
	v_lshrrev_b32_e32 v11, 19, v6
	v_subrev_u32_e32 v14, 28, v13
	v_and_b32_e32 v11, 15, v11
	v_lshlrev_b32_sdwa v14, v14, v6 dst_sel:DWORD dst_unused:UNUSED_PAD src0_sel:DWORD src1_sel:WORD_1
	v_bfe_u32 v12, v6, 19, 4
	v_sub_u32_e32 v13, 29, v13
	v_and_b32_e32 v14, 7, v14
	v_cmp_eq_u16_e32 vcc, 0, v11
	v_cndmask_b32_e32 v10, v10, v14, vcc
	v_cndmask_b32_e32 v11, v12, v13, vcc
	v_lshlrev_b32_e32 v12, 8, v6
	v_mov_b32_e32 v13, 0x3b800000
	v_lshlrev_b32_e32 v10, 20, v10
	v_and_b32_e32 v12, 0x80000000, v12
	v_lshl_add_u32 v11, v11, 23, v13
	v_or3_b32 v10, v12, v11, v10
.LBB47_1172:
	s_or_b64 exec, exec, s[6:7]
	s_movk_i32 s4, 0xff
	v_and_b32_sdwa v11, v2, s4 dst_sel:DWORD dst_unused:UNUSED_PAD src0_sel:WORD_1 src1_sel:DWORD
	s_movk_i32 s4, 0x7f
	v_cmp_lt_i16_e32 vcc, s4, v11
	s_mov_b64 s[4:5], 0
                                        ; implicit-def: $sgpr10
	s_and_saveexec_b64 s[6:7], vcc
	s_xor_b64 s[6:7], exec, s[6:7]
	s_cbranch_execnz .LBB47_3221
; %bb.1173:
	s_or_saveexec_b64 s[6:7], s[6:7]
	v_mov_b32_e32 v12, s10
	s_xor_b64 exec, exec, s[6:7]
	s_cbranch_execnz .LBB47_3224
.LBB47_1174:
	s_or_b64 exec, exec, s[6:7]
	s_and_saveexec_b64 s[6:7], s[4:5]
	s_cbranch_execz .LBB47_1176
.LBB47_1175:
	v_bfe_u32 v11, v2, 16, 3
	v_ffbh_u32_e32 v14, v11
	v_min_u32_e32 v14, 32, v14
	v_lshrrev_b32_e32 v12, 19, v2
	v_subrev_u32_e32 v15, 28, v14
	v_and_b32_e32 v12, 15, v12
	v_lshlrev_b32_sdwa v15, v15, v2 dst_sel:DWORD dst_unused:UNUSED_PAD src0_sel:DWORD src1_sel:WORD_1
	v_bfe_u32 v13, v2, 19, 4
	v_sub_u32_e32 v14, 29, v14
	v_and_b32_e32 v15, 7, v15
	v_cmp_eq_u16_e32 vcc, 0, v12
	v_cndmask_b32_e32 v11, v11, v15, vcc
	v_cndmask_b32_e32 v12, v13, v14, vcc
	v_lshlrev_b32_e32 v13, 8, v2
	v_mov_b32_e32 v14, 0x3b800000
	v_lshlrev_b32_e32 v11, 20, v11
	v_and_b32_e32 v13, 0x80000000, v13
	v_lshl_add_u32 v12, v12, 23, v14
	v_or3_b32 v12, v13, v12, v11
.LBB47_1176:
	s_or_b64 exec, exec, s[6:7]
	s_nop 0
	v_mfma_f32_16x16x4f32 a[0:3], v10, v12, a[0:3]
	s_movk_i32 s4, 0x7f
	v_cmp_gt_i16_sdwa s[6:7], v6, s4 src0_sel:BYTE_3 src1_sel:DWORD
	s_mov_b64 s[4:5], 0
                                        ; implicit-def: $sgpr10
	s_and_saveexec_b64 s[8:9], s[6:7]
	s_xor_b64 s[6:7], exec, s[8:9]
	s_cbranch_execnz .LBB47_3225
; %bb.1177:
	s_or_saveexec_b64 s[6:7], s[6:7]
	v_mov_b32_e32 v10, s10
	s_xor_b64 exec, exec, s[6:7]
	s_cbranch_execnz .LBB47_3228
.LBB47_1178:
	s_or_b64 exec, exec, s[6:7]
	s_and_saveexec_b64 s[6:7], s[4:5]
	s_cbranch_execz .LBB47_1180
.LBB47_1179:
	v_bfe_u32 v10, v6, 24, 3
	v_ffbh_u32_e32 v14, v10
	v_min_u32_e32 v14, 32, v14
	v_lshrrev_b32_e32 v12, 27, v6
	v_subrev_u32_e32 v15, 28, v14
	v_and_b32_e32 v11, 0x80000000, v6
	v_and_b32_e32 v12, 15, v12
	v_bfe_u32 v13, v6, 27, 4
	v_lshlrev_b32_sdwa v6, v15, v6 dst_sel:DWORD dst_unused:UNUSED_PAD src0_sel:DWORD src1_sel:BYTE_3
	v_sub_u32_e32 v14, 29, v14
	v_and_b32_e32 v6, 7, v6
	v_cmp_eq_u16_e32 vcc, 0, v12
	v_cndmask_b32_e32 v6, v10, v6, vcc
	v_cndmask_b32_e32 v10, v13, v14, vcc
	v_mov_b32_e32 v12, 0x3b800000
	v_lshlrev_b32_e32 v6, 20, v6
	v_lshl_add_u32 v10, v10, 23, v12
	v_or3_b32 v10, v11, v10, v6
.LBB47_1180:
	s_or_b64 exec, exec, s[6:7]
	s_movk_i32 s4, 0x7f
	v_cmp_gt_i16_sdwa s[6:7], v2, s4 src0_sel:BYTE_3 src1_sel:DWORD
	s_mov_b64 s[4:5], 0
                                        ; implicit-def: $sgpr10
	s_and_saveexec_b64 s[8:9], s[6:7]
	s_xor_b64 s[6:7], exec, s[8:9]
	s_cbranch_execnz .LBB47_3229
; %bb.1181:
	s_or_saveexec_b64 s[6:7], s[6:7]
	v_mov_b32_e32 v6, s10
	s_xor_b64 exec, exec, s[6:7]
	s_cbranch_execnz .LBB47_3232
.LBB47_1182:
	s_or_b64 exec, exec, s[6:7]
	s_and_saveexec_b64 s[6:7], s[4:5]
	s_cbranch_execz .LBB47_1184
.LBB47_1183:
	v_bfe_u32 v6, v2, 24, 3
	v_ffbh_u32_e32 v14, v6
	v_min_u32_e32 v14, 32, v14
	v_lshrrev_b32_e32 v12, 27, v2
	v_subrev_u32_e32 v15, 28, v14
	v_and_b32_e32 v11, 0x80000000, v2
	v_and_b32_e32 v12, 15, v12
	v_bfe_u32 v13, v2, 27, 4
	v_lshlrev_b32_sdwa v2, v15, v2 dst_sel:DWORD dst_unused:UNUSED_PAD src0_sel:DWORD src1_sel:BYTE_3
	v_sub_u32_e32 v14, 29, v14
	v_and_b32_e32 v2, 7, v2
	v_cmp_eq_u16_e32 vcc, 0, v12
	v_cndmask_b32_e32 v2, v6, v2, vcc
	v_cndmask_b32_e32 v6, v13, v14, vcc
	v_mov_b32_e32 v12, 0x3b800000
	v_lshlrev_b32_e32 v2, 20, v2
	v_lshl_add_u32 v6, v6, 23, v12
	v_or3_b32 v6, v11, v6, v2
.LBB47_1184:
	s_or_b64 exec, exec, s[6:7]
	s_nop 0
	v_mfma_f32_16x16x4f32 a[0:3], v10, v6, a[0:3]
	s_movk_i32 s4, 0x7f
	v_cmp_gt_i16_sdwa s[6:7], v7, s4 src0_sel:BYTE_0 src1_sel:DWORD
	s_mov_b64 s[4:5], 0
                                        ; implicit-def: $sgpr10
	s_and_saveexec_b64 s[8:9], s[6:7]
	s_xor_b64 s[6:7], exec, s[8:9]
	s_cbranch_execnz .LBB47_3233
; %bb.1185:
	s_or_saveexec_b64 s[6:7], s[6:7]
	v_mov_b32_e32 v2, s10
	s_xor_b64 exec, exec, s[6:7]
	s_cbranch_execnz .LBB47_3236
.LBB47_1186:
	s_or_b64 exec, exec, s[6:7]
	s_and_saveexec_b64 s[6:7], s[4:5]
	s_cbranch_execz .LBB47_1188
.LBB47_1187:
	v_and_b32_e32 v2, 7, v7
	v_ffbh_u32_e32 v10, v2
	v_min_u32_e32 v10, 32, v10
	v_lshrrev_b16_e32 v6, 3, v7
	v_subrev_u32_e32 v11, 28, v10
	v_and_b32_e32 v6, 15, v6
	v_lshlrev_b32_e32 v11, v11, v7
	v_sub_u32_e32 v10, 29, v10
	v_and_b32_e32 v11, 7, v11
	v_cmp_eq_u16_e32 vcc, 0, v6
	v_cndmask_b32_e32 v2, v2, v11, vcc
	v_cndmask_b32_e32 v6, v6, v10, vcc
	v_lshlrev_b32_e32 v10, 24, v7
	v_mov_b32_e32 v11, 0x3b800000
	v_lshlrev_b32_e32 v2, 20, v2
	v_and_b32_e32 v10, 0x80000000, v10
	v_lshl_add_u32 v6, v6, 23, v11
	v_or3_b32 v2, v10, v6, v2
.LBB47_1188:
	s_or_b64 exec, exec, s[6:7]
	s_movk_i32 s4, 0x7f
	v_cmp_gt_i16_sdwa s[6:7], v3, s4 src0_sel:BYTE_0 src1_sel:DWORD
	s_mov_b64 s[4:5], 0
                                        ; implicit-def: $sgpr10
	s_and_saveexec_b64 s[8:9], s[6:7]
	s_xor_b64 s[6:7], exec, s[8:9]
	s_cbranch_execnz .LBB47_3237
; %bb.1189:
	s_or_saveexec_b64 s[6:7], s[6:7]
	v_mov_b32_e32 v6, s10
	s_xor_b64 exec, exec, s[6:7]
	s_cbranch_execnz .LBB47_3240
.LBB47_1190:
	s_or_b64 exec, exec, s[6:7]
	s_and_saveexec_b64 s[6:7], s[4:5]
	s_cbranch_execz .LBB47_1192
.LBB47_1191:
	v_and_b32_e32 v6, 7, v3
	v_ffbh_u32_e32 v11, v6
	v_min_u32_e32 v11, 32, v11
	v_lshrrev_b16_e32 v10, 3, v3
	v_subrev_u32_e32 v12, 28, v11
	v_and_b32_e32 v10, 15, v10
	v_lshlrev_b32_e32 v12, v12, v3
	v_sub_u32_e32 v11, 29, v11
	v_and_b32_e32 v12, 7, v12
	v_cmp_eq_u16_e32 vcc, 0, v10
	v_cndmask_b32_e32 v6, v6, v12, vcc
	v_cndmask_b32_e32 v10, v10, v11, vcc
	v_lshlrev_b32_e32 v11, 24, v3
	v_mov_b32_e32 v12, 0x3b800000
	v_lshlrev_b32_e32 v6, 20, v6
	v_and_b32_e32 v11, 0x80000000, v11
	v_lshl_add_u32 v10, v10, 23, v12
	v_or3_b32 v6, v11, v10, v6
.LBB47_1192:
	s_or_b64 exec, exec, s[6:7]
	s_nop 0
	v_mfma_f32_16x16x4f32 a[0:3], v2, v6, a[0:3]
	v_lshrrev_b32_e32 v6, 8, v7
	s_movk_i32 s4, 0x7f
	v_cmp_gt_i16_sdwa s[6:7], v6, s4 src0_sel:BYTE_0 src1_sel:DWORD
	s_mov_b64 s[4:5], 0
                                        ; implicit-def: $sgpr10
	s_and_saveexec_b64 s[8:9], s[6:7]
	s_xor_b64 s[6:7], exec, s[8:9]
	s_cbranch_execnz .LBB47_3241
; %bb.1193:
	s_or_saveexec_b64 s[6:7], s[6:7]
	v_mov_b32_e32 v2, s10
	s_xor_b64 exec, exec, s[6:7]
	s_cbranch_execnz .LBB47_3244
.LBB47_1194:
	s_or_b64 exec, exec, s[6:7]
	s_and_saveexec_b64 s[6:7], s[4:5]
	s_cbranch_execz .LBB47_1196
.LBB47_1195:
	v_bfe_u32 v2, v7, 8, 3
	v_ffbh_u32_e32 v11, v2
	v_min_u32_e32 v11, 32, v11
	v_lshrrev_b16_e32 v10, 3, v6
	v_subrev_u32_e32 v12, 28, v11
	v_and_b32_e32 v10, 15, v10
	v_lshlrev_b32_e32 v6, v12, v6
	v_sub_u32_e32 v11, 29, v11
	v_and_b32_e32 v6, 7, v6
	v_cmp_eq_u16_e32 vcc, 0, v10
	v_cndmask_b32_e32 v2, v2, v6, vcc
	v_cndmask_b32_e32 v6, v10, v11, vcc
	v_lshlrev_b32_e32 v10, 16, v7
	v_mov_b32_e32 v11, 0x3b800000
	v_lshlrev_b32_e32 v2, 20, v2
	v_and_b32_e32 v10, 0x80000000, v10
	v_lshl_add_u32 v6, v6, 23, v11
	v_or3_b32 v2, v10, v6, v2
.LBB47_1196:
	s_or_b64 exec, exec, s[6:7]
	v_lshrrev_b32_e32 v6, 8, v3
	s_movk_i32 s4, 0x7f
	v_cmp_gt_i16_sdwa s[6:7], v6, s4 src0_sel:BYTE_0 src1_sel:DWORD
	s_mov_b64 s[4:5], 0
                                        ; implicit-def: $sgpr10
	s_and_saveexec_b64 s[8:9], s[6:7]
	s_xor_b64 s[6:7], exec, s[8:9]
	s_cbranch_execnz .LBB47_3245
; %bb.1197:
	s_or_saveexec_b64 s[6:7], s[6:7]
	v_mov_b32_e32 v10, s10
	s_xor_b64 exec, exec, s[6:7]
	s_cbranch_execnz .LBB47_3248
.LBB47_1198:
	s_or_b64 exec, exec, s[6:7]
	s_and_saveexec_b64 s[6:7], s[4:5]
	s_cbranch_execz .LBB47_1200
.LBB47_1199:
	v_bfe_u32 v10, v3, 8, 3
	v_ffbh_u32_e32 v12, v10
	v_min_u32_e32 v12, 32, v12
	v_lshrrev_b16_e32 v11, 3, v6
	v_subrev_u32_e32 v13, 28, v12
	v_and_b32_e32 v11, 15, v11
	v_lshlrev_b32_e32 v6, v13, v6
	v_sub_u32_e32 v12, 29, v12
	v_and_b32_e32 v6, 7, v6
	v_cmp_eq_u16_e32 vcc, 0, v11
	v_cndmask_b32_e32 v6, v10, v6, vcc
	v_cndmask_b32_e32 v10, v11, v12, vcc
	v_lshlrev_b32_e32 v11, 16, v3
	v_mov_b32_e32 v12, 0x3b800000
	v_lshlrev_b32_e32 v6, 20, v6
	v_and_b32_e32 v11, 0x80000000, v11
	v_lshl_add_u32 v10, v10, 23, v12
	v_or3_b32 v10, v11, v10, v6
.LBB47_1200:
	s_or_b64 exec, exec, s[6:7]
	s_nop 0
	v_mfma_f32_16x16x4f32 a[0:3], v2, v10, a[0:3]
	s_movk_i32 s4, 0xff
	v_and_b32_sdwa v6, v7, s4 dst_sel:DWORD dst_unused:UNUSED_PAD src0_sel:WORD_1 src1_sel:DWORD
	s_movk_i32 s4, 0x7f
	v_cmp_lt_i16_e32 vcc, s4, v6
	s_mov_b64 s[4:5], 0
                                        ; implicit-def: $sgpr10
	s_and_saveexec_b64 s[6:7], vcc
	s_xor_b64 s[6:7], exec, s[6:7]
	s_cbranch_execnz .LBB47_3249
; %bb.1201:
	s_or_saveexec_b64 s[6:7], s[6:7]
	v_mov_b32_e32 v2, s10
	s_xor_b64 exec, exec, s[6:7]
	s_cbranch_execnz .LBB47_3252
.LBB47_1202:
	s_or_b64 exec, exec, s[6:7]
	s_and_saveexec_b64 s[6:7], s[4:5]
	s_cbranch_execz .LBB47_1204
.LBB47_1203:
	v_bfe_u32 v2, v7, 16, 3
	v_ffbh_u32_e32 v11, v2
	v_min_u32_e32 v11, 32, v11
	v_lshrrev_b32_e32 v6, 19, v7
	v_subrev_u32_e32 v12, 28, v11
	v_and_b32_e32 v6, 15, v6
	v_lshlrev_b32_sdwa v12, v12, v7 dst_sel:DWORD dst_unused:UNUSED_PAD src0_sel:DWORD src1_sel:WORD_1
	v_bfe_u32 v10, v7, 19, 4
	v_sub_u32_e32 v11, 29, v11
	v_and_b32_e32 v12, 7, v12
	v_cmp_eq_u16_e32 vcc, 0, v6
	v_cndmask_b32_e32 v2, v2, v12, vcc
	v_cndmask_b32_e32 v6, v10, v11, vcc
	v_lshlrev_b32_e32 v10, 8, v7
	v_mov_b32_e32 v11, 0x3b800000
	v_lshlrev_b32_e32 v2, 20, v2
	v_and_b32_e32 v10, 0x80000000, v10
	v_lshl_add_u32 v6, v6, 23, v11
	v_or3_b32 v2, v10, v6, v2
.LBB47_1204:
	s_or_b64 exec, exec, s[6:7]
	s_movk_i32 s4, 0xff
	v_and_b32_sdwa v6, v3, s4 dst_sel:DWORD dst_unused:UNUSED_PAD src0_sel:WORD_1 src1_sel:DWORD
	s_movk_i32 s4, 0x7f
	v_cmp_lt_i16_e32 vcc, s4, v6
	s_mov_b64 s[4:5], 0
                                        ; implicit-def: $sgpr10
	s_and_saveexec_b64 s[6:7], vcc
	s_xor_b64 s[6:7], exec, s[6:7]
	s_cbranch_execnz .LBB47_3253
; %bb.1205:
	s_or_saveexec_b64 s[6:7], s[6:7]
	v_mov_b32_e32 v10, s10
	s_xor_b64 exec, exec, s[6:7]
	s_cbranch_execnz .LBB47_3256
.LBB47_1206:
	s_or_b64 exec, exec, s[6:7]
	s_and_saveexec_b64 s[6:7], s[4:5]
	s_cbranch_execz .LBB47_1208
.LBB47_1207:
	v_bfe_u32 v6, v3, 16, 3
	v_ffbh_u32_e32 v12, v6
	v_min_u32_e32 v12, 32, v12
	v_lshrrev_b32_e32 v10, 19, v3
	v_subrev_u32_e32 v13, 28, v12
	v_and_b32_e32 v10, 15, v10
	v_lshlrev_b32_sdwa v13, v13, v3 dst_sel:DWORD dst_unused:UNUSED_PAD src0_sel:DWORD src1_sel:WORD_1
	v_bfe_u32 v11, v3, 19, 4
	v_sub_u32_e32 v12, 29, v12
	v_and_b32_e32 v13, 7, v13
	v_cmp_eq_u16_e32 vcc, 0, v10
	v_cndmask_b32_e32 v6, v6, v13, vcc
	v_cndmask_b32_e32 v10, v11, v12, vcc
	v_lshlrev_b32_e32 v11, 8, v3
	v_mov_b32_e32 v12, 0x3b800000
	v_lshlrev_b32_e32 v6, 20, v6
	v_and_b32_e32 v11, 0x80000000, v11
	v_lshl_add_u32 v10, v10, 23, v12
	v_or3_b32 v10, v11, v10, v6
.LBB47_1208:
	s_or_b64 exec, exec, s[6:7]
	s_nop 0
	v_mfma_f32_16x16x4f32 a[0:3], v2, v10, a[0:3]
	s_movk_i32 s4, 0x7f
	v_cmp_gt_i16_sdwa s[6:7], v7, s4 src0_sel:BYTE_3 src1_sel:DWORD
	s_mov_b64 s[4:5], 0
                                        ; implicit-def: $sgpr10
	s_and_saveexec_b64 s[8:9], s[6:7]
	s_xor_b64 s[6:7], exec, s[8:9]
	s_cbranch_execnz .LBB47_3257
; %bb.1209:
	s_or_saveexec_b64 s[6:7], s[6:7]
	v_mov_b32_e32 v2, s10
	s_xor_b64 exec, exec, s[6:7]
	s_cbranch_execnz .LBB47_3260
.LBB47_1210:
	s_or_b64 exec, exec, s[6:7]
	s_and_saveexec_b64 s[6:7], s[4:5]
	s_cbranch_execz .LBB47_1212
.LBB47_1211:
	v_bfe_u32 v2, v7, 24, 3
	v_ffbh_u32_e32 v12, v2
	v_min_u32_e32 v12, 32, v12
	v_lshrrev_b32_e32 v10, 27, v7
	v_subrev_u32_e32 v13, 28, v12
	v_and_b32_e32 v6, 0x80000000, v7
	v_and_b32_e32 v10, 15, v10
	v_bfe_u32 v11, v7, 27, 4
	v_lshlrev_b32_sdwa v7, v13, v7 dst_sel:DWORD dst_unused:UNUSED_PAD src0_sel:DWORD src1_sel:BYTE_3
	v_sub_u32_e32 v12, 29, v12
	v_and_b32_e32 v7, 7, v7
	v_cmp_eq_u16_e32 vcc, 0, v10
	v_cndmask_b32_e32 v2, v2, v7, vcc
	v_cndmask_b32_e32 v7, v11, v12, vcc
	v_mov_b32_e32 v10, 0x3b800000
	v_lshlrev_b32_e32 v2, 20, v2
	v_lshl_add_u32 v7, v7, 23, v10
	v_or3_b32 v2, v6, v7, v2
.LBB47_1212:
	s_or_b64 exec, exec, s[6:7]
	s_movk_i32 s4, 0x7f
	v_cmp_gt_i16_sdwa s[6:7], v3, s4 src0_sel:BYTE_3 src1_sel:DWORD
	s_mov_b64 s[4:5], 0
                                        ; implicit-def: $sgpr10
	s_and_saveexec_b64 s[8:9], s[6:7]
	s_xor_b64 s[6:7], exec, s[8:9]
	s_cbranch_execnz .LBB47_3261
; %bb.1213:
	s_or_saveexec_b64 s[6:7], s[6:7]
	v_mov_b32_e32 v6, s10
	s_xor_b64 exec, exec, s[6:7]
	s_cbranch_execnz .LBB47_3264
.LBB47_1214:
	s_or_b64 exec, exec, s[6:7]
	s_and_saveexec_b64 s[6:7], s[4:5]
	s_cbranch_execz .LBB47_1216
.LBB47_1215:
	v_bfe_u32 v6, v3, 24, 3
	v_ffbh_u32_e32 v12, v6
	v_min_u32_e32 v12, 32, v12
	v_lshrrev_b32_e32 v10, 27, v3
	v_subrev_u32_e32 v13, 28, v12
	v_and_b32_e32 v7, 0x80000000, v3
	v_and_b32_e32 v10, 15, v10
	v_bfe_u32 v11, v3, 27, 4
	v_lshlrev_b32_sdwa v3, v13, v3 dst_sel:DWORD dst_unused:UNUSED_PAD src0_sel:DWORD src1_sel:BYTE_3
	v_sub_u32_e32 v12, 29, v12
	v_and_b32_e32 v3, 7, v3
	v_cmp_eq_u16_e32 vcc, 0, v10
	v_cndmask_b32_e32 v3, v6, v3, vcc
	v_cndmask_b32_e32 v6, v11, v12, vcc
	v_mov_b32_e32 v10, 0x3b800000
	v_lshlrev_b32_e32 v3, 20, v3
	v_lshl_add_u32 v6, v6, 23, v10
	v_or3_b32 v6, v7, v6, v3
.LBB47_1216:
	s_or_b64 exec, exec, s[6:7]
	s_nop 0
	v_mfma_f32_16x16x4f32 a[0:3], v2, v6, a[0:3]
	s_movk_i32 s4, 0x7f
	v_cmp_gt_i16_sdwa s[6:7], v8, s4 src0_sel:BYTE_0 src1_sel:DWORD
	s_mov_b64 s[4:5], 0
                                        ; implicit-def: $sgpr10
	s_and_saveexec_b64 s[8:9], s[6:7]
	s_xor_b64 s[6:7], exec, s[8:9]
	s_cbranch_execnz .LBB47_3265
; %bb.1217:
	s_or_saveexec_b64 s[6:7], s[6:7]
	v_mov_b32_e32 v2, s10
	s_xor_b64 exec, exec, s[6:7]
	s_cbranch_execnz .LBB47_3268
.LBB47_1218:
	s_or_b64 exec, exec, s[6:7]
	s_and_saveexec_b64 s[6:7], s[4:5]
	s_cbranch_execz .LBB47_1220
.LBB47_1219:
	v_and_b32_e32 v2, 7, v8
	v_ffbh_u32_e32 v6, v2
	v_min_u32_e32 v6, 32, v6
	v_lshrrev_b16_e32 v3, 3, v8
	v_subrev_u32_e32 v7, 28, v6
	v_and_b32_e32 v3, 15, v3
	v_lshlrev_b32_e32 v7, v7, v8
	v_sub_u32_e32 v6, 29, v6
	v_and_b32_e32 v7, 7, v7
	v_cmp_eq_u16_e32 vcc, 0, v3
	v_cndmask_b32_e32 v2, v2, v7, vcc
	v_cndmask_b32_e32 v3, v3, v6, vcc
	v_lshlrev_b32_e32 v6, 24, v8
	v_mov_b32_e32 v7, 0x3b800000
	v_lshlrev_b32_e32 v2, 20, v2
	v_and_b32_e32 v6, 0x80000000, v6
	v_lshl_add_u32 v3, v3, 23, v7
	v_or3_b32 v2, v6, v3, v2
.LBB47_1220:
	s_or_b64 exec, exec, s[6:7]
	s_movk_i32 s4, 0x7f
	v_cmp_gt_i16_sdwa s[6:7], v4, s4 src0_sel:BYTE_0 src1_sel:DWORD
	s_mov_b64 s[4:5], 0
                                        ; implicit-def: $sgpr10
	s_and_saveexec_b64 s[8:9], s[6:7]
	s_xor_b64 s[6:7], exec, s[8:9]
	s_cbranch_execnz .LBB47_3269
; %bb.1221:
	s_or_saveexec_b64 s[6:7], s[6:7]
	v_mov_b32_e32 v3, s10
	s_xor_b64 exec, exec, s[6:7]
	s_cbranch_execnz .LBB47_3272
.LBB47_1222:
	s_or_b64 exec, exec, s[6:7]
	s_and_saveexec_b64 s[6:7], s[4:5]
	s_cbranch_execz .LBB47_1224
.LBB47_1223:
	v_and_b32_e32 v3, 7, v4
	v_ffbh_u32_e32 v7, v3
	v_min_u32_e32 v7, 32, v7
	v_lshrrev_b16_e32 v6, 3, v4
	v_subrev_u32_e32 v10, 28, v7
	v_and_b32_e32 v6, 15, v6
	v_lshlrev_b32_e32 v10, v10, v4
	v_sub_u32_e32 v7, 29, v7
	v_and_b32_e32 v10, 7, v10
	v_cmp_eq_u16_e32 vcc, 0, v6
	v_cndmask_b32_e32 v3, v3, v10, vcc
	v_cndmask_b32_e32 v6, v6, v7, vcc
	v_lshlrev_b32_e32 v7, 24, v4
	v_mov_b32_e32 v10, 0x3b800000
	v_lshlrev_b32_e32 v3, 20, v3
	v_and_b32_e32 v7, 0x80000000, v7
	v_lshl_add_u32 v6, v6, 23, v10
	v_or3_b32 v3, v7, v6, v3
.LBB47_1224:
	s_or_b64 exec, exec, s[6:7]
	s_nop 0
	v_mfma_f32_16x16x4f32 a[0:3], v2, v3, a[0:3]
	v_lshrrev_b32_e32 v3, 8, v8
	s_movk_i32 s4, 0x7f
	v_cmp_gt_i16_sdwa s[6:7], v3, s4 src0_sel:BYTE_0 src1_sel:DWORD
	s_mov_b64 s[4:5], 0
                                        ; implicit-def: $sgpr10
	s_and_saveexec_b64 s[8:9], s[6:7]
	s_xor_b64 s[6:7], exec, s[8:9]
	s_cbranch_execnz .LBB47_3273
; %bb.1225:
	s_or_saveexec_b64 s[6:7], s[6:7]
	v_mov_b32_e32 v2, s10
	s_xor_b64 exec, exec, s[6:7]
	s_cbranch_execnz .LBB47_3276
.LBB47_1226:
	s_or_b64 exec, exec, s[6:7]
	s_and_saveexec_b64 s[6:7], s[4:5]
	s_cbranch_execz .LBB47_1228
.LBB47_1227:
	v_bfe_u32 v2, v8, 8, 3
	v_ffbh_u32_e32 v7, v2
	v_min_u32_e32 v7, 32, v7
	v_lshrrev_b16_e32 v6, 3, v3
	v_subrev_u32_e32 v10, 28, v7
	v_and_b32_e32 v6, 15, v6
	v_lshlrev_b32_e32 v3, v10, v3
	v_sub_u32_e32 v7, 29, v7
	v_and_b32_e32 v3, 7, v3
	v_cmp_eq_u16_e32 vcc, 0, v6
	v_cndmask_b32_e32 v2, v2, v3, vcc
	v_cndmask_b32_e32 v3, v6, v7, vcc
	v_lshlrev_b32_e32 v6, 16, v8
	v_mov_b32_e32 v7, 0x3b800000
	v_lshlrev_b32_e32 v2, 20, v2
	v_and_b32_e32 v6, 0x80000000, v6
	v_lshl_add_u32 v3, v3, 23, v7
	v_or3_b32 v2, v6, v3, v2
.LBB47_1228:
	s_or_b64 exec, exec, s[6:7]
	v_lshrrev_b32_e32 v3, 8, v4
	s_movk_i32 s4, 0x7f
	v_cmp_gt_i16_sdwa s[6:7], v3, s4 src0_sel:BYTE_0 src1_sel:DWORD
	s_mov_b64 s[4:5], 0
                                        ; implicit-def: $sgpr10
	s_and_saveexec_b64 s[8:9], s[6:7]
	s_xor_b64 s[6:7], exec, s[8:9]
	s_cbranch_execnz .LBB47_3277
; %bb.1229:
	s_or_saveexec_b64 s[6:7], s[6:7]
	v_mov_b32_e32 v6, s10
	s_xor_b64 exec, exec, s[6:7]
	s_cbranch_execnz .LBB47_3280
.LBB47_1230:
	s_or_b64 exec, exec, s[6:7]
	s_and_saveexec_b64 s[6:7], s[4:5]
	s_cbranch_execz .LBB47_1232
.LBB47_1231:
	v_bfe_u32 v6, v4, 8, 3
	v_ffbh_u32_e32 v10, v6
	v_min_u32_e32 v10, 32, v10
	v_lshrrev_b16_e32 v7, 3, v3
	v_subrev_u32_e32 v11, 28, v10
	v_and_b32_e32 v7, 15, v7
	v_lshlrev_b32_e32 v3, v11, v3
	v_sub_u32_e32 v10, 29, v10
	v_and_b32_e32 v3, 7, v3
	v_cmp_eq_u16_e32 vcc, 0, v7
	v_cndmask_b32_e32 v3, v6, v3, vcc
	v_cndmask_b32_e32 v6, v7, v10, vcc
	v_lshlrev_b32_e32 v7, 16, v4
	v_mov_b32_e32 v10, 0x3b800000
	v_lshlrev_b32_e32 v3, 20, v3
	v_and_b32_e32 v7, 0x80000000, v7
	v_lshl_add_u32 v6, v6, 23, v10
	v_or3_b32 v6, v7, v6, v3
.LBB47_1232:
	s_or_b64 exec, exec, s[6:7]
	s_nop 0
	v_mfma_f32_16x16x4f32 a[0:3], v2, v6, a[0:3]
	s_movk_i32 s4, 0xff
	v_and_b32_sdwa v3, v8, s4 dst_sel:DWORD dst_unused:UNUSED_PAD src0_sel:WORD_1 src1_sel:DWORD
	s_movk_i32 s4, 0x7f
	v_cmp_lt_i16_e32 vcc, s4, v3
	s_mov_b64 s[4:5], 0
                                        ; implicit-def: $sgpr10
	s_and_saveexec_b64 s[6:7], vcc
	s_xor_b64 s[6:7], exec, s[6:7]
	s_cbranch_execnz .LBB47_3281
; %bb.1233:
	s_or_saveexec_b64 s[6:7], s[6:7]
	v_mov_b32_e32 v2, s10
	s_xor_b64 exec, exec, s[6:7]
	s_cbranch_execnz .LBB47_3284
.LBB47_1234:
	s_or_b64 exec, exec, s[6:7]
	s_and_saveexec_b64 s[6:7], s[4:5]
	s_cbranch_execz .LBB47_1236
.LBB47_1235:
	v_bfe_u32 v2, v8, 16, 3
	v_ffbh_u32_e32 v7, v2
	v_min_u32_e32 v7, 32, v7
	v_lshrrev_b32_e32 v3, 19, v8
	v_subrev_u32_e32 v10, 28, v7
	v_and_b32_e32 v3, 15, v3
	v_lshlrev_b32_sdwa v10, v10, v8 dst_sel:DWORD dst_unused:UNUSED_PAD src0_sel:DWORD src1_sel:WORD_1
	v_bfe_u32 v6, v8, 19, 4
	v_sub_u32_e32 v7, 29, v7
	v_and_b32_e32 v10, 7, v10
	v_cmp_eq_u16_e32 vcc, 0, v3
	v_cndmask_b32_e32 v2, v2, v10, vcc
	v_cndmask_b32_e32 v3, v6, v7, vcc
	v_lshlrev_b32_e32 v6, 8, v8
	v_mov_b32_e32 v7, 0x3b800000
	v_lshlrev_b32_e32 v2, 20, v2
	v_and_b32_e32 v6, 0x80000000, v6
	v_lshl_add_u32 v3, v3, 23, v7
	v_or3_b32 v2, v6, v3, v2
.LBB47_1236:
	s_or_b64 exec, exec, s[6:7]
	s_movk_i32 s4, 0xff
	v_and_b32_sdwa v3, v4, s4 dst_sel:DWORD dst_unused:UNUSED_PAD src0_sel:WORD_1 src1_sel:DWORD
	s_movk_i32 s4, 0x7f
	v_cmp_lt_i16_e32 vcc, s4, v3
	s_mov_b64 s[4:5], 0
                                        ; implicit-def: $sgpr10
	s_and_saveexec_b64 s[6:7], vcc
	s_xor_b64 s[6:7], exec, s[6:7]
	s_cbranch_execnz .LBB47_3285
; %bb.1237:
	s_or_saveexec_b64 s[6:7], s[6:7]
	v_mov_b32_e32 v6, s10
	s_xor_b64 exec, exec, s[6:7]
	s_cbranch_execnz .LBB47_3288
.LBB47_1238:
	s_or_b64 exec, exec, s[6:7]
	s_and_saveexec_b64 s[6:7], s[4:5]
	s_cbranch_execz .LBB47_1240
.LBB47_1239:
	v_bfe_u32 v3, v4, 16, 3
	v_ffbh_u32_e32 v10, v3
	v_min_u32_e32 v10, 32, v10
	v_lshrrev_b32_e32 v6, 19, v4
	v_subrev_u32_e32 v11, 28, v10
	v_and_b32_e32 v6, 15, v6
	v_lshlrev_b32_sdwa v11, v11, v4 dst_sel:DWORD dst_unused:UNUSED_PAD src0_sel:DWORD src1_sel:WORD_1
	v_bfe_u32 v7, v4, 19, 4
	v_sub_u32_e32 v10, 29, v10
	v_and_b32_e32 v11, 7, v11
	v_cmp_eq_u16_e32 vcc, 0, v6
	v_cndmask_b32_e32 v3, v3, v11, vcc
	v_cndmask_b32_e32 v6, v7, v10, vcc
	v_lshlrev_b32_e32 v7, 8, v4
	v_mov_b32_e32 v10, 0x3b800000
	v_lshlrev_b32_e32 v3, 20, v3
	v_and_b32_e32 v7, 0x80000000, v7
	v_lshl_add_u32 v6, v6, 23, v10
	v_or3_b32 v6, v7, v6, v3
.LBB47_1240:
	s_or_b64 exec, exec, s[6:7]
	s_nop 0
	v_mfma_f32_16x16x4f32 a[0:3], v2, v6, a[0:3]
	s_movk_i32 s4, 0x7f
	v_cmp_gt_i16_sdwa s[6:7], v8, s4 src0_sel:BYTE_3 src1_sel:DWORD
	s_mov_b64 s[4:5], 0
                                        ; implicit-def: $sgpr10
	s_and_saveexec_b64 s[8:9], s[6:7]
	s_xor_b64 s[6:7], exec, s[8:9]
	s_cbranch_execnz .LBB47_3289
; %bb.1241:
	s_or_saveexec_b64 s[6:7], s[6:7]
	v_mov_b32_e32 v2, s10
	s_xor_b64 exec, exec, s[6:7]
	s_cbranch_execnz .LBB47_3292
.LBB47_1242:
	s_or_b64 exec, exec, s[6:7]
	s_and_saveexec_b64 s[6:7], s[4:5]
	s_cbranch_execz .LBB47_1244
.LBB47_1243:
	v_bfe_u32 v2, v8, 24, 3
	v_ffbh_u32_e32 v10, v2
	v_min_u32_e32 v10, 32, v10
	v_lshrrev_b32_e32 v6, 27, v8
	v_subrev_u32_e32 v11, 28, v10
	v_and_b32_e32 v3, 0x80000000, v8
	v_and_b32_e32 v6, 15, v6
	v_bfe_u32 v7, v8, 27, 4
	v_lshlrev_b32_sdwa v8, v11, v8 dst_sel:DWORD dst_unused:UNUSED_PAD src0_sel:DWORD src1_sel:BYTE_3
	v_sub_u32_e32 v10, 29, v10
	v_and_b32_e32 v8, 7, v8
	v_cmp_eq_u16_e32 vcc, 0, v6
	v_cndmask_b32_e32 v2, v2, v8, vcc
	v_cndmask_b32_e32 v6, v7, v10, vcc
	v_mov_b32_e32 v7, 0x3b800000
	v_lshlrev_b32_e32 v2, 20, v2
	v_lshl_add_u32 v6, v6, 23, v7
	v_or3_b32 v2, v3, v6, v2
.LBB47_1244:
	s_or_b64 exec, exec, s[6:7]
	s_movk_i32 s4, 0x7f
	v_cmp_gt_i16_sdwa s[6:7], v4, s4 src0_sel:BYTE_3 src1_sel:DWORD
	s_mov_b64 s[4:5], 0
                                        ; implicit-def: $sgpr10
	s_and_saveexec_b64 s[8:9], s[6:7]
	s_xor_b64 s[6:7], exec, s[8:9]
	s_cbranch_execnz .LBB47_3293
; %bb.1245:
	s_or_saveexec_b64 s[6:7], s[6:7]
	v_mov_b32_e32 v3, s10
	s_xor_b64 exec, exec, s[6:7]
	s_cbranch_execnz .LBB47_3296
.LBB47_1246:
	s_or_b64 exec, exec, s[6:7]
	s_and_saveexec_b64 s[6:7], s[4:5]
	s_cbranch_execz .LBB47_1248
.LBB47_1247:
	v_bfe_u32 v3, v4, 24, 3
	v_ffbh_u32_e32 v10, v3
	v_min_u32_e32 v10, 32, v10
	v_lshrrev_b32_e32 v7, 27, v4
	v_subrev_u32_e32 v11, 28, v10
	v_and_b32_e32 v6, 0x80000000, v4
	v_and_b32_e32 v7, 15, v7
	v_bfe_u32 v8, v4, 27, 4
	v_lshlrev_b32_sdwa v4, v11, v4 dst_sel:DWORD dst_unused:UNUSED_PAD src0_sel:DWORD src1_sel:BYTE_3
	v_sub_u32_e32 v10, 29, v10
	v_and_b32_e32 v4, 7, v4
	v_cmp_eq_u16_e32 vcc, 0, v7
	v_cndmask_b32_e32 v3, v3, v4, vcc
	v_cndmask_b32_e32 v4, v8, v10, vcc
	v_mov_b32_e32 v7, 0x3b800000
	v_lshlrev_b32_e32 v3, 20, v3
	v_lshl_add_u32 v4, v4, 23, v7
	v_or3_b32 v3, v6, v4, v3
.LBB47_1248:
	s_or_b64 exec, exec, s[6:7]
	s_nop 0
	v_mfma_f32_16x16x4f32 a[0:3], v2, v3, a[0:3]
	s_movk_i32 s4, 0x7f
	v_cmp_gt_i16_sdwa s[6:7], v9, s4 src0_sel:BYTE_0 src1_sel:DWORD
	s_mov_b64 s[4:5], 0
                                        ; implicit-def: $sgpr10
	s_and_saveexec_b64 s[8:9], s[6:7]
	s_xor_b64 s[6:7], exec, s[8:9]
	s_cbranch_execnz .LBB47_3297
; %bb.1249:
	s_or_saveexec_b64 s[6:7], s[6:7]
	v_mov_b32_e32 v2, s10
	s_xor_b64 exec, exec, s[6:7]
	s_cbranch_execnz .LBB47_3300
.LBB47_1250:
	s_or_b64 exec, exec, s[6:7]
	s_and_saveexec_b64 s[6:7], s[4:5]
	s_cbranch_execz .LBB47_1252
.LBB47_1251:
	v_mov_b32_e32 v2, 8
	v_and_b32_e32 v3, 7, v9
	v_lshrrev_b32_sdwa v2, v2, v9 dst_sel:BYTE_1 dst_unused:UNUSED_PAD src0_sel:DWORD src1_sel:DWORD
	v_ffbh_u32_e32 v4, v3
	v_or_b32_sdwa v2, v9, v2 dst_sel:DWORD dst_unused:UNUSED_PAD src0_sel:BYTE_0 src1_sel:DWORD
	v_min_u32_e32 v4, 32, v4
	v_lshrrev_b16_e32 v2, 3, v2
	v_subrev_u32_e32 v6, 28, v4
	v_and_b32_e32 v2, 15, v2
	v_lshlrev_b32_e32 v6, v6, v9
	v_sub_u32_e32 v4, 29, v4
	v_and_b32_e32 v6, 7, v6
	v_cmp_eq_u16_e32 vcc, 0, v2
	v_cndmask_b32_e32 v3, v3, v6, vcc
	v_cndmask_b32_e32 v2, v2, v4, vcc
	v_lshlrev_b32_e32 v4, 24, v9
	v_mov_b32_e32 v6, 0x3b800000
	v_lshlrev_b32_e32 v3, 20, v3
	v_and_b32_e32 v4, 0x80000000, v4
	v_lshl_add_u32 v2, v2, 23, v6
	v_or3_b32 v2, v4, v2, v3
.LBB47_1252:
	s_or_b64 exec, exec, s[6:7]
	s_movk_i32 s4, 0x7f
	v_cmp_gt_i16_sdwa s[6:7], v5, s4 src0_sel:BYTE_0 src1_sel:DWORD
	s_mov_b64 s[4:5], 0
                                        ; implicit-def: $sgpr10
	s_and_saveexec_b64 s[8:9], s[6:7]
	s_xor_b64 s[6:7], exec, s[8:9]
	s_cbranch_execnz .LBB47_3301
; %bb.1253:
	s_or_saveexec_b64 s[6:7], s[6:7]
	v_mov_b32_e32 v3, s10
	s_xor_b64 exec, exec, s[6:7]
	s_cbranch_execnz .LBB47_3304
.LBB47_1254:
	s_or_b64 exec, exec, s[6:7]
	s_and_saveexec_b64 s[6:7], s[4:5]
	s_cbranch_execz .LBB47_1256
.LBB47_1255:
	v_mov_b32_e32 v3, 8
	v_and_b32_e32 v4, 7, v5
	v_lshrrev_b32_sdwa v3, v3, v5 dst_sel:BYTE_1 dst_unused:UNUSED_PAD src0_sel:DWORD src1_sel:DWORD
	v_ffbh_u32_e32 v6, v4
	v_or_b32_sdwa v3, v5, v3 dst_sel:DWORD dst_unused:UNUSED_PAD src0_sel:BYTE_0 src1_sel:DWORD
	v_min_u32_e32 v6, 32, v6
	v_lshrrev_b16_e32 v3, 3, v3
	v_subrev_u32_e32 v7, 28, v6
	v_and_b32_e32 v3, 15, v3
	v_lshlrev_b32_e32 v7, v7, v5
	v_sub_u32_e32 v6, 29, v6
	v_and_b32_e32 v7, 7, v7
	v_cmp_eq_u16_e32 vcc, 0, v3
	v_cndmask_b32_e32 v4, v4, v7, vcc
	v_cndmask_b32_e32 v3, v3, v6, vcc
	v_lshlrev_b32_e32 v6, 24, v5
	v_mov_b32_e32 v7, 0x3b800000
	v_lshlrev_b32_e32 v4, 20, v4
	v_and_b32_e32 v6, 0x80000000, v6
	v_lshl_add_u32 v3, v3, 23, v7
	v_or3_b32 v3, v6, v3, v4
.LBB47_1256:
	s_or_b64 exec, exec, s[6:7]
	s_nop 0
	v_mfma_f32_16x16x4f32 a[0:3], v2, v3, a[0:3]
	v_lshrrev_b32_e32 v3, 8, v9
	s_movk_i32 s4, 0x7f
	v_cmp_gt_i16_sdwa s[6:7], v3, s4 src0_sel:BYTE_0 src1_sel:DWORD
	s_mov_b64 s[4:5], 0
                                        ; implicit-def: $sgpr10
	s_and_saveexec_b64 s[8:9], s[6:7]
	s_xor_b64 s[6:7], exec, s[8:9]
	s_cbranch_execnz .LBB47_3305
; %bb.1257:
	s_or_saveexec_b64 s[6:7], s[6:7]
	v_mov_b32_e32 v2, s10
	s_xor_b64 exec, exec, s[6:7]
	s_cbranch_execnz .LBB47_3308
.LBB47_1258:
	s_or_b64 exec, exec, s[6:7]
	s_and_saveexec_b64 s[6:7], s[4:5]
	s_cbranch_execz .LBB47_1260
.LBB47_1259:
	v_bfe_u32 v2, v9, 8, 3
	v_ffbh_u32_e32 v6, v2
	v_min_u32_e32 v6, 32, v6
	v_lshrrev_b16_e32 v4, 3, v3
	v_subrev_u32_e32 v7, 28, v6
	v_and_b32_e32 v4, 15, v4
	v_lshlrev_b32_e32 v3, v7, v3
	v_sub_u32_e32 v6, 29, v6
	v_and_b32_e32 v3, 7, v3
	v_cmp_eq_u16_e32 vcc, 0, v4
	v_cndmask_b32_e32 v2, v2, v3, vcc
	v_cndmask_b32_e32 v3, v4, v6, vcc
	v_lshlrev_b32_e32 v4, 16, v9
	v_mov_b32_e32 v6, 0x3b800000
	v_lshlrev_b32_e32 v2, 20, v2
	v_and_b32_e32 v4, 0x80000000, v4
	v_lshl_add_u32 v3, v3, 23, v6
	v_or3_b32 v2, v4, v3, v2
.LBB47_1260:
	s_or_b64 exec, exec, s[6:7]
	v_lshrrev_b32_e32 v3, 8, v5
	s_movk_i32 s4, 0x7f
	v_cmp_gt_i16_sdwa s[6:7], v3, s4 src0_sel:BYTE_0 src1_sel:DWORD
	s_mov_b64 s[4:5], 0
                                        ; implicit-def: $sgpr10
	s_and_saveexec_b64 s[8:9], s[6:7]
	s_xor_b64 s[6:7], exec, s[8:9]
	s_cbranch_execnz .LBB47_3309
; %bb.1261:
	s_or_saveexec_b64 s[6:7], s[6:7]
	v_mov_b32_e32 v4, s10
	s_xor_b64 exec, exec, s[6:7]
	s_cbranch_execnz .LBB47_3312
.LBB47_1262:
	s_or_b64 exec, exec, s[6:7]
	s_and_saveexec_b64 s[6:7], s[4:5]
	s_cbranch_execz .LBB47_1264
.LBB47_1263:
	v_bfe_u32 v4, v5, 8, 3
	v_ffbh_u32_e32 v7, v4
	v_min_u32_e32 v7, 32, v7
	v_lshrrev_b16_e32 v6, 3, v3
	v_subrev_u32_e32 v8, 28, v7
	v_and_b32_e32 v6, 15, v6
	v_lshlrev_b32_e32 v3, v8, v3
	v_sub_u32_e32 v7, 29, v7
	v_and_b32_e32 v3, 7, v3
	v_cmp_eq_u16_e32 vcc, 0, v6
	v_cndmask_b32_e32 v3, v4, v3, vcc
	v_cndmask_b32_e32 v4, v6, v7, vcc
	v_lshlrev_b32_e32 v6, 16, v5
	v_mov_b32_e32 v7, 0x3b800000
	v_lshlrev_b32_e32 v3, 20, v3
	v_and_b32_e32 v6, 0x80000000, v6
	v_lshl_add_u32 v4, v4, 23, v7
	v_or3_b32 v4, v6, v4, v3
.LBB47_1264:
	s_or_b64 exec, exec, s[6:7]
	s_nop 0
	v_mfma_f32_16x16x4f32 a[0:3], v2, v4, a[0:3]
	s_movk_i32 s4, 0xff
	v_and_b32_sdwa v3, v9, s4 dst_sel:DWORD dst_unused:UNUSED_PAD src0_sel:WORD_1 src1_sel:DWORD
	s_movk_i32 s4, 0x7f
	v_cmp_lt_i16_e32 vcc, s4, v3
	s_mov_b64 s[4:5], 0
                                        ; implicit-def: $sgpr10
	s_and_saveexec_b64 s[6:7], vcc
	s_xor_b64 s[6:7], exec, s[6:7]
	s_cbranch_execnz .LBB47_3313
; %bb.1265:
	s_or_saveexec_b64 s[6:7], s[6:7]
	v_mov_b32_e32 v2, s10
	s_xor_b64 exec, exec, s[6:7]
	s_cbranch_execnz .LBB47_3316
.LBB47_1266:
	s_or_b64 exec, exec, s[6:7]
	s_and_saveexec_b64 s[6:7], s[4:5]
	s_cbranch_execz .LBB47_1268
.LBB47_1267:
	v_bfe_u32 v2, v9, 16, 3
	v_ffbh_u32_e32 v6, v2
	v_min_u32_e32 v6, 32, v6
	v_lshrrev_b32_e32 v3, 19, v9
	v_subrev_u32_e32 v7, 28, v6
	v_and_b32_e32 v3, 15, v3
	v_lshlrev_b32_sdwa v7, v7, v9 dst_sel:DWORD dst_unused:UNUSED_PAD src0_sel:DWORD src1_sel:WORD_1
	v_bfe_u32 v4, v9, 19, 4
	v_sub_u32_e32 v6, 29, v6
	v_and_b32_e32 v7, 7, v7
	v_cmp_eq_u16_e32 vcc, 0, v3
	v_cndmask_b32_e32 v2, v2, v7, vcc
	v_cndmask_b32_e32 v3, v4, v6, vcc
	v_lshlrev_b32_e32 v4, 8, v9
	v_mov_b32_e32 v6, 0x3b800000
	v_lshlrev_b32_e32 v2, 20, v2
	v_and_b32_e32 v4, 0x80000000, v4
	v_lshl_add_u32 v3, v3, 23, v6
	v_or3_b32 v2, v4, v3, v2
.LBB47_1268:
	s_or_b64 exec, exec, s[6:7]
	s_movk_i32 s4, 0xff
	v_and_b32_sdwa v3, v5, s4 dst_sel:DWORD dst_unused:UNUSED_PAD src0_sel:WORD_1 src1_sel:DWORD
	s_movk_i32 s4, 0x7f
	v_cmp_lt_i16_e32 vcc, s4, v3
	s_mov_b64 s[4:5], 0
                                        ; implicit-def: $sgpr10
	s_and_saveexec_b64 s[6:7], vcc
	s_xor_b64 s[6:7], exec, s[6:7]
	s_cbranch_execnz .LBB47_3317
; %bb.1269:
	s_or_saveexec_b64 s[6:7], s[6:7]
	v_mov_b32_e32 v4, s10
	s_xor_b64 exec, exec, s[6:7]
	s_cbranch_execnz .LBB47_3320
.LBB47_1270:
	s_or_b64 exec, exec, s[6:7]
	s_and_saveexec_b64 s[6:7], s[4:5]
	s_cbranch_execz .LBB47_1272
.LBB47_1271:
	v_bfe_u32 v3, v5, 16, 3
	v_ffbh_u32_e32 v7, v3
	v_min_u32_e32 v7, 32, v7
	v_lshrrev_b32_e32 v4, 19, v5
	v_subrev_u32_e32 v8, 28, v7
	v_and_b32_e32 v4, 15, v4
	v_lshlrev_b32_sdwa v8, v8, v5 dst_sel:DWORD dst_unused:UNUSED_PAD src0_sel:DWORD src1_sel:WORD_1
	v_bfe_u32 v6, v5, 19, 4
	v_sub_u32_e32 v7, 29, v7
	v_and_b32_e32 v8, 7, v8
	v_cmp_eq_u16_e32 vcc, 0, v4
	v_cndmask_b32_e32 v3, v3, v8, vcc
	v_cndmask_b32_e32 v4, v6, v7, vcc
	v_lshlrev_b32_e32 v6, 8, v5
	v_mov_b32_e32 v7, 0x3b800000
	v_lshlrev_b32_e32 v3, 20, v3
	v_and_b32_e32 v6, 0x80000000, v6
	v_lshl_add_u32 v4, v4, 23, v7
	v_or3_b32 v4, v6, v4, v3
.LBB47_1272:
	s_or_b64 exec, exec, s[6:7]
	s_nop 0
	v_mfma_f32_16x16x4f32 a[0:3], v2, v4, a[0:3]
	s_movk_i32 s4, 0x7f
	v_cmp_gt_i16_sdwa s[6:7], v9, s4 src0_sel:BYTE_3 src1_sel:DWORD
	s_mov_b64 s[4:5], 0
                                        ; implicit-def: $sgpr10
	s_and_saveexec_b64 s[8:9], s[6:7]
	s_xor_b64 s[6:7], exec, s[8:9]
	s_cbranch_execnz .LBB47_3321
; %bb.1273:
	s_or_saveexec_b64 s[6:7], s[6:7]
	v_mov_b32_e32 v2, s10
	s_xor_b64 exec, exec, s[6:7]
	s_cbranch_execnz .LBB47_3324
.LBB47_1274:
	s_or_b64 exec, exec, s[6:7]
	s_and_saveexec_b64 s[6:7], s[4:5]
	s_cbranch_execz .LBB47_1276
.LBB47_1275:
	v_bfe_u32 v2, v9, 24, 3
	v_ffbh_u32_e32 v7, v2
	v_min_u32_e32 v7, 32, v7
	v_lshrrev_b32_e32 v4, 27, v9
	v_subrev_u32_e32 v8, 28, v7
	v_and_b32_e32 v4, 15, v4
	v_lshlrev_b32_sdwa v8, v8, v9 dst_sel:DWORD dst_unused:UNUSED_PAD src0_sel:DWORD src1_sel:BYTE_3
	v_bfe_u32 v6, v9, 27, 4
	v_sub_u32_e32 v7, 29, v7
	v_and_b32_e32 v8, 7, v8
	v_cmp_eq_u16_e32 vcc, 0, v4
	v_cndmask_b32_e32 v2, v2, v8, vcc
	v_cndmask_b32_e32 v4, v6, v7, vcc
	v_mov_b32_e32 v6, 0x3b800000
	v_and_b32_e32 v3, 0x80000000, v9
	v_lshlrev_b32_e32 v2, 20, v2
	v_lshl_add_u32 v4, v4, 23, v6
	v_or3_b32 v2, v3, v4, v2
.LBB47_1276:
	s_or_b64 exec, exec, s[6:7]
	s_movk_i32 s4, 0x7f
	v_cmp_gt_i16_sdwa s[6:7], v5, s4 src0_sel:BYTE_3 src1_sel:DWORD
	s_mov_b64 s[4:5], 0
                                        ; implicit-def: $sgpr10
	s_and_saveexec_b64 s[8:9], s[6:7]
	s_xor_b64 s[6:7], exec, s[8:9]
	s_cbranch_execnz .LBB47_3325
; %bb.1277:
	s_or_saveexec_b64 s[6:7], s[6:7]
	v_mov_b32_e32 v3, s10
	s_xor_b64 exec, exec, s[6:7]
	s_cbranch_execnz .LBB47_3328
.LBB47_1278:
	s_or_b64 exec, exec, s[6:7]
	s_and_saveexec_b64 s[6:7], s[4:5]
	s_cbranch_execz .LBB47_1280
.LBB47_1279:
	v_bfe_u32 v3, v5, 24, 3
	v_ffbh_u32_e32 v8, v3
	v_min_u32_e32 v8, 32, v8
	v_lshrrev_b32_e32 v6, 27, v5
	v_subrev_u32_e32 v9, 28, v8
	v_and_b32_e32 v4, 0x80000000, v5
	v_and_b32_e32 v6, 15, v6
	v_bfe_u32 v7, v5, 27, 4
	v_lshlrev_b32_sdwa v5, v9, v5 dst_sel:DWORD dst_unused:UNUSED_PAD src0_sel:DWORD src1_sel:BYTE_3
	v_sub_u32_e32 v8, 29, v8
	v_and_b32_e32 v5, 7, v5
	v_cmp_eq_u16_e32 vcc, 0, v6
	v_cndmask_b32_e32 v3, v3, v5, vcc
	v_cndmask_b32_e32 v5, v7, v8, vcc
	v_mov_b32_e32 v6, 0x3b800000
	v_lshlrev_b32_e32 v3, 20, v3
	v_lshl_add_u32 v5, v5, 23, v6
	v_or3_b32 v3, v4, v5, v3
.LBB47_1280:
	s_or_b64 exec, exec, s[6:7]
	s_nop 0
	v_mfma_f32_16x16x4f32 a[0:3], v2, v3, a[0:3]
	s_movk_i32 s4, 0x7f
                                        ; implicit-def: $sgpr10
	s_nop 7
	s_nop 1
	flat_store_dwordx4 v[18:19], a[0:3] offset:448
	flat_load_dwordx4 v[20:23], v[0:1] offset:8
	s_nop 0
	flat_load_dwordx2 v[18:19], v[0:1] offset:24
	s_waitcnt vmcnt(0) lgkmcnt(0)
	flat_load_dwordx4 v[14:17], v[20:21] offset:32
	flat_load_dwordx4 v[6:9], v[20:21] offset:48
	;; [unrolled: 1-line block ×4, first 2 shown]
	s_waitcnt vmcnt(0) lgkmcnt(0)
	v_cmp_gt_i16_sdwa s[6:7], v14, s4 src0_sel:BYTE_0 src1_sel:DWORD
	s_mov_b64 s[4:5], 0
	s_and_saveexec_b64 s[8:9], s[6:7]
	s_xor_b64 s[6:7], exec, s[8:9]
	s_cbranch_execnz .LBB47_3329
; %bb.1281:
	s_or_saveexec_b64 s[6:7], s[6:7]
	v_mov_b32_e32 v20, s10
	s_xor_b64 exec, exec, s[6:7]
	s_cbranch_execnz .LBB47_3332
.LBB47_1282:
	s_or_b64 exec, exec, s[6:7]
	s_and_saveexec_b64 s[6:7], s[4:5]
	s_cbranch_execz .LBB47_1284
.LBB47_1283:
	v_and_b32_e32 v20, 7, v14
	v_ffbh_u32_e32 v22, v20
	v_min_u32_e32 v22, 32, v22
	v_lshrrev_b16_e32 v21, 3, v14
	v_subrev_u32_e32 v23, 28, v22
	v_and_b32_e32 v21, 15, v21
	v_lshlrev_b32_e32 v23, v23, v14
	v_sub_u32_e32 v22, 29, v22
	v_and_b32_e32 v23, 7, v23
	v_cmp_eq_u16_e32 vcc, 0, v21
	v_cndmask_b32_e32 v20, v20, v23, vcc
	v_cndmask_b32_e32 v21, v21, v22, vcc
	v_lshlrev_b32_e32 v22, 24, v14
	v_mov_b32_e32 v23, 0x3b800000
	v_lshlrev_b32_e32 v20, 20, v20
	v_and_b32_e32 v22, 0x80000000, v22
	v_lshl_add_u32 v21, v21, 23, v23
	v_or3_b32 v20, v22, v21, v20
.LBB47_1284:
	s_or_b64 exec, exec, s[6:7]
	s_movk_i32 s4, 0x7f
	v_cmp_gt_i16_sdwa s[6:7], v10, s4 src0_sel:BYTE_0 src1_sel:DWORD
	s_mov_b64 s[4:5], 0
                                        ; implicit-def: $sgpr10
	s_and_saveexec_b64 s[8:9], s[6:7]
	s_xor_b64 s[6:7], exec, s[8:9]
	s_cbranch_execnz .LBB47_3333
; %bb.1285:
	s_or_saveexec_b64 s[6:7], s[6:7]
	v_mov_b32_e32 v21, s10
	s_xor_b64 exec, exec, s[6:7]
	s_cbranch_execnz .LBB47_3336
.LBB47_1286:
	s_or_b64 exec, exec, s[6:7]
	s_and_saveexec_b64 s[6:7], s[4:5]
	s_cbranch_execz .LBB47_1288
.LBB47_1287:
	v_and_b32_e32 v21, 7, v10
	v_ffbh_u32_e32 v23, v21
	v_min_u32_e32 v23, 32, v23
	v_lshrrev_b16_e32 v22, 3, v10
	v_subrev_u32_e32 v24, 28, v23
	v_and_b32_e32 v22, 15, v22
	v_lshlrev_b32_e32 v24, v24, v10
	v_sub_u32_e32 v23, 29, v23
	v_and_b32_e32 v24, 7, v24
	v_cmp_eq_u16_e32 vcc, 0, v22
	v_cndmask_b32_e32 v21, v21, v24, vcc
	v_cndmask_b32_e32 v22, v22, v23, vcc
	v_lshlrev_b32_e32 v23, 24, v10
	v_mov_b32_e32 v24, 0x3b800000
	v_lshlrev_b32_e32 v21, 20, v21
	v_and_b32_e32 v23, 0x80000000, v23
	v_lshl_add_u32 v22, v22, 23, v24
	v_or3_b32 v21, v23, v22, v21
.LBB47_1288:
	s_or_b64 exec, exec, s[6:7]
	flat_load_dwordx4 a[0:3], v[18:19] offset:464
	s_movk_i32 s4, 0x7f
                                        ; implicit-def: $sgpr10
	s_waitcnt vmcnt(0) lgkmcnt(0)
	v_mfma_f32_16x16x4f32 a[0:3], v20, v21, a[0:3]
	v_lshrrev_b32_e32 v21, 8, v14
	v_cmp_gt_i16_sdwa s[6:7], v21, s4 src0_sel:BYTE_0 src1_sel:DWORD
	s_mov_b64 s[4:5], 0
	s_and_saveexec_b64 s[8:9], s[6:7]
	s_xor_b64 s[6:7], exec, s[8:9]
	s_cbranch_execnz .LBB47_3337
; %bb.1289:
	s_or_saveexec_b64 s[6:7], s[6:7]
	v_mov_b32_e32 v20, s10
	s_xor_b64 exec, exec, s[6:7]
	s_cbranch_execnz .LBB47_3340
.LBB47_1290:
	s_or_b64 exec, exec, s[6:7]
	s_and_saveexec_b64 s[6:7], s[4:5]
	s_cbranch_execz .LBB47_1292
.LBB47_1291:
	v_bfe_u32 v20, v14, 8, 3
	v_ffbh_u32_e32 v23, v20
	v_min_u32_e32 v23, 32, v23
	v_lshrrev_b16_e32 v22, 3, v21
	v_subrev_u32_e32 v24, 28, v23
	v_and_b32_e32 v22, 15, v22
	v_lshlrev_b32_e32 v21, v24, v21
	v_sub_u32_e32 v23, 29, v23
	v_and_b32_e32 v21, 7, v21
	v_cmp_eq_u16_e32 vcc, 0, v22
	v_cndmask_b32_e32 v20, v20, v21, vcc
	v_cndmask_b32_e32 v21, v22, v23, vcc
	v_lshlrev_b32_e32 v22, 16, v14
	v_mov_b32_e32 v23, 0x3b800000
	v_lshlrev_b32_e32 v20, 20, v20
	v_and_b32_e32 v22, 0x80000000, v22
	v_lshl_add_u32 v21, v21, 23, v23
	v_or3_b32 v20, v22, v21, v20
.LBB47_1292:
	s_or_b64 exec, exec, s[6:7]
	v_lshrrev_b32_e32 v21, 8, v10
	s_movk_i32 s4, 0x7f
	v_cmp_gt_i16_sdwa s[6:7], v21, s4 src0_sel:BYTE_0 src1_sel:DWORD
	s_mov_b64 s[4:5], 0
                                        ; implicit-def: $sgpr10
	s_and_saveexec_b64 s[8:9], s[6:7]
	s_xor_b64 s[6:7], exec, s[8:9]
	s_cbranch_execnz .LBB47_3341
; %bb.1293:
	s_or_saveexec_b64 s[6:7], s[6:7]
	v_mov_b32_e32 v22, s10
	s_xor_b64 exec, exec, s[6:7]
	s_cbranch_execnz .LBB47_3344
.LBB47_1294:
	s_or_b64 exec, exec, s[6:7]
	s_and_saveexec_b64 s[6:7], s[4:5]
	s_cbranch_execz .LBB47_1296
.LBB47_1295:
	v_bfe_u32 v22, v10, 8, 3
	v_ffbh_u32_e32 v24, v22
	v_min_u32_e32 v24, 32, v24
	v_lshrrev_b16_e32 v23, 3, v21
	v_subrev_u32_e32 v25, 28, v24
	v_and_b32_e32 v23, 15, v23
	v_lshlrev_b32_e32 v21, v25, v21
	v_sub_u32_e32 v24, 29, v24
	v_and_b32_e32 v21, 7, v21
	v_cmp_eq_u16_e32 vcc, 0, v23
	v_cndmask_b32_e32 v21, v22, v21, vcc
	v_cndmask_b32_e32 v22, v23, v24, vcc
	v_lshlrev_b32_e32 v23, 16, v10
	v_mov_b32_e32 v24, 0x3b800000
	v_lshlrev_b32_e32 v21, 20, v21
	v_and_b32_e32 v23, 0x80000000, v23
	v_lshl_add_u32 v22, v22, 23, v24
	v_or3_b32 v22, v23, v22, v21
.LBB47_1296:
	s_or_b64 exec, exec, s[6:7]
	s_nop 0
	v_mfma_f32_16x16x4f32 a[0:3], v20, v22, a[0:3]
	s_movk_i32 s4, 0xff
	v_and_b32_sdwa v21, v14, s4 dst_sel:DWORD dst_unused:UNUSED_PAD src0_sel:WORD_1 src1_sel:DWORD
	s_movk_i32 s4, 0x7f
	v_cmp_lt_i16_e32 vcc, s4, v21
	s_mov_b64 s[4:5], 0
                                        ; implicit-def: $sgpr10
	s_and_saveexec_b64 s[6:7], vcc
	s_xor_b64 s[6:7], exec, s[6:7]
	s_cbranch_execnz .LBB47_3345
; %bb.1297:
	s_or_saveexec_b64 s[6:7], s[6:7]
	v_mov_b32_e32 v20, s10
	s_xor_b64 exec, exec, s[6:7]
	s_cbranch_execnz .LBB47_3348
.LBB47_1298:
	s_or_b64 exec, exec, s[6:7]
	s_and_saveexec_b64 s[6:7], s[4:5]
	s_cbranch_execz .LBB47_1300
.LBB47_1299:
	v_bfe_u32 v20, v14, 16, 3
	v_ffbh_u32_e32 v23, v20
	v_min_u32_e32 v23, 32, v23
	v_lshrrev_b32_e32 v21, 19, v14
	v_subrev_u32_e32 v24, 28, v23
	v_and_b32_e32 v21, 15, v21
	v_lshlrev_b32_sdwa v24, v24, v14 dst_sel:DWORD dst_unused:UNUSED_PAD src0_sel:DWORD src1_sel:WORD_1
	v_bfe_u32 v22, v14, 19, 4
	v_sub_u32_e32 v23, 29, v23
	v_and_b32_e32 v24, 7, v24
	v_cmp_eq_u16_e32 vcc, 0, v21
	v_cndmask_b32_e32 v20, v20, v24, vcc
	v_cndmask_b32_e32 v21, v22, v23, vcc
	v_lshlrev_b32_e32 v22, 8, v14
	v_mov_b32_e32 v23, 0x3b800000
	v_lshlrev_b32_e32 v20, 20, v20
	v_and_b32_e32 v22, 0x80000000, v22
	v_lshl_add_u32 v21, v21, 23, v23
	v_or3_b32 v20, v22, v21, v20
.LBB47_1300:
	s_or_b64 exec, exec, s[6:7]
	s_movk_i32 s4, 0xff
	v_and_b32_sdwa v21, v10, s4 dst_sel:DWORD dst_unused:UNUSED_PAD src0_sel:WORD_1 src1_sel:DWORD
	s_movk_i32 s4, 0x7f
	v_cmp_lt_i16_e32 vcc, s4, v21
	s_mov_b64 s[4:5], 0
                                        ; implicit-def: $sgpr10
	s_and_saveexec_b64 s[6:7], vcc
	s_xor_b64 s[6:7], exec, s[6:7]
	s_cbranch_execnz .LBB47_3349
; %bb.1301:
	s_or_saveexec_b64 s[6:7], s[6:7]
	v_mov_b32_e32 v22, s10
	s_xor_b64 exec, exec, s[6:7]
	s_cbranch_execnz .LBB47_3352
.LBB47_1302:
	s_or_b64 exec, exec, s[6:7]
	s_and_saveexec_b64 s[6:7], s[4:5]
	s_cbranch_execz .LBB47_1304
.LBB47_1303:
	v_bfe_u32 v21, v10, 16, 3
	v_ffbh_u32_e32 v24, v21
	v_min_u32_e32 v24, 32, v24
	v_lshrrev_b32_e32 v22, 19, v10
	v_subrev_u32_e32 v25, 28, v24
	v_and_b32_e32 v22, 15, v22
	v_lshlrev_b32_sdwa v25, v25, v10 dst_sel:DWORD dst_unused:UNUSED_PAD src0_sel:DWORD src1_sel:WORD_1
	v_bfe_u32 v23, v10, 19, 4
	v_sub_u32_e32 v24, 29, v24
	v_and_b32_e32 v25, 7, v25
	v_cmp_eq_u16_e32 vcc, 0, v22
	v_cndmask_b32_e32 v21, v21, v25, vcc
	v_cndmask_b32_e32 v22, v23, v24, vcc
	v_lshlrev_b32_e32 v23, 8, v10
	v_mov_b32_e32 v24, 0x3b800000
	v_lshlrev_b32_e32 v21, 20, v21
	v_and_b32_e32 v23, 0x80000000, v23
	v_lshl_add_u32 v22, v22, 23, v24
	v_or3_b32 v22, v23, v22, v21
.LBB47_1304:
	s_or_b64 exec, exec, s[6:7]
	s_nop 0
	v_mfma_f32_16x16x4f32 a[0:3], v20, v22, a[0:3]
	s_movk_i32 s4, 0x7f
	v_cmp_gt_i16_sdwa s[6:7], v14, s4 src0_sel:BYTE_3 src1_sel:DWORD
	s_mov_b64 s[4:5], 0
                                        ; implicit-def: $sgpr10
	s_and_saveexec_b64 s[8:9], s[6:7]
	s_xor_b64 s[6:7], exec, s[8:9]
	s_cbranch_execnz .LBB47_3353
; %bb.1305:
	s_or_saveexec_b64 s[6:7], s[6:7]
	v_mov_b32_e32 v20, s10
	s_xor_b64 exec, exec, s[6:7]
	s_cbranch_execnz .LBB47_3356
.LBB47_1306:
	s_or_b64 exec, exec, s[6:7]
	s_and_saveexec_b64 s[6:7], s[4:5]
	s_cbranch_execz .LBB47_1308
.LBB47_1307:
	v_bfe_u32 v20, v14, 24, 3
	v_ffbh_u32_e32 v24, v20
	v_min_u32_e32 v24, 32, v24
	v_lshrrev_b32_e32 v22, 27, v14
	v_subrev_u32_e32 v25, 28, v24
	v_and_b32_e32 v21, 0x80000000, v14
	v_and_b32_e32 v22, 15, v22
	v_bfe_u32 v23, v14, 27, 4
	v_lshlrev_b32_sdwa v14, v25, v14 dst_sel:DWORD dst_unused:UNUSED_PAD src0_sel:DWORD src1_sel:BYTE_3
	v_sub_u32_e32 v24, 29, v24
	v_and_b32_e32 v14, 7, v14
	v_cmp_eq_u16_e32 vcc, 0, v22
	v_cndmask_b32_e32 v14, v20, v14, vcc
	v_cndmask_b32_e32 v20, v23, v24, vcc
	v_mov_b32_e32 v22, 0x3b800000
	v_lshlrev_b32_e32 v14, 20, v14
	v_lshl_add_u32 v20, v20, 23, v22
	v_or3_b32 v20, v21, v20, v14
.LBB47_1308:
	s_or_b64 exec, exec, s[6:7]
	s_movk_i32 s4, 0x7f
	v_cmp_gt_i16_sdwa s[6:7], v10, s4 src0_sel:BYTE_3 src1_sel:DWORD
	s_mov_b64 s[4:5], 0
                                        ; implicit-def: $sgpr10
	s_and_saveexec_b64 s[8:9], s[6:7]
	s_xor_b64 s[6:7], exec, s[8:9]
	s_cbranch_execnz .LBB47_3357
; %bb.1309:
	s_or_saveexec_b64 s[6:7], s[6:7]
	v_mov_b32_e32 v14, s10
	s_xor_b64 exec, exec, s[6:7]
	s_cbranch_execnz .LBB47_3360
.LBB47_1310:
	s_or_b64 exec, exec, s[6:7]
	s_and_saveexec_b64 s[6:7], s[4:5]
	s_cbranch_execz .LBB47_1312
.LBB47_1311:
	v_bfe_u32 v14, v10, 24, 3
	v_ffbh_u32_e32 v24, v14
	v_min_u32_e32 v24, 32, v24
	v_lshrrev_b32_e32 v22, 27, v10
	v_subrev_u32_e32 v25, 28, v24
	v_and_b32_e32 v21, 0x80000000, v10
	v_and_b32_e32 v22, 15, v22
	v_bfe_u32 v23, v10, 27, 4
	v_lshlrev_b32_sdwa v10, v25, v10 dst_sel:DWORD dst_unused:UNUSED_PAD src0_sel:DWORD src1_sel:BYTE_3
	v_sub_u32_e32 v24, 29, v24
	v_and_b32_e32 v10, 7, v10
	v_cmp_eq_u16_e32 vcc, 0, v22
	v_cndmask_b32_e32 v10, v14, v10, vcc
	v_cndmask_b32_e32 v14, v23, v24, vcc
	v_mov_b32_e32 v22, 0x3b800000
	v_lshlrev_b32_e32 v10, 20, v10
	v_lshl_add_u32 v14, v14, 23, v22
	v_or3_b32 v14, v21, v14, v10
.LBB47_1312:
	s_or_b64 exec, exec, s[6:7]
	s_nop 0
	v_mfma_f32_16x16x4f32 a[0:3], v20, v14, a[0:3]
	s_movk_i32 s4, 0x7f
	v_cmp_gt_i16_sdwa s[6:7], v15, s4 src0_sel:BYTE_0 src1_sel:DWORD
	s_mov_b64 s[4:5], 0
                                        ; implicit-def: $sgpr10
	s_and_saveexec_b64 s[8:9], s[6:7]
	s_xor_b64 s[6:7], exec, s[8:9]
	s_cbranch_execnz .LBB47_3361
; %bb.1313:
	s_or_saveexec_b64 s[6:7], s[6:7]
	v_mov_b32_e32 v10, s10
	s_xor_b64 exec, exec, s[6:7]
	s_cbranch_execnz .LBB47_3364
.LBB47_1314:
	s_or_b64 exec, exec, s[6:7]
	s_and_saveexec_b64 s[6:7], s[4:5]
	s_cbranch_execz .LBB47_1316
.LBB47_1315:
	v_and_b32_e32 v10, 7, v15
	v_ffbh_u32_e32 v20, v10
	v_min_u32_e32 v20, 32, v20
	v_lshrrev_b16_e32 v14, 3, v15
	v_subrev_u32_e32 v21, 28, v20
	v_and_b32_e32 v14, 15, v14
	v_lshlrev_b32_e32 v21, v21, v15
	v_sub_u32_e32 v20, 29, v20
	v_and_b32_e32 v21, 7, v21
	v_cmp_eq_u16_e32 vcc, 0, v14
	v_cndmask_b32_e32 v10, v10, v21, vcc
	v_cndmask_b32_e32 v14, v14, v20, vcc
	v_lshlrev_b32_e32 v20, 24, v15
	v_mov_b32_e32 v21, 0x3b800000
	v_lshlrev_b32_e32 v10, 20, v10
	v_and_b32_e32 v20, 0x80000000, v20
	v_lshl_add_u32 v14, v14, 23, v21
	v_or3_b32 v10, v20, v14, v10
.LBB47_1316:
	s_or_b64 exec, exec, s[6:7]
	s_movk_i32 s4, 0x7f
	v_cmp_gt_i16_sdwa s[6:7], v11, s4 src0_sel:BYTE_0 src1_sel:DWORD
	s_mov_b64 s[4:5], 0
                                        ; implicit-def: $sgpr10
	s_and_saveexec_b64 s[8:9], s[6:7]
	s_xor_b64 s[6:7], exec, s[8:9]
	s_cbranch_execnz .LBB47_3365
; %bb.1317:
	s_or_saveexec_b64 s[6:7], s[6:7]
	v_mov_b32_e32 v14, s10
	s_xor_b64 exec, exec, s[6:7]
	s_cbranch_execnz .LBB47_3368
.LBB47_1318:
	s_or_b64 exec, exec, s[6:7]
	s_and_saveexec_b64 s[6:7], s[4:5]
	s_cbranch_execz .LBB47_1320
.LBB47_1319:
	v_and_b32_e32 v14, 7, v11
	v_ffbh_u32_e32 v21, v14
	v_min_u32_e32 v21, 32, v21
	v_lshrrev_b16_e32 v20, 3, v11
	v_subrev_u32_e32 v22, 28, v21
	v_and_b32_e32 v20, 15, v20
	v_lshlrev_b32_e32 v22, v22, v11
	v_sub_u32_e32 v21, 29, v21
	v_and_b32_e32 v22, 7, v22
	v_cmp_eq_u16_e32 vcc, 0, v20
	v_cndmask_b32_e32 v14, v14, v22, vcc
	v_cndmask_b32_e32 v20, v20, v21, vcc
	v_lshlrev_b32_e32 v21, 24, v11
	v_mov_b32_e32 v22, 0x3b800000
	v_lshlrev_b32_e32 v14, 20, v14
	v_and_b32_e32 v21, 0x80000000, v21
	v_lshl_add_u32 v20, v20, 23, v22
	v_or3_b32 v14, v21, v20, v14
.LBB47_1320:
	s_or_b64 exec, exec, s[6:7]
	s_nop 0
	v_mfma_f32_16x16x4f32 a[0:3], v10, v14, a[0:3]
	v_lshrrev_b32_e32 v14, 8, v15
	s_movk_i32 s4, 0x7f
	v_cmp_gt_i16_sdwa s[6:7], v14, s4 src0_sel:BYTE_0 src1_sel:DWORD
	s_mov_b64 s[4:5], 0
                                        ; implicit-def: $sgpr10
	s_and_saveexec_b64 s[8:9], s[6:7]
	s_xor_b64 s[6:7], exec, s[8:9]
	s_cbranch_execnz .LBB47_3369
; %bb.1321:
	s_or_saveexec_b64 s[6:7], s[6:7]
	v_mov_b32_e32 v10, s10
	s_xor_b64 exec, exec, s[6:7]
	s_cbranch_execnz .LBB47_3372
.LBB47_1322:
	s_or_b64 exec, exec, s[6:7]
	s_and_saveexec_b64 s[6:7], s[4:5]
	s_cbranch_execz .LBB47_1324
.LBB47_1323:
	v_bfe_u32 v10, v15, 8, 3
	v_ffbh_u32_e32 v21, v10
	v_min_u32_e32 v21, 32, v21
	v_lshrrev_b16_e32 v20, 3, v14
	v_subrev_u32_e32 v22, 28, v21
	v_and_b32_e32 v20, 15, v20
	v_lshlrev_b32_e32 v14, v22, v14
	v_sub_u32_e32 v21, 29, v21
	v_and_b32_e32 v14, 7, v14
	v_cmp_eq_u16_e32 vcc, 0, v20
	v_cndmask_b32_e32 v10, v10, v14, vcc
	v_cndmask_b32_e32 v14, v20, v21, vcc
	v_lshlrev_b32_e32 v20, 16, v15
	v_mov_b32_e32 v21, 0x3b800000
	v_lshlrev_b32_e32 v10, 20, v10
	v_and_b32_e32 v20, 0x80000000, v20
	v_lshl_add_u32 v14, v14, 23, v21
	v_or3_b32 v10, v20, v14, v10
.LBB47_1324:
	s_or_b64 exec, exec, s[6:7]
	v_lshrrev_b32_e32 v14, 8, v11
	s_movk_i32 s4, 0x7f
	v_cmp_gt_i16_sdwa s[6:7], v14, s4 src0_sel:BYTE_0 src1_sel:DWORD
	s_mov_b64 s[4:5], 0
                                        ; implicit-def: $sgpr10
	s_and_saveexec_b64 s[8:9], s[6:7]
	s_xor_b64 s[6:7], exec, s[8:9]
	s_cbranch_execnz .LBB47_3373
; %bb.1325:
	s_or_saveexec_b64 s[6:7], s[6:7]
	v_mov_b32_e32 v20, s10
	s_xor_b64 exec, exec, s[6:7]
	s_cbranch_execnz .LBB47_3376
.LBB47_1326:
	s_or_b64 exec, exec, s[6:7]
	s_and_saveexec_b64 s[6:7], s[4:5]
	s_cbranch_execz .LBB47_1328
.LBB47_1327:
	v_bfe_u32 v20, v11, 8, 3
	v_ffbh_u32_e32 v22, v20
	v_min_u32_e32 v22, 32, v22
	v_lshrrev_b16_e32 v21, 3, v14
	v_subrev_u32_e32 v23, 28, v22
	v_and_b32_e32 v21, 15, v21
	v_lshlrev_b32_e32 v14, v23, v14
	v_sub_u32_e32 v22, 29, v22
	v_and_b32_e32 v14, 7, v14
	v_cmp_eq_u16_e32 vcc, 0, v21
	v_cndmask_b32_e32 v14, v20, v14, vcc
	v_cndmask_b32_e32 v20, v21, v22, vcc
	v_lshlrev_b32_e32 v21, 16, v11
	v_mov_b32_e32 v22, 0x3b800000
	v_lshlrev_b32_e32 v14, 20, v14
	v_and_b32_e32 v21, 0x80000000, v21
	v_lshl_add_u32 v20, v20, 23, v22
	v_or3_b32 v20, v21, v20, v14
.LBB47_1328:
	s_or_b64 exec, exec, s[6:7]
	s_nop 0
	v_mfma_f32_16x16x4f32 a[0:3], v10, v20, a[0:3]
	s_movk_i32 s4, 0xff
	v_and_b32_sdwa v14, v15, s4 dst_sel:DWORD dst_unused:UNUSED_PAD src0_sel:WORD_1 src1_sel:DWORD
	s_movk_i32 s4, 0x7f
	v_cmp_lt_i16_e32 vcc, s4, v14
	s_mov_b64 s[4:5], 0
                                        ; implicit-def: $sgpr10
	s_and_saveexec_b64 s[6:7], vcc
	s_xor_b64 s[6:7], exec, s[6:7]
	s_cbranch_execnz .LBB47_3377
; %bb.1329:
	s_or_saveexec_b64 s[6:7], s[6:7]
	v_mov_b32_e32 v10, s10
	s_xor_b64 exec, exec, s[6:7]
	s_cbranch_execnz .LBB47_3380
.LBB47_1330:
	s_or_b64 exec, exec, s[6:7]
	s_and_saveexec_b64 s[6:7], s[4:5]
	s_cbranch_execz .LBB47_1332
.LBB47_1331:
	v_bfe_u32 v10, v15, 16, 3
	v_ffbh_u32_e32 v21, v10
	v_min_u32_e32 v21, 32, v21
	v_lshrrev_b32_e32 v14, 19, v15
	v_subrev_u32_e32 v22, 28, v21
	v_and_b32_e32 v14, 15, v14
	v_lshlrev_b32_sdwa v22, v22, v15 dst_sel:DWORD dst_unused:UNUSED_PAD src0_sel:DWORD src1_sel:WORD_1
	v_bfe_u32 v20, v15, 19, 4
	v_sub_u32_e32 v21, 29, v21
	v_and_b32_e32 v22, 7, v22
	v_cmp_eq_u16_e32 vcc, 0, v14
	v_cndmask_b32_e32 v10, v10, v22, vcc
	v_cndmask_b32_e32 v14, v20, v21, vcc
	v_lshlrev_b32_e32 v20, 8, v15
	v_mov_b32_e32 v21, 0x3b800000
	v_lshlrev_b32_e32 v10, 20, v10
	v_and_b32_e32 v20, 0x80000000, v20
	v_lshl_add_u32 v14, v14, 23, v21
	v_or3_b32 v10, v20, v14, v10
.LBB47_1332:
	s_or_b64 exec, exec, s[6:7]
	s_movk_i32 s4, 0xff
	v_and_b32_sdwa v14, v11, s4 dst_sel:DWORD dst_unused:UNUSED_PAD src0_sel:WORD_1 src1_sel:DWORD
	s_movk_i32 s4, 0x7f
	v_cmp_lt_i16_e32 vcc, s4, v14
	s_mov_b64 s[4:5], 0
                                        ; implicit-def: $sgpr10
	s_and_saveexec_b64 s[6:7], vcc
	s_xor_b64 s[6:7], exec, s[6:7]
	s_cbranch_execnz .LBB47_3381
; %bb.1333:
	s_or_saveexec_b64 s[6:7], s[6:7]
	v_mov_b32_e32 v20, s10
	s_xor_b64 exec, exec, s[6:7]
	s_cbranch_execnz .LBB47_3384
.LBB47_1334:
	s_or_b64 exec, exec, s[6:7]
	s_and_saveexec_b64 s[6:7], s[4:5]
	s_cbranch_execz .LBB47_1336
.LBB47_1335:
	v_bfe_u32 v14, v11, 16, 3
	v_ffbh_u32_e32 v22, v14
	v_min_u32_e32 v22, 32, v22
	v_lshrrev_b32_e32 v20, 19, v11
	v_subrev_u32_e32 v23, 28, v22
	v_and_b32_e32 v20, 15, v20
	v_lshlrev_b32_sdwa v23, v23, v11 dst_sel:DWORD dst_unused:UNUSED_PAD src0_sel:DWORD src1_sel:WORD_1
	v_bfe_u32 v21, v11, 19, 4
	v_sub_u32_e32 v22, 29, v22
	v_and_b32_e32 v23, 7, v23
	v_cmp_eq_u16_e32 vcc, 0, v20
	v_cndmask_b32_e32 v14, v14, v23, vcc
	v_cndmask_b32_e32 v20, v21, v22, vcc
	v_lshlrev_b32_e32 v21, 8, v11
	v_mov_b32_e32 v22, 0x3b800000
	v_lshlrev_b32_e32 v14, 20, v14
	v_and_b32_e32 v21, 0x80000000, v21
	v_lshl_add_u32 v20, v20, 23, v22
	v_or3_b32 v20, v21, v20, v14
.LBB47_1336:
	s_or_b64 exec, exec, s[6:7]
	s_nop 0
	v_mfma_f32_16x16x4f32 a[0:3], v10, v20, a[0:3]
	s_movk_i32 s4, 0x7f
	v_cmp_gt_i16_sdwa s[6:7], v15, s4 src0_sel:BYTE_3 src1_sel:DWORD
	s_mov_b64 s[4:5], 0
                                        ; implicit-def: $sgpr10
	s_and_saveexec_b64 s[8:9], s[6:7]
	s_xor_b64 s[6:7], exec, s[8:9]
	s_cbranch_execnz .LBB47_3385
; %bb.1337:
	s_or_saveexec_b64 s[6:7], s[6:7]
	v_mov_b32_e32 v10, s10
	s_xor_b64 exec, exec, s[6:7]
	s_cbranch_execnz .LBB47_3388
.LBB47_1338:
	s_or_b64 exec, exec, s[6:7]
	s_and_saveexec_b64 s[6:7], s[4:5]
	s_cbranch_execz .LBB47_1340
.LBB47_1339:
	v_bfe_u32 v10, v15, 24, 3
	v_ffbh_u32_e32 v22, v10
	v_min_u32_e32 v22, 32, v22
	v_lshrrev_b32_e32 v20, 27, v15
	v_subrev_u32_e32 v23, 28, v22
	v_and_b32_e32 v14, 0x80000000, v15
	v_and_b32_e32 v20, 15, v20
	v_bfe_u32 v21, v15, 27, 4
	v_lshlrev_b32_sdwa v15, v23, v15 dst_sel:DWORD dst_unused:UNUSED_PAD src0_sel:DWORD src1_sel:BYTE_3
	v_sub_u32_e32 v22, 29, v22
	v_and_b32_e32 v15, 7, v15
	v_cmp_eq_u16_e32 vcc, 0, v20
	v_cndmask_b32_e32 v10, v10, v15, vcc
	v_cndmask_b32_e32 v15, v21, v22, vcc
	v_mov_b32_e32 v20, 0x3b800000
	v_lshlrev_b32_e32 v10, 20, v10
	v_lshl_add_u32 v15, v15, 23, v20
	v_or3_b32 v10, v14, v15, v10
.LBB47_1340:
	s_or_b64 exec, exec, s[6:7]
	s_movk_i32 s4, 0x7f
	v_cmp_gt_i16_sdwa s[6:7], v11, s4 src0_sel:BYTE_3 src1_sel:DWORD
	s_mov_b64 s[4:5], 0
                                        ; implicit-def: $sgpr10
	s_and_saveexec_b64 s[8:9], s[6:7]
	s_xor_b64 s[6:7], exec, s[8:9]
	s_cbranch_execnz .LBB47_3389
; %bb.1341:
	s_or_saveexec_b64 s[6:7], s[6:7]
	v_mov_b32_e32 v14, s10
	s_xor_b64 exec, exec, s[6:7]
	s_cbranch_execnz .LBB47_3392
.LBB47_1342:
	s_or_b64 exec, exec, s[6:7]
	s_and_saveexec_b64 s[6:7], s[4:5]
	s_cbranch_execz .LBB47_1344
.LBB47_1343:
	v_bfe_u32 v14, v11, 24, 3
	v_ffbh_u32_e32 v22, v14
	v_min_u32_e32 v22, 32, v22
	v_lshrrev_b32_e32 v20, 27, v11
	v_subrev_u32_e32 v23, 28, v22
	v_and_b32_e32 v15, 0x80000000, v11
	v_and_b32_e32 v20, 15, v20
	v_bfe_u32 v21, v11, 27, 4
	v_lshlrev_b32_sdwa v11, v23, v11 dst_sel:DWORD dst_unused:UNUSED_PAD src0_sel:DWORD src1_sel:BYTE_3
	v_sub_u32_e32 v22, 29, v22
	v_and_b32_e32 v11, 7, v11
	v_cmp_eq_u16_e32 vcc, 0, v20
	v_cndmask_b32_e32 v11, v14, v11, vcc
	v_cndmask_b32_e32 v14, v21, v22, vcc
	v_mov_b32_e32 v20, 0x3b800000
	v_lshlrev_b32_e32 v11, 20, v11
	v_lshl_add_u32 v14, v14, 23, v20
	v_or3_b32 v14, v15, v14, v11
.LBB47_1344:
	s_or_b64 exec, exec, s[6:7]
	s_nop 0
	v_mfma_f32_16x16x4f32 a[0:3], v10, v14, a[0:3]
	s_movk_i32 s4, 0x7f
	v_cmp_gt_i16_sdwa s[6:7], v16, s4 src0_sel:BYTE_0 src1_sel:DWORD
	s_mov_b64 s[4:5], 0
                                        ; implicit-def: $sgpr10
	s_and_saveexec_b64 s[8:9], s[6:7]
	s_xor_b64 s[6:7], exec, s[8:9]
	s_cbranch_execnz .LBB47_3393
; %bb.1345:
	s_or_saveexec_b64 s[6:7], s[6:7]
	v_mov_b32_e32 v10, s10
	s_xor_b64 exec, exec, s[6:7]
	s_cbranch_execnz .LBB47_3396
.LBB47_1346:
	s_or_b64 exec, exec, s[6:7]
	s_and_saveexec_b64 s[6:7], s[4:5]
	s_cbranch_execz .LBB47_1348
.LBB47_1347:
	v_and_b32_e32 v10, 7, v16
	v_ffbh_u32_e32 v14, v10
	v_min_u32_e32 v14, 32, v14
	v_lshrrev_b16_e32 v11, 3, v16
	v_subrev_u32_e32 v15, 28, v14
	v_and_b32_e32 v11, 15, v11
	v_lshlrev_b32_e32 v15, v15, v16
	v_sub_u32_e32 v14, 29, v14
	v_and_b32_e32 v15, 7, v15
	v_cmp_eq_u16_e32 vcc, 0, v11
	v_cndmask_b32_e32 v10, v10, v15, vcc
	v_cndmask_b32_e32 v11, v11, v14, vcc
	v_lshlrev_b32_e32 v14, 24, v16
	v_mov_b32_e32 v15, 0x3b800000
	v_lshlrev_b32_e32 v10, 20, v10
	v_and_b32_e32 v14, 0x80000000, v14
	v_lshl_add_u32 v11, v11, 23, v15
	v_or3_b32 v10, v14, v11, v10
.LBB47_1348:
	s_or_b64 exec, exec, s[6:7]
	s_movk_i32 s4, 0x7f
	v_cmp_gt_i16_sdwa s[6:7], v12, s4 src0_sel:BYTE_0 src1_sel:DWORD
	s_mov_b64 s[4:5], 0
                                        ; implicit-def: $sgpr10
	s_and_saveexec_b64 s[8:9], s[6:7]
	s_xor_b64 s[6:7], exec, s[8:9]
	s_cbranch_execnz .LBB47_3397
; %bb.1349:
	s_or_saveexec_b64 s[6:7], s[6:7]
	v_mov_b32_e32 v11, s10
	s_xor_b64 exec, exec, s[6:7]
	s_cbranch_execnz .LBB47_3400
.LBB47_1350:
	s_or_b64 exec, exec, s[6:7]
	s_and_saveexec_b64 s[6:7], s[4:5]
	s_cbranch_execz .LBB47_1352
.LBB47_1351:
	v_and_b32_e32 v11, 7, v12
	v_ffbh_u32_e32 v15, v11
	v_min_u32_e32 v15, 32, v15
	v_lshrrev_b16_e32 v14, 3, v12
	v_subrev_u32_e32 v20, 28, v15
	v_and_b32_e32 v14, 15, v14
	v_lshlrev_b32_e32 v20, v20, v12
	v_sub_u32_e32 v15, 29, v15
	v_and_b32_e32 v20, 7, v20
	v_cmp_eq_u16_e32 vcc, 0, v14
	v_cndmask_b32_e32 v11, v11, v20, vcc
	v_cndmask_b32_e32 v14, v14, v15, vcc
	v_lshlrev_b32_e32 v15, 24, v12
	v_mov_b32_e32 v20, 0x3b800000
	v_lshlrev_b32_e32 v11, 20, v11
	v_and_b32_e32 v15, 0x80000000, v15
	v_lshl_add_u32 v14, v14, 23, v20
	v_or3_b32 v11, v15, v14, v11
.LBB47_1352:
	s_or_b64 exec, exec, s[6:7]
	s_nop 0
	v_mfma_f32_16x16x4f32 a[0:3], v10, v11, a[0:3]
	v_lshrrev_b32_e32 v11, 8, v16
	s_movk_i32 s4, 0x7f
	v_cmp_gt_i16_sdwa s[6:7], v11, s4 src0_sel:BYTE_0 src1_sel:DWORD
	s_mov_b64 s[4:5], 0
                                        ; implicit-def: $sgpr10
	s_and_saveexec_b64 s[8:9], s[6:7]
	s_xor_b64 s[6:7], exec, s[8:9]
	s_cbranch_execnz .LBB47_3401
; %bb.1353:
	s_or_saveexec_b64 s[6:7], s[6:7]
	v_mov_b32_e32 v10, s10
	s_xor_b64 exec, exec, s[6:7]
	s_cbranch_execnz .LBB47_3404
.LBB47_1354:
	s_or_b64 exec, exec, s[6:7]
	s_and_saveexec_b64 s[6:7], s[4:5]
	s_cbranch_execz .LBB47_1356
.LBB47_1355:
	v_bfe_u32 v10, v16, 8, 3
	v_ffbh_u32_e32 v15, v10
	v_min_u32_e32 v15, 32, v15
	v_lshrrev_b16_e32 v14, 3, v11
	v_subrev_u32_e32 v20, 28, v15
	v_and_b32_e32 v14, 15, v14
	v_lshlrev_b32_e32 v11, v20, v11
	v_sub_u32_e32 v15, 29, v15
	v_and_b32_e32 v11, 7, v11
	v_cmp_eq_u16_e32 vcc, 0, v14
	v_cndmask_b32_e32 v10, v10, v11, vcc
	v_cndmask_b32_e32 v11, v14, v15, vcc
	v_lshlrev_b32_e32 v14, 16, v16
	v_mov_b32_e32 v15, 0x3b800000
	v_lshlrev_b32_e32 v10, 20, v10
	v_and_b32_e32 v14, 0x80000000, v14
	v_lshl_add_u32 v11, v11, 23, v15
	v_or3_b32 v10, v14, v11, v10
.LBB47_1356:
	s_or_b64 exec, exec, s[6:7]
	v_lshrrev_b32_e32 v11, 8, v12
	s_movk_i32 s4, 0x7f
	v_cmp_gt_i16_sdwa s[6:7], v11, s4 src0_sel:BYTE_0 src1_sel:DWORD
	s_mov_b64 s[4:5], 0
                                        ; implicit-def: $sgpr10
	s_and_saveexec_b64 s[8:9], s[6:7]
	s_xor_b64 s[6:7], exec, s[8:9]
	s_cbranch_execnz .LBB47_3405
; %bb.1357:
	s_or_saveexec_b64 s[6:7], s[6:7]
	v_mov_b32_e32 v14, s10
	s_xor_b64 exec, exec, s[6:7]
	s_cbranch_execnz .LBB47_3408
.LBB47_1358:
	s_or_b64 exec, exec, s[6:7]
	s_and_saveexec_b64 s[6:7], s[4:5]
	s_cbranch_execz .LBB47_1360
.LBB47_1359:
	v_bfe_u32 v14, v12, 8, 3
	v_ffbh_u32_e32 v20, v14
	v_min_u32_e32 v20, 32, v20
	v_lshrrev_b16_e32 v15, 3, v11
	v_subrev_u32_e32 v21, 28, v20
	v_and_b32_e32 v15, 15, v15
	v_lshlrev_b32_e32 v11, v21, v11
	v_sub_u32_e32 v20, 29, v20
	v_and_b32_e32 v11, 7, v11
	v_cmp_eq_u16_e32 vcc, 0, v15
	v_cndmask_b32_e32 v11, v14, v11, vcc
	v_cndmask_b32_e32 v14, v15, v20, vcc
	v_lshlrev_b32_e32 v15, 16, v12
	v_mov_b32_e32 v20, 0x3b800000
	v_lshlrev_b32_e32 v11, 20, v11
	v_and_b32_e32 v15, 0x80000000, v15
	v_lshl_add_u32 v14, v14, 23, v20
	v_or3_b32 v14, v15, v14, v11
.LBB47_1360:
	s_or_b64 exec, exec, s[6:7]
	s_nop 0
	v_mfma_f32_16x16x4f32 a[0:3], v10, v14, a[0:3]
	s_movk_i32 s4, 0xff
	v_and_b32_sdwa v11, v16, s4 dst_sel:DWORD dst_unused:UNUSED_PAD src0_sel:WORD_1 src1_sel:DWORD
	s_movk_i32 s4, 0x7f
	v_cmp_lt_i16_e32 vcc, s4, v11
	s_mov_b64 s[4:5], 0
                                        ; implicit-def: $sgpr10
	s_and_saveexec_b64 s[6:7], vcc
	s_xor_b64 s[6:7], exec, s[6:7]
	s_cbranch_execnz .LBB47_3409
; %bb.1361:
	s_or_saveexec_b64 s[6:7], s[6:7]
	v_mov_b32_e32 v10, s10
	s_xor_b64 exec, exec, s[6:7]
	s_cbranch_execnz .LBB47_3412
.LBB47_1362:
	s_or_b64 exec, exec, s[6:7]
	s_and_saveexec_b64 s[6:7], s[4:5]
	s_cbranch_execz .LBB47_1364
.LBB47_1363:
	v_bfe_u32 v10, v16, 16, 3
	v_ffbh_u32_e32 v15, v10
	v_min_u32_e32 v15, 32, v15
	v_lshrrev_b32_e32 v11, 19, v16
	v_subrev_u32_e32 v20, 28, v15
	v_and_b32_e32 v11, 15, v11
	v_lshlrev_b32_sdwa v20, v20, v16 dst_sel:DWORD dst_unused:UNUSED_PAD src0_sel:DWORD src1_sel:WORD_1
	v_bfe_u32 v14, v16, 19, 4
	v_sub_u32_e32 v15, 29, v15
	v_and_b32_e32 v20, 7, v20
	v_cmp_eq_u16_e32 vcc, 0, v11
	v_cndmask_b32_e32 v10, v10, v20, vcc
	v_cndmask_b32_e32 v11, v14, v15, vcc
	v_lshlrev_b32_e32 v14, 8, v16
	v_mov_b32_e32 v15, 0x3b800000
	v_lshlrev_b32_e32 v10, 20, v10
	v_and_b32_e32 v14, 0x80000000, v14
	v_lshl_add_u32 v11, v11, 23, v15
	v_or3_b32 v10, v14, v11, v10
.LBB47_1364:
	s_or_b64 exec, exec, s[6:7]
	s_movk_i32 s4, 0xff
	v_and_b32_sdwa v11, v12, s4 dst_sel:DWORD dst_unused:UNUSED_PAD src0_sel:WORD_1 src1_sel:DWORD
	s_movk_i32 s4, 0x7f
	v_cmp_lt_i16_e32 vcc, s4, v11
	s_mov_b64 s[4:5], 0
                                        ; implicit-def: $sgpr10
	s_and_saveexec_b64 s[6:7], vcc
	s_xor_b64 s[6:7], exec, s[6:7]
	s_cbranch_execnz .LBB47_3413
; %bb.1365:
	s_or_saveexec_b64 s[6:7], s[6:7]
	v_mov_b32_e32 v14, s10
	s_xor_b64 exec, exec, s[6:7]
	s_cbranch_execnz .LBB47_3416
.LBB47_1366:
	s_or_b64 exec, exec, s[6:7]
	s_and_saveexec_b64 s[6:7], s[4:5]
	s_cbranch_execz .LBB47_1368
.LBB47_1367:
	v_bfe_u32 v11, v12, 16, 3
	v_ffbh_u32_e32 v20, v11
	v_min_u32_e32 v20, 32, v20
	v_lshrrev_b32_e32 v14, 19, v12
	v_subrev_u32_e32 v21, 28, v20
	v_and_b32_e32 v14, 15, v14
	v_lshlrev_b32_sdwa v21, v21, v12 dst_sel:DWORD dst_unused:UNUSED_PAD src0_sel:DWORD src1_sel:WORD_1
	v_bfe_u32 v15, v12, 19, 4
	v_sub_u32_e32 v20, 29, v20
	v_and_b32_e32 v21, 7, v21
	v_cmp_eq_u16_e32 vcc, 0, v14
	v_cndmask_b32_e32 v11, v11, v21, vcc
	v_cndmask_b32_e32 v14, v15, v20, vcc
	v_lshlrev_b32_e32 v15, 8, v12
	v_mov_b32_e32 v20, 0x3b800000
	v_lshlrev_b32_e32 v11, 20, v11
	v_and_b32_e32 v15, 0x80000000, v15
	v_lshl_add_u32 v14, v14, 23, v20
	v_or3_b32 v14, v15, v14, v11
.LBB47_1368:
	s_or_b64 exec, exec, s[6:7]
	s_nop 0
	v_mfma_f32_16x16x4f32 a[0:3], v10, v14, a[0:3]
	s_movk_i32 s4, 0x7f
	v_cmp_gt_i16_sdwa s[6:7], v16, s4 src0_sel:BYTE_3 src1_sel:DWORD
	s_mov_b64 s[4:5], 0
                                        ; implicit-def: $sgpr10
	s_and_saveexec_b64 s[8:9], s[6:7]
	s_xor_b64 s[6:7], exec, s[8:9]
	s_cbranch_execnz .LBB47_3417
; %bb.1369:
	s_or_saveexec_b64 s[6:7], s[6:7]
	v_mov_b32_e32 v10, s10
	s_xor_b64 exec, exec, s[6:7]
	s_cbranch_execnz .LBB47_3420
.LBB47_1370:
	s_or_b64 exec, exec, s[6:7]
	s_and_saveexec_b64 s[6:7], s[4:5]
	s_cbranch_execz .LBB47_1372
.LBB47_1371:
	v_bfe_u32 v10, v16, 24, 3
	v_ffbh_u32_e32 v20, v10
	v_min_u32_e32 v20, 32, v20
	v_lshrrev_b32_e32 v14, 27, v16
	v_subrev_u32_e32 v21, 28, v20
	v_and_b32_e32 v11, 0x80000000, v16
	v_and_b32_e32 v14, 15, v14
	v_bfe_u32 v15, v16, 27, 4
	v_lshlrev_b32_sdwa v16, v21, v16 dst_sel:DWORD dst_unused:UNUSED_PAD src0_sel:DWORD src1_sel:BYTE_3
	v_sub_u32_e32 v20, 29, v20
	v_and_b32_e32 v16, 7, v16
	v_cmp_eq_u16_e32 vcc, 0, v14
	v_cndmask_b32_e32 v10, v10, v16, vcc
	v_cndmask_b32_e32 v14, v15, v20, vcc
	v_mov_b32_e32 v15, 0x3b800000
	v_lshlrev_b32_e32 v10, 20, v10
	v_lshl_add_u32 v14, v14, 23, v15
	v_or3_b32 v10, v11, v14, v10
.LBB47_1372:
	s_or_b64 exec, exec, s[6:7]
	s_movk_i32 s4, 0x7f
	v_cmp_gt_i16_sdwa s[6:7], v12, s4 src0_sel:BYTE_3 src1_sel:DWORD
	s_mov_b64 s[4:5], 0
                                        ; implicit-def: $sgpr10
	s_and_saveexec_b64 s[8:9], s[6:7]
	s_xor_b64 s[6:7], exec, s[8:9]
	s_cbranch_execnz .LBB47_3421
; %bb.1373:
	s_or_saveexec_b64 s[6:7], s[6:7]
	v_mov_b32_e32 v11, s10
	s_xor_b64 exec, exec, s[6:7]
	s_cbranch_execnz .LBB47_3424
.LBB47_1374:
	s_or_b64 exec, exec, s[6:7]
	s_and_saveexec_b64 s[6:7], s[4:5]
	s_cbranch_execz .LBB47_1376
.LBB47_1375:
	v_bfe_u32 v11, v12, 24, 3
	v_ffbh_u32_e32 v20, v11
	v_min_u32_e32 v20, 32, v20
	v_lshrrev_b32_e32 v15, 27, v12
	v_subrev_u32_e32 v21, 28, v20
	v_and_b32_e32 v14, 0x80000000, v12
	v_and_b32_e32 v15, 15, v15
	v_bfe_u32 v16, v12, 27, 4
	v_lshlrev_b32_sdwa v12, v21, v12 dst_sel:DWORD dst_unused:UNUSED_PAD src0_sel:DWORD src1_sel:BYTE_3
	v_sub_u32_e32 v20, 29, v20
	v_and_b32_e32 v12, 7, v12
	v_cmp_eq_u16_e32 vcc, 0, v15
	v_cndmask_b32_e32 v11, v11, v12, vcc
	v_cndmask_b32_e32 v12, v16, v20, vcc
	v_mov_b32_e32 v15, 0x3b800000
	v_lshlrev_b32_e32 v11, 20, v11
	v_lshl_add_u32 v12, v12, 23, v15
	v_or3_b32 v11, v14, v12, v11
.LBB47_1376:
	s_or_b64 exec, exec, s[6:7]
	s_nop 0
	v_mfma_f32_16x16x4f32 a[0:3], v10, v11, a[0:3]
	s_movk_i32 s4, 0x7f
	v_cmp_gt_i16_sdwa s[6:7], v17, s4 src0_sel:BYTE_0 src1_sel:DWORD
	s_mov_b64 s[4:5], 0
                                        ; implicit-def: $sgpr10
	s_and_saveexec_b64 s[8:9], s[6:7]
	s_xor_b64 s[6:7], exec, s[8:9]
	s_cbranch_execnz .LBB47_3425
; %bb.1377:
	s_or_saveexec_b64 s[6:7], s[6:7]
	v_mov_b32_e32 v10, s10
	s_xor_b64 exec, exec, s[6:7]
	s_cbranch_execnz .LBB47_3428
.LBB47_1378:
	s_or_b64 exec, exec, s[6:7]
	s_and_saveexec_b64 s[6:7], s[4:5]
	s_cbranch_execz .LBB47_1380
.LBB47_1379:
	v_and_b32_e32 v10, 7, v17
	v_ffbh_u32_e32 v12, v10
	v_min_u32_e32 v12, 32, v12
	v_lshrrev_b16_e32 v11, 3, v17
	v_subrev_u32_e32 v14, 28, v12
	v_and_b32_e32 v11, 15, v11
	v_lshlrev_b32_e32 v14, v14, v17
	v_sub_u32_e32 v12, 29, v12
	v_and_b32_e32 v14, 7, v14
	v_cmp_eq_u16_e32 vcc, 0, v11
	v_cndmask_b32_e32 v10, v10, v14, vcc
	v_cndmask_b32_e32 v11, v11, v12, vcc
	v_lshlrev_b32_e32 v12, 24, v17
	v_mov_b32_e32 v14, 0x3b800000
	v_lshlrev_b32_e32 v10, 20, v10
	v_and_b32_e32 v12, 0x80000000, v12
	v_lshl_add_u32 v11, v11, 23, v14
	v_or3_b32 v10, v12, v11, v10
.LBB47_1380:
	s_or_b64 exec, exec, s[6:7]
	s_movk_i32 s4, 0x7f
	v_cmp_gt_i16_sdwa s[6:7], v13, s4 src0_sel:BYTE_0 src1_sel:DWORD
	s_mov_b64 s[4:5], 0
                                        ; implicit-def: $sgpr10
	s_and_saveexec_b64 s[8:9], s[6:7]
	s_xor_b64 s[6:7], exec, s[8:9]
	s_cbranch_execnz .LBB47_3429
; %bb.1381:
	s_or_saveexec_b64 s[6:7], s[6:7]
	v_mov_b32_e32 v11, s10
	s_xor_b64 exec, exec, s[6:7]
	s_cbranch_execnz .LBB47_3432
.LBB47_1382:
	s_or_b64 exec, exec, s[6:7]
	s_and_saveexec_b64 s[6:7], s[4:5]
	s_cbranch_execz .LBB47_1384
.LBB47_1383:
	v_and_b32_e32 v11, 7, v13
	v_ffbh_u32_e32 v14, v11
	v_min_u32_e32 v14, 32, v14
	v_lshrrev_b16_e32 v12, 3, v13
	v_subrev_u32_e32 v15, 28, v14
	v_and_b32_e32 v12, 15, v12
	v_lshlrev_b32_e32 v15, v15, v13
	v_sub_u32_e32 v14, 29, v14
	v_and_b32_e32 v15, 7, v15
	v_cmp_eq_u16_e32 vcc, 0, v12
	v_cndmask_b32_e32 v11, v11, v15, vcc
	v_cndmask_b32_e32 v12, v12, v14, vcc
	v_lshlrev_b32_e32 v14, 24, v13
	v_mov_b32_e32 v15, 0x3b800000
	v_lshlrev_b32_e32 v11, 20, v11
	v_and_b32_e32 v14, 0x80000000, v14
	v_lshl_add_u32 v12, v12, 23, v15
	v_or3_b32 v11, v14, v12, v11
.LBB47_1384:
	s_or_b64 exec, exec, s[6:7]
	s_nop 0
	v_mfma_f32_16x16x4f32 a[0:3], v10, v11, a[0:3]
	v_lshrrev_b32_e32 v11, 8, v17
	s_movk_i32 s4, 0x7f
	v_cmp_gt_i16_sdwa s[6:7], v11, s4 src0_sel:BYTE_0 src1_sel:DWORD
	s_mov_b64 s[4:5], 0
                                        ; implicit-def: $sgpr10
	s_and_saveexec_b64 s[8:9], s[6:7]
	s_xor_b64 s[6:7], exec, s[8:9]
	s_cbranch_execnz .LBB47_3433
; %bb.1385:
	s_or_saveexec_b64 s[6:7], s[6:7]
	v_mov_b32_e32 v10, s10
	s_xor_b64 exec, exec, s[6:7]
	s_cbranch_execnz .LBB47_3436
.LBB47_1386:
	s_or_b64 exec, exec, s[6:7]
	s_and_saveexec_b64 s[6:7], s[4:5]
	s_cbranch_execz .LBB47_1388
.LBB47_1387:
	v_bfe_u32 v10, v17, 8, 3
	v_ffbh_u32_e32 v14, v10
	v_min_u32_e32 v14, 32, v14
	v_lshrrev_b16_e32 v12, 3, v11
	v_subrev_u32_e32 v15, 28, v14
	v_and_b32_e32 v12, 15, v12
	v_lshlrev_b32_e32 v11, v15, v11
	v_sub_u32_e32 v14, 29, v14
	v_and_b32_e32 v11, 7, v11
	v_cmp_eq_u16_e32 vcc, 0, v12
	v_cndmask_b32_e32 v10, v10, v11, vcc
	v_cndmask_b32_e32 v11, v12, v14, vcc
	v_lshlrev_b32_e32 v12, 16, v17
	v_mov_b32_e32 v14, 0x3b800000
	v_lshlrev_b32_e32 v10, 20, v10
	v_and_b32_e32 v12, 0x80000000, v12
	v_lshl_add_u32 v11, v11, 23, v14
	v_or3_b32 v10, v12, v11, v10
.LBB47_1388:
	s_or_b64 exec, exec, s[6:7]
	v_lshrrev_b32_e32 v11, 8, v13
	s_movk_i32 s4, 0x7f
	v_cmp_gt_i16_sdwa s[6:7], v11, s4 src0_sel:BYTE_0 src1_sel:DWORD
	s_mov_b64 s[4:5], 0
                                        ; implicit-def: $sgpr10
	s_and_saveexec_b64 s[8:9], s[6:7]
	s_xor_b64 s[6:7], exec, s[8:9]
	s_cbranch_execnz .LBB47_3437
; %bb.1389:
	s_or_saveexec_b64 s[6:7], s[6:7]
	v_mov_b32_e32 v12, s10
	s_xor_b64 exec, exec, s[6:7]
	s_cbranch_execnz .LBB47_3440
.LBB47_1390:
	s_or_b64 exec, exec, s[6:7]
	s_and_saveexec_b64 s[6:7], s[4:5]
	s_cbranch_execz .LBB47_1392
.LBB47_1391:
	v_bfe_u32 v12, v13, 8, 3
	v_ffbh_u32_e32 v15, v12
	v_min_u32_e32 v15, 32, v15
	v_lshrrev_b16_e32 v14, 3, v11
	v_subrev_u32_e32 v16, 28, v15
	v_and_b32_e32 v14, 15, v14
	v_lshlrev_b32_e32 v11, v16, v11
	v_sub_u32_e32 v15, 29, v15
	v_and_b32_e32 v11, 7, v11
	v_cmp_eq_u16_e32 vcc, 0, v14
	v_cndmask_b32_e32 v11, v12, v11, vcc
	v_cndmask_b32_e32 v12, v14, v15, vcc
	v_lshlrev_b32_e32 v14, 16, v13
	v_mov_b32_e32 v15, 0x3b800000
	v_lshlrev_b32_e32 v11, 20, v11
	v_and_b32_e32 v14, 0x80000000, v14
	v_lshl_add_u32 v12, v12, 23, v15
	v_or3_b32 v12, v14, v12, v11
.LBB47_1392:
	s_or_b64 exec, exec, s[6:7]
	s_nop 0
	v_mfma_f32_16x16x4f32 a[0:3], v10, v12, a[0:3]
	s_movk_i32 s4, 0xff
	v_and_b32_sdwa v11, v17, s4 dst_sel:DWORD dst_unused:UNUSED_PAD src0_sel:WORD_1 src1_sel:DWORD
	s_movk_i32 s4, 0x7f
	v_cmp_lt_i16_e32 vcc, s4, v11
	s_mov_b64 s[4:5], 0
                                        ; implicit-def: $sgpr10
	s_and_saveexec_b64 s[6:7], vcc
	s_xor_b64 s[6:7], exec, s[6:7]
	s_cbranch_execnz .LBB47_3441
; %bb.1393:
	s_or_saveexec_b64 s[6:7], s[6:7]
	v_mov_b32_e32 v10, s10
	s_xor_b64 exec, exec, s[6:7]
	s_cbranch_execnz .LBB47_3444
.LBB47_1394:
	s_or_b64 exec, exec, s[6:7]
	s_and_saveexec_b64 s[6:7], s[4:5]
	s_cbranch_execz .LBB47_1396
.LBB47_1395:
	v_bfe_u32 v10, v17, 16, 3
	v_ffbh_u32_e32 v14, v10
	v_min_u32_e32 v14, 32, v14
	v_lshrrev_b32_e32 v11, 19, v17
	v_subrev_u32_e32 v15, 28, v14
	v_and_b32_e32 v11, 15, v11
	v_lshlrev_b32_sdwa v15, v15, v17 dst_sel:DWORD dst_unused:UNUSED_PAD src0_sel:DWORD src1_sel:WORD_1
	v_bfe_u32 v12, v17, 19, 4
	v_sub_u32_e32 v14, 29, v14
	v_and_b32_e32 v15, 7, v15
	v_cmp_eq_u16_e32 vcc, 0, v11
	v_cndmask_b32_e32 v10, v10, v15, vcc
	v_cndmask_b32_e32 v11, v12, v14, vcc
	v_lshlrev_b32_e32 v12, 8, v17
	v_mov_b32_e32 v14, 0x3b800000
	v_lshlrev_b32_e32 v10, 20, v10
	v_and_b32_e32 v12, 0x80000000, v12
	v_lshl_add_u32 v11, v11, 23, v14
	v_or3_b32 v10, v12, v11, v10
.LBB47_1396:
	s_or_b64 exec, exec, s[6:7]
	s_movk_i32 s4, 0xff
	v_and_b32_sdwa v11, v13, s4 dst_sel:DWORD dst_unused:UNUSED_PAD src0_sel:WORD_1 src1_sel:DWORD
	s_movk_i32 s4, 0x7f
	v_cmp_lt_i16_e32 vcc, s4, v11
	s_mov_b64 s[4:5], 0
                                        ; implicit-def: $sgpr10
	s_and_saveexec_b64 s[6:7], vcc
	s_xor_b64 s[6:7], exec, s[6:7]
	s_cbranch_execnz .LBB47_3445
; %bb.1397:
	s_or_saveexec_b64 s[6:7], s[6:7]
	v_mov_b32_e32 v12, s10
	s_xor_b64 exec, exec, s[6:7]
	s_cbranch_execnz .LBB47_3448
.LBB47_1398:
	s_or_b64 exec, exec, s[6:7]
	s_and_saveexec_b64 s[6:7], s[4:5]
	s_cbranch_execz .LBB47_1400
.LBB47_1399:
	v_bfe_u32 v11, v13, 16, 3
	v_ffbh_u32_e32 v15, v11
	v_min_u32_e32 v15, 32, v15
	v_lshrrev_b32_e32 v12, 19, v13
	v_subrev_u32_e32 v16, 28, v15
	v_and_b32_e32 v12, 15, v12
	v_lshlrev_b32_sdwa v16, v16, v13 dst_sel:DWORD dst_unused:UNUSED_PAD src0_sel:DWORD src1_sel:WORD_1
	v_bfe_u32 v14, v13, 19, 4
	v_sub_u32_e32 v15, 29, v15
	v_and_b32_e32 v16, 7, v16
	v_cmp_eq_u16_e32 vcc, 0, v12
	v_cndmask_b32_e32 v11, v11, v16, vcc
	v_cndmask_b32_e32 v12, v14, v15, vcc
	v_lshlrev_b32_e32 v14, 8, v13
	v_mov_b32_e32 v15, 0x3b800000
	v_lshlrev_b32_e32 v11, 20, v11
	v_and_b32_e32 v14, 0x80000000, v14
	v_lshl_add_u32 v12, v12, 23, v15
	v_or3_b32 v12, v14, v12, v11
.LBB47_1400:
	s_or_b64 exec, exec, s[6:7]
	s_nop 0
	v_mfma_f32_16x16x4f32 a[0:3], v10, v12, a[0:3]
	s_movk_i32 s4, 0x7f
	v_cmp_gt_i16_sdwa s[6:7], v17, s4 src0_sel:BYTE_3 src1_sel:DWORD
	s_mov_b64 s[4:5], 0
                                        ; implicit-def: $sgpr10
	s_and_saveexec_b64 s[8:9], s[6:7]
	s_xor_b64 s[6:7], exec, s[8:9]
	s_cbranch_execnz .LBB47_3449
; %bb.1401:
	s_or_saveexec_b64 s[6:7], s[6:7]
	v_mov_b32_e32 v10, s10
	s_xor_b64 exec, exec, s[6:7]
	s_cbranch_execnz .LBB47_3452
.LBB47_1402:
	s_or_b64 exec, exec, s[6:7]
	s_and_saveexec_b64 s[6:7], s[4:5]
	s_cbranch_execz .LBB47_1404
.LBB47_1403:
	v_bfe_u32 v10, v17, 24, 3
	v_ffbh_u32_e32 v15, v10
	v_min_u32_e32 v15, 32, v15
	v_lshrrev_b32_e32 v12, 27, v17
	v_subrev_u32_e32 v16, 28, v15
	v_and_b32_e32 v12, 15, v12
	v_lshlrev_b32_sdwa v16, v16, v17 dst_sel:DWORD dst_unused:UNUSED_PAD src0_sel:DWORD src1_sel:BYTE_3
	v_bfe_u32 v14, v17, 27, 4
	v_sub_u32_e32 v15, 29, v15
	v_and_b32_e32 v16, 7, v16
	v_cmp_eq_u16_e32 vcc, 0, v12
	v_cndmask_b32_e32 v10, v10, v16, vcc
	v_cndmask_b32_e32 v12, v14, v15, vcc
	v_mov_b32_e32 v14, 0x3b800000
	v_and_b32_e32 v11, 0x80000000, v17
	v_lshlrev_b32_e32 v10, 20, v10
	v_lshl_add_u32 v12, v12, 23, v14
	v_or3_b32 v10, v11, v12, v10
.LBB47_1404:
	s_or_b64 exec, exec, s[6:7]
	s_movk_i32 s4, 0x7f
	v_cmp_gt_i16_sdwa s[6:7], v13, s4 src0_sel:BYTE_3 src1_sel:DWORD
	s_mov_b64 s[4:5], 0
                                        ; implicit-def: $sgpr10
	s_and_saveexec_b64 s[8:9], s[6:7]
	s_xor_b64 s[6:7], exec, s[8:9]
	s_cbranch_execnz .LBB47_3453
; %bb.1405:
	s_or_saveexec_b64 s[6:7], s[6:7]
	v_mov_b32_e32 v11, s10
	s_xor_b64 exec, exec, s[6:7]
	s_cbranch_execnz .LBB47_3456
.LBB47_1406:
	s_or_b64 exec, exec, s[6:7]
	s_and_saveexec_b64 s[6:7], s[4:5]
	s_cbranch_execz .LBB47_1408
.LBB47_1407:
	v_bfe_u32 v11, v13, 24, 3
	v_ffbh_u32_e32 v16, v11
	v_min_u32_e32 v16, 32, v16
	v_lshrrev_b32_e32 v14, 27, v13
	v_subrev_u32_e32 v17, 28, v16
	v_and_b32_e32 v12, 0x80000000, v13
	v_and_b32_e32 v14, 15, v14
	v_bfe_u32 v15, v13, 27, 4
	v_lshlrev_b32_sdwa v13, v17, v13 dst_sel:DWORD dst_unused:UNUSED_PAD src0_sel:DWORD src1_sel:BYTE_3
	v_sub_u32_e32 v16, 29, v16
	v_and_b32_e32 v13, 7, v13
	v_cmp_eq_u16_e32 vcc, 0, v14
	v_cndmask_b32_e32 v11, v11, v13, vcc
	v_cndmask_b32_e32 v13, v15, v16, vcc
	v_mov_b32_e32 v14, 0x3b800000
	v_lshlrev_b32_e32 v11, 20, v11
	v_lshl_add_u32 v13, v13, 23, v14
	v_or3_b32 v11, v12, v13, v11
.LBB47_1408:
	s_or_b64 exec, exec, s[6:7]
	s_nop 0
	v_mfma_f32_16x16x4f32 a[0:3], v10, v11, a[0:3]
	s_movk_i32 s4, 0x7f
	v_cmp_gt_i16_sdwa s[6:7], v6, s4 src0_sel:BYTE_0 src1_sel:DWORD
	s_mov_b64 s[4:5], 0
                                        ; implicit-def: $sgpr10
	s_and_saveexec_b64 s[8:9], s[6:7]
	s_xor_b64 s[6:7], exec, s[8:9]
	s_cbranch_execnz .LBB47_3457
; %bb.1409:
	s_or_saveexec_b64 s[6:7], s[6:7]
	v_mov_b32_e32 v10, s10
	s_xor_b64 exec, exec, s[6:7]
	s_cbranch_execnz .LBB47_3460
.LBB47_1410:
	s_or_b64 exec, exec, s[6:7]
	s_and_saveexec_b64 s[6:7], s[4:5]
	s_cbranch_execz .LBB47_1412
.LBB47_1411:
	v_and_b32_e32 v10, 7, v6
	v_ffbh_u32_e32 v12, v10
	v_min_u32_e32 v12, 32, v12
	v_lshrrev_b16_e32 v11, 3, v6
	v_subrev_u32_e32 v13, 28, v12
	v_and_b32_e32 v11, 15, v11
	v_lshlrev_b32_e32 v13, v13, v6
	v_sub_u32_e32 v12, 29, v12
	v_and_b32_e32 v13, 7, v13
	v_cmp_eq_u16_e32 vcc, 0, v11
	v_cndmask_b32_e32 v10, v10, v13, vcc
	v_cndmask_b32_e32 v11, v11, v12, vcc
	v_lshlrev_b32_e32 v12, 24, v6
	v_mov_b32_e32 v13, 0x3b800000
	v_lshlrev_b32_e32 v10, 20, v10
	v_and_b32_e32 v12, 0x80000000, v12
	v_lshl_add_u32 v11, v11, 23, v13
	v_or3_b32 v10, v12, v11, v10
.LBB47_1412:
	s_or_b64 exec, exec, s[6:7]
	s_movk_i32 s4, 0x7f
	v_cmp_gt_i16_sdwa s[6:7], v2, s4 src0_sel:BYTE_0 src1_sel:DWORD
	s_mov_b64 s[4:5], 0
                                        ; implicit-def: $sgpr10
	s_and_saveexec_b64 s[8:9], s[6:7]
	s_xor_b64 s[6:7], exec, s[8:9]
	s_cbranch_execnz .LBB47_3461
; %bb.1413:
	s_or_saveexec_b64 s[6:7], s[6:7]
	v_mov_b32_e32 v11, s10
	s_xor_b64 exec, exec, s[6:7]
	s_cbranch_execnz .LBB47_3464
.LBB47_1414:
	s_or_b64 exec, exec, s[6:7]
	s_and_saveexec_b64 s[6:7], s[4:5]
	s_cbranch_execz .LBB47_1416
.LBB47_1415:
	v_and_b32_e32 v11, 7, v2
	v_ffbh_u32_e32 v13, v11
	v_min_u32_e32 v13, 32, v13
	v_lshrrev_b16_e32 v12, 3, v2
	v_subrev_u32_e32 v14, 28, v13
	v_and_b32_e32 v12, 15, v12
	v_lshlrev_b32_e32 v14, v14, v2
	v_sub_u32_e32 v13, 29, v13
	v_and_b32_e32 v14, 7, v14
	v_cmp_eq_u16_e32 vcc, 0, v12
	v_cndmask_b32_e32 v11, v11, v14, vcc
	v_cndmask_b32_e32 v12, v12, v13, vcc
	v_lshlrev_b32_e32 v13, 24, v2
	v_mov_b32_e32 v14, 0x3b800000
	v_lshlrev_b32_e32 v11, 20, v11
	v_and_b32_e32 v13, 0x80000000, v13
	v_lshl_add_u32 v12, v12, 23, v14
	v_or3_b32 v11, v13, v12, v11
.LBB47_1416:
	s_or_b64 exec, exec, s[6:7]
	s_nop 0
	v_mfma_f32_16x16x4f32 a[0:3], v10, v11, a[0:3]
	v_lshrrev_b32_e32 v11, 8, v6
	s_movk_i32 s4, 0x7f
	v_cmp_gt_i16_sdwa s[6:7], v11, s4 src0_sel:BYTE_0 src1_sel:DWORD
	s_mov_b64 s[4:5], 0
                                        ; implicit-def: $sgpr10
	s_and_saveexec_b64 s[8:9], s[6:7]
	s_xor_b64 s[6:7], exec, s[8:9]
	s_cbranch_execnz .LBB47_3465
; %bb.1417:
	s_or_saveexec_b64 s[6:7], s[6:7]
	v_mov_b32_e32 v10, s10
	s_xor_b64 exec, exec, s[6:7]
	s_cbranch_execnz .LBB47_3468
.LBB47_1418:
	s_or_b64 exec, exec, s[6:7]
	s_and_saveexec_b64 s[6:7], s[4:5]
	s_cbranch_execz .LBB47_1420
.LBB47_1419:
	v_bfe_u32 v10, v6, 8, 3
	v_ffbh_u32_e32 v13, v10
	v_min_u32_e32 v13, 32, v13
	v_lshrrev_b16_e32 v12, 3, v11
	v_subrev_u32_e32 v14, 28, v13
	v_and_b32_e32 v12, 15, v12
	v_lshlrev_b32_e32 v11, v14, v11
	v_sub_u32_e32 v13, 29, v13
	v_and_b32_e32 v11, 7, v11
	v_cmp_eq_u16_e32 vcc, 0, v12
	v_cndmask_b32_e32 v10, v10, v11, vcc
	v_cndmask_b32_e32 v11, v12, v13, vcc
	v_lshlrev_b32_e32 v12, 16, v6
	v_mov_b32_e32 v13, 0x3b800000
	v_lshlrev_b32_e32 v10, 20, v10
	v_and_b32_e32 v12, 0x80000000, v12
	v_lshl_add_u32 v11, v11, 23, v13
	v_or3_b32 v10, v12, v11, v10
.LBB47_1420:
	s_or_b64 exec, exec, s[6:7]
	v_lshrrev_b32_e32 v11, 8, v2
	s_movk_i32 s4, 0x7f
	v_cmp_gt_i16_sdwa s[6:7], v11, s4 src0_sel:BYTE_0 src1_sel:DWORD
	s_mov_b64 s[4:5], 0
                                        ; implicit-def: $sgpr10
	s_and_saveexec_b64 s[8:9], s[6:7]
	s_xor_b64 s[6:7], exec, s[8:9]
	s_cbranch_execnz .LBB47_3469
; %bb.1421:
	s_or_saveexec_b64 s[6:7], s[6:7]
	v_mov_b32_e32 v12, s10
	s_xor_b64 exec, exec, s[6:7]
	s_cbranch_execnz .LBB47_3472
.LBB47_1422:
	s_or_b64 exec, exec, s[6:7]
	s_and_saveexec_b64 s[6:7], s[4:5]
	s_cbranch_execz .LBB47_1424
.LBB47_1423:
	v_bfe_u32 v12, v2, 8, 3
	v_ffbh_u32_e32 v14, v12
	v_min_u32_e32 v14, 32, v14
	v_lshrrev_b16_e32 v13, 3, v11
	v_subrev_u32_e32 v15, 28, v14
	v_and_b32_e32 v13, 15, v13
	v_lshlrev_b32_e32 v11, v15, v11
	v_sub_u32_e32 v14, 29, v14
	v_and_b32_e32 v11, 7, v11
	v_cmp_eq_u16_e32 vcc, 0, v13
	v_cndmask_b32_e32 v11, v12, v11, vcc
	v_cndmask_b32_e32 v12, v13, v14, vcc
	v_lshlrev_b32_e32 v13, 16, v2
	v_mov_b32_e32 v14, 0x3b800000
	v_lshlrev_b32_e32 v11, 20, v11
	v_and_b32_e32 v13, 0x80000000, v13
	v_lshl_add_u32 v12, v12, 23, v14
	v_or3_b32 v12, v13, v12, v11
.LBB47_1424:
	s_or_b64 exec, exec, s[6:7]
	s_nop 0
	v_mfma_f32_16x16x4f32 a[0:3], v10, v12, a[0:3]
	s_movk_i32 s4, 0xff
	v_and_b32_sdwa v11, v6, s4 dst_sel:DWORD dst_unused:UNUSED_PAD src0_sel:WORD_1 src1_sel:DWORD
	s_movk_i32 s4, 0x7f
	v_cmp_lt_i16_e32 vcc, s4, v11
	s_mov_b64 s[4:5], 0
                                        ; implicit-def: $sgpr10
	s_and_saveexec_b64 s[6:7], vcc
	s_xor_b64 s[6:7], exec, s[6:7]
	s_cbranch_execnz .LBB47_3473
; %bb.1425:
	s_or_saveexec_b64 s[6:7], s[6:7]
	v_mov_b32_e32 v10, s10
	s_xor_b64 exec, exec, s[6:7]
	s_cbranch_execnz .LBB47_3476
.LBB47_1426:
	s_or_b64 exec, exec, s[6:7]
	s_and_saveexec_b64 s[6:7], s[4:5]
	s_cbranch_execz .LBB47_1428
.LBB47_1427:
	v_bfe_u32 v10, v6, 16, 3
	v_ffbh_u32_e32 v13, v10
	v_min_u32_e32 v13, 32, v13
	v_lshrrev_b32_e32 v11, 19, v6
	v_subrev_u32_e32 v14, 28, v13
	v_and_b32_e32 v11, 15, v11
	v_lshlrev_b32_sdwa v14, v14, v6 dst_sel:DWORD dst_unused:UNUSED_PAD src0_sel:DWORD src1_sel:WORD_1
	v_bfe_u32 v12, v6, 19, 4
	v_sub_u32_e32 v13, 29, v13
	v_and_b32_e32 v14, 7, v14
	v_cmp_eq_u16_e32 vcc, 0, v11
	v_cndmask_b32_e32 v10, v10, v14, vcc
	v_cndmask_b32_e32 v11, v12, v13, vcc
	v_lshlrev_b32_e32 v12, 8, v6
	v_mov_b32_e32 v13, 0x3b800000
	v_lshlrev_b32_e32 v10, 20, v10
	v_and_b32_e32 v12, 0x80000000, v12
	v_lshl_add_u32 v11, v11, 23, v13
	v_or3_b32 v10, v12, v11, v10
.LBB47_1428:
	s_or_b64 exec, exec, s[6:7]
	s_movk_i32 s4, 0xff
	v_and_b32_sdwa v11, v2, s4 dst_sel:DWORD dst_unused:UNUSED_PAD src0_sel:WORD_1 src1_sel:DWORD
	s_movk_i32 s4, 0x7f
	v_cmp_lt_i16_e32 vcc, s4, v11
	s_mov_b64 s[4:5], 0
                                        ; implicit-def: $sgpr10
	s_and_saveexec_b64 s[6:7], vcc
	s_xor_b64 s[6:7], exec, s[6:7]
	s_cbranch_execnz .LBB47_3477
; %bb.1429:
	s_or_saveexec_b64 s[6:7], s[6:7]
	v_mov_b32_e32 v12, s10
	s_xor_b64 exec, exec, s[6:7]
	s_cbranch_execnz .LBB47_3480
.LBB47_1430:
	s_or_b64 exec, exec, s[6:7]
	s_and_saveexec_b64 s[6:7], s[4:5]
	s_cbranch_execz .LBB47_1432
.LBB47_1431:
	v_bfe_u32 v11, v2, 16, 3
	v_ffbh_u32_e32 v14, v11
	v_min_u32_e32 v14, 32, v14
	v_lshrrev_b32_e32 v12, 19, v2
	v_subrev_u32_e32 v15, 28, v14
	v_and_b32_e32 v12, 15, v12
	v_lshlrev_b32_sdwa v15, v15, v2 dst_sel:DWORD dst_unused:UNUSED_PAD src0_sel:DWORD src1_sel:WORD_1
	v_bfe_u32 v13, v2, 19, 4
	v_sub_u32_e32 v14, 29, v14
	v_and_b32_e32 v15, 7, v15
	v_cmp_eq_u16_e32 vcc, 0, v12
	v_cndmask_b32_e32 v11, v11, v15, vcc
	v_cndmask_b32_e32 v12, v13, v14, vcc
	v_lshlrev_b32_e32 v13, 8, v2
	v_mov_b32_e32 v14, 0x3b800000
	v_lshlrev_b32_e32 v11, 20, v11
	v_and_b32_e32 v13, 0x80000000, v13
	v_lshl_add_u32 v12, v12, 23, v14
	v_or3_b32 v12, v13, v12, v11
.LBB47_1432:
	s_or_b64 exec, exec, s[6:7]
	s_nop 0
	v_mfma_f32_16x16x4f32 a[0:3], v10, v12, a[0:3]
	s_movk_i32 s4, 0x7f
	v_cmp_gt_i16_sdwa s[6:7], v6, s4 src0_sel:BYTE_3 src1_sel:DWORD
	s_mov_b64 s[4:5], 0
                                        ; implicit-def: $sgpr10
	s_and_saveexec_b64 s[8:9], s[6:7]
	s_xor_b64 s[6:7], exec, s[8:9]
	s_cbranch_execnz .LBB47_3481
; %bb.1433:
	s_or_saveexec_b64 s[6:7], s[6:7]
	v_mov_b32_e32 v10, s10
	s_xor_b64 exec, exec, s[6:7]
	s_cbranch_execnz .LBB47_3484
.LBB47_1434:
	s_or_b64 exec, exec, s[6:7]
	s_and_saveexec_b64 s[6:7], s[4:5]
	s_cbranch_execz .LBB47_1436
.LBB47_1435:
	v_bfe_u32 v10, v6, 24, 3
	v_ffbh_u32_e32 v14, v10
	v_min_u32_e32 v14, 32, v14
	v_lshrrev_b32_e32 v12, 27, v6
	v_subrev_u32_e32 v15, 28, v14
	v_and_b32_e32 v11, 0x80000000, v6
	v_and_b32_e32 v12, 15, v12
	v_bfe_u32 v13, v6, 27, 4
	v_lshlrev_b32_sdwa v6, v15, v6 dst_sel:DWORD dst_unused:UNUSED_PAD src0_sel:DWORD src1_sel:BYTE_3
	v_sub_u32_e32 v14, 29, v14
	v_and_b32_e32 v6, 7, v6
	v_cmp_eq_u16_e32 vcc, 0, v12
	v_cndmask_b32_e32 v6, v10, v6, vcc
	v_cndmask_b32_e32 v10, v13, v14, vcc
	v_mov_b32_e32 v12, 0x3b800000
	v_lshlrev_b32_e32 v6, 20, v6
	v_lshl_add_u32 v10, v10, 23, v12
	v_or3_b32 v10, v11, v10, v6
.LBB47_1436:
	s_or_b64 exec, exec, s[6:7]
	s_movk_i32 s4, 0x7f
	v_cmp_gt_i16_sdwa s[6:7], v2, s4 src0_sel:BYTE_3 src1_sel:DWORD
	s_mov_b64 s[4:5], 0
                                        ; implicit-def: $sgpr10
	s_and_saveexec_b64 s[8:9], s[6:7]
	s_xor_b64 s[6:7], exec, s[8:9]
	s_cbranch_execnz .LBB47_3485
; %bb.1437:
	s_or_saveexec_b64 s[6:7], s[6:7]
	v_mov_b32_e32 v6, s10
	s_xor_b64 exec, exec, s[6:7]
	s_cbranch_execnz .LBB47_3488
.LBB47_1438:
	s_or_b64 exec, exec, s[6:7]
	s_and_saveexec_b64 s[6:7], s[4:5]
	s_cbranch_execz .LBB47_1440
.LBB47_1439:
	v_bfe_u32 v6, v2, 24, 3
	v_ffbh_u32_e32 v14, v6
	v_min_u32_e32 v14, 32, v14
	v_lshrrev_b32_e32 v12, 27, v2
	v_subrev_u32_e32 v15, 28, v14
	v_and_b32_e32 v11, 0x80000000, v2
	v_and_b32_e32 v12, 15, v12
	v_bfe_u32 v13, v2, 27, 4
	v_lshlrev_b32_sdwa v2, v15, v2 dst_sel:DWORD dst_unused:UNUSED_PAD src0_sel:DWORD src1_sel:BYTE_3
	v_sub_u32_e32 v14, 29, v14
	v_and_b32_e32 v2, 7, v2
	v_cmp_eq_u16_e32 vcc, 0, v12
	v_cndmask_b32_e32 v2, v6, v2, vcc
	v_cndmask_b32_e32 v6, v13, v14, vcc
	v_mov_b32_e32 v12, 0x3b800000
	v_lshlrev_b32_e32 v2, 20, v2
	v_lshl_add_u32 v6, v6, 23, v12
	v_or3_b32 v6, v11, v6, v2
.LBB47_1440:
	s_or_b64 exec, exec, s[6:7]
	s_nop 0
	v_mfma_f32_16x16x4f32 a[0:3], v10, v6, a[0:3]
	s_movk_i32 s4, 0x7f
	v_cmp_gt_i16_sdwa s[6:7], v7, s4 src0_sel:BYTE_0 src1_sel:DWORD
	s_mov_b64 s[4:5], 0
                                        ; implicit-def: $sgpr10
	s_and_saveexec_b64 s[8:9], s[6:7]
	s_xor_b64 s[6:7], exec, s[8:9]
	s_cbranch_execnz .LBB47_3489
; %bb.1441:
	s_or_saveexec_b64 s[6:7], s[6:7]
	v_mov_b32_e32 v2, s10
	s_xor_b64 exec, exec, s[6:7]
	s_cbranch_execnz .LBB47_3492
.LBB47_1442:
	s_or_b64 exec, exec, s[6:7]
	s_and_saveexec_b64 s[6:7], s[4:5]
	s_cbranch_execz .LBB47_1444
.LBB47_1443:
	v_and_b32_e32 v2, 7, v7
	v_ffbh_u32_e32 v10, v2
	v_min_u32_e32 v10, 32, v10
	v_lshrrev_b16_e32 v6, 3, v7
	v_subrev_u32_e32 v11, 28, v10
	v_and_b32_e32 v6, 15, v6
	v_lshlrev_b32_e32 v11, v11, v7
	v_sub_u32_e32 v10, 29, v10
	v_and_b32_e32 v11, 7, v11
	v_cmp_eq_u16_e32 vcc, 0, v6
	v_cndmask_b32_e32 v2, v2, v11, vcc
	v_cndmask_b32_e32 v6, v6, v10, vcc
	v_lshlrev_b32_e32 v10, 24, v7
	v_mov_b32_e32 v11, 0x3b800000
	v_lshlrev_b32_e32 v2, 20, v2
	v_and_b32_e32 v10, 0x80000000, v10
	v_lshl_add_u32 v6, v6, 23, v11
	v_or3_b32 v2, v10, v6, v2
.LBB47_1444:
	s_or_b64 exec, exec, s[6:7]
	s_movk_i32 s4, 0x7f
	v_cmp_gt_i16_sdwa s[6:7], v3, s4 src0_sel:BYTE_0 src1_sel:DWORD
	s_mov_b64 s[4:5], 0
                                        ; implicit-def: $sgpr10
	s_and_saveexec_b64 s[8:9], s[6:7]
	s_xor_b64 s[6:7], exec, s[8:9]
	s_cbranch_execnz .LBB47_3493
; %bb.1445:
	s_or_saveexec_b64 s[6:7], s[6:7]
	v_mov_b32_e32 v6, s10
	s_xor_b64 exec, exec, s[6:7]
	s_cbranch_execnz .LBB47_3496
.LBB47_1446:
	s_or_b64 exec, exec, s[6:7]
	s_and_saveexec_b64 s[6:7], s[4:5]
	s_cbranch_execz .LBB47_1448
.LBB47_1447:
	v_and_b32_e32 v6, 7, v3
	v_ffbh_u32_e32 v11, v6
	v_min_u32_e32 v11, 32, v11
	v_lshrrev_b16_e32 v10, 3, v3
	v_subrev_u32_e32 v12, 28, v11
	v_and_b32_e32 v10, 15, v10
	v_lshlrev_b32_e32 v12, v12, v3
	v_sub_u32_e32 v11, 29, v11
	v_and_b32_e32 v12, 7, v12
	v_cmp_eq_u16_e32 vcc, 0, v10
	v_cndmask_b32_e32 v6, v6, v12, vcc
	v_cndmask_b32_e32 v10, v10, v11, vcc
	v_lshlrev_b32_e32 v11, 24, v3
	v_mov_b32_e32 v12, 0x3b800000
	v_lshlrev_b32_e32 v6, 20, v6
	v_and_b32_e32 v11, 0x80000000, v11
	v_lshl_add_u32 v10, v10, 23, v12
	v_or3_b32 v6, v11, v10, v6
.LBB47_1448:
	s_or_b64 exec, exec, s[6:7]
	s_nop 0
	v_mfma_f32_16x16x4f32 a[0:3], v2, v6, a[0:3]
	v_lshrrev_b32_e32 v6, 8, v7
	s_movk_i32 s4, 0x7f
	v_cmp_gt_i16_sdwa s[6:7], v6, s4 src0_sel:BYTE_0 src1_sel:DWORD
	s_mov_b64 s[4:5], 0
                                        ; implicit-def: $sgpr10
	s_and_saveexec_b64 s[8:9], s[6:7]
	s_xor_b64 s[6:7], exec, s[8:9]
	s_cbranch_execnz .LBB47_3497
; %bb.1449:
	s_or_saveexec_b64 s[6:7], s[6:7]
	v_mov_b32_e32 v2, s10
	s_xor_b64 exec, exec, s[6:7]
	s_cbranch_execnz .LBB47_3500
.LBB47_1450:
	s_or_b64 exec, exec, s[6:7]
	s_and_saveexec_b64 s[6:7], s[4:5]
	s_cbranch_execz .LBB47_1452
.LBB47_1451:
	v_bfe_u32 v2, v7, 8, 3
	v_ffbh_u32_e32 v11, v2
	v_min_u32_e32 v11, 32, v11
	v_lshrrev_b16_e32 v10, 3, v6
	v_subrev_u32_e32 v12, 28, v11
	v_and_b32_e32 v10, 15, v10
	v_lshlrev_b32_e32 v6, v12, v6
	v_sub_u32_e32 v11, 29, v11
	v_and_b32_e32 v6, 7, v6
	v_cmp_eq_u16_e32 vcc, 0, v10
	v_cndmask_b32_e32 v2, v2, v6, vcc
	v_cndmask_b32_e32 v6, v10, v11, vcc
	v_lshlrev_b32_e32 v10, 16, v7
	v_mov_b32_e32 v11, 0x3b800000
	v_lshlrev_b32_e32 v2, 20, v2
	v_and_b32_e32 v10, 0x80000000, v10
	v_lshl_add_u32 v6, v6, 23, v11
	v_or3_b32 v2, v10, v6, v2
.LBB47_1452:
	s_or_b64 exec, exec, s[6:7]
	v_lshrrev_b32_e32 v6, 8, v3
	s_movk_i32 s4, 0x7f
	v_cmp_gt_i16_sdwa s[6:7], v6, s4 src0_sel:BYTE_0 src1_sel:DWORD
	s_mov_b64 s[4:5], 0
                                        ; implicit-def: $sgpr10
	s_and_saveexec_b64 s[8:9], s[6:7]
	s_xor_b64 s[6:7], exec, s[8:9]
	s_cbranch_execnz .LBB47_3501
; %bb.1453:
	s_or_saveexec_b64 s[6:7], s[6:7]
	v_mov_b32_e32 v10, s10
	s_xor_b64 exec, exec, s[6:7]
	s_cbranch_execnz .LBB47_3504
.LBB47_1454:
	s_or_b64 exec, exec, s[6:7]
	s_and_saveexec_b64 s[6:7], s[4:5]
	s_cbranch_execz .LBB47_1456
.LBB47_1455:
	v_bfe_u32 v10, v3, 8, 3
	v_ffbh_u32_e32 v12, v10
	v_min_u32_e32 v12, 32, v12
	v_lshrrev_b16_e32 v11, 3, v6
	v_subrev_u32_e32 v13, 28, v12
	v_and_b32_e32 v11, 15, v11
	v_lshlrev_b32_e32 v6, v13, v6
	v_sub_u32_e32 v12, 29, v12
	v_and_b32_e32 v6, 7, v6
	v_cmp_eq_u16_e32 vcc, 0, v11
	v_cndmask_b32_e32 v6, v10, v6, vcc
	v_cndmask_b32_e32 v10, v11, v12, vcc
	v_lshlrev_b32_e32 v11, 16, v3
	v_mov_b32_e32 v12, 0x3b800000
	v_lshlrev_b32_e32 v6, 20, v6
	v_and_b32_e32 v11, 0x80000000, v11
	v_lshl_add_u32 v10, v10, 23, v12
	v_or3_b32 v10, v11, v10, v6
.LBB47_1456:
	s_or_b64 exec, exec, s[6:7]
	s_nop 0
	v_mfma_f32_16x16x4f32 a[0:3], v2, v10, a[0:3]
	s_movk_i32 s4, 0xff
	v_and_b32_sdwa v6, v7, s4 dst_sel:DWORD dst_unused:UNUSED_PAD src0_sel:WORD_1 src1_sel:DWORD
	s_movk_i32 s4, 0x7f
	v_cmp_lt_i16_e32 vcc, s4, v6
	s_mov_b64 s[4:5], 0
                                        ; implicit-def: $sgpr10
	s_and_saveexec_b64 s[6:7], vcc
	s_xor_b64 s[6:7], exec, s[6:7]
	s_cbranch_execnz .LBB47_3505
; %bb.1457:
	s_or_saveexec_b64 s[6:7], s[6:7]
	v_mov_b32_e32 v2, s10
	s_xor_b64 exec, exec, s[6:7]
	s_cbranch_execnz .LBB47_3508
.LBB47_1458:
	s_or_b64 exec, exec, s[6:7]
	s_and_saveexec_b64 s[6:7], s[4:5]
	s_cbranch_execz .LBB47_1460
.LBB47_1459:
	v_bfe_u32 v2, v7, 16, 3
	v_ffbh_u32_e32 v11, v2
	v_min_u32_e32 v11, 32, v11
	v_lshrrev_b32_e32 v6, 19, v7
	v_subrev_u32_e32 v12, 28, v11
	v_and_b32_e32 v6, 15, v6
	v_lshlrev_b32_sdwa v12, v12, v7 dst_sel:DWORD dst_unused:UNUSED_PAD src0_sel:DWORD src1_sel:WORD_1
	v_bfe_u32 v10, v7, 19, 4
	v_sub_u32_e32 v11, 29, v11
	v_and_b32_e32 v12, 7, v12
	v_cmp_eq_u16_e32 vcc, 0, v6
	v_cndmask_b32_e32 v2, v2, v12, vcc
	v_cndmask_b32_e32 v6, v10, v11, vcc
	v_lshlrev_b32_e32 v10, 8, v7
	v_mov_b32_e32 v11, 0x3b800000
	v_lshlrev_b32_e32 v2, 20, v2
	v_and_b32_e32 v10, 0x80000000, v10
	v_lshl_add_u32 v6, v6, 23, v11
	v_or3_b32 v2, v10, v6, v2
.LBB47_1460:
	s_or_b64 exec, exec, s[6:7]
	s_movk_i32 s4, 0xff
	v_and_b32_sdwa v6, v3, s4 dst_sel:DWORD dst_unused:UNUSED_PAD src0_sel:WORD_1 src1_sel:DWORD
	s_movk_i32 s4, 0x7f
	v_cmp_lt_i16_e32 vcc, s4, v6
	s_mov_b64 s[4:5], 0
                                        ; implicit-def: $sgpr10
	s_and_saveexec_b64 s[6:7], vcc
	s_xor_b64 s[6:7], exec, s[6:7]
	s_cbranch_execnz .LBB47_3509
; %bb.1461:
	s_or_saveexec_b64 s[6:7], s[6:7]
	v_mov_b32_e32 v10, s10
	s_xor_b64 exec, exec, s[6:7]
	s_cbranch_execnz .LBB47_3512
.LBB47_1462:
	s_or_b64 exec, exec, s[6:7]
	s_and_saveexec_b64 s[6:7], s[4:5]
	s_cbranch_execz .LBB47_1464
.LBB47_1463:
	v_bfe_u32 v6, v3, 16, 3
	v_ffbh_u32_e32 v12, v6
	v_min_u32_e32 v12, 32, v12
	v_lshrrev_b32_e32 v10, 19, v3
	v_subrev_u32_e32 v13, 28, v12
	v_and_b32_e32 v10, 15, v10
	v_lshlrev_b32_sdwa v13, v13, v3 dst_sel:DWORD dst_unused:UNUSED_PAD src0_sel:DWORD src1_sel:WORD_1
	v_bfe_u32 v11, v3, 19, 4
	v_sub_u32_e32 v12, 29, v12
	v_and_b32_e32 v13, 7, v13
	v_cmp_eq_u16_e32 vcc, 0, v10
	v_cndmask_b32_e32 v6, v6, v13, vcc
	v_cndmask_b32_e32 v10, v11, v12, vcc
	v_lshlrev_b32_e32 v11, 8, v3
	v_mov_b32_e32 v12, 0x3b800000
	v_lshlrev_b32_e32 v6, 20, v6
	v_and_b32_e32 v11, 0x80000000, v11
	v_lshl_add_u32 v10, v10, 23, v12
	v_or3_b32 v10, v11, v10, v6
.LBB47_1464:
	s_or_b64 exec, exec, s[6:7]
	s_nop 0
	v_mfma_f32_16x16x4f32 a[0:3], v2, v10, a[0:3]
	s_movk_i32 s4, 0x7f
	v_cmp_gt_i16_sdwa s[6:7], v7, s4 src0_sel:BYTE_3 src1_sel:DWORD
	s_mov_b64 s[4:5], 0
                                        ; implicit-def: $sgpr10
	s_and_saveexec_b64 s[8:9], s[6:7]
	s_xor_b64 s[6:7], exec, s[8:9]
	s_cbranch_execnz .LBB47_3513
; %bb.1465:
	s_or_saveexec_b64 s[6:7], s[6:7]
	v_mov_b32_e32 v2, s10
	s_xor_b64 exec, exec, s[6:7]
	s_cbranch_execnz .LBB47_3516
.LBB47_1466:
	s_or_b64 exec, exec, s[6:7]
	s_and_saveexec_b64 s[6:7], s[4:5]
	s_cbranch_execz .LBB47_1468
.LBB47_1467:
	v_bfe_u32 v2, v7, 24, 3
	v_ffbh_u32_e32 v12, v2
	v_min_u32_e32 v12, 32, v12
	v_lshrrev_b32_e32 v10, 27, v7
	v_subrev_u32_e32 v13, 28, v12
	v_and_b32_e32 v6, 0x80000000, v7
	v_and_b32_e32 v10, 15, v10
	v_bfe_u32 v11, v7, 27, 4
	v_lshlrev_b32_sdwa v7, v13, v7 dst_sel:DWORD dst_unused:UNUSED_PAD src0_sel:DWORD src1_sel:BYTE_3
	v_sub_u32_e32 v12, 29, v12
	v_and_b32_e32 v7, 7, v7
	v_cmp_eq_u16_e32 vcc, 0, v10
	v_cndmask_b32_e32 v2, v2, v7, vcc
	v_cndmask_b32_e32 v7, v11, v12, vcc
	v_mov_b32_e32 v10, 0x3b800000
	v_lshlrev_b32_e32 v2, 20, v2
	v_lshl_add_u32 v7, v7, 23, v10
	v_or3_b32 v2, v6, v7, v2
.LBB47_1468:
	s_or_b64 exec, exec, s[6:7]
	s_movk_i32 s4, 0x7f
	v_cmp_gt_i16_sdwa s[6:7], v3, s4 src0_sel:BYTE_3 src1_sel:DWORD
	s_mov_b64 s[4:5], 0
                                        ; implicit-def: $sgpr10
	s_and_saveexec_b64 s[8:9], s[6:7]
	s_xor_b64 s[6:7], exec, s[8:9]
	s_cbranch_execnz .LBB47_3517
; %bb.1469:
	s_or_saveexec_b64 s[6:7], s[6:7]
	v_mov_b32_e32 v6, s10
	s_xor_b64 exec, exec, s[6:7]
	s_cbranch_execnz .LBB47_3520
.LBB47_1470:
	s_or_b64 exec, exec, s[6:7]
	s_and_saveexec_b64 s[6:7], s[4:5]
	s_cbranch_execz .LBB47_1472
.LBB47_1471:
	v_bfe_u32 v6, v3, 24, 3
	v_ffbh_u32_e32 v12, v6
	v_min_u32_e32 v12, 32, v12
	v_lshrrev_b32_e32 v10, 27, v3
	v_subrev_u32_e32 v13, 28, v12
	v_and_b32_e32 v7, 0x80000000, v3
	v_and_b32_e32 v10, 15, v10
	v_bfe_u32 v11, v3, 27, 4
	v_lshlrev_b32_sdwa v3, v13, v3 dst_sel:DWORD dst_unused:UNUSED_PAD src0_sel:DWORD src1_sel:BYTE_3
	v_sub_u32_e32 v12, 29, v12
	v_and_b32_e32 v3, 7, v3
	v_cmp_eq_u16_e32 vcc, 0, v10
	v_cndmask_b32_e32 v3, v6, v3, vcc
	v_cndmask_b32_e32 v6, v11, v12, vcc
	v_mov_b32_e32 v10, 0x3b800000
	v_lshlrev_b32_e32 v3, 20, v3
	v_lshl_add_u32 v6, v6, 23, v10
	v_or3_b32 v6, v7, v6, v3
.LBB47_1472:
	s_or_b64 exec, exec, s[6:7]
	s_nop 0
	v_mfma_f32_16x16x4f32 a[0:3], v2, v6, a[0:3]
	s_movk_i32 s4, 0x7f
	v_cmp_gt_i16_sdwa s[6:7], v8, s4 src0_sel:BYTE_0 src1_sel:DWORD
	s_mov_b64 s[4:5], 0
                                        ; implicit-def: $sgpr10
	s_and_saveexec_b64 s[8:9], s[6:7]
	s_xor_b64 s[6:7], exec, s[8:9]
	s_cbranch_execnz .LBB47_3521
; %bb.1473:
	s_or_saveexec_b64 s[6:7], s[6:7]
	v_mov_b32_e32 v2, s10
	s_xor_b64 exec, exec, s[6:7]
	s_cbranch_execnz .LBB47_3524
.LBB47_1474:
	s_or_b64 exec, exec, s[6:7]
	s_and_saveexec_b64 s[6:7], s[4:5]
	s_cbranch_execz .LBB47_1476
.LBB47_1475:
	v_and_b32_e32 v2, 7, v8
	v_ffbh_u32_e32 v6, v2
	v_min_u32_e32 v6, 32, v6
	v_lshrrev_b16_e32 v3, 3, v8
	v_subrev_u32_e32 v7, 28, v6
	v_and_b32_e32 v3, 15, v3
	v_lshlrev_b32_e32 v7, v7, v8
	v_sub_u32_e32 v6, 29, v6
	v_and_b32_e32 v7, 7, v7
	v_cmp_eq_u16_e32 vcc, 0, v3
	v_cndmask_b32_e32 v2, v2, v7, vcc
	v_cndmask_b32_e32 v3, v3, v6, vcc
	v_lshlrev_b32_e32 v6, 24, v8
	v_mov_b32_e32 v7, 0x3b800000
	v_lshlrev_b32_e32 v2, 20, v2
	v_and_b32_e32 v6, 0x80000000, v6
	v_lshl_add_u32 v3, v3, 23, v7
	v_or3_b32 v2, v6, v3, v2
.LBB47_1476:
	s_or_b64 exec, exec, s[6:7]
	s_movk_i32 s4, 0x7f
	v_cmp_gt_i16_sdwa s[6:7], v4, s4 src0_sel:BYTE_0 src1_sel:DWORD
	s_mov_b64 s[4:5], 0
                                        ; implicit-def: $sgpr10
	s_and_saveexec_b64 s[8:9], s[6:7]
	s_xor_b64 s[6:7], exec, s[8:9]
	s_cbranch_execnz .LBB47_3525
; %bb.1477:
	s_or_saveexec_b64 s[6:7], s[6:7]
	v_mov_b32_e32 v3, s10
	s_xor_b64 exec, exec, s[6:7]
	s_cbranch_execnz .LBB47_3528
.LBB47_1478:
	s_or_b64 exec, exec, s[6:7]
	s_and_saveexec_b64 s[6:7], s[4:5]
	s_cbranch_execz .LBB47_1480
.LBB47_1479:
	v_and_b32_e32 v3, 7, v4
	v_ffbh_u32_e32 v7, v3
	v_min_u32_e32 v7, 32, v7
	v_lshrrev_b16_e32 v6, 3, v4
	v_subrev_u32_e32 v10, 28, v7
	v_and_b32_e32 v6, 15, v6
	v_lshlrev_b32_e32 v10, v10, v4
	v_sub_u32_e32 v7, 29, v7
	v_and_b32_e32 v10, 7, v10
	v_cmp_eq_u16_e32 vcc, 0, v6
	v_cndmask_b32_e32 v3, v3, v10, vcc
	v_cndmask_b32_e32 v6, v6, v7, vcc
	v_lshlrev_b32_e32 v7, 24, v4
	v_mov_b32_e32 v10, 0x3b800000
	v_lshlrev_b32_e32 v3, 20, v3
	v_and_b32_e32 v7, 0x80000000, v7
	v_lshl_add_u32 v6, v6, 23, v10
	v_or3_b32 v3, v7, v6, v3
.LBB47_1480:
	s_or_b64 exec, exec, s[6:7]
	s_nop 0
	v_mfma_f32_16x16x4f32 a[0:3], v2, v3, a[0:3]
	v_lshrrev_b32_e32 v3, 8, v8
	s_movk_i32 s4, 0x7f
	v_cmp_gt_i16_sdwa s[6:7], v3, s4 src0_sel:BYTE_0 src1_sel:DWORD
	s_mov_b64 s[4:5], 0
                                        ; implicit-def: $sgpr10
	s_and_saveexec_b64 s[8:9], s[6:7]
	s_xor_b64 s[6:7], exec, s[8:9]
	s_cbranch_execnz .LBB47_3529
; %bb.1481:
	s_or_saveexec_b64 s[6:7], s[6:7]
	v_mov_b32_e32 v2, s10
	s_xor_b64 exec, exec, s[6:7]
	s_cbranch_execnz .LBB47_3532
.LBB47_1482:
	s_or_b64 exec, exec, s[6:7]
	s_and_saveexec_b64 s[6:7], s[4:5]
	s_cbranch_execz .LBB47_1484
.LBB47_1483:
	v_bfe_u32 v2, v8, 8, 3
	v_ffbh_u32_e32 v7, v2
	v_min_u32_e32 v7, 32, v7
	v_lshrrev_b16_e32 v6, 3, v3
	v_subrev_u32_e32 v10, 28, v7
	v_and_b32_e32 v6, 15, v6
	v_lshlrev_b32_e32 v3, v10, v3
	v_sub_u32_e32 v7, 29, v7
	v_and_b32_e32 v3, 7, v3
	v_cmp_eq_u16_e32 vcc, 0, v6
	v_cndmask_b32_e32 v2, v2, v3, vcc
	v_cndmask_b32_e32 v3, v6, v7, vcc
	v_lshlrev_b32_e32 v6, 16, v8
	v_mov_b32_e32 v7, 0x3b800000
	v_lshlrev_b32_e32 v2, 20, v2
	v_and_b32_e32 v6, 0x80000000, v6
	v_lshl_add_u32 v3, v3, 23, v7
	v_or3_b32 v2, v6, v3, v2
.LBB47_1484:
	s_or_b64 exec, exec, s[6:7]
	v_lshrrev_b32_e32 v3, 8, v4
	s_movk_i32 s4, 0x7f
	v_cmp_gt_i16_sdwa s[6:7], v3, s4 src0_sel:BYTE_0 src1_sel:DWORD
	s_mov_b64 s[4:5], 0
                                        ; implicit-def: $sgpr10
	s_and_saveexec_b64 s[8:9], s[6:7]
	s_xor_b64 s[6:7], exec, s[8:9]
	s_cbranch_execnz .LBB47_3533
; %bb.1485:
	s_or_saveexec_b64 s[6:7], s[6:7]
	v_mov_b32_e32 v6, s10
	s_xor_b64 exec, exec, s[6:7]
	s_cbranch_execnz .LBB47_3536
.LBB47_1486:
	s_or_b64 exec, exec, s[6:7]
	s_and_saveexec_b64 s[6:7], s[4:5]
	s_cbranch_execz .LBB47_1488
.LBB47_1487:
	v_bfe_u32 v6, v4, 8, 3
	v_ffbh_u32_e32 v10, v6
	v_min_u32_e32 v10, 32, v10
	v_lshrrev_b16_e32 v7, 3, v3
	v_subrev_u32_e32 v11, 28, v10
	v_and_b32_e32 v7, 15, v7
	v_lshlrev_b32_e32 v3, v11, v3
	v_sub_u32_e32 v10, 29, v10
	v_and_b32_e32 v3, 7, v3
	v_cmp_eq_u16_e32 vcc, 0, v7
	v_cndmask_b32_e32 v3, v6, v3, vcc
	v_cndmask_b32_e32 v6, v7, v10, vcc
	v_lshlrev_b32_e32 v7, 16, v4
	v_mov_b32_e32 v10, 0x3b800000
	v_lshlrev_b32_e32 v3, 20, v3
	v_and_b32_e32 v7, 0x80000000, v7
	v_lshl_add_u32 v6, v6, 23, v10
	v_or3_b32 v6, v7, v6, v3
.LBB47_1488:
	s_or_b64 exec, exec, s[6:7]
	s_nop 0
	v_mfma_f32_16x16x4f32 a[0:3], v2, v6, a[0:3]
	s_movk_i32 s4, 0xff
	v_and_b32_sdwa v3, v8, s4 dst_sel:DWORD dst_unused:UNUSED_PAD src0_sel:WORD_1 src1_sel:DWORD
	s_movk_i32 s4, 0x7f
	v_cmp_lt_i16_e32 vcc, s4, v3
	s_mov_b64 s[4:5], 0
                                        ; implicit-def: $sgpr10
	s_and_saveexec_b64 s[6:7], vcc
	s_xor_b64 s[6:7], exec, s[6:7]
	s_cbranch_execnz .LBB47_3537
; %bb.1489:
	s_or_saveexec_b64 s[6:7], s[6:7]
	v_mov_b32_e32 v2, s10
	s_xor_b64 exec, exec, s[6:7]
	s_cbranch_execnz .LBB47_3540
.LBB47_1490:
	s_or_b64 exec, exec, s[6:7]
	s_and_saveexec_b64 s[6:7], s[4:5]
	s_cbranch_execz .LBB47_1492
.LBB47_1491:
	v_bfe_u32 v2, v8, 16, 3
	v_ffbh_u32_e32 v7, v2
	v_min_u32_e32 v7, 32, v7
	v_lshrrev_b32_e32 v3, 19, v8
	v_subrev_u32_e32 v10, 28, v7
	v_and_b32_e32 v3, 15, v3
	v_lshlrev_b32_sdwa v10, v10, v8 dst_sel:DWORD dst_unused:UNUSED_PAD src0_sel:DWORD src1_sel:WORD_1
	v_bfe_u32 v6, v8, 19, 4
	v_sub_u32_e32 v7, 29, v7
	v_and_b32_e32 v10, 7, v10
	v_cmp_eq_u16_e32 vcc, 0, v3
	v_cndmask_b32_e32 v2, v2, v10, vcc
	v_cndmask_b32_e32 v3, v6, v7, vcc
	v_lshlrev_b32_e32 v6, 8, v8
	v_mov_b32_e32 v7, 0x3b800000
	v_lshlrev_b32_e32 v2, 20, v2
	v_and_b32_e32 v6, 0x80000000, v6
	v_lshl_add_u32 v3, v3, 23, v7
	v_or3_b32 v2, v6, v3, v2
.LBB47_1492:
	s_or_b64 exec, exec, s[6:7]
	s_movk_i32 s4, 0xff
	v_and_b32_sdwa v3, v4, s4 dst_sel:DWORD dst_unused:UNUSED_PAD src0_sel:WORD_1 src1_sel:DWORD
	s_movk_i32 s4, 0x7f
	v_cmp_lt_i16_e32 vcc, s4, v3
	s_mov_b64 s[4:5], 0
                                        ; implicit-def: $sgpr10
	s_and_saveexec_b64 s[6:7], vcc
	s_xor_b64 s[6:7], exec, s[6:7]
	s_cbranch_execnz .LBB47_3541
; %bb.1493:
	s_or_saveexec_b64 s[6:7], s[6:7]
	v_mov_b32_e32 v6, s10
	s_xor_b64 exec, exec, s[6:7]
	s_cbranch_execnz .LBB47_3544
.LBB47_1494:
	s_or_b64 exec, exec, s[6:7]
	s_and_saveexec_b64 s[6:7], s[4:5]
	s_cbranch_execz .LBB47_1496
.LBB47_1495:
	v_bfe_u32 v3, v4, 16, 3
	v_ffbh_u32_e32 v10, v3
	v_min_u32_e32 v10, 32, v10
	v_lshrrev_b32_e32 v6, 19, v4
	v_subrev_u32_e32 v11, 28, v10
	v_and_b32_e32 v6, 15, v6
	v_lshlrev_b32_sdwa v11, v11, v4 dst_sel:DWORD dst_unused:UNUSED_PAD src0_sel:DWORD src1_sel:WORD_1
	v_bfe_u32 v7, v4, 19, 4
	v_sub_u32_e32 v10, 29, v10
	v_and_b32_e32 v11, 7, v11
	v_cmp_eq_u16_e32 vcc, 0, v6
	v_cndmask_b32_e32 v3, v3, v11, vcc
	v_cndmask_b32_e32 v6, v7, v10, vcc
	v_lshlrev_b32_e32 v7, 8, v4
	v_mov_b32_e32 v10, 0x3b800000
	v_lshlrev_b32_e32 v3, 20, v3
	v_and_b32_e32 v7, 0x80000000, v7
	v_lshl_add_u32 v6, v6, 23, v10
	v_or3_b32 v6, v7, v6, v3
.LBB47_1496:
	s_or_b64 exec, exec, s[6:7]
	s_nop 0
	v_mfma_f32_16x16x4f32 a[0:3], v2, v6, a[0:3]
	s_movk_i32 s4, 0x7f
	v_cmp_gt_i16_sdwa s[6:7], v8, s4 src0_sel:BYTE_3 src1_sel:DWORD
	s_mov_b64 s[4:5], 0
                                        ; implicit-def: $sgpr10
	s_and_saveexec_b64 s[8:9], s[6:7]
	s_xor_b64 s[6:7], exec, s[8:9]
	s_cbranch_execnz .LBB47_3545
; %bb.1497:
	s_or_saveexec_b64 s[6:7], s[6:7]
	v_mov_b32_e32 v2, s10
	s_xor_b64 exec, exec, s[6:7]
	s_cbranch_execnz .LBB47_3548
.LBB47_1498:
	s_or_b64 exec, exec, s[6:7]
	s_and_saveexec_b64 s[6:7], s[4:5]
	s_cbranch_execz .LBB47_1500
.LBB47_1499:
	v_bfe_u32 v2, v8, 24, 3
	v_ffbh_u32_e32 v10, v2
	v_min_u32_e32 v10, 32, v10
	v_lshrrev_b32_e32 v6, 27, v8
	v_subrev_u32_e32 v11, 28, v10
	v_and_b32_e32 v3, 0x80000000, v8
	v_and_b32_e32 v6, 15, v6
	v_bfe_u32 v7, v8, 27, 4
	v_lshlrev_b32_sdwa v8, v11, v8 dst_sel:DWORD dst_unused:UNUSED_PAD src0_sel:DWORD src1_sel:BYTE_3
	v_sub_u32_e32 v10, 29, v10
	v_and_b32_e32 v8, 7, v8
	v_cmp_eq_u16_e32 vcc, 0, v6
	v_cndmask_b32_e32 v2, v2, v8, vcc
	v_cndmask_b32_e32 v6, v7, v10, vcc
	v_mov_b32_e32 v7, 0x3b800000
	v_lshlrev_b32_e32 v2, 20, v2
	v_lshl_add_u32 v6, v6, 23, v7
	v_or3_b32 v2, v3, v6, v2
.LBB47_1500:
	s_or_b64 exec, exec, s[6:7]
	s_movk_i32 s4, 0x7f
	v_cmp_gt_i16_sdwa s[6:7], v4, s4 src0_sel:BYTE_3 src1_sel:DWORD
	s_mov_b64 s[4:5], 0
                                        ; implicit-def: $sgpr10
	s_and_saveexec_b64 s[8:9], s[6:7]
	s_xor_b64 s[6:7], exec, s[8:9]
	s_cbranch_execnz .LBB47_3549
; %bb.1501:
	s_or_saveexec_b64 s[6:7], s[6:7]
	v_mov_b32_e32 v3, s10
	s_xor_b64 exec, exec, s[6:7]
	s_cbranch_execnz .LBB47_3552
.LBB47_1502:
	s_or_b64 exec, exec, s[6:7]
	s_and_saveexec_b64 s[6:7], s[4:5]
	s_cbranch_execz .LBB47_1504
.LBB47_1503:
	v_bfe_u32 v3, v4, 24, 3
	v_ffbh_u32_e32 v10, v3
	v_min_u32_e32 v10, 32, v10
	v_lshrrev_b32_e32 v7, 27, v4
	v_subrev_u32_e32 v11, 28, v10
	v_and_b32_e32 v6, 0x80000000, v4
	v_and_b32_e32 v7, 15, v7
	v_bfe_u32 v8, v4, 27, 4
	v_lshlrev_b32_sdwa v4, v11, v4 dst_sel:DWORD dst_unused:UNUSED_PAD src0_sel:DWORD src1_sel:BYTE_3
	v_sub_u32_e32 v10, 29, v10
	v_and_b32_e32 v4, 7, v4
	v_cmp_eq_u16_e32 vcc, 0, v7
	v_cndmask_b32_e32 v3, v3, v4, vcc
	v_cndmask_b32_e32 v4, v8, v10, vcc
	v_mov_b32_e32 v7, 0x3b800000
	v_lshlrev_b32_e32 v3, 20, v3
	v_lshl_add_u32 v4, v4, 23, v7
	v_or3_b32 v3, v6, v4, v3
.LBB47_1504:
	s_or_b64 exec, exec, s[6:7]
	s_nop 0
	v_mfma_f32_16x16x4f32 a[0:3], v2, v3, a[0:3]
	s_movk_i32 s4, 0x7f
	v_cmp_gt_i16_sdwa s[6:7], v9, s4 src0_sel:BYTE_0 src1_sel:DWORD
	s_mov_b64 s[4:5], 0
                                        ; implicit-def: $sgpr10
	s_and_saveexec_b64 s[8:9], s[6:7]
	s_xor_b64 s[6:7], exec, s[8:9]
	s_cbranch_execnz .LBB47_3553
; %bb.1505:
	s_or_saveexec_b64 s[6:7], s[6:7]
	v_mov_b32_e32 v2, s10
	s_xor_b64 exec, exec, s[6:7]
	s_cbranch_execnz .LBB47_3556
.LBB47_1506:
	s_or_b64 exec, exec, s[6:7]
	s_and_saveexec_b64 s[6:7], s[4:5]
	s_cbranch_execz .LBB47_1508
.LBB47_1507:
	v_mov_b32_e32 v2, 8
	v_and_b32_e32 v3, 7, v9
	v_lshrrev_b32_sdwa v2, v2, v9 dst_sel:BYTE_1 dst_unused:UNUSED_PAD src0_sel:DWORD src1_sel:DWORD
	v_ffbh_u32_e32 v4, v3
	v_or_b32_sdwa v2, v9, v2 dst_sel:DWORD dst_unused:UNUSED_PAD src0_sel:BYTE_0 src1_sel:DWORD
	v_min_u32_e32 v4, 32, v4
	v_lshrrev_b16_e32 v2, 3, v2
	v_subrev_u32_e32 v6, 28, v4
	v_and_b32_e32 v2, 15, v2
	v_lshlrev_b32_e32 v6, v6, v9
	v_sub_u32_e32 v4, 29, v4
	v_and_b32_e32 v6, 7, v6
	v_cmp_eq_u16_e32 vcc, 0, v2
	v_cndmask_b32_e32 v3, v3, v6, vcc
	v_cndmask_b32_e32 v2, v2, v4, vcc
	v_lshlrev_b32_e32 v4, 24, v9
	v_mov_b32_e32 v6, 0x3b800000
	v_lshlrev_b32_e32 v3, 20, v3
	v_and_b32_e32 v4, 0x80000000, v4
	v_lshl_add_u32 v2, v2, 23, v6
	v_or3_b32 v2, v4, v2, v3
.LBB47_1508:
	s_or_b64 exec, exec, s[6:7]
	s_movk_i32 s4, 0x7f
	v_cmp_gt_i16_sdwa s[6:7], v5, s4 src0_sel:BYTE_0 src1_sel:DWORD
	s_mov_b64 s[4:5], 0
                                        ; implicit-def: $sgpr10
	s_and_saveexec_b64 s[8:9], s[6:7]
	s_xor_b64 s[6:7], exec, s[8:9]
	s_cbranch_execnz .LBB47_3557
; %bb.1509:
	s_or_saveexec_b64 s[6:7], s[6:7]
	v_mov_b32_e32 v3, s10
	s_xor_b64 exec, exec, s[6:7]
	s_cbranch_execnz .LBB47_3560
.LBB47_1510:
	s_or_b64 exec, exec, s[6:7]
	s_and_saveexec_b64 s[6:7], s[4:5]
	s_cbranch_execz .LBB47_1512
.LBB47_1511:
	v_mov_b32_e32 v3, 8
	v_and_b32_e32 v4, 7, v5
	v_lshrrev_b32_sdwa v3, v3, v5 dst_sel:BYTE_1 dst_unused:UNUSED_PAD src0_sel:DWORD src1_sel:DWORD
	v_ffbh_u32_e32 v6, v4
	v_or_b32_sdwa v3, v5, v3 dst_sel:DWORD dst_unused:UNUSED_PAD src0_sel:BYTE_0 src1_sel:DWORD
	v_min_u32_e32 v6, 32, v6
	v_lshrrev_b16_e32 v3, 3, v3
	v_subrev_u32_e32 v7, 28, v6
	v_and_b32_e32 v3, 15, v3
	v_lshlrev_b32_e32 v7, v7, v5
	v_sub_u32_e32 v6, 29, v6
	v_and_b32_e32 v7, 7, v7
	v_cmp_eq_u16_e32 vcc, 0, v3
	v_cndmask_b32_e32 v4, v4, v7, vcc
	v_cndmask_b32_e32 v3, v3, v6, vcc
	v_lshlrev_b32_e32 v6, 24, v5
	v_mov_b32_e32 v7, 0x3b800000
	v_lshlrev_b32_e32 v4, 20, v4
	v_and_b32_e32 v6, 0x80000000, v6
	v_lshl_add_u32 v3, v3, 23, v7
	v_or3_b32 v3, v6, v3, v4
.LBB47_1512:
	s_or_b64 exec, exec, s[6:7]
	s_nop 0
	v_mfma_f32_16x16x4f32 a[0:3], v2, v3, a[0:3]
	v_lshrrev_b32_e32 v3, 8, v9
	s_movk_i32 s4, 0x7f
	v_cmp_gt_i16_sdwa s[6:7], v3, s4 src0_sel:BYTE_0 src1_sel:DWORD
	s_mov_b64 s[4:5], 0
                                        ; implicit-def: $sgpr10
	s_and_saveexec_b64 s[8:9], s[6:7]
	s_xor_b64 s[6:7], exec, s[8:9]
	s_cbranch_execnz .LBB47_3561
; %bb.1513:
	s_or_saveexec_b64 s[6:7], s[6:7]
	v_mov_b32_e32 v2, s10
	s_xor_b64 exec, exec, s[6:7]
	s_cbranch_execnz .LBB47_3564
.LBB47_1514:
	s_or_b64 exec, exec, s[6:7]
	s_and_saveexec_b64 s[6:7], s[4:5]
	s_cbranch_execz .LBB47_1516
.LBB47_1515:
	v_bfe_u32 v2, v9, 8, 3
	v_ffbh_u32_e32 v6, v2
	v_min_u32_e32 v6, 32, v6
	v_lshrrev_b16_e32 v4, 3, v3
	v_subrev_u32_e32 v7, 28, v6
	v_and_b32_e32 v4, 15, v4
	v_lshlrev_b32_e32 v3, v7, v3
	v_sub_u32_e32 v6, 29, v6
	v_and_b32_e32 v3, 7, v3
	v_cmp_eq_u16_e32 vcc, 0, v4
	v_cndmask_b32_e32 v2, v2, v3, vcc
	v_cndmask_b32_e32 v3, v4, v6, vcc
	v_lshlrev_b32_e32 v4, 16, v9
	v_mov_b32_e32 v6, 0x3b800000
	v_lshlrev_b32_e32 v2, 20, v2
	v_and_b32_e32 v4, 0x80000000, v4
	v_lshl_add_u32 v3, v3, 23, v6
	v_or3_b32 v2, v4, v3, v2
.LBB47_1516:
	s_or_b64 exec, exec, s[6:7]
	v_lshrrev_b32_e32 v3, 8, v5
	s_movk_i32 s4, 0x7f
	v_cmp_gt_i16_sdwa s[6:7], v3, s4 src0_sel:BYTE_0 src1_sel:DWORD
	s_mov_b64 s[4:5], 0
                                        ; implicit-def: $sgpr10
	s_and_saveexec_b64 s[8:9], s[6:7]
	s_xor_b64 s[6:7], exec, s[8:9]
	s_cbranch_execnz .LBB47_3565
; %bb.1517:
	s_or_saveexec_b64 s[6:7], s[6:7]
	v_mov_b32_e32 v4, s10
	s_xor_b64 exec, exec, s[6:7]
	s_cbranch_execnz .LBB47_3568
.LBB47_1518:
	s_or_b64 exec, exec, s[6:7]
	s_and_saveexec_b64 s[6:7], s[4:5]
	s_cbranch_execz .LBB47_1520
.LBB47_1519:
	v_bfe_u32 v4, v5, 8, 3
	v_ffbh_u32_e32 v7, v4
	v_min_u32_e32 v7, 32, v7
	v_lshrrev_b16_e32 v6, 3, v3
	v_subrev_u32_e32 v8, 28, v7
	v_and_b32_e32 v6, 15, v6
	v_lshlrev_b32_e32 v3, v8, v3
	v_sub_u32_e32 v7, 29, v7
	v_and_b32_e32 v3, 7, v3
	v_cmp_eq_u16_e32 vcc, 0, v6
	v_cndmask_b32_e32 v3, v4, v3, vcc
	v_cndmask_b32_e32 v4, v6, v7, vcc
	v_lshlrev_b32_e32 v6, 16, v5
	v_mov_b32_e32 v7, 0x3b800000
	v_lshlrev_b32_e32 v3, 20, v3
	v_and_b32_e32 v6, 0x80000000, v6
	v_lshl_add_u32 v4, v4, 23, v7
	v_or3_b32 v4, v6, v4, v3
.LBB47_1520:
	s_or_b64 exec, exec, s[6:7]
	s_nop 0
	v_mfma_f32_16x16x4f32 a[0:3], v2, v4, a[0:3]
	s_movk_i32 s4, 0xff
	v_and_b32_sdwa v3, v9, s4 dst_sel:DWORD dst_unused:UNUSED_PAD src0_sel:WORD_1 src1_sel:DWORD
	s_movk_i32 s4, 0x7f
	v_cmp_lt_i16_e32 vcc, s4, v3
	s_mov_b64 s[4:5], 0
                                        ; implicit-def: $sgpr10
	s_and_saveexec_b64 s[6:7], vcc
	s_xor_b64 s[6:7], exec, s[6:7]
	s_cbranch_execnz .LBB47_3569
; %bb.1521:
	s_or_saveexec_b64 s[6:7], s[6:7]
	v_mov_b32_e32 v2, s10
	s_xor_b64 exec, exec, s[6:7]
	s_cbranch_execnz .LBB47_3572
.LBB47_1522:
	s_or_b64 exec, exec, s[6:7]
	s_and_saveexec_b64 s[6:7], s[4:5]
	s_cbranch_execz .LBB47_1524
.LBB47_1523:
	v_bfe_u32 v2, v9, 16, 3
	v_ffbh_u32_e32 v6, v2
	v_min_u32_e32 v6, 32, v6
	v_lshrrev_b32_e32 v3, 19, v9
	v_subrev_u32_e32 v7, 28, v6
	v_and_b32_e32 v3, 15, v3
	v_lshlrev_b32_sdwa v7, v7, v9 dst_sel:DWORD dst_unused:UNUSED_PAD src0_sel:DWORD src1_sel:WORD_1
	v_bfe_u32 v4, v9, 19, 4
	v_sub_u32_e32 v6, 29, v6
	v_and_b32_e32 v7, 7, v7
	v_cmp_eq_u16_e32 vcc, 0, v3
	v_cndmask_b32_e32 v2, v2, v7, vcc
	v_cndmask_b32_e32 v3, v4, v6, vcc
	v_lshlrev_b32_e32 v4, 8, v9
	v_mov_b32_e32 v6, 0x3b800000
	v_lshlrev_b32_e32 v2, 20, v2
	v_and_b32_e32 v4, 0x80000000, v4
	v_lshl_add_u32 v3, v3, 23, v6
	v_or3_b32 v2, v4, v3, v2
.LBB47_1524:
	s_or_b64 exec, exec, s[6:7]
	s_movk_i32 s4, 0xff
	v_and_b32_sdwa v3, v5, s4 dst_sel:DWORD dst_unused:UNUSED_PAD src0_sel:WORD_1 src1_sel:DWORD
	s_movk_i32 s4, 0x7f
	v_cmp_lt_i16_e32 vcc, s4, v3
	s_mov_b64 s[4:5], 0
                                        ; implicit-def: $sgpr10
	s_and_saveexec_b64 s[6:7], vcc
	s_xor_b64 s[6:7], exec, s[6:7]
	s_cbranch_execnz .LBB47_3573
; %bb.1525:
	s_or_saveexec_b64 s[6:7], s[6:7]
	v_mov_b32_e32 v4, s10
	s_xor_b64 exec, exec, s[6:7]
	s_cbranch_execnz .LBB47_3576
.LBB47_1526:
	s_or_b64 exec, exec, s[6:7]
	s_and_saveexec_b64 s[6:7], s[4:5]
	s_cbranch_execz .LBB47_1528
.LBB47_1527:
	v_bfe_u32 v3, v5, 16, 3
	v_ffbh_u32_e32 v7, v3
	v_min_u32_e32 v7, 32, v7
	v_lshrrev_b32_e32 v4, 19, v5
	v_subrev_u32_e32 v8, 28, v7
	v_and_b32_e32 v4, 15, v4
	v_lshlrev_b32_sdwa v8, v8, v5 dst_sel:DWORD dst_unused:UNUSED_PAD src0_sel:DWORD src1_sel:WORD_1
	v_bfe_u32 v6, v5, 19, 4
	v_sub_u32_e32 v7, 29, v7
	v_and_b32_e32 v8, 7, v8
	v_cmp_eq_u16_e32 vcc, 0, v4
	v_cndmask_b32_e32 v3, v3, v8, vcc
	v_cndmask_b32_e32 v4, v6, v7, vcc
	v_lshlrev_b32_e32 v6, 8, v5
	v_mov_b32_e32 v7, 0x3b800000
	v_lshlrev_b32_e32 v3, 20, v3
	v_and_b32_e32 v6, 0x80000000, v6
	v_lshl_add_u32 v4, v4, 23, v7
	v_or3_b32 v4, v6, v4, v3
.LBB47_1528:
	s_or_b64 exec, exec, s[6:7]
	s_nop 0
	v_mfma_f32_16x16x4f32 a[0:3], v2, v4, a[0:3]
	s_movk_i32 s4, 0x7f
	v_cmp_gt_i16_sdwa s[6:7], v9, s4 src0_sel:BYTE_3 src1_sel:DWORD
	s_mov_b64 s[4:5], 0
                                        ; implicit-def: $sgpr10
	s_and_saveexec_b64 s[8:9], s[6:7]
	s_xor_b64 s[6:7], exec, s[8:9]
	s_cbranch_execnz .LBB47_3577
; %bb.1529:
	s_or_saveexec_b64 s[6:7], s[6:7]
	v_mov_b32_e32 v2, s10
	s_xor_b64 exec, exec, s[6:7]
	s_cbranch_execnz .LBB47_3580
.LBB47_1530:
	s_or_b64 exec, exec, s[6:7]
	s_and_saveexec_b64 s[6:7], s[4:5]
	s_cbranch_execz .LBB47_1532
.LBB47_1531:
	v_bfe_u32 v2, v9, 24, 3
	v_ffbh_u32_e32 v7, v2
	v_min_u32_e32 v7, 32, v7
	v_lshrrev_b32_e32 v4, 27, v9
	v_subrev_u32_e32 v8, 28, v7
	v_and_b32_e32 v4, 15, v4
	v_lshlrev_b32_sdwa v8, v8, v9 dst_sel:DWORD dst_unused:UNUSED_PAD src0_sel:DWORD src1_sel:BYTE_3
	v_bfe_u32 v6, v9, 27, 4
	v_sub_u32_e32 v7, 29, v7
	v_and_b32_e32 v8, 7, v8
	v_cmp_eq_u16_e32 vcc, 0, v4
	v_cndmask_b32_e32 v2, v2, v8, vcc
	v_cndmask_b32_e32 v4, v6, v7, vcc
	v_mov_b32_e32 v6, 0x3b800000
	v_and_b32_e32 v3, 0x80000000, v9
	v_lshlrev_b32_e32 v2, 20, v2
	v_lshl_add_u32 v4, v4, 23, v6
	v_or3_b32 v2, v3, v4, v2
.LBB47_1532:
	s_or_b64 exec, exec, s[6:7]
	s_movk_i32 s4, 0x7f
	v_cmp_gt_i16_sdwa s[6:7], v5, s4 src0_sel:BYTE_3 src1_sel:DWORD
	s_mov_b64 s[4:5], 0
                                        ; implicit-def: $sgpr10
	s_and_saveexec_b64 s[8:9], s[6:7]
	s_xor_b64 s[6:7], exec, s[8:9]
	s_cbranch_execnz .LBB47_3581
; %bb.1533:
	s_or_saveexec_b64 s[6:7], s[6:7]
	v_mov_b32_e32 v3, s10
	s_xor_b64 exec, exec, s[6:7]
	s_cbranch_execnz .LBB47_3584
.LBB47_1534:
	s_or_b64 exec, exec, s[6:7]
	s_and_saveexec_b64 s[6:7], s[4:5]
	s_cbranch_execz .LBB47_1536
.LBB47_1535:
	v_bfe_u32 v3, v5, 24, 3
	v_ffbh_u32_e32 v8, v3
	v_min_u32_e32 v8, 32, v8
	v_lshrrev_b32_e32 v6, 27, v5
	v_subrev_u32_e32 v9, 28, v8
	v_and_b32_e32 v4, 0x80000000, v5
	v_and_b32_e32 v6, 15, v6
	v_bfe_u32 v7, v5, 27, 4
	v_lshlrev_b32_sdwa v5, v9, v5 dst_sel:DWORD dst_unused:UNUSED_PAD src0_sel:DWORD src1_sel:BYTE_3
	v_sub_u32_e32 v8, 29, v8
	v_and_b32_e32 v5, 7, v5
	v_cmp_eq_u16_e32 vcc, 0, v6
	v_cndmask_b32_e32 v3, v3, v5, vcc
	v_cndmask_b32_e32 v5, v7, v8, vcc
	v_mov_b32_e32 v6, 0x3b800000
	v_lshlrev_b32_e32 v3, 20, v3
	v_lshl_add_u32 v5, v5, 23, v6
	v_or3_b32 v3, v4, v5, v3
.LBB47_1536:
	s_or_b64 exec, exec, s[6:7]
	s_nop 0
	v_mfma_f32_16x16x4f32 a[0:3], v2, v3, a[0:3]
	s_movk_i32 s4, 0x7f
                                        ; implicit-def: $sgpr10
	s_nop 7
	s_nop 1
	flat_store_dwordx4 v[18:19], a[0:3] offset:464
	flat_load_dwordx4 v[20:23], v[0:1] offset:8
	s_nop 0
	flat_load_dwordx2 v[18:19], v[0:1] offset:24
	s_waitcnt vmcnt(0) lgkmcnt(0)
	flat_load_dwordx4 v[14:17], v[20:21] offset:32
	flat_load_dwordx4 v[6:9], v[20:21] offset:48
	;; [unrolled: 1-line block ×4, first 2 shown]
	s_waitcnt vmcnt(0) lgkmcnt(0)
	v_cmp_gt_i16_sdwa s[6:7], v14, s4 src0_sel:BYTE_0 src1_sel:DWORD
	s_mov_b64 s[4:5], 0
	s_and_saveexec_b64 s[8:9], s[6:7]
	s_xor_b64 s[6:7], exec, s[8:9]
	s_cbranch_execnz .LBB47_3585
; %bb.1537:
	s_or_saveexec_b64 s[6:7], s[6:7]
	v_mov_b32_e32 v20, s10
	s_xor_b64 exec, exec, s[6:7]
	s_cbranch_execnz .LBB47_3588
.LBB47_1538:
	s_or_b64 exec, exec, s[6:7]
	s_and_saveexec_b64 s[6:7], s[4:5]
	s_cbranch_execz .LBB47_1540
.LBB47_1539:
	v_and_b32_e32 v20, 7, v14
	v_ffbh_u32_e32 v22, v20
	v_min_u32_e32 v22, 32, v22
	v_lshrrev_b16_e32 v21, 3, v14
	v_subrev_u32_e32 v23, 28, v22
	v_and_b32_e32 v21, 15, v21
	v_lshlrev_b32_e32 v23, v23, v14
	v_sub_u32_e32 v22, 29, v22
	v_and_b32_e32 v23, 7, v23
	v_cmp_eq_u16_e32 vcc, 0, v21
	v_cndmask_b32_e32 v20, v20, v23, vcc
	v_cndmask_b32_e32 v21, v21, v22, vcc
	v_lshlrev_b32_e32 v22, 24, v14
	v_mov_b32_e32 v23, 0x3b800000
	v_lshlrev_b32_e32 v20, 20, v20
	v_and_b32_e32 v22, 0x80000000, v22
	v_lshl_add_u32 v21, v21, 23, v23
	v_or3_b32 v20, v22, v21, v20
.LBB47_1540:
	s_or_b64 exec, exec, s[6:7]
	s_movk_i32 s4, 0x7f
	v_cmp_gt_i16_sdwa s[6:7], v10, s4 src0_sel:BYTE_0 src1_sel:DWORD
	s_mov_b64 s[4:5], 0
                                        ; implicit-def: $sgpr10
	s_and_saveexec_b64 s[8:9], s[6:7]
	s_xor_b64 s[6:7], exec, s[8:9]
	s_cbranch_execnz .LBB47_3589
; %bb.1541:
	s_or_saveexec_b64 s[6:7], s[6:7]
	v_mov_b32_e32 v21, s10
	s_xor_b64 exec, exec, s[6:7]
	s_cbranch_execnz .LBB47_3592
.LBB47_1542:
	s_or_b64 exec, exec, s[6:7]
	s_and_saveexec_b64 s[6:7], s[4:5]
	s_cbranch_execz .LBB47_1544
.LBB47_1543:
	v_and_b32_e32 v21, 7, v10
	v_ffbh_u32_e32 v23, v21
	v_min_u32_e32 v23, 32, v23
	v_lshrrev_b16_e32 v22, 3, v10
	v_subrev_u32_e32 v24, 28, v23
	v_and_b32_e32 v22, 15, v22
	v_lshlrev_b32_e32 v24, v24, v10
	v_sub_u32_e32 v23, 29, v23
	v_and_b32_e32 v24, 7, v24
	v_cmp_eq_u16_e32 vcc, 0, v22
	v_cndmask_b32_e32 v21, v21, v24, vcc
	v_cndmask_b32_e32 v22, v22, v23, vcc
	v_lshlrev_b32_e32 v23, 24, v10
	v_mov_b32_e32 v24, 0x3b800000
	v_lshlrev_b32_e32 v21, 20, v21
	v_and_b32_e32 v23, 0x80000000, v23
	v_lshl_add_u32 v22, v22, 23, v24
	v_or3_b32 v21, v23, v22, v21
.LBB47_1544:
	s_or_b64 exec, exec, s[6:7]
	flat_load_dwordx4 a[0:3], v[18:19] offset:480
	s_movk_i32 s4, 0x7f
                                        ; implicit-def: $sgpr10
	s_waitcnt vmcnt(0) lgkmcnt(0)
	v_mfma_f32_16x16x4f32 a[0:3], v20, v21, a[0:3]
	v_lshrrev_b32_e32 v21, 8, v14
	v_cmp_gt_i16_sdwa s[6:7], v21, s4 src0_sel:BYTE_0 src1_sel:DWORD
	s_mov_b64 s[4:5], 0
	s_and_saveexec_b64 s[8:9], s[6:7]
	s_xor_b64 s[6:7], exec, s[8:9]
	s_cbranch_execnz .LBB47_3593
; %bb.1545:
	s_or_saveexec_b64 s[6:7], s[6:7]
	v_mov_b32_e32 v20, s10
	s_xor_b64 exec, exec, s[6:7]
	s_cbranch_execnz .LBB47_3596
.LBB47_1546:
	s_or_b64 exec, exec, s[6:7]
	s_and_saveexec_b64 s[6:7], s[4:5]
	s_cbranch_execz .LBB47_1548
.LBB47_1547:
	v_bfe_u32 v20, v14, 8, 3
	v_ffbh_u32_e32 v23, v20
	v_min_u32_e32 v23, 32, v23
	v_lshrrev_b16_e32 v22, 3, v21
	v_subrev_u32_e32 v24, 28, v23
	v_and_b32_e32 v22, 15, v22
	v_lshlrev_b32_e32 v21, v24, v21
	v_sub_u32_e32 v23, 29, v23
	v_and_b32_e32 v21, 7, v21
	v_cmp_eq_u16_e32 vcc, 0, v22
	v_cndmask_b32_e32 v20, v20, v21, vcc
	v_cndmask_b32_e32 v21, v22, v23, vcc
	v_lshlrev_b32_e32 v22, 16, v14
	v_mov_b32_e32 v23, 0x3b800000
	v_lshlrev_b32_e32 v20, 20, v20
	v_and_b32_e32 v22, 0x80000000, v22
	v_lshl_add_u32 v21, v21, 23, v23
	v_or3_b32 v20, v22, v21, v20
.LBB47_1548:
	s_or_b64 exec, exec, s[6:7]
	v_lshrrev_b32_e32 v21, 8, v10
	s_movk_i32 s4, 0x7f
	v_cmp_gt_i16_sdwa s[6:7], v21, s4 src0_sel:BYTE_0 src1_sel:DWORD
	s_mov_b64 s[4:5], 0
                                        ; implicit-def: $sgpr10
	s_and_saveexec_b64 s[8:9], s[6:7]
	s_xor_b64 s[6:7], exec, s[8:9]
	s_cbranch_execnz .LBB47_3597
; %bb.1549:
	s_or_saveexec_b64 s[6:7], s[6:7]
	v_mov_b32_e32 v22, s10
	s_xor_b64 exec, exec, s[6:7]
	s_cbranch_execnz .LBB47_3600
.LBB47_1550:
	s_or_b64 exec, exec, s[6:7]
	s_and_saveexec_b64 s[6:7], s[4:5]
	s_cbranch_execz .LBB47_1552
.LBB47_1551:
	v_bfe_u32 v22, v10, 8, 3
	v_ffbh_u32_e32 v24, v22
	v_min_u32_e32 v24, 32, v24
	v_lshrrev_b16_e32 v23, 3, v21
	v_subrev_u32_e32 v25, 28, v24
	v_and_b32_e32 v23, 15, v23
	v_lshlrev_b32_e32 v21, v25, v21
	v_sub_u32_e32 v24, 29, v24
	v_and_b32_e32 v21, 7, v21
	v_cmp_eq_u16_e32 vcc, 0, v23
	v_cndmask_b32_e32 v21, v22, v21, vcc
	v_cndmask_b32_e32 v22, v23, v24, vcc
	v_lshlrev_b32_e32 v23, 16, v10
	v_mov_b32_e32 v24, 0x3b800000
	v_lshlrev_b32_e32 v21, 20, v21
	v_and_b32_e32 v23, 0x80000000, v23
	v_lshl_add_u32 v22, v22, 23, v24
	v_or3_b32 v22, v23, v22, v21
.LBB47_1552:
	s_or_b64 exec, exec, s[6:7]
	s_nop 0
	v_mfma_f32_16x16x4f32 a[0:3], v20, v22, a[0:3]
	s_movk_i32 s4, 0xff
	v_and_b32_sdwa v21, v14, s4 dst_sel:DWORD dst_unused:UNUSED_PAD src0_sel:WORD_1 src1_sel:DWORD
	s_movk_i32 s4, 0x7f
	v_cmp_lt_i16_e32 vcc, s4, v21
	s_mov_b64 s[4:5], 0
                                        ; implicit-def: $sgpr10
	s_and_saveexec_b64 s[6:7], vcc
	s_xor_b64 s[6:7], exec, s[6:7]
	s_cbranch_execnz .LBB47_3601
; %bb.1553:
	s_or_saveexec_b64 s[6:7], s[6:7]
	v_mov_b32_e32 v20, s10
	s_xor_b64 exec, exec, s[6:7]
	s_cbranch_execnz .LBB47_3604
.LBB47_1554:
	s_or_b64 exec, exec, s[6:7]
	s_and_saveexec_b64 s[6:7], s[4:5]
	s_cbranch_execz .LBB47_1556
.LBB47_1555:
	v_bfe_u32 v20, v14, 16, 3
	v_ffbh_u32_e32 v23, v20
	v_min_u32_e32 v23, 32, v23
	v_lshrrev_b32_e32 v21, 19, v14
	v_subrev_u32_e32 v24, 28, v23
	v_and_b32_e32 v21, 15, v21
	v_lshlrev_b32_sdwa v24, v24, v14 dst_sel:DWORD dst_unused:UNUSED_PAD src0_sel:DWORD src1_sel:WORD_1
	v_bfe_u32 v22, v14, 19, 4
	v_sub_u32_e32 v23, 29, v23
	v_and_b32_e32 v24, 7, v24
	v_cmp_eq_u16_e32 vcc, 0, v21
	v_cndmask_b32_e32 v20, v20, v24, vcc
	v_cndmask_b32_e32 v21, v22, v23, vcc
	v_lshlrev_b32_e32 v22, 8, v14
	v_mov_b32_e32 v23, 0x3b800000
	v_lshlrev_b32_e32 v20, 20, v20
	v_and_b32_e32 v22, 0x80000000, v22
	v_lshl_add_u32 v21, v21, 23, v23
	v_or3_b32 v20, v22, v21, v20
.LBB47_1556:
	s_or_b64 exec, exec, s[6:7]
	s_movk_i32 s4, 0xff
	v_and_b32_sdwa v21, v10, s4 dst_sel:DWORD dst_unused:UNUSED_PAD src0_sel:WORD_1 src1_sel:DWORD
	s_movk_i32 s4, 0x7f
	v_cmp_lt_i16_e32 vcc, s4, v21
	s_mov_b64 s[4:5], 0
                                        ; implicit-def: $sgpr10
	s_and_saveexec_b64 s[6:7], vcc
	s_xor_b64 s[6:7], exec, s[6:7]
	s_cbranch_execnz .LBB47_3605
; %bb.1557:
	s_or_saveexec_b64 s[6:7], s[6:7]
	v_mov_b32_e32 v22, s10
	s_xor_b64 exec, exec, s[6:7]
	s_cbranch_execnz .LBB47_3608
.LBB47_1558:
	s_or_b64 exec, exec, s[6:7]
	s_and_saveexec_b64 s[6:7], s[4:5]
	s_cbranch_execz .LBB47_1560
.LBB47_1559:
	v_bfe_u32 v21, v10, 16, 3
	v_ffbh_u32_e32 v24, v21
	v_min_u32_e32 v24, 32, v24
	v_lshrrev_b32_e32 v22, 19, v10
	v_subrev_u32_e32 v25, 28, v24
	v_and_b32_e32 v22, 15, v22
	v_lshlrev_b32_sdwa v25, v25, v10 dst_sel:DWORD dst_unused:UNUSED_PAD src0_sel:DWORD src1_sel:WORD_1
	v_bfe_u32 v23, v10, 19, 4
	v_sub_u32_e32 v24, 29, v24
	v_and_b32_e32 v25, 7, v25
	v_cmp_eq_u16_e32 vcc, 0, v22
	v_cndmask_b32_e32 v21, v21, v25, vcc
	v_cndmask_b32_e32 v22, v23, v24, vcc
	v_lshlrev_b32_e32 v23, 8, v10
	v_mov_b32_e32 v24, 0x3b800000
	v_lshlrev_b32_e32 v21, 20, v21
	v_and_b32_e32 v23, 0x80000000, v23
	v_lshl_add_u32 v22, v22, 23, v24
	v_or3_b32 v22, v23, v22, v21
.LBB47_1560:
	s_or_b64 exec, exec, s[6:7]
	s_nop 0
	v_mfma_f32_16x16x4f32 a[0:3], v20, v22, a[0:3]
	s_movk_i32 s4, 0x7f
	v_cmp_gt_i16_sdwa s[6:7], v14, s4 src0_sel:BYTE_3 src1_sel:DWORD
	s_mov_b64 s[4:5], 0
                                        ; implicit-def: $sgpr10
	s_and_saveexec_b64 s[8:9], s[6:7]
	s_xor_b64 s[6:7], exec, s[8:9]
	s_cbranch_execnz .LBB47_3609
; %bb.1561:
	s_or_saveexec_b64 s[6:7], s[6:7]
	v_mov_b32_e32 v20, s10
	s_xor_b64 exec, exec, s[6:7]
	s_cbranch_execnz .LBB47_3612
.LBB47_1562:
	s_or_b64 exec, exec, s[6:7]
	s_and_saveexec_b64 s[6:7], s[4:5]
	s_cbranch_execz .LBB47_1564
.LBB47_1563:
	v_bfe_u32 v20, v14, 24, 3
	v_ffbh_u32_e32 v24, v20
	v_min_u32_e32 v24, 32, v24
	v_lshrrev_b32_e32 v22, 27, v14
	v_subrev_u32_e32 v25, 28, v24
	v_and_b32_e32 v21, 0x80000000, v14
	v_and_b32_e32 v22, 15, v22
	v_bfe_u32 v23, v14, 27, 4
	v_lshlrev_b32_sdwa v14, v25, v14 dst_sel:DWORD dst_unused:UNUSED_PAD src0_sel:DWORD src1_sel:BYTE_3
	v_sub_u32_e32 v24, 29, v24
	v_and_b32_e32 v14, 7, v14
	v_cmp_eq_u16_e32 vcc, 0, v22
	v_cndmask_b32_e32 v14, v20, v14, vcc
	v_cndmask_b32_e32 v20, v23, v24, vcc
	v_mov_b32_e32 v22, 0x3b800000
	v_lshlrev_b32_e32 v14, 20, v14
	v_lshl_add_u32 v20, v20, 23, v22
	v_or3_b32 v20, v21, v20, v14
.LBB47_1564:
	s_or_b64 exec, exec, s[6:7]
	s_movk_i32 s4, 0x7f
	v_cmp_gt_i16_sdwa s[6:7], v10, s4 src0_sel:BYTE_3 src1_sel:DWORD
	s_mov_b64 s[4:5], 0
                                        ; implicit-def: $sgpr10
	s_and_saveexec_b64 s[8:9], s[6:7]
	s_xor_b64 s[6:7], exec, s[8:9]
	s_cbranch_execnz .LBB47_3613
; %bb.1565:
	s_or_saveexec_b64 s[6:7], s[6:7]
	v_mov_b32_e32 v14, s10
	s_xor_b64 exec, exec, s[6:7]
	s_cbranch_execnz .LBB47_3616
.LBB47_1566:
	s_or_b64 exec, exec, s[6:7]
	s_and_saveexec_b64 s[6:7], s[4:5]
	s_cbranch_execz .LBB47_1568
.LBB47_1567:
	v_bfe_u32 v14, v10, 24, 3
	v_ffbh_u32_e32 v24, v14
	v_min_u32_e32 v24, 32, v24
	v_lshrrev_b32_e32 v22, 27, v10
	v_subrev_u32_e32 v25, 28, v24
	v_and_b32_e32 v21, 0x80000000, v10
	v_and_b32_e32 v22, 15, v22
	v_bfe_u32 v23, v10, 27, 4
	v_lshlrev_b32_sdwa v10, v25, v10 dst_sel:DWORD dst_unused:UNUSED_PAD src0_sel:DWORD src1_sel:BYTE_3
	v_sub_u32_e32 v24, 29, v24
	v_and_b32_e32 v10, 7, v10
	v_cmp_eq_u16_e32 vcc, 0, v22
	v_cndmask_b32_e32 v10, v14, v10, vcc
	v_cndmask_b32_e32 v14, v23, v24, vcc
	v_mov_b32_e32 v22, 0x3b800000
	v_lshlrev_b32_e32 v10, 20, v10
	v_lshl_add_u32 v14, v14, 23, v22
	v_or3_b32 v14, v21, v14, v10
.LBB47_1568:
	s_or_b64 exec, exec, s[6:7]
	s_nop 0
	v_mfma_f32_16x16x4f32 a[0:3], v20, v14, a[0:3]
	s_movk_i32 s4, 0x7f
	v_cmp_gt_i16_sdwa s[6:7], v15, s4 src0_sel:BYTE_0 src1_sel:DWORD
	s_mov_b64 s[4:5], 0
                                        ; implicit-def: $sgpr10
	s_and_saveexec_b64 s[8:9], s[6:7]
	s_xor_b64 s[6:7], exec, s[8:9]
	s_cbranch_execnz .LBB47_3617
; %bb.1569:
	s_or_saveexec_b64 s[6:7], s[6:7]
	v_mov_b32_e32 v10, s10
	s_xor_b64 exec, exec, s[6:7]
	s_cbranch_execnz .LBB47_3620
.LBB47_1570:
	s_or_b64 exec, exec, s[6:7]
	s_and_saveexec_b64 s[6:7], s[4:5]
	s_cbranch_execz .LBB47_1572
.LBB47_1571:
	v_and_b32_e32 v10, 7, v15
	v_ffbh_u32_e32 v20, v10
	v_min_u32_e32 v20, 32, v20
	v_lshrrev_b16_e32 v14, 3, v15
	v_subrev_u32_e32 v21, 28, v20
	v_and_b32_e32 v14, 15, v14
	v_lshlrev_b32_e32 v21, v21, v15
	v_sub_u32_e32 v20, 29, v20
	v_and_b32_e32 v21, 7, v21
	v_cmp_eq_u16_e32 vcc, 0, v14
	v_cndmask_b32_e32 v10, v10, v21, vcc
	v_cndmask_b32_e32 v14, v14, v20, vcc
	v_lshlrev_b32_e32 v20, 24, v15
	v_mov_b32_e32 v21, 0x3b800000
	v_lshlrev_b32_e32 v10, 20, v10
	v_and_b32_e32 v20, 0x80000000, v20
	v_lshl_add_u32 v14, v14, 23, v21
	v_or3_b32 v10, v20, v14, v10
.LBB47_1572:
	s_or_b64 exec, exec, s[6:7]
	s_movk_i32 s4, 0x7f
	v_cmp_gt_i16_sdwa s[6:7], v11, s4 src0_sel:BYTE_0 src1_sel:DWORD
	s_mov_b64 s[4:5], 0
                                        ; implicit-def: $sgpr10
	s_and_saveexec_b64 s[8:9], s[6:7]
	s_xor_b64 s[6:7], exec, s[8:9]
	s_cbranch_execnz .LBB47_3621
; %bb.1573:
	s_or_saveexec_b64 s[6:7], s[6:7]
	v_mov_b32_e32 v14, s10
	s_xor_b64 exec, exec, s[6:7]
	s_cbranch_execnz .LBB47_3624
.LBB47_1574:
	s_or_b64 exec, exec, s[6:7]
	s_and_saveexec_b64 s[6:7], s[4:5]
	s_cbranch_execz .LBB47_1576
.LBB47_1575:
	v_and_b32_e32 v14, 7, v11
	v_ffbh_u32_e32 v21, v14
	v_min_u32_e32 v21, 32, v21
	v_lshrrev_b16_e32 v20, 3, v11
	v_subrev_u32_e32 v22, 28, v21
	v_and_b32_e32 v20, 15, v20
	v_lshlrev_b32_e32 v22, v22, v11
	v_sub_u32_e32 v21, 29, v21
	v_and_b32_e32 v22, 7, v22
	v_cmp_eq_u16_e32 vcc, 0, v20
	v_cndmask_b32_e32 v14, v14, v22, vcc
	v_cndmask_b32_e32 v20, v20, v21, vcc
	v_lshlrev_b32_e32 v21, 24, v11
	v_mov_b32_e32 v22, 0x3b800000
	v_lshlrev_b32_e32 v14, 20, v14
	v_and_b32_e32 v21, 0x80000000, v21
	v_lshl_add_u32 v20, v20, 23, v22
	v_or3_b32 v14, v21, v20, v14
.LBB47_1576:
	s_or_b64 exec, exec, s[6:7]
	s_nop 0
	v_mfma_f32_16x16x4f32 a[0:3], v10, v14, a[0:3]
	v_lshrrev_b32_e32 v14, 8, v15
	s_movk_i32 s4, 0x7f
	v_cmp_gt_i16_sdwa s[6:7], v14, s4 src0_sel:BYTE_0 src1_sel:DWORD
	s_mov_b64 s[4:5], 0
                                        ; implicit-def: $sgpr10
	s_and_saveexec_b64 s[8:9], s[6:7]
	s_xor_b64 s[6:7], exec, s[8:9]
	s_cbranch_execnz .LBB47_3625
; %bb.1577:
	s_or_saveexec_b64 s[6:7], s[6:7]
	v_mov_b32_e32 v10, s10
	s_xor_b64 exec, exec, s[6:7]
	s_cbranch_execnz .LBB47_3628
.LBB47_1578:
	s_or_b64 exec, exec, s[6:7]
	s_and_saveexec_b64 s[6:7], s[4:5]
	s_cbranch_execz .LBB47_1580
.LBB47_1579:
	v_bfe_u32 v10, v15, 8, 3
	v_ffbh_u32_e32 v21, v10
	v_min_u32_e32 v21, 32, v21
	v_lshrrev_b16_e32 v20, 3, v14
	v_subrev_u32_e32 v22, 28, v21
	v_and_b32_e32 v20, 15, v20
	v_lshlrev_b32_e32 v14, v22, v14
	v_sub_u32_e32 v21, 29, v21
	v_and_b32_e32 v14, 7, v14
	v_cmp_eq_u16_e32 vcc, 0, v20
	v_cndmask_b32_e32 v10, v10, v14, vcc
	v_cndmask_b32_e32 v14, v20, v21, vcc
	v_lshlrev_b32_e32 v20, 16, v15
	v_mov_b32_e32 v21, 0x3b800000
	v_lshlrev_b32_e32 v10, 20, v10
	v_and_b32_e32 v20, 0x80000000, v20
	v_lshl_add_u32 v14, v14, 23, v21
	v_or3_b32 v10, v20, v14, v10
.LBB47_1580:
	s_or_b64 exec, exec, s[6:7]
	v_lshrrev_b32_e32 v14, 8, v11
	s_movk_i32 s4, 0x7f
	v_cmp_gt_i16_sdwa s[6:7], v14, s4 src0_sel:BYTE_0 src1_sel:DWORD
	s_mov_b64 s[4:5], 0
                                        ; implicit-def: $sgpr10
	s_and_saveexec_b64 s[8:9], s[6:7]
	s_xor_b64 s[6:7], exec, s[8:9]
	s_cbranch_execnz .LBB47_3629
; %bb.1581:
	s_or_saveexec_b64 s[6:7], s[6:7]
	v_mov_b32_e32 v20, s10
	s_xor_b64 exec, exec, s[6:7]
	s_cbranch_execnz .LBB47_3632
.LBB47_1582:
	s_or_b64 exec, exec, s[6:7]
	s_and_saveexec_b64 s[6:7], s[4:5]
	s_cbranch_execz .LBB47_1584
.LBB47_1583:
	v_bfe_u32 v20, v11, 8, 3
	v_ffbh_u32_e32 v22, v20
	v_min_u32_e32 v22, 32, v22
	v_lshrrev_b16_e32 v21, 3, v14
	v_subrev_u32_e32 v23, 28, v22
	v_and_b32_e32 v21, 15, v21
	v_lshlrev_b32_e32 v14, v23, v14
	v_sub_u32_e32 v22, 29, v22
	v_and_b32_e32 v14, 7, v14
	v_cmp_eq_u16_e32 vcc, 0, v21
	v_cndmask_b32_e32 v14, v20, v14, vcc
	v_cndmask_b32_e32 v20, v21, v22, vcc
	v_lshlrev_b32_e32 v21, 16, v11
	v_mov_b32_e32 v22, 0x3b800000
	v_lshlrev_b32_e32 v14, 20, v14
	v_and_b32_e32 v21, 0x80000000, v21
	v_lshl_add_u32 v20, v20, 23, v22
	v_or3_b32 v20, v21, v20, v14
.LBB47_1584:
	s_or_b64 exec, exec, s[6:7]
	s_nop 0
	v_mfma_f32_16x16x4f32 a[0:3], v10, v20, a[0:3]
	s_movk_i32 s4, 0xff
	v_and_b32_sdwa v14, v15, s4 dst_sel:DWORD dst_unused:UNUSED_PAD src0_sel:WORD_1 src1_sel:DWORD
	s_movk_i32 s4, 0x7f
	v_cmp_lt_i16_e32 vcc, s4, v14
	s_mov_b64 s[4:5], 0
                                        ; implicit-def: $sgpr10
	s_and_saveexec_b64 s[6:7], vcc
	s_xor_b64 s[6:7], exec, s[6:7]
	s_cbranch_execnz .LBB47_3633
; %bb.1585:
	s_or_saveexec_b64 s[6:7], s[6:7]
	v_mov_b32_e32 v10, s10
	s_xor_b64 exec, exec, s[6:7]
	s_cbranch_execnz .LBB47_3636
.LBB47_1586:
	s_or_b64 exec, exec, s[6:7]
	s_and_saveexec_b64 s[6:7], s[4:5]
	s_cbranch_execz .LBB47_1588
.LBB47_1587:
	v_bfe_u32 v10, v15, 16, 3
	v_ffbh_u32_e32 v21, v10
	v_min_u32_e32 v21, 32, v21
	v_lshrrev_b32_e32 v14, 19, v15
	v_subrev_u32_e32 v22, 28, v21
	v_and_b32_e32 v14, 15, v14
	v_lshlrev_b32_sdwa v22, v22, v15 dst_sel:DWORD dst_unused:UNUSED_PAD src0_sel:DWORD src1_sel:WORD_1
	v_bfe_u32 v20, v15, 19, 4
	v_sub_u32_e32 v21, 29, v21
	v_and_b32_e32 v22, 7, v22
	v_cmp_eq_u16_e32 vcc, 0, v14
	v_cndmask_b32_e32 v10, v10, v22, vcc
	v_cndmask_b32_e32 v14, v20, v21, vcc
	v_lshlrev_b32_e32 v20, 8, v15
	v_mov_b32_e32 v21, 0x3b800000
	v_lshlrev_b32_e32 v10, 20, v10
	v_and_b32_e32 v20, 0x80000000, v20
	v_lshl_add_u32 v14, v14, 23, v21
	v_or3_b32 v10, v20, v14, v10
.LBB47_1588:
	s_or_b64 exec, exec, s[6:7]
	s_movk_i32 s4, 0xff
	v_and_b32_sdwa v14, v11, s4 dst_sel:DWORD dst_unused:UNUSED_PAD src0_sel:WORD_1 src1_sel:DWORD
	s_movk_i32 s4, 0x7f
	v_cmp_lt_i16_e32 vcc, s4, v14
	s_mov_b64 s[4:5], 0
                                        ; implicit-def: $sgpr10
	s_and_saveexec_b64 s[6:7], vcc
	s_xor_b64 s[6:7], exec, s[6:7]
	s_cbranch_execnz .LBB47_3637
; %bb.1589:
	s_or_saveexec_b64 s[6:7], s[6:7]
	v_mov_b32_e32 v20, s10
	s_xor_b64 exec, exec, s[6:7]
	s_cbranch_execnz .LBB47_3640
.LBB47_1590:
	s_or_b64 exec, exec, s[6:7]
	s_and_saveexec_b64 s[6:7], s[4:5]
	s_cbranch_execz .LBB47_1592
.LBB47_1591:
	v_bfe_u32 v14, v11, 16, 3
	v_ffbh_u32_e32 v22, v14
	v_min_u32_e32 v22, 32, v22
	v_lshrrev_b32_e32 v20, 19, v11
	v_subrev_u32_e32 v23, 28, v22
	v_and_b32_e32 v20, 15, v20
	v_lshlrev_b32_sdwa v23, v23, v11 dst_sel:DWORD dst_unused:UNUSED_PAD src0_sel:DWORD src1_sel:WORD_1
	v_bfe_u32 v21, v11, 19, 4
	v_sub_u32_e32 v22, 29, v22
	v_and_b32_e32 v23, 7, v23
	v_cmp_eq_u16_e32 vcc, 0, v20
	v_cndmask_b32_e32 v14, v14, v23, vcc
	v_cndmask_b32_e32 v20, v21, v22, vcc
	v_lshlrev_b32_e32 v21, 8, v11
	v_mov_b32_e32 v22, 0x3b800000
	v_lshlrev_b32_e32 v14, 20, v14
	v_and_b32_e32 v21, 0x80000000, v21
	v_lshl_add_u32 v20, v20, 23, v22
	v_or3_b32 v20, v21, v20, v14
.LBB47_1592:
	s_or_b64 exec, exec, s[6:7]
	s_nop 0
	v_mfma_f32_16x16x4f32 a[0:3], v10, v20, a[0:3]
	s_movk_i32 s4, 0x7f
	v_cmp_gt_i16_sdwa s[6:7], v15, s4 src0_sel:BYTE_3 src1_sel:DWORD
	s_mov_b64 s[4:5], 0
                                        ; implicit-def: $sgpr10
	s_and_saveexec_b64 s[8:9], s[6:7]
	s_xor_b64 s[6:7], exec, s[8:9]
	s_cbranch_execnz .LBB47_3641
; %bb.1593:
	s_or_saveexec_b64 s[6:7], s[6:7]
	v_mov_b32_e32 v10, s10
	s_xor_b64 exec, exec, s[6:7]
	s_cbranch_execnz .LBB47_3644
.LBB47_1594:
	s_or_b64 exec, exec, s[6:7]
	s_and_saveexec_b64 s[6:7], s[4:5]
	s_cbranch_execz .LBB47_1596
.LBB47_1595:
	v_bfe_u32 v10, v15, 24, 3
	v_ffbh_u32_e32 v22, v10
	v_min_u32_e32 v22, 32, v22
	v_lshrrev_b32_e32 v20, 27, v15
	v_subrev_u32_e32 v23, 28, v22
	v_and_b32_e32 v14, 0x80000000, v15
	v_and_b32_e32 v20, 15, v20
	v_bfe_u32 v21, v15, 27, 4
	v_lshlrev_b32_sdwa v15, v23, v15 dst_sel:DWORD dst_unused:UNUSED_PAD src0_sel:DWORD src1_sel:BYTE_3
	v_sub_u32_e32 v22, 29, v22
	v_and_b32_e32 v15, 7, v15
	v_cmp_eq_u16_e32 vcc, 0, v20
	v_cndmask_b32_e32 v10, v10, v15, vcc
	v_cndmask_b32_e32 v15, v21, v22, vcc
	v_mov_b32_e32 v20, 0x3b800000
	v_lshlrev_b32_e32 v10, 20, v10
	v_lshl_add_u32 v15, v15, 23, v20
	v_or3_b32 v10, v14, v15, v10
.LBB47_1596:
	s_or_b64 exec, exec, s[6:7]
	s_movk_i32 s4, 0x7f
	v_cmp_gt_i16_sdwa s[6:7], v11, s4 src0_sel:BYTE_3 src1_sel:DWORD
	s_mov_b64 s[4:5], 0
                                        ; implicit-def: $sgpr10
	s_and_saveexec_b64 s[8:9], s[6:7]
	s_xor_b64 s[6:7], exec, s[8:9]
	s_cbranch_execnz .LBB47_3645
; %bb.1597:
	s_or_saveexec_b64 s[6:7], s[6:7]
	v_mov_b32_e32 v14, s10
	s_xor_b64 exec, exec, s[6:7]
	s_cbranch_execnz .LBB47_3648
.LBB47_1598:
	s_or_b64 exec, exec, s[6:7]
	s_and_saveexec_b64 s[6:7], s[4:5]
	s_cbranch_execz .LBB47_1600
.LBB47_1599:
	v_bfe_u32 v14, v11, 24, 3
	v_ffbh_u32_e32 v22, v14
	v_min_u32_e32 v22, 32, v22
	v_lshrrev_b32_e32 v20, 27, v11
	v_subrev_u32_e32 v23, 28, v22
	v_and_b32_e32 v15, 0x80000000, v11
	v_and_b32_e32 v20, 15, v20
	v_bfe_u32 v21, v11, 27, 4
	v_lshlrev_b32_sdwa v11, v23, v11 dst_sel:DWORD dst_unused:UNUSED_PAD src0_sel:DWORD src1_sel:BYTE_3
	v_sub_u32_e32 v22, 29, v22
	v_and_b32_e32 v11, 7, v11
	v_cmp_eq_u16_e32 vcc, 0, v20
	v_cndmask_b32_e32 v11, v14, v11, vcc
	v_cndmask_b32_e32 v14, v21, v22, vcc
	v_mov_b32_e32 v20, 0x3b800000
	v_lshlrev_b32_e32 v11, 20, v11
	v_lshl_add_u32 v14, v14, 23, v20
	v_or3_b32 v14, v15, v14, v11
.LBB47_1600:
	s_or_b64 exec, exec, s[6:7]
	s_nop 0
	v_mfma_f32_16x16x4f32 a[0:3], v10, v14, a[0:3]
	s_movk_i32 s4, 0x7f
	v_cmp_gt_i16_sdwa s[6:7], v16, s4 src0_sel:BYTE_0 src1_sel:DWORD
	s_mov_b64 s[4:5], 0
                                        ; implicit-def: $sgpr10
	s_and_saveexec_b64 s[8:9], s[6:7]
	s_xor_b64 s[6:7], exec, s[8:9]
	s_cbranch_execnz .LBB47_3649
; %bb.1601:
	s_or_saveexec_b64 s[6:7], s[6:7]
	v_mov_b32_e32 v10, s10
	s_xor_b64 exec, exec, s[6:7]
	s_cbranch_execnz .LBB47_3652
.LBB47_1602:
	s_or_b64 exec, exec, s[6:7]
	s_and_saveexec_b64 s[6:7], s[4:5]
	s_cbranch_execz .LBB47_1604
.LBB47_1603:
	v_and_b32_e32 v10, 7, v16
	v_ffbh_u32_e32 v14, v10
	v_min_u32_e32 v14, 32, v14
	v_lshrrev_b16_e32 v11, 3, v16
	v_subrev_u32_e32 v15, 28, v14
	v_and_b32_e32 v11, 15, v11
	v_lshlrev_b32_e32 v15, v15, v16
	v_sub_u32_e32 v14, 29, v14
	v_and_b32_e32 v15, 7, v15
	v_cmp_eq_u16_e32 vcc, 0, v11
	v_cndmask_b32_e32 v10, v10, v15, vcc
	v_cndmask_b32_e32 v11, v11, v14, vcc
	v_lshlrev_b32_e32 v14, 24, v16
	v_mov_b32_e32 v15, 0x3b800000
	v_lshlrev_b32_e32 v10, 20, v10
	v_and_b32_e32 v14, 0x80000000, v14
	v_lshl_add_u32 v11, v11, 23, v15
	v_or3_b32 v10, v14, v11, v10
.LBB47_1604:
	s_or_b64 exec, exec, s[6:7]
	s_movk_i32 s4, 0x7f
	v_cmp_gt_i16_sdwa s[6:7], v12, s4 src0_sel:BYTE_0 src1_sel:DWORD
	s_mov_b64 s[4:5], 0
                                        ; implicit-def: $sgpr10
	s_and_saveexec_b64 s[8:9], s[6:7]
	s_xor_b64 s[6:7], exec, s[8:9]
	s_cbranch_execnz .LBB47_3653
; %bb.1605:
	s_or_saveexec_b64 s[6:7], s[6:7]
	v_mov_b32_e32 v11, s10
	s_xor_b64 exec, exec, s[6:7]
	s_cbranch_execnz .LBB47_3656
.LBB47_1606:
	s_or_b64 exec, exec, s[6:7]
	s_and_saveexec_b64 s[6:7], s[4:5]
	s_cbranch_execz .LBB47_1608
.LBB47_1607:
	v_and_b32_e32 v11, 7, v12
	v_ffbh_u32_e32 v15, v11
	v_min_u32_e32 v15, 32, v15
	v_lshrrev_b16_e32 v14, 3, v12
	v_subrev_u32_e32 v20, 28, v15
	v_and_b32_e32 v14, 15, v14
	v_lshlrev_b32_e32 v20, v20, v12
	v_sub_u32_e32 v15, 29, v15
	v_and_b32_e32 v20, 7, v20
	v_cmp_eq_u16_e32 vcc, 0, v14
	v_cndmask_b32_e32 v11, v11, v20, vcc
	v_cndmask_b32_e32 v14, v14, v15, vcc
	v_lshlrev_b32_e32 v15, 24, v12
	v_mov_b32_e32 v20, 0x3b800000
	v_lshlrev_b32_e32 v11, 20, v11
	v_and_b32_e32 v15, 0x80000000, v15
	v_lshl_add_u32 v14, v14, 23, v20
	v_or3_b32 v11, v15, v14, v11
.LBB47_1608:
	s_or_b64 exec, exec, s[6:7]
	s_nop 0
	v_mfma_f32_16x16x4f32 a[0:3], v10, v11, a[0:3]
	v_lshrrev_b32_e32 v11, 8, v16
	s_movk_i32 s4, 0x7f
	v_cmp_gt_i16_sdwa s[6:7], v11, s4 src0_sel:BYTE_0 src1_sel:DWORD
	s_mov_b64 s[4:5], 0
                                        ; implicit-def: $sgpr10
	s_and_saveexec_b64 s[8:9], s[6:7]
	s_xor_b64 s[6:7], exec, s[8:9]
	s_cbranch_execnz .LBB47_3657
; %bb.1609:
	s_or_saveexec_b64 s[6:7], s[6:7]
	v_mov_b32_e32 v10, s10
	s_xor_b64 exec, exec, s[6:7]
	s_cbranch_execnz .LBB47_3660
.LBB47_1610:
	s_or_b64 exec, exec, s[6:7]
	s_and_saveexec_b64 s[6:7], s[4:5]
	s_cbranch_execz .LBB47_1612
.LBB47_1611:
	v_bfe_u32 v10, v16, 8, 3
	v_ffbh_u32_e32 v15, v10
	v_min_u32_e32 v15, 32, v15
	v_lshrrev_b16_e32 v14, 3, v11
	v_subrev_u32_e32 v20, 28, v15
	v_and_b32_e32 v14, 15, v14
	v_lshlrev_b32_e32 v11, v20, v11
	v_sub_u32_e32 v15, 29, v15
	v_and_b32_e32 v11, 7, v11
	v_cmp_eq_u16_e32 vcc, 0, v14
	v_cndmask_b32_e32 v10, v10, v11, vcc
	v_cndmask_b32_e32 v11, v14, v15, vcc
	v_lshlrev_b32_e32 v14, 16, v16
	v_mov_b32_e32 v15, 0x3b800000
	v_lshlrev_b32_e32 v10, 20, v10
	v_and_b32_e32 v14, 0x80000000, v14
	v_lshl_add_u32 v11, v11, 23, v15
	v_or3_b32 v10, v14, v11, v10
.LBB47_1612:
	s_or_b64 exec, exec, s[6:7]
	v_lshrrev_b32_e32 v11, 8, v12
	s_movk_i32 s4, 0x7f
	v_cmp_gt_i16_sdwa s[6:7], v11, s4 src0_sel:BYTE_0 src1_sel:DWORD
	s_mov_b64 s[4:5], 0
                                        ; implicit-def: $sgpr10
	s_and_saveexec_b64 s[8:9], s[6:7]
	s_xor_b64 s[6:7], exec, s[8:9]
	s_cbranch_execnz .LBB47_3661
; %bb.1613:
	s_or_saveexec_b64 s[6:7], s[6:7]
	v_mov_b32_e32 v14, s10
	s_xor_b64 exec, exec, s[6:7]
	s_cbranch_execnz .LBB47_3664
.LBB47_1614:
	s_or_b64 exec, exec, s[6:7]
	s_and_saveexec_b64 s[6:7], s[4:5]
	s_cbranch_execz .LBB47_1616
.LBB47_1615:
	v_bfe_u32 v14, v12, 8, 3
	v_ffbh_u32_e32 v20, v14
	v_min_u32_e32 v20, 32, v20
	v_lshrrev_b16_e32 v15, 3, v11
	v_subrev_u32_e32 v21, 28, v20
	v_and_b32_e32 v15, 15, v15
	v_lshlrev_b32_e32 v11, v21, v11
	v_sub_u32_e32 v20, 29, v20
	v_and_b32_e32 v11, 7, v11
	v_cmp_eq_u16_e32 vcc, 0, v15
	v_cndmask_b32_e32 v11, v14, v11, vcc
	v_cndmask_b32_e32 v14, v15, v20, vcc
	v_lshlrev_b32_e32 v15, 16, v12
	v_mov_b32_e32 v20, 0x3b800000
	v_lshlrev_b32_e32 v11, 20, v11
	v_and_b32_e32 v15, 0x80000000, v15
	v_lshl_add_u32 v14, v14, 23, v20
	v_or3_b32 v14, v15, v14, v11
.LBB47_1616:
	s_or_b64 exec, exec, s[6:7]
	s_nop 0
	v_mfma_f32_16x16x4f32 a[0:3], v10, v14, a[0:3]
	s_movk_i32 s4, 0xff
	v_and_b32_sdwa v11, v16, s4 dst_sel:DWORD dst_unused:UNUSED_PAD src0_sel:WORD_1 src1_sel:DWORD
	s_movk_i32 s4, 0x7f
	v_cmp_lt_i16_e32 vcc, s4, v11
	s_mov_b64 s[4:5], 0
                                        ; implicit-def: $sgpr10
	s_and_saveexec_b64 s[6:7], vcc
	s_xor_b64 s[6:7], exec, s[6:7]
	s_cbranch_execnz .LBB47_3665
; %bb.1617:
	s_or_saveexec_b64 s[6:7], s[6:7]
	v_mov_b32_e32 v10, s10
	s_xor_b64 exec, exec, s[6:7]
	s_cbranch_execnz .LBB47_3668
.LBB47_1618:
	s_or_b64 exec, exec, s[6:7]
	s_and_saveexec_b64 s[6:7], s[4:5]
	s_cbranch_execz .LBB47_1620
.LBB47_1619:
	v_bfe_u32 v10, v16, 16, 3
	v_ffbh_u32_e32 v15, v10
	v_min_u32_e32 v15, 32, v15
	v_lshrrev_b32_e32 v11, 19, v16
	v_subrev_u32_e32 v20, 28, v15
	v_and_b32_e32 v11, 15, v11
	v_lshlrev_b32_sdwa v20, v20, v16 dst_sel:DWORD dst_unused:UNUSED_PAD src0_sel:DWORD src1_sel:WORD_1
	v_bfe_u32 v14, v16, 19, 4
	v_sub_u32_e32 v15, 29, v15
	v_and_b32_e32 v20, 7, v20
	v_cmp_eq_u16_e32 vcc, 0, v11
	v_cndmask_b32_e32 v10, v10, v20, vcc
	v_cndmask_b32_e32 v11, v14, v15, vcc
	v_lshlrev_b32_e32 v14, 8, v16
	v_mov_b32_e32 v15, 0x3b800000
	v_lshlrev_b32_e32 v10, 20, v10
	v_and_b32_e32 v14, 0x80000000, v14
	v_lshl_add_u32 v11, v11, 23, v15
	v_or3_b32 v10, v14, v11, v10
.LBB47_1620:
	s_or_b64 exec, exec, s[6:7]
	s_movk_i32 s4, 0xff
	v_and_b32_sdwa v11, v12, s4 dst_sel:DWORD dst_unused:UNUSED_PAD src0_sel:WORD_1 src1_sel:DWORD
	s_movk_i32 s4, 0x7f
	v_cmp_lt_i16_e32 vcc, s4, v11
	s_mov_b64 s[4:5], 0
                                        ; implicit-def: $sgpr10
	s_and_saveexec_b64 s[6:7], vcc
	s_xor_b64 s[6:7], exec, s[6:7]
	s_cbranch_execnz .LBB47_3669
; %bb.1621:
	s_or_saveexec_b64 s[6:7], s[6:7]
	v_mov_b32_e32 v14, s10
	s_xor_b64 exec, exec, s[6:7]
	s_cbranch_execnz .LBB47_3672
.LBB47_1622:
	s_or_b64 exec, exec, s[6:7]
	s_and_saveexec_b64 s[6:7], s[4:5]
	s_cbranch_execz .LBB47_1624
.LBB47_1623:
	v_bfe_u32 v11, v12, 16, 3
	v_ffbh_u32_e32 v20, v11
	v_min_u32_e32 v20, 32, v20
	v_lshrrev_b32_e32 v14, 19, v12
	v_subrev_u32_e32 v21, 28, v20
	v_and_b32_e32 v14, 15, v14
	v_lshlrev_b32_sdwa v21, v21, v12 dst_sel:DWORD dst_unused:UNUSED_PAD src0_sel:DWORD src1_sel:WORD_1
	v_bfe_u32 v15, v12, 19, 4
	v_sub_u32_e32 v20, 29, v20
	v_and_b32_e32 v21, 7, v21
	v_cmp_eq_u16_e32 vcc, 0, v14
	v_cndmask_b32_e32 v11, v11, v21, vcc
	v_cndmask_b32_e32 v14, v15, v20, vcc
	v_lshlrev_b32_e32 v15, 8, v12
	v_mov_b32_e32 v20, 0x3b800000
	v_lshlrev_b32_e32 v11, 20, v11
	v_and_b32_e32 v15, 0x80000000, v15
	v_lshl_add_u32 v14, v14, 23, v20
	v_or3_b32 v14, v15, v14, v11
.LBB47_1624:
	s_or_b64 exec, exec, s[6:7]
	s_nop 0
	v_mfma_f32_16x16x4f32 a[0:3], v10, v14, a[0:3]
	s_movk_i32 s4, 0x7f
	v_cmp_gt_i16_sdwa s[6:7], v16, s4 src0_sel:BYTE_3 src1_sel:DWORD
	s_mov_b64 s[4:5], 0
                                        ; implicit-def: $sgpr10
	s_and_saveexec_b64 s[8:9], s[6:7]
	s_xor_b64 s[6:7], exec, s[8:9]
	s_cbranch_execnz .LBB47_3673
; %bb.1625:
	s_or_saveexec_b64 s[6:7], s[6:7]
	v_mov_b32_e32 v10, s10
	s_xor_b64 exec, exec, s[6:7]
	s_cbranch_execnz .LBB47_3676
.LBB47_1626:
	s_or_b64 exec, exec, s[6:7]
	s_and_saveexec_b64 s[6:7], s[4:5]
	s_cbranch_execz .LBB47_1628
.LBB47_1627:
	v_bfe_u32 v10, v16, 24, 3
	v_ffbh_u32_e32 v20, v10
	v_min_u32_e32 v20, 32, v20
	v_lshrrev_b32_e32 v14, 27, v16
	v_subrev_u32_e32 v21, 28, v20
	v_and_b32_e32 v11, 0x80000000, v16
	v_and_b32_e32 v14, 15, v14
	v_bfe_u32 v15, v16, 27, 4
	v_lshlrev_b32_sdwa v16, v21, v16 dst_sel:DWORD dst_unused:UNUSED_PAD src0_sel:DWORD src1_sel:BYTE_3
	v_sub_u32_e32 v20, 29, v20
	v_and_b32_e32 v16, 7, v16
	v_cmp_eq_u16_e32 vcc, 0, v14
	v_cndmask_b32_e32 v10, v10, v16, vcc
	v_cndmask_b32_e32 v14, v15, v20, vcc
	v_mov_b32_e32 v15, 0x3b800000
	v_lshlrev_b32_e32 v10, 20, v10
	v_lshl_add_u32 v14, v14, 23, v15
	v_or3_b32 v10, v11, v14, v10
.LBB47_1628:
	s_or_b64 exec, exec, s[6:7]
	s_movk_i32 s4, 0x7f
	v_cmp_gt_i16_sdwa s[6:7], v12, s4 src0_sel:BYTE_3 src1_sel:DWORD
	s_mov_b64 s[4:5], 0
                                        ; implicit-def: $sgpr10
	s_and_saveexec_b64 s[8:9], s[6:7]
	s_xor_b64 s[6:7], exec, s[8:9]
	s_cbranch_execnz .LBB47_3677
; %bb.1629:
	s_or_saveexec_b64 s[6:7], s[6:7]
	v_mov_b32_e32 v11, s10
	s_xor_b64 exec, exec, s[6:7]
	s_cbranch_execnz .LBB47_3680
.LBB47_1630:
	s_or_b64 exec, exec, s[6:7]
	s_and_saveexec_b64 s[6:7], s[4:5]
	s_cbranch_execz .LBB47_1632
.LBB47_1631:
	v_bfe_u32 v11, v12, 24, 3
	v_ffbh_u32_e32 v20, v11
	v_min_u32_e32 v20, 32, v20
	v_lshrrev_b32_e32 v15, 27, v12
	v_subrev_u32_e32 v21, 28, v20
	v_and_b32_e32 v14, 0x80000000, v12
	v_and_b32_e32 v15, 15, v15
	v_bfe_u32 v16, v12, 27, 4
	v_lshlrev_b32_sdwa v12, v21, v12 dst_sel:DWORD dst_unused:UNUSED_PAD src0_sel:DWORD src1_sel:BYTE_3
	v_sub_u32_e32 v20, 29, v20
	v_and_b32_e32 v12, 7, v12
	v_cmp_eq_u16_e32 vcc, 0, v15
	v_cndmask_b32_e32 v11, v11, v12, vcc
	v_cndmask_b32_e32 v12, v16, v20, vcc
	v_mov_b32_e32 v15, 0x3b800000
	v_lshlrev_b32_e32 v11, 20, v11
	v_lshl_add_u32 v12, v12, 23, v15
	v_or3_b32 v11, v14, v12, v11
.LBB47_1632:
	s_or_b64 exec, exec, s[6:7]
	s_nop 0
	v_mfma_f32_16x16x4f32 a[0:3], v10, v11, a[0:3]
	s_movk_i32 s4, 0x7f
	v_cmp_gt_i16_sdwa s[6:7], v17, s4 src0_sel:BYTE_0 src1_sel:DWORD
	s_mov_b64 s[4:5], 0
                                        ; implicit-def: $sgpr10
	s_and_saveexec_b64 s[8:9], s[6:7]
	s_xor_b64 s[6:7], exec, s[8:9]
	s_cbranch_execnz .LBB47_3681
; %bb.1633:
	s_or_saveexec_b64 s[6:7], s[6:7]
	v_mov_b32_e32 v10, s10
	s_xor_b64 exec, exec, s[6:7]
	s_cbranch_execnz .LBB47_3684
.LBB47_1634:
	s_or_b64 exec, exec, s[6:7]
	s_and_saveexec_b64 s[6:7], s[4:5]
	s_cbranch_execz .LBB47_1636
.LBB47_1635:
	v_and_b32_e32 v10, 7, v17
	v_ffbh_u32_e32 v12, v10
	v_min_u32_e32 v12, 32, v12
	v_lshrrev_b16_e32 v11, 3, v17
	v_subrev_u32_e32 v14, 28, v12
	v_and_b32_e32 v11, 15, v11
	v_lshlrev_b32_e32 v14, v14, v17
	v_sub_u32_e32 v12, 29, v12
	v_and_b32_e32 v14, 7, v14
	v_cmp_eq_u16_e32 vcc, 0, v11
	v_cndmask_b32_e32 v10, v10, v14, vcc
	v_cndmask_b32_e32 v11, v11, v12, vcc
	v_lshlrev_b32_e32 v12, 24, v17
	v_mov_b32_e32 v14, 0x3b800000
	v_lshlrev_b32_e32 v10, 20, v10
	v_and_b32_e32 v12, 0x80000000, v12
	v_lshl_add_u32 v11, v11, 23, v14
	v_or3_b32 v10, v12, v11, v10
.LBB47_1636:
	s_or_b64 exec, exec, s[6:7]
	s_movk_i32 s4, 0x7f
	v_cmp_gt_i16_sdwa s[6:7], v13, s4 src0_sel:BYTE_0 src1_sel:DWORD
	s_mov_b64 s[4:5], 0
                                        ; implicit-def: $sgpr10
	s_and_saveexec_b64 s[8:9], s[6:7]
	s_xor_b64 s[6:7], exec, s[8:9]
	s_cbranch_execnz .LBB47_3685
; %bb.1637:
	s_or_saveexec_b64 s[6:7], s[6:7]
	v_mov_b32_e32 v11, s10
	s_xor_b64 exec, exec, s[6:7]
	s_cbranch_execnz .LBB47_3688
.LBB47_1638:
	s_or_b64 exec, exec, s[6:7]
	s_and_saveexec_b64 s[6:7], s[4:5]
	s_cbranch_execz .LBB47_1640
.LBB47_1639:
	v_and_b32_e32 v11, 7, v13
	v_ffbh_u32_e32 v14, v11
	v_min_u32_e32 v14, 32, v14
	v_lshrrev_b16_e32 v12, 3, v13
	v_subrev_u32_e32 v15, 28, v14
	v_and_b32_e32 v12, 15, v12
	v_lshlrev_b32_e32 v15, v15, v13
	v_sub_u32_e32 v14, 29, v14
	v_and_b32_e32 v15, 7, v15
	v_cmp_eq_u16_e32 vcc, 0, v12
	v_cndmask_b32_e32 v11, v11, v15, vcc
	v_cndmask_b32_e32 v12, v12, v14, vcc
	v_lshlrev_b32_e32 v14, 24, v13
	v_mov_b32_e32 v15, 0x3b800000
	v_lshlrev_b32_e32 v11, 20, v11
	v_and_b32_e32 v14, 0x80000000, v14
	v_lshl_add_u32 v12, v12, 23, v15
	v_or3_b32 v11, v14, v12, v11
.LBB47_1640:
	s_or_b64 exec, exec, s[6:7]
	s_nop 0
	v_mfma_f32_16x16x4f32 a[0:3], v10, v11, a[0:3]
	v_lshrrev_b32_e32 v11, 8, v17
	s_movk_i32 s4, 0x7f
	v_cmp_gt_i16_sdwa s[6:7], v11, s4 src0_sel:BYTE_0 src1_sel:DWORD
	s_mov_b64 s[4:5], 0
                                        ; implicit-def: $sgpr10
	s_and_saveexec_b64 s[8:9], s[6:7]
	s_xor_b64 s[6:7], exec, s[8:9]
	s_cbranch_execnz .LBB47_3689
; %bb.1641:
	s_or_saveexec_b64 s[6:7], s[6:7]
	v_mov_b32_e32 v10, s10
	s_xor_b64 exec, exec, s[6:7]
	s_cbranch_execnz .LBB47_3692
.LBB47_1642:
	s_or_b64 exec, exec, s[6:7]
	s_and_saveexec_b64 s[6:7], s[4:5]
	s_cbranch_execz .LBB47_1644
.LBB47_1643:
	v_bfe_u32 v10, v17, 8, 3
	v_ffbh_u32_e32 v14, v10
	v_min_u32_e32 v14, 32, v14
	v_lshrrev_b16_e32 v12, 3, v11
	v_subrev_u32_e32 v15, 28, v14
	v_and_b32_e32 v12, 15, v12
	v_lshlrev_b32_e32 v11, v15, v11
	v_sub_u32_e32 v14, 29, v14
	v_and_b32_e32 v11, 7, v11
	v_cmp_eq_u16_e32 vcc, 0, v12
	v_cndmask_b32_e32 v10, v10, v11, vcc
	v_cndmask_b32_e32 v11, v12, v14, vcc
	v_lshlrev_b32_e32 v12, 16, v17
	v_mov_b32_e32 v14, 0x3b800000
	v_lshlrev_b32_e32 v10, 20, v10
	v_and_b32_e32 v12, 0x80000000, v12
	v_lshl_add_u32 v11, v11, 23, v14
	v_or3_b32 v10, v12, v11, v10
.LBB47_1644:
	s_or_b64 exec, exec, s[6:7]
	v_lshrrev_b32_e32 v11, 8, v13
	s_movk_i32 s4, 0x7f
	v_cmp_gt_i16_sdwa s[6:7], v11, s4 src0_sel:BYTE_0 src1_sel:DWORD
	s_mov_b64 s[4:5], 0
                                        ; implicit-def: $sgpr10
	s_and_saveexec_b64 s[8:9], s[6:7]
	s_xor_b64 s[6:7], exec, s[8:9]
	s_cbranch_execnz .LBB47_3693
; %bb.1645:
	s_or_saveexec_b64 s[6:7], s[6:7]
	v_mov_b32_e32 v12, s10
	s_xor_b64 exec, exec, s[6:7]
	s_cbranch_execnz .LBB47_3696
.LBB47_1646:
	s_or_b64 exec, exec, s[6:7]
	s_and_saveexec_b64 s[6:7], s[4:5]
	s_cbranch_execz .LBB47_1648
.LBB47_1647:
	v_bfe_u32 v12, v13, 8, 3
	v_ffbh_u32_e32 v15, v12
	v_min_u32_e32 v15, 32, v15
	v_lshrrev_b16_e32 v14, 3, v11
	v_subrev_u32_e32 v16, 28, v15
	v_and_b32_e32 v14, 15, v14
	v_lshlrev_b32_e32 v11, v16, v11
	v_sub_u32_e32 v15, 29, v15
	v_and_b32_e32 v11, 7, v11
	v_cmp_eq_u16_e32 vcc, 0, v14
	v_cndmask_b32_e32 v11, v12, v11, vcc
	v_cndmask_b32_e32 v12, v14, v15, vcc
	v_lshlrev_b32_e32 v14, 16, v13
	v_mov_b32_e32 v15, 0x3b800000
	v_lshlrev_b32_e32 v11, 20, v11
	v_and_b32_e32 v14, 0x80000000, v14
	v_lshl_add_u32 v12, v12, 23, v15
	v_or3_b32 v12, v14, v12, v11
.LBB47_1648:
	s_or_b64 exec, exec, s[6:7]
	s_nop 0
	v_mfma_f32_16x16x4f32 a[0:3], v10, v12, a[0:3]
	s_movk_i32 s4, 0xff
	v_and_b32_sdwa v11, v17, s4 dst_sel:DWORD dst_unused:UNUSED_PAD src0_sel:WORD_1 src1_sel:DWORD
	s_movk_i32 s4, 0x7f
	v_cmp_lt_i16_e32 vcc, s4, v11
	s_mov_b64 s[4:5], 0
                                        ; implicit-def: $sgpr10
	s_and_saveexec_b64 s[6:7], vcc
	s_xor_b64 s[6:7], exec, s[6:7]
	s_cbranch_execnz .LBB47_3697
; %bb.1649:
	s_or_saveexec_b64 s[6:7], s[6:7]
	v_mov_b32_e32 v10, s10
	s_xor_b64 exec, exec, s[6:7]
	s_cbranch_execnz .LBB47_3700
.LBB47_1650:
	s_or_b64 exec, exec, s[6:7]
	s_and_saveexec_b64 s[6:7], s[4:5]
	s_cbranch_execz .LBB47_1652
.LBB47_1651:
	v_bfe_u32 v10, v17, 16, 3
	v_ffbh_u32_e32 v14, v10
	v_min_u32_e32 v14, 32, v14
	v_lshrrev_b32_e32 v11, 19, v17
	v_subrev_u32_e32 v15, 28, v14
	v_and_b32_e32 v11, 15, v11
	v_lshlrev_b32_sdwa v15, v15, v17 dst_sel:DWORD dst_unused:UNUSED_PAD src0_sel:DWORD src1_sel:WORD_1
	v_bfe_u32 v12, v17, 19, 4
	v_sub_u32_e32 v14, 29, v14
	v_and_b32_e32 v15, 7, v15
	v_cmp_eq_u16_e32 vcc, 0, v11
	v_cndmask_b32_e32 v10, v10, v15, vcc
	v_cndmask_b32_e32 v11, v12, v14, vcc
	v_lshlrev_b32_e32 v12, 8, v17
	v_mov_b32_e32 v14, 0x3b800000
	v_lshlrev_b32_e32 v10, 20, v10
	v_and_b32_e32 v12, 0x80000000, v12
	v_lshl_add_u32 v11, v11, 23, v14
	v_or3_b32 v10, v12, v11, v10
.LBB47_1652:
	s_or_b64 exec, exec, s[6:7]
	s_movk_i32 s4, 0xff
	v_and_b32_sdwa v11, v13, s4 dst_sel:DWORD dst_unused:UNUSED_PAD src0_sel:WORD_1 src1_sel:DWORD
	s_movk_i32 s4, 0x7f
	v_cmp_lt_i16_e32 vcc, s4, v11
	s_mov_b64 s[4:5], 0
                                        ; implicit-def: $sgpr10
	s_and_saveexec_b64 s[6:7], vcc
	s_xor_b64 s[6:7], exec, s[6:7]
	s_cbranch_execnz .LBB47_3701
; %bb.1653:
	s_or_saveexec_b64 s[6:7], s[6:7]
	v_mov_b32_e32 v12, s10
	s_xor_b64 exec, exec, s[6:7]
	s_cbranch_execnz .LBB47_3704
.LBB47_1654:
	s_or_b64 exec, exec, s[6:7]
	s_and_saveexec_b64 s[6:7], s[4:5]
	s_cbranch_execz .LBB47_1656
.LBB47_1655:
	v_bfe_u32 v11, v13, 16, 3
	v_ffbh_u32_e32 v15, v11
	v_min_u32_e32 v15, 32, v15
	v_lshrrev_b32_e32 v12, 19, v13
	v_subrev_u32_e32 v16, 28, v15
	v_and_b32_e32 v12, 15, v12
	v_lshlrev_b32_sdwa v16, v16, v13 dst_sel:DWORD dst_unused:UNUSED_PAD src0_sel:DWORD src1_sel:WORD_1
	v_bfe_u32 v14, v13, 19, 4
	v_sub_u32_e32 v15, 29, v15
	v_and_b32_e32 v16, 7, v16
	v_cmp_eq_u16_e32 vcc, 0, v12
	v_cndmask_b32_e32 v11, v11, v16, vcc
	v_cndmask_b32_e32 v12, v14, v15, vcc
	v_lshlrev_b32_e32 v14, 8, v13
	v_mov_b32_e32 v15, 0x3b800000
	v_lshlrev_b32_e32 v11, 20, v11
	v_and_b32_e32 v14, 0x80000000, v14
	v_lshl_add_u32 v12, v12, 23, v15
	v_or3_b32 v12, v14, v12, v11
.LBB47_1656:
	s_or_b64 exec, exec, s[6:7]
	s_nop 0
	v_mfma_f32_16x16x4f32 a[0:3], v10, v12, a[0:3]
	s_movk_i32 s4, 0x7f
	v_cmp_gt_i16_sdwa s[6:7], v17, s4 src0_sel:BYTE_3 src1_sel:DWORD
	s_mov_b64 s[4:5], 0
                                        ; implicit-def: $sgpr10
	s_and_saveexec_b64 s[8:9], s[6:7]
	s_xor_b64 s[6:7], exec, s[8:9]
	s_cbranch_execnz .LBB47_3705
; %bb.1657:
	s_or_saveexec_b64 s[6:7], s[6:7]
	v_mov_b32_e32 v10, s10
	s_xor_b64 exec, exec, s[6:7]
	s_cbranch_execnz .LBB47_3708
.LBB47_1658:
	s_or_b64 exec, exec, s[6:7]
	s_and_saveexec_b64 s[6:7], s[4:5]
	s_cbranch_execz .LBB47_1660
.LBB47_1659:
	v_bfe_u32 v10, v17, 24, 3
	v_ffbh_u32_e32 v15, v10
	v_min_u32_e32 v15, 32, v15
	v_lshrrev_b32_e32 v12, 27, v17
	v_subrev_u32_e32 v16, 28, v15
	v_and_b32_e32 v12, 15, v12
	v_lshlrev_b32_sdwa v16, v16, v17 dst_sel:DWORD dst_unused:UNUSED_PAD src0_sel:DWORD src1_sel:BYTE_3
	v_bfe_u32 v14, v17, 27, 4
	v_sub_u32_e32 v15, 29, v15
	v_and_b32_e32 v16, 7, v16
	v_cmp_eq_u16_e32 vcc, 0, v12
	v_cndmask_b32_e32 v10, v10, v16, vcc
	v_cndmask_b32_e32 v12, v14, v15, vcc
	v_mov_b32_e32 v14, 0x3b800000
	v_and_b32_e32 v11, 0x80000000, v17
	v_lshlrev_b32_e32 v10, 20, v10
	v_lshl_add_u32 v12, v12, 23, v14
	v_or3_b32 v10, v11, v12, v10
.LBB47_1660:
	s_or_b64 exec, exec, s[6:7]
	s_movk_i32 s4, 0x7f
	v_cmp_gt_i16_sdwa s[6:7], v13, s4 src0_sel:BYTE_3 src1_sel:DWORD
	s_mov_b64 s[4:5], 0
                                        ; implicit-def: $sgpr10
	s_and_saveexec_b64 s[8:9], s[6:7]
	s_xor_b64 s[6:7], exec, s[8:9]
	s_cbranch_execnz .LBB47_3709
; %bb.1661:
	s_or_saveexec_b64 s[6:7], s[6:7]
	v_mov_b32_e32 v11, s10
	s_xor_b64 exec, exec, s[6:7]
	s_cbranch_execnz .LBB47_3712
.LBB47_1662:
	s_or_b64 exec, exec, s[6:7]
	s_and_saveexec_b64 s[6:7], s[4:5]
	s_cbranch_execz .LBB47_1664
.LBB47_1663:
	v_bfe_u32 v11, v13, 24, 3
	v_ffbh_u32_e32 v16, v11
	v_min_u32_e32 v16, 32, v16
	v_lshrrev_b32_e32 v14, 27, v13
	v_subrev_u32_e32 v17, 28, v16
	v_and_b32_e32 v12, 0x80000000, v13
	v_and_b32_e32 v14, 15, v14
	v_bfe_u32 v15, v13, 27, 4
	v_lshlrev_b32_sdwa v13, v17, v13 dst_sel:DWORD dst_unused:UNUSED_PAD src0_sel:DWORD src1_sel:BYTE_3
	v_sub_u32_e32 v16, 29, v16
	v_and_b32_e32 v13, 7, v13
	v_cmp_eq_u16_e32 vcc, 0, v14
	v_cndmask_b32_e32 v11, v11, v13, vcc
	v_cndmask_b32_e32 v13, v15, v16, vcc
	v_mov_b32_e32 v14, 0x3b800000
	v_lshlrev_b32_e32 v11, 20, v11
	v_lshl_add_u32 v13, v13, 23, v14
	v_or3_b32 v11, v12, v13, v11
.LBB47_1664:
	s_or_b64 exec, exec, s[6:7]
	s_nop 0
	v_mfma_f32_16x16x4f32 a[0:3], v10, v11, a[0:3]
	s_movk_i32 s4, 0x7f
	v_cmp_gt_i16_sdwa s[6:7], v6, s4 src0_sel:BYTE_0 src1_sel:DWORD
	s_mov_b64 s[4:5], 0
                                        ; implicit-def: $sgpr10
	s_and_saveexec_b64 s[8:9], s[6:7]
	s_xor_b64 s[6:7], exec, s[8:9]
	s_cbranch_execnz .LBB47_3713
; %bb.1665:
	s_or_saveexec_b64 s[6:7], s[6:7]
	v_mov_b32_e32 v10, s10
	s_xor_b64 exec, exec, s[6:7]
	s_cbranch_execnz .LBB47_3716
.LBB47_1666:
	s_or_b64 exec, exec, s[6:7]
	s_and_saveexec_b64 s[6:7], s[4:5]
	s_cbranch_execz .LBB47_1668
.LBB47_1667:
	v_and_b32_e32 v10, 7, v6
	v_ffbh_u32_e32 v12, v10
	v_min_u32_e32 v12, 32, v12
	v_lshrrev_b16_e32 v11, 3, v6
	v_subrev_u32_e32 v13, 28, v12
	v_and_b32_e32 v11, 15, v11
	v_lshlrev_b32_e32 v13, v13, v6
	v_sub_u32_e32 v12, 29, v12
	v_and_b32_e32 v13, 7, v13
	v_cmp_eq_u16_e32 vcc, 0, v11
	v_cndmask_b32_e32 v10, v10, v13, vcc
	v_cndmask_b32_e32 v11, v11, v12, vcc
	v_lshlrev_b32_e32 v12, 24, v6
	v_mov_b32_e32 v13, 0x3b800000
	v_lshlrev_b32_e32 v10, 20, v10
	v_and_b32_e32 v12, 0x80000000, v12
	v_lshl_add_u32 v11, v11, 23, v13
	v_or3_b32 v10, v12, v11, v10
.LBB47_1668:
	s_or_b64 exec, exec, s[6:7]
	s_movk_i32 s4, 0x7f
	v_cmp_gt_i16_sdwa s[6:7], v2, s4 src0_sel:BYTE_0 src1_sel:DWORD
	s_mov_b64 s[4:5], 0
                                        ; implicit-def: $sgpr10
	s_and_saveexec_b64 s[8:9], s[6:7]
	s_xor_b64 s[6:7], exec, s[8:9]
	s_cbranch_execnz .LBB47_3717
; %bb.1669:
	s_or_saveexec_b64 s[6:7], s[6:7]
	v_mov_b32_e32 v11, s10
	s_xor_b64 exec, exec, s[6:7]
	s_cbranch_execnz .LBB47_3720
.LBB47_1670:
	s_or_b64 exec, exec, s[6:7]
	s_and_saveexec_b64 s[6:7], s[4:5]
	s_cbranch_execz .LBB47_1672
.LBB47_1671:
	v_and_b32_e32 v11, 7, v2
	v_ffbh_u32_e32 v13, v11
	v_min_u32_e32 v13, 32, v13
	v_lshrrev_b16_e32 v12, 3, v2
	v_subrev_u32_e32 v14, 28, v13
	v_and_b32_e32 v12, 15, v12
	v_lshlrev_b32_e32 v14, v14, v2
	v_sub_u32_e32 v13, 29, v13
	v_and_b32_e32 v14, 7, v14
	v_cmp_eq_u16_e32 vcc, 0, v12
	v_cndmask_b32_e32 v11, v11, v14, vcc
	v_cndmask_b32_e32 v12, v12, v13, vcc
	v_lshlrev_b32_e32 v13, 24, v2
	v_mov_b32_e32 v14, 0x3b800000
	v_lshlrev_b32_e32 v11, 20, v11
	v_and_b32_e32 v13, 0x80000000, v13
	v_lshl_add_u32 v12, v12, 23, v14
	v_or3_b32 v11, v13, v12, v11
.LBB47_1672:
	s_or_b64 exec, exec, s[6:7]
	s_nop 0
	v_mfma_f32_16x16x4f32 a[0:3], v10, v11, a[0:3]
	v_lshrrev_b32_e32 v11, 8, v6
	s_movk_i32 s4, 0x7f
	v_cmp_gt_i16_sdwa s[6:7], v11, s4 src0_sel:BYTE_0 src1_sel:DWORD
	s_mov_b64 s[4:5], 0
                                        ; implicit-def: $sgpr10
	s_and_saveexec_b64 s[8:9], s[6:7]
	s_xor_b64 s[6:7], exec, s[8:9]
	s_cbranch_execnz .LBB47_3721
; %bb.1673:
	s_or_saveexec_b64 s[6:7], s[6:7]
	v_mov_b32_e32 v10, s10
	s_xor_b64 exec, exec, s[6:7]
	s_cbranch_execnz .LBB47_3724
.LBB47_1674:
	s_or_b64 exec, exec, s[6:7]
	s_and_saveexec_b64 s[6:7], s[4:5]
	s_cbranch_execz .LBB47_1676
.LBB47_1675:
	v_bfe_u32 v10, v6, 8, 3
	v_ffbh_u32_e32 v13, v10
	v_min_u32_e32 v13, 32, v13
	v_lshrrev_b16_e32 v12, 3, v11
	v_subrev_u32_e32 v14, 28, v13
	v_and_b32_e32 v12, 15, v12
	v_lshlrev_b32_e32 v11, v14, v11
	v_sub_u32_e32 v13, 29, v13
	v_and_b32_e32 v11, 7, v11
	v_cmp_eq_u16_e32 vcc, 0, v12
	v_cndmask_b32_e32 v10, v10, v11, vcc
	v_cndmask_b32_e32 v11, v12, v13, vcc
	v_lshlrev_b32_e32 v12, 16, v6
	v_mov_b32_e32 v13, 0x3b800000
	v_lshlrev_b32_e32 v10, 20, v10
	v_and_b32_e32 v12, 0x80000000, v12
	v_lshl_add_u32 v11, v11, 23, v13
	v_or3_b32 v10, v12, v11, v10
.LBB47_1676:
	s_or_b64 exec, exec, s[6:7]
	v_lshrrev_b32_e32 v11, 8, v2
	s_movk_i32 s4, 0x7f
	v_cmp_gt_i16_sdwa s[6:7], v11, s4 src0_sel:BYTE_0 src1_sel:DWORD
	s_mov_b64 s[4:5], 0
                                        ; implicit-def: $sgpr10
	s_and_saveexec_b64 s[8:9], s[6:7]
	s_xor_b64 s[6:7], exec, s[8:9]
	s_cbranch_execnz .LBB47_3725
; %bb.1677:
	s_or_saveexec_b64 s[6:7], s[6:7]
	v_mov_b32_e32 v12, s10
	s_xor_b64 exec, exec, s[6:7]
	s_cbranch_execnz .LBB47_3728
.LBB47_1678:
	s_or_b64 exec, exec, s[6:7]
	s_and_saveexec_b64 s[6:7], s[4:5]
	s_cbranch_execz .LBB47_1680
.LBB47_1679:
	v_bfe_u32 v12, v2, 8, 3
	v_ffbh_u32_e32 v14, v12
	v_min_u32_e32 v14, 32, v14
	v_lshrrev_b16_e32 v13, 3, v11
	v_subrev_u32_e32 v15, 28, v14
	v_and_b32_e32 v13, 15, v13
	v_lshlrev_b32_e32 v11, v15, v11
	v_sub_u32_e32 v14, 29, v14
	v_and_b32_e32 v11, 7, v11
	v_cmp_eq_u16_e32 vcc, 0, v13
	v_cndmask_b32_e32 v11, v12, v11, vcc
	v_cndmask_b32_e32 v12, v13, v14, vcc
	v_lshlrev_b32_e32 v13, 16, v2
	v_mov_b32_e32 v14, 0x3b800000
	v_lshlrev_b32_e32 v11, 20, v11
	v_and_b32_e32 v13, 0x80000000, v13
	v_lshl_add_u32 v12, v12, 23, v14
	v_or3_b32 v12, v13, v12, v11
.LBB47_1680:
	s_or_b64 exec, exec, s[6:7]
	s_nop 0
	v_mfma_f32_16x16x4f32 a[0:3], v10, v12, a[0:3]
	s_movk_i32 s4, 0xff
	v_and_b32_sdwa v11, v6, s4 dst_sel:DWORD dst_unused:UNUSED_PAD src0_sel:WORD_1 src1_sel:DWORD
	s_movk_i32 s4, 0x7f
	v_cmp_lt_i16_e32 vcc, s4, v11
	s_mov_b64 s[4:5], 0
                                        ; implicit-def: $sgpr10
	s_and_saveexec_b64 s[6:7], vcc
	s_xor_b64 s[6:7], exec, s[6:7]
	s_cbranch_execnz .LBB47_3729
; %bb.1681:
	s_or_saveexec_b64 s[6:7], s[6:7]
	v_mov_b32_e32 v10, s10
	s_xor_b64 exec, exec, s[6:7]
	s_cbranch_execnz .LBB47_3732
.LBB47_1682:
	s_or_b64 exec, exec, s[6:7]
	s_and_saveexec_b64 s[6:7], s[4:5]
	s_cbranch_execz .LBB47_1684
.LBB47_1683:
	v_bfe_u32 v10, v6, 16, 3
	v_ffbh_u32_e32 v13, v10
	v_min_u32_e32 v13, 32, v13
	v_lshrrev_b32_e32 v11, 19, v6
	v_subrev_u32_e32 v14, 28, v13
	v_and_b32_e32 v11, 15, v11
	v_lshlrev_b32_sdwa v14, v14, v6 dst_sel:DWORD dst_unused:UNUSED_PAD src0_sel:DWORD src1_sel:WORD_1
	v_bfe_u32 v12, v6, 19, 4
	v_sub_u32_e32 v13, 29, v13
	v_and_b32_e32 v14, 7, v14
	v_cmp_eq_u16_e32 vcc, 0, v11
	v_cndmask_b32_e32 v10, v10, v14, vcc
	v_cndmask_b32_e32 v11, v12, v13, vcc
	v_lshlrev_b32_e32 v12, 8, v6
	v_mov_b32_e32 v13, 0x3b800000
	v_lshlrev_b32_e32 v10, 20, v10
	v_and_b32_e32 v12, 0x80000000, v12
	v_lshl_add_u32 v11, v11, 23, v13
	v_or3_b32 v10, v12, v11, v10
.LBB47_1684:
	s_or_b64 exec, exec, s[6:7]
	s_movk_i32 s4, 0xff
	v_and_b32_sdwa v11, v2, s4 dst_sel:DWORD dst_unused:UNUSED_PAD src0_sel:WORD_1 src1_sel:DWORD
	s_movk_i32 s4, 0x7f
	v_cmp_lt_i16_e32 vcc, s4, v11
	s_mov_b64 s[4:5], 0
                                        ; implicit-def: $sgpr10
	s_and_saveexec_b64 s[6:7], vcc
	s_xor_b64 s[6:7], exec, s[6:7]
	s_cbranch_execnz .LBB47_3733
; %bb.1685:
	s_or_saveexec_b64 s[6:7], s[6:7]
	v_mov_b32_e32 v12, s10
	s_xor_b64 exec, exec, s[6:7]
	s_cbranch_execnz .LBB47_3736
.LBB47_1686:
	s_or_b64 exec, exec, s[6:7]
	s_and_saveexec_b64 s[6:7], s[4:5]
	s_cbranch_execz .LBB47_1688
.LBB47_1687:
	v_bfe_u32 v11, v2, 16, 3
	v_ffbh_u32_e32 v14, v11
	v_min_u32_e32 v14, 32, v14
	v_lshrrev_b32_e32 v12, 19, v2
	v_subrev_u32_e32 v15, 28, v14
	v_and_b32_e32 v12, 15, v12
	v_lshlrev_b32_sdwa v15, v15, v2 dst_sel:DWORD dst_unused:UNUSED_PAD src0_sel:DWORD src1_sel:WORD_1
	v_bfe_u32 v13, v2, 19, 4
	v_sub_u32_e32 v14, 29, v14
	v_and_b32_e32 v15, 7, v15
	v_cmp_eq_u16_e32 vcc, 0, v12
	v_cndmask_b32_e32 v11, v11, v15, vcc
	v_cndmask_b32_e32 v12, v13, v14, vcc
	v_lshlrev_b32_e32 v13, 8, v2
	v_mov_b32_e32 v14, 0x3b800000
	v_lshlrev_b32_e32 v11, 20, v11
	v_and_b32_e32 v13, 0x80000000, v13
	v_lshl_add_u32 v12, v12, 23, v14
	v_or3_b32 v12, v13, v12, v11
.LBB47_1688:
	s_or_b64 exec, exec, s[6:7]
	s_nop 0
	v_mfma_f32_16x16x4f32 a[0:3], v10, v12, a[0:3]
	s_movk_i32 s4, 0x7f
	v_cmp_gt_i16_sdwa s[6:7], v6, s4 src0_sel:BYTE_3 src1_sel:DWORD
	s_mov_b64 s[4:5], 0
                                        ; implicit-def: $sgpr10
	s_and_saveexec_b64 s[8:9], s[6:7]
	s_xor_b64 s[6:7], exec, s[8:9]
	s_cbranch_execnz .LBB47_3737
; %bb.1689:
	s_or_saveexec_b64 s[6:7], s[6:7]
	v_mov_b32_e32 v10, s10
	s_xor_b64 exec, exec, s[6:7]
	s_cbranch_execnz .LBB47_3740
.LBB47_1690:
	s_or_b64 exec, exec, s[6:7]
	s_and_saveexec_b64 s[6:7], s[4:5]
	s_cbranch_execz .LBB47_1692
.LBB47_1691:
	v_bfe_u32 v10, v6, 24, 3
	v_ffbh_u32_e32 v14, v10
	v_min_u32_e32 v14, 32, v14
	v_lshrrev_b32_e32 v12, 27, v6
	v_subrev_u32_e32 v15, 28, v14
	v_and_b32_e32 v11, 0x80000000, v6
	v_and_b32_e32 v12, 15, v12
	v_bfe_u32 v13, v6, 27, 4
	v_lshlrev_b32_sdwa v6, v15, v6 dst_sel:DWORD dst_unused:UNUSED_PAD src0_sel:DWORD src1_sel:BYTE_3
	v_sub_u32_e32 v14, 29, v14
	v_and_b32_e32 v6, 7, v6
	v_cmp_eq_u16_e32 vcc, 0, v12
	v_cndmask_b32_e32 v6, v10, v6, vcc
	v_cndmask_b32_e32 v10, v13, v14, vcc
	v_mov_b32_e32 v12, 0x3b800000
	v_lshlrev_b32_e32 v6, 20, v6
	v_lshl_add_u32 v10, v10, 23, v12
	v_or3_b32 v10, v11, v10, v6
.LBB47_1692:
	s_or_b64 exec, exec, s[6:7]
	s_movk_i32 s4, 0x7f
	v_cmp_gt_i16_sdwa s[6:7], v2, s4 src0_sel:BYTE_3 src1_sel:DWORD
	s_mov_b64 s[4:5], 0
                                        ; implicit-def: $sgpr10
	s_and_saveexec_b64 s[8:9], s[6:7]
	s_xor_b64 s[6:7], exec, s[8:9]
	s_cbranch_execnz .LBB47_3741
; %bb.1693:
	s_or_saveexec_b64 s[6:7], s[6:7]
	v_mov_b32_e32 v6, s10
	s_xor_b64 exec, exec, s[6:7]
	s_cbranch_execnz .LBB47_3744
.LBB47_1694:
	s_or_b64 exec, exec, s[6:7]
	s_and_saveexec_b64 s[6:7], s[4:5]
	s_cbranch_execz .LBB47_1696
.LBB47_1695:
	v_bfe_u32 v6, v2, 24, 3
	v_ffbh_u32_e32 v14, v6
	v_min_u32_e32 v14, 32, v14
	v_lshrrev_b32_e32 v12, 27, v2
	v_subrev_u32_e32 v15, 28, v14
	v_and_b32_e32 v11, 0x80000000, v2
	v_and_b32_e32 v12, 15, v12
	v_bfe_u32 v13, v2, 27, 4
	v_lshlrev_b32_sdwa v2, v15, v2 dst_sel:DWORD dst_unused:UNUSED_PAD src0_sel:DWORD src1_sel:BYTE_3
	v_sub_u32_e32 v14, 29, v14
	v_and_b32_e32 v2, 7, v2
	v_cmp_eq_u16_e32 vcc, 0, v12
	v_cndmask_b32_e32 v2, v6, v2, vcc
	v_cndmask_b32_e32 v6, v13, v14, vcc
	v_mov_b32_e32 v12, 0x3b800000
	v_lshlrev_b32_e32 v2, 20, v2
	v_lshl_add_u32 v6, v6, 23, v12
	v_or3_b32 v6, v11, v6, v2
.LBB47_1696:
	s_or_b64 exec, exec, s[6:7]
	s_nop 0
	v_mfma_f32_16x16x4f32 a[0:3], v10, v6, a[0:3]
	s_movk_i32 s4, 0x7f
	v_cmp_gt_i16_sdwa s[6:7], v7, s4 src0_sel:BYTE_0 src1_sel:DWORD
	s_mov_b64 s[4:5], 0
                                        ; implicit-def: $sgpr10
	s_and_saveexec_b64 s[8:9], s[6:7]
	s_xor_b64 s[6:7], exec, s[8:9]
	s_cbranch_execnz .LBB47_3745
; %bb.1697:
	s_or_saveexec_b64 s[6:7], s[6:7]
	v_mov_b32_e32 v2, s10
	s_xor_b64 exec, exec, s[6:7]
	s_cbranch_execnz .LBB47_3748
.LBB47_1698:
	s_or_b64 exec, exec, s[6:7]
	s_and_saveexec_b64 s[6:7], s[4:5]
	s_cbranch_execz .LBB47_1700
.LBB47_1699:
	v_and_b32_e32 v2, 7, v7
	v_ffbh_u32_e32 v10, v2
	v_min_u32_e32 v10, 32, v10
	v_lshrrev_b16_e32 v6, 3, v7
	v_subrev_u32_e32 v11, 28, v10
	v_and_b32_e32 v6, 15, v6
	v_lshlrev_b32_e32 v11, v11, v7
	v_sub_u32_e32 v10, 29, v10
	v_and_b32_e32 v11, 7, v11
	v_cmp_eq_u16_e32 vcc, 0, v6
	v_cndmask_b32_e32 v2, v2, v11, vcc
	v_cndmask_b32_e32 v6, v6, v10, vcc
	v_lshlrev_b32_e32 v10, 24, v7
	v_mov_b32_e32 v11, 0x3b800000
	v_lshlrev_b32_e32 v2, 20, v2
	v_and_b32_e32 v10, 0x80000000, v10
	v_lshl_add_u32 v6, v6, 23, v11
	v_or3_b32 v2, v10, v6, v2
.LBB47_1700:
	s_or_b64 exec, exec, s[6:7]
	s_movk_i32 s4, 0x7f
	v_cmp_gt_i16_sdwa s[6:7], v3, s4 src0_sel:BYTE_0 src1_sel:DWORD
	s_mov_b64 s[4:5], 0
                                        ; implicit-def: $sgpr10
	s_and_saveexec_b64 s[8:9], s[6:7]
	s_xor_b64 s[6:7], exec, s[8:9]
	s_cbranch_execnz .LBB47_3749
; %bb.1701:
	s_or_saveexec_b64 s[6:7], s[6:7]
	v_mov_b32_e32 v6, s10
	s_xor_b64 exec, exec, s[6:7]
	s_cbranch_execnz .LBB47_3752
.LBB47_1702:
	s_or_b64 exec, exec, s[6:7]
	s_and_saveexec_b64 s[6:7], s[4:5]
	s_cbranch_execz .LBB47_1704
.LBB47_1703:
	v_and_b32_e32 v6, 7, v3
	v_ffbh_u32_e32 v11, v6
	v_min_u32_e32 v11, 32, v11
	v_lshrrev_b16_e32 v10, 3, v3
	v_subrev_u32_e32 v12, 28, v11
	v_and_b32_e32 v10, 15, v10
	v_lshlrev_b32_e32 v12, v12, v3
	v_sub_u32_e32 v11, 29, v11
	v_and_b32_e32 v12, 7, v12
	v_cmp_eq_u16_e32 vcc, 0, v10
	v_cndmask_b32_e32 v6, v6, v12, vcc
	v_cndmask_b32_e32 v10, v10, v11, vcc
	v_lshlrev_b32_e32 v11, 24, v3
	v_mov_b32_e32 v12, 0x3b800000
	v_lshlrev_b32_e32 v6, 20, v6
	v_and_b32_e32 v11, 0x80000000, v11
	v_lshl_add_u32 v10, v10, 23, v12
	v_or3_b32 v6, v11, v10, v6
.LBB47_1704:
	s_or_b64 exec, exec, s[6:7]
	s_nop 0
	v_mfma_f32_16x16x4f32 a[0:3], v2, v6, a[0:3]
	v_lshrrev_b32_e32 v6, 8, v7
	s_movk_i32 s4, 0x7f
	v_cmp_gt_i16_sdwa s[6:7], v6, s4 src0_sel:BYTE_0 src1_sel:DWORD
	s_mov_b64 s[4:5], 0
                                        ; implicit-def: $sgpr10
	s_and_saveexec_b64 s[8:9], s[6:7]
	s_xor_b64 s[6:7], exec, s[8:9]
	s_cbranch_execnz .LBB47_3753
; %bb.1705:
	s_or_saveexec_b64 s[6:7], s[6:7]
	v_mov_b32_e32 v2, s10
	s_xor_b64 exec, exec, s[6:7]
	s_cbranch_execnz .LBB47_3756
.LBB47_1706:
	s_or_b64 exec, exec, s[6:7]
	s_and_saveexec_b64 s[6:7], s[4:5]
	s_cbranch_execz .LBB47_1708
.LBB47_1707:
	v_bfe_u32 v2, v7, 8, 3
	v_ffbh_u32_e32 v11, v2
	v_min_u32_e32 v11, 32, v11
	v_lshrrev_b16_e32 v10, 3, v6
	v_subrev_u32_e32 v12, 28, v11
	v_and_b32_e32 v10, 15, v10
	v_lshlrev_b32_e32 v6, v12, v6
	v_sub_u32_e32 v11, 29, v11
	v_and_b32_e32 v6, 7, v6
	v_cmp_eq_u16_e32 vcc, 0, v10
	v_cndmask_b32_e32 v2, v2, v6, vcc
	v_cndmask_b32_e32 v6, v10, v11, vcc
	v_lshlrev_b32_e32 v10, 16, v7
	v_mov_b32_e32 v11, 0x3b800000
	v_lshlrev_b32_e32 v2, 20, v2
	v_and_b32_e32 v10, 0x80000000, v10
	v_lshl_add_u32 v6, v6, 23, v11
	v_or3_b32 v2, v10, v6, v2
.LBB47_1708:
	s_or_b64 exec, exec, s[6:7]
	v_lshrrev_b32_e32 v6, 8, v3
	s_movk_i32 s4, 0x7f
	v_cmp_gt_i16_sdwa s[6:7], v6, s4 src0_sel:BYTE_0 src1_sel:DWORD
	s_mov_b64 s[4:5], 0
                                        ; implicit-def: $sgpr10
	s_and_saveexec_b64 s[8:9], s[6:7]
	s_xor_b64 s[6:7], exec, s[8:9]
	s_cbranch_execnz .LBB47_3757
; %bb.1709:
	s_or_saveexec_b64 s[6:7], s[6:7]
	v_mov_b32_e32 v10, s10
	s_xor_b64 exec, exec, s[6:7]
	s_cbranch_execnz .LBB47_3760
.LBB47_1710:
	s_or_b64 exec, exec, s[6:7]
	s_and_saveexec_b64 s[6:7], s[4:5]
	s_cbranch_execz .LBB47_1712
.LBB47_1711:
	v_bfe_u32 v10, v3, 8, 3
	v_ffbh_u32_e32 v12, v10
	v_min_u32_e32 v12, 32, v12
	v_lshrrev_b16_e32 v11, 3, v6
	v_subrev_u32_e32 v13, 28, v12
	v_and_b32_e32 v11, 15, v11
	v_lshlrev_b32_e32 v6, v13, v6
	v_sub_u32_e32 v12, 29, v12
	v_and_b32_e32 v6, 7, v6
	v_cmp_eq_u16_e32 vcc, 0, v11
	v_cndmask_b32_e32 v6, v10, v6, vcc
	v_cndmask_b32_e32 v10, v11, v12, vcc
	v_lshlrev_b32_e32 v11, 16, v3
	v_mov_b32_e32 v12, 0x3b800000
	v_lshlrev_b32_e32 v6, 20, v6
	v_and_b32_e32 v11, 0x80000000, v11
	v_lshl_add_u32 v10, v10, 23, v12
	v_or3_b32 v10, v11, v10, v6
.LBB47_1712:
	s_or_b64 exec, exec, s[6:7]
	s_nop 0
	v_mfma_f32_16x16x4f32 a[0:3], v2, v10, a[0:3]
	s_movk_i32 s4, 0xff
	v_and_b32_sdwa v6, v7, s4 dst_sel:DWORD dst_unused:UNUSED_PAD src0_sel:WORD_1 src1_sel:DWORD
	s_movk_i32 s4, 0x7f
	v_cmp_lt_i16_e32 vcc, s4, v6
	s_mov_b64 s[4:5], 0
                                        ; implicit-def: $sgpr10
	s_and_saveexec_b64 s[6:7], vcc
	s_xor_b64 s[6:7], exec, s[6:7]
	s_cbranch_execnz .LBB47_3761
; %bb.1713:
	s_or_saveexec_b64 s[6:7], s[6:7]
	v_mov_b32_e32 v2, s10
	s_xor_b64 exec, exec, s[6:7]
	s_cbranch_execnz .LBB47_3764
.LBB47_1714:
	s_or_b64 exec, exec, s[6:7]
	s_and_saveexec_b64 s[6:7], s[4:5]
	s_cbranch_execz .LBB47_1716
.LBB47_1715:
	v_bfe_u32 v2, v7, 16, 3
	v_ffbh_u32_e32 v11, v2
	v_min_u32_e32 v11, 32, v11
	v_lshrrev_b32_e32 v6, 19, v7
	v_subrev_u32_e32 v12, 28, v11
	v_and_b32_e32 v6, 15, v6
	v_lshlrev_b32_sdwa v12, v12, v7 dst_sel:DWORD dst_unused:UNUSED_PAD src0_sel:DWORD src1_sel:WORD_1
	v_bfe_u32 v10, v7, 19, 4
	v_sub_u32_e32 v11, 29, v11
	v_and_b32_e32 v12, 7, v12
	v_cmp_eq_u16_e32 vcc, 0, v6
	v_cndmask_b32_e32 v2, v2, v12, vcc
	v_cndmask_b32_e32 v6, v10, v11, vcc
	v_lshlrev_b32_e32 v10, 8, v7
	v_mov_b32_e32 v11, 0x3b800000
	v_lshlrev_b32_e32 v2, 20, v2
	v_and_b32_e32 v10, 0x80000000, v10
	v_lshl_add_u32 v6, v6, 23, v11
	v_or3_b32 v2, v10, v6, v2
.LBB47_1716:
	s_or_b64 exec, exec, s[6:7]
	s_movk_i32 s4, 0xff
	v_and_b32_sdwa v6, v3, s4 dst_sel:DWORD dst_unused:UNUSED_PAD src0_sel:WORD_1 src1_sel:DWORD
	s_movk_i32 s4, 0x7f
	v_cmp_lt_i16_e32 vcc, s4, v6
	s_mov_b64 s[4:5], 0
                                        ; implicit-def: $sgpr10
	s_and_saveexec_b64 s[6:7], vcc
	s_xor_b64 s[6:7], exec, s[6:7]
	s_cbranch_execnz .LBB47_3765
; %bb.1717:
	s_or_saveexec_b64 s[6:7], s[6:7]
	v_mov_b32_e32 v10, s10
	s_xor_b64 exec, exec, s[6:7]
	s_cbranch_execnz .LBB47_3768
.LBB47_1718:
	s_or_b64 exec, exec, s[6:7]
	s_and_saveexec_b64 s[6:7], s[4:5]
	s_cbranch_execz .LBB47_1720
.LBB47_1719:
	v_bfe_u32 v6, v3, 16, 3
	v_ffbh_u32_e32 v12, v6
	v_min_u32_e32 v12, 32, v12
	v_lshrrev_b32_e32 v10, 19, v3
	v_subrev_u32_e32 v13, 28, v12
	v_and_b32_e32 v10, 15, v10
	v_lshlrev_b32_sdwa v13, v13, v3 dst_sel:DWORD dst_unused:UNUSED_PAD src0_sel:DWORD src1_sel:WORD_1
	v_bfe_u32 v11, v3, 19, 4
	v_sub_u32_e32 v12, 29, v12
	v_and_b32_e32 v13, 7, v13
	v_cmp_eq_u16_e32 vcc, 0, v10
	v_cndmask_b32_e32 v6, v6, v13, vcc
	v_cndmask_b32_e32 v10, v11, v12, vcc
	v_lshlrev_b32_e32 v11, 8, v3
	v_mov_b32_e32 v12, 0x3b800000
	v_lshlrev_b32_e32 v6, 20, v6
	v_and_b32_e32 v11, 0x80000000, v11
	v_lshl_add_u32 v10, v10, 23, v12
	v_or3_b32 v10, v11, v10, v6
.LBB47_1720:
	s_or_b64 exec, exec, s[6:7]
	s_nop 0
	v_mfma_f32_16x16x4f32 a[0:3], v2, v10, a[0:3]
	s_movk_i32 s4, 0x7f
	v_cmp_gt_i16_sdwa s[6:7], v7, s4 src0_sel:BYTE_3 src1_sel:DWORD
	s_mov_b64 s[4:5], 0
                                        ; implicit-def: $sgpr10
	s_and_saveexec_b64 s[8:9], s[6:7]
	s_xor_b64 s[6:7], exec, s[8:9]
	s_cbranch_execnz .LBB47_3769
; %bb.1721:
	s_or_saveexec_b64 s[6:7], s[6:7]
	v_mov_b32_e32 v2, s10
	s_xor_b64 exec, exec, s[6:7]
	s_cbranch_execnz .LBB47_3772
.LBB47_1722:
	s_or_b64 exec, exec, s[6:7]
	s_and_saveexec_b64 s[6:7], s[4:5]
	s_cbranch_execz .LBB47_1724
.LBB47_1723:
	v_bfe_u32 v2, v7, 24, 3
	v_ffbh_u32_e32 v12, v2
	v_min_u32_e32 v12, 32, v12
	v_lshrrev_b32_e32 v10, 27, v7
	v_subrev_u32_e32 v13, 28, v12
	v_and_b32_e32 v6, 0x80000000, v7
	v_and_b32_e32 v10, 15, v10
	v_bfe_u32 v11, v7, 27, 4
	v_lshlrev_b32_sdwa v7, v13, v7 dst_sel:DWORD dst_unused:UNUSED_PAD src0_sel:DWORD src1_sel:BYTE_3
	v_sub_u32_e32 v12, 29, v12
	v_and_b32_e32 v7, 7, v7
	v_cmp_eq_u16_e32 vcc, 0, v10
	v_cndmask_b32_e32 v2, v2, v7, vcc
	v_cndmask_b32_e32 v7, v11, v12, vcc
	v_mov_b32_e32 v10, 0x3b800000
	v_lshlrev_b32_e32 v2, 20, v2
	v_lshl_add_u32 v7, v7, 23, v10
	v_or3_b32 v2, v6, v7, v2
.LBB47_1724:
	s_or_b64 exec, exec, s[6:7]
	s_movk_i32 s4, 0x7f
	v_cmp_gt_i16_sdwa s[6:7], v3, s4 src0_sel:BYTE_3 src1_sel:DWORD
	s_mov_b64 s[4:5], 0
                                        ; implicit-def: $sgpr10
	s_and_saveexec_b64 s[8:9], s[6:7]
	s_xor_b64 s[6:7], exec, s[8:9]
	s_cbranch_execnz .LBB47_3773
; %bb.1725:
	s_or_saveexec_b64 s[6:7], s[6:7]
	v_mov_b32_e32 v6, s10
	s_xor_b64 exec, exec, s[6:7]
	s_cbranch_execnz .LBB47_3776
.LBB47_1726:
	s_or_b64 exec, exec, s[6:7]
	s_and_saveexec_b64 s[6:7], s[4:5]
	s_cbranch_execz .LBB47_1728
.LBB47_1727:
	v_bfe_u32 v6, v3, 24, 3
	v_ffbh_u32_e32 v12, v6
	v_min_u32_e32 v12, 32, v12
	v_lshrrev_b32_e32 v10, 27, v3
	v_subrev_u32_e32 v13, 28, v12
	v_and_b32_e32 v7, 0x80000000, v3
	v_and_b32_e32 v10, 15, v10
	v_bfe_u32 v11, v3, 27, 4
	v_lshlrev_b32_sdwa v3, v13, v3 dst_sel:DWORD dst_unused:UNUSED_PAD src0_sel:DWORD src1_sel:BYTE_3
	v_sub_u32_e32 v12, 29, v12
	v_and_b32_e32 v3, 7, v3
	v_cmp_eq_u16_e32 vcc, 0, v10
	v_cndmask_b32_e32 v3, v6, v3, vcc
	v_cndmask_b32_e32 v6, v11, v12, vcc
	v_mov_b32_e32 v10, 0x3b800000
	v_lshlrev_b32_e32 v3, 20, v3
	v_lshl_add_u32 v6, v6, 23, v10
	v_or3_b32 v6, v7, v6, v3
.LBB47_1728:
	s_or_b64 exec, exec, s[6:7]
	s_nop 0
	v_mfma_f32_16x16x4f32 a[0:3], v2, v6, a[0:3]
	s_movk_i32 s4, 0x7f
	v_cmp_gt_i16_sdwa s[6:7], v8, s4 src0_sel:BYTE_0 src1_sel:DWORD
	s_mov_b64 s[4:5], 0
                                        ; implicit-def: $sgpr10
	s_and_saveexec_b64 s[8:9], s[6:7]
	s_xor_b64 s[6:7], exec, s[8:9]
	s_cbranch_execnz .LBB47_3777
; %bb.1729:
	s_or_saveexec_b64 s[6:7], s[6:7]
	v_mov_b32_e32 v2, s10
	s_xor_b64 exec, exec, s[6:7]
	s_cbranch_execnz .LBB47_3780
.LBB47_1730:
	s_or_b64 exec, exec, s[6:7]
	s_and_saveexec_b64 s[6:7], s[4:5]
	s_cbranch_execz .LBB47_1732
.LBB47_1731:
	v_and_b32_e32 v2, 7, v8
	v_ffbh_u32_e32 v6, v2
	v_min_u32_e32 v6, 32, v6
	v_lshrrev_b16_e32 v3, 3, v8
	v_subrev_u32_e32 v7, 28, v6
	v_and_b32_e32 v3, 15, v3
	v_lshlrev_b32_e32 v7, v7, v8
	v_sub_u32_e32 v6, 29, v6
	v_and_b32_e32 v7, 7, v7
	v_cmp_eq_u16_e32 vcc, 0, v3
	v_cndmask_b32_e32 v2, v2, v7, vcc
	v_cndmask_b32_e32 v3, v3, v6, vcc
	v_lshlrev_b32_e32 v6, 24, v8
	v_mov_b32_e32 v7, 0x3b800000
	v_lshlrev_b32_e32 v2, 20, v2
	v_and_b32_e32 v6, 0x80000000, v6
	v_lshl_add_u32 v3, v3, 23, v7
	v_or3_b32 v2, v6, v3, v2
.LBB47_1732:
	s_or_b64 exec, exec, s[6:7]
	s_movk_i32 s4, 0x7f
	v_cmp_gt_i16_sdwa s[6:7], v4, s4 src0_sel:BYTE_0 src1_sel:DWORD
	s_mov_b64 s[4:5], 0
                                        ; implicit-def: $sgpr10
	s_and_saveexec_b64 s[8:9], s[6:7]
	s_xor_b64 s[6:7], exec, s[8:9]
	s_cbranch_execnz .LBB47_3781
; %bb.1733:
	s_or_saveexec_b64 s[6:7], s[6:7]
	v_mov_b32_e32 v3, s10
	s_xor_b64 exec, exec, s[6:7]
	s_cbranch_execnz .LBB47_3784
.LBB47_1734:
	s_or_b64 exec, exec, s[6:7]
	s_and_saveexec_b64 s[6:7], s[4:5]
	s_cbranch_execz .LBB47_1736
.LBB47_1735:
	v_and_b32_e32 v3, 7, v4
	v_ffbh_u32_e32 v7, v3
	v_min_u32_e32 v7, 32, v7
	v_lshrrev_b16_e32 v6, 3, v4
	v_subrev_u32_e32 v10, 28, v7
	v_and_b32_e32 v6, 15, v6
	v_lshlrev_b32_e32 v10, v10, v4
	v_sub_u32_e32 v7, 29, v7
	v_and_b32_e32 v10, 7, v10
	v_cmp_eq_u16_e32 vcc, 0, v6
	v_cndmask_b32_e32 v3, v3, v10, vcc
	v_cndmask_b32_e32 v6, v6, v7, vcc
	v_lshlrev_b32_e32 v7, 24, v4
	v_mov_b32_e32 v10, 0x3b800000
	v_lshlrev_b32_e32 v3, 20, v3
	v_and_b32_e32 v7, 0x80000000, v7
	v_lshl_add_u32 v6, v6, 23, v10
	v_or3_b32 v3, v7, v6, v3
.LBB47_1736:
	s_or_b64 exec, exec, s[6:7]
	s_nop 0
	v_mfma_f32_16x16x4f32 a[0:3], v2, v3, a[0:3]
	v_lshrrev_b32_e32 v3, 8, v8
	s_movk_i32 s4, 0x7f
	v_cmp_gt_i16_sdwa s[6:7], v3, s4 src0_sel:BYTE_0 src1_sel:DWORD
	s_mov_b64 s[4:5], 0
                                        ; implicit-def: $sgpr10
	s_and_saveexec_b64 s[8:9], s[6:7]
	s_xor_b64 s[6:7], exec, s[8:9]
	s_cbranch_execnz .LBB47_3785
; %bb.1737:
	s_or_saveexec_b64 s[6:7], s[6:7]
	v_mov_b32_e32 v2, s10
	s_xor_b64 exec, exec, s[6:7]
	s_cbranch_execnz .LBB47_3788
.LBB47_1738:
	s_or_b64 exec, exec, s[6:7]
	s_and_saveexec_b64 s[6:7], s[4:5]
	s_cbranch_execz .LBB47_1740
.LBB47_1739:
	v_bfe_u32 v2, v8, 8, 3
	v_ffbh_u32_e32 v7, v2
	v_min_u32_e32 v7, 32, v7
	v_lshrrev_b16_e32 v6, 3, v3
	v_subrev_u32_e32 v10, 28, v7
	v_and_b32_e32 v6, 15, v6
	v_lshlrev_b32_e32 v3, v10, v3
	v_sub_u32_e32 v7, 29, v7
	v_and_b32_e32 v3, 7, v3
	v_cmp_eq_u16_e32 vcc, 0, v6
	v_cndmask_b32_e32 v2, v2, v3, vcc
	v_cndmask_b32_e32 v3, v6, v7, vcc
	v_lshlrev_b32_e32 v6, 16, v8
	v_mov_b32_e32 v7, 0x3b800000
	v_lshlrev_b32_e32 v2, 20, v2
	v_and_b32_e32 v6, 0x80000000, v6
	v_lshl_add_u32 v3, v3, 23, v7
	v_or3_b32 v2, v6, v3, v2
.LBB47_1740:
	s_or_b64 exec, exec, s[6:7]
	v_lshrrev_b32_e32 v3, 8, v4
	s_movk_i32 s4, 0x7f
	v_cmp_gt_i16_sdwa s[6:7], v3, s4 src0_sel:BYTE_0 src1_sel:DWORD
	s_mov_b64 s[4:5], 0
                                        ; implicit-def: $sgpr10
	s_and_saveexec_b64 s[8:9], s[6:7]
	s_xor_b64 s[6:7], exec, s[8:9]
	s_cbranch_execnz .LBB47_3789
; %bb.1741:
	s_or_saveexec_b64 s[6:7], s[6:7]
	v_mov_b32_e32 v6, s10
	s_xor_b64 exec, exec, s[6:7]
	s_cbranch_execnz .LBB47_3792
.LBB47_1742:
	s_or_b64 exec, exec, s[6:7]
	s_and_saveexec_b64 s[6:7], s[4:5]
	s_cbranch_execz .LBB47_1744
.LBB47_1743:
	v_bfe_u32 v6, v4, 8, 3
	v_ffbh_u32_e32 v10, v6
	v_min_u32_e32 v10, 32, v10
	v_lshrrev_b16_e32 v7, 3, v3
	v_subrev_u32_e32 v11, 28, v10
	v_and_b32_e32 v7, 15, v7
	v_lshlrev_b32_e32 v3, v11, v3
	v_sub_u32_e32 v10, 29, v10
	v_and_b32_e32 v3, 7, v3
	v_cmp_eq_u16_e32 vcc, 0, v7
	v_cndmask_b32_e32 v3, v6, v3, vcc
	v_cndmask_b32_e32 v6, v7, v10, vcc
	v_lshlrev_b32_e32 v7, 16, v4
	v_mov_b32_e32 v10, 0x3b800000
	v_lshlrev_b32_e32 v3, 20, v3
	v_and_b32_e32 v7, 0x80000000, v7
	v_lshl_add_u32 v6, v6, 23, v10
	v_or3_b32 v6, v7, v6, v3
.LBB47_1744:
	s_or_b64 exec, exec, s[6:7]
	s_nop 0
	v_mfma_f32_16x16x4f32 a[0:3], v2, v6, a[0:3]
	s_movk_i32 s4, 0xff
	v_and_b32_sdwa v3, v8, s4 dst_sel:DWORD dst_unused:UNUSED_PAD src0_sel:WORD_1 src1_sel:DWORD
	s_movk_i32 s4, 0x7f
	v_cmp_lt_i16_e32 vcc, s4, v3
	s_mov_b64 s[4:5], 0
                                        ; implicit-def: $sgpr10
	s_and_saveexec_b64 s[6:7], vcc
	s_xor_b64 s[6:7], exec, s[6:7]
	s_cbranch_execnz .LBB47_3793
; %bb.1745:
	s_or_saveexec_b64 s[6:7], s[6:7]
	v_mov_b32_e32 v2, s10
	s_xor_b64 exec, exec, s[6:7]
	s_cbranch_execnz .LBB47_3796
.LBB47_1746:
	s_or_b64 exec, exec, s[6:7]
	s_and_saveexec_b64 s[6:7], s[4:5]
	s_cbranch_execz .LBB47_1748
.LBB47_1747:
	v_bfe_u32 v2, v8, 16, 3
	v_ffbh_u32_e32 v7, v2
	v_min_u32_e32 v7, 32, v7
	v_lshrrev_b32_e32 v3, 19, v8
	v_subrev_u32_e32 v10, 28, v7
	v_and_b32_e32 v3, 15, v3
	v_lshlrev_b32_sdwa v10, v10, v8 dst_sel:DWORD dst_unused:UNUSED_PAD src0_sel:DWORD src1_sel:WORD_1
	v_bfe_u32 v6, v8, 19, 4
	v_sub_u32_e32 v7, 29, v7
	v_and_b32_e32 v10, 7, v10
	v_cmp_eq_u16_e32 vcc, 0, v3
	v_cndmask_b32_e32 v2, v2, v10, vcc
	v_cndmask_b32_e32 v3, v6, v7, vcc
	v_lshlrev_b32_e32 v6, 8, v8
	v_mov_b32_e32 v7, 0x3b800000
	v_lshlrev_b32_e32 v2, 20, v2
	v_and_b32_e32 v6, 0x80000000, v6
	v_lshl_add_u32 v3, v3, 23, v7
	v_or3_b32 v2, v6, v3, v2
.LBB47_1748:
	s_or_b64 exec, exec, s[6:7]
	s_movk_i32 s4, 0xff
	v_and_b32_sdwa v3, v4, s4 dst_sel:DWORD dst_unused:UNUSED_PAD src0_sel:WORD_1 src1_sel:DWORD
	s_movk_i32 s4, 0x7f
	v_cmp_lt_i16_e32 vcc, s4, v3
	s_mov_b64 s[4:5], 0
                                        ; implicit-def: $sgpr10
	s_and_saveexec_b64 s[6:7], vcc
	s_xor_b64 s[6:7], exec, s[6:7]
	s_cbranch_execnz .LBB47_3797
; %bb.1749:
	s_or_saveexec_b64 s[6:7], s[6:7]
	v_mov_b32_e32 v6, s10
	s_xor_b64 exec, exec, s[6:7]
	s_cbranch_execnz .LBB47_3800
.LBB47_1750:
	s_or_b64 exec, exec, s[6:7]
	s_and_saveexec_b64 s[6:7], s[4:5]
	s_cbranch_execz .LBB47_1752
.LBB47_1751:
	v_bfe_u32 v3, v4, 16, 3
	v_ffbh_u32_e32 v10, v3
	v_min_u32_e32 v10, 32, v10
	v_lshrrev_b32_e32 v6, 19, v4
	v_subrev_u32_e32 v11, 28, v10
	v_and_b32_e32 v6, 15, v6
	v_lshlrev_b32_sdwa v11, v11, v4 dst_sel:DWORD dst_unused:UNUSED_PAD src0_sel:DWORD src1_sel:WORD_1
	v_bfe_u32 v7, v4, 19, 4
	v_sub_u32_e32 v10, 29, v10
	v_and_b32_e32 v11, 7, v11
	v_cmp_eq_u16_e32 vcc, 0, v6
	v_cndmask_b32_e32 v3, v3, v11, vcc
	v_cndmask_b32_e32 v6, v7, v10, vcc
	v_lshlrev_b32_e32 v7, 8, v4
	v_mov_b32_e32 v10, 0x3b800000
	v_lshlrev_b32_e32 v3, 20, v3
	v_and_b32_e32 v7, 0x80000000, v7
	v_lshl_add_u32 v6, v6, 23, v10
	v_or3_b32 v6, v7, v6, v3
.LBB47_1752:
	s_or_b64 exec, exec, s[6:7]
	s_nop 0
	v_mfma_f32_16x16x4f32 a[0:3], v2, v6, a[0:3]
	s_movk_i32 s4, 0x7f
	v_cmp_gt_i16_sdwa s[6:7], v8, s4 src0_sel:BYTE_3 src1_sel:DWORD
	s_mov_b64 s[4:5], 0
                                        ; implicit-def: $sgpr10
	s_and_saveexec_b64 s[8:9], s[6:7]
	s_xor_b64 s[6:7], exec, s[8:9]
	s_cbranch_execnz .LBB47_3801
; %bb.1753:
	s_or_saveexec_b64 s[6:7], s[6:7]
	v_mov_b32_e32 v2, s10
	s_xor_b64 exec, exec, s[6:7]
	s_cbranch_execnz .LBB47_3804
.LBB47_1754:
	s_or_b64 exec, exec, s[6:7]
	s_and_saveexec_b64 s[6:7], s[4:5]
	s_cbranch_execz .LBB47_1756
.LBB47_1755:
	v_bfe_u32 v2, v8, 24, 3
	v_ffbh_u32_e32 v10, v2
	v_min_u32_e32 v10, 32, v10
	v_lshrrev_b32_e32 v6, 27, v8
	v_subrev_u32_e32 v11, 28, v10
	v_and_b32_e32 v3, 0x80000000, v8
	v_and_b32_e32 v6, 15, v6
	v_bfe_u32 v7, v8, 27, 4
	v_lshlrev_b32_sdwa v8, v11, v8 dst_sel:DWORD dst_unused:UNUSED_PAD src0_sel:DWORD src1_sel:BYTE_3
	v_sub_u32_e32 v10, 29, v10
	v_and_b32_e32 v8, 7, v8
	v_cmp_eq_u16_e32 vcc, 0, v6
	v_cndmask_b32_e32 v2, v2, v8, vcc
	v_cndmask_b32_e32 v6, v7, v10, vcc
	v_mov_b32_e32 v7, 0x3b800000
	v_lshlrev_b32_e32 v2, 20, v2
	v_lshl_add_u32 v6, v6, 23, v7
	v_or3_b32 v2, v3, v6, v2
.LBB47_1756:
	s_or_b64 exec, exec, s[6:7]
	s_movk_i32 s4, 0x7f
	v_cmp_gt_i16_sdwa s[6:7], v4, s4 src0_sel:BYTE_3 src1_sel:DWORD
	s_mov_b64 s[4:5], 0
                                        ; implicit-def: $sgpr10
	s_and_saveexec_b64 s[8:9], s[6:7]
	s_xor_b64 s[6:7], exec, s[8:9]
	s_cbranch_execnz .LBB47_3805
; %bb.1757:
	s_or_saveexec_b64 s[6:7], s[6:7]
	v_mov_b32_e32 v3, s10
	s_xor_b64 exec, exec, s[6:7]
	s_cbranch_execnz .LBB47_3808
.LBB47_1758:
	s_or_b64 exec, exec, s[6:7]
	s_and_saveexec_b64 s[6:7], s[4:5]
	s_cbranch_execz .LBB47_1760
.LBB47_1759:
	v_bfe_u32 v3, v4, 24, 3
	v_ffbh_u32_e32 v10, v3
	v_min_u32_e32 v10, 32, v10
	v_lshrrev_b32_e32 v7, 27, v4
	v_subrev_u32_e32 v11, 28, v10
	v_and_b32_e32 v6, 0x80000000, v4
	v_and_b32_e32 v7, 15, v7
	v_bfe_u32 v8, v4, 27, 4
	v_lshlrev_b32_sdwa v4, v11, v4 dst_sel:DWORD dst_unused:UNUSED_PAD src0_sel:DWORD src1_sel:BYTE_3
	v_sub_u32_e32 v10, 29, v10
	v_and_b32_e32 v4, 7, v4
	v_cmp_eq_u16_e32 vcc, 0, v7
	v_cndmask_b32_e32 v3, v3, v4, vcc
	v_cndmask_b32_e32 v4, v8, v10, vcc
	v_mov_b32_e32 v7, 0x3b800000
	v_lshlrev_b32_e32 v3, 20, v3
	v_lshl_add_u32 v4, v4, 23, v7
	v_or3_b32 v3, v6, v4, v3
.LBB47_1760:
	s_or_b64 exec, exec, s[6:7]
	s_nop 0
	v_mfma_f32_16x16x4f32 a[0:3], v2, v3, a[0:3]
	s_movk_i32 s4, 0x7f
	v_cmp_gt_i16_sdwa s[6:7], v9, s4 src0_sel:BYTE_0 src1_sel:DWORD
	s_mov_b64 s[4:5], 0
                                        ; implicit-def: $sgpr10
	s_and_saveexec_b64 s[8:9], s[6:7]
	s_xor_b64 s[6:7], exec, s[8:9]
	s_cbranch_execnz .LBB47_3809
; %bb.1761:
	s_or_saveexec_b64 s[6:7], s[6:7]
	v_mov_b32_e32 v2, s10
	s_xor_b64 exec, exec, s[6:7]
	s_cbranch_execnz .LBB47_3812
.LBB47_1762:
	s_or_b64 exec, exec, s[6:7]
	s_and_saveexec_b64 s[6:7], s[4:5]
	s_cbranch_execz .LBB47_1764
.LBB47_1763:
	v_mov_b32_e32 v2, 8
	v_and_b32_e32 v3, 7, v9
	v_lshrrev_b32_sdwa v2, v2, v9 dst_sel:BYTE_1 dst_unused:UNUSED_PAD src0_sel:DWORD src1_sel:DWORD
	v_ffbh_u32_e32 v4, v3
	v_or_b32_sdwa v2, v9, v2 dst_sel:DWORD dst_unused:UNUSED_PAD src0_sel:BYTE_0 src1_sel:DWORD
	v_min_u32_e32 v4, 32, v4
	v_lshrrev_b16_e32 v2, 3, v2
	v_subrev_u32_e32 v6, 28, v4
	v_and_b32_e32 v2, 15, v2
	v_lshlrev_b32_e32 v6, v6, v9
	v_sub_u32_e32 v4, 29, v4
	v_and_b32_e32 v6, 7, v6
	v_cmp_eq_u16_e32 vcc, 0, v2
	v_cndmask_b32_e32 v3, v3, v6, vcc
	v_cndmask_b32_e32 v2, v2, v4, vcc
	v_lshlrev_b32_e32 v4, 24, v9
	v_mov_b32_e32 v6, 0x3b800000
	v_lshlrev_b32_e32 v3, 20, v3
	v_and_b32_e32 v4, 0x80000000, v4
	v_lshl_add_u32 v2, v2, 23, v6
	v_or3_b32 v2, v4, v2, v3
.LBB47_1764:
	s_or_b64 exec, exec, s[6:7]
	s_movk_i32 s4, 0x7f
	v_cmp_gt_i16_sdwa s[6:7], v5, s4 src0_sel:BYTE_0 src1_sel:DWORD
	s_mov_b64 s[4:5], 0
                                        ; implicit-def: $sgpr10
	s_and_saveexec_b64 s[8:9], s[6:7]
	s_xor_b64 s[6:7], exec, s[8:9]
	s_cbranch_execnz .LBB47_3813
; %bb.1765:
	s_or_saveexec_b64 s[6:7], s[6:7]
	v_mov_b32_e32 v3, s10
	s_xor_b64 exec, exec, s[6:7]
	s_cbranch_execnz .LBB47_3816
.LBB47_1766:
	s_or_b64 exec, exec, s[6:7]
	s_and_saveexec_b64 s[6:7], s[4:5]
	s_cbranch_execz .LBB47_1768
.LBB47_1767:
	v_mov_b32_e32 v3, 8
	v_and_b32_e32 v4, 7, v5
	v_lshrrev_b32_sdwa v3, v3, v5 dst_sel:BYTE_1 dst_unused:UNUSED_PAD src0_sel:DWORD src1_sel:DWORD
	v_ffbh_u32_e32 v6, v4
	v_or_b32_sdwa v3, v5, v3 dst_sel:DWORD dst_unused:UNUSED_PAD src0_sel:BYTE_0 src1_sel:DWORD
	v_min_u32_e32 v6, 32, v6
	v_lshrrev_b16_e32 v3, 3, v3
	v_subrev_u32_e32 v7, 28, v6
	v_and_b32_e32 v3, 15, v3
	v_lshlrev_b32_e32 v7, v7, v5
	v_sub_u32_e32 v6, 29, v6
	v_and_b32_e32 v7, 7, v7
	v_cmp_eq_u16_e32 vcc, 0, v3
	v_cndmask_b32_e32 v4, v4, v7, vcc
	v_cndmask_b32_e32 v3, v3, v6, vcc
	v_lshlrev_b32_e32 v6, 24, v5
	v_mov_b32_e32 v7, 0x3b800000
	v_lshlrev_b32_e32 v4, 20, v4
	v_and_b32_e32 v6, 0x80000000, v6
	v_lshl_add_u32 v3, v3, 23, v7
	v_or3_b32 v3, v6, v3, v4
.LBB47_1768:
	s_or_b64 exec, exec, s[6:7]
	s_nop 0
	v_mfma_f32_16x16x4f32 a[0:3], v2, v3, a[0:3]
	v_lshrrev_b32_e32 v3, 8, v9
	s_movk_i32 s4, 0x7f
	v_cmp_gt_i16_sdwa s[6:7], v3, s4 src0_sel:BYTE_0 src1_sel:DWORD
	s_mov_b64 s[4:5], 0
                                        ; implicit-def: $sgpr10
	s_and_saveexec_b64 s[8:9], s[6:7]
	s_xor_b64 s[6:7], exec, s[8:9]
	s_cbranch_execnz .LBB47_3817
; %bb.1769:
	s_or_saveexec_b64 s[6:7], s[6:7]
	v_mov_b32_e32 v2, s10
	s_xor_b64 exec, exec, s[6:7]
	s_cbranch_execnz .LBB47_3820
.LBB47_1770:
	s_or_b64 exec, exec, s[6:7]
	s_and_saveexec_b64 s[6:7], s[4:5]
	s_cbranch_execz .LBB47_1772
.LBB47_1771:
	v_bfe_u32 v2, v9, 8, 3
	v_ffbh_u32_e32 v6, v2
	v_min_u32_e32 v6, 32, v6
	v_lshrrev_b16_e32 v4, 3, v3
	v_subrev_u32_e32 v7, 28, v6
	v_and_b32_e32 v4, 15, v4
	v_lshlrev_b32_e32 v3, v7, v3
	v_sub_u32_e32 v6, 29, v6
	v_and_b32_e32 v3, 7, v3
	v_cmp_eq_u16_e32 vcc, 0, v4
	v_cndmask_b32_e32 v2, v2, v3, vcc
	v_cndmask_b32_e32 v3, v4, v6, vcc
	v_lshlrev_b32_e32 v4, 16, v9
	v_mov_b32_e32 v6, 0x3b800000
	v_lshlrev_b32_e32 v2, 20, v2
	v_and_b32_e32 v4, 0x80000000, v4
	v_lshl_add_u32 v3, v3, 23, v6
	v_or3_b32 v2, v4, v3, v2
.LBB47_1772:
	s_or_b64 exec, exec, s[6:7]
	v_lshrrev_b32_e32 v3, 8, v5
	s_movk_i32 s4, 0x7f
	v_cmp_gt_i16_sdwa s[6:7], v3, s4 src0_sel:BYTE_0 src1_sel:DWORD
	s_mov_b64 s[4:5], 0
                                        ; implicit-def: $sgpr10
	s_and_saveexec_b64 s[8:9], s[6:7]
	s_xor_b64 s[6:7], exec, s[8:9]
	s_cbranch_execnz .LBB47_3821
; %bb.1773:
	s_or_saveexec_b64 s[6:7], s[6:7]
	v_mov_b32_e32 v4, s10
	s_xor_b64 exec, exec, s[6:7]
	s_cbranch_execnz .LBB47_3824
.LBB47_1774:
	s_or_b64 exec, exec, s[6:7]
	s_and_saveexec_b64 s[6:7], s[4:5]
	s_cbranch_execz .LBB47_1776
.LBB47_1775:
	v_bfe_u32 v4, v5, 8, 3
	v_ffbh_u32_e32 v7, v4
	v_min_u32_e32 v7, 32, v7
	v_lshrrev_b16_e32 v6, 3, v3
	v_subrev_u32_e32 v8, 28, v7
	v_and_b32_e32 v6, 15, v6
	v_lshlrev_b32_e32 v3, v8, v3
	v_sub_u32_e32 v7, 29, v7
	v_and_b32_e32 v3, 7, v3
	v_cmp_eq_u16_e32 vcc, 0, v6
	v_cndmask_b32_e32 v3, v4, v3, vcc
	v_cndmask_b32_e32 v4, v6, v7, vcc
	v_lshlrev_b32_e32 v6, 16, v5
	v_mov_b32_e32 v7, 0x3b800000
	v_lshlrev_b32_e32 v3, 20, v3
	v_and_b32_e32 v6, 0x80000000, v6
	v_lshl_add_u32 v4, v4, 23, v7
	v_or3_b32 v4, v6, v4, v3
.LBB47_1776:
	s_or_b64 exec, exec, s[6:7]
	s_nop 0
	v_mfma_f32_16x16x4f32 a[0:3], v2, v4, a[0:3]
	s_movk_i32 s4, 0xff
	v_and_b32_sdwa v3, v9, s4 dst_sel:DWORD dst_unused:UNUSED_PAD src0_sel:WORD_1 src1_sel:DWORD
	s_movk_i32 s4, 0x7f
	v_cmp_lt_i16_e32 vcc, s4, v3
	s_mov_b64 s[4:5], 0
                                        ; implicit-def: $sgpr10
	s_and_saveexec_b64 s[6:7], vcc
	s_xor_b64 s[6:7], exec, s[6:7]
	s_cbranch_execnz .LBB47_3825
; %bb.1777:
	s_or_saveexec_b64 s[6:7], s[6:7]
	v_mov_b32_e32 v2, s10
	s_xor_b64 exec, exec, s[6:7]
	s_cbranch_execnz .LBB47_3828
.LBB47_1778:
	s_or_b64 exec, exec, s[6:7]
	s_and_saveexec_b64 s[6:7], s[4:5]
	s_cbranch_execz .LBB47_1780
.LBB47_1779:
	v_bfe_u32 v2, v9, 16, 3
	v_ffbh_u32_e32 v6, v2
	v_min_u32_e32 v6, 32, v6
	v_lshrrev_b32_e32 v3, 19, v9
	v_subrev_u32_e32 v7, 28, v6
	v_and_b32_e32 v3, 15, v3
	v_lshlrev_b32_sdwa v7, v7, v9 dst_sel:DWORD dst_unused:UNUSED_PAD src0_sel:DWORD src1_sel:WORD_1
	v_bfe_u32 v4, v9, 19, 4
	v_sub_u32_e32 v6, 29, v6
	v_and_b32_e32 v7, 7, v7
	v_cmp_eq_u16_e32 vcc, 0, v3
	v_cndmask_b32_e32 v2, v2, v7, vcc
	v_cndmask_b32_e32 v3, v4, v6, vcc
	v_lshlrev_b32_e32 v4, 8, v9
	v_mov_b32_e32 v6, 0x3b800000
	v_lshlrev_b32_e32 v2, 20, v2
	v_and_b32_e32 v4, 0x80000000, v4
	v_lshl_add_u32 v3, v3, 23, v6
	v_or3_b32 v2, v4, v3, v2
.LBB47_1780:
	s_or_b64 exec, exec, s[6:7]
	s_movk_i32 s4, 0xff
	v_and_b32_sdwa v3, v5, s4 dst_sel:DWORD dst_unused:UNUSED_PAD src0_sel:WORD_1 src1_sel:DWORD
	s_movk_i32 s4, 0x7f
	v_cmp_lt_i16_e32 vcc, s4, v3
	s_mov_b64 s[4:5], 0
                                        ; implicit-def: $sgpr10
	s_and_saveexec_b64 s[6:7], vcc
	s_xor_b64 s[6:7], exec, s[6:7]
	s_cbranch_execnz .LBB47_3829
; %bb.1781:
	s_or_saveexec_b64 s[6:7], s[6:7]
	v_mov_b32_e32 v4, s10
	s_xor_b64 exec, exec, s[6:7]
	s_cbranch_execnz .LBB47_3832
.LBB47_1782:
	s_or_b64 exec, exec, s[6:7]
	s_and_saveexec_b64 s[6:7], s[4:5]
	s_cbranch_execz .LBB47_1784
.LBB47_1783:
	v_bfe_u32 v3, v5, 16, 3
	v_ffbh_u32_e32 v7, v3
	v_min_u32_e32 v7, 32, v7
	v_lshrrev_b32_e32 v4, 19, v5
	v_subrev_u32_e32 v8, 28, v7
	v_and_b32_e32 v4, 15, v4
	v_lshlrev_b32_sdwa v8, v8, v5 dst_sel:DWORD dst_unused:UNUSED_PAD src0_sel:DWORD src1_sel:WORD_1
	v_bfe_u32 v6, v5, 19, 4
	v_sub_u32_e32 v7, 29, v7
	v_and_b32_e32 v8, 7, v8
	v_cmp_eq_u16_e32 vcc, 0, v4
	v_cndmask_b32_e32 v3, v3, v8, vcc
	v_cndmask_b32_e32 v4, v6, v7, vcc
	v_lshlrev_b32_e32 v6, 8, v5
	v_mov_b32_e32 v7, 0x3b800000
	v_lshlrev_b32_e32 v3, 20, v3
	v_and_b32_e32 v6, 0x80000000, v6
	v_lshl_add_u32 v4, v4, 23, v7
	v_or3_b32 v4, v6, v4, v3
.LBB47_1784:
	s_or_b64 exec, exec, s[6:7]
	s_nop 0
	v_mfma_f32_16x16x4f32 a[0:3], v2, v4, a[0:3]
	s_movk_i32 s4, 0x7f
	v_cmp_gt_i16_sdwa s[6:7], v9, s4 src0_sel:BYTE_3 src1_sel:DWORD
	s_mov_b64 s[4:5], 0
                                        ; implicit-def: $sgpr10
	s_and_saveexec_b64 s[8:9], s[6:7]
	s_xor_b64 s[6:7], exec, s[8:9]
	s_cbranch_execnz .LBB47_3833
; %bb.1785:
	s_or_saveexec_b64 s[6:7], s[6:7]
	v_mov_b32_e32 v2, s10
	s_xor_b64 exec, exec, s[6:7]
	s_cbranch_execnz .LBB47_3836
.LBB47_1786:
	s_or_b64 exec, exec, s[6:7]
	s_and_saveexec_b64 s[6:7], s[4:5]
	s_cbranch_execz .LBB47_1788
.LBB47_1787:
	v_bfe_u32 v2, v9, 24, 3
	v_ffbh_u32_e32 v7, v2
	v_min_u32_e32 v7, 32, v7
	v_lshrrev_b32_e32 v4, 27, v9
	v_subrev_u32_e32 v8, 28, v7
	v_and_b32_e32 v4, 15, v4
	v_lshlrev_b32_sdwa v8, v8, v9 dst_sel:DWORD dst_unused:UNUSED_PAD src0_sel:DWORD src1_sel:BYTE_3
	v_bfe_u32 v6, v9, 27, 4
	v_sub_u32_e32 v7, 29, v7
	v_and_b32_e32 v8, 7, v8
	v_cmp_eq_u16_e32 vcc, 0, v4
	v_cndmask_b32_e32 v2, v2, v8, vcc
	v_cndmask_b32_e32 v4, v6, v7, vcc
	v_mov_b32_e32 v6, 0x3b800000
	v_and_b32_e32 v3, 0x80000000, v9
	v_lshlrev_b32_e32 v2, 20, v2
	v_lshl_add_u32 v4, v4, 23, v6
	v_or3_b32 v2, v3, v4, v2
.LBB47_1788:
	s_or_b64 exec, exec, s[6:7]
	s_movk_i32 s4, 0x7f
	v_cmp_gt_i16_sdwa s[6:7], v5, s4 src0_sel:BYTE_3 src1_sel:DWORD
	s_mov_b64 s[4:5], 0
                                        ; implicit-def: $sgpr10
	s_and_saveexec_b64 s[8:9], s[6:7]
	s_xor_b64 s[6:7], exec, s[8:9]
	s_cbranch_execnz .LBB47_3837
; %bb.1789:
	s_or_saveexec_b64 s[6:7], s[6:7]
	v_mov_b32_e32 v3, s10
	s_xor_b64 exec, exec, s[6:7]
	s_cbranch_execnz .LBB47_3840
.LBB47_1790:
	s_or_b64 exec, exec, s[6:7]
	s_and_saveexec_b64 s[6:7], s[4:5]
	s_cbranch_execz .LBB47_1792
.LBB47_1791:
	v_bfe_u32 v3, v5, 24, 3
	v_ffbh_u32_e32 v8, v3
	v_min_u32_e32 v8, 32, v8
	v_lshrrev_b32_e32 v6, 27, v5
	v_subrev_u32_e32 v9, 28, v8
	v_and_b32_e32 v4, 0x80000000, v5
	v_and_b32_e32 v6, 15, v6
	v_bfe_u32 v7, v5, 27, 4
	v_lshlrev_b32_sdwa v5, v9, v5 dst_sel:DWORD dst_unused:UNUSED_PAD src0_sel:DWORD src1_sel:BYTE_3
	v_sub_u32_e32 v8, 29, v8
	v_and_b32_e32 v5, 7, v5
	v_cmp_eq_u16_e32 vcc, 0, v6
	v_cndmask_b32_e32 v3, v3, v5, vcc
	v_cndmask_b32_e32 v5, v7, v8, vcc
	v_mov_b32_e32 v6, 0x3b800000
	v_lshlrev_b32_e32 v3, 20, v3
	v_lshl_add_u32 v5, v5, 23, v6
	v_or3_b32 v3, v4, v5, v3
.LBB47_1792:
	s_or_b64 exec, exec, s[6:7]
	s_nop 0
	v_mfma_f32_16x16x4f32 a[0:3], v2, v3, a[0:3]
	s_movk_i32 s4, 0x7f
                                        ; implicit-def: $sgpr10
	s_nop 7
	s_nop 1
	flat_store_dwordx4 v[18:19], a[0:3] offset:480
	flat_load_dwordx4 v[18:21], v[0:1] offset:8
	s_nop 0
	flat_load_dwordx2 v[16:17], v[0:1] offset:24
	s_waitcnt vmcnt(0) lgkmcnt(0)
	flat_load_dwordx4 v[12:15], v[18:19] offset:32
	flat_load_dwordx4 v[4:7], v[18:19] offset:48
	;; [unrolled: 1-line block ×4, first 2 shown]
	s_waitcnt vmcnt(0) lgkmcnt(0)
	v_cmp_gt_i16_sdwa s[6:7], v12, s4 src0_sel:BYTE_0 src1_sel:DWORD
	s_mov_b64 s[4:5], 0
	s_and_saveexec_b64 s[8:9], s[6:7]
	s_xor_b64 s[6:7], exec, s[8:9]
	s_cbranch_execnz .LBB47_3841
; %bb.1793:
	s_or_saveexec_b64 s[6:7], s[6:7]
	v_mov_b32_e32 v18, s10
	s_xor_b64 exec, exec, s[6:7]
	s_cbranch_execnz .LBB47_3844
.LBB47_1794:
	s_or_b64 exec, exec, s[6:7]
	s_and_saveexec_b64 s[6:7], s[4:5]
	s_cbranch_execz .LBB47_1796
.LBB47_1795:
	v_and_b32_e32 v18, 7, v12
	v_ffbh_u32_e32 v20, v18
	v_min_u32_e32 v20, 32, v20
	v_lshrrev_b16_e32 v19, 3, v12
	v_subrev_u32_e32 v21, 28, v20
	v_and_b32_e32 v19, 15, v19
	v_lshlrev_b32_e32 v21, v21, v12
	v_sub_u32_e32 v20, 29, v20
	v_and_b32_e32 v21, 7, v21
	v_cmp_eq_u16_e32 vcc, 0, v19
	v_cndmask_b32_e32 v18, v18, v21, vcc
	v_cndmask_b32_e32 v19, v19, v20, vcc
	v_lshlrev_b32_e32 v20, 24, v12
	v_mov_b32_e32 v21, 0x3b800000
	v_lshlrev_b32_e32 v18, 20, v18
	v_and_b32_e32 v20, 0x80000000, v20
	v_lshl_add_u32 v19, v19, 23, v21
	v_or3_b32 v18, v20, v19, v18
.LBB47_1796:
	s_or_b64 exec, exec, s[6:7]
	s_movk_i32 s4, 0x7f
	v_cmp_gt_i16_sdwa s[6:7], v8, s4 src0_sel:BYTE_0 src1_sel:DWORD
	s_mov_b64 s[4:5], 0
                                        ; implicit-def: $sgpr10
	s_and_saveexec_b64 s[8:9], s[6:7]
	s_xor_b64 s[6:7], exec, s[8:9]
	s_cbranch_execnz .LBB47_3845
; %bb.1797:
	s_or_saveexec_b64 s[6:7], s[6:7]
	v_mov_b32_e32 v19, s10
	s_xor_b64 exec, exec, s[6:7]
	s_cbranch_execnz .LBB47_3848
.LBB47_1798:
	s_or_b64 exec, exec, s[6:7]
	s_and_saveexec_b64 s[6:7], s[4:5]
	s_cbranch_execz .LBB47_1800
.LBB47_1799:
	v_and_b32_e32 v19, 7, v8
	v_ffbh_u32_e32 v21, v19
	v_min_u32_e32 v21, 32, v21
	v_lshrrev_b16_e32 v20, 3, v8
	v_subrev_u32_e32 v22, 28, v21
	v_and_b32_e32 v20, 15, v20
	v_lshlrev_b32_e32 v22, v22, v8
	v_sub_u32_e32 v21, 29, v21
	v_and_b32_e32 v22, 7, v22
	v_cmp_eq_u16_e32 vcc, 0, v20
	v_cndmask_b32_e32 v19, v19, v22, vcc
	v_cndmask_b32_e32 v20, v20, v21, vcc
	v_lshlrev_b32_e32 v21, 24, v8
	v_mov_b32_e32 v22, 0x3b800000
	v_lshlrev_b32_e32 v19, 20, v19
	v_and_b32_e32 v21, 0x80000000, v21
	v_lshl_add_u32 v20, v20, 23, v22
	v_or3_b32 v19, v21, v20, v19
.LBB47_1800:
	s_or_b64 exec, exec, s[6:7]
	flat_load_dwordx4 a[0:3], v[16:17] offset:496
	s_movk_i32 s4, 0x7f
                                        ; implicit-def: $sgpr10
	s_waitcnt vmcnt(0) lgkmcnt(0)
	v_mfma_f32_16x16x4f32 a[0:3], v18, v19, a[0:3]
	v_lshrrev_b32_e32 v19, 8, v12
	v_cmp_gt_i16_sdwa s[6:7], v19, s4 src0_sel:BYTE_0 src1_sel:DWORD
	s_mov_b64 s[4:5], 0
	s_and_saveexec_b64 s[8:9], s[6:7]
	s_xor_b64 s[6:7], exec, s[8:9]
	s_cbranch_execnz .LBB47_3849
; %bb.1801:
	s_or_saveexec_b64 s[6:7], s[6:7]
	v_mov_b32_e32 v18, s10
	s_xor_b64 exec, exec, s[6:7]
	s_cbranch_execnz .LBB47_3852
.LBB47_1802:
	s_or_b64 exec, exec, s[6:7]
	s_and_saveexec_b64 s[6:7], s[4:5]
	s_cbranch_execz .LBB47_1804
.LBB47_1803:
	v_bfe_u32 v18, v12, 8, 3
	v_ffbh_u32_e32 v21, v18
	v_min_u32_e32 v21, 32, v21
	v_lshrrev_b16_e32 v20, 3, v19
	v_subrev_u32_e32 v22, 28, v21
	v_and_b32_e32 v20, 15, v20
	v_lshlrev_b32_e32 v19, v22, v19
	v_sub_u32_e32 v21, 29, v21
	v_and_b32_e32 v19, 7, v19
	v_cmp_eq_u16_e32 vcc, 0, v20
	v_cndmask_b32_e32 v18, v18, v19, vcc
	v_cndmask_b32_e32 v19, v20, v21, vcc
	v_lshlrev_b32_e32 v20, 16, v12
	v_mov_b32_e32 v21, 0x3b800000
	v_lshlrev_b32_e32 v18, 20, v18
	v_and_b32_e32 v20, 0x80000000, v20
	v_lshl_add_u32 v19, v19, 23, v21
	v_or3_b32 v18, v20, v19, v18
.LBB47_1804:
	s_or_b64 exec, exec, s[6:7]
	v_lshrrev_b32_e32 v19, 8, v8
	s_movk_i32 s4, 0x7f
	v_cmp_gt_i16_sdwa s[6:7], v19, s4 src0_sel:BYTE_0 src1_sel:DWORD
	s_mov_b64 s[4:5], 0
                                        ; implicit-def: $sgpr10
	s_and_saveexec_b64 s[8:9], s[6:7]
	s_xor_b64 s[6:7], exec, s[8:9]
	s_cbranch_execnz .LBB47_3853
; %bb.1805:
	s_or_saveexec_b64 s[6:7], s[6:7]
	v_mov_b32_e32 v20, s10
	s_xor_b64 exec, exec, s[6:7]
	s_cbranch_execnz .LBB47_3856
.LBB47_1806:
	s_or_b64 exec, exec, s[6:7]
	s_and_saveexec_b64 s[6:7], s[4:5]
	s_cbranch_execz .LBB47_1808
.LBB47_1807:
	v_bfe_u32 v20, v8, 8, 3
	v_ffbh_u32_e32 v22, v20
	v_min_u32_e32 v22, 32, v22
	v_lshrrev_b16_e32 v21, 3, v19
	v_subrev_u32_e32 v23, 28, v22
	v_and_b32_e32 v21, 15, v21
	v_lshlrev_b32_e32 v19, v23, v19
	v_sub_u32_e32 v22, 29, v22
	v_and_b32_e32 v19, 7, v19
	v_cmp_eq_u16_e32 vcc, 0, v21
	v_cndmask_b32_e32 v19, v20, v19, vcc
	v_cndmask_b32_e32 v20, v21, v22, vcc
	v_lshlrev_b32_e32 v21, 16, v8
	v_mov_b32_e32 v22, 0x3b800000
	v_lshlrev_b32_e32 v19, 20, v19
	v_and_b32_e32 v21, 0x80000000, v21
	v_lshl_add_u32 v20, v20, 23, v22
	v_or3_b32 v20, v21, v20, v19
.LBB47_1808:
	s_or_b64 exec, exec, s[6:7]
	s_nop 0
	v_mfma_f32_16x16x4f32 a[0:3], v18, v20, a[0:3]
	s_movk_i32 s4, 0xff
	v_and_b32_sdwa v19, v12, s4 dst_sel:DWORD dst_unused:UNUSED_PAD src0_sel:WORD_1 src1_sel:DWORD
	s_movk_i32 s4, 0x7f
	v_cmp_lt_i16_e32 vcc, s4, v19
	s_mov_b64 s[4:5], 0
                                        ; implicit-def: $sgpr10
	s_and_saveexec_b64 s[6:7], vcc
	s_xor_b64 s[6:7], exec, s[6:7]
	s_cbranch_execnz .LBB47_3857
; %bb.1809:
	s_or_saveexec_b64 s[6:7], s[6:7]
	v_mov_b32_e32 v18, s10
	s_xor_b64 exec, exec, s[6:7]
	s_cbranch_execnz .LBB47_3860
.LBB47_1810:
	s_or_b64 exec, exec, s[6:7]
	s_and_saveexec_b64 s[6:7], s[4:5]
	s_cbranch_execz .LBB47_1812
.LBB47_1811:
	v_bfe_u32 v18, v12, 16, 3
	v_ffbh_u32_e32 v21, v18
	v_min_u32_e32 v21, 32, v21
	v_lshrrev_b32_e32 v19, 19, v12
	v_subrev_u32_e32 v22, 28, v21
	v_and_b32_e32 v19, 15, v19
	v_lshlrev_b32_sdwa v22, v22, v12 dst_sel:DWORD dst_unused:UNUSED_PAD src0_sel:DWORD src1_sel:WORD_1
	v_bfe_u32 v20, v12, 19, 4
	v_sub_u32_e32 v21, 29, v21
	v_and_b32_e32 v22, 7, v22
	v_cmp_eq_u16_e32 vcc, 0, v19
	v_cndmask_b32_e32 v18, v18, v22, vcc
	v_cndmask_b32_e32 v19, v20, v21, vcc
	v_lshlrev_b32_e32 v20, 8, v12
	v_mov_b32_e32 v21, 0x3b800000
	v_lshlrev_b32_e32 v18, 20, v18
	v_and_b32_e32 v20, 0x80000000, v20
	v_lshl_add_u32 v19, v19, 23, v21
	v_or3_b32 v18, v20, v19, v18
.LBB47_1812:
	s_or_b64 exec, exec, s[6:7]
	s_movk_i32 s4, 0xff
	v_and_b32_sdwa v19, v8, s4 dst_sel:DWORD dst_unused:UNUSED_PAD src0_sel:WORD_1 src1_sel:DWORD
	s_movk_i32 s4, 0x7f
	v_cmp_lt_i16_e32 vcc, s4, v19
	s_mov_b64 s[4:5], 0
                                        ; implicit-def: $sgpr10
	s_and_saveexec_b64 s[6:7], vcc
	s_xor_b64 s[6:7], exec, s[6:7]
	s_cbranch_execnz .LBB47_3861
; %bb.1813:
	s_or_saveexec_b64 s[6:7], s[6:7]
	v_mov_b32_e32 v20, s10
	s_xor_b64 exec, exec, s[6:7]
	s_cbranch_execnz .LBB47_3864
.LBB47_1814:
	s_or_b64 exec, exec, s[6:7]
	s_and_saveexec_b64 s[6:7], s[4:5]
	s_cbranch_execz .LBB47_1816
.LBB47_1815:
	v_bfe_u32 v19, v8, 16, 3
	v_ffbh_u32_e32 v22, v19
	v_min_u32_e32 v22, 32, v22
	v_lshrrev_b32_e32 v20, 19, v8
	v_subrev_u32_e32 v23, 28, v22
	v_and_b32_e32 v20, 15, v20
	v_lshlrev_b32_sdwa v23, v23, v8 dst_sel:DWORD dst_unused:UNUSED_PAD src0_sel:DWORD src1_sel:WORD_1
	v_bfe_u32 v21, v8, 19, 4
	v_sub_u32_e32 v22, 29, v22
	v_and_b32_e32 v23, 7, v23
	v_cmp_eq_u16_e32 vcc, 0, v20
	v_cndmask_b32_e32 v19, v19, v23, vcc
	v_cndmask_b32_e32 v20, v21, v22, vcc
	v_lshlrev_b32_e32 v21, 8, v8
	v_mov_b32_e32 v22, 0x3b800000
	v_lshlrev_b32_e32 v19, 20, v19
	v_and_b32_e32 v21, 0x80000000, v21
	v_lshl_add_u32 v20, v20, 23, v22
	v_or3_b32 v20, v21, v20, v19
.LBB47_1816:
	s_or_b64 exec, exec, s[6:7]
	s_nop 0
	v_mfma_f32_16x16x4f32 a[0:3], v18, v20, a[0:3]
	s_movk_i32 s4, 0x7f
	v_cmp_gt_i16_sdwa s[6:7], v12, s4 src0_sel:BYTE_3 src1_sel:DWORD
	s_mov_b64 s[4:5], 0
                                        ; implicit-def: $sgpr10
	s_and_saveexec_b64 s[8:9], s[6:7]
	s_xor_b64 s[6:7], exec, s[8:9]
	s_cbranch_execnz .LBB47_3865
; %bb.1817:
	s_or_saveexec_b64 s[6:7], s[6:7]
	v_mov_b32_e32 v18, s10
	s_xor_b64 exec, exec, s[6:7]
	s_cbranch_execnz .LBB47_3868
.LBB47_1818:
	s_or_b64 exec, exec, s[6:7]
	s_and_saveexec_b64 s[6:7], s[4:5]
	s_cbranch_execz .LBB47_1820
.LBB47_1819:
	v_bfe_u32 v18, v12, 24, 3
	v_ffbh_u32_e32 v22, v18
	v_min_u32_e32 v22, 32, v22
	v_lshrrev_b32_e32 v20, 27, v12
	v_subrev_u32_e32 v23, 28, v22
	v_and_b32_e32 v19, 0x80000000, v12
	v_and_b32_e32 v20, 15, v20
	v_bfe_u32 v21, v12, 27, 4
	v_lshlrev_b32_sdwa v12, v23, v12 dst_sel:DWORD dst_unused:UNUSED_PAD src0_sel:DWORD src1_sel:BYTE_3
	v_sub_u32_e32 v22, 29, v22
	v_and_b32_e32 v12, 7, v12
	v_cmp_eq_u16_e32 vcc, 0, v20
	v_cndmask_b32_e32 v12, v18, v12, vcc
	v_cndmask_b32_e32 v18, v21, v22, vcc
	v_mov_b32_e32 v20, 0x3b800000
	v_lshlrev_b32_e32 v12, 20, v12
	v_lshl_add_u32 v18, v18, 23, v20
	v_or3_b32 v18, v19, v18, v12
.LBB47_1820:
	s_or_b64 exec, exec, s[6:7]
	s_movk_i32 s4, 0x7f
	v_cmp_gt_i16_sdwa s[6:7], v8, s4 src0_sel:BYTE_3 src1_sel:DWORD
	s_mov_b64 s[4:5], 0
                                        ; implicit-def: $sgpr10
	s_and_saveexec_b64 s[8:9], s[6:7]
	s_xor_b64 s[6:7], exec, s[8:9]
	s_cbranch_execnz .LBB47_3869
; %bb.1821:
	s_or_saveexec_b64 s[6:7], s[6:7]
	v_mov_b32_e32 v12, s10
	s_xor_b64 exec, exec, s[6:7]
	s_cbranch_execnz .LBB47_3872
.LBB47_1822:
	s_or_b64 exec, exec, s[6:7]
	s_and_saveexec_b64 s[6:7], s[4:5]
	s_cbranch_execz .LBB47_1824
.LBB47_1823:
	v_bfe_u32 v12, v8, 24, 3
	v_ffbh_u32_e32 v22, v12
	v_min_u32_e32 v22, 32, v22
	v_lshrrev_b32_e32 v20, 27, v8
	v_subrev_u32_e32 v23, 28, v22
	v_and_b32_e32 v19, 0x80000000, v8
	v_and_b32_e32 v20, 15, v20
	v_bfe_u32 v21, v8, 27, 4
	v_lshlrev_b32_sdwa v8, v23, v8 dst_sel:DWORD dst_unused:UNUSED_PAD src0_sel:DWORD src1_sel:BYTE_3
	v_sub_u32_e32 v22, 29, v22
	v_and_b32_e32 v8, 7, v8
	v_cmp_eq_u16_e32 vcc, 0, v20
	v_cndmask_b32_e32 v8, v12, v8, vcc
	v_cndmask_b32_e32 v12, v21, v22, vcc
	v_mov_b32_e32 v20, 0x3b800000
	v_lshlrev_b32_e32 v8, 20, v8
	v_lshl_add_u32 v12, v12, 23, v20
	v_or3_b32 v12, v19, v12, v8
.LBB47_1824:
	s_or_b64 exec, exec, s[6:7]
	s_nop 0
	v_mfma_f32_16x16x4f32 a[0:3], v18, v12, a[0:3]
	s_movk_i32 s4, 0x7f
	v_cmp_gt_i16_sdwa s[6:7], v13, s4 src0_sel:BYTE_0 src1_sel:DWORD
	s_mov_b64 s[4:5], 0
                                        ; implicit-def: $sgpr10
	s_and_saveexec_b64 s[8:9], s[6:7]
	s_xor_b64 s[6:7], exec, s[8:9]
	s_cbranch_execnz .LBB47_3873
; %bb.1825:
	s_or_saveexec_b64 s[6:7], s[6:7]
	v_mov_b32_e32 v8, s10
	s_xor_b64 exec, exec, s[6:7]
	s_cbranch_execnz .LBB47_3876
.LBB47_1826:
	s_or_b64 exec, exec, s[6:7]
	s_and_saveexec_b64 s[6:7], s[4:5]
	s_cbranch_execz .LBB47_1828
.LBB47_1827:
	v_and_b32_e32 v8, 7, v13
	v_ffbh_u32_e32 v18, v8
	v_min_u32_e32 v18, 32, v18
	v_lshrrev_b16_e32 v12, 3, v13
	v_subrev_u32_e32 v19, 28, v18
	v_and_b32_e32 v12, 15, v12
	v_lshlrev_b32_e32 v19, v19, v13
	v_sub_u32_e32 v18, 29, v18
	v_and_b32_e32 v19, 7, v19
	v_cmp_eq_u16_e32 vcc, 0, v12
	v_cndmask_b32_e32 v8, v8, v19, vcc
	v_cndmask_b32_e32 v12, v12, v18, vcc
	v_lshlrev_b32_e32 v18, 24, v13
	v_mov_b32_e32 v19, 0x3b800000
	v_lshlrev_b32_e32 v8, 20, v8
	v_and_b32_e32 v18, 0x80000000, v18
	v_lshl_add_u32 v12, v12, 23, v19
	v_or3_b32 v8, v18, v12, v8
.LBB47_1828:
	s_or_b64 exec, exec, s[6:7]
	s_movk_i32 s4, 0x7f
	v_cmp_gt_i16_sdwa s[6:7], v9, s4 src0_sel:BYTE_0 src1_sel:DWORD
	s_mov_b64 s[4:5], 0
                                        ; implicit-def: $sgpr10
	s_and_saveexec_b64 s[8:9], s[6:7]
	s_xor_b64 s[6:7], exec, s[8:9]
	s_cbranch_execnz .LBB47_3877
; %bb.1829:
	s_or_saveexec_b64 s[6:7], s[6:7]
	v_mov_b32_e32 v12, s10
	s_xor_b64 exec, exec, s[6:7]
	s_cbranch_execnz .LBB47_3880
.LBB47_1830:
	s_or_b64 exec, exec, s[6:7]
	s_and_saveexec_b64 s[6:7], s[4:5]
	s_cbranch_execz .LBB47_1832
.LBB47_1831:
	v_and_b32_e32 v12, 7, v9
	v_ffbh_u32_e32 v19, v12
	v_min_u32_e32 v19, 32, v19
	v_lshrrev_b16_e32 v18, 3, v9
	v_subrev_u32_e32 v20, 28, v19
	v_and_b32_e32 v18, 15, v18
	v_lshlrev_b32_e32 v20, v20, v9
	v_sub_u32_e32 v19, 29, v19
	v_and_b32_e32 v20, 7, v20
	v_cmp_eq_u16_e32 vcc, 0, v18
	v_cndmask_b32_e32 v12, v12, v20, vcc
	v_cndmask_b32_e32 v18, v18, v19, vcc
	v_lshlrev_b32_e32 v19, 24, v9
	v_mov_b32_e32 v20, 0x3b800000
	v_lshlrev_b32_e32 v12, 20, v12
	v_and_b32_e32 v19, 0x80000000, v19
	v_lshl_add_u32 v18, v18, 23, v20
	v_or3_b32 v12, v19, v18, v12
.LBB47_1832:
	s_or_b64 exec, exec, s[6:7]
	s_nop 0
	v_mfma_f32_16x16x4f32 a[0:3], v8, v12, a[0:3]
	v_lshrrev_b32_e32 v12, 8, v13
	s_movk_i32 s4, 0x7f
	v_cmp_gt_i16_sdwa s[6:7], v12, s4 src0_sel:BYTE_0 src1_sel:DWORD
	s_mov_b64 s[4:5], 0
                                        ; implicit-def: $sgpr10
	s_and_saveexec_b64 s[8:9], s[6:7]
	s_xor_b64 s[6:7], exec, s[8:9]
	s_cbranch_execnz .LBB47_3881
; %bb.1833:
	s_or_saveexec_b64 s[6:7], s[6:7]
	v_mov_b32_e32 v8, s10
	s_xor_b64 exec, exec, s[6:7]
	s_cbranch_execnz .LBB47_3884
.LBB47_1834:
	s_or_b64 exec, exec, s[6:7]
	s_and_saveexec_b64 s[6:7], s[4:5]
	s_cbranch_execz .LBB47_1836
.LBB47_1835:
	v_bfe_u32 v8, v13, 8, 3
	v_ffbh_u32_e32 v19, v8
	v_min_u32_e32 v19, 32, v19
	v_lshrrev_b16_e32 v18, 3, v12
	v_subrev_u32_e32 v20, 28, v19
	v_and_b32_e32 v18, 15, v18
	v_lshlrev_b32_e32 v12, v20, v12
	v_sub_u32_e32 v19, 29, v19
	v_and_b32_e32 v12, 7, v12
	v_cmp_eq_u16_e32 vcc, 0, v18
	v_cndmask_b32_e32 v8, v8, v12, vcc
	v_cndmask_b32_e32 v12, v18, v19, vcc
	v_lshlrev_b32_e32 v18, 16, v13
	v_mov_b32_e32 v19, 0x3b800000
	v_lshlrev_b32_e32 v8, 20, v8
	v_and_b32_e32 v18, 0x80000000, v18
	v_lshl_add_u32 v12, v12, 23, v19
	v_or3_b32 v8, v18, v12, v8
.LBB47_1836:
	s_or_b64 exec, exec, s[6:7]
	v_lshrrev_b32_e32 v12, 8, v9
	s_movk_i32 s4, 0x7f
	v_cmp_gt_i16_sdwa s[6:7], v12, s4 src0_sel:BYTE_0 src1_sel:DWORD
	s_mov_b64 s[4:5], 0
                                        ; implicit-def: $sgpr10
	s_and_saveexec_b64 s[8:9], s[6:7]
	s_xor_b64 s[6:7], exec, s[8:9]
	s_cbranch_execnz .LBB47_3885
; %bb.1837:
	s_or_saveexec_b64 s[6:7], s[6:7]
	v_mov_b32_e32 v18, s10
	s_xor_b64 exec, exec, s[6:7]
	s_cbranch_execnz .LBB47_3888
.LBB47_1838:
	s_or_b64 exec, exec, s[6:7]
	s_and_saveexec_b64 s[6:7], s[4:5]
	s_cbranch_execz .LBB47_1840
.LBB47_1839:
	v_bfe_u32 v18, v9, 8, 3
	v_ffbh_u32_e32 v20, v18
	v_min_u32_e32 v20, 32, v20
	v_lshrrev_b16_e32 v19, 3, v12
	v_subrev_u32_e32 v21, 28, v20
	v_and_b32_e32 v19, 15, v19
	v_lshlrev_b32_e32 v12, v21, v12
	v_sub_u32_e32 v20, 29, v20
	v_and_b32_e32 v12, 7, v12
	v_cmp_eq_u16_e32 vcc, 0, v19
	v_cndmask_b32_e32 v12, v18, v12, vcc
	v_cndmask_b32_e32 v18, v19, v20, vcc
	v_lshlrev_b32_e32 v19, 16, v9
	v_mov_b32_e32 v20, 0x3b800000
	v_lshlrev_b32_e32 v12, 20, v12
	v_and_b32_e32 v19, 0x80000000, v19
	v_lshl_add_u32 v18, v18, 23, v20
	v_or3_b32 v18, v19, v18, v12
.LBB47_1840:
	s_or_b64 exec, exec, s[6:7]
	s_nop 0
	v_mfma_f32_16x16x4f32 a[0:3], v8, v18, a[0:3]
	s_movk_i32 s4, 0xff
	v_and_b32_sdwa v12, v13, s4 dst_sel:DWORD dst_unused:UNUSED_PAD src0_sel:WORD_1 src1_sel:DWORD
	s_movk_i32 s4, 0x7f
	v_cmp_lt_i16_e32 vcc, s4, v12
	s_mov_b64 s[4:5], 0
                                        ; implicit-def: $sgpr10
	s_and_saveexec_b64 s[6:7], vcc
	s_xor_b64 s[6:7], exec, s[6:7]
	s_cbranch_execnz .LBB47_3889
; %bb.1841:
	s_or_saveexec_b64 s[6:7], s[6:7]
	v_mov_b32_e32 v8, s10
	s_xor_b64 exec, exec, s[6:7]
	s_cbranch_execnz .LBB47_3892
.LBB47_1842:
	s_or_b64 exec, exec, s[6:7]
	s_and_saveexec_b64 s[6:7], s[4:5]
	s_cbranch_execz .LBB47_1844
.LBB47_1843:
	v_bfe_u32 v8, v13, 16, 3
	v_ffbh_u32_e32 v19, v8
	v_min_u32_e32 v19, 32, v19
	v_lshrrev_b32_e32 v12, 19, v13
	v_subrev_u32_e32 v20, 28, v19
	v_and_b32_e32 v12, 15, v12
	v_lshlrev_b32_sdwa v20, v20, v13 dst_sel:DWORD dst_unused:UNUSED_PAD src0_sel:DWORD src1_sel:WORD_1
	v_bfe_u32 v18, v13, 19, 4
	v_sub_u32_e32 v19, 29, v19
	v_and_b32_e32 v20, 7, v20
	v_cmp_eq_u16_e32 vcc, 0, v12
	v_cndmask_b32_e32 v8, v8, v20, vcc
	v_cndmask_b32_e32 v12, v18, v19, vcc
	v_lshlrev_b32_e32 v18, 8, v13
	v_mov_b32_e32 v19, 0x3b800000
	v_lshlrev_b32_e32 v8, 20, v8
	v_and_b32_e32 v18, 0x80000000, v18
	v_lshl_add_u32 v12, v12, 23, v19
	v_or3_b32 v8, v18, v12, v8
.LBB47_1844:
	s_or_b64 exec, exec, s[6:7]
	s_movk_i32 s4, 0xff
	v_and_b32_sdwa v12, v9, s4 dst_sel:DWORD dst_unused:UNUSED_PAD src0_sel:WORD_1 src1_sel:DWORD
	s_movk_i32 s4, 0x7f
	v_cmp_lt_i16_e32 vcc, s4, v12
	s_mov_b64 s[4:5], 0
                                        ; implicit-def: $sgpr10
	s_and_saveexec_b64 s[6:7], vcc
	s_xor_b64 s[6:7], exec, s[6:7]
	s_cbranch_execnz .LBB47_3893
; %bb.1845:
	s_or_saveexec_b64 s[6:7], s[6:7]
	v_mov_b32_e32 v18, s10
	s_xor_b64 exec, exec, s[6:7]
	s_cbranch_execnz .LBB47_3896
.LBB47_1846:
	s_or_b64 exec, exec, s[6:7]
	s_and_saveexec_b64 s[6:7], s[4:5]
	s_cbranch_execz .LBB47_1848
.LBB47_1847:
	v_bfe_u32 v12, v9, 16, 3
	v_ffbh_u32_e32 v20, v12
	v_min_u32_e32 v20, 32, v20
	v_lshrrev_b32_e32 v18, 19, v9
	v_subrev_u32_e32 v21, 28, v20
	v_and_b32_e32 v18, 15, v18
	v_lshlrev_b32_sdwa v21, v21, v9 dst_sel:DWORD dst_unused:UNUSED_PAD src0_sel:DWORD src1_sel:WORD_1
	v_bfe_u32 v19, v9, 19, 4
	v_sub_u32_e32 v20, 29, v20
	v_and_b32_e32 v21, 7, v21
	v_cmp_eq_u16_e32 vcc, 0, v18
	v_cndmask_b32_e32 v12, v12, v21, vcc
	v_cndmask_b32_e32 v18, v19, v20, vcc
	v_lshlrev_b32_e32 v19, 8, v9
	v_mov_b32_e32 v20, 0x3b800000
	v_lshlrev_b32_e32 v12, 20, v12
	v_and_b32_e32 v19, 0x80000000, v19
	v_lshl_add_u32 v18, v18, 23, v20
	v_or3_b32 v18, v19, v18, v12
.LBB47_1848:
	s_or_b64 exec, exec, s[6:7]
	s_nop 0
	v_mfma_f32_16x16x4f32 a[0:3], v8, v18, a[0:3]
	s_movk_i32 s4, 0x7f
	v_cmp_gt_i16_sdwa s[6:7], v13, s4 src0_sel:BYTE_3 src1_sel:DWORD
	s_mov_b64 s[4:5], 0
                                        ; implicit-def: $sgpr10
	s_and_saveexec_b64 s[8:9], s[6:7]
	s_xor_b64 s[6:7], exec, s[8:9]
	s_cbranch_execnz .LBB47_3897
; %bb.1849:
	s_or_saveexec_b64 s[6:7], s[6:7]
	v_mov_b32_e32 v8, s10
	s_xor_b64 exec, exec, s[6:7]
	s_cbranch_execnz .LBB47_3900
.LBB47_1850:
	s_or_b64 exec, exec, s[6:7]
	s_and_saveexec_b64 s[6:7], s[4:5]
	s_cbranch_execz .LBB47_1852
.LBB47_1851:
	v_bfe_u32 v8, v13, 24, 3
	v_ffbh_u32_e32 v20, v8
	v_min_u32_e32 v20, 32, v20
	v_lshrrev_b32_e32 v18, 27, v13
	v_subrev_u32_e32 v21, 28, v20
	v_and_b32_e32 v12, 0x80000000, v13
	v_and_b32_e32 v18, 15, v18
	v_bfe_u32 v19, v13, 27, 4
	v_lshlrev_b32_sdwa v13, v21, v13 dst_sel:DWORD dst_unused:UNUSED_PAD src0_sel:DWORD src1_sel:BYTE_3
	v_sub_u32_e32 v20, 29, v20
	v_and_b32_e32 v13, 7, v13
	v_cmp_eq_u16_e32 vcc, 0, v18
	v_cndmask_b32_e32 v8, v8, v13, vcc
	v_cndmask_b32_e32 v13, v19, v20, vcc
	v_mov_b32_e32 v18, 0x3b800000
	v_lshlrev_b32_e32 v8, 20, v8
	v_lshl_add_u32 v13, v13, 23, v18
	v_or3_b32 v8, v12, v13, v8
.LBB47_1852:
	s_or_b64 exec, exec, s[6:7]
	s_movk_i32 s4, 0x7f
	v_cmp_gt_i16_sdwa s[6:7], v9, s4 src0_sel:BYTE_3 src1_sel:DWORD
	s_mov_b64 s[4:5], 0
                                        ; implicit-def: $sgpr10
	s_and_saveexec_b64 s[8:9], s[6:7]
	s_xor_b64 s[6:7], exec, s[8:9]
	s_cbranch_execnz .LBB47_3901
; %bb.1853:
	s_or_saveexec_b64 s[6:7], s[6:7]
	v_mov_b32_e32 v12, s10
	s_xor_b64 exec, exec, s[6:7]
	s_cbranch_execnz .LBB47_3904
.LBB47_1854:
	s_or_b64 exec, exec, s[6:7]
	s_and_saveexec_b64 s[6:7], s[4:5]
	s_cbranch_execz .LBB47_1856
.LBB47_1855:
	v_bfe_u32 v12, v9, 24, 3
	v_ffbh_u32_e32 v20, v12
	v_min_u32_e32 v20, 32, v20
	v_lshrrev_b32_e32 v18, 27, v9
	v_subrev_u32_e32 v21, 28, v20
	v_and_b32_e32 v13, 0x80000000, v9
	v_and_b32_e32 v18, 15, v18
	v_bfe_u32 v19, v9, 27, 4
	v_lshlrev_b32_sdwa v9, v21, v9 dst_sel:DWORD dst_unused:UNUSED_PAD src0_sel:DWORD src1_sel:BYTE_3
	v_sub_u32_e32 v20, 29, v20
	v_and_b32_e32 v9, 7, v9
	v_cmp_eq_u16_e32 vcc, 0, v18
	v_cndmask_b32_e32 v9, v12, v9, vcc
	v_cndmask_b32_e32 v12, v19, v20, vcc
	v_mov_b32_e32 v18, 0x3b800000
	v_lshlrev_b32_e32 v9, 20, v9
	v_lshl_add_u32 v12, v12, 23, v18
	v_or3_b32 v12, v13, v12, v9
.LBB47_1856:
	s_or_b64 exec, exec, s[6:7]
	s_nop 0
	v_mfma_f32_16x16x4f32 a[0:3], v8, v12, a[0:3]
	s_movk_i32 s4, 0x7f
	v_cmp_gt_i16_sdwa s[6:7], v14, s4 src0_sel:BYTE_0 src1_sel:DWORD
	s_mov_b64 s[4:5], 0
                                        ; implicit-def: $sgpr10
	s_and_saveexec_b64 s[8:9], s[6:7]
	s_xor_b64 s[6:7], exec, s[8:9]
	s_cbranch_execnz .LBB47_3905
; %bb.1857:
	s_or_saveexec_b64 s[6:7], s[6:7]
	v_mov_b32_e32 v8, s10
	s_xor_b64 exec, exec, s[6:7]
	s_cbranch_execnz .LBB47_3908
.LBB47_1858:
	s_or_b64 exec, exec, s[6:7]
	s_and_saveexec_b64 s[6:7], s[4:5]
	s_cbranch_execz .LBB47_1860
.LBB47_1859:
	v_and_b32_e32 v8, 7, v14
	v_ffbh_u32_e32 v12, v8
	v_min_u32_e32 v12, 32, v12
	v_lshrrev_b16_e32 v9, 3, v14
	v_subrev_u32_e32 v13, 28, v12
	v_and_b32_e32 v9, 15, v9
	v_lshlrev_b32_e32 v13, v13, v14
	v_sub_u32_e32 v12, 29, v12
	v_and_b32_e32 v13, 7, v13
	v_cmp_eq_u16_e32 vcc, 0, v9
	v_cndmask_b32_e32 v8, v8, v13, vcc
	v_cndmask_b32_e32 v9, v9, v12, vcc
	v_lshlrev_b32_e32 v12, 24, v14
	v_mov_b32_e32 v13, 0x3b800000
	v_lshlrev_b32_e32 v8, 20, v8
	v_and_b32_e32 v12, 0x80000000, v12
	v_lshl_add_u32 v9, v9, 23, v13
	v_or3_b32 v8, v12, v9, v8
.LBB47_1860:
	s_or_b64 exec, exec, s[6:7]
	s_movk_i32 s4, 0x7f
	v_cmp_gt_i16_sdwa s[6:7], v10, s4 src0_sel:BYTE_0 src1_sel:DWORD
	s_mov_b64 s[4:5], 0
                                        ; implicit-def: $sgpr10
	s_and_saveexec_b64 s[8:9], s[6:7]
	s_xor_b64 s[6:7], exec, s[8:9]
	s_cbranch_execnz .LBB47_3909
; %bb.1861:
	s_or_saveexec_b64 s[6:7], s[6:7]
	v_mov_b32_e32 v9, s10
	s_xor_b64 exec, exec, s[6:7]
	s_cbranch_execnz .LBB47_3912
.LBB47_1862:
	s_or_b64 exec, exec, s[6:7]
	s_and_saveexec_b64 s[6:7], s[4:5]
	s_cbranch_execz .LBB47_1864
.LBB47_1863:
	v_and_b32_e32 v9, 7, v10
	v_ffbh_u32_e32 v13, v9
	v_min_u32_e32 v13, 32, v13
	v_lshrrev_b16_e32 v12, 3, v10
	v_subrev_u32_e32 v18, 28, v13
	v_and_b32_e32 v12, 15, v12
	v_lshlrev_b32_e32 v18, v18, v10
	v_sub_u32_e32 v13, 29, v13
	v_and_b32_e32 v18, 7, v18
	v_cmp_eq_u16_e32 vcc, 0, v12
	v_cndmask_b32_e32 v9, v9, v18, vcc
	v_cndmask_b32_e32 v12, v12, v13, vcc
	v_lshlrev_b32_e32 v13, 24, v10
	v_mov_b32_e32 v18, 0x3b800000
	v_lshlrev_b32_e32 v9, 20, v9
	v_and_b32_e32 v13, 0x80000000, v13
	v_lshl_add_u32 v12, v12, 23, v18
	v_or3_b32 v9, v13, v12, v9
.LBB47_1864:
	s_or_b64 exec, exec, s[6:7]
	s_nop 0
	v_mfma_f32_16x16x4f32 a[0:3], v8, v9, a[0:3]
	v_lshrrev_b32_e32 v9, 8, v14
	s_movk_i32 s4, 0x7f
	v_cmp_gt_i16_sdwa s[6:7], v9, s4 src0_sel:BYTE_0 src1_sel:DWORD
	s_mov_b64 s[4:5], 0
                                        ; implicit-def: $sgpr10
	s_and_saveexec_b64 s[8:9], s[6:7]
	s_xor_b64 s[6:7], exec, s[8:9]
	s_cbranch_execnz .LBB47_3913
; %bb.1865:
	s_or_saveexec_b64 s[6:7], s[6:7]
	v_mov_b32_e32 v8, s10
	s_xor_b64 exec, exec, s[6:7]
	s_cbranch_execnz .LBB47_3916
.LBB47_1866:
	s_or_b64 exec, exec, s[6:7]
	s_and_saveexec_b64 s[6:7], s[4:5]
	s_cbranch_execz .LBB47_1868
.LBB47_1867:
	v_bfe_u32 v8, v14, 8, 3
	v_ffbh_u32_e32 v13, v8
	v_min_u32_e32 v13, 32, v13
	v_lshrrev_b16_e32 v12, 3, v9
	v_subrev_u32_e32 v18, 28, v13
	v_and_b32_e32 v12, 15, v12
	v_lshlrev_b32_e32 v9, v18, v9
	v_sub_u32_e32 v13, 29, v13
	v_and_b32_e32 v9, 7, v9
	v_cmp_eq_u16_e32 vcc, 0, v12
	v_cndmask_b32_e32 v8, v8, v9, vcc
	v_cndmask_b32_e32 v9, v12, v13, vcc
	v_lshlrev_b32_e32 v12, 16, v14
	v_mov_b32_e32 v13, 0x3b800000
	v_lshlrev_b32_e32 v8, 20, v8
	v_and_b32_e32 v12, 0x80000000, v12
	v_lshl_add_u32 v9, v9, 23, v13
	v_or3_b32 v8, v12, v9, v8
.LBB47_1868:
	s_or_b64 exec, exec, s[6:7]
	v_lshrrev_b32_e32 v9, 8, v10
	s_movk_i32 s4, 0x7f
	v_cmp_gt_i16_sdwa s[6:7], v9, s4 src0_sel:BYTE_0 src1_sel:DWORD
	s_mov_b64 s[4:5], 0
                                        ; implicit-def: $sgpr10
	s_and_saveexec_b64 s[8:9], s[6:7]
	s_xor_b64 s[6:7], exec, s[8:9]
	s_cbranch_execnz .LBB47_3917
; %bb.1869:
	s_or_saveexec_b64 s[6:7], s[6:7]
	v_mov_b32_e32 v12, s10
	s_xor_b64 exec, exec, s[6:7]
	s_cbranch_execnz .LBB47_3920
.LBB47_1870:
	s_or_b64 exec, exec, s[6:7]
	s_and_saveexec_b64 s[6:7], s[4:5]
	s_cbranch_execz .LBB47_1872
.LBB47_1871:
	v_bfe_u32 v12, v10, 8, 3
	v_ffbh_u32_e32 v18, v12
	v_min_u32_e32 v18, 32, v18
	v_lshrrev_b16_e32 v13, 3, v9
	v_subrev_u32_e32 v19, 28, v18
	v_and_b32_e32 v13, 15, v13
	v_lshlrev_b32_e32 v9, v19, v9
	v_sub_u32_e32 v18, 29, v18
	v_and_b32_e32 v9, 7, v9
	v_cmp_eq_u16_e32 vcc, 0, v13
	v_cndmask_b32_e32 v9, v12, v9, vcc
	v_cndmask_b32_e32 v12, v13, v18, vcc
	v_lshlrev_b32_e32 v13, 16, v10
	v_mov_b32_e32 v18, 0x3b800000
	v_lshlrev_b32_e32 v9, 20, v9
	v_and_b32_e32 v13, 0x80000000, v13
	v_lshl_add_u32 v12, v12, 23, v18
	v_or3_b32 v12, v13, v12, v9
.LBB47_1872:
	s_or_b64 exec, exec, s[6:7]
	s_nop 0
	v_mfma_f32_16x16x4f32 a[0:3], v8, v12, a[0:3]
	s_movk_i32 s4, 0xff
	v_and_b32_sdwa v9, v14, s4 dst_sel:DWORD dst_unused:UNUSED_PAD src0_sel:WORD_1 src1_sel:DWORD
	s_movk_i32 s4, 0x7f
	v_cmp_lt_i16_e32 vcc, s4, v9
	s_mov_b64 s[4:5], 0
                                        ; implicit-def: $sgpr10
	s_and_saveexec_b64 s[6:7], vcc
	s_xor_b64 s[6:7], exec, s[6:7]
	s_cbranch_execnz .LBB47_3921
; %bb.1873:
	s_or_saveexec_b64 s[6:7], s[6:7]
	v_mov_b32_e32 v8, s10
	s_xor_b64 exec, exec, s[6:7]
	s_cbranch_execnz .LBB47_3924
.LBB47_1874:
	s_or_b64 exec, exec, s[6:7]
	s_and_saveexec_b64 s[6:7], s[4:5]
	s_cbranch_execz .LBB47_1876
.LBB47_1875:
	v_bfe_u32 v8, v14, 16, 3
	v_ffbh_u32_e32 v13, v8
	v_min_u32_e32 v13, 32, v13
	v_lshrrev_b32_e32 v9, 19, v14
	v_subrev_u32_e32 v18, 28, v13
	v_and_b32_e32 v9, 15, v9
	v_lshlrev_b32_sdwa v18, v18, v14 dst_sel:DWORD dst_unused:UNUSED_PAD src0_sel:DWORD src1_sel:WORD_1
	v_bfe_u32 v12, v14, 19, 4
	v_sub_u32_e32 v13, 29, v13
	v_and_b32_e32 v18, 7, v18
	v_cmp_eq_u16_e32 vcc, 0, v9
	v_cndmask_b32_e32 v8, v8, v18, vcc
	v_cndmask_b32_e32 v9, v12, v13, vcc
	v_lshlrev_b32_e32 v12, 8, v14
	v_mov_b32_e32 v13, 0x3b800000
	v_lshlrev_b32_e32 v8, 20, v8
	v_and_b32_e32 v12, 0x80000000, v12
	v_lshl_add_u32 v9, v9, 23, v13
	v_or3_b32 v8, v12, v9, v8
.LBB47_1876:
	s_or_b64 exec, exec, s[6:7]
	s_movk_i32 s4, 0xff
	v_and_b32_sdwa v9, v10, s4 dst_sel:DWORD dst_unused:UNUSED_PAD src0_sel:WORD_1 src1_sel:DWORD
	s_movk_i32 s4, 0x7f
	v_cmp_lt_i16_e32 vcc, s4, v9
	s_mov_b64 s[4:5], 0
                                        ; implicit-def: $sgpr10
	s_and_saveexec_b64 s[6:7], vcc
	s_xor_b64 s[6:7], exec, s[6:7]
	s_cbranch_execnz .LBB47_3925
; %bb.1877:
	s_or_saveexec_b64 s[6:7], s[6:7]
	v_mov_b32_e32 v12, s10
	s_xor_b64 exec, exec, s[6:7]
	s_cbranch_execnz .LBB47_3928
.LBB47_1878:
	s_or_b64 exec, exec, s[6:7]
	s_and_saveexec_b64 s[6:7], s[4:5]
	s_cbranch_execz .LBB47_1880
.LBB47_1879:
	v_bfe_u32 v9, v10, 16, 3
	v_ffbh_u32_e32 v18, v9
	v_min_u32_e32 v18, 32, v18
	v_lshrrev_b32_e32 v12, 19, v10
	v_subrev_u32_e32 v19, 28, v18
	v_and_b32_e32 v12, 15, v12
	v_lshlrev_b32_sdwa v19, v19, v10 dst_sel:DWORD dst_unused:UNUSED_PAD src0_sel:DWORD src1_sel:WORD_1
	v_bfe_u32 v13, v10, 19, 4
	v_sub_u32_e32 v18, 29, v18
	v_and_b32_e32 v19, 7, v19
	v_cmp_eq_u16_e32 vcc, 0, v12
	v_cndmask_b32_e32 v9, v9, v19, vcc
	v_cndmask_b32_e32 v12, v13, v18, vcc
	v_lshlrev_b32_e32 v13, 8, v10
	v_mov_b32_e32 v18, 0x3b800000
	v_lshlrev_b32_e32 v9, 20, v9
	v_and_b32_e32 v13, 0x80000000, v13
	v_lshl_add_u32 v12, v12, 23, v18
	v_or3_b32 v12, v13, v12, v9
.LBB47_1880:
	s_or_b64 exec, exec, s[6:7]
	s_nop 0
	v_mfma_f32_16x16x4f32 a[0:3], v8, v12, a[0:3]
	s_movk_i32 s4, 0x7f
	v_cmp_gt_i16_sdwa s[6:7], v14, s4 src0_sel:BYTE_3 src1_sel:DWORD
	s_mov_b64 s[4:5], 0
                                        ; implicit-def: $sgpr10
	s_and_saveexec_b64 s[8:9], s[6:7]
	s_xor_b64 s[6:7], exec, s[8:9]
	s_cbranch_execnz .LBB47_3929
; %bb.1881:
	s_or_saveexec_b64 s[6:7], s[6:7]
	v_mov_b32_e32 v8, s10
	s_xor_b64 exec, exec, s[6:7]
	s_cbranch_execnz .LBB47_3932
.LBB47_1882:
	s_or_b64 exec, exec, s[6:7]
	s_and_saveexec_b64 s[6:7], s[4:5]
	s_cbranch_execz .LBB47_1884
.LBB47_1883:
	v_bfe_u32 v8, v14, 24, 3
	v_ffbh_u32_e32 v18, v8
	v_min_u32_e32 v18, 32, v18
	v_lshrrev_b32_e32 v12, 27, v14
	v_subrev_u32_e32 v19, 28, v18
	v_and_b32_e32 v9, 0x80000000, v14
	v_and_b32_e32 v12, 15, v12
	v_bfe_u32 v13, v14, 27, 4
	v_lshlrev_b32_sdwa v14, v19, v14 dst_sel:DWORD dst_unused:UNUSED_PAD src0_sel:DWORD src1_sel:BYTE_3
	v_sub_u32_e32 v18, 29, v18
	v_and_b32_e32 v14, 7, v14
	v_cmp_eq_u16_e32 vcc, 0, v12
	v_cndmask_b32_e32 v8, v8, v14, vcc
	v_cndmask_b32_e32 v12, v13, v18, vcc
	v_mov_b32_e32 v13, 0x3b800000
	v_lshlrev_b32_e32 v8, 20, v8
	v_lshl_add_u32 v12, v12, 23, v13
	v_or3_b32 v8, v9, v12, v8
.LBB47_1884:
	s_or_b64 exec, exec, s[6:7]
	s_movk_i32 s4, 0x7f
	v_cmp_gt_i16_sdwa s[6:7], v10, s4 src0_sel:BYTE_3 src1_sel:DWORD
	s_mov_b64 s[4:5], 0
                                        ; implicit-def: $sgpr10
	s_and_saveexec_b64 s[8:9], s[6:7]
	s_xor_b64 s[6:7], exec, s[8:9]
	s_cbranch_execnz .LBB47_3933
; %bb.1885:
	s_or_saveexec_b64 s[6:7], s[6:7]
	v_mov_b32_e32 v9, s10
	s_xor_b64 exec, exec, s[6:7]
	s_cbranch_execnz .LBB47_3936
.LBB47_1886:
	s_or_b64 exec, exec, s[6:7]
	s_and_saveexec_b64 s[6:7], s[4:5]
	s_cbranch_execz .LBB47_1888
.LBB47_1887:
	v_bfe_u32 v9, v10, 24, 3
	v_ffbh_u32_e32 v18, v9
	v_min_u32_e32 v18, 32, v18
	v_lshrrev_b32_e32 v13, 27, v10
	v_subrev_u32_e32 v19, 28, v18
	v_and_b32_e32 v12, 0x80000000, v10
	v_and_b32_e32 v13, 15, v13
	v_bfe_u32 v14, v10, 27, 4
	v_lshlrev_b32_sdwa v10, v19, v10 dst_sel:DWORD dst_unused:UNUSED_PAD src0_sel:DWORD src1_sel:BYTE_3
	v_sub_u32_e32 v18, 29, v18
	v_and_b32_e32 v10, 7, v10
	v_cmp_eq_u16_e32 vcc, 0, v13
	v_cndmask_b32_e32 v9, v9, v10, vcc
	v_cndmask_b32_e32 v10, v14, v18, vcc
	v_mov_b32_e32 v13, 0x3b800000
	v_lshlrev_b32_e32 v9, 20, v9
	v_lshl_add_u32 v10, v10, 23, v13
	v_or3_b32 v9, v12, v10, v9
.LBB47_1888:
	s_or_b64 exec, exec, s[6:7]
	s_nop 0
	v_mfma_f32_16x16x4f32 a[0:3], v8, v9, a[0:3]
	s_movk_i32 s4, 0x7f
	v_cmp_gt_i16_sdwa s[6:7], v15, s4 src0_sel:BYTE_0 src1_sel:DWORD
	s_mov_b64 s[4:5], 0
                                        ; implicit-def: $sgpr10
	s_and_saveexec_b64 s[8:9], s[6:7]
	s_xor_b64 s[6:7], exec, s[8:9]
	s_cbranch_execnz .LBB47_3937
; %bb.1889:
	s_or_saveexec_b64 s[6:7], s[6:7]
	v_mov_b32_e32 v8, s10
	s_xor_b64 exec, exec, s[6:7]
	s_cbranch_execnz .LBB47_3940
.LBB47_1890:
	s_or_b64 exec, exec, s[6:7]
	s_and_saveexec_b64 s[6:7], s[4:5]
	s_cbranch_execz .LBB47_1892
.LBB47_1891:
	v_and_b32_e32 v8, 7, v15
	v_ffbh_u32_e32 v10, v8
	v_min_u32_e32 v10, 32, v10
	v_lshrrev_b16_e32 v9, 3, v15
	v_subrev_u32_e32 v12, 28, v10
	v_and_b32_e32 v9, 15, v9
	v_lshlrev_b32_e32 v12, v12, v15
	v_sub_u32_e32 v10, 29, v10
	v_and_b32_e32 v12, 7, v12
	v_cmp_eq_u16_e32 vcc, 0, v9
	v_cndmask_b32_e32 v8, v8, v12, vcc
	v_cndmask_b32_e32 v9, v9, v10, vcc
	v_lshlrev_b32_e32 v10, 24, v15
	v_mov_b32_e32 v12, 0x3b800000
	v_lshlrev_b32_e32 v8, 20, v8
	v_and_b32_e32 v10, 0x80000000, v10
	v_lshl_add_u32 v9, v9, 23, v12
	v_or3_b32 v8, v10, v9, v8
.LBB47_1892:
	s_or_b64 exec, exec, s[6:7]
	s_movk_i32 s4, 0x7f
	v_cmp_gt_i16_sdwa s[6:7], v11, s4 src0_sel:BYTE_0 src1_sel:DWORD
	s_mov_b64 s[4:5], 0
                                        ; implicit-def: $sgpr10
	s_and_saveexec_b64 s[8:9], s[6:7]
	s_xor_b64 s[6:7], exec, s[8:9]
	s_cbranch_execnz .LBB47_3941
; %bb.1893:
	s_or_saveexec_b64 s[6:7], s[6:7]
	v_mov_b32_e32 v9, s10
	s_xor_b64 exec, exec, s[6:7]
	s_cbranch_execnz .LBB47_3944
.LBB47_1894:
	s_or_b64 exec, exec, s[6:7]
	s_and_saveexec_b64 s[6:7], s[4:5]
	s_cbranch_execz .LBB47_1896
.LBB47_1895:
	v_and_b32_e32 v9, 7, v11
	v_ffbh_u32_e32 v12, v9
	v_min_u32_e32 v12, 32, v12
	v_lshrrev_b16_e32 v10, 3, v11
	v_subrev_u32_e32 v13, 28, v12
	v_and_b32_e32 v10, 15, v10
	v_lshlrev_b32_e32 v13, v13, v11
	v_sub_u32_e32 v12, 29, v12
	v_and_b32_e32 v13, 7, v13
	v_cmp_eq_u16_e32 vcc, 0, v10
	v_cndmask_b32_e32 v9, v9, v13, vcc
	v_cndmask_b32_e32 v10, v10, v12, vcc
	v_lshlrev_b32_e32 v12, 24, v11
	v_mov_b32_e32 v13, 0x3b800000
	v_lshlrev_b32_e32 v9, 20, v9
	v_and_b32_e32 v12, 0x80000000, v12
	v_lshl_add_u32 v10, v10, 23, v13
	v_or3_b32 v9, v12, v10, v9
.LBB47_1896:
	s_or_b64 exec, exec, s[6:7]
	s_nop 0
	v_mfma_f32_16x16x4f32 a[0:3], v8, v9, a[0:3]
	v_lshrrev_b32_e32 v9, 8, v15
	s_movk_i32 s4, 0x7f
	v_cmp_gt_i16_sdwa s[6:7], v9, s4 src0_sel:BYTE_0 src1_sel:DWORD
	s_mov_b64 s[4:5], 0
                                        ; implicit-def: $sgpr10
	s_and_saveexec_b64 s[8:9], s[6:7]
	s_xor_b64 s[6:7], exec, s[8:9]
	s_cbranch_execnz .LBB47_3945
; %bb.1897:
	s_or_saveexec_b64 s[6:7], s[6:7]
	v_mov_b32_e32 v8, s10
	s_xor_b64 exec, exec, s[6:7]
	s_cbranch_execnz .LBB47_3948
.LBB47_1898:
	s_or_b64 exec, exec, s[6:7]
	s_and_saveexec_b64 s[6:7], s[4:5]
	s_cbranch_execz .LBB47_1900
.LBB47_1899:
	v_bfe_u32 v8, v15, 8, 3
	v_ffbh_u32_e32 v12, v8
	v_min_u32_e32 v12, 32, v12
	v_lshrrev_b16_e32 v10, 3, v9
	v_subrev_u32_e32 v13, 28, v12
	v_and_b32_e32 v10, 15, v10
	v_lshlrev_b32_e32 v9, v13, v9
	v_sub_u32_e32 v12, 29, v12
	v_and_b32_e32 v9, 7, v9
	v_cmp_eq_u16_e32 vcc, 0, v10
	v_cndmask_b32_e32 v8, v8, v9, vcc
	v_cndmask_b32_e32 v9, v10, v12, vcc
	v_lshlrev_b32_e32 v10, 16, v15
	v_mov_b32_e32 v12, 0x3b800000
	v_lshlrev_b32_e32 v8, 20, v8
	v_and_b32_e32 v10, 0x80000000, v10
	v_lshl_add_u32 v9, v9, 23, v12
	v_or3_b32 v8, v10, v9, v8
.LBB47_1900:
	s_or_b64 exec, exec, s[6:7]
	v_lshrrev_b32_e32 v9, 8, v11
	s_movk_i32 s4, 0x7f
	v_cmp_gt_i16_sdwa s[6:7], v9, s4 src0_sel:BYTE_0 src1_sel:DWORD
	s_mov_b64 s[4:5], 0
                                        ; implicit-def: $sgpr10
	s_and_saveexec_b64 s[8:9], s[6:7]
	s_xor_b64 s[6:7], exec, s[8:9]
	s_cbranch_execnz .LBB47_3949
; %bb.1901:
	s_or_saveexec_b64 s[6:7], s[6:7]
	v_mov_b32_e32 v10, s10
	s_xor_b64 exec, exec, s[6:7]
	s_cbranch_execnz .LBB47_3952
.LBB47_1902:
	s_or_b64 exec, exec, s[6:7]
	s_and_saveexec_b64 s[6:7], s[4:5]
	s_cbranch_execz .LBB47_1904
.LBB47_1903:
	v_bfe_u32 v10, v11, 8, 3
	v_ffbh_u32_e32 v13, v10
	v_min_u32_e32 v13, 32, v13
	v_lshrrev_b16_e32 v12, 3, v9
	v_subrev_u32_e32 v14, 28, v13
	v_and_b32_e32 v12, 15, v12
	v_lshlrev_b32_e32 v9, v14, v9
	v_sub_u32_e32 v13, 29, v13
	v_and_b32_e32 v9, 7, v9
	v_cmp_eq_u16_e32 vcc, 0, v12
	v_cndmask_b32_e32 v9, v10, v9, vcc
	v_cndmask_b32_e32 v10, v12, v13, vcc
	v_lshlrev_b32_e32 v12, 16, v11
	v_mov_b32_e32 v13, 0x3b800000
	v_lshlrev_b32_e32 v9, 20, v9
	v_and_b32_e32 v12, 0x80000000, v12
	v_lshl_add_u32 v10, v10, 23, v13
	v_or3_b32 v10, v12, v10, v9
.LBB47_1904:
	s_or_b64 exec, exec, s[6:7]
	s_nop 0
	v_mfma_f32_16x16x4f32 a[0:3], v8, v10, a[0:3]
	s_movk_i32 s4, 0xff
	v_and_b32_sdwa v9, v15, s4 dst_sel:DWORD dst_unused:UNUSED_PAD src0_sel:WORD_1 src1_sel:DWORD
	s_movk_i32 s4, 0x7f
	v_cmp_lt_i16_e32 vcc, s4, v9
	s_mov_b64 s[4:5], 0
                                        ; implicit-def: $sgpr10
	s_and_saveexec_b64 s[6:7], vcc
	s_xor_b64 s[6:7], exec, s[6:7]
	s_cbranch_execnz .LBB47_3953
; %bb.1905:
	s_or_saveexec_b64 s[6:7], s[6:7]
	v_mov_b32_e32 v8, s10
	s_xor_b64 exec, exec, s[6:7]
	s_cbranch_execnz .LBB47_3956
.LBB47_1906:
	s_or_b64 exec, exec, s[6:7]
	s_and_saveexec_b64 s[6:7], s[4:5]
	s_cbranch_execz .LBB47_1908
.LBB47_1907:
	v_bfe_u32 v8, v15, 16, 3
	v_ffbh_u32_e32 v12, v8
	v_min_u32_e32 v12, 32, v12
	v_lshrrev_b32_e32 v9, 19, v15
	v_subrev_u32_e32 v13, 28, v12
	v_and_b32_e32 v9, 15, v9
	v_lshlrev_b32_sdwa v13, v13, v15 dst_sel:DWORD dst_unused:UNUSED_PAD src0_sel:DWORD src1_sel:WORD_1
	v_bfe_u32 v10, v15, 19, 4
	v_sub_u32_e32 v12, 29, v12
	v_and_b32_e32 v13, 7, v13
	v_cmp_eq_u16_e32 vcc, 0, v9
	v_cndmask_b32_e32 v8, v8, v13, vcc
	v_cndmask_b32_e32 v9, v10, v12, vcc
	v_lshlrev_b32_e32 v10, 8, v15
	v_mov_b32_e32 v12, 0x3b800000
	v_lshlrev_b32_e32 v8, 20, v8
	v_and_b32_e32 v10, 0x80000000, v10
	v_lshl_add_u32 v9, v9, 23, v12
	v_or3_b32 v8, v10, v9, v8
.LBB47_1908:
	s_or_b64 exec, exec, s[6:7]
	s_movk_i32 s4, 0xff
	v_and_b32_sdwa v9, v11, s4 dst_sel:DWORD dst_unused:UNUSED_PAD src0_sel:WORD_1 src1_sel:DWORD
	s_movk_i32 s4, 0x7f
	v_cmp_lt_i16_e32 vcc, s4, v9
	s_mov_b64 s[4:5], 0
                                        ; implicit-def: $sgpr10
	s_and_saveexec_b64 s[6:7], vcc
	s_xor_b64 s[6:7], exec, s[6:7]
	s_cbranch_execnz .LBB47_3957
; %bb.1909:
	s_or_saveexec_b64 s[6:7], s[6:7]
	v_mov_b32_e32 v10, s10
	s_xor_b64 exec, exec, s[6:7]
	s_cbranch_execnz .LBB47_3960
.LBB47_1910:
	s_or_b64 exec, exec, s[6:7]
	s_and_saveexec_b64 s[6:7], s[4:5]
	s_cbranch_execz .LBB47_1912
.LBB47_1911:
	v_bfe_u32 v9, v11, 16, 3
	v_ffbh_u32_e32 v13, v9
	v_min_u32_e32 v13, 32, v13
	v_lshrrev_b32_e32 v10, 19, v11
	v_subrev_u32_e32 v14, 28, v13
	v_and_b32_e32 v10, 15, v10
	v_lshlrev_b32_sdwa v14, v14, v11 dst_sel:DWORD dst_unused:UNUSED_PAD src0_sel:DWORD src1_sel:WORD_1
	v_bfe_u32 v12, v11, 19, 4
	v_sub_u32_e32 v13, 29, v13
	v_and_b32_e32 v14, 7, v14
	v_cmp_eq_u16_e32 vcc, 0, v10
	v_cndmask_b32_e32 v9, v9, v14, vcc
	v_cndmask_b32_e32 v10, v12, v13, vcc
	v_lshlrev_b32_e32 v12, 8, v11
	v_mov_b32_e32 v13, 0x3b800000
	v_lshlrev_b32_e32 v9, 20, v9
	v_and_b32_e32 v12, 0x80000000, v12
	v_lshl_add_u32 v10, v10, 23, v13
	v_or3_b32 v10, v12, v10, v9
.LBB47_1912:
	s_or_b64 exec, exec, s[6:7]
	s_nop 0
	v_mfma_f32_16x16x4f32 a[0:3], v8, v10, a[0:3]
	s_movk_i32 s4, 0x7f
	v_cmp_gt_i16_sdwa s[6:7], v15, s4 src0_sel:BYTE_3 src1_sel:DWORD
	s_mov_b64 s[4:5], 0
                                        ; implicit-def: $sgpr10
	s_and_saveexec_b64 s[8:9], s[6:7]
	s_xor_b64 s[6:7], exec, s[8:9]
	s_cbranch_execnz .LBB47_3961
; %bb.1913:
	s_or_saveexec_b64 s[6:7], s[6:7]
	v_mov_b32_e32 v8, s10
	s_xor_b64 exec, exec, s[6:7]
	s_cbranch_execnz .LBB47_3964
.LBB47_1914:
	s_or_b64 exec, exec, s[6:7]
	s_and_saveexec_b64 s[6:7], s[4:5]
	s_cbranch_execz .LBB47_1916
.LBB47_1915:
	v_bfe_u32 v8, v15, 24, 3
	v_ffbh_u32_e32 v13, v8
	v_min_u32_e32 v13, 32, v13
	v_lshrrev_b32_e32 v10, 27, v15
	v_subrev_u32_e32 v14, 28, v13
	v_and_b32_e32 v10, 15, v10
	v_lshlrev_b32_sdwa v14, v14, v15 dst_sel:DWORD dst_unused:UNUSED_PAD src0_sel:DWORD src1_sel:BYTE_3
	v_bfe_u32 v12, v15, 27, 4
	v_sub_u32_e32 v13, 29, v13
	v_and_b32_e32 v14, 7, v14
	v_cmp_eq_u16_e32 vcc, 0, v10
	v_cndmask_b32_e32 v8, v8, v14, vcc
	v_cndmask_b32_e32 v10, v12, v13, vcc
	v_mov_b32_e32 v12, 0x3b800000
	v_and_b32_e32 v9, 0x80000000, v15
	v_lshlrev_b32_e32 v8, 20, v8
	v_lshl_add_u32 v10, v10, 23, v12
	v_or3_b32 v8, v9, v10, v8
.LBB47_1916:
	s_or_b64 exec, exec, s[6:7]
	s_movk_i32 s4, 0x7f
	v_cmp_gt_i16_sdwa s[6:7], v11, s4 src0_sel:BYTE_3 src1_sel:DWORD
	s_mov_b64 s[4:5], 0
                                        ; implicit-def: $sgpr10
	s_and_saveexec_b64 s[8:9], s[6:7]
	s_xor_b64 s[6:7], exec, s[8:9]
	s_cbranch_execnz .LBB47_3965
; %bb.1917:
	s_or_saveexec_b64 s[6:7], s[6:7]
	v_mov_b32_e32 v9, s10
	s_xor_b64 exec, exec, s[6:7]
	s_cbranch_execnz .LBB47_3968
.LBB47_1918:
	s_or_b64 exec, exec, s[6:7]
	s_and_saveexec_b64 s[6:7], s[4:5]
	s_cbranch_execz .LBB47_1920
.LBB47_1919:
	v_bfe_u32 v9, v11, 24, 3
	v_ffbh_u32_e32 v14, v9
	v_min_u32_e32 v14, 32, v14
	v_lshrrev_b32_e32 v12, 27, v11
	v_subrev_u32_e32 v15, 28, v14
	v_and_b32_e32 v10, 0x80000000, v11
	v_and_b32_e32 v12, 15, v12
	v_bfe_u32 v13, v11, 27, 4
	v_lshlrev_b32_sdwa v11, v15, v11 dst_sel:DWORD dst_unused:UNUSED_PAD src0_sel:DWORD src1_sel:BYTE_3
	v_sub_u32_e32 v14, 29, v14
	v_and_b32_e32 v11, 7, v11
	v_cmp_eq_u16_e32 vcc, 0, v12
	v_cndmask_b32_e32 v9, v9, v11, vcc
	v_cndmask_b32_e32 v11, v13, v14, vcc
	v_mov_b32_e32 v12, 0x3b800000
	v_lshlrev_b32_e32 v9, 20, v9
	v_lshl_add_u32 v11, v11, 23, v12
	v_or3_b32 v9, v10, v11, v9
.LBB47_1920:
	s_or_b64 exec, exec, s[6:7]
	s_nop 0
	v_mfma_f32_16x16x4f32 a[0:3], v8, v9, a[0:3]
	s_movk_i32 s4, 0x7f
	v_cmp_gt_i16_sdwa s[6:7], v4, s4 src0_sel:BYTE_0 src1_sel:DWORD
	s_mov_b64 s[4:5], 0
                                        ; implicit-def: $sgpr10
	s_and_saveexec_b64 s[8:9], s[6:7]
	s_xor_b64 s[6:7], exec, s[8:9]
	s_cbranch_execnz .LBB47_3969
; %bb.1921:
	s_or_saveexec_b64 s[6:7], s[6:7]
	v_mov_b32_e32 v8, s10
	s_xor_b64 exec, exec, s[6:7]
	s_cbranch_execnz .LBB47_3972
.LBB47_1922:
	s_or_b64 exec, exec, s[6:7]
	s_and_saveexec_b64 s[6:7], s[4:5]
	s_cbranch_execz .LBB47_1924
.LBB47_1923:
	v_and_b32_e32 v8, 7, v4
	v_ffbh_u32_e32 v10, v8
	v_min_u32_e32 v10, 32, v10
	v_lshrrev_b16_e32 v9, 3, v4
	v_subrev_u32_e32 v11, 28, v10
	v_and_b32_e32 v9, 15, v9
	v_lshlrev_b32_e32 v11, v11, v4
	v_sub_u32_e32 v10, 29, v10
	v_and_b32_e32 v11, 7, v11
	v_cmp_eq_u16_e32 vcc, 0, v9
	v_cndmask_b32_e32 v8, v8, v11, vcc
	v_cndmask_b32_e32 v9, v9, v10, vcc
	v_lshlrev_b32_e32 v10, 24, v4
	v_mov_b32_e32 v11, 0x3b800000
	v_lshlrev_b32_e32 v8, 20, v8
	v_and_b32_e32 v10, 0x80000000, v10
	v_lshl_add_u32 v9, v9, 23, v11
	v_or3_b32 v8, v10, v9, v8
.LBB47_1924:
	s_or_b64 exec, exec, s[6:7]
	s_movk_i32 s4, 0x7f
	v_cmp_gt_i16_sdwa s[6:7], v0, s4 src0_sel:BYTE_0 src1_sel:DWORD
	s_mov_b64 s[4:5], 0
                                        ; implicit-def: $sgpr10
	s_and_saveexec_b64 s[8:9], s[6:7]
	s_xor_b64 s[6:7], exec, s[8:9]
	s_cbranch_execnz .LBB47_3973
; %bb.1925:
	s_or_saveexec_b64 s[6:7], s[6:7]
	v_mov_b32_e32 v9, s10
	s_xor_b64 exec, exec, s[6:7]
	s_cbranch_execnz .LBB47_3976
.LBB47_1926:
	s_or_b64 exec, exec, s[6:7]
	s_and_saveexec_b64 s[6:7], s[4:5]
	s_cbranch_execz .LBB47_1928
.LBB47_1927:
	v_and_b32_e32 v9, 7, v0
	v_ffbh_u32_e32 v11, v9
	v_min_u32_e32 v11, 32, v11
	v_lshrrev_b16_e32 v10, 3, v0
	v_subrev_u32_e32 v12, 28, v11
	v_and_b32_e32 v10, 15, v10
	v_lshlrev_b32_e32 v12, v12, v0
	v_sub_u32_e32 v11, 29, v11
	v_and_b32_e32 v12, 7, v12
	v_cmp_eq_u16_e32 vcc, 0, v10
	v_cndmask_b32_e32 v9, v9, v12, vcc
	v_cndmask_b32_e32 v10, v10, v11, vcc
	v_lshlrev_b32_e32 v11, 24, v0
	v_mov_b32_e32 v12, 0x3b800000
	v_lshlrev_b32_e32 v9, 20, v9
	v_and_b32_e32 v11, 0x80000000, v11
	v_lshl_add_u32 v10, v10, 23, v12
	v_or3_b32 v9, v11, v10, v9
.LBB47_1928:
	s_or_b64 exec, exec, s[6:7]
	s_nop 0
	v_mfma_f32_16x16x4f32 a[0:3], v8, v9, a[0:3]
	v_lshrrev_b32_e32 v9, 8, v4
	s_movk_i32 s4, 0x7f
	v_cmp_gt_i16_sdwa s[6:7], v9, s4 src0_sel:BYTE_0 src1_sel:DWORD
	s_mov_b64 s[4:5], 0
                                        ; implicit-def: $sgpr10
	s_and_saveexec_b64 s[8:9], s[6:7]
	s_xor_b64 s[6:7], exec, s[8:9]
	s_cbranch_execnz .LBB47_3977
; %bb.1929:
	s_or_saveexec_b64 s[6:7], s[6:7]
	v_mov_b32_e32 v8, s10
	s_xor_b64 exec, exec, s[6:7]
	s_cbranch_execnz .LBB47_3980
.LBB47_1930:
	s_or_b64 exec, exec, s[6:7]
	s_and_saveexec_b64 s[6:7], s[4:5]
	s_cbranch_execz .LBB47_1932
.LBB47_1931:
	v_bfe_u32 v8, v4, 8, 3
	v_ffbh_u32_e32 v11, v8
	v_min_u32_e32 v11, 32, v11
	v_lshrrev_b16_e32 v10, 3, v9
	v_subrev_u32_e32 v12, 28, v11
	v_and_b32_e32 v10, 15, v10
	v_lshlrev_b32_e32 v9, v12, v9
	v_sub_u32_e32 v11, 29, v11
	v_and_b32_e32 v9, 7, v9
	v_cmp_eq_u16_e32 vcc, 0, v10
	v_cndmask_b32_e32 v8, v8, v9, vcc
	v_cndmask_b32_e32 v9, v10, v11, vcc
	v_lshlrev_b32_e32 v10, 16, v4
	v_mov_b32_e32 v11, 0x3b800000
	v_lshlrev_b32_e32 v8, 20, v8
	v_and_b32_e32 v10, 0x80000000, v10
	v_lshl_add_u32 v9, v9, 23, v11
	v_or3_b32 v8, v10, v9, v8
.LBB47_1932:
	s_or_b64 exec, exec, s[6:7]
	v_lshrrev_b32_e32 v9, 8, v0
	s_movk_i32 s4, 0x7f
	v_cmp_gt_i16_sdwa s[6:7], v9, s4 src0_sel:BYTE_0 src1_sel:DWORD
	s_mov_b64 s[4:5], 0
                                        ; implicit-def: $sgpr10
	s_and_saveexec_b64 s[8:9], s[6:7]
	s_xor_b64 s[6:7], exec, s[8:9]
	s_cbranch_execnz .LBB47_3981
; %bb.1933:
	s_or_saveexec_b64 s[6:7], s[6:7]
	v_mov_b32_e32 v10, s10
	s_xor_b64 exec, exec, s[6:7]
	s_cbranch_execnz .LBB47_3984
.LBB47_1934:
	s_or_b64 exec, exec, s[6:7]
	s_and_saveexec_b64 s[6:7], s[4:5]
	s_cbranch_execz .LBB47_1936
.LBB47_1935:
	v_bfe_u32 v10, v0, 8, 3
	v_ffbh_u32_e32 v12, v10
	v_min_u32_e32 v12, 32, v12
	v_lshrrev_b16_e32 v11, 3, v9
	v_subrev_u32_e32 v13, 28, v12
	v_and_b32_e32 v11, 15, v11
	v_lshlrev_b32_e32 v9, v13, v9
	v_sub_u32_e32 v12, 29, v12
	v_and_b32_e32 v9, 7, v9
	v_cmp_eq_u16_e32 vcc, 0, v11
	v_cndmask_b32_e32 v9, v10, v9, vcc
	v_cndmask_b32_e32 v10, v11, v12, vcc
	v_lshlrev_b32_e32 v11, 16, v0
	v_mov_b32_e32 v12, 0x3b800000
	v_lshlrev_b32_e32 v9, 20, v9
	v_and_b32_e32 v11, 0x80000000, v11
	v_lshl_add_u32 v10, v10, 23, v12
	v_or3_b32 v10, v11, v10, v9
.LBB47_1936:
	s_or_b64 exec, exec, s[6:7]
	s_nop 0
	v_mfma_f32_16x16x4f32 a[0:3], v8, v10, a[0:3]
	s_movk_i32 s4, 0xff
	v_and_b32_sdwa v9, v4, s4 dst_sel:DWORD dst_unused:UNUSED_PAD src0_sel:WORD_1 src1_sel:DWORD
	s_movk_i32 s4, 0x7f
	v_cmp_lt_i16_e32 vcc, s4, v9
	s_mov_b64 s[4:5], 0
                                        ; implicit-def: $sgpr10
	s_and_saveexec_b64 s[6:7], vcc
	s_xor_b64 s[6:7], exec, s[6:7]
	s_cbranch_execnz .LBB47_3985
; %bb.1937:
	s_or_saveexec_b64 s[6:7], s[6:7]
	v_mov_b32_e32 v8, s10
	s_xor_b64 exec, exec, s[6:7]
	s_cbranch_execnz .LBB47_3988
.LBB47_1938:
	s_or_b64 exec, exec, s[6:7]
	s_and_saveexec_b64 s[6:7], s[4:5]
	s_cbranch_execz .LBB47_1940
.LBB47_1939:
	v_bfe_u32 v8, v4, 16, 3
	v_ffbh_u32_e32 v11, v8
	v_min_u32_e32 v11, 32, v11
	v_lshrrev_b32_e32 v9, 19, v4
	v_subrev_u32_e32 v12, 28, v11
	v_and_b32_e32 v9, 15, v9
	v_lshlrev_b32_sdwa v12, v12, v4 dst_sel:DWORD dst_unused:UNUSED_PAD src0_sel:DWORD src1_sel:WORD_1
	v_bfe_u32 v10, v4, 19, 4
	v_sub_u32_e32 v11, 29, v11
	v_and_b32_e32 v12, 7, v12
	v_cmp_eq_u16_e32 vcc, 0, v9
	v_cndmask_b32_e32 v8, v8, v12, vcc
	v_cndmask_b32_e32 v9, v10, v11, vcc
	v_lshlrev_b32_e32 v10, 8, v4
	v_mov_b32_e32 v11, 0x3b800000
	v_lshlrev_b32_e32 v8, 20, v8
	v_and_b32_e32 v10, 0x80000000, v10
	v_lshl_add_u32 v9, v9, 23, v11
	v_or3_b32 v8, v10, v9, v8
.LBB47_1940:
	s_or_b64 exec, exec, s[6:7]
	s_movk_i32 s4, 0xff
	v_and_b32_sdwa v9, v0, s4 dst_sel:DWORD dst_unused:UNUSED_PAD src0_sel:WORD_1 src1_sel:DWORD
	s_movk_i32 s4, 0x7f
	v_cmp_lt_i16_e32 vcc, s4, v9
	s_mov_b64 s[4:5], 0
                                        ; implicit-def: $sgpr10
	s_and_saveexec_b64 s[6:7], vcc
	s_xor_b64 s[6:7], exec, s[6:7]
	s_cbranch_execnz .LBB47_3989
; %bb.1941:
	s_or_saveexec_b64 s[6:7], s[6:7]
	v_mov_b32_e32 v10, s10
	s_xor_b64 exec, exec, s[6:7]
	s_cbranch_execnz .LBB47_3992
.LBB47_1942:
	s_or_b64 exec, exec, s[6:7]
	s_and_saveexec_b64 s[6:7], s[4:5]
	s_cbranch_execz .LBB47_1944
.LBB47_1943:
	v_bfe_u32 v9, v0, 16, 3
	v_ffbh_u32_e32 v12, v9
	v_min_u32_e32 v12, 32, v12
	v_lshrrev_b32_e32 v10, 19, v0
	v_subrev_u32_e32 v13, 28, v12
	v_and_b32_e32 v10, 15, v10
	v_lshlrev_b32_sdwa v13, v13, v0 dst_sel:DWORD dst_unused:UNUSED_PAD src0_sel:DWORD src1_sel:WORD_1
	v_bfe_u32 v11, v0, 19, 4
	v_sub_u32_e32 v12, 29, v12
	v_and_b32_e32 v13, 7, v13
	v_cmp_eq_u16_e32 vcc, 0, v10
	v_cndmask_b32_e32 v9, v9, v13, vcc
	v_cndmask_b32_e32 v10, v11, v12, vcc
	v_lshlrev_b32_e32 v11, 8, v0
	v_mov_b32_e32 v12, 0x3b800000
	v_lshlrev_b32_e32 v9, 20, v9
	v_and_b32_e32 v11, 0x80000000, v11
	v_lshl_add_u32 v10, v10, 23, v12
	v_or3_b32 v10, v11, v10, v9
.LBB47_1944:
	s_or_b64 exec, exec, s[6:7]
	s_nop 0
	v_mfma_f32_16x16x4f32 a[0:3], v8, v10, a[0:3]
	s_movk_i32 s4, 0x7f
	v_cmp_gt_i16_sdwa s[6:7], v4, s4 src0_sel:BYTE_3 src1_sel:DWORD
	s_mov_b64 s[4:5], 0
                                        ; implicit-def: $sgpr10
	s_and_saveexec_b64 s[8:9], s[6:7]
	s_xor_b64 s[6:7], exec, s[8:9]
	s_cbranch_execnz .LBB47_3993
; %bb.1945:
	s_or_saveexec_b64 s[6:7], s[6:7]
	v_mov_b32_e32 v8, s10
	s_xor_b64 exec, exec, s[6:7]
	s_cbranch_execnz .LBB47_3996
.LBB47_1946:
	s_or_b64 exec, exec, s[6:7]
	s_and_saveexec_b64 s[6:7], s[4:5]
	s_cbranch_execz .LBB47_1948
.LBB47_1947:
	v_bfe_u32 v8, v4, 24, 3
	v_ffbh_u32_e32 v12, v8
	v_min_u32_e32 v12, 32, v12
	v_lshrrev_b32_e32 v10, 27, v4
	v_subrev_u32_e32 v13, 28, v12
	v_and_b32_e32 v9, 0x80000000, v4
	v_and_b32_e32 v10, 15, v10
	v_bfe_u32 v11, v4, 27, 4
	v_lshlrev_b32_sdwa v4, v13, v4 dst_sel:DWORD dst_unused:UNUSED_PAD src0_sel:DWORD src1_sel:BYTE_3
	v_sub_u32_e32 v12, 29, v12
	v_and_b32_e32 v4, 7, v4
	v_cmp_eq_u16_e32 vcc, 0, v10
	v_cndmask_b32_e32 v4, v8, v4, vcc
	v_cndmask_b32_e32 v8, v11, v12, vcc
	v_mov_b32_e32 v10, 0x3b800000
	v_lshlrev_b32_e32 v4, 20, v4
	v_lshl_add_u32 v8, v8, 23, v10
	v_or3_b32 v8, v9, v8, v4
.LBB47_1948:
	s_or_b64 exec, exec, s[6:7]
	s_movk_i32 s4, 0x7f
	v_cmp_gt_i16_sdwa s[6:7], v0, s4 src0_sel:BYTE_3 src1_sel:DWORD
	s_mov_b64 s[4:5], 0
                                        ; implicit-def: $sgpr10
	s_and_saveexec_b64 s[8:9], s[6:7]
	s_xor_b64 s[6:7], exec, s[8:9]
	s_cbranch_execnz .LBB47_3997
; %bb.1949:
	s_or_saveexec_b64 s[6:7], s[6:7]
	v_mov_b32_e32 v4, s10
	s_xor_b64 exec, exec, s[6:7]
	s_cbranch_execnz .LBB47_4000
.LBB47_1950:
	s_or_b64 exec, exec, s[6:7]
	s_and_saveexec_b64 s[6:7], s[4:5]
	s_cbranch_execz .LBB47_1952
.LBB47_1951:
	v_bfe_u32 v4, v0, 24, 3
	v_ffbh_u32_e32 v12, v4
	v_min_u32_e32 v12, 32, v12
	v_lshrrev_b32_e32 v10, 27, v0
	v_subrev_u32_e32 v13, 28, v12
	v_and_b32_e32 v9, 0x80000000, v0
	v_and_b32_e32 v10, 15, v10
	v_bfe_u32 v11, v0, 27, 4
	v_lshlrev_b32_sdwa v0, v13, v0 dst_sel:DWORD dst_unused:UNUSED_PAD src0_sel:DWORD src1_sel:BYTE_3
	v_sub_u32_e32 v12, 29, v12
	v_and_b32_e32 v0, 7, v0
	v_cmp_eq_u16_e32 vcc, 0, v10
	v_cndmask_b32_e32 v0, v4, v0, vcc
	v_cndmask_b32_e32 v4, v11, v12, vcc
	v_mov_b32_e32 v10, 0x3b800000
	v_lshlrev_b32_e32 v0, 20, v0
	v_lshl_add_u32 v4, v4, 23, v10
	v_or3_b32 v4, v9, v4, v0
.LBB47_1952:
	s_or_b64 exec, exec, s[6:7]
	s_nop 0
	v_mfma_f32_16x16x4f32 a[0:3], v8, v4, a[0:3]
	s_movk_i32 s4, 0x7f
	v_cmp_gt_i16_sdwa s[6:7], v5, s4 src0_sel:BYTE_0 src1_sel:DWORD
	s_mov_b64 s[4:5], 0
                                        ; implicit-def: $sgpr10
	s_and_saveexec_b64 s[8:9], s[6:7]
	s_xor_b64 s[6:7], exec, s[8:9]
	s_cbranch_execnz .LBB47_4001
; %bb.1953:
	s_or_saveexec_b64 s[6:7], s[6:7]
	v_mov_b32_e32 v0, s10
	s_xor_b64 exec, exec, s[6:7]
	s_cbranch_execnz .LBB47_4004
.LBB47_1954:
	s_or_b64 exec, exec, s[6:7]
	s_and_saveexec_b64 s[6:7], s[4:5]
	s_cbranch_execz .LBB47_1956
.LBB47_1955:
	v_and_b32_e32 v0, 7, v5
	v_ffbh_u32_e32 v8, v0
	v_min_u32_e32 v8, 32, v8
	v_lshrrev_b16_e32 v4, 3, v5
	v_subrev_u32_e32 v9, 28, v8
	v_and_b32_e32 v4, 15, v4
	v_lshlrev_b32_e32 v9, v9, v5
	v_sub_u32_e32 v8, 29, v8
	v_and_b32_e32 v9, 7, v9
	v_cmp_eq_u16_e32 vcc, 0, v4
	v_cndmask_b32_e32 v0, v0, v9, vcc
	v_cndmask_b32_e32 v4, v4, v8, vcc
	v_lshlrev_b32_e32 v8, 24, v5
	v_mov_b32_e32 v9, 0x3b800000
	v_lshlrev_b32_e32 v0, 20, v0
	v_and_b32_e32 v8, 0x80000000, v8
	v_lshl_add_u32 v4, v4, 23, v9
	v_or3_b32 v0, v8, v4, v0
.LBB47_1956:
	s_or_b64 exec, exec, s[6:7]
	s_movk_i32 s4, 0x7f
	v_cmp_gt_i16_sdwa s[6:7], v1, s4 src0_sel:BYTE_0 src1_sel:DWORD
	s_mov_b64 s[4:5], 0
                                        ; implicit-def: $sgpr10
	s_and_saveexec_b64 s[8:9], s[6:7]
	s_xor_b64 s[6:7], exec, s[8:9]
	s_cbranch_execnz .LBB47_4005
; %bb.1957:
	s_or_saveexec_b64 s[6:7], s[6:7]
	v_mov_b32_e32 v4, s10
	s_xor_b64 exec, exec, s[6:7]
	s_cbranch_execnz .LBB47_4008
.LBB47_1958:
	s_or_b64 exec, exec, s[6:7]
	s_and_saveexec_b64 s[6:7], s[4:5]
	s_cbranch_execz .LBB47_1960
.LBB47_1959:
	v_and_b32_e32 v4, 7, v1
	v_ffbh_u32_e32 v9, v4
	v_min_u32_e32 v9, 32, v9
	v_lshrrev_b16_e32 v8, 3, v1
	v_subrev_u32_e32 v10, 28, v9
	v_and_b32_e32 v8, 15, v8
	v_lshlrev_b32_e32 v10, v10, v1
	v_sub_u32_e32 v9, 29, v9
	v_and_b32_e32 v10, 7, v10
	v_cmp_eq_u16_e32 vcc, 0, v8
	v_cndmask_b32_e32 v4, v4, v10, vcc
	v_cndmask_b32_e32 v8, v8, v9, vcc
	v_lshlrev_b32_e32 v9, 24, v1
	v_mov_b32_e32 v10, 0x3b800000
	v_lshlrev_b32_e32 v4, 20, v4
	v_and_b32_e32 v9, 0x80000000, v9
	v_lshl_add_u32 v8, v8, 23, v10
	v_or3_b32 v4, v9, v8, v4
.LBB47_1960:
	s_or_b64 exec, exec, s[6:7]
	s_nop 0
	v_mfma_f32_16x16x4f32 a[0:3], v0, v4, a[0:3]
	v_lshrrev_b32_e32 v4, 8, v5
	s_movk_i32 s4, 0x7f
	v_cmp_gt_i16_sdwa s[6:7], v4, s4 src0_sel:BYTE_0 src1_sel:DWORD
	s_mov_b64 s[4:5], 0
                                        ; implicit-def: $sgpr10
	s_and_saveexec_b64 s[8:9], s[6:7]
	s_xor_b64 s[6:7], exec, s[8:9]
	s_cbranch_execnz .LBB47_4009
; %bb.1961:
	s_or_saveexec_b64 s[6:7], s[6:7]
	v_mov_b32_e32 v0, s10
	s_xor_b64 exec, exec, s[6:7]
	s_cbranch_execnz .LBB47_4012
.LBB47_1962:
	s_or_b64 exec, exec, s[6:7]
	s_and_saveexec_b64 s[6:7], s[4:5]
	s_cbranch_execz .LBB47_1964
.LBB47_1963:
	v_bfe_u32 v0, v5, 8, 3
	v_ffbh_u32_e32 v9, v0
	v_min_u32_e32 v9, 32, v9
	v_lshrrev_b16_e32 v8, 3, v4
	v_subrev_u32_e32 v10, 28, v9
	v_and_b32_e32 v8, 15, v8
	v_lshlrev_b32_e32 v4, v10, v4
	v_sub_u32_e32 v9, 29, v9
	v_and_b32_e32 v4, 7, v4
	v_cmp_eq_u16_e32 vcc, 0, v8
	v_cndmask_b32_e32 v0, v0, v4, vcc
	v_cndmask_b32_e32 v4, v8, v9, vcc
	v_lshlrev_b32_e32 v8, 16, v5
	v_mov_b32_e32 v9, 0x3b800000
	v_lshlrev_b32_e32 v0, 20, v0
	v_and_b32_e32 v8, 0x80000000, v8
	v_lshl_add_u32 v4, v4, 23, v9
	v_or3_b32 v0, v8, v4, v0
.LBB47_1964:
	s_or_b64 exec, exec, s[6:7]
	v_lshrrev_b32_e32 v4, 8, v1
	s_movk_i32 s4, 0x7f
	v_cmp_gt_i16_sdwa s[6:7], v4, s4 src0_sel:BYTE_0 src1_sel:DWORD
	s_mov_b64 s[4:5], 0
                                        ; implicit-def: $sgpr10
	s_and_saveexec_b64 s[8:9], s[6:7]
	s_xor_b64 s[6:7], exec, s[8:9]
	s_cbranch_execnz .LBB47_4013
; %bb.1965:
	s_or_saveexec_b64 s[6:7], s[6:7]
	v_mov_b32_e32 v8, s10
	s_xor_b64 exec, exec, s[6:7]
	s_cbranch_execnz .LBB47_4016
.LBB47_1966:
	s_or_b64 exec, exec, s[6:7]
	s_and_saveexec_b64 s[6:7], s[4:5]
	s_cbranch_execz .LBB47_1968
.LBB47_1967:
	v_bfe_u32 v8, v1, 8, 3
	v_ffbh_u32_e32 v10, v8
	v_min_u32_e32 v10, 32, v10
	v_lshrrev_b16_e32 v9, 3, v4
	v_subrev_u32_e32 v11, 28, v10
	v_and_b32_e32 v9, 15, v9
	v_lshlrev_b32_e32 v4, v11, v4
	v_sub_u32_e32 v10, 29, v10
	v_and_b32_e32 v4, 7, v4
	v_cmp_eq_u16_e32 vcc, 0, v9
	v_cndmask_b32_e32 v4, v8, v4, vcc
	v_cndmask_b32_e32 v8, v9, v10, vcc
	v_lshlrev_b32_e32 v9, 16, v1
	v_mov_b32_e32 v10, 0x3b800000
	v_lshlrev_b32_e32 v4, 20, v4
	v_and_b32_e32 v9, 0x80000000, v9
	v_lshl_add_u32 v8, v8, 23, v10
	v_or3_b32 v8, v9, v8, v4
.LBB47_1968:
	s_or_b64 exec, exec, s[6:7]
	s_nop 0
	v_mfma_f32_16x16x4f32 a[0:3], v0, v8, a[0:3]
	s_movk_i32 s4, 0xff
	v_and_b32_sdwa v4, v5, s4 dst_sel:DWORD dst_unused:UNUSED_PAD src0_sel:WORD_1 src1_sel:DWORD
	s_movk_i32 s4, 0x7f
	v_cmp_lt_i16_e32 vcc, s4, v4
	s_mov_b64 s[4:5], 0
                                        ; implicit-def: $sgpr10
	s_and_saveexec_b64 s[6:7], vcc
	s_xor_b64 s[6:7], exec, s[6:7]
	s_cbranch_execnz .LBB47_4017
; %bb.1969:
	s_or_saveexec_b64 s[6:7], s[6:7]
	v_mov_b32_e32 v0, s10
	s_xor_b64 exec, exec, s[6:7]
	s_cbranch_execnz .LBB47_4020
.LBB47_1970:
	s_or_b64 exec, exec, s[6:7]
	s_and_saveexec_b64 s[6:7], s[4:5]
	s_cbranch_execz .LBB47_1972
.LBB47_1971:
	v_bfe_u32 v0, v5, 16, 3
	v_ffbh_u32_e32 v9, v0
	v_min_u32_e32 v9, 32, v9
	v_lshrrev_b32_e32 v4, 19, v5
	v_subrev_u32_e32 v10, 28, v9
	v_and_b32_e32 v4, 15, v4
	v_lshlrev_b32_sdwa v10, v10, v5 dst_sel:DWORD dst_unused:UNUSED_PAD src0_sel:DWORD src1_sel:WORD_1
	v_bfe_u32 v8, v5, 19, 4
	v_sub_u32_e32 v9, 29, v9
	v_and_b32_e32 v10, 7, v10
	v_cmp_eq_u16_e32 vcc, 0, v4
	v_cndmask_b32_e32 v0, v0, v10, vcc
	v_cndmask_b32_e32 v4, v8, v9, vcc
	v_lshlrev_b32_e32 v8, 8, v5
	v_mov_b32_e32 v9, 0x3b800000
	v_lshlrev_b32_e32 v0, 20, v0
	v_and_b32_e32 v8, 0x80000000, v8
	v_lshl_add_u32 v4, v4, 23, v9
	v_or3_b32 v0, v8, v4, v0
.LBB47_1972:
	s_or_b64 exec, exec, s[6:7]
	s_movk_i32 s4, 0xff
	v_and_b32_sdwa v4, v1, s4 dst_sel:DWORD dst_unused:UNUSED_PAD src0_sel:WORD_1 src1_sel:DWORD
	s_movk_i32 s4, 0x7f
	v_cmp_lt_i16_e32 vcc, s4, v4
	s_mov_b64 s[4:5], 0
                                        ; implicit-def: $sgpr10
	s_and_saveexec_b64 s[6:7], vcc
	s_xor_b64 s[6:7], exec, s[6:7]
	s_cbranch_execnz .LBB47_4021
; %bb.1973:
	s_or_saveexec_b64 s[6:7], s[6:7]
	v_mov_b32_e32 v8, s10
	s_xor_b64 exec, exec, s[6:7]
	s_cbranch_execnz .LBB47_4024
.LBB47_1974:
	s_or_b64 exec, exec, s[6:7]
	s_and_saveexec_b64 s[6:7], s[4:5]
	s_cbranch_execz .LBB47_1976
.LBB47_1975:
	v_bfe_u32 v4, v1, 16, 3
	v_ffbh_u32_e32 v10, v4
	v_min_u32_e32 v10, 32, v10
	v_lshrrev_b32_e32 v8, 19, v1
	v_subrev_u32_e32 v11, 28, v10
	v_and_b32_e32 v8, 15, v8
	v_lshlrev_b32_sdwa v11, v11, v1 dst_sel:DWORD dst_unused:UNUSED_PAD src0_sel:DWORD src1_sel:WORD_1
	v_bfe_u32 v9, v1, 19, 4
	v_sub_u32_e32 v10, 29, v10
	v_and_b32_e32 v11, 7, v11
	v_cmp_eq_u16_e32 vcc, 0, v8
	v_cndmask_b32_e32 v4, v4, v11, vcc
	v_cndmask_b32_e32 v8, v9, v10, vcc
	v_lshlrev_b32_e32 v9, 8, v1
	v_mov_b32_e32 v10, 0x3b800000
	v_lshlrev_b32_e32 v4, 20, v4
	v_and_b32_e32 v9, 0x80000000, v9
	v_lshl_add_u32 v8, v8, 23, v10
	v_or3_b32 v8, v9, v8, v4
.LBB47_1976:
	s_or_b64 exec, exec, s[6:7]
	s_nop 0
	v_mfma_f32_16x16x4f32 a[0:3], v0, v8, a[0:3]
	s_movk_i32 s4, 0x7f
	v_cmp_gt_i16_sdwa s[6:7], v5, s4 src0_sel:BYTE_3 src1_sel:DWORD
	s_mov_b64 s[4:5], 0
                                        ; implicit-def: $sgpr10
	s_and_saveexec_b64 s[8:9], s[6:7]
	s_xor_b64 s[6:7], exec, s[8:9]
	s_cbranch_execnz .LBB47_4025
; %bb.1977:
	s_or_saveexec_b64 s[6:7], s[6:7]
	v_mov_b32_e32 v0, s10
	s_xor_b64 exec, exec, s[6:7]
	s_cbranch_execnz .LBB47_4028
.LBB47_1978:
	s_or_b64 exec, exec, s[6:7]
	s_and_saveexec_b64 s[6:7], s[4:5]
	s_cbranch_execz .LBB47_1980
.LBB47_1979:
	v_bfe_u32 v0, v5, 24, 3
	v_ffbh_u32_e32 v10, v0
	v_min_u32_e32 v10, 32, v10
	v_lshrrev_b32_e32 v8, 27, v5
	v_subrev_u32_e32 v11, 28, v10
	v_and_b32_e32 v4, 0x80000000, v5
	v_and_b32_e32 v8, 15, v8
	v_bfe_u32 v9, v5, 27, 4
	v_lshlrev_b32_sdwa v5, v11, v5 dst_sel:DWORD dst_unused:UNUSED_PAD src0_sel:DWORD src1_sel:BYTE_3
	v_sub_u32_e32 v10, 29, v10
	v_and_b32_e32 v5, 7, v5
	v_cmp_eq_u16_e32 vcc, 0, v8
	v_cndmask_b32_e32 v0, v0, v5, vcc
	v_cndmask_b32_e32 v5, v9, v10, vcc
	v_mov_b32_e32 v8, 0x3b800000
	v_lshlrev_b32_e32 v0, 20, v0
	v_lshl_add_u32 v5, v5, 23, v8
	v_or3_b32 v0, v4, v5, v0
.LBB47_1980:
	s_or_b64 exec, exec, s[6:7]
	s_movk_i32 s4, 0x7f
	v_cmp_gt_i16_sdwa s[6:7], v1, s4 src0_sel:BYTE_3 src1_sel:DWORD
	s_mov_b64 s[4:5], 0
                                        ; implicit-def: $sgpr10
	s_and_saveexec_b64 s[8:9], s[6:7]
	s_xor_b64 s[6:7], exec, s[8:9]
	s_cbranch_execnz .LBB47_4029
; %bb.1981:
	s_or_saveexec_b64 s[6:7], s[6:7]
	v_mov_b32_e32 v4, s10
	s_xor_b64 exec, exec, s[6:7]
	s_cbranch_execnz .LBB47_4032
.LBB47_1982:
	s_or_b64 exec, exec, s[6:7]
	s_and_saveexec_b64 s[6:7], s[4:5]
	s_cbranch_execz .LBB47_1984
.LBB47_1983:
	v_bfe_u32 v4, v1, 24, 3
	v_ffbh_u32_e32 v10, v4
	v_min_u32_e32 v10, 32, v10
	v_lshrrev_b32_e32 v8, 27, v1
	v_subrev_u32_e32 v11, 28, v10
	v_and_b32_e32 v5, 0x80000000, v1
	v_and_b32_e32 v8, 15, v8
	v_bfe_u32 v9, v1, 27, 4
	v_lshlrev_b32_sdwa v1, v11, v1 dst_sel:DWORD dst_unused:UNUSED_PAD src0_sel:DWORD src1_sel:BYTE_3
	v_sub_u32_e32 v10, 29, v10
	v_and_b32_e32 v1, 7, v1
	v_cmp_eq_u16_e32 vcc, 0, v8
	v_cndmask_b32_e32 v1, v4, v1, vcc
	v_cndmask_b32_e32 v4, v9, v10, vcc
	v_mov_b32_e32 v8, 0x3b800000
	v_lshlrev_b32_e32 v1, 20, v1
	v_lshl_add_u32 v4, v4, 23, v8
	v_or3_b32 v4, v5, v4, v1
.LBB47_1984:
	s_or_b64 exec, exec, s[6:7]
	s_nop 0
	v_mfma_f32_16x16x4f32 a[0:3], v0, v4, a[0:3]
	s_movk_i32 s4, 0x7f
	v_cmp_gt_i16_sdwa s[6:7], v6, s4 src0_sel:BYTE_0 src1_sel:DWORD
	s_mov_b64 s[4:5], 0
                                        ; implicit-def: $sgpr10
	s_and_saveexec_b64 s[8:9], s[6:7]
	s_xor_b64 s[6:7], exec, s[8:9]
	s_cbranch_execnz .LBB47_4033
; %bb.1985:
	s_or_saveexec_b64 s[6:7], s[6:7]
	v_mov_b32_e32 v0, s10
	s_xor_b64 exec, exec, s[6:7]
	s_cbranch_execnz .LBB47_4036
.LBB47_1986:
	s_or_b64 exec, exec, s[6:7]
	s_and_saveexec_b64 s[6:7], s[4:5]
	s_cbranch_execz .LBB47_1988
.LBB47_1987:
	v_and_b32_e32 v0, 7, v6
	v_ffbh_u32_e32 v4, v0
	v_min_u32_e32 v4, 32, v4
	v_lshrrev_b16_e32 v1, 3, v6
	v_subrev_u32_e32 v5, 28, v4
	v_and_b32_e32 v1, 15, v1
	v_lshlrev_b32_e32 v5, v5, v6
	v_sub_u32_e32 v4, 29, v4
	v_and_b32_e32 v5, 7, v5
	v_cmp_eq_u16_e32 vcc, 0, v1
	v_cndmask_b32_e32 v0, v0, v5, vcc
	v_cndmask_b32_e32 v1, v1, v4, vcc
	v_lshlrev_b32_e32 v4, 24, v6
	v_mov_b32_e32 v5, 0x3b800000
	v_lshlrev_b32_e32 v0, 20, v0
	v_and_b32_e32 v4, 0x80000000, v4
	v_lshl_add_u32 v1, v1, 23, v5
	v_or3_b32 v0, v4, v1, v0
.LBB47_1988:
	s_or_b64 exec, exec, s[6:7]
	s_movk_i32 s4, 0x7f
	v_cmp_gt_i16_sdwa s[6:7], v2, s4 src0_sel:BYTE_0 src1_sel:DWORD
	s_mov_b64 s[4:5], 0
                                        ; implicit-def: $sgpr10
	s_and_saveexec_b64 s[8:9], s[6:7]
	s_xor_b64 s[6:7], exec, s[8:9]
	s_cbranch_execnz .LBB47_4037
; %bb.1989:
	s_or_saveexec_b64 s[6:7], s[6:7]
	v_mov_b32_e32 v1, s10
	s_xor_b64 exec, exec, s[6:7]
	s_cbranch_execnz .LBB47_4040
.LBB47_1990:
	s_or_b64 exec, exec, s[6:7]
	s_and_saveexec_b64 s[6:7], s[4:5]
	s_cbranch_execz .LBB47_1992
.LBB47_1991:
	v_and_b32_e32 v1, 7, v2
	v_ffbh_u32_e32 v5, v1
	v_min_u32_e32 v5, 32, v5
	v_lshrrev_b16_e32 v4, 3, v2
	v_subrev_u32_e32 v8, 28, v5
	v_and_b32_e32 v4, 15, v4
	v_lshlrev_b32_e32 v8, v8, v2
	v_sub_u32_e32 v5, 29, v5
	v_and_b32_e32 v8, 7, v8
	v_cmp_eq_u16_e32 vcc, 0, v4
	v_cndmask_b32_e32 v1, v1, v8, vcc
	v_cndmask_b32_e32 v4, v4, v5, vcc
	v_lshlrev_b32_e32 v5, 24, v2
	v_mov_b32_e32 v8, 0x3b800000
	v_lshlrev_b32_e32 v1, 20, v1
	v_and_b32_e32 v5, 0x80000000, v5
	v_lshl_add_u32 v4, v4, 23, v8
	v_or3_b32 v1, v5, v4, v1
.LBB47_1992:
	s_or_b64 exec, exec, s[6:7]
	s_nop 0
	v_mfma_f32_16x16x4f32 a[0:3], v0, v1, a[0:3]
	v_lshrrev_b32_e32 v1, 8, v6
	s_movk_i32 s4, 0x7f
	v_cmp_gt_i16_sdwa s[6:7], v1, s4 src0_sel:BYTE_0 src1_sel:DWORD
	s_mov_b64 s[4:5], 0
                                        ; implicit-def: $sgpr10
	s_and_saveexec_b64 s[8:9], s[6:7]
	s_xor_b64 s[6:7], exec, s[8:9]
	s_cbranch_execnz .LBB47_4041
; %bb.1993:
	s_or_saveexec_b64 s[6:7], s[6:7]
	v_mov_b32_e32 v0, s10
	s_xor_b64 exec, exec, s[6:7]
	s_cbranch_execnz .LBB47_4044
.LBB47_1994:
	s_or_b64 exec, exec, s[6:7]
	s_and_saveexec_b64 s[6:7], s[4:5]
	s_cbranch_execz .LBB47_1996
.LBB47_1995:
	v_bfe_u32 v0, v6, 8, 3
	v_ffbh_u32_e32 v5, v0
	v_min_u32_e32 v5, 32, v5
	v_lshrrev_b16_e32 v4, 3, v1
	v_subrev_u32_e32 v8, 28, v5
	v_and_b32_e32 v4, 15, v4
	v_lshlrev_b32_e32 v1, v8, v1
	v_sub_u32_e32 v5, 29, v5
	v_and_b32_e32 v1, 7, v1
	v_cmp_eq_u16_e32 vcc, 0, v4
	v_cndmask_b32_e32 v0, v0, v1, vcc
	v_cndmask_b32_e32 v1, v4, v5, vcc
	v_lshlrev_b32_e32 v4, 16, v6
	v_mov_b32_e32 v5, 0x3b800000
	v_lshlrev_b32_e32 v0, 20, v0
	v_and_b32_e32 v4, 0x80000000, v4
	v_lshl_add_u32 v1, v1, 23, v5
	v_or3_b32 v0, v4, v1, v0
.LBB47_1996:
	s_or_b64 exec, exec, s[6:7]
	v_lshrrev_b32_e32 v1, 8, v2
	s_movk_i32 s4, 0x7f
	v_cmp_gt_i16_sdwa s[6:7], v1, s4 src0_sel:BYTE_0 src1_sel:DWORD
	s_mov_b64 s[4:5], 0
                                        ; implicit-def: $sgpr10
	s_and_saveexec_b64 s[8:9], s[6:7]
	s_xor_b64 s[6:7], exec, s[8:9]
	s_cbranch_execnz .LBB47_4045
; %bb.1997:
	s_or_saveexec_b64 s[6:7], s[6:7]
	v_mov_b32_e32 v4, s10
	s_xor_b64 exec, exec, s[6:7]
	s_cbranch_execnz .LBB47_4048
.LBB47_1998:
	s_or_b64 exec, exec, s[6:7]
	s_and_saveexec_b64 s[6:7], s[4:5]
	s_cbranch_execz .LBB47_2000
.LBB47_1999:
	v_bfe_u32 v4, v2, 8, 3
	v_ffbh_u32_e32 v8, v4
	v_min_u32_e32 v8, 32, v8
	v_lshrrev_b16_e32 v5, 3, v1
	v_subrev_u32_e32 v9, 28, v8
	v_and_b32_e32 v5, 15, v5
	v_lshlrev_b32_e32 v1, v9, v1
	v_sub_u32_e32 v8, 29, v8
	v_and_b32_e32 v1, 7, v1
	v_cmp_eq_u16_e32 vcc, 0, v5
	v_cndmask_b32_e32 v1, v4, v1, vcc
	v_cndmask_b32_e32 v4, v5, v8, vcc
	v_lshlrev_b32_e32 v5, 16, v2
	v_mov_b32_e32 v8, 0x3b800000
	v_lshlrev_b32_e32 v1, 20, v1
	v_and_b32_e32 v5, 0x80000000, v5
	v_lshl_add_u32 v4, v4, 23, v8
	v_or3_b32 v4, v5, v4, v1
.LBB47_2000:
	s_or_b64 exec, exec, s[6:7]
	s_nop 0
	v_mfma_f32_16x16x4f32 a[0:3], v0, v4, a[0:3]
	s_movk_i32 s4, 0xff
	v_and_b32_sdwa v1, v6, s4 dst_sel:DWORD dst_unused:UNUSED_PAD src0_sel:WORD_1 src1_sel:DWORD
	s_movk_i32 s4, 0x7f
	v_cmp_lt_i16_e32 vcc, s4, v1
	s_mov_b64 s[4:5], 0
                                        ; implicit-def: $sgpr10
	s_and_saveexec_b64 s[6:7], vcc
	s_xor_b64 s[6:7], exec, s[6:7]
	s_cbranch_execnz .LBB47_4049
; %bb.2001:
	s_or_saveexec_b64 s[6:7], s[6:7]
	v_mov_b32_e32 v0, s10
	s_xor_b64 exec, exec, s[6:7]
	s_cbranch_execnz .LBB47_4052
.LBB47_2002:
	s_or_b64 exec, exec, s[6:7]
	s_and_saveexec_b64 s[6:7], s[4:5]
	s_cbranch_execz .LBB47_2004
.LBB47_2003:
	v_bfe_u32 v0, v6, 16, 3
	v_ffbh_u32_e32 v5, v0
	v_min_u32_e32 v5, 32, v5
	v_lshrrev_b32_e32 v1, 19, v6
	v_subrev_u32_e32 v8, 28, v5
	v_and_b32_e32 v1, 15, v1
	v_lshlrev_b32_sdwa v8, v8, v6 dst_sel:DWORD dst_unused:UNUSED_PAD src0_sel:DWORD src1_sel:WORD_1
	v_bfe_u32 v4, v6, 19, 4
	v_sub_u32_e32 v5, 29, v5
	v_and_b32_e32 v8, 7, v8
	v_cmp_eq_u16_e32 vcc, 0, v1
	v_cndmask_b32_e32 v0, v0, v8, vcc
	v_cndmask_b32_e32 v1, v4, v5, vcc
	v_lshlrev_b32_e32 v4, 8, v6
	v_mov_b32_e32 v5, 0x3b800000
	v_lshlrev_b32_e32 v0, 20, v0
	v_and_b32_e32 v4, 0x80000000, v4
	v_lshl_add_u32 v1, v1, 23, v5
	v_or3_b32 v0, v4, v1, v0
.LBB47_2004:
	s_or_b64 exec, exec, s[6:7]
	s_movk_i32 s4, 0xff
	v_and_b32_sdwa v1, v2, s4 dst_sel:DWORD dst_unused:UNUSED_PAD src0_sel:WORD_1 src1_sel:DWORD
	s_movk_i32 s4, 0x7f
	v_cmp_lt_i16_e32 vcc, s4, v1
	s_mov_b64 s[4:5], 0
                                        ; implicit-def: $sgpr10
	s_and_saveexec_b64 s[6:7], vcc
	s_xor_b64 s[6:7], exec, s[6:7]
	s_cbranch_execnz .LBB47_4053
; %bb.2005:
	s_or_saveexec_b64 s[6:7], s[6:7]
	v_mov_b32_e32 v4, s10
	s_xor_b64 exec, exec, s[6:7]
	s_cbranch_execnz .LBB47_4056
.LBB47_2006:
	s_or_b64 exec, exec, s[6:7]
	s_and_saveexec_b64 s[6:7], s[4:5]
	s_cbranch_execz .LBB47_2008
.LBB47_2007:
	v_bfe_u32 v1, v2, 16, 3
	v_ffbh_u32_e32 v8, v1
	v_min_u32_e32 v8, 32, v8
	v_lshrrev_b32_e32 v4, 19, v2
	v_subrev_u32_e32 v9, 28, v8
	v_and_b32_e32 v4, 15, v4
	v_lshlrev_b32_sdwa v9, v9, v2 dst_sel:DWORD dst_unused:UNUSED_PAD src0_sel:DWORD src1_sel:WORD_1
	v_bfe_u32 v5, v2, 19, 4
	v_sub_u32_e32 v8, 29, v8
	v_and_b32_e32 v9, 7, v9
	v_cmp_eq_u16_e32 vcc, 0, v4
	v_cndmask_b32_e32 v1, v1, v9, vcc
	v_cndmask_b32_e32 v4, v5, v8, vcc
	v_lshlrev_b32_e32 v5, 8, v2
	v_mov_b32_e32 v8, 0x3b800000
	v_lshlrev_b32_e32 v1, 20, v1
	v_and_b32_e32 v5, 0x80000000, v5
	v_lshl_add_u32 v4, v4, 23, v8
	v_or3_b32 v4, v5, v4, v1
.LBB47_2008:
	s_or_b64 exec, exec, s[6:7]
	s_nop 0
	v_mfma_f32_16x16x4f32 a[0:3], v0, v4, a[0:3]
	s_movk_i32 s4, 0x7f
	v_cmp_gt_i16_sdwa s[6:7], v6, s4 src0_sel:BYTE_3 src1_sel:DWORD
	s_mov_b64 s[4:5], 0
                                        ; implicit-def: $sgpr10
	s_and_saveexec_b64 s[8:9], s[6:7]
	s_xor_b64 s[6:7], exec, s[8:9]
	s_cbranch_execnz .LBB47_4057
; %bb.2009:
	s_or_saveexec_b64 s[6:7], s[6:7]
	v_mov_b32_e32 v0, s10
	s_xor_b64 exec, exec, s[6:7]
	s_cbranch_execnz .LBB47_4060
.LBB47_2010:
	s_or_b64 exec, exec, s[6:7]
	s_and_saveexec_b64 s[6:7], s[4:5]
	s_cbranch_execz .LBB47_2012
.LBB47_2011:
	v_bfe_u32 v0, v6, 24, 3
	v_ffbh_u32_e32 v8, v0
	v_min_u32_e32 v8, 32, v8
	v_lshrrev_b32_e32 v4, 27, v6
	v_subrev_u32_e32 v9, 28, v8
	v_and_b32_e32 v1, 0x80000000, v6
	v_and_b32_e32 v4, 15, v4
	v_bfe_u32 v5, v6, 27, 4
	v_lshlrev_b32_sdwa v6, v9, v6 dst_sel:DWORD dst_unused:UNUSED_PAD src0_sel:DWORD src1_sel:BYTE_3
	v_sub_u32_e32 v8, 29, v8
	v_and_b32_e32 v6, 7, v6
	v_cmp_eq_u16_e32 vcc, 0, v4
	v_cndmask_b32_e32 v0, v0, v6, vcc
	v_cndmask_b32_e32 v4, v5, v8, vcc
	v_mov_b32_e32 v5, 0x3b800000
	v_lshlrev_b32_e32 v0, 20, v0
	v_lshl_add_u32 v4, v4, 23, v5
	v_or3_b32 v0, v1, v4, v0
.LBB47_2012:
	s_or_b64 exec, exec, s[6:7]
	s_movk_i32 s4, 0x7f
	v_cmp_gt_i16_sdwa s[6:7], v2, s4 src0_sel:BYTE_3 src1_sel:DWORD
	s_mov_b64 s[4:5], 0
                                        ; implicit-def: $sgpr10
	s_and_saveexec_b64 s[8:9], s[6:7]
	s_xor_b64 s[6:7], exec, s[8:9]
	s_cbranch_execnz .LBB47_4061
; %bb.2013:
	s_or_saveexec_b64 s[6:7], s[6:7]
	v_mov_b32_e32 v1, s10
	s_xor_b64 exec, exec, s[6:7]
	s_cbranch_execnz .LBB47_4064
.LBB47_2014:
	s_or_b64 exec, exec, s[6:7]
	s_and_saveexec_b64 s[6:7], s[4:5]
	s_cbranch_execz .LBB47_2016
.LBB47_2015:
	v_bfe_u32 v1, v2, 24, 3
	v_ffbh_u32_e32 v8, v1
	v_min_u32_e32 v8, 32, v8
	v_lshrrev_b32_e32 v5, 27, v2
	v_subrev_u32_e32 v9, 28, v8
	v_and_b32_e32 v4, 0x80000000, v2
	v_and_b32_e32 v5, 15, v5
	v_bfe_u32 v6, v2, 27, 4
	v_lshlrev_b32_sdwa v2, v9, v2 dst_sel:DWORD dst_unused:UNUSED_PAD src0_sel:DWORD src1_sel:BYTE_3
	v_sub_u32_e32 v8, 29, v8
	v_and_b32_e32 v2, 7, v2
	v_cmp_eq_u16_e32 vcc, 0, v5
	v_cndmask_b32_e32 v1, v1, v2, vcc
	v_cndmask_b32_e32 v2, v6, v8, vcc
	v_mov_b32_e32 v5, 0x3b800000
	v_lshlrev_b32_e32 v1, 20, v1
	v_lshl_add_u32 v2, v2, 23, v5
	v_or3_b32 v1, v4, v2, v1
.LBB47_2016:
	s_or_b64 exec, exec, s[6:7]
	s_nop 0
	v_mfma_f32_16x16x4f32 a[0:3], v0, v1, a[0:3]
	s_movk_i32 s4, 0x7f
	v_cmp_gt_i16_sdwa s[6:7], v7, s4 src0_sel:BYTE_0 src1_sel:DWORD
	s_mov_b64 s[4:5], 0
                                        ; implicit-def: $sgpr10
	s_and_saveexec_b64 s[8:9], s[6:7]
	s_xor_b64 s[6:7], exec, s[8:9]
	s_cbranch_execnz .LBB47_4065
; %bb.2017:
	s_or_saveexec_b64 s[6:7], s[6:7]
	v_mov_b32_e32 v0, s10
	s_xor_b64 exec, exec, s[6:7]
	s_cbranch_execnz .LBB47_4068
.LBB47_2018:
	s_or_b64 exec, exec, s[6:7]
	s_and_saveexec_b64 s[6:7], s[4:5]
	s_cbranch_execz .LBB47_2020
.LBB47_2019:
	v_mov_b32_e32 v0, 8
	v_and_b32_e32 v1, 7, v7
	v_lshrrev_b32_sdwa v0, v0, v7 dst_sel:BYTE_1 dst_unused:UNUSED_PAD src0_sel:DWORD src1_sel:DWORD
	v_ffbh_u32_e32 v2, v1
	v_or_b32_sdwa v0, v7, v0 dst_sel:DWORD dst_unused:UNUSED_PAD src0_sel:BYTE_0 src1_sel:DWORD
	v_min_u32_e32 v2, 32, v2
	v_lshrrev_b16_e32 v0, 3, v0
	v_subrev_u32_e32 v4, 28, v2
	v_and_b32_e32 v0, 15, v0
	v_lshlrev_b32_e32 v4, v4, v7
	v_sub_u32_e32 v2, 29, v2
	v_and_b32_e32 v4, 7, v4
	v_cmp_eq_u16_e32 vcc, 0, v0
	v_cndmask_b32_e32 v1, v1, v4, vcc
	v_cndmask_b32_e32 v0, v0, v2, vcc
	v_lshlrev_b32_e32 v2, 24, v7
	v_mov_b32_e32 v4, 0x3b800000
	v_lshlrev_b32_e32 v1, 20, v1
	v_and_b32_e32 v2, 0x80000000, v2
	v_lshl_add_u32 v0, v0, 23, v4
	v_or3_b32 v0, v2, v0, v1
.LBB47_2020:
	s_or_b64 exec, exec, s[6:7]
	s_movk_i32 s4, 0x7f
	v_cmp_gt_i16_sdwa s[6:7], v3, s4 src0_sel:BYTE_0 src1_sel:DWORD
	s_mov_b64 s[4:5], 0
                                        ; implicit-def: $sgpr10
	s_and_saveexec_b64 s[8:9], s[6:7]
	s_xor_b64 s[6:7], exec, s[8:9]
	s_cbranch_execnz .LBB47_4069
; %bb.2021:
	s_or_saveexec_b64 s[6:7], s[6:7]
	v_mov_b32_e32 v1, s10
	s_xor_b64 exec, exec, s[6:7]
	s_cbranch_execnz .LBB47_4072
.LBB47_2022:
	s_or_b64 exec, exec, s[6:7]
	s_and_saveexec_b64 s[6:7], s[4:5]
	s_cbranch_execz .LBB47_2024
.LBB47_2023:
	v_mov_b32_e32 v1, 8
	v_and_b32_e32 v2, 7, v3
	v_lshrrev_b32_sdwa v1, v1, v3 dst_sel:BYTE_1 dst_unused:UNUSED_PAD src0_sel:DWORD src1_sel:DWORD
	v_ffbh_u32_e32 v4, v2
	v_or_b32_sdwa v1, v3, v1 dst_sel:DWORD dst_unused:UNUSED_PAD src0_sel:BYTE_0 src1_sel:DWORD
	v_min_u32_e32 v4, 32, v4
	v_lshrrev_b16_e32 v1, 3, v1
	v_subrev_u32_e32 v5, 28, v4
	v_and_b32_e32 v1, 15, v1
	v_lshlrev_b32_e32 v5, v5, v3
	v_sub_u32_e32 v4, 29, v4
	v_and_b32_e32 v5, 7, v5
	v_cmp_eq_u16_e32 vcc, 0, v1
	v_cndmask_b32_e32 v2, v2, v5, vcc
	v_cndmask_b32_e32 v1, v1, v4, vcc
	v_lshlrev_b32_e32 v4, 24, v3
	v_mov_b32_e32 v5, 0x3b800000
	v_lshlrev_b32_e32 v2, 20, v2
	v_and_b32_e32 v4, 0x80000000, v4
	v_lshl_add_u32 v1, v1, 23, v5
	v_or3_b32 v1, v4, v1, v2
.LBB47_2024:
	s_or_b64 exec, exec, s[6:7]
	s_nop 0
	v_mfma_f32_16x16x4f32 a[0:3], v0, v1, a[0:3]
	v_lshrrev_b32_e32 v1, 8, v7
	s_movk_i32 s4, 0x7f
	v_cmp_gt_i16_sdwa s[6:7], v1, s4 src0_sel:BYTE_0 src1_sel:DWORD
	s_mov_b64 s[4:5], 0
                                        ; implicit-def: $sgpr10
	s_and_saveexec_b64 s[8:9], s[6:7]
	s_xor_b64 s[6:7], exec, s[8:9]
	s_cbranch_execnz .LBB47_4073
; %bb.2025:
	s_or_saveexec_b64 s[6:7], s[6:7]
	v_mov_b32_e32 v0, s10
	s_xor_b64 exec, exec, s[6:7]
	s_cbranch_execnz .LBB47_4076
.LBB47_2026:
	s_or_b64 exec, exec, s[6:7]
	s_and_saveexec_b64 s[6:7], s[4:5]
	s_cbranch_execz .LBB47_2028
.LBB47_2027:
	v_bfe_u32 v0, v7, 8, 3
	v_ffbh_u32_e32 v4, v0
	v_min_u32_e32 v4, 32, v4
	v_lshrrev_b16_e32 v2, 3, v1
	v_subrev_u32_e32 v5, 28, v4
	v_and_b32_e32 v2, 15, v2
	v_lshlrev_b32_e32 v1, v5, v1
	v_sub_u32_e32 v4, 29, v4
	v_and_b32_e32 v1, 7, v1
	v_cmp_eq_u16_e32 vcc, 0, v2
	v_cndmask_b32_e32 v0, v0, v1, vcc
	v_cndmask_b32_e32 v1, v2, v4, vcc
	v_lshlrev_b32_e32 v2, 16, v7
	v_mov_b32_e32 v4, 0x3b800000
	v_lshlrev_b32_e32 v0, 20, v0
	v_and_b32_e32 v2, 0x80000000, v2
	v_lshl_add_u32 v1, v1, 23, v4
	v_or3_b32 v0, v2, v1, v0
.LBB47_2028:
	s_or_b64 exec, exec, s[6:7]
	v_lshrrev_b32_e32 v1, 8, v3
	s_movk_i32 s4, 0x7f
	v_cmp_gt_i16_sdwa s[6:7], v1, s4 src0_sel:BYTE_0 src1_sel:DWORD
	s_mov_b64 s[4:5], 0
                                        ; implicit-def: $sgpr10
	s_and_saveexec_b64 s[8:9], s[6:7]
	s_xor_b64 s[6:7], exec, s[8:9]
	s_cbranch_execnz .LBB47_4077
; %bb.2029:
	s_or_saveexec_b64 s[6:7], s[6:7]
	v_mov_b32_e32 v2, s10
	s_xor_b64 exec, exec, s[6:7]
	s_cbranch_execnz .LBB47_4080
.LBB47_2030:
	s_or_b64 exec, exec, s[6:7]
	s_and_saveexec_b64 s[6:7], s[4:5]
	s_cbranch_execz .LBB47_2032
.LBB47_2031:
	v_bfe_u32 v2, v3, 8, 3
	v_ffbh_u32_e32 v5, v2
	v_min_u32_e32 v5, 32, v5
	v_lshrrev_b16_e32 v4, 3, v1
	v_subrev_u32_e32 v6, 28, v5
	v_and_b32_e32 v4, 15, v4
	v_lshlrev_b32_e32 v1, v6, v1
	v_sub_u32_e32 v5, 29, v5
	v_and_b32_e32 v1, 7, v1
	v_cmp_eq_u16_e32 vcc, 0, v4
	v_cndmask_b32_e32 v1, v2, v1, vcc
	v_cndmask_b32_e32 v2, v4, v5, vcc
	v_lshlrev_b32_e32 v4, 16, v3
	v_mov_b32_e32 v5, 0x3b800000
	v_lshlrev_b32_e32 v1, 20, v1
	v_and_b32_e32 v4, 0x80000000, v4
	v_lshl_add_u32 v2, v2, 23, v5
	v_or3_b32 v2, v4, v2, v1
.LBB47_2032:
	s_or_b64 exec, exec, s[6:7]
	s_nop 0
	v_mfma_f32_16x16x4f32 a[0:3], v0, v2, a[0:3]
	s_movk_i32 s4, 0xff
	v_and_b32_sdwa v1, v7, s4 dst_sel:DWORD dst_unused:UNUSED_PAD src0_sel:WORD_1 src1_sel:DWORD
	s_movk_i32 s4, 0x7f
	v_cmp_lt_i16_e32 vcc, s4, v1
	s_mov_b64 s[4:5], 0
                                        ; implicit-def: $sgpr10
	s_and_saveexec_b64 s[6:7], vcc
	s_xor_b64 s[6:7], exec, s[6:7]
	s_cbranch_execnz .LBB47_4081
; %bb.2033:
	s_or_saveexec_b64 s[6:7], s[6:7]
	v_mov_b32_e32 v0, s10
	s_xor_b64 exec, exec, s[6:7]
	s_cbranch_execnz .LBB47_4084
.LBB47_2034:
	s_or_b64 exec, exec, s[6:7]
	s_and_saveexec_b64 s[6:7], s[4:5]
	s_cbranch_execz .LBB47_2036
.LBB47_2035:
	v_bfe_u32 v0, v7, 16, 3
	v_ffbh_u32_e32 v4, v0
	v_min_u32_e32 v4, 32, v4
	v_lshrrev_b32_e32 v1, 19, v7
	v_subrev_u32_e32 v5, 28, v4
	v_and_b32_e32 v1, 15, v1
	v_lshlrev_b32_sdwa v5, v5, v7 dst_sel:DWORD dst_unused:UNUSED_PAD src0_sel:DWORD src1_sel:WORD_1
	v_bfe_u32 v2, v7, 19, 4
	v_sub_u32_e32 v4, 29, v4
	v_and_b32_e32 v5, 7, v5
	v_cmp_eq_u16_e32 vcc, 0, v1
	v_cndmask_b32_e32 v0, v0, v5, vcc
	v_cndmask_b32_e32 v1, v2, v4, vcc
	v_lshlrev_b32_e32 v2, 8, v7
	v_mov_b32_e32 v4, 0x3b800000
	v_lshlrev_b32_e32 v0, 20, v0
	v_and_b32_e32 v2, 0x80000000, v2
	v_lshl_add_u32 v1, v1, 23, v4
	v_or3_b32 v0, v2, v1, v0
.LBB47_2036:
	s_or_b64 exec, exec, s[6:7]
	s_movk_i32 s4, 0xff
	v_and_b32_sdwa v1, v3, s4 dst_sel:DWORD dst_unused:UNUSED_PAD src0_sel:WORD_1 src1_sel:DWORD
	s_movk_i32 s4, 0x7f
	v_cmp_lt_i16_e32 vcc, s4, v1
	s_mov_b64 s[4:5], 0
                                        ; implicit-def: $sgpr10
	s_and_saveexec_b64 s[6:7], vcc
	s_xor_b64 s[6:7], exec, s[6:7]
	s_cbranch_execnz .LBB47_4085
; %bb.2037:
	s_or_saveexec_b64 s[6:7], s[6:7]
	v_mov_b32_e32 v2, s10
	s_xor_b64 exec, exec, s[6:7]
	s_cbranch_execnz .LBB47_4088
.LBB47_2038:
	s_or_b64 exec, exec, s[6:7]
	s_and_saveexec_b64 s[6:7], s[4:5]
	s_cbranch_execz .LBB47_2040
.LBB47_2039:
	v_bfe_u32 v1, v3, 16, 3
	v_ffbh_u32_e32 v5, v1
	v_min_u32_e32 v5, 32, v5
	v_lshrrev_b32_e32 v2, 19, v3
	v_subrev_u32_e32 v6, 28, v5
	v_and_b32_e32 v2, 15, v2
	v_lshlrev_b32_sdwa v6, v6, v3 dst_sel:DWORD dst_unused:UNUSED_PAD src0_sel:DWORD src1_sel:WORD_1
	v_bfe_u32 v4, v3, 19, 4
	v_sub_u32_e32 v5, 29, v5
	v_and_b32_e32 v6, 7, v6
	v_cmp_eq_u16_e32 vcc, 0, v2
	v_cndmask_b32_e32 v1, v1, v6, vcc
	v_cndmask_b32_e32 v2, v4, v5, vcc
	v_lshlrev_b32_e32 v4, 8, v3
	v_mov_b32_e32 v5, 0x3b800000
	v_lshlrev_b32_e32 v1, 20, v1
	v_and_b32_e32 v4, 0x80000000, v4
	v_lshl_add_u32 v2, v2, 23, v5
	v_or3_b32 v2, v4, v2, v1
.LBB47_2040:
	s_or_b64 exec, exec, s[6:7]
	s_nop 0
	v_mfma_f32_16x16x4f32 a[0:3], v0, v2, a[0:3]
	s_movk_i32 s4, 0x7f
	v_cmp_gt_i16_sdwa s[6:7], v7, s4 src0_sel:BYTE_3 src1_sel:DWORD
	s_mov_b64 s[4:5], 0
                                        ; implicit-def: $sgpr10
	s_and_saveexec_b64 s[8:9], s[6:7]
	s_xor_b64 s[6:7], exec, s[8:9]
	s_cbranch_execnz .LBB47_4089
; %bb.2041:
	s_or_saveexec_b64 s[6:7], s[6:7]
	v_mov_b32_e32 v0, s10
	s_xor_b64 exec, exec, s[6:7]
	s_cbranch_execnz .LBB47_4092
.LBB47_2042:
	s_or_b64 exec, exec, s[6:7]
	s_and_saveexec_b64 s[6:7], s[4:5]
	s_cbranch_execz .LBB47_2044
.LBB47_2043:
	v_bfe_u32 v0, v7, 24, 3
	v_ffbh_u32_e32 v5, v0
	v_min_u32_e32 v5, 32, v5
	v_lshrrev_b32_e32 v2, 27, v7
	v_subrev_u32_e32 v6, 28, v5
	v_and_b32_e32 v2, 15, v2
	v_lshlrev_b32_sdwa v6, v6, v7 dst_sel:DWORD dst_unused:UNUSED_PAD src0_sel:DWORD src1_sel:BYTE_3
	v_bfe_u32 v4, v7, 27, 4
	v_sub_u32_e32 v5, 29, v5
	v_and_b32_e32 v6, 7, v6
	v_cmp_eq_u16_e32 vcc, 0, v2
	v_cndmask_b32_e32 v0, v0, v6, vcc
	v_cndmask_b32_e32 v2, v4, v5, vcc
	v_mov_b32_e32 v4, 0x3b800000
	v_and_b32_e32 v1, 0x80000000, v7
	v_lshlrev_b32_e32 v0, 20, v0
	v_lshl_add_u32 v2, v2, 23, v4
	v_or3_b32 v0, v1, v2, v0
.LBB47_2044:
	s_or_b64 exec, exec, s[6:7]
	s_movk_i32 s4, 0x7f
	v_cmp_gt_i16_sdwa s[6:7], v3, s4 src0_sel:BYTE_3 src1_sel:DWORD
	s_mov_b64 s[4:5], 0
                                        ; implicit-def: $sgpr10
	s_and_saveexec_b64 s[8:9], s[6:7]
	s_xor_b64 s[6:7], exec, s[8:9]
	s_cbranch_execnz .LBB47_4093
; %bb.2045:
	s_or_saveexec_b64 s[6:7], s[6:7]
	v_mov_b32_e32 v1, s10
	s_xor_b64 exec, exec, s[6:7]
	s_cbranch_execnz .LBB47_4096
.LBB47_2046:
	s_or_b64 exec, exec, s[6:7]
	s_and_saveexec_b64 s[6:7], s[4:5]
	s_cbranch_execz .LBB47_2048
.LBB47_2047:
	v_bfe_u32 v1, v3, 24, 3
	v_ffbh_u32_e32 v6, v1
	v_min_u32_e32 v6, 32, v6
	v_lshrrev_b32_e32 v4, 27, v3
	v_subrev_u32_e32 v7, 28, v6
	v_and_b32_e32 v2, 0x80000000, v3
	v_and_b32_e32 v4, 15, v4
	v_bfe_u32 v5, v3, 27, 4
	v_lshlrev_b32_sdwa v3, v7, v3 dst_sel:DWORD dst_unused:UNUSED_PAD src0_sel:DWORD src1_sel:BYTE_3
	v_sub_u32_e32 v6, 29, v6
	v_and_b32_e32 v3, 7, v3
	v_cmp_eq_u16_e32 vcc, 0, v4
	v_cndmask_b32_e32 v1, v1, v3, vcc
	v_cndmask_b32_e32 v3, v5, v6, vcc
	v_mov_b32_e32 v4, 0x3b800000
	v_lshlrev_b32_e32 v1, 20, v1
	v_lshl_add_u32 v3, v3, 23, v4
	v_or3_b32 v1, v2, v3, v1
.LBB47_2048:
	s_or_b64 exec, exec, s[6:7]
	s_nop 0
	v_mfma_f32_16x16x4f32 a[0:3], v0, v1, a[0:3]
	s_nop 7
	s_nop 2
	flat_store_dwordx4 v[16:17], a[0:3] offset:496
	s_waitcnt vmcnt(0) lgkmcnt(0)
	s_setpc_b64 s[30:31]
.LBB47_2049:
	s_movk_i32 s4, 0x80
	v_cmp_eq_u16_sdwa s[12:13], v14, s4 src0_sel:BYTE_0 src1_sel:DWORD
	s_mov_b64 s[4:5], -1
                                        ; implicit-def: $sgpr10
	s_and_saveexec_b64 s[8:9], s[12:13]
; %bb.2050:
	s_mov_b32 s10, 0x7f800001
	s_xor_b64 s[4:5], exec, -1
; %bb.2051:
	s_or_b64 exec, exec, s[8:9]
	s_and_b64 s[4:5], s[4:5], exec
	s_or_saveexec_b64 s[6:7], s[6:7]
	v_mov_b32_e32 v20, s10
	s_xor_b64 exec, exec, s[6:7]
	s_cbranch_execz .LBB47_2
.LBB47_2052:
	v_mov_b32_e32 v20, 0
	v_cmp_ne_u16_sdwa s[8:9], v14, v20 src0_sel:BYTE_0 src1_sel:DWORD
	s_andn2_b64 s[4:5], s[4:5], exec
	s_and_b64 s[8:9], s[8:9], exec
	s_or_b64 s[4:5], s[4:5], s[8:9]
	s_or_b64 exec, exec, s[6:7]
	s_and_saveexec_b64 s[6:7], s[4:5]
	s_cbranch_execnz .LBB47_3
	s_branch .LBB47_4
.LBB47_2053:
	s_movk_i32 s4, 0x80
	v_cmp_eq_u16_sdwa s[12:13], v10, s4 src0_sel:BYTE_0 src1_sel:DWORD
	s_mov_b64 s[4:5], -1
                                        ; implicit-def: $sgpr10
	s_and_saveexec_b64 s[8:9], s[12:13]
; %bb.2054:
	s_mov_b32 s10, 0x7f800001
	s_xor_b64 s[4:5], exec, -1
; %bb.2055:
	s_or_b64 exec, exec, s[8:9]
	s_and_b64 s[4:5], s[4:5], exec
	s_or_saveexec_b64 s[6:7], s[6:7]
	v_mov_b32_e32 v21, s10
	s_xor_b64 exec, exec, s[6:7]
	s_cbranch_execz .LBB47_6
.LBB47_2056:
	v_mov_b32_e32 v21, 0
	v_cmp_ne_u16_sdwa s[8:9], v10, v21 src0_sel:BYTE_0 src1_sel:DWORD
	s_andn2_b64 s[4:5], s[4:5], exec
	s_and_b64 s[8:9], s[8:9], exec
	s_or_b64 s[4:5], s[4:5], s[8:9]
	s_or_b64 exec, exec, s[6:7]
	s_and_saveexec_b64 s[6:7], s[4:5]
	s_cbranch_execnz .LBB47_7
	s_branch .LBB47_8
.LBB47_2057:
	s_movk_i32 s4, 0x80
	v_cmp_eq_u16_sdwa s[12:13], v21, s4 src0_sel:BYTE_0 src1_sel:DWORD
	s_mov_b64 s[4:5], -1
                                        ; implicit-def: $sgpr10
	s_and_saveexec_b64 s[8:9], s[12:13]
; %bb.2058:
	s_mov_b32 s10, 0x7f800001
	s_xor_b64 s[4:5], exec, -1
; %bb.2059:
	s_or_b64 exec, exec, s[8:9]
	s_and_b64 s[4:5], s[4:5], exec
	s_or_saveexec_b64 s[6:7], s[6:7]
	v_mov_b32_e32 v20, s10
	s_xor_b64 exec, exec, s[6:7]
	s_cbranch_execz .LBB47_10
.LBB47_2060:
	v_mov_b32_e32 v20, 0
	v_cmp_ne_u16_sdwa s[8:9], v21, v20 src0_sel:BYTE_0 src1_sel:DWORD
	s_andn2_b64 s[4:5], s[4:5], exec
	s_and_b64 s[8:9], s[8:9], exec
	s_or_b64 s[4:5], s[4:5], s[8:9]
	s_or_b64 exec, exec, s[6:7]
	s_and_saveexec_b64 s[6:7], s[4:5]
	s_cbranch_execnz .LBB47_11
	s_branch .LBB47_12
.LBB47_2061:
	s_movk_i32 s4, 0x80
	v_cmp_eq_u16_sdwa s[12:13], v21, s4 src0_sel:BYTE_0 src1_sel:DWORD
	s_mov_b64 s[4:5], -1
                                        ; implicit-def: $sgpr10
	s_and_saveexec_b64 s[8:9], s[12:13]
; %bb.2062:
	s_mov_b32 s10, 0x7f800001
	s_xor_b64 s[4:5], exec, -1
; %bb.2063:
	s_or_b64 exec, exec, s[8:9]
	s_and_b64 s[4:5], s[4:5], exec
	s_or_saveexec_b64 s[6:7], s[6:7]
	v_mov_b32_e32 v22, s10
	s_xor_b64 exec, exec, s[6:7]
	s_cbranch_execz .LBB47_14
.LBB47_2064:
	v_mov_b32_e32 v22, 0
	v_cmp_ne_u16_sdwa s[8:9], v21, v22 src0_sel:BYTE_0 src1_sel:DWORD
	s_andn2_b64 s[4:5], s[4:5], exec
	s_and_b64 s[8:9], s[8:9], exec
	s_or_b64 s[4:5], s[4:5], s[8:9]
	s_or_b64 exec, exec, s[6:7]
	s_and_saveexec_b64 s[6:7], s[4:5]
	s_cbranch_execnz .LBB47_15
	s_branch .LBB47_16
.LBB47_2065:
	s_movk_i32 s4, 0x80
	v_cmp_eq_u16_e32 vcc, s4, v21
	s_mov_b64 s[4:5], -1
                                        ; implicit-def: $sgpr10
	s_and_saveexec_b64 s[8:9], vcc
; %bb.2066:
	s_mov_b32 s10, 0x7f800001
	s_xor_b64 s[4:5], exec, -1
; %bb.2067:
	s_or_b64 exec, exec, s[8:9]
	s_and_b64 s[4:5], s[4:5], exec
                                        ; implicit-def: $vgpr21
	s_or_saveexec_b64 s[6:7], s[6:7]
	v_mov_b32_e32 v20, s10
	s_xor_b64 exec, exec, s[6:7]
	s_cbranch_execz .LBB47_18
.LBB47_2068:
	v_cmp_ne_u16_e32 vcc, 0, v21
	s_andn2_b64 s[4:5], s[4:5], exec
	s_and_b64 s[8:9], vcc, exec
	v_mov_b32_e32 v20, 0
	s_or_b64 s[4:5], s[4:5], s[8:9]
	s_or_b64 exec, exec, s[6:7]
	s_and_saveexec_b64 s[6:7], s[4:5]
	s_cbranch_execnz .LBB47_19
	s_branch .LBB47_20
.LBB47_2069:
	s_movk_i32 s4, 0x80
	v_cmp_eq_u16_e32 vcc, s4, v21
	s_mov_b64 s[4:5], -1
                                        ; implicit-def: $sgpr10
	s_and_saveexec_b64 s[8:9], vcc
; %bb.2070:
	s_mov_b32 s10, 0x7f800001
	s_xor_b64 s[4:5], exec, -1
; %bb.2071:
	s_or_b64 exec, exec, s[8:9]
	s_and_b64 s[4:5], s[4:5], exec
                                        ; implicit-def: $vgpr21
	s_or_saveexec_b64 s[6:7], s[6:7]
	v_mov_b32_e32 v22, s10
	s_xor_b64 exec, exec, s[6:7]
	s_cbranch_execz .LBB47_22
.LBB47_2072:
	v_cmp_ne_u16_e32 vcc, 0, v21
	s_andn2_b64 s[4:5], s[4:5], exec
	s_and_b64 s[8:9], vcc, exec
	v_mov_b32_e32 v22, 0
	s_or_b64 s[4:5], s[4:5], s[8:9]
	s_or_b64 exec, exec, s[6:7]
	s_and_saveexec_b64 s[6:7], s[4:5]
	s_cbranch_execnz .LBB47_23
	s_branch .LBB47_24
.LBB47_2073:
	s_movk_i32 s4, 0x80
	v_cmp_eq_u16_sdwa s[12:13], v14, s4 src0_sel:BYTE_3 src1_sel:DWORD
	s_mov_b64 s[4:5], -1
                                        ; implicit-def: $sgpr10
	s_and_saveexec_b64 s[8:9], s[12:13]
; %bb.2074:
	s_mov_b32 s10, 0x7f800001
	s_xor_b64 s[4:5], exec, -1
; %bb.2075:
	s_or_b64 exec, exec, s[8:9]
	s_and_b64 s[4:5], s[4:5], exec
	s_or_saveexec_b64 s[6:7], s[6:7]
	v_mov_b32_e32 v20, s10
	s_xor_b64 exec, exec, s[6:7]
	s_cbranch_execz .LBB47_26
.LBB47_2076:
	v_mov_b32_e32 v20, 0
	v_cmp_ne_u16_sdwa s[8:9], v14, v20 src0_sel:BYTE_3 src1_sel:DWORD
	s_andn2_b64 s[4:5], s[4:5], exec
	s_and_b64 s[8:9], s[8:9], exec
	s_or_b64 s[4:5], s[4:5], s[8:9]
	s_or_b64 exec, exec, s[6:7]
	s_and_saveexec_b64 s[6:7], s[4:5]
	s_cbranch_execnz .LBB47_27
	s_branch .LBB47_28
.LBB47_2077:
	s_movk_i32 s4, 0x80
	v_cmp_eq_u16_sdwa s[12:13], v10, s4 src0_sel:BYTE_3 src1_sel:DWORD
	s_mov_b64 s[4:5], -1
                                        ; implicit-def: $sgpr10
	s_and_saveexec_b64 s[8:9], s[12:13]
; %bb.2078:
	s_mov_b32 s10, 0x7f800001
	s_xor_b64 s[4:5], exec, -1
; %bb.2079:
	s_or_b64 exec, exec, s[8:9]
	s_and_b64 s[4:5], s[4:5], exec
	s_or_saveexec_b64 s[6:7], s[6:7]
	v_mov_b32_e32 v14, s10
	s_xor_b64 exec, exec, s[6:7]
	s_cbranch_execz .LBB47_30
.LBB47_2080:
	v_mov_b32_e32 v14, 0
	v_cmp_ne_u16_sdwa s[8:9], v10, v14 src0_sel:BYTE_3 src1_sel:DWORD
	s_andn2_b64 s[4:5], s[4:5], exec
	s_and_b64 s[8:9], s[8:9], exec
	s_or_b64 s[4:5], s[4:5], s[8:9]
	s_or_b64 exec, exec, s[6:7]
	s_and_saveexec_b64 s[6:7], s[4:5]
	s_cbranch_execnz .LBB47_31
	s_branch .LBB47_32
.LBB47_2081:
	s_movk_i32 s4, 0x80
	v_cmp_eq_u16_sdwa s[12:13], v15, s4 src0_sel:BYTE_0 src1_sel:DWORD
	s_mov_b64 s[4:5], -1
                                        ; implicit-def: $sgpr10
	s_and_saveexec_b64 s[8:9], s[12:13]
; %bb.2082:
	s_mov_b32 s10, 0x7f800001
	s_xor_b64 s[4:5], exec, -1
; %bb.2083:
	s_or_b64 exec, exec, s[8:9]
	s_and_b64 s[4:5], s[4:5], exec
	s_or_saveexec_b64 s[6:7], s[6:7]
	v_mov_b32_e32 v10, s10
	s_xor_b64 exec, exec, s[6:7]
	s_cbranch_execz .LBB47_34
.LBB47_2084:
	v_mov_b32_e32 v10, 0
	v_cmp_ne_u16_sdwa s[8:9], v15, v10 src0_sel:BYTE_0 src1_sel:DWORD
	s_andn2_b64 s[4:5], s[4:5], exec
	s_and_b64 s[8:9], s[8:9], exec
	s_or_b64 s[4:5], s[4:5], s[8:9]
	s_or_b64 exec, exec, s[6:7]
	s_and_saveexec_b64 s[6:7], s[4:5]
	s_cbranch_execnz .LBB47_35
	s_branch .LBB47_36
.LBB47_2085:
	s_movk_i32 s4, 0x80
	v_cmp_eq_u16_sdwa s[12:13], v11, s4 src0_sel:BYTE_0 src1_sel:DWORD
	s_mov_b64 s[4:5], -1
                                        ; implicit-def: $sgpr10
	s_and_saveexec_b64 s[8:9], s[12:13]
; %bb.2086:
	s_mov_b32 s10, 0x7f800001
	s_xor_b64 s[4:5], exec, -1
; %bb.2087:
	s_or_b64 exec, exec, s[8:9]
	s_and_b64 s[4:5], s[4:5], exec
	s_or_saveexec_b64 s[6:7], s[6:7]
	v_mov_b32_e32 v14, s10
	s_xor_b64 exec, exec, s[6:7]
	s_cbranch_execz .LBB47_38
.LBB47_2088:
	v_mov_b32_e32 v14, 0
	v_cmp_ne_u16_sdwa s[8:9], v11, v14 src0_sel:BYTE_0 src1_sel:DWORD
	s_andn2_b64 s[4:5], s[4:5], exec
	s_and_b64 s[8:9], s[8:9], exec
	s_or_b64 s[4:5], s[4:5], s[8:9]
	s_or_b64 exec, exec, s[6:7]
	s_and_saveexec_b64 s[6:7], s[4:5]
	s_cbranch_execnz .LBB47_39
	s_branch .LBB47_40
.LBB47_2089:
	s_movk_i32 s4, 0x80
	v_cmp_eq_u16_sdwa s[12:13], v14, s4 src0_sel:BYTE_0 src1_sel:DWORD
	s_mov_b64 s[4:5], -1
                                        ; implicit-def: $sgpr10
	s_and_saveexec_b64 s[8:9], s[12:13]
; %bb.2090:
	s_mov_b32 s10, 0x7f800001
	s_xor_b64 s[4:5], exec, -1
; %bb.2091:
	s_or_b64 exec, exec, s[8:9]
	s_and_b64 s[4:5], s[4:5], exec
	s_or_saveexec_b64 s[6:7], s[6:7]
	v_mov_b32_e32 v10, s10
	s_xor_b64 exec, exec, s[6:7]
	s_cbranch_execz .LBB47_42
.LBB47_2092:
	v_mov_b32_e32 v10, 0
	v_cmp_ne_u16_sdwa s[8:9], v14, v10 src0_sel:BYTE_0 src1_sel:DWORD
	s_andn2_b64 s[4:5], s[4:5], exec
	s_and_b64 s[8:9], s[8:9], exec
	s_or_b64 s[4:5], s[4:5], s[8:9]
	s_or_b64 exec, exec, s[6:7]
	s_and_saveexec_b64 s[6:7], s[4:5]
	s_cbranch_execnz .LBB47_43
	s_branch .LBB47_44
.LBB47_2093:
	s_movk_i32 s4, 0x80
	v_cmp_eq_u16_sdwa s[12:13], v14, s4 src0_sel:BYTE_0 src1_sel:DWORD
	s_mov_b64 s[4:5], -1
                                        ; implicit-def: $sgpr10
	s_and_saveexec_b64 s[8:9], s[12:13]
; %bb.2094:
	s_mov_b32 s10, 0x7f800001
	s_xor_b64 s[4:5], exec, -1
; %bb.2095:
	s_or_b64 exec, exec, s[8:9]
	s_and_b64 s[4:5], s[4:5], exec
	s_or_saveexec_b64 s[6:7], s[6:7]
	v_mov_b32_e32 v20, s10
	s_xor_b64 exec, exec, s[6:7]
	s_cbranch_execz .LBB47_46
.LBB47_2096:
	v_mov_b32_e32 v20, 0
	v_cmp_ne_u16_sdwa s[8:9], v14, v20 src0_sel:BYTE_0 src1_sel:DWORD
	s_andn2_b64 s[4:5], s[4:5], exec
	s_and_b64 s[8:9], s[8:9], exec
	s_or_b64 s[4:5], s[4:5], s[8:9]
	s_or_b64 exec, exec, s[6:7]
	s_and_saveexec_b64 s[6:7], s[4:5]
	s_cbranch_execnz .LBB47_47
	s_branch .LBB47_48
.LBB47_2097:
	s_movk_i32 s4, 0x80
	v_cmp_eq_u16_e32 vcc, s4, v14
	s_mov_b64 s[4:5], -1
                                        ; implicit-def: $sgpr10
	s_and_saveexec_b64 s[8:9], vcc
; %bb.2098:
	s_mov_b32 s10, 0x7f800001
	s_xor_b64 s[4:5], exec, -1
; %bb.2099:
	s_or_b64 exec, exec, s[8:9]
	s_and_b64 s[4:5], s[4:5], exec
                                        ; implicit-def: $vgpr14
	s_or_saveexec_b64 s[6:7], s[6:7]
	v_mov_b32_e32 v10, s10
	s_xor_b64 exec, exec, s[6:7]
	s_cbranch_execz .LBB47_50
.LBB47_2100:
	v_cmp_ne_u16_e32 vcc, 0, v14
	s_andn2_b64 s[4:5], s[4:5], exec
	s_and_b64 s[8:9], vcc, exec
	v_mov_b32_e32 v10, 0
	s_or_b64 s[4:5], s[4:5], s[8:9]
	s_or_b64 exec, exec, s[6:7]
	s_and_saveexec_b64 s[6:7], s[4:5]
	s_cbranch_execnz .LBB47_51
	s_branch .LBB47_52
.LBB47_2101:
	s_movk_i32 s4, 0x80
	v_cmp_eq_u16_e32 vcc, s4, v14
	s_mov_b64 s[4:5], -1
                                        ; implicit-def: $sgpr10
	s_and_saveexec_b64 s[8:9], vcc
; %bb.2102:
	s_mov_b32 s10, 0x7f800001
	s_xor_b64 s[4:5], exec, -1
; %bb.2103:
	s_or_b64 exec, exec, s[8:9]
	s_and_b64 s[4:5], s[4:5], exec
                                        ; implicit-def: $vgpr14
	s_or_saveexec_b64 s[6:7], s[6:7]
	v_mov_b32_e32 v20, s10
	s_xor_b64 exec, exec, s[6:7]
	s_cbranch_execz .LBB47_54
.LBB47_2104:
	v_cmp_ne_u16_e32 vcc, 0, v14
	s_andn2_b64 s[4:5], s[4:5], exec
	s_and_b64 s[8:9], vcc, exec
	v_mov_b32_e32 v20, 0
	s_or_b64 s[4:5], s[4:5], s[8:9]
	s_or_b64 exec, exec, s[6:7]
	s_and_saveexec_b64 s[6:7], s[4:5]
	s_cbranch_execnz .LBB47_55
	s_branch .LBB47_56
.LBB47_2105:
	s_movk_i32 s4, 0x80
	v_cmp_eq_u16_sdwa s[12:13], v15, s4 src0_sel:BYTE_3 src1_sel:DWORD
	s_mov_b64 s[4:5], -1
                                        ; implicit-def: $sgpr10
	s_and_saveexec_b64 s[8:9], s[12:13]
; %bb.2106:
	s_mov_b32 s10, 0x7f800001
	s_xor_b64 s[4:5], exec, -1
; %bb.2107:
	s_or_b64 exec, exec, s[8:9]
	s_and_b64 s[4:5], s[4:5], exec
	s_or_saveexec_b64 s[6:7], s[6:7]
	v_mov_b32_e32 v10, s10
	s_xor_b64 exec, exec, s[6:7]
	s_cbranch_execz .LBB47_58
.LBB47_2108:
	v_mov_b32_e32 v10, 0
	v_cmp_ne_u16_sdwa s[8:9], v15, v10 src0_sel:BYTE_3 src1_sel:DWORD
	s_andn2_b64 s[4:5], s[4:5], exec
	s_and_b64 s[8:9], s[8:9], exec
	s_or_b64 s[4:5], s[4:5], s[8:9]
	s_or_b64 exec, exec, s[6:7]
	s_and_saveexec_b64 s[6:7], s[4:5]
	s_cbranch_execnz .LBB47_59
	s_branch .LBB47_60
.LBB47_2109:
	s_movk_i32 s4, 0x80
	v_cmp_eq_u16_sdwa s[12:13], v11, s4 src0_sel:BYTE_3 src1_sel:DWORD
	s_mov_b64 s[4:5], -1
                                        ; implicit-def: $sgpr10
	s_and_saveexec_b64 s[8:9], s[12:13]
; %bb.2110:
	s_mov_b32 s10, 0x7f800001
	s_xor_b64 s[4:5], exec, -1
; %bb.2111:
	s_or_b64 exec, exec, s[8:9]
	s_and_b64 s[4:5], s[4:5], exec
	s_or_saveexec_b64 s[6:7], s[6:7]
	v_mov_b32_e32 v14, s10
	s_xor_b64 exec, exec, s[6:7]
	s_cbranch_execz .LBB47_62
.LBB47_2112:
	v_mov_b32_e32 v14, 0
	v_cmp_ne_u16_sdwa s[8:9], v11, v14 src0_sel:BYTE_3 src1_sel:DWORD
	s_andn2_b64 s[4:5], s[4:5], exec
	s_and_b64 s[8:9], s[8:9], exec
	s_or_b64 s[4:5], s[4:5], s[8:9]
	s_or_b64 exec, exec, s[6:7]
	s_and_saveexec_b64 s[6:7], s[4:5]
	s_cbranch_execnz .LBB47_63
	s_branch .LBB47_64
.LBB47_2113:
	s_movk_i32 s4, 0x80
	v_cmp_eq_u16_sdwa s[12:13], v16, s4 src0_sel:BYTE_0 src1_sel:DWORD
	s_mov_b64 s[4:5], -1
                                        ; implicit-def: $sgpr10
	s_and_saveexec_b64 s[8:9], s[12:13]
; %bb.2114:
	s_mov_b32 s10, 0x7f800001
	s_xor_b64 s[4:5], exec, -1
; %bb.2115:
	s_or_b64 exec, exec, s[8:9]
	s_and_b64 s[4:5], s[4:5], exec
	s_or_saveexec_b64 s[6:7], s[6:7]
	v_mov_b32_e32 v10, s10
	s_xor_b64 exec, exec, s[6:7]
	s_cbranch_execz .LBB47_66
.LBB47_2116:
	v_mov_b32_e32 v10, 0
	v_cmp_ne_u16_sdwa s[8:9], v16, v10 src0_sel:BYTE_0 src1_sel:DWORD
	s_andn2_b64 s[4:5], s[4:5], exec
	s_and_b64 s[8:9], s[8:9], exec
	s_or_b64 s[4:5], s[4:5], s[8:9]
	s_or_b64 exec, exec, s[6:7]
	s_and_saveexec_b64 s[6:7], s[4:5]
	s_cbranch_execnz .LBB47_67
	s_branch .LBB47_68
.LBB47_2117:
	s_movk_i32 s4, 0x80
	v_cmp_eq_u16_sdwa s[12:13], v12, s4 src0_sel:BYTE_0 src1_sel:DWORD
	s_mov_b64 s[4:5], -1
                                        ; implicit-def: $sgpr10
	s_and_saveexec_b64 s[8:9], s[12:13]
; %bb.2118:
	s_mov_b32 s10, 0x7f800001
	s_xor_b64 s[4:5], exec, -1
; %bb.2119:
	s_or_b64 exec, exec, s[8:9]
	s_and_b64 s[4:5], s[4:5], exec
	s_or_saveexec_b64 s[6:7], s[6:7]
	v_mov_b32_e32 v11, s10
	s_xor_b64 exec, exec, s[6:7]
	s_cbranch_execz .LBB47_70
.LBB47_2120:
	v_mov_b32_e32 v11, 0
	v_cmp_ne_u16_sdwa s[8:9], v12, v11 src0_sel:BYTE_0 src1_sel:DWORD
	s_andn2_b64 s[4:5], s[4:5], exec
	s_and_b64 s[8:9], s[8:9], exec
	s_or_b64 s[4:5], s[4:5], s[8:9]
	s_or_b64 exec, exec, s[6:7]
	s_and_saveexec_b64 s[6:7], s[4:5]
	s_cbranch_execnz .LBB47_71
	s_branch .LBB47_72
.LBB47_2121:
	s_movk_i32 s4, 0x80
	v_cmp_eq_u16_sdwa s[12:13], v11, s4 src0_sel:BYTE_0 src1_sel:DWORD
	s_mov_b64 s[4:5], -1
                                        ; implicit-def: $sgpr10
	s_and_saveexec_b64 s[8:9], s[12:13]
; %bb.2122:
	s_mov_b32 s10, 0x7f800001
	s_xor_b64 s[4:5], exec, -1
; %bb.2123:
	s_or_b64 exec, exec, s[8:9]
	s_and_b64 s[4:5], s[4:5], exec
	s_or_saveexec_b64 s[6:7], s[6:7]
	v_mov_b32_e32 v10, s10
	s_xor_b64 exec, exec, s[6:7]
	s_cbranch_execz .LBB47_74
.LBB47_2124:
	v_mov_b32_e32 v10, 0
	v_cmp_ne_u16_sdwa s[8:9], v11, v10 src0_sel:BYTE_0 src1_sel:DWORD
	s_andn2_b64 s[4:5], s[4:5], exec
	s_and_b64 s[8:9], s[8:9], exec
	s_or_b64 s[4:5], s[4:5], s[8:9]
	s_or_b64 exec, exec, s[6:7]
	s_and_saveexec_b64 s[6:7], s[4:5]
	s_cbranch_execnz .LBB47_75
	s_branch .LBB47_76
.LBB47_2125:
	s_movk_i32 s4, 0x80
	v_cmp_eq_u16_sdwa s[12:13], v11, s4 src0_sel:BYTE_0 src1_sel:DWORD
	s_mov_b64 s[4:5], -1
                                        ; implicit-def: $sgpr10
	s_and_saveexec_b64 s[8:9], s[12:13]
; %bb.2126:
	s_mov_b32 s10, 0x7f800001
	s_xor_b64 s[4:5], exec, -1
; %bb.2127:
	s_or_b64 exec, exec, s[8:9]
	s_and_b64 s[4:5], s[4:5], exec
	s_or_saveexec_b64 s[6:7], s[6:7]
	v_mov_b32_e32 v14, s10
	s_xor_b64 exec, exec, s[6:7]
	s_cbranch_execz .LBB47_78
.LBB47_2128:
	v_mov_b32_e32 v14, 0
	v_cmp_ne_u16_sdwa s[8:9], v11, v14 src0_sel:BYTE_0 src1_sel:DWORD
	s_andn2_b64 s[4:5], s[4:5], exec
	s_and_b64 s[8:9], s[8:9], exec
	s_or_b64 s[4:5], s[4:5], s[8:9]
	s_or_b64 exec, exec, s[6:7]
	s_and_saveexec_b64 s[6:7], s[4:5]
	s_cbranch_execnz .LBB47_79
	s_branch .LBB47_80
.LBB47_2129:
	s_movk_i32 s4, 0x80
	v_cmp_eq_u16_e32 vcc, s4, v11
	s_mov_b64 s[4:5], -1
                                        ; implicit-def: $sgpr10
	s_and_saveexec_b64 s[8:9], vcc
; %bb.2130:
	s_mov_b32 s10, 0x7f800001
	s_xor_b64 s[4:5], exec, -1
; %bb.2131:
	s_or_b64 exec, exec, s[8:9]
	s_and_b64 s[4:5], s[4:5], exec
                                        ; implicit-def: $vgpr11
	s_or_saveexec_b64 s[6:7], s[6:7]
	v_mov_b32_e32 v10, s10
	s_xor_b64 exec, exec, s[6:7]
	s_cbranch_execz .LBB47_82
.LBB47_2132:
	v_cmp_ne_u16_e32 vcc, 0, v11
	s_andn2_b64 s[4:5], s[4:5], exec
	s_and_b64 s[8:9], vcc, exec
	v_mov_b32_e32 v10, 0
	s_or_b64 s[4:5], s[4:5], s[8:9]
	s_or_b64 exec, exec, s[6:7]
	s_and_saveexec_b64 s[6:7], s[4:5]
	s_cbranch_execnz .LBB47_83
	s_branch .LBB47_84
.LBB47_2133:
	s_movk_i32 s4, 0x80
	v_cmp_eq_u16_e32 vcc, s4, v11
	s_mov_b64 s[4:5], -1
                                        ; implicit-def: $sgpr10
	s_and_saveexec_b64 s[8:9], vcc
; %bb.2134:
	s_mov_b32 s10, 0x7f800001
	s_xor_b64 s[4:5], exec, -1
; %bb.2135:
	s_or_b64 exec, exec, s[8:9]
	s_and_b64 s[4:5], s[4:5], exec
                                        ; implicit-def: $vgpr11
	s_or_saveexec_b64 s[6:7], s[6:7]
	v_mov_b32_e32 v14, s10
	s_xor_b64 exec, exec, s[6:7]
	s_cbranch_execz .LBB47_86
.LBB47_2136:
	v_cmp_ne_u16_e32 vcc, 0, v11
	s_andn2_b64 s[4:5], s[4:5], exec
	s_and_b64 s[8:9], vcc, exec
	v_mov_b32_e32 v14, 0
	s_or_b64 s[4:5], s[4:5], s[8:9]
	s_or_b64 exec, exec, s[6:7]
	s_and_saveexec_b64 s[6:7], s[4:5]
	s_cbranch_execnz .LBB47_87
	s_branch .LBB47_88
.LBB47_2137:
	s_movk_i32 s4, 0x80
	v_cmp_eq_u16_sdwa s[12:13], v16, s4 src0_sel:BYTE_3 src1_sel:DWORD
	s_mov_b64 s[4:5], -1
                                        ; implicit-def: $sgpr10
	s_and_saveexec_b64 s[8:9], s[12:13]
; %bb.2138:
	s_mov_b32 s10, 0x7f800001
	s_xor_b64 s[4:5], exec, -1
; %bb.2139:
	s_or_b64 exec, exec, s[8:9]
	s_and_b64 s[4:5], s[4:5], exec
	s_or_saveexec_b64 s[6:7], s[6:7]
	v_mov_b32_e32 v10, s10
	s_xor_b64 exec, exec, s[6:7]
	s_cbranch_execz .LBB47_90
.LBB47_2140:
	v_mov_b32_e32 v10, 0
	v_cmp_ne_u16_sdwa s[8:9], v16, v10 src0_sel:BYTE_3 src1_sel:DWORD
	s_andn2_b64 s[4:5], s[4:5], exec
	s_and_b64 s[8:9], s[8:9], exec
	s_or_b64 s[4:5], s[4:5], s[8:9]
	s_or_b64 exec, exec, s[6:7]
	s_and_saveexec_b64 s[6:7], s[4:5]
	s_cbranch_execnz .LBB47_91
	s_branch .LBB47_92
.LBB47_2141:
	s_movk_i32 s4, 0x80
	v_cmp_eq_u16_sdwa s[12:13], v12, s4 src0_sel:BYTE_3 src1_sel:DWORD
	s_mov_b64 s[4:5], -1
                                        ; implicit-def: $sgpr10
	s_and_saveexec_b64 s[8:9], s[12:13]
; %bb.2142:
	s_mov_b32 s10, 0x7f800001
	s_xor_b64 s[4:5], exec, -1
; %bb.2143:
	s_or_b64 exec, exec, s[8:9]
	s_and_b64 s[4:5], s[4:5], exec
	s_or_saveexec_b64 s[6:7], s[6:7]
	v_mov_b32_e32 v11, s10
	s_xor_b64 exec, exec, s[6:7]
	s_cbranch_execz .LBB47_94
.LBB47_2144:
	v_mov_b32_e32 v11, 0
	v_cmp_ne_u16_sdwa s[8:9], v12, v11 src0_sel:BYTE_3 src1_sel:DWORD
	s_andn2_b64 s[4:5], s[4:5], exec
	s_and_b64 s[8:9], s[8:9], exec
	s_or_b64 s[4:5], s[4:5], s[8:9]
	s_or_b64 exec, exec, s[6:7]
	s_and_saveexec_b64 s[6:7], s[4:5]
	s_cbranch_execnz .LBB47_95
	s_branch .LBB47_96
.LBB47_2145:
	s_movk_i32 s4, 0x80
	v_cmp_eq_u16_sdwa s[12:13], v17, s4 src0_sel:BYTE_0 src1_sel:DWORD
	s_mov_b64 s[4:5], -1
                                        ; implicit-def: $sgpr10
	s_and_saveexec_b64 s[8:9], s[12:13]
; %bb.2146:
	s_mov_b32 s10, 0x7f800001
	s_xor_b64 s[4:5], exec, -1
; %bb.2147:
	s_or_b64 exec, exec, s[8:9]
	s_and_b64 s[4:5], s[4:5], exec
	s_or_saveexec_b64 s[6:7], s[6:7]
	v_mov_b32_e32 v10, s10
	s_xor_b64 exec, exec, s[6:7]
	s_cbranch_execz .LBB47_98
.LBB47_2148:
	v_mov_b32_e32 v10, 0
	v_cmp_ne_u16_sdwa s[8:9], v17, v10 src0_sel:BYTE_0 src1_sel:DWORD
	s_andn2_b64 s[4:5], s[4:5], exec
	s_and_b64 s[8:9], s[8:9], exec
	s_or_b64 s[4:5], s[4:5], s[8:9]
	s_or_b64 exec, exec, s[6:7]
	s_and_saveexec_b64 s[6:7], s[4:5]
	s_cbranch_execnz .LBB47_99
	s_branch .LBB47_100
.LBB47_2149:
	s_movk_i32 s4, 0x80
	v_cmp_eq_u16_sdwa s[12:13], v13, s4 src0_sel:BYTE_0 src1_sel:DWORD
	s_mov_b64 s[4:5], -1
                                        ; implicit-def: $sgpr10
	s_and_saveexec_b64 s[8:9], s[12:13]
; %bb.2150:
	s_mov_b32 s10, 0x7f800001
	s_xor_b64 s[4:5], exec, -1
; %bb.2151:
	s_or_b64 exec, exec, s[8:9]
	s_and_b64 s[4:5], s[4:5], exec
	s_or_saveexec_b64 s[6:7], s[6:7]
	v_mov_b32_e32 v11, s10
	s_xor_b64 exec, exec, s[6:7]
	s_cbranch_execz .LBB47_102
.LBB47_2152:
	v_mov_b32_e32 v11, 0
	v_cmp_ne_u16_sdwa s[8:9], v13, v11 src0_sel:BYTE_0 src1_sel:DWORD
	s_andn2_b64 s[4:5], s[4:5], exec
	s_and_b64 s[8:9], s[8:9], exec
	s_or_b64 s[4:5], s[4:5], s[8:9]
	s_or_b64 exec, exec, s[6:7]
	s_and_saveexec_b64 s[6:7], s[4:5]
	s_cbranch_execnz .LBB47_103
	s_branch .LBB47_104
.LBB47_2153:
	s_movk_i32 s4, 0x80
	v_cmp_eq_u16_sdwa s[12:13], v11, s4 src0_sel:BYTE_0 src1_sel:DWORD
	s_mov_b64 s[4:5], -1
                                        ; implicit-def: $sgpr10
	s_and_saveexec_b64 s[8:9], s[12:13]
; %bb.2154:
	s_mov_b32 s10, 0x7f800001
	s_xor_b64 s[4:5], exec, -1
; %bb.2155:
	s_or_b64 exec, exec, s[8:9]
	s_and_b64 s[4:5], s[4:5], exec
	s_or_saveexec_b64 s[6:7], s[6:7]
	v_mov_b32_e32 v10, s10
	s_xor_b64 exec, exec, s[6:7]
	s_cbranch_execz .LBB47_106
.LBB47_2156:
	v_mov_b32_e32 v10, 0
	v_cmp_ne_u16_sdwa s[8:9], v11, v10 src0_sel:BYTE_0 src1_sel:DWORD
	s_andn2_b64 s[4:5], s[4:5], exec
	s_and_b64 s[8:9], s[8:9], exec
	s_or_b64 s[4:5], s[4:5], s[8:9]
	s_or_b64 exec, exec, s[6:7]
	s_and_saveexec_b64 s[6:7], s[4:5]
	s_cbranch_execnz .LBB47_107
	s_branch .LBB47_108
.LBB47_2157:
	s_movk_i32 s4, 0x80
	v_cmp_eq_u16_sdwa s[12:13], v11, s4 src0_sel:BYTE_0 src1_sel:DWORD
	s_mov_b64 s[4:5], -1
                                        ; implicit-def: $sgpr10
	s_and_saveexec_b64 s[8:9], s[12:13]
; %bb.2158:
	s_mov_b32 s10, 0x7f800001
	s_xor_b64 s[4:5], exec, -1
; %bb.2159:
	s_or_b64 exec, exec, s[8:9]
	s_and_b64 s[4:5], s[4:5], exec
	s_or_saveexec_b64 s[6:7], s[6:7]
	v_mov_b32_e32 v12, s10
	s_xor_b64 exec, exec, s[6:7]
	s_cbranch_execz .LBB47_110
.LBB47_2160:
	v_mov_b32_e32 v12, 0
	v_cmp_ne_u16_sdwa s[8:9], v11, v12 src0_sel:BYTE_0 src1_sel:DWORD
	s_andn2_b64 s[4:5], s[4:5], exec
	s_and_b64 s[8:9], s[8:9], exec
	s_or_b64 s[4:5], s[4:5], s[8:9]
	s_or_b64 exec, exec, s[6:7]
	s_and_saveexec_b64 s[6:7], s[4:5]
	s_cbranch_execnz .LBB47_111
	s_branch .LBB47_112
.LBB47_2161:
	s_movk_i32 s4, 0x80
	v_cmp_eq_u16_e32 vcc, s4, v11
	s_mov_b64 s[4:5], -1
                                        ; implicit-def: $sgpr10
	s_and_saveexec_b64 s[8:9], vcc
; %bb.2162:
	s_mov_b32 s10, 0x7f800001
	s_xor_b64 s[4:5], exec, -1
; %bb.2163:
	s_or_b64 exec, exec, s[8:9]
	s_and_b64 s[4:5], s[4:5], exec
                                        ; implicit-def: $vgpr11
	s_or_saveexec_b64 s[6:7], s[6:7]
	v_mov_b32_e32 v10, s10
	s_xor_b64 exec, exec, s[6:7]
	s_cbranch_execz .LBB47_114
.LBB47_2164:
	v_cmp_ne_u16_e32 vcc, 0, v11
	s_andn2_b64 s[4:5], s[4:5], exec
	s_and_b64 s[8:9], vcc, exec
	v_mov_b32_e32 v10, 0
	s_or_b64 s[4:5], s[4:5], s[8:9]
	s_or_b64 exec, exec, s[6:7]
	s_and_saveexec_b64 s[6:7], s[4:5]
	s_cbranch_execnz .LBB47_115
	s_branch .LBB47_116
.LBB47_2165:
	s_movk_i32 s4, 0x80
	v_cmp_eq_u16_e32 vcc, s4, v11
	s_mov_b64 s[4:5], -1
                                        ; implicit-def: $sgpr10
	s_and_saveexec_b64 s[8:9], vcc
; %bb.2166:
	s_mov_b32 s10, 0x7f800001
	s_xor_b64 s[4:5], exec, -1
; %bb.2167:
	s_or_b64 exec, exec, s[8:9]
	s_and_b64 s[4:5], s[4:5], exec
                                        ; implicit-def: $vgpr11
	s_or_saveexec_b64 s[6:7], s[6:7]
	v_mov_b32_e32 v12, s10
	s_xor_b64 exec, exec, s[6:7]
	s_cbranch_execz .LBB47_118
.LBB47_2168:
	v_cmp_ne_u16_e32 vcc, 0, v11
	s_andn2_b64 s[4:5], s[4:5], exec
	s_and_b64 s[8:9], vcc, exec
	v_mov_b32_e32 v12, 0
	s_or_b64 s[4:5], s[4:5], s[8:9]
	s_or_b64 exec, exec, s[6:7]
	s_and_saveexec_b64 s[6:7], s[4:5]
	s_cbranch_execnz .LBB47_119
	s_branch .LBB47_120
.LBB47_2169:
	s_movk_i32 s4, 0x80
	v_cmp_eq_u16_sdwa s[12:13], v17, s4 src0_sel:BYTE_3 src1_sel:DWORD
	s_mov_b64 s[4:5], -1
                                        ; implicit-def: $sgpr10
	s_and_saveexec_b64 s[8:9], s[12:13]
; %bb.2170:
	s_mov_b32 s10, 0x7f800001
	s_xor_b64 s[4:5], exec, -1
; %bb.2171:
	s_or_b64 exec, exec, s[8:9]
	s_and_b64 s[4:5], s[4:5], exec
	s_or_saveexec_b64 s[6:7], s[6:7]
	v_mov_b32_e32 v10, s10
	s_xor_b64 exec, exec, s[6:7]
	s_cbranch_execz .LBB47_122
.LBB47_2172:
	v_mov_b32_e32 v10, 0
	v_cmp_ne_u16_sdwa s[8:9], v17, v10 src0_sel:BYTE_3 src1_sel:DWORD
	s_andn2_b64 s[4:5], s[4:5], exec
	s_and_b64 s[8:9], s[8:9], exec
	s_or_b64 s[4:5], s[4:5], s[8:9]
	s_or_b64 exec, exec, s[6:7]
	s_and_saveexec_b64 s[6:7], s[4:5]
	s_cbranch_execnz .LBB47_123
	s_branch .LBB47_124
.LBB47_2173:
	s_movk_i32 s4, 0x80
	v_cmp_eq_u16_sdwa s[12:13], v13, s4 src0_sel:BYTE_3 src1_sel:DWORD
	s_mov_b64 s[4:5], -1
                                        ; implicit-def: $sgpr10
	s_and_saveexec_b64 s[8:9], s[12:13]
; %bb.2174:
	s_mov_b32 s10, 0x7f800001
	s_xor_b64 s[4:5], exec, -1
; %bb.2175:
	s_or_b64 exec, exec, s[8:9]
	s_and_b64 s[4:5], s[4:5], exec
	s_or_saveexec_b64 s[6:7], s[6:7]
	v_mov_b32_e32 v11, s10
	s_xor_b64 exec, exec, s[6:7]
	s_cbranch_execz .LBB47_126
.LBB47_2176:
	v_mov_b32_e32 v11, 0
	v_cmp_ne_u16_sdwa s[8:9], v13, v11 src0_sel:BYTE_3 src1_sel:DWORD
	s_andn2_b64 s[4:5], s[4:5], exec
	s_and_b64 s[8:9], s[8:9], exec
	s_or_b64 s[4:5], s[4:5], s[8:9]
	s_or_b64 exec, exec, s[6:7]
	s_and_saveexec_b64 s[6:7], s[4:5]
	s_cbranch_execnz .LBB47_127
	s_branch .LBB47_128
.LBB47_2177:
	s_movk_i32 s4, 0x80
	v_cmp_eq_u16_sdwa s[12:13], v6, s4 src0_sel:BYTE_0 src1_sel:DWORD
	s_mov_b64 s[4:5], -1
                                        ; implicit-def: $sgpr10
	s_and_saveexec_b64 s[8:9], s[12:13]
; %bb.2178:
	s_mov_b32 s10, 0x7f800001
	s_xor_b64 s[4:5], exec, -1
; %bb.2179:
	s_or_b64 exec, exec, s[8:9]
	s_and_b64 s[4:5], s[4:5], exec
	s_or_saveexec_b64 s[6:7], s[6:7]
	v_mov_b32_e32 v10, s10
	s_xor_b64 exec, exec, s[6:7]
	s_cbranch_execz .LBB47_130
.LBB47_2180:
	v_mov_b32_e32 v10, 0
	v_cmp_ne_u16_sdwa s[8:9], v6, v10 src0_sel:BYTE_0 src1_sel:DWORD
	s_andn2_b64 s[4:5], s[4:5], exec
	s_and_b64 s[8:9], s[8:9], exec
	s_or_b64 s[4:5], s[4:5], s[8:9]
	s_or_b64 exec, exec, s[6:7]
	s_and_saveexec_b64 s[6:7], s[4:5]
	s_cbranch_execnz .LBB47_131
	s_branch .LBB47_132
.LBB47_2181:
	s_movk_i32 s4, 0x80
	v_cmp_eq_u16_sdwa s[12:13], v2, s4 src0_sel:BYTE_0 src1_sel:DWORD
	s_mov_b64 s[4:5], -1
                                        ; implicit-def: $sgpr10
	s_and_saveexec_b64 s[8:9], s[12:13]
; %bb.2182:
	s_mov_b32 s10, 0x7f800001
	s_xor_b64 s[4:5], exec, -1
; %bb.2183:
	s_or_b64 exec, exec, s[8:9]
	s_and_b64 s[4:5], s[4:5], exec
	s_or_saveexec_b64 s[6:7], s[6:7]
	v_mov_b32_e32 v11, s10
	s_xor_b64 exec, exec, s[6:7]
	s_cbranch_execz .LBB47_134
.LBB47_2184:
	v_mov_b32_e32 v11, 0
	v_cmp_ne_u16_sdwa s[8:9], v2, v11 src0_sel:BYTE_0 src1_sel:DWORD
	s_andn2_b64 s[4:5], s[4:5], exec
	s_and_b64 s[8:9], s[8:9], exec
	s_or_b64 s[4:5], s[4:5], s[8:9]
	s_or_b64 exec, exec, s[6:7]
	s_and_saveexec_b64 s[6:7], s[4:5]
	s_cbranch_execnz .LBB47_135
	s_branch .LBB47_136
.LBB47_2185:
	s_movk_i32 s4, 0x80
	v_cmp_eq_u16_sdwa s[12:13], v11, s4 src0_sel:BYTE_0 src1_sel:DWORD
	s_mov_b64 s[4:5], -1
                                        ; implicit-def: $sgpr10
	s_and_saveexec_b64 s[8:9], s[12:13]
; %bb.2186:
	s_mov_b32 s10, 0x7f800001
	s_xor_b64 s[4:5], exec, -1
; %bb.2187:
	s_or_b64 exec, exec, s[8:9]
	s_and_b64 s[4:5], s[4:5], exec
	s_or_saveexec_b64 s[6:7], s[6:7]
	v_mov_b32_e32 v10, s10
	s_xor_b64 exec, exec, s[6:7]
	s_cbranch_execz .LBB47_138
.LBB47_2188:
	v_mov_b32_e32 v10, 0
	v_cmp_ne_u16_sdwa s[8:9], v11, v10 src0_sel:BYTE_0 src1_sel:DWORD
	s_andn2_b64 s[4:5], s[4:5], exec
	s_and_b64 s[8:9], s[8:9], exec
	s_or_b64 s[4:5], s[4:5], s[8:9]
	s_or_b64 exec, exec, s[6:7]
	s_and_saveexec_b64 s[6:7], s[4:5]
	s_cbranch_execnz .LBB47_139
	s_branch .LBB47_140
.LBB47_2189:
	s_movk_i32 s4, 0x80
	v_cmp_eq_u16_sdwa s[12:13], v11, s4 src0_sel:BYTE_0 src1_sel:DWORD
	s_mov_b64 s[4:5], -1
                                        ; implicit-def: $sgpr10
	s_and_saveexec_b64 s[8:9], s[12:13]
; %bb.2190:
	s_mov_b32 s10, 0x7f800001
	s_xor_b64 s[4:5], exec, -1
; %bb.2191:
	s_or_b64 exec, exec, s[8:9]
	s_and_b64 s[4:5], s[4:5], exec
	s_or_saveexec_b64 s[6:7], s[6:7]
	v_mov_b32_e32 v12, s10
	s_xor_b64 exec, exec, s[6:7]
	s_cbranch_execz .LBB47_142
.LBB47_2192:
	v_mov_b32_e32 v12, 0
	v_cmp_ne_u16_sdwa s[8:9], v11, v12 src0_sel:BYTE_0 src1_sel:DWORD
	s_andn2_b64 s[4:5], s[4:5], exec
	s_and_b64 s[8:9], s[8:9], exec
	s_or_b64 s[4:5], s[4:5], s[8:9]
	s_or_b64 exec, exec, s[6:7]
	s_and_saveexec_b64 s[6:7], s[4:5]
	s_cbranch_execnz .LBB47_143
	s_branch .LBB47_144
.LBB47_2193:
	s_movk_i32 s4, 0x80
	v_cmp_eq_u16_e32 vcc, s4, v11
	s_mov_b64 s[4:5], -1
                                        ; implicit-def: $sgpr10
	s_and_saveexec_b64 s[8:9], vcc
; %bb.2194:
	s_mov_b32 s10, 0x7f800001
	s_xor_b64 s[4:5], exec, -1
; %bb.2195:
	s_or_b64 exec, exec, s[8:9]
	s_and_b64 s[4:5], s[4:5], exec
                                        ; implicit-def: $vgpr11
	s_or_saveexec_b64 s[6:7], s[6:7]
	v_mov_b32_e32 v10, s10
	s_xor_b64 exec, exec, s[6:7]
	s_cbranch_execz .LBB47_146
.LBB47_2196:
	v_cmp_ne_u16_e32 vcc, 0, v11
	s_andn2_b64 s[4:5], s[4:5], exec
	s_and_b64 s[8:9], vcc, exec
	v_mov_b32_e32 v10, 0
	s_or_b64 s[4:5], s[4:5], s[8:9]
	s_or_b64 exec, exec, s[6:7]
	s_and_saveexec_b64 s[6:7], s[4:5]
	s_cbranch_execnz .LBB47_147
	s_branch .LBB47_148
.LBB47_2197:
	s_movk_i32 s4, 0x80
	v_cmp_eq_u16_e32 vcc, s4, v11
	s_mov_b64 s[4:5], -1
                                        ; implicit-def: $sgpr10
	s_and_saveexec_b64 s[8:9], vcc
; %bb.2198:
	s_mov_b32 s10, 0x7f800001
	s_xor_b64 s[4:5], exec, -1
; %bb.2199:
	s_or_b64 exec, exec, s[8:9]
	s_and_b64 s[4:5], s[4:5], exec
                                        ; implicit-def: $vgpr11
	s_or_saveexec_b64 s[6:7], s[6:7]
	v_mov_b32_e32 v12, s10
	s_xor_b64 exec, exec, s[6:7]
	s_cbranch_execz .LBB47_150
.LBB47_2200:
	v_cmp_ne_u16_e32 vcc, 0, v11
	s_andn2_b64 s[4:5], s[4:5], exec
	s_and_b64 s[8:9], vcc, exec
	v_mov_b32_e32 v12, 0
	s_or_b64 s[4:5], s[4:5], s[8:9]
	s_or_b64 exec, exec, s[6:7]
	s_and_saveexec_b64 s[6:7], s[4:5]
	s_cbranch_execnz .LBB47_151
	s_branch .LBB47_152
.LBB47_2201:
	s_movk_i32 s4, 0x80
	v_cmp_eq_u16_sdwa s[12:13], v6, s4 src0_sel:BYTE_3 src1_sel:DWORD
	s_mov_b64 s[4:5], -1
                                        ; implicit-def: $sgpr10
	s_and_saveexec_b64 s[8:9], s[12:13]
; %bb.2202:
	s_mov_b32 s10, 0x7f800001
	s_xor_b64 s[4:5], exec, -1
; %bb.2203:
	s_or_b64 exec, exec, s[8:9]
	s_and_b64 s[4:5], s[4:5], exec
	s_or_saveexec_b64 s[6:7], s[6:7]
	v_mov_b32_e32 v10, s10
	s_xor_b64 exec, exec, s[6:7]
	s_cbranch_execz .LBB47_154
.LBB47_2204:
	v_mov_b32_e32 v10, 0
	v_cmp_ne_u16_sdwa s[8:9], v6, v10 src0_sel:BYTE_3 src1_sel:DWORD
	s_andn2_b64 s[4:5], s[4:5], exec
	s_and_b64 s[8:9], s[8:9], exec
	s_or_b64 s[4:5], s[4:5], s[8:9]
	s_or_b64 exec, exec, s[6:7]
	s_and_saveexec_b64 s[6:7], s[4:5]
	s_cbranch_execnz .LBB47_155
	s_branch .LBB47_156
.LBB47_2205:
	s_movk_i32 s4, 0x80
	v_cmp_eq_u16_sdwa s[12:13], v2, s4 src0_sel:BYTE_3 src1_sel:DWORD
	s_mov_b64 s[4:5], -1
                                        ; implicit-def: $sgpr10
	s_and_saveexec_b64 s[8:9], s[12:13]
; %bb.2206:
	s_mov_b32 s10, 0x7f800001
	s_xor_b64 s[4:5], exec, -1
; %bb.2207:
	s_or_b64 exec, exec, s[8:9]
	s_and_b64 s[4:5], s[4:5], exec
	s_or_saveexec_b64 s[6:7], s[6:7]
	v_mov_b32_e32 v6, s10
	s_xor_b64 exec, exec, s[6:7]
	s_cbranch_execz .LBB47_158
.LBB47_2208:
	v_mov_b32_e32 v6, 0
	v_cmp_ne_u16_sdwa s[8:9], v2, v6 src0_sel:BYTE_3 src1_sel:DWORD
	s_andn2_b64 s[4:5], s[4:5], exec
	s_and_b64 s[8:9], s[8:9], exec
	s_or_b64 s[4:5], s[4:5], s[8:9]
	s_or_b64 exec, exec, s[6:7]
	s_and_saveexec_b64 s[6:7], s[4:5]
	s_cbranch_execnz .LBB47_159
	s_branch .LBB47_160
.LBB47_2209:
	s_movk_i32 s4, 0x80
	v_cmp_eq_u16_sdwa s[12:13], v7, s4 src0_sel:BYTE_0 src1_sel:DWORD
	s_mov_b64 s[4:5], -1
                                        ; implicit-def: $sgpr10
	s_and_saveexec_b64 s[8:9], s[12:13]
; %bb.2210:
	s_mov_b32 s10, 0x7f800001
	s_xor_b64 s[4:5], exec, -1
; %bb.2211:
	s_or_b64 exec, exec, s[8:9]
	s_and_b64 s[4:5], s[4:5], exec
	s_or_saveexec_b64 s[6:7], s[6:7]
	v_mov_b32_e32 v2, s10
	s_xor_b64 exec, exec, s[6:7]
	s_cbranch_execz .LBB47_162
.LBB47_2212:
	v_mov_b32_e32 v2, 0
	v_cmp_ne_u16_sdwa s[8:9], v7, v2 src0_sel:BYTE_0 src1_sel:DWORD
	s_andn2_b64 s[4:5], s[4:5], exec
	s_and_b64 s[8:9], s[8:9], exec
	s_or_b64 s[4:5], s[4:5], s[8:9]
	s_or_b64 exec, exec, s[6:7]
	s_and_saveexec_b64 s[6:7], s[4:5]
	s_cbranch_execnz .LBB47_163
	s_branch .LBB47_164
.LBB47_2213:
	s_movk_i32 s4, 0x80
	v_cmp_eq_u16_sdwa s[12:13], v3, s4 src0_sel:BYTE_0 src1_sel:DWORD
	s_mov_b64 s[4:5], -1
                                        ; implicit-def: $sgpr10
	s_and_saveexec_b64 s[8:9], s[12:13]
; %bb.2214:
	s_mov_b32 s10, 0x7f800001
	s_xor_b64 s[4:5], exec, -1
; %bb.2215:
	s_or_b64 exec, exec, s[8:9]
	s_and_b64 s[4:5], s[4:5], exec
	s_or_saveexec_b64 s[6:7], s[6:7]
	v_mov_b32_e32 v6, s10
	s_xor_b64 exec, exec, s[6:7]
	s_cbranch_execz .LBB47_166
.LBB47_2216:
	v_mov_b32_e32 v6, 0
	v_cmp_ne_u16_sdwa s[8:9], v3, v6 src0_sel:BYTE_0 src1_sel:DWORD
	s_andn2_b64 s[4:5], s[4:5], exec
	s_and_b64 s[8:9], s[8:9], exec
	s_or_b64 s[4:5], s[4:5], s[8:9]
	s_or_b64 exec, exec, s[6:7]
	s_and_saveexec_b64 s[6:7], s[4:5]
	s_cbranch_execnz .LBB47_167
	s_branch .LBB47_168
.LBB47_2217:
	s_movk_i32 s4, 0x80
	v_cmp_eq_u16_sdwa s[12:13], v6, s4 src0_sel:BYTE_0 src1_sel:DWORD
	s_mov_b64 s[4:5], -1
                                        ; implicit-def: $sgpr10
	s_and_saveexec_b64 s[8:9], s[12:13]
; %bb.2218:
	s_mov_b32 s10, 0x7f800001
	s_xor_b64 s[4:5], exec, -1
; %bb.2219:
	s_or_b64 exec, exec, s[8:9]
	s_and_b64 s[4:5], s[4:5], exec
	s_or_saveexec_b64 s[6:7], s[6:7]
	v_mov_b32_e32 v2, s10
	s_xor_b64 exec, exec, s[6:7]
	s_cbranch_execz .LBB47_170
.LBB47_2220:
	v_mov_b32_e32 v2, 0
	v_cmp_ne_u16_sdwa s[8:9], v6, v2 src0_sel:BYTE_0 src1_sel:DWORD
	s_andn2_b64 s[4:5], s[4:5], exec
	s_and_b64 s[8:9], s[8:9], exec
	s_or_b64 s[4:5], s[4:5], s[8:9]
	s_or_b64 exec, exec, s[6:7]
	s_and_saveexec_b64 s[6:7], s[4:5]
	s_cbranch_execnz .LBB47_171
	s_branch .LBB47_172
.LBB47_2221:
	s_movk_i32 s4, 0x80
	v_cmp_eq_u16_sdwa s[12:13], v6, s4 src0_sel:BYTE_0 src1_sel:DWORD
	s_mov_b64 s[4:5], -1
                                        ; implicit-def: $sgpr10
	s_and_saveexec_b64 s[8:9], s[12:13]
; %bb.2222:
	s_mov_b32 s10, 0x7f800001
	s_xor_b64 s[4:5], exec, -1
; %bb.2223:
	s_or_b64 exec, exec, s[8:9]
	s_and_b64 s[4:5], s[4:5], exec
	s_or_saveexec_b64 s[6:7], s[6:7]
	v_mov_b32_e32 v10, s10
	s_xor_b64 exec, exec, s[6:7]
	s_cbranch_execz .LBB47_174
.LBB47_2224:
	v_mov_b32_e32 v10, 0
	v_cmp_ne_u16_sdwa s[8:9], v6, v10 src0_sel:BYTE_0 src1_sel:DWORD
	s_andn2_b64 s[4:5], s[4:5], exec
	s_and_b64 s[8:9], s[8:9], exec
	s_or_b64 s[4:5], s[4:5], s[8:9]
	s_or_b64 exec, exec, s[6:7]
	s_and_saveexec_b64 s[6:7], s[4:5]
	s_cbranch_execnz .LBB47_175
	s_branch .LBB47_176
.LBB47_2225:
	s_movk_i32 s4, 0x80
	v_cmp_eq_u16_e32 vcc, s4, v6
	s_mov_b64 s[4:5], -1
                                        ; implicit-def: $sgpr10
	s_and_saveexec_b64 s[8:9], vcc
; %bb.2226:
	s_mov_b32 s10, 0x7f800001
	s_xor_b64 s[4:5], exec, -1
; %bb.2227:
	s_or_b64 exec, exec, s[8:9]
	s_and_b64 s[4:5], s[4:5], exec
                                        ; implicit-def: $vgpr6
	s_or_saveexec_b64 s[6:7], s[6:7]
	v_mov_b32_e32 v2, s10
	s_xor_b64 exec, exec, s[6:7]
	s_cbranch_execz .LBB47_178
.LBB47_2228:
	v_cmp_ne_u16_e32 vcc, 0, v6
	s_andn2_b64 s[4:5], s[4:5], exec
	s_and_b64 s[8:9], vcc, exec
	v_mov_b32_e32 v2, 0
	s_or_b64 s[4:5], s[4:5], s[8:9]
	s_or_b64 exec, exec, s[6:7]
	s_and_saveexec_b64 s[6:7], s[4:5]
	s_cbranch_execnz .LBB47_179
	s_branch .LBB47_180
.LBB47_2229:
	s_movk_i32 s4, 0x80
	v_cmp_eq_u16_e32 vcc, s4, v6
	s_mov_b64 s[4:5], -1
                                        ; implicit-def: $sgpr10
	s_and_saveexec_b64 s[8:9], vcc
; %bb.2230:
	s_mov_b32 s10, 0x7f800001
	s_xor_b64 s[4:5], exec, -1
; %bb.2231:
	s_or_b64 exec, exec, s[8:9]
	s_and_b64 s[4:5], s[4:5], exec
                                        ; implicit-def: $vgpr6
	s_or_saveexec_b64 s[6:7], s[6:7]
	v_mov_b32_e32 v10, s10
	s_xor_b64 exec, exec, s[6:7]
	s_cbranch_execz .LBB47_182
.LBB47_2232:
	v_cmp_ne_u16_e32 vcc, 0, v6
	s_andn2_b64 s[4:5], s[4:5], exec
	s_and_b64 s[8:9], vcc, exec
	v_mov_b32_e32 v10, 0
	s_or_b64 s[4:5], s[4:5], s[8:9]
	s_or_b64 exec, exec, s[6:7]
	s_and_saveexec_b64 s[6:7], s[4:5]
	s_cbranch_execnz .LBB47_183
	s_branch .LBB47_184
.LBB47_2233:
	s_movk_i32 s4, 0x80
	v_cmp_eq_u16_sdwa s[12:13], v7, s4 src0_sel:BYTE_3 src1_sel:DWORD
	s_mov_b64 s[4:5], -1
                                        ; implicit-def: $sgpr10
	s_and_saveexec_b64 s[8:9], s[12:13]
; %bb.2234:
	s_mov_b32 s10, 0x7f800001
	s_xor_b64 s[4:5], exec, -1
; %bb.2235:
	s_or_b64 exec, exec, s[8:9]
	s_and_b64 s[4:5], s[4:5], exec
	s_or_saveexec_b64 s[6:7], s[6:7]
	v_mov_b32_e32 v2, s10
	s_xor_b64 exec, exec, s[6:7]
	s_cbranch_execz .LBB47_186
.LBB47_2236:
	v_mov_b32_e32 v2, 0
	v_cmp_ne_u16_sdwa s[8:9], v7, v2 src0_sel:BYTE_3 src1_sel:DWORD
	s_andn2_b64 s[4:5], s[4:5], exec
	s_and_b64 s[8:9], s[8:9], exec
	s_or_b64 s[4:5], s[4:5], s[8:9]
	s_or_b64 exec, exec, s[6:7]
	s_and_saveexec_b64 s[6:7], s[4:5]
	s_cbranch_execnz .LBB47_187
	s_branch .LBB47_188
.LBB47_2237:
	s_movk_i32 s4, 0x80
	v_cmp_eq_u16_sdwa s[12:13], v3, s4 src0_sel:BYTE_3 src1_sel:DWORD
	s_mov_b64 s[4:5], -1
                                        ; implicit-def: $sgpr10
	s_and_saveexec_b64 s[8:9], s[12:13]
; %bb.2238:
	s_mov_b32 s10, 0x7f800001
	s_xor_b64 s[4:5], exec, -1
; %bb.2239:
	s_or_b64 exec, exec, s[8:9]
	s_and_b64 s[4:5], s[4:5], exec
	s_or_saveexec_b64 s[6:7], s[6:7]
	v_mov_b32_e32 v6, s10
	s_xor_b64 exec, exec, s[6:7]
	s_cbranch_execz .LBB47_190
.LBB47_2240:
	v_mov_b32_e32 v6, 0
	v_cmp_ne_u16_sdwa s[8:9], v3, v6 src0_sel:BYTE_3 src1_sel:DWORD
	s_andn2_b64 s[4:5], s[4:5], exec
	s_and_b64 s[8:9], s[8:9], exec
	s_or_b64 s[4:5], s[4:5], s[8:9]
	s_or_b64 exec, exec, s[6:7]
	s_and_saveexec_b64 s[6:7], s[4:5]
	s_cbranch_execnz .LBB47_191
	s_branch .LBB47_192
.LBB47_2241:
	s_movk_i32 s4, 0x80
	v_cmp_eq_u16_sdwa s[12:13], v8, s4 src0_sel:BYTE_0 src1_sel:DWORD
	s_mov_b64 s[4:5], -1
                                        ; implicit-def: $sgpr10
	s_and_saveexec_b64 s[8:9], s[12:13]
; %bb.2242:
	s_mov_b32 s10, 0x7f800001
	s_xor_b64 s[4:5], exec, -1
; %bb.2243:
	s_or_b64 exec, exec, s[8:9]
	s_and_b64 s[4:5], s[4:5], exec
	s_or_saveexec_b64 s[6:7], s[6:7]
	v_mov_b32_e32 v2, s10
	s_xor_b64 exec, exec, s[6:7]
	s_cbranch_execz .LBB47_194
.LBB47_2244:
	v_mov_b32_e32 v2, 0
	v_cmp_ne_u16_sdwa s[8:9], v8, v2 src0_sel:BYTE_0 src1_sel:DWORD
	s_andn2_b64 s[4:5], s[4:5], exec
	s_and_b64 s[8:9], s[8:9], exec
	s_or_b64 s[4:5], s[4:5], s[8:9]
	s_or_b64 exec, exec, s[6:7]
	s_and_saveexec_b64 s[6:7], s[4:5]
	s_cbranch_execnz .LBB47_195
	s_branch .LBB47_196
.LBB47_2245:
	s_movk_i32 s4, 0x80
	v_cmp_eq_u16_sdwa s[12:13], v4, s4 src0_sel:BYTE_0 src1_sel:DWORD
	s_mov_b64 s[4:5], -1
                                        ; implicit-def: $sgpr10
	s_and_saveexec_b64 s[8:9], s[12:13]
; %bb.2246:
	s_mov_b32 s10, 0x7f800001
	s_xor_b64 s[4:5], exec, -1
; %bb.2247:
	s_or_b64 exec, exec, s[8:9]
	s_and_b64 s[4:5], s[4:5], exec
	s_or_saveexec_b64 s[6:7], s[6:7]
	v_mov_b32_e32 v3, s10
	s_xor_b64 exec, exec, s[6:7]
	s_cbranch_execz .LBB47_198
.LBB47_2248:
	v_mov_b32_e32 v3, 0
	v_cmp_ne_u16_sdwa s[8:9], v4, v3 src0_sel:BYTE_0 src1_sel:DWORD
	s_andn2_b64 s[4:5], s[4:5], exec
	s_and_b64 s[8:9], s[8:9], exec
	s_or_b64 s[4:5], s[4:5], s[8:9]
	s_or_b64 exec, exec, s[6:7]
	s_and_saveexec_b64 s[6:7], s[4:5]
	s_cbranch_execnz .LBB47_199
	s_branch .LBB47_200
.LBB47_2249:
	s_movk_i32 s4, 0x80
	v_cmp_eq_u16_sdwa s[12:13], v3, s4 src0_sel:BYTE_0 src1_sel:DWORD
	s_mov_b64 s[4:5], -1
                                        ; implicit-def: $sgpr10
	s_and_saveexec_b64 s[8:9], s[12:13]
; %bb.2250:
	s_mov_b32 s10, 0x7f800001
	s_xor_b64 s[4:5], exec, -1
; %bb.2251:
	s_or_b64 exec, exec, s[8:9]
	s_and_b64 s[4:5], s[4:5], exec
	s_or_saveexec_b64 s[6:7], s[6:7]
	v_mov_b32_e32 v2, s10
	s_xor_b64 exec, exec, s[6:7]
	s_cbranch_execz .LBB47_202
.LBB47_2252:
	v_mov_b32_e32 v2, 0
	v_cmp_ne_u16_sdwa s[8:9], v3, v2 src0_sel:BYTE_0 src1_sel:DWORD
	s_andn2_b64 s[4:5], s[4:5], exec
	s_and_b64 s[8:9], s[8:9], exec
	s_or_b64 s[4:5], s[4:5], s[8:9]
	s_or_b64 exec, exec, s[6:7]
	s_and_saveexec_b64 s[6:7], s[4:5]
	s_cbranch_execnz .LBB47_203
	s_branch .LBB47_204
.LBB47_2253:
	s_movk_i32 s4, 0x80
	v_cmp_eq_u16_sdwa s[12:13], v3, s4 src0_sel:BYTE_0 src1_sel:DWORD
	s_mov_b64 s[4:5], -1
                                        ; implicit-def: $sgpr10
	s_and_saveexec_b64 s[8:9], s[12:13]
; %bb.2254:
	s_mov_b32 s10, 0x7f800001
	s_xor_b64 s[4:5], exec, -1
; %bb.2255:
	s_or_b64 exec, exec, s[8:9]
	s_and_b64 s[4:5], s[4:5], exec
	s_or_saveexec_b64 s[6:7], s[6:7]
	v_mov_b32_e32 v6, s10
	s_xor_b64 exec, exec, s[6:7]
	s_cbranch_execz .LBB47_206
.LBB47_2256:
	v_mov_b32_e32 v6, 0
	v_cmp_ne_u16_sdwa s[8:9], v3, v6 src0_sel:BYTE_0 src1_sel:DWORD
	s_andn2_b64 s[4:5], s[4:5], exec
	s_and_b64 s[8:9], s[8:9], exec
	s_or_b64 s[4:5], s[4:5], s[8:9]
	s_or_b64 exec, exec, s[6:7]
	s_and_saveexec_b64 s[6:7], s[4:5]
	s_cbranch_execnz .LBB47_207
	s_branch .LBB47_208
.LBB47_2257:
	s_movk_i32 s4, 0x80
	v_cmp_eq_u16_e32 vcc, s4, v3
	s_mov_b64 s[4:5], -1
                                        ; implicit-def: $sgpr10
	s_and_saveexec_b64 s[8:9], vcc
; %bb.2258:
	s_mov_b32 s10, 0x7f800001
	s_xor_b64 s[4:5], exec, -1
; %bb.2259:
	s_or_b64 exec, exec, s[8:9]
	s_and_b64 s[4:5], s[4:5], exec
                                        ; implicit-def: $vgpr3
	s_or_saveexec_b64 s[6:7], s[6:7]
	v_mov_b32_e32 v2, s10
	s_xor_b64 exec, exec, s[6:7]
	s_cbranch_execz .LBB47_210
.LBB47_2260:
	v_cmp_ne_u16_e32 vcc, 0, v3
	s_andn2_b64 s[4:5], s[4:5], exec
	s_and_b64 s[8:9], vcc, exec
	v_mov_b32_e32 v2, 0
	s_or_b64 s[4:5], s[4:5], s[8:9]
	s_or_b64 exec, exec, s[6:7]
	s_and_saveexec_b64 s[6:7], s[4:5]
	s_cbranch_execnz .LBB47_211
	s_branch .LBB47_212
.LBB47_2261:
	s_movk_i32 s4, 0x80
	v_cmp_eq_u16_e32 vcc, s4, v3
	s_mov_b64 s[4:5], -1
                                        ; implicit-def: $sgpr10
	s_and_saveexec_b64 s[8:9], vcc
; %bb.2262:
	s_mov_b32 s10, 0x7f800001
	s_xor_b64 s[4:5], exec, -1
; %bb.2263:
	s_or_b64 exec, exec, s[8:9]
	s_and_b64 s[4:5], s[4:5], exec
                                        ; implicit-def: $vgpr3
	s_or_saveexec_b64 s[6:7], s[6:7]
	v_mov_b32_e32 v6, s10
	s_xor_b64 exec, exec, s[6:7]
	s_cbranch_execz .LBB47_214
.LBB47_2264:
	v_cmp_ne_u16_e32 vcc, 0, v3
	s_andn2_b64 s[4:5], s[4:5], exec
	s_and_b64 s[8:9], vcc, exec
	v_mov_b32_e32 v6, 0
	s_or_b64 s[4:5], s[4:5], s[8:9]
	s_or_b64 exec, exec, s[6:7]
	s_and_saveexec_b64 s[6:7], s[4:5]
	s_cbranch_execnz .LBB47_215
	s_branch .LBB47_216
.LBB47_2265:
	s_movk_i32 s4, 0x80
	v_cmp_eq_u16_sdwa s[12:13], v8, s4 src0_sel:BYTE_3 src1_sel:DWORD
	s_mov_b64 s[4:5], -1
                                        ; implicit-def: $sgpr10
	s_and_saveexec_b64 s[8:9], s[12:13]
; %bb.2266:
	s_mov_b32 s10, 0x7f800001
	s_xor_b64 s[4:5], exec, -1
; %bb.2267:
	s_or_b64 exec, exec, s[8:9]
	s_and_b64 s[4:5], s[4:5], exec
	s_or_saveexec_b64 s[6:7], s[6:7]
	v_mov_b32_e32 v2, s10
	s_xor_b64 exec, exec, s[6:7]
	s_cbranch_execz .LBB47_218
.LBB47_2268:
	v_mov_b32_e32 v2, 0
	v_cmp_ne_u16_sdwa s[8:9], v8, v2 src0_sel:BYTE_3 src1_sel:DWORD
	s_andn2_b64 s[4:5], s[4:5], exec
	s_and_b64 s[8:9], s[8:9], exec
	s_or_b64 s[4:5], s[4:5], s[8:9]
	s_or_b64 exec, exec, s[6:7]
	s_and_saveexec_b64 s[6:7], s[4:5]
	s_cbranch_execnz .LBB47_219
	s_branch .LBB47_220
.LBB47_2269:
	s_movk_i32 s4, 0x80
	v_cmp_eq_u16_sdwa s[12:13], v4, s4 src0_sel:BYTE_3 src1_sel:DWORD
	s_mov_b64 s[4:5], -1
                                        ; implicit-def: $sgpr10
	s_and_saveexec_b64 s[8:9], s[12:13]
; %bb.2270:
	s_mov_b32 s10, 0x7f800001
	s_xor_b64 s[4:5], exec, -1
; %bb.2271:
	s_or_b64 exec, exec, s[8:9]
	s_and_b64 s[4:5], s[4:5], exec
	s_or_saveexec_b64 s[6:7], s[6:7]
	v_mov_b32_e32 v3, s10
	s_xor_b64 exec, exec, s[6:7]
	s_cbranch_execz .LBB47_222
.LBB47_2272:
	v_mov_b32_e32 v3, 0
	v_cmp_ne_u16_sdwa s[8:9], v4, v3 src0_sel:BYTE_3 src1_sel:DWORD
	s_andn2_b64 s[4:5], s[4:5], exec
	s_and_b64 s[8:9], s[8:9], exec
	s_or_b64 s[4:5], s[4:5], s[8:9]
	s_or_b64 exec, exec, s[6:7]
	s_and_saveexec_b64 s[6:7], s[4:5]
	s_cbranch_execnz .LBB47_223
	s_branch .LBB47_224
.LBB47_2273:
	s_movk_i32 s4, 0x80
	v_cmp_eq_u16_sdwa s[12:13], v9, s4 src0_sel:BYTE_0 src1_sel:DWORD
	s_mov_b64 s[4:5], -1
                                        ; implicit-def: $sgpr10
	s_and_saveexec_b64 s[8:9], s[12:13]
; %bb.2274:
	s_mov_b32 s10, 0x7f800001
	s_xor_b64 s[4:5], exec, -1
; %bb.2275:
	s_or_b64 exec, exec, s[8:9]
	s_and_b64 s[4:5], s[4:5], exec
	s_or_saveexec_b64 s[6:7], s[6:7]
	v_mov_b32_e32 v2, s10
	s_xor_b64 exec, exec, s[6:7]
	s_cbranch_execz .LBB47_226
.LBB47_2276:
	v_mov_b32_e32 v2, 0
	v_cmp_ne_u16_sdwa s[8:9], v9, v2 src0_sel:BYTE_0 src1_sel:DWORD
	s_andn2_b64 s[4:5], s[4:5], exec
	s_and_b64 s[8:9], s[8:9], exec
	s_or_b64 s[4:5], s[4:5], s[8:9]
	s_or_b64 exec, exec, s[6:7]
	s_and_saveexec_b64 s[6:7], s[4:5]
	s_cbranch_execnz .LBB47_227
	s_branch .LBB47_228
.LBB47_2277:
	s_movk_i32 s4, 0x80
	v_cmp_eq_u16_sdwa s[12:13], v5, s4 src0_sel:BYTE_0 src1_sel:DWORD
	s_mov_b64 s[4:5], -1
                                        ; implicit-def: $sgpr10
	s_and_saveexec_b64 s[8:9], s[12:13]
; %bb.2278:
	s_mov_b32 s10, 0x7f800001
	s_xor_b64 s[4:5], exec, -1
; %bb.2279:
	s_or_b64 exec, exec, s[8:9]
	s_and_b64 s[4:5], s[4:5], exec
	s_or_saveexec_b64 s[6:7], s[6:7]
	v_mov_b32_e32 v3, s10
	s_xor_b64 exec, exec, s[6:7]
	s_cbranch_execz .LBB47_230
.LBB47_2280:
	v_mov_b32_e32 v3, 0
	v_cmp_ne_u16_sdwa s[8:9], v5, v3 src0_sel:BYTE_0 src1_sel:DWORD
	s_andn2_b64 s[4:5], s[4:5], exec
	s_and_b64 s[8:9], s[8:9], exec
	s_or_b64 s[4:5], s[4:5], s[8:9]
	s_or_b64 exec, exec, s[6:7]
	s_and_saveexec_b64 s[6:7], s[4:5]
	s_cbranch_execnz .LBB47_231
	s_branch .LBB47_232
.LBB47_2281:
	s_movk_i32 s4, 0x80
	v_cmp_eq_u16_sdwa s[12:13], v3, s4 src0_sel:BYTE_0 src1_sel:DWORD
	s_mov_b64 s[4:5], -1
                                        ; implicit-def: $sgpr10
	s_and_saveexec_b64 s[8:9], s[12:13]
; %bb.2282:
	s_mov_b32 s10, 0x7f800001
	s_xor_b64 s[4:5], exec, -1
; %bb.2283:
	s_or_b64 exec, exec, s[8:9]
	s_and_b64 s[4:5], s[4:5], exec
	s_or_saveexec_b64 s[6:7], s[6:7]
	v_mov_b32_e32 v2, s10
	s_xor_b64 exec, exec, s[6:7]
	s_cbranch_execz .LBB47_234
.LBB47_2284:
	v_mov_b32_e32 v2, 0
	v_cmp_ne_u16_sdwa s[8:9], v3, v2 src0_sel:BYTE_0 src1_sel:DWORD
	s_andn2_b64 s[4:5], s[4:5], exec
	s_and_b64 s[8:9], s[8:9], exec
	s_or_b64 s[4:5], s[4:5], s[8:9]
	s_or_b64 exec, exec, s[6:7]
	s_and_saveexec_b64 s[6:7], s[4:5]
	s_cbranch_execnz .LBB47_235
	s_branch .LBB47_236
.LBB47_2285:
	s_movk_i32 s4, 0x80
	v_cmp_eq_u16_sdwa s[12:13], v3, s4 src0_sel:BYTE_0 src1_sel:DWORD
	s_mov_b64 s[4:5], -1
                                        ; implicit-def: $sgpr10
	s_and_saveexec_b64 s[8:9], s[12:13]
; %bb.2286:
	s_mov_b32 s10, 0x7f800001
	s_xor_b64 s[4:5], exec, -1
; %bb.2287:
	s_or_b64 exec, exec, s[8:9]
	s_and_b64 s[4:5], s[4:5], exec
	s_or_saveexec_b64 s[6:7], s[6:7]
	v_mov_b32_e32 v4, s10
	s_xor_b64 exec, exec, s[6:7]
	s_cbranch_execz .LBB47_238
.LBB47_2288:
	v_mov_b32_e32 v4, 0
	v_cmp_ne_u16_sdwa s[8:9], v3, v4 src0_sel:BYTE_0 src1_sel:DWORD
	s_andn2_b64 s[4:5], s[4:5], exec
	s_and_b64 s[8:9], s[8:9], exec
	s_or_b64 s[4:5], s[4:5], s[8:9]
	s_or_b64 exec, exec, s[6:7]
	s_and_saveexec_b64 s[6:7], s[4:5]
	s_cbranch_execnz .LBB47_239
	s_branch .LBB47_240
.LBB47_2289:
	s_movk_i32 s4, 0x80
	v_cmp_eq_u16_e32 vcc, s4, v3
	s_mov_b64 s[4:5], -1
                                        ; implicit-def: $sgpr10
	s_and_saveexec_b64 s[8:9], vcc
; %bb.2290:
	s_mov_b32 s10, 0x7f800001
	s_xor_b64 s[4:5], exec, -1
; %bb.2291:
	s_or_b64 exec, exec, s[8:9]
	s_and_b64 s[4:5], s[4:5], exec
                                        ; implicit-def: $vgpr3
	s_or_saveexec_b64 s[6:7], s[6:7]
	v_mov_b32_e32 v2, s10
	s_xor_b64 exec, exec, s[6:7]
	s_cbranch_execz .LBB47_242
.LBB47_2292:
	v_cmp_ne_u16_e32 vcc, 0, v3
	s_andn2_b64 s[4:5], s[4:5], exec
	s_and_b64 s[8:9], vcc, exec
	v_mov_b32_e32 v2, 0
	s_or_b64 s[4:5], s[4:5], s[8:9]
	s_or_b64 exec, exec, s[6:7]
	s_and_saveexec_b64 s[6:7], s[4:5]
	s_cbranch_execnz .LBB47_243
	s_branch .LBB47_244
.LBB47_2293:
	s_movk_i32 s4, 0x80
	v_cmp_eq_u16_e32 vcc, s4, v3
	s_mov_b64 s[4:5], -1
                                        ; implicit-def: $sgpr10
	s_and_saveexec_b64 s[8:9], vcc
; %bb.2294:
	s_mov_b32 s10, 0x7f800001
	s_xor_b64 s[4:5], exec, -1
; %bb.2295:
	s_or_b64 exec, exec, s[8:9]
	s_and_b64 s[4:5], s[4:5], exec
                                        ; implicit-def: $vgpr3
	s_or_saveexec_b64 s[6:7], s[6:7]
	v_mov_b32_e32 v4, s10
	s_xor_b64 exec, exec, s[6:7]
	s_cbranch_execz .LBB47_246
.LBB47_2296:
	v_cmp_ne_u16_e32 vcc, 0, v3
	s_andn2_b64 s[4:5], s[4:5], exec
	s_and_b64 s[8:9], vcc, exec
	v_mov_b32_e32 v4, 0
	s_or_b64 s[4:5], s[4:5], s[8:9]
	s_or_b64 exec, exec, s[6:7]
	s_and_saveexec_b64 s[6:7], s[4:5]
	s_cbranch_execnz .LBB47_247
	s_branch .LBB47_248
.LBB47_2297:
	s_movk_i32 s4, 0x80
	v_cmp_eq_u16_sdwa s[12:13], v9, s4 src0_sel:BYTE_3 src1_sel:DWORD
	s_mov_b64 s[4:5], -1
                                        ; implicit-def: $sgpr10
	s_and_saveexec_b64 s[8:9], s[12:13]
; %bb.2298:
	s_mov_b32 s10, 0x7f800001
	s_xor_b64 s[4:5], exec, -1
; %bb.2299:
	s_or_b64 exec, exec, s[8:9]
	s_and_b64 s[4:5], s[4:5], exec
	s_or_saveexec_b64 s[6:7], s[6:7]
	v_mov_b32_e32 v2, s10
	s_xor_b64 exec, exec, s[6:7]
	s_cbranch_execz .LBB47_250
.LBB47_2300:
	v_mov_b32_e32 v2, 0
	v_cmp_ne_u16_sdwa s[8:9], v9, v2 src0_sel:BYTE_3 src1_sel:DWORD
	s_andn2_b64 s[4:5], s[4:5], exec
	s_and_b64 s[8:9], s[8:9], exec
	s_or_b64 s[4:5], s[4:5], s[8:9]
	s_or_b64 exec, exec, s[6:7]
	s_and_saveexec_b64 s[6:7], s[4:5]
	s_cbranch_execnz .LBB47_251
	s_branch .LBB47_252
.LBB47_2301:
	s_movk_i32 s4, 0x80
	v_cmp_eq_u16_sdwa s[12:13], v5, s4 src0_sel:BYTE_3 src1_sel:DWORD
	s_mov_b64 s[4:5], -1
                                        ; implicit-def: $sgpr10
	s_and_saveexec_b64 s[8:9], s[12:13]
; %bb.2302:
	s_mov_b32 s10, 0x7f800001
	s_xor_b64 s[4:5], exec, -1
; %bb.2303:
	s_or_b64 exec, exec, s[8:9]
	s_and_b64 s[4:5], s[4:5], exec
	s_or_saveexec_b64 s[6:7], s[6:7]
	v_mov_b32_e32 v3, s10
	s_xor_b64 exec, exec, s[6:7]
	s_cbranch_execz .LBB47_254
.LBB47_2304:
	v_mov_b32_e32 v3, 0
	v_cmp_ne_u16_sdwa s[8:9], v5, v3 src0_sel:BYTE_3 src1_sel:DWORD
	s_andn2_b64 s[4:5], s[4:5], exec
	s_and_b64 s[8:9], s[8:9], exec
	s_or_b64 s[4:5], s[4:5], s[8:9]
	s_or_b64 exec, exec, s[6:7]
	s_and_saveexec_b64 s[6:7], s[4:5]
	s_cbranch_execnz .LBB47_255
	s_branch .LBB47_256
.LBB47_2305:
	s_movk_i32 s4, 0x80
	v_cmp_eq_u16_sdwa s[12:13], v14, s4 src0_sel:BYTE_0 src1_sel:DWORD
	s_mov_b64 s[4:5], -1
                                        ; implicit-def: $sgpr10
	s_and_saveexec_b64 s[8:9], s[12:13]
; %bb.2306:
	s_mov_b32 s10, 0x7f800001
	s_xor_b64 s[4:5], exec, -1
; %bb.2307:
	s_or_b64 exec, exec, s[8:9]
	s_and_b64 s[4:5], s[4:5], exec
	s_or_saveexec_b64 s[6:7], s[6:7]
	v_mov_b32_e32 v20, s10
	s_xor_b64 exec, exec, s[6:7]
	s_cbranch_execz .LBB47_258
.LBB47_2308:
	v_mov_b32_e32 v20, 0
	v_cmp_ne_u16_sdwa s[8:9], v14, v20 src0_sel:BYTE_0 src1_sel:DWORD
	s_andn2_b64 s[4:5], s[4:5], exec
	s_and_b64 s[8:9], s[8:9], exec
	s_or_b64 s[4:5], s[4:5], s[8:9]
	s_or_b64 exec, exec, s[6:7]
	s_and_saveexec_b64 s[6:7], s[4:5]
	s_cbranch_execnz .LBB47_259
	s_branch .LBB47_260
.LBB47_2309:
	s_movk_i32 s4, 0x80
	v_cmp_eq_u16_sdwa s[12:13], v10, s4 src0_sel:BYTE_0 src1_sel:DWORD
	s_mov_b64 s[4:5], -1
                                        ; implicit-def: $sgpr10
	s_and_saveexec_b64 s[8:9], s[12:13]
; %bb.2310:
	s_mov_b32 s10, 0x7f800001
	s_xor_b64 s[4:5], exec, -1
; %bb.2311:
	s_or_b64 exec, exec, s[8:9]
	s_and_b64 s[4:5], s[4:5], exec
	s_or_saveexec_b64 s[6:7], s[6:7]
	v_mov_b32_e32 v21, s10
	s_xor_b64 exec, exec, s[6:7]
	s_cbranch_execz .LBB47_262
.LBB47_2312:
	v_mov_b32_e32 v21, 0
	v_cmp_ne_u16_sdwa s[8:9], v10, v21 src0_sel:BYTE_0 src1_sel:DWORD
	s_andn2_b64 s[4:5], s[4:5], exec
	s_and_b64 s[8:9], s[8:9], exec
	s_or_b64 s[4:5], s[4:5], s[8:9]
	s_or_b64 exec, exec, s[6:7]
	s_and_saveexec_b64 s[6:7], s[4:5]
	s_cbranch_execnz .LBB47_263
	s_branch .LBB47_264
.LBB47_2313:
	s_movk_i32 s4, 0x80
	v_cmp_eq_u16_sdwa s[12:13], v21, s4 src0_sel:BYTE_0 src1_sel:DWORD
	s_mov_b64 s[4:5], -1
                                        ; implicit-def: $sgpr10
	s_and_saveexec_b64 s[8:9], s[12:13]
; %bb.2314:
	s_mov_b32 s10, 0x7f800001
	s_xor_b64 s[4:5], exec, -1
; %bb.2315:
	s_or_b64 exec, exec, s[8:9]
	s_and_b64 s[4:5], s[4:5], exec
	s_or_saveexec_b64 s[6:7], s[6:7]
	v_mov_b32_e32 v20, s10
	s_xor_b64 exec, exec, s[6:7]
	s_cbranch_execz .LBB47_266
.LBB47_2316:
	v_mov_b32_e32 v20, 0
	v_cmp_ne_u16_sdwa s[8:9], v21, v20 src0_sel:BYTE_0 src1_sel:DWORD
	s_andn2_b64 s[4:5], s[4:5], exec
	s_and_b64 s[8:9], s[8:9], exec
	s_or_b64 s[4:5], s[4:5], s[8:9]
	s_or_b64 exec, exec, s[6:7]
	s_and_saveexec_b64 s[6:7], s[4:5]
	s_cbranch_execnz .LBB47_267
	s_branch .LBB47_268
.LBB47_2317:
	s_movk_i32 s4, 0x80
	v_cmp_eq_u16_sdwa s[12:13], v21, s4 src0_sel:BYTE_0 src1_sel:DWORD
	s_mov_b64 s[4:5], -1
                                        ; implicit-def: $sgpr10
	s_and_saveexec_b64 s[8:9], s[12:13]
; %bb.2318:
	s_mov_b32 s10, 0x7f800001
	s_xor_b64 s[4:5], exec, -1
; %bb.2319:
	s_or_b64 exec, exec, s[8:9]
	s_and_b64 s[4:5], s[4:5], exec
	s_or_saveexec_b64 s[6:7], s[6:7]
	v_mov_b32_e32 v22, s10
	s_xor_b64 exec, exec, s[6:7]
	s_cbranch_execz .LBB47_270
.LBB47_2320:
	v_mov_b32_e32 v22, 0
	v_cmp_ne_u16_sdwa s[8:9], v21, v22 src0_sel:BYTE_0 src1_sel:DWORD
	s_andn2_b64 s[4:5], s[4:5], exec
	s_and_b64 s[8:9], s[8:9], exec
	s_or_b64 s[4:5], s[4:5], s[8:9]
	s_or_b64 exec, exec, s[6:7]
	s_and_saveexec_b64 s[6:7], s[4:5]
	s_cbranch_execnz .LBB47_271
	s_branch .LBB47_272
.LBB47_2321:
	s_movk_i32 s4, 0x80
	v_cmp_eq_u16_e32 vcc, s4, v21
	s_mov_b64 s[4:5], -1
                                        ; implicit-def: $sgpr10
	s_and_saveexec_b64 s[8:9], vcc
; %bb.2322:
	s_mov_b32 s10, 0x7f800001
	s_xor_b64 s[4:5], exec, -1
; %bb.2323:
	s_or_b64 exec, exec, s[8:9]
	s_and_b64 s[4:5], s[4:5], exec
                                        ; implicit-def: $vgpr21
	s_or_saveexec_b64 s[6:7], s[6:7]
	v_mov_b32_e32 v20, s10
	s_xor_b64 exec, exec, s[6:7]
	s_cbranch_execz .LBB47_274
.LBB47_2324:
	v_cmp_ne_u16_e32 vcc, 0, v21
	s_andn2_b64 s[4:5], s[4:5], exec
	s_and_b64 s[8:9], vcc, exec
	v_mov_b32_e32 v20, 0
	s_or_b64 s[4:5], s[4:5], s[8:9]
	s_or_b64 exec, exec, s[6:7]
	s_and_saveexec_b64 s[6:7], s[4:5]
	s_cbranch_execnz .LBB47_275
	s_branch .LBB47_276
.LBB47_2325:
	s_movk_i32 s4, 0x80
	v_cmp_eq_u16_e32 vcc, s4, v21
	s_mov_b64 s[4:5], -1
                                        ; implicit-def: $sgpr10
	s_and_saveexec_b64 s[8:9], vcc
; %bb.2326:
	s_mov_b32 s10, 0x7f800001
	s_xor_b64 s[4:5], exec, -1
; %bb.2327:
	s_or_b64 exec, exec, s[8:9]
	s_and_b64 s[4:5], s[4:5], exec
                                        ; implicit-def: $vgpr21
	s_or_saveexec_b64 s[6:7], s[6:7]
	v_mov_b32_e32 v22, s10
	s_xor_b64 exec, exec, s[6:7]
	s_cbranch_execz .LBB47_278
.LBB47_2328:
	v_cmp_ne_u16_e32 vcc, 0, v21
	s_andn2_b64 s[4:5], s[4:5], exec
	s_and_b64 s[8:9], vcc, exec
	v_mov_b32_e32 v22, 0
	s_or_b64 s[4:5], s[4:5], s[8:9]
	s_or_b64 exec, exec, s[6:7]
	s_and_saveexec_b64 s[6:7], s[4:5]
	s_cbranch_execnz .LBB47_279
	s_branch .LBB47_280
.LBB47_2329:
	s_movk_i32 s4, 0x80
	v_cmp_eq_u16_sdwa s[12:13], v14, s4 src0_sel:BYTE_3 src1_sel:DWORD
	s_mov_b64 s[4:5], -1
                                        ; implicit-def: $sgpr10
	s_and_saveexec_b64 s[8:9], s[12:13]
; %bb.2330:
	s_mov_b32 s10, 0x7f800001
	s_xor_b64 s[4:5], exec, -1
; %bb.2331:
	s_or_b64 exec, exec, s[8:9]
	s_and_b64 s[4:5], s[4:5], exec
	s_or_saveexec_b64 s[6:7], s[6:7]
	v_mov_b32_e32 v20, s10
	s_xor_b64 exec, exec, s[6:7]
	s_cbranch_execz .LBB47_282
.LBB47_2332:
	v_mov_b32_e32 v20, 0
	v_cmp_ne_u16_sdwa s[8:9], v14, v20 src0_sel:BYTE_3 src1_sel:DWORD
	s_andn2_b64 s[4:5], s[4:5], exec
	s_and_b64 s[8:9], s[8:9], exec
	s_or_b64 s[4:5], s[4:5], s[8:9]
	s_or_b64 exec, exec, s[6:7]
	s_and_saveexec_b64 s[6:7], s[4:5]
	s_cbranch_execnz .LBB47_283
	s_branch .LBB47_284
.LBB47_2333:
	s_movk_i32 s4, 0x80
	v_cmp_eq_u16_sdwa s[12:13], v10, s4 src0_sel:BYTE_3 src1_sel:DWORD
	s_mov_b64 s[4:5], -1
                                        ; implicit-def: $sgpr10
	s_and_saveexec_b64 s[8:9], s[12:13]
; %bb.2334:
	s_mov_b32 s10, 0x7f800001
	s_xor_b64 s[4:5], exec, -1
; %bb.2335:
	s_or_b64 exec, exec, s[8:9]
	s_and_b64 s[4:5], s[4:5], exec
	s_or_saveexec_b64 s[6:7], s[6:7]
	v_mov_b32_e32 v14, s10
	s_xor_b64 exec, exec, s[6:7]
	s_cbranch_execz .LBB47_286
.LBB47_2336:
	v_mov_b32_e32 v14, 0
	v_cmp_ne_u16_sdwa s[8:9], v10, v14 src0_sel:BYTE_3 src1_sel:DWORD
	s_andn2_b64 s[4:5], s[4:5], exec
	s_and_b64 s[8:9], s[8:9], exec
	s_or_b64 s[4:5], s[4:5], s[8:9]
	s_or_b64 exec, exec, s[6:7]
	s_and_saveexec_b64 s[6:7], s[4:5]
	s_cbranch_execnz .LBB47_287
	s_branch .LBB47_288
.LBB47_2337:
	s_movk_i32 s4, 0x80
	v_cmp_eq_u16_sdwa s[12:13], v15, s4 src0_sel:BYTE_0 src1_sel:DWORD
	s_mov_b64 s[4:5], -1
                                        ; implicit-def: $sgpr10
	s_and_saveexec_b64 s[8:9], s[12:13]
; %bb.2338:
	s_mov_b32 s10, 0x7f800001
	s_xor_b64 s[4:5], exec, -1
; %bb.2339:
	s_or_b64 exec, exec, s[8:9]
	s_and_b64 s[4:5], s[4:5], exec
	s_or_saveexec_b64 s[6:7], s[6:7]
	v_mov_b32_e32 v10, s10
	s_xor_b64 exec, exec, s[6:7]
	s_cbranch_execz .LBB47_290
.LBB47_2340:
	v_mov_b32_e32 v10, 0
	v_cmp_ne_u16_sdwa s[8:9], v15, v10 src0_sel:BYTE_0 src1_sel:DWORD
	s_andn2_b64 s[4:5], s[4:5], exec
	s_and_b64 s[8:9], s[8:9], exec
	s_or_b64 s[4:5], s[4:5], s[8:9]
	s_or_b64 exec, exec, s[6:7]
	s_and_saveexec_b64 s[6:7], s[4:5]
	s_cbranch_execnz .LBB47_291
	s_branch .LBB47_292
.LBB47_2341:
	s_movk_i32 s4, 0x80
	v_cmp_eq_u16_sdwa s[12:13], v11, s4 src0_sel:BYTE_0 src1_sel:DWORD
	s_mov_b64 s[4:5], -1
                                        ; implicit-def: $sgpr10
	s_and_saveexec_b64 s[8:9], s[12:13]
; %bb.2342:
	s_mov_b32 s10, 0x7f800001
	s_xor_b64 s[4:5], exec, -1
; %bb.2343:
	s_or_b64 exec, exec, s[8:9]
	s_and_b64 s[4:5], s[4:5], exec
	s_or_saveexec_b64 s[6:7], s[6:7]
	v_mov_b32_e32 v14, s10
	s_xor_b64 exec, exec, s[6:7]
	s_cbranch_execz .LBB47_294
.LBB47_2344:
	v_mov_b32_e32 v14, 0
	v_cmp_ne_u16_sdwa s[8:9], v11, v14 src0_sel:BYTE_0 src1_sel:DWORD
	s_andn2_b64 s[4:5], s[4:5], exec
	s_and_b64 s[8:9], s[8:9], exec
	s_or_b64 s[4:5], s[4:5], s[8:9]
	s_or_b64 exec, exec, s[6:7]
	s_and_saveexec_b64 s[6:7], s[4:5]
	s_cbranch_execnz .LBB47_295
	s_branch .LBB47_296
.LBB47_2345:
	s_movk_i32 s4, 0x80
	v_cmp_eq_u16_sdwa s[12:13], v14, s4 src0_sel:BYTE_0 src1_sel:DWORD
	s_mov_b64 s[4:5], -1
                                        ; implicit-def: $sgpr10
	s_and_saveexec_b64 s[8:9], s[12:13]
; %bb.2346:
	s_mov_b32 s10, 0x7f800001
	s_xor_b64 s[4:5], exec, -1
; %bb.2347:
	s_or_b64 exec, exec, s[8:9]
	s_and_b64 s[4:5], s[4:5], exec
	s_or_saveexec_b64 s[6:7], s[6:7]
	v_mov_b32_e32 v10, s10
	s_xor_b64 exec, exec, s[6:7]
	s_cbranch_execz .LBB47_298
.LBB47_2348:
	v_mov_b32_e32 v10, 0
	v_cmp_ne_u16_sdwa s[8:9], v14, v10 src0_sel:BYTE_0 src1_sel:DWORD
	s_andn2_b64 s[4:5], s[4:5], exec
	s_and_b64 s[8:9], s[8:9], exec
	s_or_b64 s[4:5], s[4:5], s[8:9]
	s_or_b64 exec, exec, s[6:7]
	s_and_saveexec_b64 s[6:7], s[4:5]
	s_cbranch_execnz .LBB47_299
	s_branch .LBB47_300
.LBB47_2349:
	s_movk_i32 s4, 0x80
	v_cmp_eq_u16_sdwa s[12:13], v14, s4 src0_sel:BYTE_0 src1_sel:DWORD
	s_mov_b64 s[4:5], -1
                                        ; implicit-def: $sgpr10
	s_and_saveexec_b64 s[8:9], s[12:13]
; %bb.2350:
	s_mov_b32 s10, 0x7f800001
	s_xor_b64 s[4:5], exec, -1
; %bb.2351:
	s_or_b64 exec, exec, s[8:9]
	s_and_b64 s[4:5], s[4:5], exec
	s_or_saveexec_b64 s[6:7], s[6:7]
	v_mov_b32_e32 v20, s10
	s_xor_b64 exec, exec, s[6:7]
	s_cbranch_execz .LBB47_302
.LBB47_2352:
	v_mov_b32_e32 v20, 0
	v_cmp_ne_u16_sdwa s[8:9], v14, v20 src0_sel:BYTE_0 src1_sel:DWORD
	s_andn2_b64 s[4:5], s[4:5], exec
	s_and_b64 s[8:9], s[8:9], exec
	s_or_b64 s[4:5], s[4:5], s[8:9]
	s_or_b64 exec, exec, s[6:7]
	s_and_saveexec_b64 s[6:7], s[4:5]
	s_cbranch_execnz .LBB47_303
	s_branch .LBB47_304
.LBB47_2353:
	s_movk_i32 s4, 0x80
	v_cmp_eq_u16_e32 vcc, s4, v14
	s_mov_b64 s[4:5], -1
                                        ; implicit-def: $sgpr10
	s_and_saveexec_b64 s[8:9], vcc
; %bb.2354:
	s_mov_b32 s10, 0x7f800001
	s_xor_b64 s[4:5], exec, -1
; %bb.2355:
	s_or_b64 exec, exec, s[8:9]
	s_and_b64 s[4:5], s[4:5], exec
                                        ; implicit-def: $vgpr14
	s_or_saveexec_b64 s[6:7], s[6:7]
	v_mov_b32_e32 v10, s10
	s_xor_b64 exec, exec, s[6:7]
	s_cbranch_execz .LBB47_306
.LBB47_2356:
	v_cmp_ne_u16_e32 vcc, 0, v14
	s_andn2_b64 s[4:5], s[4:5], exec
	s_and_b64 s[8:9], vcc, exec
	v_mov_b32_e32 v10, 0
	s_or_b64 s[4:5], s[4:5], s[8:9]
	s_or_b64 exec, exec, s[6:7]
	s_and_saveexec_b64 s[6:7], s[4:5]
	s_cbranch_execnz .LBB47_307
	s_branch .LBB47_308
.LBB47_2357:
	s_movk_i32 s4, 0x80
	v_cmp_eq_u16_e32 vcc, s4, v14
	s_mov_b64 s[4:5], -1
                                        ; implicit-def: $sgpr10
	s_and_saveexec_b64 s[8:9], vcc
; %bb.2358:
	s_mov_b32 s10, 0x7f800001
	s_xor_b64 s[4:5], exec, -1
; %bb.2359:
	s_or_b64 exec, exec, s[8:9]
	s_and_b64 s[4:5], s[4:5], exec
                                        ; implicit-def: $vgpr14
	s_or_saveexec_b64 s[6:7], s[6:7]
	v_mov_b32_e32 v20, s10
	s_xor_b64 exec, exec, s[6:7]
	s_cbranch_execz .LBB47_310
.LBB47_2360:
	v_cmp_ne_u16_e32 vcc, 0, v14
	s_andn2_b64 s[4:5], s[4:5], exec
	s_and_b64 s[8:9], vcc, exec
	v_mov_b32_e32 v20, 0
	s_or_b64 s[4:5], s[4:5], s[8:9]
	s_or_b64 exec, exec, s[6:7]
	s_and_saveexec_b64 s[6:7], s[4:5]
	s_cbranch_execnz .LBB47_311
	s_branch .LBB47_312
.LBB47_2361:
	s_movk_i32 s4, 0x80
	v_cmp_eq_u16_sdwa s[12:13], v15, s4 src0_sel:BYTE_3 src1_sel:DWORD
	s_mov_b64 s[4:5], -1
                                        ; implicit-def: $sgpr10
	s_and_saveexec_b64 s[8:9], s[12:13]
; %bb.2362:
	s_mov_b32 s10, 0x7f800001
	s_xor_b64 s[4:5], exec, -1
; %bb.2363:
	s_or_b64 exec, exec, s[8:9]
	s_and_b64 s[4:5], s[4:5], exec
	s_or_saveexec_b64 s[6:7], s[6:7]
	v_mov_b32_e32 v10, s10
	s_xor_b64 exec, exec, s[6:7]
	s_cbranch_execz .LBB47_314
.LBB47_2364:
	v_mov_b32_e32 v10, 0
	v_cmp_ne_u16_sdwa s[8:9], v15, v10 src0_sel:BYTE_3 src1_sel:DWORD
	s_andn2_b64 s[4:5], s[4:5], exec
	s_and_b64 s[8:9], s[8:9], exec
	s_or_b64 s[4:5], s[4:5], s[8:9]
	s_or_b64 exec, exec, s[6:7]
	s_and_saveexec_b64 s[6:7], s[4:5]
	s_cbranch_execnz .LBB47_315
	s_branch .LBB47_316
.LBB47_2365:
	s_movk_i32 s4, 0x80
	v_cmp_eq_u16_sdwa s[12:13], v11, s4 src0_sel:BYTE_3 src1_sel:DWORD
	s_mov_b64 s[4:5], -1
                                        ; implicit-def: $sgpr10
	s_and_saveexec_b64 s[8:9], s[12:13]
; %bb.2366:
	s_mov_b32 s10, 0x7f800001
	s_xor_b64 s[4:5], exec, -1
; %bb.2367:
	s_or_b64 exec, exec, s[8:9]
	s_and_b64 s[4:5], s[4:5], exec
	s_or_saveexec_b64 s[6:7], s[6:7]
	v_mov_b32_e32 v14, s10
	s_xor_b64 exec, exec, s[6:7]
	s_cbranch_execz .LBB47_318
.LBB47_2368:
	v_mov_b32_e32 v14, 0
	v_cmp_ne_u16_sdwa s[8:9], v11, v14 src0_sel:BYTE_3 src1_sel:DWORD
	s_andn2_b64 s[4:5], s[4:5], exec
	s_and_b64 s[8:9], s[8:9], exec
	s_or_b64 s[4:5], s[4:5], s[8:9]
	s_or_b64 exec, exec, s[6:7]
	s_and_saveexec_b64 s[6:7], s[4:5]
	s_cbranch_execnz .LBB47_319
	s_branch .LBB47_320
.LBB47_2369:
	s_movk_i32 s4, 0x80
	v_cmp_eq_u16_sdwa s[12:13], v16, s4 src0_sel:BYTE_0 src1_sel:DWORD
	s_mov_b64 s[4:5], -1
                                        ; implicit-def: $sgpr10
	s_and_saveexec_b64 s[8:9], s[12:13]
; %bb.2370:
	s_mov_b32 s10, 0x7f800001
	s_xor_b64 s[4:5], exec, -1
; %bb.2371:
	s_or_b64 exec, exec, s[8:9]
	s_and_b64 s[4:5], s[4:5], exec
	s_or_saveexec_b64 s[6:7], s[6:7]
	v_mov_b32_e32 v10, s10
	s_xor_b64 exec, exec, s[6:7]
	s_cbranch_execz .LBB47_322
.LBB47_2372:
	v_mov_b32_e32 v10, 0
	v_cmp_ne_u16_sdwa s[8:9], v16, v10 src0_sel:BYTE_0 src1_sel:DWORD
	s_andn2_b64 s[4:5], s[4:5], exec
	s_and_b64 s[8:9], s[8:9], exec
	s_or_b64 s[4:5], s[4:5], s[8:9]
	s_or_b64 exec, exec, s[6:7]
	s_and_saveexec_b64 s[6:7], s[4:5]
	s_cbranch_execnz .LBB47_323
	s_branch .LBB47_324
.LBB47_2373:
	s_movk_i32 s4, 0x80
	v_cmp_eq_u16_sdwa s[12:13], v12, s4 src0_sel:BYTE_0 src1_sel:DWORD
	s_mov_b64 s[4:5], -1
                                        ; implicit-def: $sgpr10
	s_and_saveexec_b64 s[8:9], s[12:13]
; %bb.2374:
	s_mov_b32 s10, 0x7f800001
	s_xor_b64 s[4:5], exec, -1
; %bb.2375:
	s_or_b64 exec, exec, s[8:9]
	s_and_b64 s[4:5], s[4:5], exec
	s_or_saveexec_b64 s[6:7], s[6:7]
	v_mov_b32_e32 v11, s10
	s_xor_b64 exec, exec, s[6:7]
	s_cbranch_execz .LBB47_326
.LBB47_2376:
	v_mov_b32_e32 v11, 0
	v_cmp_ne_u16_sdwa s[8:9], v12, v11 src0_sel:BYTE_0 src1_sel:DWORD
	s_andn2_b64 s[4:5], s[4:5], exec
	s_and_b64 s[8:9], s[8:9], exec
	s_or_b64 s[4:5], s[4:5], s[8:9]
	s_or_b64 exec, exec, s[6:7]
	s_and_saveexec_b64 s[6:7], s[4:5]
	s_cbranch_execnz .LBB47_327
	s_branch .LBB47_328
.LBB47_2377:
	s_movk_i32 s4, 0x80
	v_cmp_eq_u16_sdwa s[12:13], v11, s4 src0_sel:BYTE_0 src1_sel:DWORD
	s_mov_b64 s[4:5], -1
                                        ; implicit-def: $sgpr10
	s_and_saveexec_b64 s[8:9], s[12:13]
; %bb.2378:
	s_mov_b32 s10, 0x7f800001
	s_xor_b64 s[4:5], exec, -1
; %bb.2379:
	s_or_b64 exec, exec, s[8:9]
	s_and_b64 s[4:5], s[4:5], exec
	s_or_saveexec_b64 s[6:7], s[6:7]
	v_mov_b32_e32 v10, s10
	s_xor_b64 exec, exec, s[6:7]
	s_cbranch_execz .LBB47_330
.LBB47_2380:
	v_mov_b32_e32 v10, 0
	v_cmp_ne_u16_sdwa s[8:9], v11, v10 src0_sel:BYTE_0 src1_sel:DWORD
	s_andn2_b64 s[4:5], s[4:5], exec
	s_and_b64 s[8:9], s[8:9], exec
	s_or_b64 s[4:5], s[4:5], s[8:9]
	s_or_b64 exec, exec, s[6:7]
	s_and_saveexec_b64 s[6:7], s[4:5]
	s_cbranch_execnz .LBB47_331
	s_branch .LBB47_332
.LBB47_2381:
	s_movk_i32 s4, 0x80
	v_cmp_eq_u16_sdwa s[12:13], v11, s4 src0_sel:BYTE_0 src1_sel:DWORD
	s_mov_b64 s[4:5], -1
                                        ; implicit-def: $sgpr10
	s_and_saveexec_b64 s[8:9], s[12:13]
; %bb.2382:
	s_mov_b32 s10, 0x7f800001
	s_xor_b64 s[4:5], exec, -1
; %bb.2383:
	s_or_b64 exec, exec, s[8:9]
	s_and_b64 s[4:5], s[4:5], exec
	s_or_saveexec_b64 s[6:7], s[6:7]
	v_mov_b32_e32 v14, s10
	s_xor_b64 exec, exec, s[6:7]
	s_cbranch_execz .LBB47_334
.LBB47_2384:
	v_mov_b32_e32 v14, 0
	v_cmp_ne_u16_sdwa s[8:9], v11, v14 src0_sel:BYTE_0 src1_sel:DWORD
	s_andn2_b64 s[4:5], s[4:5], exec
	s_and_b64 s[8:9], s[8:9], exec
	s_or_b64 s[4:5], s[4:5], s[8:9]
	s_or_b64 exec, exec, s[6:7]
	s_and_saveexec_b64 s[6:7], s[4:5]
	s_cbranch_execnz .LBB47_335
	s_branch .LBB47_336
.LBB47_2385:
	s_movk_i32 s4, 0x80
	v_cmp_eq_u16_e32 vcc, s4, v11
	s_mov_b64 s[4:5], -1
                                        ; implicit-def: $sgpr10
	s_and_saveexec_b64 s[8:9], vcc
; %bb.2386:
	s_mov_b32 s10, 0x7f800001
	s_xor_b64 s[4:5], exec, -1
; %bb.2387:
	s_or_b64 exec, exec, s[8:9]
	s_and_b64 s[4:5], s[4:5], exec
                                        ; implicit-def: $vgpr11
	s_or_saveexec_b64 s[6:7], s[6:7]
	v_mov_b32_e32 v10, s10
	s_xor_b64 exec, exec, s[6:7]
	s_cbranch_execz .LBB47_338
.LBB47_2388:
	v_cmp_ne_u16_e32 vcc, 0, v11
	s_andn2_b64 s[4:5], s[4:5], exec
	s_and_b64 s[8:9], vcc, exec
	v_mov_b32_e32 v10, 0
	s_or_b64 s[4:5], s[4:5], s[8:9]
	s_or_b64 exec, exec, s[6:7]
	s_and_saveexec_b64 s[6:7], s[4:5]
	s_cbranch_execnz .LBB47_339
	s_branch .LBB47_340
.LBB47_2389:
	s_movk_i32 s4, 0x80
	v_cmp_eq_u16_e32 vcc, s4, v11
	s_mov_b64 s[4:5], -1
                                        ; implicit-def: $sgpr10
	s_and_saveexec_b64 s[8:9], vcc
; %bb.2390:
	s_mov_b32 s10, 0x7f800001
	s_xor_b64 s[4:5], exec, -1
; %bb.2391:
	s_or_b64 exec, exec, s[8:9]
	s_and_b64 s[4:5], s[4:5], exec
                                        ; implicit-def: $vgpr11
	s_or_saveexec_b64 s[6:7], s[6:7]
	v_mov_b32_e32 v14, s10
	s_xor_b64 exec, exec, s[6:7]
	s_cbranch_execz .LBB47_342
.LBB47_2392:
	v_cmp_ne_u16_e32 vcc, 0, v11
	s_andn2_b64 s[4:5], s[4:5], exec
	s_and_b64 s[8:9], vcc, exec
	v_mov_b32_e32 v14, 0
	s_or_b64 s[4:5], s[4:5], s[8:9]
	s_or_b64 exec, exec, s[6:7]
	s_and_saveexec_b64 s[6:7], s[4:5]
	s_cbranch_execnz .LBB47_343
	s_branch .LBB47_344
.LBB47_2393:
	s_movk_i32 s4, 0x80
	v_cmp_eq_u16_sdwa s[12:13], v16, s4 src0_sel:BYTE_3 src1_sel:DWORD
	s_mov_b64 s[4:5], -1
                                        ; implicit-def: $sgpr10
	s_and_saveexec_b64 s[8:9], s[12:13]
; %bb.2394:
	s_mov_b32 s10, 0x7f800001
	s_xor_b64 s[4:5], exec, -1
; %bb.2395:
	s_or_b64 exec, exec, s[8:9]
	s_and_b64 s[4:5], s[4:5], exec
	s_or_saveexec_b64 s[6:7], s[6:7]
	v_mov_b32_e32 v10, s10
	s_xor_b64 exec, exec, s[6:7]
	s_cbranch_execz .LBB47_346
.LBB47_2396:
	v_mov_b32_e32 v10, 0
	v_cmp_ne_u16_sdwa s[8:9], v16, v10 src0_sel:BYTE_3 src1_sel:DWORD
	s_andn2_b64 s[4:5], s[4:5], exec
	s_and_b64 s[8:9], s[8:9], exec
	s_or_b64 s[4:5], s[4:5], s[8:9]
	s_or_b64 exec, exec, s[6:7]
	s_and_saveexec_b64 s[6:7], s[4:5]
	s_cbranch_execnz .LBB47_347
	s_branch .LBB47_348
.LBB47_2397:
	s_movk_i32 s4, 0x80
	v_cmp_eq_u16_sdwa s[12:13], v12, s4 src0_sel:BYTE_3 src1_sel:DWORD
	s_mov_b64 s[4:5], -1
                                        ; implicit-def: $sgpr10
	s_and_saveexec_b64 s[8:9], s[12:13]
; %bb.2398:
	s_mov_b32 s10, 0x7f800001
	s_xor_b64 s[4:5], exec, -1
; %bb.2399:
	s_or_b64 exec, exec, s[8:9]
	s_and_b64 s[4:5], s[4:5], exec
	s_or_saveexec_b64 s[6:7], s[6:7]
	v_mov_b32_e32 v11, s10
	s_xor_b64 exec, exec, s[6:7]
	s_cbranch_execz .LBB47_350
.LBB47_2400:
	v_mov_b32_e32 v11, 0
	v_cmp_ne_u16_sdwa s[8:9], v12, v11 src0_sel:BYTE_3 src1_sel:DWORD
	s_andn2_b64 s[4:5], s[4:5], exec
	s_and_b64 s[8:9], s[8:9], exec
	s_or_b64 s[4:5], s[4:5], s[8:9]
	s_or_b64 exec, exec, s[6:7]
	s_and_saveexec_b64 s[6:7], s[4:5]
	s_cbranch_execnz .LBB47_351
	s_branch .LBB47_352
.LBB47_2401:
	s_movk_i32 s4, 0x80
	v_cmp_eq_u16_sdwa s[12:13], v17, s4 src0_sel:BYTE_0 src1_sel:DWORD
	s_mov_b64 s[4:5], -1
                                        ; implicit-def: $sgpr10
	s_and_saveexec_b64 s[8:9], s[12:13]
; %bb.2402:
	s_mov_b32 s10, 0x7f800001
	s_xor_b64 s[4:5], exec, -1
; %bb.2403:
	s_or_b64 exec, exec, s[8:9]
	s_and_b64 s[4:5], s[4:5], exec
	s_or_saveexec_b64 s[6:7], s[6:7]
	v_mov_b32_e32 v10, s10
	s_xor_b64 exec, exec, s[6:7]
	s_cbranch_execz .LBB47_354
.LBB47_2404:
	v_mov_b32_e32 v10, 0
	v_cmp_ne_u16_sdwa s[8:9], v17, v10 src0_sel:BYTE_0 src1_sel:DWORD
	s_andn2_b64 s[4:5], s[4:5], exec
	s_and_b64 s[8:9], s[8:9], exec
	s_or_b64 s[4:5], s[4:5], s[8:9]
	s_or_b64 exec, exec, s[6:7]
	s_and_saveexec_b64 s[6:7], s[4:5]
	s_cbranch_execnz .LBB47_355
	s_branch .LBB47_356
.LBB47_2405:
	s_movk_i32 s4, 0x80
	v_cmp_eq_u16_sdwa s[12:13], v13, s4 src0_sel:BYTE_0 src1_sel:DWORD
	s_mov_b64 s[4:5], -1
                                        ; implicit-def: $sgpr10
	s_and_saveexec_b64 s[8:9], s[12:13]
; %bb.2406:
	s_mov_b32 s10, 0x7f800001
	s_xor_b64 s[4:5], exec, -1
; %bb.2407:
	s_or_b64 exec, exec, s[8:9]
	s_and_b64 s[4:5], s[4:5], exec
	s_or_saveexec_b64 s[6:7], s[6:7]
	v_mov_b32_e32 v11, s10
	s_xor_b64 exec, exec, s[6:7]
	s_cbranch_execz .LBB47_358
.LBB47_2408:
	v_mov_b32_e32 v11, 0
	v_cmp_ne_u16_sdwa s[8:9], v13, v11 src0_sel:BYTE_0 src1_sel:DWORD
	s_andn2_b64 s[4:5], s[4:5], exec
	s_and_b64 s[8:9], s[8:9], exec
	s_or_b64 s[4:5], s[4:5], s[8:9]
	s_or_b64 exec, exec, s[6:7]
	s_and_saveexec_b64 s[6:7], s[4:5]
	s_cbranch_execnz .LBB47_359
	s_branch .LBB47_360
.LBB47_2409:
	s_movk_i32 s4, 0x80
	v_cmp_eq_u16_sdwa s[12:13], v11, s4 src0_sel:BYTE_0 src1_sel:DWORD
	s_mov_b64 s[4:5], -1
                                        ; implicit-def: $sgpr10
	s_and_saveexec_b64 s[8:9], s[12:13]
; %bb.2410:
	s_mov_b32 s10, 0x7f800001
	s_xor_b64 s[4:5], exec, -1
; %bb.2411:
	s_or_b64 exec, exec, s[8:9]
	s_and_b64 s[4:5], s[4:5], exec
	s_or_saveexec_b64 s[6:7], s[6:7]
	v_mov_b32_e32 v10, s10
	s_xor_b64 exec, exec, s[6:7]
	s_cbranch_execz .LBB47_362
.LBB47_2412:
	v_mov_b32_e32 v10, 0
	v_cmp_ne_u16_sdwa s[8:9], v11, v10 src0_sel:BYTE_0 src1_sel:DWORD
	s_andn2_b64 s[4:5], s[4:5], exec
	s_and_b64 s[8:9], s[8:9], exec
	s_or_b64 s[4:5], s[4:5], s[8:9]
	s_or_b64 exec, exec, s[6:7]
	s_and_saveexec_b64 s[6:7], s[4:5]
	s_cbranch_execnz .LBB47_363
	s_branch .LBB47_364
.LBB47_2413:
	s_movk_i32 s4, 0x80
	v_cmp_eq_u16_sdwa s[12:13], v11, s4 src0_sel:BYTE_0 src1_sel:DWORD
	s_mov_b64 s[4:5], -1
                                        ; implicit-def: $sgpr10
	s_and_saveexec_b64 s[8:9], s[12:13]
; %bb.2414:
	s_mov_b32 s10, 0x7f800001
	s_xor_b64 s[4:5], exec, -1
; %bb.2415:
	s_or_b64 exec, exec, s[8:9]
	s_and_b64 s[4:5], s[4:5], exec
	s_or_saveexec_b64 s[6:7], s[6:7]
	v_mov_b32_e32 v12, s10
	s_xor_b64 exec, exec, s[6:7]
	s_cbranch_execz .LBB47_366
.LBB47_2416:
	v_mov_b32_e32 v12, 0
	v_cmp_ne_u16_sdwa s[8:9], v11, v12 src0_sel:BYTE_0 src1_sel:DWORD
	s_andn2_b64 s[4:5], s[4:5], exec
	s_and_b64 s[8:9], s[8:9], exec
	s_or_b64 s[4:5], s[4:5], s[8:9]
	s_or_b64 exec, exec, s[6:7]
	s_and_saveexec_b64 s[6:7], s[4:5]
	s_cbranch_execnz .LBB47_367
	s_branch .LBB47_368
.LBB47_2417:
	s_movk_i32 s4, 0x80
	v_cmp_eq_u16_e32 vcc, s4, v11
	s_mov_b64 s[4:5], -1
                                        ; implicit-def: $sgpr10
	s_and_saveexec_b64 s[8:9], vcc
; %bb.2418:
	s_mov_b32 s10, 0x7f800001
	s_xor_b64 s[4:5], exec, -1
; %bb.2419:
	s_or_b64 exec, exec, s[8:9]
	s_and_b64 s[4:5], s[4:5], exec
                                        ; implicit-def: $vgpr11
	s_or_saveexec_b64 s[6:7], s[6:7]
	v_mov_b32_e32 v10, s10
	s_xor_b64 exec, exec, s[6:7]
	s_cbranch_execz .LBB47_370
.LBB47_2420:
	v_cmp_ne_u16_e32 vcc, 0, v11
	s_andn2_b64 s[4:5], s[4:5], exec
	s_and_b64 s[8:9], vcc, exec
	v_mov_b32_e32 v10, 0
	s_or_b64 s[4:5], s[4:5], s[8:9]
	s_or_b64 exec, exec, s[6:7]
	s_and_saveexec_b64 s[6:7], s[4:5]
	s_cbranch_execnz .LBB47_371
	s_branch .LBB47_372
.LBB47_2421:
	s_movk_i32 s4, 0x80
	v_cmp_eq_u16_e32 vcc, s4, v11
	s_mov_b64 s[4:5], -1
                                        ; implicit-def: $sgpr10
	s_and_saveexec_b64 s[8:9], vcc
; %bb.2422:
	s_mov_b32 s10, 0x7f800001
	s_xor_b64 s[4:5], exec, -1
; %bb.2423:
	s_or_b64 exec, exec, s[8:9]
	s_and_b64 s[4:5], s[4:5], exec
                                        ; implicit-def: $vgpr11
	s_or_saveexec_b64 s[6:7], s[6:7]
	v_mov_b32_e32 v12, s10
	s_xor_b64 exec, exec, s[6:7]
	s_cbranch_execz .LBB47_374
.LBB47_2424:
	v_cmp_ne_u16_e32 vcc, 0, v11
	s_andn2_b64 s[4:5], s[4:5], exec
	s_and_b64 s[8:9], vcc, exec
	v_mov_b32_e32 v12, 0
	s_or_b64 s[4:5], s[4:5], s[8:9]
	s_or_b64 exec, exec, s[6:7]
	s_and_saveexec_b64 s[6:7], s[4:5]
	s_cbranch_execnz .LBB47_375
	s_branch .LBB47_376
.LBB47_2425:
	s_movk_i32 s4, 0x80
	v_cmp_eq_u16_sdwa s[12:13], v17, s4 src0_sel:BYTE_3 src1_sel:DWORD
	s_mov_b64 s[4:5], -1
                                        ; implicit-def: $sgpr10
	s_and_saveexec_b64 s[8:9], s[12:13]
; %bb.2426:
	s_mov_b32 s10, 0x7f800001
	s_xor_b64 s[4:5], exec, -1
; %bb.2427:
	s_or_b64 exec, exec, s[8:9]
	s_and_b64 s[4:5], s[4:5], exec
	s_or_saveexec_b64 s[6:7], s[6:7]
	v_mov_b32_e32 v10, s10
	s_xor_b64 exec, exec, s[6:7]
	s_cbranch_execz .LBB47_378
.LBB47_2428:
	v_mov_b32_e32 v10, 0
	v_cmp_ne_u16_sdwa s[8:9], v17, v10 src0_sel:BYTE_3 src1_sel:DWORD
	s_andn2_b64 s[4:5], s[4:5], exec
	s_and_b64 s[8:9], s[8:9], exec
	s_or_b64 s[4:5], s[4:5], s[8:9]
	s_or_b64 exec, exec, s[6:7]
	s_and_saveexec_b64 s[6:7], s[4:5]
	s_cbranch_execnz .LBB47_379
	s_branch .LBB47_380
.LBB47_2429:
	s_movk_i32 s4, 0x80
	v_cmp_eq_u16_sdwa s[12:13], v13, s4 src0_sel:BYTE_3 src1_sel:DWORD
	s_mov_b64 s[4:5], -1
                                        ; implicit-def: $sgpr10
	s_and_saveexec_b64 s[8:9], s[12:13]
; %bb.2430:
	s_mov_b32 s10, 0x7f800001
	s_xor_b64 s[4:5], exec, -1
; %bb.2431:
	s_or_b64 exec, exec, s[8:9]
	s_and_b64 s[4:5], s[4:5], exec
	s_or_saveexec_b64 s[6:7], s[6:7]
	v_mov_b32_e32 v11, s10
	s_xor_b64 exec, exec, s[6:7]
	s_cbranch_execz .LBB47_382
.LBB47_2432:
	v_mov_b32_e32 v11, 0
	v_cmp_ne_u16_sdwa s[8:9], v13, v11 src0_sel:BYTE_3 src1_sel:DWORD
	s_andn2_b64 s[4:5], s[4:5], exec
	s_and_b64 s[8:9], s[8:9], exec
	s_or_b64 s[4:5], s[4:5], s[8:9]
	s_or_b64 exec, exec, s[6:7]
	s_and_saveexec_b64 s[6:7], s[4:5]
	s_cbranch_execnz .LBB47_383
	s_branch .LBB47_384
.LBB47_2433:
	s_movk_i32 s4, 0x80
	v_cmp_eq_u16_sdwa s[12:13], v6, s4 src0_sel:BYTE_0 src1_sel:DWORD
	s_mov_b64 s[4:5], -1
                                        ; implicit-def: $sgpr10
	s_and_saveexec_b64 s[8:9], s[12:13]
; %bb.2434:
	s_mov_b32 s10, 0x7f800001
	s_xor_b64 s[4:5], exec, -1
; %bb.2435:
	s_or_b64 exec, exec, s[8:9]
	s_and_b64 s[4:5], s[4:5], exec
	s_or_saveexec_b64 s[6:7], s[6:7]
	v_mov_b32_e32 v10, s10
	s_xor_b64 exec, exec, s[6:7]
	s_cbranch_execz .LBB47_386
.LBB47_2436:
	v_mov_b32_e32 v10, 0
	v_cmp_ne_u16_sdwa s[8:9], v6, v10 src0_sel:BYTE_0 src1_sel:DWORD
	s_andn2_b64 s[4:5], s[4:5], exec
	s_and_b64 s[8:9], s[8:9], exec
	s_or_b64 s[4:5], s[4:5], s[8:9]
	s_or_b64 exec, exec, s[6:7]
	s_and_saveexec_b64 s[6:7], s[4:5]
	s_cbranch_execnz .LBB47_387
	s_branch .LBB47_388
.LBB47_2437:
	s_movk_i32 s4, 0x80
	v_cmp_eq_u16_sdwa s[12:13], v2, s4 src0_sel:BYTE_0 src1_sel:DWORD
	s_mov_b64 s[4:5], -1
                                        ; implicit-def: $sgpr10
	s_and_saveexec_b64 s[8:9], s[12:13]
; %bb.2438:
	s_mov_b32 s10, 0x7f800001
	s_xor_b64 s[4:5], exec, -1
; %bb.2439:
	s_or_b64 exec, exec, s[8:9]
	s_and_b64 s[4:5], s[4:5], exec
	s_or_saveexec_b64 s[6:7], s[6:7]
	v_mov_b32_e32 v11, s10
	s_xor_b64 exec, exec, s[6:7]
	s_cbranch_execz .LBB47_390
.LBB47_2440:
	v_mov_b32_e32 v11, 0
	v_cmp_ne_u16_sdwa s[8:9], v2, v11 src0_sel:BYTE_0 src1_sel:DWORD
	s_andn2_b64 s[4:5], s[4:5], exec
	s_and_b64 s[8:9], s[8:9], exec
	s_or_b64 s[4:5], s[4:5], s[8:9]
	s_or_b64 exec, exec, s[6:7]
	s_and_saveexec_b64 s[6:7], s[4:5]
	s_cbranch_execnz .LBB47_391
	s_branch .LBB47_392
.LBB47_2441:
	s_movk_i32 s4, 0x80
	v_cmp_eq_u16_sdwa s[12:13], v11, s4 src0_sel:BYTE_0 src1_sel:DWORD
	s_mov_b64 s[4:5], -1
                                        ; implicit-def: $sgpr10
	s_and_saveexec_b64 s[8:9], s[12:13]
; %bb.2442:
	s_mov_b32 s10, 0x7f800001
	s_xor_b64 s[4:5], exec, -1
; %bb.2443:
	s_or_b64 exec, exec, s[8:9]
	s_and_b64 s[4:5], s[4:5], exec
	s_or_saveexec_b64 s[6:7], s[6:7]
	v_mov_b32_e32 v10, s10
	s_xor_b64 exec, exec, s[6:7]
	s_cbranch_execz .LBB47_394
.LBB47_2444:
	v_mov_b32_e32 v10, 0
	v_cmp_ne_u16_sdwa s[8:9], v11, v10 src0_sel:BYTE_0 src1_sel:DWORD
	s_andn2_b64 s[4:5], s[4:5], exec
	s_and_b64 s[8:9], s[8:9], exec
	s_or_b64 s[4:5], s[4:5], s[8:9]
	s_or_b64 exec, exec, s[6:7]
	s_and_saveexec_b64 s[6:7], s[4:5]
	s_cbranch_execnz .LBB47_395
	s_branch .LBB47_396
.LBB47_2445:
	s_movk_i32 s4, 0x80
	v_cmp_eq_u16_sdwa s[12:13], v11, s4 src0_sel:BYTE_0 src1_sel:DWORD
	s_mov_b64 s[4:5], -1
                                        ; implicit-def: $sgpr10
	s_and_saveexec_b64 s[8:9], s[12:13]
; %bb.2446:
	s_mov_b32 s10, 0x7f800001
	s_xor_b64 s[4:5], exec, -1
; %bb.2447:
	s_or_b64 exec, exec, s[8:9]
	s_and_b64 s[4:5], s[4:5], exec
	s_or_saveexec_b64 s[6:7], s[6:7]
	v_mov_b32_e32 v12, s10
	s_xor_b64 exec, exec, s[6:7]
	s_cbranch_execz .LBB47_398
.LBB47_2448:
	v_mov_b32_e32 v12, 0
	v_cmp_ne_u16_sdwa s[8:9], v11, v12 src0_sel:BYTE_0 src1_sel:DWORD
	s_andn2_b64 s[4:5], s[4:5], exec
	s_and_b64 s[8:9], s[8:9], exec
	s_or_b64 s[4:5], s[4:5], s[8:9]
	s_or_b64 exec, exec, s[6:7]
	s_and_saveexec_b64 s[6:7], s[4:5]
	s_cbranch_execnz .LBB47_399
	s_branch .LBB47_400
.LBB47_2449:
	s_movk_i32 s4, 0x80
	v_cmp_eq_u16_e32 vcc, s4, v11
	s_mov_b64 s[4:5], -1
                                        ; implicit-def: $sgpr10
	s_and_saveexec_b64 s[8:9], vcc
; %bb.2450:
	s_mov_b32 s10, 0x7f800001
	s_xor_b64 s[4:5], exec, -1
; %bb.2451:
	s_or_b64 exec, exec, s[8:9]
	s_and_b64 s[4:5], s[4:5], exec
                                        ; implicit-def: $vgpr11
	s_or_saveexec_b64 s[6:7], s[6:7]
	v_mov_b32_e32 v10, s10
	s_xor_b64 exec, exec, s[6:7]
	s_cbranch_execz .LBB47_402
.LBB47_2452:
	v_cmp_ne_u16_e32 vcc, 0, v11
	s_andn2_b64 s[4:5], s[4:5], exec
	s_and_b64 s[8:9], vcc, exec
	v_mov_b32_e32 v10, 0
	s_or_b64 s[4:5], s[4:5], s[8:9]
	s_or_b64 exec, exec, s[6:7]
	s_and_saveexec_b64 s[6:7], s[4:5]
	s_cbranch_execnz .LBB47_403
	s_branch .LBB47_404
.LBB47_2453:
	s_movk_i32 s4, 0x80
	v_cmp_eq_u16_e32 vcc, s4, v11
	s_mov_b64 s[4:5], -1
                                        ; implicit-def: $sgpr10
	s_and_saveexec_b64 s[8:9], vcc
; %bb.2454:
	s_mov_b32 s10, 0x7f800001
	s_xor_b64 s[4:5], exec, -1
; %bb.2455:
	s_or_b64 exec, exec, s[8:9]
	s_and_b64 s[4:5], s[4:5], exec
                                        ; implicit-def: $vgpr11
	s_or_saveexec_b64 s[6:7], s[6:7]
	v_mov_b32_e32 v12, s10
	s_xor_b64 exec, exec, s[6:7]
	s_cbranch_execz .LBB47_406
.LBB47_2456:
	v_cmp_ne_u16_e32 vcc, 0, v11
	s_andn2_b64 s[4:5], s[4:5], exec
	s_and_b64 s[8:9], vcc, exec
	v_mov_b32_e32 v12, 0
	s_or_b64 s[4:5], s[4:5], s[8:9]
	s_or_b64 exec, exec, s[6:7]
	s_and_saveexec_b64 s[6:7], s[4:5]
	s_cbranch_execnz .LBB47_407
	s_branch .LBB47_408
.LBB47_2457:
	s_movk_i32 s4, 0x80
	v_cmp_eq_u16_sdwa s[12:13], v6, s4 src0_sel:BYTE_3 src1_sel:DWORD
	s_mov_b64 s[4:5], -1
                                        ; implicit-def: $sgpr10
	s_and_saveexec_b64 s[8:9], s[12:13]
; %bb.2458:
	s_mov_b32 s10, 0x7f800001
	s_xor_b64 s[4:5], exec, -1
; %bb.2459:
	s_or_b64 exec, exec, s[8:9]
	s_and_b64 s[4:5], s[4:5], exec
	s_or_saveexec_b64 s[6:7], s[6:7]
	v_mov_b32_e32 v10, s10
	s_xor_b64 exec, exec, s[6:7]
	s_cbranch_execz .LBB47_410
.LBB47_2460:
	v_mov_b32_e32 v10, 0
	v_cmp_ne_u16_sdwa s[8:9], v6, v10 src0_sel:BYTE_3 src1_sel:DWORD
	s_andn2_b64 s[4:5], s[4:5], exec
	s_and_b64 s[8:9], s[8:9], exec
	s_or_b64 s[4:5], s[4:5], s[8:9]
	s_or_b64 exec, exec, s[6:7]
	s_and_saveexec_b64 s[6:7], s[4:5]
	s_cbranch_execnz .LBB47_411
	s_branch .LBB47_412
.LBB47_2461:
	s_movk_i32 s4, 0x80
	v_cmp_eq_u16_sdwa s[12:13], v2, s4 src0_sel:BYTE_3 src1_sel:DWORD
	s_mov_b64 s[4:5], -1
                                        ; implicit-def: $sgpr10
	s_and_saveexec_b64 s[8:9], s[12:13]
; %bb.2462:
	s_mov_b32 s10, 0x7f800001
	s_xor_b64 s[4:5], exec, -1
; %bb.2463:
	s_or_b64 exec, exec, s[8:9]
	s_and_b64 s[4:5], s[4:5], exec
	s_or_saveexec_b64 s[6:7], s[6:7]
	v_mov_b32_e32 v6, s10
	s_xor_b64 exec, exec, s[6:7]
	s_cbranch_execz .LBB47_414
.LBB47_2464:
	v_mov_b32_e32 v6, 0
	v_cmp_ne_u16_sdwa s[8:9], v2, v6 src0_sel:BYTE_3 src1_sel:DWORD
	s_andn2_b64 s[4:5], s[4:5], exec
	s_and_b64 s[8:9], s[8:9], exec
	s_or_b64 s[4:5], s[4:5], s[8:9]
	s_or_b64 exec, exec, s[6:7]
	s_and_saveexec_b64 s[6:7], s[4:5]
	s_cbranch_execnz .LBB47_415
	s_branch .LBB47_416
.LBB47_2465:
	s_movk_i32 s4, 0x80
	v_cmp_eq_u16_sdwa s[12:13], v7, s4 src0_sel:BYTE_0 src1_sel:DWORD
	s_mov_b64 s[4:5], -1
                                        ; implicit-def: $sgpr10
	s_and_saveexec_b64 s[8:9], s[12:13]
; %bb.2466:
	s_mov_b32 s10, 0x7f800001
	s_xor_b64 s[4:5], exec, -1
; %bb.2467:
	s_or_b64 exec, exec, s[8:9]
	s_and_b64 s[4:5], s[4:5], exec
	s_or_saveexec_b64 s[6:7], s[6:7]
	v_mov_b32_e32 v2, s10
	s_xor_b64 exec, exec, s[6:7]
	s_cbranch_execz .LBB47_418
.LBB47_2468:
	v_mov_b32_e32 v2, 0
	v_cmp_ne_u16_sdwa s[8:9], v7, v2 src0_sel:BYTE_0 src1_sel:DWORD
	s_andn2_b64 s[4:5], s[4:5], exec
	s_and_b64 s[8:9], s[8:9], exec
	s_or_b64 s[4:5], s[4:5], s[8:9]
	s_or_b64 exec, exec, s[6:7]
	s_and_saveexec_b64 s[6:7], s[4:5]
	s_cbranch_execnz .LBB47_419
	s_branch .LBB47_420
.LBB47_2469:
	s_movk_i32 s4, 0x80
	v_cmp_eq_u16_sdwa s[12:13], v3, s4 src0_sel:BYTE_0 src1_sel:DWORD
	s_mov_b64 s[4:5], -1
                                        ; implicit-def: $sgpr10
	s_and_saveexec_b64 s[8:9], s[12:13]
; %bb.2470:
	s_mov_b32 s10, 0x7f800001
	s_xor_b64 s[4:5], exec, -1
; %bb.2471:
	s_or_b64 exec, exec, s[8:9]
	s_and_b64 s[4:5], s[4:5], exec
	s_or_saveexec_b64 s[6:7], s[6:7]
	v_mov_b32_e32 v6, s10
	s_xor_b64 exec, exec, s[6:7]
	s_cbranch_execz .LBB47_422
.LBB47_2472:
	v_mov_b32_e32 v6, 0
	v_cmp_ne_u16_sdwa s[8:9], v3, v6 src0_sel:BYTE_0 src1_sel:DWORD
	s_andn2_b64 s[4:5], s[4:5], exec
	s_and_b64 s[8:9], s[8:9], exec
	s_or_b64 s[4:5], s[4:5], s[8:9]
	s_or_b64 exec, exec, s[6:7]
	s_and_saveexec_b64 s[6:7], s[4:5]
	s_cbranch_execnz .LBB47_423
	s_branch .LBB47_424
.LBB47_2473:
	s_movk_i32 s4, 0x80
	v_cmp_eq_u16_sdwa s[12:13], v6, s4 src0_sel:BYTE_0 src1_sel:DWORD
	s_mov_b64 s[4:5], -1
                                        ; implicit-def: $sgpr10
	s_and_saveexec_b64 s[8:9], s[12:13]
; %bb.2474:
	s_mov_b32 s10, 0x7f800001
	s_xor_b64 s[4:5], exec, -1
; %bb.2475:
	s_or_b64 exec, exec, s[8:9]
	s_and_b64 s[4:5], s[4:5], exec
	s_or_saveexec_b64 s[6:7], s[6:7]
	v_mov_b32_e32 v2, s10
	s_xor_b64 exec, exec, s[6:7]
	s_cbranch_execz .LBB47_426
.LBB47_2476:
	v_mov_b32_e32 v2, 0
	v_cmp_ne_u16_sdwa s[8:9], v6, v2 src0_sel:BYTE_0 src1_sel:DWORD
	s_andn2_b64 s[4:5], s[4:5], exec
	s_and_b64 s[8:9], s[8:9], exec
	s_or_b64 s[4:5], s[4:5], s[8:9]
	s_or_b64 exec, exec, s[6:7]
	s_and_saveexec_b64 s[6:7], s[4:5]
	s_cbranch_execnz .LBB47_427
	s_branch .LBB47_428
.LBB47_2477:
	s_movk_i32 s4, 0x80
	v_cmp_eq_u16_sdwa s[12:13], v6, s4 src0_sel:BYTE_0 src1_sel:DWORD
	s_mov_b64 s[4:5], -1
                                        ; implicit-def: $sgpr10
	s_and_saveexec_b64 s[8:9], s[12:13]
; %bb.2478:
	s_mov_b32 s10, 0x7f800001
	s_xor_b64 s[4:5], exec, -1
; %bb.2479:
	s_or_b64 exec, exec, s[8:9]
	s_and_b64 s[4:5], s[4:5], exec
	s_or_saveexec_b64 s[6:7], s[6:7]
	v_mov_b32_e32 v10, s10
	s_xor_b64 exec, exec, s[6:7]
	s_cbranch_execz .LBB47_430
.LBB47_2480:
	v_mov_b32_e32 v10, 0
	v_cmp_ne_u16_sdwa s[8:9], v6, v10 src0_sel:BYTE_0 src1_sel:DWORD
	s_andn2_b64 s[4:5], s[4:5], exec
	s_and_b64 s[8:9], s[8:9], exec
	s_or_b64 s[4:5], s[4:5], s[8:9]
	s_or_b64 exec, exec, s[6:7]
	s_and_saveexec_b64 s[6:7], s[4:5]
	s_cbranch_execnz .LBB47_431
	s_branch .LBB47_432
.LBB47_2481:
	s_movk_i32 s4, 0x80
	v_cmp_eq_u16_e32 vcc, s4, v6
	s_mov_b64 s[4:5], -1
                                        ; implicit-def: $sgpr10
	s_and_saveexec_b64 s[8:9], vcc
; %bb.2482:
	s_mov_b32 s10, 0x7f800001
	s_xor_b64 s[4:5], exec, -1
; %bb.2483:
	s_or_b64 exec, exec, s[8:9]
	s_and_b64 s[4:5], s[4:5], exec
                                        ; implicit-def: $vgpr6
	s_or_saveexec_b64 s[6:7], s[6:7]
	v_mov_b32_e32 v2, s10
	s_xor_b64 exec, exec, s[6:7]
	s_cbranch_execz .LBB47_434
.LBB47_2484:
	v_cmp_ne_u16_e32 vcc, 0, v6
	s_andn2_b64 s[4:5], s[4:5], exec
	s_and_b64 s[8:9], vcc, exec
	v_mov_b32_e32 v2, 0
	s_or_b64 s[4:5], s[4:5], s[8:9]
	s_or_b64 exec, exec, s[6:7]
	s_and_saveexec_b64 s[6:7], s[4:5]
	s_cbranch_execnz .LBB47_435
	s_branch .LBB47_436
.LBB47_2485:
	s_movk_i32 s4, 0x80
	v_cmp_eq_u16_e32 vcc, s4, v6
	s_mov_b64 s[4:5], -1
                                        ; implicit-def: $sgpr10
	s_and_saveexec_b64 s[8:9], vcc
; %bb.2486:
	s_mov_b32 s10, 0x7f800001
	s_xor_b64 s[4:5], exec, -1
; %bb.2487:
	s_or_b64 exec, exec, s[8:9]
	s_and_b64 s[4:5], s[4:5], exec
                                        ; implicit-def: $vgpr6
	s_or_saveexec_b64 s[6:7], s[6:7]
	v_mov_b32_e32 v10, s10
	s_xor_b64 exec, exec, s[6:7]
	s_cbranch_execz .LBB47_438
.LBB47_2488:
	v_cmp_ne_u16_e32 vcc, 0, v6
	s_andn2_b64 s[4:5], s[4:5], exec
	s_and_b64 s[8:9], vcc, exec
	v_mov_b32_e32 v10, 0
	s_or_b64 s[4:5], s[4:5], s[8:9]
	s_or_b64 exec, exec, s[6:7]
	s_and_saveexec_b64 s[6:7], s[4:5]
	s_cbranch_execnz .LBB47_439
	s_branch .LBB47_440
.LBB47_2489:
	s_movk_i32 s4, 0x80
	v_cmp_eq_u16_sdwa s[12:13], v7, s4 src0_sel:BYTE_3 src1_sel:DWORD
	s_mov_b64 s[4:5], -1
                                        ; implicit-def: $sgpr10
	s_and_saveexec_b64 s[8:9], s[12:13]
; %bb.2490:
	s_mov_b32 s10, 0x7f800001
	s_xor_b64 s[4:5], exec, -1
; %bb.2491:
	s_or_b64 exec, exec, s[8:9]
	s_and_b64 s[4:5], s[4:5], exec
	s_or_saveexec_b64 s[6:7], s[6:7]
	v_mov_b32_e32 v2, s10
	s_xor_b64 exec, exec, s[6:7]
	s_cbranch_execz .LBB47_442
.LBB47_2492:
	v_mov_b32_e32 v2, 0
	v_cmp_ne_u16_sdwa s[8:9], v7, v2 src0_sel:BYTE_3 src1_sel:DWORD
	s_andn2_b64 s[4:5], s[4:5], exec
	s_and_b64 s[8:9], s[8:9], exec
	s_or_b64 s[4:5], s[4:5], s[8:9]
	s_or_b64 exec, exec, s[6:7]
	s_and_saveexec_b64 s[6:7], s[4:5]
	s_cbranch_execnz .LBB47_443
	s_branch .LBB47_444
.LBB47_2493:
	s_movk_i32 s4, 0x80
	v_cmp_eq_u16_sdwa s[12:13], v3, s4 src0_sel:BYTE_3 src1_sel:DWORD
	s_mov_b64 s[4:5], -1
                                        ; implicit-def: $sgpr10
	s_and_saveexec_b64 s[8:9], s[12:13]
; %bb.2494:
	s_mov_b32 s10, 0x7f800001
	s_xor_b64 s[4:5], exec, -1
; %bb.2495:
	s_or_b64 exec, exec, s[8:9]
	s_and_b64 s[4:5], s[4:5], exec
	s_or_saveexec_b64 s[6:7], s[6:7]
	v_mov_b32_e32 v6, s10
	s_xor_b64 exec, exec, s[6:7]
	s_cbranch_execz .LBB47_446
.LBB47_2496:
	v_mov_b32_e32 v6, 0
	v_cmp_ne_u16_sdwa s[8:9], v3, v6 src0_sel:BYTE_3 src1_sel:DWORD
	s_andn2_b64 s[4:5], s[4:5], exec
	s_and_b64 s[8:9], s[8:9], exec
	s_or_b64 s[4:5], s[4:5], s[8:9]
	s_or_b64 exec, exec, s[6:7]
	s_and_saveexec_b64 s[6:7], s[4:5]
	s_cbranch_execnz .LBB47_447
	s_branch .LBB47_448
.LBB47_2497:
	s_movk_i32 s4, 0x80
	v_cmp_eq_u16_sdwa s[12:13], v8, s4 src0_sel:BYTE_0 src1_sel:DWORD
	s_mov_b64 s[4:5], -1
                                        ; implicit-def: $sgpr10
	s_and_saveexec_b64 s[8:9], s[12:13]
; %bb.2498:
	s_mov_b32 s10, 0x7f800001
	s_xor_b64 s[4:5], exec, -1
; %bb.2499:
	s_or_b64 exec, exec, s[8:9]
	s_and_b64 s[4:5], s[4:5], exec
	s_or_saveexec_b64 s[6:7], s[6:7]
	v_mov_b32_e32 v2, s10
	s_xor_b64 exec, exec, s[6:7]
	s_cbranch_execz .LBB47_450
.LBB47_2500:
	v_mov_b32_e32 v2, 0
	v_cmp_ne_u16_sdwa s[8:9], v8, v2 src0_sel:BYTE_0 src1_sel:DWORD
	s_andn2_b64 s[4:5], s[4:5], exec
	s_and_b64 s[8:9], s[8:9], exec
	s_or_b64 s[4:5], s[4:5], s[8:9]
	s_or_b64 exec, exec, s[6:7]
	s_and_saveexec_b64 s[6:7], s[4:5]
	s_cbranch_execnz .LBB47_451
	s_branch .LBB47_452
.LBB47_2501:
	s_movk_i32 s4, 0x80
	v_cmp_eq_u16_sdwa s[12:13], v4, s4 src0_sel:BYTE_0 src1_sel:DWORD
	s_mov_b64 s[4:5], -1
                                        ; implicit-def: $sgpr10
	s_and_saveexec_b64 s[8:9], s[12:13]
; %bb.2502:
	s_mov_b32 s10, 0x7f800001
	s_xor_b64 s[4:5], exec, -1
; %bb.2503:
	s_or_b64 exec, exec, s[8:9]
	s_and_b64 s[4:5], s[4:5], exec
	s_or_saveexec_b64 s[6:7], s[6:7]
	v_mov_b32_e32 v3, s10
	s_xor_b64 exec, exec, s[6:7]
	s_cbranch_execz .LBB47_454
.LBB47_2504:
	v_mov_b32_e32 v3, 0
	v_cmp_ne_u16_sdwa s[8:9], v4, v3 src0_sel:BYTE_0 src1_sel:DWORD
	s_andn2_b64 s[4:5], s[4:5], exec
	s_and_b64 s[8:9], s[8:9], exec
	s_or_b64 s[4:5], s[4:5], s[8:9]
	s_or_b64 exec, exec, s[6:7]
	s_and_saveexec_b64 s[6:7], s[4:5]
	s_cbranch_execnz .LBB47_455
	s_branch .LBB47_456
.LBB47_2505:
	s_movk_i32 s4, 0x80
	v_cmp_eq_u16_sdwa s[12:13], v3, s4 src0_sel:BYTE_0 src1_sel:DWORD
	s_mov_b64 s[4:5], -1
                                        ; implicit-def: $sgpr10
	s_and_saveexec_b64 s[8:9], s[12:13]
; %bb.2506:
	s_mov_b32 s10, 0x7f800001
	s_xor_b64 s[4:5], exec, -1
; %bb.2507:
	s_or_b64 exec, exec, s[8:9]
	s_and_b64 s[4:5], s[4:5], exec
	s_or_saveexec_b64 s[6:7], s[6:7]
	v_mov_b32_e32 v2, s10
	s_xor_b64 exec, exec, s[6:7]
	s_cbranch_execz .LBB47_458
.LBB47_2508:
	v_mov_b32_e32 v2, 0
	v_cmp_ne_u16_sdwa s[8:9], v3, v2 src0_sel:BYTE_0 src1_sel:DWORD
	s_andn2_b64 s[4:5], s[4:5], exec
	s_and_b64 s[8:9], s[8:9], exec
	s_or_b64 s[4:5], s[4:5], s[8:9]
	s_or_b64 exec, exec, s[6:7]
	s_and_saveexec_b64 s[6:7], s[4:5]
	s_cbranch_execnz .LBB47_459
	s_branch .LBB47_460
.LBB47_2509:
	s_movk_i32 s4, 0x80
	v_cmp_eq_u16_sdwa s[12:13], v3, s4 src0_sel:BYTE_0 src1_sel:DWORD
	s_mov_b64 s[4:5], -1
                                        ; implicit-def: $sgpr10
	s_and_saveexec_b64 s[8:9], s[12:13]
; %bb.2510:
	s_mov_b32 s10, 0x7f800001
	s_xor_b64 s[4:5], exec, -1
; %bb.2511:
	s_or_b64 exec, exec, s[8:9]
	s_and_b64 s[4:5], s[4:5], exec
	s_or_saveexec_b64 s[6:7], s[6:7]
	v_mov_b32_e32 v6, s10
	s_xor_b64 exec, exec, s[6:7]
	s_cbranch_execz .LBB47_462
.LBB47_2512:
	v_mov_b32_e32 v6, 0
	v_cmp_ne_u16_sdwa s[8:9], v3, v6 src0_sel:BYTE_0 src1_sel:DWORD
	s_andn2_b64 s[4:5], s[4:5], exec
	s_and_b64 s[8:9], s[8:9], exec
	s_or_b64 s[4:5], s[4:5], s[8:9]
	s_or_b64 exec, exec, s[6:7]
	s_and_saveexec_b64 s[6:7], s[4:5]
	s_cbranch_execnz .LBB47_463
	s_branch .LBB47_464
.LBB47_2513:
	s_movk_i32 s4, 0x80
	v_cmp_eq_u16_e32 vcc, s4, v3
	s_mov_b64 s[4:5], -1
                                        ; implicit-def: $sgpr10
	s_and_saveexec_b64 s[8:9], vcc
; %bb.2514:
	s_mov_b32 s10, 0x7f800001
	s_xor_b64 s[4:5], exec, -1
; %bb.2515:
	s_or_b64 exec, exec, s[8:9]
	s_and_b64 s[4:5], s[4:5], exec
                                        ; implicit-def: $vgpr3
	s_or_saveexec_b64 s[6:7], s[6:7]
	v_mov_b32_e32 v2, s10
	s_xor_b64 exec, exec, s[6:7]
	s_cbranch_execz .LBB47_466
.LBB47_2516:
	v_cmp_ne_u16_e32 vcc, 0, v3
	s_andn2_b64 s[4:5], s[4:5], exec
	s_and_b64 s[8:9], vcc, exec
	v_mov_b32_e32 v2, 0
	s_or_b64 s[4:5], s[4:5], s[8:9]
	s_or_b64 exec, exec, s[6:7]
	s_and_saveexec_b64 s[6:7], s[4:5]
	s_cbranch_execnz .LBB47_467
	s_branch .LBB47_468
.LBB47_2517:
	s_movk_i32 s4, 0x80
	v_cmp_eq_u16_e32 vcc, s4, v3
	s_mov_b64 s[4:5], -1
                                        ; implicit-def: $sgpr10
	s_and_saveexec_b64 s[8:9], vcc
; %bb.2518:
	s_mov_b32 s10, 0x7f800001
	s_xor_b64 s[4:5], exec, -1
; %bb.2519:
	s_or_b64 exec, exec, s[8:9]
	s_and_b64 s[4:5], s[4:5], exec
                                        ; implicit-def: $vgpr3
	s_or_saveexec_b64 s[6:7], s[6:7]
	v_mov_b32_e32 v6, s10
	s_xor_b64 exec, exec, s[6:7]
	s_cbranch_execz .LBB47_470
.LBB47_2520:
	v_cmp_ne_u16_e32 vcc, 0, v3
	s_andn2_b64 s[4:5], s[4:5], exec
	s_and_b64 s[8:9], vcc, exec
	v_mov_b32_e32 v6, 0
	s_or_b64 s[4:5], s[4:5], s[8:9]
	s_or_b64 exec, exec, s[6:7]
	s_and_saveexec_b64 s[6:7], s[4:5]
	s_cbranch_execnz .LBB47_471
	s_branch .LBB47_472
.LBB47_2521:
	s_movk_i32 s4, 0x80
	v_cmp_eq_u16_sdwa s[12:13], v8, s4 src0_sel:BYTE_3 src1_sel:DWORD
	s_mov_b64 s[4:5], -1
                                        ; implicit-def: $sgpr10
	s_and_saveexec_b64 s[8:9], s[12:13]
; %bb.2522:
	s_mov_b32 s10, 0x7f800001
	s_xor_b64 s[4:5], exec, -1
; %bb.2523:
	s_or_b64 exec, exec, s[8:9]
	s_and_b64 s[4:5], s[4:5], exec
	s_or_saveexec_b64 s[6:7], s[6:7]
	v_mov_b32_e32 v2, s10
	s_xor_b64 exec, exec, s[6:7]
	s_cbranch_execz .LBB47_474
.LBB47_2524:
	v_mov_b32_e32 v2, 0
	v_cmp_ne_u16_sdwa s[8:9], v8, v2 src0_sel:BYTE_3 src1_sel:DWORD
	s_andn2_b64 s[4:5], s[4:5], exec
	s_and_b64 s[8:9], s[8:9], exec
	s_or_b64 s[4:5], s[4:5], s[8:9]
	s_or_b64 exec, exec, s[6:7]
	s_and_saveexec_b64 s[6:7], s[4:5]
	s_cbranch_execnz .LBB47_475
	s_branch .LBB47_476
.LBB47_2525:
	s_movk_i32 s4, 0x80
	v_cmp_eq_u16_sdwa s[12:13], v4, s4 src0_sel:BYTE_3 src1_sel:DWORD
	s_mov_b64 s[4:5], -1
                                        ; implicit-def: $sgpr10
	s_and_saveexec_b64 s[8:9], s[12:13]
; %bb.2526:
	s_mov_b32 s10, 0x7f800001
	s_xor_b64 s[4:5], exec, -1
; %bb.2527:
	s_or_b64 exec, exec, s[8:9]
	s_and_b64 s[4:5], s[4:5], exec
	s_or_saveexec_b64 s[6:7], s[6:7]
	v_mov_b32_e32 v3, s10
	s_xor_b64 exec, exec, s[6:7]
	s_cbranch_execz .LBB47_478
.LBB47_2528:
	v_mov_b32_e32 v3, 0
	v_cmp_ne_u16_sdwa s[8:9], v4, v3 src0_sel:BYTE_3 src1_sel:DWORD
	s_andn2_b64 s[4:5], s[4:5], exec
	s_and_b64 s[8:9], s[8:9], exec
	s_or_b64 s[4:5], s[4:5], s[8:9]
	s_or_b64 exec, exec, s[6:7]
	s_and_saveexec_b64 s[6:7], s[4:5]
	s_cbranch_execnz .LBB47_479
	s_branch .LBB47_480
.LBB47_2529:
	s_movk_i32 s4, 0x80
	v_cmp_eq_u16_sdwa s[12:13], v9, s4 src0_sel:BYTE_0 src1_sel:DWORD
	s_mov_b64 s[4:5], -1
                                        ; implicit-def: $sgpr10
	s_and_saveexec_b64 s[8:9], s[12:13]
; %bb.2530:
	s_mov_b32 s10, 0x7f800001
	s_xor_b64 s[4:5], exec, -1
; %bb.2531:
	s_or_b64 exec, exec, s[8:9]
	s_and_b64 s[4:5], s[4:5], exec
	s_or_saveexec_b64 s[6:7], s[6:7]
	v_mov_b32_e32 v2, s10
	s_xor_b64 exec, exec, s[6:7]
	s_cbranch_execz .LBB47_482
.LBB47_2532:
	v_mov_b32_e32 v2, 0
	v_cmp_ne_u16_sdwa s[8:9], v9, v2 src0_sel:BYTE_0 src1_sel:DWORD
	s_andn2_b64 s[4:5], s[4:5], exec
	s_and_b64 s[8:9], s[8:9], exec
	s_or_b64 s[4:5], s[4:5], s[8:9]
	s_or_b64 exec, exec, s[6:7]
	s_and_saveexec_b64 s[6:7], s[4:5]
	s_cbranch_execnz .LBB47_483
	s_branch .LBB47_484
.LBB47_2533:
	s_movk_i32 s4, 0x80
	v_cmp_eq_u16_sdwa s[12:13], v5, s4 src0_sel:BYTE_0 src1_sel:DWORD
	s_mov_b64 s[4:5], -1
                                        ; implicit-def: $sgpr10
	s_and_saveexec_b64 s[8:9], s[12:13]
; %bb.2534:
	s_mov_b32 s10, 0x7f800001
	s_xor_b64 s[4:5], exec, -1
; %bb.2535:
	s_or_b64 exec, exec, s[8:9]
	s_and_b64 s[4:5], s[4:5], exec
	s_or_saveexec_b64 s[6:7], s[6:7]
	v_mov_b32_e32 v3, s10
	s_xor_b64 exec, exec, s[6:7]
	s_cbranch_execz .LBB47_486
.LBB47_2536:
	v_mov_b32_e32 v3, 0
	v_cmp_ne_u16_sdwa s[8:9], v5, v3 src0_sel:BYTE_0 src1_sel:DWORD
	s_andn2_b64 s[4:5], s[4:5], exec
	s_and_b64 s[8:9], s[8:9], exec
	s_or_b64 s[4:5], s[4:5], s[8:9]
	s_or_b64 exec, exec, s[6:7]
	s_and_saveexec_b64 s[6:7], s[4:5]
	s_cbranch_execnz .LBB47_487
	s_branch .LBB47_488
.LBB47_2537:
	s_movk_i32 s4, 0x80
	v_cmp_eq_u16_sdwa s[12:13], v3, s4 src0_sel:BYTE_0 src1_sel:DWORD
	s_mov_b64 s[4:5], -1
                                        ; implicit-def: $sgpr10
	s_and_saveexec_b64 s[8:9], s[12:13]
; %bb.2538:
	s_mov_b32 s10, 0x7f800001
	s_xor_b64 s[4:5], exec, -1
; %bb.2539:
	s_or_b64 exec, exec, s[8:9]
	s_and_b64 s[4:5], s[4:5], exec
	s_or_saveexec_b64 s[6:7], s[6:7]
	v_mov_b32_e32 v2, s10
	s_xor_b64 exec, exec, s[6:7]
	s_cbranch_execz .LBB47_490
.LBB47_2540:
	v_mov_b32_e32 v2, 0
	v_cmp_ne_u16_sdwa s[8:9], v3, v2 src0_sel:BYTE_0 src1_sel:DWORD
	s_andn2_b64 s[4:5], s[4:5], exec
	s_and_b64 s[8:9], s[8:9], exec
	s_or_b64 s[4:5], s[4:5], s[8:9]
	s_or_b64 exec, exec, s[6:7]
	s_and_saveexec_b64 s[6:7], s[4:5]
	s_cbranch_execnz .LBB47_491
	s_branch .LBB47_492
.LBB47_2541:
	s_movk_i32 s4, 0x80
	v_cmp_eq_u16_sdwa s[12:13], v3, s4 src0_sel:BYTE_0 src1_sel:DWORD
	s_mov_b64 s[4:5], -1
                                        ; implicit-def: $sgpr10
	s_and_saveexec_b64 s[8:9], s[12:13]
; %bb.2542:
	s_mov_b32 s10, 0x7f800001
	s_xor_b64 s[4:5], exec, -1
; %bb.2543:
	s_or_b64 exec, exec, s[8:9]
	s_and_b64 s[4:5], s[4:5], exec
	s_or_saveexec_b64 s[6:7], s[6:7]
	v_mov_b32_e32 v4, s10
	s_xor_b64 exec, exec, s[6:7]
	s_cbranch_execz .LBB47_494
.LBB47_2544:
	v_mov_b32_e32 v4, 0
	v_cmp_ne_u16_sdwa s[8:9], v3, v4 src0_sel:BYTE_0 src1_sel:DWORD
	s_andn2_b64 s[4:5], s[4:5], exec
	s_and_b64 s[8:9], s[8:9], exec
	s_or_b64 s[4:5], s[4:5], s[8:9]
	s_or_b64 exec, exec, s[6:7]
	s_and_saveexec_b64 s[6:7], s[4:5]
	s_cbranch_execnz .LBB47_495
	s_branch .LBB47_496
.LBB47_2545:
	s_movk_i32 s4, 0x80
	v_cmp_eq_u16_e32 vcc, s4, v3
	s_mov_b64 s[4:5], -1
                                        ; implicit-def: $sgpr10
	s_and_saveexec_b64 s[8:9], vcc
; %bb.2546:
	s_mov_b32 s10, 0x7f800001
	s_xor_b64 s[4:5], exec, -1
; %bb.2547:
	s_or_b64 exec, exec, s[8:9]
	s_and_b64 s[4:5], s[4:5], exec
                                        ; implicit-def: $vgpr3
	s_or_saveexec_b64 s[6:7], s[6:7]
	v_mov_b32_e32 v2, s10
	s_xor_b64 exec, exec, s[6:7]
	s_cbranch_execz .LBB47_498
.LBB47_2548:
	v_cmp_ne_u16_e32 vcc, 0, v3
	s_andn2_b64 s[4:5], s[4:5], exec
	s_and_b64 s[8:9], vcc, exec
	v_mov_b32_e32 v2, 0
	s_or_b64 s[4:5], s[4:5], s[8:9]
	s_or_b64 exec, exec, s[6:7]
	s_and_saveexec_b64 s[6:7], s[4:5]
	s_cbranch_execnz .LBB47_499
	s_branch .LBB47_500
.LBB47_2549:
	s_movk_i32 s4, 0x80
	v_cmp_eq_u16_e32 vcc, s4, v3
	s_mov_b64 s[4:5], -1
                                        ; implicit-def: $sgpr10
	s_and_saveexec_b64 s[8:9], vcc
; %bb.2550:
	s_mov_b32 s10, 0x7f800001
	s_xor_b64 s[4:5], exec, -1
; %bb.2551:
	s_or_b64 exec, exec, s[8:9]
	s_and_b64 s[4:5], s[4:5], exec
                                        ; implicit-def: $vgpr3
	s_or_saveexec_b64 s[6:7], s[6:7]
	v_mov_b32_e32 v4, s10
	s_xor_b64 exec, exec, s[6:7]
	s_cbranch_execz .LBB47_502
.LBB47_2552:
	v_cmp_ne_u16_e32 vcc, 0, v3
	s_andn2_b64 s[4:5], s[4:5], exec
	s_and_b64 s[8:9], vcc, exec
	v_mov_b32_e32 v4, 0
	s_or_b64 s[4:5], s[4:5], s[8:9]
	s_or_b64 exec, exec, s[6:7]
	s_and_saveexec_b64 s[6:7], s[4:5]
	s_cbranch_execnz .LBB47_503
	s_branch .LBB47_504
.LBB47_2553:
	s_movk_i32 s4, 0x80
	v_cmp_eq_u16_sdwa s[12:13], v9, s4 src0_sel:BYTE_3 src1_sel:DWORD
	s_mov_b64 s[4:5], -1
                                        ; implicit-def: $sgpr10
	s_and_saveexec_b64 s[8:9], s[12:13]
; %bb.2554:
	s_mov_b32 s10, 0x7f800001
	s_xor_b64 s[4:5], exec, -1
; %bb.2555:
	s_or_b64 exec, exec, s[8:9]
	s_and_b64 s[4:5], s[4:5], exec
	s_or_saveexec_b64 s[6:7], s[6:7]
	v_mov_b32_e32 v2, s10
	s_xor_b64 exec, exec, s[6:7]
	s_cbranch_execz .LBB47_506
.LBB47_2556:
	v_mov_b32_e32 v2, 0
	v_cmp_ne_u16_sdwa s[8:9], v9, v2 src0_sel:BYTE_3 src1_sel:DWORD
	s_andn2_b64 s[4:5], s[4:5], exec
	s_and_b64 s[8:9], s[8:9], exec
	s_or_b64 s[4:5], s[4:5], s[8:9]
	s_or_b64 exec, exec, s[6:7]
	s_and_saveexec_b64 s[6:7], s[4:5]
	s_cbranch_execnz .LBB47_507
	s_branch .LBB47_508
.LBB47_2557:
	s_movk_i32 s4, 0x80
	v_cmp_eq_u16_sdwa s[12:13], v5, s4 src0_sel:BYTE_3 src1_sel:DWORD
	s_mov_b64 s[4:5], -1
                                        ; implicit-def: $sgpr10
	s_and_saveexec_b64 s[8:9], s[12:13]
; %bb.2558:
	s_mov_b32 s10, 0x7f800001
	s_xor_b64 s[4:5], exec, -1
; %bb.2559:
	s_or_b64 exec, exec, s[8:9]
	s_and_b64 s[4:5], s[4:5], exec
	s_or_saveexec_b64 s[6:7], s[6:7]
	v_mov_b32_e32 v3, s10
	s_xor_b64 exec, exec, s[6:7]
	s_cbranch_execz .LBB47_510
.LBB47_2560:
	v_mov_b32_e32 v3, 0
	v_cmp_ne_u16_sdwa s[8:9], v5, v3 src0_sel:BYTE_3 src1_sel:DWORD
	s_andn2_b64 s[4:5], s[4:5], exec
	s_and_b64 s[8:9], s[8:9], exec
	s_or_b64 s[4:5], s[4:5], s[8:9]
	s_or_b64 exec, exec, s[6:7]
	s_and_saveexec_b64 s[6:7], s[4:5]
	s_cbranch_execnz .LBB47_511
	s_branch .LBB47_512
.LBB47_2561:
	s_movk_i32 s4, 0x80
	v_cmp_eq_u16_sdwa s[12:13], v14, s4 src0_sel:BYTE_0 src1_sel:DWORD
	s_mov_b64 s[4:5], -1
                                        ; implicit-def: $sgpr10
	s_and_saveexec_b64 s[8:9], s[12:13]
; %bb.2562:
	s_mov_b32 s10, 0x7f800001
	s_xor_b64 s[4:5], exec, -1
; %bb.2563:
	s_or_b64 exec, exec, s[8:9]
	s_and_b64 s[4:5], s[4:5], exec
	s_or_saveexec_b64 s[6:7], s[6:7]
	v_mov_b32_e32 v20, s10
	s_xor_b64 exec, exec, s[6:7]
	s_cbranch_execz .LBB47_514
.LBB47_2564:
	v_mov_b32_e32 v20, 0
	v_cmp_ne_u16_sdwa s[8:9], v14, v20 src0_sel:BYTE_0 src1_sel:DWORD
	s_andn2_b64 s[4:5], s[4:5], exec
	s_and_b64 s[8:9], s[8:9], exec
	s_or_b64 s[4:5], s[4:5], s[8:9]
	s_or_b64 exec, exec, s[6:7]
	s_and_saveexec_b64 s[6:7], s[4:5]
	s_cbranch_execnz .LBB47_515
	s_branch .LBB47_516
.LBB47_2565:
	s_movk_i32 s4, 0x80
	v_cmp_eq_u16_sdwa s[12:13], v10, s4 src0_sel:BYTE_0 src1_sel:DWORD
	s_mov_b64 s[4:5], -1
                                        ; implicit-def: $sgpr10
	s_and_saveexec_b64 s[8:9], s[12:13]
; %bb.2566:
	s_mov_b32 s10, 0x7f800001
	s_xor_b64 s[4:5], exec, -1
; %bb.2567:
	s_or_b64 exec, exec, s[8:9]
	s_and_b64 s[4:5], s[4:5], exec
	s_or_saveexec_b64 s[6:7], s[6:7]
	v_mov_b32_e32 v21, s10
	s_xor_b64 exec, exec, s[6:7]
	s_cbranch_execz .LBB47_518
.LBB47_2568:
	v_mov_b32_e32 v21, 0
	v_cmp_ne_u16_sdwa s[8:9], v10, v21 src0_sel:BYTE_0 src1_sel:DWORD
	s_andn2_b64 s[4:5], s[4:5], exec
	s_and_b64 s[8:9], s[8:9], exec
	s_or_b64 s[4:5], s[4:5], s[8:9]
	s_or_b64 exec, exec, s[6:7]
	s_and_saveexec_b64 s[6:7], s[4:5]
	s_cbranch_execnz .LBB47_519
	s_branch .LBB47_520
.LBB47_2569:
	s_movk_i32 s4, 0x80
	v_cmp_eq_u16_sdwa s[12:13], v21, s4 src0_sel:BYTE_0 src1_sel:DWORD
	s_mov_b64 s[4:5], -1
                                        ; implicit-def: $sgpr10
	s_and_saveexec_b64 s[8:9], s[12:13]
; %bb.2570:
	s_mov_b32 s10, 0x7f800001
	s_xor_b64 s[4:5], exec, -1
; %bb.2571:
	s_or_b64 exec, exec, s[8:9]
	s_and_b64 s[4:5], s[4:5], exec
	s_or_saveexec_b64 s[6:7], s[6:7]
	v_mov_b32_e32 v20, s10
	s_xor_b64 exec, exec, s[6:7]
	s_cbranch_execz .LBB47_522
.LBB47_2572:
	v_mov_b32_e32 v20, 0
	v_cmp_ne_u16_sdwa s[8:9], v21, v20 src0_sel:BYTE_0 src1_sel:DWORD
	s_andn2_b64 s[4:5], s[4:5], exec
	s_and_b64 s[8:9], s[8:9], exec
	s_or_b64 s[4:5], s[4:5], s[8:9]
	s_or_b64 exec, exec, s[6:7]
	s_and_saveexec_b64 s[6:7], s[4:5]
	s_cbranch_execnz .LBB47_523
	s_branch .LBB47_524
.LBB47_2573:
	s_movk_i32 s4, 0x80
	v_cmp_eq_u16_sdwa s[12:13], v21, s4 src0_sel:BYTE_0 src1_sel:DWORD
	s_mov_b64 s[4:5], -1
                                        ; implicit-def: $sgpr10
	s_and_saveexec_b64 s[8:9], s[12:13]
; %bb.2574:
	s_mov_b32 s10, 0x7f800001
	s_xor_b64 s[4:5], exec, -1
; %bb.2575:
	s_or_b64 exec, exec, s[8:9]
	s_and_b64 s[4:5], s[4:5], exec
	s_or_saveexec_b64 s[6:7], s[6:7]
	v_mov_b32_e32 v22, s10
	s_xor_b64 exec, exec, s[6:7]
	s_cbranch_execz .LBB47_526
.LBB47_2576:
	v_mov_b32_e32 v22, 0
	v_cmp_ne_u16_sdwa s[8:9], v21, v22 src0_sel:BYTE_0 src1_sel:DWORD
	s_andn2_b64 s[4:5], s[4:5], exec
	s_and_b64 s[8:9], s[8:9], exec
	s_or_b64 s[4:5], s[4:5], s[8:9]
	s_or_b64 exec, exec, s[6:7]
	s_and_saveexec_b64 s[6:7], s[4:5]
	s_cbranch_execnz .LBB47_527
	s_branch .LBB47_528
.LBB47_2577:
	s_movk_i32 s4, 0x80
	v_cmp_eq_u16_e32 vcc, s4, v21
	s_mov_b64 s[4:5], -1
                                        ; implicit-def: $sgpr10
	s_and_saveexec_b64 s[8:9], vcc
; %bb.2578:
	s_mov_b32 s10, 0x7f800001
	s_xor_b64 s[4:5], exec, -1
; %bb.2579:
	s_or_b64 exec, exec, s[8:9]
	s_and_b64 s[4:5], s[4:5], exec
                                        ; implicit-def: $vgpr21
	s_or_saveexec_b64 s[6:7], s[6:7]
	v_mov_b32_e32 v20, s10
	s_xor_b64 exec, exec, s[6:7]
	s_cbranch_execz .LBB47_530
.LBB47_2580:
	v_cmp_ne_u16_e32 vcc, 0, v21
	s_andn2_b64 s[4:5], s[4:5], exec
	s_and_b64 s[8:9], vcc, exec
	v_mov_b32_e32 v20, 0
	s_or_b64 s[4:5], s[4:5], s[8:9]
	s_or_b64 exec, exec, s[6:7]
	s_and_saveexec_b64 s[6:7], s[4:5]
	s_cbranch_execnz .LBB47_531
	s_branch .LBB47_532
.LBB47_2581:
	s_movk_i32 s4, 0x80
	v_cmp_eq_u16_e32 vcc, s4, v21
	s_mov_b64 s[4:5], -1
                                        ; implicit-def: $sgpr10
	s_and_saveexec_b64 s[8:9], vcc
; %bb.2582:
	s_mov_b32 s10, 0x7f800001
	s_xor_b64 s[4:5], exec, -1
; %bb.2583:
	s_or_b64 exec, exec, s[8:9]
	s_and_b64 s[4:5], s[4:5], exec
                                        ; implicit-def: $vgpr21
	s_or_saveexec_b64 s[6:7], s[6:7]
	v_mov_b32_e32 v22, s10
	s_xor_b64 exec, exec, s[6:7]
	s_cbranch_execz .LBB47_534
.LBB47_2584:
	v_cmp_ne_u16_e32 vcc, 0, v21
	s_andn2_b64 s[4:5], s[4:5], exec
	s_and_b64 s[8:9], vcc, exec
	v_mov_b32_e32 v22, 0
	s_or_b64 s[4:5], s[4:5], s[8:9]
	s_or_b64 exec, exec, s[6:7]
	s_and_saveexec_b64 s[6:7], s[4:5]
	s_cbranch_execnz .LBB47_535
	s_branch .LBB47_536
.LBB47_2585:
	s_movk_i32 s4, 0x80
	v_cmp_eq_u16_sdwa s[12:13], v14, s4 src0_sel:BYTE_3 src1_sel:DWORD
	s_mov_b64 s[4:5], -1
                                        ; implicit-def: $sgpr10
	s_and_saveexec_b64 s[8:9], s[12:13]
; %bb.2586:
	s_mov_b32 s10, 0x7f800001
	s_xor_b64 s[4:5], exec, -1
; %bb.2587:
	s_or_b64 exec, exec, s[8:9]
	s_and_b64 s[4:5], s[4:5], exec
	s_or_saveexec_b64 s[6:7], s[6:7]
	v_mov_b32_e32 v20, s10
	s_xor_b64 exec, exec, s[6:7]
	s_cbranch_execz .LBB47_538
.LBB47_2588:
	v_mov_b32_e32 v20, 0
	v_cmp_ne_u16_sdwa s[8:9], v14, v20 src0_sel:BYTE_3 src1_sel:DWORD
	s_andn2_b64 s[4:5], s[4:5], exec
	s_and_b64 s[8:9], s[8:9], exec
	s_or_b64 s[4:5], s[4:5], s[8:9]
	s_or_b64 exec, exec, s[6:7]
	s_and_saveexec_b64 s[6:7], s[4:5]
	s_cbranch_execnz .LBB47_539
	s_branch .LBB47_540
.LBB47_2589:
	s_movk_i32 s4, 0x80
	v_cmp_eq_u16_sdwa s[12:13], v10, s4 src0_sel:BYTE_3 src1_sel:DWORD
	s_mov_b64 s[4:5], -1
                                        ; implicit-def: $sgpr10
	s_and_saveexec_b64 s[8:9], s[12:13]
; %bb.2590:
	s_mov_b32 s10, 0x7f800001
	s_xor_b64 s[4:5], exec, -1
; %bb.2591:
	s_or_b64 exec, exec, s[8:9]
	s_and_b64 s[4:5], s[4:5], exec
	s_or_saveexec_b64 s[6:7], s[6:7]
	v_mov_b32_e32 v14, s10
	s_xor_b64 exec, exec, s[6:7]
	s_cbranch_execz .LBB47_542
.LBB47_2592:
	v_mov_b32_e32 v14, 0
	v_cmp_ne_u16_sdwa s[8:9], v10, v14 src0_sel:BYTE_3 src1_sel:DWORD
	s_andn2_b64 s[4:5], s[4:5], exec
	s_and_b64 s[8:9], s[8:9], exec
	s_or_b64 s[4:5], s[4:5], s[8:9]
	s_or_b64 exec, exec, s[6:7]
	s_and_saveexec_b64 s[6:7], s[4:5]
	s_cbranch_execnz .LBB47_543
	s_branch .LBB47_544
.LBB47_2593:
	s_movk_i32 s4, 0x80
	v_cmp_eq_u16_sdwa s[12:13], v15, s4 src0_sel:BYTE_0 src1_sel:DWORD
	s_mov_b64 s[4:5], -1
                                        ; implicit-def: $sgpr10
	s_and_saveexec_b64 s[8:9], s[12:13]
; %bb.2594:
	s_mov_b32 s10, 0x7f800001
	s_xor_b64 s[4:5], exec, -1
; %bb.2595:
	s_or_b64 exec, exec, s[8:9]
	s_and_b64 s[4:5], s[4:5], exec
	s_or_saveexec_b64 s[6:7], s[6:7]
	v_mov_b32_e32 v10, s10
	s_xor_b64 exec, exec, s[6:7]
	s_cbranch_execz .LBB47_546
.LBB47_2596:
	v_mov_b32_e32 v10, 0
	v_cmp_ne_u16_sdwa s[8:9], v15, v10 src0_sel:BYTE_0 src1_sel:DWORD
	s_andn2_b64 s[4:5], s[4:5], exec
	s_and_b64 s[8:9], s[8:9], exec
	s_or_b64 s[4:5], s[4:5], s[8:9]
	s_or_b64 exec, exec, s[6:7]
	s_and_saveexec_b64 s[6:7], s[4:5]
	s_cbranch_execnz .LBB47_547
	s_branch .LBB47_548
.LBB47_2597:
	s_movk_i32 s4, 0x80
	v_cmp_eq_u16_sdwa s[12:13], v11, s4 src0_sel:BYTE_0 src1_sel:DWORD
	s_mov_b64 s[4:5], -1
                                        ; implicit-def: $sgpr10
	s_and_saveexec_b64 s[8:9], s[12:13]
; %bb.2598:
	s_mov_b32 s10, 0x7f800001
	s_xor_b64 s[4:5], exec, -1
; %bb.2599:
	s_or_b64 exec, exec, s[8:9]
	s_and_b64 s[4:5], s[4:5], exec
	s_or_saveexec_b64 s[6:7], s[6:7]
	v_mov_b32_e32 v14, s10
	s_xor_b64 exec, exec, s[6:7]
	s_cbranch_execz .LBB47_550
.LBB47_2600:
	v_mov_b32_e32 v14, 0
	v_cmp_ne_u16_sdwa s[8:9], v11, v14 src0_sel:BYTE_0 src1_sel:DWORD
	s_andn2_b64 s[4:5], s[4:5], exec
	s_and_b64 s[8:9], s[8:9], exec
	s_or_b64 s[4:5], s[4:5], s[8:9]
	s_or_b64 exec, exec, s[6:7]
	s_and_saveexec_b64 s[6:7], s[4:5]
	s_cbranch_execnz .LBB47_551
	s_branch .LBB47_552
.LBB47_2601:
	s_movk_i32 s4, 0x80
	v_cmp_eq_u16_sdwa s[12:13], v14, s4 src0_sel:BYTE_0 src1_sel:DWORD
	s_mov_b64 s[4:5], -1
                                        ; implicit-def: $sgpr10
	s_and_saveexec_b64 s[8:9], s[12:13]
; %bb.2602:
	s_mov_b32 s10, 0x7f800001
	s_xor_b64 s[4:5], exec, -1
; %bb.2603:
	s_or_b64 exec, exec, s[8:9]
	s_and_b64 s[4:5], s[4:5], exec
	s_or_saveexec_b64 s[6:7], s[6:7]
	v_mov_b32_e32 v10, s10
	s_xor_b64 exec, exec, s[6:7]
	s_cbranch_execz .LBB47_554
.LBB47_2604:
	v_mov_b32_e32 v10, 0
	v_cmp_ne_u16_sdwa s[8:9], v14, v10 src0_sel:BYTE_0 src1_sel:DWORD
	s_andn2_b64 s[4:5], s[4:5], exec
	s_and_b64 s[8:9], s[8:9], exec
	s_or_b64 s[4:5], s[4:5], s[8:9]
	s_or_b64 exec, exec, s[6:7]
	s_and_saveexec_b64 s[6:7], s[4:5]
	s_cbranch_execnz .LBB47_555
	s_branch .LBB47_556
.LBB47_2605:
	s_movk_i32 s4, 0x80
	v_cmp_eq_u16_sdwa s[12:13], v14, s4 src0_sel:BYTE_0 src1_sel:DWORD
	s_mov_b64 s[4:5], -1
                                        ; implicit-def: $sgpr10
	s_and_saveexec_b64 s[8:9], s[12:13]
; %bb.2606:
	s_mov_b32 s10, 0x7f800001
	s_xor_b64 s[4:5], exec, -1
; %bb.2607:
	s_or_b64 exec, exec, s[8:9]
	s_and_b64 s[4:5], s[4:5], exec
	s_or_saveexec_b64 s[6:7], s[6:7]
	v_mov_b32_e32 v20, s10
	s_xor_b64 exec, exec, s[6:7]
	s_cbranch_execz .LBB47_558
.LBB47_2608:
	v_mov_b32_e32 v20, 0
	v_cmp_ne_u16_sdwa s[8:9], v14, v20 src0_sel:BYTE_0 src1_sel:DWORD
	s_andn2_b64 s[4:5], s[4:5], exec
	s_and_b64 s[8:9], s[8:9], exec
	s_or_b64 s[4:5], s[4:5], s[8:9]
	s_or_b64 exec, exec, s[6:7]
	s_and_saveexec_b64 s[6:7], s[4:5]
	s_cbranch_execnz .LBB47_559
	s_branch .LBB47_560
.LBB47_2609:
	s_movk_i32 s4, 0x80
	v_cmp_eq_u16_e32 vcc, s4, v14
	s_mov_b64 s[4:5], -1
                                        ; implicit-def: $sgpr10
	s_and_saveexec_b64 s[8:9], vcc
; %bb.2610:
	s_mov_b32 s10, 0x7f800001
	s_xor_b64 s[4:5], exec, -1
; %bb.2611:
	s_or_b64 exec, exec, s[8:9]
	s_and_b64 s[4:5], s[4:5], exec
                                        ; implicit-def: $vgpr14
	s_or_saveexec_b64 s[6:7], s[6:7]
	v_mov_b32_e32 v10, s10
	s_xor_b64 exec, exec, s[6:7]
	s_cbranch_execz .LBB47_562
.LBB47_2612:
	v_cmp_ne_u16_e32 vcc, 0, v14
	s_andn2_b64 s[4:5], s[4:5], exec
	s_and_b64 s[8:9], vcc, exec
	v_mov_b32_e32 v10, 0
	s_or_b64 s[4:5], s[4:5], s[8:9]
	s_or_b64 exec, exec, s[6:7]
	s_and_saveexec_b64 s[6:7], s[4:5]
	s_cbranch_execnz .LBB47_563
	s_branch .LBB47_564
.LBB47_2613:
	s_movk_i32 s4, 0x80
	v_cmp_eq_u16_e32 vcc, s4, v14
	s_mov_b64 s[4:5], -1
                                        ; implicit-def: $sgpr10
	s_and_saveexec_b64 s[8:9], vcc
; %bb.2614:
	s_mov_b32 s10, 0x7f800001
	s_xor_b64 s[4:5], exec, -1
; %bb.2615:
	s_or_b64 exec, exec, s[8:9]
	s_and_b64 s[4:5], s[4:5], exec
                                        ; implicit-def: $vgpr14
	s_or_saveexec_b64 s[6:7], s[6:7]
	v_mov_b32_e32 v20, s10
	s_xor_b64 exec, exec, s[6:7]
	s_cbranch_execz .LBB47_566
.LBB47_2616:
	v_cmp_ne_u16_e32 vcc, 0, v14
	s_andn2_b64 s[4:5], s[4:5], exec
	s_and_b64 s[8:9], vcc, exec
	v_mov_b32_e32 v20, 0
	s_or_b64 s[4:5], s[4:5], s[8:9]
	s_or_b64 exec, exec, s[6:7]
	s_and_saveexec_b64 s[6:7], s[4:5]
	s_cbranch_execnz .LBB47_567
	s_branch .LBB47_568
.LBB47_2617:
	s_movk_i32 s4, 0x80
	v_cmp_eq_u16_sdwa s[12:13], v15, s4 src0_sel:BYTE_3 src1_sel:DWORD
	s_mov_b64 s[4:5], -1
                                        ; implicit-def: $sgpr10
	s_and_saveexec_b64 s[8:9], s[12:13]
; %bb.2618:
	s_mov_b32 s10, 0x7f800001
	s_xor_b64 s[4:5], exec, -1
; %bb.2619:
	s_or_b64 exec, exec, s[8:9]
	s_and_b64 s[4:5], s[4:5], exec
	s_or_saveexec_b64 s[6:7], s[6:7]
	v_mov_b32_e32 v10, s10
	s_xor_b64 exec, exec, s[6:7]
	s_cbranch_execz .LBB47_570
.LBB47_2620:
	v_mov_b32_e32 v10, 0
	v_cmp_ne_u16_sdwa s[8:9], v15, v10 src0_sel:BYTE_3 src1_sel:DWORD
	s_andn2_b64 s[4:5], s[4:5], exec
	s_and_b64 s[8:9], s[8:9], exec
	s_or_b64 s[4:5], s[4:5], s[8:9]
	s_or_b64 exec, exec, s[6:7]
	s_and_saveexec_b64 s[6:7], s[4:5]
	s_cbranch_execnz .LBB47_571
	s_branch .LBB47_572
.LBB47_2621:
	s_movk_i32 s4, 0x80
	v_cmp_eq_u16_sdwa s[12:13], v11, s4 src0_sel:BYTE_3 src1_sel:DWORD
	s_mov_b64 s[4:5], -1
                                        ; implicit-def: $sgpr10
	s_and_saveexec_b64 s[8:9], s[12:13]
; %bb.2622:
	s_mov_b32 s10, 0x7f800001
	s_xor_b64 s[4:5], exec, -1
; %bb.2623:
	s_or_b64 exec, exec, s[8:9]
	s_and_b64 s[4:5], s[4:5], exec
	s_or_saveexec_b64 s[6:7], s[6:7]
	v_mov_b32_e32 v14, s10
	s_xor_b64 exec, exec, s[6:7]
	s_cbranch_execz .LBB47_574
.LBB47_2624:
	v_mov_b32_e32 v14, 0
	v_cmp_ne_u16_sdwa s[8:9], v11, v14 src0_sel:BYTE_3 src1_sel:DWORD
	s_andn2_b64 s[4:5], s[4:5], exec
	s_and_b64 s[8:9], s[8:9], exec
	s_or_b64 s[4:5], s[4:5], s[8:9]
	s_or_b64 exec, exec, s[6:7]
	s_and_saveexec_b64 s[6:7], s[4:5]
	s_cbranch_execnz .LBB47_575
	s_branch .LBB47_576
.LBB47_2625:
	s_movk_i32 s4, 0x80
	v_cmp_eq_u16_sdwa s[12:13], v16, s4 src0_sel:BYTE_0 src1_sel:DWORD
	s_mov_b64 s[4:5], -1
                                        ; implicit-def: $sgpr10
	s_and_saveexec_b64 s[8:9], s[12:13]
; %bb.2626:
	s_mov_b32 s10, 0x7f800001
	s_xor_b64 s[4:5], exec, -1
; %bb.2627:
	s_or_b64 exec, exec, s[8:9]
	s_and_b64 s[4:5], s[4:5], exec
	s_or_saveexec_b64 s[6:7], s[6:7]
	v_mov_b32_e32 v10, s10
	s_xor_b64 exec, exec, s[6:7]
	s_cbranch_execz .LBB47_578
.LBB47_2628:
	v_mov_b32_e32 v10, 0
	v_cmp_ne_u16_sdwa s[8:9], v16, v10 src0_sel:BYTE_0 src1_sel:DWORD
	s_andn2_b64 s[4:5], s[4:5], exec
	s_and_b64 s[8:9], s[8:9], exec
	s_or_b64 s[4:5], s[4:5], s[8:9]
	s_or_b64 exec, exec, s[6:7]
	s_and_saveexec_b64 s[6:7], s[4:5]
	s_cbranch_execnz .LBB47_579
	s_branch .LBB47_580
.LBB47_2629:
	s_movk_i32 s4, 0x80
	v_cmp_eq_u16_sdwa s[12:13], v12, s4 src0_sel:BYTE_0 src1_sel:DWORD
	s_mov_b64 s[4:5], -1
                                        ; implicit-def: $sgpr10
	s_and_saveexec_b64 s[8:9], s[12:13]
; %bb.2630:
	s_mov_b32 s10, 0x7f800001
	s_xor_b64 s[4:5], exec, -1
; %bb.2631:
	s_or_b64 exec, exec, s[8:9]
	s_and_b64 s[4:5], s[4:5], exec
	s_or_saveexec_b64 s[6:7], s[6:7]
	v_mov_b32_e32 v11, s10
	s_xor_b64 exec, exec, s[6:7]
	s_cbranch_execz .LBB47_582
.LBB47_2632:
	v_mov_b32_e32 v11, 0
	v_cmp_ne_u16_sdwa s[8:9], v12, v11 src0_sel:BYTE_0 src1_sel:DWORD
	s_andn2_b64 s[4:5], s[4:5], exec
	s_and_b64 s[8:9], s[8:9], exec
	s_or_b64 s[4:5], s[4:5], s[8:9]
	s_or_b64 exec, exec, s[6:7]
	s_and_saveexec_b64 s[6:7], s[4:5]
	s_cbranch_execnz .LBB47_583
	s_branch .LBB47_584
.LBB47_2633:
	s_movk_i32 s4, 0x80
	v_cmp_eq_u16_sdwa s[12:13], v11, s4 src0_sel:BYTE_0 src1_sel:DWORD
	s_mov_b64 s[4:5], -1
                                        ; implicit-def: $sgpr10
	s_and_saveexec_b64 s[8:9], s[12:13]
; %bb.2634:
	s_mov_b32 s10, 0x7f800001
	s_xor_b64 s[4:5], exec, -1
; %bb.2635:
	s_or_b64 exec, exec, s[8:9]
	s_and_b64 s[4:5], s[4:5], exec
	s_or_saveexec_b64 s[6:7], s[6:7]
	v_mov_b32_e32 v10, s10
	s_xor_b64 exec, exec, s[6:7]
	s_cbranch_execz .LBB47_586
.LBB47_2636:
	v_mov_b32_e32 v10, 0
	v_cmp_ne_u16_sdwa s[8:9], v11, v10 src0_sel:BYTE_0 src1_sel:DWORD
	s_andn2_b64 s[4:5], s[4:5], exec
	s_and_b64 s[8:9], s[8:9], exec
	s_or_b64 s[4:5], s[4:5], s[8:9]
	s_or_b64 exec, exec, s[6:7]
	s_and_saveexec_b64 s[6:7], s[4:5]
	s_cbranch_execnz .LBB47_587
	s_branch .LBB47_588
.LBB47_2637:
	s_movk_i32 s4, 0x80
	v_cmp_eq_u16_sdwa s[12:13], v11, s4 src0_sel:BYTE_0 src1_sel:DWORD
	s_mov_b64 s[4:5], -1
                                        ; implicit-def: $sgpr10
	s_and_saveexec_b64 s[8:9], s[12:13]
; %bb.2638:
	s_mov_b32 s10, 0x7f800001
	s_xor_b64 s[4:5], exec, -1
; %bb.2639:
	s_or_b64 exec, exec, s[8:9]
	s_and_b64 s[4:5], s[4:5], exec
	s_or_saveexec_b64 s[6:7], s[6:7]
	v_mov_b32_e32 v14, s10
	s_xor_b64 exec, exec, s[6:7]
	s_cbranch_execz .LBB47_590
.LBB47_2640:
	v_mov_b32_e32 v14, 0
	v_cmp_ne_u16_sdwa s[8:9], v11, v14 src0_sel:BYTE_0 src1_sel:DWORD
	s_andn2_b64 s[4:5], s[4:5], exec
	s_and_b64 s[8:9], s[8:9], exec
	s_or_b64 s[4:5], s[4:5], s[8:9]
	s_or_b64 exec, exec, s[6:7]
	s_and_saveexec_b64 s[6:7], s[4:5]
	s_cbranch_execnz .LBB47_591
	s_branch .LBB47_592
.LBB47_2641:
	s_movk_i32 s4, 0x80
	v_cmp_eq_u16_e32 vcc, s4, v11
	s_mov_b64 s[4:5], -1
                                        ; implicit-def: $sgpr10
	s_and_saveexec_b64 s[8:9], vcc
; %bb.2642:
	s_mov_b32 s10, 0x7f800001
	s_xor_b64 s[4:5], exec, -1
; %bb.2643:
	s_or_b64 exec, exec, s[8:9]
	s_and_b64 s[4:5], s[4:5], exec
                                        ; implicit-def: $vgpr11
	s_or_saveexec_b64 s[6:7], s[6:7]
	v_mov_b32_e32 v10, s10
	s_xor_b64 exec, exec, s[6:7]
	s_cbranch_execz .LBB47_594
.LBB47_2644:
	v_cmp_ne_u16_e32 vcc, 0, v11
	s_andn2_b64 s[4:5], s[4:5], exec
	s_and_b64 s[8:9], vcc, exec
	v_mov_b32_e32 v10, 0
	s_or_b64 s[4:5], s[4:5], s[8:9]
	s_or_b64 exec, exec, s[6:7]
	s_and_saveexec_b64 s[6:7], s[4:5]
	s_cbranch_execnz .LBB47_595
	s_branch .LBB47_596
.LBB47_2645:
	s_movk_i32 s4, 0x80
	v_cmp_eq_u16_e32 vcc, s4, v11
	s_mov_b64 s[4:5], -1
                                        ; implicit-def: $sgpr10
	s_and_saveexec_b64 s[8:9], vcc
; %bb.2646:
	s_mov_b32 s10, 0x7f800001
	s_xor_b64 s[4:5], exec, -1
; %bb.2647:
	s_or_b64 exec, exec, s[8:9]
	s_and_b64 s[4:5], s[4:5], exec
                                        ; implicit-def: $vgpr11
	s_or_saveexec_b64 s[6:7], s[6:7]
	v_mov_b32_e32 v14, s10
	s_xor_b64 exec, exec, s[6:7]
	s_cbranch_execz .LBB47_598
.LBB47_2648:
	v_cmp_ne_u16_e32 vcc, 0, v11
	s_andn2_b64 s[4:5], s[4:5], exec
	s_and_b64 s[8:9], vcc, exec
	v_mov_b32_e32 v14, 0
	s_or_b64 s[4:5], s[4:5], s[8:9]
	s_or_b64 exec, exec, s[6:7]
	s_and_saveexec_b64 s[6:7], s[4:5]
	s_cbranch_execnz .LBB47_599
	s_branch .LBB47_600
.LBB47_2649:
	s_movk_i32 s4, 0x80
	v_cmp_eq_u16_sdwa s[12:13], v16, s4 src0_sel:BYTE_3 src1_sel:DWORD
	s_mov_b64 s[4:5], -1
                                        ; implicit-def: $sgpr10
	s_and_saveexec_b64 s[8:9], s[12:13]
; %bb.2650:
	s_mov_b32 s10, 0x7f800001
	s_xor_b64 s[4:5], exec, -1
; %bb.2651:
	s_or_b64 exec, exec, s[8:9]
	s_and_b64 s[4:5], s[4:5], exec
	s_or_saveexec_b64 s[6:7], s[6:7]
	v_mov_b32_e32 v10, s10
	s_xor_b64 exec, exec, s[6:7]
	s_cbranch_execz .LBB47_602
.LBB47_2652:
	v_mov_b32_e32 v10, 0
	v_cmp_ne_u16_sdwa s[8:9], v16, v10 src0_sel:BYTE_3 src1_sel:DWORD
	s_andn2_b64 s[4:5], s[4:5], exec
	s_and_b64 s[8:9], s[8:9], exec
	s_or_b64 s[4:5], s[4:5], s[8:9]
	s_or_b64 exec, exec, s[6:7]
	s_and_saveexec_b64 s[6:7], s[4:5]
	s_cbranch_execnz .LBB47_603
	s_branch .LBB47_604
.LBB47_2653:
	s_movk_i32 s4, 0x80
	v_cmp_eq_u16_sdwa s[12:13], v12, s4 src0_sel:BYTE_3 src1_sel:DWORD
	s_mov_b64 s[4:5], -1
                                        ; implicit-def: $sgpr10
	s_and_saveexec_b64 s[8:9], s[12:13]
; %bb.2654:
	s_mov_b32 s10, 0x7f800001
	s_xor_b64 s[4:5], exec, -1
; %bb.2655:
	s_or_b64 exec, exec, s[8:9]
	s_and_b64 s[4:5], s[4:5], exec
	s_or_saveexec_b64 s[6:7], s[6:7]
	v_mov_b32_e32 v11, s10
	s_xor_b64 exec, exec, s[6:7]
	s_cbranch_execz .LBB47_606
.LBB47_2656:
	v_mov_b32_e32 v11, 0
	v_cmp_ne_u16_sdwa s[8:9], v12, v11 src0_sel:BYTE_3 src1_sel:DWORD
	s_andn2_b64 s[4:5], s[4:5], exec
	s_and_b64 s[8:9], s[8:9], exec
	s_or_b64 s[4:5], s[4:5], s[8:9]
	s_or_b64 exec, exec, s[6:7]
	s_and_saveexec_b64 s[6:7], s[4:5]
	s_cbranch_execnz .LBB47_607
	s_branch .LBB47_608
.LBB47_2657:
	s_movk_i32 s4, 0x80
	v_cmp_eq_u16_sdwa s[12:13], v17, s4 src0_sel:BYTE_0 src1_sel:DWORD
	s_mov_b64 s[4:5], -1
                                        ; implicit-def: $sgpr10
	s_and_saveexec_b64 s[8:9], s[12:13]
; %bb.2658:
	s_mov_b32 s10, 0x7f800001
	s_xor_b64 s[4:5], exec, -1
; %bb.2659:
	s_or_b64 exec, exec, s[8:9]
	s_and_b64 s[4:5], s[4:5], exec
	s_or_saveexec_b64 s[6:7], s[6:7]
	v_mov_b32_e32 v10, s10
	s_xor_b64 exec, exec, s[6:7]
	s_cbranch_execz .LBB47_610
.LBB47_2660:
	v_mov_b32_e32 v10, 0
	v_cmp_ne_u16_sdwa s[8:9], v17, v10 src0_sel:BYTE_0 src1_sel:DWORD
	s_andn2_b64 s[4:5], s[4:5], exec
	s_and_b64 s[8:9], s[8:9], exec
	s_or_b64 s[4:5], s[4:5], s[8:9]
	s_or_b64 exec, exec, s[6:7]
	s_and_saveexec_b64 s[6:7], s[4:5]
	s_cbranch_execnz .LBB47_611
	s_branch .LBB47_612
.LBB47_2661:
	s_movk_i32 s4, 0x80
	v_cmp_eq_u16_sdwa s[12:13], v13, s4 src0_sel:BYTE_0 src1_sel:DWORD
	s_mov_b64 s[4:5], -1
                                        ; implicit-def: $sgpr10
	s_and_saveexec_b64 s[8:9], s[12:13]
; %bb.2662:
	s_mov_b32 s10, 0x7f800001
	s_xor_b64 s[4:5], exec, -1
; %bb.2663:
	s_or_b64 exec, exec, s[8:9]
	s_and_b64 s[4:5], s[4:5], exec
	s_or_saveexec_b64 s[6:7], s[6:7]
	v_mov_b32_e32 v11, s10
	s_xor_b64 exec, exec, s[6:7]
	s_cbranch_execz .LBB47_614
.LBB47_2664:
	v_mov_b32_e32 v11, 0
	v_cmp_ne_u16_sdwa s[8:9], v13, v11 src0_sel:BYTE_0 src1_sel:DWORD
	s_andn2_b64 s[4:5], s[4:5], exec
	s_and_b64 s[8:9], s[8:9], exec
	s_or_b64 s[4:5], s[4:5], s[8:9]
	s_or_b64 exec, exec, s[6:7]
	s_and_saveexec_b64 s[6:7], s[4:5]
	s_cbranch_execnz .LBB47_615
	s_branch .LBB47_616
.LBB47_2665:
	s_movk_i32 s4, 0x80
	v_cmp_eq_u16_sdwa s[12:13], v11, s4 src0_sel:BYTE_0 src1_sel:DWORD
	s_mov_b64 s[4:5], -1
                                        ; implicit-def: $sgpr10
	s_and_saveexec_b64 s[8:9], s[12:13]
; %bb.2666:
	s_mov_b32 s10, 0x7f800001
	s_xor_b64 s[4:5], exec, -1
; %bb.2667:
	s_or_b64 exec, exec, s[8:9]
	s_and_b64 s[4:5], s[4:5], exec
	s_or_saveexec_b64 s[6:7], s[6:7]
	v_mov_b32_e32 v10, s10
	s_xor_b64 exec, exec, s[6:7]
	s_cbranch_execz .LBB47_618
.LBB47_2668:
	v_mov_b32_e32 v10, 0
	v_cmp_ne_u16_sdwa s[8:9], v11, v10 src0_sel:BYTE_0 src1_sel:DWORD
	s_andn2_b64 s[4:5], s[4:5], exec
	s_and_b64 s[8:9], s[8:9], exec
	s_or_b64 s[4:5], s[4:5], s[8:9]
	s_or_b64 exec, exec, s[6:7]
	s_and_saveexec_b64 s[6:7], s[4:5]
	s_cbranch_execnz .LBB47_619
	s_branch .LBB47_620
.LBB47_2669:
	s_movk_i32 s4, 0x80
	v_cmp_eq_u16_sdwa s[12:13], v11, s4 src0_sel:BYTE_0 src1_sel:DWORD
	s_mov_b64 s[4:5], -1
                                        ; implicit-def: $sgpr10
	s_and_saveexec_b64 s[8:9], s[12:13]
; %bb.2670:
	s_mov_b32 s10, 0x7f800001
	s_xor_b64 s[4:5], exec, -1
; %bb.2671:
	s_or_b64 exec, exec, s[8:9]
	s_and_b64 s[4:5], s[4:5], exec
	s_or_saveexec_b64 s[6:7], s[6:7]
	v_mov_b32_e32 v12, s10
	s_xor_b64 exec, exec, s[6:7]
	s_cbranch_execz .LBB47_622
.LBB47_2672:
	v_mov_b32_e32 v12, 0
	v_cmp_ne_u16_sdwa s[8:9], v11, v12 src0_sel:BYTE_0 src1_sel:DWORD
	s_andn2_b64 s[4:5], s[4:5], exec
	s_and_b64 s[8:9], s[8:9], exec
	s_or_b64 s[4:5], s[4:5], s[8:9]
	s_or_b64 exec, exec, s[6:7]
	s_and_saveexec_b64 s[6:7], s[4:5]
	s_cbranch_execnz .LBB47_623
	s_branch .LBB47_624
.LBB47_2673:
	s_movk_i32 s4, 0x80
	v_cmp_eq_u16_e32 vcc, s4, v11
	s_mov_b64 s[4:5], -1
                                        ; implicit-def: $sgpr10
	s_and_saveexec_b64 s[8:9], vcc
; %bb.2674:
	s_mov_b32 s10, 0x7f800001
	s_xor_b64 s[4:5], exec, -1
; %bb.2675:
	s_or_b64 exec, exec, s[8:9]
	s_and_b64 s[4:5], s[4:5], exec
                                        ; implicit-def: $vgpr11
	s_or_saveexec_b64 s[6:7], s[6:7]
	v_mov_b32_e32 v10, s10
	s_xor_b64 exec, exec, s[6:7]
	s_cbranch_execz .LBB47_626
.LBB47_2676:
	v_cmp_ne_u16_e32 vcc, 0, v11
	s_andn2_b64 s[4:5], s[4:5], exec
	s_and_b64 s[8:9], vcc, exec
	v_mov_b32_e32 v10, 0
	s_or_b64 s[4:5], s[4:5], s[8:9]
	s_or_b64 exec, exec, s[6:7]
	s_and_saveexec_b64 s[6:7], s[4:5]
	s_cbranch_execnz .LBB47_627
	s_branch .LBB47_628
.LBB47_2677:
	s_movk_i32 s4, 0x80
	v_cmp_eq_u16_e32 vcc, s4, v11
	s_mov_b64 s[4:5], -1
                                        ; implicit-def: $sgpr10
	s_and_saveexec_b64 s[8:9], vcc
; %bb.2678:
	s_mov_b32 s10, 0x7f800001
	s_xor_b64 s[4:5], exec, -1
; %bb.2679:
	s_or_b64 exec, exec, s[8:9]
	s_and_b64 s[4:5], s[4:5], exec
                                        ; implicit-def: $vgpr11
	s_or_saveexec_b64 s[6:7], s[6:7]
	v_mov_b32_e32 v12, s10
	s_xor_b64 exec, exec, s[6:7]
	s_cbranch_execz .LBB47_630
.LBB47_2680:
	v_cmp_ne_u16_e32 vcc, 0, v11
	s_andn2_b64 s[4:5], s[4:5], exec
	s_and_b64 s[8:9], vcc, exec
	v_mov_b32_e32 v12, 0
	s_or_b64 s[4:5], s[4:5], s[8:9]
	s_or_b64 exec, exec, s[6:7]
	s_and_saveexec_b64 s[6:7], s[4:5]
	s_cbranch_execnz .LBB47_631
	s_branch .LBB47_632
.LBB47_2681:
	s_movk_i32 s4, 0x80
	v_cmp_eq_u16_sdwa s[12:13], v17, s4 src0_sel:BYTE_3 src1_sel:DWORD
	s_mov_b64 s[4:5], -1
                                        ; implicit-def: $sgpr10
	s_and_saveexec_b64 s[8:9], s[12:13]
; %bb.2682:
	s_mov_b32 s10, 0x7f800001
	s_xor_b64 s[4:5], exec, -1
; %bb.2683:
	s_or_b64 exec, exec, s[8:9]
	s_and_b64 s[4:5], s[4:5], exec
	s_or_saveexec_b64 s[6:7], s[6:7]
	v_mov_b32_e32 v10, s10
	s_xor_b64 exec, exec, s[6:7]
	s_cbranch_execz .LBB47_634
.LBB47_2684:
	v_mov_b32_e32 v10, 0
	v_cmp_ne_u16_sdwa s[8:9], v17, v10 src0_sel:BYTE_3 src1_sel:DWORD
	s_andn2_b64 s[4:5], s[4:5], exec
	s_and_b64 s[8:9], s[8:9], exec
	s_or_b64 s[4:5], s[4:5], s[8:9]
	s_or_b64 exec, exec, s[6:7]
	s_and_saveexec_b64 s[6:7], s[4:5]
	s_cbranch_execnz .LBB47_635
	s_branch .LBB47_636
.LBB47_2685:
	s_movk_i32 s4, 0x80
	v_cmp_eq_u16_sdwa s[12:13], v13, s4 src0_sel:BYTE_3 src1_sel:DWORD
	s_mov_b64 s[4:5], -1
                                        ; implicit-def: $sgpr10
	s_and_saveexec_b64 s[8:9], s[12:13]
; %bb.2686:
	s_mov_b32 s10, 0x7f800001
	s_xor_b64 s[4:5], exec, -1
; %bb.2687:
	s_or_b64 exec, exec, s[8:9]
	s_and_b64 s[4:5], s[4:5], exec
	s_or_saveexec_b64 s[6:7], s[6:7]
	v_mov_b32_e32 v11, s10
	s_xor_b64 exec, exec, s[6:7]
	s_cbranch_execz .LBB47_638
.LBB47_2688:
	v_mov_b32_e32 v11, 0
	v_cmp_ne_u16_sdwa s[8:9], v13, v11 src0_sel:BYTE_3 src1_sel:DWORD
	s_andn2_b64 s[4:5], s[4:5], exec
	s_and_b64 s[8:9], s[8:9], exec
	s_or_b64 s[4:5], s[4:5], s[8:9]
	s_or_b64 exec, exec, s[6:7]
	s_and_saveexec_b64 s[6:7], s[4:5]
	s_cbranch_execnz .LBB47_639
	s_branch .LBB47_640
.LBB47_2689:
	s_movk_i32 s4, 0x80
	v_cmp_eq_u16_sdwa s[12:13], v6, s4 src0_sel:BYTE_0 src1_sel:DWORD
	s_mov_b64 s[4:5], -1
                                        ; implicit-def: $sgpr10
	s_and_saveexec_b64 s[8:9], s[12:13]
; %bb.2690:
	s_mov_b32 s10, 0x7f800001
	s_xor_b64 s[4:5], exec, -1
; %bb.2691:
	s_or_b64 exec, exec, s[8:9]
	s_and_b64 s[4:5], s[4:5], exec
	s_or_saveexec_b64 s[6:7], s[6:7]
	v_mov_b32_e32 v10, s10
	s_xor_b64 exec, exec, s[6:7]
	s_cbranch_execz .LBB47_642
.LBB47_2692:
	v_mov_b32_e32 v10, 0
	v_cmp_ne_u16_sdwa s[8:9], v6, v10 src0_sel:BYTE_0 src1_sel:DWORD
	s_andn2_b64 s[4:5], s[4:5], exec
	s_and_b64 s[8:9], s[8:9], exec
	s_or_b64 s[4:5], s[4:5], s[8:9]
	s_or_b64 exec, exec, s[6:7]
	s_and_saveexec_b64 s[6:7], s[4:5]
	s_cbranch_execnz .LBB47_643
	s_branch .LBB47_644
.LBB47_2693:
	s_movk_i32 s4, 0x80
	v_cmp_eq_u16_sdwa s[12:13], v2, s4 src0_sel:BYTE_0 src1_sel:DWORD
	s_mov_b64 s[4:5], -1
                                        ; implicit-def: $sgpr10
	s_and_saveexec_b64 s[8:9], s[12:13]
; %bb.2694:
	s_mov_b32 s10, 0x7f800001
	s_xor_b64 s[4:5], exec, -1
; %bb.2695:
	s_or_b64 exec, exec, s[8:9]
	s_and_b64 s[4:5], s[4:5], exec
	s_or_saveexec_b64 s[6:7], s[6:7]
	v_mov_b32_e32 v11, s10
	s_xor_b64 exec, exec, s[6:7]
	s_cbranch_execz .LBB47_646
.LBB47_2696:
	v_mov_b32_e32 v11, 0
	v_cmp_ne_u16_sdwa s[8:9], v2, v11 src0_sel:BYTE_0 src1_sel:DWORD
	s_andn2_b64 s[4:5], s[4:5], exec
	s_and_b64 s[8:9], s[8:9], exec
	s_or_b64 s[4:5], s[4:5], s[8:9]
	s_or_b64 exec, exec, s[6:7]
	s_and_saveexec_b64 s[6:7], s[4:5]
	s_cbranch_execnz .LBB47_647
	s_branch .LBB47_648
.LBB47_2697:
	s_movk_i32 s4, 0x80
	v_cmp_eq_u16_sdwa s[12:13], v11, s4 src0_sel:BYTE_0 src1_sel:DWORD
	s_mov_b64 s[4:5], -1
                                        ; implicit-def: $sgpr10
	s_and_saveexec_b64 s[8:9], s[12:13]
; %bb.2698:
	s_mov_b32 s10, 0x7f800001
	s_xor_b64 s[4:5], exec, -1
; %bb.2699:
	s_or_b64 exec, exec, s[8:9]
	s_and_b64 s[4:5], s[4:5], exec
	s_or_saveexec_b64 s[6:7], s[6:7]
	v_mov_b32_e32 v10, s10
	s_xor_b64 exec, exec, s[6:7]
	s_cbranch_execz .LBB47_650
.LBB47_2700:
	v_mov_b32_e32 v10, 0
	v_cmp_ne_u16_sdwa s[8:9], v11, v10 src0_sel:BYTE_0 src1_sel:DWORD
	s_andn2_b64 s[4:5], s[4:5], exec
	s_and_b64 s[8:9], s[8:9], exec
	s_or_b64 s[4:5], s[4:5], s[8:9]
	s_or_b64 exec, exec, s[6:7]
	s_and_saveexec_b64 s[6:7], s[4:5]
	s_cbranch_execnz .LBB47_651
	s_branch .LBB47_652
.LBB47_2701:
	s_movk_i32 s4, 0x80
	v_cmp_eq_u16_sdwa s[12:13], v11, s4 src0_sel:BYTE_0 src1_sel:DWORD
	s_mov_b64 s[4:5], -1
                                        ; implicit-def: $sgpr10
	s_and_saveexec_b64 s[8:9], s[12:13]
; %bb.2702:
	s_mov_b32 s10, 0x7f800001
	s_xor_b64 s[4:5], exec, -1
; %bb.2703:
	s_or_b64 exec, exec, s[8:9]
	s_and_b64 s[4:5], s[4:5], exec
	s_or_saveexec_b64 s[6:7], s[6:7]
	v_mov_b32_e32 v12, s10
	s_xor_b64 exec, exec, s[6:7]
	s_cbranch_execz .LBB47_654
.LBB47_2704:
	v_mov_b32_e32 v12, 0
	v_cmp_ne_u16_sdwa s[8:9], v11, v12 src0_sel:BYTE_0 src1_sel:DWORD
	s_andn2_b64 s[4:5], s[4:5], exec
	s_and_b64 s[8:9], s[8:9], exec
	s_or_b64 s[4:5], s[4:5], s[8:9]
	s_or_b64 exec, exec, s[6:7]
	s_and_saveexec_b64 s[6:7], s[4:5]
	s_cbranch_execnz .LBB47_655
	s_branch .LBB47_656
.LBB47_2705:
	s_movk_i32 s4, 0x80
	v_cmp_eq_u16_e32 vcc, s4, v11
	s_mov_b64 s[4:5], -1
                                        ; implicit-def: $sgpr10
	s_and_saveexec_b64 s[8:9], vcc
; %bb.2706:
	s_mov_b32 s10, 0x7f800001
	s_xor_b64 s[4:5], exec, -1
; %bb.2707:
	s_or_b64 exec, exec, s[8:9]
	s_and_b64 s[4:5], s[4:5], exec
                                        ; implicit-def: $vgpr11
	s_or_saveexec_b64 s[6:7], s[6:7]
	v_mov_b32_e32 v10, s10
	s_xor_b64 exec, exec, s[6:7]
	s_cbranch_execz .LBB47_658
.LBB47_2708:
	v_cmp_ne_u16_e32 vcc, 0, v11
	s_andn2_b64 s[4:5], s[4:5], exec
	s_and_b64 s[8:9], vcc, exec
	v_mov_b32_e32 v10, 0
	s_or_b64 s[4:5], s[4:5], s[8:9]
	s_or_b64 exec, exec, s[6:7]
	s_and_saveexec_b64 s[6:7], s[4:5]
	s_cbranch_execnz .LBB47_659
	s_branch .LBB47_660
.LBB47_2709:
	s_movk_i32 s4, 0x80
	v_cmp_eq_u16_e32 vcc, s4, v11
	s_mov_b64 s[4:5], -1
                                        ; implicit-def: $sgpr10
	s_and_saveexec_b64 s[8:9], vcc
; %bb.2710:
	s_mov_b32 s10, 0x7f800001
	s_xor_b64 s[4:5], exec, -1
; %bb.2711:
	s_or_b64 exec, exec, s[8:9]
	s_and_b64 s[4:5], s[4:5], exec
                                        ; implicit-def: $vgpr11
	s_or_saveexec_b64 s[6:7], s[6:7]
	v_mov_b32_e32 v12, s10
	s_xor_b64 exec, exec, s[6:7]
	s_cbranch_execz .LBB47_662
.LBB47_2712:
	v_cmp_ne_u16_e32 vcc, 0, v11
	s_andn2_b64 s[4:5], s[4:5], exec
	s_and_b64 s[8:9], vcc, exec
	v_mov_b32_e32 v12, 0
	s_or_b64 s[4:5], s[4:5], s[8:9]
	s_or_b64 exec, exec, s[6:7]
	s_and_saveexec_b64 s[6:7], s[4:5]
	s_cbranch_execnz .LBB47_663
	s_branch .LBB47_664
.LBB47_2713:
	s_movk_i32 s4, 0x80
	v_cmp_eq_u16_sdwa s[12:13], v6, s4 src0_sel:BYTE_3 src1_sel:DWORD
	s_mov_b64 s[4:5], -1
                                        ; implicit-def: $sgpr10
	s_and_saveexec_b64 s[8:9], s[12:13]
; %bb.2714:
	s_mov_b32 s10, 0x7f800001
	s_xor_b64 s[4:5], exec, -1
; %bb.2715:
	s_or_b64 exec, exec, s[8:9]
	s_and_b64 s[4:5], s[4:5], exec
	s_or_saveexec_b64 s[6:7], s[6:7]
	v_mov_b32_e32 v10, s10
	s_xor_b64 exec, exec, s[6:7]
	s_cbranch_execz .LBB47_666
.LBB47_2716:
	v_mov_b32_e32 v10, 0
	v_cmp_ne_u16_sdwa s[8:9], v6, v10 src0_sel:BYTE_3 src1_sel:DWORD
	s_andn2_b64 s[4:5], s[4:5], exec
	s_and_b64 s[8:9], s[8:9], exec
	s_or_b64 s[4:5], s[4:5], s[8:9]
	s_or_b64 exec, exec, s[6:7]
	s_and_saveexec_b64 s[6:7], s[4:5]
	s_cbranch_execnz .LBB47_667
	s_branch .LBB47_668
.LBB47_2717:
	s_movk_i32 s4, 0x80
	v_cmp_eq_u16_sdwa s[12:13], v2, s4 src0_sel:BYTE_3 src1_sel:DWORD
	s_mov_b64 s[4:5], -1
                                        ; implicit-def: $sgpr10
	s_and_saveexec_b64 s[8:9], s[12:13]
; %bb.2718:
	s_mov_b32 s10, 0x7f800001
	s_xor_b64 s[4:5], exec, -1
; %bb.2719:
	s_or_b64 exec, exec, s[8:9]
	s_and_b64 s[4:5], s[4:5], exec
	s_or_saveexec_b64 s[6:7], s[6:7]
	v_mov_b32_e32 v6, s10
	s_xor_b64 exec, exec, s[6:7]
	s_cbranch_execz .LBB47_670
.LBB47_2720:
	v_mov_b32_e32 v6, 0
	v_cmp_ne_u16_sdwa s[8:9], v2, v6 src0_sel:BYTE_3 src1_sel:DWORD
	s_andn2_b64 s[4:5], s[4:5], exec
	s_and_b64 s[8:9], s[8:9], exec
	s_or_b64 s[4:5], s[4:5], s[8:9]
	s_or_b64 exec, exec, s[6:7]
	s_and_saveexec_b64 s[6:7], s[4:5]
	s_cbranch_execnz .LBB47_671
	s_branch .LBB47_672
.LBB47_2721:
	s_movk_i32 s4, 0x80
	v_cmp_eq_u16_sdwa s[12:13], v7, s4 src0_sel:BYTE_0 src1_sel:DWORD
	s_mov_b64 s[4:5], -1
                                        ; implicit-def: $sgpr10
	s_and_saveexec_b64 s[8:9], s[12:13]
; %bb.2722:
	s_mov_b32 s10, 0x7f800001
	s_xor_b64 s[4:5], exec, -1
; %bb.2723:
	s_or_b64 exec, exec, s[8:9]
	s_and_b64 s[4:5], s[4:5], exec
	s_or_saveexec_b64 s[6:7], s[6:7]
	v_mov_b32_e32 v2, s10
	s_xor_b64 exec, exec, s[6:7]
	s_cbranch_execz .LBB47_674
.LBB47_2724:
	v_mov_b32_e32 v2, 0
	v_cmp_ne_u16_sdwa s[8:9], v7, v2 src0_sel:BYTE_0 src1_sel:DWORD
	s_andn2_b64 s[4:5], s[4:5], exec
	s_and_b64 s[8:9], s[8:9], exec
	s_or_b64 s[4:5], s[4:5], s[8:9]
	s_or_b64 exec, exec, s[6:7]
	s_and_saveexec_b64 s[6:7], s[4:5]
	s_cbranch_execnz .LBB47_675
	s_branch .LBB47_676
.LBB47_2725:
	s_movk_i32 s4, 0x80
	v_cmp_eq_u16_sdwa s[12:13], v3, s4 src0_sel:BYTE_0 src1_sel:DWORD
	s_mov_b64 s[4:5], -1
                                        ; implicit-def: $sgpr10
	s_and_saveexec_b64 s[8:9], s[12:13]
; %bb.2726:
	s_mov_b32 s10, 0x7f800001
	s_xor_b64 s[4:5], exec, -1
; %bb.2727:
	s_or_b64 exec, exec, s[8:9]
	s_and_b64 s[4:5], s[4:5], exec
	s_or_saveexec_b64 s[6:7], s[6:7]
	v_mov_b32_e32 v6, s10
	s_xor_b64 exec, exec, s[6:7]
	s_cbranch_execz .LBB47_678
.LBB47_2728:
	v_mov_b32_e32 v6, 0
	v_cmp_ne_u16_sdwa s[8:9], v3, v6 src0_sel:BYTE_0 src1_sel:DWORD
	s_andn2_b64 s[4:5], s[4:5], exec
	s_and_b64 s[8:9], s[8:9], exec
	s_or_b64 s[4:5], s[4:5], s[8:9]
	s_or_b64 exec, exec, s[6:7]
	s_and_saveexec_b64 s[6:7], s[4:5]
	s_cbranch_execnz .LBB47_679
	s_branch .LBB47_680
.LBB47_2729:
	s_movk_i32 s4, 0x80
	v_cmp_eq_u16_sdwa s[12:13], v6, s4 src0_sel:BYTE_0 src1_sel:DWORD
	s_mov_b64 s[4:5], -1
                                        ; implicit-def: $sgpr10
	s_and_saveexec_b64 s[8:9], s[12:13]
; %bb.2730:
	s_mov_b32 s10, 0x7f800001
	s_xor_b64 s[4:5], exec, -1
; %bb.2731:
	s_or_b64 exec, exec, s[8:9]
	s_and_b64 s[4:5], s[4:5], exec
	s_or_saveexec_b64 s[6:7], s[6:7]
	v_mov_b32_e32 v2, s10
	s_xor_b64 exec, exec, s[6:7]
	s_cbranch_execz .LBB47_682
.LBB47_2732:
	v_mov_b32_e32 v2, 0
	v_cmp_ne_u16_sdwa s[8:9], v6, v2 src0_sel:BYTE_0 src1_sel:DWORD
	s_andn2_b64 s[4:5], s[4:5], exec
	s_and_b64 s[8:9], s[8:9], exec
	s_or_b64 s[4:5], s[4:5], s[8:9]
	s_or_b64 exec, exec, s[6:7]
	s_and_saveexec_b64 s[6:7], s[4:5]
	s_cbranch_execnz .LBB47_683
	s_branch .LBB47_684
.LBB47_2733:
	s_movk_i32 s4, 0x80
	v_cmp_eq_u16_sdwa s[12:13], v6, s4 src0_sel:BYTE_0 src1_sel:DWORD
	s_mov_b64 s[4:5], -1
                                        ; implicit-def: $sgpr10
	s_and_saveexec_b64 s[8:9], s[12:13]
; %bb.2734:
	s_mov_b32 s10, 0x7f800001
	s_xor_b64 s[4:5], exec, -1
; %bb.2735:
	s_or_b64 exec, exec, s[8:9]
	s_and_b64 s[4:5], s[4:5], exec
	s_or_saveexec_b64 s[6:7], s[6:7]
	v_mov_b32_e32 v10, s10
	s_xor_b64 exec, exec, s[6:7]
	s_cbranch_execz .LBB47_686
.LBB47_2736:
	v_mov_b32_e32 v10, 0
	v_cmp_ne_u16_sdwa s[8:9], v6, v10 src0_sel:BYTE_0 src1_sel:DWORD
	s_andn2_b64 s[4:5], s[4:5], exec
	s_and_b64 s[8:9], s[8:9], exec
	s_or_b64 s[4:5], s[4:5], s[8:9]
	s_or_b64 exec, exec, s[6:7]
	s_and_saveexec_b64 s[6:7], s[4:5]
	s_cbranch_execnz .LBB47_687
	s_branch .LBB47_688
.LBB47_2737:
	s_movk_i32 s4, 0x80
	v_cmp_eq_u16_e32 vcc, s4, v6
	s_mov_b64 s[4:5], -1
                                        ; implicit-def: $sgpr10
	s_and_saveexec_b64 s[8:9], vcc
; %bb.2738:
	s_mov_b32 s10, 0x7f800001
	s_xor_b64 s[4:5], exec, -1
; %bb.2739:
	s_or_b64 exec, exec, s[8:9]
	s_and_b64 s[4:5], s[4:5], exec
                                        ; implicit-def: $vgpr6
	s_or_saveexec_b64 s[6:7], s[6:7]
	v_mov_b32_e32 v2, s10
	s_xor_b64 exec, exec, s[6:7]
	s_cbranch_execz .LBB47_690
.LBB47_2740:
	v_cmp_ne_u16_e32 vcc, 0, v6
	s_andn2_b64 s[4:5], s[4:5], exec
	s_and_b64 s[8:9], vcc, exec
	v_mov_b32_e32 v2, 0
	s_or_b64 s[4:5], s[4:5], s[8:9]
	s_or_b64 exec, exec, s[6:7]
	s_and_saveexec_b64 s[6:7], s[4:5]
	s_cbranch_execnz .LBB47_691
	s_branch .LBB47_692
.LBB47_2741:
	s_movk_i32 s4, 0x80
	v_cmp_eq_u16_e32 vcc, s4, v6
	s_mov_b64 s[4:5], -1
                                        ; implicit-def: $sgpr10
	s_and_saveexec_b64 s[8:9], vcc
; %bb.2742:
	s_mov_b32 s10, 0x7f800001
	s_xor_b64 s[4:5], exec, -1
; %bb.2743:
	s_or_b64 exec, exec, s[8:9]
	s_and_b64 s[4:5], s[4:5], exec
                                        ; implicit-def: $vgpr6
	s_or_saveexec_b64 s[6:7], s[6:7]
	v_mov_b32_e32 v10, s10
	s_xor_b64 exec, exec, s[6:7]
	s_cbranch_execz .LBB47_694
.LBB47_2744:
	v_cmp_ne_u16_e32 vcc, 0, v6
	s_andn2_b64 s[4:5], s[4:5], exec
	s_and_b64 s[8:9], vcc, exec
	v_mov_b32_e32 v10, 0
	s_or_b64 s[4:5], s[4:5], s[8:9]
	s_or_b64 exec, exec, s[6:7]
	s_and_saveexec_b64 s[6:7], s[4:5]
	s_cbranch_execnz .LBB47_695
	s_branch .LBB47_696
.LBB47_2745:
	s_movk_i32 s4, 0x80
	v_cmp_eq_u16_sdwa s[12:13], v7, s4 src0_sel:BYTE_3 src1_sel:DWORD
	s_mov_b64 s[4:5], -1
                                        ; implicit-def: $sgpr10
	s_and_saveexec_b64 s[8:9], s[12:13]
; %bb.2746:
	s_mov_b32 s10, 0x7f800001
	s_xor_b64 s[4:5], exec, -1
; %bb.2747:
	s_or_b64 exec, exec, s[8:9]
	s_and_b64 s[4:5], s[4:5], exec
	s_or_saveexec_b64 s[6:7], s[6:7]
	v_mov_b32_e32 v2, s10
	s_xor_b64 exec, exec, s[6:7]
	s_cbranch_execz .LBB47_698
.LBB47_2748:
	v_mov_b32_e32 v2, 0
	v_cmp_ne_u16_sdwa s[8:9], v7, v2 src0_sel:BYTE_3 src1_sel:DWORD
	s_andn2_b64 s[4:5], s[4:5], exec
	s_and_b64 s[8:9], s[8:9], exec
	s_or_b64 s[4:5], s[4:5], s[8:9]
	s_or_b64 exec, exec, s[6:7]
	s_and_saveexec_b64 s[6:7], s[4:5]
	s_cbranch_execnz .LBB47_699
	s_branch .LBB47_700
.LBB47_2749:
	s_movk_i32 s4, 0x80
	v_cmp_eq_u16_sdwa s[12:13], v3, s4 src0_sel:BYTE_3 src1_sel:DWORD
	s_mov_b64 s[4:5], -1
                                        ; implicit-def: $sgpr10
	s_and_saveexec_b64 s[8:9], s[12:13]
; %bb.2750:
	s_mov_b32 s10, 0x7f800001
	s_xor_b64 s[4:5], exec, -1
; %bb.2751:
	s_or_b64 exec, exec, s[8:9]
	s_and_b64 s[4:5], s[4:5], exec
	s_or_saveexec_b64 s[6:7], s[6:7]
	v_mov_b32_e32 v6, s10
	s_xor_b64 exec, exec, s[6:7]
	s_cbranch_execz .LBB47_702
.LBB47_2752:
	v_mov_b32_e32 v6, 0
	v_cmp_ne_u16_sdwa s[8:9], v3, v6 src0_sel:BYTE_3 src1_sel:DWORD
	s_andn2_b64 s[4:5], s[4:5], exec
	s_and_b64 s[8:9], s[8:9], exec
	s_or_b64 s[4:5], s[4:5], s[8:9]
	s_or_b64 exec, exec, s[6:7]
	s_and_saveexec_b64 s[6:7], s[4:5]
	s_cbranch_execnz .LBB47_703
	s_branch .LBB47_704
.LBB47_2753:
	s_movk_i32 s4, 0x80
	v_cmp_eq_u16_sdwa s[12:13], v8, s4 src0_sel:BYTE_0 src1_sel:DWORD
	s_mov_b64 s[4:5], -1
                                        ; implicit-def: $sgpr10
	s_and_saveexec_b64 s[8:9], s[12:13]
; %bb.2754:
	s_mov_b32 s10, 0x7f800001
	s_xor_b64 s[4:5], exec, -1
; %bb.2755:
	s_or_b64 exec, exec, s[8:9]
	s_and_b64 s[4:5], s[4:5], exec
	s_or_saveexec_b64 s[6:7], s[6:7]
	v_mov_b32_e32 v2, s10
	s_xor_b64 exec, exec, s[6:7]
	s_cbranch_execz .LBB47_706
.LBB47_2756:
	v_mov_b32_e32 v2, 0
	v_cmp_ne_u16_sdwa s[8:9], v8, v2 src0_sel:BYTE_0 src1_sel:DWORD
	s_andn2_b64 s[4:5], s[4:5], exec
	s_and_b64 s[8:9], s[8:9], exec
	s_or_b64 s[4:5], s[4:5], s[8:9]
	s_or_b64 exec, exec, s[6:7]
	s_and_saveexec_b64 s[6:7], s[4:5]
	s_cbranch_execnz .LBB47_707
	s_branch .LBB47_708
.LBB47_2757:
	s_movk_i32 s4, 0x80
	v_cmp_eq_u16_sdwa s[12:13], v4, s4 src0_sel:BYTE_0 src1_sel:DWORD
	s_mov_b64 s[4:5], -1
                                        ; implicit-def: $sgpr10
	s_and_saveexec_b64 s[8:9], s[12:13]
; %bb.2758:
	s_mov_b32 s10, 0x7f800001
	s_xor_b64 s[4:5], exec, -1
; %bb.2759:
	s_or_b64 exec, exec, s[8:9]
	s_and_b64 s[4:5], s[4:5], exec
	s_or_saveexec_b64 s[6:7], s[6:7]
	v_mov_b32_e32 v3, s10
	s_xor_b64 exec, exec, s[6:7]
	s_cbranch_execz .LBB47_710
.LBB47_2760:
	v_mov_b32_e32 v3, 0
	v_cmp_ne_u16_sdwa s[8:9], v4, v3 src0_sel:BYTE_0 src1_sel:DWORD
	s_andn2_b64 s[4:5], s[4:5], exec
	s_and_b64 s[8:9], s[8:9], exec
	s_or_b64 s[4:5], s[4:5], s[8:9]
	s_or_b64 exec, exec, s[6:7]
	s_and_saveexec_b64 s[6:7], s[4:5]
	s_cbranch_execnz .LBB47_711
	s_branch .LBB47_712
.LBB47_2761:
	s_movk_i32 s4, 0x80
	v_cmp_eq_u16_sdwa s[12:13], v3, s4 src0_sel:BYTE_0 src1_sel:DWORD
	s_mov_b64 s[4:5], -1
                                        ; implicit-def: $sgpr10
	s_and_saveexec_b64 s[8:9], s[12:13]
; %bb.2762:
	s_mov_b32 s10, 0x7f800001
	s_xor_b64 s[4:5], exec, -1
; %bb.2763:
	s_or_b64 exec, exec, s[8:9]
	s_and_b64 s[4:5], s[4:5], exec
	s_or_saveexec_b64 s[6:7], s[6:7]
	v_mov_b32_e32 v2, s10
	s_xor_b64 exec, exec, s[6:7]
	s_cbranch_execz .LBB47_714
.LBB47_2764:
	v_mov_b32_e32 v2, 0
	v_cmp_ne_u16_sdwa s[8:9], v3, v2 src0_sel:BYTE_0 src1_sel:DWORD
	s_andn2_b64 s[4:5], s[4:5], exec
	s_and_b64 s[8:9], s[8:9], exec
	s_or_b64 s[4:5], s[4:5], s[8:9]
	s_or_b64 exec, exec, s[6:7]
	s_and_saveexec_b64 s[6:7], s[4:5]
	s_cbranch_execnz .LBB47_715
	s_branch .LBB47_716
.LBB47_2765:
	s_movk_i32 s4, 0x80
	v_cmp_eq_u16_sdwa s[12:13], v3, s4 src0_sel:BYTE_0 src1_sel:DWORD
	s_mov_b64 s[4:5], -1
                                        ; implicit-def: $sgpr10
	s_and_saveexec_b64 s[8:9], s[12:13]
; %bb.2766:
	s_mov_b32 s10, 0x7f800001
	s_xor_b64 s[4:5], exec, -1
; %bb.2767:
	s_or_b64 exec, exec, s[8:9]
	s_and_b64 s[4:5], s[4:5], exec
	s_or_saveexec_b64 s[6:7], s[6:7]
	v_mov_b32_e32 v6, s10
	s_xor_b64 exec, exec, s[6:7]
	s_cbranch_execz .LBB47_718
.LBB47_2768:
	v_mov_b32_e32 v6, 0
	v_cmp_ne_u16_sdwa s[8:9], v3, v6 src0_sel:BYTE_0 src1_sel:DWORD
	s_andn2_b64 s[4:5], s[4:5], exec
	s_and_b64 s[8:9], s[8:9], exec
	s_or_b64 s[4:5], s[4:5], s[8:9]
	s_or_b64 exec, exec, s[6:7]
	s_and_saveexec_b64 s[6:7], s[4:5]
	s_cbranch_execnz .LBB47_719
	s_branch .LBB47_720
.LBB47_2769:
	s_movk_i32 s4, 0x80
	v_cmp_eq_u16_e32 vcc, s4, v3
	s_mov_b64 s[4:5], -1
                                        ; implicit-def: $sgpr10
	s_and_saveexec_b64 s[8:9], vcc
; %bb.2770:
	s_mov_b32 s10, 0x7f800001
	s_xor_b64 s[4:5], exec, -1
; %bb.2771:
	s_or_b64 exec, exec, s[8:9]
	s_and_b64 s[4:5], s[4:5], exec
                                        ; implicit-def: $vgpr3
	s_or_saveexec_b64 s[6:7], s[6:7]
	v_mov_b32_e32 v2, s10
	s_xor_b64 exec, exec, s[6:7]
	s_cbranch_execz .LBB47_722
.LBB47_2772:
	v_cmp_ne_u16_e32 vcc, 0, v3
	s_andn2_b64 s[4:5], s[4:5], exec
	s_and_b64 s[8:9], vcc, exec
	v_mov_b32_e32 v2, 0
	s_or_b64 s[4:5], s[4:5], s[8:9]
	s_or_b64 exec, exec, s[6:7]
	s_and_saveexec_b64 s[6:7], s[4:5]
	s_cbranch_execnz .LBB47_723
	s_branch .LBB47_724
.LBB47_2773:
	s_movk_i32 s4, 0x80
	v_cmp_eq_u16_e32 vcc, s4, v3
	s_mov_b64 s[4:5], -1
                                        ; implicit-def: $sgpr10
	s_and_saveexec_b64 s[8:9], vcc
; %bb.2774:
	s_mov_b32 s10, 0x7f800001
	s_xor_b64 s[4:5], exec, -1
; %bb.2775:
	s_or_b64 exec, exec, s[8:9]
	s_and_b64 s[4:5], s[4:5], exec
                                        ; implicit-def: $vgpr3
	s_or_saveexec_b64 s[6:7], s[6:7]
	v_mov_b32_e32 v6, s10
	s_xor_b64 exec, exec, s[6:7]
	s_cbranch_execz .LBB47_726
.LBB47_2776:
	v_cmp_ne_u16_e32 vcc, 0, v3
	s_andn2_b64 s[4:5], s[4:5], exec
	s_and_b64 s[8:9], vcc, exec
	v_mov_b32_e32 v6, 0
	s_or_b64 s[4:5], s[4:5], s[8:9]
	s_or_b64 exec, exec, s[6:7]
	s_and_saveexec_b64 s[6:7], s[4:5]
	s_cbranch_execnz .LBB47_727
	s_branch .LBB47_728
.LBB47_2777:
	s_movk_i32 s4, 0x80
	v_cmp_eq_u16_sdwa s[12:13], v8, s4 src0_sel:BYTE_3 src1_sel:DWORD
	s_mov_b64 s[4:5], -1
                                        ; implicit-def: $sgpr10
	s_and_saveexec_b64 s[8:9], s[12:13]
; %bb.2778:
	s_mov_b32 s10, 0x7f800001
	s_xor_b64 s[4:5], exec, -1
; %bb.2779:
	s_or_b64 exec, exec, s[8:9]
	s_and_b64 s[4:5], s[4:5], exec
	s_or_saveexec_b64 s[6:7], s[6:7]
	v_mov_b32_e32 v2, s10
	s_xor_b64 exec, exec, s[6:7]
	s_cbranch_execz .LBB47_730
.LBB47_2780:
	v_mov_b32_e32 v2, 0
	v_cmp_ne_u16_sdwa s[8:9], v8, v2 src0_sel:BYTE_3 src1_sel:DWORD
	s_andn2_b64 s[4:5], s[4:5], exec
	s_and_b64 s[8:9], s[8:9], exec
	s_or_b64 s[4:5], s[4:5], s[8:9]
	s_or_b64 exec, exec, s[6:7]
	s_and_saveexec_b64 s[6:7], s[4:5]
	s_cbranch_execnz .LBB47_731
	s_branch .LBB47_732
.LBB47_2781:
	s_movk_i32 s4, 0x80
	v_cmp_eq_u16_sdwa s[12:13], v4, s4 src0_sel:BYTE_3 src1_sel:DWORD
	s_mov_b64 s[4:5], -1
                                        ; implicit-def: $sgpr10
	s_and_saveexec_b64 s[8:9], s[12:13]
; %bb.2782:
	s_mov_b32 s10, 0x7f800001
	s_xor_b64 s[4:5], exec, -1
; %bb.2783:
	s_or_b64 exec, exec, s[8:9]
	s_and_b64 s[4:5], s[4:5], exec
	s_or_saveexec_b64 s[6:7], s[6:7]
	v_mov_b32_e32 v3, s10
	s_xor_b64 exec, exec, s[6:7]
	s_cbranch_execz .LBB47_734
.LBB47_2784:
	v_mov_b32_e32 v3, 0
	v_cmp_ne_u16_sdwa s[8:9], v4, v3 src0_sel:BYTE_3 src1_sel:DWORD
	s_andn2_b64 s[4:5], s[4:5], exec
	s_and_b64 s[8:9], s[8:9], exec
	s_or_b64 s[4:5], s[4:5], s[8:9]
	s_or_b64 exec, exec, s[6:7]
	s_and_saveexec_b64 s[6:7], s[4:5]
	s_cbranch_execnz .LBB47_735
	s_branch .LBB47_736
.LBB47_2785:
	s_movk_i32 s4, 0x80
	v_cmp_eq_u16_sdwa s[12:13], v9, s4 src0_sel:BYTE_0 src1_sel:DWORD
	s_mov_b64 s[4:5], -1
                                        ; implicit-def: $sgpr10
	s_and_saveexec_b64 s[8:9], s[12:13]
; %bb.2786:
	s_mov_b32 s10, 0x7f800001
	s_xor_b64 s[4:5], exec, -1
; %bb.2787:
	s_or_b64 exec, exec, s[8:9]
	s_and_b64 s[4:5], s[4:5], exec
	s_or_saveexec_b64 s[6:7], s[6:7]
	v_mov_b32_e32 v2, s10
	s_xor_b64 exec, exec, s[6:7]
	s_cbranch_execz .LBB47_738
.LBB47_2788:
	v_mov_b32_e32 v2, 0
	v_cmp_ne_u16_sdwa s[8:9], v9, v2 src0_sel:BYTE_0 src1_sel:DWORD
	s_andn2_b64 s[4:5], s[4:5], exec
	s_and_b64 s[8:9], s[8:9], exec
	s_or_b64 s[4:5], s[4:5], s[8:9]
	s_or_b64 exec, exec, s[6:7]
	s_and_saveexec_b64 s[6:7], s[4:5]
	s_cbranch_execnz .LBB47_739
	s_branch .LBB47_740
.LBB47_2789:
	s_movk_i32 s4, 0x80
	v_cmp_eq_u16_sdwa s[12:13], v5, s4 src0_sel:BYTE_0 src1_sel:DWORD
	s_mov_b64 s[4:5], -1
                                        ; implicit-def: $sgpr10
	s_and_saveexec_b64 s[8:9], s[12:13]
; %bb.2790:
	s_mov_b32 s10, 0x7f800001
	s_xor_b64 s[4:5], exec, -1
; %bb.2791:
	s_or_b64 exec, exec, s[8:9]
	s_and_b64 s[4:5], s[4:5], exec
	s_or_saveexec_b64 s[6:7], s[6:7]
	v_mov_b32_e32 v3, s10
	s_xor_b64 exec, exec, s[6:7]
	s_cbranch_execz .LBB47_742
.LBB47_2792:
	v_mov_b32_e32 v3, 0
	v_cmp_ne_u16_sdwa s[8:9], v5, v3 src0_sel:BYTE_0 src1_sel:DWORD
	s_andn2_b64 s[4:5], s[4:5], exec
	s_and_b64 s[8:9], s[8:9], exec
	s_or_b64 s[4:5], s[4:5], s[8:9]
	s_or_b64 exec, exec, s[6:7]
	s_and_saveexec_b64 s[6:7], s[4:5]
	s_cbranch_execnz .LBB47_743
	s_branch .LBB47_744
.LBB47_2793:
	s_movk_i32 s4, 0x80
	v_cmp_eq_u16_sdwa s[12:13], v3, s4 src0_sel:BYTE_0 src1_sel:DWORD
	s_mov_b64 s[4:5], -1
                                        ; implicit-def: $sgpr10
	s_and_saveexec_b64 s[8:9], s[12:13]
; %bb.2794:
	s_mov_b32 s10, 0x7f800001
	s_xor_b64 s[4:5], exec, -1
; %bb.2795:
	s_or_b64 exec, exec, s[8:9]
	s_and_b64 s[4:5], s[4:5], exec
	s_or_saveexec_b64 s[6:7], s[6:7]
	v_mov_b32_e32 v2, s10
	s_xor_b64 exec, exec, s[6:7]
	s_cbranch_execz .LBB47_746
.LBB47_2796:
	v_mov_b32_e32 v2, 0
	v_cmp_ne_u16_sdwa s[8:9], v3, v2 src0_sel:BYTE_0 src1_sel:DWORD
	s_andn2_b64 s[4:5], s[4:5], exec
	s_and_b64 s[8:9], s[8:9], exec
	s_or_b64 s[4:5], s[4:5], s[8:9]
	s_or_b64 exec, exec, s[6:7]
	s_and_saveexec_b64 s[6:7], s[4:5]
	s_cbranch_execnz .LBB47_747
	s_branch .LBB47_748
.LBB47_2797:
	s_movk_i32 s4, 0x80
	v_cmp_eq_u16_sdwa s[12:13], v3, s4 src0_sel:BYTE_0 src1_sel:DWORD
	s_mov_b64 s[4:5], -1
                                        ; implicit-def: $sgpr10
	s_and_saveexec_b64 s[8:9], s[12:13]
; %bb.2798:
	s_mov_b32 s10, 0x7f800001
	s_xor_b64 s[4:5], exec, -1
; %bb.2799:
	s_or_b64 exec, exec, s[8:9]
	s_and_b64 s[4:5], s[4:5], exec
	s_or_saveexec_b64 s[6:7], s[6:7]
	v_mov_b32_e32 v4, s10
	s_xor_b64 exec, exec, s[6:7]
	s_cbranch_execz .LBB47_750
.LBB47_2800:
	v_mov_b32_e32 v4, 0
	v_cmp_ne_u16_sdwa s[8:9], v3, v4 src0_sel:BYTE_0 src1_sel:DWORD
	s_andn2_b64 s[4:5], s[4:5], exec
	s_and_b64 s[8:9], s[8:9], exec
	s_or_b64 s[4:5], s[4:5], s[8:9]
	s_or_b64 exec, exec, s[6:7]
	s_and_saveexec_b64 s[6:7], s[4:5]
	s_cbranch_execnz .LBB47_751
	s_branch .LBB47_752
.LBB47_2801:
	s_movk_i32 s4, 0x80
	v_cmp_eq_u16_e32 vcc, s4, v3
	s_mov_b64 s[4:5], -1
                                        ; implicit-def: $sgpr10
	s_and_saveexec_b64 s[8:9], vcc
; %bb.2802:
	s_mov_b32 s10, 0x7f800001
	s_xor_b64 s[4:5], exec, -1
; %bb.2803:
	s_or_b64 exec, exec, s[8:9]
	s_and_b64 s[4:5], s[4:5], exec
                                        ; implicit-def: $vgpr3
	s_or_saveexec_b64 s[6:7], s[6:7]
	v_mov_b32_e32 v2, s10
	s_xor_b64 exec, exec, s[6:7]
	s_cbranch_execz .LBB47_754
.LBB47_2804:
	v_cmp_ne_u16_e32 vcc, 0, v3
	s_andn2_b64 s[4:5], s[4:5], exec
	s_and_b64 s[8:9], vcc, exec
	v_mov_b32_e32 v2, 0
	s_or_b64 s[4:5], s[4:5], s[8:9]
	s_or_b64 exec, exec, s[6:7]
	s_and_saveexec_b64 s[6:7], s[4:5]
	s_cbranch_execnz .LBB47_755
	s_branch .LBB47_756
.LBB47_2805:
	s_movk_i32 s4, 0x80
	v_cmp_eq_u16_e32 vcc, s4, v3
	s_mov_b64 s[4:5], -1
                                        ; implicit-def: $sgpr10
	s_and_saveexec_b64 s[8:9], vcc
; %bb.2806:
	s_mov_b32 s10, 0x7f800001
	s_xor_b64 s[4:5], exec, -1
; %bb.2807:
	s_or_b64 exec, exec, s[8:9]
	s_and_b64 s[4:5], s[4:5], exec
                                        ; implicit-def: $vgpr3
	s_or_saveexec_b64 s[6:7], s[6:7]
	v_mov_b32_e32 v4, s10
	s_xor_b64 exec, exec, s[6:7]
	s_cbranch_execz .LBB47_758
.LBB47_2808:
	v_cmp_ne_u16_e32 vcc, 0, v3
	s_andn2_b64 s[4:5], s[4:5], exec
	s_and_b64 s[8:9], vcc, exec
	v_mov_b32_e32 v4, 0
	s_or_b64 s[4:5], s[4:5], s[8:9]
	s_or_b64 exec, exec, s[6:7]
	s_and_saveexec_b64 s[6:7], s[4:5]
	s_cbranch_execnz .LBB47_759
	s_branch .LBB47_760
.LBB47_2809:
	s_movk_i32 s4, 0x80
	v_cmp_eq_u16_sdwa s[12:13], v9, s4 src0_sel:BYTE_3 src1_sel:DWORD
	s_mov_b64 s[4:5], -1
                                        ; implicit-def: $sgpr10
	s_and_saveexec_b64 s[8:9], s[12:13]
; %bb.2810:
	s_mov_b32 s10, 0x7f800001
	s_xor_b64 s[4:5], exec, -1
; %bb.2811:
	s_or_b64 exec, exec, s[8:9]
	s_and_b64 s[4:5], s[4:5], exec
	s_or_saveexec_b64 s[6:7], s[6:7]
	v_mov_b32_e32 v2, s10
	s_xor_b64 exec, exec, s[6:7]
	s_cbranch_execz .LBB47_762
.LBB47_2812:
	v_mov_b32_e32 v2, 0
	v_cmp_ne_u16_sdwa s[8:9], v9, v2 src0_sel:BYTE_3 src1_sel:DWORD
	s_andn2_b64 s[4:5], s[4:5], exec
	s_and_b64 s[8:9], s[8:9], exec
	s_or_b64 s[4:5], s[4:5], s[8:9]
	s_or_b64 exec, exec, s[6:7]
	s_and_saveexec_b64 s[6:7], s[4:5]
	s_cbranch_execnz .LBB47_763
	s_branch .LBB47_764
.LBB47_2813:
	s_movk_i32 s4, 0x80
	v_cmp_eq_u16_sdwa s[12:13], v5, s4 src0_sel:BYTE_3 src1_sel:DWORD
	s_mov_b64 s[4:5], -1
                                        ; implicit-def: $sgpr10
	s_and_saveexec_b64 s[8:9], s[12:13]
; %bb.2814:
	s_mov_b32 s10, 0x7f800001
	s_xor_b64 s[4:5], exec, -1
; %bb.2815:
	s_or_b64 exec, exec, s[8:9]
	s_and_b64 s[4:5], s[4:5], exec
	s_or_saveexec_b64 s[6:7], s[6:7]
	v_mov_b32_e32 v3, s10
	s_xor_b64 exec, exec, s[6:7]
	s_cbranch_execz .LBB47_766
.LBB47_2816:
	v_mov_b32_e32 v3, 0
	v_cmp_ne_u16_sdwa s[8:9], v5, v3 src0_sel:BYTE_3 src1_sel:DWORD
	s_andn2_b64 s[4:5], s[4:5], exec
	s_and_b64 s[8:9], s[8:9], exec
	s_or_b64 s[4:5], s[4:5], s[8:9]
	s_or_b64 exec, exec, s[6:7]
	s_and_saveexec_b64 s[6:7], s[4:5]
	s_cbranch_execnz .LBB47_767
	s_branch .LBB47_768
.LBB47_2817:
	s_movk_i32 s4, 0x80
	v_cmp_eq_u16_sdwa s[12:13], v14, s4 src0_sel:BYTE_0 src1_sel:DWORD
	s_mov_b64 s[4:5], -1
                                        ; implicit-def: $sgpr10
	s_and_saveexec_b64 s[8:9], s[12:13]
; %bb.2818:
	s_mov_b32 s10, 0x7f800001
	s_xor_b64 s[4:5], exec, -1
; %bb.2819:
	s_or_b64 exec, exec, s[8:9]
	s_and_b64 s[4:5], s[4:5], exec
	s_or_saveexec_b64 s[6:7], s[6:7]
	v_mov_b32_e32 v20, s10
	s_xor_b64 exec, exec, s[6:7]
	s_cbranch_execz .LBB47_770
.LBB47_2820:
	v_mov_b32_e32 v20, 0
	v_cmp_ne_u16_sdwa s[8:9], v14, v20 src0_sel:BYTE_0 src1_sel:DWORD
	s_andn2_b64 s[4:5], s[4:5], exec
	s_and_b64 s[8:9], s[8:9], exec
	s_or_b64 s[4:5], s[4:5], s[8:9]
	s_or_b64 exec, exec, s[6:7]
	s_and_saveexec_b64 s[6:7], s[4:5]
	s_cbranch_execnz .LBB47_771
	s_branch .LBB47_772
.LBB47_2821:
	s_movk_i32 s4, 0x80
	v_cmp_eq_u16_sdwa s[12:13], v10, s4 src0_sel:BYTE_0 src1_sel:DWORD
	s_mov_b64 s[4:5], -1
                                        ; implicit-def: $sgpr10
	s_and_saveexec_b64 s[8:9], s[12:13]
; %bb.2822:
	s_mov_b32 s10, 0x7f800001
	s_xor_b64 s[4:5], exec, -1
; %bb.2823:
	s_or_b64 exec, exec, s[8:9]
	s_and_b64 s[4:5], s[4:5], exec
	s_or_saveexec_b64 s[6:7], s[6:7]
	v_mov_b32_e32 v21, s10
	s_xor_b64 exec, exec, s[6:7]
	s_cbranch_execz .LBB47_774
.LBB47_2824:
	v_mov_b32_e32 v21, 0
	v_cmp_ne_u16_sdwa s[8:9], v10, v21 src0_sel:BYTE_0 src1_sel:DWORD
	s_andn2_b64 s[4:5], s[4:5], exec
	s_and_b64 s[8:9], s[8:9], exec
	s_or_b64 s[4:5], s[4:5], s[8:9]
	s_or_b64 exec, exec, s[6:7]
	s_and_saveexec_b64 s[6:7], s[4:5]
	s_cbranch_execnz .LBB47_775
	s_branch .LBB47_776
.LBB47_2825:
	s_movk_i32 s4, 0x80
	v_cmp_eq_u16_sdwa s[12:13], v21, s4 src0_sel:BYTE_0 src1_sel:DWORD
	s_mov_b64 s[4:5], -1
                                        ; implicit-def: $sgpr10
	s_and_saveexec_b64 s[8:9], s[12:13]
; %bb.2826:
	s_mov_b32 s10, 0x7f800001
	s_xor_b64 s[4:5], exec, -1
; %bb.2827:
	s_or_b64 exec, exec, s[8:9]
	s_and_b64 s[4:5], s[4:5], exec
	s_or_saveexec_b64 s[6:7], s[6:7]
	v_mov_b32_e32 v20, s10
	s_xor_b64 exec, exec, s[6:7]
	s_cbranch_execz .LBB47_778
.LBB47_2828:
	v_mov_b32_e32 v20, 0
	v_cmp_ne_u16_sdwa s[8:9], v21, v20 src0_sel:BYTE_0 src1_sel:DWORD
	s_andn2_b64 s[4:5], s[4:5], exec
	s_and_b64 s[8:9], s[8:9], exec
	s_or_b64 s[4:5], s[4:5], s[8:9]
	s_or_b64 exec, exec, s[6:7]
	s_and_saveexec_b64 s[6:7], s[4:5]
	s_cbranch_execnz .LBB47_779
	s_branch .LBB47_780
.LBB47_2829:
	s_movk_i32 s4, 0x80
	v_cmp_eq_u16_sdwa s[12:13], v21, s4 src0_sel:BYTE_0 src1_sel:DWORD
	s_mov_b64 s[4:5], -1
                                        ; implicit-def: $sgpr10
	s_and_saveexec_b64 s[8:9], s[12:13]
; %bb.2830:
	s_mov_b32 s10, 0x7f800001
	s_xor_b64 s[4:5], exec, -1
; %bb.2831:
	s_or_b64 exec, exec, s[8:9]
	s_and_b64 s[4:5], s[4:5], exec
	s_or_saveexec_b64 s[6:7], s[6:7]
	v_mov_b32_e32 v22, s10
	s_xor_b64 exec, exec, s[6:7]
	s_cbranch_execz .LBB47_782
.LBB47_2832:
	v_mov_b32_e32 v22, 0
	v_cmp_ne_u16_sdwa s[8:9], v21, v22 src0_sel:BYTE_0 src1_sel:DWORD
	s_andn2_b64 s[4:5], s[4:5], exec
	s_and_b64 s[8:9], s[8:9], exec
	s_or_b64 s[4:5], s[4:5], s[8:9]
	s_or_b64 exec, exec, s[6:7]
	s_and_saveexec_b64 s[6:7], s[4:5]
	s_cbranch_execnz .LBB47_783
	s_branch .LBB47_784
.LBB47_2833:
	s_movk_i32 s4, 0x80
	v_cmp_eq_u16_e32 vcc, s4, v21
	s_mov_b64 s[4:5], -1
                                        ; implicit-def: $sgpr10
	s_and_saveexec_b64 s[8:9], vcc
; %bb.2834:
	s_mov_b32 s10, 0x7f800001
	s_xor_b64 s[4:5], exec, -1
; %bb.2835:
	s_or_b64 exec, exec, s[8:9]
	s_and_b64 s[4:5], s[4:5], exec
                                        ; implicit-def: $vgpr21
	s_or_saveexec_b64 s[6:7], s[6:7]
	v_mov_b32_e32 v20, s10
	s_xor_b64 exec, exec, s[6:7]
	s_cbranch_execz .LBB47_786
.LBB47_2836:
	v_cmp_ne_u16_e32 vcc, 0, v21
	s_andn2_b64 s[4:5], s[4:5], exec
	s_and_b64 s[8:9], vcc, exec
	v_mov_b32_e32 v20, 0
	s_or_b64 s[4:5], s[4:5], s[8:9]
	s_or_b64 exec, exec, s[6:7]
	s_and_saveexec_b64 s[6:7], s[4:5]
	s_cbranch_execnz .LBB47_787
	s_branch .LBB47_788
.LBB47_2837:
	s_movk_i32 s4, 0x80
	v_cmp_eq_u16_e32 vcc, s4, v21
	s_mov_b64 s[4:5], -1
                                        ; implicit-def: $sgpr10
	s_and_saveexec_b64 s[8:9], vcc
; %bb.2838:
	s_mov_b32 s10, 0x7f800001
	s_xor_b64 s[4:5], exec, -1
; %bb.2839:
	s_or_b64 exec, exec, s[8:9]
	s_and_b64 s[4:5], s[4:5], exec
                                        ; implicit-def: $vgpr21
	s_or_saveexec_b64 s[6:7], s[6:7]
	v_mov_b32_e32 v22, s10
	s_xor_b64 exec, exec, s[6:7]
	s_cbranch_execz .LBB47_790
.LBB47_2840:
	v_cmp_ne_u16_e32 vcc, 0, v21
	s_andn2_b64 s[4:5], s[4:5], exec
	s_and_b64 s[8:9], vcc, exec
	v_mov_b32_e32 v22, 0
	s_or_b64 s[4:5], s[4:5], s[8:9]
	s_or_b64 exec, exec, s[6:7]
	s_and_saveexec_b64 s[6:7], s[4:5]
	s_cbranch_execnz .LBB47_791
	s_branch .LBB47_792
.LBB47_2841:
	s_movk_i32 s4, 0x80
	v_cmp_eq_u16_sdwa s[12:13], v14, s4 src0_sel:BYTE_3 src1_sel:DWORD
	s_mov_b64 s[4:5], -1
                                        ; implicit-def: $sgpr10
	s_and_saveexec_b64 s[8:9], s[12:13]
; %bb.2842:
	s_mov_b32 s10, 0x7f800001
	s_xor_b64 s[4:5], exec, -1
; %bb.2843:
	s_or_b64 exec, exec, s[8:9]
	s_and_b64 s[4:5], s[4:5], exec
	s_or_saveexec_b64 s[6:7], s[6:7]
	v_mov_b32_e32 v20, s10
	s_xor_b64 exec, exec, s[6:7]
	s_cbranch_execz .LBB47_794
.LBB47_2844:
	v_mov_b32_e32 v20, 0
	v_cmp_ne_u16_sdwa s[8:9], v14, v20 src0_sel:BYTE_3 src1_sel:DWORD
	s_andn2_b64 s[4:5], s[4:5], exec
	s_and_b64 s[8:9], s[8:9], exec
	s_or_b64 s[4:5], s[4:5], s[8:9]
	s_or_b64 exec, exec, s[6:7]
	s_and_saveexec_b64 s[6:7], s[4:5]
	s_cbranch_execnz .LBB47_795
	s_branch .LBB47_796
.LBB47_2845:
	s_movk_i32 s4, 0x80
	v_cmp_eq_u16_sdwa s[12:13], v10, s4 src0_sel:BYTE_3 src1_sel:DWORD
	s_mov_b64 s[4:5], -1
                                        ; implicit-def: $sgpr10
	s_and_saveexec_b64 s[8:9], s[12:13]
; %bb.2846:
	s_mov_b32 s10, 0x7f800001
	s_xor_b64 s[4:5], exec, -1
; %bb.2847:
	s_or_b64 exec, exec, s[8:9]
	s_and_b64 s[4:5], s[4:5], exec
	s_or_saveexec_b64 s[6:7], s[6:7]
	v_mov_b32_e32 v14, s10
	s_xor_b64 exec, exec, s[6:7]
	s_cbranch_execz .LBB47_798
.LBB47_2848:
	v_mov_b32_e32 v14, 0
	v_cmp_ne_u16_sdwa s[8:9], v10, v14 src0_sel:BYTE_3 src1_sel:DWORD
	s_andn2_b64 s[4:5], s[4:5], exec
	s_and_b64 s[8:9], s[8:9], exec
	s_or_b64 s[4:5], s[4:5], s[8:9]
	s_or_b64 exec, exec, s[6:7]
	s_and_saveexec_b64 s[6:7], s[4:5]
	s_cbranch_execnz .LBB47_799
	s_branch .LBB47_800
.LBB47_2849:
	s_movk_i32 s4, 0x80
	v_cmp_eq_u16_sdwa s[12:13], v15, s4 src0_sel:BYTE_0 src1_sel:DWORD
	s_mov_b64 s[4:5], -1
                                        ; implicit-def: $sgpr10
	s_and_saveexec_b64 s[8:9], s[12:13]
; %bb.2850:
	s_mov_b32 s10, 0x7f800001
	s_xor_b64 s[4:5], exec, -1
; %bb.2851:
	s_or_b64 exec, exec, s[8:9]
	s_and_b64 s[4:5], s[4:5], exec
	s_or_saveexec_b64 s[6:7], s[6:7]
	v_mov_b32_e32 v10, s10
	s_xor_b64 exec, exec, s[6:7]
	s_cbranch_execz .LBB47_802
.LBB47_2852:
	v_mov_b32_e32 v10, 0
	v_cmp_ne_u16_sdwa s[8:9], v15, v10 src0_sel:BYTE_0 src1_sel:DWORD
	s_andn2_b64 s[4:5], s[4:5], exec
	s_and_b64 s[8:9], s[8:9], exec
	s_or_b64 s[4:5], s[4:5], s[8:9]
	s_or_b64 exec, exec, s[6:7]
	s_and_saveexec_b64 s[6:7], s[4:5]
	s_cbranch_execnz .LBB47_803
	s_branch .LBB47_804
.LBB47_2853:
	s_movk_i32 s4, 0x80
	v_cmp_eq_u16_sdwa s[12:13], v11, s4 src0_sel:BYTE_0 src1_sel:DWORD
	s_mov_b64 s[4:5], -1
                                        ; implicit-def: $sgpr10
	s_and_saveexec_b64 s[8:9], s[12:13]
; %bb.2854:
	s_mov_b32 s10, 0x7f800001
	s_xor_b64 s[4:5], exec, -1
; %bb.2855:
	s_or_b64 exec, exec, s[8:9]
	s_and_b64 s[4:5], s[4:5], exec
	s_or_saveexec_b64 s[6:7], s[6:7]
	v_mov_b32_e32 v14, s10
	s_xor_b64 exec, exec, s[6:7]
	s_cbranch_execz .LBB47_806
.LBB47_2856:
	v_mov_b32_e32 v14, 0
	v_cmp_ne_u16_sdwa s[8:9], v11, v14 src0_sel:BYTE_0 src1_sel:DWORD
	s_andn2_b64 s[4:5], s[4:5], exec
	s_and_b64 s[8:9], s[8:9], exec
	s_or_b64 s[4:5], s[4:5], s[8:9]
	s_or_b64 exec, exec, s[6:7]
	s_and_saveexec_b64 s[6:7], s[4:5]
	s_cbranch_execnz .LBB47_807
	s_branch .LBB47_808
.LBB47_2857:
	s_movk_i32 s4, 0x80
	v_cmp_eq_u16_sdwa s[12:13], v14, s4 src0_sel:BYTE_0 src1_sel:DWORD
	s_mov_b64 s[4:5], -1
                                        ; implicit-def: $sgpr10
	s_and_saveexec_b64 s[8:9], s[12:13]
; %bb.2858:
	s_mov_b32 s10, 0x7f800001
	s_xor_b64 s[4:5], exec, -1
; %bb.2859:
	s_or_b64 exec, exec, s[8:9]
	s_and_b64 s[4:5], s[4:5], exec
	s_or_saveexec_b64 s[6:7], s[6:7]
	v_mov_b32_e32 v10, s10
	s_xor_b64 exec, exec, s[6:7]
	s_cbranch_execz .LBB47_810
.LBB47_2860:
	v_mov_b32_e32 v10, 0
	v_cmp_ne_u16_sdwa s[8:9], v14, v10 src0_sel:BYTE_0 src1_sel:DWORD
	s_andn2_b64 s[4:5], s[4:5], exec
	s_and_b64 s[8:9], s[8:9], exec
	s_or_b64 s[4:5], s[4:5], s[8:9]
	s_or_b64 exec, exec, s[6:7]
	s_and_saveexec_b64 s[6:7], s[4:5]
	s_cbranch_execnz .LBB47_811
	s_branch .LBB47_812
.LBB47_2861:
	s_movk_i32 s4, 0x80
	v_cmp_eq_u16_sdwa s[12:13], v14, s4 src0_sel:BYTE_0 src1_sel:DWORD
	s_mov_b64 s[4:5], -1
                                        ; implicit-def: $sgpr10
	s_and_saveexec_b64 s[8:9], s[12:13]
; %bb.2862:
	s_mov_b32 s10, 0x7f800001
	s_xor_b64 s[4:5], exec, -1
; %bb.2863:
	s_or_b64 exec, exec, s[8:9]
	s_and_b64 s[4:5], s[4:5], exec
	s_or_saveexec_b64 s[6:7], s[6:7]
	v_mov_b32_e32 v20, s10
	s_xor_b64 exec, exec, s[6:7]
	s_cbranch_execz .LBB47_814
.LBB47_2864:
	v_mov_b32_e32 v20, 0
	v_cmp_ne_u16_sdwa s[8:9], v14, v20 src0_sel:BYTE_0 src1_sel:DWORD
	s_andn2_b64 s[4:5], s[4:5], exec
	s_and_b64 s[8:9], s[8:9], exec
	s_or_b64 s[4:5], s[4:5], s[8:9]
	s_or_b64 exec, exec, s[6:7]
	s_and_saveexec_b64 s[6:7], s[4:5]
	s_cbranch_execnz .LBB47_815
	s_branch .LBB47_816
.LBB47_2865:
	s_movk_i32 s4, 0x80
	v_cmp_eq_u16_e32 vcc, s4, v14
	s_mov_b64 s[4:5], -1
                                        ; implicit-def: $sgpr10
	s_and_saveexec_b64 s[8:9], vcc
; %bb.2866:
	s_mov_b32 s10, 0x7f800001
	s_xor_b64 s[4:5], exec, -1
; %bb.2867:
	s_or_b64 exec, exec, s[8:9]
	s_and_b64 s[4:5], s[4:5], exec
                                        ; implicit-def: $vgpr14
	s_or_saveexec_b64 s[6:7], s[6:7]
	v_mov_b32_e32 v10, s10
	s_xor_b64 exec, exec, s[6:7]
	s_cbranch_execz .LBB47_818
.LBB47_2868:
	v_cmp_ne_u16_e32 vcc, 0, v14
	s_andn2_b64 s[4:5], s[4:5], exec
	s_and_b64 s[8:9], vcc, exec
	v_mov_b32_e32 v10, 0
	s_or_b64 s[4:5], s[4:5], s[8:9]
	s_or_b64 exec, exec, s[6:7]
	s_and_saveexec_b64 s[6:7], s[4:5]
	s_cbranch_execnz .LBB47_819
	s_branch .LBB47_820
.LBB47_2869:
	s_movk_i32 s4, 0x80
	v_cmp_eq_u16_e32 vcc, s4, v14
	s_mov_b64 s[4:5], -1
                                        ; implicit-def: $sgpr10
	s_and_saveexec_b64 s[8:9], vcc
; %bb.2870:
	s_mov_b32 s10, 0x7f800001
	s_xor_b64 s[4:5], exec, -1
; %bb.2871:
	s_or_b64 exec, exec, s[8:9]
	s_and_b64 s[4:5], s[4:5], exec
                                        ; implicit-def: $vgpr14
	s_or_saveexec_b64 s[6:7], s[6:7]
	v_mov_b32_e32 v20, s10
	s_xor_b64 exec, exec, s[6:7]
	s_cbranch_execz .LBB47_822
.LBB47_2872:
	v_cmp_ne_u16_e32 vcc, 0, v14
	s_andn2_b64 s[4:5], s[4:5], exec
	s_and_b64 s[8:9], vcc, exec
	v_mov_b32_e32 v20, 0
	s_or_b64 s[4:5], s[4:5], s[8:9]
	s_or_b64 exec, exec, s[6:7]
	s_and_saveexec_b64 s[6:7], s[4:5]
	s_cbranch_execnz .LBB47_823
	s_branch .LBB47_824
.LBB47_2873:
	s_movk_i32 s4, 0x80
	v_cmp_eq_u16_sdwa s[12:13], v15, s4 src0_sel:BYTE_3 src1_sel:DWORD
	s_mov_b64 s[4:5], -1
                                        ; implicit-def: $sgpr10
	s_and_saveexec_b64 s[8:9], s[12:13]
; %bb.2874:
	s_mov_b32 s10, 0x7f800001
	s_xor_b64 s[4:5], exec, -1
; %bb.2875:
	s_or_b64 exec, exec, s[8:9]
	s_and_b64 s[4:5], s[4:5], exec
	s_or_saveexec_b64 s[6:7], s[6:7]
	v_mov_b32_e32 v10, s10
	s_xor_b64 exec, exec, s[6:7]
	s_cbranch_execz .LBB47_826
.LBB47_2876:
	v_mov_b32_e32 v10, 0
	v_cmp_ne_u16_sdwa s[8:9], v15, v10 src0_sel:BYTE_3 src1_sel:DWORD
	s_andn2_b64 s[4:5], s[4:5], exec
	s_and_b64 s[8:9], s[8:9], exec
	s_or_b64 s[4:5], s[4:5], s[8:9]
	s_or_b64 exec, exec, s[6:7]
	s_and_saveexec_b64 s[6:7], s[4:5]
	s_cbranch_execnz .LBB47_827
	s_branch .LBB47_828
.LBB47_2877:
	s_movk_i32 s4, 0x80
	v_cmp_eq_u16_sdwa s[12:13], v11, s4 src0_sel:BYTE_3 src1_sel:DWORD
	s_mov_b64 s[4:5], -1
                                        ; implicit-def: $sgpr10
	s_and_saveexec_b64 s[8:9], s[12:13]
; %bb.2878:
	s_mov_b32 s10, 0x7f800001
	s_xor_b64 s[4:5], exec, -1
; %bb.2879:
	s_or_b64 exec, exec, s[8:9]
	s_and_b64 s[4:5], s[4:5], exec
	s_or_saveexec_b64 s[6:7], s[6:7]
	v_mov_b32_e32 v14, s10
	s_xor_b64 exec, exec, s[6:7]
	s_cbranch_execz .LBB47_830
.LBB47_2880:
	v_mov_b32_e32 v14, 0
	v_cmp_ne_u16_sdwa s[8:9], v11, v14 src0_sel:BYTE_3 src1_sel:DWORD
	s_andn2_b64 s[4:5], s[4:5], exec
	s_and_b64 s[8:9], s[8:9], exec
	s_or_b64 s[4:5], s[4:5], s[8:9]
	s_or_b64 exec, exec, s[6:7]
	s_and_saveexec_b64 s[6:7], s[4:5]
	s_cbranch_execnz .LBB47_831
	s_branch .LBB47_832
.LBB47_2881:
	s_movk_i32 s4, 0x80
	v_cmp_eq_u16_sdwa s[12:13], v16, s4 src0_sel:BYTE_0 src1_sel:DWORD
	s_mov_b64 s[4:5], -1
                                        ; implicit-def: $sgpr10
	s_and_saveexec_b64 s[8:9], s[12:13]
; %bb.2882:
	s_mov_b32 s10, 0x7f800001
	s_xor_b64 s[4:5], exec, -1
; %bb.2883:
	s_or_b64 exec, exec, s[8:9]
	s_and_b64 s[4:5], s[4:5], exec
	s_or_saveexec_b64 s[6:7], s[6:7]
	v_mov_b32_e32 v10, s10
	s_xor_b64 exec, exec, s[6:7]
	s_cbranch_execz .LBB47_834
.LBB47_2884:
	v_mov_b32_e32 v10, 0
	v_cmp_ne_u16_sdwa s[8:9], v16, v10 src0_sel:BYTE_0 src1_sel:DWORD
	s_andn2_b64 s[4:5], s[4:5], exec
	s_and_b64 s[8:9], s[8:9], exec
	s_or_b64 s[4:5], s[4:5], s[8:9]
	s_or_b64 exec, exec, s[6:7]
	s_and_saveexec_b64 s[6:7], s[4:5]
	s_cbranch_execnz .LBB47_835
	s_branch .LBB47_836
.LBB47_2885:
	s_movk_i32 s4, 0x80
	v_cmp_eq_u16_sdwa s[12:13], v12, s4 src0_sel:BYTE_0 src1_sel:DWORD
	s_mov_b64 s[4:5], -1
                                        ; implicit-def: $sgpr10
	s_and_saveexec_b64 s[8:9], s[12:13]
; %bb.2886:
	s_mov_b32 s10, 0x7f800001
	s_xor_b64 s[4:5], exec, -1
; %bb.2887:
	s_or_b64 exec, exec, s[8:9]
	s_and_b64 s[4:5], s[4:5], exec
	s_or_saveexec_b64 s[6:7], s[6:7]
	v_mov_b32_e32 v11, s10
	s_xor_b64 exec, exec, s[6:7]
	s_cbranch_execz .LBB47_838
.LBB47_2888:
	v_mov_b32_e32 v11, 0
	v_cmp_ne_u16_sdwa s[8:9], v12, v11 src0_sel:BYTE_0 src1_sel:DWORD
	s_andn2_b64 s[4:5], s[4:5], exec
	s_and_b64 s[8:9], s[8:9], exec
	s_or_b64 s[4:5], s[4:5], s[8:9]
	s_or_b64 exec, exec, s[6:7]
	s_and_saveexec_b64 s[6:7], s[4:5]
	s_cbranch_execnz .LBB47_839
	s_branch .LBB47_840
.LBB47_2889:
	s_movk_i32 s4, 0x80
	v_cmp_eq_u16_sdwa s[12:13], v11, s4 src0_sel:BYTE_0 src1_sel:DWORD
	s_mov_b64 s[4:5], -1
                                        ; implicit-def: $sgpr10
	s_and_saveexec_b64 s[8:9], s[12:13]
; %bb.2890:
	s_mov_b32 s10, 0x7f800001
	s_xor_b64 s[4:5], exec, -1
; %bb.2891:
	s_or_b64 exec, exec, s[8:9]
	s_and_b64 s[4:5], s[4:5], exec
	s_or_saveexec_b64 s[6:7], s[6:7]
	v_mov_b32_e32 v10, s10
	s_xor_b64 exec, exec, s[6:7]
	s_cbranch_execz .LBB47_842
.LBB47_2892:
	v_mov_b32_e32 v10, 0
	v_cmp_ne_u16_sdwa s[8:9], v11, v10 src0_sel:BYTE_0 src1_sel:DWORD
	s_andn2_b64 s[4:5], s[4:5], exec
	s_and_b64 s[8:9], s[8:9], exec
	s_or_b64 s[4:5], s[4:5], s[8:9]
	s_or_b64 exec, exec, s[6:7]
	s_and_saveexec_b64 s[6:7], s[4:5]
	s_cbranch_execnz .LBB47_843
	s_branch .LBB47_844
.LBB47_2893:
	s_movk_i32 s4, 0x80
	v_cmp_eq_u16_sdwa s[12:13], v11, s4 src0_sel:BYTE_0 src1_sel:DWORD
	s_mov_b64 s[4:5], -1
                                        ; implicit-def: $sgpr10
	s_and_saveexec_b64 s[8:9], s[12:13]
; %bb.2894:
	s_mov_b32 s10, 0x7f800001
	s_xor_b64 s[4:5], exec, -1
; %bb.2895:
	s_or_b64 exec, exec, s[8:9]
	s_and_b64 s[4:5], s[4:5], exec
	s_or_saveexec_b64 s[6:7], s[6:7]
	v_mov_b32_e32 v14, s10
	s_xor_b64 exec, exec, s[6:7]
	s_cbranch_execz .LBB47_846
.LBB47_2896:
	v_mov_b32_e32 v14, 0
	v_cmp_ne_u16_sdwa s[8:9], v11, v14 src0_sel:BYTE_0 src1_sel:DWORD
	s_andn2_b64 s[4:5], s[4:5], exec
	s_and_b64 s[8:9], s[8:9], exec
	s_or_b64 s[4:5], s[4:5], s[8:9]
	s_or_b64 exec, exec, s[6:7]
	s_and_saveexec_b64 s[6:7], s[4:5]
	s_cbranch_execnz .LBB47_847
	s_branch .LBB47_848
.LBB47_2897:
	s_movk_i32 s4, 0x80
	v_cmp_eq_u16_e32 vcc, s4, v11
	s_mov_b64 s[4:5], -1
                                        ; implicit-def: $sgpr10
	s_and_saveexec_b64 s[8:9], vcc
; %bb.2898:
	s_mov_b32 s10, 0x7f800001
	s_xor_b64 s[4:5], exec, -1
; %bb.2899:
	s_or_b64 exec, exec, s[8:9]
	s_and_b64 s[4:5], s[4:5], exec
                                        ; implicit-def: $vgpr11
	s_or_saveexec_b64 s[6:7], s[6:7]
	v_mov_b32_e32 v10, s10
	s_xor_b64 exec, exec, s[6:7]
	s_cbranch_execz .LBB47_850
.LBB47_2900:
	v_cmp_ne_u16_e32 vcc, 0, v11
	s_andn2_b64 s[4:5], s[4:5], exec
	s_and_b64 s[8:9], vcc, exec
	v_mov_b32_e32 v10, 0
	s_or_b64 s[4:5], s[4:5], s[8:9]
	s_or_b64 exec, exec, s[6:7]
	s_and_saveexec_b64 s[6:7], s[4:5]
	s_cbranch_execnz .LBB47_851
	s_branch .LBB47_852
.LBB47_2901:
	s_movk_i32 s4, 0x80
	v_cmp_eq_u16_e32 vcc, s4, v11
	s_mov_b64 s[4:5], -1
                                        ; implicit-def: $sgpr10
	s_and_saveexec_b64 s[8:9], vcc
; %bb.2902:
	s_mov_b32 s10, 0x7f800001
	s_xor_b64 s[4:5], exec, -1
; %bb.2903:
	s_or_b64 exec, exec, s[8:9]
	s_and_b64 s[4:5], s[4:5], exec
                                        ; implicit-def: $vgpr11
	s_or_saveexec_b64 s[6:7], s[6:7]
	v_mov_b32_e32 v14, s10
	s_xor_b64 exec, exec, s[6:7]
	s_cbranch_execz .LBB47_854
.LBB47_2904:
	v_cmp_ne_u16_e32 vcc, 0, v11
	s_andn2_b64 s[4:5], s[4:5], exec
	s_and_b64 s[8:9], vcc, exec
	v_mov_b32_e32 v14, 0
	s_or_b64 s[4:5], s[4:5], s[8:9]
	s_or_b64 exec, exec, s[6:7]
	s_and_saveexec_b64 s[6:7], s[4:5]
	s_cbranch_execnz .LBB47_855
	s_branch .LBB47_856
.LBB47_2905:
	s_movk_i32 s4, 0x80
	v_cmp_eq_u16_sdwa s[12:13], v16, s4 src0_sel:BYTE_3 src1_sel:DWORD
	s_mov_b64 s[4:5], -1
                                        ; implicit-def: $sgpr10
	s_and_saveexec_b64 s[8:9], s[12:13]
; %bb.2906:
	s_mov_b32 s10, 0x7f800001
	s_xor_b64 s[4:5], exec, -1
; %bb.2907:
	s_or_b64 exec, exec, s[8:9]
	s_and_b64 s[4:5], s[4:5], exec
	s_or_saveexec_b64 s[6:7], s[6:7]
	v_mov_b32_e32 v10, s10
	s_xor_b64 exec, exec, s[6:7]
	s_cbranch_execz .LBB47_858
.LBB47_2908:
	v_mov_b32_e32 v10, 0
	v_cmp_ne_u16_sdwa s[8:9], v16, v10 src0_sel:BYTE_3 src1_sel:DWORD
	s_andn2_b64 s[4:5], s[4:5], exec
	s_and_b64 s[8:9], s[8:9], exec
	s_or_b64 s[4:5], s[4:5], s[8:9]
	s_or_b64 exec, exec, s[6:7]
	s_and_saveexec_b64 s[6:7], s[4:5]
	s_cbranch_execnz .LBB47_859
	s_branch .LBB47_860
.LBB47_2909:
	s_movk_i32 s4, 0x80
	v_cmp_eq_u16_sdwa s[12:13], v12, s4 src0_sel:BYTE_3 src1_sel:DWORD
	s_mov_b64 s[4:5], -1
                                        ; implicit-def: $sgpr10
	s_and_saveexec_b64 s[8:9], s[12:13]
; %bb.2910:
	s_mov_b32 s10, 0x7f800001
	s_xor_b64 s[4:5], exec, -1
; %bb.2911:
	s_or_b64 exec, exec, s[8:9]
	s_and_b64 s[4:5], s[4:5], exec
	s_or_saveexec_b64 s[6:7], s[6:7]
	v_mov_b32_e32 v11, s10
	s_xor_b64 exec, exec, s[6:7]
	s_cbranch_execz .LBB47_862
.LBB47_2912:
	v_mov_b32_e32 v11, 0
	v_cmp_ne_u16_sdwa s[8:9], v12, v11 src0_sel:BYTE_3 src1_sel:DWORD
	s_andn2_b64 s[4:5], s[4:5], exec
	s_and_b64 s[8:9], s[8:9], exec
	s_or_b64 s[4:5], s[4:5], s[8:9]
	s_or_b64 exec, exec, s[6:7]
	s_and_saveexec_b64 s[6:7], s[4:5]
	s_cbranch_execnz .LBB47_863
	s_branch .LBB47_864
.LBB47_2913:
	s_movk_i32 s4, 0x80
	v_cmp_eq_u16_sdwa s[12:13], v17, s4 src0_sel:BYTE_0 src1_sel:DWORD
	s_mov_b64 s[4:5], -1
                                        ; implicit-def: $sgpr10
	s_and_saveexec_b64 s[8:9], s[12:13]
; %bb.2914:
	s_mov_b32 s10, 0x7f800001
	s_xor_b64 s[4:5], exec, -1
; %bb.2915:
	s_or_b64 exec, exec, s[8:9]
	s_and_b64 s[4:5], s[4:5], exec
	s_or_saveexec_b64 s[6:7], s[6:7]
	v_mov_b32_e32 v10, s10
	s_xor_b64 exec, exec, s[6:7]
	s_cbranch_execz .LBB47_866
.LBB47_2916:
	v_mov_b32_e32 v10, 0
	v_cmp_ne_u16_sdwa s[8:9], v17, v10 src0_sel:BYTE_0 src1_sel:DWORD
	s_andn2_b64 s[4:5], s[4:5], exec
	s_and_b64 s[8:9], s[8:9], exec
	s_or_b64 s[4:5], s[4:5], s[8:9]
	s_or_b64 exec, exec, s[6:7]
	s_and_saveexec_b64 s[6:7], s[4:5]
	s_cbranch_execnz .LBB47_867
	s_branch .LBB47_868
.LBB47_2917:
	s_movk_i32 s4, 0x80
	v_cmp_eq_u16_sdwa s[12:13], v13, s4 src0_sel:BYTE_0 src1_sel:DWORD
	s_mov_b64 s[4:5], -1
                                        ; implicit-def: $sgpr10
	s_and_saveexec_b64 s[8:9], s[12:13]
; %bb.2918:
	s_mov_b32 s10, 0x7f800001
	s_xor_b64 s[4:5], exec, -1
; %bb.2919:
	s_or_b64 exec, exec, s[8:9]
	s_and_b64 s[4:5], s[4:5], exec
	s_or_saveexec_b64 s[6:7], s[6:7]
	v_mov_b32_e32 v11, s10
	s_xor_b64 exec, exec, s[6:7]
	s_cbranch_execz .LBB47_870
.LBB47_2920:
	v_mov_b32_e32 v11, 0
	v_cmp_ne_u16_sdwa s[8:9], v13, v11 src0_sel:BYTE_0 src1_sel:DWORD
	s_andn2_b64 s[4:5], s[4:5], exec
	s_and_b64 s[8:9], s[8:9], exec
	s_or_b64 s[4:5], s[4:5], s[8:9]
	s_or_b64 exec, exec, s[6:7]
	s_and_saveexec_b64 s[6:7], s[4:5]
	s_cbranch_execnz .LBB47_871
	s_branch .LBB47_872
.LBB47_2921:
	s_movk_i32 s4, 0x80
	v_cmp_eq_u16_sdwa s[12:13], v11, s4 src0_sel:BYTE_0 src1_sel:DWORD
	s_mov_b64 s[4:5], -1
                                        ; implicit-def: $sgpr10
	s_and_saveexec_b64 s[8:9], s[12:13]
; %bb.2922:
	s_mov_b32 s10, 0x7f800001
	s_xor_b64 s[4:5], exec, -1
; %bb.2923:
	s_or_b64 exec, exec, s[8:9]
	s_and_b64 s[4:5], s[4:5], exec
	s_or_saveexec_b64 s[6:7], s[6:7]
	v_mov_b32_e32 v10, s10
	s_xor_b64 exec, exec, s[6:7]
	s_cbranch_execz .LBB47_874
.LBB47_2924:
	v_mov_b32_e32 v10, 0
	v_cmp_ne_u16_sdwa s[8:9], v11, v10 src0_sel:BYTE_0 src1_sel:DWORD
	s_andn2_b64 s[4:5], s[4:5], exec
	s_and_b64 s[8:9], s[8:9], exec
	s_or_b64 s[4:5], s[4:5], s[8:9]
	s_or_b64 exec, exec, s[6:7]
	s_and_saveexec_b64 s[6:7], s[4:5]
	s_cbranch_execnz .LBB47_875
	s_branch .LBB47_876
.LBB47_2925:
	s_movk_i32 s4, 0x80
	v_cmp_eq_u16_sdwa s[12:13], v11, s4 src0_sel:BYTE_0 src1_sel:DWORD
	s_mov_b64 s[4:5], -1
                                        ; implicit-def: $sgpr10
	s_and_saveexec_b64 s[8:9], s[12:13]
; %bb.2926:
	s_mov_b32 s10, 0x7f800001
	s_xor_b64 s[4:5], exec, -1
; %bb.2927:
	s_or_b64 exec, exec, s[8:9]
	s_and_b64 s[4:5], s[4:5], exec
	s_or_saveexec_b64 s[6:7], s[6:7]
	v_mov_b32_e32 v12, s10
	s_xor_b64 exec, exec, s[6:7]
	s_cbranch_execz .LBB47_878
.LBB47_2928:
	v_mov_b32_e32 v12, 0
	v_cmp_ne_u16_sdwa s[8:9], v11, v12 src0_sel:BYTE_0 src1_sel:DWORD
	s_andn2_b64 s[4:5], s[4:5], exec
	s_and_b64 s[8:9], s[8:9], exec
	s_or_b64 s[4:5], s[4:5], s[8:9]
	s_or_b64 exec, exec, s[6:7]
	s_and_saveexec_b64 s[6:7], s[4:5]
	s_cbranch_execnz .LBB47_879
	s_branch .LBB47_880
.LBB47_2929:
	s_movk_i32 s4, 0x80
	v_cmp_eq_u16_e32 vcc, s4, v11
	s_mov_b64 s[4:5], -1
                                        ; implicit-def: $sgpr10
	s_and_saveexec_b64 s[8:9], vcc
; %bb.2930:
	s_mov_b32 s10, 0x7f800001
	s_xor_b64 s[4:5], exec, -1
; %bb.2931:
	s_or_b64 exec, exec, s[8:9]
	s_and_b64 s[4:5], s[4:5], exec
                                        ; implicit-def: $vgpr11
	s_or_saveexec_b64 s[6:7], s[6:7]
	v_mov_b32_e32 v10, s10
	s_xor_b64 exec, exec, s[6:7]
	s_cbranch_execz .LBB47_882
.LBB47_2932:
	v_cmp_ne_u16_e32 vcc, 0, v11
	s_andn2_b64 s[4:5], s[4:5], exec
	s_and_b64 s[8:9], vcc, exec
	v_mov_b32_e32 v10, 0
	s_or_b64 s[4:5], s[4:5], s[8:9]
	s_or_b64 exec, exec, s[6:7]
	s_and_saveexec_b64 s[6:7], s[4:5]
	s_cbranch_execnz .LBB47_883
	s_branch .LBB47_884
.LBB47_2933:
	s_movk_i32 s4, 0x80
	v_cmp_eq_u16_e32 vcc, s4, v11
	s_mov_b64 s[4:5], -1
                                        ; implicit-def: $sgpr10
	s_and_saveexec_b64 s[8:9], vcc
; %bb.2934:
	s_mov_b32 s10, 0x7f800001
	s_xor_b64 s[4:5], exec, -1
; %bb.2935:
	s_or_b64 exec, exec, s[8:9]
	s_and_b64 s[4:5], s[4:5], exec
                                        ; implicit-def: $vgpr11
	s_or_saveexec_b64 s[6:7], s[6:7]
	v_mov_b32_e32 v12, s10
	s_xor_b64 exec, exec, s[6:7]
	s_cbranch_execz .LBB47_886
.LBB47_2936:
	v_cmp_ne_u16_e32 vcc, 0, v11
	s_andn2_b64 s[4:5], s[4:5], exec
	s_and_b64 s[8:9], vcc, exec
	v_mov_b32_e32 v12, 0
	s_or_b64 s[4:5], s[4:5], s[8:9]
	s_or_b64 exec, exec, s[6:7]
	s_and_saveexec_b64 s[6:7], s[4:5]
	s_cbranch_execnz .LBB47_887
	s_branch .LBB47_888
.LBB47_2937:
	s_movk_i32 s4, 0x80
	v_cmp_eq_u16_sdwa s[12:13], v17, s4 src0_sel:BYTE_3 src1_sel:DWORD
	s_mov_b64 s[4:5], -1
                                        ; implicit-def: $sgpr10
	s_and_saveexec_b64 s[8:9], s[12:13]
; %bb.2938:
	s_mov_b32 s10, 0x7f800001
	s_xor_b64 s[4:5], exec, -1
; %bb.2939:
	s_or_b64 exec, exec, s[8:9]
	s_and_b64 s[4:5], s[4:5], exec
	s_or_saveexec_b64 s[6:7], s[6:7]
	v_mov_b32_e32 v10, s10
	s_xor_b64 exec, exec, s[6:7]
	s_cbranch_execz .LBB47_890
.LBB47_2940:
	v_mov_b32_e32 v10, 0
	v_cmp_ne_u16_sdwa s[8:9], v17, v10 src0_sel:BYTE_3 src1_sel:DWORD
	s_andn2_b64 s[4:5], s[4:5], exec
	s_and_b64 s[8:9], s[8:9], exec
	s_or_b64 s[4:5], s[4:5], s[8:9]
	s_or_b64 exec, exec, s[6:7]
	s_and_saveexec_b64 s[6:7], s[4:5]
	s_cbranch_execnz .LBB47_891
	s_branch .LBB47_892
.LBB47_2941:
	s_movk_i32 s4, 0x80
	v_cmp_eq_u16_sdwa s[12:13], v13, s4 src0_sel:BYTE_3 src1_sel:DWORD
	s_mov_b64 s[4:5], -1
                                        ; implicit-def: $sgpr10
	s_and_saveexec_b64 s[8:9], s[12:13]
; %bb.2942:
	s_mov_b32 s10, 0x7f800001
	s_xor_b64 s[4:5], exec, -1
; %bb.2943:
	s_or_b64 exec, exec, s[8:9]
	s_and_b64 s[4:5], s[4:5], exec
	s_or_saveexec_b64 s[6:7], s[6:7]
	v_mov_b32_e32 v11, s10
	s_xor_b64 exec, exec, s[6:7]
	s_cbranch_execz .LBB47_894
.LBB47_2944:
	v_mov_b32_e32 v11, 0
	v_cmp_ne_u16_sdwa s[8:9], v13, v11 src0_sel:BYTE_3 src1_sel:DWORD
	s_andn2_b64 s[4:5], s[4:5], exec
	s_and_b64 s[8:9], s[8:9], exec
	s_or_b64 s[4:5], s[4:5], s[8:9]
	s_or_b64 exec, exec, s[6:7]
	s_and_saveexec_b64 s[6:7], s[4:5]
	s_cbranch_execnz .LBB47_895
	s_branch .LBB47_896
.LBB47_2945:
	s_movk_i32 s4, 0x80
	v_cmp_eq_u16_sdwa s[12:13], v6, s4 src0_sel:BYTE_0 src1_sel:DWORD
	s_mov_b64 s[4:5], -1
                                        ; implicit-def: $sgpr10
	s_and_saveexec_b64 s[8:9], s[12:13]
; %bb.2946:
	s_mov_b32 s10, 0x7f800001
	s_xor_b64 s[4:5], exec, -1
; %bb.2947:
	s_or_b64 exec, exec, s[8:9]
	s_and_b64 s[4:5], s[4:5], exec
	s_or_saveexec_b64 s[6:7], s[6:7]
	v_mov_b32_e32 v10, s10
	s_xor_b64 exec, exec, s[6:7]
	s_cbranch_execz .LBB47_898
.LBB47_2948:
	v_mov_b32_e32 v10, 0
	v_cmp_ne_u16_sdwa s[8:9], v6, v10 src0_sel:BYTE_0 src1_sel:DWORD
	s_andn2_b64 s[4:5], s[4:5], exec
	s_and_b64 s[8:9], s[8:9], exec
	s_or_b64 s[4:5], s[4:5], s[8:9]
	s_or_b64 exec, exec, s[6:7]
	s_and_saveexec_b64 s[6:7], s[4:5]
	s_cbranch_execnz .LBB47_899
	s_branch .LBB47_900
.LBB47_2949:
	s_movk_i32 s4, 0x80
	v_cmp_eq_u16_sdwa s[12:13], v2, s4 src0_sel:BYTE_0 src1_sel:DWORD
	s_mov_b64 s[4:5], -1
                                        ; implicit-def: $sgpr10
	s_and_saveexec_b64 s[8:9], s[12:13]
; %bb.2950:
	s_mov_b32 s10, 0x7f800001
	s_xor_b64 s[4:5], exec, -1
; %bb.2951:
	s_or_b64 exec, exec, s[8:9]
	s_and_b64 s[4:5], s[4:5], exec
	s_or_saveexec_b64 s[6:7], s[6:7]
	v_mov_b32_e32 v11, s10
	s_xor_b64 exec, exec, s[6:7]
	s_cbranch_execz .LBB47_902
.LBB47_2952:
	v_mov_b32_e32 v11, 0
	v_cmp_ne_u16_sdwa s[8:9], v2, v11 src0_sel:BYTE_0 src1_sel:DWORD
	s_andn2_b64 s[4:5], s[4:5], exec
	s_and_b64 s[8:9], s[8:9], exec
	s_or_b64 s[4:5], s[4:5], s[8:9]
	s_or_b64 exec, exec, s[6:7]
	s_and_saveexec_b64 s[6:7], s[4:5]
	s_cbranch_execnz .LBB47_903
	s_branch .LBB47_904
.LBB47_2953:
	s_movk_i32 s4, 0x80
	v_cmp_eq_u16_sdwa s[12:13], v11, s4 src0_sel:BYTE_0 src1_sel:DWORD
	s_mov_b64 s[4:5], -1
                                        ; implicit-def: $sgpr10
	s_and_saveexec_b64 s[8:9], s[12:13]
; %bb.2954:
	s_mov_b32 s10, 0x7f800001
	s_xor_b64 s[4:5], exec, -1
; %bb.2955:
	s_or_b64 exec, exec, s[8:9]
	s_and_b64 s[4:5], s[4:5], exec
	s_or_saveexec_b64 s[6:7], s[6:7]
	v_mov_b32_e32 v10, s10
	s_xor_b64 exec, exec, s[6:7]
	s_cbranch_execz .LBB47_906
.LBB47_2956:
	v_mov_b32_e32 v10, 0
	v_cmp_ne_u16_sdwa s[8:9], v11, v10 src0_sel:BYTE_0 src1_sel:DWORD
	s_andn2_b64 s[4:5], s[4:5], exec
	s_and_b64 s[8:9], s[8:9], exec
	s_or_b64 s[4:5], s[4:5], s[8:9]
	s_or_b64 exec, exec, s[6:7]
	s_and_saveexec_b64 s[6:7], s[4:5]
	s_cbranch_execnz .LBB47_907
	s_branch .LBB47_908
.LBB47_2957:
	s_movk_i32 s4, 0x80
	v_cmp_eq_u16_sdwa s[12:13], v11, s4 src0_sel:BYTE_0 src1_sel:DWORD
	s_mov_b64 s[4:5], -1
                                        ; implicit-def: $sgpr10
	s_and_saveexec_b64 s[8:9], s[12:13]
; %bb.2958:
	s_mov_b32 s10, 0x7f800001
	s_xor_b64 s[4:5], exec, -1
; %bb.2959:
	s_or_b64 exec, exec, s[8:9]
	s_and_b64 s[4:5], s[4:5], exec
	s_or_saveexec_b64 s[6:7], s[6:7]
	v_mov_b32_e32 v12, s10
	s_xor_b64 exec, exec, s[6:7]
	s_cbranch_execz .LBB47_910
.LBB47_2960:
	v_mov_b32_e32 v12, 0
	v_cmp_ne_u16_sdwa s[8:9], v11, v12 src0_sel:BYTE_0 src1_sel:DWORD
	s_andn2_b64 s[4:5], s[4:5], exec
	s_and_b64 s[8:9], s[8:9], exec
	s_or_b64 s[4:5], s[4:5], s[8:9]
	s_or_b64 exec, exec, s[6:7]
	s_and_saveexec_b64 s[6:7], s[4:5]
	s_cbranch_execnz .LBB47_911
	s_branch .LBB47_912
.LBB47_2961:
	s_movk_i32 s4, 0x80
	v_cmp_eq_u16_e32 vcc, s4, v11
	s_mov_b64 s[4:5], -1
                                        ; implicit-def: $sgpr10
	s_and_saveexec_b64 s[8:9], vcc
; %bb.2962:
	s_mov_b32 s10, 0x7f800001
	s_xor_b64 s[4:5], exec, -1
; %bb.2963:
	s_or_b64 exec, exec, s[8:9]
	s_and_b64 s[4:5], s[4:5], exec
                                        ; implicit-def: $vgpr11
	s_or_saveexec_b64 s[6:7], s[6:7]
	v_mov_b32_e32 v10, s10
	s_xor_b64 exec, exec, s[6:7]
	s_cbranch_execz .LBB47_914
.LBB47_2964:
	v_cmp_ne_u16_e32 vcc, 0, v11
	s_andn2_b64 s[4:5], s[4:5], exec
	s_and_b64 s[8:9], vcc, exec
	v_mov_b32_e32 v10, 0
	s_or_b64 s[4:5], s[4:5], s[8:9]
	s_or_b64 exec, exec, s[6:7]
	s_and_saveexec_b64 s[6:7], s[4:5]
	s_cbranch_execnz .LBB47_915
	s_branch .LBB47_916
.LBB47_2965:
	s_movk_i32 s4, 0x80
	v_cmp_eq_u16_e32 vcc, s4, v11
	s_mov_b64 s[4:5], -1
                                        ; implicit-def: $sgpr10
	s_and_saveexec_b64 s[8:9], vcc
; %bb.2966:
	s_mov_b32 s10, 0x7f800001
	s_xor_b64 s[4:5], exec, -1
; %bb.2967:
	s_or_b64 exec, exec, s[8:9]
	s_and_b64 s[4:5], s[4:5], exec
                                        ; implicit-def: $vgpr11
	s_or_saveexec_b64 s[6:7], s[6:7]
	v_mov_b32_e32 v12, s10
	s_xor_b64 exec, exec, s[6:7]
	s_cbranch_execz .LBB47_918
.LBB47_2968:
	v_cmp_ne_u16_e32 vcc, 0, v11
	s_andn2_b64 s[4:5], s[4:5], exec
	s_and_b64 s[8:9], vcc, exec
	v_mov_b32_e32 v12, 0
	s_or_b64 s[4:5], s[4:5], s[8:9]
	s_or_b64 exec, exec, s[6:7]
	s_and_saveexec_b64 s[6:7], s[4:5]
	s_cbranch_execnz .LBB47_919
	s_branch .LBB47_920
.LBB47_2969:
	s_movk_i32 s4, 0x80
	v_cmp_eq_u16_sdwa s[12:13], v6, s4 src0_sel:BYTE_3 src1_sel:DWORD
	s_mov_b64 s[4:5], -1
                                        ; implicit-def: $sgpr10
	s_and_saveexec_b64 s[8:9], s[12:13]
; %bb.2970:
	s_mov_b32 s10, 0x7f800001
	s_xor_b64 s[4:5], exec, -1
; %bb.2971:
	s_or_b64 exec, exec, s[8:9]
	s_and_b64 s[4:5], s[4:5], exec
	s_or_saveexec_b64 s[6:7], s[6:7]
	v_mov_b32_e32 v10, s10
	s_xor_b64 exec, exec, s[6:7]
	s_cbranch_execz .LBB47_922
.LBB47_2972:
	v_mov_b32_e32 v10, 0
	v_cmp_ne_u16_sdwa s[8:9], v6, v10 src0_sel:BYTE_3 src1_sel:DWORD
	s_andn2_b64 s[4:5], s[4:5], exec
	s_and_b64 s[8:9], s[8:9], exec
	s_or_b64 s[4:5], s[4:5], s[8:9]
	s_or_b64 exec, exec, s[6:7]
	s_and_saveexec_b64 s[6:7], s[4:5]
	s_cbranch_execnz .LBB47_923
	s_branch .LBB47_924
.LBB47_2973:
	s_movk_i32 s4, 0x80
	v_cmp_eq_u16_sdwa s[12:13], v2, s4 src0_sel:BYTE_3 src1_sel:DWORD
	s_mov_b64 s[4:5], -1
                                        ; implicit-def: $sgpr10
	s_and_saveexec_b64 s[8:9], s[12:13]
; %bb.2974:
	s_mov_b32 s10, 0x7f800001
	s_xor_b64 s[4:5], exec, -1
; %bb.2975:
	s_or_b64 exec, exec, s[8:9]
	s_and_b64 s[4:5], s[4:5], exec
	s_or_saveexec_b64 s[6:7], s[6:7]
	v_mov_b32_e32 v6, s10
	s_xor_b64 exec, exec, s[6:7]
	s_cbranch_execz .LBB47_926
.LBB47_2976:
	v_mov_b32_e32 v6, 0
	v_cmp_ne_u16_sdwa s[8:9], v2, v6 src0_sel:BYTE_3 src1_sel:DWORD
	s_andn2_b64 s[4:5], s[4:5], exec
	s_and_b64 s[8:9], s[8:9], exec
	s_or_b64 s[4:5], s[4:5], s[8:9]
	s_or_b64 exec, exec, s[6:7]
	s_and_saveexec_b64 s[6:7], s[4:5]
	s_cbranch_execnz .LBB47_927
	s_branch .LBB47_928
.LBB47_2977:
	s_movk_i32 s4, 0x80
	v_cmp_eq_u16_sdwa s[12:13], v7, s4 src0_sel:BYTE_0 src1_sel:DWORD
	s_mov_b64 s[4:5], -1
                                        ; implicit-def: $sgpr10
	s_and_saveexec_b64 s[8:9], s[12:13]
; %bb.2978:
	s_mov_b32 s10, 0x7f800001
	s_xor_b64 s[4:5], exec, -1
; %bb.2979:
	s_or_b64 exec, exec, s[8:9]
	s_and_b64 s[4:5], s[4:5], exec
	s_or_saveexec_b64 s[6:7], s[6:7]
	v_mov_b32_e32 v2, s10
	s_xor_b64 exec, exec, s[6:7]
	s_cbranch_execz .LBB47_930
.LBB47_2980:
	v_mov_b32_e32 v2, 0
	v_cmp_ne_u16_sdwa s[8:9], v7, v2 src0_sel:BYTE_0 src1_sel:DWORD
	s_andn2_b64 s[4:5], s[4:5], exec
	s_and_b64 s[8:9], s[8:9], exec
	s_or_b64 s[4:5], s[4:5], s[8:9]
	s_or_b64 exec, exec, s[6:7]
	s_and_saveexec_b64 s[6:7], s[4:5]
	s_cbranch_execnz .LBB47_931
	s_branch .LBB47_932
.LBB47_2981:
	s_movk_i32 s4, 0x80
	v_cmp_eq_u16_sdwa s[12:13], v3, s4 src0_sel:BYTE_0 src1_sel:DWORD
	s_mov_b64 s[4:5], -1
                                        ; implicit-def: $sgpr10
	s_and_saveexec_b64 s[8:9], s[12:13]
; %bb.2982:
	s_mov_b32 s10, 0x7f800001
	s_xor_b64 s[4:5], exec, -1
; %bb.2983:
	s_or_b64 exec, exec, s[8:9]
	s_and_b64 s[4:5], s[4:5], exec
	s_or_saveexec_b64 s[6:7], s[6:7]
	v_mov_b32_e32 v6, s10
	s_xor_b64 exec, exec, s[6:7]
	s_cbranch_execz .LBB47_934
.LBB47_2984:
	v_mov_b32_e32 v6, 0
	v_cmp_ne_u16_sdwa s[8:9], v3, v6 src0_sel:BYTE_0 src1_sel:DWORD
	s_andn2_b64 s[4:5], s[4:5], exec
	s_and_b64 s[8:9], s[8:9], exec
	s_or_b64 s[4:5], s[4:5], s[8:9]
	s_or_b64 exec, exec, s[6:7]
	s_and_saveexec_b64 s[6:7], s[4:5]
	s_cbranch_execnz .LBB47_935
	s_branch .LBB47_936
.LBB47_2985:
	s_movk_i32 s4, 0x80
	v_cmp_eq_u16_sdwa s[12:13], v6, s4 src0_sel:BYTE_0 src1_sel:DWORD
	s_mov_b64 s[4:5], -1
                                        ; implicit-def: $sgpr10
	s_and_saveexec_b64 s[8:9], s[12:13]
; %bb.2986:
	s_mov_b32 s10, 0x7f800001
	s_xor_b64 s[4:5], exec, -1
; %bb.2987:
	s_or_b64 exec, exec, s[8:9]
	s_and_b64 s[4:5], s[4:5], exec
	s_or_saveexec_b64 s[6:7], s[6:7]
	v_mov_b32_e32 v2, s10
	s_xor_b64 exec, exec, s[6:7]
	s_cbranch_execz .LBB47_938
.LBB47_2988:
	v_mov_b32_e32 v2, 0
	v_cmp_ne_u16_sdwa s[8:9], v6, v2 src0_sel:BYTE_0 src1_sel:DWORD
	s_andn2_b64 s[4:5], s[4:5], exec
	s_and_b64 s[8:9], s[8:9], exec
	s_or_b64 s[4:5], s[4:5], s[8:9]
	s_or_b64 exec, exec, s[6:7]
	s_and_saveexec_b64 s[6:7], s[4:5]
	s_cbranch_execnz .LBB47_939
	s_branch .LBB47_940
.LBB47_2989:
	s_movk_i32 s4, 0x80
	v_cmp_eq_u16_sdwa s[12:13], v6, s4 src0_sel:BYTE_0 src1_sel:DWORD
	s_mov_b64 s[4:5], -1
                                        ; implicit-def: $sgpr10
	s_and_saveexec_b64 s[8:9], s[12:13]
; %bb.2990:
	s_mov_b32 s10, 0x7f800001
	s_xor_b64 s[4:5], exec, -1
; %bb.2991:
	s_or_b64 exec, exec, s[8:9]
	s_and_b64 s[4:5], s[4:5], exec
	s_or_saveexec_b64 s[6:7], s[6:7]
	v_mov_b32_e32 v10, s10
	s_xor_b64 exec, exec, s[6:7]
	s_cbranch_execz .LBB47_942
.LBB47_2992:
	v_mov_b32_e32 v10, 0
	v_cmp_ne_u16_sdwa s[8:9], v6, v10 src0_sel:BYTE_0 src1_sel:DWORD
	s_andn2_b64 s[4:5], s[4:5], exec
	s_and_b64 s[8:9], s[8:9], exec
	s_or_b64 s[4:5], s[4:5], s[8:9]
	s_or_b64 exec, exec, s[6:7]
	s_and_saveexec_b64 s[6:7], s[4:5]
	s_cbranch_execnz .LBB47_943
	s_branch .LBB47_944
.LBB47_2993:
	s_movk_i32 s4, 0x80
	v_cmp_eq_u16_e32 vcc, s4, v6
	s_mov_b64 s[4:5], -1
                                        ; implicit-def: $sgpr10
	s_and_saveexec_b64 s[8:9], vcc
; %bb.2994:
	s_mov_b32 s10, 0x7f800001
	s_xor_b64 s[4:5], exec, -1
; %bb.2995:
	s_or_b64 exec, exec, s[8:9]
	s_and_b64 s[4:5], s[4:5], exec
                                        ; implicit-def: $vgpr6
	s_or_saveexec_b64 s[6:7], s[6:7]
	v_mov_b32_e32 v2, s10
	s_xor_b64 exec, exec, s[6:7]
	s_cbranch_execz .LBB47_946
.LBB47_2996:
	v_cmp_ne_u16_e32 vcc, 0, v6
	s_andn2_b64 s[4:5], s[4:5], exec
	s_and_b64 s[8:9], vcc, exec
	v_mov_b32_e32 v2, 0
	s_or_b64 s[4:5], s[4:5], s[8:9]
	s_or_b64 exec, exec, s[6:7]
	s_and_saveexec_b64 s[6:7], s[4:5]
	s_cbranch_execnz .LBB47_947
	s_branch .LBB47_948
.LBB47_2997:
	s_movk_i32 s4, 0x80
	v_cmp_eq_u16_e32 vcc, s4, v6
	s_mov_b64 s[4:5], -1
                                        ; implicit-def: $sgpr10
	s_and_saveexec_b64 s[8:9], vcc
; %bb.2998:
	s_mov_b32 s10, 0x7f800001
	s_xor_b64 s[4:5], exec, -1
; %bb.2999:
	s_or_b64 exec, exec, s[8:9]
	s_and_b64 s[4:5], s[4:5], exec
                                        ; implicit-def: $vgpr6
	s_or_saveexec_b64 s[6:7], s[6:7]
	v_mov_b32_e32 v10, s10
	s_xor_b64 exec, exec, s[6:7]
	s_cbranch_execz .LBB47_950
.LBB47_3000:
	v_cmp_ne_u16_e32 vcc, 0, v6
	s_andn2_b64 s[4:5], s[4:5], exec
	s_and_b64 s[8:9], vcc, exec
	v_mov_b32_e32 v10, 0
	s_or_b64 s[4:5], s[4:5], s[8:9]
	s_or_b64 exec, exec, s[6:7]
	s_and_saveexec_b64 s[6:7], s[4:5]
	s_cbranch_execnz .LBB47_951
	s_branch .LBB47_952
.LBB47_3001:
	s_movk_i32 s4, 0x80
	v_cmp_eq_u16_sdwa s[12:13], v7, s4 src0_sel:BYTE_3 src1_sel:DWORD
	s_mov_b64 s[4:5], -1
                                        ; implicit-def: $sgpr10
	s_and_saveexec_b64 s[8:9], s[12:13]
; %bb.3002:
	s_mov_b32 s10, 0x7f800001
	s_xor_b64 s[4:5], exec, -1
; %bb.3003:
	s_or_b64 exec, exec, s[8:9]
	s_and_b64 s[4:5], s[4:5], exec
	s_or_saveexec_b64 s[6:7], s[6:7]
	v_mov_b32_e32 v2, s10
	s_xor_b64 exec, exec, s[6:7]
	s_cbranch_execz .LBB47_954
.LBB47_3004:
	v_mov_b32_e32 v2, 0
	v_cmp_ne_u16_sdwa s[8:9], v7, v2 src0_sel:BYTE_3 src1_sel:DWORD
	s_andn2_b64 s[4:5], s[4:5], exec
	s_and_b64 s[8:9], s[8:9], exec
	s_or_b64 s[4:5], s[4:5], s[8:9]
	s_or_b64 exec, exec, s[6:7]
	s_and_saveexec_b64 s[6:7], s[4:5]
	s_cbranch_execnz .LBB47_955
	s_branch .LBB47_956
.LBB47_3005:
	s_movk_i32 s4, 0x80
	v_cmp_eq_u16_sdwa s[12:13], v3, s4 src0_sel:BYTE_3 src1_sel:DWORD
	s_mov_b64 s[4:5], -1
                                        ; implicit-def: $sgpr10
	s_and_saveexec_b64 s[8:9], s[12:13]
; %bb.3006:
	s_mov_b32 s10, 0x7f800001
	s_xor_b64 s[4:5], exec, -1
; %bb.3007:
	s_or_b64 exec, exec, s[8:9]
	s_and_b64 s[4:5], s[4:5], exec
	s_or_saveexec_b64 s[6:7], s[6:7]
	v_mov_b32_e32 v6, s10
	s_xor_b64 exec, exec, s[6:7]
	s_cbranch_execz .LBB47_958
.LBB47_3008:
	v_mov_b32_e32 v6, 0
	v_cmp_ne_u16_sdwa s[8:9], v3, v6 src0_sel:BYTE_3 src1_sel:DWORD
	s_andn2_b64 s[4:5], s[4:5], exec
	s_and_b64 s[8:9], s[8:9], exec
	s_or_b64 s[4:5], s[4:5], s[8:9]
	s_or_b64 exec, exec, s[6:7]
	s_and_saveexec_b64 s[6:7], s[4:5]
	s_cbranch_execnz .LBB47_959
	s_branch .LBB47_960
.LBB47_3009:
	s_movk_i32 s4, 0x80
	v_cmp_eq_u16_sdwa s[12:13], v8, s4 src0_sel:BYTE_0 src1_sel:DWORD
	s_mov_b64 s[4:5], -1
                                        ; implicit-def: $sgpr10
	s_and_saveexec_b64 s[8:9], s[12:13]
; %bb.3010:
	s_mov_b32 s10, 0x7f800001
	s_xor_b64 s[4:5], exec, -1
; %bb.3011:
	s_or_b64 exec, exec, s[8:9]
	s_and_b64 s[4:5], s[4:5], exec
	s_or_saveexec_b64 s[6:7], s[6:7]
	v_mov_b32_e32 v2, s10
	s_xor_b64 exec, exec, s[6:7]
	s_cbranch_execz .LBB47_962
.LBB47_3012:
	v_mov_b32_e32 v2, 0
	v_cmp_ne_u16_sdwa s[8:9], v8, v2 src0_sel:BYTE_0 src1_sel:DWORD
	s_andn2_b64 s[4:5], s[4:5], exec
	s_and_b64 s[8:9], s[8:9], exec
	s_or_b64 s[4:5], s[4:5], s[8:9]
	s_or_b64 exec, exec, s[6:7]
	s_and_saveexec_b64 s[6:7], s[4:5]
	s_cbranch_execnz .LBB47_963
	s_branch .LBB47_964
.LBB47_3013:
	s_movk_i32 s4, 0x80
	v_cmp_eq_u16_sdwa s[12:13], v4, s4 src0_sel:BYTE_0 src1_sel:DWORD
	s_mov_b64 s[4:5], -1
                                        ; implicit-def: $sgpr10
	s_and_saveexec_b64 s[8:9], s[12:13]
; %bb.3014:
	s_mov_b32 s10, 0x7f800001
	s_xor_b64 s[4:5], exec, -1
; %bb.3015:
	s_or_b64 exec, exec, s[8:9]
	s_and_b64 s[4:5], s[4:5], exec
	s_or_saveexec_b64 s[6:7], s[6:7]
	v_mov_b32_e32 v3, s10
	s_xor_b64 exec, exec, s[6:7]
	s_cbranch_execz .LBB47_966
.LBB47_3016:
	v_mov_b32_e32 v3, 0
	v_cmp_ne_u16_sdwa s[8:9], v4, v3 src0_sel:BYTE_0 src1_sel:DWORD
	s_andn2_b64 s[4:5], s[4:5], exec
	s_and_b64 s[8:9], s[8:9], exec
	s_or_b64 s[4:5], s[4:5], s[8:9]
	s_or_b64 exec, exec, s[6:7]
	s_and_saveexec_b64 s[6:7], s[4:5]
	s_cbranch_execnz .LBB47_967
	s_branch .LBB47_968
.LBB47_3017:
	s_movk_i32 s4, 0x80
	v_cmp_eq_u16_sdwa s[12:13], v3, s4 src0_sel:BYTE_0 src1_sel:DWORD
	s_mov_b64 s[4:5], -1
                                        ; implicit-def: $sgpr10
	s_and_saveexec_b64 s[8:9], s[12:13]
; %bb.3018:
	s_mov_b32 s10, 0x7f800001
	s_xor_b64 s[4:5], exec, -1
; %bb.3019:
	s_or_b64 exec, exec, s[8:9]
	s_and_b64 s[4:5], s[4:5], exec
	s_or_saveexec_b64 s[6:7], s[6:7]
	v_mov_b32_e32 v2, s10
	s_xor_b64 exec, exec, s[6:7]
	s_cbranch_execz .LBB47_970
.LBB47_3020:
	v_mov_b32_e32 v2, 0
	v_cmp_ne_u16_sdwa s[8:9], v3, v2 src0_sel:BYTE_0 src1_sel:DWORD
	s_andn2_b64 s[4:5], s[4:5], exec
	s_and_b64 s[8:9], s[8:9], exec
	s_or_b64 s[4:5], s[4:5], s[8:9]
	s_or_b64 exec, exec, s[6:7]
	s_and_saveexec_b64 s[6:7], s[4:5]
	s_cbranch_execnz .LBB47_971
	s_branch .LBB47_972
.LBB47_3021:
	s_movk_i32 s4, 0x80
	v_cmp_eq_u16_sdwa s[12:13], v3, s4 src0_sel:BYTE_0 src1_sel:DWORD
	s_mov_b64 s[4:5], -1
                                        ; implicit-def: $sgpr10
	s_and_saveexec_b64 s[8:9], s[12:13]
; %bb.3022:
	s_mov_b32 s10, 0x7f800001
	s_xor_b64 s[4:5], exec, -1
; %bb.3023:
	s_or_b64 exec, exec, s[8:9]
	s_and_b64 s[4:5], s[4:5], exec
	s_or_saveexec_b64 s[6:7], s[6:7]
	v_mov_b32_e32 v6, s10
	s_xor_b64 exec, exec, s[6:7]
	s_cbranch_execz .LBB47_974
.LBB47_3024:
	v_mov_b32_e32 v6, 0
	v_cmp_ne_u16_sdwa s[8:9], v3, v6 src0_sel:BYTE_0 src1_sel:DWORD
	s_andn2_b64 s[4:5], s[4:5], exec
	s_and_b64 s[8:9], s[8:9], exec
	s_or_b64 s[4:5], s[4:5], s[8:9]
	s_or_b64 exec, exec, s[6:7]
	s_and_saveexec_b64 s[6:7], s[4:5]
	s_cbranch_execnz .LBB47_975
	s_branch .LBB47_976
.LBB47_3025:
	s_movk_i32 s4, 0x80
	v_cmp_eq_u16_e32 vcc, s4, v3
	s_mov_b64 s[4:5], -1
                                        ; implicit-def: $sgpr10
	s_and_saveexec_b64 s[8:9], vcc
; %bb.3026:
	s_mov_b32 s10, 0x7f800001
	s_xor_b64 s[4:5], exec, -1
; %bb.3027:
	s_or_b64 exec, exec, s[8:9]
	s_and_b64 s[4:5], s[4:5], exec
                                        ; implicit-def: $vgpr3
	s_or_saveexec_b64 s[6:7], s[6:7]
	v_mov_b32_e32 v2, s10
	s_xor_b64 exec, exec, s[6:7]
	s_cbranch_execz .LBB47_978
.LBB47_3028:
	v_cmp_ne_u16_e32 vcc, 0, v3
	s_andn2_b64 s[4:5], s[4:5], exec
	s_and_b64 s[8:9], vcc, exec
	v_mov_b32_e32 v2, 0
	s_or_b64 s[4:5], s[4:5], s[8:9]
	s_or_b64 exec, exec, s[6:7]
	s_and_saveexec_b64 s[6:7], s[4:5]
	s_cbranch_execnz .LBB47_979
	s_branch .LBB47_980
.LBB47_3029:
	s_movk_i32 s4, 0x80
	v_cmp_eq_u16_e32 vcc, s4, v3
	s_mov_b64 s[4:5], -1
                                        ; implicit-def: $sgpr10
	s_and_saveexec_b64 s[8:9], vcc
; %bb.3030:
	s_mov_b32 s10, 0x7f800001
	s_xor_b64 s[4:5], exec, -1
; %bb.3031:
	s_or_b64 exec, exec, s[8:9]
	s_and_b64 s[4:5], s[4:5], exec
                                        ; implicit-def: $vgpr3
	s_or_saveexec_b64 s[6:7], s[6:7]
	v_mov_b32_e32 v6, s10
	s_xor_b64 exec, exec, s[6:7]
	s_cbranch_execz .LBB47_982
.LBB47_3032:
	v_cmp_ne_u16_e32 vcc, 0, v3
	s_andn2_b64 s[4:5], s[4:5], exec
	s_and_b64 s[8:9], vcc, exec
	v_mov_b32_e32 v6, 0
	s_or_b64 s[4:5], s[4:5], s[8:9]
	s_or_b64 exec, exec, s[6:7]
	s_and_saveexec_b64 s[6:7], s[4:5]
	s_cbranch_execnz .LBB47_983
	s_branch .LBB47_984
.LBB47_3033:
	s_movk_i32 s4, 0x80
	v_cmp_eq_u16_sdwa s[12:13], v8, s4 src0_sel:BYTE_3 src1_sel:DWORD
	s_mov_b64 s[4:5], -1
                                        ; implicit-def: $sgpr10
	s_and_saveexec_b64 s[8:9], s[12:13]
; %bb.3034:
	s_mov_b32 s10, 0x7f800001
	s_xor_b64 s[4:5], exec, -1
; %bb.3035:
	s_or_b64 exec, exec, s[8:9]
	s_and_b64 s[4:5], s[4:5], exec
	s_or_saveexec_b64 s[6:7], s[6:7]
	v_mov_b32_e32 v2, s10
	s_xor_b64 exec, exec, s[6:7]
	s_cbranch_execz .LBB47_986
.LBB47_3036:
	v_mov_b32_e32 v2, 0
	v_cmp_ne_u16_sdwa s[8:9], v8, v2 src0_sel:BYTE_3 src1_sel:DWORD
	s_andn2_b64 s[4:5], s[4:5], exec
	s_and_b64 s[8:9], s[8:9], exec
	s_or_b64 s[4:5], s[4:5], s[8:9]
	s_or_b64 exec, exec, s[6:7]
	s_and_saveexec_b64 s[6:7], s[4:5]
	s_cbranch_execnz .LBB47_987
	s_branch .LBB47_988
.LBB47_3037:
	s_movk_i32 s4, 0x80
	v_cmp_eq_u16_sdwa s[12:13], v4, s4 src0_sel:BYTE_3 src1_sel:DWORD
	s_mov_b64 s[4:5], -1
                                        ; implicit-def: $sgpr10
	s_and_saveexec_b64 s[8:9], s[12:13]
; %bb.3038:
	s_mov_b32 s10, 0x7f800001
	s_xor_b64 s[4:5], exec, -1
; %bb.3039:
	s_or_b64 exec, exec, s[8:9]
	s_and_b64 s[4:5], s[4:5], exec
	s_or_saveexec_b64 s[6:7], s[6:7]
	v_mov_b32_e32 v3, s10
	s_xor_b64 exec, exec, s[6:7]
	s_cbranch_execz .LBB47_990
.LBB47_3040:
	v_mov_b32_e32 v3, 0
	v_cmp_ne_u16_sdwa s[8:9], v4, v3 src0_sel:BYTE_3 src1_sel:DWORD
	s_andn2_b64 s[4:5], s[4:5], exec
	s_and_b64 s[8:9], s[8:9], exec
	s_or_b64 s[4:5], s[4:5], s[8:9]
	s_or_b64 exec, exec, s[6:7]
	s_and_saveexec_b64 s[6:7], s[4:5]
	s_cbranch_execnz .LBB47_991
	s_branch .LBB47_992
.LBB47_3041:
	s_movk_i32 s4, 0x80
	v_cmp_eq_u16_sdwa s[12:13], v9, s4 src0_sel:BYTE_0 src1_sel:DWORD
	s_mov_b64 s[4:5], -1
                                        ; implicit-def: $sgpr10
	s_and_saveexec_b64 s[8:9], s[12:13]
; %bb.3042:
	s_mov_b32 s10, 0x7f800001
	s_xor_b64 s[4:5], exec, -1
; %bb.3043:
	s_or_b64 exec, exec, s[8:9]
	s_and_b64 s[4:5], s[4:5], exec
	s_or_saveexec_b64 s[6:7], s[6:7]
	v_mov_b32_e32 v2, s10
	s_xor_b64 exec, exec, s[6:7]
	s_cbranch_execz .LBB47_994
.LBB47_3044:
	v_mov_b32_e32 v2, 0
	v_cmp_ne_u16_sdwa s[8:9], v9, v2 src0_sel:BYTE_0 src1_sel:DWORD
	s_andn2_b64 s[4:5], s[4:5], exec
	s_and_b64 s[8:9], s[8:9], exec
	s_or_b64 s[4:5], s[4:5], s[8:9]
	s_or_b64 exec, exec, s[6:7]
	s_and_saveexec_b64 s[6:7], s[4:5]
	s_cbranch_execnz .LBB47_995
	s_branch .LBB47_996
.LBB47_3045:
	s_movk_i32 s4, 0x80
	v_cmp_eq_u16_sdwa s[12:13], v5, s4 src0_sel:BYTE_0 src1_sel:DWORD
	s_mov_b64 s[4:5], -1
                                        ; implicit-def: $sgpr10
	s_and_saveexec_b64 s[8:9], s[12:13]
; %bb.3046:
	s_mov_b32 s10, 0x7f800001
	s_xor_b64 s[4:5], exec, -1
; %bb.3047:
	s_or_b64 exec, exec, s[8:9]
	s_and_b64 s[4:5], s[4:5], exec
	s_or_saveexec_b64 s[6:7], s[6:7]
	v_mov_b32_e32 v3, s10
	s_xor_b64 exec, exec, s[6:7]
	s_cbranch_execz .LBB47_998
.LBB47_3048:
	v_mov_b32_e32 v3, 0
	v_cmp_ne_u16_sdwa s[8:9], v5, v3 src0_sel:BYTE_0 src1_sel:DWORD
	s_andn2_b64 s[4:5], s[4:5], exec
	s_and_b64 s[8:9], s[8:9], exec
	s_or_b64 s[4:5], s[4:5], s[8:9]
	s_or_b64 exec, exec, s[6:7]
	s_and_saveexec_b64 s[6:7], s[4:5]
	s_cbranch_execnz .LBB47_999
	s_branch .LBB47_1000
.LBB47_3049:
	s_movk_i32 s4, 0x80
	v_cmp_eq_u16_sdwa s[12:13], v3, s4 src0_sel:BYTE_0 src1_sel:DWORD
	s_mov_b64 s[4:5], -1
                                        ; implicit-def: $sgpr10
	s_and_saveexec_b64 s[8:9], s[12:13]
; %bb.3050:
	s_mov_b32 s10, 0x7f800001
	s_xor_b64 s[4:5], exec, -1
; %bb.3051:
	s_or_b64 exec, exec, s[8:9]
	s_and_b64 s[4:5], s[4:5], exec
	s_or_saveexec_b64 s[6:7], s[6:7]
	v_mov_b32_e32 v2, s10
	s_xor_b64 exec, exec, s[6:7]
	s_cbranch_execz .LBB47_1002
.LBB47_3052:
	v_mov_b32_e32 v2, 0
	v_cmp_ne_u16_sdwa s[8:9], v3, v2 src0_sel:BYTE_0 src1_sel:DWORD
	s_andn2_b64 s[4:5], s[4:5], exec
	s_and_b64 s[8:9], s[8:9], exec
	s_or_b64 s[4:5], s[4:5], s[8:9]
	s_or_b64 exec, exec, s[6:7]
	s_and_saveexec_b64 s[6:7], s[4:5]
	s_cbranch_execnz .LBB47_1003
	s_branch .LBB47_1004
.LBB47_3053:
	s_movk_i32 s4, 0x80
	v_cmp_eq_u16_sdwa s[12:13], v3, s4 src0_sel:BYTE_0 src1_sel:DWORD
	s_mov_b64 s[4:5], -1
                                        ; implicit-def: $sgpr10
	s_and_saveexec_b64 s[8:9], s[12:13]
; %bb.3054:
	s_mov_b32 s10, 0x7f800001
	s_xor_b64 s[4:5], exec, -1
; %bb.3055:
	s_or_b64 exec, exec, s[8:9]
	s_and_b64 s[4:5], s[4:5], exec
	s_or_saveexec_b64 s[6:7], s[6:7]
	v_mov_b32_e32 v4, s10
	s_xor_b64 exec, exec, s[6:7]
	s_cbranch_execz .LBB47_1006
.LBB47_3056:
	v_mov_b32_e32 v4, 0
	v_cmp_ne_u16_sdwa s[8:9], v3, v4 src0_sel:BYTE_0 src1_sel:DWORD
	s_andn2_b64 s[4:5], s[4:5], exec
	s_and_b64 s[8:9], s[8:9], exec
	s_or_b64 s[4:5], s[4:5], s[8:9]
	s_or_b64 exec, exec, s[6:7]
	s_and_saveexec_b64 s[6:7], s[4:5]
	s_cbranch_execnz .LBB47_1007
	s_branch .LBB47_1008
.LBB47_3057:
	s_movk_i32 s4, 0x80
	v_cmp_eq_u16_e32 vcc, s4, v3
	s_mov_b64 s[4:5], -1
                                        ; implicit-def: $sgpr10
	s_and_saveexec_b64 s[8:9], vcc
; %bb.3058:
	s_mov_b32 s10, 0x7f800001
	s_xor_b64 s[4:5], exec, -1
; %bb.3059:
	s_or_b64 exec, exec, s[8:9]
	s_and_b64 s[4:5], s[4:5], exec
                                        ; implicit-def: $vgpr3
	s_or_saveexec_b64 s[6:7], s[6:7]
	v_mov_b32_e32 v2, s10
	s_xor_b64 exec, exec, s[6:7]
	s_cbranch_execz .LBB47_1010
.LBB47_3060:
	v_cmp_ne_u16_e32 vcc, 0, v3
	s_andn2_b64 s[4:5], s[4:5], exec
	s_and_b64 s[8:9], vcc, exec
	v_mov_b32_e32 v2, 0
	s_or_b64 s[4:5], s[4:5], s[8:9]
	s_or_b64 exec, exec, s[6:7]
	s_and_saveexec_b64 s[6:7], s[4:5]
	s_cbranch_execnz .LBB47_1011
	s_branch .LBB47_1012
.LBB47_3061:
	s_movk_i32 s4, 0x80
	v_cmp_eq_u16_e32 vcc, s4, v3
	s_mov_b64 s[4:5], -1
                                        ; implicit-def: $sgpr10
	s_and_saveexec_b64 s[8:9], vcc
; %bb.3062:
	s_mov_b32 s10, 0x7f800001
	s_xor_b64 s[4:5], exec, -1
; %bb.3063:
	s_or_b64 exec, exec, s[8:9]
	s_and_b64 s[4:5], s[4:5], exec
                                        ; implicit-def: $vgpr3
	s_or_saveexec_b64 s[6:7], s[6:7]
	v_mov_b32_e32 v4, s10
	s_xor_b64 exec, exec, s[6:7]
	s_cbranch_execz .LBB47_1014
.LBB47_3064:
	v_cmp_ne_u16_e32 vcc, 0, v3
	s_andn2_b64 s[4:5], s[4:5], exec
	s_and_b64 s[8:9], vcc, exec
	v_mov_b32_e32 v4, 0
	s_or_b64 s[4:5], s[4:5], s[8:9]
	s_or_b64 exec, exec, s[6:7]
	s_and_saveexec_b64 s[6:7], s[4:5]
	s_cbranch_execnz .LBB47_1015
	s_branch .LBB47_1016
.LBB47_3065:
	s_movk_i32 s4, 0x80
	v_cmp_eq_u16_sdwa s[12:13], v9, s4 src0_sel:BYTE_3 src1_sel:DWORD
	s_mov_b64 s[4:5], -1
                                        ; implicit-def: $sgpr10
	s_and_saveexec_b64 s[8:9], s[12:13]
; %bb.3066:
	s_mov_b32 s10, 0x7f800001
	s_xor_b64 s[4:5], exec, -1
; %bb.3067:
	s_or_b64 exec, exec, s[8:9]
	s_and_b64 s[4:5], s[4:5], exec
	s_or_saveexec_b64 s[6:7], s[6:7]
	v_mov_b32_e32 v2, s10
	s_xor_b64 exec, exec, s[6:7]
	s_cbranch_execz .LBB47_1018
.LBB47_3068:
	v_mov_b32_e32 v2, 0
	v_cmp_ne_u16_sdwa s[8:9], v9, v2 src0_sel:BYTE_3 src1_sel:DWORD
	s_andn2_b64 s[4:5], s[4:5], exec
	s_and_b64 s[8:9], s[8:9], exec
	s_or_b64 s[4:5], s[4:5], s[8:9]
	s_or_b64 exec, exec, s[6:7]
	s_and_saveexec_b64 s[6:7], s[4:5]
	s_cbranch_execnz .LBB47_1019
	s_branch .LBB47_1020
.LBB47_3069:
	s_movk_i32 s4, 0x80
	v_cmp_eq_u16_sdwa s[12:13], v5, s4 src0_sel:BYTE_3 src1_sel:DWORD
	s_mov_b64 s[4:5], -1
                                        ; implicit-def: $sgpr10
	s_and_saveexec_b64 s[8:9], s[12:13]
; %bb.3070:
	s_mov_b32 s10, 0x7f800001
	s_xor_b64 s[4:5], exec, -1
; %bb.3071:
	s_or_b64 exec, exec, s[8:9]
	s_and_b64 s[4:5], s[4:5], exec
	s_or_saveexec_b64 s[6:7], s[6:7]
	v_mov_b32_e32 v3, s10
	s_xor_b64 exec, exec, s[6:7]
	s_cbranch_execz .LBB47_1022
.LBB47_3072:
	v_mov_b32_e32 v3, 0
	v_cmp_ne_u16_sdwa s[8:9], v5, v3 src0_sel:BYTE_3 src1_sel:DWORD
	s_andn2_b64 s[4:5], s[4:5], exec
	s_and_b64 s[8:9], s[8:9], exec
	s_or_b64 s[4:5], s[4:5], s[8:9]
	s_or_b64 exec, exec, s[6:7]
	s_and_saveexec_b64 s[6:7], s[4:5]
	s_cbranch_execnz .LBB47_1023
	s_branch .LBB47_1024
.LBB47_3073:
	s_movk_i32 s4, 0x80
	v_cmp_eq_u16_sdwa s[12:13], v14, s4 src0_sel:BYTE_0 src1_sel:DWORD
	s_mov_b64 s[4:5], -1
                                        ; implicit-def: $sgpr10
	s_and_saveexec_b64 s[8:9], s[12:13]
; %bb.3074:
	s_mov_b32 s10, 0x7f800001
	s_xor_b64 s[4:5], exec, -1
; %bb.3075:
	s_or_b64 exec, exec, s[8:9]
	s_and_b64 s[4:5], s[4:5], exec
	s_or_saveexec_b64 s[6:7], s[6:7]
	v_mov_b32_e32 v20, s10
	s_xor_b64 exec, exec, s[6:7]
	s_cbranch_execz .LBB47_1026
.LBB47_3076:
	v_mov_b32_e32 v20, 0
	v_cmp_ne_u16_sdwa s[8:9], v14, v20 src0_sel:BYTE_0 src1_sel:DWORD
	s_andn2_b64 s[4:5], s[4:5], exec
	s_and_b64 s[8:9], s[8:9], exec
	s_or_b64 s[4:5], s[4:5], s[8:9]
	s_or_b64 exec, exec, s[6:7]
	s_and_saveexec_b64 s[6:7], s[4:5]
	s_cbranch_execnz .LBB47_1027
	s_branch .LBB47_1028
.LBB47_3077:
	s_movk_i32 s4, 0x80
	v_cmp_eq_u16_sdwa s[12:13], v10, s4 src0_sel:BYTE_0 src1_sel:DWORD
	s_mov_b64 s[4:5], -1
                                        ; implicit-def: $sgpr10
	s_and_saveexec_b64 s[8:9], s[12:13]
; %bb.3078:
	s_mov_b32 s10, 0x7f800001
	s_xor_b64 s[4:5], exec, -1
; %bb.3079:
	s_or_b64 exec, exec, s[8:9]
	s_and_b64 s[4:5], s[4:5], exec
	s_or_saveexec_b64 s[6:7], s[6:7]
	v_mov_b32_e32 v21, s10
	s_xor_b64 exec, exec, s[6:7]
	s_cbranch_execz .LBB47_1030
.LBB47_3080:
	v_mov_b32_e32 v21, 0
	v_cmp_ne_u16_sdwa s[8:9], v10, v21 src0_sel:BYTE_0 src1_sel:DWORD
	s_andn2_b64 s[4:5], s[4:5], exec
	s_and_b64 s[8:9], s[8:9], exec
	s_or_b64 s[4:5], s[4:5], s[8:9]
	s_or_b64 exec, exec, s[6:7]
	s_and_saveexec_b64 s[6:7], s[4:5]
	s_cbranch_execnz .LBB47_1031
	s_branch .LBB47_1032
.LBB47_3081:
	s_movk_i32 s4, 0x80
	v_cmp_eq_u16_sdwa s[12:13], v21, s4 src0_sel:BYTE_0 src1_sel:DWORD
	s_mov_b64 s[4:5], -1
                                        ; implicit-def: $sgpr10
	s_and_saveexec_b64 s[8:9], s[12:13]
; %bb.3082:
	s_mov_b32 s10, 0x7f800001
	s_xor_b64 s[4:5], exec, -1
; %bb.3083:
	s_or_b64 exec, exec, s[8:9]
	s_and_b64 s[4:5], s[4:5], exec
	s_or_saveexec_b64 s[6:7], s[6:7]
	v_mov_b32_e32 v20, s10
	s_xor_b64 exec, exec, s[6:7]
	s_cbranch_execz .LBB47_1034
.LBB47_3084:
	v_mov_b32_e32 v20, 0
	v_cmp_ne_u16_sdwa s[8:9], v21, v20 src0_sel:BYTE_0 src1_sel:DWORD
	s_andn2_b64 s[4:5], s[4:5], exec
	s_and_b64 s[8:9], s[8:9], exec
	s_or_b64 s[4:5], s[4:5], s[8:9]
	s_or_b64 exec, exec, s[6:7]
	s_and_saveexec_b64 s[6:7], s[4:5]
	s_cbranch_execnz .LBB47_1035
	s_branch .LBB47_1036
.LBB47_3085:
	s_movk_i32 s4, 0x80
	v_cmp_eq_u16_sdwa s[12:13], v21, s4 src0_sel:BYTE_0 src1_sel:DWORD
	s_mov_b64 s[4:5], -1
                                        ; implicit-def: $sgpr10
	s_and_saveexec_b64 s[8:9], s[12:13]
; %bb.3086:
	s_mov_b32 s10, 0x7f800001
	s_xor_b64 s[4:5], exec, -1
; %bb.3087:
	s_or_b64 exec, exec, s[8:9]
	s_and_b64 s[4:5], s[4:5], exec
	s_or_saveexec_b64 s[6:7], s[6:7]
	v_mov_b32_e32 v22, s10
	s_xor_b64 exec, exec, s[6:7]
	s_cbranch_execz .LBB47_1038
.LBB47_3088:
	v_mov_b32_e32 v22, 0
	v_cmp_ne_u16_sdwa s[8:9], v21, v22 src0_sel:BYTE_0 src1_sel:DWORD
	s_andn2_b64 s[4:5], s[4:5], exec
	s_and_b64 s[8:9], s[8:9], exec
	s_or_b64 s[4:5], s[4:5], s[8:9]
	s_or_b64 exec, exec, s[6:7]
	s_and_saveexec_b64 s[6:7], s[4:5]
	s_cbranch_execnz .LBB47_1039
	s_branch .LBB47_1040
.LBB47_3089:
	s_movk_i32 s4, 0x80
	v_cmp_eq_u16_e32 vcc, s4, v21
	s_mov_b64 s[4:5], -1
                                        ; implicit-def: $sgpr10
	s_and_saveexec_b64 s[8:9], vcc
; %bb.3090:
	s_mov_b32 s10, 0x7f800001
	s_xor_b64 s[4:5], exec, -1
; %bb.3091:
	s_or_b64 exec, exec, s[8:9]
	s_and_b64 s[4:5], s[4:5], exec
                                        ; implicit-def: $vgpr21
	s_or_saveexec_b64 s[6:7], s[6:7]
	v_mov_b32_e32 v20, s10
	s_xor_b64 exec, exec, s[6:7]
	s_cbranch_execz .LBB47_1042
.LBB47_3092:
	v_cmp_ne_u16_e32 vcc, 0, v21
	s_andn2_b64 s[4:5], s[4:5], exec
	s_and_b64 s[8:9], vcc, exec
	v_mov_b32_e32 v20, 0
	s_or_b64 s[4:5], s[4:5], s[8:9]
	s_or_b64 exec, exec, s[6:7]
	s_and_saveexec_b64 s[6:7], s[4:5]
	s_cbranch_execnz .LBB47_1043
	s_branch .LBB47_1044
.LBB47_3093:
	s_movk_i32 s4, 0x80
	v_cmp_eq_u16_e32 vcc, s4, v21
	s_mov_b64 s[4:5], -1
                                        ; implicit-def: $sgpr10
	s_and_saveexec_b64 s[8:9], vcc
; %bb.3094:
	s_mov_b32 s10, 0x7f800001
	s_xor_b64 s[4:5], exec, -1
; %bb.3095:
	s_or_b64 exec, exec, s[8:9]
	s_and_b64 s[4:5], s[4:5], exec
                                        ; implicit-def: $vgpr21
	s_or_saveexec_b64 s[6:7], s[6:7]
	v_mov_b32_e32 v22, s10
	s_xor_b64 exec, exec, s[6:7]
	s_cbranch_execz .LBB47_1046
.LBB47_3096:
	v_cmp_ne_u16_e32 vcc, 0, v21
	s_andn2_b64 s[4:5], s[4:5], exec
	s_and_b64 s[8:9], vcc, exec
	v_mov_b32_e32 v22, 0
	s_or_b64 s[4:5], s[4:5], s[8:9]
	s_or_b64 exec, exec, s[6:7]
	s_and_saveexec_b64 s[6:7], s[4:5]
	s_cbranch_execnz .LBB47_1047
	s_branch .LBB47_1048
.LBB47_3097:
	s_movk_i32 s4, 0x80
	v_cmp_eq_u16_sdwa s[12:13], v14, s4 src0_sel:BYTE_3 src1_sel:DWORD
	s_mov_b64 s[4:5], -1
                                        ; implicit-def: $sgpr10
	s_and_saveexec_b64 s[8:9], s[12:13]
; %bb.3098:
	s_mov_b32 s10, 0x7f800001
	s_xor_b64 s[4:5], exec, -1
; %bb.3099:
	s_or_b64 exec, exec, s[8:9]
	s_and_b64 s[4:5], s[4:5], exec
	s_or_saveexec_b64 s[6:7], s[6:7]
	v_mov_b32_e32 v20, s10
	s_xor_b64 exec, exec, s[6:7]
	s_cbranch_execz .LBB47_1050
.LBB47_3100:
	v_mov_b32_e32 v20, 0
	v_cmp_ne_u16_sdwa s[8:9], v14, v20 src0_sel:BYTE_3 src1_sel:DWORD
	s_andn2_b64 s[4:5], s[4:5], exec
	s_and_b64 s[8:9], s[8:9], exec
	s_or_b64 s[4:5], s[4:5], s[8:9]
	s_or_b64 exec, exec, s[6:7]
	s_and_saveexec_b64 s[6:7], s[4:5]
	s_cbranch_execnz .LBB47_1051
	s_branch .LBB47_1052
.LBB47_3101:
	s_movk_i32 s4, 0x80
	v_cmp_eq_u16_sdwa s[12:13], v10, s4 src0_sel:BYTE_3 src1_sel:DWORD
	s_mov_b64 s[4:5], -1
                                        ; implicit-def: $sgpr10
	s_and_saveexec_b64 s[8:9], s[12:13]
; %bb.3102:
	s_mov_b32 s10, 0x7f800001
	s_xor_b64 s[4:5], exec, -1
; %bb.3103:
	s_or_b64 exec, exec, s[8:9]
	s_and_b64 s[4:5], s[4:5], exec
	s_or_saveexec_b64 s[6:7], s[6:7]
	v_mov_b32_e32 v14, s10
	s_xor_b64 exec, exec, s[6:7]
	s_cbranch_execz .LBB47_1054
.LBB47_3104:
	v_mov_b32_e32 v14, 0
	v_cmp_ne_u16_sdwa s[8:9], v10, v14 src0_sel:BYTE_3 src1_sel:DWORD
	s_andn2_b64 s[4:5], s[4:5], exec
	s_and_b64 s[8:9], s[8:9], exec
	s_or_b64 s[4:5], s[4:5], s[8:9]
	s_or_b64 exec, exec, s[6:7]
	s_and_saveexec_b64 s[6:7], s[4:5]
	s_cbranch_execnz .LBB47_1055
	s_branch .LBB47_1056
.LBB47_3105:
	s_movk_i32 s4, 0x80
	v_cmp_eq_u16_sdwa s[12:13], v15, s4 src0_sel:BYTE_0 src1_sel:DWORD
	s_mov_b64 s[4:5], -1
                                        ; implicit-def: $sgpr10
	s_and_saveexec_b64 s[8:9], s[12:13]
; %bb.3106:
	s_mov_b32 s10, 0x7f800001
	s_xor_b64 s[4:5], exec, -1
; %bb.3107:
	s_or_b64 exec, exec, s[8:9]
	s_and_b64 s[4:5], s[4:5], exec
	s_or_saveexec_b64 s[6:7], s[6:7]
	v_mov_b32_e32 v10, s10
	s_xor_b64 exec, exec, s[6:7]
	s_cbranch_execz .LBB47_1058
.LBB47_3108:
	v_mov_b32_e32 v10, 0
	v_cmp_ne_u16_sdwa s[8:9], v15, v10 src0_sel:BYTE_0 src1_sel:DWORD
	s_andn2_b64 s[4:5], s[4:5], exec
	s_and_b64 s[8:9], s[8:9], exec
	s_or_b64 s[4:5], s[4:5], s[8:9]
	s_or_b64 exec, exec, s[6:7]
	s_and_saveexec_b64 s[6:7], s[4:5]
	s_cbranch_execnz .LBB47_1059
	s_branch .LBB47_1060
.LBB47_3109:
	s_movk_i32 s4, 0x80
	v_cmp_eq_u16_sdwa s[12:13], v11, s4 src0_sel:BYTE_0 src1_sel:DWORD
	s_mov_b64 s[4:5], -1
                                        ; implicit-def: $sgpr10
	s_and_saveexec_b64 s[8:9], s[12:13]
; %bb.3110:
	s_mov_b32 s10, 0x7f800001
	s_xor_b64 s[4:5], exec, -1
; %bb.3111:
	s_or_b64 exec, exec, s[8:9]
	s_and_b64 s[4:5], s[4:5], exec
	s_or_saveexec_b64 s[6:7], s[6:7]
	v_mov_b32_e32 v14, s10
	s_xor_b64 exec, exec, s[6:7]
	s_cbranch_execz .LBB47_1062
.LBB47_3112:
	v_mov_b32_e32 v14, 0
	v_cmp_ne_u16_sdwa s[8:9], v11, v14 src0_sel:BYTE_0 src1_sel:DWORD
	s_andn2_b64 s[4:5], s[4:5], exec
	s_and_b64 s[8:9], s[8:9], exec
	s_or_b64 s[4:5], s[4:5], s[8:9]
	s_or_b64 exec, exec, s[6:7]
	s_and_saveexec_b64 s[6:7], s[4:5]
	s_cbranch_execnz .LBB47_1063
	s_branch .LBB47_1064
.LBB47_3113:
	s_movk_i32 s4, 0x80
	v_cmp_eq_u16_sdwa s[12:13], v14, s4 src0_sel:BYTE_0 src1_sel:DWORD
	s_mov_b64 s[4:5], -1
                                        ; implicit-def: $sgpr10
	s_and_saveexec_b64 s[8:9], s[12:13]
; %bb.3114:
	s_mov_b32 s10, 0x7f800001
	s_xor_b64 s[4:5], exec, -1
; %bb.3115:
	s_or_b64 exec, exec, s[8:9]
	s_and_b64 s[4:5], s[4:5], exec
	s_or_saveexec_b64 s[6:7], s[6:7]
	v_mov_b32_e32 v10, s10
	s_xor_b64 exec, exec, s[6:7]
	s_cbranch_execz .LBB47_1066
.LBB47_3116:
	v_mov_b32_e32 v10, 0
	v_cmp_ne_u16_sdwa s[8:9], v14, v10 src0_sel:BYTE_0 src1_sel:DWORD
	s_andn2_b64 s[4:5], s[4:5], exec
	s_and_b64 s[8:9], s[8:9], exec
	s_or_b64 s[4:5], s[4:5], s[8:9]
	s_or_b64 exec, exec, s[6:7]
	s_and_saveexec_b64 s[6:7], s[4:5]
	s_cbranch_execnz .LBB47_1067
	s_branch .LBB47_1068
.LBB47_3117:
	s_movk_i32 s4, 0x80
	v_cmp_eq_u16_sdwa s[12:13], v14, s4 src0_sel:BYTE_0 src1_sel:DWORD
	s_mov_b64 s[4:5], -1
                                        ; implicit-def: $sgpr10
	s_and_saveexec_b64 s[8:9], s[12:13]
; %bb.3118:
	s_mov_b32 s10, 0x7f800001
	s_xor_b64 s[4:5], exec, -1
; %bb.3119:
	s_or_b64 exec, exec, s[8:9]
	s_and_b64 s[4:5], s[4:5], exec
	s_or_saveexec_b64 s[6:7], s[6:7]
	v_mov_b32_e32 v20, s10
	s_xor_b64 exec, exec, s[6:7]
	s_cbranch_execz .LBB47_1070
.LBB47_3120:
	v_mov_b32_e32 v20, 0
	v_cmp_ne_u16_sdwa s[8:9], v14, v20 src0_sel:BYTE_0 src1_sel:DWORD
	s_andn2_b64 s[4:5], s[4:5], exec
	s_and_b64 s[8:9], s[8:9], exec
	s_or_b64 s[4:5], s[4:5], s[8:9]
	s_or_b64 exec, exec, s[6:7]
	s_and_saveexec_b64 s[6:7], s[4:5]
	s_cbranch_execnz .LBB47_1071
	s_branch .LBB47_1072
.LBB47_3121:
	s_movk_i32 s4, 0x80
	v_cmp_eq_u16_e32 vcc, s4, v14
	s_mov_b64 s[4:5], -1
                                        ; implicit-def: $sgpr10
	s_and_saveexec_b64 s[8:9], vcc
; %bb.3122:
	s_mov_b32 s10, 0x7f800001
	s_xor_b64 s[4:5], exec, -1
; %bb.3123:
	s_or_b64 exec, exec, s[8:9]
	s_and_b64 s[4:5], s[4:5], exec
                                        ; implicit-def: $vgpr14
	s_or_saveexec_b64 s[6:7], s[6:7]
	v_mov_b32_e32 v10, s10
	s_xor_b64 exec, exec, s[6:7]
	s_cbranch_execz .LBB47_1074
.LBB47_3124:
	v_cmp_ne_u16_e32 vcc, 0, v14
	s_andn2_b64 s[4:5], s[4:5], exec
	s_and_b64 s[8:9], vcc, exec
	v_mov_b32_e32 v10, 0
	s_or_b64 s[4:5], s[4:5], s[8:9]
	s_or_b64 exec, exec, s[6:7]
	s_and_saveexec_b64 s[6:7], s[4:5]
	s_cbranch_execnz .LBB47_1075
	s_branch .LBB47_1076
.LBB47_3125:
	s_movk_i32 s4, 0x80
	v_cmp_eq_u16_e32 vcc, s4, v14
	s_mov_b64 s[4:5], -1
                                        ; implicit-def: $sgpr10
	s_and_saveexec_b64 s[8:9], vcc
; %bb.3126:
	s_mov_b32 s10, 0x7f800001
	s_xor_b64 s[4:5], exec, -1
; %bb.3127:
	s_or_b64 exec, exec, s[8:9]
	s_and_b64 s[4:5], s[4:5], exec
                                        ; implicit-def: $vgpr14
	s_or_saveexec_b64 s[6:7], s[6:7]
	v_mov_b32_e32 v20, s10
	s_xor_b64 exec, exec, s[6:7]
	s_cbranch_execz .LBB47_1078
.LBB47_3128:
	v_cmp_ne_u16_e32 vcc, 0, v14
	s_andn2_b64 s[4:5], s[4:5], exec
	s_and_b64 s[8:9], vcc, exec
	v_mov_b32_e32 v20, 0
	s_or_b64 s[4:5], s[4:5], s[8:9]
	s_or_b64 exec, exec, s[6:7]
	s_and_saveexec_b64 s[6:7], s[4:5]
	s_cbranch_execnz .LBB47_1079
	s_branch .LBB47_1080
.LBB47_3129:
	s_movk_i32 s4, 0x80
	v_cmp_eq_u16_sdwa s[12:13], v15, s4 src0_sel:BYTE_3 src1_sel:DWORD
	s_mov_b64 s[4:5], -1
                                        ; implicit-def: $sgpr10
	s_and_saveexec_b64 s[8:9], s[12:13]
; %bb.3130:
	s_mov_b32 s10, 0x7f800001
	s_xor_b64 s[4:5], exec, -1
; %bb.3131:
	s_or_b64 exec, exec, s[8:9]
	s_and_b64 s[4:5], s[4:5], exec
	s_or_saveexec_b64 s[6:7], s[6:7]
	v_mov_b32_e32 v10, s10
	s_xor_b64 exec, exec, s[6:7]
	s_cbranch_execz .LBB47_1082
.LBB47_3132:
	v_mov_b32_e32 v10, 0
	v_cmp_ne_u16_sdwa s[8:9], v15, v10 src0_sel:BYTE_3 src1_sel:DWORD
	s_andn2_b64 s[4:5], s[4:5], exec
	s_and_b64 s[8:9], s[8:9], exec
	s_or_b64 s[4:5], s[4:5], s[8:9]
	s_or_b64 exec, exec, s[6:7]
	s_and_saveexec_b64 s[6:7], s[4:5]
	s_cbranch_execnz .LBB47_1083
	s_branch .LBB47_1084
.LBB47_3133:
	s_movk_i32 s4, 0x80
	v_cmp_eq_u16_sdwa s[12:13], v11, s4 src0_sel:BYTE_3 src1_sel:DWORD
	s_mov_b64 s[4:5], -1
                                        ; implicit-def: $sgpr10
	s_and_saveexec_b64 s[8:9], s[12:13]
; %bb.3134:
	s_mov_b32 s10, 0x7f800001
	s_xor_b64 s[4:5], exec, -1
; %bb.3135:
	s_or_b64 exec, exec, s[8:9]
	s_and_b64 s[4:5], s[4:5], exec
	s_or_saveexec_b64 s[6:7], s[6:7]
	v_mov_b32_e32 v14, s10
	s_xor_b64 exec, exec, s[6:7]
	s_cbranch_execz .LBB47_1086
.LBB47_3136:
	v_mov_b32_e32 v14, 0
	v_cmp_ne_u16_sdwa s[8:9], v11, v14 src0_sel:BYTE_3 src1_sel:DWORD
	s_andn2_b64 s[4:5], s[4:5], exec
	s_and_b64 s[8:9], s[8:9], exec
	s_or_b64 s[4:5], s[4:5], s[8:9]
	s_or_b64 exec, exec, s[6:7]
	s_and_saveexec_b64 s[6:7], s[4:5]
	s_cbranch_execnz .LBB47_1087
	s_branch .LBB47_1088
.LBB47_3137:
	s_movk_i32 s4, 0x80
	v_cmp_eq_u16_sdwa s[12:13], v16, s4 src0_sel:BYTE_0 src1_sel:DWORD
	s_mov_b64 s[4:5], -1
                                        ; implicit-def: $sgpr10
	s_and_saveexec_b64 s[8:9], s[12:13]
; %bb.3138:
	s_mov_b32 s10, 0x7f800001
	s_xor_b64 s[4:5], exec, -1
; %bb.3139:
	s_or_b64 exec, exec, s[8:9]
	s_and_b64 s[4:5], s[4:5], exec
	s_or_saveexec_b64 s[6:7], s[6:7]
	v_mov_b32_e32 v10, s10
	s_xor_b64 exec, exec, s[6:7]
	s_cbranch_execz .LBB47_1090
.LBB47_3140:
	v_mov_b32_e32 v10, 0
	v_cmp_ne_u16_sdwa s[8:9], v16, v10 src0_sel:BYTE_0 src1_sel:DWORD
	s_andn2_b64 s[4:5], s[4:5], exec
	s_and_b64 s[8:9], s[8:9], exec
	s_or_b64 s[4:5], s[4:5], s[8:9]
	s_or_b64 exec, exec, s[6:7]
	s_and_saveexec_b64 s[6:7], s[4:5]
	s_cbranch_execnz .LBB47_1091
	s_branch .LBB47_1092
.LBB47_3141:
	s_movk_i32 s4, 0x80
	v_cmp_eq_u16_sdwa s[12:13], v12, s4 src0_sel:BYTE_0 src1_sel:DWORD
	s_mov_b64 s[4:5], -1
                                        ; implicit-def: $sgpr10
	s_and_saveexec_b64 s[8:9], s[12:13]
; %bb.3142:
	s_mov_b32 s10, 0x7f800001
	s_xor_b64 s[4:5], exec, -1
; %bb.3143:
	s_or_b64 exec, exec, s[8:9]
	s_and_b64 s[4:5], s[4:5], exec
	s_or_saveexec_b64 s[6:7], s[6:7]
	v_mov_b32_e32 v11, s10
	s_xor_b64 exec, exec, s[6:7]
	s_cbranch_execz .LBB47_1094
.LBB47_3144:
	v_mov_b32_e32 v11, 0
	v_cmp_ne_u16_sdwa s[8:9], v12, v11 src0_sel:BYTE_0 src1_sel:DWORD
	s_andn2_b64 s[4:5], s[4:5], exec
	s_and_b64 s[8:9], s[8:9], exec
	s_or_b64 s[4:5], s[4:5], s[8:9]
	s_or_b64 exec, exec, s[6:7]
	s_and_saveexec_b64 s[6:7], s[4:5]
	s_cbranch_execnz .LBB47_1095
	s_branch .LBB47_1096
.LBB47_3145:
	s_movk_i32 s4, 0x80
	v_cmp_eq_u16_sdwa s[12:13], v11, s4 src0_sel:BYTE_0 src1_sel:DWORD
	s_mov_b64 s[4:5], -1
                                        ; implicit-def: $sgpr10
	s_and_saveexec_b64 s[8:9], s[12:13]
; %bb.3146:
	s_mov_b32 s10, 0x7f800001
	s_xor_b64 s[4:5], exec, -1
; %bb.3147:
	s_or_b64 exec, exec, s[8:9]
	s_and_b64 s[4:5], s[4:5], exec
	s_or_saveexec_b64 s[6:7], s[6:7]
	v_mov_b32_e32 v10, s10
	s_xor_b64 exec, exec, s[6:7]
	s_cbranch_execz .LBB47_1098
.LBB47_3148:
	v_mov_b32_e32 v10, 0
	v_cmp_ne_u16_sdwa s[8:9], v11, v10 src0_sel:BYTE_0 src1_sel:DWORD
	s_andn2_b64 s[4:5], s[4:5], exec
	s_and_b64 s[8:9], s[8:9], exec
	s_or_b64 s[4:5], s[4:5], s[8:9]
	s_or_b64 exec, exec, s[6:7]
	s_and_saveexec_b64 s[6:7], s[4:5]
	s_cbranch_execnz .LBB47_1099
	s_branch .LBB47_1100
.LBB47_3149:
	s_movk_i32 s4, 0x80
	v_cmp_eq_u16_sdwa s[12:13], v11, s4 src0_sel:BYTE_0 src1_sel:DWORD
	s_mov_b64 s[4:5], -1
                                        ; implicit-def: $sgpr10
	s_and_saveexec_b64 s[8:9], s[12:13]
; %bb.3150:
	s_mov_b32 s10, 0x7f800001
	s_xor_b64 s[4:5], exec, -1
; %bb.3151:
	s_or_b64 exec, exec, s[8:9]
	s_and_b64 s[4:5], s[4:5], exec
	s_or_saveexec_b64 s[6:7], s[6:7]
	v_mov_b32_e32 v14, s10
	s_xor_b64 exec, exec, s[6:7]
	s_cbranch_execz .LBB47_1102
.LBB47_3152:
	v_mov_b32_e32 v14, 0
	v_cmp_ne_u16_sdwa s[8:9], v11, v14 src0_sel:BYTE_0 src1_sel:DWORD
	s_andn2_b64 s[4:5], s[4:5], exec
	s_and_b64 s[8:9], s[8:9], exec
	s_or_b64 s[4:5], s[4:5], s[8:9]
	s_or_b64 exec, exec, s[6:7]
	s_and_saveexec_b64 s[6:7], s[4:5]
	s_cbranch_execnz .LBB47_1103
	s_branch .LBB47_1104
.LBB47_3153:
	s_movk_i32 s4, 0x80
	v_cmp_eq_u16_e32 vcc, s4, v11
	s_mov_b64 s[4:5], -1
                                        ; implicit-def: $sgpr10
	s_and_saveexec_b64 s[8:9], vcc
; %bb.3154:
	s_mov_b32 s10, 0x7f800001
	s_xor_b64 s[4:5], exec, -1
; %bb.3155:
	s_or_b64 exec, exec, s[8:9]
	s_and_b64 s[4:5], s[4:5], exec
                                        ; implicit-def: $vgpr11
	s_or_saveexec_b64 s[6:7], s[6:7]
	v_mov_b32_e32 v10, s10
	s_xor_b64 exec, exec, s[6:7]
	s_cbranch_execz .LBB47_1106
.LBB47_3156:
	v_cmp_ne_u16_e32 vcc, 0, v11
	s_andn2_b64 s[4:5], s[4:5], exec
	s_and_b64 s[8:9], vcc, exec
	v_mov_b32_e32 v10, 0
	s_or_b64 s[4:5], s[4:5], s[8:9]
	s_or_b64 exec, exec, s[6:7]
	s_and_saveexec_b64 s[6:7], s[4:5]
	s_cbranch_execnz .LBB47_1107
	s_branch .LBB47_1108
.LBB47_3157:
	s_movk_i32 s4, 0x80
	v_cmp_eq_u16_e32 vcc, s4, v11
	s_mov_b64 s[4:5], -1
                                        ; implicit-def: $sgpr10
	s_and_saveexec_b64 s[8:9], vcc
; %bb.3158:
	s_mov_b32 s10, 0x7f800001
	s_xor_b64 s[4:5], exec, -1
; %bb.3159:
	s_or_b64 exec, exec, s[8:9]
	s_and_b64 s[4:5], s[4:5], exec
                                        ; implicit-def: $vgpr11
	s_or_saveexec_b64 s[6:7], s[6:7]
	v_mov_b32_e32 v14, s10
	s_xor_b64 exec, exec, s[6:7]
	s_cbranch_execz .LBB47_1110
.LBB47_3160:
	v_cmp_ne_u16_e32 vcc, 0, v11
	s_andn2_b64 s[4:5], s[4:5], exec
	s_and_b64 s[8:9], vcc, exec
	v_mov_b32_e32 v14, 0
	s_or_b64 s[4:5], s[4:5], s[8:9]
	s_or_b64 exec, exec, s[6:7]
	s_and_saveexec_b64 s[6:7], s[4:5]
	s_cbranch_execnz .LBB47_1111
	s_branch .LBB47_1112
.LBB47_3161:
	s_movk_i32 s4, 0x80
	v_cmp_eq_u16_sdwa s[12:13], v16, s4 src0_sel:BYTE_3 src1_sel:DWORD
	s_mov_b64 s[4:5], -1
                                        ; implicit-def: $sgpr10
	s_and_saveexec_b64 s[8:9], s[12:13]
; %bb.3162:
	s_mov_b32 s10, 0x7f800001
	s_xor_b64 s[4:5], exec, -1
; %bb.3163:
	s_or_b64 exec, exec, s[8:9]
	s_and_b64 s[4:5], s[4:5], exec
	s_or_saveexec_b64 s[6:7], s[6:7]
	v_mov_b32_e32 v10, s10
	s_xor_b64 exec, exec, s[6:7]
	s_cbranch_execz .LBB47_1114
.LBB47_3164:
	v_mov_b32_e32 v10, 0
	v_cmp_ne_u16_sdwa s[8:9], v16, v10 src0_sel:BYTE_3 src1_sel:DWORD
	s_andn2_b64 s[4:5], s[4:5], exec
	s_and_b64 s[8:9], s[8:9], exec
	s_or_b64 s[4:5], s[4:5], s[8:9]
	s_or_b64 exec, exec, s[6:7]
	s_and_saveexec_b64 s[6:7], s[4:5]
	s_cbranch_execnz .LBB47_1115
	s_branch .LBB47_1116
.LBB47_3165:
	s_movk_i32 s4, 0x80
	v_cmp_eq_u16_sdwa s[12:13], v12, s4 src0_sel:BYTE_3 src1_sel:DWORD
	s_mov_b64 s[4:5], -1
                                        ; implicit-def: $sgpr10
	s_and_saveexec_b64 s[8:9], s[12:13]
; %bb.3166:
	s_mov_b32 s10, 0x7f800001
	s_xor_b64 s[4:5], exec, -1
; %bb.3167:
	s_or_b64 exec, exec, s[8:9]
	s_and_b64 s[4:5], s[4:5], exec
	s_or_saveexec_b64 s[6:7], s[6:7]
	v_mov_b32_e32 v11, s10
	s_xor_b64 exec, exec, s[6:7]
	s_cbranch_execz .LBB47_1118
.LBB47_3168:
	v_mov_b32_e32 v11, 0
	v_cmp_ne_u16_sdwa s[8:9], v12, v11 src0_sel:BYTE_3 src1_sel:DWORD
	s_andn2_b64 s[4:5], s[4:5], exec
	s_and_b64 s[8:9], s[8:9], exec
	s_or_b64 s[4:5], s[4:5], s[8:9]
	s_or_b64 exec, exec, s[6:7]
	s_and_saveexec_b64 s[6:7], s[4:5]
	s_cbranch_execnz .LBB47_1119
	s_branch .LBB47_1120
.LBB47_3169:
	s_movk_i32 s4, 0x80
	v_cmp_eq_u16_sdwa s[12:13], v17, s4 src0_sel:BYTE_0 src1_sel:DWORD
	s_mov_b64 s[4:5], -1
                                        ; implicit-def: $sgpr10
	s_and_saveexec_b64 s[8:9], s[12:13]
; %bb.3170:
	s_mov_b32 s10, 0x7f800001
	s_xor_b64 s[4:5], exec, -1
; %bb.3171:
	s_or_b64 exec, exec, s[8:9]
	s_and_b64 s[4:5], s[4:5], exec
	s_or_saveexec_b64 s[6:7], s[6:7]
	v_mov_b32_e32 v10, s10
	s_xor_b64 exec, exec, s[6:7]
	s_cbranch_execz .LBB47_1122
.LBB47_3172:
	v_mov_b32_e32 v10, 0
	v_cmp_ne_u16_sdwa s[8:9], v17, v10 src0_sel:BYTE_0 src1_sel:DWORD
	s_andn2_b64 s[4:5], s[4:5], exec
	s_and_b64 s[8:9], s[8:9], exec
	s_or_b64 s[4:5], s[4:5], s[8:9]
	s_or_b64 exec, exec, s[6:7]
	s_and_saveexec_b64 s[6:7], s[4:5]
	s_cbranch_execnz .LBB47_1123
	s_branch .LBB47_1124
.LBB47_3173:
	s_movk_i32 s4, 0x80
	v_cmp_eq_u16_sdwa s[12:13], v13, s4 src0_sel:BYTE_0 src1_sel:DWORD
	s_mov_b64 s[4:5], -1
                                        ; implicit-def: $sgpr10
	s_and_saveexec_b64 s[8:9], s[12:13]
; %bb.3174:
	s_mov_b32 s10, 0x7f800001
	s_xor_b64 s[4:5], exec, -1
; %bb.3175:
	s_or_b64 exec, exec, s[8:9]
	s_and_b64 s[4:5], s[4:5], exec
	s_or_saveexec_b64 s[6:7], s[6:7]
	v_mov_b32_e32 v11, s10
	s_xor_b64 exec, exec, s[6:7]
	s_cbranch_execz .LBB47_1126
.LBB47_3176:
	v_mov_b32_e32 v11, 0
	v_cmp_ne_u16_sdwa s[8:9], v13, v11 src0_sel:BYTE_0 src1_sel:DWORD
	s_andn2_b64 s[4:5], s[4:5], exec
	s_and_b64 s[8:9], s[8:9], exec
	s_or_b64 s[4:5], s[4:5], s[8:9]
	s_or_b64 exec, exec, s[6:7]
	s_and_saveexec_b64 s[6:7], s[4:5]
	s_cbranch_execnz .LBB47_1127
	s_branch .LBB47_1128
.LBB47_3177:
	s_movk_i32 s4, 0x80
	v_cmp_eq_u16_sdwa s[12:13], v11, s4 src0_sel:BYTE_0 src1_sel:DWORD
	s_mov_b64 s[4:5], -1
                                        ; implicit-def: $sgpr10
	s_and_saveexec_b64 s[8:9], s[12:13]
; %bb.3178:
	s_mov_b32 s10, 0x7f800001
	s_xor_b64 s[4:5], exec, -1
; %bb.3179:
	s_or_b64 exec, exec, s[8:9]
	s_and_b64 s[4:5], s[4:5], exec
	s_or_saveexec_b64 s[6:7], s[6:7]
	v_mov_b32_e32 v10, s10
	s_xor_b64 exec, exec, s[6:7]
	s_cbranch_execz .LBB47_1130
.LBB47_3180:
	v_mov_b32_e32 v10, 0
	v_cmp_ne_u16_sdwa s[8:9], v11, v10 src0_sel:BYTE_0 src1_sel:DWORD
	s_andn2_b64 s[4:5], s[4:5], exec
	s_and_b64 s[8:9], s[8:9], exec
	s_or_b64 s[4:5], s[4:5], s[8:9]
	s_or_b64 exec, exec, s[6:7]
	s_and_saveexec_b64 s[6:7], s[4:5]
	s_cbranch_execnz .LBB47_1131
	s_branch .LBB47_1132
.LBB47_3181:
	s_movk_i32 s4, 0x80
	v_cmp_eq_u16_sdwa s[12:13], v11, s4 src0_sel:BYTE_0 src1_sel:DWORD
	s_mov_b64 s[4:5], -1
                                        ; implicit-def: $sgpr10
	s_and_saveexec_b64 s[8:9], s[12:13]
; %bb.3182:
	s_mov_b32 s10, 0x7f800001
	s_xor_b64 s[4:5], exec, -1
; %bb.3183:
	s_or_b64 exec, exec, s[8:9]
	s_and_b64 s[4:5], s[4:5], exec
	s_or_saveexec_b64 s[6:7], s[6:7]
	v_mov_b32_e32 v12, s10
	s_xor_b64 exec, exec, s[6:7]
	s_cbranch_execz .LBB47_1134
.LBB47_3184:
	v_mov_b32_e32 v12, 0
	v_cmp_ne_u16_sdwa s[8:9], v11, v12 src0_sel:BYTE_0 src1_sel:DWORD
	s_andn2_b64 s[4:5], s[4:5], exec
	s_and_b64 s[8:9], s[8:9], exec
	s_or_b64 s[4:5], s[4:5], s[8:9]
	s_or_b64 exec, exec, s[6:7]
	s_and_saveexec_b64 s[6:7], s[4:5]
	s_cbranch_execnz .LBB47_1135
	s_branch .LBB47_1136
.LBB47_3185:
	s_movk_i32 s4, 0x80
	v_cmp_eq_u16_e32 vcc, s4, v11
	s_mov_b64 s[4:5], -1
                                        ; implicit-def: $sgpr10
	s_and_saveexec_b64 s[8:9], vcc
; %bb.3186:
	s_mov_b32 s10, 0x7f800001
	s_xor_b64 s[4:5], exec, -1
; %bb.3187:
	s_or_b64 exec, exec, s[8:9]
	s_and_b64 s[4:5], s[4:5], exec
                                        ; implicit-def: $vgpr11
	s_or_saveexec_b64 s[6:7], s[6:7]
	v_mov_b32_e32 v10, s10
	s_xor_b64 exec, exec, s[6:7]
	s_cbranch_execz .LBB47_1138
.LBB47_3188:
	v_cmp_ne_u16_e32 vcc, 0, v11
	s_andn2_b64 s[4:5], s[4:5], exec
	s_and_b64 s[8:9], vcc, exec
	v_mov_b32_e32 v10, 0
	s_or_b64 s[4:5], s[4:5], s[8:9]
	s_or_b64 exec, exec, s[6:7]
	s_and_saveexec_b64 s[6:7], s[4:5]
	s_cbranch_execnz .LBB47_1139
	s_branch .LBB47_1140
.LBB47_3189:
	s_movk_i32 s4, 0x80
	v_cmp_eq_u16_e32 vcc, s4, v11
	s_mov_b64 s[4:5], -1
                                        ; implicit-def: $sgpr10
	s_and_saveexec_b64 s[8:9], vcc
; %bb.3190:
	s_mov_b32 s10, 0x7f800001
	s_xor_b64 s[4:5], exec, -1
; %bb.3191:
	s_or_b64 exec, exec, s[8:9]
	s_and_b64 s[4:5], s[4:5], exec
                                        ; implicit-def: $vgpr11
	s_or_saveexec_b64 s[6:7], s[6:7]
	v_mov_b32_e32 v12, s10
	s_xor_b64 exec, exec, s[6:7]
	s_cbranch_execz .LBB47_1142
.LBB47_3192:
	v_cmp_ne_u16_e32 vcc, 0, v11
	s_andn2_b64 s[4:5], s[4:5], exec
	s_and_b64 s[8:9], vcc, exec
	v_mov_b32_e32 v12, 0
	s_or_b64 s[4:5], s[4:5], s[8:9]
	s_or_b64 exec, exec, s[6:7]
	s_and_saveexec_b64 s[6:7], s[4:5]
	s_cbranch_execnz .LBB47_1143
	s_branch .LBB47_1144
.LBB47_3193:
	s_movk_i32 s4, 0x80
	v_cmp_eq_u16_sdwa s[12:13], v17, s4 src0_sel:BYTE_3 src1_sel:DWORD
	s_mov_b64 s[4:5], -1
                                        ; implicit-def: $sgpr10
	s_and_saveexec_b64 s[8:9], s[12:13]
; %bb.3194:
	s_mov_b32 s10, 0x7f800001
	s_xor_b64 s[4:5], exec, -1
; %bb.3195:
	s_or_b64 exec, exec, s[8:9]
	s_and_b64 s[4:5], s[4:5], exec
	s_or_saveexec_b64 s[6:7], s[6:7]
	v_mov_b32_e32 v10, s10
	s_xor_b64 exec, exec, s[6:7]
	s_cbranch_execz .LBB47_1146
.LBB47_3196:
	v_mov_b32_e32 v10, 0
	v_cmp_ne_u16_sdwa s[8:9], v17, v10 src0_sel:BYTE_3 src1_sel:DWORD
	s_andn2_b64 s[4:5], s[4:5], exec
	s_and_b64 s[8:9], s[8:9], exec
	s_or_b64 s[4:5], s[4:5], s[8:9]
	s_or_b64 exec, exec, s[6:7]
	s_and_saveexec_b64 s[6:7], s[4:5]
	s_cbranch_execnz .LBB47_1147
	s_branch .LBB47_1148
.LBB47_3197:
	s_movk_i32 s4, 0x80
	v_cmp_eq_u16_sdwa s[12:13], v13, s4 src0_sel:BYTE_3 src1_sel:DWORD
	s_mov_b64 s[4:5], -1
                                        ; implicit-def: $sgpr10
	s_and_saveexec_b64 s[8:9], s[12:13]
; %bb.3198:
	s_mov_b32 s10, 0x7f800001
	s_xor_b64 s[4:5], exec, -1
; %bb.3199:
	s_or_b64 exec, exec, s[8:9]
	s_and_b64 s[4:5], s[4:5], exec
	s_or_saveexec_b64 s[6:7], s[6:7]
	v_mov_b32_e32 v11, s10
	s_xor_b64 exec, exec, s[6:7]
	s_cbranch_execz .LBB47_1150
.LBB47_3200:
	v_mov_b32_e32 v11, 0
	v_cmp_ne_u16_sdwa s[8:9], v13, v11 src0_sel:BYTE_3 src1_sel:DWORD
	s_andn2_b64 s[4:5], s[4:5], exec
	s_and_b64 s[8:9], s[8:9], exec
	s_or_b64 s[4:5], s[4:5], s[8:9]
	s_or_b64 exec, exec, s[6:7]
	s_and_saveexec_b64 s[6:7], s[4:5]
	s_cbranch_execnz .LBB47_1151
	s_branch .LBB47_1152
.LBB47_3201:
	s_movk_i32 s4, 0x80
	v_cmp_eq_u16_sdwa s[12:13], v6, s4 src0_sel:BYTE_0 src1_sel:DWORD
	s_mov_b64 s[4:5], -1
                                        ; implicit-def: $sgpr10
	s_and_saveexec_b64 s[8:9], s[12:13]
; %bb.3202:
	s_mov_b32 s10, 0x7f800001
	s_xor_b64 s[4:5], exec, -1
; %bb.3203:
	s_or_b64 exec, exec, s[8:9]
	s_and_b64 s[4:5], s[4:5], exec
	s_or_saveexec_b64 s[6:7], s[6:7]
	v_mov_b32_e32 v10, s10
	s_xor_b64 exec, exec, s[6:7]
	s_cbranch_execz .LBB47_1154
.LBB47_3204:
	v_mov_b32_e32 v10, 0
	v_cmp_ne_u16_sdwa s[8:9], v6, v10 src0_sel:BYTE_0 src1_sel:DWORD
	s_andn2_b64 s[4:5], s[4:5], exec
	s_and_b64 s[8:9], s[8:9], exec
	s_or_b64 s[4:5], s[4:5], s[8:9]
	s_or_b64 exec, exec, s[6:7]
	s_and_saveexec_b64 s[6:7], s[4:5]
	s_cbranch_execnz .LBB47_1155
	s_branch .LBB47_1156
.LBB47_3205:
	s_movk_i32 s4, 0x80
	v_cmp_eq_u16_sdwa s[12:13], v2, s4 src0_sel:BYTE_0 src1_sel:DWORD
	s_mov_b64 s[4:5], -1
                                        ; implicit-def: $sgpr10
	s_and_saveexec_b64 s[8:9], s[12:13]
; %bb.3206:
	s_mov_b32 s10, 0x7f800001
	s_xor_b64 s[4:5], exec, -1
; %bb.3207:
	s_or_b64 exec, exec, s[8:9]
	s_and_b64 s[4:5], s[4:5], exec
	s_or_saveexec_b64 s[6:7], s[6:7]
	v_mov_b32_e32 v11, s10
	s_xor_b64 exec, exec, s[6:7]
	s_cbranch_execz .LBB47_1158
.LBB47_3208:
	v_mov_b32_e32 v11, 0
	v_cmp_ne_u16_sdwa s[8:9], v2, v11 src0_sel:BYTE_0 src1_sel:DWORD
	s_andn2_b64 s[4:5], s[4:5], exec
	s_and_b64 s[8:9], s[8:9], exec
	s_or_b64 s[4:5], s[4:5], s[8:9]
	s_or_b64 exec, exec, s[6:7]
	s_and_saveexec_b64 s[6:7], s[4:5]
	s_cbranch_execnz .LBB47_1159
	s_branch .LBB47_1160
.LBB47_3209:
	s_movk_i32 s4, 0x80
	v_cmp_eq_u16_sdwa s[12:13], v11, s4 src0_sel:BYTE_0 src1_sel:DWORD
	s_mov_b64 s[4:5], -1
                                        ; implicit-def: $sgpr10
	s_and_saveexec_b64 s[8:9], s[12:13]
; %bb.3210:
	s_mov_b32 s10, 0x7f800001
	s_xor_b64 s[4:5], exec, -1
; %bb.3211:
	s_or_b64 exec, exec, s[8:9]
	s_and_b64 s[4:5], s[4:5], exec
	s_or_saveexec_b64 s[6:7], s[6:7]
	v_mov_b32_e32 v10, s10
	s_xor_b64 exec, exec, s[6:7]
	s_cbranch_execz .LBB47_1162
.LBB47_3212:
	v_mov_b32_e32 v10, 0
	v_cmp_ne_u16_sdwa s[8:9], v11, v10 src0_sel:BYTE_0 src1_sel:DWORD
	s_andn2_b64 s[4:5], s[4:5], exec
	s_and_b64 s[8:9], s[8:9], exec
	s_or_b64 s[4:5], s[4:5], s[8:9]
	s_or_b64 exec, exec, s[6:7]
	s_and_saveexec_b64 s[6:7], s[4:5]
	s_cbranch_execnz .LBB47_1163
	s_branch .LBB47_1164
.LBB47_3213:
	s_movk_i32 s4, 0x80
	v_cmp_eq_u16_sdwa s[12:13], v11, s4 src0_sel:BYTE_0 src1_sel:DWORD
	s_mov_b64 s[4:5], -1
                                        ; implicit-def: $sgpr10
	s_and_saveexec_b64 s[8:9], s[12:13]
; %bb.3214:
	s_mov_b32 s10, 0x7f800001
	s_xor_b64 s[4:5], exec, -1
; %bb.3215:
	s_or_b64 exec, exec, s[8:9]
	s_and_b64 s[4:5], s[4:5], exec
	s_or_saveexec_b64 s[6:7], s[6:7]
	v_mov_b32_e32 v12, s10
	s_xor_b64 exec, exec, s[6:7]
	s_cbranch_execz .LBB47_1166
.LBB47_3216:
	v_mov_b32_e32 v12, 0
	v_cmp_ne_u16_sdwa s[8:9], v11, v12 src0_sel:BYTE_0 src1_sel:DWORD
	s_andn2_b64 s[4:5], s[4:5], exec
	s_and_b64 s[8:9], s[8:9], exec
	s_or_b64 s[4:5], s[4:5], s[8:9]
	s_or_b64 exec, exec, s[6:7]
	s_and_saveexec_b64 s[6:7], s[4:5]
	s_cbranch_execnz .LBB47_1167
	s_branch .LBB47_1168
.LBB47_3217:
	s_movk_i32 s4, 0x80
	v_cmp_eq_u16_e32 vcc, s4, v11
	s_mov_b64 s[4:5], -1
                                        ; implicit-def: $sgpr10
	s_and_saveexec_b64 s[8:9], vcc
; %bb.3218:
	s_mov_b32 s10, 0x7f800001
	s_xor_b64 s[4:5], exec, -1
; %bb.3219:
	s_or_b64 exec, exec, s[8:9]
	s_and_b64 s[4:5], s[4:5], exec
                                        ; implicit-def: $vgpr11
	s_or_saveexec_b64 s[6:7], s[6:7]
	v_mov_b32_e32 v10, s10
	s_xor_b64 exec, exec, s[6:7]
	s_cbranch_execz .LBB47_1170
.LBB47_3220:
	v_cmp_ne_u16_e32 vcc, 0, v11
	s_andn2_b64 s[4:5], s[4:5], exec
	s_and_b64 s[8:9], vcc, exec
	v_mov_b32_e32 v10, 0
	s_or_b64 s[4:5], s[4:5], s[8:9]
	s_or_b64 exec, exec, s[6:7]
	s_and_saveexec_b64 s[6:7], s[4:5]
	s_cbranch_execnz .LBB47_1171
	s_branch .LBB47_1172
.LBB47_3221:
	s_movk_i32 s4, 0x80
	v_cmp_eq_u16_e32 vcc, s4, v11
	s_mov_b64 s[4:5], -1
                                        ; implicit-def: $sgpr10
	s_and_saveexec_b64 s[8:9], vcc
; %bb.3222:
	s_mov_b32 s10, 0x7f800001
	s_xor_b64 s[4:5], exec, -1
; %bb.3223:
	s_or_b64 exec, exec, s[8:9]
	s_and_b64 s[4:5], s[4:5], exec
                                        ; implicit-def: $vgpr11
	s_or_saveexec_b64 s[6:7], s[6:7]
	v_mov_b32_e32 v12, s10
	s_xor_b64 exec, exec, s[6:7]
	s_cbranch_execz .LBB47_1174
.LBB47_3224:
	v_cmp_ne_u16_e32 vcc, 0, v11
	s_andn2_b64 s[4:5], s[4:5], exec
	s_and_b64 s[8:9], vcc, exec
	v_mov_b32_e32 v12, 0
	s_or_b64 s[4:5], s[4:5], s[8:9]
	s_or_b64 exec, exec, s[6:7]
	s_and_saveexec_b64 s[6:7], s[4:5]
	s_cbranch_execnz .LBB47_1175
	s_branch .LBB47_1176
.LBB47_3225:
	s_movk_i32 s4, 0x80
	v_cmp_eq_u16_sdwa s[12:13], v6, s4 src0_sel:BYTE_3 src1_sel:DWORD
	s_mov_b64 s[4:5], -1
                                        ; implicit-def: $sgpr10
	s_and_saveexec_b64 s[8:9], s[12:13]
; %bb.3226:
	s_mov_b32 s10, 0x7f800001
	s_xor_b64 s[4:5], exec, -1
; %bb.3227:
	s_or_b64 exec, exec, s[8:9]
	s_and_b64 s[4:5], s[4:5], exec
	s_or_saveexec_b64 s[6:7], s[6:7]
	v_mov_b32_e32 v10, s10
	s_xor_b64 exec, exec, s[6:7]
	s_cbranch_execz .LBB47_1178
.LBB47_3228:
	v_mov_b32_e32 v10, 0
	v_cmp_ne_u16_sdwa s[8:9], v6, v10 src0_sel:BYTE_3 src1_sel:DWORD
	s_andn2_b64 s[4:5], s[4:5], exec
	s_and_b64 s[8:9], s[8:9], exec
	s_or_b64 s[4:5], s[4:5], s[8:9]
	s_or_b64 exec, exec, s[6:7]
	s_and_saveexec_b64 s[6:7], s[4:5]
	s_cbranch_execnz .LBB47_1179
	s_branch .LBB47_1180
.LBB47_3229:
	s_movk_i32 s4, 0x80
	v_cmp_eq_u16_sdwa s[12:13], v2, s4 src0_sel:BYTE_3 src1_sel:DWORD
	s_mov_b64 s[4:5], -1
                                        ; implicit-def: $sgpr10
	s_and_saveexec_b64 s[8:9], s[12:13]
; %bb.3230:
	s_mov_b32 s10, 0x7f800001
	s_xor_b64 s[4:5], exec, -1
; %bb.3231:
	s_or_b64 exec, exec, s[8:9]
	s_and_b64 s[4:5], s[4:5], exec
	s_or_saveexec_b64 s[6:7], s[6:7]
	v_mov_b32_e32 v6, s10
	s_xor_b64 exec, exec, s[6:7]
	s_cbranch_execz .LBB47_1182
.LBB47_3232:
	v_mov_b32_e32 v6, 0
	v_cmp_ne_u16_sdwa s[8:9], v2, v6 src0_sel:BYTE_3 src1_sel:DWORD
	s_andn2_b64 s[4:5], s[4:5], exec
	s_and_b64 s[8:9], s[8:9], exec
	s_or_b64 s[4:5], s[4:5], s[8:9]
	s_or_b64 exec, exec, s[6:7]
	s_and_saveexec_b64 s[6:7], s[4:5]
	s_cbranch_execnz .LBB47_1183
	s_branch .LBB47_1184
.LBB47_3233:
	s_movk_i32 s4, 0x80
	v_cmp_eq_u16_sdwa s[12:13], v7, s4 src0_sel:BYTE_0 src1_sel:DWORD
	s_mov_b64 s[4:5], -1
                                        ; implicit-def: $sgpr10
	s_and_saveexec_b64 s[8:9], s[12:13]
; %bb.3234:
	s_mov_b32 s10, 0x7f800001
	s_xor_b64 s[4:5], exec, -1
; %bb.3235:
	s_or_b64 exec, exec, s[8:9]
	s_and_b64 s[4:5], s[4:5], exec
	s_or_saveexec_b64 s[6:7], s[6:7]
	v_mov_b32_e32 v2, s10
	s_xor_b64 exec, exec, s[6:7]
	s_cbranch_execz .LBB47_1186
.LBB47_3236:
	v_mov_b32_e32 v2, 0
	v_cmp_ne_u16_sdwa s[8:9], v7, v2 src0_sel:BYTE_0 src1_sel:DWORD
	s_andn2_b64 s[4:5], s[4:5], exec
	s_and_b64 s[8:9], s[8:9], exec
	s_or_b64 s[4:5], s[4:5], s[8:9]
	s_or_b64 exec, exec, s[6:7]
	s_and_saveexec_b64 s[6:7], s[4:5]
	s_cbranch_execnz .LBB47_1187
	s_branch .LBB47_1188
.LBB47_3237:
	s_movk_i32 s4, 0x80
	v_cmp_eq_u16_sdwa s[12:13], v3, s4 src0_sel:BYTE_0 src1_sel:DWORD
	s_mov_b64 s[4:5], -1
                                        ; implicit-def: $sgpr10
	s_and_saveexec_b64 s[8:9], s[12:13]
; %bb.3238:
	s_mov_b32 s10, 0x7f800001
	s_xor_b64 s[4:5], exec, -1
; %bb.3239:
	s_or_b64 exec, exec, s[8:9]
	s_and_b64 s[4:5], s[4:5], exec
	s_or_saveexec_b64 s[6:7], s[6:7]
	v_mov_b32_e32 v6, s10
	s_xor_b64 exec, exec, s[6:7]
	s_cbranch_execz .LBB47_1190
.LBB47_3240:
	v_mov_b32_e32 v6, 0
	v_cmp_ne_u16_sdwa s[8:9], v3, v6 src0_sel:BYTE_0 src1_sel:DWORD
	s_andn2_b64 s[4:5], s[4:5], exec
	s_and_b64 s[8:9], s[8:9], exec
	s_or_b64 s[4:5], s[4:5], s[8:9]
	s_or_b64 exec, exec, s[6:7]
	s_and_saveexec_b64 s[6:7], s[4:5]
	s_cbranch_execnz .LBB47_1191
	s_branch .LBB47_1192
.LBB47_3241:
	s_movk_i32 s4, 0x80
	v_cmp_eq_u16_sdwa s[12:13], v6, s4 src0_sel:BYTE_0 src1_sel:DWORD
	s_mov_b64 s[4:5], -1
                                        ; implicit-def: $sgpr10
	s_and_saveexec_b64 s[8:9], s[12:13]
; %bb.3242:
	s_mov_b32 s10, 0x7f800001
	s_xor_b64 s[4:5], exec, -1
; %bb.3243:
	s_or_b64 exec, exec, s[8:9]
	s_and_b64 s[4:5], s[4:5], exec
	s_or_saveexec_b64 s[6:7], s[6:7]
	v_mov_b32_e32 v2, s10
	s_xor_b64 exec, exec, s[6:7]
	s_cbranch_execz .LBB47_1194
.LBB47_3244:
	v_mov_b32_e32 v2, 0
	v_cmp_ne_u16_sdwa s[8:9], v6, v2 src0_sel:BYTE_0 src1_sel:DWORD
	s_andn2_b64 s[4:5], s[4:5], exec
	s_and_b64 s[8:9], s[8:9], exec
	s_or_b64 s[4:5], s[4:5], s[8:9]
	s_or_b64 exec, exec, s[6:7]
	s_and_saveexec_b64 s[6:7], s[4:5]
	s_cbranch_execnz .LBB47_1195
	s_branch .LBB47_1196
.LBB47_3245:
	s_movk_i32 s4, 0x80
	v_cmp_eq_u16_sdwa s[12:13], v6, s4 src0_sel:BYTE_0 src1_sel:DWORD
	s_mov_b64 s[4:5], -1
                                        ; implicit-def: $sgpr10
	s_and_saveexec_b64 s[8:9], s[12:13]
; %bb.3246:
	s_mov_b32 s10, 0x7f800001
	s_xor_b64 s[4:5], exec, -1
; %bb.3247:
	s_or_b64 exec, exec, s[8:9]
	s_and_b64 s[4:5], s[4:5], exec
	s_or_saveexec_b64 s[6:7], s[6:7]
	v_mov_b32_e32 v10, s10
	s_xor_b64 exec, exec, s[6:7]
	s_cbranch_execz .LBB47_1198
.LBB47_3248:
	v_mov_b32_e32 v10, 0
	v_cmp_ne_u16_sdwa s[8:9], v6, v10 src0_sel:BYTE_0 src1_sel:DWORD
	s_andn2_b64 s[4:5], s[4:5], exec
	s_and_b64 s[8:9], s[8:9], exec
	s_or_b64 s[4:5], s[4:5], s[8:9]
	s_or_b64 exec, exec, s[6:7]
	s_and_saveexec_b64 s[6:7], s[4:5]
	s_cbranch_execnz .LBB47_1199
	s_branch .LBB47_1200
.LBB47_3249:
	s_movk_i32 s4, 0x80
	v_cmp_eq_u16_e32 vcc, s4, v6
	s_mov_b64 s[4:5], -1
                                        ; implicit-def: $sgpr10
	s_and_saveexec_b64 s[8:9], vcc
; %bb.3250:
	s_mov_b32 s10, 0x7f800001
	s_xor_b64 s[4:5], exec, -1
; %bb.3251:
	s_or_b64 exec, exec, s[8:9]
	s_and_b64 s[4:5], s[4:5], exec
                                        ; implicit-def: $vgpr6
	s_or_saveexec_b64 s[6:7], s[6:7]
	v_mov_b32_e32 v2, s10
	s_xor_b64 exec, exec, s[6:7]
	s_cbranch_execz .LBB47_1202
.LBB47_3252:
	v_cmp_ne_u16_e32 vcc, 0, v6
	s_andn2_b64 s[4:5], s[4:5], exec
	s_and_b64 s[8:9], vcc, exec
	v_mov_b32_e32 v2, 0
	s_or_b64 s[4:5], s[4:5], s[8:9]
	s_or_b64 exec, exec, s[6:7]
	s_and_saveexec_b64 s[6:7], s[4:5]
	s_cbranch_execnz .LBB47_1203
	s_branch .LBB47_1204
.LBB47_3253:
	s_movk_i32 s4, 0x80
	v_cmp_eq_u16_e32 vcc, s4, v6
	s_mov_b64 s[4:5], -1
                                        ; implicit-def: $sgpr10
	s_and_saveexec_b64 s[8:9], vcc
; %bb.3254:
	s_mov_b32 s10, 0x7f800001
	s_xor_b64 s[4:5], exec, -1
; %bb.3255:
	s_or_b64 exec, exec, s[8:9]
	s_and_b64 s[4:5], s[4:5], exec
                                        ; implicit-def: $vgpr6
	s_or_saveexec_b64 s[6:7], s[6:7]
	v_mov_b32_e32 v10, s10
	s_xor_b64 exec, exec, s[6:7]
	s_cbranch_execz .LBB47_1206
.LBB47_3256:
	v_cmp_ne_u16_e32 vcc, 0, v6
	s_andn2_b64 s[4:5], s[4:5], exec
	s_and_b64 s[8:9], vcc, exec
	v_mov_b32_e32 v10, 0
	s_or_b64 s[4:5], s[4:5], s[8:9]
	s_or_b64 exec, exec, s[6:7]
	s_and_saveexec_b64 s[6:7], s[4:5]
	s_cbranch_execnz .LBB47_1207
	s_branch .LBB47_1208
.LBB47_3257:
	s_movk_i32 s4, 0x80
	v_cmp_eq_u16_sdwa s[12:13], v7, s4 src0_sel:BYTE_3 src1_sel:DWORD
	s_mov_b64 s[4:5], -1
                                        ; implicit-def: $sgpr10
	s_and_saveexec_b64 s[8:9], s[12:13]
; %bb.3258:
	s_mov_b32 s10, 0x7f800001
	s_xor_b64 s[4:5], exec, -1
; %bb.3259:
	s_or_b64 exec, exec, s[8:9]
	s_and_b64 s[4:5], s[4:5], exec
	s_or_saveexec_b64 s[6:7], s[6:7]
	v_mov_b32_e32 v2, s10
	s_xor_b64 exec, exec, s[6:7]
	s_cbranch_execz .LBB47_1210
.LBB47_3260:
	v_mov_b32_e32 v2, 0
	v_cmp_ne_u16_sdwa s[8:9], v7, v2 src0_sel:BYTE_3 src1_sel:DWORD
	s_andn2_b64 s[4:5], s[4:5], exec
	s_and_b64 s[8:9], s[8:9], exec
	s_or_b64 s[4:5], s[4:5], s[8:9]
	s_or_b64 exec, exec, s[6:7]
	s_and_saveexec_b64 s[6:7], s[4:5]
	s_cbranch_execnz .LBB47_1211
	s_branch .LBB47_1212
.LBB47_3261:
	s_movk_i32 s4, 0x80
	v_cmp_eq_u16_sdwa s[12:13], v3, s4 src0_sel:BYTE_3 src1_sel:DWORD
	s_mov_b64 s[4:5], -1
                                        ; implicit-def: $sgpr10
	s_and_saveexec_b64 s[8:9], s[12:13]
; %bb.3262:
	s_mov_b32 s10, 0x7f800001
	s_xor_b64 s[4:5], exec, -1
; %bb.3263:
	s_or_b64 exec, exec, s[8:9]
	s_and_b64 s[4:5], s[4:5], exec
	s_or_saveexec_b64 s[6:7], s[6:7]
	v_mov_b32_e32 v6, s10
	s_xor_b64 exec, exec, s[6:7]
	s_cbranch_execz .LBB47_1214
.LBB47_3264:
	v_mov_b32_e32 v6, 0
	v_cmp_ne_u16_sdwa s[8:9], v3, v6 src0_sel:BYTE_3 src1_sel:DWORD
	s_andn2_b64 s[4:5], s[4:5], exec
	s_and_b64 s[8:9], s[8:9], exec
	s_or_b64 s[4:5], s[4:5], s[8:9]
	s_or_b64 exec, exec, s[6:7]
	s_and_saveexec_b64 s[6:7], s[4:5]
	s_cbranch_execnz .LBB47_1215
	s_branch .LBB47_1216
.LBB47_3265:
	s_movk_i32 s4, 0x80
	v_cmp_eq_u16_sdwa s[12:13], v8, s4 src0_sel:BYTE_0 src1_sel:DWORD
	s_mov_b64 s[4:5], -1
                                        ; implicit-def: $sgpr10
	s_and_saveexec_b64 s[8:9], s[12:13]
; %bb.3266:
	s_mov_b32 s10, 0x7f800001
	s_xor_b64 s[4:5], exec, -1
; %bb.3267:
	s_or_b64 exec, exec, s[8:9]
	s_and_b64 s[4:5], s[4:5], exec
	s_or_saveexec_b64 s[6:7], s[6:7]
	v_mov_b32_e32 v2, s10
	s_xor_b64 exec, exec, s[6:7]
	s_cbranch_execz .LBB47_1218
.LBB47_3268:
	v_mov_b32_e32 v2, 0
	v_cmp_ne_u16_sdwa s[8:9], v8, v2 src0_sel:BYTE_0 src1_sel:DWORD
	s_andn2_b64 s[4:5], s[4:5], exec
	s_and_b64 s[8:9], s[8:9], exec
	s_or_b64 s[4:5], s[4:5], s[8:9]
	s_or_b64 exec, exec, s[6:7]
	s_and_saveexec_b64 s[6:7], s[4:5]
	s_cbranch_execnz .LBB47_1219
	s_branch .LBB47_1220
.LBB47_3269:
	s_movk_i32 s4, 0x80
	v_cmp_eq_u16_sdwa s[12:13], v4, s4 src0_sel:BYTE_0 src1_sel:DWORD
	s_mov_b64 s[4:5], -1
                                        ; implicit-def: $sgpr10
	s_and_saveexec_b64 s[8:9], s[12:13]
; %bb.3270:
	s_mov_b32 s10, 0x7f800001
	s_xor_b64 s[4:5], exec, -1
; %bb.3271:
	s_or_b64 exec, exec, s[8:9]
	s_and_b64 s[4:5], s[4:5], exec
	s_or_saveexec_b64 s[6:7], s[6:7]
	v_mov_b32_e32 v3, s10
	s_xor_b64 exec, exec, s[6:7]
	s_cbranch_execz .LBB47_1222
.LBB47_3272:
	v_mov_b32_e32 v3, 0
	v_cmp_ne_u16_sdwa s[8:9], v4, v3 src0_sel:BYTE_0 src1_sel:DWORD
	s_andn2_b64 s[4:5], s[4:5], exec
	s_and_b64 s[8:9], s[8:9], exec
	s_or_b64 s[4:5], s[4:5], s[8:9]
	s_or_b64 exec, exec, s[6:7]
	s_and_saveexec_b64 s[6:7], s[4:5]
	s_cbranch_execnz .LBB47_1223
	s_branch .LBB47_1224
.LBB47_3273:
	s_movk_i32 s4, 0x80
	v_cmp_eq_u16_sdwa s[12:13], v3, s4 src0_sel:BYTE_0 src1_sel:DWORD
	s_mov_b64 s[4:5], -1
                                        ; implicit-def: $sgpr10
	s_and_saveexec_b64 s[8:9], s[12:13]
; %bb.3274:
	s_mov_b32 s10, 0x7f800001
	s_xor_b64 s[4:5], exec, -1
; %bb.3275:
	s_or_b64 exec, exec, s[8:9]
	s_and_b64 s[4:5], s[4:5], exec
	s_or_saveexec_b64 s[6:7], s[6:7]
	v_mov_b32_e32 v2, s10
	s_xor_b64 exec, exec, s[6:7]
	s_cbranch_execz .LBB47_1226
.LBB47_3276:
	v_mov_b32_e32 v2, 0
	v_cmp_ne_u16_sdwa s[8:9], v3, v2 src0_sel:BYTE_0 src1_sel:DWORD
	s_andn2_b64 s[4:5], s[4:5], exec
	s_and_b64 s[8:9], s[8:9], exec
	s_or_b64 s[4:5], s[4:5], s[8:9]
	s_or_b64 exec, exec, s[6:7]
	s_and_saveexec_b64 s[6:7], s[4:5]
	s_cbranch_execnz .LBB47_1227
	s_branch .LBB47_1228
.LBB47_3277:
	s_movk_i32 s4, 0x80
	v_cmp_eq_u16_sdwa s[12:13], v3, s4 src0_sel:BYTE_0 src1_sel:DWORD
	s_mov_b64 s[4:5], -1
                                        ; implicit-def: $sgpr10
	s_and_saveexec_b64 s[8:9], s[12:13]
; %bb.3278:
	s_mov_b32 s10, 0x7f800001
	s_xor_b64 s[4:5], exec, -1
; %bb.3279:
	s_or_b64 exec, exec, s[8:9]
	s_and_b64 s[4:5], s[4:5], exec
	s_or_saveexec_b64 s[6:7], s[6:7]
	v_mov_b32_e32 v6, s10
	s_xor_b64 exec, exec, s[6:7]
	s_cbranch_execz .LBB47_1230
.LBB47_3280:
	v_mov_b32_e32 v6, 0
	v_cmp_ne_u16_sdwa s[8:9], v3, v6 src0_sel:BYTE_0 src1_sel:DWORD
	s_andn2_b64 s[4:5], s[4:5], exec
	s_and_b64 s[8:9], s[8:9], exec
	s_or_b64 s[4:5], s[4:5], s[8:9]
	s_or_b64 exec, exec, s[6:7]
	s_and_saveexec_b64 s[6:7], s[4:5]
	s_cbranch_execnz .LBB47_1231
	s_branch .LBB47_1232
.LBB47_3281:
	s_movk_i32 s4, 0x80
	v_cmp_eq_u16_e32 vcc, s4, v3
	s_mov_b64 s[4:5], -1
                                        ; implicit-def: $sgpr10
	s_and_saveexec_b64 s[8:9], vcc
; %bb.3282:
	s_mov_b32 s10, 0x7f800001
	s_xor_b64 s[4:5], exec, -1
; %bb.3283:
	s_or_b64 exec, exec, s[8:9]
	s_and_b64 s[4:5], s[4:5], exec
                                        ; implicit-def: $vgpr3
	s_or_saveexec_b64 s[6:7], s[6:7]
	v_mov_b32_e32 v2, s10
	s_xor_b64 exec, exec, s[6:7]
	s_cbranch_execz .LBB47_1234
.LBB47_3284:
	v_cmp_ne_u16_e32 vcc, 0, v3
	s_andn2_b64 s[4:5], s[4:5], exec
	s_and_b64 s[8:9], vcc, exec
	v_mov_b32_e32 v2, 0
	s_or_b64 s[4:5], s[4:5], s[8:9]
	s_or_b64 exec, exec, s[6:7]
	s_and_saveexec_b64 s[6:7], s[4:5]
	s_cbranch_execnz .LBB47_1235
	s_branch .LBB47_1236
.LBB47_3285:
	s_movk_i32 s4, 0x80
	v_cmp_eq_u16_e32 vcc, s4, v3
	s_mov_b64 s[4:5], -1
                                        ; implicit-def: $sgpr10
	s_and_saveexec_b64 s[8:9], vcc
; %bb.3286:
	s_mov_b32 s10, 0x7f800001
	s_xor_b64 s[4:5], exec, -1
; %bb.3287:
	s_or_b64 exec, exec, s[8:9]
	s_and_b64 s[4:5], s[4:5], exec
                                        ; implicit-def: $vgpr3
	s_or_saveexec_b64 s[6:7], s[6:7]
	v_mov_b32_e32 v6, s10
	s_xor_b64 exec, exec, s[6:7]
	s_cbranch_execz .LBB47_1238
.LBB47_3288:
	v_cmp_ne_u16_e32 vcc, 0, v3
	s_andn2_b64 s[4:5], s[4:5], exec
	s_and_b64 s[8:9], vcc, exec
	v_mov_b32_e32 v6, 0
	s_or_b64 s[4:5], s[4:5], s[8:9]
	s_or_b64 exec, exec, s[6:7]
	s_and_saveexec_b64 s[6:7], s[4:5]
	s_cbranch_execnz .LBB47_1239
	s_branch .LBB47_1240
.LBB47_3289:
	s_movk_i32 s4, 0x80
	v_cmp_eq_u16_sdwa s[12:13], v8, s4 src0_sel:BYTE_3 src1_sel:DWORD
	s_mov_b64 s[4:5], -1
                                        ; implicit-def: $sgpr10
	s_and_saveexec_b64 s[8:9], s[12:13]
; %bb.3290:
	s_mov_b32 s10, 0x7f800001
	s_xor_b64 s[4:5], exec, -1
; %bb.3291:
	s_or_b64 exec, exec, s[8:9]
	s_and_b64 s[4:5], s[4:5], exec
	s_or_saveexec_b64 s[6:7], s[6:7]
	v_mov_b32_e32 v2, s10
	s_xor_b64 exec, exec, s[6:7]
	s_cbranch_execz .LBB47_1242
.LBB47_3292:
	v_mov_b32_e32 v2, 0
	v_cmp_ne_u16_sdwa s[8:9], v8, v2 src0_sel:BYTE_3 src1_sel:DWORD
	s_andn2_b64 s[4:5], s[4:5], exec
	s_and_b64 s[8:9], s[8:9], exec
	s_or_b64 s[4:5], s[4:5], s[8:9]
	s_or_b64 exec, exec, s[6:7]
	s_and_saveexec_b64 s[6:7], s[4:5]
	s_cbranch_execnz .LBB47_1243
	s_branch .LBB47_1244
.LBB47_3293:
	s_movk_i32 s4, 0x80
	v_cmp_eq_u16_sdwa s[12:13], v4, s4 src0_sel:BYTE_3 src1_sel:DWORD
	s_mov_b64 s[4:5], -1
                                        ; implicit-def: $sgpr10
	s_and_saveexec_b64 s[8:9], s[12:13]
; %bb.3294:
	s_mov_b32 s10, 0x7f800001
	s_xor_b64 s[4:5], exec, -1
; %bb.3295:
	s_or_b64 exec, exec, s[8:9]
	s_and_b64 s[4:5], s[4:5], exec
	s_or_saveexec_b64 s[6:7], s[6:7]
	v_mov_b32_e32 v3, s10
	s_xor_b64 exec, exec, s[6:7]
	s_cbranch_execz .LBB47_1246
.LBB47_3296:
	v_mov_b32_e32 v3, 0
	v_cmp_ne_u16_sdwa s[8:9], v4, v3 src0_sel:BYTE_3 src1_sel:DWORD
	s_andn2_b64 s[4:5], s[4:5], exec
	s_and_b64 s[8:9], s[8:9], exec
	s_or_b64 s[4:5], s[4:5], s[8:9]
	s_or_b64 exec, exec, s[6:7]
	s_and_saveexec_b64 s[6:7], s[4:5]
	s_cbranch_execnz .LBB47_1247
	s_branch .LBB47_1248
.LBB47_3297:
	s_movk_i32 s4, 0x80
	v_cmp_eq_u16_sdwa s[12:13], v9, s4 src0_sel:BYTE_0 src1_sel:DWORD
	s_mov_b64 s[4:5], -1
                                        ; implicit-def: $sgpr10
	s_and_saveexec_b64 s[8:9], s[12:13]
; %bb.3298:
	s_mov_b32 s10, 0x7f800001
	s_xor_b64 s[4:5], exec, -1
; %bb.3299:
	s_or_b64 exec, exec, s[8:9]
	s_and_b64 s[4:5], s[4:5], exec
	s_or_saveexec_b64 s[6:7], s[6:7]
	v_mov_b32_e32 v2, s10
	s_xor_b64 exec, exec, s[6:7]
	s_cbranch_execz .LBB47_1250
.LBB47_3300:
	v_mov_b32_e32 v2, 0
	v_cmp_ne_u16_sdwa s[8:9], v9, v2 src0_sel:BYTE_0 src1_sel:DWORD
	s_andn2_b64 s[4:5], s[4:5], exec
	s_and_b64 s[8:9], s[8:9], exec
	s_or_b64 s[4:5], s[4:5], s[8:9]
	s_or_b64 exec, exec, s[6:7]
	s_and_saveexec_b64 s[6:7], s[4:5]
	s_cbranch_execnz .LBB47_1251
	s_branch .LBB47_1252
.LBB47_3301:
	s_movk_i32 s4, 0x80
	v_cmp_eq_u16_sdwa s[12:13], v5, s4 src0_sel:BYTE_0 src1_sel:DWORD
	s_mov_b64 s[4:5], -1
                                        ; implicit-def: $sgpr10
	s_and_saveexec_b64 s[8:9], s[12:13]
; %bb.3302:
	s_mov_b32 s10, 0x7f800001
	s_xor_b64 s[4:5], exec, -1
; %bb.3303:
	s_or_b64 exec, exec, s[8:9]
	s_and_b64 s[4:5], s[4:5], exec
	s_or_saveexec_b64 s[6:7], s[6:7]
	v_mov_b32_e32 v3, s10
	s_xor_b64 exec, exec, s[6:7]
	s_cbranch_execz .LBB47_1254
.LBB47_3304:
	v_mov_b32_e32 v3, 0
	v_cmp_ne_u16_sdwa s[8:9], v5, v3 src0_sel:BYTE_0 src1_sel:DWORD
	s_andn2_b64 s[4:5], s[4:5], exec
	s_and_b64 s[8:9], s[8:9], exec
	s_or_b64 s[4:5], s[4:5], s[8:9]
	s_or_b64 exec, exec, s[6:7]
	s_and_saveexec_b64 s[6:7], s[4:5]
	s_cbranch_execnz .LBB47_1255
	s_branch .LBB47_1256
.LBB47_3305:
	s_movk_i32 s4, 0x80
	v_cmp_eq_u16_sdwa s[12:13], v3, s4 src0_sel:BYTE_0 src1_sel:DWORD
	s_mov_b64 s[4:5], -1
                                        ; implicit-def: $sgpr10
	s_and_saveexec_b64 s[8:9], s[12:13]
; %bb.3306:
	s_mov_b32 s10, 0x7f800001
	s_xor_b64 s[4:5], exec, -1
; %bb.3307:
	s_or_b64 exec, exec, s[8:9]
	s_and_b64 s[4:5], s[4:5], exec
	s_or_saveexec_b64 s[6:7], s[6:7]
	v_mov_b32_e32 v2, s10
	s_xor_b64 exec, exec, s[6:7]
	s_cbranch_execz .LBB47_1258
.LBB47_3308:
	v_mov_b32_e32 v2, 0
	v_cmp_ne_u16_sdwa s[8:9], v3, v2 src0_sel:BYTE_0 src1_sel:DWORD
	s_andn2_b64 s[4:5], s[4:5], exec
	s_and_b64 s[8:9], s[8:9], exec
	s_or_b64 s[4:5], s[4:5], s[8:9]
	s_or_b64 exec, exec, s[6:7]
	s_and_saveexec_b64 s[6:7], s[4:5]
	s_cbranch_execnz .LBB47_1259
	s_branch .LBB47_1260
.LBB47_3309:
	s_movk_i32 s4, 0x80
	v_cmp_eq_u16_sdwa s[12:13], v3, s4 src0_sel:BYTE_0 src1_sel:DWORD
	s_mov_b64 s[4:5], -1
                                        ; implicit-def: $sgpr10
	s_and_saveexec_b64 s[8:9], s[12:13]
; %bb.3310:
	s_mov_b32 s10, 0x7f800001
	s_xor_b64 s[4:5], exec, -1
; %bb.3311:
	s_or_b64 exec, exec, s[8:9]
	s_and_b64 s[4:5], s[4:5], exec
	s_or_saveexec_b64 s[6:7], s[6:7]
	v_mov_b32_e32 v4, s10
	s_xor_b64 exec, exec, s[6:7]
	s_cbranch_execz .LBB47_1262
.LBB47_3312:
	v_mov_b32_e32 v4, 0
	v_cmp_ne_u16_sdwa s[8:9], v3, v4 src0_sel:BYTE_0 src1_sel:DWORD
	s_andn2_b64 s[4:5], s[4:5], exec
	s_and_b64 s[8:9], s[8:9], exec
	s_or_b64 s[4:5], s[4:5], s[8:9]
	s_or_b64 exec, exec, s[6:7]
	s_and_saveexec_b64 s[6:7], s[4:5]
	s_cbranch_execnz .LBB47_1263
	s_branch .LBB47_1264
.LBB47_3313:
	s_movk_i32 s4, 0x80
	v_cmp_eq_u16_e32 vcc, s4, v3
	s_mov_b64 s[4:5], -1
                                        ; implicit-def: $sgpr10
	s_and_saveexec_b64 s[8:9], vcc
; %bb.3314:
	s_mov_b32 s10, 0x7f800001
	s_xor_b64 s[4:5], exec, -1
; %bb.3315:
	s_or_b64 exec, exec, s[8:9]
	s_and_b64 s[4:5], s[4:5], exec
                                        ; implicit-def: $vgpr3
	s_or_saveexec_b64 s[6:7], s[6:7]
	v_mov_b32_e32 v2, s10
	s_xor_b64 exec, exec, s[6:7]
	s_cbranch_execz .LBB47_1266
.LBB47_3316:
	v_cmp_ne_u16_e32 vcc, 0, v3
	s_andn2_b64 s[4:5], s[4:5], exec
	s_and_b64 s[8:9], vcc, exec
	v_mov_b32_e32 v2, 0
	s_or_b64 s[4:5], s[4:5], s[8:9]
	s_or_b64 exec, exec, s[6:7]
	s_and_saveexec_b64 s[6:7], s[4:5]
	s_cbranch_execnz .LBB47_1267
	s_branch .LBB47_1268
.LBB47_3317:
	s_movk_i32 s4, 0x80
	v_cmp_eq_u16_e32 vcc, s4, v3
	s_mov_b64 s[4:5], -1
                                        ; implicit-def: $sgpr10
	s_and_saveexec_b64 s[8:9], vcc
; %bb.3318:
	s_mov_b32 s10, 0x7f800001
	s_xor_b64 s[4:5], exec, -1
; %bb.3319:
	s_or_b64 exec, exec, s[8:9]
	s_and_b64 s[4:5], s[4:5], exec
                                        ; implicit-def: $vgpr3
	s_or_saveexec_b64 s[6:7], s[6:7]
	v_mov_b32_e32 v4, s10
	s_xor_b64 exec, exec, s[6:7]
	s_cbranch_execz .LBB47_1270
.LBB47_3320:
	v_cmp_ne_u16_e32 vcc, 0, v3
	s_andn2_b64 s[4:5], s[4:5], exec
	s_and_b64 s[8:9], vcc, exec
	v_mov_b32_e32 v4, 0
	s_or_b64 s[4:5], s[4:5], s[8:9]
	s_or_b64 exec, exec, s[6:7]
	s_and_saveexec_b64 s[6:7], s[4:5]
	s_cbranch_execnz .LBB47_1271
	s_branch .LBB47_1272
.LBB47_3321:
	s_movk_i32 s4, 0x80
	v_cmp_eq_u16_sdwa s[12:13], v9, s4 src0_sel:BYTE_3 src1_sel:DWORD
	s_mov_b64 s[4:5], -1
                                        ; implicit-def: $sgpr10
	s_and_saveexec_b64 s[8:9], s[12:13]
; %bb.3322:
	s_mov_b32 s10, 0x7f800001
	s_xor_b64 s[4:5], exec, -1
; %bb.3323:
	s_or_b64 exec, exec, s[8:9]
	s_and_b64 s[4:5], s[4:5], exec
	s_or_saveexec_b64 s[6:7], s[6:7]
	v_mov_b32_e32 v2, s10
	s_xor_b64 exec, exec, s[6:7]
	s_cbranch_execz .LBB47_1274
.LBB47_3324:
	v_mov_b32_e32 v2, 0
	v_cmp_ne_u16_sdwa s[8:9], v9, v2 src0_sel:BYTE_3 src1_sel:DWORD
	s_andn2_b64 s[4:5], s[4:5], exec
	s_and_b64 s[8:9], s[8:9], exec
	s_or_b64 s[4:5], s[4:5], s[8:9]
	s_or_b64 exec, exec, s[6:7]
	s_and_saveexec_b64 s[6:7], s[4:5]
	s_cbranch_execnz .LBB47_1275
	s_branch .LBB47_1276
.LBB47_3325:
	s_movk_i32 s4, 0x80
	v_cmp_eq_u16_sdwa s[12:13], v5, s4 src0_sel:BYTE_3 src1_sel:DWORD
	s_mov_b64 s[4:5], -1
                                        ; implicit-def: $sgpr10
	s_and_saveexec_b64 s[8:9], s[12:13]
; %bb.3326:
	s_mov_b32 s10, 0x7f800001
	s_xor_b64 s[4:5], exec, -1
; %bb.3327:
	s_or_b64 exec, exec, s[8:9]
	s_and_b64 s[4:5], s[4:5], exec
	s_or_saveexec_b64 s[6:7], s[6:7]
	v_mov_b32_e32 v3, s10
	s_xor_b64 exec, exec, s[6:7]
	s_cbranch_execz .LBB47_1278
.LBB47_3328:
	v_mov_b32_e32 v3, 0
	v_cmp_ne_u16_sdwa s[8:9], v5, v3 src0_sel:BYTE_3 src1_sel:DWORD
	s_andn2_b64 s[4:5], s[4:5], exec
	s_and_b64 s[8:9], s[8:9], exec
	s_or_b64 s[4:5], s[4:5], s[8:9]
	s_or_b64 exec, exec, s[6:7]
	s_and_saveexec_b64 s[6:7], s[4:5]
	s_cbranch_execnz .LBB47_1279
	s_branch .LBB47_1280
.LBB47_3329:
	s_movk_i32 s4, 0x80
	v_cmp_eq_u16_sdwa s[12:13], v14, s4 src0_sel:BYTE_0 src1_sel:DWORD
	s_mov_b64 s[4:5], -1
                                        ; implicit-def: $sgpr10
	s_and_saveexec_b64 s[8:9], s[12:13]
; %bb.3330:
	s_mov_b32 s10, 0x7f800001
	s_xor_b64 s[4:5], exec, -1
; %bb.3331:
	s_or_b64 exec, exec, s[8:9]
	s_and_b64 s[4:5], s[4:5], exec
	s_or_saveexec_b64 s[6:7], s[6:7]
	v_mov_b32_e32 v20, s10
	s_xor_b64 exec, exec, s[6:7]
	s_cbranch_execz .LBB47_1282
.LBB47_3332:
	v_mov_b32_e32 v20, 0
	v_cmp_ne_u16_sdwa s[8:9], v14, v20 src0_sel:BYTE_0 src1_sel:DWORD
	s_andn2_b64 s[4:5], s[4:5], exec
	s_and_b64 s[8:9], s[8:9], exec
	s_or_b64 s[4:5], s[4:5], s[8:9]
	s_or_b64 exec, exec, s[6:7]
	s_and_saveexec_b64 s[6:7], s[4:5]
	s_cbranch_execnz .LBB47_1283
	s_branch .LBB47_1284
.LBB47_3333:
	s_movk_i32 s4, 0x80
	v_cmp_eq_u16_sdwa s[12:13], v10, s4 src0_sel:BYTE_0 src1_sel:DWORD
	s_mov_b64 s[4:5], -1
                                        ; implicit-def: $sgpr10
	s_and_saveexec_b64 s[8:9], s[12:13]
; %bb.3334:
	s_mov_b32 s10, 0x7f800001
	s_xor_b64 s[4:5], exec, -1
; %bb.3335:
	s_or_b64 exec, exec, s[8:9]
	s_and_b64 s[4:5], s[4:5], exec
	s_or_saveexec_b64 s[6:7], s[6:7]
	v_mov_b32_e32 v21, s10
	s_xor_b64 exec, exec, s[6:7]
	s_cbranch_execz .LBB47_1286
.LBB47_3336:
	v_mov_b32_e32 v21, 0
	v_cmp_ne_u16_sdwa s[8:9], v10, v21 src0_sel:BYTE_0 src1_sel:DWORD
	s_andn2_b64 s[4:5], s[4:5], exec
	s_and_b64 s[8:9], s[8:9], exec
	s_or_b64 s[4:5], s[4:5], s[8:9]
	s_or_b64 exec, exec, s[6:7]
	s_and_saveexec_b64 s[6:7], s[4:5]
	s_cbranch_execnz .LBB47_1287
	s_branch .LBB47_1288
.LBB47_3337:
	s_movk_i32 s4, 0x80
	v_cmp_eq_u16_sdwa s[12:13], v21, s4 src0_sel:BYTE_0 src1_sel:DWORD
	s_mov_b64 s[4:5], -1
                                        ; implicit-def: $sgpr10
	s_and_saveexec_b64 s[8:9], s[12:13]
; %bb.3338:
	s_mov_b32 s10, 0x7f800001
	s_xor_b64 s[4:5], exec, -1
; %bb.3339:
	s_or_b64 exec, exec, s[8:9]
	s_and_b64 s[4:5], s[4:5], exec
	s_or_saveexec_b64 s[6:7], s[6:7]
	v_mov_b32_e32 v20, s10
	s_xor_b64 exec, exec, s[6:7]
	s_cbranch_execz .LBB47_1290
.LBB47_3340:
	v_mov_b32_e32 v20, 0
	v_cmp_ne_u16_sdwa s[8:9], v21, v20 src0_sel:BYTE_0 src1_sel:DWORD
	s_andn2_b64 s[4:5], s[4:5], exec
	s_and_b64 s[8:9], s[8:9], exec
	s_or_b64 s[4:5], s[4:5], s[8:9]
	s_or_b64 exec, exec, s[6:7]
	s_and_saveexec_b64 s[6:7], s[4:5]
	s_cbranch_execnz .LBB47_1291
	s_branch .LBB47_1292
.LBB47_3341:
	s_movk_i32 s4, 0x80
	v_cmp_eq_u16_sdwa s[12:13], v21, s4 src0_sel:BYTE_0 src1_sel:DWORD
	s_mov_b64 s[4:5], -1
                                        ; implicit-def: $sgpr10
	s_and_saveexec_b64 s[8:9], s[12:13]
; %bb.3342:
	s_mov_b32 s10, 0x7f800001
	s_xor_b64 s[4:5], exec, -1
; %bb.3343:
	s_or_b64 exec, exec, s[8:9]
	s_and_b64 s[4:5], s[4:5], exec
	s_or_saveexec_b64 s[6:7], s[6:7]
	v_mov_b32_e32 v22, s10
	s_xor_b64 exec, exec, s[6:7]
	s_cbranch_execz .LBB47_1294
.LBB47_3344:
	v_mov_b32_e32 v22, 0
	v_cmp_ne_u16_sdwa s[8:9], v21, v22 src0_sel:BYTE_0 src1_sel:DWORD
	s_andn2_b64 s[4:5], s[4:5], exec
	s_and_b64 s[8:9], s[8:9], exec
	s_or_b64 s[4:5], s[4:5], s[8:9]
	s_or_b64 exec, exec, s[6:7]
	s_and_saveexec_b64 s[6:7], s[4:5]
	s_cbranch_execnz .LBB47_1295
	s_branch .LBB47_1296
.LBB47_3345:
	s_movk_i32 s4, 0x80
	v_cmp_eq_u16_e32 vcc, s4, v21
	s_mov_b64 s[4:5], -1
                                        ; implicit-def: $sgpr10
	s_and_saveexec_b64 s[8:9], vcc
; %bb.3346:
	s_mov_b32 s10, 0x7f800001
	s_xor_b64 s[4:5], exec, -1
; %bb.3347:
	s_or_b64 exec, exec, s[8:9]
	s_and_b64 s[4:5], s[4:5], exec
                                        ; implicit-def: $vgpr21
	s_or_saveexec_b64 s[6:7], s[6:7]
	v_mov_b32_e32 v20, s10
	s_xor_b64 exec, exec, s[6:7]
	s_cbranch_execz .LBB47_1298
.LBB47_3348:
	v_cmp_ne_u16_e32 vcc, 0, v21
	s_andn2_b64 s[4:5], s[4:5], exec
	s_and_b64 s[8:9], vcc, exec
	v_mov_b32_e32 v20, 0
	s_or_b64 s[4:5], s[4:5], s[8:9]
	s_or_b64 exec, exec, s[6:7]
	s_and_saveexec_b64 s[6:7], s[4:5]
	s_cbranch_execnz .LBB47_1299
	s_branch .LBB47_1300
.LBB47_3349:
	s_movk_i32 s4, 0x80
	v_cmp_eq_u16_e32 vcc, s4, v21
	s_mov_b64 s[4:5], -1
                                        ; implicit-def: $sgpr10
	s_and_saveexec_b64 s[8:9], vcc
; %bb.3350:
	s_mov_b32 s10, 0x7f800001
	s_xor_b64 s[4:5], exec, -1
; %bb.3351:
	s_or_b64 exec, exec, s[8:9]
	s_and_b64 s[4:5], s[4:5], exec
                                        ; implicit-def: $vgpr21
	s_or_saveexec_b64 s[6:7], s[6:7]
	v_mov_b32_e32 v22, s10
	s_xor_b64 exec, exec, s[6:7]
	s_cbranch_execz .LBB47_1302
.LBB47_3352:
	v_cmp_ne_u16_e32 vcc, 0, v21
	s_andn2_b64 s[4:5], s[4:5], exec
	s_and_b64 s[8:9], vcc, exec
	v_mov_b32_e32 v22, 0
	s_or_b64 s[4:5], s[4:5], s[8:9]
	s_or_b64 exec, exec, s[6:7]
	s_and_saveexec_b64 s[6:7], s[4:5]
	s_cbranch_execnz .LBB47_1303
	s_branch .LBB47_1304
.LBB47_3353:
	s_movk_i32 s4, 0x80
	v_cmp_eq_u16_sdwa s[12:13], v14, s4 src0_sel:BYTE_3 src1_sel:DWORD
	s_mov_b64 s[4:5], -1
                                        ; implicit-def: $sgpr10
	s_and_saveexec_b64 s[8:9], s[12:13]
; %bb.3354:
	s_mov_b32 s10, 0x7f800001
	s_xor_b64 s[4:5], exec, -1
; %bb.3355:
	s_or_b64 exec, exec, s[8:9]
	s_and_b64 s[4:5], s[4:5], exec
	s_or_saveexec_b64 s[6:7], s[6:7]
	v_mov_b32_e32 v20, s10
	s_xor_b64 exec, exec, s[6:7]
	s_cbranch_execz .LBB47_1306
.LBB47_3356:
	v_mov_b32_e32 v20, 0
	v_cmp_ne_u16_sdwa s[8:9], v14, v20 src0_sel:BYTE_3 src1_sel:DWORD
	s_andn2_b64 s[4:5], s[4:5], exec
	s_and_b64 s[8:9], s[8:9], exec
	s_or_b64 s[4:5], s[4:5], s[8:9]
	s_or_b64 exec, exec, s[6:7]
	s_and_saveexec_b64 s[6:7], s[4:5]
	s_cbranch_execnz .LBB47_1307
	s_branch .LBB47_1308
.LBB47_3357:
	s_movk_i32 s4, 0x80
	v_cmp_eq_u16_sdwa s[12:13], v10, s4 src0_sel:BYTE_3 src1_sel:DWORD
	s_mov_b64 s[4:5], -1
                                        ; implicit-def: $sgpr10
	s_and_saveexec_b64 s[8:9], s[12:13]
; %bb.3358:
	s_mov_b32 s10, 0x7f800001
	s_xor_b64 s[4:5], exec, -1
; %bb.3359:
	s_or_b64 exec, exec, s[8:9]
	s_and_b64 s[4:5], s[4:5], exec
	s_or_saveexec_b64 s[6:7], s[6:7]
	v_mov_b32_e32 v14, s10
	s_xor_b64 exec, exec, s[6:7]
	s_cbranch_execz .LBB47_1310
.LBB47_3360:
	v_mov_b32_e32 v14, 0
	v_cmp_ne_u16_sdwa s[8:9], v10, v14 src0_sel:BYTE_3 src1_sel:DWORD
	s_andn2_b64 s[4:5], s[4:5], exec
	s_and_b64 s[8:9], s[8:9], exec
	s_or_b64 s[4:5], s[4:5], s[8:9]
	s_or_b64 exec, exec, s[6:7]
	s_and_saveexec_b64 s[6:7], s[4:5]
	s_cbranch_execnz .LBB47_1311
	s_branch .LBB47_1312
.LBB47_3361:
	s_movk_i32 s4, 0x80
	v_cmp_eq_u16_sdwa s[12:13], v15, s4 src0_sel:BYTE_0 src1_sel:DWORD
	s_mov_b64 s[4:5], -1
                                        ; implicit-def: $sgpr10
	s_and_saveexec_b64 s[8:9], s[12:13]
; %bb.3362:
	s_mov_b32 s10, 0x7f800001
	s_xor_b64 s[4:5], exec, -1
; %bb.3363:
	s_or_b64 exec, exec, s[8:9]
	s_and_b64 s[4:5], s[4:5], exec
	s_or_saveexec_b64 s[6:7], s[6:7]
	v_mov_b32_e32 v10, s10
	s_xor_b64 exec, exec, s[6:7]
	s_cbranch_execz .LBB47_1314
.LBB47_3364:
	v_mov_b32_e32 v10, 0
	v_cmp_ne_u16_sdwa s[8:9], v15, v10 src0_sel:BYTE_0 src1_sel:DWORD
	s_andn2_b64 s[4:5], s[4:5], exec
	s_and_b64 s[8:9], s[8:9], exec
	s_or_b64 s[4:5], s[4:5], s[8:9]
	s_or_b64 exec, exec, s[6:7]
	s_and_saveexec_b64 s[6:7], s[4:5]
	s_cbranch_execnz .LBB47_1315
	s_branch .LBB47_1316
.LBB47_3365:
	s_movk_i32 s4, 0x80
	v_cmp_eq_u16_sdwa s[12:13], v11, s4 src0_sel:BYTE_0 src1_sel:DWORD
	s_mov_b64 s[4:5], -1
                                        ; implicit-def: $sgpr10
	s_and_saveexec_b64 s[8:9], s[12:13]
; %bb.3366:
	s_mov_b32 s10, 0x7f800001
	s_xor_b64 s[4:5], exec, -1
; %bb.3367:
	s_or_b64 exec, exec, s[8:9]
	s_and_b64 s[4:5], s[4:5], exec
	s_or_saveexec_b64 s[6:7], s[6:7]
	v_mov_b32_e32 v14, s10
	s_xor_b64 exec, exec, s[6:7]
	s_cbranch_execz .LBB47_1318
.LBB47_3368:
	v_mov_b32_e32 v14, 0
	v_cmp_ne_u16_sdwa s[8:9], v11, v14 src0_sel:BYTE_0 src1_sel:DWORD
	s_andn2_b64 s[4:5], s[4:5], exec
	s_and_b64 s[8:9], s[8:9], exec
	s_or_b64 s[4:5], s[4:5], s[8:9]
	s_or_b64 exec, exec, s[6:7]
	s_and_saveexec_b64 s[6:7], s[4:5]
	s_cbranch_execnz .LBB47_1319
	s_branch .LBB47_1320
.LBB47_3369:
	s_movk_i32 s4, 0x80
	v_cmp_eq_u16_sdwa s[12:13], v14, s4 src0_sel:BYTE_0 src1_sel:DWORD
	s_mov_b64 s[4:5], -1
                                        ; implicit-def: $sgpr10
	s_and_saveexec_b64 s[8:9], s[12:13]
; %bb.3370:
	s_mov_b32 s10, 0x7f800001
	s_xor_b64 s[4:5], exec, -1
; %bb.3371:
	s_or_b64 exec, exec, s[8:9]
	s_and_b64 s[4:5], s[4:5], exec
	s_or_saveexec_b64 s[6:7], s[6:7]
	v_mov_b32_e32 v10, s10
	s_xor_b64 exec, exec, s[6:7]
	s_cbranch_execz .LBB47_1322
.LBB47_3372:
	v_mov_b32_e32 v10, 0
	v_cmp_ne_u16_sdwa s[8:9], v14, v10 src0_sel:BYTE_0 src1_sel:DWORD
	s_andn2_b64 s[4:5], s[4:5], exec
	s_and_b64 s[8:9], s[8:9], exec
	s_or_b64 s[4:5], s[4:5], s[8:9]
	s_or_b64 exec, exec, s[6:7]
	s_and_saveexec_b64 s[6:7], s[4:5]
	s_cbranch_execnz .LBB47_1323
	s_branch .LBB47_1324
.LBB47_3373:
	s_movk_i32 s4, 0x80
	v_cmp_eq_u16_sdwa s[12:13], v14, s4 src0_sel:BYTE_0 src1_sel:DWORD
	s_mov_b64 s[4:5], -1
                                        ; implicit-def: $sgpr10
	s_and_saveexec_b64 s[8:9], s[12:13]
; %bb.3374:
	s_mov_b32 s10, 0x7f800001
	s_xor_b64 s[4:5], exec, -1
; %bb.3375:
	s_or_b64 exec, exec, s[8:9]
	s_and_b64 s[4:5], s[4:5], exec
	s_or_saveexec_b64 s[6:7], s[6:7]
	v_mov_b32_e32 v20, s10
	s_xor_b64 exec, exec, s[6:7]
	s_cbranch_execz .LBB47_1326
.LBB47_3376:
	v_mov_b32_e32 v20, 0
	v_cmp_ne_u16_sdwa s[8:9], v14, v20 src0_sel:BYTE_0 src1_sel:DWORD
	s_andn2_b64 s[4:5], s[4:5], exec
	s_and_b64 s[8:9], s[8:9], exec
	s_or_b64 s[4:5], s[4:5], s[8:9]
	s_or_b64 exec, exec, s[6:7]
	s_and_saveexec_b64 s[6:7], s[4:5]
	s_cbranch_execnz .LBB47_1327
	s_branch .LBB47_1328
.LBB47_3377:
	s_movk_i32 s4, 0x80
	v_cmp_eq_u16_e32 vcc, s4, v14
	s_mov_b64 s[4:5], -1
                                        ; implicit-def: $sgpr10
	s_and_saveexec_b64 s[8:9], vcc
; %bb.3378:
	s_mov_b32 s10, 0x7f800001
	s_xor_b64 s[4:5], exec, -1
; %bb.3379:
	s_or_b64 exec, exec, s[8:9]
	s_and_b64 s[4:5], s[4:5], exec
                                        ; implicit-def: $vgpr14
	s_or_saveexec_b64 s[6:7], s[6:7]
	v_mov_b32_e32 v10, s10
	s_xor_b64 exec, exec, s[6:7]
	s_cbranch_execz .LBB47_1330
.LBB47_3380:
	v_cmp_ne_u16_e32 vcc, 0, v14
	s_andn2_b64 s[4:5], s[4:5], exec
	s_and_b64 s[8:9], vcc, exec
	v_mov_b32_e32 v10, 0
	s_or_b64 s[4:5], s[4:5], s[8:9]
	s_or_b64 exec, exec, s[6:7]
	s_and_saveexec_b64 s[6:7], s[4:5]
	s_cbranch_execnz .LBB47_1331
	s_branch .LBB47_1332
.LBB47_3381:
	s_movk_i32 s4, 0x80
	v_cmp_eq_u16_e32 vcc, s4, v14
	s_mov_b64 s[4:5], -1
                                        ; implicit-def: $sgpr10
	s_and_saveexec_b64 s[8:9], vcc
; %bb.3382:
	s_mov_b32 s10, 0x7f800001
	s_xor_b64 s[4:5], exec, -1
; %bb.3383:
	s_or_b64 exec, exec, s[8:9]
	s_and_b64 s[4:5], s[4:5], exec
                                        ; implicit-def: $vgpr14
	s_or_saveexec_b64 s[6:7], s[6:7]
	v_mov_b32_e32 v20, s10
	s_xor_b64 exec, exec, s[6:7]
	s_cbranch_execz .LBB47_1334
.LBB47_3384:
	v_cmp_ne_u16_e32 vcc, 0, v14
	s_andn2_b64 s[4:5], s[4:5], exec
	s_and_b64 s[8:9], vcc, exec
	v_mov_b32_e32 v20, 0
	s_or_b64 s[4:5], s[4:5], s[8:9]
	s_or_b64 exec, exec, s[6:7]
	s_and_saveexec_b64 s[6:7], s[4:5]
	s_cbranch_execnz .LBB47_1335
	s_branch .LBB47_1336
.LBB47_3385:
	s_movk_i32 s4, 0x80
	v_cmp_eq_u16_sdwa s[12:13], v15, s4 src0_sel:BYTE_3 src1_sel:DWORD
	s_mov_b64 s[4:5], -1
                                        ; implicit-def: $sgpr10
	s_and_saveexec_b64 s[8:9], s[12:13]
; %bb.3386:
	s_mov_b32 s10, 0x7f800001
	s_xor_b64 s[4:5], exec, -1
; %bb.3387:
	s_or_b64 exec, exec, s[8:9]
	s_and_b64 s[4:5], s[4:5], exec
	s_or_saveexec_b64 s[6:7], s[6:7]
	v_mov_b32_e32 v10, s10
	s_xor_b64 exec, exec, s[6:7]
	s_cbranch_execz .LBB47_1338
.LBB47_3388:
	v_mov_b32_e32 v10, 0
	v_cmp_ne_u16_sdwa s[8:9], v15, v10 src0_sel:BYTE_3 src1_sel:DWORD
	s_andn2_b64 s[4:5], s[4:5], exec
	s_and_b64 s[8:9], s[8:9], exec
	s_or_b64 s[4:5], s[4:5], s[8:9]
	s_or_b64 exec, exec, s[6:7]
	s_and_saveexec_b64 s[6:7], s[4:5]
	s_cbranch_execnz .LBB47_1339
	s_branch .LBB47_1340
.LBB47_3389:
	s_movk_i32 s4, 0x80
	v_cmp_eq_u16_sdwa s[12:13], v11, s4 src0_sel:BYTE_3 src1_sel:DWORD
	s_mov_b64 s[4:5], -1
                                        ; implicit-def: $sgpr10
	s_and_saveexec_b64 s[8:9], s[12:13]
; %bb.3390:
	s_mov_b32 s10, 0x7f800001
	s_xor_b64 s[4:5], exec, -1
; %bb.3391:
	s_or_b64 exec, exec, s[8:9]
	s_and_b64 s[4:5], s[4:5], exec
	s_or_saveexec_b64 s[6:7], s[6:7]
	v_mov_b32_e32 v14, s10
	s_xor_b64 exec, exec, s[6:7]
	s_cbranch_execz .LBB47_1342
.LBB47_3392:
	v_mov_b32_e32 v14, 0
	v_cmp_ne_u16_sdwa s[8:9], v11, v14 src0_sel:BYTE_3 src1_sel:DWORD
	s_andn2_b64 s[4:5], s[4:5], exec
	s_and_b64 s[8:9], s[8:9], exec
	s_or_b64 s[4:5], s[4:5], s[8:9]
	s_or_b64 exec, exec, s[6:7]
	s_and_saveexec_b64 s[6:7], s[4:5]
	s_cbranch_execnz .LBB47_1343
	s_branch .LBB47_1344
.LBB47_3393:
	s_movk_i32 s4, 0x80
	v_cmp_eq_u16_sdwa s[12:13], v16, s4 src0_sel:BYTE_0 src1_sel:DWORD
	s_mov_b64 s[4:5], -1
                                        ; implicit-def: $sgpr10
	s_and_saveexec_b64 s[8:9], s[12:13]
; %bb.3394:
	s_mov_b32 s10, 0x7f800001
	s_xor_b64 s[4:5], exec, -1
; %bb.3395:
	s_or_b64 exec, exec, s[8:9]
	s_and_b64 s[4:5], s[4:5], exec
	s_or_saveexec_b64 s[6:7], s[6:7]
	v_mov_b32_e32 v10, s10
	s_xor_b64 exec, exec, s[6:7]
	s_cbranch_execz .LBB47_1346
.LBB47_3396:
	v_mov_b32_e32 v10, 0
	v_cmp_ne_u16_sdwa s[8:9], v16, v10 src0_sel:BYTE_0 src1_sel:DWORD
	s_andn2_b64 s[4:5], s[4:5], exec
	s_and_b64 s[8:9], s[8:9], exec
	s_or_b64 s[4:5], s[4:5], s[8:9]
	s_or_b64 exec, exec, s[6:7]
	s_and_saveexec_b64 s[6:7], s[4:5]
	s_cbranch_execnz .LBB47_1347
	s_branch .LBB47_1348
.LBB47_3397:
	s_movk_i32 s4, 0x80
	v_cmp_eq_u16_sdwa s[12:13], v12, s4 src0_sel:BYTE_0 src1_sel:DWORD
	s_mov_b64 s[4:5], -1
                                        ; implicit-def: $sgpr10
	s_and_saveexec_b64 s[8:9], s[12:13]
; %bb.3398:
	s_mov_b32 s10, 0x7f800001
	s_xor_b64 s[4:5], exec, -1
; %bb.3399:
	s_or_b64 exec, exec, s[8:9]
	s_and_b64 s[4:5], s[4:5], exec
	s_or_saveexec_b64 s[6:7], s[6:7]
	v_mov_b32_e32 v11, s10
	s_xor_b64 exec, exec, s[6:7]
	s_cbranch_execz .LBB47_1350
.LBB47_3400:
	v_mov_b32_e32 v11, 0
	v_cmp_ne_u16_sdwa s[8:9], v12, v11 src0_sel:BYTE_0 src1_sel:DWORD
	s_andn2_b64 s[4:5], s[4:5], exec
	s_and_b64 s[8:9], s[8:9], exec
	s_or_b64 s[4:5], s[4:5], s[8:9]
	s_or_b64 exec, exec, s[6:7]
	s_and_saveexec_b64 s[6:7], s[4:5]
	s_cbranch_execnz .LBB47_1351
	s_branch .LBB47_1352
.LBB47_3401:
	s_movk_i32 s4, 0x80
	v_cmp_eq_u16_sdwa s[12:13], v11, s4 src0_sel:BYTE_0 src1_sel:DWORD
	s_mov_b64 s[4:5], -1
                                        ; implicit-def: $sgpr10
	s_and_saveexec_b64 s[8:9], s[12:13]
; %bb.3402:
	s_mov_b32 s10, 0x7f800001
	s_xor_b64 s[4:5], exec, -1
; %bb.3403:
	s_or_b64 exec, exec, s[8:9]
	s_and_b64 s[4:5], s[4:5], exec
	s_or_saveexec_b64 s[6:7], s[6:7]
	v_mov_b32_e32 v10, s10
	s_xor_b64 exec, exec, s[6:7]
	s_cbranch_execz .LBB47_1354
.LBB47_3404:
	v_mov_b32_e32 v10, 0
	v_cmp_ne_u16_sdwa s[8:9], v11, v10 src0_sel:BYTE_0 src1_sel:DWORD
	s_andn2_b64 s[4:5], s[4:5], exec
	s_and_b64 s[8:9], s[8:9], exec
	s_or_b64 s[4:5], s[4:5], s[8:9]
	s_or_b64 exec, exec, s[6:7]
	s_and_saveexec_b64 s[6:7], s[4:5]
	s_cbranch_execnz .LBB47_1355
	s_branch .LBB47_1356
.LBB47_3405:
	s_movk_i32 s4, 0x80
	v_cmp_eq_u16_sdwa s[12:13], v11, s4 src0_sel:BYTE_0 src1_sel:DWORD
	s_mov_b64 s[4:5], -1
                                        ; implicit-def: $sgpr10
	s_and_saveexec_b64 s[8:9], s[12:13]
; %bb.3406:
	s_mov_b32 s10, 0x7f800001
	s_xor_b64 s[4:5], exec, -1
; %bb.3407:
	s_or_b64 exec, exec, s[8:9]
	s_and_b64 s[4:5], s[4:5], exec
	s_or_saveexec_b64 s[6:7], s[6:7]
	v_mov_b32_e32 v14, s10
	s_xor_b64 exec, exec, s[6:7]
	s_cbranch_execz .LBB47_1358
.LBB47_3408:
	v_mov_b32_e32 v14, 0
	v_cmp_ne_u16_sdwa s[8:9], v11, v14 src0_sel:BYTE_0 src1_sel:DWORD
	s_andn2_b64 s[4:5], s[4:5], exec
	s_and_b64 s[8:9], s[8:9], exec
	s_or_b64 s[4:5], s[4:5], s[8:9]
	s_or_b64 exec, exec, s[6:7]
	s_and_saveexec_b64 s[6:7], s[4:5]
	s_cbranch_execnz .LBB47_1359
	s_branch .LBB47_1360
.LBB47_3409:
	s_movk_i32 s4, 0x80
	v_cmp_eq_u16_e32 vcc, s4, v11
	s_mov_b64 s[4:5], -1
                                        ; implicit-def: $sgpr10
	s_and_saveexec_b64 s[8:9], vcc
; %bb.3410:
	s_mov_b32 s10, 0x7f800001
	s_xor_b64 s[4:5], exec, -1
; %bb.3411:
	s_or_b64 exec, exec, s[8:9]
	s_and_b64 s[4:5], s[4:5], exec
                                        ; implicit-def: $vgpr11
	s_or_saveexec_b64 s[6:7], s[6:7]
	v_mov_b32_e32 v10, s10
	s_xor_b64 exec, exec, s[6:7]
	s_cbranch_execz .LBB47_1362
.LBB47_3412:
	v_cmp_ne_u16_e32 vcc, 0, v11
	s_andn2_b64 s[4:5], s[4:5], exec
	s_and_b64 s[8:9], vcc, exec
	v_mov_b32_e32 v10, 0
	s_or_b64 s[4:5], s[4:5], s[8:9]
	s_or_b64 exec, exec, s[6:7]
	s_and_saveexec_b64 s[6:7], s[4:5]
	s_cbranch_execnz .LBB47_1363
	s_branch .LBB47_1364
.LBB47_3413:
	s_movk_i32 s4, 0x80
	v_cmp_eq_u16_e32 vcc, s4, v11
	s_mov_b64 s[4:5], -1
                                        ; implicit-def: $sgpr10
	s_and_saveexec_b64 s[8:9], vcc
; %bb.3414:
	s_mov_b32 s10, 0x7f800001
	s_xor_b64 s[4:5], exec, -1
; %bb.3415:
	s_or_b64 exec, exec, s[8:9]
	s_and_b64 s[4:5], s[4:5], exec
                                        ; implicit-def: $vgpr11
	s_or_saveexec_b64 s[6:7], s[6:7]
	v_mov_b32_e32 v14, s10
	s_xor_b64 exec, exec, s[6:7]
	s_cbranch_execz .LBB47_1366
.LBB47_3416:
	v_cmp_ne_u16_e32 vcc, 0, v11
	s_andn2_b64 s[4:5], s[4:5], exec
	s_and_b64 s[8:9], vcc, exec
	v_mov_b32_e32 v14, 0
	s_or_b64 s[4:5], s[4:5], s[8:9]
	s_or_b64 exec, exec, s[6:7]
	s_and_saveexec_b64 s[6:7], s[4:5]
	s_cbranch_execnz .LBB47_1367
	s_branch .LBB47_1368
.LBB47_3417:
	s_movk_i32 s4, 0x80
	v_cmp_eq_u16_sdwa s[12:13], v16, s4 src0_sel:BYTE_3 src1_sel:DWORD
	s_mov_b64 s[4:5], -1
                                        ; implicit-def: $sgpr10
	s_and_saveexec_b64 s[8:9], s[12:13]
; %bb.3418:
	s_mov_b32 s10, 0x7f800001
	s_xor_b64 s[4:5], exec, -1
; %bb.3419:
	s_or_b64 exec, exec, s[8:9]
	s_and_b64 s[4:5], s[4:5], exec
	s_or_saveexec_b64 s[6:7], s[6:7]
	v_mov_b32_e32 v10, s10
	s_xor_b64 exec, exec, s[6:7]
	s_cbranch_execz .LBB47_1370
.LBB47_3420:
	v_mov_b32_e32 v10, 0
	v_cmp_ne_u16_sdwa s[8:9], v16, v10 src0_sel:BYTE_3 src1_sel:DWORD
	s_andn2_b64 s[4:5], s[4:5], exec
	s_and_b64 s[8:9], s[8:9], exec
	s_or_b64 s[4:5], s[4:5], s[8:9]
	s_or_b64 exec, exec, s[6:7]
	s_and_saveexec_b64 s[6:7], s[4:5]
	s_cbranch_execnz .LBB47_1371
	s_branch .LBB47_1372
.LBB47_3421:
	s_movk_i32 s4, 0x80
	v_cmp_eq_u16_sdwa s[12:13], v12, s4 src0_sel:BYTE_3 src1_sel:DWORD
	s_mov_b64 s[4:5], -1
                                        ; implicit-def: $sgpr10
	s_and_saveexec_b64 s[8:9], s[12:13]
; %bb.3422:
	s_mov_b32 s10, 0x7f800001
	s_xor_b64 s[4:5], exec, -1
; %bb.3423:
	s_or_b64 exec, exec, s[8:9]
	s_and_b64 s[4:5], s[4:5], exec
	s_or_saveexec_b64 s[6:7], s[6:7]
	v_mov_b32_e32 v11, s10
	s_xor_b64 exec, exec, s[6:7]
	s_cbranch_execz .LBB47_1374
.LBB47_3424:
	v_mov_b32_e32 v11, 0
	v_cmp_ne_u16_sdwa s[8:9], v12, v11 src0_sel:BYTE_3 src1_sel:DWORD
	s_andn2_b64 s[4:5], s[4:5], exec
	s_and_b64 s[8:9], s[8:9], exec
	s_or_b64 s[4:5], s[4:5], s[8:9]
	s_or_b64 exec, exec, s[6:7]
	s_and_saveexec_b64 s[6:7], s[4:5]
	s_cbranch_execnz .LBB47_1375
	s_branch .LBB47_1376
.LBB47_3425:
	s_movk_i32 s4, 0x80
	v_cmp_eq_u16_sdwa s[12:13], v17, s4 src0_sel:BYTE_0 src1_sel:DWORD
	s_mov_b64 s[4:5], -1
                                        ; implicit-def: $sgpr10
	s_and_saveexec_b64 s[8:9], s[12:13]
; %bb.3426:
	s_mov_b32 s10, 0x7f800001
	s_xor_b64 s[4:5], exec, -1
; %bb.3427:
	s_or_b64 exec, exec, s[8:9]
	s_and_b64 s[4:5], s[4:5], exec
	s_or_saveexec_b64 s[6:7], s[6:7]
	v_mov_b32_e32 v10, s10
	s_xor_b64 exec, exec, s[6:7]
	s_cbranch_execz .LBB47_1378
.LBB47_3428:
	v_mov_b32_e32 v10, 0
	v_cmp_ne_u16_sdwa s[8:9], v17, v10 src0_sel:BYTE_0 src1_sel:DWORD
	s_andn2_b64 s[4:5], s[4:5], exec
	s_and_b64 s[8:9], s[8:9], exec
	s_or_b64 s[4:5], s[4:5], s[8:9]
	s_or_b64 exec, exec, s[6:7]
	s_and_saveexec_b64 s[6:7], s[4:5]
	s_cbranch_execnz .LBB47_1379
	s_branch .LBB47_1380
.LBB47_3429:
	s_movk_i32 s4, 0x80
	v_cmp_eq_u16_sdwa s[12:13], v13, s4 src0_sel:BYTE_0 src1_sel:DWORD
	s_mov_b64 s[4:5], -1
                                        ; implicit-def: $sgpr10
	s_and_saveexec_b64 s[8:9], s[12:13]
; %bb.3430:
	s_mov_b32 s10, 0x7f800001
	s_xor_b64 s[4:5], exec, -1
; %bb.3431:
	s_or_b64 exec, exec, s[8:9]
	s_and_b64 s[4:5], s[4:5], exec
	s_or_saveexec_b64 s[6:7], s[6:7]
	v_mov_b32_e32 v11, s10
	s_xor_b64 exec, exec, s[6:7]
	s_cbranch_execz .LBB47_1382
.LBB47_3432:
	v_mov_b32_e32 v11, 0
	v_cmp_ne_u16_sdwa s[8:9], v13, v11 src0_sel:BYTE_0 src1_sel:DWORD
	s_andn2_b64 s[4:5], s[4:5], exec
	s_and_b64 s[8:9], s[8:9], exec
	s_or_b64 s[4:5], s[4:5], s[8:9]
	s_or_b64 exec, exec, s[6:7]
	s_and_saveexec_b64 s[6:7], s[4:5]
	s_cbranch_execnz .LBB47_1383
	s_branch .LBB47_1384
.LBB47_3433:
	s_movk_i32 s4, 0x80
	v_cmp_eq_u16_sdwa s[12:13], v11, s4 src0_sel:BYTE_0 src1_sel:DWORD
	s_mov_b64 s[4:5], -1
                                        ; implicit-def: $sgpr10
	s_and_saveexec_b64 s[8:9], s[12:13]
; %bb.3434:
	s_mov_b32 s10, 0x7f800001
	s_xor_b64 s[4:5], exec, -1
; %bb.3435:
	s_or_b64 exec, exec, s[8:9]
	s_and_b64 s[4:5], s[4:5], exec
	s_or_saveexec_b64 s[6:7], s[6:7]
	v_mov_b32_e32 v10, s10
	s_xor_b64 exec, exec, s[6:7]
	s_cbranch_execz .LBB47_1386
.LBB47_3436:
	v_mov_b32_e32 v10, 0
	v_cmp_ne_u16_sdwa s[8:9], v11, v10 src0_sel:BYTE_0 src1_sel:DWORD
	s_andn2_b64 s[4:5], s[4:5], exec
	s_and_b64 s[8:9], s[8:9], exec
	s_or_b64 s[4:5], s[4:5], s[8:9]
	s_or_b64 exec, exec, s[6:7]
	s_and_saveexec_b64 s[6:7], s[4:5]
	s_cbranch_execnz .LBB47_1387
	s_branch .LBB47_1388
.LBB47_3437:
	s_movk_i32 s4, 0x80
	v_cmp_eq_u16_sdwa s[12:13], v11, s4 src0_sel:BYTE_0 src1_sel:DWORD
	s_mov_b64 s[4:5], -1
                                        ; implicit-def: $sgpr10
	s_and_saveexec_b64 s[8:9], s[12:13]
; %bb.3438:
	s_mov_b32 s10, 0x7f800001
	s_xor_b64 s[4:5], exec, -1
; %bb.3439:
	s_or_b64 exec, exec, s[8:9]
	s_and_b64 s[4:5], s[4:5], exec
	s_or_saveexec_b64 s[6:7], s[6:7]
	v_mov_b32_e32 v12, s10
	s_xor_b64 exec, exec, s[6:7]
	s_cbranch_execz .LBB47_1390
.LBB47_3440:
	v_mov_b32_e32 v12, 0
	v_cmp_ne_u16_sdwa s[8:9], v11, v12 src0_sel:BYTE_0 src1_sel:DWORD
	s_andn2_b64 s[4:5], s[4:5], exec
	s_and_b64 s[8:9], s[8:9], exec
	s_or_b64 s[4:5], s[4:5], s[8:9]
	s_or_b64 exec, exec, s[6:7]
	s_and_saveexec_b64 s[6:7], s[4:5]
	s_cbranch_execnz .LBB47_1391
	s_branch .LBB47_1392
.LBB47_3441:
	s_movk_i32 s4, 0x80
	v_cmp_eq_u16_e32 vcc, s4, v11
	s_mov_b64 s[4:5], -1
                                        ; implicit-def: $sgpr10
	s_and_saveexec_b64 s[8:9], vcc
; %bb.3442:
	s_mov_b32 s10, 0x7f800001
	s_xor_b64 s[4:5], exec, -1
; %bb.3443:
	s_or_b64 exec, exec, s[8:9]
	s_and_b64 s[4:5], s[4:5], exec
                                        ; implicit-def: $vgpr11
	s_or_saveexec_b64 s[6:7], s[6:7]
	v_mov_b32_e32 v10, s10
	s_xor_b64 exec, exec, s[6:7]
	s_cbranch_execz .LBB47_1394
.LBB47_3444:
	v_cmp_ne_u16_e32 vcc, 0, v11
	s_andn2_b64 s[4:5], s[4:5], exec
	s_and_b64 s[8:9], vcc, exec
	v_mov_b32_e32 v10, 0
	s_or_b64 s[4:5], s[4:5], s[8:9]
	s_or_b64 exec, exec, s[6:7]
	s_and_saveexec_b64 s[6:7], s[4:5]
	s_cbranch_execnz .LBB47_1395
	s_branch .LBB47_1396
.LBB47_3445:
	s_movk_i32 s4, 0x80
	v_cmp_eq_u16_e32 vcc, s4, v11
	s_mov_b64 s[4:5], -1
                                        ; implicit-def: $sgpr10
	s_and_saveexec_b64 s[8:9], vcc
; %bb.3446:
	s_mov_b32 s10, 0x7f800001
	s_xor_b64 s[4:5], exec, -1
; %bb.3447:
	s_or_b64 exec, exec, s[8:9]
	s_and_b64 s[4:5], s[4:5], exec
                                        ; implicit-def: $vgpr11
	s_or_saveexec_b64 s[6:7], s[6:7]
	v_mov_b32_e32 v12, s10
	s_xor_b64 exec, exec, s[6:7]
	s_cbranch_execz .LBB47_1398
.LBB47_3448:
	v_cmp_ne_u16_e32 vcc, 0, v11
	s_andn2_b64 s[4:5], s[4:5], exec
	s_and_b64 s[8:9], vcc, exec
	v_mov_b32_e32 v12, 0
	s_or_b64 s[4:5], s[4:5], s[8:9]
	s_or_b64 exec, exec, s[6:7]
	s_and_saveexec_b64 s[6:7], s[4:5]
	s_cbranch_execnz .LBB47_1399
	s_branch .LBB47_1400
.LBB47_3449:
	s_movk_i32 s4, 0x80
	v_cmp_eq_u16_sdwa s[12:13], v17, s4 src0_sel:BYTE_3 src1_sel:DWORD
	s_mov_b64 s[4:5], -1
                                        ; implicit-def: $sgpr10
	s_and_saveexec_b64 s[8:9], s[12:13]
; %bb.3450:
	s_mov_b32 s10, 0x7f800001
	s_xor_b64 s[4:5], exec, -1
; %bb.3451:
	s_or_b64 exec, exec, s[8:9]
	s_and_b64 s[4:5], s[4:5], exec
	s_or_saveexec_b64 s[6:7], s[6:7]
	v_mov_b32_e32 v10, s10
	s_xor_b64 exec, exec, s[6:7]
	s_cbranch_execz .LBB47_1402
.LBB47_3452:
	v_mov_b32_e32 v10, 0
	v_cmp_ne_u16_sdwa s[8:9], v17, v10 src0_sel:BYTE_3 src1_sel:DWORD
	s_andn2_b64 s[4:5], s[4:5], exec
	s_and_b64 s[8:9], s[8:9], exec
	s_or_b64 s[4:5], s[4:5], s[8:9]
	s_or_b64 exec, exec, s[6:7]
	s_and_saveexec_b64 s[6:7], s[4:5]
	s_cbranch_execnz .LBB47_1403
	s_branch .LBB47_1404
.LBB47_3453:
	s_movk_i32 s4, 0x80
	v_cmp_eq_u16_sdwa s[12:13], v13, s4 src0_sel:BYTE_3 src1_sel:DWORD
	s_mov_b64 s[4:5], -1
                                        ; implicit-def: $sgpr10
	s_and_saveexec_b64 s[8:9], s[12:13]
; %bb.3454:
	s_mov_b32 s10, 0x7f800001
	s_xor_b64 s[4:5], exec, -1
; %bb.3455:
	s_or_b64 exec, exec, s[8:9]
	s_and_b64 s[4:5], s[4:5], exec
	s_or_saveexec_b64 s[6:7], s[6:7]
	v_mov_b32_e32 v11, s10
	s_xor_b64 exec, exec, s[6:7]
	s_cbranch_execz .LBB47_1406
.LBB47_3456:
	v_mov_b32_e32 v11, 0
	v_cmp_ne_u16_sdwa s[8:9], v13, v11 src0_sel:BYTE_3 src1_sel:DWORD
	s_andn2_b64 s[4:5], s[4:5], exec
	s_and_b64 s[8:9], s[8:9], exec
	s_or_b64 s[4:5], s[4:5], s[8:9]
	s_or_b64 exec, exec, s[6:7]
	s_and_saveexec_b64 s[6:7], s[4:5]
	s_cbranch_execnz .LBB47_1407
	s_branch .LBB47_1408
.LBB47_3457:
	s_movk_i32 s4, 0x80
	v_cmp_eq_u16_sdwa s[12:13], v6, s4 src0_sel:BYTE_0 src1_sel:DWORD
	s_mov_b64 s[4:5], -1
                                        ; implicit-def: $sgpr10
	s_and_saveexec_b64 s[8:9], s[12:13]
; %bb.3458:
	s_mov_b32 s10, 0x7f800001
	s_xor_b64 s[4:5], exec, -1
; %bb.3459:
	s_or_b64 exec, exec, s[8:9]
	s_and_b64 s[4:5], s[4:5], exec
	s_or_saveexec_b64 s[6:7], s[6:7]
	v_mov_b32_e32 v10, s10
	s_xor_b64 exec, exec, s[6:7]
	s_cbranch_execz .LBB47_1410
.LBB47_3460:
	v_mov_b32_e32 v10, 0
	v_cmp_ne_u16_sdwa s[8:9], v6, v10 src0_sel:BYTE_0 src1_sel:DWORD
	s_andn2_b64 s[4:5], s[4:5], exec
	s_and_b64 s[8:9], s[8:9], exec
	s_or_b64 s[4:5], s[4:5], s[8:9]
	s_or_b64 exec, exec, s[6:7]
	s_and_saveexec_b64 s[6:7], s[4:5]
	s_cbranch_execnz .LBB47_1411
	s_branch .LBB47_1412
.LBB47_3461:
	s_movk_i32 s4, 0x80
	v_cmp_eq_u16_sdwa s[12:13], v2, s4 src0_sel:BYTE_0 src1_sel:DWORD
	s_mov_b64 s[4:5], -1
                                        ; implicit-def: $sgpr10
	s_and_saveexec_b64 s[8:9], s[12:13]
; %bb.3462:
	s_mov_b32 s10, 0x7f800001
	s_xor_b64 s[4:5], exec, -1
; %bb.3463:
	s_or_b64 exec, exec, s[8:9]
	s_and_b64 s[4:5], s[4:5], exec
	s_or_saveexec_b64 s[6:7], s[6:7]
	v_mov_b32_e32 v11, s10
	s_xor_b64 exec, exec, s[6:7]
	s_cbranch_execz .LBB47_1414
.LBB47_3464:
	v_mov_b32_e32 v11, 0
	v_cmp_ne_u16_sdwa s[8:9], v2, v11 src0_sel:BYTE_0 src1_sel:DWORD
	s_andn2_b64 s[4:5], s[4:5], exec
	s_and_b64 s[8:9], s[8:9], exec
	s_or_b64 s[4:5], s[4:5], s[8:9]
	s_or_b64 exec, exec, s[6:7]
	s_and_saveexec_b64 s[6:7], s[4:5]
	s_cbranch_execnz .LBB47_1415
	s_branch .LBB47_1416
.LBB47_3465:
	s_movk_i32 s4, 0x80
	v_cmp_eq_u16_sdwa s[12:13], v11, s4 src0_sel:BYTE_0 src1_sel:DWORD
	s_mov_b64 s[4:5], -1
                                        ; implicit-def: $sgpr10
	s_and_saveexec_b64 s[8:9], s[12:13]
; %bb.3466:
	s_mov_b32 s10, 0x7f800001
	s_xor_b64 s[4:5], exec, -1
; %bb.3467:
	s_or_b64 exec, exec, s[8:9]
	s_and_b64 s[4:5], s[4:5], exec
	s_or_saveexec_b64 s[6:7], s[6:7]
	v_mov_b32_e32 v10, s10
	s_xor_b64 exec, exec, s[6:7]
	s_cbranch_execz .LBB47_1418
.LBB47_3468:
	v_mov_b32_e32 v10, 0
	v_cmp_ne_u16_sdwa s[8:9], v11, v10 src0_sel:BYTE_0 src1_sel:DWORD
	s_andn2_b64 s[4:5], s[4:5], exec
	s_and_b64 s[8:9], s[8:9], exec
	s_or_b64 s[4:5], s[4:5], s[8:9]
	s_or_b64 exec, exec, s[6:7]
	s_and_saveexec_b64 s[6:7], s[4:5]
	s_cbranch_execnz .LBB47_1419
	s_branch .LBB47_1420
.LBB47_3469:
	s_movk_i32 s4, 0x80
	v_cmp_eq_u16_sdwa s[12:13], v11, s4 src0_sel:BYTE_0 src1_sel:DWORD
	s_mov_b64 s[4:5], -1
                                        ; implicit-def: $sgpr10
	s_and_saveexec_b64 s[8:9], s[12:13]
; %bb.3470:
	s_mov_b32 s10, 0x7f800001
	s_xor_b64 s[4:5], exec, -1
; %bb.3471:
	s_or_b64 exec, exec, s[8:9]
	s_and_b64 s[4:5], s[4:5], exec
	s_or_saveexec_b64 s[6:7], s[6:7]
	v_mov_b32_e32 v12, s10
	s_xor_b64 exec, exec, s[6:7]
	s_cbranch_execz .LBB47_1422
.LBB47_3472:
	v_mov_b32_e32 v12, 0
	v_cmp_ne_u16_sdwa s[8:9], v11, v12 src0_sel:BYTE_0 src1_sel:DWORD
	s_andn2_b64 s[4:5], s[4:5], exec
	s_and_b64 s[8:9], s[8:9], exec
	s_or_b64 s[4:5], s[4:5], s[8:9]
	s_or_b64 exec, exec, s[6:7]
	s_and_saveexec_b64 s[6:7], s[4:5]
	s_cbranch_execnz .LBB47_1423
	s_branch .LBB47_1424
.LBB47_3473:
	s_movk_i32 s4, 0x80
	v_cmp_eq_u16_e32 vcc, s4, v11
	s_mov_b64 s[4:5], -1
                                        ; implicit-def: $sgpr10
	s_and_saveexec_b64 s[8:9], vcc
; %bb.3474:
	s_mov_b32 s10, 0x7f800001
	s_xor_b64 s[4:5], exec, -1
; %bb.3475:
	s_or_b64 exec, exec, s[8:9]
	s_and_b64 s[4:5], s[4:5], exec
                                        ; implicit-def: $vgpr11
	s_or_saveexec_b64 s[6:7], s[6:7]
	v_mov_b32_e32 v10, s10
	s_xor_b64 exec, exec, s[6:7]
	s_cbranch_execz .LBB47_1426
.LBB47_3476:
	v_cmp_ne_u16_e32 vcc, 0, v11
	s_andn2_b64 s[4:5], s[4:5], exec
	s_and_b64 s[8:9], vcc, exec
	v_mov_b32_e32 v10, 0
	s_or_b64 s[4:5], s[4:5], s[8:9]
	s_or_b64 exec, exec, s[6:7]
	s_and_saveexec_b64 s[6:7], s[4:5]
	s_cbranch_execnz .LBB47_1427
	s_branch .LBB47_1428
.LBB47_3477:
	s_movk_i32 s4, 0x80
	v_cmp_eq_u16_e32 vcc, s4, v11
	s_mov_b64 s[4:5], -1
                                        ; implicit-def: $sgpr10
	s_and_saveexec_b64 s[8:9], vcc
; %bb.3478:
	s_mov_b32 s10, 0x7f800001
	s_xor_b64 s[4:5], exec, -1
; %bb.3479:
	s_or_b64 exec, exec, s[8:9]
	s_and_b64 s[4:5], s[4:5], exec
                                        ; implicit-def: $vgpr11
	s_or_saveexec_b64 s[6:7], s[6:7]
	v_mov_b32_e32 v12, s10
	s_xor_b64 exec, exec, s[6:7]
	s_cbranch_execz .LBB47_1430
.LBB47_3480:
	v_cmp_ne_u16_e32 vcc, 0, v11
	s_andn2_b64 s[4:5], s[4:5], exec
	s_and_b64 s[8:9], vcc, exec
	v_mov_b32_e32 v12, 0
	s_or_b64 s[4:5], s[4:5], s[8:9]
	s_or_b64 exec, exec, s[6:7]
	s_and_saveexec_b64 s[6:7], s[4:5]
	s_cbranch_execnz .LBB47_1431
	s_branch .LBB47_1432
.LBB47_3481:
	s_movk_i32 s4, 0x80
	v_cmp_eq_u16_sdwa s[12:13], v6, s4 src0_sel:BYTE_3 src1_sel:DWORD
	s_mov_b64 s[4:5], -1
                                        ; implicit-def: $sgpr10
	s_and_saveexec_b64 s[8:9], s[12:13]
; %bb.3482:
	s_mov_b32 s10, 0x7f800001
	s_xor_b64 s[4:5], exec, -1
; %bb.3483:
	s_or_b64 exec, exec, s[8:9]
	s_and_b64 s[4:5], s[4:5], exec
	s_or_saveexec_b64 s[6:7], s[6:7]
	v_mov_b32_e32 v10, s10
	s_xor_b64 exec, exec, s[6:7]
	s_cbranch_execz .LBB47_1434
.LBB47_3484:
	v_mov_b32_e32 v10, 0
	v_cmp_ne_u16_sdwa s[8:9], v6, v10 src0_sel:BYTE_3 src1_sel:DWORD
	s_andn2_b64 s[4:5], s[4:5], exec
	s_and_b64 s[8:9], s[8:9], exec
	s_or_b64 s[4:5], s[4:5], s[8:9]
	s_or_b64 exec, exec, s[6:7]
	s_and_saveexec_b64 s[6:7], s[4:5]
	s_cbranch_execnz .LBB47_1435
	s_branch .LBB47_1436
.LBB47_3485:
	s_movk_i32 s4, 0x80
	v_cmp_eq_u16_sdwa s[12:13], v2, s4 src0_sel:BYTE_3 src1_sel:DWORD
	s_mov_b64 s[4:5], -1
                                        ; implicit-def: $sgpr10
	s_and_saveexec_b64 s[8:9], s[12:13]
; %bb.3486:
	s_mov_b32 s10, 0x7f800001
	s_xor_b64 s[4:5], exec, -1
; %bb.3487:
	s_or_b64 exec, exec, s[8:9]
	s_and_b64 s[4:5], s[4:5], exec
	s_or_saveexec_b64 s[6:7], s[6:7]
	v_mov_b32_e32 v6, s10
	s_xor_b64 exec, exec, s[6:7]
	s_cbranch_execz .LBB47_1438
.LBB47_3488:
	v_mov_b32_e32 v6, 0
	v_cmp_ne_u16_sdwa s[8:9], v2, v6 src0_sel:BYTE_3 src1_sel:DWORD
	s_andn2_b64 s[4:5], s[4:5], exec
	s_and_b64 s[8:9], s[8:9], exec
	s_or_b64 s[4:5], s[4:5], s[8:9]
	s_or_b64 exec, exec, s[6:7]
	s_and_saveexec_b64 s[6:7], s[4:5]
	s_cbranch_execnz .LBB47_1439
	s_branch .LBB47_1440
.LBB47_3489:
	s_movk_i32 s4, 0x80
	v_cmp_eq_u16_sdwa s[12:13], v7, s4 src0_sel:BYTE_0 src1_sel:DWORD
	s_mov_b64 s[4:5], -1
                                        ; implicit-def: $sgpr10
	s_and_saveexec_b64 s[8:9], s[12:13]
; %bb.3490:
	s_mov_b32 s10, 0x7f800001
	s_xor_b64 s[4:5], exec, -1
; %bb.3491:
	s_or_b64 exec, exec, s[8:9]
	s_and_b64 s[4:5], s[4:5], exec
	s_or_saveexec_b64 s[6:7], s[6:7]
	v_mov_b32_e32 v2, s10
	s_xor_b64 exec, exec, s[6:7]
	s_cbranch_execz .LBB47_1442
.LBB47_3492:
	v_mov_b32_e32 v2, 0
	v_cmp_ne_u16_sdwa s[8:9], v7, v2 src0_sel:BYTE_0 src1_sel:DWORD
	s_andn2_b64 s[4:5], s[4:5], exec
	s_and_b64 s[8:9], s[8:9], exec
	s_or_b64 s[4:5], s[4:5], s[8:9]
	s_or_b64 exec, exec, s[6:7]
	s_and_saveexec_b64 s[6:7], s[4:5]
	s_cbranch_execnz .LBB47_1443
	s_branch .LBB47_1444
.LBB47_3493:
	s_movk_i32 s4, 0x80
	v_cmp_eq_u16_sdwa s[12:13], v3, s4 src0_sel:BYTE_0 src1_sel:DWORD
	s_mov_b64 s[4:5], -1
                                        ; implicit-def: $sgpr10
	s_and_saveexec_b64 s[8:9], s[12:13]
; %bb.3494:
	s_mov_b32 s10, 0x7f800001
	s_xor_b64 s[4:5], exec, -1
; %bb.3495:
	s_or_b64 exec, exec, s[8:9]
	s_and_b64 s[4:5], s[4:5], exec
	s_or_saveexec_b64 s[6:7], s[6:7]
	v_mov_b32_e32 v6, s10
	s_xor_b64 exec, exec, s[6:7]
	s_cbranch_execz .LBB47_1446
.LBB47_3496:
	v_mov_b32_e32 v6, 0
	v_cmp_ne_u16_sdwa s[8:9], v3, v6 src0_sel:BYTE_0 src1_sel:DWORD
	s_andn2_b64 s[4:5], s[4:5], exec
	s_and_b64 s[8:9], s[8:9], exec
	s_or_b64 s[4:5], s[4:5], s[8:9]
	s_or_b64 exec, exec, s[6:7]
	s_and_saveexec_b64 s[6:7], s[4:5]
	s_cbranch_execnz .LBB47_1447
	s_branch .LBB47_1448
.LBB47_3497:
	s_movk_i32 s4, 0x80
	v_cmp_eq_u16_sdwa s[12:13], v6, s4 src0_sel:BYTE_0 src1_sel:DWORD
	s_mov_b64 s[4:5], -1
                                        ; implicit-def: $sgpr10
	s_and_saveexec_b64 s[8:9], s[12:13]
; %bb.3498:
	s_mov_b32 s10, 0x7f800001
	s_xor_b64 s[4:5], exec, -1
; %bb.3499:
	s_or_b64 exec, exec, s[8:9]
	s_and_b64 s[4:5], s[4:5], exec
	s_or_saveexec_b64 s[6:7], s[6:7]
	v_mov_b32_e32 v2, s10
	s_xor_b64 exec, exec, s[6:7]
	s_cbranch_execz .LBB47_1450
.LBB47_3500:
	v_mov_b32_e32 v2, 0
	v_cmp_ne_u16_sdwa s[8:9], v6, v2 src0_sel:BYTE_0 src1_sel:DWORD
	s_andn2_b64 s[4:5], s[4:5], exec
	s_and_b64 s[8:9], s[8:9], exec
	s_or_b64 s[4:5], s[4:5], s[8:9]
	s_or_b64 exec, exec, s[6:7]
	s_and_saveexec_b64 s[6:7], s[4:5]
	s_cbranch_execnz .LBB47_1451
	s_branch .LBB47_1452
.LBB47_3501:
	s_movk_i32 s4, 0x80
	v_cmp_eq_u16_sdwa s[12:13], v6, s4 src0_sel:BYTE_0 src1_sel:DWORD
	s_mov_b64 s[4:5], -1
                                        ; implicit-def: $sgpr10
	s_and_saveexec_b64 s[8:9], s[12:13]
; %bb.3502:
	s_mov_b32 s10, 0x7f800001
	s_xor_b64 s[4:5], exec, -1
; %bb.3503:
	s_or_b64 exec, exec, s[8:9]
	s_and_b64 s[4:5], s[4:5], exec
	s_or_saveexec_b64 s[6:7], s[6:7]
	v_mov_b32_e32 v10, s10
	s_xor_b64 exec, exec, s[6:7]
	s_cbranch_execz .LBB47_1454
.LBB47_3504:
	v_mov_b32_e32 v10, 0
	v_cmp_ne_u16_sdwa s[8:9], v6, v10 src0_sel:BYTE_0 src1_sel:DWORD
	s_andn2_b64 s[4:5], s[4:5], exec
	s_and_b64 s[8:9], s[8:9], exec
	s_or_b64 s[4:5], s[4:5], s[8:9]
	s_or_b64 exec, exec, s[6:7]
	s_and_saveexec_b64 s[6:7], s[4:5]
	s_cbranch_execnz .LBB47_1455
	s_branch .LBB47_1456
.LBB47_3505:
	s_movk_i32 s4, 0x80
	v_cmp_eq_u16_e32 vcc, s4, v6
	s_mov_b64 s[4:5], -1
                                        ; implicit-def: $sgpr10
	s_and_saveexec_b64 s[8:9], vcc
; %bb.3506:
	s_mov_b32 s10, 0x7f800001
	s_xor_b64 s[4:5], exec, -1
; %bb.3507:
	s_or_b64 exec, exec, s[8:9]
	s_and_b64 s[4:5], s[4:5], exec
                                        ; implicit-def: $vgpr6
	s_or_saveexec_b64 s[6:7], s[6:7]
	v_mov_b32_e32 v2, s10
	s_xor_b64 exec, exec, s[6:7]
	s_cbranch_execz .LBB47_1458
.LBB47_3508:
	v_cmp_ne_u16_e32 vcc, 0, v6
	s_andn2_b64 s[4:5], s[4:5], exec
	s_and_b64 s[8:9], vcc, exec
	v_mov_b32_e32 v2, 0
	s_or_b64 s[4:5], s[4:5], s[8:9]
	s_or_b64 exec, exec, s[6:7]
	s_and_saveexec_b64 s[6:7], s[4:5]
	s_cbranch_execnz .LBB47_1459
	s_branch .LBB47_1460
.LBB47_3509:
	s_movk_i32 s4, 0x80
	v_cmp_eq_u16_e32 vcc, s4, v6
	s_mov_b64 s[4:5], -1
                                        ; implicit-def: $sgpr10
	s_and_saveexec_b64 s[8:9], vcc
; %bb.3510:
	s_mov_b32 s10, 0x7f800001
	s_xor_b64 s[4:5], exec, -1
; %bb.3511:
	s_or_b64 exec, exec, s[8:9]
	s_and_b64 s[4:5], s[4:5], exec
                                        ; implicit-def: $vgpr6
	s_or_saveexec_b64 s[6:7], s[6:7]
	v_mov_b32_e32 v10, s10
	s_xor_b64 exec, exec, s[6:7]
	s_cbranch_execz .LBB47_1462
.LBB47_3512:
	v_cmp_ne_u16_e32 vcc, 0, v6
	s_andn2_b64 s[4:5], s[4:5], exec
	s_and_b64 s[8:9], vcc, exec
	v_mov_b32_e32 v10, 0
	s_or_b64 s[4:5], s[4:5], s[8:9]
	s_or_b64 exec, exec, s[6:7]
	s_and_saveexec_b64 s[6:7], s[4:5]
	s_cbranch_execnz .LBB47_1463
	s_branch .LBB47_1464
.LBB47_3513:
	s_movk_i32 s4, 0x80
	v_cmp_eq_u16_sdwa s[12:13], v7, s4 src0_sel:BYTE_3 src1_sel:DWORD
	s_mov_b64 s[4:5], -1
                                        ; implicit-def: $sgpr10
	s_and_saveexec_b64 s[8:9], s[12:13]
; %bb.3514:
	s_mov_b32 s10, 0x7f800001
	s_xor_b64 s[4:5], exec, -1
; %bb.3515:
	s_or_b64 exec, exec, s[8:9]
	s_and_b64 s[4:5], s[4:5], exec
	s_or_saveexec_b64 s[6:7], s[6:7]
	v_mov_b32_e32 v2, s10
	s_xor_b64 exec, exec, s[6:7]
	s_cbranch_execz .LBB47_1466
.LBB47_3516:
	v_mov_b32_e32 v2, 0
	v_cmp_ne_u16_sdwa s[8:9], v7, v2 src0_sel:BYTE_3 src1_sel:DWORD
	s_andn2_b64 s[4:5], s[4:5], exec
	s_and_b64 s[8:9], s[8:9], exec
	s_or_b64 s[4:5], s[4:5], s[8:9]
	s_or_b64 exec, exec, s[6:7]
	s_and_saveexec_b64 s[6:7], s[4:5]
	s_cbranch_execnz .LBB47_1467
	s_branch .LBB47_1468
.LBB47_3517:
	s_movk_i32 s4, 0x80
	v_cmp_eq_u16_sdwa s[12:13], v3, s4 src0_sel:BYTE_3 src1_sel:DWORD
	s_mov_b64 s[4:5], -1
                                        ; implicit-def: $sgpr10
	s_and_saveexec_b64 s[8:9], s[12:13]
; %bb.3518:
	s_mov_b32 s10, 0x7f800001
	s_xor_b64 s[4:5], exec, -1
; %bb.3519:
	s_or_b64 exec, exec, s[8:9]
	s_and_b64 s[4:5], s[4:5], exec
	s_or_saveexec_b64 s[6:7], s[6:7]
	v_mov_b32_e32 v6, s10
	s_xor_b64 exec, exec, s[6:7]
	s_cbranch_execz .LBB47_1470
.LBB47_3520:
	v_mov_b32_e32 v6, 0
	v_cmp_ne_u16_sdwa s[8:9], v3, v6 src0_sel:BYTE_3 src1_sel:DWORD
	s_andn2_b64 s[4:5], s[4:5], exec
	s_and_b64 s[8:9], s[8:9], exec
	s_or_b64 s[4:5], s[4:5], s[8:9]
	s_or_b64 exec, exec, s[6:7]
	s_and_saveexec_b64 s[6:7], s[4:5]
	s_cbranch_execnz .LBB47_1471
	s_branch .LBB47_1472
.LBB47_3521:
	s_movk_i32 s4, 0x80
	v_cmp_eq_u16_sdwa s[12:13], v8, s4 src0_sel:BYTE_0 src1_sel:DWORD
	s_mov_b64 s[4:5], -1
                                        ; implicit-def: $sgpr10
	s_and_saveexec_b64 s[8:9], s[12:13]
; %bb.3522:
	s_mov_b32 s10, 0x7f800001
	s_xor_b64 s[4:5], exec, -1
; %bb.3523:
	s_or_b64 exec, exec, s[8:9]
	s_and_b64 s[4:5], s[4:5], exec
	s_or_saveexec_b64 s[6:7], s[6:7]
	v_mov_b32_e32 v2, s10
	s_xor_b64 exec, exec, s[6:7]
	s_cbranch_execz .LBB47_1474
.LBB47_3524:
	v_mov_b32_e32 v2, 0
	v_cmp_ne_u16_sdwa s[8:9], v8, v2 src0_sel:BYTE_0 src1_sel:DWORD
	s_andn2_b64 s[4:5], s[4:5], exec
	s_and_b64 s[8:9], s[8:9], exec
	s_or_b64 s[4:5], s[4:5], s[8:9]
	s_or_b64 exec, exec, s[6:7]
	s_and_saveexec_b64 s[6:7], s[4:5]
	s_cbranch_execnz .LBB47_1475
	s_branch .LBB47_1476
.LBB47_3525:
	s_movk_i32 s4, 0x80
	v_cmp_eq_u16_sdwa s[12:13], v4, s4 src0_sel:BYTE_0 src1_sel:DWORD
	s_mov_b64 s[4:5], -1
                                        ; implicit-def: $sgpr10
	s_and_saveexec_b64 s[8:9], s[12:13]
; %bb.3526:
	s_mov_b32 s10, 0x7f800001
	s_xor_b64 s[4:5], exec, -1
; %bb.3527:
	s_or_b64 exec, exec, s[8:9]
	s_and_b64 s[4:5], s[4:5], exec
	s_or_saveexec_b64 s[6:7], s[6:7]
	v_mov_b32_e32 v3, s10
	s_xor_b64 exec, exec, s[6:7]
	s_cbranch_execz .LBB47_1478
.LBB47_3528:
	v_mov_b32_e32 v3, 0
	v_cmp_ne_u16_sdwa s[8:9], v4, v3 src0_sel:BYTE_0 src1_sel:DWORD
	s_andn2_b64 s[4:5], s[4:5], exec
	s_and_b64 s[8:9], s[8:9], exec
	s_or_b64 s[4:5], s[4:5], s[8:9]
	s_or_b64 exec, exec, s[6:7]
	s_and_saveexec_b64 s[6:7], s[4:5]
	s_cbranch_execnz .LBB47_1479
	s_branch .LBB47_1480
.LBB47_3529:
	s_movk_i32 s4, 0x80
	v_cmp_eq_u16_sdwa s[12:13], v3, s4 src0_sel:BYTE_0 src1_sel:DWORD
	s_mov_b64 s[4:5], -1
                                        ; implicit-def: $sgpr10
	s_and_saveexec_b64 s[8:9], s[12:13]
; %bb.3530:
	s_mov_b32 s10, 0x7f800001
	s_xor_b64 s[4:5], exec, -1
; %bb.3531:
	s_or_b64 exec, exec, s[8:9]
	s_and_b64 s[4:5], s[4:5], exec
	s_or_saveexec_b64 s[6:7], s[6:7]
	v_mov_b32_e32 v2, s10
	s_xor_b64 exec, exec, s[6:7]
	s_cbranch_execz .LBB47_1482
.LBB47_3532:
	v_mov_b32_e32 v2, 0
	v_cmp_ne_u16_sdwa s[8:9], v3, v2 src0_sel:BYTE_0 src1_sel:DWORD
	s_andn2_b64 s[4:5], s[4:5], exec
	s_and_b64 s[8:9], s[8:9], exec
	s_or_b64 s[4:5], s[4:5], s[8:9]
	s_or_b64 exec, exec, s[6:7]
	s_and_saveexec_b64 s[6:7], s[4:5]
	s_cbranch_execnz .LBB47_1483
	s_branch .LBB47_1484
.LBB47_3533:
	s_movk_i32 s4, 0x80
	v_cmp_eq_u16_sdwa s[12:13], v3, s4 src0_sel:BYTE_0 src1_sel:DWORD
	s_mov_b64 s[4:5], -1
                                        ; implicit-def: $sgpr10
	s_and_saveexec_b64 s[8:9], s[12:13]
; %bb.3534:
	s_mov_b32 s10, 0x7f800001
	s_xor_b64 s[4:5], exec, -1
; %bb.3535:
	s_or_b64 exec, exec, s[8:9]
	s_and_b64 s[4:5], s[4:5], exec
	s_or_saveexec_b64 s[6:7], s[6:7]
	v_mov_b32_e32 v6, s10
	s_xor_b64 exec, exec, s[6:7]
	s_cbranch_execz .LBB47_1486
.LBB47_3536:
	v_mov_b32_e32 v6, 0
	v_cmp_ne_u16_sdwa s[8:9], v3, v6 src0_sel:BYTE_0 src1_sel:DWORD
	s_andn2_b64 s[4:5], s[4:5], exec
	s_and_b64 s[8:9], s[8:9], exec
	s_or_b64 s[4:5], s[4:5], s[8:9]
	s_or_b64 exec, exec, s[6:7]
	s_and_saveexec_b64 s[6:7], s[4:5]
	s_cbranch_execnz .LBB47_1487
	s_branch .LBB47_1488
.LBB47_3537:
	s_movk_i32 s4, 0x80
	v_cmp_eq_u16_e32 vcc, s4, v3
	s_mov_b64 s[4:5], -1
                                        ; implicit-def: $sgpr10
	s_and_saveexec_b64 s[8:9], vcc
; %bb.3538:
	s_mov_b32 s10, 0x7f800001
	s_xor_b64 s[4:5], exec, -1
; %bb.3539:
	s_or_b64 exec, exec, s[8:9]
	s_and_b64 s[4:5], s[4:5], exec
                                        ; implicit-def: $vgpr3
	s_or_saveexec_b64 s[6:7], s[6:7]
	v_mov_b32_e32 v2, s10
	s_xor_b64 exec, exec, s[6:7]
	s_cbranch_execz .LBB47_1490
.LBB47_3540:
	v_cmp_ne_u16_e32 vcc, 0, v3
	s_andn2_b64 s[4:5], s[4:5], exec
	s_and_b64 s[8:9], vcc, exec
	v_mov_b32_e32 v2, 0
	s_or_b64 s[4:5], s[4:5], s[8:9]
	s_or_b64 exec, exec, s[6:7]
	s_and_saveexec_b64 s[6:7], s[4:5]
	s_cbranch_execnz .LBB47_1491
	s_branch .LBB47_1492
.LBB47_3541:
	s_movk_i32 s4, 0x80
	v_cmp_eq_u16_e32 vcc, s4, v3
	s_mov_b64 s[4:5], -1
                                        ; implicit-def: $sgpr10
	s_and_saveexec_b64 s[8:9], vcc
; %bb.3542:
	s_mov_b32 s10, 0x7f800001
	s_xor_b64 s[4:5], exec, -1
; %bb.3543:
	s_or_b64 exec, exec, s[8:9]
	s_and_b64 s[4:5], s[4:5], exec
                                        ; implicit-def: $vgpr3
	s_or_saveexec_b64 s[6:7], s[6:7]
	v_mov_b32_e32 v6, s10
	s_xor_b64 exec, exec, s[6:7]
	s_cbranch_execz .LBB47_1494
.LBB47_3544:
	v_cmp_ne_u16_e32 vcc, 0, v3
	s_andn2_b64 s[4:5], s[4:5], exec
	s_and_b64 s[8:9], vcc, exec
	v_mov_b32_e32 v6, 0
	s_or_b64 s[4:5], s[4:5], s[8:9]
	s_or_b64 exec, exec, s[6:7]
	s_and_saveexec_b64 s[6:7], s[4:5]
	s_cbranch_execnz .LBB47_1495
	s_branch .LBB47_1496
.LBB47_3545:
	s_movk_i32 s4, 0x80
	v_cmp_eq_u16_sdwa s[12:13], v8, s4 src0_sel:BYTE_3 src1_sel:DWORD
	s_mov_b64 s[4:5], -1
                                        ; implicit-def: $sgpr10
	s_and_saveexec_b64 s[8:9], s[12:13]
; %bb.3546:
	s_mov_b32 s10, 0x7f800001
	s_xor_b64 s[4:5], exec, -1
; %bb.3547:
	s_or_b64 exec, exec, s[8:9]
	s_and_b64 s[4:5], s[4:5], exec
	s_or_saveexec_b64 s[6:7], s[6:7]
	v_mov_b32_e32 v2, s10
	s_xor_b64 exec, exec, s[6:7]
	s_cbranch_execz .LBB47_1498
.LBB47_3548:
	v_mov_b32_e32 v2, 0
	v_cmp_ne_u16_sdwa s[8:9], v8, v2 src0_sel:BYTE_3 src1_sel:DWORD
	s_andn2_b64 s[4:5], s[4:5], exec
	s_and_b64 s[8:9], s[8:9], exec
	s_or_b64 s[4:5], s[4:5], s[8:9]
	s_or_b64 exec, exec, s[6:7]
	s_and_saveexec_b64 s[6:7], s[4:5]
	s_cbranch_execnz .LBB47_1499
	s_branch .LBB47_1500
.LBB47_3549:
	s_movk_i32 s4, 0x80
	v_cmp_eq_u16_sdwa s[12:13], v4, s4 src0_sel:BYTE_3 src1_sel:DWORD
	s_mov_b64 s[4:5], -1
                                        ; implicit-def: $sgpr10
	s_and_saveexec_b64 s[8:9], s[12:13]
; %bb.3550:
	s_mov_b32 s10, 0x7f800001
	s_xor_b64 s[4:5], exec, -1
; %bb.3551:
	s_or_b64 exec, exec, s[8:9]
	s_and_b64 s[4:5], s[4:5], exec
	s_or_saveexec_b64 s[6:7], s[6:7]
	v_mov_b32_e32 v3, s10
	s_xor_b64 exec, exec, s[6:7]
	s_cbranch_execz .LBB47_1502
.LBB47_3552:
	v_mov_b32_e32 v3, 0
	v_cmp_ne_u16_sdwa s[8:9], v4, v3 src0_sel:BYTE_3 src1_sel:DWORD
	s_andn2_b64 s[4:5], s[4:5], exec
	s_and_b64 s[8:9], s[8:9], exec
	s_or_b64 s[4:5], s[4:5], s[8:9]
	s_or_b64 exec, exec, s[6:7]
	s_and_saveexec_b64 s[6:7], s[4:5]
	s_cbranch_execnz .LBB47_1503
	s_branch .LBB47_1504
.LBB47_3553:
	s_movk_i32 s4, 0x80
	v_cmp_eq_u16_sdwa s[12:13], v9, s4 src0_sel:BYTE_0 src1_sel:DWORD
	s_mov_b64 s[4:5], -1
                                        ; implicit-def: $sgpr10
	s_and_saveexec_b64 s[8:9], s[12:13]
; %bb.3554:
	s_mov_b32 s10, 0x7f800001
	s_xor_b64 s[4:5], exec, -1
; %bb.3555:
	s_or_b64 exec, exec, s[8:9]
	s_and_b64 s[4:5], s[4:5], exec
	s_or_saveexec_b64 s[6:7], s[6:7]
	v_mov_b32_e32 v2, s10
	s_xor_b64 exec, exec, s[6:7]
	s_cbranch_execz .LBB47_1506
.LBB47_3556:
	v_mov_b32_e32 v2, 0
	v_cmp_ne_u16_sdwa s[8:9], v9, v2 src0_sel:BYTE_0 src1_sel:DWORD
	s_andn2_b64 s[4:5], s[4:5], exec
	s_and_b64 s[8:9], s[8:9], exec
	s_or_b64 s[4:5], s[4:5], s[8:9]
	s_or_b64 exec, exec, s[6:7]
	s_and_saveexec_b64 s[6:7], s[4:5]
	s_cbranch_execnz .LBB47_1507
	s_branch .LBB47_1508
.LBB47_3557:
	s_movk_i32 s4, 0x80
	v_cmp_eq_u16_sdwa s[12:13], v5, s4 src0_sel:BYTE_0 src1_sel:DWORD
	s_mov_b64 s[4:5], -1
                                        ; implicit-def: $sgpr10
	s_and_saveexec_b64 s[8:9], s[12:13]
; %bb.3558:
	s_mov_b32 s10, 0x7f800001
	s_xor_b64 s[4:5], exec, -1
; %bb.3559:
	s_or_b64 exec, exec, s[8:9]
	s_and_b64 s[4:5], s[4:5], exec
	s_or_saveexec_b64 s[6:7], s[6:7]
	v_mov_b32_e32 v3, s10
	s_xor_b64 exec, exec, s[6:7]
	s_cbranch_execz .LBB47_1510
.LBB47_3560:
	v_mov_b32_e32 v3, 0
	v_cmp_ne_u16_sdwa s[8:9], v5, v3 src0_sel:BYTE_0 src1_sel:DWORD
	s_andn2_b64 s[4:5], s[4:5], exec
	s_and_b64 s[8:9], s[8:9], exec
	s_or_b64 s[4:5], s[4:5], s[8:9]
	s_or_b64 exec, exec, s[6:7]
	s_and_saveexec_b64 s[6:7], s[4:5]
	s_cbranch_execnz .LBB47_1511
	s_branch .LBB47_1512
.LBB47_3561:
	s_movk_i32 s4, 0x80
	v_cmp_eq_u16_sdwa s[12:13], v3, s4 src0_sel:BYTE_0 src1_sel:DWORD
	s_mov_b64 s[4:5], -1
                                        ; implicit-def: $sgpr10
	s_and_saveexec_b64 s[8:9], s[12:13]
; %bb.3562:
	s_mov_b32 s10, 0x7f800001
	s_xor_b64 s[4:5], exec, -1
; %bb.3563:
	s_or_b64 exec, exec, s[8:9]
	s_and_b64 s[4:5], s[4:5], exec
	s_or_saveexec_b64 s[6:7], s[6:7]
	v_mov_b32_e32 v2, s10
	s_xor_b64 exec, exec, s[6:7]
	s_cbranch_execz .LBB47_1514
.LBB47_3564:
	v_mov_b32_e32 v2, 0
	v_cmp_ne_u16_sdwa s[8:9], v3, v2 src0_sel:BYTE_0 src1_sel:DWORD
	s_andn2_b64 s[4:5], s[4:5], exec
	s_and_b64 s[8:9], s[8:9], exec
	s_or_b64 s[4:5], s[4:5], s[8:9]
	s_or_b64 exec, exec, s[6:7]
	s_and_saveexec_b64 s[6:7], s[4:5]
	s_cbranch_execnz .LBB47_1515
	s_branch .LBB47_1516
.LBB47_3565:
	s_movk_i32 s4, 0x80
	v_cmp_eq_u16_sdwa s[12:13], v3, s4 src0_sel:BYTE_0 src1_sel:DWORD
	s_mov_b64 s[4:5], -1
                                        ; implicit-def: $sgpr10
	s_and_saveexec_b64 s[8:9], s[12:13]
; %bb.3566:
	s_mov_b32 s10, 0x7f800001
	s_xor_b64 s[4:5], exec, -1
; %bb.3567:
	s_or_b64 exec, exec, s[8:9]
	s_and_b64 s[4:5], s[4:5], exec
	s_or_saveexec_b64 s[6:7], s[6:7]
	v_mov_b32_e32 v4, s10
	s_xor_b64 exec, exec, s[6:7]
	s_cbranch_execz .LBB47_1518
.LBB47_3568:
	v_mov_b32_e32 v4, 0
	v_cmp_ne_u16_sdwa s[8:9], v3, v4 src0_sel:BYTE_0 src1_sel:DWORD
	s_andn2_b64 s[4:5], s[4:5], exec
	s_and_b64 s[8:9], s[8:9], exec
	s_or_b64 s[4:5], s[4:5], s[8:9]
	s_or_b64 exec, exec, s[6:7]
	s_and_saveexec_b64 s[6:7], s[4:5]
	s_cbranch_execnz .LBB47_1519
	s_branch .LBB47_1520
.LBB47_3569:
	s_movk_i32 s4, 0x80
	v_cmp_eq_u16_e32 vcc, s4, v3
	s_mov_b64 s[4:5], -1
                                        ; implicit-def: $sgpr10
	s_and_saveexec_b64 s[8:9], vcc
; %bb.3570:
	s_mov_b32 s10, 0x7f800001
	s_xor_b64 s[4:5], exec, -1
; %bb.3571:
	s_or_b64 exec, exec, s[8:9]
	s_and_b64 s[4:5], s[4:5], exec
                                        ; implicit-def: $vgpr3
	s_or_saveexec_b64 s[6:7], s[6:7]
	v_mov_b32_e32 v2, s10
	s_xor_b64 exec, exec, s[6:7]
	s_cbranch_execz .LBB47_1522
.LBB47_3572:
	v_cmp_ne_u16_e32 vcc, 0, v3
	s_andn2_b64 s[4:5], s[4:5], exec
	s_and_b64 s[8:9], vcc, exec
	v_mov_b32_e32 v2, 0
	s_or_b64 s[4:5], s[4:5], s[8:9]
	s_or_b64 exec, exec, s[6:7]
	s_and_saveexec_b64 s[6:7], s[4:5]
	s_cbranch_execnz .LBB47_1523
	s_branch .LBB47_1524
.LBB47_3573:
	s_movk_i32 s4, 0x80
	v_cmp_eq_u16_e32 vcc, s4, v3
	s_mov_b64 s[4:5], -1
                                        ; implicit-def: $sgpr10
	s_and_saveexec_b64 s[8:9], vcc
; %bb.3574:
	s_mov_b32 s10, 0x7f800001
	s_xor_b64 s[4:5], exec, -1
; %bb.3575:
	s_or_b64 exec, exec, s[8:9]
	s_and_b64 s[4:5], s[4:5], exec
                                        ; implicit-def: $vgpr3
	s_or_saveexec_b64 s[6:7], s[6:7]
	v_mov_b32_e32 v4, s10
	s_xor_b64 exec, exec, s[6:7]
	s_cbranch_execz .LBB47_1526
.LBB47_3576:
	v_cmp_ne_u16_e32 vcc, 0, v3
	s_andn2_b64 s[4:5], s[4:5], exec
	s_and_b64 s[8:9], vcc, exec
	v_mov_b32_e32 v4, 0
	s_or_b64 s[4:5], s[4:5], s[8:9]
	s_or_b64 exec, exec, s[6:7]
	s_and_saveexec_b64 s[6:7], s[4:5]
	s_cbranch_execnz .LBB47_1527
	s_branch .LBB47_1528
.LBB47_3577:
	s_movk_i32 s4, 0x80
	v_cmp_eq_u16_sdwa s[12:13], v9, s4 src0_sel:BYTE_3 src1_sel:DWORD
	s_mov_b64 s[4:5], -1
                                        ; implicit-def: $sgpr10
	s_and_saveexec_b64 s[8:9], s[12:13]
; %bb.3578:
	s_mov_b32 s10, 0x7f800001
	s_xor_b64 s[4:5], exec, -1
; %bb.3579:
	s_or_b64 exec, exec, s[8:9]
	s_and_b64 s[4:5], s[4:5], exec
	s_or_saveexec_b64 s[6:7], s[6:7]
	v_mov_b32_e32 v2, s10
	s_xor_b64 exec, exec, s[6:7]
	s_cbranch_execz .LBB47_1530
.LBB47_3580:
	v_mov_b32_e32 v2, 0
	v_cmp_ne_u16_sdwa s[8:9], v9, v2 src0_sel:BYTE_3 src1_sel:DWORD
	s_andn2_b64 s[4:5], s[4:5], exec
	s_and_b64 s[8:9], s[8:9], exec
	s_or_b64 s[4:5], s[4:5], s[8:9]
	s_or_b64 exec, exec, s[6:7]
	s_and_saveexec_b64 s[6:7], s[4:5]
	s_cbranch_execnz .LBB47_1531
	s_branch .LBB47_1532
.LBB47_3581:
	s_movk_i32 s4, 0x80
	v_cmp_eq_u16_sdwa s[12:13], v5, s4 src0_sel:BYTE_3 src1_sel:DWORD
	s_mov_b64 s[4:5], -1
                                        ; implicit-def: $sgpr10
	s_and_saveexec_b64 s[8:9], s[12:13]
; %bb.3582:
	s_mov_b32 s10, 0x7f800001
	s_xor_b64 s[4:5], exec, -1
; %bb.3583:
	s_or_b64 exec, exec, s[8:9]
	s_and_b64 s[4:5], s[4:5], exec
	s_or_saveexec_b64 s[6:7], s[6:7]
	v_mov_b32_e32 v3, s10
	s_xor_b64 exec, exec, s[6:7]
	s_cbranch_execz .LBB47_1534
.LBB47_3584:
	v_mov_b32_e32 v3, 0
	v_cmp_ne_u16_sdwa s[8:9], v5, v3 src0_sel:BYTE_3 src1_sel:DWORD
	s_andn2_b64 s[4:5], s[4:5], exec
	s_and_b64 s[8:9], s[8:9], exec
	s_or_b64 s[4:5], s[4:5], s[8:9]
	s_or_b64 exec, exec, s[6:7]
	s_and_saveexec_b64 s[6:7], s[4:5]
	s_cbranch_execnz .LBB47_1535
	s_branch .LBB47_1536
.LBB47_3585:
	s_movk_i32 s4, 0x80
	v_cmp_eq_u16_sdwa s[12:13], v14, s4 src0_sel:BYTE_0 src1_sel:DWORD
	s_mov_b64 s[4:5], -1
                                        ; implicit-def: $sgpr10
	s_and_saveexec_b64 s[8:9], s[12:13]
; %bb.3586:
	s_mov_b32 s10, 0x7f800001
	s_xor_b64 s[4:5], exec, -1
; %bb.3587:
	s_or_b64 exec, exec, s[8:9]
	s_and_b64 s[4:5], s[4:5], exec
	s_or_saveexec_b64 s[6:7], s[6:7]
	v_mov_b32_e32 v20, s10
	s_xor_b64 exec, exec, s[6:7]
	s_cbranch_execz .LBB47_1538
.LBB47_3588:
	v_mov_b32_e32 v20, 0
	v_cmp_ne_u16_sdwa s[8:9], v14, v20 src0_sel:BYTE_0 src1_sel:DWORD
	s_andn2_b64 s[4:5], s[4:5], exec
	s_and_b64 s[8:9], s[8:9], exec
	s_or_b64 s[4:5], s[4:5], s[8:9]
	s_or_b64 exec, exec, s[6:7]
	s_and_saveexec_b64 s[6:7], s[4:5]
	s_cbranch_execnz .LBB47_1539
	s_branch .LBB47_1540
.LBB47_3589:
	s_movk_i32 s4, 0x80
	v_cmp_eq_u16_sdwa s[12:13], v10, s4 src0_sel:BYTE_0 src1_sel:DWORD
	s_mov_b64 s[4:5], -1
                                        ; implicit-def: $sgpr10
	s_and_saveexec_b64 s[8:9], s[12:13]
; %bb.3590:
	s_mov_b32 s10, 0x7f800001
	s_xor_b64 s[4:5], exec, -1
; %bb.3591:
	s_or_b64 exec, exec, s[8:9]
	s_and_b64 s[4:5], s[4:5], exec
	s_or_saveexec_b64 s[6:7], s[6:7]
	v_mov_b32_e32 v21, s10
	s_xor_b64 exec, exec, s[6:7]
	s_cbranch_execz .LBB47_1542
.LBB47_3592:
	v_mov_b32_e32 v21, 0
	v_cmp_ne_u16_sdwa s[8:9], v10, v21 src0_sel:BYTE_0 src1_sel:DWORD
	s_andn2_b64 s[4:5], s[4:5], exec
	s_and_b64 s[8:9], s[8:9], exec
	s_or_b64 s[4:5], s[4:5], s[8:9]
	s_or_b64 exec, exec, s[6:7]
	s_and_saveexec_b64 s[6:7], s[4:5]
	s_cbranch_execnz .LBB47_1543
	s_branch .LBB47_1544
.LBB47_3593:
	s_movk_i32 s4, 0x80
	v_cmp_eq_u16_sdwa s[12:13], v21, s4 src0_sel:BYTE_0 src1_sel:DWORD
	s_mov_b64 s[4:5], -1
                                        ; implicit-def: $sgpr10
	s_and_saveexec_b64 s[8:9], s[12:13]
; %bb.3594:
	s_mov_b32 s10, 0x7f800001
	s_xor_b64 s[4:5], exec, -1
; %bb.3595:
	s_or_b64 exec, exec, s[8:9]
	s_and_b64 s[4:5], s[4:5], exec
	s_or_saveexec_b64 s[6:7], s[6:7]
	v_mov_b32_e32 v20, s10
	s_xor_b64 exec, exec, s[6:7]
	s_cbranch_execz .LBB47_1546
.LBB47_3596:
	v_mov_b32_e32 v20, 0
	v_cmp_ne_u16_sdwa s[8:9], v21, v20 src0_sel:BYTE_0 src1_sel:DWORD
	s_andn2_b64 s[4:5], s[4:5], exec
	s_and_b64 s[8:9], s[8:9], exec
	s_or_b64 s[4:5], s[4:5], s[8:9]
	s_or_b64 exec, exec, s[6:7]
	s_and_saveexec_b64 s[6:7], s[4:5]
	s_cbranch_execnz .LBB47_1547
	s_branch .LBB47_1548
.LBB47_3597:
	s_movk_i32 s4, 0x80
	v_cmp_eq_u16_sdwa s[12:13], v21, s4 src0_sel:BYTE_0 src1_sel:DWORD
	s_mov_b64 s[4:5], -1
                                        ; implicit-def: $sgpr10
	s_and_saveexec_b64 s[8:9], s[12:13]
; %bb.3598:
	s_mov_b32 s10, 0x7f800001
	s_xor_b64 s[4:5], exec, -1
; %bb.3599:
	s_or_b64 exec, exec, s[8:9]
	s_and_b64 s[4:5], s[4:5], exec
	s_or_saveexec_b64 s[6:7], s[6:7]
	v_mov_b32_e32 v22, s10
	s_xor_b64 exec, exec, s[6:7]
	s_cbranch_execz .LBB47_1550
.LBB47_3600:
	v_mov_b32_e32 v22, 0
	v_cmp_ne_u16_sdwa s[8:9], v21, v22 src0_sel:BYTE_0 src1_sel:DWORD
	s_andn2_b64 s[4:5], s[4:5], exec
	s_and_b64 s[8:9], s[8:9], exec
	s_or_b64 s[4:5], s[4:5], s[8:9]
	s_or_b64 exec, exec, s[6:7]
	s_and_saveexec_b64 s[6:7], s[4:5]
	s_cbranch_execnz .LBB47_1551
	s_branch .LBB47_1552
.LBB47_3601:
	s_movk_i32 s4, 0x80
	v_cmp_eq_u16_e32 vcc, s4, v21
	s_mov_b64 s[4:5], -1
                                        ; implicit-def: $sgpr10
	s_and_saveexec_b64 s[8:9], vcc
; %bb.3602:
	s_mov_b32 s10, 0x7f800001
	s_xor_b64 s[4:5], exec, -1
; %bb.3603:
	s_or_b64 exec, exec, s[8:9]
	s_and_b64 s[4:5], s[4:5], exec
                                        ; implicit-def: $vgpr21
	s_or_saveexec_b64 s[6:7], s[6:7]
	v_mov_b32_e32 v20, s10
	s_xor_b64 exec, exec, s[6:7]
	s_cbranch_execz .LBB47_1554
.LBB47_3604:
	v_cmp_ne_u16_e32 vcc, 0, v21
	s_andn2_b64 s[4:5], s[4:5], exec
	s_and_b64 s[8:9], vcc, exec
	v_mov_b32_e32 v20, 0
	s_or_b64 s[4:5], s[4:5], s[8:9]
	s_or_b64 exec, exec, s[6:7]
	s_and_saveexec_b64 s[6:7], s[4:5]
	s_cbranch_execnz .LBB47_1555
	s_branch .LBB47_1556
.LBB47_3605:
	s_movk_i32 s4, 0x80
	v_cmp_eq_u16_e32 vcc, s4, v21
	s_mov_b64 s[4:5], -1
                                        ; implicit-def: $sgpr10
	s_and_saveexec_b64 s[8:9], vcc
; %bb.3606:
	s_mov_b32 s10, 0x7f800001
	s_xor_b64 s[4:5], exec, -1
; %bb.3607:
	s_or_b64 exec, exec, s[8:9]
	s_and_b64 s[4:5], s[4:5], exec
                                        ; implicit-def: $vgpr21
	s_or_saveexec_b64 s[6:7], s[6:7]
	v_mov_b32_e32 v22, s10
	s_xor_b64 exec, exec, s[6:7]
	s_cbranch_execz .LBB47_1558
.LBB47_3608:
	v_cmp_ne_u16_e32 vcc, 0, v21
	s_andn2_b64 s[4:5], s[4:5], exec
	s_and_b64 s[8:9], vcc, exec
	v_mov_b32_e32 v22, 0
	s_or_b64 s[4:5], s[4:5], s[8:9]
	s_or_b64 exec, exec, s[6:7]
	s_and_saveexec_b64 s[6:7], s[4:5]
	s_cbranch_execnz .LBB47_1559
	s_branch .LBB47_1560
.LBB47_3609:
	s_movk_i32 s4, 0x80
	v_cmp_eq_u16_sdwa s[12:13], v14, s4 src0_sel:BYTE_3 src1_sel:DWORD
	s_mov_b64 s[4:5], -1
                                        ; implicit-def: $sgpr10
	s_and_saveexec_b64 s[8:9], s[12:13]
; %bb.3610:
	s_mov_b32 s10, 0x7f800001
	s_xor_b64 s[4:5], exec, -1
; %bb.3611:
	s_or_b64 exec, exec, s[8:9]
	s_and_b64 s[4:5], s[4:5], exec
	s_or_saveexec_b64 s[6:7], s[6:7]
	v_mov_b32_e32 v20, s10
	s_xor_b64 exec, exec, s[6:7]
	s_cbranch_execz .LBB47_1562
.LBB47_3612:
	v_mov_b32_e32 v20, 0
	v_cmp_ne_u16_sdwa s[8:9], v14, v20 src0_sel:BYTE_3 src1_sel:DWORD
	s_andn2_b64 s[4:5], s[4:5], exec
	s_and_b64 s[8:9], s[8:9], exec
	s_or_b64 s[4:5], s[4:5], s[8:9]
	s_or_b64 exec, exec, s[6:7]
	s_and_saveexec_b64 s[6:7], s[4:5]
	s_cbranch_execnz .LBB47_1563
	s_branch .LBB47_1564
.LBB47_3613:
	s_movk_i32 s4, 0x80
	v_cmp_eq_u16_sdwa s[12:13], v10, s4 src0_sel:BYTE_3 src1_sel:DWORD
	s_mov_b64 s[4:5], -1
                                        ; implicit-def: $sgpr10
	s_and_saveexec_b64 s[8:9], s[12:13]
; %bb.3614:
	s_mov_b32 s10, 0x7f800001
	s_xor_b64 s[4:5], exec, -1
; %bb.3615:
	s_or_b64 exec, exec, s[8:9]
	s_and_b64 s[4:5], s[4:5], exec
	s_or_saveexec_b64 s[6:7], s[6:7]
	v_mov_b32_e32 v14, s10
	s_xor_b64 exec, exec, s[6:7]
	s_cbranch_execz .LBB47_1566
.LBB47_3616:
	v_mov_b32_e32 v14, 0
	v_cmp_ne_u16_sdwa s[8:9], v10, v14 src0_sel:BYTE_3 src1_sel:DWORD
	s_andn2_b64 s[4:5], s[4:5], exec
	s_and_b64 s[8:9], s[8:9], exec
	s_or_b64 s[4:5], s[4:5], s[8:9]
	s_or_b64 exec, exec, s[6:7]
	s_and_saveexec_b64 s[6:7], s[4:5]
	s_cbranch_execnz .LBB47_1567
	s_branch .LBB47_1568
.LBB47_3617:
	s_movk_i32 s4, 0x80
	v_cmp_eq_u16_sdwa s[12:13], v15, s4 src0_sel:BYTE_0 src1_sel:DWORD
	s_mov_b64 s[4:5], -1
                                        ; implicit-def: $sgpr10
	s_and_saveexec_b64 s[8:9], s[12:13]
; %bb.3618:
	s_mov_b32 s10, 0x7f800001
	s_xor_b64 s[4:5], exec, -1
; %bb.3619:
	s_or_b64 exec, exec, s[8:9]
	s_and_b64 s[4:5], s[4:5], exec
	s_or_saveexec_b64 s[6:7], s[6:7]
	v_mov_b32_e32 v10, s10
	s_xor_b64 exec, exec, s[6:7]
	s_cbranch_execz .LBB47_1570
.LBB47_3620:
	v_mov_b32_e32 v10, 0
	v_cmp_ne_u16_sdwa s[8:9], v15, v10 src0_sel:BYTE_0 src1_sel:DWORD
	s_andn2_b64 s[4:5], s[4:5], exec
	s_and_b64 s[8:9], s[8:9], exec
	s_or_b64 s[4:5], s[4:5], s[8:9]
	s_or_b64 exec, exec, s[6:7]
	s_and_saveexec_b64 s[6:7], s[4:5]
	s_cbranch_execnz .LBB47_1571
	s_branch .LBB47_1572
.LBB47_3621:
	s_movk_i32 s4, 0x80
	v_cmp_eq_u16_sdwa s[12:13], v11, s4 src0_sel:BYTE_0 src1_sel:DWORD
	s_mov_b64 s[4:5], -1
                                        ; implicit-def: $sgpr10
	s_and_saveexec_b64 s[8:9], s[12:13]
; %bb.3622:
	s_mov_b32 s10, 0x7f800001
	s_xor_b64 s[4:5], exec, -1
; %bb.3623:
	s_or_b64 exec, exec, s[8:9]
	s_and_b64 s[4:5], s[4:5], exec
	s_or_saveexec_b64 s[6:7], s[6:7]
	v_mov_b32_e32 v14, s10
	s_xor_b64 exec, exec, s[6:7]
	s_cbranch_execz .LBB47_1574
.LBB47_3624:
	v_mov_b32_e32 v14, 0
	v_cmp_ne_u16_sdwa s[8:9], v11, v14 src0_sel:BYTE_0 src1_sel:DWORD
	s_andn2_b64 s[4:5], s[4:5], exec
	s_and_b64 s[8:9], s[8:9], exec
	s_or_b64 s[4:5], s[4:5], s[8:9]
	s_or_b64 exec, exec, s[6:7]
	s_and_saveexec_b64 s[6:7], s[4:5]
	s_cbranch_execnz .LBB47_1575
	s_branch .LBB47_1576
.LBB47_3625:
	s_movk_i32 s4, 0x80
	v_cmp_eq_u16_sdwa s[12:13], v14, s4 src0_sel:BYTE_0 src1_sel:DWORD
	s_mov_b64 s[4:5], -1
                                        ; implicit-def: $sgpr10
	s_and_saveexec_b64 s[8:9], s[12:13]
; %bb.3626:
	s_mov_b32 s10, 0x7f800001
	s_xor_b64 s[4:5], exec, -1
; %bb.3627:
	s_or_b64 exec, exec, s[8:9]
	s_and_b64 s[4:5], s[4:5], exec
	s_or_saveexec_b64 s[6:7], s[6:7]
	v_mov_b32_e32 v10, s10
	s_xor_b64 exec, exec, s[6:7]
	s_cbranch_execz .LBB47_1578
.LBB47_3628:
	v_mov_b32_e32 v10, 0
	v_cmp_ne_u16_sdwa s[8:9], v14, v10 src0_sel:BYTE_0 src1_sel:DWORD
	s_andn2_b64 s[4:5], s[4:5], exec
	s_and_b64 s[8:9], s[8:9], exec
	s_or_b64 s[4:5], s[4:5], s[8:9]
	s_or_b64 exec, exec, s[6:7]
	s_and_saveexec_b64 s[6:7], s[4:5]
	s_cbranch_execnz .LBB47_1579
	s_branch .LBB47_1580
.LBB47_3629:
	s_movk_i32 s4, 0x80
	v_cmp_eq_u16_sdwa s[12:13], v14, s4 src0_sel:BYTE_0 src1_sel:DWORD
	s_mov_b64 s[4:5], -1
                                        ; implicit-def: $sgpr10
	s_and_saveexec_b64 s[8:9], s[12:13]
; %bb.3630:
	s_mov_b32 s10, 0x7f800001
	s_xor_b64 s[4:5], exec, -1
; %bb.3631:
	s_or_b64 exec, exec, s[8:9]
	s_and_b64 s[4:5], s[4:5], exec
	s_or_saveexec_b64 s[6:7], s[6:7]
	v_mov_b32_e32 v20, s10
	s_xor_b64 exec, exec, s[6:7]
	s_cbranch_execz .LBB47_1582
.LBB47_3632:
	v_mov_b32_e32 v20, 0
	v_cmp_ne_u16_sdwa s[8:9], v14, v20 src0_sel:BYTE_0 src1_sel:DWORD
	s_andn2_b64 s[4:5], s[4:5], exec
	s_and_b64 s[8:9], s[8:9], exec
	s_or_b64 s[4:5], s[4:5], s[8:9]
	s_or_b64 exec, exec, s[6:7]
	s_and_saveexec_b64 s[6:7], s[4:5]
	s_cbranch_execnz .LBB47_1583
	s_branch .LBB47_1584
.LBB47_3633:
	s_movk_i32 s4, 0x80
	v_cmp_eq_u16_e32 vcc, s4, v14
	s_mov_b64 s[4:5], -1
                                        ; implicit-def: $sgpr10
	s_and_saveexec_b64 s[8:9], vcc
; %bb.3634:
	s_mov_b32 s10, 0x7f800001
	s_xor_b64 s[4:5], exec, -1
; %bb.3635:
	s_or_b64 exec, exec, s[8:9]
	s_and_b64 s[4:5], s[4:5], exec
                                        ; implicit-def: $vgpr14
	s_or_saveexec_b64 s[6:7], s[6:7]
	v_mov_b32_e32 v10, s10
	s_xor_b64 exec, exec, s[6:7]
	s_cbranch_execz .LBB47_1586
.LBB47_3636:
	v_cmp_ne_u16_e32 vcc, 0, v14
	s_andn2_b64 s[4:5], s[4:5], exec
	s_and_b64 s[8:9], vcc, exec
	v_mov_b32_e32 v10, 0
	s_or_b64 s[4:5], s[4:5], s[8:9]
	s_or_b64 exec, exec, s[6:7]
	s_and_saveexec_b64 s[6:7], s[4:5]
	s_cbranch_execnz .LBB47_1587
	s_branch .LBB47_1588
.LBB47_3637:
	s_movk_i32 s4, 0x80
	v_cmp_eq_u16_e32 vcc, s4, v14
	s_mov_b64 s[4:5], -1
                                        ; implicit-def: $sgpr10
	s_and_saveexec_b64 s[8:9], vcc
; %bb.3638:
	s_mov_b32 s10, 0x7f800001
	s_xor_b64 s[4:5], exec, -1
; %bb.3639:
	s_or_b64 exec, exec, s[8:9]
	s_and_b64 s[4:5], s[4:5], exec
                                        ; implicit-def: $vgpr14
	s_or_saveexec_b64 s[6:7], s[6:7]
	v_mov_b32_e32 v20, s10
	s_xor_b64 exec, exec, s[6:7]
	s_cbranch_execz .LBB47_1590
.LBB47_3640:
	v_cmp_ne_u16_e32 vcc, 0, v14
	s_andn2_b64 s[4:5], s[4:5], exec
	s_and_b64 s[8:9], vcc, exec
	v_mov_b32_e32 v20, 0
	s_or_b64 s[4:5], s[4:5], s[8:9]
	s_or_b64 exec, exec, s[6:7]
	s_and_saveexec_b64 s[6:7], s[4:5]
	s_cbranch_execnz .LBB47_1591
	s_branch .LBB47_1592
.LBB47_3641:
	s_movk_i32 s4, 0x80
	v_cmp_eq_u16_sdwa s[12:13], v15, s4 src0_sel:BYTE_3 src1_sel:DWORD
	s_mov_b64 s[4:5], -1
                                        ; implicit-def: $sgpr10
	s_and_saveexec_b64 s[8:9], s[12:13]
; %bb.3642:
	s_mov_b32 s10, 0x7f800001
	s_xor_b64 s[4:5], exec, -1
; %bb.3643:
	s_or_b64 exec, exec, s[8:9]
	s_and_b64 s[4:5], s[4:5], exec
	s_or_saveexec_b64 s[6:7], s[6:7]
	v_mov_b32_e32 v10, s10
	s_xor_b64 exec, exec, s[6:7]
	s_cbranch_execz .LBB47_1594
.LBB47_3644:
	v_mov_b32_e32 v10, 0
	v_cmp_ne_u16_sdwa s[8:9], v15, v10 src0_sel:BYTE_3 src1_sel:DWORD
	s_andn2_b64 s[4:5], s[4:5], exec
	s_and_b64 s[8:9], s[8:9], exec
	s_or_b64 s[4:5], s[4:5], s[8:9]
	s_or_b64 exec, exec, s[6:7]
	s_and_saveexec_b64 s[6:7], s[4:5]
	s_cbranch_execnz .LBB47_1595
	s_branch .LBB47_1596
.LBB47_3645:
	s_movk_i32 s4, 0x80
	v_cmp_eq_u16_sdwa s[12:13], v11, s4 src0_sel:BYTE_3 src1_sel:DWORD
	s_mov_b64 s[4:5], -1
                                        ; implicit-def: $sgpr10
	s_and_saveexec_b64 s[8:9], s[12:13]
; %bb.3646:
	s_mov_b32 s10, 0x7f800001
	s_xor_b64 s[4:5], exec, -1
; %bb.3647:
	s_or_b64 exec, exec, s[8:9]
	s_and_b64 s[4:5], s[4:5], exec
	s_or_saveexec_b64 s[6:7], s[6:7]
	v_mov_b32_e32 v14, s10
	s_xor_b64 exec, exec, s[6:7]
	s_cbranch_execz .LBB47_1598
.LBB47_3648:
	v_mov_b32_e32 v14, 0
	v_cmp_ne_u16_sdwa s[8:9], v11, v14 src0_sel:BYTE_3 src1_sel:DWORD
	s_andn2_b64 s[4:5], s[4:5], exec
	s_and_b64 s[8:9], s[8:9], exec
	s_or_b64 s[4:5], s[4:5], s[8:9]
	s_or_b64 exec, exec, s[6:7]
	s_and_saveexec_b64 s[6:7], s[4:5]
	s_cbranch_execnz .LBB47_1599
	s_branch .LBB47_1600
.LBB47_3649:
	s_movk_i32 s4, 0x80
	v_cmp_eq_u16_sdwa s[12:13], v16, s4 src0_sel:BYTE_0 src1_sel:DWORD
	s_mov_b64 s[4:5], -1
                                        ; implicit-def: $sgpr10
	s_and_saveexec_b64 s[8:9], s[12:13]
; %bb.3650:
	s_mov_b32 s10, 0x7f800001
	s_xor_b64 s[4:5], exec, -1
; %bb.3651:
	s_or_b64 exec, exec, s[8:9]
	s_and_b64 s[4:5], s[4:5], exec
	s_or_saveexec_b64 s[6:7], s[6:7]
	v_mov_b32_e32 v10, s10
	s_xor_b64 exec, exec, s[6:7]
	s_cbranch_execz .LBB47_1602
.LBB47_3652:
	v_mov_b32_e32 v10, 0
	v_cmp_ne_u16_sdwa s[8:9], v16, v10 src0_sel:BYTE_0 src1_sel:DWORD
	s_andn2_b64 s[4:5], s[4:5], exec
	s_and_b64 s[8:9], s[8:9], exec
	s_or_b64 s[4:5], s[4:5], s[8:9]
	s_or_b64 exec, exec, s[6:7]
	s_and_saveexec_b64 s[6:7], s[4:5]
	s_cbranch_execnz .LBB47_1603
	s_branch .LBB47_1604
.LBB47_3653:
	s_movk_i32 s4, 0x80
	v_cmp_eq_u16_sdwa s[12:13], v12, s4 src0_sel:BYTE_0 src1_sel:DWORD
	s_mov_b64 s[4:5], -1
                                        ; implicit-def: $sgpr10
	s_and_saveexec_b64 s[8:9], s[12:13]
; %bb.3654:
	s_mov_b32 s10, 0x7f800001
	s_xor_b64 s[4:5], exec, -1
; %bb.3655:
	s_or_b64 exec, exec, s[8:9]
	s_and_b64 s[4:5], s[4:5], exec
	s_or_saveexec_b64 s[6:7], s[6:7]
	v_mov_b32_e32 v11, s10
	s_xor_b64 exec, exec, s[6:7]
	s_cbranch_execz .LBB47_1606
.LBB47_3656:
	v_mov_b32_e32 v11, 0
	v_cmp_ne_u16_sdwa s[8:9], v12, v11 src0_sel:BYTE_0 src1_sel:DWORD
	s_andn2_b64 s[4:5], s[4:5], exec
	s_and_b64 s[8:9], s[8:9], exec
	s_or_b64 s[4:5], s[4:5], s[8:9]
	s_or_b64 exec, exec, s[6:7]
	s_and_saveexec_b64 s[6:7], s[4:5]
	s_cbranch_execnz .LBB47_1607
	s_branch .LBB47_1608
.LBB47_3657:
	s_movk_i32 s4, 0x80
	v_cmp_eq_u16_sdwa s[12:13], v11, s4 src0_sel:BYTE_0 src1_sel:DWORD
	s_mov_b64 s[4:5], -1
                                        ; implicit-def: $sgpr10
	s_and_saveexec_b64 s[8:9], s[12:13]
; %bb.3658:
	s_mov_b32 s10, 0x7f800001
	s_xor_b64 s[4:5], exec, -1
; %bb.3659:
	s_or_b64 exec, exec, s[8:9]
	s_and_b64 s[4:5], s[4:5], exec
	s_or_saveexec_b64 s[6:7], s[6:7]
	v_mov_b32_e32 v10, s10
	s_xor_b64 exec, exec, s[6:7]
	s_cbranch_execz .LBB47_1610
.LBB47_3660:
	v_mov_b32_e32 v10, 0
	v_cmp_ne_u16_sdwa s[8:9], v11, v10 src0_sel:BYTE_0 src1_sel:DWORD
	s_andn2_b64 s[4:5], s[4:5], exec
	s_and_b64 s[8:9], s[8:9], exec
	s_or_b64 s[4:5], s[4:5], s[8:9]
	s_or_b64 exec, exec, s[6:7]
	s_and_saveexec_b64 s[6:7], s[4:5]
	s_cbranch_execnz .LBB47_1611
	s_branch .LBB47_1612
.LBB47_3661:
	s_movk_i32 s4, 0x80
	v_cmp_eq_u16_sdwa s[12:13], v11, s4 src0_sel:BYTE_0 src1_sel:DWORD
	s_mov_b64 s[4:5], -1
                                        ; implicit-def: $sgpr10
	s_and_saveexec_b64 s[8:9], s[12:13]
; %bb.3662:
	s_mov_b32 s10, 0x7f800001
	s_xor_b64 s[4:5], exec, -1
; %bb.3663:
	s_or_b64 exec, exec, s[8:9]
	s_and_b64 s[4:5], s[4:5], exec
	s_or_saveexec_b64 s[6:7], s[6:7]
	v_mov_b32_e32 v14, s10
	s_xor_b64 exec, exec, s[6:7]
	s_cbranch_execz .LBB47_1614
.LBB47_3664:
	v_mov_b32_e32 v14, 0
	v_cmp_ne_u16_sdwa s[8:9], v11, v14 src0_sel:BYTE_0 src1_sel:DWORD
	s_andn2_b64 s[4:5], s[4:5], exec
	s_and_b64 s[8:9], s[8:9], exec
	s_or_b64 s[4:5], s[4:5], s[8:9]
	s_or_b64 exec, exec, s[6:7]
	s_and_saveexec_b64 s[6:7], s[4:5]
	s_cbranch_execnz .LBB47_1615
	s_branch .LBB47_1616
.LBB47_3665:
	s_movk_i32 s4, 0x80
	v_cmp_eq_u16_e32 vcc, s4, v11
	s_mov_b64 s[4:5], -1
                                        ; implicit-def: $sgpr10
	s_and_saveexec_b64 s[8:9], vcc
; %bb.3666:
	s_mov_b32 s10, 0x7f800001
	s_xor_b64 s[4:5], exec, -1
; %bb.3667:
	s_or_b64 exec, exec, s[8:9]
	s_and_b64 s[4:5], s[4:5], exec
                                        ; implicit-def: $vgpr11
	s_or_saveexec_b64 s[6:7], s[6:7]
	v_mov_b32_e32 v10, s10
	s_xor_b64 exec, exec, s[6:7]
	s_cbranch_execz .LBB47_1618
.LBB47_3668:
	v_cmp_ne_u16_e32 vcc, 0, v11
	s_andn2_b64 s[4:5], s[4:5], exec
	s_and_b64 s[8:9], vcc, exec
	v_mov_b32_e32 v10, 0
	s_or_b64 s[4:5], s[4:5], s[8:9]
	s_or_b64 exec, exec, s[6:7]
	s_and_saveexec_b64 s[6:7], s[4:5]
	s_cbranch_execnz .LBB47_1619
	s_branch .LBB47_1620
.LBB47_3669:
	s_movk_i32 s4, 0x80
	v_cmp_eq_u16_e32 vcc, s4, v11
	s_mov_b64 s[4:5], -1
                                        ; implicit-def: $sgpr10
	s_and_saveexec_b64 s[8:9], vcc
; %bb.3670:
	s_mov_b32 s10, 0x7f800001
	s_xor_b64 s[4:5], exec, -1
; %bb.3671:
	s_or_b64 exec, exec, s[8:9]
	s_and_b64 s[4:5], s[4:5], exec
                                        ; implicit-def: $vgpr11
	s_or_saveexec_b64 s[6:7], s[6:7]
	v_mov_b32_e32 v14, s10
	s_xor_b64 exec, exec, s[6:7]
	s_cbranch_execz .LBB47_1622
.LBB47_3672:
	v_cmp_ne_u16_e32 vcc, 0, v11
	s_andn2_b64 s[4:5], s[4:5], exec
	s_and_b64 s[8:9], vcc, exec
	v_mov_b32_e32 v14, 0
	s_or_b64 s[4:5], s[4:5], s[8:9]
	s_or_b64 exec, exec, s[6:7]
	s_and_saveexec_b64 s[6:7], s[4:5]
	s_cbranch_execnz .LBB47_1623
	s_branch .LBB47_1624
.LBB47_3673:
	s_movk_i32 s4, 0x80
	v_cmp_eq_u16_sdwa s[12:13], v16, s4 src0_sel:BYTE_3 src1_sel:DWORD
	s_mov_b64 s[4:5], -1
                                        ; implicit-def: $sgpr10
	s_and_saveexec_b64 s[8:9], s[12:13]
; %bb.3674:
	s_mov_b32 s10, 0x7f800001
	s_xor_b64 s[4:5], exec, -1
; %bb.3675:
	s_or_b64 exec, exec, s[8:9]
	s_and_b64 s[4:5], s[4:5], exec
	s_or_saveexec_b64 s[6:7], s[6:7]
	v_mov_b32_e32 v10, s10
	s_xor_b64 exec, exec, s[6:7]
	s_cbranch_execz .LBB47_1626
.LBB47_3676:
	v_mov_b32_e32 v10, 0
	v_cmp_ne_u16_sdwa s[8:9], v16, v10 src0_sel:BYTE_3 src1_sel:DWORD
	s_andn2_b64 s[4:5], s[4:5], exec
	s_and_b64 s[8:9], s[8:9], exec
	s_or_b64 s[4:5], s[4:5], s[8:9]
	s_or_b64 exec, exec, s[6:7]
	s_and_saveexec_b64 s[6:7], s[4:5]
	s_cbranch_execnz .LBB47_1627
	s_branch .LBB47_1628
.LBB47_3677:
	s_movk_i32 s4, 0x80
	v_cmp_eq_u16_sdwa s[12:13], v12, s4 src0_sel:BYTE_3 src1_sel:DWORD
	s_mov_b64 s[4:5], -1
                                        ; implicit-def: $sgpr10
	s_and_saveexec_b64 s[8:9], s[12:13]
; %bb.3678:
	s_mov_b32 s10, 0x7f800001
	s_xor_b64 s[4:5], exec, -1
; %bb.3679:
	s_or_b64 exec, exec, s[8:9]
	s_and_b64 s[4:5], s[4:5], exec
	s_or_saveexec_b64 s[6:7], s[6:7]
	v_mov_b32_e32 v11, s10
	s_xor_b64 exec, exec, s[6:7]
	s_cbranch_execz .LBB47_1630
.LBB47_3680:
	v_mov_b32_e32 v11, 0
	v_cmp_ne_u16_sdwa s[8:9], v12, v11 src0_sel:BYTE_3 src1_sel:DWORD
	s_andn2_b64 s[4:5], s[4:5], exec
	s_and_b64 s[8:9], s[8:9], exec
	s_or_b64 s[4:5], s[4:5], s[8:9]
	s_or_b64 exec, exec, s[6:7]
	s_and_saveexec_b64 s[6:7], s[4:5]
	s_cbranch_execnz .LBB47_1631
	s_branch .LBB47_1632
.LBB47_3681:
	s_movk_i32 s4, 0x80
	v_cmp_eq_u16_sdwa s[12:13], v17, s4 src0_sel:BYTE_0 src1_sel:DWORD
	s_mov_b64 s[4:5], -1
                                        ; implicit-def: $sgpr10
	s_and_saveexec_b64 s[8:9], s[12:13]
; %bb.3682:
	s_mov_b32 s10, 0x7f800001
	s_xor_b64 s[4:5], exec, -1
; %bb.3683:
	s_or_b64 exec, exec, s[8:9]
	s_and_b64 s[4:5], s[4:5], exec
	s_or_saveexec_b64 s[6:7], s[6:7]
	v_mov_b32_e32 v10, s10
	s_xor_b64 exec, exec, s[6:7]
	s_cbranch_execz .LBB47_1634
.LBB47_3684:
	v_mov_b32_e32 v10, 0
	v_cmp_ne_u16_sdwa s[8:9], v17, v10 src0_sel:BYTE_0 src1_sel:DWORD
	s_andn2_b64 s[4:5], s[4:5], exec
	s_and_b64 s[8:9], s[8:9], exec
	s_or_b64 s[4:5], s[4:5], s[8:9]
	s_or_b64 exec, exec, s[6:7]
	s_and_saveexec_b64 s[6:7], s[4:5]
	s_cbranch_execnz .LBB47_1635
	s_branch .LBB47_1636
.LBB47_3685:
	s_movk_i32 s4, 0x80
	v_cmp_eq_u16_sdwa s[12:13], v13, s4 src0_sel:BYTE_0 src1_sel:DWORD
	s_mov_b64 s[4:5], -1
                                        ; implicit-def: $sgpr10
	s_and_saveexec_b64 s[8:9], s[12:13]
; %bb.3686:
	s_mov_b32 s10, 0x7f800001
	s_xor_b64 s[4:5], exec, -1
; %bb.3687:
	s_or_b64 exec, exec, s[8:9]
	s_and_b64 s[4:5], s[4:5], exec
	s_or_saveexec_b64 s[6:7], s[6:7]
	v_mov_b32_e32 v11, s10
	s_xor_b64 exec, exec, s[6:7]
	s_cbranch_execz .LBB47_1638
.LBB47_3688:
	v_mov_b32_e32 v11, 0
	v_cmp_ne_u16_sdwa s[8:9], v13, v11 src0_sel:BYTE_0 src1_sel:DWORD
	s_andn2_b64 s[4:5], s[4:5], exec
	s_and_b64 s[8:9], s[8:9], exec
	s_or_b64 s[4:5], s[4:5], s[8:9]
	s_or_b64 exec, exec, s[6:7]
	s_and_saveexec_b64 s[6:7], s[4:5]
	s_cbranch_execnz .LBB47_1639
	s_branch .LBB47_1640
.LBB47_3689:
	s_movk_i32 s4, 0x80
	v_cmp_eq_u16_sdwa s[12:13], v11, s4 src0_sel:BYTE_0 src1_sel:DWORD
	s_mov_b64 s[4:5], -1
                                        ; implicit-def: $sgpr10
	s_and_saveexec_b64 s[8:9], s[12:13]
; %bb.3690:
	s_mov_b32 s10, 0x7f800001
	s_xor_b64 s[4:5], exec, -1
; %bb.3691:
	s_or_b64 exec, exec, s[8:9]
	s_and_b64 s[4:5], s[4:5], exec
	s_or_saveexec_b64 s[6:7], s[6:7]
	v_mov_b32_e32 v10, s10
	s_xor_b64 exec, exec, s[6:7]
	s_cbranch_execz .LBB47_1642
.LBB47_3692:
	v_mov_b32_e32 v10, 0
	v_cmp_ne_u16_sdwa s[8:9], v11, v10 src0_sel:BYTE_0 src1_sel:DWORD
	s_andn2_b64 s[4:5], s[4:5], exec
	s_and_b64 s[8:9], s[8:9], exec
	s_or_b64 s[4:5], s[4:5], s[8:9]
	s_or_b64 exec, exec, s[6:7]
	s_and_saveexec_b64 s[6:7], s[4:5]
	s_cbranch_execnz .LBB47_1643
	s_branch .LBB47_1644
.LBB47_3693:
	s_movk_i32 s4, 0x80
	v_cmp_eq_u16_sdwa s[12:13], v11, s4 src0_sel:BYTE_0 src1_sel:DWORD
	s_mov_b64 s[4:5], -1
                                        ; implicit-def: $sgpr10
	s_and_saveexec_b64 s[8:9], s[12:13]
; %bb.3694:
	s_mov_b32 s10, 0x7f800001
	s_xor_b64 s[4:5], exec, -1
; %bb.3695:
	s_or_b64 exec, exec, s[8:9]
	s_and_b64 s[4:5], s[4:5], exec
	s_or_saveexec_b64 s[6:7], s[6:7]
	v_mov_b32_e32 v12, s10
	s_xor_b64 exec, exec, s[6:7]
	s_cbranch_execz .LBB47_1646
.LBB47_3696:
	v_mov_b32_e32 v12, 0
	v_cmp_ne_u16_sdwa s[8:9], v11, v12 src0_sel:BYTE_0 src1_sel:DWORD
	s_andn2_b64 s[4:5], s[4:5], exec
	s_and_b64 s[8:9], s[8:9], exec
	s_or_b64 s[4:5], s[4:5], s[8:9]
	s_or_b64 exec, exec, s[6:7]
	s_and_saveexec_b64 s[6:7], s[4:5]
	s_cbranch_execnz .LBB47_1647
	s_branch .LBB47_1648
.LBB47_3697:
	s_movk_i32 s4, 0x80
	v_cmp_eq_u16_e32 vcc, s4, v11
	s_mov_b64 s[4:5], -1
                                        ; implicit-def: $sgpr10
	s_and_saveexec_b64 s[8:9], vcc
; %bb.3698:
	s_mov_b32 s10, 0x7f800001
	s_xor_b64 s[4:5], exec, -1
; %bb.3699:
	s_or_b64 exec, exec, s[8:9]
	s_and_b64 s[4:5], s[4:5], exec
                                        ; implicit-def: $vgpr11
	s_or_saveexec_b64 s[6:7], s[6:7]
	v_mov_b32_e32 v10, s10
	s_xor_b64 exec, exec, s[6:7]
	s_cbranch_execz .LBB47_1650
.LBB47_3700:
	v_cmp_ne_u16_e32 vcc, 0, v11
	s_andn2_b64 s[4:5], s[4:5], exec
	s_and_b64 s[8:9], vcc, exec
	v_mov_b32_e32 v10, 0
	s_or_b64 s[4:5], s[4:5], s[8:9]
	s_or_b64 exec, exec, s[6:7]
	s_and_saveexec_b64 s[6:7], s[4:5]
	s_cbranch_execnz .LBB47_1651
	s_branch .LBB47_1652
.LBB47_3701:
	s_movk_i32 s4, 0x80
	v_cmp_eq_u16_e32 vcc, s4, v11
	s_mov_b64 s[4:5], -1
                                        ; implicit-def: $sgpr10
	s_and_saveexec_b64 s[8:9], vcc
; %bb.3702:
	s_mov_b32 s10, 0x7f800001
	s_xor_b64 s[4:5], exec, -1
; %bb.3703:
	s_or_b64 exec, exec, s[8:9]
	s_and_b64 s[4:5], s[4:5], exec
                                        ; implicit-def: $vgpr11
	s_or_saveexec_b64 s[6:7], s[6:7]
	v_mov_b32_e32 v12, s10
	s_xor_b64 exec, exec, s[6:7]
	s_cbranch_execz .LBB47_1654
.LBB47_3704:
	v_cmp_ne_u16_e32 vcc, 0, v11
	s_andn2_b64 s[4:5], s[4:5], exec
	s_and_b64 s[8:9], vcc, exec
	v_mov_b32_e32 v12, 0
	s_or_b64 s[4:5], s[4:5], s[8:9]
	s_or_b64 exec, exec, s[6:7]
	s_and_saveexec_b64 s[6:7], s[4:5]
	s_cbranch_execnz .LBB47_1655
	s_branch .LBB47_1656
.LBB47_3705:
	s_movk_i32 s4, 0x80
	v_cmp_eq_u16_sdwa s[12:13], v17, s4 src0_sel:BYTE_3 src1_sel:DWORD
	s_mov_b64 s[4:5], -1
                                        ; implicit-def: $sgpr10
	s_and_saveexec_b64 s[8:9], s[12:13]
; %bb.3706:
	s_mov_b32 s10, 0x7f800001
	s_xor_b64 s[4:5], exec, -1
; %bb.3707:
	s_or_b64 exec, exec, s[8:9]
	s_and_b64 s[4:5], s[4:5], exec
	s_or_saveexec_b64 s[6:7], s[6:7]
	v_mov_b32_e32 v10, s10
	s_xor_b64 exec, exec, s[6:7]
	s_cbranch_execz .LBB47_1658
.LBB47_3708:
	v_mov_b32_e32 v10, 0
	v_cmp_ne_u16_sdwa s[8:9], v17, v10 src0_sel:BYTE_3 src1_sel:DWORD
	s_andn2_b64 s[4:5], s[4:5], exec
	s_and_b64 s[8:9], s[8:9], exec
	s_or_b64 s[4:5], s[4:5], s[8:9]
	s_or_b64 exec, exec, s[6:7]
	s_and_saveexec_b64 s[6:7], s[4:5]
	s_cbranch_execnz .LBB47_1659
	s_branch .LBB47_1660
.LBB47_3709:
	s_movk_i32 s4, 0x80
	v_cmp_eq_u16_sdwa s[12:13], v13, s4 src0_sel:BYTE_3 src1_sel:DWORD
	s_mov_b64 s[4:5], -1
                                        ; implicit-def: $sgpr10
	s_and_saveexec_b64 s[8:9], s[12:13]
; %bb.3710:
	s_mov_b32 s10, 0x7f800001
	s_xor_b64 s[4:5], exec, -1
; %bb.3711:
	s_or_b64 exec, exec, s[8:9]
	s_and_b64 s[4:5], s[4:5], exec
	s_or_saveexec_b64 s[6:7], s[6:7]
	v_mov_b32_e32 v11, s10
	s_xor_b64 exec, exec, s[6:7]
	s_cbranch_execz .LBB47_1662
.LBB47_3712:
	v_mov_b32_e32 v11, 0
	v_cmp_ne_u16_sdwa s[8:9], v13, v11 src0_sel:BYTE_3 src1_sel:DWORD
	s_andn2_b64 s[4:5], s[4:5], exec
	s_and_b64 s[8:9], s[8:9], exec
	s_or_b64 s[4:5], s[4:5], s[8:9]
	s_or_b64 exec, exec, s[6:7]
	s_and_saveexec_b64 s[6:7], s[4:5]
	s_cbranch_execnz .LBB47_1663
	s_branch .LBB47_1664
.LBB47_3713:
	s_movk_i32 s4, 0x80
	v_cmp_eq_u16_sdwa s[12:13], v6, s4 src0_sel:BYTE_0 src1_sel:DWORD
	s_mov_b64 s[4:5], -1
                                        ; implicit-def: $sgpr10
	s_and_saveexec_b64 s[8:9], s[12:13]
; %bb.3714:
	s_mov_b32 s10, 0x7f800001
	s_xor_b64 s[4:5], exec, -1
; %bb.3715:
	s_or_b64 exec, exec, s[8:9]
	s_and_b64 s[4:5], s[4:5], exec
	s_or_saveexec_b64 s[6:7], s[6:7]
	v_mov_b32_e32 v10, s10
	s_xor_b64 exec, exec, s[6:7]
	s_cbranch_execz .LBB47_1666
.LBB47_3716:
	v_mov_b32_e32 v10, 0
	v_cmp_ne_u16_sdwa s[8:9], v6, v10 src0_sel:BYTE_0 src1_sel:DWORD
	s_andn2_b64 s[4:5], s[4:5], exec
	s_and_b64 s[8:9], s[8:9], exec
	s_or_b64 s[4:5], s[4:5], s[8:9]
	s_or_b64 exec, exec, s[6:7]
	s_and_saveexec_b64 s[6:7], s[4:5]
	s_cbranch_execnz .LBB47_1667
	s_branch .LBB47_1668
.LBB47_3717:
	s_movk_i32 s4, 0x80
	v_cmp_eq_u16_sdwa s[12:13], v2, s4 src0_sel:BYTE_0 src1_sel:DWORD
	s_mov_b64 s[4:5], -1
                                        ; implicit-def: $sgpr10
	s_and_saveexec_b64 s[8:9], s[12:13]
; %bb.3718:
	s_mov_b32 s10, 0x7f800001
	s_xor_b64 s[4:5], exec, -1
; %bb.3719:
	s_or_b64 exec, exec, s[8:9]
	s_and_b64 s[4:5], s[4:5], exec
	s_or_saveexec_b64 s[6:7], s[6:7]
	v_mov_b32_e32 v11, s10
	s_xor_b64 exec, exec, s[6:7]
	s_cbranch_execz .LBB47_1670
.LBB47_3720:
	v_mov_b32_e32 v11, 0
	v_cmp_ne_u16_sdwa s[8:9], v2, v11 src0_sel:BYTE_0 src1_sel:DWORD
	s_andn2_b64 s[4:5], s[4:5], exec
	s_and_b64 s[8:9], s[8:9], exec
	s_or_b64 s[4:5], s[4:5], s[8:9]
	s_or_b64 exec, exec, s[6:7]
	s_and_saveexec_b64 s[6:7], s[4:5]
	s_cbranch_execnz .LBB47_1671
	s_branch .LBB47_1672
.LBB47_3721:
	s_movk_i32 s4, 0x80
	v_cmp_eq_u16_sdwa s[12:13], v11, s4 src0_sel:BYTE_0 src1_sel:DWORD
	s_mov_b64 s[4:5], -1
                                        ; implicit-def: $sgpr10
	s_and_saveexec_b64 s[8:9], s[12:13]
; %bb.3722:
	s_mov_b32 s10, 0x7f800001
	s_xor_b64 s[4:5], exec, -1
; %bb.3723:
	s_or_b64 exec, exec, s[8:9]
	s_and_b64 s[4:5], s[4:5], exec
	s_or_saveexec_b64 s[6:7], s[6:7]
	v_mov_b32_e32 v10, s10
	s_xor_b64 exec, exec, s[6:7]
	s_cbranch_execz .LBB47_1674
.LBB47_3724:
	v_mov_b32_e32 v10, 0
	v_cmp_ne_u16_sdwa s[8:9], v11, v10 src0_sel:BYTE_0 src1_sel:DWORD
	s_andn2_b64 s[4:5], s[4:5], exec
	s_and_b64 s[8:9], s[8:9], exec
	s_or_b64 s[4:5], s[4:5], s[8:9]
	s_or_b64 exec, exec, s[6:7]
	s_and_saveexec_b64 s[6:7], s[4:5]
	s_cbranch_execnz .LBB47_1675
	s_branch .LBB47_1676
.LBB47_3725:
	s_movk_i32 s4, 0x80
	v_cmp_eq_u16_sdwa s[12:13], v11, s4 src0_sel:BYTE_0 src1_sel:DWORD
	s_mov_b64 s[4:5], -1
                                        ; implicit-def: $sgpr10
	s_and_saveexec_b64 s[8:9], s[12:13]
; %bb.3726:
	s_mov_b32 s10, 0x7f800001
	s_xor_b64 s[4:5], exec, -1
; %bb.3727:
	s_or_b64 exec, exec, s[8:9]
	s_and_b64 s[4:5], s[4:5], exec
	s_or_saveexec_b64 s[6:7], s[6:7]
	v_mov_b32_e32 v12, s10
	s_xor_b64 exec, exec, s[6:7]
	s_cbranch_execz .LBB47_1678
.LBB47_3728:
	v_mov_b32_e32 v12, 0
	v_cmp_ne_u16_sdwa s[8:9], v11, v12 src0_sel:BYTE_0 src1_sel:DWORD
	s_andn2_b64 s[4:5], s[4:5], exec
	s_and_b64 s[8:9], s[8:9], exec
	s_or_b64 s[4:5], s[4:5], s[8:9]
	s_or_b64 exec, exec, s[6:7]
	s_and_saveexec_b64 s[6:7], s[4:5]
	s_cbranch_execnz .LBB47_1679
	s_branch .LBB47_1680
.LBB47_3729:
	s_movk_i32 s4, 0x80
	v_cmp_eq_u16_e32 vcc, s4, v11
	s_mov_b64 s[4:5], -1
                                        ; implicit-def: $sgpr10
	s_and_saveexec_b64 s[8:9], vcc
; %bb.3730:
	s_mov_b32 s10, 0x7f800001
	s_xor_b64 s[4:5], exec, -1
; %bb.3731:
	s_or_b64 exec, exec, s[8:9]
	s_and_b64 s[4:5], s[4:5], exec
                                        ; implicit-def: $vgpr11
	s_or_saveexec_b64 s[6:7], s[6:7]
	v_mov_b32_e32 v10, s10
	s_xor_b64 exec, exec, s[6:7]
	s_cbranch_execz .LBB47_1682
.LBB47_3732:
	v_cmp_ne_u16_e32 vcc, 0, v11
	s_andn2_b64 s[4:5], s[4:5], exec
	s_and_b64 s[8:9], vcc, exec
	v_mov_b32_e32 v10, 0
	s_or_b64 s[4:5], s[4:5], s[8:9]
	s_or_b64 exec, exec, s[6:7]
	s_and_saveexec_b64 s[6:7], s[4:5]
	s_cbranch_execnz .LBB47_1683
	s_branch .LBB47_1684
.LBB47_3733:
	s_movk_i32 s4, 0x80
	v_cmp_eq_u16_e32 vcc, s4, v11
	s_mov_b64 s[4:5], -1
                                        ; implicit-def: $sgpr10
	s_and_saveexec_b64 s[8:9], vcc
; %bb.3734:
	s_mov_b32 s10, 0x7f800001
	s_xor_b64 s[4:5], exec, -1
; %bb.3735:
	s_or_b64 exec, exec, s[8:9]
	s_and_b64 s[4:5], s[4:5], exec
                                        ; implicit-def: $vgpr11
	s_or_saveexec_b64 s[6:7], s[6:7]
	v_mov_b32_e32 v12, s10
	s_xor_b64 exec, exec, s[6:7]
	s_cbranch_execz .LBB47_1686
.LBB47_3736:
	v_cmp_ne_u16_e32 vcc, 0, v11
	s_andn2_b64 s[4:5], s[4:5], exec
	s_and_b64 s[8:9], vcc, exec
	v_mov_b32_e32 v12, 0
	s_or_b64 s[4:5], s[4:5], s[8:9]
	s_or_b64 exec, exec, s[6:7]
	s_and_saveexec_b64 s[6:7], s[4:5]
	s_cbranch_execnz .LBB47_1687
	s_branch .LBB47_1688
.LBB47_3737:
	s_movk_i32 s4, 0x80
	v_cmp_eq_u16_sdwa s[12:13], v6, s4 src0_sel:BYTE_3 src1_sel:DWORD
	s_mov_b64 s[4:5], -1
                                        ; implicit-def: $sgpr10
	s_and_saveexec_b64 s[8:9], s[12:13]
; %bb.3738:
	s_mov_b32 s10, 0x7f800001
	s_xor_b64 s[4:5], exec, -1
; %bb.3739:
	s_or_b64 exec, exec, s[8:9]
	s_and_b64 s[4:5], s[4:5], exec
	s_or_saveexec_b64 s[6:7], s[6:7]
	v_mov_b32_e32 v10, s10
	s_xor_b64 exec, exec, s[6:7]
	s_cbranch_execz .LBB47_1690
.LBB47_3740:
	v_mov_b32_e32 v10, 0
	v_cmp_ne_u16_sdwa s[8:9], v6, v10 src0_sel:BYTE_3 src1_sel:DWORD
	s_andn2_b64 s[4:5], s[4:5], exec
	s_and_b64 s[8:9], s[8:9], exec
	s_or_b64 s[4:5], s[4:5], s[8:9]
	s_or_b64 exec, exec, s[6:7]
	s_and_saveexec_b64 s[6:7], s[4:5]
	s_cbranch_execnz .LBB47_1691
	s_branch .LBB47_1692
.LBB47_3741:
	s_movk_i32 s4, 0x80
	v_cmp_eq_u16_sdwa s[12:13], v2, s4 src0_sel:BYTE_3 src1_sel:DWORD
	s_mov_b64 s[4:5], -1
                                        ; implicit-def: $sgpr10
	s_and_saveexec_b64 s[8:9], s[12:13]
; %bb.3742:
	s_mov_b32 s10, 0x7f800001
	s_xor_b64 s[4:5], exec, -1
; %bb.3743:
	s_or_b64 exec, exec, s[8:9]
	s_and_b64 s[4:5], s[4:5], exec
	s_or_saveexec_b64 s[6:7], s[6:7]
	v_mov_b32_e32 v6, s10
	s_xor_b64 exec, exec, s[6:7]
	s_cbranch_execz .LBB47_1694
.LBB47_3744:
	v_mov_b32_e32 v6, 0
	v_cmp_ne_u16_sdwa s[8:9], v2, v6 src0_sel:BYTE_3 src1_sel:DWORD
	s_andn2_b64 s[4:5], s[4:5], exec
	s_and_b64 s[8:9], s[8:9], exec
	s_or_b64 s[4:5], s[4:5], s[8:9]
	s_or_b64 exec, exec, s[6:7]
	s_and_saveexec_b64 s[6:7], s[4:5]
	s_cbranch_execnz .LBB47_1695
	s_branch .LBB47_1696
.LBB47_3745:
	s_movk_i32 s4, 0x80
	v_cmp_eq_u16_sdwa s[12:13], v7, s4 src0_sel:BYTE_0 src1_sel:DWORD
	s_mov_b64 s[4:5], -1
                                        ; implicit-def: $sgpr10
	s_and_saveexec_b64 s[8:9], s[12:13]
; %bb.3746:
	s_mov_b32 s10, 0x7f800001
	s_xor_b64 s[4:5], exec, -1
; %bb.3747:
	s_or_b64 exec, exec, s[8:9]
	s_and_b64 s[4:5], s[4:5], exec
	s_or_saveexec_b64 s[6:7], s[6:7]
	v_mov_b32_e32 v2, s10
	s_xor_b64 exec, exec, s[6:7]
	s_cbranch_execz .LBB47_1698
.LBB47_3748:
	v_mov_b32_e32 v2, 0
	v_cmp_ne_u16_sdwa s[8:9], v7, v2 src0_sel:BYTE_0 src1_sel:DWORD
	s_andn2_b64 s[4:5], s[4:5], exec
	s_and_b64 s[8:9], s[8:9], exec
	s_or_b64 s[4:5], s[4:5], s[8:9]
	s_or_b64 exec, exec, s[6:7]
	s_and_saveexec_b64 s[6:7], s[4:5]
	s_cbranch_execnz .LBB47_1699
	s_branch .LBB47_1700
.LBB47_3749:
	s_movk_i32 s4, 0x80
	v_cmp_eq_u16_sdwa s[12:13], v3, s4 src0_sel:BYTE_0 src1_sel:DWORD
	s_mov_b64 s[4:5], -1
                                        ; implicit-def: $sgpr10
	s_and_saveexec_b64 s[8:9], s[12:13]
; %bb.3750:
	s_mov_b32 s10, 0x7f800001
	s_xor_b64 s[4:5], exec, -1
; %bb.3751:
	s_or_b64 exec, exec, s[8:9]
	s_and_b64 s[4:5], s[4:5], exec
	s_or_saveexec_b64 s[6:7], s[6:7]
	v_mov_b32_e32 v6, s10
	s_xor_b64 exec, exec, s[6:7]
	s_cbranch_execz .LBB47_1702
.LBB47_3752:
	v_mov_b32_e32 v6, 0
	v_cmp_ne_u16_sdwa s[8:9], v3, v6 src0_sel:BYTE_0 src1_sel:DWORD
	s_andn2_b64 s[4:5], s[4:5], exec
	s_and_b64 s[8:9], s[8:9], exec
	s_or_b64 s[4:5], s[4:5], s[8:9]
	s_or_b64 exec, exec, s[6:7]
	s_and_saveexec_b64 s[6:7], s[4:5]
	s_cbranch_execnz .LBB47_1703
	s_branch .LBB47_1704
.LBB47_3753:
	s_movk_i32 s4, 0x80
	v_cmp_eq_u16_sdwa s[12:13], v6, s4 src0_sel:BYTE_0 src1_sel:DWORD
	s_mov_b64 s[4:5], -1
                                        ; implicit-def: $sgpr10
	s_and_saveexec_b64 s[8:9], s[12:13]
; %bb.3754:
	s_mov_b32 s10, 0x7f800001
	s_xor_b64 s[4:5], exec, -1
; %bb.3755:
	s_or_b64 exec, exec, s[8:9]
	s_and_b64 s[4:5], s[4:5], exec
	s_or_saveexec_b64 s[6:7], s[6:7]
	v_mov_b32_e32 v2, s10
	s_xor_b64 exec, exec, s[6:7]
	s_cbranch_execz .LBB47_1706
.LBB47_3756:
	v_mov_b32_e32 v2, 0
	v_cmp_ne_u16_sdwa s[8:9], v6, v2 src0_sel:BYTE_0 src1_sel:DWORD
	s_andn2_b64 s[4:5], s[4:5], exec
	s_and_b64 s[8:9], s[8:9], exec
	s_or_b64 s[4:5], s[4:5], s[8:9]
	s_or_b64 exec, exec, s[6:7]
	s_and_saveexec_b64 s[6:7], s[4:5]
	s_cbranch_execnz .LBB47_1707
	s_branch .LBB47_1708
.LBB47_3757:
	s_movk_i32 s4, 0x80
	v_cmp_eq_u16_sdwa s[12:13], v6, s4 src0_sel:BYTE_0 src1_sel:DWORD
	s_mov_b64 s[4:5], -1
                                        ; implicit-def: $sgpr10
	s_and_saveexec_b64 s[8:9], s[12:13]
; %bb.3758:
	s_mov_b32 s10, 0x7f800001
	s_xor_b64 s[4:5], exec, -1
; %bb.3759:
	s_or_b64 exec, exec, s[8:9]
	s_and_b64 s[4:5], s[4:5], exec
	s_or_saveexec_b64 s[6:7], s[6:7]
	v_mov_b32_e32 v10, s10
	s_xor_b64 exec, exec, s[6:7]
	s_cbranch_execz .LBB47_1710
.LBB47_3760:
	v_mov_b32_e32 v10, 0
	v_cmp_ne_u16_sdwa s[8:9], v6, v10 src0_sel:BYTE_0 src1_sel:DWORD
	s_andn2_b64 s[4:5], s[4:5], exec
	s_and_b64 s[8:9], s[8:9], exec
	s_or_b64 s[4:5], s[4:5], s[8:9]
	s_or_b64 exec, exec, s[6:7]
	s_and_saveexec_b64 s[6:7], s[4:5]
	s_cbranch_execnz .LBB47_1711
	s_branch .LBB47_1712
.LBB47_3761:
	s_movk_i32 s4, 0x80
	v_cmp_eq_u16_e32 vcc, s4, v6
	s_mov_b64 s[4:5], -1
                                        ; implicit-def: $sgpr10
	s_and_saveexec_b64 s[8:9], vcc
; %bb.3762:
	s_mov_b32 s10, 0x7f800001
	s_xor_b64 s[4:5], exec, -1
; %bb.3763:
	s_or_b64 exec, exec, s[8:9]
	s_and_b64 s[4:5], s[4:5], exec
                                        ; implicit-def: $vgpr6
	s_or_saveexec_b64 s[6:7], s[6:7]
	v_mov_b32_e32 v2, s10
	s_xor_b64 exec, exec, s[6:7]
	s_cbranch_execz .LBB47_1714
.LBB47_3764:
	v_cmp_ne_u16_e32 vcc, 0, v6
	s_andn2_b64 s[4:5], s[4:5], exec
	s_and_b64 s[8:9], vcc, exec
	v_mov_b32_e32 v2, 0
	s_or_b64 s[4:5], s[4:5], s[8:9]
	s_or_b64 exec, exec, s[6:7]
	s_and_saveexec_b64 s[6:7], s[4:5]
	s_cbranch_execnz .LBB47_1715
	s_branch .LBB47_1716
.LBB47_3765:
	s_movk_i32 s4, 0x80
	v_cmp_eq_u16_e32 vcc, s4, v6
	s_mov_b64 s[4:5], -1
                                        ; implicit-def: $sgpr10
	s_and_saveexec_b64 s[8:9], vcc
; %bb.3766:
	s_mov_b32 s10, 0x7f800001
	s_xor_b64 s[4:5], exec, -1
; %bb.3767:
	s_or_b64 exec, exec, s[8:9]
	s_and_b64 s[4:5], s[4:5], exec
                                        ; implicit-def: $vgpr6
	s_or_saveexec_b64 s[6:7], s[6:7]
	v_mov_b32_e32 v10, s10
	s_xor_b64 exec, exec, s[6:7]
	s_cbranch_execz .LBB47_1718
.LBB47_3768:
	v_cmp_ne_u16_e32 vcc, 0, v6
	s_andn2_b64 s[4:5], s[4:5], exec
	s_and_b64 s[8:9], vcc, exec
	v_mov_b32_e32 v10, 0
	s_or_b64 s[4:5], s[4:5], s[8:9]
	s_or_b64 exec, exec, s[6:7]
	s_and_saveexec_b64 s[6:7], s[4:5]
	s_cbranch_execnz .LBB47_1719
	s_branch .LBB47_1720
.LBB47_3769:
	s_movk_i32 s4, 0x80
	v_cmp_eq_u16_sdwa s[12:13], v7, s4 src0_sel:BYTE_3 src1_sel:DWORD
	s_mov_b64 s[4:5], -1
                                        ; implicit-def: $sgpr10
	s_and_saveexec_b64 s[8:9], s[12:13]
; %bb.3770:
	s_mov_b32 s10, 0x7f800001
	s_xor_b64 s[4:5], exec, -1
; %bb.3771:
	s_or_b64 exec, exec, s[8:9]
	s_and_b64 s[4:5], s[4:5], exec
	s_or_saveexec_b64 s[6:7], s[6:7]
	v_mov_b32_e32 v2, s10
	s_xor_b64 exec, exec, s[6:7]
	s_cbranch_execz .LBB47_1722
.LBB47_3772:
	v_mov_b32_e32 v2, 0
	v_cmp_ne_u16_sdwa s[8:9], v7, v2 src0_sel:BYTE_3 src1_sel:DWORD
	s_andn2_b64 s[4:5], s[4:5], exec
	s_and_b64 s[8:9], s[8:9], exec
	s_or_b64 s[4:5], s[4:5], s[8:9]
	s_or_b64 exec, exec, s[6:7]
	s_and_saveexec_b64 s[6:7], s[4:5]
	s_cbranch_execnz .LBB47_1723
	s_branch .LBB47_1724
.LBB47_3773:
	s_movk_i32 s4, 0x80
	v_cmp_eq_u16_sdwa s[12:13], v3, s4 src0_sel:BYTE_3 src1_sel:DWORD
	s_mov_b64 s[4:5], -1
                                        ; implicit-def: $sgpr10
	s_and_saveexec_b64 s[8:9], s[12:13]
; %bb.3774:
	s_mov_b32 s10, 0x7f800001
	s_xor_b64 s[4:5], exec, -1
; %bb.3775:
	s_or_b64 exec, exec, s[8:9]
	s_and_b64 s[4:5], s[4:5], exec
	s_or_saveexec_b64 s[6:7], s[6:7]
	v_mov_b32_e32 v6, s10
	s_xor_b64 exec, exec, s[6:7]
	s_cbranch_execz .LBB47_1726
.LBB47_3776:
	v_mov_b32_e32 v6, 0
	v_cmp_ne_u16_sdwa s[8:9], v3, v6 src0_sel:BYTE_3 src1_sel:DWORD
	s_andn2_b64 s[4:5], s[4:5], exec
	s_and_b64 s[8:9], s[8:9], exec
	s_or_b64 s[4:5], s[4:5], s[8:9]
	s_or_b64 exec, exec, s[6:7]
	s_and_saveexec_b64 s[6:7], s[4:5]
	s_cbranch_execnz .LBB47_1727
	s_branch .LBB47_1728
.LBB47_3777:
	s_movk_i32 s4, 0x80
	v_cmp_eq_u16_sdwa s[12:13], v8, s4 src0_sel:BYTE_0 src1_sel:DWORD
	s_mov_b64 s[4:5], -1
                                        ; implicit-def: $sgpr10
	s_and_saveexec_b64 s[8:9], s[12:13]
; %bb.3778:
	s_mov_b32 s10, 0x7f800001
	s_xor_b64 s[4:5], exec, -1
; %bb.3779:
	s_or_b64 exec, exec, s[8:9]
	s_and_b64 s[4:5], s[4:5], exec
	s_or_saveexec_b64 s[6:7], s[6:7]
	v_mov_b32_e32 v2, s10
	s_xor_b64 exec, exec, s[6:7]
	s_cbranch_execz .LBB47_1730
.LBB47_3780:
	v_mov_b32_e32 v2, 0
	v_cmp_ne_u16_sdwa s[8:9], v8, v2 src0_sel:BYTE_0 src1_sel:DWORD
	s_andn2_b64 s[4:5], s[4:5], exec
	s_and_b64 s[8:9], s[8:9], exec
	s_or_b64 s[4:5], s[4:5], s[8:9]
	s_or_b64 exec, exec, s[6:7]
	s_and_saveexec_b64 s[6:7], s[4:5]
	s_cbranch_execnz .LBB47_1731
	s_branch .LBB47_1732
.LBB47_3781:
	s_movk_i32 s4, 0x80
	v_cmp_eq_u16_sdwa s[12:13], v4, s4 src0_sel:BYTE_0 src1_sel:DWORD
	s_mov_b64 s[4:5], -1
                                        ; implicit-def: $sgpr10
	s_and_saveexec_b64 s[8:9], s[12:13]
; %bb.3782:
	s_mov_b32 s10, 0x7f800001
	s_xor_b64 s[4:5], exec, -1
; %bb.3783:
	s_or_b64 exec, exec, s[8:9]
	s_and_b64 s[4:5], s[4:5], exec
	s_or_saveexec_b64 s[6:7], s[6:7]
	v_mov_b32_e32 v3, s10
	s_xor_b64 exec, exec, s[6:7]
	s_cbranch_execz .LBB47_1734
.LBB47_3784:
	v_mov_b32_e32 v3, 0
	v_cmp_ne_u16_sdwa s[8:9], v4, v3 src0_sel:BYTE_0 src1_sel:DWORD
	s_andn2_b64 s[4:5], s[4:5], exec
	s_and_b64 s[8:9], s[8:9], exec
	s_or_b64 s[4:5], s[4:5], s[8:9]
	s_or_b64 exec, exec, s[6:7]
	s_and_saveexec_b64 s[6:7], s[4:5]
	s_cbranch_execnz .LBB47_1735
	s_branch .LBB47_1736
.LBB47_3785:
	s_movk_i32 s4, 0x80
	v_cmp_eq_u16_sdwa s[12:13], v3, s4 src0_sel:BYTE_0 src1_sel:DWORD
	s_mov_b64 s[4:5], -1
                                        ; implicit-def: $sgpr10
	s_and_saveexec_b64 s[8:9], s[12:13]
; %bb.3786:
	s_mov_b32 s10, 0x7f800001
	s_xor_b64 s[4:5], exec, -1
; %bb.3787:
	s_or_b64 exec, exec, s[8:9]
	s_and_b64 s[4:5], s[4:5], exec
	s_or_saveexec_b64 s[6:7], s[6:7]
	v_mov_b32_e32 v2, s10
	s_xor_b64 exec, exec, s[6:7]
	s_cbranch_execz .LBB47_1738
.LBB47_3788:
	v_mov_b32_e32 v2, 0
	v_cmp_ne_u16_sdwa s[8:9], v3, v2 src0_sel:BYTE_0 src1_sel:DWORD
	s_andn2_b64 s[4:5], s[4:5], exec
	s_and_b64 s[8:9], s[8:9], exec
	s_or_b64 s[4:5], s[4:5], s[8:9]
	s_or_b64 exec, exec, s[6:7]
	s_and_saveexec_b64 s[6:7], s[4:5]
	s_cbranch_execnz .LBB47_1739
	s_branch .LBB47_1740
.LBB47_3789:
	s_movk_i32 s4, 0x80
	v_cmp_eq_u16_sdwa s[12:13], v3, s4 src0_sel:BYTE_0 src1_sel:DWORD
	s_mov_b64 s[4:5], -1
                                        ; implicit-def: $sgpr10
	s_and_saveexec_b64 s[8:9], s[12:13]
; %bb.3790:
	s_mov_b32 s10, 0x7f800001
	s_xor_b64 s[4:5], exec, -1
; %bb.3791:
	s_or_b64 exec, exec, s[8:9]
	s_and_b64 s[4:5], s[4:5], exec
	s_or_saveexec_b64 s[6:7], s[6:7]
	v_mov_b32_e32 v6, s10
	s_xor_b64 exec, exec, s[6:7]
	s_cbranch_execz .LBB47_1742
.LBB47_3792:
	v_mov_b32_e32 v6, 0
	v_cmp_ne_u16_sdwa s[8:9], v3, v6 src0_sel:BYTE_0 src1_sel:DWORD
	s_andn2_b64 s[4:5], s[4:5], exec
	s_and_b64 s[8:9], s[8:9], exec
	s_or_b64 s[4:5], s[4:5], s[8:9]
	s_or_b64 exec, exec, s[6:7]
	s_and_saveexec_b64 s[6:7], s[4:5]
	s_cbranch_execnz .LBB47_1743
	s_branch .LBB47_1744
.LBB47_3793:
	s_movk_i32 s4, 0x80
	v_cmp_eq_u16_e32 vcc, s4, v3
	s_mov_b64 s[4:5], -1
                                        ; implicit-def: $sgpr10
	s_and_saveexec_b64 s[8:9], vcc
; %bb.3794:
	s_mov_b32 s10, 0x7f800001
	s_xor_b64 s[4:5], exec, -1
; %bb.3795:
	s_or_b64 exec, exec, s[8:9]
	s_and_b64 s[4:5], s[4:5], exec
                                        ; implicit-def: $vgpr3
	s_or_saveexec_b64 s[6:7], s[6:7]
	v_mov_b32_e32 v2, s10
	s_xor_b64 exec, exec, s[6:7]
	s_cbranch_execz .LBB47_1746
.LBB47_3796:
	v_cmp_ne_u16_e32 vcc, 0, v3
	s_andn2_b64 s[4:5], s[4:5], exec
	s_and_b64 s[8:9], vcc, exec
	v_mov_b32_e32 v2, 0
	s_or_b64 s[4:5], s[4:5], s[8:9]
	s_or_b64 exec, exec, s[6:7]
	s_and_saveexec_b64 s[6:7], s[4:5]
	s_cbranch_execnz .LBB47_1747
	s_branch .LBB47_1748
.LBB47_3797:
	s_movk_i32 s4, 0x80
	v_cmp_eq_u16_e32 vcc, s4, v3
	s_mov_b64 s[4:5], -1
                                        ; implicit-def: $sgpr10
	s_and_saveexec_b64 s[8:9], vcc
; %bb.3798:
	s_mov_b32 s10, 0x7f800001
	s_xor_b64 s[4:5], exec, -1
; %bb.3799:
	s_or_b64 exec, exec, s[8:9]
	s_and_b64 s[4:5], s[4:5], exec
                                        ; implicit-def: $vgpr3
	s_or_saveexec_b64 s[6:7], s[6:7]
	v_mov_b32_e32 v6, s10
	s_xor_b64 exec, exec, s[6:7]
	s_cbranch_execz .LBB47_1750
.LBB47_3800:
	v_cmp_ne_u16_e32 vcc, 0, v3
	s_andn2_b64 s[4:5], s[4:5], exec
	s_and_b64 s[8:9], vcc, exec
	v_mov_b32_e32 v6, 0
	s_or_b64 s[4:5], s[4:5], s[8:9]
	s_or_b64 exec, exec, s[6:7]
	s_and_saveexec_b64 s[6:7], s[4:5]
	s_cbranch_execnz .LBB47_1751
	s_branch .LBB47_1752
.LBB47_3801:
	s_movk_i32 s4, 0x80
	v_cmp_eq_u16_sdwa s[12:13], v8, s4 src0_sel:BYTE_3 src1_sel:DWORD
	s_mov_b64 s[4:5], -1
                                        ; implicit-def: $sgpr10
	s_and_saveexec_b64 s[8:9], s[12:13]
; %bb.3802:
	s_mov_b32 s10, 0x7f800001
	s_xor_b64 s[4:5], exec, -1
; %bb.3803:
	s_or_b64 exec, exec, s[8:9]
	s_and_b64 s[4:5], s[4:5], exec
	s_or_saveexec_b64 s[6:7], s[6:7]
	v_mov_b32_e32 v2, s10
	s_xor_b64 exec, exec, s[6:7]
	s_cbranch_execz .LBB47_1754
.LBB47_3804:
	v_mov_b32_e32 v2, 0
	v_cmp_ne_u16_sdwa s[8:9], v8, v2 src0_sel:BYTE_3 src1_sel:DWORD
	s_andn2_b64 s[4:5], s[4:5], exec
	s_and_b64 s[8:9], s[8:9], exec
	s_or_b64 s[4:5], s[4:5], s[8:9]
	s_or_b64 exec, exec, s[6:7]
	s_and_saveexec_b64 s[6:7], s[4:5]
	s_cbranch_execnz .LBB47_1755
	s_branch .LBB47_1756
.LBB47_3805:
	s_movk_i32 s4, 0x80
	v_cmp_eq_u16_sdwa s[12:13], v4, s4 src0_sel:BYTE_3 src1_sel:DWORD
	s_mov_b64 s[4:5], -1
                                        ; implicit-def: $sgpr10
	s_and_saveexec_b64 s[8:9], s[12:13]
; %bb.3806:
	s_mov_b32 s10, 0x7f800001
	s_xor_b64 s[4:5], exec, -1
; %bb.3807:
	s_or_b64 exec, exec, s[8:9]
	s_and_b64 s[4:5], s[4:5], exec
	s_or_saveexec_b64 s[6:7], s[6:7]
	v_mov_b32_e32 v3, s10
	s_xor_b64 exec, exec, s[6:7]
	s_cbranch_execz .LBB47_1758
.LBB47_3808:
	v_mov_b32_e32 v3, 0
	v_cmp_ne_u16_sdwa s[8:9], v4, v3 src0_sel:BYTE_3 src1_sel:DWORD
	s_andn2_b64 s[4:5], s[4:5], exec
	s_and_b64 s[8:9], s[8:9], exec
	s_or_b64 s[4:5], s[4:5], s[8:9]
	s_or_b64 exec, exec, s[6:7]
	s_and_saveexec_b64 s[6:7], s[4:5]
	s_cbranch_execnz .LBB47_1759
	s_branch .LBB47_1760
.LBB47_3809:
	s_movk_i32 s4, 0x80
	v_cmp_eq_u16_sdwa s[12:13], v9, s4 src0_sel:BYTE_0 src1_sel:DWORD
	s_mov_b64 s[4:5], -1
                                        ; implicit-def: $sgpr10
	s_and_saveexec_b64 s[8:9], s[12:13]
; %bb.3810:
	s_mov_b32 s10, 0x7f800001
	s_xor_b64 s[4:5], exec, -1
; %bb.3811:
	s_or_b64 exec, exec, s[8:9]
	s_and_b64 s[4:5], s[4:5], exec
	s_or_saveexec_b64 s[6:7], s[6:7]
	v_mov_b32_e32 v2, s10
	s_xor_b64 exec, exec, s[6:7]
	s_cbranch_execz .LBB47_1762
.LBB47_3812:
	v_mov_b32_e32 v2, 0
	v_cmp_ne_u16_sdwa s[8:9], v9, v2 src0_sel:BYTE_0 src1_sel:DWORD
	s_andn2_b64 s[4:5], s[4:5], exec
	s_and_b64 s[8:9], s[8:9], exec
	s_or_b64 s[4:5], s[4:5], s[8:9]
	s_or_b64 exec, exec, s[6:7]
	s_and_saveexec_b64 s[6:7], s[4:5]
	s_cbranch_execnz .LBB47_1763
	s_branch .LBB47_1764
.LBB47_3813:
	s_movk_i32 s4, 0x80
	v_cmp_eq_u16_sdwa s[12:13], v5, s4 src0_sel:BYTE_0 src1_sel:DWORD
	s_mov_b64 s[4:5], -1
                                        ; implicit-def: $sgpr10
	s_and_saveexec_b64 s[8:9], s[12:13]
; %bb.3814:
	s_mov_b32 s10, 0x7f800001
	s_xor_b64 s[4:5], exec, -1
; %bb.3815:
	s_or_b64 exec, exec, s[8:9]
	s_and_b64 s[4:5], s[4:5], exec
	s_or_saveexec_b64 s[6:7], s[6:7]
	v_mov_b32_e32 v3, s10
	s_xor_b64 exec, exec, s[6:7]
	s_cbranch_execz .LBB47_1766
.LBB47_3816:
	v_mov_b32_e32 v3, 0
	v_cmp_ne_u16_sdwa s[8:9], v5, v3 src0_sel:BYTE_0 src1_sel:DWORD
	s_andn2_b64 s[4:5], s[4:5], exec
	s_and_b64 s[8:9], s[8:9], exec
	s_or_b64 s[4:5], s[4:5], s[8:9]
	s_or_b64 exec, exec, s[6:7]
	s_and_saveexec_b64 s[6:7], s[4:5]
	s_cbranch_execnz .LBB47_1767
	s_branch .LBB47_1768
.LBB47_3817:
	s_movk_i32 s4, 0x80
	v_cmp_eq_u16_sdwa s[12:13], v3, s4 src0_sel:BYTE_0 src1_sel:DWORD
	s_mov_b64 s[4:5], -1
                                        ; implicit-def: $sgpr10
	s_and_saveexec_b64 s[8:9], s[12:13]
; %bb.3818:
	s_mov_b32 s10, 0x7f800001
	s_xor_b64 s[4:5], exec, -1
; %bb.3819:
	s_or_b64 exec, exec, s[8:9]
	s_and_b64 s[4:5], s[4:5], exec
	s_or_saveexec_b64 s[6:7], s[6:7]
	v_mov_b32_e32 v2, s10
	s_xor_b64 exec, exec, s[6:7]
	s_cbranch_execz .LBB47_1770
.LBB47_3820:
	v_mov_b32_e32 v2, 0
	v_cmp_ne_u16_sdwa s[8:9], v3, v2 src0_sel:BYTE_0 src1_sel:DWORD
	s_andn2_b64 s[4:5], s[4:5], exec
	s_and_b64 s[8:9], s[8:9], exec
	s_or_b64 s[4:5], s[4:5], s[8:9]
	s_or_b64 exec, exec, s[6:7]
	s_and_saveexec_b64 s[6:7], s[4:5]
	s_cbranch_execnz .LBB47_1771
	s_branch .LBB47_1772
.LBB47_3821:
	s_movk_i32 s4, 0x80
	v_cmp_eq_u16_sdwa s[12:13], v3, s4 src0_sel:BYTE_0 src1_sel:DWORD
	s_mov_b64 s[4:5], -1
                                        ; implicit-def: $sgpr10
	s_and_saveexec_b64 s[8:9], s[12:13]
; %bb.3822:
	s_mov_b32 s10, 0x7f800001
	s_xor_b64 s[4:5], exec, -1
; %bb.3823:
	s_or_b64 exec, exec, s[8:9]
	s_and_b64 s[4:5], s[4:5], exec
	s_or_saveexec_b64 s[6:7], s[6:7]
	v_mov_b32_e32 v4, s10
	s_xor_b64 exec, exec, s[6:7]
	s_cbranch_execz .LBB47_1774
.LBB47_3824:
	v_mov_b32_e32 v4, 0
	v_cmp_ne_u16_sdwa s[8:9], v3, v4 src0_sel:BYTE_0 src1_sel:DWORD
	s_andn2_b64 s[4:5], s[4:5], exec
	s_and_b64 s[8:9], s[8:9], exec
	s_or_b64 s[4:5], s[4:5], s[8:9]
	s_or_b64 exec, exec, s[6:7]
	s_and_saveexec_b64 s[6:7], s[4:5]
	s_cbranch_execnz .LBB47_1775
	s_branch .LBB47_1776
.LBB47_3825:
	s_movk_i32 s4, 0x80
	v_cmp_eq_u16_e32 vcc, s4, v3
	s_mov_b64 s[4:5], -1
                                        ; implicit-def: $sgpr10
	s_and_saveexec_b64 s[8:9], vcc
; %bb.3826:
	s_mov_b32 s10, 0x7f800001
	s_xor_b64 s[4:5], exec, -1
; %bb.3827:
	s_or_b64 exec, exec, s[8:9]
	s_and_b64 s[4:5], s[4:5], exec
                                        ; implicit-def: $vgpr3
	s_or_saveexec_b64 s[6:7], s[6:7]
	v_mov_b32_e32 v2, s10
	s_xor_b64 exec, exec, s[6:7]
	s_cbranch_execz .LBB47_1778
.LBB47_3828:
	v_cmp_ne_u16_e32 vcc, 0, v3
	s_andn2_b64 s[4:5], s[4:5], exec
	s_and_b64 s[8:9], vcc, exec
	v_mov_b32_e32 v2, 0
	s_or_b64 s[4:5], s[4:5], s[8:9]
	s_or_b64 exec, exec, s[6:7]
	s_and_saveexec_b64 s[6:7], s[4:5]
	s_cbranch_execnz .LBB47_1779
	s_branch .LBB47_1780
.LBB47_3829:
	s_movk_i32 s4, 0x80
	v_cmp_eq_u16_e32 vcc, s4, v3
	s_mov_b64 s[4:5], -1
                                        ; implicit-def: $sgpr10
	s_and_saveexec_b64 s[8:9], vcc
; %bb.3830:
	s_mov_b32 s10, 0x7f800001
	s_xor_b64 s[4:5], exec, -1
; %bb.3831:
	s_or_b64 exec, exec, s[8:9]
	s_and_b64 s[4:5], s[4:5], exec
                                        ; implicit-def: $vgpr3
	s_or_saveexec_b64 s[6:7], s[6:7]
	v_mov_b32_e32 v4, s10
	s_xor_b64 exec, exec, s[6:7]
	s_cbranch_execz .LBB47_1782
.LBB47_3832:
	v_cmp_ne_u16_e32 vcc, 0, v3
	s_andn2_b64 s[4:5], s[4:5], exec
	s_and_b64 s[8:9], vcc, exec
	v_mov_b32_e32 v4, 0
	s_or_b64 s[4:5], s[4:5], s[8:9]
	s_or_b64 exec, exec, s[6:7]
	s_and_saveexec_b64 s[6:7], s[4:5]
	s_cbranch_execnz .LBB47_1783
	s_branch .LBB47_1784
.LBB47_3833:
	s_movk_i32 s4, 0x80
	v_cmp_eq_u16_sdwa s[12:13], v9, s4 src0_sel:BYTE_3 src1_sel:DWORD
	s_mov_b64 s[4:5], -1
                                        ; implicit-def: $sgpr10
	s_and_saveexec_b64 s[8:9], s[12:13]
; %bb.3834:
	s_mov_b32 s10, 0x7f800001
	s_xor_b64 s[4:5], exec, -1
; %bb.3835:
	s_or_b64 exec, exec, s[8:9]
	s_and_b64 s[4:5], s[4:5], exec
	s_or_saveexec_b64 s[6:7], s[6:7]
	v_mov_b32_e32 v2, s10
	s_xor_b64 exec, exec, s[6:7]
	s_cbranch_execz .LBB47_1786
.LBB47_3836:
	v_mov_b32_e32 v2, 0
	v_cmp_ne_u16_sdwa s[8:9], v9, v2 src0_sel:BYTE_3 src1_sel:DWORD
	s_andn2_b64 s[4:5], s[4:5], exec
	s_and_b64 s[8:9], s[8:9], exec
	s_or_b64 s[4:5], s[4:5], s[8:9]
	s_or_b64 exec, exec, s[6:7]
	s_and_saveexec_b64 s[6:7], s[4:5]
	s_cbranch_execnz .LBB47_1787
	s_branch .LBB47_1788
.LBB47_3837:
	s_movk_i32 s4, 0x80
	v_cmp_eq_u16_sdwa s[12:13], v5, s4 src0_sel:BYTE_3 src1_sel:DWORD
	s_mov_b64 s[4:5], -1
                                        ; implicit-def: $sgpr10
	s_and_saveexec_b64 s[8:9], s[12:13]
; %bb.3838:
	s_mov_b32 s10, 0x7f800001
	s_xor_b64 s[4:5], exec, -1
; %bb.3839:
	s_or_b64 exec, exec, s[8:9]
	s_and_b64 s[4:5], s[4:5], exec
	s_or_saveexec_b64 s[6:7], s[6:7]
	v_mov_b32_e32 v3, s10
	s_xor_b64 exec, exec, s[6:7]
	s_cbranch_execz .LBB47_1790
.LBB47_3840:
	v_mov_b32_e32 v3, 0
	v_cmp_ne_u16_sdwa s[8:9], v5, v3 src0_sel:BYTE_3 src1_sel:DWORD
	s_andn2_b64 s[4:5], s[4:5], exec
	s_and_b64 s[8:9], s[8:9], exec
	s_or_b64 s[4:5], s[4:5], s[8:9]
	s_or_b64 exec, exec, s[6:7]
	s_and_saveexec_b64 s[6:7], s[4:5]
	s_cbranch_execnz .LBB47_1791
	s_branch .LBB47_1792
.LBB47_3841:
	s_movk_i32 s4, 0x80
	v_cmp_eq_u16_sdwa s[12:13], v12, s4 src0_sel:BYTE_0 src1_sel:DWORD
	s_mov_b64 s[4:5], -1
                                        ; implicit-def: $sgpr10
	s_and_saveexec_b64 s[8:9], s[12:13]
; %bb.3842:
	s_mov_b32 s10, 0x7f800001
	s_xor_b64 s[4:5], exec, -1
; %bb.3843:
	s_or_b64 exec, exec, s[8:9]
	s_and_b64 s[4:5], s[4:5], exec
	s_or_saveexec_b64 s[6:7], s[6:7]
	v_mov_b32_e32 v18, s10
	s_xor_b64 exec, exec, s[6:7]
	s_cbranch_execz .LBB47_1794
.LBB47_3844:
	v_mov_b32_e32 v18, 0
	v_cmp_ne_u16_sdwa s[8:9], v12, v18 src0_sel:BYTE_0 src1_sel:DWORD
	s_andn2_b64 s[4:5], s[4:5], exec
	s_and_b64 s[8:9], s[8:9], exec
	s_or_b64 s[4:5], s[4:5], s[8:9]
	s_or_b64 exec, exec, s[6:7]
	s_and_saveexec_b64 s[6:7], s[4:5]
	s_cbranch_execnz .LBB47_1795
	s_branch .LBB47_1796
.LBB47_3845:
	s_movk_i32 s4, 0x80
	v_cmp_eq_u16_sdwa s[12:13], v8, s4 src0_sel:BYTE_0 src1_sel:DWORD
	s_mov_b64 s[4:5], -1
                                        ; implicit-def: $sgpr10
	s_and_saveexec_b64 s[8:9], s[12:13]
; %bb.3846:
	s_mov_b32 s10, 0x7f800001
	s_xor_b64 s[4:5], exec, -1
; %bb.3847:
	s_or_b64 exec, exec, s[8:9]
	s_and_b64 s[4:5], s[4:5], exec
	s_or_saveexec_b64 s[6:7], s[6:7]
	v_mov_b32_e32 v19, s10
	s_xor_b64 exec, exec, s[6:7]
	s_cbranch_execz .LBB47_1798
.LBB47_3848:
	v_mov_b32_e32 v19, 0
	v_cmp_ne_u16_sdwa s[8:9], v8, v19 src0_sel:BYTE_0 src1_sel:DWORD
	s_andn2_b64 s[4:5], s[4:5], exec
	s_and_b64 s[8:9], s[8:9], exec
	s_or_b64 s[4:5], s[4:5], s[8:9]
	s_or_b64 exec, exec, s[6:7]
	s_and_saveexec_b64 s[6:7], s[4:5]
	s_cbranch_execnz .LBB47_1799
	s_branch .LBB47_1800
.LBB47_3849:
	s_movk_i32 s4, 0x80
	v_cmp_eq_u16_sdwa s[12:13], v19, s4 src0_sel:BYTE_0 src1_sel:DWORD
	s_mov_b64 s[4:5], -1
                                        ; implicit-def: $sgpr10
	s_and_saveexec_b64 s[8:9], s[12:13]
; %bb.3850:
	s_mov_b32 s10, 0x7f800001
	s_xor_b64 s[4:5], exec, -1
; %bb.3851:
	s_or_b64 exec, exec, s[8:9]
	s_and_b64 s[4:5], s[4:5], exec
	s_or_saveexec_b64 s[6:7], s[6:7]
	v_mov_b32_e32 v18, s10
	s_xor_b64 exec, exec, s[6:7]
	s_cbranch_execz .LBB47_1802
.LBB47_3852:
	v_mov_b32_e32 v18, 0
	v_cmp_ne_u16_sdwa s[8:9], v19, v18 src0_sel:BYTE_0 src1_sel:DWORD
	s_andn2_b64 s[4:5], s[4:5], exec
	s_and_b64 s[8:9], s[8:9], exec
	s_or_b64 s[4:5], s[4:5], s[8:9]
	s_or_b64 exec, exec, s[6:7]
	s_and_saveexec_b64 s[6:7], s[4:5]
	s_cbranch_execnz .LBB47_1803
	s_branch .LBB47_1804
.LBB47_3853:
	s_movk_i32 s4, 0x80
	v_cmp_eq_u16_sdwa s[12:13], v19, s4 src0_sel:BYTE_0 src1_sel:DWORD
	s_mov_b64 s[4:5], -1
                                        ; implicit-def: $sgpr10
	s_and_saveexec_b64 s[8:9], s[12:13]
; %bb.3854:
	s_mov_b32 s10, 0x7f800001
	s_xor_b64 s[4:5], exec, -1
; %bb.3855:
	s_or_b64 exec, exec, s[8:9]
	s_and_b64 s[4:5], s[4:5], exec
	s_or_saveexec_b64 s[6:7], s[6:7]
	v_mov_b32_e32 v20, s10
	s_xor_b64 exec, exec, s[6:7]
	s_cbranch_execz .LBB47_1806
.LBB47_3856:
	v_mov_b32_e32 v20, 0
	v_cmp_ne_u16_sdwa s[8:9], v19, v20 src0_sel:BYTE_0 src1_sel:DWORD
	s_andn2_b64 s[4:5], s[4:5], exec
	s_and_b64 s[8:9], s[8:9], exec
	s_or_b64 s[4:5], s[4:5], s[8:9]
	s_or_b64 exec, exec, s[6:7]
	s_and_saveexec_b64 s[6:7], s[4:5]
	s_cbranch_execnz .LBB47_1807
	s_branch .LBB47_1808
.LBB47_3857:
	s_movk_i32 s4, 0x80
	v_cmp_eq_u16_e32 vcc, s4, v19
	s_mov_b64 s[4:5], -1
                                        ; implicit-def: $sgpr10
	s_and_saveexec_b64 s[8:9], vcc
; %bb.3858:
	s_mov_b32 s10, 0x7f800001
	s_xor_b64 s[4:5], exec, -1
; %bb.3859:
	s_or_b64 exec, exec, s[8:9]
	s_and_b64 s[4:5], s[4:5], exec
                                        ; implicit-def: $vgpr19
	s_or_saveexec_b64 s[6:7], s[6:7]
	v_mov_b32_e32 v18, s10
	s_xor_b64 exec, exec, s[6:7]
	s_cbranch_execz .LBB47_1810
.LBB47_3860:
	v_cmp_ne_u16_e32 vcc, 0, v19
	s_andn2_b64 s[4:5], s[4:5], exec
	s_and_b64 s[8:9], vcc, exec
	v_mov_b32_e32 v18, 0
	s_or_b64 s[4:5], s[4:5], s[8:9]
	s_or_b64 exec, exec, s[6:7]
	s_and_saveexec_b64 s[6:7], s[4:5]
	s_cbranch_execnz .LBB47_1811
	s_branch .LBB47_1812
.LBB47_3861:
	s_movk_i32 s4, 0x80
	v_cmp_eq_u16_e32 vcc, s4, v19
	s_mov_b64 s[4:5], -1
                                        ; implicit-def: $sgpr10
	s_and_saveexec_b64 s[8:9], vcc
; %bb.3862:
	s_mov_b32 s10, 0x7f800001
	s_xor_b64 s[4:5], exec, -1
; %bb.3863:
	s_or_b64 exec, exec, s[8:9]
	s_and_b64 s[4:5], s[4:5], exec
                                        ; implicit-def: $vgpr19
	s_or_saveexec_b64 s[6:7], s[6:7]
	v_mov_b32_e32 v20, s10
	s_xor_b64 exec, exec, s[6:7]
	s_cbranch_execz .LBB47_1814
.LBB47_3864:
	v_cmp_ne_u16_e32 vcc, 0, v19
	s_andn2_b64 s[4:5], s[4:5], exec
	s_and_b64 s[8:9], vcc, exec
	v_mov_b32_e32 v20, 0
	s_or_b64 s[4:5], s[4:5], s[8:9]
	s_or_b64 exec, exec, s[6:7]
	s_and_saveexec_b64 s[6:7], s[4:5]
	s_cbranch_execnz .LBB47_1815
	s_branch .LBB47_1816
.LBB47_3865:
	s_movk_i32 s4, 0x80
	v_cmp_eq_u16_sdwa s[12:13], v12, s4 src0_sel:BYTE_3 src1_sel:DWORD
	s_mov_b64 s[4:5], -1
                                        ; implicit-def: $sgpr10
	s_and_saveexec_b64 s[8:9], s[12:13]
; %bb.3866:
	s_mov_b32 s10, 0x7f800001
	s_xor_b64 s[4:5], exec, -1
; %bb.3867:
	s_or_b64 exec, exec, s[8:9]
	s_and_b64 s[4:5], s[4:5], exec
	s_or_saveexec_b64 s[6:7], s[6:7]
	v_mov_b32_e32 v18, s10
	s_xor_b64 exec, exec, s[6:7]
	s_cbranch_execz .LBB47_1818
.LBB47_3868:
	v_mov_b32_e32 v18, 0
	v_cmp_ne_u16_sdwa s[8:9], v12, v18 src0_sel:BYTE_3 src1_sel:DWORD
	s_andn2_b64 s[4:5], s[4:5], exec
	s_and_b64 s[8:9], s[8:9], exec
	s_or_b64 s[4:5], s[4:5], s[8:9]
	s_or_b64 exec, exec, s[6:7]
	s_and_saveexec_b64 s[6:7], s[4:5]
	s_cbranch_execnz .LBB47_1819
	s_branch .LBB47_1820
.LBB47_3869:
	s_movk_i32 s4, 0x80
	v_cmp_eq_u16_sdwa s[12:13], v8, s4 src0_sel:BYTE_3 src1_sel:DWORD
	s_mov_b64 s[4:5], -1
                                        ; implicit-def: $sgpr10
	s_and_saveexec_b64 s[8:9], s[12:13]
; %bb.3870:
	s_mov_b32 s10, 0x7f800001
	s_xor_b64 s[4:5], exec, -1
; %bb.3871:
	s_or_b64 exec, exec, s[8:9]
	s_and_b64 s[4:5], s[4:5], exec
	s_or_saveexec_b64 s[6:7], s[6:7]
	v_mov_b32_e32 v12, s10
	s_xor_b64 exec, exec, s[6:7]
	s_cbranch_execz .LBB47_1822
.LBB47_3872:
	v_mov_b32_e32 v12, 0
	v_cmp_ne_u16_sdwa s[8:9], v8, v12 src0_sel:BYTE_3 src1_sel:DWORD
	s_andn2_b64 s[4:5], s[4:5], exec
	s_and_b64 s[8:9], s[8:9], exec
	s_or_b64 s[4:5], s[4:5], s[8:9]
	s_or_b64 exec, exec, s[6:7]
	s_and_saveexec_b64 s[6:7], s[4:5]
	s_cbranch_execnz .LBB47_1823
	s_branch .LBB47_1824
.LBB47_3873:
	s_movk_i32 s4, 0x80
	v_cmp_eq_u16_sdwa s[12:13], v13, s4 src0_sel:BYTE_0 src1_sel:DWORD
	s_mov_b64 s[4:5], -1
                                        ; implicit-def: $sgpr10
	s_and_saveexec_b64 s[8:9], s[12:13]
; %bb.3874:
	s_mov_b32 s10, 0x7f800001
	s_xor_b64 s[4:5], exec, -1
; %bb.3875:
	s_or_b64 exec, exec, s[8:9]
	s_and_b64 s[4:5], s[4:5], exec
	s_or_saveexec_b64 s[6:7], s[6:7]
	v_mov_b32_e32 v8, s10
	s_xor_b64 exec, exec, s[6:7]
	s_cbranch_execz .LBB47_1826
.LBB47_3876:
	v_mov_b32_e32 v8, 0
	v_cmp_ne_u16_sdwa s[8:9], v13, v8 src0_sel:BYTE_0 src1_sel:DWORD
	s_andn2_b64 s[4:5], s[4:5], exec
	s_and_b64 s[8:9], s[8:9], exec
	s_or_b64 s[4:5], s[4:5], s[8:9]
	s_or_b64 exec, exec, s[6:7]
	s_and_saveexec_b64 s[6:7], s[4:5]
	s_cbranch_execnz .LBB47_1827
	s_branch .LBB47_1828
.LBB47_3877:
	s_movk_i32 s4, 0x80
	v_cmp_eq_u16_sdwa s[12:13], v9, s4 src0_sel:BYTE_0 src1_sel:DWORD
	s_mov_b64 s[4:5], -1
                                        ; implicit-def: $sgpr10
	s_and_saveexec_b64 s[8:9], s[12:13]
; %bb.3878:
	s_mov_b32 s10, 0x7f800001
	s_xor_b64 s[4:5], exec, -1
; %bb.3879:
	s_or_b64 exec, exec, s[8:9]
	s_and_b64 s[4:5], s[4:5], exec
	s_or_saveexec_b64 s[6:7], s[6:7]
	v_mov_b32_e32 v12, s10
	s_xor_b64 exec, exec, s[6:7]
	s_cbranch_execz .LBB47_1830
.LBB47_3880:
	v_mov_b32_e32 v12, 0
	v_cmp_ne_u16_sdwa s[8:9], v9, v12 src0_sel:BYTE_0 src1_sel:DWORD
	s_andn2_b64 s[4:5], s[4:5], exec
	s_and_b64 s[8:9], s[8:9], exec
	s_or_b64 s[4:5], s[4:5], s[8:9]
	s_or_b64 exec, exec, s[6:7]
	s_and_saveexec_b64 s[6:7], s[4:5]
	s_cbranch_execnz .LBB47_1831
	s_branch .LBB47_1832
.LBB47_3881:
	s_movk_i32 s4, 0x80
	v_cmp_eq_u16_sdwa s[12:13], v12, s4 src0_sel:BYTE_0 src1_sel:DWORD
	s_mov_b64 s[4:5], -1
                                        ; implicit-def: $sgpr10
	s_and_saveexec_b64 s[8:9], s[12:13]
; %bb.3882:
	s_mov_b32 s10, 0x7f800001
	s_xor_b64 s[4:5], exec, -1
; %bb.3883:
	s_or_b64 exec, exec, s[8:9]
	s_and_b64 s[4:5], s[4:5], exec
	s_or_saveexec_b64 s[6:7], s[6:7]
	v_mov_b32_e32 v8, s10
	s_xor_b64 exec, exec, s[6:7]
	s_cbranch_execz .LBB47_1834
.LBB47_3884:
	v_mov_b32_e32 v8, 0
	v_cmp_ne_u16_sdwa s[8:9], v12, v8 src0_sel:BYTE_0 src1_sel:DWORD
	s_andn2_b64 s[4:5], s[4:5], exec
	s_and_b64 s[8:9], s[8:9], exec
	s_or_b64 s[4:5], s[4:5], s[8:9]
	s_or_b64 exec, exec, s[6:7]
	s_and_saveexec_b64 s[6:7], s[4:5]
	s_cbranch_execnz .LBB47_1835
	s_branch .LBB47_1836
.LBB47_3885:
	s_movk_i32 s4, 0x80
	v_cmp_eq_u16_sdwa s[12:13], v12, s4 src0_sel:BYTE_0 src1_sel:DWORD
	s_mov_b64 s[4:5], -1
                                        ; implicit-def: $sgpr10
	s_and_saveexec_b64 s[8:9], s[12:13]
; %bb.3886:
	s_mov_b32 s10, 0x7f800001
	s_xor_b64 s[4:5], exec, -1
; %bb.3887:
	s_or_b64 exec, exec, s[8:9]
	s_and_b64 s[4:5], s[4:5], exec
	s_or_saveexec_b64 s[6:7], s[6:7]
	v_mov_b32_e32 v18, s10
	s_xor_b64 exec, exec, s[6:7]
	s_cbranch_execz .LBB47_1838
.LBB47_3888:
	v_mov_b32_e32 v18, 0
	v_cmp_ne_u16_sdwa s[8:9], v12, v18 src0_sel:BYTE_0 src1_sel:DWORD
	s_andn2_b64 s[4:5], s[4:5], exec
	s_and_b64 s[8:9], s[8:9], exec
	s_or_b64 s[4:5], s[4:5], s[8:9]
	s_or_b64 exec, exec, s[6:7]
	s_and_saveexec_b64 s[6:7], s[4:5]
	s_cbranch_execnz .LBB47_1839
	s_branch .LBB47_1840
.LBB47_3889:
	s_movk_i32 s4, 0x80
	v_cmp_eq_u16_e32 vcc, s4, v12
	s_mov_b64 s[4:5], -1
                                        ; implicit-def: $sgpr10
	s_and_saveexec_b64 s[8:9], vcc
; %bb.3890:
	s_mov_b32 s10, 0x7f800001
	s_xor_b64 s[4:5], exec, -1
; %bb.3891:
	s_or_b64 exec, exec, s[8:9]
	s_and_b64 s[4:5], s[4:5], exec
                                        ; implicit-def: $vgpr12
	s_or_saveexec_b64 s[6:7], s[6:7]
	v_mov_b32_e32 v8, s10
	s_xor_b64 exec, exec, s[6:7]
	s_cbranch_execz .LBB47_1842
.LBB47_3892:
	v_cmp_ne_u16_e32 vcc, 0, v12
	s_andn2_b64 s[4:5], s[4:5], exec
	s_and_b64 s[8:9], vcc, exec
	v_mov_b32_e32 v8, 0
	s_or_b64 s[4:5], s[4:5], s[8:9]
	s_or_b64 exec, exec, s[6:7]
	s_and_saveexec_b64 s[6:7], s[4:5]
	s_cbranch_execnz .LBB47_1843
	s_branch .LBB47_1844
.LBB47_3893:
	s_movk_i32 s4, 0x80
	v_cmp_eq_u16_e32 vcc, s4, v12
	s_mov_b64 s[4:5], -1
                                        ; implicit-def: $sgpr10
	s_and_saveexec_b64 s[8:9], vcc
; %bb.3894:
	s_mov_b32 s10, 0x7f800001
	s_xor_b64 s[4:5], exec, -1
; %bb.3895:
	s_or_b64 exec, exec, s[8:9]
	s_and_b64 s[4:5], s[4:5], exec
                                        ; implicit-def: $vgpr12
	s_or_saveexec_b64 s[6:7], s[6:7]
	v_mov_b32_e32 v18, s10
	s_xor_b64 exec, exec, s[6:7]
	s_cbranch_execz .LBB47_1846
.LBB47_3896:
	v_cmp_ne_u16_e32 vcc, 0, v12
	s_andn2_b64 s[4:5], s[4:5], exec
	s_and_b64 s[8:9], vcc, exec
	v_mov_b32_e32 v18, 0
	s_or_b64 s[4:5], s[4:5], s[8:9]
	s_or_b64 exec, exec, s[6:7]
	s_and_saveexec_b64 s[6:7], s[4:5]
	s_cbranch_execnz .LBB47_1847
	s_branch .LBB47_1848
.LBB47_3897:
	s_movk_i32 s4, 0x80
	v_cmp_eq_u16_sdwa s[12:13], v13, s4 src0_sel:BYTE_3 src1_sel:DWORD
	s_mov_b64 s[4:5], -1
                                        ; implicit-def: $sgpr10
	s_and_saveexec_b64 s[8:9], s[12:13]
; %bb.3898:
	s_mov_b32 s10, 0x7f800001
	s_xor_b64 s[4:5], exec, -1
; %bb.3899:
	s_or_b64 exec, exec, s[8:9]
	s_and_b64 s[4:5], s[4:5], exec
	s_or_saveexec_b64 s[6:7], s[6:7]
	v_mov_b32_e32 v8, s10
	s_xor_b64 exec, exec, s[6:7]
	s_cbranch_execz .LBB47_1850
.LBB47_3900:
	v_mov_b32_e32 v8, 0
	v_cmp_ne_u16_sdwa s[8:9], v13, v8 src0_sel:BYTE_3 src1_sel:DWORD
	s_andn2_b64 s[4:5], s[4:5], exec
	s_and_b64 s[8:9], s[8:9], exec
	s_or_b64 s[4:5], s[4:5], s[8:9]
	s_or_b64 exec, exec, s[6:7]
	s_and_saveexec_b64 s[6:7], s[4:5]
	s_cbranch_execnz .LBB47_1851
	s_branch .LBB47_1852
.LBB47_3901:
	s_movk_i32 s4, 0x80
	v_cmp_eq_u16_sdwa s[12:13], v9, s4 src0_sel:BYTE_3 src1_sel:DWORD
	s_mov_b64 s[4:5], -1
                                        ; implicit-def: $sgpr10
	s_and_saveexec_b64 s[8:9], s[12:13]
; %bb.3902:
	s_mov_b32 s10, 0x7f800001
	s_xor_b64 s[4:5], exec, -1
; %bb.3903:
	s_or_b64 exec, exec, s[8:9]
	s_and_b64 s[4:5], s[4:5], exec
	s_or_saveexec_b64 s[6:7], s[6:7]
	v_mov_b32_e32 v12, s10
	s_xor_b64 exec, exec, s[6:7]
	s_cbranch_execz .LBB47_1854
.LBB47_3904:
	v_mov_b32_e32 v12, 0
	v_cmp_ne_u16_sdwa s[8:9], v9, v12 src0_sel:BYTE_3 src1_sel:DWORD
	s_andn2_b64 s[4:5], s[4:5], exec
	s_and_b64 s[8:9], s[8:9], exec
	s_or_b64 s[4:5], s[4:5], s[8:9]
	s_or_b64 exec, exec, s[6:7]
	s_and_saveexec_b64 s[6:7], s[4:5]
	s_cbranch_execnz .LBB47_1855
	s_branch .LBB47_1856
.LBB47_3905:
	s_movk_i32 s4, 0x80
	v_cmp_eq_u16_sdwa s[12:13], v14, s4 src0_sel:BYTE_0 src1_sel:DWORD
	s_mov_b64 s[4:5], -1
                                        ; implicit-def: $sgpr10
	s_and_saveexec_b64 s[8:9], s[12:13]
; %bb.3906:
	s_mov_b32 s10, 0x7f800001
	s_xor_b64 s[4:5], exec, -1
; %bb.3907:
	s_or_b64 exec, exec, s[8:9]
	s_and_b64 s[4:5], s[4:5], exec
	s_or_saveexec_b64 s[6:7], s[6:7]
	v_mov_b32_e32 v8, s10
	s_xor_b64 exec, exec, s[6:7]
	s_cbranch_execz .LBB47_1858
.LBB47_3908:
	v_mov_b32_e32 v8, 0
	v_cmp_ne_u16_sdwa s[8:9], v14, v8 src0_sel:BYTE_0 src1_sel:DWORD
	s_andn2_b64 s[4:5], s[4:5], exec
	s_and_b64 s[8:9], s[8:9], exec
	s_or_b64 s[4:5], s[4:5], s[8:9]
	s_or_b64 exec, exec, s[6:7]
	s_and_saveexec_b64 s[6:7], s[4:5]
	s_cbranch_execnz .LBB47_1859
	s_branch .LBB47_1860
.LBB47_3909:
	s_movk_i32 s4, 0x80
	v_cmp_eq_u16_sdwa s[12:13], v10, s4 src0_sel:BYTE_0 src1_sel:DWORD
	s_mov_b64 s[4:5], -1
                                        ; implicit-def: $sgpr10
	s_and_saveexec_b64 s[8:9], s[12:13]
; %bb.3910:
	s_mov_b32 s10, 0x7f800001
	s_xor_b64 s[4:5], exec, -1
; %bb.3911:
	s_or_b64 exec, exec, s[8:9]
	s_and_b64 s[4:5], s[4:5], exec
	s_or_saveexec_b64 s[6:7], s[6:7]
	v_mov_b32_e32 v9, s10
	s_xor_b64 exec, exec, s[6:7]
	s_cbranch_execz .LBB47_1862
.LBB47_3912:
	v_mov_b32_e32 v9, 0
	v_cmp_ne_u16_sdwa s[8:9], v10, v9 src0_sel:BYTE_0 src1_sel:DWORD
	s_andn2_b64 s[4:5], s[4:5], exec
	s_and_b64 s[8:9], s[8:9], exec
	s_or_b64 s[4:5], s[4:5], s[8:9]
	s_or_b64 exec, exec, s[6:7]
	s_and_saveexec_b64 s[6:7], s[4:5]
	s_cbranch_execnz .LBB47_1863
	s_branch .LBB47_1864
.LBB47_3913:
	s_movk_i32 s4, 0x80
	v_cmp_eq_u16_sdwa s[12:13], v9, s4 src0_sel:BYTE_0 src1_sel:DWORD
	s_mov_b64 s[4:5], -1
                                        ; implicit-def: $sgpr10
	s_and_saveexec_b64 s[8:9], s[12:13]
; %bb.3914:
	s_mov_b32 s10, 0x7f800001
	s_xor_b64 s[4:5], exec, -1
; %bb.3915:
	s_or_b64 exec, exec, s[8:9]
	s_and_b64 s[4:5], s[4:5], exec
	s_or_saveexec_b64 s[6:7], s[6:7]
	v_mov_b32_e32 v8, s10
	s_xor_b64 exec, exec, s[6:7]
	s_cbranch_execz .LBB47_1866
.LBB47_3916:
	v_mov_b32_e32 v8, 0
	v_cmp_ne_u16_sdwa s[8:9], v9, v8 src0_sel:BYTE_0 src1_sel:DWORD
	s_andn2_b64 s[4:5], s[4:5], exec
	s_and_b64 s[8:9], s[8:9], exec
	s_or_b64 s[4:5], s[4:5], s[8:9]
	s_or_b64 exec, exec, s[6:7]
	s_and_saveexec_b64 s[6:7], s[4:5]
	s_cbranch_execnz .LBB47_1867
	s_branch .LBB47_1868
.LBB47_3917:
	s_movk_i32 s4, 0x80
	v_cmp_eq_u16_sdwa s[12:13], v9, s4 src0_sel:BYTE_0 src1_sel:DWORD
	s_mov_b64 s[4:5], -1
                                        ; implicit-def: $sgpr10
	s_and_saveexec_b64 s[8:9], s[12:13]
; %bb.3918:
	s_mov_b32 s10, 0x7f800001
	s_xor_b64 s[4:5], exec, -1
; %bb.3919:
	s_or_b64 exec, exec, s[8:9]
	s_and_b64 s[4:5], s[4:5], exec
	s_or_saveexec_b64 s[6:7], s[6:7]
	v_mov_b32_e32 v12, s10
	s_xor_b64 exec, exec, s[6:7]
	s_cbranch_execz .LBB47_1870
.LBB47_3920:
	v_mov_b32_e32 v12, 0
	v_cmp_ne_u16_sdwa s[8:9], v9, v12 src0_sel:BYTE_0 src1_sel:DWORD
	s_andn2_b64 s[4:5], s[4:5], exec
	s_and_b64 s[8:9], s[8:9], exec
	s_or_b64 s[4:5], s[4:5], s[8:9]
	s_or_b64 exec, exec, s[6:7]
	s_and_saveexec_b64 s[6:7], s[4:5]
	s_cbranch_execnz .LBB47_1871
	s_branch .LBB47_1872
.LBB47_3921:
	s_movk_i32 s4, 0x80
	v_cmp_eq_u16_e32 vcc, s4, v9
	s_mov_b64 s[4:5], -1
                                        ; implicit-def: $sgpr10
	s_and_saveexec_b64 s[8:9], vcc
; %bb.3922:
	s_mov_b32 s10, 0x7f800001
	s_xor_b64 s[4:5], exec, -1
; %bb.3923:
	s_or_b64 exec, exec, s[8:9]
	s_and_b64 s[4:5], s[4:5], exec
                                        ; implicit-def: $vgpr9
	s_or_saveexec_b64 s[6:7], s[6:7]
	v_mov_b32_e32 v8, s10
	s_xor_b64 exec, exec, s[6:7]
	s_cbranch_execz .LBB47_1874
.LBB47_3924:
	v_cmp_ne_u16_e32 vcc, 0, v9
	s_andn2_b64 s[4:5], s[4:5], exec
	s_and_b64 s[8:9], vcc, exec
	v_mov_b32_e32 v8, 0
	s_or_b64 s[4:5], s[4:5], s[8:9]
	s_or_b64 exec, exec, s[6:7]
	s_and_saveexec_b64 s[6:7], s[4:5]
	s_cbranch_execnz .LBB47_1875
	s_branch .LBB47_1876
.LBB47_3925:
	s_movk_i32 s4, 0x80
	v_cmp_eq_u16_e32 vcc, s4, v9
	s_mov_b64 s[4:5], -1
                                        ; implicit-def: $sgpr10
	s_and_saveexec_b64 s[8:9], vcc
; %bb.3926:
	s_mov_b32 s10, 0x7f800001
	s_xor_b64 s[4:5], exec, -1
; %bb.3927:
	s_or_b64 exec, exec, s[8:9]
	s_and_b64 s[4:5], s[4:5], exec
                                        ; implicit-def: $vgpr9
	s_or_saveexec_b64 s[6:7], s[6:7]
	v_mov_b32_e32 v12, s10
	s_xor_b64 exec, exec, s[6:7]
	s_cbranch_execz .LBB47_1878
.LBB47_3928:
	v_cmp_ne_u16_e32 vcc, 0, v9
	s_andn2_b64 s[4:5], s[4:5], exec
	s_and_b64 s[8:9], vcc, exec
	v_mov_b32_e32 v12, 0
	s_or_b64 s[4:5], s[4:5], s[8:9]
	s_or_b64 exec, exec, s[6:7]
	s_and_saveexec_b64 s[6:7], s[4:5]
	s_cbranch_execnz .LBB47_1879
	s_branch .LBB47_1880
.LBB47_3929:
	s_movk_i32 s4, 0x80
	v_cmp_eq_u16_sdwa s[12:13], v14, s4 src0_sel:BYTE_3 src1_sel:DWORD
	s_mov_b64 s[4:5], -1
                                        ; implicit-def: $sgpr10
	s_and_saveexec_b64 s[8:9], s[12:13]
; %bb.3930:
	s_mov_b32 s10, 0x7f800001
	s_xor_b64 s[4:5], exec, -1
; %bb.3931:
	s_or_b64 exec, exec, s[8:9]
	s_and_b64 s[4:5], s[4:5], exec
	s_or_saveexec_b64 s[6:7], s[6:7]
	v_mov_b32_e32 v8, s10
	s_xor_b64 exec, exec, s[6:7]
	s_cbranch_execz .LBB47_1882
.LBB47_3932:
	v_mov_b32_e32 v8, 0
	v_cmp_ne_u16_sdwa s[8:9], v14, v8 src0_sel:BYTE_3 src1_sel:DWORD
	s_andn2_b64 s[4:5], s[4:5], exec
	s_and_b64 s[8:9], s[8:9], exec
	s_or_b64 s[4:5], s[4:5], s[8:9]
	s_or_b64 exec, exec, s[6:7]
	s_and_saveexec_b64 s[6:7], s[4:5]
	s_cbranch_execnz .LBB47_1883
	s_branch .LBB47_1884
.LBB47_3933:
	s_movk_i32 s4, 0x80
	v_cmp_eq_u16_sdwa s[12:13], v10, s4 src0_sel:BYTE_3 src1_sel:DWORD
	s_mov_b64 s[4:5], -1
                                        ; implicit-def: $sgpr10
	s_and_saveexec_b64 s[8:9], s[12:13]
; %bb.3934:
	s_mov_b32 s10, 0x7f800001
	s_xor_b64 s[4:5], exec, -1
; %bb.3935:
	s_or_b64 exec, exec, s[8:9]
	s_and_b64 s[4:5], s[4:5], exec
	s_or_saveexec_b64 s[6:7], s[6:7]
	v_mov_b32_e32 v9, s10
	s_xor_b64 exec, exec, s[6:7]
	s_cbranch_execz .LBB47_1886
.LBB47_3936:
	v_mov_b32_e32 v9, 0
	v_cmp_ne_u16_sdwa s[8:9], v10, v9 src0_sel:BYTE_3 src1_sel:DWORD
	s_andn2_b64 s[4:5], s[4:5], exec
	s_and_b64 s[8:9], s[8:9], exec
	s_or_b64 s[4:5], s[4:5], s[8:9]
	s_or_b64 exec, exec, s[6:7]
	s_and_saveexec_b64 s[6:7], s[4:5]
	s_cbranch_execnz .LBB47_1887
	s_branch .LBB47_1888
.LBB47_3937:
	s_movk_i32 s4, 0x80
	v_cmp_eq_u16_sdwa s[12:13], v15, s4 src0_sel:BYTE_0 src1_sel:DWORD
	s_mov_b64 s[4:5], -1
                                        ; implicit-def: $sgpr10
	s_and_saveexec_b64 s[8:9], s[12:13]
; %bb.3938:
	s_mov_b32 s10, 0x7f800001
	s_xor_b64 s[4:5], exec, -1
; %bb.3939:
	s_or_b64 exec, exec, s[8:9]
	s_and_b64 s[4:5], s[4:5], exec
	s_or_saveexec_b64 s[6:7], s[6:7]
	v_mov_b32_e32 v8, s10
	s_xor_b64 exec, exec, s[6:7]
	s_cbranch_execz .LBB47_1890
.LBB47_3940:
	v_mov_b32_e32 v8, 0
	v_cmp_ne_u16_sdwa s[8:9], v15, v8 src0_sel:BYTE_0 src1_sel:DWORD
	s_andn2_b64 s[4:5], s[4:5], exec
	s_and_b64 s[8:9], s[8:9], exec
	s_or_b64 s[4:5], s[4:5], s[8:9]
	s_or_b64 exec, exec, s[6:7]
	s_and_saveexec_b64 s[6:7], s[4:5]
	s_cbranch_execnz .LBB47_1891
	s_branch .LBB47_1892
.LBB47_3941:
	s_movk_i32 s4, 0x80
	v_cmp_eq_u16_sdwa s[12:13], v11, s4 src0_sel:BYTE_0 src1_sel:DWORD
	s_mov_b64 s[4:5], -1
                                        ; implicit-def: $sgpr10
	s_and_saveexec_b64 s[8:9], s[12:13]
; %bb.3942:
	s_mov_b32 s10, 0x7f800001
	s_xor_b64 s[4:5], exec, -1
; %bb.3943:
	s_or_b64 exec, exec, s[8:9]
	s_and_b64 s[4:5], s[4:5], exec
	s_or_saveexec_b64 s[6:7], s[6:7]
	v_mov_b32_e32 v9, s10
	s_xor_b64 exec, exec, s[6:7]
	s_cbranch_execz .LBB47_1894
.LBB47_3944:
	v_mov_b32_e32 v9, 0
	v_cmp_ne_u16_sdwa s[8:9], v11, v9 src0_sel:BYTE_0 src1_sel:DWORD
	s_andn2_b64 s[4:5], s[4:5], exec
	s_and_b64 s[8:9], s[8:9], exec
	s_or_b64 s[4:5], s[4:5], s[8:9]
	s_or_b64 exec, exec, s[6:7]
	s_and_saveexec_b64 s[6:7], s[4:5]
	s_cbranch_execnz .LBB47_1895
	s_branch .LBB47_1896
.LBB47_3945:
	s_movk_i32 s4, 0x80
	v_cmp_eq_u16_sdwa s[12:13], v9, s4 src0_sel:BYTE_0 src1_sel:DWORD
	s_mov_b64 s[4:5], -1
                                        ; implicit-def: $sgpr10
	s_and_saveexec_b64 s[8:9], s[12:13]
; %bb.3946:
	s_mov_b32 s10, 0x7f800001
	s_xor_b64 s[4:5], exec, -1
; %bb.3947:
	s_or_b64 exec, exec, s[8:9]
	s_and_b64 s[4:5], s[4:5], exec
	s_or_saveexec_b64 s[6:7], s[6:7]
	v_mov_b32_e32 v8, s10
	s_xor_b64 exec, exec, s[6:7]
	s_cbranch_execz .LBB47_1898
.LBB47_3948:
	v_mov_b32_e32 v8, 0
	v_cmp_ne_u16_sdwa s[8:9], v9, v8 src0_sel:BYTE_0 src1_sel:DWORD
	s_andn2_b64 s[4:5], s[4:5], exec
	s_and_b64 s[8:9], s[8:9], exec
	s_or_b64 s[4:5], s[4:5], s[8:9]
	s_or_b64 exec, exec, s[6:7]
	s_and_saveexec_b64 s[6:7], s[4:5]
	s_cbranch_execnz .LBB47_1899
	s_branch .LBB47_1900
.LBB47_3949:
	s_movk_i32 s4, 0x80
	v_cmp_eq_u16_sdwa s[12:13], v9, s4 src0_sel:BYTE_0 src1_sel:DWORD
	s_mov_b64 s[4:5], -1
                                        ; implicit-def: $sgpr10
	s_and_saveexec_b64 s[8:9], s[12:13]
; %bb.3950:
	s_mov_b32 s10, 0x7f800001
	s_xor_b64 s[4:5], exec, -1
; %bb.3951:
	s_or_b64 exec, exec, s[8:9]
	s_and_b64 s[4:5], s[4:5], exec
	s_or_saveexec_b64 s[6:7], s[6:7]
	v_mov_b32_e32 v10, s10
	s_xor_b64 exec, exec, s[6:7]
	s_cbranch_execz .LBB47_1902
.LBB47_3952:
	v_mov_b32_e32 v10, 0
	v_cmp_ne_u16_sdwa s[8:9], v9, v10 src0_sel:BYTE_0 src1_sel:DWORD
	s_andn2_b64 s[4:5], s[4:5], exec
	s_and_b64 s[8:9], s[8:9], exec
	s_or_b64 s[4:5], s[4:5], s[8:9]
	s_or_b64 exec, exec, s[6:7]
	s_and_saveexec_b64 s[6:7], s[4:5]
	s_cbranch_execnz .LBB47_1903
	s_branch .LBB47_1904
.LBB47_3953:
	s_movk_i32 s4, 0x80
	v_cmp_eq_u16_e32 vcc, s4, v9
	s_mov_b64 s[4:5], -1
                                        ; implicit-def: $sgpr10
	s_and_saveexec_b64 s[8:9], vcc
; %bb.3954:
	s_mov_b32 s10, 0x7f800001
	s_xor_b64 s[4:5], exec, -1
; %bb.3955:
	s_or_b64 exec, exec, s[8:9]
	s_and_b64 s[4:5], s[4:5], exec
                                        ; implicit-def: $vgpr9
	s_or_saveexec_b64 s[6:7], s[6:7]
	v_mov_b32_e32 v8, s10
	s_xor_b64 exec, exec, s[6:7]
	s_cbranch_execz .LBB47_1906
.LBB47_3956:
	v_cmp_ne_u16_e32 vcc, 0, v9
	s_andn2_b64 s[4:5], s[4:5], exec
	s_and_b64 s[8:9], vcc, exec
	v_mov_b32_e32 v8, 0
	s_or_b64 s[4:5], s[4:5], s[8:9]
	s_or_b64 exec, exec, s[6:7]
	s_and_saveexec_b64 s[6:7], s[4:5]
	s_cbranch_execnz .LBB47_1907
	s_branch .LBB47_1908
.LBB47_3957:
	s_movk_i32 s4, 0x80
	v_cmp_eq_u16_e32 vcc, s4, v9
	s_mov_b64 s[4:5], -1
                                        ; implicit-def: $sgpr10
	s_and_saveexec_b64 s[8:9], vcc
; %bb.3958:
	s_mov_b32 s10, 0x7f800001
	s_xor_b64 s[4:5], exec, -1
; %bb.3959:
	s_or_b64 exec, exec, s[8:9]
	s_and_b64 s[4:5], s[4:5], exec
                                        ; implicit-def: $vgpr9
	s_or_saveexec_b64 s[6:7], s[6:7]
	v_mov_b32_e32 v10, s10
	s_xor_b64 exec, exec, s[6:7]
	s_cbranch_execz .LBB47_1910
.LBB47_3960:
	v_cmp_ne_u16_e32 vcc, 0, v9
	s_andn2_b64 s[4:5], s[4:5], exec
	s_and_b64 s[8:9], vcc, exec
	v_mov_b32_e32 v10, 0
	s_or_b64 s[4:5], s[4:5], s[8:9]
	s_or_b64 exec, exec, s[6:7]
	s_and_saveexec_b64 s[6:7], s[4:5]
	s_cbranch_execnz .LBB47_1911
	s_branch .LBB47_1912
.LBB47_3961:
	s_movk_i32 s4, 0x80
	v_cmp_eq_u16_sdwa s[12:13], v15, s4 src0_sel:BYTE_3 src1_sel:DWORD
	s_mov_b64 s[4:5], -1
                                        ; implicit-def: $sgpr10
	s_and_saveexec_b64 s[8:9], s[12:13]
; %bb.3962:
	s_mov_b32 s10, 0x7f800001
	s_xor_b64 s[4:5], exec, -1
; %bb.3963:
	s_or_b64 exec, exec, s[8:9]
	s_and_b64 s[4:5], s[4:5], exec
	s_or_saveexec_b64 s[6:7], s[6:7]
	v_mov_b32_e32 v8, s10
	s_xor_b64 exec, exec, s[6:7]
	s_cbranch_execz .LBB47_1914
.LBB47_3964:
	v_mov_b32_e32 v8, 0
	v_cmp_ne_u16_sdwa s[8:9], v15, v8 src0_sel:BYTE_3 src1_sel:DWORD
	s_andn2_b64 s[4:5], s[4:5], exec
	s_and_b64 s[8:9], s[8:9], exec
	s_or_b64 s[4:5], s[4:5], s[8:9]
	s_or_b64 exec, exec, s[6:7]
	s_and_saveexec_b64 s[6:7], s[4:5]
	s_cbranch_execnz .LBB47_1915
	s_branch .LBB47_1916
.LBB47_3965:
	s_movk_i32 s4, 0x80
	v_cmp_eq_u16_sdwa s[12:13], v11, s4 src0_sel:BYTE_3 src1_sel:DWORD
	s_mov_b64 s[4:5], -1
                                        ; implicit-def: $sgpr10
	s_and_saveexec_b64 s[8:9], s[12:13]
; %bb.3966:
	s_mov_b32 s10, 0x7f800001
	s_xor_b64 s[4:5], exec, -1
; %bb.3967:
	s_or_b64 exec, exec, s[8:9]
	s_and_b64 s[4:5], s[4:5], exec
	s_or_saveexec_b64 s[6:7], s[6:7]
	v_mov_b32_e32 v9, s10
	s_xor_b64 exec, exec, s[6:7]
	s_cbranch_execz .LBB47_1918
.LBB47_3968:
	v_mov_b32_e32 v9, 0
	v_cmp_ne_u16_sdwa s[8:9], v11, v9 src0_sel:BYTE_3 src1_sel:DWORD
	s_andn2_b64 s[4:5], s[4:5], exec
	s_and_b64 s[8:9], s[8:9], exec
	s_or_b64 s[4:5], s[4:5], s[8:9]
	s_or_b64 exec, exec, s[6:7]
	s_and_saveexec_b64 s[6:7], s[4:5]
	s_cbranch_execnz .LBB47_1919
	s_branch .LBB47_1920
.LBB47_3969:
	s_movk_i32 s4, 0x80
	v_cmp_eq_u16_sdwa s[12:13], v4, s4 src0_sel:BYTE_0 src1_sel:DWORD
	s_mov_b64 s[4:5], -1
                                        ; implicit-def: $sgpr10
	s_and_saveexec_b64 s[8:9], s[12:13]
; %bb.3970:
	s_mov_b32 s10, 0x7f800001
	s_xor_b64 s[4:5], exec, -1
; %bb.3971:
	s_or_b64 exec, exec, s[8:9]
	s_and_b64 s[4:5], s[4:5], exec
	s_or_saveexec_b64 s[6:7], s[6:7]
	v_mov_b32_e32 v8, s10
	s_xor_b64 exec, exec, s[6:7]
	s_cbranch_execz .LBB47_1922
.LBB47_3972:
	v_mov_b32_e32 v8, 0
	v_cmp_ne_u16_sdwa s[8:9], v4, v8 src0_sel:BYTE_0 src1_sel:DWORD
	s_andn2_b64 s[4:5], s[4:5], exec
	s_and_b64 s[8:9], s[8:9], exec
	s_or_b64 s[4:5], s[4:5], s[8:9]
	s_or_b64 exec, exec, s[6:7]
	s_and_saveexec_b64 s[6:7], s[4:5]
	s_cbranch_execnz .LBB47_1923
	s_branch .LBB47_1924
.LBB47_3973:
	s_movk_i32 s4, 0x80
	v_cmp_eq_u16_sdwa s[12:13], v0, s4 src0_sel:BYTE_0 src1_sel:DWORD
	s_mov_b64 s[4:5], -1
                                        ; implicit-def: $sgpr10
	s_and_saveexec_b64 s[8:9], s[12:13]
; %bb.3974:
	s_mov_b32 s10, 0x7f800001
	s_xor_b64 s[4:5], exec, -1
; %bb.3975:
	s_or_b64 exec, exec, s[8:9]
	s_and_b64 s[4:5], s[4:5], exec
	s_or_saveexec_b64 s[6:7], s[6:7]
	v_mov_b32_e32 v9, s10
	s_xor_b64 exec, exec, s[6:7]
	s_cbranch_execz .LBB47_1926
.LBB47_3976:
	v_mov_b32_e32 v9, 0
	v_cmp_ne_u16_sdwa s[8:9], v0, v9 src0_sel:BYTE_0 src1_sel:DWORD
	s_andn2_b64 s[4:5], s[4:5], exec
	s_and_b64 s[8:9], s[8:9], exec
	s_or_b64 s[4:5], s[4:5], s[8:9]
	s_or_b64 exec, exec, s[6:7]
	s_and_saveexec_b64 s[6:7], s[4:5]
	s_cbranch_execnz .LBB47_1927
	s_branch .LBB47_1928
.LBB47_3977:
	s_movk_i32 s4, 0x80
	v_cmp_eq_u16_sdwa s[12:13], v9, s4 src0_sel:BYTE_0 src1_sel:DWORD
	s_mov_b64 s[4:5], -1
                                        ; implicit-def: $sgpr10
	s_and_saveexec_b64 s[8:9], s[12:13]
; %bb.3978:
	s_mov_b32 s10, 0x7f800001
	s_xor_b64 s[4:5], exec, -1
; %bb.3979:
	s_or_b64 exec, exec, s[8:9]
	s_and_b64 s[4:5], s[4:5], exec
	s_or_saveexec_b64 s[6:7], s[6:7]
	v_mov_b32_e32 v8, s10
	s_xor_b64 exec, exec, s[6:7]
	s_cbranch_execz .LBB47_1930
.LBB47_3980:
	v_mov_b32_e32 v8, 0
	v_cmp_ne_u16_sdwa s[8:9], v9, v8 src0_sel:BYTE_0 src1_sel:DWORD
	s_andn2_b64 s[4:5], s[4:5], exec
	s_and_b64 s[8:9], s[8:9], exec
	s_or_b64 s[4:5], s[4:5], s[8:9]
	s_or_b64 exec, exec, s[6:7]
	s_and_saveexec_b64 s[6:7], s[4:5]
	s_cbranch_execnz .LBB47_1931
	s_branch .LBB47_1932
.LBB47_3981:
	s_movk_i32 s4, 0x80
	v_cmp_eq_u16_sdwa s[12:13], v9, s4 src0_sel:BYTE_0 src1_sel:DWORD
	s_mov_b64 s[4:5], -1
                                        ; implicit-def: $sgpr10
	s_and_saveexec_b64 s[8:9], s[12:13]
; %bb.3982:
	s_mov_b32 s10, 0x7f800001
	s_xor_b64 s[4:5], exec, -1
; %bb.3983:
	s_or_b64 exec, exec, s[8:9]
	s_and_b64 s[4:5], s[4:5], exec
	s_or_saveexec_b64 s[6:7], s[6:7]
	v_mov_b32_e32 v10, s10
	s_xor_b64 exec, exec, s[6:7]
	s_cbranch_execz .LBB47_1934
.LBB47_3984:
	v_mov_b32_e32 v10, 0
	v_cmp_ne_u16_sdwa s[8:9], v9, v10 src0_sel:BYTE_0 src1_sel:DWORD
	s_andn2_b64 s[4:5], s[4:5], exec
	s_and_b64 s[8:9], s[8:9], exec
	s_or_b64 s[4:5], s[4:5], s[8:9]
	s_or_b64 exec, exec, s[6:7]
	s_and_saveexec_b64 s[6:7], s[4:5]
	s_cbranch_execnz .LBB47_1935
	s_branch .LBB47_1936
.LBB47_3985:
	s_movk_i32 s4, 0x80
	v_cmp_eq_u16_e32 vcc, s4, v9
	s_mov_b64 s[4:5], -1
                                        ; implicit-def: $sgpr10
	s_and_saveexec_b64 s[8:9], vcc
; %bb.3986:
	s_mov_b32 s10, 0x7f800001
	s_xor_b64 s[4:5], exec, -1
; %bb.3987:
	s_or_b64 exec, exec, s[8:9]
	s_and_b64 s[4:5], s[4:5], exec
                                        ; implicit-def: $vgpr9
	s_or_saveexec_b64 s[6:7], s[6:7]
	v_mov_b32_e32 v8, s10
	s_xor_b64 exec, exec, s[6:7]
	s_cbranch_execz .LBB47_1938
.LBB47_3988:
	v_cmp_ne_u16_e32 vcc, 0, v9
	s_andn2_b64 s[4:5], s[4:5], exec
	s_and_b64 s[8:9], vcc, exec
	v_mov_b32_e32 v8, 0
	s_or_b64 s[4:5], s[4:5], s[8:9]
	s_or_b64 exec, exec, s[6:7]
	s_and_saveexec_b64 s[6:7], s[4:5]
	s_cbranch_execnz .LBB47_1939
	s_branch .LBB47_1940
.LBB47_3989:
	s_movk_i32 s4, 0x80
	v_cmp_eq_u16_e32 vcc, s4, v9
	s_mov_b64 s[4:5], -1
                                        ; implicit-def: $sgpr10
	s_and_saveexec_b64 s[8:9], vcc
; %bb.3990:
	s_mov_b32 s10, 0x7f800001
	s_xor_b64 s[4:5], exec, -1
; %bb.3991:
	s_or_b64 exec, exec, s[8:9]
	s_and_b64 s[4:5], s[4:5], exec
                                        ; implicit-def: $vgpr9
	s_or_saveexec_b64 s[6:7], s[6:7]
	v_mov_b32_e32 v10, s10
	s_xor_b64 exec, exec, s[6:7]
	s_cbranch_execz .LBB47_1942
.LBB47_3992:
	v_cmp_ne_u16_e32 vcc, 0, v9
	s_andn2_b64 s[4:5], s[4:5], exec
	s_and_b64 s[8:9], vcc, exec
	v_mov_b32_e32 v10, 0
	s_or_b64 s[4:5], s[4:5], s[8:9]
	s_or_b64 exec, exec, s[6:7]
	s_and_saveexec_b64 s[6:7], s[4:5]
	s_cbranch_execnz .LBB47_1943
	s_branch .LBB47_1944
.LBB47_3993:
	s_movk_i32 s4, 0x80
	v_cmp_eq_u16_sdwa s[12:13], v4, s4 src0_sel:BYTE_3 src1_sel:DWORD
	s_mov_b64 s[4:5], -1
                                        ; implicit-def: $sgpr10
	s_and_saveexec_b64 s[8:9], s[12:13]
; %bb.3994:
	s_mov_b32 s10, 0x7f800001
	s_xor_b64 s[4:5], exec, -1
; %bb.3995:
	s_or_b64 exec, exec, s[8:9]
	s_and_b64 s[4:5], s[4:5], exec
	s_or_saveexec_b64 s[6:7], s[6:7]
	v_mov_b32_e32 v8, s10
	s_xor_b64 exec, exec, s[6:7]
	s_cbranch_execz .LBB47_1946
.LBB47_3996:
	v_mov_b32_e32 v8, 0
	v_cmp_ne_u16_sdwa s[8:9], v4, v8 src0_sel:BYTE_3 src1_sel:DWORD
	s_andn2_b64 s[4:5], s[4:5], exec
	s_and_b64 s[8:9], s[8:9], exec
	s_or_b64 s[4:5], s[4:5], s[8:9]
	s_or_b64 exec, exec, s[6:7]
	s_and_saveexec_b64 s[6:7], s[4:5]
	s_cbranch_execnz .LBB47_1947
	s_branch .LBB47_1948
.LBB47_3997:
	s_movk_i32 s4, 0x80
	v_cmp_eq_u16_sdwa s[12:13], v0, s4 src0_sel:BYTE_3 src1_sel:DWORD
	s_mov_b64 s[4:5], -1
                                        ; implicit-def: $sgpr10
	s_and_saveexec_b64 s[8:9], s[12:13]
; %bb.3998:
	s_mov_b32 s10, 0x7f800001
	s_xor_b64 s[4:5], exec, -1
; %bb.3999:
	s_or_b64 exec, exec, s[8:9]
	s_and_b64 s[4:5], s[4:5], exec
	s_or_saveexec_b64 s[6:7], s[6:7]
	v_mov_b32_e32 v4, s10
	s_xor_b64 exec, exec, s[6:7]
	s_cbranch_execz .LBB47_1950
.LBB47_4000:
	v_mov_b32_e32 v4, 0
	v_cmp_ne_u16_sdwa s[8:9], v0, v4 src0_sel:BYTE_3 src1_sel:DWORD
	s_andn2_b64 s[4:5], s[4:5], exec
	s_and_b64 s[8:9], s[8:9], exec
	s_or_b64 s[4:5], s[4:5], s[8:9]
	s_or_b64 exec, exec, s[6:7]
	s_and_saveexec_b64 s[6:7], s[4:5]
	s_cbranch_execnz .LBB47_1951
	s_branch .LBB47_1952
.LBB47_4001:
	s_movk_i32 s4, 0x80
	v_cmp_eq_u16_sdwa s[12:13], v5, s4 src0_sel:BYTE_0 src1_sel:DWORD
	s_mov_b64 s[4:5], -1
                                        ; implicit-def: $sgpr10
	s_and_saveexec_b64 s[8:9], s[12:13]
; %bb.4002:
	s_mov_b32 s10, 0x7f800001
	s_xor_b64 s[4:5], exec, -1
; %bb.4003:
	s_or_b64 exec, exec, s[8:9]
	s_and_b64 s[4:5], s[4:5], exec
	s_or_saveexec_b64 s[6:7], s[6:7]
	v_mov_b32_e32 v0, s10
	s_xor_b64 exec, exec, s[6:7]
	s_cbranch_execz .LBB47_1954
.LBB47_4004:
	v_mov_b32_e32 v0, 0
	v_cmp_ne_u16_sdwa s[8:9], v5, v0 src0_sel:BYTE_0 src1_sel:DWORD
	s_andn2_b64 s[4:5], s[4:5], exec
	s_and_b64 s[8:9], s[8:9], exec
	s_or_b64 s[4:5], s[4:5], s[8:9]
	s_or_b64 exec, exec, s[6:7]
	s_and_saveexec_b64 s[6:7], s[4:5]
	s_cbranch_execnz .LBB47_1955
	s_branch .LBB47_1956
.LBB47_4005:
	s_movk_i32 s4, 0x80
	v_cmp_eq_u16_sdwa s[12:13], v1, s4 src0_sel:BYTE_0 src1_sel:DWORD
	s_mov_b64 s[4:5], -1
                                        ; implicit-def: $sgpr10
	s_and_saveexec_b64 s[8:9], s[12:13]
; %bb.4006:
	s_mov_b32 s10, 0x7f800001
	s_xor_b64 s[4:5], exec, -1
; %bb.4007:
	s_or_b64 exec, exec, s[8:9]
	s_and_b64 s[4:5], s[4:5], exec
	s_or_saveexec_b64 s[6:7], s[6:7]
	v_mov_b32_e32 v4, s10
	s_xor_b64 exec, exec, s[6:7]
	s_cbranch_execz .LBB47_1958
.LBB47_4008:
	v_mov_b32_e32 v4, 0
	v_cmp_ne_u16_sdwa s[8:9], v1, v4 src0_sel:BYTE_0 src1_sel:DWORD
	s_andn2_b64 s[4:5], s[4:5], exec
	s_and_b64 s[8:9], s[8:9], exec
	s_or_b64 s[4:5], s[4:5], s[8:9]
	s_or_b64 exec, exec, s[6:7]
	s_and_saveexec_b64 s[6:7], s[4:5]
	s_cbranch_execnz .LBB47_1959
	s_branch .LBB47_1960
.LBB47_4009:
	s_movk_i32 s4, 0x80
	v_cmp_eq_u16_sdwa s[12:13], v4, s4 src0_sel:BYTE_0 src1_sel:DWORD
	s_mov_b64 s[4:5], -1
                                        ; implicit-def: $sgpr10
	s_and_saveexec_b64 s[8:9], s[12:13]
; %bb.4010:
	s_mov_b32 s10, 0x7f800001
	s_xor_b64 s[4:5], exec, -1
; %bb.4011:
	s_or_b64 exec, exec, s[8:9]
	s_and_b64 s[4:5], s[4:5], exec
	s_or_saveexec_b64 s[6:7], s[6:7]
	v_mov_b32_e32 v0, s10
	s_xor_b64 exec, exec, s[6:7]
	s_cbranch_execz .LBB47_1962
.LBB47_4012:
	v_mov_b32_e32 v0, 0
	v_cmp_ne_u16_sdwa s[8:9], v4, v0 src0_sel:BYTE_0 src1_sel:DWORD
	s_andn2_b64 s[4:5], s[4:5], exec
	s_and_b64 s[8:9], s[8:9], exec
	s_or_b64 s[4:5], s[4:5], s[8:9]
	s_or_b64 exec, exec, s[6:7]
	s_and_saveexec_b64 s[6:7], s[4:5]
	s_cbranch_execnz .LBB47_1963
	s_branch .LBB47_1964
.LBB47_4013:
	s_movk_i32 s4, 0x80
	v_cmp_eq_u16_sdwa s[12:13], v4, s4 src0_sel:BYTE_0 src1_sel:DWORD
	s_mov_b64 s[4:5], -1
                                        ; implicit-def: $sgpr10
	s_and_saveexec_b64 s[8:9], s[12:13]
; %bb.4014:
	s_mov_b32 s10, 0x7f800001
	s_xor_b64 s[4:5], exec, -1
; %bb.4015:
	s_or_b64 exec, exec, s[8:9]
	s_and_b64 s[4:5], s[4:5], exec
	s_or_saveexec_b64 s[6:7], s[6:7]
	v_mov_b32_e32 v8, s10
	s_xor_b64 exec, exec, s[6:7]
	s_cbranch_execz .LBB47_1966
.LBB47_4016:
	v_mov_b32_e32 v8, 0
	v_cmp_ne_u16_sdwa s[8:9], v4, v8 src0_sel:BYTE_0 src1_sel:DWORD
	s_andn2_b64 s[4:5], s[4:5], exec
	s_and_b64 s[8:9], s[8:9], exec
	s_or_b64 s[4:5], s[4:5], s[8:9]
	s_or_b64 exec, exec, s[6:7]
	s_and_saveexec_b64 s[6:7], s[4:5]
	s_cbranch_execnz .LBB47_1967
	s_branch .LBB47_1968
.LBB47_4017:
	s_movk_i32 s4, 0x80
	v_cmp_eq_u16_e32 vcc, s4, v4
	s_mov_b64 s[4:5], -1
                                        ; implicit-def: $sgpr10
	s_and_saveexec_b64 s[8:9], vcc
; %bb.4018:
	s_mov_b32 s10, 0x7f800001
	s_xor_b64 s[4:5], exec, -1
; %bb.4019:
	s_or_b64 exec, exec, s[8:9]
	s_and_b64 s[4:5], s[4:5], exec
                                        ; implicit-def: $vgpr4
	s_or_saveexec_b64 s[6:7], s[6:7]
	v_mov_b32_e32 v0, s10
	s_xor_b64 exec, exec, s[6:7]
	s_cbranch_execz .LBB47_1970
.LBB47_4020:
	v_cmp_ne_u16_e32 vcc, 0, v4
	s_andn2_b64 s[4:5], s[4:5], exec
	s_and_b64 s[8:9], vcc, exec
	v_mov_b32_e32 v0, 0
	s_or_b64 s[4:5], s[4:5], s[8:9]
	s_or_b64 exec, exec, s[6:7]
	s_and_saveexec_b64 s[6:7], s[4:5]
	s_cbranch_execnz .LBB47_1971
	s_branch .LBB47_1972
.LBB47_4021:
	s_movk_i32 s4, 0x80
	v_cmp_eq_u16_e32 vcc, s4, v4
	s_mov_b64 s[4:5], -1
                                        ; implicit-def: $sgpr10
	s_and_saveexec_b64 s[8:9], vcc
; %bb.4022:
	s_mov_b32 s10, 0x7f800001
	s_xor_b64 s[4:5], exec, -1
; %bb.4023:
	s_or_b64 exec, exec, s[8:9]
	s_and_b64 s[4:5], s[4:5], exec
                                        ; implicit-def: $vgpr4
	s_or_saveexec_b64 s[6:7], s[6:7]
	v_mov_b32_e32 v8, s10
	s_xor_b64 exec, exec, s[6:7]
	s_cbranch_execz .LBB47_1974
.LBB47_4024:
	v_cmp_ne_u16_e32 vcc, 0, v4
	s_andn2_b64 s[4:5], s[4:5], exec
	s_and_b64 s[8:9], vcc, exec
	v_mov_b32_e32 v8, 0
	s_or_b64 s[4:5], s[4:5], s[8:9]
	s_or_b64 exec, exec, s[6:7]
	s_and_saveexec_b64 s[6:7], s[4:5]
	s_cbranch_execnz .LBB47_1975
	s_branch .LBB47_1976
.LBB47_4025:
	s_movk_i32 s4, 0x80
	v_cmp_eq_u16_sdwa s[12:13], v5, s4 src0_sel:BYTE_3 src1_sel:DWORD
	s_mov_b64 s[4:5], -1
                                        ; implicit-def: $sgpr10
	s_and_saveexec_b64 s[8:9], s[12:13]
; %bb.4026:
	s_mov_b32 s10, 0x7f800001
	s_xor_b64 s[4:5], exec, -1
; %bb.4027:
	s_or_b64 exec, exec, s[8:9]
	s_and_b64 s[4:5], s[4:5], exec
	s_or_saveexec_b64 s[6:7], s[6:7]
	v_mov_b32_e32 v0, s10
	s_xor_b64 exec, exec, s[6:7]
	s_cbranch_execz .LBB47_1978
.LBB47_4028:
	v_mov_b32_e32 v0, 0
	v_cmp_ne_u16_sdwa s[8:9], v5, v0 src0_sel:BYTE_3 src1_sel:DWORD
	s_andn2_b64 s[4:5], s[4:5], exec
	s_and_b64 s[8:9], s[8:9], exec
	s_or_b64 s[4:5], s[4:5], s[8:9]
	s_or_b64 exec, exec, s[6:7]
	s_and_saveexec_b64 s[6:7], s[4:5]
	s_cbranch_execnz .LBB47_1979
	s_branch .LBB47_1980
.LBB47_4029:
	s_movk_i32 s4, 0x80
	v_cmp_eq_u16_sdwa s[12:13], v1, s4 src0_sel:BYTE_3 src1_sel:DWORD
	s_mov_b64 s[4:5], -1
                                        ; implicit-def: $sgpr10
	s_and_saveexec_b64 s[8:9], s[12:13]
; %bb.4030:
	s_mov_b32 s10, 0x7f800001
	s_xor_b64 s[4:5], exec, -1
; %bb.4031:
	s_or_b64 exec, exec, s[8:9]
	s_and_b64 s[4:5], s[4:5], exec
	s_or_saveexec_b64 s[6:7], s[6:7]
	v_mov_b32_e32 v4, s10
	s_xor_b64 exec, exec, s[6:7]
	s_cbranch_execz .LBB47_1982
.LBB47_4032:
	v_mov_b32_e32 v4, 0
	v_cmp_ne_u16_sdwa s[8:9], v1, v4 src0_sel:BYTE_3 src1_sel:DWORD
	s_andn2_b64 s[4:5], s[4:5], exec
	s_and_b64 s[8:9], s[8:9], exec
	s_or_b64 s[4:5], s[4:5], s[8:9]
	s_or_b64 exec, exec, s[6:7]
	s_and_saveexec_b64 s[6:7], s[4:5]
	s_cbranch_execnz .LBB47_1983
	s_branch .LBB47_1984
.LBB47_4033:
	s_movk_i32 s4, 0x80
	v_cmp_eq_u16_sdwa s[12:13], v6, s4 src0_sel:BYTE_0 src1_sel:DWORD
	s_mov_b64 s[4:5], -1
                                        ; implicit-def: $sgpr10
	s_and_saveexec_b64 s[8:9], s[12:13]
; %bb.4034:
	s_mov_b32 s10, 0x7f800001
	s_xor_b64 s[4:5], exec, -1
; %bb.4035:
	s_or_b64 exec, exec, s[8:9]
	s_and_b64 s[4:5], s[4:5], exec
	s_or_saveexec_b64 s[6:7], s[6:7]
	v_mov_b32_e32 v0, s10
	s_xor_b64 exec, exec, s[6:7]
	s_cbranch_execz .LBB47_1986
.LBB47_4036:
	v_mov_b32_e32 v0, 0
	v_cmp_ne_u16_sdwa s[8:9], v6, v0 src0_sel:BYTE_0 src1_sel:DWORD
	s_andn2_b64 s[4:5], s[4:5], exec
	s_and_b64 s[8:9], s[8:9], exec
	s_or_b64 s[4:5], s[4:5], s[8:9]
	s_or_b64 exec, exec, s[6:7]
	s_and_saveexec_b64 s[6:7], s[4:5]
	s_cbranch_execnz .LBB47_1987
	s_branch .LBB47_1988
.LBB47_4037:
	s_movk_i32 s4, 0x80
	v_cmp_eq_u16_sdwa s[12:13], v2, s4 src0_sel:BYTE_0 src1_sel:DWORD
	s_mov_b64 s[4:5], -1
                                        ; implicit-def: $sgpr10
	s_and_saveexec_b64 s[8:9], s[12:13]
; %bb.4038:
	s_mov_b32 s10, 0x7f800001
	s_xor_b64 s[4:5], exec, -1
; %bb.4039:
	s_or_b64 exec, exec, s[8:9]
	s_and_b64 s[4:5], s[4:5], exec
	s_or_saveexec_b64 s[6:7], s[6:7]
	v_mov_b32_e32 v1, s10
	s_xor_b64 exec, exec, s[6:7]
	s_cbranch_execz .LBB47_1990
.LBB47_4040:
	v_mov_b32_e32 v1, 0
	v_cmp_ne_u16_sdwa s[8:9], v2, v1 src0_sel:BYTE_0 src1_sel:DWORD
	s_andn2_b64 s[4:5], s[4:5], exec
	s_and_b64 s[8:9], s[8:9], exec
	s_or_b64 s[4:5], s[4:5], s[8:9]
	s_or_b64 exec, exec, s[6:7]
	s_and_saveexec_b64 s[6:7], s[4:5]
	s_cbranch_execnz .LBB47_1991
	s_branch .LBB47_1992
.LBB47_4041:
	s_movk_i32 s4, 0x80
	v_cmp_eq_u16_sdwa s[12:13], v1, s4 src0_sel:BYTE_0 src1_sel:DWORD
	s_mov_b64 s[4:5], -1
                                        ; implicit-def: $sgpr10
	s_and_saveexec_b64 s[8:9], s[12:13]
; %bb.4042:
	s_mov_b32 s10, 0x7f800001
	s_xor_b64 s[4:5], exec, -1
; %bb.4043:
	s_or_b64 exec, exec, s[8:9]
	s_and_b64 s[4:5], s[4:5], exec
	s_or_saveexec_b64 s[6:7], s[6:7]
	v_mov_b32_e32 v0, s10
	s_xor_b64 exec, exec, s[6:7]
	s_cbranch_execz .LBB47_1994
.LBB47_4044:
	v_mov_b32_e32 v0, 0
	v_cmp_ne_u16_sdwa s[8:9], v1, v0 src0_sel:BYTE_0 src1_sel:DWORD
	s_andn2_b64 s[4:5], s[4:5], exec
	s_and_b64 s[8:9], s[8:9], exec
	s_or_b64 s[4:5], s[4:5], s[8:9]
	s_or_b64 exec, exec, s[6:7]
	s_and_saveexec_b64 s[6:7], s[4:5]
	s_cbranch_execnz .LBB47_1995
	s_branch .LBB47_1996
.LBB47_4045:
	s_movk_i32 s4, 0x80
	v_cmp_eq_u16_sdwa s[12:13], v1, s4 src0_sel:BYTE_0 src1_sel:DWORD
	s_mov_b64 s[4:5], -1
                                        ; implicit-def: $sgpr10
	s_and_saveexec_b64 s[8:9], s[12:13]
; %bb.4046:
	s_mov_b32 s10, 0x7f800001
	s_xor_b64 s[4:5], exec, -1
; %bb.4047:
	s_or_b64 exec, exec, s[8:9]
	s_and_b64 s[4:5], s[4:5], exec
	s_or_saveexec_b64 s[6:7], s[6:7]
	v_mov_b32_e32 v4, s10
	s_xor_b64 exec, exec, s[6:7]
	s_cbranch_execz .LBB47_1998
.LBB47_4048:
	v_mov_b32_e32 v4, 0
	v_cmp_ne_u16_sdwa s[8:9], v1, v4 src0_sel:BYTE_0 src1_sel:DWORD
	s_andn2_b64 s[4:5], s[4:5], exec
	s_and_b64 s[8:9], s[8:9], exec
	s_or_b64 s[4:5], s[4:5], s[8:9]
	s_or_b64 exec, exec, s[6:7]
	s_and_saveexec_b64 s[6:7], s[4:5]
	s_cbranch_execnz .LBB47_1999
	s_branch .LBB47_2000
.LBB47_4049:
	s_movk_i32 s4, 0x80
	v_cmp_eq_u16_e32 vcc, s4, v1
	s_mov_b64 s[4:5], -1
                                        ; implicit-def: $sgpr10
	s_and_saveexec_b64 s[8:9], vcc
; %bb.4050:
	s_mov_b32 s10, 0x7f800001
	s_xor_b64 s[4:5], exec, -1
; %bb.4051:
	s_or_b64 exec, exec, s[8:9]
	s_and_b64 s[4:5], s[4:5], exec
                                        ; implicit-def: $vgpr1
	s_or_saveexec_b64 s[6:7], s[6:7]
	v_mov_b32_e32 v0, s10
	s_xor_b64 exec, exec, s[6:7]
	s_cbranch_execz .LBB47_2002
.LBB47_4052:
	v_cmp_ne_u16_e32 vcc, 0, v1
	s_andn2_b64 s[4:5], s[4:5], exec
	s_and_b64 s[8:9], vcc, exec
	v_mov_b32_e32 v0, 0
	s_or_b64 s[4:5], s[4:5], s[8:9]
	s_or_b64 exec, exec, s[6:7]
	s_and_saveexec_b64 s[6:7], s[4:5]
	s_cbranch_execnz .LBB47_2003
	s_branch .LBB47_2004
.LBB47_4053:
	s_movk_i32 s4, 0x80
	v_cmp_eq_u16_e32 vcc, s4, v1
	s_mov_b64 s[4:5], -1
                                        ; implicit-def: $sgpr10
	s_and_saveexec_b64 s[8:9], vcc
; %bb.4054:
	s_mov_b32 s10, 0x7f800001
	s_xor_b64 s[4:5], exec, -1
; %bb.4055:
	s_or_b64 exec, exec, s[8:9]
	s_and_b64 s[4:5], s[4:5], exec
                                        ; implicit-def: $vgpr1
	s_or_saveexec_b64 s[6:7], s[6:7]
	v_mov_b32_e32 v4, s10
	s_xor_b64 exec, exec, s[6:7]
	s_cbranch_execz .LBB47_2006
.LBB47_4056:
	v_cmp_ne_u16_e32 vcc, 0, v1
	s_andn2_b64 s[4:5], s[4:5], exec
	s_and_b64 s[8:9], vcc, exec
	v_mov_b32_e32 v4, 0
	s_or_b64 s[4:5], s[4:5], s[8:9]
	s_or_b64 exec, exec, s[6:7]
	s_and_saveexec_b64 s[6:7], s[4:5]
	s_cbranch_execnz .LBB47_2007
	s_branch .LBB47_2008
.LBB47_4057:
	s_movk_i32 s4, 0x80
	v_cmp_eq_u16_sdwa s[12:13], v6, s4 src0_sel:BYTE_3 src1_sel:DWORD
	s_mov_b64 s[4:5], -1
                                        ; implicit-def: $sgpr10
	s_and_saveexec_b64 s[8:9], s[12:13]
; %bb.4058:
	s_mov_b32 s10, 0x7f800001
	s_xor_b64 s[4:5], exec, -1
; %bb.4059:
	s_or_b64 exec, exec, s[8:9]
	s_and_b64 s[4:5], s[4:5], exec
	s_or_saveexec_b64 s[6:7], s[6:7]
	v_mov_b32_e32 v0, s10
	s_xor_b64 exec, exec, s[6:7]
	s_cbranch_execz .LBB47_2010
.LBB47_4060:
	v_mov_b32_e32 v0, 0
	v_cmp_ne_u16_sdwa s[8:9], v6, v0 src0_sel:BYTE_3 src1_sel:DWORD
	s_andn2_b64 s[4:5], s[4:5], exec
	s_and_b64 s[8:9], s[8:9], exec
	s_or_b64 s[4:5], s[4:5], s[8:9]
	s_or_b64 exec, exec, s[6:7]
	s_and_saveexec_b64 s[6:7], s[4:5]
	s_cbranch_execnz .LBB47_2011
	s_branch .LBB47_2012
.LBB47_4061:
	s_movk_i32 s4, 0x80
	v_cmp_eq_u16_sdwa s[12:13], v2, s4 src0_sel:BYTE_3 src1_sel:DWORD
	s_mov_b64 s[4:5], -1
                                        ; implicit-def: $sgpr10
	s_and_saveexec_b64 s[8:9], s[12:13]
; %bb.4062:
	s_mov_b32 s10, 0x7f800001
	s_xor_b64 s[4:5], exec, -1
; %bb.4063:
	s_or_b64 exec, exec, s[8:9]
	s_and_b64 s[4:5], s[4:5], exec
	s_or_saveexec_b64 s[6:7], s[6:7]
	v_mov_b32_e32 v1, s10
	s_xor_b64 exec, exec, s[6:7]
	s_cbranch_execz .LBB47_2014
.LBB47_4064:
	v_mov_b32_e32 v1, 0
	v_cmp_ne_u16_sdwa s[8:9], v2, v1 src0_sel:BYTE_3 src1_sel:DWORD
	s_andn2_b64 s[4:5], s[4:5], exec
	s_and_b64 s[8:9], s[8:9], exec
	s_or_b64 s[4:5], s[4:5], s[8:9]
	s_or_b64 exec, exec, s[6:7]
	s_and_saveexec_b64 s[6:7], s[4:5]
	s_cbranch_execnz .LBB47_2015
	s_branch .LBB47_2016
.LBB47_4065:
	s_movk_i32 s4, 0x80
	v_cmp_eq_u16_sdwa s[12:13], v7, s4 src0_sel:BYTE_0 src1_sel:DWORD
	s_mov_b64 s[4:5], -1
                                        ; implicit-def: $sgpr10
	s_and_saveexec_b64 s[8:9], s[12:13]
; %bb.4066:
	s_mov_b32 s10, 0x7f800001
	s_xor_b64 s[4:5], exec, -1
; %bb.4067:
	s_or_b64 exec, exec, s[8:9]
	s_and_b64 s[4:5], s[4:5], exec
	s_or_saveexec_b64 s[6:7], s[6:7]
	v_mov_b32_e32 v0, s10
	s_xor_b64 exec, exec, s[6:7]
	s_cbranch_execz .LBB47_2018
.LBB47_4068:
	v_mov_b32_e32 v0, 0
	v_cmp_ne_u16_sdwa s[8:9], v7, v0 src0_sel:BYTE_0 src1_sel:DWORD
	s_andn2_b64 s[4:5], s[4:5], exec
	s_and_b64 s[8:9], s[8:9], exec
	s_or_b64 s[4:5], s[4:5], s[8:9]
	s_or_b64 exec, exec, s[6:7]
	s_and_saveexec_b64 s[6:7], s[4:5]
	s_cbranch_execnz .LBB47_2019
	s_branch .LBB47_2020
.LBB47_4069:
	s_movk_i32 s4, 0x80
	v_cmp_eq_u16_sdwa s[12:13], v3, s4 src0_sel:BYTE_0 src1_sel:DWORD
	s_mov_b64 s[4:5], -1
                                        ; implicit-def: $sgpr10
	s_and_saveexec_b64 s[8:9], s[12:13]
; %bb.4070:
	s_mov_b32 s10, 0x7f800001
	s_xor_b64 s[4:5], exec, -1
; %bb.4071:
	s_or_b64 exec, exec, s[8:9]
	s_and_b64 s[4:5], s[4:5], exec
	s_or_saveexec_b64 s[6:7], s[6:7]
	v_mov_b32_e32 v1, s10
	s_xor_b64 exec, exec, s[6:7]
	s_cbranch_execz .LBB47_2022
.LBB47_4072:
	v_mov_b32_e32 v1, 0
	v_cmp_ne_u16_sdwa s[8:9], v3, v1 src0_sel:BYTE_0 src1_sel:DWORD
	s_andn2_b64 s[4:5], s[4:5], exec
	s_and_b64 s[8:9], s[8:9], exec
	s_or_b64 s[4:5], s[4:5], s[8:9]
	s_or_b64 exec, exec, s[6:7]
	s_and_saveexec_b64 s[6:7], s[4:5]
	s_cbranch_execnz .LBB47_2023
	s_branch .LBB47_2024
.LBB47_4073:
	s_movk_i32 s4, 0x80
	v_cmp_eq_u16_sdwa s[12:13], v1, s4 src0_sel:BYTE_0 src1_sel:DWORD
	s_mov_b64 s[4:5], -1
                                        ; implicit-def: $sgpr10
	s_and_saveexec_b64 s[8:9], s[12:13]
; %bb.4074:
	s_mov_b32 s10, 0x7f800001
	s_xor_b64 s[4:5], exec, -1
; %bb.4075:
	s_or_b64 exec, exec, s[8:9]
	s_and_b64 s[4:5], s[4:5], exec
	s_or_saveexec_b64 s[6:7], s[6:7]
	v_mov_b32_e32 v0, s10
	s_xor_b64 exec, exec, s[6:7]
	s_cbranch_execz .LBB47_2026
.LBB47_4076:
	v_mov_b32_e32 v0, 0
	v_cmp_ne_u16_sdwa s[8:9], v1, v0 src0_sel:BYTE_0 src1_sel:DWORD
	s_andn2_b64 s[4:5], s[4:5], exec
	s_and_b64 s[8:9], s[8:9], exec
	s_or_b64 s[4:5], s[4:5], s[8:9]
	s_or_b64 exec, exec, s[6:7]
	s_and_saveexec_b64 s[6:7], s[4:5]
	s_cbranch_execnz .LBB47_2027
	s_branch .LBB47_2028
.LBB47_4077:
	s_movk_i32 s4, 0x80
	v_cmp_eq_u16_sdwa s[12:13], v1, s4 src0_sel:BYTE_0 src1_sel:DWORD
	s_mov_b64 s[4:5], -1
                                        ; implicit-def: $sgpr10
	s_and_saveexec_b64 s[8:9], s[12:13]
; %bb.4078:
	s_mov_b32 s10, 0x7f800001
	s_xor_b64 s[4:5], exec, -1
; %bb.4079:
	s_or_b64 exec, exec, s[8:9]
	s_and_b64 s[4:5], s[4:5], exec
	s_or_saveexec_b64 s[6:7], s[6:7]
	v_mov_b32_e32 v2, s10
	s_xor_b64 exec, exec, s[6:7]
	s_cbranch_execz .LBB47_2030
.LBB47_4080:
	v_mov_b32_e32 v2, 0
	v_cmp_ne_u16_sdwa s[8:9], v1, v2 src0_sel:BYTE_0 src1_sel:DWORD
	s_andn2_b64 s[4:5], s[4:5], exec
	s_and_b64 s[8:9], s[8:9], exec
	s_or_b64 s[4:5], s[4:5], s[8:9]
	s_or_b64 exec, exec, s[6:7]
	s_and_saveexec_b64 s[6:7], s[4:5]
	s_cbranch_execnz .LBB47_2031
	s_branch .LBB47_2032
.LBB47_4081:
	s_movk_i32 s4, 0x80
	v_cmp_eq_u16_e32 vcc, s4, v1
	s_mov_b64 s[4:5], -1
                                        ; implicit-def: $sgpr10
	s_and_saveexec_b64 s[8:9], vcc
; %bb.4082:
	s_mov_b32 s10, 0x7f800001
	s_xor_b64 s[4:5], exec, -1
; %bb.4083:
	s_or_b64 exec, exec, s[8:9]
	s_and_b64 s[4:5], s[4:5], exec
                                        ; implicit-def: $vgpr1
	s_or_saveexec_b64 s[6:7], s[6:7]
	v_mov_b32_e32 v0, s10
	s_xor_b64 exec, exec, s[6:7]
	s_cbranch_execz .LBB47_2034
.LBB47_4084:
	v_cmp_ne_u16_e32 vcc, 0, v1
	s_andn2_b64 s[4:5], s[4:5], exec
	s_and_b64 s[8:9], vcc, exec
	v_mov_b32_e32 v0, 0
	s_or_b64 s[4:5], s[4:5], s[8:9]
	s_or_b64 exec, exec, s[6:7]
	s_and_saveexec_b64 s[6:7], s[4:5]
	s_cbranch_execnz .LBB47_2035
	s_branch .LBB47_2036
.LBB47_4085:
	s_movk_i32 s4, 0x80
	v_cmp_eq_u16_e32 vcc, s4, v1
	s_mov_b64 s[4:5], -1
                                        ; implicit-def: $sgpr10
	s_and_saveexec_b64 s[8:9], vcc
; %bb.4086:
	s_mov_b32 s10, 0x7f800001
	s_xor_b64 s[4:5], exec, -1
; %bb.4087:
	s_or_b64 exec, exec, s[8:9]
	s_and_b64 s[4:5], s[4:5], exec
                                        ; implicit-def: $vgpr1
	s_or_saveexec_b64 s[6:7], s[6:7]
	v_mov_b32_e32 v2, s10
	s_xor_b64 exec, exec, s[6:7]
	s_cbranch_execz .LBB47_2038
.LBB47_4088:
	v_cmp_ne_u16_e32 vcc, 0, v1
	s_andn2_b64 s[4:5], s[4:5], exec
	s_and_b64 s[8:9], vcc, exec
	v_mov_b32_e32 v2, 0
	s_or_b64 s[4:5], s[4:5], s[8:9]
	s_or_b64 exec, exec, s[6:7]
	s_and_saveexec_b64 s[6:7], s[4:5]
	s_cbranch_execnz .LBB47_2039
	s_branch .LBB47_2040
.LBB47_4089:
	s_movk_i32 s4, 0x80
	v_cmp_eq_u16_sdwa s[12:13], v7, s4 src0_sel:BYTE_3 src1_sel:DWORD
	s_mov_b64 s[4:5], -1
                                        ; implicit-def: $sgpr10
	s_and_saveexec_b64 s[8:9], s[12:13]
; %bb.4090:
	s_mov_b32 s10, 0x7f800001
	s_xor_b64 s[4:5], exec, -1
; %bb.4091:
	s_or_b64 exec, exec, s[8:9]
	s_and_b64 s[4:5], s[4:5], exec
	s_or_saveexec_b64 s[6:7], s[6:7]
	v_mov_b32_e32 v0, s10
	s_xor_b64 exec, exec, s[6:7]
	s_cbranch_execz .LBB47_2042
.LBB47_4092:
	v_mov_b32_e32 v0, 0
	v_cmp_ne_u16_sdwa s[8:9], v7, v0 src0_sel:BYTE_3 src1_sel:DWORD
	s_andn2_b64 s[4:5], s[4:5], exec
	s_and_b64 s[8:9], s[8:9], exec
	s_or_b64 s[4:5], s[4:5], s[8:9]
	s_or_b64 exec, exec, s[6:7]
	s_and_saveexec_b64 s[6:7], s[4:5]
	s_cbranch_execnz .LBB47_2043
	s_branch .LBB47_2044
.LBB47_4093:
	s_movk_i32 s4, 0x80
	v_cmp_eq_u16_sdwa s[12:13], v3, s4 src0_sel:BYTE_3 src1_sel:DWORD
	s_mov_b64 s[4:5], -1
                                        ; implicit-def: $sgpr10
	s_and_saveexec_b64 s[8:9], s[12:13]
; %bb.4094:
	s_mov_b32 s10, 0x7f800001
	s_xor_b64 s[4:5], exec, -1
; %bb.4095:
	s_or_b64 exec, exec, s[8:9]
	s_and_b64 s[4:5], s[4:5], exec
	s_or_saveexec_b64 s[6:7], s[6:7]
	v_mov_b32_e32 v1, s10
	s_xor_b64 exec, exec, s[6:7]
	s_cbranch_execz .LBB47_2046
.LBB47_4096:
	v_mov_b32_e32 v1, 0
	v_cmp_ne_u16_sdwa s[8:9], v3, v1 src0_sel:BYTE_3 src1_sel:DWORD
	s_andn2_b64 s[4:5], s[4:5], exec
	s_and_b64 s[8:9], s[8:9], exec
	s_or_b64 s[4:5], s[4:5], s[8:9]
	s_or_b64 exec, exec, s[6:7]
	s_and_saveexec_b64 s[6:7], s[4:5]
	s_cbranch_execnz .LBB47_2047
	s_branch .LBB47_2048
.Lfunc_end47:
	.size	_ZNK2ck6detail7applierIiJLi0ELi1ELi2ELi3ELi4ELi5ELi6ELi7EEEclIZNKS_11static_fordINS_8SequenceIJLi1ELi8EEEENS5_IJLi0ELi1EEEEEclIZZNKS_52BlockwiseGemmXdlops_pipeline_bpreshuffle_bdequant_v3ILNS_26BlockGemmPipelineSchedulerE0ELi256ENS_9f8_fnuz_tENS_7pk_i4_tESC_fNS_16TensorDescriptorINS_5TupleIJNS_5EmbedINSF_IJNS_17integral_constantIiLi8EEENSH_IiLi256EEENSH_IiLi16EEEEEENSF_IJSK_NSH_IiLi128EEENSH_IiLi1EEEEEELb0EEENS_3XorINSF_IJSJ_SI_EEELb1EEENS_11PassThroughISK_EENS_7UnMergeINSF_IJSI_SN_EEELb0EEENST_ISJ_EESU_NST_ISI_EENS_21Merge_v3_division_modINSF_IJSJ_SN_EEEEESU_EEENSF_IJNS5_IJLi0EEEENS5_IJLi2ELi1EEEENS5_IJLi3EEEENS5_IJLi5EEEENS5_IJLi4EEEENS5_IJLi6EEEENS5_IJLi7EEEENS5_IJLi9ELi8EEEENS5_IJLi10EEEEEEENSF_IJNS5_IJLi1ELi2ELi3EEEENS5_IJLi4ELi5EEEES19_NS5_IJLi7ELi8EEEENS5_IJLi9EEEES1C_NS5_IJLi11EEEENS5_IJLi12EEEENS5_IJLi13EEEEEEENS5_IJLi11ELi12ELi13EEEENSH_IlLl32768EEEEENSE_INSF_IJNSV_INSF_IJSI_SN_SN_NSH_IiLi32EEEEEELb0EEEEEENSF_IJS14_EEENSF_IJNS5_IJLi1ELi2ELi3ELi4EEEEEEES1U_NSH_IlLl256EEEEENSE_INSF_IJSP_SS_SU_SX_SY_SU_SZ_S12_SU_NS10_INSF_IJSI_SK_EEEEENSV_INSF_IJSI_NSH_IiLi2EEESK_EEELb0EEEEEENSF_IJS14_S15_S16_S17_S18_S19_S1A_S1B_S1C_NS5_IJLi11ELi13EEEES1J_EEENSF_IJS1E_S1F_S19_S1G_S1H_S1C_S1I_S1J_S1K_NS5_IJLi14EEEENS5_IJLi15ELi16ELi17EEEEEEENS5_IJLi15ELi16ELi17ELi14EEEES1N_EENSE_INSF_IJS1R_NS10_ISW_EES22_EEENSF_IJS14_NS5_IJLi1ELi3EEEENS5_IJLi2EEEEEEENSF_IJS1U_S17_NS5_IJLi6ELi7ELi8EEEEEEENS5_IJLi6ELi7ELi8ELi5EEEES1W_EELi16ELi32ELi256ELi256ELi128ELi16ELi16ELi8ELi8ELi32ELb0EE3RunILb1ELNS_10TailNumberE1ENSE_INSF_IJNSG_INSF_IJiiEEENSF_IJiSN_EEELb0EEENSV_IS2N_Lb0EEENST_IiEEEEENSF_IJS14_S2E_NS5_IJLi1EEEEEEENSF_IJNS5_IJLi1ELi2EEEENS5_IJLi3ELi4EEEES17_EEENS5_IJLi3ELi5ELi4EEEElEES1O_NS_35ThreadGroupTensorSliceTransfer_v4r1INS_15ThisThreadBlockILi256EEENS_16tensor_operation12element_wise11PassThroughES35_LNS_25InMemoryDataOperationEnumE0ENS5_IJLi8ELi256ELi16EEEENS5_IJLi8ELi32ELi1EEEENS5_IJLi1ELi0ELi2EEEESC_SC_RKS2Z_KS1O_S39_NS5_IJLi0ELi1ELi2EEEELi2ELi2ELi16ELi16ELi1ELi1ELb0ELb1ELi2EiEENS_13DynamicBufferILNS_16AddressSpaceEnumE1EKSC_lLb1ELNS_22AmdBufferCoherenceEnumE0EiEENSF_IJNS3F_ILS3G_2ESC_S1N_Lb1ELS3I_0EiEES3K_EEENSF_IJiiiEEENSE_INSF_IJNSG_INSF_IJiiiiEEENSF_IJiiiSN_EEELb0EEEEEES1T_S1V_S1U_lEENS_32ThreadwiseTensorSliceTransfer_v2ISD_SD_RKS3R_KS1X_NS5_IJLi8ELi1ELi1ELi32EEEENS5_IJLi1ELi2ELi0ELi3EEEELi3ELi32ELi0ELb1ELb0ELb0EEENS3F_ILS3G_1EKSD_lLb1ELS3I_0EiEENSF_IJNS_12StaticBufferILS3G_4ESD_Li256ELb1EEES42_EEES3N_NS_25StaticBufferTupleOfVectorILS3G_4EfLi64ELi4ELb1ELb0EEEEEvRKT1_RKT2_RT3_RKT4_RT5_RKT6_RKT7_RT8_RKT9_RT10_RKT11_RT12_iENKUlT_E0_clINSH_IiLi3EEEEEDaS51_EUlS51_E_EEvS51_EUlS51_E_EEvS51_, .Lfunc_end47-_ZNK2ck6detail7applierIiJLi0ELi1ELi2ELi3ELi4ELi5ELi6ELi7EEEclIZNKS_11static_fordINS_8SequenceIJLi1ELi8EEEENS5_IJLi0ELi1EEEEEclIZZNKS_52BlockwiseGemmXdlops_pipeline_bpreshuffle_bdequant_v3ILNS_26BlockGemmPipelineSchedulerE0ELi256ENS_9f8_fnuz_tENS_7pk_i4_tESC_fNS_16TensorDescriptorINS_5TupleIJNS_5EmbedINSF_IJNS_17integral_constantIiLi8EEENSH_IiLi256EEENSH_IiLi16EEEEEENSF_IJSK_NSH_IiLi128EEENSH_IiLi1EEEEEELb0EEENS_3XorINSF_IJSJ_SI_EEELb1EEENS_11PassThroughISK_EENS_7UnMergeINSF_IJSI_SN_EEELb0EEENST_ISJ_EESU_NST_ISI_EENS_21Merge_v3_division_modINSF_IJSJ_SN_EEEEESU_EEENSF_IJNS5_IJLi0EEEENS5_IJLi2ELi1EEEENS5_IJLi3EEEENS5_IJLi5EEEENS5_IJLi4EEEENS5_IJLi6EEEENS5_IJLi7EEEENS5_IJLi9ELi8EEEENS5_IJLi10EEEEEEENSF_IJNS5_IJLi1ELi2ELi3EEEENS5_IJLi4ELi5EEEES19_NS5_IJLi7ELi8EEEENS5_IJLi9EEEES1C_NS5_IJLi11EEEENS5_IJLi12EEEENS5_IJLi13EEEEEEENS5_IJLi11ELi12ELi13EEEENSH_IlLl32768EEEEENSE_INSF_IJNSV_INSF_IJSI_SN_SN_NSH_IiLi32EEEEEELb0EEEEEENSF_IJS14_EEENSF_IJNS5_IJLi1ELi2ELi3ELi4EEEEEEES1U_NSH_IlLl256EEEEENSE_INSF_IJSP_SS_SU_SX_SY_SU_SZ_S12_SU_NS10_INSF_IJSI_SK_EEEEENSV_INSF_IJSI_NSH_IiLi2EEESK_EEELb0EEEEEENSF_IJS14_S15_S16_S17_S18_S19_S1A_S1B_S1C_NS5_IJLi11ELi13EEEES1J_EEENSF_IJS1E_S1F_S19_S1G_S1H_S1C_S1I_S1J_S1K_NS5_IJLi14EEEENS5_IJLi15ELi16ELi17EEEEEEENS5_IJLi15ELi16ELi17ELi14EEEES1N_EENSE_INSF_IJS1R_NS10_ISW_EES22_EEENSF_IJS14_NS5_IJLi1ELi3EEEENS5_IJLi2EEEEEEENSF_IJS1U_S17_NS5_IJLi6ELi7ELi8EEEEEEENS5_IJLi6ELi7ELi8ELi5EEEES1W_EELi16ELi32ELi256ELi256ELi128ELi16ELi16ELi8ELi8ELi32ELb0EE3RunILb1ELNS_10TailNumberE1ENSE_INSF_IJNSG_INSF_IJiiEEENSF_IJiSN_EEELb0EEENSV_IS2N_Lb0EEENST_IiEEEEENSF_IJS14_S2E_NS5_IJLi1EEEEEEENSF_IJNS5_IJLi1ELi2EEEENS5_IJLi3ELi4EEEES17_EEENS5_IJLi3ELi5ELi4EEEElEES1O_NS_35ThreadGroupTensorSliceTransfer_v4r1INS_15ThisThreadBlockILi256EEENS_16tensor_operation12element_wise11PassThroughES35_LNS_25InMemoryDataOperationEnumE0ENS5_IJLi8ELi256ELi16EEEENS5_IJLi8ELi32ELi1EEEENS5_IJLi1ELi0ELi2EEEESC_SC_RKS2Z_KS1O_S39_NS5_IJLi0ELi1ELi2EEEELi2ELi2ELi16ELi16ELi1ELi1ELb0ELb1ELi2EiEENS_13DynamicBufferILNS_16AddressSpaceEnumE1EKSC_lLb1ELNS_22AmdBufferCoherenceEnumE0EiEENSF_IJNS3F_ILS3G_2ESC_S1N_Lb1ELS3I_0EiEES3K_EEENSF_IJiiiEEENSE_INSF_IJNSG_INSF_IJiiiiEEENSF_IJiiiSN_EEELb0EEEEEES1T_S1V_S1U_lEENS_32ThreadwiseTensorSliceTransfer_v2ISD_SD_RKS3R_KS1X_NS5_IJLi8ELi1ELi1ELi32EEEENS5_IJLi1ELi2ELi0ELi3EEEELi3ELi32ELi0ELb1ELb0ELb0EEENS3F_ILS3G_1EKSD_lLb1ELS3I_0EiEENSF_IJNS_12StaticBufferILS3G_4ESD_Li256ELb1EEES42_EEES3N_NS_25StaticBufferTupleOfVectorILS3G_4EfLi64ELi4ELb1ELb0EEEEEvRKT1_RKT2_RT3_RKT4_RT5_RKT6_RKT7_RT8_RKT9_RT10_RKT11_RT12_iENKUlT_E0_clINSH_IiLi3EEEEEDaS51_EUlS51_E_EEvS51_EUlS51_E_EEvS51_
                                        ; -- End function
	.section	.AMDGPU.csdata,"",@progbits
; Function info:
; codeLenInByte = 133608
; NumSgprs: 36
; NumVgprs: 26
; NumAgprs: 4
; TotalNumVgprs: 32
; ScratchSize: 0
; MemoryBound: 1
	.text
	.p2align	2                               ; -- Begin function _ZNK2ck6detail7applierIiJLi0ELi1ELi2ELi3ELi4ELi5ELi6ELi7EEEclIZNKS_11static_fordINS_8SequenceIJLi1ELi8EEEENS5_IJLi0ELi1EEEEEclIZZNKS_52BlockwiseGemmXdlops_pipeline_bpreshuffle_bdequant_v3ILNS_26BlockGemmPipelineSchedulerE0ELi256ENS_9f8_fnuz_tENS_7pk_i4_tESC_fNS_16TensorDescriptorINS_5TupleIJNS_5EmbedINSF_IJNS_17integral_constantIiLi8EEENSH_IiLi256EEENSH_IiLi16EEEEEENSF_IJSK_NSH_IiLi128EEENSH_IiLi1EEEEEELb0EEENS_3XorINSF_IJSJ_SI_EEELb1EEENS_11PassThroughISK_EENS_7UnMergeINSF_IJSI_SN_EEELb0EEENST_ISJ_EESU_NST_ISI_EENS_21Merge_v3_division_modINSF_IJSJ_SN_EEEEESU_EEENSF_IJNS5_IJLi0EEEENS5_IJLi2ELi1EEEENS5_IJLi3EEEENS5_IJLi5EEEENS5_IJLi4EEEENS5_IJLi6EEEENS5_IJLi7EEEENS5_IJLi9ELi8EEEENS5_IJLi10EEEEEEENSF_IJNS5_IJLi1ELi2ELi3EEEENS5_IJLi4ELi5EEEES19_NS5_IJLi7ELi8EEEENS5_IJLi9EEEES1C_NS5_IJLi11EEEENS5_IJLi12EEEENS5_IJLi13EEEEEEENS5_IJLi11ELi12ELi13EEEENSH_IlLl32768EEEEENSE_INSF_IJNSV_INSF_IJSI_SN_SN_NSH_IiLi32EEEEEELb0EEEEEENSF_IJS14_EEENSF_IJNS5_IJLi1ELi2ELi3ELi4EEEEEEES1U_NSH_IlLl256EEEEENSE_INSF_IJSP_SS_SU_SX_SY_SU_SZ_S12_SU_NS10_INSF_IJSI_SK_EEEEENSV_INSF_IJSI_NSH_IiLi2EEESK_EEELb0EEEEEENSF_IJS14_S15_S16_S17_S18_S19_S1A_S1B_S1C_NS5_IJLi11ELi13EEEES1J_EEENSF_IJS1E_S1F_S19_S1G_S1H_S1C_S1I_S1J_S1K_NS5_IJLi14EEEENS5_IJLi15ELi16ELi17EEEEEEENS5_IJLi15ELi16ELi17ELi14EEEES1N_EENSE_INSF_IJS1R_NS10_ISW_EES22_EEENSF_IJS14_NS5_IJLi1ELi3EEEENS5_IJLi2EEEEEEENSF_IJS1U_S17_NS5_IJLi6ELi7ELi8EEEEEEENS5_IJLi6ELi7ELi8ELi5EEEES1W_EELi16ELi32ELi256ELi256ELi128ELi16ELi16ELi8ELi8ELi32ELb0EE3RunILb1ELNS_10TailNumberE1ENSE_INSF_IJNSG_INSF_IJiiEEENSF_IJiSN_EEELb0EEENSV_IS2N_Lb0EEENST_IiEEEEENSF_IJS14_S2E_NS5_IJLi1EEEEEEENSF_IJNS5_IJLi1ELi2EEEENS5_IJLi3ELi4EEEES17_EEENS5_IJLi3ELi5ELi4EEEElEES1O_NS_35ThreadGroupTensorSliceTransfer_v4r1INS_15ThisThreadBlockILi256EEENS_16tensor_operation12element_wise11PassThroughES35_LNS_25InMemoryDataOperationEnumE0ENS5_IJLi8ELi256ELi16EEEENS5_IJLi8ELi32ELi1EEEENS5_IJLi1ELi0ELi2EEEESC_SC_RKS2Z_KS1O_S39_NS5_IJLi0ELi1ELi2EEEELi2ELi2ELi16ELi16ELi1ELi1ELb0ELb1ELi2EiEENS_13DynamicBufferILNS_16AddressSpaceEnumE1EKSC_lLb1ELNS_22AmdBufferCoherenceEnumE0EiEENSF_IJNS3F_ILS3G_2ESC_S1N_Lb1ELS3I_0EiEES3K_EEENSF_IJiiiEEENSE_INSF_IJNSG_INSF_IJiiiiEEENSF_IJiiiSN_EEELb0EEEEEES1T_S1V_S1U_lEENS_32ThreadwiseTensorSliceTransfer_v2ISD_SD_RKS3R_KS1X_NS5_IJLi8ELi1ELi1ELi32EEEENS5_IJLi1ELi2ELi0ELi3EEEELi3ELi32ELi0ELb1ELb0ELb0EEENS3F_ILS3G_1EKSD_lLb1ELS3I_0EiEENSF_IJNS_12StaticBufferILS3G_4ESD_Li256ELb1EEES42_EEES3N_NS_25StaticBufferTupleOfVectorILS3G_4EfLi64ELi4ELb1ELb0EEEEEvRKT1_RKT2_RT3_RKT4_RT5_RKT6_RKT7_RT8_RKT9_RT10_RKT11_RT12_iENKUlT_E0_clINSH_IiLi4EEEEEDaS51_EUlS51_E_EEvS51_EUlS51_E_EEvS51_
	.type	_ZNK2ck6detail7applierIiJLi0ELi1ELi2ELi3ELi4ELi5ELi6ELi7EEEclIZNKS_11static_fordINS_8SequenceIJLi1ELi8EEEENS5_IJLi0ELi1EEEEEclIZZNKS_52BlockwiseGemmXdlops_pipeline_bpreshuffle_bdequant_v3ILNS_26BlockGemmPipelineSchedulerE0ELi256ENS_9f8_fnuz_tENS_7pk_i4_tESC_fNS_16TensorDescriptorINS_5TupleIJNS_5EmbedINSF_IJNS_17integral_constantIiLi8EEENSH_IiLi256EEENSH_IiLi16EEEEEENSF_IJSK_NSH_IiLi128EEENSH_IiLi1EEEEEELb0EEENS_3XorINSF_IJSJ_SI_EEELb1EEENS_11PassThroughISK_EENS_7UnMergeINSF_IJSI_SN_EEELb0EEENST_ISJ_EESU_NST_ISI_EENS_21Merge_v3_division_modINSF_IJSJ_SN_EEEEESU_EEENSF_IJNS5_IJLi0EEEENS5_IJLi2ELi1EEEENS5_IJLi3EEEENS5_IJLi5EEEENS5_IJLi4EEEENS5_IJLi6EEEENS5_IJLi7EEEENS5_IJLi9ELi8EEEENS5_IJLi10EEEEEEENSF_IJNS5_IJLi1ELi2ELi3EEEENS5_IJLi4ELi5EEEES19_NS5_IJLi7ELi8EEEENS5_IJLi9EEEES1C_NS5_IJLi11EEEENS5_IJLi12EEEENS5_IJLi13EEEEEEENS5_IJLi11ELi12ELi13EEEENSH_IlLl32768EEEEENSE_INSF_IJNSV_INSF_IJSI_SN_SN_NSH_IiLi32EEEEEELb0EEEEEENSF_IJS14_EEENSF_IJNS5_IJLi1ELi2ELi3ELi4EEEEEEES1U_NSH_IlLl256EEEEENSE_INSF_IJSP_SS_SU_SX_SY_SU_SZ_S12_SU_NS10_INSF_IJSI_SK_EEEEENSV_INSF_IJSI_NSH_IiLi2EEESK_EEELb0EEEEEENSF_IJS14_S15_S16_S17_S18_S19_S1A_S1B_S1C_NS5_IJLi11ELi13EEEES1J_EEENSF_IJS1E_S1F_S19_S1G_S1H_S1C_S1I_S1J_S1K_NS5_IJLi14EEEENS5_IJLi15ELi16ELi17EEEEEEENS5_IJLi15ELi16ELi17ELi14EEEES1N_EENSE_INSF_IJS1R_NS10_ISW_EES22_EEENSF_IJS14_NS5_IJLi1ELi3EEEENS5_IJLi2EEEEEEENSF_IJS1U_S17_NS5_IJLi6ELi7ELi8EEEEEEENS5_IJLi6ELi7ELi8ELi5EEEES1W_EELi16ELi32ELi256ELi256ELi128ELi16ELi16ELi8ELi8ELi32ELb0EE3RunILb1ELNS_10TailNumberE1ENSE_INSF_IJNSG_INSF_IJiiEEENSF_IJiSN_EEELb0EEENSV_IS2N_Lb0EEENST_IiEEEEENSF_IJS14_S2E_NS5_IJLi1EEEEEEENSF_IJNS5_IJLi1ELi2EEEENS5_IJLi3ELi4EEEES17_EEENS5_IJLi3ELi5ELi4EEEElEES1O_NS_35ThreadGroupTensorSliceTransfer_v4r1INS_15ThisThreadBlockILi256EEENS_16tensor_operation12element_wise11PassThroughES35_LNS_25InMemoryDataOperationEnumE0ENS5_IJLi8ELi256ELi16EEEENS5_IJLi8ELi32ELi1EEEENS5_IJLi1ELi0ELi2EEEESC_SC_RKS2Z_KS1O_S39_NS5_IJLi0ELi1ELi2EEEELi2ELi2ELi16ELi16ELi1ELi1ELb0ELb1ELi2EiEENS_13DynamicBufferILNS_16AddressSpaceEnumE1EKSC_lLb1ELNS_22AmdBufferCoherenceEnumE0EiEENSF_IJNS3F_ILS3G_2ESC_S1N_Lb1ELS3I_0EiEES3K_EEENSF_IJiiiEEENSE_INSF_IJNSG_INSF_IJiiiiEEENSF_IJiiiSN_EEELb0EEEEEES1T_S1V_S1U_lEENS_32ThreadwiseTensorSliceTransfer_v2ISD_SD_RKS3R_KS1X_NS5_IJLi8ELi1ELi1ELi32EEEENS5_IJLi1ELi2ELi0ELi3EEEELi3ELi32ELi0ELb1ELb0ELb0EEENS3F_ILS3G_1EKSD_lLb1ELS3I_0EiEENSF_IJNS_12StaticBufferILS3G_4ESD_Li256ELb1EEES42_EEES3N_NS_25StaticBufferTupleOfVectorILS3G_4EfLi64ELi4ELb1ELb0EEEEEvRKT1_RKT2_RT3_RKT4_RT5_RKT6_RKT7_RT8_RKT9_RT10_RKT11_RT12_iENKUlT_E0_clINSH_IiLi4EEEEEDaS51_EUlS51_E_EEvS51_EUlS51_E_EEvS51_,@function
_ZNK2ck6detail7applierIiJLi0ELi1ELi2ELi3ELi4ELi5ELi6ELi7EEEclIZNKS_11static_fordINS_8SequenceIJLi1ELi8EEEENS5_IJLi0ELi1EEEEEclIZZNKS_52BlockwiseGemmXdlops_pipeline_bpreshuffle_bdequant_v3ILNS_26BlockGemmPipelineSchedulerE0ELi256ENS_9f8_fnuz_tENS_7pk_i4_tESC_fNS_16TensorDescriptorINS_5TupleIJNS_5EmbedINSF_IJNS_17integral_constantIiLi8EEENSH_IiLi256EEENSH_IiLi16EEEEEENSF_IJSK_NSH_IiLi128EEENSH_IiLi1EEEEEELb0EEENS_3XorINSF_IJSJ_SI_EEELb1EEENS_11PassThroughISK_EENS_7UnMergeINSF_IJSI_SN_EEELb0EEENST_ISJ_EESU_NST_ISI_EENS_21Merge_v3_division_modINSF_IJSJ_SN_EEEEESU_EEENSF_IJNS5_IJLi0EEEENS5_IJLi2ELi1EEEENS5_IJLi3EEEENS5_IJLi5EEEENS5_IJLi4EEEENS5_IJLi6EEEENS5_IJLi7EEEENS5_IJLi9ELi8EEEENS5_IJLi10EEEEEEENSF_IJNS5_IJLi1ELi2ELi3EEEENS5_IJLi4ELi5EEEES19_NS5_IJLi7ELi8EEEENS5_IJLi9EEEES1C_NS5_IJLi11EEEENS5_IJLi12EEEENS5_IJLi13EEEEEEENS5_IJLi11ELi12ELi13EEEENSH_IlLl32768EEEEENSE_INSF_IJNSV_INSF_IJSI_SN_SN_NSH_IiLi32EEEEEELb0EEEEEENSF_IJS14_EEENSF_IJNS5_IJLi1ELi2ELi3ELi4EEEEEEES1U_NSH_IlLl256EEEEENSE_INSF_IJSP_SS_SU_SX_SY_SU_SZ_S12_SU_NS10_INSF_IJSI_SK_EEEEENSV_INSF_IJSI_NSH_IiLi2EEESK_EEELb0EEEEEENSF_IJS14_S15_S16_S17_S18_S19_S1A_S1B_S1C_NS5_IJLi11ELi13EEEES1J_EEENSF_IJS1E_S1F_S19_S1G_S1H_S1C_S1I_S1J_S1K_NS5_IJLi14EEEENS5_IJLi15ELi16ELi17EEEEEEENS5_IJLi15ELi16ELi17ELi14EEEES1N_EENSE_INSF_IJS1R_NS10_ISW_EES22_EEENSF_IJS14_NS5_IJLi1ELi3EEEENS5_IJLi2EEEEEEENSF_IJS1U_S17_NS5_IJLi6ELi7ELi8EEEEEEENS5_IJLi6ELi7ELi8ELi5EEEES1W_EELi16ELi32ELi256ELi256ELi128ELi16ELi16ELi8ELi8ELi32ELb0EE3RunILb1ELNS_10TailNumberE1ENSE_INSF_IJNSG_INSF_IJiiEEENSF_IJiSN_EEELb0EEENSV_IS2N_Lb0EEENST_IiEEEEENSF_IJS14_S2E_NS5_IJLi1EEEEEEENSF_IJNS5_IJLi1ELi2EEEENS5_IJLi3ELi4EEEES17_EEENS5_IJLi3ELi5ELi4EEEElEES1O_NS_35ThreadGroupTensorSliceTransfer_v4r1INS_15ThisThreadBlockILi256EEENS_16tensor_operation12element_wise11PassThroughES35_LNS_25InMemoryDataOperationEnumE0ENS5_IJLi8ELi256ELi16EEEENS5_IJLi8ELi32ELi1EEEENS5_IJLi1ELi0ELi2EEEESC_SC_RKS2Z_KS1O_S39_NS5_IJLi0ELi1ELi2EEEELi2ELi2ELi16ELi16ELi1ELi1ELb0ELb1ELi2EiEENS_13DynamicBufferILNS_16AddressSpaceEnumE1EKSC_lLb1ELNS_22AmdBufferCoherenceEnumE0EiEENSF_IJNS3F_ILS3G_2ESC_S1N_Lb1ELS3I_0EiEES3K_EEENSF_IJiiiEEENSE_INSF_IJNSG_INSF_IJiiiiEEENSF_IJiiiSN_EEELb0EEEEEES1T_S1V_S1U_lEENS_32ThreadwiseTensorSliceTransfer_v2ISD_SD_RKS3R_KS1X_NS5_IJLi8ELi1ELi1ELi32EEEENS5_IJLi1ELi2ELi0ELi3EEEELi3ELi32ELi0ELb1ELb0ELb0EEENS3F_ILS3G_1EKSD_lLb1ELS3I_0EiEENSF_IJNS_12StaticBufferILS3G_4ESD_Li256ELb1EEES42_EEES3N_NS_25StaticBufferTupleOfVectorILS3G_4EfLi64ELi4ELb1ELb0EEEEEvRKT1_RKT2_RT3_RKT4_RT5_RKT6_RKT7_RT8_RKT9_RT10_RKT11_RT12_iENKUlT_E0_clINSH_IiLi4EEEEEDaS51_EUlS51_E_EEvS51_EUlS51_E_EEvS51_: ; @_ZNK2ck6detail7applierIiJLi0ELi1ELi2ELi3ELi4ELi5ELi6ELi7EEEclIZNKS_11static_fordINS_8SequenceIJLi1ELi8EEEENS5_IJLi0ELi1EEEEEclIZZNKS_52BlockwiseGemmXdlops_pipeline_bpreshuffle_bdequant_v3ILNS_26BlockGemmPipelineSchedulerE0ELi256ENS_9f8_fnuz_tENS_7pk_i4_tESC_fNS_16TensorDescriptorINS_5TupleIJNS_5EmbedINSF_IJNS_17integral_constantIiLi8EEENSH_IiLi256EEENSH_IiLi16EEEEEENSF_IJSK_NSH_IiLi128EEENSH_IiLi1EEEEEELb0EEENS_3XorINSF_IJSJ_SI_EEELb1EEENS_11PassThroughISK_EENS_7UnMergeINSF_IJSI_SN_EEELb0EEENST_ISJ_EESU_NST_ISI_EENS_21Merge_v3_division_modINSF_IJSJ_SN_EEEEESU_EEENSF_IJNS5_IJLi0EEEENS5_IJLi2ELi1EEEENS5_IJLi3EEEENS5_IJLi5EEEENS5_IJLi4EEEENS5_IJLi6EEEENS5_IJLi7EEEENS5_IJLi9ELi8EEEENS5_IJLi10EEEEEEENSF_IJNS5_IJLi1ELi2ELi3EEEENS5_IJLi4ELi5EEEES19_NS5_IJLi7ELi8EEEENS5_IJLi9EEEES1C_NS5_IJLi11EEEENS5_IJLi12EEEENS5_IJLi13EEEEEEENS5_IJLi11ELi12ELi13EEEENSH_IlLl32768EEEEENSE_INSF_IJNSV_INSF_IJSI_SN_SN_NSH_IiLi32EEEEEELb0EEEEEENSF_IJS14_EEENSF_IJNS5_IJLi1ELi2ELi3ELi4EEEEEEES1U_NSH_IlLl256EEEEENSE_INSF_IJSP_SS_SU_SX_SY_SU_SZ_S12_SU_NS10_INSF_IJSI_SK_EEEEENSV_INSF_IJSI_NSH_IiLi2EEESK_EEELb0EEEEEENSF_IJS14_S15_S16_S17_S18_S19_S1A_S1B_S1C_NS5_IJLi11ELi13EEEES1J_EEENSF_IJS1E_S1F_S19_S1G_S1H_S1C_S1I_S1J_S1K_NS5_IJLi14EEEENS5_IJLi15ELi16ELi17EEEEEEENS5_IJLi15ELi16ELi17ELi14EEEES1N_EENSE_INSF_IJS1R_NS10_ISW_EES22_EEENSF_IJS14_NS5_IJLi1ELi3EEEENS5_IJLi2EEEEEEENSF_IJS1U_S17_NS5_IJLi6ELi7ELi8EEEEEEENS5_IJLi6ELi7ELi8ELi5EEEES1W_EELi16ELi32ELi256ELi256ELi128ELi16ELi16ELi8ELi8ELi32ELb0EE3RunILb1ELNS_10TailNumberE1ENSE_INSF_IJNSG_INSF_IJiiEEENSF_IJiSN_EEELb0EEENSV_IS2N_Lb0EEENST_IiEEEEENSF_IJS14_S2E_NS5_IJLi1EEEEEEENSF_IJNS5_IJLi1ELi2EEEENS5_IJLi3ELi4EEEES17_EEENS5_IJLi3ELi5ELi4EEEElEES1O_NS_35ThreadGroupTensorSliceTransfer_v4r1INS_15ThisThreadBlockILi256EEENS_16tensor_operation12element_wise11PassThroughES35_LNS_25InMemoryDataOperationEnumE0ENS5_IJLi8ELi256ELi16EEEENS5_IJLi8ELi32ELi1EEEENS5_IJLi1ELi0ELi2EEEESC_SC_RKS2Z_KS1O_S39_NS5_IJLi0ELi1ELi2EEEELi2ELi2ELi16ELi16ELi1ELi1ELb0ELb1ELi2EiEENS_13DynamicBufferILNS_16AddressSpaceEnumE1EKSC_lLb1ELNS_22AmdBufferCoherenceEnumE0EiEENSF_IJNS3F_ILS3G_2ESC_S1N_Lb1ELS3I_0EiEES3K_EEENSF_IJiiiEEENSE_INSF_IJNSG_INSF_IJiiiiEEENSF_IJiiiSN_EEELb0EEEEEES1T_S1V_S1U_lEENS_32ThreadwiseTensorSliceTransfer_v2ISD_SD_RKS3R_KS1X_NS5_IJLi8ELi1ELi1ELi32EEEENS5_IJLi1ELi2ELi0ELi3EEEELi3ELi32ELi0ELb1ELb0ELb0EEENS3F_ILS3G_1EKSD_lLb1ELS3I_0EiEENSF_IJNS_12StaticBufferILS3G_4ESD_Li256ELb1EEES42_EEES3N_NS_25StaticBufferTupleOfVectorILS3G_4EfLi64ELi4ELb1ELb0EEEEEvRKT1_RKT2_RT3_RKT4_RT5_RKT6_RKT7_RT8_RKT9_RT10_RKT11_RT12_iENKUlT_E0_clINSH_IiLi4EEEEEDaS51_EUlS51_E_EEvS51_EUlS51_E_EEvS51_
; %bb.0:
	s_waitcnt vmcnt(0) expcnt(0) lgkmcnt(0)
	flat_load_dwordx4 v[20:23], v[0:1] offset:8
	flat_load_dwordx2 v[18:19], v[0:1] offset:24
	s_movk_i32 s4, 0x7f
                                        ; implicit-def: $sgpr10
	s_waitcnt vmcnt(0) lgkmcnt(0)
	flat_load_dwordx4 v[14:17], v[20:21]
	flat_load_dwordx4 v[10:13], v[22:23]
	flat_load_dwordx4 v[6:9], v[20:21] offset:16
	flat_load_dwordx4 v[2:5], v[22:23] offset:16
	s_waitcnt vmcnt(0) lgkmcnt(0)
	v_cmp_gt_i16_sdwa s[6:7], v14, s4 src0_sel:BYTE_0 src1_sel:DWORD
	s_mov_b64 s[4:5], 0
	s_and_saveexec_b64 s[8:9], s[6:7]
	s_xor_b64 s[6:7], exec, s[8:9]
	s_cbranch_execnz .LBB48_2049
; %bb.1:
	s_or_saveexec_b64 s[6:7], s[6:7]
	v_mov_b32_e32 v20, s10
	s_xor_b64 exec, exec, s[6:7]
	s_cbranch_execnz .LBB48_2052
.LBB48_2:
	s_or_b64 exec, exec, s[6:7]
	s_and_saveexec_b64 s[6:7], s[4:5]
	s_cbranch_execz .LBB48_4
.LBB48_3:
	v_and_b32_e32 v20, 7, v14
	v_ffbh_u32_e32 v22, v20
	v_min_u32_e32 v22, 32, v22
	v_lshrrev_b16_e32 v21, 3, v14
	v_subrev_u32_e32 v23, 28, v22
	v_and_b32_e32 v21, 15, v21
	v_lshlrev_b32_e32 v23, v23, v14
	v_sub_u32_e32 v22, 29, v22
	v_and_b32_e32 v23, 7, v23
	v_cmp_eq_u16_e32 vcc, 0, v21
	v_cndmask_b32_e32 v20, v20, v23, vcc
	v_cndmask_b32_e32 v21, v21, v22, vcc
	v_lshlrev_b32_e32 v22, 24, v14
	v_mov_b32_e32 v23, 0x3b800000
	v_lshlrev_b32_e32 v20, 20, v20
	v_and_b32_e32 v22, 0x80000000, v22
	v_lshl_add_u32 v21, v21, 23, v23
	v_or3_b32 v20, v22, v21, v20
.LBB48_4:
	s_or_b64 exec, exec, s[6:7]
	s_movk_i32 s4, 0x7f
	v_cmp_gt_i16_sdwa s[6:7], v10, s4 src0_sel:BYTE_0 src1_sel:DWORD
	s_mov_b64 s[4:5], 0
                                        ; implicit-def: $sgpr10
	s_and_saveexec_b64 s[8:9], s[6:7]
	s_xor_b64 s[6:7], exec, s[8:9]
	s_cbranch_execnz .LBB48_2053
; %bb.5:
	s_or_saveexec_b64 s[6:7], s[6:7]
	v_mov_b32_e32 v21, s10
	s_xor_b64 exec, exec, s[6:7]
	s_cbranch_execnz .LBB48_2056
.LBB48_6:
	s_or_b64 exec, exec, s[6:7]
	s_and_saveexec_b64 s[6:7], s[4:5]
	s_cbranch_execz .LBB48_8
.LBB48_7:
	v_and_b32_e32 v21, 7, v10
	v_ffbh_u32_e32 v23, v21
	v_min_u32_e32 v23, 32, v23
	v_lshrrev_b16_e32 v22, 3, v10
	v_subrev_u32_e32 v24, 28, v23
	v_and_b32_e32 v22, 15, v22
	v_lshlrev_b32_e32 v24, v24, v10
	v_sub_u32_e32 v23, 29, v23
	v_and_b32_e32 v24, 7, v24
	v_cmp_eq_u16_e32 vcc, 0, v22
	v_cndmask_b32_e32 v21, v21, v24, vcc
	v_cndmask_b32_e32 v22, v22, v23, vcc
	v_lshlrev_b32_e32 v23, 24, v10
	v_mov_b32_e32 v24, 0x3b800000
	v_lshlrev_b32_e32 v21, 20, v21
	v_and_b32_e32 v23, 0x80000000, v23
	v_lshl_add_u32 v22, v22, 23, v24
	v_or3_b32 v21, v23, v22, v21
.LBB48_8:
	s_or_b64 exec, exec, s[6:7]
	flat_load_dwordx4 a[0:3], v[18:19] offset:512
	s_movk_i32 s4, 0x7f
                                        ; implicit-def: $sgpr10
	s_waitcnt vmcnt(0) lgkmcnt(0)
	v_mfma_f32_16x16x4f32 a[0:3], v20, v21, a[0:3]
	v_lshrrev_b32_e32 v21, 8, v14
	v_cmp_gt_i16_sdwa s[6:7], v21, s4 src0_sel:BYTE_0 src1_sel:DWORD
	s_mov_b64 s[4:5], 0
	s_and_saveexec_b64 s[8:9], s[6:7]
	s_xor_b64 s[6:7], exec, s[8:9]
	s_cbranch_execnz .LBB48_2057
; %bb.9:
	s_or_saveexec_b64 s[6:7], s[6:7]
	v_mov_b32_e32 v20, s10
	s_xor_b64 exec, exec, s[6:7]
	s_cbranch_execnz .LBB48_2060
.LBB48_10:
	s_or_b64 exec, exec, s[6:7]
	s_and_saveexec_b64 s[6:7], s[4:5]
	s_cbranch_execz .LBB48_12
.LBB48_11:
	v_bfe_u32 v20, v14, 8, 3
	v_ffbh_u32_e32 v23, v20
	v_min_u32_e32 v23, 32, v23
	v_lshrrev_b16_e32 v22, 3, v21
	v_subrev_u32_e32 v24, 28, v23
	v_and_b32_e32 v22, 15, v22
	v_lshlrev_b32_e32 v21, v24, v21
	v_sub_u32_e32 v23, 29, v23
	v_and_b32_e32 v21, 7, v21
	v_cmp_eq_u16_e32 vcc, 0, v22
	v_cndmask_b32_e32 v20, v20, v21, vcc
	v_cndmask_b32_e32 v21, v22, v23, vcc
	v_lshlrev_b32_e32 v22, 16, v14
	v_mov_b32_e32 v23, 0x3b800000
	v_lshlrev_b32_e32 v20, 20, v20
	v_and_b32_e32 v22, 0x80000000, v22
	v_lshl_add_u32 v21, v21, 23, v23
	v_or3_b32 v20, v22, v21, v20
.LBB48_12:
	s_or_b64 exec, exec, s[6:7]
	v_lshrrev_b32_e32 v21, 8, v10
	s_movk_i32 s4, 0x7f
	v_cmp_gt_i16_sdwa s[6:7], v21, s4 src0_sel:BYTE_0 src1_sel:DWORD
	s_mov_b64 s[4:5], 0
                                        ; implicit-def: $sgpr10
	s_and_saveexec_b64 s[8:9], s[6:7]
	s_xor_b64 s[6:7], exec, s[8:9]
	s_cbranch_execnz .LBB48_2061
; %bb.13:
	s_or_saveexec_b64 s[6:7], s[6:7]
	v_mov_b32_e32 v22, s10
	s_xor_b64 exec, exec, s[6:7]
	s_cbranch_execnz .LBB48_2064
.LBB48_14:
	s_or_b64 exec, exec, s[6:7]
	s_and_saveexec_b64 s[6:7], s[4:5]
	s_cbranch_execz .LBB48_16
.LBB48_15:
	v_bfe_u32 v22, v10, 8, 3
	v_ffbh_u32_e32 v24, v22
	v_min_u32_e32 v24, 32, v24
	v_lshrrev_b16_e32 v23, 3, v21
	v_subrev_u32_e32 v25, 28, v24
	v_and_b32_e32 v23, 15, v23
	v_lshlrev_b32_e32 v21, v25, v21
	v_sub_u32_e32 v24, 29, v24
	v_and_b32_e32 v21, 7, v21
	v_cmp_eq_u16_e32 vcc, 0, v23
	v_cndmask_b32_e32 v21, v22, v21, vcc
	v_cndmask_b32_e32 v22, v23, v24, vcc
	v_lshlrev_b32_e32 v23, 16, v10
	v_mov_b32_e32 v24, 0x3b800000
	v_lshlrev_b32_e32 v21, 20, v21
	v_and_b32_e32 v23, 0x80000000, v23
	v_lshl_add_u32 v22, v22, 23, v24
	v_or3_b32 v22, v23, v22, v21
.LBB48_16:
	s_or_b64 exec, exec, s[6:7]
	s_nop 0
	v_mfma_f32_16x16x4f32 a[0:3], v20, v22, a[0:3]
	s_movk_i32 s4, 0xff
	v_and_b32_sdwa v21, v14, s4 dst_sel:DWORD dst_unused:UNUSED_PAD src0_sel:WORD_1 src1_sel:DWORD
	s_movk_i32 s4, 0x7f
	v_cmp_lt_i16_e32 vcc, s4, v21
	s_mov_b64 s[4:5], 0
                                        ; implicit-def: $sgpr10
	s_and_saveexec_b64 s[6:7], vcc
	s_xor_b64 s[6:7], exec, s[6:7]
	s_cbranch_execnz .LBB48_2065
; %bb.17:
	s_or_saveexec_b64 s[6:7], s[6:7]
	v_mov_b32_e32 v20, s10
	s_xor_b64 exec, exec, s[6:7]
	s_cbranch_execnz .LBB48_2068
.LBB48_18:
	s_or_b64 exec, exec, s[6:7]
	s_and_saveexec_b64 s[6:7], s[4:5]
	s_cbranch_execz .LBB48_20
.LBB48_19:
	v_bfe_u32 v20, v14, 16, 3
	v_ffbh_u32_e32 v23, v20
	v_min_u32_e32 v23, 32, v23
	v_lshrrev_b32_e32 v21, 19, v14
	v_subrev_u32_e32 v24, 28, v23
	v_and_b32_e32 v21, 15, v21
	v_lshlrev_b32_sdwa v24, v24, v14 dst_sel:DWORD dst_unused:UNUSED_PAD src0_sel:DWORD src1_sel:WORD_1
	v_bfe_u32 v22, v14, 19, 4
	v_sub_u32_e32 v23, 29, v23
	v_and_b32_e32 v24, 7, v24
	v_cmp_eq_u16_e32 vcc, 0, v21
	v_cndmask_b32_e32 v20, v20, v24, vcc
	v_cndmask_b32_e32 v21, v22, v23, vcc
	v_lshlrev_b32_e32 v22, 8, v14
	v_mov_b32_e32 v23, 0x3b800000
	v_lshlrev_b32_e32 v20, 20, v20
	v_and_b32_e32 v22, 0x80000000, v22
	v_lshl_add_u32 v21, v21, 23, v23
	v_or3_b32 v20, v22, v21, v20
.LBB48_20:
	s_or_b64 exec, exec, s[6:7]
	s_movk_i32 s4, 0xff
	v_and_b32_sdwa v21, v10, s4 dst_sel:DWORD dst_unused:UNUSED_PAD src0_sel:WORD_1 src1_sel:DWORD
	s_movk_i32 s4, 0x7f
	v_cmp_lt_i16_e32 vcc, s4, v21
	s_mov_b64 s[4:5], 0
                                        ; implicit-def: $sgpr10
	s_and_saveexec_b64 s[6:7], vcc
	s_xor_b64 s[6:7], exec, s[6:7]
	s_cbranch_execnz .LBB48_2069
; %bb.21:
	s_or_saveexec_b64 s[6:7], s[6:7]
	v_mov_b32_e32 v22, s10
	s_xor_b64 exec, exec, s[6:7]
	s_cbranch_execnz .LBB48_2072
.LBB48_22:
	s_or_b64 exec, exec, s[6:7]
	s_and_saveexec_b64 s[6:7], s[4:5]
	s_cbranch_execz .LBB48_24
.LBB48_23:
	v_bfe_u32 v21, v10, 16, 3
	v_ffbh_u32_e32 v24, v21
	v_min_u32_e32 v24, 32, v24
	v_lshrrev_b32_e32 v22, 19, v10
	v_subrev_u32_e32 v25, 28, v24
	v_and_b32_e32 v22, 15, v22
	v_lshlrev_b32_sdwa v25, v25, v10 dst_sel:DWORD dst_unused:UNUSED_PAD src0_sel:DWORD src1_sel:WORD_1
	v_bfe_u32 v23, v10, 19, 4
	v_sub_u32_e32 v24, 29, v24
	v_and_b32_e32 v25, 7, v25
	v_cmp_eq_u16_e32 vcc, 0, v22
	v_cndmask_b32_e32 v21, v21, v25, vcc
	v_cndmask_b32_e32 v22, v23, v24, vcc
	v_lshlrev_b32_e32 v23, 8, v10
	v_mov_b32_e32 v24, 0x3b800000
	v_lshlrev_b32_e32 v21, 20, v21
	v_and_b32_e32 v23, 0x80000000, v23
	v_lshl_add_u32 v22, v22, 23, v24
	v_or3_b32 v22, v23, v22, v21
.LBB48_24:
	s_or_b64 exec, exec, s[6:7]
	s_nop 0
	v_mfma_f32_16x16x4f32 a[0:3], v20, v22, a[0:3]
	s_movk_i32 s4, 0x7f
	v_cmp_gt_i16_sdwa s[6:7], v14, s4 src0_sel:BYTE_3 src1_sel:DWORD
	s_mov_b64 s[4:5], 0
                                        ; implicit-def: $sgpr10
	s_and_saveexec_b64 s[8:9], s[6:7]
	s_xor_b64 s[6:7], exec, s[8:9]
	s_cbranch_execnz .LBB48_2073
; %bb.25:
	s_or_saveexec_b64 s[6:7], s[6:7]
	v_mov_b32_e32 v20, s10
	s_xor_b64 exec, exec, s[6:7]
	s_cbranch_execnz .LBB48_2076
.LBB48_26:
	s_or_b64 exec, exec, s[6:7]
	s_and_saveexec_b64 s[6:7], s[4:5]
	s_cbranch_execz .LBB48_28
.LBB48_27:
	v_bfe_u32 v20, v14, 24, 3
	v_ffbh_u32_e32 v24, v20
	v_min_u32_e32 v24, 32, v24
	v_lshrrev_b32_e32 v22, 27, v14
	v_subrev_u32_e32 v25, 28, v24
	v_and_b32_e32 v21, 0x80000000, v14
	v_and_b32_e32 v22, 15, v22
	v_bfe_u32 v23, v14, 27, 4
	v_lshlrev_b32_sdwa v14, v25, v14 dst_sel:DWORD dst_unused:UNUSED_PAD src0_sel:DWORD src1_sel:BYTE_3
	v_sub_u32_e32 v24, 29, v24
	v_and_b32_e32 v14, 7, v14
	v_cmp_eq_u16_e32 vcc, 0, v22
	v_cndmask_b32_e32 v14, v20, v14, vcc
	v_cndmask_b32_e32 v20, v23, v24, vcc
	v_mov_b32_e32 v22, 0x3b800000
	v_lshlrev_b32_e32 v14, 20, v14
	v_lshl_add_u32 v20, v20, 23, v22
	v_or3_b32 v20, v21, v20, v14
.LBB48_28:
	s_or_b64 exec, exec, s[6:7]
	s_movk_i32 s4, 0x7f
	v_cmp_gt_i16_sdwa s[6:7], v10, s4 src0_sel:BYTE_3 src1_sel:DWORD
	s_mov_b64 s[4:5], 0
                                        ; implicit-def: $sgpr10
	s_and_saveexec_b64 s[8:9], s[6:7]
	s_xor_b64 s[6:7], exec, s[8:9]
	s_cbranch_execnz .LBB48_2077
; %bb.29:
	s_or_saveexec_b64 s[6:7], s[6:7]
	v_mov_b32_e32 v14, s10
	s_xor_b64 exec, exec, s[6:7]
	s_cbranch_execnz .LBB48_2080
.LBB48_30:
	s_or_b64 exec, exec, s[6:7]
	s_and_saveexec_b64 s[6:7], s[4:5]
	s_cbranch_execz .LBB48_32
.LBB48_31:
	v_bfe_u32 v14, v10, 24, 3
	v_ffbh_u32_e32 v24, v14
	v_min_u32_e32 v24, 32, v24
	v_lshrrev_b32_e32 v22, 27, v10
	v_subrev_u32_e32 v25, 28, v24
	v_and_b32_e32 v21, 0x80000000, v10
	v_and_b32_e32 v22, 15, v22
	v_bfe_u32 v23, v10, 27, 4
	v_lshlrev_b32_sdwa v10, v25, v10 dst_sel:DWORD dst_unused:UNUSED_PAD src0_sel:DWORD src1_sel:BYTE_3
	v_sub_u32_e32 v24, 29, v24
	v_and_b32_e32 v10, 7, v10
	v_cmp_eq_u16_e32 vcc, 0, v22
	v_cndmask_b32_e32 v10, v14, v10, vcc
	v_cndmask_b32_e32 v14, v23, v24, vcc
	v_mov_b32_e32 v22, 0x3b800000
	v_lshlrev_b32_e32 v10, 20, v10
	v_lshl_add_u32 v14, v14, 23, v22
	v_or3_b32 v14, v21, v14, v10
.LBB48_32:
	s_or_b64 exec, exec, s[6:7]
	s_nop 0
	v_mfma_f32_16x16x4f32 a[0:3], v20, v14, a[0:3]
	s_movk_i32 s4, 0x7f
	v_cmp_gt_i16_sdwa s[6:7], v15, s4 src0_sel:BYTE_0 src1_sel:DWORD
	s_mov_b64 s[4:5], 0
                                        ; implicit-def: $sgpr10
	s_and_saveexec_b64 s[8:9], s[6:7]
	s_xor_b64 s[6:7], exec, s[8:9]
	s_cbranch_execnz .LBB48_2081
; %bb.33:
	s_or_saveexec_b64 s[6:7], s[6:7]
	v_mov_b32_e32 v10, s10
	s_xor_b64 exec, exec, s[6:7]
	s_cbranch_execnz .LBB48_2084
.LBB48_34:
	s_or_b64 exec, exec, s[6:7]
	s_and_saveexec_b64 s[6:7], s[4:5]
	s_cbranch_execz .LBB48_36
.LBB48_35:
	v_and_b32_e32 v10, 7, v15
	v_ffbh_u32_e32 v20, v10
	v_min_u32_e32 v20, 32, v20
	v_lshrrev_b16_e32 v14, 3, v15
	v_subrev_u32_e32 v21, 28, v20
	v_and_b32_e32 v14, 15, v14
	v_lshlrev_b32_e32 v21, v21, v15
	v_sub_u32_e32 v20, 29, v20
	v_and_b32_e32 v21, 7, v21
	v_cmp_eq_u16_e32 vcc, 0, v14
	v_cndmask_b32_e32 v10, v10, v21, vcc
	v_cndmask_b32_e32 v14, v14, v20, vcc
	v_lshlrev_b32_e32 v20, 24, v15
	v_mov_b32_e32 v21, 0x3b800000
	v_lshlrev_b32_e32 v10, 20, v10
	v_and_b32_e32 v20, 0x80000000, v20
	v_lshl_add_u32 v14, v14, 23, v21
	v_or3_b32 v10, v20, v14, v10
.LBB48_36:
	s_or_b64 exec, exec, s[6:7]
	s_movk_i32 s4, 0x7f
	v_cmp_gt_i16_sdwa s[6:7], v11, s4 src0_sel:BYTE_0 src1_sel:DWORD
	s_mov_b64 s[4:5], 0
                                        ; implicit-def: $sgpr10
	s_and_saveexec_b64 s[8:9], s[6:7]
	s_xor_b64 s[6:7], exec, s[8:9]
	s_cbranch_execnz .LBB48_2085
; %bb.37:
	s_or_saveexec_b64 s[6:7], s[6:7]
	v_mov_b32_e32 v14, s10
	s_xor_b64 exec, exec, s[6:7]
	s_cbranch_execnz .LBB48_2088
.LBB48_38:
	s_or_b64 exec, exec, s[6:7]
	s_and_saveexec_b64 s[6:7], s[4:5]
	s_cbranch_execz .LBB48_40
.LBB48_39:
	v_and_b32_e32 v14, 7, v11
	v_ffbh_u32_e32 v21, v14
	v_min_u32_e32 v21, 32, v21
	v_lshrrev_b16_e32 v20, 3, v11
	v_subrev_u32_e32 v22, 28, v21
	v_and_b32_e32 v20, 15, v20
	v_lshlrev_b32_e32 v22, v22, v11
	v_sub_u32_e32 v21, 29, v21
	v_and_b32_e32 v22, 7, v22
	v_cmp_eq_u16_e32 vcc, 0, v20
	v_cndmask_b32_e32 v14, v14, v22, vcc
	v_cndmask_b32_e32 v20, v20, v21, vcc
	v_lshlrev_b32_e32 v21, 24, v11
	v_mov_b32_e32 v22, 0x3b800000
	v_lshlrev_b32_e32 v14, 20, v14
	v_and_b32_e32 v21, 0x80000000, v21
	v_lshl_add_u32 v20, v20, 23, v22
	v_or3_b32 v14, v21, v20, v14
.LBB48_40:
	s_or_b64 exec, exec, s[6:7]
	s_nop 0
	v_mfma_f32_16x16x4f32 a[0:3], v10, v14, a[0:3]
	v_lshrrev_b32_e32 v14, 8, v15
	s_movk_i32 s4, 0x7f
	v_cmp_gt_i16_sdwa s[6:7], v14, s4 src0_sel:BYTE_0 src1_sel:DWORD
	s_mov_b64 s[4:5], 0
                                        ; implicit-def: $sgpr10
	s_and_saveexec_b64 s[8:9], s[6:7]
	s_xor_b64 s[6:7], exec, s[8:9]
	s_cbranch_execnz .LBB48_2089
; %bb.41:
	s_or_saveexec_b64 s[6:7], s[6:7]
	v_mov_b32_e32 v10, s10
	s_xor_b64 exec, exec, s[6:7]
	s_cbranch_execnz .LBB48_2092
.LBB48_42:
	s_or_b64 exec, exec, s[6:7]
	s_and_saveexec_b64 s[6:7], s[4:5]
	s_cbranch_execz .LBB48_44
.LBB48_43:
	v_bfe_u32 v10, v15, 8, 3
	v_ffbh_u32_e32 v21, v10
	v_min_u32_e32 v21, 32, v21
	v_lshrrev_b16_e32 v20, 3, v14
	v_subrev_u32_e32 v22, 28, v21
	v_and_b32_e32 v20, 15, v20
	v_lshlrev_b32_e32 v14, v22, v14
	v_sub_u32_e32 v21, 29, v21
	v_and_b32_e32 v14, 7, v14
	v_cmp_eq_u16_e32 vcc, 0, v20
	v_cndmask_b32_e32 v10, v10, v14, vcc
	v_cndmask_b32_e32 v14, v20, v21, vcc
	v_lshlrev_b32_e32 v20, 16, v15
	v_mov_b32_e32 v21, 0x3b800000
	v_lshlrev_b32_e32 v10, 20, v10
	v_and_b32_e32 v20, 0x80000000, v20
	v_lshl_add_u32 v14, v14, 23, v21
	v_or3_b32 v10, v20, v14, v10
.LBB48_44:
	s_or_b64 exec, exec, s[6:7]
	v_lshrrev_b32_e32 v14, 8, v11
	s_movk_i32 s4, 0x7f
	v_cmp_gt_i16_sdwa s[6:7], v14, s4 src0_sel:BYTE_0 src1_sel:DWORD
	s_mov_b64 s[4:5], 0
                                        ; implicit-def: $sgpr10
	s_and_saveexec_b64 s[8:9], s[6:7]
	s_xor_b64 s[6:7], exec, s[8:9]
	s_cbranch_execnz .LBB48_2093
; %bb.45:
	s_or_saveexec_b64 s[6:7], s[6:7]
	v_mov_b32_e32 v20, s10
	s_xor_b64 exec, exec, s[6:7]
	s_cbranch_execnz .LBB48_2096
.LBB48_46:
	s_or_b64 exec, exec, s[6:7]
	s_and_saveexec_b64 s[6:7], s[4:5]
	s_cbranch_execz .LBB48_48
.LBB48_47:
	v_bfe_u32 v20, v11, 8, 3
	v_ffbh_u32_e32 v22, v20
	v_min_u32_e32 v22, 32, v22
	v_lshrrev_b16_e32 v21, 3, v14
	v_subrev_u32_e32 v23, 28, v22
	v_and_b32_e32 v21, 15, v21
	v_lshlrev_b32_e32 v14, v23, v14
	v_sub_u32_e32 v22, 29, v22
	v_and_b32_e32 v14, 7, v14
	v_cmp_eq_u16_e32 vcc, 0, v21
	v_cndmask_b32_e32 v14, v20, v14, vcc
	v_cndmask_b32_e32 v20, v21, v22, vcc
	v_lshlrev_b32_e32 v21, 16, v11
	v_mov_b32_e32 v22, 0x3b800000
	v_lshlrev_b32_e32 v14, 20, v14
	v_and_b32_e32 v21, 0x80000000, v21
	v_lshl_add_u32 v20, v20, 23, v22
	v_or3_b32 v20, v21, v20, v14
.LBB48_48:
	s_or_b64 exec, exec, s[6:7]
	s_nop 0
	v_mfma_f32_16x16x4f32 a[0:3], v10, v20, a[0:3]
	s_movk_i32 s4, 0xff
	v_and_b32_sdwa v14, v15, s4 dst_sel:DWORD dst_unused:UNUSED_PAD src0_sel:WORD_1 src1_sel:DWORD
	s_movk_i32 s4, 0x7f
	v_cmp_lt_i16_e32 vcc, s4, v14
	s_mov_b64 s[4:5], 0
                                        ; implicit-def: $sgpr10
	s_and_saveexec_b64 s[6:7], vcc
	s_xor_b64 s[6:7], exec, s[6:7]
	s_cbranch_execnz .LBB48_2097
; %bb.49:
	s_or_saveexec_b64 s[6:7], s[6:7]
	v_mov_b32_e32 v10, s10
	s_xor_b64 exec, exec, s[6:7]
	s_cbranch_execnz .LBB48_2100
.LBB48_50:
	s_or_b64 exec, exec, s[6:7]
	s_and_saveexec_b64 s[6:7], s[4:5]
	s_cbranch_execz .LBB48_52
.LBB48_51:
	v_bfe_u32 v10, v15, 16, 3
	v_ffbh_u32_e32 v21, v10
	v_min_u32_e32 v21, 32, v21
	v_lshrrev_b32_e32 v14, 19, v15
	v_subrev_u32_e32 v22, 28, v21
	v_and_b32_e32 v14, 15, v14
	v_lshlrev_b32_sdwa v22, v22, v15 dst_sel:DWORD dst_unused:UNUSED_PAD src0_sel:DWORD src1_sel:WORD_1
	v_bfe_u32 v20, v15, 19, 4
	v_sub_u32_e32 v21, 29, v21
	v_and_b32_e32 v22, 7, v22
	v_cmp_eq_u16_e32 vcc, 0, v14
	v_cndmask_b32_e32 v10, v10, v22, vcc
	v_cndmask_b32_e32 v14, v20, v21, vcc
	v_lshlrev_b32_e32 v20, 8, v15
	v_mov_b32_e32 v21, 0x3b800000
	v_lshlrev_b32_e32 v10, 20, v10
	v_and_b32_e32 v20, 0x80000000, v20
	v_lshl_add_u32 v14, v14, 23, v21
	v_or3_b32 v10, v20, v14, v10
.LBB48_52:
	s_or_b64 exec, exec, s[6:7]
	s_movk_i32 s4, 0xff
	v_and_b32_sdwa v14, v11, s4 dst_sel:DWORD dst_unused:UNUSED_PAD src0_sel:WORD_1 src1_sel:DWORD
	s_movk_i32 s4, 0x7f
	v_cmp_lt_i16_e32 vcc, s4, v14
	s_mov_b64 s[4:5], 0
                                        ; implicit-def: $sgpr10
	s_and_saveexec_b64 s[6:7], vcc
	s_xor_b64 s[6:7], exec, s[6:7]
	s_cbranch_execnz .LBB48_2101
; %bb.53:
	s_or_saveexec_b64 s[6:7], s[6:7]
	v_mov_b32_e32 v20, s10
	s_xor_b64 exec, exec, s[6:7]
	s_cbranch_execnz .LBB48_2104
.LBB48_54:
	s_or_b64 exec, exec, s[6:7]
	s_and_saveexec_b64 s[6:7], s[4:5]
	s_cbranch_execz .LBB48_56
.LBB48_55:
	v_bfe_u32 v14, v11, 16, 3
	v_ffbh_u32_e32 v22, v14
	v_min_u32_e32 v22, 32, v22
	v_lshrrev_b32_e32 v20, 19, v11
	v_subrev_u32_e32 v23, 28, v22
	v_and_b32_e32 v20, 15, v20
	v_lshlrev_b32_sdwa v23, v23, v11 dst_sel:DWORD dst_unused:UNUSED_PAD src0_sel:DWORD src1_sel:WORD_1
	v_bfe_u32 v21, v11, 19, 4
	v_sub_u32_e32 v22, 29, v22
	v_and_b32_e32 v23, 7, v23
	v_cmp_eq_u16_e32 vcc, 0, v20
	v_cndmask_b32_e32 v14, v14, v23, vcc
	v_cndmask_b32_e32 v20, v21, v22, vcc
	v_lshlrev_b32_e32 v21, 8, v11
	v_mov_b32_e32 v22, 0x3b800000
	v_lshlrev_b32_e32 v14, 20, v14
	v_and_b32_e32 v21, 0x80000000, v21
	v_lshl_add_u32 v20, v20, 23, v22
	v_or3_b32 v20, v21, v20, v14
.LBB48_56:
	s_or_b64 exec, exec, s[6:7]
	s_nop 0
	v_mfma_f32_16x16x4f32 a[0:3], v10, v20, a[0:3]
	s_movk_i32 s4, 0x7f
	v_cmp_gt_i16_sdwa s[6:7], v15, s4 src0_sel:BYTE_3 src1_sel:DWORD
	s_mov_b64 s[4:5], 0
                                        ; implicit-def: $sgpr10
	s_and_saveexec_b64 s[8:9], s[6:7]
	s_xor_b64 s[6:7], exec, s[8:9]
	s_cbranch_execnz .LBB48_2105
; %bb.57:
	s_or_saveexec_b64 s[6:7], s[6:7]
	v_mov_b32_e32 v10, s10
	s_xor_b64 exec, exec, s[6:7]
	s_cbranch_execnz .LBB48_2108
.LBB48_58:
	s_or_b64 exec, exec, s[6:7]
	s_and_saveexec_b64 s[6:7], s[4:5]
	s_cbranch_execz .LBB48_60
.LBB48_59:
	v_bfe_u32 v10, v15, 24, 3
	v_ffbh_u32_e32 v22, v10
	v_min_u32_e32 v22, 32, v22
	v_lshrrev_b32_e32 v20, 27, v15
	v_subrev_u32_e32 v23, 28, v22
	v_and_b32_e32 v14, 0x80000000, v15
	v_and_b32_e32 v20, 15, v20
	v_bfe_u32 v21, v15, 27, 4
	v_lshlrev_b32_sdwa v15, v23, v15 dst_sel:DWORD dst_unused:UNUSED_PAD src0_sel:DWORD src1_sel:BYTE_3
	v_sub_u32_e32 v22, 29, v22
	v_and_b32_e32 v15, 7, v15
	v_cmp_eq_u16_e32 vcc, 0, v20
	v_cndmask_b32_e32 v10, v10, v15, vcc
	v_cndmask_b32_e32 v15, v21, v22, vcc
	v_mov_b32_e32 v20, 0x3b800000
	v_lshlrev_b32_e32 v10, 20, v10
	v_lshl_add_u32 v15, v15, 23, v20
	v_or3_b32 v10, v14, v15, v10
.LBB48_60:
	s_or_b64 exec, exec, s[6:7]
	s_movk_i32 s4, 0x7f
	v_cmp_gt_i16_sdwa s[6:7], v11, s4 src0_sel:BYTE_3 src1_sel:DWORD
	s_mov_b64 s[4:5], 0
                                        ; implicit-def: $sgpr10
	s_and_saveexec_b64 s[8:9], s[6:7]
	s_xor_b64 s[6:7], exec, s[8:9]
	s_cbranch_execnz .LBB48_2109
; %bb.61:
	s_or_saveexec_b64 s[6:7], s[6:7]
	v_mov_b32_e32 v14, s10
	s_xor_b64 exec, exec, s[6:7]
	s_cbranch_execnz .LBB48_2112
.LBB48_62:
	s_or_b64 exec, exec, s[6:7]
	s_and_saveexec_b64 s[6:7], s[4:5]
	s_cbranch_execz .LBB48_64
.LBB48_63:
	v_bfe_u32 v14, v11, 24, 3
	v_ffbh_u32_e32 v22, v14
	v_min_u32_e32 v22, 32, v22
	v_lshrrev_b32_e32 v20, 27, v11
	v_subrev_u32_e32 v23, 28, v22
	v_and_b32_e32 v15, 0x80000000, v11
	v_and_b32_e32 v20, 15, v20
	v_bfe_u32 v21, v11, 27, 4
	v_lshlrev_b32_sdwa v11, v23, v11 dst_sel:DWORD dst_unused:UNUSED_PAD src0_sel:DWORD src1_sel:BYTE_3
	v_sub_u32_e32 v22, 29, v22
	v_and_b32_e32 v11, 7, v11
	v_cmp_eq_u16_e32 vcc, 0, v20
	v_cndmask_b32_e32 v11, v14, v11, vcc
	v_cndmask_b32_e32 v14, v21, v22, vcc
	v_mov_b32_e32 v20, 0x3b800000
	v_lshlrev_b32_e32 v11, 20, v11
	v_lshl_add_u32 v14, v14, 23, v20
	v_or3_b32 v14, v15, v14, v11
.LBB48_64:
	s_or_b64 exec, exec, s[6:7]
	s_nop 0
	v_mfma_f32_16x16x4f32 a[0:3], v10, v14, a[0:3]
	s_movk_i32 s4, 0x7f
	v_cmp_gt_i16_sdwa s[6:7], v16, s4 src0_sel:BYTE_0 src1_sel:DWORD
	s_mov_b64 s[4:5], 0
                                        ; implicit-def: $sgpr10
	s_and_saveexec_b64 s[8:9], s[6:7]
	s_xor_b64 s[6:7], exec, s[8:9]
	s_cbranch_execnz .LBB48_2113
; %bb.65:
	s_or_saveexec_b64 s[6:7], s[6:7]
	v_mov_b32_e32 v10, s10
	s_xor_b64 exec, exec, s[6:7]
	s_cbranch_execnz .LBB48_2116
.LBB48_66:
	s_or_b64 exec, exec, s[6:7]
	s_and_saveexec_b64 s[6:7], s[4:5]
	s_cbranch_execz .LBB48_68
.LBB48_67:
	v_and_b32_e32 v10, 7, v16
	v_ffbh_u32_e32 v14, v10
	v_min_u32_e32 v14, 32, v14
	v_lshrrev_b16_e32 v11, 3, v16
	v_subrev_u32_e32 v15, 28, v14
	v_and_b32_e32 v11, 15, v11
	v_lshlrev_b32_e32 v15, v15, v16
	v_sub_u32_e32 v14, 29, v14
	v_and_b32_e32 v15, 7, v15
	v_cmp_eq_u16_e32 vcc, 0, v11
	v_cndmask_b32_e32 v10, v10, v15, vcc
	v_cndmask_b32_e32 v11, v11, v14, vcc
	v_lshlrev_b32_e32 v14, 24, v16
	v_mov_b32_e32 v15, 0x3b800000
	v_lshlrev_b32_e32 v10, 20, v10
	v_and_b32_e32 v14, 0x80000000, v14
	v_lshl_add_u32 v11, v11, 23, v15
	v_or3_b32 v10, v14, v11, v10
.LBB48_68:
	s_or_b64 exec, exec, s[6:7]
	s_movk_i32 s4, 0x7f
	v_cmp_gt_i16_sdwa s[6:7], v12, s4 src0_sel:BYTE_0 src1_sel:DWORD
	s_mov_b64 s[4:5], 0
                                        ; implicit-def: $sgpr10
	s_and_saveexec_b64 s[8:9], s[6:7]
	s_xor_b64 s[6:7], exec, s[8:9]
	s_cbranch_execnz .LBB48_2117
; %bb.69:
	s_or_saveexec_b64 s[6:7], s[6:7]
	v_mov_b32_e32 v11, s10
	s_xor_b64 exec, exec, s[6:7]
	s_cbranch_execnz .LBB48_2120
.LBB48_70:
	s_or_b64 exec, exec, s[6:7]
	s_and_saveexec_b64 s[6:7], s[4:5]
	s_cbranch_execz .LBB48_72
.LBB48_71:
	v_and_b32_e32 v11, 7, v12
	v_ffbh_u32_e32 v15, v11
	v_min_u32_e32 v15, 32, v15
	v_lshrrev_b16_e32 v14, 3, v12
	v_subrev_u32_e32 v20, 28, v15
	v_and_b32_e32 v14, 15, v14
	v_lshlrev_b32_e32 v20, v20, v12
	v_sub_u32_e32 v15, 29, v15
	v_and_b32_e32 v20, 7, v20
	v_cmp_eq_u16_e32 vcc, 0, v14
	v_cndmask_b32_e32 v11, v11, v20, vcc
	v_cndmask_b32_e32 v14, v14, v15, vcc
	v_lshlrev_b32_e32 v15, 24, v12
	v_mov_b32_e32 v20, 0x3b800000
	v_lshlrev_b32_e32 v11, 20, v11
	v_and_b32_e32 v15, 0x80000000, v15
	v_lshl_add_u32 v14, v14, 23, v20
	v_or3_b32 v11, v15, v14, v11
.LBB48_72:
	s_or_b64 exec, exec, s[6:7]
	s_nop 0
	v_mfma_f32_16x16x4f32 a[0:3], v10, v11, a[0:3]
	v_lshrrev_b32_e32 v11, 8, v16
	s_movk_i32 s4, 0x7f
	v_cmp_gt_i16_sdwa s[6:7], v11, s4 src0_sel:BYTE_0 src1_sel:DWORD
	s_mov_b64 s[4:5], 0
                                        ; implicit-def: $sgpr10
	s_and_saveexec_b64 s[8:9], s[6:7]
	s_xor_b64 s[6:7], exec, s[8:9]
	s_cbranch_execnz .LBB48_2121
; %bb.73:
	s_or_saveexec_b64 s[6:7], s[6:7]
	v_mov_b32_e32 v10, s10
	s_xor_b64 exec, exec, s[6:7]
	s_cbranch_execnz .LBB48_2124
.LBB48_74:
	s_or_b64 exec, exec, s[6:7]
	s_and_saveexec_b64 s[6:7], s[4:5]
	s_cbranch_execz .LBB48_76
.LBB48_75:
	v_bfe_u32 v10, v16, 8, 3
	v_ffbh_u32_e32 v15, v10
	v_min_u32_e32 v15, 32, v15
	v_lshrrev_b16_e32 v14, 3, v11
	v_subrev_u32_e32 v20, 28, v15
	v_and_b32_e32 v14, 15, v14
	v_lshlrev_b32_e32 v11, v20, v11
	v_sub_u32_e32 v15, 29, v15
	v_and_b32_e32 v11, 7, v11
	v_cmp_eq_u16_e32 vcc, 0, v14
	v_cndmask_b32_e32 v10, v10, v11, vcc
	v_cndmask_b32_e32 v11, v14, v15, vcc
	v_lshlrev_b32_e32 v14, 16, v16
	v_mov_b32_e32 v15, 0x3b800000
	v_lshlrev_b32_e32 v10, 20, v10
	v_and_b32_e32 v14, 0x80000000, v14
	v_lshl_add_u32 v11, v11, 23, v15
	v_or3_b32 v10, v14, v11, v10
.LBB48_76:
	s_or_b64 exec, exec, s[6:7]
	v_lshrrev_b32_e32 v11, 8, v12
	s_movk_i32 s4, 0x7f
	v_cmp_gt_i16_sdwa s[6:7], v11, s4 src0_sel:BYTE_0 src1_sel:DWORD
	s_mov_b64 s[4:5], 0
                                        ; implicit-def: $sgpr10
	s_and_saveexec_b64 s[8:9], s[6:7]
	s_xor_b64 s[6:7], exec, s[8:9]
	s_cbranch_execnz .LBB48_2125
; %bb.77:
	s_or_saveexec_b64 s[6:7], s[6:7]
	v_mov_b32_e32 v14, s10
	s_xor_b64 exec, exec, s[6:7]
	s_cbranch_execnz .LBB48_2128
.LBB48_78:
	s_or_b64 exec, exec, s[6:7]
	s_and_saveexec_b64 s[6:7], s[4:5]
	s_cbranch_execz .LBB48_80
.LBB48_79:
	v_bfe_u32 v14, v12, 8, 3
	v_ffbh_u32_e32 v20, v14
	v_min_u32_e32 v20, 32, v20
	v_lshrrev_b16_e32 v15, 3, v11
	v_subrev_u32_e32 v21, 28, v20
	v_and_b32_e32 v15, 15, v15
	v_lshlrev_b32_e32 v11, v21, v11
	v_sub_u32_e32 v20, 29, v20
	v_and_b32_e32 v11, 7, v11
	v_cmp_eq_u16_e32 vcc, 0, v15
	v_cndmask_b32_e32 v11, v14, v11, vcc
	v_cndmask_b32_e32 v14, v15, v20, vcc
	v_lshlrev_b32_e32 v15, 16, v12
	v_mov_b32_e32 v20, 0x3b800000
	v_lshlrev_b32_e32 v11, 20, v11
	v_and_b32_e32 v15, 0x80000000, v15
	v_lshl_add_u32 v14, v14, 23, v20
	v_or3_b32 v14, v15, v14, v11
.LBB48_80:
	s_or_b64 exec, exec, s[6:7]
	s_nop 0
	v_mfma_f32_16x16x4f32 a[0:3], v10, v14, a[0:3]
	s_movk_i32 s4, 0xff
	v_and_b32_sdwa v11, v16, s4 dst_sel:DWORD dst_unused:UNUSED_PAD src0_sel:WORD_1 src1_sel:DWORD
	s_movk_i32 s4, 0x7f
	v_cmp_lt_i16_e32 vcc, s4, v11
	s_mov_b64 s[4:5], 0
                                        ; implicit-def: $sgpr10
	s_and_saveexec_b64 s[6:7], vcc
	s_xor_b64 s[6:7], exec, s[6:7]
	s_cbranch_execnz .LBB48_2129
; %bb.81:
	s_or_saveexec_b64 s[6:7], s[6:7]
	v_mov_b32_e32 v10, s10
	s_xor_b64 exec, exec, s[6:7]
	s_cbranch_execnz .LBB48_2132
.LBB48_82:
	s_or_b64 exec, exec, s[6:7]
	s_and_saveexec_b64 s[6:7], s[4:5]
	s_cbranch_execz .LBB48_84
.LBB48_83:
	v_bfe_u32 v10, v16, 16, 3
	v_ffbh_u32_e32 v15, v10
	v_min_u32_e32 v15, 32, v15
	v_lshrrev_b32_e32 v11, 19, v16
	v_subrev_u32_e32 v20, 28, v15
	v_and_b32_e32 v11, 15, v11
	v_lshlrev_b32_sdwa v20, v20, v16 dst_sel:DWORD dst_unused:UNUSED_PAD src0_sel:DWORD src1_sel:WORD_1
	v_bfe_u32 v14, v16, 19, 4
	v_sub_u32_e32 v15, 29, v15
	v_and_b32_e32 v20, 7, v20
	v_cmp_eq_u16_e32 vcc, 0, v11
	v_cndmask_b32_e32 v10, v10, v20, vcc
	v_cndmask_b32_e32 v11, v14, v15, vcc
	v_lshlrev_b32_e32 v14, 8, v16
	v_mov_b32_e32 v15, 0x3b800000
	v_lshlrev_b32_e32 v10, 20, v10
	v_and_b32_e32 v14, 0x80000000, v14
	v_lshl_add_u32 v11, v11, 23, v15
	v_or3_b32 v10, v14, v11, v10
.LBB48_84:
	s_or_b64 exec, exec, s[6:7]
	s_movk_i32 s4, 0xff
	v_and_b32_sdwa v11, v12, s4 dst_sel:DWORD dst_unused:UNUSED_PAD src0_sel:WORD_1 src1_sel:DWORD
	s_movk_i32 s4, 0x7f
	v_cmp_lt_i16_e32 vcc, s4, v11
	s_mov_b64 s[4:5], 0
                                        ; implicit-def: $sgpr10
	s_and_saveexec_b64 s[6:7], vcc
	s_xor_b64 s[6:7], exec, s[6:7]
	s_cbranch_execnz .LBB48_2133
; %bb.85:
	s_or_saveexec_b64 s[6:7], s[6:7]
	v_mov_b32_e32 v14, s10
	s_xor_b64 exec, exec, s[6:7]
	s_cbranch_execnz .LBB48_2136
.LBB48_86:
	s_or_b64 exec, exec, s[6:7]
	s_and_saveexec_b64 s[6:7], s[4:5]
	s_cbranch_execz .LBB48_88
.LBB48_87:
	v_bfe_u32 v11, v12, 16, 3
	v_ffbh_u32_e32 v20, v11
	v_min_u32_e32 v20, 32, v20
	v_lshrrev_b32_e32 v14, 19, v12
	v_subrev_u32_e32 v21, 28, v20
	v_and_b32_e32 v14, 15, v14
	v_lshlrev_b32_sdwa v21, v21, v12 dst_sel:DWORD dst_unused:UNUSED_PAD src0_sel:DWORD src1_sel:WORD_1
	v_bfe_u32 v15, v12, 19, 4
	v_sub_u32_e32 v20, 29, v20
	v_and_b32_e32 v21, 7, v21
	v_cmp_eq_u16_e32 vcc, 0, v14
	v_cndmask_b32_e32 v11, v11, v21, vcc
	v_cndmask_b32_e32 v14, v15, v20, vcc
	v_lshlrev_b32_e32 v15, 8, v12
	v_mov_b32_e32 v20, 0x3b800000
	v_lshlrev_b32_e32 v11, 20, v11
	v_and_b32_e32 v15, 0x80000000, v15
	v_lshl_add_u32 v14, v14, 23, v20
	v_or3_b32 v14, v15, v14, v11
.LBB48_88:
	s_or_b64 exec, exec, s[6:7]
	s_nop 0
	v_mfma_f32_16x16x4f32 a[0:3], v10, v14, a[0:3]
	s_movk_i32 s4, 0x7f
	v_cmp_gt_i16_sdwa s[6:7], v16, s4 src0_sel:BYTE_3 src1_sel:DWORD
	s_mov_b64 s[4:5], 0
                                        ; implicit-def: $sgpr10
	s_and_saveexec_b64 s[8:9], s[6:7]
	s_xor_b64 s[6:7], exec, s[8:9]
	s_cbranch_execnz .LBB48_2137
; %bb.89:
	s_or_saveexec_b64 s[6:7], s[6:7]
	v_mov_b32_e32 v10, s10
	s_xor_b64 exec, exec, s[6:7]
	s_cbranch_execnz .LBB48_2140
.LBB48_90:
	s_or_b64 exec, exec, s[6:7]
	s_and_saveexec_b64 s[6:7], s[4:5]
	s_cbranch_execz .LBB48_92
.LBB48_91:
	v_bfe_u32 v10, v16, 24, 3
	v_ffbh_u32_e32 v20, v10
	v_min_u32_e32 v20, 32, v20
	v_lshrrev_b32_e32 v14, 27, v16
	v_subrev_u32_e32 v21, 28, v20
	v_and_b32_e32 v11, 0x80000000, v16
	v_and_b32_e32 v14, 15, v14
	v_bfe_u32 v15, v16, 27, 4
	v_lshlrev_b32_sdwa v16, v21, v16 dst_sel:DWORD dst_unused:UNUSED_PAD src0_sel:DWORD src1_sel:BYTE_3
	v_sub_u32_e32 v20, 29, v20
	v_and_b32_e32 v16, 7, v16
	v_cmp_eq_u16_e32 vcc, 0, v14
	v_cndmask_b32_e32 v10, v10, v16, vcc
	v_cndmask_b32_e32 v14, v15, v20, vcc
	v_mov_b32_e32 v15, 0x3b800000
	v_lshlrev_b32_e32 v10, 20, v10
	v_lshl_add_u32 v14, v14, 23, v15
	v_or3_b32 v10, v11, v14, v10
.LBB48_92:
	s_or_b64 exec, exec, s[6:7]
	s_movk_i32 s4, 0x7f
	v_cmp_gt_i16_sdwa s[6:7], v12, s4 src0_sel:BYTE_3 src1_sel:DWORD
	s_mov_b64 s[4:5], 0
                                        ; implicit-def: $sgpr10
	s_and_saveexec_b64 s[8:9], s[6:7]
	s_xor_b64 s[6:7], exec, s[8:9]
	s_cbranch_execnz .LBB48_2141
; %bb.93:
	s_or_saveexec_b64 s[6:7], s[6:7]
	v_mov_b32_e32 v11, s10
	s_xor_b64 exec, exec, s[6:7]
	s_cbranch_execnz .LBB48_2144
.LBB48_94:
	s_or_b64 exec, exec, s[6:7]
	s_and_saveexec_b64 s[6:7], s[4:5]
	s_cbranch_execz .LBB48_96
.LBB48_95:
	v_bfe_u32 v11, v12, 24, 3
	v_ffbh_u32_e32 v20, v11
	v_min_u32_e32 v20, 32, v20
	v_lshrrev_b32_e32 v15, 27, v12
	v_subrev_u32_e32 v21, 28, v20
	v_and_b32_e32 v14, 0x80000000, v12
	v_and_b32_e32 v15, 15, v15
	v_bfe_u32 v16, v12, 27, 4
	v_lshlrev_b32_sdwa v12, v21, v12 dst_sel:DWORD dst_unused:UNUSED_PAD src0_sel:DWORD src1_sel:BYTE_3
	v_sub_u32_e32 v20, 29, v20
	v_and_b32_e32 v12, 7, v12
	v_cmp_eq_u16_e32 vcc, 0, v15
	v_cndmask_b32_e32 v11, v11, v12, vcc
	v_cndmask_b32_e32 v12, v16, v20, vcc
	v_mov_b32_e32 v15, 0x3b800000
	v_lshlrev_b32_e32 v11, 20, v11
	v_lshl_add_u32 v12, v12, 23, v15
	v_or3_b32 v11, v14, v12, v11
.LBB48_96:
	s_or_b64 exec, exec, s[6:7]
	s_nop 0
	v_mfma_f32_16x16x4f32 a[0:3], v10, v11, a[0:3]
	s_movk_i32 s4, 0x7f
	v_cmp_gt_i16_sdwa s[6:7], v17, s4 src0_sel:BYTE_0 src1_sel:DWORD
	s_mov_b64 s[4:5], 0
                                        ; implicit-def: $sgpr10
	s_and_saveexec_b64 s[8:9], s[6:7]
	s_xor_b64 s[6:7], exec, s[8:9]
	s_cbranch_execnz .LBB48_2145
; %bb.97:
	s_or_saveexec_b64 s[6:7], s[6:7]
	v_mov_b32_e32 v10, s10
	s_xor_b64 exec, exec, s[6:7]
	s_cbranch_execnz .LBB48_2148
.LBB48_98:
	s_or_b64 exec, exec, s[6:7]
	s_and_saveexec_b64 s[6:7], s[4:5]
	s_cbranch_execz .LBB48_100
.LBB48_99:
	v_and_b32_e32 v10, 7, v17
	v_ffbh_u32_e32 v12, v10
	v_min_u32_e32 v12, 32, v12
	v_lshrrev_b16_e32 v11, 3, v17
	v_subrev_u32_e32 v14, 28, v12
	v_and_b32_e32 v11, 15, v11
	v_lshlrev_b32_e32 v14, v14, v17
	v_sub_u32_e32 v12, 29, v12
	v_and_b32_e32 v14, 7, v14
	v_cmp_eq_u16_e32 vcc, 0, v11
	v_cndmask_b32_e32 v10, v10, v14, vcc
	v_cndmask_b32_e32 v11, v11, v12, vcc
	v_lshlrev_b32_e32 v12, 24, v17
	v_mov_b32_e32 v14, 0x3b800000
	v_lshlrev_b32_e32 v10, 20, v10
	v_and_b32_e32 v12, 0x80000000, v12
	v_lshl_add_u32 v11, v11, 23, v14
	v_or3_b32 v10, v12, v11, v10
.LBB48_100:
	s_or_b64 exec, exec, s[6:7]
	s_movk_i32 s4, 0x7f
	v_cmp_gt_i16_sdwa s[6:7], v13, s4 src0_sel:BYTE_0 src1_sel:DWORD
	s_mov_b64 s[4:5], 0
                                        ; implicit-def: $sgpr10
	s_and_saveexec_b64 s[8:9], s[6:7]
	s_xor_b64 s[6:7], exec, s[8:9]
	s_cbranch_execnz .LBB48_2149
; %bb.101:
	s_or_saveexec_b64 s[6:7], s[6:7]
	v_mov_b32_e32 v11, s10
	s_xor_b64 exec, exec, s[6:7]
	s_cbranch_execnz .LBB48_2152
.LBB48_102:
	s_or_b64 exec, exec, s[6:7]
	s_and_saveexec_b64 s[6:7], s[4:5]
	s_cbranch_execz .LBB48_104
.LBB48_103:
	v_and_b32_e32 v11, 7, v13
	v_ffbh_u32_e32 v14, v11
	v_min_u32_e32 v14, 32, v14
	v_lshrrev_b16_e32 v12, 3, v13
	v_subrev_u32_e32 v15, 28, v14
	v_and_b32_e32 v12, 15, v12
	v_lshlrev_b32_e32 v15, v15, v13
	v_sub_u32_e32 v14, 29, v14
	v_and_b32_e32 v15, 7, v15
	v_cmp_eq_u16_e32 vcc, 0, v12
	v_cndmask_b32_e32 v11, v11, v15, vcc
	v_cndmask_b32_e32 v12, v12, v14, vcc
	v_lshlrev_b32_e32 v14, 24, v13
	v_mov_b32_e32 v15, 0x3b800000
	v_lshlrev_b32_e32 v11, 20, v11
	v_and_b32_e32 v14, 0x80000000, v14
	v_lshl_add_u32 v12, v12, 23, v15
	v_or3_b32 v11, v14, v12, v11
.LBB48_104:
	s_or_b64 exec, exec, s[6:7]
	s_nop 0
	v_mfma_f32_16x16x4f32 a[0:3], v10, v11, a[0:3]
	v_lshrrev_b32_e32 v11, 8, v17
	s_movk_i32 s4, 0x7f
	v_cmp_gt_i16_sdwa s[6:7], v11, s4 src0_sel:BYTE_0 src1_sel:DWORD
	s_mov_b64 s[4:5], 0
                                        ; implicit-def: $sgpr10
	s_and_saveexec_b64 s[8:9], s[6:7]
	s_xor_b64 s[6:7], exec, s[8:9]
	s_cbranch_execnz .LBB48_2153
; %bb.105:
	s_or_saveexec_b64 s[6:7], s[6:7]
	v_mov_b32_e32 v10, s10
	s_xor_b64 exec, exec, s[6:7]
	s_cbranch_execnz .LBB48_2156
.LBB48_106:
	s_or_b64 exec, exec, s[6:7]
	s_and_saveexec_b64 s[6:7], s[4:5]
	s_cbranch_execz .LBB48_108
.LBB48_107:
	v_bfe_u32 v10, v17, 8, 3
	v_ffbh_u32_e32 v14, v10
	v_min_u32_e32 v14, 32, v14
	v_lshrrev_b16_e32 v12, 3, v11
	v_subrev_u32_e32 v15, 28, v14
	v_and_b32_e32 v12, 15, v12
	v_lshlrev_b32_e32 v11, v15, v11
	v_sub_u32_e32 v14, 29, v14
	v_and_b32_e32 v11, 7, v11
	v_cmp_eq_u16_e32 vcc, 0, v12
	v_cndmask_b32_e32 v10, v10, v11, vcc
	v_cndmask_b32_e32 v11, v12, v14, vcc
	v_lshlrev_b32_e32 v12, 16, v17
	v_mov_b32_e32 v14, 0x3b800000
	v_lshlrev_b32_e32 v10, 20, v10
	v_and_b32_e32 v12, 0x80000000, v12
	v_lshl_add_u32 v11, v11, 23, v14
	v_or3_b32 v10, v12, v11, v10
.LBB48_108:
	s_or_b64 exec, exec, s[6:7]
	v_lshrrev_b32_e32 v11, 8, v13
	s_movk_i32 s4, 0x7f
	v_cmp_gt_i16_sdwa s[6:7], v11, s4 src0_sel:BYTE_0 src1_sel:DWORD
	s_mov_b64 s[4:5], 0
                                        ; implicit-def: $sgpr10
	s_and_saveexec_b64 s[8:9], s[6:7]
	s_xor_b64 s[6:7], exec, s[8:9]
	s_cbranch_execnz .LBB48_2157
; %bb.109:
	s_or_saveexec_b64 s[6:7], s[6:7]
	v_mov_b32_e32 v12, s10
	s_xor_b64 exec, exec, s[6:7]
	s_cbranch_execnz .LBB48_2160
.LBB48_110:
	s_or_b64 exec, exec, s[6:7]
	s_and_saveexec_b64 s[6:7], s[4:5]
	s_cbranch_execz .LBB48_112
.LBB48_111:
	v_bfe_u32 v12, v13, 8, 3
	v_ffbh_u32_e32 v15, v12
	v_min_u32_e32 v15, 32, v15
	v_lshrrev_b16_e32 v14, 3, v11
	v_subrev_u32_e32 v16, 28, v15
	v_and_b32_e32 v14, 15, v14
	v_lshlrev_b32_e32 v11, v16, v11
	v_sub_u32_e32 v15, 29, v15
	v_and_b32_e32 v11, 7, v11
	v_cmp_eq_u16_e32 vcc, 0, v14
	v_cndmask_b32_e32 v11, v12, v11, vcc
	v_cndmask_b32_e32 v12, v14, v15, vcc
	v_lshlrev_b32_e32 v14, 16, v13
	v_mov_b32_e32 v15, 0x3b800000
	v_lshlrev_b32_e32 v11, 20, v11
	v_and_b32_e32 v14, 0x80000000, v14
	v_lshl_add_u32 v12, v12, 23, v15
	v_or3_b32 v12, v14, v12, v11
.LBB48_112:
	s_or_b64 exec, exec, s[6:7]
	s_nop 0
	v_mfma_f32_16x16x4f32 a[0:3], v10, v12, a[0:3]
	s_movk_i32 s4, 0xff
	v_and_b32_sdwa v11, v17, s4 dst_sel:DWORD dst_unused:UNUSED_PAD src0_sel:WORD_1 src1_sel:DWORD
	s_movk_i32 s4, 0x7f
	v_cmp_lt_i16_e32 vcc, s4, v11
	s_mov_b64 s[4:5], 0
                                        ; implicit-def: $sgpr10
	s_and_saveexec_b64 s[6:7], vcc
	s_xor_b64 s[6:7], exec, s[6:7]
	s_cbranch_execnz .LBB48_2161
; %bb.113:
	s_or_saveexec_b64 s[6:7], s[6:7]
	v_mov_b32_e32 v10, s10
	s_xor_b64 exec, exec, s[6:7]
	s_cbranch_execnz .LBB48_2164
.LBB48_114:
	s_or_b64 exec, exec, s[6:7]
	s_and_saveexec_b64 s[6:7], s[4:5]
	s_cbranch_execz .LBB48_116
.LBB48_115:
	v_bfe_u32 v10, v17, 16, 3
	v_ffbh_u32_e32 v14, v10
	v_min_u32_e32 v14, 32, v14
	v_lshrrev_b32_e32 v11, 19, v17
	v_subrev_u32_e32 v15, 28, v14
	v_and_b32_e32 v11, 15, v11
	v_lshlrev_b32_sdwa v15, v15, v17 dst_sel:DWORD dst_unused:UNUSED_PAD src0_sel:DWORD src1_sel:WORD_1
	v_bfe_u32 v12, v17, 19, 4
	v_sub_u32_e32 v14, 29, v14
	v_and_b32_e32 v15, 7, v15
	v_cmp_eq_u16_e32 vcc, 0, v11
	v_cndmask_b32_e32 v10, v10, v15, vcc
	v_cndmask_b32_e32 v11, v12, v14, vcc
	v_lshlrev_b32_e32 v12, 8, v17
	v_mov_b32_e32 v14, 0x3b800000
	v_lshlrev_b32_e32 v10, 20, v10
	v_and_b32_e32 v12, 0x80000000, v12
	v_lshl_add_u32 v11, v11, 23, v14
	v_or3_b32 v10, v12, v11, v10
.LBB48_116:
	s_or_b64 exec, exec, s[6:7]
	s_movk_i32 s4, 0xff
	v_and_b32_sdwa v11, v13, s4 dst_sel:DWORD dst_unused:UNUSED_PAD src0_sel:WORD_1 src1_sel:DWORD
	s_movk_i32 s4, 0x7f
	v_cmp_lt_i16_e32 vcc, s4, v11
	s_mov_b64 s[4:5], 0
                                        ; implicit-def: $sgpr10
	s_and_saveexec_b64 s[6:7], vcc
	s_xor_b64 s[6:7], exec, s[6:7]
	s_cbranch_execnz .LBB48_2165
; %bb.117:
	s_or_saveexec_b64 s[6:7], s[6:7]
	v_mov_b32_e32 v12, s10
	s_xor_b64 exec, exec, s[6:7]
	s_cbranch_execnz .LBB48_2168
.LBB48_118:
	s_or_b64 exec, exec, s[6:7]
	s_and_saveexec_b64 s[6:7], s[4:5]
	s_cbranch_execz .LBB48_120
.LBB48_119:
	v_bfe_u32 v11, v13, 16, 3
	v_ffbh_u32_e32 v15, v11
	v_min_u32_e32 v15, 32, v15
	v_lshrrev_b32_e32 v12, 19, v13
	v_subrev_u32_e32 v16, 28, v15
	v_and_b32_e32 v12, 15, v12
	v_lshlrev_b32_sdwa v16, v16, v13 dst_sel:DWORD dst_unused:UNUSED_PAD src0_sel:DWORD src1_sel:WORD_1
	v_bfe_u32 v14, v13, 19, 4
	v_sub_u32_e32 v15, 29, v15
	v_and_b32_e32 v16, 7, v16
	v_cmp_eq_u16_e32 vcc, 0, v12
	v_cndmask_b32_e32 v11, v11, v16, vcc
	v_cndmask_b32_e32 v12, v14, v15, vcc
	v_lshlrev_b32_e32 v14, 8, v13
	v_mov_b32_e32 v15, 0x3b800000
	v_lshlrev_b32_e32 v11, 20, v11
	v_and_b32_e32 v14, 0x80000000, v14
	v_lshl_add_u32 v12, v12, 23, v15
	v_or3_b32 v12, v14, v12, v11
.LBB48_120:
	s_or_b64 exec, exec, s[6:7]
	s_nop 0
	v_mfma_f32_16x16x4f32 a[0:3], v10, v12, a[0:3]
	s_movk_i32 s4, 0x7f
	v_cmp_gt_i16_sdwa s[6:7], v17, s4 src0_sel:BYTE_3 src1_sel:DWORD
	s_mov_b64 s[4:5], 0
                                        ; implicit-def: $sgpr10
	s_and_saveexec_b64 s[8:9], s[6:7]
	s_xor_b64 s[6:7], exec, s[8:9]
	s_cbranch_execnz .LBB48_2169
; %bb.121:
	s_or_saveexec_b64 s[6:7], s[6:7]
	v_mov_b32_e32 v10, s10
	s_xor_b64 exec, exec, s[6:7]
	s_cbranch_execnz .LBB48_2172
.LBB48_122:
	s_or_b64 exec, exec, s[6:7]
	s_and_saveexec_b64 s[6:7], s[4:5]
	s_cbranch_execz .LBB48_124
.LBB48_123:
	v_bfe_u32 v10, v17, 24, 3
	v_ffbh_u32_e32 v15, v10
	v_min_u32_e32 v15, 32, v15
	v_lshrrev_b32_e32 v12, 27, v17
	v_subrev_u32_e32 v16, 28, v15
	v_and_b32_e32 v12, 15, v12
	v_lshlrev_b32_sdwa v16, v16, v17 dst_sel:DWORD dst_unused:UNUSED_PAD src0_sel:DWORD src1_sel:BYTE_3
	v_bfe_u32 v14, v17, 27, 4
	v_sub_u32_e32 v15, 29, v15
	v_and_b32_e32 v16, 7, v16
	v_cmp_eq_u16_e32 vcc, 0, v12
	v_cndmask_b32_e32 v10, v10, v16, vcc
	v_cndmask_b32_e32 v12, v14, v15, vcc
	v_mov_b32_e32 v14, 0x3b800000
	v_and_b32_e32 v11, 0x80000000, v17
	v_lshlrev_b32_e32 v10, 20, v10
	v_lshl_add_u32 v12, v12, 23, v14
	v_or3_b32 v10, v11, v12, v10
.LBB48_124:
	s_or_b64 exec, exec, s[6:7]
	s_movk_i32 s4, 0x7f
	v_cmp_gt_i16_sdwa s[6:7], v13, s4 src0_sel:BYTE_3 src1_sel:DWORD
	s_mov_b64 s[4:5], 0
                                        ; implicit-def: $sgpr10
	s_and_saveexec_b64 s[8:9], s[6:7]
	s_xor_b64 s[6:7], exec, s[8:9]
	s_cbranch_execnz .LBB48_2173
; %bb.125:
	s_or_saveexec_b64 s[6:7], s[6:7]
	v_mov_b32_e32 v11, s10
	s_xor_b64 exec, exec, s[6:7]
	s_cbranch_execnz .LBB48_2176
.LBB48_126:
	s_or_b64 exec, exec, s[6:7]
	s_and_saveexec_b64 s[6:7], s[4:5]
	s_cbranch_execz .LBB48_128
.LBB48_127:
	v_bfe_u32 v11, v13, 24, 3
	v_ffbh_u32_e32 v16, v11
	v_min_u32_e32 v16, 32, v16
	v_lshrrev_b32_e32 v14, 27, v13
	v_subrev_u32_e32 v17, 28, v16
	v_and_b32_e32 v12, 0x80000000, v13
	v_and_b32_e32 v14, 15, v14
	v_bfe_u32 v15, v13, 27, 4
	v_lshlrev_b32_sdwa v13, v17, v13 dst_sel:DWORD dst_unused:UNUSED_PAD src0_sel:DWORD src1_sel:BYTE_3
	v_sub_u32_e32 v16, 29, v16
	v_and_b32_e32 v13, 7, v13
	v_cmp_eq_u16_e32 vcc, 0, v14
	v_cndmask_b32_e32 v11, v11, v13, vcc
	v_cndmask_b32_e32 v13, v15, v16, vcc
	v_mov_b32_e32 v14, 0x3b800000
	v_lshlrev_b32_e32 v11, 20, v11
	v_lshl_add_u32 v13, v13, 23, v14
	v_or3_b32 v11, v12, v13, v11
.LBB48_128:
	s_or_b64 exec, exec, s[6:7]
	s_nop 0
	v_mfma_f32_16x16x4f32 a[0:3], v10, v11, a[0:3]
	s_movk_i32 s4, 0x7f
	v_cmp_gt_i16_sdwa s[6:7], v6, s4 src0_sel:BYTE_0 src1_sel:DWORD
	s_mov_b64 s[4:5], 0
                                        ; implicit-def: $sgpr10
	s_and_saveexec_b64 s[8:9], s[6:7]
	s_xor_b64 s[6:7], exec, s[8:9]
	s_cbranch_execnz .LBB48_2177
; %bb.129:
	s_or_saveexec_b64 s[6:7], s[6:7]
	v_mov_b32_e32 v10, s10
	s_xor_b64 exec, exec, s[6:7]
	s_cbranch_execnz .LBB48_2180
.LBB48_130:
	s_or_b64 exec, exec, s[6:7]
	s_and_saveexec_b64 s[6:7], s[4:5]
	s_cbranch_execz .LBB48_132
.LBB48_131:
	v_and_b32_e32 v10, 7, v6
	v_ffbh_u32_e32 v12, v10
	v_min_u32_e32 v12, 32, v12
	v_lshrrev_b16_e32 v11, 3, v6
	v_subrev_u32_e32 v13, 28, v12
	v_and_b32_e32 v11, 15, v11
	v_lshlrev_b32_e32 v13, v13, v6
	v_sub_u32_e32 v12, 29, v12
	v_and_b32_e32 v13, 7, v13
	v_cmp_eq_u16_e32 vcc, 0, v11
	v_cndmask_b32_e32 v10, v10, v13, vcc
	v_cndmask_b32_e32 v11, v11, v12, vcc
	v_lshlrev_b32_e32 v12, 24, v6
	v_mov_b32_e32 v13, 0x3b800000
	v_lshlrev_b32_e32 v10, 20, v10
	v_and_b32_e32 v12, 0x80000000, v12
	v_lshl_add_u32 v11, v11, 23, v13
	v_or3_b32 v10, v12, v11, v10
.LBB48_132:
	s_or_b64 exec, exec, s[6:7]
	s_movk_i32 s4, 0x7f
	v_cmp_gt_i16_sdwa s[6:7], v2, s4 src0_sel:BYTE_0 src1_sel:DWORD
	s_mov_b64 s[4:5], 0
                                        ; implicit-def: $sgpr10
	s_and_saveexec_b64 s[8:9], s[6:7]
	s_xor_b64 s[6:7], exec, s[8:9]
	s_cbranch_execnz .LBB48_2181
; %bb.133:
	s_or_saveexec_b64 s[6:7], s[6:7]
	v_mov_b32_e32 v11, s10
	s_xor_b64 exec, exec, s[6:7]
	s_cbranch_execnz .LBB48_2184
.LBB48_134:
	s_or_b64 exec, exec, s[6:7]
	s_and_saveexec_b64 s[6:7], s[4:5]
	s_cbranch_execz .LBB48_136
.LBB48_135:
	v_and_b32_e32 v11, 7, v2
	v_ffbh_u32_e32 v13, v11
	v_min_u32_e32 v13, 32, v13
	v_lshrrev_b16_e32 v12, 3, v2
	v_subrev_u32_e32 v14, 28, v13
	v_and_b32_e32 v12, 15, v12
	v_lshlrev_b32_e32 v14, v14, v2
	v_sub_u32_e32 v13, 29, v13
	v_and_b32_e32 v14, 7, v14
	v_cmp_eq_u16_e32 vcc, 0, v12
	v_cndmask_b32_e32 v11, v11, v14, vcc
	v_cndmask_b32_e32 v12, v12, v13, vcc
	v_lshlrev_b32_e32 v13, 24, v2
	v_mov_b32_e32 v14, 0x3b800000
	v_lshlrev_b32_e32 v11, 20, v11
	v_and_b32_e32 v13, 0x80000000, v13
	v_lshl_add_u32 v12, v12, 23, v14
	v_or3_b32 v11, v13, v12, v11
.LBB48_136:
	s_or_b64 exec, exec, s[6:7]
	s_nop 0
	v_mfma_f32_16x16x4f32 a[0:3], v10, v11, a[0:3]
	v_lshrrev_b32_e32 v11, 8, v6
	s_movk_i32 s4, 0x7f
	v_cmp_gt_i16_sdwa s[6:7], v11, s4 src0_sel:BYTE_0 src1_sel:DWORD
	s_mov_b64 s[4:5], 0
                                        ; implicit-def: $sgpr10
	s_and_saveexec_b64 s[8:9], s[6:7]
	s_xor_b64 s[6:7], exec, s[8:9]
	s_cbranch_execnz .LBB48_2185
; %bb.137:
	s_or_saveexec_b64 s[6:7], s[6:7]
	v_mov_b32_e32 v10, s10
	s_xor_b64 exec, exec, s[6:7]
	s_cbranch_execnz .LBB48_2188
.LBB48_138:
	s_or_b64 exec, exec, s[6:7]
	s_and_saveexec_b64 s[6:7], s[4:5]
	s_cbranch_execz .LBB48_140
.LBB48_139:
	v_bfe_u32 v10, v6, 8, 3
	v_ffbh_u32_e32 v13, v10
	v_min_u32_e32 v13, 32, v13
	v_lshrrev_b16_e32 v12, 3, v11
	v_subrev_u32_e32 v14, 28, v13
	v_and_b32_e32 v12, 15, v12
	v_lshlrev_b32_e32 v11, v14, v11
	v_sub_u32_e32 v13, 29, v13
	v_and_b32_e32 v11, 7, v11
	v_cmp_eq_u16_e32 vcc, 0, v12
	v_cndmask_b32_e32 v10, v10, v11, vcc
	v_cndmask_b32_e32 v11, v12, v13, vcc
	v_lshlrev_b32_e32 v12, 16, v6
	v_mov_b32_e32 v13, 0x3b800000
	v_lshlrev_b32_e32 v10, 20, v10
	v_and_b32_e32 v12, 0x80000000, v12
	v_lshl_add_u32 v11, v11, 23, v13
	v_or3_b32 v10, v12, v11, v10
.LBB48_140:
	s_or_b64 exec, exec, s[6:7]
	v_lshrrev_b32_e32 v11, 8, v2
	s_movk_i32 s4, 0x7f
	v_cmp_gt_i16_sdwa s[6:7], v11, s4 src0_sel:BYTE_0 src1_sel:DWORD
	s_mov_b64 s[4:5], 0
                                        ; implicit-def: $sgpr10
	s_and_saveexec_b64 s[8:9], s[6:7]
	s_xor_b64 s[6:7], exec, s[8:9]
	s_cbranch_execnz .LBB48_2189
; %bb.141:
	s_or_saveexec_b64 s[6:7], s[6:7]
	v_mov_b32_e32 v12, s10
	s_xor_b64 exec, exec, s[6:7]
	s_cbranch_execnz .LBB48_2192
.LBB48_142:
	s_or_b64 exec, exec, s[6:7]
	s_and_saveexec_b64 s[6:7], s[4:5]
	s_cbranch_execz .LBB48_144
.LBB48_143:
	v_bfe_u32 v12, v2, 8, 3
	v_ffbh_u32_e32 v14, v12
	v_min_u32_e32 v14, 32, v14
	v_lshrrev_b16_e32 v13, 3, v11
	v_subrev_u32_e32 v15, 28, v14
	v_and_b32_e32 v13, 15, v13
	v_lshlrev_b32_e32 v11, v15, v11
	v_sub_u32_e32 v14, 29, v14
	v_and_b32_e32 v11, 7, v11
	v_cmp_eq_u16_e32 vcc, 0, v13
	v_cndmask_b32_e32 v11, v12, v11, vcc
	v_cndmask_b32_e32 v12, v13, v14, vcc
	v_lshlrev_b32_e32 v13, 16, v2
	v_mov_b32_e32 v14, 0x3b800000
	v_lshlrev_b32_e32 v11, 20, v11
	v_and_b32_e32 v13, 0x80000000, v13
	v_lshl_add_u32 v12, v12, 23, v14
	v_or3_b32 v12, v13, v12, v11
.LBB48_144:
	s_or_b64 exec, exec, s[6:7]
	s_nop 0
	v_mfma_f32_16x16x4f32 a[0:3], v10, v12, a[0:3]
	s_movk_i32 s4, 0xff
	v_and_b32_sdwa v11, v6, s4 dst_sel:DWORD dst_unused:UNUSED_PAD src0_sel:WORD_1 src1_sel:DWORD
	s_movk_i32 s4, 0x7f
	v_cmp_lt_i16_e32 vcc, s4, v11
	s_mov_b64 s[4:5], 0
                                        ; implicit-def: $sgpr10
	s_and_saveexec_b64 s[6:7], vcc
	s_xor_b64 s[6:7], exec, s[6:7]
	s_cbranch_execnz .LBB48_2193
; %bb.145:
	s_or_saveexec_b64 s[6:7], s[6:7]
	v_mov_b32_e32 v10, s10
	s_xor_b64 exec, exec, s[6:7]
	s_cbranch_execnz .LBB48_2196
.LBB48_146:
	s_or_b64 exec, exec, s[6:7]
	s_and_saveexec_b64 s[6:7], s[4:5]
	s_cbranch_execz .LBB48_148
.LBB48_147:
	v_bfe_u32 v10, v6, 16, 3
	v_ffbh_u32_e32 v13, v10
	v_min_u32_e32 v13, 32, v13
	v_lshrrev_b32_e32 v11, 19, v6
	v_subrev_u32_e32 v14, 28, v13
	v_and_b32_e32 v11, 15, v11
	v_lshlrev_b32_sdwa v14, v14, v6 dst_sel:DWORD dst_unused:UNUSED_PAD src0_sel:DWORD src1_sel:WORD_1
	v_bfe_u32 v12, v6, 19, 4
	v_sub_u32_e32 v13, 29, v13
	v_and_b32_e32 v14, 7, v14
	v_cmp_eq_u16_e32 vcc, 0, v11
	v_cndmask_b32_e32 v10, v10, v14, vcc
	v_cndmask_b32_e32 v11, v12, v13, vcc
	v_lshlrev_b32_e32 v12, 8, v6
	v_mov_b32_e32 v13, 0x3b800000
	v_lshlrev_b32_e32 v10, 20, v10
	v_and_b32_e32 v12, 0x80000000, v12
	v_lshl_add_u32 v11, v11, 23, v13
	v_or3_b32 v10, v12, v11, v10
.LBB48_148:
	s_or_b64 exec, exec, s[6:7]
	s_movk_i32 s4, 0xff
	v_and_b32_sdwa v11, v2, s4 dst_sel:DWORD dst_unused:UNUSED_PAD src0_sel:WORD_1 src1_sel:DWORD
	s_movk_i32 s4, 0x7f
	v_cmp_lt_i16_e32 vcc, s4, v11
	s_mov_b64 s[4:5], 0
                                        ; implicit-def: $sgpr10
	s_and_saveexec_b64 s[6:7], vcc
	s_xor_b64 s[6:7], exec, s[6:7]
	s_cbranch_execnz .LBB48_2197
; %bb.149:
	s_or_saveexec_b64 s[6:7], s[6:7]
	v_mov_b32_e32 v12, s10
	s_xor_b64 exec, exec, s[6:7]
	s_cbranch_execnz .LBB48_2200
.LBB48_150:
	s_or_b64 exec, exec, s[6:7]
	s_and_saveexec_b64 s[6:7], s[4:5]
	s_cbranch_execz .LBB48_152
.LBB48_151:
	v_bfe_u32 v11, v2, 16, 3
	v_ffbh_u32_e32 v14, v11
	v_min_u32_e32 v14, 32, v14
	v_lshrrev_b32_e32 v12, 19, v2
	v_subrev_u32_e32 v15, 28, v14
	v_and_b32_e32 v12, 15, v12
	v_lshlrev_b32_sdwa v15, v15, v2 dst_sel:DWORD dst_unused:UNUSED_PAD src0_sel:DWORD src1_sel:WORD_1
	v_bfe_u32 v13, v2, 19, 4
	v_sub_u32_e32 v14, 29, v14
	v_and_b32_e32 v15, 7, v15
	v_cmp_eq_u16_e32 vcc, 0, v12
	v_cndmask_b32_e32 v11, v11, v15, vcc
	v_cndmask_b32_e32 v12, v13, v14, vcc
	v_lshlrev_b32_e32 v13, 8, v2
	v_mov_b32_e32 v14, 0x3b800000
	v_lshlrev_b32_e32 v11, 20, v11
	v_and_b32_e32 v13, 0x80000000, v13
	v_lshl_add_u32 v12, v12, 23, v14
	v_or3_b32 v12, v13, v12, v11
.LBB48_152:
	s_or_b64 exec, exec, s[6:7]
	s_nop 0
	v_mfma_f32_16x16x4f32 a[0:3], v10, v12, a[0:3]
	s_movk_i32 s4, 0x7f
	v_cmp_gt_i16_sdwa s[6:7], v6, s4 src0_sel:BYTE_3 src1_sel:DWORD
	s_mov_b64 s[4:5], 0
                                        ; implicit-def: $sgpr10
	s_and_saveexec_b64 s[8:9], s[6:7]
	s_xor_b64 s[6:7], exec, s[8:9]
	s_cbranch_execnz .LBB48_2201
; %bb.153:
	s_or_saveexec_b64 s[6:7], s[6:7]
	v_mov_b32_e32 v10, s10
	s_xor_b64 exec, exec, s[6:7]
	s_cbranch_execnz .LBB48_2204
.LBB48_154:
	s_or_b64 exec, exec, s[6:7]
	s_and_saveexec_b64 s[6:7], s[4:5]
	s_cbranch_execz .LBB48_156
.LBB48_155:
	v_bfe_u32 v10, v6, 24, 3
	v_ffbh_u32_e32 v14, v10
	v_min_u32_e32 v14, 32, v14
	v_lshrrev_b32_e32 v12, 27, v6
	v_subrev_u32_e32 v15, 28, v14
	v_and_b32_e32 v11, 0x80000000, v6
	v_and_b32_e32 v12, 15, v12
	v_bfe_u32 v13, v6, 27, 4
	v_lshlrev_b32_sdwa v6, v15, v6 dst_sel:DWORD dst_unused:UNUSED_PAD src0_sel:DWORD src1_sel:BYTE_3
	v_sub_u32_e32 v14, 29, v14
	v_and_b32_e32 v6, 7, v6
	v_cmp_eq_u16_e32 vcc, 0, v12
	v_cndmask_b32_e32 v6, v10, v6, vcc
	v_cndmask_b32_e32 v10, v13, v14, vcc
	v_mov_b32_e32 v12, 0x3b800000
	v_lshlrev_b32_e32 v6, 20, v6
	v_lshl_add_u32 v10, v10, 23, v12
	v_or3_b32 v10, v11, v10, v6
.LBB48_156:
	s_or_b64 exec, exec, s[6:7]
	s_movk_i32 s4, 0x7f
	v_cmp_gt_i16_sdwa s[6:7], v2, s4 src0_sel:BYTE_3 src1_sel:DWORD
	s_mov_b64 s[4:5], 0
                                        ; implicit-def: $sgpr10
	s_and_saveexec_b64 s[8:9], s[6:7]
	s_xor_b64 s[6:7], exec, s[8:9]
	s_cbranch_execnz .LBB48_2205
; %bb.157:
	s_or_saveexec_b64 s[6:7], s[6:7]
	v_mov_b32_e32 v6, s10
	s_xor_b64 exec, exec, s[6:7]
	s_cbranch_execnz .LBB48_2208
.LBB48_158:
	s_or_b64 exec, exec, s[6:7]
	s_and_saveexec_b64 s[6:7], s[4:5]
	s_cbranch_execz .LBB48_160
.LBB48_159:
	v_bfe_u32 v6, v2, 24, 3
	v_ffbh_u32_e32 v14, v6
	v_min_u32_e32 v14, 32, v14
	v_lshrrev_b32_e32 v12, 27, v2
	v_subrev_u32_e32 v15, 28, v14
	v_and_b32_e32 v11, 0x80000000, v2
	v_and_b32_e32 v12, 15, v12
	v_bfe_u32 v13, v2, 27, 4
	v_lshlrev_b32_sdwa v2, v15, v2 dst_sel:DWORD dst_unused:UNUSED_PAD src0_sel:DWORD src1_sel:BYTE_3
	v_sub_u32_e32 v14, 29, v14
	v_and_b32_e32 v2, 7, v2
	v_cmp_eq_u16_e32 vcc, 0, v12
	v_cndmask_b32_e32 v2, v6, v2, vcc
	v_cndmask_b32_e32 v6, v13, v14, vcc
	v_mov_b32_e32 v12, 0x3b800000
	v_lshlrev_b32_e32 v2, 20, v2
	v_lshl_add_u32 v6, v6, 23, v12
	v_or3_b32 v6, v11, v6, v2
.LBB48_160:
	s_or_b64 exec, exec, s[6:7]
	s_nop 0
	v_mfma_f32_16x16x4f32 a[0:3], v10, v6, a[0:3]
	s_movk_i32 s4, 0x7f
	v_cmp_gt_i16_sdwa s[6:7], v7, s4 src0_sel:BYTE_0 src1_sel:DWORD
	s_mov_b64 s[4:5], 0
                                        ; implicit-def: $sgpr10
	s_and_saveexec_b64 s[8:9], s[6:7]
	s_xor_b64 s[6:7], exec, s[8:9]
	s_cbranch_execnz .LBB48_2209
; %bb.161:
	s_or_saveexec_b64 s[6:7], s[6:7]
	v_mov_b32_e32 v2, s10
	s_xor_b64 exec, exec, s[6:7]
	s_cbranch_execnz .LBB48_2212
.LBB48_162:
	s_or_b64 exec, exec, s[6:7]
	s_and_saveexec_b64 s[6:7], s[4:5]
	s_cbranch_execz .LBB48_164
.LBB48_163:
	v_and_b32_e32 v2, 7, v7
	v_ffbh_u32_e32 v10, v2
	v_min_u32_e32 v10, 32, v10
	v_lshrrev_b16_e32 v6, 3, v7
	v_subrev_u32_e32 v11, 28, v10
	v_and_b32_e32 v6, 15, v6
	v_lshlrev_b32_e32 v11, v11, v7
	v_sub_u32_e32 v10, 29, v10
	v_and_b32_e32 v11, 7, v11
	v_cmp_eq_u16_e32 vcc, 0, v6
	v_cndmask_b32_e32 v2, v2, v11, vcc
	v_cndmask_b32_e32 v6, v6, v10, vcc
	v_lshlrev_b32_e32 v10, 24, v7
	v_mov_b32_e32 v11, 0x3b800000
	v_lshlrev_b32_e32 v2, 20, v2
	v_and_b32_e32 v10, 0x80000000, v10
	v_lshl_add_u32 v6, v6, 23, v11
	v_or3_b32 v2, v10, v6, v2
.LBB48_164:
	s_or_b64 exec, exec, s[6:7]
	s_movk_i32 s4, 0x7f
	v_cmp_gt_i16_sdwa s[6:7], v3, s4 src0_sel:BYTE_0 src1_sel:DWORD
	s_mov_b64 s[4:5], 0
                                        ; implicit-def: $sgpr10
	s_and_saveexec_b64 s[8:9], s[6:7]
	s_xor_b64 s[6:7], exec, s[8:9]
	s_cbranch_execnz .LBB48_2213
; %bb.165:
	s_or_saveexec_b64 s[6:7], s[6:7]
	v_mov_b32_e32 v6, s10
	s_xor_b64 exec, exec, s[6:7]
	s_cbranch_execnz .LBB48_2216
.LBB48_166:
	s_or_b64 exec, exec, s[6:7]
	s_and_saveexec_b64 s[6:7], s[4:5]
	s_cbranch_execz .LBB48_168
.LBB48_167:
	v_and_b32_e32 v6, 7, v3
	v_ffbh_u32_e32 v11, v6
	v_min_u32_e32 v11, 32, v11
	v_lshrrev_b16_e32 v10, 3, v3
	v_subrev_u32_e32 v12, 28, v11
	v_and_b32_e32 v10, 15, v10
	v_lshlrev_b32_e32 v12, v12, v3
	v_sub_u32_e32 v11, 29, v11
	v_and_b32_e32 v12, 7, v12
	v_cmp_eq_u16_e32 vcc, 0, v10
	v_cndmask_b32_e32 v6, v6, v12, vcc
	v_cndmask_b32_e32 v10, v10, v11, vcc
	v_lshlrev_b32_e32 v11, 24, v3
	v_mov_b32_e32 v12, 0x3b800000
	v_lshlrev_b32_e32 v6, 20, v6
	v_and_b32_e32 v11, 0x80000000, v11
	v_lshl_add_u32 v10, v10, 23, v12
	v_or3_b32 v6, v11, v10, v6
.LBB48_168:
	s_or_b64 exec, exec, s[6:7]
	s_nop 0
	v_mfma_f32_16x16x4f32 a[0:3], v2, v6, a[0:3]
	v_lshrrev_b32_e32 v6, 8, v7
	s_movk_i32 s4, 0x7f
	v_cmp_gt_i16_sdwa s[6:7], v6, s4 src0_sel:BYTE_0 src1_sel:DWORD
	s_mov_b64 s[4:5], 0
                                        ; implicit-def: $sgpr10
	s_and_saveexec_b64 s[8:9], s[6:7]
	s_xor_b64 s[6:7], exec, s[8:9]
	s_cbranch_execnz .LBB48_2217
; %bb.169:
	s_or_saveexec_b64 s[6:7], s[6:7]
	v_mov_b32_e32 v2, s10
	s_xor_b64 exec, exec, s[6:7]
	s_cbranch_execnz .LBB48_2220
.LBB48_170:
	s_or_b64 exec, exec, s[6:7]
	s_and_saveexec_b64 s[6:7], s[4:5]
	s_cbranch_execz .LBB48_172
.LBB48_171:
	v_bfe_u32 v2, v7, 8, 3
	v_ffbh_u32_e32 v11, v2
	v_min_u32_e32 v11, 32, v11
	v_lshrrev_b16_e32 v10, 3, v6
	v_subrev_u32_e32 v12, 28, v11
	v_and_b32_e32 v10, 15, v10
	v_lshlrev_b32_e32 v6, v12, v6
	v_sub_u32_e32 v11, 29, v11
	v_and_b32_e32 v6, 7, v6
	v_cmp_eq_u16_e32 vcc, 0, v10
	v_cndmask_b32_e32 v2, v2, v6, vcc
	v_cndmask_b32_e32 v6, v10, v11, vcc
	v_lshlrev_b32_e32 v10, 16, v7
	v_mov_b32_e32 v11, 0x3b800000
	v_lshlrev_b32_e32 v2, 20, v2
	v_and_b32_e32 v10, 0x80000000, v10
	v_lshl_add_u32 v6, v6, 23, v11
	v_or3_b32 v2, v10, v6, v2
.LBB48_172:
	s_or_b64 exec, exec, s[6:7]
	v_lshrrev_b32_e32 v6, 8, v3
	s_movk_i32 s4, 0x7f
	v_cmp_gt_i16_sdwa s[6:7], v6, s4 src0_sel:BYTE_0 src1_sel:DWORD
	s_mov_b64 s[4:5], 0
                                        ; implicit-def: $sgpr10
	s_and_saveexec_b64 s[8:9], s[6:7]
	s_xor_b64 s[6:7], exec, s[8:9]
	s_cbranch_execnz .LBB48_2221
; %bb.173:
	s_or_saveexec_b64 s[6:7], s[6:7]
	v_mov_b32_e32 v10, s10
	s_xor_b64 exec, exec, s[6:7]
	s_cbranch_execnz .LBB48_2224
.LBB48_174:
	s_or_b64 exec, exec, s[6:7]
	s_and_saveexec_b64 s[6:7], s[4:5]
	s_cbranch_execz .LBB48_176
.LBB48_175:
	v_bfe_u32 v10, v3, 8, 3
	v_ffbh_u32_e32 v12, v10
	v_min_u32_e32 v12, 32, v12
	v_lshrrev_b16_e32 v11, 3, v6
	v_subrev_u32_e32 v13, 28, v12
	v_and_b32_e32 v11, 15, v11
	v_lshlrev_b32_e32 v6, v13, v6
	v_sub_u32_e32 v12, 29, v12
	v_and_b32_e32 v6, 7, v6
	v_cmp_eq_u16_e32 vcc, 0, v11
	v_cndmask_b32_e32 v6, v10, v6, vcc
	v_cndmask_b32_e32 v10, v11, v12, vcc
	v_lshlrev_b32_e32 v11, 16, v3
	v_mov_b32_e32 v12, 0x3b800000
	v_lshlrev_b32_e32 v6, 20, v6
	v_and_b32_e32 v11, 0x80000000, v11
	v_lshl_add_u32 v10, v10, 23, v12
	v_or3_b32 v10, v11, v10, v6
.LBB48_176:
	s_or_b64 exec, exec, s[6:7]
	s_nop 0
	v_mfma_f32_16x16x4f32 a[0:3], v2, v10, a[0:3]
	s_movk_i32 s4, 0xff
	v_and_b32_sdwa v6, v7, s4 dst_sel:DWORD dst_unused:UNUSED_PAD src0_sel:WORD_1 src1_sel:DWORD
	s_movk_i32 s4, 0x7f
	v_cmp_lt_i16_e32 vcc, s4, v6
	s_mov_b64 s[4:5], 0
                                        ; implicit-def: $sgpr10
	s_and_saveexec_b64 s[6:7], vcc
	s_xor_b64 s[6:7], exec, s[6:7]
	s_cbranch_execnz .LBB48_2225
; %bb.177:
	s_or_saveexec_b64 s[6:7], s[6:7]
	v_mov_b32_e32 v2, s10
	s_xor_b64 exec, exec, s[6:7]
	s_cbranch_execnz .LBB48_2228
.LBB48_178:
	s_or_b64 exec, exec, s[6:7]
	s_and_saveexec_b64 s[6:7], s[4:5]
	s_cbranch_execz .LBB48_180
.LBB48_179:
	v_bfe_u32 v2, v7, 16, 3
	v_ffbh_u32_e32 v11, v2
	v_min_u32_e32 v11, 32, v11
	v_lshrrev_b32_e32 v6, 19, v7
	v_subrev_u32_e32 v12, 28, v11
	v_and_b32_e32 v6, 15, v6
	v_lshlrev_b32_sdwa v12, v12, v7 dst_sel:DWORD dst_unused:UNUSED_PAD src0_sel:DWORD src1_sel:WORD_1
	v_bfe_u32 v10, v7, 19, 4
	v_sub_u32_e32 v11, 29, v11
	v_and_b32_e32 v12, 7, v12
	v_cmp_eq_u16_e32 vcc, 0, v6
	v_cndmask_b32_e32 v2, v2, v12, vcc
	v_cndmask_b32_e32 v6, v10, v11, vcc
	v_lshlrev_b32_e32 v10, 8, v7
	v_mov_b32_e32 v11, 0x3b800000
	v_lshlrev_b32_e32 v2, 20, v2
	v_and_b32_e32 v10, 0x80000000, v10
	v_lshl_add_u32 v6, v6, 23, v11
	v_or3_b32 v2, v10, v6, v2
.LBB48_180:
	s_or_b64 exec, exec, s[6:7]
	s_movk_i32 s4, 0xff
	v_and_b32_sdwa v6, v3, s4 dst_sel:DWORD dst_unused:UNUSED_PAD src0_sel:WORD_1 src1_sel:DWORD
	s_movk_i32 s4, 0x7f
	v_cmp_lt_i16_e32 vcc, s4, v6
	s_mov_b64 s[4:5], 0
                                        ; implicit-def: $sgpr10
	s_and_saveexec_b64 s[6:7], vcc
	s_xor_b64 s[6:7], exec, s[6:7]
	s_cbranch_execnz .LBB48_2229
; %bb.181:
	s_or_saveexec_b64 s[6:7], s[6:7]
	v_mov_b32_e32 v10, s10
	s_xor_b64 exec, exec, s[6:7]
	s_cbranch_execnz .LBB48_2232
.LBB48_182:
	s_or_b64 exec, exec, s[6:7]
	s_and_saveexec_b64 s[6:7], s[4:5]
	s_cbranch_execz .LBB48_184
.LBB48_183:
	v_bfe_u32 v6, v3, 16, 3
	v_ffbh_u32_e32 v12, v6
	v_min_u32_e32 v12, 32, v12
	v_lshrrev_b32_e32 v10, 19, v3
	v_subrev_u32_e32 v13, 28, v12
	v_and_b32_e32 v10, 15, v10
	v_lshlrev_b32_sdwa v13, v13, v3 dst_sel:DWORD dst_unused:UNUSED_PAD src0_sel:DWORD src1_sel:WORD_1
	v_bfe_u32 v11, v3, 19, 4
	v_sub_u32_e32 v12, 29, v12
	v_and_b32_e32 v13, 7, v13
	v_cmp_eq_u16_e32 vcc, 0, v10
	v_cndmask_b32_e32 v6, v6, v13, vcc
	v_cndmask_b32_e32 v10, v11, v12, vcc
	v_lshlrev_b32_e32 v11, 8, v3
	v_mov_b32_e32 v12, 0x3b800000
	v_lshlrev_b32_e32 v6, 20, v6
	v_and_b32_e32 v11, 0x80000000, v11
	v_lshl_add_u32 v10, v10, 23, v12
	v_or3_b32 v10, v11, v10, v6
.LBB48_184:
	s_or_b64 exec, exec, s[6:7]
	s_nop 0
	v_mfma_f32_16x16x4f32 a[0:3], v2, v10, a[0:3]
	s_movk_i32 s4, 0x7f
	v_cmp_gt_i16_sdwa s[6:7], v7, s4 src0_sel:BYTE_3 src1_sel:DWORD
	s_mov_b64 s[4:5], 0
                                        ; implicit-def: $sgpr10
	s_and_saveexec_b64 s[8:9], s[6:7]
	s_xor_b64 s[6:7], exec, s[8:9]
	s_cbranch_execnz .LBB48_2233
; %bb.185:
	s_or_saveexec_b64 s[6:7], s[6:7]
	v_mov_b32_e32 v2, s10
	s_xor_b64 exec, exec, s[6:7]
	s_cbranch_execnz .LBB48_2236
.LBB48_186:
	s_or_b64 exec, exec, s[6:7]
	s_and_saveexec_b64 s[6:7], s[4:5]
	s_cbranch_execz .LBB48_188
.LBB48_187:
	v_bfe_u32 v2, v7, 24, 3
	v_ffbh_u32_e32 v12, v2
	v_min_u32_e32 v12, 32, v12
	v_lshrrev_b32_e32 v10, 27, v7
	v_subrev_u32_e32 v13, 28, v12
	v_and_b32_e32 v6, 0x80000000, v7
	v_and_b32_e32 v10, 15, v10
	v_bfe_u32 v11, v7, 27, 4
	v_lshlrev_b32_sdwa v7, v13, v7 dst_sel:DWORD dst_unused:UNUSED_PAD src0_sel:DWORD src1_sel:BYTE_3
	v_sub_u32_e32 v12, 29, v12
	v_and_b32_e32 v7, 7, v7
	v_cmp_eq_u16_e32 vcc, 0, v10
	v_cndmask_b32_e32 v2, v2, v7, vcc
	v_cndmask_b32_e32 v7, v11, v12, vcc
	v_mov_b32_e32 v10, 0x3b800000
	v_lshlrev_b32_e32 v2, 20, v2
	v_lshl_add_u32 v7, v7, 23, v10
	v_or3_b32 v2, v6, v7, v2
.LBB48_188:
	s_or_b64 exec, exec, s[6:7]
	s_movk_i32 s4, 0x7f
	v_cmp_gt_i16_sdwa s[6:7], v3, s4 src0_sel:BYTE_3 src1_sel:DWORD
	s_mov_b64 s[4:5], 0
                                        ; implicit-def: $sgpr10
	s_and_saveexec_b64 s[8:9], s[6:7]
	s_xor_b64 s[6:7], exec, s[8:9]
	s_cbranch_execnz .LBB48_2237
; %bb.189:
	s_or_saveexec_b64 s[6:7], s[6:7]
	v_mov_b32_e32 v6, s10
	s_xor_b64 exec, exec, s[6:7]
	s_cbranch_execnz .LBB48_2240
.LBB48_190:
	s_or_b64 exec, exec, s[6:7]
	s_and_saveexec_b64 s[6:7], s[4:5]
	s_cbranch_execz .LBB48_192
.LBB48_191:
	v_bfe_u32 v6, v3, 24, 3
	v_ffbh_u32_e32 v12, v6
	v_min_u32_e32 v12, 32, v12
	v_lshrrev_b32_e32 v10, 27, v3
	v_subrev_u32_e32 v13, 28, v12
	v_and_b32_e32 v7, 0x80000000, v3
	v_and_b32_e32 v10, 15, v10
	v_bfe_u32 v11, v3, 27, 4
	v_lshlrev_b32_sdwa v3, v13, v3 dst_sel:DWORD dst_unused:UNUSED_PAD src0_sel:DWORD src1_sel:BYTE_3
	v_sub_u32_e32 v12, 29, v12
	v_and_b32_e32 v3, 7, v3
	v_cmp_eq_u16_e32 vcc, 0, v10
	v_cndmask_b32_e32 v3, v6, v3, vcc
	v_cndmask_b32_e32 v6, v11, v12, vcc
	v_mov_b32_e32 v10, 0x3b800000
	v_lshlrev_b32_e32 v3, 20, v3
	v_lshl_add_u32 v6, v6, 23, v10
	v_or3_b32 v6, v7, v6, v3
.LBB48_192:
	s_or_b64 exec, exec, s[6:7]
	s_nop 0
	v_mfma_f32_16x16x4f32 a[0:3], v2, v6, a[0:3]
	s_movk_i32 s4, 0x7f
	v_cmp_gt_i16_sdwa s[6:7], v8, s4 src0_sel:BYTE_0 src1_sel:DWORD
	s_mov_b64 s[4:5], 0
                                        ; implicit-def: $sgpr10
	s_and_saveexec_b64 s[8:9], s[6:7]
	s_xor_b64 s[6:7], exec, s[8:9]
	s_cbranch_execnz .LBB48_2241
; %bb.193:
	s_or_saveexec_b64 s[6:7], s[6:7]
	v_mov_b32_e32 v2, s10
	s_xor_b64 exec, exec, s[6:7]
	s_cbranch_execnz .LBB48_2244
.LBB48_194:
	s_or_b64 exec, exec, s[6:7]
	s_and_saveexec_b64 s[6:7], s[4:5]
	s_cbranch_execz .LBB48_196
.LBB48_195:
	v_and_b32_e32 v2, 7, v8
	v_ffbh_u32_e32 v6, v2
	v_min_u32_e32 v6, 32, v6
	v_lshrrev_b16_e32 v3, 3, v8
	v_subrev_u32_e32 v7, 28, v6
	v_and_b32_e32 v3, 15, v3
	v_lshlrev_b32_e32 v7, v7, v8
	v_sub_u32_e32 v6, 29, v6
	v_and_b32_e32 v7, 7, v7
	v_cmp_eq_u16_e32 vcc, 0, v3
	v_cndmask_b32_e32 v2, v2, v7, vcc
	v_cndmask_b32_e32 v3, v3, v6, vcc
	v_lshlrev_b32_e32 v6, 24, v8
	v_mov_b32_e32 v7, 0x3b800000
	v_lshlrev_b32_e32 v2, 20, v2
	v_and_b32_e32 v6, 0x80000000, v6
	v_lshl_add_u32 v3, v3, 23, v7
	v_or3_b32 v2, v6, v3, v2
.LBB48_196:
	s_or_b64 exec, exec, s[6:7]
	s_movk_i32 s4, 0x7f
	v_cmp_gt_i16_sdwa s[6:7], v4, s4 src0_sel:BYTE_0 src1_sel:DWORD
	s_mov_b64 s[4:5], 0
                                        ; implicit-def: $sgpr10
	s_and_saveexec_b64 s[8:9], s[6:7]
	s_xor_b64 s[6:7], exec, s[8:9]
	s_cbranch_execnz .LBB48_2245
; %bb.197:
	s_or_saveexec_b64 s[6:7], s[6:7]
	v_mov_b32_e32 v3, s10
	s_xor_b64 exec, exec, s[6:7]
	s_cbranch_execnz .LBB48_2248
.LBB48_198:
	s_or_b64 exec, exec, s[6:7]
	s_and_saveexec_b64 s[6:7], s[4:5]
	s_cbranch_execz .LBB48_200
.LBB48_199:
	v_and_b32_e32 v3, 7, v4
	v_ffbh_u32_e32 v7, v3
	v_min_u32_e32 v7, 32, v7
	v_lshrrev_b16_e32 v6, 3, v4
	v_subrev_u32_e32 v10, 28, v7
	v_and_b32_e32 v6, 15, v6
	v_lshlrev_b32_e32 v10, v10, v4
	v_sub_u32_e32 v7, 29, v7
	v_and_b32_e32 v10, 7, v10
	v_cmp_eq_u16_e32 vcc, 0, v6
	v_cndmask_b32_e32 v3, v3, v10, vcc
	v_cndmask_b32_e32 v6, v6, v7, vcc
	v_lshlrev_b32_e32 v7, 24, v4
	v_mov_b32_e32 v10, 0x3b800000
	v_lshlrev_b32_e32 v3, 20, v3
	v_and_b32_e32 v7, 0x80000000, v7
	v_lshl_add_u32 v6, v6, 23, v10
	v_or3_b32 v3, v7, v6, v3
.LBB48_200:
	s_or_b64 exec, exec, s[6:7]
	s_nop 0
	v_mfma_f32_16x16x4f32 a[0:3], v2, v3, a[0:3]
	v_lshrrev_b32_e32 v3, 8, v8
	s_movk_i32 s4, 0x7f
	v_cmp_gt_i16_sdwa s[6:7], v3, s4 src0_sel:BYTE_0 src1_sel:DWORD
	s_mov_b64 s[4:5], 0
                                        ; implicit-def: $sgpr10
	s_and_saveexec_b64 s[8:9], s[6:7]
	s_xor_b64 s[6:7], exec, s[8:9]
	s_cbranch_execnz .LBB48_2249
; %bb.201:
	s_or_saveexec_b64 s[6:7], s[6:7]
	v_mov_b32_e32 v2, s10
	s_xor_b64 exec, exec, s[6:7]
	s_cbranch_execnz .LBB48_2252
.LBB48_202:
	s_or_b64 exec, exec, s[6:7]
	s_and_saveexec_b64 s[6:7], s[4:5]
	s_cbranch_execz .LBB48_204
.LBB48_203:
	v_bfe_u32 v2, v8, 8, 3
	v_ffbh_u32_e32 v7, v2
	v_min_u32_e32 v7, 32, v7
	v_lshrrev_b16_e32 v6, 3, v3
	v_subrev_u32_e32 v10, 28, v7
	v_and_b32_e32 v6, 15, v6
	v_lshlrev_b32_e32 v3, v10, v3
	v_sub_u32_e32 v7, 29, v7
	v_and_b32_e32 v3, 7, v3
	v_cmp_eq_u16_e32 vcc, 0, v6
	v_cndmask_b32_e32 v2, v2, v3, vcc
	v_cndmask_b32_e32 v3, v6, v7, vcc
	v_lshlrev_b32_e32 v6, 16, v8
	v_mov_b32_e32 v7, 0x3b800000
	v_lshlrev_b32_e32 v2, 20, v2
	v_and_b32_e32 v6, 0x80000000, v6
	v_lshl_add_u32 v3, v3, 23, v7
	v_or3_b32 v2, v6, v3, v2
.LBB48_204:
	s_or_b64 exec, exec, s[6:7]
	v_lshrrev_b32_e32 v3, 8, v4
	s_movk_i32 s4, 0x7f
	v_cmp_gt_i16_sdwa s[6:7], v3, s4 src0_sel:BYTE_0 src1_sel:DWORD
	s_mov_b64 s[4:5], 0
                                        ; implicit-def: $sgpr10
	s_and_saveexec_b64 s[8:9], s[6:7]
	s_xor_b64 s[6:7], exec, s[8:9]
	s_cbranch_execnz .LBB48_2253
; %bb.205:
	s_or_saveexec_b64 s[6:7], s[6:7]
	v_mov_b32_e32 v6, s10
	s_xor_b64 exec, exec, s[6:7]
	s_cbranch_execnz .LBB48_2256
.LBB48_206:
	s_or_b64 exec, exec, s[6:7]
	s_and_saveexec_b64 s[6:7], s[4:5]
	s_cbranch_execz .LBB48_208
.LBB48_207:
	v_bfe_u32 v6, v4, 8, 3
	v_ffbh_u32_e32 v10, v6
	v_min_u32_e32 v10, 32, v10
	v_lshrrev_b16_e32 v7, 3, v3
	v_subrev_u32_e32 v11, 28, v10
	v_and_b32_e32 v7, 15, v7
	v_lshlrev_b32_e32 v3, v11, v3
	v_sub_u32_e32 v10, 29, v10
	v_and_b32_e32 v3, 7, v3
	v_cmp_eq_u16_e32 vcc, 0, v7
	v_cndmask_b32_e32 v3, v6, v3, vcc
	v_cndmask_b32_e32 v6, v7, v10, vcc
	v_lshlrev_b32_e32 v7, 16, v4
	v_mov_b32_e32 v10, 0x3b800000
	v_lshlrev_b32_e32 v3, 20, v3
	v_and_b32_e32 v7, 0x80000000, v7
	v_lshl_add_u32 v6, v6, 23, v10
	v_or3_b32 v6, v7, v6, v3
.LBB48_208:
	s_or_b64 exec, exec, s[6:7]
	s_nop 0
	v_mfma_f32_16x16x4f32 a[0:3], v2, v6, a[0:3]
	s_movk_i32 s4, 0xff
	v_and_b32_sdwa v3, v8, s4 dst_sel:DWORD dst_unused:UNUSED_PAD src0_sel:WORD_1 src1_sel:DWORD
	s_movk_i32 s4, 0x7f
	v_cmp_lt_i16_e32 vcc, s4, v3
	s_mov_b64 s[4:5], 0
                                        ; implicit-def: $sgpr10
	s_and_saveexec_b64 s[6:7], vcc
	s_xor_b64 s[6:7], exec, s[6:7]
	s_cbranch_execnz .LBB48_2257
; %bb.209:
	s_or_saveexec_b64 s[6:7], s[6:7]
	v_mov_b32_e32 v2, s10
	s_xor_b64 exec, exec, s[6:7]
	s_cbranch_execnz .LBB48_2260
.LBB48_210:
	s_or_b64 exec, exec, s[6:7]
	s_and_saveexec_b64 s[6:7], s[4:5]
	s_cbranch_execz .LBB48_212
.LBB48_211:
	v_bfe_u32 v2, v8, 16, 3
	v_ffbh_u32_e32 v7, v2
	v_min_u32_e32 v7, 32, v7
	v_lshrrev_b32_e32 v3, 19, v8
	v_subrev_u32_e32 v10, 28, v7
	v_and_b32_e32 v3, 15, v3
	v_lshlrev_b32_sdwa v10, v10, v8 dst_sel:DWORD dst_unused:UNUSED_PAD src0_sel:DWORD src1_sel:WORD_1
	v_bfe_u32 v6, v8, 19, 4
	v_sub_u32_e32 v7, 29, v7
	v_and_b32_e32 v10, 7, v10
	v_cmp_eq_u16_e32 vcc, 0, v3
	v_cndmask_b32_e32 v2, v2, v10, vcc
	v_cndmask_b32_e32 v3, v6, v7, vcc
	v_lshlrev_b32_e32 v6, 8, v8
	v_mov_b32_e32 v7, 0x3b800000
	v_lshlrev_b32_e32 v2, 20, v2
	v_and_b32_e32 v6, 0x80000000, v6
	v_lshl_add_u32 v3, v3, 23, v7
	v_or3_b32 v2, v6, v3, v2
.LBB48_212:
	s_or_b64 exec, exec, s[6:7]
	s_movk_i32 s4, 0xff
	v_and_b32_sdwa v3, v4, s4 dst_sel:DWORD dst_unused:UNUSED_PAD src0_sel:WORD_1 src1_sel:DWORD
	s_movk_i32 s4, 0x7f
	v_cmp_lt_i16_e32 vcc, s4, v3
	s_mov_b64 s[4:5], 0
                                        ; implicit-def: $sgpr10
	s_and_saveexec_b64 s[6:7], vcc
	s_xor_b64 s[6:7], exec, s[6:7]
	s_cbranch_execnz .LBB48_2261
; %bb.213:
	s_or_saveexec_b64 s[6:7], s[6:7]
	v_mov_b32_e32 v6, s10
	s_xor_b64 exec, exec, s[6:7]
	s_cbranch_execnz .LBB48_2264
.LBB48_214:
	s_or_b64 exec, exec, s[6:7]
	s_and_saveexec_b64 s[6:7], s[4:5]
	s_cbranch_execz .LBB48_216
.LBB48_215:
	v_bfe_u32 v3, v4, 16, 3
	v_ffbh_u32_e32 v10, v3
	v_min_u32_e32 v10, 32, v10
	v_lshrrev_b32_e32 v6, 19, v4
	v_subrev_u32_e32 v11, 28, v10
	v_and_b32_e32 v6, 15, v6
	v_lshlrev_b32_sdwa v11, v11, v4 dst_sel:DWORD dst_unused:UNUSED_PAD src0_sel:DWORD src1_sel:WORD_1
	v_bfe_u32 v7, v4, 19, 4
	v_sub_u32_e32 v10, 29, v10
	v_and_b32_e32 v11, 7, v11
	v_cmp_eq_u16_e32 vcc, 0, v6
	v_cndmask_b32_e32 v3, v3, v11, vcc
	v_cndmask_b32_e32 v6, v7, v10, vcc
	v_lshlrev_b32_e32 v7, 8, v4
	v_mov_b32_e32 v10, 0x3b800000
	v_lshlrev_b32_e32 v3, 20, v3
	v_and_b32_e32 v7, 0x80000000, v7
	v_lshl_add_u32 v6, v6, 23, v10
	v_or3_b32 v6, v7, v6, v3
.LBB48_216:
	s_or_b64 exec, exec, s[6:7]
	s_nop 0
	v_mfma_f32_16x16x4f32 a[0:3], v2, v6, a[0:3]
	s_movk_i32 s4, 0x7f
	v_cmp_gt_i16_sdwa s[6:7], v8, s4 src0_sel:BYTE_3 src1_sel:DWORD
	s_mov_b64 s[4:5], 0
                                        ; implicit-def: $sgpr10
	s_and_saveexec_b64 s[8:9], s[6:7]
	s_xor_b64 s[6:7], exec, s[8:9]
	s_cbranch_execnz .LBB48_2265
; %bb.217:
	s_or_saveexec_b64 s[6:7], s[6:7]
	v_mov_b32_e32 v2, s10
	s_xor_b64 exec, exec, s[6:7]
	s_cbranch_execnz .LBB48_2268
.LBB48_218:
	s_or_b64 exec, exec, s[6:7]
	s_and_saveexec_b64 s[6:7], s[4:5]
	s_cbranch_execz .LBB48_220
.LBB48_219:
	v_bfe_u32 v2, v8, 24, 3
	v_ffbh_u32_e32 v10, v2
	v_min_u32_e32 v10, 32, v10
	v_lshrrev_b32_e32 v6, 27, v8
	v_subrev_u32_e32 v11, 28, v10
	v_and_b32_e32 v3, 0x80000000, v8
	v_and_b32_e32 v6, 15, v6
	v_bfe_u32 v7, v8, 27, 4
	v_lshlrev_b32_sdwa v8, v11, v8 dst_sel:DWORD dst_unused:UNUSED_PAD src0_sel:DWORD src1_sel:BYTE_3
	v_sub_u32_e32 v10, 29, v10
	v_and_b32_e32 v8, 7, v8
	v_cmp_eq_u16_e32 vcc, 0, v6
	v_cndmask_b32_e32 v2, v2, v8, vcc
	v_cndmask_b32_e32 v6, v7, v10, vcc
	v_mov_b32_e32 v7, 0x3b800000
	v_lshlrev_b32_e32 v2, 20, v2
	v_lshl_add_u32 v6, v6, 23, v7
	v_or3_b32 v2, v3, v6, v2
.LBB48_220:
	s_or_b64 exec, exec, s[6:7]
	s_movk_i32 s4, 0x7f
	v_cmp_gt_i16_sdwa s[6:7], v4, s4 src0_sel:BYTE_3 src1_sel:DWORD
	s_mov_b64 s[4:5], 0
                                        ; implicit-def: $sgpr10
	s_and_saveexec_b64 s[8:9], s[6:7]
	s_xor_b64 s[6:7], exec, s[8:9]
	s_cbranch_execnz .LBB48_2269
; %bb.221:
	s_or_saveexec_b64 s[6:7], s[6:7]
	v_mov_b32_e32 v3, s10
	s_xor_b64 exec, exec, s[6:7]
	s_cbranch_execnz .LBB48_2272
.LBB48_222:
	s_or_b64 exec, exec, s[6:7]
	s_and_saveexec_b64 s[6:7], s[4:5]
	s_cbranch_execz .LBB48_224
.LBB48_223:
	v_bfe_u32 v3, v4, 24, 3
	v_ffbh_u32_e32 v10, v3
	v_min_u32_e32 v10, 32, v10
	v_lshrrev_b32_e32 v7, 27, v4
	v_subrev_u32_e32 v11, 28, v10
	v_and_b32_e32 v6, 0x80000000, v4
	v_and_b32_e32 v7, 15, v7
	v_bfe_u32 v8, v4, 27, 4
	v_lshlrev_b32_sdwa v4, v11, v4 dst_sel:DWORD dst_unused:UNUSED_PAD src0_sel:DWORD src1_sel:BYTE_3
	v_sub_u32_e32 v10, 29, v10
	v_and_b32_e32 v4, 7, v4
	v_cmp_eq_u16_e32 vcc, 0, v7
	v_cndmask_b32_e32 v3, v3, v4, vcc
	v_cndmask_b32_e32 v4, v8, v10, vcc
	v_mov_b32_e32 v7, 0x3b800000
	v_lshlrev_b32_e32 v3, 20, v3
	v_lshl_add_u32 v4, v4, 23, v7
	v_or3_b32 v3, v6, v4, v3
.LBB48_224:
	s_or_b64 exec, exec, s[6:7]
	s_nop 0
	v_mfma_f32_16x16x4f32 a[0:3], v2, v3, a[0:3]
	s_movk_i32 s4, 0x7f
	v_cmp_gt_i16_sdwa s[6:7], v9, s4 src0_sel:BYTE_0 src1_sel:DWORD
	s_mov_b64 s[4:5], 0
                                        ; implicit-def: $sgpr10
	s_and_saveexec_b64 s[8:9], s[6:7]
	s_xor_b64 s[6:7], exec, s[8:9]
	s_cbranch_execnz .LBB48_2273
; %bb.225:
	s_or_saveexec_b64 s[6:7], s[6:7]
	v_mov_b32_e32 v2, s10
	s_xor_b64 exec, exec, s[6:7]
	s_cbranch_execnz .LBB48_2276
.LBB48_226:
	s_or_b64 exec, exec, s[6:7]
	s_and_saveexec_b64 s[6:7], s[4:5]
	s_cbranch_execz .LBB48_228
.LBB48_227:
	v_mov_b32_e32 v2, 8
	v_and_b32_e32 v3, 7, v9
	v_lshrrev_b32_sdwa v2, v2, v9 dst_sel:BYTE_1 dst_unused:UNUSED_PAD src0_sel:DWORD src1_sel:DWORD
	v_ffbh_u32_e32 v4, v3
	v_or_b32_sdwa v2, v9, v2 dst_sel:DWORD dst_unused:UNUSED_PAD src0_sel:BYTE_0 src1_sel:DWORD
	v_min_u32_e32 v4, 32, v4
	v_lshrrev_b16_e32 v2, 3, v2
	v_subrev_u32_e32 v6, 28, v4
	v_and_b32_e32 v2, 15, v2
	v_lshlrev_b32_e32 v6, v6, v9
	v_sub_u32_e32 v4, 29, v4
	v_and_b32_e32 v6, 7, v6
	v_cmp_eq_u16_e32 vcc, 0, v2
	v_cndmask_b32_e32 v3, v3, v6, vcc
	v_cndmask_b32_e32 v2, v2, v4, vcc
	v_lshlrev_b32_e32 v4, 24, v9
	v_mov_b32_e32 v6, 0x3b800000
	v_lshlrev_b32_e32 v3, 20, v3
	v_and_b32_e32 v4, 0x80000000, v4
	v_lshl_add_u32 v2, v2, 23, v6
	v_or3_b32 v2, v4, v2, v3
.LBB48_228:
	s_or_b64 exec, exec, s[6:7]
	s_movk_i32 s4, 0x7f
	v_cmp_gt_i16_sdwa s[6:7], v5, s4 src0_sel:BYTE_0 src1_sel:DWORD
	s_mov_b64 s[4:5], 0
                                        ; implicit-def: $sgpr10
	s_and_saveexec_b64 s[8:9], s[6:7]
	s_xor_b64 s[6:7], exec, s[8:9]
	s_cbranch_execnz .LBB48_2277
; %bb.229:
	s_or_saveexec_b64 s[6:7], s[6:7]
	v_mov_b32_e32 v3, s10
	s_xor_b64 exec, exec, s[6:7]
	s_cbranch_execnz .LBB48_2280
.LBB48_230:
	s_or_b64 exec, exec, s[6:7]
	s_and_saveexec_b64 s[6:7], s[4:5]
	s_cbranch_execz .LBB48_232
.LBB48_231:
	v_mov_b32_e32 v3, 8
	v_and_b32_e32 v4, 7, v5
	v_lshrrev_b32_sdwa v3, v3, v5 dst_sel:BYTE_1 dst_unused:UNUSED_PAD src0_sel:DWORD src1_sel:DWORD
	v_ffbh_u32_e32 v6, v4
	v_or_b32_sdwa v3, v5, v3 dst_sel:DWORD dst_unused:UNUSED_PAD src0_sel:BYTE_0 src1_sel:DWORD
	v_min_u32_e32 v6, 32, v6
	v_lshrrev_b16_e32 v3, 3, v3
	v_subrev_u32_e32 v7, 28, v6
	v_and_b32_e32 v3, 15, v3
	v_lshlrev_b32_e32 v7, v7, v5
	v_sub_u32_e32 v6, 29, v6
	v_and_b32_e32 v7, 7, v7
	v_cmp_eq_u16_e32 vcc, 0, v3
	v_cndmask_b32_e32 v4, v4, v7, vcc
	v_cndmask_b32_e32 v3, v3, v6, vcc
	v_lshlrev_b32_e32 v6, 24, v5
	v_mov_b32_e32 v7, 0x3b800000
	v_lshlrev_b32_e32 v4, 20, v4
	v_and_b32_e32 v6, 0x80000000, v6
	v_lshl_add_u32 v3, v3, 23, v7
	v_or3_b32 v3, v6, v3, v4
.LBB48_232:
	s_or_b64 exec, exec, s[6:7]
	s_nop 0
	v_mfma_f32_16x16x4f32 a[0:3], v2, v3, a[0:3]
	v_lshrrev_b32_e32 v3, 8, v9
	s_movk_i32 s4, 0x7f
	v_cmp_gt_i16_sdwa s[6:7], v3, s4 src0_sel:BYTE_0 src1_sel:DWORD
	s_mov_b64 s[4:5], 0
                                        ; implicit-def: $sgpr10
	s_and_saveexec_b64 s[8:9], s[6:7]
	s_xor_b64 s[6:7], exec, s[8:9]
	s_cbranch_execnz .LBB48_2281
; %bb.233:
	s_or_saveexec_b64 s[6:7], s[6:7]
	v_mov_b32_e32 v2, s10
	s_xor_b64 exec, exec, s[6:7]
	s_cbranch_execnz .LBB48_2284
.LBB48_234:
	s_or_b64 exec, exec, s[6:7]
	s_and_saveexec_b64 s[6:7], s[4:5]
	s_cbranch_execz .LBB48_236
.LBB48_235:
	v_bfe_u32 v2, v9, 8, 3
	v_ffbh_u32_e32 v6, v2
	v_min_u32_e32 v6, 32, v6
	v_lshrrev_b16_e32 v4, 3, v3
	v_subrev_u32_e32 v7, 28, v6
	v_and_b32_e32 v4, 15, v4
	v_lshlrev_b32_e32 v3, v7, v3
	v_sub_u32_e32 v6, 29, v6
	v_and_b32_e32 v3, 7, v3
	v_cmp_eq_u16_e32 vcc, 0, v4
	v_cndmask_b32_e32 v2, v2, v3, vcc
	v_cndmask_b32_e32 v3, v4, v6, vcc
	v_lshlrev_b32_e32 v4, 16, v9
	v_mov_b32_e32 v6, 0x3b800000
	v_lshlrev_b32_e32 v2, 20, v2
	v_and_b32_e32 v4, 0x80000000, v4
	v_lshl_add_u32 v3, v3, 23, v6
	v_or3_b32 v2, v4, v3, v2
.LBB48_236:
	s_or_b64 exec, exec, s[6:7]
	v_lshrrev_b32_e32 v3, 8, v5
	s_movk_i32 s4, 0x7f
	v_cmp_gt_i16_sdwa s[6:7], v3, s4 src0_sel:BYTE_0 src1_sel:DWORD
	s_mov_b64 s[4:5], 0
                                        ; implicit-def: $sgpr10
	s_and_saveexec_b64 s[8:9], s[6:7]
	s_xor_b64 s[6:7], exec, s[8:9]
	s_cbranch_execnz .LBB48_2285
; %bb.237:
	s_or_saveexec_b64 s[6:7], s[6:7]
	v_mov_b32_e32 v4, s10
	s_xor_b64 exec, exec, s[6:7]
	s_cbranch_execnz .LBB48_2288
.LBB48_238:
	s_or_b64 exec, exec, s[6:7]
	s_and_saveexec_b64 s[6:7], s[4:5]
	s_cbranch_execz .LBB48_240
.LBB48_239:
	v_bfe_u32 v4, v5, 8, 3
	v_ffbh_u32_e32 v7, v4
	v_min_u32_e32 v7, 32, v7
	v_lshrrev_b16_e32 v6, 3, v3
	v_subrev_u32_e32 v8, 28, v7
	v_and_b32_e32 v6, 15, v6
	v_lshlrev_b32_e32 v3, v8, v3
	v_sub_u32_e32 v7, 29, v7
	v_and_b32_e32 v3, 7, v3
	v_cmp_eq_u16_e32 vcc, 0, v6
	v_cndmask_b32_e32 v3, v4, v3, vcc
	v_cndmask_b32_e32 v4, v6, v7, vcc
	v_lshlrev_b32_e32 v6, 16, v5
	v_mov_b32_e32 v7, 0x3b800000
	v_lshlrev_b32_e32 v3, 20, v3
	v_and_b32_e32 v6, 0x80000000, v6
	v_lshl_add_u32 v4, v4, 23, v7
	v_or3_b32 v4, v6, v4, v3
.LBB48_240:
	s_or_b64 exec, exec, s[6:7]
	s_nop 0
	v_mfma_f32_16x16x4f32 a[0:3], v2, v4, a[0:3]
	s_movk_i32 s4, 0xff
	v_and_b32_sdwa v3, v9, s4 dst_sel:DWORD dst_unused:UNUSED_PAD src0_sel:WORD_1 src1_sel:DWORD
	s_movk_i32 s4, 0x7f
	v_cmp_lt_i16_e32 vcc, s4, v3
	s_mov_b64 s[4:5], 0
                                        ; implicit-def: $sgpr10
	s_and_saveexec_b64 s[6:7], vcc
	s_xor_b64 s[6:7], exec, s[6:7]
	s_cbranch_execnz .LBB48_2289
; %bb.241:
	s_or_saveexec_b64 s[6:7], s[6:7]
	v_mov_b32_e32 v2, s10
	s_xor_b64 exec, exec, s[6:7]
	s_cbranch_execnz .LBB48_2292
.LBB48_242:
	s_or_b64 exec, exec, s[6:7]
	s_and_saveexec_b64 s[6:7], s[4:5]
	s_cbranch_execz .LBB48_244
.LBB48_243:
	v_bfe_u32 v2, v9, 16, 3
	v_ffbh_u32_e32 v6, v2
	v_min_u32_e32 v6, 32, v6
	v_lshrrev_b32_e32 v3, 19, v9
	v_subrev_u32_e32 v7, 28, v6
	v_and_b32_e32 v3, 15, v3
	v_lshlrev_b32_sdwa v7, v7, v9 dst_sel:DWORD dst_unused:UNUSED_PAD src0_sel:DWORD src1_sel:WORD_1
	v_bfe_u32 v4, v9, 19, 4
	v_sub_u32_e32 v6, 29, v6
	v_and_b32_e32 v7, 7, v7
	v_cmp_eq_u16_e32 vcc, 0, v3
	v_cndmask_b32_e32 v2, v2, v7, vcc
	v_cndmask_b32_e32 v3, v4, v6, vcc
	v_lshlrev_b32_e32 v4, 8, v9
	v_mov_b32_e32 v6, 0x3b800000
	v_lshlrev_b32_e32 v2, 20, v2
	v_and_b32_e32 v4, 0x80000000, v4
	v_lshl_add_u32 v3, v3, 23, v6
	v_or3_b32 v2, v4, v3, v2
.LBB48_244:
	s_or_b64 exec, exec, s[6:7]
	s_movk_i32 s4, 0xff
	v_and_b32_sdwa v3, v5, s4 dst_sel:DWORD dst_unused:UNUSED_PAD src0_sel:WORD_1 src1_sel:DWORD
	s_movk_i32 s4, 0x7f
	v_cmp_lt_i16_e32 vcc, s4, v3
	s_mov_b64 s[4:5], 0
                                        ; implicit-def: $sgpr10
	s_and_saveexec_b64 s[6:7], vcc
	s_xor_b64 s[6:7], exec, s[6:7]
	s_cbranch_execnz .LBB48_2293
; %bb.245:
	s_or_saveexec_b64 s[6:7], s[6:7]
	v_mov_b32_e32 v4, s10
	s_xor_b64 exec, exec, s[6:7]
	s_cbranch_execnz .LBB48_2296
.LBB48_246:
	s_or_b64 exec, exec, s[6:7]
	s_and_saveexec_b64 s[6:7], s[4:5]
	s_cbranch_execz .LBB48_248
.LBB48_247:
	v_bfe_u32 v3, v5, 16, 3
	v_ffbh_u32_e32 v7, v3
	v_min_u32_e32 v7, 32, v7
	v_lshrrev_b32_e32 v4, 19, v5
	v_subrev_u32_e32 v8, 28, v7
	v_and_b32_e32 v4, 15, v4
	v_lshlrev_b32_sdwa v8, v8, v5 dst_sel:DWORD dst_unused:UNUSED_PAD src0_sel:DWORD src1_sel:WORD_1
	v_bfe_u32 v6, v5, 19, 4
	v_sub_u32_e32 v7, 29, v7
	v_and_b32_e32 v8, 7, v8
	v_cmp_eq_u16_e32 vcc, 0, v4
	v_cndmask_b32_e32 v3, v3, v8, vcc
	v_cndmask_b32_e32 v4, v6, v7, vcc
	v_lshlrev_b32_e32 v6, 8, v5
	v_mov_b32_e32 v7, 0x3b800000
	v_lshlrev_b32_e32 v3, 20, v3
	v_and_b32_e32 v6, 0x80000000, v6
	v_lshl_add_u32 v4, v4, 23, v7
	v_or3_b32 v4, v6, v4, v3
.LBB48_248:
	s_or_b64 exec, exec, s[6:7]
	s_nop 0
	v_mfma_f32_16x16x4f32 a[0:3], v2, v4, a[0:3]
	s_movk_i32 s4, 0x7f
	v_cmp_gt_i16_sdwa s[6:7], v9, s4 src0_sel:BYTE_3 src1_sel:DWORD
	s_mov_b64 s[4:5], 0
                                        ; implicit-def: $sgpr10
	s_and_saveexec_b64 s[8:9], s[6:7]
	s_xor_b64 s[6:7], exec, s[8:9]
	s_cbranch_execnz .LBB48_2297
; %bb.249:
	s_or_saveexec_b64 s[6:7], s[6:7]
	v_mov_b32_e32 v2, s10
	s_xor_b64 exec, exec, s[6:7]
	s_cbranch_execnz .LBB48_2300
.LBB48_250:
	s_or_b64 exec, exec, s[6:7]
	s_and_saveexec_b64 s[6:7], s[4:5]
	s_cbranch_execz .LBB48_252
.LBB48_251:
	v_bfe_u32 v2, v9, 24, 3
	v_ffbh_u32_e32 v7, v2
	v_min_u32_e32 v7, 32, v7
	v_lshrrev_b32_e32 v4, 27, v9
	v_subrev_u32_e32 v8, 28, v7
	v_and_b32_e32 v4, 15, v4
	v_lshlrev_b32_sdwa v8, v8, v9 dst_sel:DWORD dst_unused:UNUSED_PAD src0_sel:DWORD src1_sel:BYTE_3
	v_bfe_u32 v6, v9, 27, 4
	v_sub_u32_e32 v7, 29, v7
	v_and_b32_e32 v8, 7, v8
	v_cmp_eq_u16_e32 vcc, 0, v4
	v_cndmask_b32_e32 v2, v2, v8, vcc
	v_cndmask_b32_e32 v4, v6, v7, vcc
	v_mov_b32_e32 v6, 0x3b800000
	v_and_b32_e32 v3, 0x80000000, v9
	v_lshlrev_b32_e32 v2, 20, v2
	v_lshl_add_u32 v4, v4, 23, v6
	v_or3_b32 v2, v3, v4, v2
.LBB48_252:
	s_or_b64 exec, exec, s[6:7]
	s_movk_i32 s4, 0x7f
	v_cmp_gt_i16_sdwa s[6:7], v5, s4 src0_sel:BYTE_3 src1_sel:DWORD
	s_mov_b64 s[4:5], 0
                                        ; implicit-def: $sgpr10
	s_and_saveexec_b64 s[8:9], s[6:7]
	s_xor_b64 s[6:7], exec, s[8:9]
	s_cbranch_execnz .LBB48_2301
; %bb.253:
	s_or_saveexec_b64 s[6:7], s[6:7]
	v_mov_b32_e32 v3, s10
	s_xor_b64 exec, exec, s[6:7]
	s_cbranch_execnz .LBB48_2304
.LBB48_254:
	s_or_b64 exec, exec, s[6:7]
	s_and_saveexec_b64 s[6:7], s[4:5]
	s_cbranch_execz .LBB48_256
.LBB48_255:
	v_bfe_u32 v3, v5, 24, 3
	v_ffbh_u32_e32 v8, v3
	v_min_u32_e32 v8, 32, v8
	v_lshrrev_b32_e32 v6, 27, v5
	v_subrev_u32_e32 v9, 28, v8
	v_and_b32_e32 v4, 0x80000000, v5
	v_and_b32_e32 v6, 15, v6
	v_bfe_u32 v7, v5, 27, 4
	v_lshlrev_b32_sdwa v5, v9, v5 dst_sel:DWORD dst_unused:UNUSED_PAD src0_sel:DWORD src1_sel:BYTE_3
	v_sub_u32_e32 v8, 29, v8
	v_and_b32_e32 v5, 7, v5
	v_cmp_eq_u16_e32 vcc, 0, v6
	v_cndmask_b32_e32 v3, v3, v5, vcc
	v_cndmask_b32_e32 v5, v7, v8, vcc
	v_mov_b32_e32 v6, 0x3b800000
	v_lshlrev_b32_e32 v3, 20, v3
	v_lshl_add_u32 v5, v5, 23, v6
	v_or3_b32 v3, v4, v5, v3
.LBB48_256:
	s_or_b64 exec, exec, s[6:7]
	s_nop 0
	v_mfma_f32_16x16x4f32 a[0:3], v2, v3, a[0:3]
	s_movk_i32 s4, 0x7f
                                        ; implicit-def: $sgpr10
	s_nop 7
	s_nop 1
	flat_store_dwordx4 v[18:19], a[0:3] offset:512
	flat_load_dwordx4 v[20:23], v[0:1] offset:8
	s_nop 0
	flat_load_dwordx2 v[18:19], v[0:1] offset:24
	s_waitcnt vmcnt(0) lgkmcnt(0)
	flat_load_dwordx4 v[14:17], v[20:21]
	flat_load_dwordx4 v[6:9], v[20:21] offset:16
	flat_load_dwordx4 v[10:13], v[22:23] offset:32
	;; [unrolled: 1-line block ×3, first 2 shown]
	s_waitcnt vmcnt(0) lgkmcnt(0)
	v_cmp_gt_i16_sdwa s[6:7], v14, s4 src0_sel:BYTE_0 src1_sel:DWORD
	s_mov_b64 s[4:5], 0
	s_and_saveexec_b64 s[8:9], s[6:7]
	s_xor_b64 s[6:7], exec, s[8:9]
	s_cbranch_execnz .LBB48_2305
; %bb.257:
	s_or_saveexec_b64 s[6:7], s[6:7]
	v_mov_b32_e32 v20, s10
	s_xor_b64 exec, exec, s[6:7]
	s_cbranch_execnz .LBB48_2308
.LBB48_258:
	s_or_b64 exec, exec, s[6:7]
	s_and_saveexec_b64 s[6:7], s[4:5]
	s_cbranch_execz .LBB48_260
.LBB48_259:
	v_and_b32_e32 v20, 7, v14
	v_ffbh_u32_e32 v22, v20
	v_min_u32_e32 v22, 32, v22
	v_lshrrev_b16_e32 v21, 3, v14
	v_subrev_u32_e32 v23, 28, v22
	v_and_b32_e32 v21, 15, v21
	v_lshlrev_b32_e32 v23, v23, v14
	v_sub_u32_e32 v22, 29, v22
	v_and_b32_e32 v23, 7, v23
	v_cmp_eq_u16_e32 vcc, 0, v21
	v_cndmask_b32_e32 v20, v20, v23, vcc
	v_cndmask_b32_e32 v21, v21, v22, vcc
	v_lshlrev_b32_e32 v22, 24, v14
	v_mov_b32_e32 v23, 0x3b800000
	v_lshlrev_b32_e32 v20, 20, v20
	v_and_b32_e32 v22, 0x80000000, v22
	v_lshl_add_u32 v21, v21, 23, v23
	v_or3_b32 v20, v22, v21, v20
.LBB48_260:
	s_or_b64 exec, exec, s[6:7]
	s_movk_i32 s4, 0x7f
	v_cmp_gt_i16_sdwa s[6:7], v10, s4 src0_sel:BYTE_0 src1_sel:DWORD
	s_mov_b64 s[4:5], 0
                                        ; implicit-def: $sgpr10
	s_and_saveexec_b64 s[8:9], s[6:7]
	s_xor_b64 s[6:7], exec, s[8:9]
	s_cbranch_execnz .LBB48_2309
; %bb.261:
	s_or_saveexec_b64 s[6:7], s[6:7]
	v_mov_b32_e32 v21, s10
	s_xor_b64 exec, exec, s[6:7]
	s_cbranch_execnz .LBB48_2312
.LBB48_262:
	s_or_b64 exec, exec, s[6:7]
	s_and_saveexec_b64 s[6:7], s[4:5]
	s_cbranch_execz .LBB48_264
.LBB48_263:
	v_and_b32_e32 v21, 7, v10
	v_ffbh_u32_e32 v23, v21
	v_min_u32_e32 v23, 32, v23
	v_lshrrev_b16_e32 v22, 3, v10
	v_subrev_u32_e32 v24, 28, v23
	v_and_b32_e32 v22, 15, v22
	v_lshlrev_b32_e32 v24, v24, v10
	v_sub_u32_e32 v23, 29, v23
	v_and_b32_e32 v24, 7, v24
	v_cmp_eq_u16_e32 vcc, 0, v22
	v_cndmask_b32_e32 v21, v21, v24, vcc
	v_cndmask_b32_e32 v22, v22, v23, vcc
	v_lshlrev_b32_e32 v23, 24, v10
	v_mov_b32_e32 v24, 0x3b800000
	v_lshlrev_b32_e32 v21, 20, v21
	v_and_b32_e32 v23, 0x80000000, v23
	v_lshl_add_u32 v22, v22, 23, v24
	v_or3_b32 v21, v23, v22, v21
.LBB48_264:
	s_or_b64 exec, exec, s[6:7]
	flat_load_dwordx4 a[0:3], v[18:19] offset:528
	s_movk_i32 s4, 0x7f
                                        ; implicit-def: $sgpr10
	s_waitcnt vmcnt(0) lgkmcnt(0)
	v_mfma_f32_16x16x4f32 a[0:3], v20, v21, a[0:3]
	v_lshrrev_b32_e32 v21, 8, v14
	v_cmp_gt_i16_sdwa s[6:7], v21, s4 src0_sel:BYTE_0 src1_sel:DWORD
	s_mov_b64 s[4:5], 0
	s_and_saveexec_b64 s[8:9], s[6:7]
	s_xor_b64 s[6:7], exec, s[8:9]
	s_cbranch_execnz .LBB48_2313
; %bb.265:
	s_or_saveexec_b64 s[6:7], s[6:7]
	v_mov_b32_e32 v20, s10
	s_xor_b64 exec, exec, s[6:7]
	s_cbranch_execnz .LBB48_2316
.LBB48_266:
	s_or_b64 exec, exec, s[6:7]
	s_and_saveexec_b64 s[6:7], s[4:5]
	s_cbranch_execz .LBB48_268
.LBB48_267:
	v_bfe_u32 v20, v14, 8, 3
	v_ffbh_u32_e32 v23, v20
	v_min_u32_e32 v23, 32, v23
	v_lshrrev_b16_e32 v22, 3, v21
	v_subrev_u32_e32 v24, 28, v23
	v_and_b32_e32 v22, 15, v22
	v_lshlrev_b32_e32 v21, v24, v21
	v_sub_u32_e32 v23, 29, v23
	v_and_b32_e32 v21, 7, v21
	v_cmp_eq_u16_e32 vcc, 0, v22
	v_cndmask_b32_e32 v20, v20, v21, vcc
	v_cndmask_b32_e32 v21, v22, v23, vcc
	v_lshlrev_b32_e32 v22, 16, v14
	v_mov_b32_e32 v23, 0x3b800000
	v_lshlrev_b32_e32 v20, 20, v20
	v_and_b32_e32 v22, 0x80000000, v22
	v_lshl_add_u32 v21, v21, 23, v23
	v_or3_b32 v20, v22, v21, v20
.LBB48_268:
	s_or_b64 exec, exec, s[6:7]
	v_lshrrev_b32_e32 v21, 8, v10
	s_movk_i32 s4, 0x7f
	v_cmp_gt_i16_sdwa s[6:7], v21, s4 src0_sel:BYTE_0 src1_sel:DWORD
	s_mov_b64 s[4:5], 0
                                        ; implicit-def: $sgpr10
	s_and_saveexec_b64 s[8:9], s[6:7]
	s_xor_b64 s[6:7], exec, s[8:9]
	s_cbranch_execnz .LBB48_2317
; %bb.269:
	s_or_saveexec_b64 s[6:7], s[6:7]
	v_mov_b32_e32 v22, s10
	s_xor_b64 exec, exec, s[6:7]
	s_cbranch_execnz .LBB48_2320
.LBB48_270:
	s_or_b64 exec, exec, s[6:7]
	s_and_saveexec_b64 s[6:7], s[4:5]
	s_cbranch_execz .LBB48_272
.LBB48_271:
	v_bfe_u32 v22, v10, 8, 3
	v_ffbh_u32_e32 v24, v22
	v_min_u32_e32 v24, 32, v24
	v_lshrrev_b16_e32 v23, 3, v21
	v_subrev_u32_e32 v25, 28, v24
	v_and_b32_e32 v23, 15, v23
	v_lshlrev_b32_e32 v21, v25, v21
	v_sub_u32_e32 v24, 29, v24
	v_and_b32_e32 v21, 7, v21
	v_cmp_eq_u16_e32 vcc, 0, v23
	v_cndmask_b32_e32 v21, v22, v21, vcc
	v_cndmask_b32_e32 v22, v23, v24, vcc
	v_lshlrev_b32_e32 v23, 16, v10
	v_mov_b32_e32 v24, 0x3b800000
	v_lshlrev_b32_e32 v21, 20, v21
	v_and_b32_e32 v23, 0x80000000, v23
	v_lshl_add_u32 v22, v22, 23, v24
	v_or3_b32 v22, v23, v22, v21
.LBB48_272:
	s_or_b64 exec, exec, s[6:7]
	s_nop 0
	v_mfma_f32_16x16x4f32 a[0:3], v20, v22, a[0:3]
	s_movk_i32 s4, 0xff
	v_and_b32_sdwa v21, v14, s4 dst_sel:DWORD dst_unused:UNUSED_PAD src0_sel:WORD_1 src1_sel:DWORD
	s_movk_i32 s4, 0x7f
	v_cmp_lt_i16_e32 vcc, s4, v21
	s_mov_b64 s[4:5], 0
                                        ; implicit-def: $sgpr10
	s_and_saveexec_b64 s[6:7], vcc
	s_xor_b64 s[6:7], exec, s[6:7]
	s_cbranch_execnz .LBB48_2321
; %bb.273:
	s_or_saveexec_b64 s[6:7], s[6:7]
	v_mov_b32_e32 v20, s10
	s_xor_b64 exec, exec, s[6:7]
	s_cbranch_execnz .LBB48_2324
.LBB48_274:
	s_or_b64 exec, exec, s[6:7]
	s_and_saveexec_b64 s[6:7], s[4:5]
	s_cbranch_execz .LBB48_276
.LBB48_275:
	v_bfe_u32 v20, v14, 16, 3
	v_ffbh_u32_e32 v23, v20
	v_min_u32_e32 v23, 32, v23
	v_lshrrev_b32_e32 v21, 19, v14
	v_subrev_u32_e32 v24, 28, v23
	v_and_b32_e32 v21, 15, v21
	v_lshlrev_b32_sdwa v24, v24, v14 dst_sel:DWORD dst_unused:UNUSED_PAD src0_sel:DWORD src1_sel:WORD_1
	v_bfe_u32 v22, v14, 19, 4
	v_sub_u32_e32 v23, 29, v23
	v_and_b32_e32 v24, 7, v24
	v_cmp_eq_u16_e32 vcc, 0, v21
	v_cndmask_b32_e32 v20, v20, v24, vcc
	v_cndmask_b32_e32 v21, v22, v23, vcc
	v_lshlrev_b32_e32 v22, 8, v14
	v_mov_b32_e32 v23, 0x3b800000
	v_lshlrev_b32_e32 v20, 20, v20
	v_and_b32_e32 v22, 0x80000000, v22
	v_lshl_add_u32 v21, v21, 23, v23
	v_or3_b32 v20, v22, v21, v20
.LBB48_276:
	s_or_b64 exec, exec, s[6:7]
	s_movk_i32 s4, 0xff
	v_and_b32_sdwa v21, v10, s4 dst_sel:DWORD dst_unused:UNUSED_PAD src0_sel:WORD_1 src1_sel:DWORD
	s_movk_i32 s4, 0x7f
	v_cmp_lt_i16_e32 vcc, s4, v21
	s_mov_b64 s[4:5], 0
                                        ; implicit-def: $sgpr10
	s_and_saveexec_b64 s[6:7], vcc
	s_xor_b64 s[6:7], exec, s[6:7]
	s_cbranch_execnz .LBB48_2325
; %bb.277:
	s_or_saveexec_b64 s[6:7], s[6:7]
	v_mov_b32_e32 v22, s10
	s_xor_b64 exec, exec, s[6:7]
	s_cbranch_execnz .LBB48_2328
.LBB48_278:
	s_or_b64 exec, exec, s[6:7]
	s_and_saveexec_b64 s[6:7], s[4:5]
	s_cbranch_execz .LBB48_280
.LBB48_279:
	v_bfe_u32 v21, v10, 16, 3
	v_ffbh_u32_e32 v24, v21
	v_min_u32_e32 v24, 32, v24
	v_lshrrev_b32_e32 v22, 19, v10
	v_subrev_u32_e32 v25, 28, v24
	v_and_b32_e32 v22, 15, v22
	v_lshlrev_b32_sdwa v25, v25, v10 dst_sel:DWORD dst_unused:UNUSED_PAD src0_sel:DWORD src1_sel:WORD_1
	v_bfe_u32 v23, v10, 19, 4
	v_sub_u32_e32 v24, 29, v24
	v_and_b32_e32 v25, 7, v25
	v_cmp_eq_u16_e32 vcc, 0, v22
	v_cndmask_b32_e32 v21, v21, v25, vcc
	v_cndmask_b32_e32 v22, v23, v24, vcc
	v_lshlrev_b32_e32 v23, 8, v10
	v_mov_b32_e32 v24, 0x3b800000
	v_lshlrev_b32_e32 v21, 20, v21
	v_and_b32_e32 v23, 0x80000000, v23
	v_lshl_add_u32 v22, v22, 23, v24
	v_or3_b32 v22, v23, v22, v21
.LBB48_280:
	s_or_b64 exec, exec, s[6:7]
	s_nop 0
	v_mfma_f32_16x16x4f32 a[0:3], v20, v22, a[0:3]
	s_movk_i32 s4, 0x7f
	v_cmp_gt_i16_sdwa s[6:7], v14, s4 src0_sel:BYTE_3 src1_sel:DWORD
	s_mov_b64 s[4:5], 0
                                        ; implicit-def: $sgpr10
	s_and_saveexec_b64 s[8:9], s[6:7]
	s_xor_b64 s[6:7], exec, s[8:9]
	s_cbranch_execnz .LBB48_2329
; %bb.281:
	s_or_saveexec_b64 s[6:7], s[6:7]
	v_mov_b32_e32 v20, s10
	s_xor_b64 exec, exec, s[6:7]
	s_cbranch_execnz .LBB48_2332
.LBB48_282:
	s_or_b64 exec, exec, s[6:7]
	s_and_saveexec_b64 s[6:7], s[4:5]
	s_cbranch_execz .LBB48_284
.LBB48_283:
	v_bfe_u32 v20, v14, 24, 3
	v_ffbh_u32_e32 v24, v20
	v_min_u32_e32 v24, 32, v24
	v_lshrrev_b32_e32 v22, 27, v14
	v_subrev_u32_e32 v25, 28, v24
	v_and_b32_e32 v21, 0x80000000, v14
	v_and_b32_e32 v22, 15, v22
	v_bfe_u32 v23, v14, 27, 4
	v_lshlrev_b32_sdwa v14, v25, v14 dst_sel:DWORD dst_unused:UNUSED_PAD src0_sel:DWORD src1_sel:BYTE_3
	v_sub_u32_e32 v24, 29, v24
	v_and_b32_e32 v14, 7, v14
	v_cmp_eq_u16_e32 vcc, 0, v22
	v_cndmask_b32_e32 v14, v20, v14, vcc
	v_cndmask_b32_e32 v20, v23, v24, vcc
	v_mov_b32_e32 v22, 0x3b800000
	v_lshlrev_b32_e32 v14, 20, v14
	v_lshl_add_u32 v20, v20, 23, v22
	v_or3_b32 v20, v21, v20, v14
.LBB48_284:
	s_or_b64 exec, exec, s[6:7]
	s_movk_i32 s4, 0x7f
	v_cmp_gt_i16_sdwa s[6:7], v10, s4 src0_sel:BYTE_3 src1_sel:DWORD
	s_mov_b64 s[4:5], 0
                                        ; implicit-def: $sgpr10
	s_and_saveexec_b64 s[8:9], s[6:7]
	s_xor_b64 s[6:7], exec, s[8:9]
	s_cbranch_execnz .LBB48_2333
; %bb.285:
	s_or_saveexec_b64 s[6:7], s[6:7]
	v_mov_b32_e32 v14, s10
	s_xor_b64 exec, exec, s[6:7]
	s_cbranch_execnz .LBB48_2336
.LBB48_286:
	s_or_b64 exec, exec, s[6:7]
	s_and_saveexec_b64 s[6:7], s[4:5]
	s_cbranch_execz .LBB48_288
.LBB48_287:
	v_bfe_u32 v14, v10, 24, 3
	v_ffbh_u32_e32 v24, v14
	v_min_u32_e32 v24, 32, v24
	v_lshrrev_b32_e32 v22, 27, v10
	v_subrev_u32_e32 v25, 28, v24
	v_and_b32_e32 v21, 0x80000000, v10
	v_and_b32_e32 v22, 15, v22
	v_bfe_u32 v23, v10, 27, 4
	v_lshlrev_b32_sdwa v10, v25, v10 dst_sel:DWORD dst_unused:UNUSED_PAD src0_sel:DWORD src1_sel:BYTE_3
	v_sub_u32_e32 v24, 29, v24
	v_and_b32_e32 v10, 7, v10
	v_cmp_eq_u16_e32 vcc, 0, v22
	v_cndmask_b32_e32 v10, v14, v10, vcc
	v_cndmask_b32_e32 v14, v23, v24, vcc
	v_mov_b32_e32 v22, 0x3b800000
	v_lshlrev_b32_e32 v10, 20, v10
	v_lshl_add_u32 v14, v14, 23, v22
	v_or3_b32 v14, v21, v14, v10
.LBB48_288:
	s_or_b64 exec, exec, s[6:7]
	s_nop 0
	v_mfma_f32_16x16x4f32 a[0:3], v20, v14, a[0:3]
	s_movk_i32 s4, 0x7f
	v_cmp_gt_i16_sdwa s[6:7], v15, s4 src0_sel:BYTE_0 src1_sel:DWORD
	s_mov_b64 s[4:5], 0
                                        ; implicit-def: $sgpr10
	s_and_saveexec_b64 s[8:9], s[6:7]
	s_xor_b64 s[6:7], exec, s[8:9]
	s_cbranch_execnz .LBB48_2337
; %bb.289:
	s_or_saveexec_b64 s[6:7], s[6:7]
	v_mov_b32_e32 v10, s10
	s_xor_b64 exec, exec, s[6:7]
	s_cbranch_execnz .LBB48_2340
.LBB48_290:
	s_or_b64 exec, exec, s[6:7]
	s_and_saveexec_b64 s[6:7], s[4:5]
	s_cbranch_execz .LBB48_292
.LBB48_291:
	v_and_b32_e32 v10, 7, v15
	v_ffbh_u32_e32 v20, v10
	v_min_u32_e32 v20, 32, v20
	v_lshrrev_b16_e32 v14, 3, v15
	v_subrev_u32_e32 v21, 28, v20
	v_and_b32_e32 v14, 15, v14
	v_lshlrev_b32_e32 v21, v21, v15
	v_sub_u32_e32 v20, 29, v20
	v_and_b32_e32 v21, 7, v21
	v_cmp_eq_u16_e32 vcc, 0, v14
	v_cndmask_b32_e32 v10, v10, v21, vcc
	v_cndmask_b32_e32 v14, v14, v20, vcc
	v_lshlrev_b32_e32 v20, 24, v15
	v_mov_b32_e32 v21, 0x3b800000
	v_lshlrev_b32_e32 v10, 20, v10
	v_and_b32_e32 v20, 0x80000000, v20
	v_lshl_add_u32 v14, v14, 23, v21
	v_or3_b32 v10, v20, v14, v10
.LBB48_292:
	s_or_b64 exec, exec, s[6:7]
	s_movk_i32 s4, 0x7f
	v_cmp_gt_i16_sdwa s[6:7], v11, s4 src0_sel:BYTE_0 src1_sel:DWORD
	s_mov_b64 s[4:5], 0
                                        ; implicit-def: $sgpr10
	s_and_saveexec_b64 s[8:9], s[6:7]
	s_xor_b64 s[6:7], exec, s[8:9]
	s_cbranch_execnz .LBB48_2341
; %bb.293:
	s_or_saveexec_b64 s[6:7], s[6:7]
	v_mov_b32_e32 v14, s10
	s_xor_b64 exec, exec, s[6:7]
	s_cbranch_execnz .LBB48_2344
.LBB48_294:
	s_or_b64 exec, exec, s[6:7]
	s_and_saveexec_b64 s[6:7], s[4:5]
	s_cbranch_execz .LBB48_296
.LBB48_295:
	v_and_b32_e32 v14, 7, v11
	v_ffbh_u32_e32 v21, v14
	v_min_u32_e32 v21, 32, v21
	v_lshrrev_b16_e32 v20, 3, v11
	v_subrev_u32_e32 v22, 28, v21
	v_and_b32_e32 v20, 15, v20
	v_lshlrev_b32_e32 v22, v22, v11
	v_sub_u32_e32 v21, 29, v21
	v_and_b32_e32 v22, 7, v22
	v_cmp_eq_u16_e32 vcc, 0, v20
	v_cndmask_b32_e32 v14, v14, v22, vcc
	v_cndmask_b32_e32 v20, v20, v21, vcc
	v_lshlrev_b32_e32 v21, 24, v11
	v_mov_b32_e32 v22, 0x3b800000
	v_lshlrev_b32_e32 v14, 20, v14
	v_and_b32_e32 v21, 0x80000000, v21
	v_lshl_add_u32 v20, v20, 23, v22
	v_or3_b32 v14, v21, v20, v14
.LBB48_296:
	s_or_b64 exec, exec, s[6:7]
	s_nop 0
	v_mfma_f32_16x16x4f32 a[0:3], v10, v14, a[0:3]
	v_lshrrev_b32_e32 v14, 8, v15
	s_movk_i32 s4, 0x7f
	v_cmp_gt_i16_sdwa s[6:7], v14, s4 src0_sel:BYTE_0 src1_sel:DWORD
	s_mov_b64 s[4:5], 0
                                        ; implicit-def: $sgpr10
	s_and_saveexec_b64 s[8:9], s[6:7]
	s_xor_b64 s[6:7], exec, s[8:9]
	s_cbranch_execnz .LBB48_2345
; %bb.297:
	s_or_saveexec_b64 s[6:7], s[6:7]
	v_mov_b32_e32 v10, s10
	s_xor_b64 exec, exec, s[6:7]
	s_cbranch_execnz .LBB48_2348
.LBB48_298:
	s_or_b64 exec, exec, s[6:7]
	s_and_saveexec_b64 s[6:7], s[4:5]
	s_cbranch_execz .LBB48_300
.LBB48_299:
	v_bfe_u32 v10, v15, 8, 3
	v_ffbh_u32_e32 v21, v10
	v_min_u32_e32 v21, 32, v21
	v_lshrrev_b16_e32 v20, 3, v14
	v_subrev_u32_e32 v22, 28, v21
	v_and_b32_e32 v20, 15, v20
	v_lshlrev_b32_e32 v14, v22, v14
	v_sub_u32_e32 v21, 29, v21
	v_and_b32_e32 v14, 7, v14
	v_cmp_eq_u16_e32 vcc, 0, v20
	v_cndmask_b32_e32 v10, v10, v14, vcc
	v_cndmask_b32_e32 v14, v20, v21, vcc
	v_lshlrev_b32_e32 v20, 16, v15
	v_mov_b32_e32 v21, 0x3b800000
	v_lshlrev_b32_e32 v10, 20, v10
	v_and_b32_e32 v20, 0x80000000, v20
	v_lshl_add_u32 v14, v14, 23, v21
	v_or3_b32 v10, v20, v14, v10
.LBB48_300:
	s_or_b64 exec, exec, s[6:7]
	v_lshrrev_b32_e32 v14, 8, v11
	s_movk_i32 s4, 0x7f
	v_cmp_gt_i16_sdwa s[6:7], v14, s4 src0_sel:BYTE_0 src1_sel:DWORD
	s_mov_b64 s[4:5], 0
                                        ; implicit-def: $sgpr10
	s_and_saveexec_b64 s[8:9], s[6:7]
	s_xor_b64 s[6:7], exec, s[8:9]
	s_cbranch_execnz .LBB48_2349
; %bb.301:
	s_or_saveexec_b64 s[6:7], s[6:7]
	v_mov_b32_e32 v20, s10
	s_xor_b64 exec, exec, s[6:7]
	s_cbranch_execnz .LBB48_2352
.LBB48_302:
	s_or_b64 exec, exec, s[6:7]
	s_and_saveexec_b64 s[6:7], s[4:5]
	s_cbranch_execz .LBB48_304
.LBB48_303:
	v_bfe_u32 v20, v11, 8, 3
	v_ffbh_u32_e32 v22, v20
	v_min_u32_e32 v22, 32, v22
	v_lshrrev_b16_e32 v21, 3, v14
	v_subrev_u32_e32 v23, 28, v22
	v_and_b32_e32 v21, 15, v21
	v_lshlrev_b32_e32 v14, v23, v14
	v_sub_u32_e32 v22, 29, v22
	v_and_b32_e32 v14, 7, v14
	v_cmp_eq_u16_e32 vcc, 0, v21
	v_cndmask_b32_e32 v14, v20, v14, vcc
	v_cndmask_b32_e32 v20, v21, v22, vcc
	v_lshlrev_b32_e32 v21, 16, v11
	v_mov_b32_e32 v22, 0x3b800000
	v_lshlrev_b32_e32 v14, 20, v14
	v_and_b32_e32 v21, 0x80000000, v21
	v_lshl_add_u32 v20, v20, 23, v22
	v_or3_b32 v20, v21, v20, v14
.LBB48_304:
	s_or_b64 exec, exec, s[6:7]
	s_nop 0
	v_mfma_f32_16x16x4f32 a[0:3], v10, v20, a[0:3]
	s_movk_i32 s4, 0xff
	v_and_b32_sdwa v14, v15, s4 dst_sel:DWORD dst_unused:UNUSED_PAD src0_sel:WORD_1 src1_sel:DWORD
	s_movk_i32 s4, 0x7f
	v_cmp_lt_i16_e32 vcc, s4, v14
	s_mov_b64 s[4:5], 0
                                        ; implicit-def: $sgpr10
	s_and_saveexec_b64 s[6:7], vcc
	s_xor_b64 s[6:7], exec, s[6:7]
	s_cbranch_execnz .LBB48_2353
; %bb.305:
	s_or_saveexec_b64 s[6:7], s[6:7]
	v_mov_b32_e32 v10, s10
	s_xor_b64 exec, exec, s[6:7]
	s_cbranch_execnz .LBB48_2356
.LBB48_306:
	s_or_b64 exec, exec, s[6:7]
	s_and_saveexec_b64 s[6:7], s[4:5]
	s_cbranch_execz .LBB48_308
.LBB48_307:
	v_bfe_u32 v10, v15, 16, 3
	v_ffbh_u32_e32 v21, v10
	v_min_u32_e32 v21, 32, v21
	v_lshrrev_b32_e32 v14, 19, v15
	v_subrev_u32_e32 v22, 28, v21
	v_and_b32_e32 v14, 15, v14
	v_lshlrev_b32_sdwa v22, v22, v15 dst_sel:DWORD dst_unused:UNUSED_PAD src0_sel:DWORD src1_sel:WORD_1
	v_bfe_u32 v20, v15, 19, 4
	v_sub_u32_e32 v21, 29, v21
	v_and_b32_e32 v22, 7, v22
	v_cmp_eq_u16_e32 vcc, 0, v14
	v_cndmask_b32_e32 v10, v10, v22, vcc
	v_cndmask_b32_e32 v14, v20, v21, vcc
	v_lshlrev_b32_e32 v20, 8, v15
	v_mov_b32_e32 v21, 0x3b800000
	v_lshlrev_b32_e32 v10, 20, v10
	v_and_b32_e32 v20, 0x80000000, v20
	v_lshl_add_u32 v14, v14, 23, v21
	v_or3_b32 v10, v20, v14, v10
.LBB48_308:
	s_or_b64 exec, exec, s[6:7]
	s_movk_i32 s4, 0xff
	v_and_b32_sdwa v14, v11, s4 dst_sel:DWORD dst_unused:UNUSED_PAD src0_sel:WORD_1 src1_sel:DWORD
	s_movk_i32 s4, 0x7f
	v_cmp_lt_i16_e32 vcc, s4, v14
	s_mov_b64 s[4:5], 0
                                        ; implicit-def: $sgpr10
	s_and_saveexec_b64 s[6:7], vcc
	s_xor_b64 s[6:7], exec, s[6:7]
	s_cbranch_execnz .LBB48_2357
; %bb.309:
	s_or_saveexec_b64 s[6:7], s[6:7]
	v_mov_b32_e32 v20, s10
	s_xor_b64 exec, exec, s[6:7]
	s_cbranch_execnz .LBB48_2360
.LBB48_310:
	s_or_b64 exec, exec, s[6:7]
	s_and_saveexec_b64 s[6:7], s[4:5]
	s_cbranch_execz .LBB48_312
.LBB48_311:
	v_bfe_u32 v14, v11, 16, 3
	v_ffbh_u32_e32 v22, v14
	v_min_u32_e32 v22, 32, v22
	v_lshrrev_b32_e32 v20, 19, v11
	v_subrev_u32_e32 v23, 28, v22
	v_and_b32_e32 v20, 15, v20
	v_lshlrev_b32_sdwa v23, v23, v11 dst_sel:DWORD dst_unused:UNUSED_PAD src0_sel:DWORD src1_sel:WORD_1
	v_bfe_u32 v21, v11, 19, 4
	v_sub_u32_e32 v22, 29, v22
	v_and_b32_e32 v23, 7, v23
	v_cmp_eq_u16_e32 vcc, 0, v20
	v_cndmask_b32_e32 v14, v14, v23, vcc
	v_cndmask_b32_e32 v20, v21, v22, vcc
	v_lshlrev_b32_e32 v21, 8, v11
	v_mov_b32_e32 v22, 0x3b800000
	v_lshlrev_b32_e32 v14, 20, v14
	v_and_b32_e32 v21, 0x80000000, v21
	v_lshl_add_u32 v20, v20, 23, v22
	v_or3_b32 v20, v21, v20, v14
.LBB48_312:
	s_or_b64 exec, exec, s[6:7]
	s_nop 0
	v_mfma_f32_16x16x4f32 a[0:3], v10, v20, a[0:3]
	s_movk_i32 s4, 0x7f
	v_cmp_gt_i16_sdwa s[6:7], v15, s4 src0_sel:BYTE_3 src1_sel:DWORD
	s_mov_b64 s[4:5], 0
                                        ; implicit-def: $sgpr10
	s_and_saveexec_b64 s[8:9], s[6:7]
	s_xor_b64 s[6:7], exec, s[8:9]
	s_cbranch_execnz .LBB48_2361
; %bb.313:
	s_or_saveexec_b64 s[6:7], s[6:7]
	v_mov_b32_e32 v10, s10
	s_xor_b64 exec, exec, s[6:7]
	s_cbranch_execnz .LBB48_2364
.LBB48_314:
	s_or_b64 exec, exec, s[6:7]
	s_and_saveexec_b64 s[6:7], s[4:5]
	s_cbranch_execz .LBB48_316
.LBB48_315:
	v_bfe_u32 v10, v15, 24, 3
	v_ffbh_u32_e32 v22, v10
	v_min_u32_e32 v22, 32, v22
	v_lshrrev_b32_e32 v20, 27, v15
	v_subrev_u32_e32 v23, 28, v22
	v_and_b32_e32 v14, 0x80000000, v15
	v_and_b32_e32 v20, 15, v20
	v_bfe_u32 v21, v15, 27, 4
	v_lshlrev_b32_sdwa v15, v23, v15 dst_sel:DWORD dst_unused:UNUSED_PAD src0_sel:DWORD src1_sel:BYTE_3
	v_sub_u32_e32 v22, 29, v22
	v_and_b32_e32 v15, 7, v15
	v_cmp_eq_u16_e32 vcc, 0, v20
	v_cndmask_b32_e32 v10, v10, v15, vcc
	v_cndmask_b32_e32 v15, v21, v22, vcc
	v_mov_b32_e32 v20, 0x3b800000
	v_lshlrev_b32_e32 v10, 20, v10
	v_lshl_add_u32 v15, v15, 23, v20
	v_or3_b32 v10, v14, v15, v10
.LBB48_316:
	s_or_b64 exec, exec, s[6:7]
	s_movk_i32 s4, 0x7f
	v_cmp_gt_i16_sdwa s[6:7], v11, s4 src0_sel:BYTE_3 src1_sel:DWORD
	s_mov_b64 s[4:5], 0
                                        ; implicit-def: $sgpr10
	s_and_saveexec_b64 s[8:9], s[6:7]
	s_xor_b64 s[6:7], exec, s[8:9]
	s_cbranch_execnz .LBB48_2365
; %bb.317:
	s_or_saveexec_b64 s[6:7], s[6:7]
	v_mov_b32_e32 v14, s10
	s_xor_b64 exec, exec, s[6:7]
	s_cbranch_execnz .LBB48_2368
.LBB48_318:
	s_or_b64 exec, exec, s[6:7]
	s_and_saveexec_b64 s[6:7], s[4:5]
	s_cbranch_execz .LBB48_320
.LBB48_319:
	v_bfe_u32 v14, v11, 24, 3
	v_ffbh_u32_e32 v22, v14
	v_min_u32_e32 v22, 32, v22
	v_lshrrev_b32_e32 v20, 27, v11
	v_subrev_u32_e32 v23, 28, v22
	v_and_b32_e32 v15, 0x80000000, v11
	v_and_b32_e32 v20, 15, v20
	v_bfe_u32 v21, v11, 27, 4
	v_lshlrev_b32_sdwa v11, v23, v11 dst_sel:DWORD dst_unused:UNUSED_PAD src0_sel:DWORD src1_sel:BYTE_3
	v_sub_u32_e32 v22, 29, v22
	v_and_b32_e32 v11, 7, v11
	v_cmp_eq_u16_e32 vcc, 0, v20
	v_cndmask_b32_e32 v11, v14, v11, vcc
	v_cndmask_b32_e32 v14, v21, v22, vcc
	v_mov_b32_e32 v20, 0x3b800000
	v_lshlrev_b32_e32 v11, 20, v11
	v_lshl_add_u32 v14, v14, 23, v20
	v_or3_b32 v14, v15, v14, v11
.LBB48_320:
	s_or_b64 exec, exec, s[6:7]
	s_nop 0
	v_mfma_f32_16x16x4f32 a[0:3], v10, v14, a[0:3]
	s_movk_i32 s4, 0x7f
	v_cmp_gt_i16_sdwa s[6:7], v16, s4 src0_sel:BYTE_0 src1_sel:DWORD
	s_mov_b64 s[4:5], 0
                                        ; implicit-def: $sgpr10
	s_and_saveexec_b64 s[8:9], s[6:7]
	s_xor_b64 s[6:7], exec, s[8:9]
	s_cbranch_execnz .LBB48_2369
; %bb.321:
	s_or_saveexec_b64 s[6:7], s[6:7]
	v_mov_b32_e32 v10, s10
	s_xor_b64 exec, exec, s[6:7]
	s_cbranch_execnz .LBB48_2372
.LBB48_322:
	s_or_b64 exec, exec, s[6:7]
	s_and_saveexec_b64 s[6:7], s[4:5]
	s_cbranch_execz .LBB48_324
.LBB48_323:
	v_and_b32_e32 v10, 7, v16
	v_ffbh_u32_e32 v14, v10
	v_min_u32_e32 v14, 32, v14
	v_lshrrev_b16_e32 v11, 3, v16
	v_subrev_u32_e32 v15, 28, v14
	v_and_b32_e32 v11, 15, v11
	v_lshlrev_b32_e32 v15, v15, v16
	v_sub_u32_e32 v14, 29, v14
	v_and_b32_e32 v15, 7, v15
	v_cmp_eq_u16_e32 vcc, 0, v11
	v_cndmask_b32_e32 v10, v10, v15, vcc
	v_cndmask_b32_e32 v11, v11, v14, vcc
	v_lshlrev_b32_e32 v14, 24, v16
	v_mov_b32_e32 v15, 0x3b800000
	v_lshlrev_b32_e32 v10, 20, v10
	v_and_b32_e32 v14, 0x80000000, v14
	v_lshl_add_u32 v11, v11, 23, v15
	v_or3_b32 v10, v14, v11, v10
.LBB48_324:
	s_or_b64 exec, exec, s[6:7]
	s_movk_i32 s4, 0x7f
	v_cmp_gt_i16_sdwa s[6:7], v12, s4 src0_sel:BYTE_0 src1_sel:DWORD
	s_mov_b64 s[4:5], 0
                                        ; implicit-def: $sgpr10
	s_and_saveexec_b64 s[8:9], s[6:7]
	s_xor_b64 s[6:7], exec, s[8:9]
	s_cbranch_execnz .LBB48_2373
; %bb.325:
	s_or_saveexec_b64 s[6:7], s[6:7]
	v_mov_b32_e32 v11, s10
	s_xor_b64 exec, exec, s[6:7]
	s_cbranch_execnz .LBB48_2376
.LBB48_326:
	s_or_b64 exec, exec, s[6:7]
	s_and_saveexec_b64 s[6:7], s[4:5]
	s_cbranch_execz .LBB48_328
.LBB48_327:
	v_and_b32_e32 v11, 7, v12
	v_ffbh_u32_e32 v15, v11
	v_min_u32_e32 v15, 32, v15
	v_lshrrev_b16_e32 v14, 3, v12
	v_subrev_u32_e32 v20, 28, v15
	v_and_b32_e32 v14, 15, v14
	v_lshlrev_b32_e32 v20, v20, v12
	v_sub_u32_e32 v15, 29, v15
	v_and_b32_e32 v20, 7, v20
	v_cmp_eq_u16_e32 vcc, 0, v14
	v_cndmask_b32_e32 v11, v11, v20, vcc
	v_cndmask_b32_e32 v14, v14, v15, vcc
	v_lshlrev_b32_e32 v15, 24, v12
	v_mov_b32_e32 v20, 0x3b800000
	v_lshlrev_b32_e32 v11, 20, v11
	v_and_b32_e32 v15, 0x80000000, v15
	v_lshl_add_u32 v14, v14, 23, v20
	v_or3_b32 v11, v15, v14, v11
.LBB48_328:
	s_or_b64 exec, exec, s[6:7]
	s_nop 0
	v_mfma_f32_16x16x4f32 a[0:3], v10, v11, a[0:3]
	v_lshrrev_b32_e32 v11, 8, v16
	s_movk_i32 s4, 0x7f
	v_cmp_gt_i16_sdwa s[6:7], v11, s4 src0_sel:BYTE_0 src1_sel:DWORD
	s_mov_b64 s[4:5], 0
                                        ; implicit-def: $sgpr10
	s_and_saveexec_b64 s[8:9], s[6:7]
	s_xor_b64 s[6:7], exec, s[8:9]
	s_cbranch_execnz .LBB48_2377
; %bb.329:
	s_or_saveexec_b64 s[6:7], s[6:7]
	v_mov_b32_e32 v10, s10
	s_xor_b64 exec, exec, s[6:7]
	s_cbranch_execnz .LBB48_2380
.LBB48_330:
	s_or_b64 exec, exec, s[6:7]
	s_and_saveexec_b64 s[6:7], s[4:5]
	s_cbranch_execz .LBB48_332
.LBB48_331:
	v_bfe_u32 v10, v16, 8, 3
	v_ffbh_u32_e32 v15, v10
	v_min_u32_e32 v15, 32, v15
	v_lshrrev_b16_e32 v14, 3, v11
	v_subrev_u32_e32 v20, 28, v15
	v_and_b32_e32 v14, 15, v14
	v_lshlrev_b32_e32 v11, v20, v11
	v_sub_u32_e32 v15, 29, v15
	v_and_b32_e32 v11, 7, v11
	v_cmp_eq_u16_e32 vcc, 0, v14
	v_cndmask_b32_e32 v10, v10, v11, vcc
	v_cndmask_b32_e32 v11, v14, v15, vcc
	v_lshlrev_b32_e32 v14, 16, v16
	v_mov_b32_e32 v15, 0x3b800000
	v_lshlrev_b32_e32 v10, 20, v10
	v_and_b32_e32 v14, 0x80000000, v14
	v_lshl_add_u32 v11, v11, 23, v15
	v_or3_b32 v10, v14, v11, v10
.LBB48_332:
	s_or_b64 exec, exec, s[6:7]
	v_lshrrev_b32_e32 v11, 8, v12
	s_movk_i32 s4, 0x7f
	v_cmp_gt_i16_sdwa s[6:7], v11, s4 src0_sel:BYTE_0 src1_sel:DWORD
	s_mov_b64 s[4:5], 0
                                        ; implicit-def: $sgpr10
	s_and_saveexec_b64 s[8:9], s[6:7]
	s_xor_b64 s[6:7], exec, s[8:9]
	s_cbranch_execnz .LBB48_2381
; %bb.333:
	s_or_saveexec_b64 s[6:7], s[6:7]
	v_mov_b32_e32 v14, s10
	s_xor_b64 exec, exec, s[6:7]
	s_cbranch_execnz .LBB48_2384
.LBB48_334:
	s_or_b64 exec, exec, s[6:7]
	s_and_saveexec_b64 s[6:7], s[4:5]
	s_cbranch_execz .LBB48_336
.LBB48_335:
	v_bfe_u32 v14, v12, 8, 3
	v_ffbh_u32_e32 v20, v14
	v_min_u32_e32 v20, 32, v20
	v_lshrrev_b16_e32 v15, 3, v11
	v_subrev_u32_e32 v21, 28, v20
	v_and_b32_e32 v15, 15, v15
	v_lshlrev_b32_e32 v11, v21, v11
	v_sub_u32_e32 v20, 29, v20
	v_and_b32_e32 v11, 7, v11
	v_cmp_eq_u16_e32 vcc, 0, v15
	v_cndmask_b32_e32 v11, v14, v11, vcc
	v_cndmask_b32_e32 v14, v15, v20, vcc
	v_lshlrev_b32_e32 v15, 16, v12
	v_mov_b32_e32 v20, 0x3b800000
	v_lshlrev_b32_e32 v11, 20, v11
	v_and_b32_e32 v15, 0x80000000, v15
	v_lshl_add_u32 v14, v14, 23, v20
	v_or3_b32 v14, v15, v14, v11
.LBB48_336:
	s_or_b64 exec, exec, s[6:7]
	s_nop 0
	v_mfma_f32_16x16x4f32 a[0:3], v10, v14, a[0:3]
	s_movk_i32 s4, 0xff
	v_and_b32_sdwa v11, v16, s4 dst_sel:DWORD dst_unused:UNUSED_PAD src0_sel:WORD_1 src1_sel:DWORD
	s_movk_i32 s4, 0x7f
	v_cmp_lt_i16_e32 vcc, s4, v11
	s_mov_b64 s[4:5], 0
                                        ; implicit-def: $sgpr10
	s_and_saveexec_b64 s[6:7], vcc
	s_xor_b64 s[6:7], exec, s[6:7]
	s_cbranch_execnz .LBB48_2385
; %bb.337:
	s_or_saveexec_b64 s[6:7], s[6:7]
	v_mov_b32_e32 v10, s10
	s_xor_b64 exec, exec, s[6:7]
	s_cbranch_execnz .LBB48_2388
.LBB48_338:
	s_or_b64 exec, exec, s[6:7]
	s_and_saveexec_b64 s[6:7], s[4:5]
	s_cbranch_execz .LBB48_340
.LBB48_339:
	v_bfe_u32 v10, v16, 16, 3
	v_ffbh_u32_e32 v15, v10
	v_min_u32_e32 v15, 32, v15
	v_lshrrev_b32_e32 v11, 19, v16
	v_subrev_u32_e32 v20, 28, v15
	v_and_b32_e32 v11, 15, v11
	v_lshlrev_b32_sdwa v20, v20, v16 dst_sel:DWORD dst_unused:UNUSED_PAD src0_sel:DWORD src1_sel:WORD_1
	v_bfe_u32 v14, v16, 19, 4
	v_sub_u32_e32 v15, 29, v15
	v_and_b32_e32 v20, 7, v20
	v_cmp_eq_u16_e32 vcc, 0, v11
	v_cndmask_b32_e32 v10, v10, v20, vcc
	v_cndmask_b32_e32 v11, v14, v15, vcc
	v_lshlrev_b32_e32 v14, 8, v16
	v_mov_b32_e32 v15, 0x3b800000
	v_lshlrev_b32_e32 v10, 20, v10
	v_and_b32_e32 v14, 0x80000000, v14
	v_lshl_add_u32 v11, v11, 23, v15
	v_or3_b32 v10, v14, v11, v10
.LBB48_340:
	s_or_b64 exec, exec, s[6:7]
	s_movk_i32 s4, 0xff
	v_and_b32_sdwa v11, v12, s4 dst_sel:DWORD dst_unused:UNUSED_PAD src0_sel:WORD_1 src1_sel:DWORD
	s_movk_i32 s4, 0x7f
	v_cmp_lt_i16_e32 vcc, s4, v11
	s_mov_b64 s[4:5], 0
                                        ; implicit-def: $sgpr10
	s_and_saveexec_b64 s[6:7], vcc
	s_xor_b64 s[6:7], exec, s[6:7]
	s_cbranch_execnz .LBB48_2389
; %bb.341:
	s_or_saveexec_b64 s[6:7], s[6:7]
	v_mov_b32_e32 v14, s10
	s_xor_b64 exec, exec, s[6:7]
	s_cbranch_execnz .LBB48_2392
.LBB48_342:
	s_or_b64 exec, exec, s[6:7]
	s_and_saveexec_b64 s[6:7], s[4:5]
	s_cbranch_execz .LBB48_344
.LBB48_343:
	v_bfe_u32 v11, v12, 16, 3
	v_ffbh_u32_e32 v20, v11
	v_min_u32_e32 v20, 32, v20
	v_lshrrev_b32_e32 v14, 19, v12
	v_subrev_u32_e32 v21, 28, v20
	v_and_b32_e32 v14, 15, v14
	v_lshlrev_b32_sdwa v21, v21, v12 dst_sel:DWORD dst_unused:UNUSED_PAD src0_sel:DWORD src1_sel:WORD_1
	v_bfe_u32 v15, v12, 19, 4
	v_sub_u32_e32 v20, 29, v20
	v_and_b32_e32 v21, 7, v21
	v_cmp_eq_u16_e32 vcc, 0, v14
	v_cndmask_b32_e32 v11, v11, v21, vcc
	v_cndmask_b32_e32 v14, v15, v20, vcc
	v_lshlrev_b32_e32 v15, 8, v12
	v_mov_b32_e32 v20, 0x3b800000
	v_lshlrev_b32_e32 v11, 20, v11
	v_and_b32_e32 v15, 0x80000000, v15
	v_lshl_add_u32 v14, v14, 23, v20
	v_or3_b32 v14, v15, v14, v11
.LBB48_344:
	s_or_b64 exec, exec, s[6:7]
	s_nop 0
	v_mfma_f32_16x16x4f32 a[0:3], v10, v14, a[0:3]
	s_movk_i32 s4, 0x7f
	v_cmp_gt_i16_sdwa s[6:7], v16, s4 src0_sel:BYTE_3 src1_sel:DWORD
	s_mov_b64 s[4:5], 0
                                        ; implicit-def: $sgpr10
	s_and_saveexec_b64 s[8:9], s[6:7]
	s_xor_b64 s[6:7], exec, s[8:9]
	s_cbranch_execnz .LBB48_2393
; %bb.345:
	s_or_saveexec_b64 s[6:7], s[6:7]
	v_mov_b32_e32 v10, s10
	s_xor_b64 exec, exec, s[6:7]
	s_cbranch_execnz .LBB48_2396
.LBB48_346:
	s_or_b64 exec, exec, s[6:7]
	s_and_saveexec_b64 s[6:7], s[4:5]
	s_cbranch_execz .LBB48_348
.LBB48_347:
	v_bfe_u32 v10, v16, 24, 3
	v_ffbh_u32_e32 v20, v10
	v_min_u32_e32 v20, 32, v20
	v_lshrrev_b32_e32 v14, 27, v16
	v_subrev_u32_e32 v21, 28, v20
	v_and_b32_e32 v11, 0x80000000, v16
	v_and_b32_e32 v14, 15, v14
	v_bfe_u32 v15, v16, 27, 4
	v_lshlrev_b32_sdwa v16, v21, v16 dst_sel:DWORD dst_unused:UNUSED_PAD src0_sel:DWORD src1_sel:BYTE_3
	v_sub_u32_e32 v20, 29, v20
	v_and_b32_e32 v16, 7, v16
	v_cmp_eq_u16_e32 vcc, 0, v14
	v_cndmask_b32_e32 v10, v10, v16, vcc
	v_cndmask_b32_e32 v14, v15, v20, vcc
	v_mov_b32_e32 v15, 0x3b800000
	v_lshlrev_b32_e32 v10, 20, v10
	v_lshl_add_u32 v14, v14, 23, v15
	v_or3_b32 v10, v11, v14, v10
.LBB48_348:
	s_or_b64 exec, exec, s[6:7]
	s_movk_i32 s4, 0x7f
	v_cmp_gt_i16_sdwa s[6:7], v12, s4 src0_sel:BYTE_3 src1_sel:DWORD
	s_mov_b64 s[4:5], 0
                                        ; implicit-def: $sgpr10
	s_and_saveexec_b64 s[8:9], s[6:7]
	s_xor_b64 s[6:7], exec, s[8:9]
	s_cbranch_execnz .LBB48_2397
; %bb.349:
	s_or_saveexec_b64 s[6:7], s[6:7]
	v_mov_b32_e32 v11, s10
	s_xor_b64 exec, exec, s[6:7]
	s_cbranch_execnz .LBB48_2400
.LBB48_350:
	s_or_b64 exec, exec, s[6:7]
	s_and_saveexec_b64 s[6:7], s[4:5]
	s_cbranch_execz .LBB48_352
.LBB48_351:
	v_bfe_u32 v11, v12, 24, 3
	v_ffbh_u32_e32 v20, v11
	v_min_u32_e32 v20, 32, v20
	v_lshrrev_b32_e32 v15, 27, v12
	v_subrev_u32_e32 v21, 28, v20
	v_and_b32_e32 v14, 0x80000000, v12
	v_and_b32_e32 v15, 15, v15
	v_bfe_u32 v16, v12, 27, 4
	v_lshlrev_b32_sdwa v12, v21, v12 dst_sel:DWORD dst_unused:UNUSED_PAD src0_sel:DWORD src1_sel:BYTE_3
	v_sub_u32_e32 v20, 29, v20
	v_and_b32_e32 v12, 7, v12
	v_cmp_eq_u16_e32 vcc, 0, v15
	v_cndmask_b32_e32 v11, v11, v12, vcc
	v_cndmask_b32_e32 v12, v16, v20, vcc
	v_mov_b32_e32 v15, 0x3b800000
	v_lshlrev_b32_e32 v11, 20, v11
	v_lshl_add_u32 v12, v12, 23, v15
	v_or3_b32 v11, v14, v12, v11
.LBB48_352:
	s_or_b64 exec, exec, s[6:7]
	s_nop 0
	v_mfma_f32_16x16x4f32 a[0:3], v10, v11, a[0:3]
	s_movk_i32 s4, 0x7f
	v_cmp_gt_i16_sdwa s[6:7], v17, s4 src0_sel:BYTE_0 src1_sel:DWORD
	s_mov_b64 s[4:5], 0
                                        ; implicit-def: $sgpr10
	s_and_saveexec_b64 s[8:9], s[6:7]
	s_xor_b64 s[6:7], exec, s[8:9]
	s_cbranch_execnz .LBB48_2401
; %bb.353:
	s_or_saveexec_b64 s[6:7], s[6:7]
	v_mov_b32_e32 v10, s10
	s_xor_b64 exec, exec, s[6:7]
	s_cbranch_execnz .LBB48_2404
.LBB48_354:
	s_or_b64 exec, exec, s[6:7]
	s_and_saveexec_b64 s[6:7], s[4:5]
	s_cbranch_execz .LBB48_356
.LBB48_355:
	v_and_b32_e32 v10, 7, v17
	v_ffbh_u32_e32 v12, v10
	v_min_u32_e32 v12, 32, v12
	v_lshrrev_b16_e32 v11, 3, v17
	v_subrev_u32_e32 v14, 28, v12
	v_and_b32_e32 v11, 15, v11
	v_lshlrev_b32_e32 v14, v14, v17
	v_sub_u32_e32 v12, 29, v12
	v_and_b32_e32 v14, 7, v14
	v_cmp_eq_u16_e32 vcc, 0, v11
	v_cndmask_b32_e32 v10, v10, v14, vcc
	v_cndmask_b32_e32 v11, v11, v12, vcc
	v_lshlrev_b32_e32 v12, 24, v17
	v_mov_b32_e32 v14, 0x3b800000
	v_lshlrev_b32_e32 v10, 20, v10
	v_and_b32_e32 v12, 0x80000000, v12
	v_lshl_add_u32 v11, v11, 23, v14
	v_or3_b32 v10, v12, v11, v10
.LBB48_356:
	s_or_b64 exec, exec, s[6:7]
	s_movk_i32 s4, 0x7f
	v_cmp_gt_i16_sdwa s[6:7], v13, s4 src0_sel:BYTE_0 src1_sel:DWORD
	s_mov_b64 s[4:5], 0
                                        ; implicit-def: $sgpr10
	s_and_saveexec_b64 s[8:9], s[6:7]
	s_xor_b64 s[6:7], exec, s[8:9]
	s_cbranch_execnz .LBB48_2405
; %bb.357:
	s_or_saveexec_b64 s[6:7], s[6:7]
	v_mov_b32_e32 v11, s10
	s_xor_b64 exec, exec, s[6:7]
	s_cbranch_execnz .LBB48_2408
.LBB48_358:
	s_or_b64 exec, exec, s[6:7]
	s_and_saveexec_b64 s[6:7], s[4:5]
	s_cbranch_execz .LBB48_360
.LBB48_359:
	v_and_b32_e32 v11, 7, v13
	v_ffbh_u32_e32 v14, v11
	v_min_u32_e32 v14, 32, v14
	v_lshrrev_b16_e32 v12, 3, v13
	v_subrev_u32_e32 v15, 28, v14
	v_and_b32_e32 v12, 15, v12
	v_lshlrev_b32_e32 v15, v15, v13
	v_sub_u32_e32 v14, 29, v14
	v_and_b32_e32 v15, 7, v15
	v_cmp_eq_u16_e32 vcc, 0, v12
	v_cndmask_b32_e32 v11, v11, v15, vcc
	v_cndmask_b32_e32 v12, v12, v14, vcc
	v_lshlrev_b32_e32 v14, 24, v13
	v_mov_b32_e32 v15, 0x3b800000
	v_lshlrev_b32_e32 v11, 20, v11
	v_and_b32_e32 v14, 0x80000000, v14
	v_lshl_add_u32 v12, v12, 23, v15
	v_or3_b32 v11, v14, v12, v11
.LBB48_360:
	s_or_b64 exec, exec, s[6:7]
	s_nop 0
	v_mfma_f32_16x16x4f32 a[0:3], v10, v11, a[0:3]
	v_lshrrev_b32_e32 v11, 8, v17
	s_movk_i32 s4, 0x7f
	v_cmp_gt_i16_sdwa s[6:7], v11, s4 src0_sel:BYTE_0 src1_sel:DWORD
	s_mov_b64 s[4:5], 0
                                        ; implicit-def: $sgpr10
	s_and_saveexec_b64 s[8:9], s[6:7]
	s_xor_b64 s[6:7], exec, s[8:9]
	s_cbranch_execnz .LBB48_2409
; %bb.361:
	s_or_saveexec_b64 s[6:7], s[6:7]
	v_mov_b32_e32 v10, s10
	s_xor_b64 exec, exec, s[6:7]
	s_cbranch_execnz .LBB48_2412
.LBB48_362:
	s_or_b64 exec, exec, s[6:7]
	s_and_saveexec_b64 s[6:7], s[4:5]
	s_cbranch_execz .LBB48_364
.LBB48_363:
	v_bfe_u32 v10, v17, 8, 3
	v_ffbh_u32_e32 v14, v10
	v_min_u32_e32 v14, 32, v14
	v_lshrrev_b16_e32 v12, 3, v11
	v_subrev_u32_e32 v15, 28, v14
	v_and_b32_e32 v12, 15, v12
	v_lshlrev_b32_e32 v11, v15, v11
	v_sub_u32_e32 v14, 29, v14
	v_and_b32_e32 v11, 7, v11
	v_cmp_eq_u16_e32 vcc, 0, v12
	v_cndmask_b32_e32 v10, v10, v11, vcc
	v_cndmask_b32_e32 v11, v12, v14, vcc
	v_lshlrev_b32_e32 v12, 16, v17
	v_mov_b32_e32 v14, 0x3b800000
	v_lshlrev_b32_e32 v10, 20, v10
	v_and_b32_e32 v12, 0x80000000, v12
	v_lshl_add_u32 v11, v11, 23, v14
	v_or3_b32 v10, v12, v11, v10
.LBB48_364:
	s_or_b64 exec, exec, s[6:7]
	v_lshrrev_b32_e32 v11, 8, v13
	s_movk_i32 s4, 0x7f
	v_cmp_gt_i16_sdwa s[6:7], v11, s4 src0_sel:BYTE_0 src1_sel:DWORD
	s_mov_b64 s[4:5], 0
                                        ; implicit-def: $sgpr10
	s_and_saveexec_b64 s[8:9], s[6:7]
	s_xor_b64 s[6:7], exec, s[8:9]
	s_cbranch_execnz .LBB48_2413
; %bb.365:
	s_or_saveexec_b64 s[6:7], s[6:7]
	v_mov_b32_e32 v12, s10
	s_xor_b64 exec, exec, s[6:7]
	s_cbranch_execnz .LBB48_2416
.LBB48_366:
	s_or_b64 exec, exec, s[6:7]
	s_and_saveexec_b64 s[6:7], s[4:5]
	s_cbranch_execz .LBB48_368
.LBB48_367:
	v_bfe_u32 v12, v13, 8, 3
	v_ffbh_u32_e32 v15, v12
	v_min_u32_e32 v15, 32, v15
	v_lshrrev_b16_e32 v14, 3, v11
	v_subrev_u32_e32 v16, 28, v15
	v_and_b32_e32 v14, 15, v14
	v_lshlrev_b32_e32 v11, v16, v11
	v_sub_u32_e32 v15, 29, v15
	v_and_b32_e32 v11, 7, v11
	v_cmp_eq_u16_e32 vcc, 0, v14
	v_cndmask_b32_e32 v11, v12, v11, vcc
	v_cndmask_b32_e32 v12, v14, v15, vcc
	v_lshlrev_b32_e32 v14, 16, v13
	v_mov_b32_e32 v15, 0x3b800000
	v_lshlrev_b32_e32 v11, 20, v11
	v_and_b32_e32 v14, 0x80000000, v14
	v_lshl_add_u32 v12, v12, 23, v15
	v_or3_b32 v12, v14, v12, v11
.LBB48_368:
	s_or_b64 exec, exec, s[6:7]
	s_nop 0
	v_mfma_f32_16x16x4f32 a[0:3], v10, v12, a[0:3]
	s_movk_i32 s4, 0xff
	v_and_b32_sdwa v11, v17, s4 dst_sel:DWORD dst_unused:UNUSED_PAD src0_sel:WORD_1 src1_sel:DWORD
	s_movk_i32 s4, 0x7f
	v_cmp_lt_i16_e32 vcc, s4, v11
	s_mov_b64 s[4:5], 0
                                        ; implicit-def: $sgpr10
	s_and_saveexec_b64 s[6:7], vcc
	s_xor_b64 s[6:7], exec, s[6:7]
	s_cbranch_execnz .LBB48_2417
; %bb.369:
	s_or_saveexec_b64 s[6:7], s[6:7]
	v_mov_b32_e32 v10, s10
	s_xor_b64 exec, exec, s[6:7]
	s_cbranch_execnz .LBB48_2420
.LBB48_370:
	s_or_b64 exec, exec, s[6:7]
	s_and_saveexec_b64 s[6:7], s[4:5]
	s_cbranch_execz .LBB48_372
.LBB48_371:
	v_bfe_u32 v10, v17, 16, 3
	v_ffbh_u32_e32 v14, v10
	v_min_u32_e32 v14, 32, v14
	v_lshrrev_b32_e32 v11, 19, v17
	v_subrev_u32_e32 v15, 28, v14
	v_and_b32_e32 v11, 15, v11
	v_lshlrev_b32_sdwa v15, v15, v17 dst_sel:DWORD dst_unused:UNUSED_PAD src0_sel:DWORD src1_sel:WORD_1
	v_bfe_u32 v12, v17, 19, 4
	v_sub_u32_e32 v14, 29, v14
	v_and_b32_e32 v15, 7, v15
	v_cmp_eq_u16_e32 vcc, 0, v11
	v_cndmask_b32_e32 v10, v10, v15, vcc
	v_cndmask_b32_e32 v11, v12, v14, vcc
	v_lshlrev_b32_e32 v12, 8, v17
	v_mov_b32_e32 v14, 0x3b800000
	v_lshlrev_b32_e32 v10, 20, v10
	v_and_b32_e32 v12, 0x80000000, v12
	v_lshl_add_u32 v11, v11, 23, v14
	v_or3_b32 v10, v12, v11, v10
.LBB48_372:
	s_or_b64 exec, exec, s[6:7]
	s_movk_i32 s4, 0xff
	v_and_b32_sdwa v11, v13, s4 dst_sel:DWORD dst_unused:UNUSED_PAD src0_sel:WORD_1 src1_sel:DWORD
	s_movk_i32 s4, 0x7f
	v_cmp_lt_i16_e32 vcc, s4, v11
	s_mov_b64 s[4:5], 0
                                        ; implicit-def: $sgpr10
	s_and_saveexec_b64 s[6:7], vcc
	s_xor_b64 s[6:7], exec, s[6:7]
	s_cbranch_execnz .LBB48_2421
; %bb.373:
	s_or_saveexec_b64 s[6:7], s[6:7]
	v_mov_b32_e32 v12, s10
	s_xor_b64 exec, exec, s[6:7]
	s_cbranch_execnz .LBB48_2424
.LBB48_374:
	s_or_b64 exec, exec, s[6:7]
	s_and_saveexec_b64 s[6:7], s[4:5]
	s_cbranch_execz .LBB48_376
.LBB48_375:
	v_bfe_u32 v11, v13, 16, 3
	v_ffbh_u32_e32 v15, v11
	v_min_u32_e32 v15, 32, v15
	v_lshrrev_b32_e32 v12, 19, v13
	v_subrev_u32_e32 v16, 28, v15
	v_and_b32_e32 v12, 15, v12
	v_lshlrev_b32_sdwa v16, v16, v13 dst_sel:DWORD dst_unused:UNUSED_PAD src0_sel:DWORD src1_sel:WORD_1
	v_bfe_u32 v14, v13, 19, 4
	v_sub_u32_e32 v15, 29, v15
	v_and_b32_e32 v16, 7, v16
	v_cmp_eq_u16_e32 vcc, 0, v12
	v_cndmask_b32_e32 v11, v11, v16, vcc
	v_cndmask_b32_e32 v12, v14, v15, vcc
	v_lshlrev_b32_e32 v14, 8, v13
	v_mov_b32_e32 v15, 0x3b800000
	v_lshlrev_b32_e32 v11, 20, v11
	v_and_b32_e32 v14, 0x80000000, v14
	v_lshl_add_u32 v12, v12, 23, v15
	v_or3_b32 v12, v14, v12, v11
.LBB48_376:
	s_or_b64 exec, exec, s[6:7]
	s_nop 0
	v_mfma_f32_16x16x4f32 a[0:3], v10, v12, a[0:3]
	s_movk_i32 s4, 0x7f
	v_cmp_gt_i16_sdwa s[6:7], v17, s4 src0_sel:BYTE_3 src1_sel:DWORD
	s_mov_b64 s[4:5], 0
                                        ; implicit-def: $sgpr10
	s_and_saveexec_b64 s[8:9], s[6:7]
	s_xor_b64 s[6:7], exec, s[8:9]
	s_cbranch_execnz .LBB48_2425
; %bb.377:
	s_or_saveexec_b64 s[6:7], s[6:7]
	v_mov_b32_e32 v10, s10
	s_xor_b64 exec, exec, s[6:7]
	s_cbranch_execnz .LBB48_2428
.LBB48_378:
	s_or_b64 exec, exec, s[6:7]
	s_and_saveexec_b64 s[6:7], s[4:5]
	s_cbranch_execz .LBB48_380
.LBB48_379:
	v_bfe_u32 v10, v17, 24, 3
	v_ffbh_u32_e32 v15, v10
	v_min_u32_e32 v15, 32, v15
	v_lshrrev_b32_e32 v12, 27, v17
	v_subrev_u32_e32 v16, 28, v15
	v_and_b32_e32 v12, 15, v12
	v_lshlrev_b32_sdwa v16, v16, v17 dst_sel:DWORD dst_unused:UNUSED_PAD src0_sel:DWORD src1_sel:BYTE_3
	v_bfe_u32 v14, v17, 27, 4
	v_sub_u32_e32 v15, 29, v15
	v_and_b32_e32 v16, 7, v16
	v_cmp_eq_u16_e32 vcc, 0, v12
	v_cndmask_b32_e32 v10, v10, v16, vcc
	v_cndmask_b32_e32 v12, v14, v15, vcc
	v_mov_b32_e32 v14, 0x3b800000
	v_and_b32_e32 v11, 0x80000000, v17
	v_lshlrev_b32_e32 v10, 20, v10
	v_lshl_add_u32 v12, v12, 23, v14
	v_or3_b32 v10, v11, v12, v10
.LBB48_380:
	s_or_b64 exec, exec, s[6:7]
	s_movk_i32 s4, 0x7f
	v_cmp_gt_i16_sdwa s[6:7], v13, s4 src0_sel:BYTE_3 src1_sel:DWORD
	s_mov_b64 s[4:5], 0
                                        ; implicit-def: $sgpr10
	s_and_saveexec_b64 s[8:9], s[6:7]
	s_xor_b64 s[6:7], exec, s[8:9]
	s_cbranch_execnz .LBB48_2429
; %bb.381:
	s_or_saveexec_b64 s[6:7], s[6:7]
	v_mov_b32_e32 v11, s10
	s_xor_b64 exec, exec, s[6:7]
	s_cbranch_execnz .LBB48_2432
.LBB48_382:
	s_or_b64 exec, exec, s[6:7]
	s_and_saveexec_b64 s[6:7], s[4:5]
	s_cbranch_execz .LBB48_384
.LBB48_383:
	v_bfe_u32 v11, v13, 24, 3
	v_ffbh_u32_e32 v16, v11
	v_min_u32_e32 v16, 32, v16
	v_lshrrev_b32_e32 v14, 27, v13
	v_subrev_u32_e32 v17, 28, v16
	v_and_b32_e32 v12, 0x80000000, v13
	v_and_b32_e32 v14, 15, v14
	v_bfe_u32 v15, v13, 27, 4
	v_lshlrev_b32_sdwa v13, v17, v13 dst_sel:DWORD dst_unused:UNUSED_PAD src0_sel:DWORD src1_sel:BYTE_3
	v_sub_u32_e32 v16, 29, v16
	v_and_b32_e32 v13, 7, v13
	v_cmp_eq_u16_e32 vcc, 0, v14
	v_cndmask_b32_e32 v11, v11, v13, vcc
	v_cndmask_b32_e32 v13, v15, v16, vcc
	v_mov_b32_e32 v14, 0x3b800000
	v_lshlrev_b32_e32 v11, 20, v11
	v_lshl_add_u32 v13, v13, 23, v14
	v_or3_b32 v11, v12, v13, v11
.LBB48_384:
	s_or_b64 exec, exec, s[6:7]
	s_nop 0
	v_mfma_f32_16x16x4f32 a[0:3], v10, v11, a[0:3]
	s_movk_i32 s4, 0x7f
	v_cmp_gt_i16_sdwa s[6:7], v6, s4 src0_sel:BYTE_0 src1_sel:DWORD
	s_mov_b64 s[4:5], 0
                                        ; implicit-def: $sgpr10
	s_and_saveexec_b64 s[8:9], s[6:7]
	s_xor_b64 s[6:7], exec, s[8:9]
	s_cbranch_execnz .LBB48_2433
; %bb.385:
	s_or_saveexec_b64 s[6:7], s[6:7]
	v_mov_b32_e32 v10, s10
	s_xor_b64 exec, exec, s[6:7]
	s_cbranch_execnz .LBB48_2436
.LBB48_386:
	s_or_b64 exec, exec, s[6:7]
	s_and_saveexec_b64 s[6:7], s[4:5]
	s_cbranch_execz .LBB48_388
.LBB48_387:
	v_and_b32_e32 v10, 7, v6
	v_ffbh_u32_e32 v12, v10
	v_min_u32_e32 v12, 32, v12
	v_lshrrev_b16_e32 v11, 3, v6
	v_subrev_u32_e32 v13, 28, v12
	v_and_b32_e32 v11, 15, v11
	v_lshlrev_b32_e32 v13, v13, v6
	v_sub_u32_e32 v12, 29, v12
	v_and_b32_e32 v13, 7, v13
	v_cmp_eq_u16_e32 vcc, 0, v11
	v_cndmask_b32_e32 v10, v10, v13, vcc
	v_cndmask_b32_e32 v11, v11, v12, vcc
	v_lshlrev_b32_e32 v12, 24, v6
	v_mov_b32_e32 v13, 0x3b800000
	v_lshlrev_b32_e32 v10, 20, v10
	v_and_b32_e32 v12, 0x80000000, v12
	v_lshl_add_u32 v11, v11, 23, v13
	v_or3_b32 v10, v12, v11, v10
.LBB48_388:
	s_or_b64 exec, exec, s[6:7]
	s_movk_i32 s4, 0x7f
	v_cmp_gt_i16_sdwa s[6:7], v2, s4 src0_sel:BYTE_0 src1_sel:DWORD
	s_mov_b64 s[4:5], 0
                                        ; implicit-def: $sgpr10
	s_and_saveexec_b64 s[8:9], s[6:7]
	s_xor_b64 s[6:7], exec, s[8:9]
	s_cbranch_execnz .LBB48_2437
; %bb.389:
	s_or_saveexec_b64 s[6:7], s[6:7]
	v_mov_b32_e32 v11, s10
	s_xor_b64 exec, exec, s[6:7]
	s_cbranch_execnz .LBB48_2440
.LBB48_390:
	s_or_b64 exec, exec, s[6:7]
	s_and_saveexec_b64 s[6:7], s[4:5]
	s_cbranch_execz .LBB48_392
.LBB48_391:
	v_and_b32_e32 v11, 7, v2
	v_ffbh_u32_e32 v13, v11
	v_min_u32_e32 v13, 32, v13
	v_lshrrev_b16_e32 v12, 3, v2
	v_subrev_u32_e32 v14, 28, v13
	v_and_b32_e32 v12, 15, v12
	v_lshlrev_b32_e32 v14, v14, v2
	v_sub_u32_e32 v13, 29, v13
	v_and_b32_e32 v14, 7, v14
	v_cmp_eq_u16_e32 vcc, 0, v12
	v_cndmask_b32_e32 v11, v11, v14, vcc
	v_cndmask_b32_e32 v12, v12, v13, vcc
	v_lshlrev_b32_e32 v13, 24, v2
	v_mov_b32_e32 v14, 0x3b800000
	v_lshlrev_b32_e32 v11, 20, v11
	v_and_b32_e32 v13, 0x80000000, v13
	v_lshl_add_u32 v12, v12, 23, v14
	v_or3_b32 v11, v13, v12, v11
.LBB48_392:
	s_or_b64 exec, exec, s[6:7]
	s_nop 0
	v_mfma_f32_16x16x4f32 a[0:3], v10, v11, a[0:3]
	v_lshrrev_b32_e32 v11, 8, v6
	s_movk_i32 s4, 0x7f
	v_cmp_gt_i16_sdwa s[6:7], v11, s4 src0_sel:BYTE_0 src1_sel:DWORD
	s_mov_b64 s[4:5], 0
                                        ; implicit-def: $sgpr10
	s_and_saveexec_b64 s[8:9], s[6:7]
	s_xor_b64 s[6:7], exec, s[8:9]
	s_cbranch_execnz .LBB48_2441
; %bb.393:
	s_or_saveexec_b64 s[6:7], s[6:7]
	v_mov_b32_e32 v10, s10
	s_xor_b64 exec, exec, s[6:7]
	s_cbranch_execnz .LBB48_2444
.LBB48_394:
	s_or_b64 exec, exec, s[6:7]
	s_and_saveexec_b64 s[6:7], s[4:5]
	s_cbranch_execz .LBB48_396
.LBB48_395:
	v_bfe_u32 v10, v6, 8, 3
	v_ffbh_u32_e32 v13, v10
	v_min_u32_e32 v13, 32, v13
	v_lshrrev_b16_e32 v12, 3, v11
	v_subrev_u32_e32 v14, 28, v13
	v_and_b32_e32 v12, 15, v12
	v_lshlrev_b32_e32 v11, v14, v11
	v_sub_u32_e32 v13, 29, v13
	v_and_b32_e32 v11, 7, v11
	v_cmp_eq_u16_e32 vcc, 0, v12
	v_cndmask_b32_e32 v10, v10, v11, vcc
	v_cndmask_b32_e32 v11, v12, v13, vcc
	v_lshlrev_b32_e32 v12, 16, v6
	v_mov_b32_e32 v13, 0x3b800000
	v_lshlrev_b32_e32 v10, 20, v10
	v_and_b32_e32 v12, 0x80000000, v12
	v_lshl_add_u32 v11, v11, 23, v13
	v_or3_b32 v10, v12, v11, v10
.LBB48_396:
	s_or_b64 exec, exec, s[6:7]
	v_lshrrev_b32_e32 v11, 8, v2
	s_movk_i32 s4, 0x7f
	v_cmp_gt_i16_sdwa s[6:7], v11, s4 src0_sel:BYTE_0 src1_sel:DWORD
	s_mov_b64 s[4:5], 0
                                        ; implicit-def: $sgpr10
	s_and_saveexec_b64 s[8:9], s[6:7]
	s_xor_b64 s[6:7], exec, s[8:9]
	s_cbranch_execnz .LBB48_2445
; %bb.397:
	s_or_saveexec_b64 s[6:7], s[6:7]
	v_mov_b32_e32 v12, s10
	s_xor_b64 exec, exec, s[6:7]
	s_cbranch_execnz .LBB48_2448
.LBB48_398:
	s_or_b64 exec, exec, s[6:7]
	s_and_saveexec_b64 s[6:7], s[4:5]
	s_cbranch_execz .LBB48_400
.LBB48_399:
	v_bfe_u32 v12, v2, 8, 3
	v_ffbh_u32_e32 v14, v12
	v_min_u32_e32 v14, 32, v14
	v_lshrrev_b16_e32 v13, 3, v11
	v_subrev_u32_e32 v15, 28, v14
	v_and_b32_e32 v13, 15, v13
	v_lshlrev_b32_e32 v11, v15, v11
	v_sub_u32_e32 v14, 29, v14
	v_and_b32_e32 v11, 7, v11
	v_cmp_eq_u16_e32 vcc, 0, v13
	v_cndmask_b32_e32 v11, v12, v11, vcc
	v_cndmask_b32_e32 v12, v13, v14, vcc
	v_lshlrev_b32_e32 v13, 16, v2
	v_mov_b32_e32 v14, 0x3b800000
	v_lshlrev_b32_e32 v11, 20, v11
	v_and_b32_e32 v13, 0x80000000, v13
	v_lshl_add_u32 v12, v12, 23, v14
	v_or3_b32 v12, v13, v12, v11
.LBB48_400:
	s_or_b64 exec, exec, s[6:7]
	s_nop 0
	v_mfma_f32_16x16x4f32 a[0:3], v10, v12, a[0:3]
	s_movk_i32 s4, 0xff
	v_and_b32_sdwa v11, v6, s4 dst_sel:DWORD dst_unused:UNUSED_PAD src0_sel:WORD_1 src1_sel:DWORD
	s_movk_i32 s4, 0x7f
	v_cmp_lt_i16_e32 vcc, s4, v11
	s_mov_b64 s[4:5], 0
                                        ; implicit-def: $sgpr10
	s_and_saveexec_b64 s[6:7], vcc
	s_xor_b64 s[6:7], exec, s[6:7]
	s_cbranch_execnz .LBB48_2449
; %bb.401:
	s_or_saveexec_b64 s[6:7], s[6:7]
	v_mov_b32_e32 v10, s10
	s_xor_b64 exec, exec, s[6:7]
	s_cbranch_execnz .LBB48_2452
.LBB48_402:
	s_or_b64 exec, exec, s[6:7]
	s_and_saveexec_b64 s[6:7], s[4:5]
	s_cbranch_execz .LBB48_404
.LBB48_403:
	v_bfe_u32 v10, v6, 16, 3
	v_ffbh_u32_e32 v13, v10
	v_min_u32_e32 v13, 32, v13
	v_lshrrev_b32_e32 v11, 19, v6
	v_subrev_u32_e32 v14, 28, v13
	v_and_b32_e32 v11, 15, v11
	v_lshlrev_b32_sdwa v14, v14, v6 dst_sel:DWORD dst_unused:UNUSED_PAD src0_sel:DWORD src1_sel:WORD_1
	v_bfe_u32 v12, v6, 19, 4
	v_sub_u32_e32 v13, 29, v13
	v_and_b32_e32 v14, 7, v14
	v_cmp_eq_u16_e32 vcc, 0, v11
	v_cndmask_b32_e32 v10, v10, v14, vcc
	v_cndmask_b32_e32 v11, v12, v13, vcc
	v_lshlrev_b32_e32 v12, 8, v6
	v_mov_b32_e32 v13, 0x3b800000
	v_lshlrev_b32_e32 v10, 20, v10
	v_and_b32_e32 v12, 0x80000000, v12
	v_lshl_add_u32 v11, v11, 23, v13
	v_or3_b32 v10, v12, v11, v10
.LBB48_404:
	s_or_b64 exec, exec, s[6:7]
	s_movk_i32 s4, 0xff
	v_and_b32_sdwa v11, v2, s4 dst_sel:DWORD dst_unused:UNUSED_PAD src0_sel:WORD_1 src1_sel:DWORD
	s_movk_i32 s4, 0x7f
	v_cmp_lt_i16_e32 vcc, s4, v11
	s_mov_b64 s[4:5], 0
                                        ; implicit-def: $sgpr10
	s_and_saveexec_b64 s[6:7], vcc
	s_xor_b64 s[6:7], exec, s[6:7]
	s_cbranch_execnz .LBB48_2453
; %bb.405:
	s_or_saveexec_b64 s[6:7], s[6:7]
	v_mov_b32_e32 v12, s10
	s_xor_b64 exec, exec, s[6:7]
	s_cbranch_execnz .LBB48_2456
.LBB48_406:
	s_or_b64 exec, exec, s[6:7]
	s_and_saveexec_b64 s[6:7], s[4:5]
	s_cbranch_execz .LBB48_408
.LBB48_407:
	v_bfe_u32 v11, v2, 16, 3
	v_ffbh_u32_e32 v14, v11
	v_min_u32_e32 v14, 32, v14
	v_lshrrev_b32_e32 v12, 19, v2
	v_subrev_u32_e32 v15, 28, v14
	v_and_b32_e32 v12, 15, v12
	v_lshlrev_b32_sdwa v15, v15, v2 dst_sel:DWORD dst_unused:UNUSED_PAD src0_sel:DWORD src1_sel:WORD_1
	v_bfe_u32 v13, v2, 19, 4
	v_sub_u32_e32 v14, 29, v14
	v_and_b32_e32 v15, 7, v15
	v_cmp_eq_u16_e32 vcc, 0, v12
	v_cndmask_b32_e32 v11, v11, v15, vcc
	v_cndmask_b32_e32 v12, v13, v14, vcc
	v_lshlrev_b32_e32 v13, 8, v2
	v_mov_b32_e32 v14, 0x3b800000
	v_lshlrev_b32_e32 v11, 20, v11
	v_and_b32_e32 v13, 0x80000000, v13
	v_lshl_add_u32 v12, v12, 23, v14
	v_or3_b32 v12, v13, v12, v11
.LBB48_408:
	s_or_b64 exec, exec, s[6:7]
	s_nop 0
	v_mfma_f32_16x16x4f32 a[0:3], v10, v12, a[0:3]
	s_movk_i32 s4, 0x7f
	v_cmp_gt_i16_sdwa s[6:7], v6, s4 src0_sel:BYTE_3 src1_sel:DWORD
	s_mov_b64 s[4:5], 0
                                        ; implicit-def: $sgpr10
	s_and_saveexec_b64 s[8:9], s[6:7]
	s_xor_b64 s[6:7], exec, s[8:9]
	s_cbranch_execnz .LBB48_2457
; %bb.409:
	s_or_saveexec_b64 s[6:7], s[6:7]
	v_mov_b32_e32 v10, s10
	s_xor_b64 exec, exec, s[6:7]
	s_cbranch_execnz .LBB48_2460
.LBB48_410:
	s_or_b64 exec, exec, s[6:7]
	s_and_saveexec_b64 s[6:7], s[4:5]
	s_cbranch_execz .LBB48_412
.LBB48_411:
	v_bfe_u32 v10, v6, 24, 3
	v_ffbh_u32_e32 v14, v10
	v_min_u32_e32 v14, 32, v14
	v_lshrrev_b32_e32 v12, 27, v6
	v_subrev_u32_e32 v15, 28, v14
	v_and_b32_e32 v11, 0x80000000, v6
	v_and_b32_e32 v12, 15, v12
	v_bfe_u32 v13, v6, 27, 4
	v_lshlrev_b32_sdwa v6, v15, v6 dst_sel:DWORD dst_unused:UNUSED_PAD src0_sel:DWORD src1_sel:BYTE_3
	v_sub_u32_e32 v14, 29, v14
	v_and_b32_e32 v6, 7, v6
	v_cmp_eq_u16_e32 vcc, 0, v12
	v_cndmask_b32_e32 v6, v10, v6, vcc
	v_cndmask_b32_e32 v10, v13, v14, vcc
	v_mov_b32_e32 v12, 0x3b800000
	v_lshlrev_b32_e32 v6, 20, v6
	v_lshl_add_u32 v10, v10, 23, v12
	v_or3_b32 v10, v11, v10, v6
.LBB48_412:
	s_or_b64 exec, exec, s[6:7]
	s_movk_i32 s4, 0x7f
	v_cmp_gt_i16_sdwa s[6:7], v2, s4 src0_sel:BYTE_3 src1_sel:DWORD
	s_mov_b64 s[4:5], 0
                                        ; implicit-def: $sgpr10
	s_and_saveexec_b64 s[8:9], s[6:7]
	s_xor_b64 s[6:7], exec, s[8:9]
	s_cbranch_execnz .LBB48_2461
; %bb.413:
	s_or_saveexec_b64 s[6:7], s[6:7]
	v_mov_b32_e32 v6, s10
	s_xor_b64 exec, exec, s[6:7]
	s_cbranch_execnz .LBB48_2464
.LBB48_414:
	s_or_b64 exec, exec, s[6:7]
	s_and_saveexec_b64 s[6:7], s[4:5]
	s_cbranch_execz .LBB48_416
.LBB48_415:
	v_bfe_u32 v6, v2, 24, 3
	v_ffbh_u32_e32 v14, v6
	v_min_u32_e32 v14, 32, v14
	v_lshrrev_b32_e32 v12, 27, v2
	v_subrev_u32_e32 v15, 28, v14
	v_and_b32_e32 v11, 0x80000000, v2
	v_and_b32_e32 v12, 15, v12
	v_bfe_u32 v13, v2, 27, 4
	v_lshlrev_b32_sdwa v2, v15, v2 dst_sel:DWORD dst_unused:UNUSED_PAD src0_sel:DWORD src1_sel:BYTE_3
	v_sub_u32_e32 v14, 29, v14
	v_and_b32_e32 v2, 7, v2
	v_cmp_eq_u16_e32 vcc, 0, v12
	v_cndmask_b32_e32 v2, v6, v2, vcc
	v_cndmask_b32_e32 v6, v13, v14, vcc
	v_mov_b32_e32 v12, 0x3b800000
	v_lshlrev_b32_e32 v2, 20, v2
	v_lshl_add_u32 v6, v6, 23, v12
	v_or3_b32 v6, v11, v6, v2
.LBB48_416:
	s_or_b64 exec, exec, s[6:7]
	s_nop 0
	v_mfma_f32_16x16x4f32 a[0:3], v10, v6, a[0:3]
	s_movk_i32 s4, 0x7f
	v_cmp_gt_i16_sdwa s[6:7], v7, s4 src0_sel:BYTE_0 src1_sel:DWORD
	s_mov_b64 s[4:5], 0
                                        ; implicit-def: $sgpr10
	s_and_saveexec_b64 s[8:9], s[6:7]
	s_xor_b64 s[6:7], exec, s[8:9]
	s_cbranch_execnz .LBB48_2465
; %bb.417:
	s_or_saveexec_b64 s[6:7], s[6:7]
	v_mov_b32_e32 v2, s10
	s_xor_b64 exec, exec, s[6:7]
	s_cbranch_execnz .LBB48_2468
.LBB48_418:
	s_or_b64 exec, exec, s[6:7]
	s_and_saveexec_b64 s[6:7], s[4:5]
	s_cbranch_execz .LBB48_420
.LBB48_419:
	v_and_b32_e32 v2, 7, v7
	v_ffbh_u32_e32 v10, v2
	v_min_u32_e32 v10, 32, v10
	v_lshrrev_b16_e32 v6, 3, v7
	v_subrev_u32_e32 v11, 28, v10
	v_and_b32_e32 v6, 15, v6
	v_lshlrev_b32_e32 v11, v11, v7
	v_sub_u32_e32 v10, 29, v10
	v_and_b32_e32 v11, 7, v11
	v_cmp_eq_u16_e32 vcc, 0, v6
	v_cndmask_b32_e32 v2, v2, v11, vcc
	v_cndmask_b32_e32 v6, v6, v10, vcc
	v_lshlrev_b32_e32 v10, 24, v7
	v_mov_b32_e32 v11, 0x3b800000
	v_lshlrev_b32_e32 v2, 20, v2
	v_and_b32_e32 v10, 0x80000000, v10
	v_lshl_add_u32 v6, v6, 23, v11
	v_or3_b32 v2, v10, v6, v2
.LBB48_420:
	s_or_b64 exec, exec, s[6:7]
	s_movk_i32 s4, 0x7f
	v_cmp_gt_i16_sdwa s[6:7], v3, s4 src0_sel:BYTE_0 src1_sel:DWORD
	s_mov_b64 s[4:5], 0
                                        ; implicit-def: $sgpr10
	s_and_saveexec_b64 s[8:9], s[6:7]
	s_xor_b64 s[6:7], exec, s[8:9]
	s_cbranch_execnz .LBB48_2469
; %bb.421:
	s_or_saveexec_b64 s[6:7], s[6:7]
	v_mov_b32_e32 v6, s10
	s_xor_b64 exec, exec, s[6:7]
	s_cbranch_execnz .LBB48_2472
.LBB48_422:
	s_or_b64 exec, exec, s[6:7]
	s_and_saveexec_b64 s[6:7], s[4:5]
	s_cbranch_execz .LBB48_424
.LBB48_423:
	v_and_b32_e32 v6, 7, v3
	v_ffbh_u32_e32 v11, v6
	v_min_u32_e32 v11, 32, v11
	v_lshrrev_b16_e32 v10, 3, v3
	v_subrev_u32_e32 v12, 28, v11
	v_and_b32_e32 v10, 15, v10
	v_lshlrev_b32_e32 v12, v12, v3
	v_sub_u32_e32 v11, 29, v11
	v_and_b32_e32 v12, 7, v12
	v_cmp_eq_u16_e32 vcc, 0, v10
	v_cndmask_b32_e32 v6, v6, v12, vcc
	v_cndmask_b32_e32 v10, v10, v11, vcc
	v_lshlrev_b32_e32 v11, 24, v3
	v_mov_b32_e32 v12, 0x3b800000
	v_lshlrev_b32_e32 v6, 20, v6
	v_and_b32_e32 v11, 0x80000000, v11
	v_lshl_add_u32 v10, v10, 23, v12
	v_or3_b32 v6, v11, v10, v6
.LBB48_424:
	s_or_b64 exec, exec, s[6:7]
	s_nop 0
	v_mfma_f32_16x16x4f32 a[0:3], v2, v6, a[0:3]
	v_lshrrev_b32_e32 v6, 8, v7
	s_movk_i32 s4, 0x7f
	v_cmp_gt_i16_sdwa s[6:7], v6, s4 src0_sel:BYTE_0 src1_sel:DWORD
	s_mov_b64 s[4:5], 0
                                        ; implicit-def: $sgpr10
	s_and_saveexec_b64 s[8:9], s[6:7]
	s_xor_b64 s[6:7], exec, s[8:9]
	s_cbranch_execnz .LBB48_2473
; %bb.425:
	s_or_saveexec_b64 s[6:7], s[6:7]
	v_mov_b32_e32 v2, s10
	s_xor_b64 exec, exec, s[6:7]
	s_cbranch_execnz .LBB48_2476
.LBB48_426:
	s_or_b64 exec, exec, s[6:7]
	s_and_saveexec_b64 s[6:7], s[4:5]
	s_cbranch_execz .LBB48_428
.LBB48_427:
	v_bfe_u32 v2, v7, 8, 3
	v_ffbh_u32_e32 v11, v2
	v_min_u32_e32 v11, 32, v11
	v_lshrrev_b16_e32 v10, 3, v6
	v_subrev_u32_e32 v12, 28, v11
	v_and_b32_e32 v10, 15, v10
	v_lshlrev_b32_e32 v6, v12, v6
	v_sub_u32_e32 v11, 29, v11
	v_and_b32_e32 v6, 7, v6
	v_cmp_eq_u16_e32 vcc, 0, v10
	v_cndmask_b32_e32 v2, v2, v6, vcc
	v_cndmask_b32_e32 v6, v10, v11, vcc
	v_lshlrev_b32_e32 v10, 16, v7
	v_mov_b32_e32 v11, 0x3b800000
	v_lshlrev_b32_e32 v2, 20, v2
	v_and_b32_e32 v10, 0x80000000, v10
	v_lshl_add_u32 v6, v6, 23, v11
	v_or3_b32 v2, v10, v6, v2
.LBB48_428:
	s_or_b64 exec, exec, s[6:7]
	v_lshrrev_b32_e32 v6, 8, v3
	s_movk_i32 s4, 0x7f
	v_cmp_gt_i16_sdwa s[6:7], v6, s4 src0_sel:BYTE_0 src1_sel:DWORD
	s_mov_b64 s[4:5], 0
                                        ; implicit-def: $sgpr10
	s_and_saveexec_b64 s[8:9], s[6:7]
	s_xor_b64 s[6:7], exec, s[8:9]
	s_cbranch_execnz .LBB48_2477
; %bb.429:
	s_or_saveexec_b64 s[6:7], s[6:7]
	v_mov_b32_e32 v10, s10
	s_xor_b64 exec, exec, s[6:7]
	s_cbranch_execnz .LBB48_2480
.LBB48_430:
	s_or_b64 exec, exec, s[6:7]
	s_and_saveexec_b64 s[6:7], s[4:5]
	s_cbranch_execz .LBB48_432
.LBB48_431:
	v_bfe_u32 v10, v3, 8, 3
	v_ffbh_u32_e32 v12, v10
	v_min_u32_e32 v12, 32, v12
	v_lshrrev_b16_e32 v11, 3, v6
	v_subrev_u32_e32 v13, 28, v12
	v_and_b32_e32 v11, 15, v11
	v_lshlrev_b32_e32 v6, v13, v6
	v_sub_u32_e32 v12, 29, v12
	v_and_b32_e32 v6, 7, v6
	v_cmp_eq_u16_e32 vcc, 0, v11
	v_cndmask_b32_e32 v6, v10, v6, vcc
	v_cndmask_b32_e32 v10, v11, v12, vcc
	v_lshlrev_b32_e32 v11, 16, v3
	v_mov_b32_e32 v12, 0x3b800000
	v_lshlrev_b32_e32 v6, 20, v6
	v_and_b32_e32 v11, 0x80000000, v11
	v_lshl_add_u32 v10, v10, 23, v12
	v_or3_b32 v10, v11, v10, v6
.LBB48_432:
	s_or_b64 exec, exec, s[6:7]
	s_nop 0
	v_mfma_f32_16x16x4f32 a[0:3], v2, v10, a[0:3]
	s_movk_i32 s4, 0xff
	v_and_b32_sdwa v6, v7, s4 dst_sel:DWORD dst_unused:UNUSED_PAD src0_sel:WORD_1 src1_sel:DWORD
	s_movk_i32 s4, 0x7f
	v_cmp_lt_i16_e32 vcc, s4, v6
	s_mov_b64 s[4:5], 0
                                        ; implicit-def: $sgpr10
	s_and_saveexec_b64 s[6:7], vcc
	s_xor_b64 s[6:7], exec, s[6:7]
	s_cbranch_execnz .LBB48_2481
; %bb.433:
	s_or_saveexec_b64 s[6:7], s[6:7]
	v_mov_b32_e32 v2, s10
	s_xor_b64 exec, exec, s[6:7]
	s_cbranch_execnz .LBB48_2484
.LBB48_434:
	s_or_b64 exec, exec, s[6:7]
	s_and_saveexec_b64 s[6:7], s[4:5]
	s_cbranch_execz .LBB48_436
.LBB48_435:
	v_bfe_u32 v2, v7, 16, 3
	v_ffbh_u32_e32 v11, v2
	v_min_u32_e32 v11, 32, v11
	v_lshrrev_b32_e32 v6, 19, v7
	v_subrev_u32_e32 v12, 28, v11
	v_and_b32_e32 v6, 15, v6
	v_lshlrev_b32_sdwa v12, v12, v7 dst_sel:DWORD dst_unused:UNUSED_PAD src0_sel:DWORD src1_sel:WORD_1
	v_bfe_u32 v10, v7, 19, 4
	v_sub_u32_e32 v11, 29, v11
	v_and_b32_e32 v12, 7, v12
	v_cmp_eq_u16_e32 vcc, 0, v6
	v_cndmask_b32_e32 v2, v2, v12, vcc
	v_cndmask_b32_e32 v6, v10, v11, vcc
	v_lshlrev_b32_e32 v10, 8, v7
	v_mov_b32_e32 v11, 0x3b800000
	v_lshlrev_b32_e32 v2, 20, v2
	v_and_b32_e32 v10, 0x80000000, v10
	v_lshl_add_u32 v6, v6, 23, v11
	v_or3_b32 v2, v10, v6, v2
.LBB48_436:
	s_or_b64 exec, exec, s[6:7]
	s_movk_i32 s4, 0xff
	v_and_b32_sdwa v6, v3, s4 dst_sel:DWORD dst_unused:UNUSED_PAD src0_sel:WORD_1 src1_sel:DWORD
	s_movk_i32 s4, 0x7f
	v_cmp_lt_i16_e32 vcc, s4, v6
	s_mov_b64 s[4:5], 0
                                        ; implicit-def: $sgpr10
	s_and_saveexec_b64 s[6:7], vcc
	s_xor_b64 s[6:7], exec, s[6:7]
	s_cbranch_execnz .LBB48_2485
; %bb.437:
	s_or_saveexec_b64 s[6:7], s[6:7]
	v_mov_b32_e32 v10, s10
	s_xor_b64 exec, exec, s[6:7]
	s_cbranch_execnz .LBB48_2488
.LBB48_438:
	s_or_b64 exec, exec, s[6:7]
	s_and_saveexec_b64 s[6:7], s[4:5]
	s_cbranch_execz .LBB48_440
.LBB48_439:
	v_bfe_u32 v6, v3, 16, 3
	v_ffbh_u32_e32 v12, v6
	v_min_u32_e32 v12, 32, v12
	v_lshrrev_b32_e32 v10, 19, v3
	v_subrev_u32_e32 v13, 28, v12
	v_and_b32_e32 v10, 15, v10
	v_lshlrev_b32_sdwa v13, v13, v3 dst_sel:DWORD dst_unused:UNUSED_PAD src0_sel:DWORD src1_sel:WORD_1
	v_bfe_u32 v11, v3, 19, 4
	v_sub_u32_e32 v12, 29, v12
	v_and_b32_e32 v13, 7, v13
	v_cmp_eq_u16_e32 vcc, 0, v10
	v_cndmask_b32_e32 v6, v6, v13, vcc
	v_cndmask_b32_e32 v10, v11, v12, vcc
	v_lshlrev_b32_e32 v11, 8, v3
	v_mov_b32_e32 v12, 0x3b800000
	v_lshlrev_b32_e32 v6, 20, v6
	v_and_b32_e32 v11, 0x80000000, v11
	v_lshl_add_u32 v10, v10, 23, v12
	v_or3_b32 v10, v11, v10, v6
.LBB48_440:
	s_or_b64 exec, exec, s[6:7]
	s_nop 0
	v_mfma_f32_16x16x4f32 a[0:3], v2, v10, a[0:3]
	s_movk_i32 s4, 0x7f
	v_cmp_gt_i16_sdwa s[6:7], v7, s4 src0_sel:BYTE_3 src1_sel:DWORD
	s_mov_b64 s[4:5], 0
                                        ; implicit-def: $sgpr10
	s_and_saveexec_b64 s[8:9], s[6:7]
	s_xor_b64 s[6:7], exec, s[8:9]
	s_cbranch_execnz .LBB48_2489
; %bb.441:
	s_or_saveexec_b64 s[6:7], s[6:7]
	v_mov_b32_e32 v2, s10
	s_xor_b64 exec, exec, s[6:7]
	s_cbranch_execnz .LBB48_2492
.LBB48_442:
	s_or_b64 exec, exec, s[6:7]
	s_and_saveexec_b64 s[6:7], s[4:5]
	s_cbranch_execz .LBB48_444
.LBB48_443:
	v_bfe_u32 v2, v7, 24, 3
	v_ffbh_u32_e32 v12, v2
	v_min_u32_e32 v12, 32, v12
	v_lshrrev_b32_e32 v10, 27, v7
	v_subrev_u32_e32 v13, 28, v12
	v_and_b32_e32 v6, 0x80000000, v7
	v_and_b32_e32 v10, 15, v10
	v_bfe_u32 v11, v7, 27, 4
	v_lshlrev_b32_sdwa v7, v13, v7 dst_sel:DWORD dst_unused:UNUSED_PAD src0_sel:DWORD src1_sel:BYTE_3
	v_sub_u32_e32 v12, 29, v12
	v_and_b32_e32 v7, 7, v7
	v_cmp_eq_u16_e32 vcc, 0, v10
	v_cndmask_b32_e32 v2, v2, v7, vcc
	v_cndmask_b32_e32 v7, v11, v12, vcc
	v_mov_b32_e32 v10, 0x3b800000
	v_lshlrev_b32_e32 v2, 20, v2
	v_lshl_add_u32 v7, v7, 23, v10
	v_or3_b32 v2, v6, v7, v2
.LBB48_444:
	s_or_b64 exec, exec, s[6:7]
	s_movk_i32 s4, 0x7f
	v_cmp_gt_i16_sdwa s[6:7], v3, s4 src0_sel:BYTE_3 src1_sel:DWORD
	s_mov_b64 s[4:5], 0
                                        ; implicit-def: $sgpr10
	s_and_saveexec_b64 s[8:9], s[6:7]
	s_xor_b64 s[6:7], exec, s[8:9]
	s_cbranch_execnz .LBB48_2493
; %bb.445:
	s_or_saveexec_b64 s[6:7], s[6:7]
	v_mov_b32_e32 v6, s10
	s_xor_b64 exec, exec, s[6:7]
	s_cbranch_execnz .LBB48_2496
.LBB48_446:
	s_or_b64 exec, exec, s[6:7]
	s_and_saveexec_b64 s[6:7], s[4:5]
	s_cbranch_execz .LBB48_448
.LBB48_447:
	v_bfe_u32 v6, v3, 24, 3
	v_ffbh_u32_e32 v12, v6
	v_min_u32_e32 v12, 32, v12
	v_lshrrev_b32_e32 v10, 27, v3
	v_subrev_u32_e32 v13, 28, v12
	v_and_b32_e32 v7, 0x80000000, v3
	v_and_b32_e32 v10, 15, v10
	v_bfe_u32 v11, v3, 27, 4
	v_lshlrev_b32_sdwa v3, v13, v3 dst_sel:DWORD dst_unused:UNUSED_PAD src0_sel:DWORD src1_sel:BYTE_3
	v_sub_u32_e32 v12, 29, v12
	v_and_b32_e32 v3, 7, v3
	v_cmp_eq_u16_e32 vcc, 0, v10
	v_cndmask_b32_e32 v3, v6, v3, vcc
	v_cndmask_b32_e32 v6, v11, v12, vcc
	v_mov_b32_e32 v10, 0x3b800000
	v_lshlrev_b32_e32 v3, 20, v3
	v_lshl_add_u32 v6, v6, 23, v10
	v_or3_b32 v6, v7, v6, v3
.LBB48_448:
	s_or_b64 exec, exec, s[6:7]
	s_nop 0
	v_mfma_f32_16x16x4f32 a[0:3], v2, v6, a[0:3]
	s_movk_i32 s4, 0x7f
	v_cmp_gt_i16_sdwa s[6:7], v8, s4 src0_sel:BYTE_0 src1_sel:DWORD
	s_mov_b64 s[4:5], 0
                                        ; implicit-def: $sgpr10
	s_and_saveexec_b64 s[8:9], s[6:7]
	s_xor_b64 s[6:7], exec, s[8:9]
	s_cbranch_execnz .LBB48_2497
; %bb.449:
	s_or_saveexec_b64 s[6:7], s[6:7]
	v_mov_b32_e32 v2, s10
	s_xor_b64 exec, exec, s[6:7]
	s_cbranch_execnz .LBB48_2500
.LBB48_450:
	s_or_b64 exec, exec, s[6:7]
	s_and_saveexec_b64 s[6:7], s[4:5]
	s_cbranch_execz .LBB48_452
.LBB48_451:
	v_and_b32_e32 v2, 7, v8
	v_ffbh_u32_e32 v6, v2
	v_min_u32_e32 v6, 32, v6
	v_lshrrev_b16_e32 v3, 3, v8
	v_subrev_u32_e32 v7, 28, v6
	v_and_b32_e32 v3, 15, v3
	v_lshlrev_b32_e32 v7, v7, v8
	v_sub_u32_e32 v6, 29, v6
	v_and_b32_e32 v7, 7, v7
	v_cmp_eq_u16_e32 vcc, 0, v3
	v_cndmask_b32_e32 v2, v2, v7, vcc
	v_cndmask_b32_e32 v3, v3, v6, vcc
	v_lshlrev_b32_e32 v6, 24, v8
	v_mov_b32_e32 v7, 0x3b800000
	v_lshlrev_b32_e32 v2, 20, v2
	v_and_b32_e32 v6, 0x80000000, v6
	v_lshl_add_u32 v3, v3, 23, v7
	v_or3_b32 v2, v6, v3, v2
.LBB48_452:
	s_or_b64 exec, exec, s[6:7]
	s_movk_i32 s4, 0x7f
	v_cmp_gt_i16_sdwa s[6:7], v4, s4 src0_sel:BYTE_0 src1_sel:DWORD
	s_mov_b64 s[4:5], 0
                                        ; implicit-def: $sgpr10
	s_and_saveexec_b64 s[8:9], s[6:7]
	s_xor_b64 s[6:7], exec, s[8:9]
	s_cbranch_execnz .LBB48_2501
; %bb.453:
	s_or_saveexec_b64 s[6:7], s[6:7]
	v_mov_b32_e32 v3, s10
	s_xor_b64 exec, exec, s[6:7]
	s_cbranch_execnz .LBB48_2504
.LBB48_454:
	s_or_b64 exec, exec, s[6:7]
	s_and_saveexec_b64 s[6:7], s[4:5]
	s_cbranch_execz .LBB48_456
.LBB48_455:
	v_and_b32_e32 v3, 7, v4
	v_ffbh_u32_e32 v7, v3
	v_min_u32_e32 v7, 32, v7
	v_lshrrev_b16_e32 v6, 3, v4
	v_subrev_u32_e32 v10, 28, v7
	v_and_b32_e32 v6, 15, v6
	v_lshlrev_b32_e32 v10, v10, v4
	v_sub_u32_e32 v7, 29, v7
	v_and_b32_e32 v10, 7, v10
	v_cmp_eq_u16_e32 vcc, 0, v6
	v_cndmask_b32_e32 v3, v3, v10, vcc
	v_cndmask_b32_e32 v6, v6, v7, vcc
	v_lshlrev_b32_e32 v7, 24, v4
	v_mov_b32_e32 v10, 0x3b800000
	v_lshlrev_b32_e32 v3, 20, v3
	v_and_b32_e32 v7, 0x80000000, v7
	v_lshl_add_u32 v6, v6, 23, v10
	v_or3_b32 v3, v7, v6, v3
.LBB48_456:
	s_or_b64 exec, exec, s[6:7]
	s_nop 0
	v_mfma_f32_16x16x4f32 a[0:3], v2, v3, a[0:3]
	v_lshrrev_b32_e32 v3, 8, v8
	s_movk_i32 s4, 0x7f
	v_cmp_gt_i16_sdwa s[6:7], v3, s4 src0_sel:BYTE_0 src1_sel:DWORD
	s_mov_b64 s[4:5], 0
                                        ; implicit-def: $sgpr10
	s_and_saveexec_b64 s[8:9], s[6:7]
	s_xor_b64 s[6:7], exec, s[8:9]
	s_cbranch_execnz .LBB48_2505
; %bb.457:
	s_or_saveexec_b64 s[6:7], s[6:7]
	v_mov_b32_e32 v2, s10
	s_xor_b64 exec, exec, s[6:7]
	s_cbranch_execnz .LBB48_2508
.LBB48_458:
	s_or_b64 exec, exec, s[6:7]
	s_and_saveexec_b64 s[6:7], s[4:5]
	s_cbranch_execz .LBB48_460
.LBB48_459:
	v_bfe_u32 v2, v8, 8, 3
	v_ffbh_u32_e32 v7, v2
	v_min_u32_e32 v7, 32, v7
	v_lshrrev_b16_e32 v6, 3, v3
	v_subrev_u32_e32 v10, 28, v7
	v_and_b32_e32 v6, 15, v6
	v_lshlrev_b32_e32 v3, v10, v3
	v_sub_u32_e32 v7, 29, v7
	v_and_b32_e32 v3, 7, v3
	v_cmp_eq_u16_e32 vcc, 0, v6
	v_cndmask_b32_e32 v2, v2, v3, vcc
	v_cndmask_b32_e32 v3, v6, v7, vcc
	v_lshlrev_b32_e32 v6, 16, v8
	v_mov_b32_e32 v7, 0x3b800000
	v_lshlrev_b32_e32 v2, 20, v2
	v_and_b32_e32 v6, 0x80000000, v6
	v_lshl_add_u32 v3, v3, 23, v7
	v_or3_b32 v2, v6, v3, v2
.LBB48_460:
	s_or_b64 exec, exec, s[6:7]
	v_lshrrev_b32_e32 v3, 8, v4
	s_movk_i32 s4, 0x7f
	v_cmp_gt_i16_sdwa s[6:7], v3, s4 src0_sel:BYTE_0 src1_sel:DWORD
	s_mov_b64 s[4:5], 0
                                        ; implicit-def: $sgpr10
	s_and_saveexec_b64 s[8:9], s[6:7]
	s_xor_b64 s[6:7], exec, s[8:9]
	s_cbranch_execnz .LBB48_2509
; %bb.461:
	s_or_saveexec_b64 s[6:7], s[6:7]
	v_mov_b32_e32 v6, s10
	s_xor_b64 exec, exec, s[6:7]
	s_cbranch_execnz .LBB48_2512
.LBB48_462:
	s_or_b64 exec, exec, s[6:7]
	s_and_saveexec_b64 s[6:7], s[4:5]
	s_cbranch_execz .LBB48_464
.LBB48_463:
	v_bfe_u32 v6, v4, 8, 3
	v_ffbh_u32_e32 v10, v6
	v_min_u32_e32 v10, 32, v10
	v_lshrrev_b16_e32 v7, 3, v3
	v_subrev_u32_e32 v11, 28, v10
	v_and_b32_e32 v7, 15, v7
	v_lshlrev_b32_e32 v3, v11, v3
	v_sub_u32_e32 v10, 29, v10
	v_and_b32_e32 v3, 7, v3
	v_cmp_eq_u16_e32 vcc, 0, v7
	v_cndmask_b32_e32 v3, v6, v3, vcc
	v_cndmask_b32_e32 v6, v7, v10, vcc
	v_lshlrev_b32_e32 v7, 16, v4
	v_mov_b32_e32 v10, 0x3b800000
	v_lshlrev_b32_e32 v3, 20, v3
	v_and_b32_e32 v7, 0x80000000, v7
	v_lshl_add_u32 v6, v6, 23, v10
	v_or3_b32 v6, v7, v6, v3
.LBB48_464:
	s_or_b64 exec, exec, s[6:7]
	s_nop 0
	v_mfma_f32_16x16x4f32 a[0:3], v2, v6, a[0:3]
	s_movk_i32 s4, 0xff
	v_and_b32_sdwa v3, v8, s4 dst_sel:DWORD dst_unused:UNUSED_PAD src0_sel:WORD_1 src1_sel:DWORD
	s_movk_i32 s4, 0x7f
	v_cmp_lt_i16_e32 vcc, s4, v3
	s_mov_b64 s[4:5], 0
                                        ; implicit-def: $sgpr10
	s_and_saveexec_b64 s[6:7], vcc
	s_xor_b64 s[6:7], exec, s[6:7]
	s_cbranch_execnz .LBB48_2513
; %bb.465:
	s_or_saveexec_b64 s[6:7], s[6:7]
	v_mov_b32_e32 v2, s10
	s_xor_b64 exec, exec, s[6:7]
	s_cbranch_execnz .LBB48_2516
.LBB48_466:
	s_or_b64 exec, exec, s[6:7]
	s_and_saveexec_b64 s[6:7], s[4:5]
	s_cbranch_execz .LBB48_468
.LBB48_467:
	v_bfe_u32 v2, v8, 16, 3
	v_ffbh_u32_e32 v7, v2
	v_min_u32_e32 v7, 32, v7
	v_lshrrev_b32_e32 v3, 19, v8
	v_subrev_u32_e32 v10, 28, v7
	v_and_b32_e32 v3, 15, v3
	v_lshlrev_b32_sdwa v10, v10, v8 dst_sel:DWORD dst_unused:UNUSED_PAD src0_sel:DWORD src1_sel:WORD_1
	v_bfe_u32 v6, v8, 19, 4
	v_sub_u32_e32 v7, 29, v7
	v_and_b32_e32 v10, 7, v10
	v_cmp_eq_u16_e32 vcc, 0, v3
	v_cndmask_b32_e32 v2, v2, v10, vcc
	v_cndmask_b32_e32 v3, v6, v7, vcc
	v_lshlrev_b32_e32 v6, 8, v8
	v_mov_b32_e32 v7, 0x3b800000
	v_lshlrev_b32_e32 v2, 20, v2
	v_and_b32_e32 v6, 0x80000000, v6
	v_lshl_add_u32 v3, v3, 23, v7
	v_or3_b32 v2, v6, v3, v2
.LBB48_468:
	s_or_b64 exec, exec, s[6:7]
	s_movk_i32 s4, 0xff
	v_and_b32_sdwa v3, v4, s4 dst_sel:DWORD dst_unused:UNUSED_PAD src0_sel:WORD_1 src1_sel:DWORD
	s_movk_i32 s4, 0x7f
	v_cmp_lt_i16_e32 vcc, s4, v3
	s_mov_b64 s[4:5], 0
                                        ; implicit-def: $sgpr10
	s_and_saveexec_b64 s[6:7], vcc
	s_xor_b64 s[6:7], exec, s[6:7]
	s_cbranch_execnz .LBB48_2517
; %bb.469:
	s_or_saveexec_b64 s[6:7], s[6:7]
	v_mov_b32_e32 v6, s10
	s_xor_b64 exec, exec, s[6:7]
	s_cbranch_execnz .LBB48_2520
.LBB48_470:
	s_or_b64 exec, exec, s[6:7]
	s_and_saveexec_b64 s[6:7], s[4:5]
	s_cbranch_execz .LBB48_472
.LBB48_471:
	v_bfe_u32 v3, v4, 16, 3
	v_ffbh_u32_e32 v10, v3
	v_min_u32_e32 v10, 32, v10
	v_lshrrev_b32_e32 v6, 19, v4
	v_subrev_u32_e32 v11, 28, v10
	v_and_b32_e32 v6, 15, v6
	v_lshlrev_b32_sdwa v11, v11, v4 dst_sel:DWORD dst_unused:UNUSED_PAD src0_sel:DWORD src1_sel:WORD_1
	v_bfe_u32 v7, v4, 19, 4
	v_sub_u32_e32 v10, 29, v10
	v_and_b32_e32 v11, 7, v11
	v_cmp_eq_u16_e32 vcc, 0, v6
	v_cndmask_b32_e32 v3, v3, v11, vcc
	v_cndmask_b32_e32 v6, v7, v10, vcc
	v_lshlrev_b32_e32 v7, 8, v4
	v_mov_b32_e32 v10, 0x3b800000
	v_lshlrev_b32_e32 v3, 20, v3
	v_and_b32_e32 v7, 0x80000000, v7
	v_lshl_add_u32 v6, v6, 23, v10
	v_or3_b32 v6, v7, v6, v3
.LBB48_472:
	s_or_b64 exec, exec, s[6:7]
	s_nop 0
	v_mfma_f32_16x16x4f32 a[0:3], v2, v6, a[0:3]
	s_movk_i32 s4, 0x7f
	v_cmp_gt_i16_sdwa s[6:7], v8, s4 src0_sel:BYTE_3 src1_sel:DWORD
	s_mov_b64 s[4:5], 0
                                        ; implicit-def: $sgpr10
	s_and_saveexec_b64 s[8:9], s[6:7]
	s_xor_b64 s[6:7], exec, s[8:9]
	s_cbranch_execnz .LBB48_2521
; %bb.473:
	s_or_saveexec_b64 s[6:7], s[6:7]
	v_mov_b32_e32 v2, s10
	s_xor_b64 exec, exec, s[6:7]
	s_cbranch_execnz .LBB48_2524
.LBB48_474:
	s_or_b64 exec, exec, s[6:7]
	s_and_saveexec_b64 s[6:7], s[4:5]
	s_cbranch_execz .LBB48_476
.LBB48_475:
	v_bfe_u32 v2, v8, 24, 3
	v_ffbh_u32_e32 v10, v2
	v_min_u32_e32 v10, 32, v10
	v_lshrrev_b32_e32 v6, 27, v8
	v_subrev_u32_e32 v11, 28, v10
	v_and_b32_e32 v3, 0x80000000, v8
	v_and_b32_e32 v6, 15, v6
	v_bfe_u32 v7, v8, 27, 4
	v_lshlrev_b32_sdwa v8, v11, v8 dst_sel:DWORD dst_unused:UNUSED_PAD src0_sel:DWORD src1_sel:BYTE_3
	v_sub_u32_e32 v10, 29, v10
	v_and_b32_e32 v8, 7, v8
	v_cmp_eq_u16_e32 vcc, 0, v6
	v_cndmask_b32_e32 v2, v2, v8, vcc
	v_cndmask_b32_e32 v6, v7, v10, vcc
	v_mov_b32_e32 v7, 0x3b800000
	v_lshlrev_b32_e32 v2, 20, v2
	v_lshl_add_u32 v6, v6, 23, v7
	v_or3_b32 v2, v3, v6, v2
.LBB48_476:
	s_or_b64 exec, exec, s[6:7]
	s_movk_i32 s4, 0x7f
	v_cmp_gt_i16_sdwa s[6:7], v4, s4 src0_sel:BYTE_3 src1_sel:DWORD
	s_mov_b64 s[4:5], 0
                                        ; implicit-def: $sgpr10
	s_and_saveexec_b64 s[8:9], s[6:7]
	s_xor_b64 s[6:7], exec, s[8:9]
	s_cbranch_execnz .LBB48_2525
; %bb.477:
	s_or_saveexec_b64 s[6:7], s[6:7]
	v_mov_b32_e32 v3, s10
	s_xor_b64 exec, exec, s[6:7]
	s_cbranch_execnz .LBB48_2528
.LBB48_478:
	s_or_b64 exec, exec, s[6:7]
	s_and_saveexec_b64 s[6:7], s[4:5]
	s_cbranch_execz .LBB48_480
.LBB48_479:
	v_bfe_u32 v3, v4, 24, 3
	v_ffbh_u32_e32 v10, v3
	v_min_u32_e32 v10, 32, v10
	v_lshrrev_b32_e32 v7, 27, v4
	v_subrev_u32_e32 v11, 28, v10
	v_and_b32_e32 v6, 0x80000000, v4
	v_and_b32_e32 v7, 15, v7
	v_bfe_u32 v8, v4, 27, 4
	v_lshlrev_b32_sdwa v4, v11, v4 dst_sel:DWORD dst_unused:UNUSED_PAD src0_sel:DWORD src1_sel:BYTE_3
	v_sub_u32_e32 v10, 29, v10
	v_and_b32_e32 v4, 7, v4
	v_cmp_eq_u16_e32 vcc, 0, v7
	v_cndmask_b32_e32 v3, v3, v4, vcc
	v_cndmask_b32_e32 v4, v8, v10, vcc
	v_mov_b32_e32 v7, 0x3b800000
	v_lshlrev_b32_e32 v3, 20, v3
	v_lshl_add_u32 v4, v4, 23, v7
	v_or3_b32 v3, v6, v4, v3
.LBB48_480:
	s_or_b64 exec, exec, s[6:7]
	s_nop 0
	v_mfma_f32_16x16x4f32 a[0:3], v2, v3, a[0:3]
	s_movk_i32 s4, 0x7f
	v_cmp_gt_i16_sdwa s[6:7], v9, s4 src0_sel:BYTE_0 src1_sel:DWORD
	s_mov_b64 s[4:5], 0
                                        ; implicit-def: $sgpr10
	s_and_saveexec_b64 s[8:9], s[6:7]
	s_xor_b64 s[6:7], exec, s[8:9]
	s_cbranch_execnz .LBB48_2529
; %bb.481:
	s_or_saveexec_b64 s[6:7], s[6:7]
	v_mov_b32_e32 v2, s10
	s_xor_b64 exec, exec, s[6:7]
	s_cbranch_execnz .LBB48_2532
.LBB48_482:
	s_or_b64 exec, exec, s[6:7]
	s_and_saveexec_b64 s[6:7], s[4:5]
	s_cbranch_execz .LBB48_484
.LBB48_483:
	v_mov_b32_e32 v2, 8
	v_and_b32_e32 v3, 7, v9
	v_lshrrev_b32_sdwa v2, v2, v9 dst_sel:BYTE_1 dst_unused:UNUSED_PAD src0_sel:DWORD src1_sel:DWORD
	v_ffbh_u32_e32 v4, v3
	v_or_b32_sdwa v2, v9, v2 dst_sel:DWORD dst_unused:UNUSED_PAD src0_sel:BYTE_0 src1_sel:DWORD
	v_min_u32_e32 v4, 32, v4
	v_lshrrev_b16_e32 v2, 3, v2
	v_subrev_u32_e32 v6, 28, v4
	v_and_b32_e32 v2, 15, v2
	v_lshlrev_b32_e32 v6, v6, v9
	v_sub_u32_e32 v4, 29, v4
	v_and_b32_e32 v6, 7, v6
	v_cmp_eq_u16_e32 vcc, 0, v2
	v_cndmask_b32_e32 v3, v3, v6, vcc
	v_cndmask_b32_e32 v2, v2, v4, vcc
	v_lshlrev_b32_e32 v4, 24, v9
	v_mov_b32_e32 v6, 0x3b800000
	v_lshlrev_b32_e32 v3, 20, v3
	v_and_b32_e32 v4, 0x80000000, v4
	v_lshl_add_u32 v2, v2, 23, v6
	v_or3_b32 v2, v4, v2, v3
.LBB48_484:
	s_or_b64 exec, exec, s[6:7]
	s_movk_i32 s4, 0x7f
	v_cmp_gt_i16_sdwa s[6:7], v5, s4 src0_sel:BYTE_0 src1_sel:DWORD
	s_mov_b64 s[4:5], 0
                                        ; implicit-def: $sgpr10
	s_and_saveexec_b64 s[8:9], s[6:7]
	s_xor_b64 s[6:7], exec, s[8:9]
	s_cbranch_execnz .LBB48_2533
; %bb.485:
	s_or_saveexec_b64 s[6:7], s[6:7]
	v_mov_b32_e32 v3, s10
	s_xor_b64 exec, exec, s[6:7]
	s_cbranch_execnz .LBB48_2536
.LBB48_486:
	s_or_b64 exec, exec, s[6:7]
	s_and_saveexec_b64 s[6:7], s[4:5]
	s_cbranch_execz .LBB48_488
.LBB48_487:
	v_mov_b32_e32 v3, 8
	v_and_b32_e32 v4, 7, v5
	v_lshrrev_b32_sdwa v3, v3, v5 dst_sel:BYTE_1 dst_unused:UNUSED_PAD src0_sel:DWORD src1_sel:DWORD
	v_ffbh_u32_e32 v6, v4
	v_or_b32_sdwa v3, v5, v3 dst_sel:DWORD dst_unused:UNUSED_PAD src0_sel:BYTE_0 src1_sel:DWORD
	v_min_u32_e32 v6, 32, v6
	v_lshrrev_b16_e32 v3, 3, v3
	v_subrev_u32_e32 v7, 28, v6
	v_and_b32_e32 v3, 15, v3
	v_lshlrev_b32_e32 v7, v7, v5
	v_sub_u32_e32 v6, 29, v6
	v_and_b32_e32 v7, 7, v7
	v_cmp_eq_u16_e32 vcc, 0, v3
	v_cndmask_b32_e32 v4, v4, v7, vcc
	v_cndmask_b32_e32 v3, v3, v6, vcc
	v_lshlrev_b32_e32 v6, 24, v5
	v_mov_b32_e32 v7, 0x3b800000
	v_lshlrev_b32_e32 v4, 20, v4
	v_and_b32_e32 v6, 0x80000000, v6
	v_lshl_add_u32 v3, v3, 23, v7
	v_or3_b32 v3, v6, v3, v4
.LBB48_488:
	s_or_b64 exec, exec, s[6:7]
	s_nop 0
	v_mfma_f32_16x16x4f32 a[0:3], v2, v3, a[0:3]
	v_lshrrev_b32_e32 v3, 8, v9
	s_movk_i32 s4, 0x7f
	v_cmp_gt_i16_sdwa s[6:7], v3, s4 src0_sel:BYTE_0 src1_sel:DWORD
	s_mov_b64 s[4:5], 0
                                        ; implicit-def: $sgpr10
	s_and_saveexec_b64 s[8:9], s[6:7]
	s_xor_b64 s[6:7], exec, s[8:9]
	s_cbranch_execnz .LBB48_2537
; %bb.489:
	s_or_saveexec_b64 s[6:7], s[6:7]
	v_mov_b32_e32 v2, s10
	s_xor_b64 exec, exec, s[6:7]
	s_cbranch_execnz .LBB48_2540
.LBB48_490:
	s_or_b64 exec, exec, s[6:7]
	s_and_saveexec_b64 s[6:7], s[4:5]
	s_cbranch_execz .LBB48_492
.LBB48_491:
	v_bfe_u32 v2, v9, 8, 3
	v_ffbh_u32_e32 v6, v2
	v_min_u32_e32 v6, 32, v6
	v_lshrrev_b16_e32 v4, 3, v3
	v_subrev_u32_e32 v7, 28, v6
	v_and_b32_e32 v4, 15, v4
	v_lshlrev_b32_e32 v3, v7, v3
	v_sub_u32_e32 v6, 29, v6
	v_and_b32_e32 v3, 7, v3
	v_cmp_eq_u16_e32 vcc, 0, v4
	v_cndmask_b32_e32 v2, v2, v3, vcc
	v_cndmask_b32_e32 v3, v4, v6, vcc
	v_lshlrev_b32_e32 v4, 16, v9
	v_mov_b32_e32 v6, 0x3b800000
	v_lshlrev_b32_e32 v2, 20, v2
	v_and_b32_e32 v4, 0x80000000, v4
	v_lshl_add_u32 v3, v3, 23, v6
	v_or3_b32 v2, v4, v3, v2
.LBB48_492:
	s_or_b64 exec, exec, s[6:7]
	v_lshrrev_b32_e32 v3, 8, v5
	s_movk_i32 s4, 0x7f
	v_cmp_gt_i16_sdwa s[6:7], v3, s4 src0_sel:BYTE_0 src1_sel:DWORD
	s_mov_b64 s[4:5], 0
                                        ; implicit-def: $sgpr10
	s_and_saveexec_b64 s[8:9], s[6:7]
	s_xor_b64 s[6:7], exec, s[8:9]
	s_cbranch_execnz .LBB48_2541
; %bb.493:
	s_or_saveexec_b64 s[6:7], s[6:7]
	v_mov_b32_e32 v4, s10
	s_xor_b64 exec, exec, s[6:7]
	s_cbranch_execnz .LBB48_2544
.LBB48_494:
	s_or_b64 exec, exec, s[6:7]
	s_and_saveexec_b64 s[6:7], s[4:5]
	s_cbranch_execz .LBB48_496
.LBB48_495:
	v_bfe_u32 v4, v5, 8, 3
	v_ffbh_u32_e32 v7, v4
	v_min_u32_e32 v7, 32, v7
	v_lshrrev_b16_e32 v6, 3, v3
	v_subrev_u32_e32 v8, 28, v7
	v_and_b32_e32 v6, 15, v6
	v_lshlrev_b32_e32 v3, v8, v3
	v_sub_u32_e32 v7, 29, v7
	v_and_b32_e32 v3, 7, v3
	v_cmp_eq_u16_e32 vcc, 0, v6
	v_cndmask_b32_e32 v3, v4, v3, vcc
	v_cndmask_b32_e32 v4, v6, v7, vcc
	v_lshlrev_b32_e32 v6, 16, v5
	v_mov_b32_e32 v7, 0x3b800000
	v_lshlrev_b32_e32 v3, 20, v3
	v_and_b32_e32 v6, 0x80000000, v6
	v_lshl_add_u32 v4, v4, 23, v7
	v_or3_b32 v4, v6, v4, v3
.LBB48_496:
	s_or_b64 exec, exec, s[6:7]
	s_nop 0
	v_mfma_f32_16x16x4f32 a[0:3], v2, v4, a[0:3]
	s_movk_i32 s4, 0xff
	v_and_b32_sdwa v3, v9, s4 dst_sel:DWORD dst_unused:UNUSED_PAD src0_sel:WORD_1 src1_sel:DWORD
	s_movk_i32 s4, 0x7f
	v_cmp_lt_i16_e32 vcc, s4, v3
	s_mov_b64 s[4:5], 0
                                        ; implicit-def: $sgpr10
	s_and_saveexec_b64 s[6:7], vcc
	s_xor_b64 s[6:7], exec, s[6:7]
	s_cbranch_execnz .LBB48_2545
; %bb.497:
	s_or_saveexec_b64 s[6:7], s[6:7]
	v_mov_b32_e32 v2, s10
	s_xor_b64 exec, exec, s[6:7]
	s_cbranch_execnz .LBB48_2548
.LBB48_498:
	s_or_b64 exec, exec, s[6:7]
	s_and_saveexec_b64 s[6:7], s[4:5]
	s_cbranch_execz .LBB48_500
.LBB48_499:
	v_bfe_u32 v2, v9, 16, 3
	v_ffbh_u32_e32 v6, v2
	v_min_u32_e32 v6, 32, v6
	v_lshrrev_b32_e32 v3, 19, v9
	v_subrev_u32_e32 v7, 28, v6
	v_and_b32_e32 v3, 15, v3
	v_lshlrev_b32_sdwa v7, v7, v9 dst_sel:DWORD dst_unused:UNUSED_PAD src0_sel:DWORD src1_sel:WORD_1
	v_bfe_u32 v4, v9, 19, 4
	v_sub_u32_e32 v6, 29, v6
	v_and_b32_e32 v7, 7, v7
	v_cmp_eq_u16_e32 vcc, 0, v3
	v_cndmask_b32_e32 v2, v2, v7, vcc
	v_cndmask_b32_e32 v3, v4, v6, vcc
	v_lshlrev_b32_e32 v4, 8, v9
	v_mov_b32_e32 v6, 0x3b800000
	v_lshlrev_b32_e32 v2, 20, v2
	v_and_b32_e32 v4, 0x80000000, v4
	v_lshl_add_u32 v3, v3, 23, v6
	v_or3_b32 v2, v4, v3, v2
.LBB48_500:
	s_or_b64 exec, exec, s[6:7]
	s_movk_i32 s4, 0xff
	v_and_b32_sdwa v3, v5, s4 dst_sel:DWORD dst_unused:UNUSED_PAD src0_sel:WORD_1 src1_sel:DWORD
	s_movk_i32 s4, 0x7f
	v_cmp_lt_i16_e32 vcc, s4, v3
	s_mov_b64 s[4:5], 0
                                        ; implicit-def: $sgpr10
	s_and_saveexec_b64 s[6:7], vcc
	s_xor_b64 s[6:7], exec, s[6:7]
	s_cbranch_execnz .LBB48_2549
; %bb.501:
	s_or_saveexec_b64 s[6:7], s[6:7]
	v_mov_b32_e32 v4, s10
	s_xor_b64 exec, exec, s[6:7]
	s_cbranch_execnz .LBB48_2552
.LBB48_502:
	s_or_b64 exec, exec, s[6:7]
	s_and_saveexec_b64 s[6:7], s[4:5]
	s_cbranch_execz .LBB48_504
.LBB48_503:
	v_bfe_u32 v3, v5, 16, 3
	v_ffbh_u32_e32 v7, v3
	v_min_u32_e32 v7, 32, v7
	v_lshrrev_b32_e32 v4, 19, v5
	v_subrev_u32_e32 v8, 28, v7
	v_and_b32_e32 v4, 15, v4
	v_lshlrev_b32_sdwa v8, v8, v5 dst_sel:DWORD dst_unused:UNUSED_PAD src0_sel:DWORD src1_sel:WORD_1
	v_bfe_u32 v6, v5, 19, 4
	v_sub_u32_e32 v7, 29, v7
	v_and_b32_e32 v8, 7, v8
	v_cmp_eq_u16_e32 vcc, 0, v4
	v_cndmask_b32_e32 v3, v3, v8, vcc
	v_cndmask_b32_e32 v4, v6, v7, vcc
	v_lshlrev_b32_e32 v6, 8, v5
	v_mov_b32_e32 v7, 0x3b800000
	v_lshlrev_b32_e32 v3, 20, v3
	v_and_b32_e32 v6, 0x80000000, v6
	v_lshl_add_u32 v4, v4, 23, v7
	v_or3_b32 v4, v6, v4, v3
.LBB48_504:
	s_or_b64 exec, exec, s[6:7]
	s_nop 0
	v_mfma_f32_16x16x4f32 a[0:3], v2, v4, a[0:3]
	s_movk_i32 s4, 0x7f
	v_cmp_gt_i16_sdwa s[6:7], v9, s4 src0_sel:BYTE_3 src1_sel:DWORD
	s_mov_b64 s[4:5], 0
                                        ; implicit-def: $sgpr10
	s_and_saveexec_b64 s[8:9], s[6:7]
	s_xor_b64 s[6:7], exec, s[8:9]
	s_cbranch_execnz .LBB48_2553
; %bb.505:
	s_or_saveexec_b64 s[6:7], s[6:7]
	v_mov_b32_e32 v2, s10
	s_xor_b64 exec, exec, s[6:7]
	s_cbranch_execnz .LBB48_2556
.LBB48_506:
	s_or_b64 exec, exec, s[6:7]
	s_and_saveexec_b64 s[6:7], s[4:5]
	s_cbranch_execz .LBB48_508
.LBB48_507:
	v_bfe_u32 v2, v9, 24, 3
	v_ffbh_u32_e32 v7, v2
	v_min_u32_e32 v7, 32, v7
	v_lshrrev_b32_e32 v4, 27, v9
	v_subrev_u32_e32 v8, 28, v7
	v_and_b32_e32 v4, 15, v4
	v_lshlrev_b32_sdwa v8, v8, v9 dst_sel:DWORD dst_unused:UNUSED_PAD src0_sel:DWORD src1_sel:BYTE_3
	v_bfe_u32 v6, v9, 27, 4
	v_sub_u32_e32 v7, 29, v7
	v_and_b32_e32 v8, 7, v8
	v_cmp_eq_u16_e32 vcc, 0, v4
	v_cndmask_b32_e32 v2, v2, v8, vcc
	v_cndmask_b32_e32 v4, v6, v7, vcc
	v_mov_b32_e32 v6, 0x3b800000
	v_and_b32_e32 v3, 0x80000000, v9
	v_lshlrev_b32_e32 v2, 20, v2
	v_lshl_add_u32 v4, v4, 23, v6
	v_or3_b32 v2, v3, v4, v2
.LBB48_508:
	s_or_b64 exec, exec, s[6:7]
	s_movk_i32 s4, 0x7f
	v_cmp_gt_i16_sdwa s[6:7], v5, s4 src0_sel:BYTE_3 src1_sel:DWORD
	s_mov_b64 s[4:5], 0
                                        ; implicit-def: $sgpr10
	s_and_saveexec_b64 s[8:9], s[6:7]
	s_xor_b64 s[6:7], exec, s[8:9]
	s_cbranch_execnz .LBB48_2557
; %bb.509:
	s_or_saveexec_b64 s[6:7], s[6:7]
	v_mov_b32_e32 v3, s10
	s_xor_b64 exec, exec, s[6:7]
	s_cbranch_execnz .LBB48_2560
.LBB48_510:
	s_or_b64 exec, exec, s[6:7]
	s_and_saveexec_b64 s[6:7], s[4:5]
	s_cbranch_execz .LBB48_512
.LBB48_511:
	v_bfe_u32 v3, v5, 24, 3
	v_ffbh_u32_e32 v8, v3
	v_min_u32_e32 v8, 32, v8
	v_lshrrev_b32_e32 v6, 27, v5
	v_subrev_u32_e32 v9, 28, v8
	v_and_b32_e32 v4, 0x80000000, v5
	v_and_b32_e32 v6, 15, v6
	v_bfe_u32 v7, v5, 27, 4
	v_lshlrev_b32_sdwa v5, v9, v5 dst_sel:DWORD dst_unused:UNUSED_PAD src0_sel:DWORD src1_sel:BYTE_3
	v_sub_u32_e32 v8, 29, v8
	v_and_b32_e32 v5, 7, v5
	v_cmp_eq_u16_e32 vcc, 0, v6
	v_cndmask_b32_e32 v3, v3, v5, vcc
	v_cndmask_b32_e32 v5, v7, v8, vcc
	v_mov_b32_e32 v6, 0x3b800000
	v_lshlrev_b32_e32 v3, 20, v3
	v_lshl_add_u32 v5, v5, 23, v6
	v_or3_b32 v3, v4, v5, v3
.LBB48_512:
	s_or_b64 exec, exec, s[6:7]
	s_nop 0
	v_mfma_f32_16x16x4f32 a[0:3], v2, v3, a[0:3]
	s_movk_i32 s4, 0x7f
                                        ; implicit-def: $sgpr10
	s_nop 7
	s_nop 1
	flat_store_dwordx4 v[18:19], a[0:3] offset:528
	flat_load_dwordx4 v[20:23], v[0:1] offset:8
	s_nop 0
	flat_load_dwordx2 v[18:19], v[0:1] offset:24
	s_waitcnt vmcnt(0) lgkmcnt(0)
	flat_load_dwordx4 v[14:17], v[20:21]
	flat_load_dwordx4 v[6:9], v[20:21] offset:16
	flat_load_dwordx4 v[10:13], v[22:23] offset:64
	;; [unrolled: 1-line block ×3, first 2 shown]
	s_waitcnt vmcnt(0) lgkmcnt(0)
	v_cmp_gt_i16_sdwa s[6:7], v14, s4 src0_sel:BYTE_0 src1_sel:DWORD
	s_mov_b64 s[4:5], 0
	s_and_saveexec_b64 s[8:9], s[6:7]
	s_xor_b64 s[6:7], exec, s[8:9]
	s_cbranch_execnz .LBB48_2561
; %bb.513:
	s_or_saveexec_b64 s[6:7], s[6:7]
	v_mov_b32_e32 v20, s10
	s_xor_b64 exec, exec, s[6:7]
	s_cbranch_execnz .LBB48_2564
.LBB48_514:
	s_or_b64 exec, exec, s[6:7]
	s_and_saveexec_b64 s[6:7], s[4:5]
	s_cbranch_execz .LBB48_516
.LBB48_515:
	v_and_b32_e32 v20, 7, v14
	v_ffbh_u32_e32 v22, v20
	v_min_u32_e32 v22, 32, v22
	v_lshrrev_b16_e32 v21, 3, v14
	v_subrev_u32_e32 v23, 28, v22
	v_and_b32_e32 v21, 15, v21
	v_lshlrev_b32_e32 v23, v23, v14
	v_sub_u32_e32 v22, 29, v22
	v_and_b32_e32 v23, 7, v23
	v_cmp_eq_u16_e32 vcc, 0, v21
	v_cndmask_b32_e32 v20, v20, v23, vcc
	v_cndmask_b32_e32 v21, v21, v22, vcc
	v_lshlrev_b32_e32 v22, 24, v14
	v_mov_b32_e32 v23, 0x3b800000
	v_lshlrev_b32_e32 v20, 20, v20
	v_and_b32_e32 v22, 0x80000000, v22
	v_lshl_add_u32 v21, v21, 23, v23
	v_or3_b32 v20, v22, v21, v20
.LBB48_516:
	s_or_b64 exec, exec, s[6:7]
	s_movk_i32 s4, 0x7f
	v_cmp_gt_i16_sdwa s[6:7], v10, s4 src0_sel:BYTE_0 src1_sel:DWORD
	s_mov_b64 s[4:5], 0
                                        ; implicit-def: $sgpr10
	s_and_saveexec_b64 s[8:9], s[6:7]
	s_xor_b64 s[6:7], exec, s[8:9]
	s_cbranch_execnz .LBB48_2565
; %bb.517:
	s_or_saveexec_b64 s[6:7], s[6:7]
	v_mov_b32_e32 v21, s10
	s_xor_b64 exec, exec, s[6:7]
	s_cbranch_execnz .LBB48_2568
.LBB48_518:
	s_or_b64 exec, exec, s[6:7]
	s_and_saveexec_b64 s[6:7], s[4:5]
	s_cbranch_execz .LBB48_520
.LBB48_519:
	v_and_b32_e32 v21, 7, v10
	v_ffbh_u32_e32 v23, v21
	v_min_u32_e32 v23, 32, v23
	v_lshrrev_b16_e32 v22, 3, v10
	v_subrev_u32_e32 v24, 28, v23
	v_and_b32_e32 v22, 15, v22
	v_lshlrev_b32_e32 v24, v24, v10
	v_sub_u32_e32 v23, 29, v23
	v_and_b32_e32 v24, 7, v24
	v_cmp_eq_u16_e32 vcc, 0, v22
	v_cndmask_b32_e32 v21, v21, v24, vcc
	v_cndmask_b32_e32 v22, v22, v23, vcc
	v_lshlrev_b32_e32 v23, 24, v10
	v_mov_b32_e32 v24, 0x3b800000
	v_lshlrev_b32_e32 v21, 20, v21
	v_and_b32_e32 v23, 0x80000000, v23
	v_lshl_add_u32 v22, v22, 23, v24
	v_or3_b32 v21, v23, v22, v21
.LBB48_520:
	s_or_b64 exec, exec, s[6:7]
	flat_load_dwordx4 a[0:3], v[18:19] offset:544
	s_movk_i32 s4, 0x7f
                                        ; implicit-def: $sgpr10
	s_waitcnt vmcnt(0) lgkmcnt(0)
	v_mfma_f32_16x16x4f32 a[0:3], v20, v21, a[0:3]
	v_lshrrev_b32_e32 v21, 8, v14
	v_cmp_gt_i16_sdwa s[6:7], v21, s4 src0_sel:BYTE_0 src1_sel:DWORD
	s_mov_b64 s[4:5], 0
	s_and_saveexec_b64 s[8:9], s[6:7]
	s_xor_b64 s[6:7], exec, s[8:9]
	s_cbranch_execnz .LBB48_2569
; %bb.521:
	s_or_saveexec_b64 s[6:7], s[6:7]
	v_mov_b32_e32 v20, s10
	s_xor_b64 exec, exec, s[6:7]
	s_cbranch_execnz .LBB48_2572
.LBB48_522:
	s_or_b64 exec, exec, s[6:7]
	s_and_saveexec_b64 s[6:7], s[4:5]
	s_cbranch_execz .LBB48_524
.LBB48_523:
	v_bfe_u32 v20, v14, 8, 3
	v_ffbh_u32_e32 v23, v20
	v_min_u32_e32 v23, 32, v23
	v_lshrrev_b16_e32 v22, 3, v21
	v_subrev_u32_e32 v24, 28, v23
	v_and_b32_e32 v22, 15, v22
	v_lshlrev_b32_e32 v21, v24, v21
	v_sub_u32_e32 v23, 29, v23
	v_and_b32_e32 v21, 7, v21
	v_cmp_eq_u16_e32 vcc, 0, v22
	v_cndmask_b32_e32 v20, v20, v21, vcc
	v_cndmask_b32_e32 v21, v22, v23, vcc
	v_lshlrev_b32_e32 v22, 16, v14
	v_mov_b32_e32 v23, 0x3b800000
	v_lshlrev_b32_e32 v20, 20, v20
	v_and_b32_e32 v22, 0x80000000, v22
	v_lshl_add_u32 v21, v21, 23, v23
	v_or3_b32 v20, v22, v21, v20
.LBB48_524:
	s_or_b64 exec, exec, s[6:7]
	v_lshrrev_b32_e32 v21, 8, v10
	s_movk_i32 s4, 0x7f
	v_cmp_gt_i16_sdwa s[6:7], v21, s4 src0_sel:BYTE_0 src1_sel:DWORD
	s_mov_b64 s[4:5], 0
                                        ; implicit-def: $sgpr10
	s_and_saveexec_b64 s[8:9], s[6:7]
	s_xor_b64 s[6:7], exec, s[8:9]
	s_cbranch_execnz .LBB48_2573
; %bb.525:
	s_or_saveexec_b64 s[6:7], s[6:7]
	v_mov_b32_e32 v22, s10
	s_xor_b64 exec, exec, s[6:7]
	s_cbranch_execnz .LBB48_2576
.LBB48_526:
	s_or_b64 exec, exec, s[6:7]
	s_and_saveexec_b64 s[6:7], s[4:5]
	s_cbranch_execz .LBB48_528
.LBB48_527:
	v_bfe_u32 v22, v10, 8, 3
	v_ffbh_u32_e32 v24, v22
	v_min_u32_e32 v24, 32, v24
	v_lshrrev_b16_e32 v23, 3, v21
	v_subrev_u32_e32 v25, 28, v24
	v_and_b32_e32 v23, 15, v23
	v_lshlrev_b32_e32 v21, v25, v21
	v_sub_u32_e32 v24, 29, v24
	v_and_b32_e32 v21, 7, v21
	v_cmp_eq_u16_e32 vcc, 0, v23
	v_cndmask_b32_e32 v21, v22, v21, vcc
	v_cndmask_b32_e32 v22, v23, v24, vcc
	v_lshlrev_b32_e32 v23, 16, v10
	v_mov_b32_e32 v24, 0x3b800000
	v_lshlrev_b32_e32 v21, 20, v21
	v_and_b32_e32 v23, 0x80000000, v23
	v_lshl_add_u32 v22, v22, 23, v24
	v_or3_b32 v22, v23, v22, v21
.LBB48_528:
	s_or_b64 exec, exec, s[6:7]
	s_nop 0
	v_mfma_f32_16x16x4f32 a[0:3], v20, v22, a[0:3]
	s_movk_i32 s4, 0xff
	v_and_b32_sdwa v21, v14, s4 dst_sel:DWORD dst_unused:UNUSED_PAD src0_sel:WORD_1 src1_sel:DWORD
	s_movk_i32 s4, 0x7f
	v_cmp_lt_i16_e32 vcc, s4, v21
	s_mov_b64 s[4:5], 0
                                        ; implicit-def: $sgpr10
	s_and_saveexec_b64 s[6:7], vcc
	s_xor_b64 s[6:7], exec, s[6:7]
	s_cbranch_execnz .LBB48_2577
; %bb.529:
	s_or_saveexec_b64 s[6:7], s[6:7]
	v_mov_b32_e32 v20, s10
	s_xor_b64 exec, exec, s[6:7]
	s_cbranch_execnz .LBB48_2580
.LBB48_530:
	s_or_b64 exec, exec, s[6:7]
	s_and_saveexec_b64 s[6:7], s[4:5]
	s_cbranch_execz .LBB48_532
.LBB48_531:
	v_bfe_u32 v20, v14, 16, 3
	v_ffbh_u32_e32 v23, v20
	v_min_u32_e32 v23, 32, v23
	v_lshrrev_b32_e32 v21, 19, v14
	v_subrev_u32_e32 v24, 28, v23
	v_and_b32_e32 v21, 15, v21
	v_lshlrev_b32_sdwa v24, v24, v14 dst_sel:DWORD dst_unused:UNUSED_PAD src0_sel:DWORD src1_sel:WORD_1
	v_bfe_u32 v22, v14, 19, 4
	v_sub_u32_e32 v23, 29, v23
	v_and_b32_e32 v24, 7, v24
	v_cmp_eq_u16_e32 vcc, 0, v21
	v_cndmask_b32_e32 v20, v20, v24, vcc
	v_cndmask_b32_e32 v21, v22, v23, vcc
	v_lshlrev_b32_e32 v22, 8, v14
	v_mov_b32_e32 v23, 0x3b800000
	v_lshlrev_b32_e32 v20, 20, v20
	v_and_b32_e32 v22, 0x80000000, v22
	v_lshl_add_u32 v21, v21, 23, v23
	v_or3_b32 v20, v22, v21, v20
.LBB48_532:
	s_or_b64 exec, exec, s[6:7]
	s_movk_i32 s4, 0xff
	v_and_b32_sdwa v21, v10, s4 dst_sel:DWORD dst_unused:UNUSED_PAD src0_sel:WORD_1 src1_sel:DWORD
	s_movk_i32 s4, 0x7f
	v_cmp_lt_i16_e32 vcc, s4, v21
	s_mov_b64 s[4:5], 0
                                        ; implicit-def: $sgpr10
	s_and_saveexec_b64 s[6:7], vcc
	s_xor_b64 s[6:7], exec, s[6:7]
	s_cbranch_execnz .LBB48_2581
; %bb.533:
	s_or_saveexec_b64 s[6:7], s[6:7]
	v_mov_b32_e32 v22, s10
	s_xor_b64 exec, exec, s[6:7]
	s_cbranch_execnz .LBB48_2584
.LBB48_534:
	s_or_b64 exec, exec, s[6:7]
	s_and_saveexec_b64 s[6:7], s[4:5]
	s_cbranch_execz .LBB48_536
.LBB48_535:
	v_bfe_u32 v21, v10, 16, 3
	v_ffbh_u32_e32 v24, v21
	v_min_u32_e32 v24, 32, v24
	v_lshrrev_b32_e32 v22, 19, v10
	v_subrev_u32_e32 v25, 28, v24
	v_and_b32_e32 v22, 15, v22
	v_lshlrev_b32_sdwa v25, v25, v10 dst_sel:DWORD dst_unused:UNUSED_PAD src0_sel:DWORD src1_sel:WORD_1
	v_bfe_u32 v23, v10, 19, 4
	v_sub_u32_e32 v24, 29, v24
	v_and_b32_e32 v25, 7, v25
	v_cmp_eq_u16_e32 vcc, 0, v22
	v_cndmask_b32_e32 v21, v21, v25, vcc
	v_cndmask_b32_e32 v22, v23, v24, vcc
	v_lshlrev_b32_e32 v23, 8, v10
	v_mov_b32_e32 v24, 0x3b800000
	v_lshlrev_b32_e32 v21, 20, v21
	v_and_b32_e32 v23, 0x80000000, v23
	v_lshl_add_u32 v22, v22, 23, v24
	v_or3_b32 v22, v23, v22, v21
.LBB48_536:
	s_or_b64 exec, exec, s[6:7]
	s_nop 0
	v_mfma_f32_16x16x4f32 a[0:3], v20, v22, a[0:3]
	s_movk_i32 s4, 0x7f
	v_cmp_gt_i16_sdwa s[6:7], v14, s4 src0_sel:BYTE_3 src1_sel:DWORD
	s_mov_b64 s[4:5], 0
                                        ; implicit-def: $sgpr10
	s_and_saveexec_b64 s[8:9], s[6:7]
	s_xor_b64 s[6:7], exec, s[8:9]
	s_cbranch_execnz .LBB48_2585
; %bb.537:
	s_or_saveexec_b64 s[6:7], s[6:7]
	v_mov_b32_e32 v20, s10
	s_xor_b64 exec, exec, s[6:7]
	s_cbranch_execnz .LBB48_2588
.LBB48_538:
	s_or_b64 exec, exec, s[6:7]
	s_and_saveexec_b64 s[6:7], s[4:5]
	s_cbranch_execz .LBB48_540
.LBB48_539:
	v_bfe_u32 v20, v14, 24, 3
	v_ffbh_u32_e32 v24, v20
	v_min_u32_e32 v24, 32, v24
	v_lshrrev_b32_e32 v22, 27, v14
	v_subrev_u32_e32 v25, 28, v24
	v_and_b32_e32 v21, 0x80000000, v14
	v_and_b32_e32 v22, 15, v22
	v_bfe_u32 v23, v14, 27, 4
	v_lshlrev_b32_sdwa v14, v25, v14 dst_sel:DWORD dst_unused:UNUSED_PAD src0_sel:DWORD src1_sel:BYTE_3
	v_sub_u32_e32 v24, 29, v24
	v_and_b32_e32 v14, 7, v14
	v_cmp_eq_u16_e32 vcc, 0, v22
	v_cndmask_b32_e32 v14, v20, v14, vcc
	v_cndmask_b32_e32 v20, v23, v24, vcc
	v_mov_b32_e32 v22, 0x3b800000
	v_lshlrev_b32_e32 v14, 20, v14
	v_lshl_add_u32 v20, v20, 23, v22
	v_or3_b32 v20, v21, v20, v14
.LBB48_540:
	s_or_b64 exec, exec, s[6:7]
	s_movk_i32 s4, 0x7f
	v_cmp_gt_i16_sdwa s[6:7], v10, s4 src0_sel:BYTE_3 src1_sel:DWORD
	s_mov_b64 s[4:5], 0
                                        ; implicit-def: $sgpr10
	s_and_saveexec_b64 s[8:9], s[6:7]
	s_xor_b64 s[6:7], exec, s[8:9]
	s_cbranch_execnz .LBB48_2589
; %bb.541:
	s_or_saveexec_b64 s[6:7], s[6:7]
	v_mov_b32_e32 v14, s10
	s_xor_b64 exec, exec, s[6:7]
	s_cbranch_execnz .LBB48_2592
.LBB48_542:
	s_or_b64 exec, exec, s[6:7]
	s_and_saveexec_b64 s[6:7], s[4:5]
	s_cbranch_execz .LBB48_544
.LBB48_543:
	v_bfe_u32 v14, v10, 24, 3
	v_ffbh_u32_e32 v24, v14
	v_min_u32_e32 v24, 32, v24
	v_lshrrev_b32_e32 v22, 27, v10
	v_subrev_u32_e32 v25, 28, v24
	v_and_b32_e32 v21, 0x80000000, v10
	v_and_b32_e32 v22, 15, v22
	v_bfe_u32 v23, v10, 27, 4
	v_lshlrev_b32_sdwa v10, v25, v10 dst_sel:DWORD dst_unused:UNUSED_PAD src0_sel:DWORD src1_sel:BYTE_3
	v_sub_u32_e32 v24, 29, v24
	v_and_b32_e32 v10, 7, v10
	v_cmp_eq_u16_e32 vcc, 0, v22
	v_cndmask_b32_e32 v10, v14, v10, vcc
	v_cndmask_b32_e32 v14, v23, v24, vcc
	v_mov_b32_e32 v22, 0x3b800000
	v_lshlrev_b32_e32 v10, 20, v10
	v_lshl_add_u32 v14, v14, 23, v22
	v_or3_b32 v14, v21, v14, v10
.LBB48_544:
	s_or_b64 exec, exec, s[6:7]
	s_nop 0
	v_mfma_f32_16x16x4f32 a[0:3], v20, v14, a[0:3]
	s_movk_i32 s4, 0x7f
	v_cmp_gt_i16_sdwa s[6:7], v15, s4 src0_sel:BYTE_0 src1_sel:DWORD
	s_mov_b64 s[4:5], 0
                                        ; implicit-def: $sgpr10
	s_and_saveexec_b64 s[8:9], s[6:7]
	s_xor_b64 s[6:7], exec, s[8:9]
	s_cbranch_execnz .LBB48_2593
; %bb.545:
	s_or_saveexec_b64 s[6:7], s[6:7]
	v_mov_b32_e32 v10, s10
	s_xor_b64 exec, exec, s[6:7]
	s_cbranch_execnz .LBB48_2596
.LBB48_546:
	s_or_b64 exec, exec, s[6:7]
	s_and_saveexec_b64 s[6:7], s[4:5]
	s_cbranch_execz .LBB48_548
.LBB48_547:
	v_and_b32_e32 v10, 7, v15
	v_ffbh_u32_e32 v20, v10
	v_min_u32_e32 v20, 32, v20
	v_lshrrev_b16_e32 v14, 3, v15
	v_subrev_u32_e32 v21, 28, v20
	v_and_b32_e32 v14, 15, v14
	v_lshlrev_b32_e32 v21, v21, v15
	v_sub_u32_e32 v20, 29, v20
	v_and_b32_e32 v21, 7, v21
	v_cmp_eq_u16_e32 vcc, 0, v14
	v_cndmask_b32_e32 v10, v10, v21, vcc
	v_cndmask_b32_e32 v14, v14, v20, vcc
	v_lshlrev_b32_e32 v20, 24, v15
	v_mov_b32_e32 v21, 0x3b800000
	v_lshlrev_b32_e32 v10, 20, v10
	v_and_b32_e32 v20, 0x80000000, v20
	v_lshl_add_u32 v14, v14, 23, v21
	v_or3_b32 v10, v20, v14, v10
.LBB48_548:
	s_or_b64 exec, exec, s[6:7]
	s_movk_i32 s4, 0x7f
	v_cmp_gt_i16_sdwa s[6:7], v11, s4 src0_sel:BYTE_0 src1_sel:DWORD
	s_mov_b64 s[4:5], 0
                                        ; implicit-def: $sgpr10
	s_and_saveexec_b64 s[8:9], s[6:7]
	s_xor_b64 s[6:7], exec, s[8:9]
	s_cbranch_execnz .LBB48_2597
; %bb.549:
	s_or_saveexec_b64 s[6:7], s[6:7]
	v_mov_b32_e32 v14, s10
	s_xor_b64 exec, exec, s[6:7]
	s_cbranch_execnz .LBB48_2600
.LBB48_550:
	s_or_b64 exec, exec, s[6:7]
	s_and_saveexec_b64 s[6:7], s[4:5]
	s_cbranch_execz .LBB48_552
.LBB48_551:
	v_and_b32_e32 v14, 7, v11
	v_ffbh_u32_e32 v21, v14
	v_min_u32_e32 v21, 32, v21
	v_lshrrev_b16_e32 v20, 3, v11
	v_subrev_u32_e32 v22, 28, v21
	v_and_b32_e32 v20, 15, v20
	v_lshlrev_b32_e32 v22, v22, v11
	v_sub_u32_e32 v21, 29, v21
	v_and_b32_e32 v22, 7, v22
	v_cmp_eq_u16_e32 vcc, 0, v20
	v_cndmask_b32_e32 v14, v14, v22, vcc
	v_cndmask_b32_e32 v20, v20, v21, vcc
	v_lshlrev_b32_e32 v21, 24, v11
	v_mov_b32_e32 v22, 0x3b800000
	v_lshlrev_b32_e32 v14, 20, v14
	v_and_b32_e32 v21, 0x80000000, v21
	v_lshl_add_u32 v20, v20, 23, v22
	v_or3_b32 v14, v21, v20, v14
.LBB48_552:
	s_or_b64 exec, exec, s[6:7]
	s_nop 0
	v_mfma_f32_16x16x4f32 a[0:3], v10, v14, a[0:3]
	v_lshrrev_b32_e32 v14, 8, v15
	s_movk_i32 s4, 0x7f
	v_cmp_gt_i16_sdwa s[6:7], v14, s4 src0_sel:BYTE_0 src1_sel:DWORD
	s_mov_b64 s[4:5], 0
                                        ; implicit-def: $sgpr10
	s_and_saveexec_b64 s[8:9], s[6:7]
	s_xor_b64 s[6:7], exec, s[8:9]
	s_cbranch_execnz .LBB48_2601
; %bb.553:
	s_or_saveexec_b64 s[6:7], s[6:7]
	v_mov_b32_e32 v10, s10
	s_xor_b64 exec, exec, s[6:7]
	s_cbranch_execnz .LBB48_2604
.LBB48_554:
	s_or_b64 exec, exec, s[6:7]
	s_and_saveexec_b64 s[6:7], s[4:5]
	s_cbranch_execz .LBB48_556
.LBB48_555:
	v_bfe_u32 v10, v15, 8, 3
	v_ffbh_u32_e32 v21, v10
	v_min_u32_e32 v21, 32, v21
	v_lshrrev_b16_e32 v20, 3, v14
	v_subrev_u32_e32 v22, 28, v21
	v_and_b32_e32 v20, 15, v20
	v_lshlrev_b32_e32 v14, v22, v14
	v_sub_u32_e32 v21, 29, v21
	v_and_b32_e32 v14, 7, v14
	v_cmp_eq_u16_e32 vcc, 0, v20
	v_cndmask_b32_e32 v10, v10, v14, vcc
	v_cndmask_b32_e32 v14, v20, v21, vcc
	v_lshlrev_b32_e32 v20, 16, v15
	v_mov_b32_e32 v21, 0x3b800000
	v_lshlrev_b32_e32 v10, 20, v10
	v_and_b32_e32 v20, 0x80000000, v20
	v_lshl_add_u32 v14, v14, 23, v21
	v_or3_b32 v10, v20, v14, v10
.LBB48_556:
	s_or_b64 exec, exec, s[6:7]
	v_lshrrev_b32_e32 v14, 8, v11
	s_movk_i32 s4, 0x7f
	v_cmp_gt_i16_sdwa s[6:7], v14, s4 src0_sel:BYTE_0 src1_sel:DWORD
	s_mov_b64 s[4:5], 0
                                        ; implicit-def: $sgpr10
	s_and_saveexec_b64 s[8:9], s[6:7]
	s_xor_b64 s[6:7], exec, s[8:9]
	s_cbranch_execnz .LBB48_2605
; %bb.557:
	s_or_saveexec_b64 s[6:7], s[6:7]
	v_mov_b32_e32 v20, s10
	s_xor_b64 exec, exec, s[6:7]
	s_cbranch_execnz .LBB48_2608
.LBB48_558:
	s_or_b64 exec, exec, s[6:7]
	s_and_saveexec_b64 s[6:7], s[4:5]
	s_cbranch_execz .LBB48_560
.LBB48_559:
	v_bfe_u32 v20, v11, 8, 3
	v_ffbh_u32_e32 v22, v20
	v_min_u32_e32 v22, 32, v22
	v_lshrrev_b16_e32 v21, 3, v14
	v_subrev_u32_e32 v23, 28, v22
	v_and_b32_e32 v21, 15, v21
	v_lshlrev_b32_e32 v14, v23, v14
	v_sub_u32_e32 v22, 29, v22
	v_and_b32_e32 v14, 7, v14
	v_cmp_eq_u16_e32 vcc, 0, v21
	v_cndmask_b32_e32 v14, v20, v14, vcc
	v_cndmask_b32_e32 v20, v21, v22, vcc
	v_lshlrev_b32_e32 v21, 16, v11
	v_mov_b32_e32 v22, 0x3b800000
	v_lshlrev_b32_e32 v14, 20, v14
	v_and_b32_e32 v21, 0x80000000, v21
	v_lshl_add_u32 v20, v20, 23, v22
	v_or3_b32 v20, v21, v20, v14
.LBB48_560:
	s_or_b64 exec, exec, s[6:7]
	s_nop 0
	v_mfma_f32_16x16x4f32 a[0:3], v10, v20, a[0:3]
	s_movk_i32 s4, 0xff
	v_and_b32_sdwa v14, v15, s4 dst_sel:DWORD dst_unused:UNUSED_PAD src0_sel:WORD_1 src1_sel:DWORD
	s_movk_i32 s4, 0x7f
	v_cmp_lt_i16_e32 vcc, s4, v14
	s_mov_b64 s[4:5], 0
                                        ; implicit-def: $sgpr10
	s_and_saveexec_b64 s[6:7], vcc
	s_xor_b64 s[6:7], exec, s[6:7]
	s_cbranch_execnz .LBB48_2609
; %bb.561:
	s_or_saveexec_b64 s[6:7], s[6:7]
	v_mov_b32_e32 v10, s10
	s_xor_b64 exec, exec, s[6:7]
	s_cbranch_execnz .LBB48_2612
.LBB48_562:
	s_or_b64 exec, exec, s[6:7]
	s_and_saveexec_b64 s[6:7], s[4:5]
	s_cbranch_execz .LBB48_564
.LBB48_563:
	v_bfe_u32 v10, v15, 16, 3
	v_ffbh_u32_e32 v21, v10
	v_min_u32_e32 v21, 32, v21
	v_lshrrev_b32_e32 v14, 19, v15
	v_subrev_u32_e32 v22, 28, v21
	v_and_b32_e32 v14, 15, v14
	v_lshlrev_b32_sdwa v22, v22, v15 dst_sel:DWORD dst_unused:UNUSED_PAD src0_sel:DWORD src1_sel:WORD_1
	v_bfe_u32 v20, v15, 19, 4
	v_sub_u32_e32 v21, 29, v21
	v_and_b32_e32 v22, 7, v22
	v_cmp_eq_u16_e32 vcc, 0, v14
	v_cndmask_b32_e32 v10, v10, v22, vcc
	v_cndmask_b32_e32 v14, v20, v21, vcc
	v_lshlrev_b32_e32 v20, 8, v15
	v_mov_b32_e32 v21, 0x3b800000
	v_lshlrev_b32_e32 v10, 20, v10
	v_and_b32_e32 v20, 0x80000000, v20
	v_lshl_add_u32 v14, v14, 23, v21
	v_or3_b32 v10, v20, v14, v10
.LBB48_564:
	s_or_b64 exec, exec, s[6:7]
	s_movk_i32 s4, 0xff
	v_and_b32_sdwa v14, v11, s4 dst_sel:DWORD dst_unused:UNUSED_PAD src0_sel:WORD_1 src1_sel:DWORD
	s_movk_i32 s4, 0x7f
	v_cmp_lt_i16_e32 vcc, s4, v14
	s_mov_b64 s[4:5], 0
                                        ; implicit-def: $sgpr10
	s_and_saveexec_b64 s[6:7], vcc
	s_xor_b64 s[6:7], exec, s[6:7]
	s_cbranch_execnz .LBB48_2613
; %bb.565:
	s_or_saveexec_b64 s[6:7], s[6:7]
	v_mov_b32_e32 v20, s10
	s_xor_b64 exec, exec, s[6:7]
	s_cbranch_execnz .LBB48_2616
.LBB48_566:
	s_or_b64 exec, exec, s[6:7]
	s_and_saveexec_b64 s[6:7], s[4:5]
	s_cbranch_execz .LBB48_568
.LBB48_567:
	v_bfe_u32 v14, v11, 16, 3
	v_ffbh_u32_e32 v22, v14
	v_min_u32_e32 v22, 32, v22
	v_lshrrev_b32_e32 v20, 19, v11
	v_subrev_u32_e32 v23, 28, v22
	v_and_b32_e32 v20, 15, v20
	v_lshlrev_b32_sdwa v23, v23, v11 dst_sel:DWORD dst_unused:UNUSED_PAD src0_sel:DWORD src1_sel:WORD_1
	v_bfe_u32 v21, v11, 19, 4
	v_sub_u32_e32 v22, 29, v22
	v_and_b32_e32 v23, 7, v23
	v_cmp_eq_u16_e32 vcc, 0, v20
	v_cndmask_b32_e32 v14, v14, v23, vcc
	v_cndmask_b32_e32 v20, v21, v22, vcc
	v_lshlrev_b32_e32 v21, 8, v11
	v_mov_b32_e32 v22, 0x3b800000
	v_lshlrev_b32_e32 v14, 20, v14
	v_and_b32_e32 v21, 0x80000000, v21
	v_lshl_add_u32 v20, v20, 23, v22
	v_or3_b32 v20, v21, v20, v14
.LBB48_568:
	s_or_b64 exec, exec, s[6:7]
	s_nop 0
	v_mfma_f32_16x16x4f32 a[0:3], v10, v20, a[0:3]
	s_movk_i32 s4, 0x7f
	v_cmp_gt_i16_sdwa s[6:7], v15, s4 src0_sel:BYTE_3 src1_sel:DWORD
	s_mov_b64 s[4:5], 0
                                        ; implicit-def: $sgpr10
	s_and_saveexec_b64 s[8:9], s[6:7]
	s_xor_b64 s[6:7], exec, s[8:9]
	s_cbranch_execnz .LBB48_2617
; %bb.569:
	s_or_saveexec_b64 s[6:7], s[6:7]
	v_mov_b32_e32 v10, s10
	s_xor_b64 exec, exec, s[6:7]
	s_cbranch_execnz .LBB48_2620
.LBB48_570:
	s_or_b64 exec, exec, s[6:7]
	s_and_saveexec_b64 s[6:7], s[4:5]
	s_cbranch_execz .LBB48_572
.LBB48_571:
	v_bfe_u32 v10, v15, 24, 3
	v_ffbh_u32_e32 v22, v10
	v_min_u32_e32 v22, 32, v22
	v_lshrrev_b32_e32 v20, 27, v15
	v_subrev_u32_e32 v23, 28, v22
	v_and_b32_e32 v14, 0x80000000, v15
	v_and_b32_e32 v20, 15, v20
	v_bfe_u32 v21, v15, 27, 4
	v_lshlrev_b32_sdwa v15, v23, v15 dst_sel:DWORD dst_unused:UNUSED_PAD src0_sel:DWORD src1_sel:BYTE_3
	v_sub_u32_e32 v22, 29, v22
	v_and_b32_e32 v15, 7, v15
	v_cmp_eq_u16_e32 vcc, 0, v20
	v_cndmask_b32_e32 v10, v10, v15, vcc
	v_cndmask_b32_e32 v15, v21, v22, vcc
	v_mov_b32_e32 v20, 0x3b800000
	v_lshlrev_b32_e32 v10, 20, v10
	v_lshl_add_u32 v15, v15, 23, v20
	v_or3_b32 v10, v14, v15, v10
.LBB48_572:
	s_or_b64 exec, exec, s[6:7]
	s_movk_i32 s4, 0x7f
	v_cmp_gt_i16_sdwa s[6:7], v11, s4 src0_sel:BYTE_3 src1_sel:DWORD
	s_mov_b64 s[4:5], 0
                                        ; implicit-def: $sgpr10
	s_and_saveexec_b64 s[8:9], s[6:7]
	s_xor_b64 s[6:7], exec, s[8:9]
	s_cbranch_execnz .LBB48_2621
; %bb.573:
	s_or_saveexec_b64 s[6:7], s[6:7]
	v_mov_b32_e32 v14, s10
	s_xor_b64 exec, exec, s[6:7]
	s_cbranch_execnz .LBB48_2624
.LBB48_574:
	s_or_b64 exec, exec, s[6:7]
	s_and_saveexec_b64 s[6:7], s[4:5]
	s_cbranch_execz .LBB48_576
.LBB48_575:
	v_bfe_u32 v14, v11, 24, 3
	v_ffbh_u32_e32 v22, v14
	v_min_u32_e32 v22, 32, v22
	v_lshrrev_b32_e32 v20, 27, v11
	v_subrev_u32_e32 v23, 28, v22
	v_and_b32_e32 v15, 0x80000000, v11
	v_and_b32_e32 v20, 15, v20
	v_bfe_u32 v21, v11, 27, 4
	v_lshlrev_b32_sdwa v11, v23, v11 dst_sel:DWORD dst_unused:UNUSED_PAD src0_sel:DWORD src1_sel:BYTE_3
	v_sub_u32_e32 v22, 29, v22
	v_and_b32_e32 v11, 7, v11
	v_cmp_eq_u16_e32 vcc, 0, v20
	v_cndmask_b32_e32 v11, v14, v11, vcc
	v_cndmask_b32_e32 v14, v21, v22, vcc
	v_mov_b32_e32 v20, 0x3b800000
	v_lshlrev_b32_e32 v11, 20, v11
	v_lshl_add_u32 v14, v14, 23, v20
	v_or3_b32 v14, v15, v14, v11
.LBB48_576:
	s_or_b64 exec, exec, s[6:7]
	s_nop 0
	v_mfma_f32_16x16x4f32 a[0:3], v10, v14, a[0:3]
	s_movk_i32 s4, 0x7f
	v_cmp_gt_i16_sdwa s[6:7], v16, s4 src0_sel:BYTE_0 src1_sel:DWORD
	s_mov_b64 s[4:5], 0
                                        ; implicit-def: $sgpr10
	s_and_saveexec_b64 s[8:9], s[6:7]
	s_xor_b64 s[6:7], exec, s[8:9]
	s_cbranch_execnz .LBB48_2625
; %bb.577:
	s_or_saveexec_b64 s[6:7], s[6:7]
	v_mov_b32_e32 v10, s10
	s_xor_b64 exec, exec, s[6:7]
	s_cbranch_execnz .LBB48_2628
.LBB48_578:
	s_or_b64 exec, exec, s[6:7]
	s_and_saveexec_b64 s[6:7], s[4:5]
	s_cbranch_execz .LBB48_580
.LBB48_579:
	v_and_b32_e32 v10, 7, v16
	v_ffbh_u32_e32 v14, v10
	v_min_u32_e32 v14, 32, v14
	v_lshrrev_b16_e32 v11, 3, v16
	v_subrev_u32_e32 v15, 28, v14
	v_and_b32_e32 v11, 15, v11
	v_lshlrev_b32_e32 v15, v15, v16
	v_sub_u32_e32 v14, 29, v14
	v_and_b32_e32 v15, 7, v15
	v_cmp_eq_u16_e32 vcc, 0, v11
	v_cndmask_b32_e32 v10, v10, v15, vcc
	v_cndmask_b32_e32 v11, v11, v14, vcc
	v_lshlrev_b32_e32 v14, 24, v16
	v_mov_b32_e32 v15, 0x3b800000
	v_lshlrev_b32_e32 v10, 20, v10
	v_and_b32_e32 v14, 0x80000000, v14
	v_lshl_add_u32 v11, v11, 23, v15
	v_or3_b32 v10, v14, v11, v10
.LBB48_580:
	s_or_b64 exec, exec, s[6:7]
	s_movk_i32 s4, 0x7f
	v_cmp_gt_i16_sdwa s[6:7], v12, s4 src0_sel:BYTE_0 src1_sel:DWORD
	s_mov_b64 s[4:5], 0
                                        ; implicit-def: $sgpr10
	s_and_saveexec_b64 s[8:9], s[6:7]
	s_xor_b64 s[6:7], exec, s[8:9]
	s_cbranch_execnz .LBB48_2629
; %bb.581:
	s_or_saveexec_b64 s[6:7], s[6:7]
	v_mov_b32_e32 v11, s10
	s_xor_b64 exec, exec, s[6:7]
	s_cbranch_execnz .LBB48_2632
.LBB48_582:
	s_or_b64 exec, exec, s[6:7]
	s_and_saveexec_b64 s[6:7], s[4:5]
	s_cbranch_execz .LBB48_584
.LBB48_583:
	v_and_b32_e32 v11, 7, v12
	v_ffbh_u32_e32 v15, v11
	v_min_u32_e32 v15, 32, v15
	v_lshrrev_b16_e32 v14, 3, v12
	v_subrev_u32_e32 v20, 28, v15
	v_and_b32_e32 v14, 15, v14
	v_lshlrev_b32_e32 v20, v20, v12
	v_sub_u32_e32 v15, 29, v15
	v_and_b32_e32 v20, 7, v20
	v_cmp_eq_u16_e32 vcc, 0, v14
	v_cndmask_b32_e32 v11, v11, v20, vcc
	v_cndmask_b32_e32 v14, v14, v15, vcc
	v_lshlrev_b32_e32 v15, 24, v12
	v_mov_b32_e32 v20, 0x3b800000
	v_lshlrev_b32_e32 v11, 20, v11
	v_and_b32_e32 v15, 0x80000000, v15
	v_lshl_add_u32 v14, v14, 23, v20
	v_or3_b32 v11, v15, v14, v11
.LBB48_584:
	s_or_b64 exec, exec, s[6:7]
	s_nop 0
	v_mfma_f32_16x16x4f32 a[0:3], v10, v11, a[0:3]
	v_lshrrev_b32_e32 v11, 8, v16
	s_movk_i32 s4, 0x7f
	v_cmp_gt_i16_sdwa s[6:7], v11, s4 src0_sel:BYTE_0 src1_sel:DWORD
	s_mov_b64 s[4:5], 0
                                        ; implicit-def: $sgpr10
	s_and_saveexec_b64 s[8:9], s[6:7]
	s_xor_b64 s[6:7], exec, s[8:9]
	s_cbranch_execnz .LBB48_2633
; %bb.585:
	s_or_saveexec_b64 s[6:7], s[6:7]
	v_mov_b32_e32 v10, s10
	s_xor_b64 exec, exec, s[6:7]
	s_cbranch_execnz .LBB48_2636
.LBB48_586:
	s_or_b64 exec, exec, s[6:7]
	s_and_saveexec_b64 s[6:7], s[4:5]
	s_cbranch_execz .LBB48_588
.LBB48_587:
	v_bfe_u32 v10, v16, 8, 3
	v_ffbh_u32_e32 v15, v10
	v_min_u32_e32 v15, 32, v15
	v_lshrrev_b16_e32 v14, 3, v11
	v_subrev_u32_e32 v20, 28, v15
	v_and_b32_e32 v14, 15, v14
	v_lshlrev_b32_e32 v11, v20, v11
	v_sub_u32_e32 v15, 29, v15
	v_and_b32_e32 v11, 7, v11
	v_cmp_eq_u16_e32 vcc, 0, v14
	v_cndmask_b32_e32 v10, v10, v11, vcc
	v_cndmask_b32_e32 v11, v14, v15, vcc
	v_lshlrev_b32_e32 v14, 16, v16
	v_mov_b32_e32 v15, 0x3b800000
	v_lshlrev_b32_e32 v10, 20, v10
	v_and_b32_e32 v14, 0x80000000, v14
	v_lshl_add_u32 v11, v11, 23, v15
	v_or3_b32 v10, v14, v11, v10
.LBB48_588:
	s_or_b64 exec, exec, s[6:7]
	v_lshrrev_b32_e32 v11, 8, v12
	s_movk_i32 s4, 0x7f
	v_cmp_gt_i16_sdwa s[6:7], v11, s4 src0_sel:BYTE_0 src1_sel:DWORD
	s_mov_b64 s[4:5], 0
                                        ; implicit-def: $sgpr10
	s_and_saveexec_b64 s[8:9], s[6:7]
	s_xor_b64 s[6:7], exec, s[8:9]
	s_cbranch_execnz .LBB48_2637
; %bb.589:
	s_or_saveexec_b64 s[6:7], s[6:7]
	v_mov_b32_e32 v14, s10
	s_xor_b64 exec, exec, s[6:7]
	s_cbranch_execnz .LBB48_2640
.LBB48_590:
	s_or_b64 exec, exec, s[6:7]
	s_and_saveexec_b64 s[6:7], s[4:5]
	s_cbranch_execz .LBB48_592
.LBB48_591:
	v_bfe_u32 v14, v12, 8, 3
	v_ffbh_u32_e32 v20, v14
	v_min_u32_e32 v20, 32, v20
	v_lshrrev_b16_e32 v15, 3, v11
	v_subrev_u32_e32 v21, 28, v20
	v_and_b32_e32 v15, 15, v15
	v_lshlrev_b32_e32 v11, v21, v11
	v_sub_u32_e32 v20, 29, v20
	v_and_b32_e32 v11, 7, v11
	v_cmp_eq_u16_e32 vcc, 0, v15
	v_cndmask_b32_e32 v11, v14, v11, vcc
	v_cndmask_b32_e32 v14, v15, v20, vcc
	v_lshlrev_b32_e32 v15, 16, v12
	v_mov_b32_e32 v20, 0x3b800000
	v_lshlrev_b32_e32 v11, 20, v11
	v_and_b32_e32 v15, 0x80000000, v15
	v_lshl_add_u32 v14, v14, 23, v20
	v_or3_b32 v14, v15, v14, v11
.LBB48_592:
	s_or_b64 exec, exec, s[6:7]
	s_nop 0
	v_mfma_f32_16x16x4f32 a[0:3], v10, v14, a[0:3]
	s_movk_i32 s4, 0xff
	v_and_b32_sdwa v11, v16, s4 dst_sel:DWORD dst_unused:UNUSED_PAD src0_sel:WORD_1 src1_sel:DWORD
	s_movk_i32 s4, 0x7f
	v_cmp_lt_i16_e32 vcc, s4, v11
	s_mov_b64 s[4:5], 0
                                        ; implicit-def: $sgpr10
	s_and_saveexec_b64 s[6:7], vcc
	s_xor_b64 s[6:7], exec, s[6:7]
	s_cbranch_execnz .LBB48_2641
; %bb.593:
	s_or_saveexec_b64 s[6:7], s[6:7]
	v_mov_b32_e32 v10, s10
	s_xor_b64 exec, exec, s[6:7]
	s_cbranch_execnz .LBB48_2644
.LBB48_594:
	s_or_b64 exec, exec, s[6:7]
	s_and_saveexec_b64 s[6:7], s[4:5]
	s_cbranch_execz .LBB48_596
.LBB48_595:
	v_bfe_u32 v10, v16, 16, 3
	v_ffbh_u32_e32 v15, v10
	v_min_u32_e32 v15, 32, v15
	v_lshrrev_b32_e32 v11, 19, v16
	v_subrev_u32_e32 v20, 28, v15
	v_and_b32_e32 v11, 15, v11
	v_lshlrev_b32_sdwa v20, v20, v16 dst_sel:DWORD dst_unused:UNUSED_PAD src0_sel:DWORD src1_sel:WORD_1
	v_bfe_u32 v14, v16, 19, 4
	v_sub_u32_e32 v15, 29, v15
	v_and_b32_e32 v20, 7, v20
	v_cmp_eq_u16_e32 vcc, 0, v11
	v_cndmask_b32_e32 v10, v10, v20, vcc
	v_cndmask_b32_e32 v11, v14, v15, vcc
	v_lshlrev_b32_e32 v14, 8, v16
	v_mov_b32_e32 v15, 0x3b800000
	v_lshlrev_b32_e32 v10, 20, v10
	v_and_b32_e32 v14, 0x80000000, v14
	v_lshl_add_u32 v11, v11, 23, v15
	v_or3_b32 v10, v14, v11, v10
.LBB48_596:
	s_or_b64 exec, exec, s[6:7]
	s_movk_i32 s4, 0xff
	v_and_b32_sdwa v11, v12, s4 dst_sel:DWORD dst_unused:UNUSED_PAD src0_sel:WORD_1 src1_sel:DWORD
	s_movk_i32 s4, 0x7f
	v_cmp_lt_i16_e32 vcc, s4, v11
	s_mov_b64 s[4:5], 0
                                        ; implicit-def: $sgpr10
	s_and_saveexec_b64 s[6:7], vcc
	s_xor_b64 s[6:7], exec, s[6:7]
	s_cbranch_execnz .LBB48_2645
; %bb.597:
	s_or_saveexec_b64 s[6:7], s[6:7]
	v_mov_b32_e32 v14, s10
	s_xor_b64 exec, exec, s[6:7]
	s_cbranch_execnz .LBB48_2648
.LBB48_598:
	s_or_b64 exec, exec, s[6:7]
	s_and_saveexec_b64 s[6:7], s[4:5]
	s_cbranch_execz .LBB48_600
.LBB48_599:
	v_bfe_u32 v11, v12, 16, 3
	v_ffbh_u32_e32 v20, v11
	v_min_u32_e32 v20, 32, v20
	v_lshrrev_b32_e32 v14, 19, v12
	v_subrev_u32_e32 v21, 28, v20
	v_and_b32_e32 v14, 15, v14
	v_lshlrev_b32_sdwa v21, v21, v12 dst_sel:DWORD dst_unused:UNUSED_PAD src0_sel:DWORD src1_sel:WORD_1
	v_bfe_u32 v15, v12, 19, 4
	v_sub_u32_e32 v20, 29, v20
	v_and_b32_e32 v21, 7, v21
	v_cmp_eq_u16_e32 vcc, 0, v14
	v_cndmask_b32_e32 v11, v11, v21, vcc
	v_cndmask_b32_e32 v14, v15, v20, vcc
	v_lshlrev_b32_e32 v15, 8, v12
	v_mov_b32_e32 v20, 0x3b800000
	v_lshlrev_b32_e32 v11, 20, v11
	v_and_b32_e32 v15, 0x80000000, v15
	v_lshl_add_u32 v14, v14, 23, v20
	v_or3_b32 v14, v15, v14, v11
.LBB48_600:
	s_or_b64 exec, exec, s[6:7]
	s_nop 0
	v_mfma_f32_16x16x4f32 a[0:3], v10, v14, a[0:3]
	s_movk_i32 s4, 0x7f
	v_cmp_gt_i16_sdwa s[6:7], v16, s4 src0_sel:BYTE_3 src1_sel:DWORD
	s_mov_b64 s[4:5], 0
                                        ; implicit-def: $sgpr10
	s_and_saveexec_b64 s[8:9], s[6:7]
	s_xor_b64 s[6:7], exec, s[8:9]
	s_cbranch_execnz .LBB48_2649
; %bb.601:
	s_or_saveexec_b64 s[6:7], s[6:7]
	v_mov_b32_e32 v10, s10
	s_xor_b64 exec, exec, s[6:7]
	s_cbranch_execnz .LBB48_2652
.LBB48_602:
	s_or_b64 exec, exec, s[6:7]
	s_and_saveexec_b64 s[6:7], s[4:5]
	s_cbranch_execz .LBB48_604
.LBB48_603:
	v_bfe_u32 v10, v16, 24, 3
	v_ffbh_u32_e32 v20, v10
	v_min_u32_e32 v20, 32, v20
	v_lshrrev_b32_e32 v14, 27, v16
	v_subrev_u32_e32 v21, 28, v20
	v_and_b32_e32 v11, 0x80000000, v16
	v_and_b32_e32 v14, 15, v14
	v_bfe_u32 v15, v16, 27, 4
	v_lshlrev_b32_sdwa v16, v21, v16 dst_sel:DWORD dst_unused:UNUSED_PAD src0_sel:DWORD src1_sel:BYTE_3
	v_sub_u32_e32 v20, 29, v20
	v_and_b32_e32 v16, 7, v16
	v_cmp_eq_u16_e32 vcc, 0, v14
	v_cndmask_b32_e32 v10, v10, v16, vcc
	v_cndmask_b32_e32 v14, v15, v20, vcc
	v_mov_b32_e32 v15, 0x3b800000
	v_lshlrev_b32_e32 v10, 20, v10
	v_lshl_add_u32 v14, v14, 23, v15
	v_or3_b32 v10, v11, v14, v10
.LBB48_604:
	s_or_b64 exec, exec, s[6:7]
	s_movk_i32 s4, 0x7f
	v_cmp_gt_i16_sdwa s[6:7], v12, s4 src0_sel:BYTE_3 src1_sel:DWORD
	s_mov_b64 s[4:5], 0
                                        ; implicit-def: $sgpr10
	s_and_saveexec_b64 s[8:9], s[6:7]
	s_xor_b64 s[6:7], exec, s[8:9]
	s_cbranch_execnz .LBB48_2653
; %bb.605:
	s_or_saveexec_b64 s[6:7], s[6:7]
	v_mov_b32_e32 v11, s10
	s_xor_b64 exec, exec, s[6:7]
	s_cbranch_execnz .LBB48_2656
.LBB48_606:
	s_or_b64 exec, exec, s[6:7]
	s_and_saveexec_b64 s[6:7], s[4:5]
	s_cbranch_execz .LBB48_608
.LBB48_607:
	v_bfe_u32 v11, v12, 24, 3
	v_ffbh_u32_e32 v20, v11
	v_min_u32_e32 v20, 32, v20
	v_lshrrev_b32_e32 v15, 27, v12
	v_subrev_u32_e32 v21, 28, v20
	v_and_b32_e32 v14, 0x80000000, v12
	v_and_b32_e32 v15, 15, v15
	v_bfe_u32 v16, v12, 27, 4
	v_lshlrev_b32_sdwa v12, v21, v12 dst_sel:DWORD dst_unused:UNUSED_PAD src0_sel:DWORD src1_sel:BYTE_3
	v_sub_u32_e32 v20, 29, v20
	v_and_b32_e32 v12, 7, v12
	v_cmp_eq_u16_e32 vcc, 0, v15
	v_cndmask_b32_e32 v11, v11, v12, vcc
	v_cndmask_b32_e32 v12, v16, v20, vcc
	v_mov_b32_e32 v15, 0x3b800000
	v_lshlrev_b32_e32 v11, 20, v11
	v_lshl_add_u32 v12, v12, 23, v15
	v_or3_b32 v11, v14, v12, v11
.LBB48_608:
	s_or_b64 exec, exec, s[6:7]
	s_nop 0
	v_mfma_f32_16x16x4f32 a[0:3], v10, v11, a[0:3]
	s_movk_i32 s4, 0x7f
	v_cmp_gt_i16_sdwa s[6:7], v17, s4 src0_sel:BYTE_0 src1_sel:DWORD
	s_mov_b64 s[4:5], 0
                                        ; implicit-def: $sgpr10
	s_and_saveexec_b64 s[8:9], s[6:7]
	s_xor_b64 s[6:7], exec, s[8:9]
	s_cbranch_execnz .LBB48_2657
; %bb.609:
	s_or_saveexec_b64 s[6:7], s[6:7]
	v_mov_b32_e32 v10, s10
	s_xor_b64 exec, exec, s[6:7]
	s_cbranch_execnz .LBB48_2660
.LBB48_610:
	s_or_b64 exec, exec, s[6:7]
	s_and_saveexec_b64 s[6:7], s[4:5]
	s_cbranch_execz .LBB48_612
.LBB48_611:
	v_and_b32_e32 v10, 7, v17
	v_ffbh_u32_e32 v12, v10
	v_min_u32_e32 v12, 32, v12
	v_lshrrev_b16_e32 v11, 3, v17
	v_subrev_u32_e32 v14, 28, v12
	v_and_b32_e32 v11, 15, v11
	v_lshlrev_b32_e32 v14, v14, v17
	v_sub_u32_e32 v12, 29, v12
	v_and_b32_e32 v14, 7, v14
	v_cmp_eq_u16_e32 vcc, 0, v11
	v_cndmask_b32_e32 v10, v10, v14, vcc
	v_cndmask_b32_e32 v11, v11, v12, vcc
	v_lshlrev_b32_e32 v12, 24, v17
	v_mov_b32_e32 v14, 0x3b800000
	v_lshlrev_b32_e32 v10, 20, v10
	v_and_b32_e32 v12, 0x80000000, v12
	v_lshl_add_u32 v11, v11, 23, v14
	v_or3_b32 v10, v12, v11, v10
.LBB48_612:
	s_or_b64 exec, exec, s[6:7]
	s_movk_i32 s4, 0x7f
	v_cmp_gt_i16_sdwa s[6:7], v13, s4 src0_sel:BYTE_0 src1_sel:DWORD
	s_mov_b64 s[4:5], 0
                                        ; implicit-def: $sgpr10
	s_and_saveexec_b64 s[8:9], s[6:7]
	s_xor_b64 s[6:7], exec, s[8:9]
	s_cbranch_execnz .LBB48_2661
; %bb.613:
	s_or_saveexec_b64 s[6:7], s[6:7]
	v_mov_b32_e32 v11, s10
	s_xor_b64 exec, exec, s[6:7]
	s_cbranch_execnz .LBB48_2664
.LBB48_614:
	s_or_b64 exec, exec, s[6:7]
	s_and_saveexec_b64 s[6:7], s[4:5]
	s_cbranch_execz .LBB48_616
.LBB48_615:
	v_and_b32_e32 v11, 7, v13
	v_ffbh_u32_e32 v14, v11
	v_min_u32_e32 v14, 32, v14
	v_lshrrev_b16_e32 v12, 3, v13
	v_subrev_u32_e32 v15, 28, v14
	v_and_b32_e32 v12, 15, v12
	v_lshlrev_b32_e32 v15, v15, v13
	v_sub_u32_e32 v14, 29, v14
	v_and_b32_e32 v15, 7, v15
	v_cmp_eq_u16_e32 vcc, 0, v12
	v_cndmask_b32_e32 v11, v11, v15, vcc
	v_cndmask_b32_e32 v12, v12, v14, vcc
	v_lshlrev_b32_e32 v14, 24, v13
	v_mov_b32_e32 v15, 0x3b800000
	v_lshlrev_b32_e32 v11, 20, v11
	v_and_b32_e32 v14, 0x80000000, v14
	v_lshl_add_u32 v12, v12, 23, v15
	v_or3_b32 v11, v14, v12, v11
.LBB48_616:
	s_or_b64 exec, exec, s[6:7]
	s_nop 0
	v_mfma_f32_16x16x4f32 a[0:3], v10, v11, a[0:3]
	v_lshrrev_b32_e32 v11, 8, v17
	s_movk_i32 s4, 0x7f
	v_cmp_gt_i16_sdwa s[6:7], v11, s4 src0_sel:BYTE_0 src1_sel:DWORD
	s_mov_b64 s[4:5], 0
                                        ; implicit-def: $sgpr10
	s_and_saveexec_b64 s[8:9], s[6:7]
	s_xor_b64 s[6:7], exec, s[8:9]
	s_cbranch_execnz .LBB48_2665
; %bb.617:
	s_or_saveexec_b64 s[6:7], s[6:7]
	v_mov_b32_e32 v10, s10
	s_xor_b64 exec, exec, s[6:7]
	s_cbranch_execnz .LBB48_2668
.LBB48_618:
	s_or_b64 exec, exec, s[6:7]
	s_and_saveexec_b64 s[6:7], s[4:5]
	s_cbranch_execz .LBB48_620
.LBB48_619:
	v_bfe_u32 v10, v17, 8, 3
	v_ffbh_u32_e32 v14, v10
	v_min_u32_e32 v14, 32, v14
	v_lshrrev_b16_e32 v12, 3, v11
	v_subrev_u32_e32 v15, 28, v14
	v_and_b32_e32 v12, 15, v12
	v_lshlrev_b32_e32 v11, v15, v11
	v_sub_u32_e32 v14, 29, v14
	v_and_b32_e32 v11, 7, v11
	v_cmp_eq_u16_e32 vcc, 0, v12
	v_cndmask_b32_e32 v10, v10, v11, vcc
	v_cndmask_b32_e32 v11, v12, v14, vcc
	v_lshlrev_b32_e32 v12, 16, v17
	v_mov_b32_e32 v14, 0x3b800000
	v_lshlrev_b32_e32 v10, 20, v10
	v_and_b32_e32 v12, 0x80000000, v12
	v_lshl_add_u32 v11, v11, 23, v14
	v_or3_b32 v10, v12, v11, v10
.LBB48_620:
	s_or_b64 exec, exec, s[6:7]
	v_lshrrev_b32_e32 v11, 8, v13
	s_movk_i32 s4, 0x7f
	v_cmp_gt_i16_sdwa s[6:7], v11, s4 src0_sel:BYTE_0 src1_sel:DWORD
	s_mov_b64 s[4:5], 0
                                        ; implicit-def: $sgpr10
	s_and_saveexec_b64 s[8:9], s[6:7]
	s_xor_b64 s[6:7], exec, s[8:9]
	s_cbranch_execnz .LBB48_2669
; %bb.621:
	s_or_saveexec_b64 s[6:7], s[6:7]
	v_mov_b32_e32 v12, s10
	s_xor_b64 exec, exec, s[6:7]
	s_cbranch_execnz .LBB48_2672
.LBB48_622:
	s_or_b64 exec, exec, s[6:7]
	s_and_saveexec_b64 s[6:7], s[4:5]
	s_cbranch_execz .LBB48_624
.LBB48_623:
	v_bfe_u32 v12, v13, 8, 3
	v_ffbh_u32_e32 v15, v12
	v_min_u32_e32 v15, 32, v15
	v_lshrrev_b16_e32 v14, 3, v11
	v_subrev_u32_e32 v16, 28, v15
	v_and_b32_e32 v14, 15, v14
	v_lshlrev_b32_e32 v11, v16, v11
	v_sub_u32_e32 v15, 29, v15
	v_and_b32_e32 v11, 7, v11
	v_cmp_eq_u16_e32 vcc, 0, v14
	v_cndmask_b32_e32 v11, v12, v11, vcc
	v_cndmask_b32_e32 v12, v14, v15, vcc
	v_lshlrev_b32_e32 v14, 16, v13
	v_mov_b32_e32 v15, 0x3b800000
	v_lshlrev_b32_e32 v11, 20, v11
	v_and_b32_e32 v14, 0x80000000, v14
	v_lshl_add_u32 v12, v12, 23, v15
	v_or3_b32 v12, v14, v12, v11
.LBB48_624:
	s_or_b64 exec, exec, s[6:7]
	s_nop 0
	v_mfma_f32_16x16x4f32 a[0:3], v10, v12, a[0:3]
	s_movk_i32 s4, 0xff
	v_and_b32_sdwa v11, v17, s4 dst_sel:DWORD dst_unused:UNUSED_PAD src0_sel:WORD_1 src1_sel:DWORD
	s_movk_i32 s4, 0x7f
	v_cmp_lt_i16_e32 vcc, s4, v11
	s_mov_b64 s[4:5], 0
                                        ; implicit-def: $sgpr10
	s_and_saveexec_b64 s[6:7], vcc
	s_xor_b64 s[6:7], exec, s[6:7]
	s_cbranch_execnz .LBB48_2673
; %bb.625:
	s_or_saveexec_b64 s[6:7], s[6:7]
	v_mov_b32_e32 v10, s10
	s_xor_b64 exec, exec, s[6:7]
	s_cbranch_execnz .LBB48_2676
.LBB48_626:
	s_or_b64 exec, exec, s[6:7]
	s_and_saveexec_b64 s[6:7], s[4:5]
	s_cbranch_execz .LBB48_628
.LBB48_627:
	v_bfe_u32 v10, v17, 16, 3
	v_ffbh_u32_e32 v14, v10
	v_min_u32_e32 v14, 32, v14
	v_lshrrev_b32_e32 v11, 19, v17
	v_subrev_u32_e32 v15, 28, v14
	v_and_b32_e32 v11, 15, v11
	v_lshlrev_b32_sdwa v15, v15, v17 dst_sel:DWORD dst_unused:UNUSED_PAD src0_sel:DWORD src1_sel:WORD_1
	v_bfe_u32 v12, v17, 19, 4
	v_sub_u32_e32 v14, 29, v14
	v_and_b32_e32 v15, 7, v15
	v_cmp_eq_u16_e32 vcc, 0, v11
	v_cndmask_b32_e32 v10, v10, v15, vcc
	v_cndmask_b32_e32 v11, v12, v14, vcc
	v_lshlrev_b32_e32 v12, 8, v17
	v_mov_b32_e32 v14, 0x3b800000
	v_lshlrev_b32_e32 v10, 20, v10
	v_and_b32_e32 v12, 0x80000000, v12
	v_lshl_add_u32 v11, v11, 23, v14
	v_or3_b32 v10, v12, v11, v10
.LBB48_628:
	s_or_b64 exec, exec, s[6:7]
	s_movk_i32 s4, 0xff
	v_and_b32_sdwa v11, v13, s4 dst_sel:DWORD dst_unused:UNUSED_PAD src0_sel:WORD_1 src1_sel:DWORD
	s_movk_i32 s4, 0x7f
	v_cmp_lt_i16_e32 vcc, s4, v11
	s_mov_b64 s[4:5], 0
                                        ; implicit-def: $sgpr10
	s_and_saveexec_b64 s[6:7], vcc
	s_xor_b64 s[6:7], exec, s[6:7]
	s_cbranch_execnz .LBB48_2677
; %bb.629:
	s_or_saveexec_b64 s[6:7], s[6:7]
	v_mov_b32_e32 v12, s10
	s_xor_b64 exec, exec, s[6:7]
	s_cbranch_execnz .LBB48_2680
.LBB48_630:
	s_or_b64 exec, exec, s[6:7]
	s_and_saveexec_b64 s[6:7], s[4:5]
	s_cbranch_execz .LBB48_632
.LBB48_631:
	v_bfe_u32 v11, v13, 16, 3
	v_ffbh_u32_e32 v15, v11
	v_min_u32_e32 v15, 32, v15
	v_lshrrev_b32_e32 v12, 19, v13
	v_subrev_u32_e32 v16, 28, v15
	v_and_b32_e32 v12, 15, v12
	v_lshlrev_b32_sdwa v16, v16, v13 dst_sel:DWORD dst_unused:UNUSED_PAD src0_sel:DWORD src1_sel:WORD_1
	v_bfe_u32 v14, v13, 19, 4
	v_sub_u32_e32 v15, 29, v15
	v_and_b32_e32 v16, 7, v16
	v_cmp_eq_u16_e32 vcc, 0, v12
	v_cndmask_b32_e32 v11, v11, v16, vcc
	v_cndmask_b32_e32 v12, v14, v15, vcc
	v_lshlrev_b32_e32 v14, 8, v13
	v_mov_b32_e32 v15, 0x3b800000
	v_lshlrev_b32_e32 v11, 20, v11
	v_and_b32_e32 v14, 0x80000000, v14
	v_lshl_add_u32 v12, v12, 23, v15
	v_or3_b32 v12, v14, v12, v11
.LBB48_632:
	s_or_b64 exec, exec, s[6:7]
	s_nop 0
	v_mfma_f32_16x16x4f32 a[0:3], v10, v12, a[0:3]
	s_movk_i32 s4, 0x7f
	v_cmp_gt_i16_sdwa s[6:7], v17, s4 src0_sel:BYTE_3 src1_sel:DWORD
	s_mov_b64 s[4:5], 0
                                        ; implicit-def: $sgpr10
	s_and_saveexec_b64 s[8:9], s[6:7]
	s_xor_b64 s[6:7], exec, s[8:9]
	s_cbranch_execnz .LBB48_2681
; %bb.633:
	s_or_saveexec_b64 s[6:7], s[6:7]
	v_mov_b32_e32 v10, s10
	s_xor_b64 exec, exec, s[6:7]
	s_cbranch_execnz .LBB48_2684
.LBB48_634:
	s_or_b64 exec, exec, s[6:7]
	s_and_saveexec_b64 s[6:7], s[4:5]
	s_cbranch_execz .LBB48_636
.LBB48_635:
	v_bfe_u32 v10, v17, 24, 3
	v_ffbh_u32_e32 v15, v10
	v_min_u32_e32 v15, 32, v15
	v_lshrrev_b32_e32 v12, 27, v17
	v_subrev_u32_e32 v16, 28, v15
	v_and_b32_e32 v12, 15, v12
	v_lshlrev_b32_sdwa v16, v16, v17 dst_sel:DWORD dst_unused:UNUSED_PAD src0_sel:DWORD src1_sel:BYTE_3
	v_bfe_u32 v14, v17, 27, 4
	v_sub_u32_e32 v15, 29, v15
	v_and_b32_e32 v16, 7, v16
	v_cmp_eq_u16_e32 vcc, 0, v12
	v_cndmask_b32_e32 v10, v10, v16, vcc
	v_cndmask_b32_e32 v12, v14, v15, vcc
	v_mov_b32_e32 v14, 0x3b800000
	v_and_b32_e32 v11, 0x80000000, v17
	v_lshlrev_b32_e32 v10, 20, v10
	v_lshl_add_u32 v12, v12, 23, v14
	v_or3_b32 v10, v11, v12, v10
.LBB48_636:
	s_or_b64 exec, exec, s[6:7]
	s_movk_i32 s4, 0x7f
	v_cmp_gt_i16_sdwa s[6:7], v13, s4 src0_sel:BYTE_3 src1_sel:DWORD
	s_mov_b64 s[4:5], 0
                                        ; implicit-def: $sgpr10
	s_and_saveexec_b64 s[8:9], s[6:7]
	s_xor_b64 s[6:7], exec, s[8:9]
	s_cbranch_execnz .LBB48_2685
; %bb.637:
	s_or_saveexec_b64 s[6:7], s[6:7]
	v_mov_b32_e32 v11, s10
	s_xor_b64 exec, exec, s[6:7]
	s_cbranch_execnz .LBB48_2688
.LBB48_638:
	s_or_b64 exec, exec, s[6:7]
	s_and_saveexec_b64 s[6:7], s[4:5]
	s_cbranch_execz .LBB48_640
.LBB48_639:
	v_bfe_u32 v11, v13, 24, 3
	v_ffbh_u32_e32 v16, v11
	v_min_u32_e32 v16, 32, v16
	v_lshrrev_b32_e32 v14, 27, v13
	v_subrev_u32_e32 v17, 28, v16
	v_and_b32_e32 v12, 0x80000000, v13
	v_and_b32_e32 v14, 15, v14
	v_bfe_u32 v15, v13, 27, 4
	v_lshlrev_b32_sdwa v13, v17, v13 dst_sel:DWORD dst_unused:UNUSED_PAD src0_sel:DWORD src1_sel:BYTE_3
	v_sub_u32_e32 v16, 29, v16
	v_and_b32_e32 v13, 7, v13
	v_cmp_eq_u16_e32 vcc, 0, v14
	v_cndmask_b32_e32 v11, v11, v13, vcc
	v_cndmask_b32_e32 v13, v15, v16, vcc
	v_mov_b32_e32 v14, 0x3b800000
	v_lshlrev_b32_e32 v11, 20, v11
	v_lshl_add_u32 v13, v13, 23, v14
	v_or3_b32 v11, v12, v13, v11
.LBB48_640:
	s_or_b64 exec, exec, s[6:7]
	s_nop 0
	v_mfma_f32_16x16x4f32 a[0:3], v10, v11, a[0:3]
	s_movk_i32 s4, 0x7f
	v_cmp_gt_i16_sdwa s[6:7], v6, s4 src0_sel:BYTE_0 src1_sel:DWORD
	s_mov_b64 s[4:5], 0
                                        ; implicit-def: $sgpr10
	s_and_saveexec_b64 s[8:9], s[6:7]
	s_xor_b64 s[6:7], exec, s[8:9]
	s_cbranch_execnz .LBB48_2689
; %bb.641:
	s_or_saveexec_b64 s[6:7], s[6:7]
	v_mov_b32_e32 v10, s10
	s_xor_b64 exec, exec, s[6:7]
	s_cbranch_execnz .LBB48_2692
.LBB48_642:
	s_or_b64 exec, exec, s[6:7]
	s_and_saveexec_b64 s[6:7], s[4:5]
	s_cbranch_execz .LBB48_644
.LBB48_643:
	v_and_b32_e32 v10, 7, v6
	v_ffbh_u32_e32 v12, v10
	v_min_u32_e32 v12, 32, v12
	v_lshrrev_b16_e32 v11, 3, v6
	v_subrev_u32_e32 v13, 28, v12
	v_and_b32_e32 v11, 15, v11
	v_lshlrev_b32_e32 v13, v13, v6
	v_sub_u32_e32 v12, 29, v12
	v_and_b32_e32 v13, 7, v13
	v_cmp_eq_u16_e32 vcc, 0, v11
	v_cndmask_b32_e32 v10, v10, v13, vcc
	v_cndmask_b32_e32 v11, v11, v12, vcc
	v_lshlrev_b32_e32 v12, 24, v6
	v_mov_b32_e32 v13, 0x3b800000
	v_lshlrev_b32_e32 v10, 20, v10
	v_and_b32_e32 v12, 0x80000000, v12
	v_lshl_add_u32 v11, v11, 23, v13
	v_or3_b32 v10, v12, v11, v10
.LBB48_644:
	s_or_b64 exec, exec, s[6:7]
	s_movk_i32 s4, 0x7f
	v_cmp_gt_i16_sdwa s[6:7], v2, s4 src0_sel:BYTE_0 src1_sel:DWORD
	s_mov_b64 s[4:5], 0
                                        ; implicit-def: $sgpr10
	s_and_saveexec_b64 s[8:9], s[6:7]
	s_xor_b64 s[6:7], exec, s[8:9]
	s_cbranch_execnz .LBB48_2693
; %bb.645:
	s_or_saveexec_b64 s[6:7], s[6:7]
	v_mov_b32_e32 v11, s10
	s_xor_b64 exec, exec, s[6:7]
	s_cbranch_execnz .LBB48_2696
.LBB48_646:
	s_or_b64 exec, exec, s[6:7]
	s_and_saveexec_b64 s[6:7], s[4:5]
	s_cbranch_execz .LBB48_648
.LBB48_647:
	v_and_b32_e32 v11, 7, v2
	v_ffbh_u32_e32 v13, v11
	v_min_u32_e32 v13, 32, v13
	v_lshrrev_b16_e32 v12, 3, v2
	v_subrev_u32_e32 v14, 28, v13
	v_and_b32_e32 v12, 15, v12
	v_lshlrev_b32_e32 v14, v14, v2
	v_sub_u32_e32 v13, 29, v13
	v_and_b32_e32 v14, 7, v14
	v_cmp_eq_u16_e32 vcc, 0, v12
	v_cndmask_b32_e32 v11, v11, v14, vcc
	v_cndmask_b32_e32 v12, v12, v13, vcc
	v_lshlrev_b32_e32 v13, 24, v2
	v_mov_b32_e32 v14, 0x3b800000
	v_lshlrev_b32_e32 v11, 20, v11
	v_and_b32_e32 v13, 0x80000000, v13
	v_lshl_add_u32 v12, v12, 23, v14
	v_or3_b32 v11, v13, v12, v11
.LBB48_648:
	s_or_b64 exec, exec, s[6:7]
	s_nop 0
	v_mfma_f32_16x16x4f32 a[0:3], v10, v11, a[0:3]
	v_lshrrev_b32_e32 v11, 8, v6
	s_movk_i32 s4, 0x7f
	v_cmp_gt_i16_sdwa s[6:7], v11, s4 src0_sel:BYTE_0 src1_sel:DWORD
	s_mov_b64 s[4:5], 0
                                        ; implicit-def: $sgpr10
	s_and_saveexec_b64 s[8:9], s[6:7]
	s_xor_b64 s[6:7], exec, s[8:9]
	s_cbranch_execnz .LBB48_2697
; %bb.649:
	s_or_saveexec_b64 s[6:7], s[6:7]
	v_mov_b32_e32 v10, s10
	s_xor_b64 exec, exec, s[6:7]
	s_cbranch_execnz .LBB48_2700
.LBB48_650:
	s_or_b64 exec, exec, s[6:7]
	s_and_saveexec_b64 s[6:7], s[4:5]
	s_cbranch_execz .LBB48_652
.LBB48_651:
	v_bfe_u32 v10, v6, 8, 3
	v_ffbh_u32_e32 v13, v10
	v_min_u32_e32 v13, 32, v13
	v_lshrrev_b16_e32 v12, 3, v11
	v_subrev_u32_e32 v14, 28, v13
	v_and_b32_e32 v12, 15, v12
	v_lshlrev_b32_e32 v11, v14, v11
	v_sub_u32_e32 v13, 29, v13
	v_and_b32_e32 v11, 7, v11
	v_cmp_eq_u16_e32 vcc, 0, v12
	v_cndmask_b32_e32 v10, v10, v11, vcc
	v_cndmask_b32_e32 v11, v12, v13, vcc
	v_lshlrev_b32_e32 v12, 16, v6
	v_mov_b32_e32 v13, 0x3b800000
	v_lshlrev_b32_e32 v10, 20, v10
	v_and_b32_e32 v12, 0x80000000, v12
	v_lshl_add_u32 v11, v11, 23, v13
	v_or3_b32 v10, v12, v11, v10
.LBB48_652:
	s_or_b64 exec, exec, s[6:7]
	v_lshrrev_b32_e32 v11, 8, v2
	s_movk_i32 s4, 0x7f
	v_cmp_gt_i16_sdwa s[6:7], v11, s4 src0_sel:BYTE_0 src1_sel:DWORD
	s_mov_b64 s[4:5], 0
                                        ; implicit-def: $sgpr10
	s_and_saveexec_b64 s[8:9], s[6:7]
	s_xor_b64 s[6:7], exec, s[8:9]
	s_cbranch_execnz .LBB48_2701
; %bb.653:
	s_or_saveexec_b64 s[6:7], s[6:7]
	v_mov_b32_e32 v12, s10
	s_xor_b64 exec, exec, s[6:7]
	s_cbranch_execnz .LBB48_2704
.LBB48_654:
	s_or_b64 exec, exec, s[6:7]
	s_and_saveexec_b64 s[6:7], s[4:5]
	s_cbranch_execz .LBB48_656
.LBB48_655:
	v_bfe_u32 v12, v2, 8, 3
	v_ffbh_u32_e32 v14, v12
	v_min_u32_e32 v14, 32, v14
	v_lshrrev_b16_e32 v13, 3, v11
	v_subrev_u32_e32 v15, 28, v14
	v_and_b32_e32 v13, 15, v13
	v_lshlrev_b32_e32 v11, v15, v11
	v_sub_u32_e32 v14, 29, v14
	v_and_b32_e32 v11, 7, v11
	v_cmp_eq_u16_e32 vcc, 0, v13
	v_cndmask_b32_e32 v11, v12, v11, vcc
	v_cndmask_b32_e32 v12, v13, v14, vcc
	v_lshlrev_b32_e32 v13, 16, v2
	v_mov_b32_e32 v14, 0x3b800000
	v_lshlrev_b32_e32 v11, 20, v11
	v_and_b32_e32 v13, 0x80000000, v13
	v_lshl_add_u32 v12, v12, 23, v14
	v_or3_b32 v12, v13, v12, v11
.LBB48_656:
	s_or_b64 exec, exec, s[6:7]
	s_nop 0
	v_mfma_f32_16x16x4f32 a[0:3], v10, v12, a[0:3]
	s_movk_i32 s4, 0xff
	v_and_b32_sdwa v11, v6, s4 dst_sel:DWORD dst_unused:UNUSED_PAD src0_sel:WORD_1 src1_sel:DWORD
	s_movk_i32 s4, 0x7f
	v_cmp_lt_i16_e32 vcc, s4, v11
	s_mov_b64 s[4:5], 0
                                        ; implicit-def: $sgpr10
	s_and_saveexec_b64 s[6:7], vcc
	s_xor_b64 s[6:7], exec, s[6:7]
	s_cbranch_execnz .LBB48_2705
; %bb.657:
	s_or_saveexec_b64 s[6:7], s[6:7]
	v_mov_b32_e32 v10, s10
	s_xor_b64 exec, exec, s[6:7]
	s_cbranch_execnz .LBB48_2708
.LBB48_658:
	s_or_b64 exec, exec, s[6:7]
	s_and_saveexec_b64 s[6:7], s[4:5]
	s_cbranch_execz .LBB48_660
.LBB48_659:
	v_bfe_u32 v10, v6, 16, 3
	v_ffbh_u32_e32 v13, v10
	v_min_u32_e32 v13, 32, v13
	v_lshrrev_b32_e32 v11, 19, v6
	v_subrev_u32_e32 v14, 28, v13
	v_and_b32_e32 v11, 15, v11
	v_lshlrev_b32_sdwa v14, v14, v6 dst_sel:DWORD dst_unused:UNUSED_PAD src0_sel:DWORD src1_sel:WORD_1
	v_bfe_u32 v12, v6, 19, 4
	v_sub_u32_e32 v13, 29, v13
	v_and_b32_e32 v14, 7, v14
	v_cmp_eq_u16_e32 vcc, 0, v11
	v_cndmask_b32_e32 v10, v10, v14, vcc
	v_cndmask_b32_e32 v11, v12, v13, vcc
	v_lshlrev_b32_e32 v12, 8, v6
	v_mov_b32_e32 v13, 0x3b800000
	v_lshlrev_b32_e32 v10, 20, v10
	v_and_b32_e32 v12, 0x80000000, v12
	v_lshl_add_u32 v11, v11, 23, v13
	v_or3_b32 v10, v12, v11, v10
.LBB48_660:
	s_or_b64 exec, exec, s[6:7]
	s_movk_i32 s4, 0xff
	v_and_b32_sdwa v11, v2, s4 dst_sel:DWORD dst_unused:UNUSED_PAD src0_sel:WORD_1 src1_sel:DWORD
	s_movk_i32 s4, 0x7f
	v_cmp_lt_i16_e32 vcc, s4, v11
	s_mov_b64 s[4:5], 0
                                        ; implicit-def: $sgpr10
	s_and_saveexec_b64 s[6:7], vcc
	s_xor_b64 s[6:7], exec, s[6:7]
	s_cbranch_execnz .LBB48_2709
; %bb.661:
	s_or_saveexec_b64 s[6:7], s[6:7]
	v_mov_b32_e32 v12, s10
	s_xor_b64 exec, exec, s[6:7]
	s_cbranch_execnz .LBB48_2712
.LBB48_662:
	s_or_b64 exec, exec, s[6:7]
	s_and_saveexec_b64 s[6:7], s[4:5]
	s_cbranch_execz .LBB48_664
.LBB48_663:
	v_bfe_u32 v11, v2, 16, 3
	v_ffbh_u32_e32 v14, v11
	v_min_u32_e32 v14, 32, v14
	v_lshrrev_b32_e32 v12, 19, v2
	v_subrev_u32_e32 v15, 28, v14
	v_and_b32_e32 v12, 15, v12
	v_lshlrev_b32_sdwa v15, v15, v2 dst_sel:DWORD dst_unused:UNUSED_PAD src0_sel:DWORD src1_sel:WORD_1
	v_bfe_u32 v13, v2, 19, 4
	v_sub_u32_e32 v14, 29, v14
	v_and_b32_e32 v15, 7, v15
	v_cmp_eq_u16_e32 vcc, 0, v12
	v_cndmask_b32_e32 v11, v11, v15, vcc
	v_cndmask_b32_e32 v12, v13, v14, vcc
	v_lshlrev_b32_e32 v13, 8, v2
	v_mov_b32_e32 v14, 0x3b800000
	v_lshlrev_b32_e32 v11, 20, v11
	v_and_b32_e32 v13, 0x80000000, v13
	v_lshl_add_u32 v12, v12, 23, v14
	v_or3_b32 v12, v13, v12, v11
.LBB48_664:
	s_or_b64 exec, exec, s[6:7]
	s_nop 0
	v_mfma_f32_16x16x4f32 a[0:3], v10, v12, a[0:3]
	s_movk_i32 s4, 0x7f
	v_cmp_gt_i16_sdwa s[6:7], v6, s4 src0_sel:BYTE_3 src1_sel:DWORD
	s_mov_b64 s[4:5], 0
                                        ; implicit-def: $sgpr10
	s_and_saveexec_b64 s[8:9], s[6:7]
	s_xor_b64 s[6:7], exec, s[8:9]
	s_cbranch_execnz .LBB48_2713
; %bb.665:
	s_or_saveexec_b64 s[6:7], s[6:7]
	v_mov_b32_e32 v10, s10
	s_xor_b64 exec, exec, s[6:7]
	s_cbranch_execnz .LBB48_2716
.LBB48_666:
	s_or_b64 exec, exec, s[6:7]
	s_and_saveexec_b64 s[6:7], s[4:5]
	s_cbranch_execz .LBB48_668
.LBB48_667:
	v_bfe_u32 v10, v6, 24, 3
	v_ffbh_u32_e32 v14, v10
	v_min_u32_e32 v14, 32, v14
	v_lshrrev_b32_e32 v12, 27, v6
	v_subrev_u32_e32 v15, 28, v14
	v_and_b32_e32 v11, 0x80000000, v6
	v_and_b32_e32 v12, 15, v12
	v_bfe_u32 v13, v6, 27, 4
	v_lshlrev_b32_sdwa v6, v15, v6 dst_sel:DWORD dst_unused:UNUSED_PAD src0_sel:DWORD src1_sel:BYTE_3
	v_sub_u32_e32 v14, 29, v14
	v_and_b32_e32 v6, 7, v6
	v_cmp_eq_u16_e32 vcc, 0, v12
	v_cndmask_b32_e32 v6, v10, v6, vcc
	v_cndmask_b32_e32 v10, v13, v14, vcc
	v_mov_b32_e32 v12, 0x3b800000
	v_lshlrev_b32_e32 v6, 20, v6
	v_lshl_add_u32 v10, v10, 23, v12
	v_or3_b32 v10, v11, v10, v6
.LBB48_668:
	s_or_b64 exec, exec, s[6:7]
	s_movk_i32 s4, 0x7f
	v_cmp_gt_i16_sdwa s[6:7], v2, s4 src0_sel:BYTE_3 src1_sel:DWORD
	s_mov_b64 s[4:5], 0
                                        ; implicit-def: $sgpr10
	s_and_saveexec_b64 s[8:9], s[6:7]
	s_xor_b64 s[6:7], exec, s[8:9]
	s_cbranch_execnz .LBB48_2717
; %bb.669:
	s_or_saveexec_b64 s[6:7], s[6:7]
	v_mov_b32_e32 v6, s10
	s_xor_b64 exec, exec, s[6:7]
	s_cbranch_execnz .LBB48_2720
.LBB48_670:
	s_or_b64 exec, exec, s[6:7]
	s_and_saveexec_b64 s[6:7], s[4:5]
	s_cbranch_execz .LBB48_672
.LBB48_671:
	v_bfe_u32 v6, v2, 24, 3
	v_ffbh_u32_e32 v14, v6
	v_min_u32_e32 v14, 32, v14
	v_lshrrev_b32_e32 v12, 27, v2
	v_subrev_u32_e32 v15, 28, v14
	v_and_b32_e32 v11, 0x80000000, v2
	v_and_b32_e32 v12, 15, v12
	v_bfe_u32 v13, v2, 27, 4
	v_lshlrev_b32_sdwa v2, v15, v2 dst_sel:DWORD dst_unused:UNUSED_PAD src0_sel:DWORD src1_sel:BYTE_3
	v_sub_u32_e32 v14, 29, v14
	v_and_b32_e32 v2, 7, v2
	v_cmp_eq_u16_e32 vcc, 0, v12
	v_cndmask_b32_e32 v2, v6, v2, vcc
	v_cndmask_b32_e32 v6, v13, v14, vcc
	v_mov_b32_e32 v12, 0x3b800000
	v_lshlrev_b32_e32 v2, 20, v2
	v_lshl_add_u32 v6, v6, 23, v12
	v_or3_b32 v6, v11, v6, v2
.LBB48_672:
	s_or_b64 exec, exec, s[6:7]
	s_nop 0
	v_mfma_f32_16x16x4f32 a[0:3], v10, v6, a[0:3]
	s_movk_i32 s4, 0x7f
	v_cmp_gt_i16_sdwa s[6:7], v7, s4 src0_sel:BYTE_0 src1_sel:DWORD
	s_mov_b64 s[4:5], 0
                                        ; implicit-def: $sgpr10
	s_and_saveexec_b64 s[8:9], s[6:7]
	s_xor_b64 s[6:7], exec, s[8:9]
	s_cbranch_execnz .LBB48_2721
; %bb.673:
	s_or_saveexec_b64 s[6:7], s[6:7]
	v_mov_b32_e32 v2, s10
	s_xor_b64 exec, exec, s[6:7]
	s_cbranch_execnz .LBB48_2724
.LBB48_674:
	s_or_b64 exec, exec, s[6:7]
	s_and_saveexec_b64 s[6:7], s[4:5]
	s_cbranch_execz .LBB48_676
.LBB48_675:
	v_and_b32_e32 v2, 7, v7
	v_ffbh_u32_e32 v10, v2
	v_min_u32_e32 v10, 32, v10
	v_lshrrev_b16_e32 v6, 3, v7
	v_subrev_u32_e32 v11, 28, v10
	v_and_b32_e32 v6, 15, v6
	v_lshlrev_b32_e32 v11, v11, v7
	v_sub_u32_e32 v10, 29, v10
	v_and_b32_e32 v11, 7, v11
	v_cmp_eq_u16_e32 vcc, 0, v6
	v_cndmask_b32_e32 v2, v2, v11, vcc
	v_cndmask_b32_e32 v6, v6, v10, vcc
	v_lshlrev_b32_e32 v10, 24, v7
	v_mov_b32_e32 v11, 0x3b800000
	v_lshlrev_b32_e32 v2, 20, v2
	v_and_b32_e32 v10, 0x80000000, v10
	v_lshl_add_u32 v6, v6, 23, v11
	v_or3_b32 v2, v10, v6, v2
.LBB48_676:
	s_or_b64 exec, exec, s[6:7]
	s_movk_i32 s4, 0x7f
	v_cmp_gt_i16_sdwa s[6:7], v3, s4 src0_sel:BYTE_0 src1_sel:DWORD
	s_mov_b64 s[4:5], 0
                                        ; implicit-def: $sgpr10
	s_and_saveexec_b64 s[8:9], s[6:7]
	s_xor_b64 s[6:7], exec, s[8:9]
	s_cbranch_execnz .LBB48_2725
; %bb.677:
	s_or_saveexec_b64 s[6:7], s[6:7]
	v_mov_b32_e32 v6, s10
	s_xor_b64 exec, exec, s[6:7]
	s_cbranch_execnz .LBB48_2728
.LBB48_678:
	s_or_b64 exec, exec, s[6:7]
	s_and_saveexec_b64 s[6:7], s[4:5]
	s_cbranch_execz .LBB48_680
.LBB48_679:
	v_and_b32_e32 v6, 7, v3
	v_ffbh_u32_e32 v11, v6
	v_min_u32_e32 v11, 32, v11
	v_lshrrev_b16_e32 v10, 3, v3
	v_subrev_u32_e32 v12, 28, v11
	v_and_b32_e32 v10, 15, v10
	v_lshlrev_b32_e32 v12, v12, v3
	v_sub_u32_e32 v11, 29, v11
	v_and_b32_e32 v12, 7, v12
	v_cmp_eq_u16_e32 vcc, 0, v10
	v_cndmask_b32_e32 v6, v6, v12, vcc
	v_cndmask_b32_e32 v10, v10, v11, vcc
	v_lshlrev_b32_e32 v11, 24, v3
	v_mov_b32_e32 v12, 0x3b800000
	v_lshlrev_b32_e32 v6, 20, v6
	v_and_b32_e32 v11, 0x80000000, v11
	v_lshl_add_u32 v10, v10, 23, v12
	v_or3_b32 v6, v11, v10, v6
.LBB48_680:
	s_or_b64 exec, exec, s[6:7]
	s_nop 0
	v_mfma_f32_16x16x4f32 a[0:3], v2, v6, a[0:3]
	v_lshrrev_b32_e32 v6, 8, v7
	s_movk_i32 s4, 0x7f
	v_cmp_gt_i16_sdwa s[6:7], v6, s4 src0_sel:BYTE_0 src1_sel:DWORD
	s_mov_b64 s[4:5], 0
                                        ; implicit-def: $sgpr10
	s_and_saveexec_b64 s[8:9], s[6:7]
	s_xor_b64 s[6:7], exec, s[8:9]
	s_cbranch_execnz .LBB48_2729
; %bb.681:
	s_or_saveexec_b64 s[6:7], s[6:7]
	v_mov_b32_e32 v2, s10
	s_xor_b64 exec, exec, s[6:7]
	s_cbranch_execnz .LBB48_2732
.LBB48_682:
	s_or_b64 exec, exec, s[6:7]
	s_and_saveexec_b64 s[6:7], s[4:5]
	s_cbranch_execz .LBB48_684
.LBB48_683:
	v_bfe_u32 v2, v7, 8, 3
	v_ffbh_u32_e32 v11, v2
	v_min_u32_e32 v11, 32, v11
	v_lshrrev_b16_e32 v10, 3, v6
	v_subrev_u32_e32 v12, 28, v11
	v_and_b32_e32 v10, 15, v10
	v_lshlrev_b32_e32 v6, v12, v6
	v_sub_u32_e32 v11, 29, v11
	v_and_b32_e32 v6, 7, v6
	v_cmp_eq_u16_e32 vcc, 0, v10
	v_cndmask_b32_e32 v2, v2, v6, vcc
	v_cndmask_b32_e32 v6, v10, v11, vcc
	v_lshlrev_b32_e32 v10, 16, v7
	v_mov_b32_e32 v11, 0x3b800000
	v_lshlrev_b32_e32 v2, 20, v2
	v_and_b32_e32 v10, 0x80000000, v10
	v_lshl_add_u32 v6, v6, 23, v11
	v_or3_b32 v2, v10, v6, v2
.LBB48_684:
	s_or_b64 exec, exec, s[6:7]
	v_lshrrev_b32_e32 v6, 8, v3
	s_movk_i32 s4, 0x7f
	v_cmp_gt_i16_sdwa s[6:7], v6, s4 src0_sel:BYTE_0 src1_sel:DWORD
	s_mov_b64 s[4:5], 0
                                        ; implicit-def: $sgpr10
	s_and_saveexec_b64 s[8:9], s[6:7]
	s_xor_b64 s[6:7], exec, s[8:9]
	s_cbranch_execnz .LBB48_2733
; %bb.685:
	s_or_saveexec_b64 s[6:7], s[6:7]
	v_mov_b32_e32 v10, s10
	s_xor_b64 exec, exec, s[6:7]
	s_cbranch_execnz .LBB48_2736
.LBB48_686:
	s_or_b64 exec, exec, s[6:7]
	s_and_saveexec_b64 s[6:7], s[4:5]
	s_cbranch_execz .LBB48_688
.LBB48_687:
	v_bfe_u32 v10, v3, 8, 3
	v_ffbh_u32_e32 v12, v10
	v_min_u32_e32 v12, 32, v12
	v_lshrrev_b16_e32 v11, 3, v6
	v_subrev_u32_e32 v13, 28, v12
	v_and_b32_e32 v11, 15, v11
	v_lshlrev_b32_e32 v6, v13, v6
	v_sub_u32_e32 v12, 29, v12
	v_and_b32_e32 v6, 7, v6
	v_cmp_eq_u16_e32 vcc, 0, v11
	v_cndmask_b32_e32 v6, v10, v6, vcc
	v_cndmask_b32_e32 v10, v11, v12, vcc
	v_lshlrev_b32_e32 v11, 16, v3
	v_mov_b32_e32 v12, 0x3b800000
	v_lshlrev_b32_e32 v6, 20, v6
	v_and_b32_e32 v11, 0x80000000, v11
	v_lshl_add_u32 v10, v10, 23, v12
	v_or3_b32 v10, v11, v10, v6
.LBB48_688:
	s_or_b64 exec, exec, s[6:7]
	s_nop 0
	v_mfma_f32_16x16x4f32 a[0:3], v2, v10, a[0:3]
	s_movk_i32 s4, 0xff
	v_and_b32_sdwa v6, v7, s4 dst_sel:DWORD dst_unused:UNUSED_PAD src0_sel:WORD_1 src1_sel:DWORD
	s_movk_i32 s4, 0x7f
	v_cmp_lt_i16_e32 vcc, s4, v6
	s_mov_b64 s[4:5], 0
                                        ; implicit-def: $sgpr10
	s_and_saveexec_b64 s[6:7], vcc
	s_xor_b64 s[6:7], exec, s[6:7]
	s_cbranch_execnz .LBB48_2737
; %bb.689:
	s_or_saveexec_b64 s[6:7], s[6:7]
	v_mov_b32_e32 v2, s10
	s_xor_b64 exec, exec, s[6:7]
	s_cbranch_execnz .LBB48_2740
.LBB48_690:
	s_or_b64 exec, exec, s[6:7]
	s_and_saveexec_b64 s[6:7], s[4:5]
	s_cbranch_execz .LBB48_692
.LBB48_691:
	v_bfe_u32 v2, v7, 16, 3
	v_ffbh_u32_e32 v11, v2
	v_min_u32_e32 v11, 32, v11
	v_lshrrev_b32_e32 v6, 19, v7
	v_subrev_u32_e32 v12, 28, v11
	v_and_b32_e32 v6, 15, v6
	v_lshlrev_b32_sdwa v12, v12, v7 dst_sel:DWORD dst_unused:UNUSED_PAD src0_sel:DWORD src1_sel:WORD_1
	v_bfe_u32 v10, v7, 19, 4
	v_sub_u32_e32 v11, 29, v11
	v_and_b32_e32 v12, 7, v12
	v_cmp_eq_u16_e32 vcc, 0, v6
	v_cndmask_b32_e32 v2, v2, v12, vcc
	v_cndmask_b32_e32 v6, v10, v11, vcc
	v_lshlrev_b32_e32 v10, 8, v7
	v_mov_b32_e32 v11, 0x3b800000
	v_lshlrev_b32_e32 v2, 20, v2
	v_and_b32_e32 v10, 0x80000000, v10
	v_lshl_add_u32 v6, v6, 23, v11
	v_or3_b32 v2, v10, v6, v2
.LBB48_692:
	s_or_b64 exec, exec, s[6:7]
	s_movk_i32 s4, 0xff
	v_and_b32_sdwa v6, v3, s4 dst_sel:DWORD dst_unused:UNUSED_PAD src0_sel:WORD_1 src1_sel:DWORD
	s_movk_i32 s4, 0x7f
	v_cmp_lt_i16_e32 vcc, s4, v6
	s_mov_b64 s[4:5], 0
                                        ; implicit-def: $sgpr10
	s_and_saveexec_b64 s[6:7], vcc
	s_xor_b64 s[6:7], exec, s[6:7]
	s_cbranch_execnz .LBB48_2741
; %bb.693:
	s_or_saveexec_b64 s[6:7], s[6:7]
	v_mov_b32_e32 v10, s10
	s_xor_b64 exec, exec, s[6:7]
	s_cbranch_execnz .LBB48_2744
.LBB48_694:
	s_or_b64 exec, exec, s[6:7]
	s_and_saveexec_b64 s[6:7], s[4:5]
	s_cbranch_execz .LBB48_696
.LBB48_695:
	v_bfe_u32 v6, v3, 16, 3
	v_ffbh_u32_e32 v12, v6
	v_min_u32_e32 v12, 32, v12
	v_lshrrev_b32_e32 v10, 19, v3
	v_subrev_u32_e32 v13, 28, v12
	v_and_b32_e32 v10, 15, v10
	v_lshlrev_b32_sdwa v13, v13, v3 dst_sel:DWORD dst_unused:UNUSED_PAD src0_sel:DWORD src1_sel:WORD_1
	v_bfe_u32 v11, v3, 19, 4
	v_sub_u32_e32 v12, 29, v12
	v_and_b32_e32 v13, 7, v13
	v_cmp_eq_u16_e32 vcc, 0, v10
	v_cndmask_b32_e32 v6, v6, v13, vcc
	v_cndmask_b32_e32 v10, v11, v12, vcc
	v_lshlrev_b32_e32 v11, 8, v3
	v_mov_b32_e32 v12, 0x3b800000
	v_lshlrev_b32_e32 v6, 20, v6
	v_and_b32_e32 v11, 0x80000000, v11
	v_lshl_add_u32 v10, v10, 23, v12
	v_or3_b32 v10, v11, v10, v6
.LBB48_696:
	s_or_b64 exec, exec, s[6:7]
	s_nop 0
	v_mfma_f32_16x16x4f32 a[0:3], v2, v10, a[0:3]
	s_movk_i32 s4, 0x7f
	v_cmp_gt_i16_sdwa s[6:7], v7, s4 src0_sel:BYTE_3 src1_sel:DWORD
	s_mov_b64 s[4:5], 0
                                        ; implicit-def: $sgpr10
	s_and_saveexec_b64 s[8:9], s[6:7]
	s_xor_b64 s[6:7], exec, s[8:9]
	s_cbranch_execnz .LBB48_2745
; %bb.697:
	s_or_saveexec_b64 s[6:7], s[6:7]
	v_mov_b32_e32 v2, s10
	s_xor_b64 exec, exec, s[6:7]
	s_cbranch_execnz .LBB48_2748
.LBB48_698:
	s_or_b64 exec, exec, s[6:7]
	s_and_saveexec_b64 s[6:7], s[4:5]
	s_cbranch_execz .LBB48_700
.LBB48_699:
	v_bfe_u32 v2, v7, 24, 3
	v_ffbh_u32_e32 v12, v2
	v_min_u32_e32 v12, 32, v12
	v_lshrrev_b32_e32 v10, 27, v7
	v_subrev_u32_e32 v13, 28, v12
	v_and_b32_e32 v6, 0x80000000, v7
	v_and_b32_e32 v10, 15, v10
	v_bfe_u32 v11, v7, 27, 4
	v_lshlrev_b32_sdwa v7, v13, v7 dst_sel:DWORD dst_unused:UNUSED_PAD src0_sel:DWORD src1_sel:BYTE_3
	v_sub_u32_e32 v12, 29, v12
	v_and_b32_e32 v7, 7, v7
	v_cmp_eq_u16_e32 vcc, 0, v10
	v_cndmask_b32_e32 v2, v2, v7, vcc
	v_cndmask_b32_e32 v7, v11, v12, vcc
	v_mov_b32_e32 v10, 0x3b800000
	v_lshlrev_b32_e32 v2, 20, v2
	v_lshl_add_u32 v7, v7, 23, v10
	v_or3_b32 v2, v6, v7, v2
.LBB48_700:
	s_or_b64 exec, exec, s[6:7]
	s_movk_i32 s4, 0x7f
	v_cmp_gt_i16_sdwa s[6:7], v3, s4 src0_sel:BYTE_3 src1_sel:DWORD
	s_mov_b64 s[4:5], 0
                                        ; implicit-def: $sgpr10
	s_and_saveexec_b64 s[8:9], s[6:7]
	s_xor_b64 s[6:7], exec, s[8:9]
	s_cbranch_execnz .LBB48_2749
; %bb.701:
	s_or_saveexec_b64 s[6:7], s[6:7]
	v_mov_b32_e32 v6, s10
	s_xor_b64 exec, exec, s[6:7]
	s_cbranch_execnz .LBB48_2752
.LBB48_702:
	s_or_b64 exec, exec, s[6:7]
	s_and_saveexec_b64 s[6:7], s[4:5]
	s_cbranch_execz .LBB48_704
.LBB48_703:
	v_bfe_u32 v6, v3, 24, 3
	v_ffbh_u32_e32 v12, v6
	v_min_u32_e32 v12, 32, v12
	v_lshrrev_b32_e32 v10, 27, v3
	v_subrev_u32_e32 v13, 28, v12
	v_and_b32_e32 v7, 0x80000000, v3
	v_and_b32_e32 v10, 15, v10
	v_bfe_u32 v11, v3, 27, 4
	v_lshlrev_b32_sdwa v3, v13, v3 dst_sel:DWORD dst_unused:UNUSED_PAD src0_sel:DWORD src1_sel:BYTE_3
	v_sub_u32_e32 v12, 29, v12
	v_and_b32_e32 v3, 7, v3
	v_cmp_eq_u16_e32 vcc, 0, v10
	v_cndmask_b32_e32 v3, v6, v3, vcc
	v_cndmask_b32_e32 v6, v11, v12, vcc
	v_mov_b32_e32 v10, 0x3b800000
	v_lshlrev_b32_e32 v3, 20, v3
	v_lshl_add_u32 v6, v6, 23, v10
	v_or3_b32 v6, v7, v6, v3
.LBB48_704:
	s_or_b64 exec, exec, s[6:7]
	s_nop 0
	v_mfma_f32_16x16x4f32 a[0:3], v2, v6, a[0:3]
	s_movk_i32 s4, 0x7f
	v_cmp_gt_i16_sdwa s[6:7], v8, s4 src0_sel:BYTE_0 src1_sel:DWORD
	s_mov_b64 s[4:5], 0
                                        ; implicit-def: $sgpr10
	s_and_saveexec_b64 s[8:9], s[6:7]
	s_xor_b64 s[6:7], exec, s[8:9]
	s_cbranch_execnz .LBB48_2753
; %bb.705:
	s_or_saveexec_b64 s[6:7], s[6:7]
	v_mov_b32_e32 v2, s10
	s_xor_b64 exec, exec, s[6:7]
	s_cbranch_execnz .LBB48_2756
.LBB48_706:
	s_or_b64 exec, exec, s[6:7]
	s_and_saveexec_b64 s[6:7], s[4:5]
	s_cbranch_execz .LBB48_708
.LBB48_707:
	v_and_b32_e32 v2, 7, v8
	v_ffbh_u32_e32 v6, v2
	v_min_u32_e32 v6, 32, v6
	v_lshrrev_b16_e32 v3, 3, v8
	v_subrev_u32_e32 v7, 28, v6
	v_and_b32_e32 v3, 15, v3
	v_lshlrev_b32_e32 v7, v7, v8
	v_sub_u32_e32 v6, 29, v6
	v_and_b32_e32 v7, 7, v7
	v_cmp_eq_u16_e32 vcc, 0, v3
	v_cndmask_b32_e32 v2, v2, v7, vcc
	v_cndmask_b32_e32 v3, v3, v6, vcc
	v_lshlrev_b32_e32 v6, 24, v8
	v_mov_b32_e32 v7, 0x3b800000
	v_lshlrev_b32_e32 v2, 20, v2
	v_and_b32_e32 v6, 0x80000000, v6
	v_lshl_add_u32 v3, v3, 23, v7
	v_or3_b32 v2, v6, v3, v2
.LBB48_708:
	s_or_b64 exec, exec, s[6:7]
	s_movk_i32 s4, 0x7f
	v_cmp_gt_i16_sdwa s[6:7], v4, s4 src0_sel:BYTE_0 src1_sel:DWORD
	s_mov_b64 s[4:5], 0
                                        ; implicit-def: $sgpr10
	s_and_saveexec_b64 s[8:9], s[6:7]
	s_xor_b64 s[6:7], exec, s[8:9]
	s_cbranch_execnz .LBB48_2757
; %bb.709:
	s_or_saveexec_b64 s[6:7], s[6:7]
	v_mov_b32_e32 v3, s10
	s_xor_b64 exec, exec, s[6:7]
	s_cbranch_execnz .LBB48_2760
.LBB48_710:
	s_or_b64 exec, exec, s[6:7]
	s_and_saveexec_b64 s[6:7], s[4:5]
	s_cbranch_execz .LBB48_712
.LBB48_711:
	v_and_b32_e32 v3, 7, v4
	v_ffbh_u32_e32 v7, v3
	v_min_u32_e32 v7, 32, v7
	v_lshrrev_b16_e32 v6, 3, v4
	v_subrev_u32_e32 v10, 28, v7
	v_and_b32_e32 v6, 15, v6
	v_lshlrev_b32_e32 v10, v10, v4
	v_sub_u32_e32 v7, 29, v7
	v_and_b32_e32 v10, 7, v10
	v_cmp_eq_u16_e32 vcc, 0, v6
	v_cndmask_b32_e32 v3, v3, v10, vcc
	v_cndmask_b32_e32 v6, v6, v7, vcc
	v_lshlrev_b32_e32 v7, 24, v4
	v_mov_b32_e32 v10, 0x3b800000
	v_lshlrev_b32_e32 v3, 20, v3
	v_and_b32_e32 v7, 0x80000000, v7
	v_lshl_add_u32 v6, v6, 23, v10
	v_or3_b32 v3, v7, v6, v3
.LBB48_712:
	s_or_b64 exec, exec, s[6:7]
	s_nop 0
	v_mfma_f32_16x16x4f32 a[0:3], v2, v3, a[0:3]
	v_lshrrev_b32_e32 v3, 8, v8
	s_movk_i32 s4, 0x7f
	v_cmp_gt_i16_sdwa s[6:7], v3, s4 src0_sel:BYTE_0 src1_sel:DWORD
	s_mov_b64 s[4:5], 0
                                        ; implicit-def: $sgpr10
	s_and_saveexec_b64 s[8:9], s[6:7]
	s_xor_b64 s[6:7], exec, s[8:9]
	s_cbranch_execnz .LBB48_2761
; %bb.713:
	s_or_saveexec_b64 s[6:7], s[6:7]
	v_mov_b32_e32 v2, s10
	s_xor_b64 exec, exec, s[6:7]
	s_cbranch_execnz .LBB48_2764
.LBB48_714:
	s_or_b64 exec, exec, s[6:7]
	s_and_saveexec_b64 s[6:7], s[4:5]
	s_cbranch_execz .LBB48_716
.LBB48_715:
	v_bfe_u32 v2, v8, 8, 3
	v_ffbh_u32_e32 v7, v2
	v_min_u32_e32 v7, 32, v7
	v_lshrrev_b16_e32 v6, 3, v3
	v_subrev_u32_e32 v10, 28, v7
	v_and_b32_e32 v6, 15, v6
	v_lshlrev_b32_e32 v3, v10, v3
	v_sub_u32_e32 v7, 29, v7
	v_and_b32_e32 v3, 7, v3
	v_cmp_eq_u16_e32 vcc, 0, v6
	v_cndmask_b32_e32 v2, v2, v3, vcc
	v_cndmask_b32_e32 v3, v6, v7, vcc
	v_lshlrev_b32_e32 v6, 16, v8
	v_mov_b32_e32 v7, 0x3b800000
	v_lshlrev_b32_e32 v2, 20, v2
	v_and_b32_e32 v6, 0x80000000, v6
	v_lshl_add_u32 v3, v3, 23, v7
	v_or3_b32 v2, v6, v3, v2
.LBB48_716:
	s_or_b64 exec, exec, s[6:7]
	v_lshrrev_b32_e32 v3, 8, v4
	s_movk_i32 s4, 0x7f
	v_cmp_gt_i16_sdwa s[6:7], v3, s4 src0_sel:BYTE_0 src1_sel:DWORD
	s_mov_b64 s[4:5], 0
                                        ; implicit-def: $sgpr10
	s_and_saveexec_b64 s[8:9], s[6:7]
	s_xor_b64 s[6:7], exec, s[8:9]
	s_cbranch_execnz .LBB48_2765
; %bb.717:
	s_or_saveexec_b64 s[6:7], s[6:7]
	v_mov_b32_e32 v6, s10
	s_xor_b64 exec, exec, s[6:7]
	s_cbranch_execnz .LBB48_2768
.LBB48_718:
	s_or_b64 exec, exec, s[6:7]
	s_and_saveexec_b64 s[6:7], s[4:5]
	s_cbranch_execz .LBB48_720
.LBB48_719:
	v_bfe_u32 v6, v4, 8, 3
	v_ffbh_u32_e32 v10, v6
	v_min_u32_e32 v10, 32, v10
	v_lshrrev_b16_e32 v7, 3, v3
	v_subrev_u32_e32 v11, 28, v10
	v_and_b32_e32 v7, 15, v7
	v_lshlrev_b32_e32 v3, v11, v3
	v_sub_u32_e32 v10, 29, v10
	v_and_b32_e32 v3, 7, v3
	v_cmp_eq_u16_e32 vcc, 0, v7
	v_cndmask_b32_e32 v3, v6, v3, vcc
	v_cndmask_b32_e32 v6, v7, v10, vcc
	v_lshlrev_b32_e32 v7, 16, v4
	v_mov_b32_e32 v10, 0x3b800000
	v_lshlrev_b32_e32 v3, 20, v3
	v_and_b32_e32 v7, 0x80000000, v7
	v_lshl_add_u32 v6, v6, 23, v10
	v_or3_b32 v6, v7, v6, v3
.LBB48_720:
	s_or_b64 exec, exec, s[6:7]
	s_nop 0
	v_mfma_f32_16x16x4f32 a[0:3], v2, v6, a[0:3]
	s_movk_i32 s4, 0xff
	v_and_b32_sdwa v3, v8, s4 dst_sel:DWORD dst_unused:UNUSED_PAD src0_sel:WORD_1 src1_sel:DWORD
	s_movk_i32 s4, 0x7f
	v_cmp_lt_i16_e32 vcc, s4, v3
	s_mov_b64 s[4:5], 0
                                        ; implicit-def: $sgpr10
	s_and_saveexec_b64 s[6:7], vcc
	s_xor_b64 s[6:7], exec, s[6:7]
	s_cbranch_execnz .LBB48_2769
; %bb.721:
	s_or_saveexec_b64 s[6:7], s[6:7]
	v_mov_b32_e32 v2, s10
	s_xor_b64 exec, exec, s[6:7]
	s_cbranch_execnz .LBB48_2772
.LBB48_722:
	s_or_b64 exec, exec, s[6:7]
	s_and_saveexec_b64 s[6:7], s[4:5]
	s_cbranch_execz .LBB48_724
.LBB48_723:
	v_bfe_u32 v2, v8, 16, 3
	v_ffbh_u32_e32 v7, v2
	v_min_u32_e32 v7, 32, v7
	v_lshrrev_b32_e32 v3, 19, v8
	v_subrev_u32_e32 v10, 28, v7
	v_and_b32_e32 v3, 15, v3
	v_lshlrev_b32_sdwa v10, v10, v8 dst_sel:DWORD dst_unused:UNUSED_PAD src0_sel:DWORD src1_sel:WORD_1
	v_bfe_u32 v6, v8, 19, 4
	v_sub_u32_e32 v7, 29, v7
	v_and_b32_e32 v10, 7, v10
	v_cmp_eq_u16_e32 vcc, 0, v3
	v_cndmask_b32_e32 v2, v2, v10, vcc
	v_cndmask_b32_e32 v3, v6, v7, vcc
	v_lshlrev_b32_e32 v6, 8, v8
	v_mov_b32_e32 v7, 0x3b800000
	v_lshlrev_b32_e32 v2, 20, v2
	v_and_b32_e32 v6, 0x80000000, v6
	v_lshl_add_u32 v3, v3, 23, v7
	v_or3_b32 v2, v6, v3, v2
.LBB48_724:
	s_or_b64 exec, exec, s[6:7]
	s_movk_i32 s4, 0xff
	v_and_b32_sdwa v3, v4, s4 dst_sel:DWORD dst_unused:UNUSED_PAD src0_sel:WORD_1 src1_sel:DWORD
	s_movk_i32 s4, 0x7f
	v_cmp_lt_i16_e32 vcc, s4, v3
	s_mov_b64 s[4:5], 0
                                        ; implicit-def: $sgpr10
	s_and_saveexec_b64 s[6:7], vcc
	s_xor_b64 s[6:7], exec, s[6:7]
	s_cbranch_execnz .LBB48_2773
; %bb.725:
	s_or_saveexec_b64 s[6:7], s[6:7]
	v_mov_b32_e32 v6, s10
	s_xor_b64 exec, exec, s[6:7]
	s_cbranch_execnz .LBB48_2776
.LBB48_726:
	s_or_b64 exec, exec, s[6:7]
	s_and_saveexec_b64 s[6:7], s[4:5]
	s_cbranch_execz .LBB48_728
.LBB48_727:
	v_bfe_u32 v3, v4, 16, 3
	v_ffbh_u32_e32 v10, v3
	v_min_u32_e32 v10, 32, v10
	v_lshrrev_b32_e32 v6, 19, v4
	v_subrev_u32_e32 v11, 28, v10
	v_and_b32_e32 v6, 15, v6
	v_lshlrev_b32_sdwa v11, v11, v4 dst_sel:DWORD dst_unused:UNUSED_PAD src0_sel:DWORD src1_sel:WORD_1
	v_bfe_u32 v7, v4, 19, 4
	v_sub_u32_e32 v10, 29, v10
	v_and_b32_e32 v11, 7, v11
	v_cmp_eq_u16_e32 vcc, 0, v6
	v_cndmask_b32_e32 v3, v3, v11, vcc
	v_cndmask_b32_e32 v6, v7, v10, vcc
	v_lshlrev_b32_e32 v7, 8, v4
	v_mov_b32_e32 v10, 0x3b800000
	v_lshlrev_b32_e32 v3, 20, v3
	v_and_b32_e32 v7, 0x80000000, v7
	v_lshl_add_u32 v6, v6, 23, v10
	v_or3_b32 v6, v7, v6, v3
.LBB48_728:
	s_or_b64 exec, exec, s[6:7]
	s_nop 0
	v_mfma_f32_16x16x4f32 a[0:3], v2, v6, a[0:3]
	s_movk_i32 s4, 0x7f
	v_cmp_gt_i16_sdwa s[6:7], v8, s4 src0_sel:BYTE_3 src1_sel:DWORD
	s_mov_b64 s[4:5], 0
                                        ; implicit-def: $sgpr10
	s_and_saveexec_b64 s[8:9], s[6:7]
	s_xor_b64 s[6:7], exec, s[8:9]
	s_cbranch_execnz .LBB48_2777
; %bb.729:
	s_or_saveexec_b64 s[6:7], s[6:7]
	v_mov_b32_e32 v2, s10
	s_xor_b64 exec, exec, s[6:7]
	s_cbranch_execnz .LBB48_2780
.LBB48_730:
	s_or_b64 exec, exec, s[6:7]
	s_and_saveexec_b64 s[6:7], s[4:5]
	s_cbranch_execz .LBB48_732
.LBB48_731:
	v_bfe_u32 v2, v8, 24, 3
	v_ffbh_u32_e32 v10, v2
	v_min_u32_e32 v10, 32, v10
	v_lshrrev_b32_e32 v6, 27, v8
	v_subrev_u32_e32 v11, 28, v10
	v_and_b32_e32 v3, 0x80000000, v8
	v_and_b32_e32 v6, 15, v6
	v_bfe_u32 v7, v8, 27, 4
	v_lshlrev_b32_sdwa v8, v11, v8 dst_sel:DWORD dst_unused:UNUSED_PAD src0_sel:DWORD src1_sel:BYTE_3
	v_sub_u32_e32 v10, 29, v10
	v_and_b32_e32 v8, 7, v8
	v_cmp_eq_u16_e32 vcc, 0, v6
	v_cndmask_b32_e32 v2, v2, v8, vcc
	v_cndmask_b32_e32 v6, v7, v10, vcc
	v_mov_b32_e32 v7, 0x3b800000
	v_lshlrev_b32_e32 v2, 20, v2
	v_lshl_add_u32 v6, v6, 23, v7
	v_or3_b32 v2, v3, v6, v2
.LBB48_732:
	s_or_b64 exec, exec, s[6:7]
	s_movk_i32 s4, 0x7f
	v_cmp_gt_i16_sdwa s[6:7], v4, s4 src0_sel:BYTE_3 src1_sel:DWORD
	s_mov_b64 s[4:5], 0
                                        ; implicit-def: $sgpr10
	s_and_saveexec_b64 s[8:9], s[6:7]
	s_xor_b64 s[6:7], exec, s[8:9]
	s_cbranch_execnz .LBB48_2781
; %bb.733:
	s_or_saveexec_b64 s[6:7], s[6:7]
	v_mov_b32_e32 v3, s10
	s_xor_b64 exec, exec, s[6:7]
	s_cbranch_execnz .LBB48_2784
.LBB48_734:
	s_or_b64 exec, exec, s[6:7]
	s_and_saveexec_b64 s[6:7], s[4:5]
	s_cbranch_execz .LBB48_736
.LBB48_735:
	v_bfe_u32 v3, v4, 24, 3
	v_ffbh_u32_e32 v10, v3
	v_min_u32_e32 v10, 32, v10
	v_lshrrev_b32_e32 v7, 27, v4
	v_subrev_u32_e32 v11, 28, v10
	v_and_b32_e32 v6, 0x80000000, v4
	v_and_b32_e32 v7, 15, v7
	v_bfe_u32 v8, v4, 27, 4
	v_lshlrev_b32_sdwa v4, v11, v4 dst_sel:DWORD dst_unused:UNUSED_PAD src0_sel:DWORD src1_sel:BYTE_3
	v_sub_u32_e32 v10, 29, v10
	v_and_b32_e32 v4, 7, v4
	v_cmp_eq_u16_e32 vcc, 0, v7
	v_cndmask_b32_e32 v3, v3, v4, vcc
	v_cndmask_b32_e32 v4, v8, v10, vcc
	v_mov_b32_e32 v7, 0x3b800000
	v_lshlrev_b32_e32 v3, 20, v3
	v_lshl_add_u32 v4, v4, 23, v7
	v_or3_b32 v3, v6, v4, v3
.LBB48_736:
	s_or_b64 exec, exec, s[6:7]
	s_nop 0
	v_mfma_f32_16x16x4f32 a[0:3], v2, v3, a[0:3]
	s_movk_i32 s4, 0x7f
	v_cmp_gt_i16_sdwa s[6:7], v9, s4 src0_sel:BYTE_0 src1_sel:DWORD
	s_mov_b64 s[4:5], 0
                                        ; implicit-def: $sgpr10
	s_and_saveexec_b64 s[8:9], s[6:7]
	s_xor_b64 s[6:7], exec, s[8:9]
	s_cbranch_execnz .LBB48_2785
; %bb.737:
	s_or_saveexec_b64 s[6:7], s[6:7]
	v_mov_b32_e32 v2, s10
	s_xor_b64 exec, exec, s[6:7]
	s_cbranch_execnz .LBB48_2788
.LBB48_738:
	s_or_b64 exec, exec, s[6:7]
	s_and_saveexec_b64 s[6:7], s[4:5]
	s_cbranch_execz .LBB48_740
.LBB48_739:
	v_mov_b32_e32 v2, 8
	v_and_b32_e32 v3, 7, v9
	v_lshrrev_b32_sdwa v2, v2, v9 dst_sel:BYTE_1 dst_unused:UNUSED_PAD src0_sel:DWORD src1_sel:DWORD
	v_ffbh_u32_e32 v4, v3
	v_or_b32_sdwa v2, v9, v2 dst_sel:DWORD dst_unused:UNUSED_PAD src0_sel:BYTE_0 src1_sel:DWORD
	v_min_u32_e32 v4, 32, v4
	v_lshrrev_b16_e32 v2, 3, v2
	v_subrev_u32_e32 v6, 28, v4
	v_and_b32_e32 v2, 15, v2
	v_lshlrev_b32_e32 v6, v6, v9
	v_sub_u32_e32 v4, 29, v4
	v_and_b32_e32 v6, 7, v6
	v_cmp_eq_u16_e32 vcc, 0, v2
	v_cndmask_b32_e32 v3, v3, v6, vcc
	v_cndmask_b32_e32 v2, v2, v4, vcc
	v_lshlrev_b32_e32 v4, 24, v9
	v_mov_b32_e32 v6, 0x3b800000
	v_lshlrev_b32_e32 v3, 20, v3
	v_and_b32_e32 v4, 0x80000000, v4
	v_lshl_add_u32 v2, v2, 23, v6
	v_or3_b32 v2, v4, v2, v3
.LBB48_740:
	s_or_b64 exec, exec, s[6:7]
	s_movk_i32 s4, 0x7f
	v_cmp_gt_i16_sdwa s[6:7], v5, s4 src0_sel:BYTE_0 src1_sel:DWORD
	s_mov_b64 s[4:5], 0
                                        ; implicit-def: $sgpr10
	s_and_saveexec_b64 s[8:9], s[6:7]
	s_xor_b64 s[6:7], exec, s[8:9]
	s_cbranch_execnz .LBB48_2789
; %bb.741:
	s_or_saveexec_b64 s[6:7], s[6:7]
	v_mov_b32_e32 v3, s10
	s_xor_b64 exec, exec, s[6:7]
	s_cbranch_execnz .LBB48_2792
.LBB48_742:
	s_or_b64 exec, exec, s[6:7]
	s_and_saveexec_b64 s[6:7], s[4:5]
	s_cbranch_execz .LBB48_744
.LBB48_743:
	v_mov_b32_e32 v3, 8
	v_and_b32_e32 v4, 7, v5
	v_lshrrev_b32_sdwa v3, v3, v5 dst_sel:BYTE_1 dst_unused:UNUSED_PAD src0_sel:DWORD src1_sel:DWORD
	v_ffbh_u32_e32 v6, v4
	v_or_b32_sdwa v3, v5, v3 dst_sel:DWORD dst_unused:UNUSED_PAD src0_sel:BYTE_0 src1_sel:DWORD
	v_min_u32_e32 v6, 32, v6
	v_lshrrev_b16_e32 v3, 3, v3
	v_subrev_u32_e32 v7, 28, v6
	v_and_b32_e32 v3, 15, v3
	v_lshlrev_b32_e32 v7, v7, v5
	v_sub_u32_e32 v6, 29, v6
	v_and_b32_e32 v7, 7, v7
	v_cmp_eq_u16_e32 vcc, 0, v3
	v_cndmask_b32_e32 v4, v4, v7, vcc
	v_cndmask_b32_e32 v3, v3, v6, vcc
	v_lshlrev_b32_e32 v6, 24, v5
	v_mov_b32_e32 v7, 0x3b800000
	v_lshlrev_b32_e32 v4, 20, v4
	v_and_b32_e32 v6, 0x80000000, v6
	v_lshl_add_u32 v3, v3, 23, v7
	v_or3_b32 v3, v6, v3, v4
.LBB48_744:
	s_or_b64 exec, exec, s[6:7]
	s_nop 0
	v_mfma_f32_16x16x4f32 a[0:3], v2, v3, a[0:3]
	v_lshrrev_b32_e32 v3, 8, v9
	s_movk_i32 s4, 0x7f
	v_cmp_gt_i16_sdwa s[6:7], v3, s4 src0_sel:BYTE_0 src1_sel:DWORD
	s_mov_b64 s[4:5], 0
                                        ; implicit-def: $sgpr10
	s_and_saveexec_b64 s[8:9], s[6:7]
	s_xor_b64 s[6:7], exec, s[8:9]
	s_cbranch_execnz .LBB48_2793
; %bb.745:
	s_or_saveexec_b64 s[6:7], s[6:7]
	v_mov_b32_e32 v2, s10
	s_xor_b64 exec, exec, s[6:7]
	s_cbranch_execnz .LBB48_2796
.LBB48_746:
	s_or_b64 exec, exec, s[6:7]
	s_and_saveexec_b64 s[6:7], s[4:5]
	s_cbranch_execz .LBB48_748
.LBB48_747:
	v_bfe_u32 v2, v9, 8, 3
	v_ffbh_u32_e32 v6, v2
	v_min_u32_e32 v6, 32, v6
	v_lshrrev_b16_e32 v4, 3, v3
	v_subrev_u32_e32 v7, 28, v6
	v_and_b32_e32 v4, 15, v4
	v_lshlrev_b32_e32 v3, v7, v3
	v_sub_u32_e32 v6, 29, v6
	v_and_b32_e32 v3, 7, v3
	v_cmp_eq_u16_e32 vcc, 0, v4
	v_cndmask_b32_e32 v2, v2, v3, vcc
	v_cndmask_b32_e32 v3, v4, v6, vcc
	v_lshlrev_b32_e32 v4, 16, v9
	v_mov_b32_e32 v6, 0x3b800000
	v_lshlrev_b32_e32 v2, 20, v2
	v_and_b32_e32 v4, 0x80000000, v4
	v_lshl_add_u32 v3, v3, 23, v6
	v_or3_b32 v2, v4, v3, v2
.LBB48_748:
	s_or_b64 exec, exec, s[6:7]
	v_lshrrev_b32_e32 v3, 8, v5
	s_movk_i32 s4, 0x7f
	v_cmp_gt_i16_sdwa s[6:7], v3, s4 src0_sel:BYTE_0 src1_sel:DWORD
	s_mov_b64 s[4:5], 0
                                        ; implicit-def: $sgpr10
	s_and_saveexec_b64 s[8:9], s[6:7]
	s_xor_b64 s[6:7], exec, s[8:9]
	s_cbranch_execnz .LBB48_2797
; %bb.749:
	s_or_saveexec_b64 s[6:7], s[6:7]
	v_mov_b32_e32 v4, s10
	s_xor_b64 exec, exec, s[6:7]
	s_cbranch_execnz .LBB48_2800
.LBB48_750:
	s_or_b64 exec, exec, s[6:7]
	s_and_saveexec_b64 s[6:7], s[4:5]
	s_cbranch_execz .LBB48_752
.LBB48_751:
	v_bfe_u32 v4, v5, 8, 3
	v_ffbh_u32_e32 v7, v4
	v_min_u32_e32 v7, 32, v7
	v_lshrrev_b16_e32 v6, 3, v3
	v_subrev_u32_e32 v8, 28, v7
	v_and_b32_e32 v6, 15, v6
	v_lshlrev_b32_e32 v3, v8, v3
	v_sub_u32_e32 v7, 29, v7
	v_and_b32_e32 v3, 7, v3
	v_cmp_eq_u16_e32 vcc, 0, v6
	v_cndmask_b32_e32 v3, v4, v3, vcc
	v_cndmask_b32_e32 v4, v6, v7, vcc
	v_lshlrev_b32_e32 v6, 16, v5
	v_mov_b32_e32 v7, 0x3b800000
	v_lshlrev_b32_e32 v3, 20, v3
	v_and_b32_e32 v6, 0x80000000, v6
	v_lshl_add_u32 v4, v4, 23, v7
	v_or3_b32 v4, v6, v4, v3
.LBB48_752:
	s_or_b64 exec, exec, s[6:7]
	s_nop 0
	v_mfma_f32_16x16x4f32 a[0:3], v2, v4, a[0:3]
	s_movk_i32 s4, 0xff
	v_and_b32_sdwa v3, v9, s4 dst_sel:DWORD dst_unused:UNUSED_PAD src0_sel:WORD_1 src1_sel:DWORD
	s_movk_i32 s4, 0x7f
	v_cmp_lt_i16_e32 vcc, s4, v3
	s_mov_b64 s[4:5], 0
                                        ; implicit-def: $sgpr10
	s_and_saveexec_b64 s[6:7], vcc
	s_xor_b64 s[6:7], exec, s[6:7]
	s_cbranch_execnz .LBB48_2801
; %bb.753:
	s_or_saveexec_b64 s[6:7], s[6:7]
	v_mov_b32_e32 v2, s10
	s_xor_b64 exec, exec, s[6:7]
	s_cbranch_execnz .LBB48_2804
.LBB48_754:
	s_or_b64 exec, exec, s[6:7]
	s_and_saveexec_b64 s[6:7], s[4:5]
	s_cbranch_execz .LBB48_756
.LBB48_755:
	v_bfe_u32 v2, v9, 16, 3
	v_ffbh_u32_e32 v6, v2
	v_min_u32_e32 v6, 32, v6
	v_lshrrev_b32_e32 v3, 19, v9
	v_subrev_u32_e32 v7, 28, v6
	v_and_b32_e32 v3, 15, v3
	v_lshlrev_b32_sdwa v7, v7, v9 dst_sel:DWORD dst_unused:UNUSED_PAD src0_sel:DWORD src1_sel:WORD_1
	v_bfe_u32 v4, v9, 19, 4
	v_sub_u32_e32 v6, 29, v6
	v_and_b32_e32 v7, 7, v7
	v_cmp_eq_u16_e32 vcc, 0, v3
	v_cndmask_b32_e32 v2, v2, v7, vcc
	v_cndmask_b32_e32 v3, v4, v6, vcc
	v_lshlrev_b32_e32 v4, 8, v9
	v_mov_b32_e32 v6, 0x3b800000
	v_lshlrev_b32_e32 v2, 20, v2
	v_and_b32_e32 v4, 0x80000000, v4
	v_lshl_add_u32 v3, v3, 23, v6
	v_or3_b32 v2, v4, v3, v2
.LBB48_756:
	s_or_b64 exec, exec, s[6:7]
	s_movk_i32 s4, 0xff
	v_and_b32_sdwa v3, v5, s4 dst_sel:DWORD dst_unused:UNUSED_PAD src0_sel:WORD_1 src1_sel:DWORD
	s_movk_i32 s4, 0x7f
	v_cmp_lt_i16_e32 vcc, s4, v3
	s_mov_b64 s[4:5], 0
                                        ; implicit-def: $sgpr10
	s_and_saveexec_b64 s[6:7], vcc
	s_xor_b64 s[6:7], exec, s[6:7]
	s_cbranch_execnz .LBB48_2805
; %bb.757:
	s_or_saveexec_b64 s[6:7], s[6:7]
	v_mov_b32_e32 v4, s10
	s_xor_b64 exec, exec, s[6:7]
	s_cbranch_execnz .LBB48_2808
.LBB48_758:
	s_or_b64 exec, exec, s[6:7]
	s_and_saveexec_b64 s[6:7], s[4:5]
	s_cbranch_execz .LBB48_760
.LBB48_759:
	v_bfe_u32 v3, v5, 16, 3
	v_ffbh_u32_e32 v7, v3
	v_min_u32_e32 v7, 32, v7
	v_lshrrev_b32_e32 v4, 19, v5
	v_subrev_u32_e32 v8, 28, v7
	v_and_b32_e32 v4, 15, v4
	v_lshlrev_b32_sdwa v8, v8, v5 dst_sel:DWORD dst_unused:UNUSED_PAD src0_sel:DWORD src1_sel:WORD_1
	v_bfe_u32 v6, v5, 19, 4
	v_sub_u32_e32 v7, 29, v7
	v_and_b32_e32 v8, 7, v8
	v_cmp_eq_u16_e32 vcc, 0, v4
	v_cndmask_b32_e32 v3, v3, v8, vcc
	v_cndmask_b32_e32 v4, v6, v7, vcc
	v_lshlrev_b32_e32 v6, 8, v5
	v_mov_b32_e32 v7, 0x3b800000
	v_lshlrev_b32_e32 v3, 20, v3
	v_and_b32_e32 v6, 0x80000000, v6
	v_lshl_add_u32 v4, v4, 23, v7
	v_or3_b32 v4, v6, v4, v3
.LBB48_760:
	s_or_b64 exec, exec, s[6:7]
	s_nop 0
	v_mfma_f32_16x16x4f32 a[0:3], v2, v4, a[0:3]
	s_movk_i32 s4, 0x7f
	v_cmp_gt_i16_sdwa s[6:7], v9, s4 src0_sel:BYTE_3 src1_sel:DWORD
	s_mov_b64 s[4:5], 0
                                        ; implicit-def: $sgpr10
	s_and_saveexec_b64 s[8:9], s[6:7]
	s_xor_b64 s[6:7], exec, s[8:9]
	s_cbranch_execnz .LBB48_2809
; %bb.761:
	s_or_saveexec_b64 s[6:7], s[6:7]
	v_mov_b32_e32 v2, s10
	s_xor_b64 exec, exec, s[6:7]
	s_cbranch_execnz .LBB48_2812
.LBB48_762:
	s_or_b64 exec, exec, s[6:7]
	s_and_saveexec_b64 s[6:7], s[4:5]
	s_cbranch_execz .LBB48_764
.LBB48_763:
	v_bfe_u32 v2, v9, 24, 3
	v_ffbh_u32_e32 v7, v2
	v_min_u32_e32 v7, 32, v7
	v_lshrrev_b32_e32 v4, 27, v9
	v_subrev_u32_e32 v8, 28, v7
	v_and_b32_e32 v4, 15, v4
	v_lshlrev_b32_sdwa v8, v8, v9 dst_sel:DWORD dst_unused:UNUSED_PAD src0_sel:DWORD src1_sel:BYTE_3
	v_bfe_u32 v6, v9, 27, 4
	v_sub_u32_e32 v7, 29, v7
	v_and_b32_e32 v8, 7, v8
	v_cmp_eq_u16_e32 vcc, 0, v4
	v_cndmask_b32_e32 v2, v2, v8, vcc
	v_cndmask_b32_e32 v4, v6, v7, vcc
	v_mov_b32_e32 v6, 0x3b800000
	v_and_b32_e32 v3, 0x80000000, v9
	v_lshlrev_b32_e32 v2, 20, v2
	v_lshl_add_u32 v4, v4, 23, v6
	v_or3_b32 v2, v3, v4, v2
.LBB48_764:
	s_or_b64 exec, exec, s[6:7]
	s_movk_i32 s4, 0x7f
	v_cmp_gt_i16_sdwa s[6:7], v5, s4 src0_sel:BYTE_3 src1_sel:DWORD
	s_mov_b64 s[4:5], 0
                                        ; implicit-def: $sgpr10
	s_and_saveexec_b64 s[8:9], s[6:7]
	s_xor_b64 s[6:7], exec, s[8:9]
	s_cbranch_execnz .LBB48_2813
; %bb.765:
	s_or_saveexec_b64 s[6:7], s[6:7]
	v_mov_b32_e32 v3, s10
	s_xor_b64 exec, exec, s[6:7]
	s_cbranch_execnz .LBB48_2816
.LBB48_766:
	s_or_b64 exec, exec, s[6:7]
	s_and_saveexec_b64 s[6:7], s[4:5]
	s_cbranch_execz .LBB48_768
.LBB48_767:
	v_bfe_u32 v3, v5, 24, 3
	v_ffbh_u32_e32 v8, v3
	v_min_u32_e32 v8, 32, v8
	v_lshrrev_b32_e32 v6, 27, v5
	v_subrev_u32_e32 v9, 28, v8
	v_and_b32_e32 v4, 0x80000000, v5
	v_and_b32_e32 v6, 15, v6
	v_bfe_u32 v7, v5, 27, 4
	v_lshlrev_b32_sdwa v5, v9, v5 dst_sel:DWORD dst_unused:UNUSED_PAD src0_sel:DWORD src1_sel:BYTE_3
	v_sub_u32_e32 v8, 29, v8
	v_and_b32_e32 v5, 7, v5
	v_cmp_eq_u16_e32 vcc, 0, v6
	v_cndmask_b32_e32 v3, v3, v5, vcc
	v_cndmask_b32_e32 v5, v7, v8, vcc
	v_mov_b32_e32 v6, 0x3b800000
	v_lshlrev_b32_e32 v3, 20, v3
	v_lshl_add_u32 v5, v5, 23, v6
	v_or3_b32 v3, v4, v5, v3
.LBB48_768:
	s_or_b64 exec, exec, s[6:7]
	s_nop 0
	v_mfma_f32_16x16x4f32 a[0:3], v2, v3, a[0:3]
	s_movk_i32 s4, 0x7f
                                        ; implicit-def: $sgpr10
	s_nop 7
	s_nop 1
	flat_store_dwordx4 v[18:19], a[0:3] offset:544
	flat_load_dwordx4 v[20:23], v[0:1] offset:8
	s_nop 0
	flat_load_dwordx2 v[18:19], v[0:1] offset:24
	s_waitcnt vmcnt(0) lgkmcnt(0)
	flat_load_dwordx4 v[14:17], v[20:21]
	flat_load_dwordx4 v[6:9], v[20:21] offset:16
	flat_load_dwordx4 v[10:13], v[22:23] offset:96
	;; [unrolled: 1-line block ×3, first 2 shown]
	s_waitcnt vmcnt(0) lgkmcnt(0)
	v_cmp_gt_i16_sdwa s[6:7], v14, s4 src0_sel:BYTE_0 src1_sel:DWORD
	s_mov_b64 s[4:5], 0
	s_and_saveexec_b64 s[8:9], s[6:7]
	s_xor_b64 s[6:7], exec, s[8:9]
	s_cbranch_execnz .LBB48_2817
; %bb.769:
	s_or_saveexec_b64 s[6:7], s[6:7]
	v_mov_b32_e32 v20, s10
	s_xor_b64 exec, exec, s[6:7]
	s_cbranch_execnz .LBB48_2820
.LBB48_770:
	s_or_b64 exec, exec, s[6:7]
	s_and_saveexec_b64 s[6:7], s[4:5]
	s_cbranch_execz .LBB48_772
.LBB48_771:
	v_and_b32_e32 v20, 7, v14
	v_ffbh_u32_e32 v22, v20
	v_min_u32_e32 v22, 32, v22
	v_lshrrev_b16_e32 v21, 3, v14
	v_subrev_u32_e32 v23, 28, v22
	v_and_b32_e32 v21, 15, v21
	v_lshlrev_b32_e32 v23, v23, v14
	v_sub_u32_e32 v22, 29, v22
	v_and_b32_e32 v23, 7, v23
	v_cmp_eq_u16_e32 vcc, 0, v21
	v_cndmask_b32_e32 v20, v20, v23, vcc
	v_cndmask_b32_e32 v21, v21, v22, vcc
	v_lshlrev_b32_e32 v22, 24, v14
	v_mov_b32_e32 v23, 0x3b800000
	v_lshlrev_b32_e32 v20, 20, v20
	v_and_b32_e32 v22, 0x80000000, v22
	v_lshl_add_u32 v21, v21, 23, v23
	v_or3_b32 v20, v22, v21, v20
.LBB48_772:
	s_or_b64 exec, exec, s[6:7]
	s_movk_i32 s4, 0x7f
	v_cmp_gt_i16_sdwa s[6:7], v10, s4 src0_sel:BYTE_0 src1_sel:DWORD
	s_mov_b64 s[4:5], 0
                                        ; implicit-def: $sgpr10
	s_and_saveexec_b64 s[8:9], s[6:7]
	s_xor_b64 s[6:7], exec, s[8:9]
	s_cbranch_execnz .LBB48_2821
; %bb.773:
	s_or_saveexec_b64 s[6:7], s[6:7]
	v_mov_b32_e32 v21, s10
	s_xor_b64 exec, exec, s[6:7]
	s_cbranch_execnz .LBB48_2824
.LBB48_774:
	s_or_b64 exec, exec, s[6:7]
	s_and_saveexec_b64 s[6:7], s[4:5]
	s_cbranch_execz .LBB48_776
.LBB48_775:
	v_and_b32_e32 v21, 7, v10
	v_ffbh_u32_e32 v23, v21
	v_min_u32_e32 v23, 32, v23
	v_lshrrev_b16_e32 v22, 3, v10
	v_subrev_u32_e32 v24, 28, v23
	v_and_b32_e32 v22, 15, v22
	v_lshlrev_b32_e32 v24, v24, v10
	v_sub_u32_e32 v23, 29, v23
	v_and_b32_e32 v24, 7, v24
	v_cmp_eq_u16_e32 vcc, 0, v22
	v_cndmask_b32_e32 v21, v21, v24, vcc
	v_cndmask_b32_e32 v22, v22, v23, vcc
	v_lshlrev_b32_e32 v23, 24, v10
	v_mov_b32_e32 v24, 0x3b800000
	v_lshlrev_b32_e32 v21, 20, v21
	v_and_b32_e32 v23, 0x80000000, v23
	v_lshl_add_u32 v22, v22, 23, v24
	v_or3_b32 v21, v23, v22, v21
.LBB48_776:
	s_or_b64 exec, exec, s[6:7]
	flat_load_dwordx4 a[0:3], v[18:19] offset:560
	s_movk_i32 s4, 0x7f
                                        ; implicit-def: $sgpr10
	s_waitcnt vmcnt(0) lgkmcnt(0)
	v_mfma_f32_16x16x4f32 a[0:3], v20, v21, a[0:3]
	v_lshrrev_b32_e32 v21, 8, v14
	v_cmp_gt_i16_sdwa s[6:7], v21, s4 src0_sel:BYTE_0 src1_sel:DWORD
	s_mov_b64 s[4:5], 0
	s_and_saveexec_b64 s[8:9], s[6:7]
	s_xor_b64 s[6:7], exec, s[8:9]
	s_cbranch_execnz .LBB48_2825
; %bb.777:
	s_or_saveexec_b64 s[6:7], s[6:7]
	v_mov_b32_e32 v20, s10
	s_xor_b64 exec, exec, s[6:7]
	s_cbranch_execnz .LBB48_2828
.LBB48_778:
	s_or_b64 exec, exec, s[6:7]
	s_and_saveexec_b64 s[6:7], s[4:5]
	s_cbranch_execz .LBB48_780
.LBB48_779:
	v_bfe_u32 v20, v14, 8, 3
	v_ffbh_u32_e32 v23, v20
	v_min_u32_e32 v23, 32, v23
	v_lshrrev_b16_e32 v22, 3, v21
	v_subrev_u32_e32 v24, 28, v23
	v_and_b32_e32 v22, 15, v22
	v_lshlrev_b32_e32 v21, v24, v21
	v_sub_u32_e32 v23, 29, v23
	v_and_b32_e32 v21, 7, v21
	v_cmp_eq_u16_e32 vcc, 0, v22
	v_cndmask_b32_e32 v20, v20, v21, vcc
	v_cndmask_b32_e32 v21, v22, v23, vcc
	v_lshlrev_b32_e32 v22, 16, v14
	v_mov_b32_e32 v23, 0x3b800000
	v_lshlrev_b32_e32 v20, 20, v20
	v_and_b32_e32 v22, 0x80000000, v22
	v_lshl_add_u32 v21, v21, 23, v23
	v_or3_b32 v20, v22, v21, v20
.LBB48_780:
	s_or_b64 exec, exec, s[6:7]
	v_lshrrev_b32_e32 v21, 8, v10
	s_movk_i32 s4, 0x7f
	v_cmp_gt_i16_sdwa s[6:7], v21, s4 src0_sel:BYTE_0 src1_sel:DWORD
	s_mov_b64 s[4:5], 0
                                        ; implicit-def: $sgpr10
	s_and_saveexec_b64 s[8:9], s[6:7]
	s_xor_b64 s[6:7], exec, s[8:9]
	s_cbranch_execnz .LBB48_2829
; %bb.781:
	s_or_saveexec_b64 s[6:7], s[6:7]
	v_mov_b32_e32 v22, s10
	s_xor_b64 exec, exec, s[6:7]
	s_cbranch_execnz .LBB48_2832
.LBB48_782:
	s_or_b64 exec, exec, s[6:7]
	s_and_saveexec_b64 s[6:7], s[4:5]
	s_cbranch_execz .LBB48_784
.LBB48_783:
	v_bfe_u32 v22, v10, 8, 3
	v_ffbh_u32_e32 v24, v22
	v_min_u32_e32 v24, 32, v24
	v_lshrrev_b16_e32 v23, 3, v21
	v_subrev_u32_e32 v25, 28, v24
	v_and_b32_e32 v23, 15, v23
	v_lshlrev_b32_e32 v21, v25, v21
	v_sub_u32_e32 v24, 29, v24
	v_and_b32_e32 v21, 7, v21
	v_cmp_eq_u16_e32 vcc, 0, v23
	v_cndmask_b32_e32 v21, v22, v21, vcc
	v_cndmask_b32_e32 v22, v23, v24, vcc
	v_lshlrev_b32_e32 v23, 16, v10
	v_mov_b32_e32 v24, 0x3b800000
	v_lshlrev_b32_e32 v21, 20, v21
	v_and_b32_e32 v23, 0x80000000, v23
	v_lshl_add_u32 v22, v22, 23, v24
	v_or3_b32 v22, v23, v22, v21
.LBB48_784:
	s_or_b64 exec, exec, s[6:7]
	s_nop 0
	v_mfma_f32_16x16x4f32 a[0:3], v20, v22, a[0:3]
	s_movk_i32 s4, 0xff
	v_and_b32_sdwa v21, v14, s4 dst_sel:DWORD dst_unused:UNUSED_PAD src0_sel:WORD_1 src1_sel:DWORD
	s_movk_i32 s4, 0x7f
	v_cmp_lt_i16_e32 vcc, s4, v21
	s_mov_b64 s[4:5], 0
                                        ; implicit-def: $sgpr10
	s_and_saveexec_b64 s[6:7], vcc
	s_xor_b64 s[6:7], exec, s[6:7]
	s_cbranch_execnz .LBB48_2833
; %bb.785:
	s_or_saveexec_b64 s[6:7], s[6:7]
	v_mov_b32_e32 v20, s10
	s_xor_b64 exec, exec, s[6:7]
	s_cbranch_execnz .LBB48_2836
.LBB48_786:
	s_or_b64 exec, exec, s[6:7]
	s_and_saveexec_b64 s[6:7], s[4:5]
	s_cbranch_execz .LBB48_788
.LBB48_787:
	v_bfe_u32 v20, v14, 16, 3
	v_ffbh_u32_e32 v23, v20
	v_min_u32_e32 v23, 32, v23
	v_lshrrev_b32_e32 v21, 19, v14
	v_subrev_u32_e32 v24, 28, v23
	v_and_b32_e32 v21, 15, v21
	v_lshlrev_b32_sdwa v24, v24, v14 dst_sel:DWORD dst_unused:UNUSED_PAD src0_sel:DWORD src1_sel:WORD_1
	v_bfe_u32 v22, v14, 19, 4
	v_sub_u32_e32 v23, 29, v23
	v_and_b32_e32 v24, 7, v24
	v_cmp_eq_u16_e32 vcc, 0, v21
	v_cndmask_b32_e32 v20, v20, v24, vcc
	v_cndmask_b32_e32 v21, v22, v23, vcc
	v_lshlrev_b32_e32 v22, 8, v14
	v_mov_b32_e32 v23, 0x3b800000
	v_lshlrev_b32_e32 v20, 20, v20
	v_and_b32_e32 v22, 0x80000000, v22
	v_lshl_add_u32 v21, v21, 23, v23
	v_or3_b32 v20, v22, v21, v20
.LBB48_788:
	s_or_b64 exec, exec, s[6:7]
	s_movk_i32 s4, 0xff
	v_and_b32_sdwa v21, v10, s4 dst_sel:DWORD dst_unused:UNUSED_PAD src0_sel:WORD_1 src1_sel:DWORD
	s_movk_i32 s4, 0x7f
	v_cmp_lt_i16_e32 vcc, s4, v21
	s_mov_b64 s[4:5], 0
                                        ; implicit-def: $sgpr10
	s_and_saveexec_b64 s[6:7], vcc
	s_xor_b64 s[6:7], exec, s[6:7]
	s_cbranch_execnz .LBB48_2837
; %bb.789:
	s_or_saveexec_b64 s[6:7], s[6:7]
	v_mov_b32_e32 v22, s10
	s_xor_b64 exec, exec, s[6:7]
	s_cbranch_execnz .LBB48_2840
.LBB48_790:
	s_or_b64 exec, exec, s[6:7]
	s_and_saveexec_b64 s[6:7], s[4:5]
	s_cbranch_execz .LBB48_792
.LBB48_791:
	v_bfe_u32 v21, v10, 16, 3
	v_ffbh_u32_e32 v24, v21
	v_min_u32_e32 v24, 32, v24
	v_lshrrev_b32_e32 v22, 19, v10
	v_subrev_u32_e32 v25, 28, v24
	v_and_b32_e32 v22, 15, v22
	v_lshlrev_b32_sdwa v25, v25, v10 dst_sel:DWORD dst_unused:UNUSED_PAD src0_sel:DWORD src1_sel:WORD_1
	v_bfe_u32 v23, v10, 19, 4
	v_sub_u32_e32 v24, 29, v24
	v_and_b32_e32 v25, 7, v25
	v_cmp_eq_u16_e32 vcc, 0, v22
	v_cndmask_b32_e32 v21, v21, v25, vcc
	v_cndmask_b32_e32 v22, v23, v24, vcc
	v_lshlrev_b32_e32 v23, 8, v10
	v_mov_b32_e32 v24, 0x3b800000
	v_lshlrev_b32_e32 v21, 20, v21
	v_and_b32_e32 v23, 0x80000000, v23
	v_lshl_add_u32 v22, v22, 23, v24
	v_or3_b32 v22, v23, v22, v21
.LBB48_792:
	s_or_b64 exec, exec, s[6:7]
	s_nop 0
	v_mfma_f32_16x16x4f32 a[0:3], v20, v22, a[0:3]
	s_movk_i32 s4, 0x7f
	v_cmp_gt_i16_sdwa s[6:7], v14, s4 src0_sel:BYTE_3 src1_sel:DWORD
	s_mov_b64 s[4:5], 0
                                        ; implicit-def: $sgpr10
	s_and_saveexec_b64 s[8:9], s[6:7]
	s_xor_b64 s[6:7], exec, s[8:9]
	s_cbranch_execnz .LBB48_2841
; %bb.793:
	s_or_saveexec_b64 s[6:7], s[6:7]
	v_mov_b32_e32 v20, s10
	s_xor_b64 exec, exec, s[6:7]
	s_cbranch_execnz .LBB48_2844
.LBB48_794:
	s_or_b64 exec, exec, s[6:7]
	s_and_saveexec_b64 s[6:7], s[4:5]
	s_cbranch_execz .LBB48_796
.LBB48_795:
	v_bfe_u32 v20, v14, 24, 3
	v_ffbh_u32_e32 v24, v20
	v_min_u32_e32 v24, 32, v24
	v_lshrrev_b32_e32 v22, 27, v14
	v_subrev_u32_e32 v25, 28, v24
	v_and_b32_e32 v21, 0x80000000, v14
	v_and_b32_e32 v22, 15, v22
	v_bfe_u32 v23, v14, 27, 4
	v_lshlrev_b32_sdwa v14, v25, v14 dst_sel:DWORD dst_unused:UNUSED_PAD src0_sel:DWORD src1_sel:BYTE_3
	v_sub_u32_e32 v24, 29, v24
	v_and_b32_e32 v14, 7, v14
	v_cmp_eq_u16_e32 vcc, 0, v22
	v_cndmask_b32_e32 v14, v20, v14, vcc
	v_cndmask_b32_e32 v20, v23, v24, vcc
	v_mov_b32_e32 v22, 0x3b800000
	v_lshlrev_b32_e32 v14, 20, v14
	v_lshl_add_u32 v20, v20, 23, v22
	v_or3_b32 v20, v21, v20, v14
.LBB48_796:
	s_or_b64 exec, exec, s[6:7]
	s_movk_i32 s4, 0x7f
	v_cmp_gt_i16_sdwa s[6:7], v10, s4 src0_sel:BYTE_3 src1_sel:DWORD
	s_mov_b64 s[4:5], 0
                                        ; implicit-def: $sgpr10
	s_and_saveexec_b64 s[8:9], s[6:7]
	s_xor_b64 s[6:7], exec, s[8:9]
	s_cbranch_execnz .LBB48_2845
; %bb.797:
	s_or_saveexec_b64 s[6:7], s[6:7]
	v_mov_b32_e32 v14, s10
	s_xor_b64 exec, exec, s[6:7]
	s_cbranch_execnz .LBB48_2848
.LBB48_798:
	s_or_b64 exec, exec, s[6:7]
	s_and_saveexec_b64 s[6:7], s[4:5]
	s_cbranch_execz .LBB48_800
.LBB48_799:
	v_bfe_u32 v14, v10, 24, 3
	v_ffbh_u32_e32 v24, v14
	v_min_u32_e32 v24, 32, v24
	v_lshrrev_b32_e32 v22, 27, v10
	v_subrev_u32_e32 v25, 28, v24
	v_and_b32_e32 v21, 0x80000000, v10
	v_and_b32_e32 v22, 15, v22
	v_bfe_u32 v23, v10, 27, 4
	v_lshlrev_b32_sdwa v10, v25, v10 dst_sel:DWORD dst_unused:UNUSED_PAD src0_sel:DWORD src1_sel:BYTE_3
	v_sub_u32_e32 v24, 29, v24
	v_and_b32_e32 v10, 7, v10
	v_cmp_eq_u16_e32 vcc, 0, v22
	v_cndmask_b32_e32 v10, v14, v10, vcc
	v_cndmask_b32_e32 v14, v23, v24, vcc
	v_mov_b32_e32 v22, 0x3b800000
	v_lshlrev_b32_e32 v10, 20, v10
	v_lshl_add_u32 v14, v14, 23, v22
	v_or3_b32 v14, v21, v14, v10
.LBB48_800:
	s_or_b64 exec, exec, s[6:7]
	s_nop 0
	v_mfma_f32_16x16x4f32 a[0:3], v20, v14, a[0:3]
	s_movk_i32 s4, 0x7f
	v_cmp_gt_i16_sdwa s[6:7], v15, s4 src0_sel:BYTE_0 src1_sel:DWORD
	s_mov_b64 s[4:5], 0
                                        ; implicit-def: $sgpr10
	s_and_saveexec_b64 s[8:9], s[6:7]
	s_xor_b64 s[6:7], exec, s[8:9]
	s_cbranch_execnz .LBB48_2849
; %bb.801:
	s_or_saveexec_b64 s[6:7], s[6:7]
	v_mov_b32_e32 v10, s10
	s_xor_b64 exec, exec, s[6:7]
	s_cbranch_execnz .LBB48_2852
.LBB48_802:
	s_or_b64 exec, exec, s[6:7]
	s_and_saveexec_b64 s[6:7], s[4:5]
	s_cbranch_execz .LBB48_804
.LBB48_803:
	v_and_b32_e32 v10, 7, v15
	v_ffbh_u32_e32 v20, v10
	v_min_u32_e32 v20, 32, v20
	v_lshrrev_b16_e32 v14, 3, v15
	v_subrev_u32_e32 v21, 28, v20
	v_and_b32_e32 v14, 15, v14
	v_lshlrev_b32_e32 v21, v21, v15
	v_sub_u32_e32 v20, 29, v20
	v_and_b32_e32 v21, 7, v21
	v_cmp_eq_u16_e32 vcc, 0, v14
	v_cndmask_b32_e32 v10, v10, v21, vcc
	v_cndmask_b32_e32 v14, v14, v20, vcc
	v_lshlrev_b32_e32 v20, 24, v15
	v_mov_b32_e32 v21, 0x3b800000
	v_lshlrev_b32_e32 v10, 20, v10
	v_and_b32_e32 v20, 0x80000000, v20
	v_lshl_add_u32 v14, v14, 23, v21
	v_or3_b32 v10, v20, v14, v10
.LBB48_804:
	s_or_b64 exec, exec, s[6:7]
	s_movk_i32 s4, 0x7f
	v_cmp_gt_i16_sdwa s[6:7], v11, s4 src0_sel:BYTE_0 src1_sel:DWORD
	s_mov_b64 s[4:5], 0
                                        ; implicit-def: $sgpr10
	s_and_saveexec_b64 s[8:9], s[6:7]
	s_xor_b64 s[6:7], exec, s[8:9]
	s_cbranch_execnz .LBB48_2853
; %bb.805:
	s_or_saveexec_b64 s[6:7], s[6:7]
	v_mov_b32_e32 v14, s10
	s_xor_b64 exec, exec, s[6:7]
	s_cbranch_execnz .LBB48_2856
.LBB48_806:
	s_or_b64 exec, exec, s[6:7]
	s_and_saveexec_b64 s[6:7], s[4:5]
	s_cbranch_execz .LBB48_808
.LBB48_807:
	v_and_b32_e32 v14, 7, v11
	v_ffbh_u32_e32 v21, v14
	v_min_u32_e32 v21, 32, v21
	v_lshrrev_b16_e32 v20, 3, v11
	v_subrev_u32_e32 v22, 28, v21
	v_and_b32_e32 v20, 15, v20
	v_lshlrev_b32_e32 v22, v22, v11
	v_sub_u32_e32 v21, 29, v21
	v_and_b32_e32 v22, 7, v22
	v_cmp_eq_u16_e32 vcc, 0, v20
	v_cndmask_b32_e32 v14, v14, v22, vcc
	v_cndmask_b32_e32 v20, v20, v21, vcc
	v_lshlrev_b32_e32 v21, 24, v11
	v_mov_b32_e32 v22, 0x3b800000
	v_lshlrev_b32_e32 v14, 20, v14
	v_and_b32_e32 v21, 0x80000000, v21
	v_lshl_add_u32 v20, v20, 23, v22
	v_or3_b32 v14, v21, v20, v14
.LBB48_808:
	s_or_b64 exec, exec, s[6:7]
	s_nop 0
	v_mfma_f32_16x16x4f32 a[0:3], v10, v14, a[0:3]
	v_lshrrev_b32_e32 v14, 8, v15
	s_movk_i32 s4, 0x7f
	v_cmp_gt_i16_sdwa s[6:7], v14, s4 src0_sel:BYTE_0 src1_sel:DWORD
	s_mov_b64 s[4:5], 0
                                        ; implicit-def: $sgpr10
	s_and_saveexec_b64 s[8:9], s[6:7]
	s_xor_b64 s[6:7], exec, s[8:9]
	s_cbranch_execnz .LBB48_2857
; %bb.809:
	s_or_saveexec_b64 s[6:7], s[6:7]
	v_mov_b32_e32 v10, s10
	s_xor_b64 exec, exec, s[6:7]
	s_cbranch_execnz .LBB48_2860
.LBB48_810:
	s_or_b64 exec, exec, s[6:7]
	s_and_saveexec_b64 s[6:7], s[4:5]
	s_cbranch_execz .LBB48_812
.LBB48_811:
	v_bfe_u32 v10, v15, 8, 3
	v_ffbh_u32_e32 v21, v10
	v_min_u32_e32 v21, 32, v21
	v_lshrrev_b16_e32 v20, 3, v14
	v_subrev_u32_e32 v22, 28, v21
	v_and_b32_e32 v20, 15, v20
	v_lshlrev_b32_e32 v14, v22, v14
	v_sub_u32_e32 v21, 29, v21
	v_and_b32_e32 v14, 7, v14
	v_cmp_eq_u16_e32 vcc, 0, v20
	v_cndmask_b32_e32 v10, v10, v14, vcc
	v_cndmask_b32_e32 v14, v20, v21, vcc
	v_lshlrev_b32_e32 v20, 16, v15
	v_mov_b32_e32 v21, 0x3b800000
	v_lshlrev_b32_e32 v10, 20, v10
	v_and_b32_e32 v20, 0x80000000, v20
	v_lshl_add_u32 v14, v14, 23, v21
	v_or3_b32 v10, v20, v14, v10
.LBB48_812:
	s_or_b64 exec, exec, s[6:7]
	v_lshrrev_b32_e32 v14, 8, v11
	s_movk_i32 s4, 0x7f
	v_cmp_gt_i16_sdwa s[6:7], v14, s4 src0_sel:BYTE_0 src1_sel:DWORD
	s_mov_b64 s[4:5], 0
                                        ; implicit-def: $sgpr10
	s_and_saveexec_b64 s[8:9], s[6:7]
	s_xor_b64 s[6:7], exec, s[8:9]
	s_cbranch_execnz .LBB48_2861
; %bb.813:
	s_or_saveexec_b64 s[6:7], s[6:7]
	v_mov_b32_e32 v20, s10
	s_xor_b64 exec, exec, s[6:7]
	s_cbranch_execnz .LBB48_2864
.LBB48_814:
	s_or_b64 exec, exec, s[6:7]
	s_and_saveexec_b64 s[6:7], s[4:5]
	s_cbranch_execz .LBB48_816
.LBB48_815:
	v_bfe_u32 v20, v11, 8, 3
	v_ffbh_u32_e32 v22, v20
	v_min_u32_e32 v22, 32, v22
	v_lshrrev_b16_e32 v21, 3, v14
	v_subrev_u32_e32 v23, 28, v22
	v_and_b32_e32 v21, 15, v21
	v_lshlrev_b32_e32 v14, v23, v14
	v_sub_u32_e32 v22, 29, v22
	v_and_b32_e32 v14, 7, v14
	v_cmp_eq_u16_e32 vcc, 0, v21
	v_cndmask_b32_e32 v14, v20, v14, vcc
	v_cndmask_b32_e32 v20, v21, v22, vcc
	v_lshlrev_b32_e32 v21, 16, v11
	v_mov_b32_e32 v22, 0x3b800000
	v_lshlrev_b32_e32 v14, 20, v14
	v_and_b32_e32 v21, 0x80000000, v21
	v_lshl_add_u32 v20, v20, 23, v22
	v_or3_b32 v20, v21, v20, v14
.LBB48_816:
	s_or_b64 exec, exec, s[6:7]
	s_nop 0
	v_mfma_f32_16x16x4f32 a[0:3], v10, v20, a[0:3]
	s_movk_i32 s4, 0xff
	v_and_b32_sdwa v14, v15, s4 dst_sel:DWORD dst_unused:UNUSED_PAD src0_sel:WORD_1 src1_sel:DWORD
	s_movk_i32 s4, 0x7f
	v_cmp_lt_i16_e32 vcc, s4, v14
	s_mov_b64 s[4:5], 0
                                        ; implicit-def: $sgpr10
	s_and_saveexec_b64 s[6:7], vcc
	s_xor_b64 s[6:7], exec, s[6:7]
	s_cbranch_execnz .LBB48_2865
; %bb.817:
	s_or_saveexec_b64 s[6:7], s[6:7]
	v_mov_b32_e32 v10, s10
	s_xor_b64 exec, exec, s[6:7]
	s_cbranch_execnz .LBB48_2868
.LBB48_818:
	s_or_b64 exec, exec, s[6:7]
	s_and_saveexec_b64 s[6:7], s[4:5]
	s_cbranch_execz .LBB48_820
.LBB48_819:
	v_bfe_u32 v10, v15, 16, 3
	v_ffbh_u32_e32 v21, v10
	v_min_u32_e32 v21, 32, v21
	v_lshrrev_b32_e32 v14, 19, v15
	v_subrev_u32_e32 v22, 28, v21
	v_and_b32_e32 v14, 15, v14
	v_lshlrev_b32_sdwa v22, v22, v15 dst_sel:DWORD dst_unused:UNUSED_PAD src0_sel:DWORD src1_sel:WORD_1
	v_bfe_u32 v20, v15, 19, 4
	v_sub_u32_e32 v21, 29, v21
	v_and_b32_e32 v22, 7, v22
	v_cmp_eq_u16_e32 vcc, 0, v14
	v_cndmask_b32_e32 v10, v10, v22, vcc
	v_cndmask_b32_e32 v14, v20, v21, vcc
	v_lshlrev_b32_e32 v20, 8, v15
	v_mov_b32_e32 v21, 0x3b800000
	v_lshlrev_b32_e32 v10, 20, v10
	v_and_b32_e32 v20, 0x80000000, v20
	v_lshl_add_u32 v14, v14, 23, v21
	v_or3_b32 v10, v20, v14, v10
.LBB48_820:
	s_or_b64 exec, exec, s[6:7]
	s_movk_i32 s4, 0xff
	v_and_b32_sdwa v14, v11, s4 dst_sel:DWORD dst_unused:UNUSED_PAD src0_sel:WORD_1 src1_sel:DWORD
	s_movk_i32 s4, 0x7f
	v_cmp_lt_i16_e32 vcc, s4, v14
	s_mov_b64 s[4:5], 0
                                        ; implicit-def: $sgpr10
	s_and_saveexec_b64 s[6:7], vcc
	s_xor_b64 s[6:7], exec, s[6:7]
	s_cbranch_execnz .LBB48_2869
; %bb.821:
	s_or_saveexec_b64 s[6:7], s[6:7]
	v_mov_b32_e32 v20, s10
	s_xor_b64 exec, exec, s[6:7]
	s_cbranch_execnz .LBB48_2872
.LBB48_822:
	s_or_b64 exec, exec, s[6:7]
	s_and_saveexec_b64 s[6:7], s[4:5]
	s_cbranch_execz .LBB48_824
.LBB48_823:
	v_bfe_u32 v14, v11, 16, 3
	v_ffbh_u32_e32 v22, v14
	v_min_u32_e32 v22, 32, v22
	v_lshrrev_b32_e32 v20, 19, v11
	v_subrev_u32_e32 v23, 28, v22
	v_and_b32_e32 v20, 15, v20
	v_lshlrev_b32_sdwa v23, v23, v11 dst_sel:DWORD dst_unused:UNUSED_PAD src0_sel:DWORD src1_sel:WORD_1
	v_bfe_u32 v21, v11, 19, 4
	v_sub_u32_e32 v22, 29, v22
	v_and_b32_e32 v23, 7, v23
	v_cmp_eq_u16_e32 vcc, 0, v20
	v_cndmask_b32_e32 v14, v14, v23, vcc
	v_cndmask_b32_e32 v20, v21, v22, vcc
	v_lshlrev_b32_e32 v21, 8, v11
	v_mov_b32_e32 v22, 0x3b800000
	v_lshlrev_b32_e32 v14, 20, v14
	v_and_b32_e32 v21, 0x80000000, v21
	v_lshl_add_u32 v20, v20, 23, v22
	v_or3_b32 v20, v21, v20, v14
.LBB48_824:
	s_or_b64 exec, exec, s[6:7]
	s_nop 0
	v_mfma_f32_16x16x4f32 a[0:3], v10, v20, a[0:3]
	s_movk_i32 s4, 0x7f
	v_cmp_gt_i16_sdwa s[6:7], v15, s4 src0_sel:BYTE_3 src1_sel:DWORD
	s_mov_b64 s[4:5], 0
                                        ; implicit-def: $sgpr10
	s_and_saveexec_b64 s[8:9], s[6:7]
	s_xor_b64 s[6:7], exec, s[8:9]
	s_cbranch_execnz .LBB48_2873
; %bb.825:
	s_or_saveexec_b64 s[6:7], s[6:7]
	v_mov_b32_e32 v10, s10
	s_xor_b64 exec, exec, s[6:7]
	s_cbranch_execnz .LBB48_2876
.LBB48_826:
	s_or_b64 exec, exec, s[6:7]
	s_and_saveexec_b64 s[6:7], s[4:5]
	s_cbranch_execz .LBB48_828
.LBB48_827:
	v_bfe_u32 v10, v15, 24, 3
	v_ffbh_u32_e32 v22, v10
	v_min_u32_e32 v22, 32, v22
	v_lshrrev_b32_e32 v20, 27, v15
	v_subrev_u32_e32 v23, 28, v22
	v_and_b32_e32 v14, 0x80000000, v15
	v_and_b32_e32 v20, 15, v20
	v_bfe_u32 v21, v15, 27, 4
	v_lshlrev_b32_sdwa v15, v23, v15 dst_sel:DWORD dst_unused:UNUSED_PAD src0_sel:DWORD src1_sel:BYTE_3
	v_sub_u32_e32 v22, 29, v22
	v_and_b32_e32 v15, 7, v15
	v_cmp_eq_u16_e32 vcc, 0, v20
	v_cndmask_b32_e32 v10, v10, v15, vcc
	v_cndmask_b32_e32 v15, v21, v22, vcc
	v_mov_b32_e32 v20, 0x3b800000
	v_lshlrev_b32_e32 v10, 20, v10
	v_lshl_add_u32 v15, v15, 23, v20
	v_or3_b32 v10, v14, v15, v10
.LBB48_828:
	s_or_b64 exec, exec, s[6:7]
	s_movk_i32 s4, 0x7f
	v_cmp_gt_i16_sdwa s[6:7], v11, s4 src0_sel:BYTE_3 src1_sel:DWORD
	s_mov_b64 s[4:5], 0
                                        ; implicit-def: $sgpr10
	s_and_saveexec_b64 s[8:9], s[6:7]
	s_xor_b64 s[6:7], exec, s[8:9]
	s_cbranch_execnz .LBB48_2877
; %bb.829:
	s_or_saveexec_b64 s[6:7], s[6:7]
	v_mov_b32_e32 v14, s10
	s_xor_b64 exec, exec, s[6:7]
	s_cbranch_execnz .LBB48_2880
.LBB48_830:
	s_or_b64 exec, exec, s[6:7]
	s_and_saveexec_b64 s[6:7], s[4:5]
	s_cbranch_execz .LBB48_832
.LBB48_831:
	v_bfe_u32 v14, v11, 24, 3
	v_ffbh_u32_e32 v22, v14
	v_min_u32_e32 v22, 32, v22
	v_lshrrev_b32_e32 v20, 27, v11
	v_subrev_u32_e32 v23, 28, v22
	v_and_b32_e32 v15, 0x80000000, v11
	v_and_b32_e32 v20, 15, v20
	v_bfe_u32 v21, v11, 27, 4
	v_lshlrev_b32_sdwa v11, v23, v11 dst_sel:DWORD dst_unused:UNUSED_PAD src0_sel:DWORD src1_sel:BYTE_3
	v_sub_u32_e32 v22, 29, v22
	v_and_b32_e32 v11, 7, v11
	v_cmp_eq_u16_e32 vcc, 0, v20
	v_cndmask_b32_e32 v11, v14, v11, vcc
	v_cndmask_b32_e32 v14, v21, v22, vcc
	v_mov_b32_e32 v20, 0x3b800000
	v_lshlrev_b32_e32 v11, 20, v11
	v_lshl_add_u32 v14, v14, 23, v20
	v_or3_b32 v14, v15, v14, v11
.LBB48_832:
	s_or_b64 exec, exec, s[6:7]
	s_nop 0
	v_mfma_f32_16x16x4f32 a[0:3], v10, v14, a[0:3]
	s_movk_i32 s4, 0x7f
	v_cmp_gt_i16_sdwa s[6:7], v16, s4 src0_sel:BYTE_0 src1_sel:DWORD
	s_mov_b64 s[4:5], 0
                                        ; implicit-def: $sgpr10
	s_and_saveexec_b64 s[8:9], s[6:7]
	s_xor_b64 s[6:7], exec, s[8:9]
	s_cbranch_execnz .LBB48_2881
; %bb.833:
	s_or_saveexec_b64 s[6:7], s[6:7]
	v_mov_b32_e32 v10, s10
	s_xor_b64 exec, exec, s[6:7]
	s_cbranch_execnz .LBB48_2884
.LBB48_834:
	s_or_b64 exec, exec, s[6:7]
	s_and_saveexec_b64 s[6:7], s[4:5]
	s_cbranch_execz .LBB48_836
.LBB48_835:
	v_and_b32_e32 v10, 7, v16
	v_ffbh_u32_e32 v14, v10
	v_min_u32_e32 v14, 32, v14
	v_lshrrev_b16_e32 v11, 3, v16
	v_subrev_u32_e32 v15, 28, v14
	v_and_b32_e32 v11, 15, v11
	v_lshlrev_b32_e32 v15, v15, v16
	v_sub_u32_e32 v14, 29, v14
	v_and_b32_e32 v15, 7, v15
	v_cmp_eq_u16_e32 vcc, 0, v11
	v_cndmask_b32_e32 v10, v10, v15, vcc
	v_cndmask_b32_e32 v11, v11, v14, vcc
	v_lshlrev_b32_e32 v14, 24, v16
	v_mov_b32_e32 v15, 0x3b800000
	v_lshlrev_b32_e32 v10, 20, v10
	v_and_b32_e32 v14, 0x80000000, v14
	v_lshl_add_u32 v11, v11, 23, v15
	v_or3_b32 v10, v14, v11, v10
.LBB48_836:
	s_or_b64 exec, exec, s[6:7]
	s_movk_i32 s4, 0x7f
	v_cmp_gt_i16_sdwa s[6:7], v12, s4 src0_sel:BYTE_0 src1_sel:DWORD
	s_mov_b64 s[4:5], 0
                                        ; implicit-def: $sgpr10
	s_and_saveexec_b64 s[8:9], s[6:7]
	s_xor_b64 s[6:7], exec, s[8:9]
	s_cbranch_execnz .LBB48_2885
; %bb.837:
	s_or_saveexec_b64 s[6:7], s[6:7]
	v_mov_b32_e32 v11, s10
	s_xor_b64 exec, exec, s[6:7]
	s_cbranch_execnz .LBB48_2888
.LBB48_838:
	s_or_b64 exec, exec, s[6:7]
	s_and_saveexec_b64 s[6:7], s[4:5]
	s_cbranch_execz .LBB48_840
.LBB48_839:
	v_and_b32_e32 v11, 7, v12
	v_ffbh_u32_e32 v15, v11
	v_min_u32_e32 v15, 32, v15
	v_lshrrev_b16_e32 v14, 3, v12
	v_subrev_u32_e32 v20, 28, v15
	v_and_b32_e32 v14, 15, v14
	v_lshlrev_b32_e32 v20, v20, v12
	v_sub_u32_e32 v15, 29, v15
	v_and_b32_e32 v20, 7, v20
	v_cmp_eq_u16_e32 vcc, 0, v14
	v_cndmask_b32_e32 v11, v11, v20, vcc
	v_cndmask_b32_e32 v14, v14, v15, vcc
	v_lshlrev_b32_e32 v15, 24, v12
	v_mov_b32_e32 v20, 0x3b800000
	v_lshlrev_b32_e32 v11, 20, v11
	v_and_b32_e32 v15, 0x80000000, v15
	v_lshl_add_u32 v14, v14, 23, v20
	v_or3_b32 v11, v15, v14, v11
.LBB48_840:
	s_or_b64 exec, exec, s[6:7]
	s_nop 0
	v_mfma_f32_16x16x4f32 a[0:3], v10, v11, a[0:3]
	v_lshrrev_b32_e32 v11, 8, v16
	s_movk_i32 s4, 0x7f
	v_cmp_gt_i16_sdwa s[6:7], v11, s4 src0_sel:BYTE_0 src1_sel:DWORD
	s_mov_b64 s[4:5], 0
                                        ; implicit-def: $sgpr10
	s_and_saveexec_b64 s[8:9], s[6:7]
	s_xor_b64 s[6:7], exec, s[8:9]
	s_cbranch_execnz .LBB48_2889
; %bb.841:
	s_or_saveexec_b64 s[6:7], s[6:7]
	v_mov_b32_e32 v10, s10
	s_xor_b64 exec, exec, s[6:7]
	s_cbranch_execnz .LBB48_2892
.LBB48_842:
	s_or_b64 exec, exec, s[6:7]
	s_and_saveexec_b64 s[6:7], s[4:5]
	s_cbranch_execz .LBB48_844
.LBB48_843:
	v_bfe_u32 v10, v16, 8, 3
	v_ffbh_u32_e32 v15, v10
	v_min_u32_e32 v15, 32, v15
	v_lshrrev_b16_e32 v14, 3, v11
	v_subrev_u32_e32 v20, 28, v15
	v_and_b32_e32 v14, 15, v14
	v_lshlrev_b32_e32 v11, v20, v11
	v_sub_u32_e32 v15, 29, v15
	v_and_b32_e32 v11, 7, v11
	v_cmp_eq_u16_e32 vcc, 0, v14
	v_cndmask_b32_e32 v10, v10, v11, vcc
	v_cndmask_b32_e32 v11, v14, v15, vcc
	v_lshlrev_b32_e32 v14, 16, v16
	v_mov_b32_e32 v15, 0x3b800000
	v_lshlrev_b32_e32 v10, 20, v10
	v_and_b32_e32 v14, 0x80000000, v14
	v_lshl_add_u32 v11, v11, 23, v15
	v_or3_b32 v10, v14, v11, v10
.LBB48_844:
	s_or_b64 exec, exec, s[6:7]
	v_lshrrev_b32_e32 v11, 8, v12
	s_movk_i32 s4, 0x7f
	v_cmp_gt_i16_sdwa s[6:7], v11, s4 src0_sel:BYTE_0 src1_sel:DWORD
	s_mov_b64 s[4:5], 0
                                        ; implicit-def: $sgpr10
	s_and_saveexec_b64 s[8:9], s[6:7]
	s_xor_b64 s[6:7], exec, s[8:9]
	s_cbranch_execnz .LBB48_2893
; %bb.845:
	s_or_saveexec_b64 s[6:7], s[6:7]
	v_mov_b32_e32 v14, s10
	s_xor_b64 exec, exec, s[6:7]
	s_cbranch_execnz .LBB48_2896
.LBB48_846:
	s_or_b64 exec, exec, s[6:7]
	s_and_saveexec_b64 s[6:7], s[4:5]
	s_cbranch_execz .LBB48_848
.LBB48_847:
	v_bfe_u32 v14, v12, 8, 3
	v_ffbh_u32_e32 v20, v14
	v_min_u32_e32 v20, 32, v20
	v_lshrrev_b16_e32 v15, 3, v11
	v_subrev_u32_e32 v21, 28, v20
	v_and_b32_e32 v15, 15, v15
	v_lshlrev_b32_e32 v11, v21, v11
	v_sub_u32_e32 v20, 29, v20
	v_and_b32_e32 v11, 7, v11
	v_cmp_eq_u16_e32 vcc, 0, v15
	v_cndmask_b32_e32 v11, v14, v11, vcc
	v_cndmask_b32_e32 v14, v15, v20, vcc
	v_lshlrev_b32_e32 v15, 16, v12
	v_mov_b32_e32 v20, 0x3b800000
	v_lshlrev_b32_e32 v11, 20, v11
	v_and_b32_e32 v15, 0x80000000, v15
	v_lshl_add_u32 v14, v14, 23, v20
	v_or3_b32 v14, v15, v14, v11
.LBB48_848:
	s_or_b64 exec, exec, s[6:7]
	s_nop 0
	v_mfma_f32_16x16x4f32 a[0:3], v10, v14, a[0:3]
	s_movk_i32 s4, 0xff
	v_and_b32_sdwa v11, v16, s4 dst_sel:DWORD dst_unused:UNUSED_PAD src0_sel:WORD_1 src1_sel:DWORD
	s_movk_i32 s4, 0x7f
	v_cmp_lt_i16_e32 vcc, s4, v11
	s_mov_b64 s[4:5], 0
                                        ; implicit-def: $sgpr10
	s_and_saveexec_b64 s[6:7], vcc
	s_xor_b64 s[6:7], exec, s[6:7]
	s_cbranch_execnz .LBB48_2897
; %bb.849:
	s_or_saveexec_b64 s[6:7], s[6:7]
	v_mov_b32_e32 v10, s10
	s_xor_b64 exec, exec, s[6:7]
	s_cbranch_execnz .LBB48_2900
.LBB48_850:
	s_or_b64 exec, exec, s[6:7]
	s_and_saveexec_b64 s[6:7], s[4:5]
	s_cbranch_execz .LBB48_852
.LBB48_851:
	v_bfe_u32 v10, v16, 16, 3
	v_ffbh_u32_e32 v15, v10
	v_min_u32_e32 v15, 32, v15
	v_lshrrev_b32_e32 v11, 19, v16
	v_subrev_u32_e32 v20, 28, v15
	v_and_b32_e32 v11, 15, v11
	v_lshlrev_b32_sdwa v20, v20, v16 dst_sel:DWORD dst_unused:UNUSED_PAD src0_sel:DWORD src1_sel:WORD_1
	v_bfe_u32 v14, v16, 19, 4
	v_sub_u32_e32 v15, 29, v15
	v_and_b32_e32 v20, 7, v20
	v_cmp_eq_u16_e32 vcc, 0, v11
	v_cndmask_b32_e32 v10, v10, v20, vcc
	v_cndmask_b32_e32 v11, v14, v15, vcc
	v_lshlrev_b32_e32 v14, 8, v16
	v_mov_b32_e32 v15, 0x3b800000
	v_lshlrev_b32_e32 v10, 20, v10
	v_and_b32_e32 v14, 0x80000000, v14
	v_lshl_add_u32 v11, v11, 23, v15
	v_or3_b32 v10, v14, v11, v10
.LBB48_852:
	s_or_b64 exec, exec, s[6:7]
	s_movk_i32 s4, 0xff
	v_and_b32_sdwa v11, v12, s4 dst_sel:DWORD dst_unused:UNUSED_PAD src0_sel:WORD_1 src1_sel:DWORD
	s_movk_i32 s4, 0x7f
	v_cmp_lt_i16_e32 vcc, s4, v11
	s_mov_b64 s[4:5], 0
                                        ; implicit-def: $sgpr10
	s_and_saveexec_b64 s[6:7], vcc
	s_xor_b64 s[6:7], exec, s[6:7]
	s_cbranch_execnz .LBB48_2901
; %bb.853:
	s_or_saveexec_b64 s[6:7], s[6:7]
	v_mov_b32_e32 v14, s10
	s_xor_b64 exec, exec, s[6:7]
	s_cbranch_execnz .LBB48_2904
.LBB48_854:
	s_or_b64 exec, exec, s[6:7]
	s_and_saveexec_b64 s[6:7], s[4:5]
	s_cbranch_execz .LBB48_856
.LBB48_855:
	v_bfe_u32 v11, v12, 16, 3
	v_ffbh_u32_e32 v20, v11
	v_min_u32_e32 v20, 32, v20
	v_lshrrev_b32_e32 v14, 19, v12
	v_subrev_u32_e32 v21, 28, v20
	v_and_b32_e32 v14, 15, v14
	v_lshlrev_b32_sdwa v21, v21, v12 dst_sel:DWORD dst_unused:UNUSED_PAD src0_sel:DWORD src1_sel:WORD_1
	v_bfe_u32 v15, v12, 19, 4
	v_sub_u32_e32 v20, 29, v20
	v_and_b32_e32 v21, 7, v21
	v_cmp_eq_u16_e32 vcc, 0, v14
	v_cndmask_b32_e32 v11, v11, v21, vcc
	v_cndmask_b32_e32 v14, v15, v20, vcc
	v_lshlrev_b32_e32 v15, 8, v12
	v_mov_b32_e32 v20, 0x3b800000
	v_lshlrev_b32_e32 v11, 20, v11
	v_and_b32_e32 v15, 0x80000000, v15
	v_lshl_add_u32 v14, v14, 23, v20
	v_or3_b32 v14, v15, v14, v11
.LBB48_856:
	s_or_b64 exec, exec, s[6:7]
	s_nop 0
	v_mfma_f32_16x16x4f32 a[0:3], v10, v14, a[0:3]
	s_movk_i32 s4, 0x7f
	v_cmp_gt_i16_sdwa s[6:7], v16, s4 src0_sel:BYTE_3 src1_sel:DWORD
	s_mov_b64 s[4:5], 0
                                        ; implicit-def: $sgpr10
	s_and_saveexec_b64 s[8:9], s[6:7]
	s_xor_b64 s[6:7], exec, s[8:9]
	s_cbranch_execnz .LBB48_2905
; %bb.857:
	s_or_saveexec_b64 s[6:7], s[6:7]
	v_mov_b32_e32 v10, s10
	s_xor_b64 exec, exec, s[6:7]
	s_cbranch_execnz .LBB48_2908
.LBB48_858:
	s_or_b64 exec, exec, s[6:7]
	s_and_saveexec_b64 s[6:7], s[4:5]
	s_cbranch_execz .LBB48_860
.LBB48_859:
	v_bfe_u32 v10, v16, 24, 3
	v_ffbh_u32_e32 v20, v10
	v_min_u32_e32 v20, 32, v20
	v_lshrrev_b32_e32 v14, 27, v16
	v_subrev_u32_e32 v21, 28, v20
	v_and_b32_e32 v11, 0x80000000, v16
	v_and_b32_e32 v14, 15, v14
	v_bfe_u32 v15, v16, 27, 4
	v_lshlrev_b32_sdwa v16, v21, v16 dst_sel:DWORD dst_unused:UNUSED_PAD src0_sel:DWORD src1_sel:BYTE_3
	v_sub_u32_e32 v20, 29, v20
	v_and_b32_e32 v16, 7, v16
	v_cmp_eq_u16_e32 vcc, 0, v14
	v_cndmask_b32_e32 v10, v10, v16, vcc
	v_cndmask_b32_e32 v14, v15, v20, vcc
	v_mov_b32_e32 v15, 0x3b800000
	v_lshlrev_b32_e32 v10, 20, v10
	v_lshl_add_u32 v14, v14, 23, v15
	v_or3_b32 v10, v11, v14, v10
.LBB48_860:
	s_or_b64 exec, exec, s[6:7]
	s_movk_i32 s4, 0x7f
	v_cmp_gt_i16_sdwa s[6:7], v12, s4 src0_sel:BYTE_3 src1_sel:DWORD
	s_mov_b64 s[4:5], 0
                                        ; implicit-def: $sgpr10
	s_and_saveexec_b64 s[8:9], s[6:7]
	s_xor_b64 s[6:7], exec, s[8:9]
	s_cbranch_execnz .LBB48_2909
; %bb.861:
	s_or_saveexec_b64 s[6:7], s[6:7]
	v_mov_b32_e32 v11, s10
	s_xor_b64 exec, exec, s[6:7]
	s_cbranch_execnz .LBB48_2912
.LBB48_862:
	s_or_b64 exec, exec, s[6:7]
	s_and_saveexec_b64 s[6:7], s[4:5]
	s_cbranch_execz .LBB48_864
.LBB48_863:
	v_bfe_u32 v11, v12, 24, 3
	v_ffbh_u32_e32 v20, v11
	v_min_u32_e32 v20, 32, v20
	v_lshrrev_b32_e32 v15, 27, v12
	v_subrev_u32_e32 v21, 28, v20
	v_and_b32_e32 v14, 0x80000000, v12
	v_and_b32_e32 v15, 15, v15
	v_bfe_u32 v16, v12, 27, 4
	v_lshlrev_b32_sdwa v12, v21, v12 dst_sel:DWORD dst_unused:UNUSED_PAD src0_sel:DWORD src1_sel:BYTE_3
	v_sub_u32_e32 v20, 29, v20
	v_and_b32_e32 v12, 7, v12
	v_cmp_eq_u16_e32 vcc, 0, v15
	v_cndmask_b32_e32 v11, v11, v12, vcc
	v_cndmask_b32_e32 v12, v16, v20, vcc
	v_mov_b32_e32 v15, 0x3b800000
	v_lshlrev_b32_e32 v11, 20, v11
	v_lshl_add_u32 v12, v12, 23, v15
	v_or3_b32 v11, v14, v12, v11
.LBB48_864:
	s_or_b64 exec, exec, s[6:7]
	s_nop 0
	v_mfma_f32_16x16x4f32 a[0:3], v10, v11, a[0:3]
	s_movk_i32 s4, 0x7f
	v_cmp_gt_i16_sdwa s[6:7], v17, s4 src0_sel:BYTE_0 src1_sel:DWORD
	s_mov_b64 s[4:5], 0
                                        ; implicit-def: $sgpr10
	s_and_saveexec_b64 s[8:9], s[6:7]
	s_xor_b64 s[6:7], exec, s[8:9]
	s_cbranch_execnz .LBB48_2913
; %bb.865:
	s_or_saveexec_b64 s[6:7], s[6:7]
	v_mov_b32_e32 v10, s10
	s_xor_b64 exec, exec, s[6:7]
	s_cbranch_execnz .LBB48_2916
.LBB48_866:
	s_or_b64 exec, exec, s[6:7]
	s_and_saveexec_b64 s[6:7], s[4:5]
	s_cbranch_execz .LBB48_868
.LBB48_867:
	v_and_b32_e32 v10, 7, v17
	v_ffbh_u32_e32 v12, v10
	v_min_u32_e32 v12, 32, v12
	v_lshrrev_b16_e32 v11, 3, v17
	v_subrev_u32_e32 v14, 28, v12
	v_and_b32_e32 v11, 15, v11
	v_lshlrev_b32_e32 v14, v14, v17
	v_sub_u32_e32 v12, 29, v12
	v_and_b32_e32 v14, 7, v14
	v_cmp_eq_u16_e32 vcc, 0, v11
	v_cndmask_b32_e32 v10, v10, v14, vcc
	v_cndmask_b32_e32 v11, v11, v12, vcc
	v_lshlrev_b32_e32 v12, 24, v17
	v_mov_b32_e32 v14, 0x3b800000
	v_lshlrev_b32_e32 v10, 20, v10
	v_and_b32_e32 v12, 0x80000000, v12
	v_lshl_add_u32 v11, v11, 23, v14
	v_or3_b32 v10, v12, v11, v10
.LBB48_868:
	s_or_b64 exec, exec, s[6:7]
	s_movk_i32 s4, 0x7f
	v_cmp_gt_i16_sdwa s[6:7], v13, s4 src0_sel:BYTE_0 src1_sel:DWORD
	s_mov_b64 s[4:5], 0
                                        ; implicit-def: $sgpr10
	s_and_saveexec_b64 s[8:9], s[6:7]
	s_xor_b64 s[6:7], exec, s[8:9]
	s_cbranch_execnz .LBB48_2917
; %bb.869:
	s_or_saveexec_b64 s[6:7], s[6:7]
	v_mov_b32_e32 v11, s10
	s_xor_b64 exec, exec, s[6:7]
	s_cbranch_execnz .LBB48_2920
.LBB48_870:
	s_or_b64 exec, exec, s[6:7]
	s_and_saveexec_b64 s[6:7], s[4:5]
	s_cbranch_execz .LBB48_872
.LBB48_871:
	v_and_b32_e32 v11, 7, v13
	v_ffbh_u32_e32 v14, v11
	v_min_u32_e32 v14, 32, v14
	v_lshrrev_b16_e32 v12, 3, v13
	v_subrev_u32_e32 v15, 28, v14
	v_and_b32_e32 v12, 15, v12
	v_lshlrev_b32_e32 v15, v15, v13
	v_sub_u32_e32 v14, 29, v14
	v_and_b32_e32 v15, 7, v15
	v_cmp_eq_u16_e32 vcc, 0, v12
	v_cndmask_b32_e32 v11, v11, v15, vcc
	v_cndmask_b32_e32 v12, v12, v14, vcc
	v_lshlrev_b32_e32 v14, 24, v13
	v_mov_b32_e32 v15, 0x3b800000
	v_lshlrev_b32_e32 v11, 20, v11
	v_and_b32_e32 v14, 0x80000000, v14
	v_lshl_add_u32 v12, v12, 23, v15
	v_or3_b32 v11, v14, v12, v11
.LBB48_872:
	s_or_b64 exec, exec, s[6:7]
	s_nop 0
	v_mfma_f32_16x16x4f32 a[0:3], v10, v11, a[0:3]
	v_lshrrev_b32_e32 v11, 8, v17
	s_movk_i32 s4, 0x7f
	v_cmp_gt_i16_sdwa s[6:7], v11, s4 src0_sel:BYTE_0 src1_sel:DWORD
	s_mov_b64 s[4:5], 0
                                        ; implicit-def: $sgpr10
	s_and_saveexec_b64 s[8:9], s[6:7]
	s_xor_b64 s[6:7], exec, s[8:9]
	s_cbranch_execnz .LBB48_2921
; %bb.873:
	s_or_saveexec_b64 s[6:7], s[6:7]
	v_mov_b32_e32 v10, s10
	s_xor_b64 exec, exec, s[6:7]
	s_cbranch_execnz .LBB48_2924
.LBB48_874:
	s_or_b64 exec, exec, s[6:7]
	s_and_saveexec_b64 s[6:7], s[4:5]
	s_cbranch_execz .LBB48_876
.LBB48_875:
	v_bfe_u32 v10, v17, 8, 3
	v_ffbh_u32_e32 v14, v10
	v_min_u32_e32 v14, 32, v14
	v_lshrrev_b16_e32 v12, 3, v11
	v_subrev_u32_e32 v15, 28, v14
	v_and_b32_e32 v12, 15, v12
	v_lshlrev_b32_e32 v11, v15, v11
	v_sub_u32_e32 v14, 29, v14
	v_and_b32_e32 v11, 7, v11
	v_cmp_eq_u16_e32 vcc, 0, v12
	v_cndmask_b32_e32 v10, v10, v11, vcc
	v_cndmask_b32_e32 v11, v12, v14, vcc
	v_lshlrev_b32_e32 v12, 16, v17
	v_mov_b32_e32 v14, 0x3b800000
	v_lshlrev_b32_e32 v10, 20, v10
	v_and_b32_e32 v12, 0x80000000, v12
	v_lshl_add_u32 v11, v11, 23, v14
	v_or3_b32 v10, v12, v11, v10
.LBB48_876:
	s_or_b64 exec, exec, s[6:7]
	v_lshrrev_b32_e32 v11, 8, v13
	s_movk_i32 s4, 0x7f
	v_cmp_gt_i16_sdwa s[6:7], v11, s4 src0_sel:BYTE_0 src1_sel:DWORD
	s_mov_b64 s[4:5], 0
                                        ; implicit-def: $sgpr10
	s_and_saveexec_b64 s[8:9], s[6:7]
	s_xor_b64 s[6:7], exec, s[8:9]
	s_cbranch_execnz .LBB48_2925
; %bb.877:
	s_or_saveexec_b64 s[6:7], s[6:7]
	v_mov_b32_e32 v12, s10
	s_xor_b64 exec, exec, s[6:7]
	s_cbranch_execnz .LBB48_2928
.LBB48_878:
	s_or_b64 exec, exec, s[6:7]
	s_and_saveexec_b64 s[6:7], s[4:5]
	s_cbranch_execz .LBB48_880
.LBB48_879:
	v_bfe_u32 v12, v13, 8, 3
	v_ffbh_u32_e32 v15, v12
	v_min_u32_e32 v15, 32, v15
	v_lshrrev_b16_e32 v14, 3, v11
	v_subrev_u32_e32 v16, 28, v15
	v_and_b32_e32 v14, 15, v14
	v_lshlrev_b32_e32 v11, v16, v11
	v_sub_u32_e32 v15, 29, v15
	v_and_b32_e32 v11, 7, v11
	v_cmp_eq_u16_e32 vcc, 0, v14
	v_cndmask_b32_e32 v11, v12, v11, vcc
	v_cndmask_b32_e32 v12, v14, v15, vcc
	v_lshlrev_b32_e32 v14, 16, v13
	v_mov_b32_e32 v15, 0x3b800000
	v_lshlrev_b32_e32 v11, 20, v11
	v_and_b32_e32 v14, 0x80000000, v14
	v_lshl_add_u32 v12, v12, 23, v15
	v_or3_b32 v12, v14, v12, v11
.LBB48_880:
	s_or_b64 exec, exec, s[6:7]
	s_nop 0
	v_mfma_f32_16x16x4f32 a[0:3], v10, v12, a[0:3]
	s_movk_i32 s4, 0xff
	v_and_b32_sdwa v11, v17, s4 dst_sel:DWORD dst_unused:UNUSED_PAD src0_sel:WORD_1 src1_sel:DWORD
	s_movk_i32 s4, 0x7f
	v_cmp_lt_i16_e32 vcc, s4, v11
	s_mov_b64 s[4:5], 0
                                        ; implicit-def: $sgpr10
	s_and_saveexec_b64 s[6:7], vcc
	s_xor_b64 s[6:7], exec, s[6:7]
	s_cbranch_execnz .LBB48_2929
; %bb.881:
	s_or_saveexec_b64 s[6:7], s[6:7]
	v_mov_b32_e32 v10, s10
	s_xor_b64 exec, exec, s[6:7]
	s_cbranch_execnz .LBB48_2932
.LBB48_882:
	s_or_b64 exec, exec, s[6:7]
	s_and_saveexec_b64 s[6:7], s[4:5]
	s_cbranch_execz .LBB48_884
.LBB48_883:
	v_bfe_u32 v10, v17, 16, 3
	v_ffbh_u32_e32 v14, v10
	v_min_u32_e32 v14, 32, v14
	v_lshrrev_b32_e32 v11, 19, v17
	v_subrev_u32_e32 v15, 28, v14
	v_and_b32_e32 v11, 15, v11
	v_lshlrev_b32_sdwa v15, v15, v17 dst_sel:DWORD dst_unused:UNUSED_PAD src0_sel:DWORD src1_sel:WORD_1
	v_bfe_u32 v12, v17, 19, 4
	v_sub_u32_e32 v14, 29, v14
	v_and_b32_e32 v15, 7, v15
	v_cmp_eq_u16_e32 vcc, 0, v11
	v_cndmask_b32_e32 v10, v10, v15, vcc
	v_cndmask_b32_e32 v11, v12, v14, vcc
	v_lshlrev_b32_e32 v12, 8, v17
	v_mov_b32_e32 v14, 0x3b800000
	v_lshlrev_b32_e32 v10, 20, v10
	v_and_b32_e32 v12, 0x80000000, v12
	v_lshl_add_u32 v11, v11, 23, v14
	v_or3_b32 v10, v12, v11, v10
.LBB48_884:
	s_or_b64 exec, exec, s[6:7]
	s_movk_i32 s4, 0xff
	v_and_b32_sdwa v11, v13, s4 dst_sel:DWORD dst_unused:UNUSED_PAD src0_sel:WORD_1 src1_sel:DWORD
	s_movk_i32 s4, 0x7f
	v_cmp_lt_i16_e32 vcc, s4, v11
	s_mov_b64 s[4:5], 0
                                        ; implicit-def: $sgpr10
	s_and_saveexec_b64 s[6:7], vcc
	s_xor_b64 s[6:7], exec, s[6:7]
	s_cbranch_execnz .LBB48_2933
; %bb.885:
	s_or_saveexec_b64 s[6:7], s[6:7]
	v_mov_b32_e32 v12, s10
	s_xor_b64 exec, exec, s[6:7]
	s_cbranch_execnz .LBB48_2936
.LBB48_886:
	s_or_b64 exec, exec, s[6:7]
	s_and_saveexec_b64 s[6:7], s[4:5]
	s_cbranch_execz .LBB48_888
.LBB48_887:
	v_bfe_u32 v11, v13, 16, 3
	v_ffbh_u32_e32 v15, v11
	v_min_u32_e32 v15, 32, v15
	v_lshrrev_b32_e32 v12, 19, v13
	v_subrev_u32_e32 v16, 28, v15
	v_and_b32_e32 v12, 15, v12
	v_lshlrev_b32_sdwa v16, v16, v13 dst_sel:DWORD dst_unused:UNUSED_PAD src0_sel:DWORD src1_sel:WORD_1
	v_bfe_u32 v14, v13, 19, 4
	v_sub_u32_e32 v15, 29, v15
	v_and_b32_e32 v16, 7, v16
	v_cmp_eq_u16_e32 vcc, 0, v12
	v_cndmask_b32_e32 v11, v11, v16, vcc
	v_cndmask_b32_e32 v12, v14, v15, vcc
	v_lshlrev_b32_e32 v14, 8, v13
	v_mov_b32_e32 v15, 0x3b800000
	v_lshlrev_b32_e32 v11, 20, v11
	v_and_b32_e32 v14, 0x80000000, v14
	v_lshl_add_u32 v12, v12, 23, v15
	v_or3_b32 v12, v14, v12, v11
.LBB48_888:
	s_or_b64 exec, exec, s[6:7]
	s_nop 0
	v_mfma_f32_16x16x4f32 a[0:3], v10, v12, a[0:3]
	s_movk_i32 s4, 0x7f
	v_cmp_gt_i16_sdwa s[6:7], v17, s4 src0_sel:BYTE_3 src1_sel:DWORD
	s_mov_b64 s[4:5], 0
                                        ; implicit-def: $sgpr10
	s_and_saveexec_b64 s[8:9], s[6:7]
	s_xor_b64 s[6:7], exec, s[8:9]
	s_cbranch_execnz .LBB48_2937
; %bb.889:
	s_or_saveexec_b64 s[6:7], s[6:7]
	v_mov_b32_e32 v10, s10
	s_xor_b64 exec, exec, s[6:7]
	s_cbranch_execnz .LBB48_2940
.LBB48_890:
	s_or_b64 exec, exec, s[6:7]
	s_and_saveexec_b64 s[6:7], s[4:5]
	s_cbranch_execz .LBB48_892
.LBB48_891:
	v_bfe_u32 v10, v17, 24, 3
	v_ffbh_u32_e32 v15, v10
	v_min_u32_e32 v15, 32, v15
	v_lshrrev_b32_e32 v12, 27, v17
	v_subrev_u32_e32 v16, 28, v15
	v_and_b32_e32 v12, 15, v12
	v_lshlrev_b32_sdwa v16, v16, v17 dst_sel:DWORD dst_unused:UNUSED_PAD src0_sel:DWORD src1_sel:BYTE_3
	v_bfe_u32 v14, v17, 27, 4
	v_sub_u32_e32 v15, 29, v15
	v_and_b32_e32 v16, 7, v16
	v_cmp_eq_u16_e32 vcc, 0, v12
	v_cndmask_b32_e32 v10, v10, v16, vcc
	v_cndmask_b32_e32 v12, v14, v15, vcc
	v_mov_b32_e32 v14, 0x3b800000
	v_and_b32_e32 v11, 0x80000000, v17
	v_lshlrev_b32_e32 v10, 20, v10
	v_lshl_add_u32 v12, v12, 23, v14
	v_or3_b32 v10, v11, v12, v10
.LBB48_892:
	s_or_b64 exec, exec, s[6:7]
	s_movk_i32 s4, 0x7f
	v_cmp_gt_i16_sdwa s[6:7], v13, s4 src0_sel:BYTE_3 src1_sel:DWORD
	s_mov_b64 s[4:5], 0
                                        ; implicit-def: $sgpr10
	s_and_saveexec_b64 s[8:9], s[6:7]
	s_xor_b64 s[6:7], exec, s[8:9]
	s_cbranch_execnz .LBB48_2941
; %bb.893:
	s_or_saveexec_b64 s[6:7], s[6:7]
	v_mov_b32_e32 v11, s10
	s_xor_b64 exec, exec, s[6:7]
	s_cbranch_execnz .LBB48_2944
.LBB48_894:
	s_or_b64 exec, exec, s[6:7]
	s_and_saveexec_b64 s[6:7], s[4:5]
	s_cbranch_execz .LBB48_896
.LBB48_895:
	v_bfe_u32 v11, v13, 24, 3
	v_ffbh_u32_e32 v16, v11
	v_min_u32_e32 v16, 32, v16
	v_lshrrev_b32_e32 v14, 27, v13
	v_subrev_u32_e32 v17, 28, v16
	v_and_b32_e32 v12, 0x80000000, v13
	v_and_b32_e32 v14, 15, v14
	v_bfe_u32 v15, v13, 27, 4
	v_lshlrev_b32_sdwa v13, v17, v13 dst_sel:DWORD dst_unused:UNUSED_PAD src0_sel:DWORD src1_sel:BYTE_3
	v_sub_u32_e32 v16, 29, v16
	v_and_b32_e32 v13, 7, v13
	v_cmp_eq_u16_e32 vcc, 0, v14
	v_cndmask_b32_e32 v11, v11, v13, vcc
	v_cndmask_b32_e32 v13, v15, v16, vcc
	v_mov_b32_e32 v14, 0x3b800000
	v_lshlrev_b32_e32 v11, 20, v11
	v_lshl_add_u32 v13, v13, 23, v14
	v_or3_b32 v11, v12, v13, v11
.LBB48_896:
	s_or_b64 exec, exec, s[6:7]
	s_nop 0
	v_mfma_f32_16x16x4f32 a[0:3], v10, v11, a[0:3]
	s_movk_i32 s4, 0x7f
	v_cmp_gt_i16_sdwa s[6:7], v6, s4 src0_sel:BYTE_0 src1_sel:DWORD
	s_mov_b64 s[4:5], 0
                                        ; implicit-def: $sgpr10
	s_and_saveexec_b64 s[8:9], s[6:7]
	s_xor_b64 s[6:7], exec, s[8:9]
	s_cbranch_execnz .LBB48_2945
; %bb.897:
	s_or_saveexec_b64 s[6:7], s[6:7]
	v_mov_b32_e32 v10, s10
	s_xor_b64 exec, exec, s[6:7]
	s_cbranch_execnz .LBB48_2948
.LBB48_898:
	s_or_b64 exec, exec, s[6:7]
	s_and_saveexec_b64 s[6:7], s[4:5]
	s_cbranch_execz .LBB48_900
.LBB48_899:
	v_and_b32_e32 v10, 7, v6
	v_ffbh_u32_e32 v12, v10
	v_min_u32_e32 v12, 32, v12
	v_lshrrev_b16_e32 v11, 3, v6
	v_subrev_u32_e32 v13, 28, v12
	v_and_b32_e32 v11, 15, v11
	v_lshlrev_b32_e32 v13, v13, v6
	v_sub_u32_e32 v12, 29, v12
	v_and_b32_e32 v13, 7, v13
	v_cmp_eq_u16_e32 vcc, 0, v11
	v_cndmask_b32_e32 v10, v10, v13, vcc
	v_cndmask_b32_e32 v11, v11, v12, vcc
	v_lshlrev_b32_e32 v12, 24, v6
	v_mov_b32_e32 v13, 0x3b800000
	v_lshlrev_b32_e32 v10, 20, v10
	v_and_b32_e32 v12, 0x80000000, v12
	v_lshl_add_u32 v11, v11, 23, v13
	v_or3_b32 v10, v12, v11, v10
.LBB48_900:
	s_or_b64 exec, exec, s[6:7]
	s_movk_i32 s4, 0x7f
	v_cmp_gt_i16_sdwa s[6:7], v2, s4 src0_sel:BYTE_0 src1_sel:DWORD
	s_mov_b64 s[4:5], 0
                                        ; implicit-def: $sgpr10
	s_and_saveexec_b64 s[8:9], s[6:7]
	s_xor_b64 s[6:7], exec, s[8:9]
	s_cbranch_execnz .LBB48_2949
; %bb.901:
	s_or_saveexec_b64 s[6:7], s[6:7]
	v_mov_b32_e32 v11, s10
	s_xor_b64 exec, exec, s[6:7]
	s_cbranch_execnz .LBB48_2952
.LBB48_902:
	s_or_b64 exec, exec, s[6:7]
	s_and_saveexec_b64 s[6:7], s[4:5]
	s_cbranch_execz .LBB48_904
.LBB48_903:
	v_and_b32_e32 v11, 7, v2
	v_ffbh_u32_e32 v13, v11
	v_min_u32_e32 v13, 32, v13
	v_lshrrev_b16_e32 v12, 3, v2
	v_subrev_u32_e32 v14, 28, v13
	v_and_b32_e32 v12, 15, v12
	v_lshlrev_b32_e32 v14, v14, v2
	v_sub_u32_e32 v13, 29, v13
	v_and_b32_e32 v14, 7, v14
	v_cmp_eq_u16_e32 vcc, 0, v12
	v_cndmask_b32_e32 v11, v11, v14, vcc
	v_cndmask_b32_e32 v12, v12, v13, vcc
	v_lshlrev_b32_e32 v13, 24, v2
	v_mov_b32_e32 v14, 0x3b800000
	v_lshlrev_b32_e32 v11, 20, v11
	v_and_b32_e32 v13, 0x80000000, v13
	v_lshl_add_u32 v12, v12, 23, v14
	v_or3_b32 v11, v13, v12, v11
.LBB48_904:
	s_or_b64 exec, exec, s[6:7]
	s_nop 0
	v_mfma_f32_16x16x4f32 a[0:3], v10, v11, a[0:3]
	v_lshrrev_b32_e32 v11, 8, v6
	s_movk_i32 s4, 0x7f
	v_cmp_gt_i16_sdwa s[6:7], v11, s4 src0_sel:BYTE_0 src1_sel:DWORD
	s_mov_b64 s[4:5], 0
                                        ; implicit-def: $sgpr10
	s_and_saveexec_b64 s[8:9], s[6:7]
	s_xor_b64 s[6:7], exec, s[8:9]
	s_cbranch_execnz .LBB48_2953
; %bb.905:
	s_or_saveexec_b64 s[6:7], s[6:7]
	v_mov_b32_e32 v10, s10
	s_xor_b64 exec, exec, s[6:7]
	s_cbranch_execnz .LBB48_2956
.LBB48_906:
	s_or_b64 exec, exec, s[6:7]
	s_and_saveexec_b64 s[6:7], s[4:5]
	s_cbranch_execz .LBB48_908
.LBB48_907:
	v_bfe_u32 v10, v6, 8, 3
	v_ffbh_u32_e32 v13, v10
	v_min_u32_e32 v13, 32, v13
	v_lshrrev_b16_e32 v12, 3, v11
	v_subrev_u32_e32 v14, 28, v13
	v_and_b32_e32 v12, 15, v12
	v_lshlrev_b32_e32 v11, v14, v11
	v_sub_u32_e32 v13, 29, v13
	v_and_b32_e32 v11, 7, v11
	v_cmp_eq_u16_e32 vcc, 0, v12
	v_cndmask_b32_e32 v10, v10, v11, vcc
	v_cndmask_b32_e32 v11, v12, v13, vcc
	v_lshlrev_b32_e32 v12, 16, v6
	v_mov_b32_e32 v13, 0x3b800000
	v_lshlrev_b32_e32 v10, 20, v10
	v_and_b32_e32 v12, 0x80000000, v12
	v_lshl_add_u32 v11, v11, 23, v13
	v_or3_b32 v10, v12, v11, v10
.LBB48_908:
	s_or_b64 exec, exec, s[6:7]
	v_lshrrev_b32_e32 v11, 8, v2
	s_movk_i32 s4, 0x7f
	v_cmp_gt_i16_sdwa s[6:7], v11, s4 src0_sel:BYTE_0 src1_sel:DWORD
	s_mov_b64 s[4:5], 0
                                        ; implicit-def: $sgpr10
	s_and_saveexec_b64 s[8:9], s[6:7]
	s_xor_b64 s[6:7], exec, s[8:9]
	s_cbranch_execnz .LBB48_2957
; %bb.909:
	s_or_saveexec_b64 s[6:7], s[6:7]
	v_mov_b32_e32 v12, s10
	s_xor_b64 exec, exec, s[6:7]
	s_cbranch_execnz .LBB48_2960
.LBB48_910:
	s_or_b64 exec, exec, s[6:7]
	s_and_saveexec_b64 s[6:7], s[4:5]
	s_cbranch_execz .LBB48_912
.LBB48_911:
	v_bfe_u32 v12, v2, 8, 3
	v_ffbh_u32_e32 v14, v12
	v_min_u32_e32 v14, 32, v14
	v_lshrrev_b16_e32 v13, 3, v11
	v_subrev_u32_e32 v15, 28, v14
	v_and_b32_e32 v13, 15, v13
	v_lshlrev_b32_e32 v11, v15, v11
	v_sub_u32_e32 v14, 29, v14
	v_and_b32_e32 v11, 7, v11
	v_cmp_eq_u16_e32 vcc, 0, v13
	v_cndmask_b32_e32 v11, v12, v11, vcc
	v_cndmask_b32_e32 v12, v13, v14, vcc
	v_lshlrev_b32_e32 v13, 16, v2
	v_mov_b32_e32 v14, 0x3b800000
	v_lshlrev_b32_e32 v11, 20, v11
	v_and_b32_e32 v13, 0x80000000, v13
	v_lshl_add_u32 v12, v12, 23, v14
	v_or3_b32 v12, v13, v12, v11
.LBB48_912:
	s_or_b64 exec, exec, s[6:7]
	s_nop 0
	v_mfma_f32_16x16x4f32 a[0:3], v10, v12, a[0:3]
	s_movk_i32 s4, 0xff
	v_and_b32_sdwa v11, v6, s4 dst_sel:DWORD dst_unused:UNUSED_PAD src0_sel:WORD_1 src1_sel:DWORD
	s_movk_i32 s4, 0x7f
	v_cmp_lt_i16_e32 vcc, s4, v11
	s_mov_b64 s[4:5], 0
                                        ; implicit-def: $sgpr10
	s_and_saveexec_b64 s[6:7], vcc
	s_xor_b64 s[6:7], exec, s[6:7]
	s_cbranch_execnz .LBB48_2961
; %bb.913:
	s_or_saveexec_b64 s[6:7], s[6:7]
	v_mov_b32_e32 v10, s10
	s_xor_b64 exec, exec, s[6:7]
	s_cbranch_execnz .LBB48_2964
.LBB48_914:
	s_or_b64 exec, exec, s[6:7]
	s_and_saveexec_b64 s[6:7], s[4:5]
	s_cbranch_execz .LBB48_916
.LBB48_915:
	v_bfe_u32 v10, v6, 16, 3
	v_ffbh_u32_e32 v13, v10
	v_min_u32_e32 v13, 32, v13
	v_lshrrev_b32_e32 v11, 19, v6
	v_subrev_u32_e32 v14, 28, v13
	v_and_b32_e32 v11, 15, v11
	v_lshlrev_b32_sdwa v14, v14, v6 dst_sel:DWORD dst_unused:UNUSED_PAD src0_sel:DWORD src1_sel:WORD_1
	v_bfe_u32 v12, v6, 19, 4
	v_sub_u32_e32 v13, 29, v13
	v_and_b32_e32 v14, 7, v14
	v_cmp_eq_u16_e32 vcc, 0, v11
	v_cndmask_b32_e32 v10, v10, v14, vcc
	v_cndmask_b32_e32 v11, v12, v13, vcc
	v_lshlrev_b32_e32 v12, 8, v6
	v_mov_b32_e32 v13, 0x3b800000
	v_lshlrev_b32_e32 v10, 20, v10
	v_and_b32_e32 v12, 0x80000000, v12
	v_lshl_add_u32 v11, v11, 23, v13
	v_or3_b32 v10, v12, v11, v10
.LBB48_916:
	s_or_b64 exec, exec, s[6:7]
	s_movk_i32 s4, 0xff
	v_and_b32_sdwa v11, v2, s4 dst_sel:DWORD dst_unused:UNUSED_PAD src0_sel:WORD_1 src1_sel:DWORD
	s_movk_i32 s4, 0x7f
	v_cmp_lt_i16_e32 vcc, s4, v11
	s_mov_b64 s[4:5], 0
                                        ; implicit-def: $sgpr10
	s_and_saveexec_b64 s[6:7], vcc
	s_xor_b64 s[6:7], exec, s[6:7]
	s_cbranch_execnz .LBB48_2965
; %bb.917:
	s_or_saveexec_b64 s[6:7], s[6:7]
	v_mov_b32_e32 v12, s10
	s_xor_b64 exec, exec, s[6:7]
	s_cbranch_execnz .LBB48_2968
.LBB48_918:
	s_or_b64 exec, exec, s[6:7]
	s_and_saveexec_b64 s[6:7], s[4:5]
	s_cbranch_execz .LBB48_920
.LBB48_919:
	v_bfe_u32 v11, v2, 16, 3
	v_ffbh_u32_e32 v14, v11
	v_min_u32_e32 v14, 32, v14
	v_lshrrev_b32_e32 v12, 19, v2
	v_subrev_u32_e32 v15, 28, v14
	v_and_b32_e32 v12, 15, v12
	v_lshlrev_b32_sdwa v15, v15, v2 dst_sel:DWORD dst_unused:UNUSED_PAD src0_sel:DWORD src1_sel:WORD_1
	v_bfe_u32 v13, v2, 19, 4
	v_sub_u32_e32 v14, 29, v14
	v_and_b32_e32 v15, 7, v15
	v_cmp_eq_u16_e32 vcc, 0, v12
	v_cndmask_b32_e32 v11, v11, v15, vcc
	v_cndmask_b32_e32 v12, v13, v14, vcc
	v_lshlrev_b32_e32 v13, 8, v2
	v_mov_b32_e32 v14, 0x3b800000
	v_lshlrev_b32_e32 v11, 20, v11
	v_and_b32_e32 v13, 0x80000000, v13
	v_lshl_add_u32 v12, v12, 23, v14
	v_or3_b32 v12, v13, v12, v11
.LBB48_920:
	s_or_b64 exec, exec, s[6:7]
	s_nop 0
	v_mfma_f32_16x16x4f32 a[0:3], v10, v12, a[0:3]
	s_movk_i32 s4, 0x7f
	v_cmp_gt_i16_sdwa s[6:7], v6, s4 src0_sel:BYTE_3 src1_sel:DWORD
	s_mov_b64 s[4:5], 0
                                        ; implicit-def: $sgpr10
	s_and_saveexec_b64 s[8:9], s[6:7]
	s_xor_b64 s[6:7], exec, s[8:9]
	s_cbranch_execnz .LBB48_2969
; %bb.921:
	s_or_saveexec_b64 s[6:7], s[6:7]
	v_mov_b32_e32 v10, s10
	s_xor_b64 exec, exec, s[6:7]
	s_cbranch_execnz .LBB48_2972
.LBB48_922:
	s_or_b64 exec, exec, s[6:7]
	s_and_saveexec_b64 s[6:7], s[4:5]
	s_cbranch_execz .LBB48_924
.LBB48_923:
	v_bfe_u32 v10, v6, 24, 3
	v_ffbh_u32_e32 v14, v10
	v_min_u32_e32 v14, 32, v14
	v_lshrrev_b32_e32 v12, 27, v6
	v_subrev_u32_e32 v15, 28, v14
	v_and_b32_e32 v11, 0x80000000, v6
	v_and_b32_e32 v12, 15, v12
	v_bfe_u32 v13, v6, 27, 4
	v_lshlrev_b32_sdwa v6, v15, v6 dst_sel:DWORD dst_unused:UNUSED_PAD src0_sel:DWORD src1_sel:BYTE_3
	v_sub_u32_e32 v14, 29, v14
	v_and_b32_e32 v6, 7, v6
	v_cmp_eq_u16_e32 vcc, 0, v12
	v_cndmask_b32_e32 v6, v10, v6, vcc
	v_cndmask_b32_e32 v10, v13, v14, vcc
	v_mov_b32_e32 v12, 0x3b800000
	v_lshlrev_b32_e32 v6, 20, v6
	v_lshl_add_u32 v10, v10, 23, v12
	v_or3_b32 v10, v11, v10, v6
.LBB48_924:
	s_or_b64 exec, exec, s[6:7]
	s_movk_i32 s4, 0x7f
	v_cmp_gt_i16_sdwa s[6:7], v2, s4 src0_sel:BYTE_3 src1_sel:DWORD
	s_mov_b64 s[4:5], 0
                                        ; implicit-def: $sgpr10
	s_and_saveexec_b64 s[8:9], s[6:7]
	s_xor_b64 s[6:7], exec, s[8:9]
	s_cbranch_execnz .LBB48_2973
; %bb.925:
	s_or_saveexec_b64 s[6:7], s[6:7]
	v_mov_b32_e32 v6, s10
	s_xor_b64 exec, exec, s[6:7]
	s_cbranch_execnz .LBB48_2976
.LBB48_926:
	s_or_b64 exec, exec, s[6:7]
	s_and_saveexec_b64 s[6:7], s[4:5]
	s_cbranch_execz .LBB48_928
.LBB48_927:
	v_bfe_u32 v6, v2, 24, 3
	v_ffbh_u32_e32 v14, v6
	v_min_u32_e32 v14, 32, v14
	v_lshrrev_b32_e32 v12, 27, v2
	v_subrev_u32_e32 v15, 28, v14
	v_and_b32_e32 v11, 0x80000000, v2
	v_and_b32_e32 v12, 15, v12
	v_bfe_u32 v13, v2, 27, 4
	v_lshlrev_b32_sdwa v2, v15, v2 dst_sel:DWORD dst_unused:UNUSED_PAD src0_sel:DWORD src1_sel:BYTE_3
	v_sub_u32_e32 v14, 29, v14
	v_and_b32_e32 v2, 7, v2
	v_cmp_eq_u16_e32 vcc, 0, v12
	v_cndmask_b32_e32 v2, v6, v2, vcc
	v_cndmask_b32_e32 v6, v13, v14, vcc
	v_mov_b32_e32 v12, 0x3b800000
	v_lshlrev_b32_e32 v2, 20, v2
	v_lshl_add_u32 v6, v6, 23, v12
	v_or3_b32 v6, v11, v6, v2
.LBB48_928:
	s_or_b64 exec, exec, s[6:7]
	s_nop 0
	v_mfma_f32_16x16x4f32 a[0:3], v10, v6, a[0:3]
	s_movk_i32 s4, 0x7f
	v_cmp_gt_i16_sdwa s[6:7], v7, s4 src0_sel:BYTE_0 src1_sel:DWORD
	s_mov_b64 s[4:5], 0
                                        ; implicit-def: $sgpr10
	s_and_saveexec_b64 s[8:9], s[6:7]
	s_xor_b64 s[6:7], exec, s[8:9]
	s_cbranch_execnz .LBB48_2977
; %bb.929:
	s_or_saveexec_b64 s[6:7], s[6:7]
	v_mov_b32_e32 v2, s10
	s_xor_b64 exec, exec, s[6:7]
	s_cbranch_execnz .LBB48_2980
.LBB48_930:
	s_or_b64 exec, exec, s[6:7]
	s_and_saveexec_b64 s[6:7], s[4:5]
	s_cbranch_execz .LBB48_932
.LBB48_931:
	v_and_b32_e32 v2, 7, v7
	v_ffbh_u32_e32 v10, v2
	v_min_u32_e32 v10, 32, v10
	v_lshrrev_b16_e32 v6, 3, v7
	v_subrev_u32_e32 v11, 28, v10
	v_and_b32_e32 v6, 15, v6
	v_lshlrev_b32_e32 v11, v11, v7
	v_sub_u32_e32 v10, 29, v10
	v_and_b32_e32 v11, 7, v11
	v_cmp_eq_u16_e32 vcc, 0, v6
	v_cndmask_b32_e32 v2, v2, v11, vcc
	v_cndmask_b32_e32 v6, v6, v10, vcc
	v_lshlrev_b32_e32 v10, 24, v7
	v_mov_b32_e32 v11, 0x3b800000
	v_lshlrev_b32_e32 v2, 20, v2
	v_and_b32_e32 v10, 0x80000000, v10
	v_lshl_add_u32 v6, v6, 23, v11
	v_or3_b32 v2, v10, v6, v2
.LBB48_932:
	s_or_b64 exec, exec, s[6:7]
	s_movk_i32 s4, 0x7f
	v_cmp_gt_i16_sdwa s[6:7], v3, s4 src0_sel:BYTE_0 src1_sel:DWORD
	s_mov_b64 s[4:5], 0
                                        ; implicit-def: $sgpr10
	s_and_saveexec_b64 s[8:9], s[6:7]
	s_xor_b64 s[6:7], exec, s[8:9]
	s_cbranch_execnz .LBB48_2981
; %bb.933:
	s_or_saveexec_b64 s[6:7], s[6:7]
	v_mov_b32_e32 v6, s10
	s_xor_b64 exec, exec, s[6:7]
	s_cbranch_execnz .LBB48_2984
.LBB48_934:
	s_or_b64 exec, exec, s[6:7]
	s_and_saveexec_b64 s[6:7], s[4:5]
	s_cbranch_execz .LBB48_936
.LBB48_935:
	v_and_b32_e32 v6, 7, v3
	v_ffbh_u32_e32 v11, v6
	v_min_u32_e32 v11, 32, v11
	v_lshrrev_b16_e32 v10, 3, v3
	v_subrev_u32_e32 v12, 28, v11
	v_and_b32_e32 v10, 15, v10
	v_lshlrev_b32_e32 v12, v12, v3
	v_sub_u32_e32 v11, 29, v11
	v_and_b32_e32 v12, 7, v12
	v_cmp_eq_u16_e32 vcc, 0, v10
	v_cndmask_b32_e32 v6, v6, v12, vcc
	v_cndmask_b32_e32 v10, v10, v11, vcc
	v_lshlrev_b32_e32 v11, 24, v3
	v_mov_b32_e32 v12, 0x3b800000
	v_lshlrev_b32_e32 v6, 20, v6
	v_and_b32_e32 v11, 0x80000000, v11
	v_lshl_add_u32 v10, v10, 23, v12
	v_or3_b32 v6, v11, v10, v6
.LBB48_936:
	s_or_b64 exec, exec, s[6:7]
	s_nop 0
	v_mfma_f32_16x16x4f32 a[0:3], v2, v6, a[0:3]
	v_lshrrev_b32_e32 v6, 8, v7
	s_movk_i32 s4, 0x7f
	v_cmp_gt_i16_sdwa s[6:7], v6, s4 src0_sel:BYTE_0 src1_sel:DWORD
	s_mov_b64 s[4:5], 0
                                        ; implicit-def: $sgpr10
	s_and_saveexec_b64 s[8:9], s[6:7]
	s_xor_b64 s[6:7], exec, s[8:9]
	s_cbranch_execnz .LBB48_2985
; %bb.937:
	s_or_saveexec_b64 s[6:7], s[6:7]
	v_mov_b32_e32 v2, s10
	s_xor_b64 exec, exec, s[6:7]
	s_cbranch_execnz .LBB48_2988
.LBB48_938:
	s_or_b64 exec, exec, s[6:7]
	s_and_saveexec_b64 s[6:7], s[4:5]
	s_cbranch_execz .LBB48_940
.LBB48_939:
	v_bfe_u32 v2, v7, 8, 3
	v_ffbh_u32_e32 v11, v2
	v_min_u32_e32 v11, 32, v11
	v_lshrrev_b16_e32 v10, 3, v6
	v_subrev_u32_e32 v12, 28, v11
	v_and_b32_e32 v10, 15, v10
	v_lshlrev_b32_e32 v6, v12, v6
	v_sub_u32_e32 v11, 29, v11
	v_and_b32_e32 v6, 7, v6
	v_cmp_eq_u16_e32 vcc, 0, v10
	v_cndmask_b32_e32 v2, v2, v6, vcc
	v_cndmask_b32_e32 v6, v10, v11, vcc
	v_lshlrev_b32_e32 v10, 16, v7
	v_mov_b32_e32 v11, 0x3b800000
	v_lshlrev_b32_e32 v2, 20, v2
	v_and_b32_e32 v10, 0x80000000, v10
	v_lshl_add_u32 v6, v6, 23, v11
	v_or3_b32 v2, v10, v6, v2
.LBB48_940:
	s_or_b64 exec, exec, s[6:7]
	v_lshrrev_b32_e32 v6, 8, v3
	s_movk_i32 s4, 0x7f
	v_cmp_gt_i16_sdwa s[6:7], v6, s4 src0_sel:BYTE_0 src1_sel:DWORD
	s_mov_b64 s[4:5], 0
                                        ; implicit-def: $sgpr10
	s_and_saveexec_b64 s[8:9], s[6:7]
	s_xor_b64 s[6:7], exec, s[8:9]
	s_cbranch_execnz .LBB48_2989
; %bb.941:
	s_or_saveexec_b64 s[6:7], s[6:7]
	v_mov_b32_e32 v10, s10
	s_xor_b64 exec, exec, s[6:7]
	s_cbranch_execnz .LBB48_2992
.LBB48_942:
	s_or_b64 exec, exec, s[6:7]
	s_and_saveexec_b64 s[6:7], s[4:5]
	s_cbranch_execz .LBB48_944
.LBB48_943:
	v_bfe_u32 v10, v3, 8, 3
	v_ffbh_u32_e32 v12, v10
	v_min_u32_e32 v12, 32, v12
	v_lshrrev_b16_e32 v11, 3, v6
	v_subrev_u32_e32 v13, 28, v12
	v_and_b32_e32 v11, 15, v11
	v_lshlrev_b32_e32 v6, v13, v6
	v_sub_u32_e32 v12, 29, v12
	v_and_b32_e32 v6, 7, v6
	v_cmp_eq_u16_e32 vcc, 0, v11
	v_cndmask_b32_e32 v6, v10, v6, vcc
	v_cndmask_b32_e32 v10, v11, v12, vcc
	v_lshlrev_b32_e32 v11, 16, v3
	v_mov_b32_e32 v12, 0x3b800000
	v_lshlrev_b32_e32 v6, 20, v6
	v_and_b32_e32 v11, 0x80000000, v11
	v_lshl_add_u32 v10, v10, 23, v12
	v_or3_b32 v10, v11, v10, v6
.LBB48_944:
	s_or_b64 exec, exec, s[6:7]
	s_nop 0
	v_mfma_f32_16x16x4f32 a[0:3], v2, v10, a[0:3]
	s_movk_i32 s4, 0xff
	v_and_b32_sdwa v6, v7, s4 dst_sel:DWORD dst_unused:UNUSED_PAD src0_sel:WORD_1 src1_sel:DWORD
	s_movk_i32 s4, 0x7f
	v_cmp_lt_i16_e32 vcc, s4, v6
	s_mov_b64 s[4:5], 0
                                        ; implicit-def: $sgpr10
	s_and_saveexec_b64 s[6:7], vcc
	s_xor_b64 s[6:7], exec, s[6:7]
	s_cbranch_execnz .LBB48_2993
; %bb.945:
	s_or_saveexec_b64 s[6:7], s[6:7]
	v_mov_b32_e32 v2, s10
	s_xor_b64 exec, exec, s[6:7]
	s_cbranch_execnz .LBB48_2996
.LBB48_946:
	s_or_b64 exec, exec, s[6:7]
	s_and_saveexec_b64 s[6:7], s[4:5]
	s_cbranch_execz .LBB48_948
.LBB48_947:
	v_bfe_u32 v2, v7, 16, 3
	v_ffbh_u32_e32 v11, v2
	v_min_u32_e32 v11, 32, v11
	v_lshrrev_b32_e32 v6, 19, v7
	v_subrev_u32_e32 v12, 28, v11
	v_and_b32_e32 v6, 15, v6
	v_lshlrev_b32_sdwa v12, v12, v7 dst_sel:DWORD dst_unused:UNUSED_PAD src0_sel:DWORD src1_sel:WORD_1
	v_bfe_u32 v10, v7, 19, 4
	v_sub_u32_e32 v11, 29, v11
	v_and_b32_e32 v12, 7, v12
	v_cmp_eq_u16_e32 vcc, 0, v6
	v_cndmask_b32_e32 v2, v2, v12, vcc
	v_cndmask_b32_e32 v6, v10, v11, vcc
	v_lshlrev_b32_e32 v10, 8, v7
	v_mov_b32_e32 v11, 0x3b800000
	v_lshlrev_b32_e32 v2, 20, v2
	v_and_b32_e32 v10, 0x80000000, v10
	v_lshl_add_u32 v6, v6, 23, v11
	v_or3_b32 v2, v10, v6, v2
.LBB48_948:
	s_or_b64 exec, exec, s[6:7]
	s_movk_i32 s4, 0xff
	v_and_b32_sdwa v6, v3, s4 dst_sel:DWORD dst_unused:UNUSED_PAD src0_sel:WORD_1 src1_sel:DWORD
	s_movk_i32 s4, 0x7f
	v_cmp_lt_i16_e32 vcc, s4, v6
	s_mov_b64 s[4:5], 0
                                        ; implicit-def: $sgpr10
	s_and_saveexec_b64 s[6:7], vcc
	s_xor_b64 s[6:7], exec, s[6:7]
	s_cbranch_execnz .LBB48_2997
; %bb.949:
	s_or_saveexec_b64 s[6:7], s[6:7]
	v_mov_b32_e32 v10, s10
	s_xor_b64 exec, exec, s[6:7]
	s_cbranch_execnz .LBB48_3000
.LBB48_950:
	s_or_b64 exec, exec, s[6:7]
	s_and_saveexec_b64 s[6:7], s[4:5]
	s_cbranch_execz .LBB48_952
.LBB48_951:
	v_bfe_u32 v6, v3, 16, 3
	v_ffbh_u32_e32 v12, v6
	v_min_u32_e32 v12, 32, v12
	v_lshrrev_b32_e32 v10, 19, v3
	v_subrev_u32_e32 v13, 28, v12
	v_and_b32_e32 v10, 15, v10
	v_lshlrev_b32_sdwa v13, v13, v3 dst_sel:DWORD dst_unused:UNUSED_PAD src0_sel:DWORD src1_sel:WORD_1
	v_bfe_u32 v11, v3, 19, 4
	v_sub_u32_e32 v12, 29, v12
	v_and_b32_e32 v13, 7, v13
	v_cmp_eq_u16_e32 vcc, 0, v10
	v_cndmask_b32_e32 v6, v6, v13, vcc
	v_cndmask_b32_e32 v10, v11, v12, vcc
	v_lshlrev_b32_e32 v11, 8, v3
	v_mov_b32_e32 v12, 0x3b800000
	v_lshlrev_b32_e32 v6, 20, v6
	v_and_b32_e32 v11, 0x80000000, v11
	v_lshl_add_u32 v10, v10, 23, v12
	v_or3_b32 v10, v11, v10, v6
.LBB48_952:
	s_or_b64 exec, exec, s[6:7]
	s_nop 0
	v_mfma_f32_16x16x4f32 a[0:3], v2, v10, a[0:3]
	s_movk_i32 s4, 0x7f
	v_cmp_gt_i16_sdwa s[6:7], v7, s4 src0_sel:BYTE_3 src1_sel:DWORD
	s_mov_b64 s[4:5], 0
                                        ; implicit-def: $sgpr10
	s_and_saveexec_b64 s[8:9], s[6:7]
	s_xor_b64 s[6:7], exec, s[8:9]
	s_cbranch_execnz .LBB48_3001
; %bb.953:
	s_or_saveexec_b64 s[6:7], s[6:7]
	v_mov_b32_e32 v2, s10
	s_xor_b64 exec, exec, s[6:7]
	s_cbranch_execnz .LBB48_3004
.LBB48_954:
	s_or_b64 exec, exec, s[6:7]
	s_and_saveexec_b64 s[6:7], s[4:5]
	s_cbranch_execz .LBB48_956
.LBB48_955:
	v_bfe_u32 v2, v7, 24, 3
	v_ffbh_u32_e32 v12, v2
	v_min_u32_e32 v12, 32, v12
	v_lshrrev_b32_e32 v10, 27, v7
	v_subrev_u32_e32 v13, 28, v12
	v_and_b32_e32 v6, 0x80000000, v7
	v_and_b32_e32 v10, 15, v10
	v_bfe_u32 v11, v7, 27, 4
	v_lshlrev_b32_sdwa v7, v13, v7 dst_sel:DWORD dst_unused:UNUSED_PAD src0_sel:DWORD src1_sel:BYTE_3
	v_sub_u32_e32 v12, 29, v12
	v_and_b32_e32 v7, 7, v7
	v_cmp_eq_u16_e32 vcc, 0, v10
	v_cndmask_b32_e32 v2, v2, v7, vcc
	v_cndmask_b32_e32 v7, v11, v12, vcc
	v_mov_b32_e32 v10, 0x3b800000
	v_lshlrev_b32_e32 v2, 20, v2
	v_lshl_add_u32 v7, v7, 23, v10
	v_or3_b32 v2, v6, v7, v2
.LBB48_956:
	s_or_b64 exec, exec, s[6:7]
	s_movk_i32 s4, 0x7f
	v_cmp_gt_i16_sdwa s[6:7], v3, s4 src0_sel:BYTE_3 src1_sel:DWORD
	s_mov_b64 s[4:5], 0
                                        ; implicit-def: $sgpr10
	s_and_saveexec_b64 s[8:9], s[6:7]
	s_xor_b64 s[6:7], exec, s[8:9]
	s_cbranch_execnz .LBB48_3005
; %bb.957:
	s_or_saveexec_b64 s[6:7], s[6:7]
	v_mov_b32_e32 v6, s10
	s_xor_b64 exec, exec, s[6:7]
	s_cbranch_execnz .LBB48_3008
.LBB48_958:
	s_or_b64 exec, exec, s[6:7]
	s_and_saveexec_b64 s[6:7], s[4:5]
	s_cbranch_execz .LBB48_960
.LBB48_959:
	v_bfe_u32 v6, v3, 24, 3
	v_ffbh_u32_e32 v12, v6
	v_min_u32_e32 v12, 32, v12
	v_lshrrev_b32_e32 v10, 27, v3
	v_subrev_u32_e32 v13, 28, v12
	v_and_b32_e32 v7, 0x80000000, v3
	v_and_b32_e32 v10, 15, v10
	v_bfe_u32 v11, v3, 27, 4
	v_lshlrev_b32_sdwa v3, v13, v3 dst_sel:DWORD dst_unused:UNUSED_PAD src0_sel:DWORD src1_sel:BYTE_3
	v_sub_u32_e32 v12, 29, v12
	v_and_b32_e32 v3, 7, v3
	v_cmp_eq_u16_e32 vcc, 0, v10
	v_cndmask_b32_e32 v3, v6, v3, vcc
	v_cndmask_b32_e32 v6, v11, v12, vcc
	v_mov_b32_e32 v10, 0x3b800000
	v_lshlrev_b32_e32 v3, 20, v3
	v_lshl_add_u32 v6, v6, 23, v10
	v_or3_b32 v6, v7, v6, v3
.LBB48_960:
	s_or_b64 exec, exec, s[6:7]
	s_nop 0
	v_mfma_f32_16x16x4f32 a[0:3], v2, v6, a[0:3]
	s_movk_i32 s4, 0x7f
	v_cmp_gt_i16_sdwa s[6:7], v8, s4 src0_sel:BYTE_0 src1_sel:DWORD
	s_mov_b64 s[4:5], 0
                                        ; implicit-def: $sgpr10
	s_and_saveexec_b64 s[8:9], s[6:7]
	s_xor_b64 s[6:7], exec, s[8:9]
	s_cbranch_execnz .LBB48_3009
; %bb.961:
	s_or_saveexec_b64 s[6:7], s[6:7]
	v_mov_b32_e32 v2, s10
	s_xor_b64 exec, exec, s[6:7]
	s_cbranch_execnz .LBB48_3012
.LBB48_962:
	s_or_b64 exec, exec, s[6:7]
	s_and_saveexec_b64 s[6:7], s[4:5]
	s_cbranch_execz .LBB48_964
.LBB48_963:
	v_and_b32_e32 v2, 7, v8
	v_ffbh_u32_e32 v6, v2
	v_min_u32_e32 v6, 32, v6
	v_lshrrev_b16_e32 v3, 3, v8
	v_subrev_u32_e32 v7, 28, v6
	v_and_b32_e32 v3, 15, v3
	v_lshlrev_b32_e32 v7, v7, v8
	v_sub_u32_e32 v6, 29, v6
	v_and_b32_e32 v7, 7, v7
	v_cmp_eq_u16_e32 vcc, 0, v3
	v_cndmask_b32_e32 v2, v2, v7, vcc
	v_cndmask_b32_e32 v3, v3, v6, vcc
	v_lshlrev_b32_e32 v6, 24, v8
	v_mov_b32_e32 v7, 0x3b800000
	v_lshlrev_b32_e32 v2, 20, v2
	v_and_b32_e32 v6, 0x80000000, v6
	v_lshl_add_u32 v3, v3, 23, v7
	v_or3_b32 v2, v6, v3, v2
.LBB48_964:
	s_or_b64 exec, exec, s[6:7]
	s_movk_i32 s4, 0x7f
	v_cmp_gt_i16_sdwa s[6:7], v4, s4 src0_sel:BYTE_0 src1_sel:DWORD
	s_mov_b64 s[4:5], 0
                                        ; implicit-def: $sgpr10
	s_and_saveexec_b64 s[8:9], s[6:7]
	s_xor_b64 s[6:7], exec, s[8:9]
	s_cbranch_execnz .LBB48_3013
; %bb.965:
	s_or_saveexec_b64 s[6:7], s[6:7]
	v_mov_b32_e32 v3, s10
	s_xor_b64 exec, exec, s[6:7]
	s_cbranch_execnz .LBB48_3016
.LBB48_966:
	s_or_b64 exec, exec, s[6:7]
	s_and_saveexec_b64 s[6:7], s[4:5]
	s_cbranch_execz .LBB48_968
.LBB48_967:
	v_and_b32_e32 v3, 7, v4
	v_ffbh_u32_e32 v7, v3
	v_min_u32_e32 v7, 32, v7
	v_lshrrev_b16_e32 v6, 3, v4
	v_subrev_u32_e32 v10, 28, v7
	v_and_b32_e32 v6, 15, v6
	v_lshlrev_b32_e32 v10, v10, v4
	v_sub_u32_e32 v7, 29, v7
	v_and_b32_e32 v10, 7, v10
	v_cmp_eq_u16_e32 vcc, 0, v6
	v_cndmask_b32_e32 v3, v3, v10, vcc
	v_cndmask_b32_e32 v6, v6, v7, vcc
	v_lshlrev_b32_e32 v7, 24, v4
	v_mov_b32_e32 v10, 0x3b800000
	v_lshlrev_b32_e32 v3, 20, v3
	v_and_b32_e32 v7, 0x80000000, v7
	v_lshl_add_u32 v6, v6, 23, v10
	v_or3_b32 v3, v7, v6, v3
.LBB48_968:
	s_or_b64 exec, exec, s[6:7]
	s_nop 0
	v_mfma_f32_16x16x4f32 a[0:3], v2, v3, a[0:3]
	v_lshrrev_b32_e32 v3, 8, v8
	s_movk_i32 s4, 0x7f
	v_cmp_gt_i16_sdwa s[6:7], v3, s4 src0_sel:BYTE_0 src1_sel:DWORD
	s_mov_b64 s[4:5], 0
                                        ; implicit-def: $sgpr10
	s_and_saveexec_b64 s[8:9], s[6:7]
	s_xor_b64 s[6:7], exec, s[8:9]
	s_cbranch_execnz .LBB48_3017
; %bb.969:
	s_or_saveexec_b64 s[6:7], s[6:7]
	v_mov_b32_e32 v2, s10
	s_xor_b64 exec, exec, s[6:7]
	s_cbranch_execnz .LBB48_3020
.LBB48_970:
	s_or_b64 exec, exec, s[6:7]
	s_and_saveexec_b64 s[6:7], s[4:5]
	s_cbranch_execz .LBB48_972
.LBB48_971:
	v_bfe_u32 v2, v8, 8, 3
	v_ffbh_u32_e32 v7, v2
	v_min_u32_e32 v7, 32, v7
	v_lshrrev_b16_e32 v6, 3, v3
	v_subrev_u32_e32 v10, 28, v7
	v_and_b32_e32 v6, 15, v6
	v_lshlrev_b32_e32 v3, v10, v3
	v_sub_u32_e32 v7, 29, v7
	v_and_b32_e32 v3, 7, v3
	v_cmp_eq_u16_e32 vcc, 0, v6
	v_cndmask_b32_e32 v2, v2, v3, vcc
	v_cndmask_b32_e32 v3, v6, v7, vcc
	v_lshlrev_b32_e32 v6, 16, v8
	v_mov_b32_e32 v7, 0x3b800000
	v_lshlrev_b32_e32 v2, 20, v2
	v_and_b32_e32 v6, 0x80000000, v6
	v_lshl_add_u32 v3, v3, 23, v7
	v_or3_b32 v2, v6, v3, v2
.LBB48_972:
	s_or_b64 exec, exec, s[6:7]
	v_lshrrev_b32_e32 v3, 8, v4
	s_movk_i32 s4, 0x7f
	v_cmp_gt_i16_sdwa s[6:7], v3, s4 src0_sel:BYTE_0 src1_sel:DWORD
	s_mov_b64 s[4:5], 0
                                        ; implicit-def: $sgpr10
	s_and_saveexec_b64 s[8:9], s[6:7]
	s_xor_b64 s[6:7], exec, s[8:9]
	s_cbranch_execnz .LBB48_3021
; %bb.973:
	s_or_saveexec_b64 s[6:7], s[6:7]
	v_mov_b32_e32 v6, s10
	s_xor_b64 exec, exec, s[6:7]
	s_cbranch_execnz .LBB48_3024
.LBB48_974:
	s_or_b64 exec, exec, s[6:7]
	s_and_saveexec_b64 s[6:7], s[4:5]
	s_cbranch_execz .LBB48_976
.LBB48_975:
	v_bfe_u32 v6, v4, 8, 3
	v_ffbh_u32_e32 v10, v6
	v_min_u32_e32 v10, 32, v10
	v_lshrrev_b16_e32 v7, 3, v3
	v_subrev_u32_e32 v11, 28, v10
	v_and_b32_e32 v7, 15, v7
	v_lshlrev_b32_e32 v3, v11, v3
	v_sub_u32_e32 v10, 29, v10
	v_and_b32_e32 v3, 7, v3
	v_cmp_eq_u16_e32 vcc, 0, v7
	v_cndmask_b32_e32 v3, v6, v3, vcc
	v_cndmask_b32_e32 v6, v7, v10, vcc
	v_lshlrev_b32_e32 v7, 16, v4
	v_mov_b32_e32 v10, 0x3b800000
	v_lshlrev_b32_e32 v3, 20, v3
	v_and_b32_e32 v7, 0x80000000, v7
	v_lshl_add_u32 v6, v6, 23, v10
	v_or3_b32 v6, v7, v6, v3
.LBB48_976:
	s_or_b64 exec, exec, s[6:7]
	s_nop 0
	v_mfma_f32_16x16x4f32 a[0:3], v2, v6, a[0:3]
	s_movk_i32 s4, 0xff
	v_and_b32_sdwa v3, v8, s4 dst_sel:DWORD dst_unused:UNUSED_PAD src0_sel:WORD_1 src1_sel:DWORD
	s_movk_i32 s4, 0x7f
	v_cmp_lt_i16_e32 vcc, s4, v3
	s_mov_b64 s[4:5], 0
                                        ; implicit-def: $sgpr10
	s_and_saveexec_b64 s[6:7], vcc
	s_xor_b64 s[6:7], exec, s[6:7]
	s_cbranch_execnz .LBB48_3025
; %bb.977:
	s_or_saveexec_b64 s[6:7], s[6:7]
	v_mov_b32_e32 v2, s10
	s_xor_b64 exec, exec, s[6:7]
	s_cbranch_execnz .LBB48_3028
.LBB48_978:
	s_or_b64 exec, exec, s[6:7]
	s_and_saveexec_b64 s[6:7], s[4:5]
	s_cbranch_execz .LBB48_980
.LBB48_979:
	v_bfe_u32 v2, v8, 16, 3
	v_ffbh_u32_e32 v7, v2
	v_min_u32_e32 v7, 32, v7
	v_lshrrev_b32_e32 v3, 19, v8
	v_subrev_u32_e32 v10, 28, v7
	v_and_b32_e32 v3, 15, v3
	v_lshlrev_b32_sdwa v10, v10, v8 dst_sel:DWORD dst_unused:UNUSED_PAD src0_sel:DWORD src1_sel:WORD_1
	v_bfe_u32 v6, v8, 19, 4
	v_sub_u32_e32 v7, 29, v7
	v_and_b32_e32 v10, 7, v10
	v_cmp_eq_u16_e32 vcc, 0, v3
	v_cndmask_b32_e32 v2, v2, v10, vcc
	v_cndmask_b32_e32 v3, v6, v7, vcc
	v_lshlrev_b32_e32 v6, 8, v8
	v_mov_b32_e32 v7, 0x3b800000
	v_lshlrev_b32_e32 v2, 20, v2
	v_and_b32_e32 v6, 0x80000000, v6
	v_lshl_add_u32 v3, v3, 23, v7
	v_or3_b32 v2, v6, v3, v2
.LBB48_980:
	s_or_b64 exec, exec, s[6:7]
	s_movk_i32 s4, 0xff
	v_and_b32_sdwa v3, v4, s4 dst_sel:DWORD dst_unused:UNUSED_PAD src0_sel:WORD_1 src1_sel:DWORD
	s_movk_i32 s4, 0x7f
	v_cmp_lt_i16_e32 vcc, s4, v3
	s_mov_b64 s[4:5], 0
                                        ; implicit-def: $sgpr10
	s_and_saveexec_b64 s[6:7], vcc
	s_xor_b64 s[6:7], exec, s[6:7]
	s_cbranch_execnz .LBB48_3029
; %bb.981:
	s_or_saveexec_b64 s[6:7], s[6:7]
	v_mov_b32_e32 v6, s10
	s_xor_b64 exec, exec, s[6:7]
	s_cbranch_execnz .LBB48_3032
.LBB48_982:
	s_or_b64 exec, exec, s[6:7]
	s_and_saveexec_b64 s[6:7], s[4:5]
	s_cbranch_execz .LBB48_984
.LBB48_983:
	v_bfe_u32 v3, v4, 16, 3
	v_ffbh_u32_e32 v10, v3
	v_min_u32_e32 v10, 32, v10
	v_lshrrev_b32_e32 v6, 19, v4
	v_subrev_u32_e32 v11, 28, v10
	v_and_b32_e32 v6, 15, v6
	v_lshlrev_b32_sdwa v11, v11, v4 dst_sel:DWORD dst_unused:UNUSED_PAD src0_sel:DWORD src1_sel:WORD_1
	v_bfe_u32 v7, v4, 19, 4
	v_sub_u32_e32 v10, 29, v10
	v_and_b32_e32 v11, 7, v11
	v_cmp_eq_u16_e32 vcc, 0, v6
	v_cndmask_b32_e32 v3, v3, v11, vcc
	v_cndmask_b32_e32 v6, v7, v10, vcc
	v_lshlrev_b32_e32 v7, 8, v4
	v_mov_b32_e32 v10, 0x3b800000
	v_lshlrev_b32_e32 v3, 20, v3
	v_and_b32_e32 v7, 0x80000000, v7
	v_lshl_add_u32 v6, v6, 23, v10
	v_or3_b32 v6, v7, v6, v3
.LBB48_984:
	s_or_b64 exec, exec, s[6:7]
	s_nop 0
	v_mfma_f32_16x16x4f32 a[0:3], v2, v6, a[0:3]
	s_movk_i32 s4, 0x7f
	v_cmp_gt_i16_sdwa s[6:7], v8, s4 src0_sel:BYTE_3 src1_sel:DWORD
	s_mov_b64 s[4:5], 0
                                        ; implicit-def: $sgpr10
	s_and_saveexec_b64 s[8:9], s[6:7]
	s_xor_b64 s[6:7], exec, s[8:9]
	s_cbranch_execnz .LBB48_3033
; %bb.985:
	s_or_saveexec_b64 s[6:7], s[6:7]
	v_mov_b32_e32 v2, s10
	s_xor_b64 exec, exec, s[6:7]
	s_cbranch_execnz .LBB48_3036
.LBB48_986:
	s_or_b64 exec, exec, s[6:7]
	s_and_saveexec_b64 s[6:7], s[4:5]
	s_cbranch_execz .LBB48_988
.LBB48_987:
	v_bfe_u32 v2, v8, 24, 3
	v_ffbh_u32_e32 v10, v2
	v_min_u32_e32 v10, 32, v10
	v_lshrrev_b32_e32 v6, 27, v8
	v_subrev_u32_e32 v11, 28, v10
	v_and_b32_e32 v3, 0x80000000, v8
	v_and_b32_e32 v6, 15, v6
	v_bfe_u32 v7, v8, 27, 4
	v_lshlrev_b32_sdwa v8, v11, v8 dst_sel:DWORD dst_unused:UNUSED_PAD src0_sel:DWORD src1_sel:BYTE_3
	v_sub_u32_e32 v10, 29, v10
	v_and_b32_e32 v8, 7, v8
	v_cmp_eq_u16_e32 vcc, 0, v6
	v_cndmask_b32_e32 v2, v2, v8, vcc
	v_cndmask_b32_e32 v6, v7, v10, vcc
	v_mov_b32_e32 v7, 0x3b800000
	v_lshlrev_b32_e32 v2, 20, v2
	v_lshl_add_u32 v6, v6, 23, v7
	v_or3_b32 v2, v3, v6, v2
.LBB48_988:
	s_or_b64 exec, exec, s[6:7]
	s_movk_i32 s4, 0x7f
	v_cmp_gt_i16_sdwa s[6:7], v4, s4 src0_sel:BYTE_3 src1_sel:DWORD
	s_mov_b64 s[4:5], 0
                                        ; implicit-def: $sgpr10
	s_and_saveexec_b64 s[8:9], s[6:7]
	s_xor_b64 s[6:7], exec, s[8:9]
	s_cbranch_execnz .LBB48_3037
; %bb.989:
	s_or_saveexec_b64 s[6:7], s[6:7]
	v_mov_b32_e32 v3, s10
	s_xor_b64 exec, exec, s[6:7]
	s_cbranch_execnz .LBB48_3040
.LBB48_990:
	s_or_b64 exec, exec, s[6:7]
	s_and_saveexec_b64 s[6:7], s[4:5]
	s_cbranch_execz .LBB48_992
.LBB48_991:
	v_bfe_u32 v3, v4, 24, 3
	v_ffbh_u32_e32 v10, v3
	v_min_u32_e32 v10, 32, v10
	v_lshrrev_b32_e32 v7, 27, v4
	v_subrev_u32_e32 v11, 28, v10
	v_and_b32_e32 v6, 0x80000000, v4
	v_and_b32_e32 v7, 15, v7
	v_bfe_u32 v8, v4, 27, 4
	v_lshlrev_b32_sdwa v4, v11, v4 dst_sel:DWORD dst_unused:UNUSED_PAD src0_sel:DWORD src1_sel:BYTE_3
	v_sub_u32_e32 v10, 29, v10
	v_and_b32_e32 v4, 7, v4
	v_cmp_eq_u16_e32 vcc, 0, v7
	v_cndmask_b32_e32 v3, v3, v4, vcc
	v_cndmask_b32_e32 v4, v8, v10, vcc
	v_mov_b32_e32 v7, 0x3b800000
	v_lshlrev_b32_e32 v3, 20, v3
	v_lshl_add_u32 v4, v4, 23, v7
	v_or3_b32 v3, v6, v4, v3
.LBB48_992:
	s_or_b64 exec, exec, s[6:7]
	s_nop 0
	v_mfma_f32_16x16x4f32 a[0:3], v2, v3, a[0:3]
	s_movk_i32 s4, 0x7f
	v_cmp_gt_i16_sdwa s[6:7], v9, s4 src0_sel:BYTE_0 src1_sel:DWORD
	s_mov_b64 s[4:5], 0
                                        ; implicit-def: $sgpr10
	s_and_saveexec_b64 s[8:9], s[6:7]
	s_xor_b64 s[6:7], exec, s[8:9]
	s_cbranch_execnz .LBB48_3041
; %bb.993:
	s_or_saveexec_b64 s[6:7], s[6:7]
	v_mov_b32_e32 v2, s10
	s_xor_b64 exec, exec, s[6:7]
	s_cbranch_execnz .LBB48_3044
.LBB48_994:
	s_or_b64 exec, exec, s[6:7]
	s_and_saveexec_b64 s[6:7], s[4:5]
	s_cbranch_execz .LBB48_996
.LBB48_995:
	v_mov_b32_e32 v2, 8
	v_and_b32_e32 v3, 7, v9
	v_lshrrev_b32_sdwa v2, v2, v9 dst_sel:BYTE_1 dst_unused:UNUSED_PAD src0_sel:DWORD src1_sel:DWORD
	v_ffbh_u32_e32 v4, v3
	v_or_b32_sdwa v2, v9, v2 dst_sel:DWORD dst_unused:UNUSED_PAD src0_sel:BYTE_0 src1_sel:DWORD
	v_min_u32_e32 v4, 32, v4
	v_lshrrev_b16_e32 v2, 3, v2
	v_subrev_u32_e32 v6, 28, v4
	v_and_b32_e32 v2, 15, v2
	v_lshlrev_b32_e32 v6, v6, v9
	v_sub_u32_e32 v4, 29, v4
	v_and_b32_e32 v6, 7, v6
	v_cmp_eq_u16_e32 vcc, 0, v2
	v_cndmask_b32_e32 v3, v3, v6, vcc
	v_cndmask_b32_e32 v2, v2, v4, vcc
	v_lshlrev_b32_e32 v4, 24, v9
	v_mov_b32_e32 v6, 0x3b800000
	v_lshlrev_b32_e32 v3, 20, v3
	v_and_b32_e32 v4, 0x80000000, v4
	v_lshl_add_u32 v2, v2, 23, v6
	v_or3_b32 v2, v4, v2, v3
.LBB48_996:
	s_or_b64 exec, exec, s[6:7]
	s_movk_i32 s4, 0x7f
	v_cmp_gt_i16_sdwa s[6:7], v5, s4 src0_sel:BYTE_0 src1_sel:DWORD
	s_mov_b64 s[4:5], 0
                                        ; implicit-def: $sgpr10
	s_and_saveexec_b64 s[8:9], s[6:7]
	s_xor_b64 s[6:7], exec, s[8:9]
	s_cbranch_execnz .LBB48_3045
; %bb.997:
	s_or_saveexec_b64 s[6:7], s[6:7]
	v_mov_b32_e32 v3, s10
	s_xor_b64 exec, exec, s[6:7]
	s_cbranch_execnz .LBB48_3048
.LBB48_998:
	s_or_b64 exec, exec, s[6:7]
	s_and_saveexec_b64 s[6:7], s[4:5]
	s_cbranch_execz .LBB48_1000
.LBB48_999:
	v_mov_b32_e32 v3, 8
	v_and_b32_e32 v4, 7, v5
	v_lshrrev_b32_sdwa v3, v3, v5 dst_sel:BYTE_1 dst_unused:UNUSED_PAD src0_sel:DWORD src1_sel:DWORD
	v_ffbh_u32_e32 v6, v4
	v_or_b32_sdwa v3, v5, v3 dst_sel:DWORD dst_unused:UNUSED_PAD src0_sel:BYTE_0 src1_sel:DWORD
	v_min_u32_e32 v6, 32, v6
	v_lshrrev_b16_e32 v3, 3, v3
	v_subrev_u32_e32 v7, 28, v6
	v_and_b32_e32 v3, 15, v3
	v_lshlrev_b32_e32 v7, v7, v5
	v_sub_u32_e32 v6, 29, v6
	v_and_b32_e32 v7, 7, v7
	v_cmp_eq_u16_e32 vcc, 0, v3
	v_cndmask_b32_e32 v4, v4, v7, vcc
	v_cndmask_b32_e32 v3, v3, v6, vcc
	v_lshlrev_b32_e32 v6, 24, v5
	v_mov_b32_e32 v7, 0x3b800000
	v_lshlrev_b32_e32 v4, 20, v4
	v_and_b32_e32 v6, 0x80000000, v6
	v_lshl_add_u32 v3, v3, 23, v7
	v_or3_b32 v3, v6, v3, v4
.LBB48_1000:
	s_or_b64 exec, exec, s[6:7]
	s_nop 0
	v_mfma_f32_16x16x4f32 a[0:3], v2, v3, a[0:3]
	v_lshrrev_b32_e32 v3, 8, v9
	s_movk_i32 s4, 0x7f
	v_cmp_gt_i16_sdwa s[6:7], v3, s4 src0_sel:BYTE_0 src1_sel:DWORD
	s_mov_b64 s[4:5], 0
                                        ; implicit-def: $sgpr10
	s_and_saveexec_b64 s[8:9], s[6:7]
	s_xor_b64 s[6:7], exec, s[8:9]
	s_cbranch_execnz .LBB48_3049
; %bb.1001:
	s_or_saveexec_b64 s[6:7], s[6:7]
	v_mov_b32_e32 v2, s10
	s_xor_b64 exec, exec, s[6:7]
	s_cbranch_execnz .LBB48_3052
.LBB48_1002:
	s_or_b64 exec, exec, s[6:7]
	s_and_saveexec_b64 s[6:7], s[4:5]
	s_cbranch_execz .LBB48_1004
.LBB48_1003:
	v_bfe_u32 v2, v9, 8, 3
	v_ffbh_u32_e32 v6, v2
	v_min_u32_e32 v6, 32, v6
	v_lshrrev_b16_e32 v4, 3, v3
	v_subrev_u32_e32 v7, 28, v6
	v_and_b32_e32 v4, 15, v4
	v_lshlrev_b32_e32 v3, v7, v3
	v_sub_u32_e32 v6, 29, v6
	v_and_b32_e32 v3, 7, v3
	v_cmp_eq_u16_e32 vcc, 0, v4
	v_cndmask_b32_e32 v2, v2, v3, vcc
	v_cndmask_b32_e32 v3, v4, v6, vcc
	v_lshlrev_b32_e32 v4, 16, v9
	v_mov_b32_e32 v6, 0x3b800000
	v_lshlrev_b32_e32 v2, 20, v2
	v_and_b32_e32 v4, 0x80000000, v4
	v_lshl_add_u32 v3, v3, 23, v6
	v_or3_b32 v2, v4, v3, v2
.LBB48_1004:
	s_or_b64 exec, exec, s[6:7]
	v_lshrrev_b32_e32 v3, 8, v5
	s_movk_i32 s4, 0x7f
	v_cmp_gt_i16_sdwa s[6:7], v3, s4 src0_sel:BYTE_0 src1_sel:DWORD
	s_mov_b64 s[4:5], 0
                                        ; implicit-def: $sgpr10
	s_and_saveexec_b64 s[8:9], s[6:7]
	s_xor_b64 s[6:7], exec, s[8:9]
	s_cbranch_execnz .LBB48_3053
; %bb.1005:
	s_or_saveexec_b64 s[6:7], s[6:7]
	v_mov_b32_e32 v4, s10
	s_xor_b64 exec, exec, s[6:7]
	s_cbranch_execnz .LBB48_3056
.LBB48_1006:
	s_or_b64 exec, exec, s[6:7]
	s_and_saveexec_b64 s[6:7], s[4:5]
	s_cbranch_execz .LBB48_1008
.LBB48_1007:
	v_bfe_u32 v4, v5, 8, 3
	v_ffbh_u32_e32 v7, v4
	v_min_u32_e32 v7, 32, v7
	v_lshrrev_b16_e32 v6, 3, v3
	v_subrev_u32_e32 v8, 28, v7
	v_and_b32_e32 v6, 15, v6
	v_lshlrev_b32_e32 v3, v8, v3
	v_sub_u32_e32 v7, 29, v7
	v_and_b32_e32 v3, 7, v3
	v_cmp_eq_u16_e32 vcc, 0, v6
	v_cndmask_b32_e32 v3, v4, v3, vcc
	v_cndmask_b32_e32 v4, v6, v7, vcc
	v_lshlrev_b32_e32 v6, 16, v5
	v_mov_b32_e32 v7, 0x3b800000
	v_lshlrev_b32_e32 v3, 20, v3
	v_and_b32_e32 v6, 0x80000000, v6
	v_lshl_add_u32 v4, v4, 23, v7
	v_or3_b32 v4, v6, v4, v3
.LBB48_1008:
	s_or_b64 exec, exec, s[6:7]
	s_nop 0
	v_mfma_f32_16x16x4f32 a[0:3], v2, v4, a[0:3]
	s_movk_i32 s4, 0xff
	v_and_b32_sdwa v3, v9, s4 dst_sel:DWORD dst_unused:UNUSED_PAD src0_sel:WORD_1 src1_sel:DWORD
	s_movk_i32 s4, 0x7f
	v_cmp_lt_i16_e32 vcc, s4, v3
	s_mov_b64 s[4:5], 0
                                        ; implicit-def: $sgpr10
	s_and_saveexec_b64 s[6:7], vcc
	s_xor_b64 s[6:7], exec, s[6:7]
	s_cbranch_execnz .LBB48_3057
; %bb.1009:
	s_or_saveexec_b64 s[6:7], s[6:7]
	v_mov_b32_e32 v2, s10
	s_xor_b64 exec, exec, s[6:7]
	s_cbranch_execnz .LBB48_3060
.LBB48_1010:
	s_or_b64 exec, exec, s[6:7]
	s_and_saveexec_b64 s[6:7], s[4:5]
	s_cbranch_execz .LBB48_1012
.LBB48_1011:
	v_bfe_u32 v2, v9, 16, 3
	v_ffbh_u32_e32 v6, v2
	v_min_u32_e32 v6, 32, v6
	v_lshrrev_b32_e32 v3, 19, v9
	v_subrev_u32_e32 v7, 28, v6
	v_and_b32_e32 v3, 15, v3
	v_lshlrev_b32_sdwa v7, v7, v9 dst_sel:DWORD dst_unused:UNUSED_PAD src0_sel:DWORD src1_sel:WORD_1
	v_bfe_u32 v4, v9, 19, 4
	v_sub_u32_e32 v6, 29, v6
	v_and_b32_e32 v7, 7, v7
	v_cmp_eq_u16_e32 vcc, 0, v3
	v_cndmask_b32_e32 v2, v2, v7, vcc
	v_cndmask_b32_e32 v3, v4, v6, vcc
	v_lshlrev_b32_e32 v4, 8, v9
	v_mov_b32_e32 v6, 0x3b800000
	v_lshlrev_b32_e32 v2, 20, v2
	v_and_b32_e32 v4, 0x80000000, v4
	v_lshl_add_u32 v3, v3, 23, v6
	v_or3_b32 v2, v4, v3, v2
.LBB48_1012:
	s_or_b64 exec, exec, s[6:7]
	s_movk_i32 s4, 0xff
	v_and_b32_sdwa v3, v5, s4 dst_sel:DWORD dst_unused:UNUSED_PAD src0_sel:WORD_1 src1_sel:DWORD
	s_movk_i32 s4, 0x7f
	v_cmp_lt_i16_e32 vcc, s4, v3
	s_mov_b64 s[4:5], 0
                                        ; implicit-def: $sgpr10
	s_and_saveexec_b64 s[6:7], vcc
	s_xor_b64 s[6:7], exec, s[6:7]
	s_cbranch_execnz .LBB48_3061
; %bb.1013:
	s_or_saveexec_b64 s[6:7], s[6:7]
	v_mov_b32_e32 v4, s10
	s_xor_b64 exec, exec, s[6:7]
	s_cbranch_execnz .LBB48_3064
.LBB48_1014:
	s_or_b64 exec, exec, s[6:7]
	s_and_saveexec_b64 s[6:7], s[4:5]
	s_cbranch_execz .LBB48_1016
.LBB48_1015:
	v_bfe_u32 v3, v5, 16, 3
	v_ffbh_u32_e32 v7, v3
	v_min_u32_e32 v7, 32, v7
	v_lshrrev_b32_e32 v4, 19, v5
	v_subrev_u32_e32 v8, 28, v7
	v_and_b32_e32 v4, 15, v4
	v_lshlrev_b32_sdwa v8, v8, v5 dst_sel:DWORD dst_unused:UNUSED_PAD src0_sel:DWORD src1_sel:WORD_1
	v_bfe_u32 v6, v5, 19, 4
	v_sub_u32_e32 v7, 29, v7
	v_and_b32_e32 v8, 7, v8
	v_cmp_eq_u16_e32 vcc, 0, v4
	v_cndmask_b32_e32 v3, v3, v8, vcc
	v_cndmask_b32_e32 v4, v6, v7, vcc
	v_lshlrev_b32_e32 v6, 8, v5
	v_mov_b32_e32 v7, 0x3b800000
	v_lshlrev_b32_e32 v3, 20, v3
	v_and_b32_e32 v6, 0x80000000, v6
	v_lshl_add_u32 v4, v4, 23, v7
	v_or3_b32 v4, v6, v4, v3
.LBB48_1016:
	s_or_b64 exec, exec, s[6:7]
	s_nop 0
	v_mfma_f32_16x16x4f32 a[0:3], v2, v4, a[0:3]
	s_movk_i32 s4, 0x7f
	v_cmp_gt_i16_sdwa s[6:7], v9, s4 src0_sel:BYTE_3 src1_sel:DWORD
	s_mov_b64 s[4:5], 0
                                        ; implicit-def: $sgpr10
	s_and_saveexec_b64 s[8:9], s[6:7]
	s_xor_b64 s[6:7], exec, s[8:9]
	s_cbranch_execnz .LBB48_3065
; %bb.1017:
	s_or_saveexec_b64 s[6:7], s[6:7]
	v_mov_b32_e32 v2, s10
	s_xor_b64 exec, exec, s[6:7]
	s_cbranch_execnz .LBB48_3068
.LBB48_1018:
	s_or_b64 exec, exec, s[6:7]
	s_and_saveexec_b64 s[6:7], s[4:5]
	s_cbranch_execz .LBB48_1020
.LBB48_1019:
	v_bfe_u32 v2, v9, 24, 3
	v_ffbh_u32_e32 v7, v2
	v_min_u32_e32 v7, 32, v7
	v_lshrrev_b32_e32 v4, 27, v9
	v_subrev_u32_e32 v8, 28, v7
	v_and_b32_e32 v4, 15, v4
	v_lshlrev_b32_sdwa v8, v8, v9 dst_sel:DWORD dst_unused:UNUSED_PAD src0_sel:DWORD src1_sel:BYTE_3
	v_bfe_u32 v6, v9, 27, 4
	v_sub_u32_e32 v7, 29, v7
	v_and_b32_e32 v8, 7, v8
	v_cmp_eq_u16_e32 vcc, 0, v4
	v_cndmask_b32_e32 v2, v2, v8, vcc
	v_cndmask_b32_e32 v4, v6, v7, vcc
	v_mov_b32_e32 v6, 0x3b800000
	v_and_b32_e32 v3, 0x80000000, v9
	v_lshlrev_b32_e32 v2, 20, v2
	v_lshl_add_u32 v4, v4, 23, v6
	v_or3_b32 v2, v3, v4, v2
.LBB48_1020:
	s_or_b64 exec, exec, s[6:7]
	s_movk_i32 s4, 0x7f
	v_cmp_gt_i16_sdwa s[6:7], v5, s4 src0_sel:BYTE_3 src1_sel:DWORD
	s_mov_b64 s[4:5], 0
                                        ; implicit-def: $sgpr10
	s_and_saveexec_b64 s[8:9], s[6:7]
	s_xor_b64 s[6:7], exec, s[8:9]
	s_cbranch_execnz .LBB48_3069
; %bb.1021:
	s_or_saveexec_b64 s[6:7], s[6:7]
	v_mov_b32_e32 v3, s10
	s_xor_b64 exec, exec, s[6:7]
	s_cbranch_execnz .LBB48_3072
.LBB48_1022:
	s_or_b64 exec, exec, s[6:7]
	s_and_saveexec_b64 s[6:7], s[4:5]
	s_cbranch_execz .LBB48_1024
.LBB48_1023:
	v_bfe_u32 v3, v5, 24, 3
	v_ffbh_u32_e32 v8, v3
	v_min_u32_e32 v8, 32, v8
	v_lshrrev_b32_e32 v6, 27, v5
	v_subrev_u32_e32 v9, 28, v8
	v_and_b32_e32 v4, 0x80000000, v5
	v_and_b32_e32 v6, 15, v6
	v_bfe_u32 v7, v5, 27, 4
	v_lshlrev_b32_sdwa v5, v9, v5 dst_sel:DWORD dst_unused:UNUSED_PAD src0_sel:DWORD src1_sel:BYTE_3
	v_sub_u32_e32 v8, 29, v8
	v_and_b32_e32 v5, 7, v5
	v_cmp_eq_u16_e32 vcc, 0, v6
	v_cndmask_b32_e32 v3, v3, v5, vcc
	v_cndmask_b32_e32 v5, v7, v8, vcc
	v_mov_b32_e32 v6, 0x3b800000
	v_lshlrev_b32_e32 v3, 20, v3
	v_lshl_add_u32 v5, v5, 23, v6
	v_or3_b32 v3, v4, v5, v3
.LBB48_1024:
	s_or_b64 exec, exec, s[6:7]
	s_nop 0
	v_mfma_f32_16x16x4f32 a[0:3], v2, v3, a[0:3]
	s_movk_i32 s4, 0x7f
                                        ; implicit-def: $sgpr10
	s_nop 7
	s_nop 1
	flat_store_dwordx4 v[18:19], a[0:3] offset:560
	flat_load_dwordx4 v[20:23], v[0:1] offset:8
	s_nop 0
	flat_load_dwordx2 v[18:19], v[0:1] offset:24
	s_waitcnt vmcnt(0) lgkmcnt(0)
	flat_load_dwordx4 v[14:17], v[20:21]
	flat_load_dwordx4 v[6:9], v[20:21] offset:16
	flat_load_dwordx4 v[10:13], v[22:23] offset:128
	;; [unrolled: 1-line block ×3, first 2 shown]
	s_waitcnt vmcnt(0) lgkmcnt(0)
	v_cmp_gt_i16_sdwa s[6:7], v14, s4 src0_sel:BYTE_0 src1_sel:DWORD
	s_mov_b64 s[4:5], 0
	s_and_saveexec_b64 s[8:9], s[6:7]
	s_xor_b64 s[6:7], exec, s[8:9]
	s_cbranch_execnz .LBB48_3073
; %bb.1025:
	s_or_saveexec_b64 s[6:7], s[6:7]
	v_mov_b32_e32 v20, s10
	s_xor_b64 exec, exec, s[6:7]
	s_cbranch_execnz .LBB48_3076
.LBB48_1026:
	s_or_b64 exec, exec, s[6:7]
	s_and_saveexec_b64 s[6:7], s[4:5]
	s_cbranch_execz .LBB48_1028
.LBB48_1027:
	v_and_b32_e32 v20, 7, v14
	v_ffbh_u32_e32 v22, v20
	v_min_u32_e32 v22, 32, v22
	v_lshrrev_b16_e32 v21, 3, v14
	v_subrev_u32_e32 v23, 28, v22
	v_and_b32_e32 v21, 15, v21
	v_lshlrev_b32_e32 v23, v23, v14
	v_sub_u32_e32 v22, 29, v22
	v_and_b32_e32 v23, 7, v23
	v_cmp_eq_u16_e32 vcc, 0, v21
	v_cndmask_b32_e32 v20, v20, v23, vcc
	v_cndmask_b32_e32 v21, v21, v22, vcc
	v_lshlrev_b32_e32 v22, 24, v14
	v_mov_b32_e32 v23, 0x3b800000
	v_lshlrev_b32_e32 v20, 20, v20
	v_and_b32_e32 v22, 0x80000000, v22
	v_lshl_add_u32 v21, v21, 23, v23
	v_or3_b32 v20, v22, v21, v20
.LBB48_1028:
	s_or_b64 exec, exec, s[6:7]
	s_movk_i32 s4, 0x7f
	v_cmp_gt_i16_sdwa s[6:7], v10, s4 src0_sel:BYTE_0 src1_sel:DWORD
	s_mov_b64 s[4:5], 0
                                        ; implicit-def: $sgpr10
	s_and_saveexec_b64 s[8:9], s[6:7]
	s_xor_b64 s[6:7], exec, s[8:9]
	s_cbranch_execnz .LBB48_3077
; %bb.1029:
	s_or_saveexec_b64 s[6:7], s[6:7]
	v_mov_b32_e32 v21, s10
	s_xor_b64 exec, exec, s[6:7]
	s_cbranch_execnz .LBB48_3080
.LBB48_1030:
	s_or_b64 exec, exec, s[6:7]
	s_and_saveexec_b64 s[6:7], s[4:5]
	s_cbranch_execz .LBB48_1032
.LBB48_1031:
	v_and_b32_e32 v21, 7, v10
	v_ffbh_u32_e32 v23, v21
	v_min_u32_e32 v23, 32, v23
	v_lshrrev_b16_e32 v22, 3, v10
	v_subrev_u32_e32 v24, 28, v23
	v_and_b32_e32 v22, 15, v22
	v_lshlrev_b32_e32 v24, v24, v10
	v_sub_u32_e32 v23, 29, v23
	v_and_b32_e32 v24, 7, v24
	v_cmp_eq_u16_e32 vcc, 0, v22
	v_cndmask_b32_e32 v21, v21, v24, vcc
	v_cndmask_b32_e32 v22, v22, v23, vcc
	v_lshlrev_b32_e32 v23, 24, v10
	v_mov_b32_e32 v24, 0x3b800000
	v_lshlrev_b32_e32 v21, 20, v21
	v_and_b32_e32 v23, 0x80000000, v23
	v_lshl_add_u32 v22, v22, 23, v24
	v_or3_b32 v21, v23, v22, v21
.LBB48_1032:
	s_or_b64 exec, exec, s[6:7]
	flat_load_dwordx4 a[0:3], v[18:19] offset:576
	s_movk_i32 s4, 0x7f
                                        ; implicit-def: $sgpr10
	s_waitcnt vmcnt(0) lgkmcnt(0)
	v_mfma_f32_16x16x4f32 a[0:3], v20, v21, a[0:3]
	v_lshrrev_b32_e32 v21, 8, v14
	v_cmp_gt_i16_sdwa s[6:7], v21, s4 src0_sel:BYTE_0 src1_sel:DWORD
	s_mov_b64 s[4:5], 0
	s_and_saveexec_b64 s[8:9], s[6:7]
	s_xor_b64 s[6:7], exec, s[8:9]
	s_cbranch_execnz .LBB48_3081
; %bb.1033:
	s_or_saveexec_b64 s[6:7], s[6:7]
	v_mov_b32_e32 v20, s10
	s_xor_b64 exec, exec, s[6:7]
	s_cbranch_execnz .LBB48_3084
.LBB48_1034:
	s_or_b64 exec, exec, s[6:7]
	s_and_saveexec_b64 s[6:7], s[4:5]
	s_cbranch_execz .LBB48_1036
.LBB48_1035:
	v_bfe_u32 v20, v14, 8, 3
	v_ffbh_u32_e32 v23, v20
	v_min_u32_e32 v23, 32, v23
	v_lshrrev_b16_e32 v22, 3, v21
	v_subrev_u32_e32 v24, 28, v23
	v_and_b32_e32 v22, 15, v22
	v_lshlrev_b32_e32 v21, v24, v21
	v_sub_u32_e32 v23, 29, v23
	v_and_b32_e32 v21, 7, v21
	v_cmp_eq_u16_e32 vcc, 0, v22
	v_cndmask_b32_e32 v20, v20, v21, vcc
	v_cndmask_b32_e32 v21, v22, v23, vcc
	v_lshlrev_b32_e32 v22, 16, v14
	v_mov_b32_e32 v23, 0x3b800000
	v_lshlrev_b32_e32 v20, 20, v20
	v_and_b32_e32 v22, 0x80000000, v22
	v_lshl_add_u32 v21, v21, 23, v23
	v_or3_b32 v20, v22, v21, v20
.LBB48_1036:
	s_or_b64 exec, exec, s[6:7]
	v_lshrrev_b32_e32 v21, 8, v10
	s_movk_i32 s4, 0x7f
	v_cmp_gt_i16_sdwa s[6:7], v21, s4 src0_sel:BYTE_0 src1_sel:DWORD
	s_mov_b64 s[4:5], 0
                                        ; implicit-def: $sgpr10
	s_and_saveexec_b64 s[8:9], s[6:7]
	s_xor_b64 s[6:7], exec, s[8:9]
	s_cbranch_execnz .LBB48_3085
; %bb.1037:
	s_or_saveexec_b64 s[6:7], s[6:7]
	v_mov_b32_e32 v22, s10
	s_xor_b64 exec, exec, s[6:7]
	s_cbranch_execnz .LBB48_3088
.LBB48_1038:
	s_or_b64 exec, exec, s[6:7]
	s_and_saveexec_b64 s[6:7], s[4:5]
	s_cbranch_execz .LBB48_1040
.LBB48_1039:
	v_bfe_u32 v22, v10, 8, 3
	v_ffbh_u32_e32 v24, v22
	v_min_u32_e32 v24, 32, v24
	v_lshrrev_b16_e32 v23, 3, v21
	v_subrev_u32_e32 v25, 28, v24
	v_and_b32_e32 v23, 15, v23
	v_lshlrev_b32_e32 v21, v25, v21
	v_sub_u32_e32 v24, 29, v24
	v_and_b32_e32 v21, 7, v21
	v_cmp_eq_u16_e32 vcc, 0, v23
	v_cndmask_b32_e32 v21, v22, v21, vcc
	v_cndmask_b32_e32 v22, v23, v24, vcc
	v_lshlrev_b32_e32 v23, 16, v10
	v_mov_b32_e32 v24, 0x3b800000
	v_lshlrev_b32_e32 v21, 20, v21
	v_and_b32_e32 v23, 0x80000000, v23
	v_lshl_add_u32 v22, v22, 23, v24
	v_or3_b32 v22, v23, v22, v21
.LBB48_1040:
	s_or_b64 exec, exec, s[6:7]
	s_nop 0
	v_mfma_f32_16x16x4f32 a[0:3], v20, v22, a[0:3]
	s_movk_i32 s4, 0xff
	v_and_b32_sdwa v21, v14, s4 dst_sel:DWORD dst_unused:UNUSED_PAD src0_sel:WORD_1 src1_sel:DWORD
	s_movk_i32 s4, 0x7f
	v_cmp_lt_i16_e32 vcc, s4, v21
	s_mov_b64 s[4:5], 0
                                        ; implicit-def: $sgpr10
	s_and_saveexec_b64 s[6:7], vcc
	s_xor_b64 s[6:7], exec, s[6:7]
	s_cbranch_execnz .LBB48_3089
; %bb.1041:
	s_or_saveexec_b64 s[6:7], s[6:7]
	v_mov_b32_e32 v20, s10
	s_xor_b64 exec, exec, s[6:7]
	s_cbranch_execnz .LBB48_3092
.LBB48_1042:
	s_or_b64 exec, exec, s[6:7]
	s_and_saveexec_b64 s[6:7], s[4:5]
	s_cbranch_execz .LBB48_1044
.LBB48_1043:
	v_bfe_u32 v20, v14, 16, 3
	v_ffbh_u32_e32 v23, v20
	v_min_u32_e32 v23, 32, v23
	v_lshrrev_b32_e32 v21, 19, v14
	v_subrev_u32_e32 v24, 28, v23
	v_and_b32_e32 v21, 15, v21
	v_lshlrev_b32_sdwa v24, v24, v14 dst_sel:DWORD dst_unused:UNUSED_PAD src0_sel:DWORD src1_sel:WORD_1
	v_bfe_u32 v22, v14, 19, 4
	v_sub_u32_e32 v23, 29, v23
	v_and_b32_e32 v24, 7, v24
	v_cmp_eq_u16_e32 vcc, 0, v21
	v_cndmask_b32_e32 v20, v20, v24, vcc
	v_cndmask_b32_e32 v21, v22, v23, vcc
	v_lshlrev_b32_e32 v22, 8, v14
	v_mov_b32_e32 v23, 0x3b800000
	v_lshlrev_b32_e32 v20, 20, v20
	v_and_b32_e32 v22, 0x80000000, v22
	v_lshl_add_u32 v21, v21, 23, v23
	v_or3_b32 v20, v22, v21, v20
.LBB48_1044:
	s_or_b64 exec, exec, s[6:7]
	s_movk_i32 s4, 0xff
	v_and_b32_sdwa v21, v10, s4 dst_sel:DWORD dst_unused:UNUSED_PAD src0_sel:WORD_1 src1_sel:DWORD
	s_movk_i32 s4, 0x7f
	v_cmp_lt_i16_e32 vcc, s4, v21
	s_mov_b64 s[4:5], 0
                                        ; implicit-def: $sgpr10
	s_and_saveexec_b64 s[6:7], vcc
	s_xor_b64 s[6:7], exec, s[6:7]
	s_cbranch_execnz .LBB48_3093
; %bb.1045:
	s_or_saveexec_b64 s[6:7], s[6:7]
	v_mov_b32_e32 v22, s10
	s_xor_b64 exec, exec, s[6:7]
	s_cbranch_execnz .LBB48_3096
.LBB48_1046:
	s_or_b64 exec, exec, s[6:7]
	s_and_saveexec_b64 s[6:7], s[4:5]
	s_cbranch_execz .LBB48_1048
.LBB48_1047:
	v_bfe_u32 v21, v10, 16, 3
	v_ffbh_u32_e32 v24, v21
	v_min_u32_e32 v24, 32, v24
	v_lshrrev_b32_e32 v22, 19, v10
	v_subrev_u32_e32 v25, 28, v24
	v_and_b32_e32 v22, 15, v22
	v_lshlrev_b32_sdwa v25, v25, v10 dst_sel:DWORD dst_unused:UNUSED_PAD src0_sel:DWORD src1_sel:WORD_1
	v_bfe_u32 v23, v10, 19, 4
	v_sub_u32_e32 v24, 29, v24
	v_and_b32_e32 v25, 7, v25
	v_cmp_eq_u16_e32 vcc, 0, v22
	v_cndmask_b32_e32 v21, v21, v25, vcc
	v_cndmask_b32_e32 v22, v23, v24, vcc
	v_lshlrev_b32_e32 v23, 8, v10
	v_mov_b32_e32 v24, 0x3b800000
	v_lshlrev_b32_e32 v21, 20, v21
	v_and_b32_e32 v23, 0x80000000, v23
	v_lshl_add_u32 v22, v22, 23, v24
	v_or3_b32 v22, v23, v22, v21
.LBB48_1048:
	s_or_b64 exec, exec, s[6:7]
	s_nop 0
	v_mfma_f32_16x16x4f32 a[0:3], v20, v22, a[0:3]
	s_movk_i32 s4, 0x7f
	v_cmp_gt_i16_sdwa s[6:7], v14, s4 src0_sel:BYTE_3 src1_sel:DWORD
	s_mov_b64 s[4:5], 0
                                        ; implicit-def: $sgpr10
	s_and_saveexec_b64 s[8:9], s[6:7]
	s_xor_b64 s[6:7], exec, s[8:9]
	s_cbranch_execnz .LBB48_3097
; %bb.1049:
	s_or_saveexec_b64 s[6:7], s[6:7]
	v_mov_b32_e32 v20, s10
	s_xor_b64 exec, exec, s[6:7]
	s_cbranch_execnz .LBB48_3100
.LBB48_1050:
	s_or_b64 exec, exec, s[6:7]
	s_and_saveexec_b64 s[6:7], s[4:5]
	s_cbranch_execz .LBB48_1052
.LBB48_1051:
	v_bfe_u32 v20, v14, 24, 3
	v_ffbh_u32_e32 v24, v20
	v_min_u32_e32 v24, 32, v24
	v_lshrrev_b32_e32 v22, 27, v14
	v_subrev_u32_e32 v25, 28, v24
	v_and_b32_e32 v21, 0x80000000, v14
	v_and_b32_e32 v22, 15, v22
	v_bfe_u32 v23, v14, 27, 4
	v_lshlrev_b32_sdwa v14, v25, v14 dst_sel:DWORD dst_unused:UNUSED_PAD src0_sel:DWORD src1_sel:BYTE_3
	v_sub_u32_e32 v24, 29, v24
	v_and_b32_e32 v14, 7, v14
	v_cmp_eq_u16_e32 vcc, 0, v22
	v_cndmask_b32_e32 v14, v20, v14, vcc
	v_cndmask_b32_e32 v20, v23, v24, vcc
	v_mov_b32_e32 v22, 0x3b800000
	v_lshlrev_b32_e32 v14, 20, v14
	v_lshl_add_u32 v20, v20, 23, v22
	v_or3_b32 v20, v21, v20, v14
.LBB48_1052:
	s_or_b64 exec, exec, s[6:7]
	s_movk_i32 s4, 0x7f
	v_cmp_gt_i16_sdwa s[6:7], v10, s4 src0_sel:BYTE_3 src1_sel:DWORD
	s_mov_b64 s[4:5], 0
                                        ; implicit-def: $sgpr10
	s_and_saveexec_b64 s[8:9], s[6:7]
	s_xor_b64 s[6:7], exec, s[8:9]
	s_cbranch_execnz .LBB48_3101
; %bb.1053:
	s_or_saveexec_b64 s[6:7], s[6:7]
	v_mov_b32_e32 v14, s10
	s_xor_b64 exec, exec, s[6:7]
	s_cbranch_execnz .LBB48_3104
.LBB48_1054:
	s_or_b64 exec, exec, s[6:7]
	s_and_saveexec_b64 s[6:7], s[4:5]
	s_cbranch_execz .LBB48_1056
.LBB48_1055:
	v_bfe_u32 v14, v10, 24, 3
	v_ffbh_u32_e32 v24, v14
	v_min_u32_e32 v24, 32, v24
	v_lshrrev_b32_e32 v22, 27, v10
	v_subrev_u32_e32 v25, 28, v24
	v_and_b32_e32 v21, 0x80000000, v10
	v_and_b32_e32 v22, 15, v22
	v_bfe_u32 v23, v10, 27, 4
	v_lshlrev_b32_sdwa v10, v25, v10 dst_sel:DWORD dst_unused:UNUSED_PAD src0_sel:DWORD src1_sel:BYTE_3
	v_sub_u32_e32 v24, 29, v24
	v_and_b32_e32 v10, 7, v10
	v_cmp_eq_u16_e32 vcc, 0, v22
	v_cndmask_b32_e32 v10, v14, v10, vcc
	v_cndmask_b32_e32 v14, v23, v24, vcc
	v_mov_b32_e32 v22, 0x3b800000
	v_lshlrev_b32_e32 v10, 20, v10
	v_lshl_add_u32 v14, v14, 23, v22
	v_or3_b32 v14, v21, v14, v10
.LBB48_1056:
	s_or_b64 exec, exec, s[6:7]
	s_nop 0
	v_mfma_f32_16x16x4f32 a[0:3], v20, v14, a[0:3]
	s_movk_i32 s4, 0x7f
	v_cmp_gt_i16_sdwa s[6:7], v15, s4 src0_sel:BYTE_0 src1_sel:DWORD
	s_mov_b64 s[4:5], 0
                                        ; implicit-def: $sgpr10
	s_and_saveexec_b64 s[8:9], s[6:7]
	s_xor_b64 s[6:7], exec, s[8:9]
	s_cbranch_execnz .LBB48_3105
; %bb.1057:
	s_or_saveexec_b64 s[6:7], s[6:7]
	v_mov_b32_e32 v10, s10
	s_xor_b64 exec, exec, s[6:7]
	s_cbranch_execnz .LBB48_3108
.LBB48_1058:
	s_or_b64 exec, exec, s[6:7]
	s_and_saveexec_b64 s[6:7], s[4:5]
	s_cbranch_execz .LBB48_1060
.LBB48_1059:
	v_and_b32_e32 v10, 7, v15
	v_ffbh_u32_e32 v20, v10
	v_min_u32_e32 v20, 32, v20
	v_lshrrev_b16_e32 v14, 3, v15
	v_subrev_u32_e32 v21, 28, v20
	v_and_b32_e32 v14, 15, v14
	v_lshlrev_b32_e32 v21, v21, v15
	v_sub_u32_e32 v20, 29, v20
	v_and_b32_e32 v21, 7, v21
	v_cmp_eq_u16_e32 vcc, 0, v14
	v_cndmask_b32_e32 v10, v10, v21, vcc
	v_cndmask_b32_e32 v14, v14, v20, vcc
	v_lshlrev_b32_e32 v20, 24, v15
	v_mov_b32_e32 v21, 0x3b800000
	v_lshlrev_b32_e32 v10, 20, v10
	v_and_b32_e32 v20, 0x80000000, v20
	v_lshl_add_u32 v14, v14, 23, v21
	v_or3_b32 v10, v20, v14, v10
.LBB48_1060:
	s_or_b64 exec, exec, s[6:7]
	s_movk_i32 s4, 0x7f
	v_cmp_gt_i16_sdwa s[6:7], v11, s4 src0_sel:BYTE_0 src1_sel:DWORD
	s_mov_b64 s[4:5], 0
                                        ; implicit-def: $sgpr10
	s_and_saveexec_b64 s[8:9], s[6:7]
	s_xor_b64 s[6:7], exec, s[8:9]
	s_cbranch_execnz .LBB48_3109
; %bb.1061:
	s_or_saveexec_b64 s[6:7], s[6:7]
	v_mov_b32_e32 v14, s10
	s_xor_b64 exec, exec, s[6:7]
	s_cbranch_execnz .LBB48_3112
.LBB48_1062:
	s_or_b64 exec, exec, s[6:7]
	s_and_saveexec_b64 s[6:7], s[4:5]
	s_cbranch_execz .LBB48_1064
.LBB48_1063:
	v_and_b32_e32 v14, 7, v11
	v_ffbh_u32_e32 v21, v14
	v_min_u32_e32 v21, 32, v21
	v_lshrrev_b16_e32 v20, 3, v11
	v_subrev_u32_e32 v22, 28, v21
	v_and_b32_e32 v20, 15, v20
	v_lshlrev_b32_e32 v22, v22, v11
	v_sub_u32_e32 v21, 29, v21
	v_and_b32_e32 v22, 7, v22
	v_cmp_eq_u16_e32 vcc, 0, v20
	v_cndmask_b32_e32 v14, v14, v22, vcc
	v_cndmask_b32_e32 v20, v20, v21, vcc
	v_lshlrev_b32_e32 v21, 24, v11
	v_mov_b32_e32 v22, 0x3b800000
	v_lshlrev_b32_e32 v14, 20, v14
	v_and_b32_e32 v21, 0x80000000, v21
	v_lshl_add_u32 v20, v20, 23, v22
	v_or3_b32 v14, v21, v20, v14
.LBB48_1064:
	s_or_b64 exec, exec, s[6:7]
	s_nop 0
	v_mfma_f32_16x16x4f32 a[0:3], v10, v14, a[0:3]
	v_lshrrev_b32_e32 v14, 8, v15
	s_movk_i32 s4, 0x7f
	v_cmp_gt_i16_sdwa s[6:7], v14, s4 src0_sel:BYTE_0 src1_sel:DWORD
	s_mov_b64 s[4:5], 0
                                        ; implicit-def: $sgpr10
	s_and_saveexec_b64 s[8:9], s[6:7]
	s_xor_b64 s[6:7], exec, s[8:9]
	s_cbranch_execnz .LBB48_3113
; %bb.1065:
	s_or_saveexec_b64 s[6:7], s[6:7]
	v_mov_b32_e32 v10, s10
	s_xor_b64 exec, exec, s[6:7]
	s_cbranch_execnz .LBB48_3116
.LBB48_1066:
	s_or_b64 exec, exec, s[6:7]
	s_and_saveexec_b64 s[6:7], s[4:5]
	s_cbranch_execz .LBB48_1068
.LBB48_1067:
	v_bfe_u32 v10, v15, 8, 3
	v_ffbh_u32_e32 v21, v10
	v_min_u32_e32 v21, 32, v21
	v_lshrrev_b16_e32 v20, 3, v14
	v_subrev_u32_e32 v22, 28, v21
	v_and_b32_e32 v20, 15, v20
	v_lshlrev_b32_e32 v14, v22, v14
	v_sub_u32_e32 v21, 29, v21
	v_and_b32_e32 v14, 7, v14
	v_cmp_eq_u16_e32 vcc, 0, v20
	v_cndmask_b32_e32 v10, v10, v14, vcc
	v_cndmask_b32_e32 v14, v20, v21, vcc
	v_lshlrev_b32_e32 v20, 16, v15
	v_mov_b32_e32 v21, 0x3b800000
	v_lshlrev_b32_e32 v10, 20, v10
	v_and_b32_e32 v20, 0x80000000, v20
	v_lshl_add_u32 v14, v14, 23, v21
	v_or3_b32 v10, v20, v14, v10
.LBB48_1068:
	s_or_b64 exec, exec, s[6:7]
	v_lshrrev_b32_e32 v14, 8, v11
	s_movk_i32 s4, 0x7f
	v_cmp_gt_i16_sdwa s[6:7], v14, s4 src0_sel:BYTE_0 src1_sel:DWORD
	s_mov_b64 s[4:5], 0
                                        ; implicit-def: $sgpr10
	s_and_saveexec_b64 s[8:9], s[6:7]
	s_xor_b64 s[6:7], exec, s[8:9]
	s_cbranch_execnz .LBB48_3117
; %bb.1069:
	s_or_saveexec_b64 s[6:7], s[6:7]
	v_mov_b32_e32 v20, s10
	s_xor_b64 exec, exec, s[6:7]
	s_cbranch_execnz .LBB48_3120
.LBB48_1070:
	s_or_b64 exec, exec, s[6:7]
	s_and_saveexec_b64 s[6:7], s[4:5]
	s_cbranch_execz .LBB48_1072
.LBB48_1071:
	v_bfe_u32 v20, v11, 8, 3
	v_ffbh_u32_e32 v22, v20
	v_min_u32_e32 v22, 32, v22
	v_lshrrev_b16_e32 v21, 3, v14
	v_subrev_u32_e32 v23, 28, v22
	v_and_b32_e32 v21, 15, v21
	v_lshlrev_b32_e32 v14, v23, v14
	v_sub_u32_e32 v22, 29, v22
	v_and_b32_e32 v14, 7, v14
	v_cmp_eq_u16_e32 vcc, 0, v21
	v_cndmask_b32_e32 v14, v20, v14, vcc
	v_cndmask_b32_e32 v20, v21, v22, vcc
	v_lshlrev_b32_e32 v21, 16, v11
	v_mov_b32_e32 v22, 0x3b800000
	v_lshlrev_b32_e32 v14, 20, v14
	v_and_b32_e32 v21, 0x80000000, v21
	v_lshl_add_u32 v20, v20, 23, v22
	v_or3_b32 v20, v21, v20, v14
.LBB48_1072:
	s_or_b64 exec, exec, s[6:7]
	s_nop 0
	v_mfma_f32_16x16x4f32 a[0:3], v10, v20, a[0:3]
	s_movk_i32 s4, 0xff
	v_and_b32_sdwa v14, v15, s4 dst_sel:DWORD dst_unused:UNUSED_PAD src0_sel:WORD_1 src1_sel:DWORD
	s_movk_i32 s4, 0x7f
	v_cmp_lt_i16_e32 vcc, s4, v14
	s_mov_b64 s[4:5], 0
                                        ; implicit-def: $sgpr10
	s_and_saveexec_b64 s[6:7], vcc
	s_xor_b64 s[6:7], exec, s[6:7]
	s_cbranch_execnz .LBB48_3121
; %bb.1073:
	s_or_saveexec_b64 s[6:7], s[6:7]
	v_mov_b32_e32 v10, s10
	s_xor_b64 exec, exec, s[6:7]
	s_cbranch_execnz .LBB48_3124
.LBB48_1074:
	s_or_b64 exec, exec, s[6:7]
	s_and_saveexec_b64 s[6:7], s[4:5]
	s_cbranch_execz .LBB48_1076
.LBB48_1075:
	v_bfe_u32 v10, v15, 16, 3
	v_ffbh_u32_e32 v21, v10
	v_min_u32_e32 v21, 32, v21
	v_lshrrev_b32_e32 v14, 19, v15
	v_subrev_u32_e32 v22, 28, v21
	v_and_b32_e32 v14, 15, v14
	v_lshlrev_b32_sdwa v22, v22, v15 dst_sel:DWORD dst_unused:UNUSED_PAD src0_sel:DWORD src1_sel:WORD_1
	v_bfe_u32 v20, v15, 19, 4
	v_sub_u32_e32 v21, 29, v21
	v_and_b32_e32 v22, 7, v22
	v_cmp_eq_u16_e32 vcc, 0, v14
	v_cndmask_b32_e32 v10, v10, v22, vcc
	v_cndmask_b32_e32 v14, v20, v21, vcc
	v_lshlrev_b32_e32 v20, 8, v15
	v_mov_b32_e32 v21, 0x3b800000
	v_lshlrev_b32_e32 v10, 20, v10
	v_and_b32_e32 v20, 0x80000000, v20
	v_lshl_add_u32 v14, v14, 23, v21
	v_or3_b32 v10, v20, v14, v10
.LBB48_1076:
	s_or_b64 exec, exec, s[6:7]
	s_movk_i32 s4, 0xff
	v_and_b32_sdwa v14, v11, s4 dst_sel:DWORD dst_unused:UNUSED_PAD src0_sel:WORD_1 src1_sel:DWORD
	s_movk_i32 s4, 0x7f
	v_cmp_lt_i16_e32 vcc, s4, v14
	s_mov_b64 s[4:5], 0
                                        ; implicit-def: $sgpr10
	s_and_saveexec_b64 s[6:7], vcc
	s_xor_b64 s[6:7], exec, s[6:7]
	s_cbranch_execnz .LBB48_3125
; %bb.1077:
	s_or_saveexec_b64 s[6:7], s[6:7]
	v_mov_b32_e32 v20, s10
	s_xor_b64 exec, exec, s[6:7]
	s_cbranch_execnz .LBB48_3128
.LBB48_1078:
	s_or_b64 exec, exec, s[6:7]
	s_and_saveexec_b64 s[6:7], s[4:5]
	s_cbranch_execz .LBB48_1080
.LBB48_1079:
	v_bfe_u32 v14, v11, 16, 3
	v_ffbh_u32_e32 v22, v14
	v_min_u32_e32 v22, 32, v22
	v_lshrrev_b32_e32 v20, 19, v11
	v_subrev_u32_e32 v23, 28, v22
	v_and_b32_e32 v20, 15, v20
	v_lshlrev_b32_sdwa v23, v23, v11 dst_sel:DWORD dst_unused:UNUSED_PAD src0_sel:DWORD src1_sel:WORD_1
	v_bfe_u32 v21, v11, 19, 4
	v_sub_u32_e32 v22, 29, v22
	v_and_b32_e32 v23, 7, v23
	v_cmp_eq_u16_e32 vcc, 0, v20
	v_cndmask_b32_e32 v14, v14, v23, vcc
	v_cndmask_b32_e32 v20, v21, v22, vcc
	v_lshlrev_b32_e32 v21, 8, v11
	v_mov_b32_e32 v22, 0x3b800000
	v_lshlrev_b32_e32 v14, 20, v14
	v_and_b32_e32 v21, 0x80000000, v21
	v_lshl_add_u32 v20, v20, 23, v22
	v_or3_b32 v20, v21, v20, v14
.LBB48_1080:
	s_or_b64 exec, exec, s[6:7]
	s_nop 0
	v_mfma_f32_16x16x4f32 a[0:3], v10, v20, a[0:3]
	s_movk_i32 s4, 0x7f
	v_cmp_gt_i16_sdwa s[6:7], v15, s4 src0_sel:BYTE_3 src1_sel:DWORD
	s_mov_b64 s[4:5], 0
                                        ; implicit-def: $sgpr10
	s_and_saveexec_b64 s[8:9], s[6:7]
	s_xor_b64 s[6:7], exec, s[8:9]
	s_cbranch_execnz .LBB48_3129
; %bb.1081:
	s_or_saveexec_b64 s[6:7], s[6:7]
	v_mov_b32_e32 v10, s10
	s_xor_b64 exec, exec, s[6:7]
	s_cbranch_execnz .LBB48_3132
.LBB48_1082:
	s_or_b64 exec, exec, s[6:7]
	s_and_saveexec_b64 s[6:7], s[4:5]
	s_cbranch_execz .LBB48_1084
.LBB48_1083:
	v_bfe_u32 v10, v15, 24, 3
	v_ffbh_u32_e32 v22, v10
	v_min_u32_e32 v22, 32, v22
	v_lshrrev_b32_e32 v20, 27, v15
	v_subrev_u32_e32 v23, 28, v22
	v_and_b32_e32 v14, 0x80000000, v15
	v_and_b32_e32 v20, 15, v20
	v_bfe_u32 v21, v15, 27, 4
	v_lshlrev_b32_sdwa v15, v23, v15 dst_sel:DWORD dst_unused:UNUSED_PAD src0_sel:DWORD src1_sel:BYTE_3
	v_sub_u32_e32 v22, 29, v22
	v_and_b32_e32 v15, 7, v15
	v_cmp_eq_u16_e32 vcc, 0, v20
	v_cndmask_b32_e32 v10, v10, v15, vcc
	v_cndmask_b32_e32 v15, v21, v22, vcc
	v_mov_b32_e32 v20, 0x3b800000
	v_lshlrev_b32_e32 v10, 20, v10
	v_lshl_add_u32 v15, v15, 23, v20
	v_or3_b32 v10, v14, v15, v10
.LBB48_1084:
	s_or_b64 exec, exec, s[6:7]
	s_movk_i32 s4, 0x7f
	v_cmp_gt_i16_sdwa s[6:7], v11, s4 src0_sel:BYTE_3 src1_sel:DWORD
	s_mov_b64 s[4:5], 0
                                        ; implicit-def: $sgpr10
	s_and_saveexec_b64 s[8:9], s[6:7]
	s_xor_b64 s[6:7], exec, s[8:9]
	s_cbranch_execnz .LBB48_3133
; %bb.1085:
	s_or_saveexec_b64 s[6:7], s[6:7]
	v_mov_b32_e32 v14, s10
	s_xor_b64 exec, exec, s[6:7]
	s_cbranch_execnz .LBB48_3136
.LBB48_1086:
	s_or_b64 exec, exec, s[6:7]
	s_and_saveexec_b64 s[6:7], s[4:5]
	s_cbranch_execz .LBB48_1088
.LBB48_1087:
	v_bfe_u32 v14, v11, 24, 3
	v_ffbh_u32_e32 v22, v14
	v_min_u32_e32 v22, 32, v22
	v_lshrrev_b32_e32 v20, 27, v11
	v_subrev_u32_e32 v23, 28, v22
	v_and_b32_e32 v15, 0x80000000, v11
	v_and_b32_e32 v20, 15, v20
	v_bfe_u32 v21, v11, 27, 4
	v_lshlrev_b32_sdwa v11, v23, v11 dst_sel:DWORD dst_unused:UNUSED_PAD src0_sel:DWORD src1_sel:BYTE_3
	v_sub_u32_e32 v22, 29, v22
	v_and_b32_e32 v11, 7, v11
	v_cmp_eq_u16_e32 vcc, 0, v20
	v_cndmask_b32_e32 v11, v14, v11, vcc
	v_cndmask_b32_e32 v14, v21, v22, vcc
	v_mov_b32_e32 v20, 0x3b800000
	v_lshlrev_b32_e32 v11, 20, v11
	v_lshl_add_u32 v14, v14, 23, v20
	v_or3_b32 v14, v15, v14, v11
.LBB48_1088:
	s_or_b64 exec, exec, s[6:7]
	s_nop 0
	v_mfma_f32_16x16x4f32 a[0:3], v10, v14, a[0:3]
	s_movk_i32 s4, 0x7f
	v_cmp_gt_i16_sdwa s[6:7], v16, s4 src0_sel:BYTE_0 src1_sel:DWORD
	s_mov_b64 s[4:5], 0
                                        ; implicit-def: $sgpr10
	s_and_saveexec_b64 s[8:9], s[6:7]
	s_xor_b64 s[6:7], exec, s[8:9]
	s_cbranch_execnz .LBB48_3137
; %bb.1089:
	s_or_saveexec_b64 s[6:7], s[6:7]
	v_mov_b32_e32 v10, s10
	s_xor_b64 exec, exec, s[6:7]
	s_cbranch_execnz .LBB48_3140
.LBB48_1090:
	s_or_b64 exec, exec, s[6:7]
	s_and_saveexec_b64 s[6:7], s[4:5]
	s_cbranch_execz .LBB48_1092
.LBB48_1091:
	v_and_b32_e32 v10, 7, v16
	v_ffbh_u32_e32 v14, v10
	v_min_u32_e32 v14, 32, v14
	v_lshrrev_b16_e32 v11, 3, v16
	v_subrev_u32_e32 v15, 28, v14
	v_and_b32_e32 v11, 15, v11
	v_lshlrev_b32_e32 v15, v15, v16
	v_sub_u32_e32 v14, 29, v14
	v_and_b32_e32 v15, 7, v15
	v_cmp_eq_u16_e32 vcc, 0, v11
	v_cndmask_b32_e32 v10, v10, v15, vcc
	v_cndmask_b32_e32 v11, v11, v14, vcc
	v_lshlrev_b32_e32 v14, 24, v16
	v_mov_b32_e32 v15, 0x3b800000
	v_lshlrev_b32_e32 v10, 20, v10
	v_and_b32_e32 v14, 0x80000000, v14
	v_lshl_add_u32 v11, v11, 23, v15
	v_or3_b32 v10, v14, v11, v10
.LBB48_1092:
	s_or_b64 exec, exec, s[6:7]
	s_movk_i32 s4, 0x7f
	v_cmp_gt_i16_sdwa s[6:7], v12, s4 src0_sel:BYTE_0 src1_sel:DWORD
	s_mov_b64 s[4:5], 0
                                        ; implicit-def: $sgpr10
	s_and_saveexec_b64 s[8:9], s[6:7]
	s_xor_b64 s[6:7], exec, s[8:9]
	s_cbranch_execnz .LBB48_3141
; %bb.1093:
	s_or_saveexec_b64 s[6:7], s[6:7]
	v_mov_b32_e32 v11, s10
	s_xor_b64 exec, exec, s[6:7]
	s_cbranch_execnz .LBB48_3144
.LBB48_1094:
	s_or_b64 exec, exec, s[6:7]
	s_and_saveexec_b64 s[6:7], s[4:5]
	s_cbranch_execz .LBB48_1096
.LBB48_1095:
	v_and_b32_e32 v11, 7, v12
	v_ffbh_u32_e32 v15, v11
	v_min_u32_e32 v15, 32, v15
	v_lshrrev_b16_e32 v14, 3, v12
	v_subrev_u32_e32 v20, 28, v15
	v_and_b32_e32 v14, 15, v14
	v_lshlrev_b32_e32 v20, v20, v12
	v_sub_u32_e32 v15, 29, v15
	v_and_b32_e32 v20, 7, v20
	v_cmp_eq_u16_e32 vcc, 0, v14
	v_cndmask_b32_e32 v11, v11, v20, vcc
	v_cndmask_b32_e32 v14, v14, v15, vcc
	v_lshlrev_b32_e32 v15, 24, v12
	v_mov_b32_e32 v20, 0x3b800000
	v_lshlrev_b32_e32 v11, 20, v11
	v_and_b32_e32 v15, 0x80000000, v15
	v_lshl_add_u32 v14, v14, 23, v20
	v_or3_b32 v11, v15, v14, v11
.LBB48_1096:
	s_or_b64 exec, exec, s[6:7]
	s_nop 0
	v_mfma_f32_16x16x4f32 a[0:3], v10, v11, a[0:3]
	v_lshrrev_b32_e32 v11, 8, v16
	s_movk_i32 s4, 0x7f
	v_cmp_gt_i16_sdwa s[6:7], v11, s4 src0_sel:BYTE_0 src1_sel:DWORD
	s_mov_b64 s[4:5], 0
                                        ; implicit-def: $sgpr10
	s_and_saveexec_b64 s[8:9], s[6:7]
	s_xor_b64 s[6:7], exec, s[8:9]
	s_cbranch_execnz .LBB48_3145
; %bb.1097:
	s_or_saveexec_b64 s[6:7], s[6:7]
	v_mov_b32_e32 v10, s10
	s_xor_b64 exec, exec, s[6:7]
	s_cbranch_execnz .LBB48_3148
.LBB48_1098:
	s_or_b64 exec, exec, s[6:7]
	s_and_saveexec_b64 s[6:7], s[4:5]
	s_cbranch_execz .LBB48_1100
.LBB48_1099:
	v_bfe_u32 v10, v16, 8, 3
	v_ffbh_u32_e32 v15, v10
	v_min_u32_e32 v15, 32, v15
	v_lshrrev_b16_e32 v14, 3, v11
	v_subrev_u32_e32 v20, 28, v15
	v_and_b32_e32 v14, 15, v14
	v_lshlrev_b32_e32 v11, v20, v11
	v_sub_u32_e32 v15, 29, v15
	v_and_b32_e32 v11, 7, v11
	v_cmp_eq_u16_e32 vcc, 0, v14
	v_cndmask_b32_e32 v10, v10, v11, vcc
	v_cndmask_b32_e32 v11, v14, v15, vcc
	v_lshlrev_b32_e32 v14, 16, v16
	v_mov_b32_e32 v15, 0x3b800000
	v_lshlrev_b32_e32 v10, 20, v10
	v_and_b32_e32 v14, 0x80000000, v14
	v_lshl_add_u32 v11, v11, 23, v15
	v_or3_b32 v10, v14, v11, v10
.LBB48_1100:
	s_or_b64 exec, exec, s[6:7]
	v_lshrrev_b32_e32 v11, 8, v12
	s_movk_i32 s4, 0x7f
	v_cmp_gt_i16_sdwa s[6:7], v11, s4 src0_sel:BYTE_0 src1_sel:DWORD
	s_mov_b64 s[4:5], 0
                                        ; implicit-def: $sgpr10
	s_and_saveexec_b64 s[8:9], s[6:7]
	s_xor_b64 s[6:7], exec, s[8:9]
	s_cbranch_execnz .LBB48_3149
; %bb.1101:
	s_or_saveexec_b64 s[6:7], s[6:7]
	v_mov_b32_e32 v14, s10
	s_xor_b64 exec, exec, s[6:7]
	s_cbranch_execnz .LBB48_3152
.LBB48_1102:
	s_or_b64 exec, exec, s[6:7]
	s_and_saveexec_b64 s[6:7], s[4:5]
	s_cbranch_execz .LBB48_1104
.LBB48_1103:
	v_bfe_u32 v14, v12, 8, 3
	v_ffbh_u32_e32 v20, v14
	v_min_u32_e32 v20, 32, v20
	v_lshrrev_b16_e32 v15, 3, v11
	v_subrev_u32_e32 v21, 28, v20
	v_and_b32_e32 v15, 15, v15
	v_lshlrev_b32_e32 v11, v21, v11
	v_sub_u32_e32 v20, 29, v20
	v_and_b32_e32 v11, 7, v11
	v_cmp_eq_u16_e32 vcc, 0, v15
	v_cndmask_b32_e32 v11, v14, v11, vcc
	v_cndmask_b32_e32 v14, v15, v20, vcc
	v_lshlrev_b32_e32 v15, 16, v12
	v_mov_b32_e32 v20, 0x3b800000
	v_lshlrev_b32_e32 v11, 20, v11
	v_and_b32_e32 v15, 0x80000000, v15
	v_lshl_add_u32 v14, v14, 23, v20
	v_or3_b32 v14, v15, v14, v11
.LBB48_1104:
	s_or_b64 exec, exec, s[6:7]
	s_nop 0
	v_mfma_f32_16x16x4f32 a[0:3], v10, v14, a[0:3]
	s_movk_i32 s4, 0xff
	v_and_b32_sdwa v11, v16, s4 dst_sel:DWORD dst_unused:UNUSED_PAD src0_sel:WORD_1 src1_sel:DWORD
	s_movk_i32 s4, 0x7f
	v_cmp_lt_i16_e32 vcc, s4, v11
	s_mov_b64 s[4:5], 0
                                        ; implicit-def: $sgpr10
	s_and_saveexec_b64 s[6:7], vcc
	s_xor_b64 s[6:7], exec, s[6:7]
	s_cbranch_execnz .LBB48_3153
; %bb.1105:
	s_or_saveexec_b64 s[6:7], s[6:7]
	v_mov_b32_e32 v10, s10
	s_xor_b64 exec, exec, s[6:7]
	s_cbranch_execnz .LBB48_3156
.LBB48_1106:
	s_or_b64 exec, exec, s[6:7]
	s_and_saveexec_b64 s[6:7], s[4:5]
	s_cbranch_execz .LBB48_1108
.LBB48_1107:
	v_bfe_u32 v10, v16, 16, 3
	v_ffbh_u32_e32 v15, v10
	v_min_u32_e32 v15, 32, v15
	v_lshrrev_b32_e32 v11, 19, v16
	v_subrev_u32_e32 v20, 28, v15
	v_and_b32_e32 v11, 15, v11
	v_lshlrev_b32_sdwa v20, v20, v16 dst_sel:DWORD dst_unused:UNUSED_PAD src0_sel:DWORD src1_sel:WORD_1
	v_bfe_u32 v14, v16, 19, 4
	v_sub_u32_e32 v15, 29, v15
	v_and_b32_e32 v20, 7, v20
	v_cmp_eq_u16_e32 vcc, 0, v11
	v_cndmask_b32_e32 v10, v10, v20, vcc
	v_cndmask_b32_e32 v11, v14, v15, vcc
	v_lshlrev_b32_e32 v14, 8, v16
	v_mov_b32_e32 v15, 0x3b800000
	v_lshlrev_b32_e32 v10, 20, v10
	v_and_b32_e32 v14, 0x80000000, v14
	v_lshl_add_u32 v11, v11, 23, v15
	v_or3_b32 v10, v14, v11, v10
.LBB48_1108:
	s_or_b64 exec, exec, s[6:7]
	s_movk_i32 s4, 0xff
	v_and_b32_sdwa v11, v12, s4 dst_sel:DWORD dst_unused:UNUSED_PAD src0_sel:WORD_1 src1_sel:DWORD
	s_movk_i32 s4, 0x7f
	v_cmp_lt_i16_e32 vcc, s4, v11
	s_mov_b64 s[4:5], 0
                                        ; implicit-def: $sgpr10
	s_and_saveexec_b64 s[6:7], vcc
	s_xor_b64 s[6:7], exec, s[6:7]
	s_cbranch_execnz .LBB48_3157
; %bb.1109:
	s_or_saveexec_b64 s[6:7], s[6:7]
	v_mov_b32_e32 v14, s10
	s_xor_b64 exec, exec, s[6:7]
	s_cbranch_execnz .LBB48_3160
.LBB48_1110:
	s_or_b64 exec, exec, s[6:7]
	s_and_saveexec_b64 s[6:7], s[4:5]
	s_cbranch_execz .LBB48_1112
.LBB48_1111:
	v_bfe_u32 v11, v12, 16, 3
	v_ffbh_u32_e32 v20, v11
	v_min_u32_e32 v20, 32, v20
	v_lshrrev_b32_e32 v14, 19, v12
	v_subrev_u32_e32 v21, 28, v20
	v_and_b32_e32 v14, 15, v14
	v_lshlrev_b32_sdwa v21, v21, v12 dst_sel:DWORD dst_unused:UNUSED_PAD src0_sel:DWORD src1_sel:WORD_1
	v_bfe_u32 v15, v12, 19, 4
	v_sub_u32_e32 v20, 29, v20
	v_and_b32_e32 v21, 7, v21
	v_cmp_eq_u16_e32 vcc, 0, v14
	v_cndmask_b32_e32 v11, v11, v21, vcc
	v_cndmask_b32_e32 v14, v15, v20, vcc
	v_lshlrev_b32_e32 v15, 8, v12
	v_mov_b32_e32 v20, 0x3b800000
	v_lshlrev_b32_e32 v11, 20, v11
	v_and_b32_e32 v15, 0x80000000, v15
	v_lshl_add_u32 v14, v14, 23, v20
	v_or3_b32 v14, v15, v14, v11
.LBB48_1112:
	s_or_b64 exec, exec, s[6:7]
	s_nop 0
	v_mfma_f32_16x16x4f32 a[0:3], v10, v14, a[0:3]
	s_movk_i32 s4, 0x7f
	v_cmp_gt_i16_sdwa s[6:7], v16, s4 src0_sel:BYTE_3 src1_sel:DWORD
	s_mov_b64 s[4:5], 0
                                        ; implicit-def: $sgpr10
	s_and_saveexec_b64 s[8:9], s[6:7]
	s_xor_b64 s[6:7], exec, s[8:9]
	s_cbranch_execnz .LBB48_3161
; %bb.1113:
	s_or_saveexec_b64 s[6:7], s[6:7]
	v_mov_b32_e32 v10, s10
	s_xor_b64 exec, exec, s[6:7]
	s_cbranch_execnz .LBB48_3164
.LBB48_1114:
	s_or_b64 exec, exec, s[6:7]
	s_and_saveexec_b64 s[6:7], s[4:5]
	s_cbranch_execz .LBB48_1116
.LBB48_1115:
	v_bfe_u32 v10, v16, 24, 3
	v_ffbh_u32_e32 v20, v10
	v_min_u32_e32 v20, 32, v20
	v_lshrrev_b32_e32 v14, 27, v16
	v_subrev_u32_e32 v21, 28, v20
	v_and_b32_e32 v11, 0x80000000, v16
	v_and_b32_e32 v14, 15, v14
	v_bfe_u32 v15, v16, 27, 4
	v_lshlrev_b32_sdwa v16, v21, v16 dst_sel:DWORD dst_unused:UNUSED_PAD src0_sel:DWORD src1_sel:BYTE_3
	v_sub_u32_e32 v20, 29, v20
	v_and_b32_e32 v16, 7, v16
	v_cmp_eq_u16_e32 vcc, 0, v14
	v_cndmask_b32_e32 v10, v10, v16, vcc
	v_cndmask_b32_e32 v14, v15, v20, vcc
	v_mov_b32_e32 v15, 0x3b800000
	v_lshlrev_b32_e32 v10, 20, v10
	v_lshl_add_u32 v14, v14, 23, v15
	v_or3_b32 v10, v11, v14, v10
.LBB48_1116:
	s_or_b64 exec, exec, s[6:7]
	s_movk_i32 s4, 0x7f
	v_cmp_gt_i16_sdwa s[6:7], v12, s4 src0_sel:BYTE_3 src1_sel:DWORD
	s_mov_b64 s[4:5], 0
                                        ; implicit-def: $sgpr10
	s_and_saveexec_b64 s[8:9], s[6:7]
	s_xor_b64 s[6:7], exec, s[8:9]
	s_cbranch_execnz .LBB48_3165
; %bb.1117:
	s_or_saveexec_b64 s[6:7], s[6:7]
	v_mov_b32_e32 v11, s10
	s_xor_b64 exec, exec, s[6:7]
	s_cbranch_execnz .LBB48_3168
.LBB48_1118:
	s_or_b64 exec, exec, s[6:7]
	s_and_saveexec_b64 s[6:7], s[4:5]
	s_cbranch_execz .LBB48_1120
.LBB48_1119:
	v_bfe_u32 v11, v12, 24, 3
	v_ffbh_u32_e32 v20, v11
	v_min_u32_e32 v20, 32, v20
	v_lshrrev_b32_e32 v15, 27, v12
	v_subrev_u32_e32 v21, 28, v20
	v_and_b32_e32 v14, 0x80000000, v12
	v_and_b32_e32 v15, 15, v15
	v_bfe_u32 v16, v12, 27, 4
	v_lshlrev_b32_sdwa v12, v21, v12 dst_sel:DWORD dst_unused:UNUSED_PAD src0_sel:DWORD src1_sel:BYTE_3
	v_sub_u32_e32 v20, 29, v20
	v_and_b32_e32 v12, 7, v12
	v_cmp_eq_u16_e32 vcc, 0, v15
	v_cndmask_b32_e32 v11, v11, v12, vcc
	v_cndmask_b32_e32 v12, v16, v20, vcc
	v_mov_b32_e32 v15, 0x3b800000
	v_lshlrev_b32_e32 v11, 20, v11
	v_lshl_add_u32 v12, v12, 23, v15
	v_or3_b32 v11, v14, v12, v11
.LBB48_1120:
	s_or_b64 exec, exec, s[6:7]
	s_nop 0
	v_mfma_f32_16x16x4f32 a[0:3], v10, v11, a[0:3]
	s_movk_i32 s4, 0x7f
	v_cmp_gt_i16_sdwa s[6:7], v17, s4 src0_sel:BYTE_0 src1_sel:DWORD
	s_mov_b64 s[4:5], 0
                                        ; implicit-def: $sgpr10
	s_and_saveexec_b64 s[8:9], s[6:7]
	s_xor_b64 s[6:7], exec, s[8:9]
	s_cbranch_execnz .LBB48_3169
; %bb.1121:
	s_or_saveexec_b64 s[6:7], s[6:7]
	v_mov_b32_e32 v10, s10
	s_xor_b64 exec, exec, s[6:7]
	s_cbranch_execnz .LBB48_3172
.LBB48_1122:
	s_or_b64 exec, exec, s[6:7]
	s_and_saveexec_b64 s[6:7], s[4:5]
	s_cbranch_execz .LBB48_1124
.LBB48_1123:
	v_and_b32_e32 v10, 7, v17
	v_ffbh_u32_e32 v12, v10
	v_min_u32_e32 v12, 32, v12
	v_lshrrev_b16_e32 v11, 3, v17
	v_subrev_u32_e32 v14, 28, v12
	v_and_b32_e32 v11, 15, v11
	v_lshlrev_b32_e32 v14, v14, v17
	v_sub_u32_e32 v12, 29, v12
	v_and_b32_e32 v14, 7, v14
	v_cmp_eq_u16_e32 vcc, 0, v11
	v_cndmask_b32_e32 v10, v10, v14, vcc
	v_cndmask_b32_e32 v11, v11, v12, vcc
	v_lshlrev_b32_e32 v12, 24, v17
	v_mov_b32_e32 v14, 0x3b800000
	v_lshlrev_b32_e32 v10, 20, v10
	v_and_b32_e32 v12, 0x80000000, v12
	v_lshl_add_u32 v11, v11, 23, v14
	v_or3_b32 v10, v12, v11, v10
.LBB48_1124:
	s_or_b64 exec, exec, s[6:7]
	s_movk_i32 s4, 0x7f
	v_cmp_gt_i16_sdwa s[6:7], v13, s4 src0_sel:BYTE_0 src1_sel:DWORD
	s_mov_b64 s[4:5], 0
                                        ; implicit-def: $sgpr10
	s_and_saveexec_b64 s[8:9], s[6:7]
	s_xor_b64 s[6:7], exec, s[8:9]
	s_cbranch_execnz .LBB48_3173
; %bb.1125:
	s_or_saveexec_b64 s[6:7], s[6:7]
	v_mov_b32_e32 v11, s10
	s_xor_b64 exec, exec, s[6:7]
	s_cbranch_execnz .LBB48_3176
.LBB48_1126:
	s_or_b64 exec, exec, s[6:7]
	s_and_saveexec_b64 s[6:7], s[4:5]
	s_cbranch_execz .LBB48_1128
.LBB48_1127:
	v_and_b32_e32 v11, 7, v13
	v_ffbh_u32_e32 v14, v11
	v_min_u32_e32 v14, 32, v14
	v_lshrrev_b16_e32 v12, 3, v13
	v_subrev_u32_e32 v15, 28, v14
	v_and_b32_e32 v12, 15, v12
	v_lshlrev_b32_e32 v15, v15, v13
	v_sub_u32_e32 v14, 29, v14
	v_and_b32_e32 v15, 7, v15
	v_cmp_eq_u16_e32 vcc, 0, v12
	v_cndmask_b32_e32 v11, v11, v15, vcc
	v_cndmask_b32_e32 v12, v12, v14, vcc
	v_lshlrev_b32_e32 v14, 24, v13
	v_mov_b32_e32 v15, 0x3b800000
	v_lshlrev_b32_e32 v11, 20, v11
	v_and_b32_e32 v14, 0x80000000, v14
	v_lshl_add_u32 v12, v12, 23, v15
	v_or3_b32 v11, v14, v12, v11
.LBB48_1128:
	s_or_b64 exec, exec, s[6:7]
	s_nop 0
	v_mfma_f32_16x16x4f32 a[0:3], v10, v11, a[0:3]
	v_lshrrev_b32_e32 v11, 8, v17
	s_movk_i32 s4, 0x7f
	v_cmp_gt_i16_sdwa s[6:7], v11, s4 src0_sel:BYTE_0 src1_sel:DWORD
	s_mov_b64 s[4:5], 0
                                        ; implicit-def: $sgpr10
	s_and_saveexec_b64 s[8:9], s[6:7]
	s_xor_b64 s[6:7], exec, s[8:9]
	s_cbranch_execnz .LBB48_3177
; %bb.1129:
	s_or_saveexec_b64 s[6:7], s[6:7]
	v_mov_b32_e32 v10, s10
	s_xor_b64 exec, exec, s[6:7]
	s_cbranch_execnz .LBB48_3180
.LBB48_1130:
	s_or_b64 exec, exec, s[6:7]
	s_and_saveexec_b64 s[6:7], s[4:5]
	s_cbranch_execz .LBB48_1132
.LBB48_1131:
	v_bfe_u32 v10, v17, 8, 3
	v_ffbh_u32_e32 v14, v10
	v_min_u32_e32 v14, 32, v14
	v_lshrrev_b16_e32 v12, 3, v11
	v_subrev_u32_e32 v15, 28, v14
	v_and_b32_e32 v12, 15, v12
	v_lshlrev_b32_e32 v11, v15, v11
	v_sub_u32_e32 v14, 29, v14
	v_and_b32_e32 v11, 7, v11
	v_cmp_eq_u16_e32 vcc, 0, v12
	v_cndmask_b32_e32 v10, v10, v11, vcc
	v_cndmask_b32_e32 v11, v12, v14, vcc
	v_lshlrev_b32_e32 v12, 16, v17
	v_mov_b32_e32 v14, 0x3b800000
	v_lshlrev_b32_e32 v10, 20, v10
	v_and_b32_e32 v12, 0x80000000, v12
	v_lshl_add_u32 v11, v11, 23, v14
	v_or3_b32 v10, v12, v11, v10
.LBB48_1132:
	s_or_b64 exec, exec, s[6:7]
	v_lshrrev_b32_e32 v11, 8, v13
	s_movk_i32 s4, 0x7f
	v_cmp_gt_i16_sdwa s[6:7], v11, s4 src0_sel:BYTE_0 src1_sel:DWORD
	s_mov_b64 s[4:5], 0
                                        ; implicit-def: $sgpr10
	s_and_saveexec_b64 s[8:9], s[6:7]
	s_xor_b64 s[6:7], exec, s[8:9]
	s_cbranch_execnz .LBB48_3181
; %bb.1133:
	s_or_saveexec_b64 s[6:7], s[6:7]
	v_mov_b32_e32 v12, s10
	s_xor_b64 exec, exec, s[6:7]
	s_cbranch_execnz .LBB48_3184
.LBB48_1134:
	s_or_b64 exec, exec, s[6:7]
	s_and_saveexec_b64 s[6:7], s[4:5]
	s_cbranch_execz .LBB48_1136
.LBB48_1135:
	v_bfe_u32 v12, v13, 8, 3
	v_ffbh_u32_e32 v15, v12
	v_min_u32_e32 v15, 32, v15
	v_lshrrev_b16_e32 v14, 3, v11
	v_subrev_u32_e32 v16, 28, v15
	v_and_b32_e32 v14, 15, v14
	v_lshlrev_b32_e32 v11, v16, v11
	v_sub_u32_e32 v15, 29, v15
	v_and_b32_e32 v11, 7, v11
	v_cmp_eq_u16_e32 vcc, 0, v14
	v_cndmask_b32_e32 v11, v12, v11, vcc
	v_cndmask_b32_e32 v12, v14, v15, vcc
	v_lshlrev_b32_e32 v14, 16, v13
	v_mov_b32_e32 v15, 0x3b800000
	v_lshlrev_b32_e32 v11, 20, v11
	v_and_b32_e32 v14, 0x80000000, v14
	v_lshl_add_u32 v12, v12, 23, v15
	v_or3_b32 v12, v14, v12, v11
.LBB48_1136:
	s_or_b64 exec, exec, s[6:7]
	s_nop 0
	v_mfma_f32_16x16x4f32 a[0:3], v10, v12, a[0:3]
	s_movk_i32 s4, 0xff
	v_and_b32_sdwa v11, v17, s4 dst_sel:DWORD dst_unused:UNUSED_PAD src0_sel:WORD_1 src1_sel:DWORD
	s_movk_i32 s4, 0x7f
	v_cmp_lt_i16_e32 vcc, s4, v11
	s_mov_b64 s[4:5], 0
                                        ; implicit-def: $sgpr10
	s_and_saveexec_b64 s[6:7], vcc
	s_xor_b64 s[6:7], exec, s[6:7]
	s_cbranch_execnz .LBB48_3185
; %bb.1137:
	s_or_saveexec_b64 s[6:7], s[6:7]
	v_mov_b32_e32 v10, s10
	s_xor_b64 exec, exec, s[6:7]
	s_cbranch_execnz .LBB48_3188
.LBB48_1138:
	s_or_b64 exec, exec, s[6:7]
	s_and_saveexec_b64 s[6:7], s[4:5]
	s_cbranch_execz .LBB48_1140
.LBB48_1139:
	v_bfe_u32 v10, v17, 16, 3
	v_ffbh_u32_e32 v14, v10
	v_min_u32_e32 v14, 32, v14
	v_lshrrev_b32_e32 v11, 19, v17
	v_subrev_u32_e32 v15, 28, v14
	v_and_b32_e32 v11, 15, v11
	v_lshlrev_b32_sdwa v15, v15, v17 dst_sel:DWORD dst_unused:UNUSED_PAD src0_sel:DWORD src1_sel:WORD_1
	v_bfe_u32 v12, v17, 19, 4
	v_sub_u32_e32 v14, 29, v14
	v_and_b32_e32 v15, 7, v15
	v_cmp_eq_u16_e32 vcc, 0, v11
	v_cndmask_b32_e32 v10, v10, v15, vcc
	v_cndmask_b32_e32 v11, v12, v14, vcc
	v_lshlrev_b32_e32 v12, 8, v17
	v_mov_b32_e32 v14, 0x3b800000
	v_lshlrev_b32_e32 v10, 20, v10
	v_and_b32_e32 v12, 0x80000000, v12
	v_lshl_add_u32 v11, v11, 23, v14
	v_or3_b32 v10, v12, v11, v10
.LBB48_1140:
	s_or_b64 exec, exec, s[6:7]
	s_movk_i32 s4, 0xff
	v_and_b32_sdwa v11, v13, s4 dst_sel:DWORD dst_unused:UNUSED_PAD src0_sel:WORD_1 src1_sel:DWORD
	s_movk_i32 s4, 0x7f
	v_cmp_lt_i16_e32 vcc, s4, v11
	s_mov_b64 s[4:5], 0
                                        ; implicit-def: $sgpr10
	s_and_saveexec_b64 s[6:7], vcc
	s_xor_b64 s[6:7], exec, s[6:7]
	s_cbranch_execnz .LBB48_3189
; %bb.1141:
	s_or_saveexec_b64 s[6:7], s[6:7]
	v_mov_b32_e32 v12, s10
	s_xor_b64 exec, exec, s[6:7]
	s_cbranch_execnz .LBB48_3192
.LBB48_1142:
	s_or_b64 exec, exec, s[6:7]
	s_and_saveexec_b64 s[6:7], s[4:5]
	s_cbranch_execz .LBB48_1144
.LBB48_1143:
	v_bfe_u32 v11, v13, 16, 3
	v_ffbh_u32_e32 v15, v11
	v_min_u32_e32 v15, 32, v15
	v_lshrrev_b32_e32 v12, 19, v13
	v_subrev_u32_e32 v16, 28, v15
	v_and_b32_e32 v12, 15, v12
	v_lshlrev_b32_sdwa v16, v16, v13 dst_sel:DWORD dst_unused:UNUSED_PAD src0_sel:DWORD src1_sel:WORD_1
	v_bfe_u32 v14, v13, 19, 4
	v_sub_u32_e32 v15, 29, v15
	v_and_b32_e32 v16, 7, v16
	v_cmp_eq_u16_e32 vcc, 0, v12
	v_cndmask_b32_e32 v11, v11, v16, vcc
	v_cndmask_b32_e32 v12, v14, v15, vcc
	v_lshlrev_b32_e32 v14, 8, v13
	v_mov_b32_e32 v15, 0x3b800000
	v_lshlrev_b32_e32 v11, 20, v11
	v_and_b32_e32 v14, 0x80000000, v14
	v_lshl_add_u32 v12, v12, 23, v15
	v_or3_b32 v12, v14, v12, v11
.LBB48_1144:
	s_or_b64 exec, exec, s[6:7]
	s_nop 0
	v_mfma_f32_16x16x4f32 a[0:3], v10, v12, a[0:3]
	s_movk_i32 s4, 0x7f
	v_cmp_gt_i16_sdwa s[6:7], v17, s4 src0_sel:BYTE_3 src1_sel:DWORD
	s_mov_b64 s[4:5], 0
                                        ; implicit-def: $sgpr10
	s_and_saveexec_b64 s[8:9], s[6:7]
	s_xor_b64 s[6:7], exec, s[8:9]
	s_cbranch_execnz .LBB48_3193
; %bb.1145:
	s_or_saveexec_b64 s[6:7], s[6:7]
	v_mov_b32_e32 v10, s10
	s_xor_b64 exec, exec, s[6:7]
	s_cbranch_execnz .LBB48_3196
.LBB48_1146:
	s_or_b64 exec, exec, s[6:7]
	s_and_saveexec_b64 s[6:7], s[4:5]
	s_cbranch_execz .LBB48_1148
.LBB48_1147:
	v_bfe_u32 v10, v17, 24, 3
	v_ffbh_u32_e32 v15, v10
	v_min_u32_e32 v15, 32, v15
	v_lshrrev_b32_e32 v12, 27, v17
	v_subrev_u32_e32 v16, 28, v15
	v_and_b32_e32 v12, 15, v12
	v_lshlrev_b32_sdwa v16, v16, v17 dst_sel:DWORD dst_unused:UNUSED_PAD src0_sel:DWORD src1_sel:BYTE_3
	v_bfe_u32 v14, v17, 27, 4
	v_sub_u32_e32 v15, 29, v15
	v_and_b32_e32 v16, 7, v16
	v_cmp_eq_u16_e32 vcc, 0, v12
	v_cndmask_b32_e32 v10, v10, v16, vcc
	v_cndmask_b32_e32 v12, v14, v15, vcc
	v_mov_b32_e32 v14, 0x3b800000
	v_and_b32_e32 v11, 0x80000000, v17
	v_lshlrev_b32_e32 v10, 20, v10
	v_lshl_add_u32 v12, v12, 23, v14
	v_or3_b32 v10, v11, v12, v10
.LBB48_1148:
	s_or_b64 exec, exec, s[6:7]
	s_movk_i32 s4, 0x7f
	v_cmp_gt_i16_sdwa s[6:7], v13, s4 src0_sel:BYTE_3 src1_sel:DWORD
	s_mov_b64 s[4:5], 0
                                        ; implicit-def: $sgpr10
	s_and_saveexec_b64 s[8:9], s[6:7]
	s_xor_b64 s[6:7], exec, s[8:9]
	s_cbranch_execnz .LBB48_3197
; %bb.1149:
	s_or_saveexec_b64 s[6:7], s[6:7]
	v_mov_b32_e32 v11, s10
	s_xor_b64 exec, exec, s[6:7]
	s_cbranch_execnz .LBB48_3200
.LBB48_1150:
	s_or_b64 exec, exec, s[6:7]
	s_and_saveexec_b64 s[6:7], s[4:5]
	s_cbranch_execz .LBB48_1152
.LBB48_1151:
	v_bfe_u32 v11, v13, 24, 3
	v_ffbh_u32_e32 v16, v11
	v_min_u32_e32 v16, 32, v16
	v_lshrrev_b32_e32 v14, 27, v13
	v_subrev_u32_e32 v17, 28, v16
	v_and_b32_e32 v12, 0x80000000, v13
	v_and_b32_e32 v14, 15, v14
	v_bfe_u32 v15, v13, 27, 4
	v_lshlrev_b32_sdwa v13, v17, v13 dst_sel:DWORD dst_unused:UNUSED_PAD src0_sel:DWORD src1_sel:BYTE_3
	v_sub_u32_e32 v16, 29, v16
	v_and_b32_e32 v13, 7, v13
	v_cmp_eq_u16_e32 vcc, 0, v14
	v_cndmask_b32_e32 v11, v11, v13, vcc
	v_cndmask_b32_e32 v13, v15, v16, vcc
	v_mov_b32_e32 v14, 0x3b800000
	v_lshlrev_b32_e32 v11, 20, v11
	v_lshl_add_u32 v13, v13, 23, v14
	v_or3_b32 v11, v12, v13, v11
.LBB48_1152:
	s_or_b64 exec, exec, s[6:7]
	s_nop 0
	v_mfma_f32_16x16x4f32 a[0:3], v10, v11, a[0:3]
	s_movk_i32 s4, 0x7f
	v_cmp_gt_i16_sdwa s[6:7], v6, s4 src0_sel:BYTE_0 src1_sel:DWORD
	s_mov_b64 s[4:5], 0
                                        ; implicit-def: $sgpr10
	s_and_saveexec_b64 s[8:9], s[6:7]
	s_xor_b64 s[6:7], exec, s[8:9]
	s_cbranch_execnz .LBB48_3201
; %bb.1153:
	s_or_saveexec_b64 s[6:7], s[6:7]
	v_mov_b32_e32 v10, s10
	s_xor_b64 exec, exec, s[6:7]
	s_cbranch_execnz .LBB48_3204
.LBB48_1154:
	s_or_b64 exec, exec, s[6:7]
	s_and_saveexec_b64 s[6:7], s[4:5]
	s_cbranch_execz .LBB48_1156
.LBB48_1155:
	v_and_b32_e32 v10, 7, v6
	v_ffbh_u32_e32 v12, v10
	v_min_u32_e32 v12, 32, v12
	v_lshrrev_b16_e32 v11, 3, v6
	v_subrev_u32_e32 v13, 28, v12
	v_and_b32_e32 v11, 15, v11
	v_lshlrev_b32_e32 v13, v13, v6
	v_sub_u32_e32 v12, 29, v12
	v_and_b32_e32 v13, 7, v13
	v_cmp_eq_u16_e32 vcc, 0, v11
	v_cndmask_b32_e32 v10, v10, v13, vcc
	v_cndmask_b32_e32 v11, v11, v12, vcc
	v_lshlrev_b32_e32 v12, 24, v6
	v_mov_b32_e32 v13, 0x3b800000
	v_lshlrev_b32_e32 v10, 20, v10
	v_and_b32_e32 v12, 0x80000000, v12
	v_lshl_add_u32 v11, v11, 23, v13
	v_or3_b32 v10, v12, v11, v10
.LBB48_1156:
	s_or_b64 exec, exec, s[6:7]
	s_movk_i32 s4, 0x7f
	v_cmp_gt_i16_sdwa s[6:7], v2, s4 src0_sel:BYTE_0 src1_sel:DWORD
	s_mov_b64 s[4:5], 0
                                        ; implicit-def: $sgpr10
	s_and_saveexec_b64 s[8:9], s[6:7]
	s_xor_b64 s[6:7], exec, s[8:9]
	s_cbranch_execnz .LBB48_3205
; %bb.1157:
	s_or_saveexec_b64 s[6:7], s[6:7]
	v_mov_b32_e32 v11, s10
	s_xor_b64 exec, exec, s[6:7]
	s_cbranch_execnz .LBB48_3208
.LBB48_1158:
	s_or_b64 exec, exec, s[6:7]
	s_and_saveexec_b64 s[6:7], s[4:5]
	s_cbranch_execz .LBB48_1160
.LBB48_1159:
	v_and_b32_e32 v11, 7, v2
	v_ffbh_u32_e32 v13, v11
	v_min_u32_e32 v13, 32, v13
	v_lshrrev_b16_e32 v12, 3, v2
	v_subrev_u32_e32 v14, 28, v13
	v_and_b32_e32 v12, 15, v12
	v_lshlrev_b32_e32 v14, v14, v2
	v_sub_u32_e32 v13, 29, v13
	v_and_b32_e32 v14, 7, v14
	v_cmp_eq_u16_e32 vcc, 0, v12
	v_cndmask_b32_e32 v11, v11, v14, vcc
	v_cndmask_b32_e32 v12, v12, v13, vcc
	v_lshlrev_b32_e32 v13, 24, v2
	v_mov_b32_e32 v14, 0x3b800000
	v_lshlrev_b32_e32 v11, 20, v11
	v_and_b32_e32 v13, 0x80000000, v13
	v_lshl_add_u32 v12, v12, 23, v14
	v_or3_b32 v11, v13, v12, v11
.LBB48_1160:
	s_or_b64 exec, exec, s[6:7]
	s_nop 0
	v_mfma_f32_16x16x4f32 a[0:3], v10, v11, a[0:3]
	v_lshrrev_b32_e32 v11, 8, v6
	s_movk_i32 s4, 0x7f
	v_cmp_gt_i16_sdwa s[6:7], v11, s4 src0_sel:BYTE_0 src1_sel:DWORD
	s_mov_b64 s[4:5], 0
                                        ; implicit-def: $sgpr10
	s_and_saveexec_b64 s[8:9], s[6:7]
	s_xor_b64 s[6:7], exec, s[8:9]
	s_cbranch_execnz .LBB48_3209
; %bb.1161:
	s_or_saveexec_b64 s[6:7], s[6:7]
	v_mov_b32_e32 v10, s10
	s_xor_b64 exec, exec, s[6:7]
	s_cbranch_execnz .LBB48_3212
.LBB48_1162:
	s_or_b64 exec, exec, s[6:7]
	s_and_saveexec_b64 s[6:7], s[4:5]
	s_cbranch_execz .LBB48_1164
.LBB48_1163:
	v_bfe_u32 v10, v6, 8, 3
	v_ffbh_u32_e32 v13, v10
	v_min_u32_e32 v13, 32, v13
	v_lshrrev_b16_e32 v12, 3, v11
	v_subrev_u32_e32 v14, 28, v13
	v_and_b32_e32 v12, 15, v12
	v_lshlrev_b32_e32 v11, v14, v11
	v_sub_u32_e32 v13, 29, v13
	v_and_b32_e32 v11, 7, v11
	v_cmp_eq_u16_e32 vcc, 0, v12
	v_cndmask_b32_e32 v10, v10, v11, vcc
	v_cndmask_b32_e32 v11, v12, v13, vcc
	v_lshlrev_b32_e32 v12, 16, v6
	v_mov_b32_e32 v13, 0x3b800000
	v_lshlrev_b32_e32 v10, 20, v10
	v_and_b32_e32 v12, 0x80000000, v12
	v_lshl_add_u32 v11, v11, 23, v13
	v_or3_b32 v10, v12, v11, v10
.LBB48_1164:
	s_or_b64 exec, exec, s[6:7]
	v_lshrrev_b32_e32 v11, 8, v2
	s_movk_i32 s4, 0x7f
	v_cmp_gt_i16_sdwa s[6:7], v11, s4 src0_sel:BYTE_0 src1_sel:DWORD
	s_mov_b64 s[4:5], 0
                                        ; implicit-def: $sgpr10
	s_and_saveexec_b64 s[8:9], s[6:7]
	s_xor_b64 s[6:7], exec, s[8:9]
	s_cbranch_execnz .LBB48_3213
; %bb.1165:
	s_or_saveexec_b64 s[6:7], s[6:7]
	v_mov_b32_e32 v12, s10
	s_xor_b64 exec, exec, s[6:7]
	s_cbranch_execnz .LBB48_3216
.LBB48_1166:
	s_or_b64 exec, exec, s[6:7]
	s_and_saveexec_b64 s[6:7], s[4:5]
	s_cbranch_execz .LBB48_1168
.LBB48_1167:
	v_bfe_u32 v12, v2, 8, 3
	v_ffbh_u32_e32 v14, v12
	v_min_u32_e32 v14, 32, v14
	v_lshrrev_b16_e32 v13, 3, v11
	v_subrev_u32_e32 v15, 28, v14
	v_and_b32_e32 v13, 15, v13
	v_lshlrev_b32_e32 v11, v15, v11
	v_sub_u32_e32 v14, 29, v14
	v_and_b32_e32 v11, 7, v11
	v_cmp_eq_u16_e32 vcc, 0, v13
	v_cndmask_b32_e32 v11, v12, v11, vcc
	v_cndmask_b32_e32 v12, v13, v14, vcc
	v_lshlrev_b32_e32 v13, 16, v2
	v_mov_b32_e32 v14, 0x3b800000
	v_lshlrev_b32_e32 v11, 20, v11
	v_and_b32_e32 v13, 0x80000000, v13
	v_lshl_add_u32 v12, v12, 23, v14
	v_or3_b32 v12, v13, v12, v11
.LBB48_1168:
	s_or_b64 exec, exec, s[6:7]
	s_nop 0
	v_mfma_f32_16x16x4f32 a[0:3], v10, v12, a[0:3]
	s_movk_i32 s4, 0xff
	v_and_b32_sdwa v11, v6, s4 dst_sel:DWORD dst_unused:UNUSED_PAD src0_sel:WORD_1 src1_sel:DWORD
	s_movk_i32 s4, 0x7f
	v_cmp_lt_i16_e32 vcc, s4, v11
	s_mov_b64 s[4:5], 0
                                        ; implicit-def: $sgpr10
	s_and_saveexec_b64 s[6:7], vcc
	s_xor_b64 s[6:7], exec, s[6:7]
	s_cbranch_execnz .LBB48_3217
; %bb.1169:
	s_or_saveexec_b64 s[6:7], s[6:7]
	v_mov_b32_e32 v10, s10
	s_xor_b64 exec, exec, s[6:7]
	s_cbranch_execnz .LBB48_3220
.LBB48_1170:
	s_or_b64 exec, exec, s[6:7]
	s_and_saveexec_b64 s[6:7], s[4:5]
	s_cbranch_execz .LBB48_1172
.LBB48_1171:
	v_bfe_u32 v10, v6, 16, 3
	v_ffbh_u32_e32 v13, v10
	v_min_u32_e32 v13, 32, v13
	v_lshrrev_b32_e32 v11, 19, v6
	v_subrev_u32_e32 v14, 28, v13
	v_and_b32_e32 v11, 15, v11
	v_lshlrev_b32_sdwa v14, v14, v6 dst_sel:DWORD dst_unused:UNUSED_PAD src0_sel:DWORD src1_sel:WORD_1
	v_bfe_u32 v12, v6, 19, 4
	v_sub_u32_e32 v13, 29, v13
	v_and_b32_e32 v14, 7, v14
	v_cmp_eq_u16_e32 vcc, 0, v11
	v_cndmask_b32_e32 v10, v10, v14, vcc
	v_cndmask_b32_e32 v11, v12, v13, vcc
	v_lshlrev_b32_e32 v12, 8, v6
	v_mov_b32_e32 v13, 0x3b800000
	v_lshlrev_b32_e32 v10, 20, v10
	v_and_b32_e32 v12, 0x80000000, v12
	v_lshl_add_u32 v11, v11, 23, v13
	v_or3_b32 v10, v12, v11, v10
.LBB48_1172:
	s_or_b64 exec, exec, s[6:7]
	s_movk_i32 s4, 0xff
	v_and_b32_sdwa v11, v2, s4 dst_sel:DWORD dst_unused:UNUSED_PAD src0_sel:WORD_1 src1_sel:DWORD
	s_movk_i32 s4, 0x7f
	v_cmp_lt_i16_e32 vcc, s4, v11
	s_mov_b64 s[4:5], 0
                                        ; implicit-def: $sgpr10
	s_and_saveexec_b64 s[6:7], vcc
	s_xor_b64 s[6:7], exec, s[6:7]
	s_cbranch_execnz .LBB48_3221
; %bb.1173:
	s_or_saveexec_b64 s[6:7], s[6:7]
	v_mov_b32_e32 v12, s10
	s_xor_b64 exec, exec, s[6:7]
	s_cbranch_execnz .LBB48_3224
.LBB48_1174:
	s_or_b64 exec, exec, s[6:7]
	s_and_saveexec_b64 s[6:7], s[4:5]
	s_cbranch_execz .LBB48_1176
.LBB48_1175:
	v_bfe_u32 v11, v2, 16, 3
	v_ffbh_u32_e32 v14, v11
	v_min_u32_e32 v14, 32, v14
	v_lshrrev_b32_e32 v12, 19, v2
	v_subrev_u32_e32 v15, 28, v14
	v_and_b32_e32 v12, 15, v12
	v_lshlrev_b32_sdwa v15, v15, v2 dst_sel:DWORD dst_unused:UNUSED_PAD src0_sel:DWORD src1_sel:WORD_1
	v_bfe_u32 v13, v2, 19, 4
	v_sub_u32_e32 v14, 29, v14
	v_and_b32_e32 v15, 7, v15
	v_cmp_eq_u16_e32 vcc, 0, v12
	v_cndmask_b32_e32 v11, v11, v15, vcc
	v_cndmask_b32_e32 v12, v13, v14, vcc
	v_lshlrev_b32_e32 v13, 8, v2
	v_mov_b32_e32 v14, 0x3b800000
	v_lshlrev_b32_e32 v11, 20, v11
	v_and_b32_e32 v13, 0x80000000, v13
	v_lshl_add_u32 v12, v12, 23, v14
	v_or3_b32 v12, v13, v12, v11
.LBB48_1176:
	s_or_b64 exec, exec, s[6:7]
	s_nop 0
	v_mfma_f32_16x16x4f32 a[0:3], v10, v12, a[0:3]
	s_movk_i32 s4, 0x7f
	v_cmp_gt_i16_sdwa s[6:7], v6, s4 src0_sel:BYTE_3 src1_sel:DWORD
	s_mov_b64 s[4:5], 0
                                        ; implicit-def: $sgpr10
	s_and_saveexec_b64 s[8:9], s[6:7]
	s_xor_b64 s[6:7], exec, s[8:9]
	s_cbranch_execnz .LBB48_3225
; %bb.1177:
	s_or_saveexec_b64 s[6:7], s[6:7]
	v_mov_b32_e32 v10, s10
	s_xor_b64 exec, exec, s[6:7]
	s_cbranch_execnz .LBB48_3228
.LBB48_1178:
	s_or_b64 exec, exec, s[6:7]
	s_and_saveexec_b64 s[6:7], s[4:5]
	s_cbranch_execz .LBB48_1180
.LBB48_1179:
	v_bfe_u32 v10, v6, 24, 3
	v_ffbh_u32_e32 v14, v10
	v_min_u32_e32 v14, 32, v14
	v_lshrrev_b32_e32 v12, 27, v6
	v_subrev_u32_e32 v15, 28, v14
	v_and_b32_e32 v11, 0x80000000, v6
	v_and_b32_e32 v12, 15, v12
	v_bfe_u32 v13, v6, 27, 4
	v_lshlrev_b32_sdwa v6, v15, v6 dst_sel:DWORD dst_unused:UNUSED_PAD src0_sel:DWORD src1_sel:BYTE_3
	v_sub_u32_e32 v14, 29, v14
	v_and_b32_e32 v6, 7, v6
	v_cmp_eq_u16_e32 vcc, 0, v12
	v_cndmask_b32_e32 v6, v10, v6, vcc
	v_cndmask_b32_e32 v10, v13, v14, vcc
	v_mov_b32_e32 v12, 0x3b800000
	v_lshlrev_b32_e32 v6, 20, v6
	v_lshl_add_u32 v10, v10, 23, v12
	v_or3_b32 v10, v11, v10, v6
.LBB48_1180:
	s_or_b64 exec, exec, s[6:7]
	s_movk_i32 s4, 0x7f
	v_cmp_gt_i16_sdwa s[6:7], v2, s4 src0_sel:BYTE_3 src1_sel:DWORD
	s_mov_b64 s[4:5], 0
                                        ; implicit-def: $sgpr10
	s_and_saveexec_b64 s[8:9], s[6:7]
	s_xor_b64 s[6:7], exec, s[8:9]
	s_cbranch_execnz .LBB48_3229
; %bb.1181:
	s_or_saveexec_b64 s[6:7], s[6:7]
	v_mov_b32_e32 v6, s10
	s_xor_b64 exec, exec, s[6:7]
	s_cbranch_execnz .LBB48_3232
.LBB48_1182:
	s_or_b64 exec, exec, s[6:7]
	s_and_saveexec_b64 s[6:7], s[4:5]
	s_cbranch_execz .LBB48_1184
.LBB48_1183:
	v_bfe_u32 v6, v2, 24, 3
	v_ffbh_u32_e32 v14, v6
	v_min_u32_e32 v14, 32, v14
	v_lshrrev_b32_e32 v12, 27, v2
	v_subrev_u32_e32 v15, 28, v14
	v_and_b32_e32 v11, 0x80000000, v2
	v_and_b32_e32 v12, 15, v12
	v_bfe_u32 v13, v2, 27, 4
	v_lshlrev_b32_sdwa v2, v15, v2 dst_sel:DWORD dst_unused:UNUSED_PAD src0_sel:DWORD src1_sel:BYTE_3
	v_sub_u32_e32 v14, 29, v14
	v_and_b32_e32 v2, 7, v2
	v_cmp_eq_u16_e32 vcc, 0, v12
	v_cndmask_b32_e32 v2, v6, v2, vcc
	v_cndmask_b32_e32 v6, v13, v14, vcc
	v_mov_b32_e32 v12, 0x3b800000
	v_lshlrev_b32_e32 v2, 20, v2
	v_lshl_add_u32 v6, v6, 23, v12
	v_or3_b32 v6, v11, v6, v2
.LBB48_1184:
	s_or_b64 exec, exec, s[6:7]
	s_nop 0
	v_mfma_f32_16x16x4f32 a[0:3], v10, v6, a[0:3]
	s_movk_i32 s4, 0x7f
	v_cmp_gt_i16_sdwa s[6:7], v7, s4 src0_sel:BYTE_0 src1_sel:DWORD
	s_mov_b64 s[4:5], 0
                                        ; implicit-def: $sgpr10
	s_and_saveexec_b64 s[8:9], s[6:7]
	s_xor_b64 s[6:7], exec, s[8:9]
	s_cbranch_execnz .LBB48_3233
; %bb.1185:
	s_or_saveexec_b64 s[6:7], s[6:7]
	v_mov_b32_e32 v2, s10
	s_xor_b64 exec, exec, s[6:7]
	s_cbranch_execnz .LBB48_3236
.LBB48_1186:
	s_or_b64 exec, exec, s[6:7]
	s_and_saveexec_b64 s[6:7], s[4:5]
	s_cbranch_execz .LBB48_1188
.LBB48_1187:
	v_and_b32_e32 v2, 7, v7
	v_ffbh_u32_e32 v10, v2
	v_min_u32_e32 v10, 32, v10
	v_lshrrev_b16_e32 v6, 3, v7
	v_subrev_u32_e32 v11, 28, v10
	v_and_b32_e32 v6, 15, v6
	v_lshlrev_b32_e32 v11, v11, v7
	v_sub_u32_e32 v10, 29, v10
	v_and_b32_e32 v11, 7, v11
	v_cmp_eq_u16_e32 vcc, 0, v6
	v_cndmask_b32_e32 v2, v2, v11, vcc
	v_cndmask_b32_e32 v6, v6, v10, vcc
	v_lshlrev_b32_e32 v10, 24, v7
	v_mov_b32_e32 v11, 0x3b800000
	v_lshlrev_b32_e32 v2, 20, v2
	v_and_b32_e32 v10, 0x80000000, v10
	v_lshl_add_u32 v6, v6, 23, v11
	v_or3_b32 v2, v10, v6, v2
.LBB48_1188:
	s_or_b64 exec, exec, s[6:7]
	s_movk_i32 s4, 0x7f
	v_cmp_gt_i16_sdwa s[6:7], v3, s4 src0_sel:BYTE_0 src1_sel:DWORD
	s_mov_b64 s[4:5], 0
                                        ; implicit-def: $sgpr10
	s_and_saveexec_b64 s[8:9], s[6:7]
	s_xor_b64 s[6:7], exec, s[8:9]
	s_cbranch_execnz .LBB48_3237
; %bb.1189:
	s_or_saveexec_b64 s[6:7], s[6:7]
	v_mov_b32_e32 v6, s10
	s_xor_b64 exec, exec, s[6:7]
	s_cbranch_execnz .LBB48_3240
.LBB48_1190:
	s_or_b64 exec, exec, s[6:7]
	s_and_saveexec_b64 s[6:7], s[4:5]
	s_cbranch_execz .LBB48_1192
.LBB48_1191:
	v_and_b32_e32 v6, 7, v3
	v_ffbh_u32_e32 v11, v6
	v_min_u32_e32 v11, 32, v11
	v_lshrrev_b16_e32 v10, 3, v3
	v_subrev_u32_e32 v12, 28, v11
	v_and_b32_e32 v10, 15, v10
	v_lshlrev_b32_e32 v12, v12, v3
	v_sub_u32_e32 v11, 29, v11
	v_and_b32_e32 v12, 7, v12
	v_cmp_eq_u16_e32 vcc, 0, v10
	v_cndmask_b32_e32 v6, v6, v12, vcc
	v_cndmask_b32_e32 v10, v10, v11, vcc
	v_lshlrev_b32_e32 v11, 24, v3
	v_mov_b32_e32 v12, 0x3b800000
	v_lshlrev_b32_e32 v6, 20, v6
	v_and_b32_e32 v11, 0x80000000, v11
	v_lshl_add_u32 v10, v10, 23, v12
	v_or3_b32 v6, v11, v10, v6
.LBB48_1192:
	s_or_b64 exec, exec, s[6:7]
	s_nop 0
	v_mfma_f32_16x16x4f32 a[0:3], v2, v6, a[0:3]
	v_lshrrev_b32_e32 v6, 8, v7
	s_movk_i32 s4, 0x7f
	v_cmp_gt_i16_sdwa s[6:7], v6, s4 src0_sel:BYTE_0 src1_sel:DWORD
	s_mov_b64 s[4:5], 0
                                        ; implicit-def: $sgpr10
	s_and_saveexec_b64 s[8:9], s[6:7]
	s_xor_b64 s[6:7], exec, s[8:9]
	s_cbranch_execnz .LBB48_3241
; %bb.1193:
	s_or_saveexec_b64 s[6:7], s[6:7]
	v_mov_b32_e32 v2, s10
	s_xor_b64 exec, exec, s[6:7]
	s_cbranch_execnz .LBB48_3244
.LBB48_1194:
	s_or_b64 exec, exec, s[6:7]
	s_and_saveexec_b64 s[6:7], s[4:5]
	s_cbranch_execz .LBB48_1196
.LBB48_1195:
	v_bfe_u32 v2, v7, 8, 3
	v_ffbh_u32_e32 v11, v2
	v_min_u32_e32 v11, 32, v11
	v_lshrrev_b16_e32 v10, 3, v6
	v_subrev_u32_e32 v12, 28, v11
	v_and_b32_e32 v10, 15, v10
	v_lshlrev_b32_e32 v6, v12, v6
	v_sub_u32_e32 v11, 29, v11
	v_and_b32_e32 v6, 7, v6
	v_cmp_eq_u16_e32 vcc, 0, v10
	v_cndmask_b32_e32 v2, v2, v6, vcc
	v_cndmask_b32_e32 v6, v10, v11, vcc
	v_lshlrev_b32_e32 v10, 16, v7
	v_mov_b32_e32 v11, 0x3b800000
	v_lshlrev_b32_e32 v2, 20, v2
	v_and_b32_e32 v10, 0x80000000, v10
	v_lshl_add_u32 v6, v6, 23, v11
	v_or3_b32 v2, v10, v6, v2
.LBB48_1196:
	s_or_b64 exec, exec, s[6:7]
	v_lshrrev_b32_e32 v6, 8, v3
	s_movk_i32 s4, 0x7f
	v_cmp_gt_i16_sdwa s[6:7], v6, s4 src0_sel:BYTE_0 src1_sel:DWORD
	s_mov_b64 s[4:5], 0
                                        ; implicit-def: $sgpr10
	s_and_saveexec_b64 s[8:9], s[6:7]
	s_xor_b64 s[6:7], exec, s[8:9]
	s_cbranch_execnz .LBB48_3245
; %bb.1197:
	s_or_saveexec_b64 s[6:7], s[6:7]
	v_mov_b32_e32 v10, s10
	s_xor_b64 exec, exec, s[6:7]
	s_cbranch_execnz .LBB48_3248
.LBB48_1198:
	s_or_b64 exec, exec, s[6:7]
	s_and_saveexec_b64 s[6:7], s[4:5]
	s_cbranch_execz .LBB48_1200
.LBB48_1199:
	v_bfe_u32 v10, v3, 8, 3
	v_ffbh_u32_e32 v12, v10
	v_min_u32_e32 v12, 32, v12
	v_lshrrev_b16_e32 v11, 3, v6
	v_subrev_u32_e32 v13, 28, v12
	v_and_b32_e32 v11, 15, v11
	v_lshlrev_b32_e32 v6, v13, v6
	v_sub_u32_e32 v12, 29, v12
	v_and_b32_e32 v6, 7, v6
	v_cmp_eq_u16_e32 vcc, 0, v11
	v_cndmask_b32_e32 v6, v10, v6, vcc
	v_cndmask_b32_e32 v10, v11, v12, vcc
	v_lshlrev_b32_e32 v11, 16, v3
	v_mov_b32_e32 v12, 0x3b800000
	v_lshlrev_b32_e32 v6, 20, v6
	v_and_b32_e32 v11, 0x80000000, v11
	v_lshl_add_u32 v10, v10, 23, v12
	v_or3_b32 v10, v11, v10, v6
.LBB48_1200:
	s_or_b64 exec, exec, s[6:7]
	s_nop 0
	v_mfma_f32_16x16x4f32 a[0:3], v2, v10, a[0:3]
	s_movk_i32 s4, 0xff
	v_and_b32_sdwa v6, v7, s4 dst_sel:DWORD dst_unused:UNUSED_PAD src0_sel:WORD_1 src1_sel:DWORD
	s_movk_i32 s4, 0x7f
	v_cmp_lt_i16_e32 vcc, s4, v6
	s_mov_b64 s[4:5], 0
                                        ; implicit-def: $sgpr10
	s_and_saveexec_b64 s[6:7], vcc
	s_xor_b64 s[6:7], exec, s[6:7]
	s_cbranch_execnz .LBB48_3249
; %bb.1201:
	s_or_saveexec_b64 s[6:7], s[6:7]
	v_mov_b32_e32 v2, s10
	s_xor_b64 exec, exec, s[6:7]
	s_cbranch_execnz .LBB48_3252
.LBB48_1202:
	s_or_b64 exec, exec, s[6:7]
	s_and_saveexec_b64 s[6:7], s[4:5]
	s_cbranch_execz .LBB48_1204
.LBB48_1203:
	v_bfe_u32 v2, v7, 16, 3
	v_ffbh_u32_e32 v11, v2
	v_min_u32_e32 v11, 32, v11
	v_lshrrev_b32_e32 v6, 19, v7
	v_subrev_u32_e32 v12, 28, v11
	v_and_b32_e32 v6, 15, v6
	v_lshlrev_b32_sdwa v12, v12, v7 dst_sel:DWORD dst_unused:UNUSED_PAD src0_sel:DWORD src1_sel:WORD_1
	v_bfe_u32 v10, v7, 19, 4
	v_sub_u32_e32 v11, 29, v11
	v_and_b32_e32 v12, 7, v12
	v_cmp_eq_u16_e32 vcc, 0, v6
	v_cndmask_b32_e32 v2, v2, v12, vcc
	v_cndmask_b32_e32 v6, v10, v11, vcc
	v_lshlrev_b32_e32 v10, 8, v7
	v_mov_b32_e32 v11, 0x3b800000
	v_lshlrev_b32_e32 v2, 20, v2
	v_and_b32_e32 v10, 0x80000000, v10
	v_lshl_add_u32 v6, v6, 23, v11
	v_or3_b32 v2, v10, v6, v2
.LBB48_1204:
	s_or_b64 exec, exec, s[6:7]
	s_movk_i32 s4, 0xff
	v_and_b32_sdwa v6, v3, s4 dst_sel:DWORD dst_unused:UNUSED_PAD src0_sel:WORD_1 src1_sel:DWORD
	s_movk_i32 s4, 0x7f
	v_cmp_lt_i16_e32 vcc, s4, v6
	s_mov_b64 s[4:5], 0
                                        ; implicit-def: $sgpr10
	s_and_saveexec_b64 s[6:7], vcc
	s_xor_b64 s[6:7], exec, s[6:7]
	s_cbranch_execnz .LBB48_3253
; %bb.1205:
	s_or_saveexec_b64 s[6:7], s[6:7]
	v_mov_b32_e32 v10, s10
	s_xor_b64 exec, exec, s[6:7]
	s_cbranch_execnz .LBB48_3256
.LBB48_1206:
	s_or_b64 exec, exec, s[6:7]
	s_and_saveexec_b64 s[6:7], s[4:5]
	s_cbranch_execz .LBB48_1208
.LBB48_1207:
	v_bfe_u32 v6, v3, 16, 3
	v_ffbh_u32_e32 v12, v6
	v_min_u32_e32 v12, 32, v12
	v_lshrrev_b32_e32 v10, 19, v3
	v_subrev_u32_e32 v13, 28, v12
	v_and_b32_e32 v10, 15, v10
	v_lshlrev_b32_sdwa v13, v13, v3 dst_sel:DWORD dst_unused:UNUSED_PAD src0_sel:DWORD src1_sel:WORD_1
	v_bfe_u32 v11, v3, 19, 4
	v_sub_u32_e32 v12, 29, v12
	v_and_b32_e32 v13, 7, v13
	v_cmp_eq_u16_e32 vcc, 0, v10
	v_cndmask_b32_e32 v6, v6, v13, vcc
	v_cndmask_b32_e32 v10, v11, v12, vcc
	v_lshlrev_b32_e32 v11, 8, v3
	v_mov_b32_e32 v12, 0x3b800000
	v_lshlrev_b32_e32 v6, 20, v6
	v_and_b32_e32 v11, 0x80000000, v11
	v_lshl_add_u32 v10, v10, 23, v12
	v_or3_b32 v10, v11, v10, v6
.LBB48_1208:
	s_or_b64 exec, exec, s[6:7]
	s_nop 0
	v_mfma_f32_16x16x4f32 a[0:3], v2, v10, a[0:3]
	s_movk_i32 s4, 0x7f
	v_cmp_gt_i16_sdwa s[6:7], v7, s4 src0_sel:BYTE_3 src1_sel:DWORD
	s_mov_b64 s[4:5], 0
                                        ; implicit-def: $sgpr10
	s_and_saveexec_b64 s[8:9], s[6:7]
	s_xor_b64 s[6:7], exec, s[8:9]
	s_cbranch_execnz .LBB48_3257
; %bb.1209:
	s_or_saveexec_b64 s[6:7], s[6:7]
	v_mov_b32_e32 v2, s10
	s_xor_b64 exec, exec, s[6:7]
	s_cbranch_execnz .LBB48_3260
.LBB48_1210:
	s_or_b64 exec, exec, s[6:7]
	s_and_saveexec_b64 s[6:7], s[4:5]
	s_cbranch_execz .LBB48_1212
.LBB48_1211:
	v_bfe_u32 v2, v7, 24, 3
	v_ffbh_u32_e32 v12, v2
	v_min_u32_e32 v12, 32, v12
	v_lshrrev_b32_e32 v10, 27, v7
	v_subrev_u32_e32 v13, 28, v12
	v_and_b32_e32 v6, 0x80000000, v7
	v_and_b32_e32 v10, 15, v10
	v_bfe_u32 v11, v7, 27, 4
	v_lshlrev_b32_sdwa v7, v13, v7 dst_sel:DWORD dst_unused:UNUSED_PAD src0_sel:DWORD src1_sel:BYTE_3
	v_sub_u32_e32 v12, 29, v12
	v_and_b32_e32 v7, 7, v7
	v_cmp_eq_u16_e32 vcc, 0, v10
	v_cndmask_b32_e32 v2, v2, v7, vcc
	v_cndmask_b32_e32 v7, v11, v12, vcc
	v_mov_b32_e32 v10, 0x3b800000
	v_lshlrev_b32_e32 v2, 20, v2
	v_lshl_add_u32 v7, v7, 23, v10
	v_or3_b32 v2, v6, v7, v2
.LBB48_1212:
	s_or_b64 exec, exec, s[6:7]
	s_movk_i32 s4, 0x7f
	v_cmp_gt_i16_sdwa s[6:7], v3, s4 src0_sel:BYTE_3 src1_sel:DWORD
	s_mov_b64 s[4:5], 0
                                        ; implicit-def: $sgpr10
	s_and_saveexec_b64 s[8:9], s[6:7]
	s_xor_b64 s[6:7], exec, s[8:9]
	s_cbranch_execnz .LBB48_3261
; %bb.1213:
	s_or_saveexec_b64 s[6:7], s[6:7]
	v_mov_b32_e32 v6, s10
	s_xor_b64 exec, exec, s[6:7]
	s_cbranch_execnz .LBB48_3264
.LBB48_1214:
	s_or_b64 exec, exec, s[6:7]
	s_and_saveexec_b64 s[6:7], s[4:5]
	s_cbranch_execz .LBB48_1216
.LBB48_1215:
	v_bfe_u32 v6, v3, 24, 3
	v_ffbh_u32_e32 v12, v6
	v_min_u32_e32 v12, 32, v12
	v_lshrrev_b32_e32 v10, 27, v3
	v_subrev_u32_e32 v13, 28, v12
	v_and_b32_e32 v7, 0x80000000, v3
	v_and_b32_e32 v10, 15, v10
	v_bfe_u32 v11, v3, 27, 4
	v_lshlrev_b32_sdwa v3, v13, v3 dst_sel:DWORD dst_unused:UNUSED_PAD src0_sel:DWORD src1_sel:BYTE_3
	v_sub_u32_e32 v12, 29, v12
	v_and_b32_e32 v3, 7, v3
	v_cmp_eq_u16_e32 vcc, 0, v10
	v_cndmask_b32_e32 v3, v6, v3, vcc
	v_cndmask_b32_e32 v6, v11, v12, vcc
	v_mov_b32_e32 v10, 0x3b800000
	v_lshlrev_b32_e32 v3, 20, v3
	v_lshl_add_u32 v6, v6, 23, v10
	v_or3_b32 v6, v7, v6, v3
.LBB48_1216:
	s_or_b64 exec, exec, s[6:7]
	s_nop 0
	v_mfma_f32_16x16x4f32 a[0:3], v2, v6, a[0:3]
	s_movk_i32 s4, 0x7f
	v_cmp_gt_i16_sdwa s[6:7], v8, s4 src0_sel:BYTE_0 src1_sel:DWORD
	s_mov_b64 s[4:5], 0
                                        ; implicit-def: $sgpr10
	s_and_saveexec_b64 s[8:9], s[6:7]
	s_xor_b64 s[6:7], exec, s[8:9]
	s_cbranch_execnz .LBB48_3265
; %bb.1217:
	s_or_saveexec_b64 s[6:7], s[6:7]
	v_mov_b32_e32 v2, s10
	s_xor_b64 exec, exec, s[6:7]
	s_cbranch_execnz .LBB48_3268
.LBB48_1218:
	s_or_b64 exec, exec, s[6:7]
	s_and_saveexec_b64 s[6:7], s[4:5]
	s_cbranch_execz .LBB48_1220
.LBB48_1219:
	v_and_b32_e32 v2, 7, v8
	v_ffbh_u32_e32 v6, v2
	v_min_u32_e32 v6, 32, v6
	v_lshrrev_b16_e32 v3, 3, v8
	v_subrev_u32_e32 v7, 28, v6
	v_and_b32_e32 v3, 15, v3
	v_lshlrev_b32_e32 v7, v7, v8
	v_sub_u32_e32 v6, 29, v6
	v_and_b32_e32 v7, 7, v7
	v_cmp_eq_u16_e32 vcc, 0, v3
	v_cndmask_b32_e32 v2, v2, v7, vcc
	v_cndmask_b32_e32 v3, v3, v6, vcc
	v_lshlrev_b32_e32 v6, 24, v8
	v_mov_b32_e32 v7, 0x3b800000
	v_lshlrev_b32_e32 v2, 20, v2
	v_and_b32_e32 v6, 0x80000000, v6
	v_lshl_add_u32 v3, v3, 23, v7
	v_or3_b32 v2, v6, v3, v2
.LBB48_1220:
	s_or_b64 exec, exec, s[6:7]
	s_movk_i32 s4, 0x7f
	v_cmp_gt_i16_sdwa s[6:7], v4, s4 src0_sel:BYTE_0 src1_sel:DWORD
	s_mov_b64 s[4:5], 0
                                        ; implicit-def: $sgpr10
	s_and_saveexec_b64 s[8:9], s[6:7]
	s_xor_b64 s[6:7], exec, s[8:9]
	s_cbranch_execnz .LBB48_3269
; %bb.1221:
	s_or_saveexec_b64 s[6:7], s[6:7]
	v_mov_b32_e32 v3, s10
	s_xor_b64 exec, exec, s[6:7]
	s_cbranch_execnz .LBB48_3272
.LBB48_1222:
	s_or_b64 exec, exec, s[6:7]
	s_and_saveexec_b64 s[6:7], s[4:5]
	s_cbranch_execz .LBB48_1224
.LBB48_1223:
	v_and_b32_e32 v3, 7, v4
	v_ffbh_u32_e32 v7, v3
	v_min_u32_e32 v7, 32, v7
	v_lshrrev_b16_e32 v6, 3, v4
	v_subrev_u32_e32 v10, 28, v7
	v_and_b32_e32 v6, 15, v6
	v_lshlrev_b32_e32 v10, v10, v4
	v_sub_u32_e32 v7, 29, v7
	v_and_b32_e32 v10, 7, v10
	v_cmp_eq_u16_e32 vcc, 0, v6
	v_cndmask_b32_e32 v3, v3, v10, vcc
	v_cndmask_b32_e32 v6, v6, v7, vcc
	v_lshlrev_b32_e32 v7, 24, v4
	v_mov_b32_e32 v10, 0x3b800000
	v_lshlrev_b32_e32 v3, 20, v3
	v_and_b32_e32 v7, 0x80000000, v7
	v_lshl_add_u32 v6, v6, 23, v10
	v_or3_b32 v3, v7, v6, v3
.LBB48_1224:
	s_or_b64 exec, exec, s[6:7]
	s_nop 0
	v_mfma_f32_16x16x4f32 a[0:3], v2, v3, a[0:3]
	v_lshrrev_b32_e32 v3, 8, v8
	s_movk_i32 s4, 0x7f
	v_cmp_gt_i16_sdwa s[6:7], v3, s4 src0_sel:BYTE_0 src1_sel:DWORD
	s_mov_b64 s[4:5], 0
                                        ; implicit-def: $sgpr10
	s_and_saveexec_b64 s[8:9], s[6:7]
	s_xor_b64 s[6:7], exec, s[8:9]
	s_cbranch_execnz .LBB48_3273
; %bb.1225:
	s_or_saveexec_b64 s[6:7], s[6:7]
	v_mov_b32_e32 v2, s10
	s_xor_b64 exec, exec, s[6:7]
	s_cbranch_execnz .LBB48_3276
.LBB48_1226:
	s_or_b64 exec, exec, s[6:7]
	s_and_saveexec_b64 s[6:7], s[4:5]
	s_cbranch_execz .LBB48_1228
.LBB48_1227:
	v_bfe_u32 v2, v8, 8, 3
	v_ffbh_u32_e32 v7, v2
	v_min_u32_e32 v7, 32, v7
	v_lshrrev_b16_e32 v6, 3, v3
	v_subrev_u32_e32 v10, 28, v7
	v_and_b32_e32 v6, 15, v6
	v_lshlrev_b32_e32 v3, v10, v3
	v_sub_u32_e32 v7, 29, v7
	v_and_b32_e32 v3, 7, v3
	v_cmp_eq_u16_e32 vcc, 0, v6
	v_cndmask_b32_e32 v2, v2, v3, vcc
	v_cndmask_b32_e32 v3, v6, v7, vcc
	v_lshlrev_b32_e32 v6, 16, v8
	v_mov_b32_e32 v7, 0x3b800000
	v_lshlrev_b32_e32 v2, 20, v2
	v_and_b32_e32 v6, 0x80000000, v6
	v_lshl_add_u32 v3, v3, 23, v7
	v_or3_b32 v2, v6, v3, v2
.LBB48_1228:
	s_or_b64 exec, exec, s[6:7]
	v_lshrrev_b32_e32 v3, 8, v4
	s_movk_i32 s4, 0x7f
	v_cmp_gt_i16_sdwa s[6:7], v3, s4 src0_sel:BYTE_0 src1_sel:DWORD
	s_mov_b64 s[4:5], 0
                                        ; implicit-def: $sgpr10
	s_and_saveexec_b64 s[8:9], s[6:7]
	s_xor_b64 s[6:7], exec, s[8:9]
	s_cbranch_execnz .LBB48_3277
; %bb.1229:
	s_or_saveexec_b64 s[6:7], s[6:7]
	v_mov_b32_e32 v6, s10
	s_xor_b64 exec, exec, s[6:7]
	s_cbranch_execnz .LBB48_3280
.LBB48_1230:
	s_or_b64 exec, exec, s[6:7]
	s_and_saveexec_b64 s[6:7], s[4:5]
	s_cbranch_execz .LBB48_1232
.LBB48_1231:
	v_bfe_u32 v6, v4, 8, 3
	v_ffbh_u32_e32 v10, v6
	v_min_u32_e32 v10, 32, v10
	v_lshrrev_b16_e32 v7, 3, v3
	v_subrev_u32_e32 v11, 28, v10
	v_and_b32_e32 v7, 15, v7
	v_lshlrev_b32_e32 v3, v11, v3
	v_sub_u32_e32 v10, 29, v10
	v_and_b32_e32 v3, 7, v3
	v_cmp_eq_u16_e32 vcc, 0, v7
	v_cndmask_b32_e32 v3, v6, v3, vcc
	v_cndmask_b32_e32 v6, v7, v10, vcc
	v_lshlrev_b32_e32 v7, 16, v4
	v_mov_b32_e32 v10, 0x3b800000
	v_lshlrev_b32_e32 v3, 20, v3
	v_and_b32_e32 v7, 0x80000000, v7
	v_lshl_add_u32 v6, v6, 23, v10
	v_or3_b32 v6, v7, v6, v3
.LBB48_1232:
	s_or_b64 exec, exec, s[6:7]
	s_nop 0
	v_mfma_f32_16x16x4f32 a[0:3], v2, v6, a[0:3]
	s_movk_i32 s4, 0xff
	v_and_b32_sdwa v3, v8, s4 dst_sel:DWORD dst_unused:UNUSED_PAD src0_sel:WORD_1 src1_sel:DWORD
	s_movk_i32 s4, 0x7f
	v_cmp_lt_i16_e32 vcc, s4, v3
	s_mov_b64 s[4:5], 0
                                        ; implicit-def: $sgpr10
	s_and_saveexec_b64 s[6:7], vcc
	s_xor_b64 s[6:7], exec, s[6:7]
	s_cbranch_execnz .LBB48_3281
; %bb.1233:
	s_or_saveexec_b64 s[6:7], s[6:7]
	v_mov_b32_e32 v2, s10
	s_xor_b64 exec, exec, s[6:7]
	s_cbranch_execnz .LBB48_3284
.LBB48_1234:
	s_or_b64 exec, exec, s[6:7]
	s_and_saveexec_b64 s[6:7], s[4:5]
	s_cbranch_execz .LBB48_1236
.LBB48_1235:
	v_bfe_u32 v2, v8, 16, 3
	v_ffbh_u32_e32 v7, v2
	v_min_u32_e32 v7, 32, v7
	v_lshrrev_b32_e32 v3, 19, v8
	v_subrev_u32_e32 v10, 28, v7
	v_and_b32_e32 v3, 15, v3
	v_lshlrev_b32_sdwa v10, v10, v8 dst_sel:DWORD dst_unused:UNUSED_PAD src0_sel:DWORD src1_sel:WORD_1
	v_bfe_u32 v6, v8, 19, 4
	v_sub_u32_e32 v7, 29, v7
	v_and_b32_e32 v10, 7, v10
	v_cmp_eq_u16_e32 vcc, 0, v3
	v_cndmask_b32_e32 v2, v2, v10, vcc
	v_cndmask_b32_e32 v3, v6, v7, vcc
	v_lshlrev_b32_e32 v6, 8, v8
	v_mov_b32_e32 v7, 0x3b800000
	v_lshlrev_b32_e32 v2, 20, v2
	v_and_b32_e32 v6, 0x80000000, v6
	v_lshl_add_u32 v3, v3, 23, v7
	v_or3_b32 v2, v6, v3, v2
.LBB48_1236:
	s_or_b64 exec, exec, s[6:7]
	s_movk_i32 s4, 0xff
	v_and_b32_sdwa v3, v4, s4 dst_sel:DWORD dst_unused:UNUSED_PAD src0_sel:WORD_1 src1_sel:DWORD
	s_movk_i32 s4, 0x7f
	v_cmp_lt_i16_e32 vcc, s4, v3
	s_mov_b64 s[4:5], 0
                                        ; implicit-def: $sgpr10
	s_and_saveexec_b64 s[6:7], vcc
	s_xor_b64 s[6:7], exec, s[6:7]
	s_cbranch_execnz .LBB48_3285
; %bb.1237:
	s_or_saveexec_b64 s[6:7], s[6:7]
	v_mov_b32_e32 v6, s10
	s_xor_b64 exec, exec, s[6:7]
	s_cbranch_execnz .LBB48_3288
.LBB48_1238:
	s_or_b64 exec, exec, s[6:7]
	s_and_saveexec_b64 s[6:7], s[4:5]
	s_cbranch_execz .LBB48_1240
.LBB48_1239:
	v_bfe_u32 v3, v4, 16, 3
	v_ffbh_u32_e32 v10, v3
	v_min_u32_e32 v10, 32, v10
	v_lshrrev_b32_e32 v6, 19, v4
	v_subrev_u32_e32 v11, 28, v10
	v_and_b32_e32 v6, 15, v6
	v_lshlrev_b32_sdwa v11, v11, v4 dst_sel:DWORD dst_unused:UNUSED_PAD src0_sel:DWORD src1_sel:WORD_1
	v_bfe_u32 v7, v4, 19, 4
	v_sub_u32_e32 v10, 29, v10
	v_and_b32_e32 v11, 7, v11
	v_cmp_eq_u16_e32 vcc, 0, v6
	v_cndmask_b32_e32 v3, v3, v11, vcc
	v_cndmask_b32_e32 v6, v7, v10, vcc
	v_lshlrev_b32_e32 v7, 8, v4
	v_mov_b32_e32 v10, 0x3b800000
	v_lshlrev_b32_e32 v3, 20, v3
	v_and_b32_e32 v7, 0x80000000, v7
	v_lshl_add_u32 v6, v6, 23, v10
	v_or3_b32 v6, v7, v6, v3
.LBB48_1240:
	s_or_b64 exec, exec, s[6:7]
	s_nop 0
	v_mfma_f32_16x16x4f32 a[0:3], v2, v6, a[0:3]
	s_movk_i32 s4, 0x7f
	v_cmp_gt_i16_sdwa s[6:7], v8, s4 src0_sel:BYTE_3 src1_sel:DWORD
	s_mov_b64 s[4:5], 0
                                        ; implicit-def: $sgpr10
	s_and_saveexec_b64 s[8:9], s[6:7]
	s_xor_b64 s[6:7], exec, s[8:9]
	s_cbranch_execnz .LBB48_3289
; %bb.1241:
	s_or_saveexec_b64 s[6:7], s[6:7]
	v_mov_b32_e32 v2, s10
	s_xor_b64 exec, exec, s[6:7]
	s_cbranch_execnz .LBB48_3292
.LBB48_1242:
	s_or_b64 exec, exec, s[6:7]
	s_and_saveexec_b64 s[6:7], s[4:5]
	s_cbranch_execz .LBB48_1244
.LBB48_1243:
	v_bfe_u32 v2, v8, 24, 3
	v_ffbh_u32_e32 v10, v2
	v_min_u32_e32 v10, 32, v10
	v_lshrrev_b32_e32 v6, 27, v8
	v_subrev_u32_e32 v11, 28, v10
	v_and_b32_e32 v3, 0x80000000, v8
	v_and_b32_e32 v6, 15, v6
	v_bfe_u32 v7, v8, 27, 4
	v_lshlrev_b32_sdwa v8, v11, v8 dst_sel:DWORD dst_unused:UNUSED_PAD src0_sel:DWORD src1_sel:BYTE_3
	v_sub_u32_e32 v10, 29, v10
	v_and_b32_e32 v8, 7, v8
	v_cmp_eq_u16_e32 vcc, 0, v6
	v_cndmask_b32_e32 v2, v2, v8, vcc
	v_cndmask_b32_e32 v6, v7, v10, vcc
	v_mov_b32_e32 v7, 0x3b800000
	v_lshlrev_b32_e32 v2, 20, v2
	v_lshl_add_u32 v6, v6, 23, v7
	v_or3_b32 v2, v3, v6, v2
.LBB48_1244:
	s_or_b64 exec, exec, s[6:7]
	s_movk_i32 s4, 0x7f
	v_cmp_gt_i16_sdwa s[6:7], v4, s4 src0_sel:BYTE_3 src1_sel:DWORD
	s_mov_b64 s[4:5], 0
                                        ; implicit-def: $sgpr10
	s_and_saveexec_b64 s[8:9], s[6:7]
	s_xor_b64 s[6:7], exec, s[8:9]
	s_cbranch_execnz .LBB48_3293
; %bb.1245:
	s_or_saveexec_b64 s[6:7], s[6:7]
	v_mov_b32_e32 v3, s10
	s_xor_b64 exec, exec, s[6:7]
	s_cbranch_execnz .LBB48_3296
.LBB48_1246:
	s_or_b64 exec, exec, s[6:7]
	s_and_saveexec_b64 s[6:7], s[4:5]
	s_cbranch_execz .LBB48_1248
.LBB48_1247:
	v_bfe_u32 v3, v4, 24, 3
	v_ffbh_u32_e32 v10, v3
	v_min_u32_e32 v10, 32, v10
	v_lshrrev_b32_e32 v7, 27, v4
	v_subrev_u32_e32 v11, 28, v10
	v_and_b32_e32 v6, 0x80000000, v4
	v_and_b32_e32 v7, 15, v7
	v_bfe_u32 v8, v4, 27, 4
	v_lshlrev_b32_sdwa v4, v11, v4 dst_sel:DWORD dst_unused:UNUSED_PAD src0_sel:DWORD src1_sel:BYTE_3
	v_sub_u32_e32 v10, 29, v10
	v_and_b32_e32 v4, 7, v4
	v_cmp_eq_u16_e32 vcc, 0, v7
	v_cndmask_b32_e32 v3, v3, v4, vcc
	v_cndmask_b32_e32 v4, v8, v10, vcc
	v_mov_b32_e32 v7, 0x3b800000
	v_lshlrev_b32_e32 v3, 20, v3
	v_lshl_add_u32 v4, v4, 23, v7
	v_or3_b32 v3, v6, v4, v3
.LBB48_1248:
	s_or_b64 exec, exec, s[6:7]
	s_nop 0
	v_mfma_f32_16x16x4f32 a[0:3], v2, v3, a[0:3]
	s_movk_i32 s4, 0x7f
	v_cmp_gt_i16_sdwa s[6:7], v9, s4 src0_sel:BYTE_0 src1_sel:DWORD
	s_mov_b64 s[4:5], 0
                                        ; implicit-def: $sgpr10
	s_and_saveexec_b64 s[8:9], s[6:7]
	s_xor_b64 s[6:7], exec, s[8:9]
	s_cbranch_execnz .LBB48_3297
; %bb.1249:
	s_or_saveexec_b64 s[6:7], s[6:7]
	v_mov_b32_e32 v2, s10
	s_xor_b64 exec, exec, s[6:7]
	s_cbranch_execnz .LBB48_3300
.LBB48_1250:
	s_or_b64 exec, exec, s[6:7]
	s_and_saveexec_b64 s[6:7], s[4:5]
	s_cbranch_execz .LBB48_1252
.LBB48_1251:
	v_mov_b32_e32 v2, 8
	v_and_b32_e32 v3, 7, v9
	v_lshrrev_b32_sdwa v2, v2, v9 dst_sel:BYTE_1 dst_unused:UNUSED_PAD src0_sel:DWORD src1_sel:DWORD
	v_ffbh_u32_e32 v4, v3
	v_or_b32_sdwa v2, v9, v2 dst_sel:DWORD dst_unused:UNUSED_PAD src0_sel:BYTE_0 src1_sel:DWORD
	v_min_u32_e32 v4, 32, v4
	v_lshrrev_b16_e32 v2, 3, v2
	v_subrev_u32_e32 v6, 28, v4
	v_and_b32_e32 v2, 15, v2
	v_lshlrev_b32_e32 v6, v6, v9
	v_sub_u32_e32 v4, 29, v4
	v_and_b32_e32 v6, 7, v6
	v_cmp_eq_u16_e32 vcc, 0, v2
	v_cndmask_b32_e32 v3, v3, v6, vcc
	v_cndmask_b32_e32 v2, v2, v4, vcc
	v_lshlrev_b32_e32 v4, 24, v9
	v_mov_b32_e32 v6, 0x3b800000
	v_lshlrev_b32_e32 v3, 20, v3
	v_and_b32_e32 v4, 0x80000000, v4
	v_lshl_add_u32 v2, v2, 23, v6
	v_or3_b32 v2, v4, v2, v3
.LBB48_1252:
	s_or_b64 exec, exec, s[6:7]
	s_movk_i32 s4, 0x7f
	v_cmp_gt_i16_sdwa s[6:7], v5, s4 src0_sel:BYTE_0 src1_sel:DWORD
	s_mov_b64 s[4:5], 0
                                        ; implicit-def: $sgpr10
	s_and_saveexec_b64 s[8:9], s[6:7]
	s_xor_b64 s[6:7], exec, s[8:9]
	s_cbranch_execnz .LBB48_3301
; %bb.1253:
	s_or_saveexec_b64 s[6:7], s[6:7]
	v_mov_b32_e32 v3, s10
	s_xor_b64 exec, exec, s[6:7]
	s_cbranch_execnz .LBB48_3304
.LBB48_1254:
	s_or_b64 exec, exec, s[6:7]
	s_and_saveexec_b64 s[6:7], s[4:5]
	s_cbranch_execz .LBB48_1256
.LBB48_1255:
	v_mov_b32_e32 v3, 8
	v_and_b32_e32 v4, 7, v5
	v_lshrrev_b32_sdwa v3, v3, v5 dst_sel:BYTE_1 dst_unused:UNUSED_PAD src0_sel:DWORD src1_sel:DWORD
	v_ffbh_u32_e32 v6, v4
	v_or_b32_sdwa v3, v5, v3 dst_sel:DWORD dst_unused:UNUSED_PAD src0_sel:BYTE_0 src1_sel:DWORD
	v_min_u32_e32 v6, 32, v6
	v_lshrrev_b16_e32 v3, 3, v3
	v_subrev_u32_e32 v7, 28, v6
	v_and_b32_e32 v3, 15, v3
	v_lshlrev_b32_e32 v7, v7, v5
	v_sub_u32_e32 v6, 29, v6
	v_and_b32_e32 v7, 7, v7
	v_cmp_eq_u16_e32 vcc, 0, v3
	v_cndmask_b32_e32 v4, v4, v7, vcc
	v_cndmask_b32_e32 v3, v3, v6, vcc
	v_lshlrev_b32_e32 v6, 24, v5
	v_mov_b32_e32 v7, 0x3b800000
	v_lshlrev_b32_e32 v4, 20, v4
	v_and_b32_e32 v6, 0x80000000, v6
	v_lshl_add_u32 v3, v3, 23, v7
	v_or3_b32 v3, v6, v3, v4
.LBB48_1256:
	s_or_b64 exec, exec, s[6:7]
	s_nop 0
	v_mfma_f32_16x16x4f32 a[0:3], v2, v3, a[0:3]
	v_lshrrev_b32_e32 v3, 8, v9
	s_movk_i32 s4, 0x7f
	v_cmp_gt_i16_sdwa s[6:7], v3, s4 src0_sel:BYTE_0 src1_sel:DWORD
	s_mov_b64 s[4:5], 0
                                        ; implicit-def: $sgpr10
	s_and_saveexec_b64 s[8:9], s[6:7]
	s_xor_b64 s[6:7], exec, s[8:9]
	s_cbranch_execnz .LBB48_3305
; %bb.1257:
	s_or_saveexec_b64 s[6:7], s[6:7]
	v_mov_b32_e32 v2, s10
	s_xor_b64 exec, exec, s[6:7]
	s_cbranch_execnz .LBB48_3308
.LBB48_1258:
	s_or_b64 exec, exec, s[6:7]
	s_and_saveexec_b64 s[6:7], s[4:5]
	s_cbranch_execz .LBB48_1260
.LBB48_1259:
	v_bfe_u32 v2, v9, 8, 3
	v_ffbh_u32_e32 v6, v2
	v_min_u32_e32 v6, 32, v6
	v_lshrrev_b16_e32 v4, 3, v3
	v_subrev_u32_e32 v7, 28, v6
	v_and_b32_e32 v4, 15, v4
	v_lshlrev_b32_e32 v3, v7, v3
	v_sub_u32_e32 v6, 29, v6
	v_and_b32_e32 v3, 7, v3
	v_cmp_eq_u16_e32 vcc, 0, v4
	v_cndmask_b32_e32 v2, v2, v3, vcc
	v_cndmask_b32_e32 v3, v4, v6, vcc
	v_lshlrev_b32_e32 v4, 16, v9
	v_mov_b32_e32 v6, 0x3b800000
	v_lshlrev_b32_e32 v2, 20, v2
	v_and_b32_e32 v4, 0x80000000, v4
	v_lshl_add_u32 v3, v3, 23, v6
	v_or3_b32 v2, v4, v3, v2
.LBB48_1260:
	s_or_b64 exec, exec, s[6:7]
	v_lshrrev_b32_e32 v3, 8, v5
	s_movk_i32 s4, 0x7f
	v_cmp_gt_i16_sdwa s[6:7], v3, s4 src0_sel:BYTE_0 src1_sel:DWORD
	s_mov_b64 s[4:5], 0
                                        ; implicit-def: $sgpr10
	s_and_saveexec_b64 s[8:9], s[6:7]
	s_xor_b64 s[6:7], exec, s[8:9]
	s_cbranch_execnz .LBB48_3309
; %bb.1261:
	s_or_saveexec_b64 s[6:7], s[6:7]
	v_mov_b32_e32 v4, s10
	s_xor_b64 exec, exec, s[6:7]
	s_cbranch_execnz .LBB48_3312
.LBB48_1262:
	s_or_b64 exec, exec, s[6:7]
	s_and_saveexec_b64 s[6:7], s[4:5]
	s_cbranch_execz .LBB48_1264
.LBB48_1263:
	v_bfe_u32 v4, v5, 8, 3
	v_ffbh_u32_e32 v7, v4
	v_min_u32_e32 v7, 32, v7
	v_lshrrev_b16_e32 v6, 3, v3
	v_subrev_u32_e32 v8, 28, v7
	v_and_b32_e32 v6, 15, v6
	v_lshlrev_b32_e32 v3, v8, v3
	v_sub_u32_e32 v7, 29, v7
	v_and_b32_e32 v3, 7, v3
	v_cmp_eq_u16_e32 vcc, 0, v6
	v_cndmask_b32_e32 v3, v4, v3, vcc
	v_cndmask_b32_e32 v4, v6, v7, vcc
	v_lshlrev_b32_e32 v6, 16, v5
	v_mov_b32_e32 v7, 0x3b800000
	v_lshlrev_b32_e32 v3, 20, v3
	v_and_b32_e32 v6, 0x80000000, v6
	v_lshl_add_u32 v4, v4, 23, v7
	v_or3_b32 v4, v6, v4, v3
.LBB48_1264:
	s_or_b64 exec, exec, s[6:7]
	s_nop 0
	v_mfma_f32_16x16x4f32 a[0:3], v2, v4, a[0:3]
	s_movk_i32 s4, 0xff
	v_and_b32_sdwa v3, v9, s4 dst_sel:DWORD dst_unused:UNUSED_PAD src0_sel:WORD_1 src1_sel:DWORD
	s_movk_i32 s4, 0x7f
	v_cmp_lt_i16_e32 vcc, s4, v3
	s_mov_b64 s[4:5], 0
                                        ; implicit-def: $sgpr10
	s_and_saveexec_b64 s[6:7], vcc
	s_xor_b64 s[6:7], exec, s[6:7]
	s_cbranch_execnz .LBB48_3313
; %bb.1265:
	s_or_saveexec_b64 s[6:7], s[6:7]
	v_mov_b32_e32 v2, s10
	s_xor_b64 exec, exec, s[6:7]
	s_cbranch_execnz .LBB48_3316
.LBB48_1266:
	s_or_b64 exec, exec, s[6:7]
	s_and_saveexec_b64 s[6:7], s[4:5]
	s_cbranch_execz .LBB48_1268
.LBB48_1267:
	v_bfe_u32 v2, v9, 16, 3
	v_ffbh_u32_e32 v6, v2
	v_min_u32_e32 v6, 32, v6
	v_lshrrev_b32_e32 v3, 19, v9
	v_subrev_u32_e32 v7, 28, v6
	v_and_b32_e32 v3, 15, v3
	v_lshlrev_b32_sdwa v7, v7, v9 dst_sel:DWORD dst_unused:UNUSED_PAD src0_sel:DWORD src1_sel:WORD_1
	v_bfe_u32 v4, v9, 19, 4
	v_sub_u32_e32 v6, 29, v6
	v_and_b32_e32 v7, 7, v7
	v_cmp_eq_u16_e32 vcc, 0, v3
	v_cndmask_b32_e32 v2, v2, v7, vcc
	v_cndmask_b32_e32 v3, v4, v6, vcc
	v_lshlrev_b32_e32 v4, 8, v9
	v_mov_b32_e32 v6, 0x3b800000
	v_lshlrev_b32_e32 v2, 20, v2
	v_and_b32_e32 v4, 0x80000000, v4
	v_lshl_add_u32 v3, v3, 23, v6
	v_or3_b32 v2, v4, v3, v2
.LBB48_1268:
	s_or_b64 exec, exec, s[6:7]
	s_movk_i32 s4, 0xff
	v_and_b32_sdwa v3, v5, s4 dst_sel:DWORD dst_unused:UNUSED_PAD src0_sel:WORD_1 src1_sel:DWORD
	s_movk_i32 s4, 0x7f
	v_cmp_lt_i16_e32 vcc, s4, v3
	s_mov_b64 s[4:5], 0
                                        ; implicit-def: $sgpr10
	s_and_saveexec_b64 s[6:7], vcc
	s_xor_b64 s[6:7], exec, s[6:7]
	s_cbranch_execnz .LBB48_3317
; %bb.1269:
	s_or_saveexec_b64 s[6:7], s[6:7]
	v_mov_b32_e32 v4, s10
	s_xor_b64 exec, exec, s[6:7]
	s_cbranch_execnz .LBB48_3320
.LBB48_1270:
	s_or_b64 exec, exec, s[6:7]
	s_and_saveexec_b64 s[6:7], s[4:5]
	s_cbranch_execz .LBB48_1272
.LBB48_1271:
	v_bfe_u32 v3, v5, 16, 3
	v_ffbh_u32_e32 v7, v3
	v_min_u32_e32 v7, 32, v7
	v_lshrrev_b32_e32 v4, 19, v5
	v_subrev_u32_e32 v8, 28, v7
	v_and_b32_e32 v4, 15, v4
	v_lshlrev_b32_sdwa v8, v8, v5 dst_sel:DWORD dst_unused:UNUSED_PAD src0_sel:DWORD src1_sel:WORD_1
	v_bfe_u32 v6, v5, 19, 4
	v_sub_u32_e32 v7, 29, v7
	v_and_b32_e32 v8, 7, v8
	v_cmp_eq_u16_e32 vcc, 0, v4
	v_cndmask_b32_e32 v3, v3, v8, vcc
	v_cndmask_b32_e32 v4, v6, v7, vcc
	v_lshlrev_b32_e32 v6, 8, v5
	v_mov_b32_e32 v7, 0x3b800000
	v_lshlrev_b32_e32 v3, 20, v3
	v_and_b32_e32 v6, 0x80000000, v6
	v_lshl_add_u32 v4, v4, 23, v7
	v_or3_b32 v4, v6, v4, v3
.LBB48_1272:
	s_or_b64 exec, exec, s[6:7]
	s_nop 0
	v_mfma_f32_16x16x4f32 a[0:3], v2, v4, a[0:3]
	s_movk_i32 s4, 0x7f
	v_cmp_gt_i16_sdwa s[6:7], v9, s4 src0_sel:BYTE_3 src1_sel:DWORD
	s_mov_b64 s[4:5], 0
                                        ; implicit-def: $sgpr10
	s_and_saveexec_b64 s[8:9], s[6:7]
	s_xor_b64 s[6:7], exec, s[8:9]
	s_cbranch_execnz .LBB48_3321
; %bb.1273:
	s_or_saveexec_b64 s[6:7], s[6:7]
	v_mov_b32_e32 v2, s10
	s_xor_b64 exec, exec, s[6:7]
	s_cbranch_execnz .LBB48_3324
.LBB48_1274:
	s_or_b64 exec, exec, s[6:7]
	s_and_saveexec_b64 s[6:7], s[4:5]
	s_cbranch_execz .LBB48_1276
.LBB48_1275:
	v_bfe_u32 v2, v9, 24, 3
	v_ffbh_u32_e32 v7, v2
	v_min_u32_e32 v7, 32, v7
	v_lshrrev_b32_e32 v4, 27, v9
	v_subrev_u32_e32 v8, 28, v7
	v_and_b32_e32 v4, 15, v4
	v_lshlrev_b32_sdwa v8, v8, v9 dst_sel:DWORD dst_unused:UNUSED_PAD src0_sel:DWORD src1_sel:BYTE_3
	v_bfe_u32 v6, v9, 27, 4
	v_sub_u32_e32 v7, 29, v7
	v_and_b32_e32 v8, 7, v8
	v_cmp_eq_u16_e32 vcc, 0, v4
	v_cndmask_b32_e32 v2, v2, v8, vcc
	v_cndmask_b32_e32 v4, v6, v7, vcc
	v_mov_b32_e32 v6, 0x3b800000
	v_and_b32_e32 v3, 0x80000000, v9
	v_lshlrev_b32_e32 v2, 20, v2
	v_lshl_add_u32 v4, v4, 23, v6
	v_or3_b32 v2, v3, v4, v2
.LBB48_1276:
	s_or_b64 exec, exec, s[6:7]
	s_movk_i32 s4, 0x7f
	v_cmp_gt_i16_sdwa s[6:7], v5, s4 src0_sel:BYTE_3 src1_sel:DWORD
	s_mov_b64 s[4:5], 0
                                        ; implicit-def: $sgpr10
	s_and_saveexec_b64 s[8:9], s[6:7]
	s_xor_b64 s[6:7], exec, s[8:9]
	s_cbranch_execnz .LBB48_3325
; %bb.1277:
	s_or_saveexec_b64 s[6:7], s[6:7]
	v_mov_b32_e32 v3, s10
	s_xor_b64 exec, exec, s[6:7]
	s_cbranch_execnz .LBB48_3328
.LBB48_1278:
	s_or_b64 exec, exec, s[6:7]
	s_and_saveexec_b64 s[6:7], s[4:5]
	s_cbranch_execz .LBB48_1280
.LBB48_1279:
	v_bfe_u32 v3, v5, 24, 3
	v_ffbh_u32_e32 v8, v3
	v_min_u32_e32 v8, 32, v8
	v_lshrrev_b32_e32 v6, 27, v5
	v_subrev_u32_e32 v9, 28, v8
	v_and_b32_e32 v4, 0x80000000, v5
	v_and_b32_e32 v6, 15, v6
	v_bfe_u32 v7, v5, 27, 4
	v_lshlrev_b32_sdwa v5, v9, v5 dst_sel:DWORD dst_unused:UNUSED_PAD src0_sel:DWORD src1_sel:BYTE_3
	v_sub_u32_e32 v8, 29, v8
	v_and_b32_e32 v5, 7, v5
	v_cmp_eq_u16_e32 vcc, 0, v6
	v_cndmask_b32_e32 v3, v3, v5, vcc
	v_cndmask_b32_e32 v5, v7, v8, vcc
	v_mov_b32_e32 v6, 0x3b800000
	v_lshlrev_b32_e32 v3, 20, v3
	v_lshl_add_u32 v5, v5, 23, v6
	v_or3_b32 v3, v4, v5, v3
.LBB48_1280:
	s_or_b64 exec, exec, s[6:7]
	s_nop 0
	v_mfma_f32_16x16x4f32 a[0:3], v2, v3, a[0:3]
	s_movk_i32 s4, 0x7f
                                        ; implicit-def: $sgpr10
	s_nop 7
	s_nop 1
	flat_store_dwordx4 v[18:19], a[0:3] offset:576
	flat_load_dwordx4 v[20:23], v[0:1] offset:8
	s_nop 0
	flat_load_dwordx2 v[18:19], v[0:1] offset:24
	s_waitcnt vmcnt(0) lgkmcnt(0)
	flat_load_dwordx4 v[14:17], v[20:21]
	flat_load_dwordx4 v[6:9], v[20:21] offset:16
	flat_load_dwordx4 v[10:13], v[22:23] offset:160
	;; [unrolled: 1-line block ×3, first 2 shown]
	s_waitcnt vmcnt(0) lgkmcnt(0)
	v_cmp_gt_i16_sdwa s[6:7], v14, s4 src0_sel:BYTE_0 src1_sel:DWORD
	s_mov_b64 s[4:5], 0
	s_and_saveexec_b64 s[8:9], s[6:7]
	s_xor_b64 s[6:7], exec, s[8:9]
	s_cbranch_execnz .LBB48_3329
; %bb.1281:
	s_or_saveexec_b64 s[6:7], s[6:7]
	v_mov_b32_e32 v20, s10
	s_xor_b64 exec, exec, s[6:7]
	s_cbranch_execnz .LBB48_3332
.LBB48_1282:
	s_or_b64 exec, exec, s[6:7]
	s_and_saveexec_b64 s[6:7], s[4:5]
	s_cbranch_execz .LBB48_1284
.LBB48_1283:
	v_and_b32_e32 v20, 7, v14
	v_ffbh_u32_e32 v22, v20
	v_min_u32_e32 v22, 32, v22
	v_lshrrev_b16_e32 v21, 3, v14
	v_subrev_u32_e32 v23, 28, v22
	v_and_b32_e32 v21, 15, v21
	v_lshlrev_b32_e32 v23, v23, v14
	v_sub_u32_e32 v22, 29, v22
	v_and_b32_e32 v23, 7, v23
	v_cmp_eq_u16_e32 vcc, 0, v21
	v_cndmask_b32_e32 v20, v20, v23, vcc
	v_cndmask_b32_e32 v21, v21, v22, vcc
	v_lshlrev_b32_e32 v22, 24, v14
	v_mov_b32_e32 v23, 0x3b800000
	v_lshlrev_b32_e32 v20, 20, v20
	v_and_b32_e32 v22, 0x80000000, v22
	v_lshl_add_u32 v21, v21, 23, v23
	v_or3_b32 v20, v22, v21, v20
.LBB48_1284:
	s_or_b64 exec, exec, s[6:7]
	s_movk_i32 s4, 0x7f
	v_cmp_gt_i16_sdwa s[6:7], v10, s4 src0_sel:BYTE_0 src1_sel:DWORD
	s_mov_b64 s[4:5], 0
                                        ; implicit-def: $sgpr10
	s_and_saveexec_b64 s[8:9], s[6:7]
	s_xor_b64 s[6:7], exec, s[8:9]
	s_cbranch_execnz .LBB48_3333
; %bb.1285:
	s_or_saveexec_b64 s[6:7], s[6:7]
	v_mov_b32_e32 v21, s10
	s_xor_b64 exec, exec, s[6:7]
	s_cbranch_execnz .LBB48_3336
.LBB48_1286:
	s_or_b64 exec, exec, s[6:7]
	s_and_saveexec_b64 s[6:7], s[4:5]
	s_cbranch_execz .LBB48_1288
.LBB48_1287:
	v_and_b32_e32 v21, 7, v10
	v_ffbh_u32_e32 v23, v21
	v_min_u32_e32 v23, 32, v23
	v_lshrrev_b16_e32 v22, 3, v10
	v_subrev_u32_e32 v24, 28, v23
	v_and_b32_e32 v22, 15, v22
	v_lshlrev_b32_e32 v24, v24, v10
	v_sub_u32_e32 v23, 29, v23
	v_and_b32_e32 v24, 7, v24
	v_cmp_eq_u16_e32 vcc, 0, v22
	v_cndmask_b32_e32 v21, v21, v24, vcc
	v_cndmask_b32_e32 v22, v22, v23, vcc
	v_lshlrev_b32_e32 v23, 24, v10
	v_mov_b32_e32 v24, 0x3b800000
	v_lshlrev_b32_e32 v21, 20, v21
	v_and_b32_e32 v23, 0x80000000, v23
	v_lshl_add_u32 v22, v22, 23, v24
	v_or3_b32 v21, v23, v22, v21
.LBB48_1288:
	s_or_b64 exec, exec, s[6:7]
	flat_load_dwordx4 a[0:3], v[18:19] offset:592
	s_movk_i32 s4, 0x7f
                                        ; implicit-def: $sgpr10
	s_waitcnt vmcnt(0) lgkmcnt(0)
	v_mfma_f32_16x16x4f32 a[0:3], v20, v21, a[0:3]
	v_lshrrev_b32_e32 v21, 8, v14
	v_cmp_gt_i16_sdwa s[6:7], v21, s4 src0_sel:BYTE_0 src1_sel:DWORD
	s_mov_b64 s[4:5], 0
	s_and_saveexec_b64 s[8:9], s[6:7]
	s_xor_b64 s[6:7], exec, s[8:9]
	s_cbranch_execnz .LBB48_3337
; %bb.1289:
	s_or_saveexec_b64 s[6:7], s[6:7]
	v_mov_b32_e32 v20, s10
	s_xor_b64 exec, exec, s[6:7]
	s_cbranch_execnz .LBB48_3340
.LBB48_1290:
	s_or_b64 exec, exec, s[6:7]
	s_and_saveexec_b64 s[6:7], s[4:5]
	s_cbranch_execz .LBB48_1292
.LBB48_1291:
	v_bfe_u32 v20, v14, 8, 3
	v_ffbh_u32_e32 v23, v20
	v_min_u32_e32 v23, 32, v23
	v_lshrrev_b16_e32 v22, 3, v21
	v_subrev_u32_e32 v24, 28, v23
	v_and_b32_e32 v22, 15, v22
	v_lshlrev_b32_e32 v21, v24, v21
	v_sub_u32_e32 v23, 29, v23
	v_and_b32_e32 v21, 7, v21
	v_cmp_eq_u16_e32 vcc, 0, v22
	v_cndmask_b32_e32 v20, v20, v21, vcc
	v_cndmask_b32_e32 v21, v22, v23, vcc
	v_lshlrev_b32_e32 v22, 16, v14
	v_mov_b32_e32 v23, 0x3b800000
	v_lshlrev_b32_e32 v20, 20, v20
	v_and_b32_e32 v22, 0x80000000, v22
	v_lshl_add_u32 v21, v21, 23, v23
	v_or3_b32 v20, v22, v21, v20
.LBB48_1292:
	s_or_b64 exec, exec, s[6:7]
	v_lshrrev_b32_e32 v21, 8, v10
	s_movk_i32 s4, 0x7f
	v_cmp_gt_i16_sdwa s[6:7], v21, s4 src0_sel:BYTE_0 src1_sel:DWORD
	s_mov_b64 s[4:5], 0
                                        ; implicit-def: $sgpr10
	s_and_saveexec_b64 s[8:9], s[6:7]
	s_xor_b64 s[6:7], exec, s[8:9]
	s_cbranch_execnz .LBB48_3341
; %bb.1293:
	s_or_saveexec_b64 s[6:7], s[6:7]
	v_mov_b32_e32 v22, s10
	s_xor_b64 exec, exec, s[6:7]
	s_cbranch_execnz .LBB48_3344
.LBB48_1294:
	s_or_b64 exec, exec, s[6:7]
	s_and_saveexec_b64 s[6:7], s[4:5]
	s_cbranch_execz .LBB48_1296
.LBB48_1295:
	v_bfe_u32 v22, v10, 8, 3
	v_ffbh_u32_e32 v24, v22
	v_min_u32_e32 v24, 32, v24
	v_lshrrev_b16_e32 v23, 3, v21
	v_subrev_u32_e32 v25, 28, v24
	v_and_b32_e32 v23, 15, v23
	v_lshlrev_b32_e32 v21, v25, v21
	v_sub_u32_e32 v24, 29, v24
	v_and_b32_e32 v21, 7, v21
	v_cmp_eq_u16_e32 vcc, 0, v23
	v_cndmask_b32_e32 v21, v22, v21, vcc
	v_cndmask_b32_e32 v22, v23, v24, vcc
	v_lshlrev_b32_e32 v23, 16, v10
	v_mov_b32_e32 v24, 0x3b800000
	v_lshlrev_b32_e32 v21, 20, v21
	v_and_b32_e32 v23, 0x80000000, v23
	v_lshl_add_u32 v22, v22, 23, v24
	v_or3_b32 v22, v23, v22, v21
.LBB48_1296:
	s_or_b64 exec, exec, s[6:7]
	s_nop 0
	v_mfma_f32_16x16x4f32 a[0:3], v20, v22, a[0:3]
	s_movk_i32 s4, 0xff
	v_and_b32_sdwa v21, v14, s4 dst_sel:DWORD dst_unused:UNUSED_PAD src0_sel:WORD_1 src1_sel:DWORD
	s_movk_i32 s4, 0x7f
	v_cmp_lt_i16_e32 vcc, s4, v21
	s_mov_b64 s[4:5], 0
                                        ; implicit-def: $sgpr10
	s_and_saveexec_b64 s[6:7], vcc
	s_xor_b64 s[6:7], exec, s[6:7]
	s_cbranch_execnz .LBB48_3345
; %bb.1297:
	s_or_saveexec_b64 s[6:7], s[6:7]
	v_mov_b32_e32 v20, s10
	s_xor_b64 exec, exec, s[6:7]
	s_cbranch_execnz .LBB48_3348
.LBB48_1298:
	s_or_b64 exec, exec, s[6:7]
	s_and_saveexec_b64 s[6:7], s[4:5]
	s_cbranch_execz .LBB48_1300
.LBB48_1299:
	v_bfe_u32 v20, v14, 16, 3
	v_ffbh_u32_e32 v23, v20
	v_min_u32_e32 v23, 32, v23
	v_lshrrev_b32_e32 v21, 19, v14
	v_subrev_u32_e32 v24, 28, v23
	v_and_b32_e32 v21, 15, v21
	v_lshlrev_b32_sdwa v24, v24, v14 dst_sel:DWORD dst_unused:UNUSED_PAD src0_sel:DWORD src1_sel:WORD_1
	v_bfe_u32 v22, v14, 19, 4
	v_sub_u32_e32 v23, 29, v23
	v_and_b32_e32 v24, 7, v24
	v_cmp_eq_u16_e32 vcc, 0, v21
	v_cndmask_b32_e32 v20, v20, v24, vcc
	v_cndmask_b32_e32 v21, v22, v23, vcc
	v_lshlrev_b32_e32 v22, 8, v14
	v_mov_b32_e32 v23, 0x3b800000
	v_lshlrev_b32_e32 v20, 20, v20
	v_and_b32_e32 v22, 0x80000000, v22
	v_lshl_add_u32 v21, v21, 23, v23
	v_or3_b32 v20, v22, v21, v20
.LBB48_1300:
	s_or_b64 exec, exec, s[6:7]
	s_movk_i32 s4, 0xff
	v_and_b32_sdwa v21, v10, s4 dst_sel:DWORD dst_unused:UNUSED_PAD src0_sel:WORD_1 src1_sel:DWORD
	s_movk_i32 s4, 0x7f
	v_cmp_lt_i16_e32 vcc, s4, v21
	s_mov_b64 s[4:5], 0
                                        ; implicit-def: $sgpr10
	s_and_saveexec_b64 s[6:7], vcc
	s_xor_b64 s[6:7], exec, s[6:7]
	s_cbranch_execnz .LBB48_3349
; %bb.1301:
	s_or_saveexec_b64 s[6:7], s[6:7]
	v_mov_b32_e32 v22, s10
	s_xor_b64 exec, exec, s[6:7]
	s_cbranch_execnz .LBB48_3352
.LBB48_1302:
	s_or_b64 exec, exec, s[6:7]
	s_and_saveexec_b64 s[6:7], s[4:5]
	s_cbranch_execz .LBB48_1304
.LBB48_1303:
	v_bfe_u32 v21, v10, 16, 3
	v_ffbh_u32_e32 v24, v21
	v_min_u32_e32 v24, 32, v24
	v_lshrrev_b32_e32 v22, 19, v10
	v_subrev_u32_e32 v25, 28, v24
	v_and_b32_e32 v22, 15, v22
	v_lshlrev_b32_sdwa v25, v25, v10 dst_sel:DWORD dst_unused:UNUSED_PAD src0_sel:DWORD src1_sel:WORD_1
	v_bfe_u32 v23, v10, 19, 4
	v_sub_u32_e32 v24, 29, v24
	v_and_b32_e32 v25, 7, v25
	v_cmp_eq_u16_e32 vcc, 0, v22
	v_cndmask_b32_e32 v21, v21, v25, vcc
	v_cndmask_b32_e32 v22, v23, v24, vcc
	v_lshlrev_b32_e32 v23, 8, v10
	v_mov_b32_e32 v24, 0x3b800000
	v_lshlrev_b32_e32 v21, 20, v21
	v_and_b32_e32 v23, 0x80000000, v23
	v_lshl_add_u32 v22, v22, 23, v24
	v_or3_b32 v22, v23, v22, v21
.LBB48_1304:
	s_or_b64 exec, exec, s[6:7]
	s_nop 0
	v_mfma_f32_16x16x4f32 a[0:3], v20, v22, a[0:3]
	s_movk_i32 s4, 0x7f
	v_cmp_gt_i16_sdwa s[6:7], v14, s4 src0_sel:BYTE_3 src1_sel:DWORD
	s_mov_b64 s[4:5], 0
                                        ; implicit-def: $sgpr10
	s_and_saveexec_b64 s[8:9], s[6:7]
	s_xor_b64 s[6:7], exec, s[8:9]
	s_cbranch_execnz .LBB48_3353
; %bb.1305:
	s_or_saveexec_b64 s[6:7], s[6:7]
	v_mov_b32_e32 v20, s10
	s_xor_b64 exec, exec, s[6:7]
	s_cbranch_execnz .LBB48_3356
.LBB48_1306:
	s_or_b64 exec, exec, s[6:7]
	s_and_saveexec_b64 s[6:7], s[4:5]
	s_cbranch_execz .LBB48_1308
.LBB48_1307:
	v_bfe_u32 v20, v14, 24, 3
	v_ffbh_u32_e32 v24, v20
	v_min_u32_e32 v24, 32, v24
	v_lshrrev_b32_e32 v22, 27, v14
	v_subrev_u32_e32 v25, 28, v24
	v_and_b32_e32 v21, 0x80000000, v14
	v_and_b32_e32 v22, 15, v22
	v_bfe_u32 v23, v14, 27, 4
	v_lshlrev_b32_sdwa v14, v25, v14 dst_sel:DWORD dst_unused:UNUSED_PAD src0_sel:DWORD src1_sel:BYTE_3
	v_sub_u32_e32 v24, 29, v24
	v_and_b32_e32 v14, 7, v14
	v_cmp_eq_u16_e32 vcc, 0, v22
	v_cndmask_b32_e32 v14, v20, v14, vcc
	v_cndmask_b32_e32 v20, v23, v24, vcc
	v_mov_b32_e32 v22, 0x3b800000
	v_lshlrev_b32_e32 v14, 20, v14
	v_lshl_add_u32 v20, v20, 23, v22
	v_or3_b32 v20, v21, v20, v14
.LBB48_1308:
	s_or_b64 exec, exec, s[6:7]
	s_movk_i32 s4, 0x7f
	v_cmp_gt_i16_sdwa s[6:7], v10, s4 src0_sel:BYTE_3 src1_sel:DWORD
	s_mov_b64 s[4:5], 0
                                        ; implicit-def: $sgpr10
	s_and_saveexec_b64 s[8:9], s[6:7]
	s_xor_b64 s[6:7], exec, s[8:9]
	s_cbranch_execnz .LBB48_3357
; %bb.1309:
	s_or_saveexec_b64 s[6:7], s[6:7]
	v_mov_b32_e32 v14, s10
	s_xor_b64 exec, exec, s[6:7]
	s_cbranch_execnz .LBB48_3360
.LBB48_1310:
	s_or_b64 exec, exec, s[6:7]
	s_and_saveexec_b64 s[6:7], s[4:5]
	s_cbranch_execz .LBB48_1312
.LBB48_1311:
	v_bfe_u32 v14, v10, 24, 3
	v_ffbh_u32_e32 v24, v14
	v_min_u32_e32 v24, 32, v24
	v_lshrrev_b32_e32 v22, 27, v10
	v_subrev_u32_e32 v25, 28, v24
	v_and_b32_e32 v21, 0x80000000, v10
	v_and_b32_e32 v22, 15, v22
	v_bfe_u32 v23, v10, 27, 4
	v_lshlrev_b32_sdwa v10, v25, v10 dst_sel:DWORD dst_unused:UNUSED_PAD src0_sel:DWORD src1_sel:BYTE_3
	v_sub_u32_e32 v24, 29, v24
	v_and_b32_e32 v10, 7, v10
	v_cmp_eq_u16_e32 vcc, 0, v22
	v_cndmask_b32_e32 v10, v14, v10, vcc
	v_cndmask_b32_e32 v14, v23, v24, vcc
	v_mov_b32_e32 v22, 0x3b800000
	v_lshlrev_b32_e32 v10, 20, v10
	v_lshl_add_u32 v14, v14, 23, v22
	v_or3_b32 v14, v21, v14, v10
.LBB48_1312:
	s_or_b64 exec, exec, s[6:7]
	s_nop 0
	v_mfma_f32_16x16x4f32 a[0:3], v20, v14, a[0:3]
	s_movk_i32 s4, 0x7f
	v_cmp_gt_i16_sdwa s[6:7], v15, s4 src0_sel:BYTE_0 src1_sel:DWORD
	s_mov_b64 s[4:5], 0
                                        ; implicit-def: $sgpr10
	s_and_saveexec_b64 s[8:9], s[6:7]
	s_xor_b64 s[6:7], exec, s[8:9]
	s_cbranch_execnz .LBB48_3361
; %bb.1313:
	s_or_saveexec_b64 s[6:7], s[6:7]
	v_mov_b32_e32 v10, s10
	s_xor_b64 exec, exec, s[6:7]
	s_cbranch_execnz .LBB48_3364
.LBB48_1314:
	s_or_b64 exec, exec, s[6:7]
	s_and_saveexec_b64 s[6:7], s[4:5]
	s_cbranch_execz .LBB48_1316
.LBB48_1315:
	v_and_b32_e32 v10, 7, v15
	v_ffbh_u32_e32 v20, v10
	v_min_u32_e32 v20, 32, v20
	v_lshrrev_b16_e32 v14, 3, v15
	v_subrev_u32_e32 v21, 28, v20
	v_and_b32_e32 v14, 15, v14
	v_lshlrev_b32_e32 v21, v21, v15
	v_sub_u32_e32 v20, 29, v20
	v_and_b32_e32 v21, 7, v21
	v_cmp_eq_u16_e32 vcc, 0, v14
	v_cndmask_b32_e32 v10, v10, v21, vcc
	v_cndmask_b32_e32 v14, v14, v20, vcc
	v_lshlrev_b32_e32 v20, 24, v15
	v_mov_b32_e32 v21, 0x3b800000
	v_lshlrev_b32_e32 v10, 20, v10
	v_and_b32_e32 v20, 0x80000000, v20
	v_lshl_add_u32 v14, v14, 23, v21
	v_or3_b32 v10, v20, v14, v10
.LBB48_1316:
	s_or_b64 exec, exec, s[6:7]
	s_movk_i32 s4, 0x7f
	v_cmp_gt_i16_sdwa s[6:7], v11, s4 src0_sel:BYTE_0 src1_sel:DWORD
	s_mov_b64 s[4:5], 0
                                        ; implicit-def: $sgpr10
	s_and_saveexec_b64 s[8:9], s[6:7]
	s_xor_b64 s[6:7], exec, s[8:9]
	s_cbranch_execnz .LBB48_3365
; %bb.1317:
	s_or_saveexec_b64 s[6:7], s[6:7]
	v_mov_b32_e32 v14, s10
	s_xor_b64 exec, exec, s[6:7]
	s_cbranch_execnz .LBB48_3368
.LBB48_1318:
	s_or_b64 exec, exec, s[6:7]
	s_and_saveexec_b64 s[6:7], s[4:5]
	s_cbranch_execz .LBB48_1320
.LBB48_1319:
	v_and_b32_e32 v14, 7, v11
	v_ffbh_u32_e32 v21, v14
	v_min_u32_e32 v21, 32, v21
	v_lshrrev_b16_e32 v20, 3, v11
	v_subrev_u32_e32 v22, 28, v21
	v_and_b32_e32 v20, 15, v20
	v_lshlrev_b32_e32 v22, v22, v11
	v_sub_u32_e32 v21, 29, v21
	v_and_b32_e32 v22, 7, v22
	v_cmp_eq_u16_e32 vcc, 0, v20
	v_cndmask_b32_e32 v14, v14, v22, vcc
	v_cndmask_b32_e32 v20, v20, v21, vcc
	v_lshlrev_b32_e32 v21, 24, v11
	v_mov_b32_e32 v22, 0x3b800000
	v_lshlrev_b32_e32 v14, 20, v14
	v_and_b32_e32 v21, 0x80000000, v21
	v_lshl_add_u32 v20, v20, 23, v22
	v_or3_b32 v14, v21, v20, v14
.LBB48_1320:
	s_or_b64 exec, exec, s[6:7]
	s_nop 0
	v_mfma_f32_16x16x4f32 a[0:3], v10, v14, a[0:3]
	v_lshrrev_b32_e32 v14, 8, v15
	s_movk_i32 s4, 0x7f
	v_cmp_gt_i16_sdwa s[6:7], v14, s4 src0_sel:BYTE_0 src1_sel:DWORD
	s_mov_b64 s[4:5], 0
                                        ; implicit-def: $sgpr10
	s_and_saveexec_b64 s[8:9], s[6:7]
	s_xor_b64 s[6:7], exec, s[8:9]
	s_cbranch_execnz .LBB48_3369
; %bb.1321:
	s_or_saveexec_b64 s[6:7], s[6:7]
	v_mov_b32_e32 v10, s10
	s_xor_b64 exec, exec, s[6:7]
	s_cbranch_execnz .LBB48_3372
.LBB48_1322:
	s_or_b64 exec, exec, s[6:7]
	s_and_saveexec_b64 s[6:7], s[4:5]
	s_cbranch_execz .LBB48_1324
.LBB48_1323:
	v_bfe_u32 v10, v15, 8, 3
	v_ffbh_u32_e32 v21, v10
	v_min_u32_e32 v21, 32, v21
	v_lshrrev_b16_e32 v20, 3, v14
	v_subrev_u32_e32 v22, 28, v21
	v_and_b32_e32 v20, 15, v20
	v_lshlrev_b32_e32 v14, v22, v14
	v_sub_u32_e32 v21, 29, v21
	v_and_b32_e32 v14, 7, v14
	v_cmp_eq_u16_e32 vcc, 0, v20
	v_cndmask_b32_e32 v10, v10, v14, vcc
	v_cndmask_b32_e32 v14, v20, v21, vcc
	v_lshlrev_b32_e32 v20, 16, v15
	v_mov_b32_e32 v21, 0x3b800000
	v_lshlrev_b32_e32 v10, 20, v10
	v_and_b32_e32 v20, 0x80000000, v20
	v_lshl_add_u32 v14, v14, 23, v21
	v_or3_b32 v10, v20, v14, v10
.LBB48_1324:
	s_or_b64 exec, exec, s[6:7]
	v_lshrrev_b32_e32 v14, 8, v11
	s_movk_i32 s4, 0x7f
	v_cmp_gt_i16_sdwa s[6:7], v14, s4 src0_sel:BYTE_0 src1_sel:DWORD
	s_mov_b64 s[4:5], 0
                                        ; implicit-def: $sgpr10
	s_and_saveexec_b64 s[8:9], s[6:7]
	s_xor_b64 s[6:7], exec, s[8:9]
	s_cbranch_execnz .LBB48_3373
; %bb.1325:
	s_or_saveexec_b64 s[6:7], s[6:7]
	v_mov_b32_e32 v20, s10
	s_xor_b64 exec, exec, s[6:7]
	s_cbranch_execnz .LBB48_3376
.LBB48_1326:
	s_or_b64 exec, exec, s[6:7]
	s_and_saveexec_b64 s[6:7], s[4:5]
	s_cbranch_execz .LBB48_1328
.LBB48_1327:
	v_bfe_u32 v20, v11, 8, 3
	v_ffbh_u32_e32 v22, v20
	v_min_u32_e32 v22, 32, v22
	v_lshrrev_b16_e32 v21, 3, v14
	v_subrev_u32_e32 v23, 28, v22
	v_and_b32_e32 v21, 15, v21
	v_lshlrev_b32_e32 v14, v23, v14
	v_sub_u32_e32 v22, 29, v22
	v_and_b32_e32 v14, 7, v14
	v_cmp_eq_u16_e32 vcc, 0, v21
	v_cndmask_b32_e32 v14, v20, v14, vcc
	v_cndmask_b32_e32 v20, v21, v22, vcc
	v_lshlrev_b32_e32 v21, 16, v11
	v_mov_b32_e32 v22, 0x3b800000
	v_lshlrev_b32_e32 v14, 20, v14
	v_and_b32_e32 v21, 0x80000000, v21
	v_lshl_add_u32 v20, v20, 23, v22
	v_or3_b32 v20, v21, v20, v14
.LBB48_1328:
	s_or_b64 exec, exec, s[6:7]
	s_nop 0
	v_mfma_f32_16x16x4f32 a[0:3], v10, v20, a[0:3]
	s_movk_i32 s4, 0xff
	v_and_b32_sdwa v14, v15, s4 dst_sel:DWORD dst_unused:UNUSED_PAD src0_sel:WORD_1 src1_sel:DWORD
	s_movk_i32 s4, 0x7f
	v_cmp_lt_i16_e32 vcc, s4, v14
	s_mov_b64 s[4:5], 0
                                        ; implicit-def: $sgpr10
	s_and_saveexec_b64 s[6:7], vcc
	s_xor_b64 s[6:7], exec, s[6:7]
	s_cbranch_execnz .LBB48_3377
; %bb.1329:
	s_or_saveexec_b64 s[6:7], s[6:7]
	v_mov_b32_e32 v10, s10
	s_xor_b64 exec, exec, s[6:7]
	s_cbranch_execnz .LBB48_3380
.LBB48_1330:
	s_or_b64 exec, exec, s[6:7]
	s_and_saveexec_b64 s[6:7], s[4:5]
	s_cbranch_execz .LBB48_1332
.LBB48_1331:
	v_bfe_u32 v10, v15, 16, 3
	v_ffbh_u32_e32 v21, v10
	v_min_u32_e32 v21, 32, v21
	v_lshrrev_b32_e32 v14, 19, v15
	v_subrev_u32_e32 v22, 28, v21
	v_and_b32_e32 v14, 15, v14
	v_lshlrev_b32_sdwa v22, v22, v15 dst_sel:DWORD dst_unused:UNUSED_PAD src0_sel:DWORD src1_sel:WORD_1
	v_bfe_u32 v20, v15, 19, 4
	v_sub_u32_e32 v21, 29, v21
	v_and_b32_e32 v22, 7, v22
	v_cmp_eq_u16_e32 vcc, 0, v14
	v_cndmask_b32_e32 v10, v10, v22, vcc
	v_cndmask_b32_e32 v14, v20, v21, vcc
	v_lshlrev_b32_e32 v20, 8, v15
	v_mov_b32_e32 v21, 0x3b800000
	v_lshlrev_b32_e32 v10, 20, v10
	v_and_b32_e32 v20, 0x80000000, v20
	v_lshl_add_u32 v14, v14, 23, v21
	v_or3_b32 v10, v20, v14, v10
.LBB48_1332:
	s_or_b64 exec, exec, s[6:7]
	s_movk_i32 s4, 0xff
	v_and_b32_sdwa v14, v11, s4 dst_sel:DWORD dst_unused:UNUSED_PAD src0_sel:WORD_1 src1_sel:DWORD
	s_movk_i32 s4, 0x7f
	v_cmp_lt_i16_e32 vcc, s4, v14
	s_mov_b64 s[4:5], 0
                                        ; implicit-def: $sgpr10
	s_and_saveexec_b64 s[6:7], vcc
	s_xor_b64 s[6:7], exec, s[6:7]
	s_cbranch_execnz .LBB48_3381
; %bb.1333:
	s_or_saveexec_b64 s[6:7], s[6:7]
	v_mov_b32_e32 v20, s10
	s_xor_b64 exec, exec, s[6:7]
	s_cbranch_execnz .LBB48_3384
.LBB48_1334:
	s_or_b64 exec, exec, s[6:7]
	s_and_saveexec_b64 s[6:7], s[4:5]
	s_cbranch_execz .LBB48_1336
.LBB48_1335:
	v_bfe_u32 v14, v11, 16, 3
	v_ffbh_u32_e32 v22, v14
	v_min_u32_e32 v22, 32, v22
	v_lshrrev_b32_e32 v20, 19, v11
	v_subrev_u32_e32 v23, 28, v22
	v_and_b32_e32 v20, 15, v20
	v_lshlrev_b32_sdwa v23, v23, v11 dst_sel:DWORD dst_unused:UNUSED_PAD src0_sel:DWORD src1_sel:WORD_1
	v_bfe_u32 v21, v11, 19, 4
	v_sub_u32_e32 v22, 29, v22
	v_and_b32_e32 v23, 7, v23
	v_cmp_eq_u16_e32 vcc, 0, v20
	v_cndmask_b32_e32 v14, v14, v23, vcc
	v_cndmask_b32_e32 v20, v21, v22, vcc
	v_lshlrev_b32_e32 v21, 8, v11
	v_mov_b32_e32 v22, 0x3b800000
	v_lshlrev_b32_e32 v14, 20, v14
	v_and_b32_e32 v21, 0x80000000, v21
	v_lshl_add_u32 v20, v20, 23, v22
	v_or3_b32 v20, v21, v20, v14
.LBB48_1336:
	s_or_b64 exec, exec, s[6:7]
	s_nop 0
	v_mfma_f32_16x16x4f32 a[0:3], v10, v20, a[0:3]
	s_movk_i32 s4, 0x7f
	v_cmp_gt_i16_sdwa s[6:7], v15, s4 src0_sel:BYTE_3 src1_sel:DWORD
	s_mov_b64 s[4:5], 0
                                        ; implicit-def: $sgpr10
	s_and_saveexec_b64 s[8:9], s[6:7]
	s_xor_b64 s[6:7], exec, s[8:9]
	s_cbranch_execnz .LBB48_3385
; %bb.1337:
	s_or_saveexec_b64 s[6:7], s[6:7]
	v_mov_b32_e32 v10, s10
	s_xor_b64 exec, exec, s[6:7]
	s_cbranch_execnz .LBB48_3388
.LBB48_1338:
	s_or_b64 exec, exec, s[6:7]
	s_and_saveexec_b64 s[6:7], s[4:5]
	s_cbranch_execz .LBB48_1340
.LBB48_1339:
	v_bfe_u32 v10, v15, 24, 3
	v_ffbh_u32_e32 v22, v10
	v_min_u32_e32 v22, 32, v22
	v_lshrrev_b32_e32 v20, 27, v15
	v_subrev_u32_e32 v23, 28, v22
	v_and_b32_e32 v14, 0x80000000, v15
	v_and_b32_e32 v20, 15, v20
	v_bfe_u32 v21, v15, 27, 4
	v_lshlrev_b32_sdwa v15, v23, v15 dst_sel:DWORD dst_unused:UNUSED_PAD src0_sel:DWORD src1_sel:BYTE_3
	v_sub_u32_e32 v22, 29, v22
	v_and_b32_e32 v15, 7, v15
	v_cmp_eq_u16_e32 vcc, 0, v20
	v_cndmask_b32_e32 v10, v10, v15, vcc
	v_cndmask_b32_e32 v15, v21, v22, vcc
	v_mov_b32_e32 v20, 0x3b800000
	v_lshlrev_b32_e32 v10, 20, v10
	v_lshl_add_u32 v15, v15, 23, v20
	v_or3_b32 v10, v14, v15, v10
.LBB48_1340:
	s_or_b64 exec, exec, s[6:7]
	s_movk_i32 s4, 0x7f
	v_cmp_gt_i16_sdwa s[6:7], v11, s4 src0_sel:BYTE_3 src1_sel:DWORD
	s_mov_b64 s[4:5], 0
                                        ; implicit-def: $sgpr10
	s_and_saveexec_b64 s[8:9], s[6:7]
	s_xor_b64 s[6:7], exec, s[8:9]
	s_cbranch_execnz .LBB48_3389
; %bb.1341:
	s_or_saveexec_b64 s[6:7], s[6:7]
	v_mov_b32_e32 v14, s10
	s_xor_b64 exec, exec, s[6:7]
	s_cbranch_execnz .LBB48_3392
.LBB48_1342:
	s_or_b64 exec, exec, s[6:7]
	s_and_saveexec_b64 s[6:7], s[4:5]
	s_cbranch_execz .LBB48_1344
.LBB48_1343:
	v_bfe_u32 v14, v11, 24, 3
	v_ffbh_u32_e32 v22, v14
	v_min_u32_e32 v22, 32, v22
	v_lshrrev_b32_e32 v20, 27, v11
	v_subrev_u32_e32 v23, 28, v22
	v_and_b32_e32 v15, 0x80000000, v11
	v_and_b32_e32 v20, 15, v20
	v_bfe_u32 v21, v11, 27, 4
	v_lshlrev_b32_sdwa v11, v23, v11 dst_sel:DWORD dst_unused:UNUSED_PAD src0_sel:DWORD src1_sel:BYTE_3
	v_sub_u32_e32 v22, 29, v22
	v_and_b32_e32 v11, 7, v11
	v_cmp_eq_u16_e32 vcc, 0, v20
	v_cndmask_b32_e32 v11, v14, v11, vcc
	v_cndmask_b32_e32 v14, v21, v22, vcc
	v_mov_b32_e32 v20, 0x3b800000
	v_lshlrev_b32_e32 v11, 20, v11
	v_lshl_add_u32 v14, v14, 23, v20
	v_or3_b32 v14, v15, v14, v11
.LBB48_1344:
	s_or_b64 exec, exec, s[6:7]
	s_nop 0
	v_mfma_f32_16x16x4f32 a[0:3], v10, v14, a[0:3]
	s_movk_i32 s4, 0x7f
	v_cmp_gt_i16_sdwa s[6:7], v16, s4 src0_sel:BYTE_0 src1_sel:DWORD
	s_mov_b64 s[4:5], 0
                                        ; implicit-def: $sgpr10
	s_and_saveexec_b64 s[8:9], s[6:7]
	s_xor_b64 s[6:7], exec, s[8:9]
	s_cbranch_execnz .LBB48_3393
; %bb.1345:
	s_or_saveexec_b64 s[6:7], s[6:7]
	v_mov_b32_e32 v10, s10
	s_xor_b64 exec, exec, s[6:7]
	s_cbranch_execnz .LBB48_3396
.LBB48_1346:
	s_or_b64 exec, exec, s[6:7]
	s_and_saveexec_b64 s[6:7], s[4:5]
	s_cbranch_execz .LBB48_1348
.LBB48_1347:
	v_and_b32_e32 v10, 7, v16
	v_ffbh_u32_e32 v14, v10
	v_min_u32_e32 v14, 32, v14
	v_lshrrev_b16_e32 v11, 3, v16
	v_subrev_u32_e32 v15, 28, v14
	v_and_b32_e32 v11, 15, v11
	v_lshlrev_b32_e32 v15, v15, v16
	v_sub_u32_e32 v14, 29, v14
	v_and_b32_e32 v15, 7, v15
	v_cmp_eq_u16_e32 vcc, 0, v11
	v_cndmask_b32_e32 v10, v10, v15, vcc
	v_cndmask_b32_e32 v11, v11, v14, vcc
	v_lshlrev_b32_e32 v14, 24, v16
	v_mov_b32_e32 v15, 0x3b800000
	v_lshlrev_b32_e32 v10, 20, v10
	v_and_b32_e32 v14, 0x80000000, v14
	v_lshl_add_u32 v11, v11, 23, v15
	v_or3_b32 v10, v14, v11, v10
.LBB48_1348:
	s_or_b64 exec, exec, s[6:7]
	s_movk_i32 s4, 0x7f
	v_cmp_gt_i16_sdwa s[6:7], v12, s4 src0_sel:BYTE_0 src1_sel:DWORD
	s_mov_b64 s[4:5], 0
                                        ; implicit-def: $sgpr10
	s_and_saveexec_b64 s[8:9], s[6:7]
	s_xor_b64 s[6:7], exec, s[8:9]
	s_cbranch_execnz .LBB48_3397
; %bb.1349:
	s_or_saveexec_b64 s[6:7], s[6:7]
	v_mov_b32_e32 v11, s10
	s_xor_b64 exec, exec, s[6:7]
	s_cbranch_execnz .LBB48_3400
.LBB48_1350:
	s_or_b64 exec, exec, s[6:7]
	s_and_saveexec_b64 s[6:7], s[4:5]
	s_cbranch_execz .LBB48_1352
.LBB48_1351:
	v_and_b32_e32 v11, 7, v12
	v_ffbh_u32_e32 v15, v11
	v_min_u32_e32 v15, 32, v15
	v_lshrrev_b16_e32 v14, 3, v12
	v_subrev_u32_e32 v20, 28, v15
	v_and_b32_e32 v14, 15, v14
	v_lshlrev_b32_e32 v20, v20, v12
	v_sub_u32_e32 v15, 29, v15
	v_and_b32_e32 v20, 7, v20
	v_cmp_eq_u16_e32 vcc, 0, v14
	v_cndmask_b32_e32 v11, v11, v20, vcc
	v_cndmask_b32_e32 v14, v14, v15, vcc
	v_lshlrev_b32_e32 v15, 24, v12
	v_mov_b32_e32 v20, 0x3b800000
	v_lshlrev_b32_e32 v11, 20, v11
	v_and_b32_e32 v15, 0x80000000, v15
	v_lshl_add_u32 v14, v14, 23, v20
	v_or3_b32 v11, v15, v14, v11
.LBB48_1352:
	s_or_b64 exec, exec, s[6:7]
	s_nop 0
	v_mfma_f32_16x16x4f32 a[0:3], v10, v11, a[0:3]
	v_lshrrev_b32_e32 v11, 8, v16
	s_movk_i32 s4, 0x7f
	v_cmp_gt_i16_sdwa s[6:7], v11, s4 src0_sel:BYTE_0 src1_sel:DWORD
	s_mov_b64 s[4:5], 0
                                        ; implicit-def: $sgpr10
	s_and_saveexec_b64 s[8:9], s[6:7]
	s_xor_b64 s[6:7], exec, s[8:9]
	s_cbranch_execnz .LBB48_3401
; %bb.1353:
	s_or_saveexec_b64 s[6:7], s[6:7]
	v_mov_b32_e32 v10, s10
	s_xor_b64 exec, exec, s[6:7]
	s_cbranch_execnz .LBB48_3404
.LBB48_1354:
	s_or_b64 exec, exec, s[6:7]
	s_and_saveexec_b64 s[6:7], s[4:5]
	s_cbranch_execz .LBB48_1356
.LBB48_1355:
	v_bfe_u32 v10, v16, 8, 3
	v_ffbh_u32_e32 v15, v10
	v_min_u32_e32 v15, 32, v15
	v_lshrrev_b16_e32 v14, 3, v11
	v_subrev_u32_e32 v20, 28, v15
	v_and_b32_e32 v14, 15, v14
	v_lshlrev_b32_e32 v11, v20, v11
	v_sub_u32_e32 v15, 29, v15
	v_and_b32_e32 v11, 7, v11
	v_cmp_eq_u16_e32 vcc, 0, v14
	v_cndmask_b32_e32 v10, v10, v11, vcc
	v_cndmask_b32_e32 v11, v14, v15, vcc
	v_lshlrev_b32_e32 v14, 16, v16
	v_mov_b32_e32 v15, 0x3b800000
	v_lshlrev_b32_e32 v10, 20, v10
	v_and_b32_e32 v14, 0x80000000, v14
	v_lshl_add_u32 v11, v11, 23, v15
	v_or3_b32 v10, v14, v11, v10
.LBB48_1356:
	s_or_b64 exec, exec, s[6:7]
	v_lshrrev_b32_e32 v11, 8, v12
	s_movk_i32 s4, 0x7f
	v_cmp_gt_i16_sdwa s[6:7], v11, s4 src0_sel:BYTE_0 src1_sel:DWORD
	s_mov_b64 s[4:5], 0
                                        ; implicit-def: $sgpr10
	s_and_saveexec_b64 s[8:9], s[6:7]
	s_xor_b64 s[6:7], exec, s[8:9]
	s_cbranch_execnz .LBB48_3405
; %bb.1357:
	s_or_saveexec_b64 s[6:7], s[6:7]
	v_mov_b32_e32 v14, s10
	s_xor_b64 exec, exec, s[6:7]
	s_cbranch_execnz .LBB48_3408
.LBB48_1358:
	s_or_b64 exec, exec, s[6:7]
	s_and_saveexec_b64 s[6:7], s[4:5]
	s_cbranch_execz .LBB48_1360
.LBB48_1359:
	v_bfe_u32 v14, v12, 8, 3
	v_ffbh_u32_e32 v20, v14
	v_min_u32_e32 v20, 32, v20
	v_lshrrev_b16_e32 v15, 3, v11
	v_subrev_u32_e32 v21, 28, v20
	v_and_b32_e32 v15, 15, v15
	v_lshlrev_b32_e32 v11, v21, v11
	v_sub_u32_e32 v20, 29, v20
	v_and_b32_e32 v11, 7, v11
	v_cmp_eq_u16_e32 vcc, 0, v15
	v_cndmask_b32_e32 v11, v14, v11, vcc
	v_cndmask_b32_e32 v14, v15, v20, vcc
	v_lshlrev_b32_e32 v15, 16, v12
	v_mov_b32_e32 v20, 0x3b800000
	v_lshlrev_b32_e32 v11, 20, v11
	v_and_b32_e32 v15, 0x80000000, v15
	v_lshl_add_u32 v14, v14, 23, v20
	v_or3_b32 v14, v15, v14, v11
.LBB48_1360:
	s_or_b64 exec, exec, s[6:7]
	s_nop 0
	v_mfma_f32_16x16x4f32 a[0:3], v10, v14, a[0:3]
	s_movk_i32 s4, 0xff
	v_and_b32_sdwa v11, v16, s4 dst_sel:DWORD dst_unused:UNUSED_PAD src0_sel:WORD_1 src1_sel:DWORD
	s_movk_i32 s4, 0x7f
	v_cmp_lt_i16_e32 vcc, s4, v11
	s_mov_b64 s[4:5], 0
                                        ; implicit-def: $sgpr10
	s_and_saveexec_b64 s[6:7], vcc
	s_xor_b64 s[6:7], exec, s[6:7]
	s_cbranch_execnz .LBB48_3409
; %bb.1361:
	s_or_saveexec_b64 s[6:7], s[6:7]
	v_mov_b32_e32 v10, s10
	s_xor_b64 exec, exec, s[6:7]
	s_cbranch_execnz .LBB48_3412
.LBB48_1362:
	s_or_b64 exec, exec, s[6:7]
	s_and_saveexec_b64 s[6:7], s[4:5]
	s_cbranch_execz .LBB48_1364
.LBB48_1363:
	v_bfe_u32 v10, v16, 16, 3
	v_ffbh_u32_e32 v15, v10
	v_min_u32_e32 v15, 32, v15
	v_lshrrev_b32_e32 v11, 19, v16
	v_subrev_u32_e32 v20, 28, v15
	v_and_b32_e32 v11, 15, v11
	v_lshlrev_b32_sdwa v20, v20, v16 dst_sel:DWORD dst_unused:UNUSED_PAD src0_sel:DWORD src1_sel:WORD_1
	v_bfe_u32 v14, v16, 19, 4
	v_sub_u32_e32 v15, 29, v15
	v_and_b32_e32 v20, 7, v20
	v_cmp_eq_u16_e32 vcc, 0, v11
	v_cndmask_b32_e32 v10, v10, v20, vcc
	v_cndmask_b32_e32 v11, v14, v15, vcc
	v_lshlrev_b32_e32 v14, 8, v16
	v_mov_b32_e32 v15, 0x3b800000
	v_lshlrev_b32_e32 v10, 20, v10
	v_and_b32_e32 v14, 0x80000000, v14
	v_lshl_add_u32 v11, v11, 23, v15
	v_or3_b32 v10, v14, v11, v10
.LBB48_1364:
	s_or_b64 exec, exec, s[6:7]
	s_movk_i32 s4, 0xff
	v_and_b32_sdwa v11, v12, s4 dst_sel:DWORD dst_unused:UNUSED_PAD src0_sel:WORD_1 src1_sel:DWORD
	s_movk_i32 s4, 0x7f
	v_cmp_lt_i16_e32 vcc, s4, v11
	s_mov_b64 s[4:5], 0
                                        ; implicit-def: $sgpr10
	s_and_saveexec_b64 s[6:7], vcc
	s_xor_b64 s[6:7], exec, s[6:7]
	s_cbranch_execnz .LBB48_3413
; %bb.1365:
	s_or_saveexec_b64 s[6:7], s[6:7]
	v_mov_b32_e32 v14, s10
	s_xor_b64 exec, exec, s[6:7]
	s_cbranch_execnz .LBB48_3416
.LBB48_1366:
	s_or_b64 exec, exec, s[6:7]
	s_and_saveexec_b64 s[6:7], s[4:5]
	s_cbranch_execz .LBB48_1368
.LBB48_1367:
	v_bfe_u32 v11, v12, 16, 3
	v_ffbh_u32_e32 v20, v11
	v_min_u32_e32 v20, 32, v20
	v_lshrrev_b32_e32 v14, 19, v12
	v_subrev_u32_e32 v21, 28, v20
	v_and_b32_e32 v14, 15, v14
	v_lshlrev_b32_sdwa v21, v21, v12 dst_sel:DWORD dst_unused:UNUSED_PAD src0_sel:DWORD src1_sel:WORD_1
	v_bfe_u32 v15, v12, 19, 4
	v_sub_u32_e32 v20, 29, v20
	v_and_b32_e32 v21, 7, v21
	v_cmp_eq_u16_e32 vcc, 0, v14
	v_cndmask_b32_e32 v11, v11, v21, vcc
	v_cndmask_b32_e32 v14, v15, v20, vcc
	v_lshlrev_b32_e32 v15, 8, v12
	v_mov_b32_e32 v20, 0x3b800000
	v_lshlrev_b32_e32 v11, 20, v11
	v_and_b32_e32 v15, 0x80000000, v15
	v_lshl_add_u32 v14, v14, 23, v20
	v_or3_b32 v14, v15, v14, v11
.LBB48_1368:
	s_or_b64 exec, exec, s[6:7]
	s_nop 0
	v_mfma_f32_16x16x4f32 a[0:3], v10, v14, a[0:3]
	s_movk_i32 s4, 0x7f
	v_cmp_gt_i16_sdwa s[6:7], v16, s4 src0_sel:BYTE_3 src1_sel:DWORD
	s_mov_b64 s[4:5], 0
                                        ; implicit-def: $sgpr10
	s_and_saveexec_b64 s[8:9], s[6:7]
	s_xor_b64 s[6:7], exec, s[8:9]
	s_cbranch_execnz .LBB48_3417
; %bb.1369:
	s_or_saveexec_b64 s[6:7], s[6:7]
	v_mov_b32_e32 v10, s10
	s_xor_b64 exec, exec, s[6:7]
	s_cbranch_execnz .LBB48_3420
.LBB48_1370:
	s_or_b64 exec, exec, s[6:7]
	s_and_saveexec_b64 s[6:7], s[4:5]
	s_cbranch_execz .LBB48_1372
.LBB48_1371:
	v_bfe_u32 v10, v16, 24, 3
	v_ffbh_u32_e32 v20, v10
	v_min_u32_e32 v20, 32, v20
	v_lshrrev_b32_e32 v14, 27, v16
	v_subrev_u32_e32 v21, 28, v20
	v_and_b32_e32 v11, 0x80000000, v16
	v_and_b32_e32 v14, 15, v14
	v_bfe_u32 v15, v16, 27, 4
	v_lshlrev_b32_sdwa v16, v21, v16 dst_sel:DWORD dst_unused:UNUSED_PAD src0_sel:DWORD src1_sel:BYTE_3
	v_sub_u32_e32 v20, 29, v20
	v_and_b32_e32 v16, 7, v16
	v_cmp_eq_u16_e32 vcc, 0, v14
	v_cndmask_b32_e32 v10, v10, v16, vcc
	v_cndmask_b32_e32 v14, v15, v20, vcc
	v_mov_b32_e32 v15, 0x3b800000
	v_lshlrev_b32_e32 v10, 20, v10
	v_lshl_add_u32 v14, v14, 23, v15
	v_or3_b32 v10, v11, v14, v10
.LBB48_1372:
	s_or_b64 exec, exec, s[6:7]
	s_movk_i32 s4, 0x7f
	v_cmp_gt_i16_sdwa s[6:7], v12, s4 src0_sel:BYTE_3 src1_sel:DWORD
	s_mov_b64 s[4:5], 0
                                        ; implicit-def: $sgpr10
	s_and_saveexec_b64 s[8:9], s[6:7]
	s_xor_b64 s[6:7], exec, s[8:9]
	s_cbranch_execnz .LBB48_3421
; %bb.1373:
	s_or_saveexec_b64 s[6:7], s[6:7]
	v_mov_b32_e32 v11, s10
	s_xor_b64 exec, exec, s[6:7]
	s_cbranch_execnz .LBB48_3424
.LBB48_1374:
	s_or_b64 exec, exec, s[6:7]
	s_and_saveexec_b64 s[6:7], s[4:5]
	s_cbranch_execz .LBB48_1376
.LBB48_1375:
	v_bfe_u32 v11, v12, 24, 3
	v_ffbh_u32_e32 v20, v11
	v_min_u32_e32 v20, 32, v20
	v_lshrrev_b32_e32 v15, 27, v12
	v_subrev_u32_e32 v21, 28, v20
	v_and_b32_e32 v14, 0x80000000, v12
	v_and_b32_e32 v15, 15, v15
	v_bfe_u32 v16, v12, 27, 4
	v_lshlrev_b32_sdwa v12, v21, v12 dst_sel:DWORD dst_unused:UNUSED_PAD src0_sel:DWORD src1_sel:BYTE_3
	v_sub_u32_e32 v20, 29, v20
	v_and_b32_e32 v12, 7, v12
	v_cmp_eq_u16_e32 vcc, 0, v15
	v_cndmask_b32_e32 v11, v11, v12, vcc
	v_cndmask_b32_e32 v12, v16, v20, vcc
	v_mov_b32_e32 v15, 0x3b800000
	v_lshlrev_b32_e32 v11, 20, v11
	v_lshl_add_u32 v12, v12, 23, v15
	v_or3_b32 v11, v14, v12, v11
.LBB48_1376:
	s_or_b64 exec, exec, s[6:7]
	s_nop 0
	v_mfma_f32_16x16x4f32 a[0:3], v10, v11, a[0:3]
	s_movk_i32 s4, 0x7f
	v_cmp_gt_i16_sdwa s[6:7], v17, s4 src0_sel:BYTE_0 src1_sel:DWORD
	s_mov_b64 s[4:5], 0
                                        ; implicit-def: $sgpr10
	s_and_saveexec_b64 s[8:9], s[6:7]
	s_xor_b64 s[6:7], exec, s[8:9]
	s_cbranch_execnz .LBB48_3425
; %bb.1377:
	s_or_saveexec_b64 s[6:7], s[6:7]
	v_mov_b32_e32 v10, s10
	s_xor_b64 exec, exec, s[6:7]
	s_cbranch_execnz .LBB48_3428
.LBB48_1378:
	s_or_b64 exec, exec, s[6:7]
	s_and_saveexec_b64 s[6:7], s[4:5]
	s_cbranch_execz .LBB48_1380
.LBB48_1379:
	v_and_b32_e32 v10, 7, v17
	v_ffbh_u32_e32 v12, v10
	v_min_u32_e32 v12, 32, v12
	v_lshrrev_b16_e32 v11, 3, v17
	v_subrev_u32_e32 v14, 28, v12
	v_and_b32_e32 v11, 15, v11
	v_lshlrev_b32_e32 v14, v14, v17
	v_sub_u32_e32 v12, 29, v12
	v_and_b32_e32 v14, 7, v14
	v_cmp_eq_u16_e32 vcc, 0, v11
	v_cndmask_b32_e32 v10, v10, v14, vcc
	v_cndmask_b32_e32 v11, v11, v12, vcc
	v_lshlrev_b32_e32 v12, 24, v17
	v_mov_b32_e32 v14, 0x3b800000
	v_lshlrev_b32_e32 v10, 20, v10
	v_and_b32_e32 v12, 0x80000000, v12
	v_lshl_add_u32 v11, v11, 23, v14
	v_or3_b32 v10, v12, v11, v10
.LBB48_1380:
	s_or_b64 exec, exec, s[6:7]
	s_movk_i32 s4, 0x7f
	v_cmp_gt_i16_sdwa s[6:7], v13, s4 src0_sel:BYTE_0 src1_sel:DWORD
	s_mov_b64 s[4:5], 0
                                        ; implicit-def: $sgpr10
	s_and_saveexec_b64 s[8:9], s[6:7]
	s_xor_b64 s[6:7], exec, s[8:9]
	s_cbranch_execnz .LBB48_3429
; %bb.1381:
	s_or_saveexec_b64 s[6:7], s[6:7]
	v_mov_b32_e32 v11, s10
	s_xor_b64 exec, exec, s[6:7]
	s_cbranch_execnz .LBB48_3432
.LBB48_1382:
	s_or_b64 exec, exec, s[6:7]
	s_and_saveexec_b64 s[6:7], s[4:5]
	s_cbranch_execz .LBB48_1384
.LBB48_1383:
	v_and_b32_e32 v11, 7, v13
	v_ffbh_u32_e32 v14, v11
	v_min_u32_e32 v14, 32, v14
	v_lshrrev_b16_e32 v12, 3, v13
	v_subrev_u32_e32 v15, 28, v14
	v_and_b32_e32 v12, 15, v12
	v_lshlrev_b32_e32 v15, v15, v13
	v_sub_u32_e32 v14, 29, v14
	v_and_b32_e32 v15, 7, v15
	v_cmp_eq_u16_e32 vcc, 0, v12
	v_cndmask_b32_e32 v11, v11, v15, vcc
	v_cndmask_b32_e32 v12, v12, v14, vcc
	v_lshlrev_b32_e32 v14, 24, v13
	v_mov_b32_e32 v15, 0x3b800000
	v_lshlrev_b32_e32 v11, 20, v11
	v_and_b32_e32 v14, 0x80000000, v14
	v_lshl_add_u32 v12, v12, 23, v15
	v_or3_b32 v11, v14, v12, v11
.LBB48_1384:
	s_or_b64 exec, exec, s[6:7]
	s_nop 0
	v_mfma_f32_16x16x4f32 a[0:3], v10, v11, a[0:3]
	v_lshrrev_b32_e32 v11, 8, v17
	s_movk_i32 s4, 0x7f
	v_cmp_gt_i16_sdwa s[6:7], v11, s4 src0_sel:BYTE_0 src1_sel:DWORD
	s_mov_b64 s[4:5], 0
                                        ; implicit-def: $sgpr10
	s_and_saveexec_b64 s[8:9], s[6:7]
	s_xor_b64 s[6:7], exec, s[8:9]
	s_cbranch_execnz .LBB48_3433
; %bb.1385:
	s_or_saveexec_b64 s[6:7], s[6:7]
	v_mov_b32_e32 v10, s10
	s_xor_b64 exec, exec, s[6:7]
	s_cbranch_execnz .LBB48_3436
.LBB48_1386:
	s_or_b64 exec, exec, s[6:7]
	s_and_saveexec_b64 s[6:7], s[4:5]
	s_cbranch_execz .LBB48_1388
.LBB48_1387:
	v_bfe_u32 v10, v17, 8, 3
	v_ffbh_u32_e32 v14, v10
	v_min_u32_e32 v14, 32, v14
	v_lshrrev_b16_e32 v12, 3, v11
	v_subrev_u32_e32 v15, 28, v14
	v_and_b32_e32 v12, 15, v12
	v_lshlrev_b32_e32 v11, v15, v11
	v_sub_u32_e32 v14, 29, v14
	v_and_b32_e32 v11, 7, v11
	v_cmp_eq_u16_e32 vcc, 0, v12
	v_cndmask_b32_e32 v10, v10, v11, vcc
	v_cndmask_b32_e32 v11, v12, v14, vcc
	v_lshlrev_b32_e32 v12, 16, v17
	v_mov_b32_e32 v14, 0x3b800000
	v_lshlrev_b32_e32 v10, 20, v10
	v_and_b32_e32 v12, 0x80000000, v12
	v_lshl_add_u32 v11, v11, 23, v14
	v_or3_b32 v10, v12, v11, v10
.LBB48_1388:
	s_or_b64 exec, exec, s[6:7]
	v_lshrrev_b32_e32 v11, 8, v13
	s_movk_i32 s4, 0x7f
	v_cmp_gt_i16_sdwa s[6:7], v11, s4 src0_sel:BYTE_0 src1_sel:DWORD
	s_mov_b64 s[4:5], 0
                                        ; implicit-def: $sgpr10
	s_and_saveexec_b64 s[8:9], s[6:7]
	s_xor_b64 s[6:7], exec, s[8:9]
	s_cbranch_execnz .LBB48_3437
; %bb.1389:
	s_or_saveexec_b64 s[6:7], s[6:7]
	v_mov_b32_e32 v12, s10
	s_xor_b64 exec, exec, s[6:7]
	s_cbranch_execnz .LBB48_3440
.LBB48_1390:
	s_or_b64 exec, exec, s[6:7]
	s_and_saveexec_b64 s[6:7], s[4:5]
	s_cbranch_execz .LBB48_1392
.LBB48_1391:
	v_bfe_u32 v12, v13, 8, 3
	v_ffbh_u32_e32 v15, v12
	v_min_u32_e32 v15, 32, v15
	v_lshrrev_b16_e32 v14, 3, v11
	v_subrev_u32_e32 v16, 28, v15
	v_and_b32_e32 v14, 15, v14
	v_lshlrev_b32_e32 v11, v16, v11
	v_sub_u32_e32 v15, 29, v15
	v_and_b32_e32 v11, 7, v11
	v_cmp_eq_u16_e32 vcc, 0, v14
	v_cndmask_b32_e32 v11, v12, v11, vcc
	v_cndmask_b32_e32 v12, v14, v15, vcc
	v_lshlrev_b32_e32 v14, 16, v13
	v_mov_b32_e32 v15, 0x3b800000
	v_lshlrev_b32_e32 v11, 20, v11
	v_and_b32_e32 v14, 0x80000000, v14
	v_lshl_add_u32 v12, v12, 23, v15
	v_or3_b32 v12, v14, v12, v11
.LBB48_1392:
	s_or_b64 exec, exec, s[6:7]
	s_nop 0
	v_mfma_f32_16x16x4f32 a[0:3], v10, v12, a[0:3]
	s_movk_i32 s4, 0xff
	v_and_b32_sdwa v11, v17, s4 dst_sel:DWORD dst_unused:UNUSED_PAD src0_sel:WORD_1 src1_sel:DWORD
	s_movk_i32 s4, 0x7f
	v_cmp_lt_i16_e32 vcc, s4, v11
	s_mov_b64 s[4:5], 0
                                        ; implicit-def: $sgpr10
	s_and_saveexec_b64 s[6:7], vcc
	s_xor_b64 s[6:7], exec, s[6:7]
	s_cbranch_execnz .LBB48_3441
; %bb.1393:
	s_or_saveexec_b64 s[6:7], s[6:7]
	v_mov_b32_e32 v10, s10
	s_xor_b64 exec, exec, s[6:7]
	s_cbranch_execnz .LBB48_3444
.LBB48_1394:
	s_or_b64 exec, exec, s[6:7]
	s_and_saveexec_b64 s[6:7], s[4:5]
	s_cbranch_execz .LBB48_1396
.LBB48_1395:
	v_bfe_u32 v10, v17, 16, 3
	v_ffbh_u32_e32 v14, v10
	v_min_u32_e32 v14, 32, v14
	v_lshrrev_b32_e32 v11, 19, v17
	v_subrev_u32_e32 v15, 28, v14
	v_and_b32_e32 v11, 15, v11
	v_lshlrev_b32_sdwa v15, v15, v17 dst_sel:DWORD dst_unused:UNUSED_PAD src0_sel:DWORD src1_sel:WORD_1
	v_bfe_u32 v12, v17, 19, 4
	v_sub_u32_e32 v14, 29, v14
	v_and_b32_e32 v15, 7, v15
	v_cmp_eq_u16_e32 vcc, 0, v11
	v_cndmask_b32_e32 v10, v10, v15, vcc
	v_cndmask_b32_e32 v11, v12, v14, vcc
	v_lshlrev_b32_e32 v12, 8, v17
	v_mov_b32_e32 v14, 0x3b800000
	v_lshlrev_b32_e32 v10, 20, v10
	v_and_b32_e32 v12, 0x80000000, v12
	v_lshl_add_u32 v11, v11, 23, v14
	v_or3_b32 v10, v12, v11, v10
.LBB48_1396:
	s_or_b64 exec, exec, s[6:7]
	s_movk_i32 s4, 0xff
	v_and_b32_sdwa v11, v13, s4 dst_sel:DWORD dst_unused:UNUSED_PAD src0_sel:WORD_1 src1_sel:DWORD
	s_movk_i32 s4, 0x7f
	v_cmp_lt_i16_e32 vcc, s4, v11
	s_mov_b64 s[4:5], 0
                                        ; implicit-def: $sgpr10
	s_and_saveexec_b64 s[6:7], vcc
	s_xor_b64 s[6:7], exec, s[6:7]
	s_cbranch_execnz .LBB48_3445
; %bb.1397:
	s_or_saveexec_b64 s[6:7], s[6:7]
	v_mov_b32_e32 v12, s10
	s_xor_b64 exec, exec, s[6:7]
	s_cbranch_execnz .LBB48_3448
.LBB48_1398:
	s_or_b64 exec, exec, s[6:7]
	s_and_saveexec_b64 s[6:7], s[4:5]
	s_cbranch_execz .LBB48_1400
.LBB48_1399:
	v_bfe_u32 v11, v13, 16, 3
	v_ffbh_u32_e32 v15, v11
	v_min_u32_e32 v15, 32, v15
	v_lshrrev_b32_e32 v12, 19, v13
	v_subrev_u32_e32 v16, 28, v15
	v_and_b32_e32 v12, 15, v12
	v_lshlrev_b32_sdwa v16, v16, v13 dst_sel:DWORD dst_unused:UNUSED_PAD src0_sel:DWORD src1_sel:WORD_1
	v_bfe_u32 v14, v13, 19, 4
	v_sub_u32_e32 v15, 29, v15
	v_and_b32_e32 v16, 7, v16
	v_cmp_eq_u16_e32 vcc, 0, v12
	v_cndmask_b32_e32 v11, v11, v16, vcc
	v_cndmask_b32_e32 v12, v14, v15, vcc
	v_lshlrev_b32_e32 v14, 8, v13
	v_mov_b32_e32 v15, 0x3b800000
	v_lshlrev_b32_e32 v11, 20, v11
	v_and_b32_e32 v14, 0x80000000, v14
	v_lshl_add_u32 v12, v12, 23, v15
	v_or3_b32 v12, v14, v12, v11
.LBB48_1400:
	s_or_b64 exec, exec, s[6:7]
	s_nop 0
	v_mfma_f32_16x16x4f32 a[0:3], v10, v12, a[0:3]
	s_movk_i32 s4, 0x7f
	v_cmp_gt_i16_sdwa s[6:7], v17, s4 src0_sel:BYTE_3 src1_sel:DWORD
	s_mov_b64 s[4:5], 0
                                        ; implicit-def: $sgpr10
	s_and_saveexec_b64 s[8:9], s[6:7]
	s_xor_b64 s[6:7], exec, s[8:9]
	s_cbranch_execnz .LBB48_3449
; %bb.1401:
	s_or_saveexec_b64 s[6:7], s[6:7]
	v_mov_b32_e32 v10, s10
	s_xor_b64 exec, exec, s[6:7]
	s_cbranch_execnz .LBB48_3452
.LBB48_1402:
	s_or_b64 exec, exec, s[6:7]
	s_and_saveexec_b64 s[6:7], s[4:5]
	s_cbranch_execz .LBB48_1404
.LBB48_1403:
	v_bfe_u32 v10, v17, 24, 3
	v_ffbh_u32_e32 v15, v10
	v_min_u32_e32 v15, 32, v15
	v_lshrrev_b32_e32 v12, 27, v17
	v_subrev_u32_e32 v16, 28, v15
	v_and_b32_e32 v12, 15, v12
	v_lshlrev_b32_sdwa v16, v16, v17 dst_sel:DWORD dst_unused:UNUSED_PAD src0_sel:DWORD src1_sel:BYTE_3
	v_bfe_u32 v14, v17, 27, 4
	v_sub_u32_e32 v15, 29, v15
	v_and_b32_e32 v16, 7, v16
	v_cmp_eq_u16_e32 vcc, 0, v12
	v_cndmask_b32_e32 v10, v10, v16, vcc
	v_cndmask_b32_e32 v12, v14, v15, vcc
	v_mov_b32_e32 v14, 0x3b800000
	v_and_b32_e32 v11, 0x80000000, v17
	v_lshlrev_b32_e32 v10, 20, v10
	v_lshl_add_u32 v12, v12, 23, v14
	v_or3_b32 v10, v11, v12, v10
.LBB48_1404:
	s_or_b64 exec, exec, s[6:7]
	s_movk_i32 s4, 0x7f
	v_cmp_gt_i16_sdwa s[6:7], v13, s4 src0_sel:BYTE_3 src1_sel:DWORD
	s_mov_b64 s[4:5], 0
                                        ; implicit-def: $sgpr10
	s_and_saveexec_b64 s[8:9], s[6:7]
	s_xor_b64 s[6:7], exec, s[8:9]
	s_cbranch_execnz .LBB48_3453
; %bb.1405:
	s_or_saveexec_b64 s[6:7], s[6:7]
	v_mov_b32_e32 v11, s10
	s_xor_b64 exec, exec, s[6:7]
	s_cbranch_execnz .LBB48_3456
.LBB48_1406:
	s_or_b64 exec, exec, s[6:7]
	s_and_saveexec_b64 s[6:7], s[4:5]
	s_cbranch_execz .LBB48_1408
.LBB48_1407:
	v_bfe_u32 v11, v13, 24, 3
	v_ffbh_u32_e32 v16, v11
	v_min_u32_e32 v16, 32, v16
	v_lshrrev_b32_e32 v14, 27, v13
	v_subrev_u32_e32 v17, 28, v16
	v_and_b32_e32 v12, 0x80000000, v13
	v_and_b32_e32 v14, 15, v14
	v_bfe_u32 v15, v13, 27, 4
	v_lshlrev_b32_sdwa v13, v17, v13 dst_sel:DWORD dst_unused:UNUSED_PAD src0_sel:DWORD src1_sel:BYTE_3
	v_sub_u32_e32 v16, 29, v16
	v_and_b32_e32 v13, 7, v13
	v_cmp_eq_u16_e32 vcc, 0, v14
	v_cndmask_b32_e32 v11, v11, v13, vcc
	v_cndmask_b32_e32 v13, v15, v16, vcc
	v_mov_b32_e32 v14, 0x3b800000
	v_lshlrev_b32_e32 v11, 20, v11
	v_lshl_add_u32 v13, v13, 23, v14
	v_or3_b32 v11, v12, v13, v11
.LBB48_1408:
	s_or_b64 exec, exec, s[6:7]
	s_nop 0
	v_mfma_f32_16x16x4f32 a[0:3], v10, v11, a[0:3]
	s_movk_i32 s4, 0x7f
	v_cmp_gt_i16_sdwa s[6:7], v6, s4 src0_sel:BYTE_0 src1_sel:DWORD
	s_mov_b64 s[4:5], 0
                                        ; implicit-def: $sgpr10
	s_and_saveexec_b64 s[8:9], s[6:7]
	s_xor_b64 s[6:7], exec, s[8:9]
	s_cbranch_execnz .LBB48_3457
; %bb.1409:
	s_or_saveexec_b64 s[6:7], s[6:7]
	v_mov_b32_e32 v10, s10
	s_xor_b64 exec, exec, s[6:7]
	s_cbranch_execnz .LBB48_3460
.LBB48_1410:
	s_or_b64 exec, exec, s[6:7]
	s_and_saveexec_b64 s[6:7], s[4:5]
	s_cbranch_execz .LBB48_1412
.LBB48_1411:
	v_and_b32_e32 v10, 7, v6
	v_ffbh_u32_e32 v12, v10
	v_min_u32_e32 v12, 32, v12
	v_lshrrev_b16_e32 v11, 3, v6
	v_subrev_u32_e32 v13, 28, v12
	v_and_b32_e32 v11, 15, v11
	v_lshlrev_b32_e32 v13, v13, v6
	v_sub_u32_e32 v12, 29, v12
	v_and_b32_e32 v13, 7, v13
	v_cmp_eq_u16_e32 vcc, 0, v11
	v_cndmask_b32_e32 v10, v10, v13, vcc
	v_cndmask_b32_e32 v11, v11, v12, vcc
	v_lshlrev_b32_e32 v12, 24, v6
	v_mov_b32_e32 v13, 0x3b800000
	v_lshlrev_b32_e32 v10, 20, v10
	v_and_b32_e32 v12, 0x80000000, v12
	v_lshl_add_u32 v11, v11, 23, v13
	v_or3_b32 v10, v12, v11, v10
.LBB48_1412:
	s_or_b64 exec, exec, s[6:7]
	s_movk_i32 s4, 0x7f
	v_cmp_gt_i16_sdwa s[6:7], v2, s4 src0_sel:BYTE_0 src1_sel:DWORD
	s_mov_b64 s[4:5], 0
                                        ; implicit-def: $sgpr10
	s_and_saveexec_b64 s[8:9], s[6:7]
	s_xor_b64 s[6:7], exec, s[8:9]
	s_cbranch_execnz .LBB48_3461
; %bb.1413:
	s_or_saveexec_b64 s[6:7], s[6:7]
	v_mov_b32_e32 v11, s10
	s_xor_b64 exec, exec, s[6:7]
	s_cbranch_execnz .LBB48_3464
.LBB48_1414:
	s_or_b64 exec, exec, s[6:7]
	s_and_saveexec_b64 s[6:7], s[4:5]
	s_cbranch_execz .LBB48_1416
.LBB48_1415:
	v_and_b32_e32 v11, 7, v2
	v_ffbh_u32_e32 v13, v11
	v_min_u32_e32 v13, 32, v13
	v_lshrrev_b16_e32 v12, 3, v2
	v_subrev_u32_e32 v14, 28, v13
	v_and_b32_e32 v12, 15, v12
	v_lshlrev_b32_e32 v14, v14, v2
	v_sub_u32_e32 v13, 29, v13
	v_and_b32_e32 v14, 7, v14
	v_cmp_eq_u16_e32 vcc, 0, v12
	v_cndmask_b32_e32 v11, v11, v14, vcc
	v_cndmask_b32_e32 v12, v12, v13, vcc
	v_lshlrev_b32_e32 v13, 24, v2
	v_mov_b32_e32 v14, 0x3b800000
	v_lshlrev_b32_e32 v11, 20, v11
	v_and_b32_e32 v13, 0x80000000, v13
	v_lshl_add_u32 v12, v12, 23, v14
	v_or3_b32 v11, v13, v12, v11
.LBB48_1416:
	s_or_b64 exec, exec, s[6:7]
	s_nop 0
	v_mfma_f32_16x16x4f32 a[0:3], v10, v11, a[0:3]
	v_lshrrev_b32_e32 v11, 8, v6
	s_movk_i32 s4, 0x7f
	v_cmp_gt_i16_sdwa s[6:7], v11, s4 src0_sel:BYTE_0 src1_sel:DWORD
	s_mov_b64 s[4:5], 0
                                        ; implicit-def: $sgpr10
	s_and_saveexec_b64 s[8:9], s[6:7]
	s_xor_b64 s[6:7], exec, s[8:9]
	s_cbranch_execnz .LBB48_3465
; %bb.1417:
	s_or_saveexec_b64 s[6:7], s[6:7]
	v_mov_b32_e32 v10, s10
	s_xor_b64 exec, exec, s[6:7]
	s_cbranch_execnz .LBB48_3468
.LBB48_1418:
	s_or_b64 exec, exec, s[6:7]
	s_and_saveexec_b64 s[6:7], s[4:5]
	s_cbranch_execz .LBB48_1420
.LBB48_1419:
	v_bfe_u32 v10, v6, 8, 3
	v_ffbh_u32_e32 v13, v10
	v_min_u32_e32 v13, 32, v13
	v_lshrrev_b16_e32 v12, 3, v11
	v_subrev_u32_e32 v14, 28, v13
	v_and_b32_e32 v12, 15, v12
	v_lshlrev_b32_e32 v11, v14, v11
	v_sub_u32_e32 v13, 29, v13
	v_and_b32_e32 v11, 7, v11
	v_cmp_eq_u16_e32 vcc, 0, v12
	v_cndmask_b32_e32 v10, v10, v11, vcc
	v_cndmask_b32_e32 v11, v12, v13, vcc
	v_lshlrev_b32_e32 v12, 16, v6
	v_mov_b32_e32 v13, 0x3b800000
	v_lshlrev_b32_e32 v10, 20, v10
	v_and_b32_e32 v12, 0x80000000, v12
	v_lshl_add_u32 v11, v11, 23, v13
	v_or3_b32 v10, v12, v11, v10
.LBB48_1420:
	s_or_b64 exec, exec, s[6:7]
	v_lshrrev_b32_e32 v11, 8, v2
	s_movk_i32 s4, 0x7f
	v_cmp_gt_i16_sdwa s[6:7], v11, s4 src0_sel:BYTE_0 src1_sel:DWORD
	s_mov_b64 s[4:5], 0
                                        ; implicit-def: $sgpr10
	s_and_saveexec_b64 s[8:9], s[6:7]
	s_xor_b64 s[6:7], exec, s[8:9]
	s_cbranch_execnz .LBB48_3469
; %bb.1421:
	s_or_saveexec_b64 s[6:7], s[6:7]
	v_mov_b32_e32 v12, s10
	s_xor_b64 exec, exec, s[6:7]
	s_cbranch_execnz .LBB48_3472
.LBB48_1422:
	s_or_b64 exec, exec, s[6:7]
	s_and_saveexec_b64 s[6:7], s[4:5]
	s_cbranch_execz .LBB48_1424
.LBB48_1423:
	v_bfe_u32 v12, v2, 8, 3
	v_ffbh_u32_e32 v14, v12
	v_min_u32_e32 v14, 32, v14
	v_lshrrev_b16_e32 v13, 3, v11
	v_subrev_u32_e32 v15, 28, v14
	v_and_b32_e32 v13, 15, v13
	v_lshlrev_b32_e32 v11, v15, v11
	v_sub_u32_e32 v14, 29, v14
	v_and_b32_e32 v11, 7, v11
	v_cmp_eq_u16_e32 vcc, 0, v13
	v_cndmask_b32_e32 v11, v12, v11, vcc
	v_cndmask_b32_e32 v12, v13, v14, vcc
	v_lshlrev_b32_e32 v13, 16, v2
	v_mov_b32_e32 v14, 0x3b800000
	v_lshlrev_b32_e32 v11, 20, v11
	v_and_b32_e32 v13, 0x80000000, v13
	v_lshl_add_u32 v12, v12, 23, v14
	v_or3_b32 v12, v13, v12, v11
.LBB48_1424:
	s_or_b64 exec, exec, s[6:7]
	s_nop 0
	v_mfma_f32_16x16x4f32 a[0:3], v10, v12, a[0:3]
	s_movk_i32 s4, 0xff
	v_and_b32_sdwa v11, v6, s4 dst_sel:DWORD dst_unused:UNUSED_PAD src0_sel:WORD_1 src1_sel:DWORD
	s_movk_i32 s4, 0x7f
	v_cmp_lt_i16_e32 vcc, s4, v11
	s_mov_b64 s[4:5], 0
                                        ; implicit-def: $sgpr10
	s_and_saveexec_b64 s[6:7], vcc
	s_xor_b64 s[6:7], exec, s[6:7]
	s_cbranch_execnz .LBB48_3473
; %bb.1425:
	s_or_saveexec_b64 s[6:7], s[6:7]
	v_mov_b32_e32 v10, s10
	s_xor_b64 exec, exec, s[6:7]
	s_cbranch_execnz .LBB48_3476
.LBB48_1426:
	s_or_b64 exec, exec, s[6:7]
	s_and_saveexec_b64 s[6:7], s[4:5]
	s_cbranch_execz .LBB48_1428
.LBB48_1427:
	v_bfe_u32 v10, v6, 16, 3
	v_ffbh_u32_e32 v13, v10
	v_min_u32_e32 v13, 32, v13
	v_lshrrev_b32_e32 v11, 19, v6
	v_subrev_u32_e32 v14, 28, v13
	v_and_b32_e32 v11, 15, v11
	v_lshlrev_b32_sdwa v14, v14, v6 dst_sel:DWORD dst_unused:UNUSED_PAD src0_sel:DWORD src1_sel:WORD_1
	v_bfe_u32 v12, v6, 19, 4
	v_sub_u32_e32 v13, 29, v13
	v_and_b32_e32 v14, 7, v14
	v_cmp_eq_u16_e32 vcc, 0, v11
	v_cndmask_b32_e32 v10, v10, v14, vcc
	v_cndmask_b32_e32 v11, v12, v13, vcc
	v_lshlrev_b32_e32 v12, 8, v6
	v_mov_b32_e32 v13, 0x3b800000
	v_lshlrev_b32_e32 v10, 20, v10
	v_and_b32_e32 v12, 0x80000000, v12
	v_lshl_add_u32 v11, v11, 23, v13
	v_or3_b32 v10, v12, v11, v10
.LBB48_1428:
	s_or_b64 exec, exec, s[6:7]
	s_movk_i32 s4, 0xff
	v_and_b32_sdwa v11, v2, s4 dst_sel:DWORD dst_unused:UNUSED_PAD src0_sel:WORD_1 src1_sel:DWORD
	s_movk_i32 s4, 0x7f
	v_cmp_lt_i16_e32 vcc, s4, v11
	s_mov_b64 s[4:5], 0
                                        ; implicit-def: $sgpr10
	s_and_saveexec_b64 s[6:7], vcc
	s_xor_b64 s[6:7], exec, s[6:7]
	s_cbranch_execnz .LBB48_3477
; %bb.1429:
	s_or_saveexec_b64 s[6:7], s[6:7]
	v_mov_b32_e32 v12, s10
	s_xor_b64 exec, exec, s[6:7]
	s_cbranch_execnz .LBB48_3480
.LBB48_1430:
	s_or_b64 exec, exec, s[6:7]
	s_and_saveexec_b64 s[6:7], s[4:5]
	s_cbranch_execz .LBB48_1432
.LBB48_1431:
	v_bfe_u32 v11, v2, 16, 3
	v_ffbh_u32_e32 v14, v11
	v_min_u32_e32 v14, 32, v14
	v_lshrrev_b32_e32 v12, 19, v2
	v_subrev_u32_e32 v15, 28, v14
	v_and_b32_e32 v12, 15, v12
	v_lshlrev_b32_sdwa v15, v15, v2 dst_sel:DWORD dst_unused:UNUSED_PAD src0_sel:DWORD src1_sel:WORD_1
	v_bfe_u32 v13, v2, 19, 4
	v_sub_u32_e32 v14, 29, v14
	v_and_b32_e32 v15, 7, v15
	v_cmp_eq_u16_e32 vcc, 0, v12
	v_cndmask_b32_e32 v11, v11, v15, vcc
	v_cndmask_b32_e32 v12, v13, v14, vcc
	v_lshlrev_b32_e32 v13, 8, v2
	v_mov_b32_e32 v14, 0x3b800000
	v_lshlrev_b32_e32 v11, 20, v11
	v_and_b32_e32 v13, 0x80000000, v13
	v_lshl_add_u32 v12, v12, 23, v14
	v_or3_b32 v12, v13, v12, v11
.LBB48_1432:
	s_or_b64 exec, exec, s[6:7]
	s_nop 0
	v_mfma_f32_16x16x4f32 a[0:3], v10, v12, a[0:3]
	s_movk_i32 s4, 0x7f
	v_cmp_gt_i16_sdwa s[6:7], v6, s4 src0_sel:BYTE_3 src1_sel:DWORD
	s_mov_b64 s[4:5], 0
                                        ; implicit-def: $sgpr10
	s_and_saveexec_b64 s[8:9], s[6:7]
	s_xor_b64 s[6:7], exec, s[8:9]
	s_cbranch_execnz .LBB48_3481
; %bb.1433:
	s_or_saveexec_b64 s[6:7], s[6:7]
	v_mov_b32_e32 v10, s10
	s_xor_b64 exec, exec, s[6:7]
	s_cbranch_execnz .LBB48_3484
.LBB48_1434:
	s_or_b64 exec, exec, s[6:7]
	s_and_saveexec_b64 s[6:7], s[4:5]
	s_cbranch_execz .LBB48_1436
.LBB48_1435:
	v_bfe_u32 v10, v6, 24, 3
	v_ffbh_u32_e32 v14, v10
	v_min_u32_e32 v14, 32, v14
	v_lshrrev_b32_e32 v12, 27, v6
	v_subrev_u32_e32 v15, 28, v14
	v_and_b32_e32 v11, 0x80000000, v6
	v_and_b32_e32 v12, 15, v12
	v_bfe_u32 v13, v6, 27, 4
	v_lshlrev_b32_sdwa v6, v15, v6 dst_sel:DWORD dst_unused:UNUSED_PAD src0_sel:DWORD src1_sel:BYTE_3
	v_sub_u32_e32 v14, 29, v14
	v_and_b32_e32 v6, 7, v6
	v_cmp_eq_u16_e32 vcc, 0, v12
	v_cndmask_b32_e32 v6, v10, v6, vcc
	v_cndmask_b32_e32 v10, v13, v14, vcc
	v_mov_b32_e32 v12, 0x3b800000
	v_lshlrev_b32_e32 v6, 20, v6
	v_lshl_add_u32 v10, v10, 23, v12
	v_or3_b32 v10, v11, v10, v6
.LBB48_1436:
	s_or_b64 exec, exec, s[6:7]
	s_movk_i32 s4, 0x7f
	v_cmp_gt_i16_sdwa s[6:7], v2, s4 src0_sel:BYTE_3 src1_sel:DWORD
	s_mov_b64 s[4:5], 0
                                        ; implicit-def: $sgpr10
	s_and_saveexec_b64 s[8:9], s[6:7]
	s_xor_b64 s[6:7], exec, s[8:9]
	s_cbranch_execnz .LBB48_3485
; %bb.1437:
	s_or_saveexec_b64 s[6:7], s[6:7]
	v_mov_b32_e32 v6, s10
	s_xor_b64 exec, exec, s[6:7]
	s_cbranch_execnz .LBB48_3488
.LBB48_1438:
	s_or_b64 exec, exec, s[6:7]
	s_and_saveexec_b64 s[6:7], s[4:5]
	s_cbranch_execz .LBB48_1440
.LBB48_1439:
	v_bfe_u32 v6, v2, 24, 3
	v_ffbh_u32_e32 v14, v6
	v_min_u32_e32 v14, 32, v14
	v_lshrrev_b32_e32 v12, 27, v2
	v_subrev_u32_e32 v15, 28, v14
	v_and_b32_e32 v11, 0x80000000, v2
	v_and_b32_e32 v12, 15, v12
	v_bfe_u32 v13, v2, 27, 4
	v_lshlrev_b32_sdwa v2, v15, v2 dst_sel:DWORD dst_unused:UNUSED_PAD src0_sel:DWORD src1_sel:BYTE_3
	v_sub_u32_e32 v14, 29, v14
	v_and_b32_e32 v2, 7, v2
	v_cmp_eq_u16_e32 vcc, 0, v12
	v_cndmask_b32_e32 v2, v6, v2, vcc
	v_cndmask_b32_e32 v6, v13, v14, vcc
	v_mov_b32_e32 v12, 0x3b800000
	v_lshlrev_b32_e32 v2, 20, v2
	v_lshl_add_u32 v6, v6, 23, v12
	v_or3_b32 v6, v11, v6, v2
.LBB48_1440:
	s_or_b64 exec, exec, s[6:7]
	s_nop 0
	v_mfma_f32_16x16x4f32 a[0:3], v10, v6, a[0:3]
	s_movk_i32 s4, 0x7f
	v_cmp_gt_i16_sdwa s[6:7], v7, s4 src0_sel:BYTE_0 src1_sel:DWORD
	s_mov_b64 s[4:5], 0
                                        ; implicit-def: $sgpr10
	s_and_saveexec_b64 s[8:9], s[6:7]
	s_xor_b64 s[6:7], exec, s[8:9]
	s_cbranch_execnz .LBB48_3489
; %bb.1441:
	s_or_saveexec_b64 s[6:7], s[6:7]
	v_mov_b32_e32 v2, s10
	s_xor_b64 exec, exec, s[6:7]
	s_cbranch_execnz .LBB48_3492
.LBB48_1442:
	s_or_b64 exec, exec, s[6:7]
	s_and_saveexec_b64 s[6:7], s[4:5]
	s_cbranch_execz .LBB48_1444
.LBB48_1443:
	v_and_b32_e32 v2, 7, v7
	v_ffbh_u32_e32 v10, v2
	v_min_u32_e32 v10, 32, v10
	v_lshrrev_b16_e32 v6, 3, v7
	v_subrev_u32_e32 v11, 28, v10
	v_and_b32_e32 v6, 15, v6
	v_lshlrev_b32_e32 v11, v11, v7
	v_sub_u32_e32 v10, 29, v10
	v_and_b32_e32 v11, 7, v11
	v_cmp_eq_u16_e32 vcc, 0, v6
	v_cndmask_b32_e32 v2, v2, v11, vcc
	v_cndmask_b32_e32 v6, v6, v10, vcc
	v_lshlrev_b32_e32 v10, 24, v7
	v_mov_b32_e32 v11, 0x3b800000
	v_lshlrev_b32_e32 v2, 20, v2
	v_and_b32_e32 v10, 0x80000000, v10
	v_lshl_add_u32 v6, v6, 23, v11
	v_or3_b32 v2, v10, v6, v2
.LBB48_1444:
	s_or_b64 exec, exec, s[6:7]
	s_movk_i32 s4, 0x7f
	v_cmp_gt_i16_sdwa s[6:7], v3, s4 src0_sel:BYTE_0 src1_sel:DWORD
	s_mov_b64 s[4:5], 0
                                        ; implicit-def: $sgpr10
	s_and_saveexec_b64 s[8:9], s[6:7]
	s_xor_b64 s[6:7], exec, s[8:9]
	s_cbranch_execnz .LBB48_3493
; %bb.1445:
	s_or_saveexec_b64 s[6:7], s[6:7]
	v_mov_b32_e32 v6, s10
	s_xor_b64 exec, exec, s[6:7]
	s_cbranch_execnz .LBB48_3496
.LBB48_1446:
	s_or_b64 exec, exec, s[6:7]
	s_and_saveexec_b64 s[6:7], s[4:5]
	s_cbranch_execz .LBB48_1448
.LBB48_1447:
	v_and_b32_e32 v6, 7, v3
	v_ffbh_u32_e32 v11, v6
	v_min_u32_e32 v11, 32, v11
	v_lshrrev_b16_e32 v10, 3, v3
	v_subrev_u32_e32 v12, 28, v11
	v_and_b32_e32 v10, 15, v10
	v_lshlrev_b32_e32 v12, v12, v3
	v_sub_u32_e32 v11, 29, v11
	v_and_b32_e32 v12, 7, v12
	v_cmp_eq_u16_e32 vcc, 0, v10
	v_cndmask_b32_e32 v6, v6, v12, vcc
	v_cndmask_b32_e32 v10, v10, v11, vcc
	v_lshlrev_b32_e32 v11, 24, v3
	v_mov_b32_e32 v12, 0x3b800000
	v_lshlrev_b32_e32 v6, 20, v6
	v_and_b32_e32 v11, 0x80000000, v11
	v_lshl_add_u32 v10, v10, 23, v12
	v_or3_b32 v6, v11, v10, v6
.LBB48_1448:
	s_or_b64 exec, exec, s[6:7]
	s_nop 0
	v_mfma_f32_16x16x4f32 a[0:3], v2, v6, a[0:3]
	v_lshrrev_b32_e32 v6, 8, v7
	s_movk_i32 s4, 0x7f
	v_cmp_gt_i16_sdwa s[6:7], v6, s4 src0_sel:BYTE_0 src1_sel:DWORD
	s_mov_b64 s[4:5], 0
                                        ; implicit-def: $sgpr10
	s_and_saveexec_b64 s[8:9], s[6:7]
	s_xor_b64 s[6:7], exec, s[8:9]
	s_cbranch_execnz .LBB48_3497
; %bb.1449:
	s_or_saveexec_b64 s[6:7], s[6:7]
	v_mov_b32_e32 v2, s10
	s_xor_b64 exec, exec, s[6:7]
	s_cbranch_execnz .LBB48_3500
.LBB48_1450:
	s_or_b64 exec, exec, s[6:7]
	s_and_saveexec_b64 s[6:7], s[4:5]
	s_cbranch_execz .LBB48_1452
.LBB48_1451:
	v_bfe_u32 v2, v7, 8, 3
	v_ffbh_u32_e32 v11, v2
	v_min_u32_e32 v11, 32, v11
	v_lshrrev_b16_e32 v10, 3, v6
	v_subrev_u32_e32 v12, 28, v11
	v_and_b32_e32 v10, 15, v10
	v_lshlrev_b32_e32 v6, v12, v6
	v_sub_u32_e32 v11, 29, v11
	v_and_b32_e32 v6, 7, v6
	v_cmp_eq_u16_e32 vcc, 0, v10
	v_cndmask_b32_e32 v2, v2, v6, vcc
	v_cndmask_b32_e32 v6, v10, v11, vcc
	v_lshlrev_b32_e32 v10, 16, v7
	v_mov_b32_e32 v11, 0x3b800000
	v_lshlrev_b32_e32 v2, 20, v2
	v_and_b32_e32 v10, 0x80000000, v10
	v_lshl_add_u32 v6, v6, 23, v11
	v_or3_b32 v2, v10, v6, v2
.LBB48_1452:
	s_or_b64 exec, exec, s[6:7]
	v_lshrrev_b32_e32 v6, 8, v3
	s_movk_i32 s4, 0x7f
	v_cmp_gt_i16_sdwa s[6:7], v6, s4 src0_sel:BYTE_0 src1_sel:DWORD
	s_mov_b64 s[4:5], 0
                                        ; implicit-def: $sgpr10
	s_and_saveexec_b64 s[8:9], s[6:7]
	s_xor_b64 s[6:7], exec, s[8:9]
	s_cbranch_execnz .LBB48_3501
; %bb.1453:
	s_or_saveexec_b64 s[6:7], s[6:7]
	v_mov_b32_e32 v10, s10
	s_xor_b64 exec, exec, s[6:7]
	s_cbranch_execnz .LBB48_3504
.LBB48_1454:
	s_or_b64 exec, exec, s[6:7]
	s_and_saveexec_b64 s[6:7], s[4:5]
	s_cbranch_execz .LBB48_1456
.LBB48_1455:
	v_bfe_u32 v10, v3, 8, 3
	v_ffbh_u32_e32 v12, v10
	v_min_u32_e32 v12, 32, v12
	v_lshrrev_b16_e32 v11, 3, v6
	v_subrev_u32_e32 v13, 28, v12
	v_and_b32_e32 v11, 15, v11
	v_lshlrev_b32_e32 v6, v13, v6
	v_sub_u32_e32 v12, 29, v12
	v_and_b32_e32 v6, 7, v6
	v_cmp_eq_u16_e32 vcc, 0, v11
	v_cndmask_b32_e32 v6, v10, v6, vcc
	v_cndmask_b32_e32 v10, v11, v12, vcc
	v_lshlrev_b32_e32 v11, 16, v3
	v_mov_b32_e32 v12, 0x3b800000
	v_lshlrev_b32_e32 v6, 20, v6
	v_and_b32_e32 v11, 0x80000000, v11
	v_lshl_add_u32 v10, v10, 23, v12
	v_or3_b32 v10, v11, v10, v6
.LBB48_1456:
	s_or_b64 exec, exec, s[6:7]
	s_nop 0
	v_mfma_f32_16x16x4f32 a[0:3], v2, v10, a[0:3]
	s_movk_i32 s4, 0xff
	v_and_b32_sdwa v6, v7, s4 dst_sel:DWORD dst_unused:UNUSED_PAD src0_sel:WORD_1 src1_sel:DWORD
	s_movk_i32 s4, 0x7f
	v_cmp_lt_i16_e32 vcc, s4, v6
	s_mov_b64 s[4:5], 0
                                        ; implicit-def: $sgpr10
	s_and_saveexec_b64 s[6:7], vcc
	s_xor_b64 s[6:7], exec, s[6:7]
	s_cbranch_execnz .LBB48_3505
; %bb.1457:
	s_or_saveexec_b64 s[6:7], s[6:7]
	v_mov_b32_e32 v2, s10
	s_xor_b64 exec, exec, s[6:7]
	s_cbranch_execnz .LBB48_3508
.LBB48_1458:
	s_or_b64 exec, exec, s[6:7]
	s_and_saveexec_b64 s[6:7], s[4:5]
	s_cbranch_execz .LBB48_1460
.LBB48_1459:
	v_bfe_u32 v2, v7, 16, 3
	v_ffbh_u32_e32 v11, v2
	v_min_u32_e32 v11, 32, v11
	v_lshrrev_b32_e32 v6, 19, v7
	v_subrev_u32_e32 v12, 28, v11
	v_and_b32_e32 v6, 15, v6
	v_lshlrev_b32_sdwa v12, v12, v7 dst_sel:DWORD dst_unused:UNUSED_PAD src0_sel:DWORD src1_sel:WORD_1
	v_bfe_u32 v10, v7, 19, 4
	v_sub_u32_e32 v11, 29, v11
	v_and_b32_e32 v12, 7, v12
	v_cmp_eq_u16_e32 vcc, 0, v6
	v_cndmask_b32_e32 v2, v2, v12, vcc
	v_cndmask_b32_e32 v6, v10, v11, vcc
	v_lshlrev_b32_e32 v10, 8, v7
	v_mov_b32_e32 v11, 0x3b800000
	v_lshlrev_b32_e32 v2, 20, v2
	v_and_b32_e32 v10, 0x80000000, v10
	v_lshl_add_u32 v6, v6, 23, v11
	v_or3_b32 v2, v10, v6, v2
.LBB48_1460:
	s_or_b64 exec, exec, s[6:7]
	s_movk_i32 s4, 0xff
	v_and_b32_sdwa v6, v3, s4 dst_sel:DWORD dst_unused:UNUSED_PAD src0_sel:WORD_1 src1_sel:DWORD
	s_movk_i32 s4, 0x7f
	v_cmp_lt_i16_e32 vcc, s4, v6
	s_mov_b64 s[4:5], 0
                                        ; implicit-def: $sgpr10
	s_and_saveexec_b64 s[6:7], vcc
	s_xor_b64 s[6:7], exec, s[6:7]
	s_cbranch_execnz .LBB48_3509
; %bb.1461:
	s_or_saveexec_b64 s[6:7], s[6:7]
	v_mov_b32_e32 v10, s10
	s_xor_b64 exec, exec, s[6:7]
	s_cbranch_execnz .LBB48_3512
.LBB48_1462:
	s_or_b64 exec, exec, s[6:7]
	s_and_saveexec_b64 s[6:7], s[4:5]
	s_cbranch_execz .LBB48_1464
.LBB48_1463:
	v_bfe_u32 v6, v3, 16, 3
	v_ffbh_u32_e32 v12, v6
	v_min_u32_e32 v12, 32, v12
	v_lshrrev_b32_e32 v10, 19, v3
	v_subrev_u32_e32 v13, 28, v12
	v_and_b32_e32 v10, 15, v10
	v_lshlrev_b32_sdwa v13, v13, v3 dst_sel:DWORD dst_unused:UNUSED_PAD src0_sel:DWORD src1_sel:WORD_1
	v_bfe_u32 v11, v3, 19, 4
	v_sub_u32_e32 v12, 29, v12
	v_and_b32_e32 v13, 7, v13
	v_cmp_eq_u16_e32 vcc, 0, v10
	v_cndmask_b32_e32 v6, v6, v13, vcc
	v_cndmask_b32_e32 v10, v11, v12, vcc
	v_lshlrev_b32_e32 v11, 8, v3
	v_mov_b32_e32 v12, 0x3b800000
	v_lshlrev_b32_e32 v6, 20, v6
	v_and_b32_e32 v11, 0x80000000, v11
	v_lshl_add_u32 v10, v10, 23, v12
	v_or3_b32 v10, v11, v10, v6
.LBB48_1464:
	s_or_b64 exec, exec, s[6:7]
	s_nop 0
	v_mfma_f32_16x16x4f32 a[0:3], v2, v10, a[0:3]
	s_movk_i32 s4, 0x7f
	v_cmp_gt_i16_sdwa s[6:7], v7, s4 src0_sel:BYTE_3 src1_sel:DWORD
	s_mov_b64 s[4:5], 0
                                        ; implicit-def: $sgpr10
	s_and_saveexec_b64 s[8:9], s[6:7]
	s_xor_b64 s[6:7], exec, s[8:9]
	s_cbranch_execnz .LBB48_3513
; %bb.1465:
	s_or_saveexec_b64 s[6:7], s[6:7]
	v_mov_b32_e32 v2, s10
	s_xor_b64 exec, exec, s[6:7]
	s_cbranch_execnz .LBB48_3516
.LBB48_1466:
	s_or_b64 exec, exec, s[6:7]
	s_and_saveexec_b64 s[6:7], s[4:5]
	s_cbranch_execz .LBB48_1468
.LBB48_1467:
	v_bfe_u32 v2, v7, 24, 3
	v_ffbh_u32_e32 v12, v2
	v_min_u32_e32 v12, 32, v12
	v_lshrrev_b32_e32 v10, 27, v7
	v_subrev_u32_e32 v13, 28, v12
	v_and_b32_e32 v6, 0x80000000, v7
	v_and_b32_e32 v10, 15, v10
	v_bfe_u32 v11, v7, 27, 4
	v_lshlrev_b32_sdwa v7, v13, v7 dst_sel:DWORD dst_unused:UNUSED_PAD src0_sel:DWORD src1_sel:BYTE_3
	v_sub_u32_e32 v12, 29, v12
	v_and_b32_e32 v7, 7, v7
	v_cmp_eq_u16_e32 vcc, 0, v10
	v_cndmask_b32_e32 v2, v2, v7, vcc
	v_cndmask_b32_e32 v7, v11, v12, vcc
	v_mov_b32_e32 v10, 0x3b800000
	v_lshlrev_b32_e32 v2, 20, v2
	v_lshl_add_u32 v7, v7, 23, v10
	v_or3_b32 v2, v6, v7, v2
.LBB48_1468:
	s_or_b64 exec, exec, s[6:7]
	s_movk_i32 s4, 0x7f
	v_cmp_gt_i16_sdwa s[6:7], v3, s4 src0_sel:BYTE_3 src1_sel:DWORD
	s_mov_b64 s[4:5], 0
                                        ; implicit-def: $sgpr10
	s_and_saveexec_b64 s[8:9], s[6:7]
	s_xor_b64 s[6:7], exec, s[8:9]
	s_cbranch_execnz .LBB48_3517
; %bb.1469:
	s_or_saveexec_b64 s[6:7], s[6:7]
	v_mov_b32_e32 v6, s10
	s_xor_b64 exec, exec, s[6:7]
	s_cbranch_execnz .LBB48_3520
.LBB48_1470:
	s_or_b64 exec, exec, s[6:7]
	s_and_saveexec_b64 s[6:7], s[4:5]
	s_cbranch_execz .LBB48_1472
.LBB48_1471:
	v_bfe_u32 v6, v3, 24, 3
	v_ffbh_u32_e32 v12, v6
	v_min_u32_e32 v12, 32, v12
	v_lshrrev_b32_e32 v10, 27, v3
	v_subrev_u32_e32 v13, 28, v12
	v_and_b32_e32 v7, 0x80000000, v3
	v_and_b32_e32 v10, 15, v10
	v_bfe_u32 v11, v3, 27, 4
	v_lshlrev_b32_sdwa v3, v13, v3 dst_sel:DWORD dst_unused:UNUSED_PAD src0_sel:DWORD src1_sel:BYTE_3
	v_sub_u32_e32 v12, 29, v12
	v_and_b32_e32 v3, 7, v3
	v_cmp_eq_u16_e32 vcc, 0, v10
	v_cndmask_b32_e32 v3, v6, v3, vcc
	v_cndmask_b32_e32 v6, v11, v12, vcc
	v_mov_b32_e32 v10, 0x3b800000
	v_lshlrev_b32_e32 v3, 20, v3
	v_lshl_add_u32 v6, v6, 23, v10
	v_or3_b32 v6, v7, v6, v3
.LBB48_1472:
	s_or_b64 exec, exec, s[6:7]
	s_nop 0
	v_mfma_f32_16x16x4f32 a[0:3], v2, v6, a[0:3]
	s_movk_i32 s4, 0x7f
	v_cmp_gt_i16_sdwa s[6:7], v8, s4 src0_sel:BYTE_0 src1_sel:DWORD
	s_mov_b64 s[4:5], 0
                                        ; implicit-def: $sgpr10
	s_and_saveexec_b64 s[8:9], s[6:7]
	s_xor_b64 s[6:7], exec, s[8:9]
	s_cbranch_execnz .LBB48_3521
; %bb.1473:
	s_or_saveexec_b64 s[6:7], s[6:7]
	v_mov_b32_e32 v2, s10
	s_xor_b64 exec, exec, s[6:7]
	s_cbranch_execnz .LBB48_3524
.LBB48_1474:
	s_or_b64 exec, exec, s[6:7]
	s_and_saveexec_b64 s[6:7], s[4:5]
	s_cbranch_execz .LBB48_1476
.LBB48_1475:
	v_and_b32_e32 v2, 7, v8
	v_ffbh_u32_e32 v6, v2
	v_min_u32_e32 v6, 32, v6
	v_lshrrev_b16_e32 v3, 3, v8
	v_subrev_u32_e32 v7, 28, v6
	v_and_b32_e32 v3, 15, v3
	v_lshlrev_b32_e32 v7, v7, v8
	v_sub_u32_e32 v6, 29, v6
	v_and_b32_e32 v7, 7, v7
	v_cmp_eq_u16_e32 vcc, 0, v3
	v_cndmask_b32_e32 v2, v2, v7, vcc
	v_cndmask_b32_e32 v3, v3, v6, vcc
	v_lshlrev_b32_e32 v6, 24, v8
	v_mov_b32_e32 v7, 0x3b800000
	v_lshlrev_b32_e32 v2, 20, v2
	v_and_b32_e32 v6, 0x80000000, v6
	v_lshl_add_u32 v3, v3, 23, v7
	v_or3_b32 v2, v6, v3, v2
.LBB48_1476:
	s_or_b64 exec, exec, s[6:7]
	s_movk_i32 s4, 0x7f
	v_cmp_gt_i16_sdwa s[6:7], v4, s4 src0_sel:BYTE_0 src1_sel:DWORD
	s_mov_b64 s[4:5], 0
                                        ; implicit-def: $sgpr10
	s_and_saveexec_b64 s[8:9], s[6:7]
	s_xor_b64 s[6:7], exec, s[8:9]
	s_cbranch_execnz .LBB48_3525
; %bb.1477:
	s_or_saveexec_b64 s[6:7], s[6:7]
	v_mov_b32_e32 v3, s10
	s_xor_b64 exec, exec, s[6:7]
	s_cbranch_execnz .LBB48_3528
.LBB48_1478:
	s_or_b64 exec, exec, s[6:7]
	s_and_saveexec_b64 s[6:7], s[4:5]
	s_cbranch_execz .LBB48_1480
.LBB48_1479:
	v_and_b32_e32 v3, 7, v4
	v_ffbh_u32_e32 v7, v3
	v_min_u32_e32 v7, 32, v7
	v_lshrrev_b16_e32 v6, 3, v4
	v_subrev_u32_e32 v10, 28, v7
	v_and_b32_e32 v6, 15, v6
	v_lshlrev_b32_e32 v10, v10, v4
	v_sub_u32_e32 v7, 29, v7
	v_and_b32_e32 v10, 7, v10
	v_cmp_eq_u16_e32 vcc, 0, v6
	v_cndmask_b32_e32 v3, v3, v10, vcc
	v_cndmask_b32_e32 v6, v6, v7, vcc
	v_lshlrev_b32_e32 v7, 24, v4
	v_mov_b32_e32 v10, 0x3b800000
	v_lshlrev_b32_e32 v3, 20, v3
	v_and_b32_e32 v7, 0x80000000, v7
	v_lshl_add_u32 v6, v6, 23, v10
	v_or3_b32 v3, v7, v6, v3
.LBB48_1480:
	s_or_b64 exec, exec, s[6:7]
	s_nop 0
	v_mfma_f32_16x16x4f32 a[0:3], v2, v3, a[0:3]
	v_lshrrev_b32_e32 v3, 8, v8
	s_movk_i32 s4, 0x7f
	v_cmp_gt_i16_sdwa s[6:7], v3, s4 src0_sel:BYTE_0 src1_sel:DWORD
	s_mov_b64 s[4:5], 0
                                        ; implicit-def: $sgpr10
	s_and_saveexec_b64 s[8:9], s[6:7]
	s_xor_b64 s[6:7], exec, s[8:9]
	s_cbranch_execnz .LBB48_3529
; %bb.1481:
	s_or_saveexec_b64 s[6:7], s[6:7]
	v_mov_b32_e32 v2, s10
	s_xor_b64 exec, exec, s[6:7]
	s_cbranch_execnz .LBB48_3532
.LBB48_1482:
	s_or_b64 exec, exec, s[6:7]
	s_and_saveexec_b64 s[6:7], s[4:5]
	s_cbranch_execz .LBB48_1484
.LBB48_1483:
	v_bfe_u32 v2, v8, 8, 3
	v_ffbh_u32_e32 v7, v2
	v_min_u32_e32 v7, 32, v7
	v_lshrrev_b16_e32 v6, 3, v3
	v_subrev_u32_e32 v10, 28, v7
	v_and_b32_e32 v6, 15, v6
	v_lshlrev_b32_e32 v3, v10, v3
	v_sub_u32_e32 v7, 29, v7
	v_and_b32_e32 v3, 7, v3
	v_cmp_eq_u16_e32 vcc, 0, v6
	v_cndmask_b32_e32 v2, v2, v3, vcc
	v_cndmask_b32_e32 v3, v6, v7, vcc
	v_lshlrev_b32_e32 v6, 16, v8
	v_mov_b32_e32 v7, 0x3b800000
	v_lshlrev_b32_e32 v2, 20, v2
	v_and_b32_e32 v6, 0x80000000, v6
	v_lshl_add_u32 v3, v3, 23, v7
	v_or3_b32 v2, v6, v3, v2
.LBB48_1484:
	s_or_b64 exec, exec, s[6:7]
	v_lshrrev_b32_e32 v3, 8, v4
	s_movk_i32 s4, 0x7f
	v_cmp_gt_i16_sdwa s[6:7], v3, s4 src0_sel:BYTE_0 src1_sel:DWORD
	s_mov_b64 s[4:5], 0
                                        ; implicit-def: $sgpr10
	s_and_saveexec_b64 s[8:9], s[6:7]
	s_xor_b64 s[6:7], exec, s[8:9]
	s_cbranch_execnz .LBB48_3533
; %bb.1485:
	s_or_saveexec_b64 s[6:7], s[6:7]
	v_mov_b32_e32 v6, s10
	s_xor_b64 exec, exec, s[6:7]
	s_cbranch_execnz .LBB48_3536
.LBB48_1486:
	s_or_b64 exec, exec, s[6:7]
	s_and_saveexec_b64 s[6:7], s[4:5]
	s_cbranch_execz .LBB48_1488
.LBB48_1487:
	v_bfe_u32 v6, v4, 8, 3
	v_ffbh_u32_e32 v10, v6
	v_min_u32_e32 v10, 32, v10
	v_lshrrev_b16_e32 v7, 3, v3
	v_subrev_u32_e32 v11, 28, v10
	v_and_b32_e32 v7, 15, v7
	v_lshlrev_b32_e32 v3, v11, v3
	v_sub_u32_e32 v10, 29, v10
	v_and_b32_e32 v3, 7, v3
	v_cmp_eq_u16_e32 vcc, 0, v7
	v_cndmask_b32_e32 v3, v6, v3, vcc
	v_cndmask_b32_e32 v6, v7, v10, vcc
	v_lshlrev_b32_e32 v7, 16, v4
	v_mov_b32_e32 v10, 0x3b800000
	v_lshlrev_b32_e32 v3, 20, v3
	v_and_b32_e32 v7, 0x80000000, v7
	v_lshl_add_u32 v6, v6, 23, v10
	v_or3_b32 v6, v7, v6, v3
.LBB48_1488:
	s_or_b64 exec, exec, s[6:7]
	s_nop 0
	v_mfma_f32_16x16x4f32 a[0:3], v2, v6, a[0:3]
	s_movk_i32 s4, 0xff
	v_and_b32_sdwa v3, v8, s4 dst_sel:DWORD dst_unused:UNUSED_PAD src0_sel:WORD_1 src1_sel:DWORD
	s_movk_i32 s4, 0x7f
	v_cmp_lt_i16_e32 vcc, s4, v3
	s_mov_b64 s[4:5], 0
                                        ; implicit-def: $sgpr10
	s_and_saveexec_b64 s[6:7], vcc
	s_xor_b64 s[6:7], exec, s[6:7]
	s_cbranch_execnz .LBB48_3537
; %bb.1489:
	s_or_saveexec_b64 s[6:7], s[6:7]
	v_mov_b32_e32 v2, s10
	s_xor_b64 exec, exec, s[6:7]
	s_cbranch_execnz .LBB48_3540
.LBB48_1490:
	s_or_b64 exec, exec, s[6:7]
	s_and_saveexec_b64 s[6:7], s[4:5]
	s_cbranch_execz .LBB48_1492
.LBB48_1491:
	v_bfe_u32 v2, v8, 16, 3
	v_ffbh_u32_e32 v7, v2
	v_min_u32_e32 v7, 32, v7
	v_lshrrev_b32_e32 v3, 19, v8
	v_subrev_u32_e32 v10, 28, v7
	v_and_b32_e32 v3, 15, v3
	v_lshlrev_b32_sdwa v10, v10, v8 dst_sel:DWORD dst_unused:UNUSED_PAD src0_sel:DWORD src1_sel:WORD_1
	v_bfe_u32 v6, v8, 19, 4
	v_sub_u32_e32 v7, 29, v7
	v_and_b32_e32 v10, 7, v10
	v_cmp_eq_u16_e32 vcc, 0, v3
	v_cndmask_b32_e32 v2, v2, v10, vcc
	v_cndmask_b32_e32 v3, v6, v7, vcc
	v_lshlrev_b32_e32 v6, 8, v8
	v_mov_b32_e32 v7, 0x3b800000
	v_lshlrev_b32_e32 v2, 20, v2
	v_and_b32_e32 v6, 0x80000000, v6
	v_lshl_add_u32 v3, v3, 23, v7
	v_or3_b32 v2, v6, v3, v2
.LBB48_1492:
	s_or_b64 exec, exec, s[6:7]
	s_movk_i32 s4, 0xff
	v_and_b32_sdwa v3, v4, s4 dst_sel:DWORD dst_unused:UNUSED_PAD src0_sel:WORD_1 src1_sel:DWORD
	s_movk_i32 s4, 0x7f
	v_cmp_lt_i16_e32 vcc, s4, v3
	s_mov_b64 s[4:5], 0
                                        ; implicit-def: $sgpr10
	s_and_saveexec_b64 s[6:7], vcc
	s_xor_b64 s[6:7], exec, s[6:7]
	s_cbranch_execnz .LBB48_3541
; %bb.1493:
	s_or_saveexec_b64 s[6:7], s[6:7]
	v_mov_b32_e32 v6, s10
	s_xor_b64 exec, exec, s[6:7]
	s_cbranch_execnz .LBB48_3544
.LBB48_1494:
	s_or_b64 exec, exec, s[6:7]
	s_and_saveexec_b64 s[6:7], s[4:5]
	s_cbranch_execz .LBB48_1496
.LBB48_1495:
	v_bfe_u32 v3, v4, 16, 3
	v_ffbh_u32_e32 v10, v3
	v_min_u32_e32 v10, 32, v10
	v_lshrrev_b32_e32 v6, 19, v4
	v_subrev_u32_e32 v11, 28, v10
	v_and_b32_e32 v6, 15, v6
	v_lshlrev_b32_sdwa v11, v11, v4 dst_sel:DWORD dst_unused:UNUSED_PAD src0_sel:DWORD src1_sel:WORD_1
	v_bfe_u32 v7, v4, 19, 4
	v_sub_u32_e32 v10, 29, v10
	v_and_b32_e32 v11, 7, v11
	v_cmp_eq_u16_e32 vcc, 0, v6
	v_cndmask_b32_e32 v3, v3, v11, vcc
	v_cndmask_b32_e32 v6, v7, v10, vcc
	v_lshlrev_b32_e32 v7, 8, v4
	v_mov_b32_e32 v10, 0x3b800000
	v_lshlrev_b32_e32 v3, 20, v3
	v_and_b32_e32 v7, 0x80000000, v7
	v_lshl_add_u32 v6, v6, 23, v10
	v_or3_b32 v6, v7, v6, v3
.LBB48_1496:
	s_or_b64 exec, exec, s[6:7]
	s_nop 0
	v_mfma_f32_16x16x4f32 a[0:3], v2, v6, a[0:3]
	s_movk_i32 s4, 0x7f
	v_cmp_gt_i16_sdwa s[6:7], v8, s4 src0_sel:BYTE_3 src1_sel:DWORD
	s_mov_b64 s[4:5], 0
                                        ; implicit-def: $sgpr10
	s_and_saveexec_b64 s[8:9], s[6:7]
	s_xor_b64 s[6:7], exec, s[8:9]
	s_cbranch_execnz .LBB48_3545
; %bb.1497:
	s_or_saveexec_b64 s[6:7], s[6:7]
	v_mov_b32_e32 v2, s10
	s_xor_b64 exec, exec, s[6:7]
	s_cbranch_execnz .LBB48_3548
.LBB48_1498:
	s_or_b64 exec, exec, s[6:7]
	s_and_saveexec_b64 s[6:7], s[4:5]
	s_cbranch_execz .LBB48_1500
.LBB48_1499:
	v_bfe_u32 v2, v8, 24, 3
	v_ffbh_u32_e32 v10, v2
	v_min_u32_e32 v10, 32, v10
	v_lshrrev_b32_e32 v6, 27, v8
	v_subrev_u32_e32 v11, 28, v10
	v_and_b32_e32 v3, 0x80000000, v8
	v_and_b32_e32 v6, 15, v6
	v_bfe_u32 v7, v8, 27, 4
	v_lshlrev_b32_sdwa v8, v11, v8 dst_sel:DWORD dst_unused:UNUSED_PAD src0_sel:DWORD src1_sel:BYTE_3
	v_sub_u32_e32 v10, 29, v10
	v_and_b32_e32 v8, 7, v8
	v_cmp_eq_u16_e32 vcc, 0, v6
	v_cndmask_b32_e32 v2, v2, v8, vcc
	v_cndmask_b32_e32 v6, v7, v10, vcc
	v_mov_b32_e32 v7, 0x3b800000
	v_lshlrev_b32_e32 v2, 20, v2
	v_lshl_add_u32 v6, v6, 23, v7
	v_or3_b32 v2, v3, v6, v2
.LBB48_1500:
	s_or_b64 exec, exec, s[6:7]
	s_movk_i32 s4, 0x7f
	v_cmp_gt_i16_sdwa s[6:7], v4, s4 src0_sel:BYTE_3 src1_sel:DWORD
	s_mov_b64 s[4:5], 0
                                        ; implicit-def: $sgpr10
	s_and_saveexec_b64 s[8:9], s[6:7]
	s_xor_b64 s[6:7], exec, s[8:9]
	s_cbranch_execnz .LBB48_3549
; %bb.1501:
	s_or_saveexec_b64 s[6:7], s[6:7]
	v_mov_b32_e32 v3, s10
	s_xor_b64 exec, exec, s[6:7]
	s_cbranch_execnz .LBB48_3552
.LBB48_1502:
	s_or_b64 exec, exec, s[6:7]
	s_and_saveexec_b64 s[6:7], s[4:5]
	s_cbranch_execz .LBB48_1504
.LBB48_1503:
	v_bfe_u32 v3, v4, 24, 3
	v_ffbh_u32_e32 v10, v3
	v_min_u32_e32 v10, 32, v10
	v_lshrrev_b32_e32 v7, 27, v4
	v_subrev_u32_e32 v11, 28, v10
	v_and_b32_e32 v6, 0x80000000, v4
	v_and_b32_e32 v7, 15, v7
	v_bfe_u32 v8, v4, 27, 4
	v_lshlrev_b32_sdwa v4, v11, v4 dst_sel:DWORD dst_unused:UNUSED_PAD src0_sel:DWORD src1_sel:BYTE_3
	v_sub_u32_e32 v10, 29, v10
	v_and_b32_e32 v4, 7, v4
	v_cmp_eq_u16_e32 vcc, 0, v7
	v_cndmask_b32_e32 v3, v3, v4, vcc
	v_cndmask_b32_e32 v4, v8, v10, vcc
	v_mov_b32_e32 v7, 0x3b800000
	v_lshlrev_b32_e32 v3, 20, v3
	v_lshl_add_u32 v4, v4, 23, v7
	v_or3_b32 v3, v6, v4, v3
.LBB48_1504:
	s_or_b64 exec, exec, s[6:7]
	s_nop 0
	v_mfma_f32_16x16x4f32 a[0:3], v2, v3, a[0:3]
	s_movk_i32 s4, 0x7f
	v_cmp_gt_i16_sdwa s[6:7], v9, s4 src0_sel:BYTE_0 src1_sel:DWORD
	s_mov_b64 s[4:5], 0
                                        ; implicit-def: $sgpr10
	s_and_saveexec_b64 s[8:9], s[6:7]
	s_xor_b64 s[6:7], exec, s[8:9]
	s_cbranch_execnz .LBB48_3553
; %bb.1505:
	s_or_saveexec_b64 s[6:7], s[6:7]
	v_mov_b32_e32 v2, s10
	s_xor_b64 exec, exec, s[6:7]
	s_cbranch_execnz .LBB48_3556
.LBB48_1506:
	s_or_b64 exec, exec, s[6:7]
	s_and_saveexec_b64 s[6:7], s[4:5]
	s_cbranch_execz .LBB48_1508
.LBB48_1507:
	v_mov_b32_e32 v2, 8
	v_and_b32_e32 v3, 7, v9
	v_lshrrev_b32_sdwa v2, v2, v9 dst_sel:BYTE_1 dst_unused:UNUSED_PAD src0_sel:DWORD src1_sel:DWORD
	v_ffbh_u32_e32 v4, v3
	v_or_b32_sdwa v2, v9, v2 dst_sel:DWORD dst_unused:UNUSED_PAD src0_sel:BYTE_0 src1_sel:DWORD
	v_min_u32_e32 v4, 32, v4
	v_lshrrev_b16_e32 v2, 3, v2
	v_subrev_u32_e32 v6, 28, v4
	v_and_b32_e32 v2, 15, v2
	v_lshlrev_b32_e32 v6, v6, v9
	v_sub_u32_e32 v4, 29, v4
	v_and_b32_e32 v6, 7, v6
	v_cmp_eq_u16_e32 vcc, 0, v2
	v_cndmask_b32_e32 v3, v3, v6, vcc
	v_cndmask_b32_e32 v2, v2, v4, vcc
	v_lshlrev_b32_e32 v4, 24, v9
	v_mov_b32_e32 v6, 0x3b800000
	v_lshlrev_b32_e32 v3, 20, v3
	v_and_b32_e32 v4, 0x80000000, v4
	v_lshl_add_u32 v2, v2, 23, v6
	v_or3_b32 v2, v4, v2, v3
.LBB48_1508:
	s_or_b64 exec, exec, s[6:7]
	s_movk_i32 s4, 0x7f
	v_cmp_gt_i16_sdwa s[6:7], v5, s4 src0_sel:BYTE_0 src1_sel:DWORD
	s_mov_b64 s[4:5], 0
                                        ; implicit-def: $sgpr10
	s_and_saveexec_b64 s[8:9], s[6:7]
	s_xor_b64 s[6:7], exec, s[8:9]
	s_cbranch_execnz .LBB48_3557
; %bb.1509:
	s_or_saveexec_b64 s[6:7], s[6:7]
	v_mov_b32_e32 v3, s10
	s_xor_b64 exec, exec, s[6:7]
	s_cbranch_execnz .LBB48_3560
.LBB48_1510:
	s_or_b64 exec, exec, s[6:7]
	s_and_saveexec_b64 s[6:7], s[4:5]
	s_cbranch_execz .LBB48_1512
.LBB48_1511:
	v_mov_b32_e32 v3, 8
	v_and_b32_e32 v4, 7, v5
	v_lshrrev_b32_sdwa v3, v3, v5 dst_sel:BYTE_1 dst_unused:UNUSED_PAD src0_sel:DWORD src1_sel:DWORD
	v_ffbh_u32_e32 v6, v4
	v_or_b32_sdwa v3, v5, v3 dst_sel:DWORD dst_unused:UNUSED_PAD src0_sel:BYTE_0 src1_sel:DWORD
	v_min_u32_e32 v6, 32, v6
	v_lshrrev_b16_e32 v3, 3, v3
	v_subrev_u32_e32 v7, 28, v6
	v_and_b32_e32 v3, 15, v3
	v_lshlrev_b32_e32 v7, v7, v5
	v_sub_u32_e32 v6, 29, v6
	v_and_b32_e32 v7, 7, v7
	v_cmp_eq_u16_e32 vcc, 0, v3
	v_cndmask_b32_e32 v4, v4, v7, vcc
	v_cndmask_b32_e32 v3, v3, v6, vcc
	v_lshlrev_b32_e32 v6, 24, v5
	v_mov_b32_e32 v7, 0x3b800000
	v_lshlrev_b32_e32 v4, 20, v4
	v_and_b32_e32 v6, 0x80000000, v6
	v_lshl_add_u32 v3, v3, 23, v7
	v_or3_b32 v3, v6, v3, v4
.LBB48_1512:
	s_or_b64 exec, exec, s[6:7]
	s_nop 0
	v_mfma_f32_16x16x4f32 a[0:3], v2, v3, a[0:3]
	v_lshrrev_b32_e32 v3, 8, v9
	s_movk_i32 s4, 0x7f
	v_cmp_gt_i16_sdwa s[6:7], v3, s4 src0_sel:BYTE_0 src1_sel:DWORD
	s_mov_b64 s[4:5], 0
                                        ; implicit-def: $sgpr10
	s_and_saveexec_b64 s[8:9], s[6:7]
	s_xor_b64 s[6:7], exec, s[8:9]
	s_cbranch_execnz .LBB48_3561
; %bb.1513:
	s_or_saveexec_b64 s[6:7], s[6:7]
	v_mov_b32_e32 v2, s10
	s_xor_b64 exec, exec, s[6:7]
	s_cbranch_execnz .LBB48_3564
.LBB48_1514:
	s_or_b64 exec, exec, s[6:7]
	s_and_saveexec_b64 s[6:7], s[4:5]
	s_cbranch_execz .LBB48_1516
.LBB48_1515:
	v_bfe_u32 v2, v9, 8, 3
	v_ffbh_u32_e32 v6, v2
	v_min_u32_e32 v6, 32, v6
	v_lshrrev_b16_e32 v4, 3, v3
	v_subrev_u32_e32 v7, 28, v6
	v_and_b32_e32 v4, 15, v4
	v_lshlrev_b32_e32 v3, v7, v3
	v_sub_u32_e32 v6, 29, v6
	v_and_b32_e32 v3, 7, v3
	v_cmp_eq_u16_e32 vcc, 0, v4
	v_cndmask_b32_e32 v2, v2, v3, vcc
	v_cndmask_b32_e32 v3, v4, v6, vcc
	v_lshlrev_b32_e32 v4, 16, v9
	v_mov_b32_e32 v6, 0x3b800000
	v_lshlrev_b32_e32 v2, 20, v2
	v_and_b32_e32 v4, 0x80000000, v4
	v_lshl_add_u32 v3, v3, 23, v6
	v_or3_b32 v2, v4, v3, v2
.LBB48_1516:
	s_or_b64 exec, exec, s[6:7]
	v_lshrrev_b32_e32 v3, 8, v5
	s_movk_i32 s4, 0x7f
	v_cmp_gt_i16_sdwa s[6:7], v3, s4 src0_sel:BYTE_0 src1_sel:DWORD
	s_mov_b64 s[4:5], 0
                                        ; implicit-def: $sgpr10
	s_and_saveexec_b64 s[8:9], s[6:7]
	s_xor_b64 s[6:7], exec, s[8:9]
	s_cbranch_execnz .LBB48_3565
; %bb.1517:
	s_or_saveexec_b64 s[6:7], s[6:7]
	v_mov_b32_e32 v4, s10
	s_xor_b64 exec, exec, s[6:7]
	s_cbranch_execnz .LBB48_3568
.LBB48_1518:
	s_or_b64 exec, exec, s[6:7]
	s_and_saveexec_b64 s[6:7], s[4:5]
	s_cbranch_execz .LBB48_1520
.LBB48_1519:
	v_bfe_u32 v4, v5, 8, 3
	v_ffbh_u32_e32 v7, v4
	v_min_u32_e32 v7, 32, v7
	v_lshrrev_b16_e32 v6, 3, v3
	v_subrev_u32_e32 v8, 28, v7
	v_and_b32_e32 v6, 15, v6
	v_lshlrev_b32_e32 v3, v8, v3
	v_sub_u32_e32 v7, 29, v7
	v_and_b32_e32 v3, 7, v3
	v_cmp_eq_u16_e32 vcc, 0, v6
	v_cndmask_b32_e32 v3, v4, v3, vcc
	v_cndmask_b32_e32 v4, v6, v7, vcc
	v_lshlrev_b32_e32 v6, 16, v5
	v_mov_b32_e32 v7, 0x3b800000
	v_lshlrev_b32_e32 v3, 20, v3
	v_and_b32_e32 v6, 0x80000000, v6
	v_lshl_add_u32 v4, v4, 23, v7
	v_or3_b32 v4, v6, v4, v3
.LBB48_1520:
	s_or_b64 exec, exec, s[6:7]
	s_nop 0
	v_mfma_f32_16x16x4f32 a[0:3], v2, v4, a[0:3]
	s_movk_i32 s4, 0xff
	v_and_b32_sdwa v3, v9, s4 dst_sel:DWORD dst_unused:UNUSED_PAD src0_sel:WORD_1 src1_sel:DWORD
	s_movk_i32 s4, 0x7f
	v_cmp_lt_i16_e32 vcc, s4, v3
	s_mov_b64 s[4:5], 0
                                        ; implicit-def: $sgpr10
	s_and_saveexec_b64 s[6:7], vcc
	s_xor_b64 s[6:7], exec, s[6:7]
	s_cbranch_execnz .LBB48_3569
; %bb.1521:
	s_or_saveexec_b64 s[6:7], s[6:7]
	v_mov_b32_e32 v2, s10
	s_xor_b64 exec, exec, s[6:7]
	s_cbranch_execnz .LBB48_3572
.LBB48_1522:
	s_or_b64 exec, exec, s[6:7]
	s_and_saveexec_b64 s[6:7], s[4:5]
	s_cbranch_execz .LBB48_1524
.LBB48_1523:
	v_bfe_u32 v2, v9, 16, 3
	v_ffbh_u32_e32 v6, v2
	v_min_u32_e32 v6, 32, v6
	v_lshrrev_b32_e32 v3, 19, v9
	v_subrev_u32_e32 v7, 28, v6
	v_and_b32_e32 v3, 15, v3
	v_lshlrev_b32_sdwa v7, v7, v9 dst_sel:DWORD dst_unused:UNUSED_PAD src0_sel:DWORD src1_sel:WORD_1
	v_bfe_u32 v4, v9, 19, 4
	v_sub_u32_e32 v6, 29, v6
	v_and_b32_e32 v7, 7, v7
	v_cmp_eq_u16_e32 vcc, 0, v3
	v_cndmask_b32_e32 v2, v2, v7, vcc
	v_cndmask_b32_e32 v3, v4, v6, vcc
	v_lshlrev_b32_e32 v4, 8, v9
	v_mov_b32_e32 v6, 0x3b800000
	v_lshlrev_b32_e32 v2, 20, v2
	v_and_b32_e32 v4, 0x80000000, v4
	v_lshl_add_u32 v3, v3, 23, v6
	v_or3_b32 v2, v4, v3, v2
.LBB48_1524:
	s_or_b64 exec, exec, s[6:7]
	s_movk_i32 s4, 0xff
	v_and_b32_sdwa v3, v5, s4 dst_sel:DWORD dst_unused:UNUSED_PAD src0_sel:WORD_1 src1_sel:DWORD
	s_movk_i32 s4, 0x7f
	v_cmp_lt_i16_e32 vcc, s4, v3
	s_mov_b64 s[4:5], 0
                                        ; implicit-def: $sgpr10
	s_and_saveexec_b64 s[6:7], vcc
	s_xor_b64 s[6:7], exec, s[6:7]
	s_cbranch_execnz .LBB48_3573
; %bb.1525:
	s_or_saveexec_b64 s[6:7], s[6:7]
	v_mov_b32_e32 v4, s10
	s_xor_b64 exec, exec, s[6:7]
	s_cbranch_execnz .LBB48_3576
.LBB48_1526:
	s_or_b64 exec, exec, s[6:7]
	s_and_saveexec_b64 s[6:7], s[4:5]
	s_cbranch_execz .LBB48_1528
.LBB48_1527:
	v_bfe_u32 v3, v5, 16, 3
	v_ffbh_u32_e32 v7, v3
	v_min_u32_e32 v7, 32, v7
	v_lshrrev_b32_e32 v4, 19, v5
	v_subrev_u32_e32 v8, 28, v7
	v_and_b32_e32 v4, 15, v4
	v_lshlrev_b32_sdwa v8, v8, v5 dst_sel:DWORD dst_unused:UNUSED_PAD src0_sel:DWORD src1_sel:WORD_1
	v_bfe_u32 v6, v5, 19, 4
	v_sub_u32_e32 v7, 29, v7
	v_and_b32_e32 v8, 7, v8
	v_cmp_eq_u16_e32 vcc, 0, v4
	v_cndmask_b32_e32 v3, v3, v8, vcc
	v_cndmask_b32_e32 v4, v6, v7, vcc
	v_lshlrev_b32_e32 v6, 8, v5
	v_mov_b32_e32 v7, 0x3b800000
	v_lshlrev_b32_e32 v3, 20, v3
	v_and_b32_e32 v6, 0x80000000, v6
	v_lshl_add_u32 v4, v4, 23, v7
	v_or3_b32 v4, v6, v4, v3
.LBB48_1528:
	s_or_b64 exec, exec, s[6:7]
	s_nop 0
	v_mfma_f32_16x16x4f32 a[0:3], v2, v4, a[0:3]
	s_movk_i32 s4, 0x7f
	v_cmp_gt_i16_sdwa s[6:7], v9, s4 src0_sel:BYTE_3 src1_sel:DWORD
	s_mov_b64 s[4:5], 0
                                        ; implicit-def: $sgpr10
	s_and_saveexec_b64 s[8:9], s[6:7]
	s_xor_b64 s[6:7], exec, s[8:9]
	s_cbranch_execnz .LBB48_3577
; %bb.1529:
	s_or_saveexec_b64 s[6:7], s[6:7]
	v_mov_b32_e32 v2, s10
	s_xor_b64 exec, exec, s[6:7]
	s_cbranch_execnz .LBB48_3580
.LBB48_1530:
	s_or_b64 exec, exec, s[6:7]
	s_and_saveexec_b64 s[6:7], s[4:5]
	s_cbranch_execz .LBB48_1532
.LBB48_1531:
	v_bfe_u32 v2, v9, 24, 3
	v_ffbh_u32_e32 v7, v2
	v_min_u32_e32 v7, 32, v7
	v_lshrrev_b32_e32 v4, 27, v9
	v_subrev_u32_e32 v8, 28, v7
	v_and_b32_e32 v4, 15, v4
	v_lshlrev_b32_sdwa v8, v8, v9 dst_sel:DWORD dst_unused:UNUSED_PAD src0_sel:DWORD src1_sel:BYTE_3
	v_bfe_u32 v6, v9, 27, 4
	v_sub_u32_e32 v7, 29, v7
	v_and_b32_e32 v8, 7, v8
	v_cmp_eq_u16_e32 vcc, 0, v4
	v_cndmask_b32_e32 v2, v2, v8, vcc
	v_cndmask_b32_e32 v4, v6, v7, vcc
	v_mov_b32_e32 v6, 0x3b800000
	v_and_b32_e32 v3, 0x80000000, v9
	v_lshlrev_b32_e32 v2, 20, v2
	v_lshl_add_u32 v4, v4, 23, v6
	v_or3_b32 v2, v3, v4, v2
.LBB48_1532:
	s_or_b64 exec, exec, s[6:7]
	s_movk_i32 s4, 0x7f
	v_cmp_gt_i16_sdwa s[6:7], v5, s4 src0_sel:BYTE_3 src1_sel:DWORD
	s_mov_b64 s[4:5], 0
                                        ; implicit-def: $sgpr10
	s_and_saveexec_b64 s[8:9], s[6:7]
	s_xor_b64 s[6:7], exec, s[8:9]
	s_cbranch_execnz .LBB48_3581
; %bb.1533:
	s_or_saveexec_b64 s[6:7], s[6:7]
	v_mov_b32_e32 v3, s10
	s_xor_b64 exec, exec, s[6:7]
	s_cbranch_execnz .LBB48_3584
.LBB48_1534:
	s_or_b64 exec, exec, s[6:7]
	s_and_saveexec_b64 s[6:7], s[4:5]
	s_cbranch_execz .LBB48_1536
.LBB48_1535:
	v_bfe_u32 v3, v5, 24, 3
	v_ffbh_u32_e32 v8, v3
	v_min_u32_e32 v8, 32, v8
	v_lshrrev_b32_e32 v6, 27, v5
	v_subrev_u32_e32 v9, 28, v8
	v_and_b32_e32 v4, 0x80000000, v5
	v_and_b32_e32 v6, 15, v6
	v_bfe_u32 v7, v5, 27, 4
	v_lshlrev_b32_sdwa v5, v9, v5 dst_sel:DWORD dst_unused:UNUSED_PAD src0_sel:DWORD src1_sel:BYTE_3
	v_sub_u32_e32 v8, 29, v8
	v_and_b32_e32 v5, 7, v5
	v_cmp_eq_u16_e32 vcc, 0, v6
	v_cndmask_b32_e32 v3, v3, v5, vcc
	v_cndmask_b32_e32 v5, v7, v8, vcc
	v_mov_b32_e32 v6, 0x3b800000
	v_lshlrev_b32_e32 v3, 20, v3
	v_lshl_add_u32 v5, v5, 23, v6
	v_or3_b32 v3, v4, v5, v3
.LBB48_1536:
	s_or_b64 exec, exec, s[6:7]
	s_nop 0
	v_mfma_f32_16x16x4f32 a[0:3], v2, v3, a[0:3]
	s_movk_i32 s4, 0x7f
                                        ; implicit-def: $sgpr10
	s_nop 7
	s_nop 1
	flat_store_dwordx4 v[18:19], a[0:3] offset:592
	flat_load_dwordx4 v[20:23], v[0:1] offset:8
	s_nop 0
	flat_load_dwordx2 v[18:19], v[0:1] offset:24
	s_waitcnt vmcnt(0) lgkmcnt(0)
	flat_load_dwordx4 v[14:17], v[20:21]
	flat_load_dwordx4 v[6:9], v[20:21] offset:16
	flat_load_dwordx4 v[10:13], v[22:23] offset:192
	;; [unrolled: 1-line block ×3, first 2 shown]
	s_waitcnt vmcnt(0) lgkmcnt(0)
	v_cmp_gt_i16_sdwa s[6:7], v14, s4 src0_sel:BYTE_0 src1_sel:DWORD
	s_mov_b64 s[4:5], 0
	s_and_saveexec_b64 s[8:9], s[6:7]
	s_xor_b64 s[6:7], exec, s[8:9]
	s_cbranch_execnz .LBB48_3585
; %bb.1537:
	s_or_saveexec_b64 s[6:7], s[6:7]
	v_mov_b32_e32 v20, s10
	s_xor_b64 exec, exec, s[6:7]
	s_cbranch_execnz .LBB48_3588
.LBB48_1538:
	s_or_b64 exec, exec, s[6:7]
	s_and_saveexec_b64 s[6:7], s[4:5]
	s_cbranch_execz .LBB48_1540
.LBB48_1539:
	v_and_b32_e32 v20, 7, v14
	v_ffbh_u32_e32 v22, v20
	v_min_u32_e32 v22, 32, v22
	v_lshrrev_b16_e32 v21, 3, v14
	v_subrev_u32_e32 v23, 28, v22
	v_and_b32_e32 v21, 15, v21
	v_lshlrev_b32_e32 v23, v23, v14
	v_sub_u32_e32 v22, 29, v22
	v_and_b32_e32 v23, 7, v23
	v_cmp_eq_u16_e32 vcc, 0, v21
	v_cndmask_b32_e32 v20, v20, v23, vcc
	v_cndmask_b32_e32 v21, v21, v22, vcc
	v_lshlrev_b32_e32 v22, 24, v14
	v_mov_b32_e32 v23, 0x3b800000
	v_lshlrev_b32_e32 v20, 20, v20
	v_and_b32_e32 v22, 0x80000000, v22
	v_lshl_add_u32 v21, v21, 23, v23
	v_or3_b32 v20, v22, v21, v20
.LBB48_1540:
	s_or_b64 exec, exec, s[6:7]
	s_movk_i32 s4, 0x7f
	v_cmp_gt_i16_sdwa s[6:7], v10, s4 src0_sel:BYTE_0 src1_sel:DWORD
	s_mov_b64 s[4:5], 0
                                        ; implicit-def: $sgpr10
	s_and_saveexec_b64 s[8:9], s[6:7]
	s_xor_b64 s[6:7], exec, s[8:9]
	s_cbranch_execnz .LBB48_3589
; %bb.1541:
	s_or_saveexec_b64 s[6:7], s[6:7]
	v_mov_b32_e32 v21, s10
	s_xor_b64 exec, exec, s[6:7]
	s_cbranch_execnz .LBB48_3592
.LBB48_1542:
	s_or_b64 exec, exec, s[6:7]
	s_and_saveexec_b64 s[6:7], s[4:5]
	s_cbranch_execz .LBB48_1544
.LBB48_1543:
	v_and_b32_e32 v21, 7, v10
	v_ffbh_u32_e32 v23, v21
	v_min_u32_e32 v23, 32, v23
	v_lshrrev_b16_e32 v22, 3, v10
	v_subrev_u32_e32 v24, 28, v23
	v_and_b32_e32 v22, 15, v22
	v_lshlrev_b32_e32 v24, v24, v10
	v_sub_u32_e32 v23, 29, v23
	v_and_b32_e32 v24, 7, v24
	v_cmp_eq_u16_e32 vcc, 0, v22
	v_cndmask_b32_e32 v21, v21, v24, vcc
	v_cndmask_b32_e32 v22, v22, v23, vcc
	v_lshlrev_b32_e32 v23, 24, v10
	v_mov_b32_e32 v24, 0x3b800000
	v_lshlrev_b32_e32 v21, 20, v21
	v_and_b32_e32 v23, 0x80000000, v23
	v_lshl_add_u32 v22, v22, 23, v24
	v_or3_b32 v21, v23, v22, v21
.LBB48_1544:
	s_or_b64 exec, exec, s[6:7]
	flat_load_dwordx4 a[0:3], v[18:19] offset:608
	s_movk_i32 s4, 0x7f
                                        ; implicit-def: $sgpr10
	s_waitcnt vmcnt(0) lgkmcnt(0)
	v_mfma_f32_16x16x4f32 a[0:3], v20, v21, a[0:3]
	v_lshrrev_b32_e32 v21, 8, v14
	v_cmp_gt_i16_sdwa s[6:7], v21, s4 src0_sel:BYTE_0 src1_sel:DWORD
	s_mov_b64 s[4:5], 0
	s_and_saveexec_b64 s[8:9], s[6:7]
	s_xor_b64 s[6:7], exec, s[8:9]
	s_cbranch_execnz .LBB48_3593
; %bb.1545:
	s_or_saveexec_b64 s[6:7], s[6:7]
	v_mov_b32_e32 v20, s10
	s_xor_b64 exec, exec, s[6:7]
	s_cbranch_execnz .LBB48_3596
.LBB48_1546:
	s_or_b64 exec, exec, s[6:7]
	s_and_saveexec_b64 s[6:7], s[4:5]
	s_cbranch_execz .LBB48_1548
.LBB48_1547:
	v_bfe_u32 v20, v14, 8, 3
	v_ffbh_u32_e32 v23, v20
	v_min_u32_e32 v23, 32, v23
	v_lshrrev_b16_e32 v22, 3, v21
	v_subrev_u32_e32 v24, 28, v23
	v_and_b32_e32 v22, 15, v22
	v_lshlrev_b32_e32 v21, v24, v21
	v_sub_u32_e32 v23, 29, v23
	v_and_b32_e32 v21, 7, v21
	v_cmp_eq_u16_e32 vcc, 0, v22
	v_cndmask_b32_e32 v20, v20, v21, vcc
	v_cndmask_b32_e32 v21, v22, v23, vcc
	v_lshlrev_b32_e32 v22, 16, v14
	v_mov_b32_e32 v23, 0x3b800000
	v_lshlrev_b32_e32 v20, 20, v20
	v_and_b32_e32 v22, 0x80000000, v22
	v_lshl_add_u32 v21, v21, 23, v23
	v_or3_b32 v20, v22, v21, v20
.LBB48_1548:
	s_or_b64 exec, exec, s[6:7]
	v_lshrrev_b32_e32 v21, 8, v10
	s_movk_i32 s4, 0x7f
	v_cmp_gt_i16_sdwa s[6:7], v21, s4 src0_sel:BYTE_0 src1_sel:DWORD
	s_mov_b64 s[4:5], 0
                                        ; implicit-def: $sgpr10
	s_and_saveexec_b64 s[8:9], s[6:7]
	s_xor_b64 s[6:7], exec, s[8:9]
	s_cbranch_execnz .LBB48_3597
; %bb.1549:
	s_or_saveexec_b64 s[6:7], s[6:7]
	v_mov_b32_e32 v22, s10
	s_xor_b64 exec, exec, s[6:7]
	s_cbranch_execnz .LBB48_3600
.LBB48_1550:
	s_or_b64 exec, exec, s[6:7]
	s_and_saveexec_b64 s[6:7], s[4:5]
	s_cbranch_execz .LBB48_1552
.LBB48_1551:
	v_bfe_u32 v22, v10, 8, 3
	v_ffbh_u32_e32 v24, v22
	v_min_u32_e32 v24, 32, v24
	v_lshrrev_b16_e32 v23, 3, v21
	v_subrev_u32_e32 v25, 28, v24
	v_and_b32_e32 v23, 15, v23
	v_lshlrev_b32_e32 v21, v25, v21
	v_sub_u32_e32 v24, 29, v24
	v_and_b32_e32 v21, 7, v21
	v_cmp_eq_u16_e32 vcc, 0, v23
	v_cndmask_b32_e32 v21, v22, v21, vcc
	v_cndmask_b32_e32 v22, v23, v24, vcc
	v_lshlrev_b32_e32 v23, 16, v10
	v_mov_b32_e32 v24, 0x3b800000
	v_lshlrev_b32_e32 v21, 20, v21
	v_and_b32_e32 v23, 0x80000000, v23
	v_lshl_add_u32 v22, v22, 23, v24
	v_or3_b32 v22, v23, v22, v21
.LBB48_1552:
	s_or_b64 exec, exec, s[6:7]
	s_nop 0
	v_mfma_f32_16x16x4f32 a[0:3], v20, v22, a[0:3]
	s_movk_i32 s4, 0xff
	v_and_b32_sdwa v21, v14, s4 dst_sel:DWORD dst_unused:UNUSED_PAD src0_sel:WORD_1 src1_sel:DWORD
	s_movk_i32 s4, 0x7f
	v_cmp_lt_i16_e32 vcc, s4, v21
	s_mov_b64 s[4:5], 0
                                        ; implicit-def: $sgpr10
	s_and_saveexec_b64 s[6:7], vcc
	s_xor_b64 s[6:7], exec, s[6:7]
	s_cbranch_execnz .LBB48_3601
; %bb.1553:
	s_or_saveexec_b64 s[6:7], s[6:7]
	v_mov_b32_e32 v20, s10
	s_xor_b64 exec, exec, s[6:7]
	s_cbranch_execnz .LBB48_3604
.LBB48_1554:
	s_or_b64 exec, exec, s[6:7]
	s_and_saveexec_b64 s[6:7], s[4:5]
	s_cbranch_execz .LBB48_1556
.LBB48_1555:
	v_bfe_u32 v20, v14, 16, 3
	v_ffbh_u32_e32 v23, v20
	v_min_u32_e32 v23, 32, v23
	v_lshrrev_b32_e32 v21, 19, v14
	v_subrev_u32_e32 v24, 28, v23
	v_and_b32_e32 v21, 15, v21
	v_lshlrev_b32_sdwa v24, v24, v14 dst_sel:DWORD dst_unused:UNUSED_PAD src0_sel:DWORD src1_sel:WORD_1
	v_bfe_u32 v22, v14, 19, 4
	v_sub_u32_e32 v23, 29, v23
	v_and_b32_e32 v24, 7, v24
	v_cmp_eq_u16_e32 vcc, 0, v21
	v_cndmask_b32_e32 v20, v20, v24, vcc
	v_cndmask_b32_e32 v21, v22, v23, vcc
	v_lshlrev_b32_e32 v22, 8, v14
	v_mov_b32_e32 v23, 0x3b800000
	v_lshlrev_b32_e32 v20, 20, v20
	v_and_b32_e32 v22, 0x80000000, v22
	v_lshl_add_u32 v21, v21, 23, v23
	v_or3_b32 v20, v22, v21, v20
.LBB48_1556:
	s_or_b64 exec, exec, s[6:7]
	s_movk_i32 s4, 0xff
	v_and_b32_sdwa v21, v10, s4 dst_sel:DWORD dst_unused:UNUSED_PAD src0_sel:WORD_1 src1_sel:DWORD
	s_movk_i32 s4, 0x7f
	v_cmp_lt_i16_e32 vcc, s4, v21
	s_mov_b64 s[4:5], 0
                                        ; implicit-def: $sgpr10
	s_and_saveexec_b64 s[6:7], vcc
	s_xor_b64 s[6:7], exec, s[6:7]
	s_cbranch_execnz .LBB48_3605
; %bb.1557:
	s_or_saveexec_b64 s[6:7], s[6:7]
	v_mov_b32_e32 v22, s10
	s_xor_b64 exec, exec, s[6:7]
	s_cbranch_execnz .LBB48_3608
.LBB48_1558:
	s_or_b64 exec, exec, s[6:7]
	s_and_saveexec_b64 s[6:7], s[4:5]
	s_cbranch_execz .LBB48_1560
.LBB48_1559:
	v_bfe_u32 v21, v10, 16, 3
	v_ffbh_u32_e32 v24, v21
	v_min_u32_e32 v24, 32, v24
	v_lshrrev_b32_e32 v22, 19, v10
	v_subrev_u32_e32 v25, 28, v24
	v_and_b32_e32 v22, 15, v22
	v_lshlrev_b32_sdwa v25, v25, v10 dst_sel:DWORD dst_unused:UNUSED_PAD src0_sel:DWORD src1_sel:WORD_1
	v_bfe_u32 v23, v10, 19, 4
	v_sub_u32_e32 v24, 29, v24
	v_and_b32_e32 v25, 7, v25
	v_cmp_eq_u16_e32 vcc, 0, v22
	v_cndmask_b32_e32 v21, v21, v25, vcc
	v_cndmask_b32_e32 v22, v23, v24, vcc
	v_lshlrev_b32_e32 v23, 8, v10
	v_mov_b32_e32 v24, 0x3b800000
	v_lshlrev_b32_e32 v21, 20, v21
	v_and_b32_e32 v23, 0x80000000, v23
	v_lshl_add_u32 v22, v22, 23, v24
	v_or3_b32 v22, v23, v22, v21
.LBB48_1560:
	s_or_b64 exec, exec, s[6:7]
	s_nop 0
	v_mfma_f32_16x16x4f32 a[0:3], v20, v22, a[0:3]
	s_movk_i32 s4, 0x7f
	v_cmp_gt_i16_sdwa s[6:7], v14, s4 src0_sel:BYTE_3 src1_sel:DWORD
	s_mov_b64 s[4:5], 0
                                        ; implicit-def: $sgpr10
	s_and_saveexec_b64 s[8:9], s[6:7]
	s_xor_b64 s[6:7], exec, s[8:9]
	s_cbranch_execnz .LBB48_3609
; %bb.1561:
	s_or_saveexec_b64 s[6:7], s[6:7]
	v_mov_b32_e32 v20, s10
	s_xor_b64 exec, exec, s[6:7]
	s_cbranch_execnz .LBB48_3612
.LBB48_1562:
	s_or_b64 exec, exec, s[6:7]
	s_and_saveexec_b64 s[6:7], s[4:5]
	s_cbranch_execz .LBB48_1564
.LBB48_1563:
	v_bfe_u32 v20, v14, 24, 3
	v_ffbh_u32_e32 v24, v20
	v_min_u32_e32 v24, 32, v24
	v_lshrrev_b32_e32 v22, 27, v14
	v_subrev_u32_e32 v25, 28, v24
	v_and_b32_e32 v21, 0x80000000, v14
	v_and_b32_e32 v22, 15, v22
	v_bfe_u32 v23, v14, 27, 4
	v_lshlrev_b32_sdwa v14, v25, v14 dst_sel:DWORD dst_unused:UNUSED_PAD src0_sel:DWORD src1_sel:BYTE_3
	v_sub_u32_e32 v24, 29, v24
	v_and_b32_e32 v14, 7, v14
	v_cmp_eq_u16_e32 vcc, 0, v22
	v_cndmask_b32_e32 v14, v20, v14, vcc
	v_cndmask_b32_e32 v20, v23, v24, vcc
	v_mov_b32_e32 v22, 0x3b800000
	v_lshlrev_b32_e32 v14, 20, v14
	v_lshl_add_u32 v20, v20, 23, v22
	v_or3_b32 v20, v21, v20, v14
.LBB48_1564:
	s_or_b64 exec, exec, s[6:7]
	s_movk_i32 s4, 0x7f
	v_cmp_gt_i16_sdwa s[6:7], v10, s4 src0_sel:BYTE_3 src1_sel:DWORD
	s_mov_b64 s[4:5], 0
                                        ; implicit-def: $sgpr10
	s_and_saveexec_b64 s[8:9], s[6:7]
	s_xor_b64 s[6:7], exec, s[8:9]
	s_cbranch_execnz .LBB48_3613
; %bb.1565:
	s_or_saveexec_b64 s[6:7], s[6:7]
	v_mov_b32_e32 v14, s10
	s_xor_b64 exec, exec, s[6:7]
	s_cbranch_execnz .LBB48_3616
.LBB48_1566:
	s_or_b64 exec, exec, s[6:7]
	s_and_saveexec_b64 s[6:7], s[4:5]
	s_cbranch_execz .LBB48_1568
.LBB48_1567:
	v_bfe_u32 v14, v10, 24, 3
	v_ffbh_u32_e32 v24, v14
	v_min_u32_e32 v24, 32, v24
	v_lshrrev_b32_e32 v22, 27, v10
	v_subrev_u32_e32 v25, 28, v24
	v_and_b32_e32 v21, 0x80000000, v10
	v_and_b32_e32 v22, 15, v22
	v_bfe_u32 v23, v10, 27, 4
	v_lshlrev_b32_sdwa v10, v25, v10 dst_sel:DWORD dst_unused:UNUSED_PAD src0_sel:DWORD src1_sel:BYTE_3
	v_sub_u32_e32 v24, 29, v24
	v_and_b32_e32 v10, 7, v10
	v_cmp_eq_u16_e32 vcc, 0, v22
	v_cndmask_b32_e32 v10, v14, v10, vcc
	v_cndmask_b32_e32 v14, v23, v24, vcc
	v_mov_b32_e32 v22, 0x3b800000
	v_lshlrev_b32_e32 v10, 20, v10
	v_lshl_add_u32 v14, v14, 23, v22
	v_or3_b32 v14, v21, v14, v10
.LBB48_1568:
	s_or_b64 exec, exec, s[6:7]
	s_nop 0
	v_mfma_f32_16x16x4f32 a[0:3], v20, v14, a[0:3]
	s_movk_i32 s4, 0x7f
	v_cmp_gt_i16_sdwa s[6:7], v15, s4 src0_sel:BYTE_0 src1_sel:DWORD
	s_mov_b64 s[4:5], 0
                                        ; implicit-def: $sgpr10
	s_and_saveexec_b64 s[8:9], s[6:7]
	s_xor_b64 s[6:7], exec, s[8:9]
	s_cbranch_execnz .LBB48_3617
; %bb.1569:
	s_or_saveexec_b64 s[6:7], s[6:7]
	v_mov_b32_e32 v10, s10
	s_xor_b64 exec, exec, s[6:7]
	s_cbranch_execnz .LBB48_3620
.LBB48_1570:
	s_or_b64 exec, exec, s[6:7]
	s_and_saveexec_b64 s[6:7], s[4:5]
	s_cbranch_execz .LBB48_1572
.LBB48_1571:
	v_and_b32_e32 v10, 7, v15
	v_ffbh_u32_e32 v20, v10
	v_min_u32_e32 v20, 32, v20
	v_lshrrev_b16_e32 v14, 3, v15
	v_subrev_u32_e32 v21, 28, v20
	v_and_b32_e32 v14, 15, v14
	v_lshlrev_b32_e32 v21, v21, v15
	v_sub_u32_e32 v20, 29, v20
	v_and_b32_e32 v21, 7, v21
	v_cmp_eq_u16_e32 vcc, 0, v14
	v_cndmask_b32_e32 v10, v10, v21, vcc
	v_cndmask_b32_e32 v14, v14, v20, vcc
	v_lshlrev_b32_e32 v20, 24, v15
	v_mov_b32_e32 v21, 0x3b800000
	v_lshlrev_b32_e32 v10, 20, v10
	v_and_b32_e32 v20, 0x80000000, v20
	v_lshl_add_u32 v14, v14, 23, v21
	v_or3_b32 v10, v20, v14, v10
.LBB48_1572:
	s_or_b64 exec, exec, s[6:7]
	s_movk_i32 s4, 0x7f
	v_cmp_gt_i16_sdwa s[6:7], v11, s4 src0_sel:BYTE_0 src1_sel:DWORD
	s_mov_b64 s[4:5], 0
                                        ; implicit-def: $sgpr10
	s_and_saveexec_b64 s[8:9], s[6:7]
	s_xor_b64 s[6:7], exec, s[8:9]
	s_cbranch_execnz .LBB48_3621
; %bb.1573:
	s_or_saveexec_b64 s[6:7], s[6:7]
	v_mov_b32_e32 v14, s10
	s_xor_b64 exec, exec, s[6:7]
	s_cbranch_execnz .LBB48_3624
.LBB48_1574:
	s_or_b64 exec, exec, s[6:7]
	s_and_saveexec_b64 s[6:7], s[4:5]
	s_cbranch_execz .LBB48_1576
.LBB48_1575:
	v_and_b32_e32 v14, 7, v11
	v_ffbh_u32_e32 v21, v14
	v_min_u32_e32 v21, 32, v21
	v_lshrrev_b16_e32 v20, 3, v11
	v_subrev_u32_e32 v22, 28, v21
	v_and_b32_e32 v20, 15, v20
	v_lshlrev_b32_e32 v22, v22, v11
	v_sub_u32_e32 v21, 29, v21
	v_and_b32_e32 v22, 7, v22
	v_cmp_eq_u16_e32 vcc, 0, v20
	v_cndmask_b32_e32 v14, v14, v22, vcc
	v_cndmask_b32_e32 v20, v20, v21, vcc
	v_lshlrev_b32_e32 v21, 24, v11
	v_mov_b32_e32 v22, 0x3b800000
	v_lshlrev_b32_e32 v14, 20, v14
	v_and_b32_e32 v21, 0x80000000, v21
	v_lshl_add_u32 v20, v20, 23, v22
	v_or3_b32 v14, v21, v20, v14
.LBB48_1576:
	s_or_b64 exec, exec, s[6:7]
	s_nop 0
	v_mfma_f32_16x16x4f32 a[0:3], v10, v14, a[0:3]
	v_lshrrev_b32_e32 v14, 8, v15
	s_movk_i32 s4, 0x7f
	v_cmp_gt_i16_sdwa s[6:7], v14, s4 src0_sel:BYTE_0 src1_sel:DWORD
	s_mov_b64 s[4:5], 0
                                        ; implicit-def: $sgpr10
	s_and_saveexec_b64 s[8:9], s[6:7]
	s_xor_b64 s[6:7], exec, s[8:9]
	s_cbranch_execnz .LBB48_3625
; %bb.1577:
	s_or_saveexec_b64 s[6:7], s[6:7]
	v_mov_b32_e32 v10, s10
	s_xor_b64 exec, exec, s[6:7]
	s_cbranch_execnz .LBB48_3628
.LBB48_1578:
	s_or_b64 exec, exec, s[6:7]
	s_and_saveexec_b64 s[6:7], s[4:5]
	s_cbranch_execz .LBB48_1580
.LBB48_1579:
	v_bfe_u32 v10, v15, 8, 3
	v_ffbh_u32_e32 v21, v10
	v_min_u32_e32 v21, 32, v21
	v_lshrrev_b16_e32 v20, 3, v14
	v_subrev_u32_e32 v22, 28, v21
	v_and_b32_e32 v20, 15, v20
	v_lshlrev_b32_e32 v14, v22, v14
	v_sub_u32_e32 v21, 29, v21
	v_and_b32_e32 v14, 7, v14
	v_cmp_eq_u16_e32 vcc, 0, v20
	v_cndmask_b32_e32 v10, v10, v14, vcc
	v_cndmask_b32_e32 v14, v20, v21, vcc
	v_lshlrev_b32_e32 v20, 16, v15
	v_mov_b32_e32 v21, 0x3b800000
	v_lshlrev_b32_e32 v10, 20, v10
	v_and_b32_e32 v20, 0x80000000, v20
	v_lshl_add_u32 v14, v14, 23, v21
	v_or3_b32 v10, v20, v14, v10
.LBB48_1580:
	s_or_b64 exec, exec, s[6:7]
	v_lshrrev_b32_e32 v14, 8, v11
	s_movk_i32 s4, 0x7f
	v_cmp_gt_i16_sdwa s[6:7], v14, s4 src0_sel:BYTE_0 src1_sel:DWORD
	s_mov_b64 s[4:5], 0
                                        ; implicit-def: $sgpr10
	s_and_saveexec_b64 s[8:9], s[6:7]
	s_xor_b64 s[6:7], exec, s[8:9]
	s_cbranch_execnz .LBB48_3629
; %bb.1581:
	s_or_saveexec_b64 s[6:7], s[6:7]
	v_mov_b32_e32 v20, s10
	s_xor_b64 exec, exec, s[6:7]
	s_cbranch_execnz .LBB48_3632
.LBB48_1582:
	s_or_b64 exec, exec, s[6:7]
	s_and_saveexec_b64 s[6:7], s[4:5]
	s_cbranch_execz .LBB48_1584
.LBB48_1583:
	v_bfe_u32 v20, v11, 8, 3
	v_ffbh_u32_e32 v22, v20
	v_min_u32_e32 v22, 32, v22
	v_lshrrev_b16_e32 v21, 3, v14
	v_subrev_u32_e32 v23, 28, v22
	v_and_b32_e32 v21, 15, v21
	v_lshlrev_b32_e32 v14, v23, v14
	v_sub_u32_e32 v22, 29, v22
	v_and_b32_e32 v14, 7, v14
	v_cmp_eq_u16_e32 vcc, 0, v21
	v_cndmask_b32_e32 v14, v20, v14, vcc
	v_cndmask_b32_e32 v20, v21, v22, vcc
	v_lshlrev_b32_e32 v21, 16, v11
	v_mov_b32_e32 v22, 0x3b800000
	v_lshlrev_b32_e32 v14, 20, v14
	v_and_b32_e32 v21, 0x80000000, v21
	v_lshl_add_u32 v20, v20, 23, v22
	v_or3_b32 v20, v21, v20, v14
.LBB48_1584:
	s_or_b64 exec, exec, s[6:7]
	s_nop 0
	v_mfma_f32_16x16x4f32 a[0:3], v10, v20, a[0:3]
	s_movk_i32 s4, 0xff
	v_and_b32_sdwa v14, v15, s4 dst_sel:DWORD dst_unused:UNUSED_PAD src0_sel:WORD_1 src1_sel:DWORD
	s_movk_i32 s4, 0x7f
	v_cmp_lt_i16_e32 vcc, s4, v14
	s_mov_b64 s[4:5], 0
                                        ; implicit-def: $sgpr10
	s_and_saveexec_b64 s[6:7], vcc
	s_xor_b64 s[6:7], exec, s[6:7]
	s_cbranch_execnz .LBB48_3633
; %bb.1585:
	s_or_saveexec_b64 s[6:7], s[6:7]
	v_mov_b32_e32 v10, s10
	s_xor_b64 exec, exec, s[6:7]
	s_cbranch_execnz .LBB48_3636
.LBB48_1586:
	s_or_b64 exec, exec, s[6:7]
	s_and_saveexec_b64 s[6:7], s[4:5]
	s_cbranch_execz .LBB48_1588
.LBB48_1587:
	v_bfe_u32 v10, v15, 16, 3
	v_ffbh_u32_e32 v21, v10
	v_min_u32_e32 v21, 32, v21
	v_lshrrev_b32_e32 v14, 19, v15
	v_subrev_u32_e32 v22, 28, v21
	v_and_b32_e32 v14, 15, v14
	v_lshlrev_b32_sdwa v22, v22, v15 dst_sel:DWORD dst_unused:UNUSED_PAD src0_sel:DWORD src1_sel:WORD_1
	v_bfe_u32 v20, v15, 19, 4
	v_sub_u32_e32 v21, 29, v21
	v_and_b32_e32 v22, 7, v22
	v_cmp_eq_u16_e32 vcc, 0, v14
	v_cndmask_b32_e32 v10, v10, v22, vcc
	v_cndmask_b32_e32 v14, v20, v21, vcc
	v_lshlrev_b32_e32 v20, 8, v15
	v_mov_b32_e32 v21, 0x3b800000
	v_lshlrev_b32_e32 v10, 20, v10
	v_and_b32_e32 v20, 0x80000000, v20
	v_lshl_add_u32 v14, v14, 23, v21
	v_or3_b32 v10, v20, v14, v10
.LBB48_1588:
	s_or_b64 exec, exec, s[6:7]
	s_movk_i32 s4, 0xff
	v_and_b32_sdwa v14, v11, s4 dst_sel:DWORD dst_unused:UNUSED_PAD src0_sel:WORD_1 src1_sel:DWORD
	s_movk_i32 s4, 0x7f
	v_cmp_lt_i16_e32 vcc, s4, v14
	s_mov_b64 s[4:5], 0
                                        ; implicit-def: $sgpr10
	s_and_saveexec_b64 s[6:7], vcc
	s_xor_b64 s[6:7], exec, s[6:7]
	s_cbranch_execnz .LBB48_3637
; %bb.1589:
	s_or_saveexec_b64 s[6:7], s[6:7]
	v_mov_b32_e32 v20, s10
	s_xor_b64 exec, exec, s[6:7]
	s_cbranch_execnz .LBB48_3640
.LBB48_1590:
	s_or_b64 exec, exec, s[6:7]
	s_and_saveexec_b64 s[6:7], s[4:5]
	s_cbranch_execz .LBB48_1592
.LBB48_1591:
	v_bfe_u32 v14, v11, 16, 3
	v_ffbh_u32_e32 v22, v14
	v_min_u32_e32 v22, 32, v22
	v_lshrrev_b32_e32 v20, 19, v11
	v_subrev_u32_e32 v23, 28, v22
	v_and_b32_e32 v20, 15, v20
	v_lshlrev_b32_sdwa v23, v23, v11 dst_sel:DWORD dst_unused:UNUSED_PAD src0_sel:DWORD src1_sel:WORD_1
	v_bfe_u32 v21, v11, 19, 4
	v_sub_u32_e32 v22, 29, v22
	v_and_b32_e32 v23, 7, v23
	v_cmp_eq_u16_e32 vcc, 0, v20
	v_cndmask_b32_e32 v14, v14, v23, vcc
	v_cndmask_b32_e32 v20, v21, v22, vcc
	v_lshlrev_b32_e32 v21, 8, v11
	v_mov_b32_e32 v22, 0x3b800000
	v_lshlrev_b32_e32 v14, 20, v14
	v_and_b32_e32 v21, 0x80000000, v21
	v_lshl_add_u32 v20, v20, 23, v22
	v_or3_b32 v20, v21, v20, v14
.LBB48_1592:
	s_or_b64 exec, exec, s[6:7]
	s_nop 0
	v_mfma_f32_16x16x4f32 a[0:3], v10, v20, a[0:3]
	s_movk_i32 s4, 0x7f
	v_cmp_gt_i16_sdwa s[6:7], v15, s4 src0_sel:BYTE_3 src1_sel:DWORD
	s_mov_b64 s[4:5], 0
                                        ; implicit-def: $sgpr10
	s_and_saveexec_b64 s[8:9], s[6:7]
	s_xor_b64 s[6:7], exec, s[8:9]
	s_cbranch_execnz .LBB48_3641
; %bb.1593:
	s_or_saveexec_b64 s[6:7], s[6:7]
	v_mov_b32_e32 v10, s10
	s_xor_b64 exec, exec, s[6:7]
	s_cbranch_execnz .LBB48_3644
.LBB48_1594:
	s_or_b64 exec, exec, s[6:7]
	s_and_saveexec_b64 s[6:7], s[4:5]
	s_cbranch_execz .LBB48_1596
.LBB48_1595:
	v_bfe_u32 v10, v15, 24, 3
	v_ffbh_u32_e32 v22, v10
	v_min_u32_e32 v22, 32, v22
	v_lshrrev_b32_e32 v20, 27, v15
	v_subrev_u32_e32 v23, 28, v22
	v_and_b32_e32 v14, 0x80000000, v15
	v_and_b32_e32 v20, 15, v20
	v_bfe_u32 v21, v15, 27, 4
	v_lshlrev_b32_sdwa v15, v23, v15 dst_sel:DWORD dst_unused:UNUSED_PAD src0_sel:DWORD src1_sel:BYTE_3
	v_sub_u32_e32 v22, 29, v22
	v_and_b32_e32 v15, 7, v15
	v_cmp_eq_u16_e32 vcc, 0, v20
	v_cndmask_b32_e32 v10, v10, v15, vcc
	v_cndmask_b32_e32 v15, v21, v22, vcc
	v_mov_b32_e32 v20, 0x3b800000
	v_lshlrev_b32_e32 v10, 20, v10
	v_lshl_add_u32 v15, v15, 23, v20
	v_or3_b32 v10, v14, v15, v10
.LBB48_1596:
	s_or_b64 exec, exec, s[6:7]
	s_movk_i32 s4, 0x7f
	v_cmp_gt_i16_sdwa s[6:7], v11, s4 src0_sel:BYTE_3 src1_sel:DWORD
	s_mov_b64 s[4:5], 0
                                        ; implicit-def: $sgpr10
	s_and_saveexec_b64 s[8:9], s[6:7]
	s_xor_b64 s[6:7], exec, s[8:9]
	s_cbranch_execnz .LBB48_3645
; %bb.1597:
	s_or_saveexec_b64 s[6:7], s[6:7]
	v_mov_b32_e32 v14, s10
	s_xor_b64 exec, exec, s[6:7]
	s_cbranch_execnz .LBB48_3648
.LBB48_1598:
	s_or_b64 exec, exec, s[6:7]
	s_and_saveexec_b64 s[6:7], s[4:5]
	s_cbranch_execz .LBB48_1600
.LBB48_1599:
	v_bfe_u32 v14, v11, 24, 3
	v_ffbh_u32_e32 v22, v14
	v_min_u32_e32 v22, 32, v22
	v_lshrrev_b32_e32 v20, 27, v11
	v_subrev_u32_e32 v23, 28, v22
	v_and_b32_e32 v15, 0x80000000, v11
	v_and_b32_e32 v20, 15, v20
	v_bfe_u32 v21, v11, 27, 4
	v_lshlrev_b32_sdwa v11, v23, v11 dst_sel:DWORD dst_unused:UNUSED_PAD src0_sel:DWORD src1_sel:BYTE_3
	v_sub_u32_e32 v22, 29, v22
	v_and_b32_e32 v11, 7, v11
	v_cmp_eq_u16_e32 vcc, 0, v20
	v_cndmask_b32_e32 v11, v14, v11, vcc
	v_cndmask_b32_e32 v14, v21, v22, vcc
	v_mov_b32_e32 v20, 0x3b800000
	v_lshlrev_b32_e32 v11, 20, v11
	v_lshl_add_u32 v14, v14, 23, v20
	v_or3_b32 v14, v15, v14, v11
.LBB48_1600:
	s_or_b64 exec, exec, s[6:7]
	s_nop 0
	v_mfma_f32_16x16x4f32 a[0:3], v10, v14, a[0:3]
	s_movk_i32 s4, 0x7f
	v_cmp_gt_i16_sdwa s[6:7], v16, s4 src0_sel:BYTE_0 src1_sel:DWORD
	s_mov_b64 s[4:5], 0
                                        ; implicit-def: $sgpr10
	s_and_saveexec_b64 s[8:9], s[6:7]
	s_xor_b64 s[6:7], exec, s[8:9]
	s_cbranch_execnz .LBB48_3649
; %bb.1601:
	s_or_saveexec_b64 s[6:7], s[6:7]
	v_mov_b32_e32 v10, s10
	s_xor_b64 exec, exec, s[6:7]
	s_cbranch_execnz .LBB48_3652
.LBB48_1602:
	s_or_b64 exec, exec, s[6:7]
	s_and_saveexec_b64 s[6:7], s[4:5]
	s_cbranch_execz .LBB48_1604
.LBB48_1603:
	v_and_b32_e32 v10, 7, v16
	v_ffbh_u32_e32 v14, v10
	v_min_u32_e32 v14, 32, v14
	v_lshrrev_b16_e32 v11, 3, v16
	v_subrev_u32_e32 v15, 28, v14
	v_and_b32_e32 v11, 15, v11
	v_lshlrev_b32_e32 v15, v15, v16
	v_sub_u32_e32 v14, 29, v14
	v_and_b32_e32 v15, 7, v15
	v_cmp_eq_u16_e32 vcc, 0, v11
	v_cndmask_b32_e32 v10, v10, v15, vcc
	v_cndmask_b32_e32 v11, v11, v14, vcc
	v_lshlrev_b32_e32 v14, 24, v16
	v_mov_b32_e32 v15, 0x3b800000
	v_lshlrev_b32_e32 v10, 20, v10
	v_and_b32_e32 v14, 0x80000000, v14
	v_lshl_add_u32 v11, v11, 23, v15
	v_or3_b32 v10, v14, v11, v10
.LBB48_1604:
	s_or_b64 exec, exec, s[6:7]
	s_movk_i32 s4, 0x7f
	v_cmp_gt_i16_sdwa s[6:7], v12, s4 src0_sel:BYTE_0 src1_sel:DWORD
	s_mov_b64 s[4:5], 0
                                        ; implicit-def: $sgpr10
	s_and_saveexec_b64 s[8:9], s[6:7]
	s_xor_b64 s[6:7], exec, s[8:9]
	s_cbranch_execnz .LBB48_3653
; %bb.1605:
	s_or_saveexec_b64 s[6:7], s[6:7]
	v_mov_b32_e32 v11, s10
	s_xor_b64 exec, exec, s[6:7]
	s_cbranch_execnz .LBB48_3656
.LBB48_1606:
	s_or_b64 exec, exec, s[6:7]
	s_and_saveexec_b64 s[6:7], s[4:5]
	s_cbranch_execz .LBB48_1608
.LBB48_1607:
	v_and_b32_e32 v11, 7, v12
	v_ffbh_u32_e32 v15, v11
	v_min_u32_e32 v15, 32, v15
	v_lshrrev_b16_e32 v14, 3, v12
	v_subrev_u32_e32 v20, 28, v15
	v_and_b32_e32 v14, 15, v14
	v_lshlrev_b32_e32 v20, v20, v12
	v_sub_u32_e32 v15, 29, v15
	v_and_b32_e32 v20, 7, v20
	v_cmp_eq_u16_e32 vcc, 0, v14
	v_cndmask_b32_e32 v11, v11, v20, vcc
	v_cndmask_b32_e32 v14, v14, v15, vcc
	v_lshlrev_b32_e32 v15, 24, v12
	v_mov_b32_e32 v20, 0x3b800000
	v_lshlrev_b32_e32 v11, 20, v11
	v_and_b32_e32 v15, 0x80000000, v15
	v_lshl_add_u32 v14, v14, 23, v20
	v_or3_b32 v11, v15, v14, v11
.LBB48_1608:
	s_or_b64 exec, exec, s[6:7]
	s_nop 0
	v_mfma_f32_16x16x4f32 a[0:3], v10, v11, a[0:3]
	v_lshrrev_b32_e32 v11, 8, v16
	s_movk_i32 s4, 0x7f
	v_cmp_gt_i16_sdwa s[6:7], v11, s4 src0_sel:BYTE_0 src1_sel:DWORD
	s_mov_b64 s[4:5], 0
                                        ; implicit-def: $sgpr10
	s_and_saveexec_b64 s[8:9], s[6:7]
	s_xor_b64 s[6:7], exec, s[8:9]
	s_cbranch_execnz .LBB48_3657
; %bb.1609:
	s_or_saveexec_b64 s[6:7], s[6:7]
	v_mov_b32_e32 v10, s10
	s_xor_b64 exec, exec, s[6:7]
	s_cbranch_execnz .LBB48_3660
.LBB48_1610:
	s_or_b64 exec, exec, s[6:7]
	s_and_saveexec_b64 s[6:7], s[4:5]
	s_cbranch_execz .LBB48_1612
.LBB48_1611:
	v_bfe_u32 v10, v16, 8, 3
	v_ffbh_u32_e32 v15, v10
	v_min_u32_e32 v15, 32, v15
	v_lshrrev_b16_e32 v14, 3, v11
	v_subrev_u32_e32 v20, 28, v15
	v_and_b32_e32 v14, 15, v14
	v_lshlrev_b32_e32 v11, v20, v11
	v_sub_u32_e32 v15, 29, v15
	v_and_b32_e32 v11, 7, v11
	v_cmp_eq_u16_e32 vcc, 0, v14
	v_cndmask_b32_e32 v10, v10, v11, vcc
	v_cndmask_b32_e32 v11, v14, v15, vcc
	v_lshlrev_b32_e32 v14, 16, v16
	v_mov_b32_e32 v15, 0x3b800000
	v_lshlrev_b32_e32 v10, 20, v10
	v_and_b32_e32 v14, 0x80000000, v14
	v_lshl_add_u32 v11, v11, 23, v15
	v_or3_b32 v10, v14, v11, v10
.LBB48_1612:
	s_or_b64 exec, exec, s[6:7]
	v_lshrrev_b32_e32 v11, 8, v12
	s_movk_i32 s4, 0x7f
	v_cmp_gt_i16_sdwa s[6:7], v11, s4 src0_sel:BYTE_0 src1_sel:DWORD
	s_mov_b64 s[4:5], 0
                                        ; implicit-def: $sgpr10
	s_and_saveexec_b64 s[8:9], s[6:7]
	s_xor_b64 s[6:7], exec, s[8:9]
	s_cbranch_execnz .LBB48_3661
; %bb.1613:
	s_or_saveexec_b64 s[6:7], s[6:7]
	v_mov_b32_e32 v14, s10
	s_xor_b64 exec, exec, s[6:7]
	s_cbranch_execnz .LBB48_3664
.LBB48_1614:
	s_or_b64 exec, exec, s[6:7]
	s_and_saveexec_b64 s[6:7], s[4:5]
	s_cbranch_execz .LBB48_1616
.LBB48_1615:
	v_bfe_u32 v14, v12, 8, 3
	v_ffbh_u32_e32 v20, v14
	v_min_u32_e32 v20, 32, v20
	v_lshrrev_b16_e32 v15, 3, v11
	v_subrev_u32_e32 v21, 28, v20
	v_and_b32_e32 v15, 15, v15
	v_lshlrev_b32_e32 v11, v21, v11
	v_sub_u32_e32 v20, 29, v20
	v_and_b32_e32 v11, 7, v11
	v_cmp_eq_u16_e32 vcc, 0, v15
	v_cndmask_b32_e32 v11, v14, v11, vcc
	v_cndmask_b32_e32 v14, v15, v20, vcc
	v_lshlrev_b32_e32 v15, 16, v12
	v_mov_b32_e32 v20, 0x3b800000
	v_lshlrev_b32_e32 v11, 20, v11
	v_and_b32_e32 v15, 0x80000000, v15
	v_lshl_add_u32 v14, v14, 23, v20
	v_or3_b32 v14, v15, v14, v11
.LBB48_1616:
	s_or_b64 exec, exec, s[6:7]
	s_nop 0
	v_mfma_f32_16x16x4f32 a[0:3], v10, v14, a[0:3]
	s_movk_i32 s4, 0xff
	v_and_b32_sdwa v11, v16, s4 dst_sel:DWORD dst_unused:UNUSED_PAD src0_sel:WORD_1 src1_sel:DWORD
	s_movk_i32 s4, 0x7f
	v_cmp_lt_i16_e32 vcc, s4, v11
	s_mov_b64 s[4:5], 0
                                        ; implicit-def: $sgpr10
	s_and_saveexec_b64 s[6:7], vcc
	s_xor_b64 s[6:7], exec, s[6:7]
	s_cbranch_execnz .LBB48_3665
; %bb.1617:
	s_or_saveexec_b64 s[6:7], s[6:7]
	v_mov_b32_e32 v10, s10
	s_xor_b64 exec, exec, s[6:7]
	s_cbranch_execnz .LBB48_3668
.LBB48_1618:
	s_or_b64 exec, exec, s[6:7]
	s_and_saveexec_b64 s[6:7], s[4:5]
	s_cbranch_execz .LBB48_1620
.LBB48_1619:
	v_bfe_u32 v10, v16, 16, 3
	v_ffbh_u32_e32 v15, v10
	v_min_u32_e32 v15, 32, v15
	v_lshrrev_b32_e32 v11, 19, v16
	v_subrev_u32_e32 v20, 28, v15
	v_and_b32_e32 v11, 15, v11
	v_lshlrev_b32_sdwa v20, v20, v16 dst_sel:DWORD dst_unused:UNUSED_PAD src0_sel:DWORD src1_sel:WORD_1
	v_bfe_u32 v14, v16, 19, 4
	v_sub_u32_e32 v15, 29, v15
	v_and_b32_e32 v20, 7, v20
	v_cmp_eq_u16_e32 vcc, 0, v11
	v_cndmask_b32_e32 v10, v10, v20, vcc
	v_cndmask_b32_e32 v11, v14, v15, vcc
	v_lshlrev_b32_e32 v14, 8, v16
	v_mov_b32_e32 v15, 0x3b800000
	v_lshlrev_b32_e32 v10, 20, v10
	v_and_b32_e32 v14, 0x80000000, v14
	v_lshl_add_u32 v11, v11, 23, v15
	v_or3_b32 v10, v14, v11, v10
.LBB48_1620:
	s_or_b64 exec, exec, s[6:7]
	s_movk_i32 s4, 0xff
	v_and_b32_sdwa v11, v12, s4 dst_sel:DWORD dst_unused:UNUSED_PAD src0_sel:WORD_1 src1_sel:DWORD
	s_movk_i32 s4, 0x7f
	v_cmp_lt_i16_e32 vcc, s4, v11
	s_mov_b64 s[4:5], 0
                                        ; implicit-def: $sgpr10
	s_and_saveexec_b64 s[6:7], vcc
	s_xor_b64 s[6:7], exec, s[6:7]
	s_cbranch_execnz .LBB48_3669
; %bb.1621:
	s_or_saveexec_b64 s[6:7], s[6:7]
	v_mov_b32_e32 v14, s10
	s_xor_b64 exec, exec, s[6:7]
	s_cbranch_execnz .LBB48_3672
.LBB48_1622:
	s_or_b64 exec, exec, s[6:7]
	s_and_saveexec_b64 s[6:7], s[4:5]
	s_cbranch_execz .LBB48_1624
.LBB48_1623:
	v_bfe_u32 v11, v12, 16, 3
	v_ffbh_u32_e32 v20, v11
	v_min_u32_e32 v20, 32, v20
	v_lshrrev_b32_e32 v14, 19, v12
	v_subrev_u32_e32 v21, 28, v20
	v_and_b32_e32 v14, 15, v14
	v_lshlrev_b32_sdwa v21, v21, v12 dst_sel:DWORD dst_unused:UNUSED_PAD src0_sel:DWORD src1_sel:WORD_1
	v_bfe_u32 v15, v12, 19, 4
	v_sub_u32_e32 v20, 29, v20
	v_and_b32_e32 v21, 7, v21
	v_cmp_eq_u16_e32 vcc, 0, v14
	v_cndmask_b32_e32 v11, v11, v21, vcc
	v_cndmask_b32_e32 v14, v15, v20, vcc
	v_lshlrev_b32_e32 v15, 8, v12
	v_mov_b32_e32 v20, 0x3b800000
	v_lshlrev_b32_e32 v11, 20, v11
	v_and_b32_e32 v15, 0x80000000, v15
	v_lshl_add_u32 v14, v14, 23, v20
	v_or3_b32 v14, v15, v14, v11
.LBB48_1624:
	s_or_b64 exec, exec, s[6:7]
	s_nop 0
	v_mfma_f32_16x16x4f32 a[0:3], v10, v14, a[0:3]
	s_movk_i32 s4, 0x7f
	v_cmp_gt_i16_sdwa s[6:7], v16, s4 src0_sel:BYTE_3 src1_sel:DWORD
	s_mov_b64 s[4:5], 0
                                        ; implicit-def: $sgpr10
	s_and_saveexec_b64 s[8:9], s[6:7]
	s_xor_b64 s[6:7], exec, s[8:9]
	s_cbranch_execnz .LBB48_3673
; %bb.1625:
	s_or_saveexec_b64 s[6:7], s[6:7]
	v_mov_b32_e32 v10, s10
	s_xor_b64 exec, exec, s[6:7]
	s_cbranch_execnz .LBB48_3676
.LBB48_1626:
	s_or_b64 exec, exec, s[6:7]
	s_and_saveexec_b64 s[6:7], s[4:5]
	s_cbranch_execz .LBB48_1628
.LBB48_1627:
	v_bfe_u32 v10, v16, 24, 3
	v_ffbh_u32_e32 v20, v10
	v_min_u32_e32 v20, 32, v20
	v_lshrrev_b32_e32 v14, 27, v16
	v_subrev_u32_e32 v21, 28, v20
	v_and_b32_e32 v11, 0x80000000, v16
	v_and_b32_e32 v14, 15, v14
	v_bfe_u32 v15, v16, 27, 4
	v_lshlrev_b32_sdwa v16, v21, v16 dst_sel:DWORD dst_unused:UNUSED_PAD src0_sel:DWORD src1_sel:BYTE_3
	v_sub_u32_e32 v20, 29, v20
	v_and_b32_e32 v16, 7, v16
	v_cmp_eq_u16_e32 vcc, 0, v14
	v_cndmask_b32_e32 v10, v10, v16, vcc
	v_cndmask_b32_e32 v14, v15, v20, vcc
	v_mov_b32_e32 v15, 0x3b800000
	v_lshlrev_b32_e32 v10, 20, v10
	v_lshl_add_u32 v14, v14, 23, v15
	v_or3_b32 v10, v11, v14, v10
.LBB48_1628:
	s_or_b64 exec, exec, s[6:7]
	s_movk_i32 s4, 0x7f
	v_cmp_gt_i16_sdwa s[6:7], v12, s4 src0_sel:BYTE_3 src1_sel:DWORD
	s_mov_b64 s[4:5], 0
                                        ; implicit-def: $sgpr10
	s_and_saveexec_b64 s[8:9], s[6:7]
	s_xor_b64 s[6:7], exec, s[8:9]
	s_cbranch_execnz .LBB48_3677
; %bb.1629:
	s_or_saveexec_b64 s[6:7], s[6:7]
	v_mov_b32_e32 v11, s10
	s_xor_b64 exec, exec, s[6:7]
	s_cbranch_execnz .LBB48_3680
.LBB48_1630:
	s_or_b64 exec, exec, s[6:7]
	s_and_saveexec_b64 s[6:7], s[4:5]
	s_cbranch_execz .LBB48_1632
.LBB48_1631:
	v_bfe_u32 v11, v12, 24, 3
	v_ffbh_u32_e32 v20, v11
	v_min_u32_e32 v20, 32, v20
	v_lshrrev_b32_e32 v15, 27, v12
	v_subrev_u32_e32 v21, 28, v20
	v_and_b32_e32 v14, 0x80000000, v12
	v_and_b32_e32 v15, 15, v15
	v_bfe_u32 v16, v12, 27, 4
	v_lshlrev_b32_sdwa v12, v21, v12 dst_sel:DWORD dst_unused:UNUSED_PAD src0_sel:DWORD src1_sel:BYTE_3
	v_sub_u32_e32 v20, 29, v20
	v_and_b32_e32 v12, 7, v12
	v_cmp_eq_u16_e32 vcc, 0, v15
	v_cndmask_b32_e32 v11, v11, v12, vcc
	v_cndmask_b32_e32 v12, v16, v20, vcc
	v_mov_b32_e32 v15, 0x3b800000
	v_lshlrev_b32_e32 v11, 20, v11
	v_lshl_add_u32 v12, v12, 23, v15
	v_or3_b32 v11, v14, v12, v11
.LBB48_1632:
	s_or_b64 exec, exec, s[6:7]
	s_nop 0
	v_mfma_f32_16x16x4f32 a[0:3], v10, v11, a[0:3]
	s_movk_i32 s4, 0x7f
	v_cmp_gt_i16_sdwa s[6:7], v17, s4 src0_sel:BYTE_0 src1_sel:DWORD
	s_mov_b64 s[4:5], 0
                                        ; implicit-def: $sgpr10
	s_and_saveexec_b64 s[8:9], s[6:7]
	s_xor_b64 s[6:7], exec, s[8:9]
	s_cbranch_execnz .LBB48_3681
; %bb.1633:
	s_or_saveexec_b64 s[6:7], s[6:7]
	v_mov_b32_e32 v10, s10
	s_xor_b64 exec, exec, s[6:7]
	s_cbranch_execnz .LBB48_3684
.LBB48_1634:
	s_or_b64 exec, exec, s[6:7]
	s_and_saveexec_b64 s[6:7], s[4:5]
	s_cbranch_execz .LBB48_1636
.LBB48_1635:
	v_and_b32_e32 v10, 7, v17
	v_ffbh_u32_e32 v12, v10
	v_min_u32_e32 v12, 32, v12
	v_lshrrev_b16_e32 v11, 3, v17
	v_subrev_u32_e32 v14, 28, v12
	v_and_b32_e32 v11, 15, v11
	v_lshlrev_b32_e32 v14, v14, v17
	v_sub_u32_e32 v12, 29, v12
	v_and_b32_e32 v14, 7, v14
	v_cmp_eq_u16_e32 vcc, 0, v11
	v_cndmask_b32_e32 v10, v10, v14, vcc
	v_cndmask_b32_e32 v11, v11, v12, vcc
	v_lshlrev_b32_e32 v12, 24, v17
	v_mov_b32_e32 v14, 0x3b800000
	v_lshlrev_b32_e32 v10, 20, v10
	v_and_b32_e32 v12, 0x80000000, v12
	v_lshl_add_u32 v11, v11, 23, v14
	v_or3_b32 v10, v12, v11, v10
.LBB48_1636:
	s_or_b64 exec, exec, s[6:7]
	s_movk_i32 s4, 0x7f
	v_cmp_gt_i16_sdwa s[6:7], v13, s4 src0_sel:BYTE_0 src1_sel:DWORD
	s_mov_b64 s[4:5], 0
                                        ; implicit-def: $sgpr10
	s_and_saveexec_b64 s[8:9], s[6:7]
	s_xor_b64 s[6:7], exec, s[8:9]
	s_cbranch_execnz .LBB48_3685
; %bb.1637:
	s_or_saveexec_b64 s[6:7], s[6:7]
	v_mov_b32_e32 v11, s10
	s_xor_b64 exec, exec, s[6:7]
	s_cbranch_execnz .LBB48_3688
.LBB48_1638:
	s_or_b64 exec, exec, s[6:7]
	s_and_saveexec_b64 s[6:7], s[4:5]
	s_cbranch_execz .LBB48_1640
.LBB48_1639:
	v_and_b32_e32 v11, 7, v13
	v_ffbh_u32_e32 v14, v11
	v_min_u32_e32 v14, 32, v14
	v_lshrrev_b16_e32 v12, 3, v13
	v_subrev_u32_e32 v15, 28, v14
	v_and_b32_e32 v12, 15, v12
	v_lshlrev_b32_e32 v15, v15, v13
	v_sub_u32_e32 v14, 29, v14
	v_and_b32_e32 v15, 7, v15
	v_cmp_eq_u16_e32 vcc, 0, v12
	v_cndmask_b32_e32 v11, v11, v15, vcc
	v_cndmask_b32_e32 v12, v12, v14, vcc
	v_lshlrev_b32_e32 v14, 24, v13
	v_mov_b32_e32 v15, 0x3b800000
	v_lshlrev_b32_e32 v11, 20, v11
	v_and_b32_e32 v14, 0x80000000, v14
	v_lshl_add_u32 v12, v12, 23, v15
	v_or3_b32 v11, v14, v12, v11
.LBB48_1640:
	s_or_b64 exec, exec, s[6:7]
	s_nop 0
	v_mfma_f32_16x16x4f32 a[0:3], v10, v11, a[0:3]
	v_lshrrev_b32_e32 v11, 8, v17
	s_movk_i32 s4, 0x7f
	v_cmp_gt_i16_sdwa s[6:7], v11, s4 src0_sel:BYTE_0 src1_sel:DWORD
	s_mov_b64 s[4:5], 0
                                        ; implicit-def: $sgpr10
	s_and_saveexec_b64 s[8:9], s[6:7]
	s_xor_b64 s[6:7], exec, s[8:9]
	s_cbranch_execnz .LBB48_3689
; %bb.1641:
	s_or_saveexec_b64 s[6:7], s[6:7]
	v_mov_b32_e32 v10, s10
	s_xor_b64 exec, exec, s[6:7]
	s_cbranch_execnz .LBB48_3692
.LBB48_1642:
	s_or_b64 exec, exec, s[6:7]
	s_and_saveexec_b64 s[6:7], s[4:5]
	s_cbranch_execz .LBB48_1644
.LBB48_1643:
	v_bfe_u32 v10, v17, 8, 3
	v_ffbh_u32_e32 v14, v10
	v_min_u32_e32 v14, 32, v14
	v_lshrrev_b16_e32 v12, 3, v11
	v_subrev_u32_e32 v15, 28, v14
	v_and_b32_e32 v12, 15, v12
	v_lshlrev_b32_e32 v11, v15, v11
	v_sub_u32_e32 v14, 29, v14
	v_and_b32_e32 v11, 7, v11
	v_cmp_eq_u16_e32 vcc, 0, v12
	v_cndmask_b32_e32 v10, v10, v11, vcc
	v_cndmask_b32_e32 v11, v12, v14, vcc
	v_lshlrev_b32_e32 v12, 16, v17
	v_mov_b32_e32 v14, 0x3b800000
	v_lshlrev_b32_e32 v10, 20, v10
	v_and_b32_e32 v12, 0x80000000, v12
	v_lshl_add_u32 v11, v11, 23, v14
	v_or3_b32 v10, v12, v11, v10
.LBB48_1644:
	s_or_b64 exec, exec, s[6:7]
	v_lshrrev_b32_e32 v11, 8, v13
	s_movk_i32 s4, 0x7f
	v_cmp_gt_i16_sdwa s[6:7], v11, s4 src0_sel:BYTE_0 src1_sel:DWORD
	s_mov_b64 s[4:5], 0
                                        ; implicit-def: $sgpr10
	s_and_saveexec_b64 s[8:9], s[6:7]
	s_xor_b64 s[6:7], exec, s[8:9]
	s_cbranch_execnz .LBB48_3693
; %bb.1645:
	s_or_saveexec_b64 s[6:7], s[6:7]
	v_mov_b32_e32 v12, s10
	s_xor_b64 exec, exec, s[6:7]
	s_cbranch_execnz .LBB48_3696
.LBB48_1646:
	s_or_b64 exec, exec, s[6:7]
	s_and_saveexec_b64 s[6:7], s[4:5]
	s_cbranch_execz .LBB48_1648
.LBB48_1647:
	v_bfe_u32 v12, v13, 8, 3
	v_ffbh_u32_e32 v15, v12
	v_min_u32_e32 v15, 32, v15
	v_lshrrev_b16_e32 v14, 3, v11
	v_subrev_u32_e32 v16, 28, v15
	v_and_b32_e32 v14, 15, v14
	v_lshlrev_b32_e32 v11, v16, v11
	v_sub_u32_e32 v15, 29, v15
	v_and_b32_e32 v11, 7, v11
	v_cmp_eq_u16_e32 vcc, 0, v14
	v_cndmask_b32_e32 v11, v12, v11, vcc
	v_cndmask_b32_e32 v12, v14, v15, vcc
	v_lshlrev_b32_e32 v14, 16, v13
	v_mov_b32_e32 v15, 0x3b800000
	v_lshlrev_b32_e32 v11, 20, v11
	v_and_b32_e32 v14, 0x80000000, v14
	v_lshl_add_u32 v12, v12, 23, v15
	v_or3_b32 v12, v14, v12, v11
.LBB48_1648:
	s_or_b64 exec, exec, s[6:7]
	s_nop 0
	v_mfma_f32_16x16x4f32 a[0:3], v10, v12, a[0:3]
	s_movk_i32 s4, 0xff
	v_and_b32_sdwa v11, v17, s4 dst_sel:DWORD dst_unused:UNUSED_PAD src0_sel:WORD_1 src1_sel:DWORD
	s_movk_i32 s4, 0x7f
	v_cmp_lt_i16_e32 vcc, s4, v11
	s_mov_b64 s[4:5], 0
                                        ; implicit-def: $sgpr10
	s_and_saveexec_b64 s[6:7], vcc
	s_xor_b64 s[6:7], exec, s[6:7]
	s_cbranch_execnz .LBB48_3697
; %bb.1649:
	s_or_saveexec_b64 s[6:7], s[6:7]
	v_mov_b32_e32 v10, s10
	s_xor_b64 exec, exec, s[6:7]
	s_cbranch_execnz .LBB48_3700
.LBB48_1650:
	s_or_b64 exec, exec, s[6:7]
	s_and_saveexec_b64 s[6:7], s[4:5]
	s_cbranch_execz .LBB48_1652
.LBB48_1651:
	v_bfe_u32 v10, v17, 16, 3
	v_ffbh_u32_e32 v14, v10
	v_min_u32_e32 v14, 32, v14
	v_lshrrev_b32_e32 v11, 19, v17
	v_subrev_u32_e32 v15, 28, v14
	v_and_b32_e32 v11, 15, v11
	v_lshlrev_b32_sdwa v15, v15, v17 dst_sel:DWORD dst_unused:UNUSED_PAD src0_sel:DWORD src1_sel:WORD_1
	v_bfe_u32 v12, v17, 19, 4
	v_sub_u32_e32 v14, 29, v14
	v_and_b32_e32 v15, 7, v15
	v_cmp_eq_u16_e32 vcc, 0, v11
	v_cndmask_b32_e32 v10, v10, v15, vcc
	v_cndmask_b32_e32 v11, v12, v14, vcc
	v_lshlrev_b32_e32 v12, 8, v17
	v_mov_b32_e32 v14, 0x3b800000
	v_lshlrev_b32_e32 v10, 20, v10
	v_and_b32_e32 v12, 0x80000000, v12
	v_lshl_add_u32 v11, v11, 23, v14
	v_or3_b32 v10, v12, v11, v10
.LBB48_1652:
	s_or_b64 exec, exec, s[6:7]
	s_movk_i32 s4, 0xff
	v_and_b32_sdwa v11, v13, s4 dst_sel:DWORD dst_unused:UNUSED_PAD src0_sel:WORD_1 src1_sel:DWORD
	s_movk_i32 s4, 0x7f
	v_cmp_lt_i16_e32 vcc, s4, v11
	s_mov_b64 s[4:5], 0
                                        ; implicit-def: $sgpr10
	s_and_saveexec_b64 s[6:7], vcc
	s_xor_b64 s[6:7], exec, s[6:7]
	s_cbranch_execnz .LBB48_3701
; %bb.1653:
	s_or_saveexec_b64 s[6:7], s[6:7]
	v_mov_b32_e32 v12, s10
	s_xor_b64 exec, exec, s[6:7]
	s_cbranch_execnz .LBB48_3704
.LBB48_1654:
	s_or_b64 exec, exec, s[6:7]
	s_and_saveexec_b64 s[6:7], s[4:5]
	s_cbranch_execz .LBB48_1656
.LBB48_1655:
	v_bfe_u32 v11, v13, 16, 3
	v_ffbh_u32_e32 v15, v11
	v_min_u32_e32 v15, 32, v15
	v_lshrrev_b32_e32 v12, 19, v13
	v_subrev_u32_e32 v16, 28, v15
	v_and_b32_e32 v12, 15, v12
	v_lshlrev_b32_sdwa v16, v16, v13 dst_sel:DWORD dst_unused:UNUSED_PAD src0_sel:DWORD src1_sel:WORD_1
	v_bfe_u32 v14, v13, 19, 4
	v_sub_u32_e32 v15, 29, v15
	v_and_b32_e32 v16, 7, v16
	v_cmp_eq_u16_e32 vcc, 0, v12
	v_cndmask_b32_e32 v11, v11, v16, vcc
	v_cndmask_b32_e32 v12, v14, v15, vcc
	v_lshlrev_b32_e32 v14, 8, v13
	v_mov_b32_e32 v15, 0x3b800000
	v_lshlrev_b32_e32 v11, 20, v11
	v_and_b32_e32 v14, 0x80000000, v14
	v_lshl_add_u32 v12, v12, 23, v15
	v_or3_b32 v12, v14, v12, v11
.LBB48_1656:
	s_or_b64 exec, exec, s[6:7]
	s_nop 0
	v_mfma_f32_16x16x4f32 a[0:3], v10, v12, a[0:3]
	s_movk_i32 s4, 0x7f
	v_cmp_gt_i16_sdwa s[6:7], v17, s4 src0_sel:BYTE_3 src1_sel:DWORD
	s_mov_b64 s[4:5], 0
                                        ; implicit-def: $sgpr10
	s_and_saveexec_b64 s[8:9], s[6:7]
	s_xor_b64 s[6:7], exec, s[8:9]
	s_cbranch_execnz .LBB48_3705
; %bb.1657:
	s_or_saveexec_b64 s[6:7], s[6:7]
	v_mov_b32_e32 v10, s10
	s_xor_b64 exec, exec, s[6:7]
	s_cbranch_execnz .LBB48_3708
.LBB48_1658:
	s_or_b64 exec, exec, s[6:7]
	s_and_saveexec_b64 s[6:7], s[4:5]
	s_cbranch_execz .LBB48_1660
.LBB48_1659:
	v_bfe_u32 v10, v17, 24, 3
	v_ffbh_u32_e32 v15, v10
	v_min_u32_e32 v15, 32, v15
	v_lshrrev_b32_e32 v12, 27, v17
	v_subrev_u32_e32 v16, 28, v15
	v_and_b32_e32 v12, 15, v12
	v_lshlrev_b32_sdwa v16, v16, v17 dst_sel:DWORD dst_unused:UNUSED_PAD src0_sel:DWORD src1_sel:BYTE_3
	v_bfe_u32 v14, v17, 27, 4
	v_sub_u32_e32 v15, 29, v15
	v_and_b32_e32 v16, 7, v16
	v_cmp_eq_u16_e32 vcc, 0, v12
	v_cndmask_b32_e32 v10, v10, v16, vcc
	v_cndmask_b32_e32 v12, v14, v15, vcc
	v_mov_b32_e32 v14, 0x3b800000
	v_and_b32_e32 v11, 0x80000000, v17
	v_lshlrev_b32_e32 v10, 20, v10
	v_lshl_add_u32 v12, v12, 23, v14
	v_or3_b32 v10, v11, v12, v10
.LBB48_1660:
	s_or_b64 exec, exec, s[6:7]
	s_movk_i32 s4, 0x7f
	v_cmp_gt_i16_sdwa s[6:7], v13, s4 src0_sel:BYTE_3 src1_sel:DWORD
	s_mov_b64 s[4:5], 0
                                        ; implicit-def: $sgpr10
	s_and_saveexec_b64 s[8:9], s[6:7]
	s_xor_b64 s[6:7], exec, s[8:9]
	s_cbranch_execnz .LBB48_3709
; %bb.1661:
	s_or_saveexec_b64 s[6:7], s[6:7]
	v_mov_b32_e32 v11, s10
	s_xor_b64 exec, exec, s[6:7]
	s_cbranch_execnz .LBB48_3712
.LBB48_1662:
	s_or_b64 exec, exec, s[6:7]
	s_and_saveexec_b64 s[6:7], s[4:5]
	s_cbranch_execz .LBB48_1664
.LBB48_1663:
	v_bfe_u32 v11, v13, 24, 3
	v_ffbh_u32_e32 v16, v11
	v_min_u32_e32 v16, 32, v16
	v_lshrrev_b32_e32 v14, 27, v13
	v_subrev_u32_e32 v17, 28, v16
	v_and_b32_e32 v12, 0x80000000, v13
	v_and_b32_e32 v14, 15, v14
	v_bfe_u32 v15, v13, 27, 4
	v_lshlrev_b32_sdwa v13, v17, v13 dst_sel:DWORD dst_unused:UNUSED_PAD src0_sel:DWORD src1_sel:BYTE_3
	v_sub_u32_e32 v16, 29, v16
	v_and_b32_e32 v13, 7, v13
	v_cmp_eq_u16_e32 vcc, 0, v14
	v_cndmask_b32_e32 v11, v11, v13, vcc
	v_cndmask_b32_e32 v13, v15, v16, vcc
	v_mov_b32_e32 v14, 0x3b800000
	v_lshlrev_b32_e32 v11, 20, v11
	v_lshl_add_u32 v13, v13, 23, v14
	v_or3_b32 v11, v12, v13, v11
.LBB48_1664:
	s_or_b64 exec, exec, s[6:7]
	s_nop 0
	v_mfma_f32_16x16x4f32 a[0:3], v10, v11, a[0:3]
	s_movk_i32 s4, 0x7f
	v_cmp_gt_i16_sdwa s[6:7], v6, s4 src0_sel:BYTE_0 src1_sel:DWORD
	s_mov_b64 s[4:5], 0
                                        ; implicit-def: $sgpr10
	s_and_saveexec_b64 s[8:9], s[6:7]
	s_xor_b64 s[6:7], exec, s[8:9]
	s_cbranch_execnz .LBB48_3713
; %bb.1665:
	s_or_saveexec_b64 s[6:7], s[6:7]
	v_mov_b32_e32 v10, s10
	s_xor_b64 exec, exec, s[6:7]
	s_cbranch_execnz .LBB48_3716
.LBB48_1666:
	s_or_b64 exec, exec, s[6:7]
	s_and_saveexec_b64 s[6:7], s[4:5]
	s_cbranch_execz .LBB48_1668
.LBB48_1667:
	v_and_b32_e32 v10, 7, v6
	v_ffbh_u32_e32 v12, v10
	v_min_u32_e32 v12, 32, v12
	v_lshrrev_b16_e32 v11, 3, v6
	v_subrev_u32_e32 v13, 28, v12
	v_and_b32_e32 v11, 15, v11
	v_lshlrev_b32_e32 v13, v13, v6
	v_sub_u32_e32 v12, 29, v12
	v_and_b32_e32 v13, 7, v13
	v_cmp_eq_u16_e32 vcc, 0, v11
	v_cndmask_b32_e32 v10, v10, v13, vcc
	v_cndmask_b32_e32 v11, v11, v12, vcc
	v_lshlrev_b32_e32 v12, 24, v6
	v_mov_b32_e32 v13, 0x3b800000
	v_lshlrev_b32_e32 v10, 20, v10
	v_and_b32_e32 v12, 0x80000000, v12
	v_lshl_add_u32 v11, v11, 23, v13
	v_or3_b32 v10, v12, v11, v10
.LBB48_1668:
	s_or_b64 exec, exec, s[6:7]
	s_movk_i32 s4, 0x7f
	v_cmp_gt_i16_sdwa s[6:7], v2, s4 src0_sel:BYTE_0 src1_sel:DWORD
	s_mov_b64 s[4:5], 0
                                        ; implicit-def: $sgpr10
	s_and_saveexec_b64 s[8:9], s[6:7]
	s_xor_b64 s[6:7], exec, s[8:9]
	s_cbranch_execnz .LBB48_3717
; %bb.1669:
	s_or_saveexec_b64 s[6:7], s[6:7]
	v_mov_b32_e32 v11, s10
	s_xor_b64 exec, exec, s[6:7]
	s_cbranch_execnz .LBB48_3720
.LBB48_1670:
	s_or_b64 exec, exec, s[6:7]
	s_and_saveexec_b64 s[6:7], s[4:5]
	s_cbranch_execz .LBB48_1672
.LBB48_1671:
	v_and_b32_e32 v11, 7, v2
	v_ffbh_u32_e32 v13, v11
	v_min_u32_e32 v13, 32, v13
	v_lshrrev_b16_e32 v12, 3, v2
	v_subrev_u32_e32 v14, 28, v13
	v_and_b32_e32 v12, 15, v12
	v_lshlrev_b32_e32 v14, v14, v2
	v_sub_u32_e32 v13, 29, v13
	v_and_b32_e32 v14, 7, v14
	v_cmp_eq_u16_e32 vcc, 0, v12
	v_cndmask_b32_e32 v11, v11, v14, vcc
	v_cndmask_b32_e32 v12, v12, v13, vcc
	v_lshlrev_b32_e32 v13, 24, v2
	v_mov_b32_e32 v14, 0x3b800000
	v_lshlrev_b32_e32 v11, 20, v11
	v_and_b32_e32 v13, 0x80000000, v13
	v_lshl_add_u32 v12, v12, 23, v14
	v_or3_b32 v11, v13, v12, v11
.LBB48_1672:
	s_or_b64 exec, exec, s[6:7]
	s_nop 0
	v_mfma_f32_16x16x4f32 a[0:3], v10, v11, a[0:3]
	v_lshrrev_b32_e32 v11, 8, v6
	s_movk_i32 s4, 0x7f
	v_cmp_gt_i16_sdwa s[6:7], v11, s4 src0_sel:BYTE_0 src1_sel:DWORD
	s_mov_b64 s[4:5], 0
                                        ; implicit-def: $sgpr10
	s_and_saveexec_b64 s[8:9], s[6:7]
	s_xor_b64 s[6:7], exec, s[8:9]
	s_cbranch_execnz .LBB48_3721
; %bb.1673:
	s_or_saveexec_b64 s[6:7], s[6:7]
	v_mov_b32_e32 v10, s10
	s_xor_b64 exec, exec, s[6:7]
	s_cbranch_execnz .LBB48_3724
.LBB48_1674:
	s_or_b64 exec, exec, s[6:7]
	s_and_saveexec_b64 s[6:7], s[4:5]
	s_cbranch_execz .LBB48_1676
.LBB48_1675:
	v_bfe_u32 v10, v6, 8, 3
	v_ffbh_u32_e32 v13, v10
	v_min_u32_e32 v13, 32, v13
	v_lshrrev_b16_e32 v12, 3, v11
	v_subrev_u32_e32 v14, 28, v13
	v_and_b32_e32 v12, 15, v12
	v_lshlrev_b32_e32 v11, v14, v11
	v_sub_u32_e32 v13, 29, v13
	v_and_b32_e32 v11, 7, v11
	v_cmp_eq_u16_e32 vcc, 0, v12
	v_cndmask_b32_e32 v10, v10, v11, vcc
	v_cndmask_b32_e32 v11, v12, v13, vcc
	v_lshlrev_b32_e32 v12, 16, v6
	v_mov_b32_e32 v13, 0x3b800000
	v_lshlrev_b32_e32 v10, 20, v10
	v_and_b32_e32 v12, 0x80000000, v12
	v_lshl_add_u32 v11, v11, 23, v13
	v_or3_b32 v10, v12, v11, v10
.LBB48_1676:
	s_or_b64 exec, exec, s[6:7]
	v_lshrrev_b32_e32 v11, 8, v2
	s_movk_i32 s4, 0x7f
	v_cmp_gt_i16_sdwa s[6:7], v11, s4 src0_sel:BYTE_0 src1_sel:DWORD
	s_mov_b64 s[4:5], 0
                                        ; implicit-def: $sgpr10
	s_and_saveexec_b64 s[8:9], s[6:7]
	s_xor_b64 s[6:7], exec, s[8:9]
	s_cbranch_execnz .LBB48_3725
; %bb.1677:
	s_or_saveexec_b64 s[6:7], s[6:7]
	v_mov_b32_e32 v12, s10
	s_xor_b64 exec, exec, s[6:7]
	s_cbranch_execnz .LBB48_3728
.LBB48_1678:
	s_or_b64 exec, exec, s[6:7]
	s_and_saveexec_b64 s[6:7], s[4:5]
	s_cbranch_execz .LBB48_1680
.LBB48_1679:
	v_bfe_u32 v12, v2, 8, 3
	v_ffbh_u32_e32 v14, v12
	v_min_u32_e32 v14, 32, v14
	v_lshrrev_b16_e32 v13, 3, v11
	v_subrev_u32_e32 v15, 28, v14
	v_and_b32_e32 v13, 15, v13
	v_lshlrev_b32_e32 v11, v15, v11
	v_sub_u32_e32 v14, 29, v14
	v_and_b32_e32 v11, 7, v11
	v_cmp_eq_u16_e32 vcc, 0, v13
	v_cndmask_b32_e32 v11, v12, v11, vcc
	v_cndmask_b32_e32 v12, v13, v14, vcc
	v_lshlrev_b32_e32 v13, 16, v2
	v_mov_b32_e32 v14, 0x3b800000
	v_lshlrev_b32_e32 v11, 20, v11
	v_and_b32_e32 v13, 0x80000000, v13
	v_lshl_add_u32 v12, v12, 23, v14
	v_or3_b32 v12, v13, v12, v11
.LBB48_1680:
	s_or_b64 exec, exec, s[6:7]
	s_nop 0
	v_mfma_f32_16x16x4f32 a[0:3], v10, v12, a[0:3]
	s_movk_i32 s4, 0xff
	v_and_b32_sdwa v11, v6, s4 dst_sel:DWORD dst_unused:UNUSED_PAD src0_sel:WORD_1 src1_sel:DWORD
	s_movk_i32 s4, 0x7f
	v_cmp_lt_i16_e32 vcc, s4, v11
	s_mov_b64 s[4:5], 0
                                        ; implicit-def: $sgpr10
	s_and_saveexec_b64 s[6:7], vcc
	s_xor_b64 s[6:7], exec, s[6:7]
	s_cbranch_execnz .LBB48_3729
; %bb.1681:
	s_or_saveexec_b64 s[6:7], s[6:7]
	v_mov_b32_e32 v10, s10
	s_xor_b64 exec, exec, s[6:7]
	s_cbranch_execnz .LBB48_3732
.LBB48_1682:
	s_or_b64 exec, exec, s[6:7]
	s_and_saveexec_b64 s[6:7], s[4:5]
	s_cbranch_execz .LBB48_1684
.LBB48_1683:
	v_bfe_u32 v10, v6, 16, 3
	v_ffbh_u32_e32 v13, v10
	v_min_u32_e32 v13, 32, v13
	v_lshrrev_b32_e32 v11, 19, v6
	v_subrev_u32_e32 v14, 28, v13
	v_and_b32_e32 v11, 15, v11
	v_lshlrev_b32_sdwa v14, v14, v6 dst_sel:DWORD dst_unused:UNUSED_PAD src0_sel:DWORD src1_sel:WORD_1
	v_bfe_u32 v12, v6, 19, 4
	v_sub_u32_e32 v13, 29, v13
	v_and_b32_e32 v14, 7, v14
	v_cmp_eq_u16_e32 vcc, 0, v11
	v_cndmask_b32_e32 v10, v10, v14, vcc
	v_cndmask_b32_e32 v11, v12, v13, vcc
	v_lshlrev_b32_e32 v12, 8, v6
	v_mov_b32_e32 v13, 0x3b800000
	v_lshlrev_b32_e32 v10, 20, v10
	v_and_b32_e32 v12, 0x80000000, v12
	v_lshl_add_u32 v11, v11, 23, v13
	v_or3_b32 v10, v12, v11, v10
.LBB48_1684:
	s_or_b64 exec, exec, s[6:7]
	s_movk_i32 s4, 0xff
	v_and_b32_sdwa v11, v2, s4 dst_sel:DWORD dst_unused:UNUSED_PAD src0_sel:WORD_1 src1_sel:DWORD
	s_movk_i32 s4, 0x7f
	v_cmp_lt_i16_e32 vcc, s4, v11
	s_mov_b64 s[4:5], 0
                                        ; implicit-def: $sgpr10
	s_and_saveexec_b64 s[6:7], vcc
	s_xor_b64 s[6:7], exec, s[6:7]
	s_cbranch_execnz .LBB48_3733
; %bb.1685:
	s_or_saveexec_b64 s[6:7], s[6:7]
	v_mov_b32_e32 v12, s10
	s_xor_b64 exec, exec, s[6:7]
	s_cbranch_execnz .LBB48_3736
.LBB48_1686:
	s_or_b64 exec, exec, s[6:7]
	s_and_saveexec_b64 s[6:7], s[4:5]
	s_cbranch_execz .LBB48_1688
.LBB48_1687:
	v_bfe_u32 v11, v2, 16, 3
	v_ffbh_u32_e32 v14, v11
	v_min_u32_e32 v14, 32, v14
	v_lshrrev_b32_e32 v12, 19, v2
	v_subrev_u32_e32 v15, 28, v14
	v_and_b32_e32 v12, 15, v12
	v_lshlrev_b32_sdwa v15, v15, v2 dst_sel:DWORD dst_unused:UNUSED_PAD src0_sel:DWORD src1_sel:WORD_1
	v_bfe_u32 v13, v2, 19, 4
	v_sub_u32_e32 v14, 29, v14
	v_and_b32_e32 v15, 7, v15
	v_cmp_eq_u16_e32 vcc, 0, v12
	v_cndmask_b32_e32 v11, v11, v15, vcc
	v_cndmask_b32_e32 v12, v13, v14, vcc
	v_lshlrev_b32_e32 v13, 8, v2
	v_mov_b32_e32 v14, 0x3b800000
	v_lshlrev_b32_e32 v11, 20, v11
	v_and_b32_e32 v13, 0x80000000, v13
	v_lshl_add_u32 v12, v12, 23, v14
	v_or3_b32 v12, v13, v12, v11
.LBB48_1688:
	s_or_b64 exec, exec, s[6:7]
	s_nop 0
	v_mfma_f32_16x16x4f32 a[0:3], v10, v12, a[0:3]
	s_movk_i32 s4, 0x7f
	v_cmp_gt_i16_sdwa s[6:7], v6, s4 src0_sel:BYTE_3 src1_sel:DWORD
	s_mov_b64 s[4:5], 0
                                        ; implicit-def: $sgpr10
	s_and_saveexec_b64 s[8:9], s[6:7]
	s_xor_b64 s[6:7], exec, s[8:9]
	s_cbranch_execnz .LBB48_3737
; %bb.1689:
	s_or_saveexec_b64 s[6:7], s[6:7]
	v_mov_b32_e32 v10, s10
	s_xor_b64 exec, exec, s[6:7]
	s_cbranch_execnz .LBB48_3740
.LBB48_1690:
	s_or_b64 exec, exec, s[6:7]
	s_and_saveexec_b64 s[6:7], s[4:5]
	s_cbranch_execz .LBB48_1692
.LBB48_1691:
	v_bfe_u32 v10, v6, 24, 3
	v_ffbh_u32_e32 v14, v10
	v_min_u32_e32 v14, 32, v14
	v_lshrrev_b32_e32 v12, 27, v6
	v_subrev_u32_e32 v15, 28, v14
	v_and_b32_e32 v11, 0x80000000, v6
	v_and_b32_e32 v12, 15, v12
	v_bfe_u32 v13, v6, 27, 4
	v_lshlrev_b32_sdwa v6, v15, v6 dst_sel:DWORD dst_unused:UNUSED_PAD src0_sel:DWORD src1_sel:BYTE_3
	v_sub_u32_e32 v14, 29, v14
	v_and_b32_e32 v6, 7, v6
	v_cmp_eq_u16_e32 vcc, 0, v12
	v_cndmask_b32_e32 v6, v10, v6, vcc
	v_cndmask_b32_e32 v10, v13, v14, vcc
	v_mov_b32_e32 v12, 0x3b800000
	v_lshlrev_b32_e32 v6, 20, v6
	v_lshl_add_u32 v10, v10, 23, v12
	v_or3_b32 v10, v11, v10, v6
.LBB48_1692:
	s_or_b64 exec, exec, s[6:7]
	s_movk_i32 s4, 0x7f
	v_cmp_gt_i16_sdwa s[6:7], v2, s4 src0_sel:BYTE_3 src1_sel:DWORD
	s_mov_b64 s[4:5], 0
                                        ; implicit-def: $sgpr10
	s_and_saveexec_b64 s[8:9], s[6:7]
	s_xor_b64 s[6:7], exec, s[8:9]
	s_cbranch_execnz .LBB48_3741
; %bb.1693:
	s_or_saveexec_b64 s[6:7], s[6:7]
	v_mov_b32_e32 v6, s10
	s_xor_b64 exec, exec, s[6:7]
	s_cbranch_execnz .LBB48_3744
.LBB48_1694:
	s_or_b64 exec, exec, s[6:7]
	s_and_saveexec_b64 s[6:7], s[4:5]
	s_cbranch_execz .LBB48_1696
.LBB48_1695:
	v_bfe_u32 v6, v2, 24, 3
	v_ffbh_u32_e32 v14, v6
	v_min_u32_e32 v14, 32, v14
	v_lshrrev_b32_e32 v12, 27, v2
	v_subrev_u32_e32 v15, 28, v14
	v_and_b32_e32 v11, 0x80000000, v2
	v_and_b32_e32 v12, 15, v12
	v_bfe_u32 v13, v2, 27, 4
	v_lshlrev_b32_sdwa v2, v15, v2 dst_sel:DWORD dst_unused:UNUSED_PAD src0_sel:DWORD src1_sel:BYTE_3
	v_sub_u32_e32 v14, 29, v14
	v_and_b32_e32 v2, 7, v2
	v_cmp_eq_u16_e32 vcc, 0, v12
	v_cndmask_b32_e32 v2, v6, v2, vcc
	v_cndmask_b32_e32 v6, v13, v14, vcc
	v_mov_b32_e32 v12, 0x3b800000
	v_lshlrev_b32_e32 v2, 20, v2
	v_lshl_add_u32 v6, v6, 23, v12
	v_or3_b32 v6, v11, v6, v2
.LBB48_1696:
	s_or_b64 exec, exec, s[6:7]
	s_nop 0
	v_mfma_f32_16x16x4f32 a[0:3], v10, v6, a[0:3]
	s_movk_i32 s4, 0x7f
	v_cmp_gt_i16_sdwa s[6:7], v7, s4 src0_sel:BYTE_0 src1_sel:DWORD
	s_mov_b64 s[4:5], 0
                                        ; implicit-def: $sgpr10
	s_and_saveexec_b64 s[8:9], s[6:7]
	s_xor_b64 s[6:7], exec, s[8:9]
	s_cbranch_execnz .LBB48_3745
; %bb.1697:
	s_or_saveexec_b64 s[6:7], s[6:7]
	v_mov_b32_e32 v2, s10
	s_xor_b64 exec, exec, s[6:7]
	s_cbranch_execnz .LBB48_3748
.LBB48_1698:
	s_or_b64 exec, exec, s[6:7]
	s_and_saveexec_b64 s[6:7], s[4:5]
	s_cbranch_execz .LBB48_1700
.LBB48_1699:
	v_and_b32_e32 v2, 7, v7
	v_ffbh_u32_e32 v10, v2
	v_min_u32_e32 v10, 32, v10
	v_lshrrev_b16_e32 v6, 3, v7
	v_subrev_u32_e32 v11, 28, v10
	v_and_b32_e32 v6, 15, v6
	v_lshlrev_b32_e32 v11, v11, v7
	v_sub_u32_e32 v10, 29, v10
	v_and_b32_e32 v11, 7, v11
	v_cmp_eq_u16_e32 vcc, 0, v6
	v_cndmask_b32_e32 v2, v2, v11, vcc
	v_cndmask_b32_e32 v6, v6, v10, vcc
	v_lshlrev_b32_e32 v10, 24, v7
	v_mov_b32_e32 v11, 0x3b800000
	v_lshlrev_b32_e32 v2, 20, v2
	v_and_b32_e32 v10, 0x80000000, v10
	v_lshl_add_u32 v6, v6, 23, v11
	v_or3_b32 v2, v10, v6, v2
.LBB48_1700:
	s_or_b64 exec, exec, s[6:7]
	s_movk_i32 s4, 0x7f
	v_cmp_gt_i16_sdwa s[6:7], v3, s4 src0_sel:BYTE_0 src1_sel:DWORD
	s_mov_b64 s[4:5], 0
                                        ; implicit-def: $sgpr10
	s_and_saveexec_b64 s[8:9], s[6:7]
	s_xor_b64 s[6:7], exec, s[8:9]
	s_cbranch_execnz .LBB48_3749
; %bb.1701:
	s_or_saveexec_b64 s[6:7], s[6:7]
	v_mov_b32_e32 v6, s10
	s_xor_b64 exec, exec, s[6:7]
	s_cbranch_execnz .LBB48_3752
.LBB48_1702:
	s_or_b64 exec, exec, s[6:7]
	s_and_saveexec_b64 s[6:7], s[4:5]
	s_cbranch_execz .LBB48_1704
.LBB48_1703:
	v_and_b32_e32 v6, 7, v3
	v_ffbh_u32_e32 v11, v6
	v_min_u32_e32 v11, 32, v11
	v_lshrrev_b16_e32 v10, 3, v3
	v_subrev_u32_e32 v12, 28, v11
	v_and_b32_e32 v10, 15, v10
	v_lshlrev_b32_e32 v12, v12, v3
	v_sub_u32_e32 v11, 29, v11
	v_and_b32_e32 v12, 7, v12
	v_cmp_eq_u16_e32 vcc, 0, v10
	v_cndmask_b32_e32 v6, v6, v12, vcc
	v_cndmask_b32_e32 v10, v10, v11, vcc
	v_lshlrev_b32_e32 v11, 24, v3
	v_mov_b32_e32 v12, 0x3b800000
	v_lshlrev_b32_e32 v6, 20, v6
	v_and_b32_e32 v11, 0x80000000, v11
	v_lshl_add_u32 v10, v10, 23, v12
	v_or3_b32 v6, v11, v10, v6
.LBB48_1704:
	s_or_b64 exec, exec, s[6:7]
	s_nop 0
	v_mfma_f32_16x16x4f32 a[0:3], v2, v6, a[0:3]
	v_lshrrev_b32_e32 v6, 8, v7
	s_movk_i32 s4, 0x7f
	v_cmp_gt_i16_sdwa s[6:7], v6, s4 src0_sel:BYTE_0 src1_sel:DWORD
	s_mov_b64 s[4:5], 0
                                        ; implicit-def: $sgpr10
	s_and_saveexec_b64 s[8:9], s[6:7]
	s_xor_b64 s[6:7], exec, s[8:9]
	s_cbranch_execnz .LBB48_3753
; %bb.1705:
	s_or_saveexec_b64 s[6:7], s[6:7]
	v_mov_b32_e32 v2, s10
	s_xor_b64 exec, exec, s[6:7]
	s_cbranch_execnz .LBB48_3756
.LBB48_1706:
	s_or_b64 exec, exec, s[6:7]
	s_and_saveexec_b64 s[6:7], s[4:5]
	s_cbranch_execz .LBB48_1708
.LBB48_1707:
	v_bfe_u32 v2, v7, 8, 3
	v_ffbh_u32_e32 v11, v2
	v_min_u32_e32 v11, 32, v11
	v_lshrrev_b16_e32 v10, 3, v6
	v_subrev_u32_e32 v12, 28, v11
	v_and_b32_e32 v10, 15, v10
	v_lshlrev_b32_e32 v6, v12, v6
	v_sub_u32_e32 v11, 29, v11
	v_and_b32_e32 v6, 7, v6
	v_cmp_eq_u16_e32 vcc, 0, v10
	v_cndmask_b32_e32 v2, v2, v6, vcc
	v_cndmask_b32_e32 v6, v10, v11, vcc
	v_lshlrev_b32_e32 v10, 16, v7
	v_mov_b32_e32 v11, 0x3b800000
	v_lshlrev_b32_e32 v2, 20, v2
	v_and_b32_e32 v10, 0x80000000, v10
	v_lshl_add_u32 v6, v6, 23, v11
	v_or3_b32 v2, v10, v6, v2
.LBB48_1708:
	s_or_b64 exec, exec, s[6:7]
	v_lshrrev_b32_e32 v6, 8, v3
	s_movk_i32 s4, 0x7f
	v_cmp_gt_i16_sdwa s[6:7], v6, s4 src0_sel:BYTE_0 src1_sel:DWORD
	s_mov_b64 s[4:5], 0
                                        ; implicit-def: $sgpr10
	s_and_saveexec_b64 s[8:9], s[6:7]
	s_xor_b64 s[6:7], exec, s[8:9]
	s_cbranch_execnz .LBB48_3757
; %bb.1709:
	s_or_saveexec_b64 s[6:7], s[6:7]
	v_mov_b32_e32 v10, s10
	s_xor_b64 exec, exec, s[6:7]
	s_cbranch_execnz .LBB48_3760
.LBB48_1710:
	s_or_b64 exec, exec, s[6:7]
	s_and_saveexec_b64 s[6:7], s[4:5]
	s_cbranch_execz .LBB48_1712
.LBB48_1711:
	v_bfe_u32 v10, v3, 8, 3
	v_ffbh_u32_e32 v12, v10
	v_min_u32_e32 v12, 32, v12
	v_lshrrev_b16_e32 v11, 3, v6
	v_subrev_u32_e32 v13, 28, v12
	v_and_b32_e32 v11, 15, v11
	v_lshlrev_b32_e32 v6, v13, v6
	v_sub_u32_e32 v12, 29, v12
	v_and_b32_e32 v6, 7, v6
	v_cmp_eq_u16_e32 vcc, 0, v11
	v_cndmask_b32_e32 v6, v10, v6, vcc
	v_cndmask_b32_e32 v10, v11, v12, vcc
	v_lshlrev_b32_e32 v11, 16, v3
	v_mov_b32_e32 v12, 0x3b800000
	v_lshlrev_b32_e32 v6, 20, v6
	v_and_b32_e32 v11, 0x80000000, v11
	v_lshl_add_u32 v10, v10, 23, v12
	v_or3_b32 v10, v11, v10, v6
.LBB48_1712:
	s_or_b64 exec, exec, s[6:7]
	s_nop 0
	v_mfma_f32_16x16x4f32 a[0:3], v2, v10, a[0:3]
	s_movk_i32 s4, 0xff
	v_and_b32_sdwa v6, v7, s4 dst_sel:DWORD dst_unused:UNUSED_PAD src0_sel:WORD_1 src1_sel:DWORD
	s_movk_i32 s4, 0x7f
	v_cmp_lt_i16_e32 vcc, s4, v6
	s_mov_b64 s[4:5], 0
                                        ; implicit-def: $sgpr10
	s_and_saveexec_b64 s[6:7], vcc
	s_xor_b64 s[6:7], exec, s[6:7]
	s_cbranch_execnz .LBB48_3761
; %bb.1713:
	s_or_saveexec_b64 s[6:7], s[6:7]
	v_mov_b32_e32 v2, s10
	s_xor_b64 exec, exec, s[6:7]
	s_cbranch_execnz .LBB48_3764
.LBB48_1714:
	s_or_b64 exec, exec, s[6:7]
	s_and_saveexec_b64 s[6:7], s[4:5]
	s_cbranch_execz .LBB48_1716
.LBB48_1715:
	v_bfe_u32 v2, v7, 16, 3
	v_ffbh_u32_e32 v11, v2
	v_min_u32_e32 v11, 32, v11
	v_lshrrev_b32_e32 v6, 19, v7
	v_subrev_u32_e32 v12, 28, v11
	v_and_b32_e32 v6, 15, v6
	v_lshlrev_b32_sdwa v12, v12, v7 dst_sel:DWORD dst_unused:UNUSED_PAD src0_sel:DWORD src1_sel:WORD_1
	v_bfe_u32 v10, v7, 19, 4
	v_sub_u32_e32 v11, 29, v11
	v_and_b32_e32 v12, 7, v12
	v_cmp_eq_u16_e32 vcc, 0, v6
	v_cndmask_b32_e32 v2, v2, v12, vcc
	v_cndmask_b32_e32 v6, v10, v11, vcc
	v_lshlrev_b32_e32 v10, 8, v7
	v_mov_b32_e32 v11, 0x3b800000
	v_lshlrev_b32_e32 v2, 20, v2
	v_and_b32_e32 v10, 0x80000000, v10
	v_lshl_add_u32 v6, v6, 23, v11
	v_or3_b32 v2, v10, v6, v2
.LBB48_1716:
	s_or_b64 exec, exec, s[6:7]
	s_movk_i32 s4, 0xff
	v_and_b32_sdwa v6, v3, s4 dst_sel:DWORD dst_unused:UNUSED_PAD src0_sel:WORD_1 src1_sel:DWORD
	s_movk_i32 s4, 0x7f
	v_cmp_lt_i16_e32 vcc, s4, v6
	s_mov_b64 s[4:5], 0
                                        ; implicit-def: $sgpr10
	s_and_saveexec_b64 s[6:7], vcc
	s_xor_b64 s[6:7], exec, s[6:7]
	s_cbranch_execnz .LBB48_3765
; %bb.1717:
	s_or_saveexec_b64 s[6:7], s[6:7]
	v_mov_b32_e32 v10, s10
	s_xor_b64 exec, exec, s[6:7]
	s_cbranch_execnz .LBB48_3768
.LBB48_1718:
	s_or_b64 exec, exec, s[6:7]
	s_and_saveexec_b64 s[6:7], s[4:5]
	s_cbranch_execz .LBB48_1720
.LBB48_1719:
	v_bfe_u32 v6, v3, 16, 3
	v_ffbh_u32_e32 v12, v6
	v_min_u32_e32 v12, 32, v12
	v_lshrrev_b32_e32 v10, 19, v3
	v_subrev_u32_e32 v13, 28, v12
	v_and_b32_e32 v10, 15, v10
	v_lshlrev_b32_sdwa v13, v13, v3 dst_sel:DWORD dst_unused:UNUSED_PAD src0_sel:DWORD src1_sel:WORD_1
	v_bfe_u32 v11, v3, 19, 4
	v_sub_u32_e32 v12, 29, v12
	v_and_b32_e32 v13, 7, v13
	v_cmp_eq_u16_e32 vcc, 0, v10
	v_cndmask_b32_e32 v6, v6, v13, vcc
	v_cndmask_b32_e32 v10, v11, v12, vcc
	v_lshlrev_b32_e32 v11, 8, v3
	v_mov_b32_e32 v12, 0x3b800000
	v_lshlrev_b32_e32 v6, 20, v6
	v_and_b32_e32 v11, 0x80000000, v11
	v_lshl_add_u32 v10, v10, 23, v12
	v_or3_b32 v10, v11, v10, v6
.LBB48_1720:
	s_or_b64 exec, exec, s[6:7]
	s_nop 0
	v_mfma_f32_16x16x4f32 a[0:3], v2, v10, a[0:3]
	s_movk_i32 s4, 0x7f
	v_cmp_gt_i16_sdwa s[6:7], v7, s4 src0_sel:BYTE_3 src1_sel:DWORD
	s_mov_b64 s[4:5], 0
                                        ; implicit-def: $sgpr10
	s_and_saveexec_b64 s[8:9], s[6:7]
	s_xor_b64 s[6:7], exec, s[8:9]
	s_cbranch_execnz .LBB48_3769
; %bb.1721:
	s_or_saveexec_b64 s[6:7], s[6:7]
	v_mov_b32_e32 v2, s10
	s_xor_b64 exec, exec, s[6:7]
	s_cbranch_execnz .LBB48_3772
.LBB48_1722:
	s_or_b64 exec, exec, s[6:7]
	s_and_saveexec_b64 s[6:7], s[4:5]
	s_cbranch_execz .LBB48_1724
.LBB48_1723:
	v_bfe_u32 v2, v7, 24, 3
	v_ffbh_u32_e32 v12, v2
	v_min_u32_e32 v12, 32, v12
	v_lshrrev_b32_e32 v10, 27, v7
	v_subrev_u32_e32 v13, 28, v12
	v_and_b32_e32 v6, 0x80000000, v7
	v_and_b32_e32 v10, 15, v10
	v_bfe_u32 v11, v7, 27, 4
	v_lshlrev_b32_sdwa v7, v13, v7 dst_sel:DWORD dst_unused:UNUSED_PAD src0_sel:DWORD src1_sel:BYTE_3
	v_sub_u32_e32 v12, 29, v12
	v_and_b32_e32 v7, 7, v7
	v_cmp_eq_u16_e32 vcc, 0, v10
	v_cndmask_b32_e32 v2, v2, v7, vcc
	v_cndmask_b32_e32 v7, v11, v12, vcc
	v_mov_b32_e32 v10, 0x3b800000
	v_lshlrev_b32_e32 v2, 20, v2
	v_lshl_add_u32 v7, v7, 23, v10
	v_or3_b32 v2, v6, v7, v2
.LBB48_1724:
	s_or_b64 exec, exec, s[6:7]
	s_movk_i32 s4, 0x7f
	v_cmp_gt_i16_sdwa s[6:7], v3, s4 src0_sel:BYTE_3 src1_sel:DWORD
	s_mov_b64 s[4:5], 0
                                        ; implicit-def: $sgpr10
	s_and_saveexec_b64 s[8:9], s[6:7]
	s_xor_b64 s[6:7], exec, s[8:9]
	s_cbranch_execnz .LBB48_3773
; %bb.1725:
	s_or_saveexec_b64 s[6:7], s[6:7]
	v_mov_b32_e32 v6, s10
	s_xor_b64 exec, exec, s[6:7]
	s_cbranch_execnz .LBB48_3776
.LBB48_1726:
	s_or_b64 exec, exec, s[6:7]
	s_and_saveexec_b64 s[6:7], s[4:5]
	s_cbranch_execz .LBB48_1728
.LBB48_1727:
	v_bfe_u32 v6, v3, 24, 3
	v_ffbh_u32_e32 v12, v6
	v_min_u32_e32 v12, 32, v12
	v_lshrrev_b32_e32 v10, 27, v3
	v_subrev_u32_e32 v13, 28, v12
	v_and_b32_e32 v7, 0x80000000, v3
	v_and_b32_e32 v10, 15, v10
	v_bfe_u32 v11, v3, 27, 4
	v_lshlrev_b32_sdwa v3, v13, v3 dst_sel:DWORD dst_unused:UNUSED_PAD src0_sel:DWORD src1_sel:BYTE_3
	v_sub_u32_e32 v12, 29, v12
	v_and_b32_e32 v3, 7, v3
	v_cmp_eq_u16_e32 vcc, 0, v10
	v_cndmask_b32_e32 v3, v6, v3, vcc
	v_cndmask_b32_e32 v6, v11, v12, vcc
	v_mov_b32_e32 v10, 0x3b800000
	v_lshlrev_b32_e32 v3, 20, v3
	v_lshl_add_u32 v6, v6, 23, v10
	v_or3_b32 v6, v7, v6, v3
.LBB48_1728:
	s_or_b64 exec, exec, s[6:7]
	s_nop 0
	v_mfma_f32_16x16x4f32 a[0:3], v2, v6, a[0:3]
	s_movk_i32 s4, 0x7f
	v_cmp_gt_i16_sdwa s[6:7], v8, s4 src0_sel:BYTE_0 src1_sel:DWORD
	s_mov_b64 s[4:5], 0
                                        ; implicit-def: $sgpr10
	s_and_saveexec_b64 s[8:9], s[6:7]
	s_xor_b64 s[6:7], exec, s[8:9]
	s_cbranch_execnz .LBB48_3777
; %bb.1729:
	s_or_saveexec_b64 s[6:7], s[6:7]
	v_mov_b32_e32 v2, s10
	s_xor_b64 exec, exec, s[6:7]
	s_cbranch_execnz .LBB48_3780
.LBB48_1730:
	s_or_b64 exec, exec, s[6:7]
	s_and_saveexec_b64 s[6:7], s[4:5]
	s_cbranch_execz .LBB48_1732
.LBB48_1731:
	v_and_b32_e32 v2, 7, v8
	v_ffbh_u32_e32 v6, v2
	v_min_u32_e32 v6, 32, v6
	v_lshrrev_b16_e32 v3, 3, v8
	v_subrev_u32_e32 v7, 28, v6
	v_and_b32_e32 v3, 15, v3
	v_lshlrev_b32_e32 v7, v7, v8
	v_sub_u32_e32 v6, 29, v6
	v_and_b32_e32 v7, 7, v7
	v_cmp_eq_u16_e32 vcc, 0, v3
	v_cndmask_b32_e32 v2, v2, v7, vcc
	v_cndmask_b32_e32 v3, v3, v6, vcc
	v_lshlrev_b32_e32 v6, 24, v8
	v_mov_b32_e32 v7, 0x3b800000
	v_lshlrev_b32_e32 v2, 20, v2
	v_and_b32_e32 v6, 0x80000000, v6
	v_lshl_add_u32 v3, v3, 23, v7
	v_or3_b32 v2, v6, v3, v2
.LBB48_1732:
	s_or_b64 exec, exec, s[6:7]
	s_movk_i32 s4, 0x7f
	v_cmp_gt_i16_sdwa s[6:7], v4, s4 src0_sel:BYTE_0 src1_sel:DWORD
	s_mov_b64 s[4:5], 0
                                        ; implicit-def: $sgpr10
	s_and_saveexec_b64 s[8:9], s[6:7]
	s_xor_b64 s[6:7], exec, s[8:9]
	s_cbranch_execnz .LBB48_3781
; %bb.1733:
	s_or_saveexec_b64 s[6:7], s[6:7]
	v_mov_b32_e32 v3, s10
	s_xor_b64 exec, exec, s[6:7]
	s_cbranch_execnz .LBB48_3784
.LBB48_1734:
	s_or_b64 exec, exec, s[6:7]
	s_and_saveexec_b64 s[6:7], s[4:5]
	s_cbranch_execz .LBB48_1736
.LBB48_1735:
	v_and_b32_e32 v3, 7, v4
	v_ffbh_u32_e32 v7, v3
	v_min_u32_e32 v7, 32, v7
	v_lshrrev_b16_e32 v6, 3, v4
	v_subrev_u32_e32 v10, 28, v7
	v_and_b32_e32 v6, 15, v6
	v_lshlrev_b32_e32 v10, v10, v4
	v_sub_u32_e32 v7, 29, v7
	v_and_b32_e32 v10, 7, v10
	v_cmp_eq_u16_e32 vcc, 0, v6
	v_cndmask_b32_e32 v3, v3, v10, vcc
	v_cndmask_b32_e32 v6, v6, v7, vcc
	v_lshlrev_b32_e32 v7, 24, v4
	v_mov_b32_e32 v10, 0x3b800000
	v_lshlrev_b32_e32 v3, 20, v3
	v_and_b32_e32 v7, 0x80000000, v7
	v_lshl_add_u32 v6, v6, 23, v10
	v_or3_b32 v3, v7, v6, v3
.LBB48_1736:
	s_or_b64 exec, exec, s[6:7]
	s_nop 0
	v_mfma_f32_16x16x4f32 a[0:3], v2, v3, a[0:3]
	v_lshrrev_b32_e32 v3, 8, v8
	s_movk_i32 s4, 0x7f
	v_cmp_gt_i16_sdwa s[6:7], v3, s4 src0_sel:BYTE_0 src1_sel:DWORD
	s_mov_b64 s[4:5], 0
                                        ; implicit-def: $sgpr10
	s_and_saveexec_b64 s[8:9], s[6:7]
	s_xor_b64 s[6:7], exec, s[8:9]
	s_cbranch_execnz .LBB48_3785
; %bb.1737:
	s_or_saveexec_b64 s[6:7], s[6:7]
	v_mov_b32_e32 v2, s10
	s_xor_b64 exec, exec, s[6:7]
	s_cbranch_execnz .LBB48_3788
.LBB48_1738:
	s_or_b64 exec, exec, s[6:7]
	s_and_saveexec_b64 s[6:7], s[4:5]
	s_cbranch_execz .LBB48_1740
.LBB48_1739:
	v_bfe_u32 v2, v8, 8, 3
	v_ffbh_u32_e32 v7, v2
	v_min_u32_e32 v7, 32, v7
	v_lshrrev_b16_e32 v6, 3, v3
	v_subrev_u32_e32 v10, 28, v7
	v_and_b32_e32 v6, 15, v6
	v_lshlrev_b32_e32 v3, v10, v3
	v_sub_u32_e32 v7, 29, v7
	v_and_b32_e32 v3, 7, v3
	v_cmp_eq_u16_e32 vcc, 0, v6
	v_cndmask_b32_e32 v2, v2, v3, vcc
	v_cndmask_b32_e32 v3, v6, v7, vcc
	v_lshlrev_b32_e32 v6, 16, v8
	v_mov_b32_e32 v7, 0x3b800000
	v_lshlrev_b32_e32 v2, 20, v2
	v_and_b32_e32 v6, 0x80000000, v6
	v_lshl_add_u32 v3, v3, 23, v7
	v_or3_b32 v2, v6, v3, v2
.LBB48_1740:
	s_or_b64 exec, exec, s[6:7]
	v_lshrrev_b32_e32 v3, 8, v4
	s_movk_i32 s4, 0x7f
	v_cmp_gt_i16_sdwa s[6:7], v3, s4 src0_sel:BYTE_0 src1_sel:DWORD
	s_mov_b64 s[4:5], 0
                                        ; implicit-def: $sgpr10
	s_and_saveexec_b64 s[8:9], s[6:7]
	s_xor_b64 s[6:7], exec, s[8:9]
	s_cbranch_execnz .LBB48_3789
; %bb.1741:
	s_or_saveexec_b64 s[6:7], s[6:7]
	v_mov_b32_e32 v6, s10
	s_xor_b64 exec, exec, s[6:7]
	s_cbranch_execnz .LBB48_3792
.LBB48_1742:
	s_or_b64 exec, exec, s[6:7]
	s_and_saveexec_b64 s[6:7], s[4:5]
	s_cbranch_execz .LBB48_1744
.LBB48_1743:
	v_bfe_u32 v6, v4, 8, 3
	v_ffbh_u32_e32 v10, v6
	v_min_u32_e32 v10, 32, v10
	v_lshrrev_b16_e32 v7, 3, v3
	v_subrev_u32_e32 v11, 28, v10
	v_and_b32_e32 v7, 15, v7
	v_lshlrev_b32_e32 v3, v11, v3
	v_sub_u32_e32 v10, 29, v10
	v_and_b32_e32 v3, 7, v3
	v_cmp_eq_u16_e32 vcc, 0, v7
	v_cndmask_b32_e32 v3, v6, v3, vcc
	v_cndmask_b32_e32 v6, v7, v10, vcc
	v_lshlrev_b32_e32 v7, 16, v4
	v_mov_b32_e32 v10, 0x3b800000
	v_lshlrev_b32_e32 v3, 20, v3
	v_and_b32_e32 v7, 0x80000000, v7
	v_lshl_add_u32 v6, v6, 23, v10
	v_or3_b32 v6, v7, v6, v3
.LBB48_1744:
	s_or_b64 exec, exec, s[6:7]
	s_nop 0
	v_mfma_f32_16x16x4f32 a[0:3], v2, v6, a[0:3]
	s_movk_i32 s4, 0xff
	v_and_b32_sdwa v3, v8, s4 dst_sel:DWORD dst_unused:UNUSED_PAD src0_sel:WORD_1 src1_sel:DWORD
	s_movk_i32 s4, 0x7f
	v_cmp_lt_i16_e32 vcc, s4, v3
	s_mov_b64 s[4:5], 0
                                        ; implicit-def: $sgpr10
	s_and_saveexec_b64 s[6:7], vcc
	s_xor_b64 s[6:7], exec, s[6:7]
	s_cbranch_execnz .LBB48_3793
; %bb.1745:
	s_or_saveexec_b64 s[6:7], s[6:7]
	v_mov_b32_e32 v2, s10
	s_xor_b64 exec, exec, s[6:7]
	s_cbranch_execnz .LBB48_3796
.LBB48_1746:
	s_or_b64 exec, exec, s[6:7]
	s_and_saveexec_b64 s[6:7], s[4:5]
	s_cbranch_execz .LBB48_1748
.LBB48_1747:
	v_bfe_u32 v2, v8, 16, 3
	v_ffbh_u32_e32 v7, v2
	v_min_u32_e32 v7, 32, v7
	v_lshrrev_b32_e32 v3, 19, v8
	v_subrev_u32_e32 v10, 28, v7
	v_and_b32_e32 v3, 15, v3
	v_lshlrev_b32_sdwa v10, v10, v8 dst_sel:DWORD dst_unused:UNUSED_PAD src0_sel:DWORD src1_sel:WORD_1
	v_bfe_u32 v6, v8, 19, 4
	v_sub_u32_e32 v7, 29, v7
	v_and_b32_e32 v10, 7, v10
	v_cmp_eq_u16_e32 vcc, 0, v3
	v_cndmask_b32_e32 v2, v2, v10, vcc
	v_cndmask_b32_e32 v3, v6, v7, vcc
	v_lshlrev_b32_e32 v6, 8, v8
	v_mov_b32_e32 v7, 0x3b800000
	v_lshlrev_b32_e32 v2, 20, v2
	v_and_b32_e32 v6, 0x80000000, v6
	v_lshl_add_u32 v3, v3, 23, v7
	v_or3_b32 v2, v6, v3, v2
.LBB48_1748:
	s_or_b64 exec, exec, s[6:7]
	s_movk_i32 s4, 0xff
	v_and_b32_sdwa v3, v4, s4 dst_sel:DWORD dst_unused:UNUSED_PAD src0_sel:WORD_1 src1_sel:DWORD
	s_movk_i32 s4, 0x7f
	v_cmp_lt_i16_e32 vcc, s4, v3
	s_mov_b64 s[4:5], 0
                                        ; implicit-def: $sgpr10
	s_and_saveexec_b64 s[6:7], vcc
	s_xor_b64 s[6:7], exec, s[6:7]
	s_cbranch_execnz .LBB48_3797
; %bb.1749:
	s_or_saveexec_b64 s[6:7], s[6:7]
	v_mov_b32_e32 v6, s10
	s_xor_b64 exec, exec, s[6:7]
	s_cbranch_execnz .LBB48_3800
.LBB48_1750:
	s_or_b64 exec, exec, s[6:7]
	s_and_saveexec_b64 s[6:7], s[4:5]
	s_cbranch_execz .LBB48_1752
.LBB48_1751:
	v_bfe_u32 v3, v4, 16, 3
	v_ffbh_u32_e32 v10, v3
	v_min_u32_e32 v10, 32, v10
	v_lshrrev_b32_e32 v6, 19, v4
	v_subrev_u32_e32 v11, 28, v10
	v_and_b32_e32 v6, 15, v6
	v_lshlrev_b32_sdwa v11, v11, v4 dst_sel:DWORD dst_unused:UNUSED_PAD src0_sel:DWORD src1_sel:WORD_1
	v_bfe_u32 v7, v4, 19, 4
	v_sub_u32_e32 v10, 29, v10
	v_and_b32_e32 v11, 7, v11
	v_cmp_eq_u16_e32 vcc, 0, v6
	v_cndmask_b32_e32 v3, v3, v11, vcc
	v_cndmask_b32_e32 v6, v7, v10, vcc
	v_lshlrev_b32_e32 v7, 8, v4
	v_mov_b32_e32 v10, 0x3b800000
	v_lshlrev_b32_e32 v3, 20, v3
	v_and_b32_e32 v7, 0x80000000, v7
	v_lshl_add_u32 v6, v6, 23, v10
	v_or3_b32 v6, v7, v6, v3
.LBB48_1752:
	s_or_b64 exec, exec, s[6:7]
	s_nop 0
	v_mfma_f32_16x16x4f32 a[0:3], v2, v6, a[0:3]
	s_movk_i32 s4, 0x7f
	v_cmp_gt_i16_sdwa s[6:7], v8, s4 src0_sel:BYTE_3 src1_sel:DWORD
	s_mov_b64 s[4:5], 0
                                        ; implicit-def: $sgpr10
	s_and_saveexec_b64 s[8:9], s[6:7]
	s_xor_b64 s[6:7], exec, s[8:9]
	s_cbranch_execnz .LBB48_3801
; %bb.1753:
	s_or_saveexec_b64 s[6:7], s[6:7]
	v_mov_b32_e32 v2, s10
	s_xor_b64 exec, exec, s[6:7]
	s_cbranch_execnz .LBB48_3804
.LBB48_1754:
	s_or_b64 exec, exec, s[6:7]
	s_and_saveexec_b64 s[6:7], s[4:5]
	s_cbranch_execz .LBB48_1756
.LBB48_1755:
	v_bfe_u32 v2, v8, 24, 3
	v_ffbh_u32_e32 v10, v2
	v_min_u32_e32 v10, 32, v10
	v_lshrrev_b32_e32 v6, 27, v8
	v_subrev_u32_e32 v11, 28, v10
	v_and_b32_e32 v3, 0x80000000, v8
	v_and_b32_e32 v6, 15, v6
	v_bfe_u32 v7, v8, 27, 4
	v_lshlrev_b32_sdwa v8, v11, v8 dst_sel:DWORD dst_unused:UNUSED_PAD src0_sel:DWORD src1_sel:BYTE_3
	v_sub_u32_e32 v10, 29, v10
	v_and_b32_e32 v8, 7, v8
	v_cmp_eq_u16_e32 vcc, 0, v6
	v_cndmask_b32_e32 v2, v2, v8, vcc
	v_cndmask_b32_e32 v6, v7, v10, vcc
	v_mov_b32_e32 v7, 0x3b800000
	v_lshlrev_b32_e32 v2, 20, v2
	v_lshl_add_u32 v6, v6, 23, v7
	v_or3_b32 v2, v3, v6, v2
.LBB48_1756:
	s_or_b64 exec, exec, s[6:7]
	s_movk_i32 s4, 0x7f
	v_cmp_gt_i16_sdwa s[6:7], v4, s4 src0_sel:BYTE_3 src1_sel:DWORD
	s_mov_b64 s[4:5], 0
                                        ; implicit-def: $sgpr10
	s_and_saveexec_b64 s[8:9], s[6:7]
	s_xor_b64 s[6:7], exec, s[8:9]
	s_cbranch_execnz .LBB48_3805
; %bb.1757:
	s_or_saveexec_b64 s[6:7], s[6:7]
	v_mov_b32_e32 v3, s10
	s_xor_b64 exec, exec, s[6:7]
	s_cbranch_execnz .LBB48_3808
.LBB48_1758:
	s_or_b64 exec, exec, s[6:7]
	s_and_saveexec_b64 s[6:7], s[4:5]
	s_cbranch_execz .LBB48_1760
.LBB48_1759:
	v_bfe_u32 v3, v4, 24, 3
	v_ffbh_u32_e32 v10, v3
	v_min_u32_e32 v10, 32, v10
	v_lshrrev_b32_e32 v7, 27, v4
	v_subrev_u32_e32 v11, 28, v10
	v_and_b32_e32 v6, 0x80000000, v4
	v_and_b32_e32 v7, 15, v7
	v_bfe_u32 v8, v4, 27, 4
	v_lshlrev_b32_sdwa v4, v11, v4 dst_sel:DWORD dst_unused:UNUSED_PAD src0_sel:DWORD src1_sel:BYTE_3
	v_sub_u32_e32 v10, 29, v10
	v_and_b32_e32 v4, 7, v4
	v_cmp_eq_u16_e32 vcc, 0, v7
	v_cndmask_b32_e32 v3, v3, v4, vcc
	v_cndmask_b32_e32 v4, v8, v10, vcc
	v_mov_b32_e32 v7, 0x3b800000
	v_lshlrev_b32_e32 v3, 20, v3
	v_lshl_add_u32 v4, v4, 23, v7
	v_or3_b32 v3, v6, v4, v3
.LBB48_1760:
	s_or_b64 exec, exec, s[6:7]
	s_nop 0
	v_mfma_f32_16x16x4f32 a[0:3], v2, v3, a[0:3]
	s_movk_i32 s4, 0x7f
	v_cmp_gt_i16_sdwa s[6:7], v9, s4 src0_sel:BYTE_0 src1_sel:DWORD
	s_mov_b64 s[4:5], 0
                                        ; implicit-def: $sgpr10
	s_and_saveexec_b64 s[8:9], s[6:7]
	s_xor_b64 s[6:7], exec, s[8:9]
	s_cbranch_execnz .LBB48_3809
; %bb.1761:
	s_or_saveexec_b64 s[6:7], s[6:7]
	v_mov_b32_e32 v2, s10
	s_xor_b64 exec, exec, s[6:7]
	s_cbranch_execnz .LBB48_3812
.LBB48_1762:
	s_or_b64 exec, exec, s[6:7]
	s_and_saveexec_b64 s[6:7], s[4:5]
	s_cbranch_execz .LBB48_1764
.LBB48_1763:
	v_mov_b32_e32 v2, 8
	v_and_b32_e32 v3, 7, v9
	v_lshrrev_b32_sdwa v2, v2, v9 dst_sel:BYTE_1 dst_unused:UNUSED_PAD src0_sel:DWORD src1_sel:DWORD
	v_ffbh_u32_e32 v4, v3
	v_or_b32_sdwa v2, v9, v2 dst_sel:DWORD dst_unused:UNUSED_PAD src0_sel:BYTE_0 src1_sel:DWORD
	v_min_u32_e32 v4, 32, v4
	v_lshrrev_b16_e32 v2, 3, v2
	v_subrev_u32_e32 v6, 28, v4
	v_and_b32_e32 v2, 15, v2
	v_lshlrev_b32_e32 v6, v6, v9
	v_sub_u32_e32 v4, 29, v4
	v_and_b32_e32 v6, 7, v6
	v_cmp_eq_u16_e32 vcc, 0, v2
	v_cndmask_b32_e32 v3, v3, v6, vcc
	v_cndmask_b32_e32 v2, v2, v4, vcc
	v_lshlrev_b32_e32 v4, 24, v9
	v_mov_b32_e32 v6, 0x3b800000
	v_lshlrev_b32_e32 v3, 20, v3
	v_and_b32_e32 v4, 0x80000000, v4
	v_lshl_add_u32 v2, v2, 23, v6
	v_or3_b32 v2, v4, v2, v3
.LBB48_1764:
	s_or_b64 exec, exec, s[6:7]
	s_movk_i32 s4, 0x7f
	v_cmp_gt_i16_sdwa s[6:7], v5, s4 src0_sel:BYTE_0 src1_sel:DWORD
	s_mov_b64 s[4:5], 0
                                        ; implicit-def: $sgpr10
	s_and_saveexec_b64 s[8:9], s[6:7]
	s_xor_b64 s[6:7], exec, s[8:9]
	s_cbranch_execnz .LBB48_3813
; %bb.1765:
	s_or_saveexec_b64 s[6:7], s[6:7]
	v_mov_b32_e32 v3, s10
	s_xor_b64 exec, exec, s[6:7]
	s_cbranch_execnz .LBB48_3816
.LBB48_1766:
	s_or_b64 exec, exec, s[6:7]
	s_and_saveexec_b64 s[6:7], s[4:5]
	s_cbranch_execz .LBB48_1768
.LBB48_1767:
	v_mov_b32_e32 v3, 8
	v_and_b32_e32 v4, 7, v5
	v_lshrrev_b32_sdwa v3, v3, v5 dst_sel:BYTE_1 dst_unused:UNUSED_PAD src0_sel:DWORD src1_sel:DWORD
	v_ffbh_u32_e32 v6, v4
	v_or_b32_sdwa v3, v5, v3 dst_sel:DWORD dst_unused:UNUSED_PAD src0_sel:BYTE_0 src1_sel:DWORD
	v_min_u32_e32 v6, 32, v6
	v_lshrrev_b16_e32 v3, 3, v3
	v_subrev_u32_e32 v7, 28, v6
	v_and_b32_e32 v3, 15, v3
	v_lshlrev_b32_e32 v7, v7, v5
	v_sub_u32_e32 v6, 29, v6
	v_and_b32_e32 v7, 7, v7
	v_cmp_eq_u16_e32 vcc, 0, v3
	v_cndmask_b32_e32 v4, v4, v7, vcc
	v_cndmask_b32_e32 v3, v3, v6, vcc
	v_lshlrev_b32_e32 v6, 24, v5
	v_mov_b32_e32 v7, 0x3b800000
	v_lshlrev_b32_e32 v4, 20, v4
	v_and_b32_e32 v6, 0x80000000, v6
	v_lshl_add_u32 v3, v3, 23, v7
	v_or3_b32 v3, v6, v3, v4
.LBB48_1768:
	s_or_b64 exec, exec, s[6:7]
	s_nop 0
	v_mfma_f32_16x16x4f32 a[0:3], v2, v3, a[0:3]
	v_lshrrev_b32_e32 v3, 8, v9
	s_movk_i32 s4, 0x7f
	v_cmp_gt_i16_sdwa s[6:7], v3, s4 src0_sel:BYTE_0 src1_sel:DWORD
	s_mov_b64 s[4:5], 0
                                        ; implicit-def: $sgpr10
	s_and_saveexec_b64 s[8:9], s[6:7]
	s_xor_b64 s[6:7], exec, s[8:9]
	s_cbranch_execnz .LBB48_3817
; %bb.1769:
	s_or_saveexec_b64 s[6:7], s[6:7]
	v_mov_b32_e32 v2, s10
	s_xor_b64 exec, exec, s[6:7]
	s_cbranch_execnz .LBB48_3820
.LBB48_1770:
	s_or_b64 exec, exec, s[6:7]
	s_and_saveexec_b64 s[6:7], s[4:5]
	s_cbranch_execz .LBB48_1772
.LBB48_1771:
	v_bfe_u32 v2, v9, 8, 3
	v_ffbh_u32_e32 v6, v2
	v_min_u32_e32 v6, 32, v6
	v_lshrrev_b16_e32 v4, 3, v3
	v_subrev_u32_e32 v7, 28, v6
	v_and_b32_e32 v4, 15, v4
	v_lshlrev_b32_e32 v3, v7, v3
	v_sub_u32_e32 v6, 29, v6
	v_and_b32_e32 v3, 7, v3
	v_cmp_eq_u16_e32 vcc, 0, v4
	v_cndmask_b32_e32 v2, v2, v3, vcc
	v_cndmask_b32_e32 v3, v4, v6, vcc
	v_lshlrev_b32_e32 v4, 16, v9
	v_mov_b32_e32 v6, 0x3b800000
	v_lshlrev_b32_e32 v2, 20, v2
	v_and_b32_e32 v4, 0x80000000, v4
	v_lshl_add_u32 v3, v3, 23, v6
	v_or3_b32 v2, v4, v3, v2
.LBB48_1772:
	s_or_b64 exec, exec, s[6:7]
	v_lshrrev_b32_e32 v3, 8, v5
	s_movk_i32 s4, 0x7f
	v_cmp_gt_i16_sdwa s[6:7], v3, s4 src0_sel:BYTE_0 src1_sel:DWORD
	s_mov_b64 s[4:5], 0
                                        ; implicit-def: $sgpr10
	s_and_saveexec_b64 s[8:9], s[6:7]
	s_xor_b64 s[6:7], exec, s[8:9]
	s_cbranch_execnz .LBB48_3821
; %bb.1773:
	s_or_saveexec_b64 s[6:7], s[6:7]
	v_mov_b32_e32 v4, s10
	s_xor_b64 exec, exec, s[6:7]
	s_cbranch_execnz .LBB48_3824
.LBB48_1774:
	s_or_b64 exec, exec, s[6:7]
	s_and_saveexec_b64 s[6:7], s[4:5]
	s_cbranch_execz .LBB48_1776
.LBB48_1775:
	v_bfe_u32 v4, v5, 8, 3
	v_ffbh_u32_e32 v7, v4
	v_min_u32_e32 v7, 32, v7
	v_lshrrev_b16_e32 v6, 3, v3
	v_subrev_u32_e32 v8, 28, v7
	v_and_b32_e32 v6, 15, v6
	v_lshlrev_b32_e32 v3, v8, v3
	v_sub_u32_e32 v7, 29, v7
	v_and_b32_e32 v3, 7, v3
	v_cmp_eq_u16_e32 vcc, 0, v6
	v_cndmask_b32_e32 v3, v4, v3, vcc
	v_cndmask_b32_e32 v4, v6, v7, vcc
	v_lshlrev_b32_e32 v6, 16, v5
	v_mov_b32_e32 v7, 0x3b800000
	v_lshlrev_b32_e32 v3, 20, v3
	v_and_b32_e32 v6, 0x80000000, v6
	v_lshl_add_u32 v4, v4, 23, v7
	v_or3_b32 v4, v6, v4, v3
.LBB48_1776:
	s_or_b64 exec, exec, s[6:7]
	s_nop 0
	v_mfma_f32_16x16x4f32 a[0:3], v2, v4, a[0:3]
	s_movk_i32 s4, 0xff
	v_and_b32_sdwa v3, v9, s4 dst_sel:DWORD dst_unused:UNUSED_PAD src0_sel:WORD_1 src1_sel:DWORD
	s_movk_i32 s4, 0x7f
	v_cmp_lt_i16_e32 vcc, s4, v3
	s_mov_b64 s[4:5], 0
                                        ; implicit-def: $sgpr10
	s_and_saveexec_b64 s[6:7], vcc
	s_xor_b64 s[6:7], exec, s[6:7]
	s_cbranch_execnz .LBB48_3825
; %bb.1777:
	s_or_saveexec_b64 s[6:7], s[6:7]
	v_mov_b32_e32 v2, s10
	s_xor_b64 exec, exec, s[6:7]
	s_cbranch_execnz .LBB48_3828
.LBB48_1778:
	s_or_b64 exec, exec, s[6:7]
	s_and_saveexec_b64 s[6:7], s[4:5]
	s_cbranch_execz .LBB48_1780
.LBB48_1779:
	v_bfe_u32 v2, v9, 16, 3
	v_ffbh_u32_e32 v6, v2
	v_min_u32_e32 v6, 32, v6
	v_lshrrev_b32_e32 v3, 19, v9
	v_subrev_u32_e32 v7, 28, v6
	v_and_b32_e32 v3, 15, v3
	v_lshlrev_b32_sdwa v7, v7, v9 dst_sel:DWORD dst_unused:UNUSED_PAD src0_sel:DWORD src1_sel:WORD_1
	v_bfe_u32 v4, v9, 19, 4
	v_sub_u32_e32 v6, 29, v6
	v_and_b32_e32 v7, 7, v7
	v_cmp_eq_u16_e32 vcc, 0, v3
	v_cndmask_b32_e32 v2, v2, v7, vcc
	v_cndmask_b32_e32 v3, v4, v6, vcc
	v_lshlrev_b32_e32 v4, 8, v9
	v_mov_b32_e32 v6, 0x3b800000
	v_lshlrev_b32_e32 v2, 20, v2
	v_and_b32_e32 v4, 0x80000000, v4
	v_lshl_add_u32 v3, v3, 23, v6
	v_or3_b32 v2, v4, v3, v2
.LBB48_1780:
	s_or_b64 exec, exec, s[6:7]
	s_movk_i32 s4, 0xff
	v_and_b32_sdwa v3, v5, s4 dst_sel:DWORD dst_unused:UNUSED_PAD src0_sel:WORD_1 src1_sel:DWORD
	s_movk_i32 s4, 0x7f
	v_cmp_lt_i16_e32 vcc, s4, v3
	s_mov_b64 s[4:5], 0
                                        ; implicit-def: $sgpr10
	s_and_saveexec_b64 s[6:7], vcc
	s_xor_b64 s[6:7], exec, s[6:7]
	s_cbranch_execnz .LBB48_3829
; %bb.1781:
	s_or_saveexec_b64 s[6:7], s[6:7]
	v_mov_b32_e32 v4, s10
	s_xor_b64 exec, exec, s[6:7]
	s_cbranch_execnz .LBB48_3832
.LBB48_1782:
	s_or_b64 exec, exec, s[6:7]
	s_and_saveexec_b64 s[6:7], s[4:5]
	s_cbranch_execz .LBB48_1784
.LBB48_1783:
	v_bfe_u32 v3, v5, 16, 3
	v_ffbh_u32_e32 v7, v3
	v_min_u32_e32 v7, 32, v7
	v_lshrrev_b32_e32 v4, 19, v5
	v_subrev_u32_e32 v8, 28, v7
	v_and_b32_e32 v4, 15, v4
	v_lshlrev_b32_sdwa v8, v8, v5 dst_sel:DWORD dst_unused:UNUSED_PAD src0_sel:DWORD src1_sel:WORD_1
	v_bfe_u32 v6, v5, 19, 4
	v_sub_u32_e32 v7, 29, v7
	v_and_b32_e32 v8, 7, v8
	v_cmp_eq_u16_e32 vcc, 0, v4
	v_cndmask_b32_e32 v3, v3, v8, vcc
	v_cndmask_b32_e32 v4, v6, v7, vcc
	v_lshlrev_b32_e32 v6, 8, v5
	v_mov_b32_e32 v7, 0x3b800000
	v_lshlrev_b32_e32 v3, 20, v3
	v_and_b32_e32 v6, 0x80000000, v6
	v_lshl_add_u32 v4, v4, 23, v7
	v_or3_b32 v4, v6, v4, v3
.LBB48_1784:
	s_or_b64 exec, exec, s[6:7]
	s_nop 0
	v_mfma_f32_16x16x4f32 a[0:3], v2, v4, a[0:3]
	s_movk_i32 s4, 0x7f
	v_cmp_gt_i16_sdwa s[6:7], v9, s4 src0_sel:BYTE_3 src1_sel:DWORD
	s_mov_b64 s[4:5], 0
                                        ; implicit-def: $sgpr10
	s_and_saveexec_b64 s[8:9], s[6:7]
	s_xor_b64 s[6:7], exec, s[8:9]
	s_cbranch_execnz .LBB48_3833
; %bb.1785:
	s_or_saveexec_b64 s[6:7], s[6:7]
	v_mov_b32_e32 v2, s10
	s_xor_b64 exec, exec, s[6:7]
	s_cbranch_execnz .LBB48_3836
.LBB48_1786:
	s_or_b64 exec, exec, s[6:7]
	s_and_saveexec_b64 s[6:7], s[4:5]
	s_cbranch_execz .LBB48_1788
.LBB48_1787:
	v_bfe_u32 v2, v9, 24, 3
	v_ffbh_u32_e32 v7, v2
	v_min_u32_e32 v7, 32, v7
	v_lshrrev_b32_e32 v4, 27, v9
	v_subrev_u32_e32 v8, 28, v7
	v_and_b32_e32 v4, 15, v4
	v_lshlrev_b32_sdwa v8, v8, v9 dst_sel:DWORD dst_unused:UNUSED_PAD src0_sel:DWORD src1_sel:BYTE_3
	v_bfe_u32 v6, v9, 27, 4
	v_sub_u32_e32 v7, 29, v7
	v_and_b32_e32 v8, 7, v8
	v_cmp_eq_u16_e32 vcc, 0, v4
	v_cndmask_b32_e32 v2, v2, v8, vcc
	v_cndmask_b32_e32 v4, v6, v7, vcc
	v_mov_b32_e32 v6, 0x3b800000
	v_and_b32_e32 v3, 0x80000000, v9
	v_lshlrev_b32_e32 v2, 20, v2
	v_lshl_add_u32 v4, v4, 23, v6
	v_or3_b32 v2, v3, v4, v2
.LBB48_1788:
	s_or_b64 exec, exec, s[6:7]
	s_movk_i32 s4, 0x7f
	v_cmp_gt_i16_sdwa s[6:7], v5, s4 src0_sel:BYTE_3 src1_sel:DWORD
	s_mov_b64 s[4:5], 0
                                        ; implicit-def: $sgpr10
	s_and_saveexec_b64 s[8:9], s[6:7]
	s_xor_b64 s[6:7], exec, s[8:9]
	s_cbranch_execnz .LBB48_3837
; %bb.1789:
	s_or_saveexec_b64 s[6:7], s[6:7]
	v_mov_b32_e32 v3, s10
	s_xor_b64 exec, exec, s[6:7]
	s_cbranch_execnz .LBB48_3840
.LBB48_1790:
	s_or_b64 exec, exec, s[6:7]
	s_and_saveexec_b64 s[6:7], s[4:5]
	s_cbranch_execz .LBB48_1792
.LBB48_1791:
	v_bfe_u32 v3, v5, 24, 3
	v_ffbh_u32_e32 v8, v3
	v_min_u32_e32 v8, 32, v8
	v_lshrrev_b32_e32 v6, 27, v5
	v_subrev_u32_e32 v9, 28, v8
	v_and_b32_e32 v4, 0x80000000, v5
	v_and_b32_e32 v6, 15, v6
	v_bfe_u32 v7, v5, 27, 4
	v_lshlrev_b32_sdwa v5, v9, v5 dst_sel:DWORD dst_unused:UNUSED_PAD src0_sel:DWORD src1_sel:BYTE_3
	v_sub_u32_e32 v8, 29, v8
	v_and_b32_e32 v5, 7, v5
	v_cmp_eq_u16_e32 vcc, 0, v6
	v_cndmask_b32_e32 v3, v3, v5, vcc
	v_cndmask_b32_e32 v5, v7, v8, vcc
	v_mov_b32_e32 v6, 0x3b800000
	v_lshlrev_b32_e32 v3, 20, v3
	v_lshl_add_u32 v5, v5, 23, v6
	v_or3_b32 v3, v4, v5, v3
.LBB48_1792:
	s_or_b64 exec, exec, s[6:7]
	s_nop 0
	v_mfma_f32_16x16x4f32 a[0:3], v2, v3, a[0:3]
	s_movk_i32 s4, 0x7f
                                        ; implicit-def: $sgpr10
	s_nop 7
	s_nop 1
	flat_store_dwordx4 v[18:19], a[0:3] offset:608
	flat_load_dwordx4 v[18:21], v[0:1] offset:8
	s_nop 0
	flat_load_dwordx2 v[16:17], v[0:1] offset:24
	s_waitcnt vmcnt(0) lgkmcnt(0)
	flat_load_dwordx4 v[12:15], v[18:19]
	flat_load_dwordx4 v[4:7], v[18:19] offset:16
	flat_load_dwordx4 v[8:11], v[20:21] offset:224
	flat_load_dwordx4 v[0:3], v[20:21] offset:240
	s_waitcnt vmcnt(0) lgkmcnt(0)
	v_cmp_gt_i16_sdwa s[6:7], v12, s4 src0_sel:BYTE_0 src1_sel:DWORD
	s_mov_b64 s[4:5], 0
	s_and_saveexec_b64 s[8:9], s[6:7]
	s_xor_b64 s[6:7], exec, s[8:9]
	s_cbranch_execnz .LBB48_3841
; %bb.1793:
	s_or_saveexec_b64 s[6:7], s[6:7]
	v_mov_b32_e32 v18, s10
	s_xor_b64 exec, exec, s[6:7]
	s_cbranch_execnz .LBB48_3844
.LBB48_1794:
	s_or_b64 exec, exec, s[6:7]
	s_and_saveexec_b64 s[6:7], s[4:5]
	s_cbranch_execz .LBB48_1796
.LBB48_1795:
	v_and_b32_e32 v18, 7, v12
	v_ffbh_u32_e32 v20, v18
	v_min_u32_e32 v20, 32, v20
	v_lshrrev_b16_e32 v19, 3, v12
	v_subrev_u32_e32 v21, 28, v20
	v_and_b32_e32 v19, 15, v19
	v_lshlrev_b32_e32 v21, v21, v12
	v_sub_u32_e32 v20, 29, v20
	v_and_b32_e32 v21, 7, v21
	v_cmp_eq_u16_e32 vcc, 0, v19
	v_cndmask_b32_e32 v18, v18, v21, vcc
	v_cndmask_b32_e32 v19, v19, v20, vcc
	v_lshlrev_b32_e32 v20, 24, v12
	v_mov_b32_e32 v21, 0x3b800000
	v_lshlrev_b32_e32 v18, 20, v18
	v_and_b32_e32 v20, 0x80000000, v20
	v_lshl_add_u32 v19, v19, 23, v21
	v_or3_b32 v18, v20, v19, v18
.LBB48_1796:
	s_or_b64 exec, exec, s[6:7]
	s_movk_i32 s4, 0x7f
	v_cmp_gt_i16_sdwa s[6:7], v8, s4 src0_sel:BYTE_0 src1_sel:DWORD
	s_mov_b64 s[4:5], 0
                                        ; implicit-def: $sgpr10
	s_and_saveexec_b64 s[8:9], s[6:7]
	s_xor_b64 s[6:7], exec, s[8:9]
	s_cbranch_execnz .LBB48_3845
; %bb.1797:
	s_or_saveexec_b64 s[6:7], s[6:7]
	v_mov_b32_e32 v19, s10
	s_xor_b64 exec, exec, s[6:7]
	s_cbranch_execnz .LBB48_3848
.LBB48_1798:
	s_or_b64 exec, exec, s[6:7]
	s_and_saveexec_b64 s[6:7], s[4:5]
	s_cbranch_execz .LBB48_1800
.LBB48_1799:
	v_and_b32_e32 v19, 7, v8
	v_ffbh_u32_e32 v21, v19
	v_min_u32_e32 v21, 32, v21
	v_lshrrev_b16_e32 v20, 3, v8
	v_subrev_u32_e32 v22, 28, v21
	v_and_b32_e32 v20, 15, v20
	v_lshlrev_b32_e32 v22, v22, v8
	v_sub_u32_e32 v21, 29, v21
	v_and_b32_e32 v22, 7, v22
	v_cmp_eq_u16_e32 vcc, 0, v20
	v_cndmask_b32_e32 v19, v19, v22, vcc
	v_cndmask_b32_e32 v20, v20, v21, vcc
	v_lshlrev_b32_e32 v21, 24, v8
	v_mov_b32_e32 v22, 0x3b800000
	v_lshlrev_b32_e32 v19, 20, v19
	v_and_b32_e32 v21, 0x80000000, v21
	v_lshl_add_u32 v20, v20, 23, v22
	v_or3_b32 v19, v21, v20, v19
.LBB48_1800:
	s_or_b64 exec, exec, s[6:7]
	flat_load_dwordx4 a[0:3], v[16:17] offset:624
	s_movk_i32 s4, 0x7f
                                        ; implicit-def: $sgpr10
	s_waitcnt vmcnt(0) lgkmcnt(0)
	v_mfma_f32_16x16x4f32 a[0:3], v18, v19, a[0:3]
	v_lshrrev_b32_e32 v19, 8, v12
	v_cmp_gt_i16_sdwa s[6:7], v19, s4 src0_sel:BYTE_0 src1_sel:DWORD
	s_mov_b64 s[4:5], 0
	s_and_saveexec_b64 s[8:9], s[6:7]
	s_xor_b64 s[6:7], exec, s[8:9]
	s_cbranch_execnz .LBB48_3849
; %bb.1801:
	s_or_saveexec_b64 s[6:7], s[6:7]
	v_mov_b32_e32 v18, s10
	s_xor_b64 exec, exec, s[6:7]
	s_cbranch_execnz .LBB48_3852
.LBB48_1802:
	s_or_b64 exec, exec, s[6:7]
	s_and_saveexec_b64 s[6:7], s[4:5]
	s_cbranch_execz .LBB48_1804
.LBB48_1803:
	v_bfe_u32 v18, v12, 8, 3
	v_ffbh_u32_e32 v21, v18
	v_min_u32_e32 v21, 32, v21
	v_lshrrev_b16_e32 v20, 3, v19
	v_subrev_u32_e32 v22, 28, v21
	v_and_b32_e32 v20, 15, v20
	v_lshlrev_b32_e32 v19, v22, v19
	v_sub_u32_e32 v21, 29, v21
	v_and_b32_e32 v19, 7, v19
	v_cmp_eq_u16_e32 vcc, 0, v20
	v_cndmask_b32_e32 v18, v18, v19, vcc
	v_cndmask_b32_e32 v19, v20, v21, vcc
	v_lshlrev_b32_e32 v20, 16, v12
	v_mov_b32_e32 v21, 0x3b800000
	v_lshlrev_b32_e32 v18, 20, v18
	v_and_b32_e32 v20, 0x80000000, v20
	v_lshl_add_u32 v19, v19, 23, v21
	v_or3_b32 v18, v20, v19, v18
.LBB48_1804:
	s_or_b64 exec, exec, s[6:7]
	v_lshrrev_b32_e32 v19, 8, v8
	s_movk_i32 s4, 0x7f
	v_cmp_gt_i16_sdwa s[6:7], v19, s4 src0_sel:BYTE_0 src1_sel:DWORD
	s_mov_b64 s[4:5], 0
                                        ; implicit-def: $sgpr10
	s_and_saveexec_b64 s[8:9], s[6:7]
	s_xor_b64 s[6:7], exec, s[8:9]
	s_cbranch_execnz .LBB48_3853
; %bb.1805:
	s_or_saveexec_b64 s[6:7], s[6:7]
	v_mov_b32_e32 v20, s10
	s_xor_b64 exec, exec, s[6:7]
	s_cbranch_execnz .LBB48_3856
.LBB48_1806:
	s_or_b64 exec, exec, s[6:7]
	s_and_saveexec_b64 s[6:7], s[4:5]
	s_cbranch_execz .LBB48_1808
.LBB48_1807:
	v_bfe_u32 v20, v8, 8, 3
	v_ffbh_u32_e32 v22, v20
	v_min_u32_e32 v22, 32, v22
	v_lshrrev_b16_e32 v21, 3, v19
	v_subrev_u32_e32 v23, 28, v22
	v_and_b32_e32 v21, 15, v21
	v_lshlrev_b32_e32 v19, v23, v19
	v_sub_u32_e32 v22, 29, v22
	v_and_b32_e32 v19, 7, v19
	v_cmp_eq_u16_e32 vcc, 0, v21
	v_cndmask_b32_e32 v19, v20, v19, vcc
	v_cndmask_b32_e32 v20, v21, v22, vcc
	v_lshlrev_b32_e32 v21, 16, v8
	v_mov_b32_e32 v22, 0x3b800000
	v_lshlrev_b32_e32 v19, 20, v19
	v_and_b32_e32 v21, 0x80000000, v21
	v_lshl_add_u32 v20, v20, 23, v22
	v_or3_b32 v20, v21, v20, v19
.LBB48_1808:
	s_or_b64 exec, exec, s[6:7]
	s_nop 0
	v_mfma_f32_16x16x4f32 a[0:3], v18, v20, a[0:3]
	s_movk_i32 s4, 0xff
	v_and_b32_sdwa v19, v12, s4 dst_sel:DWORD dst_unused:UNUSED_PAD src0_sel:WORD_1 src1_sel:DWORD
	s_movk_i32 s4, 0x7f
	v_cmp_lt_i16_e32 vcc, s4, v19
	s_mov_b64 s[4:5], 0
                                        ; implicit-def: $sgpr10
	s_and_saveexec_b64 s[6:7], vcc
	s_xor_b64 s[6:7], exec, s[6:7]
	s_cbranch_execnz .LBB48_3857
; %bb.1809:
	s_or_saveexec_b64 s[6:7], s[6:7]
	v_mov_b32_e32 v18, s10
	s_xor_b64 exec, exec, s[6:7]
	s_cbranch_execnz .LBB48_3860
.LBB48_1810:
	s_or_b64 exec, exec, s[6:7]
	s_and_saveexec_b64 s[6:7], s[4:5]
	s_cbranch_execz .LBB48_1812
.LBB48_1811:
	v_bfe_u32 v18, v12, 16, 3
	v_ffbh_u32_e32 v21, v18
	v_min_u32_e32 v21, 32, v21
	v_lshrrev_b32_e32 v19, 19, v12
	v_subrev_u32_e32 v22, 28, v21
	v_and_b32_e32 v19, 15, v19
	v_lshlrev_b32_sdwa v22, v22, v12 dst_sel:DWORD dst_unused:UNUSED_PAD src0_sel:DWORD src1_sel:WORD_1
	v_bfe_u32 v20, v12, 19, 4
	v_sub_u32_e32 v21, 29, v21
	v_and_b32_e32 v22, 7, v22
	v_cmp_eq_u16_e32 vcc, 0, v19
	v_cndmask_b32_e32 v18, v18, v22, vcc
	v_cndmask_b32_e32 v19, v20, v21, vcc
	v_lshlrev_b32_e32 v20, 8, v12
	v_mov_b32_e32 v21, 0x3b800000
	v_lshlrev_b32_e32 v18, 20, v18
	v_and_b32_e32 v20, 0x80000000, v20
	v_lshl_add_u32 v19, v19, 23, v21
	v_or3_b32 v18, v20, v19, v18
.LBB48_1812:
	s_or_b64 exec, exec, s[6:7]
	s_movk_i32 s4, 0xff
	v_and_b32_sdwa v19, v8, s4 dst_sel:DWORD dst_unused:UNUSED_PAD src0_sel:WORD_1 src1_sel:DWORD
	s_movk_i32 s4, 0x7f
	v_cmp_lt_i16_e32 vcc, s4, v19
	s_mov_b64 s[4:5], 0
                                        ; implicit-def: $sgpr10
	s_and_saveexec_b64 s[6:7], vcc
	s_xor_b64 s[6:7], exec, s[6:7]
	s_cbranch_execnz .LBB48_3861
; %bb.1813:
	s_or_saveexec_b64 s[6:7], s[6:7]
	v_mov_b32_e32 v20, s10
	s_xor_b64 exec, exec, s[6:7]
	s_cbranch_execnz .LBB48_3864
.LBB48_1814:
	s_or_b64 exec, exec, s[6:7]
	s_and_saveexec_b64 s[6:7], s[4:5]
	s_cbranch_execz .LBB48_1816
.LBB48_1815:
	v_bfe_u32 v19, v8, 16, 3
	v_ffbh_u32_e32 v22, v19
	v_min_u32_e32 v22, 32, v22
	v_lshrrev_b32_e32 v20, 19, v8
	v_subrev_u32_e32 v23, 28, v22
	v_and_b32_e32 v20, 15, v20
	v_lshlrev_b32_sdwa v23, v23, v8 dst_sel:DWORD dst_unused:UNUSED_PAD src0_sel:DWORD src1_sel:WORD_1
	v_bfe_u32 v21, v8, 19, 4
	v_sub_u32_e32 v22, 29, v22
	v_and_b32_e32 v23, 7, v23
	v_cmp_eq_u16_e32 vcc, 0, v20
	v_cndmask_b32_e32 v19, v19, v23, vcc
	v_cndmask_b32_e32 v20, v21, v22, vcc
	v_lshlrev_b32_e32 v21, 8, v8
	v_mov_b32_e32 v22, 0x3b800000
	v_lshlrev_b32_e32 v19, 20, v19
	v_and_b32_e32 v21, 0x80000000, v21
	v_lshl_add_u32 v20, v20, 23, v22
	v_or3_b32 v20, v21, v20, v19
.LBB48_1816:
	s_or_b64 exec, exec, s[6:7]
	s_nop 0
	v_mfma_f32_16x16x4f32 a[0:3], v18, v20, a[0:3]
	s_movk_i32 s4, 0x7f
	v_cmp_gt_i16_sdwa s[6:7], v12, s4 src0_sel:BYTE_3 src1_sel:DWORD
	s_mov_b64 s[4:5], 0
                                        ; implicit-def: $sgpr10
	s_and_saveexec_b64 s[8:9], s[6:7]
	s_xor_b64 s[6:7], exec, s[8:9]
	s_cbranch_execnz .LBB48_3865
; %bb.1817:
	s_or_saveexec_b64 s[6:7], s[6:7]
	v_mov_b32_e32 v18, s10
	s_xor_b64 exec, exec, s[6:7]
	s_cbranch_execnz .LBB48_3868
.LBB48_1818:
	s_or_b64 exec, exec, s[6:7]
	s_and_saveexec_b64 s[6:7], s[4:5]
	s_cbranch_execz .LBB48_1820
.LBB48_1819:
	v_bfe_u32 v18, v12, 24, 3
	v_ffbh_u32_e32 v22, v18
	v_min_u32_e32 v22, 32, v22
	v_lshrrev_b32_e32 v20, 27, v12
	v_subrev_u32_e32 v23, 28, v22
	v_and_b32_e32 v19, 0x80000000, v12
	v_and_b32_e32 v20, 15, v20
	v_bfe_u32 v21, v12, 27, 4
	v_lshlrev_b32_sdwa v12, v23, v12 dst_sel:DWORD dst_unused:UNUSED_PAD src0_sel:DWORD src1_sel:BYTE_3
	v_sub_u32_e32 v22, 29, v22
	v_and_b32_e32 v12, 7, v12
	v_cmp_eq_u16_e32 vcc, 0, v20
	v_cndmask_b32_e32 v12, v18, v12, vcc
	v_cndmask_b32_e32 v18, v21, v22, vcc
	v_mov_b32_e32 v20, 0x3b800000
	v_lshlrev_b32_e32 v12, 20, v12
	v_lshl_add_u32 v18, v18, 23, v20
	v_or3_b32 v18, v19, v18, v12
.LBB48_1820:
	s_or_b64 exec, exec, s[6:7]
	s_movk_i32 s4, 0x7f
	v_cmp_gt_i16_sdwa s[6:7], v8, s4 src0_sel:BYTE_3 src1_sel:DWORD
	s_mov_b64 s[4:5], 0
                                        ; implicit-def: $sgpr10
	s_and_saveexec_b64 s[8:9], s[6:7]
	s_xor_b64 s[6:7], exec, s[8:9]
	s_cbranch_execnz .LBB48_3869
; %bb.1821:
	s_or_saveexec_b64 s[6:7], s[6:7]
	v_mov_b32_e32 v12, s10
	s_xor_b64 exec, exec, s[6:7]
	s_cbranch_execnz .LBB48_3872
.LBB48_1822:
	s_or_b64 exec, exec, s[6:7]
	s_and_saveexec_b64 s[6:7], s[4:5]
	s_cbranch_execz .LBB48_1824
.LBB48_1823:
	v_bfe_u32 v12, v8, 24, 3
	v_ffbh_u32_e32 v22, v12
	v_min_u32_e32 v22, 32, v22
	v_lshrrev_b32_e32 v20, 27, v8
	v_subrev_u32_e32 v23, 28, v22
	v_and_b32_e32 v19, 0x80000000, v8
	v_and_b32_e32 v20, 15, v20
	v_bfe_u32 v21, v8, 27, 4
	v_lshlrev_b32_sdwa v8, v23, v8 dst_sel:DWORD dst_unused:UNUSED_PAD src0_sel:DWORD src1_sel:BYTE_3
	v_sub_u32_e32 v22, 29, v22
	v_and_b32_e32 v8, 7, v8
	v_cmp_eq_u16_e32 vcc, 0, v20
	v_cndmask_b32_e32 v8, v12, v8, vcc
	v_cndmask_b32_e32 v12, v21, v22, vcc
	v_mov_b32_e32 v20, 0x3b800000
	v_lshlrev_b32_e32 v8, 20, v8
	v_lshl_add_u32 v12, v12, 23, v20
	v_or3_b32 v12, v19, v12, v8
.LBB48_1824:
	s_or_b64 exec, exec, s[6:7]
	s_nop 0
	v_mfma_f32_16x16x4f32 a[0:3], v18, v12, a[0:3]
	s_movk_i32 s4, 0x7f
	v_cmp_gt_i16_sdwa s[6:7], v13, s4 src0_sel:BYTE_0 src1_sel:DWORD
	s_mov_b64 s[4:5], 0
                                        ; implicit-def: $sgpr10
	s_and_saveexec_b64 s[8:9], s[6:7]
	s_xor_b64 s[6:7], exec, s[8:9]
	s_cbranch_execnz .LBB48_3873
; %bb.1825:
	s_or_saveexec_b64 s[6:7], s[6:7]
	v_mov_b32_e32 v8, s10
	s_xor_b64 exec, exec, s[6:7]
	s_cbranch_execnz .LBB48_3876
.LBB48_1826:
	s_or_b64 exec, exec, s[6:7]
	s_and_saveexec_b64 s[6:7], s[4:5]
	s_cbranch_execz .LBB48_1828
.LBB48_1827:
	v_and_b32_e32 v8, 7, v13
	v_ffbh_u32_e32 v18, v8
	v_min_u32_e32 v18, 32, v18
	v_lshrrev_b16_e32 v12, 3, v13
	v_subrev_u32_e32 v19, 28, v18
	v_and_b32_e32 v12, 15, v12
	v_lshlrev_b32_e32 v19, v19, v13
	v_sub_u32_e32 v18, 29, v18
	v_and_b32_e32 v19, 7, v19
	v_cmp_eq_u16_e32 vcc, 0, v12
	v_cndmask_b32_e32 v8, v8, v19, vcc
	v_cndmask_b32_e32 v12, v12, v18, vcc
	v_lshlrev_b32_e32 v18, 24, v13
	v_mov_b32_e32 v19, 0x3b800000
	v_lshlrev_b32_e32 v8, 20, v8
	v_and_b32_e32 v18, 0x80000000, v18
	v_lshl_add_u32 v12, v12, 23, v19
	v_or3_b32 v8, v18, v12, v8
.LBB48_1828:
	s_or_b64 exec, exec, s[6:7]
	s_movk_i32 s4, 0x7f
	v_cmp_gt_i16_sdwa s[6:7], v9, s4 src0_sel:BYTE_0 src1_sel:DWORD
	s_mov_b64 s[4:5], 0
                                        ; implicit-def: $sgpr10
	s_and_saveexec_b64 s[8:9], s[6:7]
	s_xor_b64 s[6:7], exec, s[8:9]
	s_cbranch_execnz .LBB48_3877
; %bb.1829:
	s_or_saveexec_b64 s[6:7], s[6:7]
	v_mov_b32_e32 v12, s10
	s_xor_b64 exec, exec, s[6:7]
	s_cbranch_execnz .LBB48_3880
.LBB48_1830:
	s_or_b64 exec, exec, s[6:7]
	s_and_saveexec_b64 s[6:7], s[4:5]
	s_cbranch_execz .LBB48_1832
.LBB48_1831:
	v_and_b32_e32 v12, 7, v9
	v_ffbh_u32_e32 v19, v12
	v_min_u32_e32 v19, 32, v19
	v_lshrrev_b16_e32 v18, 3, v9
	v_subrev_u32_e32 v20, 28, v19
	v_and_b32_e32 v18, 15, v18
	v_lshlrev_b32_e32 v20, v20, v9
	v_sub_u32_e32 v19, 29, v19
	v_and_b32_e32 v20, 7, v20
	v_cmp_eq_u16_e32 vcc, 0, v18
	v_cndmask_b32_e32 v12, v12, v20, vcc
	v_cndmask_b32_e32 v18, v18, v19, vcc
	v_lshlrev_b32_e32 v19, 24, v9
	v_mov_b32_e32 v20, 0x3b800000
	v_lshlrev_b32_e32 v12, 20, v12
	v_and_b32_e32 v19, 0x80000000, v19
	v_lshl_add_u32 v18, v18, 23, v20
	v_or3_b32 v12, v19, v18, v12
.LBB48_1832:
	s_or_b64 exec, exec, s[6:7]
	s_nop 0
	v_mfma_f32_16x16x4f32 a[0:3], v8, v12, a[0:3]
	v_lshrrev_b32_e32 v12, 8, v13
	s_movk_i32 s4, 0x7f
	v_cmp_gt_i16_sdwa s[6:7], v12, s4 src0_sel:BYTE_0 src1_sel:DWORD
	s_mov_b64 s[4:5], 0
                                        ; implicit-def: $sgpr10
	s_and_saveexec_b64 s[8:9], s[6:7]
	s_xor_b64 s[6:7], exec, s[8:9]
	s_cbranch_execnz .LBB48_3881
; %bb.1833:
	s_or_saveexec_b64 s[6:7], s[6:7]
	v_mov_b32_e32 v8, s10
	s_xor_b64 exec, exec, s[6:7]
	s_cbranch_execnz .LBB48_3884
.LBB48_1834:
	s_or_b64 exec, exec, s[6:7]
	s_and_saveexec_b64 s[6:7], s[4:5]
	s_cbranch_execz .LBB48_1836
.LBB48_1835:
	v_bfe_u32 v8, v13, 8, 3
	v_ffbh_u32_e32 v19, v8
	v_min_u32_e32 v19, 32, v19
	v_lshrrev_b16_e32 v18, 3, v12
	v_subrev_u32_e32 v20, 28, v19
	v_and_b32_e32 v18, 15, v18
	v_lshlrev_b32_e32 v12, v20, v12
	v_sub_u32_e32 v19, 29, v19
	v_and_b32_e32 v12, 7, v12
	v_cmp_eq_u16_e32 vcc, 0, v18
	v_cndmask_b32_e32 v8, v8, v12, vcc
	v_cndmask_b32_e32 v12, v18, v19, vcc
	v_lshlrev_b32_e32 v18, 16, v13
	v_mov_b32_e32 v19, 0x3b800000
	v_lshlrev_b32_e32 v8, 20, v8
	v_and_b32_e32 v18, 0x80000000, v18
	v_lshl_add_u32 v12, v12, 23, v19
	v_or3_b32 v8, v18, v12, v8
.LBB48_1836:
	s_or_b64 exec, exec, s[6:7]
	v_lshrrev_b32_e32 v12, 8, v9
	s_movk_i32 s4, 0x7f
	v_cmp_gt_i16_sdwa s[6:7], v12, s4 src0_sel:BYTE_0 src1_sel:DWORD
	s_mov_b64 s[4:5], 0
                                        ; implicit-def: $sgpr10
	s_and_saveexec_b64 s[8:9], s[6:7]
	s_xor_b64 s[6:7], exec, s[8:9]
	s_cbranch_execnz .LBB48_3885
; %bb.1837:
	s_or_saveexec_b64 s[6:7], s[6:7]
	v_mov_b32_e32 v18, s10
	s_xor_b64 exec, exec, s[6:7]
	s_cbranch_execnz .LBB48_3888
.LBB48_1838:
	s_or_b64 exec, exec, s[6:7]
	s_and_saveexec_b64 s[6:7], s[4:5]
	s_cbranch_execz .LBB48_1840
.LBB48_1839:
	v_bfe_u32 v18, v9, 8, 3
	v_ffbh_u32_e32 v20, v18
	v_min_u32_e32 v20, 32, v20
	v_lshrrev_b16_e32 v19, 3, v12
	v_subrev_u32_e32 v21, 28, v20
	v_and_b32_e32 v19, 15, v19
	v_lshlrev_b32_e32 v12, v21, v12
	v_sub_u32_e32 v20, 29, v20
	v_and_b32_e32 v12, 7, v12
	v_cmp_eq_u16_e32 vcc, 0, v19
	v_cndmask_b32_e32 v12, v18, v12, vcc
	v_cndmask_b32_e32 v18, v19, v20, vcc
	v_lshlrev_b32_e32 v19, 16, v9
	v_mov_b32_e32 v20, 0x3b800000
	v_lshlrev_b32_e32 v12, 20, v12
	v_and_b32_e32 v19, 0x80000000, v19
	v_lshl_add_u32 v18, v18, 23, v20
	v_or3_b32 v18, v19, v18, v12
.LBB48_1840:
	s_or_b64 exec, exec, s[6:7]
	s_nop 0
	v_mfma_f32_16x16x4f32 a[0:3], v8, v18, a[0:3]
	s_movk_i32 s4, 0xff
	v_and_b32_sdwa v12, v13, s4 dst_sel:DWORD dst_unused:UNUSED_PAD src0_sel:WORD_1 src1_sel:DWORD
	s_movk_i32 s4, 0x7f
	v_cmp_lt_i16_e32 vcc, s4, v12
	s_mov_b64 s[4:5], 0
                                        ; implicit-def: $sgpr10
	s_and_saveexec_b64 s[6:7], vcc
	s_xor_b64 s[6:7], exec, s[6:7]
	s_cbranch_execnz .LBB48_3889
; %bb.1841:
	s_or_saveexec_b64 s[6:7], s[6:7]
	v_mov_b32_e32 v8, s10
	s_xor_b64 exec, exec, s[6:7]
	s_cbranch_execnz .LBB48_3892
.LBB48_1842:
	s_or_b64 exec, exec, s[6:7]
	s_and_saveexec_b64 s[6:7], s[4:5]
	s_cbranch_execz .LBB48_1844
.LBB48_1843:
	v_bfe_u32 v8, v13, 16, 3
	v_ffbh_u32_e32 v19, v8
	v_min_u32_e32 v19, 32, v19
	v_lshrrev_b32_e32 v12, 19, v13
	v_subrev_u32_e32 v20, 28, v19
	v_and_b32_e32 v12, 15, v12
	v_lshlrev_b32_sdwa v20, v20, v13 dst_sel:DWORD dst_unused:UNUSED_PAD src0_sel:DWORD src1_sel:WORD_1
	v_bfe_u32 v18, v13, 19, 4
	v_sub_u32_e32 v19, 29, v19
	v_and_b32_e32 v20, 7, v20
	v_cmp_eq_u16_e32 vcc, 0, v12
	v_cndmask_b32_e32 v8, v8, v20, vcc
	v_cndmask_b32_e32 v12, v18, v19, vcc
	v_lshlrev_b32_e32 v18, 8, v13
	v_mov_b32_e32 v19, 0x3b800000
	v_lshlrev_b32_e32 v8, 20, v8
	v_and_b32_e32 v18, 0x80000000, v18
	v_lshl_add_u32 v12, v12, 23, v19
	v_or3_b32 v8, v18, v12, v8
.LBB48_1844:
	s_or_b64 exec, exec, s[6:7]
	s_movk_i32 s4, 0xff
	v_and_b32_sdwa v12, v9, s4 dst_sel:DWORD dst_unused:UNUSED_PAD src0_sel:WORD_1 src1_sel:DWORD
	s_movk_i32 s4, 0x7f
	v_cmp_lt_i16_e32 vcc, s4, v12
	s_mov_b64 s[4:5], 0
                                        ; implicit-def: $sgpr10
	s_and_saveexec_b64 s[6:7], vcc
	s_xor_b64 s[6:7], exec, s[6:7]
	s_cbranch_execnz .LBB48_3893
; %bb.1845:
	s_or_saveexec_b64 s[6:7], s[6:7]
	v_mov_b32_e32 v18, s10
	s_xor_b64 exec, exec, s[6:7]
	s_cbranch_execnz .LBB48_3896
.LBB48_1846:
	s_or_b64 exec, exec, s[6:7]
	s_and_saveexec_b64 s[6:7], s[4:5]
	s_cbranch_execz .LBB48_1848
.LBB48_1847:
	v_bfe_u32 v12, v9, 16, 3
	v_ffbh_u32_e32 v20, v12
	v_min_u32_e32 v20, 32, v20
	v_lshrrev_b32_e32 v18, 19, v9
	v_subrev_u32_e32 v21, 28, v20
	v_and_b32_e32 v18, 15, v18
	v_lshlrev_b32_sdwa v21, v21, v9 dst_sel:DWORD dst_unused:UNUSED_PAD src0_sel:DWORD src1_sel:WORD_1
	v_bfe_u32 v19, v9, 19, 4
	v_sub_u32_e32 v20, 29, v20
	v_and_b32_e32 v21, 7, v21
	v_cmp_eq_u16_e32 vcc, 0, v18
	v_cndmask_b32_e32 v12, v12, v21, vcc
	v_cndmask_b32_e32 v18, v19, v20, vcc
	v_lshlrev_b32_e32 v19, 8, v9
	v_mov_b32_e32 v20, 0x3b800000
	v_lshlrev_b32_e32 v12, 20, v12
	v_and_b32_e32 v19, 0x80000000, v19
	v_lshl_add_u32 v18, v18, 23, v20
	v_or3_b32 v18, v19, v18, v12
.LBB48_1848:
	s_or_b64 exec, exec, s[6:7]
	s_nop 0
	v_mfma_f32_16x16x4f32 a[0:3], v8, v18, a[0:3]
	s_movk_i32 s4, 0x7f
	v_cmp_gt_i16_sdwa s[6:7], v13, s4 src0_sel:BYTE_3 src1_sel:DWORD
	s_mov_b64 s[4:5], 0
                                        ; implicit-def: $sgpr10
	s_and_saveexec_b64 s[8:9], s[6:7]
	s_xor_b64 s[6:7], exec, s[8:9]
	s_cbranch_execnz .LBB48_3897
; %bb.1849:
	s_or_saveexec_b64 s[6:7], s[6:7]
	v_mov_b32_e32 v8, s10
	s_xor_b64 exec, exec, s[6:7]
	s_cbranch_execnz .LBB48_3900
.LBB48_1850:
	s_or_b64 exec, exec, s[6:7]
	s_and_saveexec_b64 s[6:7], s[4:5]
	s_cbranch_execz .LBB48_1852
.LBB48_1851:
	v_bfe_u32 v8, v13, 24, 3
	v_ffbh_u32_e32 v20, v8
	v_min_u32_e32 v20, 32, v20
	v_lshrrev_b32_e32 v18, 27, v13
	v_subrev_u32_e32 v21, 28, v20
	v_and_b32_e32 v12, 0x80000000, v13
	v_and_b32_e32 v18, 15, v18
	v_bfe_u32 v19, v13, 27, 4
	v_lshlrev_b32_sdwa v13, v21, v13 dst_sel:DWORD dst_unused:UNUSED_PAD src0_sel:DWORD src1_sel:BYTE_3
	v_sub_u32_e32 v20, 29, v20
	v_and_b32_e32 v13, 7, v13
	v_cmp_eq_u16_e32 vcc, 0, v18
	v_cndmask_b32_e32 v8, v8, v13, vcc
	v_cndmask_b32_e32 v13, v19, v20, vcc
	v_mov_b32_e32 v18, 0x3b800000
	v_lshlrev_b32_e32 v8, 20, v8
	v_lshl_add_u32 v13, v13, 23, v18
	v_or3_b32 v8, v12, v13, v8
.LBB48_1852:
	s_or_b64 exec, exec, s[6:7]
	s_movk_i32 s4, 0x7f
	v_cmp_gt_i16_sdwa s[6:7], v9, s4 src0_sel:BYTE_3 src1_sel:DWORD
	s_mov_b64 s[4:5], 0
                                        ; implicit-def: $sgpr10
	s_and_saveexec_b64 s[8:9], s[6:7]
	s_xor_b64 s[6:7], exec, s[8:9]
	s_cbranch_execnz .LBB48_3901
; %bb.1853:
	s_or_saveexec_b64 s[6:7], s[6:7]
	v_mov_b32_e32 v12, s10
	s_xor_b64 exec, exec, s[6:7]
	s_cbranch_execnz .LBB48_3904
.LBB48_1854:
	s_or_b64 exec, exec, s[6:7]
	s_and_saveexec_b64 s[6:7], s[4:5]
	s_cbranch_execz .LBB48_1856
.LBB48_1855:
	v_bfe_u32 v12, v9, 24, 3
	v_ffbh_u32_e32 v20, v12
	v_min_u32_e32 v20, 32, v20
	v_lshrrev_b32_e32 v18, 27, v9
	v_subrev_u32_e32 v21, 28, v20
	v_and_b32_e32 v13, 0x80000000, v9
	v_and_b32_e32 v18, 15, v18
	v_bfe_u32 v19, v9, 27, 4
	v_lshlrev_b32_sdwa v9, v21, v9 dst_sel:DWORD dst_unused:UNUSED_PAD src0_sel:DWORD src1_sel:BYTE_3
	v_sub_u32_e32 v20, 29, v20
	v_and_b32_e32 v9, 7, v9
	v_cmp_eq_u16_e32 vcc, 0, v18
	v_cndmask_b32_e32 v9, v12, v9, vcc
	v_cndmask_b32_e32 v12, v19, v20, vcc
	v_mov_b32_e32 v18, 0x3b800000
	v_lshlrev_b32_e32 v9, 20, v9
	v_lshl_add_u32 v12, v12, 23, v18
	v_or3_b32 v12, v13, v12, v9
.LBB48_1856:
	s_or_b64 exec, exec, s[6:7]
	s_nop 0
	v_mfma_f32_16x16x4f32 a[0:3], v8, v12, a[0:3]
	s_movk_i32 s4, 0x7f
	v_cmp_gt_i16_sdwa s[6:7], v14, s4 src0_sel:BYTE_0 src1_sel:DWORD
	s_mov_b64 s[4:5], 0
                                        ; implicit-def: $sgpr10
	s_and_saveexec_b64 s[8:9], s[6:7]
	s_xor_b64 s[6:7], exec, s[8:9]
	s_cbranch_execnz .LBB48_3905
; %bb.1857:
	s_or_saveexec_b64 s[6:7], s[6:7]
	v_mov_b32_e32 v8, s10
	s_xor_b64 exec, exec, s[6:7]
	s_cbranch_execnz .LBB48_3908
.LBB48_1858:
	s_or_b64 exec, exec, s[6:7]
	s_and_saveexec_b64 s[6:7], s[4:5]
	s_cbranch_execz .LBB48_1860
.LBB48_1859:
	v_and_b32_e32 v8, 7, v14
	v_ffbh_u32_e32 v12, v8
	v_min_u32_e32 v12, 32, v12
	v_lshrrev_b16_e32 v9, 3, v14
	v_subrev_u32_e32 v13, 28, v12
	v_and_b32_e32 v9, 15, v9
	v_lshlrev_b32_e32 v13, v13, v14
	v_sub_u32_e32 v12, 29, v12
	v_and_b32_e32 v13, 7, v13
	v_cmp_eq_u16_e32 vcc, 0, v9
	v_cndmask_b32_e32 v8, v8, v13, vcc
	v_cndmask_b32_e32 v9, v9, v12, vcc
	v_lshlrev_b32_e32 v12, 24, v14
	v_mov_b32_e32 v13, 0x3b800000
	v_lshlrev_b32_e32 v8, 20, v8
	v_and_b32_e32 v12, 0x80000000, v12
	v_lshl_add_u32 v9, v9, 23, v13
	v_or3_b32 v8, v12, v9, v8
.LBB48_1860:
	s_or_b64 exec, exec, s[6:7]
	s_movk_i32 s4, 0x7f
	v_cmp_gt_i16_sdwa s[6:7], v10, s4 src0_sel:BYTE_0 src1_sel:DWORD
	s_mov_b64 s[4:5], 0
                                        ; implicit-def: $sgpr10
	s_and_saveexec_b64 s[8:9], s[6:7]
	s_xor_b64 s[6:7], exec, s[8:9]
	s_cbranch_execnz .LBB48_3909
; %bb.1861:
	s_or_saveexec_b64 s[6:7], s[6:7]
	v_mov_b32_e32 v9, s10
	s_xor_b64 exec, exec, s[6:7]
	s_cbranch_execnz .LBB48_3912
.LBB48_1862:
	s_or_b64 exec, exec, s[6:7]
	s_and_saveexec_b64 s[6:7], s[4:5]
	s_cbranch_execz .LBB48_1864
.LBB48_1863:
	v_and_b32_e32 v9, 7, v10
	v_ffbh_u32_e32 v13, v9
	v_min_u32_e32 v13, 32, v13
	v_lshrrev_b16_e32 v12, 3, v10
	v_subrev_u32_e32 v18, 28, v13
	v_and_b32_e32 v12, 15, v12
	v_lshlrev_b32_e32 v18, v18, v10
	v_sub_u32_e32 v13, 29, v13
	v_and_b32_e32 v18, 7, v18
	v_cmp_eq_u16_e32 vcc, 0, v12
	v_cndmask_b32_e32 v9, v9, v18, vcc
	v_cndmask_b32_e32 v12, v12, v13, vcc
	v_lshlrev_b32_e32 v13, 24, v10
	v_mov_b32_e32 v18, 0x3b800000
	v_lshlrev_b32_e32 v9, 20, v9
	v_and_b32_e32 v13, 0x80000000, v13
	v_lshl_add_u32 v12, v12, 23, v18
	v_or3_b32 v9, v13, v12, v9
.LBB48_1864:
	s_or_b64 exec, exec, s[6:7]
	s_nop 0
	v_mfma_f32_16x16x4f32 a[0:3], v8, v9, a[0:3]
	v_lshrrev_b32_e32 v9, 8, v14
	s_movk_i32 s4, 0x7f
	v_cmp_gt_i16_sdwa s[6:7], v9, s4 src0_sel:BYTE_0 src1_sel:DWORD
	s_mov_b64 s[4:5], 0
                                        ; implicit-def: $sgpr10
	s_and_saveexec_b64 s[8:9], s[6:7]
	s_xor_b64 s[6:7], exec, s[8:9]
	s_cbranch_execnz .LBB48_3913
; %bb.1865:
	s_or_saveexec_b64 s[6:7], s[6:7]
	v_mov_b32_e32 v8, s10
	s_xor_b64 exec, exec, s[6:7]
	s_cbranch_execnz .LBB48_3916
.LBB48_1866:
	s_or_b64 exec, exec, s[6:7]
	s_and_saveexec_b64 s[6:7], s[4:5]
	s_cbranch_execz .LBB48_1868
.LBB48_1867:
	v_bfe_u32 v8, v14, 8, 3
	v_ffbh_u32_e32 v13, v8
	v_min_u32_e32 v13, 32, v13
	v_lshrrev_b16_e32 v12, 3, v9
	v_subrev_u32_e32 v18, 28, v13
	v_and_b32_e32 v12, 15, v12
	v_lshlrev_b32_e32 v9, v18, v9
	v_sub_u32_e32 v13, 29, v13
	v_and_b32_e32 v9, 7, v9
	v_cmp_eq_u16_e32 vcc, 0, v12
	v_cndmask_b32_e32 v8, v8, v9, vcc
	v_cndmask_b32_e32 v9, v12, v13, vcc
	v_lshlrev_b32_e32 v12, 16, v14
	v_mov_b32_e32 v13, 0x3b800000
	v_lshlrev_b32_e32 v8, 20, v8
	v_and_b32_e32 v12, 0x80000000, v12
	v_lshl_add_u32 v9, v9, 23, v13
	v_or3_b32 v8, v12, v9, v8
.LBB48_1868:
	s_or_b64 exec, exec, s[6:7]
	v_lshrrev_b32_e32 v9, 8, v10
	s_movk_i32 s4, 0x7f
	v_cmp_gt_i16_sdwa s[6:7], v9, s4 src0_sel:BYTE_0 src1_sel:DWORD
	s_mov_b64 s[4:5], 0
                                        ; implicit-def: $sgpr10
	s_and_saveexec_b64 s[8:9], s[6:7]
	s_xor_b64 s[6:7], exec, s[8:9]
	s_cbranch_execnz .LBB48_3917
; %bb.1869:
	s_or_saveexec_b64 s[6:7], s[6:7]
	v_mov_b32_e32 v12, s10
	s_xor_b64 exec, exec, s[6:7]
	s_cbranch_execnz .LBB48_3920
.LBB48_1870:
	s_or_b64 exec, exec, s[6:7]
	s_and_saveexec_b64 s[6:7], s[4:5]
	s_cbranch_execz .LBB48_1872
.LBB48_1871:
	v_bfe_u32 v12, v10, 8, 3
	v_ffbh_u32_e32 v18, v12
	v_min_u32_e32 v18, 32, v18
	v_lshrrev_b16_e32 v13, 3, v9
	v_subrev_u32_e32 v19, 28, v18
	v_and_b32_e32 v13, 15, v13
	v_lshlrev_b32_e32 v9, v19, v9
	v_sub_u32_e32 v18, 29, v18
	v_and_b32_e32 v9, 7, v9
	v_cmp_eq_u16_e32 vcc, 0, v13
	v_cndmask_b32_e32 v9, v12, v9, vcc
	v_cndmask_b32_e32 v12, v13, v18, vcc
	v_lshlrev_b32_e32 v13, 16, v10
	v_mov_b32_e32 v18, 0x3b800000
	v_lshlrev_b32_e32 v9, 20, v9
	v_and_b32_e32 v13, 0x80000000, v13
	v_lshl_add_u32 v12, v12, 23, v18
	v_or3_b32 v12, v13, v12, v9
.LBB48_1872:
	s_or_b64 exec, exec, s[6:7]
	s_nop 0
	v_mfma_f32_16x16x4f32 a[0:3], v8, v12, a[0:3]
	s_movk_i32 s4, 0xff
	v_and_b32_sdwa v9, v14, s4 dst_sel:DWORD dst_unused:UNUSED_PAD src0_sel:WORD_1 src1_sel:DWORD
	s_movk_i32 s4, 0x7f
	v_cmp_lt_i16_e32 vcc, s4, v9
	s_mov_b64 s[4:5], 0
                                        ; implicit-def: $sgpr10
	s_and_saveexec_b64 s[6:7], vcc
	s_xor_b64 s[6:7], exec, s[6:7]
	s_cbranch_execnz .LBB48_3921
; %bb.1873:
	s_or_saveexec_b64 s[6:7], s[6:7]
	v_mov_b32_e32 v8, s10
	s_xor_b64 exec, exec, s[6:7]
	s_cbranch_execnz .LBB48_3924
.LBB48_1874:
	s_or_b64 exec, exec, s[6:7]
	s_and_saveexec_b64 s[6:7], s[4:5]
	s_cbranch_execz .LBB48_1876
.LBB48_1875:
	v_bfe_u32 v8, v14, 16, 3
	v_ffbh_u32_e32 v13, v8
	v_min_u32_e32 v13, 32, v13
	v_lshrrev_b32_e32 v9, 19, v14
	v_subrev_u32_e32 v18, 28, v13
	v_and_b32_e32 v9, 15, v9
	v_lshlrev_b32_sdwa v18, v18, v14 dst_sel:DWORD dst_unused:UNUSED_PAD src0_sel:DWORD src1_sel:WORD_1
	v_bfe_u32 v12, v14, 19, 4
	v_sub_u32_e32 v13, 29, v13
	v_and_b32_e32 v18, 7, v18
	v_cmp_eq_u16_e32 vcc, 0, v9
	v_cndmask_b32_e32 v8, v8, v18, vcc
	v_cndmask_b32_e32 v9, v12, v13, vcc
	v_lshlrev_b32_e32 v12, 8, v14
	v_mov_b32_e32 v13, 0x3b800000
	v_lshlrev_b32_e32 v8, 20, v8
	v_and_b32_e32 v12, 0x80000000, v12
	v_lshl_add_u32 v9, v9, 23, v13
	v_or3_b32 v8, v12, v9, v8
.LBB48_1876:
	s_or_b64 exec, exec, s[6:7]
	s_movk_i32 s4, 0xff
	v_and_b32_sdwa v9, v10, s4 dst_sel:DWORD dst_unused:UNUSED_PAD src0_sel:WORD_1 src1_sel:DWORD
	s_movk_i32 s4, 0x7f
	v_cmp_lt_i16_e32 vcc, s4, v9
	s_mov_b64 s[4:5], 0
                                        ; implicit-def: $sgpr10
	s_and_saveexec_b64 s[6:7], vcc
	s_xor_b64 s[6:7], exec, s[6:7]
	s_cbranch_execnz .LBB48_3925
; %bb.1877:
	s_or_saveexec_b64 s[6:7], s[6:7]
	v_mov_b32_e32 v12, s10
	s_xor_b64 exec, exec, s[6:7]
	s_cbranch_execnz .LBB48_3928
.LBB48_1878:
	s_or_b64 exec, exec, s[6:7]
	s_and_saveexec_b64 s[6:7], s[4:5]
	s_cbranch_execz .LBB48_1880
.LBB48_1879:
	v_bfe_u32 v9, v10, 16, 3
	v_ffbh_u32_e32 v18, v9
	v_min_u32_e32 v18, 32, v18
	v_lshrrev_b32_e32 v12, 19, v10
	v_subrev_u32_e32 v19, 28, v18
	v_and_b32_e32 v12, 15, v12
	v_lshlrev_b32_sdwa v19, v19, v10 dst_sel:DWORD dst_unused:UNUSED_PAD src0_sel:DWORD src1_sel:WORD_1
	v_bfe_u32 v13, v10, 19, 4
	v_sub_u32_e32 v18, 29, v18
	v_and_b32_e32 v19, 7, v19
	v_cmp_eq_u16_e32 vcc, 0, v12
	v_cndmask_b32_e32 v9, v9, v19, vcc
	v_cndmask_b32_e32 v12, v13, v18, vcc
	v_lshlrev_b32_e32 v13, 8, v10
	v_mov_b32_e32 v18, 0x3b800000
	v_lshlrev_b32_e32 v9, 20, v9
	v_and_b32_e32 v13, 0x80000000, v13
	v_lshl_add_u32 v12, v12, 23, v18
	v_or3_b32 v12, v13, v12, v9
.LBB48_1880:
	s_or_b64 exec, exec, s[6:7]
	s_nop 0
	v_mfma_f32_16x16x4f32 a[0:3], v8, v12, a[0:3]
	s_movk_i32 s4, 0x7f
	v_cmp_gt_i16_sdwa s[6:7], v14, s4 src0_sel:BYTE_3 src1_sel:DWORD
	s_mov_b64 s[4:5], 0
                                        ; implicit-def: $sgpr10
	s_and_saveexec_b64 s[8:9], s[6:7]
	s_xor_b64 s[6:7], exec, s[8:9]
	s_cbranch_execnz .LBB48_3929
; %bb.1881:
	s_or_saveexec_b64 s[6:7], s[6:7]
	v_mov_b32_e32 v8, s10
	s_xor_b64 exec, exec, s[6:7]
	s_cbranch_execnz .LBB48_3932
.LBB48_1882:
	s_or_b64 exec, exec, s[6:7]
	s_and_saveexec_b64 s[6:7], s[4:5]
	s_cbranch_execz .LBB48_1884
.LBB48_1883:
	v_bfe_u32 v8, v14, 24, 3
	v_ffbh_u32_e32 v18, v8
	v_min_u32_e32 v18, 32, v18
	v_lshrrev_b32_e32 v12, 27, v14
	v_subrev_u32_e32 v19, 28, v18
	v_and_b32_e32 v9, 0x80000000, v14
	v_and_b32_e32 v12, 15, v12
	v_bfe_u32 v13, v14, 27, 4
	v_lshlrev_b32_sdwa v14, v19, v14 dst_sel:DWORD dst_unused:UNUSED_PAD src0_sel:DWORD src1_sel:BYTE_3
	v_sub_u32_e32 v18, 29, v18
	v_and_b32_e32 v14, 7, v14
	v_cmp_eq_u16_e32 vcc, 0, v12
	v_cndmask_b32_e32 v8, v8, v14, vcc
	v_cndmask_b32_e32 v12, v13, v18, vcc
	v_mov_b32_e32 v13, 0x3b800000
	v_lshlrev_b32_e32 v8, 20, v8
	v_lshl_add_u32 v12, v12, 23, v13
	v_or3_b32 v8, v9, v12, v8
.LBB48_1884:
	s_or_b64 exec, exec, s[6:7]
	s_movk_i32 s4, 0x7f
	v_cmp_gt_i16_sdwa s[6:7], v10, s4 src0_sel:BYTE_3 src1_sel:DWORD
	s_mov_b64 s[4:5], 0
                                        ; implicit-def: $sgpr10
	s_and_saveexec_b64 s[8:9], s[6:7]
	s_xor_b64 s[6:7], exec, s[8:9]
	s_cbranch_execnz .LBB48_3933
; %bb.1885:
	s_or_saveexec_b64 s[6:7], s[6:7]
	v_mov_b32_e32 v9, s10
	s_xor_b64 exec, exec, s[6:7]
	s_cbranch_execnz .LBB48_3936
.LBB48_1886:
	s_or_b64 exec, exec, s[6:7]
	s_and_saveexec_b64 s[6:7], s[4:5]
	s_cbranch_execz .LBB48_1888
.LBB48_1887:
	v_bfe_u32 v9, v10, 24, 3
	v_ffbh_u32_e32 v18, v9
	v_min_u32_e32 v18, 32, v18
	v_lshrrev_b32_e32 v13, 27, v10
	v_subrev_u32_e32 v19, 28, v18
	v_and_b32_e32 v12, 0x80000000, v10
	v_and_b32_e32 v13, 15, v13
	v_bfe_u32 v14, v10, 27, 4
	v_lshlrev_b32_sdwa v10, v19, v10 dst_sel:DWORD dst_unused:UNUSED_PAD src0_sel:DWORD src1_sel:BYTE_3
	v_sub_u32_e32 v18, 29, v18
	v_and_b32_e32 v10, 7, v10
	v_cmp_eq_u16_e32 vcc, 0, v13
	v_cndmask_b32_e32 v9, v9, v10, vcc
	v_cndmask_b32_e32 v10, v14, v18, vcc
	v_mov_b32_e32 v13, 0x3b800000
	v_lshlrev_b32_e32 v9, 20, v9
	v_lshl_add_u32 v10, v10, 23, v13
	v_or3_b32 v9, v12, v10, v9
.LBB48_1888:
	s_or_b64 exec, exec, s[6:7]
	s_nop 0
	v_mfma_f32_16x16x4f32 a[0:3], v8, v9, a[0:3]
	s_movk_i32 s4, 0x7f
	v_cmp_gt_i16_sdwa s[6:7], v15, s4 src0_sel:BYTE_0 src1_sel:DWORD
	s_mov_b64 s[4:5], 0
                                        ; implicit-def: $sgpr10
	s_and_saveexec_b64 s[8:9], s[6:7]
	s_xor_b64 s[6:7], exec, s[8:9]
	s_cbranch_execnz .LBB48_3937
; %bb.1889:
	s_or_saveexec_b64 s[6:7], s[6:7]
	v_mov_b32_e32 v8, s10
	s_xor_b64 exec, exec, s[6:7]
	s_cbranch_execnz .LBB48_3940
.LBB48_1890:
	s_or_b64 exec, exec, s[6:7]
	s_and_saveexec_b64 s[6:7], s[4:5]
	s_cbranch_execz .LBB48_1892
.LBB48_1891:
	v_and_b32_e32 v8, 7, v15
	v_ffbh_u32_e32 v10, v8
	v_min_u32_e32 v10, 32, v10
	v_lshrrev_b16_e32 v9, 3, v15
	v_subrev_u32_e32 v12, 28, v10
	v_and_b32_e32 v9, 15, v9
	v_lshlrev_b32_e32 v12, v12, v15
	v_sub_u32_e32 v10, 29, v10
	v_and_b32_e32 v12, 7, v12
	v_cmp_eq_u16_e32 vcc, 0, v9
	v_cndmask_b32_e32 v8, v8, v12, vcc
	v_cndmask_b32_e32 v9, v9, v10, vcc
	v_lshlrev_b32_e32 v10, 24, v15
	v_mov_b32_e32 v12, 0x3b800000
	v_lshlrev_b32_e32 v8, 20, v8
	v_and_b32_e32 v10, 0x80000000, v10
	v_lshl_add_u32 v9, v9, 23, v12
	v_or3_b32 v8, v10, v9, v8
.LBB48_1892:
	s_or_b64 exec, exec, s[6:7]
	s_movk_i32 s4, 0x7f
	v_cmp_gt_i16_sdwa s[6:7], v11, s4 src0_sel:BYTE_0 src1_sel:DWORD
	s_mov_b64 s[4:5], 0
                                        ; implicit-def: $sgpr10
	s_and_saveexec_b64 s[8:9], s[6:7]
	s_xor_b64 s[6:7], exec, s[8:9]
	s_cbranch_execnz .LBB48_3941
; %bb.1893:
	s_or_saveexec_b64 s[6:7], s[6:7]
	v_mov_b32_e32 v9, s10
	s_xor_b64 exec, exec, s[6:7]
	s_cbranch_execnz .LBB48_3944
.LBB48_1894:
	s_or_b64 exec, exec, s[6:7]
	s_and_saveexec_b64 s[6:7], s[4:5]
	s_cbranch_execz .LBB48_1896
.LBB48_1895:
	v_and_b32_e32 v9, 7, v11
	v_ffbh_u32_e32 v12, v9
	v_min_u32_e32 v12, 32, v12
	v_lshrrev_b16_e32 v10, 3, v11
	v_subrev_u32_e32 v13, 28, v12
	v_and_b32_e32 v10, 15, v10
	v_lshlrev_b32_e32 v13, v13, v11
	v_sub_u32_e32 v12, 29, v12
	v_and_b32_e32 v13, 7, v13
	v_cmp_eq_u16_e32 vcc, 0, v10
	v_cndmask_b32_e32 v9, v9, v13, vcc
	v_cndmask_b32_e32 v10, v10, v12, vcc
	v_lshlrev_b32_e32 v12, 24, v11
	v_mov_b32_e32 v13, 0x3b800000
	v_lshlrev_b32_e32 v9, 20, v9
	v_and_b32_e32 v12, 0x80000000, v12
	v_lshl_add_u32 v10, v10, 23, v13
	v_or3_b32 v9, v12, v10, v9
.LBB48_1896:
	s_or_b64 exec, exec, s[6:7]
	s_nop 0
	v_mfma_f32_16x16x4f32 a[0:3], v8, v9, a[0:3]
	v_lshrrev_b32_e32 v9, 8, v15
	s_movk_i32 s4, 0x7f
	v_cmp_gt_i16_sdwa s[6:7], v9, s4 src0_sel:BYTE_0 src1_sel:DWORD
	s_mov_b64 s[4:5], 0
                                        ; implicit-def: $sgpr10
	s_and_saveexec_b64 s[8:9], s[6:7]
	s_xor_b64 s[6:7], exec, s[8:9]
	s_cbranch_execnz .LBB48_3945
; %bb.1897:
	s_or_saveexec_b64 s[6:7], s[6:7]
	v_mov_b32_e32 v8, s10
	s_xor_b64 exec, exec, s[6:7]
	s_cbranch_execnz .LBB48_3948
.LBB48_1898:
	s_or_b64 exec, exec, s[6:7]
	s_and_saveexec_b64 s[6:7], s[4:5]
	s_cbranch_execz .LBB48_1900
.LBB48_1899:
	v_bfe_u32 v8, v15, 8, 3
	v_ffbh_u32_e32 v12, v8
	v_min_u32_e32 v12, 32, v12
	v_lshrrev_b16_e32 v10, 3, v9
	v_subrev_u32_e32 v13, 28, v12
	v_and_b32_e32 v10, 15, v10
	v_lshlrev_b32_e32 v9, v13, v9
	v_sub_u32_e32 v12, 29, v12
	v_and_b32_e32 v9, 7, v9
	v_cmp_eq_u16_e32 vcc, 0, v10
	v_cndmask_b32_e32 v8, v8, v9, vcc
	v_cndmask_b32_e32 v9, v10, v12, vcc
	v_lshlrev_b32_e32 v10, 16, v15
	v_mov_b32_e32 v12, 0x3b800000
	v_lshlrev_b32_e32 v8, 20, v8
	v_and_b32_e32 v10, 0x80000000, v10
	v_lshl_add_u32 v9, v9, 23, v12
	v_or3_b32 v8, v10, v9, v8
.LBB48_1900:
	s_or_b64 exec, exec, s[6:7]
	v_lshrrev_b32_e32 v9, 8, v11
	s_movk_i32 s4, 0x7f
	v_cmp_gt_i16_sdwa s[6:7], v9, s4 src0_sel:BYTE_0 src1_sel:DWORD
	s_mov_b64 s[4:5], 0
                                        ; implicit-def: $sgpr10
	s_and_saveexec_b64 s[8:9], s[6:7]
	s_xor_b64 s[6:7], exec, s[8:9]
	s_cbranch_execnz .LBB48_3949
; %bb.1901:
	s_or_saveexec_b64 s[6:7], s[6:7]
	v_mov_b32_e32 v10, s10
	s_xor_b64 exec, exec, s[6:7]
	s_cbranch_execnz .LBB48_3952
.LBB48_1902:
	s_or_b64 exec, exec, s[6:7]
	s_and_saveexec_b64 s[6:7], s[4:5]
	s_cbranch_execz .LBB48_1904
.LBB48_1903:
	v_bfe_u32 v10, v11, 8, 3
	v_ffbh_u32_e32 v13, v10
	v_min_u32_e32 v13, 32, v13
	v_lshrrev_b16_e32 v12, 3, v9
	v_subrev_u32_e32 v14, 28, v13
	v_and_b32_e32 v12, 15, v12
	v_lshlrev_b32_e32 v9, v14, v9
	v_sub_u32_e32 v13, 29, v13
	v_and_b32_e32 v9, 7, v9
	v_cmp_eq_u16_e32 vcc, 0, v12
	v_cndmask_b32_e32 v9, v10, v9, vcc
	v_cndmask_b32_e32 v10, v12, v13, vcc
	v_lshlrev_b32_e32 v12, 16, v11
	v_mov_b32_e32 v13, 0x3b800000
	v_lshlrev_b32_e32 v9, 20, v9
	v_and_b32_e32 v12, 0x80000000, v12
	v_lshl_add_u32 v10, v10, 23, v13
	v_or3_b32 v10, v12, v10, v9
.LBB48_1904:
	s_or_b64 exec, exec, s[6:7]
	s_nop 0
	v_mfma_f32_16x16x4f32 a[0:3], v8, v10, a[0:3]
	s_movk_i32 s4, 0xff
	v_and_b32_sdwa v9, v15, s4 dst_sel:DWORD dst_unused:UNUSED_PAD src0_sel:WORD_1 src1_sel:DWORD
	s_movk_i32 s4, 0x7f
	v_cmp_lt_i16_e32 vcc, s4, v9
	s_mov_b64 s[4:5], 0
                                        ; implicit-def: $sgpr10
	s_and_saveexec_b64 s[6:7], vcc
	s_xor_b64 s[6:7], exec, s[6:7]
	s_cbranch_execnz .LBB48_3953
; %bb.1905:
	s_or_saveexec_b64 s[6:7], s[6:7]
	v_mov_b32_e32 v8, s10
	s_xor_b64 exec, exec, s[6:7]
	s_cbranch_execnz .LBB48_3956
.LBB48_1906:
	s_or_b64 exec, exec, s[6:7]
	s_and_saveexec_b64 s[6:7], s[4:5]
	s_cbranch_execz .LBB48_1908
.LBB48_1907:
	v_bfe_u32 v8, v15, 16, 3
	v_ffbh_u32_e32 v12, v8
	v_min_u32_e32 v12, 32, v12
	v_lshrrev_b32_e32 v9, 19, v15
	v_subrev_u32_e32 v13, 28, v12
	v_and_b32_e32 v9, 15, v9
	v_lshlrev_b32_sdwa v13, v13, v15 dst_sel:DWORD dst_unused:UNUSED_PAD src0_sel:DWORD src1_sel:WORD_1
	v_bfe_u32 v10, v15, 19, 4
	v_sub_u32_e32 v12, 29, v12
	v_and_b32_e32 v13, 7, v13
	v_cmp_eq_u16_e32 vcc, 0, v9
	v_cndmask_b32_e32 v8, v8, v13, vcc
	v_cndmask_b32_e32 v9, v10, v12, vcc
	v_lshlrev_b32_e32 v10, 8, v15
	v_mov_b32_e32 v12, 0x3b800000
	v_lshlrev_b32_e32 v8, 20, v8
	v_and_b32_e32 v10, 0x80000000, v10
	v_lshl_add_u32 v9, v9, 23, v12
	v_or3_b32 v8, v10, v9, v8
.LBB48_1908:
	s_or_b64 exec, exec, s[6:7]
	s_movk_i32 s4, 0xff
	v_and_b32_sdwa v9, v11, s4 dst_sel:DWORD dst_unused:UNUSED_PAD src0_sel:WORD_1 src1_sel:DWORD
	s_movk_i32 s4, 0x7f
	v_cmp_lt_i16_e32 vcc, s4, v9
	s_mov_b64 s[4:5], 0
                                        ; implicit-def: $sgpr10
	s_and_saveexec_b64 s[6:7], vcc
	s_xor_b64 s[6:7], exec, s[6:7]
	s_cbranch_execnz .LBB48_3957
; %bb.1909:
	s_or_saveexec_b64 s[6:7], s[6:7]
	v_mov_b32_e32 v10, s10
	s_xor_b64 exec, exec, s[6:7]
	s_cbranch_execnz .LBB48_3960
.LBB48_1910:
	s_or_b64 exec, exec, s[6:7]
	s_and_saveexec_b64 s[6:7], s[4:5]
	s_cbranch_execz .LBB48_1912
.LBB48_1911:
	v_bfe_u32 v9, v11, 16, 3
	v_ffbh_u32_e32 v13, v9
	v_min_u32_e32 v13, 32, v13
	v_lshrrev_b32_e32 v10, 19, v11
	v_subrev_u32_e32 v14, 28, v13
	v_and_b32_e32 v10, 15, v10
	v_lshlrev_b32_sdwa v14, v14, v11 dst_sel:DWORD dst_unused:UNUSED_PAD src0_sel:DWORD src1_sel:WORD_1
	v_bfe_u32 v12, v11, 19, 4
	v_sub_u32_e32 v13, 29, v13
	v_and_b32_e32 v14, 7, v14
	v_cmp_eq_u16_e32 vcc, 0, v10
	v_cndmask_b32_e32 v9, v9, v14, vcc
	v_cndmask_b32_e32 v10, v12, v13, vcc
	v_lshlrev_b32_e32 v12, 8, v11
	v_mov_b32_e32 v13, 0x3b800000
	v_lshlrev_b32_e32 v9, 20, v9
	v_and_b32_e32 v12, 0x80000000, v12
	v_lshl_add_u32 v10, v10, 23, v13
	v_or3_b32 v10, v12, v10, v9
.LBB48_1912:
	s_or_b64 exec, exec, s[6:7]
	s_nop 0
	v_mfma_f32_16x16x4f32 a[0:3], v8, v10, a[0:3]
	s_movk_i32 s4, 0x7f
	v_cmp_gt_i16_sdwa s[6:7], v15, s4 src0_sel:BYTE_3 src1_sel:DWORD
	s_mov_b64 s[4:5], 0
                                        ; implicit-def: $sgpr10
	s_and_saveexec_b64 s[8:9], s[6:7]
	s_xor_b64 s[6:7], exec, s[8:9]
	s_cbranch_execnz .LBB48_3961
; %bb.1913:
	s_or_saveexec_b64 s[6:7], s[6:7]
	v_mov_b32_e32 v8, s10
	s_xor_b64 exec, exec, s[6:7]
	s_cbranch_execnz .LBB48_3964
.LBB48_1914:
	s_or_b64 exec, exec, s[6:7]
	s_and_saveexec_b64 s[6:7], s[4:5]
	s_cbranch_execz .LBB48_1916
.LBB48_1915:
	v_bfe_u32 v8, v15, 24, 3
	v_ffbh_u32_e32 v13, v8
	v_min_u32_e32 v13, 32, v13
	v_lshrrev_b32_e32 v10, 27, v15
	v_subrev_u32_e32 v14, 28, v13
	v_and_b32_e32 v10, 15, v10
	v_lshlrev_b32_sdwa v14, v14, v15 dst_sel:DWORD dst_unused:UNUSED_PAD src0_sel:DWORD src1_sel:BYTE_3
	v_bfe_u32 v12, v15, 27, 4
	v_sub_u32_e32 v13, 29, v13
	v_and_b32_e32 v14, 7, v14
	v_cmp_eq_u16_e32 vcc, 0, v10
	v_cndmask_b32_e32 v8, v8, v14, vcc
	v_cndmask_b32_e32 v10, v12, v13, vcc
	v_mov_b32_e32 v12, 0x3b800000
	v_and_b32_e32 v9, 0x80000000, v15
	v_lshlrev_b32_e32 v8, 20, v8
	v_lshl_add_u32 v10, v10, 23, v12
	v_or3_b32 v8, v9, v10, v8
.LBB48_1916:
	s_or_b64 exec, exec, s[6:7]
	s_movk_i32 s4, 0x7f
	v_cmp_gt_i16_sdwa s[6:7], v11, s4 src0_sel:BYTE_3 src1_sel:DWORD
	s_mov_b64 s[4:5], 0
                                        ; implicit-def: $sgpr10
	s_and_saveexec_b64 s[8:9], s[6:7]
	s_xor_b64 s[6:7], exec, s[8:9]
	s_cbranch_execnz .LBB48_3965
; %bb.1917:
	s_or_saveexec_b64 s[6:7], s[6:7]
	v_mov_b32_e32 v9, s10
	s_xor_b64 exec, exec, s[6:7]
	s_cbranch_execnz .LBB48_3968
.LBB48_1918:
	s_or_b64 exec, exec, s[6:7]
	s_and_saveexec_b64 s[6:7], s[4:5]
	s_cbranch_execz .LBB48_1920
.LBB48_1919:
	v_bfe_u32 v9, v11, 24, 3
	v_ffbh_u32_e32 v14, v9
	v_min_u32_e32 v14, 32, v14
	v_lshrrev_b32_e32 v12, 27, v11
	v_subrev_u32_e32 v15, 28, v14
	v_and_b32_e32 v10, 0x80000000, v11
	v_and_b32_e32 v12, 15, v12
	v_bfe_u32 v13, v11, 27, 4
	v_lshlrev_b32_sdwa v11, v15, v11 dst_sel:DWORD dst_unused:UNUSED_PAD src0_sel:DWORD src1_sel:BYTE_3
	v_sub_u32_e32 v14, 29, v14
	v_and_b32_e32 v11, 7, v11
	v_cmp_eq_u16_e32 vcc, 0, v12
	v_cndmask_b32_e32 v9, v9, v11, vcc
	v_cndmask_b32_e32 v11, v13, v14, vcc
	v_mov_b32_e32 v12, 0x3b800000
	v_lshlrev_b32_e32 v9, 20, v9
	v_lshl_add_u32 v11, v11, 23, v12
	v_or3_b32 v9, v10, v11, v9
.LBB48_1920:
	s_or_b64 exec, exec, s[6:7]
	s_nop 0
	v_mfma_f32_16x16x4f32 a[0:3], v8, v9, a[0:3]
	s_movk_i32 s4, 0x7f
	v_cmp_gt_i16_sdwa s[6:7], v4, s4 src0_sel:BYTE_0 src1_sel:DWORD
	s_mov_b64 s[4:5], 0
                                        ; implicit-def: $sgpr10
	s_and_saveexec_b64 s[8:9], s[6:7]
	s_xor_b64 s[6:7], exec, s[8:9]
	s_cbranch_execnz .LBB48_3969
; %bb.1921:
	s_or_saveexec_b64 s[6:7], s[6:7]
	v_mov_b32_e32 v8, s10
	s_xor_b64 exec, exec, s[6:7]
	s_cbranch_execnz .LBB48_3972
.LBB48_1922:
	s_or_b64 exec, exec, s[6:7]
	s_and_saveexec_b64 s[6:7], s[4:5]
	s_cbranch_execz .LBB48_1924
.LBB48_1923:
	v_and_b32_e32 v8, 7, v4
	v_ffbh_u32_e32 v10, v8
	v_min_u32_e32 v10, 32, v10
	v_lshrrev_b16_e32 v9, 3, v4
	v_subrev_u32_e32 v11, 28, v10
	v_and_b32_e32 v9, 15, v9
	v_lshlrev_b32_e32 v11, v11, v4
	v_sub_u32_e32 v10, 29, v10
	v_and_b32_e32 v11, 7, v11
	v_cmp_eq_u16_e32 vcc, 0, v9
	v_cndmask_b32_e32 v8, v8, v11, vcc
	v_cndmask_b32_e32 v9, v9, v10, vcc
	v_lshlrev_b32_e32 v10, 24, v4
	v_mov_b32_e32 v11, 0x3b800000
	v_lshlrev_b32_e32 v8, 20, v8
	v_and_b32_e32 v10, 0x80000000, v10
	v_lshl_add_u32 v9, v9, 23, v11
	v_or3_b32 v8, v10, v9, v8
.LBB48_1924:
	s_or_b64 exec, exec, s[6:7]
	s_movk_i32 s4, 0x7f
	v_cmp_gt_i16_sdwa s[6:7], v0, s4 src0_sel:BYTE_0 src1_sel:DWORD
	s_mov_b64 s[4:5], 0
                                        ; implicit-def: $sgpr10
	s_and_saveexec_b64 s[8:9], s[6:7]
	s_xor_b64 s[6:7], exec, s[8:9]
	s_cbranch_execnz .LBB48_3973
; %bb.1925:
	s_or_saveexec_b64 s[6:7], s[6:7]
	v_mov_b32_e32 v9, s10
	s_xor_b64 exec, exec, s[6:7]
	s_cbranch_execnz .LBB48_3976
.LBB48_1926:
	s_or_b64 exec, exec, s[6:7]
	s_and_saveexec_b64 s[6:7], s[4:5]
	s_cbranch_execz .LBB48_1928
.LBB48_1927:
	v_and_b32_e32 v9, 7, v0
	v_ffbh_u32_e32 v11, v9
	v_min_u32_e32 v11, 32, v11
	v_lshrrev_b16_e32 v10, 3, v0
	v_subrev_u32_e32 v12, 28, v11
	v_and_b32_e32 v10, 15, v10
	v_lshlrev_b32_e32 v12, v12, v0
	v_sub_u32_e32 v11, 29, v11
	v_and_b32_e32 v12, 7, v12
	v_cmp_eq_u16_e32 vcc, 0, v10
	v_cndmask_b32_e32 v9, v9, v12, vcc
	v_cndmask_b32_e32 v10, v10, v11, vcc
	v_lshlrev_b32_e32 v11, 24, v0
	v_mov_b32_e32 v12, 0x3b800000
	v_lshlrev_b32_e32 v9, 20, v9
	v_and_b32_e32 v11, 0x80000000, v11
	v_lshl_add_u32 v10, v10, 23, v12
	v_or3_b32 v9, v11, v10, v9
.LBB48_1928:
	s_or_b64 exec, exec, s[6:7]
	s_nop 0
	v_mfma_f32_16x16x4f32 a[0:3], v8, v9, a[0:3]
	v_lshrrev_b32_e32 v9, 8, v4
	s_movk_i32 s4, 0x7f
	v_cmp_gt_i16_sdwa s[6:7], v9, s4 src0_sel:BYTE_0 src1_sel:DWORD
	s_mov_b64 s[4:5], 0
                                        ; implicit-def: $sgpr10
	s_and_saveexec_b64 s[8:9], s[6:7]
	s_xor_b64 s[6:7], exec, s[8:9]
	s_cbranch_execnz .LBB48_3977
; %bb.1929:
	s_or_saveexec_b64 s[6:7], s[6:7]
	v_mov_b32_e32 v8, s10
	s_xor_b64 exec, exec, s[6:7]
	s_cbranch_execnz .LBB48_3980
.LBB48_1930:
	s_or_b64 exec, exec, s[6:7]
	s_and_saveexec_b64 s[6:7], s[4:5]
	s_cbranch_execz .LBB48_1932
.LBB48_1931:
	v_bfe_u32 v8, v4, 8, 3
	v_ffbh_u32_e32 v11, v8
	v_min_u32_e32 v11, 32, v11
	v_lshrrev_b16_e32 v10, 3, v9
	v_subrev_u32_e32 v12, 28, v11
	v_and_b32_e32 v10, 15, v10
	v_lshlrev_b32_e32 v9, v12, v9
	v_sub_u32_e32 v11, 29, v11
	v_and_b32_e32 v9, 7, v9
	v_cmp_eq_u16_e32 vcc, 0, v10
	v_cndmask_b32_e32 v8, v8, v9, vcc
	v_cndmask_b32_e32 v9, v10, v11, vcc
	v_lshlrev_b32_e32 v10, 16, v4
	v_mov_b32_e32 v11, 0x3b800000
	v_lshlrev_b32_e32 v8, 20, v8
	v_and_b32_e32 v10, 0x80000000, v10
	v_lshl_add_u32 v9, v9, 23, v11
	v_or3_b32 v8, v10, v9, v8
.LBB48_1932:
	s_or_b64 exec, exec, s[6:7]
	v_lshrrev_b32_e32 v9, 8, v0
	s_movk_i32 s4, 0x7f
	v_cmp_gt_i16_sdwa s[6:7], v9, s4 src0_sel:BYTE_0 src1_sel:DWORD
	s_mov_b64 s[4:5], 0
                                        ; implicit-def: $sgpr10
	s_and_saveexec_b64 s[8:9], s[6:7]
	s_xor_b64 s[6:7], exec, s[8:9]
	s_cbranch_execnz .LBB48_3981
; %bb.1933:
	s_or_saveexec_b64 s[6:7], s[6:7]
	v_mov_b32_e32 v10, s10
	s_xor_b64 exec, exec, s[6:7]
	s_cbranch_execnz .LBB48_3984
.LBB48_1934:
	s_or_b64 exec, exec, s[6:7]
	s_and_saveexec_b64 s[6:7], s[4:5]
	s_cbranch_execz .LBB48_1936
.LBB48_1935:
	v_bfe_u32 v10, v0, 8, 3
	v_ffbh_u32_e32 v12, v10
	v_min_u32_e32 v12, 32, v12
	v_lshrrev_b16_e32 v11, 3, v9
	v_subrev_u32_e32 v13, 28, v12
	v_and_b32_e32 v11, 15, v11
	v_lshlrev_b32_e32 v9, v13, v9
	v_sub_u32_e32 v12, 29, v12
	v_and_b32_e32 v9, 7, v9
	v_cmp_eq_u16_e32 vcc, 0, v11
	v_cndmask_b32_e32 v9, v10, v9, vcc
	v_cndmask_b32_e32 v10, v11, v12, vcc
	v_lshlrev_b32_e32 v11, 16, v0
	v_mov_b32_e32 v12, 0x3b800000
	v_lshlrev_b32_e32 v9, 20, v9
	v_and_b32_e32 v11, 0x80000000, v11
	v_lshl_add_u32 v10, v10, 23, v12
	v_or3_b32 v10, v11, v10, v9
.LBB48_1936:
	s_or_b64 exec, exec, s[6:7]
	s_nop 0
	v_mfma_f32_16x16x4f32 a[0:3], v8, v10, a[0:3]
	s_movk_i32 s4, 0xff
	v_and_b32_sdwa v9, v4, s4 dst_sel:DWORD dst_unused:UNUSED_PAD src0_sel:WORD_1 src1_sel:DWORD
	s_movk_i32 s4, 0x7f
	v_cmp_lt_i16_e32 vcc, s4, v9
	s_mov_b64 s[4:5], 0
                                        ; implicit-def: $sgpr10
	s_and_saveexec_b64 s[6:7], vcc
	s_xor_b64 s[6:7], exec, s[6:7]
	s_cbranch_execnz .LBB48_3985
; %bb.1937:
	s_or_saveexec_b64 s[6:7], s[6:7]
	v_mov_b32_e32 v8, s10
	s_xor_b64 exec, exec, s[6:7]
	s_cbranch_execnz .LBB48_3988
.LBB48_1938:
	s_or_b64 exec, exec, s[6:7]
	s_and_saveexec_b64 s[6:7], s[4:5]
	s_cbranch_execz .LBB48_1940
.LBB48_1939:
	v_bfe_u32 v8, v4, 16, 3
	v_ffbh_u32_e32 v11, v8
	v_min_u32_e32 v11, 32, v11
	v_lshrrev_b32_e32 v9, 19, v4
	v_subrev_u32_e32 v12, 28, v11
	v_and_b32_e32 v9, 15, v9
	v_lshlrev_b32_sdwa v12, v12, v4 dst_sel:DWORD dst_unused:UNUSED_PAD src0_sel:DWORD src1_sel:WORD_1
	v_bfe_u32 v10, v4, 19, 4
	v_sub_u32_e32 v11, 29, v11
	v_and_b32_e32 v12, 7, v12
	v_cmp_eq_u16_e32 vcc, 0, v9
	v_cndmask_b32_e32 v8, v8, v12, vcc
	v_cndmask_b32_e32 v9, v10, v11, vcc
	v_lshlrev_b32_e32 v10, 8, v4
	v_mov_b32_e32 v11, 0x3b800000
	v_lshlrev_b32_e32 v8, 20, v8
	v_and_b32_e32 v10, 0x80000000, v10
	v_lshl_add_u32 v9, v9, 23, v11
	v_or3_b32 v8, v10, v9, v8
.LBB48_1940:
	s_or_b64 exec, exec, s[6:7]
	s_movk_i32 s4, 0xff
	v_and_b32_sdwa v9, v0, s4 dst_sel:DWORD dst_unused:UNUSED_PAD src0_sel:WORD_1 src1_sel:DWORD
	s_movk_i32 s4, 0x7f
	v_cmp_lt_i16_e32 vcc, s4, v9
	s_mov_b64 s[4:5], 0
                                        ; implicit-def: $sgpr10
	s_and_saveexec_b64 s[6:7], vcc
	s_xor_b64 s[6:7], exec, s[6:7]
	s_cbranch_execnz .LBB48_3989
; %bb.1941:
	s_or_saveexec_b64 s[6:7], s[6:7]
	v_mov_b32_e32 v10, s10
	s_xor_b64 exec, exec, s[6:7]
	s_cbranch_execnz .LBB48_3992
.LBB48_1942:
	s_or_b64 exec, exec, s[6:7]
	s_and_saveexec_b64 s[6:7], s[4:5]
	s_cbranch_execz .LBB48_1944
.LBB48_1943:
	v_bfe_u32 v9, v0, 16, 3
	v_ffbh_u32_e32 v12, v9
	v_min_u32_e32 v12, 32, v12
	v_lshrrev_b32_e32 v10, 19, v0
	v_subrev_u32_e32 v13, 28, v12
	v_and_b32_e32 v10, 15, v10
	v_lshlrev_b32_sdwa v13, v13, v0 dst_sel:DWORD dst_unused:UNUSED_PAD src0_sel:DWORD src1_sel:WORD_1
	v_bfe_u32 v11, v0, 19, 4
	v_sub_u32_e32 v12, 29, v12
	v_and_b32_e32 v13, 7, v13
	v_cmp_eq_u16_e32 vcc, 0, v10
	v_cndmask_b32_e32 v9, v9, v13, vcc
	v_cndmask_b32_e32 v10, v11, v12, vcc
	v_lshlrev_b32_e32 v11, 8, v0
	v_mov_b32_e32 v12, 0x3b800000
	v_lshlrev_b32_e32 v9, 20, v9
	v_and_b32_e32 v11, 0x80000000, v11
	v_lshl_add_u32 v10, v10, 23, v12
	v_or3_b32 v10, v11, v10, v9
.LBB48_1944:
	s_or_b64 exec, exec, s[6:7]
	s_nop 0
	v_mfma_f32_16x16x4f32 a[0:3], v8, v10, a[0:3]
	s_movk_i32 s4, 0x7f
	v_cmp_gt_i16_sdwa s[6:7], v4, s4 src0_sel:BYTE_3 src1_sel:DWORD
	s_mov_b64 s[4:5], 0
                                        ; implicit-def: $sgpr10
	s_and_saveexec_b64 s[8:9], s[6:7]
	s_xor_b64 s[6:7], exec, s[8:9]
	s_cbranch_execnz .LBB48_3993
; %bb.1945:
	s_or_saveexec_b64 s[6:7], s[6:7]
	v_mov_b32_e32 v8, s10
	s_xor_b64 exec, exec, s[6:7]
	s_cbranch_execnz .LBB48_3996
.LBB48_1946:
	s_or_b64 exec, exec, s[6:7]
	s_and_saveexec_b64 s[6:7], s[4:5]
	s_cbranch_execz .LBB48_1948
.LBB48_1947:
	v_bfe_u32 v8, v4, 24, 3
	v_ffbh_u32_e32 v12, v8
	v_min_u32_e32 v12, 32, v12
	v_lshrrev_b32_e32 v10, 27, v4
	v_subrev_u32_e32 v13, 28, v12
	v_and_b32_e32 v9, 0x80000000, v4
	v_and_b32_e32 v10, 15, v10
	v_bfe_u32 v11, v4, 27, 4
	v_lshlrev_b32_sdwa v4, v13, v4 dst_sel:DWORD dst_unused:UNUSED_PAD src0_sel:DWORD src1_sel:BYTE_3
	v_sub_u32_e32 v12, 29, v12
	v_and_b32_e32 v4, 7, v4
	v_cmp_eq_u16_e32 vcc, 0, v10
	v_cndmask_b32_e32 v4, v8, v4, vcc
	v_cndmask_b32_e32 v8, v11, v12, vcc
	v_mov_b32_e32 v10, 0x3b800000
	v_lshlrev_b32_e32 v4, 20, v4
	v_lshl_add_u32 v8, v8, 23, v10
	v_or3_b32 v8, v9, v8, v4
.LBB48_1948:
	s_or_b64 exec, exec, s[6:7]
	s_movk_i32 s4, 0x7f
	v_cmp_gt_i16_sdwa s[6:7], v0, s4 src0_sel:BYTE_3 src1_sel:DWORD
	s_mov_b64 s[4:5], 0
                                        ; implicit-def: $sgpr10
	s_and_saveexec_b64 s[8:9], s[6:7]
	s_xor_b64 s[6:7], exec, s[8:9]
	s_cbranch_execnz .LBB48_3997
; %bb.1949:
	s_or_saveexec_b64 s[6:7], s[6:7]
	v_mov_b32_e32 v4, s10
	s_xor_b64 exec, exec, s[6:7]
	s_cbranch_execnz .LBB48_4000
.LBB48_1950:
	s_or_b64 exec, exec, s[6:7]
	s_and_saveexec_b64 s[6:7], s[4:5]
	s_cbranch_execz .LBB48_1952
.LBB48_1951:
	v_bfe_u32 v4, v0, 24, 3
	v_ffbh_u32_e32 v12, v4
	v_min_u32_e32 v12, 32, v12
	v_lshrrev_b32_e32 v10, 27, v0
	v_subrev_u32_e32 v13, 28, v12
	v_and_b32_e32 v9, 0x80000000, v0
	v_and_b32_e32 v10, 15, v10
	v_bfe_u32 v11, v0, 27, 4
	v_lshlrev_b32_sdwa v0, v13, v0 dst_sel:DWORD dst_unused:UNUSED_PAD src0_sel:DWORD src1_sel:BYTE_3
	v_sub_u32_e32 v12, 29, v12
	v_and_b32_e32 v0, 7, v0
	v_cmp_eq_u16_e32 vcc, 0, v10
	v_cndmask_b32_e32 v0, v4, v0, vcc
	v_cndmask_b32_e32 v4, v11, v12, vcc
	v_mov_b32_e32 v10, 0x3b800000
	v_lshlrev_b32_e32 v0, 20, v0
	v_lshl_add_u32 v4, v4, 23, v10
	v_or3_b32 v4, v9, v4, v0
.LBB48_1952:
	s_or_b64 exec, exec, s[6:7]
	s_nop 0
	v_mfma_f32_16x16x4f32 a[0:3], v8, v4, a[0:3]
	s_movk_i32 s4, 0x7f
	v_cmp_gt_i16_sdwa s[6:7], v5, s4 src0_sel:BYTE_0 src1_sel:DWORD
	s_mov_b64 s[4:5], 0
                                        ; implicit-def: $sgpr10
	s_and_saveexec_b64 s[8:9], s[6:7]
	s_xor_b64 s[6:7], exec, s[8:9]
	s_cbranch_execnz .LBB48_4001
; %bb.1953:
	s_or_saveexec_b64 s[6:7], s[6:7]
	v_mov_b32_e32 v0, s10
	s_xor_b64 exec, exec, s[6:7]
	s_cbranch_execnz .LBB48_4004
.LBB48_1954:
	s_or_b64 exec, exec, s[6:7]
	s_and_saveexec_b64 s[6:7], s[4:5]
	s_cbranch_execz .LBB48_1956
.LBB48_1955:
	v_and_b32_e32 v0, 7, v5
	v_ffbh_u32_e32 v8, v0
	v_min_u32_e32 v8, 32, v8
	v_lshrrev_b16_e32 v4, 3, v5
	v_subrev_u32_e32 v9, 28, v8
	v_and_b32_e32 v4, 15, v4
	v_lshlrev_b32_e32 v9, v9, v5
	v_sub_u32_e32 v8, 29, v8
	v_and_b32_e32 v9, 7, v9
	v_cmp_eq_u16_e32 vcc, 0, v4
	v_cndmask_b32_e32 v0, v0, v9, vcc
	v_cndmask_b32_e32 v4, v4, v8, vcc
	v_lshlrev_b32_e32 v8, 24, v5
	v_mov_b32_e32 v9, 0x3b800000
	v_lshlrev_b32_e32 v0, 20, v0
	v_and_b32_e32 v8, 0x80000000, v8
	v_lshl_add_u32 v4, v4, 23, v9
	v_or3_b32 v0, v8, v4, v0
.LBB48_1956:
	s_or_b64 exec, exec, s[6:7]
	s_movk_i32 s4, 0x7f
	v_cmp_gt_i16_sdwa s[6:7], v1, s4 src0_sel:BYTE_0 src1_sel:DWORD
	s_mov_b64 s[4:5], 0
                                        ; implicit-def: $sgpr10
	s_and_saveexec_b64 s[8:9], s[6:7]
	s_xor_b64 s[6:7], exec, s[8:9]
	s_cbranch_execnz .LBB48_4005
; %bb.1957:
	s_or_saveexec_b64 s[6:7], s[6:7]
	v_mov_b32_e32 v4, s10
	s_xor_b64 exec, exec, s[6:7]
	s_cbranch_execnz .LBB48_4008
.LBB48_1958:
	s_or_b64 exec, exec, s[6:7]
	s_and_saveexec_b64 s[6:7], s[4:5]
	s_cbranch_execz .LBB48_1960
.LBB48_1959:
	v_and_b32_e32 v4, 7, v1
	v_ffbh_u32_e32 v9, v4
	v_min_u32_e32 v9, 32, v9
	v_lshrrev_b16_e32 v8, 3, v1
	v_subrev_u32_e32 v10, 28, v9
	v_and_b32_e32 v8, 15, v8
	v_lshlrev_b32_e32 v10, v10, v1
	v_sub_u32_e32 v9, 29, v9
	v_and_b32_e32 v10, 7, v10
	v_cmp_eq_u16_e32 vcc, 0, v8
	v_cndmask_b32_e32 v4, v4, v10, vcc
	v_cndmask_b32_e32 v8, v8, v9, vcc
	v_lshlrev_b32_e32 v9, 24, v1
	v_mov_b32_e32 v10, 0x3b800000
	v_lshlrev_b32_e32 v4, 20, v4
	v_and_b32_e32 v9, 0x80000000, v9
	v_lshl_add_u32 v8, v8, 23, v10
	v_or3_b32 v4, v9, v8, v4
.LBB48_1960:
	s_or_b64 exec, exec, s[6:7]
	s_nop 0
	v_mfma_f32_16x16x4f32 a[0:3], v0, v4, a[0:3]
	v_lshrrev_b32_e32 v4, 8, v5
	s_movk_i32 s4, 0x7f
	v_cmp_gt_i16_sdwa s[6:7], v4, s4 src0_sel:BYTE_0 src1_sel:DWORD
	s_mov_b64 s[4:5], 0
                                        ; implicit-def: $sgpr10
	s_and_saveexec_b64 s[8:9], s[6:7]
	s_xor_b64 s[6:7], exec, s[8:9]
	s_cbranch_execnz .LBB48_4009
; %bb.1961:
	s_or_saveexec_b64 s[6:7], s[6:7]
	v_mov_b32_e32 v0, s10
	s_xor_b64 exec, exec, s[6:7]
	s_cbranch_execnz .LBB48_4012
.LBB48_1962:
	s_or_b64 exec, exec, s[6:7]
	s_and_saveexec_b64 s[6:7], s[4:5]
	s_cbranch_execz .LBB48_1964
.LBB48_1963:
	v_bfe_u32 v0, v5, 8, 3
	v_ffbh_u32_e32 v9, v0
	v_min_u32_e32 v9, 32, v9
	v_lshrrev_b16_e32 v8, 3, v4
	v_subrev_u32_e32 v10, 28, v9
	v_and_b32_e32 v8, 15, v8
	v_lshlrev_b32_e32 v4, v10, v4
	v_sub_u32_e32 v9, 29, v9
	v_and_b32_e32 v4, 7, v4
	v_cmp_eq_u16_e32 vcc, 0, v8
	v_cndmask_b32_e32 v0, v0, v4, vcc
	v_cndmask_b32_e32 v4, v8, v9, vcc
	v_lshlrev_b32_e32 v8, 16, v5
	v_mov_b32_e32 v9, 0x3b800000
	v_lshlrev_b32_e32 v0, 20, v0
	v_and_b32_e32 v8, 0x80000000, v8
	v_lshl_add_u32 v4, v4, 23, v9
	v_or3_b32 v0, v8, v4, v0
.LBB48_1964:
	s_or_b64 exec, exec, s[6:7]
	v_lshrrev_b32_e32 v4, 8, v1
	s_movk_i32 s4, 0x7f
	v_cmp_gt_i16_sdwa s[6:7], v4, s4 src0_sel:BYTE_0 src1_sel:DWORD
	s_mov_b64 s[4:5], 0
                                        ; implicit-def: $sgpr10
	s_and_saveexec_b64 s[8:9], s[6:7]
	s_xor_b64 s[6:7], exec, s[8:9]
	s_cbranch_execnz .LBB48_4013
; %bb.1965:
	s_or_saveexec_b64 s[6:7], s[6:7]
	v_mov_b32_e32 v8, s10
	s_xor_b64 exec, exec, s[6:7]
	s_cbranch_execnz .LBB48_4016
.LBB48_1966:
	s_or_b64 exec, exec, s[6:7]
	s_and_saveexec_b64 s[6:7], s[4:5]
	s_cbranch_execz .LBB48_1968
.LBB48_1967:
	v_bfe_u32 v8, v1, 8, 3
	v_ffbh_u32_e32 v10, v8
	v_min_u32_e32 v10, 32, v10
	v_lshrrev_b16_e32 v9, 3, v4
	v_subrev_u32_e32 v11, 28, v10
	v_and_b32_e32 v9, 15, v9
	v_lshlrev_b32_e32 v4, v11, v4
	v_sub_u32_e32 v10, 29, v10
	v_and_b32_e32 v4, 7, v4
	v_cmp_eq_u16_e32 vcc, 0, v9
	v_cndmask_b32_e32 v4, v8, v4, vcc
	v_cndmask_b32_e32 v8, v9, v10, vcc
	v_lshlrev_b32_e32 v9, 16, v1
	v_mov_b32_e32 v10, 0x3b800000
	v_lshlrev_b32_e32 v4, 20, v4
	v_and_b32_e32 v9, 0x80000000, v9
	v_lshl_add_u32 v8, v8, 23, v10
	v_or3_b32 v8, v9, v8, v4
.LBB48_1968:
	s_or_b64 exec, exec, s[6:7]
	s_nop 0
	v_mfma_f32_16x16x4f32 a[0:3], v0, v8, a[0:3]
	s_movk_i32 s4, 0xff
	v_and_b32_sdwa v4, v5, s4 dst_sel:DWORD dst_unused:UNUSED_PAD src0_sel:WORD_1 src1_sel:DWORD
	s_movk_i32 s4, 0x7f
	v_cmp_lt_i16_e32 vcc, s4, v4
	s_mov_b64 s[4:5], 0
                                        ; implicit-def: $sgpr10
	s_and_saveexec_b64 s[6:7], vcc
	s_xor_b64 s[6:7], exec, s[6:7]
	s_cbranch_execnz .LBB48_4017
; %bb.1969:
	s_or_saveexec_b64 s[6:7], s[6:7]
	v_mov_b32_e32 v0, s10
	s_xor_b64 exec, exec, s[6:7]
	s_cbranch_execnz .LBB48_4020
.LBB48_1970:
	s_or_b64 exec, exec, s[6:7]
	s_and_saveexec_b64 s[6:7], s[4:5]
	s_cbranch_execz .LBB48_1972
.LBB48_1971:
	v_bfe_u32 v0, v5, 16, 3
	v_ffbh_u32_e32 v9, v0
	v_min_u32_e32 v9, 32, v9
	v_lshrrev_b32_e32 v4, 19, v5
	v_subrev_u32_e32 v10, 28, v9
	v_and_b32_e32 v4, 15, v4
	v_lshlrev_b32_sdwa v10, v10, v5 dst_sel:DWORD dst_unused:UNUSED_PAD src0_sel:DWORD src1_sel:WORD_1
	v_bfe_u32 v8, v5, 19, 4
	v_sub_u32_e32 v9, 29, v9
	v_and_b32_e32 v10, 7, v10
	v_cmp_eq_u16_e32 vcc, 0, v4
	v_cndmask_b32_e32 v0, v0, v10, vcc
	v_cndmask_b32_e32 v4, v8, v9, vcc
	v_lshlrev_b32_e32 v8, 8, v5
	v_mov_b32_e32 v9, 0x3b800000
	v_lshlrev_b32_e32 v0, 20, v0
	v_and_b32_e32 v8, 0x80000000, v8
	v_lshl_add_u32 v4, v4, 23, v9
	v_or3_b32 v0, v8, v4, v0
.LBB48_1972:
	s_or_b64 exec, exec, s[6:7]
	s_movk_i32 s4, 0xff
	v_and_b32_sdwa v4, v1, s4 dst_sel:DWORD dst_unused:UNUSED_PAD src0_sel:WORD_1 src1_sel:DWORD
	s_movk_i32 s4, 0x7f
	v_cmp_lt_i16_e32 vcc, s4, v4
	s_mov_b64 s[4:5], 0
                                        ; implicit-def: $sgpr10
	s_and_saveexec_b64 s[6:7], vcc
	s_xor_b64 s[6:7], exec, s[6:7]
	s_cbranch_execnz .LBB48_4021
; %bb.1973:
	s_or_saveexec_b64 s[6:7], s[6:7]
	v_mov_b32_e32 v8, s10
	s_xor_b64 exec, exec, s[6:7]
	s_cbranch_execnz .LBB48_4024
.LBB48_1974:
	s_or_b64 exec, exec, s[6:7]
	s_and_saveexec_b64 s[6:7], s[4:5]
	s_cbranch_execz .LBB48_1976
.LBB48_1975:
	v_bfe_u32 v4, v1, 16, 3
	v_ffbh_u32_e32 v10, v4
	v_min_u32_e32 v10, 32, v10
	v_lshrrev_b32_e32 v8, 19, v1
	v_subrev_u32_e32 v11, 28, v10
	v_and_b32_e32 v8, 15, v8
	v_lshlrev_b32_sdwa v11, v11, v1 dst_sel:DWORD dst_unused:UNUSED_PAD src0_sel:DWORD src1_sel:WORD_1
	v_bfe_u32 v9, v1, 19, 4
	v_sub_u32_e32 v10, 29, v10
	v_and_b32_e32 v11, 7, v11
	v_cmp_eq_u16_e32 vcc, 0, v8
	v_cndmask_b32_e32 v4, v4, v11, vcc
	v_cndmask_b32_e32 v8, v9, v10, vcc
	v_lshlrev_b32_e32 v9, 8, v1
	v_mov_b32_e32 v10, 0x3b800000
	v_lshlrev_b32_e32 v4, 20, v4
	v_and_b32_e32 v9, 0x80000000, v9
	v_lshl_add_u32 v8, v8, 23, v10
	v_or3_b32 v8, v9, v8, v4
.LBB48_1976:
	s_or_b64 exec, exec, s[6:7]
	s_nop 0
	v_mfma_f32_16x16x4f32 a[0:3], v0, v8, a[0:3]
	s_movk_i32 s4, 0x7f
	v_cmp_gt_i16_sdwa s[6:7], v5, s4 src0_sel:BYTE_3 src1_sel:DWORD
	s_mov_b64 s[4:5], 0
                                        ; implicit-def: $sgpr10
	s_and_saveexec_b64 s[8:9], s[6:7]
	s_xor_b64 s[6:7], exec, s[8:9]
	s_cbranch_execnz .LBB48_4025
; %bb.1977:
	s_or_saveexec_b64 s[6:7], s[6:7]
	v_mov_b32_e32 v0, s10
	s_xor_b64 exec, exec, s[6:7]
	s_cbranch_execnz .LBB48_4028
.LBB48_1978:
	s_or_b64 exec, exec, s[6:7]
	s_and_saveexec_b64 s[6:7], s[4:5]
	s_cbranch_execz .LBB48_1980
.LBB48_1979:
	v_bfe_u32 v0, v5, 24, 3
	v_ffbh_u32_e32 v10, v0
	v_min_u32_e32 v10, 32, v10
	v_lshrrev_b32_e32 v8, 27, v5
	v_subrev_u32_e32 v11, 28, v10
	v_and_b32_e32 v4, 0x80000000, v5
	v_and_b32_e32 v8, 15, v8
	v_bfe_u32 v9, v5, 27, 4
	v_lshlrev_b32_sdwa v5, v11, v5 dst_sel:DWORD dst_unused:UNUSED_PAD src0_sel:DWORD src1_sel:BYTE_3
	v_sub_u32_e32 v10, 29, v10
	v_and_b32_e32 v5, 7, v5
	v_cmp_eq_u16_e32 vcc, 0, v8
	v_cndmask_b32_e32 v0, v0, v5, vcc
	v_cndmask_b32_e32 v5, v9, v10, vcc
	v_mov_b32_e32 v8, 0x3b800000
	v_lshlrev_b32_e32 v0, 20, v0
	v_lshl_add_u32 v5, v5, 23, v8
	v_or3_b32 v0, v4, v5, v0
.LBB48_1980:
	s_or_b64 exec, exec, s[6:7]
	s_movk_i32 s4, 0x7f
	v_cmp_gt_i16_sdwa s[6:7], v1, s4 src0_sel:BYTE_3 src1_sel:DWORD
	s_mov_b64 s[4:5], 0
                                        ; implicit-def: $sgpr10
	s_and_saveexec_b64 s[8:9], s[6:7]
	s_xor_b64 s[6:7], exec, s[8:9]
	s_cbranch_execnz .LBB48_4029
; %bb.1981:
	s_or_saveexec_b64 s[6:7], s[6:7]
	v_mov_b32_e32 v4, s10
	s_xor_b64 exec, exec, s[6:7]
	s_cbranch_execnz .LBB48_4032
.LBB48_1982:
	s_or_b64 exec, exec, s[6:7]
	s_and_saveexec_b64 s[6:7], s[4:5]
	s_cbranch_execz .LBB48_1984
.LBB48_1983:
	v_bfe_u32 v4, v1, 24, 3
	v_ffbh_u32_e32 v10, v4
	v_min_u32_e32 v10, 32, v10
	v_lshrrev_b32_e32 v8, 27, v1
	v_subrev_u32_e32 v11, 28, v10
	v_and_b32_e32 v5, 0x80000000, v1
	v_and_b32_e32 v8, 15, v8
	v_bfe_u32 v9, v1, 27, 4
	v_lshlrev_b32_sdwa v1, v11, v1 dst_sel:DWORD dst_unused:UNUSED_PAD src0_sel:DWORD src1_sel:BYTE_3
	v_sub_u32_e32 v10, 29, v10
	v_and_b32_e32 v1, 7, v1
	v_cmp_eq_u16_e32 vcc, 0, v8
	v_cndmask_b32_e32 v1, v4, v1, vcc
	v_cndmask_b32_e32 v4, v9, v10, vcc
	v_mov_b32_e32 v8, 0x3b800000
	v_lshlrev_b32_e32 v1, 20, v1
	v_lshl_add_u32 v4, v4, 23, v8
	v_or3_b32 v4, v5, v4, v1
.LBB48_1984:
	s_or_b64 exec, exec, s[6:7]
	s_nop 0
	v_mfma_f32_16x16x4f32 a[0:3], v0, v4, a[0:3]
	s_movk_i32 s4, 0x7f
	v_cmp_gt_i16_sdwa s[6:7], v6, s4 src0_sel:BYTE_0 src1_sel:DWORD
	s_mov_b64 s[4:5], 0
                                        ; implicit-def: $sgpr10
	s_and_saveexec_b64 s[8:9], s[6:7]
	s_xor_b64 s[6:7], exec, s[8:9]
	s_cbranch_execnz .LBB48_4033
; %bb.1985:
	s_or_saveexec_b64 s[6:7], s[6:7]
	v_mov_b32_e32 v0, s10
	s_xor_b64 exec, exec, s[6:7]
	s_cbranch_execnz .LBB48_4036
.LBB48_1986:
	s_or_b64 exec, exec, s[6:7]
	s_and_saveexec_b64 s[6:7], s[4:5]
	s_cbranch_execz .LBB48_1988
.LBB48_1987:
	v_and_b32_e32 v0, 7, v6
	v_ffbh_u32_e32 v4, v0
	v_min_u32_e32 v4, 32, v4
	v_lshrrev_b16_e32 v1, 3, v6
	v_subrev_u32_e32 v5, 28, v4
	v_and_b32_e32 v1, 15, v1
	v_lshlrev_b32_e32 v5, v5, v6
	v_sub_u32_e32 v4, 29, v4
	v_and_b32_e32 v5, 7, v5
	v_cmp_eq_u16_e32 vcc, 0, v1
	v_cndmask_b32_e32 v0, v0, v5, vcc
	v_cndmask_b32_e32 v1, v1, v4, vcc
	v_lshlrev_b32_e32 v4, 24, v6
	v_mov_b32_e32 v5, 0x3b800000
	v_lshlrev_b32_e32 v0, 20, v0
	v_and_b32_e32 v4, 0x80000000, v4
	v_lshl_add_u32 v1, v1, 23, v5
	v_or3_b32 v0, v4, v1, v0
.LBB48_1988:
	s_or_b64 exec, exec, s[6:7]
	s_movk_i32 s4, 0x7f
	v_cmp_gt_i16_sdwa s[6:7], v2, s4 src0_sel:BYTE_0 src1_sel:DWORD
	s_mov_b64 s[4:5], 0
                                        ; implicit-def: $sgpr10
	s_and_saveexec_b64 s[8:9], s[6:7]
	s_xor_b64 s[6:7], exec, s[8:9]
	s_cbranch_execnz .LBB48_4037
; %bb.1989:
	s_or_saveexec_b64 s[6:7], s[6:7]
	v_mov_b32_e32 v1, s10
	s_xor_b64 exec, exec, s[6:7]
	s_cbranch_execnz .LBB48_4040
.LBB48_1990:
	s_or_b64 exec, exec, s[6:7]
	s_and_saveexec_b64 s[6:7], s[4:5]
	s_cbranch_execz .LBB48_1992
.LBB48_1991:
	v_and_b32_e32 v1, 7, v2
	v_ffbh_u32_e32 v5, v1
	v_min_u32_e32 v5, 32, v5
	v_lshrrev_b16_e32 v4, 3, v2
	v_subrev_u32_e32 v8, 28, v5
	v_and_b32_e32 v4, 15, v4
	v_lshlrev_b32_e32 v8, v8, v2
	v_sub_u32_e32 v5, 29, v5
	v_and_b32_e32 v8, 7, v8
	v_cmp_eq_u16_e32 vcc, 0, v4
	v_cndmask_b32_e32 v1, v1, v8, vcc
	v_cndmask_b32_e32 v4, v4, v5, vcc
	v_lshlrev_b32_e32 v5, 24, v2
	v_mov_b32_e32 v8, 0x3b800000
	v_lshlrev_b32_e32 v1, 20, v1
	v_and_b32_e32 v5, 0x80000000, v5
	v_lshl_add_u32 v4, v4, 23, v8
	v_or3_b32 v1, v5, v4, v1
.LBB48_1992:
	s_or_b64 exec, exec, s[6:7]
	s_nop 0
	v_mfma_f32_16x16x4f32 a[0:3], v0, v1, a[0:3]
	v_lshrrev_b32_e32 v1, 8, v6
	s_movk_i32 s4, 0x7f
	v_cmp_gt_i16_sdwa s[6:7], v1, s4 src0_sel:BYTE_0 src1_sel:DWORD
	s_mov_b64 s[4:5], 0
                                        ; implicit-def: $sgpr10
	s_and_saveexec_b64 s[8:9], s[6:7]
	s_xor_b64 s[6:7], exec, s[8:9]
	s_cbranch_execnz .LBB48_4041
; %bb.1993:
	s_or_saveexec_b64 s[6:7], s[6:7]
	v_mov_b32_e32 v0, s10
	s_xor_b64 exec, exec, s[6:7]
	s_cbranch_execnz .LBB48_4044
.LBB48_1994:
	s_or_b64 exec, exec, s[6:7]
	s_and_saveexec_b64 s[6:7], s[4:5]
	s_cbranch_execz .LBB48_1996
.LBB48_1995:
	v_bfe_u32 v0, v6, 8, 3
	v_ffbh_u32_e32 v5, v0
	v_min_u32_e32 v5, 32, v5
	v_lshrrev_b16_e32 v4, 3, v1
	v_subrev_u32_e32 v8, 28, v5
	v_and_b32_e32 v4, 15, v4
	v_lshlrev_b32_e32 v1, v8, v1
	v_sub_u32_e32 v5, 29, v5
	v_and_b32_e32 v1, 7, v1
	v_cmp_eq_u16_e32 vcc, 0, v4
	v_cndmask_b32_e32 v0, v0, v1, vcc
	v_cndmask_b32_e32 v1, v4, v5, vcc
	v_lshlrev_b32_e32 v4, 16, v6
	v_mov_b32_e32 v5, 0x3b800000
	v_lshlrev_b32_e32 v0, 20, v0
	v_and_b32_e32 v4, 0x80000000, v4
	v_lshl_add_u32 v1, v1, 23, v5
	v_or3_b32 v0, v4, v1, v0
.LBB48_1996:
	s_or_b64 exec, exec, s[6:7]
	v_lshrrev_b32_e32 v1, 8, v2
	s_movk_i32 s4, 0x7f
	v_cmp_gt_i16_sdwa s[6:7], v1, s4 src0_sel:BYTE_0 src1_sel:DWORD
	s_mov_b64 s[4:5], 0
                                        ; implicit-def: $sgpr10
	s_and_saveexec_b64 s[8:9], s[6:7]
	s_xor_b64 s[6:7], exec, s[8:9]
	s_cbranch_execnz .LBB48_4045
; %bb.1997:
	s_or_saveexec_b64 s[6:7], s[6:7]
	v_mov_b32_e32 v4, s10
	s_xor_b64 exec, exec, s[6:7]
	s_cbranch_execnz .LBB48_4048
.LBB48_1998:
	s_or_b64 exec, exec, s[6:7]
	s_and_saveexec_b64 s[6:7], s[4:5]
	s_cbranch_execz .LBB48_2000
.LBB48_1999:
	v_bfe_u32 v4, v2, 8, 3
	v_ffbh_u32_e32 v8, v4
	v_min_u32_e32 v8, 32, v8
	v_lshrrev_b16_e32 v5, 3, v1
	v_subrev_u32_e32 v9, 28, v8
	v_and_b32_e32 v5, 15, v5
	v_lshlrev_b32_e32 v1, v9, v1
	v_sub_u32_e32 v8, 29, v8
	v_and_b32_e32 v1, 7, v1
	v_cmp_eq_u16_e32 vcc, 0, v5
	v_cndmask_b32_e32 v1, v4, v1, vcc
	v_cndmask_b32_e32 v4, v5, v8, vcc
	v_lshlrev_b32_e32 v5, 16, v2
	v_mov_b32_e32 v8, 0x3b800000
	v_lshlrev_b32_e32 v1, 20, v1
	v_and_b32_e32 v5, 0x80000000, v5
	v_lshl_add_u32 v4, v4, 23, v8
	v_or3_b32 v4, v5, v4, v1
.LBB48_2000:
	s_or_b64 exec, exec, s[6:7]
	s_nop 0
	v_mfma_f32_16x16x4f32 a[0:3], v0, v4, a[0:3]
	s_movk_i32 s4, 0xff
	v_and_b32_sdwa v1, v6, s4 dst_sel:DWORD dst_unused:UNUSED_PAD src0_sel:WORD_1 src1_sel:DWORD
	s_movk_i32 s4, 0x7f
	v_cmp_lt_i16_e32 vcc, s4, v1
	s_mov_b64 s[4:5], 0
                                        ; implicit-def: $sgpr10
	s_and_saveexec_b64 s[6:7], vcc
	s_xor_b64 s[6:7], exec, s[6:7]
	s_cbranch_execnz .LBB48_4049
; %bb.2001:
	s_or_saveexec_b64 s[6:7], s[6:7]
	v_mov_b32_e32 v0, s10
	s_xor_b64 exec, exec, s[6:7]
	s_cbranch_execnz .LBB48_4052
.LBB48_2002:
	s_or_b64 exec, exec, s[6:7]
	s_and_saveexec_b64 s[6:7], s[4:5]
	s_cbranch_execz .LBB48_2004
.LBB48_2003:
	v_bfe_u32 v0, v6, 16, 3
	v_ffbh_u32_e32 v5, v0
	v_min_u32_e32 v5, 32, v5
	v_lshrrev_b32_e32 v1, 19, v6
	v_subrev_u32_e32 v8, 28, v5
	v_and_b32_e32 v1, 15, v1
	v_lshlrev_b32_sdwa v8, v8, v6 dst_sel:DWORD dst_unused:UNUSED_PAD src0_sel:DWORD src1_sel:WORD_1
	v_bfe_u32 v4, v6, 19, 4
	v_sub_u32_e32 v5, 29, v5
	v_and_b32_e32 v8, 7, v8
	v_cmp_eq_u16_e32 vcc, 0, v1
	v_cndmask_b32_e32 v0, v0, v8, vcc
	v_cndmask_b32_e32 v1, v4, v5, vcc
	v_lshlrev_b32_e32 v4, 8, v6
	v_mov_b32_e32 v5, 0x3b800000
	v_lshlrev_b32_e32 v0, 20, v0
	v_and_b32_e32 v4, 0x80000000, v4
	v_lshl_add_u32 v1, v1, 23, v5
	v_or3_b32 v0, v4, v1, v0
.LBB48_2004:
	s_or_b64 exec, exec, s[6:7]
	s_movk_i32 s4, 0xff
	v_and_b32_sdwa v1, v2, s4 dst_sel:DWORD dst_unused:UNUSED_PAD src0_sel:WORD_1 src1_sel:DWORD
	s_movk_i32 s4, 0x7f
	v_cmp_lt_i16_e32 vcc, s4, v1
	s_mov_b64 s[4:5], 0
                                        ; implicit-def: $sgpr10
	s_and_saveexec_b64 s[6:7], vcc
	s_xor_b64 s[6:7], exec, s[6:7]
	s_cbranch_execnz .LBB48_4053
; %bb.2005:
	s_or_saveexec_b64 s[6:7], s[6:7]
	v_mov_b32_e32 v4, s10
	s_xor_b64 exec, exec, s[6:7]
	s_cbranch_execnz .LBB48_4056
.LBB48_2006:
	s_or_b64 exec, exec, s[6:7]
	s_and_saveexec_b64 s[6:7], s[4:5]
	s_cbranch_execz .LBB48_2008
.LBB48_2007:
	v_bfe_u32 v1, v2, 16, 3
	v_ffbh_u32_e32 v8, v1
	v_min_u32_e32 v8, 32, v8
	v_lshrrev_b32_e32 v4, 19, v2
	v_subrev_u32_e32 v9, 28, v8
	v_and_b32_e32 v4, 15, v4
	v_lshlrev_b32_sdwa v9, v9, v2 dst_sel:DWORD dst_unused:UNUSED_PAD src0_sel:DWORD src1_sel:WORD_1
	v_bfe_u32 v5, v2, 19, 4
	v_sub_u32_e32 v8, 29, v8
	v_and_b32_e32 v9, 7, v9
	v_cmp_eq_u16_e32 vcc, 0, v4
	v_cndmask_b32_e32 v1, v1, v9, vcc
	v_cndmask_b32_e32 v4, v5, v8, vcc
	v_lshlrev_b32_e32 v5, 8, v2
	v_mov_b32_e32 v8, 0x3b800000
	v_lshlrev_b32_e32 v1, 20, v1
	v_and_b32_e32 v5, 0x80000000, v5
	v_lshl_add_u32 v4, v4, 23, v8
	v_or3_b32 v4, v5, v4, v1
.LBB48_2008:
	s_or_b64 exec, exec, s[6:7]
	s_nop 0
	v_mfma_f32_16x16x4f32 a[0:3], v0, v4, a[0:3]
	s_movk_i32 s4, 0x7f
	v_cmp_gt_i16_sdwa s[6:7], v6, s4 src0_sel:BYTE_3 src1_sel:DWORD
	s_mov_b64 s[4:5], 0
                                        ; implicit-def: $sgpr10
	s_and_saveexec_b64 s[8:9], s[6:7]
	s_xor_b64 s[6:7], exec, s[8:9]
	s_cbranch_execnz .LBB48_4057
; %bb.2009:
	s_or_saveexec_b64 s[6:7], s[6:7]
	v_mov_b32_e32 v0, s10
	s_xor_b64 exec, exec, s[6:7]
	s_cbranch_execnz .LBB48_4060
.LBB48_2010:
	s_or_b64 exec, exec, s[6:7]
	s_and_saveexec_b64 s[6:7], s[4:5]
	s_cbranch_execz .LBB48_2012
.LBB48_2011:
	v_bfe_u32 v0, v6, 24, 3
	v_ffbh_u32_e32 v8, v0
	v_min_u32_e32 v8, 32, v8
	v_lshrrev_b32_e32 v4, 27, v6
	v_subrev_u32_e32 v9, 28, v8
	v_and_b32_e32 v1, 0x80000000, v6
	v_and_b32_e32 v4, 15, v4
	v_bfe_u32 v5, v6, 27, 4
	v_lshlrev_b32_sdwa v6, v9, v6 dst_sel:DWORD dst_unused:UNUSED_PAD src0_sel:DWORD src1_sel:BYTE_3
	v_sub_u32_e32 v8, 29, v8
	v_and_b32_e32 v6, 7, v6
	v_cmp_eq_u16_e32 vcc, 0, v4
	v_cndmask_b32_e32 v0, v0, v6, vcc
	v_cndmask_b32_e32 v4, v5, v8, vcc
	v_mov_b32_e32 v5, 0x3b800000
	v_lshlrev_b32_e32 v0, 20, v0
	v_lshl_add_u32 v4, v4, 23, v5
	v_or3_b32 v0, v1, v4, v0
.LBB48_2012:
	s_or_b64 exec, exec, s[6:7]
	s_movk_i32 s4, 0x7f
	v_cmp_gt_i16_sdwa s[6:7], v2, s4 src0_sel:BYTE_3 src1_sel:DWORD
	s_mov_b64 s[4:5], 0
                                        ; implicit-def: $sgpr10
	s_and_saveexec_b64 s[8:9], s[6:7]
	s_xor_b64 s[6:7], exec, s[8:9]
	s_cbranch_execnz .LBB48_4061
; %bb.2013:
	s_or_saveexec_b64 s[6:7], s[6:7]
	v_mov_b32_e32 v1, s10
	s_xor_b64 exec, exec, s[6:7]
	s_cbranch_execnz .LBB48_4064
.LBB48_2014:
	s_or_b64 exec, exec, s[6:7]
	s_and_saveexec_b64 s[6:7], s[4:5]
	s_cbranch_execz .LBB48_2016
.LBB48_2015:
	v_bfe_u32 v1, v2, 24, 3
	v_ffbh_u32_e32 v8, v1
	v_min_u32_e32 v8, 32, v8
	v_lshrrev_b32_e32 v5, 27, v2
	v_subrev_u32_e32 v9, 28, v8
	v_and_b32_e32 v4, 0x80000000, v2
	v_and_b32_e32 v5, 15, v5
	v_bfe_u32 v6, v2, 27, 4
	v_lshlrev_b32_sdwa v2, v9, v2 dst_sel:DWORD dst_unused:UNUSED_PAD src0_sel:DWORD src1_sel:BYTE_3
	v_sub_u32_e32 v8, 29, v8
	v_and_b32_e32 v2, 7, v2
	v_cmp_eq_u16_e32 vcc, 0, v5
	v_cndmask_b32_e32 v1, v1, v2, vcc
	v_cndmask_b32_e32 v2, v6, v8, vcc
	v_mov_b32_e32 v5, 0x3b800000
	v_lshlrev_b32_e32 v1, 20, v1
	v_lshl_add_u32 v2, v2, 23, v5
	v_or3_b32 v1, v4, v2, v1
.LBB48_2016:
	s_or_b64 exec, exec, s[6:7]
	s_nop 0
	v_mfma_f32_16x16x4f32 a[0:3], v0, v1, a[0:3]
	s_movk_i32 s4, 0x7f
	v_cmp_gt_i16_sdwa s[6:7], v7, s4 src0_sel:BYTE_0 src1_sel:DWORD
	s_mov_b64 s[4:5], 0
                                        ; implicit-def: $sgpr10
	s_and_saveexec_b64 s[8:9], s[6:7]
	s_xor_b64 s[6:7], exec, s[8:9]
	s_cbranch_execnz .LBB48_4065
; %bb.2017:
	s_or_saveexec_b64 s[6:7], s[6:7]
	v_mov_b32_e32 v0, s10
	s_xor_b64 exec, exec, s[6:7]
	s_cbranch_execnz .LBB48_4068
.LBB48_2018:
	s_or_b64 exec, exec, s[6:7]
	s_and_saveexec_b64 s[6:7], s[4:5]
	s_cbranch_execz .LBB48_2020
.LBB48_2019:
	v_mov_b32_e32 v0, 8
	v_and_b32_e32 v1, 7, v7
	v_lshrrev_b32_sdwa v0, v0, v7 dst_sel:BYTE_1 dst_unused:UNUSED_PAD src0_sel:DWORD src1_sel:DWORD
	v_ffbh_u32_e32 v2, v1
	v_or_b32_sdwa v0, v7, v0 dst_sel:DWORD dst_unused:UNUSED_PAD src0_sel:BYTE_0 src1_sel:DWORD
	v_min_u32_e32 v2, 32, v2
	v_lshrrev_b16_e32 v0, 3, v0
	v_subrev_u32_e32 v4, 28, v2
	v_and_b32_e32 v0, 15, v0
	v_lshlrev_b32_e32 v4, v4, v7
	v_sub_u32_e32 v2, 29, v2
	v_and_b32_e32 v4, 7, v4
	v_cmp_eq_u16_e32 vcc, 0, v0
	v_cndmask_b32_e32 v1, v1, v4, vcc
	v_cndmask_b32_e32 v0, v0, v2, vcc
	v_lshlrev_b32_e32 v2, 24, v7
	v_mov_b32_e32 v4, 0x3b800000
	v_lshlrev_b32_e32 v1, 20, v1
	v_and_b32_e32 v2, 0x80000000, v2
	v_lshl_add_u32 v0, v0, 23, v4
	v_or3_b32 v0, v2, v0, v1
.LBB48_2020:
	s_or_b64 exec, exec, s[6:7]
	s_movk_i32 s4, 0x7f
	v_cmp_gt_i16_sdwa s[6:7], v3, s4 src0_sel:BYTE_0 src1_sel:DWORD
	s_mov_b64 s[4:5], 0
                                        ; implicit-def: $sgpr10
	s_and_saveexec_b64 s[8:9], s[6:7]
	s_xor_b64 s[6:7], exec, s[8:9]
	s_cbranch_execnz .LBB48_4069
; %bb.2021:
	s_or_saveexec_b64 s[6:7], s[6:7]
	v_mov_b32_e32 v1, s10
	s_xor_b64 exec, exec, s[6:7]
	s_cbranch_execnz .LBB48_4072
.LBB48_2022:
	s_or_b64 exec, exec, s[6:7]
	s_and_saveexec_b64 s[6:7], s[4:5]
	s_cbranch_execz .LBB48_2024
.LBB48_2023:
	v_mov_b32_e32 v1, 8
	v_and_b32_e32 v2, 7, v3
	v_lshrrev_b32_sdwa v1, v1, v3 dst_sel:BYTE_1 dst_unused:UNUSED_PAD src0_sel:DWORD src1_sel:DWORD
	v_ffbh_u32_e32 v4, v2
	v_or_b32_sdwa v1, v3, v1 dst_sel:DWORD dst_unused:UNUSED_PAD src0_sel:BYTE_0 src1_sel:DWORD
	v_min_u32_e32 v4, 32, v4
	v_lshrrev_b16_e32 v1, 3, v1
	v_subrev_u32_e32 v5, 28, v4
	v_and_b32_e32 v1, 15, v1
	v_lshlrev_b32_e32 v5, v5, v3
	v_sub_u32_e32 v4, 29, v4
	v_and_b32_e32 v5, 7, v5
	v_cmp_eq_u16_e32 vcc, 0, v1
	v_cndmask_b32_e32 v2, v2, v5, vcc
	v_cndmask_b32_e32 v1, v1, v4, vcc
	v_lshlrev_b32_e32 v4, 24, v3
	v_mov_b32_e32 v5, 0x3b800000
	v_lshlrev_b32_e32 v2, 20, v2
	v_and_b32_e32 v4, 0x80000000, v4
	v_lshl_add_u32 v1, v1, 23, v5
	v_or3_b32 v1, v4, v1, v2
.LBB48_2024:
	s_or_b64 exec, exec, s[6:7]
	s_nop 0
	v_mfma_f32_16x16x4f32 a[0:3], v0, v1, a[0:3]
	v_lshrrev_b32_e32 v1, 8, v7
	s_movk_i32 s4, 0x7f
	v_cmp_gt_i16_sdwa s[6:7], v1, s4 src0_sel:BYTE_0 src1_sel:DWORD
	s_mov_b64 s[4:5], 0
                                        ; implicit-def: $sgpr10
	s_and_saveexec_b64 s[8:9], s[6:7]
	s_xor_b64 s[6:7], exec, s[8:9]
	s_cbranch_execnz .LBB48_4073
; %bb.2025:
	s_or_saveexec_b64 s[6:7], s[6:7]
	v_mov_b32_e32 v0, s10
	s_xor_b64 exec, exec, s[6:7]
	s_cbranch_execnz .LBB48_4076
.LBB48_2026:
	s_or_b64 exec, exec, s[6:7]
	s_and_saveexec_b64 s[6:7], s[4:5]
	s_cbranch_execz .LBB48_2028
.LBB48_2027:
	v_bfe_u32 v0, v7, 8, 3
	v_ffbh_u32_e32 v4, v0
	v_min_u32_e32 v4, 32, v4
	v_lshrrev_b16_e32 v2, 3, v1
	v_subrev_u32_e32 v5, 28, v4
	v_and_b32_e32 v2, 15, v2
	v_lshlrev_b32_e32 v1, v5, v1
	v_sub_u32_e32 v4, 29, v4
	v_and_b32_e32 v1, 7, v1
	v_cmp_eq_u16_e32 vcc, 0, v2
	v_cndmask_b32_e32 v0, v0, v1, vcc
	v_cndmask_b32_e32 v1, v2, v4, vcc
	v_lshlrev_b32_e32 v2, 16, v7
	v_mov_b32_e32 v4, 0x3b800000
	v_lshlrev_b32_e32 v0, 20, v0
	v_and_b32_e32 v2, 0x80000000, v2
	v_lshl_add_u32 v1, v1, 23, v4
	v_or3_b32 v0, v2, v1, v0
.LBB48_2028:
	s_or_b64 exec, exec, s[6:7]
	v_lshrrev_b32_e32 v1, 8, v3
	s_movk_i32 s4, 0x7f
	v_cmp_gt_i16_sdwa s[6:7], v1, s4 src0_sel:BYTE_0 src1_sel:DWORD
	s_mov_b64 s[4:5], 0
                                        ; implicit-def: $sgpr10
	s_and_saveexec_b64 s[8:9], s[6:7]
	s_xor_b64 s[6:7], exec, s[8:9]
	s_cbranch_execnz .LBB48_4077
; %bb.2029:
	s_or_saveexec_b64 s[6:7], s[6:7]
	v_mov_b32_e32 v2, s10
	s_xor_b64 exec, exec, s[6:7]
	s_cbranch_execnz .LBB48_4080
.LBB48_2030:
	s_or_b64 exec, exec, s[6:7]
	s_and_saveexec_b64 s[6:7], s[4:5]
	s_cbranch_execz .LBB48_2032
.LBB48_2031:
	v_bfe_u32 v2, v3, 8, 3
	v_ffbh_u32_e32 v5, v2
	v_min_u32_e32 v5, 32, v5
	v_lshrrev_b16_e32 v4, 3, v1
	v_subrev_u32_e32 v6, 28, v5
	v_and_b32_e32 v4, 15, v4
	v_lshlrev_b32_e32 v1, v6, v1
	v_sub_u32_e32 v5, 29, v5
	v_and_b32_e32 v1, 7, v1
	v_cmp_eq_u16_e32 vcc, 0, v4
	v_cndmask_b32_e32 v1, v2, v1, vcc
	v_cndmask_b32_e32 v2, v4, v5, vcc
	v_lshlrev_b32_e32 v4, 16, v3
	v_mov_b32_e32 v5, 0x3b800000
	v_lshlrev_b32_e32 v1, 20, v1
	v_and_b32_e32 v4, 0x80000000, v4
	v_lshl_add_u32 v2, v2, 23, v5
	v_or3_b32 v2, v4, v2, v1
.LBB48_2032:
	s_or_b64 exec, exec, s[6:7]
	s_nop 0
	v_mfma_f32_16x16x4f32 a[0:3], v0, v2, a[0:3]
	s_movk_i32 s4, 0xff
	v_and_b32_sdwa v1, v7, s4 dst_sel:DWORD dst_unused:UNUSED_PAD src0_sel:WORD_1 src1_sel:DWORD
	s_movk_i32 s4, 0x7f
	v_cmp_lt_i16_e32 vcc, s4, v1
	s_mov_b64 s[4:5], 0
                                        ; implicit-def: $sgpr10
	s_and_saveexec_b64 s[6:7], vcc
	s_xor_b64 s[6:7], exec, s[6:7]
	s_cbranch_execnz .LBB48_4081
; %bb.2033:
	s_or_saveexec_b64 s[6:7], s[6:7]
	v_mov_b32_e32 v0, s10
	s_xor_b64 exec, exec, s[6:7]
	s_cbranch_execnz .LBB48_4084
.LBB48_2034:
	s_or_b64 exec, exec, s[6:7]
	s_and_saveexec_b64 s[6:7], s[4:5]
	s_cbranch_execz .LBB48_2036
.LBB48_2035:
	v_bfe_u32 v0, v7, 16, 3
	v_ffbh_u32_e32 v4, v0
	v_min_u32_e32 v4, 32, v4
	v_lshrrev_b32_e32 v1, 19, v7
	v_subrev_u32_e32 v5, 28, v4
	v_and_b32_e32 v1, 15, v1
	v_lshlrev_b32_sdwa v5, v5, v7 dst_sel:DWORD dst_unused:UNUSED_PAD src0_sel:DWORD src1_sel:WORD_1
	v_bfe_u32 v2, v7, 19, 4
	v_sub_u32_e32 v4, 29, v4
	v_and_b32_e32 v5, 7, v5
	v_cmp_eq_u16_e32 vcc, 0, v1
	v_cndmask_b32_e32 v0, v0, v5, vcc
	v_cndmask_b32_e32 v1, v2, v4, vcc
	v_lshlrev_b32_e32 v2, 8, v7
	v_mov_b32_e32 v4, 0x3b800000
	v_lshlrev_b32_e32 v0, 20, v0
	v_and_b32_e32 v2, 0x80000000, v2
	v_lshl_add_u32 v1, v1, 23, v4
	v_or3_b32 v0, v2, v1, v0
.LBB48_2036:
	s_or_b64 exec, exec, s[6:7]
	s_movk_i32 s4, 0xff
	v_and_b32_sdwa v1, v3, s4 dst_sel:DWORD dst_unused:UNUSED_PAD src0_sel:WORD_1 src1_sel:DWORD
	s_movk_i32 s4, 0x7f
	v_cmp_lt_i16_e32 vcc, s4, v1
	s_mov_b64 s[4:5], 0
                                        ; implicit-def: $sgpr10
	s_and_saveexec_b64 s[6:7], vcc
	s_xor_b64 s[6:7], exec, s[6:7]
	s_cbranch_execnz .LBB48_4085
; %bb.2037:
	s_or_saveexec_b64 s[6:7], s[6:7]
	v_mov_b32_e32 v2, s10
	s_xor_b64 exec, exec, s[6:7]
	s_cbranch_execnz .LBB48_4088
.LBB48_2038:
	s_or_b64 exec, exec, s[6:7]
	s_and_saveexec_b64 s[6:7], s[4:5]
	s_cbranch_execz .LBB48_2040
.LBB48_2039:
	v_bfe_u32 v1, v3, 16, 3
	v_ffbh_u32_e32 v5, v1
	v_min_u32_e32 v5, 32, v5
	v_lshrrev_b32_e32 v2, 19, v3
	v_subrev_u32_e32 v6, 28, v5
	v_and_b32_e32 v2, 15, v2
	v_lshlrev_b32_sdwa v6, v6, v3 dst_sel:DWORD dst_unused:UNUSED_PAD src0_sel:DWORD src1_sel:WORD_1
	v_bfe_u32 v4, v3, 19, 4
	v_sub_u32_e32 v5, 29, v5
	v_and_b32_e32 v6, 7, v6
	v_cmp_eq_u16_e32 vcc, 0, v2
	v_cndmask_b32_e32 v1, v1, v6, vcc
	v_cndmask_b32_e32 v2, v4, v5, vcc
	v_lshlrev_b32_e32 v4, 8, v3
	v_mov_b32_e32 v5, 0x3b800000
	v_lshlrev_b32_e32 v1, 20, v1
	v_and_b32_e32 v4, 0x80000000, v4
	v_lshl_add_u32 v2, v2, 23, v5
	v_or3_b32 v2, v4, v2, v1
.LBB48_2040:
	s_or_b64 exec, exec, s[6:7]
	s_nop 0
	v_mfma_f32_16x16x4f32 a[0:3], v0, v2, a[0:3]
	s_movk_i32 s4, 0x7f
	v_cmp_gt_i16_sdwa s[6:7], v7, s4 src0_sel:BYTE_3 src1_sel:DWORD
	s_mov_b64 s[4:5], 0
                                        ; implicit-def: $sgpr10
	s_and_saveexec_b64 s[8:9], s[6:7]
	s_xor_b64 s[6:7], exec, s[8:9]
	s_cbranch_execnz .LBB48_4089
; %bb.2041:
	s_or_saveexec_b64 s[6:7], s[6:7]
	v_mov_b32_e32 v0, s10
	s_xor_b64 exec, exec, s[6:7]
	s_cbranch_execnz .LBB48_4092
.LBB48_2042:
	s_or_b64 exec, exec, s[6:7]
	s_and_saveexec_b64 s[6:7], s[4:5]
	s_cbranch_execz .LBB48_2044
.LBB48_2043:
	v_bfe_u32 v0, v7, 24, 3
	v_ffbh_u32_e32 v5, v0
	v_min_u32_e32 v5, 32, v5
	v_lshrrev_b32_e32 v2, 27, v7
	v_subrev_u32_e32 v6, 28, v5
	v_and_b32_e32 v2, 15, v2
	v_lshlrev_b32_sdwa v6, v6, v7 dst_sel:DWORD dst_unused:UNUSED_PAD src0_sel:DWORD src1_sel:BYTE_3
	v_bfe_u32 v4, v7, 27, 4
	v_sub_u32_e32 v5, 29, v5
	v_and_b32_e32 v6, 7, v6
	v_cmp_eq_u16_e32 vcc, 0, v2
	v_cndmask_b32_e32 v0, v0, v6, vcc
	v_cndmask_b32_e32 v2, v4, v5, vcc
	v_mov_b32_e32 v4, 0x3b800000
	v_and_b32_e32 v1, 0x80000000, v7
	v_lshlrev_b32_e32 v0, 20, v0
	v_lshl_add_u32 v2, v2, 23, v4
	v_or3_b32 v0, v1, v2, v0
.LBB48_2044:
	s_or_b64 exec, exec, s[6:7]
	s_movk_i32 s4, 0x7f
	v_cmp_gt_i16_sdwa s[6:7], v3, s4 src0_sel:BYTE_3 src1_sel:DWORD
	s_mov_b64 s[4:5], 0
                                        ; implicit-def: $sgpr10
	s_and_saveexec_b64 s[8:9], s[6:7]
	s_xor_b64 s[6:7], exec, s[8:9]
	s_cbranch_execnz .LBB48_4093
; %bb.2045:
	s_or_saveexec_b64 s[6:7], s[6:7]
	v_mov_b32_e32 v1, s10
	s_xor_b64 exec, exec, s[6:7]
	s_cbranch_execnz .LBB48_4096
.LBB48_2046:
	s_or_b64 exec, exec, s[6:7]
	s_and_saveexec_b64 s[6:7], s[4:5]
	s_cbranch_execz .LBB48_2048
.LBB48_2047:
	v_bfe_u32 v1, v3, 24, 3
	v_ffbh_u32_e32 v6, v1
	v_min_u32_e32 v6, 32, v6
	v_lshrrev_b32_e32 v4, 27, v3
	v_subrev_u32_e32 v7, 28, v6
	v_and_b32_e32 v2, 0x80000000, v3
	v_and_b32_e32 v4, 15, v4
	v_bfe_u32 v5, v3, 27, 4
	v_lshlrev_b32_sdwa v3, v7, v3 dst_sel:DWORD dst_unused:UNUSED_PAD src0_sel:DWORD src1_sel:BYTE_3
	v_sub_u32_e32 v6, 29, v6
	v_and_b32_e32 v3, 7, v3
	v_cmp_eq_u16_e32 vcc, 0, v4
	v_cndmask_b32_e32 v1, v1, v3, vcc
	v_cndmask_b32_e32 v3, v5, v6, vcc
	v_mov_b32_e32 v4, 0x3b800000
	v_lshlrev_b32_e32 v1, 20, v1
	v_lshl_add_u32 v3, v3, 23, v4
	v_or3_b32 v1, v2, v3, v1
.LBB48_2048:
	s_or_b64 exec, exec, s[6:7]
	s_nop 0
	v_mfma_f32_16x16x4f32 a[0:3], v0, v1, a[0:3]
	s_nop 7
	s_nop 2
	flat_store_dwordx4 v[16:17], a[0:3] offset:624
	s_waitcnt vmcnt(0) lgkmcnt(0)
	s_setpc_b64 s[30:31]
.LBB48_2049:
	s_movk_i32 s4, 0x80
	v_cmp_eq_u16_sdwa s[12:13], v14, s4 src0_sel:BYTE_0 src1_sel:DWORD
	s_mov_b64 s[4:5], -1
                                        ; implicit-def: $sgpr10
	s_and_saveexec_b64 s[8:9], s[12:13]
; %bb.2050:
	s_mov_b32 s10, 0x7f800001
	s_xor_b64 s[4:5], exec, -1
; %bb.2051:
	s_or_b64 exec, exec, s[8:9]
	s_and_b64 s[4:5], s[4:5], exec
	s_or_saveexec_b64 s[6:7], s[6:7]
	v_mov_b32_e32 v20, s10
	s_xor_b64 exec, exec, s[6:7]
	s_cbranch_execz .LBB48_2
.LBB48_2052:
	v_mov_b32_e32 v20, 0
	v_cmp_ne_u16_sdwa s[8:9], v14, v20 src0_sel:BYTE_0 src1_sel:DWORD
	s_andn2_b64 s[4:5], s[4:5], exec
	s_and_b64 s[8:9], s[8:9], exec
	s_or_b64 s[4:5], s[4:5], s[8:9]
	s_or_b64 exec, exec, s[6:7]
	s_and_saveexec_b64 s[6:7], s[4:5]
	s_cbranch_execnz .LBB48_3
	s_branch .LBB48_4
.LBB48_2053:
	s_movk_i32 s4, 0x80
	v_cmp_eq_u16_sdwa s[12:13], v10, s4 src0_sel:BYTE_0 src1_sel:DWORD
	s_mov_b64 s[4:5], -1
                                        ; implicit-def: $sgpr10
	s_and_saveexec_b64 s[8:9], s[12:13]
; %bb.2054:
	s_mov_b32 s10, 0x7f800001
	s_xor_b64 s[4:5], exec, -1
; %bb.2055:
	s_or_b64 exec, exec, s[8:9]
	s_and_b64 s[4:5], s[4:5], exec
	s_or_saveexec_b64 s[6:7], s[6:7]
	v_mov_b32_e32 v21, s10
	s_xor_b64 exec, exec, s[6:7]
	s_cbranch_execz .LBB48_6
.LBB48_2056:
	v_mov_b32_e32 v21, 0
	v_cmp_ne_u16_sdwa s[8:9], v10, v21 src0_sel:BYTE_0 src1_sel:DWORD
	s_andn2_b64 s[4:5], s[4:5], exec
	s_and_b64 s[8:9], s[8:9], exec
	s_or_b64 s[4:5], s[4:5], s[8:9]
	s_or_b64 exec, exec, s[6:7]
	s_and_saveexec_b64 s[6:7], s[4:5]
	s_cbranch_execnz .LBB48_7
	s_branch .LBB48_8
.LBB48_2057:
	s_movk_i32 s4, 0x80
	v_cmp_eq_u16_sdwa s[12:13], v21, s4 src0_sel:BYTE_0 src1_sel:DWORD
	s_mov_b64 s[4:5], -1
                                        ; implicit-def: $sgpr10
	s_and_saveexec_b64 s[8:9], s[12:13]
; %bb.2058:
	s_mov_b32 s10, 0x7f800001
	s_xor_b64 s[4:5], exec, -1
; %bb.2059:
	s_or_b64 exec, exec, s[8:9]
	s_and_b64 s[4:5], s[4:5], exec
	s_or_saveexec_b64 s[6:7], s[6:7]
	v_mov_b32_e32 v20, s10
	s_xor_b64 exec, exec, s[6:7]
	s_cbranch_execz .LBB48_10
.LBB48_2060:
	v_mov_b32_e32 v20, 0
	v_cmp_ne_u16_sdwa s[8:9], v21, v20 src0_sel:BYTE_0 src1_sel:DWORD
	s_andn2_b64 s[4:5], s[4:5], exec
	s_and_b64 s[8:9], s[8:9], exec
	s_or_b64 s[4:5], s[4:5], s[8:9]
	s_or_b64 exec, exec, s[6:7]
	s_and_saveexec_b64 s[6:7], s[4:5]
	s_cbranch_execnz .LBB48_11
	s_branch .LBB48_12
.LBB48_2061:
	s_movk_i32 s4, 0x80
	v_cmp_eq_u16_sdwa s[12:13], v21, s4 src0_sel:BYTE_0 src1_sel:DWORD
	s_mov_b64 s[4:5], -1
                                        ; implicit-def: $sgpr10
	s_and_saveexec_b64 s[8:9], s[12:13]
; %bb.2062:
	s_mov_b32 s10, 0x7f800001
	s_xor_b64 s[4:5], exec, -1
; %bb.2063:
	s_or_b64 exec, exec, s[8:9]
	s_and_b64 s[4:5], s[4:5], exec
	s_or_saveexec_b64 s[6:7], s[6:7]
	v_mov_b32_e32 v22, s10
	s_xor_b64 exec, exec, s[6:7]
	s_cbranch_execz .LBB48_14
.LBB48_2064:
	v_mov_b32_e32 v22, 0
	v_cmp_ne_u16_sdwa s[8:9], v21, v22 src0_sel:BYTE_0 src1_sel:DWORD
	s_andn2_b64 s[4:5], s[4:5], exec
	s_and_b64 s[8:9], s[8:9], exec
	s_or_b64 s[4:5], s[4:5], s[8:9]
	s_or_b64 exec, exec, s[6:7]
	s_and_saveexec_b64 s[6:7], s[4:5]
	s_cbranch_execnz .LBB48_15
	s_branch .LBB48_16
.LBB48_2065:
	s_movk_i32 s4, 0x80
	v_cmp_eq_u16_e32 vcc, s4, v21
	s_mov_b64 s[4:5], -1
                                        ; implicit-def: $sgpr10
	s_and_saveexec_b64 s[8:9], vcc
; %bb.2066:
	s_mov_b32 s10, 0x7f800001
	s_xor_b64 s[4:5], exec, -1
; %bb.2067:
	s_or_b64 exec, exec, s[8:9]
	s_and_b64 s[4:5], s[4:5], exec
                                        ; implicit-def: $vgpr21
	s_or_saveexec_b64 s[6:7], s[6:7]
	v_mov_b32_e32 v20, s10
	s_xor_b64 exec, exec, s[6:7]
	s_cbranch_execz .LBB48_18
.LBB48_2068:
	v_cmp_ne_u16_e32 vcc, 0, v21
	s_andn2_b64 s[4:5], s[4:5], exec
	s_and_b64 s[8:9], vcc, exec
	v_mov_b32_e32 v20, 0
	s_or_b64 s[4:5], s[4:5], s[8:9]
	s_or_b64 exec, exec, s[6:7]
	s_and_saveexec_b64 s[6:7], s[4:5]
	s_cbranch_execnz .LBB48_19
	s_branch .LBB48_20
.LBB48_2069:
	s_movk_i32 s4, 0x80
	v_cmp_eq_u16_e32 vcc, s4, v21
	s_mov_b64 s[4:5], -1
                                        ; implicit-def: $sgpr10
	s_and_saveexec_b64 s[8:9], vcc
; %bb.2070:
	s_mov_b32 s10, 0x7f800001
	s_xor_b64 s[4:5], exec, -1
; %bb.2071:
	s_or_b64 exec, exec, s[8:9]
	s_and_b64 s[4:5], s[4:5], exec
                                        ; implicit-def: $vgpr21
	s_or_saveexec_b64 s[6:7], s[6:7]
	v_mov_b32_e32 v22, s10
	s_xor_b64 exec, exec, s[6:7]
	s_cbranch_execz .LBB48_22
.LBB48_2072:
	v_cmp_ne_u16_e32 vcc, 0, v21
	s_andn2_b64 s[4:5], s[4:5], exec
	s_and_b64 s[8:9], vcc, exec
	v_mov_b32_e32 v22, 0
	s_or_b64 s[4:5], s[4:5], s[8:9]
	s_or_b64 exec, exec, s[6:7]
	s_and_saveexec_b64 s[6:7], s[4:5]
	s_cbranch_execnz .LBB48_23
	s_branch .LBB48_24
.LBB48_2073:
	s_movk_i32 s4, 0x80
	v_cmp_eq_u16_sdwa s[12:13], v14, s4 src0_sel:BYTE_3 src1_sel:DWORD
	s_mov_b64 s[4:5], -1
                                        ; implicit-def: $sgpr10
	s_and_saveexec_b64 s[8:9], s[12:13]
; %bb.2074:
	s_mov_b32 s10, 0x7f800001
	s_xor_b64 s[4:5], exec, -1
; %bb.2075:
	s_or_b64 exec, exec, s[8:9]
	s_and_b64 s[4:5], s[4:5], exec
	s_or_saveexec_b64 s[6:7], s[6:7]
	v_mov_b32_e32 v20, s10
	s_xor_b64 exec, exec, s[6:7]
	s_cbranch_execz .LBB48_26
.LBB48_2076:
	v_mov_b32_e32 v20, 0
	v_cmp_ne_u16_sdwa s[8:9], v14, v20 src0_sel:BYTE_3 src1_sel:DWORD
	s_andn2_b64 s[4:5], s[4:5], exec
	s_and_b64 s[8:9], s[8:9], exec
	s_or_b64 s[4:5], s[4:5], s[8:9]
	s_or_b64 exec, exec, s[6:7]
	s_and_saveexec_b64 s[6:7], s[4:5]
	s_cbranch_execnz .LBB48_27
	s_branch .LBB48_28
.LBB48_2077:
	s_movk_i32 s4, 0x80
	v_cmp_eq_u16_sdwa s[12:13], v10, s4 src0_sel:BYTE_3 src1_sel:DWORD
	s_mov_b64 s[4:5], -1
                                        ; implicit-def: $sgpr10
	s_and_saveexec_b64 s[8:9], s[12:13]
; %bb.2078:
	s_mov_b32 s10, 0x7f800001
	s_xor_b64 s[4:5], exec, -1
; %bb.2079:
	s_or_b64 exec, exec, s[8:9]
	s_and_b64 s[4:5], s[4:5], exec
	s_or_saveexec_b64 s[6:7], s[6:7]
	v_mov_b32_e32 v14, s10
	s_xor_b64 exec, exec, s[6:7]
	s_cbranch_execz .LBB48_30
.LBB48_2080:
	v_mov_b32_e32 v14, 0
	v_cmp_ne_u16_sdwa s[8:9], v10, v14 src0_sel:BYTE_3 src1_sel:DWORD
	s_andn2_b64 s[4:5], s[4:5], exec
	s_and_b64 s[8:9], s[8:9], exec
	s_or_b64 s[4:5], s[4:5], s[8:9]
	s_or_b64 exec, exec, s[6:7]
	s_and_saveexec_b64 s[6:7], s[4:5]
	s_cbranch_execnz .LBB48_31
	s_branch .LBB48_32
.LBB48_2081:
	s_movk_i32 s4, 0x80
	v_cmp_eq_u16_sdwa s[12:13], v15, s4 src0_sel:BYTE_0 src1_sel:DWORD
	s_mov_b64 s[4:5], -1
                                        ; implicit-def: $sgpr10
	s_and_saveexec_b64 s[8:9], s[12:13]
; %bb.2082:
	s_mov_b32 s10, 0x7f800001
	s_xor_b64 s[4:5], exec, -1
; %bb.2083:
	s_or_b64 exec, exec, s[8:9]
	s_and_b64 s[4:5], s[4:5], exec
	s_or_saveexec_b64 s[6:7], s[6:7]
	v_mov_b32_e32 v10, s10
	s_xor_b64 exec, exec, s[6:7]
	s_cbranch_execz .LBB48_34
.LBB48_2084:
	v_mov_b32_e32 v10, 0
	v_cmp_ne_u16_sdwa s[8:9], v15, v10 src0_sel:BYTE_0 src1_sel:DWORD
	s_andn2_b64 s[4:5], s[4:5], exec
	s_and_b64 s[8:9], s[8:9], exec
	s_or_b64 s[4:5], s[4:5], s[8:9]
	s_or_b64 exec, exec, s[6:7]
	s_and_saveexec_b64 s[6:7], s[4:5]
	s_cbranch_execnz .LBB48_35
	s_branch .LBB48_36
.LBB48_2085:
	s_movk_i32 s4, 0x80
	v_cmp_eq_u16_sdwa s[12:13], v11, s4 src0_sel:BYTE_0 src1_sel:DWORD
	s_mov_b64 s[4:5], -1
                                        ; implicit-def: $sgpr10
	s_and_saveexec_b64 s[8:9], s[12:13]
; %bb.2086:
	s_mov_b32 s10, 0x7f800001
	s_xor_b64 s[4:5], exec, -1
; %bb.2087:
	s_or_b64 exec, exec, s[8:9]
	s_and_b64 s[4:5], s[4:5], exec
	s_or_saveexec_b64 s[6:7], s[6:7]
	v_mov_b32_e32 v14, s10
	s_xor_b64 exec, exec, s[6:7]
	s_cbranch_execz .LBB48_38
.LBB48_2088:
	v_mov_b32_e32 v14, 0
	v_cmp_ne_u16_sdwa s[8:9], v11, v14 src0_sel:BYTE_0 src1_sel:DWORD
	s_andn2_b64 s[4:5], s[4:5], exec
	s_and_b64 s[8:9], s[8:9], exec
	s_or_b64 s[4:5], s[4:5], s[8:9]
	s_or_b64 exec, exec, s[6:7]
	s_and_saveexec_b64 s[6:7], s[4:5]
	s_cbranch_execnz .LBB48_39
	s_branch .LBB48_40
.LBB48_2089:
	s_movk_i32 s4, 0x80
	v_cmp_eq_u16_sdwa s[12:13], v14, s4 src0_sel:BYTE_0 src1_sel:DWORD
	s_mov_b64 s[4:5], -1
                                        ; implicit-def: $sgpr10
	s_and_saveexec_b64 s[8:9], s[12:13]
; %bb.2090:
	s_mov_b32 s10, 0x7f800001
	s_xor_b64 s[4:5], exec, -1
; %bb.2091:
	s_or_b64 exec, exec, s[8:9]
	s_and_b64 s[4:5], s[4:5], exec
	s_or_saveexec_b64 s[6:7], s[6:7]
	v_mov_b32_e32 v10, s10
	s_xor_b64 exec, exec, s[6:7]
	s_cbranch_execz .LBB48_42
.LBB48_2092:
	v_mov_b32_e32 v10, 0
	v_cmp_ne_u16_sdwa s[8:9], v14, v10 src0_sel:BYTE_0 src1_sel:DWORD
	s_andn2_b64 s[4:5], s[4:5], exec
	s_and_b64 s[8:9], s[8:9], exec
	s_or_b64 s[4:5], s[4:5], s[8:9]
	s_or_b64 exec, exec, s[6:7]
	s_and_saveexec_b64 s[6:7], s[4:5]
	s_cbranch_execnz .LBB48_43
	s_branch .LBB48_44
.LBB48_2093:
	s_movk_i32 s4, 0x80
	v_cmp_eq_u16_sdwa s[12:13], v14, s4 src0_sel:BYTE_0 src1_sel:DWORD
	s_mov_b64 s[4:5], -1
                                        ; implicit-def: $sgpr10
	s_and_saveexec_b64 s[8:9], s[12:13]
; %bb.2094:
	s_mov_b32 s10, 0x7f800001
	s_xor_b64 s[4:5], exec, -1
; %bb.2095:
	s_or_b64 exec, exec, s[8:9]
	s_and_b64 s[4:5], s[4:5], exec
	s_or_saveexec_b64 s[6:7], s[6:7]
	v_mov_b32_e32 v20, s10
	s_xor_b64 exec, exec, s[6:7]
	s_cbranch_execz .LBB48_46
.LBB48_2096:
	v_mov_b32_e32 v20, 0
	v_cmp_ne_u16_sdwa s[8:9], v14, v20 src0_sel:BYTE_0 src1_sel:DWORD
	s_andn2_b64 s[4:5], s[4:5], exec
	s_and_b64 s[8:9], s[8:9], exec
	s_or_b64 s[4:5], s[4:5], s[8:9]
	s_or_b64 exec, exec, s[6:7]
	s_and_saveexec_b64 s[6:7], s[4:5]
	s_cbranch_execnz .LBB48_47
	s_branch .LBB48_48
.LBB48_2097:
	s_movk_i32 s4, 0x80
	v_cmp_eq_u16_e32 vcc, s4, v14
	s_mov_b64 s[4:5], -1
                                        ; implicit-def: $sgpr10
	s_and_saveexec_b64 s[8:9], vcc
; %bb.2098:
	s_mov_b32 s10, 0x7f800001
	s_xor_b64 s[4:5], exec, -1
; %bb.2099:
	s_or_b64 exec, exec, s[8:9]
	s_and_b64 s[4:5], s[4:5], exec
                                        ; implicit-def: $vgpr14
	s_or_saveexec_b64 s[6:7], s[6:7]
	v_mov_b32_e32 v10, s10
	s_xor_b64 exec, exec, s[6:7]
	s_cbranch_execz .LBB48_50
.LBB48_2100:
	v_cmp_ne_u16_e32 vcc, 0, v14
	s_andn2_b64 s[4:5], s[4:5], exec
	s_and_b64 s[8:9], vcc, exec
	v_mov_b32_e32 v10, 0
	s_or_b64 s[4:5], s[4:5], s[8:9]
	s_or_b64 exec, exec, s[6:7]
	s_and_saveexec_b64 s[6:7], s[4:5]
	s_cbranch_execnz .LBB48_51
	s_branch .LBB48_52
.LBB48_2101:
	s_movk_i32 s4, 0x80
	v_cmp_eq_u16_e32 vcc, s4, v14
	s_mov_b64 s[4:5], -1
                                        ; implicit-def: $sgpr10
	s_and_saveexec_b64 s[8:9], vcc
; %bb.2102:
	s_mov_b32 s10, 0x7f800001
	s_xor_b64 s[4:5], exec, -1
; %bb.2103:
	s_or_b64 exec, exec, s[8:9]
	s_and_b64 s[4:5], s[4:5], exec
                                        ; implicit-def: $vgpr14
	s_or_saveexec_b64 s[6:7], s[6:7]
	v_mov_b32_e32 v20, s10
	s_xor_b64 exec, exec, s[6:7]
	s_cbranch_execz .LBB48_54
.LBB48_2104:
	v_cmp_ne_u16_e32 vcc, 0, v14
	s_andn2_b64 s[4:5], s[4:5], exec
	s_and_b64 s[8:9], vcc, exec
	v_mov_b32_e32 v20, 0
	s_or_b64 s[4:5], s[4:5], s[8:9]
	s_or_b64 exec, exec, s[6:7]
	s_and_saveexec_b64 s[6:7], s[4:5]
	s_cbranch_execnz .LBB48_55
	s_branch .LBB48_56
.LBB48_2105:
	s_movk_i32 s4, 0x80
	v_cmp_eq_u16_sdwa s[12:13], v15, s4 src0_sel:BYTE_3 src1_sel:DWORD
	s_mov_b64 s[4:5], -1
                                        ; implicit-def: $sgpr10
	s_and_saveexec_b64 s[8:9], s[12:13]
; %bb.2106:
	s_mov_b32 s10, 0x7f800001
	s_xor_b64 s[4:5], exec, -1
; %bb.2107:
	s_or_b64 exec, exec, s[8:9]
	s_and_b64 s[4:5], s[4:5], exec
	s_or_saveexec_b64 s[6:7], s[6:7]
	v_mov_b32_e32 v10, s10
	s_xor_b64 exec, exec, s[6:7]
	s_cbranch_execz .LBB48_58
.LBB48_2108:
	v_mov_b32_e32 v10, 0
	v_cmp_ne_u16_sdwa s[8:9], v15, v10 src0_sel:BYTE_3 src1_sel:DWORD
	s_andn2_b64 s[4:5], s[4:5], exec
	s_and_b64 s[8:9], s[8:9], exec
	s_or_b64 s[4:5], s[4:5], s[8:9]
	s_or_b64 exec, exec, s[6:7]
	s_and_saveexec_b64 s[6:7], s[4:5]
	s_cbranch_execnz .LBB48_59
	s_branch .LBB48_60
.LBB48_2109:
	s_movk_i32 s4, 0x80
	v_cmp_eq_u16_sdwa s[12:13], v11, s4 src0_sel:BYTE_3 src1_sel:DWORD
	s_mov_b64 s[4:5], -1
                                        ; implicit-def: $sgpr10
	s_and_saveexec_b64 s[8:9], s[12:13]
; %bb.2110:
	s_mov_b32 s10, 0x7f800001
	s_xor_b64 s[4:5], exec, -1
; %bb.2111:
	s_or_b64 exec, exec, s[8:9]
	s_and_b64 s[4:5], s[4:5], exec
	s_or_saveexec_b64 s[6:7], s[6:7]
	v_mov_b32_e32 v14, s10
	s_xor_b64 exec, exec, s[6:7]
	s_cbranch_execz .LBB48_62
.LBB48_2112:
	v_mov_b32_e32 v14, 0
	v_cmp_ne_u16_sdwa s[8:9], v11, v14 src0_sel:BYTE_3 src1_sel:DWORD
	s_andn2_b64 s[4:5], s[4:5], exec
	s_and_b64 s[8:9], s[8:9], exec
	s_or_b64 s[4:5], s[4:5], s[8:9]
	s_or_b64 exec, exec, s[6:7]
	s_and_saveexec_b64 s[6:7], s[4:5]
	s_cbranch_execnz .LBB48_63
	s_branch .LBB48_64
.LBB48_2113:
	s_movk_i32 s4, 0x80
	v_cmp_eq_u16_sdwa s[12:13], v16, s4 src0_sel:BYTE_0 src1_sel:DWORD
	s_mov_b64 s[4:5], -1
                                        ; implicit-def: $sgpr10
	s_and_saveexec_b64 s[8:9], s[12:13]
; %bb.2114:
	s_mov_b32 s10, 0x7f800001
	s_xor_b64 s[4:5], exec, -1
; %bb.2115:
	s_or_b64 exec, exec, s[8:9]
	s_and_b64 s[4:5], s[4:5], exec
	s_or_saveexec_b64 s[6:7], s[6:7]
	v_mov_b32_e32 v10, s10
	s_xor_b64 exec, exec, s[6:7]
	s_cbranch_execz .LBB48_66
.LBB48_2116:
	v_mov_b32_e32 v10, 0
	v_cmp_ne_u16_sdwa s[8:9], v16, v10 src0_sel:BYTE_0 src1_sel:DWORD
	s_andn2_b64 s[4:5], s[4:5], exec
	s_and_b64 s[8:9], s[8:9], exec
	s_or_b64 s[4:5], s[4:5], s[8:9]
	s_or_b64 exec, exec, s[6:7]
	s_and_saveexec_b64 s[6:7], s[4:5]
	s_cbranch_execnz .LBB48_67
	s_branch .LBB48_68
.LBB48_2117:
	s_movk_i32 s4, 0x80
	v_cmp_eq_u16_sdwa s[12:13], v12, s4 src0_sel:BYTE_0 src1_sel:DWORD
	s_mov_b64 s[4:5], -1
                                        ; implicit-def: $sgpr10
	s_and_saveexec_b64 s[8:9], s[12:13]
; %bb.2118:
	s_mov_b32 s10, 0x7f800001
	s_xor_b64 s[4:5], exec, -1
; %bb.2119:
	s_or_b64 exec, exec, s[8:9]
	s_and_b64 s[4:5], s[4:5], exec
	s_or_saveexec_b64 s[6:7], s[6:7]
	v_mov_b32_e32 v11, s10
	s_xor_b64 exec, exec, s[6:7]
	s_cbranch_execz .LBB48_70
.LBB48_2120:
	v_mov_b32_e32 v11, 0
	v_cmp_ne_u16_sdwa s[8:9], v12, v11 src0_sel:BYTE_0 src1_sel:DWORD
	s_andn2_b64 s[4:5], s[4:5], exec
	s_and_b64 s[8:9], s[8:9], exec
	s_or_b64 s[4:5], s[4:5], s[8:9]
	s_or_b64 exec, exec, s[6:7]
	s_and_saveexec_b64 s[6:7], s[4:5]
	s_cbranch_execnz .LBB48_71
	s_branch .LBB48_72
.LBB48_2121:
	s_movk_i32 s4, 0x80
	v_cmp_eq_u16_sdwa s[12:13], v11, s4 src0_sel:BYTE_0 src1_sel:DWORD
	s_mov_b64 s[4:5], -1
                                        ; implicit-def: $sgpr10
	s_and_saveexec_b64 s[8:9], s[12:13]
; %bb.2122:
	s_mov_b32 s10, 0x7f800001
	s_xor_b64 s[4:5], exec, -1
; %bb.2123:
	s_or_b64 exec, exec, s[8:9]
	s_and_b64 s[4:5], s[4:5], exec
	s_or_saveexec_b64 s[6:7], s[6:7]
	v_mov_b32_e32 v10, s10
	s_xor_b64 exec, exec, s[6:7]
	s_cbranch_execz .LBB48_74
.LBB48_2124:
	v_mov_b32_e32 v10, 0
	v_cmp_ne_u16_sdwa s[8:9], v11, v10 src0_sel:BYTE_0 src1_sel:DWORD
	s_andn2_b64 s[4:5], s[4:5], exec
	s_and_b64 s[8:9], s[8:9], exec
	s_or_b64 s[4:5], s[4:5], s[8:9]
	s_or_b64 exec, exec, s[6:7]
	s_and_saveexec_b64 s[6:7], s[4:5]
	s_cbranch_execnz .LBB48_75
	s_branch .LBB48_76
.LBB48_2125:
	s_movk_i32 s4, 0x80
	v_cmp_eq_u16_sdwa s[12:13], v11, s4 src0_sel:BYTE_0 src1_sel:DWORD
	s_mov_b64 s[4:5], -1
                                        ; implicit-def: $sgpr10
	s_and_saveexec_b64 s[8:9], s[12:13]
; %bb.2126:
	s_mov_b32 s10, 0x7f800001
	s_xor_b64 s[4:5], exec, -1
; %bb.2127:
	s_or_b64 exec, exec, s[8:9]
	s_and_b64 s[4:5], s[4:5], exec
	s_or_saveexec_b64 s[6:7], s[6:7]
	v_mov_b32_e32 v14, s10
	s_xor_b64 exec, exec, s[6:7]
	s_cbranch_execz .LBB48_78
.LBB48_2128:
	v_mov_b32_e32 v14, 0
	v_cmp_ne_u16_sdwa s[8:9], v11, v14 src0_sel:BYTE_0 src1_sel:DWORD
	s_andn2_b64 s[4:5], s[4:5], exec
	s_and_b64 s[8:9], s[8:9], exec
	s_or_b64 s[4:5], s[4:5], s[8:9]
	s_or_b64 exec, exec, s[6:7]
	s_and_saveexec_b64 s[6:7], s[4:5]
	s_cbranch_execnz .LBB48_79
	s_branch .LBB48_80
.LBB48_2129:
	s_movk_i32 s4, 0x80
	v_cmp_eq_u16_e32 vcc, s4, v11
	s_mov_b64 s[4:5], -1
                                        ; implicit-def: $sgpr10
	s_and_saveexec_b64 s[8:9], vcc
; %bb.2130:
	s_mov_b32 s10, 0x7f800001
	s_xor_b64 s[4:5], exec, -1
; %bb.2131:
	s_or_b64 exec, exec, s[8:9]
	s_and_b64 s[4:5], s[4:5], exec
                                        ; implicit-def: $vgpr11
	s_or_saveexec_b64 s[6:7], s[6:7]
	v_mov_b32_e32 v10, s10
	s_xor_b64 exec, exec, s[6:7]
	s_cbranch_execz .LBB48_82
.LBB48_2132:
	v_cmp_ne_u16_e32 vcc, 0, v11
	s_andn2_b64 s[4:5], s[4:5], exec
	s_and_b64 s[8:9], vcc, exec
	v_mov_b32_e32 v10, 0
	s_or_b64 s[4:5], s[4:5], s[8:9]
	s_or_b64 exec, exec, s[6:7]
	s_and_saveexec_b64 s[6:7], s[4:5]
	s_cbranch_execnz .LBB48_83
	s_branch .LBB48_84
.LBB48_2133:
	s_movk_i32 s4, 0x80
	v_cmp_eq_u16_e32 vcc, s4, v11
	s_mov_b64 s[4:5], -1
                                        ; implicit-def: $sgpr10
	s_and_saveexec_b64 s[8:9], vcc
; %bb.2134:
	s_mov_b32 s10, 0x7f800001
	s_xor_b64 s[4:5], exec, -1
; %bb.2135:
	s_or_b64 exec, exec, s[8:9]
	s_and_b64 s[4:5], s[4:5], exec
                                        ; implicit-def: $vgpr11
	s_or_saveexec_b64 s[6:7], s[6:7]
	v_mov_b32_e32 v14, s10
	s_xor_b64 exec, exec, s[6:7]
	s_cbranch_execz .LBB48_86
.LBB48_2136:
	v_cmp_ne_u16_e32 vcc, 0, v11
	s_andn2_b64 s[4:5], s[4:5], exec
	s_and_b64 s[8:9], vcc, exec
	v_mov_b32_e32 v14, 0
	s_or_b64 s[4:5], s[4:5], s[8:9]
	s_or_b64 exec, exec, s[6:7]
	s_and_saveexec_b64 s[6:7], s[4:5]
	s_cbranch_execnz .LBB48_87
	s_branch .LBB48_88
.LBB48_2137:
	s_movk_i32 s4, 0x80
	v_cmp_eq_u16_sdwa s[12:13], v16, s4 src0_sel:BYTE_3 src1_sel:DWORD
	s_mov_b64 s[4:5], -1
                                        ; implicit-def: $sgpr10
	s_and_saveexec_b64 s[8:9], s[12:13]
; %bb.2138:
	s_mov_b32 s10, 0x7f800001
	s_xor_b64 s[4:5], exec, -1
; %bb.2139:
	s_or_b64 exec, exec, s[8:9]
	s_and_b64 s[4:5], s[4:5], exec
	s_or_saveexec_b64 s[6:7], s[6:7]
	v_mov_b32_e32 v10, s10
	s_xor_b64 exec, exec, s[6:7]
	s_cbranch_execz .LBB48_90
.LBB48_2140:
	v_mov_b32_e32 v10, 0
	v_cmp_ne_u16_sdwa s[8:9], v16, v10 src0_sel:BYTE_3 src1_sel:DWORD
	s_andn2_b64 s[4:5], s[4:5], exec
	s_and_b64 s[8:9], s[8:9], exec
	s_or_b64 s[4:5], s[4:5], s[8:9]
	s_or_b64 exec, exec, s[6:7]
	s_and_saveexec_b64 s[6:7], s[4:5]
	s_cbranch_execnz .LBB48_91
	s_branch .LBB48_92
.LBB48_2141:
	s_movk_i32 s4, 0x80
	v_cmp_eq_u16_sdwa s[12:13], v12, s4 src0_sel:BYTE_3 src1_sel:DWORD
	s_mov_b64 s[4:5], -1
                                        ; implicit-def: $sgpr10
	s_and_saveexec_b64 s[8:9], s[12:13]
; %bb.2142:
	s_mov_b32 s10, 0x7f800001
	s_xor_b64 s[4:5], exec, -1
; %bb.2143:
	s_or_b64 exec, exec, s[8:9]
	s_and_b64 s[4:5], s[4:5], exec
	s_or_saveexec_b64 s[6:7], s[6:7]
	v_mov_b32_e32 v11, s10
	s_xor_b64 exec, exec, s[6:7]
	s_cbranch_execz .LBB48_94
.LBB48_2144:
	v_mov_b32_e32 v11, 0
	v_cmp_ne_u16_sdwa s[8:9], v12, v11 src0_sel:BYTE_3 src1_sel:DWORD
	s_andn2_b64 s[4:5], s[4:5], exec
	s_and_b64 s[8:9], s[8:9], exec
	s_or_b64 s[4:5], s[4:5], s[8:9]
	s_or_b64 exec, exec, s[6:7]
	s_and_saveexec_b64 s[6:7], s[4:5]
	s_cbranch_execnz .LBB48_95
	s_branch .LBB48_96
.LBB48_2145:
	s_movk_i32 s4, 0x80
	v_cmp_eq_u16_sdwa s[12:13], v17, s4 src0_sel:BYTE_0 src1_sel:DWORD
	s_mov_b64 s[4:5], -1
                                        ; implicit-def: $sgpr10
	s_and_saveexec_b64 s[8:9], s[12:13]
; %bb.2146:
	s_mov_b32 s10, 0x7f800001
	s_xor_b64 s[4:5], exec, -1
; %bb.2147:
	s_or_b64 exec, exec, s[8:9]
	s_and_b64 s[4:5], s[4:5], exec
	s_or_saveexec_b64 s[6:7], s[6:7]
	v_mov_b32_e32 v10, s10
	s_xor_b64 exec, exec, s[6:7]
	s_cbranch_execz .LBB48_98
.LBB48_2148:
	v_mov_b32_e32 v10, 0
	v_cmp_ne_u16_sdwa s[8:9], v17, v10 src0_sel:BYTE_0 src1_sel:DWORD
	s_andn2_b64 s[4:5], s[4:5], exec
	s_and_b64 s[8:9], s[8:9], exec
	s_or_b64 s[4:5], s[4:5], s[8:9]
	s_or_b64 exec, exec, s[6:7]
	s_and_saveexec_b64 s[6:7], s[4:5]
	s_cbranch_execnz .LBB48_99
	s_branch .LBB48_100
.LBB48_2149:
	s_movk_i32 s4, 0x80
	v_cmp_eq_u16_sdwa s[12:13], v13, s4 src0_sel:BYTE_0 src1_sel:DWORD
	s_mov_b64 s[4:5], -1
                                        ; implicit-def: $sgpr10
	s_and_saveexec_b64 s[8:9], s[12:13]
; %bb.2150:
	s_mov_b32 s10, 0x7f800001
	s_xor_b64 s[4:5], exec, -1
; %bb.2151:
	s_or_b64 exec, exec, s[8:9]
	s_and_b64 s[4:5], s[4:5], exec
	s_or_saveexec_b64 s[6:7], s[6:7]
	v_mov_b32_e32 v11, s10
	s_xor_b64 exec, exec, s[6:7]
	s_cbranch_execz .LBB48_102
.LBB48_2152:
	v_mov_b32_e32 v11, 0
	v_cmp_ne_u16_sdwa s[8:9], v13, v11 src0_sel:BYTE_0 src1_sel:DWORD
	s_andn2_b64 s[4:5], s[4:5], exec
	s_and_b64 s[8:9], s[8:9], exec
	s_or_b64 s[4:5], s[4:5], s[8:9]
	s_or_b64 exec, exec, s[6:7]
	s_and_saveexec_b64 s[6:7], s[4:5]
	s_cbranch_execnz .LBB48_103
	s_branch .LBB48_104
.LBB48_2153:
	s_movk_i32 s4, 0x80
	v_cmp_eq_u16_sdwa s[12:13], v11, s4 src0_sel:BYTE_0 src1_sel:DWORD
	s_mov_b64 s[4:5], -1
                                        ; implicit-def: $sgpr10
	s_and_saveexec_b64 s[8:9], s[12:13]
; %bb.2154:
	s_mov_b32 s10, 0x7f800001
	s_xor_b64 s[4:5], exec, -1
; %bb.2155:
	s_or_b64 exec, exec, s[8:9]
	s_and_b64 s[4:5], s[4:5], exec
	s_or_saveexec_b64 s[6:7], s[6:7]
	v_mov_b32_e32 v10, s10
	s_xor_b64 exec, exec, s[6:7]
	s_cbranch_execz .LBB48_106
.LBB48_2156:
	v_mov_b32_e32 v10, 0
	v_cmp_ne_u16_sdwa s[8:9], v11, v10 src0_sel:BYTE_0 src1_sel:DWORD
	s_andn2_b64 s[4:5], s[4:5], exec
	s_and_b64 s[8:9], s[8:9], exec
	s_or_b64 s[4:5], s[4:5], s[8:9]
	s_or_b64 exec, exec, s[6:7]
	s_and_saveexec_b64 s[6:7], s[4:5]
	s_cbranch_execnz .LBB48_107
	s_branch .LBB48_108
.LBB48_2157:
	s_movk_i32 s4, 0x80
	v_cmp_eq_u16_sdwa s[12:13], v11, s4 src0_sel:BYTE_0 src1_sel:DWORD
	s_mov_b64 s[4:5], -1
                                        ; implicit-def: $sgpr10
	s_and_saveexec_b64 s[8:9], s[12:13]
; %bb.2158:
	s_mov_b32 s10, 0x7f800001
	s_xor_b64 s[4:5], exec, -1
; %bb.2159:
	s_or_b64 exec, exec, s[8:9]
	s_and_b64 s[4:5], s[4:5], exec
	s_or_saveexec_b64 s[6:7], s[6:7]
	v_mov_b32_e32 v12, s10
	s_xor_b64 exec, exec, s[6:7]
	s_cbranch_execz .LBB48_110
.LBB48_2160:
	v_mov_b32_e32 v12, 0
	v_cmp_ne_u16_sdwa s[8:9], v11, v12 src0_sel:BYTE_0 src1_sel:DWORD
	s_andn2_b64 s[4:5], s[4:5], exec
	s_and_b64 s[8:9], s[8:9], exec
	s_or_b64 s[4:5], s[4:5], s[8:9]
	s_or_b64 exec, exec, s[6:7]
	s_and_saveexec_b64 s[6:7], s[4:5]
	s_cbranch_execnz .LBB48_111
	s_branch .LBB48_112
.LBB48_2161:
	s_movk_i32 s4, 0x80
	v_cmp_eq_u16_e32 vcc, s4, v11
	s_mov_b64 s[4:5], -1
                                        ; implicit-def: $sgpr10
	s_and_saveexec_b64 s[8:9], vcc
; %bb.2162:
	s_mov_b32 s10, 0x7f800001
	s_xor_b64 s[4:5], exec, -1
; %bb.2163:
	s_or_b64 exec, exec, s[8:9]
	s_and_b64 s[4:5], s[4:5], exec
                                        ; implicit-def: $vgpr11
	s_or_saveexec_b64 s[6:7], s[6:7]
	v_mov_b32_e32 v10, s10
	s_xor_b64 exec, exec, s[6:7]
	s_cbranch_execz .LBB48_114
.LBB48_2164:
	v_cmp_ne_u16_e32 vcc, 0, v11
	s_andn2_b64 s[4:5], s[4:5], exec
	s_and_b64 s[8:9], vcc, exec
	v_mov_b32_e32 v10, 0
	s_or_b64 s[4:5], s[4:5], s[8:9]
	s_or_b64 exec, exec, s[6:7]
	s_and_saveexec_b64 s[6:7], s[4:5]
	s_cbranch_execnz .LBB48_115
	s_branch .LBB48_116
.LBB48_2165:
	s_movk_i32 s4, 0x80
	v_cmp_eq_u16_e32 vcc, s4, v11
	s_mov_b64 s[4:5], -1
                                        ; implicit-def: $sgpr10
	s_and_saveexec_b64 s[8:9], vcc
; %bb.2166:
	s_mov_b32 s10, 0x7f800001
	s_xor_b64 s[4:5], exec, -1
; %bb.2167:
	s_or_b64 exec, exec, s[8:9]
	s_and_b64 s[4:5], s[4:5], exec
                                        ; implicit-def: $vgpr11
	s_or_saveexec_b64 s[6:7], s[6:7]
	v_mov_b32_e32 v12, s10
	s_xor_b64 exec, exec, s[6:7]
	s_cbranch_execz .LBB48_118
.LBB48_2168:
	v_cmp_ne_u16_e32 vcc, 0, v11
	s_andn2_b64 s[4:5], s[4:5], exec
	s_and_b64 s[8:9], vcc, exec
	v_mov_b32_e32 v12, 0
	s_or_b64 s[4:5], s[4:5], s[8:9]
	s_or_b64 exec, exec, s[6:7]
	s_and_saveexec_b64 s[6:7], s[4:5]
	s_cbranch_execnz .LBB48_119
	s_branch .LBB48_120
.LBB48_2169:
	s_movk_i32 s4, 0x80
	v_cmp_eq_u16_sdwa s[12:13], v17, s4 src0_sel:BYTE_3 src1_sel:DWORD
	s_mov_b64 s[4:5], -1
                                        ; implicit-def: $sgpr10
	s_and_saveexec_b64 s[8:9], s[12:13]
; %bb.2170:
	s_mov_b32 s10, 0x7f800001
	s_xor_b64 s[4:5], exec, -1
; %bb.2171:
	s_or_b64 exec, exec, s[8:9]
	s_and_b64 s[4:5], s[4:5], exec
	s_or_saveexec_b64 s[6:7], s[6:7]
	v_mov_b32_e32 v10, s10
	s_xor_b64 exec, exec, s[6:7]
	s_cbranch_execz .LBB48_122
.LBB48_2172:
	v_mov_b32_e32 v10, 0
	v_cmp_ne_u16_sdwa s[8:9], v17, v10 src0_sel:BYTE_3 src1_sel:DWORD
	s_andn2_b64 s[4:5], s[4:5], exec
	s_and_b64 s[8:9], s[8:9], exec
	s_or_b64 s[4:5], s[4:5], s[8:9]
	s_or_b64 exec, exec, s[6:7]
	s_and_saveexec_b64 s[6:7], s[4:5]
	s_cbranch_execnz .LBB48_123
	s_branch .LBB48_124
.LBB48_2173:
	s_movk_i32 s4, 0x80
	v_cmp_eq_u16_sdwa s[12:13], v13, s4 src0_sel:BYTE_3 src1_sel:DWORD
	s_mov_b64 s[4:5], -1
                                        ; implicit-def: $sgpr10
	s_and_saveexec_b64 s[8:9], s[12:13]
; %bb.2174:
	s_mov_b32 s10, 0x7f800001
	s_xor_b64 s[4:5], exec, -1
; %bb.2175:
	s_or_b64 exec, exec, s[8:9]
	s_and_b64 s[4:5], s[4:5], exec
	s_or_saveexec_b64 s[6:7], s[6:7]
	v_mov_b32_e32 v11, s10
	s_xor_b64 exec, exec, s[6:7]
	s_cbranch_execz .LBB48_126
.LBB48_2176:
	v_mov_b32_e32 v11, 0
	v_cmp_ne_u16_sdwa s[8:9], v13, v11 src0_sel:BYTE_3 src1_sel:DWORD
	s_andn2_b64 s[4:5], s[4:5], exec
	s_and_b64 s[8:9], s[8:9], exec
	s_or_b64 s[4:5], s[4:5], s[8:9]
	s_or_b64 exec, exec, s[6:7]
	s_and_saveexec_b64 s[6:7], s[4:5]
	s_cbranch_execnz .LBB48_127
	s_branch .LBB48_128
.LBB48_2177:
	s_movk_i32 s4, 0x80
	v_cmp_eq_u16_sdwa s[12:13], v6, s4 src0_sel:BYTE_0 src1_sel:DWORD
	s_mov_b64 s[4:5], -1
                                        ; implicit-def: $sgpr10
	s_and_saveexec_b64 s[8:9], s[12:13]
; %bb.2178:
	s_mov_b32 s10, 0x7f800001
	s_xor_b64 s[4:5], exec, -1
; %bb.2179:
	s_or_b64 exec, exec, s[8:9]
	s_and_b64 s[4:5], s[4:5], exec
	s_or_saveexec_b64 s[6:7], s[6:7]
	v_mov_b32_e32 v10, s10
	s_xor_b64 exec, exec, s[6:7]
	s_cbranch_execz .LBB48_130
.LBB48_2180:
	v_mov_b32_e32 v10, 0
	v_cmp_ne_u16_sdwa s[8:9], v6, v10 src0_sel:BYTE_0 src1_sel:DWORD
	s_andn2_b64 s[4:5], s[4:5], exec
	s_and_b64 s[8:9], s[8:9], exec
	s_or_b64 s[4:5], s[4:5], s[8:9]
	s_or_b64 exec, exec, s[6:7]
	s_and_saveexec_b64 s[6:7], s[4:5]
	s_cbranch_execnz .LBB48_131
	s_branch .LBB48_132
.LBB48_2181:
	s_movk_i32 s4, 0x80
	v_cmp_eq_u16_sdwa s[12:13], v2, s4 src0_sel:BYTE_0 src1_sel:DWORD
	s_mov_b64 s[4:5], -1
                                        ; implicit-def: $sgpr10
	s_and_saveexec_b64 s[8:9], s[12:13]
; %bb.2182:
	s_mov_b32 s10, 0x7f800001
	s_xor_b64 s[4:5], exec, -1
; %bb.2183:
	s_or_b64 exec, exec, s[8:9]
	s_and_b64 s[4:5], s[4:5], exec
	s_or_saveexec_b64 s[6:7], s[6:7]
	v_mov_b32_e32 v11, s10
	s_xor_b64 exec, exec, s[6:7]
	s_cbranch_execz .LBB48_134
.LBB48_2184:
	v_mov_b32_e32 v11, 0
	v_cmp_ne_u16_sdwa s[8:9], v2, v11 src0_sel:BYTE_0 src1_sel:DWORD
	s_andn2_b64 s[4:5], s[4:5], exec
	s_and_b64 s[8:9], s[8:9], exec
	s_or_b64 s[4:5], s[4:5], s[8:9]
	s_or_b64 exec, exec, s[6:7]
	s_and_saveexec_b64 s[6:7], s[4:5]
	s_cbranch_execnz .LBB48_135
	s_branch .LBB48_136
.LBB48_2185:
	s_movk_i32 s4, 0x80
	v_cmp_eq_u16_sdwa s[12:13], v11, s4 src0_sel:BYTE_0 src1_sel:DWORD
	s_mov_b64 s[4:5], -1
                                        ; implicit-def: $sgpr10
	s_and_saveexec_b64 s[8:9], s[12:13]
; %bb.2186:
	s_mov_b32 s10, 0x7f800001
	s_xor_b64 s[4:5], exec, -1
; %bb.2187:
	s_or_b64 exec, exec, s[8:9]
	s_and_b64 s[4:5], s[4:5], exec
	s_or_saveexec_b64 s[6:7], s[6:7]
	v_mov_b32_e32 v10, s10
	s_xor_b64 exec, exec, s[6:7]
	s_cbranch_execz .LBB48_138
.LBB48_2188:
	v_mov_b32_e32 v10, 0
	v_cmp_ne_u16_sdwa s[8:9], v11, v10 src0_sel:BYTE_0 src1_sel:DWORD
	s_andn2_b64 s[4:5], s[4:5], exec
	s_and_b64 s[8:9], s[8:9], exec
	s_or_b64 s[4:5], s[4:5], s[8:9]
	s_or_b64 exec, exec, s[6:7]
	s_and_saveexec_b64 s[6:7], s[4:5]
	s_cbranch_execnz .LBB48_139
	s_branch .LBB48_140
.LBB48_2189:
	s_movk_i32 s4, 0x80
	v_cmp_eq_u16_sdwa s[12:13], v11, s4 src0_sel:BYTE_0 src1_sel:DWORD
	s_mov_b64 s[4:5], -1
                                        ; implicit-def: $sgpr10
	s_and_saveexec_b64 s[8:9], s[12:13]
; %bb.2190:
	s_mov_b32 s10, 0x7f800001
	s_xor_b64 s[4:5], exec, -1
; %bb.2191:
	s_or_b64 exec, exec, s[8:9]
	s_and_b64 s[4:5], s[4:5], exec
	s_or_saveexec_b64 s[6:7], s[6:7]
	v_mov_b32_e32 v12, s10
	s_xor_b64 exec, exec, s[6:7]
	s_cbranch_execz .LBB48_142
.LBB48_2192:
	v_mov_b32_e32 v12, 0
	v_cmp_ne_u16_sdwa s[8:9], v11, v12 src0_sel:BYTE_0 src1_sel:DWORD
	s_andn2_b64 s[4:5], s[4:5], exec
	s_and_b64 s[8:9], s[8:9], exec
	s_or_b64 s[4:5], s[4:5], s[8:9]
	s_or_b64 exec, exec, s[6:7]
	s_and_saveexec_b64 s[6:7], s[4:5]
	s_cbranch_execnz .LBB48_143
	s_branch .LBB48_144
.LBB48_2193:
	s_movk_i32 s4, 0x80
	v_cmp_eq_u16_e32 vcc, s4, v11
	s_mov_b64 s[4:5], -1
                                        ; implicit-def: $sgpr10
	s_and_saveexec_b64 s[8:9], vcc
; %bb.2194:
	s_mov_b32 s10, 0x7f800001
	s_xor_b64 s[4:5], exec, -1
; %bb.2195:
	s_or_b64 exec, exec, s[8:9]
	s_and_b64 s[4:5], s[4:5], exec
                                        ; implicit-def: $vgpr11
	s_or_saveexec_b64 s[6:7], s[6:7]
	v_mov_b32_e32 v10, s10
	s_xor_b64 exec, exec, s[6:7]
	s_cbranch_execz .LBB48_146
.LBB48_2196:
	v_cmp_ne_u16_e32 vcc, 0, v11
	s_andn2_b64 s[4:5], s[4:5], exec
	s_and_b64 s[8:9], vcc, exec
	v_mov_b32_e32 v10, 0
	s_or_b64 s[4:5], s[4:5], s[8:9]
	s_or_b64 exec, exec, s[6:7]
	s_and_saveexec_b64 s[6:7], s[4:5]
	s_cbranch_execnz .LBB48_147
	s_branch .LBB48_148
.LBB48_2197:
	s_movk_i32 s4, 0x80
	v_cmp_eq_u16_e32 vcc, s4, v11
	s_mov_b64 s[4:5], -1
                                        ; implicit-def: $sgpr10
	s_and_saveexec_b64 s[8:9], vcc
; %bb.2198:
	s_mov_b32 s10, 0x7f800001
	s_xor_b64 s[4:5], exec, -1
; %bb.2199:
	s_or_b64 exec, exec, s[8:9]
	s_and_b64 s[4:5], s[4:5], exec
                                        ; implicit-def: $vgpr11
	s_or_saveexec_b64 s[6:7], s[6:7]
	v_mov_b32_e32 v12, s10
	s_xor_b64 exec, exec, s[6:7]
	s_cbranch_execz .LBB48_150
.LBB48_2200:
	v_cmp_ne_u16_e32 vcc, 0, v11
	s_andn2_b64 s[4:5], s[4:5], exec
	s_and_b64 s[8:9], vcc, exec
	v_mov_b32_e32 v12, 0
	s_or_b64 s[4:5], s[4:5], s[8:9]
	s_or_b64 exec, exec, s[6:7]
	s_and_saveexec_b64 s[6:7], s[4:5]
	s_cbranch_execnz .LBB48_151
	s_branch .LBB48_152
.LBB48_2201:
	s_movk_i32 s4, 0x80
	v_cmp_eq_u16_sdwa s[12:13], v6, s4 src0_sel:BYTE_3 src1_sel:DWORD
	s_mov_b64 s[4:5], -1
                                        ; implicit-def: $sgpr10
	s_and_saveexec_b64 s[8:9], s[12:13]
; %bb.2202:
	s_mov_b32 s10, 0x7f800001
	s_xor_b64 s[4:5], exec, -1
; %bb.2203:
	s_or_b64 exec, exec, s[8:9]
	s_and_b64 s[4:5], s[4:5], exec
	s_or_saveexec_b64 s[6:7], s[6:7]
	v_mov_b32_e32 v10, s10
	s_xor_b64 exec, exec, s[6:7]
	s_cbranch_execz .LBB48_154
.LBB48_2204:
	v_mov_b32_e32 v10, 0
	v_cmp_ne_u16_sdwa s[8:9], v6, v10 src0_sel:BYTE_3 src1_sel:DWORD
	s_andn2_b64 s[4:5], s[4:5], exec
	s_and_b64 s[8:9], s[8:9], exec
	s_or_b64 s[4:5], s[4:5], s[8:9]
	s_or_b64 exec, exec, s[6:7]
	s_and_saveexec_b64 s[6:7], s[4:5]
	s_cbranch_execnz .LBB48_155
	s_branch .LBB48_156
.LBB48_2205:
	s_movk_i32 s4, 0x80
	v_cmp_eq_u16_sdwa s[12:13], v2, s4 src0_sel:BYTE_3 src1_sel:DWORD
	s_mov_b64 s[4:5], -1
                                        ; implicit-def: $sgpr10
	s_and_saveexec_b64 s[8:9], s[12:13]
; %bb.2206:
	s_mov_b32 s10, 0x7f800001
	s_xor_b64 s[4:5], exec, -1
; %bb.2207:
	s_or_b64 exec, exec, s[8:9]
	s_and_b64 s[4:5], s[4:5], exec
	s_or_saveexec_b64 s[6:7], s[6:7]
	v_mov_b32_e32 v6, s10
	s_xor_b64 exec, exec, s[6:7]
	s_cbranch_execz .LBB48_158
.LBB48_2208:
	v_mov_b32_e32 v6, 0
	v_cmp_ne_u16_sdwa s[8:9], v2, v6 src0_sel:BYTE_3 src1_sel:DWORD
	s_andn2_b64 s[4:5], s[4:5], exec
	s_and_b64 s[8:9], s[8:9], exec
	s_or_b64 s[4:5], s[4:5], s[8:9]
	s_or_b64 exec, exec, s[6:7]
	s_and_saveexec_b64 s[6:7], s[4:5]
	s_cbranch_execnz .LBB48_159
	s_branch .LBB48_160
.LBB48_2209:
	s_movk_i32 s4, 0x80
	v_cmp_eq_u16_sdwa s[12:13], v7, s4 src0_sel:BYTE_0 src1_sel:DWORD
	s_mov_b64 s[4:5], -1
                                        ; implicit-def: $sgpr10
	s_and_saveexec_b64 s[8:9], s[12:13]
; %bb.2210:
	s_mov_b32 s10, 0x7f800001
	s_xor_b64 s[4:5], exec, -1
; %bb.2211:
	s_or_b64 exec, exec, s[8:9]
	s_and_b64 s[4:5], s[4:5], exec
	s_or_saveexec_b64 s[6:7], s[6:7]
	v_mov_b32_e32 v2, s10
	s_xor_b64 exec, exec, s[6:7]
	s_cbranch_execz .LBB48_162
.LBB48_2212:
	v_mov_b32_e32 v2, 0
	v_cmp_ne_u16_sdwa s[8:9], v7, v2 src0_sel:BYTE_0 src1_sel:DWORD
	s_andn2_b64 s[4:5], s[4:5], exec
	s_and_b64 s[8:9], s[8:9], exec
	s_or_b64 s[4:5], s[4:5], s[8:9]
	s_or_b64 exec, exec, s[6:7]
	s_and_saveexec_b64 s[6:7], s[4:5]
	s_cbranch_execnz .LBB48_163
	s_branch .LBB48_164
.LBB48_2213:
	s_movk_i32 s4, 0x80
	v_cmp_eq_u16_sdwa s[12:13], v3, s4 src0_sel:BYTE_0 src1_sel:DWORD
	s_mov_b64 s[4:5], -1
                                        ; implicit-def: $sgpr10
	s_and_saveexec_b64 s[8:9], s[12:13]
; %bb.2214:
	s_mov_b32 s10, 0x7f800001
	s_xor_b64 s[4:5], exec, -1
; %bb.2215:
	s_or_b64 exec, exec, s[8:9]
	s_and_b64 s[4:5], s[4:5], exec
	s_or_saveexec_b64 s[6:7], s[6:7]
	v_mov_b32_e32 v6, s10
	s_xor_b64 exec, exec, s[6:7]
	s_cbranch_execz .LBB48_166
.LBB48_2216:
	v_mov_b32_e32 v6, 0
	v_cmp_ne_u16_sdwa s[8:9], v3, v6 src0_sel:BYTE_0 src1_sel:DWORD
	s_andn2_b64 s[4:5], s[4:5], exec
	s_and_b64 s[8:9], s[8:9], exec
	s_or_b64 s[4:5], s[4:5], s[8:9]
	s_or_b64 exec, exec, s[6:7]
	s_and_saveexec_b64 s[6:7], s[4:5]
	s_cbranch_execnz .LBB48_167
	s_branch .LBB48_168
.LBB48_2217:
	s_movk_i32 s4, 0x80
	v_cmp_eq_u16_sdwa s[12:13], v6, s4 src0_sel:BYTE_0 src1_sel:DWORD
	s_mov_b64 s[4:5], -1
                                        ; implicit-def: $sgpr10
	s_and_saveexec_b64 s[8:9], s[12:13]
; %bb.2218:
	s_mov_b32 s10, 0x7f800001
	s_xor_b64 s[4:5], exec, -1
; %bb.2219:
	s_or_b64 exec, exec, s[8:9]
	s_and_b64 s[4:5], s[4:5], exec
	s_or_saveexec_b64 s[6:7], s[6:7]
	v_mov_b32_e32 v2, s10
	s_xor_b64 exec, exec, s[6:7]
	s_cbranch_execz .LBB48_170
.LBB48_2220:
	v_mov_b32_e32 v2, 0
	v_cmp_ne_u16_sdwa s[8:9], v6, v2 src0_sel:BYTE_0 src1_sel:DWORD
	s_andn2_b64 s[4:5], s[4:5], exec
	s_and_b64 s[8:9], s[8:9], exec
	s_or_b64 s[4:5], s[4:5], s[8:9]
	s_or_b64 exec, exec, s[6:7]
	s_and_saveexec_b64 s[6:7], s[4:5]
	s_cbranch_execnz .LBB48_171
	s_branch .LBB48_172
.LBB48_2221:
	s_movk_i32 s4, 0x80
	v_cmp_eq_u16_sdwa s[12:13], v6, s4 src0_sel:BYTE_0 src1_sel:DWORD
	s_mov_b64 s[4:5], -1
                                        ; implicit-def: $sgpr10
	s_and_saveexec_b64 s[8:9], s[12:13]
; %bb.2222:
	s_mov_b32 s10, 0x7f800001
	s_xor_b64 s[4:5], exec, -1
; %bb.2223:
	s_or_b64 exec, exec, s[8:9]
	s_and_b64 s[4:5], s[4:5], exec
	s_or_saveexec_b64 s[6:7], s[6:7]
	v_mov_b32_e32 v10, s10
	s_xor_b64 exec, exec, s[6:7]
	s_cbranch_execz .LBB48_174
.LBB48_2224:
	v_mov_b32_e32 v10, 0
	v_cmp_ne_u16_sdwa s[8:9], v6, v10 src0_sel:BYTE_0 src1_sel:DWORD
	s_andn2_b64 s[4:5], s[4:5], exec
	s_and_b64 s[8:9], s[8:9], exec
	s_or_b64 s[4:5], s[4:5], s[8:9]
	s_or_b64 exec, exec, s[6:7]
	s_and_saveexec_b64 s[6:7], s[4:5]
	s_cbranch_execnz .LBB48_175
	s_branch .LBB48_176
.LBB48_2225:
	s_movk_i32 s4, 0x80
	v_cmp_eq_u16_e32 vcc, s4, v6
	s_mov_b64 s[4:5], -1
                                        ; implicit-def: $sgpr10
	s_and_saveexec_b64 s[8:9], vcc
; %bb.2226:
	s_mov_b32 s10, 0x7f800001
	s_xor_b64 s[4:5], exec, -1
; %bb.2227:
	s_or_b64 exec, exec, s[8:9]
	s_and_b64 s[4:5], s[4:5], exec
                                        ; implicit-def: $vgpr6
	s_or_saveexec_b64 s[6:7], s[6:7]
	v_mov_b32_e32 v2, s10
	s_xor_b64 exec, exec, s[6:7]
	s_cbranch_execz .LBB48_178
.LBB48_2228:
	v_cmp_ne_u16_e32 vcc, 0, v6
	s_andn2_b64 s[4:5], s[4:5], exec
	s_and_b64 s[8:9], vcc, exec
	v_mov_b32_e32 v2, 0
	s_or_b64 s[4:5], s[4:5], s[8:9]
	s_or_b64 exec, exec, s[6:7]
	s_and_saveexec_b64 s[6:7], s[4:5]
	s_cbranch_execnz .LBB48_179
	s_branch .LBB48_180
.LBB48_2229:
	s_movk_i32 s4, 0x80
	v_cmp_eq_u16_e32 vcc, s4, v6
	s_mov_b64 s[4:5], -1
                                        ; implicit-def: $sgpr10
	s_and_saveexec_b64 s[8:9], vcc
; %bb.2230:
	s_mov_b32 s10, 0x7f800001
	s_xor_b64 s[4:5], exec, -1
; %bb.2231:
	s_or_b64 exec, exec, s[8:9]
	s_and_b64 s[4:5], s[4:5], exec
                                        ; implicit-def: $vgpr6
	s_or_saveexec_b64 s[6:7], s[6:7]
	v_mov_b32_e32 v10, s10
	s_xor_b64 exec, exec, s[6:7]
	s_cbranch_execz .LBB48_182
.LBB48_2232:
	v_cmp_ne_u16_e32 vcc, 0, v6
	s_andn2_b64 s[4:5], s[4:5], exec
	s_and_b64 s[8:9], vcc, exec
	v_mov_b32_e32 v10, 0
	s_or_b64 s[4:5], s[4:5], s[8:9]
	s_or_b64 exec, exec, s[6:7]
	s_and_saveexec_b64 s[6:7], s[4:5]
	s_cbranch_execnz .LBB48_183
	s_branch .LBB48_184
.LBB48_2233:
	s_movk_i32 s4, 0x80
	v_cmp_eq_u16_sdwa s[12:13], v7, s4 src0_sel:BYTE_3 src1_sel:DWORD
	s_mov_b64 s[4:5], -1
                                        ; implicit-def: $sgpr10
	s_and_saveexec_b64 s[8:9], s[12:13]
; %bb.2234:
	s_mov_b32 s10, 0x7f800001
	s_xor_b64 s[4:5], exec, -1
; %bb.2235:
	s_or_b64 exec, exec, s[8:9]
	s_and_b64 s[4:5], s[4:5], exec
	s_or_saveexec_b64 s[6:7], s[6:7]
	v_mov_b32_e32 v2, s10
	s_xor_b64 exec, exec, s[6:7]
	s_cbranch_execz .LBB48_186
.LBB48_2236:
	v_mov_b32_e32 v2, 0
	v_cmp_ne_u16_sdwa s[8:9], v7, v2 src0_sel:BYTE_3 src1_sel:DWORD
	s_andn2_b64 s[4:5], s[4:5], exec
	s_and_b64 s[8:9], s[8:9], exec
	s_or_b64 s[4:5], s[4:5], s[8:9]
	s_or_b64 exec, exec, s[6:7]
	s_and_saveexec_b64 s[6:7], s[4:5]
	s_cbranch_execnz .LBB48_187
	s_branch .LBB48_188
.LBB48_2237:
	s_movk_i32 s4, 0x80
	v_cmp_eq_u16_sdwa s[12:13], v3, s4 src0_sel:BYTE_3 src1_sel:DWORD
	s_mov_b64 s[4:5], -1
                                        ; implicit-def: $sgpr10
	s_and_saveexec_b64 s[8:9], s[12:13]
; %bb.2238:
	s_mov_b32 s10, 0x7f800001
	s_xor_b64 s[4:5], exec, -1
; %bb.2239:
	s_or_b64 exec, exec, s[8:9]
	s_and_b64 s[4:5], s[4:5], exec
	s_or_saveexec_b64 s[6:7], s[6:7]
	v_mov_b32_e32 v6, s10
	s_xor_b64 exec, exec, s[6:7]
	s_cbranch_execz .LBB48_190
.LBB48_2240:
	v_mov_b32_e32 v6, 0
	v_cmp_ne_u16_sdwa s[8:9], v3, v6 src0_sel:BYTE_3 src1_sel:DWORD
	s_andn2_b64 s[4:5], s[4:5], exec
	s_and_b64 s[8:9], s[8:9], exec
	s_or_b64 s[4:5], s[4:5], s[8:9]
	s_or_b64 exec, exec, s[6:7]
	s_and_saveexec_b64 s[6:7], s[4:5]
	s_cbranch_execnz .LBB48_191
	s_branch .LBB48_192
.LBB48_2241:
	s_movk_i32 s4, 0x80
	v_cmp_eq_u16_sdwa s[12:13], v8, s4 src0_sel:BYTE_0 src1_sel:DWORD
	s_mov_b64 s[4:5], -1
                                        ; implicit-def: $sgpr10
	s_and_saveexec_b64 s[8:9], s[12:13]
; %bb.2242:
	s_mov_b32 s10, 0x7f800001
	s_xor_b64 s[4:5], exec, -1
; %bb.2243:
	s_or_b64 exec, exec, s[8:9]
	s_and_b64 s[4:5], s[4:5], exec
	s_or_saveexec_b64 s[6:7], s[6:7]
	v_mov_b32_e32 v2, s10
	s_xor_b64 exec, exec, s[6:7]
	s_cbranch_execz .LBB48_194
.LBB48_2244:
	v_mov_b32_e32 v2, 0
	v_cmp_ne_u16_sdwa s[8:9], v8, v2 src0_sel:BYTE_0 src1_sel:DWORD
	s_andn2_b64 s[4:5], s[4:5], exec
	s_and_b64 s[8:9], s[8:9], exec
	s_or_b64 s[4:5], s[4:5], s[8:9]
	s_or_b64 exec, exec, s[6:7]
	s_and_saveexec_b64 s[6:7], s[4:5]
	s_cbranch_execnz .LBB48_195
	s_branch .LBB48_196
.LBB48_2245:
	s_movk_i32 s4, 0x80
	v_cmp_eq_u16_sdwa s[12:13], v4, s4 src0_sel:BYTE_0 src1_sel:DWORD
	s_mov_b64 s[4:5], -1
                                        ; implicit-def: $sgpr10
	s_and_saveexec_b64 s[8:9], s[12:13]
; %bb.2246:
	s_mov_b32 s10, 0x7f800001
	s_xor_b64 s[4:5], exec, -1
; %bb.2247:
	s_or_b64 exec, exec, s[8:9]
	s_and_b64 s[4:5], s[4:5], exec
	s_or_saveexec_b64 s[6:7], s[6:7]
	v_mov_b32_e32 v3, s10
	s_xor_b64 exec, exec, s[6:7]
	s_cbranch_execz .LBB48_198
.LBB48_2248:
	v_mov_b32_e32 v3, 0
	v_cmp_ne_u16_sdwa s[8:9], v4, v3 src0_sel:BYTE_0 src1_sel:DWORD
	s_andn2_b64 s[4:5], s[4:5], exec
	s_and_b64 s[8:9], s[8:9], exec
	s_or_b64 s[4:5], s[4:5], s[8:9]
	s_or_b64 exec, exec, s[6:7]
	s_and_saveexec_b64 s[6:7], s[4:5]
	s_cbranch_execnz .LBB48_199
	s_branch .LBB48_200
.LBB48_2249:
	s_movk_i32 s4, 0x80
	v_cmp_eq_u16_sdwa s[12:13], v3, s4 src0_sel:BYTE_0 src1_sel:DWORD
	s_mov_b64 s[4:5], -1
                                        ; implicit-def: $sgpr10
	s_and_saveexec_b64 s[8:9], s[12:13]
; %bb.2250:
	s_mov_b32 s10, 0x7f800001
	s_xor_b64 s[4:5], exec, -1
; %bb.2251:
	s_or_b64 exec, exec, s[8:9]
	s_and_b64 s[4:5], s[4:5], exec
	s_or_saveexec_b64 s[6:7], s[6:7]
	v_mov_b32_e32 v2, s10
	s_xor_b64 exec, exec, s[6:7]
	s_cbranch_execz .LBB48_202
.LBB48_2252:
	v_mov_b32_e32 v2, 0
	v_cmp_ne_u16_sdwa s[8:9], v3, v2 src0_sel:BYTE_0 src1_sel:DWORD
	s_andn2_b64 s[4:5], s[4:5], exec
	s_and_b64 s[8:9], s[8:9], exec
	s_or_b64 s[4:5], s[4:5], s[8:9]
	s_or_b64 exec, exec, s[6:7]
	s_and_saveexec_b64 s[6:7], s[4:5]
	s_cbranch_execnz .LBB48_203
	s_branch .LBB48_204
.LBB48_2253:
	s_movk_i32 s4, 0x80
	v_cmp_eq_u16_sdwa s[12:13], v3, s4 src0_sel:BYTE_0 src1_sel:DWORD
	s_mov_b64 s[4:5], -1
                                        ; implicit-def: $sgpr10
	s_and_saveexec_b64 s[8:9], s[12:13]
; %bb.2254:
	s_mov_b32 s10, 0x7f800001
	s_xor_b64 s[4:5], exec, -1
; %bb.2255:
	s_or_b64 exec, exec, s[8:9]
	s_and_b64 s[4:5], s[4:5], exec
	s_or_saveexec_b64 s[6:7], s[6:7]
	v_mov_b32_e32 v6, s10
	s_xor_b64 exec, exec, s[6:7]
	s_cbranch_execz .LBB48_206
.LBB48_2256:
	v_mov_b32_e32 v6, 0
	v_cmp_ne_u16_sdwa s[8:9], v3, v6 src0_sel:BYTE_0 src1_sel:DWORD
	s_andn2_b64 s[4:5], s[4:5], exec
	s_and_b64 s[8:9], s[8:9], exec
	s_or_b64 s[4:5], s[4:5], s[8:9]
	s_or_b64 exec, exec, s[6:7]
	s_and_saveexec_b64 s[6:7], s[4:5]
	s_cbranch_execnz .LBB48_207
	s_branch .LBB48_208
.LBB48_2257:
	s_movk_i32 s4, 0x80
	v_cmp_eq_u16_e32 vcc, s4, v3
	s_mov_b64 s[4:5], -1
                                        ; implicit-def: $sgpr10
	s_and_saveexec_b64 s[8:9], vcc
; %bb.2258:
	s_mov_b32 s10, 0x7f800001
	s_xor_b64 s[4:5], exec, -1
; %bb.2259:
	s_or_b64 exec, exec, s[8:9]
	s_and_b64 s[4:5], s[4:5], exec
                                        ; implicit-def: $vgpr3
	s_or_saveexec_b64 s[6:7], s[6:7]
	v_mov_b32_e32 v2, s10
	s_xor_b64 exec, exec, s[6:7]
	s_cbranch_execz .LBB48_210
.LBB48_2260:
	v_cmp_ne_u16_e32 vcc, 0, v3
	s_andn2_b64 s[4:5], s[4:5], exec
	s_and_b64 s[8:9], vcc, exec
	v_mov_b32_e32 v2, 0
	s_or_b64 s[4:5], s[4:5], s[8:9]
	s_or_b64 exec, exec, s[6:7]
	s_and_saveexec_b64 s[6:7], s[4:5]
	s_cbranch_execnz .LBB48_211
	s_branch .LBB48_212
.LBB48_2261:
	s_movk_i32 s4, 0x80
	v_cmp_eq_u16_e32 vcc, s4, v3
	s_mov_b64 s[4:5], -1
                                        ; implicit-def: $sgpr10
	s_and_saveexec_b64 s[8:9], vcc
; %bb.2262:
	s_mov_b32 s10, 0x7f800001
	s_xor_b64 s[4:5], exec, -1
; %bb.2263:
	s_or_b64 exec, exec, s[8:9]
	s_and_b64 s[4:5], s[4:5], exec
                                        ; implicit-def: $vgpr3
	s_or_saveexec_b64 s[6:7], s[6:7]
	v_mov_b32_e32 v6, s10
	s_xor_b64 exec, exec, s[6:7]
	s_cbranch_execz .LBB48_214
.LBB48_2264:
	v_cmp_ne_u16_e32 vcc, 0, v3
	s_andn2_b64 s[4:5], s[4:5], exec
	s_and_b64 s[8:9], vcc, exec
	v_mov_b32_e32 v6, 0
	s_or_b64 s[4:5], s[4:5], s[8:9]
	s_or_b64 exec, exec, s[6:7]
	s_and_saveexec_b64 s[6:7], s[4:5]
	s_cbranch_execnz .LBB48_215
	s_branch .LBB48_216
.LBB48_2265:
	s_movk_i32 s4, 0x80
	v_cmp_eq_u16_sdwa s[12:13], v8, s4 src0_sel:BYTE_3 src1_sel:DWORD
	s_mov_b64 s[4:5], -1
                                        ; implicit-def: $sgpr10
	s_and_saveexec_b64 s[8:9], s[12:13]
; %bb.2266:
	s_mov_b32 s10, 0x7f800001
	s_xor_b64 s[4:5], exec, -1
; %bb.2267:
	s_or_b64 exec, exec, s[8:9]
	s_and_b64 s[4:5], s[4:5], exec
	s_or_saveexec_b64 s[6:7], s[6:7]
	v_mov_b32_e32 v2, s10
	s_xor_b64 exec, exec, s[6:7]
	s_cbranch_execz .LBB48_218
.LBB48_2268:
	v_mov_b32_e32 v2, 0
	v_cmp_ne_u16_sdwa s[8:9], v8, v2 src0_sel:BYTE_3 src1_sel:DWORD
	s_andn2_b64 s[4:5], s[4:5], exec
	s_and_b64 s[8:9], s[8:9], exec
	s_or_b64 s[4:5], s[4:5], s[8:9]
	s_or_b64 exec, exec, s[6:7]
	s_and_saveexec_b64 s[6:7], s[4:5]
	s_cbranch_execnz .LBB48_219
	s_branch .LBB48_220
.LBB48_2269:
	s_movk_i32 s4, 0x80
	v_cmp_eq_u16_sdwa s[12:13], v4, s4 src0_sel:BYTE_3 src1_sel:DWORD
	s_mov_b64 s[4:5], -1
                                        ; implicit-def: $sgpr10
	s_and_saveexec_b64 s[8:9], s[12:13]
; %bb.2270:
	s_mov_b32 s10, 0x7f800001
	s_xor_b64 s[4:5], exec, -1
; %bb.2271:
	s_or_b64 exec, exec, s[8:9]
	s_and_b64 s[4:5], s[4:5], exec
	s_or_saveexec_b64 s[6:7], s[6:7]
	v_mov_b32_e32 v3, s10
	s_xor_b64 exec, exec, s[6:7]
	s_cbranch_execz .LBB48_222
.LBB48_2272:
	v_mov_b32_e32 v3, 0
	v_cmp_ne_u16_sdwa s[8:9], v4, v3 src0_sel:BYTE_3 src1_sel:DWORD
	s_andn2_b64 s[4:5], s[4:5], exec
	s_and_b64 s[8:9], s[8:9], exec
	s_or_b64 s[4:5], s[4:5], s[8:9]
	s_or_b64 exec, exec, s[6:7]
	s_and_saveexec_b64 s[6:7], s[4:5]
	s_cbranch_execnz .LBB48_223
	s_branch .LBB48_224
.LBB48_2273:
	s_movk_i32 s4, 0x80
	v_cmp_eq_u16_sdwa s[12:13], v9, s4 src0_sel:BYTE_0 src1_sel:DWORD
	s_mov_b64 s[4:5], -1
                                        ; implicit-def: $sgpr10
	s_and_saveexec_b64 s[8:9], s[12:13]
; %bb.2274:
	s_mov_b32 s10, 0x7f800001
	s_xor_b64 s[4:5], exec, -1
; %bb.2275:
	s_or_b64 exec, exec, s[8:9]
	s_and_b64 s[4:5], s[4:5], exec
	s_or_saveexec_b64 s[6:7], s[6:7]
	v_mov_b32_e32 v2, s10
	s_xor_b64 exec, exec, s[6:7]
	s_cbranch_execz .LBB48_226
.LBB48_2276:
	v_mov_b32_e32 v2, 0
	v_cmp_ne_u16_sdwa s[8:9], v9, v2 src0_sel:BYTE_0 src1_sel:DWORD
	s_andn2_b64 s[4:5], s[4:5], exec
	s_and_b64 s[8:9], s[8:9], exec
	s_or_b64 s[4:5], s[4:5], s[8:9]
	s_or_b64 exec, exec, s[6:7]
	s_and_saveexec_b64 s[6:7], s[4:5]
	s_cbranch_execnz .LBB48_227
	s_branch .LBB48_228
.LBB48_2277:
	s_movk_i32 s4, 0x80
	v_cmp_eq_u16_sdwa s[12:13], v5, s4 src0_sel:BYTE_0 src1_sel:DWORD
	s_mov_b64 s[4:5], -1
                                        ; implicit-def: $sgpr10
	s_and_saveexec_b64 s[8:9], s[12:13]
; %bb.2278:
	s_mov_b32 s10, 0x7f800001
	s_xor_b64 s[4:5], exec, -1
; %bb.2279:
	s_or_b64 exec, exec, s[8:9]
	s_and_b64 s[4:5], s[4:5], exec
	s_or_saveexec_b64 s[6:7], s[6:7]
	v_mov_b32_e32 v3, s10
	s_xor_b64 exec, exec, s[6:7]
	s_cbranch_execz .LBB48_230
.LBB48_2280:
	v_mov_b32_e32 v3, 0
	v_cmp_ne_u16_sdwa s[8:9], v5, v3 src0_sel:BYTE_0 src1_sel:DWORD
	s_andn2_b64 s[4:5], s[4:5], exec
	s_and_b64 s[8:9], s[8:9], exec
	s_or_b64 s[4:5], s[4:5], s[8:9]
	s_or_b64 exec, exec, s[6:7]
	s_and_saveexec_b64 s[6:7], s[4:5]
	s_cbranch_execnz .LBB48_231
	s_branch .LBB48_232
.LBB48_2281:
	s_movk_i32 s4, 0x80
	v_cmp_eq_u16_sdwa s[12:13], v3, s4 src0_sel:BYTE_0 src1_sel:DWORD
	s_mov_b64 s[4:5], -1
                                        ; implicit-def: $sgpr10
	s_and_saveexec_b64 s[8:9], s[12:13]
; %bb.2282:
	s_mov_b32 s10, 0x7f800001
	s_xor_b64 s[4:5], exec, -1
; %bb.2283:
	s_or_b64 exec, exec, s[8:9]
	s_and_b64 s[4:5], s[4:5], exec
	s_or_saveexec_b64 s[6:7], s[6:7]
	v_mov_b32_e32 v2, s10
	s_xor_b64 exec, exec, s[6:7]
	s_cbranch_execz .LBB48_234
.LBB48_2284:
	v_mov_b32_e32 v2, 0
	v_cmp_ne_u16_sdwa s[8:9], v3, v2 src0_sel:BYTE_0 src1_sel:DWORD
	s_andn2_b64 s[4:5], s[4:5], exec
	s_and_b64 s[8:9], s[8:9], exec
	s_or_b64 s[4:5], s[4:5], s[8:9]
	s_or_b64 exec, exec, s[6:7]
	s_and_saveexec_b64 s[6:7], s[4:5]
	s_cbranch_execnz .LBB48_235
	s_branch .LBB48_236
.LBB48_2285:
	s_movk_i32 s4, 0x80
	v_cmp_eq_u16_sdwa s[12:13], v3, s4 src0_sel:BYTE_0 src1_sel:DWORD
	s_mov_b64 s[4:5], -1
                                        ; implicit-def: $sgpr10
	s_and_saveexec_b64 s[8:9], s[12:13]
; %bb.2286:
	s_mov_b32 s10, 0x7f800001
	s_xor_b64 s[4:5], exec, -1
; %bb.2287:
	s_or_b64 exec, exec, s[8:9]
	s_and_b64 s[4:5], s[4:5], exec
	s_or_saveexec_b64 s[6:7], s[6:7]
	v_mov_b32_e32 v4, s10
	s_xor_b64 exec, exec, s[6:7]
	s_cbranch_execz .LBB48_238
.LBB48_2288:
	v_mov_b32_e32 v4, 0
	v_cmp_ne_u16_sdwa s[8:9], v3, v4 src0_sel:BYTE_0 src1_sel:DWORD
	s_andn2_b64 s[4:5], s[4:5], exec
	s_and_b64 s[8:9], s[8:9], exec
	s_or_b64 s[4:5], s[4:5], s[8:9]
	s_or_b64 exec, exec, s[6:7]
	s_and_saveexec_b64 s[6:7], s[4:5]
	s_cbranch_execnz .LBB48_239
	s_branch .LBB48_240
.LBB48_2289:
	s_movk_i32 s4, 0x80
	v_cmp_eq_u16_e32 vcc, s4, v3
	s_mov_b64 s[4:5], -1
                                        ; implicit-def: $sgpr10
	s_and_saveexec_b64 s[8:9], vcc
; %bb.2290:
	s_mov_b32 s10, 0x7f800001
	s_xor_b64 s[4:5], exec, -1
; %bb.2291:
	s_or_b64 exec, exec, s[8:9]
	s_and_b64 s[4:5], s[4:5], exec
                                        ; implicit-def: $vgpr3
	s_or_saveexec_b64 s[6:7], s[6:7]
	v_mov_b32_e32 v2, s10
	s_xor_b64 exec, exec, s[6:7]
	s_cbranch_execz .LBB48_242
.LBB48_2292:
	v_cmp_ne_u16_e32 vcc, 0, v3
	s_andn2_b64 s[4:5], s[4:5], exec
	s_and_b64 s[8:9], vcc, exec
	v_mov_b32_e32 v2, 0
	s_or_b64 s[4:5], s[4:5], s[8:9]
	s_or_b64 exec, exec, s[6:7]
	s_and_saveexec_b64 s[6:7], s[4:5]
	s_cbranch_execnz .LBB48_243
	s_branch .LBB48_244
.LBB48_2293:
	s_movk_i32 s4, 0x80
	v_cmp_eq_u16_e32 vcc, s4, v3
	s_mov_b64 s[4:5], -1
                                        ; implicit-def: $sgpr10
	s_and_saveexec_b64 s[8:9], vcc
; %bb.2294:
	s_mov_b32 s10, 0x7f800001
	s_xor_b64 s[4:5], exec, -1
; %bb.2295:
	s_or_b64 exec, exec, s[8:9]
	s_and_b64 s[4:5], s[4:5], exec
                                        ; implicit-def: $vgpr3
	s_or_saveexec_b64 s[6:7], s[6:7]
	v_mov_b32_e32 v4, s10
	s_xor_b64 exec, exec, s[6:7]
	s_cbranch_execz .LBB48_246
.LBB48_2296:
	v_cmp_ne_u16_e32 vcc, 0, v3
	s_andn2_b64 s[4:5], s[4:5], exec
	s_and_b64 s[8:9], vcc, exec
	v_mov_b32_e32 v4, 0
	s_or_b64 s[4:5], s[4:5], s[8:9]
	s_or_b64 exec, exec, s[6:7]
	s_and_saveexec_b64 s[6:7], s[4:5]
	s_cbranch_execnz .LBB48_247
	s_branch .LBB48_248
.LBB48_2297:
	s_movk_i32 s4, 0x80
	v_cmp_eq_u16_sdwa s[12:13], v9, s4 src0_sel:BYTE_3 src1_sel:DWORD
	s_mov_b64 s[4:5], -1
                                        ; implicit-def: $sgpr10
	s_and_saveexec_b64 s[8:9], s[12:13]
; %bb.2298:
	s_mov_b32 s10, 0x7f800001
	s_xor_b64 s[4:5], exec, -1
; %bb.2299:
	s_or_b64 exec, exec, s[8:9]
	s_and_b64 s[4:5], s[4:5], exec
	s_or_saveexec_b64 s[6:7], s[6:7]
	v_mov_b32_e32 v2, s10
	s_xor_b64 exec, exec, s[6:7]
	s_cbranch_execz .LBB48_250
.LBB48_2300:
	v_mov_b32_e32 v2, 0
	v_cmp_ne_u16_sdwa s[8:9], v9, v2 src0_sel:BYTE_3 src1_sel:DWORD
	s_andn2_b64 s[4:5], s[4:5], exec
	s_and_b64 s[8:9], s[8:9], exec
	s_or_b64 s[4:5], s[4:5], s[8:9]
	s_or_b64 exec, exec, s[6:7]
	s_and_saveexec_b64 s[6:7], s[4:5]
	s_cbranch_execnz .LBB48_251
	s_branch .LBB48_252
.LBB48_2301:
	s_movk_i32 s4, 0x80
	v_cmp_eq_u16_sdwa s[12:13], v5, s4 src0_sel:BYTE_3 src1_sel:DWORD
	s_mov_b64 s[4:5], -1
                                        ; implicit-def: $sgpr10
	s_and_saveexec_b64 s[8:9], s[12:13]
; %bb.2302:
	s_mov_b32 s10, 0x7f800001
	s_xor_b64 s[4:5], exec, -1
; %bb.2303:
	s_or_b64 exec, exec, s[8:9]
	s_and_b64 s[4:5], s[4:5], exec
	s_or_saveexec_b64 s[6:7], s[6:7]
	v_mov_b32_e32 v3, s10
	s_xor_b64 exec, exec, s[6:7]
	s_cbranch_execz .LBB48_254
.LBB48_2304:
	v_mov_b32_e32 v3, 0
	v_cmp_ne_u16_sdwa s[8:9], v5, v3 src0_sel:BYTE_3 src1_sel:DWORD
	s_andn2_b64 s[4:5], s[4:5], exec
	s_and_b64 s[8:9], s[8:9], exec
	s_or_b64 s[4:5], s[4:5], s[8:9]
	s_or_b64 exec, exec, s[6:7]
	s_and_saveexec_b64 s[6:7], s[4:5]
	s_cbranch_execnz .LBB48_255
	s_branch .LBB48_256
.LBB48_2305:
	s_movk_i32 s4, 0x80
	v_cmp_eq_u16_sdwa s[12:13], v14, s4 src0_sel:BYTE_0 src1_sel:DWORD
	s_mov_b64 s[4:5], -1
                                        ; implicit-def: $sgpr10
	s_and_saveexec_b64 s[8:9], s[12:13]
; %bb.2306:
	s_mov_b32 s10, 0x7f800001
	s_xor_b64 s[4:5], exec, -1
; %bb.2307:
	s_or_b64 exec, exec, s[8:9]
	s_and_b64 s[4:5], s[4:5], exec
	s_or_saveexec_b64 s[6:7], s[6:7]
	v_mov_b32_e32 v20, s10
	s_xor_b64 exec, exec, s[6:7]
	s_cbranch_execz .LBB48_258
.LBB48_2308:
	v_mov_b32_e32 v20, 0
	v_cmp_ne_u16_sdwa s[8:9], v14, v20 src0_sel:BYTE_0 src1_sel:DWORD
	s_andn2_b64 s[4:5], s[4:5], exec
	s_and_b64 s[8:9], s[8:9], exec
	s_or_b64 s[4:5], s[4:5], s[8:9]
	s_or_b64 exec, exec, s[6:7]
	s_and_saveexec_b64 s[6:7], s[4:5]
	s_cbranch_execnz .LBB48_259
	s_branch .LBB48_260
.LBB48_2309:
	s_movk_i32 s4, 0x80
	v_cmp_eq_u16_sdwa s[12:13], v10, s4 src0_sel:BYTE_0 src1_sel:DWORD
	s_mov_b64 s[4:5], -1
                                        ; implicit-def: $sgpr10
	s_and_saveexec_b64 s[8:9], s[12:13]
; %bb.2310:
	s_mov_b32 s10, 0x7f800001
	s_xor_b64 s[4:5], exec, -1
; %bb.2311:
	s_or_b64 exec, exec, s[8:9]
	s_and_b64 s[4:5], s[4:5], exec
	s_or_saveexec_b64 s[6:7], s[6:7]
	v_mov_b32_e32 v21, s10
	s_xor_b64 exec, exec, s[6:7]
	s_cbranch_execz .LBB48_262
.LBB48_2312:
	v_mov_b32_e32 v21, 0
	v_cmp_ne_u16_sdwa s[8:9], v10, v21 src0_sel:BYTE_0 src1_sel:DWORD
	s_andn2_b64 s[4:5], s[4:5], exec
	s_and_b64 s[8:9], s[8:9], exec
	s_or_b64 s[4:5], s[4:5], s[8:9]
	s_or_b64 exec, exec, s[6:7]
	s_and_saveexec_b64 s[6:7], s[4:5]
	s_cbranch_execnz .LBB48_263
	s_branch .LBB48_264
.LBB48_2313:
	s_movk_i32 s4, 0x80
	v_cmp_eq_u16_sdwa s[12:13], v21, s4 src0_sel:BYTE_0 src1_sel:DWORD
	s_mov_b64 s[4:5], -1
                                        ; implicit-def: $sgpr10
	s_and_saveexec_b64 s[8:9], s[12:13]
; %bb.2314:
	s_mov_b32 s10, 0x7f800001
	s_xor_b64 s[4:5], exec, -1
; %bb.2315:
	s_or_b64 exec, exec, s[8:9]
	s_and_b64 s[4:5], s[4:5], exec
	s_or_saveexec_b64 s[6:7], s[6:7]
	v_mov_b32_e32 v20, s10
	s_xor_b64 exec, exec, s[6:7]
	s_cbranch_execz .LBB48_266
.LBB48_2316:
	v_mov_b32_e32 v20, 0
	v_cmp_ne_u16_sdwa s[8:9], v21, v20 src0_sel:BYTE_0 src1_sel:DWORD
	s_andn2_b64 s[4:5], s[4:5], exec
	s_and_b64 s[8:9], s[8:9], exec
	s_or_b64 s[4:5], s[4:5], s[8:9]
	s_or_b64 exec, exec, s[6:7]
	s_and_saveexec_b64 s[6:7], s[4:5]
	s_cbranch_execnz .LBB48_267
	s_branch .LBB48_268
.LBB48_2317:
	s_movk_i32 s4, 0x80
	v_cmp_eq_u16_sdwa s[12:13], v21, s4 src0_sel:BYTE_0 src1_sel:DWORD
	s_mov_b64 s[4:5], -1
                                        ; implicit-def: $sgpr10
	s_and_saveexec_b64 s[8:9], s[12:13]
; %bb.2318:
	s_mov_b32 s10, 0x7f800001
	s_xor_b64 s[4:5], exec, -1
; %bb.2319:
	s_or_b64 exec, exec, s[8:9]
	s_and_b64 s[4:5], s[4:5], exec
	s_or_saveexec_b64 s[6:7], s[6:7]
	v_mov_b32_e32 v22, s10
	s_xor_b64 exec, exec, s[6:7]
	s_cbranch_execz .LBB48_270
.LBB48_2320:
	v_mov_b32_e32 v22, 0
	v_cmp_ne_u16_sdwa s[8:9], v21, v22 src0_sel:BYTE_0 src1_sel:DWORD
	s_andn2_b64 s[4:5], s[4:5], exec
	s_and_b64 s[8:9], s[8:9], exec
	s_or_b64 s[4:5], s[4:5], s[8:9]
	s_or_b64 exec, exec, s[6:7]
	s_and_saveexec_b64 s[6:7], s[4:5]
	s_cbranch_execnz .LBB48_271
	s_branch .LBB48_272
.LBB48_2321:
	s_movk_i32 s4, 0x80
	v_cmp_eq_u16_e32 vcc, s4, v21
	s_mov_b64 s[4:5], -1
                                        ; implicit-def: $sgpr10
	s_and_saveexec_b64 s[8:9], vcc
; %bb.2322:
	s_mov_b32 s10, 0x7f800001
	s_xor_b64 s[4:5], exec, -1
; %bb.2323:
	s_or_b64 exec, exec, s[8:9]
	s_and_b64 s[4:5], s[4:5], exec
                                        ; implicit-def: $vgpr21
	s_or_saveexec_b64 s[6:7], s[6:7]
	v_mov_b32_e32 v20, s10
	s_xor_b64 exec, exec, s[6:7]
	s_cbranch_execz .LBB48_274
.LBB48_2324:
	v_cmp_ne_u16_e32 vcc, 0, v21
	s_andn2_b64 s[4:5], s[4:5], exec
	s_and_b64 s[8:9], vcc, exec
	v_mov_b32_e32 v20, 0
	s_or_b64 s[4:5], s[4:5], s[8:9]
	s_or_b64 exec, exec, s[6:7]
	s_and_saveexec_b64 s[6:7], s[4:5]
	s_cbranch_execnz .LBB48_275
	s_branch .LBB48_276
.LBB48_2325:
	s_movk_i32 s4, 0x80
	v_cmp_eq_u16_e32 vcc, s4, v21
	s_mov_b64 s[4:5], -1
                                        ; implicit-def: $sgpr10
	s_and_saveexec_b64 s[8:9], vcc
; %bb.2326:
	s_mov_b32 s10, 0x7f800001
	s_xor_b64 s[4:5], exec, -1
; %bb.2327:
	s_or_b64 exec, exec, s[8:9]
	s_and_b64 s[4:5], s[4:5], exec
                                        ; implicit-def: $vgpr21
	s_or_saveexec_b64 s[6:7], s[6:7]
	v_mov_b32_e32 v22, s10
	s_xor_b64 exec, exec, s[6:7]
	s_cbranch_execz .LBB48_278
.LBB48_2328:
	v_cmp_ne_u16_e32 vcc, 0, v21
	s_andn2_b64 s[4:5], s[4:5], exec
	s_and_b64 s[8:9], vcc, exec
	v_mov_b32_e32 v22, 0
	s_or_b64 s[4:5], s[4:5], s[8:9]
	s_or_b64 exec, exec, s[6:7]
	s_and_saveexec_b64 s[6:7], s[4:5]
	s_cbranch_execnz .LBB48_279
	s_branch .LBB48_280
.LBB48_2329:
	s_movk_i32 s4, 0x80
	v_cmp_eq_u16_sdwa s[12:13], v14, s4 src0_sel:BYTE_3 src1_sel:DWORD
	s_mov_b64 s[4:5], -1
                                        ; implicit-def: $sgpr10
	s_and_saveexec_b64 s[8:9], s[12:13]
; %bb.2330:
	s_mov_b32 s10, 0x7f800001
	s_xor_b64 s[4:5], exec, -1
; %bb.2331:
	s_or_b64 exec, exec, s[8:9]
	s_and_b64 s[4:5], s[4:5], exec
	s_or_saveexec_b64 s[6:7], s[6:7]
	v_mov_b32_e32 v20, s10
	s_xor_b64 exec, exec, s[6:7]
	s_cbranch_execz .LBB48_282
.LBB48_2332:
	v_mov_b32_e32 v20, 0
	v_cmp_ne_u16_sdwa s[8:9], v14, v20 src0_sel:BYTE_3 src1_sel:DWORD
	s_andn2_b64 s[4:5], s[4:5], exec
	s_and_b64 s[8:9], s[8:9], exec
	s_or_b64 s[4:5], s[4:5], s[8:9]
	s_or_b64 exec, exec, s[6:7]
	s_and_saveexec_b64 s[6:7], s[4:5]
	s_cbranch_execnz .LBB48_283
	s_branch .LBB48_284
.LBB48_2333:
	s_movk_i32 s4, 0x80
	v_cmp_eq_u16_sdwa s[12:13], v10, s4 src0_sel:BYTE_3 src1_sel:DWORD
	s_mov_b64 s[4:5], -1
                                        ; implicit-def: $sgpr10
	s_and_saveexec_b64 s[8:9], s[12:13]
; %bb.2334:
	s_mov_b32 s10, 0x7f800001
	s_xor_b64 s[4:5], exec, -1
; %bb.2335:
	s_or_b64 exec, exec, s[8:9]
	s_and_b64 s[4:5], s[4:5], exec
	s_or_saveexec_b64 s[6:7], s[6:7]
	v_mov_b32_e32 v14, s10
	s_xor_b64 exec, exec, s[6:7]
	s_cbranch_execz .LBB48_286
.LBB48_2336:
	v_mov_b32_e32 v14, 0
	v_cmp_ne_u16_sdwa s[8:9], v10, v14 src0_sel:BYTE_3 src1_sel:DWORD
	s_andn2_b64 s[4:5], s[4:5], exec
	s_and_b64 s[8:9], s[8:9], exec
	s_or_b64 s[4:5], s[4:5], s[8:9]
	s_or_b64 exec, exec, s[6:7]
	s_and_saveexec_b64 s[6:7], s[4:5]
	s_cbranch_execnz .LBB48_287
	s_branch .LBB48_288
.LBB48_2337:
	s_movk_i32 s4, 0x80
	v_cmp_eq_u16_sdwa s[12:13], v15, s4 src0_sel:BYTE_0 src1_sel:DWORD
	s_mov_b64 s[4:5], -1
                                        ; implicit-def: $sgpr10
	s_and_saveexec_b64 s[8:9], s[12:13]
; %bb.2338:
	s_mov_b32 s10, 0x7f800001
	s_xor_b64 s[4:5], exec, -1
; %bb.2339:
	s_or_b64 exec, exec, s[8:9]
	s_and_b64 s[4:5], s[4:5], exec
	s_or_saveexec_b64 s[6:7], s[6:7]
	v_mov_b32_e32 v10, s10
	s_xor_b64 exec, exec, s[6:7]
	s_cbranch_execz .LBB48_290
.LBB48_2340:
	v_mov_b32_e32 v10, 0
	v_cmp_ne_u16_sdwa s[8:9], v15, v10 src0_sel:BYTE_0 src1_sel:DWORD
	s_andn2_b64 s[4:5], s[4:5], exec
	s_and_b64 s[8:9], s[8:9], exec
	s_or_b64 s[4:5], s[4:5], s[8:9]
	s_or_b64 exec, exec, s[6:7]
	s_and_saveexec_b64 s[6:7], s[4:5]
	s_cbranch_execnz .LBB48_291
	s_branch .LBB48_292
.LBB48_2341:
	s_movk_i32 s4, 0x80
	v_cmp_eq_u16_sdwa s[12:13], v11, s4 src0_sel:BYTE_0 src1_sel:DWORD
	s_mov_b64 s[4:5], -1
                                        ; implicit-def: $sgpr10
	s_and_saveexec_b64 s[8:9], s[12:13]
; %bb.2342:
	s_mov_b32 s10, 0x7f800001
	s_xor_b64 s[4:5], exec, -1
; %bb.2343:
	s_or_b64 exec, exec, s[8:9]
	s_and_b64 s[4:5], s[4:5], exec
	s_or_saveexec_b64 s[6:7], s[6:7]
	v_mov_b32_e32 v14, s10
	s_xor_b64 exec, exec, s[6:7]
	s_cbranch_execz .LBB48_294
.LBB48_2344:
	v_mov_b32_e32 v14, 0
	v_cmp_ne_u16_sdwa s[8:9], v11, v14 src0_sel:BYTE_0 src1_sel:DWORD
	s_andn2_b64 s[4:5], s[4:5], exec
	s_and_b64 s[8:9], s[8:9], exec
	s_or_b64 s[4:5], s[4:5], s[8:9]
	s_or_b64 exec, exec, s[6:7]
	s_and_saveexec_b64 s[6:7], s[4:5]
	s_cbranch_execnz .LBB48_295
	s_branch .LBB48_296
.LBB48_2345:
	s_movk_i32 s4, 0x80
	v_cmp_eq_u16_sdwa s[12:13], v14, s4 src0_sel:BYTE_0 src1_sel:DWORD
	s_mov_b64 s[4:5], -1
                                        ; implicit-def: $sgpr10
	s_and_saveexec_b64 s[8:9], s[12:13]
; %bb.2346:
	s_mov_b32 s10, 0x7f800001
	s_xor_b64 s[4:5], exec, -1
; %bb.2347:
	s_or_b64 exec, exec, s[8:9]
	s_and_b64 s[4:5], s[4:5], exec
	s_or_saveexec_b64 s[6:7], s[6:7]
	v_mov_b32_e32 v10, s10
	s_xor_b64 exec, exec, s[6:7]
	s_cbranch_execz .LBB48_298
.LBB48_2348:
	v_mov_b32_e32 v10, 0
	v_cmp_ne_u16_sdwa s[8:9], v14, v10 src0_sel:BYTE_0 src1_sel:DWORD
	s_andn2_b64 s[4:5], s[4:5], exec
	s_and_b64 s[8:9], s[8:9], exec
	s_or_b64 s[4:5], s[4:5], s[8:9]
	s_or_b64 exec, exec, s[6:7]
	s_and_saveexec_b64 s[6:7], s[4:5]
	s_cbranch_execnz .LBB48_299
	s_branch .LBB48_300
.LBB48_2349:
	s_movk_i32 s4, 0x80
	v_cmp_eq_u16_sdwa s[12:13], v14, s4 src0_sel:BYTE_0 src1_sel:DWORD
	s_mov_b64 s[4:5], -1
                                        ; implicit-def: $sgpr10
	s_and_saveexec_b64 s[8:9], s[12:13]
; %bb.2350:
	s_mov_b32 s10, 0x7f800001
	s_xor_b64 s[4:5], exec, -1
; %bb.2351:
	s_or_b64 exec, exec, s[8:9]
	s_and_b64 s[4:5], s[4:5], exec
	s_or_saveexec_b64 s[6:7], s[6:7]
	v_mov_b32_e32 v20, s10
	s_xor_b64 exec, exec, s[6:7]
	s_cbranch_execz .LBB48_302
.LBB48_2352:
	v_mov_b32_e32 v20, 0
	v_cmp_ne_u16_sdwa s[8:9], v14, v20 src0_sel:BYTE_0 src1_sel:DWORD
	s_andn2_b64 s[4:5], s[4:5], exec
	s_and_b64 s[8:9], s[8:9], exec
	s_or_b64 s[4:5], s[4:5], s[8:9]
	s_or_b64 exec, exec, s[6:7]
	s_and_saveexec_b64 s[6:7], s[4:5]
	s_cbranch_execnz .LBB48_303
	s_branch .LBB48_304
.LBB48_2353:
	s_movk_i32 s4, 0x80
	v_cmp_eq_u16_e32 vcc, s4, v14
	s_mov_b64 s[4:5], -1
                                        ; implicit-def: $sgpr10
	s_and_saveexec_b64 s[8:9], vcc
; %bb.2354:
	s_mov_b32 s10, 0x7f800001
	s_xor_b64 s[4:5], exec, -1
; %bb.2355:
	s_or_b64 exec, exec, s[8:9]
	s_and_b64 s[4:5], s[4:5], exec
                                        ; implicit-def: $vgpr14
	s_or_saveexec_b64 s[6:7], s[6:7]
	v_mov_b32_e32 v10, s10
	s_xor_b64 exec, exec, s[6:7]
	s_cbranch_execz .LBB48_306
.LBB48_2356:
	v_cmp_ne_u16_e32 vcc, 0, v14
	s_andn2_b64 s[4:5], s[4:5], exec
	s_and_b64 s[8:9], vcc, exec
	v_mov_b32_e32 v10, 0
	s_or_b64 s[4:5], s[4:5], s[8:9]
	s_or_b64 exec, exec, s[6:7]
	s_and_saveexec_b64 s[6:7], s[4:5]
	s_cbranch_execnz .LBB48_307
	s_branch .LBB48_308
.LBB48_2357:
	s_movk_i32 s4, 0x80
	v_cmp_eq_u16_e32 vcc, s4, v14
	s_mov_b64 s[4:5], -1
                                        ; implicit-def: $sgpr10
	s_and_saveexec_b64 s[8:9], vcc
; %bb.2358:
	s_mov_b32 s10, 0x7f800001
	s_xor_b64 s[4:5], exec, -1
; %bb.2359:
	s_or_b64 exec, exec, s[8:9]
	s_and_b64 s[4:5], s[4:5], exec
                                        ; implicit-def: $vgpr14
	s_or_saveexec_b64 s[6:7], s[6:7]
	v_mov_b32_e32 v20, s10
	s_xor_b64 exec, exec, s[6:7]
	s_cbranch_execz .LBB48_310
.LBB48_2360:
	v_cmp_ne_u16_e32 vcc, 0, v14
	s_andn2_b64 s[4:5], s[4:5], exec
	s_and_b64 s[8:9], vcc, exec
	v_mov_b32_e32 v20, 0
	s_or_b64 s[4:5], s[4:5], s[8:9]
	s_or_b64 exec, exec, s[6:7]
	s_and_saveexec_b64 s[6:7], s[4:5]
	s_cbranch_execnz .LBB48_311
	s_branch .LBB48_312
.LBB48_2361:
	s_movk_i32 s4, 0x80
	v_cmp_eq_u16_sdwa s[12:13], v15, s4 src0_sel:BYTE_3 src1_sel:DWORD
	s_mov_b64 s[4:5], -1
                                        ; implicit-def: $sgpr10
	s_and_saveexec_b64 s[8:9], s[12:13]
; %bb.2362:
	s_mov_b32 s10, 0x7f800001
	s_xor_b64 s[4:5], exec, -1
; %bb.2363:
	s_or_b64 exec, exec, s[8:9]
	s_and_b64 s[4:5], s[4:5], exec
	s_or_saveexec_b64 s[6:7], s[6:7]
	v_mov_b32_e32 v10, s10
	s_xor_b64 exec, exec, s[6:7]
	s_cbranch_execz .LBB48_314
.LBB48_2364:
	v_mov_b32_e32 v10, 0
	v_cmp_ne_u16_sdwa s[8:9], v15, v10 src0_sel:BYTE_3 src1_sel:DWORD
	s_andn2_b64 s[4:5], s[4:5], exec
	s_and_b64 s[8:9], s[8:9], exec
	s_or_b64 s[4:5], s[4:5], s[8:9]
	s_or_b64 exec, exec, s[6:7]
	s_and_saveexec_b64 s[6:7], s[4:5]
	s_cbranch_execnz .LBB48_315
	s_branch .LBB48_316
.LBB48_2365:
	s_movk_i32 s4, 0x80
	v_cmp_eq_u16_sdwa s[12:13], v11, s4 src0_sel:BYTE_3 src1_sel:DWORD
	s_mov_b64 s[4:5], -1
                                        ; implicit-def: $sgpr10
	s_and_saveexec_b64 s[8:9], s[12:13]
; %bb.2366:
	s_mov_b32 s10, 0x7f800001
	s_xor_b64 s[4:5], exec, -1
; %bb.2367:
	s_or_b64 exec, exec, s[8:9]
	s_and_b64 s[4:5], s[4:5], exec
	s_or_saveexec_b64 s[6:7], s[6:7]
	v_mov_b32_e32 v14, s10
	s_xor_b64 exec, exec, s[6:7]
	s_cbranch_execz .LBB48_318
.LBB48_2368:
	v_mov_b32_e32 v14, 0
	v_cmp_ne_u16_sdwa s[8:9], v11, v14 src0_sel:BYTE_3 src1_sel:DWORD
	s_andn2_b64 s[4:5], s[4:5], exec
	s_and_b64 s[8:9], s[8:9], exec
	s_or_b64 s[4:5], s[4:5], s[8:9]
	s_or_b64 exec, exec, s[6:7]
	s_and_saveexec_b64 s[6:7], s[4:5]
	s_cbranch_execnz .LBB48_319
	s_branch .LBB48_320
.LBB48_2369:
	s_movk_i32 s4, 0x80
	v_cmp_eq_u16_sdwa s[12:13], v16, s4 src0_sel:BYTE_0 src1_sel:DWORD
	s_mov_b64 s[4:5], -1
                                        ; implicit-def: $sgpr10
	s_and_saveexec_b64 s[8:9], s[12:13]
; %bb.2370:
	s_mov_b32 s10, 0x7f800001
	s_xor_b64 s[4:5], exec, -1
; %bb.2371:
	s_or_b64 exec, exec, s[8:9]
	s_and_b64 s[4:5], s[4:5], exec
	s_or_saveexec_b64 s[6:7], s[6:7]
	v_mov_b32_e32 v10, s10
	s_xor_b64 exec, exec, s[6:7]
	s_cbranch_execz .LBB48_322
.LBB48_2372:
	v_mov_b32_e32 v10, 0
	v_cmp_ne_u16_sdwa s[8:9], v16, v10 src0_sel:BYTE_0 src1_sel:DWORD
	s_andn2_b64 s[4:5], s[4:5], exec
	s_and_b64 s[8:9], s[8:9], exec
	s_or_b64 s[4:5], s[4:5], s[8:9]
	s_or_b64 exec, exec, s[6:7]
	s_and_saveexec_b64 s[6:7], s[4:5]
	s_cbranch_execnz .LBB48_323
	s_branch .LBB48_324
.LBB48_2373:
	s_movk_i32 s4, 0x80
	v_cmp_eq_u16_sdwa s[12:13], v12, s4 src0_sel:BYTE_0 src1_sel:DWORD
	s_mov_b64 s[4:5], -1
                                        ; implicit-def: $sgpr10
	s_and_saveexec_b64 s[8:9], s[12:13]
; %bb.2374:
	s_mov_b32 s10, 0x7f800001
	s_xor_b64 s[4:5], exec, -1
; %bb.2375:
	s_or_b64 exec, exec, s[8:9]
	s_and_b64 s[4:5], s[4:5], exec
	s_or_saveexec_b64 s[6:7], s[6:7]
	v_mov_b32_e32 v11, s10
	s_xor_b64 exec, exec, s[6:7]
	s_cbranch_execz .LBB48_326
.LBB48_2376:
	v_mov_b32_e32 v11, 0
	v_cmp_ne_u16_sdwa s[8:9], v12, v11 src0_sel:BYTE_0 src1_sel:DWORD
	s_andn2_b64 s[4:5], s[4:5], exec
	s_and_b64 s[8:9], s[8:9], exec
	s_or_b64 s[4:5], s[4:5], s[8:9]
	s_or_b64 exec, exec, s[6:7]
	s_and_saveexec_b64 s[6:7], s[4:5]
	s_cbranch_execnz .LBB48_327
	s_branch .LBB48_328
.LBB48_2377:
	s_movk_i32 s4, 0x80
	v_cmp_eq_u16_sdwa s[12:13], v11, s4 src0_sel:BYTE_0 src1_sel:DWORD
	s_mov_b64 s[4:5], -1
                                        ; implicit-def: $sgpr10
	s_and_saveexec_b64 s[8:9], s[12:13]
; %bb.2378:
	s_mov_b32 s10, 0x7f800001
	s_xor_b64 s[4:5], exec, -1
; %bb.2379:
	s_or_b64 exec, exec, s[8:9]
	s_and_b64 s[4:5], s[4:5], exec
	s_or_saveexec_b64 s[6:7], s[6:7]
	v_mov_b32_e32 v10, s10
	s_xor_b64 exec, exec, s[6:7]
	s_cbranch_execz .LBB48_330
.LBB48_2380:
	v_mov_b32_e32 v10, 0
	v_cmp_ne_u16_sdwa s[8:9], v11, v10 src0_sel:BYTE_0 src1_sel:DWORD
	s_andn2_b64 s[4:5], s[4:5], exec
	s_and_b64 s[8:9], s[8:9], exec
	s_or_b64 s[4:5], s[4:5], s[8:9]
	s_or_b64 exec, exec, s[6:7]
	s_and_saveexec_b64 s[6:7], s[4:5]
	s_cbranch_execnz .LBB48_331
	s_branch .LBB48_332
.LBB48_2381:
	s_movk_i32 s4, 0x80
	v_cmp_eq_u16_sdwa s[12:13], v11, s4 src0_sel:BYTE_0 src1_sel:DWORD
	s_mov_b64 s[4:5], -1
                                        ; implicit-def: $sgpr10
	s_and_saveexec_b64 s[8:9], s[12:13]
; %bb.2382:
	s_mov_b32 s10, 0x7f800001
	s_xor_b64 s[4:5], exec, -1
; %bb.2383:
	s_or_b64 exec, exec, s[8:9]
	s_and_b64 s[4:5], s[4:5], exec
	s_or_saveexec_b64 s[6:7], s[6:7]
	v_mov_b32_e32 v14, s10
	s_xor_b64 exec, exec, s[6:7]
	s_cbranch_execz .LBB48_334
.LBB48_2384:
	v_mov_b32_e32 v14, 0
	v_cmp_ne_u16_sdwa s[8:9], v11, v14 src0_sel:BYTE_0 src1_sel:DWORD
	s_andn2_b64 s[4:5], s[4:5], exec
	s_and_b64 s[8:9], s[8:9], exec
	s_or_b64 s[4:5], s[4:5], s[8:9]
	s_or_b64 exec, exec, s[6:7]
	s_and_saveexec_b64 s[6:7], s[4:5]
	s_cbranch_execnz .LBB48_335
	s_branch .LBB48_336
.LBB48_2385:
	s_movk_i32 s4, 0x80
	v_cmp_eq_u16_e32 vcc, s4, v11
	s_mov_b64 s[4:5], -1
                                        ; implicit-def: $sgpr10
	s_and_saveexec_b64 s[8:9], vcc
; %bb.2386:
	s_mov_b32 s10, 0x7f800001
	s_xor_b64 s[4:5], exec, -1
; %bb.2387:
	s_or_b64 exec, exec, s[8:9]
	s_and_b64 s[4:5], s[4:5], exec
                                        ; implicit-def: $vgpr11
	s_or_saveexec_b64 s[6:7], s[6:7]
	v_mov_b32_e32 v10, s10
	s_xor_b64 exec, exec, s[6:7]
	s_cbranch_execz .LBB48_338
.LBB48_2388:
	v_cmp_ne_u16_e32 vcc, 0, v11
	s_andn2_b64 s[4:5], s[4:5], exec
	s_and_b64 s[8:9], vcc, exec
	v_mov_b32_e32 v10, 0
	s_or_b64 s[4:5], s[4:5], s[8:9]
	s_or_b64 exec, exec, s[6:7]
	s_and_saveexec_b64 s[6:7], s[4:5]
	s_cbranch_execnz .LBB48_339
	s_branch .LBB48_340
.LBB48_2389:
	s_movk_i32 s4, 0x80
	v_cmp_eq_u16_e32 vcc, s4, v11
	s_mov_b64 s[4:5], -1
                                        ; implicit-def: $sgpr10
	s_and_saveexec_b64 s[8:9], vcc
; %bb.2390:
	s_mov_b32 s10, 0x7f800001
	s_xor_b64 s[4:5], exec, -1
; %bb.2391:
	s_or_b64 exec, exec, s[8:9]
	s_and_b64 s[4:5], s[4:5], exec
                                        ; implicit-def: $vgpr11
	s_or_saveexec_b64 s[6:7], s[6:7]
	v_mov_b32_e32 v14, s10
	s_xor_b64 exec, exec, s[6:7]
	s_cbranch_execz .LBB48_342
.LBB48_2392:
	v_cmp_ne_u16_e32 vcc, 0, v11
	s_andn2_b64 s[4:5], s[4:5], exec
	s_and_b64 s[8:9], vcc, exec
	v_mov_b32_e32 v14, 0
	s_or_b64 s[4:5], s[4:5], s[8:9]
	s_or_b64 exec, exec, s[6:7]
	s_and_saveexec_b64 s[6:7], s[4:5]
	s_cbranch_execnz .LBB48_343
	s_branch .LBB48_344
.LBB48_2393:
	s_movk_i32 s4, 0x80
	v_cmp_eq_u16_sdwa s[12:13], v16, s4 src0_sel:BYTE_3 src1_sel:DWORD
	s_mov_b64 s[4:5], -1
                                        ; implicit-def: $sgpr10
	s_and_saveexec_b64 s[8:9], s[12:13]
; %bb.2394:
	s_mov_b32 s10, 0x7f800001
	s_xor_b64 s[4:5], exec, -1
; %bb.2395:
	s_or_b64 exec, exec, s[8:9]
	s_and_b64 s[4:5], s[4:5], exec
	s_or_saveexec_b64 s[6:7], s[6:7]
	v_mov_b32_e32 v10, s10
	s_xor_b64 exec, exec, s[6:7]
	s_cbranch_execz .LBB48_346
.LBB48_2396:
	v_mov_b32_e32 v10, 0
	v_cmp_ne_u16_sdwa s[8:9], v16, v10 src0_sel:BYTE_3 src1_sel:DWORD
	s_andn2_b64 s[4:5], s[4:5], exec
	s_and_b64 s[8:9], s[8:9], exec
	s_or_b64 s[4:5], s[4:5], s[8:9]
	s_or_b64 exec, exec, s[6:7]
	s_and_saveexec_b64 s[6:7], s[4:5]
	s_cbranch_execnz .LBB48_347
	s_branch .LBB48_348
.LBB48_2397:
	s_movk_i32 s4, 0x80
	v_cmp_eq_u16_sdwa s[12:13], v12, s4 src0_sel:BYTE_3 src1_sel:DWORD
	s_mov_b64 s[4:5], -1
                                        ; implicit-def: $sgpr10
	s_and_saveexec_b64 s[8:9], s[12:13]
; %bb.2398:
	s_mov_b32 s10, 0x7f800001
	s_xor_b64 s[4:5], exec, -1
; %bb.2399:
	s_or_b64 exec, exec, s[8:9]
	s_and_b64 s[4:5], s[4:5], exec
	s_or_saveexec_b64 s[6:7], s[6:7]
	v_mov_b32_e32 v11, s10
	s_xor_b64 exec, exec, s[6:7]
	s_cbranch_execz .LBB48_350
.LBB48_2400:
	v_mov_b32_e32 v11, 0
	v_cmp_ne_u16_sdwa s[8:9], v12, v11 src0_sel:BYTE_3 src1_sel:DWORD
	s_andn2_b64 s[4:5], s[4:5], exec
	s_and_b64 s[8:9], s[8:9], exec
	s_or_b64 s[4:5], s[4:5], s[8:9]
	s_or_b64 exec, exec, s[6:7]
	s_and_saveexec_b64 s[6:7], s[4:5]
	s_cbranch_execnz .LBB48_351
	s_branch .LBB48_352
.LBB48_2401:
	s_movk_i32 s4, 0x80
	v_cmp_eq_u16_sdwa s[12:13], v17, s4 src0_sel:BYTE_0 src1_sel:DWORD
	s_mov_b64 s[4:5], -1
                                        ; implicit-def: $sgpr10
	s_and_saveexec_b64 s[8:9], s[12:13]
; %bb.2402:
	s_mov_b32 s10, 0x7f800001
	s_xor_b64 s[4:5], exec, -1
; %bb.2403:
	s_or_b64 exec, exec, s[8:9]
	s_and_b64 s[4:5], s[4:5], exec
	s_or_saveexec_b64 s[6:7], s[6:7]
	v_mov_b32_e32 v10, s10
	s_xor_b64 exec, exec, s[6:7]
	s_cbranch_execz .LBB48_354
.LBB48_2404:
	v_mov_b32_e32 v10, 0
	v_cmp_ne_u16_sdwa s[8:9], v17, v10 src0_sel:BYTE_0 src1_sel:DWORD
	s_andn2_b64 s[4:5], s[4:5], exec
	s_and_b64 s[8:9], s[8:9], exec
	s_or_b64 s[4:5], s[4:5], s[8:9]
	s_or_b64 exec, exec, s[6:7]
	s_and_saveexec_b64 s[6:7], s[4:5]
	s_cbranch_execnz .LBB48_355
	s_branch .LBB48_356
.LBB48_2405:
	s_movk_i32 s4, 0x80
	v_cmp_eq_u16_sdwa s[12:13], v13, s4 src0_sel:BYTE_0 src1_sel:DWORD
	s_mov_b64 s[4:5], -1
                                        ; implicit-def: $sgpr10
	s_and_saveexec_b64 s[8:9], s[12:13]
; %bb.2406:
	s_mov_b32 s10, 0x7f800001
	s_xor_b64 s[4:5], exec, -1
; %bb.2407:
	s_or_b64 exec, exec, s[8:9]
	s_and_b64 s[4:5], s[4:5], exec
	s_or_saveexec_b64 s[6:7], s[6:7]
	v_mov_b32_e32 v11, s10
	s_xor_b64 exec, exec, s[6:7]
	s_cbranch_execz .LBB48_358
.LBB48_2408:
	v_mov_b32_e32 v11, 0
	v_cmp_ne_u16_sdwa s[8:9], v13, v11 src0_sel:BYTE_0 src1_sel:DWORD
	s_andn2_b64 s[4:5], s[4:5], exec
	s_and_b64 s[8:9], s[8:9], exec
	s_or_b64 s[4:5], s[4:5], s[8:9]
	s_or_b64 exec, exec, s[6:7]
	s_and_saveexec_b64 s[6:7], s[4:5]
	s_cbranch_execnz .LBB48_359
	s_branch .LBB48_360
.LBB48_2409:
	s_movk_i32 s4, 0x80
	v_cmp_eq_u16_sdwa s[12:13], v11, s4 src0_sel:BYTE_0 src1_sel:DWORD
	s_mov_b64 s[4:5], -1
                                        ; implicit-def: $sgpr10
	s_and_saveexec_b64 s[8:9], s[12:13]
; %bb.2410:
	s_mov_b32 s10, 0x7f800001
	s_xor_b64 s[4:5], exec, -1
; %bb.2411:
	s_or_b64 exec, exec, s[8:9]
	s_and_b64 s[4:5], s[4:5], exec
	s_or_saveexec_b64 s[6:7], s[6:7]
	v_mov_b32_e32 v10, s10
	s_xor_b64 exec, exec, s[6:7]
	s_cbranch_execz .LBB48_362
.LBB48_2412:
	v_mov_b32_e32 v10, 0
	v_cmp_ne_u16_sdwa s[8:9], v11, v10 src0_sel:BYTE_0 src1_sel:DWORD
	s_andn2_b64 s[4:5], s[4:5], exec
	s_and_b64 s[8:9], s[8:9], exec
	s_or_b64 s[4:5], s[4:5], s[8:9]
	s_or_b64 exec, exec, s[6:7]
	s_and_saveexec_b64 s[6:7], s[4:5]
	s_cbranch_execnz .LBB48_363
	s_branch .LBB48_364
.LBB48_2413:
	s_movk_i32 s4, 0x80
	v_cmp_eq_u16_sdwa s[12:13], v11, s4 src0_sel:BYTE_0 src1_sel:DWORD
	s_mov_b64 s[4:5], -1
                                        ; implicit-def: $sgpr10
	s_and_saveexec_b64 s[8:9], s[12:13]
; %bb.2414:
	s_mov_b32 s10, 0x7f800001
	s_xor_b64 s[4:5], exec, -1
; %bb.2415:
	s_or_b64 exec, exec, s[8:9]
	s_and_b64 s[4:5], s[4:5], exec
	s_or_saveexec_b64 s[6:7], s[6:7]
	v_mov_b32_e32 v12, s10
	s_xor_b64 exec, exec, s[6:7]
	s_cbranch_execz .LBB48_366
.LBB48_2416:
	v_mov_b32_e32 v12, 0
	v_cmp_ne_u16_sdwa s[8:9], v11, v12 src0_sel:BYTE_0 src1_sel:DWORD
	s_andn2_b64 s[4:5], s[4:5], exec
	s_and_b64 s[8:9], s[8:9], exec
	s_or_b64 s[4:5], s[4:5], s[8:9]
	s_or_b64 exec, exec, s[6:7]
	s_and_saveexec_b64 s[6:7], s[4:5]
	s_cbranch_execnz .LBB48_367
	s_branch .LBB48_368
.LBB48_2417:
	s_movk_i32 s4, 0x80
	v_cmp_eq_u16_e32 vcc, s4, v11
	s_mov_b64 s[4:5], -1
                                        ; implicit-def: $sgpr10
	s_and_saveexec_b64 s[8:9], vcc
; %bb.2418:
	s_mov_b32 s10, 0x7f800001
	s_xor_b64 s[4:5], exec, -1
; %bb.2419:
	s_or_b64 exec, exec, s[8:9]
	s_and_b64 s[4:5], s[4:5], exec
                                        ; implicit-def: $vgpr11
	s_or_saveexec_b64 s[6:7], s[6:7]
	v_mov_b32_e32 v10, s10
	s_xor_b64 exec, exec, s[6:7]
	s_cbranch_execz .LBB48_370
.LBB48_2420:
	v_cmp_ne_u16_e32 vcc, 0, v11
	s_andn2_b64 s[4:5], s[4:5], exec
	s_and_b64 s[8:9], vcc, exec
	v_mov_b32_e32 v10, 0
	s_or_b64 s[4:5], s[4:5], s[8:9]
	s_or_b64 exec, exec, s[6:7]
	s_and_saveexec_b64 s[6:7], s[4:5]
	s_cbranch_execnz .LBB48_371
	s_branch .LBB48_372
.LBB48_2421:
	s_movk_i32 s4, 0x80
	v_cmp_eq_u16_e32 vcc, s4, v11
	s_mov_b64 s[4:5], -1
                                        ; implicit-def: $sgpr10
	s_and_saveexec_b64 s[8:9], vcc
; %bb.2422:
	s_mov_b32 s10, 0x7f800001
	s_xor_b64 s[4:5], exec, -1
; %bb.2423:
	s_or_b64 exec, exec, s[8:9]
	s_and_b64 s[4:5], s[4:5], exec
                                        ; implicit-def: $vgpr11
	s_or_saveexec_b64 s[6:7], s[6:7]
	v_mov_b32_e32 v12, s10
	s_xor_b64 exec, exec, s[6:7]
	s_cbranch_execz .LBB48_374
.LBB48_2424:
	v_cmp_ne_u16_e32 vcc, 0, v11
	s_andn2_b64 s[4:5], s[4:5], exec
	s_and_b64 s[8:9], vcc, exec
	v_mov_b32_e32 v12, 0
	s_or_b64 s[4:5], s[4:5], s[8:9]
	s_or_b64 exec, exec, s[6:7]
	s_and_saveexec_b64 s[6:7], s[4:5]
	s_cbranch_execnz .LBB48_375
	s_branch .LBB48_376
.LBB48_2425:
	s_movk_i32 s4, 0x80
	v_cmp_eq_u16_sdwa s[12:13], v17, s4 src0_sel:BYTE_3 src1_sel:DWORD
	s_mov_b64 s[4:5], -1
                                        ; implicit-def: $sgpr10
	s_and_saveexec_b64 s[8:9], s[12:13]
; %bb.2426:
	s_mov_b32 s10, 0x7f800001
	s_xor_b64 s[4:5], exec, -1
; %bb.2427:
	s_or_b64 exec, exec, s[8:9]
	s_and_b64 s[4:5], s[4:5], exec
	s_or_saveexec_b64 s[6:7], s[6:7]
	v_mov_b32_e32 v10, s10
	s_xor_b64 exec, exec, s[6:7]
	s_cbranch_execz .LBB48_378
.LBB48_2428:
	v_mov_b32_e32 v10, 0
	v_cmp_ne_u16_sdwa s[8:9], v17, v10 src0_sel:BYTE_3 src1_sel:DWORD
	s_andn2_b64 s[4:5], s[4:5], exec
	s_and_b64 s[8:9], s[8:9], exec
	s_or_b64 s[4:5], s[4:5], s[8:9]
	s_or_b64 exec, exec, s[6:7]
	s_and_saveexec_b64 s[6:7], s[4:5]
	s_cbranch_execnz .LBB48_379
	s_branch .LBB48_380
.LBB48_2429:
	s_movk_i32 s4, 0x80
	v_cmp_eq_u16_sdwa s[12:13], v13, s4 src0_sel:BYTE_3 src1_sel:DWORD
	s_mov_b64 s[4:5], -1
                                        ; implicit-def: $sgpr10
	s_and_saveexec_b64 s[8:9], s[12:13]
; %bb.2430:
	s_mov_b32 s10, 0x7f800001
	s_xor_b64 s[4:5], exec, -1
; %bb.2431:
	s_or_b64 exec, exec, s[8:9]
	s_and_b64 s[4:5], s[4:5], exec
	s_or_saveexec_b64 s[6:7], s[6:7]
	v_mov_b32_e32 v11, s10
	s_xor_b64 exec, exec, s[6:7]
	s_cbranch_execz .LBB48_382
.LBB48_2432:
	v_mov_b32_e32 v11, 0
	v_cmp_ne_u16_sdwa s[8:9], v13, v11 src0_sel:BYTE_3 src1_sel:DWORD
	s_andn2_b64 s[4:5], s[4:5], exec
	s_and_b64 s[8:9], s[8:9], exec
	s_or_b64 s[4:5], s[4:5], s[8:9]
	s_or_b64 exec, exec, s[6:7]
	s_and_saveexec_b64 s[6:7], s[4:5]
	s_cbranch_execnz .LBB48_383
	s_branch .LBB48_384
.LBB48_2433:
	s_movk_i32 s4, 0x80
	v_cmp_eq_u16_sdwa s[12:13], v6, s4 src0_sel:BYTE_0 src1_sel:DWORD
	s_mov_b64 s[4:5], -1
                                        ; implicit-def: $sgpr10
	s_and_saveexec_b64 s[8:9], s[12:13]
; %bb.2434:
	s_mov_b32 s10, 0x7f800001
	s_xor_b64 s[4:5], exec, -1
; %bb.2435:
	s_or_b64 exec, exec, s[8:9]
	s_and_b64 s[4:5], s[4:5], exec
	s_or_saveexec_b64 s[6:7], s[6:7]
	v_mov_b32_e32 v10, s10
	s_xor_b64 exec, exec, s[6:7]
	s_cbranch_execz .LBB48_386
.LBB48_2436:
	v_mov_b32_e32 v10, 0
	v_cmp_ne_u16_sdwa s[8:9], v6, v10 src0_sel:BYTE_0 src1_sel:DWORD
	s_andn2_b64 s[4:5], s[4:5], exec
	s_and_b64 s[8:9], s[8:9], exec
	s_or_b64 s[4:5], s[4:5], s[8:9]
	s_or_b64 exec, exec, s[6:7]
	s_and_saveexec_b64 s[6:7], s[4:5]
	s_cbranch_execnz .LBB48_387
	s_branch .LBB48_388
.LBB48_2437:
	s_movk_i32 s4, 0x80
	v_cmp_eq_u16_sdwa s[12:13], v2, s4 src0_sel:BYTE_0 src1_sel:DWORD
	s_mov_b64 s[4:5], -1
                                        ; implicit-def: $sgpr10
	s_and_saveexec_b64 s[8:9], s[12:13]
; %bb.2438:
	s_mov_b32 s10, 0x7f800001
	s_xor_b64 s[4:5], exec, -1
; %bb.2439:
	s_or_b64 exec, exec, s[8:9]
	s_and_b64 s[4:5], s[4:5], exec
	s_or_saveexec_b64 s[6:7], s[6:7]
	v_mov_b32_e32 v11, s10
	s_xor_b64 exec, exec, s[6:7]
	s_cbranch_execz .LBB48_390
.LBB48_2440:
	v_mov_b32_e32 v11, 0
	v_cmp_ne_u16_sdwa s[8:9], v2, v11 src0_sel:BYTE_0 src1_sel:DWORD
	s_andn2_b64 s[4:5], s[4:5], exec
	s_and_b64 s[8:9], s[8:9], exec
	s_or_b64 s[4:5], s[4:5], s[8:9]
	s_or_b64 exec, exec, s[6:7]
	s_and_saveexec_b64 s[6:7], s[4:5]
	s_cbranch_execnz .LBB48_391
	s_branch .LBB48_392
.LBB48_2441:
	s_movk_i32 s4, 0x80
	v_cmp_eq_u16_sdwa s[12:13], v11, s4 src0_sel:BYTE_0 src1_sel:DWORD
	s_mov_b64 s[4:5], -1
                                        ; implicit-def: $sgpr10
	s_and_saveexec_b64 s[8:9], s[12:13]
; %bb.2442:
	s_mov_b32 s10, 0x7f800001
	s_xor_b64 s[4:5], exec, -1
; %bb.2443:
	s_or_b64 exec, exec, s[8:9]
	s_and_b64 s[4:5], s[4:5], exec
	s_or_saveexec_b64 s[6:7], s[6:7]
	v_mov_b32_e32 v10, s10
	s_xor_b64 exec, exec, s[6:7]
	s_cbranch_execz .LBB48_394
.LBB48_2444:
	v_mov_b32_e32 v10, 0
	v_cmp_ne_u16_sdwa s[8:9], v11, v10 src0_sel:BYTE_0 src1_sel:DWORD
	s_andn2_b64 s[4:5], s[4:5], exec
	s_and_b64 s[8:9], s[8:9], exec
	s_or_b64 s[4:5], s[4:5], s[8:9]
	s_or_b64 exec, exec, s[6:7]
	s_and_saveexec_b64 s[6:7], s[4:5]
	s_cbranch_execnz .LBB48_395
	s_branch .LBB48_396
.LBB48_2445:
	s_movk_i32 s4, 0x80
	v_cmp_eq_u16_sdwa s[12:13], v11, s4 src0_sel:BYTE_0 src1_sel:DWORD
	s_mov_b64 s[4:5], -1
                                        ; implicit-def: $sgpr10
	s_and_saveexec_b64 s[8:9], s[12:13]
; %bb.2446:
	s_mov_b32 s10, 0x7f800001
	s_xor_b64 s[4:5], exec, -1
; %bb.2447:
	s_or_b64 exec, exec, s[8:9]
	s_and_b64 s[4:5], s[4:5], exec
	s_or_saveexec_b64 s[6:7], s[6:7]
	v_mov_b32_e32 v12, s10
	s_xor_b64 exec, exec, s[6:7]
	s_cbranch_execz .LBB48_398
.LBB48_2448:
	v_mov_b32_e32 v12, 0
	v_cmp_ne_u16_sdwa s[8:9], v11, v12 src0_sel:BYTE_0 src1_sel:DWORD
	s_andn2_b64 s[4:5], s[4:5], exec
	s_and_b64 s[8:9], s[8:9], exec
	s_or_b64 s[4:5], s[4:5], s[8:9]
	s_or_b64 exec, exec, s[6:7]
	s_and_saveexec_b64 s[6:7], s[4:5]
	s_cbranch_execnz .LBB48_399
	s_branch .LBB48_400
.LBB48_2449:
	s_movk_i32 s4, 0x80
	v_cmp_eq_u16_e32 vcc, s4, v11
	s_mov_b64 s[4:5], -1
                                        ; implicit-def: $sgpr10
	s_and_saveexec_b64 s[8:9], vcc
; %bb.2450:
	s_mov_b32 s10, 0x7f800001
	s_xor_b64 s[4:5], exec, -1
; %bb.2451:
	s_or_b64 exec, exec, s[8:9]
	s_and_b64 s[4:5], s[4:5], exec
                                        ; implicit-def: $vgpr11
	s_or_saveexec_b64 s[6:7], s[6:7]
	v_mov_b32_e32 v10, s10
	s_xor_b64 exec, exec, s[6:7]
	s_cbranch_execz .LBB48_402
.LBB48_2452:
	v_cmp_ne_u16_e32 vcc, 0, v11
	s_andn2_b64 s[4:5], s[4:5], exec
	s_and_b64 s[8:9], vcc, exec
	v_mov_b32_e32 v10, 0
	s_or_b64 s[4:5], s[4:5], s[8:9]
	s_or_b64 exec, exec, s[6:7]
	s_and_saveexec_b64 s[6:7], s[4:5]
	s_cbranch_execnz .LBB48_403
	s_branch .LBB48_404
.LBB48_2453:
	s_movk_i32 s4, 0x80
	v_cmp_eq_u16_e32 vcc, s4, v11
	s_mov_b64 s[4:5], -1
                                        ; implicit-def: $sgpr10
	s_and_saveexec_b64 s[8:9], vcc
; %bb.2454:
	s_mov_b32 s10, 0x7f800001
	s_xor_b64 s[4:5], exec, -1
; %bb.2455:
	s_or_b64 exec, exec, s[8:9]
	s_and_b64 s[4:5], s[4:5], exec
                                        ; implicit-def: $vgpr11
	s_or_saveexec_b64 s[6:7], s[6:7]
	v_mov_b32_e32 v12, s10
	s_xor_b64 exec, exec, s[6:7]
	s_cbranch_execz .LBB48_406
.LBB48_2456:
	v_cmp_ne_u16_e32 vcc, 0, v11
	s_andn2_b64 s[4:5], s[4:5], exec
	s_and_b64 s[8:9], vcc, exec
	v_mov_b32_e32 v12, 0
	s_or_b64 s[4:5], s[4:5], s[8:9]
	s_or_b64 exec, exec, s[6:7]
	s_and_saveexec_b64 s[6:7], s[4:5]
	s_cbranch_execnz .LBB48_407
	s_branch .LBB48_408
.LBB48_2457:
	s_movk_i32 s4, 0x80
	v_cmp_eq_u16_sdwa s[12:13], v6, s4 src0_sel:BYTE_3 src1_sel:DWORD
	s_mov_b64 s[4:5], -1
                                        ; implicit-def: $sgpr10
	s_and_saveexec_b64 s[8:9], s[12:13]
; %bb.2458:
	s_mov_b32 s10, 0x7f800001
	s_xor_b64 s[4:5], exec, -1
; %bb.2459:
	s_or_b64 exec, exec, s[8:9]
	s_and_b64 s[4:5], s[4:5], exec
	s_or_saveexec_b64 s[6:7], s[6:7]
	v_mov_b32_e32 v10, s10
	s_xor_b64 exec, exec, s[6:7]
	s_cbranch_execz .LBB48_410
.LBB48_2460:
	v_mov_b32_e32 v10, 0
	v_cmp_ne_u16_sdwa s[8:9], v6, v10 src0_sel:BYTE_3 src1_sel:DWORD
	s_andn2_b64 s[4:5], s[4:5], exec
	s_and_b64 s[8:9], s[8:9], exec
	s_or_b64 s[4:5], s[4:5], s[8:9]
	s_or_b64 exec, exec, s[6:7]
	s_and_saveexec_b64 s[6:7], s[4:5]
	s_cbranch_execnz .LBB48_411
	s_branch .LBB48_412
.LBB48_2461:
	s_movk_i32 s4, 0x80
	v_cmp_eq_u16_sdwa s[12:13], v2, s4 src0_sel:BYTE_3 src1_sel:DWORD
	s_mov_b64 s[4:5], -1
                                        ; implicit-def: $sgpr10
	s_and_saveexec_b64 s[8:9], s[12:13]
; %bb.2462:
	s_mov_b32 s10, 0x7f800001
	s_xor_b64 s[4:5], exec, -1
; %bb.2463:
	s_or_b64 exec, exec, s[8:9]
	s_and_b64 s[4:5], s[4:5], exec
	s_or_saveexec_b64 s[6:7], s[6:7]
	v_mov_b32_e32 v6, s10
	s_xor_b64 exec, exec, s[6:7]
	s_cbranch_execz .LBB48_414
.LBB48_2464:
	v_mov_b32_e32 v6, 0
	v_cmp_ne_u16_sdwa s[8:9], v2, v6 src0_sel:BYTE_3 src1_sel:DWORD
	s_andn2_b64 s[4:5], s[4:5], exec
	s_and_b64 s[8:9], s[8:9], exec
	s_or_b64 s[4:5], s[4:5], s[8:9]
	s_or_b64 exec, exec, s[6:7]
	s_and_saveexec_b64 s[6:7], s[4:5]
	s_cbranch_execnz .LBB48_415
	s_branch .LBB48_416
.LBB48_2465:
	s_movk_i32 s4, 0x80
	v_cmp_eq_u16_sdwa s[12:13], v7, s4 src0_sel:BYTE_0 src1_sel:DWORD
	s_mov_b64 s[4:5], -1
                                        ; implicit-def: $sgpr10
	s_and_saveexec_b64 s[8:9], s[12:13]
; %bb.2466:
	s_mov_b32 s10, 0x7f800001
	s_xor_b64 s[4:5], exec, -1
; %bb.2467:
	s_or_b64 exec, exec, s[8:9]
	s_and_b64 s[4:5], s[4:5], exec
	s_or_saveexec_b64 s[6:7], s[6:7]
	v_mov_b32_e32 v2, s10
	s_xor_b64 exec, exec, s[6:7]
	s_cbranch_execz .LBB48_418
.LBB48_2468:
	v_mov_b32_e32 v2, 0
	v_cmp_ne_u16_sdwa s[8:9], v7, v2 src0_sel:BYTE_0 src1_sel:DWORD
	s_andn2_b64 s[4:5], s[4:5], exec
	s_and_b64 s[8:9], s[8:9], exec
	s_or_b64 s[4:5], s[4:5], s[8:9]
	s_or_b64 exec, exec, s[6:7]
	s_and_saveexec_b64 s[6:7], s[4:5]
	s_cbranch_execnz .LBB48_419
	s_branch .LBB48_420
.LBB48_2469:
	s_movk_i32 s4, 0x80
	v_cmp_eq_u16_sdwa s[12:13], v3, s4 src0_sel:BYTE_0 src1_sel:DWORD
	s_mov_b64 s[4:5], -1
                                        ; implicit-def: $sgpr10
	s_and_saveexec_b64 s[8:9], s[12:13]
; %bb.2470:
	s_mov_b32 s10, 0x7f800001
	s_xor_b64 s[4:5], exec, -1
; %bb.2471:
	s_or_b64 exec, exec, s[8:9]
	s_and_b64 s[4:5], s[4:5], exec
	s_or_saveexec_b64 s[6:7], s[6:7]
	v_mov_b32_e32 v6, s10
	s_xor_b64 exec, exec, s[6:7]
	s_cbranch_execz .LBB48_422
.LBB48_2472:
	v_mov_b32_e32 v6, 0
	v_cmp_ne_u16_sdwa s[8:9], v3, v6 src0_sel:BYTE_0 src1_sel:DWORD
	s_andn2_b64 s[4:5], s[4:5], exec
	s_and_b64 s[8:9], s[8:9], exec
	s_or_b64 s[4:5], s[4:5], s[8:9]
	s_or_b64 exec, exec, s[6:7]
	s_and_saveexec_b64 s[6:7], s[4:5]
	s_cbranch_execnz .LBB48_423
	s_branch .LBB48_424
.LBB48_2473:
	s_movk_i32 s4, 0x80
	v_cmp_eq_u16_sdwa s[12:13], v6, s4 src0_sel:BYTE_0 src1_sel:DWORD
	s_mov_b64 s[4:5], -1
                                        ; implicit-def: $sgpr10
	s_and_saveexec_b64 s[8:9], s[12:13]
; %bb.2474:
	s_mov_b32 s10, 0x7f800001
	s_xor_b64 s[4:5], exec, -1
; %bb.2475:
	s_or_b64 exec, exec, s[8:9]
	s_and_b64 s[4:5], s[4:5], exec
	s_or_saveexec_b64 s[6:7], s[6:7]
	v_mov_b32_e32 v2, s10
	s_xor_b64 exec, exec, s[6:7]
	s_cbranch_execz .LBB48_426
.LBB48_2476:
	v_mov_b32_e32 v2, 0
	v_cmp_ne_u16_sdwa s[8:9], v6, v2 src0_sel:BYTE_0 src1_sel:DWORD
	s_andn2_b64 s[4:5], s[4:5], exec
	s_and_b64 s[8:9], s[8:9], exec
	s_or_b64 s[4:5], s[4:5], s[8:9]
	s_or_b64 exec, exec, s[6:7]
	s_and_saveexec_b64 s[6:7], s[4:5]
	s_cbranch_execnz .LBB48_427
	s_branch .LBB48_428
.LBB48_2477:
	s_movk_i32 s4, 0x80
	v_cmp_eq_u16_sdwa s[12:13], v6, s4 src0_sel:BYTE_0 src1_sel:DWORD
	s_mov_b64 s[4:5], -1
                                        ; implicit-def: $sgpr10
	s_and_saveexec_b64 s[8:9], s[12:13]
; %bb.2478:
	s_mov_b32 s10, 0x7f800001
	s_xor_b64 s[4:5], exec, -1
; %bb.2479:
	s_or_b64 exec, exec, s[8:9]
	s_and_b64 s[4:5], s[4:5], exec
	s_or_saveexec_b64 s[6:7], s[6:7]
	v_mov_b32_e32 v10, s10
	s_xor_b64 exec, exec, s[6:7]
	s_cbranch_execz .LBB48_430
.LBB48_2480:
	v_mov_b32_e32 v10, 0
	v_cmp_ne_u16_sdwa s[8:9], v6, v10 src0_sel:BYTE_0 src1_sel:DWORD
	s_andn2_b64 s[4:5], s[4:5], exec
	s_and_b64 s[8:9], s[8:9], exec
	s_or_b64 s[4:5], s[4:5], s[8:9]
	s_or_b64 exec, exec, s[6:7]
	s_and_saveexec_b64 s[6:7], s[4:5]
	s_cbranch_execnz .LBB48_431
	s_branch .LBB48_432
.LBB48_2481:
	s_movk_i32 s4, 0x80
	v_cmp_eq_u16_e32 vcc, s4, v6
	s_mov_b64 s[4:5], -1
                                        ; implicit-def: $sgpr10
	s_and_saveexec_b64 s[8:9], vcc
; %bb.2482:
	s_mov_b32 s10, 0x7f800001
	s_xor_b64 s[4:5], exec, -1
; %bb.2483:
	s_or_b64 exec, exec, s[8:9]
	s_and_b64 s[4:5], s[4:5], exec
                                        ; implicit-def: $vgpr6
	s_or_saveexec_b64 s[6:7], s[6:7]
	v_mov_b32_e32 v2, s10
	s_xor_b64 exec, exec, s[6:7]
	s_cbranch_execz .LBB48_434
.LBB48_2484:
	v_cmp_ne_u16_e32 vcc, 0, v6
	s_andn2_b64 s[4:5], s[4:5], exec
	s_and_b64 s[8:9], vcc, exec
	v_mov_b32_e32 v2, 0
	s_or_b64 s[4:5], s[4:5], s[8:9]
	s_or_b64 exec, exec, s[6:7]
	s_and_saveexec_b64 s[6:7], s[4:5]
	s_cbranch_execnz .LBB48_435
	s_branch .LBB48_436
.LBB48_2485:
	s_movk_i32 s4, 0x80
	v_cmp_eq_u16_e32 vcc, s4, v6
	s_mov_b64 s[4:5], -1
                                        ; implicit-def: $sgpr10
	s_and_saveexec_b64 s[8:9], vcc
; %bb.2486:
	s_mov_b32 s10, 0x7f800001
	s_xor_b64 s[4:5], exec, -1
; %bb.2487:
	s_or_b64 exec, exec, s[8:9]
	s_and_b64 s[4:5], s[4:5], exec
                                        ; implicit-def: $vgpr6
	s_or_saveexec_b64 s[6:7], s[6:7]
	v_mov_b32_e32 v10, s10
	s_xor_b64 exec, exec, s[6:7]
	s_cbranch_execz .LBB48_438
.LBB48_2488:
	v_cmp_ne_u16_e32 vcc, 0, v6
	s_andn2_b64 s[4:5], s[4:5], exec
	s_and_b64 s[8:9], vcc, exec
	v_mov_b32_e32 v10, 0
	s_or_b64 s[4:5], s[4:5], s[8:9]
	s_or_b64 exec, exec, s[6:7]
	s_and_saveexec_b64 s[6:7], s[4:5]
	s_cbranch_execnz .LBB48_439
	s_branch .LBB48_440
.LBB48_2489:
	s_movk_i32 s4, 0x80
	v_cmp_eq_u16_sdwa s[12:13], v7, s4 src0_sel:BYTE_3 src1_sel:DWORD
	s_mov_b64 s[4:5], -1
                                        ; implicit-def: $sgpr10
	s_and_saveexec_b64 s[8:9], s[12:13]
; %bb.2490:
	s_mov_b32 s10, 0x7f800001
	s_xor_b64 s[4:5], exec, -1
; %bb.2491:
	s_or_b64 exec, exec, s[8:9]
	s_and_b64 s[4:5], s[4:5], exec
	s_or_saveexec_b64 s[6:7], s[6:7]
	v_mov_b32_e32 v2, s10
	s_xor_b64 exec, exec, s[6:7]
	s_cbranch_execz .LBB48_442
.LBB48_2492:
	v_mov_b32_e32 v2, 0
	v_cmp_ne_u16_sdwa s[8:9], v7, v2 src0_sel:BYTE_3 src1_sel:DWORD
	s_andn2_b64 s[4:5], s[4:5], exec
	s_and_b64 s[8:9], s[8:9], exec
	s_or_b64 s[4:5], s[4:5], s[8:9]
	s_or_b64 exec, exec, s[6:7]
	s_and_saveexec_b64 s[6:7], s[4:5]
	s_cbranch_execnz .LBB48_443
	s_branch .LBB48_444
.LBB48_2493:
	s_movk_i32 s4, 0x80
	v_cmp_eq_u16_sdwa s[12:13], v3, s4 src0_sel:BYTE_3 src1_sel:DWORD
	s_mov_b64 s[4:5], -1
                                        ; implicit-def: $sgpr10
	s_and_saveexec_b64 s[8:9], s[12:13]
; %bb.2494:
	s_mov_b32 s10, 0x7f800001
	s_xor_b64 s[4:5], exec, -1
; %bb.2495:
	s_or_b64 exec, exec, s[8:9]
	s_and_b64 s[4:5], s[4:5], exec
	s_or_saveexec_b64 s[6:7], s[6:7]
	v_mov_b32_e32 v6, s10
	s_xor_b64 exec, exec, s[6:7]
	s_cbranch_execz .LBB48_446
.LBB48_2496:
	v_mov_b32_e32 v6, 0
	v_cmp_ne_u16_sdwa s[8:9], v3, v6 src0_sel:BYTE_3 src1_sel:DWORD
	s_andn2_b64 s[4:5], s[4:5], exec
	s_and_b64 s[8:9], s[8:9], exec
	s_or_b64 s[4:5], s[4:5], s[8:9]
	s_or_b64 exec, exec, s[6:7]
	s_and_saveexec_b64 s[6:7], s[4:5]
	s_cbranch_execnz .LBB48_447
	s_branch .LBB48_448
.LBB48_2497:
	s_movk_i32 s4, 0x80
	v_cmp_eq_u16_sdwa s[12:13], v8, s4 src0_sel:BYTE_0 src1_sel:DWORD
	s_mov_b64 s[4:5], -1
                                        ; implicit-def: $sgpr10
	s_and_saveexec_b64 s[8:9], s[12:13]
; %bb.2498:
	s_mov_b32 s10, 0x7f800001
	s_xor_b64 s[4:5], exec, -1
; %bb.2499:
	s_or_b64 exec, exec, s[8:9]
	s_and_b64 s[4:5], s[4:5], exec
	s_or_saveexec_b64 s[6:7], s[6:7]
	v_mov_b32_e32 v2, s10
	s_xor_b64 exec, exec, s[6:7]
	s_cbranch_execz .LBB48_450
.LBB48_2500:
	v_mov_b32_e32 v2, 0
	v_cmp_ne_u16_sdwa s[8:9], v8, v2 src0_sel:BYTE_0 src1_sel:DWORD
	s_andn2_b64 s[4:5], s[4:5], exec
	s_and_b64 s[8:9], s[8:9], exec
	s_or_b64 s[4:5], s[4:5], s[8:9]
	s_or_b64 exec, exec, s[6:7]
	s_and_saveexec_b64 s[6:7], s[4:5]
	s_cbranch_execnz .LBB48_451
	s_branch .LBB48_452
.LBB48_2501:
	s_movk_i32 s4, 0x80
	v_cmp_eq_u16_sdwa s[12:13], v4, s4 src0_sel:BYTE_0 src1_sel:DWORD
	s_mov_b64 s[4:5], -1
                                        ; implicit-def: $sgpr10
	s_and_saveexec_b64 s[8:9], s[12:13]
; %bb.2502:
	s_mov_b32 s10, 0x7f800001
	s_xor_b64 s[4:5], exec, -1
; %bb.2503:
	s_or_b64 exec, exec, s[8:9]
	s_and_b64 s[4:5], s[4:5], exec
	s_or_saveexec_b64 s[6:7], s[6:7]
	v_mov_b32_e32 v3, s10
	s_xor_b64 exec, exec, s[6:7]
	s_cbranch_execz .LBB48_454
.LBB48_2504:
	v_mov_b32_e32 v3, 0
	v_cmp_ne_u16_sdwa s[8:9], v4, v3 src0_sel:BYTE_0 src1_sel:DWORD
	s_andn2_b64 s[4:5], s[4:5], exec
	s_and_b64 s[8:9], s[8:9], exec
	s_or_b64 s[4:5], s[4:5], s[8:9]
	s_or_b64 exec, exec, s[6:7]
	s_and_saveexec_b64 s[6:7], s[4:5]
	s_cbranch_execnz .LBB48_455
	s_branch .LBB48_456
.LBB48_2505:
	s_movk_i32 s4, 0x80
	v_cmp_eq_u16_sdwa s[12:13], v3, s4 src0_sel:BYTE_0 src1_sel:DWORD
	s_mov_b64 s[4:5], -1
                                        ; implicit-def: $sgpr10
	s_and_saveexec_b64 s[8:9], s[12:13]
; %bb.2506:
	s_mov_b32 s10, 0x7f800001
	s_xor_b64 s[4:5], exec, -1
; %bb.2507:
	s_or_b64 exec, exec, s[8:9]
	s_and_b64 s[4:5], s[4:5], exec
	s_or_saveexec_b64 s[6:7], s[6:7]
	v_mov_b32_e32 v2, s10
	s_xor_b64 exec, exec, s[6:7]
	s_cbranch_execz .LBB48_458
.LBB48_2508:
	v_mov_b32_e32 v2, 0
	v_cmp_ne_u16_sdwa s[8:9], v3, v2 src0_sel:BYTE_0 src1_sel:DWORD
	s_andn2_b64 s[4:5], s[4:5], exec
	s_and_b64 s[8:9], s[8:9], exec
	s_or_b64 s[4:5], s[4:5], s[8:9]
	s_or_b64 exec, exec, s[6:7]
	s_and_saveexec_b64 s[6:7], s[4:5]
	s_cbranch_execnz .LBB48_459
	s_branch .LBB48_460
.LBB48_2509:
	s_movk_i32 s4, 0x80
	v_cmp_eq_u16_sdwa s[12:13], v3, s4 src0_sel:BYTE_0 src1_sel:DWORD
	s_mov_b64 s[4:5], -1
                                        ; implicit-def: $sgpr10
	s_and_saveexec_b64 s[8:9], s[12:13]
; %bb.2510:
	s_mov_b32 s10, 0x7f800001
	s_xor_b64 s[4:5], exec, -1
; %bb.2511:
	s_or_b64 exec, exec, s[8:9]
	s_and_b64 s[4:5], s[4:5], exec
	s_or_saveexec_b64 s[6:7], s[6:7]
	v_mov_b32_e32 v6, s10
	s_xor_b64 exec, exec, s[6:7]
	s_cbranch_execz .LBB48_462
.LBB48_2512:
	v_mov_b32_e32 v6, 0
	v_cmp_ne_u16_sdwa s[8:9], v3, v6 src0_sel:BYTE_0 src1_sel:DWORD
	s_andn2_b64 s[4:5], s[4:5], exec
	s_and_b64 s[8:9], s[8:9], exec
	s_or_b64 s[4:5], s[4:5], s[8:9]
	s_or_b64 exec, exec, s[6:7]
	s_and_saveexec_b64 s[6:7], s[4:5]
	s_cbranch_execnz .LBB48_463
	s_branch .LBB48_464
.LBB48_2513:
	s_movk_i32 s4, 0x80
	v_cmp_eq_u16_e32 vcc, s4, v3
	s_mov_b64 s[4:5], -1
                                        ; implicit-def: $sgpr10
	s_and_saveexec_b64 s[8:9], vcc
; %bb.2514:
	s_mov_b32 s10, 0x7f800001
	s_xor_b64 s[4:5], exec, -1
; %bb.2515:
	s_or_b64 exec, exec, s[8:9]
	s_and_b64 s[4:5], s[4:5], exec
                                        ; implicit-def: $vgpr3
	s_or_saveexec_b64 s[6:7], s[6:7]
	v_mov_b32_e32 v2, s10
	s_xor_b64 exec, exec, s[6:7]
	s_cbranch_execz .LBB48_466
.LBB48_2516:
	v_cmp_ne_u16_e32 vcc, 0, v3
	s_andn2_b64 s[4:5], s[4:5], exec
	s_and_b64 s[8:9], vcc, exec
	v_mov_b32_e32 v2, 0
	s_or_b64 s[4:5], s[4:5], s[8:9]
	s_or_b64 exec, exec, s[6:7]
	s_and_saveexec_b64 s[6:7], s[4:5]
	s_cbranch_execnz .LBB48_467
	s_branch .LBB48_468
.LBB48_2517:
	s_movk_i32 s4, 0x80
	v_cmp_eq_u16_e32 vcc, s4, v3
	s_mov_b64 s[4:5], -1
                                        ; implicit-def: $sgpr10
	s_and_saveexec_b64 s[8:9], vcc
; %bb.2518:
	s_mov_b32 s10, 0x7f800001
	s_xor_b64 s[4:5], exec, -1
; %bb.2519:
	s_or_b64 exec, exec, s[8:9]
	s_and_b64 s[4:5], s[4:5], exec
                                        ; implicit-def: $vgpr3
	s_or_saveexec_b64 s[6:7], s[6:7]
	v_mov_b32_e32 v6, s10
	s_xor_b64 exec, exec, s[6:7]
	s_cbranch_execz .LBB48_470
.LBB48_2520:
	v_cmp_ne_u16_e32 vcc, 0, v3
	s_andn2_b64 s[4:5], s[4:5], exec
	s_and_b64 s[8:9], vcc, exec
	v_mov_b32_e32 v6, 0
	s_or_b64 s[4:5], s[4:5], s[8:9]
	s_or_b64 exec, exec, s[6:7]
	s_and_saveexec_b64 s[6:7], s[4:5]
	s_cbranch_execnz .LBB48_471
	s_branch .LBB48_472
.LBB48_2521:
	s_movk_i32 s4, 0x80
	v_cmp_eq_u16_sdwa s[12:13], v8, s4 src0_sel:BYTE_3 src1_sel:DWORD
	s_mov_b64 s[4:5], -1
                                        ; implicit-def: $sgpr10
	s_and_saveexec_b64 s[8:9], s[12:13]
; %bb.2522:
	s_mov_b32 s10, 0x7f800001
	s_xor_b64 s[4:5], exec, -1
; %bb.2523:
	s_or_b64 exec, exec, s[8:9]
	s_and_b64 s[4:5], s[4:5], exec
	s_or_saveexec_b64 s[6:7], s[6:7]
	v_mov_b32_e32 v2, s10
	s_xor_b64 exec, exec, s[6:7]
	s_cbranch_execz .LBB48_474
.LBB48_2524:
	v_mov_b32_e32 v2, 0
	v_cmp_ne_u16_sdwa s[8:9], v8, v2 src0_sel:BYTE_3 src1_sel:DWORD
	s_andn2_b64 s[4:5], s[4:5], exec
	s_and_b64 s[8:9], s[8:9], exec
	s_or_b64 s[4:5], s[4:5], s[8:9]
	s_or_b64 exec, exec, s[6:7]
	s_and_saveexec_b64 s[6:7], s[4:5]
	s_cbranch_execnz .LBB48_475
	s_branch .LBB48_476
.LBB48_2525:
	s_movk_i32 s4, 0x80
	v_cmp_eq_u16_sdwa s[12:13], v4, s4 src0_sel:BYTE_3 src1_sel:DWORD
	s_mov_b64 s[4:5], -1
                                        ; implicit-def: $sgpr10
	s_and_saveexec_b64 s[8:9], s[12:13]
; %bb.2526:
	s_mov_b32 s10, 0x7f800001
	s_xor_b64 s[4:5], exec, -1
; %bb.2527:
	s_or_b64 exec, exec, s[8:9]
	s_and_b64 s[4:5], s[4:5], exec
	s_or_saveexec_b64 s[6:7], s[6:7]
	v_mov_b32_e32 v3, s10
	s_xor_b64 exec, exec, s[6:7]
	s_cbranch_execz .LBB48_478
.LBB48_2528:
	v_mov_b32_e32 v3, 0
	v_cmp_ne_u16_sdwa s[8:9], v4, v3 src0_sel:BYTE_3 src1_sel:DWORD
	s_andn2_b64 s[4:5], s[4:5], exec
	s_and_b64 s[8:9], s[8:9], exec
	s_or_b64 s[4:5], s[4:5], s[8:9]
	s_or_b64 exec, exec, s[6:7]
	s_and_saveexec_b64 s[6:7], s[4:5]
	s_cbranch_execnz .LBB48_479
	s_branch .LBB48_480
.LBB48_2529:
	s_movk_i32 s4, 0x80
	v_cmp_eq_u16_sdwa s[12:13], v9, s4 src0_sel:BYTE_0 src1_sel:DWORD
	s_mov_b64 s[4:5], -1
                                        ; implicit-def: $sgpr10
	s_and_saveexec_b64 s[8:9], s[12:13]
; %bb.2530:
	s_mov_b32 s10, 0x7f800001
	s_xor_b64 s[4:5], exec, -1
; %bb.2531:
	s_or_b64 exec, exec, s[8:9]
	s_and_b64 s[4:5], s[4:5], exec
	s_or_saveexec_b64 s[6:7], s[6:7]
	v_mov_b32_e32 v2, s10
	s_xor_b64 exec, exec, s[6:7]
	s_cbranch_execz .LBB48_482
.LBB48_2532:
	v_mov_b32_e32 v2, 0
	v_cmp_ne_u16_sdwa s[8:9], v9, v2 src0_sel:BYTE_0 src1_sel:DWORD
	s_andn2_b64 s[4:5], s[4:5], exec
	s_and_b64 s[8:9], s[8:9], exec
	s_or_b64 s[4:5], s[4:5], s[8:9]
	s_or_b64 exec, exec, s[6:7]
	s_and_saveexec_b64 s[6:7], s[4:5]
	s_cbranch_execnz .LBB48_483
	s_branch .LBB48_484
.LBB48_2533:
	s_movk_i32 s4, 0x80
	v_cmp_eq_u16_sdwa s[12:13], v5, s4 src0_sel:BYTE_0 src1_sel:DWORD
	s_mov_b64 s[4:5], -1
                                        ; implicit-def: $sgpr10
	s_and_saveexec_b64 s[8:9], s[12:13]
; %bb.2534:
	s_mov_b32 s10, 0x7f800001
	s_xor_b64 s[4:5], exec, -1
; %bb.2535:
	s_or_b64 exec, exec, s[8:9]
	s_and_b64 s[4:5], s[4:5], exec
	s_or_saveexec_b64 s[6:7], s[6:7]
	v_mov_b32_e32 v3, s10
	s_xor_b64 exec, exec, s[6:7]
	s_cbranch_execz .LBB48_486
.LBB48_2536:
	v_mov_b32_e32 v3, 0
	v_cmp_ne_u16_sdwa s[8:9], v5, v3 src0_sel:BYTE_0 src1_sel:DWORD
	s_andn2_b64 s[4:5], s[4:5], exec
	s_and_b64 s[8:9], s[8:9], exec
	s_or_b64 s[4:5], s[4:5], s[8:9]
	s_or_b64 exec, exec, s[6:7]
	s_and_saveexec_b64 s[6:7], s[4:5]
	s_cbranch_execnz .LBB48_487
	s_branch .LBB48_488
.LBB48_2537:
	s_movk_i32 s4, 0x80
	v_cmp_eq_u16_sdwa s[12:13], v3, s4 src0_sel:BYTE_0 src1_sel:DWORD
	s_mov_b64 s[4:5], -1
                                        ; implicit-def: $sgpr10
	s_and_saveexec_b64 s[8:9], s[12:13]
; %bb.2538:
	s_mov_b32 s10, 0x7f800001
	s_xor_b64 s[4:5], exec, -1
; %bb.2539:
	s_or_b64 exec, exec, s[8:9]
	s_and_b64 s[4:5], s[4:5], exec
	s_or_saveexec_b64 s[6:7], s[6:7]
	v_mov_b32_e32 v2, s10
	s_xor_b64 exec, exec, s[6:7]
	s_cbranch_execz .LBB48_490
.LBB48_2540:
	v_mov_b32_e32 v2, 0
	v_cmp_ne_u16_sdwa s[8:9], v3, v2 src0_sel:BYTE_0 src1_sel:DWORD
	s_andn2_b64 s[4:5], s[4:5], exec
	s_and_b64 s[8:9], s[8:9], exec
	s_or_b64 s[4:5], s[4:5], s[8:9]
	s_or_b64 exec, exec, s[6:7]
	s_and_saveexec_b64 s[6:7], s[4:5]
	s_cbranch_execnz .LBB48_491
	s_branch .LBB48_492
.LBB48_2541:
	s_movk_i32 s4, 0x80
	v_cmp_eq_u16_sdwa s[12:13], v3, s4 src0_sel:BYTE_0 src1_sel:DWORD
	s_mov_b64 s[4:5], -1
                                        ; implicit-def: $sgpr10
	s_and_saveexec_b64 s[8:9], s[12:13]
; %bb.2542:
	s_mov_b32 s10, 0x7f800001
	s_xor_b64 s[4:5], exec, -1
; %bb.2543:
	s_or_b64 exec, exec, s[8:9]
	s_and_b64 s[4:5], s[4:5], exec
	s_or_saveexec_b64 s[6:7], s[6:7]
	v_mov_b32_e32 v4, s10
	s_xor_b64 exec, exec, s[6:7]
	s_cbranch_execz .LBB48_494
.LBB48_2544:
	v_mov_b32_e32 v4, 0
	v_cmp_ne_u16_sdwa s[8:9], v3, v4 src0_sel:BYTE_0 src1_sel:DWORD
	s_andn2_b64 s[4:5], s[4:5], exec
	s_and_b64 s[8:9], s[8:9], exec
	s_or_b64 s[4:5], s[4:5], s[8:9]
	s_or_b64 exec, exec, s[6:7]
	s_and_saveexec_b64 s[6:7], s[4:5]
	s_cbranch_execnz .LBB48_495
	s_branch .LBB48_496
.LBB48_2545:
	s_movk_i32 s4, 0x80
	v_cmp_eq_u16_e32 vcc, s4, v3
	s_mov_b64 s[4:5], -1
                                        ; implicit-def: $sgpr10
	s_and_saveexec_b64 s[8:9], vcc
; %bb.2546:
	s_mov_b32 s10, 0x7f800001
	s_xor_b64 s[4:5], exec, -1
; %bb.2547:
	s_or_b64 exec, exec, s[8:9]
	s_and_b64 s[4:5], s[4:5], exec
                                        ; implicit-def: $vgpr3
	s_or_saveexec_b64 s[6:7], s[6:7]
	v_mov_b32_e32 v2, s10
	s_xor_b64 exec, exec, s[6:7]
	s_cbranch_execz .LBB48_498
.LBB48_2548:
	v_cmp_ne_u16_e32 vcc, 0, v3
	s_andn2_b64 s[4:5], s[4:5], exec
	s_and_b64 s[8:9], vcc, exec
	v_mov_b32_e32 v2, 0
	s_or_b64 s[4:5], s[4:5], s[8:9]
	s_or_b64 exec, exec, s[6:7]
	s_and_saveexec_b64 s[6:7], s[4:5]
	s_cbranch_execnz .LBB48_499
	s_branch .LBB48_500
.LBB48_2549:
	s_movk_i32 s4, 0x80
	v_cmp_eq_u16_e32 vcc, s4, v3
	s_mov_b64 s[4:5], -1
                                        ; implicit-def: $sgpr10
	s_and_saveexec_b64 s[8:9], vcc
; %bb.2550:
	s_mov_b32 s10, 0x7f800001
	s_xor_b64 s[4:5], exec, -1
; %bb.2551:
	s_or_b64 exec, exec, s[8:9]
	s_and_b64 s[4:5], s[4:5], exec
                                        ; implicit-def: $vgpr3
	s_or_saveexec_b64 s[6:7], s[6:7]
	v_mov_b32_e32 v4, s10
	s_xor_b64 exec, exec, s[6:7]
	s_cbranch_execz .LBB48_502
.LBB48_2552:
	v_cmp_ne_u16_e32 vcc, 0, v3
	s_andn2_b64 s[4:5], s[4:5], exec
	s_and_b64 s[8:9], vcc, exec
	v_mov_b32_e32 v4, 0
	s_or_b64 s[4:5], s[4:5], s[8:9]
	s_or_b64 exec, exec, s[6:7]
	s_and_saveexec_b64 s[6:7], s[4:5]
	s_cbranch_execnz .LBB48_503
	s_branch .LBB48_504
.LBB48_2553:
	s_movk_i32 s4, 0x80
	v_cmp_eq_u16_sdwa s[12:13], v9, s4 src0_sel:BYTE_3 src1_sel:DWORD
	s_mov_b64 s[4:5], -1
                                        ; implicit-def: $sgpr10
	s_and_saveexec_b64 s[8:9], s[12:13]
; %bb.2554:
	s_mov_b32 s10, 0x7f800001
	s_xor_b64 s[4:5], exec, -1
; %bb.2555:
	s_or_b64 exec, exec, s[8:9]
	s_and_b64 s[4:5], s[4:5], exec
	s_or_saveexec_b64 s[6:7], s[6:7]
	v_mov_b32_e32 v2, s10
	s_xor_b64 exec, exec, s[6:7]
	s_cbranch_execz .LBB48_506
.LBB48_2556:
	v_mov_b32_e32 v2, 0
	v_cmp_ne_u16_sdwa s[8:9], v9, v2 src0_sel:BYTE_3 src1_sel:DWORD
	s_andn2_b64 s[4:5], s[4:5], exec
	s_and_b64 s[8:9], s[8:9], exec
	s_or_b64 s[4:5], s[4:5], s[8:9]
	s_or_b64 exec, exec, s[6:7]
	s_and_saveexec_b64 s[6:7], s[4:5]
	s_cbranch_execnz .LBB48_507
	s_branch .LBB48_508
.LBB48_2557:
	s_movk_i32 s4, 0x80
	v_cmp_eq_u16_sdwa s[12:13], v5, s4 src0_sel:BYTE_3 src1_sel:DWORD
	s_mov_b64 s[4:5], -1
                                        ; implicit-def: $sgpr10
	s_and_saveexec_b64 s[8:9], s[12:13]
; %bb.2558:
	s_mov_b32 s10, 0x7f800001
	s_xor_b64 s[4:5], exec, -1
; %bb.2559:
	s_or_b64 exec, exec, s[8:9]
	s_and_b64 s[4:5], s[4:5], exec
	s_or_saveexec_b64 s[6:7], s[6:7]
	v_mov_b32_e32 v3, s10
	s_xor_b64 exec, exec, s[6:7]
	s_cbranch_execz .LBB48_510
.LBB48_2560:
	v_mov_b32_e32 v3, 0
	v_cmp_ne_u16_sdwa s[8:9], v5, v3 src0_sel:BYTE_3 src1_sel:DWORD
	s_andn2_b64 s[4:5], s[4:5], exec
	s_and_b64 s[8:9], s[8:9], exec
	s_or_b64 s[4:5], s[4:5], s[8:9]
	s_or_b64 exec, exec, s[6:7]
	s_and_saveexec_b64 s[6:7], s[4:5]
	s_cbranch_execnz .LBB48_511
	s_branch .LBB48_512
.LBB48_2561:
	s_movk_i32 s4, 0x80
	v_cmp_eq_u16_sdwa s[12:13], v14, s4 src0_sel:BYTE_0 src1_sel:DWORD
	s_mov_b64 s[4:5], -1
                                        ; implicit-def: $sgpr10
	s_and_saveexec_b64 s[8:9], s[12:13]
; %bb.2562:
	s_mov_b32 s10, 0x7f800001
	s_xor_b64 s[4:5], exec, -1
; %bb.2563:
	s_or_b64 exec, exec, s[8:9]
	s_and_b64 s[4:5], s[4:5], exec
	s_or_saveexec_b64 s[6:7], s[6:7]
	v_mov_b32_e32 v20, s10
	s_xor_b64 exec, exec, s[6:7]
	s_cbranch_execz .LBB48_514
.LBB48_2564:
	v_mov_b32_e32 v20, 0
	v_cmp_ne_u16_sdwa s[8:9], v14, v20 src0_sel:BYTE_0 src1_sel:DWORD
	s_andn2_b64 s[4:5], s[4:5], exec
	s_and_b64 s[8:9], s[8:9], exec
	s_or_b64 s[4:5], s[4:5], s[8:9]
	s_or_b64 exec, exec, s[6:7]
	s_and_saveexec_b64 s[6:7], s[4:5]
	s_cbranch_execnz .LBB48_515
	s_branch .LBB48_516
.LBB48_2565:
	s_movk_i32 s4, 0x80
	v_cmp_eq_u16_sdwa s[12:13], v10, s4 src0_sel:BYTE_0 src1_sel:DWORD
	s_mov_b64 s[4:5], -1
                                        ; implicit-def: $sgpr10
	s_and_saveexec_b64 s[8:9], s[12:13]
; %bb.2566:
	s_mov_b32 s10, 0x7f800001
	s_xor_b64 s[4:5], exec, -1
; %bb.2567:
	s_or_b64 exec, exec, s[8:9]
	s_and_b64 s[4:5], s[4:5], exec
	s_or_saveexec_b64 s[6:7], s[6:7]
	v_mov_b32_e32 v21, s10
	s_xor_b64 exec, exec, s[6:7]
	s_cbranch_execz .LBB48_518
.LBB48_2568:
	v_mov_b32_e32 v21, 0
	v_cmp_ne_u16_sdwa s[8:9], v10, v21 src0_sel:BYTE_0 src1_sel:DWORD
	s_andn2_b64 s[4:5], s[4:5], exec
	s_and_b64 s[8:9], s[8:9], exec
	s_or_b64 s[4:5], s[4:5], s[8:9]
	s_or_b64 exec, exec, s[6:7]
	s_and_saveexec_b64 s[6:7], s[4:5]
	s_cbranch_execnz .LBB48_519
	s_branch .LBB48_520
.LBB48_2569:
	s_movk_i32 s4, 0x80
	v_cmp_eq_u16_sdwa s[12:13], v21, s4 src0_sel:BYTE_0 src1_sel:DWORD
	s_mov_b64 s[4:5], -1
                                        ; implicit-def: $sgpr10
	s_and_saveexec_b64 s[8:9], s[12:13]
; %bb.2570:
	s_mov_b32 s10, 0x7f800001
	s_xor_b64 s[4:5], exec, -1
; %bb.2571:
	s_or_b64 exec, exec, s[8:9]
	s_and_b64 s[4:5], s[4:5], exec
	s_or_saveexec_b64 s[6:7], s[6:7]
	v_mov_b32_e32 v20, s10
	s_xor_b64 exec, exec, s[6:7]
	s_cbranch_execz .LBB48_522
.LBB48_2572:
	v_mov_b32_e32 v20, 0
	v_cmp_ne_u16_sdwa s[8:9], v21, v20 src0_sel:BYTE_0 src1_sel:DWORD
	s_andn2_b64 s[4:5], s[4:5], exec
	s_and_b64 s[8:9], s[8:9], exec
	s_or_b64 s[4:5], s[4:5], s[8:9]
	s_or_b64 exec, exec, s[6:7]
	s_and_saveexec_b64 s[6:7], s[4:5]
	s_cbranch_execnz .LBB48_523
	s_branch .LBB48_524
.LBB48_2573:
	s_movk_i32 s4, 0x80
	v_cmp_eq_u16_sdwa s[12:13], v21, s4 src0_sel:BYTE_0 src1_sel:DWORD
	s_mov_b64 s[4:5], -1
                                        ; implicit-def: $sgpr10
	s_and_saveexec_b64 s[8:9], s[12:13]
; %bb.2574:
	s_mov_b32 s10, 0x7f800001
	s_xor_b64 s[4:5], exec, -1
; %bb.2575:
	s_or_b64 exec, exec, s[8:9]
	s_and_b64 s[4:5], s[4:5], exec
	s_or_saveexec_b64 s[6:7], s[6:7]
	v_mov_b32_e32 v22, s10
	s_xor_b64 exec, exec, s[6:7]
	s_cbranch_execz .LBB48_526
.LBB48_2576:
	v_mov_b32_e32 v22, 0
	v_cmp_ne_u16_sdwa s[8:9], v21, v22 src0_sel:BYTE_0 src1_sel:DWORD
	s_andn2_b64 s[4:5], s[4:5], exec
	s_and_b64 s[8:9], s[8:9], exec
	s_or_b64 s[4:5], s[4:5], s[8:9]
	s_or_b64 exec, exec, s[6:7]
	s_and_saveexec_b64 s[6:7], s[4:5]
	s_cbranch_execnz .LBB48_527
	s_branch .LBB48_528
.LBB48_2577:
	s_movk_i32 s4, 0x80
	v_cmp_eq_u16_e32 vcc, s4, v21
	s_mov_b64 s[4:5], -1
                                        ; implicit-def: $sgpr10
	s_and_saveexec_b64 s[8:9], vcc
; %bb.2578:
	s_mov_b32 s10, 0x7f800001
	s_xor_b64 s[4:5], exec, -1
; %bb.2579:
	s_or_b64 exec, exec, s[8:9]
	s_and_b64 s[4:5], s[4:5], exec
                                        ; implicit-def: $vgpr21
	s_or_saveexec_b64 s[6:7], s[6:7]
	v_mov_b32_e32 v20, s10
	s_xor_b64 exec, exec, s[6:7]
	s_cbranch_execz .LBB48_530
.LBB48_2580:
	v_cmp_ne_u16_e32 vcc, 0, v21
	s_andn2_b64 s[4:5], s[4:5], exec
	s_and_b64 s[8:9], vcc, exec
	v_mov_b32_e32 v20, 0
	s_or_b64 s[4:5], s[4:5], s[8:9]
	s_or_b64 exec, exec, s[6:7]
	s_and_saveexec_b64 s[6:7], s[4:5]
	s_cbranch_execnz .LBB48_531
	s_branch .LBB48_532
.LBB48_2581:
	s_movk_i32 s4, 0x80
	v_cmp_eq_u16_e32 vcc, s4, v21
	s_mov_b64 s[4:5], -1
                                        ; implicit-def: $sgpr10
	s_and_saveexec_b64 s[8:9], vcc
; %bb.2582:
	s_mov_b32 s10, 0x7f800001
	s_xor_b64 s[4:5], exec, -1
; %bb.2583:
	s_or_b64 exec, exec, s[8:9]
	s_and_b64 s[4:5], s[4:5], exec
                                        ; implicit-def: $vgpr21
	s_or_saveexec_b64 s[6:7], s[6:7]
	v_mov_b32_e32 v22, s10
	s_xor_b64 exec, exec, s[6:7]
	s_cbranch_execz .LBB48_534
.LBB48_2584:
	v_cmp_ne_u16_e32 vcc, 0, v21
	s_andn2_b64 s[4:5], s[4:5], exec
	s_and_b64 s[8:9], vcc, exec
	v_mov_b32_e32 v22, 0
	s_or_b64 s[4:5], s[4:5], s[8:9]
	s_or_b64 exec, exec, s[6:7]
	s_and_saveexec_b64 s[6:7], s[4:5]
	s_cbranch_execnz .LBB48_535
	s_branch .LBB48_536
.LBB48_2585:
	s_movk_i32 s4, 0x80
	v_cmp_eq_u16_sdwa s[12:13], v14, s4 src0_sel:BYTE_3 src1_sel:DWORD
	s_mov_b64 s[4:5], -1
                                        ; implicit-def: $sgpr10
	s_and_saveexec_b64 s[8:9], s[12:13]
; %bb.2586:
	s_mov_b32 s10, 0x7f800001
	s_xor_b64 s[4:5], exec, -1
; %bb.2587:
	s_or_b64 exec, exec, s[8:9]
	s_and_b64 s[4:5], s[4:5], exec
	s_or_saveexec_b64 s[6:7], s[6:7]
	v_mov_b32_e32 v20, s10
	s_xor_b64 exec, exec, s[6:7]
	s_cbranch_execz .LBB48_538
.LBB48_2588:
	v_mov_b32_e32 v20, 0
	v_cmp_ne_u16_sdwa s[8:9], v14, v20 src0_sel:BYTE_3 src1_sel:DWORD
	s_andn2_b64 s[4:5], s[4:5], exec
	s_and_b64 s[8:9], s[8:9], exec
	s_or_b64 s[4:5], s[4:5], s[8:9]
	s_or_b64 exec, exec, s[6:7]
	s_and_saveexec_b64 s[6:7], s[4:5]
	s_cbranch_execnz .LBB48_539
	s_branch .LBB48_540
.LBB48_2589:
	s_movk_i32 s4, 0x80
	v_cmp_eq_u16_sdwa s[12:13], v10, s4 src0_sel:BYTE_3 src1_sel:DWORD
	s_mov_b64 s[4:5], -1
                                        ; implicit-def: $sgpr10
	s_and_saveexec_b64 s[8:9], s[12:13]
; %bb.2590:
	s_mov_b32 s10, 0x7f800001
	s_xor_b64 s[4:5], exec, -1
; %bb.2591:
	s_or_b64 exec, exec, s[8:9]
	s_and_b64 s[4:5], s[4:5], exec
	s_or_saveexec_b64 s[6:7], s[6:7]
	v_mov_b32_e32 v14, s10
	s_xor_b64 exec, exec, s[6:7]
	s_cbranch_execz .LBB48_542
.LBB48_2592:
	v_mov_b32_e32 v14, 0
	v_cmp_ne_u16_sdwa s[8:9], v10, v14 src0_sel:BYTE_3 src1_sel:DWORD
	s_andn2_b64 s[4:5], s[4:5], exec
	s_and_b64 s[8:9], s[8:9], exec
	s_or_b64 s[4:5], s[4:5], s[8:9]
	s_or_b64 exec, exec, s[6:7]
	s_and_saveexec_b64 s[6:7], s[4:5]
	s_cbranch_execnz .LBB48_543
	s_branch .LBB48_544
.LBB48_2593:
	s_movk_i32 s4, 0x80
	v_cmp_eq_u16_sdwa s[12:13], v15, s4 src0_sel:BYTE_0 src1_sel:DWORD
	s_mov_b64 s[4:5], -1
                                        ; implicit-def: $sgpr10
	s_and_saveexec_b64 s[8:9], s[12:13]
; %bb.2594:
	s_mov_b32 s10, 0x7f800001
	s_xor_b64 s[4:5], exec, -1
; %bb.2595:
	s_or_b64 exec, exec, s[8:9]
	s_and_b64 s[4:5], s[4:5], exec
	s_or_saveexec_b64 s[6:7], s[6:7]
	v_mov_b32_e32 v10, s10
	s_xor_b64 exec, exec, s[6:7]
	s_cbranch_execz .LBB48_546
.LBB48_2596:
	v_mov_b32_e32 v10, 0
	v_cmp_ne_u16_sdwa s[8:9], v15, v10 src0_sel:BYTE_0 src1_sel:DWORD
	s_andn2_b64 s[4:5], s[4:5], exec
	s_and_b64 s[8:9], s[8:9], exec
	s_or_b64 s[4:5], s[4:5], s[8:9]
	s_or_b64 exec, exec, s[6:7]
	s_and_saveexec_b64 s[6:7], s[4:5]
	s_cbranch_execnz .LBB48_547
	s_branch .LBB48_548
.LBB48_2597:
	s_movk_i32 s4, 0x80
	v_cmp_eq_u16_sdwa s[12:13], v11, s4 src0_sel:BYTE_0 src1_sel:DWORD
	s_mov_b64 s[4:5], -1
                                        ; implicit-def: $sgpr10
	s_and_saveexec_b64 s[8:9], s[12:13]
; %bb.2598:
	s_mov_b32 s10, 0x7f800001
	s_xor_b64 s[4:5], exec, -1
; %bb.2599:
	s_or_b64 exec, exec, s[8:9]
	s_and_b64 s[4:5], s[4:5], exec
	s_or_saveexec_b64 s[6:7], s[6:7]
	v_mov_b32_e32 v14, s10
	s_xor_b64 exec, exec, s[6:7]
	s_cbranch_execz .LBB48_550
.LBB48_2600:
	v_mov_b32_e32 v14, 0
	v_cmp_ne_u16_sdwa s[8:9], v11, v14 src0_sel:BYTE_0 src1_sel:DWORD
	s_andn2_b64 s[4:5], s[4:5], exec
	s_and_b64 s[8:9], s[8:9], exec
	s_or_b64 s[4:5], s[4:5], s[8:9]
	s_or_b64 exec, exec, s[6:7]
	s_and_saveexec_b64 s[6:7], s[4:5]
	s_cbranch_execnz .LBB48_551
	s_branch .LBB48_552
.LBB48_2601:
	s_movk_i32 s4, 0x80
	v_cmp_eq_u16_sdwa s[12:13], v14, s4 src0_sel:BYTE_0 src1_sel:DWORD
	s_mov_b64 s[4:5], -1
                                        ; implicit-def: $sgpr10
	s_and_saveexec_b64 s[8:9], s[12:13]
; %bb.2602:
	s_mov_b32 s10, 0x7f800001
	s_xor_b64 s[4:5], exec, -1
; %bb.2603:
	s_or_b64 exec, exec, s[8:9]
	s_and_b64 s[4:5], s[4:5], exec
	s_or_saveexec_b64 s[6:7], s[6:7]
	v_mov_b32_e32 v10, s10
	s_xor_b64 exec, exec, s[6:7]
	s_cbranch_execz .LBB48_554
.LBB48_2604:
	v_mov_b32_e32 v10, 0
	v_cmp_ne_u16_sdwa s[8:9], v14, v10 src0_sel:BYTE_0 src1_sel:DWORD
	s_andn2_b64 s[4:5], s[4:5], exec
	s_and_b64 s[8:9], s[8:9], exec
	s_or_b64 s[4:5], s[4:5], s[8:9]
	s_or_b64 exec, exec, s[6:7]
	s_and_saveexec_b64 s[6:7], s[4:5]
	s_cbranch_execnz .LBB48_555
	s_branch .LBB48_556
.LBB48_2605:
	s_movk_i32 s4, 0x80
	v_cmp_eq_u16_sdwa s[12:13], v14, s4 src0_sel:BYTE_0 src1_sel:DWORD
	s_mov_b64 s[4:5], -1
                                        ; implicit-def: $sgpr10
	s_and_saveexec_b64 s[8:9], s[12:13]
; %bb.2606:
	s_mov_b32 s10, 0x7f800001
	s_xor_b64 s[4:5], exec, -1
; %bb.2607:
	s_or_b64 exec, exec, s[8:9]
	s_and_b64 s[4:5], s[4:5], exec
	s_or_saveexec_b64 s[6:7], s[6:7]
	v_mov_b32_e32 v20, s10
	s_xor_b64 exec, exec, s[6:7]
	s_cbranch_execz .LBB48_558
.LBB48_2608:
	v_mov_b32_e32 v20, 0
	v_cmp_ne_u16_sdwa s[8:9], v14, v20 src0_sel:BYTE_0 src1_sel:DWORD
	s_andn2_b64 s[4:5], s[4:5], exec
	s_and_b64 s[8:9], s[8:9], exec
	s_or_b64 s[4:5], s[4:5], s[8:9]
	s_or_b64 exec, exec, s[6:7]
	s_and_saveexec_b64 s[6:7], s[4:5]
	s_cbranch_execnz .LBB48_559
	s_branch .LBB48_560
.LBB48_2609:
	s_movk_i32 s4, 0x80
	v_cmp_eq_u16_e32 vcc, s4, v14
	s_mov_b64 s[4:5], -1
                                        ; implicit-def: $sgpr10
	s_and_saveexec_b64 s[8:9], vcc
; %bb.2610:
	s_mov_b32 s10, 0x7f800001
	s_xor_b64 s[4:5], exec, -1
; %bb.2611:
	s_or_b64 exec, exec, s[8:9]
	s_and_b64 s[4:5], s[4:5], exec
                                        ; implicit-def: $vgpr14
	s_or_saveexec_b64 s[6:7], s[6:7]
	v_mov_b32_e32 v10, s10
	s_xor_b64 exec, exec, s[6:7]
	s_cbranch_execz .LBB48_562
.LBB48_2612:
	v_cmp_ne_u16_e32 vcc, 0, v14
	s_andn2_b64 s[4:5], s[4:5], exec
	s_and_b64 s[8:9], vcc, exec
	v_mov_b32_e32 v10, 0
	s_or_b64 s[4:5], s[4:5], s[8:9]
	s_or_b64 exec, exec, s[6:7]
	s_and_saveexec_b64 s[6:7], s[4:5]
	s_cbranch_execnz .LBB48_563
	s_branch .LBB48_564
.LBB48_2613:
	s_movk_i32 s4, 0x80
	v_cmp_eq_u16_e32 vcc, s4, v14
	s_mov_b64 s[4:5], -1
                                        ; implicit-def: $sgpr10
	s_and_saveexec_b64 s[8:9], vcc
; %bb.2614:
	s_mov_b32 s10, 0x7f800001
	s_xor_b64 s[4:5], exec, -1
; %bb.2615:
	s_or_b64 exec, exec, s[8:9]
	s_and_b64 s[4:5], s[4:5], exec
                                        ; implicit-def: $vgpr14
	s_or_saveexec_b64 s[6:7], s[6:7]
	v_mov_b32_e32 v20, s10
	s_xor_b64 exec, exec, s[6:7]
	s_cbranch_execz .LBB48_566
.LBB48_2616:
	v_cmp_ne_u16_e32 vcc, 0, v14
	s_andn2_b64 s[4:5], s[4:5], exec
	s_and_b64 s[8:9], vcc, exec
	v_mov_b32_e32 v20, 0
	s_or_b64 s[4:5], s[4:5], s[8:9]
	s_or_b64 exec, exec, s[6:7]
	s_and_saveexec_b64 s[6:7], s[4:5]
	s_cbranch_execnz .LBB48_567
	s_branch .LBB48_568
.LBB48_2617:
	s_movk_i32 s4, 0x80
	v_cmp_eq_u16_sdwa s[12:13], v15, s4 src0_sel:BYTE_3 src1_sel:DWORD
	s_mov_b64 s[4:5], -1
                                        ; implicit-def: $sgpr10
	s_and_saveexec_b64 s[8:9], s[12:13]
; %bb.2618:
	s_mov_b32 s10, 0x7f800001
	s_xor_b64 s[4:5], exec, -1
; %bb.2619:
	s_or_b64 exec, exec, s[8:9]
	s_and_b64 s[4:5], s[4:5], exec
	s_or_saveexec_b64 s[6:7], s[6:7]
	v_mov_b32_e32 v10, s10
	s_xor_b64 exec, exec, s[6:7]
	s_cbranch_execz .LBB48_570
.LBB48_2620:
	v_mov_b32_e32 v10, 0
	v_cmp_ne_u16_sdwa s[8:9], v15, v10 src0_sel:BYTE_3 src1_sel:DWORD
	s_andn2_b64 s[4:5], s[4:5], exec
	s_and_b64 s[8:9], s[8:9], exec
	s_or_b64 s[4:5], s[4:5], s[8:9]
	s_or_b64 exec, exec, s[6:7]
	s_and_saveexec_b64 s[6:7], s[4:5]
	s_cbranch_execnz .LBB48_571
	s_branch .LBB48_572
.LBB48_2621:
	s_movk_i32 s4, 0x80
	v_cmp_eq_u16_sdwa s[12:13], v11, s4 src0_sel:BYTE_3 src1_sel:DWORD
	s_mov_b64 s[4:5], -1
                                        ; implicit-def: $sgpr10
	s_and_saveexec_b64 s[8:9], s[12:13]
; %bb.2622:
	s_mov_b32 s10, 0x7f800001
	s_xor_b64 s[4:5], exec, -1
; %bb.2623:
	s_or_b64 exec, exec, s[8:9]
	s_and_b64 s[4:5], s[4:5], exec
	s_or_saveexec_b64 s[6:7], s[6:7]
	v_mov_b32_e32 v14, s10
	s_xor_b64 exec, exec, s[6:7]
	s_cbranch_execz .LBB48_574
.LBB48_2624:
	v_mov_b32_e32 v14, 0
	v_cmp_ne_u16_sdwa s[8:9], v11, v14 src0_sel:BYTE_3 src1_sel:DWORD
	s_andn2_b64 s[4:5], s[4:5], exec
	s_and_b64 s[8:9], s[8:9], exec
	s_or_b64 s[4:5], s[4:5], s[8:9]
	s_or_b64 exec, exec, s[6:7]
	s_and_saveexec_b64 s[6:7], s[4:5]
	s_cbranch_execnz .LBB48_575
	s_branch .LBB48_576
.LBB48_2625:
	s_movk_i32 s4, 0x80
	v_cmp_eq_u16_sdwa s[12:13], v16, s4 src0_sel:BYTE_0 src1_sel:DWORD
	s_mov_b64 s[4:5], -1
                                        ; implicit-def: $sgpr10
	s_and_saveexec_b64 s[8:9], s[12:13]
; %bb.2626:
	s_mov_b32 s10, 0x7f800001
	s_xor_b64 s[4:5], exec, -1
; %bb.2627:
	s_or_b64 exec, exec, s[8:9]
	s_and_b64 s[4:5], s[4:5], exec
	s_or_saveexec_b64 s[6:7], s[6:7]
	v_mov_b32_e32 v10, s10
	s_xor_b64 exec, exec, s[6:7]
	s_cbranch_execz .LBB48_578
.LBB48_2628:
	v_mov_b32_e32 v10, 0
	v_cmp_ne_u16_sdwa s[8:9], v16, v10 src0_sel:BYTE_0 src1_sel:DWORD
	s_andn2_b64 s[4:5], s[4:5], exec
	s_and_b64 s[8:9], s[8:9], exec
	s_or_b64 s[4:5], s[4:5], s[8:9]
	s_or_b64 exec, exec, s[6:7]
	s_and_saveexec_b64 s[6:7], s[4:5]
	s_cbranch_execnz .LBB48_579
	s_branch .LBB48_580
.LBB48_2629:
	s_movk_i32 s4, 0x80
	v_cmp_eq_u16_sdwa s[12:13], v12, s4 src0_sel:BYTE_0 src1_sel:DWORD
	s_mov_b64 s[4:5], -1
                                        ; implicit-def: $sgpr10
	s_and_saveexec_b64 s[8:9], s[12:13]
; %bb.2630:
	s_mov_b32 s10, 0x7f800001
	s_xor_b64 s[4:5], exec, -1
; %bb.2631:
	s_or_b64 exec, exec, s[8:9]
	s_and_b64 s[4:5], s[4:5], exec
	s_or_saveexec_b64 s[6:7], s[6:7]
	v_mov_b32_e32 v11, s10
	s_xor_b64 exec, exec, s[6:7]
	s_cbranch_execz .LBB48_582
.LBB48_2632:
	v_mov_b32_e32 v11, 0
	v_cmp_ne_u16_sdwa s[8:9], v12, v11 src0_sel:BYTE_0 src1_sel:DWORD
	s_andn2_b64 s[4:5], s[4:5], exec
	s_and_b64 s[8:9], s[8:9], exec
	s_or_b64 s[4:5], s[4:5], s[8:9]
	s_or_b64 exec, exec, s[6:7]
	s_and_saveexec_b64 s[6:7], s[4:5]
	s_cbranch_execnz .LBB48_583
	s_branch .LBB48_584
.LBB48_2633:
	s_movk_i32 s4, 0x80
	v_cmp_eq_u16_sdwa s[12:13], v11, s4 src0_sel:BYTE_0 src1_sel:DWORD
	s_mov_b64 s[4:5], -1
                                        ; implicit-def: $sgpr10
	s_and_saveexec_b64 s[8:9], s[12:13]
; %bb.2634:
	s_mov_b32 s10, 0x7f800001
	s_xor_b64 s[4:5], exec, -1
; %bb.2635:
	s_or_b64 exec, exec, s[8:9]
	s_and_b64 s[4:5], s[4:5], exec
	s_or_saveexec_b64 s[6:7], s[6:7]
	v_mov_b32_e32 v10, s10
	s_xor_b64 exec, exec, s[6:7]
	s_cbranch_execz .LBB48_586
.LBB48_2636:
	v_mov_b32_e32 v10, 0
	v_cmp_ne_u16_sdwa s[8:9], v11, v10 src0_sel:BYTE_0 src1_sel:DWORD
	s_andn2_b64 s[4:5], s[4:5], exec
	s_and_b64 s[8:9], s[8:9], exec
	s_or_b64 s[4:5], s[4:5], s[8:9]
	s_or_b64 exec, exec, s[6:7]
	s_and_saveexec_b64 s[6:7], s[4:5]
	s_cbranch_execnz .LBB48_587
	s_branch .LBB48_588
.LBB48_2637:
	s_movk_i32 s4, 0x80
	v_cmp_eq_u16_sdwa s[12:13], v11, s4 src0_sel:BYTE_0 src1_sel:DWORD
	s_mov_b64 s[4:5], -1
                                        ; implicit-def: $sgpr10
	s_and_saveexec_b64 s[8:9], s[12:13]
; %bb.2638:
	s_mov_b32 s10, 0x7f800001
	s_xor_b64 s[4:5], exec, -1
; %bb.2639:
	s_or_b64 exec, exec, s[8:9]
	s_and_b64 s[4:5], s[4:5], exec
	s_or_saveexec_b64 s[6:7], s[6:7]
	v_mov_b32_e32 v14, s10
	s_xor_b64 exec, exec, s[6:7]
	s_cbranch_execz .LBB48_590
.LBB48_2640:
	v_mov_b32_e32 v14, 0
	v_cmp_ne_u16_sdwa s[8:9], v11, v14 src0_sel:BYTE_0 src1_sel:DWORD
	s_andn2_b64 s[4:5], s[4:5], exec
	s_and_b64 s[8:9], s[8:9], exec
	s_or_b64 s[4:5], s[4:5], s[8:9]
	s_or_b64 exec, exec, s[6:7]
	s_and_saveexec_b64 s[6:7], s[4:5]
	s_cbranch_execnz .LBB48_591
	s_branch .LBB48_592
.LBB48_2641:
	s_movk_i32 s4, 0x80
	v_cmp_eq_u16_e32 vcc, s4, v11
	s_mov_b64 s[4:5], -1
                                        ; implicit-def: $sgpr10
	s_and_saveexec_b64 s[8:9], vcc
; %bb.2642:
	s_mov_b32 s10, 0x7f800001
	s_xor_b64 s[4:5], exec, -1
; %bb.2643:
	s_or_b64 exec, exec, s[8:9]
	s_and_b64 s[4:5], s[4:5], exec
                                        ; implicit-def: $vgpr11
	s_or_saveexec_b64 s[6:7], s[6:7]
	v_mov_b32_e32 v10, s10
	s_xor_b64 exec, exec, s[6:7]
	s_cbranch_execz .LBB48_594
.LBB48_2644:
	v_cmp_ne_u16_e32 vcc, 0, v11
	s_andn2_b64 s[4:5], s[4:5], exec
	s_and_b64 s[8:9], vcc, exec
	v_mov_b32_e32 v10, 0
	s_or_b64 s[4:5], s[4:5], s[8:9]
	s_or_b64 exec, exec, s[6:7]
	s_and_saveexec_b64 s[6:7], s[4:5]
	s_cbranch_execnz .LBB48_595
	s_branch .LBB48_596
.LBB48_2645:
	s_movk_i32 s4, 0x80
	v_cmp_eq_u16_e32 vcc, s4, v11
	s_mov_b64 s[4:5], -1
                                        ; implicit-def: $sgpr10
	s_and_saveexec_b64 s[8:9], vcc
; %bb.2646:
	s_mov_b32 s10, 0x7f800001
	s_xor_b64 s[4:5], exec, -1
; %bb.2647:
	s_or_b64 exec, exec, s[8:9]
	s_and_b64 s[4:5], s[4:5], exec
                                        ; implicit-def: $vgpr11
	s_or_saveexec_b64 s[6:7], s[6:7]
	v_mov_b32_e32 v14, s10
	s_xor_b64 exec, exec, s[6:7]
	s_cbranch_execz .LBB48_598
.LBB48_2648:
	v_cmp_ne_u16_e32 vcc, 0, v11
	s_andn2_b64 s[4:5], s[4:5], exec
	s_and_b64 s[8:9], vcc, exec
	v_mov_b32_e32 v14, 0
	s_or_b64 s[4:5], s[4:5], s[8:9]
	s_or_b64 exec, exec, s[6:7]
	s_and_saveexec_b64 s[6:7], s[4:5]
	s_cbranch_execnz .LBB48_599
	s_branch .LBB48_600
.LBB48_2649:
	s_movk_i32 s4, 0x80
	v_cmp_eq_u16_sdwa s[12:13], v16, s4 src0_sel:BYTE_3 src1_sel:DWORD
	s_mov_b64 s[4:5], -1
                                        ; implicit-def: $sgpr10
	s_and_saveexec_b64 s[8:9], s[12:13]
; %bb.2650:
	s_mov_b32 s10, 0x7f800001
	s_xor_b64 s[4:5], exec, -1
; %bb.2651:
	s_or_b64 exec, exec, s[8:9]
	s_and_b64 s[4:5], s[4:5], exec
	s_or_saveexec_b64 s[6:7], s[6:7]
	v_mov_b32_e32 v10, s10
	s_xor_b64 exec, exec, s[6:7]
	s_cbranch_execz .LBB48_602
.LBB48_2652:
	v_mov_b32_e32 v10, 0
	v_cmp_ne_u16_sdwa s[8:9], v16, v10 src0_sel:BYTE_3 src1_sel:DWORD
	s_andn2_b64 s[4:5], s[4:5], exec
	s_and_b64 s[8:9], s[8:9], exec
	s_or_b64 s[4:5], s[4:5], s[8:9]
	s_or_b64 exec, exec, s[6:7]
	s_and_saveexec_b64 s[6:7], s[4:5]
	s_cbranch_execnz .LBB48_603
	s_branch .LBB48_604
.LBB48_2653:
	s_movk_i32 s4, 0x80
	v_cmp_eq_u16_sdwa s[12:13], v12, s4 src0_sel:BYTE_3 src1_sel:DWORD
	s_mov_b64 s[4:5], -1
                                        ; implicit-def: $sgpr10
	s_and_saveexec_b64 s[8:9], s[12:13]
; %bb.2654:
	s_mov_b32 s10, 0x7f800001
	s_xor_b64 s[4:5], exec, -1
; %bb.2655:
	s_or_b64 exec, exec, s[8:9]
	s_and_b64 s[4:5], s[4:5], exec
	s_or_saveexec_b64 s[6:7], s[6:7]
	v_mov_b32_e32 v11, s10
	s_xor_b64 exec, exec, s[6:7]
	s_cbranch_execz .LBB48_606
.LBB48_2656:
	v_mov_b32_e32 v11, 0
	v_cmp_ne_u16_sdwa s[8:9], v12, v11 src0_sel:BYTE_3 src1_sel:DWORD
	s_andn2_b64 s[4:5], s[4:5], exec
	s_and_b64 s[8:9], s[8:9], exec
	s_or_b64 s[4:5], s[4:5], s[8:9]
	s_or_b64 exec, exec, s[6:7]
	s_and_saveexec_b64 s[6:7], s[4:5]
	s_cbranch_execnz .LBB48_607
	s_branch .LBB48_608
.LBB48_2657:
	s_movk_i32 s4, 0x80
	v_cmp_eq_u16_sdwa s[12:13], v17, s4 src0_sel:BYTE_0 src1_sel:DWORD
	s_mov_b64 s[4:5], -1
                                        ; implicit-def: $sgpr10
	s_and_saveexec_b64 s[8:9], s[12:13]
; %bb.2658:
	s_mov_b32 s10, 0x7f800001
	s_xor_b64 s[4:5], exec, -1
; %bb.2659:
	s_or_b64 exec, exec, s[8:9]
	s_and_b64 s[4:5], s[4:5], exec
	s_or_saveexec_b64 s[6:7], s[6:7]
	v_mov_b32_e32 v10, s10
	s_xor_b64 exec, exec, s[6:7]
	s_cbranch_execz .LBB48_610
.LBB48_2660:
	v_mov_b32_e32 v10, 0
	v_cmp_ne_u16_sdwa s[8:9], v17, v10 src0_sel:BYTE_0 src1_sel:DWORD
	s_andn2_b64 s[4:5], s[4:5], exec
	s_and_b64 s[8:9], s[8:9], exec
	s_or_b64 s[4:5], s[4:5], s[8:9]
	s_or_b64 exec, exec, s[6:7]
	s_and_saveexec_b64 s[6:7], s[4:5]
	s_cbranch_execnz .LBB48_611
	s_branch .LBB48_612
.LBB48_2661:
	s_movk_i32 s4, 0x80
	v_cmp_eq_u16_sdwa s[12:13], v13, s4 src0_sel:BYTE_0 src1_sel:DWORD
	s_mov_b64 s[4:5], -1
                                        ; implicit-def: $sgpr10
	s_and_saveexec_b64 s[8:9], s[12:13]
; %bb.2662:
	s_mov_b32 s10, 0x7f800001
	s_xor_b64 s[4:5], exec, -1
; %bb.2663:
	s_or_b64 exec, exec, s[8:9]
	s_and_b64 s[4:5], s[4:5], exec
	s_or_saveexec_b64 s[6:7], s[6:7]
	v_mov_b32_e32 v11, s10
	s_xor_b64 exec, exec, s[6:7]
	s_cbranch_execz .LBB48_614
.LBB48_2664:
	v_mov_b32_e32 v11, 0
	v_cmp_ne_u16_sdwa s[8:9], v13, v11 src0_sel:BYTE_0 src1_sel:DWORD
	s_andn2_b64 s[4:5], s[4:5], exec
	s_and_b64 s[8:9], s[8:9], exec
	s_or_b64 s[4:5], s[4:5], s[8:9]
	s_or_b64 exec, exec, s[6:7]
	s_and_saveexec_b64 s[6:7], s[4:5]
	s_cbranch_execnz .LBB48_615
	s_branch .LBB48_616
.LBB48_2665:
	s_movk_i32 s4, 0x80
	v_cmp_eq_u16_sdwa s[12:13], v11, s4 src0_sel:BYTE_0 src1_sel:DWORD
	s_mov_b64 s[4:5], -1
                                        ; implicit-def: $sgpr10
	s_and_saveexec_b64 s[8:9], s[12:13]
; %bb.2666:
	s_mov_b32 s10, 0x7f800001
	s_xor_b64 s[4:5], exec, -1
; %bb.2667:
	s_or_b64 exec, exec, s[8:9]
	s_and_b64 s[4:5], s[4:5], exec
	s_or_saveexec_b64 s[6:7], s[6:7]
	v_mov_b32_e32 v10, s10
	s_xor_b64 exec, exec, s[6:7]
	s_cbranch_execz .LBB48_618
.LBB48_2668:
	v_mov_b32_e32 v10, 0
	v_cmp_ne_u16_sdwa s[8:9], v11, v10 src0_sel:BYTE_0 src1_sel:DWORD
	s_andn2_b64 s[4:5], s[4:5], exec
	s_and_b64 s[8:9], s[8:9], exec
	s_or_b64 s[4:5], s[4:5], s[8:9]
	s_or_b64 exec, exec, s[6:7]
	s_and_saveexec_b64 s[6:7], s[4:5]
	s_cbranch_execnz .LBB48_619
	s_branch .LBB48_620
.LBB48_2669:
	s_movk_i32 s4, 0x80
	v_cmp_eq_u16_sdwa s[12:13], v11, s4 src0_sel:BYTE_0 src1_sel:DWORD
	s_mov_b64 s[4:5], -1
                                        ; implicit-def: $sgpr10
	s_and_saveexec_b64 s[8:9], s[12:13]
; %bb.2670:
	s_mov_b32 s10, 0x7f800001
	s_xor_b64 s[4:5], exec, -1
; %bb.2671:
	s_or_b64 exec, exec, s[8:9]
	s_and_b64 s[4:5], s[4:5], exec
	s_or_saveexec_b64 s[6:7], s[6:7]
	v_mov_b32_e32 v12, s10
	s_xor_b64 exec, exec, s[6:7]
	s_cbranch_execz .LBB48_622
.LBB48_2672:
	v_mov_b32_e32 v12, 0
	v_cmp_ne_u16_sdwa s[8:9], v11, v12 src0_sel:BYTE_0 src1_sel:DWORD
	s_andn2_b64 s[4:5], s[4:5], exec
	s_and_b64 s[8:9], s[8:9], exec
	s_or_b64 s[4:5], s[4:5], s[8:9]
	s_or_b64 exec, exec, s[6:7]
	s_and_saveexec_b64 s[6:7], s[4:5]
	s_cbranch_execnz .LBB48_623
	s_branch .LBB48_624
.LBB48_2673:
	s_movk_i32 s4, 0x80
	v_cmp_eq_u16_e32 vcc, s4, v11
	s_mov_b64 s[4:5], -1
                                        ; implicit-def: $sgpr10
	s_and_saveexec_b64 s[8:9], vcc
; %bb.2674:
	s_mov_b32 s10, 0x7f800001
	s_xor_b64 s[4:5], exec, -1
; %bb.2675:
	s_or_b64 exec, exec, s[8:9]
	s_and_b64 s[4:5], s[4:5], exec
                                        ; implicit-def: $vgpr11
	s_or_saveexec_b64 s[6:7], s[6:7]
	v_mov_b32_e32 v10, s10
	s_xor_b64 exec, exec, s[6:7]
	s_cbranch_execz .LBB48_626
.LBB48_2676:
	v_cmp_ne_u16_e32 vcc, 0, v11
	s_andn2_b64 s[4:5], s[4:5], exec
	s_and_b64 s[8:9], vcc, exec
	v_mov_b32_e32 v10, 0
	s_or_b64 s[4:5], s[4:5], s[8:9]
	s_or_b64 exec, exec, s[6:7]
	s_and_saveexec_b64 s[6:7], s[4:5]
	s_cbranch_execnz .LBB48_627
	s_branch .LBB48_628
.LBB48_2677:
	s_movk_i32 s4, 0x80
	v_cmp_eq_u16_e32 vcc, s4, v11
	s_mov_b64 s[4:5], -1
                                        ; implicit-def: $sgpr10
	s_and_saveexec_b64 s[8:9], vcc
; %bb.2678:
	s_mov_b32 s10, 0x7f800001
	s_xor_b64 s[4:5], exec, -1
; %bb.2679:
	s_or_b64 exec, exec, s[8:9]
	s_and_b64 s[4:5], s[4:5], exec
                                        ; implicit-def: $vgpr11
	s_or_saveexec_b64 s[6:7], s[6:7]
	v_mov_b32_e32 v12, s10
	s_xor_b64 exec, exec, s[6:7]
	s_cbranch_execz .LBB48_630
.LBB48_2680:
	v_cmp_ne_u16_e32 vcc, 0, v11
	s_andn2_b64 s[4:5], s[4:5], exec
	s_and_b64 s[8:9], vcc, exec
	v_mov_b32_e32 v12, 0
	s_or_b64 s[4:5], s[4:5], s[8:9]
	s_or_b64 exec, exec, s[6:7]
	s_and_saveexec_b64 s[6:7], s[4:5]
	s_cbranch_execnz .LBB48_631
	s_branch .LBB48_632
.LBB48_2681:
	s_movk_i32 s4, 0x80
	v_cmp_eq_u16_sdwa s[12:13], v17, s4 src0_sel:BYTE_3 src1_sel:DWORD
	s_mov_b64 s[4:5], -1
                                        ; implicit-def: $sgpr10
	s_and_saveexec_b64 s[8:9], s[12:13]
; %bb.2682:
	s_mov_b32 s10, 0x7f800001
	s_xor_b64 s[4:5], exec, -1
; %bb.2683:
	s_or_b64 exec, exec, s[8:9]
	s_and_b64 s[4:5], s[4:5], exec
	s_or_saveexec_b64 s[6:7], s[6:7]
	v_mov_b32_e32 v10, s10
	s_xor_b64 exec, exec, s[6:7]
	s_cbranch_execz .LBB48_634
.LBB48_2684:
	v_mov_b32_e32 v10, 0
	v_cmp_ne_u16_sdwa s[8:9], v17, v10 src0_sel:BYTE_3 src1_sel:DWORD
	s_andn2_b64 s[4:5], s[4:5], exec
	s_and_b64 s[8:9], s[8:9], exec
	s_or_b64 s[4:5], s[4:5], s[8:9]
	s_or_b64 exec, exec, s[6:7]
	s_and_saveexec_b64 s[6:7], s[4:5]
	s_cbranch_execnz .LBB48_635
	s_branch .LBB48_636
.LBB48_2685:
	s_movk_i32 s4, 0x80
	v_cmp_eq_u16_sdwa s[12:13], v13, s4 src0_sel:BYTE_3 src1_sel:DWORD
	s_mov_b64 s[4:5], -1
                                        ; implicit-def: $sgpr10
	s_and_saveexec_b64 s[8:9], s[12:13]
; %bb.2686:
	s_mov_b32 s10, 0x7f800001
	s_xor_b64 s[4:5], exec, -1
; %bb.2687:
	s_or_b64 exec, exec, s[8:9]
	s_and_b64 s[4:5], s[4:5], exec
	s_or_saveexec_b64 s[6:7], s[6:7]
	v_mov_b32_e32 v11, s10
	s_xor_b64 exec, exec, s[6:7]
	s_cbranch_execz .LBB48_638
.LBB48_2688:
	v_mov_b32_e32 v11, 0
	v_cmp_ne_u16_sdwa s[8:9], v13, v11 src0_sel:BYTE_3 src1_sel:DWORD
	s_andn2_b64 s[4:5], s[4:5], exec
	s_and_b64 s[8:9], s[8:9], exec
	s_or_b64 s[4:5], s[4:5], s[8:9]
	s_or_b64 exec, exec, s[6:7]
	s_and_saveexec_b64 s[6:7], s[4:5]
	s_cbranch_execnz .LBB48_639
	s_branch .LBB48_640
.LBB48_2689:
	s_movk_i32 s4, 0x80
	v_cmp_eq_u16_sdwa s[12:13], v6, s4 src0_sel:BYTE_0 src1_sel:DWORD
	s_mov_b64 s[4:5], -1
                                        ; implicit-def: $sgpr10
	s_and_saveexec_b64 s[8:9], s[12:13]
; %bb.2690:
	s_mov_b32 s10, 0x7f800001
	s_xor_b64 s[4:5], exec, -1
; %bb.2691:
	s_or_b64 exec, exec, s[8:9]
	s_and_b64 s[4:5], s[4:5], exec
	s_or_saveexec_b64 s[6:7], s[6:7]
	v_mov_b32_e32 v10, s10
	s_xor_b64 exec, exec, s[6:7]
	s_cbranch_execz .LBB48_642
.LBB48_2692:
	v_mov_b32_e32 v10, 0
	v_cmp_ne_u16_sdwa s[8:9], v6, v10 src0_sel:BYTE_0 src1_sel:DWORD
	s_andn2_b64 s[4:5], s[4:5], exec
	s_and_b64 s[8:9], s[8:9], exec
	s_or_b64 s[4:5], s[4:5], s[8:9]
	s_or_b64 exec, exec, s[6:7]
	s_and_saveexec_b64 s[6:7], s[4:5]
	s_cbranch_execnz .LBB48_643
	s_branch .LBB48_644
.LBB48_2693:
	s_movk_i32 s4, 0x80
	v_cmp_eq_u16_sdwa s[12:13], v2, s4 src0_sel:BYTE_0 src1_sel:DWORD
	s_mov_b64 s[4:5], -1
                                        ; implicit-def: $sgpr10
	s_and_saveexec_b64 s[8:9], s[12:13]
; %bb.2694:
	s_mov_b32 s10, 0x7f800001
	s_xor_b64 s[4:5], exec, -1
; %bb.2695:
	s_or_b64 exec, exec, s[8:9]
	s_and_b64 s[4:5], s[4:5], exec
	s_or_saveexec_b64 s[6:7], s[6:7]
	v_mov_b32_e32 v11, s10
	s_xor_b64 exec, exec, s[6:7]
	s_cbranch_execz .LBB48_646
.LBB48_2696:
	v_mov_b32_e32 v11, 0
	v_cmp_ne_u16_sdwa s[8:9], v2, v11 src0_sel:BYTE_0 src1_sel:DWORD
	s_andn2_b64 s[4:5], s[4:5], exec
	s_and_b64 s[8:9], s[8:9], exec
	s_or_b64 s[4:5], s[4:5], s[8:9]
	s_or_b64 exec, exec, s[6:7]
	s_and_saveexec_b64 s[6:7], s[4:5]
	s_cbranch_execnz .LBB48_647
	s_branch .LBB48_648
.LBB48_2697:
	s_movk_i32 s4, 0x80
	v_cmp_eq_u16_sdwa s[12:13], v11, s4 src0_sel:BYTE_0 src1_sel:DWORD
	s_mov_b64 s[4:5], -1
                                        ; implicit-def: $sgpr10
	s_and_saveexec_b64 s[8:9], s[12:13]
; %bb.2698:
	s_mov_b32 s10, 0x7f800001
	s_xor_b64 s[4:5], exec, -1
; %bb.2699:
	s_or_b64 exec, exec, s[8:9]
	s_and_b64 s[4:5], s[4:5], exec
	s_or_saveexec_b64 s[6:7], s[6:7]
	v_mov_b32_e32 v10, s10
	s_xor_b64 exec, exec, s[6:7]
	s_cbranch_execz .LBB48_650
.LBB48_2700:
	v_mov_b32_e32 v10, 0
	v_cmp_ne_u16_sdwa s[8:9], v11, v10 src0_sel:BYTE_0 src1_sel:DWORD
	s_andn2_b64 s[4:5], s[4:5], exec
	s_and_b64 s[8:9], s[8:9], exec
	s_or_b64 s[4:5], s[4:5], s[8:9]
	s_or_b64 exec, exec, s[6:7]
	s_and_saveexec_b64 s[6:7], s[4:5]
	s_cbranch_execnz .LBB48_651
	s_branch .LBB48_652
.LBB48_2701:
	s_movk_i32 s4, 0x80
	v_cmp_eq_u16_sdwa s[12:13], v11, s4 src0_sel:BYTE_0 src1_sel:DWORD
	s_mov_b64 s[4:5], -1
                                        ; implicit-def: $sgpr10
	s_and_saveexec_b64 s[8:9], s[12:13]
; %bb.2702:
	s_mov_b32 s10, 0x7f800001
	s_xor_b64 s[4:5], exec, -1
; %bb.2703:
	s_or_b64 exec, exec, s[8:9]
	s_and_b64 s[4:5], s[4:5], exec
	s_or_saveexec_b64 s[6:7], s[6:7]
	v_mov_b32_e32 v12, s10
	s_xor_b64 exec, exec, s[6:7]
	s_cbranch_execz .LBB48_654
.LBB48_2704:
	v_mov_b32_e32 v12, 0
	v_cmp_ne_u16_sdwa s[8:9], v11, v12 src0_sel:BYTE_0 src1_sel:DWORD
	s_andn2_b64 s[4:5], s[4:5], exec
	s_and_b64 s[8:9], s[8:9], exec
	s_or_b64 s[4:5], s[4:5], s[8:9]
	s_or_b64 exec, exec, s[6:7]
	s_and_saveexec_b64 s[6:7], s[4:5]
	s_cbranch_execnz .LBB48_655
	s_branch .LBB48_656
.LBB48_2705:
	s_movk_i32 s4, 0x80
	v_cmp_eq_u16_e32 vcc, s4, v11
	s_mov_b64 s[4:5], -1
                                        ; implicit-def: $sgpr10
	s_and_saveexec_b64 s[8:9], vcc
; %bb.2706:
	s_mov_b32 s10, 0x7f800001
	s_xor_b64 s[4:5], exec, -1
; %bb.2707:
	s_or_b64 exec, exec, s[8:9]
	s_and_b64 s[4:5], s[4:5], exec
                                        ; implicit-def: $vgpr11
	s_or_saveexec_b64 s[6:7], s[6:7]
	v_mov_b32_e32 v10, s10
	s_xor_b64 exec, exec, s[6:7]
	s_cbranch_execz .LBB48_658
.LBB48_2708:
	v_cmp_ne_u16_e32 vcc, 0, v11
	s_andn2_b64 s[4:5], s[4:5], exec
	s_and_b64 s[8:9], vcc, exec
	v_mov_b32_e32 v10, 0
	s_or_b64 s[4:5], s[4:5], s[8:9]
	s_or_b64 exec, exec, s[6:7]
	s_and_saveexec_b64 s[6:7], s[4:5]
	s_cbranch_execnz .LBB48_659
	s_branch .LBB48_660
.LBB48_2709:
	s_movk_i32 s4, 0x80
	v_cmp_eq_u16_e32 vcc, s4, v11
	s_mov_b64 s[4:5], -1
                                        ; implicit-def: $sgpr10
	s_and_saveexec_b64 s[8:9], vcc
; %bb.2710:
	s_mov_b32 s10, 0x7f800001
	s_xor_b64 s[4:5], exec, -1
; %bb.2711:
	s_or_b64 exec, exec, s[8:9]
	s_and_b64 s[4:5], s[4:5], exec
                                        ; implicit-def: $vgpr11
	s_or_saveexec_b64 s[6:7], s[6:7]
	v_mov_b32_e32 v12, s10
	s_xor_b64 exec, exec, s[6:7]
	s_cbranch_execz .LBB48_662
.LBB48_2712:
	v_cmp_ne_u16_e32 vcc, 0, v11
	s_andn2_b64 s[4:5], s[4:5], exec
	s_and_b64 s[8:9], vcc, exec
	v_mov_b32_e32 v12, 0
	s_or_b64 s[4:5], s[4:5], s[8:9]
	s_or_b64 exec, exec, s[6:7]
	s_and_saveexec_b64 s[6:7], s[4:5]
	s_cbranch_execnz .LBB48_663
	s_branch .LBB48_664
.LBB48_2713:
	s_movk_i32 s4, 0x80
	v_cmp_eq_u16_sdwa s[12:13], v6, s4 src0_sel:BYTE_3 src1_sel:DWORD
	s_mov_b64 s[4:5], -1
                                        ; implicit-def: $sgpr10
	s_and_saveexec_b64 s[8:9], s[12:13]
; %bb.2714:
	s_mov_b32 s10, 0x7f800001
	s_xor_b64 s[4:5], exec, -1
; %bb.2715:
	s_or_b64 exec, exec, s[8:9]
	s_and_b64 s[4:5], s[4:5], exec
	s_or_saveexec_b64 s[6:7], s[6:7]
	v_mov_b32_e32 v10, s10
	s_xor_b64 exec, exec, s[6:7]
	s_cbranch_execz .LBB48_666
.LBB48_2716:
	v_mov_b32_e32 v10, 0
	v_cmp_ne_u16_sdwa s[8:9], v6, v10 src0_sel:BYTE_3 src1_sel:DWORD
	s_andn2_b64 s[4:5], s[4:5], exec
	s_and_b64 s[8:9], s[8:9], exec
	s_or_b64 s[4:5], s[4:5], s[8:9]
	s_or_b64 exec, exec, s[6:7]
	s_and_saveexec_b64 s[6:7], s[4:5]
	s_cbranch_execnz .LBB48_667
	s_branch .LBB48_668
.LBB48_2717:
	s_movk_i32 s4, 0x80
	v_cmp_eq_u16_sdwa s[12:13], v2, s4 src0_sel:BYTE_3 src1_sel:DWORD
	s_mov_b64 s[4:5], -1
                                        ; implicit-def: $sgpr10
	s_and_saveexec_b64 s[8:9], s[12:13]
; %bb.2718:
	s_mov_b32 s10, 0x7f800001
	s_xor_b64 s[4:5], exec, -1
; %bb.2719:
	s_or_b64 exec, exec, s[8:9]
	s_and_b64 s[4:5], s[4:5], exec
	s_or_saveexec_b64 s[6:7], s[6:7]
	v_mov_b32_e32 v6, s10
	s_xor_b64 exec, exec, s[6:7]
	s_cbranch_execz .LBB48_670
.LBB48_2720:
	v_mov_b32_e32 v6, 0
	v_cmp_ne_u16_sdwa s[8:9], v2, v6 src0_sel:BYTE_3 src1_sel:DWORD
	s_andn2_b64 s[4:5], s[4:5], exec
	s_and_b64 s[8:9], s[8:9], exec
	s_or_b64 s[4:5], s[4:5], s[8:9]
	s_or_b64 exec, exec, s[6:7]
	s_and_saveexec_b64 s[6:7], s[4:5]
	s_cbranch_execnz .LBB48_671
	s_branch .LBB48_672
.LBB48_2721:
	s_movk_i32 s4, 0x80
	v_cmp_eq_u16_sdwa s[12:13], v7, s4 src0_sel:BYTE_0 src1_sel:DWORD
	s_mov_b64 s[4:5], -1
                                        ; implicit-def: $sgpr10
	s_and_saveexec_b64 s[8:9], s[12:13]
; %bb.2722:
	s_mov_b32 s10, 0x7f800001
	s_xor_b64 s[4:5], exec, -1
; %bb.2723:
	s_or_b64 exec, exec, s[8:9]
	s_and_b64 s[4:5], s[4:5], exec
	s_or_saveexec_b64 s[6:7], s[6:7]
	v_mov_b32_e32 v2, s10
	s_xor_b64 exec, exec, s[6:7]
	s_cbranch_execz .LBB48_674
.LBB48_2724:
	v_mov_b32_e32 v2, 0
	v_cmp_ne_u16_sdwa s[8:9], v7, v2 src0_sel:BYTE_0 src1_sel:DWORD
	s_andn2_b64 s[4:5], s[4:5], exec
	s_and_b64 s[8:9], s[8:9], exec
	s_or_b64 s[4:5], s[4:5], s[8:9]
	s_or_b64 exec, exec, s[6:7]
	s_and_saveexec_b64 s[6:7], s[4:5]
	s_cbranch_execnz .LBB48_675
	s_branch .LBB48_676
.LBB48_2725:
	s_movk_i32 s4, 0x80
	v_cmp_eq_u16_sdwa s[12:13], v3, s4 src0_sel:BYTE_0 src1_sel:DWORD
	s_mov_b64 s[4:5], -1
                                        ; implicit-def: $sgpr10
	s_and_saveexec_b64 s[8:9], s[12:13]
; %bb.2726:
	s_mov_b32 s10, 0x7f800001
	s_xor_b64 s[4:5], exec, -1
; %bb.2727:
	s_or_b64 exec, exec, s[8:9]
	s_and_b64 s[4:5], s[4:5], exec
	s_or_saveexec_b64 s[6:7], s[6:7]
	v_mov_b32_e32 v6, s10
	s_xor_b64 exec, exec, s[6:7]
	s_cbranch_execz .LBB48_678
.LBB48_2728:
	v_mov_b32_e32 v6, 0
	v_cmp_ne_u16_sdwa s[8:9], v3, v6 src0_sel:BYTE_0 src1_sel:DWORD
	s_andn2_b64 s[4:5], s[4:5], exec
	s_and_b64 s[8:9], s[8:9], exec
	s_or_b64 s[4:5], s[4:5], s[8:9]
	s_or_b64 exec, exec, s[6:7]
	s_and_saveexec_b64 s[6:7], s[4:5]
	s_cbranch_execnz .LBB48_679
	s_branch .LBB48_680
.LBB48_2729:
	s_movk_i32 s4, 0x80
	v_cmp_eq_u16_sdwa s[12:13], v6, s4 src0_sel:BYTE_0 src1_sel:DWORD
	s_mov_b64 s[4:5], -1
                                        ; implicit-def: $sgpr10
	s_and_saveexec_b64 s[8:9], s[12:13]
; %bb.2730:
	s_mov_b32 s10, 0x7f800001
	s_xor_b64 s[4:5], exec, -1
; %bb.2731:
	s_or_b64 exec, exec, s[8:9]
	s_and_b64 s[4:5], s[4:5], exec
	s_or_saveexec_b64 s[6:7], s[6:7]
	v_mov_b32_e32 v2, s10
	s_xor_b64 exec, exec, s[6:7]
	s_cbranch_execz .LBB48_682
.LBB48_2732:
	v_mov_b32_e32 v2, 0
	v_cmp_ne_u16_sdwa s[8:9], v6, v2 src0_sel:BYTE_0 src1_sel:DWORD
	s_andn2_b64 s[4:5], s[4:5], exec
	s_and_b64 s[8:9], s[8:9], exec
	s_or_b64 s[4:5], s[4:5], s[8:9]
	s_or_b64 exec, exec, s[6:7]
	s_and_saveexec_b64 s[6:7], s[4:5]
	s_cbranch_execnz .LBB48_683
	s_branch .LBB48_684
.LBB48_2733:
	s_movk_i32 s4, 0x80
	v_cmp_eq_u16_sdwa s[12:13], v6, s4 src0_sel:BYTE_0 src1_sel:DWORD
	s_mov_b64 s[4:5], -1
                                        ; implicit-def: $sgpr10
	s_and_saveexec_b64 s[8:9], s[12:13]
; %bb.2734:
	s_mov_b32 s10, 0x7f800001
	s_xor_b64 s[4:5], exec, -1
; %bb.2735:
	s_or_b64 exec, exec, s[8:9]
	s_and_b64 s[4:5], s[4:5], exec
	s_or_saveexec_b64 s[6:7], s[6:7]
	v_mov_b32_e32 v10, s10
	s_xor_b64 exec, exec, s[6:7]
	s_cbranch_execz .LBB48_686
.LBB48_2736:
	v_mov_b32_e32 v10, 0
	v_cmp_ne_u16_sdwa s[8:9], v6, v10 src0_sel:BYTE_0 src1_sel:DWORD
	s_andn2_b64 s[4:5], s[4:5], exec
	s_and_b64 s[8:9], s[8:9], exec
	s_or_b64 s[4:5], s[4:5], s[8:9]
	s_or_b64 exec, exec, s[6:7]
	s_and_saveexec_b64 s[6:7], s[4:5]
	s_cbranch_execnz .LBB48_687
	s_branch .LBB48_688
.LBB48_2737:
	s_movk_i32 s4, 0x80
	v_cmp_eq_u16_e32 vcc, s4, v6
	s_mov_b64 s[4:5], -1
                                        ; implicit-def: $sgpr10
	s_and_saveexec_b64 s[8:9], vcc
; %bb.2738:
	s_mov_b32 s10, 0x7f800001
	s_xor_b64 s[4:5], exec, -1
; %bb.2739:
	s_or_b64 exec, exec, s[8:9]
	s_and_b64 s[4:5], s[4:5], exec
                                        ; implicit-def: $vgpr6
	s_or_saveexec_b64 s[6:7], s[6:7]
	v_mov_b32_e32 v2, s10
	s_xor_b64 exec, exec, s[6:7]
	s_cbranch_execz .LBB48_690
.LBB48_2740:
	v_cmp_ne_u16_e32 vcc, 0, v6
	s_andn2_b64 s[4:5], s[4:5], exec
	s_and_b64 s[8:9], vcc, exec
	v_mov_b32_e32 v2, 0
	s_or_b64 s[4:5], s[4:5], s[8:9]
	s_or_b64 exec, exec, s[6:7]
	s_and_saveexec_b64 s[6:7], s[4:5]
	s_cbranch_execnz .LBB48_691
	s_branch .LBB48_692
.LBB48_2741:
	s_movk_i32 s4, 0x80
	v_cmp_eq_u16_e32 vcc, s4, v6
	s_mov_b64 s[4:5], -1
                                        ; implicit-def: $sgpr10
	s_and_saveexec_b64 s[8:9], vcc
; %bb.2742:
	s_mov_b32 s10, 0x7f800001
	s_xor_b64 s[4:5], exec, -1
; %bb.2743:
	s_or_b64 exec, exec, s[8:9]
	s_and_b64 s[4:5], s[4:5], exec
                                        ; implicit-def: $vgpr6
	s_or_saveexec_b64 s[6:7], s[6:7]
	v_mov_b32_e32 v10, s10
	s_xor_b64 exec, exec, s[6:7]
	s_cbranch_execz .LBB48_694
.LBB48_2744:
	v_cmp_ne_u16_e32 vcc, 0, v6
	s_andn2_b64 s[4:5], s[4:5], exec
	s_and_b64 s[8:9], vcc, exec
	v_mov_b32_e32 v10, 0
	s_or_b64 s[4:5], s[4:5], s[8:9]
	s_or_b64 exec, exec, s[6:7]
	s_and_saveexec_b64 s[6:7], s[4:5]
	s_cbranch_execnz .LBB48_695
	s_branch .LBB48_696
.LBB48_2745:
	s_movk_i32 s4, 0x80
	v_cmp_eq_u16_sdwa s[12:13], v7, s4 src0_sel:BYTE_3 src1_sel:DWORD
	s_mov_b64 s[4:5], -1
                                        ; implicit-def: $sgpr10
	s_and_saveexec_b64 s[8:9], s[12:13]
; %bb.2746:
	s_mov_b32 s10, 0x7f800001
	s_xor_b64 s[4:5], exec, -1
; %bb.2747:
	s_or_b64 exec, exec, s[8:9]
	s_and_b64 s[4:5], s[4:5], exec
	s_or_saveexec_b64 s[6:7], s[6:7]
	v_mov_b32_e32 v2, s10
	s_xor_b64 exec, exec, s[6:7]
	s_cbranch_execz .LBB48_698
.LBB48_2748:
	v_mov_b32_e32 v2, 0
	v_cmp_ne_u16_sdwa s[8:9], v7, v2 src0_sel:BYTE_3 src1_sel:DWORD
	s_andn2_b64 s[4:5], s[4:5], exec
	s_and_b64 s[8:9], s[8:9], exec
	s_or_b64 s[4:5], s[4:5], s[8:9]
	s_or_b64 exec, exec, s[6:7]
	s_and_saveexec_b64 s[6:7], s[4:5]
	s_cbranch_execnz .LBB48_699
	s_branch .LBB48_700
.LBB48_2749:
	s_movk_i32 s4, 0x80
	v_cmp_eq_u16_sdwa s[12:13], v3, s4 src0_sel:BYTE_3 src1_sel:DWORD
	s_mov_b64 s[4:5], -1
                                        ; implicit-def: $sgpr10
	s_and_saveexec_b64 s[8:9], s[12:13]
; %bb.2750:
	s_mov_b32 s10, 0x7f800001
	s_xor_b64 s[4:5], exec, -1
; %bb.2751:
	s_or_b64 exec, exec, s[8:9]
	s_and_b64 s[4:5], s[4:5], exec
	s_or_saveexec_b64 s[6:7], s[6:7]
	v_mov_b32_e32 v6, s10
	s_xor_b64 exec, exec, s[6:7]
	s_cbranch_execz .LBB48_702
.LBB48_2752:
	v_mov_b32_e32 v6, 0
	v_cmp_ne_u16_sdwa s[8:9], v3, v6 src0_sel:BYTE_3 src1_sel:DWORD
	s_andn2_b64 s[4:5], s[4:5], exec
	s_and_b64 s[8:9], s[8:9], exec
	s_or_b64 s[4:5], s[4:5], s[8:9]
	s_or_b64 exec, exec, s[6:7]
	s_and_saveexec_b64 s[6:7], s[4:5]
	s_cbranch_execnz .LBB48_703
	s_branch .LBB48_704
.LBB48_2753:
	s_movk_i32 s4, 0x80
	v_cmp_eq_u16_sdwa s[12:13], v8, s4 src0_sel:BYTE_0 src1_sel:DWORD
	s_mov_b64 s[4:5], -1
                                        ; implicit-def: $sgpr10
	s_and_saveexec_b64 s[8:9], s[12:13]
; %bb.2754:
	s_mov_b32 s10, 0x7f800001
	s_xor_b64 s[4:5], exec, -1
; %bb.2755:
	s_or_b64 exec, exec, s[8:9]
	s_and_b64 s[4:5], s[4:5], exec
	s_or_saveexec_b64 s[6:7], s[6:7]
	v_mov_b32_e32 v2, s10
	s_xor_b64 exec, exec, s[6:7]
	s_cbranch_execz .LBB48_706
.LBB48_2756:
	v_mov_b32_e32 v2, 0
	v_cmp_ne_u16_sdwa s[8:9], v8, v2 src0_sel:BYTE_0 src1_sel:DWORD
	s_andn2_b64 s[4:5], s[4:5], exec
	s_and_b64 s[8:9], s[8:9], exec
	s_or_b64 s[4:5], s[4:5], s[8:9]
	s_or_b64 exec, exec, s[6:7]
	s_and_saveexec_b64 s[6:7], s[4:5]
	s_cbranch_execnz .LBB48_707
	s_branch .LBB48_708
.LBB48_2757:
	s_movk_i32 s4, 0x80
	v_cmp_eq_u16_sdwa s[12:13], v4, s4 src0_sel:BYTE_0 src1_sel:DWORD
	s_mov_b64 s[4:5], -1
                                        ; implicit-def: $sgpr10
	s_and_saveexec_b64 s[8:9], s[12:13]
; %bb.2758:
	s_mov_b32 s10, 0x7f800001
	s_xor_b64 s[4:5], exec, -1
; %bb.2759:
	s_or_b64 exec, exec, s[8:9]
	s_and_b64 s[4:5], s[4:5], exec
	s_or_saveexec_b64 s[6:7], s[6:7]
	v_mov_b32_e32 v3, s10
	s_xor_b64 exec, exec, s[6:7]
	s_cbranch_execz .LBB48_710
.LBB48_2760:
	v_mov_b32_e32 v3, 0
	v_cmp_ne_u16_sdwa s[8:9], v4, v3 src0_sel:BYTE_0 src1_sel:DWORD
	s_andn2_b64 s[4:5], s[4:5], exec
	s_and_b64 s[8:9], s[8:9], exec
	s_or_b64 s[4:5], s[4:5], s[8:9]
	s_or_b64 exec, exec, s[6:7]
	s_and_saveexec_b64 s[6:7], s[4:5]
	s_cbranch_execnz .LBB48_711
	s_branch .LBB48_712
.LBB48_2761:
	s_movk_i32 s4, 0x80
	v_cmp_eq_u16_sdwa s[12:13], v3, s4 src0_sel:BYTE_0 src1_sel:DWORD
	s_mov_b64 s[4:5], -1
                                        ; implicit-def: $sgpr10
	s_and_saveexec_b64 s[8:9], s[12:13]
; %bb.2762:
	s_mov_b32 s10, 0x7f800001
	s_xor_b64 s[4:5], exec, -1
; %bb.2763:
	s_or_b64 exec, exec, s[8:9]
	s_and_b64 s[4:5], s[4:5], exec
	s_or_saveexec_b64 s[6:7], s[6:7]
	v_mov_b32_e32 v2, s10
	s_xor_b64 exec, exec, s[6:7]
	s_cbranch_execz .LBB48_714
.LBB48_2764:
	v_mov_b32_e32 v2, 0
	v_cmp_ne_u16_sdwa s[8:9], v3, v2 src0_sel:BYTE_0 src1_sel:DWORD
	s_andn2_b64 s[4:5], s[4:5], exec
	s_and_b64 s[8:9], s[8:9], exec
	s_or_b64 s[4:5], s[4:5], s[8:9]
	s_or_b64 exec, exec, s[6:7]
	s_and_saveexec_b64 s[6:7], s[4:5]
	s_cbranch_execnz .LBB48_715
	s_branch .LBB48_716
.LBB48_2765:
	s_movk_i32 s4, 0x80
	v_cmp_eq_u16_sdwa s[12:13], v3, s4 src0_sel:BYTE_0 src1_sel:DWORD
	s_mov_b64 s[4:5], -1
                                        ; implicit-def: $sgpr10
	s_and_saveexec_b64 s[8:9], s[12:13]
; %bb.2766:
	s_mov_b32 s10, 0x7f800001
	s_xor_b64 s[4:5], exec, -1
; %bb.2767:
	s_or_b64 exec, exec, s[8:9]
	s_and_b64 s[4:5], s[4:5], exec
	s_or_saveexec_b64 s[6:7], s[6:7]
	v_mov_b32_e32 v6, s10
	s_xor_b64 exec, exec, s[6:7]
	s_cbranch_execz .LBB48_718
.LBB48_2768:
	v_mov_b32_e32 v6, 0
	v_cmp_ne_u16_sdwa s[8:9], v3, v6 src0_sel:BYTE_0 src1_sel:DWORD
	s_andn2_b64 s[4:5], s[4:5], exec
	s_and_b64 s[8:9], s[8:9], exec
	s_or_b64 s[4:5], s[4:5], s[8:9]
	s_or_b64 exec, exec, s[6:7]
	s_and_saveexec_b64 s[6:7], s[4:5]
	s_cbranch_execnz .LBB48_719
	s_branch .LBB48_720
.LBB48_2769:
	s_movk_i32 s4, 0x80
	v_cmp_eq_u16_e32 vcc, s4, v3
	s_mov_b64 s[4:5], -1
                                        ; implicit-def: $sgpr10
	s_and_saveexec_b64 s[8:9], vcc
; %bb.2770:
	s_mov_b32 s10, 0x7f800001
	s_xor_b64 s[4:5], exec, -1
; %bb.2771:
	s_or_b64 exec, exec, s[8:9]
	s_and_b64 s[4:5], s[4:5], exec
                                        ; implicit-def: $vgpr3
	s_or_saveexec_b64 s[6:7], s[6:7]
	v_mov_b32_e32 v2, s10
	s_xor_b64 exec, exec, s[6:7]
	s_cbranch_execz .LBB48_722
.LBB48_2772:
	v_cmp_ne_u16_e32 vcc, 0, v3
	s_andn2_b64 s[4:5], s[4:5], exec
	s_and_b64 s[8:9], vcc, exec
	v_mov_b32_e32 v2, 0
	s_or_b64 s[4:5], s[4:5], s[8:9]
	s_or_b64 exec, exec, s[6:7]
	s_and_saveexec_b64 s[6:7], s[4:5]
	s_cbranch_execnz .LBB48_723
	s_branch .LBB48_724
.LBB48_2773:
	s_movk_i32 s4, 0x80
	v_cmp_eq_u16_e32 vcc, s4, v3
	s_mov_b64 s[4:5], -1
                                        ; implicit-def: $sgpr10
	s_and_saveexec_b64 s[8:9], vcc
; %bb.2774:
	s_mov_b32 s10, 0x7f800001
	s_xor_b64 s[4:5], exec, -1
; %bb.2775:
	s_or_b64 exec, exec, s[8:9]
	s_and_b64 s[4:5], s[4:5], exec
                                        ; implicit-def: $vgpr3
	s_or_saveexec_b64 s[6:7], s[6:7]
	v_mov_b32_e32 v6, s10
	s_xor_b64 exec, exec, s[6:7]
	s_cbranch_execz .LBB48_726
.LBB48_2776:
	v_cmp_ne_u16_e32 vcc, 0, v3
	s_andn2_b64 s[4:5], s[4:5], exec
	s_and_b64 s[8:9], vcc, exec
	v_mov_b32_e32 v6, 0
	s_or_b64 s[4:5], s[4:5], s[8:9]
	s_or_b64 exec, exec, s[6:7]
	s_and_saveexec_b64 s[6:7], s[4:5]
	s_cbranch_execnz .LBB48_727
	s_branch .LBB48_728
.LBB48_2777:
	s_movk_i32 s4, 0x80
	v_cmp_eq_u16_sdwa s[12:13], v8, s4 src0_sel:BYTE_3 src1_sel:DWORD
	s_mov_b64 s[4:5], -1
                                        ; implicit-def: $sgpr10
	s_and_saveexec_b64 s[8:9], s[12:13]
; %bb.2778:
	s_mov_b32 s10, 0x7f800001
	s_xor_b64 s[4:5], exec, -1
; %bb.2779:
	s_or_b64 exec, exec, s[8:9]
	s_and_b64 s[4:5], s[4:5], exec
	s_or_saveexec_b64 s[6:7], s[6:7]
	v_mov_b32_e32 v2, s10
	s_xor_b64 exec, exec, s[6:7]
	s_cbranch_execz .LBB48_730
.LBB48_2780:
	v_mov_b32_e32 v2, 0
	v_cmp_ne_u16_sdwa s[8:9], v8, v2 src0_sel:BYTE_3 src1_sel:DWORD
	s_andn2_b64 s[4:5], s[4:5], exec
	s_and_b64 s[8:9], s[8:9], exec
	s_or_b64 s[4:5], s[4:5], s[8:9]
	s_or_b64 exec, exec, s[6:7]
	s_and_saveexec_b64 s[6:7], s[4:5]
	s_cbranch_execnz .LBB48_731
	s_branch .LBB48_732
.LBB48_2781:
	s_movk_i32 s4, 0x80
	v_cmp_eq_u16_sdwa s[12:13], v4, s4 src0_sel:BYTE_3 src1_sel:DWORD
	s_mov_b64 s[4:5], -1
                                        ; implicit-def: $sgpr10
	s_and_saveexec_b64 s[8:9], s[12:13]
; %bb.2782:
	s_mov_b32 s10, 0x7f800001
	s_xor_b64 s[4:5], exec, -1
; %bb.2783:
	s_or_b64 exec, exec, s[8:9]
	s_and_b64 s[4:5], s[4:5], exec
	s_or_saveexec_b64 s[6:7], s[6:7]
	v_mov_b32_e32 v3, s10
	s_xor_b64 exec, exec, s[6:7]
	s_cbranch_execz .LBB48_734
.LBB48_2784:
	v_mov_b32_e32 v3, 0
	v_cmp_ne_u16_sdwa s[8:9], v4, v3 src0_sel:BYTE_3 src1_sel:DWORD
	s_andn2_b64 s[4:5], s[4:5], exec
	s_and_b64 s[8:9], s[8:9], exec
	s_or_b64 s[4:5], s[4:5], s[8:9]
	s_or_b64 exec, exec, s[6:7]
	s_and_saveexec_b64 s[6:7], s[4:5]
	s_cbranch_execnz .LBB48_735
	s_branch .LBB48_736
.LBB48_2785:
	s_movk_i32 s4, 0x80
	v_cmp_eq_u16_sdwa s[12:13], v9, s4 src0_sel:BYTE_0 src1_sel:DWORD
	s_mov_b64 s[4:5], -1
                                        ; implicit-def: $sgpr10
	s_and_saveexec_b64 s[8:9], s[12:13]
; %bb.2786:
	s_mov_b32 s10, 0x7f800001
	s_xor_b64 s[4:5], exec, -1
; %bb.2787:
	s_or_b64 exec, exec, s[8:9]
	s_and_b64 s[4:5], s[4:5], exec
	s_or_saveexec_b64 s[6:7], s[6:7]
	v_mov_b32_e32 v2, s10
	s_xor_b64 exec, exec, s[6:7]
	s_cbranch_execz .LBB48_738
.LBB48_2788:
	v_mov_b32_e32 v2, 0
	v_cmp_ne_u16_sdwa s[8:9], v9, v2 src0_sel:BYTE_0 src1_sel:DWORD
	s_andn2_b64 s[4:5], s[4:5], exec
	s_and_b64 s[8:9], s[8:9], exec
	s_or_b64 s[4:5], s[4:5], s[8:9]
	s_or_b64 exec, exec, s[6:7]
	s_and_saveexec_b64 s[6:7], s[4:5]
	s_cbranch_execnz .LBB48_739
	s_branch .LBB48_740
.LBB48_2789:
	s_movk_i32 s4, 0x80
	v_cmp_eq_u16_sdwa s[12:13], v5, s4 src0_sel:BYTE_0 src1_sel:DWORD
	s_mov_b64 s[4:5], -1
                                        ; implicit-def: $sgpr10
	s_and_saveexec_b64 s[8:9], s[12:13]
; %bb.2790:
	s_mov_b32 s10, 0x7f800001
	s_xor_b64 s[4:5], exec, -1
; %bb.2791:
	s_or_b64 exec, exec, s[8:9]
	s_and_b64 s[4:5], s[4:5], exec
	s_or_saveexec_b64 s[6:7], s[6:7]
	v_mov_b32_e32 v3, s10
	s_xor_b64 exec, exec, s[6:7]
	s_cbranch_execz .LBB48_742
.LBB48_2792:
	v_mov_b32_e32 v3, 0
	v_cmp_ne_u16_sdwa s[8:9], v5, v3 src0_sel:BYTE_0 src1_sel:DWORD
	s_andn2_b64 s[4:5], s[4:5], exec
	s_and_b64 s[8:9], s[8:9], exec
	s_or_b64 s[4:5], s[4:5], s[8:9]
	s_or_b64 exec, exec, s[6:7]
	s_and_saveexec_b64 s[6:7], s[4:5]
	s_cbranch_execnz .LBB48_743
	s_branch .LBB48_744
.LBB48_2793:
	s_movk_i32 s4, 0x80
	v_cmp_eq_u16_sdwa s[12:13], v3, s4 src0_sel:BYTE_0 src1_sel:DWORD
	s_mov_b64 s[4:5], -1
                                        ; implicit-def: $sgpr10
	s_and_saveexec_b64 s[8:9], s[12:13]
; %bb.2794:
	s_mov_b32 s10, 0x7f800001
	s_xor_b64 s[4:5], exec, -1
; %bb.2795:
	s_or_b64 exec, exec, s[8:9]
	s_and_b64 s[4:5], s[4:5], exec
	s_or_saveexec_b64 s[6:7], s[6:7]
	v_mov_b32_e32 v2, s10
	s_xor_b64 exec, exec, s[6:7]
	s_cbranch_execz .LBB48_746
.LBB48_2796:
	v_mov_b32_e32 v2, 0
	v_cmp_ne_u16_sdwa s[8:9], v3, v2 src0_sel:BYTE_0 src1_sel:DWORD
	s_andn2_b64 s[4:5], s[4:5], exec
	s_and_b64 s[8:9], s[8:9], exec
	s_or_b64 s[4:5], s[4:5], s[8:9]
	s_or_b64 exec, exec, s[6:7]
	s_and_saveexec_b64 s[6:7], s[4:5]
	s_cbranch_execnz .LBB48_747
	s_branch .LBB48_748
.LBB48_2797:
	s_movk_i32 s4, 0x80
	v_cmp_eq_u16_sdwa s[12:13], v3, s4 src0_sel:BYTE_0 src1_sel:DWORD
	s_mov_b64 s[4:5], -1
                                        ; implicit-def: $sgpr10
	s_and_saveexec_b64 s[8:9], s[12:13]
; %bb.2798:
	s_mov_b32 s10, 0x7f800001
	s_xor_b64 s[4:5], exec, -1
; %bb.2799:
	s_or_b64 exec, exec, s[8:9]
	s_and_b64 s[4:5], s[4:5], exec
	s_or_saveexec_b64 s[6:7], s[6:7]
	v_mov_b32_e32 v4, s10
	s_xor_b64 exec, exec, s[6:7]
	s_cbranch_execz .LBB48_750
.LBB48_2800:
	v_mov_b32_e32 v4, 0
	v_cmp_ne_u16_sdwa s[8:9], v3, v4 src0_sel:BYTE_0 src1_sel:DWORD
	s_andn2_b64 s[4:5], s[4:5], exec
	s_and_b64 s[8:9], s[8:9], exec
	s_or_b64 s[4:5], s[4:5], s[8:9]
	s_or_b64 exec, exec, s[6:7]
	s_and_saveexec_b64 s[6:7], s[4:5]
	s_cbranch_execnz .LBB48_751
	s_branch .LBB48_752
.LBB48_2801:
	s_movk_i32 s4, 0x80
	v_cmp_eq_u16_e32 vcc, s4, v3
	s_mov_b64 s[4:5], -1
                                        ; implicit-def: $sgpr10
	s_and_saveexec_b64 s[8:9], vcc
; %bb.2802:
	s_mov_b32 s10, 0x7f800001
	s_xor_b64 s[4:5], exec, -1
; %bb.2803:
	s_or_b64 exec, exec, s[8:9]
	s_and_b64 s[4:5], s[4:5], exec
                                        ; implicit-def: $vgpr3
	s_or_saveexec_b64 s[6:7], s[6:7]
	v_mov_b32_e32 v2, s10
	s_xor_b64 exec, exec, s[6:7]
	s_cbranch_execz .LBB48_754
.LBB48_2804:
	v_cmp_ne_u16_e32 vcc, 0, v3
	s_andn2_b64 s[4:5], s[4:5], exec
	s_and_b64 s[8:9], vcc, exec
	v_mov_b32_e32 v2, 0
	s_or_b64 s[4:5], s[4:5], s[8:9]
	s_or_b64 exec, exec, s[6:7]
	s_and_saveexec_b64 s[6:7], s[4:5]
	s_cbranch_execnz .LBB48_755
	s_branch .LBB48_756
.LBB48_2805:
	s_movk_i32 s4, 0x80
	v_cmp_eq_u16_e32 vcc, s4, v3
	s_mov_b64 s[4:5], -1
                                        ; implicit-def: $sgpr10
	s_and_saveexec_b64 s[8:9], vcc
; %bb.2806:
	s_mov_b32 s10, 0x7f800001
	s_xor_b64 s[4:5], exec, -1
; %bb.2807:
	s_or_b64 exec, exec, s[8:9]
	s_and_b64 s[4:5], s[4:5], exec
                                        ; implicit-def: $vgpr3
	s_or_saveexec_b64 s[6:7], s[6:7]
	v_mov_b32_e32 v4, s10
	s_xor_b64 exec, exec, s[6:7]
	s_cbranch_execz .LBB48_758
.LBB48_2808:
	v_cmp_ne_u16_e32 vcc, 0, v3
	s_andn2_b64 s[4:5], s[4:5], exec
	s_and_b64 s[8:9], vcc, exec
	v_mov_b32_e32 v4, 0
	s_or_b64 s[4:5], s[4:5], s[8:9]
	s_or_b64 exec, exec, s[6:7]
	s_and_saveexec_b64 s[6:7], s[4:5]
	s_cbranch_execnz .LBB48_759
	s_branch .LBB48_760
.LBB48_2809:
	s_movk_i32 s4, 0x80
	v_cmp_eq_u16_sdwa s[12:13], v9, s4 src0_sel:BYTE_3 src1_sel:DWORD
	s_mov_b64 s[4:5], -1
                                        ; implicit-def: $sgpr10
	s_and_saveexec_b64 s[8:9], s[12:13]
; %bb.2810:
	s_mov_b32 s10, 0x7f800001
	s_xor_b64 s[4:5], exec, -1
; %bb.2811:
	s_or_b64 exec, exec, s[8:9]
	s_and_b64 s[4:5], s[4:5], exec
	s_or_saveexec_b64 s[6:7], s[6:7]
	v_mov_b32_e32 v2, s10
	s_xor_b64 exec, exec, s[6:7]
	s_cbranch_execz .LBB48_762
.LBB48_2812:
	v_mov_b32_e32 v2, 0
	v_cmp_ne_u16_sdwa s[8:9], v9, v2 src0_sel:BYTE_3 src1_sel:DWORD
	s_andn2_b64 s[4:5], s[4:5], exec
	s_and_b64 s[8:9], s[8:9], exec
	s_or_b64 s[4:5], s[4:5], s[8:9]
	s_or_b64 exec, exec, s[6:7]
	s_and_saveexec_b64 s[6:7], s[4:5]
	s_cbranch_execnz .LBB48_763
	s_branch .LBB48_764
.LBB48_2813:
	s_movk_i32 s4, 0x80
	v_cmp_eq_u16_sdwa s[12:13], v5, s4 src0_sel:BYTE_3 src1_sel:DWORD
	s_mov_b64 s[4:5], -1
                                        ; implicit-def: $sgpr10
	s_and_saveexec_b64 s[8:9], s[12:13]
; %bb.2814:
	s_mov_b32 s10, 0x7f800001
	s_xor_b64 s[4:5], exec, -1
; %bb.2815:
	s_or_b64 exec, exec, s[8:9]
	s_and_b64 s[4:5], s[4:5], exec
	s_or_saveexec_b64 s[6:7], s[6:7]
	v_mov_b32_e32 v3, s10
	s_xor_b64 exec, exec, s[6:7]
	s_cbranch_execz .LBB48_766
.LBB48_2816:
	v_mov_b32_e32 v3, 0
	v_cmp_ne_u16_sdwa s[8:9], v5, v3 src0_sel:BYTE_3 src1_sel:DWORD
	s_andn2_b64 s[4:5], s[4:5], exec
	s_and_b64 s[8:9], s[8:9], exec
	s_or_b64 s[4:5], s[4:5], s[8:9]
	s_or_b64 exec, exec, s[6:7]
	s_and_saveexec_b64 s[6:7], s[4:5]
	s_cbranch_execnz .LBB48_767
	s_branch .LBB48_768
.LBB48_2817:
	s_movk_i32 s4, 0x80
	v_cmp_eq_u16_sdwa s[12:13], v14, s4 src0_sel:BYTE_0 src1_sel:DWORD
	s_mov_b64 s[4:5], -1
                                        ; implicit-def: $sgpr10
	s_and_saveexec_b64 s[8:9], s[12:13]
; %bb.2818:
	s_mov_b32 s10, 0x7f800001
	s_xor_b64 s[4:5], exec, -1
; %bb.2819:
	s_or_b64 exec, exec, s[8:9]
	s_and_b64 s[4:5], s[4:5], exec
	s_or_saveexec_b64 s[6:7], s[6:7]
	v_mov_b32_e32 v20, s10
	s_xor_b64 exec, exec, s[6:7]
	s_cbranch_execz .LBB48_770
.LBB48_2820:
	v_mov_b32_e32 v20, 0
	v_cmp_ne_u16_sdwa s[8:9], v14, v20 src0_sel:BYTE_0 src1_sel:DWORD
	s_andn2_b64 s[4:5], s[4:5], exec
	s_and_b64 s[8:9], s[8:9], exec
	s_or_b64 s[4:5], s[4:5], s[8:9]
	s_or_b64 exec, exec, s[6:7]
	s_and_saveexec_b64 s[6:7], s[4:5]
	s_cbranch_execnz .LBB48_771
	s_branch .LBB48_772
.LBB48_2821:
	s_movk_i32 s4, 0x80
	v_cmp_eq_u16_sdwa s[12:13], v10, s4 src0_sel:BYTE_0 src1_sel:DWORD
	s_mov_b64 s[4:5], -1
                                        ; implicit-def: $sgpr10
	s_and_saveexec_b64 s[8:9], s[12:13]
; %bb.2822:
	s_mov_b32 s10, 0x7f800001
	s_xor_b64 s[4:5], exec, -1
; %bb.2823:
	s_or_b64 exec, exec, s[8:9]
	s_and_b64 s[4:5], s[4:5], exec
	s_or_saveexec_b64 s[6:7], s[6:7]
	v_mov_b32_e32 v21, s10
	s_xor_b64 exec, exec, s[6:7]
	s_cbranch_execz .LBB48_774
.LBB48_2824:
	v_mov_b32_e32 v21, 0
	v_cmp_ne_u16_sdwa s[8:9], v10, v21 src0_sel:BYTE_0 src1_sel:DWORD
	s_andn2_b64 s[4:5], s[4:5], exec
	s_and_b64 s[8:9], s[8:9], exec
	s_or_b64 s[4:5], s[4:5], s[8:9]
	s_or_b64 exec, exec, s[6:7]
	s_and_saveexec_b64 s[6:7], s[4:5]
	s_cbranch_execnz .LBB48_775
	s_branch .LBB48_776
.LBB48_2825:
	s_movk_i32 s4, 0x80
	v_cmp_eq_u16_sdwa s[12:13], v21, s4 src0_sel:BYTE_0 src1_sel:DWORD
	s_mov_b64 s[4:5], -1
                                        ; implicit-def: $sgpr10
	s_and_saveexec_b64 s[8:9], s[12:13]
; %bb.2826:
	s_mov_b32 s10, 0x7f800001
	s_xor_b64 s[4:5], exec, -1
; %bb.2827:
	s_or_b64 exec, exec, s[8:9]
	s_and_b64 s[4:5], s[4:5], exec
	s_or_saveexec_b64 s[6:7], s[6:7]
	v_mov_b32_e32 v20, s10
	s_xor_b64 exec, exec, s[6:7]
	s_cbranch_execz .LBB48_778
.LBB48_2828:
	v_mov_b32_e32 v20, 0
	v_cmp_ne_u16_sdwa s[8:9], v21, v20 src0_sel:BYTE_0 src1_sel:DWORD
	s_andn2_b64 s[4:5], s[4:5], exec
	s_and_b64 s[8:9], s[8:9], exec
	s_or_b64 s[4:5], s[4:5], s[8:9]
	s_or_b64 exec, exec, s[6:7]
	s_and_saveexec_b64 s[6:7], s[4:5]
	s_cbranch_execnz .LBB48_779
	s_branch .LBB48_780
.LBB48_2829:
	s_movk_i32 s4, 0x80
	v_cmp_eq_u16_sdwa s[12:13], v21, s4 src0_sel:BYTE_0 src1_sel:DWORD
	s_mov_b64 s[4:5], -1
                                        ; implicit-def: $sgpr10
	s_and_saveexec_b64 s[8:9], s[12:13]
; %bb.2830:
	s_mov_b32 s10, 0x7f800001
	s_xor_b64 s[4:5], exec, -1
; %bb.2831:
	s_or_b64 exec, exec, s[8:9]
	s_and_b64 s[4:5], s[4:5], exec
	s_or_saveexec_b64 s[6:7], s[6:7]
	v_mov_b32_e32 v22, s10
	s_xor_b64 exec, exec, s[6:7]
	s_cbranch_execz .LBB48_782
.LBB48_2832:
	v_mov_b32_e32 v22, 0
	v_cmp_ne_u16_sdwa s[8:9], v21, v22 src0_sel:BYTE_0 src1_sel:DWORD
	s_andn2_b64 s[4:5], s[4:5], exec
	s_and_b64 s[8:9], s[8:9], exec
	s_or_b64 s[4:5], s[4:5], s[8:9]
	s_or_b64 exec, exec, s[6:7]
	s_and_saveexec_b64 s[6:7], s[4:5]
	s_cbranch_execnz .LBB48_783
	s_branch .LBB48_784
.LBB48_2833:
	s_movk_i32 s4, 0x80
	v_cmp_eq_u16_e32 vcc, s4, v21
	s_mov_b64 s[4:5], -1
                                        ; implicit-def: $sgpr10
	s_and_saveexec_b64 s[8:9], vcc
; %bb.2834:
	s_mov_b32 s10, 0x7f800001
	s_xor_b64 s[4:5], exec, -1
; %bb.2835:
	s_or_b64 exec, exec, s[8:9]
	s_and_b64 s[4:5], s[4:5], exec
                                        ; implicit-def: $vgpr21
	s_or_saveexec_b64 s[6:7], s[6:7]
	v_mov_b32_e32 v20, s10
	s_xor_b64 exec, exec, s[6:7]
	s_cbranch_execz .LBB48_786
.LBB48_2836:
	v_cmp_ne_u16_e32 vcc, 0, v21
	s_andn2_b64 s[4:5], s[4:5], exec
	s_and_b64 s[8:9], vcc, exec
	v_mov_b32_e32 v20, 0
	s_or_b64 s[4:5], s[4:5], s[8:9]
	s_or_b64 exec, exec, s[6:7]
	s_and_saveexec_b64 s[6:7], s[4:5]
	s_cbranch_execnz .LBB48_787
	s_branch .LBB48_788
.LBB48_2837:
	s_movk_i32 s4, 0x80
	v_cmp_eq_u16_e32 vcc, s4, v21
	s_mov_b64 s[4:5], -1
                                        ; implicit-def: $sgpr10
	s_and_saveexec_b64 s[8:9], vcc
; %bb.2838:
	s_mov_b32 s10, 0x7f800001
	s_xor_b64 s[4:5], exec, -1
; %bb.2839:
	s_or_b64 exec, exec, s[8:9]
	s_and_b64 s[4:5], s[4:5], exec
                                        ; implicit-def: $vgpr21
	s_or_saveexec_b64 s[6:7], s[6:7]
	v_mov_b32_e32 v22, s10
	s_xor_b64 exec, exec, s[6:7]
	s_cbranch_execz .LBB48_790
.LBB48_2840:
	v_cmp_ne_u16_e32 vcc, 0, v21
	s_andn2_b64 s[4:5], s[4:5], exec
	s_and_b64 s[8:9], vcc, exec
	v_mov_b32_e32 v22, 0
	s_or_b64 s[4:5], s[4:5], s[8:9]
	s_or_b64 exec, exec, s[6:7]
	s_and_saveexec_b64 s[6:7], s[4:5]
	s_cbranch_execnz .LBB48_791
	s_branch .LBB48_792
.LBB48_2841:
	s_movk_i32 s4, 0x80
	v_cmp_eq_u16_sdwa s[12:13], v14, s4 src0_sel:BYTE_3 src1_sel:DWORD
	s_mov_b64 s[4:5], -1
                                        ; implicit-def: $sgpr10
	s_and_saveexec_b64 s[8:9], s[12:13]
; %bb.2842:
	s_mov_b32 s10, 0x7f800001
	s_xor_b64 s[4:5], exec, -1
; %bb.2843:
	s_or_b64 exec, exec, s[8:9]
	s_and_b64 s[4:5], s[4:5], exec
	s_or_saveexec_b64 s[6:7], s[6:7]
	v_mov_b32_e32 v20, s10
	s_xor_b64 exec, exec, s[6:7]
	s_cbranch_execz .LBB48_794
.LBB48_2844:
	v_mov_b32_e32 v20, 0
	v_cmp_ne_u16_sdwa s[8:9], v14, v20 src0_sel:BYTE_3 src1_sel:DWORD
	s_andn2_b64 s[4:5], s[4:5], exec
	s_and_b64 s[8:9], s[8:9], exec
	s_or_b64 s[4:5], s[4:5], s[8:9]
	s_or_b64 exec, exec, s[6:7]
	s_and_saveexec_b64 s[6:7], s[4:5]
	s_cbranch_execnz .LBB48_795
	s_branch .LBB48_796
.LBB48_2845:
	s_movk_i32 s4, 0x80
	v_cmp_eq_u16_sdwa s[12:13], v10, s4 src0_sel:BYTE_3 src1_sel:DWORD
	s_mov_b64 s[4:5], -1
                                        ; implicit-def: $sgpr10
	s_and_saveexec_b64 s[8:9], s[12:13]
; %bb.2846:
	s_mov_b32 s10, 0x7f800001
	s_xor_b64 s[4:5], exec, -1
; %bb.2847:
	s_or_b64 exec, exec, s[8:9]
	s_and_b64 s[4:5], s[4:5], exec
	s_or_saveexec_b64 s[6:7], s[6:7]
	v_mov_b32_e32 v14, s10
	s_xor_b64 exec, exec, s[6:7]
	s_cbranch_execz .LBB48_798
.LBB48_2848:
	v_mov_b32_e32 v14, 0
	v_cmp_ne_u16_sdwa s[8:9], v10, v14 src0_sel:BYTE_3 src1_sel:DWORD
	s_andn2_b64 s[4:5], s[4:5], exec
	s_and_b64 s[8:9], s[8:9], exec
	s_or_b64 s[4:5], s[4:5], s[8:9]
	s_or_b64 exec, exec, s[6:7]
	s_and_saveexec_b64 s[6:7], s[4:5]
	s_cbranch_execnz .LBB48_799
	s_branch .LBB48_800
.LBB48_2849:
	s_movk_i32 s4, 0x80
	v_cmp_eq_u16_sdwa s[12:13], v15, s4 src0_sel:BYTE_0 src1_sel:DWORD
	s_mov_b64 s[4:5], -1
                                        ; implicit-def: $sgpr10
	s_and_saveexec_b64 s[8:9], s[12:13]
; %bb.2850:
	s_mov_b32 s10, 0x7f800001
	s_xor_b64 s[4:5], exec, -1
; %bb.2851:
	s_or_b64 exec, exec, s[8:9]
	s_and_b64 s[4:5], s[4:5], exec
	s_or_saveexec_b64 s[6:7], s[6:7]
	v_mov_b32_e32 v10, s10
	s_xor_b64 exec, exec, s[6:7]
	s_cbranch_execz .LBB48_802
.LBB48_2852:
	v_mov_b32_e32 v10, 0
	v_cmp_ne_u16_sdwa s[8:9], v15, v10 src0_sel:BYTE_0 src1_sel:DWORD
	s_andn2_b64 s[4:5], s[4:5], exec
	s_and_b64 s[8:9], s[8:9], exec
	s_or_b64 s[4:5], s[4:5], s[8:9]
	s_or_b64 exec, exec, s[6:7]
	s_and_saveexec_b64 s[6:7], s[4:5]
	s_cbranch_execnz .LBB48_803
	s_branch .LBB48_804
.LBB48_2853:
	s_movk_i32 s4, 0x80
	v_cmp_eq_u16_sdwa s[12:13], v11, s4 src0_sel:BYTE_0 src1_sel:DWORD
	s_mov_b64 s[4:5], -1
                                        ; implicit-def: $sgpr10
	s_and_saveexec_b64 s[8:9], s[12:13]
; %bb.2854:
	s_mov_b32 s10, 0x7f800001
	s_xor_b64 s[4:5], exec, -1
; %bb.2855:
	s_or_b64 exec, exec, s[8:9]
	s_and_b64 s[4:5], s[4:5], exec
	s_or_saveexec_b64 s[6:7], s[6:7]
	v_mov_b32_e32 v14, s10
	s_xor_b64 exec, exec, s[6:7]
	s_cbranch_execz .LBB48_806
.LBB48_2856:
	v_mov_b32_e32 v14, 0
	v_cmp_ne_u16_sdwa s[8:9], v11, v14 src0_sel:BYTE_0 src1_sel:DWORD
	s_andn2_b64 s[4:5], s[4:5], exec
	s_and_b64 s[8:9], s[8:9], exec
	s_or_b64 s[4:5], s[4:5], s[8:9]
	s_or_b64 exec, exec, s[6:7]
	s_and_saveexec_b64 s[6:7], s[4:5]
	s_cbranch_execnz .LBB48_807
	s_branch .LBB48_808
.LBB48_2857:
	s_movk_i32 s4, 0x80
	v_cmp_eq_u16_sdwa s[12:13], v14, s4 src0_sel:BYTE_0 src1_sel:DWORD
	s_mov_b64 s[4:5], -1
                                        ; implicit-def: $sgpr10
	s_and_saveexec_b64 s[8:9], s[12:13]
; %bb.2858:
	s_mov_b32 s10, 0x7f800001
	s_xor_b64 s[4:5], exec, -1
; %bb.2859:
	s_or_b64 exec, exec, s[8:9]
	s_and_b64 s[4:5], s[4:5], exec
	s_or_saveexec_b64 s[6:7], s[6:7]
	v_mov_b32_e32 v10, s10
	s_xor_b64 exec, exec, s[6:7]
	s_cbranch_execz .LBB48_810
.LBB48_2860:
	v_mov_b32_e32 v10, 0
	v_cmp_ne_u16_sdwa s[8:9], v14, v10 src0_sel:BYTE_0 src1_sel:DWORD
	s_andn2_b64 s[4:5], s[4:5], exec
	s_and_b64 s[8:9], s[8:9], exec
	s_or_b64 s[4:5], s[4:5], s[8:9]
	s_or_b64 exec, exec, s[6:7]
	s_and_saveexec_b64 s[6:7], s[4:5]
	s_cbranch_execnz .LBB48_811
	s_branch .LBB48_812
.LBB48_2861:
	s_movk_i32 s4, 0x80
	v_cmp_eq_u16_sdwa s[12:13], v14, s4 src0_sel:BYTE_0 src1_sel:DWORD
	s_mov_b64 s[4:5], -1
                                        ; implicit-def: $sgpr10
	s_and_saveexec_b64 s[8:9], s[12:13]
; %bb.2862:
	s_mov_b32 s10, 0x7f800001
	s_xor_b64 s[4:5], exec, -1
; %bb.2863:
	s_or_b64 exec, exec, s[8:9]
	s_and_b64 s[4:5], s[4:5], exec
	s_or_saveexec_b64 s[6:7], s[6:7]
	v_mov_b32_e32 v20, s10
	s_xor_b64 exec, exec, s[6:7]
	s_cbranch_execz .LBB48_814
.LBB48_2864:
	v_mov_b32_e32 v20, 0
	v_cmp_ne_u16_sdwa s[8:9], v14, v20 src0_sel:BYTE_0 src1_sel:DWORD
	s_andn2_b64 s[4:5], s[4:5], exec
	s_and_b64 s[8:9], s[8:9], exec
	s_or_b64 s[4:5], s[4:5], s[8:9]
	s_or_b64 exec, exec, s[6:7]
	s_and_saveexec_b64 s[6:7], s[4:5]
	s_cbranch_execnz .LBB48_815
	s_branch .LBB48_816
.LBB48_2865:
	s_movk_i32 s4, 0x80
	v_cmp_eq_u16_e32 vcc, s4, v14
	s_mov_b64 s[4:5], -1
                                        ; implicit-def: $sgpr10
	s_and_saveexec_b64 s[8:9], vcc
; %bb.2866:
	s_mov_b32 s10, 0x7f800001
	s_xor_b64 s[4:5], exec, -1
; %bb.2867:
	s_or_b64 exec, exec, s[8:9]
	s_and_b64 s[4:5], s[4:5], exec
                                        ; implicit-def: $vgpr14
	s_or_saveexec_b64 s[6:7], s[6:7]
	v_mov_b32_e32 v10, s10
	s_xor_b64 exec, exec, s[6:7]
	s_cbranch_execz .LBB48_818
.LBB48_2868:
	v_cmp_ne_u16_e32 vcc, 0, v14
	s_andn2_b64 s[4:5], s[4:5], exec
	s_and_b64 s[8:9], vcc, exec
	v_mov_b32_e32 v10, 0
	s_or_b64 s[4:5], s[4:5], s[8:9]
	s_or_b64 exec, exec, s[6:7]
	s_and_saveexec_b64 s[6:7], s[4:5]
	s_cbranch_execnz .LBB48_819
	s_branch .LBB48_820
.LBB48_2869:
	s_movk_i32 s4, 0x80
	v_cmp_eq_u16_e32 vcc, s4, v14
	s_mov_b64 s[4:5], -1
                                        ; implicit-def: $sgpr10
	s_and_saveexec_b64 s[8:9], vcc
; %bb.2870:
	s_mov_b32 s10, 0x7f800001
	s_xor_b64 s[4:5], exec, -1
; %bb.2871:
	s_or_b64 exec, exec, s[8:9]
	s_and_b64 s[4:5], s[4:5], exec
                                        ; implicit-def: $vgpr14
	s_or_saveexec_b64 s[6:7], s[6:7]
	v_mov_b32_e32 v20, s10
	s_xor_b64 exec, exec, s[6:7]
	s_cbranch_execz .LBB48_822
.LBB48_2872:
	v_cmp_ne_u16_e32 vcc, 0, v14
	s_andn2_b64 s[4:5], s[4:5], exec
	s_and_b64 s[8:9], vcc, exec
	v_mov_b32_e32 v20, 0
	s_or_b64 s[4:5], s[4:5], s[8:9]
	s_or_b64 exec, exec, s[6:7]
	s_and_saveexec_b64 s[6:7], s[4:5]
	s_cbranch_execnz .LBB48_823
	s_branch .LBB48_824
.LBB48_2873:
	s_movk_i32 s4, 0x80
	v_cmp_eq_u16_sdwa s[12:13], v15, s4 src0_sel:BYTE_3 src1_sel:DWORD
	s_mov_b64 s[4:5], -1
                                        ; implicit-def: $sgpr10
	s_and_saveexec_b64 s[8:9], s[12:13]
; %bb.2874:
	s_mov_b32 s10, 0x7f800001
	s_xor_b64 s[4:5], exec, -1
; %bb.2875:
	s_or_b64 exec, exec, s[8:9]
	s_and_b64 s[4:5], s[4:5], exec
	s_or_saveexec_b64 s[6:7], s[6:7]
	v_mov_b32_e32 v10, s10
	s_xor_b64 exec, exec, s[6:7]
	s_cbranch_execz .LBB48_826
.LBB48_2876:
	v_mov_b32_e32 v10, 0
	v_cmp_ne_u16_sdwa s[8:9], v15, v10 src0_sel:BYTE_3 src1_sel:DWORD
	s_andn2_b64 s[4:5], s[4:5], exec
	s_and_b64 s[8:9], s[8:9], exec
	s_or_b64 s[4:5], s[4:5], s[8:9]
	s_or_b64 exec, exec, s[6:7]
	s_and_saveexec_b64 s[6:7], s[4:5]
	s_cbranch_execnz .LBB48_827
	s_branch .LBB48_828
.LBB48_2877:
	s_movk_i32 s4, 0x80
	v_cmp_eq_u16_sdwa s[12:13], v11, s4 src0_sel:BYTE_3 src1_sel:DWORD
	s_mov_b64 s[4:5], -1
                                        ; implicit-def: $sgpr10
	s_and_saveexec_b64 s[8:9], s[12:13]
; %bb.2878:
	s_mov_b32 s10, 0x7f800001
	s_xor_b64 s[4:5], exec, -1
; %bb.2879:
	s_or_b64 exec, exec, s[8:9]
	s_and_b64 s[4:5], s[4:5], exec
	s_or_saveexec_b64 s[6:7], s[6:7]
	v_mov_b32_e32 v14, s10
	s_xor_b64 exec, exec, s[6:7]
	s_cbranch_execz .LBB48_830
.LBB48_2880:
	v_mov_b32_e32 v14, 0
	v_cmp_ne_u16_sdwa s[8:9], v11, v14 src0_sel:BYTE_3 src1_sel:DWORD
	s_andn2_b64 s[4:5], s[4:5], exec
	s_and_b64 s[8:9], s[8:9], exec
	s_or_b64 s[4:5], s[4:5], s[8:9]
	s_or_b64 exec, exec, s[6:7]
	s_and_saveexec_b64 s[6:7], s[4:5]
	s_cbranch_execnz .LBB48_831
	s_branch .LBB48_832
.LBB48_2881:
	s_movk_i32 s4, 0x80
	v_cmp_eq_u16_sdwa s[12:13], v16, s4 src0_sel:BYTE_0 src1_sel:DWORD
	s_mov_b64 s[4:5], -1
                                        ; implicit-def: $sgpr10
	s_and_saveexec_b64 s[8:9], s[12:13]
; %bb.2882:
	s_mov_b32 s10, 0x7f800001
	s_xor_b64 s[4:5], exec, -1
; %bb.2883:
	s_or_b64 exec, exec, s[8:9]
	s_and_b64 s[4:5], s[4:5], exec
	s_or_saveexec_b64 s[6:7], s[6:7]
	v_mov_b32_e32 v10, s10
	s_xor_b64 exec, exec, s[6:7]
	s_cbranch_execz .LBB48_834
.LBB48_2884:
	v_mov_b32_e32 v10, 0
	v_cmp_ne_u16_sdwa s[8:9], v16, v10 src0_sel:BYTE_0 src1_sel:DWORD
	s_andn2_b64 s[4:5], s[4:5], exec
	s_and_b64 s[8:9], s[8:9], exec
	s_or_b64 s[4:5], s[4:5], s[8:9]
	s_or_b64 exec, exec, s[6:7]
	s_and_saveexec_b64 s[6:7], s[4:5]
	s_cbranch_execnz .LBB48_835
	s_branch .LBB48_836
.LBB48_2885:
	s_movk_i32 s4, 0x80
	v_cmp_eq_u16_sdwa s[12:13], v12, s4 src0_sel:BYTE_0 src1_sel:DWORD
	s_mov_b64 s[4:5], -1
                                        ; implicit-def: $sgpr10
	s_and_saveexec_b64 s[8:9], s[12:13]
; %bb.2886:
	s_mov_b32 s10, 0x7f800001
	s_xor_b64 s[4:5], exec, -1
; %bb.2887:
	s_or_b64 exec, exec, s[8:9]
	s_and_b64 s[4:5], s[4:5], exec
	s_or_saveexec_b64 s[6:7], s[6:7]
	v_mov_b32_e32 v11, s10
	s_xor_b64 exec, exec, s[6:7]
	s_cbranch_execz .LBB48_838
.LBB48_2888:
	v_mov_b32_e32 v11, 0
	v_cmp_ne_u16_sdwa s[8:9], v12, v11 src0_sel:BYTE_0 src1_sel:DWORD
	s_andn2_b64 s[4:5], s[4:5], exec
	s_and_b64 s[8:9], s[8:9], exec
	s_or_b64 s[4:5], s[4:5], s[8:9]
	s_or_b64 exec, exec, s[6:7]
	s_and_saveexec_b64 s[6:7], s[4:5]
	s_cbranch_execnz .LBB48_839
	s_branch .LBB48_840
.LBB48_2889:
	s_movk_i32 s4, 0x80
	v_cmp_eq_u16_sdwa s[12:13], v11, s4 src0_sel:BYTE_0 src1_sel:DWORD
	s_mov_b64 s[4:5], -1
                                        ; implicit-def: $sgpr10
	s_and_saveexec_b64 s[8:9], s[12:13]
; %bb.2890:
	s_mov_b32 s10, 0x7f800001
	s_xor_b64 s[4:5], exec, -1
; %bb.2891:
	s_or_b64 exec, exec, s[8:9]
	s_and_b64 s[4:5], s[4:5], exec
	s_or_saveexec_b64 s[6:7], s[6:7]
	v_mov_b32_e32 v10, s10
	s_xor_b64 exec, exec, s[6:7]
	s_cbranch_execz .LBB48_842
.LBB48_2892:
	v_mov_b32_e32 v10, 0
	v_cmp_ne_u16_sdwa s[8:9], v11, v10 src0_sel:BYTE_0 src1_sel:DWORD
	s_andn2_b64 s[4:5], s[4:5], exec
	s_and_b64 s[8:9], s[8:9], exec
	s_or_b64 s[4:5], s[4:5], s[8:9]
	s_or_b64 exec, exec, s[6:7]
	s_and_saveexec_b64 s[6:7], s[4:5]
	s_cbranch_execnz .LBB48_843
	s_branch .LBB48_844
.LBB48_2893:
	s_movk_i32 s4, 0x80
	v_cmp_eq_u16_sdwa s[12:13], v11, s4 src0_sel:BYTE_0 src1_sel:DWORD
	s_mov_b64 s[4:5], -1
                                        ; implicit-def: $sgpr10
	s_and_saveexec_b64 s[8:9], s[12:13]
; %bb.2894:
	s_mov_b32 s10, 0x7f800001
	s_xor_b64 s[4:5], exec, -1
; %bb.2895:
	s_or_b64 exec, exec, s[8:9]
	s_and_b64 s[4:5], s[4:5], exec
	s_or_saveexec_b64 s[6:7], s[6:7]
	v_mov_b32_e32 v14, s10
	s_xor_b64 exec, exec, s[6:7]
	s_cbranch_execz .LBB48_846
.LBB48_2896:
	v_mov_b32_e32 v14, 0
	v_cmp_ne_u16_sdwa s[8:9], v11, v14 src0_sel:BYTE_0 src1_sel:DWORD
	s_andn2_b64 s[4:5], s[4:5], exec
	s_and_b64 s[8:9], s[8:9], exec
	s_or_b64 s[4:5], s[4:5], s[8:9]
	s_or_b64 exec, exec, s[6:7]
	s_and_saveexec_b64 s[6:7], s[4:5]
	s_cbranch_execnz .LBB48_847
	s_branch .LBB48_848
.LBB48_2897:
	s_movk_i32 s4, 0x80
	v_cmp_eq_u16_e32 vcc, s4, v11
	s_mov_b64 s[4:5], -1
                                        ; implicit-def: $sgpr10
	s_and_saveexec_b64 s[8:9], vcc
; %bb.2898:
	s_mov_b32 s10, 0x7f800001
	s_xor_b64 s[4:5], exec, -1
; %bb.2899:
	s_or_b64 exec, exec, s[8:9]
	s_and_b64 s[4:5], s[4:5], exec
                                        ; implicit-def: $vgpr11
	s_or_saveexec_b64 s[6:7], s[6:7]
	v_mov_b32_e32 v10, s10
	s_xor_b64 exec, exec, s[6:7]
	s_cbranch_execz .LBB48_850
.LBB48_2900:
	v_cmp_ne_u16_e32 vcc, 0, v11
	s_andn2_b64 s[4:5], s[4:5], exec
	s_and_b64 s[8:9], vcc, exec
	v_mov_b32_e32 v10, 0
	s_or_b64 s[4:5], s[4:5], s[8:9]
	s_or_b64 exec, exec, s[6:7]
	s_and_saveexec_b64 s[6:7], s[4:5]
	s_cbranch_execnz .LBB48_851
	s_branch .LBB48_852
.LBB48_2901:
	s_movk_i32 s4, 0x80
	v_cmp_eq_u16_e32 vcc, s4, v11
	s_mov_b64 s[4:5], -1
                                        ; implicit-def: $sgpr10
	s_and_saveexec_b64 s[8:9], vcc
; %bb.2902:
	s_mov_b32 s10, 0x7f800001
	s_xor_b64 s[4:5], exec, -1
; %bb.2903:
	s_or_b64 exec, exec, s[8:9]
	s_and_b64 s[4:5], s[4:5], exec
                                        ; implicit-def: $vgpr11
	s_or_saveexec_b64 s[6:7], s[6:7]
	v_mov_b32_e32 v14, s10
	s_xor_b64 exec, exec, s[6:7]
	s_cbranch_execz .LBB48_854
.LBB48_2904:
	v_cmp_ne_u16_e32 vcc, 0, v11
	s_andn2_b64 s[4:5], s[4:5], exec
	s_and_b64 s[8:9], vcc, exec
	v_mov_b32_e32 v14, 0
	s_or_b64 s[4:5], s[4:5], s[8:9]
	s_or_b64 exec, exec, s[6:7]
	s_and_saveexec_b64 s[6:7], s[4:5]
	s_cbranch_execnz .LBB48_855
	s_branch .LBB48_856
.LBB48_2905:
	s_movk_i32 s4, 0x80
	v_cmp_eq_u16_sdwa s[12:13], v16, s4 src0_sel:BYTE_3 src1_sel:DWORD
	s_mov_b64 s[4:5], -1
                                        ; implicit-def: $sgpr10
	s_and_saveexec_b64 s[8:9], s[12:13]
; %bb.2906:
	s_mov_b32 s10, 0x7f800001
	s_xor_b64 s[4:5], exec, -1
; %bb.2907:
	s_or_b64 exec, exec, s[8:9]
	s_and_b64 s[4:5], s[4:5], exec
	s_or_saveexec_b64 s[6:7], s[6:7]
	v_mov_b32_e32 v10, s10
	s_xor_b64 exec, exec, s[6:7]
	s_cbranch_execz .LBB48_858
.LBB48_2908:
	v_mov_b32_e32 v10, 0
	v_cmp_ne_u16_sdwa s[8:9], v16, v10 src0_sel:BYTE_3 src1_sel:DWORD
	s_andn2_b64 s[4:5], s[4:5], exec
	s_and_b64 s[8:9], s[8:9], exec
	s_or_b64 s[4:5], s[4:5], s[8:9]
	s_or_b64 exec, exec, s[6:7]
	s_and_saveexec_b64 s[6:7], s[4:5]
	s_cbranch_execnz .LBB48_859
	s_branch .LBB48_860
.LBB48_2909:
	s_movk_i32 s4, 0x80
	v_cmp_eq_u16_sdwa s[12:13], v12, s4 src0_sel:BYTE_3 src1_sel:DWORD
	s_mov_b64 s[4:5], -1
                                        ; implicit-def: $sgpr10
	s_and_saveexec_b64 s[8:9], s[12:13]
; %bb.2910:
	s_mov_b32 s10, 0x7f800001
	s_xor_b64 s[4:5], exec, -1
; %bb.2911:
	s_or_b64 exec, exec, s[8:9]
	s_and_b64 s[4:5], s[4:5], exec
	s_or_saveexec_b64 s[6:7], s[6:7]
	v_mov_b32_e32 v11, s10
	s_xor_b64 exec, exec, s[6:7]
	s_cbranch_execz .LBB48_862
.LBB48_2912:
	v_mov_b32_e32 v11, 0
	v_cmp_ne_u16_sdwa s[8:9], v12, v11 src0_sel:BYTE_3 src1_sel:DWORD
	s_andn2_b64 s[4:5], s[4:5], exec
	s_and_b64 s[8:9], s[8:9], exec
	s_or_b64 s[4:5], s[4:5], s[8:9]
	s_or_b64 exec, exec, s[6:7]
	s_and_saveexec_b64 s[6:7], s[4:5]
	s_cbranch_execnz .LBB48_863
	s_branch .LBB48_864
.LBB48_2913:
	s_movk_i32 s4, 0x80
	v_cmp_eq_u16_sdwa s[12:13], v17, s4 src0_sel:BYTE_0 src1_sel:DWORD
	s_mov_b64 s[4:5], -1
                                        ; implicit-def: $sgpr10
	s_and_saveexec_b64 s[8:9], s[12:13]
; %bb.2914:
	s_mov_b32 s10, 0x7f800001
	s_xor_b64 s[4:5], exec, -1
; %bb.2915:
	s_or_b64 exec, exec, s[8:9]
	s_and_b64 s[4:5], s[4:5], exec
	s_or_saveexec_b64 s[6:7], s[6:7]
	v_mov_b32_e32 v10, s10
	s_xor_b64 exec, exec, s[6:7]
	s_cbranch_execz .LBB48_866
.LBB48_2916:
	v_mov_b32_e32 v10, 0
	v_cmp_ne_u16_sdwa s[8:9], v17, v10 src0_sel:BYTE_0 src1_sel:DWORD
	s_andn2_b64 s[4:5], s[4:5], exec
	s_and_b64 s[8:9], s[8:9], exec
	s_or_b64 s[4:5], s[4:5], s[8:9]
	s_or_b64 exec, exec, s[6:7]
	s_and_saveexec_b64 s[6:7], s[4:5]
	s_cbranch_execnz .LBB48_867
	s_branch .LBB48_868
.LBB48_2917:
	s_movk_i32 s4, 0x80
	v_cmp_eq_u16_sdwa s[12:13], v13, s4 src0_sel:BYTE_0 src1_sel:DWORD
	s_mov_b64 s[4:5], -1
                                        ; implicit-def: $sgpr10
	s_and_saveexec_b64 s[8:9], s[12:13]
; %bb.2918:
	s_mov_b32 s10, 0x7f800001
	s_xor_b64 s[4:5], exec, -1
; %bb.2919:
	s_or_b64 exec, exec, s[8:9]
	s_and_b64 s[4:5], s[4:5], exec
	s_or_saveexec_b64 s[6:7], s[6:7]
	v_mov_b32_e32 v11, s10
	s_xor_b64 exec, exec, s[6:7]
	s_cbranch_execz .LBB48_870
.LBB48_2920:
	v_mov_b32_e32 v11, 0
	v_cmp_ne_u16_sdwa s[8:9], v13, v11 src0_sel:BYTE_0 src1_sel:DWORD
	s_andn2_b64 s[4:5], s[4:5], exec
	s_and_b64 s[8:9], s[8:9], exec
	s_or_b64 s[4:5], s[4:5], s[8:9]
	s_or_b64 exec, exec, s[6:7]
	s_and_saveexec_b64 s[6:7], s[4:5]
	s_cbranch_execnz .LBB48_871
	s_branch .LBB48_872
.LBB48_2921:
	s_movk_i32 s4, 0x80
	v_cmp_eq_u16_sdwa s[12:13], v11, s4 src0_sel:BYTE_0 src1_sel:DWORD
	s_mov_b64 s[4:5], -1
                                        ; implicit-def: $sgpr10
	s_and_saveexec_b64 s[8:9], s[12:13]
; %bb.2922:
	s_mov_b32 s10, 0x7f800001
	s_xor_b64 s[4:5], exec, -1
; %bb.2923:
	s_or_b64 exec, exec, s[8:9]
	s_and_b64 s[4:5], s[4:5], exec
	s_or_saveexec_b64 s[6:7], s[6:7]
	v_mov_b32_e32 v10, s10
	s_xor_b64 exec, exec, s[6:7]
	s_cbranch_execz .LBB48_874
.LBB48_2924:
	v_mov_b32_e32 v10, 0
	v_cmp_ne_u16_sdwa s[8:9], v11, v10 src0_sel:BYTE_0 src1_sel:DWORD
	s_andn2_b64 s[4:5], s[4:5], exec
	s_and_b64 s[8:9], s[8:9], exec
	s_or_b64 s[4:5], s[4:5], s[8:9]
	s_or_b64 exec, exec, s[6:7]
	s_and_saveexec_b64 s[6:7], s[4:5]
	s_cbranch_execnz .LBB48_875
	s_branch .LBB48_876
.LBB48_2925:
	s_movk_i32 s4, 0x80
	v_cmp_eq_u16_sdwa s[12:13], v11, s4 src0_sel:BYTE_0 src1_sel:DWORD
	s_mov_b64 s[4:5], -1
                                        ; implicit-def: $sgpr10
	s_and_saveexec_b64 s[8:9], s[12:13]
; %bb.2926:
	s_mov_b32 s10, 0x7f800001
	s_xor_b64 s[4:5], exec, -1
; %bb.2927:
	s_or_b64 exec, exec, s[8:9]
	s_and_b64 s[4:5], s[4:5], exec
	s_or_saveexec_b64 s[6:7], s[6:7]
	v_mov_b32_e32 v12, s10
	s_xor_b64 exec, exec, s[6:7]
	s_cbranch_execz .LBB48_878
.LBB48_2928:
	v_mov_b32_e32 v12, 0
	v_cmp_ne_u16_sdwa s[8:9], v11, v12 src0_sel:BYTE_0 src1_sel:DWORD
	s_andn2_b64 s[4:5], s[4:5], exec
	s_and_b64 s[8:9], s[8:9], exec
	s_or_b64 s[4:5], s[4:5], s[8:9]
	s_or_b64 exec, exec, s[6:7]
	s_and_saveexec_b64 s[6:7], s[4:5]
	s_cbranch_execnz .LBB48_879
	s_branch .LBB48_880
.LBB48_2929:
	s_movk_i32 s4, 0x80
	v_cmp_eq_u16_e32 vcc, s4, v11
	s_mov_b64 s[4:5], -1
                                        ; implicit-def: $sgpr10
	s_and_saveexec_b64 s[8:9], vcc
; %bb.2930:
	s_mov_b32 s10, 0x7f800001
	s_xor_b64 s[4:5], exec, -1
; %bb.2931:
	s_or_b64 exec, exec, s[8:9]
	s_and_b64 s[4:5], s[4:5], exec
                                        ; implicit-def: $vgpr11
	s_or_saveexec_b64 s[6:7], s[6:7]
	v_mov_b32_e32 v10, s10
	s_xor_b64 exec, exec, s[6:7]
	s_cbranch_execz .LBB48_882
.LBB48_2932:
	v_cmp_ne_u16_e32 vcc, 0, v11
	s_andn2_b64 s[4:5], s[4:5], exec
	s_and_b64 s[8:9], vcc, exec
	v_mov_b32_e32 v10, 0
	s_or_b64 s[4:5], s[4:5], s[8:9]
	s_or_b64 exec, exec, s[6:7]
	s_and_saveexec_b64 s[6:7], s[4:5]
	s_cbranch_execnz .LBB48_883
	s_branch .LBB48_884
.LBB48_2933:
	s_movk_i32 s4, 0x80
	v_cmp_eq_u16_e32 vcc, s4, v11
	s_mov_b64 s[4:5], -1
                                        ; implicit-def: $sgpr10
	s_and_saveexec_b64 s[8:9], vcc
; %bb.2934:
	s_mov_b32 s10, 0x7f800001
	s_xor_b64 s[4:5], exec, -1
; %bb.2935:
	s_or_b64 exec, exec, s[8:9]
	s_and_b64 s[4:5], s[4:5], exec
                                        ; implicit-def: $vgpr11
	s_or_saveexec_b64 s[6:7], s[6:7]
	v_mov_b32_e32 v12, s10
	s_xor_b64 exec, exec, s[6:7]
	s_cbranch_execz .LBB48_886
.LBB48_2936:
	v_cmp_ne_u16_e32 vcc, 0, v11
	s_andn2_b64 s[4:5], s[4:5], exec
	s_and_b64 s[8:9], vcc, exec
	v_mov_b32_e32 v12, 0
	s_or_b64 s[4:5], s[4:5], s[8:9]
	s_or_b64 exec, exec, s[6:7]
	s_and_saveexec_b64 s[6:7], s[4:5]
	s_cbranch_execnz .LBB48_887
	s_branch .LBB48_888
.LBB48_2937:
	s_movk_i32 s4, 0x80
	v_cmp_eq_u16_sdwa s[12:13], v17, s4 src0_sel:BYTE_3 src1_sel:DWORD
	s_mov_b64 s[4:5], -1
                                        ; implicit-def: $sgpr10
	s_and_saveexec_b64 s[8:9], s[12:13]
; %bb.2938:
	s_mov_b32 s10, 0x7f800001
	s_xor_b64 s[4:5], exec, -1
; %bb.2939:
	s_or_b64 exec, exec, s[8:9]
	s_and_b64 s[4:5], s[4:5], exec
	s_or_saveexec_b64 s[6:7], s[6:7]
	v_mov_b32_e32 v10, s10
	s_xor_b64 exec, exec, s[6:7]
	s_cbranch_execz .LBB48_890
.LBB48_2940:
	v_mov_b32_e32 v10, 0
	v_cmp_ne_u16_sdwa s[8:9], v17, v10 src0_sel:BYTE_3 src1_sel:DWORD
	s_andn2_b64 s[4:5], s[4:5], exec
	s_and_b64 s[8:9], s[8:9], exec
	s_or_b64 s[4:5], s[4:5], s[8:9]
	s_or_b64 exec, exec, s[6:7]
	s_and_saveexec_b64 s[6:7], s[4:5]
	s_cbranch_execnz .LBB48_891
	s_branch .LBB48_892
.LBB48_2941:
	s_movk_i32 s4, 0x80
	v_cmp_eq_u16_sdwa s[12:13], v13, s4 src0_sel:BYTE_3 src1_sel:DWORD
	s_mov_b64 s[4:5], -1
                                        ; implicit-def: $sgpr10
	s_and_saveexec_b64 s[8:9], s[12:13]
; %bb.2942:
	s_mov_b32 s10, 0x7f800001
	s_xor_b64 s[4:5], exec, -1
; %bb.2943:
	s_or_b64 exec, exec, s[8:9]
	s_and_b64 s[4:5], s[4:5], exec
	s_or_saveexec_b64 s[6:7], s[6:7]
	v_mov_b32_e32 v11, s10
	s_xor_b64 exec, exec, s[6:7]
	s_cbranch_execz .LBB48_894
.LBB48_2944:
	v_mov_b32_e32 v11, 0
	v_cmp_ne_u16_sdwa s[8:9], v13, v11 src0_sel:BYTE_3 src1_sel:DWORD
	s_andn2_b64 s[4:5], s[4:5], exec
	s_and_b64 s[8:9], s[8:9], exec
	s_or_b64 s[4:5], s[4:5], s[8:9]
	s_or_b64 exec, exec, s[6:7]
	s_and_saveexec_b64 s[6:7], s[4:5]
	s_cbranch_execnz .LBB48_895
	s_branch .LBB48_896
.LBB48_2945:
	s_movk_i32 s4, 0x80
	v_cmp_eq_u16_sdwa s[12:13], v6, s4 src0_sel:BYTE_0 src1_sel:DWORD
	s_mov_b64 s[4:5], -1
                                        ; implicit-def: $sgpr10
	s_and_saveexec_b64 s[8:9], s[12:13]
; %bb.2946:
	s_mov_b32 s10, 0x7f800001
	s_xor_b64 s[4:5], exec, -1
; %bb.2947:
	s_or_b64 exec, exec, s[8:9]
	s_and_b64 s[4:5], s[4:5], exec
	s_or_saveexec_b64 s[6:7], s[6:7]
	v_mov_b32_e32 v10, s10
	s_xor_b64 exec, exec, s[6:7]
	s_cbranch_execz .LBB48_898
.LBB48_2948:
	v_mov_b32_e32 v10, 0
	v_cmp_ne_u16_sdwa s[8:9], v6, v10 src0_sel:BYTE_0 src1_sel:DWORD
	s_andn2_b64 s[4:5], s[4:5], exec
	s_and_b64 s[8:9], s[8:9], exec
	s_or_b64 s[4:5], s[4:5], s[8:9]
	s_or_b64 exec, exec, s[6:7]
	s_and_saveexec_b64 s[6:7], s[4:5]
	s_cbranch_execnz .LBB48_899
	s_branch .LBB48_900
.LBB48_2949:
	s_movk_i32 s4, 0x80
	v_cmp_eq_u16_sdwa s[12:13], v2, s4 src0_sel:BYTE_0 src1_sel:DWORD
	s_mov_b64 s[4:5], -1
                                        ; implicit-def: $sgpr10
	s_and_saveexec_b64 s[8:9], s[12:13]
; %bb.2950:
	s_mov_b32 s10, 0x7f800001
	s_xor_b64 s[4:5], exec, -1
; %bb.2951:
	s_or_b64 exec, exec, s[8:9]
	s_and_b64 s[4:5], s[4:5], exec
	s_or_saveexec_b64 s[6:7], s[6:7]
	v_mov_b32_e32 v11, s10
	s_xor_b64 exec, exec, s[6:7]
	s_cbranch_execz .LBB48_902
.LBB48_2952:
	v_mov_b32_e32 v11, 0
	v_cmp_ne_u16_sdwa s[8:9], v2, v11 src0_sel:BYTE_0 src1_sel:DWORD
	s_andn2_b64 s[4:5], s[4:5], exec
	s_and_b64 s[8:9], s[8:9], exec
	s_or_b64 s[4:5], s[4:5], s[8:9]
	s_or_b64 exec, exec, s[6:7]
	s_and_saveexec_b64 s[6:7], s[4:5]
	s_cbranch_execnz .LBB48_903
	s_branch .LBB48_904
.LBB48_2953:
	s_movk_i32 s4, 0x80
	v_cmp_eq_u16_sdwa s[12:13], v11, s4 src0_sel:BYTE_0 src1_sel:DWORD
	s_mov_b64 s[4:5], -1
                                        ; implicit-def: $sgpr10
	s_and_saveexec_b64 s[8:9], s[12:13]
; %bb.2954:
	s_mov_b32 s10, 0x7f800001
	s_xor_b64 s[4:5], exec, -1
; %bb.2955:
	s_or_b64 exec, exec, s[8:9]
	s_and_b64 s[4:5], s[4:5], exec
	s_or_saveexec_b64 s[6:7], s[6:7]
	v_mov_b32_e32 v10, s10
	s_xor_b64 exec, exec, s[6:7]
	s_cbranch_execz .LBB48_906
.LBB48_2956:
	v_mov_b32_e32 v10, 0
	v_cmp_ne_u16_sdwa s[8:9], v11, v10 src0_sel:BYTE_0 src1_sel:DWORD
	s_andn2_b64 s[4:5], s[4:5], exec
	s_and_b64 s[8:9], s[8:9], exec
	s_or_b64 s[4:5], s[4:5], s[8:9]
	s_or_b64 exec, exec, s[6:7]
	s_and_saveexec_b64 s[6:7], s[4:5]
	s_cbranch_execnz .LBB48_907
	s_branch .LBB48_908
.LBB48_2957:
	s_movk_i32 s4, 0x80
	v_cmp_eq_u16_sdwa s[12:13], v11, s4 src0_sel:BYTE_0 src1_sel:DWORD
	s_mov_b64 s[4:5], -1
                                        ; implicit-def: $sgpr10
	s_and_saveexec_b64 s[8:9], s[12:13]
; %bb.2958:
	s_mov_b32 s10, 0x7f800001
	s_xor_b64 s[4:5], exec, -1
; %bb.2959:
	s_or_b64 exec, exec, s[8:9]
	s_and_b64 s[4:5], s[4:5], exec
	s_or_saveexec_b64 s[6:7], s[6:7]
	v_mov_b32_e32 v12, s10
	s_xor_b64 exec, exec, s[6:7]
	s_cbranch_execz .LBB48_910
.LBB48_2960:
	v_mov_b32_e32 v12, 0
	v_cmp_ne_u16_sdwa s[8:9], v11, v12 src0_sel:BYTE_0 src1_sel:DWORD
	s_andn2_b64 s[4:5], s[4:5], exec
	s_and_b64 s[8:9], s[8:9], exec
	s_or_b64 s[4:5], s[4:5], s[8:9]
	s_or_b64 exec, exec, s[6:7]
	s_and_saveexec_b64 s[6:7], s[4:5]
	s_cbranch_execnz .LBB48_911
	s_branch .LBB48_912
.LBB48_2961:
	s_movk_i32 s4, 0x80
	v_cmp_eq_u16_e32 vcc, s4, v11
	s_mov_b64 s[4:5], -1
                                        ; implicit-def: $sgpr10
	s_and_saveexec_b64 s[8:9], vcc
; %bb.2962:
	s_mov_b32 s10, 0x7f800001
	s_xor_b64 s[4:5], exec, -1
; %bb.2963:
	s_or_b64 exec, exec, s[8:9]
	s_and_b64 s[4:5], s[4:5], exec
                                        ; implicit-def: $vgpr11
	s_or_saveexec_b64 s[6:7], s[6:7]
	v_mov_b32_e32 v10, s10
	s_xor_b64 exec, exec, s[6:7]
	s_cbranch_execz .LBB48_914
.LBB48_2964:
	v_cmp_ne_u16_e32 vcc, 0, v11
	s_andn2_b64 s[4:5], s[4:5], exec
	s_and_b64 s[8:9], vcc, exec
	v_mov_b32_e32 v10, 0
	s_or_b64 s[4:5], s[4:5], s[8:9]
	s_or_b64 exec, exec, s[6:7]
	s_and_saveexec_b64 s[6:7], s[4:5]
	s_cbranch_execnz .LBB48_915
	s_branch .LBB48_916
.LBB48_2965:
	s_movk_i32 s4, 0x80
	v_cmp_eq_u16_e32 vcc, s4, v11
	s_mov_b64 s[4:5], -1
                                        ; implicit-def: $sgpr10
	s_and_saveexec_b64 s[8:9], vcc
; %bb.2966:
	s_mov_b32 s10, 0x7f800001
	s_xor_b64 s[4:5], exec, -1
; %bb.2967:
	s_or_b64 exec, exec, s[8:9]
	s_and_b64 s[4:5], s[4:5], exec
                                        ; implicit-def: $vgpr11
	s_or_saveexec_b64 s[6:7], s[6:7]
	v_mov_b32_e32 v12, s10
	s_xor_b64 exec, exec, s[6:7]
	s_cbranch_execz .LBB48_918
.LBB48_2968:
	v_cmp_ne_u16_e32 vcc, 0, v11
	s_andn2_b64 s[4:5], s[4:5], exec
	s_and_b64 s[8:9], vcc, exec
	v_mov_b32_e32 v12, 0
	s_or_b64 s[4:5], s[4:5], s[8:9]
	s_or_b64 exec, exec, s[6:7]
	s_and_saveexec_b64 s[6:7], s[4:5]
	s_cbranch_execnz .LBB48_919
	s_branch .LBB48_920
.LBB48_2969:
	s_movk_i32 s4, 0x80
	v_cmp_eq_u16_sdwa s[12:13], v6, s4 src0_sel:BYTE_3 src1_sel:DWORD
	s_mov_b64 s[4:5], -1
                                        ; implicit-def: $sgpr10
	s_and_saveexec_b64 s[8:9], s[12:13]
; %bb.2970:
	s_mov_b32 s10, 0x7f800001
	s_xor_b64 s[4:5], exec, -1
; %bb.2971:
	s_or_b64 exec, exec, s[8:9]
	s_and_b64 s[4:5], s[4:5], exec
	s_or_saveexec_b64 s[6:7], s[6:7]
	v_mov_b32_e32 v10, s10
	s_xor_b64 exec, exec, s[6:7]
	s_cbranch_execz .LBB48_922
.LBB48_2972:
	v_mov_b32_e32 v10, 0
	v_cmp_ne_u16_sdwa s[8:9], v6, v10 src0_sel:BYTE_3 src1_sel:DWORD
	s_andn2_b64 s[4:5], s[4:5], exec
	s_and_b64 s[8:9], s[8:9], exec
	s_or_b64 s[4:5], s[4:5], s[8:9]
	s_or_b64 exec, exec, s[6:7]
	s_and_saveexec_b64 s[6:7], s[4:5]
	s_cbranch_execnz .LBB48_923
	s_branch .LBB48_924
.LBB48_2973:
	s_movk_i32 s4, 0x80
	v_cmp_eq_u16_sdwa s[12:13], v2, s4 src0_sel:BYTE_3 src1_sel:DWORD
	s_mov_b64 s[4:5], -1
                                        ; implicit-def: $sgpr10
	s_and_saveexec_b64 s[8:9], s[12:13]
; %bb.2974:
	s_mov_b32 s10, 0x7f800001
	s_xor_b64 s[4:5], exec, -1
; %bb.2975:
	s_or_b64 exec, exec, s[8:9]
	s_and_b64 s[4:5], s[4:5], exec
	s_or_saveexec_b64 s[6:7], s[6:7]
	v_mov_b32_e32 v6, s10
	s_xor_b64 exec, exec, s[6:7]
	s_cbranch_execz .LBB48_926
.LBB48_2976:
	v_mov_b32_e32 v6, 0
	v_cmp_ne_u16_sdwa s[8:9], v2, v6 src0_sel:BYTE_3 src1_sel:DWORD
	s_andn2_b64 s[4:5], s[4:5], exec
	s_and_b64 s[8:9], s[8:9], exec
	s_or_b64 s[4:5], s[4:5], s[8:9]
	s_or_b64 exec, exec, s[6:7]
	s_and_saveexec_b64 s[6:7], s[4:5]
	s_cbranch_execnz .LBB48_927
	s_branch .LBB48_928
.LBB48_2977:
	s_movk_i32 s4, 0x80
	v_cmp_eq_u16_sdwa s[12:13], v7, s4 src0_sel:BYTE_0 src1_sel:DWORD
	s_mov_b64 s[4:5], -1
                                        ; implicit-def: $sgpr10
	s_and_saveexec_b64 s[8:9], s[12:13]
; %bb.2978:
	s_mov_b32 s10, 0x7f800001
	s_xor_b64 s[4:5], exec, -1
; %bb.2979:
	s_or_b64 exec, exec, s[8:9]
	s_and_b64 s[4:5], s[4:5], exec
	s_or_saveexec_b64 s[6:7], s[6:7]
	v_mov_b32_e32 v2, s10
	s_xor_b64 exec, exec, s[6:7]
	s_cbranch_execz .LBB48_930
.LBB48_2980:
	v_mov_b32_e32 v2, 0
	v_cmp_ne_u16_sdwa s[8:9], v7, v2 src0_sel:BYTE_0 src1_sel:DWORD
	s_andn2_b64 s[4:5], s[4:5], exec
	s_and_b64 s[8:9], s[8:9], exec
	s_or_b64 s[4:5], s[4:5], s[8:9]
	s_or_b64 exec, exec, s[6:7]
	s_and_saveexec_b64 s[6:7], s[4:5]
	s_cbranch_execnz .LBB48_931
	s_branch .LBB48_932
.LBB48_2981:
	s_movk_i32 s4, 0x80
	v_cmp_eq_u16_sdwa s[12:13], v3, s4 src0_sel:BYTE_0 src1_sel:DWORD
	s_mov_b64 s[4:5], -1
                                        ; implicit-def: $sgpr10
	s_and_saveexec_b64 s[8:9], s[12:13]
; %bb.2982:
	s_mov_b32 s10, 0x7f800001
	s_xor_b64 s[4:5], exec, -1
; %bb.2983:
	s_or_b64 exec, exec, s[8:9]
	s_and_b64 s[4:5], s[4:5], exec
	s_or_saveexec_b64 s[6:7], s[6:7]
	v_mov_b32_e32 v6, s10
	s_xor_b64 exec, exec, s[6:7]
	s_cbranch_execz .LBB48_934
.LBB48_2984:
	v_mov_b32_e32 v6, 0
	v_cmp_ne_u16_sdwa s[8:9], v3, v6 src0_sel:BYTE_0 src1_sel:DWORD
	s_andn2_b64 s[4:5], s[4:5], exec
	s_and_b64 s[8:9], s[8:9], exec
	s_or_b64 s[4:5], s[4:5], s[8:9]
	s_or_b64 exec, exec, s[6:7]
	s_and_saveexec_b64 s[6:7], s[4:5]
	s_cbranch_execnz .LBB48_935
	s_branch .LBB48_936
.LBB48_2985:
	s_movk_i32 s4, 0x80
	v_cmp_eq_u16_sdwa s[12:13], v6, s4 src0_sel:BYTE_0 src1_sel:DWORD
	s_mov_b64 s[4:5], -1
                                        ; implicit-def: $sgpr10
	s_and_saveexec_b64 s[8:9], s[12:13]
; %bb.2986:
	s_mov_b32 s10, 0x7f800001
	s_xor_b64 s[4:5], exec, -1
; %bb.2987:
	s_or_b64 exec, exec, s[8:9]
	s_and_b64 s[4:5], s[4:5], exec
	s_or_saveexec_b64 s[6:7], s[6:7]
	v_mov_b32_e32 v2, s10
	s_xor_b64 exec, exec, s[6:7]
	s_cbranch_execz .LBB48_938
.LBB48_2988:
	v_mov_b32_e32 v2, 0
	v_cmp_ne_u16_sdwa s[8:9], v6, v2 src0_sel:BYTE_0 src1_sel:DWORD
	s_andn2_b64 s[4:5], s[4:5], exec
	s_and_b64 s[8:9], s[8:9], exec
	s_or_b64 s[4:5], s[4:5], s[8:9]
	s_or_b64 exec, exec, s[6:7]
	s_and_saveexec_b64 s[6:7], s[4:5]
	s_cbranch_execnz .LBB48_939
	s_branch .LBB48_940
.LBB48_2989:
	s_movk_i32 s4, 0x80
	v_cmp_eq_u16_sdwa s[12:13], v6, s4 src0_sel:BYTE_0 src1_sel:DWORD
	s_mov_b64 s[4:5], -1
                                        ; implicit-def: $sgpr10
	s_and_saveexec_b64 s[8:9], s[12:13]
; %bb.2990:
	s_mov_b32 s10, 0x7f800001
	s_xor_b64 s[4:5], exec, -1
; %bb.2991:
	s_or_b64 exec, exec, s[8:9]
	s_and_b64 s[4:5], s[4:5], exec
	s_or_saveexec_b64 s[6:7], s[6:7]
	v_mov_b32_e32 v10, s10
	s_xor_b64 exec, exec, s[6:7]
	s_cbranch_execz .LBB48_942
.LBB48_2992:
	v_mov_b32_e32 v10, 0
	v_cmp_ne_u16_sdwa s[8:9], v6, v10 src0_sel:BYTE_0 src1_sel:DWORD
	s_andn2_b64 s[4:5], s[4:5], exec
	s_and_b64 s[8:9], s[8:9], exec
	s_or_b64 s[4:5], s[4:5], s[8:9]
	s_or_b64 exec, exec, s[6:7]
	s_and_saveexec_b64 s[6:7], s[4:5]
	s_cbranch_execnz .LBB48_943
	s_branch .LBB48_944
.LBB48_2993:
	s_movk_i32 s4, 0x80
	v_cmp_eq_u16_e32 vcc, s4, v6
	s_mov_b64 s[4:5], -1
                                        ; implicit-def: $sgpr10
	s_and_saveexec_b64 s[8:9], vcc
; %bb.2994:
	s_mov_b32 s10, 0x7f800001
	s_xor_b64 s[4:5], exec, -1
; %bb.2995:
	s_or_b64 exec, exec, s[8:9]
	s_and_b64 s[4:5], s[4:5], exec
                                        ; implicit-def: $vgpr6
	s_or_saveexec_b64 s[6:7], s[6:7]
	v_mov_b32_e32 v2, s10
	s_xor_b64 exec, exec, s[6:7]
	s_cbranch_execz .LBB48_946
.LBB48_2996:
	v_cmp_ne_u16_e32 vcc, 0, v6
	s_andn2_b64 s[4:5], s[4:5], exec
	s_and_b64 s[8:9], vcc, exec
	v_mov_b32_e32 v2, 0
	s_or_b64 s[4:5], s[4:5], s[8:9]
	s_or_b64 exec, exec, s[6:7]
	s_and_saveexec_b64 s[6:7], s[4:5]
	s_cbranch_execnz .LBB48_947
	s_branch .LBB48_948
.LBB48_2997:
	s_movk_i32 s4, 0x80
	v_cmp_eq_u16_e32 vcc, s4, v6
	s_mov_b64 s[4:5], -1
                                        ; implicit-def: $sgpr10
	s_and_saveexec_b64 s[8:9], vcc
; %bb.2998:
	s_mov_b32 s10, 0x7f800001
	s_xor_b64 s[4:5], exec, -1
; %bb.2999:
	s_or_b64 exec, exec, s[8:9]
	s_and_b64 s[4:5], s[4:5], exec
                                        ; implicit-def: $vgpr6
	s_or_saveexec_b64 s[6:7], s[6:7]
	v_mov_b32_e32 v10, s10
	s_xor_b64 exec, exec, s[6:7]
	s_cbranch_execz .LBB48_950
.LBB48_3000:
	v_cmp_ne_u16_e32 vcc, 0, v6
	s_andn2_b64 s[4:5], s[4:5], exec
	s_and_b64 s[8:9], vcc, exec
	v_mov_b32_e32 v10, 0
	s_or_b64 s[4:5], s[4:5], s[8:9]
	s_or_b64 exec, exec, s[6:7]
	s_and_saveexec_b64 s[6:7], s[4:5]
	s_cbranch_execnz .LBB48_951
	s_branch .LBB48_952
.LBB48_3001:
	s_movk_i32 s4, 0x80
	v_cmp_eq_u16_sdwa s[12:13], v7, s4 src0_sel:BYTE_3 src1_sel:DWORD
	s_mov_b64 s[4:5], -1
                                        ; implicit-def: $sgpr10
	s_and_saveexec_b64 s[8:9], s[12:13]
; %bb.3002:
	s_mov_b32 s10, 0x7f800001
	s_xor_b64 s[4:5], exec, -1
; %bb.3003:
	s_or_b64 exec, exec, s[8:9]
	s_and_b64 s[4:5], s[4:5], exec
	s_or_saveexec_b64 s[6:7], s[6:7]
	v_mov_b32_e32 v2, s10
	s_xor_b64 exec, exec, s[6:7]
	s_cbranch_execz .LBB48_954
.LBB48_3004:
	v_mov_b32_e32 v2, 0
	v_cmp_ne_u16_sdwa s[8:9], v7, v2 src0_sel:BYTE_3 src1_sel:DWORD
	s_andn2_b64 s[4:5], s[4:5], exec
	s_and_b64 s[8:9], s[8:9], exec
	s_or_b64 s[4:5], s[4:5], s[8:9]
	s_or_b64 exec, exec, s[6:7]
	s_and_saveexec_b64 s[6:7], s[4:5]
	s_cbranch_execnz .LBB48_955
	s_branch .LBB48_956
.LBB48_3005:
	s_movk_i32 s4, 0x80
	v_cmp_eq_u16_sdwa s[12:13], v3, s4 src0_sel:BYTE_3 src1_sel:DWORD
	s_mov_b64 s[4:5], -1
                                        ; implicit-def: $sgpr10
	s_and_saveexec_b64 s[8:9], s[12:13]
; %bb.3006:
	s_mov_b32 s10, 0x7f800001
	s_xor_b64 s[4:5], exec, -1
; %bb.3007:
	s_or_b64 exec, exec, s[8:9]
	s_and_b64 s[4:5], s[4:5], exec
	s_or_saveexec_b64 s[6:7], s[6:7]
	v_mov_b32_e32 v6, s10
	s_xor_b64 exec, exec, s[6:7]
	s_cbranch_execz .LBB48_958
.LBB48_3008:
	v_mov_b32_e32 v6, 0
	v_cmp_ne_u16_sdwa s[8:9], v3, v6 src0_sel:BYTE_3 src1_sel:DWORD
	s_andn2_b64 s[4:5], s[4:5], exec
	s_and_b64 s[8:9], s[8:9], exec
	s_or_b64 s[4:5], s[4:5], s[8:9]
	s_or_b64 exec, exec, s[6:7]
	s_and_saveexec_b64 s[6:7], s[4:5]
	s_cbranch_execnz .LBB48_959
	s_branch .LBB48_960
.LBB48_3009:
	s_movk_i32 s4, 0x80
	v_cmp_eq_u16_sdwa s[12:13], v8, s4 src0_sel:BYTE_0 src1_sel:DWORD
	s_mov_b64 s[4:5], -1
                                        ; implicit-def: $sgpr10
	s_and_saveexec_b64 s[8:9], s[12:13]
; %bb.3010:
	s_mov_b32 s10, 0x7f800001
	s_xor_b64 s[4:5], exec, -1
; %bb.3011:
	s_or_b64 exec, exec, s[8:9]
	s_and_b64 s[4:5], s[4:5], exec
	s_or_saveexec_b64 s[6:7], s[6:7]
	v_mov_b32_e32 v2, s10
	s_xor_b64 exec, exec, s[6:7]
	s_cbranch_execz .LBB48_962
.LBB48_3012:
	v_mov_b32_e32 v2, 0
	v_cmp_ne_u16_sdwa s[8:9], v8, v2 src0_sel:BYTE_0 src1_sel:DWORD
	s_andn2_b64 s[4:5], s[4:5], exec
	s_and_b64 s[8:9], s[8:9], exec
	s_or_b64 s[4:5], s[4:5], s[8:9]
	s_or_b64 exec, exec, s[6:7]
	s_and_saveexec_b64 s[6:7], s[4:5]
	s_cbranch_execnz .LBB48_963
	s_branch .LBB48_964
.LBB48_3013:
	s_movk_i32 s4, 0x80
	v_cmp_eq_u16_sdwa s[12:13], v4, s4 src0_sel:BYTE_0 src1_sel:DWORD
	s_mov_b64 s[4:5], -1
                                        ; implicit-def: $sgpr10
	s_and_saveexec_b64 s[8:9], s[12:13]
; %bb.3014:
	s_mov_b32 s10, 0x7f800001
	s_xor_b64 s[4:5], exec, -1
; %bb.3015:
	s_or_b64 exec, exec, s[8:9]
	s_and_b64 s[4:5], s[4:5], exec
	s_or_saveexec_b64 s[6:7], s[6:7]
	v_mov_b32_e32 v3, s10
	s_xor_b64 exec, exec, s[6:7]
	s_cbranch_execz .LBB48_966
.LBB48_3016:
	v_mov_b32_e32 v3, 0
	v_cmp_ne_u16_sdwa s[8:9], v4, v3 src0_sel:BYTE_0 src1_sel:DWORD
	s_andn2_b64 s[4:5], s[4:5], exec
	s_and_b64 s[8:9], s[8:9], exec
	s_or_b64 s[4:5], s[4:5], s[8:9]
	s_or_b64 exec, exec, s[6:7]
	s_and_saveexec_b64 s[6:7], s[4:5]
	s_cbranch_execnz .LBB48_967
	s_branch .LBB48_968
.LBB48_3017:
	s_movk_i32 s4, 0x80
	v_cmp_eq_u16_sdwa s[12:13], v3, s4 src0_sel:BYTE_0 src1_sel:DWORD
	s_mov_b64 s[4:5], -1
                                        ; implicit-def: $sgpr10
	s_and_saveexec_b64 s[8:9], s[12:13]
; %bb.3018:
	s_mov_b32 s10, 0x7f800001
	s_xor_b64 s[4:5], exec, -1
; %bb.3019:
	s_or_b64 exec, exec, s[8:9]
	s_and_b64 s[4:5], s[4:5], exec
	s_or_saveexec_b64 s[6:7], s[6:7]
	v_mov_b32_e32 v2, s10
	s_xor_b64 exec, exec, s[6:7]
	s_cbranch_execz .LBB48_970
.LBB48_3020:
	v_mov_b32_e32 v2, 0
	v_cmp_ne_u16_sdwa s[8:9], v3, v2 src0_sel:BYTE_0 src1_sel:DWORD
	s_andn2_b64 s[4:5], s[4:5], exec
	s_and_b64 s[8:9], s[8:9], exec
	s_or_b64 s[4:5], s[4:5], s[8:9]
	s_or_b64 exec, exec, s[6:7]
	s_and_saveexec_b64 s[6:7], s[4:5]
	s_cbranch_execnz .LBB48_971
	s_branch .LBB48_972
.LBB48_3021:
	s_movk_i32 s4, 0x80
	v_cmp_eq_u16_sdwa s[12:13], v3, s4 src0_sel:BYTE_0 src1_sel:DWORD
	s_mov_b64 s[4:5], -1
                                        ; implicit-def: $sgpr10
	s_and_saveexec_b64 s[8:9], s[12:13]
; %bb.3022:
	s_mov_b32 s10, 0x7f800001
	s_xor_b64 s[4:5], exec, -1
; %bb.3023:
	s_or_b64 exec, exec, s[8:9]
	s_and_b64 s[4:5], s[4:5], exec
	s_or_saveexec_b64 s[6:7], s[6:7]
	v_mov_b32_e32 v6, s10
	s_xor_b64 exec, exec, s[6:7]
	s_cbranch_execz .LBB48_974
.LBB48_3024:
	v_mov_b32_e32 v6, 0
	v_cmp_ne_u16_sdwa s[8:9], v3, v6 src0_sel:BYTE_0 src1_sel:DWORD
	s_andn2_b64 s[4:5], s[4:5], exec
	s_and_b64 s[8:9], s[8:9], exec
	s_or_b64 s[4:5], s[4:5], s[8:9]
	s_or_b64 exec, exec, s[6:7]
	s_and_saveexec_b64 s[6:7], s[4:5]
	s_cbranch_execnz .LBB48_975
	s_branch .LBB48_976
.LBB48_3025:
	s_movk_i32 s4, 0x80
	v_cmp_eq_u16_e32 vcc, s4, v3
	s_mov_b64 s[4:5], -1
                                        ; implicit-def: $sgpr10
	s_and_saveexec_b64 s[8:9], vcc
; %bb.3026:
	s_mov_b32 s10, 0x7f800001
	s_xor_b64 s[4:5], exec, -1
; %bb.3027:
	s_or_b64 exec, exec, s[8:9]
	s_and_b64 s[4:5], s[4:5], exec
                                        ; implicit-def: $vgpr3
	s_or_saveexec_b64 s[6:7], s[6:7]
	v_mov_b32_e32 v2, s10
	s_xor_b64 exec, exec, s[6:7]
	s_cbranch_execz .LBB48_978
.LBB48_3028:
	v_cmp_ne_u16_e32 vcc, 0, v3
	s_andn2_b64 s[4:5], s[4:5], exec
	s_and_b64 s[8:9], vcc, exec
	v_mov_b32_e32 v2, 0
	s_or_b64 s[4:5], s[4:5], s[8:9]
	s_or_b64 exec, exec, s[6:7]
	s_and_saveexec_b64 s[6:7], s[4:5]
	s_cbranch_execnz .LBB48_979
	s_branch .LBB48_980
.LBB48_3029:
	s_movk_i32 s4, 0x80
	v_cmp_eq_u16_e32 vcc, s4, v3
	s_mov_b64 s[4:5], -1
                                        ; implicit-def: $sgpr10
	s_and_saveexec_b64 s[8:9], vcc
; %bb.3030:
	s_mov_b32 s10, 0x7f800001
	s_xor_b64 s[4:5], exec, -1
; %bb.3031:
	s_or_b64 exec, exec, s[8:9]
	s_and_b64 s[4:5], s[4:5], exec
                                        ; implicit-def: $vgpr3
	s_or_saveexec_b64 s[6:7], s[6:7]
	v_mov_b32_e32 v6, s10
	s_xor_b64 exec, exec, s[6:7]
	s_cbranch_execz .LBB48_982
.LBB48_3032:
	v_cmp_ne_u16_e32 vcc, 0, v3
	s_andn2_b64 s[4:5], s[4:5], exec
	s_and_b64 s[8:9], vcc, exec
	v_mov_b32_e32 v6, 0
	s_or_b64 s[4:5], s[4:5], s[8:9]
	s_or_b64 exec, exec, s[6:7]
	s_and_saveexec_b64 s[6:7], s[4:5]
	s_cbranch_execnz .LBB48_983
	s_branch .LBB48_984
.LBB48_3033:
	s_movk_i32 s4, 0x80
	v_cmp_eq_u16_sdwa s[12:13], v8, s4 src0_sel:BYTE_3 src1_sel:DWORD
	s_mov_b64 s[4:5], -1
                                        ; implicit-def: $sgpr10
	s_and_saveexec_b64 s[8:9], s[12:13]
; %bb.3034:
	s_mov_b32 s10, 0x7f800001
	s_xor_b64 s[4:5], exec, -1
; %bb.3035:
	s_or_b64 exec, exec, s[8:9]
	s_and_b64 s[4:5], s[4:5], exec
	s_or_saveexec_b64 s[6:7], s[6:7]
	v_mov_b32_e32 v2, s10
	s_xor_b64 exec, exec, s[6:7]
	s_cbranch_execz .LBB48_986
.LBB48_3036:
	v_mov_b32_e32 v2, 0
	v_cmp_ne_u16_sdwa s[8:9], v8, v2 src0_sel:BYTE_3 src1_sel:DWORD
	s_andn2_b64 s[4:5], s[4:5], exec
	s_and_b64 s[8:9], s[8:9], exec
	s_or_b64 s[4:5], s[4:5], s[8:9]
	s_or_b64 exec, exec, s[6:7]
	s_and_saveexec_b64 s[6:7], s[4:5]
	s_cbranch_execnz .LBB48_987
	s_branch .LBB48_988
.LBB48_3037:
	s_movk_i32 s4, 0x80
	v_cmp_eq_u16_sdwa s[12:13], v4, s4 src0_sel:BYTE_3 src1_sel:DWORD
	s_mov_b64 s[4:5], -1
                                        ; implicit-def: $sgpr10
	s_and_saveexec_b64 s[8:9], s[12:13]
; %bb.3038:
	s_mov_b32 s10, 0x7f800001
	s_xor_b64 s[4:5], exec, -1
; %bb.3039:
	s_or_b64 exec, exec, s[8:9]
	s_and_b64 s[4:5], s[4:5], exec
	s_or_saveexec_b64 s[6:7], s[6:7]
	v_mov_b32_e32 v3, s10
	s_xor_b64 exec, exec, s[6:7]
	s_cbranch_execz .LBB48_990
.LBB48_3040:
	v_mov_b32_e32 v3, 0
	v_cmp_ne_u16_sdwa s[8:9], v4, v3 src0_sel:BYTE_3 src1_sel:DWORD
	s_andn2_b64 s[4:5], s[4:5], exec
	s_and_b64 s[8:9], s[8:9], exec
	s_or_b64 s[4:5], s[4:5], s[8:9]
	s_or_b64 exec, exec, s[6:7]
	s_and_saveexec_b64 s[6:7], s[4:5]
	s_cbranch_execnz .LBB48_991
	s_branch .LBB48_992
.LBB48_3041:
	s_movk_i32 s4, 0x80
	v_cmp_eq_u16_sdwa s[12:13], v9, s4 src0_sel:BYTE_0 src1_sel:DWORD
	s_mov_b64 s[4:5], -1
                                        ; implicit-def: $sgpr10
	s_and_saveexec_b64 s[8:9], s[12:13]
; %bb.3042:
	s_mov_b32 s10, 0x7f800001
	s_xor_b64 s[4:5], exec, -1
; %bb.3043:
	s_or_b64 exec, exec, s[8:9]
	s_and_b64 s[4:5], s[4:5], exec
	s_or_saveexec_b64 s[6:7], s[6:7]
	v_mov_b32_e32 v2, s10
	s_xor_b64 exec, exec, s[6:7]
	s_cbranch_execz .LBB48_994
.LBB48_3044:
	v_mov_b32_e32 v2, 0
	v_cmp_ne_u16_sdwa s[8:9], v9, v2 src0_sel:BYTE_0 src1_sel:DWORD
	s_andn2_b64 s[4:5], s[4:5], exec
	s_and_b64 s[8:9], s[8:9], exec
	s_or_b64 s[4:5], s[4:5], s[8:9]
	s_or_b64 exec, exec, s[6:7]
	s_and_saveexec_b64 s[6:7], s[4:5]
	s_cbranch_execnz .LBB48_995
	s_branch .LBB48_996
.LBB48_3045:
	s_movk_i32 s4, 0x80
	v_cmp_eq_u16_sdwa s[12:13], v5, s4 src0_sel:BYTE_0 src1_sel:DWORD
	s_mov_b64 s[4:5], -1
                                        ; implicit-def: $sgpr10
	s_and_saveexec_b64 s[8:9], s[12:13]
; %bb.3046:
	s_mov_b32 s10, 0x7f800001
	s_xor_b64 s[4:5], exec, -1
; %bb.3047:
	s_or_b64 exec, exec, s[8:9]
	s_and_b64 s[4:5], s[4:5], exec
	s_or_saveexec_b64 s[6:7], s[6:7]
	v_mov_b32_e32 v3, s10
	s_xor_b64 exec, exec, s[6:7]
	s_cbranch_execz .LBB48_998
.LBB48_3048:
	v_mov_b32_e32 v3, 0
	v_cmp_ne_u16_sdwa s[8:9], v5, v3 src0_sel:BYTE_0 src1_sel:DWORD
	s_andn2_b64 s[4:5], s[4:5], exec
	s_and_b64 s[8:9], s[8:9], exec
	s_or_b64 s[4:5], s[4:5], s[8:9]
	s_or_b64 exec, exec, s[6:7]
	s_and_saveexec_b64 s[6:7], s[4:5]
	s_cbranch_execnz .LBB48_999
	s_branch .LBB48_1000
.LBB48_3049:
	s_movk_i32 s4, 0x80
	v_cmp_eq_u16_sdwa s[12:13], v3, s4 src0_sel:BYTE_0 src1_sel:DWORD
	s_mov_b64 s[4:5], -1
                                        ; implicit-def: $sgpr10
	s_and_saveexec_b64 s[8:9], s[12:13]
; %bb.3050:
	s_mov_b32 s10, 0x7f800001
	s_xor_b64 s[4:5], exec, -1
; %bb.3051:
	s_or_b64 exec, exec, s[8:9]
	s_and_b64 s[4:5], s[4:5], exec
	s_or_saveexec_b64 s[6:7], s[6:7]
	v_mov_b32_e32 v2, s10
	s_xor_b64 exec, exec, s[6:7]
	s_cbranch_execz .LBB48_1002
.LBB48_3052:
	v_mov_b32_e32 v2, 0
	v_cmp_ne_u16_sdwa s[8:9], v3, v2 src0_sel:BYTE_0 src1_sel:DWORD
	s_andn2_b64 s[4:5], s[4:5], exec
	s_and_b64 s[8:9], s[8:9], exec
	s_or_b64 s[4:5], s[4:5], s[8:9]
	s_or_b64 exec, exec, s[6:7]
	s_and_saveexec_b64 s[6:7], s[4:5]
	s_cbranch_execnz .LBB48_1003
	s_branch .LBB48_1004
.LBB48_3053:
	s_movk_i32 s4, 0x80
	v_cmp_eq_u16_sdwa s[12:13], v3, s4 src0_sel:BYTE_0 src1_sel:DWORD
	s_mov_b64 s[4:5], -1
                                        ; implicit-def: $sgpr10
	s_and_saveexec_b64 s[8:9], s[12:13]
; %bb.3054:
	s_mov_b32 s10, 0x7f800001
	s_xor_b64 s[4:5], exec, -1
; %bb.3055:
	s_or_b64 exec, exec, s[8:9]
	s_and_b64 s[4:5], s[4:5], exec
	s_or_saveexec_b64 s[6:7], s[6:7]
	v_mov_b32_e32 v4, s10
	s_xor_b64 exec, exec, s[6:7]
	s_cbranch_execz .LBB48_1006
.LBB48_3056:
	v_mov_b32_e32 v4, 0
	v_cmp_ne_u16_sdwa s[8:9], v3, v4 src0_sel:BYTE_0 src1_sel:DWORD
	s_andn2_b64 s[4:5], s[4:5], exec
	s_and_b64 s[8:9], s[8:9], exec
	s_or_b64 s[4:5], s[4:5], s[8:9]
	s_or_b64 exec, exec, s[6:7]
	s_and_saveexec_b64 s[6:7], s[4:5]
	s_cbranch_execnz .LBB48_1007
	s_branch .LBB48_1008
.LBB48_3057:
	s_movk_i32 s4, 0x80
	v_cmp_eq_u16_e32 vcc, s4, v3
	s_mov_b64 s[4:5], -1
                                        ; implicit-def: $sgpr10
	s_and_saveexec_b64 s[8:9], vcc
; %bb.3058:
	s_mov_b32 s10, 0x7f800001
	s_xor_b64 s[4:5], exec, -1
; %bb.3059:
	s_or_b64 exec, exec, s[8:9]
	s_and_b64 s[4:5], s[4:5], exec
                                        ; implicit-def: $vgpr3
	s_or_saveexec_b64 s[6:7], s[6:7]
	v_mov_b32_e32 v2, s10
	s_xor_b64 exec, exec, s[6:7]
	s_cbranch_execz .LBB48_1010
.LBB48_3060:
	v_cmp_ne_u16_e32 vcc, 0, v3
	s_andn2_b64 s[4:5], s[4:5], exec
	s_and_b64 s[8:9], vcc, exec
	v_mov_b32_e32 v2, 0
	s_or_b64 s[4:5], s[4:5], s[8:9]
	s_or_b64 exec, exec, s[6:7]
	s_and_saveexec_b64 s[6:7], s[4:5]
	s_cbranch_execnz .LBB48_1011
	s_branch .LBB48_1012
.LBB48_3061:
	s_movk_i32 s4, 0x80
	v_cmp_eq_u16_e32 vcc, s4, v3
	s_mov_b64 s[4:5], -1
                                        ; implicit-def: $sgpr10
	s_and_saveexec_b64 s[8:9], vcc
; %bb.3062:
	s_mov_b32 s10, 0x7f800001
	s_xor_b64 s[4:5], exec, -1
; %bb.3063:
	s_or_b64 exec, exec, s[8:9]
	s_and_b64 s[4:5], s[4:5], exec
                                        ; implicit-def: $vgpr3
	s_or_saveexec_b64 s[6:7], s[6:7]
	v_mov_b32_e32 v4, s10
	s_xor_b64 exec, exec, s[6:7]
	s_cbranch_execz .LBB48_1014
.LBB48_3064:
	v_cmp_ne_u16_e32 vcc, 0, v3
	s_andn2_b64 s[4:5], s[4:5], exec
	s_and_b64 s[8:9], vcc, exec
	v_mov_b32_e32 v4, 0
	s_or_b64 s[4:5], s[4:5], s[8:9]
	s_or_b64 exec, exec, s[6:7]
	s_and_saveexec_b64 s[6:7], s[4:5]
	s_cbranch_execnz .LBB48_1015
	s_branch .LBB48_1016
.LBB48_3065:
	s_movk_i32 s4, 0x80
	v_cmp_eq_u16_sdwa s[12:13], v9, s4 src0_sel:BYTE_3 src1_sel:DWORD
	s_mov_b64 s[4:5], -1
                                        ; implicit-def: $sgpr10
	s_and_saveexec_b64 s[8:9], s[12:13]
; %bb.3066:
	s_mov_b32 s10, 0x7f800001
	s_xor_b64 s[4:5], exec, -1
; %bb.3067:
	s_or_b64 exec, exec, s[8:9]
	s_and_b64 s[4:5], s[4:5], exec
	s_or_saveexec_b64 s[6:7], s[6:7]
	v_mov_b32_e32 v2, s10
	s_xor_b64 exec, exec, s[6:7]
	s_cbranch_execz .LBB48_1018
.LBB48_3068:
	v_mov_b32_e32 v2, 0
	v_cmp_ne_u16_sdwa s[8:9], v9, v2 src0_sel:BYTE_3 src1_sel:DWORD
	s_andn2_b64 s[4:5], s[4:5], exec
	s_and_b64 s[8:9], s[8:9], exec
	s_or_b64 s[4:5], s[4:5], s[8:9]
	s_or_b64 exec, exec, s[6:7]
	s_and_saveexec_b64 s[6:7], s[4:5]
	s_cbranch_execnz .LBB48_1019
	s_branch .LBB48_1020
.LBB48_3069:
	s_movk_i32 s4, 0x80
	v_cmp_eq_u16_sdwa s[12:13], v5, s4 src0_sel:BYTE_3 src1_sel:DWORD
	s_mov_b64 s[4:5], -1
                                        ; implicit-def: $sgpr10
	s_and_saveexec_b64 s[8:9], s[12:13]
; %bb.3070:
	s_mov_b32 s10, 0x7f800001
	s_xor_b64 s[4:5], exec, -1
; %bb.3071:
	s_or_b64 exec, exec, s[8:9]
	s_and_b64 s[4:5], s[4:5], exec
	s_or_saveexec_b64 s[6:7], s[6:7]
	v_mov_b32_e32 v3, s10
	s_xor_b64 exec, exec, s[6:7]
	s_cbranch_execz .LBB48_1022
.LBB48_3072:
	v_mov_b32_e32 v3, 0
	v_cmp_ne_u16_sdwa s[8:9], v5, v3 src0_sel:BYTE_3 src1_sel:DWORD
	s_andn2_b64 s[4:5], s[4:5], exec
	s_and_b64 s[8:9], s[8:9], exec
	s_or_b64 s[4:5], s[4:5], s[8:9]
	s_or_b64 exec, exec, s[6:7]
	s_and_saveexec_b64 s[6:7], s[4:5]
	s_cbranch_execnz .LBB48_1023
	s_branch .LBB48_1024
.LBB48_3073:
	s_movk_i32 s4, 0x80
	v_cmp_eq_u16_sdwa s[12:13], v14, s4 src0_sel:BYTE_0 src1_sel:DWORD
	s_mov_b64 s[4:5], -1
                                        ; implicit-def: $sgpr10
	s_and_saveexec_b64 s[8:9], s[12:13]
; %bb.3074:
	s_mov_b32 s10, 0x7f800001
	s_xor_b64 s[4:5], exec, -1
; %bb.3075:
	s_or_b64 exec, exec, s[8:9]
	s_and_b64 s[4:5], s[4:5], exec
	s_or_saveexec_b64 s[6:7], s[6:7]
	v_mov_b32_e32 v20, s10
	s_xor_b64 exec, exec, s[6:7]
	s_cbranch_execz .LBB48_1026
.LBB48_3076:
	v_mov_b32_e32 v20, 0
	v_cmp_ne_u16_sdwa s[8:9], v14, v20 src0_sel:BYTE_0 src1_sel:DWORD
	s_andn2_b64 s[4:5], s[4:5], exec
	s_and_b64 s[8:9], s[8:9], exec
	s_or_b64 s[4:5], s[4:5], s[8:9]
	s_or_b64 exec, exec, s[6:7]
	s_and_saveexec_b64 s[6:7], s[4:5]
	s_cbranch_execnz .LBB48_1027
	s_branch .LBB48_1028
.LBB48_3077:
	s_movk_i32 s4, 0x80
	v_cmp_eq_u16_sdwa s[12:13], v10, s4 src0_sel:BYTE_0 src1_sel:DWORD
	s_mov_b64 s[4:5], -1
                                        ; implicit-def: $sgpr10
	s_and_saveexec_b64 s[8:9], s[12:13]
; %bb.3078:
	s_mov_b32 s10, 0x7f800001
	s_xor_b64 s[4:5], exec, -1
; %bb.3079:
	s_or_b64 exec, exec, s[8:9]
	s_and_b64 s[4:5], s[4:5], exec
	s_or_saveexec_b64 s[6:7], s[6:7]
	v_mov_b32_e32 v21, s10
	s_xor_b64 exec, exec, s[6:7]
	s_cbranch_execz .LBB48_1030
.LBB48_3080:
	v_mov_b32_e32 v21, 0
	v_cmp_ne_u16_sdwa s[8:9], v10, v21 src0_sel:BYTE_0 src1_sel:DWORD
	s_andn2_b64 s[4:5], s[4:5], exec
	s_and_b64 s[8:9], s[8:9], exec
	s_or_b64 s[4:5], s[4:5], s[8:9]
	s_or_b64 exec, exec, s[6:7]
	s_and_saveexec_b64 s[6:7], s[4:5]
	s_cbranch_execnz .LBB48_1031
	s_branch .LBB48_1032
.LBB48_3081:
	s_movk_i32 s4, 0x80
	v_cmp_eq_u16_sdwa s[12:13], v21, s4 src0_sel:BYTE_0 src1_sel:DWORD
	s_mov_b64 s[4:5], -1
                                        ; implicit-def: $sgpr10
	s_and_saveexec_b64 s[8:9], s[12:13]
; %bb.3082:
	s_mov_b32 s10, 0x7f800001
	s_xor_b64 s[4:5], exec, -1
; %bb.3083:
	s_or_b64 exec, exec, s[8:9]
	s_and_b64 s[4:5], s[4:5], exec
	s_or_saveexec_b64 s[6:7], s[6:7]
	v_mov_b32_e32 v20, s10
	s_xor_b64 exec, exec, s[6:7]
	s_cbranch_execz .LBB48_1034
.LBB48_3084:
	v_mov_b32_e32 v20, 0
	v_cmp_ne_u16_sdwa s[8:9], v21, v20 src0_sel:BYTE_0 src1_sel:DWORD
	s_andn2_b64 s[4:5], s[4:5], exec
	s_and_b64 s[8:9], s[8:9], exec
	s_or_b64 s[4:5], s[4:5], s[8:9]
	s_or_b64 exec, exec, s[6:7]
	s_and_saveexec_b64 s[6:7], s[4:5]
	s_cbranch_execnz .LBB48_1035
	s_branch .LBB48_1036
.LBB48_3085:
	s_movk_i32 s4, 0x80
	v_cmp_eq_u16_sdwa s[12:13], v21, s4 src0_sel:BYTE_0 src1_sel:DWORD
	s_mov_b64 s[4:5], -1
                                        ; implicit-def: $sgpr10
	s_and_saveexec_b64 s[8:9], s[12:13]
; %bb.3086:
	s_mov_b32 s10, 0x7f800001
	s_xor_b64 s[4:5], exec, -1
; %bb.3087:
	s_or_b64 exec, exec, s[8:9]
	s_and_b64 s[4:5], s[4:5], exec
	s_or_saveexec_b64 s[6:7], s[6:7]
	v_mov_b32_e32 v22, s10
	s_xor_b64 exec, exec, s[6:7]
	s_cbranch_execz .LBB48_1038
.LBB48_3088:
	v_mov_b32_e32 v22, 0
	v_cmp_ne_u16_sdwa s[8:9], v21, v22 src0_sel:BYTE_0 src1_sel:DWORD
	s_andn2_b64 s[4:5], s[4:5], exec
	s_and_b64 s[8:9], s[8:9], exec
	s_or_b64 s[4:5], s[4:5], s[8:9]
	s_or_b64 exec, exec, s[6:7]
	s_and_saveexec_b64 s[6:7], s[4:5]
	s_cbranch_execnz .LBB48_1039
	s_branch .LBB48_1040
.LBB48_3089:
	s_movk_i32 s4, 0x80
	v_cmp_eq_u16_e32 vcc, s4, v21
	s_mov_b64 s[4:5], -1
                                        ; implicit-def: $sgpr10
	s_and_saveexec_b64 s[8:9], vcc
; %bb.3090:
	s_mov_b32 s10, 0x7f800001
	s_xor_b64 s[4:5], exec, -1
; %bb.3091:
	s_or_b64 exec, exec, s[8:9]
	s_and_b64 s[4:5], s[4:5], exec
                                        ; implicit-def: $vgpr21
	s_or_saveexec_b64 s[6:7], s[6:7]
	v_mov_b32_e32 v20, s10
	s_xor_b64 exec, exec, s[6:7]
	s_cbranch_execz .LBB48_1042
.LBB48_3092:
	v_cmp_ne_u16_e32 vcc, 0, v21
	s_andn2_b64 s[4:5], s[4:5], exec
	s_and_b64 s[8:9], vcc, exec
	v_mov_b32_e32 v20, 0
	s_or_b64 s[4:5], s[4:5], s[8:9]
	s_or_b64 exec, exec, s[6:7]
	s_and_saveexec_b64 s[6:7], s[4:5]
	s_cbranch_execnz .LBB48_1043
	s_branch .LBB48_1044
.LBB48_3093:
	s_movk_i32 s4, 0x80
	v_cmp_eq_u16_e32 vcc, s4, v21
	s_mov_b64 s[4:5], -1
                                        ; implicit-def: $sgpr10
	s_and_saveexec_b64 s[8:9], vcc
; %bb.3094:
	s_mov_b32 s10, 0x7f800001
	s_xor_b64 s[4:5], exec, -1
; %bb.3095:
	s_or_b64 exec, exec, s[8:9]
	s_and_b64 s[4:5], s[4:5], exec
                                        ; implicit-def: $vgpr21
	s_or_saveexec_b64 s[6:7], s[6:7]
	v_mov_b32_e32 v22, s10
	s_xor_b64 exec, exec, s[6:7]
	s_cbranch_execz .LBB48_1046
.LBB48_3096:
	v_cmp_ne_u16_e32 vcc, 0, v21
	s_andn2_b64 s[4:5], s[4:5], exec
	s_and_b64 s[8:9], vcc, exec
	v_mov_b32_e32 v22, 0
	s_or_b64 s[4:5], s[4:5], s[8:9]
	s_or_b64 exec, exec, s[6:7]
	s_and_saveexec_b64 s[6:7], s[4:5]
	s_cbranch_execnz .LBB48_1047
	s_branch .LBB48_1048
.LBB48_3097:
	s_movk_i32 s4, 0x80
	v_cmp_eq_u16_sdwa s[12:13], v14, s4 src0_sel:BYTE_3 src1_sel:DWORD
	s_mov_b64 s[4:5], -1
                                        ; implicit-def: $sgpr10
	s_and_saveexec_b64 s[8:9], s[12:13]
; %bb.3098:
	s_mov_b32 s10, 0x7f800001
	s_xor_b64 s[4:5], exec, -1
; %bb.3099:
	s_or_b64 exec, exec, s[8:9]
	s_and_b64 s[4:5], s[4:5], exec
	s_or_saveexec_b64 s[6:7], s[6:7]
	v_mov_b32_e32 v20, s10
	s_xor_b64 exec, exec, s[6:7]
	s_cbranch_execz .LBB48_1050
.LBB48_3100:
	v_mov_b32_e32 v20, 0
	v_cmp_ne_u16_sdwa s[8:9], v14, v20 src0_sel:BYTE_3 src1_sel:DWORD
	s_andn2_b64 s[4:5], s[4:5], exec
	s_and_b64 s[8:9], s[8:9], exec
	s_or_b64 s[4:5], s[4:5], s[8:9]
	s_or_b64 exec, exec, s[6:7]
	s_and_saveexec_b64 s[6:7], s[4:5]
	s_cbranch_execnz .LBB48_1051
	s_branch .LBB48_1052
.LBB48_3101:
	s_movk_i32 s4, 0x80
	v_cmp_eq_u16_sdwa s[12:13], v10, s4 src0_sel:BYTE_3 src1_sel:DWORD
	s_mov_b64 s[4:5], -1
                                        ; implicit-def: $sgpr10
	s_and_saveexec_b64 s[8:9], s[12:13]
; %bb.3102:
	s_mov_b32 s10, 0x7f800001
	s_xor_b64 s[4:5], exec, -1
; %bb.3103:
	s_or_b64 exec, exec, s[8:9]
	s_and_b64 s[4:5], s[4:5], exec
	s_or_saveexec_b64 s[6:7], s[6:7]
	v_mov_b32_e32 v14, s10
	s_xor_b64 exec, exec, s[6:7]
	s_cbranch_execz .LBB48_1054
.LBB48_3104:
	v_mov_b32_e32 v14, 0
	v_cmp_ne_u16_sdwa s[8:9], v10, v14 src0_sel:BYTE_3 src1_sel:DWORD
	s_andn2_b64 s[4:5], s[4:5], exec
	s_and_b64 s[8:9], s[8:9], exec
	s_or_b64 s[4:5], s[4:5], s[8:9]
	s_or_b64 exec, exec, s[6:7]
	s_and_saveexec_b64 s[6:7], s[4:5]
	s_cbranch_execnz .LBB48_1055
	s_branch .LBB48_1056
.LBB48_3105:
	s_movk_i32 s4, 0x80
	v_cmp_eq_u16_sdwa s[12:13], v15, s4 src0_sel:BYTE_0 src1_sel:DWORD
	s_mov_b64 s[4:5], -1
                                        ; implicit-def: $sgpr10
	s_and_saveexec_b64 s[8:9], s[12:13]
; %bb.3106:
	s_mov_b32 s10, 0x7f800001
	s_xor_b64 s[4:5], exec, -1
; %bb.3107:
	s_or_b64 exec, exec, s[8:9]
	s_and_b64 s[4:5], s[4:5], exec
	s_or_saveexec_b64 s[6:7], s[6:7]
	v_mov_b32_e32 v10, s10
	s_xor_b64 exec, exec, s[6:7]
	s_cbranch_execz .LBB48_1058
.LBB48_3108:
	v_mov_b32_e32 v10, 0
	v_cmp_ne_u16_sdwa s[8:9], v15, v10 src0_sel:BYTE_0 src1_sel:DWORD
	s_andn2_b64 s[4:5], s[4:5], exec
	s_and_b64 s[8:9], s[8:9], exec
	s_or_b64 s[4:5], s[4:5], s[8:9]
	s_or_b64 exec, exec, s[6:7]
	s_and_saveexec_b64 s[6:7], s[4:5]
	s_cbranch_execnz .LBB48_1059
	s_branch .LBB48_1060
.LBB48_3109:
	s_movk_i32 s4, 0x80
	v_cmp_eq_u16_sdwa s[12:13], v11, s4 src0_sel:BYTE_0 src1_sel:DWORD
	s_mov_b64 s[4:5], -1
                                        ; implicit-def: $sgpr10
	s_and_saveexec_b64 s[8:9], s[12:13]
; %bb.3110:
	s_mov_b32 s10, 0x7f800001
	s_xor_b64 s[4:5], exec, -1
; %bb.3111:
	s_or_b64 exec, exec, s[8:9]
	s_and_b64 s[4:5], s[4:5], exec
	s_or_saveexec_b64 s[6:7], s[6:7]
	v_mov_b32_e32 v14, s10
	s_xor_b64 exec, exec, s[6:7]
	s_cbranch_execz .LBB48_1062
.LBB48_3112:
	v_mov_b32_e32 v14, 0
	v_cmp_ne_u16_sdwa s[8:9], v11, v14 src0_sel:BYTE_0 src1_sel:DWORD
	s_andn2_b64 s[4:5], s[4:5], exec
	s_and_b64 s[8:9], s[8:9], exec
	s_or_b64 s[4:5], s[4:5], s[8:9]
	s_or_b64 exec, exec, s[6:7]
	s_and_saveexec_b64 s[6:7], s[4:5]
	s_cbranch_execnz .LBB48_1063
	s_branch .LBB48_1064
.LBB48_3113:
	s_movk_i32 s4, 0x80
	v_cmp_eq_u16_sdwa s[12:13], v14, s4 src0_sel:BYTE_0 src1_sel:DWORD
	s_mov_b64 s[4:5], -1
                                        ; implicit-def: $sgpr10
	s_and_saveexec_b64 s[8:9], s[12:13]
; %bb.3114:
	s_mov_b32 s10, 0x7f800001
	s_xor_b64 s[4:5], exec, -1
; %bb.3115:
	s_or_b64 exec, exec, s[8:9]
	s_and_b64 s[4:5], s[4:5], exec
	s_or_saveexec_b64 s[6:7], s[6:7]
	v_mov_b32_e32 v10, s10
	s_xor_b64 exec, exec, s[6:7]
	s_cbranch_execz .LBB48_1066
.LBB48_3116:
	v_mov_b32_e32 v10, 0
	v_cmp_ne_u16_sdwa s[8:9], v14, v10 src0_sel:BYTE_0 src1_sel:DWORD
	s_andn2_b64 s[4:5], s[4:5], exec
	s_and_b64 s[8:9], s[8:9], exec
	s_or_b64 s[4:5], s[4:5], s[8:9]
	s_or_b64 exec, exec, s[6:7]
	s_and_saveexec_b64 s[6:7], s[4:5]
	s_cbranch_execnz .LBB48_1067
	s_branch .LBB48_1068
.LBB48_3117:
	s_movk_i32 s4, 0x80
	v_cmp_eq_u16_sdwa s[12:13], v14, s4 src0_sel:BYTE_0 src1_sel:DWORD
	s_mov_b64 s[4:5], -1
                                        ; implicit-def: $sgpr10
	s_and_saveexec_b64 s[8:9], s[12:13]
; %bb.3118:
	s_mov_b32 s10, 0x7f800001
	s_xor_b64 s[4:5], exec, -1
; %bb.3119:
	s_or_b64 exec, exec, s[8:9]
	s_and_b64 s[4:5], s[4:5], exec
	s_or_saveexec_b64 s[6:7], s[6:7]
	v_mov_b32_e32 v20, s10
	s_xor_b64 exec, exec, s[6:7]
	s_cbranch_execz .LBB48_1070
.LBB48_3120:
	v_mov_b32_e32 v20, 0
	v_cmp_ne_u16_sdwa s[8:9], v14, v20 src0_sel:BYTE_0 src1_sel:DWORD
	s_andn2_b64 s[4:5], s[4:5], exec
	s_and_b64 s[8:9], s[8:9], exec
	s_or_b64 s[4:5], s[4:5], s[8:9]
	s_or_b64 exec, exec, s[6:7]
	s_and_saveexec_b64 s[6:7], s[4:5]
	s_cbranch_execnz .LBB48_1071
	s_branch .LBB48_1072
.LBB48_3121:
	s_movk_i32 s4, 0x80
	v_cmp_eq_u16_e32 vcc, s4, v14
	s_mov_b64 s[4:5], -1
                                        ; implicit-def: $sgpr10
	s_and_saveexec_b64 s[8:9], vcc
; %bb.3122:
	s_mov_b32 s10, 0x7f800001
	s_xor_b64 s[4:5], exec, -1
; %bb.3123:
	s_or_b64 exec, exec, s[8:9]
	s_and_b64 s[4:5], s[4:5], exec
                                        ; implicit-def: $vgpr14
	s_or_saveexec_b64 s[6:7], s[6:7]
	v_mov_b32_e32 v10, s10
	s_xor_b64 exec, exec, s[6:7]
	s_cbranch_execz .LBB48_1074
.LBB48_3124:
	v_cmp_ne_u16_e32 vcc, 0, v14
	s_andn2_b64 s[4:5], s[4:5], exec
	s_and_b64 s[8:9], vcc, exec
	v_mov_b32_e32 v10, 0
	s_or_b64 s[4:5], s[4:5], s[8:9]
	s_or_b64 exec, exec, s[6:7]
	s_and_saveexec_b64 s[6:7], s[4:5]
	s_cbranch_execnz .LBB48_1075
	s_branch .LBB48_1076
.LBB48_3125:
	s_movk_i32 s4, 0x80
	v_cmp_eq_u16_e32 vcc, s4, v14
	s_mov_b64 s[4:5], -1
                                        ; implicit-def: $sgpr10
	s_and_saveexec_b64 s[8:9], vcc
; %bb.3126:
	s_mov_b32 s10, 0x7f800001
	s_xor_b64 s[4:5], exec, -1
; %bb.3127:
	s_or_b64 exec, exec, s[8:9]
	s_and_b64 s[4:5], s[4:5], exec
                                        ; implicit-def: $vgpr14
	s_or_saveexec_b64 s[6:7], s[6:7]
	v_mov_b32_e32 v20, s10
	s_xor_b64 exec, exec, s[6:7]
	s_cbranch_execz .LBB48_1078
.LBB48_3128:
	v_cmp_ne_u16_e32 vcc, 0, v14
	s_andn2_b64 s[4:5], s[4:5], exec
	s_and_b64 s[8:9], vcc, exec
	v_mov_b32_e32 v20, 0
	s_or_b64 s[4:5], s[4:5], s[8:9]
	s_or_b64 exec, exec, s[6:7]
	s_and_saveexec_b64 s[6:7], s[4:5]
	s_cbranch_execnz .LBB48_1079
	s_branch .LBB48_1080
.LBB48_3129:
	s_movk_i32 s4, 0x80
	v_cmp_eq_u16_sdwa s[12:13], v15, s4 src0_sel:BYTE_3 src1_sel:DWORD
	s_mov_b64 s[4:5], -1
                                        ; implicit-def: $sgpr10
	s_and_saveexec_b64 s[8:9], s[12:13]
; %bb.3130:
	s_mov_b32 s10, 0x7f800001
	s_xor_b64 s[4:5], exec, -1
; %bb.3131:
	s_or_b64 exec, exec, s[8:9]
	s_and_b64 s[4:5], s[4:5], exec
	s_or_saveexec_b64 s[6:7], s[6:7]
	v_mov_b32_e32 v10, s10
	s_xor_b64 exec, exec, s[6:7]
	s_cbranch_execz .LBB48_1082
.LBB48_3132:
	v_mov_b32_e32 v10, 0
	v_cmp_ne_u16_sdwa s[8:9], v15, v10 src0_sel:BYTE_3 src1_sel:DWORD
	s_andn2_b64 s[4:5], s[4:5], exec
	s_and_b64 s[8:9], s[8:9], exec
	s_or_b64 s[4:5], s[4:5], s[8:9]
	s_or_b64 exec, exec, s[6:7]
	s_and_saveexec_b64 s[6:7], s[4:5]
	s_cbranch_execnz .LBB48_1083
	s_branch .LBB48_1084
.LBB48_3133:
	s_movk_i32 s4, 0x80
	v_cmp_eq_u16_sdwa s[12:13], v11, s4 src0_sel:BYTE_3 src1_sel:DWORD
	s_mov_b64 s[4:5], -1
                                        ; implicit-def: $sgpr10
	s_and_saveexec_b64 s[8:9], s[12:13]
; %bb.3134:
	s_mov_b32 s10, 0x7f800001
	s_xor_b64 s[4:5], exec, -1
; %bb.3135:
	s_or_b64 exec, exec, s[8:9]
	s_and_b64 s[4:5], s[4:5], exec
	s_or_saveexec_b64 s[6:7], s[6:7]
	v_mov_b32_e32 v14, s10
	s_xor_b64 exec, exec, s[6:7]
	s_cbranch_execz .LBB48_1086
.LBB48_3136:
	v_mov_b32_e32 v14, 0
	v_cmp_ne_u16_sdwa s[8:9], v11, v14 src0_sel:BYTE_3 src1_sel:DWORD
	s_andn2_b64 s[4:5], s[4:5], exec
	s_and_b64 s[8:9], s[8:9], exec
	s_or_b64 s[4:5], s[4:5], s[8:9]
	s_or_b64 exec, exec, s[6:7]
	s_and_saveexec_b64 s[6:7], s[4:5]
	s_cbranch_execnz .LBB48_1087
	s_branch .LBB48_1088
.LBB48_3137:
	s_movk_i32 s4, 0x80
	v_cmp_eq_u16_sdwa s[12:13], v16, s4 src0_sel:BYTE_0 src1_sel:DWORD
	s_mov_b64 s[4:5], -1
                                        ; implicit-def: $sgpr10
	s_and_saveexec_b64 s[8:9], s[12:13]
; %bb.3138:
	s_mov_b32 s10, 0x7f800001
	s_xor_b64 s[4:5], exec, -1
; %bb.3139:
	s_or_b64 exec, exec, s[8:9]
	s_and_b64 s[4:5], s[4:5], exec
	s_or_saveexec_b64 s[6:7], s[6:7]
	v_mov_b32_e32 v10, s10
	s_xor_b64 exec, exec, s[6:7]
	s_cbranch_execz .LBB48_1090
.LBB48_3140:
	v_mov_b32_e32 v10, 0
	v_cmp_ne_u16_sdwa s[8:9], v16, v10 src0_sel:BYTE_0 src1_sel:DWORD
	s_andn2_b64 s[4:5], s[4:5], exec
	s_and_b64 s[8:9], s[8:9], exec
	s_or_b64 s[4:5], s[4:5], s[8:9]
	s_or_b64 exec, exec, s[6:7]
	s_and_saveexec_b64 s[6:7], s[4:5]
	s_cbranch_execnz .LBB48_1091
	s_branch .LBB48_1092
.LBB48_3141:
	s_movk_i32 s4, 0x80
	v_cmp_eq_u16_sdwa s[12:13], v12, s4 src0_sel:BYTE_0 src1_sel:DWORD
	s_mov_b64 s[4:5], -1
                                        ; implicit-def: $sgpr10
	s_and_saveexec_b64 s[8:9], s[12:13]
; %bb.3142:
	s_mov_b32 s10, 0x7f800001
	s_xor_b64 s[4:5], exec, -1
; %bb.3143:
	s_or_b64 exec, exec, s[8:9]
	s_and_b64 s[4:5], s[4:5], exec
	s_or_saveexec_b64 s[6:7], s[6:7]
	v_mov_b32_e32 v11, s10
	s_xor_b64 exec, exec, s[6:7]
	s_cbranch_execz .LBB48_1094
.LBB48_3144:
	v_mov_b32_e32 v11, 0
	v_cmp_ne_u16_sdwa s[8:9], v12, v11 src0_sel:BYTE_0 src1_sel:DWORD
	s_andn2_b64 s[4:5], s[4:5], exec
	s_and_b64 s[8:9], s[8:9], exec
	s_or_b64 s[4:5], s[4:5], s[8:9]
	s_or_b64 exec, exec, s[6:7]
	s_and_saveexec_b64 s[6:7], s[4:5]
	s_cbranch_execnz .LBB48_1095
	s_branch .LBB48_1096
.LBB48_3145:
	s_movk_i32 s4, 0x80
	v_cmp_eq_u16_sdwa s[12:13], v11, s4 src0_sel:BYTE_0 src1_sel:DWORD
	s_mov_b64 s[4:5], -1
                                        ; implicit-def: $sgpr10
	s_and_saveexec_b64 s[8:9], s[12:13]
; %bb.3146:
	s_mov_b32 s10, 0x7f800001
	s_xor_b64 s[4:5], exec, -1
; %bb.3147:
	s_or_b64 exec, exec, s[8:9]
	s_and_b64 s[4:5], s[4:5], exec
	s_or_saveexec_b64 s[6:7], s[6:7]
	v_mov_b32_e32 v10, s10
	s_xor_b64 exec, exec, s[6:7]
	s_cbranch_execz .LBB48_1098
.LBB48_3148:
	v_mov_b32_e32 v10, 0
	v_cmp_ne_u16_sdwa s[8:9], v11, v10 src0_sel:BYTE_0 src1_sel:DWORD
	s_andn2_b64 s[4:5], s[4:5], exec
	s_and_b64 s[8:9], s[8:9], exec
	s_or_b64 s[4:5], s[4:5], s[8:9]
	s_or_b64 exec, exec, s[6:7]
	s_and_saveexec_b64 s[6:7], s[4:5]
	s_cbranch_execnz .LBB48_1099
	s_branch .LBB48_1100
.LBB48_3149:
	s_movk_i32 s4, 0x80
	v_cmp_eq_u16_sdwa s[12:13], v11, s4 src0_sel:BYTE_0 src1_sel:DWORD
	s_mov_b64 s[4:5], -1
                                        ; implicit-def: $sgpr10
	s_and_saveexec_b64 s[8:9], s[12:13]
; %bb.3150:
	s_mov_b32 s10, 0x7f800001
	s_xor_b64 s[4:5], exec, -1
; %bb.3151:
	s_or_b64 exec, exec, s[8:9]
	s_and_b64 s[4:5], s[4:5], exec
	s_or_saveexec_b64 s[6:7], s[6:7]
	v_mov_b32_e32 v14, s10
	s_xor_b64 exec, exec, s[6:7]
	s_cbranch_execz .LBB48_1102
.LBB48_3152:
	v_mov_b32_e32 v14, 0
	v_cmp_ne_u16_sdwa s[8:9], v11, v14 src0_sel:BYTE_0 src1_sel:DWORD
	s_andn2_b64 s[4:5], s[4:5], exec
	s_and_b64 s[8:9], s[8:9], exec
	s_or_b64 s[4:5], s[4:5], s[8:9]
	s_or_b64 exec, exec, s[6:7]
	s_and_saveexec_b64 s[6:7], s[4:5]
	s_cbranch_execnz .LBB48_1103
	s_branch .LBB48_1104
.LBB48_3153:
	s_movk_i32 s4, 0x80
	v_cmp_eq_u16_e32 vcc, s4, v11
	s_mov_b64 s[4:5], -1
                                        ; implicit-def: $sgpr10
	s_and_saveexec_b64 s[8:9], vcc
; %bb.3154:
	s_mov_b32 s10, 0x7f800001
	s_xor_b64 s[4:5], exec, -1
; %bb.3155:
	s_or_b64 exec, exec, s[8:9]
	s_and_b64 s[4:5], s[4:5], exec
                                        ; implicit-def: $vgpr11
	s_or_saveexec_b64 s[6:7], s[6:7]
	v_mov_b32_e32 v10, s10
	s_xor_b64 exec, exec, s[6:7]
	s_cbranch_execz .LBB48_1106
.LBB48_3156:
	v_cmp_ne_u16_e32 vcc, 0, v11
	s_andn2_b64 s[4:5], s[4:5], exec
	s_and_b64 s[8:9], vcc, exec
	v_mov_b32_e32 v10, 0
	s_or_b64 s[4:5], s[4:5], s[8:9]
	s_or_b64 exec, exec, s[6:7]
	s_and_saveexec_b64 s[6:7], s[4:5]
	s_cbranch_execnz .LBB48_1107
	s_branch .LBB48_1108
.LBB48_3157:
	s_movk_i32 s4, 0x80
	v_cmp_eq_u16_e32 vcc, s4, v11
	s_mov_b64 s[4:5], -1
                                        ; implicit-def: $sgpr10
	s_and_saveexec_b64 s[8:9], vcc
; %bb.3158:
	s_mov_b32 s10, 0x7f800001
	s_xor_b64 s[4:5], exec, -1
; %bb.3159:
	s_or_b64 exec, exec, s[8:9]
	s_and_b64 s[4:5], s[4:5], exec
                                        ; implicit-def: $vgpr11
	s_or_saveexec_b64 s[6:7], s[6:7]
	v_mov_b32_e32 v14, s10
	s_xor_b64 exec, exec, s[6:7]
	s_cbranch_execz .LBB48_1110
.LBB48_3160:
	v_cmp_ne_u16_e32 vcc, 0, v11
	s_andn2_b64 s[4:5], s[4:5], exec
	s_and_b64 s[8:9], vcc, exec
	v_mov_b32_e32 v14, 0
	s_or_b64 s[4:5], s[4:5], s[8:9]
	s_or_b64 exec, exec, s[6:7]
	s_and_saveexec_b64 s[6:7], s[4:5]
	s_cbranch_execnz .LBB48_1111
	s_branch .LBB48_1112
.LBB48_3161:
	s_movk_i32 s4, 0x80
	v_cmp_eq_u16_sdwa s[12:13], v16, s4 src0_sel:BYTE_3 src1_sel:DWORD
	s_mov_b64 s[4:5], -1
                                        ; implicit-def: $sgpr10
	s_and_saveexec_b64 s[8:9], s[12:13]
; %bb.3162:
	s_mov_b32 s10, 0x7f800001
	s_xor_b64 s[4:5], exec, -1
; %bb.3163:
	s_or_b64 exec, exec, s[8:9]
	s_and_b64 s[4:5], s[4:5], exec
	s_or_saveexec_b64 s[6:7], s[6:7]
	v_mov_b32_e32 v10, s10
	s_xor_b64 exec, exec, s[6:7]
	s_cbranch_execz .LBB48_1114
.LBB48_3164:
	v_mov_b32_e32 v10, 0
	v_cmp_ne_u16_sdwa s[8:9], v16, v10 src0_sel:BYTE_3 src1_sel:DWORD
	s_andn2_b64 s[4:5], s[4:5], exec
	s_and_b64 s[8:9], s[8:9], exec
	s_or_b64 s[4:5], s[4:5], s[8:9]
	s_or_b64 exec, exec, s[6:7]
	s_and_saveexec_b64 s[6:7], s[4:5]
	s_cbranch_execnz .LBB48_1115
	s_branch .LBB48_1116
.LBB48_3165:
	s_movk_i32 s4, 0x80
	v_cmp_eq_u16_sdwa s[12:13], v12, s4 src0_sel:BYTE_3 src1_sel:DWORD
	s_mov_b64 s[4:5], -1
                                        ; implicit-def: $sgpr10
	s_and_saveexec_b64 s[8:9], s[12:13]
; %bb.3166:
	s_mov_b32 s10, 0x7f800001
	s_xor_b64 s[4:5], exec, -1
; %bb.3167:
	s_or_b64 exec, exec, s[8:9]
	s_and_b64 s[4:5], s[4:5], exec
	s_or_saveexec_b64 s[6:7], s[6:7]
	v_mov_b32_e32 v11, s10
	s_xor_b64 exec, exec, s[6:7]
	s_cbranch_execz .LBB48_1118
.LBB48_3168:
	v_mov_b32_e32 v11, 0
	v_cmp_ne_u16_sdwa s[8:9], v12, v11 src0_sel:BYTE_3 src1_sel:DWORD
	s_andn2_b64 s[4:5], s[4:5], exec
	s_and_b64 s[8:9], s[8:9], exec
	s_or_b64 s[4:5], s[4:5], s[8:9]
	s_or_b64 exec, exec, s[6:7]
	s_and_saveexec_b64 s[6:7], s[4:5]
	s_cbranch_execnz .LBB48_1119
	s_branch .LBB48_1120
.LBB48_3169:
	s_movk_i32 s4, 0x80
	v_cmp_eq_u16_sdwa s[12:13], v17, s4 src0_sel:BYTE_0 src1_sel:DWORD
	s_mov_b64 s[4:5], -1
                                        ; implicit-def: $sgpr10
	s_and_saveexec_b64 s[8:9], s[12:13]
; %bb.3170:
	s_mov_b32 s10, 0x7f800001
	s_xor_b64 s[4:5], exec, -1
; %bb.3171:
	s_or_b64 exec, exec, s[8:9]
	s_and_b64 s[4:5], s[4:5], exec
	s_or_saveexec_b64 s[6:7], s[6:7]
	v_mov_b32_e32 v10, s10
	s_xor_b64 exec, exec, s[6:7]
	s_cbranch_execz .LBB48_1122
.LBB48_3172:
	v_mov_b32_e32 v10, 0
	v_cmp_ne_u16_sdwa s[8:9], v17, v10 src0_sel:BYTE_0 src1_sel:DWORD
	s_andn2_b64 s[4:5], s[4:5], exec
	s_and_b64 s[8:9], s[8:9], exec
	s_or_b64 s[4:5], s[4:5], s[8:9]
	s_or_b64 exec, exec, s[6:7]
	s_and_saveexec_b64 s[6:7], s[4:5]
	s_cbranch_execnz .LBB48_1123
	s_branch .LBB48_1124
.LBB48_3173:
	s_movk_i32 s4, 0x80
	v_cmp_eq_u16_sdwa s[12:13], v13, s4 src0_sel:BYTE_0 src1_sel:DWORD
	s_mov_b64 s[4:5], -1
                                        ; implicit-def: $sgpr10
	s_and_saveexec_b64 s[8:9], s[12:13]
; %bb.3174:
	s_mov_b32 s10, 0x7f800001
	s_xor_b64 s[4:5], exec, -1
; %bb.3175:
	s_or_b64 exec, exec, s[8:9]
	s_and_b64 s[4:5], s[4:5], exec
	s_or_saveexec_b64 s[6:7], s[6:7]
	v_mov_b32_e32 v11, s10
	s_xor_b64 exec, exec, s[6:7]
	s_cbranch_execz .LBB48_1126
.LBB48_3176:
	v_mov_b32_e32 v11, 0
	v_cmp_ne_u16_sdwa s[8:9], v13, v11 src0_sel:BYTE_0 src1_sel:DWORD
	s_andn2_b64 s[4:5], s[4:5], exec
	s_and_b64 s[8:9], s[8:9], exec
	s_or_b64 s[4:5], s[4:5], s[8:9]
	s_or_b64 exec, exec, s[6:7]
	s_and_saveexec_b64 s[6:7], s[4:5]
	s_cbranch_execnz .LBB48_1127
	s_branch .LBB48_1128
.LBB48_3177:
	s_movk_i32 s4, 0x80
	v_cmp_eq_u16_sdwa s[12:13], v11, s4 src0_sel:BYTE_0 src1_sel:DWORD
	s_mov_b64 s[4:5], -1
                                        ; implicit-def: $sgpr10
	s_and_saveexec_b64 s[8:9], s[12:13]
; %bb.3178:
	s_mov_b32 s10, 0x7f800001
	s_xor_b64 s[4:5], exec, -1
; %bb.3179:
	s_or_b64 exec, exec, s[8:9]
	s_and_b64 s[4:5], s[4:5], exec
	s_or_saveexec_b64 s[6:7], s[6:7]
	v_mov_b32_e32 v10, s10
	s_xor_b64 exec, exec, s[6:7]
	s_cbranch_execz .LBB48_1130
.LBB48_3180:
	v_mov_b32_e32 v10, 0
	v_cmp_ne_u16_sdwa s[8:9], v11, v10 src0_sel:BYTE_0 src1_sel:DWORD
	s_andn2_b64 s[4:5], s[4:5], exec
	s_and_b64 s[8:9], s[8:9], exec
	s_or_b64 s[4:5], s[4:5], s[8:9]
	s_or_b64 exec, exec, s[6:7]
	s_and_saveexec_b64 s[6:7], s[4:5]
	s_cbranch_execnz .LBB48_1131
	s_branch .LBB48_1132
.LBB48_3181:
	s_movk_i32 s4, 0x80
	v_cmp_eq_u16_sdwa s[12:13], v11, s4 src0_sel:BYTE_0 src1_sel:DWORD
	s_mov_b64 s[4:5], -1
                                        ; implicit-def: $sgpr10
	s_and_saveexec_b64 s[8:9], s[12:13]
; %bb.3182:
	s_mov_b32 s10, 0x7f800001
	s_xor_b64 s[4:5], exec, -1
; %bb.3183:
	s_or_b64 exec, exec, s[8:9]
	s_and_b64 s[4:5], s[4:5], exec
	s_or_saveexec_b64 s[6:7], s[6:7]
	v_mov_b32_e32 v12, s10
	s_xor_b64 exec, exec, s[6:7]
	s_cbranch_execz .LBB48_1134
.LBB48_3184:
	v_mov_b32_e32 v12, 0
	v_cmp_ne_u16_sdwa s[8:9], v11, v12 src0_sel:BYTE_0 src1_sel:DWORD
	s_andn2_b64 s[4:5], s[4:5], exec
	s_and_b64 s[8:9], s[8:9], exec
	s_or_b64 s[4:5], s[4:5], s[8:9]
	s_or_b64 exec, exec, s[6:7]
	s_and_saveexec_b64 s[6:7], s[4:5]
	s_cbranch_execnz .LBB48_1135
	s_branch .LBB48_1136
.LBB48_3185:
	s_movk_i32 s4, 0x80
	v_cmp_eq_u16_e32 vcc, s4, v11
	s_mov_b64 s[4:5], -1
                                        ; implicit-def: $sgpr10
	s_and_saveexec_b64 s[8:9], vcc
; %bb.3186:
	s_mov_b32 s10, 0x7f800001
	s_xor_b64 s[4:5], exec, -1
; %bb.3187:
	s_or_b64 exec, exec, s[8:9]
	s_and_b64 s[4:5], s[4:5], exec
                                        ; implicit-def: $vgpr11
	s_or_saveexec_b64 s[6:7], s[6:7]
	v_mov_b32_e32 v10, s10
	s_xor_b64 exec, exec, s[6:7]
	s_cbranch_execz .LBB48_1138
.LBB48_3188:
	v_cmp_ne_u16_e32 vcc, 0, v11
	s_andn2_b64 s[4:5], s[4:5], exec
	s_and_b64 s[8:9], vcc, exec
	v_mov_b32_e32 v10, 0
	s_or_b64 s[4:5], s[4:5], s[8:9]
	s_or_b64 exec, exec, s[6:7]
	s_and_saveexec_b64 s[6:7], s[4:5]
	s_cbranch_execnz .LBB48_1139
	s_branch .LBB48_1140
.LBB48_3189:
	s_movk_i32 s4, 0x80
	v_cmp_eq_u16_e32 vcc, s4, v11
	s_mov_b64 s[4:5], -1
                                        ; implicit-def: $sgpr10
	s_and_saveexec_b64 s[8:9], vcc
; %bb.3190:
	s_mov_b32 s10, 0x7f800001
	s_xor_b64 s[4:5], exec, -1
; %bb.3191:
	s_or_b64 exec, exec, s[8:9]
	s_and_b64 s[4:5], s[4:5], exec
                                        ; implicit-def: $vgpr11
	s_or_saveexec_b64 s[6:7], s[6:7]
	v_mov_b32_e32 v12, s10
	s_xor_b64 exec, exec, s[6:7]
	s_cbranch_execz .LBB48_1142
.LBB48_3192:
	v_cmp_ne_u16_e32 vcc, 0, v11
	s_andn2_b64 s[4:5], s[4:5], exec
	s_and_b64 s[8:9], vcc, exec
	v_mov_b32_e32 v12, 0
	s_or_b64 s[4:5], s[4:5], s[8:9]
	s_or_b64 exec, exec, s[6:7]
	s_and_saveexec_b64 s[6:7], s[4:5]
	s_cbranch_execnz .LBB48_1143
	s_branch .LBB48_1144
.LBB48_3193:
	s_movk_i32 s4, 0x80
	v_cmp_eq_u16_sdwa s[12:13], v17, s4 src0_sel:BYTE_3 src1_sel:DWORD
	s_mov_b64 s[4:5], -1
                                        ; implicit-def: $sgpr10
	s_and_saveexec_b64 s[8:9], s[12:13]
; %bb.3194:
	s_mov_b32 s10, 0x7f800001
	s_xor_b64 s[4:5], exec, -1
; %bb.3195:
	s_or_b64 exec, exec, s[8:9]
	s_and_b64 s[4:5], s[4:5], exec
	s_or_saveexec_b64 s[6:7], s[6:7]
	v_mov_b32_e32 v10, s10
	s_xor_b64 exec, exec, s[6:7]
	s_cbranch_execz .LBB48_1146
.LBB48_3196:
	v_mov_b32_e32 v10, 0
	v_cmp_ne_u16_sdwa s[8:9], v17, v10 src0_sel:BYTE_3 src1_sel:DWORD
	s_andn2_b64 s[4:5], s[4:5], exec
	s_and_b64 s[8:9], s[8:9], exec
	s_or_b64 s[4:5], s[4:5], s[8:9]
	s_or_b64 exec, exec, s[6:7]
	s_and_saveexec_b64 s[6:7], s[4:5]
	s_cbranch_execnz .LBB48_1147
	s_branch .LBB48_1148
.LBB48_3197:
	s_movk_i32 s4, 0x80
	v_cmp_eq_u16_sdwa s[12:13], v13, s4 src0_sel:BYTE_3 src1_sel:DWORD
	s_mov_b64 s[4:5], -1
                                        ; implicit-def: $sgpr10
	s_and_saveexec_b64 s[8:9], s[12:13]
; %bb.3198:
	s_mov_b32 s10, 0x7f800001
	s_xor_b64 s[4:5], exec, -1
; %bb.3199:
	s_or_b64 exec, exec, s[8:9]
	s_and_b64 s[4:5], s[4:5], exec
	s_or_saveexec_b64 s[6:7], s[6:7]
	v_mov_b32_e32 v11, s10
	s_xor_b64 exec, exec, s[6:7]
	s_cbranch_execz .LBB48_1150
.LBB48_3200:
	v_mov_b32_e32 v11, 0
	v_cmp_ne_u16_sdwa s[8:9], v13, v11 src0_sel:BYTE_3 src1_sel:DWORD
	s_andn2_b64 s[4:5], s[4:5], exec
	s_and_b64 s[8:9], s[8:9], exec
	s_or_b64 s[4:5], s[4:5], s[8:9]
	s_or_b64 exec, exec, s[6:7]
	s_and_saveexec_b64 s[6:7], s[4:5]
	s_cbranch_execnz .LBB48_1151
	s_branch .LBB48_1152
.LBB48_3201:
	s_movk_i32 s4, 0x80
	v_cmp_eq_u16_sdwa s[12:13], v6, s4 src0_sel:BYTE_0 src1_sel:DWORD
	s_mov_b64 s[4:5], -1
                                        ; implicit-def: $sgpr10
	s_and_saveexec_b64 s[8:9], s[12:13]
; %bb.3202:
	s_mov_b32 s10, 0x7f800001
	s_xor_b64 s[4:5], exec, -1
; %bb.3203:
	s_or_b64 exec, exec, s[8:9]
	s_and_b64 s[4:5], s[4:5], exec
	s_or_saveexec_b64 s[6:7], s[6:7]
	v_mov_b32_e32 v10, s10
	s_xor_b64 exec, exec, s[6:7]
	s_cbranch_execz .LBB48_1154
.LBB48_3204:
	v_mov_b32_e32 v10, 0
	v_cmp_ne_u16_sdwa s[8:9], v6, v10 src0_sel:BYTE_0 src1_sel:DWORD
	s_andn2_b64 s[4:5], s[4:5], exec
	s_and_b64 s[8:9], s[8:9], exec
	s_or_b64 s[4:5], s[4:5], s[8:9]
	s_or_b64 exec, exec, s[6:7]
	s_and_saveexec_b64 s[6:7], s[4:5]
	s_cbranch_execnz .LBB48_1155
	s_branch .LBB48_1156
.LBB48_3205:
	s_movk_i32 s4, 0x80
	v_cmp_eq_u16_sdwa s[12:13], v2, s4 src0_sel:BYTE_0 src1_sel:DWORD
	s_mov_b64 s[4:5], -1
                                        ; implicit-def: $sgpr10
	s_and_saveexec_b64 s[8:9], s[12:13]
; %bb.3206:
	s_mov_b32 s10, 0x7f800001
	s_xor_b64 s[4:5], exec, -1
; %bb.3207:
	s_or_b64 exec, exec, s[8:9]
	s_and_b64 s[4:5], s[4:5], exec
	s_or_saveexec_b64 s[6:7], s[6:7]
	v_mov_b32_e32 v11, s10
	s_xor_b64 exec, exec, s[6:7]
	s_cbranch_execz .LBB48_1158
.LBB48_3208:
	v_mov_b32_e32 v11, 0
	v_cmp_ne_u16_sdwa s[8:9], v2, v11 src0_sel:BYTE_0 src1_sel:DWORD
	s_andn2_b64 s[4:5], s[4:5], exec
	s_and_b64 s[8:9], s[8:9], exec
	s_or_b64 s[4:5], s[4:5], s[8:9]
	s_or_b64 exec, exec, s[6:7]
	s_and_saveexec_b64 s[6:7], s[4:5]
	s_cbranch_execnz .LBB48_1159
	s_branch .LBB48_1160
.LBB48_3209:
	s_movk_i32 s4, 0x80
	v_cmp_eq_u16_sdwa s[12:13], v11, s4 src0_sel:BYTE_0 src1_sel:DWORD
	s_mov_b64 s[4:5], -1
                                        ; implicit-def: $sgpr10
	s_and_saveexec_b64 s[8:9], s[12:13]
; %bb.3210:
	s_mov_b32 s10, 0x7f800001
	s_xor_b64 s[4:5], exec, -1
; %bb.3211:
	s_or_b64 exec, exec, s[8:9]
	s_and_b64 s[4:5], s[4:5], exec
	s_or_saveexec_b64 s[6:7], s[6:7]
	v_mov_b32_e32 v10, s10
	s_xor_b64 exec, exec, s[6:7]
	s_cbranch_execz .LBB48_1162
.LBB48_3212:
	v_mov_b32_e32 v10, 0
	v_cmp_ne_u16_sdwa s[8:9], v11, v10 src0_sel:BYTE_0 src1_sel:DWORD
	s_andn2_b64 s[4:5], s[4:5], exec
	s_and_b64 s[8:9], s[8:9], exec
	s_or_b64 s[4:5], s[4:5], s[8:9]
	s_or_b64 exec, exec, s[6:7]
	s_and_saveexec_b64 s[6:7], s[4:5]
	s_cbranch_execnz .LBB48_1163
	s_branch .LBB48_1164
.LBB48_3213:
	s_movk_i32 s4, 0x80
	v_cmp_eq_u16_sdwa s[12:13], v11, s4 src0_sel:BYTE_0 src1_sel:DWORD
	s_mov_b64 s[4:5], -1
                                        ; implicit-def: $sgpr10
	s_and_saveexec_b64 s[8:9], s[12:13]
; %bb.3214:
	s_mov_b32 s10, 0x7f800001
	s_xor_b64 s[4:5], exec, -1
; %bb.3215:
	s_or_b64 exec, exec, s[8:9]
	s_and_b64 s[4:5], s[4:5], exec
	s_or_saveexec_b64 s[6:7], s[6:7]
	v_mov_b32_e32 v12, s10
	s_xor_b64 exec, exec, s[6:7]
	s_cbranch_execz .LBB48_1166
.LBB48_3216:
	v_mov_b32_e32 v12, 0
	v_cmp_ne_u16_sdwa s[8:9], v11, v12 src0_sel:BYTE_0 src1_sel:DWORD
	s_andn2_b64 s[4:5], s[4:5], exec
	s_and_b64 s[8:9], s[8:9], exec
	s_or_b64 s[4:5], s[4:5], s[8:9]
	s_or_b64 exec, exec, s[6:7]
	s_and_saveexec_b64 s[6:7], s[4:5]
	s_cbranch_execnz .LBB48_1167
	s_branch .LBB48_1168
.LBB48_3217:
	s_movk_i32 s4, 0x80
	v_cmp_eq_u16_e32 vcc, s4, v11
	s_mov_b64 s[4:5], -1
                                        ; implicit-def: $sgpr10
	s_and_saveexec_b64 s[8:9], vcc
; %bb.3218:
	s_mov_b32 s10, 0x7f800001
	s_xor_b64 s[4:5], exec, -1
; %bb.3219:
	s_or_b64 exec, exec, s[8:9]
	s_and_b64 s[4:5], s[4:5], exec
                                        ; implicit-def: $vgpr11
	s_or_saveexec_b64 s[6:7], s[6:7]
	v_mov_b32_e32 v10, s10
	s_xor_b64 exec, exec, s[6:7]
	s_cbranch_execz .LBB48_1170
.LBB48_3220:
	v_cmp_ne_u16_e32 vcc, 0, v11
	s_andn2_b64 s[4:5], s[4:5], exec
	s_and_b64 s[8:9], vcc, exec
	v_mov_b32_e32 v10, 0
	s_or_b64 s[4:5], s[4:5], s[8:9]
	s_or_b64 exec, exec, s[6:7]
	s_and_saveexec_b64 s[6:7], s[4:5]
	s_cbranch_execnz .LBB48_1171
	s_branch .LBB48_1172
.LBB48_3221:
	s_movk_i32 s4, 0x80
	v_cmp_eq_u16_e32 vcc, s4, v11
	s_mov_b64 s[4:5], -1
                                        ; implicit-def: $sgpr10
	s_and_saveexec_b64 s[8:9], vcc
; %bb.3222:
	s_mov_b32 s10, 0x7f800001
	s_xor_b64 s[4:5], exec, -1
; %bb.3223:
	s_or_b64 exec, exec, s[8:9]
	s_and_b64 s[4:5], s[4:5], exec
                                        ; implicit-def: $vgpr11
	s_or_saveexec_b64 s[6:7], s[6:7]
	v_mov_b32_e32 v12, s10
	s_xor_b64 exec, exec, s[6:7]
	s_cbranch_execz .LBB48_1174
.LBB48_3224:
	v_cmp_ne_u16_e32 vcc, 0, v11
	s_andn2_b64 s[4:5], s[4:5], exec
	s_and_b64 s[8:9], vcc, exec
	v_mov_b32_e32 v12, 0
	s_or_b64 s[4:5], s[4:5], s[8:9]
	s_or_b64 exec, exec, s[6:7]
	s_and_saveexec_b64 s[6:7], s[4:5]
	s_cbranch_execnz .LBB48_1175
	s_branch .LBB48_1176
.LBB48_3225:
	s_movk_i32 s4, 0x80
	v_cmp_eq_u16_sdwa s[12:13], v6, s4 src0_sel:BYTE_3 src1_sel:DWORD
	s_mov_b64 s[4:5], -1
                                        ; implicit-def: $sgpr10
	s_and_saveexec_b64 s[8:9], s[12:13]
; %bb.3226:
	s_mov_b32 s10, 0x7f800001
	s_xor_b64 s[4:5], exec, -1
; %bb.3227:
	s_or_b64 exec, exec, s[8:9]
	s_and_b64 s[4:5], s[4:5], exec
	s_or_saveexec_b64 s[6:7], s[6:7]
	v_mov_b32_e32 v10, s10
	s_xor_b64 exec, exec, s[6:7]
	s_cbranch_execz .LBB48_1178
.LBB48_3228:
	v_mov_b32_e32 v10, 0
	v_cmp_ne_u16_sdwa s[8:9], v6, v10 src0_sel:BYTE_3 src1_sel:DWORD
	s_andn2_b64 s[4:5], s[4:5], exec
	s_and_b64 s[8:9], s[8:9], exec
	s_or_b64 s[4:5], s[4:5], s[8:9]
	s_or_b64 exec, exec, s[6:7]
	s_and_saveexec_b64 s[6:7], s[4:5]
	s_cbranch_execnz .LBB48_1179
	s_branch .LBB48_1180
.LBB48_3229:
	s_movk_i32 s4, 0x80
	v_cmp_eq_u16_sdwa s[12:13], v2, s4 src0_sel:BYTE_3 src1_sel:DWORD
	s_mov_b64 s[4:5], -1
                                        ; implicit-def: $sgpr10
	s_and_saveexec_b64 s[8:9], s[12:13]
; %bb.3230:
	s_mov_b32 s10, 0x7f800001
	s_xor_b64 s[4:5], exec, -1
; %bb.3231:
	s_or_b64 exec, exec, s[8:9]
	s_and_b64 s[4:5], s[4:5], exec
	s_or_saveexec_b64 s[6:7], s[6:7]
	v_mov_b32_e32 v6, s10
	s_xor_b64 exec, exec, s[6:7]
	s_cbranch_execz .LBB48_1182
.LBB48_3232:
	v_mov_b32_e32 v6, 0
	v_cmp_ne_u16_sdwa s[8:9], v2, v6 src0_sel:BYTE_3 src1_sel:DWORD
	s_andn2_b64 s[4:5], s[4:5], exec
	s_and_b64 s[8:9], s[8:9], exec
	s_or_b64 s[4:5], s[4:5], s[8:9]
	s_or_b64 exec, exec, s[6:7]
	s_and_saveexec_b64 s[6:7], s[4:5]
	s_cbranch_execnz .LBB48_1183
	s_branch .LBB48_1184
.LBB48_3233:
	s_movk_i32 s4, 0x80
	v_cmp_eq_u16_sdwa s[12:13], v7, s4 src0_sel:BYTE_0 src1_sel:DWORD
	s_mov_b64 s[4:5], -1
                                        ; implicit-def: $sgpr10
	s_and_saveexec_b64 s[8:9], s[12:13]
; %bb.3234:
	s_mov_b32 s10, 0x7f800001
	s_xor_b64 s[4:5], exec, -1
; %bb.3235:
	s_or_b64 exec, exec, s[8:9]
	s_and_b64 s[4:5], s[4:5], exec
	s_or_saveexec_b64 s[6:7], s[6:7]
	v_mov_b32_e32 v2, s10
	s_xor_b64 exec, exec, s[6:7]
	s_cbranch_execz .LBB48_1186
.LBB48_3236:
	v_mov_b32_e32 v2, 0
	v_cmp_ne_u16_sdwa s[8:9], v7, v2 src0_sel:BYTE_0 src1_sel:DWORD
	s_andn2_b64 s[4:5], s[4:5], exec
	s_and_b64 s[8:9], s[8:9], exec
	s_or_b64 s[4:5], s[4:5], s[8:9]
	s_or_b64 exec, exec, s[6:7]
	s_and_saveexec_b64 s[6:7], s[4:5]
	s_cbranch_execnz .LBB48_1187
	s_branch .LBB48_1188
.LBB48_3237:
	s_movk_i32 s4, 0x80
	v_cmp_eq_u16_sdwa s[12:13], v3, s4 src0_sel:BYTE_0 src1_sel:DWORD
	s_mov_b64 s[4:5], -1
                                        ; implicit-def: $sgpr10
	s_and_saveexec_b64 s[8:9], s[12:13]
; %bb.3238:
	s_mov_b32 s10, 0x7f800001
	s_xor_b64 s[4:5], exec, -1
; %bb.3239:
	s_or_b64 exec, exec, s[8:9]
	s_and_b64 s[4:5], s[4:5], exec
	s_or_saveexec_b64 s[6:7], s[6:7]
	v_mov_b32_e32 v6, s10
	s_xor_b64 exec, exec, s[6:7]
	s_cbranch_execz .LBB48_1190
.LBB48_3240:
	v_mov_b32_e32 v6, 0
	v_cmp_ne_u16_sdwa s[8:9], v3, v6 src0_sel:BYTE_0 src1_sel:DWORD
	s_andn2_b64 s[4:5], s[4:5], exec
	s_and_b64 s[8:9], s[8:9], exec
	s_or_b64 s[4:5], s[4:5], s[8:9]
	s_or_b64 exec, exec, s[6:7]
	s_and_saveexec_b64 s[6:7], s[4:5]
	s_cbranch_execnz .LBB48_1191
	s_branch .LBB48_1192
.LBB48_3241:
	s_movk_i32 s4, 0x80
	v_cmp_eq_u16_sdwa s[12:13], v6, s4 src0_sel:BYTE_0 src1_sel:DWORD
	s_mov_b64 s[4:5], -1
                                        ; implicit-def: $sgpr10
	s_and_saveexec_b64 s[8:9], s[12:13]
; %bb.3242:
	s_mov_b32 s10, 0x7f800001
	s_xor_b64 s[4:5], exec, -1
; %bb.3243:
	s_or_b64 exec, exec, s[8:9]
	s_and_b64 s[4:5], s[4:5], exec
	s_or_saveexec_b64 s[6:7], s[6:7]
	v_mov_b32_e32 v2, s10
	s_xor_b64 exec, exec, s[6:7]
	s_cbranch_execz .LBB48_1194
.LBB48_3244:
	v_mov_b32_e32 v2, 0
	v_cmp_ne_u16_sdwa s[8:9], v6, v2 src0_sel:BYTE_0 src1_sel:DWORD
	s_andn2_b64 s[4:5], s[4:5], exec
	s_and_b64 s[8:9], s[8:9], exec
	s_or_b64 s[4:5], s[4:5], s[8:9]
	s_or_b64 exec, exec, s[6:7]
	s_and_saveexec_b64 s[6:7], s[4:5]
	s_cbranch_execnz .LBB48_1195
	s_branch .LBB48_1196
.LBB48_3245:
	s_movk_i32 s4, 0x80
	v_cmp_eq_u16_sdwa s[12:13], v6, s4 src0_sel:BYTE_0 src1_sel:DWORD
	s_mov_b64 s[4:5], -1
                                        ; implicit-def: $sgpr10
	s_and_saveexec_b64 s[8:9], s[12:13]
; %bb.3246:
	s_mov_b32 s10, 0x7f800001
	s_xor_b64 s[4:5], exec, -1
; %bb.3247:
	s_or_b64 exec, exec, s[8:9]
	s_and_b64 s[4:5], s[4:5], exec
	s_or_saveexec_b64 s[6:7], s[6:7]
	v_mov_b32_e32 v10, s10
	s_xor_b64 exec, exec, s[6:7]
	s_cbranch_execz .LBB48_1198
.LBB48_3248:
	v_mov_b32_e32 v10, 0
	v_cmp_ne_u16_sdwa s[8:9], v6, v10 src0_sel:BYTE_0 src1_sel:DWORD
	s_andn2_b64 s[4:5], s[4:5], exec
	s_and_b64 s[8:9], s[8:9], exec
	s_or_b64 s[4:5], s[4:5], s[8:9]
	s_or_b64 exec, exec, s[6:7]
	s_and_saveexec_b64 s[6:7], s[4:5]
	s_cbranch_execnz .LBB48_1199
	s_branch .LBB48_1200
.LBB48_3249:
	s_movk_i32 s4, 0x80
	v_cmp_eq_u16_e32 vcc, s4, v6
	s_mov_b64 s[4:5], -1
                                        ; implicit-def: $sgpr10
	s_and_saveexec_b64 s[8:9], vcc
; %bb.3250:
	s_mov_b32 s10, 0x7f800001
	s_xor_b64 s[4:5], exec, -1
; %bb.3251:
	s_or_b64 exec, exec, s[8:9]
	s_and_b64 s[4:5], s[4:5], exec
                                        ; implicit-def: $vgpr6
	s_or_saveexec_b64 s[6:7], s[6:7]
	v_mov_b32_e32 v2, s10
	s_xor_b64 exec, exec, s[6:7]
	s_cbranch_execz .LBB48_1202
.LBB48_3252:
	v_cmp_ne_u16_e32 vcc, 0, v6
	s_andn2_b64 s[4:5], s[4:5], exec
	s_and_b64 s[8:9], vcc, exec
	v_mov_b32_e32 v2, 0
	s_or_b64 s[4:5], s[4:5], s[8:9]
	s_or_b64 exec, exec, s[6:7]
	s_and_saveexec_b64 s[6:7], s[4:5]
	s_cbranch_execnz .LBB48_1203
	s_branch .LBB48_1204
.LBB48_3253:
	s_movk_i32 s4, 0x80
	v_cmp_eq_u16_e32 vcc, s4, v6
	s_mov_b64 s[4:5], -1
                                        ; implicit-def: $sgpr10
	s_and_saveexec_b64 s[8:9], vcc
; %bb.3254:
	s_mov_b32 s10, 0x7f800001
	s_xor_b64 s[4:5], exec, -1
; %bb.3255:
	s_or_b64 exec, exec, s[8:9]
	s_and_b64 s[4:5], s[4:5], exec
                                        ; implicit-def: $vgpr6
	s_or_saveexec_b64 s[6:7], s[6:7]
	v_mov_b32_e32 v10, s10
	s_xor_b64 exec, exec, s[6:7]
	s_cbranch_execz .LBB48_1206
.LBB48_3256:
	v_cmp_ne_u16_e32 vcc, 0, v6
	s_andn2_b64 s[4:5], s[4:5], exec
	s_and_b64 s[8:9], vcc, exec
	v_mov_b32_e32 v10, 0
	s_or_b64 s[4:5], s[4:5], s[8:9]
	s_or_b64 exec, exec, s[6:7]
	s_and_saveexec_b64 s[6:7], s[4:5]
	s_cbranch_execnz .LBB48_1207
	s_branch .LBB48_1208
.LBB48_3257:
	s_movk_i32 s4, 0x80
	v_cmp_eq_u16_sdwa s[12:13], v7, s4 src0_sel:BYTE_3 src1_sel:DWORD
	s_mov_b64 s[4:5], -1
                                        ; implicit-def: $sgpr10
	s_and_saveexec_b64 s[8:9], s[12:13]
; %bb.3258:
	s_mov_b32 s10, 0x7f800001
	s_xor_b64 s[4:5], exec, -1
; %bb.3259:
	s_or_b64 exec, exec, s[8:9]
	s_and_b64 s[4:5], s[4:5], exec
	s_or_saveexec_b64 s[6:7], s[6:7]
	v_mov_b32_e32 v2, s10
	s_xor_b64 exec, exec, s[6:7]
	s_cbranch_execz .LBB48_1210
.LBB48_3260:
	v_mov_b32_e32 v2, 0
	v_cmp_ne_u16_sdwa s[8:9], v7, v2 src0_sel:BYTE_3 src1_sel:DWORD
	s_andn2_b64 s[4:5], s[4:5], exec
	s_and_b64 s[8:9], s[8:9], exec
	s_or_b64 s[4:5], s[4:5], s[8:9]
	s_or_b64 exec, exec, s[6:7]
	s_and_saveexec_b64 s[6:7], s[4:5]
	s_cbranch_execnz .LBB48_1211
	s_branch .LBB48_1212
.LBB48_3261:
	s_movk_i32 s4, 0x80
	v_cmp_eq_u16_sdwa s[12:13], v3, s4 src0_sel:BYTE_3 src1_sel:DWORD
	s_mov_b64 s[4:5], -1
                                        ; implicit-def: $sgpr10
	s_and_saveexec_b64 s[8:9], s[12:13]
; %bb.3262:
	s_mov_b32 s10, 0x7f800001
	s_xor_b64 s[4:5], exec, -1
; %bb.3263:
	s_or_b64 exec, exec, s[8:9]
	s_and_b64 s[4:5], s[4:5], exec
	s_or_saveexec_b64 s[6:7], s[6:7]
	v_mov_b32_e32 v6, s10
	s_xor_b64 exec, exec, s[6:7]
	s_cbranch_execz .LBB48_1214
.LBB48_3264:
	v_mov_b32_e32 v6, 0
	v_cmp_ne_u16_sdwa s[8:9], v3, v6 src0_sel:BYTE_3 src1_sel:DWORD
	s_andn2_b64 s[4:5], s[4:5], exec
	s_and_b64 s[8:9], s[8:9], exec
	s_or_b64 s[4:5], s[4:5], s[8:9]
	s_or_b64 exec, exec, s[6:7]
	s_and_saveexec_b64 s[6:7], s[4:5]
	s_cbranch_execnz .LBB48_1215
	s_branch .LBB48_1216
.LBB48_3265:
	s_movk_i32 s4, 0x80
	v_cmp_eq_u16_sdwa s[12:13], v8, s4 src0_sel:BYTE_0 src1_sel:DWORD
	s_mov_b64 s[4:5], -1
                                        ; implicit-def: $sgpr10
	s_and_saveexec_b64 s[8:9], s[12:13]
; %bb.3266:
	s_mov_b32 s10, 0x7f800001
	s_xor_b64 s[4:5], exec, -1
; %bb.3267:
	s_or_b64 exec, exec, s[8:9]
	s_and_b64 s[4:5], s[4:5], exec
	s_or_saveexec_b64 s[6:7], s[6:7]
	v_mov_b32_e32 v2, s10
	s_xor_b64 exec, exec, s[6:7]
	s_cbranch_execz .LBB48_1218
.LBB48_3268:
	v_mov_b32_e32 v2, 0
	v_cmp_ne_u16_sdwa s[8:9], v8, v2 src0_sel:BYTE_0 src1_sel:DWORD
	s_andn2_b64 s[4:5], s[4:5], exec
	s_and_b64 s[8:9], s[8:9], exec
	s_or_b64 s[4:5], s[4:5], s[8:9]
	s_or_b64 exec, exec, s[6:7]
	s_and_saveexec_b64 s[6:7], s[4:5]
	s_cbranch_execnz .LBB48_1219
	s_branch .LBB48_1220
.LBB48_3269:
	s_movk_i32 s4, 0x80
	v_cmp_eq_u16_sdwa s[12:13], v4, s4 src0_sel:BYTE_0 src1_sel:DWORD
	s_mov_b64 s[4:5], -1
                                        ; implicit-def: $sgpr10
	s_and_saveexec_b64 s[8:9], s[12:13]
; %bb.3270:
	s_mov_b32 s10, 0x7f800001
	s_xor_b64 s[4:5], exec, -1
; %bb.3271:
	s_or_b64 exec, exec, s[8:9]
	s_and_b64 s[4:5], s[4:5], exec
	s_or_saveexec_b64 s[6:7], s[6:7]
	v_mov_b32_e32 v3, s10
	s_xor_b64 exec, exec, s[6:7]
	s_cbranch_execz .LBB48_1222
.LBB48_3272:
	v_mov_b32_e32 v3, 0
	v_cmp_ne_u16_sdwa s[8:9], v4, v3 src0_sel:BYTE_0 src1_sel:DWORD
	s_andn2_b64 s[4:5], s[4:5], exec
	s_and_b64 s[8:9], s[8:9], exec
	s_or_b64 s[4:5], s[4:5], s[8:9]
	s_or_b64 exec, exec, s[6:7]
	s_and_saveexec_b64 s[6:7], s[4:5]
	s_cbranch_execnz .LBB48_1223
	s_branch .LBB48_1224
.LBB48_3273:
	s_movk_i32 s4, 0x80
	v_cmp_eq_u16_sdwa s[12:13], v3, s4 src0_sel:BYTE_0 src1_sel:DWORD
	s_mov_b64 s[4:5], -1
                                        ; implicit-def: $sgpr10
	s_and_saveexec_b64 s[8:9], s[12:13]
; %bb.3274:
	s_mov_b32 s10, 0x7f800001
	s_xor_b64 s[4:5], exec, -1
; %bb.3275:
	s_or_b64 exec, exec, s[8:9]
	s_and_b64 s[4:5], s[4:5], exec
	s_or_saveexec_b64 s[6:7], s[6:7]
	v_mov_b32_e32 v2, s10
	s_xor_b64 exec, exec, s[6:7]
	s_cbranch_execz .LBB48_1226
.LBB48_3276:
	v_mov_b32_e32 v2, 0
	v_cmp_ne_u16_sdwa s[8:9], v3, v2 src0_sel:BYTE_0 src1_sel:DWORD
	s_andn2_b64 s[4:5], s[4:5], exec
	s_and_b64 s[8:9], s[8:9], exec
	s_or_b64 s[4:5], s[4:5], s[8:9]
	s_or_b64 exec, exec, s[6:7]
	s_and_saveexec_b64 s[6:7], s[4:5]
	s_cbranch_execnz .LBB48_1227
	s_branch .LBB48_1228
.LBB48_3277:
	s_movk_i32 s4, 0x80
	v_cmp_eq_u16_sdwa s[12:13], v3, s4 src0_sel:BYTE_0 src1_sel:DWORD
	s_mov_b64 s[4:5], -1
                                        ; implicit-def: $sgpr10
	s_and_saveexec_b64 s[8:9], s[12:13]
; %bb.3278:
	s_mov_b32 s10, 0x7f800001
	s_xor_b64 s[4:5], exec, -1
; %bb.3279:
	s_or_b64 exec, exec, s[8:9]
	s_and_b64 s[4:5], s[4:5], exec
	s_or_saveexec_b64 s[6:7], s[6:7]
	v_mov_b32_e32 v6, s10
	s_xor_b64 exec, exec, s[6:7]
	s_cbranch_execz .LBB48_1230
.LBB48_3280:
	v_mov_b32_e32 v6, 0
	v_cmp_ne_u16_sdwa s[8:9], v3, v6 src0_sel:BYTE_0 src1_sel:DWORD
	s_andn2_b64 s[4:5], s[4:5], exec
	s_and_b64 s[8:9], s[8:9], exec
	s_or_b64 s[4:5], s[4:5], s[8:9]
	s_or_b64 exec, exec, s[6:7]
	s_and_saveexec_b64 s[6:7], s[4:5]
	s_cbranch_execnz .LBB48_1231
	s_branch .LBB48_1232
.LBB48_3281:
	s_movk_i32 s4, 0x80
	v_cmp_eq_u16_e32 vcc, s4, v3
	s_mov_b64 s[4:5], -1
                                        ; implicit-def: $sgpr10
	s_and_saveexec_b64 s[8:9], vcc
; %bb.3282:
	s_mov_b32 s10, 0x7f800001
	s_xor_b64 s[4:5], exec, -1
; %bb.3283:
	s_or_b64 exec, exec, s[8:9]
	s_and_b64 s[4:5], s[4:5], exec
                                        ; implicit-def: $vgpr3
	s_or_saveexec_b64 s[6:7], s[6:7]
	v_mov_b32_e32 v2, s10
	s_xor_b64 exec, exec, s[6:7]
	s_cbranch_execz .LBB48_1234
.LBB48_3284:
	v_cmp_ne_u16_e32 vcc, 0, v3
	s_andn2_b64 s[4:5], s[4:5], exec
	s_and_b64 s[8:9], vcc, exec
	v_mov_b32_e32 v2, 0
	s_or_b64 s[4:5], s[4:5], s[8:9]
	s_or_b64 exec, exec, s[6:7]
	s_and_saveexec_b64 s[6:7], s[4:5]
	s_cbranch_execnz .LBB48_1235
	s_branch .LBB48_1236
.LBB48_3285:
	s_movk_i32 s4, 0x80
	v_cmp_eq_u16_e32 vcc, s4, v3
	s_mov_b64 s[4:5], -1
                                        ; implicit-def: $sgpr10
	s_and_saveexec_b64 s[8:9], vcc
; %bb.3286:
	s_mov_b32 s10, 0x7f800001
	s_xor_b64 s[4:5], exec, -1
; %bb.3287:
	s_or_b64 exec, exec, s[8:9]
	s_and_b64 s[4:5], s[4:5], exec
                                        ; implicit-def: $vgpr3
	s_or_saveexec_b64 s[6:7], s[6:7]
	v_mov_b32_e32 v6, s10
	s_xor_b64 exec, exec, s[6:7]
	s_cbranch_execz .LBB48_1238
.LBB48_3288:
	v_cmp_ne_u16_e32 vcc, 0, v3
	s_andn2_b64 s[4:5], s[4:5], exec
	s_and_b64 s[8:9], vcc, exec
	v_mov_b32_e32 v6, 0
	s_or_b64 s[4:5], s[4:5], s[8:9]
	s_or_b64 exec, exec, s[6:7]
	s_and_saveexec_b64 s[6:7], s[4:5]
	s_cbranch_execnz .LBB48_1239
	s_branch .LBB48_1240
.LBB48_3289:
	s_movk_i32 s4, 0x80
	v_cmp_eq_u16_sdwa s[12:13], v8, s4 src0_sel:BYTE_3 src1_sel:DWORD
	s_mov_b64 s[4:5], -1
                                        ; implicit-def: $sgpr10
	s_and_saveexec_b64 s[8:9], s[12:13]
; %bb.3290:
	s_mov_b32 s10, 0x7f800001
	s_xor_b64 s[4:5], exec, -1
; %bb.3291:
	s_or_b64 exec, exec, s[8:9]
	s_and_b64 s[4:5], s[4:5], exec
	s_or_saveexec_b64 s[6:7], s[6:7]
	v_mov_b32_e32 v2, s10
	s_xor_b64 exec, exec, s[6:7]
	s_cbranch_execz .LBB48_1242
.LBB48_3292:
	v_mov_b32_e32 v2, 0
	v_cmp_ne_u16_sdwa s[8:9], v8, v2 src0_sel:BYTE_3 src1_sel:DWORD
	s_andn2_b64 s[4:5], s[4:5], exec
	s_and_b64 s[8:9], s[8:9], exec
	s_or_b64 s[4:5], s[4:5], s[8:9]
	s_or_b64 exec, exec, s[6:7]
	s_and_saveexec_b64 s[6:7], s[4:5]
	s_cbranch_execnz .LBB48_1243
	s_branch .LBB48_1244
.LBB48_3293:
	s_movk_i32 s4, 0x80
	v_cmp_eq_u16_sdwa s[12:13], v4, s4 src0_sel:BYTE_3 src1_sel:DWORD
	s_mov_b64 s[4:5], -1
                                        ; implicit-def: $sgpr10
	s_and_saveexec_b64 s[8:9], s[12:13]
; %bb.3294:
	s_mov_b32 s10, 0x7f800001
	s_xor_b64 s[4:5], exec, -1
; %bb.3295:
	s_or_b64 exec, exec, s[8:9]
	s_and_b64 s[4:5], s[4:5], exec
	s_or_saveexec_b64 s[6:7], s[6:7]
	v_mov_b32_e32 v3, s10
	s_xor_b64 exec, exec, s[6:7]
	s_cbranch_execz .LBB48_1246
.LBB48_3296:
	v_mov_b32_e32 v3, 0
	v_cmp_ne_u16_sdwa s[8:9], v4, v3 src0_sel:BYTE_3 src1_sel:DWORD
	s_andn2_b64 s[4:5], s[4:5], exec
	s_and_b64 s[8:9], s[8:9], exec
	s_or_b64 s[4:5], s[4:5], s[8:9]
	s_or_b64 exec, exec, s[6:7]
	s_and_saveexec_b64 s[6:7], s[4:5]
	s_cbranch_execnz .LBB48_1247
	s_branch .LBB48_1248
.LBB48_3297:
	s_movk_i32 s4, 0x80
	v_cmp_eq_u16_sdwa s[12:13], v9, s4 src0_sel:BYTE_0 src1_sel:DWORD
	s_mov_b64 s[4:5], -1
                                        ; implicit-def: $sgpr10
	s_and_saveexec_b64 s[8:9], s[12:13]
; %bb.3298:
	s_mov_b32 s10, 0x7f800001
	s_xor_b64 s[4:5], exec, -1
; %bb.3299:
	s_or_b64 exec, exec, s[8:9]
	s_and_b64 s[4:5], s[4:5], exec
	s_or_saveexec_b64 s[6:7], s[6:7]
	v_mov_b32_e32 v2, s10
	s_xor_b64 exec, exec, s[6:7]
	s_cbranch_execz .LBB48_1250
.LBB48_3300:
	v_mov_b32_e32 v2, 0
	v_cmp_ne_u16_sdwa s[8:9], v9, v2 src0_sel:BYTE_0 src1_sel:DWORD
	s_andn2_b64 s[4:5], s[4:5], exec
	s_and_b64 s[8:9], s[8:9], exec
	s_or_b64 s[4:5], s[4:5], s[8:9]
	s_or_b64 exec, exec, s[6:7]
	s_and_saveexec_b64 s[6:7], s[4:5]
	s_cbranch_execnz .LBB48_1251
	s_branch .LBB48_1252
.LBB48_3301:
	s_movk_i32 s4, 0x80
	v_cmp_eq_u16_sdwa s[12:13], v5, s4 src0_sel:BYTE_0 src1_sel:DWORD
	s_mov_b64 s[4:5], -1
                                        ; implicit-def: $sgpr10
	s_and_saveexec_b64 s[8:9], s[12:13]
; %bb.3302:
	s_mov_b32 s10, 0x7f800001
	s_xor_b64 s[4:5], exec, -1
; %bb.3303:
	s_or_b64 exec, exec, s[8:9]
	s_and_b64 s[4:5], s[4:5], exec
	s_or_saveexec_b64 s[6:7], s[6:7]
	v_mov_b32_e32 v3, s10
	s_xor_b64 exec, exec, s[6:7]
	s_cbranch_execz .LBB48_1254
.LBB48_3304:
	v_mov_b32_e32 v3, 0
	v_cmp_ne_u16_sdwa s[8:9], v5, v3 src0_sel:BYTE_0 src1_sel:DWORD
	s_andn2_b64 s[4:5], s[4:5], exec
	s_and_b64 s[8:9], s[8:9], exec
	s_or_b64 s[4:5], s[4:5], s[8:9]
	s_or_b64 exec, exec, s[6:7]
	s_and_saveexec_b64 s[6:7], s[4:5]
	s_cbranch_execnz .LBB48_1255
	s_branch .LBB48_1256
.LBB48_3305:
	s_movk_i32 s4, 0x80
	v_cmp_eq_u16_sdwa s[12:13], v3, s4 src0_sel:BYTE_0 src1_sel:DWORD
	s_mov_b64 s[4:5], -1
                                        ; implicit-def: $sgpr10
	s_and_saveexec_b64 s[8:9], s[12:13]
; %bb.3306:
	s_mov_b32 s10, 0x7f800001
	s_xor_b64 s[4:5], exec, -1
; %bb.3307:
	s_or_b64 exec, exec, s[8:9]
	s_and_b64 s[4:5], s[4:5], exec
	s_or_saveexec_b64 s[6:7], s[6:7]
	v_mov_b32_e32 v2, s10
	s_xor_b64 exec, exec, s[6:7]
	s_cbranch_execz .LBB48_1258
.LBB48_3308:
	v_mov_b32_e32 v2, 0
	v_cmp_ne_u16_sdwa s[8:9], v3, v2 src0_sel:BYTE_0 src1_sel:DWORD
	s_andn2_b64 s[4:5], s[4:5], exec
	s_and_b64 s[8:9], s[8:9], exec
	s_or_b64 s[4:5], s[4:5], s[8:9]
	s_or_b64 exec, exec, s[6:7]
	s_and_saveexec_b64 s[6:7], s[4:5]
	s_cbranch_execnz .LBB48_1259
	s_branch .LBB48_1260
.LBB48_3309:
	s_movk_i32 s4, 0x80
	v_cmp_eq_u16_sdwa s[12:13], v3, s4 src0_sel:BYTE_0 src1_sel:DWORD
	s_mov_b64 s[4:5], -1
                                        ; implicit-def: $sgpr10
	s_and_saveexec_b64 s[8:9], s[12:13]
; %bb.3310:
	s_mov_b32 s10, 0x7f800001
	s_xor_b64 s[4:5], exec, -1
; %bb.3311:
	s_or_b64 exec, exec, s[8:9]
	s_and_b64 s[4:5], s[4:5], exec
	s_or_saveexec_b64 s[6:7], s[6:7]
	v_mov_b32_e32 v4, s10
	s_xor_b64 exec, exec, s[6:7]
	s_cbranch_execz .LBB48_1262
.LBB48_3312:
	v_mov_b32_e32 v4, 0
	v_cmp_ne_u16_sdwa s[8:9], v3, v4 src0_sel:BYTE_0 src1_sel:DWORD
	s_andn2_b64 s[4:5], s[4:5], exec
	s_and_b64 s[8:9], s[8:9], exec
	s_or_b64 s[4:5], s[4:5], s[8:9]
	s_or_b64 exec, exec, s[6:7]
	s_and_saveexec_b64 s[6:7], s[4:5]
	s_cbranch_execnz .LBB48_1263
	s_branch .LBB48_1264
.LBB48_3313:
	s_movk_i32 s4, 0x80
	v_cmp_eq_u16_e32 vcc, s4, v3
	s_mov_b64 s[4:5], -1
                                        ; implicit-def: $sgpr10
	s_and_saveexec_b64 s[8:9], vcc
; %bb.3314:
	s_mov_b32 s10, 0x7f800001
	s_xor_b64 s[4:5], exec, -1
; %bb.3315:
	s_or_b64 exec, exec, s[8:9]
	s_and_b64 s[4:5], s[4:5], exec
                                        ; implicit-def: $vgpr3
	s_or_saveexec_b64 s[6:7], s[6:7]
	v_mov_b32_e32 v2, s10
	s_xor_b64 exec, exec, s[6:7]
	s_cbranch_execz .LBB48_1266
.LBB48_3316:
	v_cmp_ne_u16_e32 vcc, 0, v3
	s_andn2_b64 s[4:5], s[4:5], exec
	s_and_b64 s[8:9], vcc, exec
	v_mov_b32_e32 v2, 0
	s_or_b64 s[4:5], s[4:5], s[8:9]
	s_or_b64 exec, exec, s[6:7]
	s_and_saveexec_b64 s[6:7], s[4:5]
	s_cbranch_execnz .LBB48_1267
	s_branch .LBB48_1268
.LBB48_3317:
	s_movk_i32 s4, 0x80
	v_cmp_eq_u16_e32 vcc, s4, v3
	s_mov_b64 s[4:5], -1
                                        ; implicit-def: $sgpr10
	s_and_saveexec_b64 s[8:9], vcc
; %bb.3318:
	s_mov_b32 s10, 0x7f800001
	s_xor_b64 s[4:5], exec, -1
; %bb.3319:
	s_or_b64 exec, exec, s[8:9]
	s_and_b64 s[4:5], s[4:5], exec
                                        ; implicit-def: $vgpr3
	s_or_saveexec_b64 s[6:7], s[6:7]
	v_mov_b32_e32 v4, s10
	s_xor_b64 exec, exec, s[6:7]
	s_cbranch_execz .LBB48_1270
.LBB48_3320:
	v_cmp_ne_u16_e32 vcc, 0, v3
	s_andn2_b64 s[4:5], s[4:5], exec
	s_and_b64 s[8:9], vcc, exec
	v_mov_b32_e32 v4, 0
	s_or_b64 s[4:5], s[4:5], s[8:9]
	s_or_b64 exec, exec, s[6:7]
	s_and_saveexec_b64 s[6:7], s[4:5]
	s_cbranch_execnz .LBB48_1271
	s_branch .LBB48_1272
.LBB48_3321:
	s_movk_i32 s4, 0x80
	v_cmp_eq_u16_sdwa s[12:13], v9, s4 src0_sel:BYTE_3 src1_sel:DWORD
	s_mov_b64 s[4:5], -1
                                        ; implicit-def: $sgpr10
	s_and_saveexec_b64 s[8:9], s[12:13]
; %bb.3322:
	s_mov_b32 s10, 0x7f800001
	s_xor_b64 s[4:5], exec, -1
; %bb.3323:
	s_or_b64 exec, exec, s[8:9]
	s_and_b64 s[4:5], s[4:5], exec
	s_or_saveexec_b64 s[6:7], s[6:7]
	v_mov_b32_e32 v2, s10
	s_xor_b64 exec, exec, s[6:7]
	s_cbranch_execz .LBB48_1274
.LBB48_3324:
	v_mov_b32_e32 v2, 0
	v_cmp_ne_u16_sdwa s[8:9], v9, v2 src0_sel:BYTE_3 src1_sel:DWORD
	s_andn2_b64 s[4:5], s[4:5], exec
	s_and_b64 s[8:9], s[8:9], exec
	s_or_b64 s[4:5], s[4:5], s[8:9]
	s_or_b64 exec, exec, s[6:7]
	s_and_saveexec_b64 s[6:7], s[4:5]
	s_cbranch_execnz .LBB48_1275
	s_branch .LBB48_1276
.LBB48_3325:
	s_movk_i32 s4, 0x80
	v_cmp_eq_u16_sdwa s[12:13], v5, s4 src0_sel:BYTE_3 src1_sel:DWORD
	s_mov_b64 s[4:5], -1
                                        ; implicit-def: $sgpr10
	s_and_saveexec_b64 s[8:9], s[12:13]
; %bb.3326:
	s_mov_b32 s10, 0x7f800001
	s_xor_b64 s[4:5], exec, -1
; %bb.3327:
	s_or_b64 exec, exec, s[8:9]
	s_and_b64 s[4:5], s[4:5], exec
	s_or_saveexec_b64 s[6:7], s[6:7]
	v_mov_b32_e32 v3, s10
	s_xor_b64 exec, exec, s[6:7]
	s_cbranch_execz .LBB48_1278
.LBB48_3328:
	v_mov_b32_e32 v3, 0
	v_cmp_ne_u16_sdwa s[8:9], v5, v3 src0_sel:BYTE_3 src1_sel:DWORD
	s_andn2_b64 s[4:5], s[4:5], exec
	s_and_b64 s[8:9], s[8:9], exec
	s_or_b64 s[4:5], s[4:5], s[8:9]
	s_or_b64 exec, exec, s[6:7]
	s_and_saveexec_b64 s[6:7], s[4:5]
	s_cbranch_execnz .LBB48_1279
	s_branch .LBB48_1280
.LBB48_3329:
	s_movk_i32 s4, 0x80
	v_cmp_eq_u16_sdwa s[12:13], v14, s4 src0_sel:BYTE_0 src1_sel:DWORD
	s_mov_b64 s[4:5], -1
                                        ; implicit-def: $sgpr10
	s_and_saveexec_b64 s[8:9], s[12:13]
; %bb.3330:
	s_mov_b32 s10, 0x7f800001
	s_xor_b64 s[4:5], exec, -1
; %bb.3331:
	s_or_b64 exec, exec, s[8:9]
	s_and_b64 s[4:5], s[4:5], exec
	s_or_saveexec_b64 s[6:7], s[6:7]
	v_mov_b32_e32 v20, s10
	s_xor_b64 exec, exec, s[6:7]
	s_cbranch_execz .LBB48_1282
.LBB48_3332:
	v_mov_b32_e32 v20, 0
	v_cmp_ne_u16_sdwa s[8:9], v14, v20 src0_sel:BYTE_0 src1_sel:DWORD
	s_andn2_b64 s[4:5], s[4:5], exec
	s_and_b64 s[8:9], s[8:9], exec
	s_or_b64 s[4:5], s[4:5], s[8:9]
	s_or_b64 exec, exec, s[6:7]
	s_and_saveexec_b64 s[6:7], s[4:5]
	s_cbranch_execnz .LBB48_1283
	s_branch .LBB48_1284
.LBB48_3333:
	s_movk_i32 s4, 0x80
	v_cmp_eq_u16_sdwa s[12:13], v10, s4 src0_sel:BYTE_0 src1_sel:DWORD
	s_mov_b64 s[4:5], -1
                                        ; implicit-def: $sgpr10
	s_and_saveexec_b64 s[8:9], s[12:13]
; %bb.3334:
	s_mov_b32 s10, 0x7f800001
	s_xor_b64 s[4:5], exec, -1
; %bb.3335:
	s_or_b64 exec, exec, s[8:9]
	s_and_b64 s[4:5], s[4:5], exec
	s_or_saveexec_b64 s[6:7], s[6:7]
	v_mov_b32_e32 v21, s10
	s_xor_b64 exec, exec, s[6:7]
	s_cbranch_execz .LBB48_1286
.LBB48_3336:
	v_mov_b32_e32 v21, 0
	v_cmp_ne_u16_sdwa s[8:9], v10, v21 src0_sel:BYTE_0 src1_sel:DWORD
	s_andn2_b64 s[4:5], s[4:5], exec
	s_and_b64 s[8:9], s[8:9], exec
	s_or_b64 s[4:5], s[4:5], s[8:9]
	s_or_b64 exec, exec, s[6:7]
	s_and_saveexec_b64 s[6:7], s[4:5]
	s_cbranch_execnz .LBB48_1287
	s_branch .LBB48_1288
.LBB48_3337:
	s_movk_i32 s4, 0x80
	v_cmp_eq_u16_sdwa s[12:13], v21, s4 src0_sel:BYTE_0 src1_sel:DWORD
	s_mov_b64 s[4:5], -1
                                        ; implicit-def: $sgpr10
	s_and_saveexec_b64 s[8:9], s[12:13]
; %bb.3338:
	s_mov_b32 s10, 0x7f800001
	s_xor_b64 s[4:5], exec, -1
; %bb.3339:
	s_or_b64 exec, exec, s[8:9]
	s_and_b64 s[4:5], s[4:5], exec
	s_or_saveexec_b64 s[6:7], s[6:7]
	v_mov_b32_e32 v20, s10
	s_xor_b64 exec, exec, s[6:7]
	s_cbranch_execz .LBB48_1290
.LBB48_3340:
	v_mov_b32_e32 v20, 0
	v_cmp_ne_u16_sdwa s[8:9], v21, v20 src0_sel:BYTE_0 src1_sel:DWORD
	s_andn2_b64 s[4:5], s[4:5], exec
	s_and_b64 s[8:9], s[8:9], exec
	s_or_b64 s[4:5], s[4:5], s[8:9]
	s_or_b64 exec, exec, s[6:7]
	s_and_saveexec_b64 s[6:7], s[4:5]
	s_cbranch_execnz .LBB48_1291
	s_branch .LBB48_1292
.LBB48_3341:
	s_movk_i32 s4, 0x80
	v_cmp_eq_u16_sdwa s[12:13], v21, s4 src0_sel:BYTE_0 src1_sel:DWORD
	s_mov_b64 s[4:5], -1
                                        ; implicit-def: $sgpr10
	s_and_saveexec_b64 s[8:9], s[12:13]
; %bb.3342:
	s_mov_b32 s10, 0x7f800001
	s_xor_b64 s[4:5], exec, -1
; %bb.3343:
	s_or_b64 exec, exec, s[8:9]
	s_and_b64 s[4:5], s[4:5], exec
	s_or_saveexec_b64 s[6:7], s[6:7]
	v_mov_b32_e32 v22, s10
	s_xor_b64 exec, exec, s[6:7]
	s_cbranch_execz .LBB48_1294
.LBB48_3344:
	v_mov_b32_e32 v22, 0
	v_cmp_ne_u16_sdwa s[8:9], v21, v22 src0_sel:BYTE_0 src1_sel:DWORD
	s_andn2_b64 s[4:5], s[4:5], exec
	s_and_b64 s[8:9], s[8:9], exec
	s_or_b64 s[4:5], s[4:5], s[8:9]
	s_or_b64 exec, exec, s[6:7]
	s_and_saveexec_b64 s[6:7], s[4:5]
	s_cbranch_execnz .LBB48_1295
	s_branch .LBB48_1296
.LBB48_3345:
	s_movk_i32 s4, 0x80
	v_cmp_eq_u16_e32 vcc, s4, v21
	s_mov_b64 s[4:5], -1
                                        ; implicit-def: $sgpr10
	s_and_saveexec_b64 s[8:9], vcc
; %bb.3346:
	s_mov_b32 s10, 0x7f800001
	s_xor_b64 s[4:5], exec, -1
; %bb.3347:
	s_or_b64 exec, exec, s[8:9]
	s_and_b64 s[4:5], s[4:5], exec
                                        ; implicit-def: $vgpr21
	s_or_saveexec_b64 s[6:7], s[6:7]
	v_mov_b32_e32 v20, s10
	s_xor_b64 exec, exec, s[6:7]
	s_cbranch_execz .LBB48_1298
.LBB48_3348:
	v_cmp_ne_u16_e32 vcc, 0, v21
	s_andn2_b64 s[4:5], s[4:5], exec
	s_and_b64 s[8:9], vcc, exec
	v_mov_b32_e32 v20, 0
	s_or_b64 s[4:5], s[4:5], s[8:9]
	s_or_b64 exec, exec, s[6:7]
	s_and_saveexec_b64 s[6:7], s[4:5]
	s_cbranch_execnz .LBB48_1299
	s_branch .LBB48_1300
.LBB48_3349:
	s_movk_i32 s4, 0x80
	v_cmp_eq_u16_e32 vcc, s4, v21
	s_mov_b64 s[4:5], -1
                                        ; implicit-def: $sgpr10
	s_and_saveexec_b64 s[8:9], vcc
; %bb.3350:
	s_mov_b32 s10, 0x7f800001
	s_xor_b64 s[4:5], exec, -1
; %bb.3351:
	s_or_b64 exec, exec, s[8:9]
	s_and_b64 s[4:5], s[4:5], exec
                                        ; implicit-def: $vgpr21
	s_or_saveexec_b64 s[6:7], s[6:7]
	v_mov_b32_e32 v22, s10
	s_xor_b64 exec, exec, s[6:7]
	s_cbranch_execz .LBB48_1302
.LBB48_3352:
	v_cmp_ne_u16_e32 vcc, 0, v21
	s_andn2_b64 s[4:5], s[4:5], exec
	s_and_b64 s[8:9], vcc, exec
	v_mov_b32_e32 v22, 0
	s_or_b64 s[4:5], s[4:5], s[8:9]
	s_or_b64 exec, exec, s[6:7]
	s_and_saveexec_b64 s[6:7], s[4:5]
	s_cbranch_execnz .LBB48_1303
	s_branch .LBB48_1304
.LBB48_3353:
	s_movk_i32 s4, 0x80
	v_cmp_eq_u16_sdwa s[12:13], v14, s4 src0_sel:BYTE_3 src1_sel:DWORD
	s_mov_b64 s[4:5], -1
                                        ; implicit-def: $sgpr10
	s_and_saveexec_b64 s[8:9], s[12:13]
; %bb.3354:
	s_mov_b32 s10, 0x7f800001
	s_xor_b64 s[4:5], exec, -1
; %bb.3355:
	s_or_b64 exec, exec, s[8:9]
	s_and_b64 s[4:5], s[4:5], exec
	s_or_saveexec_b64 s[6:7], s[6:7]
	v_mov_b32_e32 v20, s10
	s_xor_b64 exec, exec, s[6:7]
	s_cbranch_execz .LBB48_1306
.LBB48_3356:
	v_mov_b32_e32 v20, 0
	v_cmp_ne_u16_sdwa s[8:9], v14, v20 src0_sel:BYTE_3 src1_sel:DWORD
	s_andn2_b64 s[4:5], s[4:5], exec
	s_and_b64 s[8:9], s[8:9], exec
	s_or_b64 s[4:5], s[4:5], s[8:9]
	s_or_b64 exec, exec, s[6:7]
	s_and_saveexec_b64 s[6:7], s[4:5]
	s_cbranch_execnz .LBB48_1307
	s_branch .LBB48_1308
.LBB48_3357:
	s_movk_i32 s4, 0x80
	v_cmp_eq_u16_sdwa s[12:13], v10, s4 src0_sel:BYTE_3 src1_sel:DWORD
	s_mov_b64 s[4:5], -1
                                        ; implicit-def: $sgpr10
	s_and_saveexec_b64 s[8:9], s[12:13]
; %bb.3358:
	s_mov_b32 s10, 0x7f800001
	s_xor_b64 s[4:5], exec, -1
; %bb.3359:
	s_or_b64 exec, exec, s[8:9]
	s_and_b64 s[4:5], s[4:5], exec
	s_or_saveexec_b64 s[6:7], s[6:7]
	v_mov_b32_e32 v14, s10
	s_xor_b64 exec, exec, s[6:7]
	s_cbranch_execz .LBB48_1310
.LBB48_3360:
	v_mov_b32_e32 v14, 0
	v_cmp_ne_u16_sdwa s[8:9], v10, v14 src0_sel:BYTE_3 src1_sel:DWORD
	s_andn2_b64 s[4:5], s[4:5], exec
	s_and_b64 s[8:9], s[8:9], exec
	s_or_b64 s[4:5], s[4:5], s[8:9]
	s_or_b64 exec, exec, s[6:7]
	s_and_saveexec_b64 s[6:7], s[4:5]
	s_cbranch_execnz .LBB48_1311
	s_branch .LBB48_1312
.LBB48_3361:
	s_movk_i32 s4, 0x80
	v_cmp_eq_u16_sdwa s[12:13], v15, s4 src0_sel:BYTE_0 src1_sel:DWORD
	s_mov_b64 s[4:5], -1
                                        ; implicit-def: $sgpr10
	s_and_saveexec_b64 s[8:9], s[12:13]
; %bb.3362:
	s_mov_b32 s10, 0x7f800001
	s_xor_b64 s[4:5], exec, -1
; %bb.3363:
	s_or_b64 exec, exec, s[8:9]
	s_and_b64 s[4:5], s[4:5], exec
	s_or_saveexec_b64 s[6:7], s[6:7]
	v_mov_b32_e32 v10, s10
	s_xor_b64 exec, exec, s[6:7]
	s_cbranch_execz .LBB48_1314
.LBB48_3364:
	v_mov_b32_e32 v10, 0
	v_cmp_ne_u16_sdwa s[8:9], v15, v10 src0_sel:BYTE_0 src1_sel:DWORD
	s_andn2_b64 s[4:5], s[4:5], exec
	s_and_b64 s[8:9], s[8:9], exec
	s_or_b64 s[4:5], s[4:5], s[8:9]
	s_or_b64 exec, exec, s[6:7]
	s_and_saveexec_b64 s[6:7], s[4:5]
	s_cbranch_execnz .LBB48_1315
	s_branch .LBB48_1316
.LBB48_3365:
	s_movk_i32 s4, 0x80
	v_cmp_eq_u16_sdwa s[12:13], v11, s4 src0_sel:BYTE_0 src1_sel:DWORD
	s_mov_b64 s[4:5], -1
                                        ; implicit-def: $sgpr10
	s_and_saveexec_b64 s[8:9], s[12:13]
; %bb.3366:
	s_mov_b32 s10, 0x7f800001
	s_xor_b64 s[4:5], exec, -1
; %bb.3367:
	s_or_b64 exec, exec, s[8:9]
	s_and_b64 s[4:5], s[4:5], exec
	s_or_saveexec_b64 s[6:7], s[6:7]
	v_mov_b32_e32 v14, s10
	s_xor_b64 exec, exec, s[6:7]
	s_cbranch_execz .LBB48_1318
.LBB48_3368:
	v_mov_b32_e32 v14, 0
	v_cmp_ne_u16_sdwa s[8:9], v11, v14 src0_sel:BYTE_0 src1_sel:DWORD
	s_andn2_b64 s[4:5], s[4:5], exec
	s_and_b64 s[8:9], s[8:9], exec
	s_or_b64 s[4:5], s[4:5], s[8:9]
	s_or_b64 exec, exec, s[6:7]
	s_and_saveexec_b64 s[6:7], s[4:5]
	s_cbranch_execnz .LBB48_1319
	s_branch .LBB48_1320
.LBB48_3369:
	s_movk_i32 s4, 0x80
	v_cmp_eq_u16_sdwa s[12:13], v14, s4 src0_sel:BYTE_0 src1_sel:DWORD
	s_mov_b64 s[4:5], -1
                                        ; implicit-def: $sgpr10
	s_and_saveexec_b64 s[8:9], s[12:13]
; %bb.3370:
	s_mov_b32 s10, 0x7f800001
	s_xor_b64 s[4:5], exec, -1
; %bb.3371:
	s_or_b64 exec, exec, s[8:9]
	s_and_b64 s[4:5], s[4:5], exec
	s_or_saveexec_b64 s[6:7], s[6:7]
	v_mov_b32_e32 v10, s10
	s_xor_b64 exec, exec, s[6:7]
	s_cbranch_execz .LBB48_1322
.LBB48_3372:
	v_mov_b32_e32 v10, 0
	v_cmp_ne_u16_sdwa s[8:9], v14, v10 src0_sel:BYTE_0 src1_sel:DWORD
	s_andn2_b64 s[4:5], s[4:5], exec
	s_and_b64 s[8:9], s[8:9], exec
	s_or_b64 s[4:5], s[4:5], s[8:9]
	s_or_b64 exec, exec, s[6:7]
	s_and_saveexec_b64 s[6:7], s[4:5]
	s_cbranch_execnz .LBB48_1323
	s_branch .LBB48_1324
.LBB48_3373:
	s_movk_i32 s4, 0x80
	v_cmp_eq_u16_sdwa s[12:13], v14, s4 src0_sel:BYTE_0 src1_sel:DWORD
	s_mov_b64 s[4:5], -1
                                        ; implicit-def: $sgpr10
	s_and_saveexec_b64 s[8:9], s[12:13]
; %bb.3374:
	s_mov_b32 s10, 0x7f800001
	s_xor_b64 s[4:5], exec, -1
; %bb.3375:
	s_or_b64 exec, exec, s[8:9]
	s_and_b64 s[4:5], s[4:5], exec
	s_or_saveexec_b64 s[6:7], s[6:7]
	v_mov_b32_e32 v20, s10
	s_xor_b64 exec, exec, s[6:7]
	s_cbranch_execz .LBB48_1326
.LBB48_3376:
	v_mov_b32_e32 v20, 0
	v_cmp_ne_u16_sdwa s[8:9], v14, v20 src0_sel:BYTE_0 src1_sel:DWORD
	s_andn2_b64 s[4:5], s[4:5], exec
	s_and_b64 s[8:9], s[8:9], exec
	s_or_b64 s[4:5], s[4:5], s[8:9]
	s_or_b64 exec, exec, s[6:7]
	s_and_saveexec_b64 s[6:7], s[4:5]
	s_cbranch_execnz .LBB48_1327
	s_branch .LBB48_1328
.LBB48_3377:
	s_movk_i32 s4, 0x80
	v_cmp_eq_u16_e32 vcc, s4, v14
	s_mov_b64 s[4:5], -1
                                        ; implicit-def: $sgpr10
	s_and_saveexec_b64 s[8:9], vcc
; %bb.3378:
	s_mov_b32 s10, 0x7f800001
	s_xor_b64 s[4:5], exec, -1
; %bb.3379:
	s_or_b64 exec, exec, s[8:9]
	s_and_b64 s[4:5], s[4:5], exec
                                        ; implicit-def: $vgpr14
	s_or_saveexec_b64 s[6:7], s[6:7]
	v_mov_b32_e32 v10, s10
	s_xor_b64 exec, exec, s[6:7]
	s_cbranch_execz .LBB48_1330
.LBB48_3380:
	v_cmp_ne_u16_e32 vcc, 0, v14
	s_andn2_b64 s[4:5], s[4:5], exec
	s_and_b64 s[8:9], vcc, exec
	v_mov_b32_e32 v10, 0
	s_or_b64 s[4:5], s[4:5], s[8:9]
	s_or_b64 exec, exec, s[6:7]
	s_and_saveexec_b64 s[6:7], s[4:5]
	s_cbranch_execnz .LBB48_1331
	s_branch .LBB48_1332
.LBB48_3381:
	s_movk_i32 s4, 0x80
	v_cmp_eq_u16_e32 vcc, s4, v14
	s_mov_b64 s[4:5], -1
                                        ; implicit-def: $sgpr10
	s_and_saveexec_b64 s[8:9], vcc
; %bb.3382:
	s_mov_b32 s10, 0x7f800001
	s_xor_b64 s[4:5], exec, -1
; %bb.3383:
	s_or_b64 exec, exec, s[8:9]
	s_and_b64 s[4:5], s[4:5], exec
                                        ; implicit-def: $vgpr14
	s_or_saveexec_b64 s[6:7], s[6:7]
	v_mov_b32_e32 v20, s10
	s_xor_b64 exec, exec, s[6:7]
	s_cbranch_execz .LBB48_1334
.LBB48_3384:
	v_cmp_ne_u16_e32 vcc, 0, v14
	s_andn2_b64 s[4:5], s[4:5], exec
	s_and_b64 s[8:9], vcc, exec
	v_mov_b32_e32 v20, 0
	s_or_b64 s[4:5], s[4:5], s[8:9]
	s_or_b64 exec, exec, s[6:7]
	s_and_saveexec_b64 s[6:7], s[4:5]
	s_cbranch_execnz .LBB48_1335
	s_branch .LBB48_1336
.LBB48_3385:
	s_movk_i32 s4, 0x80
	v_cmp_eq_u16_sdwa s[12:13], v15, s4 src0_sel:BYTE_3 src1_sel:DWORD
	s_mov_b64 s[4:5], -1
                                        ; implicit-def: $sgpr10
	s_and_saveexec_b64 s[8:9], s[12:13]
; %bb.3386:
	s_mov_b32 s10, 0x7f800001
	s_xor_b64 s[4:5], exec, -1
; %bb.3387:
	s_or_b64 exec, exec, s[8:9]
	s_and_b64 s[4:5], s[4:5], exec
	s_or_saveexec_b64 s[6:7], s[6:7]
	v_mov_b32_e32 v10, s10
	s_xor_b64 exec, exec, s[6:7]
	s_cbranch_execz .LBB48_1338
.LBB48_3388:
	v_mov_b32_e32 v10, 0
	v_cmp_ne_u16_sdwa s[8:9], v15, v10 src0_sel:BYTE_3 src1_sel:DWORD
	s_andn2_b64 s[4:5], s[4:5], exec
	s_and_b64 s[8:9], s[8:9], exec
	s_or_b64 s[4:5], s[4:5], s[8:9]
	s_or_b64 exec, exec, s[6:7]
	s_and_saveexec_b64 s[6:7], s[4:5]
	s_cbranch_execnz .LBB48_1339
	s_branch .LBB48_1340
.LBB48_3389:
	s_movk_i32 s4, 0x80
	v_cmp_eq_u16_sdwa s[12:13], v11, s4 src0_sel:BYTE_3 src1_sel:DWORD
	s_mov_b64 s[4:5], -1
                                        ; implicit-def: $sgpr10
	s_and_saveexec_b64 s[8:9], s[12:13]
; %bb.3390:
	s_mov_b32 s10, 0x7f800001
	s_xor_b64 s[4:5], exec, -1
; %bb.3391:
	s_or_b64 exec, exec, s[8:9]
	s_and_b64 s[4:5], s[4:5], exec
	s_or_saveexec_b64 s[6:7], s[6:7]
	v_mov_b32_e32 v14, s10
	s_xor_b64 exec, exec, s[6:7]
	s_cbranch_execz .LBB48_1342
.LBB48_3392:
	v_mov_b32_e32 v14, 0
	v_cmp_ne_u16_sdwa s[8:9], v11, v14 src0_sel:BYTE_3 src1_sel:DWORD
	s_andn2_b64 s[4:5], s[4:5], exec
	s_and_b64 s[8:9], s[8:9], exec
	s_or_b64 s[4:5], s[4:5], s[8:9]
	s_or_b64 exec, exec, s[6:7]
	s_and_saveexec_b64 s[6:7], s[4:5]
	s_cbranch_execnz .LBB48_1343
	s_branch .LBB48_1344
.LBB48_3393:
	s_movk_i32 s4, 0x80
	v_cmp_eq_u16_sdwa s[12:13], v16, s4 src0_sel:BYTE_0 src1_sel:DWORD
	s_mov_b64 s[4:5], -1
                                        ; implicit-def: $sgpr10
	s_and_saveexec_b64 s[8:9], s[12:13]
; %bb.3394:
	s_mov_b32 s10, 0x7f800001
	s_xor_b64 s[4:5], exec, -1
; %bb.3395:
	s_or_b64 exec, exec, s[8:9]
	s_and_b64 s[4:5], s[4:5], exec
	s_or_saveexec_b64 s[6:7], s[6:7]
	v_mov_b32_e32 v10, s10
	s_xor_b64 exec, exec, s[6:7]
	s_cbranch_execz .LBB48_1346
.LBB48_3396:
	v_mov_b32_e32 v10, 0
	v_cmp_ne_u16_sdwa s[8:9], v16, v10 src0_sel:BYTE_0 src1_sel:DWORD
	s_andn2_b64 s[4:5], s[4:5], exec
	s_and_b64 s[8:9], s[8:9], exec
	s_or_b64 s[4:5], s[4:5], s[8:9]
	s_or_b64 exec, exec, s[6:7]
	s_and_saveexec_b64 s[6:7], s[4:5]
	s_cbranch_execnz .LBB48_1347
	s_branch .LBB48_1348
.LBB48_3397:
	s_movk_i32 s4, 0x80
	v_cmp_eq_u16_sdwa s[12:13], v12, s4 src0_sel:BYTE_0 src1_sel:DWORD
	s_mov_b64 s[4:5], -1
                                        ; implicit-def: $sgpr10
	s_and_saveexec_b64 s[8:9], s[12:13]
; %bb.3398:
	s_mov_b32 s10, 0x7f800001
	s_xor_b64 s[4:5], exec, -1
; %bb.3399:
	s_or_b64 exec, exec, s[8:9]
	s_and_b64 s[4:5], s[4:5], exec
	s_or_saveexec_b64 s[6:7], s[6:7]
	v_mov_b32_e32 v11, s10
	s_xor_b64 exec, exec, s[6:7]
	s_cbranch_execz .LBB48_1350
.LBB48_3400:
	v_mov_b32_e32 v11, 0
	v_cmp_ne_u16_sdwa s[8:9], v12, v11 src0_sel:BYTE_0 src1_sel:DWORD
	s_andn2_b64 s[4:5], s[4:5], exec
	s_and_b64 s[8:9], s[8:9], exec
	s_or_b64 s[4:5], s[4:5], s[8:9]
	s_or_b64 exec, exec, s[6:7]
	s_and_saveexec_b64 s[6:7], s[4:5]
	s_cbranch_execnz .LBB48_1351
	s_branch .LBB48_1352
.LBB48_3401:
	s_movk_i32 s4, 0x80
	v_cmp_eq_u16_sdwa s[12:13], v11, s4 src0_sel:BYTE_0 src1_sel:DWORD
	s_mov_b64 s[4:5], -1
                                        ; implicit-def: $sgpr10
	s_and_saveexec_b64 s[8:9], s[12:13]
; %bb.3402:
	s_mov_b32 s10, 0x7f800001
	s_xor_b64 s[4:5], exec, -1
; %bb.3403:
	s_or_b64 exec, exec, s[8:9]
	s_and_b64 s[4:5], s[4:5], exec
	s_or_saveexec_b64 s[6:7], s[6:7]
	v_mov_b32_e32 v10, s10
	s_xor_b64 exec, exec, s[6:7]
	s_cbranch_execz .LBB48_1354
.LBB48_3404:
	v_mov_b32_e32 v10, 0
	v_cmp_ne_u16_sdwa s[8:9], v11, v10 src0_sel:BYTE_0 src1_sel:DWORD
	s_andn2_b64 s[4:5], s[4:5], exec
	s_and_b64 s[8:9], s[8:9], exec
	s_or_b64 s[4:5], s[4:5], s[8:9]
	s_or_b64 exec, exec, s[6:7]
	s_and_saveexec_b64 s[6:7], s[4:5]
	s_cbranch_execnz .LBB48_1355
	s_branch .LBB48_1356
.LBB48_3405:
	s_movk_i32 s4, 0x80
	v_cmp_eq_u16_sdwa s[12:13], v11, s4 src0_sel:BYTE_0 src1_sel:DWORD
	s_mov_b64 s[4:5], -1
                                        ; implicit-def: $sgpr10
	s_and_saveexec_b64 s[8:9], s[12:13]
; %bb.3406:
	s_mov_b32 s10, 0x7f800001
	s_xor_b64 s[4:5], exec, -1
; %bb.3407:
	s_or_b64 exec, exec, s[8:9]
	s_and_b64 s[4:5], s[4:5], exec
	s_or_saveexec_b64 s[6:7], s[6:7]
	v_mov_b32_e32 v14, s10
	s_xor_b64 exec, exec, s[6:7]
	s_cbranch_execz .LBB48_1358
.LBB48_3408:
	v_mov_b32_e32 v14, 0
	v_cmp_ne_u16_sdwa s[8:9], v11, v14 src0_sel:BYTE_0 src1_sel:DWORD
	s_andn2_b64 s[4:5], s[4:5], exec
	s_and_b64 s[8:9], s[8:9], exec
	s_or_b64 s[4:5], s[4:5], s[8:9]
	s_or_b64 exec, exec, s[6:7]
	s_and_saveexec_b64 s[6:7], s[4:5]
	s_cbranch_execnz .LBB48_1359
	s_branch .LBB48_1360
.LBB48_3409:
	s_movk_i32 s4, 0x80
	v_cmp_eq_u16_e32 vcc, s4, v11
	s_mov_b64 s[4:5], -1
                                        ; implicit-def: $sgpr10
	s_and_saveexec_b64 s[8:9], vcc
; %bb.3410:
	s_mov_b32 s10, 0x7f800001
	s_xor_b64 s[4:5], exec, -1
; %bb.3411:
	s_or_b64 exec, exec, s[8:9]
	s_and_b64 s[4:5], s[4:5], exec
                                        ; implicit-def: $vgpr11
	s_or_saveexec_b64 s[6:7], s[6:7]
	v_mov_b32_e32 v10, s10
	s_xor_b64 exec, exec, s[6:7]
	s_cbranch_execz .LBB48_1362
.LBB48_3412:
	v_cmp_ne_u16_e32 vcc, 0, v11
	s_andn2_b64 s[4:5], s[4:5], exec
	s_and_b64 s[8:9], vcc, exec
	v_mov_b32_e32 v10, 0
	s_or_b64 s[4:5], s[4:5], s[8:9]
	s_or_b64 exec, exec, s[6:7]
	s_and_saveexec_b64 s[6:7], s[4:5]
	s_cbranch_execnz .LBB48_1363
	s_branch .LBB48_1364
.LBB48_3413:
	s_movk_i32 s4, 0x80
	v_cmp_eq_u16_e32 vcc, s4, v11
	s_mov_b64 s[4:5], -1
                                        ; implicit-def: $sgpr10
	s_and_saveexec_b64 s[8:9], vcc
; %bb.3414:
	s_mov_b32 s10, 0x7f800001
	s_xor_b64 s[4:5], exec, -1
; %bb.3415:
	s_or_b64 exec, exec, s[8:9]
	s_and_b64 s[4:5], s[4:5], exec
                                        ; implicit-def: $vgpr11
	s_or_saveexec_b64 s[6:7], s[6:7]
	v_mov_b32_e32 v14, s10
	s_xor_b64 exec, exec, s[6:7]
	s_cbranch_execz .LBB48_1366
.LBB48_3416:
	v_cmp_ne_u16_e32 vcc, 0, v11
	s_andn2_b64 s[4:5], s[4:5], exec
	s_and_b64 s[8:9], vcc, exec
	v_mov_b32_e32 v14, 0
	s_or_b64 s[4:5], s[4:5], s[8:9]
	s_or_b64 exec, exec, s[6:7]
	s_and_saveexec_b64 s[6:7], s[4:5]
	s_cbranch_execnz .LBB48_1367
	s_branch .LBB48_1368
.LBB48_3417:
	s_movk_i32 s4, 0x80
	v_cmp_eq_u16_sdwa s[12:13], v16, s4 src0_sel:BYTE_3 src1_sel:DWORD
	s_mov_b64 s[4:5], -1
                                        ; implicit-def: $sgpr10
	s_and_saveexec_b64 s[8:9], s[12:13]
; %bb.3418:
	s_mov_b32 s10, 0x7f800001
	s_xor_b64 s[4:5], exec, -1
; %bb.3419:
	s_or_b64 exec, exec, s[8:9]
	s_and_b64 s[4:5], s[4:5], exec
	s_or_saveexec_b64 s[6:7], s[6:7]
	v_mov_b32_e32 v10, s10
	s_xor_b64 exec, exec, s[6:7]
	s_cbranch_execz .LBB48_1370
.LBB48_3420:
	v_mov_b32_e32 v10, 0
	v_cmp_ne_u16_sdwa s[8:9], v16, v10 src0_sel:BYTE_3 src1_sel:DWORD
	s_andn2_b64 s[4:5], s[4:5], exec
	s_and_b64 s[8:9], s[8:9], exec
	s_or_b64 s[4:5], s[4:5], s[8:9]
	s_or_b64 exec, exec, s[6:7]
	s_and_saveexec_b64 s[6:7], s[4:5]
	s_cbranch_execnz .LBB48_1371
	s_branch .LBB48_1372
.LBB48_3421:
	s_movk_i32 s4, 0x80
	v_cmp_eq_u16_sdwa s[12:13], v12, s4 src0_sel:BYTE_3 src1_sel:DWORD
	s_mov_b64 s[4:5], -1
                                        ; implicit-def: $sgpr10
	s_and_saveexec_b64 s[8:9], s[12:13]
; %bb.3422:
	s_mov_b32 s10, 0x7f800001
	s_xor_b64 s[4:5], exec, -1
; %bb.3423:
	s_or_b64 exec, exec, s[8:9]
	s_and_b64 s[4:5], s[4:5], exec
	s_or_saveexec_b64 s[6:7], s[6:7]
	v_mov_b32_e32 v11, s10
	s_xor_b64 exec, exec, s[6:7]
	s_cbranch_execz .LBB48_1374
.LBB48_3424:
	v_mov_b32_e32 v11, 0
	v_cmp_ne_u16_sdwa s[8:9], v12, v11 src0_sel:BYTE_3 src1_sel:DWORD
	s_andn2_b64 s[4:5], s[4:5], exec
	s_and_b64 s[8:9], s[8:9], exec
	s_or_b64 s[4:5], s[4:5], s[8:9]
	s_or_b64 exec, exec, s[6:7]
	s_and_saveexec_b64 s[6:7], s[4:5]
	s_cbranch_execnz .LBB48_1375
	s_branch .LBB48_1376
.LBB48_3425:
	s_movk_i32 s4, 0x80
	v_cmp_eq_u16_sdwa s[12:13], v17, s4 src0_sel:BYTE_0 src1_sel:DWORD
	s_mov_b64 s[4:5], -1
                                        ; implicit-def: $sgpr10
	s_and_saveexec_b64 s[8:9], s[12:13]
; %bb.3426:
	s_mov_b32 s10, 0x7f800001
	s_xor_b64 s[4:5], exec, -1
; %bb.3427:
	s_or_b64 exec, exec, s[8:9]
	s_and_b64 s[4:5], s[4:5], exec
	s_or_saveexec_b64 s[6:7], s[6:7]
	v_mov_b32_e32 v10, s10
	s_xor_b64 exec, exec, s[6:7]
	s_cbranch_execz .LBB48_1378
.LBB48_3428:
	v_mov_b32_e32 v10, 0
	v_cmp_ne_u16_sdwa s[8:9], v17, v10 src0_sel:BYTE_0 src1_sel:DWORD
	s_andn2_b64 s[4:5], s[4:5], exec
	s_and_b64 s[8:9], s[8:9], exec
	s_or_b64 s[4:5], s[4:5], s[8:9]
	s_or_b64 exec, exec, s[6:7]
	s_and_saveexec_b64 s[6:7], s[4:5]
	s_cbranch_execnz .LBB48_1379
	s_branch .LBB48_1380
.LBB48_3429:
	s_movk_i32 s4, 0x80
	v_cmp_eq_u16_sdwa s[12:13], v13, s4 src0_sel:BYTE_0 src1_sel:DWORD
	s_mov_b64 s[4:5], -1
                                        ; implicit-def: $sgpr10
	s_and_saveexec_b64 s[8:9], s[12:13]
; %bb.3430:
	s_mov_b32 s10, 0x7f800001
	s_xor_b64 s[4:5], exec, -1
; %bb.3431:
	s_or_b64 exec, exec, s[8:9]
	s_and_b64 s[4:5], s[4:5], exec
	s_or_saveexec_b64 s[6:7], s[6:7]
	v_mov_b32_e32 v11, s10
	s_xor_b64 exec, exec, s[6:7]
	s_cbranch_execz .LBB48_1382
.LBB48_3432:
	v_mov_b32_e32 v11, 0
	v_cmp_ne_u16_sdwa s[8:9], v13, v11 src0_sel:BYTE_0 src1_sel:DWORD
	s_andn2_b64 s[4:5], s[4:5], exec
	s_and_b64 s[8:9], s[8:9], exec
	s_or_b64 s[4:5], s[4:5], s[8:9]
	s_or_b64 exec, exec, s[6:7]
	s_and_saveexec_b64 s[6:7], s[4:5]
	s_cbranch_execnz .LBB48_1383
	s_branch .LBB48_1384
.LBB48_3433:
	s_movk_i32 s4, 0x80
	v_cmp_eq_u16_sdwa s[12:13], v11, s4 src0_sel:BYTE_0 src1_sel:DWORD
	s_mov_b64 s[4:5], -1
                                        ; implicit-def: $sgpr10
	s_and_saveexec_b64 s[8:9], s[12:13]
; %bb.3434:
	s_mov_b32 s10, 0x7f800001
	s_xor_b64 s[4:5], exec, -1
; %bb.3435:
	s_or_b64 exec, exec, s[8:9]
	s_and_b64 s[4:5], s[4:5], exec
	s_or_saveexec_b64 s[6:7], s[6:7]
	v_mov_b32_e32 v10, s10
	s_xor_b64 exec, exec, s[6:7]
	s_cbranch_execz .LBB48_1386
.LBB48_3436:
	v_mov_b32_e32 v10, 0
	v_cmp_ne_u16_sdwa s[8:9], v11, v10 src0_sel:BYTE_0 src1_sel:DWORD
	s_andn2_b64 s[4:5], s[4:5], exec
	s_and_b64 s[8:9], s[8:9], exec
	s_or_b64 s[4:5], s[4:5], s[8:9]
	s_or_b64 exec, exec, s[6:7]
	s_and_saveexec_b64 s[6:7], s[4:5]
	s_cbranch_execnz .LBB48_1387
	s_branch .LBB48_1388
.LBB48_3437:
	s_movk_i32 s4, 0x80
	v_cmp_eq_u16_sdwa s[12:13], v11, s4 src0_sel:BYTE_0 src1_sel:DWORD
	s_mov_b64 s[4:5], -1
                                        ; implicit-def: $sgpr10
	s_and_saveexec_b64 s[8:9], s[12:13]
; %bb.3438:
	s_mov_b32 s10, 0x7f800001
	s_xor_b64 s[4:5], exec, -1
; %bb.3439:
	s_or_b64 exec, exec, s[8:9]
	s_and_b64 s[4:5], s[4:5], exec
	s_or_saveexec_b64 s[6:7], s[6:7]
	v_mov_b32_e32 v12, s10
	s_xor_b64 exec, exec, s[6:7]
	s_cbranch_execz .LBB48_1390
.LBB48_3440:
	v_mov_b32_e32 v12, 0
	v_cmp_ne_u16_sdwa s[8:9], v11, v12 src0_sel:BYTE_0 src1_sel:DWORD
	s_andn2_b64 s[4:5], s[4:5], exec
	s_and_b64 s[8:9], s[8:9], exec
	s_or_b64 s[4:5], s[4:5], s[8:9]
	s_or_b64 exec, exec, s[6:7]
	s_and_saveexec_b64 s[6:7], s[4:5]
	s_cbranch_execnz .LBB48_1391
	s_branch .LBB48_1392
.LBB48_3441:
	s_movk_i32 s4, 0x80
	v_cmp_eq_u16_e32 vcc, s4, v11
	s_mov_b64 s[4:5], -1
                                        ; implicit-def: $sgpr10
	s_and_saveexec_b64 s[8:9], vcc
; %bb.3442:
	s_mov_b32 s10, 0x7f800001
	s_xor_b64 s[4:5], exec, -1
; %bb.3443:
	s_or_b64 exec, exec, s[8:9]
	s_and_b64 s[4:5], s[4:5], exec
                                        ; implicit-def: $vgpr11
	s_or_saveexec_b64 s[6:7], s[6:7]
	v_mov_b32_e32 v10, s10
	s_xor_b64 exec, exec, s[6:7]
	s_cbranch_execz .LBB48_1394
.LBB48_3444:
	v_cmp_ne_u16_e32 vcc, 0, v11
	s_andn2_b64 s[4:5], s[4:5], exec
	s_and_b64 s[8:9], vcc, exec
	v_mov_b32_e32 v10, 0
	s_or_b64 s[4:5], s[4:5], s[8:9]
	s_or_b64 exec, exec, s[6:7]
	s_and_saveexec_b64 s[6:7], s[4:5]
	s_cbranch_execnz .LBB48_1395
	s_branch .LBB48_1396
.LBB48_3445:
	s_movk_i32 s4, 0x80
	v_cmp_eq_u16_e32 vcc, s4, v11
	s_mov_b64 s[4:5], -1
                                        ; implicit-def: $sgpr10
	s_and_saveexec_b64 s[8:9], vcc
; %bb.3446:
	s_mov_b32 s10, 0x7f800001
	s_xor_b64 s[4:5], exec, -1
; %bb.3447:
	s_or_b64 exec, exec, s[8:9]
	s_and_b64 s[4:5], s[4:5], exec
                                        ; implicit-def: $vgpr11
	s_or_saveexec_b64 s[6:7], s[6:7]
	v_mov_b32_e32 v12, s10
	s_xor_b64 exec, exec, s[6:7]
	s_cbranch_execz .LBB48_1398
.LBB48_3448:
	v_cmp_ne_u16_e32 vcc, 0, v11
	s_andn2_b64 s[4:5], s[4:5], exec
	s_and_b64 s[8:9], vcc, exec
	v_mov_b32_e32 v12, 0
	s_or_b64 s[4:5], s[4:5], s[8:9]
	s_or_b64 exec, exec, s[6:7]
	s_and_saveexec_b64 s[6:7], s[4:5]
	s_cbranch_execnz .LBB48_1399
	s_branch .LBB48_1400
.LBB48_3449:
	s_movk_i32 s4, 0x80
	v_cmp_eq_u16_sdwa s[12:13], v17, s4 src0_sel:BYTE_3 src1_sel:DWORD
	s_mov_b64 s[4:5], -1
                                        ; implicit-def: $sgpr10
	s_and_saveexec_b64 s[8:9], s[12:13]
; %bb.3450:
	s_mov_b32 s10, 0x7f800001
	s_xor_b64 s[4:5], exec, -1
; %bb.3451:
	s_or_b64 exec, exec, s[8:9]
	s_and_b64 s[4:5], s[4:5], exec
	s_or_saveexec_b64 s[6:7], s[6:7]
	v_mov_b32_e32 v10, s10
	s_xor_b64 exec, exec, s[6:7]
	s_cbranch_execz .LBB48_1402
.LBB48_3452:
	v_mov_b32_e32 v10, 0
	v_cmp_ne_u16_sdwa s[8:9], v17, v10 src0_sel:BYTE_3 src1_sel:DWORD
	s_andn2_b64 s[4:5], s[4:5], exec
	s_and_b64 s[8:9], s[8:9], exec
	s_or_b64 s[4:5], s[4:5], s[8:9]
	s_or_b64 exec, exec, s[6:7]
	s_and_saveexec_b64 s[6:7], s[4:5]
	s_cbranch_execnz .LBB48_1403
	s_branch .LBB48_1404
.LBB48_3453:
	s_movk_i32 s4, 0x80
	v_cmp_eq_u16_sdwa s[12:13], v13, s4 src0_sel:BYTE_3 src1_sel:DWORD
	s_mov_b64 s[4:5], -1
                                        ; implicit-def: $sgpr10
	s_and_saveexec_b64 s[8:9], s[12:13]
; %bb.3454:
	s_mov_b32 s10, 0x7f800001
	s_xor_b64 s[4:5], exec, -1
; %bb.3455:
	s_or_b64 exec, exec, s[8:9]
	s_and_b64 s[4:5], s[4:5], exec
	s_or_saveexec_b64 s[6:7], s[6:7]
	v_mov_b32_e32 v11, s10
	s_xor_b64 exec, exec, s[6:7]
	s_cbranch_execz .LBB48_1406
.LBB48_3456:
	v_mov_b32_e32 v11, 0
	v_cmp_ne_u16_sdwa s[8:9], v13, v11 src0_sel:BYTE_3 src1_sel:DWORD
	s_andn2_b64 s[4:5], s[4:5], exec
	s_and_b64 s[8:9], s[8:9], exec
	s_or_b64 s[4:5], s[4:5], s[8:9]
	s_or_b64 exec, exec, s[6:7]
	s_and_saveexec_b64 s[6:7], s[4:5]
	s_cbranch_execnz .LBB48_1407
	s_branch .LBB48_1408
.LBB48_3457:
	s_movk_i32 s4, 0x80
	v_cmp_eq_u16_sdwa s[12:13], v6, s4 src0_sel:BYTE_0 src1_sel:DWORD
	s_mov_b64 s[4:5], -1
                                        ; implicit-def: $sgpr10
	s_and_saveexec_b64 s[8:9], s[12:13]
; %bb.3458:
	s_mov_b32 s10, 0x7f800001
	s_xor_b64 s[4:5], exec, -1
; %bb.3459:
	s_or_b64 exec, exec, s[8:9]
	s_and_b64 s[4:5], s[4:5], exec
	s_or_saveexec_b64 s[6:7], s[6:7]
	v_mov_b32_e32 v10, s10
	s_xor_b64 exec, exec, s[6:7]
	s_cbranch_execz .LBB48_1410
.LBB48_3460:
	v_mov_b32_e32 v10, 0
	v_cmp_ne_u16_sdwa s[8:9], v6, v10 src0_sel:BYTE_0 src1_sel:DWORD
	s_andn2_b64 s[4:5], s[4:5], exec
	s_and_b64 s[8:9], s[8:9], exec
	s_or_b64 s[4:5], s[4:5], s[8:9]
	s_or_b64 exec, exec, s[6:7]
	s_and_saveexec_b64 s[6:7], s[4:5]
	s_cbranch_execnz .LBB48_1411
	s_branch .LBB48_1412
.LBB48_3461:
	s_movk_i32 s4, 0x80
	v_cmp_eq_u16_sdwa s[12:13], v2, s4 src0_sel:BYTE_0 src1_sel:DWORD
	s_mov_b64 s[4:5], -1
                                        ; implicit-def: $sgpr10
	s_and_saveexec_b64 s[8:9], s[12:13]
; %bb.3462:
	s_mov_b32 s10, 0x7f800001
	s_xor_b64 s[4:5], exec, -1
; %bb.3463:
	s_or_b64 exec, exec, s[8:9]
	s_and_b64 s[4:5], s[4:5], exec
	s_or_saveexec_b64 s[6:7], s[6:7]
	v_mov_b32_e32 v11, s10
	s_xor_b64 exec, exec, s[6:7]
	s_cbranch_execz .LBB48_1414
.LBB48_3464:
	v_mov_b32_e32 v11, 0
	v_cmp_ne_u16_sdwa s[8:9], v2, v11 src0_sel:BYTE_0 src1_sel:DWORD
	s_andn2_b64 s[4:5], s[4:5], exec
	s_and_b64 s[8:9], s[8:9], exec
	s_or_b64 s[4:5], s[4:5], s[8:9]
	s_or_b64 exec, exec, s[6:7]
	s_and_saveexec_b64 s[6:7], s[4:5]
	s_cbranch_execnz .LBB48_1415
	s_branch .LBB48_1416
.LBB48_3465:
	s_movk_i32 s4, 0x80
	v_cmp_eq_u16_sdwa s[12:13], v11, s4 src0_sel:BYTE_0 src1_sel:DWORD
	s_mov_b64 s[4:5], -1
                                        ; implicit-def: $sgpr10
	s_and_saveexec_b64 s[8:9], s[12:13]
; %bb.3466:
	s_mov_b32 s10, 0x7f800001
	s_xor_b64 s[4:5], exec, -1
; %bb.3467:
	s_or_b64 exec, exec, s[8:9]
	s_and_b64 s[4:5], s[4:5], exec
	s_or_saveexec_b64 s[6:7], s[6:7]
	v_mov_b32_e32 v10, s10
	s_xor_b64 exec, exec, s[6:7]
	s_cbranch_execz .LBB48_1418
.LBB48_3468:
	v_mov_b32_e32 v10, 0
	v_cmp_ne_u16_sdwa s[8:9], v11, v10 src0_sel:BYTE_0 src1_sel:DWORD
	s_andn2_b64 s[4:5], s[4:5], exec
	s_and_b64 s[8:9], s[8:9], exec
	s_or_b64 s[4:5], s[4:5], s[8:9]
	s_or_b64 exec, exec, s[6:7]
	s_and_saveexec_b64 s[6:7], s[4:5]
	s_cbranch_execnz .LBB48_1419
	s_branch .LBB48_1420
.LBB48_3469:
	s_movk_i32 s4, 0x80
	v_cmp_eq_u16_sdwa s[12:13], v11, s4 src0_sel:BYTE_0 src1_sel:DWORD
	s_mov_b64 s[4:5], -1
                                        ; implicit-def: $sgpr10
	s_and_saveexec_b64 s[8:9], s[12:13]
; %bb.3470:
	s_mov_b32 s10, 0x7f800001
	s_xor_b64 s[4:5], exec, -1
; %bb.3471:
	s_or_b64 exec, exec, s[8:9]
	s_and_b64 s[4:5], s[4:5], exec
	s_or_saveexec_b64 s[6:7], s[6:7]
	v_mov_b32_e32 v12, s10
	s_xor_b64 exec, exec, s[6:7]
	s_cbranch_execz .LBB48_1422
.LBB48_3472:
	v_mov_b32_e32 v12, 0
	v_cmp_ne_u16_sdwa s[8:9], v11, v12 src0_sel:BYTE_0 src1_sel:DWORD
	s_andn2_b64 s[4:5], s[4:5], exec
	s_and_b64 s[8:9], s[8:9], exec
	s_or_b64 s[4:5], s[4:5], s[8:9]
	s_or_b64 exec, exec, s[6:7]
	s_and_saveexec_b64 s[6:7], s[4:5]
	s_cbranch_execnz .LBB48_1423
	s_branch .LBB48_1424
.LBB48_3473:
	s_movk_i32 s4, 0x80
	v_cmp_eq_u16_e32 vcc, s4, v11
	s_mov_b64 s[4:5], -1
                                        ; implicit-def: $sgpr10
	s_and_saveexec_b64 s[8:9], vcc
; %bb.3474:
	s_mov_b32 s10, 0x7f800001
	s_xor_b64 s[4:5], exec, -1
; %bb.3475:
	s_or_b64 exec, exec, s[8:9]
	s_and_b64 s[4:5], s[4:5], exec
                                        ; implicit-def: $vgpr11
	s_or_saveexec_b64 s[6:7], s[6:7]
	v_mov_b32_e32 v10, s10
	s_xor_b64 exec, exec, s[6:7]
	s_cbranch_execz .LBB48_1426
.LBB48_3476:
	v_cmp_ne_u16_e32 vcc, 0, v11
	s_andn2_b64 s[4:5], s[4:5], exec
	s_and_b64 s[8:9], vcc, exec
	v_mov_b32_e32 v10, 0
	s_or_b64 s[4:5], s[4:5], s[8:9]
	s_or_b64 exec, exec, s[6:7]
	s_and_saveexec_b64 s[6:7], s[4:5]
	s_cbranch_execnz .LBB48_1427
	s_branch .LBB48_1428
.LBB48_3477:
	s_movk_i32 s4, 0x80
	v_cmp_eq_u16_e32 vcc, s4, v11
	s_mov_b64 s[4:5], -1
                                        ; implicit-def: $sgpr10
	s_and_saveexec_b64 s[8:9], vcc
; %bb.3478:
	s_mov_b32 s10, 0x7f800001
	s_xor_b64 s[4:5], exec, -1
; %bb.3479:
	s_or_b64 exec, exec, s[8:9]
	s_and_b64 s[4:5], s[4:5], exec
                                        ; implicit-def: $vgpr11
	s_or_saveexec_b64 s[6:7], s[6:7]
	v_mov_b32_e32 v12, s10
	s_xor_b64 exec, exec, s[6:7]
	s_cbranch_execz .LBB48_1430
.LBB48_3480:
	v_cmp_ne_u16_e32 vcc, 0, v11
	s_andn2_b64 s[4:5], s[4:5], exec
	s_and_b64 s[8:9], vcc, exec
	v_mov_b32_e32 v12, 0
	s_or_b64 s[4:5], s[4:5], s[8:9]
	s_or_b64 exec, exec, s[6:7]
	s_and_saveexec_b64 s[6:7], s[4:5]
	s_cbranch_execnz .LBB48_1431
	s_branch .LBB48_1432
.LBB48_3481:
	s_movk_i32 s4, 0x80
	v_cmp_eq_u16_sdwa s[12:13], v6, s4 src0_sel:BYTE_3 src1_sel:DWORD
	s_mov_b64 s[4:5], -1
                                        ; implicit-def: $sgpr10
	s_and_saveexec_b64 s[8:9], s[12:13]
; %bb.3482:
	s_mov_b32 s10, 0x7f800001
	s_xor_b64 s[4:5], exec, -1
; %bb.3483:
	s_or_b64 exec, exec, s[8:9]
	s_and_b64 s[4:5], s[4:5], exec
	s_or_saveexec_b64 s[6:7], s[6:7]
	v_mov_b32_e32 v10, s10
	s_xor_b64 exec, exec, s[6:7]
	s_cbranch_execz .LBB48_1434
.LBB48_3484:
	v_mov_b32_e32 v10, 0
	v_cmp_ne_u16_sdwa s[8:9], v6, v10 src0_sel:BYTE_3 src1_sel:DWORD
	s_andn2_b64 s[4:5], s[4:5], exec
	s_and_b64 s[8:9], s[8:9], exec
	s_or_b64 s[4:5], s[4:5], s[8:9]
	s_or_b64 exec, exec, s[6:7]
	s_and_saveexec_b64 s[6:7], s[4:5]
	s_cbranch_execnz .LBB48_1435
	s_branch .LBB48_1436
.LBB48_3485:
	s_movk_i32 s4, 0x80
	v_cmp_eq_u16_sdwa s[12:13], v2, s4 src0_sel:BYTE_3 src1_sel:DWORD
	s_mov_b64 s[4:5], -1
                                        ; implicit-def: $sgpr10
	s_and_saveexec_b64 s[8:9], s[12:13]
; %bb.3486:
	s_mov_b32 s10, 0x7f800001
	s_xor_b64 s[4:5], exec, -1
; %bb.3487:
	s_or_b64 exec, exec, s[8:9]
	s_and_b64 s[4:5], s[4:5], exec
	s_or_saveexec_b64 s[6:7], s[6:7]
	v_mov_b32_e32 v6, s10
	s_xor_b64 exec, exec, s[6:7]
	s_cbranch_execz .LBB48_1438
.LBB48_3488:
	v_mov_b32_e32 v6, 0
	v_cmp_ne_u16_sdwa s[8:9], v2, v6 src0_sel:BYTE_3 src1_sel:DWORD
	s_andn2_b64 s[4:5], s[4:5], exec
	s_and_b64 s[8:9], s[8:9], exec
	s_or_b64 s[4:5], s[4:5], s[8:9]
	s_or_b64 exec, exec, s[6:7]
	s_and_saveexec_b64 s[6:7], s[4:5]
	s_cbranch_execnz .LBB48_1439
	s_branch .LBB48_1440
.LBB48_3489:
	s_movk_i32 s4, 0x80
	v_cmp_eq_u16_sdwa s[12:13], v7, s4 src0_sel:BYTE_0 src1_sel:DWORD
	s_mov_b64 s[4:5], -1
                                        ; implicit-def: $sgpr10
	s_and_saveexec_b64 s[8:9], s[12:13]
; %bb.3490:
	s_mov_b32 s10, 0x7f800001
	s_xor_b64 s[4:5], exec, -1
; %bb.3491:
	s_or_b64 exec, exec, s[8:9]
	s_and_b64 s[4:5], s[4:5], exec
	s_or_saveexec_b64 s[6:7], s[6:7]
	v_mov_b32_e32 v2, s10
	s_xor_b64 exec, exec, s[6:7]
	s_cbranch_execz .LBB48_1442
.LBB48_3492:
	v_mov_b32_e32 v2, 0
	v_cmp_ne_u16_sdwa s[8:9], v7, v2 src0_sel:BYTE_0 src1_sel:DWORD
	s_andn2_b64 s[4:5], s[4:5], exec
	s_and_b64 s[8:9], s[8:9], exec
	s_or_b64 s[4:5], s[4:5], s[8:9]
	s_or_b64 exec, exec, s[6:7]
	s_and_saveexec_b64 s[6:7], s[4:5]
	s_cbranch_execnz .LBB48_1443
	s_branch .LBB48_1444
.LBB48_3493:
	s_movk_i32 s4, 0x80
	v_cmp_eq_u16_sdwa s[12:13], v3, s4 src0_sel:BYTE_0 src1_sel:DWORD
	s_mov_b64 s[4:5], -1
                                        ; implicit-def: $sgpr10
	s_and_saveexec_b64 s[8:9], s[12:13]
; %bb.3494:
	s_mov_b32 s10, 0x7f800001
	s_xor_b64 s[4:5], exec, -1
; %bb.3495:
	s_or_b64 exec, exec, s[8:9]
	s_and_b64 s[4:5], s[4:5], exec
	s_or_saveexec_b64 s[6:7], s[6:7]
	v_mov_b32_e32 v6, s10
	s_xor_b64 exec, exec, s[6:7]
	s_cbranch_execz .LBB48_1446
.LBB48_3496:
	v_mov_b32_e32 v6, 0
	v_cmp_ne_u16_sdwa s[8:9], v3, v6 src0_sel:BYTE_0 src1_sel:DWORD
	s_andn2_b64 s[4:5], s[4:5], exec
	s_and_b64 s[8:9], s[8:9], exec
	s_or_b64 s[4:5], s[4:5], s[8:9]
	s_or_b64 exec, exec, s[6:7]
	s_and_saveexec_b64 s[6:7], s[4:5]
	s_cbranch_execnz .LBB48_1447
	s_branch .LBB48_1448
.LBB48_3497:
	s_movk_i32 s4, 0x80
	v_cmp_eq_u16_sdwa s[12:13], v6, s4 src0_sel:BYTE_0 src1_sel:DWORD
	s_mov_b64 s[4:5], -1
                                        ; implicit-def: $sgpr10
	s_and_saveexec_b64 s[8:9], s[12:13]
; %bb.3498:
	s_mov_b32 s10, 0x7f800001
	s_xor_b64 s[4:5], exec, -1
; %bb.3499:
	s_or_b64 exec, exec, s[8:9]
	s_and_b64 s[4:5], s[4:5], exec
	s_or_saveexec_b64 s[6:7], s[6:7]
	v_mov_b32_e32 v2, s10
	s_xor_b64 exec, exec, s[6:7]
	s_cbranch_execz .LBB48_1450
.LBB48_3500:
	v_mov_b32_e32 v2, 0
	v_cmp_ne_u16_sdwa s[8:9], v6, v2 src0_sel:BYTE_0 src1_sel:DWORD
	s_andn2_b64 s[4:5], s[4:5], exec
	s_and_b64 s[8:9], s[8:9], exec
	s_or_b64 s[4:5], s[4:5], s[8:9]
	s_or_b64 exec, exec, s[6:7]
	s_and_saveexec_b64 s[6:7], s[4:5]
	s_cbranch_execnz .LBB48_1451
	s_branch .LBB48_1452
.LBB48_3501:
	s_movk_i32 s4, 0x80
	v_cmp_eq_u16_sdwa s[12:13], v6, s4 src0_sel:BYTE_0 src1_sel:DWORD
	s_mov_b64 s[4:5], -1
                                        ; implicit-def: $sgpr10
	s_and_saveexec_b64 s[8:9], s[12:13]
; %bb.3502:
	s_mov_b32 s10, 0x7f800001
	s_xor_b64 s[4:5], exec, -1
; %bb.3503:
	s_or_b64 exec, exec, s[8:9]
	s_and_b64 s[4:5], s[4:5], exec
	s_or_saveexec_b64 s[6:7], s[6:7]
	v_mov_b32_e32 v10, s10
	s_xor_b64 exec, exec, s[6:7]
	s_cbranch_execz .LBB48_1454
.LBB48_3504:
	v_mov_b32_e32 v10, 0
	v_cmp_ne_u16_sdwa s[8:9], v6, v10 src0_sel:BYTE_0 src1_sel:DWORD
	s_andn2_b64 s[4:5], s[4:5], exec
	s_and_b64 s[8:9], s[8:9], exec
	s_or_b64 s[4:5], s[4:5], s[8:9]
	s_or_b64 exec, exec, s[6:7]
	s_and_saveexec_b64 s[6:7], s[4:5]
	s_cbranch_execnz .LBB48_1455
	s_branch .LBB48_1456
.LBB48_3505:
	s_movk_i32 s4, 0x80
	v_cmp_eq_u16_e32 vcc, s4, v6
	s_mov_b64 s[4:5], -1
                                        ; implicit-def: $sgpr10
	s_and_saveexec_b64 s[8:9], vcc
; %bb.3506:
	s_mov_b32 s10, 0x7f800001
	s_xor_b64 s[4:5], exec, -1
; %bb.3507:
	s_or_b64 exec, exec, s[8:9]
	s_and_b64 s[4:5], s[4:5], exec
                                        ; implicit-def: $vgpr6
	s_or_saveexec_b64 s[6:7], s[6:7]
	v_mov_b32_e32 v2, s10
	s_xor_b64 exec, exec, s[6:7]
	s_cbranch_execz .LBB48_1458
.LBB48_3508:
	v_cmp_ne_u16_e32 vcc, 0, v6
	s_andn2_b64 s[4:5], s[4:5], exec
	s_and_b64 s[8:9], vcc, exec
	v_mov_b32_e32 v2, 0
	s_or_b64 s[4:5], s[4:5], s[8:9]
	s_or_b64 exec, exec, s[6:7]
	s_and_saveexec_b64 s[6:7], s[4:5]
	s_cbranch_execnz .LBB48_1459
	s_branch .LBB48_1460
.LBB48_3509:
	s_movk_i32 s4, 0x80
	v_cmp_eq_u16_e32 vcc, s4, v6
	s_mov_b64 s[4:5], -1
                                        ; implicit-def: $sgpr10
	s_and_saveexec_b64 s[8:9], vcc
; %bb.3510:
	s_mov_b32 s10, 0x7f800001
	s_xor_b64 s[4:5], exec, -1
; %bb.3511:
	s_or_b64 exec, exec, s[8:9]
	s_and_b64 s[4:5], s[4:5], exec
                                        ; implicit-def: $vgpr6
	s_or_saveexec_b64 s[6:7], s[6:7]
	v_mov_b32_e32 v10, s10
	s_xor_b64 exec, exec, s[6:7]
	s_cbranch_execz .LBB48_1462
.LBB48_3512:
	v_cmp_ne_u16_e32 vcc, 0, v6
	s_andn2_b64 s[4:5], s[4:5], exec
	s_and_b64 s[8:9], vcc, exec
	v_mov_b32_e32 v10, 0
	s_or_b64 s[4:5], s[4:5], s[8:9]
	s_or_b64 exec, exec, s[6:7]
	s_and_saveexec_b64 s[6:7], s[4:5]
	s_cbranch_execnz .LBB48_1463
	s_branch .LBB48_1464
.LBB48_3513:
	s_movk_i32 s4, 0x80
	v_cmp_eq_u16_sdwa s[12:13], v7, s4 src0_sel:BYTE_3 src1_sel:DWORD
	s_mov_b64 s[4:5], -1
                                        ; implicit-def: $sgpr10
	s_and_saveexec_b64 s[8:9], s[12:13]
; %bb.3514:
	s_mov_b32 s10, 0x7f800001
	s_xor_b64 s[4:5], exec, -1
; %bb.3515:
	s_or_b64 exec, exec, s[8:9]
	s_and_b64 s[4:5], s[4:5], exec
	s_or_saveexec_b64 s[6:7], s[6:7]
	v_mov_b32_e32 v2, s10
	s_xor_b64 exec, exec, s[6:7]
	s_cbranch_execz .LBB48_1466
.LBB48_3516:
	v_mov_b32_e32 v2, 0
	v_cmp_ne_u16_sdwa s[8:9], v7, v2 src0_sel:BYTE_3 src1_sel:DWORD
	s_andn2_b64 s[4:5], s[4:5], exec
	s_and_b64 s[8:9], s[8:9], exec
	s_or_b64 s[4:5], s[4:5], s[8:9]
	s_or_b64 exec, exec, s[6:7]
	s_and_saveexec_b64 s[6:7], s[4:5]
	s_cbranch_execnz .LBB48_1467
	s_branch .LBB48_1468
.LBB48_3517:
	s_movk_i32 s4, 0x80
	v_cmp_eq_u16_sdwa s[12:13], v3, s4 src0_sel:BYTE_3 src1_sel:DWORD
	s_mov_b64 s[4:5], -1
                                        ; implicit-def: $sgpr10
	s_and_saveexec_b64 s[8:9], s[12:13]
; %bb.3518:
	s_mov_b32 s10, 0x7f800001
	s_xor_b64 s[4:5], exec, -1
; %bb.3519:
	s_or_b64 exec, exec, s[8:9]
	s_and_b64 s[4:5], s[4:5], exec
	s_or_saveexec_b64 s[6:7], s[6:7]
	v_mov_b32_e32 v6, s10
	s_xor_b64 exec, exec, s[6:7]
	s_cbranch_execz .LBB48_1470
.LBB48_3520:
	v_mov_b32_e32 v6, 0
	v_cmp_ne_u16_sdwa s[8:9], v3, v6 src0_sel:BYTE_3 src1_sel:DWORD
	s_andn2_b64 s[4:5], s[4:5], exec
	s_and_b64 s[8:9], s[8:9], exec
	s_or_b64 s[4:5], s[4:5], s[8:9]
	s_or_b64 exec, exec, s[6:7]
	s_and_saveexec_b64 s[6:7], s[4:5]
	s_cbranch_execnz .LBB48_1471
	s_branch .LBB48_1472
.LBB48_3521:
	s_movk_i32 s4, 0x80
	v_cmp_eq_u16_sdwa s[12:13], v8, s4 src0_sel:BYTE_0 src1_sel:DWORD
	s_mov_b64 s[4:5], -1
                                        ; implicit-def: $sgpr10
	s_and_saveexec_b64 s[8:9], s[12:13]
; %bb.3522:
	s_mov_b32 s10, 0x7f800001
	s_xor_b64 s[4:5], exec, -1
; %bb.3523:
	s_or_b64 exec, exec, s[8:9]
	s_and_b64 s[4:5], s[4:5], exec
	s_or_saveexec_b64 s[6:7], s[6:7]
	v_mov_b32_e32 v2, s10
	s_xor_b64 exec, exec, s[6:7]
	s_cbranch_execz .LBB48_1474
.LBB48_3524:
	v_mov_b32_e32 v2, 0
	v_cmp_ne_u16_sdwa s[8:9], v8, v2 src0_sel:BYTE_0 src1_sel:DWORD
	s_andn2_b64 s[4:5], s[4:5], exec
	s_and_b64 s[8:9], s[8:9], exec
	s_or_b64 s[4:5], s[4:5], s[8:9]
	s_or_b64 exec, exec, s[6:7]
	s_and_saveexec_b64 s[6:7], s[4:5]
	s_cbranch_execnz .LBB48_1475
	s_branch .LBB48_1476
.LBB48_3525:
	s_movk_i32 s4, 0x80
	v_cmp_eq_u16_sdwa s[12:13], v4, s4 src0_sel:BYTE_0 src1_sel:DWORD
	s_mov_b64 s[4:5], -1
                                        ; implicit-def: $sgpr10
	s_and_saveexec_b64 s[8:9], s[12:13]
; %bb.3526:
	s_mov_b32 s10, 0x7f800001
	s_xor_b64 s[4:5], exec, -1
; %bb.3527:
	s_or_b64 exec, exec, s[8:9]
	s_and_b64 s[4:5], s[4:5], exec
	s_or_saveexec_b64 s[6:7], s[6:7]
	v_mov_b32_e32 v3, s10
	s_xor_b64 exec, exec, s[6:7]
	s_cbranch_execz .LBB48_1478
.LBB48_3528:
	v_mov_b32_e32 v3, 0
	v_cmp_ne_u16_sdwa s[8:9], v4, v3 src0_sel:BYTE_0 src1_sel:DWORD
	s_andn2_b64 s[4:5], s[4:5], exec
	s_and_b64 s[8:9], s[8:9], exec
	s_or_b64 s[4:5], s[4:5], s[8:9]
	s_or_b64 exec, exec, s[6:7]
	s_and_saveexec_b64 s[6:7], s[4:5]
	s_cbranch_execnz .LBB48_1479
	s_branch .LBB48_1480
.LBB48_3529:
	s_movk_i32 s4, 0x80
	v_cmp_eq_u16_sdwa s[12:13], v3, s4 src0_sel:BYTE_0 src1_sel:DWORD
	s_mov_b64 s[4:5], -1
                                        ; implicit-def: $sgpr10
	s_and_saveexec_b64 s[8:9], s[12:13]
; %bb.3530:
	s_mov_b32 s10, 0x7f800001
	s_xor_b64 s[4:5], exec, -1
; %bb.3531:
	s_or_b64 exec, exec, s[8:9]
	s_and_b64 s[4:5], s[4:5], exec
	s_or_saveexec_b64 s[6:7], s[6:7]
	v_mov_b32_e32 v2, s10
	s_xor_b64 exec, exec, s[6:7]
	s_cbranch_execz .LBB48_1482
.LBB48_3532:
	v_mov_b32_e32 v2, 0
	v_cmp_ne_u16_sdwa s[8:9], v3, v2 src0_sel:BYTE_0 src1_sel:DWORD
	s_andn2_b64 s[4:5], s[4:5], exec
	s_and_b64 s[8:9], s[8:9], exec
	s_or_b64 s[4:5], s[4:5], s[8:9]
	s_or_b64 exec, exec, s[6:7]
	s_and_saveexec_b64 s[6:7], s[4:5]
	s_cbranch_execnz .LBB48_1483
	s_branch .LBB48_1484
.LBB48_3533:
	s_movk_i32 s4, 0x80
	v_cmp_eq_u16_sdwa s[12:13], v3, s4 src0_sel:BYTE_0 src1_sel:DWORD
	s_mov_b64 s[4:5], -1
                                        ; implicit-def: $sgpr10
	s_and_saveexec_b64 s[8:9], s[12:13]
; %bb.3534:
	s_mov_b32 s10, 0x7f800001
	s_xor_b64 s[4:5], exec, -1
; %bb.3535:
	s_or_b64 exec, exec, s[8:9]
	s_and_b64 s[4:5], s[4:5], exec
	s_or_saveexec_b64 s[6:7], s[6:7]
	v_mov_b32_e32 v6, s10
	s_xor_b64 exec, exec, s[6:7]
	s_cbranch_execz .LBB48_1486
.LBB48_3536:
	v_mov_b32_e32 v6, 0
	v_cmp_ne_u16_sdwa s[8:9], v3, v6 src0_sel:BYTE_0 src1_sel:DWORD
	s_andn2_b64 s[4:5], s[4:5], exec
	s_and_b64 s[8:9], s[8:9], exec
	s_or_b64 s[4:5], s[4:5], s[8:9]
	s_or_b64 exec, exec, s[6:7]
	s_and_saveexec_b64 s[6:7], s[4:5]
	s_cbranch_execnz .LBB48_1487
	s_branch .LBB48_1488
.LBB48_3537:
	s_movk_i32 s4, 0x80
	v_cmp_eq_u16_e32 vcc, s4, v3
	s_mov_b64 s[4:5], -1
                                        ; implicit-def: $sgpr10
	s_and_saveexec_b64 s[8:9], vcc
; %bb.3538:
	s_mov_b32 s10, 0x7f800001
	s_xor_b64 s[4:5], exec, -1
; %bb.3539:
	s_or_b64 exec, exec, s[8:9]
	s_and_b64 s[4:5], s[4:5], exec
                                        ; implicit-def: $vgpr3
	s_or_saveexec_b64 s[6:7], s[6:7]
	v_mov_b32_e32 v2, s10
	s_xor_b64 exec, exec, s[6:7]
	s_cbranch_execz .LBB48_1490
.LBB48_3540:
	v_cmp_ne_u16_e32 vcc, 0, v3
	s_andn2_b64 s[4:5], s[4:5], exec
	s_and_b64 s[8:9], vcc, exec
	v_mov_b32_e32 v2, 0
	s_or_b64 s[4:5], s[4:5], s[8:9]
	s_or_b64 exec, exec, s[6:7]
	s_and_saveexec_b64 s[6:7], s[4:5]
	s_cbranch_execnz .LBB48_1491
	s_branch .LBB48_1492
.LBB48_3541:
	s_movk_i32 s4, 0x80
	v_cmp_eq_u16_e32 vcc, s4, v3
	s_mov_b64 s[4:5], -1
                                        ; implicit-def: $sgpr10
	s_and_saveexec_b64 s[8:9], vcc
; %bb.3542:
	s_mov_b32 s10, 0x7f800001
	s_xor_b64 s[4:5], exec, -1
; %bb.3543:
	s_or_b64 exec, exec, s[8:9]
	s_and_b64 s[4:5], s[4:5], exec
                                        ; implicit-def: $vgpr3
	s_or_saveexec_b64 s[6:7], s[6:7]
	v_mov_b32_e32 v6, s10
	s_xor_b64 exec, exec, s[6:7]
	s_cbranch_execz .LBB48_1494
.LBB48_3544:
	v_cmp_ne_u16_e32 vcc, 0, v3
	s_andn2_b64 s[4:5], s[4:5], exec
	s_and_b64 s[8:9], vcc, exec
	v_mov_b32_e32 v6, 0
	s_or_b64 s[4:5], s[4:5], s[8:9]
	s_or_b64 exec, exec, s[6:7]
	s_and_saveexec_b64 s[6:7], s[4:5]
	s_cbranch_execnz .LBB48_1495
	s_branch .LBB48_1496
.LBB48_3545:
	s_movk_i32 s4, 0x80
	v_cmp_eq_u16_sdwa s[12:13], v8, s4 src0_sel:BYTE_3 src1_sel:DWORD
	s_mov_b64 s[4:5], -1
                                        ; implicit-def: $sgpr10
	s_and_saveexec_b64 s[8:9], s[12:13]
; %bb.3546:
	s_mov_b32 s10, 0x7f800001
	s_xor_b64 s[4:5], exec, -1
; %bb.3547:
	s_or_b64 exec, exec, s[8:9]
	s_and_b64 s[4:5], s[4:5], exec
	s_or_saveexec_b64 s[6:7], s[6:7]
	v_mov_b32_e32 v2, s10
	s_xor_b64 exec, exec, s[6:7]
	s_cbranch_execz .LBB48_1498
.LBB48_3548:
	v_mov_b32_e32 v2, 0
	v_cmp_ne_u16_sdwa s[8:9], v8, v2 src0_sel:BYTE_3 src1_sel:DWORD
	s_andn2_b64 s[4:5], s[4:5], exec
	s_and_b64 s[8:9], s[8:9], exec
	s_or_b64 s[4:5], s[4:5], s[8:9]
	s_or_b64 exec, exec, s[6:7]
	s_and_saveexec_b64 s[6:7], s[4:5]
	s_cbranch_execnz .LBB48_1499
	s_branch .LBB48_1500
.LBB48_3549:
	s_movk_i32 s4, 0x80
	v_cmp_eq_u16_sdwa s[12:13], v4, s4 src0_sel:BYTE_3 src1_sel:DWORD
	s_mov_b64 s[4:5], -1
                                        ; implicit-def: $sgpr10
	s_and_saveexec_b64 s[8:9], s[12:13]
; %bb.3550:
	s_mov_b32 s10, 0x7f800001
	s_xor_b64 s[4:5], exec, -1
; %bb.3551:
	s_or_b64 exec, exec, s[8:9]
	s_and_b64 s[4:5], s[4:5], exec
	s_or_saveexec_b64 s[6:7], s[6:7]
	v_mov_b32_e32 v3, s10
	s_xor_b64 exec, exec, s[6:7]
	s_cbranch_execz .LBB48_1502
.LBB48_3552:
	v_mov_b32_e32 v3, 0
	v_cmp_ne_u16_sdwa s[8:9], v4, v3 src0_sel:BYTE_3 src1_sel:DWORD
	s_andn2_b64 s[4:5], s[4:5], exec
	s_and_b64 s[8:9], s[8:9], exec
	s_or_b64 s[4:5], s[4:5], s[8:9]
	s_or_b64 exec, exec, s[6:7]
	s_and_saveexec_b64 s[6:7], s[4:5]
	s_cbranch_execnz .LBB48_1503
	s_branch .LBB48_1504
.LBB48_3553:
	s_movk_i32 s4, 0x80
	v_cmp_eq_u16_sdwa s[12:13], v9, s4 src0_sel:BYTE_0 src1_sel:DWORD
	s_mov_b64 s[4:5], -1
                                        ; implicit-def: $sgpr10
	s_and_saveexec_b64 s[8:9], s[12:13]
; %bb.3554:
	s_mov_b32 s10, 0x7f800001
	s_xor_b64 s[4:5], exec, -1
; %bb.3555:
	s_or_b64 exec, exec, s[8:9]
	s_and_b64 s[4:5], s[4:5], exec
	s_or_saveexec_b64 s[6:7], s[6:7]
	v_mov_b32_e32 v2, s10
	s_xor_b64 exec, exec, s[6:7]
	s_cbranch_execz .LBB48_1506
.LBB48_3556:
	v_mov_b32_e32 v2, 0
	v_cmp_ne_u16_sdwa s[8:9], v9, v2 src0_sel:BYTE_0 src1_sel:DWORD
	s_andn2_b64 s[4:5], s[4:5], exec
	s_and_b64 s[8:9], s[8:9], exec
	s_or_b64 s[4:5], s[4:5], s[8:9]
	s_or_b64 exec, exec, s[6:7]
	s_and_saveexec_b64 s[6:7], s[4:5]
	s_cbranch_execnz .LBB48_1507
	s_branch .LBB48_1508
.LBB48_3557:
	s_movk_i32 s4, 0x80
	v_cmp_eq_u16_sdwa s[12:13], v5, s4 src0_sel:BYTE_0 src1_sel:DWORD
	s_mov_b64 s[4:5], -1
                                        ; implicit-def: $sgpr10
	s_and_saveexec_b64 s[8:9], s[12:13]
; %bb.3558:
	s_mov_b32 s10, 0x7f800001
	s_xor_b64 s[4:5], exec, -1
; %bb.3559:
	s_or_b64 exec, exec, s[8:9]
	s_and_b64 s[4:5], s[4:5], exec
	s_or_saveexec_b64 s[6:7], s[6:7]
	v_mov_b32_e32 v3, s10
	s_xor_b64 exec, exec, s[6:7]
	s_cbranch_execz .LBB48_1510
.LBB48_3560:
	v_mov_b32_e32 v3, 0
	v_cmp_ne_u16_sdwa s[8:9], v5, v3 src0_sel:BYTE_0 src1_sel:DWORD
	s_andn2_b64 s[4:5], s[4:5], exec
	s_and_b64 s[8:9], s[8:9], exec
	s_or_b64 s[4:5], s[4:5], s[8:9]
	s_or_b64 exec, exec, s[6:7]
	s_and_saveexec_b64 s[6:7], s[4:5]
	s_cbranch_execnz .LBB48_1511
	s_branch .LBB48_1512
.LBB48_3561:
	s_movk_i32 s4, 0x80
	v_cmp_eq_u16_sdwa s[12:13], v3, s4 src0_sel:BYTE_0 src1_sel:DWORD
	s_mov_b64 s[4:5], -1
                                        ; implicit-def: $sgpr10
	s_and_saveexec_b64 s[8:9], s[12:13]
; %bb.3562:
	s_mov_b32 s10, 0x7f800001
	s_xor_b64 s[4:5], exec, -1
; %bb.3563:
	s_or_b64 exec, exec, s[8:9]
	s_and_b64 s[4:5], s[4:5], exec
	s_or_saveexec_b64 s[6:7], s[6:7]
	v_mov_b32_e32 v2, s10
	s_xor_b64 exec, exec, s[6:7]
	s_cbranch_execz .LBB48_1514
.LBB48_3564:
	v_mov_b32_e32 v2, 0
	v_cmp_ne_u16_sdwa s[8:9], v3, v2 src0_sel:BYTE_0 src1_sel:DWORD
	s_andn2_b64 s[4:5], s[4:5], exec
	s_and_b64 s[8:9], s[8:9], exec
	s_or_b64 s[4:5], s[4:5], s[8:9]
	s_or_b64 exec, exec, s[6:7]
	s_and_saveexec_b64 s[6:7], s[4:5]
	s_cbranch_execnz .LBB48_1515
	s_branch .LBB48_1516
.LBB48_3565:
	s_movk_i32 s4, 0x80
	v_cmp_eq_u16_sdwa s[12:13], v3, s4 src0_sel:BYTE_0 src1_sel:DWORD
	s_mov_b64 s[4:5], -1
                                        ; implicit-def: $sgpr10
	s_and_saveexec_b64 s[8:9], s[12:13]
; %bb.3566:
	s_mov_b32 s10, 0x7f800001
	s_xor_b64 s[4:5], exec, -1
; %bb.3567:
	s_or_b64 exec, exec, s[8:9]
	s_and_b64 s[4:5], s[4:5], exec
	s_or_saveexec_b64 s[6:7], s[6:7]
	v_mov_b32_e32 v4, s10
	s_xor_b64 exec, exec, s[6:7]
	s_cbranch_execz .LBB48_1518
.LBB48_3568:
	v_mov_b32_e32 v4, 0
	v_cmp_ne_u16_sdwa s[8:9], v3, v4 src0_sel:BYTE_0 src1_sel:DWORD
	s_andn2_b64 s[4:5], s[4:5], exec
	s_and_b64 s[8:9], s[8:9], exec
	s_or_b64 s[4:5], s[4:5], s[8:9]
	s_or_b64 exec, exec, s[6:7]
	s_and_saveexec_b64 s[6:7], s[4:5]
	s_cbranch_execnz .LBB48_1519
	s_branch .LBB48_1520
.LBB48_3569:
	s_movk_i32 s4, 0x80
	v_cmp_eq_u16_e32 vcc, s4, v3
	s_mov_b64 s[4:5], -1
                                        ; implicit-def: $sgpr10
	s_and_saveexec_b64 s[8:9], vcc
; %bb.3570:
	s_mov_b32 s10, 0x7f800001
	s_xor_b64 s[4:5], exec, -1
; %bb.3571:
	s_or_b64 exec, exec, s[8:9]
	s_and_b64 s[4:5], s[4:5], exec
                                        ; implicit-def: $vgpr3
	s_or_saveexec_b64 s[6:7], s[6:7]
	v_mov_b32_e32 v2, s10
	s_xor_b64 exec, exec, s[6:7]
	s_cbranch_execz .LBB48_1522
.LBB48_3572:
	v_cmp_ne_u16_e32 vcc, 0, v3
	s_andn2_b64 s[4:5], s[4:5], exec
	s_and_b64 s[8:9], vcc, exec
	v_mov_b32_e32 v2, 0
	s_or_b64 s[4:5], s[4:5], s[8:9]
	s_or_b64 exec, exec, s[6:7]
	s_and_saveexec_b64 s[6:7], s[4:5]
	s_cbranch_execnz .LBB48_1523
	s_branch .LBB48_1524
.LBB48_3573:
	s_movk_i32 s4, 0x80
	v_cmp_eq_u16_e32 vcc, s4, v3
	s_mov_b64 s[4:5], -1
                                        ; implicit-def: $sgpr10
	s_and_saveexec_b64 s[8:9], vcc
; %bb.3574:
	s_mov_b32 s10, 0x7f800001
	s_xor_b64 s[4:5], exec, -1
; %bb.3575:
	s_or_b64 exec, exec, s[8:9]
	s_and_b64 s[4:5], s[4:5], exec
                                        ; implicit-def: $vgpr3
	s_or_saveexec_b64 s[6:7], s[6:7]
	v_mov_b32_e32 v4, s10
	s_xor_b64 exec, exec, s[6:7]
	s_cbranch_execz .LBB48_1526
.LBB48_3576:
	v_cmp_ne_u16_e32 vcc, 0, v3
	s_andn2_b64 s[4:5], s[4:5], exec
	s_and_b64 s[8:9], vcc, exec
	v_mov_b32_e32 v4, 0
	s_or_b64 s[4:5], s[4:5], s[8:9]
	s_or_b64 exec, exec, s[6:7]
	s_and_saveexec_b64 s[6:7], s[4:5]
	s_cbranch_execnz .LBB48_1527
	s_branch .LBB48_1528
.LBB48_3577:
	s_movk_i32 s4, 0x80
	v_cmp_eq_u16_sdwa s[12:13], v9, s4 src0_sel:BYTE_3 src1_sel:DWORD
	s_mov_b64 s[4:5], -1
                                        ; implicit-def: $sgpr10
	s_and_saveexec_b64 s[8:9], s[12:13]
; %bb.3578:
	s_mov_b32 s10, 0x7f800001
	s_xor_b64 s[4:5], exec, -1
; %bb.3579:
	s_or_b64 exec, exec, s[8:9]
	s_and_b64 s[4:5], s[4:5], exec
	s_or_saveexec_b64 s[6:7], s[6:7]
	v_mov_b32_e32 v2, s10
	s_xor_b64 exec, exec, s[6:7]
	s_cbranch_execz .LBB48_1530
.LBB48_3580:
	v_mov_b32_e32 v2, 0
	v_cmp_ne_u16_sdwa s[8:9], v9, v2 src0_sel:BYTE_3 src1_sel:DWORD
	s_andn2_b64 s[4:5], s[4:5], exec
	s_and_b64 s[8:9], s[8:9], exec
	s_or_b64 s[4:5], s[4:5], s[8:9]
	s_or_b64 exec, exec, s[6:7]
	s_and_saveexec_b64 s[6:7], s[4:5]
	s_cbranch_execnz .LBB48_1531
	s_branch .LBB48_1532
.LBB48_3581:
	s_movk_i32 s4, 0x80
	v_cmp_eq_u16_sdwa s[12:13], v5, s4 src0_sel:BYTE_3 src1_sel:DWORD
	s_mov_b64 s[4:5], -1
                                        ; implicit-def: $sgpr10
	s_and_saveexec_b64 s[8:9], s[12:13]
; %bb.3582:
	s_mov_b32 s10, 0x7f800001
	s_xor_b64 s[4:5], exec, -1
; %bb.3583:
	s_or_b64 exec, exec, s[8:9]
	s_and_b64 s[4:5], s[4:5], exec
	s_or_saveexec_b64 s[6:7], s[6:7]
	v_mov_b32_e32 v3, s10
	s_xor_b64 exec, exec, s[6:7]
	s_cbranch_execz .LBB48_1534
.LBB48_3584:
	v_mov_b32_e32 v3, 0
	v_cmp_ne_u16_sdwa s[8:9], v5, v3 src0_sel:BYTE_3 src1_sel:DWORD
	s_andn2_b64 s[4:5], s[4:5], exec
	s_and_b64 s[8:9], s[8:9], exec
	s_or_b64 s[4:5], s[4:5], s[8:9]
	s_or_b64 exec, exec, s[6:7]
	s_and_saveexec_b64 s[6:7], s[4:5]
	s_cbranch_execnz .LBB48_1535
	s_branch .LBB48_1536
.LBB48_3585:
	s_movk_i32 s4, 0x80
	v_cmp_eq_u16_sdwa s[12:13], v14, s4 src0_sel:BYTE_0 src1_sel:DWORD
	s_mov_b64 s[4:5], -1
                                        ; implicit-def: $sgpr10
	s_and_saveexec_b64 s[8:9], s[12:13]
; %bb.3586:
	s_mov_b32 s10, 0x7f800001
	s_xor_b64 s[4:5], exec, -1
; %bb.3587:
	s_or_b64 exec, exec, s[8:9]
	s_and_b64 s[4:5], s[4:5], exec
	s_or_saveexec_b64 s[6:7], s[6:7]
	v_mov_b32_e32 v20, s10
	s_xor_b64 exec, exec, s[6:7]
	s_cbranch_execz .LBB48_1538
.LBB48_3588:
	v_mov_b32_e32 v20, 0
	v_cmp_ne_u16_sdwa s[8:9], v14, v20 src0_sel:BYTE_0 src1_sel:DWORD
	s_andn2_b64 s[4:5], s[4:5], exec
	s_and_b64 s[8:9], s[8:9], exec
	s_or_b64 s[4:5], s[4:5], s[8:9]
	s_or_b64 exec, exec, s[6:7]
	s_and_saveexec_b64 s[6:7], s[4:5]
	s_cbranch_execnz .LBB48_1539
	s_branch .LBB48_1540
.LBB48_3589:
	s_movk_i32 s4, 0x80
	v_cmp_eq_u16_sdwa s[12:13], v10, s4 src0_sel:BYTE_0 src1_sel:DWORD
	s_mov_b64 s[4:5], -1
                                        ; implicit-def: $sgpr10
	s_and_saveexec_b64 s[8:9], s[12:13]
; %bb.3590:
	s_mov_b32 s10, 0x7f800001
	s_xor_b64 s[4:5], exec, -1
; %bb.3591:
	s_or_b64 exec, exec, s[8:9]
	s_and_b64 s[4:5], s[4:5], exec
	s_or_saveexec_b64 s[6:7], s[6:7]
	v_mov_b32_e32 v21, s10
	s_xor_b64 exec, exec, s[6:7]
	s_cbranch_execz .LBB48_1542
.LBB48_3592:
	v_mov_b32_e32 v21, 0
	v_cmp_ne_u16_sdwa s[8:9], v10, v21 src0_sel:BYTE_0 src1_sel:DWORD
	s_andn2_b64 s[4:5], s[4:5], exec
	s_and_b64 s[8:9], s[8:9], exec
	s_or_b64 s[4:5], s[4:5], s[8:9]
	s_or_b64 exec, exec, s[6:7]
	s_and_saveexec_b64 s[6:7], s[4:5]
	s_cbranch_execnz .LBB48_1543
	s_branch .LBB48_1544
.LBB48_3593:
	s_movk_i32 s4, 0x80
	v_cmp_eq_u16_sdwa s[12:13], v21, s4 src0_sel:BYTE_0 src1_sel:DWORD
	s_mov_b64 s[4:5], -1
                                        ; implicit-def: $sgpr10
	s_and_saveexec_b64 s[8:9], s[12:13]
; %bb.3594:
	s_mov_b32 s10, 0x7f800001
	s_xor_b64 s[4:5], exec, -1
; %bb.3595:
	s_or_b64 exec, exec, s[8:9]
	s_and_b64 s[4:5], s[4:5], exec
	s_or_saveexec_b64 s[6:7], s[6:7]
	v_mov_b32_e32 v20, s10
	s_xor_b64 exec, exec, s[6:7]
	s_cbranch_execz .LBB48_1546
.LBB48_3596:
	v_mov_b32_e32 v20, 0
	v_cmp_ne_u16_sdwa s[8:9], v21, v20 src0_sel:BYTE_0 src1_sel:DWORD
	s_andn2_b64 s[4:5], s[4:5], exec
	s_and_b64 s[8:9], s[8:9], exec
	s_or_b64 s[4:5], s[4:5], s[8:9]
	s_or_b64 exec, exec, s[6:7]
	s_and_saveexec_b64 s[6:7], s[4:5]
	s_cbranch_execnz .LBB48_1547
	s_branch .LBB48_1548
.LBB48_3597:
	s_movk_i32 s4, 0x80
	v_cmp_eq_u16_sdwa s[12:13], v21, s4 src0_sel:BYTE_0 src1_sel:DWORD
	s_mov_b64 s[4:5], -1
                                        ; implicit-def: $sgpr10
	s_and_saveexec_b64 s[8:9], s[12:13]
; %bb.3598:
	s_mov_b32 s10, 0x7f800001
	s_xor_b64 s[4:5], exec, -1
; %bb.3599:
	s_or_b64 exec, exec, s[8:9]
	s_and_b64 s[4:5], s[4:5], exec
	s_or_saveexec_b64 s[6:7], s[6:7]
	v_mov_b32_e32 v22, s10
	s_xor_b64 exec, exec, s[6:7]
	s_cbranch_execz .LBB48_1550
.LBB48_3600:
	v_mov_b32_e32 v22, 0
	v_cmp_ne_u16_sdwa s[8:9], v21, v22 src0_sel:BYTE_0 src1_sel:DWORD
	s_andn2_b64 s[4:5], s[4:5], exec
	s_and_b64 s[8:9], s[8:9], exec
	s_or_b64 s[4:5], s[4:5], s[8:9]
	s_or_b64 exec, exec, s[6:7]
	s_and_saveexec_b64 s[6:7], s[4:5]
	s_cbranch_execnz .LBB48_1551
	s_branch .LBB48_1552
.LBB48_3601:
	s_movk_i32 s4, 0x80
	v_cmp_eq_u16_e32 vcc, s4, v21
	s_mov_b64 s[4:5], -1
                                        ; implicit-def: $sgpr10
	s_and_saveexec_b64 s[8:9], vcc
; %bb.3602:
	s_mov_b32 s10, 0x7f800001
	s_xor_b64 s[4:5], exec, -1
; %bb.3603:
	s_or_b64 exec, exec, s[8:9]
	s_and_b64 s[4:5], s[4:5], exec
                                        ; implicit-def: $vgpr21
	s_or_saveexec_b64 s[6:7], s[6:7]
	v_mov_b32_e32 v20, s10
	s_xor_b64 exec, exec, s[6:7]
	s_cbranch_execz .LBB48_1554
.LBB48_3604:
	v_cmp_ne_u16_e32 vcc, 0, v21
	s_andn2_b64 s[4:5], s[4:5], exec
	s_and_b64 s[8:9], vcc, exec
	v_mov_b32_e32 v20, 0
	s_or_b64 s[4:5], s[4:5], s[8:9]
	s_or_b64 exec, exec, s[6:7]
	s_and_saveexec_b64 s[6:7], s[4:5]
	s_cbranch_execnz .LBB48_1555
	s_branch .LBB48_1556
.LBB48_3605:
	s_movk_i32 s4, 0x80
	v_cmp_eq_u16_e32 vcc, s4, v21
	s_mov_b64 s[4:5], -1
                                        ; implicit-def: $sgpr10
	s_and_saveexec_b64 s[8:9], vcc
; %bb.3606:
	s_mov_b32 s10, 0x7f800001
	s_xor_b64 s[4:5], exec, -1
; %bb.3607:
	s_or_b64 exec, exec, s[8:9]
	s_and_b64 s[4:5], s[4:5], exec
                                        ; implicit-def: $vgpr21
	s_or_saveexec_b64 s[6:7], s[6:7]
	v_mov_b32_e32 v22, s10
	s_xor_b64 exec, exec, s[6:7]
	s_cbranch_execz .LBB48_1558
.LBB48_3608:
	v_cmp_ne_u16_e32 vcc, 0, v21
	s_andn2_b64 s[4:5], s[4:5], exec
	s_and_b64 s[8:9], vcc, exec
	v_mov_b32_e32 v22, 0
	s_or_b64 s[4:5], s[4:5], s[8:9]
	s_or_b64 exec, exec, s[6:7]
	s_and_saveexec_b64 s[6:7], s[4:5]
	s_cbranch_execnz .LBB48_1559
	s_branch .LBB48_1560
.LBB48_3609:
	s_movk_i32 s4, 0x80
	v_cmp_eq_u16_sdwa s[12:13], v14, s4 src0_sel:BYTE_3 src1_sel:DWORD
	s_mov_b64 s[4:5], -1
                                        ; implicit-def: $sgpr10
	s_and_saveexec_b64 s[8:9], s[12:13]
; %bb.3610:
	s_mov_b32 s10, 0x7f800001
	s_xor_b64 s[4:5], exec, -1
; %bb.3611:
	s_or_b64 exec, exec, s[8:9]
	s_and_b64 s[4:5], s[4:5], exec
	s_or_saveexec_b64 s[6:7], s[6:7]
	v_mov_b32_e32 v20, s10
	s_xor_b64 exec, exec, s[6:7]
	s_cbranch_execz .LBB48_1562
.LBB48_3612:
	v_mov_b32_e32 v20, 0
	v_cmp_ne_u16_sdwa s[8:9], v14, v20 src0_sel:BYTE_3 src1_sel:DWORD
	s_andn2_b64 s[4:5], s[4:5], exec
	s_and_b64 s[8:9], s[8:9], exec
	s_or_b64 s[4:5], s[4:5], s[8:9]
	s_or_b64 exec, exec, s[6:7]
	s_and_saveexec_b64 s[6:7], s[4:5]
	s_cbranch_execnz .LBB48_1563
	s_branch .LBB48_1564
.LBB48_3613:
	s_movk_i32 s4, 0x80
	v_cmp_eq_u16_sdwa s[12:13], v10, s4 src0_sel:BYTE_3 src1_sel:DWORD
	s_mov_b64 s[4:5], -1
                                        ; implicit-def: $sgpr10
	s_and_saveexec_b64 s[8:9], s[12:13]
; %bb.3614:
	s_mov_b32 s10, 0x7f800001
	s_xor_b64 s[4:5], exec, -1
; %bb.3615:
	s_or_b64 exec, exec, s[8:9]
	s_and_b64 s[4:5], s[4:5], exec
	s_or_saveexec_b64 s[6:7], s[6:7]
	v_mov_b32_e32 v14, s10
	s_xor_b64 exec, exec, s[6:7]
	s_cbranch_execz .LBB48_1566
.LBB48_3616:
	v_mov_b32_e32 v14, 0
	v_cmp_ne_u16_sdwa s[8:9], v10, v14 src0_sel:BYTE_3 src1_sel:DWORD
	s_andn2_b64 s[4:5], s[4:5], exec
	s_and_b64 s[8:9], s[8:9], exec
	s_or_b64 s[4:5], s[4:5], s[8:9]
	s_or_b64 exec, exec, s[6:7]
	s_and_saveexec_b64 s[6:7], s[4:5]
	s_cbranch_execnz .LBB48_1567
	s_branch .LBB48_1568
.LBB48_3617:
	s_movk_i32 s4, 0x80
	v_cmp_eq_u16_sdwa s[12:13], v15, s4 src0_sel:BYTE_0 src1_sel:DWORD
	s_mov_b64 s[4:5], -1
                                        ; implicit-def: $sgpr10
	s_and_saveexec_b64 s[8:9], s[12:13]
; %bb.3618:
	s_mov_b32 s10, 0x7f800001
	s_xor_b64 s[4:5], exec, -1
; %bb.3619:
	s_or_b64 exec, exec, s[8:9]
	s_and_b64 s[4:5], s[4:5], exec
	s_or_saveexec_b64 s[6:7], s[6:7]
	v_mov_b32_e32 v10, s10
	s_xor_b64 exec, exec, s[6:7]
	s_cbranch_execz .LBB48_1570
.LBB48_3620:
	v_mov_b32_e32 v10, 0
	v_cmp_ne_u16_sdwa s[8:9], v15, v10 src0_sel:BYTE_0 src1_sel:DWORD
	s_andn2_b64 s[4:5], s[4:5], exec
	s_and_b64 s[8:9], s[8:9], exec
	s_or_b64 s[4:5], s[4:5], s[8:9]
	s_or_b64 exec, exec, s[6:7]
	s_and_saveexec_b64 s[6:7], s[4:5]
	s_cbranch_execnz .LBB48_1571
	s_branch .LBB48_1572
.LBB48_3621:
	s_movk_i32 s4, 0x80
	v_cmp_eq_u16_sdwa s[12:13], v11, s4 src0_sel:BYTE_0 src1_sel:DWORD
	s_mov_b64 s[4:5], -1
                                        ; implicit-def: $sgpr10
	s_and_saveexec_b64 s[8:9], s[12:13]
; %bb.3622:
	s_mov_b32 s10, 0x7f800001
	s_xor_b64 s[4:5], exec, -1
; %bb.3623:
	s_or_b64 exec, exec, s[8:9]
	s_and_b64 s[4:5], s[4:5], exec
	s_or_saveexec_b64 s[6:7], s[6:7]
	v_mov_b32_e32 v14, s10
	s_xor_b64 exec, exec, s[6:7]
	s_cbranch_execz .LBB48_1574
.LBB48_3624:
	v_mov_b32_e32 v14, 0
	v_cmp_ne_u16_sdwa s[8:9], v11, v14 src0_sel:BYTE_0 src1_sel:DWORD
	s_andn2_b64 s[4:5], s[4:5], exec
	s_and_b64 s[8:9], s[8:9], exec
	s_or_b64 s[4:5], s[4:5], s[8:9]
	s_or_b64 exec, exec, s[6:7]
	s_and_saveexec_b64 s[6:7], s[4:5]
	s_cbranch_execnz .LBB48_1575
	s_branch .LBB48_1576
.LBB48_3625:
	s_movk_i32 s4, 0x80
	v_cmp_eq_u16_sdwa s[12:13], v14, s4 src0_sel:BYTE_0 src1_sel:DWORD
	s_mov_b64 s[4:5], -1
                                        ; implicit-def: $sgpr10
	s_and_saveexec_b64 s[8:9], s[12:13]
; %bb.3626:
	s_mov_b32 s10, 0x7f800001
	s_xor_b64 s[4:5], exec, -1
; %bb.3627:
	s_or_b64 exec, exec, s[8:9]
	s_and_b64 s[4:5], s[4:5], exec
	s_or_saveexec_b64 s[6:7], s[6:7]
	v_mov_b32_e32 v10, s10
	s_xor_b64 exec, exec, s[6:7]
	s_cbranch_execz .LBB48_1578
.LBB48_3628:
	v_mov_b32_e32 v10, 0
	v_cmp_ne_u16_sdwa s[8:9], v14, v10 src0_sel:BYTE_0 src1_sel:DWORD
	s_andn2_b64 s[4:5], s[4:5], exec
	s_and_b64 s[8:9], s[8:9], exec
	s_or_b64 s[4:5], s[4:5], s[8:9]
	s_or_b64 exec, exec, s[6:7]
	s_and_saveexec_b64 s[6:7], s[4:5]
	s_cbranch_execnz .LBB48_1579
	s_branch .LBB48_1580
.LBB48_3629:
	s_movk_i32 s4, 0x80
	v_cmp_eq_u16_sdwa s[12:13], v14, s4 src0_sel:BYTE_0 src1_sel:DWORD
	s_mov_b64 s[4:5], -1
                                        ; implicit-def: $sgpr10
	s_and_saveexec_b64 s[8:9], s[12:13]
; %bb.3630:
	s_mov_b32 s10, 0x7f800001
	s_xor_b64 s[4:5], exec, -1
; %bb.3631:
	s_or_b64 exec, exec, s[8:9]
	s_and_b64 s[4:5], s[4:5], exec
	s_or_saveexec_b64 s[6:7], s[6:7]
	v_mov_b32_e32 v20, s10
	s_xor_b64 exec, exec, s[6:7]
	s_cbranch_execz .LBB48_1582
.LBB48_3632:
	v_mov_b32_e32 v20, 0
	v_cmp_ne_u16_sdwa s[8:9], v14, v20 src0_sel:BYTE_0 src1_sel:DWORD
	s_andn2_b64 s[4:5], s[4:5], exec
	s_and_b64 s[8:9], s[8:9], exec
	s_or_b64 s[4:5], s[4:5], s[8:9]
	s_or_b64 exec, exec, s[6:7]
	s_and_saveexec_b64 s[6:7], s[4:5]
	s_cbranch_execnz .LBB48_1583
	s_branch .LBB48_1584
.LBB48_3633:
	s_movk_i32 s4, 0x80
	v_cmp_eq_u16_e32 vcc, s4, v14
	s_mov_b64 s[4:5], -1
                                        ; implicit-def: $sgpr10
	s_and_saveexec_b64 s[8:9], vcc
; %bb.3634:
	s_mov_b32 s10, 0x7f800001
	s_xor_b64 s[4:5], exec, -1
; %bb.3635:
	s_or_b64 exec, exec, s[8:9]
	s_and_b64 s[4:5], s[4:5], exec
                                        ; implicit-def: $vgpr14
	s_or_saveexec_b64 s[6:7], s[6:7]
	v_mov_b32_e32 v10, s10
	s_xor_b64 exec, exec, s[6:7]
	s_cbranch_execz .LBB48_1586
.LBB48_3636:
	v_cmp_ne_u16_e32 vcc, 0, v14
	s_andn2_b64 s[4:5], s[4:5], exec
	s_and_b64 s[8:9], vcc, exec
	v_mov_b32_e32 v10, 0
	s_or_b64 s[4:5], s[4:5], s[8:9]
	s_or_b64 exec, exec, s[6:7]
	s_and_saveexec_b64 s[6:7], s[4:5]
	s_cbranch_execnz .LBB48_1587
	s_branch .LBB48_1588
.LBB48_3637:
	s_movk_i32 s4, 0x80
	v_cmp_eq_u16_e32 vcc, s4, v14
	s_mov_b64 s[4:5], -1
                                        ; implicit-def: $sgpr10
	s_and_saveexec_b64 s[8:9], vcc
; %bb.3638:
	s_mov_b32 s10, 0x7f800001
	s_xor_b64 s[4:5], exec, -1
; %bb.3639:
	s_or_b64 exec, exec, s[8:9]
	s_and_b64 s[4:5], s[4:5], exec
                                        ; implicit-def: $vgpr14
	s_or_saveexec_b64 s[6:7], s[6:7]
	v_mov_b32_e32 v20, s10
	s_xor_b64 exec, exec, s[6:7]
	s_cbranch_execz .LBB48_1590
.LBB48_3640:
	v_cmp_ne_u16_e32 vcc, 0, v14
	s_andn2_b64 s[4:5], s[4:5], exec
	s_and_b64 s[8:9], vcc, exec
	v_mov_b32_e32 v20, 0
	s_or_b64 s[4:5], s[4:5], s[8:9]
	s_or_b64 exec, exec, s[6:7]
	s_and_saveexec_b64 s[6:7], s[4:5]
	s_cbranch_execnz .LBB48_1591
	s_branch .LBB48_1592
.LBB48_3641:
	s_movk_i32 s4, 0x80
	v_cmp_eq_u16_sdwa s[12:13], v15, s4 src0_sel:BYTE_3 src1_sel:DWORD
	s_mov_b64 s[4:5], -1
                                        ; implicit-def: $sgpr10
	s_and_saveexec_b64 s[8:9], s[12:13]
; %bb.3642:
	s_mov_b32 s10, 0x7f800001
	s_xor_b64 s[4:5], exec, -1
; %bb.3643:
	s_or_b64 exec, exec, s[8:9]
	s_and_b64 s[4:5], s[4:5], exec
	s_or_saveexec_b64 s[6:7], s[6:7]
	v_mov_b32_e32 v10, s10
	s_xor_b64 exec, exec, s[6:7]
	s_cbranch_execz .LBB48_1594
.LBB48_3644:
	v_mov_b32_e32 v10, 0
	v_cmp_ne_u16_sdwa s[8:9], v15, v10 src0_sel:BYTE_3 src1_sel:DWORD
	s_andn2_b64 s[4:5], s[4:5], exec
	s_and_b64 s[8:9], s[8:9], exec
	s_or_b64 s[4:5], s[4:5], s[8:9]
	s_or_b64 exec, exec, s[6:7]
	s_and_saveexec_b64 s[6:7], s[4:5]
	s_cbranch_execnz .LBB48_1595
	s_branch .LBB48_1596
.LBB48_3645:
	s_movk_i32 s4, 0x80
	v_cmp_eq_u16_sdwa s[12:13], v11, s4 src0_sel:BYTE_3 src1_sel:DWORD
	s_mov_b64 s[4:5], -1
                                        ; implicit-def: $sgpr10
	s_and_saveexec_b64 s[8:9], s[12:13]
; %bb.3646:
	s_mov_b32 s10, 0x7f800001
	s_xor_b64 s[4:5], exec, -1
; %bb.3647:
	s_or_b64 exec, exec, s[8:9]
	s_and_b64 s[4:5], s[4:5], exec
	s_or_saveexec_b64 s[6:7], s[6:7]
	v_mov_b32_e32 v14, s10
	s_xor_b64 exec, exec, s[6:7]
	s_cbranch_execz .LBB48_1598
.LBB48_3648:
	v_mov_b32_e32 v14, 0
	v_cmp_ne_u16_sdwa s[8:9], v11, v14 src0_sel:BYTE_3 src1_sel:DWORD
	s_andn2_b64 s[4:5], s[4:5], exec
	s_and_b64 s[8:9], s[8:9], exec
	s_or_b64 s[4:5], s[4:5], s[8:9]
	s_or_b64 exec, exec, s[6:7]
	s_and_saveexec_b64 s[6:7], s[4:5]
	s_cbranch_execnz .LBB48_1599
	s_branch .LBB48_1600
.LBB48_3649:
	s_movk_i32 s4, 0x80
	v_cmp_eq_u16_sdwa s[12:13], v16, s4 src0_sel:BYTE_0 src1_sel:DWORD
	s_mov_b64 s[4:5], -1
                                        ; implicit-def: $sgpr10
	s_and_saveexec_b64 s[8:9], s[12:13]
; %bb.3650:
	s_mov_b32 s10, 0x7f800001
	s_xor_b64 s[4:5], exec, -1
; %bb.3651:
	s_or_b64 exec, exec, s[8:9]
	s_and_b64 s[4:5], s[4:5], exec
	s_or_saveexec_b64 s[6:7], s[6:7]
	v_mov_b32_e32 v10, s10
	s_xor_b64 exec, exec, s[6:7]
	s_cbranch_execz .LBB48_1602
.LBB48_3652:
	v_mov_b32_e32 v10, 0
	v_cmp_ne_u16_sdwa s[8:9], v16, v10 src0_sel:BYTE_0 src1_sel:DWORD
	s_andn2_b64 s[4:5], s[4:5], exec
	s_and_b64 s[8:9], s[8:9], exec
	s_or_b64 s[4:5], s[4:5], s[8:9]
	s_or_b64 exec, exec, s[6:7]
	s_and_saveexec_b64 s[6:7], s[4:5]
	s_cbranch_execnz .LBB48_1603
	s_branch .LBB48_1604
.LBB48_3653:
	s_movk_i32 s4, 0x80
	v_cmp_eq_u16_sdwa s[12:13], v12, s4 src0_sel:BYTE_0 src1_sel:DWORD
	s_mov_b64 s[4:5], -1
                                        ; implicit-def: $sgpr10
	s_and_saveexec_b64 s[8:9], s[12:13]
; %bb.3654:
	s_mov_b32 s10, 0x7f800001
	s_xor_b64 s[4:5], exec, -1
; %bb.3655:
	s_or_b64 exec, exec, s[8:9]
	s_and_b64 s[4:5], s[4:5], exec
	s_or_saveexec_b64 s[6:7], s[6:7]
	v_mov_b32_e32 v11, s10
	s_xor_b64 exec, exec, s[6:7]
	s_cbranch_execz .LBB48_1606
.LBB48_3656:
	v_mov_b32_e32 v11, 0
	v_cmp_ne_u16_sdwa s[8:9], v12, v11 src0_sel:BYTE_0 src1_sel:DWORD
	s_andn2_b64 s[4:5], s[4:5], exec
	s_and_b64 s[8:9], s[8:9], exec
	s_or_b64 s[4:5], s[4:5], s[8:9]
	s_or_b64 exec, exec, s[6:7]
	s_and_saveexec_b64 s[6:7], s[4:5]
	s_cbranch_execnz .LBB48_1607
	s_branch .LBB48_1608
.LBB48_3657:
	s_movk_i32 s4, 0x80
	v_cmp_eq_u16_sdwa s[12:13], v11, s4 src0_sel:BYTE_0 src1_sel:DWORD
	s_mov_b64 s[4:5], -1
                                        ; implicit-def: $sgpr10
	s_and_saveexec_b64 s[8:9], s[12:13]
; %bb.3658:
	s_mov_b32 s10, 0x7f800001
	s_xor_b64 s[4:5], exec, -1
; %bb.3659:
	s_or_b64 exec, exec, s[8:9]
	s_and_b64 s[4:5], s[4:5], exec
	s_or_saveexec_b64 s[6:7], s[6:7]
	v_mov_b32_e32 v10, s10
	s_xor_b64 exec, exec, s[6:7]
	s_cbranch_execz .LBB48_1610
.LBB48_3660:
	v_mov_b32_e32 v10, 0
	v_cmp_ne_u16_sdwa s[8:9], v11, v10 src0_sel:BYTE_0 src1_sel:DWORD
	s_andn2_b64 s[4:5], s[4:5], exec
	s_and_b64 s[8:9], s[8:9], exec
	s_or_b64 s[4:5], s[4:5], s[8:9]
	s_or_b64 exec, exec, s[6:7]
	s_and_saveexec_b64 s[6:7], s[4:5]
	s_cbranch_execnz .LBB48_1611
	s_branch .LBB48_1612
.LBB48_3661:
	s_movk_i32 s4, 0x80
	v_cmp_eq_u16_sdwa s[12:13], v11, s4 src0_sel:BYTE_0 src1_sel:DWORD
	s_mov_b64 s[4:5], -1
                                        ; implicit-def: $sgpr10
	s_and_saveexec_b64 s[8:9], s[12:13]
; %bb.3662:
	s_mov_b32 s10, 0x7f800001
	s_xor_b64 s[4:5], exec, -1
; %bb.3663:
	s_or_b64 exec, exec, s[8:9]
	s_and_b64 s[4:5], s[4:5], exec
	s_or_saveexec_b64 s[6:7], s[6:7]
	v_mov_b32_e32 v14, s10
	s_xor_b64 exec, exec, s[6:7]
	s_cbranch_execz .LBB48_1614
.LBB48_3664:
	v_mov_b32_e32 v14, 0
	v_cmp_ne_u16_sdwa s[8:9], v11, v14 src0_sel:BYTE_0 src1_sel:DWORD
	s_andn2_b64 s[4:5], s[4:5], exec
	s_and_b64 s[8:9], s[8:9], exec
	s_or_b64 s[4:5], s[4:5], s[8:9]
	s_or_b64 exec, exec, s[6:7]
	s_and_saveexec_b64 s[6:7], s[4:5]
	s_cbranch_execnz .LBB48_1615
	s_branch .LBB48_1616
.LBB48_3665:
	s_movk_i32 s4, 0x80
	v_cmp_eq_u16_e32 vcc, s4, v11
	s_mov_b64 s[4:5], -1
                                        ; implicit-def: $sgpr10
	s_and_saveexec_b64 s[8:9], vcc
; %bb.3666:
	s_mov_b32 s10, 0x7f800001
	s_xor_b64 s[4:5], exec, -1
; %bb.3667:
	s_or_b64 exec, exec, s[8:9]
	s_and_b64 s[4:5], s[4:5], exec
                                        ; implicit-def: $vgpr11
	s_or_saveexec_b64 s[6:7], s[6:7]
	v_mov_b32_e32 v10, s10
	s_xor_b64 exec, exec, s[6:7]
	s_cbranch_execz .LBB48_1618
.LBB48_3668:
	v_cmp_ne_u16_e32 vcc, 0, v11
	s_andn2_b64 s[4:5], s[4:5], exec
	s_and_b64 s[8:9], vcc, exec
	v_mov_b32_e32 v10, 0
	s_or_b64 s[4:5], s[4:5], s[8:9]
	s_or_b64 exec, exec, s[6:7]
	s_and_saveexec_b64 s[6:7], s[4:5]
	s_cbranch_execnz .LBB48_1619
	s_branch .LBB48_1620
.LBB48_3669:
	s_movk_i32 s4, 0x80
	v_cmp_eq_u16_e32 vcc, s4, v11
	s_mov_b64 s[4:5], -1
                                        ; implicit-def: $sgpr10
	s_and_saveexec_b64 s[8:9], vcc
; %bb.3670:
	s_mov_b32 s10, 0x7f800001
	s_xor_b64 s[4:5], exec, -1
; %bb.3671:
	s_or_b64 exec, exec, s[8:9]
	s_and_b64 s[4:5], s[4:5], exec
                                        ; implicit-def: $vgpr11
	s_or_saveexec_b64 s[6:7], s[6:7]
	v_mov_b32_e32 v14, s10
	s_xor_b64 exec, exec, s[6:7]
	s_cbranch_execz .LBB48_1622
.LBB48_3672:
	v_cmp_ne_u16_e32 vcc, 0, v11
	s_andn2_b64 s[4:5], s[4:5], exec
	s_and_b64 s[8:9], vcc, exec
	v_mov_b32_e32 v14, 0
	s_or_b64 s[4:5], s[4:5], s[8:9]
	s_or_b64 exec, exec, s[6:7]
	s_and_saveexec_b64 s[6:7], s[4:5]
	s_cbranch_execnz .LBB48_1623
	s_branch .LBB48_1624
.LBB48_3673:
	s_movk_i32 s4, 0x80
	v_cmp_eq_u16_sdwa s[12:13], v16, s4 src0_sel:BYTE_3 src1_sel:DWORD
	s_mov_b64 s[4:5], -1
                                        ; implicit-def: $sgpr10
	s_and_saveexec_b64 s[8:9], s[12:13]
; %bb.3674:
	s_mov_b32 s10, 0x7f800001
	s_xor_b64 s[4:5], exec, -1
; %bb.3675:
	s_or_b64 exec, exec, s[8:9]
	s_and_b64 s[4:5], s[4:5], exec
	s_or_saveexec_b64 s[6:7], s[6:7]
	v_mov_b32_e32 v10, s10
	s_xor_b64 exec, exec, s[6:7]
	s_cbranch_execz .LBB48_1626
.LBB48_3676:
	v_mov_b32_e32 v10, 0
	v_cmp_ne_u16_sdwa s[8:9], v16, v10 src0_sel:BYTE_3 src1_sel:DWORD
	s_andn2_b64 s[4:5], s[4:5], exec
	s_and_b64 s[8:9], s[8:9], exec
	s_or_b64 s[4:5], s[4:5], s[8:9]
	s_or_b64 exec, exec, s[6:7]
	s_and_saveexec_b64 s[6:7], s[4:5]
	s_cbranch_execnz .LBB48_1627
	s_branch .LBB48_1628
.LBB48_3677:
	s_movk_i32 s4, 0x80
	v_cmp_eq_u16_sdwa s[12:13], v12, s4 src0_sel:BYTE_3 src1_sel:DWORD
	s_mov_b64 s[4:5], -1
                                        ; implicit-def: $sgpr10
	s_and_saveexec_b64 s[8:9], s[12:13]
; %bb.3678:
	s_mov_b32 s10, 0x7f800001
	s_xor_b64 s[4:5], exec, -1
; %bb.3679:
	s_or_b64 exec, exec, s[8:9]
	s_and_b64 s[4:5], s[4:5], exec
	s_or_saveexec_b64 s[6:7], s[6:7]
	v_mov_b32_e32 v11, s10
	s_xor_b64 exec, exec, s[6:7]
	s_cbranch_execz .LBB48_1630
.LBB48_3680:
	v_mov_b32_e32 v11, 0
	v_cmp_ne_u16_sdwa s[8:9], v12, v11 src0_sel:BYTE_3 src1_sel:DWORD
	s_andn2_b64 s[4:5], s[4:5], exec
	s_and_b64 s[8:9], s[8:9], exec
	s_or_b64 s[4:5], s[4:5], s[8:9]
	s_or_b64 exec, exec, s[6:7]
	s_and_saveexec_b64 s[6:7], s[4:5]
	s_cbranch_execnz .LBB48_1631
	s_branch .LBB48_1632
.LBB48_3681:
	s_movk_i32 s4, 0x80
	v_cmp_eq_u16_sdwa s[12:13], v17, s4 src0_sel:BYTE_0 src1_sel:DWORD
	s_mov_b64 s[4:5], -1
                                        ; implicit-def: $sgpr10
	s_and_saveexec_b64 s[8:9], s[12:13]
; %bb.3682:
	s_mov_b32 s10, 0x7f800001
	s_xor_b64 s[4:5], exec, -1
; %bb.3683:
	s_or_b64 exec, exec, s[8:9]
	s_and_b64 s[4:5], s[4:5], exec
	s_or_saveexec_b64 s[6:7], s[6:7]
	v_mov_b32_e32 v10, s10
	s_xor_b64 exec, exec, s[6:7]
	s_cbranch_execz .LBB48_1634
.LBB48_3684:
	v_mov_b32_e32 v10, 0
	v_cmp_ne_u16_sdwa s[8:9], v17, v10 src0_sel:BYTE_0 src1_sel:DWORD
	s_andn2_b64 s[4:5], s[4:5], exec
	s_and_b64 s[8:9], s[8:9], exec
	s_or_b64 s[4:5], s[4:5], s[8:9]
	s_or_b64 exec, exec, s[6:7]
	s_and_saveexec_b64 s[6:7], s[4:5]
	s_cbranch_execnz .LBB48_1635
	s_branch .LBB48_1636
.LBB48_3685:
	s_movk_i32 s4, 0x80
	v_cmp_eq_u16_sdwa s[12:13], v13, s4 src0_sel:BYTE_0 src1_sel:DWORD
	s_mov_b64 s[4:5], -1
                                        ; implicit-def: $sgpr10
	s_and_saveexec_b64 s[8:9], s[12:13]
; %bb.3686:
	s_mov_b32 s10, 0x7f800001
	s_xor_b64 s[4:5], exec, -1
; %bb.3687:
	s_or_b64 exec, exec, s[8:9]
	s_and_b64 s[4:5], s[4:5], exec
	s_or_saveexec_b64 s[6:7], s[6:7]
	v_mov_b32_e32 v11, s10
	s_xor_b64 exec, exec, s[6:7]
	s_cbranch_execz .LBB48_1638
.LBB48_3688:
	v_mov_b32_e32 v11, 0
	v_cmp_ne_u16_sdwa s[8:9], v13, v11 src0_sel:BYTE_0 src1_sel:DWORD
	s_andn2_b64 s[4:5], s[4:5], exec
	s_and_b64 s[8:9], s[8:9], exec
	s_or_b64 s[4:5], s[4:5], s[8:9]
	s_or_b64 exec, exec, s[6:7]
	s_and_saveexec_b64 s[6:7], s[4:5]
	s_cbranch_execnz .LBB48_1639
	s_branch .LBB48_1640
.LBB48_3689:
	s_movk_i32 s4, 0x80
	v_cmp_eq_u16_sdwa s[12:13], v11, s4 src0_sel:BYTE_0 src1_sel:DWORD
	s_mov_b64 s[4:5], -1
                                        ; implicit-def: $sgpr10
	s_and_saveexec_b64 s[8:9], s[12:13]
; %bb.3690:
	s_mov_b32 s10, 0x7f800001
	s_xor_b64 s[4:5], exec, -1
; %bb.3691:
	s_or_b64 exec, exec, s[8:9]
	s_and_b64 s[4:5], s[4:5], exec
	s_or_saveexec_b64 s[6:7], s[6:7]
	v_mov_b32_e32 v10, s10
	s_xor_b64 exec, exec, s[6:7]
	s_cbranch_execz .LBB48_1642
.LBB48_3692:
	v_mov_b32_e32 v10, 0
	v_cmp_ne_u16_sdwa s[8:9], v11, v10 src0_sel:BYTE_0 src1_sel:DWORD
	s_andn2_b64 s[4:5], s[4:5], exec
	s_and_b64 s[8:9], s[8:9], exec
	s_or_b64 s[4:5], s[4:5], s[8:9]
	s_or_b64 exec, exec, s[6:7]
	s_and_saveexec_b64 s[6:7], s[4:5]
	s_cbranch_execnz .LBB48_1643
	s_branch .LBB48_1644
.LBB48_3693:
	s_movk_i32 s4, 0x80
	v_cmp_eq_u16_sdwa s[12:13], v11, s4 src0_sel:BYTE_0 src1_sel:DWORD
	s_mov_b64 s[4:5], -1
                                        ; implicit-def: $sgpr10
	s_and_saveexec_b64 s[8:9], s[12:13]
; %bb.3694:
	s_mov_b32 s10, 0x7f800001
	s_xor_b64 s[4:5], exec, -1
; %bb.3695:
	s_or_b64 exec, exec, s[8:9]
	s_and_b64 s[4:5], s[4:5], exec
	s_or_saveexec_b64 s[6:7], s[6:7]
	v_mov_b32_e32 v12, s10
	s_xor_b64 exec, exec, s[6:7]
	s_cbranch_execz .LBB48_1646
.LBB48_3696:
	v_mov_b32_e32 v12, 0
	v_cmp_ne_u16_sdwa s[8:9], v11, v12 src0_sel:BYTE_0 src1_sel:DWORD
	s_andn2_b64 s[4:5], s[4:5], exec
	s_and_b64 s[8:9], s[8:9], exec
	s_or_b64 s[4:5], s[4:5], s[8:9]
	s_or_b64 exec, exec, s[6:7]
	s_and_saveexec_b64 s[6:7], s[4:5]
	s_cbranch_execnz .LBB48_1647
	s_branch .LBB48_1648
.LBB48_3697:
	s_movk_i32 s4, 0x80
	v_cmp_eq_u16_e32 vcc, s4, v11
	s_mov_b64 s[4:5], -1
                                        ; implicit-def: $sgpr10
	s_and_saveexec_b64 s[8:9], vcc
; %bb.3698:
	s_mov_b32 s10, 0x7f800001
	s_xor_b64 s[4:5], exec, -1
; %bb.3699:
	s_or_b64 exec, exec, s[8:9]
	s_and_b64 s[4:5], s[4:5], exec
                                        ; implicit-def: $vgpr11
	s_or_saveexec_b64 s[6:7], s[6:7]
	v_mov_b32_e32 v10, s10
	s_xor_b64 exec, exec, s[6:7]
	s_cbranch_execz .LBB48_1650
.LBB48_3700:
	v_cmp_ne_u16_e32 vcc, 0, v11
	s_andn2_b64 s[4:5], s[4:5], exec
	s_and_b64 s[8:9], vcc, exec
	v_mov_b32_e32 v10, 0
	s_or_b64 s[4:5], s[4:5], s[8:9]
	s_or_b64 exec, exec, s[6:7]
	s_and_saveexec_b64 s[6:7], s[4:5]
	s_cbranch_execnz .LBB48_1651
	s_branch .LBB48_1652
.LBB48_3701:
	s_movk_i32 s4, 0x80
	v_cmp_eq_u16_e32 vcc, s4, v11
	s_mov_b64 s[4:5], -1
                                        ; implicit-def: $sgpr10
	s_and_saveexec_b64 s[8:9], vcc
; %bb.3702:
	s_mov_b32 s10, 0x7f800001
	s_xor_b64 s[4:5], exec, -1
; %bb.3703:
	s_or_b64 exec, exec, s[8:9]
	s_and_b64 s[4:5], s[4:5], exec
                                        ; implicit-def: $vgpr11
	s_or_saveexec_b64 s[6:7], s[6:7]
	v_mov_b32_e32 v12, s10
	s_xor_b64 exec, exec, s[6:7]
	s_cbranch_execz .LBB48_1654
.LBB48_3704:
	v_cmp_ne_u16_e32 vcc, 0, v11
	s_andn2_b64 s[4:5], s[4:5], exec
	s_and_b64 s[8:9], vcc, exec
	v_mov_b32_e32 v12, 0
	s_or_b64 s[4:5], s[4:5], s[8:9]
	s_or_b64 exec, exec, s[6:7]
	s_and_saveexec_b64 s[6:7], s[4:5]
	s_cbranch_execnz .LBB48_1655
	s_branch .LBB48_1656
.LBB48_3705:
	s_movk_i32 s4, 0x80
	v_cmp_eq_u16_sdwa s[12:13], v17, s4 src0_sel:BYTE_3 src1_sel:DWORD
	s_mov_b64 s[4:5], -1
                                        ; implicit-def: $sgpr10
	s_and_saveexec_b64 s[8:9], s[12:13]
; %bb.3706:
	s_mov_b32 s10, 0x7f800001
	s_xor_b64 s[4:5], exec, -1
; %bb.3707:
	s_or_b64 exec, exec, s[8:9]
	s_and_b64 s[4:5], s[4:5], exec
	s_or_saveexec_b64 s[6:7], s[6:7]
	v_mov_b32_e32 v10, s10
	s_xor_b64 exec, exec, s[6:7]
	s_cbranch_execz .LBB48_1658
.LBB48_3708:
	v_mov_b32_e32 v10, 0
	v_cmp_ne_u16_sdwa s[8:9], v17, v10 src0_sel:BYTE_3 src1_sel:DWORD
	s_andn2_b64 s[4:5], s[4:5], exec
	s_and_b64 s[8:9], s[8:9], exec
	s_or_b64 s[4:5], s[4:5], s[8:9]
	s_or_b64 exec, exec, s[6:7]
	s_and_saveexec_b64 s[6:7], s[4:5]
	s_cbranch_execnz .LBB48_1659
	s_branch .LBB48_1660
.LBB48_3709:
	s_movk_i32 s4, 0x80
	v_cmp_eq_u16_sdwa s[12:13], v13, s4 src0_sel:BYTE_3 src1_sel:DWORD
	s_mov_b64 s[4:5], -1
                                        ; implicit-def: $sgpr10
	s_and_saveexec_b64 s[8:9], s[12:13]
; %bb.3710:
	s_mov_b32 s10, 0x7f800001
	s_xor_b64 s[4:5], exec, -1
; %bb.3711:
	s_or_b64 exec, exec, s[8:9]
	s_and_b64 s[4:5], s[4:5], exec
	s_or_saveexec_b64 s[6:7], s[6:7]
	v_mov_b32_e32 v11, s10
	s_xor_b64 exec, exec, s[6:7]
	s_cbranch_execz .LBB48_1662
.LBB48_3712:
	v_mov_b32_e32 v11, 0
	v_cmp_ne_u16_sdwa s[8:9], v13, v11 src0_sel:BYTE_3 src1_sel:DWORD
	s_andn2_b64 s[4:5], s[4:5], exec
	s_and_b64 s[8:9], s[8:9], exec
	s_or_b64 s[4:5], s[4:5], s[8:9]
	s_or_b64 exec, exec, s[6:7]
	s_and_saveexec_b64 s[6:7], s[4:5]
	s_cbranch_execnz .LBB48_1663
	s_branch .LBB48_1664
.LBB48_3713:
	s_movk_i32 s4, 0x80
	v_cmp_eq_u16_sdwa s[12:13], v6, s4 src0_sel:BYTE_0 src1_sel:DWORD
	s_mov_b64 s[4:5], -1
                                        ; implicit-def: $sgpr10
	s_and_saveexec_b64 s[8:9], s[12:13]
; %bb.3714:
	s_mov_b32 s10, 0x7f800001
	s_xor_b64 s[4:5], exec, -1
; %bb.3715:
	s_or_b64 exec, exec, s[8:9]
	s_and_b64 s[4:5], s[4:5], exec
	s_or_saveexec_b64 s[6:7], s[6:7]
	v_mov_b32_e32 v10, s10
	s_xor_b64 exec, exec, s[6:7]
	s_cbranch_execz .LBB48_1666
.LBB48_3716:
	v_mov_b32_e32 v10, 0
	v_cmp_ne_u16_sdwa s[8:9], v6, v10 src0_sel:BYTE_0 src1_sel:DWORD
	s_andn2_b64 s[4:5], s[4:5], exec
	s_and_b64 s[8:9], s[8:9], exec
	s_or_b64 s[4:5], s[4:5], s[8:9]
	s_or_b64 exec, exec, s[6:7]
	s_and_saveexec_b64 s[6:7], s[4:5]
	s_cbranch_execnz .LBB48_1667
	s_branch .LBB48_1668
.LBB48_3717:
	s_movk_i32 s4, 0x80
	v_cmp_eq_u16_sdwa s[12:13], v2, s4 src0_sel:BYTE_0 src1_sel:DWORD
	s_mov_b64 s[4:5], -1
                                        ; implicit-def: $sgpr10
	s_and_saveexec_b64 s[8:9], s[12:13]
; %bb.3718:
	s_mov_b32 s10, 0x7f800001
	s_xor_b64 s[4:5], exec, -1
; %bb.3719:
	s_or_b64 exec, exec, s[8:9]
	s_and_b64 s[4:5], s[4:5], exec
	s_or_saveexec_b64 s[6:7], s[6:7]
	v_mov_b32_e32 v11, s10
	s_xor_b64 exec, exec, s[6:7]
	s_cbranch_execz .LBB48_1670
.LBB48_3720:
	v_mov_b32_e32 v11, 0
	v_cmp_ne_u16_sdwa s[8:9], v2, v11 src0_sel:BYTE_0 src1_sel:DWORD
	s_andn2_b64 s[4:5], s[4:5], exec
	s_and_b64 s[8:9], s[8:9], exec
	s_or_b64 s[4:5], s[4:5], s[8:9]
	s_or_b64 exec, exec, s[6:7]
	s_and_saveexec_b64 s[6:7], s[4:5]
	s_cbranch_execnz .LBB48_1671
	s_branch .LBB48_1672
.LBB48_3721:
	s_movk_i32 s4, 0x80
	v_cmp_eq_u16_sdwa s[12:13], v11, s4 src0_sel:BYTE_0 src1_sel:DWORD
	s_mov_b64 s[4:5], -1
                                        ; implicit-def: $sgpr10
	s_and_saveexec_b64 s[8:9], s[12:13]
; %bb.3722:
	s_mov_b32 s10, 0x7f800001
	s_xor_b64 s[4:5], exec, -1
; %bb.3723:
	s_or_b64 exec, exec, s[8:9]
	s_and_b64 s[4:5], s[4:5], exec
	s_or_saveexec_b64 s[6:7], s[6:7]
	v_mov_b32_e32 v10, s10
	s_xor_b64 exec, exec, s[6:7]
	s_cbranch_execz .LBB48_1674
.LBB48_3724:
	v_mov_b32_e32 v10, 0
	v_cmp_ne_u16_sdwa s[8:9], v11, v10 src0_sel:BYTE_0 src1_sel:DWORD
	s_andn2_b64 s[4:5], s[4:5], exec
	s_and_b64 s[8:9], s[8:9], exec
	s_or_b64 s[4:5], s[4:5], s[8:9]
	s_or_b64 exec, exec, s[6:7]
	s_and_saveexec_b64 s[6:7], s[4:5]
	s_cbranch_execnz .LBB48_1675
	s_branch .LBB48_1676
.LBB48_3725:
	s_movk_i32 s4, 0x80
	v_cmp_eq_u16_sdwa s[12:13], v11, s4 src0_sel:BYTE_0 src1_sel:DWORD
	s_mov_b64 s[4:5], -1
                                        ; implicit-def: $sgpr10
	s_and_saveexec_b64 s[8:9], s[12:13]
; %bb.3726:
	s_mov_b32 s10, 0x7f800001
	s_xor_b64 s[4:5], exec, -1
; %bb.3727:
	s_or_b64 exec, exec, s[8:9]
	s_and_b64 s[4:5], s[4:5], exec
	s_or_saveexec_b64 s[6:7], s[6:7]
	v_mov_b32_e32 v12, s10
	s_xor_b64 exec, exec, s[6:7]
	s_cbranch_execz .LBB48_1678
.LBB48_3728:
	v_mov_b32_e32 v12, 0
	v_cmp_ne_u16_sdwa s[8:9], v11, v12 src0_sel:BYTE_0 src1_sel:DWORD
	s_andn2_b64 s[4:5], s[4:5], exec
	s_and_b64 s[8:9], s[8:9], exec
	s_or_b64 s[4:5], s[4:5], s[8:9]
	s_or_b64 exec, exec, s[6:7]
	s_and_saveexec_b64 s[6:7], s[4:5]
	s_cbranch_execnz .LBB48_1679
	s_branch .LBB48_1680
.LBB48_3729:
	s_movk_i32 s4, 0x80
	v_cmp_eq_u16_e32 vcc, s4, v11
	s_mov_b64 s[4:5], -1
                                        ; implicit-def: $sgpr10
	s_and_saveexec_b64 s[8:9], vcc
; %bb.3730:
	s_mov_b32 s10, 0x7f800001
	s_xor_b64 s[4:5], exec, -1
; %bb.3731:
	s_or_b64 exec, exec, s[8:9]
	s_and_b64 s[4:5], s[4:5], exec
                                        ; implicit-def: $vgpr11
	s_or_saveexec_b64 s[6:7], s[6:7]
	v_mov_b32_e32 v10, s10
	s_xor_b64 exec, exec, s[6:7]
	s_cbranch_execz .LBB48_1682
.LBB48_3732:
	v_cmp_ne_u16_e32 vcc, 0, v11
	s_andn2_b64 s[4:5], s[4:5], exec
	s_and_b64 s[8:9], vcc, exec
	v_mov_b32_e32 v10, 0
	s_or_b64 s[4:5], s[4:5], s[8:9]
	s_or_b64 exec, exec, s[6:7]
	s_and_saveexec_b64 s[6:7], s[4:5]
	s_cbranch_execnz .LBB48_1683
	s_branch .LBB48_1684
.LBB48_3733:
	s_movk_i32 s4, 0x80
	v_cmp_eq_u16_e32 vcc, s4, v11
	s_mov_b64 s[4:5], -1
                                        ; implicit-def: $sgpr10
	s_and_saveexec_b64 s[8:9], vcc
; %bb.3734:
	s_mov_b32 s10, 0x7f800001
	s_xor_b64 s[4:5], exec, -1
; %bb.3735:
	s_or_b64 exec, exec, s[8:9]
	s_and_b64 s[4:5], s[4:5], exec
                                        ; implicit-def: $vgpr11
	s_or_saveexec_b64 s[6:7], s[6:7]
	v_mov_b32_e32 v12, s10
	s_xor_b64 exec, exec, s[6:7]
	s_cbranch_execz .LBB48_1686
.LBB48_3736:
	v_cmp_ne_u16_e32 vcc, 0, v11
	s_andn2_b64 s[4:5], s[4:5], exec
	s_and_b64 s[8:9], vcc, exec
	v_mov_b32_e32 v12, 0
	s_or_b64 s[4:5], s[4:5], s[8:9]
	s_or_b64 exec, exec, s[6:7]
	s_and_saveexec_b64 s[6:7], s[4:5]
	s_cbranch_execnz .LBB48_1687
	s_branch .LBB48_1688
.LBB48_3737:
	s_movk_i32 s4, 0x80
	v_cmp_eq_u16_sdwa s[12:13], v6, s4 src0_sel:BYTE_3 src1_sel:DWORD
	s_mov_b64 s[4:5], -1
                                        ; implicit-def: $sgpr10
	s_and_saveexec_b64 s[8:9], s[12:13]
; %bb.3738:
	s_mov_b32 s10, 0x7f800001
	s_xor_b64 s[4:5], exec, -1
; %bb.3739:
	s_or_b64 exec, exec, s[8:9]
	s_and_b64 s[4:5], s[4:5], exec
	s_or_saveexec_b64 s[6:7], s[6:7]
	v_mov_b32_e32 v10, s10
	s_xor_b64 exec, exec, s[6:7]
	s_cbranch_execz .LBB48_1690
.LBB48_3740:
	v_mov_b32_e32 v10, 0
	v_cmp_ne_u16_sdwa s[8:9], v6, v10 src0_sel:BYTE_3 src1_sel:DWORD
	s_andn2_b64 s[4:5], s[4:5], exec
	s_and_b64 s[8:9], s[8:9], exec
	s_or_b64 s[4:5], s[4:5], s[8:9]
	s_or_b64 exec, exec, s[6:7]
	s_and_saveexec_b64 s[6:7], s[4:5]
	s_cbranch_execnz .LBB48_1691
	s_branch .LBB48_1692
.LBB48_3741:
	s_movk_i32 s4, 0x80
	v_cmp_eq_u16_sdwa s[12:13], v2, s4 src0_sel:BYTE_3 src1_sel:DWORD
	s_mov_b64 s[4:5], -1
                                        ; implicit-def: $sgpr10
	s_and_saveexec_b64 s[8:9], s[12:13]
; %bb.3742:
	s_mov_b32 s10, 0x7f800001
	s_xor_b64 s[4:5], exec, -1
; %bb.3743:
	s_or_b64 exec, exec, s[8:9]
	s_and_b64 s[4:5], s[4:5], exec
	s_or_saveexec_b64 s[6:7], s[6:7]
	v_mov_b32_e32 v6, s10
	s_xor_b64 exec, exec, s[6:7]
	s_cbranch_execz .LBB48_1694
.LBB48_3744:
	v_mov_b32_e32 v6, 0
	v_cmp_ne_u16_sdwa s[8:9], v2, v6 src0_sel:BYTE_3 src1_sel:DWORD
	s_andn2_b64 s[4:5], s[4:5], exec
	s_and_b64 s[8:9], s[8:9], exec
	s_or_b64 s[4:5], s[4:5], s[8:9]
	s_or_b64 exec, exec, s[6:7]
	s_and_saveexec_b64 s[6:7], s[4:5]
	s_cbranch_execnz .LBB48_1695
	s_branch .LBB48_1696
.LBB48_3745:
	s_movk_i32 s4, 0x80
	v_cmp_eq_u16_sdwa s[12:13], v7, s4 src0_sel:BYTE_0 src1_sel:DWORD
	s_mov_b64 s[4:5], -1
                                        ; implicit-def: $sgpr10
	s_and_saveexec_b64 s[8:9], s[12:13]
; %bb.3746:
	s_mov_b32 s10, 0x7f800001
	s_xor_b64 s[4:5], exec, -1
; %bb.3747:
	s_or_b64 exec, exec, s[8:9]
	s_and_b64 s[4:5], s[4:5], exec
	s_or_saveexec_b64 s[6:7], s[6:7]
	v_mov_b32_e32 v2, s10
	s_xor_b64 exec, exec, s[6:7]
	s_cbranch_execz .LBB48_1698
.LBB48_3748:
	v_mov_b32_e32 v2, 0
	v_cmp_ne_u16_sdwa s[8:9], v7, v2 src0_sel:BYTE_0 src1_sel:DWORD
	s_andn2_b64 s[4:5], s[4:5], exec
	s_and_b64 s[8:9], s[8:9], exec
	s_or_b64 s[4:5], s[4:5], s[8:9]
	s_or_b64 exec, exec, s[6:7]
	s_and_saveexec_b64 s[6:7], s[4:5]
	s_cbranch_execnz .LBB48_1699
	s_branch .LBB48_1700
.LBB48_3749:
	s_movk_i32 s4, 0x80
	v_cmp_eq_u16_sdwa s[12:13], v3, s4 src0_sel:BYTE_0 src1_sel:DWORD
	s_mov_b64 s[4:5], -1
                                        ; implicit-def: $sgpr10
	s_and_saveexec_b64 s[8:9], s[12:13]
; %bb.3750:
	s_mov_b32 s10, 0x7f800001
	s_xor_b64 s[4:5], exec, -1
; %bb.3751:
	s_or_b64 exec, exec, s[8:9]
	s_and_b64 s[4:5], s[4:5], exec
	s_or_saveexec_b64 s[6:7], s[6:7]
	v_mov_b32_e32 v6, s10
	s_xor_b64 exec, exec, s[6:7]
	s_cbranch_execz .LBB48_1702
.LBB48_3752:
	v_mov_b32_e32 v6, 0
	v_cmp_ne_u16_sdwa s[8:9], v3, v6 src0_sel:BYTE_0 src1_sel:DWORD
	s_andn2_b64 s[4:5], s[4:5], exec
	s_and_b64 s[8:9], s[8:9], exec
	s_or_b64 s[4:5], s[4:5], s[8:9]
	s_or_b64 exec, exec, s[6:7]
	s_and_saveexec_b64 s[6:7], s[4:5]
	s_cbranch_execnz .LBB48_1703
	s_branch .LBB48_1704
.LBB48_3753:
	s_movk_i32 s4, 0x80
	v_cmp_eq_u16_sdwa s[12:13], v6, s4 src0_sel:BYTE_0 src1_sel:DWORD
	s_mov_b64 s[4:5], -1
                                        ; implicit-def: $sgpr10
	s_and_saveexec_b64 s[8:9], s[12:13]
; %bb.3754:
	s_mov_b32 s10, 0x7f800001
	s_xor_b64 s[4:5], exec, -1
; %bb.3755:
	s_or_b64 exec, exec, s[8:9]
	s_and_b64 s[4:5], s[4:5], exec
	s_or_saveexec_b64 s[6:7], s[6:7]
	v_mov_b32_e32 v2, s10
	s_xor_b64 exec, exec, s[6:7]
	s_cbranch_execz .LBB48_1706
.LBB48_3756:
	v_mov_b32_e32 v2, 0
	v_cmp_ne_u16_sdwa s[8:9], v6, v2 src0_sel:BYTE_0 src1_sel:DWORD
	s_andn2_b64 s[4:5], s[4:5], exec
	s_and_b64 s[8:9], s[8:9], exec
	s_or_b64 s[4:5], s[4:5], s[8:9]
	s_or_b64 exec, exec, s[6:7]
	s_and_saveexec_b64 s[6:7], s[4:5]
	s_cbranch_execnz .LBB48_1707
	s_branch .LBB48_1708
.LBB48_3757:
	s_movk_i32 s4, 0x80
	v_cmp_eq_u16_sdwa s[12:13], v6, s4 src0_sel:BYTE_0 src1_sel:DWORD
	s_mov_b64 s[4:5], -1
                                        ; implicit-def: $sgpr10
	s_and_saveexec_b64 s[8:9], s[12:13]
; %bb.3758:
	s_mov_b32 s10, 0x7f800001
	s_xor_b64 s[4:5], exec, -1
; %bb.3759:
	s_or_b64 exec, exec, s[8:9]
	s_and_b64 s[4:5], s[4:5], exec
	s_or_saveexec_b64 s[6:7], s[6:7]
	v_mov_b32_e32 v10, s10
	s_xor_b64 exec, exec, s[6:7]
	s_cbranch_execz .LBB48_1710
.LBB48_3760:
	v_mov_b32_e32 v10, 0
	v_cmp_ne_u16_sdwa s[8:9], v6, v10 src0_sel:BYTE_0 src1_sel:DWORD
	s_andn2_b64 s[4:5], s[4:5], exec
	s_and_b64 s[8:9], s[8:9], exec
	s_or_b64 s[4:5], s[4:5], s[8:9]
	s_or_b64 exec, exec, s[6:7]
	s_and_saveexec_b64 s[6:7], s[4:5]
	s_cbranch_execnz .LBB48_1711
	s_branch .LBB48_1712
.LBB48_3761:
	s_movk_i32 s4, 0x80
	v_cmp_eq_u16_e32 vcc, s4, v6
	s_mov_b64 s[4:5], -1
                                        ; implicit-def: $sgpr10
	s_and_saveexec_b64 s[8:9], vcc
; %bb.3762:
	s_mov_b32 s10, 0x7f800001
	s_xor_b64 s[4:5], exec, -1
; %bb.3763:
	s_or_b64 exec, exec, s[8:9]
	s_and_b64 s[4:5], s[4:5], exec
                                        ; implicit-def: $vgpr6
	s_or_saveexec_b64 s[6:7], s[6:7]
	v_mov_b32_e32 v2, s10
	s_xor_b64 exec, exec, s[6:7]
	s_cbranch_execz .LBB48_1714
.LBB48_3764:
	v_cmp_ne_u16_e32 vcc, 0, v6
	s_andn2_b64 s[4:5], s[4:5], exec
	s_and_b64 s[8:9], vcc, exec
	v_mov_b32_e32 v2, 0
	s_or_b64 s[4:5], s[4:5], s[8:9]
	s_or_b64 exec, exec, s[6:7]
	s_and_saveexec_b64 s[6:7], s[4:5]
	s_cbranch_execnz .LBB48_1715
	s_branch .LBB48_1716
.LBB48_3765:
	s_movk_i32 s4, 0x80
	v_cmp_eq_u16_e32 vcc, s4, v6
	s_mov_b64 s[4:5], -1
                                        ; implicit-def: $sgpr10
	s_and_saveexec_b64 s[8:9], vcc
; %bb.3766:
	s_mov_b32 s10, 0x7f800001
	s_xor_b64 s[4:5], exec, -1
; %bb.3767:
	s_or_b64 exec, exec, s[8:9]
	s_and_b64 s[4:5], s[4:5], exec
                                        ; implicit-def: $vgpr6
	s_or_saveexec_b64 s[6:7], s[6:7]
	v_mov_b32_e32 v10, s10
	s_xor_b64 exec, exec, s[6:7]
	s_cbranch_execz .LBB48_1718
.LBB48_3768:
	v_cmp_ne_u16_e32 vcc, 0, v6
	s_andn2_b64 s[4:5], s[4:5], exec
	s_and_b64 s[8:9], vcc, exec
	v_mov_b32_e32 v10, 0
	s_or_b64 s[4:5], s[4:5], s[8:9]
	s_or_b64 exec, exec, s[6:7]
	s_and_saveexec_b64 s[6:7], s[4:5]
	s_cbranch_execnz .LBB48_1719
	s_branch .LBB48_1720
.LBB48_3769:
	s_movk_i32 s4, 0x80
	v_cmp_eq_u16_sdwa s[12:13], v7, s4 src0_sel:BYTE_3 src1_sel:DWORD
	s_mov_b64 s[4:5], -1
                                        ; implicit-def: $sgpr10
	s_and_saveexec_b64 s[8:9], s[12:13]
; %bb.3770:
	s_mov_b32 s10, 0x7f800001
	s_xor_b64 s[4:5], exec, -1
; %bb.3771:
	s_or_b64 exec, exec, s[8:9]
	s_and_b64 s[4:5], s[4:5], exec
	s_or_saveexec_b64 s[6:7], s[6:7]
	v_mov_b32_e32 v2, s10
	s_xor_b64 exec, exec, s[6:7]
	s_cbranch_execz .LBB48_1722
.LBB48_3772:
	v_mov_b32_e32 v2, 0
	v_cmp_ne_u16_sdwa s[8:9], v7, v2 src0_sel:BYTE_3 src1_sel:DWORD
	s_andn2_b64 s[4:5], s[4:5], exec
	s_and_b64 s[8:9], s[8:9], exec
	s_or_b64 s[4:5], s[4:5], s[8:9]
	s_or_b64 exec, exec, s[6:7]
	s_and_saveexec_b64 s[6:7], s[4:5]
	s_cbranch_execnz .LBB48_1723
	s_branch .LBB48_1724
.LBB48_3773:
	s_movk_i32 s4, 0x80
	v_cmp_eq_u16_sdwa s[12:13], v3, s4 src0_sel:BYTE_3 src1_sel:DWORD
	s_mov_b64 s[4:5], -1
                                        ; implicit-def: $sgpr10
	s_and_saveexec_b64 s[8:9], s[12:13]
; %bb.3774:
	s_mov_b32 s10, 0x7f800001
	s_xor_b64 s[4:5], exec, -1
; %bb.3775:
	s_or_b64 exec, exec, s[8:9]
	s_and_b64 s[4:5], s[4:5], exec
	s_or_saveexec_b64 s[6:7], s[6:7]
	v_mov_b32_e32 v6, s10
	s_xor_b64 exec, exec, s[6:7]
	s_cbranch_execz .LBB48_1726
.LBB48_3776:
	v_mov_b32_e32 v6, 0
	v_cmp_ne_u16_sdwa s[8:9], v3, v6 src0_sel:BYTE_3 src1_sel:DWORD
	s_andn2_b64 s[4:5], s[4:5], exec
	s_and_b64 s[8:9], s[8:9], exec
	s_or_b64 s[4:5], s[4:5], s[8:9]
	s_or_b64 exec, exec, s[6:7]
	s_and_saveexec_b64 s[6:7], s[4:5]
	s_cbranch_execnz .LBB48_1727
	s_branch .LBB48_1728
.LBB48_3777:
	s_movk_i32 s4, 0x80
	v_cmp_eq_u16_sdwa s[12:13], v8, s4 src0_sel:BYTE_0 src1_sel:DWORD
	s_mov_b64 s[4:5], -1
                                        ; implicit-def: $sgpr10
	s_and_saveexec_b64 s[8:9], s[12:13]
; %bb.3778:
	s_mov_b32 s10, 0x7f800001
	s_xor_b64 s[4:5], exec, -1
; %bb.3779:
	s_or_b64 exec, exec, s[8:9]
	s_and_b64 s[4:5], s[4:5], exec
	s_or_saveexec_b64 s[6:7], s[6:7]
	v_mov_b32_e32 v2, s10
	s_xor_b64 exec, exec, s[6:7]
	s_cbranch_execz .LBB48_1730
.LBB48_3780:
	v_mov_b32_e32 v2, 0
	v_cmp_ne_u16_sdwa s[8:9], v8, v2 src0_sel:BYTE_0 src1_sel:DWORD
	s_andn2_b64 s[4:5], s[4:5], exec
	s_and_b64 s[8:9], s[8:9], exec
	s_or_b64 s[4:5], s[4:5], s[8:9]
	s_or_b64 exec, exec, s[6:7]
	s_and_saveexec_b64 s[6:7], s[4:5]
	s_cbranch_execnz .LBB48_1731
	s_branch .LBB48_1732
.LBB48_3781:
	s_movk_i32 s4, 0x80
	v_cmp_eq_u16_sdwa s[12:13], v4, s4 src0_sel:BYTE_0 src1_sel:DWORD
	s_mov_b64 s[4:5], -1
                                        ; implicit-def: $sgpr10
	s_and_saveexec_b64 s[8:9], s[12:13]
; %bb.3782:
	s_mov_b32 s10, 0x7f800001
	s_xor_b64 s[4:5], exec, -1
; %bb.3783:
	s_or_b64 exec, exec, s[8:9]
	s_and_b64 s[4:5], s[4:5], exec
	s_or_saveexec_b64 s[6:7], s[6:7]
	v_mov_b32_e32 v3, s10
	s_xor_b64 exec, exec, s[6:7]
	s_cbranch_execz .LBB48_1734
.LBB48_3784:
	v_mov_b32_e32 v3, 0
	v_cmp_ne_u16_sdwa s[8:9], v4, v3 src0_sel:BYTE_0 src1_sel:DWORD
	s_andn2_b64 s[4:5], s[4:5], exec
	s_and_b64 s[8:9], s[8:9], exec
	s_or_b64 s[4:5], s[4:5], s[8:9]
	s_or_b64 exec, exec, s[6:7]
	s_and_saveexec_b64 s[6:7], s[4:5]
	s_cbranch_execnz .LBB48_1735
	s_branch .LBB48_1736
.LBB48_3785:
	s_movk_i32 s4, 0x80
	v_cmp_eq_u16_sdwa s[12:13], v3, s4 src0_sel:BYTE_0 src1_sel:DWORD
	s_mov_b64 s[4:5], -1
                                        ; implicit-def: $sgpr10
	s_and_saveexec_b64 s[8:9], s[12:13]
; %bb.3786:
	s_mov_b32 s10, 0x7f800001
	s_xor_b64 s[4:5], exec, -1
; %bb.3787:
	s_or_b64 exec, exec, s[8:9]
	s_and_b64 s[4:5], s[4:5], exec
	s_or_saveexec_b64 s[6:7], s[6:7]
	v_mov_b32_e32 v2, s10
	s_xor_b64 exec, exec, s[6:7]
	s_cbranch_execz .LBB48_1738
.LBB48_3788:
	v_mov_b32_e32 v2, 0
	v_cmp_ne_u16_sdwa s[8:9], v3, v2 src0_sel:BYTE_0 src1_sel:DWORD
	s_andn2_b64 s[4:5], s[4:5], exec
	s_and_b64 s[8:9], s[8:9], exec
	s_or_b64 s[4:5], s[4:5], s[8:9]
	s_or_b64 exec, exec, s[6:7]
	s_and_saveexec_b64 s[6:7], s[4:5]
	s_cbranch_execnz .LBB48_1739
	s_branch .LBB48_1740
.LBB48_3789:
	s_movk_i32 s4, 0x80
	v_cmp_eq_u16_sdwa s[12:13], v3, s4 src0_sel:BYTE_0 src1_sel:DWORD
	s_mov_b64 s[4:5], -1
                                        ; implicit-def: $sgpr10
	s_and_saveexec_b64 s[8:9], s[12:13]
; %bb.3790:
	s_mov_b32 s10, 0x7f800001
	s_xor_b64 s[4:5], exec, -1
; %bb.3791:
	s_or_b64 exec, exec, s[8:9]
	s_and_b64 s[4:5], s[4:5], exec
	s_or_saveexec_b64 s[6:7], s[6:7]
	v_mov_b32_e32 v6, s10
	s_xor_b64 exec, exec, s[6:7]
	s_cbranch_execz .LBB48_1742
.LBB48_3792:
	v_mov_b32_e32 v6, 0
	v_cmp_ne_u16_sdwa s[8:9], v3, v6 src0_sel:BYTE_0 src1_sel:DWORD
	s_andn2_b64 s[4:5], s[4:5], exec
	s_and_b64 s[8:9], s[8:9], exec
	s_or_b64 s[4:5], s[4:5], s[8:9]
	s_or_b64 exec, exec, s[6:7]
	s_and_saveexec_b64 s[6:7], s[4:5]
	s_cbranch_execnz .LBB48_1743
	s_branch .LBB48_1744
.LBB48_3793:
	s_movk_i32 s4, 0x80
	v_cmp_eq_u16_e32 vcc, s4, v3
	s_mov_b64 s[4:5], -1
                                        ; implicit-def: $sgpr10
	s_and_saveexec_b64 s[8:9], vcc
; %bb.3794:
	s_mov_b32 s10, 0x7f800001
	s_xor_b64 s[4:5], exec, -1
; %bb.3795:
	s_or_b64 exec, exec, s[8:9]
	s_and_b64 s[4:5], s[4:5], exec
                                        ; implicit-def: $vgpr3
	s_or_saveexec_b64 s[6:7], s[6:7]
	v_mov_b32_e32 v2, s10
	s_xor_b64 exec, exec, s[6:7]
	s_cbranch_execz .LBB48_1746
.LBB48_3796:
	v_cmp_ne_u16_e32 vcc, 0, v3
	s_andn2_b64 s[4:5], s[4:5], exec
	s_and_b64 s[8:9], vcc, exec
	v_mov_b32_e32 v2, 0
	s_or_b64 s[4:5], s[4:5], s[8:9]
	s_or_b64 exec, exec, s[6:7]
	s_and_saveexec_b64 s[6:7], s[4:5]
	s_cbranch_execnz .LBB48_1747
	s_branch .LBB48_1748
.LBB48_3797:
	s_movk_i32 s4, 0x80
	v_cmp_eq_u16_e32 vcc, s4, v3
	s_mov_b64 s[4:5], -1
                                        ; implicit-def: $sgpr10
	s_and_saveexec_b64 s[8:9], vcc
; %bb.3798:
	s_mov_b32 s10, 0x7f800001
	s_xor_b64 s[4:5], exec, -1
; %bb.3799:
	s_or_b64 exec, exec, s[8:9]
	s_and_b64 s[4:5], s[4:5], exec
                                        ; implicit-def: $vgpr3
	s_or_saveexec_b64 s[6:7], s[6:7]
	v_mov_b32_e32 v6, s10
	s_xor_b64 exec, exec, s[6:7]
	s_cbranch_execz .LBB48_1750
.LBB48_3800:
	v_cmp_ne_u16_e32 vcc, 0, v3
	s_andn2_b64 s[4:5], s[4:5], exec
	s_and_b64 s[8:9], vcc, exec
	v_mov_b32_e32 v6, 0
	s_or_b64 s[4:5], s[4:5], s[8:9]
	s_or_b64 exec, exec, s[6:7]
	s_and_saveexec_b64 s[6:7], s[4:5]
	s_cbranch_execnz .LBB48_1751
	s_branch .LBB48_1752
.LBB48_3801:
	s_movk_i32 s4, 0x80
	v_cmp_eq_u16_sdwa s[12:13], v8, s4 src0_sel:BYTE_3 src1_sel:DWORD
	s_mov_b64 s[4:5], -1
                                        ; implicit-def: $sgpr10
	s_and_saveexec_b64 s[8:9], s[12:13]
; %bb.3802:
	s_mov_b32 s10, 0x7f800001
	s_xor_b64 s[4:5], exec, -1
; %bb.3803:
	s_or_b64 exec, exec, s[8:9]
	s_and_b64 s[4:5], s[4:5], exec
	s_or_saveexec_b64 s[6:7], s[6:7]
	v_mov_b32_e32 v2, s10
	s_xor_b64 exec, exec, s[6:7]
	s_cbranch_execz .LBB48_1754
.LBB48_3804:
	v_mov_b32_e32 v2, 0
	v_cmp_ne_u16_sdwa s[8:9], v8, v2 src0_sel:BYTE_3 src1_sel:DWORD
	s_andn2_b64 s[4:5], s[4:5], exec
	s_and_b64 s[8:9], s[8:9], exec
	s_or_b64 s[4:5], s[4:5], s[8:9]
	s_or_b64 exec, exec, s[6:7]
	s_and_saveexec_b64 s[6:7], s[4:5]
	s_cbranch_execnz .LBB48_1755
	s_branch .LBB48_1756
.LBB48_3805:
	s_movk_i32 s4, 0x80
	v_cmp_eq_u16_sdwa s[12:13], v4, s4 src0_sel:BYTE_3 src1_sel:DWORD
	s_mov_b64 s[4:5], -1
                                        ; implicit-def: $sgpr10
	s_and_saveexec_b64 s[8:9], s[12:13]
; %bb.3806:
	s_mov_b32 s10, 0x7f800001
	s_xor_b64 s[4:5], exec, -1
; %bb.3807:
	s_or_b64 exec, exec, s[8:9]
	s_and_b64 s[4:5], s[4:5], exec
	s_or_saveexec_b64 s[6:7], s[6:7]
	v_mov_b32_e32 v3, s10
	s_xor_b64 exec, exec, s[6:7]
	s_cbranch_execz .LBB48_1758
.LBB48_3808:
	v_mov_b32_e32 v3, 0
	v_cmp_ne_u16_sdwa s[8:9], v4, v3 src0_sel:BYTE_3 src1_sel:DWORD
	s_andn2_b64 s[4:5], s[4:5], exec
	s_and_b64 s[8:9], s[8:9], exec
	s_or_b64 s[4:5], s[4:5], s[8:9]
	s_or_b64 exec, exec, s[6:7]
	s_and_saveexec_b64 s[6:7], s[4:5]
	s_cbranch_execnz .LBB48_1759
	s_branch .LBB48_1760
.LBB48_3809:
	s_movk_i32 s4, 0x80
	v_cmp_eq_u16_sdwa s[12:13], v9, s4 src0_sel:BYTE_0 src1_sel:DWORD
	s_mov_b64 s[4:5], -1
                                        ; implicit-def: $sgpr10
	s_and_saveexec_b64 s[8:9], s[12:13]
; %bb.3810:
	s_mov_b32 s10, 0x7f800001
	s_xor_b64 s[4:5], exec, -1
; %bb.3811:
	s_or_b64 exec, exec, s[8:9]
	s_and_b64 s[4:5], s[4:5], exec
	s_or_saveexec_b64 s[6:7], s[6:7]
	v_mov_b32_e32 v2, s10
	s_xor_b64 exec, exec, s[6:7]
	s_cbranch_execz .LBB48_1762
.LBB48_3812:
	v_mov_b32_e32 v2, 0
	v_cmp_ne_u16_sdwa s[8:9], v9, v2 src0_sel:BYTE_0 src1_sel:DWORD
	s_andn2_b64 s[4:5], s[4:5], exec
	s_and_b64 s[8:9], s[8:9], exec
	s_or_b64 s[4:5], s[4:5], s[8:9]
	s_or_b64 exec, exec, s[6:7]
	s_and_saveexec_b64 s[6:7], s[4:5]
	s_cbranch_execnz .LBB48_1763
	s_branch .LBB48_1764
.LBB48_3813:
	s_movk_i32 s4, 0x80
	v_cmp_eq_u16_sdwa s[12:13], v5, s4 src0_sel:BYTE_0 src1_sel:DWORD
	s_mov_b64 s[4:5], -1
                                        ; implicit-def: $sgpr10
	s_and_saveexec_b64 s[8:9], s[12:13]
; %bb.3814:
	s_mov_b32 s10, 0x7f800001
	s_xor_b64 s[4:5], exec, -1
; %bb.3815:
	s_or_b64 exec, exec, s[8:9]
	s_and_b64 s[4:5], s[4:5], exec
	s_or_saveexec_b64 s[6:7], s[6:7]
	v_mov_b32_e32 v3, s10
	s_xor_b64 exec, exec, s[6:7]
	s_cbranch_execz .LBB48_1766
.LBB48_3816:
	v_mov_b32_e32 v3, 0
	v_cmp_ne_u16_sdwa s[8:9], v5, v3 src0_sel:BYTE_0 src1_sel:DWORD
	s_andn2_b64 s[4:5], s[4:5], exec
	s_and_b64 s[8:9], s[8:9], exec
	s_or_b64 s[4:5], s[4:5], s[8:9]
	s_or_b64 exec, exec, s[6:7]
	s_and_saveexec_b64 s[6:7], s[4:5]
	s_cbranch_execnz .LBB48_1767
	s_branch .LBB48_1768
.LBB48_3817:
	s_movk_i32 s4, 0x80
	v_cmp_eq_u16_sdwa s[12:13], v3, s4 src0_sel:BYTE_0 src1_sel:DWORD
	s_mov_b64 s[4:5], -1
                                        ; implicit-def: $sgpr10
	s_and_saveexec_b64 s[8:9], s[12:13]
; %bb.3818:
	s_mov_b32 s10, 0x7f800001
	s_xor_b64 s[4:5], exec, -1
; %bb.3819:
	s_or_b64 exec, exec, s[8:9]
	s_and_b64 s[4:5], s[4:5], exec
	s_or_saveexec_b64 s[6:7], s[6:7]
	v_mov_b32_e32 v2, s10
	s_xor_b64 exec, exec, s[6:7]
	s_cbranch_execz .LBB48_1770
.LBB48_3820:
	v_mov_b32_e32 v2, 0
	v_cmp_ne_u16_sdwa s[8:9], v3, v2 src0_sel:BYTE_0 src1_sel:DWORD
	s_andn2_b64 s[4:5], s[4:5], exec
	s_and_b64 s[8:9], s[8:9], exec
	s_or_b64 s[4:5], s[4:5], s[8:9]
	s_or_b64 exec, exec, s[6:7]
	s_and_saveexec_b64 s[6:7], s[4:5]
	s_cbranch_execnz .LBB48_1771
	s_branch .LBB48_1772
.LBB48_3821:
	s_movk_i32 s4, 0x80
	v_cmp_eq_u16_sdwa s[12:13], v3, s4 src0_sel:BYTE_0 src1_sel:DWORD
	s_mov_b64 s[4:5], -1
                                        ; implicit-def: $sgpr10
	s_and_saveexec_b64 s[8:9], s[12:13]
; %bb.3822:
	s_mov_b32 s10, 0x7f800001
	s_xor_b64 s[4:5], exec, -1
; %bb.3823:
	s_or_b64 exec, exec, s[8:9]
	s_and_b64 s[4:5], s[4:5], exec
	s_or_saveexec_b64 s[6:7], s[6:7]
	v_mov_b32_e32 v4, s10
	s_xor_b64 exec, exec, s[6:7]
	s_cbranch_execz .LBB48_1774
.LBB48_3824:
	v_mov_b32_e32 v4, 0
	v_cmp_ne_u16_sdwa s[8:9], v3, v4 src0_sel:BYTE_0 src1_sel:DWORD
	s_andn2_b64 s[4:5], s[4:5], exec
	s_and_b64 s[8:9], s[8:9], exec
	s_or_b64 s[4:5], s[4:5], s[8:9]
	s_or_b64 exec, exec, s[6:7]
	s_and_saveexec_b64 s[6:7], s[4:5]
	s_cbranch_execnz .LBB48_1775
	s_branch .LBB48_1776
.LBB48_3825:
	s_movk_i32 s4, 0x80
	v_cmp_eq_u16_e32 vcc, s4, v3
	s_mov_b64 s[4:5], -1
                                        ; implicit-def: $sgpr10
	s_and_saveexec_b64 s[8:9], vcc
; %bb.3826:
	s_mov_b32 s10, 0x7f800001
	s_xor_b64 s[4:5], exec, -1
; %bb.3827:
	s_or_b64 exec, exec, s[8:9]
	s_and_b64 s[4:5], s[4:5], exec
                                        ; implicit-def: $vgpr3
	s_or_saveexec_b64 s[6:7], s[6:7]
	v_mov_b32_e32 v2, s10
	s_xor_b64 exec, exec, s[6:7]
	s_cbranch_execz .LBB48_1778
.LBB48_3828:
	v_cmp_ne_u16_e32 vcc, 0, v3
	s_andn2_b64 s[4:5], s[4:5], exec
	s_and_b64 s[8:9], vcc, exec
	v_mov_b32_e32 v2, 0
	s_or_b64 s[4:5], s[4:5], s[8:9]
	s_or_b64 exec, exec, s[6:7]
	s_and_saveexec_b64 s[6:7], s[4:5]
	s_cbranch_execnz .LBB48_1779
	s_branch .LBB48_1780
.LBB48_3829:
	s_movk_i32 s4, 0x80
	v_cmp_eq_u16_e32 vcc, s4, v3
	s_mov_b64 s[4:5], -1
                                        ; implicit-def: $sgpr10
	s_and_saveexec_b64 s[8:9], vcc
; %bb.3830:
	s_mov_b32 s10, 0x7f800001
	s_xor_b64 s[4:5], exec, -1
; %bb.3831:
	s_or_b64 exec, exec, s[8:9]
	s_and_b64 s[4:5], s[4:5], exec
                                        ; implicit-def: $vgpr3
	s_or_saveexec_b64 s[6:7], s[6:7]
	v_mov_b32_e32 v4, s10
	s_xor_b64 exec, exec, s[6:7]
	s_cbranch_execz .LBB48_1782
.LBB48_3832:
	v_cmp_ne_u16_e32 vcc, 0, v3
	s_andn2_b64 s[4:5], s[4:5], exec
	s_and_b64 s[8:9], vcc, exec
	v_mov_b32_e32 v4, 0
	s_or_b64 s[4:5], s[4:5], s[8:9]
	s_or_b64 exec, exec, s[6:7]
	s_and_saveexec_b64 s[6:7], s[4:5]
	s_cbranch_execnz .LBB48_1783
	s_branch .LBB48_1784
.LBB48_3833:
	s_movk_i32 s4, 0x80
	v_cmp_eq_u16_sdwa s[12:13], v9, s4 src0_sel:BYTE_3 src1_sel:DWORD
	s_mov_b64 s[4:5], -1
                                        ; implicit-def: $sgpr10
	s_and_saveexec_b64 s[8:9], s[12:13]
; %bb.3834:
	s_mov_b32 s10, 0x7f800001
	s_xor_b64 s[4:5], exec, -1
; %bb.3835:
	s_or_b64 exec, exec, s[8:9]
	s_and_b64 s[4:5], s[4:5], exec
	s_or_saveexec_b64 s[6:7], s[6:7]
	v_mov_b32_e32 v2, s10
	s_xor_b64 exec, exec, s[6:7]
	s_cbranch_execz .LBB48_1786
.LBB48_3836:
	v_mov_b32_e32 v2, 0
	v_cmp_ne_u16_sdwa s[8:9], v9, v2 src0_sel:BYTE_3 src1_sel:DWORD
	s_andn2_b64 s[4:5], s[4:5], exec
	s_and_b64 s[8:9], s[8:9], exec
	s_or_b64 s[4:5], s[4:5], s[8:9]
	s_or_b64 exec, exec, s[6:7]
	s_and_saveexec_b64 s[6:7], s[4:5]
	s_cbranch_execnz .LBB48_1787
	s_branch .LBB48_1788
.LBB48_3837:
	s_movk_i32 s4, 0x80
	v_cmp_eq_u16_sdwa s[12:13], v5, s4 src0_sel:BYTE_3 src1_sel:DWORD
	s_mov_b64 s[4:5], -1
                                        ; implicit-def: $sgpr10
	s_and_saveexec_b64 s[8:9], s[12:13]
; %bb.3838:
	s_mov_b32 s10, 0x7f800001
	s_xor_b64 s[4:5], exec, -1
; %bb.3839:
	s_or_b64 exec, exec, s[8:9]
	s_and_b64 s[4:5], s[4:5], exec
	s_or_saveexec_b64 s[6:7], s[6:7]
	v_mov_b32_e32 v3, s10
	s_xor_b64 exec, exec, s[6:7]
	s_cbranch_execz .LBB48_1790
.LBB48_3840:
	v_mov_b32_e32 v3, 0
	v_cmp_ne_u16_sdwa s[8:9], v5, v3 src0_sel:BYTE_3 src1_sel:DWORD
	s_andn2_b64 s[4:5], s[4:5], exec
	s_and_b64 s[8:9], s[8:9], exec
	s_or_b64 s[4:5], s[4:5], s[8:9]
	s_or_b64 exec, exec, s[6:7]
	s_and_saveexec_b64 s[6:7], s[4:5]
	s_cbranch_execnz .LBB48_1791
	s_branch .LBB48_1792
.LBB48_3841:
	s_movk_i32 s4, 0x80
	v_cmp_eq_u16_sdwa s[12:13], v12, s4 src0_sel:BYTE_0 src1_sel:DWORD
	s_mov_b64 s[4:5], -1
                                        ; implicit-def: $sgpr10
	s_and_saveexec_b64 s[8:9], s[12:13]
; %bb.3842:
	s_mov_b32 s10, 0x7f800001
	s_xor_b64 s[4:5], exec, -1
; %bb.3843:
	s_or_b64 exec, exec, s[8:9]
	s_and_b64 s[4:5], s[4:5], exec
	s_or_saveexec_b64 s[6:7], s[6:7]
	v_mov_b32_e32 v18, s10
	s_xor_b64 exec, exec, s[6:7]
	s_cbranch_execz .LBB48_1794
.LBB48_3844:
	v_mov_b32_e32 v18, 0
	v_cmp_ne_u16_sdwa s[8:9], v12, v18 src0_sel:BYTE_0 src1_sel:DWORD
	s_andn2_b64 s[4:5], s[4:5], exec
	s_and_b64 s[8:9], s[8:9], exec
	s_or_b64 s[4:5], s[4:5], s[8:9]
	s_or_b64 exec, exec, s[6:7]
	s_and_saveexec_b64 s[6:7], s[4:5]
	s_cbranch_execnz .LBB48_1795
	s_branch .LBB48_1796
.LBB48_3845:
	s_movk_i32 s4, 0x80
	v_cmp_eq_u16_sdwa s[12:13], v8, s4 src0_sel:BYTE_0 src1_sel:DWORD
	s_mov_b64 s[4:5], -1
                                        ; implicit-def: $sgpr10
	s_and_saveexec_b64 s[8:9], s[12:13]
; %bb.3846:
	s_mov_b32 s10, 0x7f800001
	s_xor_b64 s[4:5], exec, -1
; %bb.3847:
	s_or_b64 exec, exec, s[8:9]
	s_and_b64 s[4:5], s[4:5], exec
	s_or_saveexec_b64 s[6:7], s[6:7]
	v_mov_b32_e32 v19, s10
	s_xor_b64 exec, exec, s[6:7]
	s_cbranch_execz .LBB48_1798
.LBB48_3848:
	v_mov_b32_e32 v19, 0
	v_cmp_ne_u16_sdwa s[8:9], v8, v19 src0_sel:BYTE_0 src1_sel:DWORD
	s_andn2_b64 s[4:5], s[4:5], exec
	s_and_b64 s[8:9], s[8:9], exec
	s_or_b64 s[4:5], s[4:5], s[8:9]
	s_or_b64 exec, exec, s[6:7]
	s_and_saveexec_b64 s[6:7], s[4:5]
	s_cbranch_execnz .LBB48_1799
	s_branch .LBB48_1800
.LBB48_3849:
	s_movk_i32 s4, 0x80
	v_cmp_eq_u16_sdwa s[12:13], v19, s4 src0_sel:BYTE_0 src1_sel:DWORD
	s_mov_b64 s[4:5], -1
                                        ; implicit-def: $sgpr10
	s_and_saveexec_b64 s[8:9], s[12:13]
; %bb.3850:
	s_mov_b32 s10, 0x7f800001
	s_xor_b64 s[4:5], exec, -1
; %bb.3851:
	s_or_b64 exec, exec, s[8:9]
	s_and_b64 s[4:5], s[4:5], exec
	s_or_saveexec_b64 s[6:7], s[6:7]
	v_mov_b32_e32 v18, s10
	s_xor_b64 exec, exec, s[6:7]
	s_cbranch_execz .LBB48_1802
.LBB48_3852:
	v_mov_b32_e32 v18, 0
	v_cmp_ne_u16_sdwa s[8:9], v19, v18 src0_sel:BYTE_0 src1_sel:DWORD
	s_andn2_b64 s[4:5], s[4:5], exec
	s_and_b64 s[8:9], s[8:9], exec
	s_or_b64 s[4:5], s[4:5], s[8:9]
	s_or_b64 exec, exec, s[6:7]
	s_and_saveexec_b64 s[6:7], s[4:5]
	s_cbranch_execnz .LBB48_1803
	s_branch .LBB48_1804
.LBB48_3853:
	s_movk_i32 s4, 0x80
	v_cmp_eq_u16_sdwa s[12:13], v19, s4 src0_sel:BYTE_0 src1_sel:DWORD
	s_mov_b64 s[4:5], -1
                                        ; implicit-def: $sgpr10
	s_and_saveexec_b64 s[8:9], s[12:13]
; %bb.3854:
	s_mov_b32 s10, 0x7f800001
	s_xor_b64 s[4:5], exec, -1
; %bb.3855:
	s_or_b64 exec, exec, s[8:9]
	s_and_b64 s[4:5], s[4:5], exec
	s_or_saveexec_b64 s[6:7], s[6:7]
	v_mov_b32_e32 v20, s10
	s_xor_b64 exec, exec, s[6:7]
	s_cbranch_execz .LBB48_1806
.LBB48_3856:
	v_mov_b32_e32 v20, 0
	v_cmp_ne_u16_sdwa s[8:9], v19, v20 src0_sel:BYTE_0 src1_sel:DWORD
	s_andn2_b64 s[4:5], s[4:5], exec
	s_and_b64 s[8:9], s[8:9], exec
	s_or_b64 s[4:5], s[4:5], s[8:9]
	s_or_b64 exec, exec, s[6:7]
	s_and_saveexec_b64 s[6:7], s[4:5]
	s_cbranch_execnz .LBB48_1807
	s_branch .LBB48_1808
.LBB48_3857:
	s_movk_i32 s4, 0x80
	v_cmp_eq_u16_e32 vcc, s4, v19
	s_mov_b64 s[4:5], -1
                                        ; implicit-def: $sgpr10
	s_and_saveexec_b64 s[8:9], vcc
; %bb.3858:
	s_mov_b32 s10, 0x7f800001
	s_xor_b64 s[4:5], exec, -1
; %bb.3859:
	s_or_b64 exec, exec, s[8:9]
	s_and_b64 s[4:5], s[4:5], exec
                                        ; implicit-def: $vgpr19
	s_or_saveexec_b64 s[6:7], s[6:7]
	v_mov_b32_e32 v18, s10
	s_xor_b64 exec, exec, s[6:7]
	s_cbranch_execz .LBB48_1810
.LBB48_3860:
	v_cmp_ne_u16_e32 vcc, 0, v19
	s_andn2_b64 s[4:5], s[4:5], exec
	s_and_b64 s[8:9], vcc, exec
	v_mov_b32_e32 v18, 0
	s_or_b64 s[4:5], s[4:5], s[8:9]
	s_or_b64 exec, exec, s[6:7]
	s_and_saveexec_b64 s[6:7], s[4:5]
	s_cbranch_execnz .LBB48_1811
	s_branch .LBB48_1812
.LBB48_3861:
	s_movk_i32 s4, 0x80
	v_cmp_eq_u16_e32 vcc, s4, v19
	s_mov_b64 s[4:5], -1
                                        ; implicit-def: $sgpr10
	s_and_saveexec_b64 s[8:9], vcc
; %bb.3862:
	s_mov_b32 s10, 0x7f800001
	s_xor_b64 s[4:5], exec, -1
; %bb.3863:
	s_or_b64 exec, exec, s[8:9]
	s_and_b64 s[4:5], s[4:5], exec
                                        ; implicit-def: $vgpr19
	s_or_saveexec_b64 s[6:7], s[6:7]
	v_mov_b32_e32 v20, s10
	s_xor_b64 exec, exec, s[6:7]
	s_cbranch_execz .LBB48_1814
.LBB48_3864:
	v_cmp_ne_u16_e32 vcc, 0, v19
	s_andn2_b64 s[4:5], s[4:5], exec
	s_and_b64 s[8:9], vcc, exec
	v_mov_b32_e32 v20, 0
	s_or_b64 s[4:5], s[4:5], s[8:9]
	s_or_b64 exec, exec, s[6:7]
	s_and_saveexec_b64 s[6:7], s[4:5]
	s_cbranch_execnz .LBB48_1815
	s_branch .LBB48_1816
.LBB48_3865:
	s_movk_i32 s4, 0x80
	v_cmp_eq_u16_sdwa s[12:13], v12, s4 src0_sel:BYTE_3 src1_sel:DWORD
	s_mov_b64 s[4:5], -1
                                        ; implicit-def: $sgpr10
	s_and_saveexec_b64 s[8:9], s[12:13]
; %bb.3866:
	s_mov_b32 s10, 0x7f800001
	s_xor_b64 s[4:5], exec, -1
; %bb.3867:
	s_or_b64 exec, exec, s[8:9]
	s_and_b64 s[4:5], s[4:5], exec
	s_or_saveexec_b64 s[6:7], s[6:7]
	v_mov_b32_e32 v18, s10
	s_xor_b64 exec, exec, s[6:7]
	s_cbranch_execz .LBB48_1818
.LBB48_3868:
	v_mov_b32_e32 v18, 0
	v_cmp_ne_u16_sdwa s[8:9], v12, v18 src0_sel:BYTE_3 src1_sel:DWORD
	s_andn2_b64 s[4:5], s[4:5], exec
	s_and_b64 s[8:9], s[8:9], exec
	s_or_b64 s[4:5], s[4:5], s[8:9]
	s_or_b64 exec, exec, s[6:7]
	s_and_saveexec_b64 s[6:7], s[4:5]
	s_cbranch_execnz .LBB48_1819
	s_branch .LBB48_1820
.LBB48_3869:
	s_movk_i32 s4, 0x80
	v_cmp_eq_u16_sdwa s[12:13], v8, s4 src0_sel:BYTE_3 src1_sel:DWORD
	s_mov_b64 s[4:5], -1
                                        ; implicit-def: $sgpr10
	s_and_saveexec_b64 s[8:9], s[12:13]
; %bb.3870:
	s_mov_b32 s10, 0x7f800001
	s_xor_b64 s[4:5], exec, -1
; %bb.3871:
	s_or_b64 exec, exec, s[8:9]
	s_and_b64 s[4:5], s[4:5], exec
	s_or_saveexec_b64 s[6:7], s[6:7]
	v_mov_b32_e32 v12, s10
	s_xor_b64 exec, exec, s[6:7]
	s_cbranch_execz .LBB48_1822
.LBB48_3872:
	v_mov_b32_e32 v12, 0
	v_cmp_ne_u16_sdwa s[8:9], v8, v12 src0_sel:BYTE_3 src1_sel:DWORD
	s_andn2_b64 s[4:5], s[4:5], exec
	s_and_b64 s[8:9], s[8:9], exec
	s_or_b64 s[4:5], s[4:5], s[8:9]
	s_or_b64 exec, exec, s[6:7]
	s_and_saveexec_b64 s[6:7], s[4:5]
	s_cbranch_execnz .LBB48_1823
	s_branch .LBB48_1824
.LBB48_3873:
	s_movk_i32 s4, 0x80
	v_cmp_eq_u16_sdwa s[12:13], v13, s4 src0_sel:BYTE_0 src1_sel:DWORD
	s_mov_b64 s[4:5], -1
                                        ; implicit-def: $sgpr10
	s_and_saveexec_b64 s[8:9], s[12:13]
; %bb.3874:
	s_mov_b32 s10, 0x7f800001
	s_xor_b64 s[4:5], exec, -1
; %bb.3875:
	s_or_b64 exec, exec, s[8:9]
	s_and_b64 s[4:5], s[4:5], exec
	s_or_saveexec_b64 s[6:7], s[6:7]
	v_mov_b32_e32 v8, s10
	s_xor_b64 exec, exec, s[6:7]
	s_cbranch_execz .LBB48_1826
.LBB48_3876:
	v_mov_b32_e32 v8, 0
	v_cmp_ne_u16_sdwa s[8:9], v13, v8 src0_sel:BYTE_0 src1_sel:DWORD
	s_andn2_b64 s[4:5], s[4:5], exec
	s_and_b64 s[8:9], s[8:9], exec
	s_or_b64 s[4:5], s[4:5], s[8:9]
	s_or_b64 exec, exec, s[6:7]
	s_and_saveexec_b64 s[6:7], s[4:5]
	s_cbranch_execnz .LBB48_1827
	s_branch .LBB48_1828
.LBB48_3877:
	s_movk_i32 s4, 0x80
	v_cmp_eq_u16_sdwa s[12:13], v9, s4 src0_sel:BYTE_0 src1_sel:DWORD
	s_mov_b64 s[4:5], -1
                                        ; implicit-def: $sgpr10
	s_and_saveexec_b64 s[8:9], s[12:13]
; %bb.3878:
	s_mov_b32 s10, 0x7f800001
	s_xor_b64 s[4:5], exec, -1
; %bb.3879:
	s_or_b64 exec, exec, s[8:9]
	s_and_b64 s[4:5], s[4:5], exec
	s_or_saveexec_b64 s[6:7], s[6:7]
	v_mov_b32_e32 v12, s10
	s_xor_b64 exec, exec, s[6:7]
	s_cbranch_execz .LBB48_1830
.LBB48_3880:
	v_mov_b32_e32 v12, 0
	v_cmp_ne_u16_sdwa s[8:9], v9, v12 src0_sel:BYTE_0 src1_sel:DWORD
	s_andn2_b64 s[4:5], s[4:5], exec
	s_and_b64 s[8:9], s[8:9], exec
	s_or_b64 s[4:5], s[4:5], s[8:9]
	s_or_b64 exec, exec, s[6:7]
	s_and_saveexec_b64 s[6:7], s[4:5]
	s_cbranch_execnz .LBB48_1831
	s_branch .LBB48_1832
.LBB48_3881:
	s_movk_i32 s4, 0x80
	v_cmp_eq_u16_sdwa s[12:13], v12, s4 src0_sel:BYTE_0 src1_sel:DWORD
	s_mov_b64 s[4:5], -1
                                        ; implicit-def: $sgpr10
	s_and_saveexec_b64 s[8:9], s[12:13]
; %bb.3882:
	s_mov_b32 s10, 0x7f800001
	s_xor_b64 s[4:5], exec, -1
; %bb.3883:
	s_or_b64 exec, exec, s[8:9]
	s_and_b64 s[4:5], s[4:5], exec
	s_or_saveexec_b64 s[6:7], s[6:7]
	v_mov_b32_e32 v8, s10
	s_xor_b64 exec, exec, s[6:7]
	s_cbranch_execz .LBB48_1834
.LBB48_3884:
	v_mov_b32_e32 v8, 0
	v_cmp_ne_u16_sdwa s[8:9], v12, v8 src0_sel:BYTE_0 src1_sel:DWORD
	s_andn2_b64 s[4:5], s[4:5], exec
	s_and_b64 s[8:9], s[8:9], exec
	s_or_b64 s[4:5], s[4:5], s[8:9]
	s_or_b64 exec, exec, s[6:7]
	s_and_saveexec_b64 s[6:7], s[4:5]
	s_cbranch_execnz .LBB48_1835
	s_branch .LBB48_1836
.LBB48_3885:
	s_movk_i32 s4, 0x80
	v_cmp_eq_u16_sdwa s[12:13], v12, s4 src0_sel:BYTE_0 src1_sel:DWORD
	s_mov_b64 s[4:5], -1
                                        ; implicit-def: $sgpr10
	s_and_saveexec_b64 s[8:9], s[12:13]
; %bb.3886:
	s_mov_b32 s10, 0x7f800001
	s_xor_b64 s[4:5], exec, -1
; %bb.3887:
	s_or_b64 exec, exec, s[8:9]
	s_and_b64 s[4:5], s[4:5], exec
	s_or_saveexec_b64 s[6:7], s[6:7]
	v_mov_b32_e32 v18, s10
	s_xor_b64 exec, exec, s[6:7]
	s_cbranch_execz .LBB48_1838
.LBB48_3888:
	v_mov_b32_e32 v18, 0
	v_cmp_ne_u16_sdwa s[8:9], v12, v18 src0_sel:BYTE_0 src1_sel:DWORD
	s_andn2_b64 s[4:5], s[4:5], exec
	s_and_b64 s[8:9], s[8:9], exec
	s_or_b64 s[4:5], s[4:5], s[8:9]
	s_or_b64 exec, exec, s[6:7]
	s_and_saveexec_b64 s[6:7], s[4:5]
	s_cbranch_execnz .LBB48_1839
	s_branch .LBB48_1840
.LBB48_3889:
	s_movk_i32 s4, 0x80
	v_cmp_eq_u16_e32 vcc, s4, v12
	s_mov_b64 s[4:5], -1
                                        ; implicit-def: $sgpr10
	s_and_saveexec_b64 s[8:9], vcc
; %bb.3890:
	s_mov_b32 s10, 0x7f800001
	s_xor_b64 s[4:5], exec, -1
; %bb.3891:
	s_or_b64 exec, exec, s[8:9]
	s_and_b64 s[4:5], s[4:5], exec
                                        ; implicit-def: $vgpr12
	s_or_saveexec_b64 s[6:7], s[6:7]
	v_mov_b32_e32 v8, s10
	s_xor_b64 exec, exec, s[6:7]
	s_cbranch_execz .LBB48_1842
.LBB48_3892:
	v_cmp_ne_u16_e32 vcc, 0, v12
	s_andn2_b64 s[4:5], s[4:5], exec
	s_and_b64 s[8:9], vcc, exec
	v_mov_b32_e32 v8, 0
	s_or_b64 s[4:5], s[4:5], s[8:9]
	s_or_b64 exec, exec, s[6:7]
	s_and_saveexec_b64 s[6:7], s[4:5]
	s_cbranch_execnz .LBB48_1843
	s_branch .LBB48_1844
.LBB48_3893:
	s_movk_i32 s4, 0x80
	v_cmp_eq_u16_e32 vcc, s4, v12
	s_mov_b64 s[4:5], -1
                                        ; implicit-def: $sgpr10
	s_and_saveexec_b64 s[8:9], vcc
; %bb.3894:
	s_mov_b32 s10, 0x7f800001
	s_xor_b64 s[4:5], exec, -1
; %bb.3895:
	s_or_b64 exec, exec, s[8:9]
	s_and_b64 s[4:5], s[4:5], exec
                                        ; implicit-def: $vgpr12
	s_or_saveexec_b64 s[6:7], s[6:7]
	v_mov_b32_e32 v18, s10
	s_xor_b64 exec, exec, s[6:7]
	s_cbranch_execz .LBB48_1846
.LBB48_3896:
	v_cmp_ne_u16_e32 vcc, 0, v12
	s_andn2_b64 s[4:5], s[4:5], exec
	s_and_b64 s[8:9], vcc, exec
	v_mov_b32_e32 v18, 0
	s_or_b64 s[4:5], s[4:5], s[8:9]
	s_or_b64 exec, exec, s[6:7]
	s_and_saveexec_b64 s[6:7], s[4:5]
	s_cbranch_execnz .LBB48_1847
	s_branch .LBB48_1848
.LBB48_3897:
	s_movk_i32 s4, 0x80
	v_cmp_eq_u16_sdwa s[12:13], v13, s4 src0_sel:BYTE_3 src1_sel:DWORD
	s_mov_b64 s[4:5], -1
                                        ; implicit-def: $sgpr10
	s_and_saveexec_b64 s[8:9], s[12:13]
; %bb.3898:
	s_mov_b32 s10, 0x7f800001
	s_xor_b64 s[4:5], exec, -1
; %bb.3899:
	s_or_b64 exec, exec, s[8:9]
	s_and_b64 s[4:5], s[4:5], exec
	s_or_saveexec_b64 s[6:7], s[6:7]
	v_mov_b32_e32 v8, s10
	s_xor_b64 exec, exec, s[6:7]
	s_cbranch_execz .LBB48_1850
.LBB48_3900:
	v_mov_b32_e32 v8, 0
	v_cmp_ne_u16_sdwa s[8:9], v13, v8 src0_sel:BYTE_3 src1_sel:DWORD
	s_andn2_b64 s[4:5], s[4:5], exec
	s_and_b64 s[8:9], s[8:9], exec
	s_or_b64 s[4:5], s[4:5], s[8:9]
	s_or_b64 exec, exec, s[6:7]
	s_and_saveexec_b64 s[6:7], s[4:5]
	s_cbranch_execnz .LBB48_1851
	s_branch .LBB48_1852
.LBB48_3901:
	s_movk_i32 s4, 0x80
	v_cmp_eq_u16_sdwa s[12:13], v9, s4 src0_sel:BYTE_3 src1_sel:DWORD
	s_mov_b64 s[4:5], -1
                                        ; implicit-def: $sgpr10
	s_and_saveexec_b64 s[8:9], s[12:13]
; %bb.3902:
	s_mov_b32 s10, 0x7f800001
	s_xor_b64 s[4:5], exec, -1
; %bb.3903:
	s_or_b64 exec, exec, s[8:9]
	s_and_b64 s[4:5], s[4:5], exec
	s_or_saveexec_b64 s[6:7], s[6:7]
	v_mov_b32_e32 v12, s10
	s_xor_b64 exec, exec, s[6:7]
	s_cbranch_execz .LBB48_1854
.LBB48_3904:
	v_mov_b32_e32 v12, 0
	v_cmp_ne_u16_sdwa s[8:9], v9, v12 src0_sel:BYTE_3 src1_sel:DWORD
	s_andn2_b64 s[4:5], s[4:5], exec
	s_and_b64 s[8:9], s[8:9], exec
	s_or_b64 s[4:5], s[4:5], s[8:9]
	s_or_b64 exec, exec, s[6:7]
	s_and_saveexec_b64 s[6:7], s[4:5]
	s_cbranch_execnz .LBB48_1855
	s_branch .LBB48_1856
.LBB48_3905:
	s_movk_i32 s4, 0x80
	v_cmp_eq_u16_sdwa s[12:13], v14, s4 src0_sel:BYTE_0 src1_sel:DWORD
	s_mov_b64 s[4:5], -1
                                        ; implicit-def: $sgpr10
	s_and_saveexec_b64 s[8:9], s[12:13]
; %bb.3906:
	s_mov_b32 s10, 0x7f800001
	s_xor_b64 s[4:5], exec, -1
; %bb.3907:
	s_or_b64 exec, exec, s[8:9]
	s_and_b64 s[4:5], s[4:5], exec
	s_or_saveexec_b64 s[6:7], s[6:7]
	v_mov_b32_e32 v8, s10
	s_xor_b64 exec, exec, s[6:7]
	s_cbranch_execz .LBB48_1858
.LBB48_3908:
	v_mov_b32_e32 v8, 0
	v_cmp_ne_u16_sdwa s[8:9], v14, v8 src0_sel:BYTE_0 src1_sel:DWORD
	s_andn2_b64 s[4:5], s[4:5], exec
	s_and_b64 s[8:9], s[8:9], exec
	s_or_b64 s[4:5], s[4:5], s[8:9]
	s_or_b64 exec, exec, s[6:7]
	s_and_saveexec_b64 s[6:7], s[4:5]
	s_cbranch_execnz .LBB48_1859
	s_branch .LBB48_1860
.LBB48_3909:
	s_movk_i32 s4, 0x80
	v_cmp_eq_u16_sdwa s[12:13], v10, s4 src0_sel:BYTE_0 src1_sel:DWORD
	s_mov_b64 s[4:5], -1
                                        ; implicit-def: $sgpr10
	s_and_saveexec_b64 s[8:9], s[12:13]
; %bb.3910:
	s_mov_b32 s10, 0x7f800001
	s_xor_b64 s[4:5], exec, -1
; %bb.3911:
	s_or_b64 exec, exec, s[8:9]
	s_and_b64 s[4:5], s[4:5], exec
	s_or_saveexec_b64 s[6:7], s[6:7]
	v_mov_b32_e32 v9, s10
	s_xor_b64 exec, exec, s[6:7]
	s_cbranch_execz .LBB48_1862
.LBB48_3912:
	v_mov_b32_e32 v9, 0
	v_cmp_ne_u16_sdwa s[8:9], v10, v9 src0_sel:BYTE_0 src1_sel:DWORD
	s_andn2_b64 s[4:5], s[4:5], exec
	s_and_b64 s[8:9], s[8:9], exec
	s_or_b64 s[4:5], s[4:5], s[8:9]
	s_or_b64 exec, exec, s[6:7]
	s_and_saveexec_b64 s[6:7], s[4:5]
	s_cbranch_execnz .LBB48_1863
	s_branch .LBB48_1864
.LBB48_3913:
	s_movk_i32 s4, 0x80
	v_cmp_eq_u16_sdwa s[12:13], v9, s4 src0_sel:BYTE_0 src1_sel:DWORD
	s_mov_b64 s[4:5], -1
                                        ; implicit-def: $sgpr10
	s_and_saveexec_b64 s[8:9], s[12:13]
; %bb.3914:
	s_mov_b32 s10, 0x7f800001
	s_xor_b64 s[4:5], exec, -1
; %bb.3915:
	s_or_b64 exec, exec, s[8:9]
	s_and_b64 s[4:5], s[4:5], exec
	s_or_saveexec_b64 s[6:7], s[6:7]
	v_mov_b32_e32 v8, s10
	s_xor_b64 exec, exec, s[6:7]
	s_cbranch_execz .LBB48_1866
.LBB48_3916:
	v_mov_b32_e32 v8, 0
	v_cmp_ne_u16_sdwa s[8:9], v9, v8 src0_sel:BYTE_0 src1_sel:DWORD
	s_andn2_b64 s[4:5], s[4:5], exec
	s_and_b64 s[8:9], s[8:9], exec
	s_or_b64 s[4:5], s[4:5], s[8:9]
	s_or_b64 exec, exec, s[6:7]
	s_and_saveexec_b64 s[6:7], s[4:5]
	s_cbranch_execnz .LBB48_1867
	s_branch .LBB48_1868
.LBB48_3917:
	s_movk_i32 s4, 0x80
	v_cmp_eq_u16_sdwa s[12:13], v9, s4 src0_sel:BYTE_0 src1_sel:DWORD
	s_mov_b64 s[4:5], -1
                                        ; implicit-def: $sgpr10
	s_and_saveexec_b64 s[8:9], s[12:13]
; %bb.3918:
	s_mov_b32 s10, 0x7f800001
	s_xor_b64 s[4:5], exec, -1
; %bb.3919:
	s_or_b64 exec, exec, s[8:9]
	s_and_b64 s[4:5], s[4:5], exec
	s_or_saveexec_b64 s[6:7], s[6:7]
	v_mov_b32_e32 v12, s10
	s_xor_b64 exec, exec, s[6:7]
	s_cbranch_execz .LBB48_1870
.LBB48_3920:
	v_mov_b32_e32 v12, 0
	v_cmp_ne_u16_sdwa s[8:9], v9, v12 src0_sel:BYTE_0 src1_sel:DWORD
	s_andn2_b64 s[4:5], s[4:5], exec
	s_and_b64 s[8:9], s[8:9], exec
	s_or_b64 s[4:5], s[4:5], s[8:9]
	s_or_b64 exec, exec, s[6:7]
	s_and_saveexec_b64 s[6:7], s[4:5]
	s_cbranch_execnz .LBB48_1871
	s_branch .LBB48_1872
.LBB48_3921:
	s_movk_i32 s4, 0x80
	v_cmp_eq_u16_e32 vcc, s4, v9
	s_mov_b64 s[4:5], -1
                                        ; implicit-def: $sgpr10
	s_and_saveexec_b64 s[8:9], vcc
; %bb.3922:
	s_mov_b32 s10, 0x7f800001
	s_xor_b64 s[4:5], exec, -1
; %bb.3923:
	s_or_b64 exec, exec, s[8:9]
	s_and_b64 s[4:5], s[4:5], exec
                                        ; implicit-def: $vgpr9
	s_or_saveexec_b64 s[6:7], s[6:7]
	v_mov_b32_e32 v8, s10
	s_xor_b64 exec, exec, s[6:7]
	s_cbranch_execz .LBB48_1874
.LBB48_3924:
	v_cmp_ne_u16_e32 vcc, 0, v9
	s_andn2_b64 s[4:5], s[4:5], exec
	s_and_b64 s[8:9], vcc, exec
	v_mov_b32_e32 v8, 0
	s_or_b64 s[4:5], s[4:5], s[8:9]
	s_or_b64 exec, exec, s[6:7]
	s_and_saveexec_b64 s[6:7], s[4:5]
	s_cbranch_execnz .LBB48_1875
	s_branch .LBB48_1876
.LBB48_3925:
	s_movk_i32 s4, 0x80
	v_cmp_eq_u16_e32 vcc, s4, v9
	s_mov_b64 s[4:5], -1
                                        ; implicit-def: $sgpr10
	s_and_saveexec_b64 s[8:9], vcc
; %bb.3926:
	s_mov_b32 s10, 0x7f800001
	s_xor_b64 s[4:5], exec, -1
; %bb.3927:
	s_or_b64 exec, exec, s[8:9]
	s_and_b64 s[4:5], s[4:5], exec
                                        ; implicit-def: $vgpr9
	s_or_saveexec_b64 s[6:7], s[6:7]
	v_mov_b32_e32 v12, s10
	s_xor_b64 exec, exec, s[6:7]
	s_cbranch_execz .LBB48_1878
.LBB48_3928:
	v_cmp_ne_u16_e32 vcc, 0, v9
	s_andn2_b64 s[4:5], s[4:5], exec
	s_and_b64 s[8:9], vcc, exec
	v_mov_b32_e32 v12, 0
	s_or_b64 s[4:5], s[4:5], s[8:9]
	s_or_b64 exec, exec, s[6:7]
	s_and_saveexec_b64 s[6:7], s[4:5]
	s_cbranch_execnz .LBB48_1879
	s_branch .LBB48_1880
.LBB48_3929:
	s_movk_i32 s4, 0x80
	v_cmp_eq_u16_sdwa s[12:13], v14, s4 src0_sel:BYTE_3 src1_sel:DWORD
	s_mov_b64 s[4:5], -1
                                        ; implicit-def: $sgpr10
	s_and_saveexec_b64 s[8:9], s[12:13]
; %bb.3930:
	s_mov_b32 s10, 0x7f800001
	s_xor_b64 s[4:5], exec, -1
; %bb.3931:
	s_or_b64 exec, exec, s[8:9]
	s_and_b64 s[4:5], s[4:5], exec
	s_or_saveexec_b64 s[6:7], s[6:7]
	v_mov_b32_e32 v8, s10
	s_xor_b64 exec, exec, s[6:7]
	s_cbranch_execz .LBB48_1882
.LBB48_3932:
	v_mov_b32_e32 v8, 0
	v_cmp_ne_u16_sdwa s[8:9], v14, v8 src0_sel:BYTE_3 src1_sel:DWORD
	s_andn2_b64 s[4:5], s[4:5], exec
	s_and_b64 s[8:9], s[8:9], exec
	s_or_b64 s[4:5], s[4:5], s[8:9]
	s_or_b64 exec, exec, s[6:7]
	s_and_saveexec_b64 s[6:7], s[4:5]
	s_cbranch_execnz .LBB48_1883
	s_branch .LBB48_1884
.LBB48_3933:
	s_movk_i32 s4, 0x80
	v_cmp_eq_u16_sdwa s[12:13], v10, s4 src0_sel:BYTE_3 src1_sel:DWORD
	s_mov_b64 s[4:5], -1
                                        ; implicit-def: $sgpr10
	s_and_saveexec_b64 s[8:9], s[12:13]
; %bb.3934:
	s_mov_b32 s10, 0x7f800001
	s_xor_b64 s[4:5], exec, -1
; %bb.3935:
	s_or_b64 exec, exec, s[8:9]
	s_and_b64 s[4:5], s[4:5], exec
	s_or_saveexec_b64 s[6:7], s[6:7]
	v_mov_b32_e32 v9, s10
	s_xor_b64 exec, exec, s[6:7]
	s_cbranch_execz .LBB48_1886
.LBB48_3936:
	v_mov_b32_e32 v9, 0
	v_cmp_ne_u16_sdwa s[8:9], v10, v9 src0_sel:BYTE_3 src1_sel:DWORD
	s_andn2_b64 s[4:5], s[4:5], exec
	s_and_b64 s[8:9], s[8:9], exec
	s_or_b64 s[4:5], s[4:5], s[8:9]
	s_or_b64 exec, exec, s[6:7]
	s_and_saveexec_b64 s[6:7], s[4:5]
	s_cbranch_execnz .LBB48_1887
	s_branch .LBB48_1888
.LBB48_3937:
	s_movk_i32 s4, 0x80
	v_cmp_eq_u16_sdwa s[12:13], v15, s4 src0_sel:BYTE_0 src1_sel:DWORD
	s_mov_b64 s[4:5], -1
                                        ; implicit-def: $sgpr10
	s_and_saveexec_b64 s[8:9], s[12:13]
; %bb.3938:
	s_mov_b32 s10, 0x7f800001
	s_xor_b64 s[4:5], exec, -1
; %bb.3939:
	s_or_b64 exec, exec, s[8:9]
	s_and_b64 s[4:5], s[4:5], exec
	s_or_saveexec_b64 s[6:7], s[6:7]
	v_mov_b32_e32 v8, s10
	s_xor_b64 exec, exec, s[6:7]
	s_cbranch_execz .LBB48_1890
.LBB48_3940:
	v_mov_b32_e32 v8, 0
	v_cmp_ne_u16_sdwa s[8:9], v15, v8 src0_sel:BYTE_0 src1_sel:DWORD
	s_andn2_b64 s[4:5], s[4:5], exec
	s_and_b64 s[8:9], s[8:9], exec
	s_or_b64 s[4:5], s[4:5], s[8:9]
	s_or_b64 exec, exec, s[6:7]
	s_and_saveexec_b64 s[6:7], s[4:5]
	s_cbranch_execnz .LBB48_1891
	s_branch .LBB48_1892
.LBB48_3941:
	s_movk_i32 s4, 0x80
	v_cmp_eq_u16_sdwa s[12:13], v11, s4 src0_sel:BYTE_0 src1_sel:DWORD
	s_mov_b64 s[4:5], -1
                                        ; implicit-def: $sgpr10
	s_and_saveexec_b64 s[8:9], s[12:13]
; %bb.3942:
	s_mov_b32 s10, 0x7f800001
	s_xor_b64 s[4:5], exec, -1
; %bb.3943:
	s_or_b64 exec, exec, s[8:9]
	s_and_b64 s[4:5], s[4:5], exec
	s_or_saveexec_b64 s[6:7], s[6:7]
	v_mov_b32_e32 v9, s10
	s_xor_b64 exec, exec, s[6:7]
	s_cbranch_execz .LBB48_1894
.LBB48_3944:
	v_mov_b32_e32 v9, 0
	v_cmp_ne_u16_sdwa s[8:9], v11, v9 src0_sel:BYTE_0 src1_sel:DWORD
	s_andn2_b64 s[4:5], s[4:5], exec
	s_and_b64 s[8:9], s[8:9], exec
	s_or_b64 s[4:5], s[4:5], s[8:9]
	s_or_b64 exec, exec, s[6:7]
	s_and_saveexec_b64 s[6:7], s[4:5]
	s_cbranch_execnz .LBB48_1895
	s_branch .LBB48_1896
.LBB48_3945:
	s_movk_i32 s4, 0x80
	v_cmp_eq_u16_sdwa s[12:13], v9, s4 src0_sel:BYTE_0 src1_sel:DWORD
	s_mov_b64 s[4:5], -1
                                        ; implicit-def: $sgpr10
	s_and_saveexec_b64 s[8:9], s[12:13]
; %bb.3946:
	s_mov_b32 s10, 0x7f800001
	s_xor_b64 s[4:5], exec, -1
; %bb.3947:
	s_or_b64 exec, exec, s[8:9]
	s_and_b64 s[4:5], s[4:5], exec
	s_or_saveexec_b64 s[6:7], s[6:7]
	v_mov_b32_e32 v8, s10
	s_xor_b64 exec, exec, s[6:7]
	s_cbranch_execz .LBB48_1898
.LBB48_3948:
	v_mov_b32_e32 v8, 0
	v_cmp_ne_u16_sdwa s[8:9], v9, v8 src0_sel:BYTE_0 src1_sel:DWORD
	s_andn2_b64 s[4:5], s[4:5], exec
	s_and_b64 s[8:9], s[8:9], exec
	s_or_b64 s[4:5], s[4:5], s[8:9]
	s_or_b64 exec, exec, s[6:7]
	s_and_saveexec_b64 s[6:7], s[4:5]
	s_cbranch_execnz .LBB48_1899
	s_branch .LBB48_1900
.LBB48_3949:
	s_movk_i32 s4, 0x80
	v_cmp_eq_u16_sdwa s[12:13], v9, s4 src0_sel:BYTE_0 src1_sel:DWORD
	s_mov_b64 s[4:5], -1
                                        ; implicit-def: $sgpr10
	s_and_saveexec_b64 s[8:9], s[12:13]
; %bb.3950:
	s_mov_b32 s10, 0x7f800001
	s_xor_b64 s[4:5], exec, -1
; %bb.3951:
	s_or_b64 exec, exec, s[8:9]
	s_and_b64 s[4:5], s[4:5], exec
	s_or_saveexec_b64 s[6:7], s[6:7]
	v_mov_b32_e32 v10, s10
	s_xor_b64 exec, exec, s[6:7]
	s_cbranch_execz .LBB48_1902
.LBB48_3952:
	v_mov_b32_e32 v10, 0
	v_cmp_ne_u16_sdwa s[8:9], v9, v10 src0_sel:BYTE_0 src1_sel:DWORD
	s_andn2_b64 s[4:5], s[4:5], exec
	s_and_b64 s[8:9], s[8:9], exec
	s_or_b64 s[4:5], s[4:5], s[8:9]
	s_or_b64 exec, exec, s[6:7]
	s_and_saveexec_b64 s[6:7], s[4:5]
	s_cbranch_execnz .LBB48_1903
	s_branch .LBB48_1904
.LBB48_3953:
	s_movk_i32 s4, 0x80
	v_cmp_eq_u16_e32 vcc, s4, v9
	s_mov_b64 s[4:5], -1
                                        ; implicit-def: $sgpr10
	s_and_saveexec_b64 s[8:9], vcc
; %bb.3954:
	s_mov_b32 s10, 0x7f800001
	s_xor_b64 s[4:5], exec, -1
; %bb.3955:
	s_or_b64 exec, exec, s[8:9]
	s_and_b64 s[4:5], s[4:5], exec
                                        ; implicit-def: $vgpr9
	s_or_saveexec_b64 s[6:7], s[6:7]
	v_mov_b32_e32 v8, s10
	s_xor_b64 exec, exec, s[6:7]
	s_cbranch_execz .LBB48_1906
.LBB48_3956:
	v_cmp_ne_u16_e32 vcc, 0, v9
	s_andn2_b64 s[4:5], s[4:5], exec
	s_and_b64 s[8:9], vcc, exec
	v_mov_b32_e32 v8, 0
	s_or_b64 s[4:5], s[4:5], s[8:9]
	s_or_b64 exec, exec, s[6:7]
	s_and_saveexec_b64 s[6:7], s[4:5]
	s_cbranch_execnz .LBB48_1907
	s_branch .LBB48_1908
.LBB48_3957:
	s_movk_i32 s4, 0x80
	v_cmp_eq_u16_e32 vcc, s4, v9
	s_mov_b64 s[4:5], -1
                                        ; implicit-def: $sgpr10
	s_and_saveexec_b64 s[8:9], vcc
; %bb.3958:
	s_mov_b32 s10, 0x7f800001
	s_xor_b64 s[4:5], exec, -1
; %bb.3959:
	s_or_b64 exec, exec, s[8:9]
	s_and_b64 s[4:5], s[4:5], exec
                                        ; implicit-def: $vgpr9
	s_or_saveexec_b64 s[6:7], s[6:7]
	v_mov_b32_e32 v10, s10
	s_xor_b64 exec, exec, s[6:7]
	s_cbranch_execz .LBB48_1910
.LBB48_3960:
	v_cmp_ne_u16_e32 vcc, 0, v9
	s_andn2_b64 s[4:5], s[4:5], exec
	s_and_b64 s[8:9], vcc, exec
	v_mov_b32_e32 v10, 0
	s_or_b64 s[4:5], s[4:5], s[8:9]
	s_or_b64 exec, exec, s[6:7]
	s_and_saveexec_b64 s[6:7], s[4:5]
	s_cbranch_execnz .LBB48_1911
	s_branch .LBB48_1912
.LBB48_3961:
	s_movk_i32 s4, 0x80
	v_cmp_eq_u16_sdwa s[12:13], v15, s4 src0_sel:BYTE_3 src1_sel:DWORD
	s_mov_b64 s[4:5], -1
                                        ; implicit-def: $sgpr10
	s_and_saveexec_b64 s[8:9], s[12:13]
; %bb.3962:
	s_mov_b32 s10, 0x7f800001
	s_xor_b64 s[4:5], exec, -1
; %bb.3963:
	s_or_b64 exec, exec, s[8:9]
	s_and_b64 s[4:5], s[4:5], exec
	s_or_saveexec_b64 s[6:7], s[6:7]
	v_mov_b32_e32 v8, s10
	s_xor_b64 exec, exec, s[6:7]
	s_cbranch_execz .LBB48_1914
.LBB48_3964:
	v_mov_b32_e32 v8, 0
	v_cmp_ne_u16_sdwa s[8:9], v15, v8 src0_sel:BYTE_3 src1_sel:DWORD
	s_andn2_b64 s[4:5], s[4:5], exec
	s_and_b64 s[8:9], s[8:9], exec
	s_or_b64 s[4:5], s[4:5], s[8:9]
	s_or_b64 exec, exec, s[6:7]
	s_and_saveexec_b64 s[6:7], s[4:5]
	s_cbranch_execnz .LBB48_1915
	s_branch .LBB48_1916
.LBB48_3965:
	s_movk_i32 s4, 0x80
	v_cmp_eq_u16_sdwa s[12:13], v11, s4 src0_sel:BYTE_3 src1_sel:DWORD
	s_mov_b64 s[4:5], -1
                                        ; implicit-def: $sgpr10
	s_and_saveexec_b64 s[8:9], s[12:13]
; %bb.3966:
	s_mov_b32 s10, 0x7f800001
	s_xor_b64 s[4:5], exec, -1
; %bb.3967:
	s_or_b64 exec, exec, s[8:9]
	s_and_b64 s[4:5], s[4:5], exec
	s_or_saveexec_b64 s[6:7], s[6:7]
	v_mov_b32_e32 v9, s10
	s_xor_b64 exec, exec, s[6:7]
	s_cbranch_execz .LBB48_1918
.LBB48_3968:
	v_mov_b32_e32 v9, 0
	v_cmp_ne_u16_sdwa s[8:9], v11, v9 src0_sel:BYTE_3 src1_sel:DWORD
	s_andn2_b64 s[4:5], s[4:5], exec
	s_and_b64 s[8:9], s[8:9], exec
	s_or_b64 s[4:5], s[4:5], s[8:9]
	s_or_b64 exec, exec, s[6:7]
	s_and_saveexec_b64 s[6:7], s[4:5]
	s_cbranch_execnz .LBB48_1919
	s_branch .LBB48_1920
.LBB48_3969:
	s_movk_i32 s4, 0x80
	v_cmp_eq_u16_sdwa s[12:13], v4, s4 src0_sel:BYTE_0 src1_sel:DWORD
	s_mov_b64 s[4:5], -1
                                        ; implicit-def: $sgpr10
	s_and_saveexec_b64 s[8:9], s[12:13]
; %bb.3970:
	s_mov_b32 s10, 0x7f800001
	s_xor_b64 s[4:5], exec, -1
; %bb.3971:
	s_or_b64 exec, exec, s[8:9]
	s_and_b64 s[4:5], s[4:5], exec
	s_or_saveexec_b64 s[6:7], s[6:7]
	v_mov_b32_e32 v8, s10
	s_xor_b64 exec, exec, s[6:7]
	s_cbranch_execz .LBB48_1922
.LBB48_3972:
	v_mov_b32_e32 v8, 0
	v_cmp_ne_u16_sdwa s[8:9], v4, v8 src0_sel:BYTE_0 src1_sel:DWORD
	s_andn2_b64 s[4:5], s[4:5], exec
	s_and_b64 s[8:9], s[8:9], exec
	s_or_b64 s[4:5], s[4:5], s[8:9]
	s_or_b64 exec, exec, s[6:7]
	s_and_saveexec_b64 s[6:7], s[4:5]
	s_cbranch_execnz .LBB48_1923
	s_branch .LBB48_1924
.LBB48_3973:
	s_movk_i32 s4, 0x80
	v_cmp_eq_u16_sdwa s[12:13], v0, s4 src0_sel:BYTE_0 src1_sel:DWORD
	s_mov_b64 s[4:5], -1
                                        ; implicit-def: $sgpr10
	s_and_saveexec_b64 s[8:9], s[12:13]
; %bb.3974:
	s_mov_b32 s10, 0x7f800001
	s_xor_b64 s[4:5], exec, -1
; %bb.3975:
	s_or_b64 exec, exec, s[8:9]
	s_and_b64 s[4:5], s[4:5], exec
	s_or_saveexec_b64 s[6:7], s[6:7]
	v_mov_b32_e32 v9, s10
	s_xor_b64 exec, exec, s[6:7]
	s_cbranch_execz .LBB48_1926
.LBB48_3976:
	v_mov_b32_e32 v9, 0
	v_cmp_ne_u16_sdwa s[8:9], v0, v9 src0_sel:BYTE_0 src1_sel:DWORD
	s_andn2_b64 s[4:5], s[4:5], exec
	s_and_b64 s[8:9], s[8:9], exec
	s_or_b64 s[4:5], s[4:5], s[8:9]
	s_or_b64 exec, exec, s[6:7]
	s_and_saveexec_b64 s[6:7], s[4:5]
	s_cbranch_execnz .LBB48_1927
	s_branch .LBB48_1928
.LBB48_3977:
	s_movk_i32 s4, 0x80
	v_cmp_eq_u16_sdwa s[12:13], v9, s4 src0_sel:BYTE_0 src1_sel:DWORD
	s_mov_b64 s[4:5], -1
                                        ; implicit-def: $sgpr10
	s_and_saveexec_b64 s[8:9], s[12:13]
; %bb.3978:
	s_mov_b32 s10, 0x7f800001
	s_xor_b64 s[4:5], exec, -1
; %bb.3979:
	s_or_b64 exec, exec, s[8:9]
	s_and_b64 s[4:5], s[4:5], exec
	s_or_saveexec_b64 s[6:7], s[6:7]
	v_mov_b32_e32 v8, s10
	s_xor_b64 exec, exec, s[6:7]
	s_cbranch_execz .LBB48_1930
.LBB48_3980:
	v_mov_b32_e32 v8, 0
	v_cmp_ne_u16_sdwa s[8:9], v9, v8 src0_sel:BYTE_0 src1_sel:DWORD
	s_andn2_b64 s[4:5], s[4:5], exec
	s_and_b64 s[8:9], s[8:9], exec
	s_or_b64 s[4:5], s[4:5], s[8:9]
	s_or_b64 exec, exec, s[6:7]
	s_and_saveexec_b64 s[6:7], s[4:5]
	s_cbranch_execnz .LBB48_1931
	s_branch .LBB48_1932
.LBB48_3981:
	s_movk_i32 s4, 0x80
	v_cmp_eq_u16_sdwa s[12:13], v9, s4 src0_sel:BYTE_0 src1_sel:DWORD
	s_mov_b64 s[4:5], -1
                                        ; implicit-def: $sgpr10
	s_and_saveexec_b64 s[8:9], s[12:13]
; %bb.3982:
	s_mov_b32 s10, 0x7f800001
	s_xor_b64 s[4:5], exec, -1
; %bb.3983:
	s_or_b64 exec, exec, s[8:9]
	s_and_b64 s[4:5], s[4:5], exec
	s_or_saveexec_b64 s[6:7], s[6:7]
	v_mov_b32_e32 v10, s10
	s_xor_b64 exec, exec, s[6:7]
	s_cbranch_execz .LBB48_1934
.LBB48_3984:
	v_mov_b32_e32 v10, 0
	v_cmp_ne_u16_sdwa s[8:9], v9, v10 src0_sel:BYTE_0 src1_sel:DWORD
	s_andn2_b64 s[4:5], s[4:5], exec
	s_and_b64 s[8:9], s[8:9], exec
	s_or_b64 s[4:5], s[4:5], s[8:9]
	s_or_b64 exec, exec, s[6:7]
	s_and_saveexec_b64 s[6:7], s[4:5]
	s_cbranch_execnz .LBB48_1935
	s_branch .LBB48_1936
.LBB48_3985:
	s_movk_i32 s4, 0x80
	v_cmp_eq_u16_e32 vcc, s4, v9
	s_mov_b64 s[4:5], -1
                                        ; implicit-def: $sgpr10
	s_and_saveexec_b64 s[8:9], vcc
; %bb.3986:
	s_mov_b32 s10, 0x7f800001
	s_xor_b64 s[4:5], exec, -1
; %bb.3987:
	s_or_b64 exec, exec, s[8:9]
	s_and_b64 s[4:5], s[4:5], exec
                                        ; implicit-def: $vgpr9
	s_or_saveexec_b64 s[6:7], s[6:7]
	v_mov_b32_e32 v8, s10
	s_xor_b64 exec, exec, s[6:7]
	s_cbranch_execz .LBB48_1938
.LBB48_3988:
	v_cmp_ne_u16_e32 vcc, 0, v9
	s_andn2_b64 s[4:5], s[4:5], exec
	s_and_b64 s[8:9], vcc, exec
	v_mov_b32_e32 v8, 0
	s_or_b64 s[4:5], s[4:5], s[8:9]
	s_or_b64 exec, exec, s[6:7]
	s_and_saveexec_b64 s[6:7], s[4:5]
	s_cbranch_execnz .LBB48_1939
	s_branch .LBB48_1940
.LBB48_3989:
	s_movk_i32 s4, 0x80
	v_cmp_eq_u16_e32 vcc, s4, v9
	s_mov_b64 s[4:5], -1
                                        ; implicit-def: $sgpr10
	s_and_saveexec_b64 s[8:9], vcc
; %bb.3990:
	s_mov_b32 s10, 0x7f800001
	s_xor_b64 s[4:5], exec, -1
; %bb.3991:
	s_or_b64 exec, exec, s[8:9]
	s_and_b64 s[4:5], s[4:5], exec
                                        ; implicit-def: $vgpr9
	s_or_saveexec_b64 s[6:7], s[6:7]
	v_mov_b32_e32 v10, s10
	s_xor_b64 exec, exec, s[6:7]
	s_cbranch_execz .LBB48_1942
.LBB48_3992:
	v_cmp_ne_u16_e32 vcc, 0, v9
	s_andn2_b64 s[4:5], s[4:5], exec
	s_and_b64 s[8:9], vcc, exec
	v_mov_b32_e32 v10, 0
	s_or_b64 s[4:5], s[4:5], s[8:9]
	s_or_b64 exec, exec, s[6:7]
	s_and_saveexec_b64 s[6:7], s[4:5]
	s_cbranch_execnz .LBB48_1943
	s_branch .LBB48_1944
.LBB48_3993:
	s_movk_i32 s4, 0x80
	v_cmp_eq_u16_sdwa s[12:13], v4, s4 src0_sel:BYTE_3 src1_sel:DWORD
	s_mov_b64 s[4:5], -1
                                        ; implicit-def: $sgpr10
	s_and_saveexec_b64 s[8:9], s[12:13]
; %bb.3994:
	s_mov_b32 s10, 0x7f800001
	s_xor_b64 s[4:5], exec, -1
; %bb.3995:
	s_or_b64 exec, exec, s[8:9]
	s_and_b64 s[4:5], s[4:5], exec
	s_or_saveexec_b64 s[6:7], s[6:7]
	v_mov_b32_e32 v8, s10
	s_xor_b64 exec, exec, s[6:7]
	s_cbranch_execz .LBB48_1946
.LBB48_3996:
	v_mov_b32_e32 v8, 0
	v_cmp_ne_u16_sdwa s[8:9], v4, v8 src0_sel:BYTE_3 src1_sel:DWORD
	s_andn2_b64 s[4:5], s[4:5], exec
	s_and_b64 s[8:9], s[8:9], exec
	s_or_b64 s[4:5], s[4:5], s[8:9]
	s_or_b64 exec, exec, s[6:7]
	s_and_saveexec_b64 s[6:7], s[4:5]
	s_cbranch_execnz .LBB48_1947
	s_branch .LBB48_1948
.LBB48_3997:
	s_movk_i32 s4, 0x80
	v_cmp_eq_u16_sdwa s[12:13], v0, s4 src0_sel:BYTE_3 src1_sel:DWORD
	s_mov_b64 s[4:5], -1
                                        ; implicit-def: $sgpr10
	s_and_saveexec_b64 s[8:9], s[12:13]
; %bb.3998:
	s_mov_b32 s10, 0x7f800001
	s_xor_b64 s[4:5], exec, -1
; %bb.3999:
	s_or_b64 exec, exec, s[8:9]
	s_and_b64 s[4:5], s[4:5], exec
	s_or_saveexec_b64 s[6:7], s[6:7]
	v_mov_b32_e32 v4, s10
	s_xor_b64 exec, exec, s[6:7]
	s_cbranch_execz .LBB48_1950
.LBB48_4000:
	v_mov_b32_e32 v4, 0
	v_cmp_ne_u16_sdwa s[8:9], v0, v4 src0_sel:BYTE_3 src1_sel:DWORD
	s_andn2_b64 s[4:5], s[4:5], exec
	s_and_b64 s[8:9], s[8:9], exec
	s_or_b64 s[4:5], s[4:5], s[8:9]
	s_or_b64 exec, exec, s[6:7]
	s_and_saveexec_b64 s[6:7], s[4:5]
	s_cbranch_execnz .LBB48_1951
	s_branch .LBB48_1952
.LBB48_4001:
	s_movk_i32 s4, 0x80
	v_cmp_eq_u16_sdwa s[12:13], v5, s4 src0_sel:BYTE_0 src1_sel:DWORD
	s_mov_b64 s[4:5], -1
                                        ; implicit-def: $sgpr10
	s_and_saveexec_b64 s[8:9], s[12:13]
; %bb.4002:
	s_mov_b32 s10, 0x7f800001
	s_xor_b64 s[4:5], exec, -1
; %bb.4003:
	s_or_b64 exec, exec, s[8:9]
	s_and_b64 s[4:5], s[4:5], exec
	s_or_saveexec_b64 s[6:7], s[6:7]
	v_mov_b32_e32 v0, s10
	s_xor_b64 exec, exec, s[6:7]
	s_cbranch_execz .LBB48_1954
.LBB48_4004:
	v_mov_b32_e32 v0, 0
	v_cmp_ne_u16_sdwa s[8:9], v5, v0 src0_sel:BYTE_0 src1_sel:DWORD
	s_andn2_b64 s[4:5], s[4:5], exec
	s_and_b64 s[8:9], s[8:9], exec
	s_or_b64 s[4:5], s[4:5], s[8:9]
	s_or_b64 exec, exec, s[6:7]
	s_and_saveexec_b64 s[6:7], s[4:5]
	s_cbranch_execnz .LBB48_1955
	s_branch .LBB48_1956
.LBB48_4005:
	s_movk_i32 s4, 0x80
	v_cmp_eq_u16_sdwa s[12:13], v1, s4 src0_sel:BYTE_0 src1_sel:DWORD
	s_mov_b64 s[4:5], -1
                                        ; implicit-def: $sgpr10
	s_and_saveexec_b64 s[8:9], s[12:13]
; %bb.4006:
	s_mov_b32 s10, 0x7f800001
	s_xor_b64 s[4:5], exec, -1
; %bb.4007:
	s_or_b64 exec, exec, s[8:9]
	s_and_b64 s[4:5], s[4:5], exec
	s_or_saveexec_b64 s[6:7], s[6:7]
	v_mov_b32_e32 v4, s10
	s_xor_b64 exec, exec, s[6:7]
	s_cbranch_execz .LBB48_1958
.LBB48_4008:
	v_mov_b32_e32 v4, 0
	v_cmp_ne_u16_sdwa s[8:9], v1, v4 src0_sel:BYTE_0 src1_sel:DWORD
	s_andn2_b64 s[4:5], s[4:5], exec
	s_and_b64 s[8:9], s[8:9], exec
	s_or_b64 s[4:5], s[4:5], s[8:9]
	s_or_b64 exec, exec, s[6:7]
	s_and_saveexec_b64 s[6:7], s[4:5]
	s_cbranch_execnz .LBB48_1959
	s_branch .LBB48_1960
.LBB48_4009:
	s_movk_i32 s4, 0x80
	v_cmp_eq_u16_sdwa s[12:13], v4, s4 src0_sel:BYTE_0 src1_sel:DWORD
	s_mov_b64 s[4:5], -1
                                        ; implicit-def: $sgpr10
	s_and_saveexec_b64 s[8:9], s[12:13]
; %bb.4010:
	s_mov_b32 s10, 0x7f800001
	s_xor_b64 s[4:5], exec, -1
; %bb.4011:
	s_or_b64 exec, exec, s[8:9]
	s_and_b64 s[4:5], s[4:5], exec
	s_or_saveexec_b64 s[6:7], s[6:7]
	v_mov_b32_e32 v0, s10
	s_xor_b64 exec, exec, s[6:7]
	s_cbranch_execz .LBB48_1962
.LBB48_4012:
	v_mov_b32_e32 v0, 0
	v_cmp_ne_u16_sdwa s[8:9], v4, v0 src0_sel:BYTE_0 src1_sel:DWORD
	s_andn2_b64 s[4:5], s[4:5], exec
	s_and_b64 s[8:9], s[8:9], exec
	s_or_b64 s[4:5], s[4:5], s[8:9]
	s_or_b64 exec, exec, s[6:7]
	s_and_saveexec_b64 s[6:7], s[4:5]
	s_cbranch_execnz .LBB48_1963
	s_branch .LBB48_1964
.LBB48_4013:
	s_movk_i32 s4, 0x80
	v_cmp_eq_u16_sdwa s[12:13], v4, s4 src0_sel:BYTE_0 src1_sel:DWORD
	s_mov_b64 s[4:5], -1
                                        ; implicit-def: $sgpr10
	s_and_saveexec_b64 s[8:9], s[12:13]
; %bb.4014:
	s_mov_b32 s10, 0x7f800001
	s_xor_b64 s[4:5], exec, -1
; %bb.4015:
	s_or_b64 exec, exec, s[8:9]
	s_and_b64 s[4:5], s[4:5], exec
	s_or_saveexec_b64 s[6:7], s[6:7]
	v_mov_b32_e32 v8, s10
	s_xor_b64 exec, exec, s[6:7]
	s_cbranch_execz .LBB48_1966
.LBB48_4016:
	v_mov_b32_e32 v8, 0
	v_cmp_ne_u16_sdwa s[8:9], v4, v8 src0_sel:BYTE_0 src1_sel:DWORD
	s_andn2_b64 s[4:5], s[4:5], exec
	s_and_b64 s[8:9], s[8:9], exec
	s_or_b64 s[4:5], s[4:5], s[8:9]
	s_or_b64 exec, exec, s[6:7]
	s_and_saveexec_b64 s[6:7], s[4:5]
	s_cbranch_execnz .LBB48_1967
	s_branch .LBB48_1968
.LBB48_4017:
	s_movk_i32 s4, 0x80
	v_cmp_eq_u16_e32 vcc, s4, v4
	s_mov_b64 s[4:5], -1
                                        ; implicit-def: $sgpr10
	s_and_saveexec_b64 s[8:9], vcc
; %bb.4018:
	s_mov_b32 s10, 0x7f800001
	s_xor_b64 s[4:5], exec, -1
; %bb.4019:
	s_or_b64 exec, exec, s[8:9]
	s_and_b64 s[4:5], s[4:5], exec
                                        ; implicit-def: $vgpr4
	s_or_saveexec_b64 s[6:7], s[6:7]
	v_mov_b32_e32 v0, s10
	s_xor_b64 exec, exec, s[6:7]
	s_cbranch_execz .LBB48_1970
.LBB48_4020:
	v_cmp_ne_u16_e32 vcc, 0, v4
	s_andn2_b64 s[4:5], s[4:5], exec
	s_and_b64 s[8:9], vcc, exec
	v_mov_b32_e32 v0, 0
	s_or_b64 s[4:5], s[4:5], s[8:9]
	s_or_b64 exec, exec, s[6:7]
	s_and_saveexec_b64 s[6:7], s[4:5]
	s_cbranch_execnz .LBB48_1971
	s_branch .LBB48_1972
.LBB48_4021:
	s_movk_i32 s4, 0x80
	v_cmp_eq_u16_e32 vcc, s4, v4
	s_mov_b64 s[4:5], -1
                                        ; implicit-def: $sgpr10
	s_and_saveexec_b64 s[8:9], vcc
; %bb.4022:
	s_mov_b32 s10, 0x7f800001
	s_xor_b64 s[4:5], exec, -1
; %bb.4023:
	s_or_b64 exec, exec, s[8:9]
	s_and_b64 s[4:5], s[4:5], exec
                                        ; implicit-def: $vgpr4
	s_or_saveexec_b64 s[6:7], s[6:7]
	v_mov_b32_e32 v8, s10
	s_xor_b64 exec, exec, s[6:7]
	s_cbranch_execz .LBB48_1974
.LBB48_4024:
	v_cmp_ne_u16_e32 vcc, 0, v4
	s_andn2_b64 s[4:5], s[4:5], exec
	s_and_b64 s[8:9], vcc, exec
	v_mov_b32_e32 v8, 0
	s_or_b64 s[4:5], s[4:5], s[8:9]
	s_or_b64 exec, exec, s[6:7]
	s_and_saveexec_b64 s[6:7], s[4:5]
	s_cbranch_execnz .LBB48_1975
	s_branch .LBB48_1976
.LBB48_4025:
	s_movk_i32 s4, 0x80
	v_cmp_eq_u16_sdwa s[12:13], v5, s4 src0_sel:BYTE_3 src1_sel:DWORD
	s_mov_b64 s[4:5], -1
                                        ; implicit-def: $sgpr10
	s_and_saveexec_b64 s[8:9], s[12:13]
; %bb.4026:
	s_mov_b32 s10, 0x7f800001
	s_xor_b64 s[4:5], exec, -1
; %bb.4027:
	s_or_b64 exec, exec, s[8:9]
	s_and_b64 s[4:5], s[4:5], exec
	s_or_saveexec_b64 s[6:7], s[6:7]
	v_mov_b32_e32 v0, s10
	s_xor_b64 exec, exec, s[6:7]
	s_cbranch_execz .LBB48_1978
.LBB48_4028:
	v_mov_b32_e32 v0, 0
	v_cmp_ne_u16_sdwa s[8:9], v5, v0 src0_sel:BYTE_3 src1_sel:DWORD
	s_andn2_b64 s[4:5], s[4:5], exec
	s_and_b64 s[8:9], s[8:9], exec
	s_or_b64 s[4:5], s[4:5], s[8:9]
	s_or_b64 exec, exec, s[6:7]
	s_and_saveexec_b64 s[6:7], s[4:5]
	s_cbranch_execnz .LBB48_1979
	s_branch .LBB48_1980
.LBB48_4029:
	s_movk_i32 s4, 0x80
	v_cmp_eq_u16_sdwa s[12:13], v1, s4 src0_sel:BYTE_3 src1_sel:DWORD
	s_mov_b64 s[4:5], -1
                                        ; implicit-def: $sgpr10
	s_and_saveexec_b64 s[8:9], s[12:13]
; %bb.4030:
	s_mov_b32 s10, 0x7f800001
	s_xor_b64 s[4:5], exec, -1
; %bb.4031:
	s_or_b64 exec, exec, s[8:9]
	s_and_b64 s[4:5], s[4:5], exec
	s_or_saveexec_b64 s[6:7], s[6:7]
	v_mov_b32_e32 v4, s10
	s_xor_b64 exec, exec, s[6:7]
	s_cbranch_execz .LBB48_1982
.LBB48_4032:
	v_mov_b32_e32 v4, 0
	v_cmp_ne_u16_sdwa s[8:9], v1, v4 src0_sel:BYTE_3 src1_sel:DWORD
	s_andn2_b64 s[4:5], s[4:5], exec
	s_and_b64 s[8:9], s[8:9], exec
	s_or_b64 s[4:5], s[4:5], s[8:9]
	s_or_b64 exec, exec, s[6:7]
	s_and_saveexec_b64 s[6:7], s[4:5]
	s_cbranch_execnz .LBB48_1983
	s_branch .LBB48_1984
.LBB48_4033:
	s_movk_i32 s4, 0x80
	v_cmp_eq_u16_sdwa s[12:13], v6, s4 src0_sel:BYTE_0 src1_sel:DWORD
	s_mov_b64 s[4:5], -1
                                        ; implicit-def: $sgpr10
	s_and_saveexec_b64 s[8:9], s[12:13]
; %bb.4034:
	s_mov_b32 s10, 0x7f800001
	s_xor_b64 s[4:5], exec, -1
; %bb.4035:
	s_or_b64 exec, exec, s[8:9]
	s_and_b64 s[4:5], s[4:5], exec
	s_or_saveexec_b64 s[6:7], s[6:7]
	v_mov_b32_e32 v0, s10
	s_xor_b64 exec, exec, s[6:7]
	s_cbranch_execz .LBB48_1986
.LBB48_4036:
	v_mov_b32_e32 v0, 0
	v_cmp_ne_u16_sdwa s[8:9], v6, v0 src0_sel:BYTE_0 src1_sel:DWORD
	s_andn2_b64 s[4:5], s[4:5], exec
	s_and_b64 s[8:9], s[8:9], exec
	s_or_b64 s[4:5], s[4:5], s[8:9]
	s_or_b64 exec, exec, s[6:7]
	s_and_saveexec_b64 s[6:7], s[4:5]
	s_cbranch_execnz .LBB48_1987
	s_branch .LBB48_1988
.LBB48_4037:
	s_movk_i32 s4, 0x80
	v_cmp_eq_u16_sdwa s[12:13], v2, s4 src0_sel:BYTE_0 src1_sel:DWORD
	s_mov_b64 s[4:5], -1
                                        ; implicit-def: $sgpr10
	s_and_saveexec_b64 s[8:9], s[12:13]
; %bb.4038:
	s_mov_b32 s10, 0x7f800001
	s_xor_b64 s[4:5], exec, -1
; %bb.4039:
	s_or_b64 exec, exec, s[8:9]
	s_and_b64 s[4:5], s[4:5], exec
	s_or_saveexec_b64 s[6:7], s[6:7]
	v_mov_b32_e32 v1, s10
	s_xor_b64 exec, exec, s[6:7]
	s_cbranch_execz .LBB48_1990
.LBB48_4040:
	v_mov_b32_e32 v1, 0
	v_cmp_ne_u16_sdwa s[8:9], v2, v1 src0_sel:BYTE_0 src1_sel:DWORD
	s_andn2_b64 s[4:5], s[4:5], exec
	s_and_b64 s[8:9], s[8:9], exec
	s_or_b64 s[4:5], s[4:5], s[8:9]
	s_or_b64 exec, exec, s[6:7]
	s_and_saveexec_b64 s[6:7], s[4:5]
	s_cbranch_execnz .LBB48_1991
	s_branch .LBB48_1992
.LBB48_4041:
	s_movk_i32 s4, 0x80
	v_cmp_eq_u16_sdwa s[12:13], v1, s4 src0_sel:BYTE_0 src1_sel:DWORD
	s_mov_b64 s[4:5], -1
                                        ; implicit-def: $sgpr10
	s_and_saveexec_b64 s[8:9], s[12:13]
; %bb.4042:
	s_mov_b32 s10, 0x7f800001
	s_xor_b64 s[4:5], exec, -1
; %bb.4043:
	s_or_b64 exec, exec, s[8:9]
	s_and_b64 s[4:5], s[4:5], exec
	s_or_saveexec_b64 s[6:7], s[6:7]
	v_mov_b32_e32 v0, s10
	s_xor_b64 exec, exec, s[6:7]
	s_cbranch_execz .LBB48_1994
.LBB48_4044:
	v_mov_b32_e32 v0, 0
	v_cmp_ne_u16_sdwa s[8:9], v1, v0 src0_sel:BYTE_0 src1_sel:DWORD
	s_andn2_b64 s[4:5], s[4:5], exec
	s_and_b64 s[8:9], s[8:9], exec
	s_or_b64 s[4:5], s[4:5], s[8:9]
	s_or_b64 exec, exec, s[6:7]
	s_and_saveexec_b64 s[6:7], s[4:5]
	s_cbranch_execnz .LBB48_1995
	s_branch .LBB48_1996
.LBB48_4045:
	s_movk_i32 s4, 0x80
	v_cmp_eq_u16_sdwa s[12:13], v1, s4 src0_sel:BYTE_0 src1_sel:DWORD
	s_mov_b64 s[4:5], -1
                                        ; implicit-def: $sgpr10
	s_and_saveexec_b64 s[8:9], s[12:13]
; %bb.4046:
	s_mov_b32 s10, 0x7f800001
	s_xor_b64 s[4:5], exec, -1
; %bb.4047:
	s_or_b64 exec, exec, s[8:9]
	s_and_b64 s[4:5], s[4:5], exec
	s_or_saveexec_b64 s[6:7], s[6:7]
	v_mov_b32_e32 v4, s10
	s_xor_b64 exec, exec, s[6:7]
	s_cbranch_execz .LBB48_1998
.LBB48_4048:
	v_mov_b32_e32 v4, 0
	v_cmp_ne_u16_sdwa s[8:9], v1, v4 src0_sel:BYTE_0 src1_sel:DWORD
	s_andn2_b64 s[4:5], s[4:5], exec
	s_and_b64 s[8:9], s[8:9], exec
	s_or_b64 s[4:5], s[4:5], s[8:9]
	s_or_b64 exec, exec, s[6:7]
	s_and_saveexec_b64 s[6:7], s[4:5]
	s_cbranch_execnz .LBB48_1999
	s_branch .LBB48_2000
.LBB48_4049:
	s_movk_i32 s4, 0x80
	v_cmp_eq_u16_e32 vcc, s4, v1
	s_mov_b64 s[4:5], -1
                                        ; implicit-def: $sgpr10
	s_and_saveexec_b64 s[8:9], vcc
; %bb.4050:
	s_mov_b32 s10, 0x7f800001
	s_xor_b64 s[4:5], exec, -1
; %bb.4051:
	s_or_b64 exec, exec, s[8:9]
	s_and_b64 s[4:5], s[4:5], exec
                                        ; implicit-def: $vgpr1
	s_or_saveexec_b64 s[6:7], s[6:7]
	v_mov_b32_e32 v0, s10
	s_xor_b64 exec, exec, s[6:7]
	s_cbranch_execz .LBB48_2002
.LBB48_4052:
	v_cmp_ne_u16_e32 vcc, 0, v1
	s_andn2_b64 s[4:5], s[4:5], exec
	s_and_b64 s[8:9], vcc, exec
	v_mov_b32_e32 v0, 0
	s_or_b64 s[4:5], s[4:5], s[8:9]
	s_or_b64 exec, exec, s[6:7]
	s_and_saveexec_b64 s[6:7], s[4:5]
	s_cbranch_execnz .LBB48_2003
	s_branch .LBB48_2004
.LBB48_4053:
	s_movk_i32 s4, 0x80
	v_cmp_eq_u16_e32 vcc, s4, v1
	s_mov_b64 s[4:5], -1
                                        ; implicit-def: $sgpr10
	s_and_saveexec_b64 s[8:9], vcc
; %bb.4054:
	s_mov_b32 s10, 0x7f800001
	s_xor_b64 s[4:5], exec, -1
; %bb.4055:
	s_or_b64 exec, exec, s[8:9]
	s_and_b64 s[4:5], s[4:5], exec
                                        ; implicit-def: $vgpr1
	s_or_saveexec_b64 s[6:7], s[6:7]
	v_mov_b32_e32 v4, s10
	s_xor_b64 exec, exec, s[6:7]
	s_cbranch_execz .LBB48_2006
.LBB48_4056:
	v_cmp_ne_u16_e32 vcc, 0, v1
	s_andn2_b64 s[4:5], s[4:5], exec
	s_and_b64 s[8:9], vcc, exec
	v_mov_b32_e32 v4, 0
	s_or_b64 s[4:5], s[4:5], s[8:9]
	s_or_b64 exec, exec, s[6:7]
	s_and_saveexec_b64 s[6:7], s[4:5]
	s_cbranch_execnz .LBB48_2007
	s_branch .LBB48_2008
.LBB48_4057:
	s_movk_i32 s4, 0x80
	v_cmp_eq_u16_sdwa s[12:13], v6, s4 src0_sel:BYTE_3 src1_sel:DWORD
	s_mov_b64 s[4:5], -1
                                        ; implicit-def: $sgpr10
	s_and_saveexec_b64 s[8:9], s[12:13]
; %bb.4058:
	s_mov_b32 s10, 0x7f800001
	s_xor_b64 s[4:5], exec, -1
; %bb.4059:
	s_or_b64 exec, exec, s[8:9]
	s_and_b64 s[4:5], s[4:5], exec
	s_or_saveexec_b64 s[6:7], s[6:7]
	v_mov_b32_e32 v0, s10
	s_xor_b64 exec, exec, s[6:7]
	s_cbranch_execz .LBB48_2010
.LBB48_4060:
	v_mov_b32_e32 v0, 0
	v_cmp_ne_u16_sdwa s[8:9], v6, v0 src0_sel:BYTE_3 src1_sel:DWORD
	s_andn2_b64 s[4:5], s[4:5], exec
	s_and_b64 s[8:9], s[8:9], exec
	s_or_b64 s[4:5], s[4:5], s[8:9]
	s_or_b64 exec, exec, s[6:7]
	s_and_saveexec_b64 s[6:7], s[4:5]
	s_cbranch_execnz .LBB48_2011
	s_branch .LBB48_2012
.LBB48_4061:
	s_movk_i32 s4, 0x80
	v_cmp_eq_u16_sdwa s[12:13], v2, s4 src0_sel:BYTE_3 src1_sel:DWORD
	s_mov_b64 s[4:5], -1
                                        ; implicit-def: $sgpr10
	s_and_saveexec_b64 s[8:9], s[12:13]
; %bb.4062:
	s_mov_b32 s10, 0x7f800001
	s_xor_b64 s[4:5], exec, -1
; %bb.4063:
	s_or_b64 exec, exec, s[8:9]
	s_and_b64 s[4:5], s[4:5], exec
	s_or_saveexec_b64 s[6:7], s[6:7]
	v_mov_b32_e32 v1, s10
	s_xor_b64 exec, exec, s[6:7]
	s_cbranch_execz .LBB48_2014
.LBB48_4064:
	v_mov_b32_e32 v1, 0
	v_cmp_ne_u16_sdwa s[8:9], v2, v1 src0_sel:BYTE_3 src1_sel:DWORD
	s_andn2_b64 s[4:5], s[4:5], exec
	s_and_b64 s[8:9], s[8:9], exec
	s_or_b64 s[4:5], s[4:5], s[8:9]
	s_or_b64 exec, exec, s[6:7]
	s_and_saveexec_b64 s[6:7], s[4:5]
	s_cbranch_execnz .LBB48_2015
	s_branch .LBB48_2016
.LBB48_4065:
	s_movk_i32 s4, 0x80
	v_cmp_eq_u16_sdwa s[12:13], v7, s4 src0_sel:BYTE_0 src1_sel:DWORD
	s_mov_b64 s[4:5], -1
                                        ; implicit-def: $sgpr10
	s_and_saveexec_b64 s[8:9], s[12:13]
; %bb.4066:
	s_mov_b32 s10, 0x7f800001
	s_xor_b64 s[4:5], exec, -1
; %bb.4067:
	s_or_b64 exec, exec, s[8:9]
	s_and_b64 s[4:5], s[4:5], exec
	s_or_saveexec_b64 s[6:7], s[6:7]
	v_mov_b32_e32 v0, s10
	s_xor_b64 exec, exec, s[6:7]
	s_cbranch_execz .LBB48_2018
.LBB48_4068:
	v_mov_b32_e32 v0, 0
	v_cmp_ne_u16_sdwa s[8:9], v7, v0 src0_sel:BYTE_0 src1_sel:DWORD
	s_andn2_b64 s[4:5], s[4:5], exec
	s_and_b64 s[8:9], s[8:9], exec
	s_or_b64 s[4:5], s[4:5], s[8:9]
	s_or_b64 exec, exec, s[6:7]
	s_and_saveexec_b64 s[6:7], s[4:5]
	s_cbranch_execnz .LBB48_2019
	s_branch .LBB48_2020
.LBB48_4069:
	s_movk_i32 s4, 0x80
	v_cmp_eq_u16_sdwa s[12:13], v3, s4 src0_sel:BYTE_0 src1_sel:DWORD
	s_mov_b64 s[4:5], -1
                                        ; implicit-def: $sgpr10
	s_and_saveexec_b64 s[8:9], s[12:13]
; %bb.4070:
	s_mov_b32 s10, 0x7f800001
	s_xor_b64 s[4:5], exec, -1
; %bb.4071:
	s_or_b64 exec, exec, s[8:9]
	s_and_b64 s[4:5], s[4:5], exec
	s_or_saveexec_b64 s[6:7], s[6:7]
	v_mov_b32_e32 v1, s10
	s_xor_b64 exec, exec, s[6:7]
	s_cbranch_execz .LBB48_2022
.LBB48_4072:
	v_mov_b32_e32 v1, 0
	v_cmp_ne_u16_sdwa s[8:9], v3, v1 src0_sel:BYTE_0 src1_sel:DWORD
	s_andn2_b64 s[4:5], s[4:5], exec
	s_and_b64 s[8:9], s[8:9], exec
	s_or_b64 s[4:5], s[4:5], s[8:9]
	s_or_b64 exec, exec, s[6:7]
	s_and_saveexec_b64 s[6:7], s[4:5]
	s_cbranch_execnz .LBB48_2023
	s_branch .LBB48_2024
.LBB48_4073:
	s_movk_i32 s4, 0x80
	v_cmp_eq_u16_sdwa s[12:13], v1, s4 src0_sel:BYTE_0 src1_sel:DWORD
	s_mov_b64 s[4:5], -1
                                        ; implicit-def: $sgpr10
	s_and_saveexec_b64 s[8:9], s[12:13]
; %bb.4074:
	s_mov_b32 s10, 0x7f800001
	s_xor_b64 s[4:5], exec, -1
; %bb.4075:
	s_or_b64 exec, exec, s[8:9]
	s_and_b64 s[4:5], s[4:5], exec
	s_or_saveexec_b64 s[6:7], s[6:7]
	v_mov_b32_e32 v0, s10
	s_xor_b64 exec, exec, s[6:7]
	s_cbranch_execz .LBB48_2026
.LBB48_4076:
	v_mov_b32_e32 v0, 0
	v_cmp_ne_u16_sdwa s[8:9], v1, v0 src0_sel:BYTE_0 src1_sel:DWORD
	s_andn2_b64 s[4:5], s[4:5], exec
	s_and_b64 s[8:9], s[8:9], exec
	s_or_b64 s[4:5], s[4:5], s[8:9]
	s_or_b64 exec, exec, s[6:7]
	s_and_saveexec_b64 s[6:7], s[4:5]
	s_cbranch_execnz .LBB48_2027
	s_branch .LBB48_2028
.LBB48_4077:
	s_movk_i32 s4, 0x80
	v_cmp_eq_u16_sdwa s[12:13], v1, s4 src0_sel:BYTE_0 src1_sel:DWORD
	s_mov_b64 s[4:5], -1
                                        ; implicit-def: $sgpr10
	s_and_saveexec_b64 s[8:9], s[12:13]
; %bb.4078:
	s_mov_b32 s10, 0x7f800001
	s_xor_b64 s[4:5], exec, -1
; %bb.4079:
	s_or_b64 exec, exec, s[8:9]
	s_and_b64 s[4:5], s[4:5], exec
	s_or_saveexec_b64 s[6:7], s[6:7]
	v_mov_b32_e32 v2, s10
	s_xor_b64 exec, exec, s[6:7]
	s_cbranch_execz .LBB48_2030
.LBB48_4080:
	v_mov_b32_e32 v2, 0
	v_cmp_ne_u16_sdwa s[8:9], v1, v2 src0_sel:BYTE_0 src1_sel:DWORD
	s_andn2_b64 s[4:5], s[4:5], exec
	s_and_b64 s[8:9], s[8:9], exec
	s_or_b64 s[4:5], s[4:5], s[8:9]
	s_or_b64 exec, exec, s[6:7]
	s_and_saveexec_b64 s[6:7], s[4:5]
	s_cbranch_execnz .LBB48_2031
	s_branch .LBB48_2032
.LBB48_4081:
	s_movk_i32 s4, 0x80
	v_cmp_eq_u16_e32 vcc, s4, v1
	s_mov_b64 s[4:5], -1
                                        ; implicit-def: $sgpr10
	s_and_saveexec_b64 s[8:9], vcc
; %bb.4082:
	s_mov_b32 s10, 0x7f800001
	s_xor_b64 s[4:5], exec, -1
; %bb.4083:
	s_or_b64 exec, exec, s[8:9]
	s_and_b64 s[4:5], s[4:5], exec
                                        ; implicit-def: $vgpr1
	s_or_saveexec_b64 s[6:7], s[6:7]
	v_mov_b32_e32 v0, s10
	s_xor_b64 exec, exec, s[6:7]
	s_cbranch_execz .LBB48_2034
.LBB48_4084:
	v_cmp_ne_u16_e32 vcc, 0, v1
	s_andn2_b64 s[4:5], s[4:5], exec
	s_and_b64 s[8:9], vcc, exec
	v_mov_b32_e32 v0, 0
	s_or_b64 s[4:5], s[4:5], s[8:9]
	s_or_b64 exec, exec, s[6:7]
	s_and_saveexec_b64 s[6:7], s[4:5]
	s_cbranch_execnz .LBB48_2035
	s_branch .LBB48_2036
.LBB48_4085:
	s_movk_i32 s4, 0x80
	v_cmp_eq_u16_e32 vcc, s4, v1
	s_mov_b64 s[4:5], -1
                                        ; implicit-def: $sgpr10
	s_and_saveexec_b64 s[8:9], vcc
; %bb.4086:
	s_mov_b32 s10, 0x7f800001
	s_xor_b64 s[4:5], exec, -1
; %bb.4087:
	s_or_b64 exec, exec, s[8:9]
	s_and_b64 s[4:5], s[4:5], exec
                                        ; implicit-def: $vgpr1
	s_or_saveexec_b64 s[6:7], s[6:7]
	v_mov_b32_e32 v2, s10
	s_xor_b64 exec, exec, s[6:7]
	s_cbranch_execz .LBB48_2038
.LBB48_4088:
	v_cmp_ne_u16_e32 vcc, 0, v1
	s_andn2_b64 s[4:5], s[4:5], exec
	s_and_b64 s[8:9], vcc, exec
	v_mov_b32_e32 v2, 0
	s_or_b64 s[4:5], s[4:5], s[8:9]
	s_or_b64 exec, exec, s[6:7]
	s_and_saveexec_b64 s[6:7], s[4:5]
	s_cbranch_execnz .LBB48_2039
	s_branch .LBB48_2040
.LBB48_4089:
	s_movk_i32 s4, 0x80
	v_cmp_eq_u16_sdwa s[12:13], v7, s4 src0_sel:BYTE_3 src1_sel:DWORD
	s_mov_b64 s[4:5], -1
                                        ; implicit-def: $sgpr10
	s_and_saveexec_b64 s[8:9], s[12:13]
; %bb.4090:
	s_mov_b32 s10, 0x7f800001
	s_xor_b64 s[4:5], exec, -1
; %bb.4091:
	s_or_b64 exec, exec, s[8:9]
	s_and_b64 s[4:5], s[4:5], exec
	s_or_saveexec_b64 s[6:7], s[6:7]
	v_mov_b32_e32 v0, s10
	s_xor_b64 exec, exec, s[6:7]
	s_cbranch_execz .LBB48_2042
.LBB48_4092:
	v_mov_b32_e32 v0, 0
	v_cmp_ne_u16_sdwa s[8:9], v7, v0 src0_sel:BYTE_3 src1_sel:DWORD
	s_andn2_b64 s[4:5], s[4:5], exec
	s_and_b64 s[8:9], s[8:9], exec
	s_or_b64 s[4:5], s[4:5], s[8:9]
	s_or_b64 exec, exec, s[6:7]
	s_and_saveexec_b64 s[6:7], s[4:5]
	s_cbranch_execnz .LBB48_2043
	s_branch .LBB48_2044
.LBB48_4093:
	s_movk_i32 s4, 0x80
	v_cmp_eq_u16_sdwa s[12:13], v3, s4 src0_sel:BYTE_3 src1_sel:DWORD
	s_mov_b64 s[4:5], -1
                                        ; implicit-def: $sgpr10
	s_and_saveexec_b64 s[8:9], s[12:13]
; %bb.4094:
	s_mov_b32 s10, 0x7f800001
	s_xor_b64 s[4:5], exec, -1
; %bb.4095:
	s_or_b64 exec, exec, s[8:9]
	s_and_b64 s[4:5], s[4:5], exec
	s_or_saveexec_b64 s[6:7], s[6:7]
	v_mov_b32_e32 v1, s10
	s_xor_b64 exec, exec, s[6:7]
	s_cbranch_execz .LBB48_2046
.LBB48_4096:
	v_mov_b32_e32 v1, 0
	v_cmp_ne_u16_sdwa s[8:9], v3, v1 src0_sel:BYTE_3 src1_sel:DWORD
	s_andn2_b64 s[4:5], s[4:5], exec
	s_and_b64 s[8:9], s[8:9], exec
	s_or_b64 s[4:5], s[4:5], s[8:9]
	s_or_b64 exec, exec, s[6:7]
	s_and_saveexec_b64 s[6:7], s[4:5]
	s_cbranch_execnz .LBB48_2047
	s_branch .LBB48_2048
.Lfunc_end48:
	.size	_ZNK2ck6detail7applierIiJLi0ELi1ELi2ELi3ELi4ELi5ELi6ELi7EEEclIZNKS_11static_fordINS_8SequenceIJLi1ELi8EEEENS5_IJLi0ELi1EEEEEclIZZNKS_52BlockwiseGemmXdlops_pipeline_bpreshuffle_bdequant_v3ILNS_26BlockGemmPipelineSchedulerE0ELi256ENS_9f8_fnuz_tENS_7pk_i4_tESC_fNS_16TensorDescriptorINS_5TupleIJNS_5EmbedINSF_IJNS_17integral_constantIiLi8EEENSH_IiLi256EEENSH_IiLi16EEEEEENSF_IJSK_NSH_IiLi128EEENSH_IiLi1EEEEEELb0EEENS_3XorINSF_IJSJ_SI_EEELb1EEENS_11PassThroughISK_EENS_7UnMergeINSF_IJSI_SN_EEELb0EEENST_ISJ_EESU_NST_ISI_EENS_21Merge_v3_division_modINSF_IJSJ_SN_EEEEESU_EEENSF_IJNS5_IJLi0EEEENS5_IJLi2ELi1EEEENS5_IJLi3EEEENS5_IJLi5EEEENS5_IJLi4EEEENS5_IJLi6EEEENS5_IJLi7EEEENS5_IJLi9ELi8EEEENS5_IJLi10EEEEEEENSF_IJNS5_IJLi1ELi2ELi3EEEENS5_IJLi4ELi5EEEES19_NS5_IJLi7ELi8EEEENS5_IJLi9EEEES1C_NS5_IJLi11EEEENS5_IJLi12EEEENS5_IJLi13EEEEEEENS5_IJLi11ELi12ELi13EEEENSH_IlLl32768EEEEENSE_INSF_IJNSV_INSF_IJSI_SN_SN_NSH_IiLi32EEEEEELb0EEEEEENSF_IJS14_EEENSF_IJNS5_IJLi1ELi2ELi3ELi4EEEEEEES1U_NSH_IlLl256EEEEENSE_INSF_IJSP_SS_SU_SX_SY_SU_SZ_S12_SU_NS10_INSF_IJSI_SK_EEEEENSV_INSF_IJSI_NSH_IiLi2EEESK_EEELb0EEEEEENSF_IJS14_S15_S16_S17_S18_S19_S1A_S1B_S1C_NS5_IJLi11ELi13EEEES1J_EEENSF_IJS1E_S1F_S19_S1G_S1H_S1C_S1I_S1J_S1K_NS5_IJLi14EEEENS5_IJLi15ELi16ELi17EEEEEEENS5_IJLi15ELi16ELi17ELi14EEEES1N_EENSE_INSF_IJS1R_NS10_ISW_EES22_EEENSF_IJS14_NS5_IJLi1ELi3EEEENS5_IJLi2EEEEEEENSF_IJS1U_S17_NS5_IJLi6ELi7ELi8EEEEEEENS5_IJLi6ELi7ELi8ELi5EEEES1W_EELi16ELi32ELi256ELi256ELi128ELi16ELi16ELi8ELi8ELi32ELb0EE3RunILb1ELNS_10TailNumberE1ENSE_INSF_IJNSG_INSF_IJiiEEENSF_IJiSN_EEELb0EEENSV_IS2N_Lb0EEENST_IiEEEEENSF_IJS14_S2E_NS5_IJLi1EEEEEEENSF_IJNS5_IJLi1ELi2EEEENS5_IJLi3ELi4EEEES17_EEENS5_IJLi3ELi5ELi4EEEElEES1O_NS_35ThreadGroupTensorSliceTransfer_v4r1INS_15ThisThreadBlockILi256EEENS_16tensor_operation12element_wise11PassThroughES35_LNS_25InMemoryDataOperationEnumE0ENS5_IJLi8ELi256ELi16EEEENS5_IJLi8ELi32ELi1EEEENS5_IJLi1ELi0ELi2EEEESC_SC_RKS2Z_KS1O_S39_NS5_IJLi0ELi1ELi2EEEELi2ELi2ELi16ELi16ELi1ELi1ELb0ELb1ELi2EiEENS_13DynamicBufferILNS_16AddressSpaceEnumE1EKSC_lLb1ELNS_22AmdBufferCoherenceEnumE0EiEENSF_IJNS3F_ILS3G_2ESC_S1N_Lb1ELS3I_0EiEES3K_EEENSF_IJiiiEEENSE_INSF_IJNSG_INSF_IJiiiiEEENSF_IJiiiSN_EEELb0EEEEEES1T_S1V_S1U_lEENS_32ThreadwiseTensorSliceTransfer_v2ISD_SD_RKS3R_KS1X_NS5_IJLi8ELi1ELi1ELi32EEEENS5_IJLi1ELi2ELi0ELi3EEEELi3ELi32ELi0ELb1ELb0ELb0EEENS3F_ILS3G_1EKSD_lLb1ELS3I_0EiEENSF_IJNS_12StaticBufferILS3G_4ESD_Li256ELb1EEES42_EEES3N_NS_25StaticBufferTupleOfVectorILS3G_4EfLi64ELi4ELb1ELb0EEEEEvRKT1_RKT2_RT3_RKT4_RT5_RKT6_RKT7_RT8_RKT9_RT10_RKT11_RT12_iENKUlT_E0_clINSH_IiLi4EEEEEDaS51_EUlS51_E_EEvS51_EUlS51_E_EEvS51_, .Lfunc_end48-_ZNK2ck6detail7applierIiJLi0ELi1ELi2ELi3ELi4ELi5ELi6ELi7EEEclIZNKS_11static_fordINS_8SequenceIJLi1ELi8EEEENS5_IJLi0ELi1EEEEEclIZZNKS_52BlockwiseGemmXdlops_pipeline_bpreshuffle_bdequant_v3ILNS_26BlockGemmPipelineSchedulerE0ELi256ENS_9f8_fnuz_tENS_7pk_i4_tESC_fNS_16TensorDescriptorINS_5TupleIJNS_5EmbedINSF_IJNS_17integral_constantIiLi8EEENSH_IiLi256EEENSH_IiLi16EEEEEENSF_IJSK_NSH_IiLi128EEENSH_IiLi1EEEEEELb0EEENS_3XorINSF_IJSJ_SI_EEELb1EEENS_11PassThroughISK_EENS_7UnMergeINSF_IJSI_SN_EEELb0EEENST_ISJ_EESU_NST_ISI_EENS_21Merge_v3_division_modINSF_IJSJ_SN_EEEEESU_EEENSF_IJNS5_IJLi0EEEENS5_IJLi2ELi1EEEENS5_IJLi3EEEENS5_IJLi5EEEENS5_IJLi4EEEENS5_IJLi6EEEENS5_IJLi7EEEENS5_IJLi9ELi8EEEENS5_IJLi10EEEEEEENSF_IJNS5_IJLi1ELi2ELi3EEEENS5_IJLi4ELi5EEEES19_NS5_IJLi7ELi8EEEENS5_IJLi9EEEES1C_NS5_IJLi11EEEENS5_IJLi12EEEENS5_IJLi13EEEEEEENS5_IJLi11ELi12ELi13EEEENSH_IlLl32768EEEEENSE_INSF_IJNSV_INSF_IJSI_SN_SN_NSH_IiLi32EEEEEELb0EEEEEENSF_IJS14_EEENSF_IJNS5_IJLi1ELi2ELi3ELi4EEEEEEES1U_NSH_IlLl256EEEEENSE_INSF_IJSP_SS_SU_SX_SY_SU_SZ_S12_SU_NS10_INSF_IJSI_SK_EEEEENSV_INSF_IJSI_NSH_IiLi2EEESK_EEELb0EEEEEENSF_IJS14_S15_S16_S17_S18_S19_S1A_S1B_S1C_NS5_IJLi11ELi13EEEES1J_EEENSF_IJS1E_S1F_S19_S1G_S1H_S1C_S1I_S1J_S1K_NS5_IJLi14EEEENS5_IJLi15ELi16ELi17EEEEEEENS5_IJLi15ELi16ELi17ELi14EEEES1N_EENSE_INSF_IJS1R_NS10_ISW_EES22_EEENSF_IJS14_NS5_IJLi1ELi3EEEENS5_IJLi2EEEEEEENSF_IJS1U_S17_NS5_IJLi6ELi7ELi8EEEEEEENS5_IJLi6ELi7ELi8ELi5EEEES1W_EELi16ELi32ELi256ELi256ELi128ELi16ELi16ELi8ELi8ELi32ELb0EE3RunILb1ELNS_10TailNumberE1ENSE_INSF_IJNSG_INSF_IJiiEEENSF_IJiSN_EEELb0EEENSV_IS2N_Lb0EEENST_IiEEEEENSF_IJS14_S2E_NS5_IJLi1EEEEEEENSF_IJNS5_IJLi1ELi2EEEENS5_IJLi3ELi4EEEES17_EEENS5_IJLi3ELi5ELi4EEEElEES1O_NS_35ThreadGroupTensorSliceTransfer_v4r1INS_15ThisThreadBlockILi256EEENS_16tensor_operation12element_wise11PassThroughES35_LNS_25InMemoryDataOperationEnumE0ENS5_IJLi8ELi256ELi16EEEENS5_IJLi8ELi32ELi1EEEENS5_IJLi1ELi0ELi2EEEESC_SC_RKS2Z_KS1O_S39_NS5_IJLi0ELi1ELi2EEEELi2ELi2ELi16ELi16ELi1ELi1ELb0ELb1ELi2EiEENS_13DynamicBufferILNS_16AddressSpaceEnumE1EKSC_lLb1ELNS_22AmdBufferCoherenceEnumE0EiEENSF_IJNS3F_ILS3G_2ESC_S1N_Lb1ELS3I_0EiEES3K_EEENSF_IJiiiEEENSE_INSF_IJNSG_INSF_IJiiiiEEENSF_IJiiiSN_EEELb0EEEEEES1T_S1V_S1U_lEENS_32ThreadwiseTensorSliceTransfer_v2ISD_SD_RKS3R_KS1X_NS5_IJLi8ELi1ELi1ELi32EEEENS5_IJLi1ELi2ELi0ELi3EEEELi3ELi32ELi0ELb1ELb0ELb0EEENS3F_ILS3G_1EKSD_lLb1ELS3I_0EiEENSF_IJNS_12StaticBufferILS3G_4ESD_Li256ELb1EEES42_EEES3N_NS_25StaticBufferTupleOfVectorILS3G_4EfLi64ELi4ELb1ELb0EEEEEvRKT1_RKT2_RT3_RKT4_RT5_RKT6_RKT7_RT8_RKT9_RT10_RKT11_RT12_iENKUlT_E0_clINSH_IiLi4EEEEEDaS51_EUlS51_E_EEvS51_EUlS51_E_EEvS51_
                                        ; -- End function
	.section	.AMDGPU.csdata,"",@progbits
; Function info:
; codeLenInByte = 133608
; NumSgprs: 36
; NumVgprs: 26
; NumAgprs: 4
; TotalNumVgprs: 32
; ScratchSize: 0
; MemoryBound: 1
	.text
	.p2align	2                               ; -- Begin function _ZNK2ck6detail7applierIiJLi0ELi1ELi2ELi3ELi4ELi5ELi6ELi7EEEclIZNKS_11static_fordINS_8SequenceIJLi1ELi8EEEENS5_IJLi0ELi1EEEEEclIZZNKS_52BlockwiseGemmXdlops_pipeline_bpreshuffle_bdequant_v3ILNS_26BlockGemmPipelineSchedulerE0ELi256ENS_9f8_fnuz_tENS_7pk_i4_tESC_fNS_16TensorDescriptorINS_5TupleIJNS_5EmbedINSF_IJNS_17integral_constantIiLi8EEENSH_IiLi256EEENSH_IiLi16EEEEEENSF_IJSK_NSH_IiLi128EEENSH_IiLi1EEEEEELb0EEENS_3XorINSF_IJSJ_SI_EEELb1EEENS_11PassThroughISK_EENS_7UnMergeINSF_IJSI_SN_EEELb0EEENST_ISJ_EESU_NST_ISI_EENS_21Merge_v3_division_modINSF_IJSJ_SN_EEEEESU_EEENSF_IJNS5_IJLi0EEEENS5_IJLi2ELi1EEEENS5_IJLi3EEEENS5_IJLi5EEEENS5_IJLi4EEEENS5_IJLi6EEEENS5_IJLi7EEEENS5_IJLi9ELi8EEEENS5_IJLi10EEEEEEENSF_IJNS5_IJLi1ELi2ELi3EEEENS5_IJLi4ELi5EEEES19_NS5_IJLi7ELi8EEEENS5_IJLi9EEEES1C_NS5_IJLi11EEEENS5_IJLi12EEEENS5_IJLi13EEEEEEENS5_IJLi11ELi12ELi13EEEENSH_IlLl32768EEEEENSE_INSF_IJNSV_INSF_IJSI_SN_SN_NSH_IiLi32EEEEEELb0EEEEEENSF_IJS14_EEENSF_IJNS5_IJLi1ELi2ELi3ELi4EEEEEEES1U_NSH_IlLl256EEEEENSE_INSF_IJSP_SS_SU_SX_SY_SU_SZ_S12_SU_NS10_INSF_IJSI_SK_EEEEENSV_INSF_IJSI_NSH_IiLi2EEESK_EEELb0EEEEEENSF_IJS14_S15_S16_S17_S18_S19_S1A_S1B_S1C_NS5_IJLi11ELi13EEEES1J_EEENSF_IJS1E_S1F_S19_S1G_S1H_S1C_S1I_S1J_S1K_NS5_IJLi14EEEENS5_IJLi15ELi16ELi17EEEEEEENS5_IJLi15ELi16ELi17ELi14EEEES1N_EENSE_INSF_IJS1R_NS10_ISW_EES22_EEENSF_IJS14_NS5_IJLi1ELi3EEEENS5_IJLi2EEEEEEENSF_IJS1U_S17_NS5_IJLi6ELi7ELi8EEEEEEENS5_IJLi6ELi7ELi8ELi5EEEES1W_EELi16ELi32ELi256ELi256ELi128ELi16ELi16ELi8ELi8ELi32ELb0EE3RunILb1ELNS_10TailNumberE1ENSE_INSF_IJNSG_INSF_IJiiEEENSF_IJiSN_EEELb0EEENSV_IS2N_Lb0EEENST_IiEEEEENSF_IJS14_S2E_NS5_IJLi1EEEEEEENSF_IJNS5_IJLi1ELi2EEEENS5_IJLi3ELi4EEEES17_EEENS5_IJLi3ELi5ELi4EEEElEES1O_NS_35ThreadGroupTensorSliceTransfer_v4r1INS_15ThisThreadBlockILi256EEENS_16tensor_operation12element_wise11PassThroughES35_LNS_25InMemoryDataOperationEnumE0ENS5_IJLi8ELi256ELi16EEEENS5_IJLi8ELi32ELi1EEEENS5_IJLi1ELi0ELi2EEEESC_SC_RKS2Z_KS1O_S39_NS5_IJLi0ELi1ELi2EEEELi2ELi2ELi16ELi16ELi1ELi1ELb0ELb1ELi2EiEENS_13DynamicBufferILNS_16AddressSpaceEnumE1EKSC_lLb1ELNS_22AmdBufferCoherenceEnumE0EiEENSF_IJNS3F_ILS3G_2ESC_S1N_Lb1ELS3I_0EiEES3K_EEENSF_IJiiiEEENSE_INSF_IJNSG_INSF_IJiiiiEEENSF_IJiiiSN_EEELb0EEEEEES1T_S1V_S1U_lEENS_32ThreadwiseTensorSliceTransfer_v2ISD_SD_RKS3R_KS1X_NS5_IJLi8ELi1ELi1ELi32EEEENS5_IJLi1ELi2ELi0ELi3EEEELi3ELi32ELi0ELb1ELb0ELb0EEENS3F_ILS3G_1EKSD_lLb1ELS3I_0EiEENSF_IJNS_12StaticBufferILS3G_4ESD_Li256ELb1EEES42_EEES3N_NS_25StaticBufferTupleOfVectorILS3G_4EfLi64ELi4ELb1ELb0EEEEEvRKT1_RKT2_RT3_RKT4_RT5_RKT6_RKT7_RT8_RKT9_RT10_RKT11_RT12_iENKUlT_E0_clINSH_IiLi5EEEEEDaS51_EUlS51_E_EEvS51_EUlS51_E_EEvS51_
	.type	_ZNK2ck6detail7applierIiJLi0ELi1ELi2ELi3ELi4ELi5ELi6ELi7EEEclIZNKS_11static_fordINS_8SequenceIJLi1ELi8EEEENS5_IJLi0ELi1EEEEEclIZZNKS_52BlockwiseGemmXdlops_pipeline_bpreshuffle_bdequant_v3ILNS_26BlockGemmPipelineSchedulerE0ELi256ENS_9f8_fnuz_tENS_7pk_i4_tESC_fNS_16TensorDescriptorINS_5TupleIJNS_5EmbedINSF_IJNS_17integral_constantIiLi8EEENSH_IiLi256EEENSH_IiLi16EEEEEENSF_IJSK_NSH_IiLi128EEENSH_IiLi1EEEEEELb0EEENS_3XorINSF_IJSJ_SI_EEELb1EEENS_11PassThroughISK_EENS_7UnMergeINSF_IJSI_SN_EEELb0EEENST_ISJ_EESU_NST_ISI_EENS_21Merge_v3_division_modINSF_IJSJ_SN_EEEEESU_EEENSF_IJNS5_IJLi0EEEENS5_IJLi2ELi1EEEENS5_IJLi3EEEENS5_IJLi5EEEENS5_IJLi4EEEENS5_IJLi6EEEENS5_IJLi7EEEENS5_IJLi9ELi8EEEENS5_IJLi10EEEEEEENSF_IJNS5_IJLi1ELi2ELi3EEEENS5_IJLi4ELi5EEEES19_NS5_IJLi7ELi8EEEENS5_IJLi9EEEES1C_NS5_IJLi11EEEENS5_IJLi12EEEENS5_IJLi13EEEEEEENS5_IJLi11ELi12ELi13EEEENSH_IlLl32768EEEEENSE_INSF_IJNSV_INSF_IJSI_SN_SN_NSH_IiLi32EEEEEELb0EEEEEENSF_IJS14_EEENSF_IJNS5_IJLi1ELi2ELi3ELi4EEEEEEES1U_NSH_IlLl256EEEEENSE_INSF_IJSP_SS_SU_SX_SY_SU_SZ_S12_SU_NS10_INSF_IJSI_SK_EEEEENSV_INSF_IJSI_NSH_IiLi2EEESK_EEELb0EEEEEENSF_IJS14_S15_S16_S17_S18_S19_S1A_S1B_S1C_NS5_IJLi11ELi13EEEES1J_EEENSF_IJS1E_S1F_S19_S1G_S1H_S1C_S1I_S1J_S1K_NS5_IJLi14EEEENS5_IJLi15ELi16ELi17EEEEEEENS5_IJLi15ELi16ELi17ELi14EEEES1N_EENSE_INSF_IJS1R_NS10_ISW_EES22_EEENSF_IJS14_NS5_IJLi1ELi3EEEENS5_IJLi2EEEEEEENSF_IJS1U_S17_NS5_IJLi6ELi7ELi8EEEEEEENS5_IJLi6ELi7ELi8ELi5EEEES1W_EELi16ELi32ELi256ELi256ELi128ELi16ELi16ELi8ELi8ELi32ELb0EE3RunILb1ELNS_10TailNumberE1ENSE_INSF_IJNSG_INSF_IJiiEEENSF_IJiSN_EEELb0EEENSV_IS2N_Lb0EEENST_IiEEEEENSF_IJS14_S2E_NS5_IJLi1EEEEEEENSF_IJNS5_IJLi1ELi2EEEENS5_IJLi3ELi4EEEES17_EEENS5_IJLi3ELi5ELi4EEEElEES1O_NS_35ThreadGroupTensorSliceTransfer_v4r1INS_15ThisThreadBlockILi256EEENS_16tensor_operation12element_wise11PassThroughES35_LNS_25InMemoryDataOperationEnumE0ENS5_IJLi8ELi256ELi16EEEENS5_IJLi8ELi32ELi1EEEENS5_IJLi1ELi0ELi2EEEESC_SC_RKS2Z_KS1O_S39_NS5_IJLi0ELi1ELi2EEEELi2ELi2ELi16ELi16ELi1ELi1ELb0ELb1ELi2EiEENS_13DynamicBufferILNS_16AddressSpaceEnumE1EKSC_lLb1ELNS_22AmdBufferCoherenceEnumE0EiEENSF_IJNS3F_ILS3G_2ESC_S1N_Lb1ELS3I_0EiEES3K_EEENSF_IJiiiEEENSE_INSF_IJNSG_INSF_IJiiiiEEENSF_IJiiiSN_EEELb0EEEEEES1T_S1V_S1U_lEENS_32ThreadwiseTensorSliceTransfer_v2ISD_SD_RKS3R_KS1X_NS5_IJLi8ELi1ELi1ELi32EEEENS5_IJLi1ELi2ELi0ELi3EEEELi3ELi32ELi0ELb1ELb0ELb0EEENS3F_ILS3G_1EKSD_lLb1ELS3I_0EiEENSF_IJNS_12StaticBufferILS3G_4ESD_Li256ELb1EEES42_EEES3N_NS_25StaticBufferTupleOfVectorILS3G_4EfLi64ELi4ELb1ELb0EEEEEvRKT1_RKT2_RT3_RKT4_RT5_RKT6_RKT7_RT8_RKT9_RT10_RKT11_RT12_iENKUlT_E0_clINSH_IiLi5EEEEEDaS51_EUlS51_E_EEvS51_EUlS51_E_EEvS51_,@function
_ZNK2ck6detail7applierIiJLi0ELi1ELi2ELi3ELi4ELi5ELi6ELi7EEEclIZNKS_11static_fordINS_8SequenceIJLi1ELi8EEEENS5_IJLi0ELi1EEEEEclIZZNKS_52BlockwiseGemmXdlops_pipeline_bpreshuffle_bdequant_v3ILNS_26BlockGemmPipelineSchedulerE0ELi256ENS_9f8_fnuz_tENS_7pk_i4_tESC_fNS_16TensorDescriptorINS_5TupleIJNS_5EmbedINSF_IJNS_17integral_constantIiLi8EEENSH_IiLi256EEENSH_IiLi16EEEEEENSF_IJSK_NSH_IiLi128EEENSH_IiLi1EEEEEELb0EEENS_3XorINSF_IJSJ_SI_EEELb1EEENS_11PassThroughISK_EENS_7UnMergeINSF_IJSI_SN_EEELb0EEENST_ISJ_EESU_NST_ISI_EENS_21Merge_v3_division_modINSF_IJSJ_SN_EEEEESU_EEENSF_IJNS5_IJLi0EEEENS5_IJLi2ELi1EEEENS5_IJLi3EEEENS5_IJLi5EEEENS5_IJLi4EEEENS5_IJLi6EEEENS5_IJLi7EEEENS5_IJLi9ELi8EEEENS5_IJLi10EEEEEEENSF_IJNS5_IJLi1ELi2ELi3EEEENS5_IJLi4ELi5EEEES19_NS5_IJLi7ELi8EEEENS5_IJLi9EEEES1C_NS5_IJLi11EEEENS5_IJLi12EEEENS5_IJLi13EEEEEEENS5_IJLi11ELi12ELi13EEEENSH_IlLl32768EEEEENSE_INSF_IJNSV_INSF_IJSI_SN_SN_NSH_IiLi32EEEEEELb0EEEEEENSF_IJS14_EEENSF_IJNS5_IJLi1ELi2ELi3ELi4EEEEEEES1U_NSH_IlLl256EEEEENSE_INSF_IJSP_SS_SU_SX_SY_SU_SZ_S12_SU_NS10_INSF_IJSI_SK_EEEEENSV_INSF_IJSI_NSH_IiLi2EEESK_EEELb0EEEEEENSF_IJS14_S15_S16_S17_S18_S19_S1A_S1B_S1C_NS5_IJLi11ELi13EEEES1J_EEENSF_IJS1E_S1F_S19_S1G_S1H_S1C_S1I_S1J_S1K_NS5_IJLi14EEEENS5_IJLi15ELi16ELi17EEEEEEENS5_IJLi15ELi16ELi17ELi14EEEES1N_EENSE_INSF_IJS1R_NS10_ISW_EES22_EEENSF_IJS14_NS5_IJLi1ELi3EEEENS5_IJLi2EEEEEEENSF_IJS1U_S17_NS5_IJLi6ELi7ELi8EEEEEEENS5_IJLi6ELi7ELi8ELi5EEEES1W_EELi16ELi32ELi256ELi256ELi128ELi16ELi16ELi8ELi8ELi32ELb0EE3RunILb1ELNS_10TailNumberE1ENSE_INSF_IJNSG_INSF_IJiiEEENSF_IJiSN_EEELb0EEENSV_IS2N_Lb0EEENST_IiEEEEENSF_IJS14_S2E_NS5_IJLi1EEEEEEENSF_IJNS5_IJLi1ELi2EEEENS5_IJLi3ELi4EEEES17_EEENS5_IJLi3ELi5ELi4EEEElEES1O_NS_35ThreadGroupTensorSliceTransfer_v4r1INS_15ThisThreadBlockILi256EEENS_16tensor_operation12element_wise11PassThroughES35_LNS_25InMemoryDataOperationEnumE0ENS5_IJLi8ELi256ELi16EEEENS5_IJLi8ELi32ELi1EEEENS5_IJLi1ELi0ELi2EEEESC_SC_RKS2Z_KS1O_S39_NS5_IJLi0ELi1ELi2EEEELi2ELi2ELi16ELi16ELi1ELi1ELb0ELb1ELi2EiEENS_13DynamicBufferILNS_16AddressSpaceEnumE1EKSC_lLb1ELNS_22AmdBufferCoherenceEnumE0EiEENSF_IJNS3F_ILS3G_2ESC_S1N_Lb1ELS3I_0EiEES3K_EEENSF_IJiiiEEENSE_INSF_IJNSG_INSF_IJiiiiEEENSF_IJiiiSN_EEELb0EEEEEES1T_S1V_S1U_lEENS_32ThreadwiseTensorSliceTransfer_v2ISD_SD_RKS3R_KS1X_NS5_IJLi8ELi1ELi1ELi32EEEENS5_IJLi1ELi2ELi0ELi3EEEELi3ELi32ELi0ELb1ELb0ELb0EEENS3F_ILS3G_1EKSD_lLb1ELS3I_0EiEENSF_IJNS_12StaticBufferILS3G_4ESD_Li256ELb1EEES42_EEES3N_NS_25StaticBufferTupleOfVectorILS3G_4EfLi64ELi4ELb1ELb0EEEEEvRKT1_RKT2_RT3_RKT4_RT5_RKT6_RKT7_RT8_RKT9_RT10_RKT11_RT12_iENKUlT_E0_clINSH_IiLi5EEEEEDaS51_EUlS51_E_EEvS51_EUlS51_E_EEvS51_: ; @_ZNK2ck6detail7applierIiJLi0ELi1ELi2ELi3ELi4ELi5ELi6ELi7EEEclIZNKS_11static_fordINS_8SequenceIJLi1ELi8EEEENS5_IJLi0ELi1EEEEEclIZZNKS_52BlockwiseGemmXdlops_pipeline_bpreshuffle_bdequant_v3ILNS_26BlockGemmPipelineSchedulerE0ELi256ENS_9f8_fnuz_tENS_7pk_i4_tESC_fNS_16TensorDescriptorINS_5TupleIJNS_5EmbedINSF_IJNS_17integral_constantIiLi8EEENSH_IiLi256EEENSH_IiLi16EEEEEENSF_IJSK_NSH_IiLi128EEENSH_IiLi1EEEEEELb0EEENS_3XorINSF_IJSJ_SI_EEELb1EEENS_11PassThroughISK_EENS_7UnMergeINSF_IJSI_SN_EEELb0EEENST_ISJ_EESU_NST_ISI_EENS_21Merge_v3_division_modINSF_IJSJ_SN_EEEEESU_EEENSF_IJNS5_IJLi0EEEENS5_IJLi2ELi1EEEENS5_IJLi3EEEENS5_IJLi5EEEENS5_IJLi4EEEENS5_IJLi6EEEENS5_IJLi7EEEENS5_IJLi9ELi8EEEENS5_IJLi10EEEEEEENSF_IJNS5_IJLi1ELi2ELi3EEEENS5_IJLi4ELi5EEEES19_NS5_IJLi7ELi8EEEENS5_IJLi9EEEES1C_NS5_IJLi11EEEENS5_IJLi12EEEENS5_IJLi13EEEEEEENS5_IJLi11ELi12ELi13EEEENSH_IlLl32768EEEEENSE_INSF_IJNSV_INSF_IJSI_SN_SN_NSH_IiLi32EEEEEELb0EEEEEENSF_IJS14_EEENSF_IJNS5_IJLi1ELi2ELi3ELi4EEEEEEES1U_NSH_IlLl256EEEEENSE_INSF_IJSP_SS_SU_SX_SY_SU_SZ_S12_SU_NS10_INSF_IJSI_SK_EEEEENSV_INSF_IJSI_NSH_IiLi2EEESK_EEELb0EEEEEENSF_IJS14_S15_S16_S17_S18_S19_S1A_S1B_S1C_NS5_IJLi11ELi13EEEES1J_EEENSF_IJS1E_S1F_S19_S1G_S1H_S1C_S1I_S1J_S1K_NS5_IJLi14EEEENS5_IJLi15ELi16ELi17EEEEEEENS5_IJLi15ELi16ELi17ELi14EEEES1N_EENSE_INSF_IJS1R_NS10_ISW_EES22_EEENSF_IJS14_NS5_IJLi1ELi3EEEENS5_IJLi2EEEEEEENSF_IJS1U_S17_NS5_IJLi6ELi7ELi8EEEEEEENS5_IJLi6ELi7ELi8ELi5EEEES1W_EELi16ELi32ELi256ELi256ELi128ELi16ELi16ELi8ELi8ELi32ELb0EE3RunILb1ELNS_10TailNumberE1ENSE_INSF_IJNSG_INSF_IJiiEEENSF_IJiSN_EEELb0EEENSV_IS2N_Lb0EEENST_IiEEEEENSF_IJS14_S2E_NS5_IJLi1EEEEEEENSF_IJNS5_IJLi1ELi2EEEENS5_IJLi3ELi4EEEES17_EEENS5_IJLi3ELi5ELi4EEEElEES1O_NS_35ThreadGroupTensorSliceTransfer_v4r1INS_15ThisThreadBlockILi256EEENS_16tensor_operation12element_wise11PassThroughES35_LNS_25InMemoryDataOperationEnumE0ENS5_IJLi8ELi256ELi16EEEENS5_IJLi8ELi32ELi1EEEENS5_IJLi1ELi0ELi2EEEESC_SC_RKS2Z_KS1O_S39_NS5_IJLi0ELi1ELi2EEEELi2ELi2ELi16ELi16ELi1ELi1ELb0ELb1ELi2EiEENS_13DynamicBufferILNS_16AddressSpaceEnumE1EKSC_lLb1ELNS_22AmdBufferCoherenceEnumE0EiEENSF_IJNS3F_ILS3G_2ESC_S1N_Lb1ELS3I_0EiEES3K_EEENSF_IJiiiEEENSE_INSF_IJNSG_INSF_IJiiiiEEENSF_IJiiiSN_EEELb0EEEEEES1T_S1V_S1U_lEENS_32ThreadwiseTensorSliceTransfer_v2ISD_SD_RKS3R_KS1X_NS5_IJLi8ELi1ELi1ELi32EEEENS5_IJLi1ELi2ELi0ELi3EEEELi3ELi32ELi0ELb1ELb0ELb0EEENS3F_ILS3G_1EKSD_lLb1ELS3I_0EiEENSF_IJNS_12StaticBufferILS3G_4ESD_Li256ELb1EEES42_EEES3N_NS_25StaticBufferTupleOfVectorILS3G_4EfLi64ELi4ELb1ELb0EEEEEvRKT1_RKT2_RT3_RKT4_RT5_RKT6_RKT7_RT8_RKT9_RT10_RKT11_RT12_iENKUlT_E0_clINSH_IiLi5EEEEEDaS51_EUlS51_E_EEvS51_EUlS51_E_EEvS51_
; %bb.0:
	s_waitcnt vmcnt(0) expcnt(0) lgkmcnt(0)
	flat_load_dwordx4 v[20:23], v[0:1] offset:8
	flat_load_dwordx2 v[18:19], v[0:1] offset:24
	s_movk_i32 s4, 0x7f
                                        ; implicit-def: $sgpr10
	s_waitcnt vmcnt(0) lgkmcnt(0)
	flat_load_dwordx4 v[14:17], v[20:21] offset:32
	flat_load_dwordx4 v[6:9], v[20:21] offset:48
	flat_load_dwordx4 v[10:13], v[22:23]
	flat_load_dwordx4 v[2:5], v[22:23] offset:16
	s_waitcnt vmcnt(0) lgkmcnt(0)
	v_cmp_gt_i16_sdwa s[6:7], v14, s4 src0_sel:BYTE_0 src1_sel:DWORD
	s_mov_b64 s[4:5], 0
	s_and_saveexec_b64 s[8:9], s[6:7]
	s_xor_b64 s[6:7], exec, s[8:9]
	s_cbranch_execnz .LBB49_2049
; %bb.1:
	s_or_saveexec_b64 s[6:7], s[6:7]
	v_mov_b32_e32 v20, s10
	s_xor_b64 exec, exec, s[6:7]
	s_cbranch_execnz .LBB49_2052
.LBB49_2:
	s_or_b64 exec, exec, s[6:7]
	s_and_saveexec_b64 s[6:7], s[4:5]
	s_cbranch_execz .LBB49_4
.LBB49_3:
	v_and_b32_e32 v20, 7, v14
	v_ffbh_u32_e32 v22, v20
	v_min_u32_e32 v22, 32, v22
	v_lshrrev_b16_e32 v21, 3, v14
	v_subrev_u32_e32 v23, 28, v22
	v_and_b32_e32 v21, 15, v21
	v_lshlrev_b32_e32 v23, v23, v14
	v_sub_u32_e32 v22, 29, v22
	v_and_b32_e32 v23, 7, v23
	v_cmp_eq_u16_e32 vcc, 0, v21
	v_cndmask_b32_e32 v20, v20, v23, vcc
	v_cndmask_b32_e32 v21, v21, v22, vcc
	v_lshlrev_b32_e32 v22, 24, v14
	v_mov_b32_e32 v23, 0x3b800000
	v_lshlrev_b32_e32 v20, 20, v20
	v_and_b32_e32 v22, 0x80000000, v22
	v_lshl_add_u32 v21, v21, 23, v23
	v_or3_b32 v20, v22, v21, v20
.LBB49_4:
	s_or_b64 exec, exec, s[6:7]
	s_movk_i32 s4, 0x7f
	v_cmp_gt_i16_sdwa s[6:7], v10, s4 src0_sel:BYTE_0 src1_sel:DWORD
	s_mov_b64 s[4:5], 0
                                        ; implicit-def: $sgpr10
	s_and_saveexec_b64 s[8:9], s[6:7]
	s_xor_b64 s[6:7], exec, s[8:9]
	s_cbranch_execnz .LBB49_2053
; %bb.5:
	s_or_saveexec_b64 s[6:7], s[6:7]
	v_mov_b32_e32 v21, s10
	s_xor_b64 exec, exec, s[6:7]
	s_cbranch_execnz .LBB49_2056
.LBB49_6:
	s_or_b64 exec, exec, s[6:7]
	s_and_saveexec_b64 s[6:7], s[4:5]
	s_cbranch_execz .LBB49_8
.LBB49_7:
	v_and_b32_e32 v21, 7, v10
	v_ffbh_u32_e32 v23, v21
	v_min_u32_e32 v23, 32, v23
	v_lshrrev_b16_e32 v22, 3, v10
	v_subrev_u32_e32 v24, 28, v23
	v_and_b32_e32 v22, 15, v22
	v_lshlrev_b32_e32 v24, v24, v10
	v_sub_u32_e32 v23, 29, v23
	v_and_b32_e32 v24, 7, v24
	v_cmp_eq_u16_e32 vcc, 0, v22
	v_cndmask_b32_e32 v21, v21, v24, vcc
	v_cndmask_b32_e32 v22, v22, v23, vcc
	v_lshlrev_b32_e32 v23, 24, v10
	v_mov_b32_e32 v24, 0x3b800000
	v_lshlrev_b32_e32 v21, 20, v21
	v_and_b32_e32 v23, 0x80000000, v23
	v_lshl_add_u32 v22, v22, 23, v24
	v_or3_b32 v21, v23, v22, v21
.LBB49_8:
	s_or_b64 exec, exec, s[6:7]
	flat_load_dwordx4 a[0:3], v[18:19] offset:640
	s_movk_i32 s4, 0x7f
                                        ; implicit-def: $sgpr10
	s_waitcnt vmcnt(0) lgkmcnt(0)
	v_mfma_f32_16x16x4f32 a[0:3], v20, v21, a[0:3]
	v_lshrrev_b32_e32 v21, 8, v14
	v_cmp_gt_i16_sdwa s[6:7], v21, s4 src0_sel:BYTE_0 src1_sel:DWORD
	s_mov_b64 s[4:5], 0
	s_and_saveexec_b64 s[8:9], s[6:7]
	s_xor_b64 s[6:7], exec, s[8:9]
	s_cbranch_execnz .LBB49_2057
; %bb.9:
	s_or_saveexec_b64 s[6:7], s[6:7]
	v_mov_b32_e32 v20, s10
	s_xor_b64 exec, exec, s[6:7]
	s_cbranch_execnz .LBB49_2060
.LBB49_10:
	s_or_b64 exec, exec, s[6:7]
	s_and_saveexec_b64 s[6:7], s[4:5]
	s_cbranch_execz .LBB49_12
.LBB49_11:
	v_bfe_u32 v20, v14, 8, 3
	v_ffbh_u32_e32 v23, v20
	v_min_u32_e32 v23, 32, v23
	v_lshrrev_b16_e32 v22, 3, v21
	v_subrev_u32_e32 v24, 28, v23
	v_and_b32_e32 v22, 15, v22
	v_lshlrev_b32_e32 v21, v24, v21
	v_sub_u32_e32 v23, 29, v23
	v_and_b32_e32 v21, 7, v21
	v_cmp_eq_u16_e32 vcc, 0, v22
	v_cndmask_b32_e32 v20, v20, v21, vcc
	v_cndmask_b32_e32 v21, v22, v23, vcc
	v_lshlrev_b32_e32 v22, 16, v14
	v_mov_b32_e32 v23, 0x3b800000
	v_lshlrev_b32_e32 v20, 20, v20
	v_and_b32_e32 v22, 0x80000000, v22
	v_lshl_add_u32 v21, v21, 23, v23
	v_or3_b32 v20, v22, v21, v20
.LBB49_12:
	s_or_b64 exec, exec, s[6:7]
	v_lshrrev_b32_e32 v21, 8, v10
	s_movk_i32 s4, 0x7f
	v_cmp_gt_i16_sdwa s[6:7], v21, s4 src0_sel:BYTE_0 src1_sel:DWORD
	s_mov_b64 s[4:5], 0
                                        ; implicit-def: $sgpr10
	s_and_saveexec_b64 s[8:9], s[6:7]
	s_xor_b64 s[6:7], exec, s[8:9]
	s_cbranch_execnz .LBB49_2061
; %bb.13:
	s_or_saveexec_b64 s[6:7], s[6:7]
	v_mov_b32_e32 v22, s10
	s_xor_b64 exec, exec, s[6:7]
	s_cbranch_execnz .LBB49_2064
.LBB49_14:
	s_or_b64 exec, exec, s[6:7]
	s_and_saveexec_b64 s[6:7], s[4:5]
	s_cbranch_execz .LBB49_16
.LBB49_15:
	v_bfe_u32 v22, v10, 8, 3
	v_ffbh_u32_e32 v24, v22
	v_min_u32_e32 v24, 32, v24
	v_lshrrev_b16_e32 v23, 3, v21
	v_subrev_u32_e32 v25, 28, v24
	v_and_b32_e32 v23, 15, v23
	v_lshlrev_b32_e32 v21, v25, v21
	v_sub_u32_e32 v24, 29, v24
	v_and_b32_e32 v21, 7, v21
	v_cmp_eq_u16_e32 vcc, 0, v23
	v_cndmask_b32_e32 v21, v22, v21, vcc
	v_cndmask_b32_e32 v22, v23, v24, vcc
	v_lshlrev_b32_e32 v23, 16, v10
	v_mov_b32_e32 v24, 0x3b800000
	v_lshlrev_b32_e32 v21, 20, v21
	v_and_b32_e32 v23, 0x80000000, v23
	v_lshl_add_u32 v22, v22, 23, v24
	v_or3_b32 v22, v23, v22, v21
.LBB49_16:
	s_or_b64 exec, exec, s[6:7]
	s_nop 0
	v_mfma_f32_16x16x4f32 a[0:3], v20, v22, a[0:3]
	s_movk_i32 s4, 0xff
	v_and_b32_sdwa v21, v14, s4 dst_sel:DWORD dst_unused:UNUSED_PAD src0_sel:WORD_1 src1_sel:DWORD
	s_movk_i32 s4, 0x7f
	v_cmp_lt_i16_e32 vcc, s4, v21
	s_mov_b64 s[4:5], 0
                                        ; implicit-def: $sgpr10
	s_and_saveexec_b64 s[6:7], vcc
	s_xor_b64 s[6:7], exec, s[6:7]
	s_cbranch_execnz .LBB49_2065
; %bb.17:
	s_or_saveexec_b64 s[6:7], s[6:7]
	v_mov_b32_e32 v20, s10
	s_xor_b64 exec, exec, s[6:7]
	s_cbranch_execnz .LBB49_2068
.LBB49_18:
	s_or_b64 exec, exec, s[6:7]
	s_and_saveexec_b64 s[6:7], s[4:5]
	s_cbranch_execz .LBB49_20
.LBB49_19:
	v_bfe_u32 v20, v14, 16, 3
	v_ffbh_u32_e32 v23, v20
	v_min_u32_e32 v23, 32, v23
	v_lshrrev_b32_e32 v21, 19, v14
	v_subrev_u32_e32 v24, 28, v23
	v_and_b32_e32 v21, 15, v21
	v_lshlrev_b32_sdwa v24, v24, v14 dst_sel:DWORD dst_unused:UNUSED_PAD src0_sel:DWORD src1_sel:WORD_1
	v_bfe_u32 v22, v14, 19, 4
	v_sub_u32_e32 v23, 29, v23
	v_and_b32_e32 v24, 7, v24
	v_cmp_eq_u16_e32 vcc, 0, v21
	v_cndmask_b32_e32 v20, v20, v24, vcc
	v_cndmask_b32_e32 v21, v22, v23, vcc
	v_lshlrev_b32_e32 v22, 8, v14
	v_mov_b32_e32 v23, 0x3b800000
	v_lshlrev_b32_e32 v20, 20, v20
	v_and_b32_e32 v22, 0x80000000, v22
	v_lshl_add_u32 v21, v21, 23, v23
	v_or3_b32 v20, v22, v21, v20
.LBB49_20:
	s_or_b64 exec, exec, s[6:7]
	s_movk_i32 s4, 0xff
	v_and_b32_sdwa v21, v10, s4 dst_sel:DWORD dst_unused:UNUSED_PAD src0_sel:WORD_1 src1_sel:DWORD
	s_movk_i32 s4, 0x7f
	v_cmp_lt_i16_e32 vcc, s4, v21
	s_mov_b64 s[4:5], 0
                                        ; implicit-def: $sgpr10
	s_and_saveexec_b64 s[6:7], vcc
	s_xor_b64 s[6:7], exec, s[6:7]
	s_cbranch_execnz .LBB49_2069
; %bb.21:
	s_or_saveexec_b64 s[6:7], s[6:7]
	v_mov_b32_e32 v22, s10
	s_xor_b64 exec, exec, s[6:7]
	s_cbranch_execnz .LBB49_2072
.LBB49_22:
	s_or_b64 exec, exec, s[6:7]
	s_and_saveexec_b64 s[6:7], s[4:5]
	s_cbranch_execz .LBB49_24
.LBB49_23:
	v_bfe_u32 v21, v10, 16, 3
	v_ffbh_u32_e32 v24, v21
	v_min_u32_e32 v24, 32, v24
	v_lshrrev_b32_e32 v22, 19, v10
	v_subrev_u32_e32 v25, 28, v24
	v_and_b32_e32 v22, 15, v22
	v_lshlrev_b32_sdwa v25, v25, v10 dst_sel:DWORD dst_unused:UNUSED_PAD src0_sel:DWORD src1_sel:WORD_1
	v_bfe_u32 v23, v10, 19, 4
	v_sub_u32_e32 v24, 29, v24
	v_and_b32_e32 v25, 7, v25
	v_cmp_eq_u16_e32 vcc, 0, v22
	v_cndmask_b32_e32 v21, v21, v25, vcc
	v_cndmask_b32_e32 v22, v23, v24, vcc
	v_lshlrev_b32_e32 v23, 8, v10
	v_mov_b32_e32 v24, 0x3b800000
	v_lshlrev_b32_e32 v21, 20, v21
	v_and_b32_e32 v23, 0x80000000, v23
	v_lshl_add_u32 v22, v22, 23, v24
	v_or3_b32 v22, v23, v22, v21
.LBB49_24:
	s_or_b64 exec, exec, s[6:7]
	s_nop 0
	v_mfma_f32_16x16x4f32 a[0:3], v20, v22, a[0:3]
	s_movk_i32 s4, 0x7f
	v_cmp_gt_i16_sdwa s[6:7], v14, s4 src0_sel:BYTE_3 src1_sel:DWORD
	s_mov_b64 s[4:5], 0
                                        ; implicit-def: $sgpr10
	s_and_saveexec_b64 s[8:9], s[6:7]
	s_xor_b64 s[6:7], exec, s[8:9]
	s_cbranch_execnz .LBB49_2073
; %bb.25:
	s_or_saveexec_b64 s[6:7], s[6:7]
	v_mov_b32_e32 v20, s10
	s_xor_b64 exec, exec, s[6:7]
	s_cbranch_execnz .LBB49_2076
.LBB49_26:
	s_or_b64 exec, exec, s[6:7]
	s_and_saveexec_b64 s[6:7], s[4:5]
	s_cbranch_execz .LBB49_28
.LBB49_27:
	v_bfe_u32 v20, v14, 24, 3
	v_ffbh_u32_e32 v24, v20
	v_min_u32_e32 v24, 32, v24
	v_lshrrev_b32_e32 v22, 27, v14
	v_subrev_u32_e32 v25, 28, v24
	v_and_b32_e32 v21, 0x80000000, v14
	v_and_b32_e32 v22, 15, v22
	v_bfe_u32 v23, v14, 27, 4
	v_lshlrev_b32_sdwa v14, v25, v14 dst_sel:DWORD dst_unused:UNUSED_PAD src0_sel:DWORD src1_sel:BYTE_3
	v_sub_u32_e32 v24, 29, v24
	v_and_b32_e32 v14, 7, v14
	v_cmp_eq_u16_e32 vcc, 0, v22
	v_cndmask_b32_e32 v14, v20, v14, vcc
	v_cndmask_b32_e32 v20, v23, v24, vcc
	v_mov_b32_e32 v22, 0x3b800000
	v_lshlrev_b32_e32 v14, 20, v14
	v_lshl_add_u32 v20, v20, 23, v22
	v_or3_b32 v20, v21, v20, v14
.LBB49_28:
	s_or_b64 exec, exec, s[6:7]
	s_movk_i32 s4, 0x7f
	v_cmp_gt_i16_sdwa s[6:7], v10, s4 src0_sel:BYTE_3 src1_sel:DWORD
	s_mov_b64 s[4:5], 0
                                        ; implicit-def: $sgpr10
	s_and_saveexec_b64 s[8:9], s[6:7]
	s_xor_b64 s[6:7], exec, s[8:9]
	s_cbranch_execnz .LBB49_2077
; %bb.29:
	s_or_saveexec_b64 s[6:7], s[6:7]
	v_mov_b32_e32 v14, s10
	s_xor_b64 exec, exec, s[6:7]
	s_cbranch_execnz .LBB49_2080
.LBB49_30:
	s_or_b64 exec, exec, s[6:7]
	s_and_saveexec_b64 s[6:7], s[4:5]
	s_cbranch_execz .LBB49_32
.LBB49_31:
	v_bfe_u32 v14, v10, 24, 3
	v_ffbh_u32_e32 v24, v14
	v_min_u32_e32 v24, 32, v24
	v_lshrrev_b32_e32 v22, 27, v10
	v_subrev_u32_e32 v25, 28, v24
	v_and_b32_e32 v21, 0x80000000, v10
	v_and_b32_e32 v22, 15, v22
	v_bfe_u32 v23, v10, 27, 4
	v_lshlrev_b32_sdwa v10, v25, v10 dst_sel:DWORD dst_unused:UNUSED_PAD src0_sel:DWORD src1_sel:BYTE_3
	v_sub_u32_e32 v24, 29, v24
	v_and_b32_e32 v10, 7, v10
	v_cmp_eq_u16_e32 vcc, 0, v22
	v_cndmask_b32_e32 v10, v14, v10, vcc
	v_cndmask_b32_e32 v14, v23, v24, vcc
	v_mov_b32_e32 v22, 0x3b800000
	v_lshlrev_b32_e32 v10, 20, v10
	v_lshl_add_u32 v14, v14, 23, v22
	v_or3_b32 v14, v21, v14, v10
.LBB49_32:
	s_or_b64 exec, exec, s[6:7]
	s_nop 0
	v_mfma_f32_16x16x4f32 a[0:3], v20, v14, a[0:3]
	s_movk_i32 s4, 0x7f
	v_cmp_gt_i16_sdwa s[6:7], v15, s4 src0_sel:BYTE_0 src1_sel:DWORD
	s_mov_b64 s[4:5], 0
                                        ; implicit-def: $sgpr10
	s_and_saveexec_b64 s[8:9], s[6:7]
	s_xor_b64 s[6:7], exec, s[8:9]
	s_cbranch_execnz .LBB49_2081
; %bb.33:
	s_or_saveexec_b64 s[6:7], s[6:7]
	v_mov_b32_e32 v10, s10
	s_xor_b64 exec, exec, s[6:7]
	s_cbranch_execnz .LBB49_2084
.LBB49_34:
	s_or_b64 exec, exec, s[6:7]
	s_and_saveexec_b64 s[6:7], s[4:5]
	s_cbranch_execz .LBB49_36
.LBB49_35:
	v_and_b32_e32 v10, 7, v15
	v_ffbh_u32_e32 v20, v10
	v_min_u32_e32 v20, 32, v20
	v_lshrrev_b16_e32 v14, 3, v15
	v_subrev_u32_e32 v21, 28, v20
	v_and_b32_e32 v14, 15, v14
	v_lshlrev_b32_e32 v21, v21, v15
	v_sub_u32_e32 v20, 29, v20
	v_and_b32_e32 v21, 7, v21
	v_cmp_eq_u16_e32 vcc, 0, v14
	v_cndmask_b32_e32 v10, v10, v21, vcc
	v_cndmask_b32_e32 v14, v14, v20, vcc
	v_lshlrev_b32_e32 v20, 24, v15
	v_mov_b32_e32 v21, 0x3b800000
	v_lshlrev_b32_e32 v10, 20, v10
	v_and_b32_e32 v20, 0x80000000, v20
	v_lshl_add_u32 v14, v14, 23, v21
	v_or3_b32 v10, v20, v14, v10
.LBB49_36:
	s_or_b64 exec, exec, s[6:7]
	s_movk_i32 s4, 0x7f
	v_cmp_gt_i16_sdwa s[6:7], v11, s4 src0_sel:BYTE_0 src1_sel:DWORD
	s_mov_b64 s[4:5], 0
                                        ; implicit-def: $sgpr10
	s_and_saveexec_b64 s[8:9], s[6:7]
	s_xor_b64 s[6:7], exec, s[8:9]
	s_cbranch_execnz .LBB49_2085
; %bb.37:
	s_or_saveexec_b64 s[6:7], s[6:7]
	v_mov_b32_e32 v14, s10
	s_xor_b64 exec, exec, s[6:7]
	s_cbranch_execnz .LBB49_2088
.LBB49_38:
	s_or_b64 exec, exec, s[6:7]
	s_and_saveexec_b64 s[6:7], s[4:5]
	s_cbranch_execz .LBB49_40
.LBB49_39:
	v_and_b32_e32 v14, 7, v11
	v_ffbh_u32_e32 v21, v14
	v_min_u32_e32 v21, 32, v21
	v_lshrrev_b16_e32 v20, 3, v11
	v_subrev_u32_e32 v22, 28, v21
	v_and_b32_e32 v20, 15, v20
	v_lshlrev_b32_e32 v22, v22, v11
	v_sub_u32_e32 v21, 29, v21
	v_and_b32_e32 v22, 7, v22
	v_cmp_eq_u16_e32 vcc, 0, v20
	v_cndmask_b32_e32 v14, v14, v22, vcc
	v_cndmask_b32_e32 v20, v20, v21, vcc
	v_lshlrev_b32_e32 v21, 24, v11
	v_mov_b32_e32 v22, 0x3b800000
	v_lshlrev_b32_e32 v14, 20, v14
	v_and_b32_e32 v21, 0x80000000, v21
	v_lshl_add_u32 v20, v20, 23, v22
	v_or3_b32 v14, v21, v20, v14
.LBB49_40:
	s_or_b64 exec, exec, s[6:7]
	s_nop 0
	v_mfma_f32_16x16x4f32 a[0:3], v10, v14, a[0:3]
	v_lshrrev_b32_e32 v14, 8, v15
	s_movk_i32 s4, 0x7f
	v_cmp_gt_i16_sdwa s[6:7], v14, s4 src0_sel:BYTE_0 src1_sel:DWORD
	s_mov_b64 s[4:5], 0
                                        ; implicit-def: $sgpr10
	s_and_saveexec_b64 s[8:9], s[6:7]
	s_xor_b64 s[6:7], exec, s[8:9]
	s_cbranch_execnz .LBB49_2089
; %bb.41:
	s_or_saveexec_b64 s[6:7], s[6:7]
	v_mov_b32_e32 v10, s10
	s_xor_b64 exec, exec, s[6:7]
	s_cbranch_execnz .LBB49_2092
.LBB49_42:
	s_or_b64 exec, exec, s[6:7]
	s_and_saveexec_b64 s[6:7], s[4:5]
	s_cbranch_execz .LBB49_44
.LBB49_43:
	v_bfe_u32 v10, v15, 8, 3
	v_ffbh_u32_e32 v21, v10
	v_min_u32_e32 v21, 32, v21
	v_lshrrev_b16_e32 v20, 3, v14
	v_subrev_u32_e32 v22, 28, v21
	v_and_b32_e32 v20, 15, v20
	v_lshlrev_b32_e32 v14, v22, v14
	v_sub_u32_e32 v21, 29, v21
	v_and_b32_e32 v14, 7, v14
	v_cmp_eq_u16_e32 vcc, 0, v20
	v_cndmask_b32_e32 v10, v10, v14, vcc
	v_cndmask_b32_e32 v14, v20, v21, vcc
	v_lshlrev_b32_e32 v20, 16, v15
	v_mov_b32_e32 v21, 0x3b800000
	v_lshlrev_b32_e32 v10, 20, v10
	v_and_b32_e32 v20, 0x80000000, v20
	v_lshl_add_u32 v14, v14, 23, v21
	v_or3_b32 v10, v20, v14, v10
.LBB49_44:
	s_or_b64 exec, exec, s[6:7]
	v_lshrrev_b32_e32 v14, 8, v11
	s_movk_i32 s4, 0x7f
	v_cmp_gt_i16_sdwa s[6:7], v14, s4 src0_sel:BYTE_0 src1_sel:DWORD
	s_mov_b64 s[4:5], 0
                                        ; implicit-def: $sgpr10
	s_and_saveexec_b64 s[8:9], s[6:7]
	s_xor_b64 s[6:7], exec, s[8:9]
	s_cbranch_execnz .LBB49_2093
; %bb.45:
	s_or_saveexec_b64 s[6:7], s[6:7]
	v_mov_b32_e32 v20, s10
	s_xor_b64 exec, exec, s[6:7]
	s_cbranch_execnz .LBB49_2096
.LBB49_46:
	s_or_b64 exec, exec, s[6:7]
	s_and_saveexec_b64 s[6:7], s[4:5]
	s_cbranch_execz .LBB49_48
.LBB49_47:
	v_bfe_u32 v20, v11, 8, 3
	v_ffbh_u32_e32 v22, v20
	v_min_u32_e32 v22, 32, v22
	v_lshrrev_b16_e32 v21, 3, v14
	v_subrev_u32_e32 v23, 28, v22
	v_and_b32_e32 v21, 15, v21
	v_lshlrev_b32_e32 v14, v23, v14
	v_sub_u32_e32 v22, 29, v22
	v_and_b32_e32 v14, 7, v14
	v_cmp_eq_u16_e32 vcc, 0, v21
	v_cndmask_b32_e32 v14, v20, v14, vcc
	v_cndmask_b32_e32 v20, v21, v22, vcc
	v_lshlrev_b32_e32 v21, 16, v11
	v_mov_b32_e32 v22, 0x3b800000
	v_lshlrev_b32_e32 v14, 20, v14
	v_and_b32_e32 v21, 0x80000000, v21
	v_lshl_add_u32 v20, v20, 23, v22
	v_or3_b32 v20, v21, v20, v14
.LBB49_48:
	s_or_b64 exec, exec, s[6:7]
	s_nop 0
	v_mfma_f32_16x16x4f32 a[0:3], v10, v20, a[0:3]
	s_movk_i32 s4, 0xff
	v_and_b32_sdwa v14, v15, s4 dst_sel:DWORD dst_unused:UNUSED_PAD src0_sel:WORD_1 src1_sel:DWORD
	s_movk_i32 s4, 0x7f
	v_cmp_lt_i16_e32 vcc, s4, v14
	s_mov_b64 s[4:5], 0
                                        ; implicit-def: $sgpr10
	s_and_saveexec_b64 s[6:7], vcc
	s_xor_b64 s[6:7], exec, s[6:7]
	s_cbranch_execnz .LBB49_2097
; %bb.49:
	s_or_saveexec_b64 s[6:7], s[6:7]
	v_mov_b32_e32 v10, s10
	s_xor_b64 exec, exec, s[6:7]
	s_cbranch_execnz .LBB49_2100
.LBB49_50:
	s_or_b64 exec, exec, s[6:7]
	s_and_saveexec_b64 s[6:7], s[4:5]
	s_cbranch_execz .LBB49_52
.LBB49_51:
	v_bfe_u32 v10, v15, 16, 3
	v_ffbh_u32_e32 v21, v10
	v_min_u32_e32 v21, 32, v21
	v_lshrrev_b32_e32 v14, 19, v15
	v_subrev_u32_e32 v22, 28, v21
	v_and_b32_e32 v14, 15, v14
	v_lshlrev_b32_sdwa v22, v22, v15 dst_sel:DWORD dst_unused:UNUSED_PAD src0_sel:DWORD src1_sel:WORD_1
	v_bfe_u32 v20, v15, 19, 4
	v_sub_u32_e32 v21, 29, v21
	v_and_b32_e32 v22, 7, v22
	v_cmp_eq_u16_e32 vcc, 0, v14
	v_cndmask_b32_e32 v10, v10, v22, vcc
	v_cndmask_b32_e32 v14, v20, v21, vcc
	v_lshlrev_b32_e32 v20, 8, v15
	v_mov_b32_e32 v21, 0x3b800000
	v_lshlrev_b32_e32 v10, 20, v10
	v_and_b32_e32 v20, 0x80000000, v20
	v_lshl_add_u32 v14, v14, 23, v21
	v_or3_b32 v10, v20, v14, v10
.LBB49_52:
	s_or_b64 exec, exec, s[6:7]
	s_movk_i32 s4, 0xff
	v_and_b32_sdwa v14, v11, s4 dst_sel:DWORD dst_unused:UNUSED_PAD src0_sel:WORD_1 src1_sel:DWORD
	s_movk_i32 s4, 0x7f
	v_cmp_lt_i16_e32 vcc, s4, v14
	s_mov_b64 s[4:5], 0
                                        ; implicit-def: $sgpr10
	s_and_saveexec_b64 s[6:7], vcc
	s_xor_b64 s[6:7], exec, s[6:7]
	s_cbranch_execnz .LBB49_2101
; %bb.53:
	s_or_saveexec_b64 s[6:7], s[6:7]
	v_mov_b32_e32 v20, s10
	s_xor_b64 exec, exec, s[6:7]
	s_cbranch_execnz .LBB49_2104
.LBB49_54:
	s_or_b64 exec, exec, s[6:7]
	s_and_saveexec_b64 s[6:7], s[4:5]
	s_cbranch_execz .LBB49_56
.LBB49_55:
	v_bfe_u32 v14, v11, 16, 3
	v_ffbh_u32_e32 v22, v14
	v_min_u32_e32 v22, 32, v22
	v_lshrrev_b32_e32 v20, 19, v11
	v_subrev_u32_e32 v23, 28, v22
	v_and_b32_e32 v20, 15, v20
	v_lshlrev_b32_sdwa v23, v23, v11 dst_sel:DWORD dst_unused:UNUSED_PAD src0_sel:DWORD src1_sel:WORD_1
	v_bfe_u32 v21, v11, 19, 4
	v_sub_u32_e32 v22, 29, v22
	v_and_b32_e32 v23, 7, v23
	v_cmp_eq_u16_e32 vcc, 0, v20
	v_cndmask_b32_e32 v14, v14, v23, vcc
	v_cndmask_b32_e32 v20, v21, v22, vcc
	v_lshlrev_b32_e32 v21, 8, v11
	v_mov_b32_e32 v22, 0x3b800000
	v_lshlrev_b32_e32 v14, 20, v14
	v_and_b32_e32 v21, 0x80000000, v21
	v_lshl_add_u32 v20, v20, 23, v22
	v_or3_b32 v20, v21, v20, v14
.LBB49_56:
	s_or_b64 exec, exec, s[6:7]
	s_nop 0
	v_mfma_f32_16x16x4f32 a[0:3], v10, v20, a[0:3]
	s_movk_i32 s4, 0x7f
	v_cmp_gt_i16_sdwa s[6:7], v15, s4 src0_sel:BYTE_3 src1_sel:DWORD
	s_mov_b64 s[4:5], 0
                                        ; implicit-def: $sgpr10
	s_and_saveexec_b64 s[8:9], s[6:7]
	s_xor_b64 s[6:7], exec, s[8:9]
	s_cbranch_execnz .LBB49_2105
; %bb.57:
	s_or_saveexec_b64 s[6:7], s[6:7]
	v_mov_b32_e32 v10, s10
	s_xor_b64 exec, exec, s[6:7]
	s_cbranch_execnz .LBB49_2108
.LBB49_58:
	s_or_b64 exec, exec, s[6:7]
	s_and_saveexec_b64 s[6:7], s[4:5]
	s_cbranch_execz .LBB49_60
.LBB49_59:
	v_bfe_u32 v10, v15, 24, 3
	v_ffbh_u32_e32 v22, v10
	v_min_u32_e32 v22, 32, v22
	v_lshrrev_b32_e32 v20, 27, v15
	v_subrev_u32_e32 v23, 28, v22
	v_and_b32_e32 v14, 0x80000000, v15
	v_and_b32_e32 v20, 15, v20
	v_bfe_u32 v21, v15, 27, 4
	v_lshlrev_b32_sdwa v15, v23, v15 dst_sel:DWORD dst_unused:UNUSED_PAD src0_sel:DWORD src1_sel:BYTE_3
	v_sub_u32_e32 v22, 29, v22
	v_and_b32_e32 v15, 7, v15
	v_cmp_eq_u16_e32 vcc, 0, v20
	v_cndmask_b32_e32 v10, v10, v15, vcc
	v_cndmask_b32_e32 v15, v21, v22, vcc
	v_mov_b32_e32 v20, 0x3b800000
	v_lshlrev_b32_e32 v10, 20, v10
	v_lshl_add_u32 v15, v15, 23, v20
	v_or3_b32 v10, v14, v15, v10
.LBB49_60:
	s_or_b64 exec, exec, s[6:7]
	s_movk_i32 s4, 0x7f
	v_cmp_gt_i16_sdwa s[6:7], v11, s4 src0_sel:BYTE_3 src1_sel:DWORD
	s_mov_b64 s[4:5], 0
                                        ; implicit-def: $sgpr10
	s_and_saveexec_b64 s[8:9], s[6:7]
	s_xor_b64 s[6:7], exec, s[8:9]
	s_cbranch_execnz .LBB49_2109
; %bb.61:
	s_or_saveexec_b64 s[6:7], s[6:7]
	v_mov_b32_e32 v14, s10
	s_xor_b64 exec, exec, s[6:7]
	s_cbranch_execnz .LBB49_2112
.LBB49_62:
	s_or_b64 exec, exec, s[6:7]
	s_and_saveexec_b64 s[6:7], s[4:5]
	s_cbranch_execz .LBB49_64
.LBB49_63:
	v_bfe_u32 v14, v11, 24, 3
	v_ffbh_u32_e32 v22, v14
	v_min_u32_e32 v22, 32, v22
	v_lshrrev_b32_e32 v20, 27, v11
	v_subrev_u32_e32 v23, 28, v22
	v_and_b32_e32 v15, 0x80000000, v11
	v_and_b32_e32 v20, 15, v20
	v_bfe_u32 v21, v11, 27, 4
	v_lshlrev_b32_sdwa v11, v23, v11 dst_sel:DWORD dst_unused:UNUSED_PAD src0_sel:DWORD src1_sel:BYTE_3
	v_sub_u32_e32 v22, 29, v22
	v_and_b32_e32 v11, 7, v11
	v_cmp_eq_u16_e32 vcc, 0, v20
	v_cndmask_b32_e32 v11, v14, v11, vcc
	v_cndmask_b32_e32 v14, v21, v22, vcc
	v_mov_b32_e32 v20, 0x3b800000
	v_lshlrev_b32_e32 v11, 20, v11
	v_lshl_add_u32 v14, v14, 23, v20
	v_or3_b32 v14, v15, v14, v11
.LBB49_64:
	s_or_b64 exec, exec, s[6:7]
	s_nop 0
	v_mfma_f32_16x16x4f32 a[0:3], v10, v14, a[0:3]
	s_movk_i32 s4, 0x7f
	v_cmp_gt_i16_sdwa s[6:7], v16, s4 src0_sel:BYTE_0 src1_sel:DWORD
	s_mov_b64 s[4:5], 0
                                        ; implicit-def: $sgpr10
	s_and_saveexec_b64 s[8:9], s[6:7]
	s_xor_b64 s[6:7], exec, s[8:9]
	s_cbranch_execnz .LBB49_2113
; %bb.65:
	s_or_saveexec_b64 s[6:7], s[6:7]
	v_mov_b32_e32 v10, s10
	s_xor_b64 exec, exec, s[6:7]
	s_cbranch_execnz .LBB49_2116
.LBB49_66:
	s_or_b64 exec, exec, s[6:7]
	s_and_saveexec_b64 s[6:7], s[4:5]
	s_cbranch_execz .LBB49_68
.LBB49_67:
	v_and_b32_e32 v10, 7, v16
	v_ffbh_u32_e32 v14, v10
	v_min_u32_e32 v14, 32, v14
	v_lshrrev_b16_e32 v11, 3, v16
	v_subrev_u32_e32 v15, 28, v14
	v_and_b32_e32 v11, 15, v11
	v_lshlrev_b32_e32 v15, v15, v16
	v_sub_u32_e32 v14, 29, v14
	v_and_b32_e32 v15, 7, v15
	v_cmp_eq_u16_e32 vcc, 0, v11
	v_cndmask_b32_e32 v10, v10, v15, vcc
	v_cndmask_b32_e32 v11, v11, v14, vcc
	v_lshlrev_b32_e32 v14, 24, v16
	v_mov_b32_e32 v15, 0x3b800000
	v_lshlrev_b32_e32 v10, 20, v10
	v_and_b32_e32 v14, 0x80000000, v14
	v_lshl_add_u32 v11, v11, 23, v15
	v_or3_b32 v10, v14, v11, v10
.LBB49_68:
	s_or_b64 exec, exec, s[6:7]
	s_movk_i32 s4, 0x7f
	v_cmp_gt_i16_sdwa s[6:7], v12, s4 src0_sel:BYTE_0 src1_sel:DWORD
	s_mov_b64 s[4:5], 0
                                        ; implicit-def: $sgpr10
	s_and_saveexec_b64 s[8:9], s[6:7]
	s_xor_b64 s[6:7], exec, s[8:9]
	s_cbranch_execnz .LBB49_2117
; %bb.69:
	s_or_saveexec_b64 s[6:7], s[6:7]
	v_mov_b32_e32 v11, s10
	s_xor_b64 exec, exec, s[6:7]
	s_cbranch_execnz .LBB49_2120
.LBB49_70:
	s_or_b64 exec, exec, s[6:7]
	s_and_saveexec_b64 s[6:7], s[4:5]
	s_cbranch_execz .LBB49_72
.LBB49_71:
	v_and_b32_e32 v11, 7, v12
	v_ffbh_u32_e32 v15, v11
	v_min_u32_e32 v15, 32, v15
	v_lshrrev_b16_e32 v14, 3, v12
	v_subrev_u32_e32 v20, 28, v15
	v_and_b32_e32 v14, 15, v14
	v_lshlrev_b32_e32 v20, v20, v12
	v_sub_u32_e32 v15, 29, v15
	v_and_b32_e32 v20, 7, v20
	v_cmp_eq_u16_e32 vcc, 0, v14
	v_cndmask_b32_e32 v11, v11, v20, vcc
	v_cndmask_b32_e32 v14, v14, v15, vcc
	v_lshlrev_b32_e32 v15, 24, v12
	v_mov_b32_e32 v20, 0x3b800000
	v_lshlrev_b32_e32 v11, 20, v11
	v_and_b32_e32 v15, 0x80000000, v15
	v_lshl_add_u32 v14, v14, 23, v20
	v_or3_b32 v11, v15, v14, v11
.LBB49_72:
	s_or_b64 exec, exec, s[6:7]
	s_nop 0
	v_mfma_f32_16x16x4f32 a[0:3], v10, v11, a[0:3]
	v_lshrrev_b32_e32 v11, 8, v16
	s_movk_i32 s4, 0x7f
	v_cmp_gt_i16_sdwa s[6:7], v11, s4 src0_sel:BYTE_0 src1_sel:DWORD
	s_mov_b64 s[4:5], 0
                                        ; implicit-def: $sgpr10
	s_and_saveexec_b64 s[8:9], s[6:7]
	s_xor_b64 s[6:7], exec, s[8:9]
	s_cbranch_execnz .LBB49_2121
; %bb.73:
	s_or_saveexec_b64 s[6:7], s[6:7]
	v_mov_b32_e32 v10, s10
	s_xor_b64 exec, exec, s[6:7]
	s_cbranch_execnz .LBB49_2124
.LBB49_74:
	s_or_b64 exec, exec, s[6:7]
	s_and_saveexec_b64 s[6:7], s[4:5]
	s_cbranch_execz .LBB49_76
.LBB49_75:
	v_bfe_u32 v10, v16, 8, 3
	v_ffbh_u32_e32 v15, v10
	v_min_u32_e32 v15, 32, v15
	v_lshrrev_b16_e32 v14, 3, v11
	v_subrev_u32_e32 v20, 28, v15
	v_and_b32_e32 v14, 15, v14
	v_lshlrev_b32_e32 v11, v20, v11
	v_sub_u32_e32 v15, 29, v15
	v_and_b32_e32 v11, 7, v11
	v_cmp_eq_u16_e32 vcc, 0, v14
	v_cndmask_b32_e32 v10, v10, v11, vcc
	v_cndmask_b32_e32 v11, v14, v15, vcc
	v_lshlrev_b32_e32 v14, 16, v16
	v_mov_b32_e32 v15, 0x3b800000
	v_lshlrev_b32_e32 v10, 20, v10
	v_and_b32_e32 v14, 0x80000000, v14
	v_lshl_add_u32 v11, v11, 23, v15
	v_or3_b32 v10, v14, v11, v10
.LBB49_76:
	s_or_b64 exec, exec, s[6:7]
	v_lshrrev_b32_e32 v11, 8, v12
	s_movk_i32 s4, 0x7f
	v_cmp_gt_i16_sdwa s[6:7], v11, s4 src0_sel:BYTE_0 src1_sel:DWORD
	s_mov_b64 s[4:5], 0
                                        ; implicit-def: $sgpr10
	s_and_saveexec_b64 s[8:9], s[6:7]
	s_xor_b64 s[6:7], exec, s[8:9]
	s_cbranch_execnz .LBB49_2125
; %bb.77:
	s_or_saveexec_b64 s[6:7], s[6:7]
	v_mov_b32_e32 v14, s10
	s_xor_b64 exec, exec, s[6:7]
	s_cbranch_execnz .LBB49_2128
.LBB49_78:
	s_or_b64 exec, exec, s[6:7]
	s_and_saveexec_b64 s[6:7], s[4:5]
	s_cbranch_execz .LBB49_80
.LBB49_79:
	v_bfe_u32 v14, v12, 8, 3
	v_ffbh_u32_e32 v20, v14
	v_min_u32_e32 v20, 32, v20
	v_lshrrev_b16_e32 v15, 3, v11
	v_subrev_u32_e32 v21, 28, v20
	v_and_b32_e32 v15, 15, v15
	v_lshlrev_b32_e32 v11, v21, v11
	v_sub_u32_e32 v20, 29, v20
	v_and_b32_e32 v11, 7, v11
	v_cmp_eq_u16_e32 vcc, 0, v15
	v_cndmask_b32_e32 v11, v14, v11, vcc
	v_cndmask_b32_e32 v14, v15, v20, vcc
	v_lshlrev_b32_e32 v15, 16, v12
	v_mov_b32_e32 v20, 0x3b800000
	v_lshlrev_b32_e32 v11, 20, v11
	v_and_b32_e32 v15, 0x80000000, v15
	v_lshl_add_u32 v14, v14, 23, v20
	v_or3_b32 v14, v15, v14, v11
.LBB49_80:
	s_or_b64 exec, exec, s[6:7]
	s_nop 0
	v_mfma_f32_16x16x4f32 a[0:3], v10, v14, a[0:3]
	s_movk_i32 s4, 0xff
	v_and_b32_sdwa v11, v16, s4 dst_sel:DWORD dst_unused:UNUSED_PAD src0_sel:WORD_1 src1_sel:DWORD
	s_movk_i32 s4, 0x7f
	v_cmp_lt_i16_e32 vcc, s4, v11
	s_mov_b64 s[4:5], 0
                                        ; implicit-def: $sgpr10
	s_and_saveexec_b64 s[6:7], vcc
	s_xor_b64 s[6:7], exec, s[6:7]
	s_cbranch_execnz .LBB49_2129
; %bb.81:
	s_or_saveexec_b64 s[6:7], s[6:7]
	v_mov_b32_e32 v10, s10
	s_xor_b64 exec, exec, s[6:7]
	s_cbranch_execnz .LBB49_2132
.LBB49_82:
	s_or_b64 exec, exec, s[6:7]
	s_and_saveexec_b64 s[6:7], s[4:5]
	s_cbranch_execz .LBB49_84
.LBB49_83:
	v_bfe_u32 v10, v16, 16, 3
	v_ffbh_u32_e32 v15, v10
	v_min_u32_e32 v15, 32, v15
	v_lshrrev_b32_e32 v11, 19, v16
	v_subrev_u32_e32 v20, 28, v15
	v_and_b32_e32 v11, 15, v11
	v_lshlrev_b32_sdwa v20, v20, v16 dst_sel:DWORD dst_unused:UNUSED_PAD src0_sel:DWORD src1_sel:WORD_1
	v_bfe_u32 v14, v16, 19, 4
	v_sub_u32_e32 v15, 29, v15
	v_and_b32_e32 v20, 7, v20
	v_cmp_eq_u16_e32 vcc, 0, v11
	v_cndmask_b32_e32 v10, v10, v20, vcc
	v_cndmask_b32_e32 v11, v14, v15, vcc
	v_lshlrev_b32_e32 v14, 8, v16
	v_mov_b32_e32 v15, 0x3b800000
	v_lshlrev_b32_e32 v10, 20, v10
	v_and_b32_e32 v14, 0x80000000, v14
	v_lshl_add_u32 v11, v11, 23, v15
	v_or3_b32 v10, v14, v11, v10
.LBB49_84:
	s_or_b64 exec, exec, s[6:7]
	s_movk_i32 s4, 0xff
	v_and_b32_sdwa v11, v12, s4 dst_sel:DWORD dst_unused:UNUSED_PAD src0_sel:WORD_1 src1_sel:DWORD
	s_movk_i32 s4, 0x7f
	v_cmp_lt_i16_e32 vcc, s4, v11
	s_mov_b64 s[4:5], 0
                                        ; implicit-def: $sgpr10
	s_and_saveexec_b64 s[6:7], vcc
	s_xor_b64 s[6:7], exec, s[6:7]
	s_cbranch_execnz .LBB49_2133
; %bb.85:
	s_or_saveexec_b64 s[6:7], s[6:7]
	v_mov_b32_e32 v14, s10
	s_xor_b64 exec, exec, s[6:7]
	s_cbranch_execnz .LBB49_2136
.LBB49_86:
	s_or_b64 exec, exec, s[6:7]
	s_and_saveexec_b64 s[6:7], s[4:5]
	s_cbranch_execz .LBB49_88
.LBB49_87:
	v_bfe_u32 v11, v12, 16, 3
	v_ffbh_u32_e32 v20, v11
	v_min_u32_e32 v20, 32, v20
	v_lshrrev_b32_e32 v14, 19, v12
	v_subrev_u32_e32 v21, 28, v20
	v_and_b32_e32 v14, 15, v14
	v_lshlrev_b32_sdwa v21, v21, v12 dst_sel:DWORD dst_unused:UNUSED_PAD src0_sel:DWORD src1_sel:WORD_1
	v_bfe_u32 v15, v12, 19, 4
	v_sub_u32_e32 v20, 29, v20
	v_and_b32_e32 v21, 7, v21
	v_cmp_eq_u16_e32 vcc, 0, v14
	v_cndmask_b32_e32 v11, v11, v21, vcc
	v_cndmask_b32_e32 v14, v15, v20, vcc
	v_lshlrev_b32_e32 v15, 8, v12
	v_mov_b32_e32 v20, 0x3b800000
	v_lshlrev_b32_e32 v11, 20, v11
	v_and_b32_e32 v15, 0x80000000, v15
	v_lshl_add_u32 v14, v14, 23, v20
	v_or3_b32 v14, v15, v14, v11
.LBB49_88:
	s_or_b64 exec, exec, s[6:7]
	s_nop 0
	v_mfma_f32_16x16x4f32 a[0:3], v10, v14, a[0:3]
	s_movk_i32 s4, 0x7f
	v_cmp_gt_i16_sdwa s[6:7], v16, s4 src0_sel:BYTE_3 src1_sel:DWORD
	s_mov_b64 s[4:5], 0
                                        ; implicit-def: $sgpr10
	s_and_saveexec_b64 s[8:9], s[6:7]
	s_xor_b64 s[6:7], exec, s[8:9]
	s_cbranch_execnz .LBB49_2137
; %bb.89:
	s_or_saveexec_b64 s[6:7], s[6:7]
	v_mov_b32_e32 v10, s10
	s_xor_b64 exec, exec, s[6:7]
	s_cbranch_execnz .LBB49_2140
.LBB49_90:
	s_or_b64 exec, exec, s[6:7]
	s_and_saveexec_b64 s[6:7], s[4:5]
	s_cbranch_execz .LBB49_92
.LBB49_91:
	v_bfe_u32 v10, v16, 24, 3
	v_ffbh_u32_e32 v20, v10
	v_min_u32_e32 v20, 32, v20
	v_lshrrev_b32_e32 v14, 27, v16
	v_subrev_u32_e32 v21, 28, v20
	v_and_b32_e32 v11, 0x80000000, v16
	v_and_b32_e32 v14, 15, v14
	v_bfe_u32 v15, v16, 27, 4
	v_lshlrev_b32_sdwa v16, v21, v16 dst_sel:DWORD dst_unused:UNUSED_PAD src0_sel:DWORD src1_sel:BYTE_3
	v_sub_u32_e32 v20, 29, v20
	v_and_b32_e32 v16, 7, v16
	v_cmp_eq_u16_e32 vcc, 0, v14
	v_cndmask_b32_e32 v10, v10, v16, vcc
	v_cndmask_b32_e32 v14, v15, v20, vcc
	v_mov_b32_e32 v15, 0x3b800000
	v_lshlrev_b32_e32 v10, 20, v10
	v_lshl_add_u32 v14, v14, 23, v15
	v_or3_b32 v10, v11, v14, v10
.LBB49_92:
	s_or_b64 exec, exec, s[6:7]
	s_movk_i32 s4, 0x7f
	v_cmp_gt_i16_sdwa s[6:7], v12, s4 src0_sel:BYTE_3 src1_sel:DWORD
	s_mov_b64 s[4:5], 0
                                        ; implicit-def: $sgpr10
	s_and_saveexec_b64 s[8:9], s[6:7]
	s_xor_b64 s[6:7], exec, s[8:9]
	s_cbranch_execnz .LBB49_2141
; %bb.93:
	s_or_saveexec_b64 s[6:7], s[6:7]
	v_mov_b32_e32 v11, s10
	s_xor_b64 exec, exec, s[6:7]
	s_cbranch_execnz .LBB49_2144
.LBB49_94:
	s_or_b64 exec, exec, s[6:7]
	s_and_saveexec_b64 s[6:7], s[4:5]
	s_cbranch_execz .LBB49_96
.LBB49_95:
	v_bfe_u32 v11, v12, 24, 3
	v_ffbh_u32_e32 v20, v11
	v_min_u32_e32 v20, 32, v20
	v_lshrrev_b32_e32 v15, 27, v12
	v_subrev_u32_e32 v21, 28, v20
	v_and_b32_e32 v14, 0x80000000, v12
	v_and_b32_e32 v15, 15, v15
	v_bfe_u32 v16, v12, 27, 4
	v_lshlrev_b32_sdwa v12, v21, v12 dst_sel:DWORD dst_unused:UNUSED_PAD src0_sel:DWORD src1_sel:BYTE_3
	v_sub_u32_e32 v20, 29, v20
	v_and_b32_e32 v12, 7, v12
	v_cmp_eq_u16_e32 vcc, 0, v15
	v_cndmask_b32_e32 v11, v11, v12, vcc
	v_cndmask_b32_e32 v12, v16, v20, vcc
	v_mov_b32_e32 v15, 0x3b800000
	v_lshlrev_b32_e32 v11, 20, v11
	v_lshl_add_u32 v12, v12, 23, v15
	v_or3_b32 v11, v14, v12, v11
.LBB49_96:
	s_or_b64 exec, exec, s[6:7]
	s_nop 0
	v_mfma_f32_16x16x4f32 a[0:3], v10, v11, a[0:3]
	s_movk_i32 s4, 0x7f
	v_cmp_gt_i16_sdwa s[6:7], v17, s4 src0_sel:BYTE_0 src1_sel:DWORD
	s_mov_b64 s[4:5], 0
                                        ; implicit-def: $sgpr10
	s_and_saveexec_b64 s[8:9], s[6:7]
	s_xor_b64 s[6:7], exec, s[8:9]
	s_cbranch_execnz .LBB49_2145
; %bb.97:
	s_or_saveexec_b64 s[6:7], s[6:7]
	v_mov_b32_e32 v10, s10
	s_xor_b64 exec, exec, s[6:7]
	s_cbranch_execnz .LBB49_2148
.LBB49_98:
	s_or_b64 exec, exec, s[6:7]
	s_and_saveexec_b64 s[6:7], s[4:5]
	s_cbranch_execz .LBB49_100
.LBB49_99:
	v_and_b32_e32 v10, 7, v17
	v_ffbh_u32_e32 v12, v10
	v_min_u32_e32 v12, 32, v12
	v_lshrrev_b16_e32 v11, 3, v17
	v_subrev_u32_e32 v14, 28, v12
	v_and_b32_e32 v11, 15, v11
	v_lshlrev_b32_e32 v14, v14, v17
	v_sub_u32_e32 v12, 29, v12
	v_and_b32_e32 v14, 7, v14
	v_cmp_eq_u16_e32 vcc, 0, v11
	v_cndmask_b32_e32 v10, v10, v14, vcc
	v_cndmask_b32_e32 v11, v11, v12, vcc
	v_lshlrev_b32_e32 v12, 24, v17
	v_mov_b32_e32 v14, 0x3b800000
	v_lshlrev_b32_e32 v10, 20, v10
	v_and_b32_e32 v12, 0x80000000, v12
	v_lshl_add_u32 v11, v11, 23, v14
	v_or3_b32 v10, v12, v11, v10
.LBB49_100:
	s_or_b64 exec, exec, s[6:7]
	s_movk_i32 s4, 0x7f
	v_cmp_gt_i16_sdwa s[6:7], v13, s4 src0_sel:BYTE_0 src1_sel:DWORD
	s_mov_b64 s[4:5], 0
                                        ; implicit-def: $sgpr10
	s_and_saveexec_b64 s[8:9], s[6:7]
	s_xor_b64 s[6:7], exec, s[8:9]
	s_cbranch_execnz .LBB49_2149
; %bb.101:
	s_or_saveexec_b64 s[6:7], s[6:7]
	v_mov_b32_e32 v11, s10
	s_xor_b64 exec, exec, s[6:7]
	s_cbranch_execnz .LBB49_2152
.LBB49_102:
	s_or_b64 exec, exec, s[6:7]
	s_and_saveexec_b64 s[6:7], s[4:5]
	s_cbranch_execz .LBB49_104
.LBB49_103:
	v_and_b32_e32 v11, 7, v13
	v_ffbh_u32_e32 v14, v11
	v_min_u32_e32 v14, 32, v14
	v_lshrrev_b16_e32 v12, 3, v13
	v_subrev_u32_e32 v15, 28, v14
	v_and_b32_e32 v12, 15, v12
	v_lshlrev_b32_e32 v15, v15, v13
	v_sub_u32_e32 v14, 29, v14
	v_and_b32_e32 v15, 7, v15
	v_cmp_eq_u16_e32 vcc, 0, v12
	v_cndmask_b32_e32 v11, v11, v15, vcc
	v_cndmask_b32_e32 v12, v12, v14, vcc
	v_lshlrev_b32_e32 v14, 24, v13
	v_mov_b32_e32 v15, 0x3b800000
	v_lshlrev_b32_e32 v11, 20, v11
	v_and_b32_e32 v14, 0x80000000, v14
	v_lshl_add_u32 v12, v12, 23, v15
	v_or3_b32 v11, v14, v12, v11
.LBB49_104:
	s_or_b64 exec, exec, s[6:7]
	s_nop 0
	v_mfma_f32_16x16x4f32 a[0:3], v10, v11, a[0:3]
	v_lshrrev_b32_e32 v11, 8, v17
	s_movk_i32 s4, 0x7f
	v_cmp_gt_i16_sdwa s[6:7], v11, s4 src0_sel:BYTE_0 src1_sel:DWORD
	s_mov_b64 s[4:5], 0
                                        ; implicit-def: $sgpr10
	s_and_saveexec_b64 s[8:9], s[6:7]
	s_xor_b64 s[6:7], exec, s[8:9]
	s_cbranch_execnz .LBB49_2153
; %bb.105:
	s_or_saveexec_b64 s[6:7], s[6:7]
	v_mov_b32_e32 v10, s10
	s_xor_b64 exec, exec, s[6:7]
	s_cbranch_execnz .LBB49_2156
.LBB49_106:
	s_or_b64 exec, exec, s[6:7]
	s_and_saveexec_b64 s[6:7], s[4:5]
	s_cbranch_execz .LBB49_108
.LBB49_107:
	v_bfe_u32 v10, v17, 8, 3
	v_ffbh_u32_e32 v14, v10
	v_min_u32_e32 v14, 32, v14
	v_lshrrev_b16_e32 v12, 3, v11
	v_subrev_u32_e32 v15, 28, v14
	v_and_b32_e32 v12, 15, v12
	v_lshlrev_b32_e32 v11, v15, v11
	v_sub_u32_e32 v14, 29, v14
	v_and_b32_e32 v11, 7, v11
	v_cmp_eq_u16_e32 vcc, 0, v12
	v_cndmask_b32_e32 v10, v10, v11, vcc
	v_cndmask_b32_e32 v11, v12, v14, vcc
	v_lshlrev_b32_e32 v12, 16, v17
	v_mov_b32_e32 v14, 0x3b800000
	v_lshlrev_b32_e32 v10, 20, v10
	v_and_b32_e32 v12, 0x80000000, v12
	v_lshl_add_u32 v11, v11, 23, v14
	v_or3_b32 v10, v12, v11, v10
.LBB49_108:
	s_or_b64 exec, exec, s[6:7]
	v_lshrrev_b32_e32 v11, 8, v13
	s_movk_i32 s4, 0x7f
	v_cmp_gt_i16_sdwa s[6:7], v11, s4 src0_sel:BYTE_0 src1_sel:DWORD
	s_mov_b64 s[4:5], 0
                                        ; implicit-def: $sgpr10
	s_and_saveexec_b64 s[8:9], s[6:7]
	s_xor_b64 s[6:7], exec, s[8:9]
	s_cbranch_execnz .LBB49_2157
; %bb.109:
	s_or_saveexec_b64 s[6:7], s[6:7]
	v_mov_b32_e32 v12, s10
	s_xor_b64 exec, exec, s[6:7]
	s_cbranch_execnz .LBB49_2160
.LBB49_110:
	s_or_b64 exec, exec, s[6:7]
	s_and_saveexec_b64 s[6:7], s[4:5]
	s_cbranch_execz .LBB49_112
.LBB49_111:
	v_bfe_u32 v12, v13, 8, 3
	v_ffbh_u32_e32 v15, v12
	v_min_u32_e32 v15, 32, v15
	v_lshrrev_b16_e32 v14, 3, v11
	v_subrev_u32_e32 v16, 28, v15
	v_and_b32_e32 v14, 15, v14
	v_lshlrev_b32_e32 v11, v16, v11
	v_sub_u32_e32 v15, 29, v15
	v_and_b32_e32 v11, 7, v11
	v_cmp_eq_u16_e32 vcc, 0, v14
	v_cndmask_b32_e32 v11, v12, v11, vcc
	v_cndmask_b32_e32 v12, v14, v15, vcc
	v_lshlrev_b32_e32 v14, 16, v13
	v_mov_b32_e32 v15, 0x3b800000
	v_lshlrev_b32_e32 v11, 20, v11
	v_and_b32_e32 v14, 0x80000000, v14
	v_lshl_add_u32 v12, v12, 23, v15
	v_or3_b32 v12, v14, v12, v11
.LBB49_112:
	s_or_b64 exec, exec, s[6:7]
	s_nop 0
	v_mfma_f32_16x16x4f32 a[0:3], v10, v12, a[0:3]
	s_movk_i32 s4, 0xff
	v_and_b32_sdwa v11, v17, s4 dst_sel:DWORD dst_unused:UNUSED_PAD src0_sel:WORD_1 src1_sel:DWORD
	s_movk_i32 s4, 0x7f
	v_cmp_lt_i16_e32 vcc, s4, v11
	s_mov_b64 s[4:5], 0
                                        ; implicit-def: $sgpr10
	s_and_saveexec_b64 s[6:7], vcc
	s_xor_b64 s[6:7], exec, s[6:7]
	s_cbranch_execnz .LBB49_2161
; %bb.113:
	s_or_saveexec_b64 s[6:7], s[6:7]
	v_mov_b32_e32 v10, s10
	s_xor_b64 exec, exec, s[6:7]
	s_cbranch_execnz .LBB49_2164
.LBB49_114:
	s_or_b64 exec, exec, s[6:7]
	s_and_saveexec_b64 s[6:7], s[4:5]
	s_cbranch_execz .LBB49_116
.LBB49_115:
	v_bfe_u32 v10, v17, 16, 3
	v_ffbh_u32_e32 v14, v10
	v_min_u32_e32 v14, 32, v14
	v_lshrrev_b32_e32 v11, 19, v17
	v_subrev_u32_e32 v15, 28, v14
	v_and_b32_e32 v11, 15, v11
	v_lshlrev_b32_sdwa v15, v15, v17 dst_sel:DWORD dst_unused:UNUSED_PAD src0_sel:DWORD src1_sel:WORD_1
	v_bfe_u32 v12, v17, 19, 4
	v_sub_u32_e32 v14, 29, v14
	v_and_b32_e32 v15, 7, v15
	v_cmp_eq_u16_e32 vcc, 0, v11
	v_cndmask_b32_e32 v10, v10, v15, vcc
	v_cndmask_b32_e32 v11, v12, v14, vcc
	v_lshlrev_b32_e32 v12, 8, v17
	v_mov_b32_e32 v14, 0x3b800000
	v_lshlrev_b32_e32 v10, 20, v10
	v_and_b32_e32 v12, 0x80000000, v12
	v_lshl_add_u32 v11, v11, 23, v14
	v_or3_b32 v10, v12, v11, v10
.LBB49_116:
	s_or_b64 exec, exec, s[6:7]
	s_movk_i32 s4, 0xff
	v_and_b32_sdwa v11, v13, s4 dst_sel:DWORD dst_unused:UNUSED_PAD src0_sel:WORD_1 src1_sel:DWORD
	s_movk_i32 s4, 0x7f
	v_cmp_lt_i16_e32 vcc, s4, v11
	s_mov_b64 s[4:5], 0
                                        ; implicit-def: $sgpr10
	s_and_saveexec_b64 s[6:7], vcc
	s_xor_b64 s[6:7], exec, s[6:7]
	s_cbranch_execnz .LBB49_2165
; %bb.117:
	s_or_saveexec_b64 s[6:7], s[6:7]
	v_mov_b32_e32 v12, s10
	s_xor_b64 exec, exec, s[6:7]
	s_cbranch_execnz .LBB49_2168
.LBB49_118:
	s_or_b64 exec, exec, s[6:7]
	s_and_saveexec_b64 s[6:7], s[4:5]
	s_cbranch_execz .LBB49_120
.LBB49_119:
	v_bfe_u32 v11, v13, 16, 3
	v_ffbh_u32_e32 v15, v11
	v_min_u32_e32 v15, 32, v15
	v_lshrrev_b32_e32 v12, 19, v13
	v_subrev_u32_e32 v16, 28, v15
	v_and_b32_e32 v12, 15, v12
	v_lshlrev_b32_sdwa v16, v16, v13 dst_sel:DWORD dst_unused:UNUSED_PAD src0_sel:DWORD src1_sel:WORD_1
	v_bfe_u32 v14, v13, 19, 4
	v_sub_u32_e32 v15, 29, v15
	v_and_b32_e32 v16, 7, v16
	v_cmp_eq_u16_e32 vcc, 0, v12
	v_cndmask_b32_e32 v11, v11, v16, vcc
	v_cndmask_b32_e32 v12, v14, v15, vcc
	v_lshlrev_b32_e32 v14, 8, v13
	v_mov_b32_e32 v15, 0x3b800000
	v_lshlrev_b32_e32 v11, 20, v11
	v_and_b32_e32 v14, 0x80000000, v14
	v_lshl_add_u32 v12, v12, 23, v15
	v_or3_b32 v12, v14, v12, v11
.LBB49_120:
	s_or_b64 exec, exec, s[6:7]
	s_nop 0
	v_mfma_f32_16x16x4f32 a[0:3], v10, v12, a[0:3]
	s_movk_i32 s4, 0x7f
	v_cmp_gt_i16_sdwa s[6:7], v17, s4 src0_sel:BYTE_3 src1_sel:DWORD
	s_mov_b64 s[4:5], 0
                                        ; implicit-def: $sgpr10
	s_and_saveexec_b64 s[8:9], s[6:7]
	s_xor_b64 s[6:7], exec, s[8:9]
	s_cbranch_execnz .LBB49_2169
; %bb.121:
	s_or_saveexec_b64 s[6:7], s[6:7]
	v_mov_b32_e32 v10, s10
	s_xor_b64 exec, exec, s[6:7]
	s_cbranch_execnz .LBB49_2172
.LBB49_122:
	s_or_b64 exec, exec, s[6:7]
	s_and_saveexec_b64 s[6:7], s[4:5]
	s_cbranch_execz .LBB49_124
.LBB49_123:
	v_bfe_u32 v10, v17, 24, 3
	v_ffbh_u32_e32 v15, v10
	v_min_u32_e32 v15, 32, v15
	v_lshrrev_b32_e32 v12, 27, v17
	v_subrev_u32_e32 v16, 28, v15
	v_and_b32_e32 v12, 15, v12
	v_lshlrev_b32_sdwa v16, v16, v17 dst_sel:DWORD dst_unused:UNUSED_PAD src0_sel:DWORD src1_sel:BYTE_3
	v_bfe_u32 v14, v17, 27, 4
	v_sub_u32_e32 v15, 29, v15
	v_and_b32_e32 v16, 7, v16
	v_cmp_eq_u16_e32 vcc, 0, v12
	v_cndmask_b32_e32 v10, v10, v16, vcc
	v_cndmask_b32_e32 v12, v14, v15, vcc
	v_mov_b32_e32 v14, 0x3b800000
	v_and_b32_e32 v11, 0x80000000, v17
	v_lshlrev_b32_e32 v10, 20, v10
	v_lshl_add_u32 v12, v12, 23, v14
	v_or3_b32 v10, v11, v12, v10
.LBB49_124:
	s_or_b64 exec, exec, s[6:7]
	s_movk_i32 s4, 0x7f
	v_cmp_gt_i16_sdwa s[6:7], v13, s4 src0_sel:BYTE_3 src1_sel:DWORD
	s_mov_b64 s[4:5], 0
                                        ; implicit-def: $sgpr10
	s_and_saveexec_b64 s[8:9], s[6:7]
	s_xor_b64 s[6:7], exec, s[8:9]
	s_cbranch_execnz .LBB49_2173
; %bb.125:
	s_or_saveexec_b64 s[6:7], s[6:7]
	v_mov_b32_e32 v11, s10
	s_xor_b64 exec, exec, s[6:7]
	s_cbranch_execnz .LBB49_2176
.LBB49_126:
	s_or_b64 exec, exec, s[6:7]
	s_and_saveexec_b64 s[6:7], s[4:5]
	s_cbranch_execz .LBB49_128
.LBB49_127:
	v_bfe_u32 v11, v13, 24, 3
	v_ffbh_u32_e32 v16, v11
	v_min_u32_e32 v16, 32, v16
	v_lshrrev_b32_e32 v14, 27, v13
	v_subrev_u32_e32 v17, 28, v16
	v_and_b32_e32 v12, 0x80000000, v13
	v_and_b32_e32 v14, 15, v14
	v_bfe_u32 v15, v13, 27, 4
	v_lshlrev_b32_sdwa v13, v17, v13 dst_sel:DWORD dst_unused:UNUSED_PAD src0_sel:DWORD src1_sel:BYTE_3
	v_sub_u32_e32 v16, 29, v16
	v_and_b32_e32 v13, 7, v13
	v_cmp_eq_u16_e32 vcc, 0, v14
	v_cndmask_b32_e32 v11, v11, v13, vcc
	v_cndmask_b32_e32 v13, v15, v16, vcc
	v_mov_b32_e32 v14, 0x3b800000
	v_lshlrev_b32_e32 v11, 20, v11
	v_lshl_add_u32 v13, v13, 23, v14
	v_or3_b32 v11, v12, v13, v11
.LBB49_128:
	s_or_b64 exec, exec, s[6:7]
	s_nop 0
	v_mfma_f32_16x16x4f32 a[0:3], v10, v11, a[0:3]
	s_movk_i32 s4, 0x7f
	v_cmp_gt_i16_sdwa s[6:7], v6, s4 src0_sel:BYTE_0 src1_sel:DWORD
	s_mov_b64 s[4:5], 0
                                        ; implicit-def: $sgpr10
	s_and_saveexec_b64 s[8:9], s[6:7]
	s_xor_b64 s[6:7], exec, s[8:9]
	s_cbranch_execnz .LBB49_2177
; %bb.129:
	s_or_saveexec_b64 s[6:7], s[6:7]
	v_mov_b32_e32 v10, s10
	s_xor_b64 exec, exec, s[6:7]
	s_cbranch_execnz .LBB49_2180
.LBB49_130:
	s_or_b64 exec, exec, s[6:7]
	s_and_saveexec_b64 s[6:7], s[4:5]
	s_cbranch_execz .LBB49_132
.LBB49_131:
	v_and_b32_e32 v10, 7, v6
	v_ffbh_u32_e32 v12, v10
	v_min_u32_e32 v12, 32, v12
	v_lshrrev_b16_e32 v11, 3, v6
	v_subrev_u32_e32 v13, 28, v12
	v_and_b32_e32 v11, 15, v11
	v_lshlrev_b32_e32 v13, v13, v6
	v_sub_u32_e32 v12, 29, v12
	v_and_b32_e32 v13, 7, v13
	v_cmp_eq_u16_e32 vcc, 0, v11
	v_cndmask_b32_e32 v10, v10, v13, vcc
	v_cndmask_b32_e32 v11, v11, v12, vcc
	v_lshlrev_b32_e32 v12, 24, v6
	v_mov_b32_e32 v13, 0x3b800000
	v_lshlrev_b32_e32 v10, 20, v10
	v_and_b32_e32 v12, 0x80000000, v12
	v_lshl_add_u32 v11, v11, 23, v13
	v_or3_b32 v10, v12, v11, v10
.LBB49_132:
	s_or_b64 exec, exec, s[6:7]
	s_movk_i32 s4, 0x7f
	v_cmp_gt_i16_sdwa s[6:7], v2, s4 src0_sel:BYTE_0 src1_sel:DWORD
	s_mov_b64 s[4:5], 0
                                        ; implicit-def: $sgpr10
	s_and_saveexec_b64 s[8:9], s[6:7]
	s_xor_b64 s[6:7], exec, s[8:9]
	s_cbranch_execnz .LBB49_2181
; %bb.133:
	s_or_saveexec_b64 s[6:7], s[6:7]
	v_mov_b32_e32 v11, s10
	s_xor_b64 exec, exec, s[6:7]
	s_cbranch_execnz .LBB49_2184
.LBB49_134:
	s_or_b64 exec, exec, s[6:7]
	s_and_saveexec_b64 s[6:7], s[4:5]
	s_cbranch_execz .LBB49_136
.LBB49_135:
	v_and_b32_e32 v11, 7, v2
	v_ffbh_u32_e32 v13, v11
	v_min_u32_e32 v13, 32, v13
	v_lshrrev_b16_e32 v12, 3, v2
	v_subrev_u32_e32 v14, 28, v13
	v_and_b32_e32 v12, 15, v12
	v_lshlrev_b32_e32 v14, v14, v2
	v_sub_u32_e32 v13, 29, v13
	v_and_b32_e32 v14, 7, v14
	v_cmp_eq_u16_e32 vcc, 0, v12
	v_cndmask_b32_e32 v11, v11, v14, vcc
	v_cndmask_b32_e32 v12, v12, v13, vcc
	v_lshlrev_b32_e32 v13, 24, v2
	v_mov_b32_e32 v14, 0x3b800000
	v_lshlrev_b32_e32 v11, 20, v11
	v_and_b32_e32 v13, 0x80000000, v13
	v_lshl_add_u32 v12, v12, 23, v14
	v_or3_b32 v11, v13, v12, v11
.LBB49_136:
	s_or_b64 exec, exec, s[6:7]
	s_nop 0
	v_mfma_f32_16x16x4f32 a[0:3], v10, v11, a[0:3]
	v_lshrrev_b32_e32 v11, 8, v6
	s_movk_i32 s4, 0x7f
	v_cmp_gt_i16_sdwa s[6:7], v11, s4 src0_sel:BYTE_0 src1_sel:DWORD
	s_mov_b64 s[4:5], 0
                                        ; implicit-def: $sgpr10
	s_and_saveexec_b64 s[8:9], s[6:7]
	s_xor_b64 s[6:7], exec, s[8:9]
	s_cbranch_execnz .LBB49_2185
; %bb.137:
	s_or_saveexec_b64 s[6:7], s[6:7]
	v_mov_b32_e32 v10, s10
	s_xor_b64 exec, exec, s[6:7]
	s_cbranch_execnz .LBB49_2188
.LBB49_138:
	s_or_b64 exec, exec, s[6:7]
	s_and_saveexec_b64 s[6:7], s[4:5]
	s_cbranch_execz .LBB49_140
.LBB49_139:
	v_bfe_u32 v10, v6, 8, 3
	v_ffbh_u32_e32 v13, v10
	v_min_u32_e32 v13, 32, v13
	v_lshrrev_b16_e32 v12, 3, v11
	v_subrev_u32_e32 v14, 28, v13
	v_and_b32_e32 v12, 15, v12
	v_lshlrev_b32_e32 v11, v14, v11
	v_sub_u32_e32 v13, 29, v13
	v_and_b32_e32 v11, 7, v11
	v_cmp_eq_u16_e32 vcc, 0, v12
	v_cndmask_b32_e32 v10, v10, v11, vcc
	v_cndmask_b32_e32 v11, v12, v13, vcc
	v_lshlrev_b32_e32 v12, 16, v6
	v_mov_b32_e32 v13, 0x3b800000
	v_lshlrev_b32_e32 v10, 20, v10
	v_and_b32_e32 v12, 0x80000000, v12
	v_lshl_add_u32 v11, v11, 23, v13
	v_or3_b32 v10, v12, v11, v10
.LBB49_140:
	s_or_b64 exec, exec, s[6:7]
	v_lshrrev_b32_e32 v11, 8, v2
	s_movk_i32 s4, 0x7f
	v_cmp_gt_i16_sdwa s[6:7], v11, s4 src0_sel:BYTE_0 src1_sel:DWORD
	s_mov_b64 s[4:5], 0
                                        ; implicit-def: $sgpr10
	s_and_saveexec_b64 s[8:9], s[6:7]
	s_xor_b64 s[6:7], exec, s[8:9]
	s_cbranch_execnz .LBB49_2189
; %bb.141:
	s_or_saveexec_b64 s[6:7], s[6:7]
	v_mov_b32_e32 v12, s10
	s_xor_b64 exec, exec, s[6:7]
	s_cbranch_execnz .LBB49_2192
.LBB49_142:
	s_or_b64 exec, exec, s[6:7]
	s_and_saveexec_b64 s[6:7], s[4:5]
	s_cbranch_execz .LBB49_144
.LBB49_143:
	v_bfe_u32 v12, v2, 8, 3
	v_ffbh_u32_e32 v14, v12
	v_min_u32_e32 v14, 32, v14
	v_lshrrev_b16_e32 v13, 3, v11
	v_subrev_u32_e32 v15, 28, v14
	v_and_b32_e32 v13, 15, v13
	v_lshlrev_b32_e32 v11, v15, v11
	v_sub_u32_e32 v14, 29, v14
	v_and_b32_e32 v11, 7, v11
	v_cmp_eq_u16_e32 vcc, 0, v13
	v_cndmask_b32_e32 v11, v12, v11, vcc
	v_cndmask_b32_e32 v12, v13, v14, vcc
	v_lshlrev_b32_e32 v13, 16, v2
	v_mov_b32_e32 v14, 0x3b800000
	v_lshlrev_b32_e32 v11, 20, v11
	v_and_b32_e32 v13, 0x80000000, v13
	v_lshl_add_u32 v12, v12, 23, v14
	v_or3_b32 v12, v13, v12, v11
.LBB49_144:
	s_or_b64 exec, exec, s[6:7]
	s_nop 0
	v_mfma_f32_16x16x4f32 a[0:3], v10, v12, a[0:3]
	s_movk_i32 s4, 0xff
	v_and_b32_sdwa v11, v6, s4 dst_sel:DWORD dst_unused:UNUSED_PAD src0_sel:WORD_1 src1_sel:DWORD
	s_movk_i32 s4, 0x7f
	v_cmp_lt_i16_e32 vcc, s4, v11
	s_mov_b64 s[4:5], 0
                                        ; implicit-def: $sgpr10
	s_and_saveexec_b64 s[6:7], vcc
	s_xor_b64 s[6:7], exec, s[6:7]
	s_cbranch_execnz .LBB49_2193
; %bb.145:
	s_or_saveexec_b64 s[6:7], s[6:7]
	v_mov_b32_e32 v10, s10
	s_xor_b64 exec, exec, s[6:7]
	s_cbranch_execnz .LBB49_2196
.LBB49_146:
	s_or_b64 exec, exec, s[6:7]
	s_and_saveexec_b64 s[6:7], s[4:5]
	s_cbranch_execz .LBB49_148
.LBB49_147:
	v_bfe_u32 v10, v6, 16, 3
	v_ffbh_u32_e32 v13, v10
	v_min_u32_e32 v13, 32, v13
	v_lshrrev_b32_e32 v11, 19, v6
	v_subrev_u32_e32 v14, 28, v13
	v_and_b32_e32 v11, 15, v11
	v_lshlrev_b32_sdwa v14, v14, v6 dst_sel:DWORD dst_unused:UNUSED_PAD src0_sel:DWORD src1_sel:WORD_1
	v_bfe_u32 v12, v6, 19, 4
	v_sub_u32_e32 v13, 29, v13
	v_and_b32_e32 v14, 7, v14
	v_cmp_eq_u16_e32 vcc, 0, v11
	v_cndmask_b32_e32 v10, v10, v14, vcc
	v_cndmask_b32_e32 v11, v12, v13, vcc
	v_lshlrev_b32_e32 v12, 8, v6
	v_mov_b32_e32 v13, 0x3b800000
	v_lshlrev_b32_e32 v10, 20, v10
	v_and_b32_e32 v12, 0x80000000, v12
	v_lshl_add_u32 v11, v11, 23, v13
	v_or3_b32 v10, v12, v11, v10
.LBB49_148:
	s_or_b64 exec, exec, s[6:7]
	s_movk_i32 s4, 0xff
	v_and_b32_sdwa v11, v2, s4 dst_sel:DWORD dst_unused:UNUSED_PAD src0_sel:WORD_1 src1_sel:DWORD
	s_movk_i32 s4, 0x7f
	v_cmp_lt_i16_e32 vcc, s4, v11
	s_mov_b64 s[4:5], 0
                                        ; implicit-def: $sgpr10
	s_and_saveexec_b64 s[6:7], vcc
	s_xor_b64 s[6:7], exec, s[6:7]
	s_cbranch_execnz .LBB49_2197
; %bb.149:
	s_or_saveexec_b64 s[6:7], s[6:7]
	v_mov_b32_e32 v12, s10
	s_xor_b64 exec, exec, s[6:7]
	s_cbranch_execnz .LBB49_2200
.LBB49_150:
	s_or_b64 exec, exec, s[6:7]
	s_and_saveexec_b64 s[6:7], s[4:5]
	s_cbranch_execz .LBB49_152
.LBB49_151:
	v_bfe_u32 v11, v2, 16, 3
	v_ffbh_u32_e32 v14, v11
	v_min_u32_e32 v14, 32, v14
	v_lshrrev_b32_e32 v12, 19, v2
	v_subrev_u32_e32 v15, 28, v14
	v_and_b32_e32 v12, 15, v12
	v_lshlrev_b32_sdwa v15, v15, v2 dst_sel:DWORD dst_unused:UNUSED_PAD src0_sel:DWORD src1_sel:WORD_1
	v_bfe_u32 v13, v2, 19, 4
	v_sub_u32_e32 v14, 29, v14
	v_and_b32_e32 v15, 7, v15
	v_cmp_eq_u16_e32 vcc, 0, v12
	v_cndmask_b32_e32 v11, v11, v15, vcc
	v_cndmask_b32_e32 v12, v13, v14, vcc
	v_lshlrev_b32_e32 v13, 8, v2
	v_mov_b32_e32 v14, 0x3b800000
	v_lshlrev_b32_e32 v11, 20, v11
	v_and_b32_e32 v13, 0x80000000, v13
	v_lshl_add_u32 v12, v12, 23, v14
	v_or3_b32 v12, v13, v12, v11
.LBB49_152:
	s_or_b64 exec, exec, s[6:7]
	s_nop 0
	v_mfma_f32_16x16x4f32 a[0:3], v10, v12, a[0:3]
	s_movk_i32 s4, 0x7f
	v_cmp_gt_i16_sdwa s[6:7], v6, s4 src0_sel:BYTE_3 src1_sel:DWORD
	s_mov_b64 s[4:5], 0
                                        ; implicit-def: $sgpr10
	s_and_saveexec_b64 s[8:9], s[6:7]
	s_xor_b64 s[6:7], exec, s[8:9]
	s_cbranch_execnz .LBB49_2201
; %bb.153:
	s_or_saveexec_b64 s[6:7], s[6:7]
	v_mov_b32_e32 v10, s10
	s_xor_b64 exec, exec, s[6:7]
	s_cbranch_execnz .LBB49_2204
.LBB49_154:
	s_or_b64 exec, exec, s[6:7]
	s_and_saveexec_b64 s[6:7], s[4:5]
	s_cbranch_execz .LBB49_156
.LBB49_155:
	v_bfe_u32 v10, v6, 24, 3
	v_ffbh_u32_e32 v14, v10
	v_min_u32_e32 v14, 32, v14
	v_lshrrev_b32_e32 v12, 27, v6
	v_subrev_u32_e32 v15, 28, v14
	v_and_b32_e32 v11, 0x80000000, v6
	v_and_b32_e32 v12, 15, v12
	v_bfe_u32 v13, v6, 27, 4
	v_lshlrev_b32_sdwa v6, v15, v6 dst_sel:DWORD dst_unused:UNUSED_PAD src0_sel:DWORD src1_sel:BYTE_3
	v_sub_u32_e32 v14, 29, v14
	v_and_b32_e32 v6, 7, v6
	v_cmp_eq_u16_e32 vcc, 0, v12
	v_cndmask_b32_e32 v6, v10, v6, vcc
	v_cndmask_b32_e32 v10, v13, v14, vcc
	v_mov_b32_e32 v12, 0x3b800000
	v_lshlrev_b32_e32 v6, 20, v6
	v_lshl_add_u32 v10, v10, 23, v12
	v_or3_b32 v10, v11, v10, v6
.LBB49_156:
	s_or_b64 exec, exec, s[6:7]
	s_movk_i32 s4, 0x7f
	v_cmp_gt_i16_sdwa s[6:7], v2, s4 src0_sel:BYTE_3 src1_sel:DWORD
	s_mov_b64 s[4:5], 0
                                        ; implicit-def: $sgpr10
	s_and_saveexec_b64 s[8:9], s[6:7]
	s_xor_b64 s[6:7], exec, s[8:9]
	s_cbranch_execnz .LBB49_2205
; %bb.157:
	s_or_saveexec_b64 s[6:7], s[6:7]
	v_mov_b32_e32 v6, s10
	s_xor_b64 exec, exec, s[6:7]
	s_cbranch_execnz .LBB49_2208
.LBB49_158:
	s_or_b64 exec, exec, s[6:7]
	s_and_saveexec_b64 s[6:7], s[4:5]
	s_cbranch_execz .LBB49_160
.LBB49_159:
	v_bfe_u32 v6, v2, 24, 3
	v_ffbh_u32_e32 v14, v6
	v_min_u32_e32 v14, 32, v14
	v_lshrrev_b32_e32 v12, 27, v2
	v_subrev_u32_e32 v15, 28, v14
	v_and_b32_e32 v11, 0x80000000, v2
	v_and_b32_e32 v12, 15, v12
	v_bfe_u32 v13, v2, 27, 4
	v_lshlrev_b32_sdwa v2, v15, v2 dst_sel:DWORD dst_unused:UNUSED_PAD src0_sel:DWORD src1_sel:BYTE_3
	v_sub_u32_e32 v14, 29, v14
	v_and_b32_e32 v2, 7, v2
	v_cmp_eq_u16_e32 vcc, 0, v12
	v_cndmask_b32_e32 v2, v6, v2, vcc
	v_cndmask_b32_e32 v6, v13, v14, vcc
	v_mov_b32_e32 v12, 0x3b800000
	v_lshlrev_b32_e32 v2, 20, v2
	v_lshl_add_u32 v6, v6, 23, v12
	v_or3_b32 v6, v11, v6, v2
.LBB49_160:
	s_or_b64 exec, exec, s[6:7]
	s_nop 0
	v_mfma_f32_16x16x4f32 a[0:3], v10, v6, a[0:3]
	s_movk_i32 s4, 0x7f
	v_cmp_gt_i16_sdwa s[6:7], v7, s4 src0_sel:BYTE_0 src1_sel:DWORD
	s_mov_b64 s[4:5], 0
                                        ; implicit-def: $sgpr10
	s_and_saveexec_b64 s[8:9], s[6:7]
	s_xor_b64 s[6:7], exec, s[8:9]
	s_cbranch_execnz .LBB49_2209
; %bb.161:
	s_or_saveexec_b64 s[6:7], s[6:7]
	v_mov_b32_e32 v2, s10
	s_xor_b64 exec, exec, s[6:7]
	s_cbranch_execnz .LBB49_2212
.LBB49_162:
	s_or_b64 exec, exec, s[6:7]
	s_and_saveexec_b64 s[6:7], s[4:5]
	s_cbranch_execz .LBB49_164
.LBB49_163:
	v_and_b32_e32 v2, 7, v7
	v_ffbh_u32_e32 v10, v2
	v_min_u32_e32 v10, 32, v10
	v_lshrrev_b16_e32 v6, 3, v7
	v_subrev_u32_e32 v11, 28, v10
	v_and_b32_e32 v6, 15, v6
	v_lshlrev_b32_e32 v11, v11, v7
	v_sub_u32_e32 v10, 29, v10
	v_and_b32_e32 v11, 7, v11
	v_cmp_eq_u16_e32 vcc, 0, v6
	v_cndmask_b32_e32 v2, v2, v11, vcc
	v_cndmask_b32_e32 v6, v6, v10, vcc
	v_lshlrev_b32_e32 v10, 24, v7
	v_mov_b32_e32 v11, 0x3b800000
	v_lshlrev_b32_e32 v2, 20, v2
	v_and_b32_e32 v10, 0x80000000, v10
	v_lshl_add_u32 v6, v6, 23, v11
	v_or3_b32 v2, v10, v6, v2
.LBB49_164:
	s_or_b64 exec, exec, s[6:7]
	s_movk_i32 s4, 0x7f
	v_cmp_gt_i16_sdwa s[6:7], v3, s4 src0_sel:BYTE_0 src1_sel:DWORD
	s_mov_b64 s[4:5], 0
                                        ; implicit-def: $sgpr10
	s_and_saveexec_b64 s[8:9], s[6:7]
	s_xor_b64 s[6:7], exec, s[8:9]
	s_cbranch_execnz .LBB49_2213
; %bb.165:
	s_or_saveexec_b64 s[6:7], s[6:7]
	v_mov_b32_e32 v6, s10
	s_xor_b64 exec, exec, s[6:7]
	s_cbranch_execnz .LBB49_2216
.LBB49_166:
	s_or_b64 exec, exec, s[6:7]
	s_and_saveexec_b64 s[6:7], s[4:5]
	s_cbranch_execz .LBB49_168
.LBB49_167:
	v_and_b32_e32 v6, 7, v3
	v_ffbh_u32_e32 v11, v6
	v_min_u32_e32 v11, 32, v11
	v_lshrrev_b16_e32 v10, 3, v3
	v_subrev_u32_e32 v12, 28, v11
	v_and_b32_e32 v10, 15, v10
	v_lshlrev_b32_e32 v12, v12, v3
	v_sub_u32_e32 v11, 29, v11
	v_and_b32_e32 v12, 7, v12
	v_cmp_eq_u16_e32 vcc, 0, v10
	v_cndmask_b32_e32 v6, v6, v12, vcc
	v_cndmask_b32_e32 v10, v10, v11, vcc
	v_lshlrev_b32_e32 v11, 24, v3
	v_mov_b32_e32 v12, 0x3b800000
	v_lshlrev_b32_e32 v6, 20, v6
	v_and_b32_e32 v11, 0x80000000, v11
	v_lshl_add_u32 v10, v10, 23, v12
	v_or3_b32 v6, v11, v10, v6
.LBB49_168:
	s_or_b64 exec, exec, s[6:7]
	s_nop 0
	v_mfma_f32_16x16x4f32 a[0:3], v2, v6, a[0:3]
	v_lshrrev_b32_e32 v6, 8, v7
	s_movk_i32 s4, 0x7f
	v_cmp_gt_i16_sdwa s[6:7], v6, s4 src0_sel:BYTE_0 src1_sel:DWORD
	s_mov_b64 s[4:5], 0
                                        ; implicit-def: $sgpr10
	s_and_saveexec_b64 s[8:9], s[6:7]
	s_xor_b64 s[6:7], exec, s[8:9]
	s_cbranch_execnz .LBB49_2217
; %bb.169:
	s_or_saveexec_b64 s[6:7], s[6:7]
	v_mov_b32_e32 v2, s10
	s_xor_b64 exec, exec, s[6:7]
	s_cbranch_execnz .LBB49_2220
.LBB49_170:
	s_or_b64 exec, exec, s[6:7]
	s_and_saveexec_b64 s[6:7], s[4:5]
	s_cbranch_execz .LBB49_172
.LBB49_171:
	v_bfe_u32 v2, v7, 8, 3
	v_ffbh_u32_e32 v11, v2
	v_min_u32_e32 v11, 32, v11
	v_lshrrev_b16_e32 v10, 3, v6
	v_subrev_u32_e32 v12, 28, v11
	v_and_b32_e32 v10, 15, v10
	v_lshlrev_b32_e32 v6, v12, v6
	v_sub_u32_e32 v11, 29, v11
	v_and_b32_e32 v6, 7, v6
	v_cmp_eq_u16_e32 vcc, 0, v10
	v_cndmask_b32_e32 v2, v2, v6, vcc
	v_cndmask_b32_e32 v6, v10, v11, vcc
	v_lshlrev_b32_e32 v10, 16, v7
	v_mov_b32_e32 v11, 0x3b800000
	v_lshlrev_b32_e32 v2, 20, v2
	v_and_b32_e32 v10, 0x80000000, v10
	v_lshl_add_u32 v6, v6, 23, v11
	v_or3_b32 v2, v10, v6, v2
.LBB49_172:
	s_or_b64 exec, exec, s[6:7]
	v_lshrrev_b32_e32 v6, 8, v3
	s_movk_i32 s4, 0x7f
	v_cmp_gt_i16_sdwa s[6:7], v6, s4 src0_sel:BYTE_0 src1_sel:DWORD
	s_mov_b64 s[4:5], 0
                                        ; implicit-def: $sgpr10
	s_and_saveexec_b64 s[8:9], s[6:7]
	s_xor_b64 s[6:7], exec, s[8:9]
	s_cbranch_execnz .LBB49_2221
; %bb.173:
	s_or_saveexec_b64 s[6:7], s[6:7]
	v_mov_b32_e32 v10, s10
	s_xor_b64 exec, exec, s[6:7]
	s_cbranch_execnz .LBB49_2224
.LBB49_174:
	s_or_b64 exec, exec, s[6:7]
	s_and_saveexec_b64 s[6:7], s[4:5]
	s_cbranch_execz .LBB49_176
.LBB49_175:
	v_bfe_u32 v10, v3, 8, 3
	v_ffbh_u32_e32 v12, v10
	v_min_u32_e32 v12, 32, v12
	v_lshrrev_b16_e32 v11, 3, v6
	v_subrev_u32_e32 v13, 28, v12
	v_and_b32_e32 v11, 15, v11
	v_lshlrev_b32_e32 v6, v13, v6
	v_sub_u32_e32 v12, 29, v12
	v_and_b32_e32 v6, 7, v6
	v_cmp_eq_u16_e32 vcc, 0, v11
	v_cndmask_b32_e32 v6, v10, v6, vcc
	v_cndmask_b32_e32 v10, v11, v12, vcc
	v_lshlrev_b32_e32 v11, 16, v3
	v_mov_b32_e32 v12, 0x3b800000
	v_lshlrev_b32_e32 v6, 20, v6
	v_and_b32_e32 v11, 0x80000000, v11
	v_lshl_add_u32 v10, v10, 23, v12
	v_or3_b32 v10, v11, v10, v6
.LBB49_176:
	s_or_b64 exec, exec, s[6:7]
	s_nop 0
	v_mfma_f32_16x16x4f32 a[0:3], v2, v10, a[0:3]
	s_movk_i32 s4, 0xff
	v_and_b32_sdwa v6, v7, s4 dst_sel:DWORD dst_unused:UNUSED_PAD src0_sel:WORD_1 src1_sel:DWORD
	s_movk_i32 s4, 0x7f
	v_cmp_lt_i16_e32 vcc, s4, v6
	s_mov_b64 s[4:5], 0
                                        ; implicit-def: $sgpr10
	s_and_saveexec_b64 s[6:7], vcc
	s_xor_b64 s[6:7], exec, s[6:7]
	s_cbranch_execnz .LBB49_2225
; %bb.177:
	s_or_saveexec_b64 s[6:7], s[6:7]
	v_mov_b32_e32 v2, s10
	s_xor_b64 exec, exec, s[6:7]
	s_cbranch_execnz .LBB49_2228
.LBB49_178:
	s_or_b64 exec, exec, s[6:7]
	s_and_saveexec_b64 s[6:7], s[4:5]
	s_cbranch_execz .LBB49_180
.LBB49_179:
	v_bfe_u32 v2, v7, 16, 3
	v_ffbh_u32_e32 v11, v2
	v_min_u32_e32 v11, 32, v11
	v_lshrrev_b32_e32 v6, 19, v7
	v_subrev_u32_e32 v12, 28, v11
	v_and_b32_e32 v6, 15, v6
	v_lshlrev_b32_sdwa v12, v12, v7 dst_sel:DWORD dst_unused:UNUSED_PAD src0_sel:DWORD src1_sel:WORD_1
	v_bfe_u32 v10, v7, 19, 4
	v_sub_u32_e32 v11, 29, v11
	v_and_b32_e32 v12, 7, v12
	v_cmp_eq_u16_e32 vcc, 0, v6
	v_cndmask_b32_e32 v2, v2, v12, vcc
	v_cndmask_b32_e32 v6, v10, v11, vcc
	v_lshlrev_b32_e32 v10, 8, v7
	v_mov_b32_e32 v11, 0x3b800000
	v_lshlrev_b32_e32 v2, 20, v2
	v_and_b32_e32 v10, 0x80000000, v10
	v_lshl_add_u32 v6, v6, 23, v11
	v_or3_b32 v2, v10, v6, v2
.LBB49_180:
	s_or_b64 exec, exec, s[6:7]
	s_movk_i32 s4, 0xff
	v_and_b32_sdwa v6, v3, s4 dst_sel:DWORD dst_unused:UNUSED_PAD src0_sel:WORD_1 src1_sel:DWORD
	s_movk_i32 s4, 0x7f
	v_cmp_lt_i16_e32 vcc, s4, v6
	s_mov_b64 s[4:5], 0
                                        ; implicit-def: $sgpr10
	s_and_saveexec_b64 s[6:7], vcc
	s_xor_b64 s[6:7], exec, s[6:7]
	s_cbranch_execnz .LBB49_2229
; %bb.181:
	s_or_saveexec_b64 s[6:7], s[6:7]
	v_mov_b32_e32 v10, s10
	s_xor_b64 exec, exec, s[6:7]
	s_cbranch_execnz .LBB49_2232
.LBB49_182:
	s_or_b64 exec, exec, s[6:7]
	s_and_saveexec_b64 s[6:7], s[4:5]
	s_cbranch_execz .LBB49_184
.LBB49_183:
	v_bfe_u32 v6, v3, 16, 3
	v_ffbh_u32_e32 v12, v6
	v_min_u32_e32 v12, 32, v12
	v_lshrrev_b32_e32 v10, 19, v3
	v_subrev_u32_e32 v13, 28, v12
	v_and_b32_e32 v10, 15, v10
	v_lshlrev_b32_sdwa v13, v13, v3 dst_sel:DWORD dst_unused:UNUSED_PAD src0_sel:DWORD src1_sel:WORD_1
	v_bfe_u32 v11, v3, 19, 4
	v_sub_u32_e32 v12, 29, v12
	v_and_b32_e32 v13, 7, v13
	v_cmp_eq_u16_e32 vcc, 0, v10
	v_cndmask_b32_e32 v6, v6, v13, vcc
	v_cndmask_b32_e32 v10, v11, v12, vcc
	v_lshlrev_b32_e32 v11, 8, v3
	v_mov_b32_e32 v12, 0x3b800000
	v_lshlrev_b32_e32 v6, 20, v6
	v_and_b32_e32 v11, 0x80000000, v11
	v_lshl_add_u32 v10, v10, 23, v12
	v_or3_b32 v10, v11, v10, v6
.LBB49_184:
	s_or_b64 exec, exec, s[6:7]
	s_nop 0
	v_mfma_f32_16x16x4f32 a[0:3], v2, v10, a[0:3]
	s_movk_i32 s4, 0x7f
	v_cmp_gt_i16_sdwa s[6:7], v7, s4 src0_sel:BYTE_3 src1_sel:DWORD
	s_mov_b64 s[4:5], 0
                                        ; implicit-def: $sgpr10
	s_and_saveexec_b64 s[8:9], s[6:7]
	s_xor_b64 s[6:7], exec, s[8:9]
	s_cbranch_execnz .LBB49_2233
; %bb.185:
	s_or_saveexec_b64 s[6:7], s[6:7]
	v_mov_b32_e32 v2, s10
	s_xor_b64 exec, exec, s[6:7]
	s_cbranch_execnz .LBB49_2236
.LBB49_186:
	s_or_b64 exec, exec, s[6:7]
	s_and_saveexec_b64 s[6:7], s[4:5]
	s_cbranch_execz .LBB49_188
.LBB49_187:
	v_bfe_u32 v2, v7, 24, 3
	v_ffbh_u32_e32 v12, v2
	v_min_u32_e32 v12, 32, v12
	v_lshrrev_b32_e32 v10, 27, v7
	v_subrev_u32_e32 v13, 28, v12
	v_and_b32_e32 v6, 0x80000000, v7
	v_and_b32_e32 v10, 15, v10
	v_bfe_u32 v11, v7, 27, 4
	v_lshlrev_b32_sdwa v7, v13, v7 dst_sel:DWORD dst_unused:UNUSED_PAD src0_sel:DWORD src1_sel:BYTE_3
	v_sub_u32_e32 v12, 29, v12
	v_and_b32_e32 v7, 7, v7
	v_cmp_eq_u16_e32 vcc, 0, v10
	v_cndmask_b32_e32 v2, v2, v7, vcc
	v_cndmask_b32_e32 v7, v11, v12, vcc
	v_mov_b32_e32 v10, 0x3b800000
	v_lshlrev_b32_e32 v2, 20, v2
	v_lshl_add_u32 v7, v7, 23, v10
	v_or3_b32 v2, v6, v7, v2
.LBB49_188:
	s_or_b64 exec, exec, s[6:7]
	s_movk_i32 s4, 0x7f
	v_cmp_gt_i16_sdwa s[6:7], v3, s4 src0_sel:BYTE_3 src1_sel:DWORD
	s_mov_b64 s[4:5], 0
                                        ; implicit-def: $sgpr10
	s_and_saveexec_b64 s[8:9], s[6:7]
	s_xor_b64 s[6:7], exec, s[8:9]
	s_cbranch_execnz .LBB49_2237
; %bb.189:
	s_or_saveexec_b64 s[6:7], s[6:7]
	v_mov_b32_e32 v6, s10
	s_xor_b64 exec, exec, s[6:7]
	s_cbranch_execnz .LBB49_2240
.LBB49_190:
	s_or_b64 exec, exec, s[6:7]
	s_and_saveexec_b64 s[6:7], s[4:5]
	s_cbranch_execz .LBB49_192
.LBB49_191:
	v_bfe_u32 v6, v3, 24, 3
	v_ffbh_u32_e32 v12, v6
	v_min_u32_e32 v12, 32, v12
	v_lshrrev_b32_e32 v10, 27, v3
	v_subrev_u32_e32 v13, 28, v12
	v_and_b32_e32 v7, 0x80000000, v3
	v_and_b32_e32 v10, 15, v10
	v_bfe_u32 v11, v3, 27, 4
	v_lshlrev_b32_sdwa v3, v13, v3 dst_sel:DWORD dst_unused:UNUSED_PAD src0_sel:DWORD src1_sel:BYTE_3
	v_sub_u32_e32 v12, 29, v12
	v_and_b32_e32 v3, 7, v3
	v_cmp_eq_u16_e32 vcc, 0, v10
	v_cndmask_b32_e32 v3, v6, v3, vcc
	v_cndmask_b32_e32 v6, v11, v12, vcc
	v_mov_b32_e32 v10, 0x3b800000
	v_lshlrev_b32_e32 v3, 20, v3
	v_lshl_add_u32 v6, v6, 23, v10
	v_or3_b32 v6, v7, v6, v3
.LBB49_192:
	s_or_b64 exec, exec, s[6:7]
	s_nop 0
	v_mfma_f32_16x16x4f32 a[0:3], v2, v6, a[0:3]
	s_movk_i32 s4, 0x7f
	v_cmp_gt_i16_sdwa s[6:7], v8, s4 src0_sel:BYTE_0 src1_sel:DWORD
	s_mov_b64 s[4:5], 0
                                        ; implicit-def: $sgpr10
	s_and_saveexec_b64 s[8:9], s[6:7]
	s_xor_b64 s[6:7], exec, s[8:9]
	s_cbranch_execnz .LBB49_2241
; %bb.193:
	s_or_saveexec_b64 s[6:7], s[6:7]
	v_mov_b32_e32 v2, s10
	s_xor_b64 exec, exec, s[6:7]
	s_cbranch_execnz .LBB49_2244
.LBB49_194:
	s_or_b64 exec, exec, s[6:7]
	s_and_saveexec_b64 s[6:7], s[4:5]
	s_cbranch_execz .LBB49_196
.LBB49_195:
	v_and_b32_e32 v2, 7, v8
	v_ffbh_u32_e32 v6, v2
	v_min_u32_e32 v6, 32, v6
	v_lshrrev_b16_e32 v3, 3, v8
	v_subrev_u32_e32 v7, 28, v6
	v_and_b32_e32 v3, 15, v3
	v_lshlrev_b32_e32 v7, v7, v8
	v_sub_u32_e32 v6, 29, v6
	v_and_b32_e32 v7, 7, v7
	v_cmp_eq_u16_e32 vcc, 0, v3
	v_cndmask_b32_e32 v2, v2, v7, vcc
	v_cndmask_b32_e32 v3, v3, v6, vcc
	v_lshlrev_b32_e32 v6, 24, v8
	v_mov_b32_e32 v7, 0x3b800000
	v_lshlrev_b32_e32 v2, 20, v2
	v_and_b32_e32 v6, 0x80000000, v6
	v_lshl_add_u32 v3, v3, 23, v7
	v_or3_b32 v2, v6, v3, v2
.LBB49_196:
	s_or_b64 exec, exec, s[6:7]
	s_movk_i32 s4, 0x7f
	v_cmp_gt_i16_sdwa s[6:7], v4, s4 src0_sel:BYTE_0 src1_sel:DWORD
	s_mov_b64 s[4:5], 0
                                        ; implicit-def: $sgpr10
	s_and_saveexec_b64 s[8:9], s[6:7]
	s_xor_b64 s[6:7], exec, s[8:9]
	s_cbranch_execnz .LBB49_2245
; %bb.197:
	s_or_saveexec_b64 s[6:7], s[6:7]
	v_mov_b32_e32 v3, s10
	s_xor_b64 exec, exec, s[6:7]
	s_cbranch_execnz .LBB49_2248
.LBB49_198:
	s_or_b64 exec, exec, s[6:7]
	s_and_saveexec_b64 s[6:7], s[4:5]
	s_cbranch_execz .LBB49_200
.LBB49_199:
	v_and_b32_e32 v3, 7, v4
	v_ffbh_u32_e32 v7, v3
	v_min_u32_e32 v7, 32, v7
	v_lshrrev_b16_e32 v6, 3, v4
	v_subrev_u32_e32 v10, 28, v7
	v_and_b32_e32 v6, 15, v6
	v_lshlrev_b32_e32 v10, v10, v4
	v_sub_u32_e32 v7, 29, v7
	v_and_b32_e32 v10, 7, v10
	v_cmp_eq_u16_e32 vcc, 0, v6
	v_cndmask_b32_e32 v3, v3, v10, vcc
	v_cndmask_b32_e32 v6, v6, v7, vcc
	v_lshlrev_b32_e32 v7, 24, v4
	v_mov_b32_e32 v10, 0x3b800000
	v_lshlrev_b32_e32 v3, 20, v3
	v_and_b32_e32 v7, 0x80000000, v7
	v_lshl_add_u32 v6, v6, 23, v10
	v_or3_b32 v3, v7, v6, v3
.LBB49_200:
	s_or_b64 exec, exec, s[6:7]
	s_nop 0
	v_mfma_f32_16x16x4f32 a[0:3], v2, v3, a[0:3]
	v_lshrrev_b32_e32 v3, 8, v8
	s_movk_i32 s4, 0x7f
	v_cmp_gt_i16_sdwa s[6:7], v3, s4 src0_sel:BYTE_0 src1_sel:DWORD
	s_mov_b64 s[4:5], 0
                                        ; implicit-def: $sgpr10
	s_and_saveexec_b64 s[8:9], s[6:7]
	s_xor_b64 s[6:7], exec, s[8:9]
	s_cbranch_execnz .LBB49_2249
; %bb.201:
	s_or_saveexec_b64 s[6:7], s[6:7]
	v_mov_b32_e32 v2, s10
	s_xor_b64 exec, exec, s[6:7]
	s_cbranch_execnz .LBB49_2252
.LBB49_202:
	s_or_b64 exec, exec, s[6:7]
	s_and_saveexec_b64 s[6:7], s[4:5]
	s_cbranch_execz .LBB49_204
.LBB49_203:
	v_bfe_u32 v2, v8, 8, 3
	v_ffbh_u32_e32 v7, v2
	v_min_u32_e32 v7, 32, v7
	v_lshrrev_b16_e32 v6, 3, v3
	v_subrev_u32_e32 v10, 28, v7
	v_and_b32_e32 v6, 15, v6
	v_lshlrev_b32_e32 v3, v10, v3
	v_sub_u32_e32 v7, 29, v7
	v_and_b32_e32 v3, 7, v3
	v_cmp_eq_u16_e32 vcc, 0, v6
	v_cndmask_b32_e32 v2, v2, v3, vcc
	v_cndmask_b32_e32 v3, v6, v7, vcc
	v_lshlrev_b32_e32 v6, 16, v8
	v_mov_b32_e32 v7, 0x3b800000
	v_lshlrev_b32_e32 v2, 20, v2
	v_and_b32_e32 v6, 0x80000000, v6
	v_lshl_add_u32 v3, v3, 23, v7
	v_or3_b32 v2, v6, v3, v2
.LBB49_204:
	s_or_b64 exec, exec, s[6:7]
	v_lshrrev_b32_e32 v3, 8, v4
	s_movk_i32 s4, 0x7f
	v_cmp_gt_i16_sdwa s[6:7], v3, s4 src0_sel:BYTE_0 src1_sel:DWORD
	s_mov_b64 s[4:5], 0
                                        ; implicit-def: $sgpr10
	s_and_saveexec_b64 s[8:9], s[6:7]
	s_xor_b64 s[6:7], exec, s[8:9]
	s_cbranch_execnz .LBB49_2253
; %bb.205:
	s_or_saveexec_b64 s[6:7], s[6:7]
	v_mov_b32_e32 v6, s10
	s_xor_b64 exec, exec, s[6:7]
	s_cbranch_execnz .LBB49_2256
.LBB49_206:
	s_or_b64 exec, exec, s[6:7]
	s_and_saveexec_b64 s[6:7], s[4:5]
	s_cbranch_execz .LBB49_208
.LBB49_207:
	v_bfe_u32 v6, v4, 8, 3
	v_ffbh_u32_e32 v10, v6
	v_min_u32_e32 v10, 32, v10
	v_lshrrev_b16_e32 v7, 3, v3
	v_subrev_u32_e32 v11, 28, v10
	v_and_b32_e32 v7, 15, v7
	v_lshlrev_b32_e32 v3, v11, v3
	v_sub_u32_e32 v10, 29, v10
	v_and_b32_e32 v3, 7, v3
	v_cmp_eq_u16_e32 vcc, 0, v7
	v_cndmask_b32_e32 v3, v6, v3, vcc
	v_cndmask_b32_e32 v6, v7, v10, vcc
	v_lshlrev_b32_e32 v7, 16, v4
	v_mov_b32_e32 v10, 0x3b800000
	v_lshlrev_b32_e32 v3, 20, v3
	v_and_b32_e32 v7, 0x80000000, v7
	v_lshl_add_u32 v6, v6, 23, v10
	v_or3_b32 v6, v7, v6, v3
.LBB49_208:
	s_or_b64 exec, exec, s[6:7]
	s_nop 0
	v_mfma_f32_16x16x4f32 a[0:3], v2, v6, a[0:3]
	s_movk_i32 s4, 0xff
	v_and_b32_sdwa v3, v8, s4 dst_sel:DWORD dst_unused:UNUSED_PAD src0_sel:WORD_1 src1_sel:DWORD
	s_movk_i32 s4, 0x7f
	v_cmp_lt_i16_e32 vcc, s4, v3
	s_mov_b64 s[4:5], 0
                                        ; implicit-def: $sgpr10
	s_and_saveexec_b64 s[6:7], vcc
	s_xor_b64 s[6:7], exec, s[6:7]
	s_cbranch_execnz .LBB49_2257
; %bb.209:
	s_or_saveexec_b64 s[6:7], s[6:7]
	v_mov_b32_e32 v2, s10
	s_xor_b64 exec, exec, s[6:7]
	s_cbranch_execnz .LBB49_2260
.LBB49_210:
	s_or_b64 exec, exec, s[6:7]
	s_and_saveexec_b64 s[6:7], s[4:5]
	s_cbranch_execz .LBB49_212
.LBB49_211:
	v_bfe_u32 v2, v8, 16, 3
	v_ffbh_u32_e32 v7, v2
	v_min_u32_e32 v7, 32, v7
	v_lshrrev_b32_e32 v3, 19, v8
	v_subrev_u32_e32 v10, 28, v7
	v_and_b32_e32 v3, 15, v3
	v_lshlrev_b32_sdwa v10, v10, v8 dst_sel:DWORD dst_unused:UNUSED_PAD src0_sel:DWORD src1_sel:WORD_1
	v_bfe_u32 v6, v8, 19, 4
	v_sub_u32_e32 v7, 29, v7
	v_and_b32_e32 v10, 7, v10
	v_cmp_eq_u16_e32 vcc, 0, v3
	v_cndmask_b32_e32 v2, v2, v10, vcc
	v_cndmask_b32_e32 v3, v6, v7, vcc
	v_lshlrev_b32_e32 v6, 8, v8
	v_mov_b32_e32 v7, 0x3b800000
	v_lshlrev_b32_e32 v2, 20, v2
	v_and_b32_e32 v6, 0x80000000, v6
	v_lshl_add_u32 v3, v3, 23, v7
	v_or3_b32 v2, v6, v3, v2
.LBB49_212:
	s_or_b64 exec, exec, s[6:7]
	s_movk_i32 s4, 0xff
	v_and_b32_sdwa v3, v4, s4 dst_sel:DWORD dst_unused:UNUSED_PAD src0_sel:WORD_1 src1_sel:DWORD
	s_movk_i32 s4, 0x7f
	v_cmp_lt_i16_e32 vcc, s4, v3
	s_mov_b64 s[4:5], 0
                                        ; implicit-def: $sgpr10
	s_and_saveexec_b64 s[6:7], vcc
	s_xor_b64 s[6:7], exec, s[6:7]
	s_cbranch_execnz .LBB49_2261
; %bb.213:
	s_or_saveexec_b64 s[6:7], s[6:7]
	v_mov_b32_e32 v6, s10
	s_xor_b64 exec, exec, s[6:7]
	s_cbranch_execnz .LBB49_2264
.LBB49_214:
	s_or_b64 exec, exec, s[6:7]
	s_and_saveexec_b64 s[6:7], s[4:5]
	s_cbranch_execz .LBB49_216
.LBB49_215:
	v_bfe_u32 v3, v4, 16, 3
	v_ffbh_u32_e32 v10, v3
	v_min_u32_e32 v10, 32, v10
	v_lshrrev_b32_e32 v6, 19, v4
	v_subrev_u32_e32 v11, 28, v10
	v_and_b32_e32 v6, 15, v6
	v_lshlrev_b32_sdwa v11, v11, v4 dst_sel:DWORD dst_unused:UNUSED_PAD src0_sel:DWORD src1_sel:WORD_1
	v_bfe_u32 v7, v4, 19, 4
	v_sub_u32_e32 v10, 29, v10
	v_and_b32_e32 v11, 7, v11
	v_cmp_eq_u16_e32 vcc, 0, v6
	v_cndmask_b32_e32 v3, v3, v11, vcc
	v_cndmask_b32_e32 v6, v7, v10, vcc
	v_lshlrev_b32_e32 v7, 8, v4
	v_mov_b32_e32 v10, 0x3b800000
	v_lshlrev_b32_e32 v3, 20, v3
	v_and_b32_e32 v7, 0x80000000, v7
	v_lshl_add_u32 v6, v6, 23, v10
	v_or3_b32 v6, v7, v6, v3
.LBB49_216:
	s_or_b64 exec, exec, s[6:7]
	s_nop 0
	v_mfma_f32_16x16x4f32 a[0:3], v2, v6, a[0:3]
	s_movk_i32 s4, 0x7f
	v_cmp_gt_i16_sdwa s[6:7], v8, s4 src0_sel:BYTE_3 src1_sel:DWORD
	s_mov_b64 s[4:5], 0
                                        ; implicit-def: $sgpr10
	s_and_saveexec_b64 s[8:9], s[6:7]
	s_xor_b64 s[6:7], exec, s[8:9]
	s_cbranch_execnz .LBB49_2265
; %bb.217:
	s_or_saveexec_b64 s[6:7], s[6:7]
	v_mov_b32_e32 v2, s10
	s_xor_b64 exec, exec, s[6:7]
	s_cbranch_execnz .LBB49_2268
.LBB49_218:
	s_or_b64 exec, exec, s[6:7]
	s_and_saveexec_b64 s[6:7], s[4:5]
	s_cbranch_execz .LBB49_220
.LBB49_219:
	v_bfe_u32 v2, v8, 24, 3
	v_ffbh_u32_e32 v10, v2
	v_min_u32_e32 v10, 32, v10
	v_lshrrev_b32_e32 v6, 27, v8
	v_subrev_u32_e32 v11, 28, v10
	v_and_b32_e32 v3, 0x80000000, v8
	v_and_b32_e32 v6, 15, v6
	v_bfe_u32 v7, v8, 27, 4
	v_lshlrev_b32_sdwa v8, v11, v8 dst_sel:DWORD dst_unused:UNUSED_PAD src0_sel:DWORD src1_sel:BYTE_3
	v_sub_u32_e32 v10, 29, v10
	v_and_b32_e32 v8, 7, v8
	v_cmp_eq_u16_e32 vcc, 0, v6
	v_cndmask_b32_e32 v2, v2, v8, vcc
	v_cndmask_b32_e32 v6, v7, v10, vcc
	v_mov_b32_e32 v7, 0x3b800000
	v_lshlrev_b32_e32 v2, 20, v2
	v_lshl_add_u32 v6, v6, 23, v7
	v_or3_b32 v2, v3, v6, v2
.LBB49_220:
	s_or_b64 exec, exec, s[6:7]
	s_movk_i32 s4, 0x7f
	v_cmp_gt_i16_sdwa s[6:7], v4, s4 src0_sel:BYTE_3 src1_sel:DWORD
	s_mov_b64 s[4:5], 0
                                        ; implicit-def: $sgpr10
	s_and_saveexec_b64 s[8:9], s[6:7]
	s_xor_b64 s[6:7], exec, s[8:9]
	s_cbranch_execnz .LBB49_2269
; %bb.221:
	s_or_saveexec_b64 s[6:7], s[6:7]
	v_mov_b32_e32 v3, s10
	s_xor_b64 exec, exec, s[6:7]
	s_cbranch_execnz .LBB49_2272
.LBB49_222:
	s_or_b64 exec, exec, s[6:7]
	s_and_saveexec_b64 s[6:7], s[4:5]
	s_cbranch_execz .LBB49_224
.LBB49_223:
	v_bfe_u32 v3, v4, 24, 3
	v_ffbh_u32_e32 v10, v3
	v_min_u32_e32 v10, 32, v10
	v_lshrrev_b32_e32 v7, 27, v4
	v_subrev_u32_e32 v11, 28, v10
	v_and_b32_e32 v6, 0x80000000, v4
	v_and_b32_e32 v7, 15, v7
	v_bfe_u32 v8, v4, 27, 4
	v_lshlrev_b32_sdwa v4, v11, v4 dst_sel:DWORD dst_unused:UNUSED_PAD src0_sel:DWORD src1_sel:BYTE_3
	v_sub_u32_e32 v10, 29, v10
	v_and_b32_e32 v4, 7, v4
	v_cmp_eq_u16_e32 vcc, 0, v7
	v_cndmask_b32_e32 v3, v3, v4, vcc
	v_cndmask_b32_e32 v4, v8, v10, vcc
	v_mov_b32_e32 v7, 0x3b800000
	v_lshlrev_b32_e32 v3, 20, v3
	v_lshl_add_u32 v4, v4, 23, v7
	v_or3_b32 v3, v6, v4, v3
.LBB49_224:
	s_or_b64 exec, exec, s[6:7]
	s_nop 0
	v_mfma_f32_16x16x4f32 a[0:3], v2, v3, a[0:3]
	s_movk_i32 s4, 0x7f
	v_cmp_gt_i16_sdwa s[6:7], v9, s4 src0_sel:BYTE_0 src1_sel:DWORD
	s_mov_b64 s[4:5], 0
                                        ; implicit-def: $sgpr10
	s_and_saveexec_b64 s[8:9], s[6:7]
	s_xor_b64 s[6:7], exec, s[8:9]
	s_cbranch_execnz .LBB49_2273
; %bb.225:
	s_or_saveexec_b64 s[6:7], s[6:7]
	v_mov_b32_e32 v2, s10
	s_xor_b64 exec, exec, s[6:7]
	s_cbranch_execnz .LBB49_2276
.LBB49_226:
	s_or_b64 exec, exec, s[6:7]
	s_and_saveexec_b64 s[6:7], s[4:5]
	s_cbranch_execz .LBB49_228
.LBB49_227:
	v_mov_b32_e32 v2, 8
	v_and_b32_e32 v3, 7, v9
	v_lshrrev_b32_sdwa v2, v2, v9 dst_sel:BYTE_1 dst_unused:UNUSED_PAD src0_sel:DWORD src1_sel:DWORD
	v_ffbh_u32_e32 v4, v3
	v_or_b32_sdwa v2, v9, v2 dst_sel:DWORD dst_unused:UNUSED_PAD src0_sel:BYTE_0 src1_sel:DWORD
	v_min_u32_e32 v4, 32, v4
	v_lshrrev_b16_e32 v2, 3, v2
	v_subrev_u32_e32 v6, 28, v4
	v_and_b32_e32 v2, 15, v2
	v_lshlrev_b32_e32 v6, v6, v9
	v_sub_u32_e32 v4, 29, v4
	v_and_b32_e32 v6, 7, v6
	v_cmp_eq_u16_e32 vcc, 0, v2
	v_cndmask_b32_e32 v3, v3, v6, vcc
	v_cndmask_b32_e32 v2, v2, v4, vcc
	v_lshlrev_b32_e32 v4, 24, v9
	v_mov_b32_e32 v6, 0x3b800000
	v_lshlrev_b32_e32 v3, 20, v3
	v_and_b32_e32 v4, 0x80000000, v4
	v_lshl_add_u32 v2, v2, 23, v6
	v_or3_b32 v2, v4, v2, v3
.LBB49_228:
	s_or_b64 exec, exec, s[6:7]
	s_movk_i32 s4, 0x7f
	v_cmp_gt_i16_sdwa s[6:7], v5, s4 src0_sel:BYTE_0 src1_sel:DWORD
	s_mov_b64 s[4:5], 0
                                        ; implicit-def: $sgpr10
	s_and_saveexec_b64 s[8:9], s[6:7]
	s_xor_b64 s[6:7], exec, s[8:9]
	s_cbranch_execnz .LBB49_2277
; %bb.229:
	s_or_saveexec_b64 s[6:7], s[6:7]
	v_mov_b32_e32 v3, s10
	s_xor_b64 exec, exec, s[6:7]
	s_cbranch_execnz .LBB49_2280
.LBB49_230:
	s_or_b64 exec, exec, s[6:7]
	s_and_saveexec_b64 s[6:7], s[4:5]
	s_cbranch_execz .LBB49_232
.LBB49_231:
	v_mov_b32_e32 v3, 8
	v_and_b32_e32 v4, 7, v5
	v_lshrrev_b32_sdwa v3, v3, v5 dst_sel:BYTE_1 dst_unused:UNUSED_PAD src0_sel:DWORD src1_sel:DWORD
	v_ffbh_u32_e32 v6, v4
	v_or_b32_sdwa v3, v5, v3 dst_sel:DWORD dst_unused:UNUSED_PAD src0_sel:BYTE_0 src1_sel:DWORD
	v_min_u32_e32 v6, 32, v6
	v_lshrrev_b16_e32 v3, 3, v3
	v_subrev_u32_e32 v7, 28, v6
	v_and_b32_e32 v3, 15, v3
	v_lshlrev_b32_e32 v7, v7, v5
	v_sub_u32_e32 v6, 29, v6
	v_and_b32_e32 v7, 7, v7
	v_cmp_eq_u16_e32 vcc, 0, v3
	v_cndmask_b32_e32 v4, v4, v7, vcc
	v_cndmask_b32_e32 v3, v3, v6, vcc
	v_lshlrev_b32_e32 v6, 24, v5
	v_mov_b32_e32 v7, 0x3b800000
	v_lshlrev_b32_e32 v4, 20, v4
	v_and_b32_e32 v6, 0x80000000, v6
	v_lshl_add_u32 v3, v3, 23, v7
	v_or3_b32 v3, v6, v3, v4
.LBB49_232:
	s_or_b64 exec, exec, s[6:7]
	s_nop 0
	v_mfma_f32_16x16x4f32 a[0:3], v2, v3, a[0:3]
	v_lshrrev_b32_e32 v3, 8, v9
	s_movk_i32 s4, 0x7f
	v_cmp_gt_i16_sdwa s[6:7], v3, s4 src0_sel:BYTE_0 src1_sel:DWORD
	s_mov_b64 s[4:5], 0
                                        ; implicit-def: $sgpr10
	s_and_saveexec_b64 s[8:9], s[6:7]
	s_xor_b64 s[6:7], exec, s[8:9]
	s_cbranch_execnz .LBB49_2281
; %bb.233:
	s_or_saveexec_b64 s[6:7], s[6:7]
	v_mov_b32_e32 v2, s10
	s_xor_b64 exec, exec, s[6:7]
	s_cbranch_execnz .LBB49_2284
.LBB49_234:
	s_or_b64 exec, exec, s[6:7]
	s_and_saveexec_b64 s[6:7], s[4:5]
	s_cbranch_execz .LBB49_236
.LBB49_235:
	v_bfe_u32 v2, v9, 8, 3
	v_ffbh_u32_e32 v6, v2
	v_min_u32_e32 v6, 32, v6
	v_lshrrev_b16_e32 v4, 3, v3
	v_subrev_u32_e32 v7, 28, v6
	v_and_b32_e32 v4, 15, v4
	v_lshlrev_b32_e32 v3, v7, v3
	v_sub_u32_e32 v6, 29, v6
	v_and_b32_e32 v3, 7, v3
	v_cmp_eq_u16_e32 vcc, 0, v4
	v_cndmask_b32_e32 v2, v2, v3, vcc
	v_cndmask_b32_e32 v3, v4, v6, vcc
	v_lshlrev_b32_e32 v4, 16, v9
	v_mov_b32_e32 v6, 0x3b800000
	v_lshlrev_b32_e32 v2, 20, v2
	v_and_b32_e32 v4, 0x80000000, v4
	v_lshl_add_u32 v3, v3, 23, v6
	v_or3_b32 v2, v4, v3, v2
.LBB49_236:
	s_or_b64 exec, exec, s[6:7]
	v_lshrrev_b32_e32 v3, 8, v5
	s_movk_i32 s4, 0x7f
	v_cmp_gt_i16_sdwa s[6:7], v3, s4 src0_sel:BYTE_0 src1_sel:DWORD
	s_mov_b64 s[4:5], 0
                                        ; implicit-def: $sgpr10
	s_and_saveexec_b64 s[8:9], s[6:7]
	s_xor_b64 s[6:7], exec, s[8:9]
	s_cbranch_execnz .LBB49_2285
; %bb.237:
	s_or_saveexec_b64 s[6:7], s[6:7]
	v_mov_b32_e32 v4, s10
	s_xor_b64 exec, exec, s[6:7]
	s_cbranch_execnz .LBB49_2288
.LBB49_238:
	s_or_b64 exec, exec, s[6:7]
	s_and_saveexec_b64 s[6:7], s[4:5]
	s_cbranch_execz .LBB49_240
.LBB49_239:
	v_bfe_u32 v4, v5, 8, 3
	v_ffbh_u32_e32 v7, v4
	v_min_u32_e32 v7, 32, v7
	v_lshrrev_b16_e32 v6, 3, v3
	v_subrev_u32_e32 v8, 28, v7
	v_and_b32_e32 v6, 15, v6
	v_lshlrev_b32_e32 v3, v8, v3
	v_sub_u32_e32 v7, 29, v7
	v_and_b32_e32 v3, 7, v3
	v_cmp_eq_u16_e32 vcc, 0, v6
	v_cndmask_b32_e32 v3, v4, v3, vcc
	v_cndmask_b32_e32 v4, v6, v7, vcc
	v_lshlrev_b32_e32 v6, 16, v5
	v_mov_b32_e32 v7, 0x3b800000
	v_lshlrev_b32_e32 v3, 20, v3
	v_and_b32_e32 v6, 0x80000000, v6
	v_lshl_add_u32 v4, v4, 23, v7
	v_or3_b32 v4, v6, v4, v3
.LBB49_240:
	s_or_b64 exec, exec, s[6:7]
	s_nop 0
	v_mfma_f32_16x16x4f32 a[0:3], v2, v4, a[0:3]
	s_movk_i32 s4, 0xff
	v_and_b32_sdwa v3, v9, s4 dst_sel:DWORD dst_unused:UNUSED_PAD src0_sel:WORD_1 src1_sel:DWORD
	s_movk_i32 s4, 0x7f
	v_cmp_lt_i16_e32 vcc, s4, v3
	s_mov_b64 s[4:5], 0
                                        ; implicit-def: $sgpr10
	s_and_saveexec_b64 s[6:7], vcc
	s_xor_b64 s[6:7], exec, s[6:7]
	s_cbranch_execnz .LBB49_2289
; %bb.241:
	s_or_saveexec_b64 s[6:7], s[6:7]
	v_mov_b32_e32 v2, s10
	s_xor_b64 exec, exec, s[6:7]
	s_cbranch_execnz .LBB49_2292
.LBB49_242:
	s_or_b64 exec, exec, s[6:7]
	s_and_saveexec_b64 s[6:7], s[4:5]
	s_cbranch_execz .LBB49_244
.LBB49_243:
	v_bfe_u32 v2, v9, 16, 3
	v_ffbh_u32_e32 v6, v2
	v_min_u32_e32 v6, 32, v6
	v_lshrrev_b32_e32 v3, 19, v9
	v_subrev_u32_e32 v7, 28, v6
	v_and_b32_e32 v3, 15, v3
	v_lshlrev_b32_sdwa v7, v7, v9 dst_sel:DWORD dst_unused:UNUSED_PAD src0_sel:DWORD src1_sel:WORD_1
	v_bfe_u32 v4, v9, 19, 4
	v_sub_u32_e32 v6, 29, v6
	v_and_b32_e32 v7, 7, v7
	v_cmp_eq_u16_e32 vcc, 0, v3
	v_cndmask_b32_e32 v2, v2, v7, vcc
	v_cndmask_b32_e32 v3, v4, v6, vcc
	v_lshlrev_b32_e32 v4, 8, v9
	v_mov_b32_e32 v6, 0x3b800000
	v_lshlrev_b32_e32 v2, 20, v2
	v_and_b32_e32 v4, 0x80000000, v4
	v_lshl_add_u32 v3, v3, 23, v6
	v_or3_b32 v2, v4, v3, v2
.LBB49_244:
	s_or_b64 exec, exec, s[6:7]
	s_movk_i32 s4, 0xff
	v_and_b32_sdwa v3, v5, s4 dst_sel:DWORD dst_unused:UNUSED_PAD src0_sel:WORD_1 src1_sel:DWORD
	s_movk_i32 s4, 0x7f
	v_cmp_lt_i16_e32 vcc, s4, v3
	s_mov_b64 s[4:5], 0
                                        ; implicit-def: $sgpr10
	s_and_saveexec_b64 s[6:7], vcc
	s_xor_b64 s[6:7], exec, s[6:7]
	s_cbranch_execnz .LBB49_2293
; %bb.245:
	s_or_saveexec_b64 s[6:7], s[6:7]
	v_mov_b32_e32 v4, s10
	s_xor_b64 exec, exec, s[6:7]
	s_cbranch_execnz .LBB49_2296
.LBB49_246:
	s_or_b64 exec, exec, s[6:7]
	s_and_saveexec_b64 s[6:7], s[4:5]
	s_cbranch_execz .LBB49_248
.LBB49_247:
	v_bfe_u32 v3, v5, 16, 3
	v_ffbh_u32_e32 v7, v3
	v_min_u32_e32 v7, 32, v7
	v_lshrrev_b32_e32 v4, 19, v5
	v_subrev_u32_e32 v8, 28, v7
	v_and_b32_e32 v4, 15, v4
	v_lshlrev_b32_sdwa v8, v8, v5 dst_sel:DWORD dst_unused:UNUSED_PAD src0_sel:DWORD src1_sel:WORD_1
	v_bfe_u32 v6, v5, 19, 4
	v_sub_u32_e32 v7, 29, v7
	v_and_b32_e32 v8, 7, v8
	v_cmp_eq_u16_e32 vcc, 0, v4
	v_cndmask_b32_e32 v3, v3, v8, vcc
	v_cndmask_b32_e32 v4, v6, v7, vcc
	v_lshlrev_b32_e32 v6, 8, v5
	v_mov_b32_e32 v7, 0x3b800000
	v_lshlrev_b32_e32 v3, 20, v3
	v_and_b32_e32 v6, 0x80000000, v6
	v_lshl_add_u32 v4, v4, 23, v7
	v_or3_b32 v4, v6, v4, v3
.LBB49_248:
	s_or_b64 exec, exec, s[6:7]
	s_nop 0
	v_mfma_f32_16x16x4f32 a[0:3], v2, v4, a[0:3]
	s_movk_i32 s4, 0x7f
	v_cmp_gt_i16_sdwa s[6:7], v9, s4 src0_sel:BYTE_3 src1_sel:DWORD
	s_mov_b64 s[4:5], 0
                                        ; implicit-def: $sgpr10
	s_and_saveexec_b64 s[8:9], s[6:7]
	s_xor_b64 s[6:7], exec, s[8:9]
	s_cbranch_execnz .LBB49_2297
; %bb.249:
	s_or_saveexec_b64 s[6:7], s[6:7]
	v_mov_b32_e32 v2, s10
	s_xor_b64 exec, exec, s[6:7]
	s_cbranch_execnz .LBB49_2300
.LBB49_250:
	s_or_b64 exec, exec, s[6:7]
	s_and_saveexec_b64 s[6:7], s[4:5]
	s_cbranch_execz .LBB49_252
.LBB49_251:
	v_bfe_u32 v2, v9, 24, 3
	v_ffbh_u32_e32 v7, v2
	v_min_u32_e32 v7, 32, v7
	v_lshrrev_b32_e32 v4, 27, v9
	v_subrev_u32_e32 v8, 28, v7
	v_and_b32_e32 v4, 15, v4
	v_lshlrev_b32_sdwa v8, v8, v9 dst_sel:DWORD dst_unused:UNUSED_PAD src0_sel:DWORD src1_sel:BYTE_3
	v_bfe_u32 v6, v9, 27, 4
	v_sub_u32_e32 v7, 29, v7
	v_and_b32_e32 v8, 7, v8
	v_cmp_eq_u16_e32 vcc, 0, v4
	v_cndmask_b32_e32 v2, v2, v8, vcc
	v_cndmask_b32_e32 v4, v6, v7, vcc
	v_mov_b32_e32 v6, 0x3b800000
	v_and_b32_e32 v3, 0x80000000, v9
	v_lshlrev_b32_e32 v2, 20, v2
	v_lshl_add_u32 v4, v4, 23, v6
	v_or3_b32 v2, v3, v4, v2
.LBB49_252:
	s_or_b64 exec, exec, s[6:7]
	s_movk_i32 s4, 0x7f
	v_cmp_gt_i16_sdwa s[6:7], v5, s4 src0_sel:BYTE_3 src1_sel:DWORD
	s_mov_b64 s[4:5], 0
                                        ; implicit-def: $sgpr10
	s_and_saveexec_b64 s[8:9], s[6:7]
	s_xor_b64 s[6:7], exec, s[8:9]
	s_cbranch_execnz .LBB49_2301
; %bb.253:
	s_or_saveexec_b64 s[6:7], s[6:7]
	v_mov_b32_e32 v3, s10
	s_xor_b64 exec, exec, s[6:7]
	s_cbranch_execnz .LBB49_2304
.LBB49_254:
	s_or_b64 exec, exec, s[6:7]
	s_and_saveexec_b64 s[6:7], s[4:5]
	s_cbranch_execz .LBB49_256
.LBB49_255:
	v_bfe_u32 v3, v5, 24, 3
	v_ffbh_u32_e32 v8, v3
	v_min_u32_e32 v8, 32, v8
	v_lshrrev_b32_e32 v6, 27, v5
	v_subrev_u32_e32 v9, 28, v8
	v_and_b32_e32 v4, 0x80000000, v5
	v_and_b32_e32 v6, 15, v6
	v_bfe_u32 v7, v5, 27, 4
	v_lshlrev_b32_sdwa v5, v9, v5 dst_sel:DWORD dst_unused:UNUSED_PAD src0_sel:DWORD src1_sel:BYTE_3
	v_sub_u32_e32 v8, 29, v8
	v_and_b32_e32 v5, 7, v5
	v_cmp_eq_u16_e32 vcc, 0, v6
	v_cndmask_b32_e32 v3, v3, v5, vcc
	v_cndmask_b32_e32 v5, v7, v8, vcc
	v_mov_b32_e32 v6, 0x3b800000
	v_lshlrev_b32_e32 v3, 20, v3
	v_lshl_add_u32 v5, v5, 23, v6
	v_or3_b32 v3, v4, v5, v3
.LBB49_256:
	s_or_b64 exec, exec, s[6:7]
	s_nop 0
	v_mfma_f32_16x16x4f32 a[0:3], v2, v3, a[0:3]
	s_movk_i32 s4, 0x7f
                                        ; implicit-def: $sgpr10
	s_nop 7
	s_nop 1
	flat_store_dwordx4 v[18:19], a[0:3] offset:640
	flat_load_dwordx4 v[20:23], v[0:1] offset:8
	s_nop 0
	flat_load_dwordx2 v[18:19], v[0:1] offset:24
	s_waitcnt vmcnt(0) lgkmcnt(0)
	flat_load_dwordx4 v[14:17], v[20:21] offset:32
	flat_load_dwordx4 v[10:13], v[22:23] offset:32
	flat_load_dwordx4 v[6:9], v[20:21] offset:48
	flat_load_dwordx4 v[2:5], v[22:23] offset:48
	s_waitcnt vmcnt(0) lgkmcnt(0)
	v_cmp_gt_i16_sdwa s[6:7], v14, s4 src0_sel:BYTE_0 src1_sel:DWORD
	s_mov_b64 s[4:5], 0
	s_and_saveexec_b64 s[8:9], s[6:7]
	s_xor_b64 s[6:7], exec, s[8:9]
	s_cbranch_execnz .LBB49_2305
; %bb.257:
	s_or_saveexec_b64 s[6:7], s[6:7]
	v_mov_b32_e32 v20, s10
	s_xor_b64 exec, exec, s[6:7]
	s_cbranch_execnz .LBB49_2308
.LBB49_258:
	s_or_b64 exec, exec, s[6:7]
	s_and_saveexec_b64 s[6:7], s[4:5]
	s_cbranch_execz .LBB49_260
.LBB49_259:
	v_and_b32_e32 v20, 7, v14
	v_ffbh_u32_e32 v22, v20
	v_min_u32_e32 v22, 32, v22
	v_lshrrev_b16_e32 v21, 3, v14
	v_subrev_u32_e32 v23, 28, v22
	v_and_b32_e32 v21, 15, v21
	v_lshlrev_b32_e32 v23, v23, v14
	v_sub_u32_e32 v22, 29, v22
	v_and_b32_e32 v23, 7, v23
	v_cmp_eq_u16_e32 vcc, 0, v21
	v_cndmask_b32_e32 v20, v20, v23, vcc
	v_cndmask_b32_e32 v21, v21, v22, vcc
	v_lshlrev_b32_e32 v22, 24, v14
	v_mov_b32_e32 v23, 0x3b800000
	v_lshlrev_b32_e32 v20, 20, v20
	v_and_b32_e32 v22, 0x80000000, v22
	v_lshl_add_u32 v21, v21, 23, v23
	v_or3_b32 v20, v22, v21, v20
.LBB49_260:
	s_or_b64 exec, exec, s[6:7]
	s_movk_i32 s4, 0x7f
	v_cmp_gt_i16_sdwa s[6:7], v10, s4 src0_sel:BYTE_0 src1_sel:DWORD
	s_mov_b64 s[4:5], 0
                                        ; implicit-def: $sgpr10
	s_and_saveexec_b64 s[8:9], s[6:7]
	s_xor_b64 s[6:7], exec, s[8:9]
	s_cbranch_execnz .LBB49_2309
; %bb.261:
	s_or_saveexec_b64 s[6:7], s[6:7]
	v_mov_b32_e32 v21, s10
	s_xor_b64 exec, exec, s[6:7]
	s_cbranch_execnz .LBB49_2312
.LBB49_262:
	s_or_b64 exec, exec, s[6:7]
	s_and_saveexec_b64 s[6:7], s[4:5]
	s_cbranch_execz .LBB49_264
.LBB49_263:
	v_and_b32_e32 v21, 7, v10
	v_ffbh_u32_e32 v23, v21
	v_min_u32_e32 v23, 32, v23
	v_lshrrev_b16_e32 v22, 3, v10
	v_subrev_u32_e32 v24, 28, v23
	v_and_b32_e32 v22, 15, v22
	v_lshlrev_b32_e32 v24, v24, v10
	v_sub_u32_e32 v23, 29, v23
	v_and_b32_e32 v24, 7, v24
	v_cmp_eq_u16_e32 vcc, 0, v22
	v_cndmask_b32_e32 v21, v21, v24, vcc
	v_cndmask_b32_e32 v22, v22, v23, vcc
	v_lshlrev_b32_e32 v23, 24, v10
	v_mov_b32_e32 v24, 0x3b800000
	v_lshlrev_b32_e32 v21, 20, v21
	v_and_b32_e32 v23, 0x80000000, v23
	v_lshl_add_u32 v22, v22, 23, v24
	v_or3_b32 v21, v23, v22, v21
.LBB49_264:
	s_or_b64 exec, exec, s[6:7]
	flat_load_dwordx4 a[0:3], v[18:19] offset:656
	s_movk_i32 s4, 0x7f
                                        ; implicit-def: $sgpr10
	s_waitcnt vmcnt(0) lgkmcnt(0)
	v_mfma_f32_16x16x4f32 a[0:3], v20, v21, a[0:3]
	v_lshrrev_b32_e32 v21, 8, v14
	v_cmp_gt_i16_sdwa s[6:7], v21, s4 src0_sel:BYTE_0 src1_sel:DWORD
	s_mov_b64 s[4:5], 0
	s_and_saveexec_b64 s[8:9], s[6:7]
	s_xor_b64 s[6:7], exec, s[8:9]
	s_cbranch_execnz .LBB49_2313
; %bb.265:
	s_or_saveexec_b64 s[6:7], s[6:7]
	v_mov_b32_e32 v20, s10
	s_xor_b64 exec, exec, s[6:7]
	s_cbranch_execnz .LBB49_2316
.LBB49_266:
	s_or_b64 exec, exec, s[6:7]
	s_and_saveexec_b64 s[6:7], s[4:5]
	s_cbranch_execz .LBB49_268
.LBB49_267:
	v_bfe_u32 v20, v14, 8, 3
	v_ffbh_u32_e32 v23, v20
	v_min_u32_e32 v23, 32, v23
	v_lshrrev_b16_e32 v22, 3, v21
	v_subrev_u32_e32 v24, 28, v23
	v_and_b32_e32 v22, 15, v22
	v_lshlrev_b32_e32 v21, v24, v21
	v_sub_u32_e32 v23, 29, v23
	v_and_b32_e32 v21, 7, v21
	v_cmp_eq_u16_e32 vcc, 0, v22
	v_cndmask_b32_e32 v20, v20, v21, vcc
	v_cndmask_b32_e32 v21, v22, v23, vcc
	v_lshlrev_b32_e32 v22, 16, v14
	v_mov_b32_e32 v23, 0x3b800000
	v_lshlrev_b32_e32 v20, 20, v20
	v_and_b32_e32 v22, 0x80000000, v22
	v_lshl_add_u32 v21, v21, 23, v23
	v_or3_b32 v20, v22, v21, v20
.LBB49_268:
	s_or_b64 exec, exec, s[6:7]
	v_lshrrev_b32_e32 v21, 8, v10
	s_movk_i32 s4, 0x7f
	v_cmp_gt_i16_sdwa s[6:7], v21, s4 src0_sel:BYTE_0 src1_sel:DWORD
	s_mov_b64 s[4:5], 0
                                        ; implicit-def: $sgpr10
	s_and_saveexec_b64 s[8:9], s[6:7]
	s_xor_b64 s[6:7], exec, s[8:9]
	s_cbranch_execnz .LBB49_2317
; %bb.269:
	s_or_saveexec_b64 s[6:7], s[6:7]
	v_mov_b32_e32 v22, s10
	s_xor_b64 exec, exec, s[6:7]
	s_cbranch_execnz .LBB49_2320
.LBB49_270:
	s_or_b64 exec, exec, s[6:7]
	s_and_saveexec_b64 s[6:7], s[4:5]
	s_cbranch_execz .LBB49_272
.LBB49_271:
	v_bfe_u32 v22, v10, 8, 3
	v_ffbh_u32_e32 v24, v22
	v_min_u32_e32 v24, 32, v24
	v_lshrrev_b16_e32 v23, 3, v21
	v_subrev_u32_e32 v25, 28, v24
	v_and_b32_e32 v23, 15, v23
	v_lshlrev_b32_e32 v21, v25, v21
	v_sub_u32_e32 v24, 29, v24
	v_and_b32_e32 v21, 7, v21
	v_cmp_eq_u16_e32 vcc, 0, v23
	v_cndmask_b32_e32 v21, v22, v21, vcc
	v_cndmask_b32_e32 v22, v23, v24, vcc
	v_lshlrev_b32_e32 v23, 16, v10
	v_mov_b32_e32 v24, 0x3b800000
	v_lshlrev_b32_e32 v21, 20, v21
	v_and_b32_e32 v23, 0x80000000, v23
	v_lshl_add_u32 v22, v22, 23, v24
	v_or3_b32 v22, v23, v22, v21
.LBB49_272:
	s_or_b64 exec, exec, s[6:7]
	s_nop 0
	v_mfma_f32_16x16x4f32 a[0:3], v20, v22, a[0:3]
	s_movk_i32 s4, 0xff
	v_and_b32_sdwa v21, v14, s4 dst_sel:DWORD dst_unused:UNUSED_PAD src0_sel:WORD_1 src1_sel:DWORD
	s_movk_i32 s4, 0x7f
	v_cmp_lt_i16_e32 vcc, s4, v21
	s_mov_b64 s[4:5], 0
                                        ; implicit-def: $sgpr10
	s_and_saveexec_b64 s[6:7], vcc
	s_xor_b64 s[6:7], exec, s[6:7]
	s_cbranch_execnz .LBB49_2321
; %bb.273:
	s_or_saveexec_b64 s[6:7], s[6:7]
	v_mov_b32_e32 v20, s10
	s_xor_b64 exec, exec, s[6:7]
	s_cbranch_execnz .LBB49_2324
.LBB49_274:
	s_or_b64 exec, exec, s[6:7]
	s_and_saveexec_b64 s[6:7], s[4:5]
	s_cbranch_execz .LBB49_276
.LBB49_275:
	v_bfe_u32 v20, v14, 16, 3
	v_ffbh_u32_e32 v23, v20
	v_min_u32_e32 v23, 32, v23
	v_lshrrev_b32_e32 v21, 19, v14
	v_subrev_u32_e32 v24, 28, v23
	v_and_b32_e32 v21, 15, v21
	v_lshlrev_b32_sdwa v24, v24, v14 dst_sel:DWORD dst_unused:UNUSED_PAD src0_sel:DWORD src1_sel:WORD_1
	v_bfe_u32 v22, v14, 19, 4
	v_sub_u32_e32 v23, 29, v23
	v_and_b32_e32 v24, 7, v24
	v_cmp_eq_u16_e32 vcc, 0, v21
	v_cndmask_b32_e32 v20, v20, v24, vcc
	v_cndmask_b32_e32 v21, v22, v23, vcc
	v_lshlrev_b32_e32 v22, 8, v14
	v_mov_b32_e32 v23, 0x3b800000
	v_lshlrev_b32_e32 v20, 20, v20
	v_and_b32_e32 v22, 0x80000000, v22
	v_lshl_add_u32 v21, v21, 23, v23
	v_or3_b32 v20, v22, v21, v20
.LBB49_276:
	s_or_b64 exec, exec, s[6:7]
	s_movk_i32 s4, 0xff
	v_and_b32_sdwa v21, v10, s4 dst_sel:DWORD dst_unused:UNUSED_PAD src0_sel:WORD_1 src1_sel:DWORD
	s_movk_i32 s4, 0x7f
	v_cmp_lt_i16_e32 vcc, s4, v21
	s_mov_b64 s[4:5], 0
                                        ; implicit-def: $sgpr10
	s_and_saveexec_b64 s[6:7], vcc
	s_xor_b64 s[6:7], exec, s[6:7]
	s_cbranch_execnz .LBB49_2325
; %bb.277:
	s_or_saveexec_b64 s[6:7], s[6:7]
	v_mov_b32_e32 v22, s10
	s_xor_b64 exec, exec, s[6:7]
	s_cbranch_execnz .LBB49_2328
.LBB49_278:
	s_or_b64 exec, exec, s[6:7]
	s_and_saveexec_b64 s[6:7], s[4:5]
	s_cbranch_execz .LBB49_280
.LBB49_279:
	v_bfe_u32 v21, v10, 16, 3
	v_ffbh_u32_e32 v24, v21
	v_min_u32_e32 v24, 32, v24
	v_lshrrev_b32_e32 v22, 19, v10
	v_subrev_u32_e32 v25, 28, v24
	v_and_b32_e32 v22, 15, v22
	v_lshlrev_b32_sdwa v25, v25, v10 dst_sel:DWORD dst_unused:UNUSED_PAD src0_sel:DWORD src1_sel:WORD_1
	v_bfe_u32 v23, v10, 19, 4
	v_sub_u32_e32 v24, 29, v24
	v_and_b32_e32 v25, 7, v25
	v_cmp_eq_u16_e32 vcc, 0, v22
	v_cndmask_b32_e32 v21, v21, v25, vcc
	v_cndmask_b32_e32 v22, v23, v24, vcc
	v_lshlrev_b32_e32 v23, 8, v10
	v_mov_b32_e32 v24, 0x3b800000
	v_lshlrev_b32_e32 v21, 20, v21
	v_and_b32_e32 v23, 0x80000000, v23
	v_lshl_add_u32 v22, v22, 23, v24
	v_or3_b32 v22, v23, v22, v21
.LBB49_280:
	s_or_b64 exec, exec, s[6:7]
	s_nop 0
	v_mfma_f32_16x16x4f32 a[0:3], v20, v22, a[0:3]
	s_movk_i32 s4, 0x7f
	v_cmp_gt_i16_sdwa s[6:7], v14, s4 src0_sel:BYTE_3 src1_sel:DWORD
	s_mov_b64 s[4:5], 0
                                        ; implicit-def: $sgpr10
	s_and_saveexec_b64 s[8:9], s[6:7]
	s_xor_b64 s[6:7], exec, s[8:9]
	s_cbranch_execnz .LBB49_2329
; %bb.281:
	s_or_saveexec_b64 s[6:7], s[6:7]
	v_mov_b32_e32 v20, s10
	s_xor_b64 exec, exec, s[6:7]
	s_cbranch_execnz .LBB49_2332
.LBB49_282:
	s_or_b64 exec, exec, s[6:7]
	s_and_saveexec_b64 s[6:7], s[4:5]
	s_cbranch_execz .LBB49_284
.LBB49_283:
	v_bfe_u32 v20, v14, 24, 3
	v_ffbh_u32_e32 v24, v20
	v_min_u32_e32 v24, 32, v24
	v_lshrrev_b32_e32 v22, 27, v14
	v_subrev_u32_e32 v25, 28, v24
	v_and_b32_e32 v21, 0x80000000, v14
	v_and_b32_e32 v22, 15, v22
	v_bfe_u32 v23, v14, 27, 4
	v_lshlrev_b32_sdwa v14, v25, v14 dst_sel:DWORD dst_unused:UNUSED_PAD src0_sel:DWORD src1_sel:BYTE_3
	v_sub_u32_e32 v24, 29, v24
	v_and_b32_e32 v14, 7, v14
	v_cmp_eq_u16_e32 vcc, 0, v22
	v_cndmask_b32_e32 v14, v20, v14, vcc
	v_cndmask_b32_e32 v20, v23, v24, vcc
	v_mov_b32_e32 v22, 0x3b800000
	v_lshlrev_b32_e32 v14, 20, v14
	v_lshl_add_u32 v20, v20, 23, v22
	v_or3_b32 v20, v21, v20, v14
.LBB49_284:
	s_or_b64 exec, exec, s[6:7]
	s_movk_i32 s4, 0x7f
	v_cmp_gt_i16_sdwa s[6:7], v10, s4 src0_sel:BYTE_3 src1_sel:DWORD
	s_mov_b64 s[4:5], 0
                                        ; implicit-def: $sgpr10
	s_and_saveexec_b64 s[8:9], s[6:7]
	s_xor_b64 s[6:7], exec, s[8:9]
	s_cbranch_execnz .LBB49_2333
; %bb.285:
	s_or_saveexec_b64 s[6:7], s[6:7]
	v_mov_b32_e32 v14, s10
	s_xor_b64 exec, exec, s[6:7]
	s_cbranch_execnz .LBB49_2336
.LBB49_286:
	s_or_b64 exec, exec, s[6:7]
	s_and_saveexec_b64 s[6:7], s[4:5]
	s_cbranch_execz .LBB49_288
.LBB49_287:
	v_bfe_u32 v14, v10, 24, 3
	v_ffbh_u32_e32 v24, v14
	v_min_u32_e32 v24, 32, v24
	v_lshrrev_b32_e32 v22, 27, v10
	v_subrev_u32_e32 v25, 28, v24
	v_and_b32_e32 v21, 0x80000000, v10
	v_and_b32_e32 v22, 15, v22
	v_bfe_u32 v23, v10, 27, 4
	v_lshlrev_b32_sdwa v10, v25, v10 dst_sel:DWORD dst_unused:UNUSED_PAD src0_sel:DWORD src1_sel:BYTE_3
	v_sub_u32_e32 v24, 29, v24
	v_and_b32_e32 v10, 7, v10
	v_cmp_eq_u16_e32 vcc, 0, v22
	v_cndmask_b32_e32 v10, v14, v10, vcc
	v_cndmask_b32_e32 v14, v23, v24, vcc
	v_mov_b32_e32 v22, 0x3b800000
	v_lshlrev_b32_e32 v10, 20, v10
	v_lshl_add_u32 v14, v14, 23, v22
	v_or3_b32 v14, v21, v14, v10
.LBB49_288:
	s_or_b64 exec, exec, s[6:7]
	s_nop 0
	v_mfma_f32_16x16x4f32 a[0:3], v20, v14, a[0:3]
	s_movk_i32 s4, 0x7f
	v_cmp_gt_i16_sdwa s[6:7], v15, s4 src0_sel:BYTE_0 src1_sel:DWORD
	s_mov_b64 s[4:5], 0
                                        ; implicit-def: $sgpr10
	s_and_saveexec_b64 s[8:9], s[6:7]
	s_xor_b64 s[6:7], exec, s[8:9]
	s_cbranch_execnz .LBB49_2337
; %bb.289:
	s_or_saveexec_b64 s[6:7], s[6:7]
	v_mov_b32_e32 v10, s10
	s_xor_b64 exec, exec, s[6:7]
	s_cbranch_execnz .LBB49_2340
.LBB49_290:
	s_or_b64 exec, exec, s[6:7]
	s_and_saveexec_b64 s[6:7], s[4:5]
	s_cbranch_execz .LBB49_292
.LBB49_291:
	v_and_b32_e32 v10, 7, v15
	v_ffbh_u32_e32 v20, v10
	v_min_u32_e32 v20, 32, v20
	v_lshrrev_b16_e32 v14, 3, v15
	v_subrev_u32_e32 v21, 28, v20
	v_and_b32_e32 v14, 15, v14
	v_lshlrev_b32_e32 v21, v21, v15
	v_sub_u32_e32 v20, 29, v20
	v_and_b32_e32 v21, 7, v21
	v_cmp_eq_u16_e32 vcc, 0, v14
	v_cndmask_b32_e32 v10, v10, v21, vcc
	v_cndmask_b32_e32 v14, v14, v20, vcc
	v_lshlrev_b32_e32 v20, 24, v15
	v_mov_b32_e32 v21, 0x3b800000
	v_lshlrev_b32_e32 v10, 20, v10
	v_and_b32_e32 v20, 0x80000000, v20
	v_lshl_add_u32 v14, v14, 23, v21
	v_or3_b32 v10, v20, v14, v10
.LBB49_292:
	s_or_b64 exec, exec, s[6:7]
	s_movk_i32 s4, 0x7f
	v_cmp_gt_i16_sdwa s[6:7], v11, s4 src0_sel:BYTE_0 src1_sel:DWORD
	s_mov_b64 s[4:5], 0
                                        ; implicit-def: $sgpr10
	s_and_saveexec_b64 s[8:9], s[6:7]
	s_xor_b64 s[6:7], exec, s[8:9]
	s_cbranch_execnz .LBB49_2341
; %bb.293:
	s_or_saveexec_b64 s[6:7], s[6:7]
	v_mov_b32_e32 v14, s10
	s_xor_b64 exec, exec, s[6:7]
	s_cbranch_execnz .LBB49_2344
.LBB49_294:
	s_or_b64 exec, exec, s[6:7]
	s_and_saveexec_b64 s[6:7], s[4:5]
	s_cbranch_execz .LBB49_296
.LBB49_295:
	v_and_b32_e32 v14, 7, v11
	v_ffbh_u32_e32 v21, v14
	v_min_u32_e32 v21, 32, v21
	v_lshrrev_b16_e32 v20, 3, v11
	v_subrev_u32_e32 v22, 28, v21
	v_and_b32_e32 v20, 15, v20
	v_lshlrev_b32_e32 v22, v22, v11
	v_sub_u32_e32 v21, 29, v21
	v_and_b32_e32 v22, 7, v22
	v_cmp_eq_u16_e32 vcc, 0, v20
	v_cndmask_b32_e32 v14, v14, v22, vcc
	v_cndmask_b32_e32 v20, v20, v21, vcc
	v_lshlrev_b32_e32 v21, 24, v11
	v_mov_b32_e32 v22, 0x3b800000
	v_lshlrev_b32_e32 v14, 20, v14
	v_and_b32_e32 v21, 0x80000000, v21
	v_lshl_add_u32 v20, v20, 23, v22
	v_or3_b32 v14, v21, v20, v14
.LBB49_296:
	s_or_b64 exec, exec, s[6:7]
	s_nop 0
	v_mfma_f32_16x16x4f32 a[0:3], v10, v14, a[0:3]
	v_lshrrev_b32_e32 v14, 8, v15
	s_movk_i32 s4, 0x7f
	v_cmp_gt_i16_sdwa s[6:7], v14, s4 src0_sel:BYTE_0 src1_sel:DWORD
	s_mov_b64 s[4:5], 0
                                        ; implicit-def: $sgpr10
	s_and_saveexec_b64 s[8:9], s[6:7]
	s_xor_b64 s[6:7], exec, s[8:9]
	s_cbranch_execnz .LBB49_2345
; %bb.297:
	s_or_saveexec_b64 s[6:7], s[6:7]
	v_mov_b32_e32 v10, s10
	s_xor_b64 exec, exec, s[6:7]
	s_cbranch_execnz .LBB49_2348
.LBB49_298:
	s_or_b64 exec, exec, s[6:7]
	s_and_saveexec_b64 s[6:7], s[4:5]
	s_cbranch_execz .LBB49_300
.LBB49_299:
	v_bfe_u32 v10, v15, 8, 3
	v_ffbh_u32_e32 v21, v10
	v_min_u32_e32 v21, 32, v21
	v_lshrrev_b16_e32 v20, 3, v14
	v_subrev_u32_e32 v22, 28, v21
	v_and_b32_e32 v20, 15, v20
	v_lshlrev_b32_e32 v14, v22, v14
	v_sub_u32_e32 v21, 29, v21
	v_and_b32_e32 v14, 7, v14
	v_cmp_eq_u16_e32 vcc, 0, v20
	v_cndmask_b32_e32 v10, v10, v14, vcc
	v_cndmask_b32_e32 v14, v20, v21, vcc
	v_lshlrev_b32_e32 v20, 16, v15
	v_mov_b32_e32 v21, 0x3b800000
	v_lshlrev_b32_e32 v10, 20, v10
	v_and_b32_e32 v20, 0x80000000, v20
	v_lshl_add_u32 v14, v14, 23, v21
	v_or3_b32 v10, v20, v14, v10
.LBB49_300:
	s_or_b64 exec, exec, s[6:7]
	v_lshrrev_b32_e32 v14, 8, v11
	s_movk_i32 s4, 0x7f
	v_cmp_gt_i16_sdwa s[6:7], v14, s4 src0_sel:BYTE_0 src1_sel:DWORD
	s_mov_b64 s[4:5], 0
                                        ; implicit-def: $sgpr10
	s_and_saveexec_b64 s[8:9], s[6:7]
	s_xor_b64 s[6:7], exec, s[8:9]
	s_cbranch_execnz .LBB49_2349
; %bb.301:
	s_or_saveexec_b64 s[6:7], s[6:7]
	v_mov_b32_e32 v20, s10
	s_xor_b64 exec, exec, s[6:7]
	s_cbranch_execnz .LBB49_2352
.LBB49_302:
	s_or_b64 exec, exec, s[6:7]
	s_and_saveexec_b64 s[6:7], s[4:5]
	s_cbranch_execz .LBB49_304
.LBB49_303:
	v_bfe_u32 v20, v11, 8, 3
	v_ffbh_u32_e32 v22, v20
	v_min_u32_e32 v22, 32, v22
	v_lshrrev_b16_e32 v21, 3, v14
	v_subrev_u32_e32 v23, 28, v22
	v_and_b32_e32 v21, 15, v21
	v_lshlrev_b32_e32 v14, v23, v14
	v_sub_u32_e32 v22, 29, v22
	v_and_b32_e32 v14, 7, v14
	v_cmp_eq_u16_e32 vcc, 0, v21
	v_cndmask_b32_e32 v14, v20, v14, vcc
	v_cndmask_b32_e32 v20, v21, v22, vcc
	v_lshlrev_b32_e32 v21, 16, v11
	v_mov_b32_e32 v22, 0x3b800000
	v_lshlrev_b32_e32 v14, 20, v14
	v_and_b32_e32 v21, 0x80000000, v21
	v_lshl_add_u32 v20, v20, 23, v22
	v_or3_b32 v20, v21, v20, v14
.LBB49_304:
	s_or_b64 exec, exec, s[6:7]
	s_nop 0
	v_mfma_f32_16x16x4f32 a[0:3], v10, v20, a[0:3]
	s_movk_i32 s4, 0xff
	v_and_b32_sdwa v14, v15, s4 dst_sel:DWORD dst_unused:UNUSED_PAD src0_sel:WORD_1 src1_sel:DWORD
	s_movk_i32 s4, 0x7f
	v_cmp_lt_i16_e32 vcc, s4, v14
	s_mov_b64 s[4:5], 0
                                        ; implicit-def: $sgpr10
	s_and_saveexec_b64 s[6:7], vcc
	s_xor_b64 s[6:7], exec, s[6:7]
	s_cbranch_execnz .LBB49_2353
; %bb.305:
	s_or_saveexec_b64 s[6:7], s[6:7]
	v_mov_b32_e32 v10, s10
	s_xor_b64 exec, exec, s[6:7]
	s_cbranch_execnz .LBB49_2356
.LBB49_306:
	s_or_b64 exec, exec, s[6:7]
	s_and_saveexec_b64 s[6:7], s[4:5]
	s_cbranch_execz .LBB49_308
.LBB49_307:
	v_bfe_u32 v10, v15, 16, 3
	v_ffbh_u32_e32 v21, v10
	v_min_u32_e32 v21, 32, v21
	v_lshrrev_b32_e32 v14, 19, v15
	v_subrev_u32_e32 v22, 28, v21
	v_and_b32_e32 v14, 15, v14
	v_lshlrev_b32_sdwa v22, v22, v15 dst_sel:DWORD dst_unused:UNUSED_PAD src0_sel:DWORD src1_sel:WORD_1
	v_bfe_u32 v20, v15, 19, 4
	v_sub_u32_e32 v21, 29, v21
	v_and_b32_e32 v22, 7, v22
	v_cmp_eq_u16_e32 vcc, 0, v14
	v_cndmask_b32_e32 v10, v10, v22, vcc
	v_cndmask_b32_e32 v14, v20, v21, vcc
	v_lshlrev_b32_e32 v20, 8, v15
	v_mov_b32_e32 v21, 0x3b800000
	v_lshlrev_b32_e32 v10, 20, v10
	v_and_b32_e32 v20, 0x80000000, v20
	v_lshl_add_u32 v14, v14, 23, v21
	v_or3_b32 v10, v20, v14, v10
.LBB49_308:
	s_or_b64 exec, exec, s[6:7]
	s_movk_i32 s4, 0xff
	v_and_b32_sdwa v14, v11, s4 dst_sel:DWORD dst_unused:UNUSED_PAD src0_sel:WORD_1 src1_sel:DWORD
	s_movk_i32 s4, 0x7f
	v_cmp_lt_i16_e32 vcc, s4, v14
	s_mov_b64 s[4:5], 0
                                        ; implicit-def: $sgpr10
	s_and_saveexec_b64 s[6:7], vcc
	s_xor_b64 s[6:7], exec, s[6:7]
	s_cbranch_execnz .LBB49_2357
; %bb.309:
	s_or_saveexec_b64 s[6:7], s[6:7]
	v_mov_b32_e32 v20, s10
	s_xor_b64 exec, exec, s[6:7]
	s_cbranch_execnz .LBB49_2360
.LBB49_310:
	s_or_b64 exec, exec, s[6:7]
	s_and_saveexec_b64 s[6:7], s[4:5]
	s_cbranch_execz .LBB49_312
.LBB49_311:
	v_bfe_u32 v14, v11, 16, 3
	v_ffbh_u32_e32 v22, v14
	v_min_u32_e32 v22, 32, v22
	v_lshrrev_b32_e32 v20, 19, v11
	v_subrev_u32_e32 v23, 28, v22
	v_and_b32_e32 v20, 15, v20
	v_lshlrev_b32_sdwa v23, v23, v11 dst_sel:DWORD dst_unused:UNUSED_PAD src0_sel:DWORD src1_sel:WORD_1
	v_bfe_u32 v21, v11, 19, 4
	v_sub_u32_e32 v22, 29, v22
	v_and_b32_e32 v23, 7, v23
	v_cmp_eq_u16_e32 vcc, 0, v20
	v_cndmask_b32_e32 v14, v14, v23, vcc
	v_cndmask_b32_e32 v20, v21, v22, vcc
	v_lshlrev_b32_e32 v21, 8, v11
	v_mov_b32_e32 v22, 0x3b800000
	v_lshlrev_b32_e32 v14, 20, v14
	v_and_b32_e32 v21, 0x80000000, v21
	v_lshl_add_u32 v20, v20, 23, v22
	v_or3_b32 v20, v21, v20, v14
.LBB49_312:
	s_or_b64 exec, exec, s[6:7]
	s_nop 0
	v_mfma_f32_16x16x4f32 a[0:3], v10, v20, a[0:3]
	s_movk_i32 s4, 0x7f
	v_cmp_gt_i16_sdwa s[6:7], v15, s4 src0_sel:BYTE_3 src1_sel:DWORD
	s_mov_b64 s[4:5], 0
                                        ; implicit-def: $sgpr10
	s_and_saveexec_b64 s[8:9], s[6:7]
	s_xor_b64 s[6:7], exec, s[8:9]
	s_cbranch_execnz .LBB49_2361
; %bb.313:
	s_or_saveexec_b64 s[6:7], s[6:7]
	v_mov_b32_e32 v10, s10
	s_xor_b64 exec, exec, s[6:7]
	s_cbranch_execnz .LBB49_2364
.LBB49_314:
	s_or_b64 exec, exec, s[6:7]
	s_and_saveexec_b64 s[6:7], s[4:5]
	s_cbranch_execz .LBB49_316
.LBB49_315:
	v_bfe_u32 v10, v15, 24, 3
	v_ffbh_u32_e32 v22, v10
	v_min_u32_e32 v22, 32, v22
	v_lshrrev_b32_e32 v20, 27, v15
	v_subrev_u32_e32 v23, 28, v22
	v_and_b32_e32 v14, 0x80000000, v15
	v_and_b32_e32 v20, 15, v20
	v_bfe_u32 v21, v15, 27, 4
	v_lshlrev_b32_sdwa v15, v23, v15 dst_sel:DWORD dst_unused:UNUSED_PAD src0_sel:DWORD src1_sel:BYTE_3
	v_sub_u32_e32 v22, 29, v22
	v_and_b32_e32 v15, 7, v15
	v_cmp_eq_u16_e32 vcc, 0, v20
	v_cndmask_b32_e32 v10, v10, v15, vcc
	v_cndmask_b32_e32 v15, v21, v22, vcc
	v_mov_b32_e32 v20, 0x3b800000
	v_lshlrev_b32_e32 v10, 20, v10
	v_lshl_add_u32 v15, v15, 23, v20
	v_or3_b32 v10, v14, v15, v10
.LBB49_316:
	s_or_b64 exec, exec, s[6:7]
	s_movk_i32 s4, 0x7f
	v_cmp_gt_i16_sdwa s[6:7], v11, s4 src0_sel:BYTE_3 src1_sel:DWORD
	s_mov_b64 s[4:5], 0
                                        ; implicit-def: $sgpr10
	s_and_saveexec_b64 s[8:9], s[6:7]
	s_xor_b64 s[6:7], exec, s[8:9]
	s_cbranch_execnz .LBB49_2365
; %bb.317:
	s_or_saveexec_b64 s[6:7], s[6:7]
	v_mov_b32_e32 v14, s10
	s_xor_b64 exec, exec, s[6:7]
	s_cbranch_execnz .LBB49_2368
.LBB49_318:
	s_or_b64 exec, exec, s[6:7]
	s_and_saveexec_b64 s[6:7], s[4:5]
	s_cbranch_execz .LBB49_320
.LBB49_319:
	v_bfe_u32 v14, v11, 24, 3
	v_ffbh_u32_e32 v22, v14
	v_min_u32_e32 v22, 32, v22
	v_lshrrev_b32_e32 v20, 27, v11
	v_subrev_u32_e32 v23, 28, v22
	v_and_b32_e32 v15, 0x80000000, v11
	v_and_b32_e32 v20, 15, v20
	v_bfe_u32 v21, v11, 27, 4
	v_lshlrev_b32_sdwa v11, v23, v11 dst_sel:DWORD dst_unused:UNUSED_PAD src0_sel:DWORD src1_sel:BYTE_3
	v_sub_u32_e32 v22, 29, v22
	v_and_b32_e32 v11, 7, v11
	v_cmp_eq_u16_e32 vcc, 0, v20
	v_cndmask_b32_e32 v11, v14, v11, vcc
	v_cndmask_b32_e32 v14, v21, v22, vcc
	v_mov_b32_e32 v20, 0x3b800000
	v_lshlrev_b32_e32 v11, 20, v11
	v_lshl_add_u32 v14, v14, 23, v20
	v_or3_b32 v14, v15, v14, v11
.LBB49_320:
	s_or_b64 exec, exec, s[6:7]
	s_nop 0
	v_mfma_f32_16x16x4f32 a[0:3], v10, v14, a[0:3]
	s_movk_i32 s4, 0x7f
	v_cmp_gt_i16_sdwa s[6:7], v16, s4 src0_sel:BYTE_0 src1_sel:DWORD
	s_mov_b64 s[4:5], 0
                                        ; implicit-def: $sgpr10
	s_and_saveexec_b64 s[8:9], s[6:7]
	s_xor_b64 s[6:7], exec, s[8:9]
	s_cbranch_execnz .LBB49_2369
; %bb.321:
	s_or_saveexec_b64 s[6:7], s[6:7]
	v_mov_b32_e32 v10, s10
	s_xor_b64 exec, exec, s[6:7]
	s_cbranch_execnz .LBB49_2372
.LBB49_322:
	s_or_b64 exec, exec, s[6:7]
	s_and_saveexec_b64 s[6:7], s[4:5]
	s_cbranch_execz .LBB49_324
.LBB49_323:
	v_and_b32_e32 v10, 7, v16
	v_ffbh_u32_e32 v14, v10
	v_min_u32_e32 v14, 32, v14
	v_lshrrev_b16_e32 v11, 3, v16
	v_subrev_u32_e32 v15, 28, v14
	v_and_b32_e32 v11, 15, v11
	v_lshlrev_b32_e32 v15, v15, v16
	v_sub_u32_e32 v14, 29, v14
	v_and_b32_e32 v15, 7, v15
	v_cmp_eq_u16_e32 vcc, 0, v11
	v_cndmask_b32_e32 v10, v10, v15, vcc
	v_cndmask_b32_e32 v11, v11, v14, vcc
	v_lshlrev_b32_e32 v14, 24, v16
	v_mov_b32_e32 v15, 0x3b800000
	v_lshlrev_b32_e32 v10, 20, v10
	v_and_b32_e32 v14, 0x80000000, v14
	v_lshl_add_u32 v11, v11, 23, v15
	v_or3_b32 v10, v14, v11, v10
.LBB49_324:
	s_or_b64 exec, exec, s[6:7]
	s_movk_i32 s4, 0x7f
	v_cmp_gt_i16_sdwa s[6:7], v12, s4 src0_sel:BYTE_0 src1_sel:DWORD
	s_mov_b64 s[4:5], 0
                                        ; implicit-def: $sgpr10
	s_and_saveexec_b64 s[8:9], s[6:7]
	s_xor_b64 s[6:7], exec, s[8:9]
	s_cbranch_execnz .LBB49_2373
; %bb.325:
	s_or_saveexec_b64 s[6:7], s[6:7]
	v_mov_b32_e32 v11, s10
	s_xor_b64 exec, exec, s[6:7]
	s_cbranch_execnz .LBB49_2376
.LBB49_326:
	s_or_b64 exec, exec, s[6:7]
	s_and_saveexec_b64 s[6:7], s[4:5]
	s_cbranch_execz .LBB49_328
.LBB49_327:
	v_and_b32_e32 v11, 7, v12
	v_ffbh_u32_e32 v15, v11
	v_min_u32_e32 v15, 32, v15
	v_lshrrev_b16_e32 v14, 3, v12
	v_subrev_u32_e32 v20, 28, v15
	v_and_b32_e32 v14, 15, v14
	v_lshlrev_b32_e32 v20, v20, v12
	v_sub_u32_e32 v15, 29, v15
	v_and_b32_e32 v20, 7, v20
	v_cmp_eq_u16_e32 vcc, 0, v14
	v_cndmask_b32_e32 v11, v11, v20, vcc
	v_cndmask_b32_e32 v14, v14, v15, vcc
	v_lshlrev_b32_e32 v15, 24, v12
	v_mov_b32_e32 v20, 0x3b800000
	v_lshlrev_b32_e32 v11, 20, v11
	v_and_b32_e32 v15, 0x80000000, v15
	v_lshl_add_u32 v14, v14, 23, v20
	v_or3_b32 v11, v15, v14, v11
.LBB49_328:
	s_or_b64 exec, exec, s[6:7]
	s_nop 0
	v_mfma_f32_16x16x4f32 a[0:3], v10, v11, a[0:3]
	v_lshrrev_b32_e32 v11, 8, v16
	s_movk_i32 s4, 0x7f
	v_cmp_gt_i16_sdwa s[6:7], v11, s4 src0_sel:BYTE_0 src1_sel:DWORD
	s_mov_b64 s[4:5], 0
                                        ; implicit-def: $sgpr10
	s_and_saveexec_b64 s[8:9], s[6:7]
	s_xor_b64 s[6:7], exec, s[8:9]
	s_cbranch_execnz .LBB49_2377
; %bb.329:
	s_or_saveexec_b64 s[6:7], s[6:7]
	v_mov_b32_e32 v10, s10
	s_xor_b64 exec, exec, s[6:7]
	s_cbranch_execnz .LBB49_2380
.LBB49_330:
	s_or_b64 exec, exec, s[6:7]
	s_and_saveexec_b64 s[6:7], s[4:5]
	s_cbranch_execz .LBB49_332
.LBB49_331:
	v_bfe_u32 v10, v16, 8, 3
	v_ffbh_u32_e32 v15, v10
	v_min_u32_e32 v15, 32, v15
	v_lshrrev_b16_e32 v14, 3, v11
	v_subrev_u32_e32 v20, 28, v15
	v_and_b32_e32 v14, 15, v14
	v_lshlrev_b32_e32 v11, v20, v11
	v_sub_u32_e32 v15, 29, v15
	v_and_b32_e32 v11, 7, v11
	v_cmp_eq_u16_e32 vcc, 0, v14
	v_cndmask_b32_e32 v10, v10, v11, vcc
	v_cndmask_b32_e32 v11, v14, v15, vcc
	v_lshlrev_b32_e32 v14, 16, v16
	v_mov_b32_e32 v15, 0x3b800000
	v_lshlrev_b32_e32 v10, 20, v10
	v_and_b32_e32 v14, 0x80000000, v14
	v_lshl_add_u32 v11, v11, 23, v15
	v_or3_b32 v10, v14, v11, v10
.LBB49_332:
	s_or_b64 exec, exec, s[6:7]
	v_lshrrev_b32_e32 v11, 8, v12
	s_movk_i32 s4, 0x7f
	v_cmp_gt_i16_sdwa s[6:7], v11, s4 src0_sel:BYTE_0 src1_sel:DWORD
	s_mov_b64 s[4:5], 0
                                        ; implicit-def: $sgpr10
	s_and_saveexec_b64 s[8:9], s[6:7]
	s_xor_b64 s[6:7], exec, s[8:9]
	s_cbranch_execnz .LBB49_2381
; %bb.333:
	s_or_saveexec_b64 s[6:7], s[6:7]
	v_mov_b32_e32 v14, s10
	s_xor_b64 exec, exec, s[6:7]
	s_cbranch_execnz .LBB49_2384
.LBB49_334:
	s_or_b64 exec, exec, s[6:7]
	s_and_saveexec_b64 s[6:7], s[4:5]
	s_cbranch_execz .LBB49_336
.LBB49_335:
	v_bfe_u32 v14, v12, 8, 3
	v_ffbh_u32_e32 v20, v14
	v_min_u32_e32 v20, 32, v20
	v_lshrrev_b16_e32 v15, 3, v11
	v_subrev_u32_e32 v21, 28, v20
	v_and_b32_e32 v15, 15, v15
	v_lshlrev_b32_e32 v11, v21, v11
	v_sub_u32_e32 v20, 29, v20
	v_and_b32_e32 v11, 7, v11
	v_cmp_eq_u16_e32 vcc, 0, v15
	v_cndmask_b32_e32 v11, v14, v11, vcc
	v_cndmask_b32_e32 v14, v15, v20, vcc
	v_lshlrev_b32_e32 v15, 16, v12
	v_mov_b32_e32 v20, 0x3b800000
	v_lshlrev_b32_e32 v11, 20, v11
	v_and_b32_e32 v15, 0x80000000, v15
	v_lshl_add_u32 v14, v14, 23, v20
	v_or3_b32 v14, v15, v14, v11
.LBB49_336:
	s_or_b64 exec, exec, s[6:7]
	s_nop 0
	v_mfma_f32_16x16x4f32 a[0:3], v10, v14, a[0:3]
	s_movk_i32 s4, 0xff
	v_and_b32_sdwa v11, v16, s4 dst_sel:DWORD dst_unused:UNUSED_PAD src0_sel:WORD_1 src1_sel:DWORD
	s_movk_i32 s4, 0x7f
	v_cmp_lt_i16_e32 vcc, s4, v11
	s_mov_b64 s[4:5], 0
                                        ; implicit-def: $sgpr10
	s_and_saveexec_b64 s[6:7], vcc
	s_xor_b64 s[6:7], exec, s[6:7]
	s_cbranch_execnz .LBB49_2385
; %bb.337:
	s_or_saveexec_b64 s[6:7], s[6:7]
	v_mov_b32_e32 v10, s10
	s_xor_b64 exec, exec, s[6:7]
	s_cbranch_execnz .LBB49_2388
.LBB49_338:
	s_or_b64 exec, exec, s[6:7]
	s_and_saveexec_b64 s[6:7], s[4:5]
	s_cbranch_execz .LBB49_340
.LBB49_339:
	v_bfe_u32 v10, v16, 16, 3
	v_ffbh_u32_e32 v15, v10
	v_min_u32_e32 v15, 32, v15
	v_lshrrev_b32_e32 v11, 19, v16
	v_subrev_u32_e32 v20, 28, v15
	v_and_b32_e32 v11, 15, v11
	v_lshlrev_b32_sdwa v20, v20, v16 dst_sel:DWORD dst_unused:UNUSED_PAD src0_sel:DWORD src1_sel:WORD_1
	v_bfe_u32 v14, v16, 19, 4
	v_sub_u32_e32 v15, 29, v15
	v_and_b32_e32 v20, 7, v20
	v_cmp_eq_u16_e32 vcc, 0, v11
	v_cndmask_b32_e32 v10, v10, v20, vcc
	v_cndmask_b32_e32 v11, v14, v15, vcc
	v_lshlrev_b32_e32 v14, 8, v16
	v_mov_b32_e32 v15, 0x3b800000
	v_lshlrev_b32_e32 v10, 20, v10
	v_and_b32_e32 v14, 0x80000000, v14
	v_lshl_add_u32 v11, v11, 23, v15
	v_or3_b32 v10, v14, v11, v10
.LBB49_340:
	s_or_b64 exec, exec, s[6:7]
	s_movk_i32 s4, 0xff
	v_and_b32_sdwa v11, v12, s4 dst_sel:DWORD dst_unused:UNUSED_PAD src0_sel:WORD_1 src1_sel:DWORD
	s_movk_i32 s4, 0x7f
	v_cmp_lt_i16_e32 vcc, s4, v11
	s_mov_b64 s[4:5], 0
                                        ; implicit-def: $sgpr10
	s_and_saveexec_b64 s[6:7], vcc
	s_xor_b64 s[6:7], exec, s[6:7]
	s_cbranch_execnz .LBB49_2389
; %bb.341:
	s_or_saveexec_b64 s[6:7], s[6:7]
	v_mov_b32_e32 v14, s10
	s_xor_b64 exec, exec, s[6:7]
	s_cbranch_execnz .LBB49_2392
.LBB49_342:
	s_or_b64 exec, exec, s[6:7]
	s_and_saveexec_b64 s[6:7], s[4:5]
	s_cbranch_execz .LBB49_344
.LBB49_343:
	v_bfe_u32 v11, v12, 16, 3
	v_ffbh_u32_e32 v20, v11
	v_min_u32_e32 v20, 32, v20
	v_lshrrev_b32_e32 v14, 19, v12
	v_subrev_u32_e32 v21, 28, v20
	v_and_b32_e32 v14, 15, v14
	v_lshlrev_b32_sdwa v21, v21, v12 dst_sel:DWORD dst_unused:UNUSED_PAD src0_sel:DWORD src1_sel:WORD_1
	v_bfe_u32 v15, v12, 19, 4
	v_sub_u32_e32 v20, 29, v20
	v_and_b32_e32 v21, 7, v21
	v_cmp_eq_u16_e32 vcc, 0, v14
	v_cndmask_b32_e32 v11, v11, v21, vcc
	v_cndmask_b32_e32 v14, v15, v20, vcc
	v_lshlrev_b32_e32 v15, 8, v12
	v_mov_b32_e32 v20, 0x3b800000
	v_lshlrev_b32_e32 v11, 20, v11
	v_and_b32_e32 v15, 0x80000000, v15
	v_lshl_add_u32 v14, v14, 23, v20
	v_or3_b32 v14, v15, v14, v11
.LBB49_344:
	s_or_b64 exec, exec, s[6:7]
	s_nop 0
	v_mfma_f32_16x16x4f32 a[0:3], v10, v14, a[0:3]
	s_movk_i32 s4, 0x7f
	v_cmp_gt_i16_sdwa s[6:7], v16, s4 src0_sel:BYTE_3 src1_sel:DWORD
	s_mov_b64 s[4:5], 0
                                        ; implicit-def: $sgpr10
	s_and_saveexec_b64 s[8:9], s[6:7]
	s_xor_b64 s[6:7], exec, s[8:9]
	s_cbranch_execnz .LBB49_2393
; %bb.345:
	s_or_saveexec_b64 s[6:7], s[6:7]
	v_mov_b32_e32 v10, s10
	s_xor_b64 exec, exec, s[6:7]
	s_cbranch_execnz .LBB49_2396
.LBB49_346:
	s_or_b64 exec, exec, s[6:7]
	s_and_saveexec_b64 s[6:7], s[4:5]
	s_cbranch_execz .LBB49_348
.LBB49_347:
	v_bfe_u32 v10, v16, 24, 3
	v_ffbh_u32_e32 v20, v10
	v_min_u32_e32 v20, 32, v20
	v_lshrrev_b32_e32 v14, 27, v16
	v_subrev_u32_e32 v21, 28, v20
	v_and_b32_e32 v11, 0x80000000, v16
	v_and_b32_e32 v14, 15, v14
	v_bfe_u32 v15, v16, 27, 4
	v_lshlrev_b32_sdwa v16, v21, v16 dst_sel:DWORD dst_unused:UNUSED_PAD src0_sel:DWORD src1_sel:BYTE_3
	v_sub_u32_e32 v20, 29, v20
	v_and_b32_e32 v16, 7, v16
	v_cmp_eq_u16_e32 vcc, 0, v14
	v_cndmask_b32_e32 v10, v10, v16, vcc
	v_cndmask_b32_e32 v14, v15, v20, vcc
	v_mov_b32_e32 v15, 0x3b800000
	v_lshlrev_b32_e32 v10, 20, v10
	v_lshl_add_u32 v14, v14, 23, v15
	v_or3_b32 v10, v11, v14, v10
.LBB49_348:
	s_or_b64 exec, exec, s[6:7]
	s_movk_i32 s4, 0x7f
	v_cmp_gt_i16_sdwa s[6:7], v12, s4 src0_sel:BYTE_3 src1_sel:DWORD
	s_mov_b64 s[4:5], 0
                                        ; implicit-def: $sgpr10
	s_and_saveexec_b64 s[8:9], s[6:7]
	s_xor_b64 s[6:7], exec, s[8:9]
	s_cbranch_execnz .LBB49_2397
; %bb.349:
	s_or_saveexec_b64 s[6:7], s[6:7]
	v_mov_b32_e32 v11, s10
	s_xor_b64 exec, exec, s[6:7]
	s_cbranch_execnz .LBB49_2400
.LBB49_350:
	s_or_b64 exec, exec, s[6:7]
	s_and_saveexec_b64 s[6:7], s[4:5]
	s_cbranch_execz .LBB49_352
.LBB49_351:
	v_bfe_u32 v11, v12, 24, 3
	v_ffbh_u32_e32 v20, v11
	v_min_u32_e32 v20, 32, v20
	v_lshrrev_b32_e32 v15, 27, v12
	v_subrev_u32_e32 v21, 28, v20
	v_and_b32_e32 v14, 0x80000000, v12
	v_and_b32_e32 v15, 15, v15
	v_bfe_u32 v16, v12, 27, 4
	v_lshlrev_b32_sdwa v12, v21, v12 dst_sel:DWORD dst_unused:UNUSED_PAD src0_sel:DWORD src1_sel:BYTE_3
	v_sub_u32_e32 v20, 29, v20
	v_and_b32_e32 v12, 7, v12
	v_cmp_eq_u16_e32 vcc, 0, v15
	v_cndmask_b32_e32 v11, v11, v12, vcc
	v_cndmask_b32_e32 v12, v16, v20, vcc
	v_mov_b32_e32 v15, 0x3b800000
	v_lshlrev_b32_e32 v11, 20, v11
	v_lshl_add_u32 v12, v12, 23, v15
	v_or3_b32 v11, v14, v12, v11
.LBB49_352:
	s_or_b64 exec, exec, s[6:7]
	s_nop 0
	v_mfma_f32_16x16x4f32 a[0:3], v10, v11, a[0:3]
	s_movk_i32 s4, 0x7f
	v_cmp_gt_i16_sdwa s[6:7], v17, s4 src0_sel:BYTE_0 src1_sel:DWORD
	s_mov_b64 s[4:5], 0
                                        ; implicit-def: $sgpr10
	s_and_saveexec_b64 s[8:9], s[6:7]
	s_xor_b64 s[6:7], exec, s[8:9]
	s_cbranch_execnz .LBB49_2401
; %bb.353:
	s_or_saveexec_b64 s[6:7], s[6:7]
	v_mov_b32_e32 v10, s10
	s_xor_b64 exec, exec, s[6:7]
	s_cbranch_execnz .LBB49_2404
.LBB49_354:
	s_or_b64 exec, exec, s[6:7]
	s_and_saveexec_b64 s[6:7], s[4:5]
	s_cbranch_execz .LBB49_356
.LBB49_355:
	v_and_b32_e32 v10, 7, v17
	v_ffbh_u32_e32 v12, v10
	v_min_u32_e32 v12, 32, v12
	v_lshrrev_b16_e32 v11, 3, v17
	v_subrev_u32_e32 v14, 28, v12
	v_and_b32_e32 v11, 15, v11
	v_lshlrev_b32_e32 v14, v14, v17
	v_sub_u32_e32 v12, 29, v12
	v_and_b32_e32 v14, 7, v14
	v_cmp_eq_u16_e32 vcc, 0, v11
	v_cndmask_b32_e32 v10, v10, v14, vcc
	v_cndmask_b32_e32 v11, v11, v12, vcc
	v_lshlrev_b32_e32 v12, 24, v17
	v_mov_b32_e32 v14, 0x3b800000
	v_lshlrev_b32_e32 v10, 20, v10
	v_and_b32_e32 v12, 0x80000000, v12
	v_lshl_add_u32 v11, v11, 23, v14
	v_or3_b32 v10, v12, v11, v10
.LBB49_356:
	s_or_b64 exec, exec, s[6:7]
	s_movk_i32 s4, 0x7f
	v_cmp_gt_i16_sdwa s[6:7], v13, s4 src0_sel:BYTE_0 src1_sel:DWORD
	s_mov_b64 s[4:5], 0
                                        ; implicit-def: $sgpr10
	s_and_saveexec_b64 s[8:9], s[6:7]
	s_xor_b64 s[6:7], exec, s[8:9]
	s_cbranch_execnz .LBB49_2405
; %bb.357:
	s_or_saveexec_b64 s[6:7], s[6:7]
	v_mov_b32_e32 v11, s10
	s_xor_b64 exec, exec, s[6:7]
	s_cbranch_execnz .LBB49_2408
.LBB49_358:
	s_or_b64 exec, exec, s[6:7]
	s_and_saveexec_b64 s[6:7], s[4:5]
	s_cbranch_execz .LBB49_360
.LBB49_359:
	v_and_b32_e32 v11, 7, v13
	v_ffbh_u32_e32 v14, v11
	v_min_u32_e32 v14, 32, v14
	v_lshrrev_b16_e32 v12, 3, v13
	v_subrev_u32_e32 v15, 28, v14
	v_and_b32_e32 v12, 15, v12
	v_lshlrev_b32_e32 v15, v15, v13
	v_sub_u32_e32 v14, 29, v14
	v_and_b32_e32 v15, 7, v15
	v_cmp_eq_u16_e32 vcc, 0, v12
	v_cndmask_b32_e32 v11, v11, v15, vcc
	v_cndmask_b32_e32 v12, v12, v14, vcc
	v_lshlrev_b32_e32 v14, 24, v13
	v_mov_b32_e32 v15, 0x3b800000
	v_lshlrev_b32_e32 v11, 20, v11
	v_and_b32_e32 v14, 0x80000000, v14
	v_lshl_add_u32 v12, v12, 23, v15
	v_or3_b32 v11, v14, v12, v11
.LBB49_360:
	s_or_b64 exec, exec, s[6:7]
	s_nop 0
	v_mfma_f32_16x16x4f32 a[0:3], v10, v11, a[0:3]
	v_lshrrev_b32_e32 v11, 8, v17
	s_movk_i32 s4, 0x7f
	v_cmp_gt_i16_sdwa s[6:7], v11, s4 src0_sel:BYTE_0 src1_sel:DWORD
	s_mov_b64 s[4:5], 0
                                        ; implicit-def: $sgpr10
	s_and_saveexec_b64 s[8:9], s[6:7]
	s_xor_b64 s[6:7], exec, s[8:9]
	s_cbranch_execnz .LBB49_2409
; %bb.361:
	s_or_saveexec_b64 s[6:7], s[6:7]
	v_mov_b32_e32 v10, s10
	s_xor_b64 exec, exec, s[6:7]
	s_cbranch_execnz .LBB49_2412
.LBB49_362:
	s_or_b64 exec, exec, s[6:7]
	s_and_saveexec_b64 s[6:7], s[4:5]
	s_cbranch_execz .LBB49_364
.LBB49_363:
	v_bfe_u32 v10, v17, 8, 3
	v_ffbh_u32_e32 v14, v10
	v_min_u32_e32 v14, 32, v14
	v_lshrrev_b16_e32 v12, 3, v11
	v_subrev_u32_e32 v15, 28, v14
	v_and_b32_e32 v12, 15, v12
	v_lshlrev_b32_e32 v11, v15, v11
	v_sub_u32_e32 v14, 29, v14
	v_and_b32_e32 v11, 7, v11
	v_cmp_eq_u16_e32 vcc, 0, v12
	v_cndmask_b32_e32 v10, v10, v11, vcc
	v_cndmask_b32_e32 v11, v12, v14, vcc
	v_lshlrev_b32_e32 v12, 16, v17
	v_mov_b32_e32 v14, 0x3b800000
	v_lshlrev_b32_e32 v10, 20, v10
	v_and_b32_e32 v12, 0x80000000, v12
	v_lshl_add_u32 v11, v11, 23, v14
	v_or3_b32 v10, v12, v11, v10
.LBB49_364:
	s_or_b64 exec, exec, s[6:7]
	v_lshrrev_b32_e32 v11, 8, v13
	s_movk_i32 s4, 0x7f
	v_cmp_gt_i16_sdwa s[6:7], v11, s4 src0_sel:BYTE_0 src1_sel:DWORD
	s_mov_b64 s[4:5], 0
                                        ; implicit-def: $sgpr10
	s_and_saveexec_b64 s[8:9], s[6:7]
	s_xor_b64 s[6:7], exec, s[8:9]
	s_cbranch_execnz .LBB49_2413
; %bb.365:
	s_or_saveexec_b64 s[6:7], s[6:7]
	v_mov_b32_e32 v12, s10
	s_xor_b64 exec, exec, s[6:7]
	s_cbranch_execnz .LBB49_2416
.LBB49_366:
	s_or_b64 exec, exec, s[6:7]
	s_and_saveexec_b64 s[6:7], s[4:5]
	s_cbranch_execz .LBB49_368
.LBB49_367:
	v_bfe_u32 v12, v13, 8, 3
	v_ffbh_u32_e32 v15, v12
	v_min_u32_e32 v15, 32, v15
	v_lshrrev_b16_e32 v14, 3, v11
	v_subrev_u32_e32 v16, 28, v15
	v_and_b32_e32 v14, 15, v14
	v_lshlrev_b32_e32 v11, v16, v11
	v_sub_u32_e32 v15, 29, v15
	v_and_b32_e32 v11, 7, v11
	v_cmp_eq_u16_e32 vcc, 0, v14
	v_cndmask_b32_e32 v11, v12, v11, vcc
	v_cndmask_b32_e32 v12, v14, v15, vcc
	v_lshlrev_b32_e32 v14, 16, v13
	v_mov_b32_e32 v15, 0x3b800000
	v_lshlrev_b32_e32 v11, 20, v11
	v_and_b32_e32 v14, 0x80000000, v14
	v_lshl_add_u32 v12, v12, 23, v15
	v_or3_b32 v12, v14, v12, v11
.LBB49_368:
	s_or_b64 exec, exec, s[6:7]
	s_nop 0
	v_mfma_f32_16x16x4f32 a[0:3], v10, v12, a[0:3]
	s_movk_i32 s4, 0xff
	v_and_b32_sdwa v11, v17, s4 dst_sel:DWORD dst_unused:UNUSED_PAD src0_sel:WORD_1 src1_sel:DWORD
	s_movk_i32 s4, 0x7f
	v_cmp_lt_i16_e32 vcc, s4, v11
	s_mov_b64 s[4:5], 0
                                        ; implicit-def: $sgpr10
	s_and_saveexec_b64 s[6:7], vcc
	s_xor_b64 s[6:7], exec, s[6:7]
	s_cbranch_execnz .LBB49_2417
; %bb.369:
	s_or_saveexec_b64 s[6:7], s[6:7]
	v_mov_b32_e32 v10, s10
	s_xor_b64 exec, exec, s[6:7]
	s_cbranch_execnz .LBB49_2420
.LBB49_370:
	s_or_b64 exec, exec, s[6:7]
	s_and_saveexec_b64 s[6:7], s[4:5]
	s_cbranch_execz .LBB49_372
.LBB49_371:
	v_bfe_u32 v10, v17, 16, 3
	v_ffbh_u32_e32 v14, v10
	v_min_u32_e32 v14, 32, v14
	v_lshrrev_b32_e32 v11, 19, v17
	v_subrev_u32_e32 v15, 28, v14
	v_and_b32_e32 v11, 15, v11
	v_lshlrev_b32_sdwa v15, v15, v17 dst_sel:DWORD dst_unused:UNUSED_PAD src0_sel:DWORD src1_sel:WORD_1
	v_bfe_u32 v12, v17, 19, 4
	v_sub_u32_e32 v14, 29, v14
	v_and_b32_e32 v15, 7, v15
	v_cmp_eq_u16_e32 vcc, 0, v11
	v_cndmask_b32_e32 v10, v10, v15, vcc
	v_cndmask_b32_e32 v11, v12, v14, vcc
	v_lshlrev_b32_e32 v12, 8, v17
	v_mov_b32_e32 v14, 0x3b800000
	v_lshlrev_b32_e32 v10, 20, v10
	v_and_b32_e32 v12, 0x80000000, v12
	v_lshl_add_u32 v11, v11, 23, v14
	v_or3_b32 v10, v12, v11, v10
.LBB49_372:
	s_or_b64 exec, exec, s[6:7]
	s_movk_i32 s4, 0xff
	v_and_b32_sdwa v11, v13, s4 dst_sel:DWORD dst_unused:UNUSED_PAD src0_sel:WORD_1 src1_sel:DWORD
	s_movk_i32 s4, 0x7f
	v_cmp_lt_i16_e32 vcc, s4, v11
	s_mov_b64 s[4:5], 0
                                        ; implicit-def: $sgpr10
	s_and_saveexec_b64 s[6:7], vcc
	s_xor_b64 s[6:7], exec, s[6:7]
	s_cbranch_execnz .LBB49_2421
; %bb.373:
	s_or_saveexec_b64 s[6:7], s[6:7]
	v_mov_b32_e32 v12, s10
	s_xor_b64 exec, exec, s[6:7]
	s_cbranch_execnz .LBB49_2424
.LBB49_374:
	s_or_b64 exec, exec, s[6:7]
	s_and_saveexec_b64 s[6:7], s[4:5]
	s_cbranch_execz .LBB49_376
.LBB49_375:
	v_bfe_u32 v11, v13, 16, 3
	v_ffbh_u32_e32 v15, v11
	v_min_u32_e32 v15, 32, v15
	v_lshrrev_b32_e32 v12, 19, v13
	v_subrev_u32_e32 v16, 28, v15
	v_and_b32_e32 v12, 15, v12
	v_lshlrev_b32_sdwa v16, v16, v13 dst_sel:DWORD dst_unused:UNUSED_PAD src0_sel:DWORD src1_sel:WORD_1
	v_bfe_u32 v14, v13, 19, 4
	v_sub_u32_e32 v15, 29, v15
	v_and_b32_e32 v16, 7, v16
	v_cmp_eq_u16_e32 vcc, 0, v12
	v_cndmask_b32_e32 v11, v11, v16, vcc
	v_cndmask_b32_e32 v12, v14, v15, vcc
	v_lshlrev_b32_e32 v14, 8, v13
	v_mov_b32_e32 v15, 0x3b800000
	v_lshlrev_b32_e32 v11, 20, v11
	v_and_b32_e32 v14, 0x80000000, v14
	v_lshl_add_u32 v12, v12, 23, v15
	v_or3_b32 v12, v14, v12, v11
.LBB49_376:
	s_or_b64 exec, exec, s[6:7]
	s_nop 0
	v_mfma_f32_16x16x4f32 a[0:3], v10, v12, a[0:3]
	s_movk_i32 s4, 0x7f
	v_cmp_gt_i16_sdwa s[6:7], v17, s4 src0_sel:BYTE_3 src1_sel:DWORD
	s_mov_b64 s[4:5], 0
                                        ; implicit-def: $sgpr10
	s_and_saveexec_b64 s[8:9], s[6:7]
	s_xor_b64 s[6:7], exec, s[8:9]
	s_cbranch_execnz .LBB49_2425
; %bb.377:
	s_or_saveexec_b64 s[6:7], s[6:7]
	v_mov_b32_e32 v10, s10
	s_xor_b64 exec, exec, s[6:7]
	s_cbranch_execnz .LBB49_2428
.LBB49_378:
	s_or_b64 exec, exec, s[6:7]
	s_and_saveexec_b64 s[6:7], s[4:5]
	s_cbranch_execz .LBB49_380
.LBB49_379:
	v_bfe_u32 v10, v17, 24, 3
	v_ffbh_u32_e32 v15, v10
	v_min_u32_e32 v15, 32, v15
	v_lshrrev_b32_e32 v12, 27, v17
	v_subrev_u32_e32 v16, 28, v15
	v_and_b32_e32 v12, 15, v12
	v_lshlrev_b32_sdwa v16, v16, v17 dst_sel:DWORD dst_unused:UNUSED_PAD src0_sel:DWORD src1_sel:BYTE_3
	v_bfe_u32 v14, v17, 27, 4
	v_sub_u32_e32 v15, 29, v15
	v_and_b32_e32 v16, 7, v16
	v_cmp_eq_u16_e32 vcc, 0, v12
	v_cndmask_b32_e32 v10, v10, v16, vcc
	v_cndmask_b32_e32 v12, v14, v15, vcc
	v_mov_b32_e32 v14, 0x3b800000
	v_and_b32_e32 v11, 0x80000000, v17
	v_lshlrev_b32_e32 v10, 20, v10
	v_lshl_add_u32 v12, v12, 23, v14
	v_or3_b32 v10, v11, v12, v10
.LBB49_380:
	s_or_b64 exec, exec, s[6:7]
	s_movk_i32 s4, 0x7f
	v_cmp_gt_i16_sdwa s[6:7], v13, s4 src0_sel:BYTE_3 src1_sel:DWORD
	s_mov_b64 s[4:5], 0
                                        ; implicit-def: $sgpr10
	s_and_saveexec_b64 s[8:9], s[6:7]
	s_xor_b64 s[6:7], exec, s[8:9]
	s_cbranch_execnz .LBB49_2429
; %bb.381:
	s_or_saveexec_b64 s[6:7], s[6:7]
	v_mov_b32_e32 v11, s10
	s_xor_b64 exec, exec, s[6:7]
	s_cbranch_execnz .LBB49_2432
.LBB49_382:
	s_or_b64 exec, exec, s[6:7]
	s_and_saveexec_b64 s[6:7], s[4:5]
	s_cbranch_execz .LBB49_384
.LBB49_383:
	v_bfe_u32 v11, v13, 24, 3
	v_ffbh_u32_e32 v16, v11
	v_min_u32_e32 v16, 32, v16
	v_lshrrev_b32_e32 v14, 27, v13
	v_subrev_u32_e32 v17, 28, v16
	v_and_b32_e32 v12, 0x80000000, v13
	v_and_b32_e32 v14, 15, v14
	v_bfe_u32 v15, v13, 27, 4
	v_lshlrev_b32_sdwa v13, v17, v13 dst_sel:DWORD dst_unused:UNUSED_PAD src0_sel:DWORD src1_sel:BYTE_3
	v_sub_u32_e32 v16, 29, v16
	v_and_b32_e32 v13, 7, v13
	v_cmp_eq_u16_e32 vcc, 0, v14
	v_cndmask_b32_e32 v11, v11, v13, vcc
	v_cndmask_b32_e32 v13, v15, v16, vcc
	v_mov_b32_e32 v14, 0x3b800000
	v_lshlrev_b32_e32 v11, 20, v11
	v_lshl_add_u32 v13, v13, 23, v14
	v_or3_b32 v11, v12, v13, v11
.LBB49_384:
	s_or_b64 exec, exec, s[6:7]
	s_nop 0
	v_mfma_f32_16x16x4f32 a[0:3], v10, v11, a[0:3]
	s_movk_i32 s4, 0x7f
	v_cmp_gt_i16_sdwa s[6:7], v6, s4 src0_sel:BYTE_0 src1_sel:DWORD
	s_mov_b64 s[4:5], 0
                                        ; implicit-def: $sgpr10
	s_and_saveexec_b64 s[8:9], s[6:7]
	s_xor_b64 s[6:7], exec, s[8:9]
	s_cbranch_execnz .LBB49_2433
; %bb.385:
	s_or_saveexec_b64 s[6:7], s[6:7]
	v_mov_b32_e32 v10, s10
	s_xor_b64 exec, exec, s[6:7]
	s_cbranch_execnz .LBB49_2436
.LBB49_386:
	s_or_b64 exec, exec, s[6:7]
	s_and_saveexec_b64 s[6:7], s[4:5]
	s_cbranch_execz .LBB49_388
.LBB49_387:
	v_and_b32_e32 v10, 7, v6
	v_ffbh_u32_e32 v12, v10
	v_min_u32_e32 v12, 32, v12
	v_lshrrev_b16_e32 v11, 3, v6
	v_subrev_u32_e32 v13, 28, v12
	v_and_b32_e32 v11, 15, v11
	v_lshlrev_b32_e32 v13, v13, v6
	v_sub_u32_e32 v12, 29, v12
	v_and_b32_e32 v13, 7, v13
	v_cmp_eq_u16_e32 vcc, 0, v11
	v_cndmask_b32_e32 v10, v10, v13, vcc
	v_cndmask_b32_e32 v11, v11, v12, vcc
	v_lshlrev_b32_e32 v12, 24, v6
	v_mov_b32_e32 v13, 0x3b800000
	v_lshlrev_b32_e32 v10, 20, v10
	v_and_b32_e32 v12, 0x80000000, v12
	v_lshl_add_u32 v11, v11, 23, v13
	v_or3_b32 v10, v12, v11, v10
.LBB49_388:
	s_or_b64 exec, exec, s[6:7]
	s_movk_i32 s4, 0x7f
	v_cmp_gt_i16_sdwa s[6:7], v2, s4 src0_sel:BYTE_0 src1_sel:DWORD
	s_mov_b64 s[4:5], 0
                                        ; implicit-def: $sgpr10
	s_and_saveexec_b64 s[8:9], s[6:7]
	s_xor_b64 s[6:7], exec, s[8:9]
	s_cbranch_execnz .LBB49_2437
; %bb.389:
	s_or_saveexec_b64 s[6:7], s[6:7]
	v_mov_b32_e32 v11, s10
	s_xor_b64 exec, exec, s[6:7]
	s_cbranch_execnz .LBB49_2440
.LBB49_390:
	s_or_b64 exec, exec, s[6:7]
	s_and_saveexec_b64 s[6:7], s[4:5]
	s_cbranch_execz .LBB49_392
.LBB49_391:
	v_and_b32_e32 v11, 7, v2
	v_ffbh_u32_e32 v13, v11
	v_min_u32_e32 v13, 32, v13
	v_lshrrev_b16_e32 v12, 3, v2
	v_subrev_u32_e32 v14, 28, v13
	v_and_b32_e32 v12, 15, v12
	v_lshlrev_b32_e32 v14, v14, v2
	v_sub_u32_e32 v13, 29, v13
	v_and_b32_e32 v14, 7, v14
	v_cmp_eq_u16_e32 vcc, 0, v12
	v_cndmask_b32_e32 v11, v11, v14, vcc
	v_cndmask_b32_e32 v12, v12, v13, vcc
	v_lshlrev_b32_e32 v13, 24, v2
	v_mov_b32_e32 v14, 0x3b800000
	v_lshlrev_b32_e32 v11, 20, v11
	v_and_b32_e32 v13, 0x80000000, v13
	v_lshl_add_u32 v12, v12, 23, v14
	v_or3_b32 v11, v13, v12, v11
.LBB49_392:
	s_or_b64 exec, exec, s[6:7]
	s_nop 0
	v_mfma_f32_16x16x4f32 a[0:3], v10, v11, a[0:3]
	v_lshrrev_b32_e32 v11, 8, v6
	s_movk_i32 s4, 0x7f
	v_cmp_gt_i16_sdwa s[6:7], v11, s4 src0_sel:BYTE_0 src1_sel:DWORD
	s_mov_b64 s[4:5], 0
                                        ; implicit-def: $sgpr10
	s_and_saveexec_b64 s[8:9], s[6:7]
	s_xor_b64 s[6:7], exec, s[8:9]
	s_cbranch_execnz .LBB49_2441
; %bb.393:
	s_or_saveexec_b64 s[6:7], s[6:7]
	v_mov_b32_e32 v10, s10
	s_xor_b64 exec, exec, s[6:7]
	s_cbranch_execnz .LBB49_2444
.LBB49_394:
	s_or_b64 exec, exec, s[6:7]
	s_and_saveexec_b64 s[6:7], s[4:5]
	s_cbranch_execz .LBB49_396
.LBB49_395:
	v_bfe_u32 v10, v6, 8, 3
	v_ffbh_u32_e32 v13, v10
	v_min_u32_e32 v13, 32, v13
	v_lshrrev_b16_e32 v12, 3, v11
	v_subrev_u32_e32 v14, 28, v13
	v_and_b32_e32 v12, 15, v12
	v_lshlrev_b32_e32 v11, v14, v11
	v_sub_u32_e32 v13, 29, v13
	v_and_b32_e32 v11, 7, v11
	v_cmp_eq_u16_e32 vcc, 0, v12
	v_cndmask_b32_e32 v10, v10, v11, vcc
	v_cndmask_b32_e32 v11, v12, v13, vcc
	v_lshlrev_b32_e32 v12, 16, v6
	v_mov_b32_e32 v13, 0x3b800000
	v_lshlrev_b32_e32 v10, 20, v10
	v_and_b32_e32 v12, 0x80000000, v12
	v_lshl_add_u32 v11, v11, 23, v13
	v_or3_b32 v10, v12, v11, v10
.LBB49_396:
	s_or_b64 exec, exec, s[6:7]
	v_lshrrev_b32_e32 v11, 8, v2
	s_movk_i32 s4, 0x7f
	v_cmp_gt_i16_sdwa s[6:7], v11, s4 src0_sel:BYTE_0 src1_sel:DWORD
	s_mov_b64 s[4:5], 0
                                        ; implicit-def: $sgpr10
	s_and_saveexec_b64 s[8:9], s[6:7]
	s_xor_b64 s[6:7], exec, s[8:9]
	s_cbranch_execnz .LBB49_2445
; %bb.397:
	s_or_saveexec_b64 s[6:7], s[6:7]
	v_mov_b32_e32 v12, s10
	s_xor_b64 exec, exec, s[6:7]
	s_cbranch_execnz .LBB49_2448
.LBB49_398:
	s_or_b64 exec, exec, s[6:7]
	s_and_saveexec_b64 s[6:7], s[4:5]
	s_cbranch_execz .LBB49_400
.LBB49_399:
	v_bfe_u32 v12, v2, 8, 3
	v_ffbh_u32_e32 v14, v12
	v_min_u32_e32 v14, 32, v14
	v_lshrrev_b16_e32 v13, 3, v11
	v_subrev_u32_e32 v15, 28, v14
	v_and_b32_e32 v13, 15, v13
	v_lshlrev_b32_e32 v11, v15, v11
	v_sub_u32_e32 v14, 29, v14
	v_and_b32_e32 v11, 7, v11
	v_cmp_eq_u16_e32 vcc, 0, v13
	v_cndmask_b32_e32 v11, v12, v11, vcc
	v_cndmask_b32_e32 v12, v13, v14, vcc
	v_lshlrev_b32_e32 v13, 16, v2
	v_mov_b32_e32 v14, 0x3b800000
	v_lshlrev_b32_e32 v11, 20, v11
	v_and_b32_e32 v13, 0x80000000, v13
	v_lshl_add_u32 v12, v12, 23, v14
	v_or3_b32 v12, v13, v12, v11
.LBB49_400:
	s_or_b64 exec, exec, s[6:7]
	s_nop 0
	v_mfma_f32_16x16x4f32 a[0:3], v10, v12, a[0:3]
	s_movk_i32 s4, 0xff
	v_and_b32_sdwa v11, v6, s4 dst_sel:DWORD dst_unused:UNUSED_PAD src0_sel:WORD_1 src1_sel:DWORD
	s_movk_i32 s4, 0x7f
	v_cmp_lt_i16_e32 vcc, s4, v11
	s_mov_b64 s[4:5], 0
                                        ; implicit-def: $sgpr10
	s_and_saveexec_b64 s[6:7], vcc
	s_xor_b64 s[6:7], exec, s[6:7]
	s_cbranch_execnz .LBB49_2449
; %bb.401:
	s_or_saveexec_b64 s[6:7], s[6:7]
	v_mov_b32_e32 v10, s10
	s_xor_b64 exec, exec, s[6:7]
	s_cbranch_execnz .LBB49_2452
.LBB49_402:
	s_or_b64 exec, exec, s[6:7]
	s_and_saveexec_b64 s[6:7], s[4:5]
	s_cbranch_execz .LBB49_404
.LBB49_403:
	v_bfe_u32 v10, v6, 16, 3
	v_ffbh_u32_e32 v13, v10
	v_min_u32_e32 v13, 32, v13
	v_lshrrev_b32_e32 v11, 19, v6
	v_subrev_u32_e32 v14, 28, v13
	v_and_b32_e32 v11, 15, v11
	v_lshlrev_b32_sdwa v14, v14, v6 dst_sel:DWORD dst_unused:UNUSED_PAD src0_sel:DWORD src1_sel:WORD_1
	v_bfe_u32 v12, v6, 19, 4
	v_sub_u32_e32 v13, 29, v13
	v_and_b32_e32 v14, 7, v14
	v_cmp_eq_u16_e32 vcc, 0, v11
	v_cndmask_b32_e32 v10, v10, v14, vcc
	v_cndmask_b32_e32 v11, v12, v13, vcc
	v_lshlrev_b32_e32 v12, 8, v6
	v_mov_b32_e32 v13, 0x3b800000
	v_lshlrev_b32_e32 v10, 20, v10
	v_and_b32_e32 v12, 0x80000000, v12
	v_lshl_add_u32 v11, v11, 23, v13
	v_or3_b32 v10, v12, v11, v10
.LBB49_404:
	s_or_b64 exec, exec, s[6:7]
	s_movk_i32 s4, 0xff
	v_and_b32_sdwa v11, v2, s4 dst_sel:DWORD dst_unused:UNUSED_PAD src0_sel:WORD_1 src1_sel:DWORD
	s_movk_i32 s4, 0x7f
	v_cmp_lt_i16_e32 vcc, s4, v11
	s_mov_b64 s[4:5], 0
                                        ; implicit-def: $sgpr10
	s_and_saveexec_b64 s[6:7], vcc
	s_xor_b64 s[6:7], exec, s[6:7]
	s_cbranch_execnz .LBB49_2453
; %bb.405:
	s_or_saveexec_b64 s[6:7], s[6:7]
	v_mov_b32_e32 v12, s10
	s_xor_b64 exec, exec, s[6:7]
	s_cbranch_execnz .LBB49_2456
.LBB49_406:
	s_or_b64 exec, exec, s[6:7]
	s_and_saveexec_b64 s[6:7], s[4:5]
	s_cbranch_execz .LBB49_408
.LBB49_407:
	v_bfe_u32 v11, v2, 16, 3
	v_ffbh_u32_e32 v14, v11
	v_min_u32_e32 v14, 32, v14
	v_lshrrev_b32_e32 v12, 19, v2
	v_subrev_u32_e32 v15, 28, v14
	v_and_b32_e32 v12, 15, v12
	v_lshlrev_b32_sdwa v15, v15, v2 dst_sel:DWORD dst_unused:UNUSED_PAD src0_sel:DWORD src1_sel:WORD_1
	v_bfe_u32 v13, v2, 19, 4
	v_sub_u32_e32 v14, 29, v14
	v_and_b32_e32 v15, 7, v15
	v_cmp_eq_u16_e32 vcc, 0, v12
	v_cndmask_b32_e32 v11, v11, v15, vcc
	v_cndmask_b32_e32 v12, v13, v14, vcc
	v_lshlrev_b32_e32 v13, 8, v2
	v_mov_b32_e32 v14, 0x3b800000
	v_lshlrev_b32_e32 v11, 20, v11
	v_and_b32_e32 v13, 0x80000000, v13
	v_lshl_add_u32 v12, v12, 23, v14
	v_or3_b32 v12, v13, v12, v11
.LBB49_408:
	s_or_b64 exec, exec, s[6:7]
	s_nop 0
	v_mfma_f32_16x16x4f32 a[0:3], v10, v12, a[0:3]
	s_movk_i32 s4, 0x7f
	v_cmp_gt_i16_sdwa s[6:7], v6, s4 src0_sel:BYTE_3 src1_sel:DWORD
	s_mov_b64 s[4:5], 0
                                        ; implicit-def: $sgpr10
	s_and_saveexec_b64 s[8:9], s[6:7]
	s_xor_b64 s[6:7], exec, s[8:9]
	s_cbranch_execnz .LBB49_2457
; %bb.409:
	s_or_saveexec_b64 s[6:7], s[6:7]
	v_mov_b32_e32 v10, s10
	s_xor_b64 exec, exec, s[6:7]
	s_cbranch_execnz .LBB49_2460
.LBB49_410:
	s_or_b64 exec, exec, s[6:7]
	s_and_saveexec_b64 s[6:7], s[4:5]
	s_cbranch_execz .LBB49_412
.LBB49_411:
	v_bfe_u32 v10, v6, 24, 3
	v_ffbh_u32_e32 v14, v10
	v_min_u32_e32 v14, 32, v14
	v_lshrrev_b32_e32 v12, 27, v6
	v_subrev_u32_e32 v15, 28, v14
	v_and_b32_e32 v11, 0x80000000, v6
	v_and_b32_e32 v12, 15, v12
	v_bfe_u32 v13, v6, 27, 4
	v_lshlrev_b32_sdwa v6, v15, v6 dst_sel:DWORD dst_unused:UNUSED_PAD src0_sel:DWORD src1_sel:BYTE_3
	v_sub_u32_e32 v14, 29, v14
	v_and_b32_e32 v6, 7, v6
	v_cmp_eq_u16_e32 vcc, 0, v12
	v_cndmask_b32_e32 v6, v10, v6, vcc
	v_cndmask_b32_e32 v10, v13, v14, vcc
	v_mov_b32_e32 v12, 0x3b800000
	v_lshlrev_b32_e32 v6, 20, v6
	v_lshl_add_u32 v10, v10, 23, v12
	v_or3_b32 v10, v11, v10, v6
.LBB49_412:
	s_or_b64 exec, exec, s[6:7]
	s_movk_i32 s4, 0x7f
	v_cmp_gt_i16_sdwa s[6:7], v2, s4 src0_sel:BYTE_3 src1_sel:DWORD
	s_mov_b64 s[4:5], 0
                                        ; implicit-def: $sgpr10
	s_and_saveexec_b64 s[8:9], s[6:7]
	s_xor_b64 s[6:7], exec, s[8:9]
	s_cbranch_execnz .LBB49_2461
; %bb.413:
	s_or_saveexec_b64 s[6:7], s[6:7]
	v_mov_b32_e32 v6, s10
	s_xor_b64 exec, exec, s[6:7]
	s_cbranch_execnz .LBB49_2464
.LBB49_414:
	s_or_b64 exec, exec, s[6:7]
	s_and_saveexec_b64 s[6:7], s[4:5]
	s_cbranch_execz .LBB49_416
.LBB49_415:
	v_bfe_u32 v6, v2, 24, 3
	v_ffbh_u32_e32 v14, v6
	v_min_u32_e32 v14, 32, v14
	v_lshrrev_b32_e32 v12, 27, v2
	v_subrev_u32_e32 v15, 28, v14
	v_and_b32_e32 v11, 0x80000000, v2
	v_and_b32_e32 v12, 15, v12
	v_bfe_u32 v13, v2, 27, 4
	v_lshlrev_b32_sdwa v2, v15, v2 dst_sel:DWORD dst_unused:UNUSED_PAD src0_sel:DWORD src1_sel:BYTE_3
	v_sub_u32_e32 v14, 29, v14
	v_and_b32_e32 v2, 7, v2
	v_cmp_eq_u16_e32 vcc, 0, v12
	v_cndmask_b32_e32 v2, v6, v2, vcc
	v_cndmask_b32_e32 v6, v13, v14, vcc
	v_mov_b32_e32 v12, 0x3b800000
	v_lshlrev_b32_e32 v2, 20, v2
	v_lshl_add_u32 v6, v6, 23, v12
	v_or3_b32 v6, v11, v6, v2
.LBB49_416:
	s_or_b64 exec, exec, s[6:7]
	s_nop 0
	v_mfma_f32_16x16x4f32 a[0:3], v10, v6, a[0:3]
	s_movk_i32 s4, 0x7f
	v_cmp_gt_i16_sdwa s[6:7], v7, s4 src0_sel:BYTE_0 src1_sel:DWORD
	s_mov_b64 s[4:5], 0
                                        ; implicit-def: $sgpr10
	s_and_saveexec_b64 s[8:9], s[6:7]
	s_xor_b64 s[6:7], exec, s[8:9]
	s_cbranch_execnz .LBB49_2465
; %bb.417:
	s_or_saveexec_b64 s[6:7], s[6:7]
	v_mov_b32_e32 v2, s10
	s_xor_b64 exec, exec, s[6:7]
	s_cbranch_execnz .LBB49_2468
.LBB49_418:
	s_or_b64 exec, exec, s[6:7]
	s_and_saveexec_b64 s[6:7], s[4:5]
	s_cbranch_execz .LBB49_420
.LBB49_419:
	v_and_b32_e32 v2, 7, v7
	v_ffbh_u32_e32 v10, v2
	v_min_u32_e32 v10, 32, v10
	v_lshrrev_b16_e32 v6, 3, v7
	v_subrev_u32_e32 v11, 28, v10
	v_and_b32_e32 v6, 15, v6
	v_lshlrev_b32_e32 v11, v11, v7
	v_sub_u32_e32 v10, 29, v10
	v_and_b32_e32 v11, 7, v11
	v_cmp_eq_u16_e32 vcc, 0, v6
	v_cndmask_b32_e32 v2, v2, v11, vcc
	v_cndmask_b32_e32 v6, v6, v10, vcc
	v_lshlrev_b32_e32 v10, 24, v7
	v_mov_b32_e32 v11, 0x3b800000
	v_lshlrev_b32_e32 v2, 20, v2
	v_and_b32_e32 v10, 0x80000000, v10
	v_lshl_add_u32 v6, v6, 23, v11
	v_or3_b32 v2, v10, v6, v2
.LBB49_420:
	s_or_b64 exec, exec, s[6:7]
	s_movk_i32 s4, 0x7f
	v_cmp_gt_i16_sdwa s[6:7], v3, s4 src0_sel:BYTE_0 src1_sel:DWORD
	s_mov_b64 s[4:5], 0
                                        ; implicit-def: $sgpr10
	s_and_saveexec_b64 s[8:9], s[6:7]
	s_xor_b64 s[6:7], exec, s[8:9]
	s_cbranch_execnz .LBB49_2469
; %bb.421:
	s_or_saveexec_b64 s[6:7], s[6:7]
	v_mov_b32_e32 v6, s10
	s_xor_b64 exec, exec, s[6:7]
	s_cbranch_execnz .LBB49_2472
.LBB49_422:
	s_or_b64 exec, exec, s[6:7]
	s_and_saveexec_b64 s[6:7], s[4:5]
	s_cbranch_execz .LBB49_424
.LBB49_423:
	v_and_b32_e32 v6, 7, v3
	v_ffbh_u32_e32 v11, v6
	v_min_u32_e32 v11, 32, v11
	v_lshrrev_b16_e32 v10, 3, v3
	v_subrev_u32_e32 v12, 28, v11
	v_and_b32_e32 v10, 15, v10
	v_lshlrev_b32_e32 v12, v12, v3
	v_sub_u32_e32 v11, 29, v11
	v_and_b32_e32 v12, 7, v12
	v_cmp_eq_u16_e32 vcc, 0, v10
	v_cndmask_b32_e32 v6, v6, v12, vcc
	v_cndmask_b32_e32 v10, v10, v11, vcc
	v_lshlrev_b32_e32 v11, 24, v3
	v_mov_b32_e32 v12, 0x3b800000
	v_lshlrev_b32_e32 v6, 20, v6
	v_and_b32_e32 v11, 0x80000000, v11
	v_lshl_add_u32 v10, v10, 23, v12
	v_or3_b32 v6, v11, v10, v6
.LBB49_424:
	s_or_b64 exec, exec, s[6:7]
	s_nop 0
	v_mfma_f32_16x16x4f32 a[0:3], v2, v6, a[0:3]
	v_lshrrev_b32_e32 v6, 8, v7
	s_movk_i32 s4, 0x7f
	v_cmp_gt_i16_sdwa s[6:7], v6, s4 src0_sel:BYTE_0 src1_sel:DWORD
	s_mov_b64 s[4:5], 0
                                        ; implicit-def: $sgpr10
	s_and_saveexec_b64 s[8:9], s[6:7]
	s_xor_b64 s[6:7], exec, s[8:9]
	s_cbranch_execnz .LBB49_2473
; %bb.425:
	s_or_saveexec_b64 s[6:7], s[6:7]
	v_mov_b32_e32 v2, s10
	s_xor_b64 exec, exec, s[6:7]
	s_cbranch_execnz .LBB49_2476
.LBB49_426:
	s_or_b64 exec, exec, s[6:7]
	s_and_saveexec_b64 s[6:7], s[4:5]
	s_cbranch_execz .LBB49_428
.LBB49_427:
	v_bfe_u32 v2, v7, 8, 3
	v_ffbh_u32_e32 v11, v2
	v_min_u32_e32 v11, 32, v11
	v_lshrrev_b16_e32 v10, 3, v6
	v_subrev_u32_e32 v12, 28, v11
	v_and_b32_e32 v10, 15, v10
	v_lshlrev_b32_e32 v6, v12, v6
	v_sub_u32_e32 v11, 29, v11
	v_and_b32_e32 v6, 7, v6
	v_cmp_eq_u16_e32 vcc, 0, v10
	v_cndmask_b32_e32 v2, v2, v6, vcc
	v_cndmask_b32_e32 v6, v10, v11, vcc
	v_lshlrev_b32_e32 v10, 16, v7
	v_mov_b32_e32 v11, 0x3b800000
	v_lshlrev_b32_e32 v2, 20, v2
	v_and_b32_e32 v10, 0x80000000, v10
	v_lshl_add_u32 v6, v6, 23, v11
	v_or3_b32 v2, v10, v6, v2
.LBB49_428:
	s_or_b64 exec, exec, s[6:7]
	v_lshrrev_b32_e32 v6, 8, v3
	s_movk_i32 s4, 0x7f
	v_cmp_gt_i16_sdwa s[6:7], v6, s4 src0_sel:BYTE_0 src1_sel:DWORD
	s_mov_b64 s[4:5], 0
                                        ; implicit-def: $sgpr10
	s_and_saveexec_b64 s[8:9], s[6:7]
	s_xor_b64 s[6:7], exec, s[8:9]
	s_cbranch_execnz .LBB49_2477
; %bb.429:
	s_or_saveexec_b64 s[6:7], s[6:7]
	v_mov_b32_e32 v10, s10
	s_xor_b64 exec, exec, s[6:7]
	s_cbranch_execnz .LBB49_2480
.LBB49_430:
	s_or_b64 exec, exec, s[6:7]
	s_and_saveexec_b64 s[6:7], s[4:5]
	s_cbranch_execz .LBB49_432
.LBB49_431:
	v_bfe_u32 v10, v3, 8, 3
	v_ffbh_u32_e32 v12, v10
	v_min_u32_e32 v12, 32, v12
	v_lshrrev_b16_e32 v11, 3, v6
	v_subrev_u32_e32 v13, 28, v12
	v_and_b32_e32 v11, 15, v11
	v_lshlrev_b32_e32 v6, v13, v6
	v_sub_u32_e32 v12, 29, v12
	v_and_b32_e32 v6, 7, v6
	v_cmp_eq_u16_e32 vcc, 0, v11
	v_cndmask_b32_e32 v6, v10, v6, vcc
	v_cndmask_b32_e32 v10, v11, v12, vcc
	v_lshlrev_b32_e32 v11, 16, v3
	v_mov_b32_e32 v12, 0x3b800000
	v_lshlrev_b32_e32 v6, 20, v6
	v_and_b32_e32 v11, 0x80000000, v11
	v_lshl_add_u32 v10, v10, 23, v12
	v_or3_b32 v10, v11, v10, v6
.LBB49_432:
	s_or_b64 exec, exec, s[6:7]
	s_nop 0
	v_mfma_f32_16x16x4f32 a[0:3], v2, v10, a[0:3]
	s_movk_i32 s4, 0xff
	v_and_b32_sdwa v6, v7, s4 dst_sel:DWORD dst_unused:UNUSED_PAD src0_sel:WORD_1 src1_sel:DWORD
	s_movk_i32 s4, 0x7f
	v_cmp_lt_i16_e32 vcc, s4, v6
	s_mov_b64 s[4:5], 0
                                        ; implicit-def: $sgpr10
	s_and_saveexec_b64 s[6:7], vcc
	s_xor_b64 s[6:7], exec, s[6:7]
	s_cbranch_execnz .LBB49_2481
; %bb.433:
	s_or_saveexec_b64 s[6:7], s[6:7]
	v_mov_b32_e32 v2, s10
	s_xor_b64 exec, exec, s[6:7]
	s_cbranch_execnz .LBB49_2484
.LBB49_434:
	s_or_b64 exec, exec, s[6:7]
	s_and_saveexec_b64 s[6:7], s[4:5]
	s_cbranch_execz .LBB49_436
.LBB49_435:
	v_bfe_u32 v2, v7, 16, 3
	v_ffbh_u32_e32 v11, v2
	v_min_u32_e32 v11, 32, v11
	v_lshrrev_b32_e32 v6, 19, v7
	v_subrev_u32_e32 v12, 28, v11
	v_and_b32_e32 v6, 15, v6
	v_lshlrev_b32_sdwa v12, v12, v7 dst_sel:DWORD dst_unused:UNUSED_PAD src0_sel:DWORD src1_sel:WORD_1
	v_bfe_u32 v10, v7, 19, 4
	v_sub_u32_e32 v11, 29, v11
	v_and_b32_e32 v12, 7, v12
	v_cmp_eq_u16_e32 vcc, 0, v6
	v_cndmask_b32_e32 v2, v2, v12, vcc
	v_cndmask_b32_e32 v6, v10, v11, vcc
	v_lshlrev_b32_e32 v10, 8, v7
	v_mov_b32_e32 v11, 0x3b800000
	v_lshlrev_b32_e32 v2, 20, v2
	v_and_b32_e32 v10, 0x80000000, v10
	v_lshl_add_u32 v6, v6, 23, v11
	v_or3_b32 v2, v10, v6, v2
.LBB49_436:
	s_or_b64 exec, exec, s[6:7]
	s_movk_i32 s4, 0xff
	v_and_b32_sdwa v6, v3, s4 dst_sel:DWORD dst_unused:UNUSED_PAD src0_sel:WORD_1 src1_sel:DWORD
	s_movk_i32 s4, 0x7f
	v_cmp_lt_i16_e32 vcc, s4, v6
	s_mov_b64 s[4:5], 0
                                        ; implicit-def: $sgpr10
	s_and_saveexec_b64 s[6:7], vcc
	s_xor_b64 s[6:7], exec, s[6:7]
	s_cbranch_execnz .LBB49_2485
; %bb.437:
	s_or_saveexec_b64 s[6:7], s[6:7]
	v_mov_b32_e32 v10, s10
	s_xor_b64 exec, exec, s[6:7]
	s_cbranch_execnz .LBB49_2488
.LBB49_438:
	s_or_b64 exec, exec, s[6:7]
	s_and_saveexec_b64 s[6:7], s[4:5]
	s_cbranch_execz .LBB49_440
.LBB49_439:
	v_bfe_u32 v6, v3, 16, 3
	v_ffbh_u32_e32 v12, v6
	v_min_u32_e32 v12, 32, v12
	v_lshrrev_b32_e32 v10, 19, v3
	v_subrev_u32_e32 v13, 28, v12
	v_and_b32_e32 v10, 15, v10
	v_lshlrev_b32_sdwa v13, v13, v3 dst_sel:DWORD dst_unused:UNUSED_PAD src0_sel:DWORD src1_sel:WORD_1
	v_bfe_u32 v11, v3, 19, 4
	v_sub_u32_e32 v12, 29, v12
	v_and_b32_e32 v13, 7, v13
	v_cmp_eq_u16_e32 vcc, 0, v10
	v_cndmask_b32_e32 v6, v6, v13, vcc
	v_cndmask_b32_e32 v10, v11, v12, vcc
	v_lshlrev_b32_e32 v11, 8, v3
	v_mov_b32_e32 v12, 0x3b800000
	v_lshlrev_b32_e32 v6, 20, v6
	v_and_b32_e32 v11, 0x80000000, v11
	v_lshl_add_u32 v10, v10, 23, v12
	v_or3_b32 v10, v11, v10, v6
.LBB49_440:
	s_or_b64 exec, exec, s[6:7]
	s_nop 0
	v_mfma_f32_16x16x4f32 a[0:3], v2, v10, a[0:3]
	s_movk_i32 s4, 0x7f
	v_cmp_gt_i16_sdwa s[6:7], v7, s4 src0_sel:BYTE_3 src1_sel:DWORD
	s_mov_b64 s[4:5], 0
                                        ; implicit-def: $sgpr10
	s_and_saveexec_b64 s[8:9], s[6:7]
	s_xor_b64 s[6:7], exec, s[8:9]
	s_cbranch_execnz .LBB49_2489
; %bb.441:
	s_or_saveexec_b64 s[6:7], s[6:7]
	v_mov_b32_e32 v2, s10
	s_xor_b64 exec, exec, s[6:7]
	s_cbranch_execnz .LBB49_2492
.LBB49_442:
	s_or_b64 exec, exec, s[6:7]
	s_and_saveexec_b64 s[6:7], s[4:5]
	s_cbranch_execz .LBB49_444
.LBB49_443:
	v_bfe_u32 v2, v7, 24, 3
	v_ffbh_u32_e32 v12, v2
	v_min_u32_e32 v12, 32, v12
	v_lshrrev_b32_e32 v10, 27, v7
	v_subrev_u32_e32 v13, 28, v12
	v_and_b32_e32 v6, 0x80000000, v7
	v_and_b32_e32 v10, 15, v10
	v_bfe_u32 v11, v7, 27, 4
	v_lshlrev_b32_sdwa v7, v13, v7 dst_sel:DWORD dst_unused:UNUSED_PAD src0_sel:DWORD src1_sel:BYTE_3
	v_sub_u32_e32 v12, 29, v12
	v_and_b32_e32 v7, 7, v7
	v_cmp_eq_u16_e32 vcc, 0, v10
	v_cndmask_b32_e32 v2, v2, v7, vcc
	v_cndmask_b32_e32 v7, v11, v12, vcc
	v_mov_b32_e32 v10, 0x3b800000
	v_lshlrev_b32_e32 v2, 20, v2
	v_lshl_add_u32 v7, v7, 23, v10
	v_or3_b32 v2, v6, v7, v2
.LBB49_444:
	s_or_b64 exec, exec, s[6:7]
	s_movk_i32 s4, 0x7f
	v_cmp_gt_i16_sdwa s[6:7], v3, s4 src0_sel:BYTE_3 src1_sel:DWORD
	s_mov_b64 s[4:5], 0
                                        ; implicit-def: $sgpr10
	s_and_saveexec_b64 s[8:9], s[6:7]
	s_xor_b64 s[6:7], exec, s[8:9]
	s_cbranch_execnz .LBB49_2493
; %bb.445:
	s_or_saveexec_b64 s[6:7], s[6:7]
	v_mov_b32_e32 v6, s10
	s_xor_b64 exec, exec, s[6:7]
	s_cbranch_execnz .LBB49_2496
.LBB49_446:
	s_or_b64 exec, exec, s[6:7]
	s_and_saveexec_b64 s[6:7], s[4:5]
	s_cbranch_execz .LBB49_448
.LBB49_447:
	v_bfe_u32 v6, v3, 24, 3
	v_ffbh_u32_e32 v12, v6
	v_min_u32_e32 v12, 32, v12
	v_lshrrev_b32_e32 v10, 27, v3
	v_subrev_u32_e32 v13, 28, v12
	v_and_b32_e32 v7, 0x80000000, v3
	v_and_b32_e32 v10, 15, v10
	v_bfe_u32 v11, v3, 27, 4
	v_lshlrev_b32_sdwa v3, v13, v3 dst_sel:DWORD dst_unused:UNUSED_PAD src0_sel:DWORD src1_sel:BYTE_3
	v_sub_u32_e32 v12, 29, v12
	v_and_b32_e32 v3, 7, v3
	v_cmp_eq_u16_e32 vcc, 0, v10
	v_cndmask_b32_e32 v3, v6, v3, vcc
	v_cndmask_b32_e32 v6, v11, v12, vcc
	v_mov_b32_e32 v10, 0x3b800000
	v_lshlrev_b32_e32 v3, 20, v3
	v_lshl_add_u32 v6, v6, 23, v10
	v_or3_b32 v6, v7, v6, v3
.LBB49_448:
	s_or_b64 exec, exec, s[6:7]
	s_nop 0
	v_mfma_f32_16x16x4f32 a[0:3], v2, v6, a[0:3]
	s_movk_i32 s4, 0x7f
	v_cmp_gt_i16_sdwa s[6:7], v8, s4 src0_sel:BYTE_0 src1_sel:DWORD
	s_mov_b64 s[4:5], 0
                                        ; implicit-def: $sgpr10
	s_and_saveexec_b64 s[8:9], s[6:7]
	s_xor_b64 s[6:7], exec, s[8:9]
	s_cbranch_execnz .LBB49_2497
; %bb.449:
	s_or_saveexec_b64 s[6:7], s[6:7]
	v_mov_b32_e32 v2, s10
	s_xor_b64 exec, exec, s[6:7]
	s_cbranch_execnz .LBB49_2500
.LBB49_450:
	s_or_b64 exec, exec, s[6:7]
	s_and_saveexec_b64 s[6:7], s[4:5]
	s_cbranch_execz .LBB49_452
.LBB49_451:
	v_and_b32_e32 v2, 7, v8
	v_ffbh_u32_e32 v6, v2
	v_min_u32_e32 v6, 32, v6
	v_lshrrev_b16_e32 v3, 3, v8
	v_subrev_u32_e32 v7, 28, v6
	v_and_b32_e32 v3, 15, v3
	v_lshlrev_b32_e32 v7, v7, v8
	v_sub_u32_e32 v6, 29, v6
	v_and_b32_e32 v7, 7, v7
	v_cmp_eq_u16_e32 vcc, 0, v3
	v_cndmask_b32_e32 v2, v2, v7, vcc
	v_cndmask_b32_e32 v3, v3, v6, vcc
	v_lshlrev_b32_e32 v6, 24, v8
	v_mov_b32_e32 v7, 0x3b800000
	v_lshlrev_b32_e32 v2, 20, v2
	v_and_b32_e32 v6, 0x80000000, v6
	v_lshl_add_u32 v3, v3, 23, v7
	v_or3_b32 v2, v6, v3, v2
.LBB49_452:
	s_or_b64 exec, exec, s[6:7]
	s_movk_i32 s4, 0x7f
	v_cmp_gt_i16_sdwa s[6:7], v4, s4 src0_sel:BYTE_0 src1_sel:DWORD
	s_mov_b64 s[4:5], 0
                                        ; implicit-def: $sgpr10
	s_and_saveexec_b64 s[8:9], s[6:7]
	s_xor_b64 s[6:7], exec, s[8:9]
	s_cbranch_execnz .LBB49_2501
; %bb.453:
	s_or_saveexec_b64 s[6:7], s[6:7]
	v_mov_b32_e32 v3, s10
	s_xor_b64 exec, exec, s[6:7]
	s_cbranch_execnz .LBB49_2504
.LBB49_454:
	s_or_b64 exec, exec, s[6:7]
	s_and_saveexec_b64 s[6:7], s[4:5]
	s_cbranch_execz .LBB49_456
.LBB49_455:
	v_and_b32_e32 v3, 7, v4
	v_ffbh_u32_e32 v7, v3
	v_min_u32_e32 v7, 32, v7
	v_lshrrev_b16_e32 v6, 3, v4
	v_subrev_u32_e32 v10, 28, v7
	v_and_b32_e32 v6, 15, v6
	v_lshlrev_b32_e32 v10, v10, v4
	v_sub_u32_e32 v7, 29, v7
	v_and_b32_e32 v10, 7, v10
	v_cmp_eq_u16_e32 vcc, 0, v6
	v_cndmask_b32_e32 v3, v3, v10, vcc
	v_cndmask_b32_e32 v6, v6, v7, vcc
	v_lshlrev_b32_e32 v7, 24, v4
	v_mov_b32_e32 v10, 0x3b800000
	v_lshlrev_b32_e32 v3, 20, v3
	v_and_b32_e32 v7, 0x80000000, v7
	v_lshl_add_u32 v6, v6, 23, v10
	v_or3_b32 v3, v7, v6, v3
.LBB49_456:
	s_or_b64 exec, exec, s[6:7]
	s_nop 0
	v_mfma_f32_16x16x4f32 a[0:3], v2, v3, a[0:3]
	v_lshrrev_b32_e32 v3, 8, v8
	s_movk_i32 s4, 0x7f
	v_cmp_gt_i16_sdwa s[6:7], v3, s4 src0_sel:BYTE_0 src1_sel:DWORD
	s_mov_b64 s[4:5], 0
                                        ; implicit-def: $sgpr10
	s_and_saveexec_b64 s[8:9], s[6:7]
	s_xor_b64 s[6:7], exec, s[8:9]
	s_cbranch_execnz .LBB49_2505
; %bb.457:
	s_or_saveexec_b64 s[6:7], s[6:7]
	v_mov_b32_e32 v2, s10
	s_xor_b64 exec, exec, s[6:7]
	s_cbranch_execnz .LBB49_2508
.LBB49_458:
	s_or_b64 exec, exec, s[6:7]
	s_and_saveexec_b64 s[6:7], s[4:5]
	s_cbranch_execz .LBB49_460
.LBB49_459:
	v_bfe_u32 v2, v8, 8, 3
	v_ffbh_u32_e32 v7, v2
	v_min_u32_e32 v7, 32, v7
	v_lshrrev_b16_e32 v6, 3, v3
	v_subrev_u32_e32 v10, 28, v7
	v_and_b32_e32 v6, 15, v6
	v_lshlrev_b32_e32 v3, v10, v3
	v_sub_u32_e32 v7, 29, v7
	v_and_b32_e32 v3, 7, v3
	v_cmp_eq_u16_e32 vcc, 0, v6
	v_cndmask_b32_e32 v2, v2, v3, vcc
	v_cndmask_b32_e32 v3, v6, v7, vcc
	v_lshlrev_b32_e32 v6, 16, v8
	v_mov_b32_e32 v7, 0x3b800000
	v_lshlrev_b32_e32 v2, 20, v2
	v_and_b32_e32 v6, 0x80000000, v6
	v_lshl_add_u32 v3, v3, 23, v7
	v_or3_b32 v2, v6, v3, v2
.LBB49_460:
	s_or_b64 exec, exec, s[6:7]
	v_lshrrev_b32_e32 v3, 8, v4
	s_movk_i32 s4, 0x7f
	v_cmp_gt_i16_sdwa s[6:7], v3, s4 src0_sel:BYTE_0 src1_sel:DWORD
	s_mov_b64 s[4:5], 0
                                        ; implicit-def: $sgpr10
	s_and_saveexec_b64 s[8:9], s[6:7]
	s_xor_b64 s[6:7], exec, s[8:9]
	s_cbranch_execnz .LBB49_2509
; %bb.461:
	s_or_saveexec_b64 s[6:7], s[6:7]
	v_mov_b32_e32 v6, s10
	s_xor_b64 exec, exec, s[6:7]
	s_cbranch_execnz .LBB49_2512
.LBB49_462:
	s_or_b64 exec, exec, s[6:7]
	s_and_saveexec_b64 s[6:7], s[4:5]
	s_cbranch_execz .LBB49_464
.LBB49_463:
	v_bfe_u32 v6, v4, 8, 3
	v_ffbh_u32_e32 v10, v6
	v_min_u32_e32 v10, 32, v10
	v_lshrrev_b16_e32 v7, 3, v3
	v_subrev_u32_e32 v11, 28, v10
	v_and_b32_e32 v7, 15, v7
	v_lshlrev_b32_e32 v3, v11, v3
	v_sub_u32_e32 v10, 29, v10
	v_and_b32_e32 v3, 7, v3
	v_cmp_eq_u16_e32 vcc, 0, v7
	v_cndmask_b32_e32 v3, v6, v3, vcc
	v_cndmask_b32_e32 v6, v7, v10, vcc
	v_lshlrev_b32_e32 v7, 16, v4
	v_mov_b32_e32 v10, 0x3b800000
	v_lshlrev_b32_e32 v3, 20, v3
	v_and_b32_e32 v7, 0x80000000, v7
	v_lshl_add_u32 v6, v6, 23, v10
	v_or3_b32 v6, v7, v6, v3
.LBB49_464:
	s_or_b64 exec, exec, s[6:7]
	s_nop 0
	v_mfma_f32_16x16x4f32 a[0:3], v2, v6, a[0:3]
	s_movk_i32 s4, 0xff
	v_and_b32_sdwa v3, v8, s4 dst_sel:DWORD dst_unused:UNUSED_PAD src0_sel:WORD_1 src1_sel:DWORD
	s_movk_i32 s4, 0x7f
	v_cmp_lt_i16_e32 vcc, s4, v3
	s_mov_b64 s[4:5], 0
                                        ; implicit-def: $sgpr10
	s_and_saveexec_b64 s[6:7], vcc
	s_xor_b64 s[6:7], exec, s[6:7]
	s_cbranch_execnz .LBB49_2513
; %bb.465:
	s_or_saveexec_b64 s[6:7], s[6:7]
	v_mov_b32_e32 v2, s10
	s_xor_b64 exec, exec, s[6:7]
	s_cbranch_execnz .LBB49_2516
.LBB49_466:
	s_or_b64 exec, exec, s[6:7]
	s_and_saveexec_b64 s[6:7], s[4:5]
	s_cbranch_execz .LBB49_468
.LBB49_467:
	v_bfe_u32 v2, v8, 16, 3
	v_ffbh_u32_e32 v7, v2
	v_min_u32_e32 v7, 32, v7
	v_lshrrev_b32_e32 v3, 19, v8
	v_subrev_u32_e32 v10, 28, v7
	v_and_b32_e32 v3, 15, v3
	v_lshlrev_b32_sdwa v10, v10, v8 dst_sel:DWORD dst_unused:UNUSED_PAD src0_sel:DWORD src1_sel:WORD_1
	v_bfe_u32 v6, v8, 19, 4
	v_sub_u32_e32 v7, 29, v7
	v_and_b32_e32 v10, 7, v10
	v_cmp_eq_u16_e32 vcc, 0, v3
	v_cndmask_b32_e32 v2, v2, v10, vcc
	v_cndmask_b32_e32 v3, v6, v7, vcc
	v_lshlrev_b32_e32 v6, 8, v8
	v_mov_b32_e32 v7, 0x3b800000
	v_lshlrev_b32_e32 v2, 20, v2
	v_and_b32_e32 v6, 0x80000000, v6
	v_lshl_add_u32 v3, v3, 23, v7
	v_or3_b32 v2, v6, v3, v2
.LBB49_468:
	s_or_b64 exec, exec, s[6:7]
	s_movk_i32 s4, 0xff
	v_and_b32_sdwa v3, v4, s4 dst_sel:DWORD dst_unused:UNUSED_PAD src0_sel:WORD_1 src1_sel:DWORD
	s_movk_i32 s4, 0x7f
	v_cmp_lt_i16_e32 vcc, s4, v3
	s_mov_b64 s[4:5], 0
                                        ; implicit-def: $sgpr10
	s_and_saveexec_b64 s[6:7], vcc
	s_xor_b64 s[6:7], exec, s[6:7]
	s_cbranch_execnz .LBB49_2517
; %bb.469:
	s_or_saveexec_b64 s[6:7], s[6:7]
	v_mov_b32_e32 v6, s10
	s_xor_b64 exec, exec, s[6:7]
	s_cbranch_execnz .LBB49_2520
.LBB49_470:
	s_or_b64 exec, exec, s[6:7]
	s_and_saveexec_b64 s[6:7], s[4:5]
	s_cbranch_execz .LBB49_472
.LBB49_471:
	v_bfe_u32 v3, v4, 16, 3
	v_ffbh_u32_e32 v10, v3
	v_min_u32_e32 v10, 32, v10
	v_lshrrev_b32_e32 v6, 19, v4
	v_subrev_u32_e32 v11, 28, v10
	v_and_b32_e32 v6, 15, v6
	v_lshlrev_b32_sdwa v11, v11, v4 dst_sel:DWORD dst_unused:UNUSED_PAD src0_sel:DWORD src1_sel:WORD_1
	v_bfe_u32 v7, v4, 19, 4
	v_sub_u32_e32 v10, 29, v10
	v_and_b32_e32 v11, 7, v11
	v_cmp_eq_u16_e32 vcc, 0, v6
	v_cndmask_b32_e32 v3, v3, v11, vcc
	v_cndmask_b32_e32 v6, v7, v10, vcc
	v_lshlrev_b32_e32 v7, 8, v4
	v_mov_b32_e32 v10, 0x3b800000
	v_lshlrev_b32_e32 v3, 20, v3
	v_and_b32_e32 v7, 0x80000000, v7
	v_lshl_add_u32 v6, v6, 23, v10
	v_or3_b32 v6, v7, v6, v3
.LBB49_472:
	s_or_b64 exec, exec, s[6:7]
	s_nop 0
	v_mfma_f32_16x16x4f32 a[0:3], v2, v6, a[0:3]
	s_movk_i32 s4, 0x7f
	v_cmp_gt_i16_sdwa s[6:7], v8, s4 src0_sel:BYTE_3 src1_sel:DWORD
	s_mov_b64 s[4:5], 0
                                        ; implicit-def: $sgpr10
	s_and_saveexec_b64 s[8:9], s[6:7]
	s_xor_b64 s[6:7], exec, s[8:9]
	s_cbranch_execnz .LBB49_2521
; %bb.473:
	s_or_saveexec_b64 s[6:7], s[6:7]
	v_mov_b32_e32 v2, s10
	s_xor_b64 exec, exec, s[6:7]
	s_cbranch_execnz .LBB49_2524
.LBB49_474:
	s_or_b64 exec, exec, s[6:7]
	s_and_saveexec_b64 s[6:7], s[4:5]
	s_cbranch_execz .LBB49_476
.LBB49_475:
	v_bfe_u32 v2, v8, 24, 3
	v_ffbh_u32_e32 v10, v2
	v_min_u32_e32 v10, 32, v10
	v_lshrrev_b32_e32 v6, 27, v8
	v_subrev_u32_e32 v11, 28, v10
	v_and_b32_e32 v3, 0x80000000, v8
	v_and_b32_e32 v6, 15, v6
	v_bfe_u32 v7, v8, 27, 4
	v_lshlrev_b32_sdwa v8, v11, v8 dst_sel:DWORD dst_unused:UNUSED_PAD src0_sel:DWORD src1_sel:BYTE_3
	v_sub_u32_e32 v10, 29, v10
	v_and_b32_e32 v8, 7, v8
	v_cmp_eq_u16_e32 vcc, 0, v6
	v_cndmask_b32_e32 v2, v2, v8, vcc
	v_cndmask_b32_e32 v6, v7, v10, vcc
	v_mov_b32_e32 v7, 0x3b800000
	v_lshlrev_b32_e32 v2, 20, v2
	v_lshl_add_u32 v6, v6, 23, v7
	v_or3_b32 v2, v3, v6, v2
.LBB49_476:
	s_or_b64 exec, exec, s[6:7]
	s_movk_i32 s4, 0x7f
	v_cmp_gt_i16_sdwa s[6:7], v4, s4 src0_sel:BYTE_3 src1_sel:DWORD
	s_mov_b64 s[4:5], 0
                                        ; implicit-def: $sgpr10
	s_and_saveexec_b64 s[8:9], s[6:7]
	s_xor_b64 s[6:7], exec, s[8:9]
	s_cbranch_execnz .LBB49_2525
; %bb.477:
	s_or_saveexec_b64 s[6:7], s[6:7]
	v_mov_b32_e32 v3, s10
	s_xor_b64 exec, exec, s[6:7]
	s_cbranch_execnz .LBB49_2528
.LBB49_478:
	s_or_b64 exec, exec, s[6:7]
	s_and_saveexec_b64 s[6:7], s[4:5]
	s_cbranch_execz .LBB49_480
.LBB49_479:
	v_bfe_u32 v3, v4, 24, 3
	v_ffbh_u32_e32 v10, v3
	v_min_u32_e32 v10, 32, v10
	v_lshrrev_b32_e32 v7, 27, v4
	v_subrev_u32_e32 v11, 28, v10
	v_and_b32_e32 v6, 0x80000000, v4
	v_and_b32_e32 v7, 15, v7
	v_bfe_u32 v8, v4, 27, 4
	v_lshlrev_b32_sdwa v4, v11, v4 dst_sel:DWORD dst_unused:UNUSED_PAD src0_sel:DWORD src1_sel:BYTE_3
	v_sub_u32_e32 v10, 29, v10
	v_and_b32_e32 v4, 7, v4
	v_cmp_eq_u16_e32 vcc, 0, v7
	v_cndmask_b32_e32 v3, v3, v4, vcc
	v_cndmask_b32_e32 v4, v8, v10, vcc
	v_mov_b32_e32 v7, 0x3b800000
	v_lshlrev_b32_e32 v3, 20, v3
	v_lshl_add_u32 v4, v4, 23, v7
	v_or3_b32 v3, v6, v4, v3
.LBB49_480:
	s_or_b64 exec, exec, s[6:7]
	s_nop 0
	v_mfma_f32_16x16x4f32 a[0:3], v2, v3, a[0:3]
	s_movk_i32 s4, 0x7f
	v_cmp_gt_i16_sdwa s[6:7], v9, s4 src0_sel:BYTE_0 src1_sel:DWORD
	s_mov_b64 s[4:5], 0
                                        ; implicit-def: $sgpr10
	s_and_saveexec_b64 s[8:9], s[6:7]
	s_xor_b64 s[6:7], exec, s[8:9]
	s_cbranch_execnz .LBB49_2529
; %bb.481:
	s_or_saveexec_b64 s[6:7], s[6:7]
	v_mov_b32_e32 v2, s10
	s_xor_b64 exec, exec, s[6:7]
	s_cbranch_execnz .LBB49_2532
.LBB49_482:
	s_or_b64 exec, exec, s[6:7]
	s_and_saveexec_b64 s[6:7], s[4:5]
	s_cbranch_execz .LBB49_484
.LBB49_483:
	v_mov_b32_e32 v2, 8
	v_and_b32_e32 v3, 7, v9
	v_lshrrev_b32_sdwa v2, v2, v9 dst_sel:BYTE_1 dst_unused:UNUSED_PAD src0_sel:DWORD src1_sel:DWORD
	v_ffbh_u32_e32 v4, v3
	v_or_b32_sdwa v2, v9, v2 dst_sel:DWORD dst_unused:UNUSED_PAD src0_sel:BYTE_0 src1_sel:DWORD
	v_min_u32_e32 v4, 32, v4
	v_lshrrev_b16_e32 v2, 3, v2
	v_subrev_u32_e32 v6, 28, v4
	v_and_b32_e32 v2, 15, v2
	v_lshlrev_b32_e32 v6, v6, v9
	v_sub_u32_e32 v4, 29, v4
	v_and_b32_e32 v6, 7, v6
	v_cmp_eq_u16_e32 vcc, 0, v2
	v_cndmask_b32_e32 v3, v3, v6, vcc
	v_cndmask_b32_e32 v2, v2, v4, vcc
	v_lshlrev_b32_e32 v4, 24, v9
	v_mov_b32_e32 v6, 0x3b800000
	v_lshlrev_b32_e32 v3, 20, v3
	v_and_b32_e32 v4, 0x80000000, v4
	v_lshl_add_u32 v2, v2, 23, v6
	v_or3_b32 v2, v4, v2, v3
.LBB49_484:
	s_or_b64 exec, exec, s[6:7]
	s_movk_i32 s4, 0x7f
	v_cmp_gt_i16_sdwa s[6:7], v5, s4 src0_sel:BYTE_0 src1_sel:DWORD
	s_mov_b64 s[4:5], 0
                                        ; implicit-def: $sgpr10
	s_and_saveexec_b64 s[8:9], s[6:7]
	s_xor_b64 s[6:7], exec, s[8:9]
	s_cbranch_execnz .LBB49_2533
; %bb.485:
	s_or_saveexec_b64 s[6:7], s[6:7]
	v_mov_b32_e32 v3, s10
	s_xor_b64 exec, exec, s[6:7]
	s_cbranch_execnz .LBB49_2536
.LBB49_486:
	s_or_b64 exec, exec, s[6:7]
	s_and_saveexec_b64 s[6:7], s[4:5]
	s_cbranch_execz .LBB49_488
.LBB49_487:
	v_mov_b32_e32 v3, 8
	v_and_b32_e32 v4, 7, v5
	v_lshrrev_b32_sdwa v3, v3, v5 dst_sel:BYTE_1 dst_unused:UNUSED_PAD src0_sel:DWORD src1_sel:DWORD
	v_ffbh_u32_e32 v6, v4
	v_or_b32_sdwa v3, v5, v3 dst_sel:DWORD dst_unused:UNUSED_PAD src0_sel:BYTE_0 src1_sel:DWORD
	v_min_u32_e32 v6, 32, v6
	v_lshrrev_b16_e32 v3, 3, v3
	v_subrev_u32_e32 v7, 28, v6
	v_and_b32_e32 v3, 15, v3
	v_lshlrev_b32_e32 v7, v7, v5
	v_sub_u32_e32 v6, 29, v6
	v_and_b32_e32 v7, 7, v7
	v_cmp_eq_u16_e32 vcc, 0, v3
	v_cndmask_b32_e32 v4, v4, v7, vcc
	v_cndmask_b32_e32 v3, v3, v6, vcc
	v_lshlrev_b32_e32 v6, 24, v5
	v_mov_b32_e32 v7, 0x3b800000
	v_lshlrev_b32_e32 v4, 20, v4
	v_and_b32_e32 v6, 0x80000000, v6
	v_lshl_add_u32 v3, v3, 23, v7
	v_or3_b32 v3, v6, v3, v4
.LBB49_488:
	s_or_b64 exec, exec, s[6:7]
	s_nop 0
	v_mfma_f32_16x16x4f32 a[0:3], v2, v3, a[0:3]
	v_lshrrev_b32_e32 v3, 8, v9
	s_movk_i32 s4, 0x7f
	v_cmp_gt_i16_sdwa s[6:7], v3, s4 src0_sel:BYTE_0 src1_sel:DWORD
	s_mov_b64 s[4:5], 0
                                        ; implicit-def: $sgpr10
	s_and_saveexec_b64 s[8:9], s[6:7]
	s_xor_b64 s[6:7], exec, s[8:9]
	s_cbranch_execnz .LBB49_2537
; %bb.489:
	s_or_saveexec_b64 s[6:7], s[6:7]
	v_mov_b32_e32 v2, s10
	s_xor_b64 exec, exec, s[6:7]
	s_cbranch_execnz .LBB49_2540
.LBB49_490:
	s_or_b64 exec, exec, s[6:7]
	s_and_saveexec_b64 s[6:7], s[4:5]
	s_cbranch_execz .LBB49_492
.LBB49_491:
	v_bfe_u32 v2, v9, 8, 3
	v_ffbh_u32_e32 v6, v2
	v_min_u32_e32 v6, 32, v6
	v_lshrrev_b16_e32 v4, 3, v3
	v_subrev_u32_e32 v7, 28, v6
	v_and_b32_e32 v4, 15, v4
	v_lshlrev_b32_e32 v3, v7, v3
	v_sub_u32_e32 v6, 29, v6
	v_and_b32_e32 v3, 7, v3
	v_cmp_eq_u16_e32 vcc, 0, v4
	v_cndmask_b32_e32 v2, v2, v3, vcc
	v_cndmask_b32_e32 v3, v4, v6, vcc
	v_lshlrev_b32_e32 v4, 16, v9
	v_mov_b32_e32 v6, 0x3b800000
	v_lshlrev_b32_e32 v2, 20, v2
	v_and_b32_e32 v4, 0x80000000, v4
	v_lshl_add_u32 v3, v3, 23, v6
	v_or3_b32 v2, v4, v3, v2
.LBB49_492:
	s_or_b64 exec, exec, s[6:7]
	v_lshrrev_b32_e32 v3, 8, v5
	s_movk_i32 s4, 0x7f
	v_cmp_gt_i16_sdwa s[6:7], v3, s4 src0_sel:BYTE_0 src1_sel:DWORD
	s_mov_b64 s[4:5], 0
                                        ; implicit-def: $sgpr10
	s_and_saveexec_b64 s[8:9], s[6:7]
	s_xor_b64 s[6:7], exec, s[8:9]
	s_cbranch_execnz .LBB49_2541
; %bb.493:
	s_or_saveexec_b64 s[6:7], s[6:7]
	v_mov_b32_e32 v4, s10
	s_xor_b64 exec, exec, s[6:7]
	s_cbranch_execnz .LBB49_2544
.LBB49_494:
	s_or_b64 exec, exec, s[6:7]
	s_and_saveexec_b64 s[6:7], s[4:5]
	s_cbranch_execz .LBB49_496
.LBB49_495:
	v_bfe_u32 v4, v5, 8, 3
	v_ffbh_u32_e32 v7, v4
	v_min_u32_e32 v7, 32, v7
	v_lshrrev_b16_e32 v6, 3, v3
	v_subrev_u32_e32 v8, 28, v7
	v_and_b32_e32 v6, 15, v6
	v_lshlrev_b32_e32 v3, v8, v3
	v_sub_u32_e32 v7, 29, v7
	v_and_b32_e32 v3, 7, v3
	v_cmp_eq_u16_e32 vcc, 0, v6
	v_cndmask_b32_e32 v3, v4, v3, vcc
	v_cndmask_b32_e32 v4, v6, v7, vcc
	v_lshlrev_b32_e32 v6, 16, v5
	v_mov_b32_e32 v7, 0x3b800000
	v_lshlrev_b32_e32 v3, 20, v3
	v_and_b32_e32 v6, 0x80000000, v6
	v_lshl_add_u32 v4, v4, 23, v7
	v_or3_b32 v4, v6, v4, v3
.LBB49_496:
	s_or_b64 exec, exec, s[6:7]
	s_nop 0
	v_mfma_f32_16x16x4f32 a[0:3], v2, v4, a[0:3]
	s_movk_i32 s4, 0xff
	v_and_b32_sdwa v3, v9, s4 dst_sel:DWORD dst_unused:UNUSED_PAD src0_sel:WORD_1 src1_sel:DWORD
	s_movk_i32 s4, 0x7f
	v_cmp_lt_i16_e32 vcc, s4, v3
	s_mov_b64 s[4:5], 0
                                        ; implicit-def: $sgpr10
	s_and_saveexec_b64 s[6:7], vcc
	s_xor_b64 s[6:7], exec, s[6:7]
	s_cbranch_execnz .LBB49_2545
; %bb.497:
	s_or_saveexec_b64 s[6:7], s[6:7]
	v_mov_b32_e32 v2, s10
	s_xor_b64 exec, exec, s[6:7]
	s_cbranch_execnz .LBB49_2548
.LBB49_498:
	s_or_b64 exec, exec, s[6:7]
	s_and_saveexec_b64 s[6:7], s[4:5]
	s_cbranch_execz .LBB49_500
.LBB49_499:
	v_bfe_u32 v2, v9, 16, 3
	v_ffbh_u32_e32 v6, v2
	v_min_u32_e32 v6, 32, v6
	v_lshrrev_b32_e32 v3, 19, v9
	v_subrev_u32_e32 v7, 28, v6
	v_and_b32_e32 v3, 15, v3
	v_lshlrev_b32_sdwa v7, v7, v9 dst_sel:DWORD dst_unused:UNUSED_PAD src0_sel:DWORD src1_sel:WORD_1
	v_bfe_u32 v4, v9, 19, 4
	v_sub_u32_e32 v6, 29, v6
	v_and_b32_e32 v7, 7, v7
	v_cmp_eq_u16_e32 vcc, 0, v3
	v_cndmask_b32_e32 v2, v2, v7, vcc
	v_cndmask_b32_e32 v3, v4, v6, vcc
	v_lshlrev_b32_e32 v4, 8, v9
	v_mov_b32_e32 v6, 0x3b800000
	v_lshlrev_b32_e32 v2, 20, v2
	v_and_b32_e32 v4, 0x80000000, v4
	v_lshl_add_u32 v3, v3, 23, v6
	v_or3_b32 v2, v4, v3, v2
.LBB49_500:
	s_or_b64 exec, exec, s[6:7]
	s_movk_i32 s4, 0xff
	v_and_b32_sdwa v3, v5, s4 dst_sel:DWORD dst_unused:UNUSED_PAD src0_sel:WORD_1 src1_sel:DWORD
	s_movk_i32 s4, 0x7f
	v_cmp_lt_i16_e32 vcc, s4, v3
	s_mov_b64 s[4:5], 0
                                        ; implicit-def: $sgpr10
	s_and_saveexec_b64 s[6:7], vcc
	s_xor_b64 s[6:7], exec, s[6:7]
	s_cbranch_execnz .LBB49_2549
; %bb.501:
	s_or_saveexec_b64 s[6:7], s[6:7]
	v_mov_b32_e32 v4, s10
	s_xor_b64 exec, exec, s[6:7]
	s_cbranch_execnz .LBB49_2552
.LBB49_502:
	s_or_b64 exec, exec, s[6:7]
	s_and_saveexec_b64 s[6:7], s[4:5]
	s_cbranch_execz .LBB49_504
.LBB49_503:
	v_bfe_u32 v3, v5, 16, 3
	v_ffbh_u32_e32 v7, v3
	v_min_u32_e32 v7, 32, v7
	v_lshrrev_b32_e32 v4, 19, v5
	v_subrev_u32_e32 v8, 28, v7
	v_and_b32_e32 v4, 15, v4
	v_lshlrev_b32_sdwa v8, v8, v5 dst_sel:DWORD dst_unused:UNUSED_PAD src0_sel:DWORD src1_sel:WORD_1
	v_bfe_u32 v6, v5, 19, 4
	v_sub_u32_e32 v7, 29, v7
	v_and_b32_e32 v8, 7, v8
	v_cmp_eq_u16_e32 vcc, 0, v4
	v_cndmask_b32_e32 v3, v3, v8, vcc
	v_cndmask_b32_e32 v4, v6, v7, vcc
	v_lshlrev_b32_e32 v6, 8, v5
	v_mov_b32_e32 v7, 0x3b800000
	v_lshlrev_b32_e32 v3, 20, v3
	v_and_b32_e32 v6, 0x80000000, v6
	v_lshl_add_u32 v4, v4, 23, v7
	v_or3_b32 v4, v6, v4, v3
.LBB49_504:
	s_or_b64 exec, exec, s[6:7]
	s_nop 0
	v_mfma_f32_16x16x4f32 a[0:3], v2, v4, a[0:3]
	s_movk_i32 s4, 0x7f
	v_cmp_gt_i16_sdwa s[6:7], v9, s4 src0_sel:BYTE_3 src1_sel:DWORD
	s_mov_b64 s[4:5], 0
                                        ; implicit-def: $sgpr10
	s_and_saveexec_b64 s[8:9], s[6:7]
	s_xor_b64 s[6:7], exec, s[8:9]
	s_cbranch_execnz .LBB49_2553
; %bb.505:
	s_or_saveexec_b64 s[6:7], s[6:7]
	v_mov_b32_e32 v2, s10
	s_xor_b64 exec, exec, s[6:7]
	s_cbranch_execnz .LBB49_2556
.LBB49_506:
	s_or_b64 exec, exec, s[6:7]
	s_and_saveexec_b64 s[6:7], s[4:5]
	s_cbranch_execz .LBB49_508
.LBB49_507:
	v_bfe_u32 v2, v9, 24, 3
	v_ffbh_u32_e32 v7, v2
	v_min_u32_e32 v7, 32, v7
	v_lshrrev_b32_e32 v4, 27, v9
	v_subrev_u32_e32 v8, 28, v7
	v_and_b32_e32 v4, 15, v4
	v_lshlrev_b32_sdwa v8, v8, v9 dst_sel:DWORD dst_unused:UNUSED_PAD src0_sel:DWORD src1_sel:BYTE_3
	v_bfe_u32 v6, v9, 27, 4
	v_sub_u32_e32 v7, 29, v7
	v_and_b32_e32 v8, 7, v8
	v_cmp_eq_u16_e32 vcc, 0, v4
	v_cndmask_b32_e32 v2, v2, v8, vcc
	v_cndmask_b32_e32 v4, v6, v7, vcc
	v_mov_b32_e32 v6, 0x3b800000
	v_and_b32_e32 v3, 0x80000000, v9
	v_lshlrev_b32_e32 v2, 20, v2
	v_lshl_add_u32 v4, v4, 23, v6
	v_or3_b32 v2, v3, v4, v2
.LBB49_508:
	s_or_b64 exec, exec, s[6:7]
	s_movk_i32 s4, 0x7f
	v_cmp_gt_i16_sdwa s[6:7], v5, s4 src0_sel:BYTE_3 src1_sel:DWORD
	s_mov_b64 s[4:5], 0
                                        ; implicit-def: $sgpr10
	s_and_saveexec_b64 s[8:9], s[6:7]
	s_xor_b64 s[6:7], exec, s[8:9]
	s_cbranch_execnz .LBB49_2557
; %bb.509:
	s_or_saveexec_b64 s[6:7], s[6:7]
	v_mov_b32_e32 v3, s10
	s_xor_b64 exec, exec, s[6:7]
	s_cbranch_execnz .LBB49_2560
.LBB49_510:
	s_or_b64 exec, exec, s[6:7]
	s_and_saveexec_b64 s[6:7], s[4:5]
	s_cbranch_execz .LBB49_512
.LBB49_511:
	v_bfe_u32 v3, v5, 24, 3
	v_ffbh_u32_e32 v8, v3
	v_min_u32_e32 v8, 32, v8
	v_lshrrev_b32_e32 v6, 27, v5
	v_subrev_u32_e32 v9, 28, v8
	v_and_b32_e32 v4, 0x80000000, v5
	v_and_b32_e32 v6, 15, v6
	v_bfe_u32 v7, v5, 27, 4
	v_lshlrev_b32_sdwa v5, v9, v5 dst_sel:DWORD dst_unused:UNUSED_PAD src0_sel:DWORD src1_sel:BYTE_3
	v_sub_u32_e32 v8, 29, v8
	v_and_b32_e32 v5, 7, v5
	v_cmp_eq_u16_e32 vcc, 0, v6
	v_cndmask_b32_e32 v3, v3, v5, vcc
	v_cndmask_b32_e32 v5, v7, v8, vcc
	v_mov_b32_e32 v6, 0x3b800000
	v_lshlrev_b32_e32 v3, 20, v3
	v_lshl_add_u32 v5, v5, 23, v6
	v_or3_b32 v3, v4, v5, v3
.LBB49_512:
	s_or_b64 exec, exec, s[6:7]
	s_nop 0
	v_mfma_f32_16x16x4f32 a[0:3], v2, v3, a[0:3]
	s_movk_i32 s4, 0x7f
                                        ; implicit-def: $sgpr10
	s_nop 7
	s_nop 1
	flat_store_dwordx4 v[18:19], a[0:3] offset:656
	flat_load_dwordx4 v[20:23], v[0:1] offset:8
	s_nop 0
	flat_load_dwordx2 v[18:19], v[0:1] offset:24
	s_waitcnt vmcnt(0) lgkmcnt(0)
	flat_load_dwordx4 v[14:17], v[20:21] offset:32
	flat_load_dwordx4 v[6:9], v[20:21] offset:48
	;; [unrolled: 1-line block ×4, first 2 shown]
	s_waitcnt vmcnt(0) lgkmcnt(0)
	v_cmp_gt_i16_sdwa s[6:7], v14, s4 src0_sel:BYTE_0 src1_sel:DWORD
	s_mov_b64 s[4:5], 0
	s_and_saveexec_b64 s[8:9], s[6:7]
	s_xor_b64 s[6:7], exec, s[8:9]
	s_cbranch_execnz .LBB49_2561
; %bb.513:
	s_or_saveexec_b64 s[6:7], s[6:7]
	v_mov_b32_e32 v20, s10
	s_xor_b64 exec, exec, s[6:7]
	s_cbranch_execnz .LBB49_2564
.LBB49_514:
	s_or_b64 exec, exec, s[6:7]
	s_and_saveexec_b64 s[6:7], s[4:5]
	s_cbranch_execz .LBB49_516
.LBB49_515:
	v_and_b32_e32 v20, 7, v14
	v_ffbh_u32_e32 v22, v20
	v_min_u32_e32 v22, 32, v22
	v_lshrrev_b16_e32 v21, 3, v14
	v_subrev_u32_e32 v23, 28, v22
	v_and_b32_e32 v21, 15, v21
	v_lshlrev_b32_e32 v23, v23, v14
	v_sub_u32_e32 v22, 29, v22
	v_and_b32_e32 v23, 7, v23
	v_cmp_eq_u16_e32 vcc, 0, v21
	v_cndmask_b32_e32 v20, v20, v23, vcc
	v_cndmask_b32_e32 v21, v21, v22, vcc
	v_lshlrev_b32_e32 v22, 24, v14
	v_mov_b32_e32 v23, 0x3b800000
	v_lshlrev_b32_e32 v20, 20, v20
	v_and_b32_e32 v22, 0x80000000, v22
	v_lshl_add_u32 v21, v21, 23, v23
	v_or3_b32 v20, v22, v21, v20
.LBB49_516:
	s_or_b64 exec, exec, s[6:7]
	s_movk_i32 s4, 0x7f
	v_cmp_gt_i16_sdwa s[6:7], v10, s4 src0_sel:BYTE_0 src1_sel:DWORD
	s_mov_b64 s[4:5], 0
                                        ; implicit-def: $sgpr10
	s_and_saveexec_b64 s[8:9], s[6:7]
	s_xor_b64 s[6:7], exec, s[8:9]
	s_cbranch_execnz .LBB49_2565
; %bb.517:
	s_or_saveexec_b64 s[6:7], s[6:7]
	v_mov_b32_e32 v21, s10
	s_xor_b64 exec, exec, s[6:7]
	s_cbranch_execnz .LBB49_2568
.LBB49_518:
	s_or_b64 exec, exec, s[6:7]
	s_and_saveexec_b64 s[6:7], s[4:5]
	s_cbranch_execz .LBB49_520
.LBB49_519:
	v_and_b32_e32 v21, 7, v10
	v_ffbh_u32_e32 v23, v21
	v_min_u32_e32 v23, 32, v23
	v_lshrrev_b16_e32 v22, 3, v10
	v_subrev_u32_e32 v24, 28, v23
	v_and_b32_e32 v22, 15, v22
	v_lshlrev_b32_e32 v24, v24, v10
	v_sub_u32_e32 v23, 29, v23
	v_and_b32_e32 v24, 7, v24
	v_cmp_eq_u16_e32 vcc, 0, v22
	v_cndmask_b32_e32 v21, v21, v24, vcc
	v_cndmask_b32_e32 v22, v22, v23, vcc
	v_lshlrev_b32_e32 v23, 24, v10
	v_mov_b32_e32 v24, 0x3b800000
	v_lshlrev_b32_e32 v21, 20, v21
	v_and_b32_e32 v23, 0x80000000, v23
	v_lshl_add_u32 v22, v22, 23, v24
	v_or3_b32 v21, v23, v22, v21
.LBB49_520:
	s_or_b64 exec, exec, s[6:7]
	flat_load_dwordx4 a[0:3], v[18:19] offset:672
	s_movk_i32 s4, 0x7f
                                        ; implicit-def: $sgpr10
	s_waitcnt vmcnt(0) lgkmcnt(0)
	v_mfma_f32_16x16x4f32 a[0:3], v20, v21, a[0:3]
	v_lshrrev_b32_e32 v21, 8, v14
	v_cmp_gt_i16_sdwa s[6:7], v21, s4 src0_sel:BYTE_0 src1_sel:DWORD
	s_mov_b64 s[4:5], 0
	s_and_saveexec_b64 s[8:9], s[6:7]
	s_xor_b64 s[6:7], exec, s[8:9]
	s_cbranch_execnz .LBB49_2569
; %bb.521:
	s_or_saveexec_b64 s[6:7], s[6:7]
	v_mov_b32_e32 v20, s10
	s_xor_b64 exec, exec, s[6:7]
	s_cbranch_execnz .LBB49_2572
.LBB49_522:
	s_or_b64 exec, exec, s[6:7]
	s_and_saveexec_b64 s[6:7], s[4:5]
	s_cbranch_execz .LBB49_524
.LBB49_523:
	v_bfe_u32 v20, v14, 8, 3
	v_ffbh_u32_e32 v23, v20
	v_min_u32_e32 v23, 32, v23
	v_lshrrev_b16_e32 v22, 3, v21
	v_subrev_u32_e32 v24, 28, v23
	v_and_b32_e32 v22, 15, v22
	v_lshlrev_b32_e32 v21, v24, v21
	v_sub_u32_e32 v23, 29, v23
	v_and_b32_e32 v21, 7, v21
	v_cmp_eq_u16_e32 vcc, 0, v22
	v_cndmask_b32_e32 v20, v20, v21, vcc
	v_cndmask_b32_e32 v21, v22, v23, vcc
	v_lshlrev_b32_e32 v22, 16, v14
	v_mov_b32_e32 v23, 0x3b800000
	v_lshlrev_b32_e32 v20, 20, v20
	v_and_b32_e32 v22, 0x80000000, v22
	v_lshl_add_u32 v21, v21, 23, v23
	v_or3_b32 v20, v22, v21, v20
.LBB49_524:
	s_or_b64 exec, exec, s[6:7]
	v_lshrrev_b32_e32 v21, 8, v10
	s_movk_i32 s4, 0x7f
	v_cmp_gt_i16_sdwa s[6:7], v21, s4 src0_sel:BYTE_0 src1_sel:DWORD
	s_mov_b64 s[4:5], 0
                                        ; implicit-def: $sgpr10
	s_and_saveexec_b64 s[8:9], s[6:7]
	s_xor_b64 s[6:7], exec, s[8:9]
	s_cbranch_execnz .LBB49_2573
; %bb.525:
	s_or_saveexec_b64 s[6:7], s[6:7]
	v_mov_b32_e32 v22, s10
	s_xor_b64 exec, exec, s[6:7]
	s_cbranch_execnz .LBB49_2576
.LBB49_526:
	s_or_b64 exec, exec, s[6:7]
	s_and_saveexec_b64 s[6:7], s[4:5]
	s_cbranch_execz .LBB49_528
.LBB49_527:
	v_bfe_u32 v22, v10, 8, 3
	v_ffbh_u32_e32 v24, v22
	v_min_u32_e32 v24, 32, v24
	v_lshrrev_b16_e32 v23, 3, v21
	v_subrev_u32_e32 v25, 28, v24
	v_and_b32_e32 v23, 15, v23
	v_lshlrev_b32_e32 v21, v25, v21
	v_sub_u32_e32 v24, 29, v24
	v_and_b32_e32 v21, 7, v21
	v_cmp_eq_u16_e32 vcc, 0, v23
	v_cndmask_b32_e32 v21, v22, v21, vcc
	v_cndmask_b32_e32 v22, v23, v24, vcc
	v_lshlrev_b32_e32 v23, 16, v10
	v_mov_b32_e32 v24, 0x3b800000
	v_lshlrev_b32_e32 v21, 20, v21
	v_and_b32_e32 v23, 0x80000000, v23
	v_lshl_add_u32 v22, v22, 23, v24
	v_or3_b32 v22, v23, v22, v21
.LBB49_528:
	s_or_b64 exec, exec, s[6:7]
	s_nop 0
	v_mfma_f32_16x16x4f32 a[0:3], v20, v22, a[0:3]
	s_movk_i32 s4, 0xff
	v_and_b32_sdwa v21, v14, s4 dst_sel:DWORD dst_unused:UNUSED_PAD src0_sel:WORD_1 src1_sel:DWORD
	s_movk_i32 s4, 0x7f
	v_cmp_lt_i16_e32 vcc, s4, v21
	s_mov_b64 s[4:5], 0
                                        ; implicit-def: $sgpr10
	s_and_saveexec_b64 s[6:7], vcc
	s_xor_b64 s[6:7], exec, s[6:7]
	s_cbranch_execnz .LBB49_2577
; %bb.529:
	s_or_saveexec_b64 s[6:7], s[6:7]
	v_mov_b32_e32 v20, s10
	s_xor_b64 exec, exec, s[6:7]
	s_cbranch_execnz .LBB49_2580
.LBB49_530:
	s_or_b64 exec, exec, s[6:7]
	s_and_saveexec_b64 s[6:7], s[4:5]
	s_cbranch_execz .LBB49_532
.LBB49_531:
	v_bfe_u32 v20, v14, 16, 3
	v_ffbh_u32_e32 v23, v20
	v_min_u32_e32 v23, 32, v23
	v_lshrrev_b32_e32 v21, 19, v14
	v_subrev_u32_e32 v24, 28, v23
	v_and_b32_e32 v21, 15, v21
	v_lshlrev_b32_sdwa v24, v24, v14 dst_sel:DWORD dst_unused:UNUSED_PAD src0_sel:DWORD src1_sel:WORD_1
	v_bfe_u32 v22, v14, 19, 4
	v_sub_u32_e32 v23, 29, v23
	v_and_b32_e32 v24, 7, v24
	v_cmp_eq_u16_e32 vcc, 0, v21
	v_cndmask_b32_e32 v20, v20, v24, vcc
	v_cndmask_b32_e32 v21, v22, v23, vcc
	v_lshlrev_b32_e32 v22, 8, v14
	v_mov_b32_e32 v23, 0x3b800000
	v_lshlrev_b32_e32 v20, 20, v20
	v_and_b32_e32 v22, 0x80000000, v22
	v_lshl_add_u32 v21, v21, 23, v23
	v_or3_b32 v20, v22, v21, v20
.LBB49_532:
	s_or_b64 exec, exec, s[6:7]
	s_movk_i32 s4, 0xff
	v_and_b32_sdwa v21, v10, s4 dst_sel:DWORD dst_unused:UNUSED_PAD src0_sel:WORD_1 src1_sel:DWORD
	s_movk_i32 s4, 0x7f
	v_cmp_lt_i16_e32 vcc, s4, v21
	s_mov_b64 s[4:5], 0
                                        ; implicit-def: $sgpr10
	s_and_saveexec_b64 s[6:7], vcc
	s_xor_b64 s[6:7], exec, s[6:7]
	s_cbranch_execnz .LBB49_2581
; %bb.533:
	s_or_saveexec_b64 s[6:7], s[6:7]
	v_mov_b32_e32 v22, s10
	s_xor_b64 exec, exec, s[6:7]
	s_cbranch_execnz .LBB49_2584
.LBB49_534:
	s_or_b64 exec, exec, s[6:7]
	s_and_saveexec_b64 s[6:7], s[4:5]
	s_cbranch_execz .LBB49_536
.LBB49_535:
	v_bfe_u32 v21, v10, 16, 3
	v_ffbh_u32_e32 v24, v21
	v_min_u32_e32 v24, 32, v24
	v_lshrrev_b32_e32 v22, 19, v10
	v_subrev_u32_e32 v25, 28, v24
	v_and_b32_e32 v22, 15, v22
	v_lshlrev_b32_sdwa v25, v25, v10 dst_sel:DWORD dst_unused:UNUSED_PAD src0_sel:DWORD src1_sel:WORD_1
	v_bfe_u32 v23, v10, 19, 4
	v_sub_u32_e32 v24, 29, v24
	v_and_b32_e32 v25, 7, v25
	v_cmp_eq_u16_e32 vcc, 0, v22
	v_cndmask_b32_e32 v21, v21, v25, vcc
	v_cndmask_b32_e32 v22, v23, v24, vcc
	v_lshlrev_b32_e32 v23, 8, v10
	v_mov_b32_e32 v24, 0x3b800000
	v_lshlrev_b32_e32 v21, 20, v21
	v_and_b32_e32 v23, 0x80000000, v23
	v_lshl_add_u32 v22, v22, 23, v24
	v_or3_b32 v22, v23, v22, v21
.LBB49_536:
	s_or_b64 exec, exec, s[6:7]
	s_nop 0
	v_mfma_f32_16x16x4f32 a[0:3], v20, v22, a[0:3]
	s_movk_i32 s4, 0x7f
	v_cmp_gt_i16_sdwa s[6:7], v14, s4 src0_sel:BYTE_3 src1_sel:DWORD
	s_mov_b64 s[4:5], 0
                                        ; implicit-def: $sgpr10
	s_and_saveexec_b64 s[8:9], s[6:7]
	s_xor_b64 s[6:7], exec, s[8:9]
	s_cbranch_execnz .LBB49_2585
; %bb.537:
	s_or_saveexec_b64 s[6:7], s[6:7]
	v_mov_b32_e32 v20, s10
	s_xor_b64 exec, exec, s[6:7]
	s_cbranch_execnz .LBB49_2588
.LBB49_538:
	s_or_b64 exec, exec, s[6:7]
	s_and_saveexec_b64 s[6:7], s[4:5]
	s_cbranch_execz .LBB49_540
.LBB49_539:
	v_bfe_u32 v20, v14, 24, 3
	v_ffbh_u32_e32 v24, v20
	v_min_u32_e32 v24, 32, v24
	v_lshrrev_b32_e32 v22, 27, v14
	v_subrev_u32_e32 v25, 28, v24
	v_and_b32_e32 v21, 0x80000000, v14
	v_and_b32_e32 v22, 15, v22
	v_bfe_u32 v23, v14, 27, 4
	v_lshlrev_b32_sdwa v14, v25, v14 dst_sel:DWORD dst_unused:UNUSED_PAD src0_sel:DWORD src1_sel:BYTE_3
	v_sub_u32_e32 v24, 29, v24
	v_and_b32_e32 v14, 7, v14
	v_cmp_eq_u16_e32 vcc, 0, v22
	v_cndmask_b32_e32 v14, v20, v14, vcc
	v_cndmask_b32_e32 v20, v23, v24, vcc
	v_mov_b32_e32 v22, 0x3b800000
	v_lshlrev_b32_e32 v14, 20, v14
	v_lshl_add_u32 v20, v20, 23, v22
	v_or3_b32 v20, v21, v20, v14
.LBB49_540:
	s_or_b64 exec, exec, s[6:7]
	s_movk_i32 s4, 0x7f
	v_cmp_gt_i16_sdwa s[6:7], v10, s4 src0_sel:BYTE_3 src1_sel:DWORD
	s_mov_b64 s[4:5], 0
                                        ; implicit-def: $sgpr10
	s_and_saveexec_b64 s[8:9], s[6:7]
	s_xor_b64 s[6:7], exec, s[8:9]
	s_cbranch_execnz .LBB49_2589
; %bb.541:
	s_or_saveexec_b64 s[6:7], s[6:7]
	v_mov_b32_e32 v14, s10
	s_xor_b64 exec, exec, s[6:7]
	s_cbranch_execnz .LBB49_2592
.LBB49_542:
	s_or_b64 exec, exec, s[6:7]
	s_and_saveexec_b64 s[6:7], s[4:5]
	s_cbranch_execz .LBB49_544
.LBB49_543:
	v_bfe_u32 v14, v10, 24, 3
	v_ffbh_u32_e32 v24, v14
	v_min_u32_e32 v24, 32, v24
	v_lshrrev_b32_e32 v22, 27, v10
	v_subrev_u32_e32 v25, 28, v24
	v_and_b32_e32 v21, 0x80000000, v10
	v_and_b32_e32 v22, 15, v22
	v_bfe_u32 v23, v10, 27, 4
	v_lshlrev_b32_sdwa v10, v25, v10 dst_sel:DWORD dst_unused:UNUSED_PAD src0_sel:DWORD src1_sel:BYTE_3
	v_sub_u32_e32 v24, 29, v24
	v_and_b32_e32 v10, 7, v10
	v_cmp_eq_u16_e32 vcc, 0, v22
	v_cndmask_b32_e32 v10, v14, v10, vcc
	v_cndmask_b32_e32 v14, v23, v24, vcc
	v_mov_b32_e32 v22, 0x3b800000
	v_lshlrev_b32_e32 v10, 20, v10
	v_lshl_add_u32 v14, v14, 23, v22
	v_or3_b32 v14, v21, v14, v10
.LBB49_544:
	s_or_b64 exec, exec, s[6:7]
	s_nop 0
	v_mfma_f32_16x16x4f32 a[0:3], v20, v14, a[0:3]
	s_movk_i32 s4, 0x7f
	v_cmp_gt_i16_sdwa s[6:7], v15, s4 src0_sel:BYTE_0 src1_sel:DWORD
	s_mov_b64 s[4:5], 0
                                        ; implicit-def: $sgpr10
	s_and_saveexec_b64 s[8:9], s[6:7]
	s_xor_b64 s[6:7], exec, s[8:9]
	s_cbranch_execnz .LBB49_2593
; %bb.545:
	s_or_saveexec_b64 s[6:7], s[6:7]
	v_mov_b32_e32 v10, s10
	s_xor_b64 exec, exec, s[6:7]
	s_cbranch_execnz .LBB49_2596
.LBB49_546:
	s_or_b64 exec, exec, s[6:7]
	s_and_saveexec_b64 s[6:7], s[4:5]
	s_cbranch_execz .LBB49_548
.LBB49_547:
	v_and_b32_e32 v10, 7, v15
	v_ffbh_u32_e32 v20, v10
	v_min_u32_e32 v20, 32, v20
	v_lshrrev_b16_e32 v14, 3, v15
	v_subrev_u32_e32 v21, 28, v20
	v_and_b32_e32 v14, 15, v14
	v_lshlrev_b32_e32 v21, v21, v15
	v_sub_u32_e32 v20, 29, v20
	v_and_b32_e32 v21, 7, v21
	v_cmp_eq_u16_e32 vcc, 0, v14
	v_cndmask_b32_e32 v10, v10, v21, vcc
	v_cndmask_b32_e32 v14, v14, v20, vcc
	v_lshlrev_b32_e32 v20, 24, v15
	v_mov_b32_e32 v21, 0x3b800000
	v_lshlrev_b32_e32 v10, 20, v10
	v_and_b32_e32 v20, 0x80000000, v20
	v_lshl_add_u32 v14, v14, 23, v21
	v_or3_b32 v10, v20, v14, v10
.LBB49_548:
	s_or_b64 exec, exec, s[6:7]
	s_movk_i32 s4, 0x7f
	v_cmp_gt_i16_sdwa s[6:7], v11, s4 src0_sel:BYTE_0 src1_sel:DWORD
	s_mov_b64 s[4:5], 0
                                        ; implicit-def: $sgpr10
	s_and_saveexec_b64 s[8:9], s[6:7]
	s_xor_b64 s[6:7], exec, s[8:9]
	s_cbranch_execnz .LBB49_2597
; %bb.549:
	s_or_saveexec_b64 s[6:7], s[6:7]
	v_mov_b32_e32 v14, s10
	s_xor_b64 exec, exec, s[6:7]
	s_cbranch_execnz .LBB49_2600
.LBB49_550:
	s_or_b64 exec, exec, s[6:7]
	s_and_saveexec_b64 s[6:7], s[4:5]
	s_cbranch_execz .LBB49_552
.LBB49_551:
	v_and_b32_e32 v14, 7, v11
	v_ffbh_u32_e32 v21, v14
	v_min_u32_e32 v21, 32, v21
	v_lshrrev_b16_e32 v20, 3, v11
	v_subrev_u32_e32 v22, 28, v21
	v_and_b32_e32 v20, 15, v20
	v_lshlrev_b32_e32 v22, v22, v11
	v_sub_u32_e32 v21, 29, v21
	v_and_b32_e32 v22, 7, v22
	v_cmp_eq_u16_e32 vcc, 0, v20
	v_cndmask_b32_e32 v14, v14, v22, vcc
	v_cndmask_b32_e32 v20, v20, v21, vcc
	v_lshlrev_b32_e32 v21, 24, v11
	v_mov_b32_e32 v22, 0x3b800000
	v_lshlrev_b32_e32 v14, 20, v14
	v_and_b32_e32 v21, 0x80000000, v21
	v_lshl_add_u32 v20, v20, 23, v22
	v_or3_b32 v14, v21, v20, v14
.LBB49_552:
	s_or_b64 exec, exec, s[6:7]
	s_nop 0
	v_mfma_f32_16x16x4f32 a[0:3], v10, v14, a[0:3]
	v_lshrrev_b32_e32 v14, 8, v15
	s_movk_i32 s4, 0x7f
	v_cmp_gt_i16_sdwa s[6:7], v14, s4 src0_sel:BYTE_0 src1_sel:DWORD
	s_mov_b64 s[4:5], 0
                                        ; implicit-def: $sgpr10
	s_and_saveexec_b64 s[8:9], s[6:7]
	s_xor_b64 s[6:7], exec, s[8:9]
	s_cbranch_execnz .LBB49_2601
; %bb.553:
	s_or_saveexec_b64 s[6:7], s[6:7]
	v_mov_b32_e32 v10, s10
	s_xor_b64 exec, exec, s[6:7]
	s_cbranch_execnz .LBB49_2604
.LBB49_554:
	s_or_b64 exec, exec, s[6:7]
	s_and_saveexec_b64 s[6:7], s[4:5]
	s_cbranch_execz .LBB49_556
.LBB49_555:
	v_bfe_u32 v10, v15, 8, 3
	v_ffbh_u32_e32 v21, v10
	v_min_u32_e32 v21, 32, v21
	v_lshrrev_b16_e32 v20, 3, v14
	v_subrev_u32_e32 v22, 28, v21
	v_and_b32_e32 v20, 15, v20
	v_lshlrev_b32_e32 v14, v22, v14
	v_sub_u32_e32 v21, 29, v21
	v_and_b32_e32 v14, 7, v14
	v_cmp_eq_u16_e32 vcc, 0, v20
	v_cndmask_b32_e32 v10, v10, v14, vcc
	v_cndmask_b32_e32 v14, v20, v21, vcc
	v_lshlrev_b32_e32 v20, 16, v15
	v_mov_b32_e32 v21, 0x3b800000
	v_lshlrev_b32_e32 v10, 20, v10
	v_and_b32_e32 v20, 0x80000000, v20
	v_lshl_add_u32 v14, v14, 23, v21
	v_or3_b32 v10, v20, v14, v10
.LBB49_556:
	s_or_b64 exec, exec, s[6:7]
	v_lshrrev_b32_e32 v14, 8, v11
	s_movk_i32 s4, 0x7f
	v_cmp_gt_i16_sdwa s[6:7], v14, s4 src0_sel:BYTE_0 src1_sel:DWORD
	s_mov_b64 s[4:5], 0
                                        ; implicit-def: $sgpr10
	s_and_saveexec_b64 s[8:9], s[6:7]
	s_xor_b64 s[6:7], exec, s[8:9]
	s_cbranch_execnz .LBB49_2605
; %bb.557:
	s_or_saveexec_b64 s[6:7], s[6:7]
	v_mov_b32_e32 v20, s10
	s_xor_b64 exec, exec, s[6:7]
	s_cbranch_execnz .LBB49_2608
.LBB49_558:
	s_or_b64 exec, exec, s[6:7]
	s_and_saveexec_b64 s[6:7], s[4:5]
	s_cbranch_execz .LBB49_560
.LBB49_559:
	v_bfe_u32 v20, v11, 8, 3
	v_ffbh_u32_e32 v22, v20
	v_min_u32_e32 v22, 32, v22
	v_lshrrev_b16_e32 v21, 3, v14
	v_subrev_u32_e32 v23, 28, v22
	v_and_b32_e32 v21, 15, v21
	v_lshlrev_b32_e32 v14, v23, v14
	v_sub_u32_e32 v22, 29, v22
	v_and_b32_e32 v14, 7, v14
	v_cmp_eq_u16_e32 vcc, 0, v21
	v_cndmask_b32_e32 v14, v20, v14, vcc
	v_cndmask_b32_e32 v20, v21, v22, vcc
	v_lshlrev_b32_e32 v21, 16, v11
	v_mov_b32_e32 v22, 0x3b800000
	v_lshlrev_b32_e32 v14, 20, v14
	v_and_b32_e32 v21, 0x80000000, v21
	v_lshl_add_u32 v20, v20, 23, v22
	v_or3_b32 v20, v21, v20, v14
.LBB49_560:
	s_or_b64 exec, exec, s[6:7]
	s_nop 0
	v_mfma_f32_16x16x4f32 a[0:3], v10, v20, a[0:3]
	s_movk_i32 s4, 0xff
	v_and_b32_sdwa v14, v15, s4 dst_sel:DWORD dst_unused:UNUSED_PAD src0_sel:WORD_1 src1_sel:DWORD
	s_movk_i32 s4, 0x7f
	v_cmp_lt_i16_e32 vcc, s4, v14
	s_mov_b64 s[4:5], 0
                                        ; implicit-def: $sgpr10
	s_and_saveexec_b64 s[6:7], vcc
	s_xor_b64 s[6:7], exec, s[6:7]
	s_cbranch_execnz .LBB49_2609
; %bb.561:
	s_or_saveexec_b64 s[6:7], s[6:7]
	v_mov_b32_e32 v10, s10
	s_xor_b64 exec, exec, s[6:7]
	s_cbranch_execnz .LBB49_2612
.LBB49_562:
	s_or_b64 exec, exec, s[6:7]
	s_and_saveexec_b64 s[6:7], s[4:5]
	s_cbranch_execz .LBB49_564
.LBB49_563:
	v_bfe_u32 v10, v15, 16, 3
	v_ffbh_u32_e32 v21, v10
	v_min_u32_e32 v21, 32, v21
	v_lshrrev_b32_e32 v14, 19, v15
	v_subrev_u32_e32 v22, 28, v21
	v_and_b32_e32 v14, 15, v14
	v_lshlrev_b32_sdwa v22, v22, v15 dst_sel:DWORD dst_unused:UNUSED_PAD src0_sel:DWORD src1_sel:WORD_1
	v_bfe_u32 v20, v15, 19, 4
	v_sub_u32_e32 v21, 29, v21
	v_and_b32_e32 v22, 7, v22
	v_cmp_eq_u16_e32 vcc, 0, v14
	v_cndmask_b32_e32 v10, v10, v22, vcc
	v_cndmask_b32_e32 v14, v20, v21, vcc
	v_lshlrev_b32_e32 v20, 8, v15
	v_mov_b32_e32 v21, 0x3b800000
	v_lshlrev_b32_e32 v10, 20, v10
	v_and_b32_e32 v20, 0x80000000, v20
	v_lshl_add_u32 v14, v14, 23, v21
	v_or3_b32 v10, v20, v14, v10
.LBB49_564:
	s_or_b64 exec, exec, s[6:7]
	s_movk_i32 s4, 0xff
	v_and_b32_sdwa v14, v11, s4 dst_sel:DWORD dst_unused:UNUSED_PAD src0_sel:WORD_1 src1_sel:DWORD
	s_movk_i32 s4, 0x7f
	v_cmp_lt_i16_e32 vcc, s4, v14
	s_mov_b64 s[4:5], 0
                                        ; implicit-def: $sgpr10
	s_and_saveexec_b64 s[6:7], vcc
	s_xor_b64 s[6:7], exec, s[6:7]
	s_cbranch_execnz .LBB49_2613
; %bb.565:
	s_or_saveexec_b64 s[6:7], s[6:7]
	v_mov_b32_e32 v20, s10
	s_xor_b64 exec, exec, s[6:7]
	s_cbranch_execnz .LBB49_2616
.LBB49_566:
	s_or_b64 exec, exec, s[6:7]
	s_and_saveexec_b64 s[6:7], s[4:5]
	s_cbranch_execz .LBB49_568
.LBB49_567:
	v_bfe_u32 v14, v11, 16, 3
	v_ffbh_u32_e32 v22, v14
	v_min_u32_e32 v22, 32, v22
	v_lshrrev_b32_e32 v20, 19, v11
	v_subrev_u32_e32 v23, 28, v22
	v_and_b32_e32 v20, 15, v20
	v_lshlrev_b32_sdwa v23, v23, v11 dst_sel:DWORD dst_unused:UNUSED_PAD src0_sel:DWORD src1_sel:WORD_1
	v_bfe_u32 v21, v11, 19, 4
	v_sub_u32_e32 v22, 29, v22
	v_and_b32_e32 v23, 7, v23
	v_cmp_eq_u16_e32 vcc, 0, v20
	v_cndmask_b32_e32 v14, v14, v23, vcc
	v_cndmask_b32_e32 v20, v21, v22, vcc
	v_lshlrev_b32_e32 v21, 8, v11
	v_mov_b32_e32 v22, 0x3b800000
	v_lshlrev_b32_e32 v14, 20, v14
	v_and_b32_e32 v21, 0x80000000, v21
	v_lshl_add_u32 v20, v20, 23, v22
	v_or3_b32 v20, v21, v20, v14
.LBB49_568:
	s_or_b64 exec, exec, s[6:7]
	s_nop 0
	v_mfma_f32_16x16x4f32 a[0:3], v10, v20, a[0:3]
	s_movk_i32 s4, 0x7f
	v_cmp_gt_i16_sdwa s[6:7], v15, s4 src0_sel:BYTE_3 src1_sel:DWORD
	s_mov_b64 s[4:5], 0
                                        ; implicit-def: $sgpr10
	s_and_saveexec_b64 s[8:9], s[6:7]
	s_xor_b64 s[6:7], exec, s[8:9]
	s_cbranch_execnz .LBB49_2617
; %bb.569:
	s_or_saveexec_b64 s[6:7], s[6:7]
	v_mov_b32_e32 v10, s10
	s_xor_b64 exec, exec, s[6:7]
	s_cbranch_execnz .LBB49_2620
.LBB49_570:
	s_or_b64 exec, exec, s[6:7]
	s_and_saveexec_b64 s[6:7], s[4:5]
	s_cbranch_execz .LBB49_572
.LBB49_571:
	v_bfe_u32 v10, v15, 24, 3
	v_ffbh_u32_e32 v22, v10
	v_min_u32_e32 v22, 32, v22
	v_lshrrev_b32_e32 v20, 27, v15
	v_subrev_u32_e32 v23, 28, v22
	v_and_b32_e32 v14, 0x80000000, v15
	v_and_b32_e32 v20, 15, v20
	v_bfe_u32 v21, v15, 27, 4
	v_lshlrev_b32_sdwa v15, v23, v15 dst_sel:DWORD dst_unused:UNUSED_PAD src0_sel:DWORD src1_sel:BYTE_3
	v_sub_u32_e32 v22, 29, v22
	v_and_b32_e32 v15, 7, v15
	v_cmp_eq_u16_e32 vcc, 0, v20
	v_cndmask_b32_e32 v10, v10, v15, vcc
	v_cndmask_b32_e32 v15, v21, v22, vcc
	v_mov_b32_e32 v20, 0x3b800000
	v_lshlrev_b32_e32 v10, 20, v10
	v_lshl_add_u32 v15, v15, 23, v20
	v_or3_b32 v10, v14, v15, v10
.LBB49_572:
	s_or_b64 exec, exec, s[6:7]
	s_movk_i32 s4, 0x7f
	v_cmp_gt_i16_sdwa s[6:7], v11, s4 src0_sel:BYTE_3 src1_sel:DWORD
	s_mov_b64 s[4:5], 0
                                        ; implicit-def: $sgpr10
	s_and_saveexec_b64 s[8:9], s[6:7]
	s_xor_b64 s[6:7], exec, s[8:9]
	s_cbranch_execnz .LBB49_2621
; %bb.573:
	s_or_saveexec_b64 s[6:7], s[6:7]
	v_mov_b32_e32 v14, s10
	s_xor_b64 exec, exec, s[6:7]
	s_cbranch_execnz .LBB49_2624
.LBB49_574:
	s_or_b64 exec, exec, s[6:7]
	s_and_saveexec_b64 s[6:7], s[4:5]
	s_cbranch_execz .LBB49_576
.LBB49_575:
	v_bfe_u32 v14, v11, 24, 3
	v_ffbh_u32_e32 v22, v14
	v_min_u32_e32 v22, 32, v22
	v_lshrrev_b32_e32 v20, 27, v11
	v_subrev_u32_e32 v23, 28, v22
	v_and_b32_e32 v15, 0x80000000, v11
	v_and_b32_e32 v20, 15, v20
	v_bfe_u32 v21, v11, 27, 4
	v_lshlrev_b32_sdwa v11, v23, v11 dst_sel:DWORD dst_unused:UNUSED_PAD src0_sel:DWORD src1_sel:BYTE_3
	v_sub_u32_e32 v22, 29, v22
	v_and_b32_e32 v11, 7, v11
	v_cmp_eq_u16_e32 vcc, 0, v20
	v_cndmask_b32_e32 v11, v14, v11, vcc
	v_cndmask_b32_e32 v14, v21, v22, vcc
	v_mov_b32_e32 v20, 0x3b800000
	v_lshlrev_b32_e32 v11, 20, v11
	v_lshl_add_u32 v14, v14, 23, v20
	v_or3_b32 v14, v15, v14, v11
.LBB49_576:
	s_or_b64 exec, exec, s[6:7]
	s_nop 0
	v_mfma_f32_16x16x4f32 a[0:3], v10, v14, a[0:3]
	s_movk_i32 s4, 0x7f
	v_cmp_gt_i16_sdwa s[6:7], v16, s4 src0_sel:BYTE_0 src1_sel:DWORD
	s_mov_b64 s[4:5], 0
                                        ; implicit-def: $sgpr10
	s_and_saveexec_b64 s[8:9], s[6:7]
	s_xor_b64 s[6:7], exec, s[8:9]
	s_cbranch_execnz .LBB49_2625
; %bb.577:
	s_or_saveexec_b64 s[6:7], s[6:7]
	v_mov_b32_e32 v10, s10
	s_xor_b64 exec, exec, s[6:7]
	s_cbranch_execnz .LBB49_2628
.LBB49_578:
	s_or_b64 exec, exec, s[6:7]
	s_and_saveexec_b64 s[6:7], s[4:5]
	s_cbranch_execz .LBB49_580
.LBB49_579:
	v_and_b32_e32 v10, 7, v16
	v_ffbh_u32_e32 v14, v10
	v_min_u32_e32 v14, 32, v14
	v_lshrrev_b16_e32 v11, 3, v16
	v_subrev_u32_e32 v15, 28, v14
	v_and_b32_e32 v11, 15, v11
	v_lshlrev_b32_e32 v15, v15, v16
	v_sub_u32_e32 v14, 29, v14
	v_and_b32_e32 v15, 7, v15
	v_cmp_eq_u16_e32 vcc, 0, v11
	v_cndmask_b32_e32 v10, v10, v15, vcc
	v_cndmask_b32_e32 v11, v11, v14, vcc
	v_lshlrev_b32_e32 v14, 24, v16
	v_mov_b32_e32 v15, 0x3b800000
	v_lshlrev_b32_e32 v10, 20, v10
	v_and_b32_e32 v14, 0x80000000, v14
	v_lshl_add_u32 v11, v11, 23, v15
	v_or3_b32 v10, v14, v11, v10
.LBB49_580:
	s_or_b64 exec, exec, s[6:7]
	s_movk_i32 s4, 0x7f
	v_cmp_gt_i16_sdwa s[6:7], v12, s4 src0_sel:BYTE_0 src1_sel:DWORD
	s_mov_b64 s[4:5], 0
                                        ; implicit-def: $sgpr10
	s_and_saveexec_b64 s[8:9], s[6:7]
	s_xor_b64 s[6:7], exec, s[8:9]
	s_cbranch_execnz .LBB49_2629
; %bb.581:
	s_or_saveexec_b64 s[6:7], s[6:7]
	v_mov_b32_e32 v11, s10
	s_xor_b64 exec, exec, s[6:7]
	s_cbranch_execnz .LBB49_2632
.LBB49_582:
	s_or_b64 exec, exec, s[6:7]
	s_and_saveexec_b64 s[6:7], s[4:5]
	s_cbranch_execz .LBB49_584
.LBB49_583:
	v_and_b32_e32 v11, 7, v12
	v_ffbh_u32_e32 v15, v11
	v_min_u32_e32 v15, 32, v15
	v_lshrrev_b16_e32 v14, 3, v12
	v_subrev_u32_e32 v20, 28, v15
	v_and_b32_e32 v14, 15, v14
	v_lshlrev_b32_e32 v20, v20, v12
	v_sub_u32_e32 v15, 29, v15
	v_and_b32_e32 v20, 7, v20
	v_cmp_eq_u16_e32 vcc, 0, v14
	v_cndmask_b32_e32 v11, v11, v20, vcc
	v_cndmask_b32_e32 v14, v14, v15, vcc
	v_lshlrev_b32_e32 v15, 24, v12
	v_mov_b32_e32 v20, 0x3b800000
	v_lshlrev_b32_e32 v11, 20, v11
	v_and_b32_e32 v15, 0x80000000, v15
	v_lshl_add_u32 v14, v14, 23, v20
	v_or3_b32 v11, v15, v14, v11
.LBB49_584:
	s_or_b64 exec, exec, s[6:7]
	s_nop 0
	v_mfma_f32_16x16x4f32 a[0:3], v10, v11, a[0:3]
	v_lshrrev_b32_e32 v11, 8, v16
	s_movk_i32 s4, 0x7f
	v_cmp_gt_i16_sdwa s[6:7], v11, s4 src0_sel:BYTE_0 src1_sel:DWORD
	s_mov_b64 s[4:5], 0
                                        ; implicit-def: $sgpr10
	s_and_saveexec_b64 s[8:9], s[6:7]
	s_xor_b64 s[6:7], exec, s[8:9]
	s_cbranch_execnz .LBB49_2633
; %bb.585:
	s_or_saveexec_b64 s[6:7], s[6:7]
	v_mov_b32_e32 v10, s10
	s_xor_b64 exec, exec, s[6:7]
	s_cbranch_execnz .LBB49_2636
.LBB49_586:
	s_or_b64 exec, exec, s[6:7]
	s_and_saveexec_b64 s[6:7], s[4:5]
	s_cbranch_execz .LBB49_588
.LBB49_587:
	v_bfe_u32 v10, v16, 8, 3
	v_ffbh_u32_e32 v15, v10
	v_min_u32_e32 v15, 32, v15
	v_lshrrev_b16_e32 v14, 3, v11
	v_subrev_u32_e32 v20, 28, v15
	v_and_b32_e32 v14, 15, v14
	v_lshlrev_b32_e32 v11, v20, v11
	v_sub_u32_e32 v15, 29, v15
	v_and_b32_e32 v11, 7, v11
	v_cmp_eq_u16_e32 vcc, 0, v14
	v_cndmask_b32_e32 v10, v10, v11, vcc
	v_cndmask_b32_e32 v11, v14, v15, vcc
	v_lshlrev_b32_e32 v14, 16, v16
	v_mov_b32_e32 v15, 0x3b800000
	v_lshlrev_b32_e32 v10, 20, v10
	v_and_b32_e32 v14, 0x80000000, v14
	v_lshl_add_u32 v11, v11, 23, v15
	v_or3_b32 v10, v14, v11, v10
.LBB49_588:
	s_or_b64 exec, exec, s[6:7]
	v_lshrrev_b32_e32 v11, 8, v12
	s_movk_i32 s4, 0x7f
	v_cmp_gt_i16_sdwa s[6:7], v11, s4 src0_sel:BYTE_0 src1_sel:DWORD
	s_mov_b64 s[4:5], 0
                                        ; implicit-def: $sgpr10
	s_and_saveexec_b64 s[8:9], s[6:7]
	s_xor_b64 s[6:7], exec, s[8:9]
	s_cbranch_execnz .LBB49_2637
; %bb.589:
	s_or_saveexec_b64 s[6:7], s[6:7]
	v_mov_b32_e32 v14, s10
	s_xor_b64 exec, exec, s[6:7]
	s_cbranch_execnz .LBB49_2640
.LBB49_590:
	s_or_b64 exec, exec, s[6:7]
	s_and_saveexec_b64 s[6:7], s[4:5]
	s_cbranch_execz .LBB49_592
.LBB49_591:
	v_bfe_u32 v14, v12, 8, 3
	v_ffbh_u32_e32 v20, v14
	v_min_u32_e32 v20, 32, v20
	v_lshrrev_b16_e32 v15, 3, v11
	v_subrev_u32_e32 v21, 28, v20
	v_and_b32_e32 v15, 15, v15
	v_lshlrev_b32_e32 v11, v21, v11
	v_sub_u32_e32 v20, 29, v20
	v_and_b32_e32 v11, 7, v11
	v_cmp_eq_u16_e32 vcc, 0, v15
	v_cndmask_b32_e32 v11, v14, v11, vcc
	v_cndmask_b32_e32 v14, v15, v20, vcc
	v_lshlrev_b32_e32 v15, 16, v12
	v_mov_b32_e32 v20, 0x3b800000
	v_lshlrev_b32_e32 v11, 20, v11
	v_and_b32_e32 v15, 0x80000000, v15
	v_lshl_add_u32 v14, v14, 23, v20
	v_or3_b32 v14, v15, v14, v11
.LBB49_592:
	s_or_b64 exec, exec, s[6:7]
	s_nop 0
	v_mfma_f32_16x16x4f32 a[0:3], v10, v14, a[0:3]
	s_movk_i32 s4, 0xff
	v_and_b32_sdwa v11, v16, s4 dst_sel:DWORD dst_unused:UNUSED_PAD src0_sel:WORD_1 src1_sel:DWORD
	s_movk_i32 s4, 0x7f
	v_cmp_lt_i16_e32 vcc, s4, v11
	s_mov_b64 s[4:5], 0
                                        ; implicit-def: $sgpr10
	s_and_saveexec_b64 s[6:7], vcc
	s_xor_b64 s[6:7], exec, s[6:7]
	s_cbranch_execnz .LBB49_2641
; %bb.593:
	s_or_saveexec_b64 s[6:7], s[6:7]
	v_mov_b32_e32 v10, s10
	s_xor_b64 exec, exec, s[6:7]
	s_cbranch_execnz .LBB49_2644
.LBB49_594:
	s_or_b64 exec, exec, s[6:7]
	s_and_saveexec_b64 s[6:7], s[4:5]
	s_cbranch_execz .LBB49_596
.LBB49_595:
	v_bfe_u32 v10, v16, 16, 3
	v_ffbh_u32_e32 v15, v10
	v_min_u32_e32 v15, 32, v15
	v_lshrrev_b32_e32 v11, 19, v16
	v_subrev_u32_e32 v20, 28, v15
	v_and_b32_e32 v11, 15, v11
	v_lshlrev_b32_sdwa v20, v20, v16 dst_sel:DWORD dst_unused:UNUSED_PAD src0_sel:DWORD src1_sel:WORD_1
	v_bfe_u32 v14, v16, 19, 4
	v_sub_u32_e32 v15, 29, v15
	v_and_b32_e32 v20, 7, v20
	v_cmp_eq_u16_e32 vcc, 0, v11
	v_cndmask_b32_e32 v10, v10, v20, vcc
	v_cndmask_b32_e32 v11, v14, v15, vcc
	v_lshlrev_b32_e32 v14, 8, v16
	v_mov_b32_e32 v15, 0x3b800000
	v_lshlrev_b32_e32 v10, 20, v10
	v_and_b32_e32 v14, 0x80000000, v14
	v_lshl_add_u32 v11, v11, 23, v15
	v_or3_b32 v10, v14, v11, v10
.LBB49_596:
	s_or_b64 exec, exec, s[6:7]
	s_movk_i32 s4, 0xff
	v_and_b32_sdwa v11, v12, s4 dst_sel:DWORD dst_unused:UNUSED_PAD src0_sel:WORD_1 src1_sel:DWORD
	s_movk_i32 s4, 0x7f
	v_cmp_lt_i16_e32 vcc, s4, v11
	s_mov_b64 s[4:5], 0
                                        ; implicit-def: $sgpr10
	s_and_saveexec_b64 s[6:7], vcc
	s_xor_b64 s[6:7], exec, s[6:7]
	s_cbranch_execnz .LBB49_2645
; %bb.597:
	s_or_saveexec_b64 s[6:7], s[6:7]
	v_mov_b32_e32 v14, s10
	s_xor_b64 exec, exec, s[6:7]
	s_cbranch_execnz .LBB49_2648
.LBB49_598:
	s_or_b64 exec, exec, s[6:7]
	s_and_saveexec_b64 s[6:7], s[4:5]
	s_cbranch_execz .LBB49_600
.LBB49_599:
	v_bfe_u32 v11, v12, 16, 3
	v_ffbh_u32_e32 v20, v11
	v_min_u32_e32 v20, 32, v20
	v_lshrrev_b32_e32 v14, 19, v12
	v_subrev_u32_e32 v21, 28, v20
	v_and_b32_e32 v14, 15, v14
	v_lshlrev_b32_sdwa v21, v21, v12 dst_sel:DWORD dst_unused:UNUSED_PAD src0_sel:DWORD src1_sel:WORD_1
	v_bfe_u32 v15, v12, 19, 4
	v_sub_u32_e32 v20, 29, v20
	v_and_b32_e32 v21, 7, v21
	v_cmp_eq_u16_e32 vcc, 0, v14
	v_cndmask_b32_e32 v11, v11, v21, vcc
	v_cndmask_b32_e32 v14, v15, v20, vcc
	v_lshlrev_b32_e32 v15, 8, v12
	v_mov_b32_e32 v20, 0x3b800000
	v_lshlrev_b32_e32 v11, 20, v11
	v_and_b32_e32 v15, 0x80000000, v15
	v_lshl_add_u32 v14, v14, 23, v20
	v_or3_b32 v14, v15, v14, v11
.LBB49_600:
	s_or_b64 exec, exec, s[6:7]
	s_nop 0
	v_mfma_f32_16x16x4f32 a[0:3], v10, v14, a[0:3]
	s_movk_i32 s4, 0x7f
	v_cmp_gt_i16_sdwa s[6:7], v16, s4 src0_sel:BYTE_3 src1_sel:DWORD
	s_mov_b64 s[4:5], 0
                                        ; implicit-def: $sgpr10
	s_and_saveexec_b64 s[8:9], s[6:7]
	s_xor_b64 s[6:7], exec, s[8:9]
	s_cbranch_execnz .LBB49_2649
; %bb.601:
	s_or_saveexec_b64 s[6:7], s[6:7]
	v_mov_b32_e32 v10, s10
	s_xor_b64 exec, exec, s[6:7]
	s_cbranch_execnz .LBB49_2652
.LBB49_602:
	s_or_b64 exec, exec, s[6:7]
	s_and_saveexec_b64 s[6:7], s[4:5]
	s_cbranch_execz .LBB49_604
.LBB49_603:
	v_bfe_u32 v10, v16, 24, 3
	v_ffbh_u32_e32 v20, v10
	v_min_u32_e32 v20, 32, v20
	v_lshrrev_b32_e32 v14, 27, v16
	v_subrev_u32_e32 v21, 28, v20
	v_and_b32_e32 v11, 0x80000000, v16
	v_and_b32_e32 v14, 15, v14
	v_bfe_u32 v15, v16, 27, 4
	v_lshlrev_b32_sdwa v16, v21, v16 dst_sel:DWORD dst_unused:UNUSED_PAD src0_sel:DWORD src1_sel:BYTE_3
	v_sub_u32_e32 v20, 29, v20
	v_and_b32_e32 v16, 7, v16
	v_cmp_eq_u16_e32 vcc, 0, v14
	v_cndmask_b32_e32 v10, v10, v16, vcc
	v_cndmask_b32_e32 v14, v15, v20, vcc
	v_mov_b32_e32 v15, 0x3b800000
	v_lshlrev_b32_e32 v10, 20, v10
	v_lshl_add_u32 v14, v14, 23, v15
	v_or3_b32 v10, v11, v14, v10
.LBB49_604:
	s_or_b64 exec, exec, s[6:7]
	s_movk_i32 s4, 0x7f
	v_cmp_gt_i16_sdwa s[6:7], v12, s4 src0_sel:BYTE_3 src1_sel:DWORD
	s_mov_b64 s[4:5], 0
                                        ; implicit-def: $sgpr10
	s_and_saveexec_b64 s[8:9], s[6:7]
	s_xor_b64 s[6:7], exec, s[8:9]
	s_cbranch_execnz .LBB49_2653
; %bb.605:
	s_or_saveexec_b64 s[6:7], s[6:7]
	v_mov_b32_e32 v11, s10
	s_xor_b64 exec, exec, s[6:7]
	s_cbranch_execnz .LBB49_2656
.LBB49_606:
	s_or_b64 exec, exec, s[6:7]
	s_and_saveexec_b64 s[6:7], s[4:5]
	s_cbranch_execz .LBB49_608
.LBB49_607:
	v_bfe_u32 v11, v12, 24, 3
	v_ffbh_u32_e32 v20, v11
	v_min_u32_e32 v20, 32, v20
	v_lshrrev_b32_e32 v15, 27, v12
	v_subrev_u32_e32 v21, 28, v20
	v_and_b32_e32 v14, 0x80000000, v12
	v_and_b32_e32 v15, 15, v15
	v_bfe_u32 v16, v12, 27, 4
	v_lshlrev_b32_sdwa v12, v21, v12 dst_sel:DWORD dst_unused:UNUSED_PAD src0_sel:DWORD src1_sel:BYTE_3
	v_sub_u32_e32 v20, 29, v20
	v_and_b32_e32 v12, 7, v12
	v_cmp_eq_u16_e32 vcc, 0, v15
	v_cndmask_b32_e32 v11, v11, v12, vcc
	v_cndmask_b32_e32 v12, v16, v20, vcc
	v_mov_b32_e32 v15, 0x3b800000
	v_lshlrev_b32_e32 v11, 20, v11
	v_lshl_add_u32 v12, v12, 23, v15
	v_or3_b32 v11, v14, v12, v11
.LBB49_608:
	s_or_b64 exec, exec, s[6:7]
	s_nop 0
	v_mfma_f32_16x16x4f32 a[0:3], v10, v11, a[0:3]
	s_movk_i32 s4, 0x7f
	v_cmp_gt_i16_sdwa s[6:7], v17, s4 src0_sel:BYTE_0 src1_sel:DWORD
	s_mov_b64 s[4:5], 0
                                        ; implicit-def: $sgpr10
	s_and_saveexec_b64 s[8:9], s[6:7]
	s_xor_b64 s[6:7], exec, s[8:9]
	s_cbranch_execnz .LBB49_2657
; %bb.609:
	s_or_saveexec_b64 s[6:7], s[6:7]
	v_mov_b32_e32 v10, s10
	s_xor_b64 exec, exec, s[6:7]
	s_cbranch_execnz .LBB49_2660
.LBB49_610:
	s_or_b64 exec, exec, s[6:7]
	s_and_saveexec_b64 s[6:7], s[4:5]
	s_cbranch_execz .LBB49_612
.LBB49_611:
	v_and_b32_e32 v10, 7, v17
	v_ffbh_u32_e32 v12, v10
	v_min_u32_e32 v12, 32, v12
	v_lshrrev_b16_e32 v11, 3, v17
	v_subrev_u32_e32 v14, 28, v12
	v_and_b32_e32 v11, 15, v11
	v_lshlrev_b32_e32 v14, v14, v17
	v_sub_u32_e32 v12, 29, v12
	v_and_b32_e32 v14, 7, v14
	v_cmp_eq_u16_e32 vcc, 0, v11
	v_cndmask_b32_e32 v10, v10, v14, vcc
	v_cndmask_b32_e32 v11, v11, v12, vcc
	v_lshlrev_b32_e32 v12, 24, v17
	v_mov_b32_e32 v14, 0x3b800000
	v_lshlrev_b32_e32 v10, 20, v10
	v_and_b32_e32 v12, 0x80000000, v12
	v_lshl_add_u32 v11, v11, 23, v14
	v_or3_b32 v10, v12, v11, v10
.LBB49_612:
	s_or_b64 exec, exec, s[6:7]
	s_movk_i32 s4, 0x7f
	v_cmp_gt_i16_sdwa s[6:7], v13, s4 src0_sel:BYTE_0 src1_sel:DWORD
	s_mov_b64 s[4:5], 0
                                        ; implicit-def: $sgpr10
	s_and_saveexec_b64 s[8:9], s[6:7]
	s_xor_b64 s[6:7], exec, s[8:9]
	s_cbranch_execnz .LBB49_2661
; %bb.613:
	s_or_saveexec_b64 s[6:7], s[6:7]
	v_mov_b32_e32 v11, s10
	s_xor_b64 exec, exec, s[6:7]
	s_cbranch_execnz .LBB49_2664
.LBB49_614:
	s_or_b64 exec, exec, s[6:7]
	s_and_saveexec_b64 s[6:7], s[4:5]
	s_cbranch_execz .LBB49_616
.LBB49_615:
	v_and_b32_e32 v11, 7, v13
	v_ffbh_u32_e32 v14, v11
	v_min_u32_e32 v14, 32, v14
	v_lshrrev_b16_e32 v12, 3, v13
	v_subrev_u32_e32 v15, 28, v14
	v_and_b32_e32 v12, 15, v12
	v_lshlrev_b32_e32 v15, v15, v13
	v_sub_u32_e32 v14, 29, v14
	v_and_b32_e32 v15, 7, v15
	v_cmp_eq_u16_e32 vcc, 0, v12
	v_cndmask_b32_e32 v11, v11, v15, vcc
	v_cndmask_b32_e32 v12, v12, v14, vcc
	v_lshlrev_b32_e32 v14, 24, v13
	v_mov_b32_e32 v15, 0x3b800000
	v_lshlrev_b32_e32 v11, 20, v11
	v_and_b32_e32 v14, 0x80000000, v14
	v_lshl_add_u32 v12, v12, 23, v15
	v_or3_b32 v11, v14, v12, v11
.LBB49_616:
	s_or_b64 exec, exec, s[6:7]
	s_nop 0
	v_mfma_f32_16x16x4f32 a[0:3], v10, v11, a[0:3]
	v_lshrrev_b32_e32 v11, 8, v17
	s_movk_i32 s4, 0x7f
	v_cmp_gt_i16_sdwa s[6:7], v11, s4 src0_sel:BYTE_0 src1_sel:DWORD
	s_mov_b64 s[4:5], 0
                                        ; implicit-def: $sgpr10
	s_and_saveexec_b64 s[8:9], s[6:7]
	s_xor_b64 s[6:7], exec, s[8:9]
	s_cbranch_execnz .LBB49_2665
; %bb.617:
	s_or_saveexec_b64 s[6:7], s[6:7]
	v_mov_b32_e32 v10, s10
	s_xor_b64 exec, exec, s[6:7]
	s_cbranch_execnz .LBB49_2668
.LBB49_618:
	s_or_b64 exec, exec, s[6:7]
	s_and_saveexec_b64 s[6:7], s[4:5]
	s_cbranch_execz .LBB49_620
.LBB49_619:
	v_bfe_u32 v10, v17, 8, 3
	v_ffbh_u32_e32 v14, v10
	v_min_u32_e32 v14, 32, v14
	v_lshrrev_b16_e32 v12, 3, v11
	v_subrev_u32_e32 v15, 28, v14
	v_and_b32_e32 v12, 15, v12
	v_lshlrev_b32_e32 v11, v15, v11
	v_sub_u32_e32 v14, 29, v14
	v_and_b32_e32 v11, 7, v11
	v_cmp_eq_u16_e32 vcc, 0, v12
	v_cndmask_b32_e32 v10, v10, v11, vcc
	v_cndmask_b32_e32 v11, v12, v14, vcc
	v_lshlrev_b32_e32 v12, 16, v17
	v_mov_b32_e32 v14, 0x3b800000
	v_lshlrev_b32_e32 v10, 20, v10
	v_and_b32_e32 v12, 0x80000000, v12
	v_lshl_add_u32 v11, v11, 23, v14
	v_or3_b32 v10, v12, v11, v10
.LBB49_620:
	s_or_b64 exec, exec, s[6:7]
	v_lshrrev_b32_e32 v11, 8, v13
	s_movk_i32 s4, 0x7f
	v_cmp_gt_i16_sdwa s[6:7], v11, s4 src0_sel:BYTE_0 src1_sel:DWORD
	s_mov_b64 s[4:5], 0
                                        ; implicit-def: $sgpr10
	s_and_saveexec_b64 s[8:9], s[6:7]
	s_xor_b64 s[6:7], exec, s[8:9]
	s_cbranch_execnz .LBB49_2669
; %bb.621:
	s_or_saveexec_b64 s[6:7], s[6:7]
	v_mov_b32_e32 v12, s10
	s_xor_b64 exec, exec, s[6:7]
	s_cbranch_execnz .LBB49_2672
.LBB49_622:
	s_or_b64 exec, exec, s[6:7]
	s_and_saveexec_b64 s[6:7], s[4:5]
	s_cbranch_execz .LBB49_624
.LBB49_623:
	v_bfe_u32 v12, v13, 8, 3
	v_ffbh_u32_e32 v15, v12
	v_min_u32_e32 v15, 32, v15
	v_lshrrev_b16_e32 v14, 3, v11
	v_subrev_u32_e32 v16, 28, v15
	v_and_b32_e32 v14, 15, v14
	v_lshlrev_b32_e32 v11, v16, v11
	v_sub_u32_e32 v15, 29, v15
	v_and_b32_e32 v11, 7, v11
	v_cmp_eq_u16_e32 vcc, 0, v14
	v_cndmask_b32_e32 v11, v12, v11, vcc
	v_cndmask_b32_e32 v12, v14, v15, vcc
	v_lshlrev_b32_e32 v14, 16, v13
	v_mov_b32_e32 v15, 0x3b800000
	v_lshlrev_b32_e32 v11, 20, v11
	v_and_b32_e32 v14, 0x80000000, v14
	v_lshl_add_u32 v12, v12, 23, v15
	v_or3_b32 v12, v14, v12, v11
.LBB49_624:
	s_or_b64 exec, exec, s[6:7]
	s_nop 0
	v_mfma_f32_16x16x4f32 a[0:3], v10, v12, a[0:3]
	s_movk_i32 s4, 0xff
	v_and_b32_sdwa v11, v17, s4 dst_sel:DWORD dst_unused:UNUSED_PAD src0_sel:WORD_1 src1_sel:DWORD
	s_movk_i32 s4, 0x7f
	v_cmp_lt_i16_e32 vcc, s4, v11
	s_mov_b64 s[4:5], 0
                                        ; implicit-def: $sgpr10
	s_and_saveexec_b64 s[6:7], vcc
	s_xor_b64 s[6:7], exec, s[6:7]
	s_cbranch_execnz .LBB49_2673
; %bb.625:
	s_or_saveexec_b64 s[6:7], s[6:7]
	v_mov_b32_e32 v10, s10
	s_xor_b64 exec, exec, s[6:7]
	s_cbranch_execnz .LBB49_2676
.LBB49_626:
	s_or_b64 exec, exec, s[6:7]
	s_and_saveexec_b64 s[6:7], s[4:5]
	s_cbranch_execz .LBB49_628
.LBB49_627:
	v_bfe_u32 v10, v17, 16, 3
	v_ffbh_u32_e32 v14, v10
	v_min_u32_e32 v14, 32, v14
	v_lshrrev_b32_e32 v11, 19, v17
	v_subrev_u32_e32 v15, 28, v14
	v_and_b32_e32 v11, 15, v11
	v_lshlrev_b32_sdwa v15, v15, v17 dst_sel:DWORD dst_unused:UNUSED_PAD src0_sel:DWORD src1_sel:WORD_1
	v_bfe_u32 v12, v17, 19, 4
	v_sub_u32_e32 v14, 29, v14
	v_and_b32_e32 v15, 7, v15
	v_cmp_eq_u16_e32 vcc, 0, v11
	v_cndmask_b32_e32 v10, v10, v15, vcc
	v_cndmask_b32_e32 v11, v12, v14, vcc
	v_lshlrev_b32_e32 v12, 8, v17
	v_mov_b32_e32 v14, 0x3b800000
	v_lshlrev_b32_e32 v10, 20, v10
	v_and_b32_e32 v12, 0x80000000, v12
	v_lshl_add_u32 v11, v11, 23, v14
	v_or3_b32 v10, v12, v11, v10
.LBB49_628:
	s_or_b64 exec, exec, s[6:7]
	s_movk_i32 s4, 0xff
	v_and_b32_sdwa v11, v13, s4 dst_sel:DWORD dst_unused:UNUSED_PAD src0_sel:WORD_1 src1_sel:DWORD
	s_movk_i32 s4, 0x7f
	v_cmp_lt_i16_e32 vcc, s4, v11
	s_mov_b64 s[4:5], 0
                                        ; implicit-def: $sgpr10
	s_and_saveexec_b64 s[6:7], vcc
	s_xor_b64 s[6:7], exec, s[6:7]
	s_cbranch_execnz .LBB49_2677
; %bb.629:
	s_or_saveexec_b64 s[6:7], s[6:7]
	v_mov_b32_e32 v12, s10
	s_xor_b64 exec, exec, s[6:7]
	s_cbranch_execnz .LBB49_2680
.LBB49_630:
	s_or_b64 exec, exec, s[6:7]
	s_and_saveexec_b64 s[6:7], s[4:5]
	s_cbranch_execz .LBB49_632
.LBB49_631:
	v_bfe_u32 v11, v13, 16, 3
	v_ffbh_u32_e32 v15, v11
	v_min_u32_e32 v15, 32, v15
	v_lshrrev_b32_e32 v12, 19, v13
	v_subrev_u32_e32 v16, 28, v15
	v_and_b32_e32 v12, 15, v12
	v_lshlrev_b32_sdwa v16, v16, v13 dst_sel:DWORD dst_unused:UNUSED_PAD src0_sel:DWORD src1_sel:WORD_1
	v_bfe_u32 v14, v13, 19, 4
	v_sub_u32_e32 v15, 29, v15
	v_and_b32_e32 v16, 7, v16
	v_cmp_eq_u16_e32 vcc, 0, v12
	v_cndmask_b32_e32 v11, v11, v16, vcc
	v_cndmask_b32_e32 v12, v14, v15, vcc
	v_lshlrev_b32_e32 v14, 8, v13
	v_mov_b32_e32 v15, 0x3b800000
	v_lshlrev_b32_e32 v11, 20, v11
	v_and_b32_e32 v14, 0x80000000, v14
	v_lshl_add_u32 v12, v12, 23, v15
	v_or3_b32 v12, v14, v12, v11
.LBB49_632:
	s_or_b64 exec, exec, s[6:7]
	s_nop 0
	v_mfma_f32_16x16x4f32 a[0:3], v10, v12, a[0:3]
	s_movk_i32 s4, 0x7f
	v_cmp_gt_i16_sdwa s[6:7], v17, s4 src0_sel:BYTE_3 src1_sel:DWORD
	s_mov_b64 s[4:5], 0
                                        ; implicit-def: $sgpr10
	s_and_saveexec_b64 s[8:9], s[6:7]
	s_xor_b64 s[6:7], exec, s[8:9]
	s_cbranch_execnz .LBB49_2681
; %bb.633:
	s_or_saveexec_b64 s[6:7], s[6:7]
	v_mov_b32_e32 v10, s10
	s_xor_b64 exec, exec, s[6:7]
	s_cbranch_execnz .LBB49_2684
.LBB49_634:
	s_or_b64 exec, exec, s[6:7]
	s_and_saveexec_b64 s[6:7], s[4:5]
	s_cbranch_execz .LBB49_636
.LBB49_635:
	v_bfe_u32 v10, v17, 24, 3
	v_ffbh_u32_e32 v15, v10
	v_min_u32_e32 v15, 32, v15
	v_lshrrev_b32_e32 v12, 27, v17
	v_subrev_u32_e32 v16, 28, v15
	v_and_b32_e32 v12, 15, v12
	v_lshlrev_b32_sdwa v16, v16, v17 dst_sel:DWORD dst_unused:UNUSED_PAD src0_sel:DWORD src1_sel:BYTE_3
	v_bfe_u32 v14, v17, 27, 4
	v_sub_u32_e32 v15, 29, v15
	v_and_b32_e32 v16, 7, v16
	v_cmp_eq_u16_e32 vcc, 0, v12
	v_cndmask_b32_e32 v10, v10, v16, vcc
	v_cndmask_b32_e32 v12, v14, v15, vcc
	v_mov_b32_e32 v14, 0x3b800000
	v_and_b32_e32 v11, 0x80000000, v17
	v_lshlrev_b32_e32 v10, 20, v10
	v_lshl_add_u32 v12, v12, 23, v14
	v_or3_b32 v10, v11, v12, v10
.LBB49_636:
	s_or_b64 exec, exec, s[6:7]
	s_movk_i32 s4, 0x7f
	v_cmp_gt_i16_sdwa s[6:7], v13, s4 src0_sel:BYTE_3 src1_sel:DWORD
	s_mov_b64 s[4:5], 0
                                        ; implicit-def: $sgpr10
	s_and_saveexec_b64 s[8:9], s[6:7]
	s_xor_b64 s[6:7], exec, s[8:9]
	s_cbranch_execnz .LBB49_2685
; %bb.637:
	s_or_saveexec_b64 s[6:7], s[6:7]
	v_mov_b32_e32 v11, s10
	s_xor_b64 exec, exec, s[6:7]
	s_cbranch_execnz .LBB49_2688
.LBB49_638:
	s_or_b64 exec, exec, s[6:7]
	s_and_saveexec_b64 s[6:7], s[4:5]
	s_cbranch_execz .LBB49_640
.LBB49_639:
	v_bfe_u32 v11, v13, 24, 3
	v_ffbh_u32_e32 v16, v11
	v_min_u32_e32 v16, 32, v16
	v_lshrrev_b32_e32 v14, 27, v13
	v_subrev_u32_e32 v17, 28, v16
	v_and_b32_e32 v12, 0x80000000, v13
	v_and_b32_e32 v14, 15, v14
	v_bfe_u32 v15, v13, 27, 4
	v_lshlrev_b32_sdwa v13, v17, v13 dst_sel:DWORD dst_unused:UNUSED_PAD src0_sel:DWORD src1_sel:BYTE_3
	v_sub_u32_e32 v16, 29, v16
	v_and_b32_e32 v13, 7, v13
	v_cmp_eq_u16_e32 vcc, 0, v14
	v_cndmask_b32_e32 v11, v11, v13, vcc
	v_cndmask_b32_e32 v13, v15, v16, vcc
	v_mov_b32_e32 v14, 0x3b800000
	v_lshlrev_b32_e32 v11, 20, v11
	v_lshl_add_u32 v13, v13, 23, v14
	v_or3_b32 v11, v12, v13, v11
.LBB49_640:
	s_or_b64 exec, exec, s[6:7]
	s_nop 0
	v_mfma_f32_16x16x4f32 a[0:3], v10, v11, a[0:3]
	s_movk_i32 s4, 0x7f
	v_cmp_gt_i16_sdwa s[6:7], v6, s4 src0_sel:BYTE_0 src1_sel:DWORD
	s_mov_b64 s[4:5], 0
                                        ; implicit-def: $sgpr10
	s_and_saveexec_b64 s[8:9], s[6:7]
	s_xor_b64 s[6:7], exec, s[8:9]
	s_cbranch_execnz .LBB49_2689
; %bb.641:
	s_or_saveexec_b64 s[6:7], s[6:7]
	v_mov_b32_e32 v10, s10
	s_xor_b64 exec, exec, s[6:7]
	s_cbranch_execnz .LBB49_2692
.LBB49_642:
	s_or_b64 exec, exec, s[6:7]
	s_and_saveexec_b64 s[6:7], s[4:5]
	s_cbranch_execz .LBB49_644
.LBB49_643:
	v_and_b32_e32 v10, 7, v6
	v_ffbh_u32_e32 v12, v10
	v_min_u32_e32 v12, 32, v12
	v_lshrrev_b16_e32 v11, 3, v6
	v_subrev_u32_e32 v13, 28, v12
	v_and_b32_e32 v11, 15, v11
	v_lshlrev_b32_e32 v13, v13, v6
	v_sub_u32_e32 v12, 29, v12
	v_and_b32_e32 v13, 7, v13
	v_cmp_eq_u16_e32 vcc, 0, v11
	v_cndmask_b32_e32 v10, v10, v13, vcc
	v_cndmask_b32_e32 v11, v11, v12, vcc
	v_lshlrev_b32_e32 v12, 24, v6
	v_mov_b32_e32 v13, 0x3b800000
	v_lshlrev_b32_e32 v10, 20, v10
	v_and_b32_e32 v12, 0x80000000, v12
	v_lshl_add_u32 v11, v11, 23, v13
	v_or3_b32 v10, v12, v11, v10
.LBB49_644:
	s_or_b64 exec, exec, s[6:7]
	s_movk_i32 s4, 0x7f
	v_cmp_gt_i16_sdwa s[6:7], v2, s4 src0_sel:BYTE_0 src1_sel:DWORD
	s_mov_b64 s[4:5], 0
                                        ; implicit-def: $sgpr10
	s_and_saveexec_b64 s[8:9], s[6:7]
	s_xor_b64 s[6:7], exec, s[8:9]
	s_cbranch_execnz .LBB49_2693
; %bb.645:
	s_or_saveexec_b64 s[6:7], s[6:7]
	v_mov_b32_e32 v11, s10
	s_xor_b64 exec, exec, s[6:7]
	s_cbranch_execnz .LBB49_2696
.LBB49_646:
	s_or_b64 exec, exec, s[6:7]
	s_and_saveexec_b64 s[6:7], s[4:5]
	s_cbranch_execz .LBB49_648
.LBB49_647:
	v_and_b32_e32 v11, 7, v2
	v_ffbh_u32_e32 v13, v11
	v_min_u32_e32 v13, 32, v13
	v_lshrrev_b16_e32 v12, 3, v2
	v_subrev_u32_e32 v14, 28, v13
	v_and_b32_e32 v12, 15, v12
	v_lshlrev_b32_e32 v14, v14, v2
	v_sub_u32_e32 v13, 29, v13
	v_and_b32_e32 v14, 7, v14
	v_cmp_eq_u16_e32 vcc, 0, v12
	v_cndmask_b32_e32 v11, v11, v14, vcc
	v_cndmask_b32_e32 v12, v12, v13, vcc
	v_lshlrev_b32_e32 v13, 24, v2
	v_mov_b32_e32 v14, 0x3b800000
	v_lshlrev_b32_e32 v11, 20, v11
	v_and_b32_e32 v13, 0x80000000, v13
	v_lshl_add_u32 v12, v12, 23, v14
	v_or3_b32 v11, v13, v12, v11
.LBB49_648:
	s_or_b64 exec, exec, s[6:7]
	s_nop 0
	v_mfma_f32_16x16x4f32 a[0:3], v10, v11, a[0:3]
	v_lshrrev_b32_e32 v11, 8, v6
	s_movk_i32 s4, 0x7f
	v_cmp_gt_i16_sdwa s[6:7], v11, s4 src0_sel:BYTE_0 src1_sel:DWORD
	s_mov_b64 s[4:5], 0
                                        ; implicit-def: $sgpr10
	s_and_saveexec_b64 s[8:9], s[6:7]
	s_xor_b64 s[6:7], exec, s[8:9]
	s_cbranch_execnz .LBB49_2697
; %bb.649:
	s_or_saveexec_b64 s[6:7], s[6:7]
	v_mov_b32_e32 v10, s10
	s_xor_b64 exec, exec, s[6:7]
	s_cbranch_execnz .LBB49_2700
.LBB49_650:
	s_or_b64 exec, exec, s[6:7]
	s_and_saveexec_b64 s[6:7], s[4:5]
	s_cbranch_execz .LBB49_652
.LBB49_651:
	v_bfe_u32 v10, v6, 8, 3
	v_ffbh_u32_e32 v13, v10
	v_min_u32_e32 v13, 32, v13
	v_lshrrev_b16_e32 v12, 3, v11
	v_subrev_u32_e32 v14, 28, v13
	v_and_b32_e32 v12, 15, v12
	v_lshlrev_b32_e32 v11, v14, v11
	v_sub_u32_e32 v13, 29, v13
	v_and_b32_e32 v11, 7, v11
	v_cmp_eq_u16_e32 vcc, 0, v12
	v_cndmask_b32_e32 v10, v10, v11, vcc
	v_cndmask_b32_e32 v11, v12, v13, vcc
	v_lshlrev_b32_e32 v12, 16, v6
	v_mov_b32_e32 v13, 0x3b800000
	v_lshlrev_b32_e32 v10, 20, v10
	v_and_b32_e32 v12, 0x80000000, v12
	v_lshl_add_u32 v11, v11, 23, v13
	v_or3_b32 v10, v12, v11, v10
.LBB49_652:
	s_or_b64 exec, exec, s[6:7]
	v_lshrrev_b32_e32 v11, 8, v2
	s_movk_i32 s4, 0x7f
	v_cmp_gt_i16_sdwa s[6:7], v11, s4 src0_sel:BYTE_0 src1_sel:DWORD
	s_mov_b64 s[4:5], 0
                                        ; implicit-def: $sgpr10
	s_and_saveexec_b64 s[8:9], s[6:7]
	s_xor_b64 s[6:7], exec, s[8:9]
	s_cbranch_execnz .LBB49_2701
; %bb.653:
	s_or_saveexec_b64 s[6:7], s[6:7]
	v_mov_b32_e32 v12, s10
	s_xor_b64 exec, exec, s[6:7]
	s_cbranch_execnz .LBB49_2704
.LBB49_654:
	s_or_b64 exec, exec, s[6:7]
	s_and_saveexec_b64 s[6:7], s[4:5]
	s_cbranch_execz .LBB49_656
.LBB49_655:
	v_bfe_u32 v12, v2, 8, 3
	v_ffbh_u32_e32 v14, v12
	v_min_u32_e32 v14, 32, v14
	v_lshrrev_b16_e32 v13, 3, v11
	v_subrev_u32_e32 v15, 28, v14
	v_and_b32_e32 v13, 15, v13
	v_lshlrev_b32_e32 v11, v15, v11
	v_sub_u32_e32 v14, 29, v14
	v_and_b32_e32 v11, 7, v11
	v_cmp_eq_u16_e32 vcc, 0, v13
	v_cndmask_b32_e32 v11, v12, v11, vcc
	v_cndmask_b32_e32 v12, v13, v14, vcc
	v_lshlrev_b32_e32 v13, 16, v2
	v_mov_b32_e32 v14, 0x3b800000
	v_lshlrev_b32_e32 v11, 20, v11
	v_and_b32_e32 v13, 0x80000000, v13
	v_lshl_add_u32 v12, v12, 23, v14
	v_or3_b32 v12, v13, v12, v11
.LBB49_656:
	s_or_b64 exec, exec, s[6:7]
	s_nop 0
	v_mfma_f32_16x16x4f32 a[0:3], v10, v12, a[0:3]
	s_movk_i32 s4, 0xff
	v_and_b32_sdwa v11, v6, s4 dst_sel:DWORD dst_unused:UNUSED_PAD src0_sel:WORD_1 src1_sel:DWORD
	s_movk_i32 s4, 0x7f
	v_cmp_lt_i16_e32 vcc, s4, v11
	s_mov_b64 s[4:5], 0
                                        ; implicit-def: $sgpr10
	s_and_saveexec_b64 s[6:7], vcc
	s_xor_b64 s[6:7], exec, s[6:7]
	s_cbranch_execnz .LBB49_2705
; %bb.657:
	s_or_saveexec_b64 s[6:7], s[6:7]
	v_mov_b32_e32 v10, s10
	s_xor_b64 exec, exec, s[6:7]
	s_cbranch_execnz .LBB49_2708
.LBB49_658:
	s_or_b64 exec, exec, s[6:7]
	s_and_saveexec_b64 s[6:7], s[4:5]
	s_cbranch_execz .LBB49_660
.LBB49_659:
	v_bfe_u32 v10, v6, 16, 3
	v_ffbh_u32_e32 v13, v10
	v_min_u32_e32 v13, 32, v13
	v_lshrrev_b32_e32 v11, 19, v6
	v_subrev_u32_e32 v14, 28, v13
	v_and_b32_e32 v11, 15, v11
	v_lshlrev_b32_sdwa v14, v14, v6 dst_sel:DWORD dst_unused:UNUSED_PAD src0_sel:DWORD src1_sel:WORD_1
	v_bfe_u32 v12, v6, 19, 4
	v_sub_u32_e32 v13, 29, v13
	v_and_b32_e32 v14, 7, v14
	v_cmp_eq_u16_e32 vcc, 0, v11
	v_cndmask_b32_e32 v10, v10, v14, vcc
	v_cndmask_b32_e32 v11, v12, v13, vcc
	v_lshlrev_b32_e32 v12, 8, v6
	v_mov_b32_e32 v13, 0x3b800000
	v_lshlrev_b32_e32 v10, 20, v10
	v_and_b32_e32 v12, 0x80000000, v12
	v_lshl_add_u32 v11, v11, 23, v13
	v_or3_b32 v10, v12, v11, v10
.LBB49_660:
	s_or_b64 exec, exec, s[6:7]
	s_movk_i32 s4, 0xff
	v_and_b32_sdwa v11, v2, s4 dst_sel:DWORD dst_unused:UNUSED_PAD src0_sel:WORD_1 src1_sel:DWORD
	s_movk_i32 s4, 0x7f
	v_cmp_lt_i16_e32 vcc, s4, v11
	s_mov_b64 s[4:5], 0
                                        ; implicit-def: $sgpr10
	s_and_saveexec_b64 s[6:7], vcc
	s_xor_b64 s[6:7], exec, s[6:7]
	s_cbranch_execnz .LBB49_2709
; %bb.661:
	s_or_saveexec_b64 s[6:7], s[6:7]
	v_mov_b32_e32 v12, s10
	s_xor_b64 exec, exec, s[6:7]
	s_cbranch_execnz .LBB49_2712
.LBB49_662:
	s_or_b64 exec, exec, s[6:7]
	s_and_saveexec_b64 s[6:7], s[4:5]
	s_cbranch_execz .LBB49_664
.LBB49_663:
	v_bfe_u32 v11, v2, 16, 3
	v_ffbh_u32_e32 v14, v11
	v_min_u32_e32 v14, 32, v14
	v_lshrrev_b32_e32 v12, 19, v2
	v_subrev_u32_e32 v15, 28, v14
	v_and_b32_e32 v12, 15, v12
	v_lshlrev_b32_sdwa v15, v15, v2 dst_sel:DWORD dst_unused:UNUSED_PAD src0_sel:DWORD src1_sel:WORD_1
	v_bfe_u32 v13, v2, 19, 4
	v_sub_u32_e32 v14, 29, v14
	v_and_b32_e32 v15, 7, v15
	v_cmp_eq_u16_e32 vcc, 0, v12
	v_cndmask_b32_e32 v11, v11, v15, vcc
	v_cndmask_b32_e32 v12, v13, v14, vcc
	v_lshlrev_b32_e32 v13, 8, v2
	v_mov_b32_e32 v14, 0x3b800000
	v_lshlrev_b32_e32 v11, 20, v11
	v_and_b32_e32 v13, 0x80000000, v13
	v_lshl_add_u32 v12, v12, 23, v14
	v_or3_b32 v12, v13, v12, v11
.LBB49_664:
	s_or_b64 exec, exec, s[6:7]
	s_nop 0
	v_mfma_f32_16x16x4f32 a[0:3], v10, v12, a[0:3]
	s_movk_i32 s4, 0x7f
	v_cmp_gt_i16_sdwa s[6:7], v6, s4 src0_sel:BYTE_3 src1_sel:DWORD
	s_mov_b64 s[4:5], 0
                                        ; implicit-def: $sgpr10
	s_and_saveexec_b64 s[8:9], s[6:7]
	s_xor_b64 s[6:7], exec, s[8:9]
	s_cbranch_execnz .LBB49_2713
; %bb.665:
	s_or_saveexec_b64 s[6:7], s[6:7]
	v_mov_b32_e32 v10, s10
	s_xor_b64 exec, exec, s[6:7]
	s_cbranch_execnz .LBB49_2716
.LBB49_666:
	s_or_b64 exec, exec, s[6:7]
	s_and_saveexec_b64 s[6:7], s[4:5]
	s_cbranch_execz .LBB49_668
.LBB49_667:
	v_bfe_u32 v10, v6, 24, 3
	v_ffbh_u32_e32 v14, v10
	v_min_u32_e32 v14, 32, v14
	v_lshrrev_b32_e32 v12, 27, v6
	v_subrev_u32_e32 v15, 28, v14
	v_and_b32_e32 v11, 0x80000000, v6
	v_and_b32_e32 v12, 15, v12
	v_bfe_u32 v13, v6, 27, 4
	v_lshlrev_b32_sdwa v6, v15, v6 dst_sel:DWORD dst_unused:UNUSED_PAD src0_sel:DWORD src1_sel:BYTE_3
	v_sub_u32_e32 v14, 29, v14
	v_and_b32_e32 v6, 7, v6
	v_cmp_eq_u16_e32 vcc, 0, v12
	v_cndmask_b32_e32 v6, v10, v6, vcc
	v_cndmask_b32_e32 v10, v13, v14, vcc
	v_mov_b32_e32 v12, 0x3b800000
	v_lshlrev_b32_e32 v6, 20, v6
	v_lshl_add_u32 v10, v10, 23, v12
	v_or3_b32 v10, v11, v10, v6
.LBB49_668:
	s_or_b64 exec, exec, s[6:7]
	s_movk_i32 s4, 0x7f
	v_cmp_gt_i16_sdwa s[6:7], v2, s4 src0_sel:BYTE_3 src1_sel:DWORD
	s_mov_b64 s[4:5], 0
                                        ; implicit-def: $sgpr10
	s_and_saveexec_b64 s[8:9], s[6:7]
	s_xor_b64 s[6:7], exec, s[8:9]
	s_cbranch_execnz .LBB49_2717
; %bb.669:
	s_or_saveexec_b64 s[6:7], s[6:7]
	v_mov_b32_e32 v6, s10
	s_xor_b64 exec, exec, s[6:7]
	s_cbranch_execnz .LBB49_2720
.LBB49_670:
	s_or_b64 exec, exec, s[6:7]
	s_and_saveexec_b64 s[6:7], s[4:5]
	s_cbranch_execz .LBB49_672
.LBB49_671:
	v_bfe_u32 v6, v2, 24, 3
	v_ffbh_u32_e32 v14, v6
	v_min_u32_e32 v14, 32, v14
	v_lshrrev_b32_e32 v12, 27, v2
	v_subrev_u32_e32 v15, 28, v14
	v_and_b32_e32 v11, 0x80000000, v2
	v_and_b32_e32 v12, 15, v12
	v_bfe_u32 v13, v2, 27, 4
	v_lshlrev_b32_sdwa v2, v15, v2 dst_sel:DWORD dst_unused:UNUSED_PAD src0_sel:DWORD src1_sel:BYTE_3
	v_sub_u32_e32 v14, 29, v14
	v_and_b32_e32 v2, 7, v2
	v_cmp_eq_u16_e32 vcc, 0, v12
	v_cndmask_b32_e32 v2, v6, v2, vcc
	v_cndmask_b32_e32 v6, v13, v14, vcc
	v_mov_b32_e32 v12, 0x3b800000
	v_lshlrev_b32_e32 v2, 20, v2
	v_lshl_add_u32 v6, v6, 23, v12
	v_or3_b32 v6, v11, v6, v2
.LBB49_672:
	s_or_b64 exec, exec, s[6:7]
	s_nop 0
	v_mfma_f32_16x16x4f32 a[0:3], v10, v6, a[0:3]
	s_movk_i32 s4, 0x7f
	v_cmp_gt_i16_sdwa s[6:7], v7, s4 src0_sel:BYTE_0 src1_sel:DWORD
	s_mov_b64 s[4:5], 0
                                        ; implicit-def: $sgpr10
	s_and_saveexec_b64 s[8:9], s[6:7]
	s_xor_b64 s[6:7], exec, s[8:9]
	s_cbranch_execnz .LBB49_2721
; %bb.673:
	s_or_saveexec_b64 s[6:7], s[6:7]
	v_mov_b32_e32 v2, s10
	s_xor_b64 exec, exec, s[6:7]
	s_cbranch_execnz .LBB49_2724
.LBB49_674:
	s_or_b64 exec, exec, s[6:7]
	s_and_saveexec_b64 s[6:7], s[4:5]
	s_cbranch_execz .LBB49_676
.LBB49_675:
	v_and_b32_e32 v2, 7, v7
	v_ffbh_u32_e32 v10, v2
	v_min_u32_e32 v10, 32, v10
	v_lshrrev_b16_e32 v6, 3, v7
	v_subrev_u32_e32 v11, 28, v10
	v_and_b32_e32 v6, 15, v6
	v_lshlrev_b32_e32 v11, v11, v7
	v_sub_u32_e32 v10, 29, v10
	v_and_b32_e32 v11, 7, v11
	v_cmp_eq_u16_e32 vcc, 0, v6
	v_cndmask_b32_e32 v2, v2, v11, vcc
	v_cndmask_b32_e32 v6, v6, v10, vcc
	v_lshlrev_b32_e32 v10, 24, v7
	v_mov_b32_e32 v11, 0x3b800000
	v_lshlrev_b32_e32 v2, 20, v2
	v_and_b32_e32 v10, 0x80000000, v10
	v_lshl_add_u32 v6, v6, 23, v11
	v_or3_b32 v2, v10, v6, v2
.LBB49_676:
	s_or_b64 exec, exec, s[6:7]
	s_movk_i32 s4, 0x7f
	v_cmp_gt_i16_sdwa s[6:7], v3, s4 src0_sel:BYTE_0 src1_sel:DWORD
	s_mov_b64 s[4:5], 0
                                        ; implicit-def: $sgpr10
	s_and_saveexec_b64 s[8:9], s[6:7]
	s_xor_b64 s[6:7], exec, s[8:9]
	s_cbranch_execnz .LBB49_2725
; %bb.677:
	s_or_saveexec_b64 s[6:7], s[6:7]
	v_mov_b32_e32 v6, s10
	s_xor_b64 exec, exec, s[6:7]
	s_cbranch_execnz .LBB49_2728
.LBB49_678:
	s_or_b64 exec, exec, s[6:7]
	s_and_saveexec_b64 s[6:7], s[4:5]
	s_cbranch_execz .LBB49_680
.LBB49_679:
	v_and_b32_e32 v6, 7, v3
	v_ffbh_u32_e32 v11, v6
	v_min_u32_e32 v11, 32, v11
	v_lshrrev_b16_e32 v10, 3, v3
	v_subrev_u32_e32 v12, 28, v11
	v_and_b32_e32 v10, 15, v10
	v_lshlrev_b32_e32 v12, v12, v3
	v_sub_u32_e32 v11, 29, v11
	v_and_b32_e32 v12, 7, v12
	v_cmp_eq_u16_e32 vcc, 0, v10
	v_cndmask_b32_e32 v6, v6, v12, vcc
	v_cndmask_b32_e32 v10, v10, v11, vcc
	v_lshlrev_b32_e32 v11, 24, v3
	v_mov_b32_e32 v12, 0x3b800000
	v_lshlrev_b32_e32 v6, 20, v6
	v_and_b32_e32 v11, 0x80000000, v11
	v_lshl_add_u32 v10, v10, 23, v12
	v_or3_b32 v6, v11, v10, v6
.LBB49_680:
	s_or_b64 exec, exec, s[6:7]
	s_nop 0
	v_mfma_f32_16x16x4f32 a[0:3], v2, v6, a[0:3]
	v_lshrrev_b32_e32 v6, 8, v7
	s_movk_i32 s4, 0x7f
	v_cmp_gt_i16_sdwa s[6:7], v6, s4 src0_sel:BYTE_0 src1_sel:DWORD
	s_mov_b64 s[4:5], 0
                                        ; implicit-def: $sgpr10
	s_and_saveexec_b64 s[8:9], s[6:7]
	s_xor_b64 s[6:7], exec, s[8:9]
	s_cbranch_execnz .LBB49_2729
; %bb.681:
	s_or_saveexec_b64 s[6:7], s[6:7]
	v_mov_b32_e32 v2, s10
	s_xor_b64 exec, exec, s[6:7]
	s_cbranch_execnz .LBB49_2732
.LBB49_682:
	s_or_b64 exec, exec, s[6:7]
	s_and_saveexec_b64 s[6:7], s[4:5]
	s_cbranch_execz .LBB49_684
.LBB49_683:
	v_bfe_u32 v2, v7, 8, 3
	v_ffbh_u32_e32 v11, v2
	v_min_u32_e32 v11, 32, v11
	v_lshrrev_b16_e32 v10, 3, v6
	v_subrev_u32_e32 v12, 28, v11
	v_and_b32_e32 v10, 15, v10
	v_lshlrev_b32_e32 v6, v12, v6
	v_sub_u32_e32 v11, 29, v11
	v_and_b32_e32 v6, 7, v6
	v_cmp_eq_u16_e32 vcc, 0, v10
	v_cndmask_b32_e32 v2, v2, v6, vcc
	v_cndmask_b32_e32 v6, v10, v11, vcc
	v_lshlrev_b32_e32 v10, 16, v7
	v_mov_b32_e32 v11, 0x3b800000
	v_lshlrev_b32_e32 v2, 20, v2
	v_and_b32_e32 v10, 0x80000000, v10
	v_lshl_add_u32 v6, v6, 23, v11
	v_or3_b32 v2, v10, v6, v2
.LBB49_684:
	s_or_b64 exec, exec, s[6:7]
	v_lshrrev_b32_e32 v6, 8, v3
	s_movk_i32 s4, 0x7f
	v_cmp_gt_i16_sdwa s[6:7], v6, s4 src0_sel:BYTE_0 src1_sel:DWORD
	s_mov_b64 s[4:5], 0
                                        ; implicit-def: $sgpr10
	s_and_saveexec_b64 s[8:9], s[6:7]
	s_xor_b64 s[6:7], exec, s[8:9]
	s_cbranch_execnz .LBB49_2733
; %bb.685:
	s_or_saveexec_b64 s[6:7], s[6:7]
	v_mov_b32_e32 v10, s10
	s_xor_b64 exec, exec, s[6:7]
	s_cbranch_execnz .LBB49_2736
.LBB49_686:
	s_or_b64 exec, exec, s[6:7]
	s_and_saveexec_b64 s[6:7], s[4:5]
	s_cbranch_execz .LBB49_688
.LBB49_687:
	v_bfe_u32 v10, v3, 8, 3
	v_ffbh_u32_e32 v12, v10
	v_min_u32_e32 v12, 32, v12
	v_lshrrev_b16_e32 v11, 3, v6
	v_subrev_u32_e32 v13, 28, v12
	v_and_b32_e32 v11, 15, v11
	v_lshlrev_b32_e32 v6, v13, v6
	v_sub_u32_e32 v12, 29, v12
	v_and_b32_e32 v6, 7, v6
	v_cmp_eq_u16_e32 vcc, 0, v11
	v_cndmask_b32_e32 v6, v10, v6, vcc
	v_cndmask_b32_e32 v10, v11, v12, vcc
	v_lshlrev_b32_e32 v11, 16, v3
	v_mov_b32_e32 v12, 0x3b800000
	v_lshlrev_b32_e32 v6, 20, v6
	v_and_b32_e32 v11, 0x80000000, v11
	v_lshl_add_u32 v10, v10, 23, v12
	v_or3_b32 v10, v11, v10, v6
.LBB49_688:
	s_or_b64 exec, exec, s[6:7]
	s_nop 0
	v_mfma_f32_16x16x4f32 a[0:3], v2, v10, a[0:3]
	s_movk_i32 s4, 0xff
	v_and_b32_sdwa v6, v7, s4 dst_sel:DWORD dst_unused:UNUSED_PAD src0_sel:WORD_1 src1_sel:DWORD
	s_movk_i32 s4, 0x7f
	v_cmp_lt_i16_e32 vcc, s4, v6
	s_mov_b64 s[4:5], 0
                                        ; implicit-def: $sgpr10
	s_and_saveexec_b64 s[6:7], vcc
	s_xor_b64 s[6:7], exec, s[6:7]
	s_cbranch_execnz .LBB49_2737
; %bb.689:
	s_or_saveexec_b64 s[6:7], s[6:7]
	v_mov_b32_e32 v2, s10
	s_xor_b64 exec, exec, s[6:7]
	s_cbranch_execnz .LBB49_2740
.LBB49_690:
	s_or_b64 exec, exec, s[6:7]
	s_and_saveexec_b64 s[6:7], s[4:5]
	s_cbranch_execz .LBB49_692
.LBB49_691:
	v_bfe_u32 v2, v7, 16, 3
	v_ffbh_u32_e32 v11, v2
	v_min_u32_e32 v11, 32, v11
	v_lshrrev_b32_e32 v6, 19, v7
	v_subrev_u32_e32 v12, 28, v11
	v_and_b32_e32 v6, 15, v6
	v_lshlrev_b32_sdwa v12, v12, v7 dst_sel:DWORD dst_unused:UNUSED_PAD src0_sel:DWORD src1_sel:WORD_1
	v_bfe_u32 v10, v7, 19, 4
	v_sub_u32_e32 v11, 29, v11
	v_and_b32_e32 v12, 7, v12
	v_cmp_eq_u16_e32 vcc, 0, v6
	v_cndmask_b32_e32 v2, v2, v12, vcc
	v_cndmask_b32_e32 v6, v10, v11, vcc
	v_lshlrev_b32_e32 v10, 8, v7
	v_mov_b32_e32 v11, 0x3b800000
	v_lshlrev_b32_e32 v2, 20, v2
	v_and_b32_e32 v10, 0x80000000, v10
	v_lshl_add_u32 v6, v6, 23, v11
	v_or3_b32 v2, v10, v6, v2
.LBB49_692:
	s_or_b64 exec, exec, s[6:7]
	s_movk_i32 s4, 0xff
	v_and_b32_sdwa v6, v3, s4 dst_sel:DWORD dst_unused:UNUSED_PAD src0_sel:WORD_1 src1_sel:DWORD
	s_movk_i32 s4, 0x7f
	v_cmp_lt_i16_e32 vcc, s4, v6
	s_mov_b64 s[4:5], 0
                                        ; implicit-def: $sgpr10
	s_and_saveexec_b64 s[6:7], vcc
	s_xor_b64 s[6:7], exec, s[6:7]
	s_cbranch_execnz .LBB49_2741
; %bb.693:
	s_or_saveexec_b64 s[6:7], s[6:7]
	v_mov_b32_e32 v10, s10
	s_xor_b64 exec, exec, s[6:7]
	s_cbranch_execnz .LBB49_2744
.LBB49_694:
	s_or_b64 exec, exec, s[6:7]
	s_and_saveexec_b64 s[6:7], s[4:5]
	s_cbranch_execz .LBB49_696
.LBB49_695:
	v_bfe_u32 v6, v3, 16, 3
	v_ffbh_u32_e32 v12, v6
	v_min_u32_e32 v12, 32, v12
	v_lshrrev_b32_e32 v10, 19, v3
	v_subrev_u32_e32 v13, 28, v12
	v_and_b32_e32 v10, 15, v10
	v_lshlrev_b32_sdwa v13, v13, v3 dst_sel:DWORD dst_unused:UNUSED_PAD src0_sel:DWORD src1_sel:WORD_1
	v_bfe_u32 v11, v3, 19, 4
	v_sub_u32_e32 v12, 29, v12
	v_and_b32_e32 v13, 7, v13
	v_cmp_eq_u16_e32 vcc, 0, v10
	v_cndmask_b32_e32 v6, v6, v13, vcc
	v_cndmask_b32_e32 v10, v11, v12, vcc
	v_lshlrev_b32_e32 v11, 8, v3
	v_mov_b32_e32 v12, 0x3b800000
	v_lshlrev_b32_e32 v6, 20, v6
	v_and_b32_e32 v11, 0x80000000, v11
	v_lshl_add_u32 v10, v10, 23, v12
	v_or3_b32 v10, v11, v10, v6
.LBB49_696:
	s_or_b64 exec, exec, s[6:7]
	s_nop 0
	v_mfma_f32_16x16x4f32 a[0:3], v2, v10, a[0:3]
	s_movk_i32 s4, 0x7f
	v_cmp_gt_i16_sdwa s[6:7], v7, s4 src0_sel:BYTE_3 src1_sel:DWORD
	s_mov_b64 s[4:5], 0
                                        ; implicit-def: $sgpr10
	s_and_saveexec_b64 s[8:9], s[6:7]
	s_xor_b64 s[6:7], exec, s[8:9]
	s_cbranch_execnz .LBB49_2745
; %bb.697:
	s_or_saveexec_b64 s[6:7], s[6:7]
	v_mov_b32_e32 v2, s10
	s_xor_b64 exec, exec, s[6:7]
	s_cbranch_execnz .LBB49_2748
.LBB49_698:
	s_or_b64 exec, exec, s[6:7]
	s_and_saveexec_b64 s[6:7], s[4:5]
	s_cbranch_execz .LBB49_700
.LBB49_699:
	v_bfe_u32 v2, v7, 24, 3
	v_ffbh_u32_e32 v12, v2
	v_min_u32_e32 v12, 32, v12
	v_lshrrev_b32_e32 v10, 27, v7
	v_subrev_u32_e32 v13, 28, v12
	v_and_b32_e32 v6, 0x80000000, v7
	v_and_b32_e32 v10, 15, v10
	v_bfe_u32 v11, v7, 27, 4
	v_lshlrev_b32_sdwa v7, v13, v7 dst_sel:DWORD dst_unused:UNUSED_PAD src0_sel:DWORD src1_sel:BYTE_3
	v_sub_u32_e32 v12, 29, v12
	v_and_b32_e32 v7, 7, v7
	v_cmp_eq_u16_e32 vcc, 0, v10
	v_cndmask_b32_e32 v2, v2, v7, vcc
	v_cndmask_b32_e32 v7, v11, v12, vcc
	v_mov_b32_e32 v10, 0x3b800000
	v_lshlrev_b32_e32 v2, 20, v2
	v_lshl_add_u32 v7, v7, 23, v10
	v_or3_b32 v2, v6, v7, v2
.LBB49_700:
	s_or_b64 exec, exec, s[6:7]
	s_movk_i32 s4, 0x7f
	v_cmp_gt_i16_sdwa s[6:7], v3, s4 src0_sel:BYTE_3 src1_sel:DWORD
	s_mov_b64 s[4:5], 0
                                        ; implicit-def: $sgpr10
	s_and_saveexec_b64 s[8:9], s[6:7]
	s_xor_b64 s[6:7], exec, s[8:9]
	s_cbranch_execnz .LBB49_2749
; %bb.701:
	s_or_saveexec_b64 s[6:7], s[6:7]
	v_mov_b32_e32 v6, s10
	s_xor_b64 exec, exec, s[6:7]
	s_cbranch_execnz .LBB49_2752
.LBB49_702:
	s_or_b64 exec, exec, s[6:7]
	s_and_saveexec_b64 s[6:7], s[4:5]
	s_cbranch_execz .LBB49_704
.LBB49_703:
	v_bfe_u32 v6, v3, 24, 3
	v_ffbh_u32_e32 v12, v6
	v_min_u32_e32 v12, 32, v12
	v_lshrrev_b32_e32 v10, 27, v3
	v_subrev_u32_e32 v13, 28, v12
	v_and_b32_e32 v7, 0x80000000, v3
	v_and_b32_e32 v10, 15, v10
	v_bfe_u32 v11, v3, 27, 4
	v_lshlrev_b32_sdwa v3, v13, v3 dst_sel:DWORD dst_unused:UNUSED_PAD src0_sel:DWORD src1_sel:BYTE_3
	v_sub_u32_e32 v12, 29, v12
	v_and_b32_e32 v3, 7, v3
	v_cmp_eq_u16_e32 vcc, 0, v10
	v_cndmask_b32_e32 v3, v6, v3, vcc
	v_cndmask_b32_e32 v6, v11, v12, vcc
	v_mov_b32_e32 v10, 0x3b800000
	v_lshlrev_b32_e32 v3, 20, v3
	v_lshl_add_u32 v6, v6, 23, v10
	v_or3_b32 v6, v7, v6, v3
.LBB49_704:
	s_or_b64 exec, exec, s[6:7]
	s_nop 0
	v_mfma_f32_16x16x4f32 a[0:3], v2, v6, a[0:3]
	s_movk_i32 s4, 0x7f
	v_cmp_gt_i16_sdwa s[6:7], v8, s4 src0_sel:BYTE_0 src1_sel:DWORD
	s_mov_b64 s[4:5], 0
                                        ; implicit-def: $sgpr10
	s_and_saveexec_b64 s[8:9], s[6:7]
	s_xor_b64 s[6:7], exec, s[8:9]
	s_cbranch_execnz .LBB49_2753
; %bb.705:
	s_or_saveexec_b64 s[6:7], s[6:7]
	v_mov_b32_e32 v2, s10
	s_xor_b64 exec, exec, s[6:7]
	s_cbranch_execnz .LBB49_2756
.LBB49_706:
	s_or_b64 exec, exec, s[6:7]
	s_and_saveexec_b64 s[6:7], s[4:5]
	s_cbranch_execz .LBB49_708
.LBB49_707:
	v_and_b32_e32 v2, 7, v8
	v_ffbh_u32_e32 v6, v2
	v_min_u32_e32 v6, 32, v6
	v_lshrrev_b16_e32 v3, 3, v8
	v_subrev_u32_e32 v7, 28, v6
	v_and_b32_e32 v3, 15, v3
	v_lshlrev_b32_e32 v7, v7, v8
	v_sub_u32_e32 v6, 29, v6
	v_and_b32_e32 v7, 7, v7
	v_cmp_eq_u16_e32 vcc, 0, v3
	v_cndmask_b32_e32 v2, v2, v7, vcc
	v_cndmask_b32_e32 v3, v3, v6, vcc
	v_lshlrev_b32_e32 v6, 24, v8
	v_mov_b32_e32 v7, 0x3b800000
	v_lshlrev_b32_e32 v2, 20, v2
	v_and_b32_e32 v6, 0x80000000, v6
	v_lshl_add_u32 v3, v3, 23, v7
	v_or3_b32 v2, v6, v3, v2
.LBB49_708:
	s_or_b64 exec, exec, s[6:7]
	s_movk_i32 s4, 0x7f
	v_cmp_gt_i16_sdwa s[6:7], v4, s4 src0_sel:BYTE_0 src1_sel:DWORD
	s_mov_b64 s[4:5], 0
                                        ; implicit-def: $sgpr10
	s_and_saveexec_b64 s[8:9], s[6:7]
	s_xor_b64 s[6:7], exec, s[8:9]
	s_cbranch_execnz .LBB49_2757
; %bb.709:
	s_or_saveexec_b64 s[6:7], s[6:7]
	v_mov_b32_e32 v3, s10
	s_xor_b64 exec, exec, s[6:7]
	s_cbranch_execnz .LBB49_2760
.LBB49_710:
	s_or_b64 exec, exec, s[6:7]
	s_and_saveexec_b64 s[6:7], s[4:5]
	s_cbranch_execz .LBB49_712
.LBB49_711:
	v_and_b32_e32 v3, 7, v4
	v_ffbh_u32_e32 v7, v3
	v_min_u32_e32 v7, 32, v7
	v_lshrrev_b16_e32 v6, 3, v4
	v_subrev_u32_e32 v10, 28, v7
	v_and_b32_e32 v6, 15, v6
	v_lshlrev_b32_e32 v10, v10, v4
	v_sub_u32_e32 v7, 29, v7
	v_and_b32_e32 v10, 7, v10
	v_cmp_eq_u16_e32 vcc, 0, v6
	v_cndmask_b32_e32 v3, v3, v10, vcc
	v_cndmask_b32_e32 v6, v6, v7, vcc
	v_lshlrev_b32_e32 v7, 24, v4
	v_mov_b32_e32 v10, 0x3b800000
	v_lshlrev_b32_e32 v3, 20, v3
	v_and_b32_e32 v7, 0x80000000, v7
	v_lshl_add_u32 v6, v6, 23, v10
	v_or3_b32 v3, v7, v6, v3
.LBB49_712:
	s_or_b64 exec, exec, s[6:7]
	s_nop 0
	v_mfma_f32_16x16x4f32 a[0:3], v2, v3, a[0:3]
	v_lshrrev_b32_e32 v3, 8, v8
	s_movk_i32 s4, 0x7f
	v_cmp_gt_i16_sdwa s[6:7], v3, s4 src0_sel:BYTE_0 src1_sel:DWORD
	s_mov_b64 s[4:5], 0
                                        ; implicit-def: $sgpr10
	s_and_saveexec_b64 s[8:9], s[6:7]
	s_xor_b64 s[6:7], exec, s[8:9]
	s_cbranch_execnz .LBB49_2761
; %bb.713:
	s_or_saveexec_b64 s[6:7], s[6:7]
	v_mov_b32_e32 v2, s10
	s_xor_b64 exec, exec, s[6:7]
	s_cbranch_execnz .LBB49_2764
.LBB49_714:
	s_or_b64 exec, exec, s[6:7]
	s_and_saveexec_b64 s[6:7], s[4:5]
	s_cbranch_execz .LBB49_716
.LBB49_715:
	v_bfe_u32 v2, v8, 8, 3
	v_ffbh_u32_e32 v7, v2
	v_min_u32_e32 v7, 32, v7
	v_lshrrev_b16_e32 v6, 3, v3
	v_subrev_u32_e32 v10, 28, v7
	v_and_b32_e32 v6, 15, v6
	v_lshlrev_b32_e32 v3, v10, v3
	v_sub_u32_e32 v7, 29, v7
	v_and_b32_e32 v3, 7, v3
	v_cmp_eq_u16_e32 vcc, 0, v6
	v_cndmask_b32_e32 v2, v2, v3, vcc
	v_cndmask_b32_e32 v3, v6, v7, vcc
	v_lshlrev_b32_e32 v6, 16, v8
	v_mov_b32_e32 v7, 0x3b800000
	v_lshlrev_b32_e32 v2, 20, v2
	v_and_b32_e32 v6, 0x80000000, v6
	v_lshl_add_u32 v3, v3, 23, v7
	v_or3_b32 v2, v6, v3, v2
.LBB49_716:
	s_or_b64 exec, exec, s[6:7]
	v_lshrrev_b32_e32 v3, 8, v4
	s_movk_i32 s4, 0x7f
	v_cmp_gt_i16_sdwa s[6:7], v3, s4 src0_sel:BYTE_0 src1_sel:DWORD
	s_mov_b64 s[4:5], 0
                                        ; implicit-def: $sgpr10
	s_and_saveexec_b64 s[8:9], s[6:7]
	s_xor_b64 s[6:7], exec, s[8:9]
	s_cbranch_execnz .LBB49_2765
; %bb.717:
	s_or_saveexec_b64 s[6:7], s[6:7]
	v_mov_b32_e32 v6, s10
	s_xor_b64 exec, exec, s[6:7]
	s_cbranch_execnz .LBB49_2768
.LBB49_718:
	s_or_b64 exec, exec, s[6:7]
	s_and_saveexec_b64 s[6:7], s[4:5]
	s_cbranch_execz .LBB49_720
.LBB49_719:
	v_bfe_u32 v6, v4, 8, 3
	v_ffbh_u32_e32 v10, v6
	v_min_u32_e32 v10, 32, v10
	v_lshrrev_b16_e32 v7, 3, v3
	v_subrev_u32_e32 v11, 28, v10
	v_and_b32_e32 v7, 15, v7
	v_lshlrev_b32_e32 v3, v11, v3
	v_sub_u32_e32 v10, 29, v10
	v_and_b32_e32 v3, 7, v3
	v_cmp_eq_u16_e32 vcc, 0, v7
	v_cndmask_b32_e32 v3, v6, v3, vcc
	v_cndmask_b32_e32 v6, v7, v10, vcc
	v_lshlrev_b32_e32 v7, 16, v4
	v_mov_b32_e32 v10, 0x3b800000
	v_lshlrev_b32_e32 v3, 20, v3
	v_and_b32_e32 v7, 0x80000000, v7
	v_lshl_add_u32 v6, v6, 23, v10
	v_or3_b32 v6, v7, v6, v3
.LBB49_720:
	s_or_b64 exec, exec, s[6:7]
	s_nop 0
	v_mfma_f32_16x16x4f32 a[0:3], v2, v6, a[0:3]
	s_movk_i32 s4, 0xff
	v_and_b32_sdwa v3, v8, s4 dst_sel:DWORD dst_unused:UNUSED_PAD src0_sel:WORD_1 src1_sel:DWORD
	s_movk_i32 s4, 0x7f
	v_cmp_lt_i16_e32 vcc, s4, v3
	s_mov_b64 s[4:5], 0
                                        ; implicit-def: $sgpr10
	s_and_saveexec_b64 s[6:7], vcc
	s_xor_b64 s[6:7], exec, s[6:7]
	s_cbranch_execnz .LBB49_2769
; %bb.721:
	s_or_saveexec_b64 s[6:7], s[6:7]
	v_mov_b32_e32 v2, s10
	s_xor_b64 exec, exec, s[6:7]
	s_cbranch_execnz .LBB49_2772
.LBB49_722:
	s_or_b64 exec, exec, s[6:7]
	s_and_saveexec_b64 s[6:7], s[4:5]
	s_cbranch_execz .LBB49_724
.LBB49_723:
	v_bfe_u32 v2, v8, 16, 3
	v_ffbh_u32_e32 v7, v2
	v_min_u32_e32 v7, 32, v7
	v_lshrrev_b32_e32 v3, 19, v8
	v_subrev_u32_e32 v10, 28, v7
	v_and_b32_e32 v3, 15, v3
	v_lshlrev_b32_sdwa v10, v10, v8 dst_sel:DWORD dst_unused:UNUSED_PAD src0_sel:DWORD src1_sel:WORD_1
	v_bfe_u32 v6, v8, 19, 4
	v_sub_u32_e32 v7, 29, v7
	v_and_b32_e32 v10, 7, v10
	v_cmp_eq_u16_e32 vcc, 0, v3
	v_cndmask_b32_e32 v2, v2, v10, vcc
	v_cndmask_b32_e32 v3, v6, v7, vcc
	v_lshlrev_b32_e32 v6, 8, v8
	v_mov_b32_e32 v7, 0x3b800000
	v_lshlrev_b32_e32 v2, 20, v2
	v_and_b32_e32 v6, 0x80000000, v6
	v_lshl_add_u32 v3, v3, 23, v7
	v_or3_b32 v2, v6, v3, v2
.LBB49_724:
	s_or_b64 exec, exec, s[6:7]
	s_movk_i32 s4, 0xff
	v_and_b32_sdwa v3, v4, s4 dst_sel:DWORD dst_unused:UNUSED_PAD src0_sel:WORD_1 src1_sel:DWORD
	s_movk_i32 s4, 0x7f
	v_cmp_lt_i16_e32 vcc, s4, v3
	s_mov_b64 s[4:5], 0
                                        ; implicit-def: $sgpr10
	s_and_saveexec_b64 s[6:7], vcc
	s_xor_b64 s[6:7], exec, s[6:7]
	s_cbranch_execnz .LBB49_2773
; %bb.725:
	s_or_saveexec_b64 s[6:7], s[6:7]
	v_mov_b32_e32 v6, s10
	s_xor_b64 exec, exec, s[6:7]
	s_cbranch_execnz .LBB49_2776
.LBB49_726:
	s_or_b64 exec, exec, s[6:7]
	s_and_saveexec_b64 s[6:7], s[4:5]
	s_cbranch_execz .LBB49_728
.LBB49_727:
	v_bfe_u32 v3, v4, 16, 3
	v_ffbh_u32_e32 v10, v3
	v_min_u32_e32 v10, 32, v10
	v_lshrrev_b32_e32 v6, 19, v4
	v_subrev_u32_e32 v11, 28, v10
	v_and_b32_e32 v6, 15, v6
	v_lshlrev_b32_sdwa v11, v11, v4 dst_sel:DWORD dst_unused:UNUSED_PAD src0_sel:DWORD src1_sel:WORD_1
	v_bfe_u32 v7, v4, 19, 4
	v_sub_u32_e32 v10, 29, v10
	v_and_b32_e32 v11, 7, v11
	v_cmp_eq_u16_e32 vcc, 0, v6
	v_cndmask_b32_e32 v3, v3, v11, vcc
	v_cndmask_b32_e32 v6, v7, v10, vcc
	v_lshlrev_b32_e32 v7, 8, v4
	v_mov_b32_e32 v10, 0x3b800000
	v_lshlrev_b32_e32 v3, 20, v3
	v_and_b32_e32 v7, 0x80000000, v7
	v_lshl_add_u32 v6, v6, 23, v10
	v_or3_b32 v6, v7, v6, v3
.LBB49_728:
	s_or_b64 exec, exec, s[6:7]
	s_nop 0
	v_mfma_f32_16x16x4f32 a[0:3], v2, v6, a[0:3]
	s_movk_i32 s4, 0x7f
	v_cmp_gt_i16_sdwa s[6:7], v8, s4 src0_sel:BYTE_3 src1_sel:DWORD
	s_mov_b64 s[4:5], 0
                                        ; implicit-def: $sgpr10
	s_and_saveexec_b64 s[8:9], s[6:7]
	s_xor_b64 s[6:7], exec, s[8:9]
	s_cbranch_execnz .LBB49_2777
; %bb.729:
	s_or_saveexec_b64 s[6:7], s[6:7]
	v_mov_b32_e32 v2, s10
	s_xor_b64 exec, exec, s[6:7]
	s_cbranch_execnz .LBB49_2780
.LBB49_730:
	s_or_b64 exec, exec, s[6:7]
	s_and_saveexec_b64 s[6:7], s[4:5]
	s_cbranch_execz .LBB49_732
.LBB49_731:
	v_bfe_u32 v2, v8, 24, 3
	v_ffbh_u32_e32 v10, v2
	v_min_u32_e32 v10, 32, v10
	v_lshrrev_b32_e32 v6, 27, v8
	v_subrev_u32_e32 v11, 28, v10
	v_and_b32_e32 v3, 0x80000000, v8
	v_and_b32_e32 v6, 15, v6
	v_bfe_u32 v7, v8, 27, 4
	v_lshlrev_b32_sdwa v8, v11, v8 dst_sel:DWORD dst_unused:UNUSED_PAD src0_sel:DWORD src1_sel:BYTE_3
	v_sub_u32_e32 v10, 29, v10
	v_and_b32_e32 v8, 7, v8
	v_cmp_eq_u16_e32 vcc, 0, v6
	v_cndmask_b32_e32 v2, v2, v8, vcc
	v_cndmask_b32_e32 v6, v7, v10, vcc
	v_mov_b32_e32 v7, 0x3b800000
	v_lshlrev_b32_e32 v2, 20, v2
	v_lshl_add_u32 v6, v6, 23, v7
	v_or3_b32 v2, v3, v6, v2
.LBB49_732:
	s_or_b64 exec, exec, s[6:7]
	s_movk_i32 s4, 0x7f
	v_cmp_gt_i16_sdwa s[6:7], v4, s4 src0_sel:BYTE_3 src1_sel:DWORD
	s_mov_b64 s[4:5], 0
                                        ; implicit-def: $sgpr10
	s_and_saveexec_b64 s[8:9], s[6:7]
	s_xor_b64 s[6:7], exec, s[8:9]
	s_cbranch_execnz .LBB49_2781
; %bb.733:
	s_or_saveexec_b64 s[6:7], s[6:7]
	v_mov_b32_e32 v3, s10
	s_xor_b64 exec, exec, s[6:7]
	s_cbranch_execnz .LBB49_2784
.LBB49_734:
	s_or_b64 exec, exec, s[6:7]
	s_and_saveexec_b64 s[6:7], s[4:5]
	s_cbranch_execz .LBB49_736
.LBB49_735:
	v_bfe_u32 v3, v4, 24, 3
	v_ffbh_u32_e32 v10, v3
	v_min_u32_e32 v10, 32, v10
	v_lshrrev_b32_e32 v7, 27, v4
	v_subrev_u32_e32 v11, 28, v10
	v_and_b32_e32 v6, 0x80000000, v4
	v_and_b32_e32 v7, 15, v7
	v_bfe_u32 v8, v4, 27, 4
	v_lshlrev_b32_sdwa v4, v11, v4 dst_sel:DWORD dst_unused:UNUSED_PAD src0_sel:DWORD src1_sel:BYTE_3
	v_sub_u32_e32 v10, 29, v10
	v_and_b32_e32 v4, 7, v4
	v_cmp_eq_u16_e32 vcc, 0, v7
	v_cndmask_b32_e32 v3, v3, v4, vcc
	v_cndmask_b32_e32 v4, v8, v10, vcc
	v_mov_b32_e32 v7, 0x3b800000
	v_lshlrev_b32_e32 v3, 20, v3
	v_lshl_add_u32 v4, v4, 23, v7
	v_or3_b32 v3, v6, v4, v3
.LBB49_736:
	s_or_b64 exec, exec, s[6:7]
	s_nop 0
	v_mfma_f32_16x16x4f32 a[0:3], v2, v3, a[0:3]
	s_movk_i32 s4, 0x7f
	v_cmp_gt_i16_sdwa s[6:7], v9, s4 src0_sel:BYTE_0 src1_sel:DWORD
	s_mov_b64 s[4:5], 0
                                        ; implicit-def: $sgpr10
	s_and_saveexec_b64 s[8:9], s[6:7]
	s_xor_b64 s[6:7], exec, s[8:9]
	s_cbranch_execnz .LBB49_2785
; %bb.737:
	s_or_saveexec_b64 s[6:7], s[6:7]
	v_mov_b32_e32 v2, s10
	s_xor_b64 exec, exec, s[6:7]
	s_cbranch_execnz .LBB49_2788
.LBB49_738:
	s_or_b64 exec, exec, s[6:7]
	s_and_saveexec_b64 s[6:7], s[4:5]
	s_cbranch_execz .LBB49_740
.LBB49_739:
	v_mov_b32_e32 v2, 8
	v_and_b32_e32 v3, 7, v9
	v_lshrrev_b32_sdwa v2, v2, v9 dst_sel:BYTE_1 dst_unused:UNUSED_PAD src0_sel:DWORD src1_sel:DWORD
	v_ffbh_u32_e32 v4, v3
	v_or_b32_sdwa v2, v9, v2 dst_sel:DWORD dst_unused:UNUSED_PAD src0_sel:BYTE_0 src1_sel:DWORD
	v_min_u32_e32 v4, 32, v4
	v_lshrrev_b16_e32 v2, 3, v2
	v_subrev_u32_e32 v6, 28, v4
	v_and_b32_e32 v2, 15, v2
	v_lshlrev_b32_e32 v6, v6, v9
	v_sub_u32_e32 v4, 29, v4
	v_and_b32_e32 v6, 7, v6
	v_cmp_eq_u16_e32 vcc, 0, v2
	v_cndmask_b32_e32 v3, v3, v6, vcc
	v_cndmask_b32_e32 v2, v2, v4, vcc
	v_lshlrev_b32_e32 v4, 24, v9
	v_mov_b32_e32 v6, 0x3b800000
	v_lshlrev_b32_e32 v3, 20, v3
	v_and_b32_e32 v4, 0x80000000, v4
	v_lshl_add_u32 v2, v2, 23, v6
	v_or3_b32 v2, v4, v2, v3
.LBB49_740:
	s_or_b64 exec, exec, s[6:7]
	s_movk_i32 s4, 0x7f
	v_cmp_gt_i16_sdwa s[6:7], v5, s4 src0_sel:BYTE_0 src1_sel:DWORD
	s_mov_b64 s[4:5], 0
                                        ; implicit-def: $sgpr10
	s_and_saveexec_b64 s[8:9], s[6:7]
	s_xor_b64 s[6:7], exec, s[8:9]
	s_cbranch_execnz .LBB49_2789
; %bb.741:
	s_or_saveexec_b64 s[6:7], s[6:7]
	v_mov_b32_e32 v3, s10
	s_xor_b64 exec, exec, s[6:7]
	s_cbranch_execnz .LBB49_2792
.LBB49_742:
	s_or_b64 exec, exec, s[6:7]
	s_and_saveexec_b64 s[6:7], s[4:5]
	s_cbranch_execz .LBB49_744
.LBB49_743:
	v_mov_b32_e32 v3, 8
	v_and_b32_e32 v4, 7, v5
	v_lshrrev_b32_sdwa v3, v3, v5 dst_sel:BYTE_1 dst_unused:UNUSED_PAD src0_sel:DWORD src1_sel:DWORD
	v_ffbh_u32_e32 v6, v4
	v_or_b32_sdwa v3, v5, v3 dst_sel:DWORD dst_unused:UNUSED_PAD src0_sel:BYTE_0 src1_sel:DWORD
	v_min_u32_e32 v6, 32, v6
	v_lshrrev_b16_e32 v3, 3, v3
	v_subrev_u32_e32 v7, 28, v6
	v_and_b32_e32 v3, 15, v3
	v_lshlrev_b32_e32 v7, v7, v5
	v_sub_u32_e32 v6, 29, v6
	v_and_b32_e32 v7, 7, v7
	v_cmp_eq_u16_e32 vcc, 0, v3
	v_cndmask_b32_e32 v4, v4, v7, vcc
	v_cndmask_b32_e32 v3, v3, v6, vcc
	v_lshlrev_b32_e32 v6, 24, v5
	v_mov_b32_e32 v7, 0x3b800000
	v_lshlrev_b32_e32 v4, 20, v4
	v_and_b32_e32 v6, 0x80000000, v6
	v_lshl_add_u32 v3, v3, 23, v7
	v_or3_b32 v3, v6, v3, v4
.LBB49_744:
	s_or_b64 exec, exec, s[6:7]
	s_nop 0
	v_mfma_f32_16x16x4f32 a[0:3], v2, v3, a[0:3]
	v_lshrrev_b32_e32 v3, 8, v9
	s_movk_i32 s4, 0x7f
	v_cmp_gt_i16_sdwa s[6:7], v3, s4 src0_sel:BYTE_0 src1_sel:DWORD
	s_mov_b64 s[4:5], 0
                                        ; implicit-def: $sgpr10
	s_and_saveexec_b64 s[8:9], s[6:7]
	s_xor_b64 s[6:7], exec, s[8:9]
	s_cbranch_execnz .LBB49_2793
; %bb.745:
	s_or_saveexec_b64 s[6:7], s[6:7]
	v_mov_b32_e32 v2, s10
	s_xor_b64 exec, exec, s[6:7]
	s_cbranch_execnz .LBB49_2796
.LBB49_746:
	s_or_b64 exec, exec, s[6:7]
	s_and_saveexec_b64 s[6:7], s[4:5]
	s_cbranch_execz .LBB49_748
.LBB49_747:
	v_bfe_u32 v2, v9, 8, 3
	v_ffbh_u32_e32 v6, v2
	v_min_u32_e32 v6, 32, v6
	v_lshrrev_b16_e32 v4, 3, v3
	v_subrev_u32_e32 v7, 28, v6
	v_and_b32_e32 v4, 15, v4
	v_lshlrev_b32_e32 v3, v7, v3
	v_sub_u32_e32 v6, 29, v6
	v_and_b32_e32 v3, 7, v3
	v_cmp_eq_u16_e32 vcc, 0, v4
	v_cndmask_b32_e32 v2, v2, v3, vcc
	v_cndmask_b32_e32 v3, v4, v6, vcc
	v_lshlrev_b32_e32 v4, 16, v9
	v_mov_b32_e32 v6, 0x3b800000
	v_lshlrev_b32_e32 v2, 20, v2
	v_and_b32_e32 v4, 0x80000000, v4
	v_lshl_add_u32 v3, v3, 23, v6
	v_or3_b32 v2, v4, v3, v2
.LBB49_748:
	s_or_b64 exec, exec, s[6:7]
	v_lshrrev_b32_e32 v3, 8, v5
	s_movk_i32 s4, 0x7f
	v_cmp_gt_i16_sdwa s[6:7], v3, s4 src0_sel:BYTE_0 src1_sel:DWORD
	s_mov_b64 s[4:5], 0
                                        ; implicit-def: $sgpr10
	s_and_saveexec_b64 s[8:9], s[6:7]
	s_xor_b64 s[6:7], exec, s[8:9]
	s_cbranch_execnz .LBB49_2797
; %bb.749:
	s_or_saveexec_b64 s[6:7], s[6:7]
	v_mov_b32_e32 v4, s10
	s_xor_b64 exec, exec, s[6:7]
	s_cbranch_execnz .LBB49_2800
.LBB49_750:
	s_or_b64 exec, exec, s[6:7]
	s_and_saveexec_b64 s[6:7], s[4:5]
	s_cbranch_execz .LBB49_752
.LBB49_751:
	v_bfe_u32 v4, v5, 8, 3
	v_ffbh_u32_e32 v7, v4
	v_min_u32_e32 v7, 32, v7
	v_lshrrev_b16_e32 v6, 3, v3
	v_subrev_u32_e32 v8, 28, v7
	v_and_b32_e32 v6, 15, v6
	v_lshlrev_b32_e32 v3, v8, v3
	v_sub_u32_e32 v7, 29, v7
	v_and_b32_e32 v3, 7, v3
	v_cmp_eq_u16_e32 vcc, 0, v6
	v_cndmask_b32_e32 v3, v4, v3, vcc
	v_cndmask_b32_e32 v4, v6, v7, vcc
	v_lshlrev_b32_e32 v6, 16, v5
	v_mov_b32_e32 v7, 0x3b800000
	v_lshlrev_b32_e32 v3, 20, v3
	v_and_b32_e32 v6, 0x80000000, v6
	v_lshl_add_u32 v4, v4, 23, v7
	v_or3_b32 v4, v6, v4, v3
.LBB49_752:
	s_or_b64 exec, exec, s[6:7]
	s_nop 0
	v_mfma_f32_16x16x4f32 a[0:3], v2, v4, a[0:3]
	s_movk_i32 s4, 0xff
	v_and_b32_sdwa v3, v9, s4 dst_sel:DWORD dst_unused:UNUSED_PAD src0_sel:WORD_1 src1_sel:DWORD
	s_movk_i32 s4, 0x7f
	v_cmp_lt_i16_e32 vcc, s4, v3
	s_mov_b64 s[4:5], 0
                                        ; implicit-def: $sgpr10
	s_and_saveexec_b64 s[6:7], vcc
	s_xor_b64 s[6:7], exec, s[6:7]
	s_cbranch_execnz .LBB49_2801
; %bb.753:
	s_or_saveexec_b64 s[6:7], s[6:7]
	v_mov_b32_e32 v2, s10
	s_xor_b64 exec, exec, s[6:7]
	s_cbranch_execnz .LBB49_2804
.LBB49_754:
	s_or_b64 exec, exec, s[6:7]
	s_and_saveexec_b64 s[6:7], s[4:5]
	s_cbranch_execz .LBB49_756
.LBB49_755:
	v_bfe_u32 v2, v9, 16, 3
	v_ffbh_u32_e32 v6, v2
	v_min_u32_e32 v6, 32, v6
	v_lshrrev_b32_e32 v3, 19, v9
	v_subrev_u32_e32 v7, 28, v6
	v_and_b32_e32 v3, 15, v3
	v_lshlrev_b32_sdwa v7, v7, v9 dst_sel:DWORD dst_unused:UNUSED_PAD src0_sel:DWORD src1_sel:WORD_1
	v_bfe_u32 v4, v9, 19, 4
	v_sub_u32_e32 v6, 29, v6
	v_and_b32_e32 v7, 7, v7
	v_cmp_eq_u16_e32 vcc, 0, v3
	v_cndmask_b32_e32 v2, v2, v7, vcc
	v_cndmask_b32_e32 v3, v4, v6, vcc
	v_lshlrev_b32_e32 v4, 8, v9
	v_mov_b32_e32 v6, 0x3b800000
	v_lshlrev_b32_e32 v2, 20, v2
	v_and_b32_e32 v4, 0x80000000, v4
	v_lshl_add_u32 v3, v3, 23, v6
	v_or3_b32 v2, v4, v3, v2
.LBB49_756:
	s_or_b64 exec, exec, s[6:7]
	s_movk_i32 s4, 0xff
	v_and_b32_sdwa v3, v5, s4 dst_sel:DWORD dst_unused:UNUSED_PAD src0_sel:WORD_1 src1_sel:DWORD
	s_movk_i32 s4, 0x7f
	v_cmp_lt_i16_e32 vcc, s4, v3
	s_mov_b64 s[4:5], 0
                                        ; implicit-def: $sgpr10
	s_and_saveexec_b64 s[6:7], vcc
	s_xor_b64 s[6:7], exec, s[6:7]
	s_cbranch_execnz .LBB49_2805
; %bb.757:
	s_or_saveexec_b64 s[6:7], s[6:7]
	v_mov_b32_e32 v4, s10
	s_xor_b64 exec, exec, s[6:7]
	s_cbranch_execnz .LBB49_2808
.LBB49_758:
	s_or_b64 exec, exec, s[6:7]
	s_and_saveexec_b64 s[6:7], s[4:5]
	s_cbranch_execz .LBB49_760
.LBB49_759:
	v_bfe_u32 v3, v5, 16, 3
	v_ffbh_u32_e32 v7, v3
	v_min_u32_e32 v7, 32, v7
	v_lshrrev_b32_e32 v4, 19, v5
	v_subrev_u32_e32 v8, 28, v7
	v_and_b32_e32 v4, 15, v4
	v_lshlrev_b32_sdwa v8, v8, v5 dst_sel:DWORD dst_unused:UNUSED_PAD src0_sel:DWORD src1_sel:WORD_1
	v_bfe_u32 v6, v5, 19, 4
	v_sub_u32_e32 v7, 29, v7
	v_and_b32_e32 v8, 7, v8
	v_cmp_eq_u16_e32 vcc, 0, v4
	v_cndmask_b32_e32 v3, v3, v8, vcc
	v_cndmask_b32_e32 v4, v6, v7, vcc
	v_lshlrev_b32_e32 v6, 8, v5
	v_mov_b32_e32 v7, 0x3b800000
	v_lshlrev_b32_e32 v3, 20, v3
	v_and_b32_e32 v6, 0x80000000, v6
	v_lshl_add_u32 v4, v4, 23, v7
	v_or3_b32 v4, v6, v4, v3
.LBB49_760:
	s_or_b64 exec, exec, s[6:7]
	s_nop 0
	v_mfma_f32_16x16x4f32 a[0:3], v2, v4, a[0:3]
	s_movk_i32 s4, 0x7f
	v_cmp_gt_i16_sdwa s[6:7], v9, s4 src0_sel:BYTE_3 src1_sel:DWORD
	s_mov_b64 s[4:5], 0
                                        ; implicit-def: $sgpr10
	s_and_saveexec_b64 s[8:9], s[6:7]
	s_xor_b64 s[6:7], exec, s[8:9]
	s_cbranch_execnz .LBB49_2809
; %bb.761:
	s_or_saveexec_b64 s[6:7], s[6:7]
	v_mov_b32_e32 v2, s10
	s_xor_b64 exec, exec, s[6:7]
	s_cbranch_execnz .LBB49_2812
.LBB49_762:
	s_or_b64 exec, exec, s[6:7]
	s_and_saveexec_b64 s[6:7], s[4:5]
	s_cbranch_execz .LBB49_764
.LBB49_763:
	v_bfe_u32 v2, v9, 24, 3
	v_ffbh_u32_e32 v7, v2
	v_min_u32_e32 v7, 32, v7
	v_lshrrev_b32_e32 v4, 27, v9
	v_subrev_u32_e32 v8, 28, v7
	v_and_b32_e32 v4, 15, v4
	v_lshlrev_b32_sdwa v8, v8, v9 dst_sel:DWORD dst_unused:UNUSED_PAD src0_sel:DWORD src1_sel:BYTE_3
	v_bfe_u32 v6, v9, 27, 4
	v_sub_u32_e32 v7, 29, v7
	v_and_b32_e32 v8, 7, v8
	v_cmp_eq_u16_e32 vcc, 0, v4
	v_cndmask_b32_e32 v2, v2, v8, vcc
	v_cndmask_b32_e32 v4, v6, v7, vcc
	v_mov_b32_e32 v6, 0x3b800000
	v_and_b32_e32 v3, 0x80000000, v9
	v_lshlrev_b32_e32 v2, 20, v2
	v_lshl_add_u32 v4, v4, 23, v6
	v_or3_b32 v2, v3, v4, v2
.LBB49_764:
	s_or_b64 exec, exec, s[6:7]
	s_movk_i32 s4, 0x7f
	v_cmp_gt_i16_sdwa s[6:7], v5, s4 src0_sel:BYTE_3 src1_sel:DWORD
	s_mov_b64 s[4:5], 0
                                        ; implicit-def: $sgpr10
	s_and_saveexec_b64 s[8:9], s[6:7]
	s_xor_b64 s[6:7], exec, s[8:9]
	s_cbranch_execnz .LBB49_2813
; %bb.765:
	s_or_saveexec_b64 s[6:7], s[6:7]
	v_mov_b32_e32 v3, s10
	s_xor_b64 exec, exec, s[6:7]
	s_cbranch_execnz .LBB49_2816
.LBB49_766:
	s_or_b64 exec, exec, s[6:7]
	s_and_saveexec_b64 s[6:7], s[4:5]
	s_cbranch_execz .LBB49_768
.LBB49_767:
	v_bfe_u32 v3, v5, 24, 3
	v_ffbh_u32_e32 v8, v3
	v_min_u32_e32 v8, 32, v8
	v_lshrrev_b32_e32 v6, 27, v5
	v_subrev_u32_e32 v9, 28, v8
	v_and_b32_e32 v4, 0x80000000, v5
	v_and_b32_e32 v6, 15, v6
	v_bfe_u32 v7, v5, 27, 4
	v_lshlrev_b32_sdwa v5, v9, v5 dst_sel:DWORD dst_unused:UNUSED_PAD src0_sel:DWORD src1_sel:BYTE_3
	v_sub_u32_e32 v8, 29, v8
	v_and_b32_e32 v5, 7, v5
	v_cmp_eq_u16_e32 vcc, 0, v6
	v_cndmask_b32_e32 v3, v3, v5, vcc
	v_cndmask_b32_e32 v5, v7, v8, vcc
	v_mov_b32_e32 v6, 0x3b800000
	v_lshlrev_b32_e32 v3, 20, v3
	v_lshl_add_u32 v5, v5, 23, v6
	v_or3_b32 v3, v4, v5, v3
.LBB49_768:
	s_or_b64 exec, exec, s[6:7]
	s_nop 0
	v_mfma_f32_16x16x4f32 a[0:3], v2, v3, a[0:3]
	s_movk_i32 s4, 0x7f
                                        ; implicit-def: $sgpr10
	s_nop 7
	s_nop 1
	flat_store_dwordx4 v[18:19], a[0:3] offset:672
	flat_load_dwordx4 v[20:23], v[0:1] offset:8
	s_nop 0
	flat_load_dwordx2 v[18:19], v[0:1] offset:24
	s_waitcnt vmcnt(0) lgkmcnt(0)
	flat_load_dwordx4 v[14:17], v[20:21] offset:32
	flat_load_dwordx4 v[6:9], v[20:21] offset:48
	;; [unrolled: 1-line block ×4, first 2 shown]
	s_waitcnt vmcnt(0) lgkmcnt(0)
	v_cmp_gt_i16_sdwa s[6:7], v14, s4 src0_sel:BYTE_0 src1_sel:DWORD
	s_mov_b64 s[4:5], 0
	s_and_saveexec_b64 s[8:9], s[6:7]
	s_xor_b64 s[6:7], exec, s[8:9]
	s_cbranch_execnz .LBB49_2817
; %bb.769:
	s_or_saveexec_b64 s[6:7], s[6:7]
	v_mov_b32_e32 v20, s10
	s_xor_b64 exec, exec, s[6:7]
	s_cbranch_execnz .LBB49_2820
.LBB49_770:
	s_or_b64 exec, exec, s[6:7]
	s_and_saveexec_b64 s[6:7], s[4:5]
	s_cbranch_execz .LBB49_772
.LBB49_771:
	v_and_b32_e32 v20, 7, v14
	v_ffbh_u32_e32 v22, v20
	v_min_u32_e32 v22, 32, v22
	v_lshrrev_b16_e32 v21, 3, v14
	v_subrev_u32_e32 v23, 28, v22
	v_and_b32_e32 v21, 15, v21
	v_lshlrev_b32_e32 v23, v23, v14
	v_sub_u32_e32 v22, 29, v22
	v_and_b32_e32 v23, 7, v23
	v_cmp_eq_u16_e32 vcc, 0, v21
	v_cndmask_b32_e32 v20, v20, v23, vcc
	v_cndmask_b32_e32 v21, v21, v22, vcc
	v_lshlrev_b32_e32 v22, 24, v14
	v_mov_b32_e32 v23, 0x3b800000
	v_lshlrev_b32_e32 v20, 20, v20
	v_and_b32_e32 v22, 0x80000000, v22
	v_lshl_add_u32 v21, v21, 23, v23
	v_or3_b32 v20, v22, v21, v20
.LBB49_772:
	s_or_b64 exec, exec, s[6:7]
	s_movk_i32 s4, 0x7f
	v_cmp_gt_i16_sdwa s[6:7], v10, s4 src0_sel:BYTE_0 src1_sel:DWORD
	s_mov_b64 s[4:5], 0
                                        ; implicit-def: $sgpr10
	s_and_saveexec_b64 s[8:9], s[6:7]
	s_xor_b64 s[6:7], exec, s[8:9]
	s_cbranch_execnz .LBB49_2821
; %bb.773:
	s_or_saveexec_b64 s[6:7], s[6:7]
	v_mov_b32_e32 v21, s10
	s_xor_b64 exec, exec, s[6:7]
	s_cbranch_execnz .LBB49_2824
.LBB49_774:
	s_or_b64 exec, exec, s[6:7]
	s_and_saveexec_b64 s[6:7], s[4:5]
	s_cbranch_execz .LBB49_776
.LBB49_775:
	v_and_b32_e32 v21, 7, v10
	v_ffbh_u32_e32 v23, v21
	v_min_u32_e32 v23, 32, v23
	v_lshrrev_b16_e32 v22, 3, v10
	v_subrev_u32_e32 v24, 28, v23
	v_and_b32_e32 v22, 15, v22
	v_lshlrev_b32_e32 v24, v24, v10
	v_sub_u32_e32 v23, 29, v23
	v_and_b32_e32 v24, 7, v24
	v_cmp_eq_u16_e32 vcc, 0, v22
	v_cndmask_b32_e32 v21, v21, v24, vcc
	v_cndmask_b32_e32 v22, v22, v23, vcc
	v_lshlrev_b32_e32 v23, 24, v10
	v_mov_b32_e32 v24, 0x3b800000
	v_lshlrev_b32_e32 v21, 20, v21
	v_and_b32_e32 v23, 0x80000000, v23
	v_lshl_add_u32 v22, v22, 23, v24
	v_or3_b32 v21, v23, v22, v21
.LBB49_776:
	s_or_b64 exec, exec, s[6:7]
	flat_load_dwordx4 a[0:3], v[18:19] offset:688
	s_movk_i32 s4, 0x7f
                                        ; implicit-def: $sgpr10
	s_waitcnt vmcnt(0) lgkmcnt(0)
	v_mfma_f32_16x16x4f32 a[0:3], v20, v21, a[0:3]
	v_lshrrev_b32_e32 v21, 8, v14
	v_cmp_gt_i16_sdwa s[6:7], v21, s4 src0_sel:BYTE_0 src1_sel:DWORD
	s_mov_b64 s[4:5], 0
	s_and_saveexec_b64 s[8:9], s[6:7]
	s_xor_b64 s[6:7], exec, s[8:9]
	s_cbranch_execnz .LBB49_2825
; %bb.777:
	s_or_saveexec_b64 s[6:7], s[6:7]
	v_mov_b32_e32 v20, s10
	s_xor_b64 exec, exec, s[6:7]
	s_cbranch_execnz .LBB49_2828
.LBB49_778:
	s_or_b64 exec, exec, s[6:7]
	s_and_saveexec_b64 s[6:7], s[4:5]
	s_cbranch_execz .LBB49_780
.LBB49_779:
	v_bfe_u32 v20, v14, 8, 3
	v_ffbh_u32_e32 v23, v20
	v_min_u32_e32 v23, 32, v23
	v_lshrrev_b16_e32 v22, 3, v21
	v_subrev_u32_e32 v24, 28, v23
	v_and_b32_e32 v22, 15, v22
	v_lshlrev_b32_e32 v21, v24, v21
	v_sub_u32_e32 v23, 29, v23
	v_and_b32_e32 v21, 7, v21
	v_cmp_eq_u16_e32 vcc, 0, v22
	v_cndmask_b32_e32 v20, v20, v21, vcc
	v_cndmask_b32_e32 v21, v22, v23, vcc
	v_lshlrev_b32_e32 v22, 16, v14
	v_mov_b32_e32 v23, 0x3b800000
	v_lshlrev_b32_e32 v20, 20, v20
	v_and_b32_e32 v22, 0x80000000, v22
	v_lshl_add_u32 v21, v21, 23, v23
	v_or3_b32 v20, v22, v21, v20
.LBB49_780:
	s_or_b64 exec, exec, s[6:7]
	v_lshrrev_b32_e32 v21, 8, v10
	s_movk_i32 s4, 0x7f
	v_cmp_gt_i16_sdwa s[6:7], v21, s4 src0_sel:BYTE_0 src1_sel:DWORD
	s_mov_b64 s[4:5], 0
                                        ; implicit-def: $sgpr10
	s_and_saveexec_b64 s[8:9], s[6:7]
	s_xor_b64 s[6:7], exec, s[8:9]
	s_cbranch_execnz .LBB49_2829
; %bb.781:
	s_or_saveexec_b64 s[6:7], s[6:7]
	v_mov_b32_e32 v22, s10
	s_xor_b64 exec, exec, s[6:7]
	s_cbranch_execnz .LBB49_2832
.LBB49_782:
	s_or_b64 exec, exec, s[6:7]
	s_and_saveexec_b64 s[6:7], s[4:5]
	s_cbranch_execz .LBB49_784
.LBB49_783:
	v_bfe_u32 v22, v10, 8, 3
	v_ffbh_u32_e32 v24, v22
	v_min_u32_e32 v24, 32, v24
	v_lshrrev_b16_e32 v23, 3, v21
	v_subrev_u32_e32 v25, 28, v24
	v_and_b32_e32 v23, 15, v23
	v_lshlrev_b32_e32 v21, v25, v21
	v_sub_u32_e32 v24, 29, v24
	v_and_b32_e32 v21, 7, v21
	v_cmp_eq_u16_e32 vcc, 0, v23
	v_cndmask_b32_e32 v21, v22, v21, vcc
	v_cndmask_b32_e32 v22, v23, v24, vcc
	v_lshlrev_b32_e32 v23, 16, v10
	v_mov_b32_e32 v24, 0x3b800000
	v_lshlrev_b32_e32 v21, 20, v21
	v_and_b32_e32 v23, 0x80000000, v23
	v_lshl_add_u32 v22, v22, 23, v24
	v_or3_b32 v22, v23, v22, v21
.LBB49_784:
	s_or_b64 exec, exec, s[6:7]
	s_nop 0
	v_mfma_f32_16x16x4f32 a[0:3], v20, v22, a[0:3]
	s_movk_i32 s4, 0xff
	v_and_b32_sdwa v21, v14, s4 dst_sel:DWORD dst_unused:UNUSED_PAD src0_sel:WORD_1 src1_sel:DWORD
	s_movk_i32 s4, 0x7f
	v_cmp_lt_i16_e32 vcc, s4, v21
	s_mov_b64 s[4:5], 0
                                        ; implicit-def: $sgpr10
	s_and_saveexec_b64 s[6:7], vcc
	s_xor_b64 s[6:7], exec, s[6:7]
	s_cbranch_execnz .LBB49_2833
; %bb.785:
	s_or_saveexec_b64 s[6:7], s[6:7]
	v_mov_b32_e32 v20, s10
	s_xor_b64 exec, exec, s[6:7]
	s_cbranch_execnz .LBB49_2836
.LBB49_786:
	s_or_b64 exec, exec, s[6:7]
	s_and_saveexec_b64 s[6:7], s[4:5]
	s_cbranch_execz .LBB49_788
.LBB49_787:
	v_bfe_u32 v20, v14, 16, 3
	v_ffbh_u32_e32 v23, v20
	v_min_u32_e32 v23, 32, v23
	v_lshrrev_b32_e32 v21, 19, v14
	v_subrev_u32_e32 v24, 28, v23
	v_and_b32_e32 v21, 15, v21
	v_lshlrev_b32_sdwa v24, v24, v14 dst_sel:DWORD dst_unused:UNUSED_PAD src0_sel:DWORD src1_sel:WORD_1
	v_bfe_u32 v22, v14, 19, 4
	v_sub_u32_e32 v23, 29, v23
	v_and_b32_e32 v24, 7, v24
	v_cmp_eq_u16_e32 vcc, 0, v21
	v_cndmask_b32_e32 v20, v20, v24, vcc
	v_cndmask_b32_e32 v21, v22, v23, vcc
	v_lshlrev_b32_e32 v22, 8, v14
	v_mov_b32_e32 v23, 0x3b800000
	v_lshlrev_b32_e32 v20, 20, v20
	v_and_b32_e32 v22, 0x80000000, v22
	v_lshl_add_u32 v21, v21, 23, v23
	v_or3_b32 v20, v22, v21, v20
.LBB49_788:
	s_or_b64 exec, exec, s[6:7]
	s_movk_i32 s4, 0xff
	v_and_b32_sdwa v21, v10, s4 dst_sel:DWORD dst_unused:UNUSED_PAD src0_sel:WORD_1 src1_sel:DWORD
	s_movk_i32 s4, 0x7f
	v_cmp_lt_i16_e32 vcc, s4, v21
	s_mov_b64 s[4:5], 0
                                        ; implicit-def: $sgpr10
	s_and_saveexec_b64 s[6:7], vcc
	s_xor_b64 s[6:7], exec, s[6:7]
	s_cbranch_execnz .LBB49_2837
; %bb.789:
	s_or_saveexec_b64 s[6:7], s[6:7]
	v_mov_b32_e32 v22, s10
	s_xor_b64 exec, exec, s[6:7]
	s_cbranch_execnz .LBB49_2840
.LBB49_790:
	s_or_b64 exec, exec, s[6:7]
	s_and_saveexec_b64 s[6:7], s[4:5]
	s_cbranch_execz .LBB49_792
.LBB49_791:
	v_bfe_u32 v21, v10, 16, 3
	v_ffbh_u32_e32 v24, v21
	v_min_u32_e32 v24, 32, v24
	v_lshrrev_b32_e32 v22, 19, v10
	v_subrev_u32_e32 v25, 28, v24
	v_and_b32_e32 v22, 15, v22
	v_lshlrev_b32_sdwa v25, v25, v10 dst_sel:DWORD dst_unused:UNUSED_PAD src0_sel:DWORD src1_sel:WORD_1
	v_bfe_u32 v23, v10, 19, 4
	v_sub_u32_e32 v24, 29, v24
	v_and_b32_e32 v25, 7, v25
	v_cmp_eq_u16_e32 vcc, 0, v22
	v_cndmask_b32_e32 v21, v21, v25, vcc
	v_cndmask_b32_e32 v22, v23, v24, vcc
	v_lshlrev_b32_e32 v23, 8, v10
	v_mov_b32_e32 v24, 0x3b800000
	v_lshlrev_b32_e32 v21, 20, v21
	v_and_b32_e32 v23, 0x80000000, v23
	v_lshl_add_u32 v22, v22, 23, v24
	v_or3_b32 v22, v23, v22, v21
.LBB49_792:
	s_or_b64 exec, exec, s[6:7]
	s_nop 0
	v_mfma_f32_16x16x4f32 a[0:3], v20, v22, a[0:3]
	s_movk_i32 s4, 0x7f
	v_cmp_gt_i16_sdwa s[6:7], v14, s4 src0_sel:BYTE_3 src1_sel:DWORD
	s_mov_b64 s[4:5], 0
                                        ; implicit-def: $sgpr10
	s_and_saveexec_b64 s[8:9], s[6:7]
	s_xor_b64 s[6:7], exec, s[8:9]
	s_cbranch_execnz .LBB49_2841
; %bb.793:
	s_or_saveexec_b64 s[6:7], s[6:7]
	v_mov_b32_e32 v20, s10
	s_xor_b64 exec, exec, s[6:7]
	s_cbranch_execnz .LBB49_2844
.LBB49_794:
	s_or_b64 exec, exec, s[6:7]
	s_and_saveexec_b64 s[6:7], s[4:5]
	s_cbranch_execz .LBB49_796
.LBB49_795:
	v_bfe_u32 v20, v14, 24, 3
	v_ffbh_u32_e32 v24, v20
	v_min_u32_e32 v24, 32, v24
	v_lshrrev_b32_e32 v22, 27, v14
	v_subrev_u32_e32 v25, 28, v24
	v_and_b32_e32 v21, 0x80000000, v14
	v_and_b32_e32 v22, 15, v22
	v_bfe_u32 v23, v14, 27, 4
	v_lshlrev_b32_sdwa v14, v25, v14 dst_sel:DWORD dst_unused:UNUSED_PAD src0_sel:DWORD src1_sel:BYTE_3
	v_sub_u32_e32 v24, 29, v24
	v_and_b32_e32 v14, 7, v14
	v_cmp_eq_u16_e32 vcc, 0, v22
	v_cndmask_b32_e32 v14, v20, v14, vcc
	v_cndmask_b32_e32 v20, v23, v24, vcc
	v_mov_b32_e32 v22, 0x3b800000
	v_lshlrev_b32_e32 v14, 20, v14
	v_lshl_add_u32 v20, v20, 23, v22
	v_or3_b32 v20, v21, v20, v14
.LBB49_796:
	s_or_b64 exec, exec, s[6:7]
	s_movk_i32 s4, 0x7f
	v_cmp_gt_i16_sdwa s[6:7], v10, s4 src0_sel:BYTE_3 src1_sel:DWORD
	s_mov_b64 s[4:5], 0
                                        ; implicit-def: $sgpr10
	s_and_saveexec_b64 s[8:9], s[6:7]
	s_xor_b64 s[6:7], exec, s[8:9]
	s_cbranch_execnz .LBB49_2845
; %bb.797:
	s_or_saveexec_b64 s[6:7], s[6:7]
	v_mov_b32_e32 v14, s10
	s_xor_b64 exec, exec, s[6:7]
	s_cbranch_execnz .LBB49_2848
.LBB49_798:
	s_or_b64 exec, exec, s[6:7]
	s_and_saveexec_b64 s[6:7], s[4:5]
	s_cbranch_execz .LBB49_800
.LBB49_799:
	v_bfe_u32 v14, v10, 24, 3
	v_ffbh_u32_e32 v24, v14
	v_min_u32_e32 v24, 32, v24
	v_lshrrev_b32_e32 v22, 27, v10
	v_subrev_u32_e32 v25, 28, v24
	v_and_b32_e32 v21, 0x80000000, v10
	v_and_b32_e32 v22, 15, v22
	v_bfe_u32 v23, v10, 27, 4
	v_lshlrev_b32_sdwa v10, v25, v10 dst_sel:DWORD dst_unused:UNUSED_PAD src0_sel:DWORD src1_sel:BYTE_3
	v_sub_u32_e32 v24, 29, v24
	v_and_b32_e32 v10, 7, v10
	v_cmp_eq_u16_e32 vcc, 0, v22
	v_cndmask_b32_e32 v10, v14, v10, vcc
	v_cndmask_b32_e32 v14, v23, v24, vcc
	v_mov_b32_e32 v22, 0x3b800000
	v_lshlrev_b32_e32 v10, 20, v10
	v_lshl_add_u32 v14, v14, 23, v22
	v_or3_b32 v14, v21, v14, v10
.LBB49_800:
	s_or_b64 exec, exec, s[6:7]
	s_nop 0
	v_mfma_f32_16x16x4f32 a[0:3], v20, v14, a[0:3]
	s_movk_i32 s4, 0x7f
	v_cmp_gt_i16_sdwa s[6:7], v15, s4 src0_sel:BYTE_0 src1_sel:DWORD
	s_mov_b64 s[4:5], 0
                                        ; implicit-def: $sgpr10
	s_and_saveexec_b64 s[8:9], s[6:7]
	s_xor_b64 s[6:7], exec, s[8:9]
	s_cbranch_execnz .LBB49_2849
; %bb.801:
	s_or_saveexec_b64 s[6:7], s[6:7]
	v_mov_b32_e32 v10, s10
	s_xor_b64 exec, exec, s[6:7]
	s_cbranch_execnz .LBB49_2852
.LBB49_802:
	s_or_b64 exec, exec, s[6:7]
	s_and_saveexec_b64 s[6:7], s[4:5]
	s_cbranch_execz .LBB49_804
.LBB49_803:
	v_and_b32_e32 v10, 7, v15
	v_ffbh_u32_e32 v20, v10
	v_min_u32_e32 v20, 32, v20
	v_lshrrev_b16_e32 v14, 3, v15
	v_subrev_u32_e32 v21, 28, v20
	v_and_b32_e32 v14, 15, v14
	v_lshlrev_b32_e32 v21, v21, v15
	v_sub_u32_e32 v20, 29, v20
	v_and_b32_e32 v21, 7, v21
	v_cmp_eq_u16_e32 vcc, 0, v14
	v_cndmask_b32_e32 v10, v10, v21, vcc
	v_cndmask_b32_e32 v14, v14, v20, vcc
	v_lshlrev_b32_e32 v20, 24, v15
	v_mov_b32_e32 v21, 0x3b800000
	v_lshlrev_b32_e32 v10, 20, v10
	v_and_b32_e32 v20, 0x80000000, v20
	v_lshl_add_u32 v14, v14, 23, v21
	v_or3_b32 v10, v20, v14, v10
.LBB49_804:
	s_or_b64 exec, exec, s[6:7]
	s_movk_i32 s4, 0x7f
	v_cmp_gt_i16_sdwa s[6:7], v11, s4 src0_sel:BYTE_0 src1_sel:DWORD
	s_mov_b64 s[4:5], 0
                                        ; implicit-def: $sgpr10
	s_and_saveexec_b64 s[8:9], s[6:7]
	s_xor_b64 s[6:7], exec, s[8:9]
	s_cbranch_execnz .LBB49_2853
; %bb.805:
	s_or_saveexec_b64 s[6:7], s[6:7]
	v_mov_b32_e32 v14, s10
	s_xor_b64 exec, exec, s[6:7]
	s_cbranch_execnz .LBB49_2856
.LBB49_806:
	s_or_b64 exec, exec, s[6:7]
	s_and_saveexec_b64 s[6:7], s[4:5]
	s_cbranch_execz .LBB49_808
.LBB49_807:
	v_and_b32_e32 v14, 7, v11
	v_ffbh_u32_e32 v21, v14
	v_min_u32_e32 v21, 32, v21
	v_lshrrev_b16_e32 v20, 3, v11
	v_subrev_u32_e32 v22, 28, v21
	v_and_b32_e32 v20, 15, v20
	v_lshlrev_b32_e32 v22, v22, v11
	v_sub_u32_e32 v21, 29, v21
	v_and_b32_e32 v22, 7, v22
	v_cmp_eq_u16_e32 vcc, 0, v20
	v_cndmask_b32_e32 v14, v14, v22, vcc
	v_cndmask_b32_e32 v20, v20, v21, vcc
	v_lshlrev_b32_e32 v21, 24, v11
	v_mov_b32_e32 v22, 0x3b800000
	v_lshlrev_b32_e32 v14, 20, v14
	v_and_b32_e32 v21, 0x80000000, v21
	v_lshl_add_u32 v20, v20, 23, v22
	v_or3_b32 v14, v21, v20, v14
.LBB49_808:
	s_or_b64 exec, exec, s[6:7]
	s_nop 0
	v_mfma_f32_16x16x4f32 a[0:3], v10, v14, a[0:3]
	v_lshrrev_b32_e32 v14, 8, v15
	s_movk_i32 s4, 0x7f
	v_cmp_gt_i16_sdwa s[6:7], v14, s4 src0_sel:BYTE_0 src1_sel:DWORD
	s_mov_b64 s[4:5], 0
                                        ; implicit-def: $sgpr10
	s_and_saveexec_b64 s[8:9], s[6:7]
	s_xor_b64 s[6:7], exec, s[8:9]
	s_cbranch_execnz .LBB49_2857
; %bb.809:
	s_or_saveexec_b64 s[6:7], s[6:7]
	v_mov_b32_e32 v10, s10
	s_xor_b64 exec, exec, s[6:7]
	s_cbranch_execnz .LBB49_2860
.LBB49_810:
	s_or_b64 exec, exec, s[6:7]
	s_and_saveexec_b64 s[6:7], s[4:5]
	s_cbranch_execz .LBB49_812
.LBB49_811:
	v_bfe_u32 v10, v15, 8, 3
	v_ffbh_u32_e32 v21, v10
	v_min_u32_e32 v21, 32, v21
	v_lshrrev_b16_e32 v20, 3, v14
	v_subrev_u32_e32 v22, 28, v21
	v_and_b32_e32 v20, 15, v20
	v_lshlrev_b32_e32 v14, v22, v14
	v_sub_u32_e32 v21, 29, v21
	v_and_b32_e32 v14, 7, v14
	v_cmp_eq_u16_e32 vcc, 0, v20
	v_cndmask_b32_e32 v10, v10, v14, vcc
	v_cndmask_b32_e32 v14, v20, v21, vcc
	v_lshlrev_b32_e32 v20, 16, v15
	v_mov_b32_e32 v21, 0x3b800000
	v_lshlrev_b32_e32 v10, 20, v10
	v_and_b32_e32 v20, 0x80000000, v20
	v_lshl_add_u32 v14, v14, 23, v21
	v_or3_b32 v10, v20, v14, v10
.LBB49_812:
	s_or_b64 exec, exec, s[6:7]
	v_lshrrev_b32_e32 v14, 8, v11
	s_movk_i32 s4, 0x7f
	v_cmp_gt_i16_sdwa s[6:7], v14, s4 src0_sel:BYTE_0 src1_sel:DWORD
	s_mov_b64 s[4:5], 0
                                        ; implicit-def: $sgpr10
	s_and_saveexec_b64 s[8:9], s[6:7]
	s_xor_b64 s[6:7], exec, s[8:9]
	s_cbranch_execnz .LBB49_2861
; %bb.813:
	s_or_saveexec_b64 s[6:7], s[6:7]
	v_mov_b32_e32 v20, s10
	s_xor_b64 exec, exec, s[6:7]
	s_cbranch_execnz .LBB49_2864
.LBB49_814:
	s_or_b64 exec, exec, s[6:7]
	s_and_saveexec_b64 s[6:7], s[4:5]
	s_cbranch_execz .LBB49_816
.LBB49_815:
	v_bfe_u32 v20, v11, 8, 3
	v_ffbh_u32_e32 v22, v20
	v_min_u32_e32 v22, 32, v22
	v_lshrrev_b16_e32 v21, 3, v14
	v_subrev_u32_e32 v23, 28, v22
	v_and_b32_e32 v21, 15, v21
	v_lshlrev_b32_e32 v14, v23, v14
	v_sub_u32_e32 v22, 29, v22
	v_and_b32_e32 v14, 7, v14
	v_cmp_eq_u16_e32 vcc, 0, v21
	v_cndmask_b32_e32 v14, v20, v14, vcc
	v_cndmask_b32_e32 v20, v21, v22, vcc
	v_lshlrev_b32_e32 v21, 16, v11
	v_mov_b32_e32 v22, 0x3b800000
	v_lshlrev_b32_e32 v14, 20, v14
	v_and_b32_e32 v21, 0x80000000, v21
	v_lshl_add_u32 v20, v20, 23, v22
	v_or3_b32 v20, v21, v20, v14
.LBB49_816:
	s_or_b64 exec, exec, s[6:7]
	s_nop 0
	v_mfma_f32_16x16x4f32 a[0:3], v10, v20, a[0:3]
	s_movk_i32 s4, 0xff
	v_and_b32_sdwa v14, v15, s4 dst_sel:DWORD dst_unused:UNUSED_PAD src0_sel:WORD_1 src1_sel:DWORD
	s_movk_i32 s4, 0x7f
	v_cmp_lt_i16_e32 vcc, s4, v14
	s_mov_b64 s[4:5], 0
                                        ; implicit-def: $sgpr10
	s_and_saveexec_b64 s[6:7], vcc
	s_xor_b64 s[6:7], exec, s[6:7]
	s_cbranch_execnz .LBB49_2865
; %bb.817:
	s_or_saveexec_b64 s[6:7], s[6:7]
	v_mov_b32_e32 v10, s10
	s_xor_b64 exec, exec, s[6:7]
	s_cbranch_execnz .LBB49_2868
.LBB49_818:
	s_or_b64 exec, exec, s[6:7]
	s_and_saveexec_b64 s[6:7], s[4:5]
	s_cbranch_execz .LBB49_820
.LBB49_819:
	v_bfe_u32 v10, v15, 16, 3
	v_ffbh_u32_e32 v21, v10
	v_min_u32_e32 v21, 32, v21
	v_lshrrev_b32_e32 v14, 19, v15
	v_subrev_u32_e32 v22, 28, v21
	v_and_b32_e32 v14, 15, v14
	v_lshlrev_b32_sdwa v22, v22, v15 dst_sel:DWORD dst_unused:UNUSED_PAD src0_sel:DWORD src1_sel:WORD_1
	v_bfe_u32 v20, v15, 19, 4
	v_sub_u32_e32 v21, 29, v21
	v_and_b32_e32 v22, 7, v22
	v_cmp_eq_u16_e32 vcc, 0, v14
	v_cndmask_b32_e32 v10, v10, v22, vcc
	v_cndmask_b32_e32 v14, v20, v21, vcc
	v_lshlrev_b32_e32 v20, 8, v15
	v_mov_b32_e32 v21, 0x3b800000
	v_lshlrev_b32_e32 v10, 20, v10
	v_and_b32_e32 v20, 0x80000000, v20
	v_lshl_add_u32 v14, v14, 23, v21
	v_or3_b32 v10, v20, v14, v10
.LBB49_820:
	s_or_b64 exec, exec, s[6:7]
	s_movk_i32 s4, 0xff
	v_and_b32_sdwa v14, v11, s4 dst_sel:DWORD dst_unused:UNUSED_PAD src0_sel:WORD_1 src1_sel:DWORD
	s_movk_i32 s4, 0x7f
	v_cmp_lt_i16_e32 vcc, s4, v14
	s_mov_b64 s[4:5], 0
                                        ; implicit-def: $sgpr10
	s_and_saveexec_b64 s[6:7], vcc
	s_xor_b64 s[6:7], exec, s[6:7]
	s_cbranch_execnz .LBB49_2869
; %bb.821:
	s_or_saveexec_b64 s[6:7], s[6:7]
	v_mov_b32_e32 v20, s10
	s_xor_b64 exec, exec, s[6:7]
	s_cbranch_execnz .LBB49_2872
.LBB49_822:
	s_or_b64 exec, exec, s[6:7]
	s_and_saveexec_b64 s[6:7], s[4:5]
	s_cbranch_execz .LBB49_824
.LBB49_823:
	v_bfe_u32 v14, v11, 16, 3
	v_ffbh_u32_e32 v22, v14
	v_min_u32_e32 v22, 32, v22
	v_lshrrev_b32_e32 v20, 19, v11
	v_subrev_u32_e32 v23, 28, v22
	v_and_b32_e32 v20, 15, v20
	v_lshlrev_b32_sdwa v23, v23, v11 dst_sel:DWORD dst_unused:UNUSED_PAD src0_sel:DWORD src1_sel:WORD_1
	v_bfe_u32 v21, v11, 19, 4
	v_sub_u32_e32 v22, 29, v22
	v_and_b32_e32 v23, 7, v23
	v_cmp_eq_u16_e32 vcc, 0, v20
	v_cndmask_b32_e32 v14, v14, v23, vcc
	v_cndmask_b32_e32 v20, v21, v22, vcc
	v_lshlrev_b32_e32 v21, 8, v11
	v_mov_b32_e32 v22, 0x3b800000
	v_lshlrev_b32_e32 v14, 20, v14
	v_and_b32_e32 v21, 0x80000000, v21
	v_lshl_add_u32 v20, v20, 23, v22
	v_or3_b32 v20, v21, v20, v14
.LBB49_824:
	s_or_b64 exec, exec, s[6:7]
	s_nop 0
	v_mfma_f32_16x16x4f32 a[0:3], v10, v20, a[0:3]
	s_movk_i32 s4, 0x7f
	v_cmp_gt_i16_sdwa s[6:7], v15, s4 src0_sel:BYTE_3 src1_sel:DWORD
	s_mov_b64 s[4:5], 0
                                        ; implicit-def: $sgpr10
	s_and_saveexec_b64 s[8:9], s[6:7]
	s_xor_b64 s[6:7], exec, s[8:9]
	s_cbranch_execnz .LBB49_2873
; %bb.825:
	s_or_saveexec_b64 s[6:7], s[6:7]
	v_mov_b32_e32 v10, s10
	s_xor_b64 exec, exec, s[6:7]
	s_cbranch_execnz .LBB49_2876
.LBB49_826:
	s_or_b64 exec, exec, s[6:7]
	s_and_saveexec_b64 s[6:7], s[4:5]
	s_cbranch_execz .LBB49_828
.LBB49_827:
	v_bfe_u32 v10, v15, 24, 3
	v_ffbh_u32_e32 v22, v10
	v_min_u32_e32 v22, 32, v22
	v_lshrrev_b32_e32 v20, 27, v15
	v_subrev_u32_e32 v23, 28, v22
	v_and_b32_e32 v14, 0x80000000, v15
	v_and_b32_e32 v20, 15, v20
	v_bfe_u32 v21, v15, 27, 4
	v_lshlrev_b32_sdwa v15, v23, v15 dst_sel:DWORD dst_unused:UNUSED_PAD src0_sel:DWORD src1_sel:BYTE_3
	v_sub_u32_e32 v22, 29, v22
	v_and_b32_e32 v15, 7, v15
	v_cmp_eq_u16_e32 vcc, 0, v20
	v_cndmask_b32_e32 v10, v10, v15, vcc
	v_cndmask_b32_e32 v15, v21, v22, vcc
	v_mov_b32_e32 v20, 0x3b800000
	v_lshlrev_b32_e32 v10, 20, v10
	v_lshl_add_u32 v15, v15, 23, v20
	v_or3_b32 v10, v14, v15, v10
.LBB49_828:
	s_or_b64 exec, exec, s[6:7]
	s_movk_i32 s4, 0x7f
	v_cmp_gt_i16_sdwa s[6:7], v11, s4 src0_sel:BYTE_3 src1_sel:DWORD
	s_mov_b64 s[4:5], 0
                                        ; implicit-def: $sgpr10
	s_and_saveexec_b64 s[8:9], s[6:7]
	s_xor_b64 s[6:7], exec, s[8:9]
	s_cbranch_execnz .LBB49_2877
; %bb.829:
	s_or_saveexec_b64 s[6:7], s[6:7]
	v_mov_b32_e32 v14, s10
	s_xor_b64 exec, exec, s[6:7]
	s_cbranch_execnz .LBB49_2880
.LBB49_830:
	s_or_b64 exec, exec, s[6:7]
	s_and_saveexec_b64 s[6:7], s[4:5]
	s_cbranch_execz .LBB49_832
.LBB49_831:
	v_bfe_u32 v14, v11, 24, 3
	v_ffbh_u32_e32 v22, v14
	v_min_u32_e32 v22, 32, v22
	v_lshrrev_b32_e32 v20, 27, v11
	v_subrev_u32_e32 v23, 28, v22
	v_and_b32_e32 v15, 0x80000000, v11
	v_and_b32_e32 v20, 15, v20
	v_bfe_u32 v21, v11, 27, 4
	v_lshlrev_b32_sdwa v11, v23, v11 dst_sel:DWORD dst_unused:UNUSED_PAD src0_sel:DWORD src1_sel:BYTE_3
	v_sub_u32_e32 v22, 29, v22
	v_and_b32_e32 v11, 7, v11
	v_cmp_eq_u16_e32 vcc, 0, v20
	v_cndmask_b32_e32 v11, v14, v11, vcc
	v_cndmask_b32_e32 v14, v21, v22, vcc
	v_mov_b32_e32 v20, 0x3b800000
	v_lshlrev_b32_e32 v11, 20, v11
	v_lshl_add_u32 v14, v14, 23, v20
	v_or3_b32 v14, v15, v14, v11
.LBB49_832:
	s_or_b64 exec, exec, s[6:7]
	s_nop 0
	v_mfma_f32_16x16x4f32 a[0:3], v10, v14, a[0:3]
	s_movk_i32 s4, 0x7f
	v_cmp_gt_i16_sdwa s[6:7], v16, s4 src0_sel:BYTE_0 src1_sel:DWORD
	s_mov_b64 s[4:5], 0
                                        ; implicit-def: $sgpr10
	s_and_saveexec_b64 s[8:9], s[6:7]
	s_xor_b64 s[6:7], exec, s[8:9]
	s_cbranch_execnz .LBB49_2881
; %bb.833:
	s_or_saveexec_b64 s[6:7], s[6:7]
	v_mov_b32_e32 v10, s10
	s_xor_b64 exec, exec, s[6:7]
	s_cbranch_execnz .LBB49_2884
.LBB49_834:
	s_or_b64 exec, exec, s[6:7]
	s_and_saveexec_b64 s[6:7], s[4:5]
	s_cbranch_execz .LBB49_836
.LBB49_835:
	v_and_b32_e32 v10, 7, v16
	v_ffbh_u32_e32 v14, v10
	v_min_u32_e32 v14, 32, v14
	v_lshrrev_b16_e32 v11, 3, v16
	v_subrev_u32_e32 v15, 28, v14
	v_and_b32_e32 v11, 15, v11
	v_lshlrev_b32_e32 v15, v15, v16
	v_sub_u32_e32 v14, 29, v14
	v_and_b32_e32 v15, 7, v15
	v_cmp_eq_u16_e32 vcc, 0, v11
	v_cndmask_b32_e32 v10, v10, v15, vcc
	v_cndmask_b32_e32 v11, v11, v14, vcc
	v_lshlrev_b32_e32 v14, 24, v16
	v_mov_b32_e32 v15, 0x3b800000
	v_lshlrev_b32_e32 v10, 20, v10
	v_and_b32_e32 v14, 0x80000000, v14
	v_lshl_add_u32 v11, v11, 23, v15
	v_or3_b32 v10, v14, v11, v10
.LBB49_836:
	s_or_b64 exec, exec, s[6:7]
	s_movk_i32 s4, 0x7f
	v_cmp_gt_i16_sdwa s[6:7], v12, s4 src0_sel:BYTE_0 src1_sel:DWORD
	s_mov_b64 s[4:5], 0
                                        ; implicit-def: $sgpr10
	s_and_saveexec_b64 s[8:9], s[6:7]
	s_xor_b64 s[6:7], exec, s[8:9]
	s_cbranch_execnz .LBB49_2885
; %bb.837:
	s_or_saveexec_b64 s[6:7], s[6:7]
	v_mov_b32_e32 v11, s10
	s_xor_b64 exec, exec, s[6:7]
	s_cbranch_execnz .LBB49_2888
.LBB49_838:
	s_or_b64 exec, exec, s[6:7]
	s_and_saveexec_b64 s[6:7], s[4:5]
	s_cbranch_execz .LBB49_840
.LBB49_839:
	v_and_b32_e32 v11, 7, v12
	v_ffbh_u32_e32 v15, v11
	v_min_u32_e32 v15, 32, v15
	v_lshrrev_b16_e32 v14, 3, v12
	v_subrev_u32_e32 v20, 28, v15
	v_and_b32_e32 v14, 15, v14
	v_lshlrev_b32_e32 v20, v20, v12
	v_sub_u32_e32 v15, 29, v15
	v_and_b32_e32 v20, 7, v20
	v_cmp_eq_u16_e32 vcc, 0, v14
	v_cndmask_b32_e32 v11, v11, v20, vcc
	v_cndmask_b32_e32 v14, v14, v15, vcc
	v_lshlrev_b32_e32 v15, 24, v12
	v_mov_b32_e32 v20, 0x3b800000
	v_lshlrev_b32_e32 v11, 20, v11
	v_and_b32_e32 v15, 0x80000000, v15
	v_lshl_add_u32 v14, v14, 23, v20
	v_or3_b32 v11, v15, v14, v11
.LBB49_840:
	s_or_b64 exec, exec, s[6:7]
	s_nop 0
	v_mfma_f32_16x16x4f32 a[0:3], v10, v11, a[0:3]
	v_lshrrev_b32_e32 v11, 8, v16
	s_movk_i32 s4, 0x7f
	v_cmp_gt_i16_sdwa s[6:7], v11, s4 src0_sel:BYTE_0 src1_sel:DWORD
	s_mov_b64 s[4:5], 0
                                        ; implicit-def: $sgpr10
	s_and_saveexec_b64 s[8:9], s[6:7]
	s_xor_b64 s[6:7], exec, s[8:9]
	s_cbranch_execnz .LBB49_2889
; %bb.841:
	s_or_saveexec_b64 s[6:7], s[6:7]
	v_mov_b32_e32 v10, s10
	s_xor_b64 exec, exec, s[6:7]
	s_cbranch_execnz .LBB49_2892
.LBB49_842:
	s_or_b64 exec, exec, s[6:7]
	s_and_saveexec_b64 s[6:7], s[4:5]
	s_cbranch_execz .LBB49_844
.LBB49_843:
	v_bfe_u32 v10, v16, 8, 3
	v_ffbh_u32_e32 v15, v10
	v_min_u32_e32 v15, 32, v15
	v_lshrrev_b16_e32 v14, 3, v11
	v_subrev_u32_e32 v20, 28, v15
	v_and_b32_e32 v14, 15, v14
	v_lshlrev_b32_e32 v11, v20, v11
	v_sub_u32_e32 v15, 29, v15
	v_and_b32_e32 v11, 7, v11
	v_cmp_eq_u16_e32 vcc, 0, v14
	v_cndmask_b32_e32 v10, v10, v11, vcc
	v_cndmask_b32_e32 v11, v14, v15, vcc
	v_lshlrev_b32_e32 v14, 16, v16
	v_mov_b32_e32 v15, 0x3b800000
	v_lshlrev_b32_e32 v10, 20, v10
	v_and_b32_e32 v14, 0x80000000, v14
	v_lshl_add_u32 v11, v11, 23, v15
	v_or3_b32 v10, v14, v11, v10
.LBB49_844:
	s_or_b64 exec, exec, s[6:7]
	v_lshrrev_b32_e32 v11, 8, v12
	s_movk_i32 s4, 0x7f
	v_cmp_gt_i16_sdwa s[6:7], v11, s4 src0_sel:BYTE_0 src1_sel:DWORD
	s_mov_b64 s[4:5], 0
                                        ; implicit-def: $sgpr10
	s_and_saveexec_b64 s[8:9], s[6:7]
	s_xor_b64 s[6:7], exec, s[8:9]
	s_cbranch_execnz .LBB49_2893
; %bb.845:
	s_or_saveexec_b64 s[6:7], s[6:7]
	v_mov_b32_e32 v14, s10
	s_xor_b64 exec, exec, s[6:7]
	s_cbranch_execnz .LBB49_2896
.LBB49_846:
	s_or_b64 exec, exec, s[6:7]
	s_and_saveexec_b64 s[6:7], s[4:5]
	s_cbranch_execz .LBB49_848
.LBB49_847:
	v_bfe_u32 v14, v12, 8, 3
	v_ffbh_u32_e32 v20, v14
	v_min_u32_e32 v20, 32, v20
	v_lshrrev_b16_e32 v15, 3, v11
	v_subrev_u32_e32 v21, 28, v20
	v_and_b32_e32 v15, 15, v15
	v_lshlrev_b32_e32 v11, v21, v11
	v_sub_u32_e32 v20, 29, v20
	v_and_b32_e32 v11, 7, v11
	v_cmp_eq_u16_e32 vcc, 0, v15
	v_cndmask_b32_e32 v11, v14, v11, vcc
	v_cndmask_b32_e32 v14, v15, v20, vcc
	v_lshlrev_b32_e32 v15, 16, v12
	v_mov_b32_e32 v20, 0x3b800000
	v_lshlrev_b32_e32 v11, 20, v11
	v_and_b32_e32 v15, 0x80000000, v15
	v_lshl_add_u32 v14, v14, 23, v20
	v_or3_b32 v14, v15, v14, v11
.LBB49_848:
	s_or_b64 exec, exec, s[6:7]
	s_nop 0
	v_mfma_f32_16x16x4f32 a[0:3], v10, v14, a[0:3]
	s_movk_i32 s4, 0xff
	v_and_b32_sdwa v11, v16, s4 dst_sel:DWORD dst_unused:UNUSED_PAD src0_sel:WORD_1 src1_sel:DWORD
	s_movk_i32 s4, 0x7f
	v_cmp_lt_i16_e32 vcc, s4, v11
	s_mov_b64 s[4:5], 0
                                        ; implicit-def: $sgpr10
	s_and_saveexec_b64 s[6:7], vcc
	s_xor_b64 s[6:7], exec, s[6:7]
	s_cbranch_execnz .LBB49_2897
; %bb.849:
	s_or_saveexec_b64 s[6:7], s[6:7]
	v_mov_b32_e32 v10, s10
	s_xor_b64 exec, exec, s[6:7]
	s_cbranch_execnz .LBB49_2900
.LBB49_850:
	s_or_b64 exec, exec, s[6:7]
	s_and_saveexec_b64 s[6:7], s[4:5]
	s_cbranch_execz .LBB49_852
.LBB49_851:
	v_bfe_u32 v10, v16, 16, 3
	v_ffbh_u32_e32 v15, v10
	v_min_u32_e32 v15, 32, v15
	v_lshrrev_b32_e32 v11, 19, v16
	v_subrev_u32_e32 v20, 28, v15
	v_and_b32_e32 v11, 15, v11
	v_lshlrev_b32_sdwa v20, v20, v16 dst_sel:DWORD dst_unused:UNUSED_PAD src0_sel:DWORD src1_sel:WORD_1
	v_bfe_u32 v14, v16, 19, 4
	v_sub_u32_e32 v15, 29, v15
	v_and_b32_e32 v20, 7, v20
	v_cmp_eq_u16_e32 vcc, 0, v11
	v_cndmask_b32_e32 v10, v10, v20, vcc
	v_cndmask_b32_e32 v11, v14, v15, vcc
	v_lshlrev_b32_e32 v14, 8, v16
	v_mov_b32_e32 v15, 0x3b800000
	v_lshlrev_b32_e32 v10, 20, v10
	v_and_b32_e32 v14, 0x80000000, v14
	v_lshl_add_u32 v11, v11, 23, v15
	v_or3_b32 v10, v14, v11, v10
.LBB49_852:
	s_or_b64 exec, exec, s[6:7]
	s_movk_i32 s4, 0xff
	v_and_b32_sdwa v11, v12, s4 dst_sel:DWORD dst_unused:UNUSED_PAD src0_sel:WORD_1 src1_sel:DWORD
	s_movk_i32 s4, 0x7f
	v_cmp_lt_i16_e32 vcc, s4, v11
	s_mov_b64 s[4:5], 0
                                        ; implicit-def: $sgpr10
	s_and_saveexec_b64 s[6:7], vcc
	s_xor_b64 s[6:7], exec, s[6:7]
	s_cbranch_execnz .LBB49_2901
; %bb.853:
	s_or_saveexec_b64 s[6:7], s[6:7]
	v_mov_b32_e32 v14, s10
	s_xor_b64 exec, exec, s[6:7]
	s_cbranch_execnz .LBB49_2904
.LBB49_854:
	s_or_b64 exec, exec, s[6:7]
	s_and_saveexec_b64 s[6:7], s[4:5]
	s_cbranch_execz .LBB49_856
.LBB49_855:
	v_bfe_u32 v11, v12, 16, 3
	v_ffbh_u32_e32 v20, v11
	v_min_u32_e32 v20, 32, v20
	v_lshrrev_b32_e32 v14, 19, v12
	v_subrev_u32_e32 v21, 28, v20
	v_and_b32_e32 v14, 15, v14
	v_lshlrev_b32_sdwa v21, v21, v12 dst_sel:DWORD dst_unused:UNUSED_PAD src0_sel:DWORD src1_sel:WORD_1
	v_bfe_u32 v15, v12, 19, 4
	v_sub_u32_e32 v20, 29, v20
	v_and_b32_e32 v21, 7, v21
	v_cmp_eq_u16_e32 vcc, 0, v14
	v_cndmask_b32_e32 v11, v11, v21, vcc
	v_cndmask_b32_e32 v14, v15, v20, vcc
	v_lshlrev_b32_e32 v15, 8, v12
	v_mov_b32_e32 v20, 0x3b800000
	v_lshlrev_b32_e32 v11, 20, v11
	v_and_b32_e32 v15, 0x80000000, v15
	v_lshl_add_u32 v14, v14, 23, v20
	v_or3_b32 v14, v15, v14, v11
.LBB49_856:
	s_or_b64 exec, exec, s[6:7]
	s_nop 0
	v_mfma_f32_16x16x4f32 a[0:3], v10, v14, a[0:3]
	s_movk_i32 s4, 0x7f
	v_cmp_gt_i16_sdwa s[6:7], v16, s4 src0_sel:BYTE_3 src1_sel:DWORD
	s_mov_b64 s[4:5], 0
                                        ; implicit-def: $sgpr10
	s_and_saveexec_b64 s[8:9], s[6:7]
	s_xor_b64 s[6:7], exec, s[8:9]
	s_cbranch_execnz .LBB49_2905
; %bb.857:
	s_or_saveexec_b64 s[6:7], s[6:7]
	v_mov_b32_e32 v10, s10
	s_xor_b64 exec, exec, s[6:7]
	s_cbranch_execnz .LBB49_2908
.LBB49_858:
	s_or_b64 exec, exec, s[6:7]
	s_and_saveexec_b64 s[6:7], s[4:5]
	s_cbranch_execz .LBB49_860
.LBB49_859:
	v_bfe_u32 v10, v16, 24, 3
	v_ffbh_u32_e32 v20, v10
	v_min_u32_e32 v20, 32, v20
	v_lshrrev_b32_e32 v14, 27, v16
	v_subrev_u32_e32 v21, 28, v20
	v_and_b32_e32 v11, 0x80000000, v16
	v_and_b32_e32 v14, 15, v14
	v_bfe_u32 v15, v16, 27, 4
	v_lshlrev_b32_sdwa v16, v21, v16 dst_sel:DWORD dst_unused:UNUSED_PAD src0_sel:DWORD src1_sel:BYTE_3
	v_sub_u32_e32 v20, 29, v20
	v_and_b32_e32 v16, 7, v16
	v_cmp_eq_u16_e32 vcc, 0, v14
	v_cndmask_b32_e32 v10, v10, v16, vcc
	v_cndmask_b32_e32 v14, v15, v20, vcc
	v_mov_b32_e32 v15, 0x3b800000
	v_lshlrev_b32_e32 v10, 20, v10
	v_lshl_add_u32 v14, v14, 23, v15
	v_or3_b32 v10, v11, v14, v10
.LBB49_860:
	s_or_b64 exec, exec, s[6:7]
	s_movk_i32 s4, 0x7f
	v_cmp_gt_i16_sdwa s[6:7], v12, s4 src0_sel:BYTE_3 src1_sel:DWORD
	s_mov_b64 s[4:5], 0
                                        ; implicit-def: $sgpr10
	s_and_saveexec_b64 s[8:9], s[6:7]
	s_xor_b64 s[6:7], exec, s[8:9]
	s_cbranch_execnz .LBB49_2909
; %bb.861:
	s_or_saveexec_b64 s[6:7], s[6:7]
	v_mov_b32_e32 v11, s10
	s_xor_b64 exec, exec, s[6:7]
	s_cbranch_execnz .LBB49_2912
.LBB49_862:
	s_or_b64 exec, exec, s[6:7]
	s_and_saveexec_b64 s[6:7], s[4:5]
	s_cbranch_execz .LBB49_864
.LBB49_863:
	v_bfe_u32 v11, v12, 24, 3
	v_ffbh_u32_e32 v20, v11
	v_min_u32_e32 v20, 32, v20
	v_lshrrev_b32_e32 v15, 27, v12
	v_subrev_u32_e32 v21, 28, v20
	v_and_b32_e32 v14, 0x80000000, v12
	v_and_b32_e32 v15, 15, v15
	v_bfe_u32 v16, v12, 27, 4
	v_lshlrev_b32_sdwa v12, v21, v12 dst_sel:DWORD dst_unused:UNUSED_PAD src0_sel:DWORD src1_sel:BYTE_3
	v_sub_u32_e32 v20, 29, v20
	v_and_b32_e32 v12, 7, v12
	v_cmp_eq_u16_e32 vcc, 0, v15
	v_cndmask_b32_e32 v11, v11, v12, vcc
	v_cndmask_b32_e32 v12, v16, v20, vcc
	v_mov_b32_e32 v15, 0x3b800000
	v_lshlrev_b32_e32 v11, 20, v11
	v_lshl_add_u32 v12, v12, 23, v15
	v_or3_b32 v11, v14, v12, v11
.LBB49_864:
	s_or_b64 exec, exec, s[6:7]
	s_nop 0
	v_mfma_f32_16x16x4f32 a[0:3], v10, v11, a[0:3]
	s_movk_i32 s4, 0x7f
	v_cmp_gt_i16_sdwa s[6:7], v17, s4 src0_sel:BYTE_0 src1_sel:DWORD
	s_mov_b64 s[4:5], 0
                                        ; implicit-def: $sgpr10
	s_and_saveexec_b64 s[8:9], s[6:7]
	s_xor_b64 s[6:7], exec, s[8:9]
	s_cbranch_execnz .LBB49_2913
; %bb.865:
	s_or_saveexec_b64 s[6:7], s[6:7]
	v_mov_b32_e32 v10, s10
	s_xor_b64 exec, exec, s[6:7]
	s_cbranch_execnz .LBB49_2916
.LBB49_866:
	s_or_b64 exec, exec, s[6:7]
	s_and_saveexec_b64 s[6:7], s[4:5]
	s_cbranch_execz .LBB49_868
.LBB49_867:
	v_and_b32_e32 v10, 7, v17
	v_ffbh_u32_e32 v12, v10
	v_min_u32_e32 v12, 32, v12
	v_lshrrev_b16_e32 v11, 3, v17
	v_subrev_u32_e32 v14, 28, v12
	v_and_b32_e32 v11, 15, v11
	v_lshlrev_b32_e32 v14, v14, v17
	v_sub_u32_e32 v12, 29, v12
	v_and_b32_e32 v14, 7, v14
	v_cmp_eq_u16_e32 vcc, 0, v11
	v_cndmask_b32_e32 v10, v10, v14, vcc
	v_cndmask_b32_e32 v11, v11, v12, vcc
	v_lshlrev_b32_e32 v12, 24, v17
	v_mov_b32_e32 v14, 0x3b800000
	v_lshlrev_b32_e32 v10, 20, v10
	v_and_b32_e32 v12, 0x80000000, v12
	v_lshl_add_u32 v11, v11, 23, v14
	v_or3_b32 v10, v12, v11, v10
.LBB49_868:
	s_or_b64 exec, exec, s[6:7]
	s_movk_i32 s4, 0x7f
	v_cmp_gt_i16_sdwa s[6:7], v13, s4 src0_sel:BYTE_0 src1_sel:DWORD
	s_mov_b64 s[4:5], 0
                                        ; implicit-def: $sgpr10
	s_and_saveexec_b64 s[8:9], s[6:7]
	s_xor_b64 s[6:7], exec, s[8:9]
	s_cbranch_execnz .LBB49_2917
; %bb.869:
	s_or_saveexec_b64 s[6:7], s[6:7]
	v_mov_b32_e32 v11, s10
	s_xor_b64 exec, exec, s[6:7]
	s_cbranch_execnz .LBB49_2920
.LBB49_870:
	s_or_b64 exec, exec, s[6:7]
	s_and_saveexec_b64 s[6:7], s[4:5]
	s_cbranch_execz .LBB49_872
.LBB49_871:
	v_and_b32_e32 v11, 7, v13
	v_ffbh_u32_e32 v14, v11
	v_min_u32_e32 v14, 32, v14
	v_lshrrev_b16_e32 v12, 3, v13
	v_subrev_u32_e32 v15, 28, v14
	v_and_b32_e32 v12, 15, v12
	v_lshlrev_b32_e32 v15, v15, v13
	v_sub_u32_e32 v14, 29, v14
	v_and_b32_e32 v15, 7, v15
	v_cmp_eq_u16_e32 vcc, 0, v12
	v_cndmask_b32_e32 v11, v11, v15, vcc
	v_cndmask_b32_e32 v12, v12, v14, vcc
	v_lshlrev_b32_e32 v14, 24, v13
	v_mov_b32_e32 v15, 0x3b800000
	v_lshlrev_b32_e32 v11, 20, v11
	v_and_b32_e32 v14, 0x80000000, v14
	v_lshl_add_u32 v12, v12, 23, v15
	v_or3_b32 v11, v14, v12, v11
.LBB49_872:
	s_or_b64 exec, exec, s[6:7]
	s_nop 0
	v_mfma_f32_16x16x4f32 a[0:3], v10, v11, a[0:3]
	v_lshrrev_b32_e32 v11, 8, v17
	s_movk_i32 s4, 0x7f
	v_cmp_gt_i16_sdwa s[6:7], v11, s4 src0_sel:BYTE_0 src1_sel:DWORD
	s_mov_b64 s[4:5], 0
                                        ; implicit-def: $sgpr10
	s_and_saveexec_b64 s[8:9], s[6:7]
	s_xor_b64 s[6:7], exec, s[8:9]
	s_cbranch_execnz .LBB49_2921
; %bb.873:
	s_or_saveexec_b64 s[6:7], s[6:7]
	v_mov_b32_e32 v10, s10
	s_xor_b64 exec, exec, s[6:7]
	s_cbranch_execnz .LBB49_2924
.LBB49_874:
	s_or_b64 exec, exec, s[6:7]
	s_and_saveexec_b64 s[6:7], s[4:5]
	s_cbranch_execz .LBB49_876
.LBB49_875:
	v_bfe_u32 v10, v17, 8, 3
	v_ffbh_u32_e32 v14, v10
	v_min_u32_e32 v14, 32, v14
	v_lshrrev_b16_e32 v12, 3, v11
	v_subrev_u32_e32 v15, 28, v14
	v_and_b32_e32 v12, 15, v12
	v_lshlrev_b32_e32 v11, v15, v11
	v_sub_u32_e32 v14, 29, v14
	v_and_b32_e32 v11, 7, v11
	v_cmp_eq_u16_e32 vcc, 0, v12
	v_cndmask_b32_e32 v10, v10, v11, vcc
	v_cndmask_b32_e32 v11, v12, v14, vcc
	v_lshlrev_b32_e32 v12, 16, v17
	v_mov_b32_e32 v14, 0x3b800000
	v_lshlrev_b32_e32 v10, 20, v10
	v_and_b32_e32 v12, 0x80000000, v12
	v_lshl_add_u32 v11, v11, 23, v14
	v_or3_b32 v10, v12, v11, v10
.LBB49_876:
	s_or_b64 exec, exec, s[6:7]
	v_lshrrev_b32_e32 v11, 8, v13
	s_movk_i32 s4, 0x7f
	v_cmp_gt_i16_sdwa s[6:7], v11, s4 src0_sel:BYTE_0 src1_sel:DWORD
	s_mov_b64 s[4:5], 0
                                        ; implicit-def: $sgpr10
	s_and_saveexec_b64 s[8:9], s[6:7]
	s_xor_b64 s[6:7], exec, s[8:9]
	s_cbranch_execnz .LBB49_2925
; %bb.877:
	s_or_saveexec_b64 s[6:7], s[6:7]
	v_mov_b32_e32 v12, s10
	s_xor_b64 exec, exec, s[6:7]
	s_cbranch_execnz .LBB49_2928
.LBB49_878:
	s_or_b64 exec, exec, s[6:7]
	s_and_saveexec_b64 s[6:7], s[4:5]
	s_cbranch_execz .LBB49_880
.LBB49_879:
	v_bfe_u32 v12, v13, 8, 3
	v_ffbh_u32_e32 v15, v12
	v_min_u32_e32 v15, 32, v15
	v_lshrrev_b16_e32 v14, 3, v11
	v_subrev_u32_e32 v16, 28, v15
	v_and_b32_e32 v14, 15, v14
	v_lshlrev_b32_e32 v11, v16, v11
	v_sub_u32_e32 v15, 29, v15
	v_and_b32_e32 v11, 7, v11
	v_cmp_eq_u16_e32 vcc, 0, v14
	v_cndmask_b32_e32 v11, v12, v11, vcc
	v_cndmask_b32_e32 v12, v14, v15, vcc
	v_lshlrev_b32_e32 v14, 16, v13
	v_mov_b32_e32 v15, 0x3b800000
	v_lshlrev_b32_e32 v11, 20, v11
	v_and_b32_e32 v14, 0x80000000, v14
	v_lshl_add_u32 v12, v12, 23, v15
	v_or3_b32 v12, v14, v12, v11
.LBB49_880:
	s_or_b64 exec, exec, s[6:7]
	s_nop 0
	v_mfma_f32_16x16x4f32 a[0:3], v10, v12, a[0:3]
	s_movk_i32 s4, 0xff
	v_and_b32_sdwa v11, v17, s4 dst_sel:DWORD dst_unused:UNUSED_PAD src0_sel:WORD_1 src1_sel:DWORD
	s_movk_i32 s4, 0x7f
	v_cmp_lt_i16_e32 vcc, s4, v11
	s_mov_b64 s[4:5], 0
                                        ; implicit-def: $sgpr10
	s_and_saveexec_b64 s[6:7], vcc
	s_xor_b64 s[6:7], exec, s[6:7]
	s_cbranch_execnz .LBB49_2929
; %bb.881:
	s_or_saveexec_b64 s[6:7], s[6:7]
	v_mov_b32_e32 v10, s10
	s_xor_b64 exec, exec, s[6:7]
	s_cbranch_execnz .LBB49_2932
.LBB49_882:
	s_or_b64 exec, exec, s[6:7]
	s_and_saveexec_b64 s[6:7], s[4:5]
	s_cbranch_execz .LBB49_884
.LBB49_883:
	v_bfe_u32 v10, v17, 16, 3
	v_ffbh_u32_e32 v14, v10
	v_min_u32_e32 v14, 32, v14
	v_lshrrev_b32_e32 v11, 19, v17
	v_subrev_u32_e32 v15, 28, v14
	v_and_b32_e32 v11, 15, v11
	v_lshlrev_b32_sdwa v15, v15, v17 dst_sel:DWORD dst_unused:UNUSED_PAD src0_sel:DWORD src1_sel:WORD_1
	v_bfe_u32 v12, v17, 19, 4
	v_sub_u32_e32 v14, 29, v14
	v_and_b32_e32 v15, 7, v15
	v_cmp_eq_u16_e32 vcc, 0, v11
	v_cndmask_b32_e32 v10, v10, v15, vcc
	v_cndmask_b32_e32 v11, v12, v14, vcc
	v_lshlrev_b32_e32 v12, 8, v17
	v_mov_b32_e32 v14, 0x3b800000
	v_lshlrev_b32_e32 v10, 20, v10
	v_and_b32_e32 v12, 0x80000000, v12
	v_lshl_add_u32 v11, v11, 23, v14
	v_or3_b32 v10, v12, v11, v10
.LBB49_884:
	s_or_b64 exec, exec, s[6:7]
	s_movk_i32 s4, 0xff
	v_and_b32_sdwa v11, v13, s4 dst_sel:DWORD dst_unused:UNUSED_PAD src0_sel:WORD_1 src1_sel:DWORD
	s_movk_i32 s4, 0x7f
	v_cmp_lt_i16_e32 vcc, s4, v11
	s_mov_b64 s[4:5], 0
                                        ; implicit-def: $sgpr10
	s_and_saveexec_b64 s[6:7], vcc
	s_xor_b64 s[6:7], exec, s[6:7]
	s_cbranch_execnz .LBB49_2933
; %bb.885:
	s_or_saveexec_b64 s[6:7], s[6:7]
	v_mov_b32_e32 v12, s10
	s_xor_b64 exec, exec, s[6:7]
	s_cbranch_execnz .LBB49_2936
.LBB49_886:
	s_or_b64 exec, exec, s[6:7]
	s_and_saveexec_b64 s[6:7], s[4:5]
	s_cbranch_execz .LBB49_888
.LBB49_887:
	v_bfe_u32 v11, v13, 16, 3
	v_ffbh_u32_e32 v15, v11
	v_min_u32_e32 v15, 32, v15
	v_lshrrev_b32_e32 v12, 19, v13
	v_subrev_u32_e32 v16, 28, v15
	v_and_b32_e32 v12, 15, v12
	v_lshlrev_b32_sdwa v16, v16, v13 dst_sel:DWORD dst_unused:UNUSED_PAD src0_sel:DWORD src1_sel:WORD_1
	v_bfe_u32 v14, v13, 19, 4
	v_sub_u32_e32 v15, 29, v15
	v_and_b32_e32 v16, 7, v16
	v_cmp_eq_u16_e32 vcc, 0, v12
	v_cndmask_b32_e32 v11, v11, v16, vcc
	v_cndmask_b32_e32 v12, v14, v15, vcc
	v_lshlrev_b32_e32 v14, 8, v13
	v_mov_b32_e32 v15, 0x3b800000
	v_lshlrev_b32_e32 v11, 20, v11
	v_and_b32_e32 v14, 0x80000000, v14
	v_lshl_add_u32 v12, v12, 23, v15
	v_or3_b32 v12, v14, v12, v11
.LBB49_888:
	s_or_b64 exec, exec, s[6:7]
	s_nop 0
	v_mfma_f32_16x16x4f32 a[0:3], v10, v12, a[0:3]
	s_movk_i32 s4, 0x7f
	v_cmp_gt_i16_sdwa s[6:7], v17, s4 src0_sel:BYTE_3 src1_sel:DWORD
	s_mov_b64 s[4:5], 0
                                        ; implicit-def: $sgpr10
	s_and_saveexec_b64 s[8:9], s[6:7]
	s_xor_b64 s[6:7], exec, s[8:9]
	s_cbranch_execnz .LBB49_2937
; %bb.889:
	s_or_saveexec_b64 s[6:7], s[6:7]
	v_mov_b32_e32 v10, s10
	s_xor_b64 exec, exec, s[6:7]
	s_cbranch_execnz .LBB49_2940
.LBB49_890:
	s_or_b64 exec, exec, s[6:7]
	s_and_saveexec_b64 s[6:7], s[4:5]
	s_cbranch_execz .LBB49_892
.LBB49_891:
	v_bfe_u32 v10, v17, 24, 3
	v_ffbh_u32_e32 v15, v10
	v_min_u32_e32 v15, 32, v15
	v_lshrrev_b32_e32 v12, 27, v17
	v_subrev_u32_e32 v16, 28, v15
	v_and_b32_e32 v12, 15, v12
	v_lshlrev_b32_sdwa v16, v16, v17 dst_sel:DWORD dst_unused:UNUSED_PAD src0_sel:DWORD src1_sel:BYTE_3
	v_bfe_u32 v14, v17, 27, 4
	v_sub_u32_e32 v15, 29, v15
	v_and_b32_e32 v16, 7, v16
	v_cmp_eq_u16_e32 vcc, 0, v12
	v_cndmask_b32_e32 v10, v10, v16, vcc
	v_cndmask_b32_e32 v12, v14, v15, vcc
	v_mov_b32_e32 v14, 0x3b800000
	v_and_b32_e32 v11, 0x80000000, v17
	v_lshlrev_b32_e32 v10, 20, v10
	v_lshl_add_u32 v12, v12, 23, v14
	v_or3_b32 v10, v11, v12, v10
.LBB49_892:
	s_or_b64 exec, exec, s[6:7]
	s_movk_i32 s4, 0x7f
	v_cmp_gt_i16_sdwa s[6:7], v13, s4 src0_sel:BYTE_3 src1_sel:DWORD
	s_mov_b64 s[4:5], 0
                                        ; implicit-def: $sgpr10
	s_and_saveexec_b64 s[8:9], s[6:7]
	s_xor_b64 s[6:7], exec, s[8:9]
	s_cbranch_execnz .LBB49_2941
; %bb.893:
	s_or_saveexec_b64 s[6:7], s[6:7]
	v_mov_b32_e32 v11, s10
	s_xor_b64 exec, exec, s[6:7]
	s_cbranch_execnz .LBB49_2944
.LBB49_894:
	s_or_b64 exec, exec, s[6:7]
	s_and_saveexec_b64 s[6:7], s[4:5]
	s_cbranch_execz .LBB49_896
.LBB49_895:
	v_bfe_u32 v11, v13, 24, 3
	v_ffbh_u32_e32 v16, v11
	v_min_u32_e32 v16, 32, v16
	v_lshrrev_b32_e32 v14, 27, v13
	v_subrev_u32_e32 v17, 28, v16
	v_and_b32_e32 v12, 0x80000000, v13
	v_and_b32_e32 v14, 15, v14
	v_bfe_u32 v15, v13, 27, 4
	v_lshlrev_b32_sdwa v13, v17, v13 dst_sel:DWORD dst_unused:UNUSED_PAD src0_sel:DWORD src1_sel:BYTE_3
	v_sub_u32_e32 v16, 29, v16
	v_and_b32_e32 v13, 7, v13
	v_cmp_eq_u16_e32 vcc, 0, v14
	v_cndmask_b32_e32 v11, v11, v13, vcc
	v_cndmask_b32_e32 v13, v15, v16, vcc
	v_mov_b32_e32 v14, 0x3b800000
	v_lshlrev_b32_e32 v11, 20, v11
	v_lshl_add_u32 v13, v13, 23, v14
	v_or3_b32 v11, v12, v13, v11
.LBB49_896:
	s_or_b64 exec, exec, s[6:7]
	s_nop 0
	v_mfma_f32_16x16x4f32 a[0:3], v10, v11, a[0:3]
	s_movk_i32 s4, 0x7f
	v_cmp_gt_i16_sdwa s[6:7], v6, s4 src0_sel:BYTE_0 src1_sel:DWORD
	s_mov_b64 s[4:5], 0
                                        ; implicit-def: $sgpr10
	s_and_saveexec_b64 s[8:9], s[6:7]
	s_xor_b64 s[6:7], exec, s[8:9]
	s_cbranch_execnz .LBB49_2945
; %bb.897:
	s_or_saveexec_b64 s[6:7], s[6:7]
	v_mov_b32_e32 v10, s10
	s_xor_b64 exec, exec, s[6:7]
	s_cbranch_execnz .LBB49_2948
.LBB49_898:
	s_or_b64 exec, exec, s[6:7]
	s_and_saveexec_b64 s[6:7], s[4:5]
	s_cbranch_execz .LBB49_900
.LBB49_899:
	v_and_b32_e32 v10, 7, v6
	v_ffbh_u32_e32 v12, v10
	v_min_u32_e32 v12, 32, v12
	v_lshrrev_b16_e32 v11, 3, v6
	v_subrev_u32_e32 v13, 28, v12
	v_and_b32_e32 v11, 15, v11
	v_lshlrev_b32_e32 v13, v13, v6
	v_sub_u32_e32 v12, 29, v12
	v_and_b32_e32 v13, 7, v13
	v_cmp_eq_u16_e32 vcc, 0, v11
	v_cndmask_b32_e32 v10, v10, v13, vcc
	v_cndmask_b32_e32 v11, v11, v12, vcc
	v_lshlrev_b32_e32 v12, 24, v6
	v_mov_b32_e32 v13, 0x3b800000
	v_lshlrev_b32_e32 v10, 20, v10
	v_and_b32_e32 v12, 0x80000000, v12
	v_lshl_add_u32 v11, v11, 23, v13
	v_or3_b32 v10, v12, v11, v10
.LBB49_900:
	s_or_b64 exec, exec, s[6:7]
	s_movk_i32 s4, 0x7f
	v_cmp_gt_i16_sdwa s[6:7], v2, s4 src0_sel:BYTE_0 src1_sel:DWORD
	s_mov_b64 s[4:5], 0
                                        ; implicit-def: $sgpr10
	s_and_saveexec_b64 s[8:9], s[6:7]
	s_xor_b64 s[6:7], exec, s[8:9]
	s_cbranch_execnz .LBB49_2949
; %bb.901:
	s_or_saveexec_b64 s[6:7], s[6:7]
	v_mov_b32_e32 v11, s10
	s_xor_b64 exec, exec, s[6:7]
	s_cbranch_execnz .LBB49_2952
.LBB49_902:
	s_or_b64 exec, exec, s[6:7]
	s_and_saveexec_b64 s[6:7], s[4:5]
	s_cbranch_execz .LBB49_904
.LBB49_903:
	v_and_b32_e32 v11, 7, v2
	v_ffbh_u32_e32 v13, v11
	v_min_u32_e32 v13, 32, v13
	v_lshrrev_b16_e32 v12, 3, v2
	v_subrev_u32_e32 v14, 28, v13
	v_and_b32_e32 v12, 15, v12
	v_lshlrev_b32_e32 v14, v14, v2
	v_sub_u32_e32 v13, 29, v13
	v_and_b32_e32 v14, 7, v14
	v_cmp_eq_u16_e32 vcc, 0, v12
	v_cndmask_b32_e32 v11, v11, v14, vcc
	v_cndmask_b32_e32 v12, v12, v13, vcc
	v_lshlrev_b32_e32 v13, 24, v2
	v_mov_b32_e32 v14, 0x3b800000
	v_lshlrev_b32_e32 v11, 20, v11
	v_and_b32_e32 v13, 0x80000000, v13
	v_lshl_add_u32 v12, v12, 23, v14
	v_or3_b32 v11, v13, v12, v11
.LBB49_904:
	s_or_b64 exec, exec, s[6:7]
	s_nop 0
	v_mfma_f32_16x16x4f32 a[0:3], v10, v11, a[0:3]
	v_lshrrev_b32_e32 v11, 8, v6
	s_movk_i32 s4, 0x7f
	v_cmp_gt_i16_sdwa s[6:7], v11, s4 src0_sel:BYTE_0 src1_sel:DWORD
	s_mov_b64 s[4:5], 0
                                        ; implicit-def: $sgpr10
	s_and_saveexec_b64 s[8:9], s[6:7]
	s_xor_b64 s[6:7], exec, s[8:9]
	s_cbranch_execnz .LBB49_2953
; %bb.905:
	s_or_saveexec_b64 s[6:7], s[6:7]
	v_mov_b32_e32 v10, s10
	s_xor_b64 exec, exec, s[6:7]
	s_cbranch_execnz .LBB49_2956
.LBB49_906:
	s_or_b64 exec, exec, s[6:7]
	s_and_saveexec_b64 s[6:7], s[4:5]
	s_cbranch_execz .LBB49_908
.LBB49_907:
	v_bfe_u32 v10, v6, 8, 3
	v_ffbh_u32_e32 v13, v10
	v_min_u32_e32 v13, 32, v13
	v_lshrrev_b16_e32 v12, 3, v11
	v_subrev_u32_e32 v14, 28, v13
	v_and_b32_e32 v12, 15, v12
	v_lshlrev_b32_e32 v11, v14, v11
	v_sub_u32_e32 v13, 29, v13
	v_and_b32_e32 v11, 7, v11
	v_cmp_eq_u16_e32 vcc, 0, v12
	v_cndmask_b32_e32 v10, v10, v11, vcc
	v_cndmask_b32_e32 v11, v12, v13, vcc
	v_lshlrev_b32_e32 v12, 16, v6
	v_mov_b32_e32 v13, 0x3b800000
	v_lshlrev_b32_e32 v10, 20, v10
	v_and_b32_e32 v12, 0x80000000, v12
	v_lshl_add_u32 v11, v11, 23, v13
	v_or3_b32 v10, v12, v11, v10
.LBB49_908:
	s_or_b64 exec, exec, s[6:7]
	v_lshrrev_b32_e32 v11, 8, v2
	s_movk_i32 s4, 0x7f
	v_cmp_gt_i16_sdwa s[6:7], v11, s4 src0_sel:BYTE_0 src1_sel:DWORD
	s_mov_b64 s[4:5], 0
                                        ; implicit-def: $sgpr10
	s_and_saveexec_b64 s[8:9], s[6:7]
	s_xor_b64 s[6:7], exec, s[8:9]
	s_cbranch_execnz .LBB49_2957
; %bb.909:
	s_or_saveexec_b64 s[6:7], s[6:7]
	v_mov_b32_e32 v12, s10
	s_xor_b64 exec, exec, s[6:7]
	s_cbranch_execnz .LBB49_2960
.LBB49_910:
	s_or_b64 exec, exec, s[6:7]
	s_and_saveexec_b64 s[6:7], s[4:5]
	s_cbranch_execz .LBB49_912
.LBB49_911:
	v_bfe_u32 v12, v2, 8, 3
	v_ffbh_u32_e32 v14, v12
	v_min_u32_e32 v14, 32, v14
	v_lshrrev_b16_e32 v13, 3, v11
	v_subrev_u32_e32 v15, 28, v14
	v_and_b32_e32 v13, 15, v13
	v_lshlrev_b32_e32 v11, v15, v11
	v_sub_u32_e32 v14, 29, v14
	v_and_b32_e32 v11, 7, v11
	v_cmp_eq_u16_e32 vcc, 0, v13
	v_cndmask_b32_e32 v11, v12, v11, vcc
	v_cndmask_b32_e32 v12, v13, v14, vcc
	v_lshlrev_b32_e32 v13, 16, v2
	v_mov_b32_e32 v14, 0x3b800000
	v_lshlrev_b32_e32 v11, 20, v11
	v_and_b32_e32 v13, 0x80000000, v13
	v_lshl_add_u32 v12, v12, 23, v14
	v_or3_b32 v12, v13, v12, v11
.LBB49_912:
	s_or_b64 exec, exec, s[6:7]
	s_nop 0
	v_mfma_f32_16x16x4f32 a[0:3], v10, v12, a[0:3]
	s_movk_i32 s4, 0xff
	v_and_b32_sdwa v11, v6, s4 dst_sel:DWORD dst_unused:UNUSED_PAD src0_sel:WORD_1 src1_sel:DWORD
	s_movk_i32 s4, 0x7f
	v_cmp_lt_i16_e32 vcc, s4, v11
	s_mov_b64 s[4:5], 0
                                        ; implicit-def: $sgpr10
	s_and_saveexec_b64 s[6:7], vcc
	s_xor_b64 s[6:7], exec, s[6:7]
	s_cbranch_execnz .LBB49_2961
; %bb.913:
	s_or_saveexec_b64 s[6:7], s[6:7]
	v_mov_b32_e32 v10, s10
	s_xor_b64 exec, exec, s[6:7]
	s_cbranch_execnz .LBB49_2964
.LBB49_914:
	s_or_b64 exec, exec, s[6:7]
	s_and_saveexec_b64 s[6:7], s[4:5]
	s_cbranch_execz .LBB49_916
.LBB49_915:
	v_bfe_u32 v10, v6, 16, 3
	v_ffbh_u32_e32 v13, v10
	v_min_u32_e32 v13, 32, v13
	v_lshrrev_b32_e32 v11, 19, v6
	v_subrev_u32_e32 v14, 28, v13
	v_and_b32_e32 v11, 15, v11
	v_lshlrev_b32_sdwa v14, v14, v6 dst_sel:DWORD dst_unused:UNUSED_PAD src0_sel:DWORD src1_sel:WORD_1
	v_bfe_u32 v12, v6, 19, 4
	v_sub_u32_e32 v13, 29, v13
	v_and_b32_e32 v14, 7, v14
	v_cmp_eq_u16_e32 vcc, 0, v11
	v_cndmask_b32_e32 v10, v10, v14, vcc
	v_cndmask_b32_e32 v11, v12, v13, vcc
	v_lshlrev_b32_e32 v12, 8, v6
	v_mov_b32_e32 v13, 0x3b800000
	v_lshlrev_b32_e32 v10, 20, v10
	v_and_b32_e32 v12, 0x80000000, v12
	v_lshl_add_u32 v11, v11, 23, v13
	v_or3_b32 v10, v12, v11, v10
.LBB49_916:
	s_or_b64 exec, exec, s[6:7]
	s_movk_i32 s4, 0xff
	v_and_b32_sdwa v11, v2, s4 dst_sel:DWORD dst_unused:UNUSED_PAD src0_sel:WORD_1 src1_sel:DWORD
	s_movk_i32 s4, 0x7f
	v_cmp_lt_i16_e32 vcc, s4, v11
	s_mov_b64 s[4:5], 0
                                        ; implicit-def: $sgpr10
	s_and_saveexec_b64 s[6:7], vcc
	s_xor_b64 s[6:7], exec, s[6:7]
	s_cbranch_execnz .LBB49_2965
; %bb.917:
	s_or_saveexec_b64 s[6:7], s[6:7]
	v_mov_b32_e32 v12, s10
	s_xor_b64 exec, exec, s[6:7]
	s_cbranch_execnz .LBB49_2968
.LBB49_918:
	s_or_b64 exec, exec, s[6:7]
	s_and_saveexec_b64 s[6:7], s[4:5]
	s_cbranch_execz .LBB49_920
.LBB49_919:
	v_bfe_u32 v11, v2, 16, 3
	v_ffbh_u32_e32 v14, v11
	v_min_u32_e32 v14, 32, v14
	v_lshrrev_b32_e32 v12, 19, v2
	v_subrev_u32_e32 v15, 28, v14
	v_and_b32_e32 v12, 15, v12
	v_lshlrev_b32_sdwa v15, v15, v2 dst_sel:DWORD dst_unused:UNUSED_PAD src0_sel:DWORD src1_sel:WORD_1
	v_bfe_u32 v13, v2, 19, 4
	v_sub_u32_e32 v14, 29, v14
	v_and_b32_e32 v15, 7, v15
	v_cmp_eq_u16_e32 vcc, 0, v12
	v_cndmask_b32_e32 v11, v11, v15, vcc
	v_cndmask_b32_e32 v12, v13, v14, vcc
	v_lshlrev_b32_e32 v13, 8, v2
	v_mov_b32_e32 v14, 0x3b800000
	v_lshlrev_b32_e32 v11, 20, v11
	v_and_b32_e32 v13, 0x80000000, v13
	v_lshl_add_u32 v12, v12, 23, v14
	v_or3_b32 v12, v13, v12, v11
.LBB49_920:
	s_or_b64 exec, exec, s[6:7]
	s_nop 0
	v_mfma_f32_16x16x4f32 a[0:3], v10, v12, a[0:3]
	s_movk_i32 s4, 0x7f
	v_cmp_gt_i16_sdwa s[6:7], v6, s4 src0_sel:BYTE_3 src1_sel:DWORD
	s_mov_b64 s[4:5], 0
                                        ; implicit-def: $sgpr10
	s_and_saveexec_b64 s[8:9], s[6:7]
	s_xor_b64 s[6:7], exec, s[8:9]
	s_cbranch_execnz .LBB49_2969
; %bb.921:
	s_or_saveexec_b64 s[6:7], s[6:7]
	v_mov_b32_e32 v10, s10
	s_xor_b64 exec, exec, s[6:7]
	s_cbranch_execnz .LBB49_2972
.LBB49_922:
	s_or_b64 exec, exec, s[6:7]
	s_and_saveexec_b64 s[6:7], s[4:5]
	s_cbranch_execz .LBB49_924
.LBB49_923:
	v_bfe_u32 v10, v6, 24, 3
	v_ffbh_u32_e32 v14, v10
	v_min_u32_e32 v14, 32, v14
	v_lshrrev_b32_e32 v12, 27, v6
	v_subrev_u32_e32 v15, 28, v14
	v_and_b32_e32 v11, 0x80000000, v6
	v_and_b32_e32 v12, 15, v12
	v_bfe_u32 v13, v6, 27, 4
	v_lshlrev_b32_sdwa v6, v15, v6 dst_sel:DWORD dst_unused:UNUSED_PAD src0_sel:DWORD src1_sel:BYTE_3
	v_sub_u32_e32 v14, 29, v14
	v_and_b32_e32 v6, 7, v6
	v_cmp_eq_u16_e32 vcc, 0, v12
	v_cndmask_b32_e32 v6, v10, v6, vcc
	v_cndmask_b32_e32 v10, v13, v14, vcc
	v_mov_b32_e32 v12, 0x3b800000
	v_lshlrev_b32_e32 v6, 20, v6
	v_lshl_add_u32 v10, v10, 23, v12
	v_or3_b32 v10, v11, v10, v6
.LBB49_924:
	s_or_b64 exec, exec, s[6:7]
	s_movk_i32 s4, 0x7f
	v_cmp_gt_i16_sdwa s[6:7], v2, s4 src0_sel:BYTE_3 src1_sel:DWORD
	s_mov_b64 s[4:5], 0
                                        ; implicit-def: $sgpr10
	s_and_saveexec_b64 s[8:9], s[6:7]
	s_xor_b64 s[6:7], exec, s[8:9]
	s_cbranch_execnz .LBB49_2973
; %bb.925:
	s_or_saveexec_b64 s[6:7], s[6:7]
	v_mov_b32_e32 v6, s10
	s_xor_b64 exec, exec, s[6:7]
	s_cbranch_execnz .LBB49_2976
.LBB49_926:
	s_or_b64 exec, exec, s[6:7]
	s_and_saveexec_b64 s[6:7], s[4:5]
	s_cbranch_execz .LBB49_928
.LBB49_927:
	v_bfe_u32 v6, v2, 24, 3
	v_ffbh_u32_e32 v14, v6
	v_min_u32_e32 v14, 32, v14
	v_lshrrev_b32_e32 v12, 27, v2
	v_subrev_u32_e32 v15, 28, v14
	v_and_b32_e32 v11, 0x80000000, v2
	v_and_b32_e32 v12, 15, v12
	v_bfe_u32 v13, v2, 27, 4
	v_lshlrev_b32_sdwa v2, v15, v2 dst_sel:DWORD dst_unused:UNUSED_PAD src0_sel:DWORD src1_sel:BYTE_3
	v_sub_u32_e32 v14, 29, v14
	v_and_b32_e32 v2, 7, v2
	v_cmp_eq_u16_e32 vcc, 0, v12
	v_cndmask_b32_e32 v2, v6, v2, vcc
	v_cndmask_b32_e32 v6, v13, v14, vcc
	v_mov_b32_e32 v12, 0x3b800000
	v_lshlrev_b32_e32 v2, 20, v2
	v_lshl_add_u32 v6, v6, 23, v12
	v_or3_b32 v6, v11, v6, v2
.LBB49_928:
	s_or_b64 exec, exec, s[6:7]
	s_nop 0
	v_mfma_f32_16x16x4f32 a[0:3], v10, v6, a[0:3]
	s_movk_i32 s4, 0x7f
	v_cmp_gt_i16_sdwa s[6:7], v7, s4 src0_sel:BYTE_0 src1_sel:DWORD
	s_mov_b64 s[4:5], 0
                                        ; implicit-def: $sgpr10
	s_and_saveexec_b64 s[8:9], s[6:7]
	s_xor_b64 s[6:7], exec, s[8:9]
	s_cbranch_execnz .LBB49_2977
; %bb.929:
	s_or_saveexec_b64 s[6:7], s[6:7]
	v_mov_b32_e32 v2, s10
	s_xor_b64 exec, exec, s[6:7]
	s_cbranch_execnz .LBB49_2980
.LBB49_930:
	s_or_b64 exec, exec, s[6:7]
	s_and_saveexec_b64 s[6:7], s[4:5]
	s_cbranch_execz .LBB49_932
.LBB49_931:
	v_and_b32_e32 v2, 7, v7
	v_ffbh_u32_e32 v10, v2
	v_min_u32_e32 v10, 32, v10
	v_lshrrev_b16_e32 v6, 3, v7
	v_subrev_u32_e32 v11, 28, v10
	v_and_b32_e32 v6, 15, v6
	v_lshlrev_b32_e32 v11, v11, v7
	v_sub_u32_e32 v10, 29, v10
	v_and_b32_e32 v11, 7, v11
	v_cmp_eq_u16_e32 vcc, 0, v6
	v_cndmask_b32_e32 v2, v2, v11, vcc
	v_cndmask_b32_e32 v6, v6, v10, vcc
	v_lshlrev_b32_e32 v10, 24, v7
	v_mov_b32_e32 v11, 0x3b800000
	v_lshlrev_b32_e32 v2, 20, v2
	v_and_b32_e32 v10, 0x80000000, v10
	v_lshl_add_u32 v6, v6, 23, v11
	v_or3_b32 v2, v10, v6, v2
.LBB49_932:
	s_or_b64 exec, exec, s[6:7]
	s_movk_i32 s4, 0x7f
	v_cmp_gt_i16_sdwa s[6:7], v3, s4 src0_sel:BYTE_0 src1_sel:DWORD
	s_mov_b64 s[4:5], 0
                                        ; implicit-def: $sgpr10
	s_and_saveexec_b64 s[8:9], s[6:7]
	s_xor_b64 s[6:7], exec, s[8:9]
	s_cbranch_execnz .LBB49_2981
; %bb.933:
	s_or_saveexec_b64 s[6:7], s[6:7]
	v_mov_b32_e32 v6, s10
	s_xor_b64 exec, exec, s[6:7]
	s_cbranch_execnz .LBB49_2984
.LBB49_934:
	s_or_b64 exec, exec, s[6:7]
	s_and_saveexec_b64 s[6:7], s[4:5]
	s_cbranch_execz .LBB49_936
.LBB49_935:
	v_and_b32_e32 v6, 7, v3
	v_ffbh_u32_e32 v11, v6
	v_min_u32_e32 v11, 32, v11
	v_lshrrev_b16_e32 v10, 3, v3
	v_subrev_u32_e32 v12, 28, v11
	v_and_b32_e32 v10, 15, v10
	v_lshlrev_b32_e32 v12, v12, v3
	v_sub_u32_e32 v11, 29, v11
	v_and_b32_e32 v12, 7, v12
	v_cmp_eq_u16_e32 vcc, 0, v10
	v_cndmask_b32_e32 v6, v6, v12, vcc
	v_cndmask_b32_e32 v10, v10, v11, vcc
	v_lshlrev_b32_e32 v11, 24, v3
	v_mov_b32_e32 v12, 0x3b800000
	v_lshlrev_b32_e32 v6, 20, v6
	v_and_b32_e32 v11, 0x80000000, v11
	v_lshl_add_u32 v10, v10, 23, v12
	v_or3_b32 v6, v11, v10, v6
.LBB49_936:
	s_or_b64 exec, exec, s[6:7]
	s_nop 0
	v_mfma_f32_16x16x4f32 a[0:3], v2, v6, a[0:3]
	v_lshrrev_b32_e32 v6, 8, v7
	s_movk_i32 s4, 0x7f
	v_cmp_gt_i16_sdwa s[6:7], v6, s4 src0_sel:BYTE_0 src1_sel:DWORD
	s_mov_b64 s[4:5], 0
                                        ; implicit-def: $sgpr10
	s_and_saveexec_b64 s[8:9], s[6:7]
	s_xor_b64 s[6:7], exec, s[8:9]
	s_cbranch_execnz .LBB49_2985
; %bb.937:
	s_or_saveexec_b64 s[6:7], s[6:7]
	v_mov_b32_e32 v2, s10
	s_xor_b64 exec, exec, s[6:7]
	s_cbranch_execnz .LBB49_2988
.LBB49_938:
	s_or_b64 exec, exec, s[6:7]
	s_and_saveexec_b64 s[6:7], s[4:5]
	s_cbranch_execz .LBB49_940
.LBB49_939:
	v_bfe_u32 v2, v7, 8, 3
	v_ffbh_u32_e32 v11, v2
	v_min_u32_e32 v11, 32, v11
	v_lshrrev_b16_e32 v10, 3, v6
	v_subrev_u32_e32 v12, 28, v11
	v_and_b32_e32 v10, 15, v10
	v_lshlrev_b32_e32 v6, v12, v6
	v_sub_u32_e32 v11, 29, v11
	v_and_b32_e32 v6, 7, v6
	v_cmp_eq_u16_e32 vcc, 0, v10
	v_cndmask_b32_e32 v2, v2, v6, vcc
	v_cndmask_b32_e32 v6, v10, v11, vcc
	v_lshlrev_b32_e32 v10, 16, v7
	v_mov_b32_e32 v11, 0x3b800000
	v_lshlrev_b32_e32 v2, 20, v2
	v_and_b32_e32 v10, 0x80000000, v10
	v_lshl_add_u32 v6, v6, 23, v11
	v_or3_b32 v2, v10, v6, v2
.LBB49_940:
	s_or_b64 exec, exec, s[6:7]
	v_lshrrev_b32_e32 v6, 8, v3
	s_movk_i32 s4, 0x7f
	v_cmp_gt_i16_sdwa s[6:7], v6, s4 src0_sel:BYTE_0 src1_sel:DWORD
	s_mov_b64 s[4:5], 0
                                        ; implicit-def: $sgpr10
	s_and_saveexec_b64 s[8:9], s[6:7]
	s_xor_b64 s[6:7], exec, s[8:9]
	s_cbranch_execnz .LBB49_2989
; %bb.941:
	s_or_saveexec_b64 s[6:7], s[6:7]
	v_mov_b32_e32 v10, s10
	s_xor_b64 exec, exec, s[6:7]
	s_cbranch_execnz .LBB49_2992
.LBB49_942:
	s_or_b64 exec, exec, s[6:7]
	s_and_saveexec_b64 s[6:7], s[4:5]
	s_cbranch_execz .LBB49_944
.LBB49_943:
	v_bfe_u32 v10, v3, 8, 3
	v_ffbh_u32_e32 v12, v10
	v_min_u32_e32 v12, 32, v12
	v_lshrrev_b16_e32 v11, 3, v6
	v_subrev_u32_e32 v13, 28, v12
	v_and_b32_e32 v11, 15, v11
	v_lshlrev_b32_e32 v6, v13, v6
	v_sub_u32_e32 v12, 29, v12
	v_and_b32_e32 v6, 7, v6
	v_cmp_eq_u16_e32 vcc, 0, v11
	v_cndmask_b32_e32 v6, v10, v6, vcc
	v_cndmask_b32_e32 v10, v11, v12, vcc
	v_lshlrev_b32_e32 v11, 16, v3
	v_mov_b32_e32 v12, 0x3b800000
	v_lshlrev_b32_e32 v6, 20, v6
	v_and_b32_e32 v11, 0x80000000, v11
	v_lshl_add_u32 v10, v10, 23, v12
	v_or3_b32 v10, v11, v10, v6
.LBB49_944:
	s_or_b64 exec, exec, s[6:7]
	s_nop 0
	v_mfma_f32_16x16x4f32 a[0:3], v2, v10, a[0:3]
	s_movk_i32 s4, 0xff
	v_and_b32_sdwa v6, v7, s4 dst_sel:DWORD dst_unused:UNUSED_PAD src0_sel:WORD_1 src1_sel:DWORD
	s_movk_i32 s4, 0x7f
	v_cmp_lt_i16_e32 vcc, s4, v6
	s_mov_b64 s[4:5], 0
                                        ; implicit-def: $sgpr10
	s_and_saveexec_b64 s[6:7], vcc
	s_xor_b64 s[6:7], exec, s[6:7]
	s_cbranch_execnz .LBB49_2993
; %bb.945:
	s_or_saveexec_b64 s[6:7], s[6:7]
	v_mov_b32_e32 v2, s10
	s_xor_b64 exec, exec, s[6:7]
	s_cbranch_execnz .LBB49_2996
.LBB49_946:
	s_or_b64 exec, exec, s[6:7]
	s_and_saveexec_b64 s[6:7], s[4:5]
	s_cbranch_execz .LBB49_948
.LBB49_947:
	v_bfe_u32 v2, v7, 16, 3
	v_ffbh_u32_e32 v11, v2
	v_min_u32_e32 v11, 32, v11
	v_lshrrev_b32_e32 v6, 19, v7
	v_subrev_u32_e32 v12, 28, v11
	v_and_b32_e32 v6, 15, v6
	v_lshlrev_b32_sdwa v12, v12, v7 dst_sel:DWORD dst_unused:UNUSED_PAD src0_sel:DWORD src1_sel:WORD_1
	v_bfe_u32 v10, v7, 19, 4
	v_sub_u32_e32 v11, 29, v11
	v_and_b32_e32 v12, 7, v12
	v_cmp_eq_u16_e32 vcc, 0, v6
	v_cndmask_b32_e32 v2, v2, v12, vcc
	v_cndmask_b32_e32 v6, v10, v11, vcc
	v_lshlrev_b32_e32 v10, 8, v7
	v_mov_b32_e32 v11, 0x3b800000
	v_lshlrev_b32_e32 v2, 20, v2
	v_and_b32_e32 v10, 0x80000000, v10
	v_lshl_add_u32 v6, v6, 23, v11
	v_or3_b32 v2, v10, v6, v2
.LBB49_948:
	s_or_b64 exec, exec, s[6:7]
	s_movk_i32 s4, 0xff
	v_and_b32_sdwa v6, v3, s4 dst_sel:DWORD dst_unused:UNUSED_PAD src0_sel:WORD_1 src1_sel:DWORD
	s_movk_i32 s4, 0x7f
	v_cmp_lt_i16_e32 vcc, s4, v6
	s_mov_b64 s[4:5], 0
                                        ; implicit-def: $sgpr10
	s_and_saveexec_b64 s[6:7], vcc
	s_xor_b64 s[6:7], exec, s[6:7]
	s_cbranch_execnz .LBB49_2997
; %bb.949:
	s_or_saveexec_b64 s[6:7], s[6:7]
	v_mov_b32_e32 v10, s10
	s_xor_b64 exec, exec, s[6:7]
	s_cbranch_execnz .LBB49_3000
.LBB49_950:
	s_or_b64 exec, exec, s[6:7]
	s_and_saveexec_b64 s[6:7], s[4:5]
	s_cbranch_execz .LBB49_952
.LBB49_951:
	v_bfe_u32 v6, v3, 16, 3
	v_ffbh_u32_e32 v12, v6
	v_min_u32_e32 v12, 32, v12
	v_lshrrev_b32_e32 v10, 19, v3
	v_subrev_u32_e32 v13, 28, v12
	v_and_b32_e32 v10, 15, v10
	v_lshlrev_b32_sdwa v13, v13, v3 dst_sel:DWORD dst_unused:UNUSED_PAD src0_sel:DWORD src1_sel:WORD_1
	v_bfe_u32 v11, v3, 19, 4
	v_sub_u32_e32 v12, 29, v12
	v_and_b32_e32 v13, 7, v13
	v_cmp_eq_u16_e32 vcc, 0, v10
	v_cndmask_b32_e32 v6, v6, v13, vcc
	v_cndmask_b32_e32 v10, v11, v12, vcc
	v_lshlrev_b32_e32 v11, 8, v3
	v_mov_b32_e32 v12, 0x3b800000
	v_lshlrev_b32_e32 v6, 20, v6
	v_and_b32_e32 v11, 0x80000000, v11
	v_lshl_add_u32 v10, v10, 23, v12
	v_or3_b32 v10, v11, v10, v6
.LBB49_952:
	s_or_b64 exec, exec, s[6:7]
	s_nop 0
	v_mfma_f32_16x16x4f32 a[0:3], v2, v10, a[0:3]
	s_movk_i32 s4, 0x7f
	v_cmp_gt_i16_sdwa s[6:7], v7, s4 src0_sel:BYTE_3 src1_sel:DWORD
	s_mov_b64 s[4:5], 0
                                        ; implicit-def: $sgpr10
	s_and_saveexec_b64 s[8:9], s[6:7]
	s_xor_b64 s[6:7], exec, s[8:9]
	s_cbranch_execnz .LBB49_3001
; %bb.953:
	s_or_saveexec_b64 s[6:7], s[6:7]
	v_mov_b32_e32 v2, s10
	s_xor_b64 exec, exec, s[6:7]
	s_cbranch_execnz .LBB49_3004
.LBB49_954:
	s_or_b64 exec, exec, s[6:7]
	s_and_saveexec_b64 s[6:7], s[4:5]
	s_cbranch_execz .LBB49_956
.LBB49_955:
	v_bfe_u32 v2, v7, 24, 3
	v_ffbh_u32_e32 v12, v2
	v_min_u32_e32 v12, 32, v12
	v_lshrrev_b32_e32 v10, 27, v7
	v_subrev_u32_e32 v13, 28, v12
	v_and_b32_e32 v6, 0x80000000, v7
	v_and_b32_e32 v10, 15, v10
	v_bfe_u32 v11, v7, 27, 4
	v_lshlrev_b32_sdwa v7, v13, v7 dst_sel:DWORD dst_unused:UNUSED_PAD src0_sel:DWORD src1_sel:BYTE_3
	v_sub_u32_e32 v12, 29, v12
	v_and_b32_e32 v7, 7, v7
	v_cmp_eq_u16_e32 vcc, 0, v10
	v_cndmask_b32_e32 v2, v2, v7, vcc
	v_cndmask_b32_e32 v7, v11, v12, vcc
	v_mov_b32_e32 v10, 0x3b800000
	v_lshlrev_b32_e32 v2, 20, v2
	v_lshl_add_u32 v7, v7, 23, v10
	v_or3_b32 v2, v6, v7, v2
.LBB49_956:
	s_or_b64 exec, exec, s[6:7]
	s_movk_i32 s4, 0x7f
	v_cmp_gt_i16_sdwa s[6:7], v3, s4 src0_sel:BYTE_3 src1_sel:DWORD
	s_mov_b64 s[4:5], 0
                                        ; implicit-def: $sgpr10
	s_and_saveexec_b64 s[8:9], s[6:7]
	s_xor_b64 s[6:7], exec, s[8:9]
	s_cbranch_execnz .LBB49_3005
; %bb.957:
	s_or_saveexec_b64 s[6:7], s[6:7]
	v_mov_b32_e32 v6, s10
	s_xor_b64 exec, exec, s[6:7]
	s_cbranch_execnz .LBB49_3008
.LBB49_958:
	s_or_b64 exec, exec, s[6:7]
	s_and_saveexec_b64 s[6:7], s[4:5]
	s_cbranch_execz .LBB49_960
.LBB49_959:
	v_bfe_u32 v6, v3, 24, 3
	v_ffbh_u32_e32 v12, v6
	v_min_u32_e32 v12, 32, v12
	v_lshrrev_b32_e32 v10, 27, v3
	v_subrev_u32_e32 v13, 28, v12
	v_and_b32_e32 v7, 0x80000000, v3
	v_and_b32_e32 v10, 15, v10
	v_bfe_u32 v11, v3, 27, 4
	v_lshlrev_b32_sdwa v3, v13, v3 dst_sel:DWORD dst_unused:UNUSED_PAD src0_sel:DWORD src1_sel:BYTE_3
	v_sub_u32_e32 v12, 29, v12
	v_and_b32_e32 v3, 7, v3
	v_cmp_eq_u16_e32 vcc, 0, v10
	v_cndmask_b32_e32 v3, v6, v3, vcc
	v_cndmask_b32_e32 v6, v11, v12, vcc
	v_mov_b32_e32 v10, 0x3b800000
	v_lshlrev_b32_e32 v3, 20, v3
	v_lshl_add_u32 v6, v6, 23, v10
	v_or3_b32 v6, v7, v6, v3
.LBB49_960:
	s_or_b64 exec, exec, s[6:7]
	s_nop 0
	v_mfma_f32_16x16x4f32 a[0:3], v2, v6, a[0:3]
	s_movk_i32 s4, 0x7f
	v_cmp_gt_i16_sdwa s[6:7], v8, s4 src0_sel:BYTE_0 src1_sel:DWORD
	s_mov_b64 s[4:5], 0
                                        ; implicit-def: $sgpr10
	s_and_saveexec_b64 s[8:9], s[6:7]
	s_xor_b64 s[6:7], exec, s[8:9]
	s_cbranch_execnz .LBB49_3009
; %bb.961:
	s_or_saveexec_b64 s[6:7], s[6:7]
	v_mov_b32_e32 v2, s10
	s_xor_b64 exec, exec, s[6:7]
	s_cbranch_execnz .LBB49_3012
.LBB49_962:
	s_or_b64 exec, exec, s[6:7]
	s_and_saveexec_b64 s[6:7], s[4:5]
	s_cbranch_execz .LBB49_964
.LBB49_963:
	v_and_b32_e32 v2, 7, v8
	v_ffbh_u32_e32 v6, v2
	v_min_u32_e32 v6, 32, v6
	v_lshrrev_b16_e32 v3, 3, v8
	v_subrev_u32_e32 v7, 28, v6
	v_and_b32_e32 v3, 15, v3
	v_lshlrev_b32_e32 v7, v7, v8
	v_sub_u32_e32 v6, 29, v6
	v_and_b32_e32 v7, 7, v7
	v_cmp_eq_u16_e32 vcc, 0, v3
	v_cndmask_b32_e32 v2, v2, v7, vcc
	v_cndmask_b32_e32 v3, v3, v6, vcc
	v_lshlrev_b32_e32 v6, 24, v8
	v_mov_b32_e32 v7, 0x3b800000
	v_lshlrev_b32_e32 v2, 20, v2
	v_and_b32_e32 v6, 0x80000000, v6
	v_lshl_add_u32 v3, v3, 23, v7
	v_or3_b32 v2, v6, v3, v2
.LBB49_964:
	s_or_b64 exec, exec, s[6:7]
	s_movk_i32 s4, 0x7f
	v_cmp_gt_i16_sdwa s[6:7], v4, s4 src0_sel:BYTE_0 src1_sel:DWORD
	s_mov_b64 s[4:5], 0
                                        ; implicit-def: $sgpr10
	s_and_saveexec_b64 s[8:9], s[6:7]
	s_xor_b64 s[6:7], exec, s[8:9]
	s_cbranch_execnz .LBB49_3013
; %bb.965:
	s_or_saveexec_b64 s[6:7], s[6:7]
	v_mov_b32_e32 v3, s10
	s_xor_b64 exec, exec, s[6:7]
	s_cbranch_execnz .LBB49_3016
.LBB49_966:
	s_or_b64 exec, exec, s[6:7]
	s_and_saveexec_b64 s[6:7], s[4:5]
	s_cbranch_execz .LBB49_968
.LBB49_967:
	v_and_b32_e32 v3, 7, v4
	v_ffbh_u32_e32 v7, v3
	v_min_u32_e32 v7, 32, v7
	v_lshrrev_b16_e32 v6, 3, v4
	v_subrev_u32_e32 v10, 28, v7
	v_and_b32_e32 v6, 15, v6
	v_lshlrev_b32_e32 v10, v10, v4
	v_sub_u32_e32 v7, 29, v7
	v_and_b32_e32 v10, 7, v10
	v_cmp_eq_u16_e32 vcc, 0, v6
	v_cndmask_b32_e32 v3, v3, v10, vcc
	v_cndmask_b32_e32 v6, v6, v7, vcc
	v_lshlrev_b32_e32 v7, 24, v4
	v_mov_b32_e32 v10, 0x3b800000
	v_lshlrev_b32_e32 v3, 20, v3
	v_and_b32_e32 v7, 0x80000000, v7
	v_lshl_add_u32 v6, v6, 23, v10
	v_or3_b32 v3, v7, v6, v3
.LBB49_968:
	s_or_b64 exec, exec, s[6:7]
	s_nop 0
	v_mfma_f32_16x16x4f32 a[0:3], v2, v3, a[0:3]
	v_lshrrev_b32_e32 v3, 8, v8
	s_movk_i32 s4, 0x7f
	v_cmp_gt_i16_sdwa s[6:7], v3, s4 src0_sel:BYTE_0 src1_sel:DWORD
	s_mov_b64 s[4:5], 0
                                        ; implicit-def: $sgpr10
	s_and_saveexec_b64 s[8:9], s[6:7]
	s_xor_b64 s[6:7], exec, s[8:9]
	s_cbranch_execnz .LBB49_3017
; %bb.969:
	s_or_saveexec_b64 s[6:7], s[6:7]
	v_mov_b32_e32 v2, s10
	s_xor_b64 exec, exec, s[6:7]
	s_cbranch_execnz .LBB49_3020
.LBB49_970:
	s_or_b64 exec, exec, s[6:7]
	s_and_saveexec_b64 s[6:7], s[4:5]
	s_cbranch_execz .LBB49_972
.LBB49_971:
	v_bfe_u32 v2, v8, 8, 3
	v_ffbh_u32_e32 v7, v2
	v_min_u32_e32 v7, 32, v7
	v_lshrrev_b16_e32 v6, 3, v3
	v_subrev_u32_e32 v10, 28, v7
	v_and_b32_e32 v6, 15, v6
	v_lshlrev_b32_e32 v3, v10, v3
	v_sub_u32_e32 v7, 29, v7
	v_and_b32_e32 v3, 7, v3
	v_cmp_eq_u16_e32 vcc, 0, v6
	v_cndmask_b32_e32 v2, v2, v3, vcc
	v_cndmask_b32_e32 v3, v6, v7, vcc
	v_lshlrev_b32_e32 v6, 16, v8
	v_mov_b32_e32 v7, 0x3b800000
	v_lshlrev_b32_e32 v2, 20, v2
	v_and_b32_e32 v6, 0x80000000, v6
	v_lshl_add_u32 v3, v3, 23, v7
	v_or3_b32 v2, v6, v3, v2
.LBB49_972:
	s_or_b64 exec, exec, s[6:7]
	v_lshrrev_b32_e32 v3, 8, v4
	s_movk_i32 s4, 0x7f
	v_cmp_gt_i16_sdwa s[6:7], v3, s4 src0_sel:BYTE_0 src1_sel:DWORD
	s_mov_b64 s[4:5], 0
                                        ; implicit-def: $sgpr10
	s_and_saveexec_b64 s[8:9], s[6:7]
	s_xor_b64 s[6:7], exec, s[8:9]
	s_cbranch_execnz .LBB49_3021
; %bb.973:
	s_or_saveexec_b64 s[6:7], s[6:7]
	v_mov_b32_e32 v6, s10
	s_xor_b64 exec, exec, s[6:7]
	s_cbranch_execnz .LBB49_3024
.LBB49_974:
	s_or_b64 exec, exec, s[6:7]
	s_and_saveexec_b64 s[6:7], s[4:5]
	s_cbranch_execz .LBB49_976
.LBB49_975:
	v_bfe_u32 v6, v4, 8, 3
	v_ffbh_u32_e32 v10, v6
	v_min_u32_e32 v10, 32, v10
	v_lshrrev_b16_e32 v7, 3, v3
	v_subrev_u32_e32 v11, 28, v10
	v_and_b32_e32 v7, 15, v7
	v_lshlrev_b32_e32 v3, v11, v3
	v_sub_u32_e32 v10, 29, v10
	v_and_b32_e32 v3, 7, v3
	v_cmp_eq_u16_e32 vcc, 0, v7
	v_cndmask_b32_e32 v3, v6, v3, vcc
	v_cndmask_b32_e32 v6, v7, v10, vcc
	v_lshlrev_b32_e32 v7, 16, v4
	v_mov_b32_e32 v10, 0x3b800000
	v_lshlrev_b32_e32 v3, 20, v3
	v_and_b32_e32 v7, 0x80000000, v7
	v_lshl_add_u32 v6, v6, 23, v10
	v_or3_b32 v6, v7, v6, v3
.LBB49_976:
	s_or_b64 exec, exec, s[6:7]
	s_nop 0
	v_mfma_f32_16x16x4f32 a[0:3], v2, v6, a[0:3]
	s_movk_i32 s4, 0xff
	v_and_b32_sdwa v3, v8, s4 dst_sel:DWORD dst_unused:UNUSED_PAD src0_sel:WORD_1 src1_sel:DWORD
	s_movk_i32 s4, 0x7f
	v_cmp_lt_i16_e32 vcc, s4, v3
	s_mov_b64 s[4:5], 0
                                        ; implicit-def: $sgpr10
	s_and_saveexec_b64 s[6:7], vcc
	s_xor_b64 s[6:7], exec, s[6:7]
	s_cbranch_execnz .LBB49_3025
; %bb.977:
	s_or_saveexec_b64 s[6:7], s[6:7]
	v_mov_b32_e32 v2, s10
	s_xor_b64 exec, exec, s[6:7]
	s_cbranch_execnz .LBB49_3028
.LBB49_978:
	s_or_b64 exec, exec, s[6:7]
	s_and_saveexec_b64 s[6:7], s[4:5]
	s_cbranch_execz .LBB49_980
.LBB49_979:
	v_bfe_u32 v2, v8, 16, 3
	v_ffbh_u32_e32 v7, v2
	v_min_u32_e32 v7, 32, v7
	v_lshrrev_b32_e32 v3, 19, v8
	v_subrev_u32_e32 v10, 28, v7
	v_and_b32_e32 v3, 15, v3
	v_lshlrev_b32_sdwa v10, v10, v8 dst_sel:DWORD dst_unused:UNUSED_PAD src0_sel:DWORD src1_sel:WORD_1
	v_bfe_u32 v6, v8, 19, 4
	v_sub_u32_e32 v7, 29, v7
	v_and_b32_e32 v10, 7, v10
	v_cmp_eq_u16_e32 vcc, 0, v3
	v_cndmask_b32_e32 v2, v2, v10, vcc
	v_cndmask_b32_e32 v3, v6, v7, vcc
	v_lshlrev_b32_e32 v6, 8, v8
	v_mov_b32_e32 v7, 0x3b800000
	v_lshlrev_b32_e32 v2, 20, v2
	v_and_b32_e32 v6, 0x80000000, v6
	v_lshl_add_u32 v3, v3, 23, v7
	v_or3_b32 v2, v6, v3, v2
.LBB49_980:
	s_or_b64 exec, exec, s[6:7]
	s_movk_i32 s4, 0xff
	v_and_b32_sdwa v3, v4, s4 dst_sel:DWORD dst_unused:UNUSED_PAD src0_sel:WORD_1 src1_sel:DWORD
	s_movk_i32 s4, 0x7f
	v_cmp_lt_i16_e32 vcc, s4, v3
	s_mov_b64 s[4:5], 0
                                        ; implicit-def: $sgpr10
	s_and_saveexec_b64 s[6:7], vcc
	s_xor_b64 s[6:7], exec, s[6:7]
	s_cbranch_execnz .LBB49_3029
; %bb.981:
	s_or_saveexec_b64 s[6:7], s[6:7]
	v_mov_b32_e32 v6, s10
	s_xor_b64 exec, exec, s[6:7]
	s_cbranch_execnz .LBB49_3032
.LBB49_982:
	s_or_b64 exec, exec, s[6:7]
	s_and_saveexec_b64 s[6:7], s[4:5]
	s_cbranch_execz .LBB49_984
.LBB49_983:
	v_bfe_u32 v3, v4, 16, 3
	v_ffbh_u32_e32 v10, v3
	v_min_u32_e32 v10, 32, v10
	v_lshrrev_b32_e32 v6, 19, v4
	v_subrev_u32_e32 v11, 28, v10
	v_and_b32_e32 v6, 15, v6
	v_lshlrev_b32_sdwa v11, v11, v4 dst_sel:DWORD dst_unused:UNUSED_PAD src0_sel:DWORD src1_sel:WORD_1
	v_bfe_u32 v7, v4, 19, 4
	v_sub_u32_e32 v10, 29, v10
	v_and_b32_e32 v11, 7, v11
	v_cmp_eq_u16_e32 vcc, 0, v6
	v_cndmask_b32_e32 v3, v3, v11, vcc
	v_cndmask_b32_e32 v6, v7, v10, vcc
	v_lshlrev_b32_e32 v7, 8, v4
	v_mov_b32_e32 v10, 0x3b800000
	v_lshlrev_b32_e32 v3, 20, v3
	v_and_b32_e32 v7, 0x80000000, v7
	v_lshl_add_u32 v6, v6, 23, v10
	v_or3_b32 v6, v7, v6, v3
.LBB49_984:
	s_or_b64 exec, exec, s[6:7]
	s_nop 0
	v_mfma_f32_16x16x4f32 a[0:3], v2, v6, a[0:3]
	s_movk_i32 s4, 0x7f
	v_cmp_gt_i16_sdwa s[6:7], v8, s4 src0_sel:BYTE_3 src1_sel:DWORD
	s_mov_b64 s[4:5], 0
                                        ; implicit-def: $sgpr10
	s_and_saveexec_b64 s[8:9], s[6:7]
	s_xor_b64 s[6:7], exec, s[8:9]
	s_cbranch_execnz .LBB49_3033
; %bb.985:
	s_or_saveexec_b64 s[6:7], s[6:7]
	v_mov_b32_e32 v2, s10
	s_xor_b64 exec, exec, s[6:7]
	s_cbranch_execnz .LBB49_3036
.LBB49_986:
	s_or_b64 exec, exec, s[6:7]
	s_and_saveexec_b64 s[6:7], s[4:5]
	s_cbranch_execz .LBB49_988
.LBB49_987:
	v_bfe_u32 v2, v8, 24, 3
	v_ffbh_u32_e32 v10, v2
	v_min_u32_e32 v10, 32, v10
	v_lshrrev_b32_e32 v6, 27, v8
	v_subrev_u32_e32 v11, 28, v10
	v_and_b32_e32 v3, 0x80000000, v8
	v_and_b32_e32 v6, 15, v6
	v_bfe_u32 v7, v8, 27, 4
	v_lshlrev_b32_sdwa v8, v11, v8 dst_sel:DWORD dst_unused:UNUSED_PAD src0_sel:DWORD src1_sel:BYTE_3
	v_sub_u32_e32 v10, 29, v10
	v_and_b32_e32 v8, 7, v8
	v_cmp_eq_u16_e32 vcc, 0, v6
	v_cndmask_b32_e32 v2, v2, v8, vcc
	v_cndmask_b32_e32 v6, v7, v10, vcc
	v_mov_b32_e32 v7, 0x3b800000
	v_lshlrev_b32_e32 v2, 20, v2
	v_lshl_add_u32 v6, v6, 23, v7
	v_or3_b32 v2, v3, v6, v2
.LBB49_988:
	s_or_b64 exec, exec, s[6:7]
	s_movk_i32 s4, 0x7f
	v_cmp_gt_i16_sdwa s[6:7], v4, s4 src0_sel:BYTE_3 src1_sel:DWORD
	s_mov_b64 s[4:5], 0
                                        ; implicit-def: $sgpr10
	s_and_saveexec_b64 s[8:9], s[6:7]
	s_xor_b64 s[6:7], exec, s[8:9]
	s_cbranch_execnz .LBB49_3037
; %bb.989:
	s_or_saveexec_b64 s[6:7], s[6:7]
	v_mov_b32_e32 v3, s10
	s_xor_b64 exec, exec, s[6:7]
	s_cbranch_execnz .LBB49_3040
.LBB49_990:
	s_or_b64 exec, exec, s[6:7]
	s_and_saveexec_b64 s[6:7], s[4:5]
	s_cbranch_execz .LBB49_992
.LBB49_991:
	v_bfe_u32 v3, v4, 24, 3
	v_ffbh_u32_e32 v10, v3
	v_min_u32_e32 v10, 32, v10
	v_lshrrev_b32_e32 v7, 27, v4
	v_subrev_u32_e32 v11, 28, v10
	v_and_b32_e32 v6, 0x80000000, v4
	v_and_b32_e32 v7, 15, v7
	v_bfe_u32 v8, v4, 27, 4
	v_lshlrev_b32_sdwa v4, v11, v4 dst_sel:DWORD dst_unused:UNUSED_PAD src0_sel:DWORD src1_sel:BYTE_3
	v_sub_u32_e32 v10, 29, v10
	v_and_b32_e32 v4, 7, v4
	v_cmp_eq_u16_e32 vcc, 0, v7
	v_cndmask_b32_e32 v3, v3, v4, vcc
	v_cndmask_b32_e32 v4, v8, v10, vcc
	v_mov_b32_e32 v7, 0x3b800000
	v_lshlrev_b32_e32 v3, 20, v3
	v_lshl_add_u32 v4, v4, 23, v7
	v_or3_b32 v3, v6, v4, v3
.LBB49_992:
	s_or_b64 exec, exec, s[6:7]
	s_nop 0
	v_mfma_f32_16x16x4f32 a[0:3], v2, v3, a[0:3]
	s_movk_i32 s4, 0x7f
	v_cmp_gt_i16_sdwa s[6:7], v9, s4 src0_sel:BYTE_0 src1_sel:DWORD
	s_mov_b64 s[4:5], 0
                                        ; implicit-def: $sgpr10
	s_and_saveexec_b64 s[8:9], s[6:7]
	s_xor_b64 s[6:7], exec, s[8:9]
	s_cbranch_execnz .LBB49_3041
; %bb.993:
	s_or_saveexec_b64 s[6:7], s[6:7]
	v_mov_b32_e32 v2, s10
	s_xor_b64 exec, exec, s[6:7]
	s_cbranch_execnz .LBB49_3044
.LBB49_994:
	s_or_b64 exec, exec, s[6:7]
	s_and_saveexec_b64 s[6:7], s[4:5]
	s_cbranch_execz .LBB49_996
.LBB49_995:
	v_mov_b32_e32 v2, 8
	v_and_b32_e32 v3, 7, v9
	v_lshrrev_b32_sdwa v2, v2, v9 dst_sel:BYTE_1 dst_unused:UNUSED_PAD src0_sel:DWORD src1_sel:DWORD
	v_ffbh_u32_e32 v4, v3
	v_or_b32_sdwa v2, v9, v2 dst_sel:DWORD dst_unused:UNUSED_PAD src0_sel:BYTE_0 src1_sel:DWORD
	v_min_u32_e32 v4, 32, v4
	v_lshrrev_b16_e32 v2, 3, v2
	v_subrev_u32_e32 v6, 28, v4
	v_and_b32_e32 v2, 15, v2
	v_lshlrev_b32_e32 v6, v6, v9
	v_sub_u32_e32 v4, 29, v4
	v_and_b32_e32 v6, 7, v6
	v_cmp_eq_u16_e32 vcc, 0, v2
	v_cndmask_b32_e32 v3, v3, v6, vcc
	v_cndmask_b32_e32 v2, v2, v4, vcc
	v_lshlrev_b32_e32 v4, 24, v9
	v_mov_b32_e32 v6, 0x3b800000
	v_lshlrev_b32_e32 v3, 20, v3
	v_and_b32_e32 v4, 0x80000000, v4
	v_lshl_add_u32 v2, v2, 23, v6
	v_or3_b32 v2, v4, v2, v3
.LBB49_996:
	s_or_b64 exec, exec, s[6:7]
	s_movk_i32 s4, 0x7f
	v_cmp_gt_i16_sdwa s[6:7], v5, s4 src0_sel:BYTE_0 src1_sel:DWORD
	s_mov_b64 s[4:5], 0
                                        ; implicit-def: $sgpr10
	s_and_saveexec_b64 s[8:9], s[6:7]
	s_xor_b64 s[6:7], exec, s[8:9]
	s_cbranch_execnz .LBB49_3045
; %bb.997:
	s_or_saveexec_b64 s[6:7], s[6:7]
	v_mov_b32_e32 v3, s10
	s_xor_b64 exec, exec, s[6:7]
	s_cbranch_execnz .LBB49_3048
.LBB49_998:
	s_or_b64 exec, exec, s[6:7]
	s_and_saveexec_b64 s[6:7], s[4:5]
	s_cbranch_execz .LBB49_1000
.LBB49_999:
	v_mov_b32_e32 v3, 8
	v_and_b32_e32 v4, 7, v5
	v_lshrrev_b32_sdwa v3, v3, v5 dst_sel:BYTE_1 dst_unused:UNUSED_PAD src0_sel:DWORD src1_sel:DWORD
	v_ffbh_u32_e32 v6, v4
	v_or_b32_sdwa v3, v5, v3 dst_sel:DWORD dst_unused:UNUSED_PAD src0_sel:BYTE_0 src1_sel:DWORD
	v_min_u32_e32 v6, 32, v6
	v_lshrrev_b16_e32 v3, 3, v3
	v_subrev_u32_e32 v7, 28, v6
	v_and_b32_e32 v3, 15, v3
	v_lshlrev_b32_e32 v7, v7, v5
	v_sub_u32_e32 v6, 29, v6
	v_and_b32_e32 v7, 7, v7
	v_cmp_eq_u16_e32 vcc, 0, v3
	v_cndmask_b32_e32 v4, v4, v7, vcc
	v_cndmask_b32_e32 v3, v3, v6, vcc
	v_lshlrev_b32_e32 v6, 24, v5
	v_mov_b32_e32 v7, 0x3b800000
	v_lshlrev_b32_e32 v4, 20, v4
	v_and_b32_e32 v6, 0x80000000, v6
	v_lshl_add_u32 v3, v3, 23, v7
	v_or3_b32 v3, v6, v3, v4
.LBB49_1000:
	s_or_b64 exec, exec, s[6:7]
	s_nop 0
	v_mfma_f32_16x16x4f32 a[0:3], v2, v3, a[0:3]
	v_lshrrev_b32_e32 v3, 8, v9
	s_movk_i32 s4, 0x7f
	v_cmp_gt_i16_sdwa s[6:7], v3, s4 src0_sel:BYTE_0 src1_sel:DWORD
	s_mov_b64 s[4:5], 0
                                        ; implicit-def: $sgpr10
	s_and_saveexec_b64 s[8:9], s[6:7]
	s_xor_b64 s[6:7], exec, s[8:9]
	s_cbranch_execnz .LBB49_3049
; %bb.1001:
	s_or_saveexec_b64 s[6:7], s[6:7]
	v_mov_b32_e32 v2, s10
	s_xor_b64 exec, exec, s[6:7]
	s_cbranch_execnz .LBB49_3052
.LBB49_1002:
	s_or_b64 exec, exec, s[6:7]
	s_and_saveexec_b64 s[6:7], s[4:5]
	s_cbranch_execz .LBB49_1004
.LBB49_1003:
	v_bfe_u32 v2, v9, 8, 3
	v_ffbh_u32_e32 v6, v2
	v_min_u32_e32 v6, 32, v6
	v_lshrrev_b16_e32 v4, 3, v3
	v_subrev_u32_e32 v7, 28, v6
	v_and_b32_e32 v4, 15, v4
	v_lshlrev_b32_e32 v3, v7, v3
	v_sub_u32_e32 v6, 29, v6
	v_and_b32_e32 v3, 7, v3
	v_cmp_eq_u16_e32 vcc, 0, v4
	v_cndmask_b32_e32 v2, v2, v3, vcc
	v_cndmask_b32_e32 v3, v4, v6, vcc
	v_lshlrev_b32_e32 v4, 16, v9
	v_mov_b32_e32 v6, 0x3b800000
	v_lshlrev_b32_e32 v2, 20, v2
	v_and_b32_e32 v4, 0x80000000, v4
	v_lshl_add_u32 v3, v3, 23, v6
	v_or3_b32 v2, v4, v3, v2
.LBB49_1004:
	s_or_b64 exec, exec, s[6:7]
	v_lshrrev_b32_e32 v3, 8, v5
	s_movk_i32 s4, 0x7f
	v_cmp_gt_i16_sdwa s[6:7], v3, s4 src0_sel:BYTE_0 src1_sel:DWORD
	s_mov_b64 s[4:5], 0
                                        ; implicit-def: $sgpr10
	s_and_saveexec_b64 s[8:9], s[6:7]
	s_xor_b64 s[6:7], exec, s[8:9]
	s_cbranch_execnz .LBB49_3053
; %bb.1005:
	s_or_saveexec_b64 s[6:7], s[6:7]
	v_mov_b32_e32 v4, s10
	s_xor_b64 exec, exec, s[6:7]
	s_cbranch_execnz .LBB49_3056
.LBB49_1006:
	s_or_b64 exec, exec, s[6:7]
	s_and_saveexec_b64 s[6:7], s[4:5]
	s_cbranch_execz .LBB49_1008
.LBB49_1007:
	v_bfe_u32 v4, v5, 8, 3
	v_ffbh_u32_e32 v7, v4
	v_min_u32_e32 v7, 32, v7
	v_lshrrev_b16_e32 v6, 3, v3
	v_subrev_u32_e32 v8, 28, v7
	v_and_b32_e32 v6, 15, v6
	v_lshlrev_b32_e32 v3, v8, v3
	v_sub_u32_e32 v7, 29, v7
	v_and_b32_e32 v3, 7, v3
	v_cmp_eq_u16_e32 vcc, 0, v6
	v_cndmask_b32_e32 v3, v4, v3, vcc
	v_cndmask_b32_e32 v4, v6, v7, vcc
	v_lshlrev_b32_e32 v6, 16, v5
	v_mov_b32_e32 v7, 0x3b800000
	v_lshlrev_b32_e32 v3, 20, v3
	v_and_b32_e32 v6, 0x80000000, v6
	v_lshl_add_u32 v4, v4, 23, v7
	v_or3_b32 v4, v6, v4, v3
.LBB49_1008:
	s_or_b64 exec, exec, s[6:7]
	s_nop 0
	v_mfma_f32_16x16x4f32 a[0:3], v2, v4, a[0:3]
	s_movk_i32 s4, 0xff
	v_and_b32_sdwa v3, v9, s4 dst_sel:DWORD dst_unused:UNUSED_PAD src0_sel:WORD_1 src1_sel:DWORD
	s_movk_i32 s4, 0x7f
	v_cmp_lt_i16_e32 vcc, s4, v3
	s_mov_b64 s[4:5], 0
                                        ; implicit-def: $sgpr10
	s_and_saveexec_b64 s[6:7], vcc
	s_xor_b64 s[6:7], exec, s[6:7]
	s_cbranch_execnz .LBB49_3057
; %bb.1009:
	s_or_saveexec_b64 s[6:7], s[6:7]
	v_mov_b32_e32 v2, s10
	s_xor_b64 exec, exec, s[6:7]
	s_cbranch_execnz .LBB49_3060
.LBB49_1010:
	s_or_b64 exec, exec, s[6:7]
	s_and_saveexec_b64 s[6:7], s[4:5]
	s_cbranch_execz .LBB49_1012
.LBB49_1011:
	v_bfe_u32 v2, v9, 16, 3
	v_ffbh_u32_e32 v6, v2
	v_min_u32_e32 v6, 32, v6
	v_lshrrev_b32_e32 v3, 19, v9
	v_subrev_u32_e32 v7, 28, v6
	v_and_b32_e32 v3, 15, v3
	v_lshlrev_b32_sdwa v7, v7, v9 dst_sel:DWORD dst_unused:UNUSED_PAD src0_sel:DWORD src1_sel:WORD_1
	v_bfe_u32 v4, v9, 19, 4
	v_sub_u32_e32 v6, 29, v6
	v_and_b32_e32 v7, 7, v7
	v_cmp_eq_u16_e32 vcc, 0, v3
	v_cndmask_b32_e32 v2, v2, v7, vcc
	v_cndmask_b32_e32 v3, v4, v6, vcc
	v_lshlrev_b32_e32 v4, 8, v9
	v_mov_b32_e32 v6, 0x3b800000
	v_lshlrev_b32_e32 v2, 20, v2
	v_and_b32_e32 v4, 0x80000000, v4
	v_lshl_add_u32 v3, v3, 23, v6
	v_or3_b32 v2, v4, v3, v2
.LBB49_1012:
	s_or_b64 exec, exec, s[6:7]
	s_movk_i32 s4, 0xff
	v_and_b32_sdwa v3, v5, s4 dst_sel:DWORD dst_unused:UNUSED_PAD src0_sel:WORD_1 src1_sel:DWORD
	s_movk_i32 s4, 0x7f
	v_cmp_lt_i16_e32 vcc, s4, v3
	s_mov_b64 s[4:5], 0
                                        ; implicit-def: $sgpr10
	s_and_saveexec_b64 s[6:7], vcc
	s_xor_b64 s[6:7], exec, s[6:7]
	s_cbranch_execnz .LBB49_3061
; %bb.1013:
	s_or_saveexec_b64 s[6:7], s[6:7]
	v_mov_b32_e32 v4, s10
	s_xor_b64 exec, exec, s[6:7]
	s_cbranch_execnz .LBB49_3064
.LBB49_1014:
	s_or_b64 exec, exec, s[6:7]
	s_and_saveexec_b64 s[6:7], s[4:5]
	s_cbranch_execz .LBB49_1016
.LBB49_1015:
	v_bfe_u32 v3, v5, 16, 3
	v_ffbh_u32_e32 v7, v3
	v_min_u32_e32 v7, 32, v7
	v_lshrrev_b32_e32 v4, 19, v5
	v_subrev_u32_e32 v8, 28, v7
	v_and_b32_e32 v4, 15, v4
	v_lshlrev_b32_sdwa v8, v8, v5 dst_sel:DWORD dst_unused:UNUSED_PAD src0_sel:DWORD src1_sel:WORD_1
	v_bfe_u32 v6, v5, 19, 4
	v_sub_u32_e32 v7, 29, v7
	v_and_b32_e32 v8, 7, v8
	v_cmp_eq_u16_e32 vcc, 0, v4
	v_cndmask_b32_e32 v3, v3, v8, vcc
	v_cndmask_b32_e32 v4, v6, v7, vcc
	v_lshlrev_b32_e32 v6, 8, v5
	v_mov_b32_e32 v7, 0x3b800000
	v_lshlrev_b32_e32 v3, 20, v3
	v_and_b32_e32 v6, 0x80000000, v6
	v_lshl_add_u32 v4, v4, 23, v7
	v_or3_b32 v4, v6, v4, v3
.LBB49_1016:
	s_or_b64 exec, exec, s[6:7]
	s_nop 0
	v_mfma_f32_16x16x4f32 a[0:3], v2, v4, a[0:3]
	s_movk_i32 s4, 0x7f
	v_cmp_gt_i16_sdwa s[6:7], v9, s4 src0_sel:BYTE_3 src1_sel:DWORD
	s_mov_b64 s[4:5], 0
                                        ; implicit-def: $sgpr10
	s_and_saveexec_b64 s[8:9], s[6:7]
	s_xor_b64 s[6:7], exec, s[8:9]
	s_cbranch_execnz .LBB49_3065
; %bb.1017:
	s_or_saveexec_b64 s[6:7], s[6:7]
	v_mov_b32_e32 v2, s10
	s_xor_b64 exec, exec, s[6:7]
	s_cbranch_execnz .LBB49_3068
.LBB49_1018:
	s_or_b64 exec, exec, s[6:7]
	s_and_saveexec_b64 s[6:7], s[4:5]
	s_cbranch_execz .LBB49_1020
.LBB49_1019:
	v_bfe_u32 v2, v9, 24, 3
	v_ffbh_u32_e32 v7, v2
	v_min_u32_e32 v7, 32, v7
	v_lshrrev_b32_e32 v4, 27, v9
	v_subrev_u32_e32 v8, 28, v7
	v_and_b32_e32 v4, 15, v4
	v_lshlrev_b32_sdwa v8, v8, v9 dst_sel:DWORD dst_unused:UNUSED_PAD src0_sel:DWORD src1_sel:BYTE_3
	v_bfe_u32 v6, v9, 27, 4
	v_sub_u32_e32 v7, 29, v7
	v_and_b32_e32 v8, 7, v8
	v_cmp_eq_u16_e32 vcc, 0, v4
	v_cndmask_b32_e32 v2, v2, v8, vcc
	v_cndmask_b32_e32 v4, v6, v7, vcc
	v_mov_b32_e32 v6, 0x3b800000
	v_and_b32_e32 v3, 0x80000000, v9
	v_lshlrev_b32_e32 v2, 20, v2
	v_lshl_add_u32 v4, v4, 23, v6
	v_or3_b32 v2, v3, v4, v2
.LBB49_1020:
	s_or_b64 exec, exec, s[6:7]
	s_movk_i32 s4, 0x7f
	v_cmp_gt_i16_sdwa s[6:7], v5, s4 src0_sel:BYTE_3 src1_sel:DWORD
	s_mov_b64 s[4:5], 0
                                        ; implicit-def: $sgpr10
	s_and_saveexec_b64 s[8:9], s[6:7]
	s_xor_b64 s[6:7], exec, s[8:9]
	s_cbranch_execnz .LBB49_3069
; %bb.1021:
	s_or_saveexec_b64 s[6:7], s[6:7]
	v_mov_b32_e32 v3, s10
	s_xor_b64 exec, exec, s[6:7]
	s_cbranch_execnz .LBB49_3072
.LBB49_1022:
	s_or_b64 exec, exec, s[6:7]
	s_and_saveexec_b64 s[6:7], s[4:5]
	s_cbranch_execz .LBB49_1024
.LBB49_1023:
	v_bfe_u32 v3, v5, 24, 3
	v_ffbh_u32_e32 v8, v3
	v_min_u32_e32 v8, 32, v8
	v_lshrrev_b32_e32 v6, 27, v5
	v_subrev_u32_e32 v9, 28, v8
	v_and_b32_e32 v4, 0x80000000, v5
	v_and_b32_e32 v6, 15, v6
	v_bfe_u32 v7, v5, 27, 4
	v_lshlrev_b32_sdwa v5, v9, v5 dst_sel:DWORD dst_unused:UNUSED_PAD src0_sel:DWORD src1_sel:BYTE_3
	v_sub_u32_e32 v8, 29, v8
	v_and_b32_e32 v5, 7, v5
	v_cmp_eq_u16_e32 vcc, 0, v6
	v_cndmask_b32_e32 v3, v3, v5, vcc
	v_cndmask_b32_e32 v5, v7, v8, vcc
	v_mov_b32_e32 v6, 0x3b800000
	v_lshlrev_b32_e32 v3, 20, v3
	v_lshl_add_u32 v5, v5, 23, v6
	v_or3_b32 v3, v4, v5, v3
.LBB49_1024:
	s_or_b64 exec, exec, s[6:7]
	s_nop 0
	v_mfma_f32_16x16x4f32 a[0:3], v2, v3, a[0:3]
	s_movk_i32 s4, 0x7f
                                        ; implicit-def: $sgpr10
	s_nop 7
	s_nop 1
	flat_store_dwordx4 v[18:19], a[0:3] offset:688
	flat_load_dwordx4 v[20:23], v[0:1] offset:8
	s_nop 0
	flat_load_dwordx2 v[18:19], v[0:1] offset:24
	s_waitcnt vmcnt(0) lgkmcnt(0)
	flat_load_dwordx4 v[14:17], v[20:21] offset:32
	flat_load_dwordx4 v[6:9], v[20:21] offset:48
	;; [unrolled: 1-line block ×4, first 2 shown]
	s_waitcnt vmcnt(0) lgkmcnt(0)
	v_cmp_gt_i16_sdwa s[6:7], v14, s4 src0_sel:BYTE_0 src1_sel:DWORD
	s_mov_b64 s[4:5], 0
	s_and_saveexec_b64 s[8:9], s[6:7]
	s_xor_b64 s[6:7], exec, s[8:9]
	s_cbranch_execnz .LBB49_3073
; %bb.1025:
	s_or_saveexec_b64 s[6:7], s[6:7]
	v_mov_b32_e32 v20, s10
	s_xor_b64 exec, exec, s[6:7]
	s_cbranch_execnz .LBB49_3076
.LBB49_1026:
	s_or_b64 exec, exec, s[6:7]
	s_and_saveexec_b64 s[6:7], s[4:5]
	s_cbranch_execz .LBB49_1028
.LBB49_1027:
	v_and_b32_e32 v20, 7, v14
	v_ffbh_u32_e32 v22, v20
	v_min_u32_e32 v22, 32, v22
	v_lshrrev_b16_e32 v21, 3, v14
	v_subrev_u32_e32 v23, 28, v22
	v_and_b32_e32 v21, 15, v21
	v_lshlrev_b32_e32 v23, v23, v14
	v_sub_u32_e32 v22, 29, v22
	v_and_b32_e32 v23, 7, v23
	v_cmp_eq_u16_e32 vcc, 0, v21
	v_cndmask_b32_e32 v20, v20, v23, vcc
	v_cndmask_b32_e32 v21, v21, v22, vcc
	v_lshlrev_b32_e32 v22, 24, v14
	v_mov_b32_e32 v23, 0x3b800000
	v_lshlrev_b32_e32 v20, 20, v20
	v_and_b32_e32 v22, 0x80000000, v22
	v_lshl_add_u32 v21, v21, 23, v23
	v_or3_b32 v20, v22, v21, v20
.LBB49_1028:
	s_or_b64 exec, exec, s[6:7]
	s_movk_i32 s4, 0x7f
	v_cmp_gt_i16_sdwa s[6:7], v10, s4 src0_sel:BYTE_0 src1_sel:DWORD
	s_mov_b64 s[4:5], 0
                                        ; implicit-def: $sgpr10
	s_and_saveexec_b64 s[8:9], s[6:7]
	s_xor_b64 s[6:7], exec, s[8:9]
	s_cbranch_execnz .LBB49_3077
; %bb.1029:
	s_or_saveexec_b64 s[6:7], s[6:7]
	v_mov_b32_e32 v21, s10
	s_xor_b64 exec, exec, s[6:7]
	s_cbranch_execnz .LBB49_3080
.LBB49_1030:
	s_or_b64 exec, exec, s[6:7]
	s_and_saveexec_b64 s[6:7], s[4:5]
	s_cbranch_execz .LBB49_1032
.LBB49_1031:
	v_and_b32_e32 v21, 7, v10
	v_ffbh_u32_e32 v23, v21
	v_min_u32_e32 v23, 32, v23
	v_lshrrev_b16_e32 v22, 3, v10
	v_subrev_u32_e32 v24, 28, v23
	v_and_b32_e32 v22, 15, v22
	v_lshlrev_b32_e32 v24, v24, v10
	v_sub_u32_e32 v23, 29, v23
	v_and_b32_e32 v24, 7, v24
	v_cmp_eq_u16_e32 vcc, 0, v22
	v_cndmask_b32_e32 v21, v21, v24, vcc
	v_cndmask_b32_e32 v22, v22, v23, vcc
	v_lshlrev_b32_e32 v23, 24, v10
	v_mov_b32_e32 v24, 0x3b800000
	v_lshlrev_b32_e32 v21, 20, v21
	v_and_b32_e32 v23, 0x80000000, v23
	v_lshl_add_u32 v22, v22, 23, v24
	v_or3_b32 v21, v23, v22, v21
.LBB49_1032:
	s_or_b64 exec, exec, s[6:7]
	flat_load_dwordx4 a[0:3], v[18:19] offset:704
	s_movk_i32 s4, 0x7f
                                        ; implicit-def: $sgpr10
	s_waitcnt vmcnt(0) lgkmcnt(0)
	v_mfma_f32_16x16x4f32 a[0:3], v20, v21, a[0:3]
	v_lshrrev_b32_e32 v21, 8, v14
	v_cmp_gt_i16_sdwa s[6:7], v21, s4 src0_sel:BYTE_0 src1_sel:DWORD
	s_mov_b64 s[4:5], 0
	s_and_saveexec_b64 s[8:9], s[6:7]
	s_xor_b64 s[6:7], exec, s[8:9]
	s_cbranch_execnz .LBB49_3081
; %bb.1033:
	s_or_saveexec_b64 s[6:7], s[6:7]
	v_mov_b32_e32 v20, s10
	s_xor_b64 exec, exec, s[6:7]
	s_cbranch_execnz .LBB49_3084
.LBB49_1034:
	s_or_b64 exec, exec, s[6:7]
	s_and_saveexec_b64 s[6:7], s[4:5]
	s_cbranch_execz .LBB49_1036
.LBB49_1035:
	v_bfe_u32 v20, v14, 8, 3
	v_ffbh_u32_e32 v23, v20
	v_min_u32_e32 v23, 32, v23
	v_lshrrev_b16_e32 v22, 3, v21
	v_subrev_u32_e32 v24, 28, v23
	v_and_b32_e32 v22, 15, v22
	v_lshlrev_b32_e32 v21, v24, v21
	v_sub_u32_e32 v23, 29, v23
	v_and_b32_e32 v21, 7, v21
	v_cmp_eq_u16_e32 vcc, 0, v22
	v_cndmask_b32_e32 v20, v20, v21, vcc
	v_cndmask_b32_e32 v21, v22, v23, vcc
	v_lshlrev_b32_e32 v22, 16, v14
	v_mov_b32_e32 v23, 0x3b800000
	v_lshlrev_b32_e32 v20, 20, v20
	v_and_b32_e32 v22, 0x80000000, v22
	v_lshl_add_u32 v21, v21, 23, v23
	v_or3_b32 v20, v22, v21, v20
.LBB49_1036:
	s_or_b64 exec, exec, s[6:7]
	v_lshrrev_b32_e32 v21, 8, v10
	s_movk_i32 s4, 0x7f
	v_cmp_gt_i16_sdwa s[6:7], v21, s4 src0_sel:BYTE_0 src1_sel:DWORD
	s_mov_b64 s[4:5], 0
                                        ; implicit-def: $sgpr10
	s_and_saveexec_b64 s[8:9], s[6:7]
	s_xor_b64 s[6:7], exec, s[8:9]
	s_cbranch_execnz .LBB49_3085
; %bb.1037:
	s_or_saveexec_b64 s[6:7], s[6:7]
	v_mov_b32_e32 v22, s10
	s_xor_b64 exec, exec, s[6:7]
	s_cbranch_execnz .LBB49_3088
.LBB49_1038:
	s_or_b64 exec, exec, s[6:7]
	s_and_saveexec_b64 s[6:7], s[4:5]
	s_cbranch_execz .LBB49_1040
.LBB49_1039:
	v_bfe_u32 v22, v10, 8, 3
	v_ffbh_u32_e32 v24, v22
	v_min_u32_e32 v24, 32, v24
	v_lshrrev_b16_e32 v23, 3, v21
	v_subrev_u32_e32 v25, 28, v24
	v_and_b32_e32 v23, 15, v23
	v_lshlrev_b32_e32 v21, v25, v21
	v_sub_u32_e32 v24, 29, v24
	v_and_b32_e32 v21, 7, v21
	v_cmp_eq_u16_e32 vcc, 0, v23
	v_cndmask_b32_e32 v21, v22, v21, vcc
	v_cndmask_b32_e32 v22, v23, v24, vcc
	v_lshlrev_b32_e32 v23, 16, v10
	v_mov_b32_e32 v24, 0x3b800000
	v_lshlrev_b32_e32 v21, 20, v21
	v_and_b32_e32 v23, 0x80000000, v23
	v_lshl_add_u32 v22, v22, 23, v24
	v_or3_b32 v22, v23, v22, v21
.LBB49_1040:
	s_or_b64 exec, exec, s[6:7]
	s_nop 0
	v_mfma_f32_16x16x4f32 a[0:3], v20, v22, a[0:3]
	s_movk_i32 s4, 0xff
	v_and_b32_sdwa v21, v14, s4 dst_sel:DWORD dst_unused:UNUSED_PAD src0_sel:WORD_1 src1_sel:DWORD
	s_movk_i32 s4, 0x7f
	v_cmp_lt_i16_e32 vcc, s4, v21
	s_mov_b64 s[4:5], 0
                                        ; implicit-def: $sgpr10
	s_and_saveexec_b64 s[6:7], vcc
	s_xor_b64 s[6:7], exec, s[6:7]
	s_cbranch_execnz .LBB49_3089
; %bb.1041:
	s_or_saveexec_b64 s[6:7], s[6:7]
	v_mov_b32_e32 v20, s10
	s_xor_b64 exec, exec, s[6:7]
	s_cbranch_execnz .LBB49_3092
.LBB49_1042:
	s_or_b64 exec, exec, s[6:7]
	s_and_saveexec_b64 s[6:7], s[4:5]
	s_cbranch_execz .LBB49_1044
.LBB49_1043:
	v_bfe_u32 v20, v14, 16, 3
	v_ffbh_u32_e32 v23, v20
	v_min_u32_e32 v23, 32, v23
	v_lshrrev_b32_e32 v21, 19, v14
	v_subrev_u32_e32 v24, 28, v23
	v_and_b32_e32 v21, 15, v21
	v_lshlrev_b32_sdwa v24, v24, v14 dst_sel:DWORD dst_unused:UNUSED_PAD src0_sel:DWORD src1_sel:WORD_1
	v_bfe_u32 v22, v14, 19, 4
	v_sub_u32_e32 v23, 29, v23
	v_and_b32_e32 v24, 7, v24
	v_cmp_eq_u16_e32 vcc, 0, v21
	v_cndmask_b32_e32 v20, v20, v24, vcc
	v_cndmask_b32_e32 v21, v22, v23, vcc
	v_lshlrev_b32_e32 v22, 8, v14
	v_mov_b32_e32 v23, 0x3b800000
	v_lshlrev_b32_e32 v20, 20, v20
	v_and_b32_e32 v22, 0x80000000, v22
	v_lshl_add_u32 v21, v21, 23, v23
	v_or3_b32 v20, v22, v21, v20
.LBB49_1044:
	s_or_b64 exec, exec, s[6:7]
	s_movk_i32 s4, 0xff
	v_and_b32_sdwa v21, v10, s4 dst_sel:DWORD dst_unused:UNUSED_PAD src0_sel:WORD_1 src1_sel:DWORD
	s_movk_i32 s4, 0x7f
	v_cmp_lt_i16_e32 vcc, s4, v21
	s_mov_b64 s[4:5], 0
                                        ; implicit-def: $sgpr10
	s_and_saveexec_b64 s[6:7], vcc
	s_xor_b64 s[6:7], exec, s[6:7]
	s_cbranch_execnz .LBB49_3093
; %bb.1045:
	s_or_saveexec_b64 s[6:7], s[6:7]
	v_mov_b32_e32 v22, s10
	s_xor_b64 exec, exec, s[6:7]
	s_cbranch_execnz .LBB49_3096
.LBB49_1046:
	s_or_b64 exec, exec, s[6:7]
	s_and_saveexec_b64 s[6:7], s[4:5]
	s_cbranch_execz .LBB49_1048
.LBB49_1047:
	v_bfe_u32 v21, v10, 16, 3
	v_ffbh_u32_e32 v24, v21
	v_min_u32_e32 v24, 32, v24
	v_lshrrev_b32_e32 v22, 19, v10
	v_subrev_u32_e32 v25, 28, v24
	v_and_b32_e32 v22, 15, v22
	v_lshlrev_b32_sdwa v25, v25, v10 dst_sel:DWORD dst_unused:UNUSED_PAD src0_sel:DWORD src1_sel:WORD_1
	v_bfe_u32 v23, v10, 19, 4
	v_sub_u32_e32 v24, 29, v24
	v_and_b32_e32 v25, 7, v25
	v_cmp_eq_u16_e32 vcc, 0, v22
	v_cndmask_b32_e32 v21, v21, v25, vcc
	v_cndmask_b32_e32 v22, v23, v24, vcc
	v_lshlrev_b32_e32 v23, 8, v10
	v_mov_b32_e32 v24, 0x3b800000
	v_lshlrev_b32_e32 v21, 20, v21
	v_and_b32_e32 v23, 0x80000000, v23
	v_lshl_add_u32 v22, v22, 23, v24
	v_or3_b32 v22, v23, v22, v21
.LBB49_1048:
	s_or_b64 exec, exec, s[6:7]
	s_nop 0
	v_mfma_f32_16x16x4f32 a[0:3], v20, v22, a[0:3]
	s_movk_i32 s4, 0x7f
	v_cmp_gt_i16_sdwa s[6:7], v14, s4 src0_sel:BYTE_3 src1_sel:DWORD
	s_mov_b64 s[4:5], 0
                                        ; implicit-def: $sgpr10
	s_and_saveexec_b64 s[8:9], s[6:7]
	s_xor_b64 s[6:7], exec, s[8:9]
	s_cbranch_execnz .LBB49_3097
; %bb.1049:
	s_or_saveexec_b64 s[6:7], s[6:7]
	v_mov_b32_e32 v20, s10
	s_xor_b64 exec, exec, s[6:7]
	s_cbranch_execnz .LBB49_3100
.LBB49_1050:
	s_or_b64 exec, exec, s[6:7]
	s_and_saveexec_b64 s[6:7], s[4:5]
	s_cbranch_execz .LBB49_1052
.LBB49_1051:
	v_bfe_u32 v20, v14, 24, 3
	v_ffbh_u32_e32 v24, v20
	v_min_u32_e32 v24, 32, v24
	v_lshrrev_b32_e32 v22, 27, v14
	v_subrev_u32_e32 v25, 28, v24
	v_and_b32_e32 v21, 0x80000000, v14
	v_and_b32_e32 v22, 15, v22
	v_bfe_u32 v23, v14, 27, 4
	v_lshlrev_b32_sdwa v14, v25, v14 dst_sel:DWORD dst_unused:UNUSED_PAD src0_sel:DWORD src1_sel:BYTE_3
	v_sub_u32_e32 v24, 29, v24
	v_and_b32_e32 v14, 7, v14
	v_cmp_eq_u16_e32 vcc, 0, v22
	v_cndmask_b32_e32 v14, v20, v14, vcc
	v_cndmask_b32_e32 v20, v23, v24, vcc
	v_mov_b32_e32 v22, 0x3b800000
	v_lshlrev_b32_e32 v14, 20, v14
	v_lshl_add_u32 v20, v20, 23, v22
	v_or3_b32 v20, v21, v20, v14
.LBB49_1052:
	s_or_b64 exec, exec, s[6:7]
	s_movk_i32 s4, 0x7f
	v_cmp_gt_i16_sdwa s[6:7], v10, s4 src0_sel:BYTE_3 src1_sel:DWORD
	s_mov_b64 s[4:5], 0
                                        ; implicit-def: $sgpr10
	s_and_saveexec_b64 s[8:9], s[6:7]
	s_xor_b64 s[6:7], exec, s[8:9]
	s_cbranch_execnz .LBB49_3101
; %bb.1053:
	s_or_saveexec_b64 s[6:7], s[6:7]
	v_mov_b32_e32 v14, s10
	s_xor_b64 exec, exec, s[6:7]
	s_cbranch_execnz .LBB49_3104
.LBB49_1054:
	s_or_b64 exec, exec, s[6:7]
	s_and_saveexec_b64 s[6:7], s[4:5]
	s_cbranch_execz .LBB49_1056
.LBB49_1055:
	v_bfe_u32 v14, v10, 24, 3
	v_ffbh_u32_e32 v24, v14
	v_min_u32_e32 v24, 32, v24
	v_lshrrev_b32_e32 v22, 27, v10
	v_subrev_u32_e32 v25, 28, v24
	v_and_b32_e32 v21, 0x80000000, v10
	v_and_b32_e32 v22, 15, v22
	v_bfe_u32 v23, v10, 27, 4
	v_lshlrev_b32_sdwa v10, v25, v10 dst_sel:DWORD dst_unused:UNUSED_PAD src0_sel:DWORD src1_sel:BYTE_3
	v_sub_u32_e32 v24, 29, v24
	v_and_b32_e32 v10, 7, v10
	v_cmp_eq_u16_e32 vcc, 0, v22
	v_cndmask_b32_e32 v10, v14, v10, vcc
	v_cndmask_b32_e32 v14, v23, v24, vcc
	v_mov_b32_e32 v22, 0x3b800000
	v_lshlrev_b32_e32 v10, 20, v10
	v_lshl_add_u32 v14, v14, 23, v22
	v_or3_b32 v14, v21, v14, v10
.LBB49_1056:
	s_or_b64 exec, exec, s[6:7]
	s_nop 0
	v_mfma_f32_16x16x4f32 a[0:3], v20, v14, a[0:3]
	s_movk_i32 s4, 0x7f
	v_cmp_gt_i16_sdwa s[6:7], v15, s4 src0_sel:BYTE_0 src1_sel:DWORD
	s_mov_b64 s[4:5], 0
                                        ; implicit-def: $sgpr10
	s_and_saveexec_b64 s[8:9], s[6:7]
	s_xor_b64 s[6:7], exec, s[8:9]
	s_cbranch_execnz .LBB49_3105
; %bb.1057:
	s_or_saveexec_b64 s[6:7], s[6:7]
	v_mov_b32_e32 v10, s10
	s_xor_b64 exec, exec, s[6:7]
	s_cbranch_execnz .LBB49_3108
.LBB49_1058:
	s_or_b64 exec, exec, s[6:7]
	s_and_saveexec_b64 s[6:7], s[4:5]
	s_cbranch_execz .LBB49_1060
.LBB49_1059:
	v_and_b32_e32 v10, 7, v15
	v_ffbh_u32_e32 v20, v10
	v_min_u32_e32 v20, 32, v20
	v_lshrrev_b16_e32 v14, 3, v15
	v_subrev_u32_e32 v21, 28, v20
	v_and_b32_e32 v14, 15, v14
	v_lshlrev_b32_e32 v21, v21, v15
	v_sub_u32_e32 v20, 29, v20
	v_and_b32_e32 v21, 7, v21
	v_cmp_eq_u16_e32 vcc, 0, v14
	v_cndmask_b32_e32 v10, v10, v21, vcc
	v_cndmask_b32_e32 v14, v14, v20, vcc
	v_lshlrev_b32_e32 v20, 24, v15
	v_mov_b32_e32 v21, 0x3b800000
	v_lshlrev_b32_e32 v10, 20, v10
	v_and_b32_e32 v20, 0x80000000, v20
	v_lshl_add_u32 v14, v14, 23, v21
	v_or3_b32 v10, v20, v14, v10
.LBB49_1060:
	s_or_b64 exec, exec, s[6:7]
	s_movk_i32 s4, 0x7f
	v_cmp_gt_i16_sdwa s[6:7], v11, s4 src0_sel:BYTE_0 src1_sel:DWORD
	s_mov_b64 s[4:5], 0
                                        ; implicit-def: $sgpr10
	s_and_saveexec_b64 s[8:9], s[6:7]
	s_xor_b64 s[6:7], exec, s[8:9]
	s_cbranch_execnz .LBB49_3109
; %bb.1061:
	s_or_saveexec_b64 s[6:7], s[6:7]
	v_mov_b32_e32 v14, s10
	s_xor_b64 exec, exec, s[6:7]
	s_cbranch_execnz .LBB49_3112
.LBB49_1062:
	s_or_b64 exec, exec, s[6:7]
	s_and_saveexec_b64 s[6:7], s[4:5]
	s_cbranch_execz .LBB49_1064
.LBB49_1063:
	v_and_b32_e32 v14, 7, v11
	v_ffbh_u32_e32 v21, v14
	v_min_u32_e32 v21, 32, v21
	v_lshrrev_b16_e32 v20, 3, v11
	v_subrev_u32_e32 v22, 28, v21
	v_and_b32_e32 v20, 15, v20
	v_lshlrev_b32_e32 v22, v22, v11
	v_sub_u32_e32 v21, 29, v21
	v_and_b32_e32 v22, 7, v22
	v_cmp_eq_u16_e32 vcc, 0, v20
	v_cndmask_b32_e32 v14, v14, v22, vcc
	v_cndmask_b32_e32 v20, v20, v21, vcc
	v_lshlrev_b32_e32 v21, 24, v11
	v_mov_b32_e32 v22, 0x3b800000
	v_lshlrev_b32_e32 v14, 20, v14
	v_and_b32_e32 v21, 0x80000000, v21
	v_lshl_add_u32 v20, v20, 23, v22
	v_or3_b32 v14, v21, v20, v14
.LBB49_1064:
	s_or_b64 exec, exec, s[6:7]
	s_nop 0
	v_mfma_f32_16x16x4f32 a[0:3], v10, v14, a[0:3]
	v_lshrrev_b32_e32 v14, 8, v15
	s_movk_i32 s4, 0x7f
	v_cmp_gt_i16_sdwa s[6:7], v14, s4 src0_sel:BYTE_0 src1_sel:DWORD
	s_mov_b64 s[4:5], 0
                                        ; implicit-def: $sgpr10
	s_and_saveexec_b64 s[8:9], s[6:7]
	s_xor_b64 s[6:7], exec, s[8:9]
	s_cbranch_execnz .LBB49_3113
; %bb.1065:
	s_or_saveexec_b64 s[6:7], s[6:7]
	v_mov_b32_e32 v10, s10
	s_xor_b64 exec, exec, s[6:7]
	s_cbranch_execnz .LBB49_3116
.LBB49_1066:
	s_or_b64 exec, exec, s[6:7]
	s_and_saveexec_b64 s[6:7], s[4:5]
	s_cbranch_execz .LBB49_1068
.LBB49_1067:
	v_bfe_u32 v10, v15, 8, 3
	v_ffbh_u32_e32 v21, v10
	v_min_u32_e32 v21, 32, v21
	v_lshrrev_b16_e32 v20, 3, v14
	v_subrev_u32_e32 v22, 28, v21
	v_and_b32_e32 v20, 15, v20
	v_lshlrev_b32_e32 v14, v22, v14
	v_sub_u32_e32 v21, 29, v21
	v_and_b32_e32 v14, 7, v14
	v_cmp_eq_u16_e32 vcc, 0, v20
	v_cndmask_b32_e32 v10, v10, v14, vcc
	v_cndmask_b32_e32 v14, v20, v21, vcc
	v_lshlrev_b32_e32 v20, 16, v15
	v_mov_b32_e32 v21, 0x3b800000
	v_lshlrev_b32_e32 v10, 20, v10
	v_and_b32_e32 v20, 0x80000000, v20
	v_lshl_add_u32 v14, v14, 23, v21
	v_or3_b32 v10, v20, v14, v10
.LBB49_1068:
	s_or_b64 exec, exec, s[6:7]
	v_lshrrev_b32_e32 v14, 8, v11
	s_movk_i32 s4, 0x7f
	v_cmp_gt_i16_sdwa s[6:7], v14, s4 src0_sel:BYTE_0 src1_sel:DWORD
	s_mov_b64 s[4:5], 0
                                        ; implicit-def: $sgpr10
	s_and_saveexec_b64 s[8:9], s[6:7]
	s_xor_b64 s[6:7], exec, s[8:9]
	s_cbranch_execnz .LBB49_3117
; %bb.1069:
	s_or_saveexec_b64 s[6:7], s[6:7]
	v_mov_b32_e32 v20, s10
	s_xor_b64 exec, exec, s[6:7]
	s_cbranch_execnz .LBB49_3120
.LBB49_1070:
	s_or_b64 exec, exec, s[6:7]
	s_and_saveexec_b64 s[6:7], s[4:5]
	s_cbranch_execz .LBB49_1072
.LBB49_1071:
	v_bfe_u32 v20, v11, 8, 3
	v_ffbh_u32_e32 v22, v20
	v_min_u32_e32 v22, 32, v22
	v_lshrrev_b16_e32 v21, 3, v14
	v_subrev_u32_e32 v23, 28, v22
	v_and_b32_e32 v21, 15, v21
	v_lshlrev_b32_e32 v14, v23, v14
	v_sub_u32_e32 v22, 29, v22
	v_and_b32_e32 v14, 7, v14
	v_cmp_eq_u16_e32 vcc, 0, v21
	v_cndmask_b32_e32 v14, v20, v14, vcc
	v_cndmask_b32_e32 v20, v21, v22, vcc
	v_lshlrev_b32_e32 v21, 16, v11
	v_mov_b32_e32 v22, 0x3b800000
	v_lshlrev_b32_e32 v14, 20, v14
	v_and_b32_e32 v21, 0x80000000, v21
	v_lshl_add_u32 v20, v20, 23, v22
	v_or3_b32 v20, v21, v20, v14
.LBB49_1072:
	s_or_b64 exec, exec, s[6:7]
	s_nop 0
	v_mfma_f32_16x16x4f32 a[0:3], v10, v20, a[0:3]
	s_movk_i32 s4, 0xff
	v_and_b32_sdwa v14, v15, s4 dst_sel:DWORD dst_unused:UNUSED_PAD src0_sel:WORD_1 src1_sel:DWORD
	s_movk_i32 s4, 0x7f
	v_cmp_lt_i16_e32 vcc, s4, v14
	s_mov_b64 s[4:5], 0
                                        ; implicit-def: $sgpr10
	s_and_saveexec_b64 s[6:7], vcc
	s_xor_b64 s[6:7], exec, s[6:7]
	s_cbranch_execnz .LBB49_3121
; %bb.1073:
	s_or_saveexec_b64 s[6:7], s[6:7]
	v_mov_b32_e32 v10, s10
	s_xor_b64 exec, exec, s[6:7]
	s_cbranch_execnz .LBB49_3124
.LBB49_1074:
	s_or_b64 exec, exec, s[6:7]
	s_and_saveexec_b64 s[6:7], s[4:5]
	s_cbranch_execz .LBB49_1076
.LBB49_1075:
	v_bfe_u32 v10, v15, 16, 3
	v_ffbh_u32_e32 v21, v10
	v_min_u32_e32 v21, 32, v21
	v_lshrrev_b32_e32 v14, 19, v15
	v_subrev_u32_e32 v22, 28, v21
	v_and_b32_e32 v14, 15, v14
	v_lshlrev_b32_sdwa v22, v22, v15 dst_sel:DWORD dst_unused:UNUSED_PAD src0_sel:DWORD src1_sel:WORD_1
	v_bfe_u32 v20, v15, 19, 4
	v_sub_u32_e32 v21, 29, v21
	v_and_b32_e32 v22, 7, v22
	v_cmp_eq_u16_e32 vcc, 0, v14
	v_cndmask_b32_e32 v10, v10, v22, vcc
	v_cndmask_b32_e32 v14, v20, v21, vcc
	v_lshlrev_b32_e32 v20, 8, v15
	v_mov_b32_e32 v21, 0x3b800000
	v_lshlrev_b32_e32 v10, 20, v10
	v_and_b32_e32 v20, 0x80000000, v20
	v_lshl_add_u32 v14, v14, 23, v21
	v_or3_b32 v10, v20, v14, v10
.LBB49_1076:
	s_or_b64 exec, exec, s[6:7]
	s_movk_i32 s4, 0xff
	v_and_b32_sdwa v14, v11, s4 dst_sel:DWORD dst_unused:UNUSED_PAD src0_sel:WORD_1 src1_sel:DWORD
	s_movk_i32 s4, 0x7f
	v_cmp_lt_i16_e32 vcc, s4, v14
	s_mov_b64 s[4:5], 0
                                        ; implicit-def: $sgpr10
	s_and_saveexec_b64 s[6:7], vcc
	s_xor_b64 s[6:7], exec, s[6:7]
	s_cbranch_execnz .LBB49_3125
; %bb.1077:
	s_or_saveexec_b64 s[6:7], s[6:7]
	v_mov_b32_e32 v20, s10
	s_xor_b64 exec, exec, s[6:7]
	s_cbranch_execnz .LBB49_3128
.LBB49_1078:
	s_or_b64 exec, exec, s[6:7]
	s_and_saveexec_b64 s[6:7], s[4:5]
	s_cbranch_execz .LBB49_1080
.LBB49_1079:
	v_bfe_u32 v14, v11, 16, 3
	v_ffbh_u32_e32 v22, v14
	v_min_u32_e32 v22, 32, v22
	v_lshrrev_b32_e32 v20, 19, v11
	v_subrev_u32_e32 v23, 28, v22
	v_and_b32_e32 v20, 15, v20
	v_lshlrev_b32_sdwa v23, v23, v11 dst_sel:DWORD dst_unused:UNUSED_PAD src0_sel:DWORD src1_sel:WORD_1
	v_bfe_u32 v21, v11, 19, 4
	v_sub_u32_e32 v22, 29, v22
	v_and_b32_e32 v23, 7, v23
	v_cmp_eq_u16_e32 vcc, 0, v20
	v_cndmask_b32_e32 v14, v14, v23, vcc
	v_cndmask_b32_e32 v20, v21, v22, vcc
	v_lshlrev_b32_e32 v21, 8, v11
	v_mov_b32_e32 v22, 0x3b800000
	v_lshlrev_b32_e32 v14, 20, v14
	v_and_b32_e32 v21, 0x80000000, v21
	v_lshl_add_u32 v20, v20, 23, v22
	v_or3_b32 v20, v21, v20, v14
.LBB49_1080:
	s_or_b64 exec, exec, s[6:7]
	s_nop 0
	v_mfma_f32_16x16x4f32 a[0:3], v10, v20, a[0:3]
	s_movk_i32 s4, 0x7f
	v_cmp_gt_i16_sdwa s[6:7], v15, s4 src0_sel:BYTE_3 src1_sel:DWORD
	s_mov_b64 s[4:5], 0
                                        ; implicit-def: $sgpr10
	s_and_saveexec_b64 s[8:9], s[6:7]
	s_xor_b64 s[6:7], exec, s[8:9]
	s_cbranch_execnz .LBB49_3129
; %bb.1081:
	s_or_saveexec_b64 s[6:7], s[6:7]
	v_mov_b32_e32 v10, s10
	s_xor_b64 exec, exec, s[6:7]
	s_cbranch_execnz .LBB49_3132
.LBB49_1082:
	s_or_b64 exec, exec, s[6:7]
	s_and_saveexec_b64 s[6:7], s[4:5]
	s_cbranch_execz .LBB49_1084
.LBB49_1083:
	v_bfe_u32 v10, v15, 24, 3
	v_ffbh_u32_e32 v22, v10
	v_min_u32_e32 v22, 32, v22
	v_lshrrev_b32_e32 v20, 27, v15
	v_subrev_u32_e32 v23, 28, v22
	v_and_b32_e32 v14, 0x80000000, v15
	v_and_b32_e32 v20, 15, v20
	v_bfe_u32 v21, v15, 27, 4
	v_lshlrev_b32_sdwa v15, v23, v15 dst_sel:DWORD dst_unused:UNUSED_PAD src0_sel:DWORD src1_sel:BYTE_3
	v_sub_u32_e32 v22, 29, v22
	v_and_b32_e32 v15, 7, v15
	v_cmp_eq_u16_e32 vcc, 0, v20
	v_cndmask_b32_e32 v10, v10, v15, vcc
	v_cndmask_b32_e32 v15, v21, v22, vcc
	v_mov_b32_e32 v20, 0x3b800000
	v_lshlrev_b32_e32 v10, 20, v10
	v_lshl_add_u32 v15, v15, 23, v20
	v_or3_b32 v10, v14, v15, v10
.LBB49_1084:
	s_or_b64 exec, exec, s[6:7]
	s_movk_i32 s4, 0x7f
	v_cmp_gt_i16_sdwa s[6:7], v11, s4 src0_sel:BYTE_3 src1_sel:DWORD
	s_mov_b64 s[4:5], 0
                                        ; implicit-def: $sgpr10
	s_and_saveexec_b64 s[8:9], s[6:7]
	s_xor_b64 s[6:7], exec, s[8:9]
	s_cbranch_execnz .LBB49_3133
; %bb.1085:
	s_or_saveexec_b64 s[6:7], s[6:7]
	v_mov_b32_e32 v14, s10
	s_xor_b64 exec, exec, s[6:7]
	s_cbranch_execnz .LBB49_3136
.LBB49_1086:
	s_or_b64 exec, exec, s[6:7]
	s_and_saveexec_b64 s[6:7], s[4:5]
	s_cbranch_execz .LBB49_1088
.LBB49_1087:
	v_bfe_u32 v14, v11, 24, 3
	v_ffbh_u32_e32 v22, v14
	v_min_u32_e32 v22, 32, v22
	v_lshrrev_b32_e32 v20, 27, v11
	v_subrev_u32_e32 v23, 28, v22
	v_and_b32_e32 v15, 0x80000000, v11
	v_and_b32_e32 v20, 15, v20
	v_bfe_u32 v21, v11, 27, 4
	v_lshlrev_b32_sdwa v11, v23, v11 dst_sel:DWORD dst_unused:UNUSED_PAD src0_sel:DWORD src1_sel:BYTE_3
	v_sub_u32_e32 v22, 29, v22
	v_and_b32_e32 v11, 7, v11
	v_cmp_eq_u16_e32 vcc, 0, v20
	v_cndmask_b32_e32 v11, v14, v11, vcc
	v_cndmask_b32_e32 v14, v21, v22, vcc
	v_mov_b32_e32 v20, 0x3b800000
	v_lshlrev_b32_e32 v11, 20, v11
	v_lshl_add_u32 v14, v14, 23, v20
	v_or3_b32 v14, v15, v14, v11
.LBB49_1088:
	s_or_b64 exec, exec, s[6:7]
	s_nop 0
	v_mfma_f32_16x16x4f32 a[0:3], v10, v14, a[0:3]
	s_movk_i32 s4, 0x7f
	v_cmp_gt_i16_sdwa s[6:7], v16, s4 src0_sel:BYTE_0 src1_sel:DWORD
	s_mov_b64 s[4:5], 0
                                        ; implicit-def: $sgpr10
	s_and_saveexec_b64 s[8:9], s[6:7]
	s_xor_b64 s[6:7], exec, s[8:9]
	s_cbranch_execnz .LBB49_3137
; %bb.1089:
	s_or_saveexec_b64 s[6:7], s[6:7]
	v_mov_b32_e32 v10, s10
	s_xor_b64 exec, exec, s[6:7]
	s_cbranch_execnz .LBB49_3140
.LBB49_1090:
	s_or_b64 exec, exec, s[6:7]
	s_and_saveexec_b64 s[6:7], s[4:5]
	s_cbranch_execz .LBB49_1092
.LBB49_1091:
	v_and_b32_e32 v10, 7, v16
	v_ffbh_u32_e32 v14, v10
	v_min_u32_e32 v14, 32, v14
	v_lshrrev_b16_e32 v11, 3, v16
	v_subrev_u32_e32 v15, 28, v14
	v_and_b32_e32 v11, 15, v11
	v_lshlrev_b32_e32 v15, v15, v16
	v_sub_u32_e32 v14, 29, v14
	v_and_b32_e32 v15, 7, v15
	v_cmp_eq_u16_e32 vcc, 0, v11
	v_cndmask_b32_e32 v10, v10, v15, vcc
	v_cndmask_b32_e32 v11, v11, v14, vcc
	v_lshlrev_b32_e32 v14, 24, v16
	v_mov_b32_e32 v15, 0x3b800000
	v_lshlrev_b32_e32 v10, 20, v10
	v_and_b32_e32 v14, 0x80000000, v14
	v_lshl_add_u32 v11, v11, 23, v15
	v_or3_b32 v10, v14, v11, v10
.LBB49_1092:
	s_or_b64 exec, exec, s[6:7]
	s_movk_i32 s4, 0x7f
	v_cmp_gt_i16_sdwa s[6:7], v12, s4 src0_sel:BYTE_0 src1_sel:DWORD
	s_mov_b64 s[4:5], 0
                                        ; implicit-def: $sgpr10
	s_and_saveexec_b64 s[8:9], s[6:7]
	s_xor_b64 s[6:7], exec, s[8:9]
	s_cbranch_execnz .LBB49_3141
; %bb.1093:
	s_or_saveexec_b64 s[6:7], s[6:7]
	v_mov_b32_e32 v11, s10
	s_xor_b64 exec, exec, s[6:7]
	s_cbranch_execnz .LBB49_3144
.LBB49_1094:
	s_or_b64 exec, exec, s[6:7]
	s_and_saveexec_b64 s[6:7], s[4:5]
	s_cbranch_execz .LBB49_1096
.LBB49_1095:
	v_and_b32_e32 v11, 7, v12
	v_ffbh_u32_e32 v15, v11
	v_min_u32_e32 v15, 32, v15
	v_lshrrev_b16_e32 v14, 3, v12
	v_subrev_u32_e32 v20, 28, v15
	v_and_b32_e32 v14, 15, v14
	v_lshlrev_b32_e32 v20, v20, v12
	v_sub_u32_e32 v15, 29, v15
	v_and_b32_e32 v20, 7, v20
	v_cmp_eq_u16_e32 vcc, 0, v14
	v_cndmask_b32_e32 v11, v11, v20, vcc
	v_cndmask_b32_e32 v14, v14, v15, vcc
	v_lshlrev_b32_e32 v15, 24, v12
	v_mov_b32_e32 v20, 0x3b800000
	v_lshlrev_b32_e32 v11, 20, v11
	v_and_b32_e32 v15, 0x80000000, v15
	v_lshl_add_u32 v14, v14, 23, v20
	v_or3_b32 v11, v15, v14, v11
.LBB49_1096:
	s_or_b64 exec, exec, s[6:7]
	s_nop 0
	v_mfma_f32_16x16x4f32 a[0:3], v10, v11, a[0:3]
	v_lshrrev_b32_e32 v11, 8, v16
	s_movk_i32 s4, 0x7f
	v_cmp_gt_i16_sdwa s[6:7], v11, s4 src0_sel:BYTE_0 src1_sel:DWORD
	s_mov_b64 s[4:5], 0
                                        ; implicit-def: $sgpr10
	s_and_saveexec_b64 s[8:9], s[6:7]
	s_xor_b64 s[6:7], exec, s[8:9]
	s_cbranch_execnz .LBB49_3145
; %bb.1097:
	s_or_saveexec_b64 s[6:7], s[6:7]
	v_mov_b32_e32 v10, s10
	s_xor_b64 exec, exec, s[6:7]
	s_cbranch_execnz .LBB49_3148
.LBB49_1098:
	s_or_b64 exec, exec, s[6:7]
	s_and_saveexec_b64 s[6:7], s[4:5]
	s_cbranch_execz .LBB49_1100
.LBB49_1099:
	v_bfe_u32 v10, v16, 8, 3
	v_ffbh_u32_e32 v15, v10
	v_min_u32_e32 v15, 32, v15
	v_lshrrev_b16_e32 v14, 3, v11
	v_subrev_u32_e32 v20, 28, v15
	v_and_b32_e32 v14, 15, v14
	v_lshlrev_b32_e32 v11, v20, v11
	v_sub_u32_e32 v15, 29, v15
	v_and_b32_e32 v11, 7, v11
	v_cmp_eq_u16_e32 vcc, 0, v14
	v_cndmask_b32_e32 v10, v10, v11, vcc
	v_cndmask_b32_e32 v11, v14, v15, vcc
	v_lshlrev_b32_e32 v14, 16, v16
	v_mov_b32_e32 v15, 0x3b800000
	v_lshlrev_b32_e32 v10, 20, v10
	v_and_b32_e32 v14, 0x80000000, v14
	v_lshl_add_u32 v11, v11, 23, v15
	v_or3_b32 v10, v14, v11, v10
.LBB49_1100:
	s_or_b64 exec, exec, s[6:7]
	v_lshrrev_b32_e32 v11, 8, v12
	s_movk_i32 s4, 0x7f
	v_cmp_gt_i16_sdwa s[6:7], v11, s4 src0_sel:BYTE_0 src1_sel:DWORD
	s_mov_b64 s[4:5], 0
                                        ; implicit-def: $sgpr10
	s_and_saveexec_b64 s[8:9], s[6:7]
	s_xor_b64 s[6:7], exec, s[8:9]
	s_cbranch_execnz .LBB49_3149
; %bb.1101:
	s_or_saveexec_b64 s[6:7], s[6:7]
	v_mov_b32_e32 v14, s10
	s_xor_b64 exec, exec, s[6:7]
	s_cbranch_execnz .LBB49_3152
.LBB49_1102:
	s_or_b64 exec, exec, s[6:7]
	s_and_saveexec_b64 s[6:7], s[4:5]
	s_cbranch_execz .LBB49_1104
.LBB49_1103:
	v_bfe_u32 v14, v12, 8, 3
	v_ffbh_u32_e32 v20, v14
	v_min_u32_e32 v20, 32, v20
	v_lshrrev_b16_e32 v15, 3, v11
	v_subrev_u32_e32 v21, 28, v20
	v_and_b32_e32 v15, 15, v15
	v_lshlrev_b32_e32 v11, v21, v11
	v_sub_u32_e32 v20, 29, v20
	v_and_b32_e32 v11, 7, v11
	v_cmp_eq_u16_e32 vcc, 0, v15
	v_cndmask_b32_e32 v11, v14, v11, vcc
	v_cndmask_b32_e32 v14, v15, v20, vcc
	v_lshlrev_b32_e32 v15, 16, v12
	v_mov_b32_e32 v20, 0x3b800000
	v_lshlrev_b32_e32 v11, 20, v11
	v_and_b32_e32 v15, 0x80000000, v15
	v_lshl_add_u32 v14, v14, 23, v20
	v_or3_b32 v14, v15, v14, v11
.LBB49_1104:
	s_or_b64 exec, exec, s[6:7]
	s_nop 0
	v_mfma_f32_16x16x4f32 a[0:3], v10, v14, a[0:3]
	s_movk_i32 s4, 0xff
	v_and_b32_sdwa v11, v16, s4 dst_sel:DWORD dst_unused:UNUSED_PAD src0_sel:WORD_1 src1_sel:DWORD
	s_movk_i32 s4, 0x7f
	v_cmp_lt_i16_e32 vcc, s4, v11
	s_mov_b64 s[4:5], 0
                                        ; implicit-def: $sgpr10
	s_and_saveexec_b64 s[6:7], vcc
	s_xor_b64 s[6:7], exec, s[6:7]
	s_cbranch_execnz .LBB49_3153
; %bb.1105:
	s_or_saveexec_b64 s[6:7], s[6:7]
	v_mov_b32_e32 v10, s10
	s_xor_b64 exec, exec, s[6:7]
	s_cbranch_execnz .LBB49_3156
.LBB49_1106:
	s_or_b64 exec, exec, s[6:7]
	s_and_saveexec_b64 s[6:7], s[4:5]
	s_cbranch_execz .LBB49_1108
.LBB49_1107:
	v_bfe_u32 v10, v16, 16, 3
	v_ffbh_u32_e32 v15, v10
	v_min_u32_e32 v15, 32, v15
	v_lshrrev_b32_e32 v11, 19, v16
	v_subrev_u32_e32 v20, 28, v15
	v_and_b32_e32 v11, 15, v11
	v_lshlrev_b32_sdwa v20, v20, v16 dst_sel:DWORD dst_unused:UNUSED_PAD src0_sel:DWORD src1_sel:WORD_1
	v_bfe_u32 v14, v16, 19, 4
	v_sub_u32_e32 v15, 29, v15
	v_and_b32_e32 v20, 7, v20
	v_cmp_eq_u16_e32 vcc, 0, v11
	v_cndmask_b32_e32 v10, v10, v20, vcc
	v_cndmask_b32_e32 v11, v14, v15, vcc
	v_lshlrev_b32_e32 v14, 8, v16
	v_mov_b32_e32 v15, 0x3b800000
	v_lshlrev_b32_e32 v10, 20, v10
	v_and_b32_e32 v14, 0x80000000, v14
	v_lshl_add_u32 v11, v11, 23, v15
	v_or3_b32 v10, v14, v11, v10
.LBB49_1108:
	s_or_b64 exec, exec, s[6:7]
	s_movk_i32 s4, 0xff
	v_and_b32_sdwa v11, v12, s4 dst_sel:DWORD dst_unused:UNUSED_PAD src0_sel:WORD_1 src1_sel:DWORD
	s_movk_i32 s4, 0x7f
	v_cmp_lt_i16_e32 vcc, s4, v11
	s_mov_b64 s[4:5], 0
                                        ; implicit-def: $sgpr10
	s_and_saveexec_b64 s[6:7], vcc
	s_xor_b64 s[6:7], exec, s[6:7]
	s_cbranch_execnz .LBB49_3157
; %bb.1109:
	s_or_saveexec_b64 s[6:7], s[6:7]
	v_mov_b32_e32 v14, s10
	s_xor_b64 exec, exec, s[6:7]
	s_cbranch_execnz .LBB49_3160
.LBB49_1110:
	s_or_b64 exec, exec, s[6:7]
	s_and_saveexec_b64 s[6:7], s[4:5]
	s_cbranch_execz .LBB49_1112
.LBB49_1111:
	v_bfe_u32 v11, v12, 16, 3
	v_ffbh_u32_e32 v20, v11
	v_min_u32_e32 v20, 32, v20
	v_lshrrev_b32_e32 v14, 19, v12
	v_subrev_u32_e32 v21, 28, v20
	v_and_b32_e32 v14, 15, v14
	v_lshlrev_b32_sdwa v21, v21, v12 dst_sel:DWORD dst_unused:UNUSED_PAD src0_sel:DWORD src1_sel:WORD_1
	v_bfe_u32 v15, v12, 19, 4
	v_sub_u32_e32 v20, 29, v20
	v_and_b32_e32 v21, 7, v21
	v_cmp_eq_u16_e32 vcc, 0, v14
	v_cndmask_b32_e32 v11, v11, v21, vcc
	v_cndmask_b32_e32 v14, v15, v20, vcc
	v_lshlrev_b32_e32 v15, 8, v12
	v_mov_b32_e32 v20, 0x3b800000
	v_lshlrev_b32_e32 v11, 20, v11
	v_and_b32_e32 v15, 0x80000000, v15
	v_lshl_add_u32 v14, v14, 23, v20
	v_or3_b32 v14, v15, v14, v11
.LBB49_1112:
	s_or_b64 exec, exec, s[6:7]
	s_nop 0
	v_mfma_f32_16x16x4f32 a[0:3], v10, v14, a[0:3]
	s_movk_i32 s4, 0x7f
	v_cmp_gt_i16_sdwa s[6:7], v16, s4 src0_sel:BYTE_3 src1_sel:DWORD
	s_mov_b64 s[4:5], 0
                                        ; implicit-def: $sgpr10
	s_and_saveexec_b64 s[8:9], s[6:7]
	s_xor_b64 s[6:7], exec, s[8:9]
	s_cbranch_execnz .LBB49_3161
; %bb.1113:
	s_or_saveexec_b64 s[6:7], s[6:7]
	v_mov_b32_e32 v10, s10
	s_xor_b64 exec, exec, s[6:7]
	s_cbranch_execnz .LBB49_3164
.LBB49_1114:
	s_or_b64 exec, exec, s[6:7]
	s_and_saveexec_b64 s[6:7], s[4:5]
	s_cbranch_execz .LBB49_1116
.LBB49_1115:
	v_bfe_u32 v10, v16, 24, 3
	v_ffbh_u32_e32 v20, v10
	v_min_u32_e32 v20, 32, v20
	v_lshrrev_b32_e32 v14, 27, v16
	v_subrev_u32_e32 v21, 28, v20
	v_and_b32_e32 v11, 0x80000000, v16
	v_and_b32_e32 v14, 15, v14
	v_bfe_u32 v15, v16, 27, 4
	v_lshlrev_b32_sdwa v16, v21, v16 dst_sel:DWORD dst_unused:UNUSED_PAD src0_sel:DWORD src1_sel:BYTE_3
	v_sub_u32_e32 v20, 29, v20
	v_and_b32_e32 v16, 7, v16
	v_cmp_eq_u16_e32 vcc, 0, v14
	v_cndmask_b32_e32 v10, v10, v16, vcc
	v_cndmask_b32_e32 v14, v15, v20, vcc
	v_mov_b32_e32 v15, 0x3b800000
	v_lshlrev_b32_e32 v10, 20, v10
	v_lshl_add_u32 v14, v14, 23, v15
	v_or3_b32 v10, v11, v14, v10
.LBB49_1116:
	s_or_b64 exec, exec, s[6:7]
	s_movk_i32 s4, 0x7f
	v_cmp_gt_i16_sdwa s[6:7], v12, s4 src0_sel:BYTE_3 src1_sel:DWORD
	s_mov_b64 s[4:5], 0
                                        ; implicit-def: $sgpr10
	s_and_saveexec_b64 s[8:9], s[6:7]
	s_xor_b64 s[6:7], exec, s[8:9]
	s_cbranch_execnz .LBB49_3165
; %bb.1117:
	s_or_saveexec_b64 s[6:7], s[6:7]
	v_mov_b32_e32 v11, s10
	s_xor_b64 exec, exec, s[6:7]
	s_cbranch_execnz .LBB49_3168
.LBB49_1118:
	s_or_b64 exec, exec, s[6:7]
	s_and_saveexec_b64 s[6:7], s[4:5]
	s_cbranch_execz .LBB49_1120
.LBB49_1119:
	v_bfe_u32 v11, v12, 24, 3
	v_ffbh_u32_e32 v20, v11
	v_min_u32_e32 v20, 32, v20
	v_lshrrev_b32_e32 v15, 27, v12
	v_subrev_u32_e32 v21, 28, v20
	v_and_b32_e32 v14, 0x80000000, v12
	v_and_b32_e32 v15, 15, v15
	v_bfe_u32 v16, v12, 27, 4
	v_lshlrev_b32_sdwa v12, v21, v12 dst_sel:DWORD dst_unused:UNUSED_PAD src0_sel:DWORD src1_sel:BYTE_3
	v_sub_u32_e32 v20, 29, v20
	v_and_b32_e32 v12, 7, v12
	v_cmp_eq_u16_e32 vcc, 0, v15
	v_cndmask_b32_e32 v11, v11, v12, vcc
	v_cndmask_b32_e32 v12, v16, v20, vcc
	v_mov_b32_e32 v15, 0x3b800000
	v_lshlrev_b32_e32 v11, 20, v11
	v_lshl_add_u32 v12, v12, 23, v15
	v_or3_b32 v11, v14, v12, v11
.LBB49_1120:
	s_or_b64 exec, exec, s[6:7]
	s_nop 0
	v_mfma_f32_16x16x4f32 a[0:3], v10, v11, a[0:3]
	s_movk_i32 s4, 0x7f
	v_cmp_gt_i16_sdwa s[6:7], v17, s4 src0_sel:BYTE_0 src1_sel:DWORD
	s_mov_b64 s[4:5], 0
                                        ; implicit-def: $sgpr10
	s_and_saveexec_b64 s[8:9], s[6:7]
	s_xor_b64 s[6:7], exec, s[8:9]
	s_cbranch_execnz .LBB49_3169
; %bb.1121:
	s_or_saveexec_b64 s[6:7], s[6:7]
	v_mov_b32_e32 v10, s10
	s_xor_b64 exec, exec, s[6:7]
	s_cbranch_execnz .LBB49_3172
.LBB49_1122:
	s_or_b64 exec, exec, s[6:7]
	s_and_saveexec_b64 s[6:7], s[4:5]
	s_cbranch_execz .LBB49_1124
.LBB49_1123:
	v_and_b32_e32 v10, 7, v17
	v_ffbh_u32_e32 v12, v10
	v_min_u32_e32 v12, 32, v12
	v_lshrrev_b16_e32 v11, 3, v17
	v_subrev_u32_e32 v14, 28, v12
	v_and_b32_e32 v11, 15, v11
	v_lshlrev_b32_e32 v14, v14, v17
	v_sub_u32_e32 v12, 29, v12
	v_and_b32_e32 v14, 7, v14
	v_cmp_eq_u16_e32 vcc, 0, v11
	v_cndmask_b32_e32 v10, v10, v14, vcc
	v_cndmask_b32_e32 v11, v11, v12, vcc
	v_lshlrev_b32_e32 v12, 24, v17
	v_mov_b32_e32 v14, 0x3b800000
	v_lshlrev_b32_e32 v10, 20, v10
	v_and_b32_e32 v12, 0x80000000, v12
	v_lshl_add_u32 v11, v11, 23, v14
	v_or3_b32 v10, v12, v11, v10
.LBB49_1124:
	s_or_b64 exec, exec, s[6:7]
	s_movk_i32 s4, 0x7f
	v_cmp_gt_i16_sdwa s[6:7], v13, s4 src0_sel:BYTE_0 src1_sel:DWORD
	s_mov_b64 s[4:5], 0
                                        ; implicit-def: $sgpr10
	s_and_saveexec_b64 s[8:9], s[6:7]
	s_xor_b64 s[6:7], exec, s[8:9]
	s_cbranch_execnz .LBB49_3173
; %bb.1125:
	s_or_saveexec_b64 s[6:7], s[6:7]
	v_mov_b32_e32 v11, s10
	s_xor_b64 exec, exec, s[6:7]
	s_cbranch_execnz .LBB49_3176
.LBB49_1126:
	s_or_b64 exec, exec, s[6:7]
	s_and_saveexec_b64 s[6:7], s[4:5]
	s_cbranch_execz .LBB49_1128
.LBB49_1127:
	v_and_b32_e32 v11, 7, v13
	v_ffbh_u32_e32 v14, v11
	v_min_u32_e32 v14, 32, v14
	v_lshrrev_b16_e32 v12, 3, v13
	v_subrev_u32_e32 v15, 28, v14
	v_and_b32_e32 v12, 15, v12
	v_lshlrev_b32_e32 v15, v15, v13
	v_sub_u32_e32 v14, 29, v14
	v_and_b32_e32 v15, 7, v15
	v_cmp_eq_u16_e32 vcc, 0, v12
	v_cndmask_b32_e32 v11, v11, v15, vcc
	v_cndmask_b32_e32 v12, v12, v14, vcc
	v_lshlrev_b32_e32 v14, 24, v13
	v_mov_b32_e32 v15, 0x3b800000
	v_lshlrev_b32_e32 v11, 20, v11
	v_and_b32_e32 v14, 0x80000000, v14
	v_lshl_add_u32 v12, v12, 23, v15
	v_or3_b32 v11, v14, v12, v11
.LBB49_1128:
	s_or_b64 exec, exec, s[6:7]
	s_nop 0
	v_mfma_f32_16x16x4f32 a[0:3], v10, v11, a[0:3]
	v_lshrrev_b32_e32 v11, 8, v17
	s_movk_i32 s4, 0x7f
	v_cmp_gt_i16_sdwa s[6:7], v11, s4 src0_sel:BYTE_0 src1_sel:DWORD
	s_mov_b64 s[4:5], 0
                                        ; implicit-def: $sgpr10
	s_and_saveexec_b64 s[8:9], s[6:7]
	s_xor_b64 s[6:7], exec, s[8:9]
	s_cbranch_execnz .LBB49_3177
; %bb.1129:
	s_or_saveexec_b64 s[6:7], s[6:7]
	v_mov_b32_e32 v10, s10
	s_xor_b64 exec, exec, s[6:7]
	s_cbranch_execnz .LBB49_3180
.LBB49_1130:
	s_or_b64 exec, exec, s[6:7]
	s_and_saveexec_b64 s[6:7], s[4:5]
	s_cbranch_execz .LBB49_1132
.LBB49_1131:
	v_bfe_u32 v10, v17, 8, 3
	v_ffbh_u32_e32 v14, v10
	v_min_u32_e32 v14, 32, v14
	v_lshrrev_b16_e32 v12, 3, v11
	v_subrev_u32_e32 v15, 28, v14
	v_and_b32_e32 v12, 15, v12
	v_lshlrev_b32_e32 v11, v15, v11
	v_sub_u32_e32 v14, 29, v14
	v_and_b32_e32 v11, 7, v11
	v_cmp_eq_u16_e32 vcc, 0, v12
	v_cndmask_b32_e32 v10, v10, v11, vcc
	v_cndmask_b32_e32 v11, v12, v14, vcc
	v_lshlrev_b32_e32 v12, 16, v17
	v_mov_b32_e32 v14, 0x3b800000
	v_lshlrev_b32_e32 v10, 20, v10
	v_and_b32_e32 v12, 0x80000000, v12
	v_lshl_add_u32 v11, v11, 23, v14
	v_or3_b32 v10, v12, v11, v10
.LBB49_1132:
	s_or_b64 exec, exec, s[6:7]
	v_lshrrev_b32_e32 v11, 8, v13
	s_movk_i32 s4, 0x7f
	v_cmp_gt_i16_sdwa s[6:7], v11, s4 src0_sel:BYTE_0 src1_sel:DWORD
	s_mov_b64 s[4:5], 0
                                        ; implicit-def: $sgpr10
	s_and_saveexec_b64 s[8:9], s[6:7]
	s_xor_b64 s[6:7], exec, s[8:9]
	s_cbranch_execnz .LBB49_3181
; %bb.1133:
	s_or_saveexec_b64 s[6:7], s[6:7]
	v_mov_b32_e32 v12, s10
	s_xor_b64 exec, exec, s[6:7]
	s_cbranch_execnz .LBB49_3184
.LBB49_1134:
	s_or_b64 exec, exec, s[6:7]
	s_and_saveexec_b64 s[6:7], s[4:5]
	s_cbranch_execz .LBB49_1136
.LBB49_1135:
	v_bfe_u32 v12, v13, 8, 3
	v_ffbh_u32_e32 v15, v12
	v_min_u32_e32 v15, 32, v15
	v_lshrrev_b16_e32 v14, 3, v11
	v_subrev_u32_e32 v16, 28, v15
	v_and_b32_e32 v14, 15, v14
	v_lshlrev_b32_e32 v11, v16, v11
	v_sub_u32_e32 v15, 29, v15
	v_and_b32_e32 v11, 7, v11
	v_cmp_eq_u16_e32 vcc, 0, v14
	v_cndmask_b32_e32 v11, v12, v11, vcc
	v_cndmask_b32_e32 v12, v14, v15, vcc
	v_lshlrev_b32_e32 v14, 16, v13
	v_mov_b32_e32 v15, 0x3b800000
	v_lshlrev_b32_e32 v11, 20, v11
	v_and_b32_e32 v14, 0x80000000, v14
	v_lshl_add_u32 v12, v12, 23, v15
	v_or3_b32 v12, v14, v12, v11
.LBB49_1136:
	s_or_b64 exec, exec, s[6:7]
	s_nop 0
	v_mfma_f32_16x16x4f32 a[0:3], v10, v12, a[0:3]
	s_movk_i32 s4, 0xff
	v_and_b32_sdwa v11, v17, s4 dst_sel:DWORD dst_unused:UNUSED_PAD src0_sel:WORD_1 src1_sel:DWORD
	s_movk_i32 s4, 0x7f
	v_cmp_lt_i16_e32 vcc, s4, v11
	s_mov_b64 s[4:5], 0
                                        ; implicit-def: $sgpr10
	s_and_saveexec_b64 s[6:7], vcc
	s_xor_b64 s[6:7], exec, s[6:7]
	s_cbranch_execnz .LBB49_3185
; %bb.1137:
	s_or_saveexec_b64 s[6:7], s[6:7]
	v_mov_b32_e32 v10, s10
	s_xor_b64 exec, exec, s[6:7]
	s_cbranch_execnz .LBB49_3188
.LBB49_1138:
	s_or_b64 exec, exec, s[6:7]
	s_and_saveexec_b64 s[6:7], s[4:5]
	s_cbranch_execz .LBB49_1140
.LBB49_1139:
	v_bfe_u32 v10, v17, 16, 3
	v_ffbh_u32_e32 v14, v10
	v_min_u32_e32 v14, 32, v14
	v_lshrrev_b32_e32 v11, 19, v17
	v_subrev_u32_e32 v15, 28, v14
	v_and_b32_e32 v11, 15, v11
	v_lshlrev_b32_sdwa v15, v15, v17 dst_sel:DWORD dst_unused:UNUSED_PAD src0_sel:DWORD src1_sel:WORD_1
	v_bfe_u32 v12, v17, 19, 4
	v_sub_u32_e32 v14, 29, v14
	v_and_b32_e32 v15, 7, v15
	v_cmp_eq_u16_e32 vcc, 0, v11
	v_cndmask_b32_e32 v10, v10, v15, vcc
	v_cndmask_b32_e32 v11, v12, v14, vcc
	v_lshlrev_b32_e32 v12, 8, v17
	v_mov_b32_e32 v14, 0x3b800000
	v_lshlrev_b32_e32 v10, 20, v10
	v_and_b32_e32 v12, 0x80000000, v12
	v_lshl_add_u32 v11, v11, 23, v14
	v_or3_b32 v10, v12, v11, v10
.LBB49_1140:
	s_or_b64 exec, exec, s[6:7]
	s_movk_i32 s4, 0xff
	v_and_b32_sdwa v11, v13, s4 dst_sel:DWORD dst_unused:UNUSED_PAD src0_sel:WORD_1 src1_sel:DWORD
	s_movk_i32 s4, 0x7f
	v_cmp_lt_i16_e32 vcc, s4, v11
	s_mov_b64 s[4:5], 0
                                        ; implicit-def: $sgpr10
	s_and_saveexec_b64 s[6:7], vcc
	s_xor_b64 s[6:7], exec, s[6:7]
	s_cbranch_execnz .LBB49_3189
; %bb.1141:
	s_or_saveexec_b64 s[6:7], s[6:7]
	v_mov_b32_e32 v12, s10
	s_xor_b64 exec, exec, s[6:7]
	s_cbranch_execnz .LBB49_3192
.LBB49_1142:
	s_or_b64 exec, exec, s[6:7]
	s_and_saveexec_b64 s[6:7], s[4:5]
	s_cbranch_execz .LBB49_1144
.LBB49_1143:
	v_bfe_u32 v11, v13, 16, 3
	v_ffbh_u32_e32 v15, v11
	v_min_u32_e32 v15, 32, v15
	v_lshrrev_b32_e32 v12, 19, v13
	v_subrev_u32_e32 v16, 28, v15
	v_and_b32_e32 v12, 15, v12
	v_lshlrev_b32_sdwa v16, v16, v13 dst_sel:DWORD dst_unused:UNUSED_PAD src0_sel:DWORD src1_sel:WORD_1
	v_bfe_u32 v14, v13, 19, 4
	v_sub_u32_e32 v15, 29, v15
	v_and_b32_e32 v16, 7, v16
	v_cmp_eq_u16_e32 vcc, 0, v12
	v_cndmask_b32_e32 v11, v11, v16, vcc
	v_cndmask_b32_e32 v12, v14, v15, vcc
	v_lshlrev_b32_e32 v14, 8, v13
	v_mov_b32_e32 v15, 0x3b800000
	v_lshlrev_b32_e32 v11, 20, v11
	v_and_b32_e32 v14, 0x80000000, v14
	v_lshl_add_u32 v12, v12, 23, v15
	v_or3_b32 v12, v14, v12, v11
.LBB49_1144:
	s_or_b64 exec, exec, s[6:7]
	s_nop 0
	v_mfma_f32_16x16x4f32 a[0:3], v10, v12, a[0:3]
	s_movk_i32 s4, 0x7f
	v_cmp_gt_i16_sdwa s[6:7], v17, s4 src0_sel:BYTE_3 src1_sel:DWORD
	s_mov_b64 s[4:5], 0
                                        ; implicit-def: $sgpr10
	s_and_saveexec_b64 s[8:9], s[6:7]
	s_xor_b64 s[6:7], exec, s[8:9]
	s_cbranch_execnz .LBB49_3193
; %bb.1145:
	s_or_saveexec_b64 s[6:7], s[6:7]
	v_mov_b32_e32 v10, s10
	s_xor_b64 exec, exec, s[6:7]
	s_cbranch_execnz .LBB49_3196
.LBB49_1146:
	s_or_b64 exec, exec, s[6:7]
	s_and_saveexec_b64 s[6:7], s[4:5]
	s_cbranch_execz .LBB49_1148
.LBB49_1147:
	v_bfe_u32 v10, v17, 24, 3
	v_ffbh_u32_e32 v15, v10
	v_min_u32_e32 v15, 32, v15
	v_lshrrev_b32_e32 v12, 27, v17
	v_subrev_u32_e32 v16, 28, v15
	v_and_b32_e32 v12, 15, v12
	v_lshlrev_b32_sdwa v16, v16, v17 dst_sel:DWORD dst_unused:UNUSED_PAD src0_sel:DWORD src1_sel:BYTE_3
	v_bfe_u32 v14, v17, 27, 4
	v_sub_u32_e32 v15, 29, v15
	v_and_b32_e32 v16, 7, v16
	v_cmp_eq_u16_e32 vcc, 0, v12
	v_cndmask_b32_e32 v10, v10, v16, vcc
	v_cndmask_b32_e32 v12, v14, v15, vcc
	v_mov_b32_e32 v14, 0x3b800000
	v_and_b32_e32 v11, 0x80000000, v17
	v_lshlrev_b32_e32 v10, 20, v10
	v_lshl_add_u32 v12, v12, 23, v14
	v_or3_b32 v10, v11, v12, v10
.LBB49_1148:
	s_or_b64 exec, exec, s[6:7]
	s_movk_i32 s4, 0x7f
	v_cmp_gt_i16_sdwa s[6:7], v13, s4 src0_sel:BYTE_3 src1_sel:DWORD
	s_mov_b64 s[4:5], 0
                                        ; implicit-def: $sgpr10
	s_and_saveexec_b64 s[8:9], s[6:7]
	s_xor_b64 s[6:7], exec, s[8:9]
	s_cbranch_execnz .LBB49_3197
; %bb.1149:
	s_or_saveexec_b64 s[6:7], s[6:7]
	v_mov_b32_e32 v11, s10
	s_xor_b64 exec, exec, s[6:7]
	s_cbranch_execnz .LBB49_3200
.LBB49_1150:
	s_or_b64 exec, exec, s[6:7]
	s_and_saveexec_b64 s[6:7], s[4:5]
	s_cbranch_execz .LBB49_1152
.LBB49_1151:
	v_bfe_u32 v11, v13, 24, 3
	v_ffbh_u32_e32 v16, v11
	v_min_u32_e32 v16, 32, v16
	v_lshrrev_b32_e32 v14, 27, v13
	v_subrev_u32_e32 v17, 28, v16
	v_and_b32_e32 v12, 0x80000000, v13
	v_and_b32_e32 v14, 15, v14
	v_bfe_u32 v15, v13, 27, 4
	v_lshlrev_b32_sdwa v13, v17, v13 dst_sel:DWORD dst_unused:UNUSED_PAD src0_sel:DWORD src1_sel:BYTE_3
	v_sub_u32_e32 v16, 29, v16
	v_and_b32_e32 v13, 7, v13
	v_cmp_eq_u16_e32 vcc, 0, v14
	v_cndmask_b32_e32 v11, v11, v13, vcc
	v_cndmask_b32_e32 v13, v15, v16, vcc
	v_mov_b32_e32 v14, 0x3b800000
	v_lshlrev_b32_e32 v11, 20, v11
	v_lshl_add_u32 v13, v13, 23, v14
	v_or3_b32 v11, v12, v13, v11
.LBB49_1152:
	s_or_b64 exec, exec, s[6:7]
	s_nop 0
	v_mfma_f32_16x16x4f32 a[0:3], v10, v11, a[0:3]
	s_movk_i32 s4, 0x7f
	v_cmp_gt_i16_sdwa s[6:7], v6, s4 src0_sel:BYTE_0 src1_sel:DWORD
	s_mov_b64 s[4:5], 0
                                        ; implicit-def: $sgpr10
	s_and_saveexec_b64 s[8:9], s[6:7]
	s_xor_b64 s[6:7], exec, s[8:9]
	s_cbranch_execnz .LBB49_3201
; %bb.1153:
	s_or_saveexec_b64 s[6:7], s[6:7]
	v_mov_b32_e32 v10, s10
	s_xor_b64 exec, exec, s[6:7]
	s_cbranch_execnz .LBB49_3204
.LBB49_1154:
	s_or_b64 exec, exec, s[6:7]
	s_and_saveexec_b64 s[6:7], s[4:5]
	s_cbranch_execz .LBB49_1156
.LBB49_1155:
	v_and_b32_e32 v10, 7, v6
	v_ffbh_u32_e32 v12, v10
	v_min_u32_e32 v12, 32, v12
	v_lshrrev_b16_e32 v11, 3, v6
	v_subrev_u32_e32 v13, 28, v12
	v_and_b32_e32 v11, 15, v11
	v_lshlrev_b32_e32 v13, v13, v6
	v_sub_u32_e32 v12, 29, v12
	v_and_b32_e32 v13, 7, v13
	v_cmp_eq_u16_e32 vcc, 0, v11
	v_cndmask_b32_e32 v10, v10, v13, vcc
	v_cndmask_b32_e32 v11, v11, v12, vcc
	v_lshlrev_b32_e32 v12, 24, v6
	v_mov_b32_e32 v13, 0x3b800000
	v_lshlrev_b32_e32 v10, 20, v10
	v_and_b32_e32 v12, 0x80000000, v12
	v_lshl_add_u32 v11, v11, 23, v13
	v_or3_b32 v10, v12, v11, v10
.LBB49_1156:
	s_or_b64 exec, exec, s[6:7]
	s_movk_i32 s4, 0x7f
	v_cmp_gt_i16_sdwa s[6:7], v2, s4 src0_sel:BYTE_0 src1_sel:DWORD
	s_mov_b64 s[4:5], 0
                                        ; implicit-def: $sgpr10
	s_and_saveexec_b64 s[8:9], s[6:7]
	s_xor_b64 s[6:7], exec, s[8:9]
	s_cbranch_execnz .LBB49_3205
; %bb.1157:
	s_or_saveexec_b64 s[6:7], s[6:7]
	v_mov_b32_e32 v11, s10
	s_xor_b64 exec, exec, s[6:7]
	s_cbranch_execnz .LBB49_3208
.LBB49_1158:
	s_or_b64 exec, exec, s[6:7]
	s_and_saveexec_b64 s[6:7], s[4:5]
	s_cbranch_execz .LBB49_1160
.LBB49_1159:
	v_and_b32_e32 v11, 7, v2
	v_ffbh_u32_e32 v13, v11
	v_min_u32_e32 v13, 32, v13
	v_lshrrev_b16_e32 v12, 3, v2
	v_subrev_u32_e32 v14, 28, v13
	v_and_b32_e32 v12, 15, v12
	v_lshlrev_b32_e32 v14, v14, v2
	v_sub_u32_e32 v13, 29, v13
	v_and_b32_e32 v14, 7, v14
	v_cmp_eq_u16_e32 vcc, 0, v12
	v_cndmask_b32_e32 v11, v11, v14, vcc
	v_cndmask_b32_e32 v12, v12, v13, vcc
	v_lshlrev_b32_e32 v13, 24, v2
	v_mov_b32_e32 v14, 0x3b800000
	v_lshlrev_b32_e32 v11, 20, v11
	v_and_b32_e32 v13, 0x80000000, v13
	v_lshl_add_u32 v12, v12, 23, v14
	v_or3_b32 v11, v13, v12, v11
.LBB49_1160:
	s_or_b64 exec, exec, s[6:7]
	s_nop 0
	v_mfma_f32_16x16x4f32 a[0:3], v10, v11, a[0:3]
	v_lshrrev_b32_e32 v11, 8, v6
	s_movk_i32 s4, 0x7f
	v_cmp_gt_i16_sdwa s[6:7], v11, s4 src0_sel:BYTE_0 src1_sel:DWORD
	s_mov_b64 s[4:5], 0
                                        ; implicit-def: $sgpr10
	s_and_saveexec_b64 s[8:9], s[6:7]
	s_xor_b64 s[6:7], exec, s[8:9]
	s_cbranch_execnz .LBB49_3209
; %bb.1161:
	s_or_saveexec_b64 s[6:7], s[6:7]
	v_mov_b32_e32 v10, s10
	s_xor_b64 exec, exec, s[6:7]
	s_cbranch_execnz .LBB49_3212
.LBB49_1162:
	s_or_b64 exec, exec, s[6:7]
	s_and_saveexec_b64 s[6:7], s[4:5]
	s_cbranch_execz .LBB49_1164
.LBB49_1163:
	v_bfe_u32 v10, v6, 8, 3
	v_ffbh_u32_e32 v13, v10
	v_min_u32_e32 v13, 32, v13
	v_lshrrev_b16_e32 v12, 3, v11
	v_subrev_u32_e32 v14, 28, v13
	v_and_b32_e32 v12, 15, v12
	v_lshlrev_b32_e32 v11, v14, v11
	v_sub_u32_e32 v13, 29, v13
	v_and_b32_e32 v11, 7, v11
	v_cmp_eq_u16_e32 vcc, 0, v12
	v_cndmask_b32_e32 v10, v10, v11, vcc
	v_cndmask_b32_e32 v11, v12, v13, vcc
	v_lshlrev_b32_e32 v12, 16, v6
	v_mov_b32_e32 v13, 0x3b800000
	v_lshlrev_b32_e32 v10, 20, v10
	v_and_b32_e32 v12, 0x80000000, v12
	v_lshl_add_u32 v11, v11, 23, v13
	v_or3_b32 v10, v12, v11, v10
.LBB49_1164:
	s_or_b64 exec, exec, s[6:7]
	v_lshrrev_b32_e32 v11, 8, v2
	s_movk_i32 s4, 0x7f
	v_cmp_gt_i16_sdwa s[6:7], v11, s4 src0_sel:BYTE_0 src1_sel:DWORD
	s_mov_b64 s[4:5], 0
                                        ; implicit-def: $sgpr10
	s_and_saveexec_b64 s[8:9], s[6:7]
	s_xor_b64 s[6:7], exec, s[8:9]
	s_cbranch_execnz .LBB49_3213
; %bb.1165:
	s_or_saveexec_b64 s[6:7], s[6:7]
	v_mov_b32_e32 v12, s10
	s_xor_b64 exec, exec, s[6:7]
	s_cbranch_execnz .LBB49_3216
.LBB49_1166:
	s_or_b64 exec, exec, s[6:7]
	s_and_saveexec_b64 s[6:7], s[4:5]
	s_cbranch_execz .LBB49_1168
.LBB49_1167:
	v_bfe_u32 v12, v2, 8, 3
	v_ffbh_u32_e32 v14, v12
	v_min_u32_e32 v14, 32, v14
	v_lshrrev_b16_e32 v13, 3, v11
	v_subrev_u32_e32 v15, 28, v14
	v_and_b32_e32 v13, 15, v13
	v_lshlrev_b32_e32 v11, v15, v11
	v_sub_u32_e32 v14, 29, v14
	v_and_b32_e32 v11, 7, v11
	v_cmp_eq_u16_e32 vcc, 0, v13
	v_cndmask_b32_e32 v11, v12, v11, vcc
	v_cndmask_b32_e32 v12, v13, v14, vcc
	v_lshlrev_b32_e32 v13, 16, v2
	v_mov_b32_e32 v14, 0x3b800000
	v_lshlrev_b32_e32 v11, 20, v11
	v_and_b32_e32 v13, 0x80000000, v13
	v_lshl_add_u32 v12, v12, 23, v14
	v_or3_b32 v12, v13, v12, v11
.LBB49_1168:
	s_or_b64 exec, exec, s[6:7]
	s_nop 0
	v_mfma_f32_16x16x4f32 a[0:3], v10, v12, a[0:3]
	s_movk_i32 s4, 0xff
	v_and_b32_sdwa v11, v6, s4 dst_sel:DWORD dst_unused:UNUSED_PAD src0_sel:WORD_1 src1_sel:DWORD
	s_movk_i32 s4, 0x7f
	v_cmp_lt_i16_e32 vcc, s4, v11
	s_mov_b64 s[4:5], 0
                                        ; implicit-def: $sgpr10
	s_and_saveexec_b64 s[6:7], vcc
	s_xor_b64 s[6:7], exec, s[6:7]
	s_cbranch_execnz .LBB49_3217
; %bb.1169:
	s_or_saveexec_b64 s[6:7], s[6:7]
	v_mov_b32_e32 v10, s10
	s_xor_b64 exec, exec, s[6:7]
	s_cbranch_execnz .LBB49_3220
.LBB49_1170:
	s_or_b64 exec, exec, s[6:7]
	s_and_saveexec_b64 s[6:7], s[4:5]
	s_cbranch_execz .LBB49_1172
.LBB49_1171:
	v_bfe_u32 v10, v6, 16, 3
	v_ffbh_u32_e32 v13, v10
	v_min_u32_e32 v13, 32, v13
	v_lshrrev_b32_e32 v11, 19, v6
	v_subrev_u32_e32 v14, 28, v13
	v_and_b32_e32 v11, 15, v11
	v_lshlrev_b32_sdwa v14, v14, v6 dst_sel:DWORD dst_unused:UNUSED_PAD src0_sel:DWORD src1_sel:WORD_1
	v_bfe_u32 v12, v6, 19, 4
	v_sub_u32_e32 v13, 29, v13
	v_and_b32_e32 v14, 7, v14
	v_cmp_eq_u16_e32 vcc, 0, v11
	v_cndmask_b32_e32 v10, v10, v14, vcc
	v_cndmask_b32_e32 v11, v12, v13, vcc
	v_lshlrev_b32_e32 v12, 8, v6
	v_mov_b32_e32 v13, 0x3b800000
	v_lshlrev_b32_e32 v10, 20, v10
	v_and_b32_e32 v12, 0x80000000, v12
	v_lshl_add_u32 v11, v11, 23, v13
	v_or3_b32 v10, v12, v11, v10
.LBB49_1172:
	s_or_b64 exec, exec, s[6:7]
	s_movk_i32 s4, 0xff
	v_and_b32_sdwa v11, v2, s4 dst_sel:DWORD dst_unused:UNUSED_PAD src0_sel:WORD_1 src1_sel:DWORD
	s_movk_i32 s4, 0x7f
	v_cmp_lt_i16_e32 vcc, s4, v11
	s_mov_b64 s[4:5], 0
                                        ; implicit-def: $sgpr10
	s_and_saveexec_b64 s[6:7], vcc
	s_xor_b64 s[6:7], exec, s[6:7]
	s_cbranch_execnz .LBB49_3221
; %bb.1173:
	s_or_saveexec_b64 s[6:7], s[6:7]
	v_mov_b32_e32 v12, s10
	s_xor_b64 exec, exec, s[6:7]
	s_cbranch_execnz .LBB49_3224
.LBB49_1174:
	s_or_b64 exec, exec, s[6:7]
	s_and_saveexec_b64 s[6:7], s[4:5]
	s_cbranch_execz .LBB49_1176
.LBB49_1175:
	v_bfe_u32 v11, v2, 16, 3
	v_ffbh_u32_e32 v14, v11
	v_min_u32_e32 v14, 32, v14
	v_lshrrev_b32_e32 v12, 19, v2
	v_subrev_u32_e32 v15, 28, v14
	v_and_b32_e32 v12, 15, v12
	v_lshlrev_b32_sdwa v15, v15, v2 dst_sel:DWORD dst_unused:UNUSED_PAD src0_sel:DWORD src1_sel:WORD_1
	v_bfe_u32 v13, v2, 19, 4
	v_sub_u32_e32 v14, 29, v14
	v_and_b32_e32 v15, 7, v15
	v_cmp_eq_u16_e32 vcc, 0, v12
	v_cndmask_b32_e32 v11, v11, v15, vcc
	v_cndmask_b32_e32 v12, v13, v14, vcc
	v_lshlrev_b32_e32 v13, 8, v2
	v_mov_b32_e32 v14, 0x3b800000
	v_lshlrev_b32_e32 v11, 20, v11
	v_and_b32_e32 v13, 0x80000000, v13
	v_lshl_add_u32 v12, v12, 23, v14
	v_or3_b32 v12, v13, v12, v11
.LBB49_1176:
	s_or_b64 exec, exec, s[6:7]
	s_nop 0
	v_mfma_f32_16x16x4f32 a[0:3], v10, v12, a[0:3]
	s_movk_i32 s4, 0x7f
	v_cmp_gt_i16_sdwa s[6:7], v6, s4 src0_sel:BYTE_3 src1_sel:DWORD
	s_mov_b64 s[4:5], 0
                                        ; implicit-def: $sgpr10
	s_and_saveexec_b64 s[8:9], s[6:7]
	s_xor_b64 s[6:7], exec, s[8:9]
	s_cbranch_execnz .LBB49_3225
; %bb.1177:
	s_or_saveexec_b64 s[6:7], s[6:7]
	v_mov_b32_e32 v10, s10
	s_xor_b64 exec, exec, s[6:7]
	s_cbranch_execnz .LBB49_3228
.LBB49_1178:
	s_or_b64 exec, exec, s[6:7]
	s_and_saveexec_b64 s[6:7], s[4:5]
	s_cbranch_execz .LBB49_1180
.LBB49_1179:
	v_bfe_u32 v10, v6, 24, 3
	v_ffbh_u32_e32 v14, v10
	v_min_u32_e32 v14, 32, v14
	v_lshrrev_b32_e32 v12, 27, v6
	v_subrev_u32_e32 v15, 28, v14
	v_and_b32_e32 v11, 0x80000000, v6
	v_and_b32_e32 v12, 15, v12
	v_bfe_u32 v13, v6, 27, 4
	v_lshlrev_b32_sdwa v6, v15, v6 dst_sel:DWORD dst_unused:UNUSED_PAD src0_sel:DWORD src1_sel:BYTE_3
	v_sub_u32_e32 v14, 29, v14
	v_and_b32_e32 v6, 7, v6
	v_cmp_eq_u16_e32 vcc, 0, v12
	v_cndmask_b32_e32 v6, v10, v6, vcc
	v_cndmask_b32_e32 v10, v13, v14, vcc
	v_mov_b32_e32 v12, 0x3b800000
	v_lshlrev_b32_e32 v6, 20, v6
	v_lshl_add_u32 v10, v10, 23, v12
	v_or3_b32 v10, v11, v10, v6
.LBB49_1180:
	s_or_b64 exec, exec, s[6:7]
	s_movk_i32 s4, 0x7f
	v_cmp_gt_i16_sdwa s[6:7], v2, s4 src0_sel:BYTE_3 src1_sel:DWORD
	s_mov_b64 s[4:5], 0
                                        ; implicit-def: $sgpr10
	s_and_saveexec_b64 s[8:9], s[6:7]
	s_xor_b64 s[6:7], exec, s[8:9]
	s_cbranch_execnz .LBB49_3229
; %bb.1181:
	s_or_saveexec_b64 s[6:7], s[6:7]
	v_mov_b32_e32 v6, s10
	s_xor_b64 exec, exec, s[6:7]
	s_cbranch_execnz .LBB49_3232
.LBB49_1182:
	s_or_b64 exec, exec, s[6:7]
	s_and_saveexec_b64 s[6:7], s[4:5]
	s_cbranch_execz .LBB49_1184
.LBB49_1183:
	v_bfe_u32 v6, v2, 24, 3
	v_ffbh_u32_e32 v14, v6
	v_min_u32_e32 v14, 32, v14
	v_lshrrev_b32_e32 v12, 27, v2
	v_subrev_u32_e32 v15, 28, v14
	v_and_b32_e32 v11, 0x80000000, v2
	v_and_b32_e32 v12, 15, v12
	v_bfe_u32 v13, v2, 27, 4
	v_lshlrev_b32_sdwa v2, v15, v2 dst_sel:DWORD dst_unused:UNUSED_PAD src0_sel:DWORD src1_sel:BYTE_3
	v_sub_u32_e32 v14, 29, v14
	v_and_b32_e32 v2, 7, v2
	v_cmp_eq_u16_e32 vcc, 0, v12
	v_cndmask_b32_e32 v2, v6, v2, vcc
	v_cndmask_b32_e32 v6, v13, v14, vcc
	v_mov_b32_e32 v12, 0x3b800000
	v_lshlrev_b32_e32 v2, 20, v2
	v_lshl_add_u32 v6, v6, 23, v12
	v_or3_b32 v6, v11, v6, v2
.LBB49_1184:
	s_or_b64 exec, exec, s[6:7]
	s_nop 0
	v_mfma_f32_16x16x4f32 a[0:3], v10, v6, a[0:3]
	s_movk_i32 s4, 0x7f
	v_cmp_gt_i16_sdwa s[6:7], v7, s4 src0_sel:BYTE_0 src1_sel:DWORD
	s_mov_b64 s[4:5], 0
                                        ; implicit-def: $sgpr10
	s_and_saveexec_b64 s[8:9], s[6:7]
	s_xor_b64 s[6:7], exec, s[8:9]
	s_cbranch_execnz .LBB49_3233
; %bb.1185:
	s_or_saveexec_b64 s[6:7], s[6:7]
	v_mov_b32_e32 v2, s10
	s_xor_b64 exec, exec, s[6:7]
	s_cbranch_execnz .LBB49_3236
.LBB49_1186:
	s_or_b64 exec, exec, s[6:7]
	s_and_saveexec_b64 s[6:7], s[4:5]
	s_cbranch_execz .LBB49_1188
.LBB49_1187:
	v_and_b32_e32 v2, 7, v7
	v_ffbh_u32_e32 v10, v2
	v_min_u32_e32 v10, 32, v10
	v_lshrrev_b16_e32 v6, 3, v7
	v_subrev_u32_e32 v11, 28, v10
	v_and_b32_e32 v6, 15, v6
	v_lshlrev_b32_e32 v11, v11, v7
	v_sub_u32_e32 v10, 29, v10
	v_and_b32_e32 v11, 7, v11
	v_cmp_eq_u16_e32 vcc, 0, v6
	v_cndmask_b32_e32 v2, v2, v11, vcc
	v_cndmask_b32_e32 v6, v6, v10, vcc
	v_lshlrev_b32_e32 v10, 24, v7
	v_mov_b32_e32 v11, 0x3b800000
	v_lshlrev_b32_e32 v2, 20, v2
	v_and_b32_e32 v10, 0x80000000, v10
	v_lshl_add_u32 v6, v6, 23, v11
	v_or3_b32 v2, v10, v6, v2
.LBB49_1188:
	s_or_b64 exec, exec, s[6:7]
	s_movk_i32 s4, 0x7f
	v_cmp_gt_i16_sdwa s[6:7], v3, s4 src0_sel:BYTE_0 src1_sel:DWORD
	s_mov_b64 s[4:5], 0
                                        ; implicit-def: $sgpr10
	s_and_saveexec_b64 s[8:9], s[6:7]
	s_xor_b64 s[6:7], exec, s[8:9]
	s_cbranch_execnz .LBB49_3237
; %bb.1189:
	s_or_saveexec_b64 s[6:7], s[6:7]
	v_mov_b32_e32 v6, s10
	s_xor_b64 exec, exec, s[6:7]
	s_cbranch_execnz .LBB49_3240
.LBB49_1190:
	s_or_b64 exec, exec, s[6:7]
	s_and_saveexec_b64 s[6:7], s[4:5]
	s_cbranch_execz .LBB49_1192
.LBB49_1191:
	v_and_b32_e32 v6, 7, v3
	v_ffbh_u32_e32 v11, v6
	v_min_u32_e32 v11, 32, v11
	v_lshrrev_b16_e32 v10, 3, v3
	v_subrev_u32_e32 v12, 28, v11
	v_and_b32_e32 v10, 15, v10
	v_lshlrev_b32_e32 v12, v12, v3
	v_sub_u32_e32 v11, 29, v11
	v_and_b32_e32 v12, 7, v12
	v_cmp_eq_u16_e32 vcc, 0, v10
	v_cndmask_b32_e32 v6, v6, v12, vcc
	v_cndmask_b32_e32 v10, v10, v11, vcc
	v_lshlrev_b32_e32 v11, 24, v3
	v_mov_b32_e32 v12, 0x3b800000
	v_lshlrev_b32_e32 v6, 20, v6
	v_and_b32_e32 v11, 0x80000000, v11
	v_lshl_add_u32 v10, v10, 23, v12
	v_or3_b32 v6, v11, v10, v6
.LBB49_1192:
	s_or_b64 exec, exec, s[6:7]
	s_nop 0
	v_mfma_f32_16x16x4f32 a[0:3], v2, v6, a[0:3]
	v_lshrrev_b32_e32 v6, 8, v7
	s_movk_i32 s4, 0x7f
	v_cmp_gt_i16_sdwa s[6:7], v6, s4 src0_sel:BYTE_0 src1_sel:DWORD
	s_mov_b64 s[4:5], 0
                                        ; implicit-def: $sgpr10
	s_and_saveexec_b64 s[8:9], s[6:7]
	s_xor_b64 s[6:7], exec, s[8:9]
	s_cbranch_execnz .LBB49_3241
; %bb.1193:
	s_or_saveexec_b64 s[6:7], s[6:7]
	v_mov_b32_e32 v2, s10
	s_xor_b64 exec, exec, s[6:7]
	s_cbranch_execnz .LBB49_3244
.LBB49_1194:
	s_or_b64 exec, exec, s[6:7]
	s_and_saveexec_b64 s[6:7], s[4:5]
	s_cbranch_execz .LBB49_1196
.LBB49_1195:
	v_bfe_u32 v2, v7, 8, 3
	v_ffbh_u32_e32 v11, v2
	v_min_u32_e32 v11, 32, v11
	v_lshrrev_b16_e32 v10, 3, v6
	v_subrev_u32_e32 v12, 28, v11
	v_and_b32_e32 v10, 15, v10
	v_lshlrev_b32_e32 v6, v12, v6
	v_sub_u32_e32 v11, 29, v11
	v_and_b32_e32 v6, 7, v6
	v_cmp_eq_u16_e32 vcc, 0, v10
	v_cndmask_b32_e32 v2, v2, v6, vcc
	v_cndmask_b32_e32 v6, v10, v11, vcc
	v_lshlrev_b32_e32 v10, 16, v7
	v_mov_b32_e32 v11, 0x3b800000
	v_lshlrev_b32_e32 v2, 20, v2
	v_and_b32_e32 v10, 0x80000000, v10
	v_lshl_add_u32 v6, v6, 23, v11
	v_or3_b32 v2, v10, v6, v2
.LBB49_1196:
	s_or_b64 exec, exec, s[6:7]
	v_lshrrev_b32_e32 v6, 8, v3
	s_movk_i32 s4, 0x7f
	v_cmp_gt_i16_sdwa s[6:7], v6, s4 src0_sel:BYTE_0 src1_sel:DWORD
	s_mov_b64 s[4:5], 0
                                        ; implicit-def: $sgpr10
	s_and_saveexec_b64 s[8:9], s[6:7]
	s_xor_b64 s[6:7], exec, s[8:9]
	s_cbranch_execnz .LBB49_3245
; %bb.1197:
	s_or_saveexec_b64 s[6:7], s[6:7]
	v_mov_b32_e32 v10, s10
	s_xor_b64 exec, exec, s[6:7]
	s_cbranch_execnz .LBB49_3248
.LBB49_1198:
	s_or_b64 exec, exec, s[6:7]
	s_and_saveexec_b64 s[6:7], s[4:5]
	s_cbranch_execz .LBB49_1200
.LBB49_1199:
	v_bfe_u32 v10, v3, 8, 3
	v_ffbh_u32_e32 v12, v10
	v_min_u32_e32 v12, 32, v12
	v_lshrrev_b16_e32 v11, 3, v6
	v_subrev_u32_e32 v13, 28, v12
	v_and_b32_e32 v11, 15, v11
	v_lshlrev_b32_e32 v6, v13, v6
	v_sub_u32_e32 v12, 29, v12
	v_and_b32_e32 v6, 7, v6
	v_cmp_eq_u16_e32 vcc, 0, v11
	v_cndmask_b32_e32 v6, v10, v6, vcc
	v_cndmask_b32_e32 v10, v11, v12, vcc
	v_lshlrev_b32_e32 v11, 16, v3
	v_mov_b32_e32 v12, 0x3b800000
	v_lshlrev_b32_e32 v6, 20, v6
	v_and_b32_e32 v11, 0x80000000, v11
	v_lshl_add_u32 v10, v10, 23, v12
	v_or3_b32 v10, v11, v10, v6
.LBB49_1200:
	s_or_b64 exec, exec, s[6:7]
	s_nop 0
	v_mfma_f32_16x16x4f32 a[0:3], v2, v10, a[0:3]
	s_movk_i32 s4, 0xff
	v_and_b32_sdwa v6, v7, s4 dst_sel:DWORD dst_unused:UNUSED_PAD src0_sel:WORD_1 src1_sel:DWORD
	s_movk_i32 s4, 0x7f
	v_cmp_lt_i16_e32 vcc, s4, v6
	s_mov_b64 s[4:5], 0
                                        ; implicit-def: $sgpr10
	s_and_saveexec_b64 s[6:7], vcc
	s_xor_b64 s[6:7], exec, s[6:7]
	s_cbranch_execnz .LBB49_3249
; %bb.1201:
	s_or_saveexec_b64 s[6:7], s[6:7]
	v_mov_b32_e32 v2, s10
	s_xor_b64 exec, exec, s[6:7]
	s_cbranch_execnz .LBB49_3252
.LBB49_1202:
	s_or_b64 exec, exec, s[6:7]
	s_and_saveexec_b64 s[6:7], s[4:5]
	s_cbranch_execz .LBB49_1204
.LBB49_1203:
	v_bfe_u32 v2, v7, 16, 3
	v_ffbh_u32_e32 v11, v2
	v_min_u32_e32 v11, 32, v11
	v_lshrrev_b32_e32 v6, 19, v7
	v_subrev_u32_e32 v12, 28, v11
	v_and_b32_e32 v6, 15, v6
	v_lshlrev_b32_sdwa v12, v12, v7 dst_sel:DWORD dst_unused:UNUSED_PAD src0_sel:DWORD src1_sel:WORD_1
	v_bfe_u32 v10, v7, 19, 4
	v_sub_u32_e32 v11, 29, v11
	v_and_b32_e32 v12, 7, v12
	v_cmp_eq_u16_e32 vcc, 0, v6
	v_cndmask_b32_e32 v2, v2, v12, vcc
	v_cndmask_b32_e32 v6, v10, v11, vcc
	v_lshlrev_b32_e32 v10, 8, v7
	v_mov_b32_e32 v11, 0x3b800000
	v_lshlrev_b32_e32 v2, 20, v2
	v_and_b32_e32 v10, 0x80000000, v10
	v_lshl_add_u32 v6, v6, 23, v11
	v_or3_b32 v2, v10, v6, v2
.LBB49_1204:
	s_or_b64 exec, exec, s[6:7]
	s_movk_i32 s4, 0xff
	v_and_b32_sdwa v6, v3, s4 dst_sel:DWORD dst_unused:UNUSED_PAD src0_sel:WORD_1 src1_sel:DWORD
	s_movk_i32 s4, 0x7f
	v_cmp_lt_i16_e32 vcc, s4, v6
	s_mov_b64 s[4:5], 0
                                        ; implicit-def: $sgpr10
	s_and_saveexec_b64 s[6:7], vcc
	s_xor_b64 s[6:7], exec, s[6:7]
	s_cbranch_execnz .LBB49_3253
; %bb.1205:
	s_or_saveexec_b64 s[6:7], s[6:7]
	v_mov_b32_e32 v10, s10
	s_xor_b64 exec, exec, s[6:7]
	s_cbranch_execnz .LBB49_3256
.LBB49_1206:
	s_or_b64 exec, exec, s[6:7]
	s_and_saveexec_b64 s[6:7], s[4:5]
	s_cbranch_execz .LBB49_1208
.LBB49_1207:
	v_bfe_u32 v6, v3, 16, 3
	v_ffbh_u32_e32 v12, v6
	v_min_u32_e32 v12, 32, v12
	v_lshrrev_b32_e32 v10, 19, v3
	v_subrev_u32_e32 v13, 28, v12
	v_and_b32_e32 v10, 15, v10
	v_lshlrev_b32_sdwa v13, v13, v3 dst_sel:DWORD dst_unused:UNUSED_PAD src0_sel:DWORD src1_sel:WORD_1
	v_bfe_u32 v11, v3, 19, 4
	v_sub_u32_e32 v12, 29, v12
	v_and_b32_e32 v13, 7, v13
	v_cmp_eq_u16_e32 vcc, 0, v10
	v_cndmask_b32_e32 v6, v6, v13, vcc
	v_cndmask_b32_e32 v10, v11, v12, vcc
	v_lshlrev_b32_e32 v11, 8, v3
	v_mov_b32_e32 v12, 0x3b800000
	v_lshlrev_b32_e32 v6, 20, v6
	v_and_b32_e32 v11, 0x80000000, v11
	v_lshl_add_u32 v10, v10, 23, v12
	v_or3_b32 v10, v11, v10, v6
.LBB49_1208:
	s_or_b64 exec, exec, s[6:7]
	s_nop 0
	v_mfma_f32_16x16x4f32 a[0:3], v2, v10, a[0:3]
	s_movk_i32 s4, 0x7f
	v_cmp_gt_i16_sdwa s[6:7], v7, s4 src0_sel:BYTE_3 src1_sel:DWORD
	s_mov_b64 s[4:5], 0
                                        ; implicit-def: $sgpr10
	s_and_saveexec_b64 s[8:9], s[6:7]
	s_xor_b64 s[6:7], exec, s[8:9]
	s_cbranch_execnz .LBB49_3257
; %bb.1209:
	s_or_saveexec_b64 s[6:7], s[6:7]
	v_mov_b32_e32 v2, s10
	s_xor_b64 exec, exec, s[6:7]
	s_cbranch_execnz .LBB49_3260
.LBB49_1210:
	s_or_b64 exec, exec, s[6:7]
	s_and_saveexec_b64 s[6:7], s[4:5]
	s_cbranch_execz .LBB49_1212
.LBB49_1211:
	v_bfe_u32 v2, v7, 24, 3
	v_ffbh_u32_e32 v12, v2
	v_min_u32_e32 v12, 32, v12
	v_lshrrev_b32_e32 v10, 27, v7
	v_subrev_u32_e32 v13, 28, v12
	v_and_b32_e32 v6, 0x80000000, v7
	v_and_b32_e32 v10, 15, v10
	v_bfe_u32 v11, v7, 27, 4
	v_lshlrev_b32_sdwa v7, v13, v7 dst_sel:DWORD dst_unused:UNUSED_PAD src0_sel:DWORD src1_sel:BYTE_3
	v_sub_u32_e32 v12, 29, v12
	v_and_b32_e32 v7, 7, v7
	v_cmp_eq_u16_e32 vcc, 0, v10
	v_cndmask_b32_e32 v2, v2, v7, vcc
	v_cndmask_b32_e32 v7, v11, v12, vcc
	v_mov_b32_e32 v10, 0x3b800000
	v_lshlrev_b32_e32 v2, 20, v2
	v_lshl_add_u32 v7, v7, 23, v10
	v_or3_b32 v2, v6, v7, v2
.LBB49_1212:
	s_or_b64 exec, exec, s[6:7]
	s_movk_i32 s4, 0x7f
	v_cmp_gt_i16_sdwa s[6:7], v3, s4 src0_sel:BYTE_3 src1_sel:DWORD
	s_mov_b64 s[4:5], 0
                                        ; implicit-def: $sgpr10
	s_and_saveexec_b64 s[8:9], s[6:7]
	s_xor_b64 s[6:7], exec, s[8:9]
	s_cbranch_execnz .LBB49_3261
; %bb.1213:
	s_or_saveexec_b64 s[6:7], s[6:7]
	v_mov_b32_e32 v6, s10
	s_xor_b64 exec, exec, s[6:7]
	s_cbranch_execnz .LBB49_3264
.LBB49_1214:
	s_or_b64 exec, exec, s[6:7]
	s_and_saveexec_b64 s[6:7], s[4:5]
	s_cbranch_execz .LBB49_1216
.LBB49_1215:
	v_bfe_u32 v6, v3, 24, 3
	v_ffbh_u32_e32 v12, v6
	v_min_u32_e32 v12, 32, v12
	v_lshrrev_b32_e32 v10, 27, v3
	v_subrev_u32_e32 v13, 28, v12
	v_and_b32_e32 v7, 0x80000000, v3
	v_and_b32_e32 v10, 15, v10
	v_bfe_u32 v11, v3, 27, 4
	v_lshlrev_b32_sdwa v3, v13, v3 dst_sel:DWORD dst_unused:UNUSED_PAD src0_sel:DWORD src1_sel:BYTE_3
	v_sub_u32_e32 v12, 29, v12
	v_and_b32_e32 v3, 7, v3
	v_cmp_eq_u16_e32 vcc, 0, v10
	v_cndmask_b32_e32 v3, v6, v3, vcc
	v_cndmask_b32_e32 v6, v11, v12, vcc
	v_mov_b32_e32 v10, 0x3b800000
	v_lshlrev_b32_e32 v3, 20, v3
	v_lshl_add_u32 v6, v6, 23, v10
	v_or3_b32 v6, v7, v6, v3
.LBB49_1216:
	s_or_b64 exec, exec, s[6:7]
	s_nop 0
	v_mfma_f32_16x16x4f32 a[0:3], v2, v6, a[0:3]
	s_movk_i32 s4, 0x7f
	v_cmp_gt_i16_sdwa s[6:7], v8, s4 src0_sel:BYTE_0 src1_sel:DWORD
	s_mov_b64 s[4:5], 0
                                        ; implicit-def: $sgpr10
	s_and_saveexec_b64 s[8:9], s[6:7]
	s_xor_b64 s[6:7], exec, s[8:9]
	s_cbranch_execnz .LBB49_3265
; %bb.1217:
	s_or_saveexec_b64 s[6:7], s[6:7]
	v_mov_b32_e32 v2, s10
	s_xor_b64 exec, exec, s[6:7]
	s_cbranch_execnz .LBB49_3268
.LBB49_1218:
	s_or_b64 exec, exec, s[6:7]
	s_and_saveexec_b64 s[6:7], s[4:5]
	s_cbranch_execz .LBB49_1220
.LBB49_1219:
	v_and_b32_e32 v2, 7, v8
	v_ffbh_u32_e32 v6, v2
	v_min_u32_e32 v6, 32, v6
	v_lshrrev_b16_e32 v3, 3, v8
	v_subrev_u32_e32 v7, 28, v6
	v_and_b32_e32 v3, 15, v3
	v_lshlrev_b32_e32 v7, v7, v8
	v_sub_u32_e32 v6, 29, v6
	v_and_b32_e32 v7, 7, v7
	v_cmp_eq_u16_e32 vcc, 0, v3
	v_cndmask_b32_e32 v2, v2, v7, vcc
	v_cndmask_b32_e32 v3, v3, v6, vcc
	v_lshlrev_b32_e32 v6, 24, v8
	v_mov_b32_e32 v7, 0x3b800000
	v_lshlrev_b32_e32 v2, 20, v2
	v_and_b32_e32 v6, 0x80000000, v6
	v_lshl_add_u32 v3, v3, 23, v7
	v_or3_b32 v2, v6, v3, v2
.LBB49_1220:
	s_or_b64 exec, exec, s[6:7]
	s_movk_i32 s4, 0x7f
	v_cmp_gt_i16_sdwa s[6:7], v4, s4 src0_sel:BYTE_0 src1_sel:DWORD
	s_mov_b64 s[4:5], 0
                                        ; implicit-def: $sgpr10
	s_and_saveexec_b64 s[8:9], s[6:7]
	s_xor_b64 s[6:7], exec, s[8:9]
	s_cbranch_execnz .LBB49_3269
; %bb.1221:
	s_or_saveexec_b64 s[6:7], s[6:7]
	v_mov_b32_e32 v3, s10
	s_xor_b64 exec, exec, s[6:7]
	s_cbranch_execnz .LBB49_3272
.LBB49_1222:
	s_or_b64 exec, exec, s[6:7]
	s_and_saveexec_b64 s[6:7], s[4:5]
	s_cbranch_execz .LBB49_1224
.LBB49_1223:
	v_and_b32_e32 v3, 7, v4
	v_ffbh_u32_e32 v7, v3
	v_min_u32_e32 v7, 32, v7
	v_lshrrev_b16_e32 v6, 3, v4
	v_subrev_u32_e32 v10, 28, v7
	v_and_b32_e32 v6, 15, v6
	v_lshlrev_b32_e32 v10, v10, v4
	v_sub_u32_e32 v7, 29, v7
	v_and_b32_e32 v10, 7, v10
	v_cmp_eq_u16_e32 vcc, 0, v6
	v_cndmask_b32_e32 v3, v3, v10, vcc
	v_cndmask_b32_e32 v6, v6, v7, vcc
	v_lshlrev_b32_e32 v7, 24, v4
	v_mov_b32_e32 v10, 0x3b800000
	v_lshlrev_b32_e32 v3, 20, v3
	v_and_b32_e32 v7, 0x80000000, v7
	v_lshl_add_u32 v6, v6, 23, v10
	v_or3_b32 v3, v7, v6, v3
.LBB49_1224:
	s_or_b64 exec, exec, s[6:7]
	s_nop 0
	v_mfma_f32_16x16x4f32 a[0:3], v2, v3, a[0:3]
	v_lshrrev_b32_e32 v3, 8, v8
	s_movk_i32 s4, 0x7f
	v_cmp_gt_i16_sdwa s[6:7], v3, s4 src0_sel:BYTE_0 src1_sel:DWORD
	s_mov_b64 s[4:5], 0
                                        ; implicit-def: $sgpr10
	s_and_saveexec_b64 s[8:9], s[6:7]
	s_xor_b64 s[6:7], exec, s[8:9]
	s_cbranch_execnz .LBB49_3273
; %bb.1225:
	s_or_saveexec_b64 s[6:7], s[6:7]
	v_mov_b32_e32 v2, s10
	s_xor_b64 exec, exec, s[6:7]
	s_cbranch_execnz .LBB49_3276
.LBB49_1226:
	s_or_b64 exec, exec, s[6:7]
	s_and_saveexec_b64 s[6:7], s[4:5]
	s_cbranch_execz .LBB49_1228
.LBB49_1227:
	v_bfe_u32 v2, v8, 8, 3
	v_ffbh_u32_e32 v7, v2
	v_min_u32_e32 v7, 32, v7
	v_lshrrev_b16_e32 v6, 3, v3
	v_subrev_u32_e32 v10, 28, v7
	v_and_b32_e32 v6, 15, v6
	v_lshlrev_b32_e32 v3, v10, v3
	v_sub_u32_e32 v7, 29, v7
	v_and_b32_e32 v3, 7, v3
	v_cmp_eq_u16_e32 vcc, 0, v6
	v_cndmask_b32_e32 v2, v2, v3, vcc
	v_cndmask_b32_e32 v3, v6, v7, vcc
	v_lshlrev_b32_e32 v6, 16, v8
	v_mov_b32_e32 v7, 0x3b800000
	v_lshlrev_b32_e32 v2, 20, v2
	v_and_b32_e32 v6, 0x80000000, v6
	v_lshl_add_u32 v3, v3, 23, v7
	v_or3_b32 v2, v6, v3, v2
.LBB49_1228:
	s_or_b64 exec, exec, s[6:7]
	v_lshrrev_b32_e32 v3, 8, v4
	s_movk_i32 s4, 0x7f
	v_cmp_gt_i16_sdwa s[6:7], v3, s4 src0_sel:BYTE_0 src1_sel:DWORD
	s_mov_b64 s[4:5], 0
                                        ; implicit-def: $sgpr10
	s_and_saveexec_b64 s[8:9], s[6:7]
	s_xor_b64 s[6:7], exec, s[8:9]
	s_cbranch_execnz .LBB49_3277
; %bb.1229:
	s_or_saveexec_b64 s[6:7], s[6:7]
	v_mov_b32_e32 v6, s10
	s_xor_b64 exec, exec, s[6:7]
	s_cbranch_execnz .LBB49_3280
.LBB49_1230:
	s_or_b64 exec, exec, s[6:7]
	s_and_saveexec_b64 s[6:7], s[4:5]
	s_cbranch_execz .LBB49_1232
.LBB49_1231:
	v_bfe_u32 v6, v4, 8, 3
	v_ffbh_u32_e32 v10, v6
	v_min_u32_e32 v10, 32, v10
	v_lshrrev_b16_e32 v7, 3, v3
	v_subrev_u32_e32 v11, 28, v10
	v_and_b32_e32 v7, 15, v7
	v_lshlrev_b32_e32 v3, v11, v3
	v_sub_u32_e32 v10, 29, v10
	v_and_b32_e32 v3, 7, v3
	v_cmp_eq_u16_e32 vcc, 0, v7
	v_cndmask_b32_e32 v3, v6, v3, vcc
	v_cndmask_b32_e32 v6, v7, v10, vcc
	v_lshlrev_b32_e32 v7, 16, v4
	v_mov_b32_e32 v10, 0x3b800000
	v_lshlrev_b32_e32 v3, 20, v3
	v_and_b32_e32 v7, 0x80000000, v7
	v_lshl_add_u32 v6, v6, 23, v10
	v_or3_b32 v6, v7, v6, v3
.LBB49_1232:
	s_or_b64 exec, exec, s[6:7]
	s_nop 0
	v_mfma_f32_16x16x4f32 a[0:3], v2, v6, a[0:3]
	s_movk_i32 s4, 0xff
	v_and_b32_sdwa v3, v8, s4 dst_sel:DWORD dst_unused:UNUSED_PAD src0_sel:WORD_1 src1_sel:DWORD
	s_movk_i32 s4, 0x7f
	v_cmp_lt_i16_e32 vcc, s4, v3
	s_mov_b64 s[4:5], 0
                                        ; implicit-def: $sgpr10
	s_and_saveexec_b64 s[6:7], vcc
	s_xor_b64 s[6:7], exec, s[6:7]
	s_cbranch_execnz .LBB49_3281
; %bb.1233:
	s_or_saveexec_b64 s[6:7], s[6:7]
	v_mov_b32_e32 v2, s10
	s_xor_b64 exec, exec, s[6:7]
	s_cbranch_execnz .LBB49_3284
.LBB49_1234:
	s_or_b64 exec, exec, s[6:7]
	s_and_saveexec_b64 s[6:7], s[4:5]
	s_cbranch_execz .LBB49_1236
.LBB49_1235:
	v_bfe_u32 v2, v8, 16, 3
	v_ffbh_u32_e32 v7, v2
	v_min_u32_e32 v7, 32, v7
	v_lshrrev_b32_e32 v3, 19, v8
	v_subrev_u32_e32 v10, 28, v7
	v_and_b32_e32 v3, 15, v3
	v_lshlrev_b32_sdwa v10, v10, v8 dst_sel:DWORD dst_unused:UNUSED_PAD src0_sel:DWORD src1_sel:WORD_1
	v_bfe_u32 v6, v8, 19, 4
	v_sub_u32_e32 v7, 29, v7
	v_and_b32_e32 v10, 7, v10
	v_cmp_eq_u16_e32 vcc, 0, v3
	v_cndmask_b32_e32 v2, v2, v10, vcc
	v_cndmask_b32_e32 v3, v6, v7, vcc
	v_lshlrev_b32_e32 v6, 8, v8
	v_mov_b32_e32 v7, 0x3b800000
	v_lshlrev_b32_e32 v2, 20, v2
	v_and_b32_e32 v6, 0x80000000, v6
	v_lshl_add_u32 v3, v3, 23, v7
	v_or3_b32 v2, v6, v3, v2
.LBB49_1236:
	s_or_b64 exec, exec, s[6:7]
	s_movk_i32 s4, 0xff
	v_and_b32_sdwa v3, v4, s4 dst_sel:DWORD dst_unused:UNUSED_PAD src0_sel:WORD_1 src1_sel:DWORD
	s_movk_i32 s4, 0x7f
	v_cmp_lt_i16_e32 vcc, s4, v3
	s_mov_b64 s[4:5], 0
                                        ; implicit-def: $sgpr10
	s_and_saveexec_b64 s[6:7], vcc
	s_xor_b64 s[6:7], exec, s[6:7]
	s_cbranch_execnz .LBB49_3285
; %bb.1237:
	s_or_saveexec_b64 s[6:7], s[6:7]
	v_mov_b32_e32 v6, s10
	s_xor_b64 exec, exec, s[6:7]
	s_cbranch_execnz .LBB49_3288
.LBB49_1238:
	s_or_b64 exec, exec, s[6:7]
	s_and_saveexec_b64 s[6:7], s[4:5]
	s_cbranch_execz .LBB49_1240
.LBB49_1239:
	v_bfe_u32 v3, v4, 16, 3
	v_ffbh_u32_e32 v10, v3
	v_min_u32_e32 v10, 32, v10
	v_lshrrev_b32_e32 v6, 19, v4
	v_subrev_u32_e32 v11, 28, v10
	v_and_b32_e32 v6, 15, v6
	v_lshlrev_b32_sdwa v11, v11, v4 dst_sel:DWORD dst_unused:UNUSED_PAD src0_sel:DWORD src1_sel:WORD_1
	v_bfe_u32 v7, v4, 19, 4
	v_sub_u32_e32 v10, 29, v10
	v_and_b32_e32 v11, 7, v11
	v_cmp_eq_u16_e32 vcc, 0, v6
	v_cndmask_b32_e32 v3, v3, v11, vcc
	v_cndmask_b32_e32 v6, v7, v10, vcc
	v_lshlrev_b32_e32 v7, 8, v4
	v_mov_b32_e32 v10, 0x3b800000
	v_lshlrev_b32_e32 v3, 20, v3
	v_and_b32_e32 v7, 0x80000000, v7
	v_lshl_add_u32 v6, v6, 23, v10
	v_or3_b32 v6, v7, v6, v3
.LBB49_1240:
	s_or_b64 exec, exec, s[6:7]
	s_nop 0
	v_mfma_f32_16x16x4f32 a[0:3], v2, v6, a[0:3]
	s_movk_i32 s4, 0x7f
	v_cmp_gt_i16_sdwa s[6:7], v8, s4 src0_sel:BYTE_3 src1_sel:DWORD
	s_mov_b64 s[4:5], 0
                                        ; implicit-def: $sgpr10
	s_and_saveexec_b64 s[8:9], s[6:7]
	s_xor_b64 s[6:7], exec, s[8:9]
	s_cbranch_execnz .LBB49_3289
; %bb.1241:
	s_or_saveexec_b64 s[6:7], s[6:7]
	v_mov_b32_e32 v2, s10
	s_xor_b64 exec, exec, s[6:7]
	s_cbranch_execnz .LBB49_3292
.LBB49_1242:
	s_or_b64 exec, exec, s[6:7]
	s_and_saveexec_b64 s[6:7], s[4:5]
	s_cbranch_execz .LBB49_1244
.LBB49_1243:
	v_bfe_u32 v2, v8, 24, 3
	v_ffbh_u32_e32 v10, v2
	v_min_u32_e32 v10, 32, v10
	v_lshrrev_b32_e32 v6, 27, v8
	v_subrev_u32_e32 v11, 28, v10
	v_and_b32_e32 v3, 0x80000000, v8
	v_and_b32_e32 v6, 15, v6
	v_bfe_u32 v7, v8, 27, 4
	v_lshlrev_b32_sdwa v8, v11, v8 dst_sel:DWORD dst_unused:UNUSED_PAD src0_sel:DWORD src1_sel:BYTE_3
	v_sub_u32_e32 v10, 29, v10
	v_and_b32_e32 v8, 7, v8
	v_cmp_eq_u16_e32 vcc, 0, v6
	v_cndmask_b32_e32 v2, v2, v8, vcc
	v_cndmask_b32_e32 v6, v7, v10, vcc
	v_mov_b32_e32 v7, 0x3b800000
	v_lshlrev_b32_e32 v2, 20, v2
	v_lshl_add_u32 v6, v6, 23, v7
	v_or3_b32 v2, v3, v6, v2
.LBB49_1244:
	s_or_b64 exec, exec, s[6:7]
	s_movk_i32 s4, 0x7f
	v_cmp_gt_i16_sdwa s[6:7], v4, s4 src0_sel:BYTE_3 src1_sel:DWORD
	s_mov_b64 s[4:5], 0
                                        ; implicit-def: $sgpr10
	s_and_saveexec_b64 s[8:9], s[6:7]
	s_xor_b64 s[6:7], exec, s[8:9]
	s_cbranch_execnz .LBB49_3293
; %bb.1245:
	s_or_saveexec_b64 s[6:7], s[6:7]
	v_mov_b32_e32 v3, s10
	s_xor_b64 exec, exec, s[6:7]
	s_cbranch_execnz .LBB49_3296
.LBB49_1246:
	s_or_b64 exec, exec, s[6:7]
	s_and_saveexec_b64 s[6:7], s[4:5]
	s_cbranch_execz .LBB49_1248
.LBB49_1247:
	v_bfe_u32 v3, v4, 24, 3
	v_ffbh_u32_e32 v10, v3
	v_min_u32_e32 v10, 32, v10
	v_lshrrev_b32_e32 v7, 27, v4
	v_subrev_u32_e32 v11, 28, v10
	v_and_b32_e32 v6, 0x80000000, v4
	v_and_b32_e32 v7, 15, v7
	v_bfe_u32 v8, v4, 27, 4
	v_lshlrev_b32_sdwa v4, v11, v4 dst_sel:DWORD dst_unused:UNUSED_PAD src0_sel:DWORD src1_sel:BYTE_3
	v_sub_u32_e32 v10, 29, v10
	v_and_b32_e32 v4, 7, v4
	v_cmp_eq_u16_e32 vcc, 0, v7
	v_cndmask_b32_e32 v3, v3, v4, vcc
	v_cndmask_b32_e32 v4, v8, v10, vcc
	v_mov_b32_e32 v7, 0x3b800000
	v_lshlrev_b32_e32 v3, 20, v3
	v_lshl_add_u32 v4, v4, 23, v7
	v_or3_b32 v3, v6, v4, v3
.LBB49_1248:
	s_or_b64 exec, exec, s[6:7]
	s_nop 0
	v_mfma_f32_16x16x4f32 a[0:3], v2, v3, a[0:3]
	s_movk_i32 s4, 0x7f
	v_cmp_gt_i16_sdwa s[6:7], v9, s4 src0_sel:BYTE_0 src1_sel:DWORD
	s_mov_b64 s[4:5], 0
                                        ; implicit-def: $sgpr10
	s_and_saveexec_b64 s[8:9], s[6:7]
	s_xor_b64 s[6:7], exec, s[8:9]
	s_cbranch_execnz .LBB49_3297
; %bb.1249:
	s_or_saveexec_b64 s[6:7], s[6:7]
	v_mov_b32_e32 v2, s10
	s_xor_b64 exec, exec, s[6:7]
	s_cbranch_execnz .LBB49_3300
.LBB49_1250:
	s_or_b64 exec, exec, s[6:7]
	s_and_saveexec_b64 s[6:7], s[4:5]
	s_cbranch_execz .LBB49_1252
.LBB49_1251:
	v_mov_b32_e32 v2, 8
	v_and_b32_e32 v3, 7, v9
	v_lshrrev_b32_sdwa v2, v2, v9 dst_sel:BYTE_1 dst_unused:UNUSED_PAD src0_sel:DWORD src1_sel:DWORD
	v_ffbh_u32_e32 v4, v3
	v_or_b32_sdwa v2, v9, v2 dst_sel:DWORD dst_unused:UNUSED_PAD src0_sel:BYTE_0 src1_sel:DWORD
	v_min_u32_e32 v4, 32, v4
	v_lshrrev_b16_e32 v2, 3, v2
	v_subrev_u32_e32 v6, 28, v4
	v_and_b32_e32 v2, 15, v2
	v_lshlrev_b32_e32 v6, v6, v9
	v_sub_u32_e32 v4, 29, v4
	v_and_b32_e32 v6, 7, v6
	v_cmp_eq_u16_e32 vcc, 0, v2
	v_cndmask_b32_e32 v3, v3, v6, vcc
	v_cndmask_b32_e32 v2, v2, v4, vcc
	v_lshlrev_b32_e32 v4, 24, v9
	v_mov_b32_e32 v6, 0x3b800000
	v_lshlrev_b32_e32 v3, 20, v3
	v_and_b32_e32 v4, 0x80000000, v4
	v_lshl_add_u32 v2, v2, 23, v6
	v_or3_b32 v2, v4, v2, v3
.LBB49_1252:
	s_or_b64 exec, exec, s[6:7]
	s_movk_i32 s4, 0x7f
	v_cmp_gt_i16_sdwa s[6:7], v5, s4 src0_sel:BYTE_0 src1_sel:DWORD
	s_mov_b64 s[4:5], 0
                                        ; implicit-def: $sgpr10
	s_and_saveexec_b64 s[8:9], s[6:7]
	s_xor_b64 s[6:7], exec, s[8:9]
	s_cbranch_execnz .LBB49_3301
; %bb.1253:
	s_or_saveexec_b64 s[6:7], s[6:7]
	v_mov_b32_e32 v3, s10
	s_xor_b64 exec, exec, s[6:7]
	s_cbranch_execnz .LBB49_3304
.LBB49_1254:
	s_or_b64 exec, exec, s[6:7]
	s_and_saveexec_b64 s[6:7], s[4:5]
	s_cbranch_execz .LBB49_1256
.LBB49_1255:
	v_mov_b32_e32 v3, 8
	v_and_b32_e32 v4, 7, v5
	v_lshrrev_b32_sdwa v3, v3, v5 dst_sel:BYTE_1 dst_unused:UNUSED_PAD src0_sel:DWORD src1_sel:DWORD
	v_ffbh_u32_e32 v6, v4
	v_or_b32_sdwa v3, v5, v3 dst_sel:DWORD dst_unused:UNUSED_PAD src0_sel:BYTE_0 src1_sel:DWORD
	v_min_u32_e32 v6, 32, v6
	v_lshrrev_b16_e32 v3, 3, v3
	v_subrev_u32_e32 v7, 28, v6
	v_and_b32_e32 v3, 15, v3
	v_lshlrev_b32_e32 v7, v7, v5
	v_sub_u32_e32 v6, 29, v6
	v_and_b32_e32 v7, 7, v7
	v_cmp_eq_u16_e32 vcc, 0, v3
	v_cndmask_b32_e32 v4, v4, v7, vcc
	v_cndmask_b32_e32 v3, v3, v6, vcc
	v_lshlrev_b32_e32 v6, 24, v5
	v_mov_b32_e32 v7, 0x3b800000
	v_lshlrev_b32_e32 v4, 20, v4
	v_and_b32_e32 v6, 0x80000000, v6
	v_lshl_add_u32 v3, v3, 23, v7
	v_or3_b32 v3, v6, v3, v4
.LBB49_1256:
	s_or_b64 exec, exec, s[6:7]
	s_nop 0
	v_mfma_f32_16x16x4f32 a[0:3], v2, v3, a[0:3]
	v_lshrrev_b32_e32 v3, 8, v9
	s_movk_i32 s4, 0x7f
	v_cmp_gt_i16_sdwa s[6:7], v3, s4 src0_sel:BYTE_0 src1_sel:DWORD
	s_mov_b64 s[4:5], 0
                                        ; implicit-def: $sgpr10
	s_and_saveexec_b64 s[8:9], s[6:7]
	s_xor_b64 s[6:7], exec, s[8:9]
	s_cbranch_execnz .LBB49_3305
; %bb.1257:
	s_or_saveexec_b64 s[6:7], s[6:7]
	v_mov_b32_e32 v2, s10
	s_xor_b64 exec, exec, s[6:7]
	s_cbranch_execnz .LBB49_3308
.LBB49_1258:
	s_or_b64 exec, exec, s[6:7]
	s_and_saveexec_b64 s[6:7], s[4:5]
	s_cbranch_execz .LBB49_1260
.LBB49_1259:
	v_bfe_u32 v2, v9, 8, 3
	v_ffbh_u32_e32 v6, v2
	v_min_u32_e32 v6, 32, v6
	v_lshrrev_b16_e32 v4, 3, v3
	v_subrev_u32_e32 v7, 28, v6
	v_and_b32_e32 v4, 15, v4
	v_lshlrev_b32_e32 v3, v7, v3
	v_sub_u32_e32 v6, 29, v6
	v_and_b32_e32 v3, 7, v3
	v_cmp_eq_u16_e32 vcc, 0, v4
	v_cndmask_b32_e32 v2, v2, v3, vcc
	v_cndmask_b32_e32 v3, v4, v6, vcc
	v_lshlrev_b32_e32 v4, 16, v9
	v_mov_b32_e32 v6, 0x3b800000
	v_lshlrev_b32_e32 v2, 20, v2
	v_and_b32_e32 v4, 0x80000000, v4
	v_lshl_add_u32 v3, v3, 23, v6
	v_or3_b32 v2, v4, v3, v2
.LBB49_1260:
	s_or_b64 exec, exec, s[6:7]
	v_lshrrev_b32_e32 v3, 8, v5
	s_movk_i32 s4, 0x7f
	v_cmp_gt_i16_sdwa s[6:7], v3, s4 src0_sel:BYTE_0 src1_sel:DWORD
	s_mov_b64 s[4:5], 0
                                        ; implicit-def: $sgpr10
	s_and_saveexec_b64 s[8:9], s[6:7]
	s_xor_b64 s[6:7], exec, s[8:9]
	s_cbranch_execnz .LBB49_3309
; %bb.1261:
	s_or_saveexec_b64 s[6:7], s[6:7]
	v_mov_b32_e32 v4, s10
	s_xor_b64 exec, exec, s[6:7]
	s_cbranch_execnz .LBB49_3312
.LBB49_1262:
	s_or_b64 exec, exec, s[6:7]
	s_and_saveexec_b64 s[6:7], s[4:5]
	s_cbranch_execz .LBB49_1264
.LBB49_1263:
	v_bfe_u32 v4, v5, 8, 3
	v_ffbh_u32_e32 v7, v4
	v_min_u32_e32 v7, 32, v7
	v_lshrrev_b16_e32 v6, 3, v3
	v_subrev_u32_e32 v8, 28, v7
	v_and_b32_e32 v6, 15, v6
	v_lshlrev_b32_e32 v3, v8, v3
	v_sub_u32_e32 v7, 29, v7
	v_and_b32_e32 v3, 7, v3
	v_cmp_eq_u16_e32 vcc, 0, v6
	v_cndmask_b32_e32 v3, v4, v3, vcc
	v_cndmask_b32_e32 v4, v6, v7, vcc
	v_lshlrev_b32_e32 v6, 16, v5
	v_mov_b32_e32 v7, 0x3b800000
	v_lshlrev_b32_e32 v3, 20, v3
	v_and_b32_e32 v6, 0x80000000, v6
	v_lshl_add_u32 v4, v4, 23, v7
	v_or3_b32 v4, v6, v4, v3
.LBB49_1264:
	s_or_b64 exec, exec, s[6:7]
	s_nop 0
	v_mfma_f32_16x16x4f32 a[0:3], v2, v4, a[0:3]
	s_movk_i32 s4, 0xff
	v_and_b32_sdwa v3, v9, s4 dst_sel:DWORD dst_unused:UNUSED_PAD src0_sel:WORD_1 src1_sel:DWORD
	s_movk_i32 s4, 0x7f
	v_cmp_lt_i16_e32 vcc, s4, v3
	s_mov_b64 s[4:5], 0
                                        ; implicit-def: $sgpr10
	s_and_saveexec_b64 s[6:7], vcc
	s_xor_b64 s[6:7], exec, s[6:7]
	s_cbranch_execnz .LBB49_3313
; %bb.1265:
	s_or_saveexec_b64 s[6:7], s[6:7]
	v_mov_b32_e32 v2, s10
	s_xor_b64 exec, exec, s[6:7]
	s_cbranch_execnz .LBB49_3316
.LBB49_1266:
	s_or_b64 exec, exec, s[6:7]
	s_and_saveexec_b64 s[6:7], s[4:5]
	s_cbranch_execz .LBB49_1268
.LBB49_1267:
	v_bfe_u32 v2, v9, 16, 3
	v_ffbh_u32_e32 v6, v2
	v_min_u32_e32 v6, 32, v6
	v_lshrrev_b32_e32 v3, 19, v9
	v_subrev_u32_e32 v7, 28, v6
	v_and_b32_e32 v3, 15, v3
	v_lshlrev_b32_sdwa v7, v7, v9 dst_sel:DWORD dst_unused:UNUSED_PAD src0_sel:DWORD src1_sel:WORD_1
	v_bfe_u32 v4, v9, 19, 4
	v_sub_u32_e32 v6, 29, v6
	v_and_b32_e32 v7, 7, v7
	v_cmp_eq_u16_e32 vcc, 0, v3
	v_cndmask_b32_e32 v2, v2, v7, vcc
	v_cndmask_b32_e32 v3, v4, v6, vcc
	v_lshlrev_b32_e32 v4, 8, v9
	v_mov_b32_e32 v6, 0x3b800000
	v_lshlrev_b32_e32 v2, 20, v2
	v_and_b32_e32 v4, 0x80000000, v4
	v_lshl_add_u32 v3, v3, 23, v6
	v_or3_b32 v2, v4, v3, v2
.LBB49_1268:
	s_or_b64 exec, exec, s[6:7]
	s_movk_i32 s4, 0xff
	v_and_b32_sdwa v3, v5, s4 dst_sel:DWORD dst_unused:UNUSED_PAD src0_sel:WORD_1 src1_sel:DWORD
	s_movk_i32 s4, 0x7f
	v_cmp_lt_i16_e32 vcc, s4, v3
	s_mov_b64 s[4:5], 0
                                        ; implicit-def: $sgpr10
	s_and_saveexec_b64 s[6:7], vcc
	s_xor_b64 s[6:7], exec, s[6:7]
	s_cbranch_execnz .LBB49_3317
; %bb.1269:
	s_or_saveexec_b64 s[6:7], s[6:7]
	v_mov_b32_e32 v4, s10
	s_xor_b64 exec, exec, s[6:7]
	s_cbranch_execnz .LBB49_3320
.LBB49_1270:
	s_or_b64 exec, exec, s[6:7]
	s_and_saveexec_b64 s[6:7], s[4:5]
	s_cbranch_execz .LBB49_1272
.LBB49_1271:
	v_bfe_u32 v3, v5, 16, 3
	v_ffbh_u32_e32 v7, v3
	v_min_u32_e32 v7, 32, v7
	v_lshrrev_b32_e32 v4, 19, v5
	v_subrev_u32_e32 v8, 28, v7
	v_and_b32_e32 v4, 15, v4
	v_lshlrev_b32_sdwa v8, v8, v5 dst_sel:DWORD dst_unused:UNUSED_PAD src0_sel:DWORD src1_sel:WORD_1
	v_bfe_u32 v6, v5, 19, 4
	v_sub_u32_e32 v7, 29, v7
	v_and_b32_e32 v8, 7, v8
	v_cmp_eq_u16_e32 vcc, 0, v4
	v_cndmask_b32_e32 v3, v3, v8, vcc
	v_cndmask_b32_e32 v4, v6, v7, vcc
	v_lshlrev_b32_e32 v6, 8, v5
	v_mov_b32_e32 v7, 0x3b800000
	v_lshlrev_b32_e32 v3, 20, v3
	v_and_b32_e32 v6, 0x80000000, v6
	v_lshl_add_u32 v4, v4, 23, v7
	v_or3_b32 v4, v6, v4, v3
.LBB49_1272:
	s_or_b64 exec, exec, s[6:7]
	s_nop 0
	v_mfma_f32_16x16x4f32 a[0:3], v2, v4, a[0:3]
	s_movk_i32 s4, 0x7f
	v_cmp_gt_i16_sdwa s[6:7], v9, s4 src0_sel:BYTE_3 src1_sel:DWORD
	s_mov_b64 s[4:5], 0
                                        ; implicit-def: $sgpr10
	s_and_saveexec_b64 s[8:9], s[6:7]
	s_xor_b64 s[6:7], exec, s[8:9]
	s_cbranch_execnz .LBB49_3321
; %bb.1273:
	s_or_saveexec_b64 s[6:7], s[6:7]
	v_mov_b32_e32 v2, s10
	s_xor_b64 exec, exec, s[6:7]
	s_cbranch_execnz .LBB49_3324
.LBB49_1274:
	s_or_b64 exec, exec, s[6:7]
	s_and_saveexec_b64 s[6:7], s[4:5]
	s_cbranch_execz .LBB49_1276
.LBB49_1275:
	v_bfe_u32 v2, v9, 24, 3
	v_ffbh_u32_e32 v7, v2
	v_min_u32_e32 v7, 32, v7
	v_lshrrev_b32_e32 v4, 27, v9
	v_subrev_u32_e32 v8, 28, v7
	v_and_b32_e32 v4, 15, v4
	v_lshlrev_b32_sdwa v8, v8, v9 dst_sel:DWORD dst_unused:UNUSED_PAD src0_sel:DWORD src1_sel:BYTE_3
	v_bfe_u32 v6, v9, 27, 4
	v_sub_u32_e32 v7, 29, v7
	v_and_b32_e32 v8, 7, v8
	v_cmp_eq_u16_e32 vcc, 0, v4
	v_cndmask_b32_e32 v2, v2, v8, vcc
	v_cndmask_b32_e32 v4, v6, v7, vcc
	v_mov_b32_e32 v6, 0x3b800000
	v_and_b32_e32 v3, 0x80000000, v9
	v_lshlrev_b32_e32 v2, 20, v2
	v_lshl_add_u32 v4, v4, 23, v6
	v_or3_b32 v2, v3, v4, v2
.LBB49_1276:
	s_or_b64 exec, exec, s[6:7]
	s_movk_i32 s4, 0x7f
	v_cmp_gt_i16_sdwa s[6:7], v5, s4 src0_sel:BYTE_3 src1_sel:DWORD
	s_mov_b64 s[4:5], 0
                                        ; implicit-def: $sgpr10
	s_and_saveexec_b64 s[8:9], s[6:7]
	s_xor_b64 s[6:7], exec, s[8:9]
	s_cbranch_execnz .LBB49_3325
; %bb.1277:
	s_or_saveexec_b64 s[6:7], s[6:7]
	v_mov_b32_e32 v3, s10
	s_xor_b64 exec, exec, s[6:7]
	s_cbranch_execnz .LBB49_3328
.LBB49_1278:
	s_or_b64 exec, exec, s[6:7]
	s_and_saveexec_b64 s[6:7], s[4:5]
	s_cbranch_execz .LBB49_1280
.LBB49_1279:
	v_bfe_u32 v3, v5, 24, 3
	v_ffbh_u32_e32 v8, v3
	v_min_u32_e32 v8, 32, v8
	v_lshrrev_b32_e32 v6, 27, v5
	v_subrev_u32_e32 v9, 28, v8
	v_and_b32_e32 v4, 0x80000000, v5
	v_and_b32_e32 v6, 15, v6
	v_bfe_u32 v7, v5, 27, 4
	v_lshlrev_b32_sdwa v5, v9, v5 dst_sel:DWORD dst_unused:UNUSED_PAD src0_sel:DWORD src1_sel:BYTE_3
	v_sub_u32_e32 v8, 29, v8
	v_and_b32_e32 v5, 7, v5
	v_cmp_eq_u16_e32 vcc, 0, v6
	v_cndmask_b32_e32 v3, v3, v5, vcc
	v_cndmask_b32_e32 v5, v7, v8, vcc
	v_mov_b32_e32 v6, 0x3b800000
	v_lshlrev_b32_e32 v3, 20, v3
	v_lshl_add_u32 v5, v5, 23, v6
	v_or3_b32 v3, v4, v5, v3
.LBB49_1280:
	s_or_b64 exec, exec, s[6:7]
	s_nop 0
	v_mfma_f32_16x16x4f32 a[0:3], v2, v3, a[0:3]
	s_movk_i32 s4, 0x7f
                                        ; implicit-def: $sgpr10
	s_nop 7
	s_nop 1
	flat_store_dwordx4 v[18:19], a[0:3] offset:704
	flat_load_dwordx4 v[20:23], v[0:1] offset:8
	s_nop 0
	flat_load_dwordx2 v[18:19], v[0:1] offset:24
	s_waitcnt vmcnt(0) lgkmcnt(0)
	flat_load_dwordx4 v[14:17], v[20:21] offset:32
	flat_load_dwordx4 v[6:9], v[20:21] offset:48
	;; [unrolled: 1-line block ×4, first 2 shown]
	s_waitcnt vmcnt(0) lgkmcnt(0)
	v_cmp_gt_i16_sdwa s[6:7], v14, s4 src0_sel:BYTE_0 src1_sel:DWORD
	s_mov_b64 s[4:5], 0
	s_and_saveexec_b64 s[8:9], s[6:7]
	s_xor_b64 s[6:7], exec, s[8:9]
	s_cbranch_execnz .LBB49_3329
; %bb.1281:
	s_or_saveexec_b64 s[6:7], s[6:7]
	v_mov_b32_e32 v20, s10
	s_xor_b64 exec, exec, s[6:7]
	s_cbranch_execnz .LBB49_3332
.LBB49_1282:
	s_or_b64 exec, exec, s[6:7]
	s_and_saveexec_b64 s[6:7], s[4:5]
	s_cbranch_execz .LBB49_1284
.LBB49_1283:
	v_and_b32_e32 v20, 7, v14
	v_ffbh_u32_e32 v22, v20
	v_min_u32_e32 v22, 32, v22
	v_lshrrev_b16_e32 v21, 3, v14
	v_subrev_u32_e32 v23, 28, v22
	v_and_b32_e32 v21, 15, v21
	v_lshlrev_b32_e32 v23, v23, v14
	v_sub_u32_e32 v22, 29, v22
	v_and_b32_e32 v23, 7, v23
	v_cmp_eq_u16_e32 vcc, 0, v21
	v_cndmask_b32_e32 v20, v20, v23, vcc
	v_cndmask_b32_e32 v21, v21, v22, vcc
	v_lshlrev_b32_e32 v22, 24, v14
	v_mov_b32_e32 v23, 0x3b800000
	v_lshlrev_b32_e32 v20, 20, v20
	v_and_b32_e32 v22, 0x80000000, v22
	v_lshl_add_u32 v21, v21, 23, v23
	v_or3_b32 v20, v22, v21, v20
.LBB49_1284:
	s_or_b64 exec, exec, s[6:7]
	s_movk_i32 s4, 0x7f
	v_cmp_gt_i16_sdwa s[6:7], v10, s4 src0_sel:BYTE_0 src1_sel:DWORD
	s_mov_b64 s[4:5], 0
                                        ; implicit-def: $sgpr10
	s_and_saveexec_b64 s[8:9], s[6:7]
	s_xor_b64 s[6:7], exec, s[8:9]
	s_cbranch_execnz .LBB49_3333
; %bb.1285:
	s_or_saveexec_b64 s[6:7], s[6:7]
	v_mov_b32_e32 v21, s10
	s_xor_b64 exec, exec, s[6:7]
	s_cbranch_execnz .LBB49_3336
.LBB49_1286:
	s_or_b64 exec, exec, s[6:7]
	s_and_saveexec_b64 s[6:7], s[4:5]
	s_cbranch_execz .LBB49_1288
.LBB49_1287:
	v_and_b32_e32 v21, 7, v10
	v_ffbh_u32_e32 v23, v21
	v_min_u32_e32 v23, 32, v23
	v_lshrrev_b16_e32 v22, 3, v10
	v_subrev_u32_e32 v24, 28, v23
	v_and_b32_e32 v22, 15, v22
	v_lshlrev_b32_e32 v24, v24, v10
	v_sub_u32_e32 v23, 29, v23
	v_and_b32_e32 v24, 7, v24
	v_cmp_eq_u16_e32 vcc, 0, v22
	v_cndmask_b32_e32 v21, v21, v24, vcc
	v_cndmask_b32_e32 v22, v22, v23, vcc
	v_lshlrev_b32_e32 v23, 24, v10
	v_mov_b32_e32 v24, 0x3b800000
	v_lshlrev_b32_e32 v21, 20, v21
	v_and_b32_e32 v23, 0x80000000, v23
	v_lshl_add_u32 v22, v22, 23, v24
	v_or3_b32 v21, v23, v22, v21
.LBB49_1288:
	s_or_b64 exec, exec, s[6:7]
	flat_load_dwordx4 a[0:3], v[18:19] offset:720
	s_movk_i32 s4, 0x7f
                                        ; implicit-def: $sgpr10
	s_waitcnt vmcnt(0) lgkmcnt(0)
	v_mfma_f32_16x16x4f32 a[0:3], v20, v21, a[0:3]
	v_lshrrev_b32_e32 v21, 8, v14
	v_cmp_gt_i16_sdwa s[6:7], v21, s4 src0_sel:BYTE_0 src1_sel:DWORD
	s_mov_b64 s[4:5], 0
	s_and_saveexec_b64 s[8:9], s[6:7]
	s_xor_b64 s[6:7], exec, s[8:9]
	s_cbranch_execnz .LBB49_3337
; %bb.1289:
	s_or_saveexec_b64 s[6:7], s[6:7]
	v_mov_b32_e32 v20, s10
	s_xor_b64 exec, exec, s[6:7]
	s_cbranch_execnz .LBB49_3340
.LBB49_1290:
	s_or_b64 exec, exec, s[6:7]
	s_and_saveexec_b64 s[6:7], s[4:5]
	s_cbranch_execz .LBB49_1292
.LBB49_1291:
	v_bfe_u32 v20, v14, 8, 3
	v_ffbh_u32_e32 v23, v20
	v_min_u32_e32 v23, 32, v23
	v_lshrrev_b16_e32 v22, 3, v21
	v_subrev_u32_e32 v24, 28, v23
	v_and_b32_e32 v22, 15, v22
	v_lshlrev_b32_e32 v21, v24, v21
	v_sub_u32_e32 v23, 29, v23
	v_and_b32_e32 v21, 7, v21
	v_cmp_eq_u16_e32 vcc, 0, v22
	v_cndmask_b32_e32 v20, v20, v21, vcc
	v_cndmask_b32_e32 v21, v22, v23, vcc
	v_lshlrev_b32_e32 v22, 16, v14
	v_mov_b32_e32 v23, 0x3b800000
	v_lshlrev_b32_e32 v20, 20, v20
	v_and_b32_e32 v22, 0x80000000, v22
	v_lshl_add_u32 v21, v21, 23, v23
	v_or3_b32 v20, v22, v21, v20
.LBB49_1292:
	s_or_b64 exec, exec, s[6:7]
	v_lshrrev_b32_e32 v21, 8, v10
	s_movk_i32 s4, 0x7f
	v_cmp_gt_i16_sdwa s[6:7], v21, s4 src0_sel:BYTE_0 src1_sel:DWORD
	s_mov_b64 s[4:5], 0
                                        ; implicit-def: $sgpr10
	s_and_saveexec_b64 s[8:9], s[6:7]
	s_xor_b64 s[6:7], exec, s[8:9]
	s_cbranch_execnz .LBB49_3341
; %bb.1293:
	s_or_saveexec_b64 s[6:7], s[6:7]
	v_mov_b32_e32 v22, s10
	s_xor_b64 exec, exec, s[6:7]
	s_cbranch_execnz .LBB49_3344
.LBB49_1294:
	s_or_b64 exec, exec, s[6:7]
	s_and_saveexec_b64 s[6:7], s[4:5]
	s_cbranch_execz .LBB49_1296
.LBB49_1295:
	v_bfe_u32 v22, v10, 8, 3
	v_ffbh_u32_e32 v24, v22
	v_min_u32_e32 v24, 32, v24
	v_lshrrev_b16_e32 v23, 3, v21
	v_subrev_u32_e32 v25, 28, v24
	v_and_b32_e32 v23, 15, v23
	v_lshlrev_b32_e32 v21, v25, v21
	v_sub_u32_e32 v24, 29, v24
	v_and_b32_e32 v21, 7, v21
	v_cmp_eq_u16_e32 vcc, 0, v23
	v_cndmask_b32_e32 v21, v22, v21, vcc
	v_cndmask_b32_e32 v22, v23, v24, vcc
	v_lshlrev_b32_e32 v23, 16, v10
	v_mov_b32_e32 v24, 0x3b800000
	v_lshlrev_b32_e32 v21, 20, v21
	v_and_b32_e32 v23, 0x80000000, v23
	v_lshl_add_u32 v22, v22, 23, v24
	v_or3_b32 v22, v23, v22, v21
.LBB49_1296:
	s_or_b64 exec, exec, s[6:7]
	s_nop 0
	v_mfma_f32_16x16x4f32 a[0:3], v20, v22, a[0:3]
	s_movk_i32 s4, 0xff
	v_and_b32_sdwa v21, v14, s4 dst_sel:DWORD dst_unused:UNUSED_PAD src0_sel:WORD_1 src1_sel:DWORD
	s_movk_i32 s4, 0x7f
	v_cmp_lt_i16_e32 vcc, s4, v21
	s_mov_b64 s[4:5], 0
                                        ; implicit-def: $sgpr10
	s_and_saveexec_b64 s[6:7], vcc
	s_xor_b64 s[6:7], exec, s[6:7]
	s_cbranch_execnz .LBB49_3345
; %bb.1297:
	s_or_saveexec_b64 s[6:7], s[6:7]
	v_mov_b32_e32 v20, s10
	s_xor_b64 exec, exec, s[6:7]
	s_cbranch_execnz .LBB49_3348
.LBB49_1298:
	s_or_b64 exec, exec, s[6:7]
	s_and_saveexec_b64 s[6:7], s[4:5]
	s_cbranch_execz .LBB49_1300
.LBB49_1299:
	v_bfe_u32 v20, v14, 16, 3
	v_ffbh_u32_e32 v23, v20
	v_min_u32_e32 v23, 32, v23
	v_lshrrev_b32_e32 v21, 19, v14
	v_subrev_u32_e32 v24, 28, v23
	v_and_b32_e32 v21, 15, v21
	v_lshlrev_b32_sdwa v24, v24, v14 dst_sel:DWORD dst_unused:UNUSED_PAD src0_sel:DWORD src1_sel:WORD_1
	v_bfe_u32 v22, v14, 19, 4
	v_sub_u32_e32 v23, 29, v23
	v_and_b32_e32 v24, 7, v24
	v_cmp_eq_u16_e32 vcc, 0, v21
	v_cndmask_b32_e32 v20, v20, v24, vcc
	v_cndmask_b32_e32 v21, v22, v23, vcc
	v_lshlrev_b32_e32 v22, 8, v14
	v_mov_b32_e32 v23, 0x3b800000
	v_lshlrev_b32_e32 v20, 20, v20
	v_and_b32_e32 v22, 0x80000000, v22
	v_lshl_add_u32 v21, v21, 23, v23
	v_or3_b32 v20, v22, v21, v20
.LBB49_1300:
	s_or_b64 exec, exec, s[6:7]
	s_movk_i32 s4, 0xff
	v_and_b32_sdwa v21, v10, s4 dst_sel:DWORD dst_unused:UNUSED_PAD src0_sel:WORD_1 src1_sel:DWORD
	s_movk_i32 s4, 0x7f
	v_cmp_lt_i16_e32 vcc, s4, v21
	s_mov_b64 s[4:5], 0
                                        ; implicit-def: $sgpr10
	s_and_saveexec_b64 s[6:7], vcc
	s_xor_b64 s[6:7], exec, s[6:7]
	s_cbranch_execnz .LBB49_3349
; %bb.1301:
	s_or_saveexec_b64 s[6:7], s[6:7]
	v_mov_b32_e32 v22, s10
	s_xor_b64 exec, exec, s[6:7]
	s_cbranch_execnz .LBB49_3352
.LBB49_1302:
	s_or_b64 exec, exec, s[6:7]
	s_and_saveexec_b64 s[6:7], s[4:5]
	s_cbranch_execz .LBB49_1304
.LBB49_1303:
	v_bfe_u32 v21, v10, 16, 3
	v_ffbh_u32_e32 v24, v21
	v_min_u32_e32 v24, 32, v24
	v_lshrrev_b32_e32 v22, 19, v10
	v_subrev_u32_e32 v25, 28, v24
	v_and_b32_e32 v22, 15, v22
	v_lshlrev_b32_sdwa v25, v25, v10 dst_sel:DWORD dst_unused:UNUSED_PAD src0_sel:DWORD src1_sel:WORD_1
	v_bfe_u32 v23, v10, 19, 4
	v_sub_u32_e32 v24, 29, v24
	v_and_b32_e32 v25, 7, v25
	v_cmp_eq_u16_e32 vcc, 0, v22
	v_cndmask_b32_e32 v21, v21, v25, vcc
	v_cndmask_b32_e32 v22, v23, v24, vcc
	v_lshlrev_b32_e32 v23, 8, v10
	v_mov_b32_e32 v24, 0x3b800000
	v_lshlrev_b32_e32 v21, 20, v21
	v_and_b32_e32 v23, 0x80000000, v23
	v_lshl_add_u32 v22, v22, 23, v24
	v_or3_b32 v22, v23, v22, v21
.LBB49_1304:
	s_or_b64 exec, exec, s[6:7]
	s_nop 0
	v_mfma_f32_16x16x4f32 a[0:3], v20, v22, a[0:3]
	s_movk_i32 s4, 0x7f
	v_cmp_gt_i16_sdwa s[6:7], v14, s4 src0_sel:BYTE_3 src1_sel:DWORD
	s_mov_b64 s[4:5], 0
                                        ; implicit-def: $sgpr10
	s_and_saveexec_b64 s[8:9], s[6:7]
	s_xor_b64 s[6:7], exec, s[8:9]
	s_cbranch_execnz .LBB49_3353
; %bb.1305:
	s_or_saveexec_b64 s[6:7], s[6:7]
	v_mov_b32_e32 v20, s10
	s_xor_b64 exec, exec, s[6:7]
	s_cbranch_execnz .LBB49_3356
.LBB49_1306:
	s_or_b64 exec, exec, s[6:7]
	s_and_saveexec_b64 s[6:7], s[4:5]
	s_cbranch_execz .LBB49_1308
.LBB49_1307:
	v_bfe_u32 v20, v14, 24, 3
	v_ffbh_u32_e32 v24, v20
	v_min_u32_e32 v24, 32, v24
	v_lshrrev_b32_e32 v22, 27, v14
	v_subrev_u32_e32 v25, 28, v24
	v_and_b32_e32 v21, 0x80000000, v14
	v_and_b32_e32 v22, 15, v22
	v_bfe_u32 v23, v14, 27, 4
	v_lshlrev_b32_sdwa v14, v25, v14 dst_sel:DWORD dst_unused:UNUSED_PAD src0_sel:DWORD src1_sel:BYTE_3
	v_sub_u32_e32 v24, 29, v24
	v_and_b32_e32 v14, 7, v14
	v_cmp_eq_u16_e32 vcc, 0, v22
	v_cndmask_b32_e32 v14, v20, v14, vcc
	v_cndmask_b32_e32 v20, v23, v24, vcc
	v_mov_b32_e32 v22, 0x3b800000
	v_lshlrev_b32_e32 v14, 20, v14
	v_lshl_add_u32 v20, v20, 23, v22
	v_or3_b32 v20, v21, v20, v14
.LBB49_1308:
	s_or_b64 exec, exec, s[6:7]
	s_movk_i32 s4, 0x7f
	v_cmp_gt_i16_sdwa s[6:7], v10, s4 src0_sel:BYTE_3 src1_sel:DWORD
	s_mov_b64 s[4:5], 0
                                        ; implicit-def: $sgpr10
	s_and_saveexec_b64 s[8:9], s[6:7]
	s_xor_b64 s[6:7], exec, s[8:9]
	s_cbranch_execnz .LBB49_3357
; %bb.1309:
	s_or_saveexec_b64 s[6:7], s[6:7]
	v_mov_b32_e32 v14, s10
	s_xor_b64 exec, exec, s[6:7]
	s_cbranch_execnz .LBB49_3360
.LBB49_1310:
	s_or_b64 exec, exec, s[6:7]
	s_and_saveexec_b64 s[6:7], s[4:5]
	s_cbranch_execz .LBB49_1312
.LBB49_1311:
	v_bfe_u32 v14, v10, 24, 3
	v_ffbh_u32_e32 v24, v14
	v_min_u32_e32 v24, 32, v24
	v_lshrrev_b32_e32 v22, 27, v10
	v_subrev_u32_e32 v25, 28, v24
	v_and_b32_e32 v21, 0x80000000, v10
	v_and_b32_e32 v22, 15, v22
	v_bfe_u32 v23, v10, 27, 4
	v_lshlrev_b32_sdwa v10, v25, v10 dst_sel:DWORD dst_unused:UNUSED_PAD src0_sel:DWORD src1_sel:BYTE_3
	v_sub_u32_e32 v24, 29, v24
	v_and_b32_e32 v10, 7, v10
	v_cmp_eq_u16_e32 vcc, 0, v22
	v_cndmask_b32_e32 v10, v14, v10, vcc
	v_cndmask_b32_e32 v14, v23, v24, vcc
	v_mov_b32_e32 v22, 0x3b800000
	v_lshlrev_b32_e32 v10, 20, v10
	v_lshl_add_u32 v14, v14, 23, v22
	v_or3_b32 v14, v21, v14, v10
.LBB49_1312:
	s_or_b64 exec, exec, s[6:7]
	s_nop 0
	v_mfma_f32_16x16x4f32 a[0:3], v20, v14, a[0:3]
	s_movk_i32 s4, 0x7f
	v_cmp_gt_i16_sdwa s[6:7], v15, s4 src0_sel:BYTE_0 src1_sel:DWORD
	s_mov_b64 s[4:5], 0
                                        ; implicit-def: $sgpr10
	s_and_saveexec_b64 s[8:9], s[6:7]
	s_xor_b64 s[6:7], exec, s[8:9]
	s_cbranch_execnz .LBB49_3361
; %bb.1313:
	s_or_saveexec_b64 s[6:7], s[6:7]
	v_mov_b32_e32 v10, s10
	s_xor_b64 exec, exec, s[6:7]
	s_cbranch_execnz .LBB49_3364
.LBB49_1314:
	s_or_b64 exec, exec, s[6:7]
	s_and_saveexec_b64 s[6:7], s[4:5]
	s_cbranch_execz .LBB49_1316
.LBB49_1315:
	v_and_b32_e32 v10, 7, v15
	v_ffbh_u32_e32 v20, v10
	v_min_u32_e32 v20, 32, v20
	v_lshrrev_b16_e32 v14, 3, v15
	v_subrev_u32_e32 v21, 28, v20
	v_and_b32_e32 v14, 15, v14
	v_lshlrev_b32_e32 v21, v21, v15
	v_sub_u32_e32 v20, 29, v20
	v_and_b32_e32 v21, 7, v21
	v_cmp_eq_u16_e32 vcc, 0, v14
	v_cndmask_b32_e32 v10, v10, v21, vcc
	v_cndmask_b32_e32 v14, v14, v20, vcc
	v_lshlrev_b32_e32 v20, 24, v15
	v_mov_b32_e32 v21, 0x3b800000
	v_lshlrev_b32_e32 v10, 20, v10
	v_and_b32_e32 v20, 0x80000000, v20
	v_lshl_add_u32 v14, v14, 23, v21
	v_or3_b32 v10, v20, v14, v10
.LBB49_1316:
	s_or_b64 exec, exec, s[6:7]
	s_movk_i32 s4, 0x7f
	v_cmp_gt_i16_sdwa s[6:7], v11, s4 src0_sel:BYTE_0 src1_sel:DWORD
	s_mov_b64 s[4:5], 0
                                        ; implicit-def: $sgpr10
	s_and_saveexec_b64 s[8:9], s[6:7]
	s_xor_b64 s[6:7], exec, s[8:9]
	s_cbranch_execnz .LBB49_3365
; %bb.1317:
	s_or_saveexec_b64 s[6:7], s[6:7]
	v_mov_b32_e32 v14, s10
	s_xor_b64 exec, exec, s[6:7]
	s_cbranch_execnz .LBB49_3368
.LBB49_1318:
	s_or_b64 exec, exec, s[6:7]
	s_and_saveexec_b64 s[6:7], s[4:5]
	s_cbranch_execz .LBB49_1320
.LBB49_1319:
	v_and_b32_e32 v14, 7, v11
	v_ffbh_u32_e32 v21, v14
	v_min_u32_e32 v21, 32, v21
	v_lshrrev_b16_e32 v20, 3, v11
	v_subrev_u32_e32 v22, 28, v21
	v_and_b32_e32 v20, 15, v20
	v_lshlrev_b32_e32 v22, v22, v11
	v_sub_u32_e32 v21, 29, v21
	v_and_b32_e32 v22, 7, v22
	v_cmp_eq_u16_e32 vcc, 0, v20
	v_cndmask_b32_e32 v14, v14, v22, vcc
	v_cndmask_b32_e32 v20, v20, v21, vcc
	v_lshlrev_b32_e32 v21, 24, v11
	v_mov_b32_e32 v22, 0x3b800000
	v_lshlrev_b32_e32 v14, 20, v14
	v_and_b32_e32 v21, 0x80000000, v21
	v_lshl_add_u32 v20, v20, 23, v22
	v_or3_b32 v14, v21, v20, v14
.LBB49_1320:
	s_or_b64 exec, exec, s[6:7]
	s_nop 0
	v_mfma_f32_16x16x4f32 a[0:3], v10, v14, a[0:3]
	v_lshrrev_b32_e32 v14, 8, v15
	s_movk_i32 s4, 0x7f
	v_cmp_gt_i16_sdwa s[6:7], v14, s4 src0_sel:BYTE_0 src1_sel:DWORD
	s_mov_b64 s[4:5], 0
                                        ; implicit-def: $sgpr10
	s_and_saveexec_b64 s[8:9], s[6:7]
	s_xor_b64 s[6:7], exec, s[8:9]
	s_cbranch_execnz .LBB49_3369
; %bb.1321:
	s_or_saveexec_b64 s[6:7], s[6:7]
	v_mov_b32_e32 v10, s10
	s_xor_b64 exec, exec, s[6:7]
	s_cbranch_execnz .LBB49_3372
.LBB49_1322:
	s_or_b64 exec, exec, s[6:7]
	s_and_saveexec_b64 s[6:7], s[4:5]
	s_cbranch_execz .LBB49_1324
.LBB49_1323:
	v_bfe_u32 v10, v15, 8, 3
	v_ffbh_u32_e32 v21, v10
	v_min_u32_e32 v21, 32, v21
	v_lshrrev_b16_e32 v20, 3, v14
	v_subrev_u32_e32 v22, 28, v21
	v_and_b32_e32 v20, 15, v20
	v_lshlrev_b32_e32 v14, v22, v14
	v_sub_u32_e32 v21, 29, v21
	v_and_b32_e32 v14, 7, v14
	v_cmp_eq_u16_e32 vcc, 0, v20
	v_cndmask_b32_e32 v10, v10, v14, vcc
	v_cndmask_b32_e32 v14, v20, v21, vcc
	v_lshlrev_b32_e32 v20, 16, v15
	v_mov_b32_e32 v21, 0x3b800000
	v_lshlrev_b32_e32 v10, 20, v10
	v_and_b32_e32 v20, 0x80000000, v20
	v_lshl_add_u32 v14, v14, 23, v21
	v_or3_b32 v10, v20, v14, v10
.LBB49_1324:
	s_or_b64 exec, exec, s[6:7]
	v_lshrrev_b32_e32 v14, 8, v11
	s_movk_i32 s4, 0x7f
	v_cmp_gt_i16_sdwa s[6:7], v14, s4 src0_sel:BYTE_0 src1_sel:DWORD
	s_mov_b64 s[4:5], 0
                                        ; implicit-def: $sgpr10
	s_and_saveexec_b64 s[8:9], s[6:7]
	s_xor_b64 s[6:7], exec, s[8:9]
	s_cbranch_execnz .LBB49_3373
; %bb.1325:
	s_or_saveexec_b64 s[6:7], s[6:7]
	v_mov_b32_e32 v20, s10
	s_xor_b64 exec, exec, s[6:7]
	s_cbranch_execnz .LBB49_3376
.LBB49_1326:
	s_or_b64 exec, exec, s[6:7]
	s_and_saveexec_b64 s[6:7], s[4:5]
	s_cbranch_execz .LBB49_1328
.LBB49_1327:
	v_bfe_u32 v20, v11, 8, 3
	v_ffbh_u32_e32 v22, v20
	v_min_u32_e32 v22, 32, v22
	v_lshrrev_b16_e32 v21, 3, v14
	v_subrev_u32_e32 v23, 28, v22
	v_and_b32_e32 v21, 15, v21
	v_lshlrev_b32_e32 v14, v23, v14
	v_sub_u32_e32 v22, 29, v22
	v_and_b32_e32 v14, 7, v14
	v_cmp_eq_u16_e32 vcc, 0, v21
	v_cndmask_b32_e32 v14, v20, v14, vcc
	v_cndmask_b32_e32 v20, v21, v22, vcc
	v_lshlrev_b32_e32 v21, 16, v11
	v_mov_b32_e32 v22, 0x3b800000
	v_lshlrev_b32_e32 v14, 20, v14
	v_and_b32_e32 v21, 0x80000000, v21
	v_lshl_add_u32 v20, v20, 23, v22
	v_or3_b32 v20, v21, v20, v14
.LBB49_1328:
	s_or_b64 exec, exec, s[6:7]
	s_nop 0
	v_mfma_f32_16x16x4f32 a[0:3], v10, v20, a[0:3]
	s_movk_i32 s4, 0xff
	v_and_b32_sdwa v14, v15, s4 dst_sel:DWORD dst_unused:UNUSED_PAD src0_sel:WORD_1 src1_sel:DWORD
	s_movk_i32 s4, 0x7f
	v_cmp_lt_i16_e32 vcc, s4, v14
	s_mov_b64 s[4:5], 0
                                        ; implicit-def: $sgpr10
	s_and_saveexec_b64 s[6:7], vcc
	s_xor_b64 s[6:7], exec, s[6:7]
	s_cbranch_execnz .LBB49_3377
; %bb.1329:
	s_or_saveexec_b64 s[6:7], s[6:7]
	v_mov_b32_e32 v10, s10
	s_xor_b64 exec, exec, s[6:7]
	s_cbranch_execnz .LBB49_3380
.LBB49_1330:
	s_or_b64 exec, exec, s[6:7]
	s_and_saveexec_b64 s[6:7], s[4:5]
	s_cbranch_execz .LBB49_1332
.LBB49_1331:
	v_bfe_u32 v10, v15, 16, 3
	v_ffbh_u32_e32 v21, v10
	v_min_u32_e32 v21, 32, v21
	v_lshrrev_b32_e32 v14, 19, v15
	v_subrev_u32_e32 v22, 28, v21
	v_and_b32_e32 v14, 15, v14
	v_lshlrev_b32_sdwa v22, v22, v15 dst_sel:DWORD dst_unused:UNUSED_PAD src0_sel:DWORD src1_sel:WORD_1
	v_bfe_u32 v20, v15, 19, 4
	v_sub_u32_e32 v21, 29, v21
	v_and_b32_e32 v22, 7, v22
	v_cmp_eq_u16_e32 vcc, 0, v14
	v_cndmask_b32_e32 v10, v10, v22, vcc
	v_cndmask_b32_e32 v14, v20, v21, vcc
	v_lshlrev_b32_e32 v20, 8, v15
	v_mov_b32_e32 v21, 0x3b800000
	v_lshlrev_b32_e32 v10, 20, v10
	v_and_b32_e32 v20, 0x80000000, v20
	v_lshl_add_u32 v14, v14, 23, v21
	v_or3_b32 v10, v20, v14, v10
.LBB49_1332:
	s_or_b64 exec, exec, s[6:7]
	s_movk_i32 s4, 0xff
	v_and_b32_sdwa v14, v11, s4 dst_sel:DWORD dst_unused:UNUSED_PAD src0_sel:WORD_1 src1_sel:DWORD
	s_movk_i32 s4, 0x7f
	v_cmp_lt_i16_e32 vcc, s4, v14
	s_mov_b64 s[4:5], 0
                                        ; implicit-def: $sgpr10
	s_and_saveexec_b64 s[6:7], vcc
	s_xor_b64 s[6:7], exec, s[6:7]
	s_cbranch_execnz .LBB49_3381
; %bb.1333:
	s_or_saveexec_b64 s[6:7], s[6:7]
	v_mov_b32_e32 v20, s10
	s_xor_b64 exec, exec, s[6:7]
	s_cbranch_execnz .LBB49_3384
.LBB49_1334:
	s_or_b64 exec, exec, s[6:7]
	s_and_saveexec_b64 s[6:7], s[4:5]
	s_cbranch_execz .LBB49_1336
.LBB49_1335:
	v_bfe_u32 v14, v11, 16, 3
	v_ffbh_u32_e32 v22, v14
	v_min_u32_e32 v22, 32, v22
	v_lshrrev_b32_e32 v20, 19, v11
	v_subrev_u32_e32 v23, 28, v22
	v_and_b32_e32 v20, 15, v20
	v_lshlrev_b32_sdwa v23, v23, v11 dst_sel:DWORD dst_unused:UNUSED_PAD src0_sel:DWORD src1_sel:WORD_1
	v_bfe_u32 v21, v11, 19, 4
	v_sub_u32_e32 v22, 29, v22
	v_and_b32_e32 v23, 7, v23
	v_cmp_eq_u16_e32 vcc, 0, v20
	v_cndmask_b32_e32 v14, v14, v23, vcc
	v_cndmask_b32_e32 v20, v21, v22, vcc
	v_lshlrev_b32_e32 v21, 8, v11
	v_mov_b32_e32 v22, 0x3b800000
	v_lshlrev_b32_e32 v14, 20, v14
	v_and_b32_e32 v21, 0x80000000, v21
	v_lshl_add_u32 v20, v20, 23, v22
	v_or3_b32 v20, v21, v20, v14
.LBB49_1336:
	s_or_b64 exec, exec, s[6:7]
	s_nop 0
	v_mfma_f32_16x16x4f32 a[0:3], v10, v20, a[0:3]
	s_movk_i32 s4, 0x7f
	v_cmp_gt_i16_sdwa s[6:7], v15, s4 src0_sel:BYTE_3 src1_sel:DWORD
	s_mov_b64 s[4:5], 0
                                        ; implicit-def: $sgpr10
	s_and_saveexec_b64 s[8:9], s[6:7]
	s_xor_b64 s[6:7], exec, s[8:9]
	s_cbranch_execnz .LBB49_3385
; %bb.1337:
	s_or_saveexec_b64 s[6:7], s[6:7]
	v_mov_b32_e32 v10, s10
	s_xor_b64 exec, exec, s[6:7]
	s_cbranch_execnz .LBB49_3388
.LBB49_1338:
	s_or_b64 exec, exec, s[6:7]
	s_and_saveexec_b64 s[6:7], s[4:5]
	s_cbranch_execz .LBB49_1340
.LBB49_1339:
	v_bfe_u32 v10, v15, 24, 3
	v_ffbh_u32_e32 v22, v10
	v_min_u32_e32 v22, 32, v22
	v_lshrrev_b32_e32 v20, 27, v15
	v_subrev_u32_e32 v23, 28, v22
	v_and_b32_e32 v14, 0x80000000, v15
	v_and_b32_e32 v20, 15, v20
	v_bfe_u32 v21, v15, 27, 4
	v_lshlrev_b32_sdwa v15, v23, v15 dst_sel:DWORD dst_unused:UNUSED_PAD src0_sel:DWORD src1_sel:BYTE_3
	v_sub_u32_e32 v22, 29, v22
	v_and_b32_e32 v15, 7, v15
	v_cmp_eq_u16_e32 vcc, 0, v20
	v_cndmask_b32_e32 v10, v10, v15, vcc
	v_cndmask_b32_e32 v15, v21, v22, vcc
	v_mov_b32_e32 v20, 0x3b800000
	v_lshlrev_b32_e32 v10, 20, v10
	v_lshl_add_u32 v15, v15, 23, v20
	v_or3_b32 v10, v14, v15, v10
.LBB49_1340:
	s_or_b64 exec, exec, s[6:7]
	s_movk_i32 s4, 0x7f
	v_cmp_gt_i16_sdwa s[6:7], v11, s4 src0_sel:BYTE_3 src1_sel:DWORD
	s_mov_b64 s[4:5], 0
                                        ; implicit-def: $sgpr10
	s_and_saveexec_b64 s[8:9], s[6:7]
	s_xor_b64 s[6:7], exec, s[8:9]
	s_cbranch_execnz .LBB49_3389
; %bb.1341:
	s_or_saveexec_b64 s[6:7], s[6:7]
	v_mov_b32_e32 v14, s10
	s_xor_b64 exec, exec, s[6:7]
	s_cbranch_execnz .LBB49_3392
.LBB49_1342:
	s_or_b64 exec, exec, s[6:7]
	s_and_saveexec_b64 s[6:7], s[4:5]
	s_cbranch_execz .LBB49_1344
.LBB49_1343:
	v_bfe_u32 v14, v11, 24, 3
	v_ffbh_u32_e32 v22, v14
	v_min_u32_e32 v22, 32, v22
	v_lshrrev_b32_e32 v20, 27, v11
	v_subrev_u32_e32 v23, 28, v22
	v_and_b32_e32 v15, 0x80000000, v11
	v_and_b32_e32 v20, 15, v20
	v_bfe_u32 v21, v11, 27, 4
	v_lshlrev_b32_sdwa v11, v23, v11 dst_sel:DWORD dst_unused:UNUSED_PAD src0_sel:DWORD src1_sel:BYTE_3
	v_sub_u32_e32 v22, 29, v22
	v_and_b32_e32 v11, 7, v11
	v_cmp_eq_u16_e32 vcc, 0, v20
	v_cndmask_b32_e32 v11, v14, v11, vcc
	v_cndmask_b32_e32 v14, v21, v22, vcc
	v_mov_b32_e32 v20, 0x3b800000
	v_lshlrev_b32_e32 v11, 20, v11
	v_lshl_add_u32 v14, v14, 23, v20
	v_or3_b32 v14, v15, v14, v11
.LBB49_1344:
	s_or_b64 exec, exec, s[6:7]
	s_nop 0
	v_mfma_f32_16x16x4f32 a[0:3], v10, v14, a[0:3]
	s_movk_i32 s4, 0x7f
	v_cmp_gt_i16_sdwa s[6:7], v16, s4 src0_sel:BYTE_0 src1_sel:DWORD
	s_mov_b64 s[4:5], 0
                                        ; implicit-def: $sgpr10
	s_and_saveexec_b64 s[8:9], s[6:7]
	s_xor_b64 s[6:7], exec, s[8:9]
	s_cbranch_execnz .LBB49_3393
; %bb.1345:
	s_or_saveexec_b64 s[6:7], s[6:7]
	v_mov_b32_e32 v10, s10
	s_xor_b64 exec, exec, s[6:7]
	s_cbranch_execnz .LBB49_3396
.LBB49_1346:
	s_or_b64 exec, exec, s[6:7]
	s_and_saveexec_b64 s[6:7], s[4:5]
	s_cbranch_execz .LBB49_1348
.LBB49_1347:
	v_and_b32_e32 v10, 7, v16
	v_ffbh_u32_e32 v14, v10
	v_min_u32_e32 v14, 32, v14
	v_lshrrev_b16_e32 v11, 3, v16
	v_subrev_u32_e32 v15, 28, v14
	v_and_b32_e32 v11, 15, v11
	v_lshlrev_b32_e32 v15, v15, v16
	v_sub_u32_e32 v14, 29, v14
	v_and_b32_e32 v15, 7, v15
	v_cmp_eq_u16_e32 vcc, 0, v11
	v_cndmask_b32_e32 v10, v10, v15, vcc
	v_cndmask_b32_e32 v11, v11, v14, vcc
	v_lshlrev_b32_e32 v14, 24, v16
	v_mov_b32_e32 v15, 0x3b800000
	v_lshlrev_b32_e32 v10, 20, v10
	v_and_b32_e32 v14, 0x80000000, v14
	v_lshl_add_u32 v11, v11, 23, v15
	v_or3_b32 v10, v14, v11, v10
.LBB49_1348:
	s_or_b64 exec, exec, s[6:7]
	s_movk_i32 s4, 0x7f
	v_cmp_gt_i16_sdwa s[6:7], v12, s4 src0_sel:BYTE_0 src1_sel:DWORD
	s_mov_b64 s[4:5], 0
                                        ; implicit-def: $sgpr10
	s_and_saveexec_b64 s[8:9], s[6:7]
	s_xor_b64 s[6:7], exec, s[8:9]
	s_cbranch_execnz .LBB49_3397
; %bb.1349:
	s_or_saveexec_b64 s[6:7], s[6:7]
	v_mov_b32_e32 v11, s10
	s_xor_b64 exec, exec, s[6:7]
	s_cbranch_execnz .LBB49_3400
.LBB49_1350:
	s_or_b64 exec, exec, s[6:7]
	s_and_saveexec_b64 s[6:7], s[4:5]
	s_cbranch_execz .LBB49_1352
.LBB49_1351:
	v_and_b32_e32 v11, 7, v12
	v_ffbh_u32_e32 v15, v11
	v_min_u32_e32 v15, 32, v15
	v_lshrrev_b16_e32 v14, 3, v12
	v_subrev_u32_e32 v20, 28, v15
	v_and_b32_e32 v14, 15, v14
	v_lshlrev_b32_e32 v20, v20, v12
	v_sub_u32_e32 v15, 29, v15
	v_and_b32_e32 v20, 7, v20
	v_cmp_eq_u16_e32 vcc, 0, v14
	v_cndmask_b32_e32 v11, v11, v20, vcc
	v_cndmask_b32_e32 v14, v14, v15, vcc
	v_lshlrev_b32_e32 v15, 24, v12
	v_mov_b32_e32 v20, 0x3b800000
	v_lshlrev_b32_e32 v11, 20, v11
	v_and_b32_e32 v15, 0x80000000, v15
	v_lshl_add_u32 v14, v14, 23, v20
	v_or3_b32 v11, v15, v14, v11
.LBB49_1352:
	s_or_b64 exec, exec, s[6:7]
	s_nop 0
	v_mfma_f32_16x16x4f32 a[0:3], v10, v11, a[0:3]
	v_lshrrev_b32_e32 v11, 8, v16
	s_movk_i32 s4, 0x7f
	v_cmp_gt_i16_sdwa s[6:7], v11, s4 src0_sel:BYTE_0 src1_sel:DWORD
	s_mov_b64 s[4:5], 0
                                        ; implicit-def: $sgpr10
	s_and_saveexec_b64 s[8:9], s[6:7]
	s_xor_b64 s[6:7], exec, s[8:9]
	s_cbranch_execnz .LBB49_3401
; %bb.1353:
	s_or_saveexec_b64 s[6:7], s[6:7]
	v_mov_b32_e32 v10, s10
	s_xor_b64 exec, exec, s[6:7]
	s_cbranch_execnz .LBB49_3404
.LBB49_1354:
	s_or_b64 exec, exec, s[6:7]
	s_and_saveexec_b64 s[6:7], s[4:5]
	s_cbranch_execz .LBB49_1356
.LBB49_1355:
	v_bfe_u32 v10, v16, 8, 3
	v_ffbh_u32_e32 v15, v10
	v_min_u32_e32 v15, 32, v15
	v_lshrrev_b16_e32 v14, 3, v11
	v_subrev_u32_e32 v20, 28, v15
	v_and_b32_e32 v14, 15, v14
	v_lshlrev_b32_e32 v11, v20, v11
	v_sub_u32_e32 v15, 29, v15
	v_and_b32_e32 v11, 7, v11
	v_cmp_eq_u16_e32 vcc, 0, v14
	v_cndmask_b32_e32 v10, v10, v11, vcc
	v_cndmask_b32_e32 v11, v14, v15, vcc
	v_lshlrev_b32_e32 v14, 16, v16
	v_mov_b32_e32 v15, 0x3b800000
	v_lshlrev_b32_e32 v10, 20, v10
	v_and_b32_e32 v14, 0x80000000, v14
	v_lshl_add_u32 v11, v11, 23, v15
	v_or3_b32 v10, v14, v11, v10
.LBB49_1356:
	s_or_b64 exec, exec, s[6:7]
	v_lshrrev_b32_e32 v11, 8, v12
	s_movk_i32 s4, 0x7f
	v_cmp_gt_i16_sdwa s[6:7], v11, s4 src0_sel:BYTE_0 src1_sel:DWORD
	s_mov_b64 s[4:5], 0
                                        ; implicit-def: $sgpr10
	s_and_saveexec_b64 s[8:9], s[6:7]
	s_xor_b64 s[6:7], exec, s[8:9]
	s_cbranch_execnz .LBB49_3405
; %bb.1357:
	s_or_saveexec_b64 s[6:7], s[6:7]
	v_mov_b32_e32 v14, s10
	s_xor_b64 exec, exec, s[6:7]
	s_cbranch_execnz .LBB49_3408
.LBB49_1358:
	s_or_b64 exec, exec, s[6:7]
	s_and_saveexec_b64 s[6:7], s[4:5]
	s_cbranch_execz .LBB49_1360
.LBB49_1359:
	v_bfe_u32 v14, v12, 8, 3
	v_ffbh_u32_e32 v20, v14
	v_min_u32_e32 v20, 32, v20
	v_lshrrev_b16_e32 v15, 3, v11
	v_subrev_u32_e32 v21, 28, v20
	v_and_b32_e32 v15, 15, v15
	v_lshlrev_b32_e32 v11, v21, v11
	v_sub_u32_e32 v20, 29, v20
	v_and_b32_e32 v11, 7, v11
	v_cmp_eq_u16_e32 vcc, 0, v15
	v_cndmask_b32_e32 v11, v14, v11, vcc
	v_cndmask_b32_e32 v14, v15, v20, vcc
	v_lshlrev_b32_e32 v15, 16, v12
	v_mov_b32_e32 v20, 0x3b800000
	v_lshlrev_b32_e32 v11, 20, v11
	v_and_b32_e32 v15, 0x80000000, v15
	v_lshl_add_u32 v14, v14, 23, v20
	v_or3_b32 v14, v15, v14, v11
.LBB49_1360:
	s_or_b64 exec, exec, s[6:7]
	s_nop 0
	v_mfma_f32_16x16x4f32 a[0:3], v10, v14, a[0:3]
	s_movk_i32 s4, 0xff
	v_and_b32_sdwa v11, v16, s4 dst_sel:DWORD dst_unused:UNUSED_PAD src0_sel:WORD_1 src1_sel:DWORD
	s_movk_i32 s4, 0x7f
	v_cmp_lt_i16_e32 vcc, s4, v11
	s_mov_b64 s[4:5], 0
                                        ; implicit-def: $sgpr10
	s_and_saveexec_b64 s[6:7], vcc
	s_xor_b64 s[6:7], exec, s[6:7]
	s_cbranch_execnz .LBB49_3409
; %bb.1361:
	s_or_saveexec_b64 s[6:7], s[6:7]
	v_mov_b32_e32 v10, s10
	s_xor_b64 exec, exec, s[6:7]
	s_cbranch_execnz .LBB49_3412
.LBB49_1362:
	s_or_b64 exec, exec, s[6:7]
	s_and_saveexec_b64 s[6:7], s[4:5]
	s_cbranch_execz .LBB49_1364
.LBB49_1363:
	v_bfe_u32 v10, v16, 16, 3
	v_ffbh_u32_e32 v15, v10
	v_min_u32_e32 v15, 32, v15
	v_lshrrev_b32_e32 v11, 19, v16
	v_subrev_u32_e32 v20, 28, v15
	v_and_b32_e32 v11, 15, v11
	v_lshlrev_b32_sdwa v20, v20, v16 dst_sel:DWORD dst_unused:UNUSED_PAD src0_sel:DWORD src1_sel:WORD_1
	v_bfe_u32 v14, v16, 19, 4
	v_sub_u32_e32 v15, 29, v15
	v_and_b32_e32 v20, 7, v20
	v_cmp_eq_u16_e32 vcc, 0, v11
	v_cndmask_b32_e32 v10, v10, v20, vcc
	v_cndmask_b32_e32 v11, v14, v15, vcc
	v_lshlrev_b32_e32 v14, 8, v16
	v_mov_b32_e32 v15, 0x3b800000
	v_lshlrev_b32_e32 v10, 20, v10
	v_and_b32_e32 v14, 0x80000000, v14
	v_lshl_add_u32 v11, v11, 23, v15
	v_or3_b32 v10, v14, v11, v10
.LBB49_1364:
	s_or_b64 exec, exec, s[6:7]
	s_movk_i32 s4, 0xff
	v_and_b32_sdwa v11, v12, s4 dst_sel:DWORD dst_unused:UNUSED_PAD src0_sel:WORD_1 src1_sel:DWORD
	s_movk_i32 s4, 0x7f
	v_cmp_lt_i16_e32 vcc, s4, v11
	s_mov_b64 s[4:5], 0
                                        ; implicit-def: $sgpr10
	s_and_saveexec_b64 s[6:7], vcc
	s_xor_b64 s[6:7], exec, s[6:7]
	s_cbranch_execnz .LBB49_3413
; %bb.1365:
	s_or_saveexec_b64 s[6:7], s[6:7]
	v_mov_b32_e32 v14, s10
	s_xor_b64 exec, exec, s[6:7]
	s_cbranch_execnz .LBB49_3416
.LBB49_1366:
	s_or_b64 exec, exec, s[6:7]
	s_and_saveexec_b64 s[6:7], s[4:5]
	s_cbranch_execz .LBB49_1368
.LBB49_1367:
	v_bfe_u32 v11, v12, 16, 3
	v_ffbh_u32_e32 v20, v11
	v_min_u32_e32 v20, 32, v20
	v_lshrrev_b32_e32 v14, 19, v12
	v_subrev_u32_e32 v21, 28, v20
	v_and_b32_e32 v14, 15, v14
	v_lshlrev_b32_sdwa v21, v21, v12 dst_sel:DWORD dst_unused:UNUSED_PAD src0_sel:DWORD src1_sel:WORD_1
	v_bfe_u32 v15, v12, 19, 4
	v_sub_u32_e32 v20, 29, v20
	v_and_b32_e32 v21, 7, v21
	v_cmp_eq_u16_e32 vcc, 0, v14
	v_cndmask_b32_e32 v11, v11, v21, vcc
	v_cndmask_b32_e32 v14, v15, v20, vcc
	v_lshlrev_b32_e32 v15, 8, v12
	v_mov_b32_e32 v20, 0x3b800000
	v_lshlrev_b32_e32 v11, 20, v11
	v_and_b32_e32 v15, 0x80000000, v15
	v_lshl_add_u32 v14, v14, 23, v20
	v_or3_b32 v14, v15, v14, v11
.LBB49_1368:
	s_or_b64 exec, exec, s[6:7]
	s_nop 0
	v_mfma_f32_16x16x4f32 a[0:3], v10, v14, a[0:3]
	s_movk_i32 s4, 0x7f
	v_cmp_gt_i16_sdwa s[6:7], v16, s4 src0_sel:BYTE_3 src1_sel:DWORD
	s_mov_b64 s[4:5], 0
                                        ; implicit-def: $sgpr10
	s_and_saveexec_b64 s[8:9], s[6:7]
	s_xor_b64 s[6:7], exec, s[8:9]
	s_cbranch_execnz .LBB49_3417
; %bb.1369:
	s_or_saveexec_b64 s[6:7], s[6:7]
	v_mov_b32_e32 v10, s10
	s_xor_b64 exec, exec, s[6:7]
	s_cbranch_execnz .LBB49_3420
.LBB49_1370:
	s_or_b64 exec, exec, s[6:7]
	s_and_saveexec_b64 s[6:7], s[4:5]
	s_cbranch_execz .LBB49_1372
.LBB49_1371:
	v_bfe_u32 v10, v16, 24, 3
	v_ffbh_u32_e32 v20, v10
	v_min_u32_e32 v20, 32, v20
	v_lshrrev_b32_e32 v14, 27, v16
	v_subrev_u32_e32 v21, 28, v20
	v_and_b32_e32 v11, 0x80000000, v16
	v_and_b32_e32 v14, 15, v14
	v_bfe_u32 v15, v16, 27, 4
	v_lshlrev_b32_sdwa v16, v21, v16 dst_sel:DWORD dst_unused:UNUSED_PAD src0_sel:DWORD src1_sel:BYTE_3
	v_sub_u32_e32 v20, 29, v20
	v_and_b32_e32 v16, 7, v16
	v_cmp_eq_u16_e32 vcc, 0, v14
	v_cndmask_b32_e32 v10, v10, v16, vcc
	v_cndmask_b32_e32 v14, v15, v20, vcc
	v_mov_b32_e32 v15, 0x3b800000
	v_lshlrev_b32_e32 v10, 20, v10
	v_lshl_add_u32 v14, v14, 23, v15
	v_or3_b32 v10, v11, v14, v10
.LBB49_1372:
	s_or_b64 exec, exec, s[6:7]
	s_movk_i32 s4, 0x7f
	v_cmp_gt_i16_sdwa s[6:7], v12, s4 src0_sel:BYTE_3 src1_sel:DWORD
	s_mov_b64 s[4:5], 0
                                        ; implicit-def: $sgpr10
	s_and_saveexec_b64 s[8:9], s[6:7]
	s_xor_b64 s[6:7], exec, s[8:9]
	s_cbranch_execnz .LBB49_3421
; %bb.1373:
	s_or_saveexec_b64 s[6:7], s[6:7]
	v_mov_b32_e32 v11, s10
	s_xor_b64 exec, exec, s[6:7]
	s_cbranch_execnz .LBB49_3424
.LBB49_1374:
	s_or_b64 exec, exec, s[6:7]
	s_and_saveexec_b64 s[6:7], s[4:5]
	s_cbranch_execz .LBB49_1376
.LBB49_1375:
	v_bfe_u32 v11, v12, 24, 3
	v_ffbh_u32_e32 v20, v11
	v_min_u32_e32 v20, 32, v20
	v_lshrrev_b32_e32 v15, 27, v12
	v_subrev_u32_e32 v21, 28, v20
	v_and_b32_e32 v14, 0x80000000, v12
	v_and_b32_e32 v15, 15, v15
	v_bfe_u32 v16, v12, 27, 4
	v_lshlrev_b32_sdwa v12, v21, v12 dst_sel:DWORD dst_unused:UNUSED_PAD src0_sel:DWORD src1_sel:BYTE_3
	v_sub_u32_e32 v20, 29, v20
	v_and_b32_e32 v12, 7, v12
	v_cmp_eq_u16_e32 vcc, 0, v15
	v_cndmask_b32_e32 v11, v11, v12, vcc
	v_cndmask_b32_e32 v12, v16, v20, vcc
	v_mov_b32_e32 v15, 0x3b800000
	v_lshlrev_b32_e32 v11, 20, v11
	v_lshl_add_u32 v12, v12, 23, v15
	v_or3_b32 v11, v14, v12, v11
.LBB49_1376:
	s_or_b64 exec, exec, s[6:7]
	s_nop 0
	v_mfma_f32_16x16x4f32 a[0:3], v10, v11, a[0:3]
	s_movk_i32 s4, 0x7f
	v_cmp_gt_i16_sdwa s[6:7], v17, s4 src0_sel:BYTE_0 src1_sel:DWORD
	s_mov_b64 s[4:5], 0
                                        ; implicit-def: $sgpr10
	s_and_saveexec_b64 s[8:9], s[6:7]
	s_xor_b64 s[6:7], exec, s[8:9]
	s_cbranch_execnz .LBB49_3425
; %bb.1377:
	s_or_saveexec_b64 s[6:7], s[6:7]
	v_mov_b32_e32 v10, s10
	s_xor_b64 exec, exec, s[6:7]
	s_cbranch_execnz .LBB49_3428
.LBB49_1378:
	s_or_b64 exec, exec, s[6:7]
	s_and_saveexec_b64 s[6:7], s[4:5]
	s_cbranch_execz .LBB49_1380
.LBB49_1379:
	v_and_b32_e32 v10, 7, v17
	v_ffbh_u32_e32 v12, v10
	v_min_u32_e32 v12, 32, v12
	v_lshrrev_b16_e32 v11, 3, v17
	v_subrev_u32_e32 v14, 28, v12
	v_and_b32_e32 v11, 15, v11
	v_lshlrev_b32_e32 v14, v14, v17
	v_sub_u32_e32 v12, 29, v12
	v_and_b32_e32 v14, 7, v14
	v_cmp_eq_u16_e32 vcc, 0, v11
	v_cndmask_b32_e32 v10, v10, v14, vcc
	v_cndmask_b32_e32 v11, v11, v12, vcc
	v_lshlrev_b32_e32 v12, 24, v17
	v_mov_b32_e32 v14, 0x3b800000
	v_lshlrev_b32_e32 v10, 20, v10
	v_and_b32_e32 v12, 0x80000000, v12
	v_lshl_add_u32 v11, v11, 23, v14
	v_or3_b32 v10, v12, v11, v10
.LBB49_1380:
	s_or_b64 exec, exec, s[6:7]
	s_movk_i32 s4, 0x7f
	v_cmp_gt_i16_sdwa s[6:7], v13, s4 src0_sel:BYTE_0 src1_sel:DWORD
	s_mov_b64 s[4:5], 0
                                        ; implicit-def: $sgpr10
	s_and_saveexec_b64 s[8:9], s[6:7]
	s_xor_b64 s[6:7], exec, s[8:9]
	s_cbranch_execnz .LBB49_3429
; %bb.1381:
	s_or_saveexec_b64 s[6:7], s[6:7]
	v_mov_b32_e32 v11, s10
	s_xor_b64 exec, exec, s[6:7]
	s_cbranch_execnz .LBB49_3432
.LBB49_1382:
	s_or_b64 exec, exec, s[6:7]
	s_and_saveexec_b64 s[6:7], s[4:5]
	s_cbranch_execz .LBB49_1384
.LBB49_1383:
	v_and_b32_e32 v11, 7, v13
	v_ffbh_u32_e32 v14, v11
	v_min_u32_e32 v14, 32, v14
	v_lshrrev_b16_e32 v12, 3, v13
	v_subrev_u32_e32 v15, 28, v14
	v_and_b32_e32 v12, 15, v12
	v_lshlrev_b32_e32 v15, v15, v13
	v_sub_u32_e32 v14, 29, v14
	v_and_b32_e32 v15, 7, v15
	v_cmp_eq_u16_e32 vcc, 0, v12
	v_cndmask_b32_e32 v11, v11, v15, vcc
	v_cndmask_b32_e32 v12, v12, v14, vcc
	v_lshlrev_b32_e32 v14, 24, v13
	v_mov_b32_e32 v15, 0x3b800000
	v_lshlrev_b32_e32 v11, 20, v11
	v_and_b32_e32 v14, 0x80000000, v14
	v_lshl_add_u32 v12, v12, 23, v15
	v_or3_b32 v11, v14, v12, v11
.LBB49_1384:
	s_or_b64 exec, exec, s[6:7]
	s_nop 0
	v_mfma_f32_16x16x4f32 a[0:3], v10, v11, a[0:3]
	v_lshrrev_b32_e32 v11, 8, v17
	s_movk_i32 s4, 0x7f
	v_cmp_gt_i16_sdwa s[6:7], v11, s4 src0_sel:BYTE_0 src1_sel:DWORD
	s_mov_b64 s[4:5], 0
                                        ; implicit-def: $sgpr10
	s_and_saveexec_b64 s[8:9], s[6:7]
	s_xor_b64 s[6:7], exec, s[8:9]
	s_cbranch_execnz .LBB49_3433
; %bb.1385:
	s_or_saveexec_b64 s[6:7], s[6:7]
	v_mov_b32_e32 v10, s10
	s_xor_b64 exec, exec, s[6:7]
	s_cbranch_execnz .LBB49_3436
.LBB49_1386:
	s_or_b64 exec, exec, s[6:7]
	s_and_saveexec_b64 s[6:7], s[4:5]
	s_cbranch_execz .LBB49_1388
.LBB49_1387:
	v_bfe_u32 v10, v17, 8, 3
	v_ffbh_u32_e32 v14, v10
	v_min_u32_e32 v14, 32, v14
	v_lshrrev_b16_e32 v12, 3, v11
	v_subrev_u32_e32 v15, 28, v14
	v_and_b32_e32 v12, 15, v12
	v_lshlrev_b32_e32 v11, v15, v11
	v_sub_u32_e32 v14, 29, v14
	v_and_b32_e32 v11, 7, v11
	v_cmp_eq_u16_e32 vcc, 0, v12
	v_cndmask_b32_e32 v10, v10, v11, vcc
	v_cndmask_b32_e32 v11, v12, v14, vcc
	v_lshlrev_b32_e32 v12, 16, v17
	v_mov_b32_e32 v14, 0x3b800000
	v_lshlrev_b32_e32 v10, 20, v10
	v_and_b32_e32 v12, 0x80000000, v12
	v_lshl_add_u32 v11, v11, 23, v14
	v_or3_b32 v10, v12, v11, v10
.LBB49_1388:
	s_or_b64 exec, exec, s[6:7]
	v_lshrrev_b32_e32 v11, 8, v13
	s_movk_i32 s4, 0x7f
	v_cmp_gt_i16_sdwa s[6:7], v11, s4 src0_sel:BYTE_0 src1_sel:DWORD
	s_mov_b64 s[4:5], 0
                                        ; implicit-def: $sgpr10
	s_and_saveexec_b64 s[8:9], s[6:7]
	s_xor_b64 s[6:7], exec, s[8:9]
	s_cbranch_execnz .LBB49_3437
; %bb.1389:
	s_or_saveexec_b64 s[6:7], s[6:7]
	v_mov_b32_e32 v12, s10
	s_xor_b64 exec, exec, s[6:7]
	s_cbranch_execnz .LBB49_3440
.LBB49_1390:
	s_or_b64 exec, exec, s[6:7]
	s_and_saveexec_b64 s[6:7], s[4:5]
	s_cbranch_execz .LBB49_1392
.LBB49_1391:
	v_bfe_u32 v12, v13, 8, 3
	v_ffbh_u32_e32 v15, v12
	v_min_u32_e32 v15, 32, v15
	v_lshrrev_b16_e32 v14, 3, v11
	v_subrev_u32_e32 v16, 28, v15
	v_and_b32_e32 v14, 15, v14
	v_lshlrev_b32_e32 v11, v16, v11
	v_sub_u32_e32 v15, 29, v15
	v_and_b32_e32 v11, 7, v11
	v_cmp_eq_u16_e32 vcc, 0, v14
	v_cndmask_b32_e32 v11, v12, v11, vcc
	v_cndmask_b32_e32 v12, v14, v15, vcc
	v_lshlrev_b32_e32 v14, 16, v13
	v_mov_b32_e32 v15, 0x3b800000
	v_lshlrev_b32_e32 v11, 20, v11
	v_and_b32_e32 v14, 0x80000000, v14
	v_lshl_add_u32 v12, v12, 23, v15
	v_or3_b32 v12, v14, v12, v11
.LBB49_1392:
	s_or_b64 exec, exec, s[6:7]
	s_nop 0
	v_mfma_f32_16x16x4f32 a[0:3], v10, v12, a[0:3]
	s_movk_i32 s4, 0xff
	v_and_b32_sdwa v11, v17, s4 dst_sel:DWORD dst_unused:UNUSED_PAD src0_sel:WORD_1 src1_sel:DWORD
	s_movk_i32 s4, 0x7f
	v_cmp_lt_i16_e32 vcc, s4, v11
	s_mov_b64 s[4:5], 0
                                        ; implicit-def: $sgpr10
	s_and_saveexec_b64 s[6:7], vcc
	s_xor_b64 s[6:7], exec, s[6:7]
	s_cbranch_execnz .LBB49_3441
; %bb.1393:
	s_or_saveexec_b64 s[6:7], s[6:7]
	v_mov_b32_e32 v10, s10
	s_xor_b64 exec, exec, s[6:7]
	s_cbranch_execnz .LBB49_3444
.LBB49_1394:
	s_or_b64 exec, exec, s[6:7]
	s_and_saveexec_b64 s[6:7], s[4:5]
	s_cbranch_execz .LBB49_1396
.LBB49_1395:
	v_bfe_u32 v10, v17, 16, 3
	v_ffbh_u32_e32 v14, v10
	v_min_u32_e32 v14, 32, v14
	v_lshrrev_b32_e32 v11, 19, v17
	v_subrev_u32_e32 v15, 28, v14
	v_and_b32_e32 v11, 15, v11
	v_lshlrev_b32_sdwa v15, v15, v17 dst_sel:DWORD dst_unused:UNUSED_PAD src0_sel:DWORD src1_sel:WORD_1
	v_bfe_u32 v12, v17, 19, 4
	v_sub_u32_e32 v14, 29, v14
	v_and_b32_e32 v15, 7, v15
	v_cmp_eq_u16_e32 vcc, 0, v11
	v_cndmask_b32_e32 v10, v10, v15, vcc
	v_cndmask_b32_e32 v11, v12, v14, vcc
	v_lshlrev_b32_e32 v12, 8, v17
	v_mov_b32_e32 v14, 0x3b800000
	v_lshlrev_b32_e32 v10, 20, v10
	v_and_b32_e32 v12, 0x80000000, v12
	v_lshl_add_u32 v11, v11, 23, v14
	v_or3_b32 v10, v12, v11, v10
.LBB49_1396:
	s_or_b64 exec, exec, s[6:7]
	s_movk_i32 s4, 0xff
	v_and_b32_sdwa v11, v13, s4 dst_sel:DWORD dst_unused:UNUSED_PAD src0_sel:WORD_1 src1_sel:DWORD
	s_movk_i32 s4, 0x7f
	v_cmp_lt_i16_e32 vcc, s4, v11
	s_mov_b64 s[4:5], 0
                                        ; implicit-def: $sgpr10
	s_and_saveexec_b64 s[6:7], vcc
	s_xor_b64 s[6:7], exec, s[6:7]
	s_cbranch_execnz .LBB49_3445
; %bb.1397:
	s_or_saveexec_b64 s[6:7], s[6:7]
	v_mov_b32_e32 v12, s10
	s_xor_b64 exec, exec, s[6:7]
	s_cbranch_execnz .LBB49_3448
.LBB49_1398:
	s_or_b64 exec, exec, s[6:7]
	s_and_saveexec_b64 s[6:7], s[4:5]
	s_cbranch_execz .LBB49_1400
.LBB49_1399:
	v_bfe_u32 v11, v13, 16, 3
	v_ffbh_u32_e32 v15, v11
	v_min_u32_e32 v15, 32, v15
	v_lshrrev_b32_e32 v12, 19, v13
	v_subrev_u32_e32 v16, 28, v15
	v_and_b32_e32 v12, 15, v12
	v_lshlrev_b32_sdwa v16, v16, v13 dst_sel:DWORD dst_unused:UNUSED_PAD src0_sel:DWORD src1_sel:WORD_1
	v_bfe_u32 v14, v13, 19, 4
	v_sub_u32_e32 v15, 29, v15
	v_and_b32_e32 v16, 7, v16
	v_cmp_eq_u16_e32 vcc, 0, v12
	v_cndmask_b32_e32 v11, v11, v16, vcc
	v_cndmask_b32_e32 v12, v14, v15, vcc
	v_lshlrev_b32_e32 v14, 8, v13
	v_mov_b32_e32 v15, 0x3b800000
	v_lshlrev_b32_e32 v11, 20, v11
	v_and_b32_e32 v14, 0x80000000, v14
	v_lshl_add_u32 v12, v12, 23, v15
	v_or3_b32 v12, v14, v12, v11
.LBB49_1400:
	s_or_b64 exec, exec, s[6:7]
	s_nop 0
	v_mfma_f32_16x16x4f32 a[0:3], v10, v12, a[0:3]
	s_movk_i32 s4, 0x7f
	v_cmp_gt_i16_sdwa s[6:7], v17, s4 src0_sel:BYTE_3 src1_sel:DWORD
	s_mov_b64 s[4:5], 0
                                        ; implicit-def: $sgpr10
	s_and_saveexec_b64 s[8:9], s[6:7]
	s_xor_b64 s[6:7], exec, s[8:9]
	s_cbranch_execnz .LBB49_3449
; %bb.1401:
	s_or_saveexec_b64 s[6:7], s[6:7]
	v_mov_b32_e32 v10, s10
	s_xor_b64 exec, exec, s[6:7]
	s_cbranch_execnz .LBB49_3452
.LBB49_1402:
	s_or_b64 exec, exec, s[6:7]
	s_and_saveexec_b64 s[6:7], s[4:5]
	s_cbranch_execz .LBB49_1404
.LBB49_1403:
	v_bfe_u32 v10, v17, 24, 3
	v_ffbh_u32_e32 v15, v10
	v_min_u32_e32 v15, 32, v15
	v_lshrrev_b32_e32 v12, 27, v17
	v_subrev_u32_e32 v16, 28, v15
	v_and_b32_e32 v12, 15, v12
	v_lshlrev_b32_sdwa v16, v16, v17 dst_sel:DWORD dst_unused:UNUSED_PAD src0_sel:DWORD src1_sel:BYTE_3
	v_bfe_u32 v14, v17, 27, 4
	v_sub_u32_e32 v15, 29, v15
	v_and_b32_e32 v16, 7, v16
	v_cmp_eq_u16_e32 vcc, 0, v12
	v_cndmask_b32_e32 v10, v10, v16, vcc
	v_cndmask_b32_e32 v12, v14, v15, vcc
	v_mov_b32_e32 v14, 0x3b800000
	v_and_b32_e32 v11, 0x80000000, v17
	v_lshlrev_b32_e32 v10, 20, v10
	v_lshl_add_u32 v12, v12, 23, v14
	v_or3_b32 v10, v11, v12, v10
.LBB49_1404:
	s_or_b64 exec, exec, s[6:7]
	s_movk_i32 s4, 0x7f
	v_cmp_gt_i16_sdwa s[6:7], v13, s4 src0_sel:BYTE_3 src1_sel:DWORD
	s_mov_b64 s[4:5], 0
                                        ; implicit-def: $sgpr10
	s_and_saveexec_b64 s[8:9], s[6:7]
	s_xor_b64 s[6:7], exec, s[8:9]
	s_cbranch_execnz .LBB49_3453
; %bb.1405:
	s_or_saveexec_b64 s[6:7], s[6:7]
	v_mov_b32_e32 v11, s10
	s_xor_b64 exec, exec, s[6:7]
	s_cbranch_execnz .LBB49_3456
.LBB49_1406:
	s_or_b64 exec, exec, s[6:7]
	s_and_saveexec_b64 s[6:7], s[4:5]
	s_cbranch_execz .LBB49_1408
.LBB49_1407:
	v_bfe_u32 v11, v13, 24, 3
	v_ffbh_u32_e32 v16, v11
	v_min_u32_e32 v16, 32, v16
	v_lshrrev_b32_e32 v14, 27, v13
	v_subrev_u32_e32 v17, 28, v16
	v_and_b32_e32 v12, 0x80000000, v13
	v_and_b32_e32 v14, 15, v14
	v_bfe_u32 v15, v13, 27, 4
	v_lshlrev_b32_sdwa v13, v17, v13 dst_sel:DWORD dst_unused:UNUSED_PAD src0_sel:DWORD src1_sel:BYTE_3
	v_sub_u32_e32 v16, 29, v16
	v_and_b32_e32 v13, 7, v13
	v_cmp_eq_u16_e32 vcc, 0, v14
	v_cndmask_b32_e32 v11, v11, v13, vcc
	v_cndmask_b32_e32 v13, v15, v16, vcc
	v_mov_b32_e32 v14, 0x3b800000
	v_lshlrev_b32_e32 v11, 20, v11
	v_lshl_add_u32 v13, v13, 23, v14
	v_or3_b32 v11, v12, v13, v11
.LBB49_1408:
	s_or_b64 exec, exec, s[6:7]
	s_nop 0
	v_mfma_f32_16x16x4f32 a[0:3], v10, v11, a[0:3]
	s_movk_i32 s4, 0x7f
	v_cmp_gt_i16_sdwa s[6:7], v6, s4 src0_sel:BYTE_0 src1_sel:DWORD
	s_mov_b64 s[4:5], 0
                                        ; implicit-def: $sgpr10
	s_and_saveexec_b64 s[8:9], s[6:7]
	s_xor_b64 s[6:7], exec, s[8:9]
	s_cbranch_execnz .LBB49_3457
; %bb.1409:
	s_or_saveexec_b64 s[6:7], s[6:7]
	v_mov_b32_e32 v10, s10
	s_xor_b64 exec, exec, s[6:7]
	s_cbranch_execnz .LBB49_3460
.LBB49_1410:
	s_or_b64 exec, exec, s[6:7]
	s_and_saveexec_b64 s[6:7], s[4:5]
	s_cbranch_execz .LBB49_1412
.LBB49_1411:
	v_and_b32_e32 v10, 7, v6
	v_ffbh_u32_e32 v12, v10
	v_min_u32_e32 v12, 32, v12
	v_lshrrev_b16_e32 v11, 3, v6
	v_subrev_u32_e32 v13, 28, v12
	v_and_b32_e32 v11, 15, v11
	v_lshlrev_b32_e32 v13, v13, v6
	v_sub_u32_e32 v12, 29, v12
	v_and_b32_e32 v13, 7, v13
	v_cmp_eq_u16_e32 vcc, 0, v11
	v_cndmask_b32_e32 v10, v10, v13, vcc
	v_cndmask_b32_e32 v11, v11, v12, vcc
	v_lshlrev_b32_e32 v12, 24, v6
	v_mov_b32_e32 v13, 0x3b800000
	v_lshlrev_b32_e32 v10, 20, v10
	v_and_b32_e32 v12, 0x80000000, v12
	v_lshl_add_u32 v11, v11, 23, v13
	v_or3_b32 v10, v12, v11, v10
.LBB49_1412:
	s_or_b64 exec, exec, s[6:7]
	s_movk_i32 s4, 0x7f
	v_cmp_gt_i16_sdwa s[6:7], v2, s4 src0_sel:BYTE_0 src1_sel:DWORD
	s_mov_b64 s[4:5], 0
                                        ; implicit-def: $sgpr10
	s_and_saveexec_b64 s[8:9], s[6:7]
	s_xor_b64 s[6:7], exec, s[8:9]
	s_cbranch_execnz .LBB49_3461
; %bb.1413:
	s_or_saveexec_b64 s[6:7], s[6:7]
	v_mov_b32_e32 v11, s10
	s_xor_b64 exec, exec, s[6:7]
	s_cbranch_execnz .LBB49_3464
.LBB49_1414:
	s_or_b64 exec, exec, s[6:7]
	s_and_saveexec_b64 s[6:7], s[4:5]
	s_cbranch_execz .LBB49_1416
.LBB49_1415:
	v_and_b32_e32 v11, 7, v2
	v_ffbh_u32_e32 v13, v11
	v_min_u32_e32 v13, 32, v13
	v_lshrrev_b16_e32 v12, 3, v2
	v_subrev_u32_e32 v14, 28, v13
	v_and_b32_e32 v12, 15, v12
	v_lshlrev_b32_e32 v14, v14, v2
	v_sub_u32_e32 v13, 29, v13
	v_and_b32_e32 v14, 7, v14
	v_cmp_eq_u16_e32 vcc, 0, v12
	v_cndmask_b32_e32 v11, v11, v14, vcc
	v_cndmask_b32_e32 v12, v12, v13, vcc
	v_lshlrev_b32_e32 v13, 24, v2
	v_mov_b32_e32 v14, 0x3b800000
	v_lshlrev_b32_e32 v11, 20, v11
	v_and_b32_e32 v13, 0x80000000, v13
	v_lshl_add_u32 v12, v12, 23, v14
	v_or3_b32 v11, v13, v12, v11
.LBB49_1416:
	s_or_b64 exec, exec, s[6:7]
	s_nop 0
	v_mfma_f32_16x16x4f32 a[0:3], v10, v11, a[0:3]
	v_lshrrev_b32_e32 v11, 8, v6
	s_movk_i32 s4, 0x7f
	v_cmp_gt_i16_sdwa s[6:7], v11, s4 src0_sel:BYTE_0 src1_sel:DWORD
	s_mov_b64 s[4:5], 0
                                        ; implicit-def: $sgpr10
	s_and_saveexec_b64 s[8:9], s[6:7]
	s_xor_b64 s[6:7], exec, s[8:9]
	s_cbranch_execnz .LBB49_3465
; %bb.1417:
	s_or_saveexec_b64 s[6:7], s[6:7]
	v_mov_b32_e32 v10, s10
	s_xor_b64 exec, exec, s[6:7]
	s_cbranch_execnz .LBB49_3468
.LBB49_1418:
	s_or_b64 exec, exec, s[6:7]
	s_and_saveexec_b64 s[6:7], s[4:5]
	s_cbranch_execz .LBB49_1420
.LBB49_1419:
	v_bfe_u32 v10, v6, 8, 3
	v_ffbh_u32_e32 v13, v10
	v_min_u32_e32 v13, 32, v13
	v_lshrrev_b16_e32 v12, 3, v11
	v_subrev_u32_e32 v14, 28, v13
	v_and_b32_e32 v12, 15, v12
	v_lshlrev_b32_e32 v11, v14, v11
	v_sub_u32_e32 v13, 29, v13
	v_and_b32_e32 v11, 7, v11
	v_cmp_eq_u16_e32 vcc, 0, v12
	v_cndmask_b32_e32 v10, v10, v11, vcc
	v_cndmask_b32_e32 v11, v12, v13, vcc
	v_lshlrev_b32_e32 v12, 16, v6
	v_mov_b32_e32 v13, 0x3b800000
	v_lshlrev_b32_e32 v10, 20, v10
	v_and_b32_e32 v12, 0x80000000, v12
	v_lshl_add_u32 v11, v11, 23, v13
	v_or3_b32 v10, v12, v11, v10
.LBB49_1420:
	s_or_b64 exec, exec, s[6:7]
	v_lshrrev_b32_e32 v11, 8, v2
	s_movk_i32 s4, 0x7f
	v_cmp_gt_i16_sdwa s[6:7], v11, s4 src0_sel:BYTE_0 src1_sel:DWORD
	s_mov_b64 s[4:5], 0
                                        ; implicit-def: $sgpr10
	s_and_saveexec_b64 s[8:9], s[6:7]
	s_xor_b64 s[6:7], exec, s[8:9]
	s_cbranch_execnz .LBB49_3469
; %bb.1421:
	s_or_saveexec_b64 s[6:7], s[6:7]
	v_mov_b32_e32 v12, s10
	s_xor_b64 exec, exec, s[6:7]
	s_cbranch_execnz .LBB49_3472
.LBB49_1422:
	s_or_b64 exec, exec, s[6:7]
	s_and_saveexec_b64 s[6:7], s[4:5]
	s_cbranch_execz .LBB49_1424
.LBB49_1423:
	v_bfe_u32 v12, v2, 8, 3
	v_ffbh_u32_e32 v14, v12
	v_min_u32_e32 v14, 32, v14
	v_lshrrev_b16_e32 v13, 3, v11
	v_subrev_u32_e32 v15, 28, v14
	v_and_b32_e32 v13, 15, v13
	v_lshlrev_b32_e32 v11, v15, v11
	v_sub_u32_e32 v14, 29, v14
	v_and_b32_e32 v11, 7, v11
	v_cmp_eq_u16_e32 vcc, 0, v13
	v_cndmask_b32_e32 v11, v12, v11, vcc
	v_cndmask_b32_e32 v12, v13, v14, vcc
	v_lshlrev_b32_e32 v13, 16, v2
	v_mov_b32_e32 v14, 0x3b800000
	v_lshlrev_b32_e32 v11, 20, v11
	v_and_b32_e32 v13, 0x80000000, v13
	v_lshl_add_u32 v12, v12, 23, v14
	v_or3_b32 v12, v13, v12, v11
.LBB49_1424:
	s_or_b64 exec, exec, s[6:7]
	s_nop 0
	v_mfma_f32_16x16x4f32 a[0:3], v10, v12, a[0:3]
	s_movk_i32 s4, 0xff
	v_and_b32_sdwa v11, v6, s4 dst_sel:DWORD dst_unused:UNUSED_PAD src0_sel:WORD_1 src1_sel:DWORD
	s_movk_i32 s4, 0x7f
	v_cmp_lt_i16_e32 vcc, s4, v11
	s_mov_b64 s[4:5], 0
                                        ; implicit-def: $sgpr10
	s_and_saveexec_b64 s[6:7], vcc
	s_xor_b64 s[6:7], exec, s[6:7]
	s_cbranch_execnz .LBB49_3473
; %bb.1425:
	s_or_saveexec_b64 s[6:7], s[6:7]
	v_mov_b32_e32 v10, s10
	s_xor_b64 exec, exec, s[6:7]
	s_cbranch_execnz .LBB49_3476
.LBB49_1426:
	s_or_b64 exec, exec, s[6:7]
	s_and_saveexec_b64 s[6:7], s[4:5]
	s_cbranch_execz .LBB49_1428
.LBB49_1427:
	v_bfe_u32 v10, v6, 16, 3
	v_ffbh_u32_e32 v13, v10
	v_min_u32_e32 v13, 32, v13
	v_lshrrev_b32_e32 v11, 19, v6
	v_subrev_u32_e32 v14, 28, v13
	v_and_b32_e32 v11, 15, v11
	v_lshlrev_b32_sdwa v14, v14, v6 dst_sel:DWORD dst_unused:UNUSED_PAD src0_sel:DWORD src1_sel:WORD_1
	v_bfe_u32 v12, v6, 19, 4
	v_sub_u32_e32 v13, 29, v13
	v_and_b32_e32 v14, 7, v14
	v_cmp_eq_u16_e32 vcc, 0, v11
	v_cndmask_b32_e32 v10, v10, v14, vcc
	v_cndmask_b32_e32 v11, v12, v13, vcc
	v_lshlrev_b32_e32 v12, 8, v6
	v_mov_b32_e32 v13, 0x3b800000
	v_lshlrev_b32_e32 v10, 20, v10
	v_and_b32_e32 v12, 0x80000000, v12
	v_lshl_add_u32 v11, v11, 23, v13
	v_or3_b32 v10, v12, v11, v10
.LBB49_1428:
	s_or_b64 exec, exec, s[6:7]
	s_movk_i32 s4, 0xff
	v_and_b32_sdwa v11, v2, s4 dst_sel:DWORD dst_unused:UNUSED_PAD src0_sel:WORD_1 src1_sel:DWORD
	s_movk_i32 s4, 0x7f
	v_cmp_lt_i16_e32 vcc, s4, v11
	s_mov_b64 s[4:5], 0
                                        ; implicit-def: $sgpr10
	s_and_saveexec_b64 s[6:7], vcc
	s_xor_b64 s[6:7], exec, s[6:7]
	s_cbranch_execnz .LBB49_3477
; %bb.1429:
	s_or_saveexec_b64 s[6:7], s[6:7]
	v_mov_b32_e32 v12, s10
	s_xor_b64 exec, exec, s[6:7]
	s_cbranch_execnz .LBB49_3480
.LBB49_1430:
	s_or_b64 exec, exec, s[6:7]
	s_and_saveexec_b64 s[6:7], s[4:5]
	s_cbranch_execz .LBB49_1432
.LBB49_1431:
	v_bfe_u32 v11, v2, 16, 3
	v_ffbh_u32_e32 v14, v11
	v_min_u32_e32 v14, 32, v14
	v_lshrrev_b32_e32 v12, 19, v2
	v_subrev_u32_e32 v15, 28, v14
	v_and_b32_e32 v12, 15, v12
	v_lshlrev_b32_sdwa v15, v15, v2 dst_sel:DWORD dst_unused:UNUSED_PAD src0_sel:DWORD src1_sel:WORD_1
	v_bfe_u32 v13, v2, 19, 4
	v_sub_u32_e32 v14, 29, v14
	v_and_b32_e32 v15, 7, v15
	v_cmp_eq_u16_e32 vcc, 0, v12
	v_cndmask_b32_e32 v11, v11, v15, vcc
	v_cndmask_b32_e32 v12, v13, v14, vcc
	v_lshlrev_b32_e32 v13, 8, v2
	v_mov_b32_e32 v14, 0x3b800000
	v_lshlrev_b32_e32 v11, 20, v11
	v_and_b32_e32 v13, 0x80000000, v13
	v_lshl_add_u32 v12, v12, 23, v14
	v_or3_b32 v12, v13, v12, v11
.LBB49_1432:
	s_or_b64 exec, exec, s[6:7]
	s_nop 0
	v_mfma_f32_16x16x4f32 a[0:3], v10, v12, a[0:3]
	s_movk_i32 s4, 0x7f
	v_cmp_gt_i16_sdwa s[6:7], v6, s4 src0_sel:BYTE_3 src1_sel:DWORD
	s_mov_b64 s[4:5], 0
                                        ; implicit-def: $sgpr10
	s_and_saveexec_b64 s[8:9], s[6:7]
	s_xor_b64 s[6:7], exec, s[8:9]
	s_cbranch_execnz .LBB49_3481
; %bb.1433:
	s_or_saveexec_b64 s[6:7], s[6:7]
	v_mov_b32_e32 v10, s10
	s_xor_b64 exec, exec, s[6:7]
	s_cbranch_execnz .LBB49_3484
.LBB49_1434:
	s_or_b64 exec, exec, s[6:7]
	s_and_saveexec_b64 s[6:7], s[4:5]
	s_cbranch_execz .LBB49_1436
.LBB49_1435:
	v_bfe_u32 v10, v6, 24, 3
	v_ffbh_u32_e32 v14, v10
	v_min_u32_e32 v14, 32, v14
	v_lshrrev_b32_e32 v12, 27, v6
	v_subrev_u32_e32 v15, 28, v14
	v_and_b32_e32 v11, 0x80000000, v6
	v_and_b32_e32 v12, 15, v12
	v_bfe_u32 v13, v6, 27, 4
	v_lshlrev_b32_sdwa v6, v15, v6 dst_sel:DWORD dst_unused:UNUSED_PAD src0_sel:DWORD src1_sel:BYTE_3
	v_sub_u32_e32 v14, 29, v14
	v_and_b32_e32 v6, 7, v6
	v_cmp_eq_u16_e32 vcc, 0, v12
	v_cndmask_b32_e32 v6, v10, v6, vcc
	v_cndmask_b32_e32 v10, v13, v14, vcc
	v_mov_b32_e32 v12, 0x3b800000
	v_lshlrev_b32_e32 v6, 20, v6
	v_lshl_add_u32 v10, v10, 23, v12
	v_or3_b32 v10, v11, v10, v6
.LBB49_1436:
	s_or_b64 exec, exec, s[6:7]
	s_movk_i32 s4, 0x7f
	v_cmp_gt_i16_sdwa s[6:7], v2, s4 src0_sel:BYTE_3 src1_sel:DWORD
	s_mov_b64 s[4:5], 0
                                        ; implicit-def: $sgpr10
	s_and_saveexec_b64 s[8:9], s[6:7]
	s_xor_b64 s[6:7], exec, s[8:9]
	s_cbranch_execnz .LBB49_3485
; %bb.1437:
	s_or_saveexec_b64 s[6:7], s[6:7]
	v_mov_b32_e32 v6, s10
	s_xor_b64 exec, exec, s[6:7]
	s_cbranch_execnz .LBB49_3488
.LBB49_1438:
	s_or_b64 exec, exec, s[6:7]
	s_and_saveexec_b64 s[6:7], s[4:5]
	s_cbranch_execz .LBB49_1440
.LBB49_1439:
	v_bfe_u32 v6, v2, 24, 3
	v_ffbh_u32_e32 v14, v6
	v_min_u32_e32 v14, 32, v14
	v_lshrrev_b32_e32 v12, 27, v2
	v_subrev_u32_e32 v15, 28, v14
	v_and_b32_e32 v11, 0x80000000, v2
	v_and_b32_e32 v12, 15, v12
	v_bfe_u32 v13, v2, 27, 4
	v_lshlrev_b32_sdwa v2, v15, v2 dst_sel:DWORD dst_unused:UNUSED_PAD src0_sel:DWORD src1_sel:BYTE_3
	v_sub_u32_e32 v14, 29, v14
	v_and_b32_e32 v2, 7, v2
	v_cmp_eq_u16_e32 vcc, 0, v12
	v_cndmask_b32_e32 v2, v6, v2, vcc
	v_cndmask_b32_e32 v6, v13, v14, vcc
	v_mov_b32_e32 v12, 0x3b800000
	v_lshlrev_b32_e32 v2, 20, v2
	v_lshl_add_u32 v6, v6, 23, v12
	v_or3_b32 v6, v11, v6, v2
.LBB49_1440:
	s_or_b64 exec, exec, s[6:7]
	s_nop 0
	v_mfma_f32_16x16x4f32 a[0:3], v10, v6, a[0:3]
	s_movk_i32 s4, 0x7f
	v_cmp_gt_i16_sdwa s[6:7], v7, s4 src0_sel:BYTE_0 src1_sel:DWORD
	s_mov_b64 s[4:5], 0
                                        ; implicit-def: $sgpr10
	s_and_saveexec_b64 s[8:9], s[6:7]
	s_xor_b64 s[6:7], exec, s[8:9]
	s_cbranch_execnz .LBB49_3489
; %bb.1441:
	s_or_saveexec_b64 s[6:7], s[6:7]
	v_mov_b32_e32 v2, s10
	s_xor_b64 exec, exec, s[6:7]
	s_cbranch_execnz .LBB49_3492
.LBB49_1442:
	s_or_b64 exec, exec, s[6:7]
	s_and_saveexec_b64 s[6:7], s[4:5]
	s_cbranch_execz .LBB49_1444
.LBB49_1443:
	v_and_b32_e32 v2, 7, v7
	v_ffbh_u32_e32 v10, v2
	v_min_u32_e32 v10, 32, v10
	v_lshrrev_b16_e32 v6, 3, v7
	v_subrev_u32_e32 v11, 28, v10
	v_and_b32_e32 v6, 15, v6
	v_lshlrev_b32_e32 v11, v11, v7
	v_sub_u32_e32 v10, 29, v10
	v_and_b32_e32 v11, 7, v11
	v_cmp_eq_u16_e32 vcc, 0, v6
	v_cndmask_b32_e32 v2, v2, v11, vcc
	v_cndmask_b32_e32 v6, v6, v10, vcc
	v_lshlrev_b32_e32 v10, 24, v7
	v_mov_b32_e32 v11, 0x3b800000
	v_lshlrev_b32_e32 v2, 20, v2
	v_and_b32_e32 v10, 0x80000000, v10
	v_lshl_add_u32 v6, v6, 23, v11
	v_or3_b32 v2, v10, v6, v2
.LBB49_1444:
	s_or_b64 exec, exec, s[6:7]
	s_movk_i32 s4, 0x7f
	v_cmp_gt_i16_sdwa s[6:7], v3, s4 src0_sel:BYTE_0 src1_sel:DWORD
	s_mov_b64 s[4:5], 0
                                        ; implicit-def: $sgpr10
	s_and_saveexec_b64 s[8:9], s[6:7]
	s_xor_b64 s[6:7], exec, s[8:9]
	s_cbranch_execnz .LBB49_3493
; %bb.1445:
	s_or_saveexec_b64 s[6:7], s[6:7]
	v_mov_b32_e32 v6, s10
	s_xor_b64 exec, exec, s[6:7]
	s_cbranch_execnz .LBB49_3496
.LBB49_1446:
	s_or_b64 exec, exec, s[6:7]
	s_and_saveexec_b64 s[6:7], s[4:5]
	s_cbranch_execz .LBB49_1448
.LBB49_1447:
	v_and_b32_e32 v6, 7, v3
	v_ffbh_u32_e32 v11, v6
	v_min_u32_e32 v11, 32, v11
	v_lshrrev_b16_e32 v10, 3, v3
	v_subrev_u32_e32 v12, 28, v11
	v_and_b32_e32 v10, 15, v10
	v_lshlrev_b32_e32 v12, v12, v3
	v_sub_u32_e32 v11, 29, v11
	v_and_b32_e32 v12, 7, v12
	v_cmp_eq_u16_e32 vcc, 0, v10
	v_cndmask_b32_e32 v6, v6, v12, vcc
	v_cndmask_b32_e32 v10, v10, v11, vcc
	v_lshlrev_b32_e32 v11, 24, v3
	v_mov_b32_e32 v12, 0x3b800000
	v_lshlrev_b32_e32 v6, 20, v6
	v_and_b32_e32 v11, 0x80000000, v11
	v_lshl_add_u32 v10, v10, 23, v12
	v_or3_b32 v6, v11, v10, v6
.LBB49_1448:
	s_or_b64 exec, exec, s[6:7]
	s_nop 0
	v_mfma_f32_16x16x4f32 a[0:3], v2, v6, a[0:3]
	v_lshrrev_b32_e32 v6, 8, v7
	s_movk_i32 s4, 0x7f
	v_cmp_gt_i16_sdwa s[6:7], v6, s4 src0_sel:BYTE_0 src1_sel:DWORD
	s_mov_b64 s[4:5], 0
                                        ; implicit-def: $sgpr10
	s_and_saveexec_b64 s[8:9], s[6:7]
	s_xor_b64 s[6:7], exec, s[8:9]
	s_cbranch_execnz .LBB49_3497
; %bb.1449:
	s_or_saveexec_b64 s[6:7], s[6:7]
	v_mov_b32_e32 v2, s10
	s_xor_b64 exec, exec, s[6:7]
	s_cbranch_execnz .LBB49_3500
.LBB49_1450:
	s_or_b64 exec, exec, s[6:7]
	s_and_saveexec_b64 s[6:7], s[4:5]
	s_cbranch_execz .LBB49_1452
.LBB49_1451:
	v_bfe_u32 v2, v7, 8, 3
	v_ffbh_u32_e32 v11, v2
	v_min_u32_e32 v11, 32, v11
	v_lshrrev_b16_e32 v10, 3, v6
	v_subrev_u32_e32 v12, 28, v11
	v_and_b32_e32 v10, 15, v10
	v_lshlrev_b32_e32 v6, v12, v6
	v_sub_u32_e32 v11, 29, v11
	v_and_b32_e32 v6, 7, v6
	v_cmp_eq_u16_e32 vcc, 0, v10
	v_cndmask_b32_e32 v2, v2, v6, vcc
	v_cndmask_b32_e32 v6, v10, v11, vcc
	v_lshlrev_b32_e32 v10, 16, v7
	v_mov_b32_e32 v11, 0x3b800000
	v_lshlrev_b32_e32 v2, 20, v2
	v_and_b32_e32 v10, 0x80000000, v10
	v_lshl_add_u32 v6, v6, 23, v11
	v_or3_b32 v2, v10, v6, v2
.LBB49_1452:
	s_or_b64 exec, exec, s[6:7]
	v_lshrrev_b32_e32 v6, 8, v3
	s_movk_i32 s4, 0x7f
	v_cmp_gt_i16_sdwa s[6:7], v6, s4 src0_sel:BYTE_0 src1_sel:DWORD
	s_mov_b64 s[4:5], 0
                                        ; implicit-def: $sgpr10
	s_and_saveexec_b64 s[8:9], s[6:7]
	s_xor_b64 s[6:7], exec, s[8:9]
	s_cbranch_execnz .LBB49_3501
; %bb.1453:
	s_or_saveexec_b64 s[6:7], s[6:7]
	v_mov_b32_e32 v10, s10
	s_xor_b64 exec, exec, s[6:7]
	s_cbranch_execnz .LBB49_3504
.LBB49_1454:
	s_or_b64 exec, exec, s[6:7]
	s_and_saveexec_b64 s[6:7], s[4:5]
	s_cbranch_execz .LBB49_1456
.LBB49_1455:
	v_bfe_u32 v10, v3, 8, 3
	v_ffbh_u32_e32 v12, v10
	v_min_u32_e32 v12, 32, v12
	v_lshrrev_b16_e32 v11, 3, v6
	v_subrev_u32_e32 v13, 28, v12
	v_and_b32_e32 v11, 15, v11
	v_lshlrev_b32_e32 v6, v13, v6
	v_sub_u32_e32 v12, 29, v12
	v_and_b32_e32 v6, 7, v6
	v_cmp_eq_u16_e32 vcc, 0, v11
	v_cndmask_b32_e32 v6, v10, v6, vcc
	v_cndmask_b32_e32 v10, v11, v12, vcc
	v_lshlrev_b32_e32 v11, 16, v3
	v_mov_b32_e32 v12, 0x3b800000
	v_lshlrev_b32_e32 v6, 20, v6
	v_and_b32_e32 v11, 0x80000000, v11
	v_lshl_add_u32 v10, v10, 23, v12
	v_or3_b32 v10, v11, v10, v6
.LBB49_1456:
	s_or_b64 exec, exec, s[6:7]
	s_nop 0
	v_mfma_f32_16x16x4f32 a[0:3], v2, v10, a[0:3]
	s_movk_i32 s4, 0xff
	v_and_b32_sdwa v6, v7, s4 dst_sel:DWORD dst_unused:UNUSED_PAD src0_sel:WORD_1 src1_sel:DWORD
	s_movk_i32 s4, 0x7f
	v_cmp_lt_i16_e32 vcc, s4, v6
	s_mov_b64 s[4:5], 0
                                        ; implicit-def: $sgpr10
	s_and_saveexec_b64 s[6:7], vcc
	s_xor_b64 s[6:7], exec, s[6:7]
	s_cbranch_execnz .LBB49_3505
; %bb.1457:
	s_or_saveexec_b64 s[6:7], s[6:7]
	v_mov_b32_e32 v2, s10
	s_xor_b64 exec, exec, s[6:7]
	s_cbranch_execnz .LBB49_3508
.LBB49_1458:
	s_or_b64 exec, exec, s[6:7]
	s_and_saveexec_b64 s[6:7], s[4:5]
	s_cbranch_execz .LBB49_1460
.LBB49_1459:
	v_bfe_u32 v2, v7, 16, 3
	v_ffbh_u32_e32 v11, v2
	v_min_u32_e32 v11, 32, v11
	v_lshrrev_b32_e32 v6, 19, v7
	v_subrev_u32_e32 v12, 28, v11
	v_and_b32_e32 v6, 15, v6
	v_lshlrev_b32_sdwa v12, v12, v7 dst_sel:DWORD dst_unused:UNUSED_PAD src0_sel:DWORD src1_sel:WORD_1
	v_bfe_u32 v10, v7, 19, 4
	v_sub_u32_e32 v11, 29, v11
	v_and_b32_e32 v12, 7, v12
	v_cmp_eq_u16_e32 vcc, 0, v6
	v_cndmask_b32_e32 v2, v2, v12, vcc
	v_cndmask_b32_e32 v6, v10, v11, vcc
	v_lshlrev_b32_e32 v10, 8, v7
	v_mov_b32_e32 v11, 0x3b800000
	v_lshlrev_b32_e32 v2, 20, v2
	v_and_b32_e32 v10, 0x80000000, v10
	v_lshl_add_u32 v6, v6, 23, v11
	v_or3_b32 v2, v10, v6, v2
.LBB49_1460:
	s_or_b64 exec, exec, s[6:7]
	s_movk_i32 s4, 0xff
	v_and_b32_sdwa v6, v3, s4 dst_sel:DWORD dst_unused:UNUSED_PAD src0_sel:WORD_1 src1_sel:DWORD
	s_movk_i32 s4, 0x7f
	v_cmp_lt_i16_e32 vcc, s4, v6
	s_mov_b64 s[4:5], 0
                                        ; implicit-def: $sgpr10
	s_and_saveexec_b64 s[6:7], vcc
	s_xor_b64 s[6:7], exec, s[6:7]
	s_cbranch_execnz .LBB49_3509
; %bb.1461:
	s_or_saveexec_b64 s[6:7], s[6:7]
	v_mov_b32_e32 v10, s10
	s_xor_b64 exec, exec, s[6:7]
	s_cbranch_execnz .LBB49_3512
.LBB49_1462:
	s_or_b64 exec, exec, s[6:7]
	s_and_saveexec_b64 s[6:7], s[4:5]
	s_cbranch_execz .LBB49_1464
.LBB49_1463:
	v_bfe_u32 v6, v3, 16, 3
	v_ffbh_u32_e32 v12, v6
	v_min_u32_e32 v12, 32, v12
	v_lshrrev_b32_e32 v10, 19, v3
	v_subrev_u32_e32 v13, 28, v12
	v_and_b32_e32 v10, 15, v10
	v_lshlrev_b32_sdwa v13, v13, v3 dst_sel:DWORD dst_unused:UNUSED_PAD src0_sel:DWORD src1_sel:WORD_1
	v_bfe_u32 v11, v3, 19, 4
	v_sub_u32_e32 v12, 29, v12
	v_and_b32_e32 v13, 7, v13
	v_cmp_eq_u16_e32 vcc, 0, v10
	v_cndmask_b32_e32 v6, v6, v13, vcc
	v_cndmask_b32_e32 v10, v11, v12, vcc
	v_lshlrev_b32_e32 v11, 8, v3
	v_mov_b32_e32 v12, 0x3b800000
	v_lshlrev_b32_e32 v6, 20, v6
	v_and_b32_e32 v11, 0x80000000, v11
	v_lshl_add_u32 v10, v10, 23, v12
	v_or3_b32 v10, v11, v10, v6
.LBB49_1464:
	s_or_b64 exec, exec, s[6:7]
	s_nop 0
	v_mfma_f32_16x16x4f32 a[0:3], v2, v10, a[0:3]
	s_movk_i32 s4, 0x7f
	v_cmp_gt_i16_sdwa s[6:7], v7, s4 src0_sel:BYTE_3 src1_sel:DWORD
	s_mov_b64 s[4:5], 0
                                        ; implicit-def: $sgpr10
	s_and_saveexec_b64 s[8:9], s[6:7]
	s_xor_b64 s[6:7], exec, s[8:9]
	s_cbranch_execnz .LBB49_3513
; %bb.1465:
	s_or_saveexec_b64 s[6:7], s[6:7]
	v_mov_b32_e32 v2, s10
	s_xor_b64 exec, exec, s[6:7]
	s_cbranch_execnz .LBB49_3516
.LBB49_1466:
	s_or_b64 exec, exec, s[6:7]
	s_and_saveexec_b64 s[6:7], s[4:5]
	s_cbranch_execz .LBB49_1468
.LBB49_1467:
	v_bfe_u32 v2, v7, 24, 3
	v_ffbh_u32_e32 v12, v2
	v_min_u32_e32 v12, 32, v12
	v_lshrrev_b32_e32 v10, 27, v7
	v_subrev_u32_e32 v13, 28, v12
	v_and_b32_e32 v6, 0x80000000, v7
	v_and_b32_e32 v10, 15, v10
	v_bfe_u32 v11, v7, 27, 4
	v_lshlrev_b32_sdwa v7, v13, v7 dst_sel:DWORD dst_unused:UNUSED_PAD src0_sel:DWORD src1_sel:BYTE_3
	v_sub_u32_e32 v12, 29, v12
	v_and_b32_e32 v7, 7, v7
	v_cmp_eq_u16_e32 vcc, 0, v10
	v_cndmask_b32_e32 v2, v2, v7, vcc
	v_cndmask_b32_e32 v7, v11, v12, vcc
	v_mov_b32_e32 v10, 0x3b800000
	v_lshlrev_b32_e32 v2, 20, v2
	v_lshl_add_u32 v7, v7, 23, v10
	v_or3_b32 v2, v6, v7, v2
.LBB49_1468:
	s_or_b64 exec, exec, s[6:7]
	s_movk_i32 s4, 0x7f
	v_cmp_gt_i16_sdwa s[6:7], v3, s4 src0_sel:BYTE_3 src1_sel:DWORD
	s_mov_b64 s[4:5], 0
                                        ; implicit-def: $sgpr10
	s_and_saveexec_b64 s[8:9], s[6:7]
	s_xor_b64 s[6:7], exec, s[8:9]
	s_cbranch_execnz .LBB49_3517
; %bb.1469:
	s_or_saveexec_b64 s[6:7], s[6:7]
	v_mov_b32_e32 v6, s10
	s_xor_b64 exec, exec, s[6:7]
	s_cbranch_execnz .LBB49_3520
.LBB49_1470:
	s_or_b64 exec, exec, s[6:7]
	s_and_saveexec_b64 s[6:7], s[4:5]
	s_cbranch_execz .LBB49_1472
.LBB49_1471:
	v_bfe_u32 v6, v3, 24, 3
	v_ffbh_u32_e32 v12, v6
	v_min_u32_e32 v12, 32, v12
	v_lshrrev_b32_e32 v10, 27, v3
	v_subrev_u32_e32 v13, 28, v12
	v_and_b32_e32 v7, 0x80000000, v3
	v_and_b32_e32 v10, 15, v10
	v_bfe_u32 v11, v3, 27, 4
	v_lshlrev_b32_sdwa v3, v13, v3 dst_sel:DWORD dst_unused:UNUSED_PAD src0_sel:DWORD src1_sel:BYTE_3
	v_sub_u32_e32 v12, 29, v12
	v_and_b32_e32 v3, 7, v3
	v_cmp_eq_u16_e32 vcc, 0, v10
	v_cndmask_b32_e32 v3, v6, v3, vcc
	v_cndmask_b32_e32 v6, v11, v12, vcc
	v_mov_b32_e32 v10, 0x3b800000
	v_lshlrev_b32_e32 v3, 20, v3
	v_lshl_add_u32 v6, v6, 23, v10
	v_or3_b32 v6, v7, v6, v3
.LBB49_1472:
	s_or_b64 exec, exec, s[6:7]
	s_nop 0
	v_mfma_f32_16x16x4f32 a[0:3], v2, v6, a[0:3]
	s_movk_i32 s4, 0x7f
	v_cmp_gt_i16_sdwa s[6:7], v8, s4 src0_sel:BYTE_0 src1_sel:DWORD
	s_mov_b64 s[4:5], 0
                                        ; implicit-def: $sgpr10
	s_and_saveexec_b64 s[8:9], s[6:7]
	s_xor_b64 s[6:7], exec, s[8:9]
	s_cbranch_execnz .LBB49_3521
; %bb.1473:
	s_or_saveexec_b64 s[6:7], s[6:7]
	v_mov_b32_e32 v2, s10
	s_xor_b64 exec, exec, s[6:7]
	s_cbranch_execnz .LBB49_3524
.LBB49_1474:
	s_or_b64 exec, exec, s[6:7]
	s_and_saveexec_b64 s[6:7], s[4:5]
	s_cbranch_execz .LBB49_1476
.LBB49_1475:
	v_and_b32_e32 v2, 7, v8
	v_ffbh_u32_e32 v6, v2
	v_min_u32_e32 v6, 32, v6
	v_lshrrev_b16_e32 v3, 3, v8
	v_subrev_u32_e32 v7, 28, v6
	v_and_b32_e32 v3, 15, v3
	v_lshlrev_b32_e32 v7, v7, v8
	v_sub_u32_e32 v6, 29, v6
	v_and_b32_e32 v7, 7, v7
	v_cmp_eq_u16_e32 vcc, 0, v3
	v_cndmask_b32_e32 v2, v2, v7, vcc
	v_cndmask_b32_e32 v3, v3, v6, vcc
	v_lshlrev_b32_e32 v6, 24, v8
	v_mov_b32_e32 v7, 0x3b800000
	v_lshlrev_b32_e32 v2, 20, v2
	v_and_b32_e32 v6, 0x80000000, v6
	v_lshl_add_u32 v3, v3, 23, v7
	v_or3_b32 v2, v6, v3, v2
.LBB49_1476:
	s_or_b64 exec, exec, s[6:7]
	s_movk_i32 s4, 0x7f
	v_cmp_gt_i16_sdwa s[6:7], v4, s4 src0_sel:BYTE_0 src1_sel:DWORD
	s_mov_b64 s[4:5], 0
                                        ; implicit-def: $sgpr10
	s_and_saveexec_b64 s[8:9], s[6:7]
	s_xor_b64 s[6:7], exec, s[8:9]
	s_cbranch_execnz .LBB49_3525
; %bb.1477:
	s_or_saveexec_b64 s[6:7], s[6:7]
	v_mov_b32_e32 v3, s10
	s_xor_b64 exec, exec, s[6:7]
	s_cbranch_execnz .LBB49_3528
.LBB49_1478:
	s_or_b64 exec, exec, s[6:7]
	s_and_saveexec_b64 s[6:7], s[4:5]
	s_cbranch_execz .LBB49_1480
.LBB49_1479:
	v_and_b32_e32 v3, 7, v4
	v_ffbh_u32_e32 v7, v3
	v_min_u32_e32 v7, 32, v7
	v_lshrrev_b16_e32 v6, 3, v4
	v_subrev_u32_e32 v10, 28, v7
	v_and_b32_e32 v6, 15, v6
	v_lshlrev_b32_e32 v10, v10, v4
	v_sub_u32_e32 v7, 29, v7
	v_and_b32_e32 v10, 7, v10
	v_cmp_eq_u16_e32 vcc, 0, v6
	v_cndmask_b32_e32 v3, v3, v10, vcc
	v_cndmask_b32_e32 v6, v6, v7, vcc
	v_lshlrev_b32_e32 v7, 24, v4
	v_mov_b32_e32 v10, 0x3b800000
	v_lshlrev_b32_e32 v3, 20, v3
	v_and_b32_e32 v7, 0x80000000, v7
	v_lshl_add_u32 v6, v6, 23, v10
	v_or3_b32 v3, v7, v6, v3
.LBB49_1480:
	s_or_b64 exec, exec, s[6:7]
	s_nop 0
	v_mfma_f32_16x16x4f32 a[0:3], v2, v3, a[0:3]
	v_lshrrev_b32_e32 v3, 8, v8
	s_movk_i32 s4, 0x7f
	v_cmp_gt_i16_sdwa s[6:7], v3, s4 src0_sel:BYTE_0 src1_sel:DWORD
	s_mov_b64 s[4:5], 0
                                        ; implicit-def: $sgpr10
	s_and_saveexec_b64 s[8:9], s[6:7]
	s_xor_b64 s[6:7], exec, s[8:9]
	s_cbranch_execnz .LBB49_3529
; %bb.1481:
	s_or_saveexec_b64 s[6:7], s[6:7]
	v_mov_b32_e32 v2, s10
	s_xor_b64 exec, exec, s[6:7]
	s_cbranch_execnz .LBB49_3532
.LBB49_1482:
	s_or_b64 exec, exec, s[6:7]
	s_and_saveexec_b64 s[6:7], s[4:5]
	s_cbranch_execz .LBB49_1484
.LBB49_1483:
	v_bfe_u32 v2, v8, 8, 3
	v_ffbh_u32_e32 v7, v2
	v_min_u32_e32 v7, 32, v7
	v_lshrrev_b16_e32 v6, 3, v3
	v_subrev_u32_e32 v10, 28, v7
	v_and_b32_e32 v6, 15, v6
	v_lshlrev_b32_e32 v3, v10, v3
	v_sub_u32_e32 v7, 29, v7
	v_and_b32_e32 v3, 7, v3
	v_cmp_eq_u16_e32 vcc, 0, v6
	v_cndmask_b32_e32 v2, v2, v3, vcc
	v_cndmask_b32_e32 v3, v6, v7, vcc
	v_lshlrev_b32_e32 v6, 16, v8
	v_mov_b32_e32 v7, 0x3b800000
	v_lshlrev_b32_e32 v2, 20, v2
	v_and_b32_e32 v6, 0x80000000, v6
	v_lshl_add_u32 v3, v3, 23, v7
	v_or3_b32 v2, v6, v3, v2
.LBB49_1484:
	s_or_b64 exec, exec, s[6:7]
	v_lshrrev_b32_e32 v3, 8, v4
	s_movk_i32 s4, 0x7f
	v_cmp_gt_i16_sdwa s[6:7], v3, s4 src0_sel:BYTE_0 src1_sel:DWORD
	s_mov_b64 s[4:5], 0
                                        ; implicit-def: $sgpr10
	s_and_saveexec_b64 s[8:9], s[6:7]
	s_xor_b64 s[6:7], exec, s[8:9]
	s_cbranch_execnz .LBB49_3533
; %bb.1485:
	s_or_saveexec_b64 s[6:7], s[6:7]
	v_mov_b32_e32 v6, s10
	s_xor_b64 exec, exec, s[6:7]
	s_cbranch_execnz .LBB49_3536
.LBB49_1486:
	s_or_b64 exec, exec, s[6:7]
	s_and_saveexec_b64 s[6:7], s[4:5]
	s_cbranch_execz .LBB49_1488
.LBB49_1487:
	v_bfe_u32 v6, v4, 8, 3
	v_ffbh_u32_e32 v10, v6
	v_min_u32_e32 v10, 32, v10
	v_lshrrev_b16_e32 v7, 3, v3
	v_subrev_u32_e32 v11, 28, v10
	v_and_b32_e32 v7, 15, v7
	v_lshlrev_b32_e32 v3, v11, v3
	v_sub_u32_e32 v10, 29, v10
	v_and_b32_e32 v3, 7, v3
	v_cmp_eq_u16_e32 vcc, 0, v7
	v_cndmask_b32_e32 v3, v6, v3, vcc
	v_cndmask_b32_e32 v6, v7, v10, vcc
	v_lshlrev_b32_e32 v7, 16, v4
	v_mov_b32_e32 v10, 0x3b800000
	v_lshlrev_b32_e32 v3, 20, v3
	v_and_b32_e32 v7, 0x80000000, v7
	v_lshl_add_u32 v6, v6, 23, v10
	v_or3_b32 v6, v7, v6, v3
.LBB49_1488:
	s_or_b64 exec, exec, s[6:7]
	s_nop 0
	v_mfma_f32_16x16x4f32 a[0:3], v2, v6, a[0:3]
	s_movk_i32 s4, 0xff
	v_and_b32_sdwa v3, v8, s4 dst_sel:DWORD dst_unused:UNUSED_PAD src0_sel:WORD_1 src1_sel:DWORD
	s_movk_i32 s4, 0x7f
	v_cmp_lt_i16_e32 vcc, s4, v3
	s_mov_b64 s[4:5], 0
                                        ; implicit-def: $sgpr10
	s_and_saveexec_b64 s[6:7], vcc
	s_xor_b64 s[6:7], exec, s[6:7]
	s_cbranch_execnz .LBB49_3537
; %bb.1489:
	s_or_saveexec_b64 s[6:7], s[6:7]
	v_mov_b32_e32 v2, s10
	s_xor_b64 exec, exec, s[6:7]
	s_cbranch_execnz .LBB49_3540
.LBB49_1490:
	s_or_b64 exec, exec, s[6:7]
	s_and_saveexec_b64 s[6:7], s[4:5]
	s_cbranch_execz .LBB49_1492
.LBB49_1491:
	v_bfe_u32 v2, v8, 16, 3
	v_ffbh_u32_e32 v7, v2
	v_min_u32_e32 v7, 32, v7
	v_lshrrev_b32_e32 v3, 19, v8
	v_subrev_u32_e32 v10, 28, v7
	v_and_b32_e32 v3, 15, v3
	v_lshlrev_b32_sdwa v10, v10, v8 dst_sel:DWORD dst_unused:UNUSED_PAD src0_sel:DWORD src1_sel:WORD_1
	v_bfe_u32 v6, v8, 19, 4
	v_sub_u32_e32 v7, 29, v7
	v_and_b32_e32 v10, 7, v10
	v_cmp_eq_u16_e32 vcc, 0, v3
	v_cndmask_b32_e32 v2, v2, v10, vcc
	v_cndmask_b32_e32 v3, v6, v7, vcc
	v_lshlrev_b32_e32 v6, 8, v8
	v_mov_b32_e32 v7, 0x3b800000
	v_lshlrev_b32_e32 v2, 20, v2
	v_and_b32_e32 v6, 0x80000000, v6
	v_lshl_add_u32 v3, v3, 23, v7
	v_or3_b32 v2, v6, v3, v2
.LBB49_1492:
	s_or_b64 exec, exec, s[6:7]
	s_movk_i32 s4, 0xff
	v_and_b32_sdwa v3, v4, s4 dst_sel:DWORD dst_unused:UNUSED_PAD src0_sel:WORD_1 src1_sel:DWORD
	s_movk_i32 s4, 0x7f
	v_cmp_lt_i16_e32 vcc, s4, v3
	s_mov_b64 s[4:5], 0
                                        ; implicit-def: $sgpr10
	s_and_saveexec_b64 s[6:7], vcc
	s_xor_b64 s[6:7], exec, s[6:7]
	s_cbranch_execnz .LBB49_3541
; %bb.1493:
	s_or_saveexec_b64 s[6:7], s[6:7]
	v_mov_b32_e32 v6, s10
	s_xor_b64 exec, exec, s[6:7]
	s_cbranch_execnz .LBB49_3544
.LBB49_1494:
	s_or_b64 exec, exec, s[6:7]
	s_and_saveexec_b64 s[6:7], s[4:5]
	s_cbranch_execz .LBB49_1496
.LBB49_1495:
	v_bfe_u32 v3, v4, 16, 3
	v_ffbh_u32_e32 v10, v3
	v_min_u32_e32 v10, 32, v10
	v_lshrrev_b32_e32 v6, 19, v4
	v_subrev_u32_e32 v11, 28, v10
	v_and_b32_e32 v6, 15, v6
	v_lshlrev_b32_sdwa v11, v11, v4 dst_sel:DWORD dst_unused:UNUSED_PAD src0_sel:DWORD src1_sel:WORD_1
	v_bfe_u32 v7, v4, 19, 4
	v_sub_u32_e32 v10, 29, v10
	v_and_b32_e32 v11, 7, v11
	v_cmp_eq_u16_e32 vcc, 0, v6
	v_cndmask_b32_e32 v3, v3, v11, vcc
	v_cndmask_b32_e32 v6, v7, v10, vcc
	v_lshlrev_b32_e32 v7, 8, v4
	v_mov_b32_e32 v10, 0x3b800000
	v_lshlrev_b32_e32 v3, 20, v3
	v_and_b32_e32 v7, 0x80000000, v7
	v_lshl_add_u32 v6, v6, 23, v10
	v_or3_b32 v6, v7, v6, v3
.LBB49_1496:
	s_or_b64 exec, exec, s[6:7]
	s_nop 0
	v_mfma_f32_16x16x4f32 a[0:3], v2, v6, a[0:3]
	s_movk_i32 s4, 0x7f
	v_cmp_gt_i16_sdwa s[6:7], v8, s4 src0_sel:BYTE_3 src1_sel:DWORD
	s_mov_b64 s[4:5], 0
                                        ; implicit-def: $sgpr10
	s_and_saveexec_b64 s[8:9], s[6:7]
	s_xor_b64 s[6:7], exec, s[8:9]
	s_cbranch_execnz .LBB49_3545
; %bb.1497:
	s_or_saveexec_b64 s[6:7], s[6:7]
	v_mov_b32_e32 v2, s10
	s_xor_b64 exec, exec, s[6:7]
	s_cbranch_execnz .LBB49_3548
.LBB49_1498:
	s_or_b64 exec, exec, s[6:7]
	s_and_saveexec_b64 s[6:7], s[4:5]
	s_cbranch_execz .LBB49_1500
.LBB49_1499:
	v_bfe_u32 v2, v8, 24, 3
	v_ffbh_u32_e32 v10, v2
	v_min_u32_e32 v10, 32, v10
	v_lshrrev_b32_e32 v6, 27, v8
	v_subrev_u32_e32 v11, 28, v10
	v_and_b32_e32 v3, 0x80000000, v8
	v_and_b32_e32 v6, 15, v6
	v_bfe_u32 v7, v8, 27, 4
	v_lshlrev_b32_sdwa v8, v11, v8 dst_sel:DWORD dst_unused:UNUSED_PAD src0_sel:DWORD src1_sel:BYTE_3
	v_sub_u32_e32 v10, 29, v10
	v_and_b32_e32 v8, 7, v8
	v_cmp_eq_u16_e32 vcc, 0, v6
	v_cndmask_b32_e32 v2, v2, v8, vcc
	v_cndmask_b32_e32 v6, v7, v10, vcc
	v_mov_b32_e32 v7, 0x3b800000
	v_lshlrev_b32_e32 v2, 20, v2
	v_lshl_add_u32 v6, v6, 23, v7
	v_or3_b32 v2, v3, v6, v2
.LBB49_1500:
	s_or_b64 exec, exec, s[6:7]
	s_movk_i32 s4, 0x7f
	v_cmp_gt_i16_sdwa s[6:7], v4, s4 src0_sel:BYTE_3 src1_sel:DWORD
	s_mov_b64 s[4:5], 0
                                        ; implicit-def: $sgpr10
	s_and_saveexec_b64 s[8:9], s[6:7]
	s_xor_b64 s[6:7], exec, s[8:9]
	s_cbranch_execnz .LBB49_3549
; %bb.1501:
	s_or_saveexec_b64 s[6:7], s[6:7]
	v_mov_b32_e32 v3, s10
	s_xor_b64 exec, exec, s[6:7]
	s_cbranch_execnz .LBB49_3552
.LBB49_1502:
	s_or_b64 exec, exec, s[6:7]
	s_and_saveexec_b64 s[6:7], s[4:5]
	s_cbranch_execz .LBB49_1504
.LBB49_1503:
	v_bfe_u32 v3, v4, 24, 3
	v_ffbh_u32_e32 v10, v3
	v_min_u32_e32 v10, 32, v10
	v_lshrrev_b32_e32 v7, 27, v4
	v_subrev_u32_e32 v11, 28, v10
	v_and_b32_e32 v6, 0x80000000, v4
	v_and_b32_e32 v7, 15, v7
	v_bfe_u32 v8, v4, 27, 4
	v_lshlrev_b32_sdwa v4, v11, v4 dst_sel:DWORD dst_unused:UNUSED_PAD src0_sel:DWORD src1_sel:BYTE_3
	v_sub_u32_e32 v10, 29, v10
	v_and_b32_e32 v4, 7, v4
	v_cmp_eq_u16_e32 vcc, 0, v7
	v_cndmask_b32_e32 v3, v3, v4, vcc
	v_cndmask_b32_e32 v4, v8, v10, vcc
	v_mov_b32_e32 v7, 0x3b800000
	v_lshlrev_b32_e32 v3, 20, v3
	v_lshl_add_u32 v4, v4, 23, v7
	v_or3_b32 v3, v6, v4, v3
.LBB49_1504:
	s_or_b64 exec, exec, s[6:7]
	s_nop 0
	v_mfma_f32_16x16x4f32 a[0:3], v2, v3, a[0:3]
	s_movk_i32 s4, 0x7f
	v_cmp_gt_i16_sdwa s[6:7], v9, s4 src0_sel:BYTE_0 src1_sel:DWORD
	s_mov_b64 s[4:5], 0
                                        ; implicit-def: $sgpr10
	s_and_saveexec_b64 s[8:9], s[6:7]
	s_xor_b64 s[6:7], exec, s[8:9]
	s_cbranch_execnz .LBB49_3553
; %bb.1505:
	s_or_saveexec_b64 s[6:7], s[6:7]
	v_mov_b32_e32 v2, s10
	s_xor_b64 exec, exec, s[6:7]
	s_cbranch_execnz .LBB49_3556
.LBB49_1506:
	s_or_b64 exec, exec, s[6:7]
	s_and_saveexec_b64 s[6:7], s[4:5]
	s_cbranch_execz .LBB49_1508
.LBB49_1507:
	v_mov_b32_e32 v2, 8
	v_and_b32_e32 v3, 7, v9
	v_lshrrev_b32_sdwa v2, v2, v9 dst_sel:BYTE_1 dst_unused:UNUSED_PAD src0_sel:DWORD src1_sel:DWORD
	v_ffbh_u32_e32 v4, v3
	v_or_b32_sdwa v2, v9, v2 dst_sel:DWORD dst_unused:UNUSED_PAD src0_sel:BYTE_0 src1_sel:DWORD
	v_min_u32_e32 v4, 32, v4
	v_lshrrev_b16_e32 v2, 3, v2
	v_subrev_u32_e32 v6, 28, v4
	v_and_b32_e32 v2, 15, v2
	v_lshlrev_b32_e32 v6, v6, v9
	v_sub_u32_e32 v4, 29, v4
	v_and_b32_e32 v6, 7, v6
	v_cmp_eq_u16_e32 vcc, 0, v2
	v_cndmask_b32_e32 v3, v3, v6, vcc
	v_cndmask_b32_e32 v2, v2, v4, vcc
	v_lshlrev_b32_e32 v4, 24, v9
	v_mov_b32_e32 v6, 0x3b800000
	v_lshlrev_b32_e32 v3, 20, v3
	v_and_b32_e32 v4, 0x80000000, v4
	v_lshl_add_u32 v2, v2, 23, v6
	v_or3_b32 v2, v4, v2, v3
.LBB49_1508:
	s_or_b64 exec, exec, s[6:7]
	s_movk_i32 s4, 0x7f
	v_cmp_gt_i16_sdwa s[6:7], v5, s4 src0_sel:BYTE_0 src1_sel:DWORD
	s_mov_b64 s[4:5], 0
                                        ; implicit-def: $sgpr10
	s_and_saveexec_b64 s[8:9], s[6:7]
	s_xor_b64 s[6:7], exec, s[8:9]
	s_cbranch_execnz .LBB49_3557
; %bb.1509:
	s_or_saveexec_b64 s[6:7], s[6:7]
	v_mov_b32_e32 v3, s10
	s_xor_b64 exec, exec, s[6:7]
	s_cbranch_execnz .LBB49_3560
.LBB49_1510:
	s_or_b64 exec, exec, s[6:7]
	s_and_saveexec_b64 s[6:7], s[4:5]
	s_cbranch_execz .LBB49_1512
.LBB49_1511:
	v_mov_b32_e32 v3, 8
	v_and_b32_e32 v4, 7, v5
	v_lshrrev_b32_sdwa v3, v3, v5 dst_sel:BYTE_1 dst_unused:UNUSED_PAD src0_sel:DWORD src1_sel:DWORD
	v_ffbh_u32_e32 v6, v4
	v_or_b32_sdwa v3, v5, v3 dst_sel:DWORD dst_unused:UNUSED_PAD src0_sel:BYTE_0 src1_sel:DWORD
	v_min_u32_e32 v6, 32, v6
	v_lshrrev_b16_e32 v3, 3, v3
	v_subrev_u32_e32 v7, 28, v6
	v_and_b32_e32 v3, 15, v3
	v_lshlrev_b32_e32 v7, v7, v5
	v_sub_u32_e32 v6, 29, v6
	v_and_b32_e32 v7, 7, v7
	v_cmp_eq_u16_e32 vcc, 0, v3
	v_cndmask_b32_e32 v4, v4, v7, vcc
	v_cndmask_b32_e32 v3, v3, v6, vcc
	v_lshlrev_b32_e32 v6, 24, v5
	v_mov_b32_e32 v7, 0x3b800000
	v_lshlrev_b32_e32 v4, 20, v4
	v_and_b32_e32 v6, 0x80000000, v6
	v_lshl_add_u32 v3, v3, 23, v7
	v_or3_b32 v3, v6, v3, v4
.LBB49_1512:
	s_or_b64 exec, exec, s[6:7]
	s_nop 0
	v_mfma_f32_16x16x4f32 a[0:3], v2, v3, a[0:3]
	v_lshrrev_b32_e32 v3, 8, v9
	s_movk_i32 s4, 0x7f
	v_cmp_gt_i16_sdwa s[6:7], v3, s4 src0_sel:BYTE_0 src1_sel:DWORD
	s_mov_b64 s[4:5], 0
                                        ; implicit-def: $sgpr10
	s_and_saveexec_b64 s[8:9], s[6:7]
	s_xor_b64 s[6:7], exec, s[8:9]
	s_cbranch_execnz .LBB49_3561
; %bb.1513:
	s_or_saveexec_b64 s[6:7], s[6:7]
	v_mov_b32_e32 v2, s10
	s_xor_b64 exec, exec, s[6:7]
	s_cbranch_execnz .LBB49_3564
.LBB49_1514:
	s_or_b64 exec, exec, s[6:7]
	s_and_saveexec_b64 s[6:7], s[4:5]
	s_cbranch_execz .LBB49_1516
.LBB49_1515:
	v_bfe_u32 v2, v9, 8, 3
	v_ffbh_u32_e32 v6, v2
	v_min_u32_e32 v6, 32, v6
	v_lshrrev_b16_e32 v4, 3, v3
	v_subrev_u32_e32 v7, 28, v6
	v_and_b32_e32 v4, 15, v4
	v_lshlrev_b32_e32 v3, v7, v3
	v_sub_u32_e32 v6, 29, v6
	v_and_b32_e32 v3, 7, v3
	v_cmp_eq_u16_e32 vcc, 0, v4
	v_cndmask_b32_e32 v2, v2, v3, vcc
	v_cndmask_b32_e32 v3, v4, v6, vcc
	v_lshlrev_b32_e32 v4, 16, v9
	v_mov_b32_e32 v6, 0x3b800000
	v_lshlrev_b32_e32 v2, 20, v2
	v_and_b32_e32 v4, 0x80000000, v4
	v_lshl_add_u32 v3, v3, 23, v6
	v_or3_b32 v2, v4, v3, v2
.LBB49_1516:
	s_or_b64 exec, exec, s[6:7]
	v_lshrrev_b32_e32 v3, 8, v5
	s_movk_i32 s4, 0x7f
	v_cmp_gt_i16_sdwa s[6:7], v3, s4 src0_sel:BYTE_0 src1_sel:DWORD
	s_mov_b64 s[4:5], 0
                                        ; implicit-def: $sgpr10
	s_and_saveexec_b64 s[8:9], s[6:7]
	s_xor_b64 s[6:7], exec, s[8:9]
	s_cbranch_execnz .LBB49_3565
; %bb.1517:
	s_or_saveexec_b64 s[6:7], s[6:7]
	v_mov_b32_e32 v4, s10
	s_xor_b64 exec, exec, s[6:7]
	s_cbranch_execnz .LBB49_3568
.LBB49_1518:
	s_or_b64 exec, exec, s[6:7]
	s_and_saveexec_b64 s[6:7], s[4:5]
	s_cbranch_execz .LBB49_1520
.LBB49_1519:
	v_bfe_u32 v4, v5, 8, 3
	v_ffbh_u32_e32 v7, v4
	v_min_u32_e32 v7, 32, v7
	v_lshrrev_b16_e32 v6, 3, v3
	v_subrev_u32_e32 v8, 28, v7
	v_and_b32_e32 v6, 15, v6
	v_lshlrev_b32_e32 v3, v8, v3
	v_sub_u32_e32 v7, 29, v7
	v_and_b32_e32 v3, 7, v3
	v_cmp_eq_u16_e32 vcc, 0, v6
	v_cndmask_b32_e32 v3, v4, v3, vcc
	v_cndmask_b32_e32 v4, v6, v7, vcc
	v_lshlrev_b32_e32 v6, 16, v5
	v_mov_b32_e32 v7, 0x3b800000
	v_lshlrev_b32_e32 v3, 20, v3
	v_and_b32_e32 v6, 0x80000000, v6
	v_lshl_add_u32 v4, v4, 23, v7
	v_or3_b32 v4, v6, v4, v3
.LBB49_1520:
	s_or_b64 exec, exec, s[6:7]
	s_nop 0
	v_mfma_f32_16x16x4f32 a[0:3], v2, v4, a[0:3]
	s_movk_i32 s4, 0xff
	v_and_b32_sdwa v3, v9, s4 dst_sel:DWORD dst_unused:UNUSED_PAD src0_sel:WORD_1 src1_sel:DWORD
	s_movk_i32 s4, 0x7f
	v_cmp_lt_i16_e32 vcc, s4, v3
	s_mov_b64 s[4:5], 0
                                        ; implicit-def: $sgpr10
	s_and_saveexec_b64 s[6:7], vcc
	s_xor_b64 s[6:7], exec, s[6:7]
	s_cbranch_execnz .LBB49_3569
; %bb.1521:
	s_or_saveexec_b64 s[6:7], s[6:7]
	v_mov_b32_e32 v2, s10
	s_xor_b64 exec, exec, s[6:7]
	s_cbranch_execnz .LBB49_3572
.LBB49_1522:
	s_or_b64 exec, exec, s[6:7]
	s_and_saveexec_b64 s[6:7], s[4:5]
	s_cbranch_execz .LBB49_1524
.LBB49_1523:
	v_bfe_u32 v2, v9, 16, 3
	v_ffbh_u32_e32 v6, v2
	v_min_u32_e32 v6, 32, v6
	v_lshrrev_b32_e32 v3, 19, v9
	v_subrev_u32_e32 v7, 28, v6
	v_and_b32_e32 v3, 15, v3
	v_lshlrev_b32_sdwa v7, v7, v9 dst_sel:DWORD dst_unused:UNUSED_PAD src0_sel:DWORD src1_sel:WORD_1
	v_bfe_u32 v4, v9, 19, 4
	v_sub_u32_e32 v6, 29, v6
	v_and_b32_e32 v7, 7, v7
	v_cmp_eq_u16_e32 vcc, 0, v3
	v_cndmask_b32_e32 v2, v2, v7, vcc
	v_cndmask_b32_e32 v3, v4, v6, vcc
	v_lshlrev_b32_e32 v4, 8, v9
	v_mov_b32_e32 v6, 0x3b800000
	v_lshlrev_b32_e32 v2, 20, v2
	v_and_b32_e32 v4, 0x80000000, v4
	v_lshl_add_u32 v3, v3, 23, v6
	v_or3_b32 v2, v4, v3, v2
.LBB49_1524:
	s_or_b64 exec, exec, s[6:7]
	s_movk_i32 s4, 0xff
	v_and_b32_sdwa v3, v5, s4 dst_sel:DWORD dst_unused:UNUSED_PAD src0_sel:WORD_1 src1_sel:DWORD
	s_movk_i32 s4, 0x7f
	v_cmp_lt_i16_e32 vcc, s4, v3
	s_mov_b64 s[4:5], 0
                                        ; implicit-def: $sgpr10
	s_and_saveexec_b64 s[6:7], vcc
	s_xor_b64 s[6:7], exec, s[6:7]
	s_cbranch_execnz .LBB49_3573
; %bb.1525:
	s_or_saveexec_b64 s[6:7], s[6:7]
	v_mov_b32_e32 v4, s10
	s_xor_b64 exec, exec, s[6:7]
	s_cbranch_execnz .LBB49_3576
.LBB49_1526:
	s_or_b64 exec, exec, s[6:7]
	s_and_saveexec_b64 s[6:7], s[4:5]
	s_cbranch_execz .LBB49_1528
.LBB49_1527:
	v_bfe_u32 v3, v5, 16, 3
	v_ffbh_u32_e32 v7, v3
	v_min_u32_e32 v7, 32, v7
	v_lshrrev_b32_e32 v4, 19, v5
	v_subrev_u32_e32 v8, 28, v7
	v_and_b32_e32 v4, 15, v4
	v_lshlrev_b32_sdwa v8, v8, v5 dst_sel:DWORD dst_unused:UNUSED_PAD src0_sel:DWORD src1_sel:WORD_1
	v_bfe_u32 v6, v5, 19, 4
	v_sub_u32_e32 v7, 29, v7
	v_and_b32_e32 v8, 7, v8
	v_cmp_eq_u16_e32 vcc, 0, v4
	v_cndmask_b32_e32 v3, v3, v8, vcc
	v_cndmask_b32_e32 v4, v6, v7, vcc
	v_lshlrev_b32_e32 v6, 8, v5
	v_mov_b32_e32 v7, 0x3b800000
	v_lshlrev_b32_e32 v3, 20, v3
	v_and_b32_e32 v6, 0x80000000, v6
	v_lshl_add_u32 v4, v4, 23, v7
	v_or3_b32 v4, v6, v4, v3
.LBB49_1528:
	s_or_b64 exec, exec, s[6:7]
	s_nop 0
	v_mfma_f32_16x16x4f32 a[0:3], v2, v4, a[0:3]
	s_movk_i32 s4, 0x7f
	v_cmp_gt_i16_sdwa s[6:7], v9, s4 src0_sel:BYTE_3 src1_sel:DWORD
	s_mov_b64 s[4:5], 0
                                        ; implicit-def: $sgpr10
	s_and_saveexec_b64 s[8:9], s[6:7]
	s_xor_b64 s[6:7], exec, s[8:9]
	s_cbranch_execnz .LBB49_3577
; %bb.1529:
	s_or_saveexec_b64 s[6:7], s[6:7]
	v_mov_b32_e32 v2, s10
	s_xor_b64 exec, exec, s[6:7]
	s_cbranch_execnz .LBB49_3580
.LBB49_1530:
	s_or_b64 exec, exec, s[6:7]
	s_and_saveexec_b64 s[6:7], s[4:5]
	s_cbranch_execz .LBB49_1532
.LBB49_1531:
	v_bfe_u32 v2, v9, 24, 3
	v_ffbh_u32_e32 v7, v2
	v_min_u32_e32 v7, 32, v7
	v_lshrrev_b32_e32 v4, 27, v9
	v_subrev_u32_e32 v8, 28, v7
	v_and_b32_e32 v4, 15, v4
	v_lshlrev_b32_sdwa v8, v8, v9 dst_sel:DWORD dst_unused:UNUSED_PAD src0_sel:DWORD src1_sel:BYTE_3
	v_bfe_u32 v6, v9, 27, 4
	v_sub_u32_e32 v7, 29, v7
	v_and_b32_e32 v8, 7, v8
	v_cmp_eq_u16_e32 vcc, 0, v4
	v_cndmask_b32_e32 v2, v2, v8, vcc
	v_cndmask_b32_e32 v4, v6, v7, vcc
	v_mov_b32_e32 v6, 0x3b800000
	v_and_b32_e32 v3, 0x80000000, v9
	v_lshlrev_b32_e32 v2, 20, v2
	v_lshl_add_u32 v4, v4, 23, v6
	v_or3_b32 v2, v3, v4, v2
.LBB49_1532:
	s_or_b64 exec, exec, s[6:7]
	s_movk_i32 s4, 0x7f
	v_cmp_gt_i16_sdwa s[6:7], v5, s4 src0_sel:BYTE_3 src1_sel:DWORD
	s_mov_b64 s[4:5], 0
                                        ; implicit-def: $sgpr10
	s_and_saveexec_b64 s[8:9], s[6:7]
	s_xor_b64 s[6:7], exec, s[8:9]
	s_cbranch_execnz .LBB49_3581
; %bb.1533:
	s_or_saveexec_b64 s[6:7], s[6:7]
	v_mov_b32_e32 v3, s10
	s_xor_b64 exec, exec, s[6:7]
	s_cbranch_execnz .LBB49_3584
.LBB49_1534:
	s_or_b64 exec, exec, s[6:7]
	s_and_saveexec_b64 s[6:7], s[4:5]
	s_cbranch_execz .LBB49_1536
.LBB49_1535:
	v_bfe_u32 v3, v5, 24, 3
	v_ffbh_u32_e32 v8, v3
	v_min_u32_e32 v8, 32, v8
	v_lshrrev_b32_e32 v6, 27, v5
	v_subrev_u32_e32 v9, 28, v8
	v_and_b32_e32 v4, 0x80000000, v5
	v_and_b32_e32 v6, 15, v6
	v_bfe_u32 v7, v5, 27, 4
	v_lshlrev_b32_sdwa v5, v9, v5 dst_sel:DWORD dst_unused:UNUSED_PAD src0_sel:DWORD src1_sel:BYTE_3
	v_sub_u32_e32 v8, 29, v8
	v_and_b32_e32 v5, 7, v5
	v_cmp_eq_u16_e32 vcc, 0, v6
	v_cndmask_b32_e32 v3, v3, v5, vcc
	v_cndmask_b32_e32 v5, v7, v8, vcc
	v_mov_b32_e32 v6, 0x3b800000
	v_lshlrev_b32_e32 v3, 20, v3
	v_lshl_add_u32 v5, v5, 23, v6
	v_or3_b32 v3, v4, v5, v3
.LBB49_1536:
	s_or_b64 exec, exec, s[6:7]
	s_nop 0
	v_mfma_f32_16x16x4f32 a[0:3], v2, v3, a[0:3]
	s_movk_i32 s4, 0x7f
                                        ; implicit-def: $sgpr10
	s_nop 7
	s_nop 1
	flat_store_dwordx4 v[18:19], a[0:3] offset:720
	flat_load_dwordx4 v[20:23], v[0:1] offset:8
	s_nop 0
	flat_load_dwordx2 v[18:19], v[0:1] offset:24
	s_waitcnt vmcnt(0) lgkmcnt(0)
	flat_load_dwordx4 v[14:17], v[20:21] offset:32
	flat_load_dwordx4 v[6:9], v[20:21] offset:48
	flat_load_dwordx4 v[10:13], v[22:23] offset:192
	flat_load_dwordx4 v[2:5], v[22:23] offset:208
	s_waitcnt vmcnt(0) lgkmcnt(0)
	v_cmp_gt_i16_sdwa s[6:7], v14, s4 src0_sel:BYTE_0 src1_sel:DWORD
	s_mov_b64 s[4:5], 0
	s_and_saveexec_b64 s[8:9], s[6:7]
	s_xor_b64 s[6:7], exec, s[8:9]
	s_cbranch_execnz .LBB49_3585
; %bb.1537:
	s_or_saveexec_b64 s[6:7], s[6:7]
	v_mov_b32_e32 v20, s10
	s_xor_b64 exec, exec, s[6:7]
	s_cbranch_execnz .LBB49_3588
.LBB49_1538:
	s_or_b64 exec, exec, s[6:7]
	s_and_saveexec_b64 s[6:7], s[4:5]
	s_cbranch_execz .LBB49_1540
.LBB49_1539:
	v_and_b32_e32 v20, 7, v14
	v_ffbh_u32_e32 v22, v20
	v_min_u32_e32 v22, 32, v22
	v_lshrrev_b16_e32 v21, 3, v14
	v_subrev_u32_e32 v23, 28, v22
	v_and_b32_e32 v21, 15, v21
	v_lshlrev_b32_e32 v23, v23, v14
	v_sub_u32_e32 v22, 29, v22
	v_and_b32_e32 v23, 7, v23
	v_cmp_eq_u16_e32 vcc, 0, v21
	v_cndmask_b32_e32 v20, v20, v23, vcc
	v_cndmask_b32_e32 v21, v21, v22, vcc
	v_lshlrev_b32_e32 v22, 24, v14
	v_mov_b32_e32 v23, 0x3b800000
	v_lshlrev_b32_e32 v20, 20, v20
	v_and_b32_e32 v22, 0x80000000, v22
	v_lshl_add_u32 v21, v21, 23, v23
	v_or3_b32 v20, v22, v21, v20
.LBB49_1540:
	s_or_b64 exec, exec, s[6:7]
	s_movk_i32 s4, 0x7f
	v_cmp_gt_i16_sdwa s[6:7], v10, s4 src0_sel:BYTE_0 src1_sel:DWORD
	s_mov_b64 s[4:5], 0
                                        ; implicit-def: $sgpr10
	s_and_saveexec_b64 s[8:9], s[6:7]
	s_xor_b64 s[6:7], exec, s[8:9]
	s_cbranch_execnz .LBB49_3589
; %bb.1541:
	s_or_saveexec_b64 s[6:7], s[6:7]
	v_mov_b32_e32 v21, s10
	s_xor_b64 exec, exec, s[6:7]
	s_cbranch_execnz .LBB49_3592
.LBB49_1542:
	s_or_b64 exec, exec, s[6:7]
	s_and_saveexec_b64 s[6:7], s[4:5]
	s_cbranch_execz .LBB49_1544
.LBB49_1543:
	v_and_b32_e32 v21, 7, v10
	v_ffbh_u32_e32 v23, v21
	v_min_u32_e32 v23, 32, v23
	v_lshrrev_b16_e32 v22, 3, v10
	v_subrev_u32_e32 v24, 28, v23
	v_and_b32_e32 v22, 15, v22
	v_lshlrev_b32_e32 v24, v24, v10
	v_sub_u32_e32 v23, 29, v23
	v_and_b32_e32 v24, 7, v24
	v_cmp_eq_u16_e32 vcc, 0, v22
	v_cndmask_b32_e32 v21, v21, v24, vcc
	v_cndmask_b32_e32 v22, v22, v23, vcc
	v_lshlrev_b32_e32 v23, 24, v10
	v_mov_b32_e32 v24, 0x3b800000
	v_lshlrev_b32_e32 v21, 20, v21
	v_and_b32_e32 v23, 0x80000000, v23
	v_lshl_add_u32 v22, v22, 23, v24
	v_or3_b32 v21, v23, v22, v21
.LBB49_1544:
	s_or_b64 exec, exec, s[6:7]
	flat_load_dwordx4 a[0:3], v[18:19] offset:736
	s_movk_i32 s4, 0x7f
                                        ; implicit-def: $sgpr10
	s_waitcnt vmcnt(0) lgkmcnt(0)
	v_mfma_f32_16x16x4f32 a[0:3], v20, v21, a[0:3]
	v_lshrrev_b32_e32 v21, 8, v14
	v_cmp_gt_i16_sdwa s[6:7], v21, s4 src0_sel:BYTE_0 src1_sel:DWORD
	s_mov_b64 s[4:5], 0
	s_and_saveexec_b64 s[8:9], s[6:7]
	s_xor_b64 s[6:7], exec, s[8:9]
	s_cbranch_execnz .LBB49_3593
; %bb.1545:
	s_or_saveexec_b64 s[6:7], s[6:7]
	v_mov_b32_e32 v20, s10
	s_xor_b64 exec, exec, s[6:7]
	s_cbranch_execnz .LBB49_3596
.LBB49_1546:
	s_or_b64 exec, exec, s[6:7]
	s_and_saveexec_b64 s[6:7], s[4:5]
	s_cbranch_execz .LBB49_1548
.LBB49_1547:
	v_bfe_u32 v20, v14, 8, 3
	v_ffbh_u32_e32 v23, v20
	v_min_u32_e32 v23, 32, v23
	v_lshrrev_b16_e32 v22, 3, v21
	v_subrev_u32_e32 v24, 28, v23
	v_and_b32_e32 v22, 15, v22
	v_lshlrev_b32_e32 v21, v24, v21
	v_sub_u32_e32 v23, 29, v23
	v_and_b32_e32 v21, 7, v21
	v_cmp_eq_u16_e32 vcc, 0, v22
	v_cndmask_b32_e32 v20, v20, v21, vcc
	v_cndmask_b32_e32 v21, v22, v23, vcc
	v_lshlrev_b32_e32 v22, 16, v14
	v_mov_b32_e32 v23, 0x3b800000
	v_lshlrev_b32_e32 v20, 20, v20
	v_and_b32_e32 v22, 0x80000000, v22
	v_lshl_add_u32 v21, v21, 23, v23
	v_or3_b32 v20, v22, v21, v20
.LBB49_1548:
	s_or_b64 exec, exec, s[6:7]
	v_lshrrev_b32_e32 v21, 8, v10
	s_movk_i32 s4, 0x7f
	v_cmp_gt_i16_sdwa s[6:7], v21, s4 src0_sel:BYTE_0 src1_sel:DWORD
	s_mov_b64 s[4:5], 0
                                        ; implicit-def: $sgpr10
	s_and_saveexec_b64 s[8:9], s[6:7]
	s_xor_b64 s[6:7], exec, s[8:9]
	s_cbranch_execnz .LBB49_3597
; %bb.1549:
	s_or_saveexec_b64 s[6:7], s[6:7]
	v_mov_b32_e32 v22, s10
	s_xor_b64 exec, exec, s[6:7]
	s_cbranch_execnz .LBB49_3600
.LBB49_1550:
	s_or_b64 exec, exec, s[6:7]
	s_and_saveexec_b64 s[6:7], s[4:5]
	s_cbranch_execz .LBB49_1552
.LBB49_1551:
	v_bfe_u32 v22, v10, 8, 3
	v_ffbh_u32_e32 v24, v22
	v_min_u32_e32 v24, 32, v24
	v_lshrrev_b16_e32 v23, 3, v21
	v_subrev_u32_e32 v25, 28, v24
	v_and_b32_e32 v23, 15, v23
	v_lshlrev_b32_e32 v21, v25, v21
	v_sub_u32_e32 v24, 29, v24
	v_and_b32_e32 v21, 7, v21
	v_cmp_eq_u16_e32 vcc, 0, v23
	v_cndmask_b32_e32 v21, v22, v21, vcc
	v_cndmask_b32_e32 v22, v23, v24, vcc
	v_lshlrev_b32_e32 v23, 16, v10
	v_mov_b32_e32 v24, 0x3b800000
	v_lshlrev_b32_e32 v21, 20, v21
	v_and_b32_e32 v23, 0x80000000, v23
	v_lshl_add_u32 v22, v22, 23, v24
	v_or3_b32 v22, v23, v22, v21
.LBB49_1552:
	s_or_b64 exec, exec, s[6:7]
	s_nop 0
	v_mfma_f32_16x16x4f32 a[0:3], v20, v22, a[0:3]
	s_movk_i32 s4, 0xff
	v_and_b32_sdwa v21, v14, s4 dst_sel:DWORD dst_unused:UNUSED_PAD src0_sel:WORD_1 src1_sel:DWORD
	s_movk_i32 s4, 0x7f
	v_cmp_lt_i16_e32 vcc, s4, v21
	s_mov_b64 s[4:5], 0
                                        ; implicit-def: $sgpr10
	s_and_saveexec_b64 s[6:7], vcc
	s_xor_b64 s[6:7], exec, s[6:7]
	s_cbranch_execnz .LBB49_3601
; %bb.1553:
	s_or_saveexec_b64 s[6:7], s[6:7]
	v_mov_b32_e32 v20, s10
	s_xor_b64 exec, exec, s[6:7]
	s_cbranch_execnz .LBB49_3604
.LBB49_1554:
	s_or_b64 exec, exec, s[6:7]
	s_and_saveexec_b64 s[6:7], s[4:5]
	s_cbranch_execz .LBB49_1556
.LBB49_1555:
	v_bfe_u32 v20, v14, 16, 3
	v_ffbh_u32_e32 v23, v20
	v_min_u32_e32 v23, 32, v23
	v_lshrrev_b32_e32 v21, 19, v14
	v_subrev_u32_e32 v24, 28, v23
	v_and_b32_e32 v21, 15, v21
	v_lshlrev_b32_sdwa v24, v24, v14 dst_sel:DWORD dst_unused:UNUSED_PAD src0_sel:DWORD src1_sel:WORD_1
	v_bfe_u32 v22, v14, 19, 4
	v_sub_u32_e32 v23, 29, v23
	v_and_b32_e32 v24, 7, v24
	v_cmp_eq_u16_e32 vcc, 0, v21
	v_cndmask_b32_e32 v20, v20, v24, vcc
	v_cndmask_b32_e32 v21, v22, v23, vcc
	v_lshlrev_b32_e32 v22, 8, v14
	v_mov_b32_e32 v23, 0x3b800000
	v_lshlrev_b32_e32 v20, 20, v20
	v_and_b32_e32 v22, 0x80000000, v22
	v_lshl_add_u32 v21, v21, 23, v23
	v_or3_b32 v20, v22, v21, v20
.LBB49_1556:
	s_or_b64 exec, exec, s[6:7]
	s_movk_i32 s4, 0xff
	v_and_b32_sdwa v21, v10, s4 dst_sel:DWORD dst_unused:UNUSED_PAD src0_sel:WORD_1 src1_sel:DWORD
	s_movk_i32 s4, 0x7f
	v_cmp_lt_i16_e32 vcc, s4, v21
	s_mov_b64 s[4:5], 0
                                        ; implicit-def: $sgpr10
	s_and_saveexec_b64 s[6:7], vcc
	s_xor_b64 s[6:7], exec, s[6:7]
	s_cbranch_execnz .LBB49_3605
; %bb.1557:
	s_or_saveexec_b64 s[6:7], s[6:7]
	v_mov_b32_e32 v22, s10
	s_xor_b64 exec, exec, s[6:7]
	s_cbranch_execnz .LBB49_3608
.LBB49_1558:
	s_or_b64 exec, exec, s[6:7]
	s_and_saveexec_b64 s[6:7], s[4:5]
	s_cbranch_execz .LBB49_1560
.LBB49_1559:
	v_bfe_u32 v21, v10, 16, 3
	v_ffbh_u32_e32 v24, v21
	v_min_u32_e32 v24, 32, v24
	v_lshrrev_b32_e32 v22, 19, v10
	v_subrev_u32_e32 v25, 28, v24
	v_and_b32_e32 v22, 15, v22
	v_lshlrev_b32_sdwa v25, v25, v10 dst_sel:DWORD dst_unused:UNUSED_PAD src0_sel:DWORD src1_sel:WORD_1
	v_bfe_u32 v23, v10, 19, 4
	v_sub_u32_e32 v24, 29, v24
	v_and_b32_e32 v25, 7, v25
	v_cmp_eq_u16_e32 vcc, 0, v22
	v_cndmask_b32_e32 v21, v21, v25, vcc
	v_cndmask_b32_e32 v22, v23, v24, vcc
	v_lshlrev_b32_e32 v23, 8, v10
	v_mov_b32_e32 v24, 0x3b800000
	v_lshlrev_b32_e32 v21, 20, v21
	v_and_b32_e32 v23, 0x80000000, v23
	v_lshl_add_u32 v22, v22, 23, v24
	v_or3_b32 v22, v23, v22, v21
.LBB49_1560:
	s_or_b64 exec, exec, s[6:7]
	s_nop 0
	v_mfma_f32_16x16x4f32 a[0:3], v20, v22, a[0:3]
	s_movk_i32 s4, 0x7f
	v_cmp_gt_i16_sdwa s[6:7], v14, s4 src0_sel:BYTE_3 src1_sel:DWORD
	s_mov_b64 s[4:5], 0
                                        ; implicit-def: $sgpr10
	s_and_saveexec_b64 s[8:9], s[6:7]
	s_xor_b64 s[6:7], exec, s[8:9]
	s_cbranch_execnz .LBB49_3609
; %bb.1561:
	s_or_saveexec_b64 s[6:7], s[6:7]
	v_mov_b32_e32 v20, s10
	s_xor_b64 exec, exec, s[6:7]
	s_cbranch_execnz .LBB49_3612
.LBB49_1562:
	s_or_b64 exec, exec, s[6:7]
	s_and_saveexec_b64 s[6:7], s[4:5]
	s_cbranch_execz .LBB49_1564
.LBB49_1563:
	v_bfe_u32 v20, v14, 24, 3
	v_ffbh_u32_e32 v24, v20
	v_min_u32_e32 v24, 32, v24
	v_lshrrev_b32_e32 v22, 27, v14
	v_subrev_u32_e32 v25, 28, v24
	v_and_b32_e32 v21, 0x80000000, v14
	v_and_b32_e32 v22, 15, v22
	v_bfe_u32 v23, v14, 27, 4
	v_lshlrev_b32_sdwa v14, v25, v14 dst_sel:DWORD dst_unused:UNUSED_PAD src0_sel:DWORD src1_sel:BYTE_3
	v_sub_u32_e32 v24, 29, v24
	v_and_b32_e32 v14, 7, v14
	v_cmp_eq_u16_e32 vcc, 0, v22
	v_cndmask_b32_e32 v14, v20, v14, vcc
	v_cndmask_b32_e32 v20, v23, v24, vcc
	v_mov_b32_e32 v22, 0x3b800000
	v_lshlrev_b32_e32 v14, 20, v14
	v_lshl_add_u32 v20, v20, 23, v22
	v_or3_b32 v20, v21, v20, v14
.LBB49_1564:
	s_or_b64 exec, exec, s[6:7]
	s_movk_i32 s4, 0x7f
	v_cmp_gt_i16_sdwa s[6:7], v10, s4 src0_sel:BYTE_3 src1_sel:DWORD
	s_mov_b64 s[4:5], 0
                                        ; implicit-def: $sgpr10
	s_and_saveexec_b64 s[8:9], s[6:7]
	s_xor_b64 s[6:7], exec, s[8:9]
	s_cbranch_execnz .LBB49_3613
; %bb.1565:
	s_or_saveexec_b64 s[6:7], s[6:7]
	v_mov_b32_e32 v14, s10
	s_xor_b64 exec, exec, s[6:7]
	s_cbranch_execnz .LBB49_3616
.LBB49_1566:
	s_or_b64 exec, exec, s[6:7]
	s_and_saveexec_b64 s[6:7], s[4:5]
	s_cbranch_execz .LBB49_1568
.LBB49_1567:
	v_bfe_u32 v14, v10, 24, 3
	v_ffbh_u32_e32 v24, v14
	v_min_u32_e32 v24, 32, v24
	v_lshrrev_b32_e32 v22, 27, v10
	v_subrev_u32_e32 v25, 28, v24
	v_and_b32_e32 v21, 0x80000000, v10
	v_and_b32_e32 v22, 15, v22
	v_bfe_u32 v23, v10, 27, 4
	v_lshlrev_b32_sdwa v10, v25, v10 dst_sel:DWORD dst_unused:UNUSED_PAD src0_sel:DWORD src1_sel:BYTE_3
	v_sub_u32_e32 v24, 29, v24
	v_and_b32_e32 v10, 7, v10
	v_cmp_eq_u16_e32 vcc, 0, v22
	v_cndmask_b32_e32 v10, v14, v10, vcc
	v_cndmask_b32_e32 v14, v23, v24, vcc
	v_mov_b32_e32 v22, 0x3b800000
	v_lshlrev_b32_e32 v10, 20, v10
	v_lshl_add_u32 v14, v14, 23, v22
	v_or3_b32 v14, v21, v14, v10
.LBB49_1568:
	s_or_b64 exec, exec, s[6:7]
	s_nop 0
	v_mfma_f32_16x16x4f32 a[0:3], v20, v14, a[0:3]
	s_movk_i32 s4, 0x7f
	v_cmp_gt_i16_sdwa s[6:7], v15, s4 src0_sel:BYTE_0 src1_sel:DWORD
	s_mov_b64 s[4:5], 0
                                        ; implicit-def: $sgpr10
	s_and_saveexec_b64 s[8:9], s[6:7]
	s_xor_b64 s[6:7], exec, s[8:9]
	s_cbranch_execnz .LBB49_3617
; %bb.1569:
	s_or_saveexec_b64 s[6:7], s[6:7]
	v_mov_b32_e32 v10, s10
	s_xor_b64 exec, exec, s[6:7]
	s_cbranch_execnz .LBB49_3620
.LBB49_1570:
	s_or_b64 exec, exec, s[6:7]
	s_and_saveexec_b64 s[6:7], s[4:5]
	s_cbranch_execz .LBB49_1572
.LBB49_1571:
	v_and_b32_e32 v10, 7, v15
	v_ffbh_u32_e32 v20, v10
	v_min_u32_e32 v20, 32, v20
	v_lshrrev_b16_e32 v14, 3, v15
	v_subrev_u32_e32 v21, 28, v20
	v_and_b32_e32 v14, 15, v14
	v_lshlrev_b32_e32 v21, v21, v15
	v_sub_u32_e32 v20, 29, v20
	v_and_b32_e32 v21, 7, v21
	v_cmp_eq_u16_e32 vcc, 0, v14
	v_cndmask_b32_e32 v10, v10, v21, vcc
	v_cndmask_b32_e32 v14, v14, v20, vcc
	v_lshlrev_b32_e32 v20, 24, v15
	v_mov_b32_e32 v21, 0x3b800000
	v_lshlrev_b32_e32 v10, 20, v10
	v_and_b32_e32 v20, 0x80000000, v20
	v_lshl_add_u32 v14, v14, 23, v21
	v_or3_b32 v10, v20, v14, v10
.LBB49_1572:
	s_or_b64 exec, exec, s[6:7]
	s_movk_i32 s4, 0x7f
	v_cmp_gt_i16_sdwa s[6:7], v11, s4 src0_sel:BYTE_0 src1_sel:DWORD
	s_mov_b64 s[4:5], 0
                                        ; implicit-def: $sgpr10
	s_and_saveexec_b64 s[8:9], s[6:7]
	s_xor_b64 s[6:7], exec, s[8:9]
	s_cbranch_execnz .LBB49_3621
; %bb.1573:
	s_or_saveexec_b64 s[6:7], s[6:7]
	v_mov_b32_e32 v14, s10
	s_xor_b64 exec, exec, s[6:7]
	s_cbranch_execnz .LBB49_3624
.LBB49_1574:
	s_or_b64 exec, exec, s[6:7]
	s_and_saveexec_b64 s[6:7], s[4:5]
	s_cbranch_execz .LBB49_1576
.LBB49_1575:
	v_and_b32_e32 v14, 7, v11
	v_ffbh_u32_e32 v21, v14
	v_min_u32_e32 v21, 32, v21
	v_lshrrev_b16_e32 v20, 3, v11
	v_subrev_u32_e32 v22, 28, v21
	v_and_b32_e32 v20, 15, v20
	v_lshlrev_b32_e32 v22, v22, v11
	v_sub_u32_e32 v21, 29, v21
	v_and_b32_e32 v22, 7, v22
	v_cmp_eq_u16_e32 vcc, 0, v20
	v_cndmask_b32_e32 v14, v14, v22, vcc
	v_cndmask_b32_e32 v20, v20, v21, vcc
	v_lshlrev_b32_e32 v21, 24, v11
	v_mov_b32_e32 v22, 0x3b800000
	v_lshlrev_b32_e32 v14, 20, v14
	v_and_b32_e32 v21, 0x80000000, v21
	v_lshl_add_u32 v20, v20, 23, v22
	v_or3_b32 v14, v21, v20, v14
.LBB49_1576:
	s_or_b64 exec, exec, s[6:7]
	s_nop 0
	v_mfma_f32_16x16x4f32 a[0:3], v10, v14, a[0:3]
	v_lshrrev_b32_e32 v14, 8, v15
	s_movk_i32 s4, 0x7f
	v_cmp_gt_i16_sdwa s[6:7], v14, s4 src0_sel:BYTE_0 src1_sel:DWORD
	s_mov_b64 s[4:5], 0
                                        ; implicit-def: $sgpr10
	s_and_saveexec_b64 s[8:9], s[6:7]
	s_xor_b64 s[6:7], exec, s[8:9]
	s_cbranch_execnz .LBB49_3625
; %bb.1577:
	s_or_saveexec_b64 s[6:7], s[6:7]
	v_mov_b32_e32 v10, s10
	s_xor_b64 exec, exec, s[6:7]
	s_cbranch_execnz .LBB49_3628
.LBB49_1578:
	s_or_b64 exec, exec, s[6:7]
	s_and_saveexec_b64 s[6:7], s[4:5]
	s_cbranch_execz .LBB49_1580
.LBB49_1579:
	v_bfe_u32 v10, v15, 8, 3
	v_ffbh_u32_e32 v21, v10
	v_min_u32_e32 v21, 32, v21
	v_lshrrev_b16_e32 v20, 3, v14
	v_subrev_u32_e32 v22, 28, v21
	v_and_b32_e32 v20, 15, v20
	v_lshlrev_b32_e32 v14, v22, v14
	v_sub_u32_e32 v21, 29, v21
	v_and_b32_e32 v14, 7, v14
	v_cmp_eq_u16_e32 vcc, 0, v20
	v_cndmask_b32_e32 v10, v10, v14, vcc
	v_cndmask_b32_e32 v14, v20, v21, vcc
	v_lshlrev_b32_e32 v20, 16, v15
	v_mov_b32_e32 v21, 0x3b800000
	v_lshlrev_b32_e32 v10, 20, v10
	v_and_b32_e32 v20, 0x80000000, v20
	v_lshl_add_u32 v14, v14, 23, v21
	v_or3_b32 v10, v20, v14, v10
.LBB49_1580:
	s_or_b64 exec, exec, s[6:7]
	v_lshrrev_b32_e32 v14, 8, v11
	s_movk_i32 s4, 0x7f
	v_cmp_gt_i16_sdwa s[6:7], v14, s4 src0_sel:BYTE_0 src1_sel:DWORD
	s_mov_b64 s[4:5], 0
                                        ; implicit-def: $sgpr10
	s_and_saveexec_b64 s[8:9], s[6:7]
	s_xor_b64 s[6:7], exec, s[8:9]
	s_cbranch_execnz .LBB49_3629
; %bb.1581:
	s_or_saveexec_b64 s[6:7], s[6:7]
	v_mov_b32_e32 v20, s10
	s_xor_b64 exec, exec, s[6:7]
	s_cbranch_execnz .LBB49_3632
.LBB49_1582:
	s_or_b64 exec, exec, s[6:7]
	s_and_saveexec_b64 s[6:7], s[4:5]
	s_cbranch_execz .LBB49_1584
.LBB49_1583:
	v_bfe_u32 v20, v11, 8, 3
	v_ffbh_u32_e32 v22, v20
	v_min_u32_e32 v22, 32, v22
	v_lshrrev_b16_e32 v21, 3, v14
	v_subrev_u32_e32 v23, 28, v22
	v_and_b32_e32 v21, 15, v21
	v_lshlrev_b32_e32 v14, v23, v14
	v_sub_u32_e32 v22, 29, v22
	v_and_b32_e32 v14, 7, v14
	v_cmp_eq_u16_e32 vcc, 0, v21
	v_cndmask_b32_e32 v14, v20, v14, vcc
	v_cndmask_b32_e32 v20, v21, v22, vcc
	v_lshlrev_b32_e32 v21, 16, v11
	v_mov_b32_e32 v22, 0x3b800000
	v_lshlrev_b32_e32 v14, 20, v14
	v_and_b32_e32 v21, 0x80000000, v21
	v_lshl_add_u32 v20, v20, 23, v22
	v_or3_b32 v20, v21, v20, v14
.LBB49_1584:
	s_or_b64 exec, exec, s[6:7]
	s_nop 0
	v_mfma_f32_16x16x4f32 a[0:3], v10, v20, a[0:3]
	s_movk_i32 s4, 0xff
	v_and_b32_sdwa v14, v15, s4 dst_sel:DWORD dst_unused:UNUSED_PAD src0_sel:WORD_1 src1_sel:DWORD
	s_movk_i32 s4, 0x7f
	v_cmp_lt_i16_e32 vcc, s4, v14
	s_mov_b64 s[4:5], 0
                                        ; implicit-def: $sgpr10
	s_and_saveexec_b64 s[6:7], vcc
	s_xor_b64 s[6:7], exec, s[6:7]
	s_cbranch_execnz .LBB49_3633
; %bb.1585:
	s_or_saveexec_b64 s[6:7], s[6:7]
	v_mov_b32_e32 v10, s10
	s_xor_b64 exec, exec, s[6:7]
	s_cbranch_execnz .LBB49_3636
.LBB49_1586:
	s_or_b64 exec, exec, s[6:7]
	s_and_saveexec_b64 s[6:7], s[4:5]
	s_cbranch_execz .LBB49_1588
.LBB49_1587:
	v_bfe_u32 v10, v15, 16, 3
	v_ffbh_u32_e32 v21, v10
	v_min_u32_e32 v21, 32, v21
	v_lshrrev_b32_e32 v14, 19, v15
	v_subrev_u32_e32 v22, 28, v21
	v_and_b32_e32 v14, 15, v14
	v_lshlrev_b32_sdwa v22, v22, v15 dst_sel:DWORD dst_unused:UNUSED_PAD src0_sel:DWORD src1_sel:WORD_1
	v_bfe_u32 v20, v15, 19, 4
	v_sub_u32_e32 v21, 29, v21
	v_and_b32_e32 v22, 7, v22
	v_cmp_eq_u16_e32 vcc, 0, v14
	v_cndmask_b32_e32 v10, v10, v22, vcc
	v_cndmask_b32_e32 v14, v20, v21, vcc
	v_lshlrev_b32_e32 v20, 8, v15
	v_mov_b32_e32 v21, 0x3b800000
	v_lshlrev_b32_e32 v10, 20, v10
	v_and_b32_e32 v20, 0x80000000, v20
	v_lshl_add_u32 v14, v14, 23, v21
	v_or3_b32 v10, v20, v14, v10
.LBB49_1588:
	s_or_b64 exec, exec, s[6:7]
	s_movk_i32 s4, 0xff
	v_and_b32_sdwa v14, v11, s4 dst_sel:DWORD dst_unused:UNUSED_PAD src0_sel:WORD_1 src1_sel:DWORD
	s_movk_i32 s4, 0x7f
	v_cmp_lt_i16_e32 vcc, s4, v14
	s_mov_b64 s[4:5], 0
                                        ; implicit-def: $sgpr10
	s_and_saveexec_b64 s[6:7], vcc
	s_xor_b64 s[6:7], exec, s[6:7]
	s_cbranch_execnz .LBB49_3637
; %bb.1589:
	s_or_saveexec_b64 s[6:7], s[6:7]
	v_mov_b32_e32 v20, s10
	s_xor_b64 exec, exec, s[6:7]
	s_cbranch_execnz .LBB49_3640
.LBB49_1590:
	s_or_b64 exec, exec, s[6:7]
	s_and_saveexec_b64 s[6:7], s[4:5]
	s_cbranch_execz .LBB49_1592
.LBB49_1591:
	v_bfe_u32 v14, v11, 16, 3
	v_ffbh_u32_e32 v22, v14
	v_min_u32_e32 v22, 32, v22
	v_lshrrev_b32_e32 v20, 19, v11
	v_subrev_u32_e32 v23, 28, v22
	v_and_b32_e32 v20, 15, v20
	v_lshlrev_b32_sdwa v23, v23, v11 dst_sel:DWORD dst_unused:UNUSED_PAD src0_sel:DWORD src1_sel:WORD_1
	v_bfe_u32 v21, v11, 19, 4
	v_sub_u32_e32 v22, 29, v22
	v_and_b32_e32 v23, 7, v23
	v_cmp_eq_u16_e32 vcc, 0, v20
	v_cndmask_b32_e32 v14, v14, v23, vcc
	v_cndmask_b32_e32 v20, v21, v22, vcc
	v_lshlrev_b32_e32 v21, 8, v11
	v_mov_b32_e32 v22, 0x3b800000
	v_lshlrev_b32_e32 v14, 20, v14
	v_and_b32_e32 v21, 0x80000000, v21
	v_lshl_add_u32 v20, v20, 23, v22
	v_or3_b32 v20, v21, v20, v14
.LBB49_1592:
	s_or_b64 exec, exec, s[6:7]
	s_nop 0
	v_mfma_f32_16x16x4f32 a[0:3], v10, v20, a[0:3]
	s_movk_i32 s4, 0x7f
	v_cmp_gt_i16_sdwa s[6:7], v15, s4 src0_sel:BYTE_3 src1_sel:DWORD
	s_mov_b64 s[4:5], 0
                                        ; implicit-def: $sgpr10
	s_and_saveexec_b64 s[8:9], s[6:7]
	s_xor_b64 s[6:7], exec, s[8:9]
	s_cbranch_execnz .LBB49_3641
; %bb.1593:
	s_or_saveexec_b64 s[6:7], s[6:7]
	v_mov_b32_e32 v10, s10
	s_xor_b64 exec, exec, s[6:7]
	s_cbranch_execnz .LBB49_3644
.LBB49_1594:
	s_or_b64 exec, exec, s[6:7]
	s_and_saveexec_b64 s[6:7], s[4:5]
	s_cbranch_execz .LBB49_1596
.LBB49_1595:
	v_bfe_u32 v10, v15, 24, 3
	v_ffbh_u32_e32 v22, v10
	v_min_u32_e32 v22, 32, v22
	v_lshrrev_b32_e32 v20, 27, v15
	v_subrev_u32_e32 v23, 28, v22
	v_and_b32_e32 v14, 0x80000000, v15
	v_and_b32_e32 v20, 15, v20
	v_bfe_u32 v21, v15, 27, 4
	v_lshlrev_b32_sdwa v15, v23, v15 dst_sel:DWORD dst_unused:UNUSED_PAD src0_sel:DWORD src1_sel:BYTE_3
	v_sub_u32_e32 v22, 29, v22
	v_and_b32_e32 v15, 7, v15
	v_cmp_eq_u16_e32 vcc, 0, v20
	v_cndmask_b32_e32 v10, v10, v15, vcc
	v_cndmask_b32_e32 v15, v21, v22, vcc
	v_mov_b32_e32 v20, 0x3b800000
	v_lshlrev_b32_e32 v10, 20, v10
	v_lshl_add_u32 v15, v15, 23, v20
	v_or3_b32 v10, v14, v15, v10
.LBB49_1596:
	s_or_b64 exec, exec, s[6:7]
	s_movk_i32 s4, 0x7f
	v_cmp_gt_i16_sdwa s[6:7], v11, s4 src0_sel:BYTE_3 src1_sel:DWORD
	s_mov_b64 s[4:5], 0
                                        ; implicit-def: $sgpr10
	s_and_saveexec_b64 s[8:9], s[6:7]
	s_xor_b64 s[6:7], exec, s[8:9]
	s_cbranch_execnz .LBB49_3645
; %bb.1597:
	s_or_saveexec_b64 s[6:7], s[6:7]
	v_mov_b32_e32 v14, s10
	s_xor_b64 exec, exec, s[6:7]
	s_cbranch_execnz .LBB49_3648
.LBB49_1598:
	s_or_b64 exec, exec, s[6:7]
	s_and_saveexec_b64 s[6:7], s[4:5]
	s_cbranch_execz .LBB49_1600
.LBB49_1599:
	v_bfe_u32 v14, v11, 24, 3
	v_ffbh_u32_e32 v22, v14
	v_min_u32_e32 v22, 32, v22
	v_lshrrev_b32_e32 v20, 27, v11
	v_subrev_u32_e32 v23, 28, v22
	v_and_b32_e32 v15, 0x80000000, v11
	v_and_b32_e32 v20, 15, v20
	v_bfe_u32 v21, v11, 27, 4
	v_lshlrev_b32_sdwa v11, v23, v11 dst_sel:DWORD dst_unused:UNUSED_PAD src0_sel:DWORD src1_sel:BYTE_3
	v_sub_u32_e32 v22, 29, v22
	v_and_b32_e32 v11, 7, v11
	v_cmp_eq_u16_e32 vcc, 0, v20
	v_cndmask_b32_e32 v11, v14, v11, vcc
	v_cndmask_b32_e32 v14, v21, v22, vcc
	v_mov_b32_e32 v20, 0x3b800000
	v_lshlrev_b32_e32 v11, 20, v11
	v_lshl_add_u32 v14, v14, 23, v20
	v_or3_b32 v14, v15, v14, v11
.LBB49_1600:
	s_or_b64 exec, exec, s[6:7]
	s_nop 0
	v_mfma_f32_16x16x4f32 a[0:3], v10, v14, a[0:3]
	s_movk_i32 s4, 0x7f
	v_cmp_gt_i16_sdwa s[6:7], v16, s4 src0_sel:BYTE_0 src1_sel:DWORD
	s_mov_b64 s[4:5], 0
                                        ; implicit-def: $sgpr10
	s_and_saveexec_b64 s[8:9], s[6:7]
	s_xor_b64 s[6:7], exec, s[8:9]
	s_cbranch_execnz .LBB49_3649
; %bb.1601:
	s_or_saveexec_b64 s[6:7], s[6:7]
	v_mov_b32_e32 v10, s10
	s_xor_b64 exec, exec, s[6:7]
	s_cbranch_execnz .LBB49_3652
.LBB49_1602:
	s_or_b64 exec, exec, s[6:7]
	s_and_saveexec_b64 s[6:7], s[4:5]
	s_cbranch_execz .LBB49_1604
.LBB49_1603:
	v_and_b32_e32 v10, 7, v16
	v_ffbh_u32_e32 v14, v10
	v_min_u32_e32 v14, 32, v14
	v_lshrrev_b16_e32 v11, 3, v16
	v_subrev_u32_e32 v15, 28, v14
	v_and_b32_e32 v11, 15, v11
	v_lshlrev_b32_e32 v15, v15, v16
	v_sub_u32_e32 v14, 29, v14
	v_and_b32_e32 v15, 7, v15
	v_cmp_eq_u16_e32 vcc, 0, v11
	v_cndmask_b32_e32 v10, v10, v15, vcc
	v_cndmask_b32_e32 v11, v11, v14, vcc
	v_lshlrev_b32_e32 v14, 24, v16
	v_mov_b32_e32 v15, 0x3b800000
	v_lshlrev_b32_e32 v10, 20, v10
	v_and_b32_e32 v14, 0x80000000, v14
	v_lshl_add_u32 v11, v11, 23, v15
	v_or3_b32 v10, v14, v11, v10
.LBB49_1604:
	s_or_b64 exec, exec, s[6:7]
	s_movk_i32 s4, 0x7f
	v_cmp_gt_i16_sdwa s[6:7], v12, s4 src0_sel:BYTE_0 src1_sel:DWORD
	s_mov_b64 s[4:5], 0
                                        ; implicit-def: $sgpr10
	s_and_saveexec_b64 s[8:9], s[6:7]
	s_xor_b64 s[6:7], exec, s[8:9]
	s_cbranch_execnz .LBB49_3653
; %bb.1605:
	s_or_saveexec_b64 s[6:7], s[6:7]
	v_mov_b32_e32 v11, s10
	s_xor_b64 exec, exec, s[6:7]
	s_cbranch_execnz .LBB49_3656
.LBB49_1606:
	s_or_b64 exec, exec, s[6:7]
	s_and_saveexec_b64 s[6:7], s[4:5]
	s_cbranch_execz .LBB49_1608
.LBB49_1607:
	v_and_b32_e32 v11, 7, v12
	v_ffbh_u32_e32 v15, v11
	v_min_u32_e32 v15, 32, v15
	v_lshrrev_b16_e32 v14, 3, v12
	v_subrev_u32_e32 v20, 28, v15
	v_and_b32_e32 v14, 15, v14
	v_lshlrev_b32_e32 v20, v20, v12
	v_sub_u32_e32 v15, 29, v15
	v_and_b32_e32 v20, 7, v20
	v_cmp_eq_u16_e32 vcc, 0, v14
	v_cndmask_b32_e32 v11, v11, v20, vcc
	v_cndmask_b32_e32 v14, v14, v15, vcc
	v_lshlrev_b32_e32 v15, 24, v12
	v_mov_b32_e32 v20, 0x3b800000
	v_lshlrev_b32_e32 v11, 20, v11
	v_and_b32_e32 v15, 0x80000000, v15
	v_lshl_add_u32 v14, v14, 23, v20
	v_or3_b32 v11, v15, v14, v11
.LBB49_1608:
	s_or_b64 exec, exec, s[6:7]
	s_nop 0
	v_mfma_f32_16x16x4f32 a[0:3], v10, v11, a[0:3]
	v_lshrrev_b32_e32 v11, 8, v16
	s_movk_i32 s4, 0x7f
	v_cmp_gt_i16_sdwa s[6:7], v11, s4 src0_sel:BYTE_0 src1_sel:DWORD
	s_mov_b64 s[4:5], 0
                                        ; implicit-def: $sgpr10
	s_and_saveexec_b64 s[8:9], s[6:7]
	s_xor_b64 s[6:7], exec, s[8:9]
	s_cbranch_execnz .LBB49_3657
; %bb.1609:
	s_or_saveexec_b64 s[6:7], s[6:7]
	v_mov_b32_e32 v10, s10
	s_xor_b64 exec, exec, s[6:7]
	s_cbranch_execnz .LBB49_3660
.LBB49_1610:
	s_or_b64 exec, exec, s[6:7]
	s_and_saveexec_b64 s[6:7], s[4:5]
	s_cbranch_execz .LBB49_1612
.LBB49_1611:
	v_bfe_u32 v10, v16, 8, 3
	v_ffbh_u32_e32 v15, v10
	v_min_u32_e32 v15, 32, v15
	v_lshrrev_b16_e32 v14, 3, v11
	v_subrev_u32_e32 v20, 28, v15
	v_and_b32_e32 v14, 15, v14
	v_lshlrev_b32_e32 v11, v20, v11
	v_sub_u32_e32 v15, 29, v15
	v_and_b32_e32 v11, 7, v11
	v_cmp_eq_u16_e32 vcc, 0, v14
	v_cndmask_b32_e32 v10, v10, v11, vcc
	v_cndmask_b32_e32 v11, v14, v15, vcc
	v_lshlrev_b32_e32 v14, 16, v16
	v_mov_b32_e32 v15, 0x3b800000
	v_lshlrev_b32_e32 v10, 20, v10
	v_and_b32_e32 v14, 0x80000000, v14
	v_lshl_add_u32 v11, v11, 23, v15
	v_or3_b32 v10, v14, v11, v10
.LBB49_1612:
	s_or_b64 exec, exec, s[6:7]
	v_lshrrev_b32_e32 v11, 8, v12
	s_movk_i32 s4, 0x7f
	v_cmp_gt_i16_sdwa s[6:7], v11, s4 src0_sel:BYTE_0 src1_sel:DWORD
	s_mov_b64 s[4:5], 0
                                        ; implicit-def: $sgpr10
	s_and_saveexec_b64 s[8:9], s[6:7]
	s_xor_b64 s[6:7], exec, s[8:9]
	s_cbranch_execnz .LBB49_3661
; %bb.1613:
	s_or_saveexec_b64 s[6:7], s[6:7]
	v_mov_b32_e32 v14, s10
	s_xor_b64 exec, exec, s[6:7]
	s_cbranch_execnz .LBB49_3664
.LBB49_1614:
	s_or_b64 exec, exec, s[6:7]
	s_and_saveexec_b64 s[6:7], s[4:5]
	s_cbranch_execz .LBB49_1616
.LBB49_1615:
	v_bfe_u32 v14, v12, 8, 3
	v_ffbh_u32_e32 v20, v14
	v_min_u32_e32 v20, 32, v20
	v_lshrrev_b16_e32 v15, 3, v11
	v_subrev_u32_e32 v21, 28, v20
	v_and_b32_e32 v15, 15, v15
	v_lshlrev_b32_e32 v11, v21, v11
	v_sub_u32_e32 v20, 29, v20
	v_and_b32_e32 v11, 7, v11
	v_cmp_eq_u16_e32 vcc, 0, v15
	v_cndmask_b32_e32 v11, v14, v11, vcc
	v_cndmask_b32_e32 v14, v15, v20, vcc
	v_lshlrev_b32_e32 v15, 16, v12
	v_mov_b32_e32 v20, 0x3b800000
	v_lshlrev_b32_e32 v11, 20, v11
	v_and_b32_e32 v15, 0x80000000, v15
	v_lshl_add_u32 v14, v14, 23, v20
	v_or3_b32 v14, v15, v14, v11
.LBB49_1616:
	s_or_b64 exec, exec, s[6:7]
	s_nop 0
	v_mfma_f32_16x16x4f32 a[0:3], v10, v14, a[0:3]
	s_movk_i32 s4, 0xff
	v_and_b32_sdwa v11, v16, s4 dst_sel:DWORD dst_unused:UNUSED_PAD src0_sel:WORD_1 src1_sel:DWORD
	s_movk_i32 s4, 0x7f
	v_cmp_lt_i16_e32 vcc, s4, v11
	s_mov_b64 s[4:5], 0
                                        ; implicit-def: $sgpr10
	s_and_saveexec_b64 s[6:7], vcc
	s_xor_b64 s[6:7], exec, s[6:7]
	s_cbranch_execnz .LBB49_3665
; %bb.1617:
	s_or_saveexec_b64 s[6:7], s[6:7]
	v_mov_b32_e32 v10, s10
	s_xor_b64 exec, exec, s[6:7]
	s_cbranch_execnz .LBB49_3668
.LBB49_1618:
	s_or_b64 exec, exec, s[6:7]
	s_and_saveexec_b64 s[6:7], s[4:5]
	s_cbranch_execz .LBB49_1620
.LBB49_1619:
	v_bfe_u32 v10, v16, 16, 3
	v_ffbh_u32_e32 v15, v10
	v_min_u32_e32 v15, 32, v15
	v_lshrrev_b32_e32 v11, 19, v16
	v_subrev_u32_e32 v20, 28, v15
	v_and_b32_e32 v11, 15, v11
	v_lshlrev_b32_sdwa v20, v20, v16 dst_sel:DWORD dst_unused:UNUSED_PAD src0_sel:DWORD src1_sel:WORD_1
	v_bfe_u32 v14, v16, 19, 4
	v_sub_u32_e32 v15, 29, v15
	v_and_b32_e32 v20, 7, v20
	v_cmp_eq_u16_e32 vcc, 0, v11
	v_cndmask_b32_e32 v10, v10, v20, vcc
	v_cndmask_b32_e32 v11, v14, v15, vcc
	v_lshlrev_b32_e32 v14, 8, v16
	v_mov_b32_e32 v15, 0x3b800000
	v_lshlrev_b32_e32 v10, 20, v10
	v_and_b32_e32 v14, 0x80000000, v14
	v_lshl_add_u32 v11, v11, 23, v15
	v_or3_b32 v10, v14, v11, v10
.LBB49_1620:
	s_or_b64 exec, exec, s[6:7]
	s_movk_i32 s4, 0xff
	v_and_b32_sdwa v11, v12, s4 dst_sel:DWORD dst_unused:UNUSED_PAD src0_sel:WORD_1 src1_sel:DWORD
	s_movk_i32 s4, 0x7f
	v_cmp_lt_i16_e32 vcc, s4, v11
	s_mov_b64 s[4:5], 0
                                        ; implicit-def: $sgpr10
	s_and_saveexec_b64 s[6:7], vcc
	s_xor_b64 s[6:7], exec, s[6:7]
	s_cbranch_execnz .LBB49_3669
; %bb.1621:
	s_or_saveexec_b64 s[6:7], s[6:7]
	v_mov_b32_e32 v14, s10
	s_xor_b64 exec, exec, s[6:7]
	s_cbranch_execnz .LBB49_3672
.LBB49_1622:
	s_or_b64 exec, exec, s[6:7]
	s_and_saveexec_b64 s[6:7], s[4:5]
	s_cbranch_execz .LBB49_1624
.LBB49_1623:
	v_bfe_u32 v11, v12, 16, 3
	v_ffbh_u32_e32 v20, v11
	v_min_u32_e32 v20, 32, v20
	v_lshrrev_b32_e32 v14, 19, v12
	v_subrev_u32_e32 v21, 28, v20
	v_and_b32_e32 v14, 15, v14
	v_lshlrev_b32_sdwa v21, v21, v12 dst_sel:DWORD dst_unused:UNUSED_PAD src0_sel:DWORD src1_sel:WORD_1
	v_bfe_u32 v15, v12, 19, 4
	v_sub_u32_e32 v20, 29, v20
	v_and_b32_e32 v21, 7, v21
	v_cmp_eq_u16_e32 vcc, 0, v14
	v_cndmask_b32_e32 v11, v11, v21, vcc
	v_cndmask_b32_e32 v14, v15, v20, vcc
	v_lshlrev_b32_e32 v15, 8, v12
	v_mov_b32_e32 v20, 0x3b800000
	v_lshlrev_b32_e32 v11, 20, v11
	v_and_b32_e32 v15, 0x80000000, v15
	v_lshl_add_u32 v14, v14, 23, v20
	v_or3_b32 v14, v15, v14, v11
.LBB49_1624:
	s_or_b64 exec, exec, s[6:7]
	s_nop 0
	v_mfma_f32_16x16x4f32 a[0:3], v10, v14, a[0:3]
	s_movk_i32 s4, 0x7f
	v_cmp_gt_i16_sdwa s[6:7], v16, s4 src0_sel:BYTE_3 src1_sel:DWORD
	s_mov_b64 s[4:5], 0
                                        ; implicit-def: $sgpr10
	s_and_saveexec_b64 s[8:9], s[6:7]
	s_xor_b64 s[6:7], exec, s[8:9]
	s_cbranch_execnz .LBB49_3673
; %bb.1625:
	s_or_saveexec_b64 s[6:7], s[6:7]
	v_mov_b32_e32 v10, s10
	s_xor_b64 exec, exec, s[6:7]
	s_cbranch_execnz .LBB49_3676
.LBB49_1626:
	s_or_b64 exec, exec, s[6:7]
	s_and_saveexec_b64 s[6:7], s[4:5]
	s_cbranch_execz .LBB49_1628
.LBB49_1627:
	v_bfe_u32 v10, v16, 24, 3
	v_ffbh_u32_e32 v20, v10
	v_min_u32_e32 v20, 32, v20
	v_lshrrev_b32_e32 v14, 27, v16
	v_subrev_u32_e32 v21, 28, v20
	v_and_b32_e32 v11, 0x80000000, v16
	v_and_b32_e32 v14, 15, v14
	v_bfe_u32 v15, v16, 27, 4
	v_lshlrev_b32_sdwa v16, v21, v16 dst_sel:DWORD dst_unused:UNUSED_PAD src0_sel:DWORD src1_sel:BYTE_3
	v_sub_u32_e32 v20, 29, v20
	v_and_b32_e32 v16, 7, v16
	v_cmp_eq_u16_e32 vcc, 0, v14
	v_cndmask_b32_e32 v10, v10, v16, vcc
	v_cndmask_b32_e32 v14, v15, v20, vcc
	v_mov_b32_e32 v15, 0x3b800000
	v_lshlrev_b32_e32 v10, 20, v10
	v_lshl_add_u32 v14, v14, 23, v15
	v_or3_b32 v10, v11, v14, v10
.LBB49_1628:
	s_or_b64 exec, exec, s[6:7]
	s_movk_i32 s4, 0x7f
	v_cmp_gt_i16_sdwa s[6:7], v12, s4 src0_sel:BYTE_3 src1_sel:DWORD
	s_mov_b64 s[4:5], 0
                                        ; implicit-def: $sgpr10
	s_and_saveexec_b64 s[8:9], s[6:7]
	s_xor_b64 s[6:7], exec, s[8:9]
	s_cbranch_execnz .LBB49_3677
; %bb.1629:
	s_or_saveexec_b64 s[6:7], s[6:7]
	v_mov_b32_e32 v11, s10
	s_xor_b64 exec, exec, s[6:7]
	s_cbranch_execnz .LBB49_3680
.LBB49_1630:
	s_or_b64 exec, exec, s[6:7]
	s_and_saveexec_b64 s[6:7], s[4:5]
	s_cbranch_execz .LBB49_1632
.LBB49_1631:
	v_bfe_u32 v11, v12, 24, 3
	v_ffbh_u32_e32 v20, v11
	v_min_u32_e32 v20, 32, v20
	v_lshrrev_b32_e32 v15, 27, v12
	v_subrev_u32_e32 v21, 28, v20
	v_and_b32_e32 v14, 0x80000000, v12
	v_and_b32_e32 v15, 15, v15
	v_bfe_u32 v16, v12, 27, 4
	v_lshlrev_b32_sdwa v12, v21, v12 dst_sel:DWORD dst_unused:UNUSED_PAD src0_sel:DWORD src1_sel:BYTE_3
	v_sub_u32_e32 v20, 29, v20
	v_and_b32_e32 v12, 7, v12
	v_cmp_eq_u16_e32 vcc, 0, v15
	v_cndmask_b32_e32 v11, v11, v12, vcc
	v_cndmask_b32_e32 v12, v16, v20, vcc
	v_mov_b32_e32 v15, 0x3b800000
	v_lshlrev_b32_e32 v11, 20, v11
	v_lshl_add_u32 v12, v12, 23, v15
	v_or3_b32 v11, v14, v12, v11
.LBB49_1632:
	s_or_b64 exec, exec, s[6:7]
	s_nop 0
	v_mfma_f32_16x16x4f32 a[0:3], v10, v11, a[0:3]
	s_movk_i32 s4, 0x7f
	v_cmp_gt_i16_sdwa s[6:7], v17, s4 src0_sel:BYTE_0 src1_sel:DWORD
	s_mov_b64 s[4:5], 0
                                        ; implicit-def: $sgpr10
	s_and_saveexec_b64 s[8:9], s[6:7]
	s_xor_b64 s[6:7], exec, s[8:9]
	s_cbranch_execnz .LBB49_3681
; %bb.1633:
	s_or_saveexec_b64 s[6:7], s[6:7]
	v_mov_b32_e32 v10, s10
	s_xor_b64 exec, exec, s[6:7]
	s_cbranch_execnz .LBB49_3684
.LBB49_1634:
	s_or_b64 exec, exec, s[6:7]
	s_and_saveexec_b64 s[6:7], s[4:5]
	s_cbranch_execz .LBB49_1636
.LBB49_1635:
	v_and_b32_e32 v10, 7, v17
	v_ffbh_u32_e32 v12, v10
	v_min_u32_e32 v12, 32, v12
	v_lshrrev_b16_e32 v11, 3, v17
	v_subrev_u32_e32 v14, 28, v12
	v_and_b32_e32 v11, 15, v11
	v_lshlrev_b32_e32 v14, v14, v17
	v_sub_u32_e32 v12, 29, v12
	v_and_b32_e32 v14, 7, v14
	v_cmp_eq_u16_e32 vcc, 0, v11
	v_cndmask_b32_e32 v10, v10, v14, vcc
	v_cndmask_b32_e32 v11, v11, v12, vcc
	v_lshlrev_b32_e32 v12, 24, v17
	v_mov_b32_e32 v14, 0x3b800000
	v_lshlrev_b32_e32 v10, 20, v10
	v_and_b32_e32 v12, 0x80000000, v12
	v_lshl_add_u32 v11, v11, 23, v14
	v_or3_b32 v10, v12, v11, v10
.LBB49_1636:
	s_or_b64 exec, exec, s[6:7]
	s_movk_i32 s4, 0x7f
	v_cmp_gt_i16_sdwa s[6:7], v13, s4 src0_sel:BYTE_0 src1_sel:DWORD
	s_mov_b64 s[4:5], 0
                                        ; implicit-def: $sgpr10
	s_and_saveexec_b64 s[8:9], s[6:7]
	s_xor_b64 s[6:7], exec, s[8:9]
	s_cbranch_execnz .LBB49_3685
; %bb.1637:
	s_or_saveexec_b64 s[6:7], s[6:7]
	v_mov_b32_e32 v11, s10
	s_xor_b64 exec, exec, s[6:7]
	s_cbranch_execnz .LBB49_3688
.LBB49_1638:
	s_or_b64 exec, exec, s[6:7]
	s_and_saveexec_b64 s[6:7], s[4:5]
	s_cbranch_execz .LBB49_1640
.LBB49_1639:
	v_and_b32_e32 v11, 7, v13
	v_ffbh_u32_e32 v14, v11
	v_min_u32_e32 v14, 32, v14
	v_lshrrev_b16_e32 v12, 3, v13
	v_subrev_u32_e32 v15, 28, v14
	v_and_b32_e32 v12, 15, v12
	v_lshlrev_b32_e32 v15, v15, v13
	v_sub_u32_e32 v14, 29, v14
	v_and_b32_e32 v15, 7, v15
	v_cmp_eq_u16_e32 vcc, 0, v12
	v_cndmask_b32_e32 v11, v11, v15, vcc
	v_cndmask_b32_e32 v12, v12, v14, vcc
	v_lshlrev_b32_e32 v14, 24, v13
	v_mov_b32_e32 v15, 0x3b800000
	v_lshlrev_b32_e32 v11, 20, v11
	v_and_b32_e32 v14, 0x80000000, v14
	v_lshl_add_u32 v12, v12, 23, v15
	v_or3_b32 v11, v14, v12, v11
.LBB49_1640:
	s_or_b64 exec, exec, s[6:7]
	s_nop 0
	v_mfma_f32_16x16x4f32 a[0:3], v10, v11, a[0:3]
	v_lshrrev_b32_e32 v11, 8, v17
	s_movk_i32 s4, 0x7f
	v_cmp_gt_i16_sdwa s[6:7], v11, s4 src0_sel:BYTE_0 src1_sel:DWORD
	s_mov_b64 s[4:5], 0
                                        ; implicit-def: $sgpr10
	s_and_saveexec_b64 s[8:9], s[6:7]
	s_xor_b64 s[6:7], exec, s[8:9]
	s_cbranch_execnz .LBB49_3689
; %bb.1641:
	s_or_saveexec_b64 s[6:7], s[6:7]
	v_mov_b32_e32 v10, s10
	s_xor_b64 exec, exec, s[6:7]
	s_cbranch_execnz .LBB49_3692
.LBB49_1642:
	s_or_b64 exec, exec, s[6:7]
	s_and_saveexec_b64 s[6:7], s[4:5]
	s_cbranch_execz .LBB49_1644
.LBB49_1643:
	v_bfe_u32 v10, v17, 8, 3
	v_ffbh_u32_e32 v14, v10
	v_min_u32_e32 v14, 32, v14
	v_lshrrev_b16_e32 v12, 3, v11
	v_subrev_u32_e32 v15, 28, v14
	v_and_b32_e32 v12, 15, v12
	v_lshlrev_b32_e32 v11, v15, v11
	v_sub_u32_e32 v14, 29, v14
	v_and_b32_e32 v11, 7, v11
	v_cmp_eq_u16_e32 vcc, 0, v12
	v_cndmask_b32_e32 v10, v10, v11, vcc
	v_cndmask_b32_e32 v11, v12, v14, vcc
	v_lshlrev_b32_e32 v12, 16, v17
	v_mov_b32_e32 v14, 0x3b800000
	v_lshlrev_b32_e32 v10, 20, v10
	v_and_b32_e32 v12, 0x80000000, v12
	v_lshl_add_u32 v11, v11, 23, v14
	v_or3_b32 v10, v12, v11, v10
.LBB49_1644:
	s_or_b64 exec, exec, s[6:7]
	v_lshrrev_b32_e32 v11, 8, v13
	s_movk_i32 s4, 0x7f
	v_cmp_gt_i16_sdwa s[6:7], v11, s4 src0_sel:BYTE_0 src1_sel:DWORD
	s_mov_b64 s[4:5], 0
                                        ; implicit-def: $sgpr10
	s_and_saveexec_b64 s[8:9], s[6:7]
	s_xor_b64 s[6:7], exec, s[8:9]
	s_cbranch_execnz .LBB49_3693
; %bb.1645:
	s_or_saveexec_b64 s[6:7], s[6:7]
	v_mov_b32_e32 v12, s10
	s_xor_b64 exec, exec, s[6:7]
	s_cbranch_execnz .LBB49_3696
.LBB49_1646:
	s_or_b64 exec, exec, s[6:7]
	s_and_saveexec_b64 s[6:7], s[4:5]
	s_cbranch_execz .LBB49_1648
.LBB49_1647:
	v_bfe_u32 v12, v13, 8, 3
	v_ffbh_u32_e32 v15, v12
	v_min_u32_e32 v15, 32, v15
	v_lshrrev_b16_e32 v14, 3, v11
	v_subrev_u32_e32 v16, 28, v15
	v_and_b32_e32 v14, 15, v14
	v_lshlrev_b32_e32 v11, v16, v11
	v_sub_u32_e32 v15, 29, v15
	v_and_b32_e32 v11, 7, v11
	v_cmp_eq_u16_e32 vcc, 0, v14
	v_cndmask_b32_e32 v11, v12, v11, vcc
	v_cndmask_b32_e32 v12, v14, v15, vcc
	v_lshlrev_b32_e32 v14, 16, v13
	v_mov_b32_e32 v15, 0x3b800000
	v_lshlrev_b32_e32 v11, 20, v11
	v_and_b32_e32 v14, 0x80000000, v14
	v_lshl_add_u32 v12, v12, 23, v15
	v_or3_b32 v12, v14, v12, v11
.LBB49_1648:
	s_or_b64 exec, exec, s[6:7]
	s_nop 0
	v_mfma_f32_16x16x4f32 a[0:3], v10, v12, a[0:3]
	s_movk_i32 s4, 0xff
	v_and_b32_sdwa v11, v17, s4 dst_sel:DWORD dst_unused:UNUSED_PAD src0_sel:WORD_1 src1_sel:DWORD
	s_movk_i32 s4, 0x7f
	v_cmp_lt_i16_e32 vcc, s4, v11
	s_mov_b64 s[4:5], 0
                                        ; implicit-def: $sgpr10
	s_and_saveexec_b64 s[6:7], vcc
	s_xor_b64 s[6:7], exec, s[6:7]
	s_cbranch_execnz .LBB49_3697
; %bb.1649:
	s_or_saveexec_b64 s[6:7], s[6:7]
	v_mov_b32_e32 v10, s10
	s_xor_b64 exec, exec, s[6:7]
	s_cbranch_execnz .LBB49_3700
.LBB49_1650:
	s_or_b64 exec, exec, s[6:7]
	s_and_saveexec_b64 s[6:7], s[4:5]
	s_cbranch_execz .LBB49_1652
.LBB49_1651:
	v_bfe_u32 v10, v17, 16, 3
	v_ffbh_u32_e32 v14, v10
	v_min_u32_e32 v14, 32, v14
	v_lshrrev_b32_e32 v11, 19, v17
	v_subrev_u32_e32 v15, 28, v14
	v_and_b32_e32 v11, 15, v11
	v_lshlrev_b32_sdwa v15, v15, v17 dst_sel:DWORD dst_unused:UNUSED_PAD src0_sel:DWORD src1_sel:WORD_1
	v_bfe_u32 v12, v17, 19, 4
	v_sub_u32_e32 v14, 29, v14
	v_and_b32_e32 v15, 7, v15
	v_cmp_eq_u16_e32 vcc, 0, v11
	v_cndmask_b32_e32 v10, v10, v15, vcc
	v_cndmask_b32_e32 v11, v12, v14, vcc
	v_lshlrev_b32_e32 v12, 8, v17
	v_mov_b32_e32 v14, 0x3b800000
	v_lshlrev_b32_e32 v10, 20, v10
	v_and_b32_e32 v12, 0x80000000, v12
	v_lshl_add_u32 v11, v11, 23, v14
	v_or3_b32 v10, v12, v11, v10
.LBB49_1652:
	s_or_b64 exec, exec, s[6:7]
	s_movk_i32 s4, 0xff
	v_and_b32_sdwa v11, v13, s4 dst_sel:DWORD dst_unused:UNUSED_PAD src0_sel:WORD_1 src1_sel:DWORD
	s_movk_i32 s4, 0x7f
	v_cmp_lt_i16_e32 vcc, s4, v11
	s_mov_b64 s[4:5], 0
                                        ; implicit-def: $sgpr10
	s_and_saveexec_b64 s[6:7], vcc
	s_xor_b64 s[6:7], exec, s[6:7]
	s_cbranch_execnz .LBB49_3701
; %bb.1653:
	s_or_saveexec_b64 s[6:7], s[6:7]
	v_mov_b32_e32 v12, s10
	s_xor_b64 exec, exec, s[6:7]
	s_cbranch_execnz .LBB49_3704
.LBB49_1654:
	s_or_b64 exec, exec, s[6:7]
	s_and_saveexec_b64 s[6:7], s[4:5]
	s_cbranch_execz .LBB49_1656
.LBB49_1655:
	v_bfe_u32 v11, v13, 16, 3
	v_ffbh_u32_e32 v15, v11
	v_min_u32_e32 v15, 32, v15
	v_lshrrev_b32_e32 v12, 19, v13
	v_subrev_u32_e32 v16, 28, v15
	v_and_b32_e32 v12, 15, v12
	v_lshlrev_b32_sdwa v16, v16, v13 dst_sel:DWORD dst_unused:UNUSED_PAD src0_sel:DWORD src1_sel:WORD_1
	v_bfe_u32 v14, v13, 19, 4
	v_sub_u32_e32 v15, 29, v15
	v_and_b32_e32 v16, 7, v16
	v_cmp_eq_u16_e32 vcc, 0, v12
	v_cndmask_b32_e32 v11, v11, v16, vcc
	v_cndmask_b32_e32 v12, v14, v15, vcc
	v_lshlrev_b32_e32 v14, 8, v13
	v_mov_b32_e32 v15, 0x3b800000
	v_lshlrev_b32_e32 v11, 20, v11
	v_and_b32_e32 v14, 0x80000000, v14
	v_lshl_add_u32 v12, v12, 23, v15
	v_or3_b32 v12, v14, v12, v11
.LBB49_1656:
	s_or_b64 exec, exec, s[6:7]
	s_nop 0
	v_mfma_f32_16x16x4f32 a[0:3], v10, v12, a[0:3]
	s_movk_i32 s4, 0x7f
	v_cmp_gt_i16_sdwa s[6:7], v17, s4 src0_sel:BYTE_3 src1_sel:DWORD
	s_mov_b64 s[4:5], 0
                                        ; implicit-def: $sgpr10
	s_and_saveexec_b64 s[8:9], s[6:7]
	s_xor_b64 s[6:7], exec, s[8:9]
	s_cbranch_execnz .LBB49_3705
; %bb.1657:
	s_or_saveexec_b64 s[6:7], s[6:7]
	v_mov_b32_e32 v10, s10
	s_xor_b64 exec, exec, s[6:7]
	s_cbranch_execnz .LBB49_3708
.LBB49_1658:
	s_or_b64 exec, exec, s[6:7]
	s_and_saveexec_b64 s[6:7], s[4:5]
	s_cbranch_execz .LBB49_1660
.LBB49_1659:
	v_bfe_u32 v10, v17, 24, 3
	v_ffbh_u32_e32 v15, v10
	v_min_u32_e32 v15, 32, v15
	v_lshrrev_b32_e32 v12, 27, v17
	v_subrev_u32_e32 v16, 28, v15
	v_and_b32_e32 v12, 15, v12
	v_lshlrev_b32_sdwa v16, v16, v17 dst_sel:DWORD dst_unused:UNUSED_PAD src0_sel:DWORD src1_sel:BYTE_3
	v_bfe_u32 v14, v17, 27, 4
	v_sub_u32_e32 v15, 29, v15
	v_and_b32_e32 v16, 7, v16
	v_cmp_eq_u16_e32 vcc, 0, v12
	v_cndmask_b32_e32 v10, v10, v16, vcc
	v_cndmask_b32_e32 v12, v14, v15, vcc
	v_mov_b32_e32 v14, 0x3b800000
	v_and_b32_e32 v11, 0x80000000, v17
	v_lshlrev_b32_e32 v10, 20, v10
	v_lshl_add_u32 v12, v12, 23, v14
	v_or3_b32 v10, v11, v12, v10
.LBB49_1660:
	s_or_b64 exec, exec, s[6:7]
	s_movk_i32 s4, 0x7f
	v_cmp_gt_i16_sdwa s[6:7], v13, s4 src0_sel:BYTE_3 src1_sel:DWORD
	s_mov_b64 s[4:5], 0
                                        ; implicit-def: $sgpr10
	s_and_saveexec_b64 s[8:9], s[6:7]
	s_xor_b64 s[6:7], exec, s[8:9]
	s_cbranch_execnz .LBB49_3709
; %bb.1661:
	s_or_saveexec_b64 s[6:7], s[6:7]
	v_mov_b32_e32 v11, s10
	s_xor_b64 exec, exec, s[6:7]
	s_cbranch_execnz .LBB49_3712
.LBB49_1662:
	s_or_b64 exec, exec, s[6:7]
	s_and_saveexec_b64 s[6:7], s[4:5]
	s_cbranch_execz .LBB49_1664
.LBB49_1663:
	v_bfe_u32 v11, v13, 24, 3
	v_ffbh_u32_e32 v16, v11
	v_min_u32_e32 v16, 32, v16
	v_lshrrev_b32_e32 v14, 27, v13
	v_subrev_u32_e32 v17, 28, v16
	v_and_b32_e32 v12, 0x80000000, v13
	v_and_b32_e32 v14, 15, v14
	v_bfe_u32 v15, v13, 27, 4
	v_lshlrev_b32_sdwa v13, v17, v13 dst_sel:DWORD dst_unused:UNUSED_PAD src0_sel:DWORD src1_sel:BYTE_3
	v_sub_u32_e32 v16, 29, v16
	v_and_b32_e32 v13, 7, v13
	v_cmp_eq_u16_e32 vcc, 0, v14
	v_cndmask_b32_e32 v11, v11, v13, vcc
	v_cndmask_b32_e32 v13, v15, v16, vcc
	v_mov_b32_e32 v14, 0x3b800000
	v_lshlrev_b32_e32 v11, 20, v11
	v_lshl_add_u32 v13, v13, 23, v14
	v_or3_b32 v11, v12, v13, v11
.LBB49_1664:
	s_or_b64 exec, exec, s[6:7]
	s_nop 0
	v_mfma_f32_16x16x4f32 a[0:3], v10, v11, a[0:3]
	s_movk_i32 s4, 0x7f
	v_cmp_gt_i16_sdwa s[6:7], v6, s4 src0_sel:BYTE_0 src1_sel:DWORD
	s_mov_b64 s[4:5], 0
                                        ; implicit-def: $sgpr10
	s_and_saveexec_b64 s[8:9], s[6:7]
	s_xor_b64 s[6:7], exec, s[8:9]
	s_cbranch_execnz .LBB49_3713
; %bb.1665:
	s_or_saveexec_b64 s[6:7], s[6:7]
	v_mov_b32_e32 v10, s10
	s_xor_b64 exec, exec, s[6:7]
	s_cbranch_execnz .LBB49_3716
.LBB49_1666:
	s_or_b64 exec, exec, s[6:7]
	s_and_saveexec_b64 s[6:7], s[4:5]
	s_cbranch_execz .LBB49_1668
.LBB49_1667:
	v_and_b32_e32 v10, 7, v6
	v_ffbh_u32_e32 v12, v10
	v_min_u32_e32 v12, 32, v12
	v_lshrrev_b16_e32 v11, 3, v6
	v_subrev_u32_e32 v13, 28, v12
	v_and_b32_e32 v11, 15, v11
	v_lshlrev_b32_e32 v13, v13, v6
	v_sub_u32_e32 v12, 29, v12
	v_and_b32_e32 v13, 7, v13
	v_cmp_eq_u16_e32 vcc, 0, v11
	v_cndmask_b32_e32 v10, v10, v13, vcc
	v_cndmask_b32_e32 v11, v11, v12, vcc
	v_lshlrev_b32_e32 v12, 24, v6
	v_mov_b32_e32 v13, 0x3b800000
	v_lshlrev_b32_e32 v10, 20, v10
	v_and_b32_e32 v12, 0x80000000, v12
	v_lshl_add_u32 v11, v11, 23, v13
	v_or3_b32 v10, v12, v11, v10
.LBB49_1668:
	s_or_b64 exec, exec, s[6:7]
	s_movk_i32 s4, 0x7f
	v_cmp_gt_i16_sdwa s[6:7], v2, s4 src0_sel:BYTE_0 src1_sel:DWORD
	s_mov_b64 s[4:5], 0
                                        ; implicit-def: $sgpr10
	s_and_saveexec_b64 s[8:9], s[6:7]
	s_xor_b64 s[6:7], exec, s[8:9]
	s_cbranch_execnz .LBB49_3717
; %bb.1669:
	s_or_saveexec_b64 s[6:7], s[6:7]
	v_mov_b32_e32 v11, s10
	s_xor_b64 exec, exec, s[6:7]
	s_cbranch_execnz .LBB49_3720
.LBB49_1670:
	s_or_b64 exec, exec, s[6:7]
	s_and_saveexec_b64 s[6:7], s[4:5]
	s_cbranch_execz .LBB49_1672
.LBB49_1671:
	v_and_b32_e32 v11, 7, v2
	v_ffbh_u32_e32 v13, v11
	v_min_u32_e32 v13, 32, v13
	v_lshrrev_b16_e32 v12, 3, v2
	v_subrev_u32_e32 v14, 28, v13
	v_and_b32_e32 v12, 15, v12
	v_lshlrev_b32_e32 v14, v14, v2
	v_sub_u32_e32 v13, 29, v13
	v_and_b32_e32 v14, 7, v14
	v_cmp_eq_u16_e32 vcc, 0, v12
	v_cndmask_b32_e32 v11, v11, v14, vcc
	v_cndmask_b32_e32 v12, v12, v13, vcc
	v_lshlrev_b32_e32 v13, 24, v2
	v_mov_b32_e32 v14, 0x3b800000
	v_lshlrev_b32_e32 v11, 20, v11
	v_and_b32_e32 v13, 0x80000000, v13
	v_lshl_add_u32 v12, v12, 23, v14
	v_or3_b32 v11, v13, v12, v11
.LBB49_1672:
	s_or_b64 exec, exec, s[6:7]
	s_nop 0
	v_mfma_f32_16x16x4f32 a[0:3], v10, v11, a[0:3]
	v_lshrrev_b32_e32 v11, 8, v6
	s_movk_i32 s4, 0x7f
	v_cmp_gt_i16_sdwa s[6:7], v11, s4 src0_sel:BYTE_0 src1_sel:DWORD
	s_mov_b64 s[4:5], 0
                                        ; implicit-def: $sgpr10
	s_and_saveexec_b64 s[8:9], s[6:7]
	s_xor_b64 s[6:7], exec, s[8:9]
	s_cbranch_execnz .LBB49_3721
; %bb.1673:
	s_or_saveexec_b64 s[6:7], s[6:7]
	v_mov_b32_e32 v10, s10
	s_xor_b64 exec, exec, s[6:7]
	s_cbranch_execnz .LBB49_3724
.LBB49_1674:
	s_or_b64 exec, exec, s[6:7]
	s_and_saveexec_b64 s[6:7], s[4:5]
	s_cbranch_execz .LBB49_1676
.LBB49_1675:
	v_bfe_u32 v10, v6, 8, 3
	v_ffbh_u32_e32 v13, v10
	v_min_u32_e32 v13, 32, v13
	v_lshrrev_b16_e32 v12, 3, v11
	v_subrev_u32_e32 v14, 28, v13
	v_and_b32_e32 v12, 15, v12
	v_lshlrev_b32_e32 v11, v14, v11
	v_sub_u32_e32 v13, 29, v13
	v_and_b32_e32 v11, 7, v11
	v_cmp_eq_u16_e32 vcc, 0, v12
	v_cndmask_b32_e32 v10, v10, v11, vcc
	v_cndmask_b32_e32 v11, v12, v13, vcc
	v_lshlrev_b32_e32 v12, 16, v6
	v_mov_b32_e32 v13, 0x3b800000
	v_lshlrev_b32_e32 v10, 20, v10
	v_and_b32_e32 v12, 0x80000000, v12
	v_lshl_add_u32 v11, v11, 23, v13
	v_or3_b32 v10, v12, v11, v10
.LBB49_1676:
	s_or_b64 exec, exec, s[6:7]
	v_lshrrev_b32_e32 v11, 8, v2
	s_movk_i32 s4, 0x7f
	v_cmp_gt_i16_sdwa s[6:7], v11, s4 src0_sel:BYTE_0 src1_sel:DWORD
	s_mov_b64 s[4:5], 0
                                        ; implicit-def: $sgpr10
	s_and_saveexec_b64 s[8:9], s[6:7]
	s_xor_b64 s[6:7], exec, s[8:9]
	s_cbranch_execnz .LBB49_3725
; %bb.1677:
	s_or_saveexec_b64 s[6:7], s[6:7]
	v_mov_b32_e32 v12, s10
	s_xor_b64 exec, exec, s[6:7]
	s_cbranch_execnz .LBB49_3728
.LBB49_1678:
	s_or_b64 exec, exec, s[6:7]
	s_and_saveexec_b64 s[6:7], s[4:5]
	s_cbranch_execz .LBB49_1680
.LBB49_1679:
	v_bfe_u32 v12, v2, 8, 3
	v_ffbh_u32_e32 v14, v12
	v_min_u32_e32 v14, 32, v14
	v_lshrrev_b16_e32 v13, 3, v11
	v_subrev_u32_e32 v15, 28, v14
	v_and_b32_e32 v13, 15, v13
	v_lshlrev_b32_e32 v11, v15, v11
	v_sub_u32_e32 v14, 29, v14
	v_and_b32_e32 v11, 7, v11
	v_cmp_eq_u16_e32 vcc, 0, v13
	v_cndmask_b32_e32 v11, v12, v11, vcc
	v_cndmask_b32_e32 v12, v13, v14, vcc
	v_lshlrev_b32_e32 v13, 16, v2
	v_mov_b32_e32 v14, 0x3b800000
	v_lshlrev_b32_e32 v11, 20, v11
	v_and_b32_e32 v13, 0x80000000, v13
	v_lshl_add_u32 v12, v12, 23, v14
	v_or3_b32 v12, v13, v12, v11
.LBB49_1680:
	s_or_b64 exec, exec, s[6:7]
	s_nop 0
	v_mfma_f32_16x16x4f32 a[0:3], v10, v12, a[0:3]
	s_movk_i32 s4, 0xff
	v_and_b32_sdwa v11, v6, s4 dst_sel:DWORD dst_unused:UNUSED_PAD src0_sel:WORD_1 src1_sel:DWORD
	s_movk_i32 s4, 0x7f
	v_cmp_lt_i16_e32 vcc, s4, v11
	s_mov_b64 s[4:5], 0
                                        ; implicit-def: $sgpr10
	s_and_saveexec_b64 s[6:7], vcc
	s_xor_b64 s[6:7], exec, s[6:7]
	s_cbranch_execnz .LBB49_3729
; %bb.1681:
	s_or_saveexec_b64 s[6:7], s[6:7]
	v_mov_b32_e32 v10, s10
	s_xor_b64 exec, exec, s[6:7]
	s_cbranch_execnz .LBB49_3732
.LBB49_1682:
	s_or_b64 exec, exec, s[6:7]
	s_and_saveexec_b64 s[6:7], s[4:5]
	s_cbranch_execz .LBB49_1684
.LBB49_1683:
	v_bfe_u32 v10, v6, 16, 3
	v_ffbh_u32_e32 v13, v10
	v_min_u32_e32 v13, 32, v13
	v_lshrrev_b32_e32 v11, 19, v6
	v_subrev_u32_e32 v14, 28, v13
	v_and_b32_e32 v11, 15, v11
	v_lshlrev_b32_sdwa v14, v14, v6 dst_sel:DWORD dst_unused:UNUSED_PAD src0_sel:DWORD src1_sel:WORD_1
	v_bfe_u32 v12, v6, 19, 4
	v_sub_u32_e32 v13, 29, v13
	v_and_b32_e32 v14, 7, v14
	v_cmp_eq_u16_e32 vcc, 0, v11
	v_cndmask_b32_e32 v10, v10, v14, vcc
	v_cndmask_b32_e32 v11, v12, v13, vcc
	v_lshlrev_b32_e32 v12, 8, v6
	v_mov_b32_e32 v13, 0x3b800000
	v_lshlrev_b32_e32 v10, 20, v10
	v_and_b32_e32 v12, 0x80000000, v12
	v_lshl_add_u32 v11, v11, 23, v13
	v_or3_b32 v10, v12, v11, v10
.LBB49_1684:
	s_or_b64 exec, exec, s[6:7]
	s_movk_i32 s4, 0xff
	v_and_b32_sdwa v11, v2, s4 dst_sel:DWORD dst_unused:UNUSED_PAD src0_sel:WORD_1 src1_sel:DWORD
	s_movk_i32 s4, 0x7f
	v_cmp_lt_i16_e32 vcc, s4, v11
	s_mov_b64 s[4:5], 0
                                        ; implicit-def: $sgpr10
	s_and_saveexec_b64 s[6:7], vcc
	s_xor_b64 s[6:7], exec, s[6:7]
	s_cbranch_execnz .LBB49_3733
; %bb.1685:
	s_or_saveexec_b64 s[6:7], s[6:7]
	v_mov_b32_e32 v12, s10
	s_xor_b64 exec, exec, s[6:7]
	s_cbranch_execnz .LBB49_3736
.LBB49_1686:
	s_or_b64 exec, exec, s[6:7]
	s_and_saveexec_b64 s[6:7], s[4:5]
	s_cbranch_execz .LBB49_1688
.LBB49_1687:
	v_bfe_u32 v11, v2, 16, 3
	v_ffbh_u32_e32 v14, v11
	v_min_u32_e32 v14, 32, v14
	v_lshrrev_b32_e32 v12, 19, v2
	v_subrev_u32_e32 v15, 28, v14
	v_and_b32_e32 v12, 15, v12
	v_lshlrev_b32_sdwa v15, v15, v2 dst_sel:DWORD dst_unused:UNUSED_PAD src0_sel:DWORD src1_sel:WORD_1
	v_bfe_u32 v13, v2, 19, 4
	v_sub_u32_e32 v14, 29, v14
	v_and_b32_e32 v15, 7, v15
	v_cmp_eq_u16_e32 vcc, 0, v12
	v_cndmask_b32_e32 v11, v11, v15, vcc
	v_cndmask_b32_e32 v12, v13, v14, vcc
	v_lshlrev_b32_e32 v13, 8, v2
	v_mov_b32_e32 v14, 0x3b800000
	v_lshlrev_b32_e32 v11, 20, v11
	v_and_b32_e32 v13, 0x80000000, v13
	v_lshl_add_u32 v12, v12, 23, v14
	v_or3_b32 v12, v13, v12, v11
.LBB49_1688:
	s_or_b64 exec, exec, s[6:7]
	s_nop 0
	v_mfma_f32_16x16x4f32 a[0:3], v10, v12, a[0:3]
	s_movk_i32 s4, 0x7f
	v_cmp_gt_i16_sdwa s[6:7], v6, s4 src0_sel:BYTE_3 src1_sel:DWORD
	s_mov_b64 s[4:5], 0
                                        ; implicit-def: $sgpr10
	s_and_saveexec_b64 s[8:9], s[6:7]
	s_xor_b64 s[6:7], exec, s[8:9]
	s_cbranch_execnz .LBB49_3737
; %bb.1689:
	s_or_saveexec_b64 s[6:7], s[6:7]
	v_mov_b32_e32 v10, s10
	s_xor_b64 exec, exec, s[6:7]
	s_cbranch_execnz .LBB49_3740
.LBB49_1690:
	s_or_b64 exec, exec, s[6:7]
	s_and_saveexec_b64 s[6:7], s[4:5]
	s_cbranch_execz .LBB49_1692
.LBB49_1691:
	v_bfe_u32 v10, v6, 24, 3
	v_ffbh_u32_e32 v14, v10
	v_min_u32_e32 v14, 32, v14
	v_lshrrev_b32_e32 v12, 27, v6
	v_subrev_u32_e32 v15, 28, v14
	v_and_b32_e32 v11, 0x80000000, v6
	v_and_b32_e32 v12, 15, v12
	v_bfe_u32 v13, v6, 27, 4
	v_lshlrev_b32_sdwa v6, v15, v6 dst_sel:DWORD dst_unused:UNUSED_PAD src0_sel:DWORD src1_sel:BYTE_3
	v_sub_u32_e32 v14, 29, v14
	v_and_b32_e32 v6, 7, v6
	v_cmp_eq_u16_e32 vcc, 0, v12
	v_cndmask_b32_e32 v6, v10, v6, vcc
	v_cndmask_b32_e32 v10, v13, v14, vcc
	v_mov_b32_e32 v12, 0x3b800000
	v_lshlrev_b32_e32 v6, 20, v6
	v_lshl_add_u32 v10, v10, 23, v12
	v_or3_b32 v10, v11, v10, v6
.LBB49_1692:
	s_or_b64 exec, exec, s[6:7]
	s_movk_i32 s4, 0x7f
	v_cmp_gt_i16_sdwa s[6:7], v2, s4 src0_sel:BYTE_3 src1_sel:DWORD
	s_mov_b64 s[4:5], 0
                                        ; implicit-def: $sgpr10
	s_and_saveexec_b64 s[8:9], s[6:7]
	s_xor_b64 s[6:7], exec, s[8:9]
	s_cbranch_execnz .LBB49_3741
; %bb.1693:
	s_or_saveexec_b64 s[6:7], s[6:7]
	v_mov_b32_e32 v6, s10
	s_xor_b64 exec, exec, s[6:7]
	s_cbranch_execnz .LBB49_3744
.LBB49_1694:
	s_or_b64 exec, exec, s[6:7]
	s_and_saveexec_b64 s[6:7], s[4:5]
	s_cbranch_execz .LBB49_1696
.LBB49_1695:
	v_bfe_u32 v6, v2, 24, 3
	v_ffbh_u32_e32 v14, v6
	v_min_u32_e32 v14, 32, v14
	v_lshrrev_b32_e32 v12, 27, v2
	v_subrev_u32_e32 v15, 28, v14
	v_and_b32_e32 v11, 0x80000000, v2
	v_and_b32_e32 v12, 15, v12
	v_bfe_u32 v13, v2, 27, 4
	v_lshlrev_b32_sdwa v2, v15, v2 dst_sel:DWORD dst_unused:UNUSED_PAD src0_sel:DWORD src1_sel:BYTE_3
	v_sub_u32_e32 v14, 29, v14
	v_and_b32_e32 v2, 7, v2
	v_cmp_eq_u16_e32 vcc, 0, v12
	v_cndmask_b32_e32 v2, v6, v2, vcc
	v_cndmask_b32_e32 v6, v13, v14, vcc
	v_mov_b32_e32 v12, 0x3b800000
	v_lshlrev_b32_e32 v2, 20, v2
	v_lshl_add_u32 v6, v6, 23, v12
	v_or3_b32 v6, v11, v6, v2
.LBB49_1696:
	s_or_b64 exec, exec, s[6:7]
	s_nop 0
	v_mfma_f32_16x16x4f32 a[0:3], v10, v6, a[0:3]
	s_movk_i32 s4, 0x7f
	v_cmp_gt_i16_sdwa s[6:7], v7, s4 src0_sel:BYTE_0 src1_sel:DWORD
	s_mov_b64 s[4:5], 0
                                        ; implicit-def: $sgpr10
	s_and_saveexec_b64 s[8:9], s[6:7]
	s_xor_b64 s[6:7], exec, s[8:9]
	s_cbranch_execnz .LBB49_3745
; %bb.1697:
	s_or_saveexec_b64 s[6:7], s[6:7]
	v_mov_b32_e32 v2, s10
	s_xor_b64 exec, exec, s[6:7]
	s_cbranch_execnz .LBB49_3748
.LBB49_1698:
	s_or_b64 exec, exec, s[6:7]
	s_and_saveexec_b64 s[6:7], s[4:5]
	s_cbranch_execz .LBB49_1700
.LBB49_1699:
	v_and_b32_e32 v2, 7, v7
	v_ffbh_u32_e32 v10, v2
	v_min_u32_e32 v10, 32, v10
	v_lshrrev_b16_e32 v6, 3, v7
	v_subrev_u32_e32 v11, 28, v10
	v_and_b32_e32 v6, 15, v6
	v_lshlrev_b32_e32 v11, v11, v7
	v_sub_u32_e32 v10, 29, v10
	v_and_b32_e32 v11, 7, v11
	v_cmp_eq_u16_e32 vcc, 0, v6
	v_cndmask_b32_e32 v2, v2, v11, vcc
	v_cndmask_b32_e32 v6, v6, v10, vcc
	v_lshlrev_b32_e32 v10, 24, v7
	v_mov_b32_e32 v11, 0x3b800000
	v_lshlrev_b32_e32 v2, 20, v2
	v_and_b32_e32 v10, 0x80000000, v10
	v_lshl_add_u32 v6, v6, 23, v11
	v_or3_b32 v2, v10, v6, v2
.LBB49_1700:
	s_or_b64 exec, exec, s[6:7]
	s_movk_i32 s4, 0x7f
	v_cmp_gt_i16_sdwa s[6:7], v3, s4 src0_sel:BYTE_0 src1_sel:DWORD
	s_mov_b64 s[4:5], 0
                                        ; implicit-def: $sgpr10
	s_and_saveexec_b64 s[8:9], s[6:7]
	s_xor_b64 s[6:7], exec, s[8:9]
	s_cbranch_execnz .LBB49_3749
; %bb.1701:
	s_or_saveexec_b64 s[6:7], s[6:7]
	v_mov_b32_e32 v6, s10
	s_xor_b64 exec, exec, s[6:7]
	s_cbranch_execnz .LBB49_3752
.LBB49_1702:
	s_or_b64 exec, exec, s[6:7]
	s_and_saveexec_b64 s[6:7], s[4:5]
	s_cbranch_execz .LBB49_1704
.LBB49_1703:
	v_and_b32_e32 v6, 7, v3
	v_ffbh_u32_e32 v11, v6
	v_min_u32_e32 v11, 32, v11
	v_lshrrev_b16_e32 v10, 3, v3
	v_subrev_u32_e32 v12, 28, v11
	v_and_b32_e32 v10, 15, v10
	v_lshlrev_b32_e32 v12, v12, v3
	v_sub_u32_e32 v11, 29, v11
	v_and_b32_e32 v12, 7, v12
	v_cmp_eq_u16_e32 vcc, 0, v10
	v_cndmask_b32_e32 v6, v6, v12, vcc
	v_cndmask_b32_e32 v10, v10, v11, vcc
	v_lshlrev_b32_e32 v11, 24, v3
	v_mov_b32_e32 v12, 0x3b800000
	v_lshlrev_b32_e32 v6, 20, v6
	v_and_b32_e32 v11, 0x80000000, v11
	v_lshl_add_u32 v10, v10, 23, v12
	v_or3_b32 v6, v11, v10, v6
.LBB49_1704:
	s_or_b64 exec, exec, s[6:7]
	s_nop 0
	v_mfma_f32_16x16x4f32 a[0:3], v2, v6, a[0:3]
	v_lshrrev_b32_e32 v6, 8, v7
	s_movk_i32 s4, 0x7f
	v_cmp_gt_i16_sdwa s[6:7], v6, s4 src0_sel:BYTE_0 src1_sel:DWORD
	s_mov_b64 s[4:5], 0
                                        ; implicit-def: $sgpr10
	s_and_saveexec_b64 s[8:9], s[6:7]
	s_xor_b64 s[6:7], exec, s[8:9]
	s_cbranch_execnz .LBB49_3753
; %bb.1705:
	s_or_saveexec_b64 s[6:7], s[6:7]
	v_mov_b32_e32 v2, s10
	s_xor_b64 exec, exec, s[6:7]
	s_cbranch_execnz .LBB49_3756
.LBB49_1706:
	s_or_b64 exec, exec, s[6:7]
	s_and_saveexec_b64 s[6:7], s[4:5]
	s_cbranch_execz .LBB49_1708
.LBB49_1707:
	v_bfe_u32 v2, v7, 8, 3
	v_ffbh_u32_e32 v11, v2
	v_min_u32_e32 v11, 32, v11
	v_lshrrev_b16_e32 v10, 3, v6
	v_subrev_u32_e32 v12, 28, v11
	v_and_b32_e32 v10, 15, v10
	v_lshlrev_b32_e32 v6, v12, v6
	v_sub_u32_e32 v11, 29, v11
	v_and_b32_e32 v6, 7, v6
	v_cmp_eq_u16_e32 vcc, 0, v10
	v_cndmask_b32_e32 v2, v2, v6, vcc
	v_cndmask_b32_e32 v6, v10, v11, vcc
	v_lshlrev_b32_e32 v10, 16, v7
	v_mov_b32_e32 v11, 0x3b800000
	v_lshlrev_b32_e32 v2, 20, v2
	v_and_b32_e32 v10, 0x80000000, v10
	v_lshl_add_u32 v6, v6, 23, v11
	v_or3_b32 v2, v10, v6, v2
.LBB49_1708:
	s_or_b64 exec, exec, s[6:7]
	v_lshrrev_b32_e32 v6, 8, v3
	s_movk_i32 s4, 0x7f
	v_cmp_gt_i16_sdwa s[6:7], v6, s4 src0_sel:BYTE_0 src1_sel:DWORD
	s_mov_b64 s[4:5], 0
                                        ; implicit-def: $sgpr10
	s_and_saveexec_b64 s[8:9], s[6:7]
	s_xor_b64 s[6:7], exec, s[8:9]
	s_cbranch_execnz .LBB49_3757
; %bb.1709:
	s_or_saveexec_b64 s[6:7], s[6:7]
	v_mov_b32_e32 v10, s10
	s_xor_b64 exec, exec, s[6:7]
	s_cbranch_execnz .LBB49_3760
.LBB49_1710:
	s_or_b64 exec, exec, s[6:7]
	s_and_saveexec_b64 s[6:7], s[4:5]
	s_cbranch_execz .LBB49_1712
.LBB49_1711:
	v_bfe_u32 v10, v3, 8, 3
	v_ffbh_u32_e32 v12, v10
	v_min_u32_e32 v12, 32, v12
	v_lshrrev_b16_e32 v11, 3, v6
	v_subrev_u32_e32 v13, 28, v12
	v_and_b32_e32 v11, 15, v11
	v_lshlrev_b32_e32 v6, v13, v6
	v_sub_u32_e32 v12, 29, v12
	v_and_b32_e32 v6, 7, v6
	v_cmp_eq_u16_e32 vcc, 0, v11
	v_cndmask_b32_e32 v6, v10, v6, vcc
	v_cndmask_b32_e32 v10, v11, v12, vcc
	v_lshlrev_b32_e32 v11, 16, v3
	v_mov_b32_e32 v12, 0x3b800000
	v_lshlrev_b32_e32 v6, 20, v6
	v_and_b32_e32 v11, 0x80000000, v11
	v_lshl_add_u32 v10, v10, 23, v12
	v_or3_b32 v10, v11, v10, v6
.LBB49_1712:
	s_or_b64 exec, exec, s[6:7]
	s_nop 0
	v_mfma_f32_16x16x4f32 a[0:3], v2, v10, a[0:3]
	s_movk_i32 s4, 0xff
	v_and_b32_sdwa v6, v7, s4 dst_sel:DWORD dst_unused:UNUSED_PAD src0_sel:WORD_1 src1_sel:DWORD
	s_movk_i32 s4, 0x7f
	v_cmp_lt_i16_e32 vcc, s4, v6
	s_mov_b64 s[4:5], 0
                                        ; implicit-def: $sgpr10
	s_and_saveexec_b64 s[6:7], vcc
	s_xor_b64 s[6:7], exec, s[6:7]
	s_cbranch_execnz .LBB49_3761
; %bb.1713:
	s_or_saveexec_b64 s[6:7], s[6:7]
	v_mov_b32_e32 v2, s10
	s_xor_b64 exec, exec, s[6:7]
	s_cbranch_execnz .LBB49_3764
.LBB49_1714:
	s_or_b64 exec, exec, s[6:7]
	s_and_saveexec_b64 s[6:7], s[4:5]
	s_cbranch_execz .LBB49_1716
.LBB49_1715:
	v_bfe_u32 v2, v7, 16, 3
	v_ffbh_u32_e32 v11, v2
	v_min_u32_e32 v11, 32, v11
	v_lshrrev_b32_e32 v6, 19, v7
	v_subrev_u32_e32 v12, 28, v11
	v_and_b32_e32 v6, 15, v6
	v_lshlrev_b32_sdwa v12, v12, v7 dst_sel:DWORD dst_unused:UNUSED_PAD src0_sel:DWORD src1_sel:WORD_1
	v_bfe_u32 v10, v7, 19, 4
	v_sub_u32_e32 v11, 29, v11
	v_and_b32_e32 v12, 7, v12
	v_cmp_eq_u16_e32 vcc, 0, v6
	v_cndmask_b32_e32 v2, v2, v12, vcc
	v_cndmask_b32_e32 v6, v10, v11, vcc
	v_lshlrev_b32_e32 v10, 8, v7
	v_mov_b32_e32 v11, 0x3b800000
	v_lshlrev_b32_e32 v2, 20, v2
	v_and_b32_e32 v10, 0x80000000, v10
	v_lshl_add_u32 v6, v6, 23, v11
	v_or3_b32 v2, v10, v6, v2
.LBB49_1716:
	s_or_b64 exec, exec, s[6:7]
	s_movk_i32 s4, 0xff
	v_and_b32_sdwa v6, v3, s4 dst_sel:DWORD dst_unused:UNUSED_PAD src0_sel:WORD_1 src1_sel:DWORD
	s_movk_i32 s4, 0x7f
	v_cmp_lt_i16_e32 vcc, s4, v6
	s_mov_b64 s[4:5], 0
                                        ; implicit-def: $sgpr10
	s_and_saveexec_b64 s[6:7], vcc
	s_xor_b64 s[6:7], exec, s[6:7]
	s_cbranch_execnz .LBB49_3765
; %bb.1717:
	s_or_saveexec_b64 s[6:7], s[6:7]
	v_mov_b32_e32 v10, s10
	s_xor_b64 exec, exec, s[6:7]
	s_cbranch_execnz .LBB49_3768
.LBB49_1718:
	s_or_b64 exec, exec, s[6:7]
	s_and_saveexec_b64 s[6:7], s[4:5]
	s_cbranch_execz .LBB49_1720
.LBB49_1719:
	v_bfe_u32 v6, v3, 16, 3
	v_ffbh_u32_e32 v12, v6
	v_min_u32_e32 v12, 32, v12
	v_lshrrev_b32_e32 v10, 19, v3
	v_subrev_u32_e32 v13, 28, v12
	v_and_b32_e32 v10, 15, v10
	v_lshlrev_b32_sdwa v13, v13, v3 dst_sel:DWORD dst_unused:UNUSED_PAD src0_sel:DWORD src1_sel:WORD_1
	v_bfe_u32 v11, v3, 19, 4
	v_sub_u32_e32 v12, 29, v12
	v_and_b32_e32 v13, 7, v13
	v_cmp_eq_u16_e32 vcc, 0, v10
	v_cndmask_b32_e32 v6, v6, v13, vcc
	v_cndmask_b32_e32 v10, v11, v12, vcc
	v_lshlrev_b32_e32 v11, 8, v3
	v_mov_b32_e32 v12, 0x3b800000
	v_lshlrev_b32_e32 v6, 20, v6
	v_and_b32_e32 v11, 0x80000000, v11
	v_lshl_add_u32 v10, v10, 23, v12
	v_or3_b32 v10, v11, v10, v6
.LBB49_1720:
	s_or_b64 exec, exec, s[6:7]
	s_nop 0
	v_mfma_f32_16x16x4f32 a[0:3], v2, v10, a[0:3]
	s_movk_i32 s4, 0x7f
	v_cmp_gt_i16_sdwa s[6:7], v7, s4 src0_sel:BYTE_3 src1_sel:DWORD
	s_mov_b64 s[4:5], 0
                                        ; implicit-def: $sgpr10
	s_and_saveexec_b64 s[8:9], s[6:7]
	s_xor_b64 s[6:7], exec, s[8:9]
	s_cbranch_execnz .LBB49_3769
; %bb.1721:
	s_or_saveexec_b64 s[6:7], s[6:7]
	v_mov_b32_e32 v2, s10
	s_xor_b64 exec, exec, s[6:7]
	s_cbranch_execnz .LBB49_3772
.LBB49_1722:
	s_or_b64 exec, exec, s[6:7]
	s_and_saveexec_b64 s[6:7], s[4:5]
	s_cbranch_execz .LBB49_1724
.LBB49_1723:
	v_bfe_u32 v2, v7, 24, 3
	v_ffbh_u32_e32 v12, v2
	v_min_u32_e32 v12, 32, v12
	v_lshrrev_b32_e32 v10, 27, v7
	v_subrev_u32_e32 v13, 28, v12
	v_and_b32_e32 v6, 0x80000000, v7
	v_and_b32_e32 v10, 15, v10
	v_bfe_u32 v11, v7, 27, 4
	v_lshlrev_b32_sdwa v7, v13, v7 dst_sel:DWORD dst_unused:UNUSED_PAD src0_sel:DWORD src1_sel:BYTE_3
	v_sub_u32_e32 v12, 29, v12
	v_and_b32_e32 v7, 7, v7
	v_cmp_eq_u16_e32 vcc, 0, v10
	v_cndmask_b32_e32 v2, v2, v7, vcc
	v_cndmask_b32_e32 v7, v11, v12, vcc
	v_mov_b32_e32 v10, 0x3b800000
	v_lshlrev_b32_e32 v2, 20, v2
	v_lshl_add_u32 v7, v7, 23, v10
	v_or3_b32 v2, v6, v7, v2
.LBB49_1724:
	s_or_b64 exec, exec, s[6:7]
	s_movk_i32 s4, 0x7f
	v_cmp_gt_i16_sdwa s[6:7], v3, s4 src0_sel:BYTE_3 src1_sel:DWORD
	s_mov_b64 s[4:5], 0
                                        ; implicit-def: $sgpr10
	s_and_saveexec_b64 s[8:9], s[6:7]
	s_xor_b64 s[6:7], exec, s[8:9]
	s_cbranch_execnz .LBB49_3773
; %bb.1725:
	s_or_saveexec_b64 s[6:7], s[6:7]
	v_mov_b32_e32 v6, s10
	s_xor_b64 exec, exec, s[6:7]
	s_cbranch_execnz .LBB49_3776
.LBB49_1726:
	s_or_b64 exec, exec, s[6:7]
	s_and_saveexec_b64 s[6:7], s[4:5]
	s_cbranch_execz .LBB49_1728
.LBB49_1727:
	v_bfe_u32 v6, v3, 24, 3
	v_ffbh_u32_e32 v12, v6
	v_min_u32_e32 v12, 32, v12
	v_lshrrev_b32_e32 v10, 27, v3
	v_subrev_u32_e32 v13, 28, v12
	v_and_b32_e32 v7, 0x80000000, v3
	v_and_b32_e32 v10, 15, v10
	v_bfe_u32 v11, v3, 27, 4
	v_lshlrev_b32_sdwa v3, v13, v3 dst_sel:DWORD dst_unused:UNUSED_PAD src0_sel:DWORD src1_sel:BYTE_3
	v_sub_u32_e32 v12, 29, v12
	v_and_b32_e32 v3, 7, v3
	v_cmp_eq_u16_e32 vcc, 0, v10
	v_cndmask_b32_e32 v3, v6, v3, vcc
	v_cndmask_b32_e32 v6, v11, v12, vcc
	v_mov_b32_e32 v10, 0x3b800000
	v_lshlrev_b32_e32 v3, 20, v3
	v_lshl_add_u32 v6, v6, 23, v10
	v_or3_b32 v6, v7, v6, v3
.LBB49_1728:
	s_or_b64 exec, exec, s[6:7]
	s_nop 0
	v_mfma_f32_16x16x4f32 a[0:3], v2, v6, a[0:3]
	s_movk_i32 s4, 0x7f
	v_cmp_gt_i16_sdwa s[6:7], v8, s4 src0_sel:BYTE_0 src1_sel:DWORD
	s_mov_b64 s[4:5], 0
                                        ; implicit-def: $sgpr10
	s_and_saveexec_b64 s[8:9], s[6:7]
	s_xor_b64 s[6:7], exec, s[8:9]
	s_cbranch_execnz .LBB49_3777
; %bb.1729:
	s_or_saveexec_b64 s[6:7], s[6:7]
	v_mov_b32_e32 v2, s10
	s_xor_b64 exec, exec, s[6:7]
	s_cbranch_execnz .LBB49_3780
.LBB49_1730:
	s_or_b64 exec, exec, s[6:7]
	s_and_saveexec_b64 s[6:7], s[4:5]
	s_cbranch_execz .LBB49_1732
.LBB49_1731:
	v_and_b32_e32 v2, 7, v8
	v_ffbh_u32_e32 v6, v2
	v_min_u32_e32 v6, 32, v6
	v_lshrrev_b16_e32 v3, 3, v8
	v_subrev_u32_e32 v7, 28, v6
	v_and_b32_e32 v3, 15, v3
	v_lshlrev_b32_e32 v7, v7, v8
	v_sub_u32_e32 v6, 29, v6
	v_and_b32_e32 v7, 7, v7
	v_cmp_eq_u16_e32 vcc, 0, v3
	v_cndmask_b32_e32 v2, v2, v7, vcc
	v_cndmask_b32_e32 v3, v3, v6, vcc
	v_lshlrev_b32_e32 v6, 24, v8
	v_mov_b32_e32 v7, 0x3b800000
	v_lshlrev_b32_e32 v2, 20, v2
	v_and_b32_e32 v6, 0x80000000, v6
	v_lshl_add_u32 v3, v3, 23, v7
	v_or3_b32 v2, v6, v3, v2
.LBB49_1732:
	s_or_b64 exec, exec, s[6:7]
	s_movk_i32 s4, 0x7f
	v_cmp_gt_i16_sdwa s[6:7], v4, s4 src0_sel:BYTE_0 src1_sel:DWORD
	s_mov_b64 s[4:5], 0
                                        ; implicit-def: $sgpr10
	s_and_saveexec_b64 s[8:9], s[6:7]
	s_xor_b64 s[6:7], exec, s[8:9]
	s_cbranch_execnz .LBB49_3781
; %bb.1733:
	s_or_saveexec_b64 s[6:7], s[6:7]
	v_mov_b32_e32 v3, s10
	s_xor_b64 exec, exec, s[6:7]
	s_cbranch_execnz .LBB49_3784
.LBB49_1734:
	s_or_b64 exec, exec, s[6:7]
	s_and_saveexec_b64 s[6:7], s[4:5]
	s_cbranch_execz .LBB49_1736
.LBB49_1735:
	v_and_b32_e32 v3, 7, v4
	v_ffbh_u32_e32 v7, v3
	v_min_u32_e32 v7, 32, v7
	v_lshrrev_b16_e32 v6, 3, v4
	v_subrev_u32_e32 v10, 28, v7
	v_and_b32_e32 v6, 15, v6
	v_lshlrev_b32_e32 v10, v10, v4
	v_sub_u32_e32 v7, 29, v7
	v_and_b32_e32 v10, 7, v10
	v_cmp_eq_u16_e32 vcc, 0, v6
	v_cndmask_b32_e32 v3, v3, v10, vcc
	v_cndmask_b32_e32 v6, v6, v7, vcc
	v_lshlrev_b32_e32 v7, 24, v4
	v_mov_b32_e32 v10, 0x3b800000
	v_lshlrev_b32_e32 v3, 20, v3
	v_and_b32_e32 v7, 0x80000000, v7
	v_lshl_add_u32 v6, v6, 23, v10
	v_or3_b32 v3, v7, v6, v3
.LBB49_1736:
	s_or_b64 exec, exec, s[6:7]
	s_nop 0
	v_mfma_f32_16x16x4f32 a[0:3], v2, v3, a[0:3]
	v_lshrrev_b32_e32 v3, 8, v8
	s_movk_i32 s4, 0x7f
	v_cmp_gt_i16_sdwa s[6:7], v3, s4 src0_sel:BYTE_0 src1_sel:DWORD
	s_mov_b64 s[4:5], 0
                                        ; implicit-def: $sgpr10
	s_and_saveexec_b64 s[8:9], s[6:7]
	s_xor_b64 s[6:7], exec, s[8:9]
	s_cbranch_execnz .LBB49_3785
; %bb.1737:
	s_or_saveexec_b64 s[6:7], s[6:7]
	v_mov_b32_e32 v2, s10
	s_xor_b64 exec, exec, s[6:7]
	s_cbranch_execnz .LBB49_3788
.LBB49_1738:
	s_or_b64 exec, exec, s[6:7]
	s_and_saveexec_b64 s[6:7], s[4:5]
	s_cbranch_execz .LBB49_1740
.LBB49_1739:
	v_bfe_u32 v2, v8, 8, 3
	v_ffbh_u32_e32 v7, v2
	v_min_u32_e32 v7, 32, v7
	v_lshrrev_b16_e32 v6, 3, v3
	v_subrev_u32_e32 v10, 28, v7
	v_and_b32_e32 v6, 15, v6
	v_lshlrev_b32_e32 v3, v10, v3
	v_sub_u32_e32 v7, 29, v7
	v_and_b32_e32 v3, 7, v3
	v_cmp_eq_u16_e32 vcc, 0, v6
	v_cndmask_b32_e32 v2, v2, v3, vcc
	v_cndmask_b32_e32 v3, v6, v7, vcc
	v_lshlrev_b32_e32 v6, 16, v8
	v_mov_b32_e32 v7, 0x3b800000
	v_lshlrev_b32_e32 v2, 20, v2
	v_and_b32_e32 v6, 0x80000000, v6
	v_lshl_add_u32 v3, v3, 23, v7
	v_or3_b32 v2, v6, v3, v2
.LBB49_1740:
	s_or_b64 exec, exec, s[6:7]
	v_lshrrev_b32_e32 v3, 8, v4
	s_movk_i32 s4, 0x7f
	v_cmp_gt_i16_sdwa s[6:7], v3, s4 src0_sel:BYTE_0 src1_sel:DWORD
	s_mov_b64 s[4:5], 0
                                        ; implicit-def: $sgpr10
	s_and_saveexec_b64 s[8:9], s[6:7]
	s_xor_b64 s[6:7], exec, s[8:9]
	s_cbranch_execnz .LBB49_3789
; %bb.1741:
	s_or_saveexec_b64 s[6:7], s[6:7]
	v_mov_b32_e32 v6, s10
	s_xor_b64 exec, exec, s[6:7]
	s_cbranch_execnz .LBB49_3792
.LBB49_1742:
	s_or_b64 exec, exec, s[6:7]
	s_and_saveexec_b64 s[6:7], s[4:5]
	s_cbranch_execz .LBB49_1744
.LBB49_1743:
	v_bfe_u32 v6, v4, 8, 3
	v_ffbh_u32_e32 v10, v6
	v_min_u32_e32 v10, 32, v10
	v_lshrrev_b16_e32 v7, 3, v3
	v_subrev_u32_e32 v11, 28, v10
	v_and_b32_e32 v7, 15, v7
	v_lshlrev_b32_e32 v3, v11, v3
	v_sub_u32_e32 v10, 29, v10
	v_and_b32_e32 v3, 7, v3
	v_cmp_eq_u16_e32 vcc, 0, v7
	v_cndmask_b32_e32 v3, v6, v3, vcc
	v_cndmask_b32_e32 v6, v7, v10, vcc
	v_lshlrev_b32_e32 v7, 16, v4
	v_mov_b32_e32 v10, 0x3b800000
	v_lshlrev_b32_e32 v3, 20, v3
	v_and_b32_e32 v7, 0x80000000, v7
	v_lshl_add_u32 v6, v6, 23, v10
	v_or3_b32 v6, v7, v6, v3
.LBB49_1744:
	s_or_b64 exec, exec, s[6:7]
	s_nop 0
	v_mfma_f32_16x16x4f32 a[0:3], v2, v6, a[0:3]
	s_movk_i32 s4, 0xff
	v_and_b32_sdwa v3, v8, s4 dst_sel:DWORD dst_unused:UNUSED_PAD src0_sel:WORD_1 src1_sel:DWORD
	s_movk_i32 s4, 0x7f
	v_cmp_lt_i16_e32 vcc, s4, v3
	s_mov_b64 s[4:5], 0
                                        ; implicit-def: $sgpr10
	s_and_saveexec_b64 s[6:7], vcc
	s_xor_b64 s[6:7], exec, s[6:7]
	s_cbranch_execnz .LBB49_3793
; %bb.1745:
	s_or_saveexec_b64 s[6:7], s[6:7]
	v_mov_b32_e32 v2, s10
	s_xor_b64 exec, exec, s[6:7]
	s_cbranch_execnz .LBB49_3796
.LBB49_1746:
	s_or_b64 exec, exec, s[6:7]
	s_and_saveexec_b64 s[6:7], s[4:5]
	s_cbranch_execz .LBB49_1748
.LBB49_1747:
	v_bfe_u32 v2, v8, 16, 3
	v_ffbh_u32_e32 v7, v2
	v_min_u32_e32 v7, 32, v7
	v_lshrrev_b32_e32 v3, 19, v8
	v_subrev_u32_e32 v10, 28, v7
	v_and_b32_e32 v3, 15, v3
	v_lshlrev_b32_sdwa v10, v10, v8 dst_sel:DWORD dst_unused:UNUSED_PAD src0_sel:DWORD src1_sel:WORD_1
	v_bfe_u32 v6, v8, 19, 4
	v_sub_u32_e32 v7, 29, v7
	v_and_b32_e32 v10, 7, v10
	v_cmp_eq_u16_e32 vcc, 0, v3
	v_cndmask_b32_e32 v2, v2, v10, vcc
	v_cndmask_b32_e32 v3, v6, v7, vcc
	v_lshlrev_b32_e32 v6, 8, v8
	v_mov_b32_e32 v7, 0x3b800000
	v_lshlrev_b32_e32 v2, 20, v2
	v_and_b32_e32 v6, 0x80000000, v6
	v_lshl_add_u32 v3, v3, 23, v7
	v_or3_b32 v2, v6, v3, v2
.LBB49_1748:
	s_or_b64 exec, exec, s[6:7]
	s_movk_i32 s4, 0xff
	v_and_b32_sdwa v3, v4, s4 dst_sel:DWORD dst_unused:UNUSED_PAD src0_sel:WORD_1 src1_sel:DWORD
	s_movk_i32 s4, 0x7f
	v_cmp_lt_i16_e32 vcc, s4, v3
	s_mov_b64 s[4:5], 0
                                        ; implicit-def: $sgpr10
	s_and_saveexec_b64 s[6:7], vcc
	s_xor_b64 s[6:7], exec, s[6:7]
	s_cbranch_execnz .LBB49_3797
; %bb.1749:
	s_or_saveexec_b64 s[6:7], s[6:7]
	v_mov_b32_e32 v6, s10
	s_xor_b64 exec, exec, s[6:7]
	s_cbranch_execnz .LBB49_3800
.LBB49_1750:
	s_or_b64 exec, exec, s[6:7]
	s_and_saveexec_b64 s[6:7], s[4:5]
	s_cbranch_execz .LBB49_1752
.LBB49_1751:
	v_bfe_u32 v3, v4, 16, 3
	v_ffbh_u32_e32 v10, v3
	v_min_u32_e32 v10, 32, v10
	v_lshrrev_b32_e32 v6, 19, v4
	v_subrev_u32_e32 v11, 28, v10
	v_and_b32_e32 v6, 15, v6
	v_lshlrev_b32_sdwa v11, v11, v4 dst_sel:DWORD dst_unused:UNUSED_PAD src0_sel:DWORD src1_sel:WORD_1
	v_bfe_u32 v7, v4, 19, 4
	v_sub_u32_e32 v10, 29, v10
	v_and_b32_e32 v11, 7, v11
	v_cmp_eq_u16_e32 vcc, 0, v6
	v_cndmask_b32_e32 v3, v3, v11, vcc
	v_cndmask_b32_e32 v6, v7, v10, vcc
	v_lshlrev_b32_e32 v7, 8, v4
	v_mov_b32_e32 v10, 0x3b800000
	v_lshlrev_b32_e32 v3, 20, v3
	v_and_b32_e32 v7, 0x80000000, v7
	v_lshl_add_u32 v6, v6, 23, v10
	v_or3_b32 v6, v7, v6, v3
.LBB49_1752:
	s_or_b64 exec, exec, s[6:7]
	s_nop 0
	v_mfma_f32_16x16x4f32 a[0:3], v2, v6, a[0:3]
	s_movk_i32 s4, 0x7f
	v_cmp_gt_i16_sdwa s[6:7], v8, s4 src0_sel:BYTE_3 src1_sel:DWORD
	s_mov_b64 s[4:5], 0
                                        ; implicit-def: $sgpr10
	s_and_saveexec_b64 s[8:9], s[6:7]
	s_xor_b64 s[6:7], exec, s[8:9]
	s_cbranch_execnz .LBB49_3801
; %bb.1753:
	s_or_saveexec_b64 s[6:7], s[6:7]
	v_mov_b32_e32 v2, s10
	s_xor_b64 exec, exec, s[6:7]
	s_cbranch_execnz .LBB49_3804
.LBB49_1754:
	s_or_b64 exec, exec, s[6:7]
	s_and_saveexec_b64 s[6:7], s[4:5]
	s_cbranch_execz .LBB49_1756
.LBB49_1755:
	v_bfe_u32 v2, v8, 24, 3
	v_ffbh_u32_e32 v10, v2
	v_min_u32_e32 v10, 32, v10
	v_lshrrev_b32_e32 v6, 27, v8
	v_subrev_u32_e32 v11, 28, v10
	v_and_b32_e32 v3, 0x80000000, v8
	v_and_b32_e32 v6, 15, v6
	v_bfe_u32 v7, v8, 27, 4
	v_lshlrev_b32_sdwa v8, v11, v8 dst_sel:DWORD dst_unused:UNUSED_PAD src0_sel:DWORD src1_sel:BYTE_3
	v_sub_u32_e32 v10, 29, v10
	v_and_b32_e32 v8, 7, v8
	v_cmp_eq_u16_e32 vcc, 0, v6
	v_cndmask_b32_e32 v2, v2, v8, vcc
	v_cndmask_b32_e32 v6, v7, v10, vcc
	v_mov_b32_e32 v7, 0x3b800000
	v_lshlrev_b32_e32 v2, 20, v2
	v_lshl_add_u32 v6, v6, 23, v7
	v_or3_b32 v2, v3, v6, v2
.LBB49_1756:
	s_or_b64 exec, exec, s[6:7]
	s_movk_i32 s4, 0x7f
	v_cmp_gt_i16_sdwa s[6:7], v4, s4 src0_sel:BYTE_3 src1_sel:DWORD
	s_mov_b64 s[4:5], 0
                                        ; implicit-def: $sgpr10
	s_and_saveexec_b64 s[8:9], s[6:7]
	s_xor_b64 s[6:7], exec, s[8:9]
	s_cbranch_execnz .LBB49_3805
; %bb.1757:
	s_or_saveexec_b64 s[6:7], s[6:7]
	v_mov_b32_e32 v3, s10
	s_xor_b64 exec, exec, s[6:7]
	s_cbranch_execnz .LBB49_3808
.LBB49_1758:
	s_or_b64 exec, exec, s[6:7]
	s_and_saveexec_b64 s[6:7], s[4:5]
	s_cbranch_execz .LBB49_1760
.LBB49_1759:
	v_bfe_u32 v3, v4, 24, 3
	v_ffbh_u32_e32 v10, v3
	v_min_u32_e32 v10, 32, v10
	v_lshrrev_b32_e32 v7, 27, v4
	v_subrev_u32_e32 v11, 28, v10
	v_and_b32_e32 v6, 0x80000000, v4
	v_and_b32_e32 v7, 15, v7
	v_bfe_u32 v8, v4, 27, 4
	v_lshlrev_b32_sdwa v4, v11, v4 dst_sel:DWORD dst_unused:UNUSED_PAD src0_sel:DWORD src1_sel:BYTE_3
	v_sub_u32_e32 v10, 29, v10
	v_and_b32_e32 v4, 7, v4
	v_cmp_eq_u16_e32 vcc, 0, v7
	v_cndmask_b32_e32 v3, v3, v4, vcc
	v_cndmask_b32_e32 v4, v8, v10, vcc
	v_mov_b32_e32 v7, 0x3b800000
	v_lshlrev_b32_e32 v3, 20, v3
	v_lshl_add_u32 v4, v4, 23, v7
	v_or3_b32 v3, v6, v4, v3
.LBB49_1760:
	s_or_b64 exec, exec, s[6:7]
	s_nop 0
	v_mfma_f32_16x16x4f32 a[0:3], v2, v3, a[0:3]
	s_movk_i32 s4, 0x7f
	v_cmp_gt_i16_sdwa s[6:7], v9, s4 src0_sel:BYTE_0 src1_sel:DWORD
	s_mov_b64 s[4:5], 0
                                        ; implicit-def: $sgpr10
	s_and_saveexec_b64 s[8:9], s[6:7]
	s_xor_b64 s[6:7], exec, s[8:9]
	s_cbranch_execnz .LBB49_3809
; %bb.1761:
	s_or_saveexec_b64 s[6:7], s[6:7]
	v_mov_b32_e32 v2, s10
	s_xor_b64 exec, exec, s[6:7]
	s_cbranch_execnz .LBB49_3812
.LBB49_1762:
	s_or_b64 exec, exec, s[6:7]
	s_and_saveexec_b64 s[6:7], s[4:5]
	s_cbranch_execz .LBB49_1764
.LBB49_1763:
	v_mov_b32_e32 v2, 8
	v_and_b32_e32 v3, 7, v9
	v_lshrrev_b32_sdwa v2, v2, v9 dst_sel:BYTE_1 dst_unused:UNUSED_PAD src0_sel:DWORD src1_sel:DWORD
	v_ffbh_u32_e32 v4, v3
	v_or_b32_sdwa v2, v9, v2 dst_sel:DWORD dst_unused:UNUSED_PAD src0_sel:BYTE_0 src1_sel:DWORD
	v_min_u32_e32 v4, 32, v4
	v_lshrrev_b16_e32 v2, 3, v2
	v_subrev_u32_e32 v6, 28, v4
	v_and_b32_e32 v2, 15, v2
	v_lshlrev_b32_e32 v6, v6, v9
	v_sub_u32_e32 v4, 29, v4
	v_and_b32_e32 v6, 7, v6
	v_cmp_eq_u16_e32 vcc, 0, v2
	v_cndmask_b32_e32 v3, v3, v6, vcc
	v_cndmask_b32_e32 v2, v2, v4, vcc
	v_lshlrev_b32_e32 v4, 24, v9
	v_mov_b32_e32 v6, 0x3b800000
	v_lshlrev_b32_e32 v3, 20, v3
	v_and_b32_e32 v4, 0x80000000, v4
	v_lshl_add_u32 v2, v2, 23, v6
	v_or3_b32 v2, v4, v2, v3
.LBB49_1764:
	s_or_b64 exec, exec, s[6:7]
	s_movk_i32 s4, 0x7f
	v_cmp_gt_i16_sdwa s[6:7], v5, s4 src0_sel:BYTE_0 src1_sel:DWORD
	s_mov_b64 s[4:5], 0
                                        ; implicit-def: $sgpr10
	s_and_saveexec_b64 s[8:9], s[6:7]
	s_xor_b64 s[6:7], exec, s[8:9]
	s_cbranch_execnz .LBB49_3813
; %bb.1765:
	s_or_saveexec_b64 s[6:7], s[6:7]
	v_mov_b32_e32 v3, s10
	s_xor_b64 exec, exec, s[6:7]
	s_cbranch_execnz .LBB49_3816
.LBB49_1766:
	s_or_b64 exec, exec, s[6:7]
	s_and_saveexec_b64 s[6:7], s[4:5]
	s_cbranch_execz .LBB49_1768
.LBB49_1767:
	v_mov_b32_e32 v3, 8
	v_and_b32_e32 v4, 7, v5
	v_lshrrev_b32_sdwa v3, v3, v5 dst_sel:BYTE_1 dst_unused:UNUSED_PAD src0_sel:DWORD src1_sel:DWORD
	v_ffbh_u32_e32 v6, v4
	v_or_b32_sdwa v3, v5, v3 dst_sel:DWORD dst_unused:UNUSED_PAD src0_sel:BYTE_0 src1_sel:DWORD
	v_min_u32_e32 v6, 32, v6
	v_lshrrev_b16_e32 v3, 3, v3
	v_subrev_u32_e32 v7, 28, v6
	v_and_b32_e32 v3, 15, v3
	v_lshlrev_b32_e32 v7, v7, v5
	v_sub_u32_e32 v6, 29, v6
	v_and_b32_e32 v7, 7, v7
	v_cmp_eq_u16_e32 vcc, 0, v3
	v_cndmask_b32_e32 v4, v4, v7, vcc
	v_cndmask_b32_e32 v3, v3, v6, vcc
	v_lshlrev_b32_e32 v6, 24, v5
	v_mov_b32_e32 v7, 0x3b800000
	v_lshlrev_b32_e32 v4, 20, v4
	v_and_b32_e32 v6, 0x80000000, v6
	v_lshl_add_u32 v3, v3, 23, v7
	v_or3_b32 v3, v6, v3, v4
.LBB49_1768:
	s_or_b64 exec, exec, s[6:7]
	s_nop 0
	v_mfma_f32_16x16x4f32 a[0:3], v2, v3, a[0:3]
	v_lshrrev_b32_e32 v3, 8, v9
	s_movk_i32 s4, 0x7f
	v_cmp_gt_i16_sdwa s[6:7], v3, s4 src0_sel:BYTE_0 src1_sel:DWORD
	s_mov_b64 s[4:5], 0
                                        ; implicit-def: $sgpr10
	s_and_saveexec_b64 s[8:9], s[6:7]
	s_xor_b64 s[6:7], exec, s[8:9]
	s_cbranch_execnz .LBB49_3817
; %bb.1769:
	s_or_saveexec_b64 s[6:7], s[6:7]
	v_mov_b32_e32 v2, s10
	s_xor_b64 exec, exec, s[6:7]
	s_cbranch_execnz .LBB49_3820
.LBB49_1770:
	s_or_b64 exec, exec, s[6:7]
	s_and_saveexec_b64 s[6:7], s[4:5]
	s_cbranch_execz .LBB49_1772
.LBB49_1771:
	v_bfe_u32 v2, v9, 8, 3
	v_ffbh_u32_e32 v6, v2
	v_min_u32_e32 v6, 32, v6
	v_lshrrev_b16_e32 v4, 3, v3
	v_subrev_u32_e32 v7, 28, v6
	v_and_b32_e32 v4, 15, v4
	v_lshlrev_b32_e32 v3, v7, v3
	v_sub_u32_e32 v6, 29, v6
	v_and_b32_e32 v3, 7, v3
	v_cmp_eq_u16_e32 vcc, 0, v4
	v_cndmask_b32_e32 v2, v2, v3, vcc
	v_cndmask_b32_e32 v3, v4, v6, vcc
	v_lshlrev_b32_e32 v4, 16, v9
	v_mov_b32_e32 v6, 0x3b800000
	v_lshlrev_b32_e32 v2, 20, v2
	v_and_b32_e32 v4, 0x80000000, v4
	v_lshl_add_u32 v3, v3, 23, v6
	v_or3_b32 v2, v4, v3, v2
.LBB49_1772:
	s_or_b64 exec, exec, s[6:7]
	v_lshrrev_b32_e32 v3, 8, v5
	s_movk_i32 s4, 0x7f
	v_cmp_gt_i16_sdwa s[6:7], v3, s4 src0_sel:BYTE_0 src1_sel:DWORD
	s_mov_b64 s[4:5], 0
                                        ; implicit-def: $sgpr10
	s_and_saveexec_b64 s[8:9], s[6:7]
	s_xor_b64 s[6:7], exec, s[8:9]
	s_cbranch_execnz .LBB49_3821
; %bb.1773:
	s_or_saveexec_b64 s[6:7], s[6:7]
	v_mov_b32_e32 v4, s10
	s_xor_b64 exec, exec, s[6:7]
	s_cbranch_execnz .LBB49_3824
.LBB49_1774:
	s_or_b64 exec, exec, s[6:7]
	s_and_saveexec_b64 s[6:7], s[4:5]
	s_cbranch_execz .LBB49_1776
.LBB49_1775:
	v_bfe_u32 v4, v5, 8, 3
	v_ffbh_u32_e32 v7, v4
	v_min_u32_e32 v7, 32, v7
	v_lshrrev_b16_e32 v6, 3, v3
	v_subrev_u32_e32 v8, 28, v7
	v_and_b32_e32 v6, 15, v6
	v_lshlrev_b32_e32 v3, v8, v3
	v_sub_u32_e32 v7, 29, v7
	v_and_b32_e32 v3, 7, v3
	v_cmp_eq_u16_e32 vcc, 0, v6
	v_cndmask_b32_e32 v3, v4, v3, vcc
	v_cndmask_b32_e32 v4, v6, v7, vcc
	v_lshlrev_b32_e32 v6, 16, v5
	v_mov_b32_e32 v7, 0x3b800000
	v_lshlrev_b32_e32 v3, 20, v3
	v_and_b32_e32 v6, 0x80000000, v6
	v_lshl_add_u32 v4, v4, 23, v7
	v_or3_b32 v4, v6, v4, v3
.LBB49_1776:
	s_or_b64 exec, exec, s[6:7]
	s_nop 0
	v_mfma_f32_16x16x4f32 a[0:3], v2, v4, a[0:3]
	s_movk_i32 s4, 0xff
	v_and_b32_sdwa v3, v9, s4 dst_sel:DWORD dst_unused:UNUSED_PAD src0_sel:WORD_1 src1_sel:DWORD
	s_movk_i32 s4, 0x7f
	v_cmp_lt_i16_e32 vcc, s4, v3
	s_mov_b64 s[4:5], 0
                                        ; implicit-def: $sgpr10
	s_and_saveexec_b64 s[6:7], vcc
	s_xor_b64 s[6:7], exec, s[6:7]
	s_cbranch_execnz .LBB49_3825
; %bb.1777:
	s_or_saveexec_b64 s[6:7], s[6:7]
	v_mov_b32_e32 v2, s10
	s_xor_b64 exec, exec, s[6:7]
	s_cbranch_execnz .LBB49_3828
.LBB49_1778:
	s_or_b64 exec, exec, s[6:7]
	s_and_saveexec_b64 s[6:7], s[4:5]
	s_cbranch_execz .LBB49_1780
.LBB49_1779:
	v_bfe_u32 v2, v9, 16, 3
	v_ffbh_u32_e32 v6, v2
	v_min_u32_e32 v6, 32, v6
	v_lshrrev_b32_e32 v3, 19, v9
	v_subrev_u32_e32 v7, 28, v6
	v_and_b32_e32 v3, 15, v3
	v_lshlrev_b32_sdwa v7, v7, v9 dst_sel:DWORD dst_unused:UNUSED_PAD src0_sel:DWORD src1_sel:WORD_1
	v_bfe_u32 v4, v9, 19, 4
	v_sub_u32_e32 v6, 29, v6
	v_and_b32_e32 v7, 7, v7
	v_cmp_eq_u16_e32 vcc, 0, v3
	v_cndmask_b32_e32 v2, v2, v7, vcc
	v_cndmask_b32_e32 v3, v4, v6, vcc
	v_lshlrev_b32_e32 v4, 8, v9
	v_mov_b32_e32 v6, 0x3b800000
	v_lshlrev_b32_e32 v2, 20, v2
	v_and_b32_e32 v4, 0x80000000, v4
	v_lshl_add_u32 v3, v3, 23, v6
	v_or3_b32 v2, v4, v3, v2
.LBB49_1780:
	s_or_b64 exec, exec, s[6:7]
	s_movk_i32 s4, 0xff
	v_and_b32_sdwa v3, v5, s4 dst_sel:DWORD dst_unused:UNUSED_PAD src0_sel:WORD_1 src1_sel:DWORD
	s_movk_i32 s4, 0x7f
	v_cmp_lt_i16_e32 vcc, s4, v3
	s_mov_b64 s[4:5], 0
                                        ; implicit-def: $sgpr10
	s_and_saveexec_b64 s[6:7], vcc
	s_xor_b64 s[6:7], exec, s[6:7]
	s_cbranch_execnz .LBB49_3829
; %bb.1781:
	s_or_saveexec_b64 s[6:7], s[6:7]
	v_mov_b32_e32 v4, s10
	s_xor_b64 exec, exec, s[6:7]
	s_cbranch_execnz .LBB49_3832
.LBB49_1782:
	s_or_b64 exec, exec, s[6:7]
	s_and_saveexec_b64 s[6:7], s[4:5]
	s_cbranch_execz .LBB49_1784
.LBB49_1783:
	v_bfe_u32 v3, v5, 16, 3
	v_ffbh_u32_e32 v7, v3
	v_min_u32_e32 v7, 32, v7
	v_lshrrev_b32_e32 v4, 19, v5
	v_subrev_u32_e32 v8, 28, v7
	v_and_b32_e32 v4, 15, v4
	v_lshlrev_b32_sdwa v8, v8, v5 dst_sel:DWORD dst_unused:UNUSED_PAD src0_sel:DWORD src1_sel:WORD_1
	v_bfe_u32 v6, v5, 19, 4
	v_sub_u32_e32 v7, 29, v7
	v_and_b32_e32 v8, 7, v8
	v_cmp_eq_u16_e32 vcc, 0, v4
	v_cndmask_b32_e32 v3, v3, v8, vcc
	v_cndmask_b32_e32 v4, v6, v7, vcc
	v_lshlrev_b32_e32 v6, 8, v5
	v_mov_b32_e32 v7, 0x3b800000
	v_lshlrev_b32_e32 v3, 20, v3
	v_and_b32_e32 v6, 0x80000000, v6
	v_lshl_add_u32 v4, v4, 23, v7
	v_or3_b32 v4, v6, v4, v3
.LBB49_1784:
	s_or_b64 exec, exec, s[6:7]
	s_nop 0
	v_mfma_f32_16x16x4f32 a[0:3], v2, v4, a[0:3]
	s_movk_i32 s4, 0x7f
	v_cmp_gt_i16_sdwa s[6:7], v9, s4 src0_sel:BYTE_3 src1_sel:DWORD
	s_mov_b64 s[4:5], 0
                                        ; implicit-def: $sgpr10
	s_and_saveexec_b64 s[8:9], s[6:7]
	s_xor_b64 s[6:7], exec, s[8:9]
	s_cbranch_execnz .LBB49_3833
; %bb.1785:
	s_or_saveexec_b64 s[6:7], s[6:7]
	v_mov_b32_e32 v2, s10
	s_xor_b64 exec, exec, s[6:7]
	s_cbranch_execnz .LBB49_3836
.LBB49_1786:
	s_or_b64 exec, exec, s[6:7]
	s_and_saveexec_b64 s[6:7], s[4:5]
	s_cbranch_execz .LBB49_1788
.LBB49_1787:
	v_bfe_u32 v2, v9, 24, 3
	v_ffbh_u32_e32 v7, v2
	v_min_u32_e32 v7, 32, v7
	v_lshrrev_b32_e32 v4, 27, v9
	v_subrev_u32_e32 v8, 28, v7
	v_and_b32_e32 v4, 15, v4
	v_lshlrev_b32_sdwa v8, v8, v9 dst_sel:DWORD dst_unused:UNUSED_PAD src0_sel:DWORD src1_sel:BYTE_3
	v_bfe_u32 v6, v9, 27, 4
	v_sub_u32_e32 v7, 29, v7
	v_and_b32_e32 v8, 7, v8
	v_cmp_eq_u16_e32 vcc, 0, v4
	v_cndmask_b32_e32 v2, v2, v8, vcc
	v_cndmask_b32_e32 v4, v6, v7, vcc
	v_mov_b32_e32 v6, 0x3b800000
	v_and_b32_e32 v3, 0x80000000, v9
	v_lshlrev_b32_e32 v2, 20, v2
	v_lshl_add_u32 v4, v4, 23, v6
	v_or3_b32 v2, v3, v4, v2
.LBB49_1788:
	s_or_b64 exec, exec, s[6:7]
	s_movk_i32 s4, 0x7f
	v_cmp_gt_i16_sdwa s[6:7], v5, s4 src0_sel:BYTE_3 src1_sel:DWORD
	s_mov_b64 s[4:5], 0
                                        ; implicit-def: $sgpr10
	s_and_saveexec_b64 s[8:9], s[6:7]
	s_xor_b64 s[6:7], exec, s[8:9]
	s_cbranch_execnz .LBB49_3837
; %bb.1789:
	s_or_saveexec_b64 s[6:7], s[6:7]
	v_mov_b32_e32 v3, s10
	s_xor_b64 exec, exec, s[6:7]
	s_cbranch_execnz .LBB49_3840
.LBB49_1790:
	s_or_b64 exec, exec, s[6:7]
	s_and_saveexec_b64 s[6:7], s[4:5]
	s_cbranch_execz .LBB49_1792
.LBB49_1791:
	v_bfe_u32 v3, v5, 24, 3
	v_ffbh_u32_e32 v8, v3
	v_min_u32_e32 v8, 32, v8
	v_lshrrev_b32_e32 v6, 27, v5
	v_subrev_u32_e32 v9, 28, v8
	v_and_b32_e32 v4, 0x80000000, v5
	v_and_b32_e32 v6, 15, v6
	v_bfe_u32 v7, v5, 27, 4
	v_lshlrev_b32_sdwa v5, v9, v5 dst_sel:DWORD dst_unused:UNUSED_PAD src0_sel:DWORD src1_sel:BYTE_3
	v_sub_u32_e32 v8, 29, v8
	v_and_b32_e32 v5, 7, v5
	v_cmp_eq_u16_e32 vcc, 0, v6
	v_cndmask_b32_e32 v3, v3, v5, vcc
	v_cndmask_b32_e32 v5, v7, v8, vcc
	v_mov_b32_e32 v6, 0x3b800000
	v_lshlrev_b32_e32 v3, 20, v3
	v_lshl_add_u32 v5, v5, 23, v6
	v_or3_b32 v3, v4, v5, v3
.LBB49_1792:
	s_or_b64 exec, exec, s[6:7]
	s_nop 0
	v_mfma_f32_16x16x4f32 a[0:3], v2, v3, a[0:3]
	s_movk_i32 s4, 0x7f
                                        ; implicit-def: $sgpr10
	s_nop 7
	s_nop 1
	flat_store_dwordx4 v[18:19], a[0:3] offset:736
	flat_load_dwordx4 v[18:21], v[0:1] offset:8
	s_nop 0
	flat_load_dwordx2 v[16:17], v[0:1] offset:24
	s_waitcnt vmcnt(0) lgkmcnt(0)
	flat_load_dwordx4 v[12:15], v[18:19] offset:32
	flat_load_dwordx4 v[4:7], v[18:19] offset:48
	;; [unrolled: 1-line block ×4, first 2 shown]
	s_waitcnt vmcnt(0) lgkmcnt(0)
	v_cmp_gt_i16_sdwa s[6:7], v12, s4 src0_sel:BYTE_0 src1_sel:DWORD
	s_mov_b64 s[4:5], 0
	s_and_saveexec_b64 s[8:9], s[6:7]
	s_xor_b64 s[6:7], exec, s[8:9]
	s_cbranch_execnz .LBB49_3841
; %bb.1793:
	s_or_saveexec_b64 s[6:7], s[6:7]
	v_mov_b32_e32 v18, s10
	s_xor_b64 exec, exec, s[6:7]
	s_cbranch_execnz .LBB49_3844
.LBB49_1794:
	s_or_b64 exec, exec, s[6:7]
	s_and_saveexec_b64 s[6:7], s[4:5]
	s_cbranch_execz .LBB49_1796
.LBB49_1795:
	v_and_b32_e32 v18, 7, v12
	v_ffbh_u32_e32 v20, v18
	v_min_u32_e32 v20, 32, v20
	v_lshrrev_b16_e32 v19, 3, v12
	v_subrev_u32_e32 v21, 28, v20
	v_and_b32_e32 v19, 15, v19
	v_lshlrev_b32_e32 v21, v21, v12
	v_sub_u32_e32 v20, 29, v20
	v_and_b32_e32 v21, 7, v21
	v_cmp_eq_u16_e32 vcc, 0, v19
	v_cndmask_b32_e32 v18, v18, v21, vcc
	v_cndmask_b32_e32 v19, v19, v20, vcc
	v_lshlrev_b32_e32 v20, 24, v12
	v_mov_b32_e32 v21, 0x3b800000
	v_lshlrev_b32_e32 v18, 20, v18
	v_and_b32_e32 v20, 0x80000000, v20
	v_lshl_add_u32 v19, v19, 23, v21
	v_or3_b32 v18, v20, v19, v18
.LBB49_1796:
	s_or_b64 exec, exec, s[6:7]
	s_movk_i32 s4, 0x7f
	v_cmp_gt_i16_sdwa s[6:7], v8, s4 src0_sel:BYTE_0 src1_sel:DWORD
	s_mov_b64 s[4:5], 0
                                        ; implicit-def: $sgpr10
	s_and_saveexec_b64 s[8:9], s[6:7]
	s_xor_b64 s[6:7], exec, s[8:9]
	s_cbranch_execnz .LBB49_3845
; %bb.1797:
	s_or_saveexec_b64 s[6:7], s[6:7]
	v_mov_b32_e32 v19, s10
	s_xor_b64 exec, exec, s[6:7]
	s_cbranch_execnz .LBB49_3848
.LBB49_1798:
	s_or_b64 exec, exec, s[6:7]
	s_and_saveexec_b64 s[6:7], s[4:5]
	s_cbranch_execz .LBB49_1800
.LBB49_1799:
	v_and_b32_e32 v19, 7, v8
	v_ffbh_u32_e32 v21, v19
	v_min_u32_e32 v21, 32, v21
	v_lshrrev_b16_e32 v20, 3, v8
	v_subrev_u32_e32 v22, 28, v21
	v_and_b32_e32 v20, 15, v20
	v_lshlrev_b32_e32 v22, v22, v8
	v_sub_u32_e32 v21, 29, v21
	v_and_b32_e32 v22, 7, v22
	v_cmp_eq_u16_e32 vcc, 0, v20
	v_cndmask_b32_e32 v19, v19, v22, vcc
	v_cndmask_b32_e32 v20, v20, v21, vcc
	v_lshlrev_b32_e32 v21, 24, v8
	v_mov_b32_e32 v22, 0x3b800000
	v_lshlrev_b32_e32 v19, 20, v19
	v_and_b32_e32 v21, 0x80000000, v21
	v_lshl_add_u32 v20, v20, 23, v22
	v_or3_b32 v19, v21, v20, v19
.LBB49_1800:
	s_or_b64 exec, exec, s[6:7]
	flat_load_dwordx4 a[0:3], v[16:17] offset:752
	s_movk_i32 s4, 0x7f
                                        ; implicit-def: $sgpr10
	s_waitcnt vmcnt(0) lgkmcnt(0)
	v_mfma_f32_16x16x4f32 a[0:3], v18, v19, a[0:3]
	v_lshrrev_b32_e32 v19, 8, v12
	v_cmp_gt_i16_sdwa s[6:7], v19, s4 src0_sel:BYTE_0 src1_sel:DWORD
	s_mov_b64 s[4:5], 0
	s_and_saveexec_b64 s[8:9], s[6:7]
	s_xor_b64 s[6:7], exec, s[8:9]
	s_cbranch_execnz .LBB49_3849
; %bb.1801:
	s_or_saveexec_b64 s[6:7], s[6:7]
	v_mov_b32_e32 v18, s10
	s_xor_b64 exec, exec, s[6:7]
	s_cbranch_execnz .LBB49_3852
.LBB49_1802:
	s_or_b64 exec, exec, s[6:7]
	s_and_saveexec_b64 s[6:7], s[4:5]
	s_cbranch_execz .LBB49_1804
.LBB49_1803:
	v_bfe_u32 v18, v12, 8, 3
	v_ffbh_u32_e32 v21, v18
	v_min_u32_e32 v21, 32, v21
	v_lshrrev_b16_e32 v20, 3, v19
	v_subrev_u32_e32 v22, 28, v21
	v_and_b32_e32 v20, 15, v20
	v_lshlrev_b32_e32 v19, v22, v19
	v_sub_u32_e32 v21, 29, v21
	v_and_b32_e32 v19, 7, v19
	v_cmp_eq_u16_e32 vcc, 0, v20
	v_cndmask_b32_e32 v18, v18, v19, vcc
	v_cndmask_b32_e32 v19, v20, v21, vcc
	v_lshlrev_b32_e32 v20, 16, v12
	v_mov_b32_e32 v21, 0x3b800000
	v_lshlrev_b32_e32 v18, 20, v18
	v_and_b32_e32 v20, 0x80000000, v20
	v_lshl_add_u32 v19, v19, 23, v21
	v_or3_b32 v18, v20, v19, v18
.LBB49_1804:
	s_or_b64 exec, exec, s[6:7]
	v_lshrrev_b32_e32 v19, 8, v8
	s_movk_i32 s4, 0x7f
	v_cmp_gt_i16_sdwa s[6:7], v19, s4 src0_sel:BYTE_0 src1_sel:DWORD
	s_mov_b64 s[4:5], 0
                                        ; implicit-def: $sgpr10
	s_and_saveexec_b64 s[8:9], s[6:7]
	s_xor_b64 s[6:7], exec, s[8:9]
	s_cbranch_execnz .LBB49_3853
; %bb.1805:
	s_or_saveexec_b64 s[6:7], s[6:7]
	v_mov_b32_e32 v20, s10
	s_xor_b64 exec, exec, s[6:7]
	s_cbranch_execnz .LBB49_3856
.LBB49_1806:
	s_or_b64 exec, exec, s[6:7]
	s_and_saveexec_b64 s[6:7], s[4:5]
	s_cbranch_execz .LBB49_1808
.LBB49_1807:
	v_bfe_u32 v20, v8, 8, 3
	v_ffbh_u32_e32 v22, v20
	v_min_u32_e32 v22, 32, v22
	v_lshrrev_b16_e32 v21, 3, v19
	v_subrev_u32_e32 v23, 28, v22
	v_and_b32_e32 v21, 15, v21
	v_lshlrev_b32_e32 v19, v23, v19
	v_sub_u32_e32 v22, 29, v22
	v_and_b32_e32 v19, 7, v19
	v_cmp_eq_u16_e32 vcc, 0, v21
	v_cndmask_b32_e32 v19, v20, v19, vcc
	v_cndmask_b32_e32 v20, v21, v22, vcc
	v_lshlrev_b32_e32 v21, 16, v8
	v_mov_b32_e32 v22, 0x3b800000
	v_lshlrev_b32_e32 v19, 20, v19
	v_and_b32_e32 v21, 0x80000000, v21
	v_lshl_add_u32 v20, v20, 23, v22
	v_or3_b32 v20, v21, v20, v19
.LBB49_1808:
	s_or_b64 exec, exec, s[6:7]
	s_nop 0
	v_mfma_f32_16x16x4f32 a[0:3], v18, v20, a[0:3]
	s_movk_i32 s4, 0xff
	v_and_b32_sdwa v19, v12, s4 dst_sel:DWORD dst_unused:UNUSED_PAD src0_sel:WORD_1 src1_sel:DWORD
	s_movk_i32 s4, 0x7f
	v_cmp_lt_i16_e32 vcc, s4, v19
	s_mov_b64 s[4:5], 0
                                        ; implicit-def: $sgpr10
	s_and_saveexec_b64 s[6:7], vcc
	s_xor_b64 s[6:7], exec, s[6:7]
	s_cbranch_execnz .LBB49_3857
; %bb.1809:
	s_or_saveexec_b64 s[6:7], s[6:7]
	v_mov_b32_e32 v18, s10
	s_xor_b64 exec, exec, s[6:7]
	s_cbranch_execnz .LBB49_3860
.LBB49_1810:
	s_or_b64 exec, exec, s[6:7]
	s_and_saveexec_b64 s[6:7], s[4:5]
	s_cbranch_execz .LBB49_1812
.LBB49_1811:
	v_bfe_u32 v18, v12, 16, 3
	v_ffbh_u32_e32 v21, v18
	v_min_u32_e32 v21, 32, v21
	v_lshrrev_b32_e32 v19, 19, v12
	v_subrev_u32_e32 v22, 28, v21
	v_and_b32_e32 v19, 15, v19
	v_lshlrev_b32_sdwa v22, v22, v12 dst_sel:DWORD dst_unused:UNUSED_PAD src0_sel:DWORD src1_sel:WORD_1
	v_bfe_u32 v20, v12, 19, 4
	v_sub_u32_e32 v21, 29, v21
	v_and_b32_e32 v22, 7, v22
	v_cmp_eq_u16_e32 vcc, 0, v19
	v_cndmask_b32_e32 v18, v18, v22, vcc
	v_cndmask_b32_e32 v19, v20, v21, vcc
	v_lshlrev_b32_e32 v20, 8, v12
	v_mov_b32_e32 v21, 0x3b800000
	v_lshlrev_b32_e32 v18, 20, v18
	v_and_b32_e32 v20, 0x80000000, v20
	v_lshl_add_u32 v19, v19, 23, v21
	v_or3_b32 v18, v20, v19, v18
.LBB49_1812:
	s_or_b64 exec, exec, s[6:7]
	s_movk_i32 s4, 0xff
	v_and_b32_sdwa v19, v8, s4 dst_sel:DWORD dst_unused:UNUSED_PAD src0_sel:WORD_1 src1_sel:DWORD
	s_movk_i32 s4, 0x7f
	v_cmp_lt_i16_e32 vcc, s4, v19
	s_mov_b64 s[4:5], 0
                                        ; implicit-def: $sgpr10
	s_and_saveexec_b64 s[6:7], vcc
	s_xor_b64 s[6:7], exec, s[6:7]
	s_cbranch_execnz .LBB49_3861
; %bb.1813:
	s_or_saveexec_b64 s[6:7], s[6:7]
	v_mov_b32_e32 v20, s10
	s_xor_b64 exec, exec, s[6:7]
	s_cbranch_execnz .LBB49_3864
.LBB49_1814:
	s_or_b64 exec, exec, s[6:7]
	s_and_saveexec_b64 s[6:7], s[4:5]
	s_cbranch_execz .LBB49_1816
.LBB49_1815:
	v_bfe_u32 v19, v8, 16, 3
	v_ffbh_u32_e32 v22, v19
	v_min_u32_e32 v22, 32, v22
	v_lshrrev_b32_e32 v20, 19, v8
	v_subrev_u32_e32 v23, 28, v22
	v_and_b32_e32 v20, 15, v20
	v_lshlrev_b32_sdwa v23, v23, v8 dst_sel:DWORD dst_unused:UNUSED_PAD src0_sel:DWORD src1_sel:WORD_1
	v_bfe_u32 v21, v8, 19, 4
	v_sub_u32_e32 v22, 29, v22
	v_and_b32_e32 v23, 7, v23
	v_cmp_eq_u16_e32 vcc, 0, v20
	v_cndmask_b32_e32 v19, v19, v23, vcc
	v_cndmask_b32_e32 v20, v21, v22, vcc
	v_lshlrev_b32_e32 v21, 8, v8
	v_mov_b32_e32 v22, 0x3b800000
	v_lshlrev_b32_e32 v19, 20, v19
	v_and_b32_e32 v21, 0x80000000, v21
	v_lshl_add_u32 v20, v20, 23, v22
	v_or3_b32 v20, v21, v20, v19
.LBB49_1816:
	s_or_b64 exec, exec, s[6:7]
	s_nop 0
	v_mfma_f32_16x16x4f32 a[0:3], v18, v20, a[0:3]
	s_movk_i32 s4, 0x7f
	v_cmp_gt_i16_sdwa s[6:7], v12, s4 src0_sel:BYTE_3 src1_sel:DWORD
	s_mov_b64 s[4:5], 0
                                        ; implicit-def: $sgpr10
	s_and_saveexec_b64 s[8:9], s[6:7]
	s_xor_b64 s[6:7], exec, s[8:9]
	s_cbranch_execnz .LBB49_3865
; %bb.1817:
	s_or_saveexec_b64 s[6:7], s[6:7]
	v_mov_b32_e32 v18, s10
	s_xor_b64 exec, exec, s[6:7]
	s_cbranch_execnz .LBB49_3868
.LBB49_1818:
	s_or_b64 exec, exec, s[6:7]
	s_and_saveexec_b64 s[6:7], s[4:5]
	s_cbranch_execz .LBB49_1820
.LBB49_1819:
	v_bfe_u32 v18, v12, 24, 3
	v_ffbh_u32_e32 v22, v18
	v_min_u32_e32 v22, 32, v22
	v_lshrrev_b32_e32 v20, 27, v12
	v_subrev_u32_e32 v23, 28, v22
	v_and_b32_e32 v19, 0x80000000, v12
	v_and_b32_e32 v20, 15, v20
	v_bfe_u32 v21, v12, 27, 4
	v_lshlrev_b32_sdwa v12, v23, v12 dst_sel:DWORD dst_unused:UNUSED_PAD src0_sel:DWORD src1_sel:BYTE_3
	v_sub_u32_e32 v22, 29, v22
	v_and_b32_e32 v12, 7, v12
	v_cmp_eq_u16_e32 vcc, 0, v20
	v_cndmask_b32_e32 v12, v18, v12, vcc
	v_cndmask_b32_e32 v18, v21, v22, vcc
	v_mov_b32_e32 v20, 0x3b800000
	v_lshlrev_b32_e32 v12, 20, v12
	v_lshl_add_u32 v18, v18, 23, v20
	v_or3_b32 v18, v19, v18, v12
.LBB49_1820:
	s_or_b64 exec, exec, s[6:7]
	s_movk_i32 s4, 0x7f
	v_cmp_gt_i16_sdwa s[6:7], v8, s4 src0_sel:BYTE_3 src1_sel:DWORD
	s_mov_b64 s[4:5], 0
                                        ; implicit-def: $sgpr10
	s_and_saveexec_b64 s[8:9], s[6:7]
	s_xor_b64 s[6:7], exec, s[8:9]
	s_cbranch_execnz .LBB49_3869
; %bb.1821:
	s_or_saveexec_b64 s[6:7], s[6:7]
	v_mov_b32_e32 v12, s10
	s_xor_b64 exec, exec, s[6:7]
	s_cbranch_execnz .LBB49_3872
.LBB49_1822:
	s_or_b64 exec, exec, s[6:7]
	s_and_saveexec_b64 s[6:7], s[4:5]
	s_cbranch_execz .LBB49_1824
.LBB49_1823:
	v_bfe_u32 v12, v8, 24, 3
	v_ffbh_u32_e32 v22, v12
	v_min_u32_e32 v22, 32, v22
	v_lshrrev_b32_e32 v20, 27, v8
	v_subrev_u32_e32 v23, 28, v22
	v_and_b32_e32 v19, 0x80000000, v8
	v_and_b32_e32 v20, 15, v20
	v_bfe_u32 v21, v8, 27, 4
	v_lshlrev_b32_sdwa v8, v23, v8 dst_sel:DWORD dst_unused:UNUSED_PAD src0_sel:DWORD src1_sel:BYTE_3
	v_sub_u32_e32 v22, 29, v22
	v_and_b32_e32 v8, 7, v8
	v_cmp_eq_u16_e32 vcc, 0, v20
	v_cndmask_b32_e32 v8, v12, v8, vcc
	v_cndmask_b32_e32 v12, v21, v22, vcc
	v_mov_b32_e32 v20, 0x3b800000
	v_lshlrev_b32_e32 v8, 20, v8
	v_lshl_add_u32 v12, v12, 23, v20
	v_or3_b32 v12, v19, v12, v8
.LBB49_1824:
	s_or_b64 exec, exec, s[6:7]
	s_nop 0
	v_mfma_f32_16x16x4f32 a[0:3], v18, v12, a[0:3]
	s_movk_i32 s4, 0x7f
	v_cmp_gt_i16_sdwa s[6:7], v13, s4 src0_sel:BYTE_0 src1_sel:DWORD
	s_mov_b64 s[4:5], 0
                                        ; implicit-def: $sgpr10
	s_and_saveexec_b64 s[8:9], s[6:7]
	s_xor_b64 s[6:7], exec, s[8:9]
	s_cbranch_execnz .LBB49_3873
; %bb.1825:
	s_or_saveexec_b64 s[6:7], s[6:7]
	v_mov_b32_e32 v8, s10
	s_xor_b64 exec, exec, s[6:7]
	s_cbranch_execnz .LBB49_3876
.LBB49_1826:
	s_or_b64 exec, exec, s[6:7]
	s_and_saveexec_b64 s[6:7], s[4:5]
	s_cbranch_execz .LBB49_1828
.LBB49_1827:
	v_and_b32_e32 v8, 7, v13
	v_ffbh_u32_e32 v18, v8
	v_min_u32_e32 v18, 32, v18
	v_lshrrev_b16_e32 v12, 3, v13
	v_subrev_u32_e32 v19, 28, v18
	v_and_b32_e32 v12, 15, v12
	v_lshlrev_b32_e32 v19, v19, v13
	v_sub_u32_e32 v18, 29, v18
	v_and_b32_e32 v19, 7, v19
	v_cmp_eq_u16_e32 vcc, 0, v12
	v_cndmask_b32_e32 v8, v8, v19, vcc
	v_cndmask_b32_e32 v12, v12, v18, vcc
	v_lshlrev_b32_e32 v18, 24, v13
	v_mov_b32_e32 v19, 0x3b800000
	v_lshlrev_b32_e32 v8, 20, v8
	v_and_b32_e32 v18, 0x80000000, v18
	v_lshl_add_u32 v12, v12, 23, v19
	v_or3_b32 v8, v18, v12, v8
.LBB49_1828:
	s_or_b64 exec, exec, s[6:7]
	s_movk_i32 s4, 0x7f
	v_cmp_gt_i16_sdwa s[6:7], v9, s4 src0_sel:BYTE_0 src1_sel:DWORD
	s_mov_b64 s[4:5], 0
                                        ; implicit-def: $sgpr10
	s_and_saveexec_b64 s[8:9], s[6:7]
	s_xor_b64 s[6:7], exec, s[8:9]
	s_cbranch_execnz .LBB49_3877
; %bb.1829:
	s_or_saveexec_b64 s[6:7], s[6:7]
	v_mov_b32_e32 v12, s10
	s_xor_b64 exec, exec, s[6:7]
	s_cbranch_execnz .LBB49_3880
.LBB49_1830:
	s_or_b64 exec, exec, s[6:7]
	s_and_saveexec_b64 s[6:7], s[4:5]
	s_cbranch_execz .LBB49_1832
.LBB49_1831:
	v_and_b32_e32 v12, 7, v9
	v_ffbh_u32_e32 v19, v12
	v_min_u32_e32 v19, 32, v19
	v_lshrrev_b16_e32 v18, 3, v9
	v_subrev_u32_e32 v20, 28, v19
	v_and_b32_e32 v18, 15, v18
	v_lshlrev_b32_e32 v20, v20, v9
	v_sub_u32_e32 v19, 29, v19
	v_and_b32_e32 v20, 7, v20
	v_cmp_eq_u16_e32 vcc, 0, v18
	v_cndmask_b32_e32 v12, v12, v20, vcc
	v_cndmask_b32_e32 v18, v18, v19, vcc
	v_lshlrev_b32_e32 v19, 24, v9
	v_mov_b32_e32 v20, 0x3b800000
	v_lshlrev_b32_e32 v12, 20, v12
	v_and_b32_e32 v19, 0x80000000, v19
	v_lshl_add_u32 v18, v18, 23, v20
	v_or3_b32 v12, v19, v18, v12
.LBB49_1832:
	s_or_b64 exec, exec, s[6:7]
	s_nop 0
	v_mfma_f32_16x16x4f32 a[0:3], v8, v12, a[0:3]
	v_lshrrev_b32_e32 v12, 8, v13
	s_movk_i32 s4, 0x7f
	v_cmp_gt_i16_sdwa s[6:7], v12, s4 src0_sel:BYTE_0 src1_sel:DWORD
	s_mov_b64 s[4:5], 0
                                        ; implicit-def: $sgpr10
	s_and_saveexec_b64 s[8:9], s[6:7]
	s_xor_b64 s[6:7], exec, s[8:9]
	s_cbranch_execnz .LBB49_3881
; %bb.1833:
	s_or_saveexec_b64 s[6:7], s[6:7]
	v_mov_b32_e32 v8, s10
	s_xor_b64 exec, exec, s[6:7]
	s_cbranch_execnz .LBB49_3884
.LBB49_1834:
	s_or_b64 exec, exec, s[6:7]
	s_and_saveexec_b64 s[6:7], s[4:5]
	s_cbranch_execz .LBB49_1836
.LBB49_1835:
	v_bfe_u32 v8, v13, 8, 3
	v_ffbh_u32_e32 v19, v8
	v_min_u32_e32 v19, 32, v19
	v_lshrrev_b16_e32 v18, 3, v12
	v_subrev_u32_e32 v20, 28, v19
	v_and_b32_e32 v18, 15, v18
	v_lshlrev_b32_e32 v12, v20, v12
	v_sub_u32_e32 v19, 29, v19
	v_and_b32_e32 v12, 7, v12
	v_cmp_eq_u16_e32 vcc, 0, v18
	v_cndmask_b32_e32 v8, v8, v12, vcc
	v_cndmask_b32_e32 v12, v18, v19, vcc
	v_lshlrev_b32_e32 v18, 16, v13
	v_mov_b32_e32 v19, 0x3b800000
	v_lshlrev_b32_e32 v8, 20, v8
	v_and_b32_e32 v18, 0x80000000, v18
	v_lshl_add_u32 v12, v12, 23, v19
	v_or3_b32 v8, v18, v12, v8
.LBB49_1836:
	s_or_b64 exec, exec, s[6:7]
	v_lshrrev_b32_e32 v12, 8, v9
	s_movk_i32 s4, 0x7f
	v_cmp_gt_i16_sdwa s[6:7], v12, s4 src0_sel:BYTE_0 src1_sel:DWORD
	s_mov_b64 s[4:5], 0
                                        ; implicit-def: $sgpr10
	s_and_saveexec_b64 s[8:9], s[6:7]
	s_xor_b64 s[6:7], exec, s[8:9]
	s_cbranch_execnz .LBB49_3885
; %bb.1837:
	s_or_saveexec_b64 s[6:7], s[6:7]
	v_mov_b32_e32 v18, s10
	s_xor_b64 exec, exec, s[6:7]
	s_cbranch_execnz .LBB49_3888
.LBB49_1838:
	s_or_b64 exec, exec, s[6:7]
	s_and_saveexec_b64 s[6:7], s[4:5]
	s_cbranch_execz .LBB49_1840
.LBB49_1839:
	v_bfe_u32 v18, v9, 8, 3
	v_ffbh_u32_e32 v20, v18
	v_min_u32_e32 v20, 32, v20
	v_lshrrev_b16_e32 v19, 3, v12
	v_subrev_u32_e32 v21, 28, v20
	v_and_b32_e32 v19, 15, v19
	v_lshlrev_b32_e32 v12, v21, v12
	v_sub_u32_e32 v20, 29, v20
	v_and_b32_e32 v12, 7, v12
	v_cmp_eq_u16_e32 vcc, 0, v19
	v_cndmask_b32_e32 v12, v18, v12, vcc
	v_cndmask_b32_e32 v18, v19, v20, vcc
	v_lshlrev_b32_e32 v19, 16, v9
	v_mov_b32_e32 v20, 0x3b800000
	v_lshlrev_b32_e32 v12, 20, v12
	v_and_b32_e32 v19, 0x80000000, v19
	v_lshl_add_u32 v18, v18, 23, v20
	v_or3_b32 v18, v19, v18, v12
.LBB49_1840:
	s_or_b64 exec, exec, s[6:7]
	s_nop 0
	v_mfma_f32_16x16x4f32 a[0:3], v8, v18, a[0:3]
	s_movk_i32 s4, 0xff
	v_and_b32_sdwa v12, v13, s4 dst_sel:DWORD dst_unused:UNUSED_PAD src0_sel:WORD_1 src1_sel:DWORD
	s_movk_i32 s4, 0x7f
	v_cmp_lt_i16_e32 vcc, s4, v12
	s_mov_b64 s[4:5], 0
                                        ; implicit-def: $sgpr10
	s_and_saveexec_b64 s[6:7], vcc
	s_xor_b64 s[6:7], exec, s[6:7]
	s_cbranch_execnz .LBB49_3889
; %bb.1841:
	s_or_saveexec_b64 s[6:7], s[6:7]
	v_mov_b32_e32 v8, s10
	s_xor_b64 exec, exec, s[6:7]
	s_cbranch_execnz .LBB49_3892
.LBB49_1842:
	s_or_b64 exec, exec, s[6:7]
	s_and_saveexec_b64 s[6:7], s[4:5]
	s_cbranch_execz .LBB49_1844
.LBB49_1843:
	v_bfe_u32 v8, v13, 16, 3
	v_ffbh_u32_e32 v19, v8
	v_min_u32_e32 v19, 32, v19
	v_lshrrev_b32_e32 v12, 19, v13
	v_subrev_u32_e32 v20, 28, v19
	v_and_b32_e32 v12, 15, v12
	v_lshlrev_b32_sdwa v20, v20, v13 dst_sel:DWORD dst_unused:UNUSED_PAD src0_sel:DWORD src1_sel:WORD_1
	v_bfe_u32 v18, v13, 19, 4
	v_sub_u32_e32 v19, 29, v19
	v_and_b32_e32 v20, 7, v20
	v_cmp_eq_u16_e32 vcc, 0, v12
	v_cndmask_b32_e32 v8, v8, v20, vcc
	v_cndmask_b32_e32 v12, v18, v19, vcc
	v_lshlrev_b32_e32 v18, 8, v13
	v_mov_b32_e32 v19, 0x3b800000
	v_lshlrev_b32_e32 v8, 20, v8
	v_and_b32_e32 v18, 0x80000000, v18
	v_lshl_add_u32 v12, v12, 23, v19
	v_or3_b32 v8, v18, v12, v8
.LBB49_1844:
	s_or_b64 exec, exec, s[6:7]
	s_movk_i32 s4, 0xff
	v_and_b32_sdwa v12, v9, s4 dst_sel:DWORD dst_unused:UNUSED_PAD src0_sel:WORD_1 src1_sel:DWORD
	s_movk_i32 s4, 0x7f
	v_cmp_lt_i16_e32 vcc, s4, v12
	s_mov_b64 s[4:5], 0
                                        ; implicit-def: $sgpr10
	s_and_saveexec_b64 s[6:7], vcc
	s_xor_b64 s[6:7], exec, s[6:7]
	s_cbranch_execnz .LBB49_3893
; %bb.1845:
	s_or_saveexec_b64 s[6:7], s[6:7]
	v_mov_b32_e32 v18, s10
	s_xor_b64 exec, exec, s[6:7]
	s_cbranch_execnz .LBB49_3896
.LBB49_1846:
	s_or_b64 exec, exec, s[6:7]
	s_and_saveexec_b64 s[6:7], s[4:5]
	s_cbranch_execz .LBB49_1848
.LBB49_1847:
	v_bfe_u32 v12, v9, 16, 3
	v_ffbh_u32_e32 v20, v12
	v_min_u32_e32 v20, 32, v20
	v_lshrrev_b32_e32 v18, 19, v9
	v_subrev_u32_e32 v21, 28, v20
	v_and_b32_e32 v18, 15, v18
	v_lshlrev_b32_sdwa v21, v21, v9 dst_sel:DWORD dst_unused:UNUSED_PAD src0_sel:DWORD src1_sel:WORD_1
	v_bfe_u32 v19, v9, 19, 4
	v_sub_u32_e32 v20, 29, v20
	v_and_b32_e32 v21, 7, v21
	v_cmp_eq_u16_e32 vcc, 0, v18
	v_cndmask_b32_e32 v12, v12, v21, vcc
	v_cndmask_b32_e32 v18, v19, v20, vcc
	v_lshlrev_b32_e32 v19, 8, v9
	v_mov_b32_e32 v20, 0x3b800000
	v_lshlrev_b32_e32 v12, 20, v12
	v_and_b32_e32 v19, 0x80000000, v19
	v_lshl_add_u32 v18, v18, 23, v20
	v_or3_b32 v18, v19, v18, v12
.LBB49_1848:
	s_or_b64 exec, exec, s[6:7]
	s_nop 0
	v_mfma_f32_16x16x4f32 a[0:3], v8, v18, a[0:3]
	s_movk_i32 s4, 0x7f
	v_cmp_gt_i16_sdwa s[6:7], v13, s4 src0_sel:BYTE_3 src1_sel:DWORD
	s_mov_b64 s[4:5], 0
                                        ; implicit-def: $sgpr10
	s_and_saveexec_b64 s[8:9], s[6:7]
	s_xor_b64 s[6:7], exec, s[8:9]
	s_cbranch_execnz .LBB49_3897
; %bb.1849:
	s_or_saveexec_b64 s[6:7], s[6:7]
	v_mov_b32_e32 v8, s10
	s_xor_b64 exec, exec, s[6:7]
	s_cbranch_execnz .LBB49_3900
.LBB49_1850:
	s_or_b64 exec, exec, s[6:7]
	s_and_saveexec_b64 s[6:7], s[4:5]
	s_cbranch_execz .LBB49_1852
.LBB49_1851:
	v_bfe_u32 v8, v13, 24, 3
	v_ffbh_u32_e32 v20, v8
	v_min_u32_e32 v20, 32, v20
	v_lshrrev_b32_e32 v18, 27, v13
	v_subrev_u32_e32 v21, 28, v20
	v_and_b32_e32 v12, 0x80000000, v13
	v_and_b32_e32 v18, 15, v18
	v_bfe_u32 v19, v13, 27, 4
	v_lshlrev_b32_sdwa v13, v21, v13 dst_sel:DWORD dst_unused:UNUSED_PAD src0_sel:DWORD src1_sel:BYTE_3
	v_sub_u32_e32 v20, 29, v20
	v_and_b32_e32 v13, 7, v13
	v_cmp_eq_u16_e32 vcc, 0, v18
	v_cndmask_b32_e32 v8, v8, v13, vcc
	v_cndmask_b32_e32 v13, v19, v20, vcc
	v_mov_b32_e32 v18, 0x3b800000
	v_lshlrev_b32_e32 v8, 20, v8
	v_lshl_add_u32 v13, v13, 23, v18
	v_or3_b32 v8, v12, v13, v8
.LBB49_1852:
	s_or_b64 exec, exec, s[6:7]
	s_movk_i32 s4, 0x7f
	v_cmp_gt_i16_sdwa s[6:7], v9, s4 src0_sel:BYTE_3 src1_sel:DWORD
	s_mov_b64 s[4:5], 0
                                        ; implicit-def: $sgpr10
	s_and_saveexec_b64 s[8:9], s[6:7]
	s_xor_b64 s[6:7], exec, s[8:9]
	s_cbranch_execnz .LBB49_3901
; %bb.1853:
	s_or_saveexec_b64 s[6:7], s[6:7]
	v_mov_b32_e32 v12, s10
	s_xor_b64 exec, exec, s[6:7]
	s_cbranch_execnz .LBB49_3904
.LBB49_1854:
	s_or_b64 exec, exec, s[6:7]
	s_and_saveexec_b64 s[6:7], s[4:5]
	s_cbranch_execz .LBB49_1856
.LBB49_1855:
	v_bfe_u32 v12, v9, 24, 3
	v_ffbh_u32_e32 v20, v12
	v_min_u32_e32 v20, 32, v20
	v_lshrrev_b32_e32 v18, 27, v9
	v_subrev_u32_e32 v21, 28, v20
	v_and_b32_e32 v13, 0x80000000, v9
	v_and_b32_e32 v18, 15, v18
	v_bfe_u32 v19, v9, 27, 4
	v_lshlrev_b32_sdwa v9, v21, v9 dst_sel:DWORD dst_unused:UNUSED_PAD src0_sel:DWORD src1_sel:BYTE_3
	v_sub_u32_e32 v20, 29, v20
	v_and_b32_e32 v9, 7, v9
	v_cmp_eq_u16_e32 vcc, 0, v18
	v_cndmask_b32_e32 v9, v12, v9, vcc
	v_cndmask_b32_e32 v12, v19, v20, vcc
	v_mov_b32_e32 v18, 0x3b800000
	v_lshlrev_b32_e32 v9, 20, v9
	v_lshl_add_u32 v12, v12, 23, v18
	v_or3_b32 v12, v13, v12, v9
.LBB49_1856:
	s_or_b64 exec, exec, s[6:7]
	s_nop 0
	v_mfma_f32_16x16x4f32 a[0:3], v8, v12, a[0:3]
	s_movk_i32 s4, 0x7f
	v_cmp_gt_i16_sdwa s[6:7], v14, s4 src0_sel:BYTE_0 src1_sel:DWORD
	s_mov_b64 s[4:5], 0
                                        ; implicit-def: $sgpr10
	s_and_saveexec_b64 s[8:9], s[6:7]
	s_xor_b64 s[6:7], exec, s[8:9]
	s_cbranch_execnz .LBB49_3905
; %bb.1857:
	s_or_saveexec_b64 s[6:7], s[6:7]
	v_mov_b32_e32 v8, s10
	s_xor_b64 exec, exec, s[6:7]
	s_cbranch_execnz .LBB49_3908
.LBB49_1858:
	s_or_b64 exec, exec, s[6:7]
	s_and_saveexec_b64 s[6:7], s[4:5]
	s_cbranch_execz .LBB49_1860
.LBB49_1859:
	v_and_b32_e32 v8, 7, v14
	v_ffbh_u32_e32 v12, v8
	v_min_u32_e32 v12, 32, v12
	v_lshrrev_b16_e32 v9, 3, v14
	v_subrev_u32_e32 v13, 28, v12
	v_and_b32_e32 v9, 15, v9
	v_lshlrev_b32_e32 v13, v13, v14
	v_sub_u32_e32 v12, 29, v12
	v_and_b32_e32 v13, 7, v13
	v_cmp_eq_u16_e32 vcc, 0, v9
	v_cndmask_b32_e32 v8, v8, v13, vcc
	v_cndmask_b32_e32 v9, v9, v12, vcc
	v_lshlrev_b32_e32 v12, 24, v14
	v_mov_b32_e32 v13, 0x3b800000
	v_lshlrev_b32_e32 v8, 20, v8
	v_and_b32_e32 v12, 0x80000000, v12
	v_lshl_add_u32 v9, v9, 23, v13
	v_or3_b32 v8, v12, v9, v8
.LBB49_1860:
	s_or_b64 exec, exec, s[6:7]
	s_movk_i32 s4, 0x7f
	v_cmp_gt_i16_sdwa s[6:7], v10, s4 src0_sel:BYTE_0 src1_sel:DWORD
	s_mov_b64 s[4:5], 0
                                        ; implicit-def: $sgpr10
	s_and_saveexec_b64 s[8:9], s[6:7]
	s_xor_b64 s[6:7], exec, s[8:9]
	s_cbranch_execnz .LBB49_3909
; %bb.1861:
	s_or_saveexec_b64 s[6:7], s[6:7]
	v_mov_b32_e32 v9, s10
	s_xor_b64 exec, exec, s[6:7]
	s_cbranch_execnz .LBB49_3912
.LBB49_1862:
	s_or_b64 exec, exec, s[6:7]
	s_and_saveexec_b64 s[6:7], s[4:5]
	s_cbranch_execz .LBB49_1864
.LBB49_1863:
	v_and_b32_e32 v9, 7, v10
	v_ffbh_u32_e32 v13, v9
	v_min_u32_e32 v13, 32, v13
	v_lshrrev_b16_e32 v12, 3, v10
	v_subrev_u32_e32 v18, 28, v13
	v_and_b32_e32 v12, 15, v12
	v_lshlrev_b32_e32 v18, v18, v10
	v_sub_u32_e32 v13, 29, v13
	v_and_b32_e32 v18, 7, v18
	v_cmp_eq_u16_e32 vcc, 0, v12
	v_cndmask_b32_e32 v9, v9, v18, vcc
	v_cndmask_b32_e32 v12, v12, v13, vcc
	v_lshlrev_b32_e32 v13, 24, v10
	v_mov_b32_e32 v18, 0x3b800000
	v_lshlrev_b32_e32 v9, 20, v9
	v_and_b32_e32 v13, 0x80000000, v13
	v_lshl_add_u32 v12, v12, 23, v18
	v_or3_b32 v9, v13, v12, v9
.LBB49_1864:
	s_or_b64 exec, exec, s[6:7]
	s_nop 0
	v_mfma_f32_16x16x4f32 a[0:3], v8, v9, a[0:3]
	v_lshrrev_b32_e32 v9, 8, v14
	s_movk_i32 s4, 0x7f
	v_cmp_gt_i16_sdwa s[6:7], v9, s4 src0_sel:BYTE_0 src1_sel:DWORD
	s_mov_b64 s[4:5], 0
                                        ; implicit-def: $sgpr10
	s_and_saveexec_b64 s[8:9], s[6:7]
	s_xor_b64 s[6:7], exec, s[8:9]
	s_cbranch_execnz .LBB49_3913
; %bb.1865:
	s_or_saveexec_b64 s[6:7], s[6:7]
	v_mov_b32_e32 v8, s10
	s_xor_b64 exec, exec, s[6:7]
	s_cbranch_execnz .LBB49_3916
.LBB49_1866:
	s_or_b64 exec, exec, s[6:7]
	s_and_saveexec_b64 s[6:7], s[4:5]
	s_cbranch_execz .LBB49_1868
.LBB49_1867:
	v_bfe_u32 v8, v14, 8, 3
	v_ffbh_u32_e32 v13, v8
	v_min_u32_e32 v13, 32, v13
	v_lshrrev_b16_e32 v12, 3, v9
	v_subrev_u32_e32 v18, 28, v13
	v_and_b32_e32 v12, 15, v12
	v_lshlrev_b32_e32 v9, v18, v9
	v_sub_u32_e32 v13, 29, v13
	v_and_b32_e32 v9, 7, v9
	v_cmp_eq_u16_e32 vcc, 0, v12
	v_cndmask_b32_e32 v8, v8, v9, vcc
	v_cndmask_b32_e32 v9, v12, v13, vcc
	v_lshlrev_b32_e32 v12, 16, v14
	v_mov_b32_e32 v13, 0x3b800000
	v_lshlrev_b32_e32 v8, 20, v8
	v_and_b32_e32 v12, 0x80000000, v12
	v_lshl_add_u32 v9, v9, 23, v13
	v_or3_b32 v8, v12, v9, v8
.LBB49_1868:
	s_or_b64 exec, exec, s[6:7]
	v_lshrrev_b32_e32 v9, 8, v10
	s_movk_i32 s4, 0x7f
	v_cmp_gt_i16_sdwa s[6:7], v9, s4 src0_sel:BYTE_0 src1_sel:DWORD
	s_mov_b64 s[4:5], 0
                                        ; implicit-def: $sgpr10
	s_and_saveexec_b64 s[8:9], s[6:7]
	s_xor_b64 s[6:7], exec, s[8:9]
	s_cbranch_execnz .LBB49_3917
; %bb.1869:
	s_or_saveexec_b64 s[6:7], s[6:7]
	v_mov_b32_e32 v12, s10
	s_xor_b64 exec, exec, s[6:7]
	s_cbranch_execnz .LBB49_3920
.LBB49_1870:
	s_or_b64 exec, exec, s[6:7]
	s_and_saveexec_b64 s[6:7], s[4:5]
	s_cbranch_execz .LBB49_1872
.LBB49_1871:
	v_bfe_u32 v12, v10, 8, 3
	v_ffbh_u32_e32 v18, v12
	v_min_u32_e32 v18, 32, v18
	v_lshrrev_b16_e32 v13, 3, v9
	v_subrev_u32_e32 v19, 28, v18
	v_and_b32_e32 v13, 15, v13
	v_lshlrev_b32_e32 v9, v19, v9
	v_sub_u32_e32 v18, 29, v18
	v_and_b32_e32 v9, 7, v9
	v_cmp_eq_u16_e32 vcc, 0, v13
	v_cndmask_b32_e32 v9, v12, v9, vcc
	v_cndmask_b32_e32 v12, v13, v18, vcc
	v_lshlrev_b32_e32 v13, 16, v10
	v_mov_b32_e32 v18, 0x3b800000
	v_lshlrev_b32_e32 v9, 20, v9
	v_and_b32_e32 v13, 0x80000000, v13
	v_lshl_add_u32 v12, v12, 23, v18
	v_or3_b32 v12, v13, v12, v9
.LBB49_1872:
	s_or_b64 exec, exec, s[6:7]
	s_nop 0
	v_mfma_f32_16x16x4f32 a[0:3], v8, v12, a[0:3]
	s_movk_i32 s4, 0xff
	v_and_b32_sdwa v9, v14, s4 dst_sel:DWORD dst_unused:UNUSED_PAD src0_sel:WORD_1 src1_sel:DWORD
	s_movk_i32 s4, 0x7f
	v_cmp_lt_i16_e32 vcc, s4, v9
	s_mov_b64 s[4:5], 0
                                        ; implicit-def: $sgpr10
	s_and_saveexec_b64 s[6:7], vcc
	s_xor_b64 s[6:7], exec, s[6:7]
	s_cbranch_execnz .LBB49_3921
; %bb.1873:
	s_or_saveexec_b64 s[6:7], s[6:7]
	v_mov_b32_e32 v8, s10
	s_xor_b64 exec, exec, s[6:7]
	s_cbranch_execnz .LBB49_3924
.LBB49_1874:
	s_or_b64 exec, exec, s[6:7]
	s_and_saveexec_b64 s[6:7], s[4:5]
	s_cbranch_execz .LBB49_1876
.LBB49_1875:
	v_bfe_u32 v8, v14, 16, 3
	v_ffbh_u32_e32 v13, v8
	v_min_u32_e32 v13, 32, v13
	v_lshrrev_b32_e32 v9, 19, v14
	v_subrev_u32_e32 v18, 28, v13
	v_and_b32_e32 v9, 15, v9
	v_lshlrev_b32_sdwa v18, v18, v14 dst_sel:DWORD dst_unused:UNUSED_PAD src0_sel:DWORD src1_sel:WORD_1
	v_bfe_u32 v12, v14, 19, 4
	v_sub_u32_e32 v13, 29, v13
	v_and_b32_e32 v18, 7, v18
	v_cmp_eq_u16_e32 vcc, 0, v9
	v_cndmask_b32_e32 v8, v8, v18, vcc
	v_cndmask_b32_e32 v9, v12, v13, vcc
	v_lshlrev_b32_e32 v12, 8, v14
	v_mov_b32_e32 v13, 0x3b800000
	v_lshlrev_b32_e32 v8, 20, v8
	v_and_b32_e32 v12, 0x80000000, v12
	v_lshl_add_u32 v9, v9, 23, v13
	v_or3_b32 v8, v12, v9, v8
.LBB49_1876:
	s_or_b64 exec, exec, s[6:7]
	s_movk_i32 s4, 0xff
	v_and_b32_sdwa v9, v10, s4 dst_sel:DWORD dst_unused:UNUSED_PAD src0_sel:WORD_1 src1_sel:DWORD
	s_movk_i32 s4, 0x7f
	v_cmp_lt_i16_e32 vcc, s4, v9
	s_mov_b64 s[4:5], 0
                                        ; implicit-def: $sgpr10
	s_and_saveexec_b64 s[6:7], vcc
	s_xor_b64 s[6:7], exec, s[6:7]
	s_cbranch_execnz .LBB49_3925
; %bb.1877:
	s_or_saveexec_b64 s[6:7], s[6:7]
	v_mov_b32_e32 v12, s10
	s_xor_b64 exec, exec, s[6:7]
	s_cbranch_execnz .LBB49_3928
.LBB49_1878:
	s_or_b64 exec, exec, s[6:7]
	s_and_saveexec_b64 s[6:7], s[4:5]
	s_cbranch_execz .LBB49_1880
.LBB49_1879:
	v_bfe_u32 v9, v10, 16, 3
	v_ffbh_u32_e32 v18, v9
	v_min_u32_e32 v18, 32, v18
	v_lshrrev_b32_e32 v12, 19, v10
	v_subrev_u32_e32 v19, 28, v18
	v_and_b32_e32 v12, 15, v12
	v_lshlrev_b32_sdwa v19, v19, v10 dst_sel:DWORD dst_unused:UNUSED_PAD src0_sel:DWORD src1_sel:WORD_1
	v_bfe_u32 v13, v10, 19, 4
	v_sub_u32_e32 v18, 29, v18
	v_and_b32_e32 v19, 7, v19
	v_cmp_eq_u16_e32 vcc, 0, v12
	v_cndmask_b32_e32 v9, v9, v19, vcc
	v_cndmask_b32_e32 v12, v13, v18, vcc
	v_lshlrev_b32_e32 v13, 8, v10
	v_mov_b32_e32 v18, 0x3b800000
	v_lshlrev_b32_e32 v9, 20, v9
	v_and_b32_e32 v13, 0x80000000, v13
	v_lshl_add_u32 v12, v12, 23, v18
	v_or3_b32 v12, v13, v12, v9
.LBB49_1880:
	s_or_b64 exec, exec, s[6:7]
	s_nop 0
	v_mfma_f32_16x16x4f32 a[0:3], v8, v12, a[0:3]
	s_movk_i32 s4, 0x7f
	v_cmp_gt_i16_sdwa s[6:7], v14, s4 src0_sel:BYTE_3 src1_sel:DWORD
	s_mov_b64 s[4:5], 0
                                        ; implicit-def: $sgpr10
	s_and_saveexec_b64 s[8:9], s[6:7]
	s_xor_b64 s[6:7], exec, s[8:9]
	s_cbranch_execnz .LBB49_3929
; %bb.1881:
	s_or_saveexec_b64 s[6:7], s[6:7]
	v_mov_b32_e32 v8, s10
	s_xor_b64 exec, exec, s[6:7]
	s_cbranch_execnz .LBB49_3932
.LBB49_1882:
	s_or_b64 exec, exec, s[6:7]
	s_and_saveexec_b64 s[6:7], s[4:5]
	s_cbranch_execz .LBB49_1884
.LBB49_1883:
	v_bfe_u32 v8, v14, 24, 3
	v_ffbh_u32_e32 v18, v8
	v_min_u32_e32 v18, 32, v18
	v_lshrrev_b32_e32 v12, 27, v14
	v_subrev_u32_e32 v19, 28, v18
	v_and_b32_e32 v9, 0x80000000, v14
	v_and_b32_e32 v12, 15, v12
	v_bfe_u32 v13, v14, 27, 4
	v_lshlrev_b32_sdwa v14, v19, v14 dst_sel:DWORD dst_unused:UNUSED_PAD src0_sel:DWORD src1_sel:BYTE_3
	v_sub_u32_e32 v18, 29, v18
	v_and_b32_e32 v14, 7, v14
	v_cmp_eq_u16_e32 vcc, 0, v12
	v_cndmask_b32_e32 v8, v8, v14, vcc
	v_cndmask_b32_e32 v12, v13, v18, vcc
	v_mov_b32_e32 v13, 0x3b800000
	v_lshlrev_b32_e32 v8, 20, v8
	v_lshl_add_u32 v12, v12, 23, v13
	v_or3_b32 v8, v9, v12, v8
.LBB49_1884:
	s_or_b64 exec, exec, s[6:7]
	s_movk_i32 s4, 0x7f
	v_cmp_gt_i16_sdwa s[6:7], v10, s4 src0_sel:BYTE_3 src1_sel:DWORD
	s_mov_b64 s[4:5], 0
                                        ; implicit-def: $sgpr10
	s_and_saveexec_b64 s[8:9], s[6:7]
	s_xor_b64 s[6:7], exec, s[8:9]
	s_cbranch_execnz .LBB49_3933
; %bb.1885:
	s_or_saveexec_b64 s[6:7], s[6:7]
	v_mov_b32_e32 v9, s10
	s_xor_b64 exec, exec, s[6:7]
	s_cbranch_execnz .LBB49_3936
.LBB49_1886:
	s_or_b64 exec, exec, s[6:7]
	s_and_saveexec_b64 s[6:7], s[4:5]
	s_cbranch_execz .LBB49_1888
.LBB49_1887:
	v_bfe_u32 v9, v10, 24, 3
	v_ffbh_u32_e32 v18, v9
	v_min_u32_e32 v18, 32, v18
	v_lshrrev_b32_e32 v13, 27, v10
	v_subrev_u32_e32 v19, 28, v18
	v_and_b32_e32 v12, 0x80000000, v10
	v_and_b32_e32 v13, 15, v13
	v_bfe_u32 v14, v10, 27, 4
	v_lshlrev_b32_sdwa v10, v19, v10 dst_sel:DWORD dst_unused:UNUSED_PAD src0_sel:DWORD src1_sel:BYTE_3
	v_sub_u32_e32 v18, 29, v18
	v_and_b32_e32 v10, 7, v10
	v_cmp_eq_u16_e32 vcc, 0, v13
	v_cndmask_b32_e32 v9, v9, v10, vcc
	v_cndmask_b32_e32 v10, v14, v18, vcc
	v_mov_b32_e32 v13, 0x3b800000
	v_lshlrev_b32_e32 v9, 20, v9
	v_lshl_add_u32 v10, v10, 23, v13
	v_or3_b32 v9, v12, v10, v9
.LBB49_1888:
	s_or_b64 exec, exec, s[6:7]
	s_nop 0
	v_mfma_f32_16x16x4f32 a[0:3], v8, v9, a[0:3]
	s_movk_i32 s4, 0x7f
	v_cmp_gt_i16_sdwa s[6:7], v15, s4 src0_sel:BYTE_0 src1_sel:DWORD
	s_mov_b64 s[4:5], 0
                                        ; implicit-def: $sgpr10
	s_and_saveexec_b64 s[8:9], s[6:7]
	s_xor_b64 s[6:7], exec, s[8:9]
	s_cbranch_execnz .LBB49_3937
; %bb.1889:
	s_or_saveexec_b64 s[6:7], s[6:7]
	v_mov_b32_e32 v8, s10
	s_xor_b64 exec, exec, s[6:7]
	s_cbranch_execnz .LBB49_3940
.LBB49_1890:
	s_or_b64 exec, exec, s[6:7]
	s_and_saveexec_b64 s[6:7], s[4:5]
	s_cbranch_execz .LBB49_1892
.LBB49_1891:
	v_and_b32_e32 v8, 7, v15
	v_ffbh_u32_e32 v10, v8
	v_min_u32_e32 v10, 32, v10
	v_lshrrev_b16_e32 v9, 3, v15
	v_subrev_u32_e32 v12, 28, v10
	v_and_b32_e32 v9, 15, v9
	v_lshlrev_b32_e32 v12, v12, v15
	v_sub_u32_e32 v10, 29, v10
	v_and_b32_e32 v12, 7, v12
	v_cmp_eq_u16_e32 vcc, 0, v9
	v_cndmask_b32_e32 v8, v8, v12, vcc
	v_cndmask_b32_e32 v9, v9, v10, vcc
	v_lshlrev_b32_e32 v10, 24, v15
	v_mov_b32_e32 v12, 0x3b800000
	v_lshlrev_b32_e32 v8, 20, v8
	v_and_b32_e32 v10, 0x80000000, v10
	v_lshl_add_u32 v9, v9, 23, v12
	v_or3_b32 v8, v10, v9, v8
.LBB49_1892:
	s_or_b64 exec, exec, s[6:7]
	s_movk_i32 s4, 0x7f
	v_cmp_gt_i16_sdwa s[6:7], v11, s4 src0_sel:BYTE_0 src1_sel:DWORD
	s_mov_b64 s[4:5], 0
                                        ; implicit-def: $sgpr10
	s_and_saveexec_b64 s[8:9], s[6:7]
	s_xor_b64 s[6:7], exec, s[8:9]
	s_cbranch_execnz .LBB49_3941
; %bb.1893:
	s_or_saveexec_b64 s[6:7], s[6:7]
	v_mov_b32_e32 v9, s10
	s_xor_b64 exec, exec, s[6:7]
	s_cbranch_execnz .LBB49_3944
.LBB49_1894:
	s_or_b64 exec, exec, s[6:7]
	s_and_saveexec_b64 s[6:7], s[4:5]
	s_cbranch_execz .LBB49_1896
.LBB49_1895:
	v_and_b32_e32 v9, 7, v11
	v_ffbh_u32_e32 v12, v9
	v_min_u32_e32 v12, 32, v12
	v_lshrrev_b16_e32 v10, 3, v11
	v_subrev_u32_e32 v13, 28, v12
	v_and_b32_e32 v10, 15, v10
	v_lshlrev_b32_e32 v13, v13, v11
	v_sub_u32_e32 v12, 29, v12
	v_and_b32_e32 v13, 7, v13
	v_cmp_eq_u16_e32 vcc, 0, v10
	v_cndmask_b32_e32 v9, v9, v13, vcc
	v_cndmask_b32_e32 v10, v10, v12, vcc
	v_lshlrev_b32_e32 v12, 24, v11
	v_mov_b32_e32 v13, 0x3b800000
	v_lshlrev_b32_e32 v9, 20, v9
	v_and_b32_e32 v12, 0x80000000, v12
	v_lshl_add_u32 v10, v10, 23, v13
	v_or3_b32 v9, v12, v10, v9
.LBB49_1896:
	s_or_b64 exec, exec, s[6:7]
	s_nop 0
	v_mfma_f32_16x16x4f32 a[0:3], v8, v9, a[0:3]
	v_lshrrev_b32_e32 v9, 8, v15
	s_movk_i32 s4, 0x7f
	v_cmp_gt_i16_sdwa s[6:7], v9, s4 src0_sel:BYTE_0 src1_sel:DWORD
	s_mov_b64 s[4:5], 0
                                        ; implicit-def: $sgpr10
	s_and_saveexec_b64 s[8:9], s[6:7]
	s_xor_b64 s[6:7], exec, s[8:9]
	s_cbranch_execnz .LBB49_3945
; %bb.1897:
	s_or_saveexec_b64 s[6:7], s[6:7]
	v_mov_b32_e32 v8, s10
	s_xor_b64 exec, exec, s[6:7]
	s_cbranch_execnz .LBB49_3948
.LBB49_1898:
	s_or_b64 exec, exec, s[6:7]
	s_and_saveexec_b64 s[6:7], s[4:5]
	s_cbranch_execz .LBB49_1900
.LBB49_1899:
	v_bfe_u32 v8, v15, 8, 3
	v_ffbh_u32_e32 v12, v8
	v_min_u32_e32 v12, 32, v12
	v_lshrrev_b16_e32 v10, 3, v9
	v_subrev_u32_e32 v13, 28, v12
	v_and_b32_e32 v10, 15, v10
	v_lshlrev_b32_e32 v9, v13, v9
	v_sub_u32_e32 v12, 29, v12
	v_and_b32_e32 v9, 7, v9
	v_cmp_eq_u16_e32 vcc, 0, v10
	v_cndmask_b32_e32 v8, v8, v9, vcc
	v_cndmask_b32_e32 v9, v10, v12, vcc
	v_lshlrev_b32_e32 v10, 16, v15
	v_mov_b32_e32 v12, 0x3b800000
	v_lshlrev_b32_e32 v8, 20, v8
	v_and_b32_e32 v10, 0x80000000, v10
	v_lshl_add_u32 v9, v9, 23, v12
	v_or3_b32 v8, v10, v9, v8
.LBB49_1900:
	s_or_b64 exec, exec, s[6:7]
	v_lshrrev_b32_e32 v9, 8, v11
	s_movk_i32 s4, 0x7f
	v_cmp_gt_i16_sdwa s[6:7], v9, s4 src0_sel:BYTE_0 src1_sel:DWORD
	s_mov_b64 s[4:5], 0
                                        ; implicit-def: $sgpr10
	s_and_saveexec_b64 s[8:9], s[6:7]
	s_xor_b64 s[6:7], exec, s[8:9]
	s_cbranch_execnz .LBB49_3949
; %bb.1901:
	s_or_saveexec_b64 s[6:7], s[6:7]
	v_mov_b32_e32 v10, s10
	s_xor_b64 exec, exec, s[6:7]
	s_cbranch_execnz .LBB49_3952
.LBB49_1902:
	s_or_b64 exec, exec, s[6:7]
	s_and_saveexec_b64 s[6:7], s[4:5]
	s_cbranch_execz .LBB49_1904
.LBB49_1903:
	v_bfe_u32 v10, v11, 8, 3
	v_ffbh_u32_e32 v13, v10
	v_min_u32_e32 v13, 32, v13
	v_lshrrev_b16_e32 v12, 3, v9
	v_subrev_u32_e32 v14, 28, v13
	v_and_b32_e32 v12, 15, v12
	v_lshlrev_b32_e32 v9, v14, v9
	v_sub_u32_e32 v13, 29, v13
	v_and_b32_e32 v9, 7, v9
	v_cmp_eq_u16_e32 vcc, 0, v12
	v_cndmask_b32_e32 v9, v10, v9, vcc
	v_cndmask_b32_e32 v10, v12, v13, vcc
	v_lshlrev_b32_e32 v12, 16, v11
	v_mov_b32_e32 v13, 0x3b800000
	v_lshlrev_b32_e32 v9, 20, v9
	v_and_b32_e32 v12, 0x80000000, v12
	v_lshl_add_u32 v10, v10, 23, v13
	v_or3_b32 v10, v12, v10, v9
.LBB49_1904:
	s_or_b64 exec, exec, s[6:7]
	s_nop 0
	v_mfma_f32_16x16x4f32 a[0:3], v8, v10, a[0:3]
	s_movk_i32 s4, 0xff
	v_and_b32_sdwa v9, v15, s4 dst_sel:DWORD dst_unused:UNUSED_PAD src0_sel:WORD_1 src1_sel:DWORD
	s_movk_i32 s4, 0x7f
	v_cmp_lt_i16_e32 vcc, s4, v9
	s_mov_b64 s[4:5], 0
                                        ; implicit-def: $sgpr10
	s_and_saveexec_b64 s[6:7], vcc
	s_xor_b64 s[6:7], exec, s[6:7]
	s_cbranch_execnz .LBB49_3953
; %bb.1905:
	s_or_saveexec_b64 s[6:7], s[6:7]
	v_mov_b32_e32 v8, s10
	s_xor_b64 exec, exec, s[6:7]
	s_cbranch_execnz .LBB49_3956
.LBB49_1906:
	s_or_b64 exec, exec, s[6:7]
	s_and_saveexec_b64 s[6:7], s[4:5]
	s_cbranch_execz .LBB49_1908
.LBB49_1907:
	v_bfe_u32 v8, v15, 16, 3
	v_ffbh_u32_e32 v12, v8
	v_min_u32_e32 v12, 32, v12
	v_lshrrev_b32_e32 v9, 19, v15
	v_subrev_u32_e32 v13, 28, v12
	v_and_b32_e32 v9, 15, v9
	v_lshlrev_b32_sdwa v13, v13, v15 dst_sel:DWORD dst_unused:UNUSED_PAD src0_sel:DWORD src1_sel:WORD_1
	v_bfe_u32 v10, v15, 19, 4
	v_sub_u32_e32 v12, 29, v12
	v_and_b32_e32 v13, 7, v13
	v_cmp_eq_u16_e32 vcc, 0, v9
	v_cndmask_b32_e32 v8, v8, v13, vcc
	v_cndmask_b32_e32 v9, v10, v12, vcc
	v_lshlrev_b32_e32 v10, 8, v15
	v_mov_b32_e32 v12, 0x3b800000
	v_lshlrev_b32_e32 v8, 20, v8
	v_and_b32_e32 v10, 0x80000000, v10
	v_lshl_add_u32 v9, v9, 23, v12
	v_or3_b32 v8, v10, v9, v8
.LBB49_1908:
	s_or_b64 exec, exec, s[6:7]
	s_movk_i32 s4, 0xff
	v_and_b32_sdwa v9, v11, s4 dst_sel:DWORD dst_unused:UNUSED_PAD src0_sel:WORD_1 src1_sel:DWORD
	s_movk_i32 s4, 0x7f
	v_cmp_lt_i16_e32 vcc, s4, v9
	s_mov_b64 s[4:5], 0
                                        ; implicit-def: $sgpr10
	s_and_saveexec_b64 s[6:7], vcc
	s_xor_b64 s[6:7], exec, s[6:7]
	s_cbranch_execnz .LBB49_3957
; %bb.1909:
	s_or_saveexec_b64 s[6:7], s[6:7]
	v_mov_b32_e32 v10, s10
	s_xor_b64 exec, exec, s[6:7]
	s_cbranch_execnz .LBB49_3960
.LBB49_1910:
	s_or_b64 exec, exec, s[6:7]
	s_and_saveexec_b64 s[6:7], s[4:5]
	s_cbranch_execz .LBB49_1912
.LBB49_1911:
	v_bfe_u32 v9, v11, 16, 3
	v_ffbh_u32_e32 v13, v9
	v_min_u32_e32 v13, 32, v13
	v_lshrrev_b32_e32 v10, 19, v11
	v_subrev_u32_e32 v14, 28, v13
	v_and_b32_e32 v10, 15, v10
	v_lshlrev_b32_sdwa v14, v14, v11 dst_sel:DWORD dst_unused:UNUSED_PAD src0_sel:DWORD src1_sel:WORD_1
	v_bfe_u32 v12, v11, 19, 4
	v_sub_u32_e32 v13, 29, v13
	v_and_b32_e32 v14, 7, v14
	v_cmp_eq_u16_e32 vcc, 0, v10
	v_cndmask_b32_e32 v9, v9, v14, vcc
	v_cndmask_b32_e32 v10, v12, v13, vcc
	v_lshlrev_b32_e32 v12, 8, v11
	v_mov_b32_e32 v13, 0x3b800000
	v_lshlrev_b32_e32 v9, 20, v9
	v_and_b32_e32 v12, 0x80000000, v12
	v_lshl_add_u32 v10, v10, 23, v13
	v_or3_b32 v10, v12, v10, v9
.LBB49_1912:
	s_or_b64 exec, exec, s[6:7]
	s_nop 0
	v_mfma_f32_16x16x4f32 a[0:3], v8, v10, a[0:3]
	s_movk_i32 s4, 0x7f
	v_cmp_gt_i16_sdwa s[6:7], v15, s4 src0_sel:BYTE_3 src1_sel:DWORD
	s_mov_b64 s[4:5], 0
                                        ; implicit-def: $sgpr10
	s_and_saveexec_b64 s[8:9], s[6:7]
	s_xor_b64 s[6:7], exec, s[8:9]
	s_cbranch_execnz .LBB49_3961
; %bb.1913:
	s_or_saveexec_b64 s[6:7], s[6:7]
	v_mov_b32_e32 v8, s10
	s_xor_b64 exec, exec, s[6:7]
	s_cbranch_execnz .LBB49_3964
.LBB49_1914:
	s_or_b64 exec, exec, s[6:7]
	s_and_saveexec_b64 s[6:7], s[4:5]
	s_cbranch_execz .LBB49_1916
.LBB49_1915:
	v_bfe_u32 v8, v15, 24, 3
	v_ffbh_u32_e32 v13, v8
	v_min_u32_e32 v13, 32, v13
	v_lshrrev_b32_e32 v10, 27, v15
	v_subrev_u32_e32 v14, 28, v13
	v_and_b32_e32 v10, 15, v10
	v_lshlrev_b32_sdwa v14, v14, v15 dst_sel:DWORD dst_unused:UNUSED_PAD src0_sel:DWORD src1_sel:BYTE_3
	v_bfe_u32 v12, v15, 27, 4
	v_sub_u32_e32 v13, 29, v13
	v_and_b32_e32 v14, 7, v14
	v_cmp_eq_u16_e32 vcc, 0, v10
	v_cndmask_b32_e32 v8, v8, v14, vcc
	v_cndmask_b32_e32 v10, v12, v13, vcc
	v_mov_b32_e32 v12, 0x3b800000
	v_and_b32_e32 v9, 0x80000000, v15
	v_lshlrev_b32_e32 v8, 20, v8
	v_lshl_add_u32 v10, v10, 23, v12
	v_or3_b32 v8, v9, v10, v8
.LBB49_1916:
	s_or_b64 exec, exec, s[6:7]
	s_movk_i32 s4, 0x7f
	v_cmp_gt_i16_sdwa s[6:7], v11, s4 src0_sel:BYTE_3 src1_sel:DWORD
	s_mov_b64 s[4:5], 0
                                        ; implicit-def: $sgpr10
	s_and_saveexec_b64 s[8:9], s[6:7]
	s_xor_b64 s[6:7], exec, s[8:9]
	s_cbranch_execnz .LBB49_3965
; %bb.1917:
	s_or_saveexec_b64 s[6:7], s[6:7]
	v_mov_b32_e32 v9, s10
	s_xor_b64 exec, exec, s[6:7]
	s_cbranch_execnz .LBB49_3968
.LBB49_1918:
	s_or_b64 exec, exec, s[6:7]
	s_and_saveexec_b64 s[6:7], s[4:5]
	s_cbranch_execz .LBB49_1920
.LBB49_1919:
	v_bfe_u32 v9, v11, 24, 3
	v_ffbh_u32_e32 v14, v9
	v_min_u32_e32 v14, 32, v14
	v_lshrrev_b32_e32 v12, 27, v11
	v_subrev_u32_e32 v15, 28, v14
	v_and_b32_e32 v10, 0x80000000, v11
	v_and_b32_e32 v12, 15, v12
	v_bfe_u32 v13, v11, 27, 4
	v_lshlrev_b32_sdwa v11, v15, v11 dst_sel:DWORD dst_unused:UNUSED_PAD src0_sel:DWORD src1_sel:BYTE_3
	v_sub_u32_e32 v14, 29, v14
	v_and_b32_e32 v11, 7, v11
	v_cmp_eq_u16_e32 vcc, 0, v12
	v_cndmask_b32_e32 v9, v9, v11, vcc
	v_cndmask_b32_e32 v11, v13, v14, vcc
	v_mov_b32_e32 v12, 0x3b800000
	v_lshlrev_b32_e32 v9, 20, v9
	v_lshl_add_u32 v11, v11, 23, v12
	v_or3_b32 v9, v10, v11, v9
.LBB49_1920:
	s_or_b64 exec, exec, s[6:7]
	s_nop 0
	v_mfma_f32_16x16x4f32 a[0:3], v8, v9, a[0:3]
	s_movk_i32 s4, 0x7f
	v_cmp_gt_i16_sdwa s[6:7], v4, s4 src0_sel:BYTE_0 src1_sel:DWORD
	s_mov_b64 s[4:5], 0
                                        ; implicit-def: $sgpr10
	s_and_saveexec_b64 s[8:9], s[6:7]
	s_xor_b64 s[6:7], exec, s[8:9]
	s_cbranch_execnz .LBB49_3969
; %bb.1921:
	s_or_saveexec_b64 s[6:7], s[6:7]
	v_mov_b32_e32 v8, s10
	s_xor_b64 exec, exec, s[6:7]
	s_cbranch_execnz .LBB49_3972
.LBB49_1922:
	s_or_b64 exec, exec, s[6:7]
	s_and_saveexec_b64 s[6:7], s[4:5]
	s_cbranch_execz .LBB49_1924
.LBB49_1923:
	v_and_b32_e32 v8, 7, v4
	v_ffbh_u32_e32 v10, v8
	v_min_u32_e32 v10, 32, v10
	v_lshrrev_b16_e32 v9, 3, v4
	v_subrev_u32_e32 v11, 28, v10
	v_and_b32_e32 v9, 15, v9
	v_lshlrev_b32_e32 v11, v11, v4
	v_sub_u32_e32 v10, 29, v10
	v_and_b32_e32 v11, 7, v11
	v_cmp_eq_u16_e32 vcc, 0, v9
	v_cndmask_b32_e32 v8, v8, v11, vcc
	v_cndmask_b32_e32 v9, v9, v10, vcc
	v_lshlrev_b32_e32 v10, 24, v4
	v_mov_b32_e32 v11, 0x3b800000
	v_lshlrev_b32_e32 v8, 20, v8
	v_and_b32_e32 v10, 0x80000000, v10
	v_lshl_add_u32 v9, v9, 23, v11
	v_or3_b32 v8, v10, v9, v8
.LBB49_1924:
	s_or_b64 exec, exec, s[6:7]
	s_movk_i32 s4, 0x7f
	v_cmp_gt_i16_sdwa s[6:7], v0, s4 src0_sel:BYTE_0 src1_sel:DWORD
	s_mov_b64 s[4:5], 0
                                        ; implicit-def: $sgpr10
	s_and_saveexec_b64 s[8:9], s[6:7]
	s_xor_b64 s[6:7], exec, s[8:9]
	s_cbranch_execnz .LBB49_3973
; %bb.1925:
	s_or_saveexec_b64 s[6:7], s[6:7]
	v_mov_b32_e32 v9, s10
	s_xor_b64 exec, exec, s[6:7]
	s_cbranch_execnz .LBB49_3976
.LBB49_1926:
	s_or_b64 exec, exec, s[6:7]
	s_and_saveexec_b64 s[6:7], s[4:5]
	s_cbranch_execz .LBB49_1928
.LBB49_1927:
	v_and_b32_e32 v9, 7, v0
	v_ffbh_u32_e32 v11, v9
	v_min_u32_e32 v11, 32, v11
	v_lshrrev_b16_e32 v10, 3, v0
	v_subrev_u32_e32 v12, 28, v11
	v_and_b32_e32 v10, 15, v10
	v_lshlrev_b32_e32 v12, v12, v0
	v_sub_u32_e32 v11, 29, v11
	v_and_b32_e32 v12, 7, v12
	v_cmp_eq_u16_e32 vcc, 0, v10
	v_cndmask_b32_e32 v9, v9, v12, vcc
	v_cndmask_b32_e32 v10, v10, v11, vcc
	v_lshlrev_b32_e32 v11, 24, v0
	v_mov_b32_e32 v12, 0x3b800000
	v_lshlrev_b32_e32 v9, 20, v9
	v_and_b32_e32 v11, 0x80000000, v11
	v_lshl_add_u32 v10, v10, 23, v12
	v_or3_b32 v9, v11, v10, v9
.LBB49_1928:
	s_or_b64 exec, exec, s[6:7]
	s_nop 0
	v_mfma_f32_16x16x4f32 a[0:3], v8, v9, a[0:3]
	v_lshrrev_b32_e32 v9, 8, v4
	s_movk_i32 s4, 0x7f
	v_cmp_gt_i16_sdwa s[6:7], v9, s4 src0_sel:BYTE_0 src1_sel:DWORD
	s_mov_b64 s[4:5], 0
                                        ; implicit-def: $sgpr10
	s_and_saveexec_b64 s[8:9], s[6:7]
	s_xor_b64 s[6:7], exec, s[8:9]
	s_cbranch_execnz .LBB49_3977
; %bb.1929:
	s_or_saveexec_b64 s[6:7], s[6:7]
	v_mov_b32_e32 v8, s10
	s_xor_b64 exec, exec, s[6:7]
	s_cbranch_execnz .LBB49_3980
.LBB49_1930:
	s_or_b64 exec, exec, s[6:7]
	s_and_saveexec_b64 s[6:7], s[4:5]
	s_cbranch_execz .LBB49_1932
.LBB49_1931:
	v_bfe_u32 v8, v4, 8, 3
	v_ffbh_u32_e32 v11, v8
	v_min_u32_e32 v11, 32, v11
	v_lshrrev_b16_e32 v10, 3, v9
	v_subrev_u32_e32 v12, 28, v11
	v_and_b32_e32 v10, 15, v10
	v_lshlrev_b32_e32 v9, v12, v9
	v_sub_u32_e32 v11, 29, v11
	v_and_b32_e32 v9, 7, v9
	v_cmp_eq_u16_e32 vcc, 0, v10
	v_cndmask_b32_e32 v8, v8, v9, vcc
	v_cndmask_b32_e32 v9, v10, v11, vcc
	v_lshlrev_b32_e32 v10, 16, v4
	v_mov_b32_e32 v11, 0x3b800000
	v_lshlrev_b32_e32 v8, 20, v8
	v_and_b32_e32 v10, 0x80000000, v10
	v_lshl_add_u32 v9, v9, 23, v11
	v_or3_b32 v8, v10, v9, v8
.LBB49_1932:
	s_or_b64 exec, exec, s[6:7]
	v_lshrrev_b32_e32 v9, 8, v0
	s_movk_i32 s4, 0x7f
	v_cmp_gt_i16_sdwa s[6:7], v9, s4 src0_sel:BYTE_0 src1_sel:DWORD
	s_mov_b64 s[4:5], 0
                                        ; implicit-def: $sgpr10
	s_and_saveexec_b64 s[8:9], s[6:7]
	s_xor_b64 s[6:7], exec, s[8:9]
	s_cbranch_execnz .LBB49_3981
; %bb.1933:
	s_or_saveexec_b64 s[6:7], s[6:7]
	v_mov_b32_e32 v10, s10
	s_xor_b64 exec, exec, s[6:7]
	s_cbranch_execnz .LBB49_3984
.LBB49_1934:
	s_or_b64 exec, exec, s[6:7]
	s_and_saveexec_b64 s[6:7], s[4:5]
	s_cbranch_execz .LBB49_1936
.LBB49_1935:
	v_bfe_u32 v10, v0, 8, 3
	v_ffbh_u32_e32 v12, v10
	v_min_u32_e32 v12, 32, v12
	v_lshrrev_b16_e32 v11, 3, v9
	v_subrev_u32_e32 v13, 28, v12
	v_and_b32_e32 v11, 15, v11
	v_lshlrev_b32_e32 v9, v13, v9
	v_sub_u32_e32 v12, 29, v12
	v_and_b32_e32 v9, 7, v9
	v_cmp_eq_u16_e32 vcc, 0, v11
	v_cndmask_b32_e32 v9, v10, v9, vcc
	v_cndmask_b32_e32 v10, v11, v12, vcc
	v_lshlrev_b32_e32 v11, 16, v0
	v_mov_b32_e32 v12, 0x3b800000
	v_lshlrev_b32_e32 v9, 20, v9
	v_and_b32_e32 v11, 0x80000000, v11
	v_lshl_add_u32 v10, v10, 23, v12
	v_or3_b32 v10, v11, v10, v9
.LBB49_1936:
	s_or_b64 exec, exec, s[6:7]
	s_nop 0
	v_mfma_f32_16x16x4f32 a[0:3], v8, v10, a[0:3]
	s_movk_i32 s4, 0xff
	v_and_b32_sdwa v9, v4, s4 dst_sel:DWORD dst_unused:UNUSED_PAD src0_sel:WORD_1 src1_sel:DWORD
	s_movk_i32 s4, 0x7f
	v_cmp_lt_i16_e32 vcc, s4, v9
	s_mov_b64 s[4:5], 0
                                        ; implicit-def: $sgpr10
	s_and_saveexec_b64 s[6:7], vcc
	s_xor_b64 s[6:7], exec, s[6:7]
	s_cbranch_execnz .LBB49_3985
; %bb.1937:
	s_or_saveexec_b64 s[6:7], s[6:7]
	v_mov_b32_e32 v8, s10
	s_xor_b64 exec, exec, s[6:7]
	s_cbranch_execnz .LBB49_3988
.LBB49_1938:
	s_or_b64 exec, exec, s[6:7]
	s_and_saveexec_b64 s[6:7], s[4:5]
	s_cbranch_execz .LBB49_1940
.LBB49_1939:
	v_bfe_u32 v8, v4, 16, 3
	v_ffbh_u32_e32 v11, v8
	v_min_u32_e32 v11, 32, v11
	v_lshrrev_b32_e32 v9, 19, v4
	v_subrev_u32_e32 v12, 28, v11
	v_and_b32_e32 v9, 15, v9
	v_lshlrev_b32_sdwa v12, v12, v4 dst_sel:DWORD dst_unused:UNUSED_PAD src0_sel:DWORD src1_sel:WORD_1
	v_bfe_u32 v10, v4, 19, 4
	v_sub_u32_e32 v11, 29, v11
	v_and_b32_e32 v12, 7, v12
	v_cmp_eq_u16_e32 vcc, 0, v9
	v_cndmask_b32_e32 v8, v8, v12, vcc
	v_cndmask_b32_e32 v9, v10, v11, vcc
	v_lshlrev_b32_e32 v10, 8, v4
	v_mov_b32_e32 v11, 0x3b800000
	v_lshlrev_b32_e32 v8, 20, v8
	v_and_b32_e32 v10, 0x80000000, v10
	v_lshl_add_u32 v9, v9, 23, v11
	v_or3_b32 v8, v10, v9, v8
.LBB49_1940:
	s_or_b64 exec, exec, s[6:7]
	s_movk_i32 s4, 0xff
	v_and_b32_sdwa v9, v0, s4 dst_sel:DWORD dst_unused:UNUSED_PAD src0_sel:WORD_1 src1_sel:DWORD
	s_movk_i32 s4, 0x7f
	v_cmp_lt_i16_e32 vcc, s4, v9
	s_mov_b64 s[4:5], 0
                                        ; implicit-def: $sgpr10
	s_and_saveexec_b64 s[6:7], vcc
	s_xor_b64 s[6:7], exec, s[6:7]
	s_cbranch_execnz .LBB49_3989
; %bb.1941:
	s_or_saveexec_b64 s[6:7], s[6:7]
	v_mov_b32_e32 v10, s10
	s_xor_b64 exec, exec, s[6:7]
	s_cbranch_execnz .LBB49_3992
.LBB49_1942:
	s_or_b64 exec, exec, s[6:7]
	s_and_saveexec_b64 s[6:7], s[4:5]
	s_cbranch_execz .LBB49_1944
.LBB49_1943:
	v_bfe_u32 v9, v0, 16, 3
	v_ffbh_u32_e32 v12, v9
	v_min_u32_e32 v12, 32, v12
	v_lshrrev_b32_e32 v10, 19, v0
	v_subrev_u32_e32 v13, 28, v12
	v_and_b32_e32 v10, 15, v10
	v_lshlrev_b32_sdwa v13, v13, v0 dst_sel:DWORD dst_unused:UNUSED_PAD src0_sel:DWORD src1_sel:WORD_1
	v_bfe_u32 v11, v0, 19, 4
	v_sub_u32_e32 v12, 29, v12
	v_and_b32_e32 v13, 7, v13
	v_cmp_eq_u16_e32 vcc, 0, v10
	v_cndmask_b32_e32 v9, v9, v13, vcc
	v_cndmask_b32_e32 v10, v11, v12, vcc
	v_lshlrev_b32_e32 v11, 8, v0
	v_mov_b32_e32 v12, 0x3b800000
	v_lshlrev_b32_e32 v9, 20, v9
	v_and_b32_e32 v11, 0x80000000, v11
	v_lshl_add_u32 v10, v10, 23, v12
	v_or3_b32 v10, v11, v10, v9
.LBB49_1944:
	s_or_b64 exec, exec, s[6:7]
	s_nop 0
	v_mfma_f32_16x16x4f32 a[0:3], v8, v10, a[0:3]
	s_movk_i32 s4, 0x7f
	v_cmp_gt_i16_sdwa s[6:7], v4, s4 src0_sel:BYTE_3 src1_sel:DWORD
	s_mov_b64 s[4:5], 0
                                        ; implicit-def: $sgpr10
	s_and_saveexec_b64 s[8:9], s[6:7]
	s_xor_b64 s[6:7], exec, s[8:9]
	s_cbranch_execnz .LBB49_3993
; %bb.1945:
	s_or_saveexec_b64 s[6:7], s[6:7]
	v_mov_b32_e32 v8, s10
	s_xor_b64 exec, exec, s[6:7]
	s_cbranch_execnz .LBB49_3996
.LBB49_1946:
	s_or_b64 exec, exec, s[6:7]
	s_and_saveexec_b64 s[6:7], s[4:5]
	s_cbranch_execz .LBB49_1948
.LBB49_1947:
	v_bfe_u32 v8, v4, 24, 3
	v_ffbh_u32_e32 v12, v8
	v_min_u32_e32 v12, 32, v12
	v_lshrrev_b32_e32 v10, 27, v4
	v_subrev_u32_e32 v13, 28, v12
	v_and_b32_e32 v9, 0x80000000, v4
	v_and_b32_e32 v10, 15, v10
	v_bfe_u32 v11, v4, 27, 4
	v_lshlrev_b32_sdwa v4, v13, v4 dst_sel:DWORD dst_unused:UNUSED_PAD src0_sel:DWORD src1_sel:BYTE_3
	v_sub_u32_e32 v12, 29, v12
	v_and_b32_e32 v4, 7, v4
	v_cmp_eq_u16_e32 vcc, 0, v10
	v_cndmask_b32_e32 v4, v8, v4, vcc
	v_cndmask_b32_e32 v8, v11, v12, vcc
	v_mov_b32_e32 v10, 0x3b800000
	v_lshlrev_b32_e32 v4, 20, v4
	v_lshl_add_u32 v8, v8, 23, v10
	v_or3_b32 v8, v9, v8, v4
.LBB49_1948:
	s_or_b64 exec, exec, s[6:7]
	s_movk_i32 s4, 0x7f
	v_cmp_gt_i16_sdwa s[6:7], v0, s4 src0_sel:BYTE_3 src1_sel:DWORD
	s_mov_b64 s[4:5], 0
                                        ; implicit-def: $sgpr10
	s_and_saveexec_b64 s[8:9], s[6:7]
	s_xor_b64 s[6:7], exec, s[8:9]
	s_cbranch_execnz .LBB49_3997
; %bb.1949:
	s_or_saveexec_b64 s[6:7], s[6:7]
	v_mov_b32_e32 v4, s10
	s_xor_b64 exec, exec, s[6:7]
	s_cbranch_execnz .LBB49_4000
.LBB49_1950:
	s_or_b64 exec, exec, s[6:7]
	s_and_saveexec_b64 s[6:7], s[4:5]
	s_cbranch_execz .LBB49_1952
.LBB49_1951:
	v_bfe_u32 v4, v0, 24, 3
	v_ffbh_u32_e32 v12, v4
	v_min_u32_e32 v12, 32, v12
	v_lshrrev_b32_e32 v10, 27, v0
	v_subrev_u32_e32 v13, 28, v12
	v_and_b32_e32 v9, 0x80000000, v0
	v_and_b32_e32 v10, 15, v10
	v_bfe_u32 v11, v0, 27, 4
	v_lshlrev_b32_sdwa v0, v13, v0 dst_sel:DWORD dst_unused:UNUSED_PAD src0_sel:DWORD src1_sel:BYTE_3
	v_sub_u32_e32 v12, 29, v12
	v_and_b32_e32 v0, 7, v0
	v_cmp_eq_u16_e32 vcc, 0, v10
	v_cndmask_b32_e32 v0, v4, v0, vcc
	v_cndmask_b32_e32 v4, v11, v12, vcc
	v_mov_b32_e32 v10, 0x3b800000
	v_lshlrev_b32_e32 v0, 20, v0
	v_lshl_add_u32 v4, v4, 23, v10
	v_or3_b32 v4, v9, v4, v0
.LBB49_1952:
	s_or_b64 exec, exec, s[6:7]
	s_nop 0
	v_mfma_f32_16x16x4f32 a[0:3], v8, v4, a[0:3]
	s_movk_i32 s4, 0x7f
	v_cmp_gt_i16_sdwa s[6:7], v5, s4 src0_sel:BYTE_0 src1_sel:DWORD
	s_mov_b64 s[4:5], 0
                                        ; implicit-def: $sgpr10
	s_and_saveexec_b64 s[8:9], s[6:7]
	s_xor_b64 s[6:7], exec, s[8:9]
	s_cbranch_execnz .LBB49_4001
; %bb.1953:
	s_or_saveexec_b64 s[6:7], s[6:7]
	v_mov_b32_e32 v0, s10
	s_xor_b64 exec, exec, s[6:7]
	s_cbranch_execnz .LBB49_4004
.LBB49_1954:
	s_or_b64 exec, exec, s[6:7]
	s_and_saveexec_b64 s[6:7], s[4:5]
	s_cbranch_execz .LBB49_1956
.LBB49_1955:
	v_and_b32_e32 v0, 7, v5
	v_ffbh_u32_e32 v8, v0
	v_min_u32_e32 v8, 32, v8
	v_lshrrev_b16_e32 v4, 3, v5
	v_subrev_u32_e32 v9, 28, v8
	v_and_b32_e32 v4, 15, v4
	v_lshlrev_b32_e32 v9, v9, v5
	v_sub_u32_e32 v8, 29, v8
	v_and_b32_e32 v9, 7, v9
	v_cmp_eq_u16_e32 vcc, 0, v4
	v_cndmask_b32_e32 v0, v0, v9, vcc
	v_cndmask_b32_e32 v4, v4, v8, vcc
	v_lshlrev_b32_e32 v8, 24, v5
	v_mov_b32_e32 v9, 0x3b800000
	v_lshlrev_b32_e32 v0, 20, v0
	v_and_b32_e32 v8, 0x80000000, v8
	v_lshl_add_u32 v4, v4, 23, v9
	v_or3_b32 v0, v8, v4, v0
.LBB49_1956:
	s_or_b64 exec, exec, s[6:7]
	s_movk_i32 s4, 0x7f
	v_cmp_gt_i16_sdwa s[6:7], v1, s4 src0_sel:BYTE_0 src1_sel:DWORD
	s_mov_b64 s[4:5], 0
                                        ; implicit-def: $sgpr10
	s_and_saveexec_b64 s[8:9], s[6:7]
	s_xor_b64 s[6:7], exec, s[8:9]
	s_cbranch_execnz .LBB49_4005
; %bb.1957:
	s_or_saveexec_b64 s[6:7], s[6:7]
	v_mov_b32_e32 v4, s10
	s_xor_b64 exec, exec, s[6:7]
	s_cbranch_execnz .LBB49_4008
.LBB49_1958:
	s_or_b64 exec, exec, s[6:7]
	s_and_saveexec_b64 s[6:7], s[4:5]
	s_cbranch_execz .LBB49_1960
.LBB49_1959:
	v_and_b32_e32 v4, 7, v1
	v_ffbh_u32_e32 v9, v4
	v_min_u32_e32 v9, 32, v9
	v_lshrrev_b16_e32 v8, 3, v1
	v_subrev_u32_e32 v10, 28, v9
	v_and_b32_e32 v8, 15, v8
	v_lshlrev_b32_e32 v10, v10, v1
	v_sub_u32_e32 v9, 29, v9
	v_and_b32_e32 v10, 7, v10
	v_cmp_eq_u16_e32 vcc, 0, v8
	v_cndmask_b32_e32 v4, v4, v10, vcc
	v_cndmask_b32_e32 v8, v8, v9, vcc
	v_lshlrev_b32_e32 v9, 24, v1
	v_mov_b32_e32 v10, 0x3b800000
	v_lshlrev_b32_e32 v4, 20, v4
	v_and_b32_e32 v9, 0x80000000, v9
	v_lshl_add_u32 v8, v8, 23, v10
	v_or3_b32 v4, v9, v8, v4
.LBB49_1960:
	s_or_b64 exec, exec, s[6:7]
	s_nop 0
	v_mfma_f32_16x16x4f32 a[0:3], v0, v4, a[0:3]
	v_lshrrev_b32_e32 v4, 8, v5
	s_movk_i32 s4, 0x7f
	v_cmp_gt_i16_sdwa s[6:7], v4, s4 src0_sel:BYTE_0 src1_sel:DWORD
	s_mov_b64 s[4:5], 0
                                        ; implicit-def: $sgpr10
	s_and_saveexec_b64 s[8:9], s[6:7]
	s_xor_b64 s[6:7], exec, s[8:9]
	s_cbranch_execnz .LBB49_4009
; %bb.1961:
	s_or_saveexec_b64 s[6:7], s[6:7]
	v_mov_b32_e32 v0, s10
	s_xor_b64 exec, exec, s[6:7]
	s_cbranch_execnz .LBB49_4012
.LBB49_1962:
	s_or_b64 exec, exec, s[6:7]
	s_and_saveexec_b64 s[6:7], s[4:5]
	s_cbranch_execz .LBB49_1964
.LBB49_1963:
	v_bfe_u32 v0, v5, 8, 3
	v_ffbh_u32_e32 v9, v0
	v_min_u32_e32 v9, 32, v9
	v_lshrrev_b16_e32 v8, 3, v4
	v_subrev_u32_e32 v10, 28, v9
	v_and_b32_e32 v8, 15, v8
	v_lshlrev_b32_e32 v4, v10, v4
	v_sub_u32_e32 v9, 29, v9
	v_and_b32_e32 v4, 7, v4
	v_cmp_eq_u16_e32 vcc, 0, v8
	v_cndmask_b32_e32 v0, v0, v4, vcc
	v_cndmask_b32_e32 v4, v8, v9, vcc
	v_lshlrev_b32_e32 v8, 16, v5
	v_mov_b32_e32 v9, 0x3b800000
	v_lshlrev_b32_e32 v0, 20, v0
	v_and_b32_e32 v8, 0x80000000, v8
	v_lshl_add_u32 v4, v4, 23, v9
	v_or3_b32 v0, v8, v4, v0
.LBB49_1964:
	s_or_b64 exec, exec, s[6:7]
	v_lshrrev_b32_e32 v4, 8, v1
	s_movk_i32 s4, 0x7f
	v_cmp_gt_i16_sdwa s[6:7], v4, s4 src0_sel:BYTE_0 src1_sel:DWORD
	s_mov_b64 s[4:5], 0
                                        ; implicit-def: $sgpr10
	s_and_saveexec_b64 s[8:9], s[6:7]
	s_xor_b64 s[6:7], exec, s[8:9]
	s_cbranch_execnz .LBB49_4013
; %bb.1965:
	s_or_saveexec_b64 s[6:7], s[6:7]
	v_mov_b32_e32 v8, s10
	s_xor_b64 exec, exec, s[6:7]
	s_cbranch_execnz .LBB49_4016
.LBB49_1966:
	s_or_b64 exec, exec, s[6:7]
	s_and_saveexec_b64 s[6:7], s[4:5]
	s_cbranch_execz .LBB49_1968
.LBB49_1967:
	v_bfe_u32 v8, v1, 8, 3
	v_ffbh_u32_e32 v10, v8
	v_min_u32_e32 v10, 32, v10
	v_lshrrev_b16_e32 v9, 3, v4
	v_subrev_u32_e32 v11, 28, v10
	v_and_b32_e32 v9, 15, v9
	v_lshlrev_b32_e32 v4, v11, v4
	v_sub_u32_e32 v10, 29, v10
	v_and_b32_e32 v4, 7, v4
	v_cmp_eq_u16_e32 vcc, 0, v9
	v_cndmask_b32_e32 v4, v8, v4, vcc
	v_cndmask_b32_e32 v8, v9, v10, vcc
	v_lshlrev_b32_e32 v9, 16, v1
	v_mov_b32_e32 v10, 0x3b800000
	v_lshlrev_b32_e32 v4, 20, v4
	v_and_b32_e32 v9, 0x80000000, v9
	v_lshl_add_u32 v8, v8, 23, v10
	v_or3_b32 v8, v9, v8, v4
.LBB49_1968:
	s_or_b64 exec, exec, s[6:7]
	s_nop 0
	v_mfma_f32_16x16x4f32 a[0:3], v0, v8, a[0:3]
	s_movk_i32 s4, 0xff
	v_and_b32_sdwa v4, v5, s4 dst_sel:DWORD dst_unused:UNUSED_PAD src0_sel:WORD_1 src1_sel:DWORD
	s_movk_i32 s4, 0x7f
	v_cmp_lt_i16_e32 vcc, s4, v4
	s_mov_b64 s[4:5], 0
                                        ; implicit-def: $sgpr10
	s_and_saveexec_b64 s[6:7], vcc
	s_xor_b64 s[6:7], exec, s[6:7]
	s_cbranch_execnz .LBB49_4017
; %bb.1969:
	s_or_saveexec_b64 s[6:7], s[6:7]
	v_mov_b32_e32 v0, s10
	s_xor_b64 exec, exec, s[6:7]
	s_cbranch_execnz .LBB49_4020
.LBB49_1970:
	s_or_b64 exec, exec, s[6:7]
	s_and_saveexec_b64 s[6:7], s[4:5]
	s_cbranch_execz .LBB49_1972
.LBB49_1971:
	v_bfe_u32 v0, v5, 16, 3
	v_ffbh_u32_e32 v9, v0
	v_min_u32_e32 v9, 32, v9
	v_lshrrev_b32_e32 v4, 19, v5
	v_subrev_u32_e32 v10, 28, v9
	v_and_b32_e32 v4, 15, v4
	v_lshlrev_b32_sdwa v10, v10, v5 dst_sel:DWORD dst_unused:UNUSED_PAD src0_sel:DWORD src1_sel:WORD_1
	v_bfe_u32 v8, v5, 19, 4
	v_sub_u32_e32 v9, 29, v9
	v_and_b32_e32 v10, 7, v10
	v_cmp_eq_u16_e32 vcc, 0, v4
	v_cndmask_b32_e32 v0, v0, v10, vcc
	v_cndmask_b32_e32 v4, v8, v9, vcc
	v_lshlrev_b32_e32 v8, 8, v5
	v_mov_b32_e32 v9, 0x3b800000
	v_lshlrev_b32_e32 v0, 20, v0
	v_and_b32_e32 v8, 0x80000000, v8
	v_lshl_add_u32 v4, v4, 23, v9
	v_or3_b32 v0, v8, v4, v0
.LBB49_1972:
	s_or_b64 exec, exec, s[6:7]
	s_movk_i32 s4, 0xff
	v_and_b32_sdwa v4, v1, s4 dst_sel:DWORD dst_unused:UNUSED_PAD src0_sel:WORD_1 src1_sel:DWORD
	s_movk_i32 s4, 0x7f
	v_cmp_lt_i16_e32 vcc, s4, v4
	s_mov_b64 s[4:5], 0
                                        ; implicit-def: $sgpr10
	s_and_saveexec_b64 s[6:7], vcc
	s_xor_b64 s[6:7], exec, s[6:7]
	s_cbranch_execnz .LBB49_4021
; %bb.1973:
	s_or_saveexec_b64 s[6:7], s[6:7]
	v_mov_b32_e32 v8, s10
	s_xor_b64 exec, exec, s[6:7]
	s_cbranch_execnz .LBB49_4024
.LBB49_1974:
	s_or_b64 exec, exec, s[6:7]
	s_and_saveexec_b64 s[6:7], s[4:5]
	s_cbranch_execz .LBB49_1976
.LBB49_1975:
	v_bfe_u32 v4, v1, 16, 3
	v_ffbh_u32_e32 v10, v4
	v_min_u32_e32 v10, 32, v10
	v_lshrrev_b32_e32 v8, 19, v1
	v_subrev_u32_e32 v11, 28, v10
	v_and_b32_e32 v8, 15, v8
	v_lshlrev_b32_sdwa v11, v11, v1 dst_sel:DWORD dst_unused:UNUSED_PAD src0_sel:DWORD src1_sel:WORD_1
	v_bfe_u32 v9, v1, 19, 4
	v_sub_u32_e32 v10, 29, v10
	v_and_b32_e32 v11, 7, v11
	v_cmp_eq_u16_e32 vcc, 0, v8
	v_cndmask_b32_e32 v4, v4, v11, vcc
	v_cndmask_b32_e32 v8, v9, v10, vcc
	v_lshlrev_b32_e32 v9, 8, v1
	v_mov_b32_e32 v10, 0x3b800000
	v_lshlrev_b32_e32 v4, 20, v4
	v_and_b32_e32 v9, 0x80000000, v9
	v_lshl_add_u32 v8, v8, 23, v10
	v_or3_b32 v8, v9, v8, v4
.LBB49_1976:
	s_or_b64 exec, exec, s[6:7]
	s_nop 0
	v_mfma_f32_16x16x4f32 a[0:3], v0, v8, a[0:3]
	s_movk_i32 s4, 0x7f
	v_cmp_gt_i16_sdwa s[6:7], v5, s4 src0_sel:BYTE_3 src1_sel:DWORD
	s_mov_b64 s[4:5], 0
                                        ; implicit-def: $sgpr10
	s_and_saveexec_b64 s[8:9], s[6:7]
	s_xor_b64 s[6:7], exec, s[8:9]
	s_cbranch_execnz .LBB49_4025
; %bb.1977:
	s_or_saveexec_b64 s[6:7], s[6:7]
	v_mov_b32_e32 v0, s10
	s_xor_b64 exec, exec, s[6:7]
	s_cbranch_execnz .LBB49_4028
.LBB49_1978:
	s_or_b64 exec, exec, s[6:7]
	s_and_saveexec_b64 s[6:7], s[4:5]
	s_cbranch_execz .LBB49_1980
.LBB49_1979:
	v_bfe_u32 v0, v5, 24, 3
	v_ffbh_u32_e32 v10, v0
	v_min_u32_e32 v10, 32, v10
	v_lshrrev_b32_e32 v8, 27, v5
	v_subrev_u32_e32 v11, 28, v10
	v_and_b32_e32 v4, 0x80000000, v5
	v_and_b32_e32 v8, 15, v8
	v_bfe_u32 v9, v5, 27, 4
	v_lshlrev_b32_sdwa v5, v11, v5 dst_sel:DWORD dst_unused:UNUSED_PAD src0_sel:DWORD src1_sel:BYTE_3
	v_sub_u32_e32 v10, 29, v10
	v_and_b32_e32 v5, 7, v5
	v_cmp_eq_u16_e32 vcc, 0, v8
	v_cndmask_b32_e32 v0, v0, v5, vcc
	v_cndmask_b32_e32 v5, v9, v10, vcc
	v_mov_b32_e32 v8, 0x3b800000
	v_lshlrev_b32_e32 v0, 20, v0
	v_lshl_add_u32 v5, v5, 23, v8
	v_or3_b32 v0, v4, v5, v0
.LBB49_1980:
	s_or_b64 exec, exec, s[6:7]
	s_movk_i32 s4, 0x7f
	v_cmp_gt_i16_sdwa s[6:7], v1, s4 src0_sel:BYTE_3 src1_sel:DWORD
	s_mov_b64 s[4:5], 0
                                        ; implicit-def: $sgpr10
	s_and_saveexec_b64 s[8:9], s[6:7]
	s_xor_b64 s[6:7], exec, s[8:9]
	s_cbranch_execnz .LBB49_4029
; %bb.1981:
	s_or_saveexec_b64 s[6:7], s[6:7]
	v_mov_b32_e32 v4, s10
	s_xor_b64 exec, exec, s[6:7]
	s_cbranch_execnz .LBB49_4032
.LBB49_1982:
	s_or_b64 exec, exec, s[6:7]
	s_and_saveexec_b64 s[6:7], s[4:5]
	s_cbranch_execz .LBB49_1984
.LBB49_1983:
	v_bfe_u32 v4, v1, 24, 3
	v_ffbh_u32_e32 v10, v4
	v_min_u32_e32 v10, 32, v10
	v_lshrrev_b32_e32 v8, 27, v1
	v_subrev_u32_e32 v11, 28, v10
	v_and_b32_e32 v5, 0x80000000, v1
	v_and_b32_e32 v8, 15, v8
	v_bfe_u32 v9, v1, 27, 4
	v_lshlrev_b32_sdwa v1, v11, v1 dst_sel:DWORD dst_unused:UNUSED_PAD src0_sel:DWORD src1_sel:BYTE_3
	v_sub_u32_e32 v10, 29, v10
	v_and_b32_e32 v1, 7, v1
	v_cmp_eq_u16_e32 vcc, 0, v8
	v_cndmask_b32_e32 v1, v4, v1, vcc
	v_cndmask_b32_e32 v4, v9, v10, vcc
	v_mov_b32_e32 v8, 0x3b800000
	v_lshlrev_b32_e32 v1, 20, v1
	v_lshl_add_u32 v4, v4, 23, v8
	v_or3_b32 v4, v5, v4, v1
.LBB49_1984:
	s_or_b64 exec, exec, s[6:7]
	s_nop 0
	v_mfma_f32_16x16x4f32 a[0:3], v0, v4, a[0:3]
	s_movk_i32 s4, 0x7f
	v_cmp_gt_i16_sdwa s[6:7], v6, s4 src0_sel:BYTE_0 src1_sel:DWORD
	s_mov_b64 s[4:5], 0
                                        ; implicit-def: $sgpr10
	s_and_saveexec_b64 s[8:9], s[6:7]
	s_xor_b64 s[6:7], exec, s[8:9]
	s_cbranch_execnz .LBB49_4033
; %bb.1985:
	s_or_saveexec_b64 s[6:7], s[6:7]
	v_mov_b32_e32 v0, s10
	s_xor_b64 exec, exec, s[6:7]
	s_cbranch_execnz .LBB49_4036
.LBB49_1986:
	s_or_b64 exec, exec, s[6:7]
	s_and_saveexec_b64 s[6:7], s[4:5]
	s_cbranch_execz .LBB49_1988
.LBB49_1987:
	v_and_b32_e32 v0, 7, v6
	v_ffbh_u32_e32 v4, v0
	v_min_u32_e32 v4, 32, v4
	v_lshrrev_b16_e32 v1, 3, v6
	v_subrev_u32_e32 v5, 28, v4
	v_and_b32_e32 v1, 15, v1
	v_lshlrev_b32_e32 v5, v5, v6
	v_sub_u32_e32 v4, 29, v4
	v_and_b32_e32 v5, 7, v5
	v_cmp_eq_u16_e32 vcc, 0, v1
	v_cndmask_b32_e32 v0, v0, v5, vcc
	v_cndmask_b32_e32 v1, v1, v4, vcc
	v_lshlrev_b32_e32 v4, 24, v6
	v_mov_b32_e32 v5, 0x3b800000
	v_lshlrev_b32_e32 v0, 20, v0
	v_and_b32_e32 v4, 0x80000000, v4
	v_lshl_add_u32 v1, v1, 23, v5
	v_or3_b32 v0, v4, v1, v0
.LBB49_1988:
	s_or_b64 exec, exec, s[6:7]
	s_movk_i32 s4, 0x7f
	v_cmp_gt_i16_sdwa s[6:7], v2, s4 src0_sel:BYTE_0 src1_sel:DWORD
	s_mov_b64 s[4:5], 0
                                        ; implicit-def: $sgpr10
	s_and_saveexec_b64 s[8:9], s[6:7]
	s_xor_b64 s[6:7], exec, s[8:9]
	s_cbranch_execnz .LBB49_4037
; %bb.1989:
	s_or_saveexec_b64 s[6:7], s[6:7]
	v_mov_b32_e32 v1, s10
	s_xor_b64 exec, exec, s[6:7]
	s_cbranch_execnz .LBB49_4040
.LBB49_1990:
	s_or_b64 exec, exec, s[6:7]
	s_and_saveexec_b64 s[6:7], s[4:5]
	s_cbranch_execz .LBB49_1992
.LBB49_1991:
	v_and_b32_e32 v1, 7, v2
	v_ffbh_u32_e32 v5, v1
	v_min_u32_e32 v5, 32, v5
	v_lshrrev_b16_e32 v4, 3, v2
	v_subrev_u32_e32 v8, 28, v5
	v_and_b32_e32 v4, 15, v4
	v_lshlrev_b32_e32 v8, v8, v2
	v_sub_u32_e32 v5, 29, v5
	v_and_b32_e32 v8, 7, v8
	v_cmp_eq_u16_e32 vcc, 0, v4
	v_cndmask_b32_e32 v1, v1, v8, vcc
	v_cndmask_b32_e32 v4, v4, v5, vcc
	v_lshlrev_b32_e32 v5, 24, v2
	v_mov_b32_e32 v8, 0x3b800000
	v_lshlrev_b32_e32 v1, 20, v1
	v_and_b32_e32 v5, 0x80000000, v5
	v_lshl_add_u32 v4, v4, 23, v8
	v_or3_b32 v1, v5, v4, v1
.LBB49_1992:
	s_or_b64 exec, exec, s[6:7]
	s_nop 0
	v_mfma_f32_16x16x4f32 a[0:3], v0, v1, a[0:3]
	v_lshrrev_b32_e32 v1, 8, v6
	s_movk_i32 s4, 0x7f
	v_cmp_gt_i16_sdwa s[6:7], v1, s4 src0_sel:BYTE_0 src1_sel:DWORD
	s_mov_b64 s[4:5], 0
                                        ; implicit-def: $sgpr10
	s_and_saveexec_b64 s[8:9], s[6:7]
	s_xor_b64 s[6:7], exec, s[8:9]
	s_cbranch_execnz .LBB49_4041
; %bb.1993:
	s_or_saveexec_b64 s[6:7], s[6:7]
	v_mov_b32_e32 v0, s10
	s_xor_b64 exec, exec, s[6:7]
	s_cbranch_execnz .LBB49_4044
.LBB49_1994:
	s_or_b64 exec, exec, s[6:7]
	s_and_saveexec_b64 s[6:7], s[4:5]
	s_cbranch_execz .LBB49_1996
.LBB49_1995:
	v_bfe_u32 v0, v6, 8, 3
	v_ffbh_u32_e32 v5, v0
	v_min_u32_e32 v5, 32, v5
	v_lshrrev_b16_e32 v4, 3, v1
	v_subrev_u32_e32 v8, 28, v5
	v_and_b32_e32 v4, 15, v4
	v_lshlrev_b32_e32 v1, v8, v1
	v_sub_u32_e32 v5, 29, v5
	v_and_b32_e32 v1, 7, v1
	v_cmp_eq_u16_e32 vcc, 0, v4
	v_cndmask_b32_e32 v0, v0, v1, vcc
	v_cndmask_b32_e32 v1, v4, v5, vcc
	v_lshlrev_b32_e32 v4, 16, v6
	v_mov_b32_e32 v5, 0x3b800000
	v_lshlrev_b32_e32 v0, 20, v0
	v_and_b32_e32 v4, 0x80000000, v4
	v_lshl_add_u32 v1, v1, 23, v5
	v_or3_b32 v0, v4, v1, v0
.LBB49_1996:
	s_or_b64 exec, exec, s[6:7]
	v_lshrrev_b32_e32 v1, 8, v2
	s_movk_i32 s4, 0x7f
	v_cmp_gt_i16_sdwa s[6:7], v1, s4 src0_sel:BYTE_0 src1_sel:DWORD
	s_mov_b64 s[4:5], 0
                                        ; implicit-def: $sgpr10
	s_and_saveexec_b64 s[8:9], s[6:7]
	s_xor_b64 s[6:7], exec, s[8:9]
	s_cbranch_execnz .LBB49_4045
; %bb.1997:
	s_or_saveexec_b64 s[6:7], s[6:7]
	v_mov_b32_e32 v4, s10
	s_xor_b64 exec, exec, s[6:7]
	s_cbranch_execnz .LBB49_4048
.LBB49_1998:
	s_or_b64 exec, exec, s[6:7]
	s_and_saveexec_b64 s[6:7], s[4:5]
	s_cbranch_execz .LBB49_2000
.LBB49_1999:
	v_bfe_u32 v4, v2, 8, 3
	v_ffbh_u32_e32 v8, v4
	v_min_u32_e32 v8, 32, v8
	v_lshrrev_b16_e32 v5, 3, v1
	v_subrev_u32_e32 v9, 28, v8
	v_and_b32_e32 v5, 15, v5
	v_lshlrev_b32_e32 v1, v9, v1
	v_sub_u32_e32 v8, 29, v8
	v_and_b32_e32 v1, 7, v1
	v_cmp_eq_u16_e32 vcc, 0, v5
	v_cndmask_b32_e32 v1, v4, v1, vcc
	v_cndmask_b32_e32 v4, v5, v8, vcc
	v_lshlrev_b32_e32 v5, 16, v2
	v_mov_b32_e32 v8, 0x3b800000
	v_lshlrev_b32_e32 v1, 20, v1
	v_and_b32_e32 v5, 0x80000000, v5
	v_lshl_add_u32 v4, v4, 23, v8
	v_or3_b32 v4, v5, v4, v1
.LBB49_2000:
	s_or_b64 exec, exec, s[6:7]
	s_nop 0
	v_mfma_f32_16x16x4f32 a[0:3], v0, v4, a[0:3]
	s_movk_i32 s4, 0xff
	v_and_b32_sdwa v1, v6, s4 dst_sel:DWORD dst_unused:UNUSED_PAD src0_sel:WORD_1 src1_sel:DWORD
	s_movk_i32 s4, 0x7f
	v_cmp_lt_i16_e32 vcc, s4, v1
	s_mov_b64 s[4:5], 0
                                        ; implicit-def: $sgpr10
	s_and_saveexec_b64 s[6:7], vcc
	s_xor_b64 s[6:7], exec, s[6:7]
	s_cbranch_execnz .LBB49_4049
; %bb.2001:
	s_or_saveexec_b64 s[6:7], s[6:7]
	v_mov_b32_e32 v0, s10
	s_xor_b64 exec, exec, s[6:7]
	s_cbranch_execnz .LBB49_4052
.LBB49_2002:
	s_or_b64 exec, exec, s[6:7]
	s_and_saveexec_b64 s[6:7], s[4:5]
	s_cbranch_execz .LBB49_2004
.LBB49_2003:
	v_bfe_u32 v0, v6, 16, 3
	v_ffbh_u32_e32 v5, v0
	v_min_u32_e32 v5, 32, v5
	v_lshrrev_b32_e32 v1, 19, v6
	v_subrev_u32_e32 v8, 28, v5
	v_and_b32_e32 v1, 15, v1
	v_lshlrev_b32_sdwa v8, v8, v6 dst_sel:DWORD dst_unused:UNUSED_PAD src0_sel:DWORD src1_sel:WORD_1
	v_bfe_u32 v4, v6, 19, 4
	v_sub_u32_e32 v5, 29, v5
	v_and_b32_e32 v8, 7, v8
	v_cmp_eq_u16_e32 vcc, 0, v1
	v_cndmask_b32_e32 v0, v0, v8, vcc
	v_cndmask_b32_e32 v1, v4, v5, vcc
	v_lshlrev_b32_e32 v4, 8, v6
	v_mov_b32_e32 v5, 0x3b800000
	v_lshlrev_b32_e32 v0, 20, v0
	v_and_b32_e32 v4, 0x80000000, v4
	v_lshl_add_u32 v1, v1, 23, v5
	v_or3_b32 v0, v4, v1, v0
.LBB49_2004:
	s_or_b64 exec, exec, s[6:7]
	s_movk_i32 s4, 0xff
	v_and_b32_sdwa v1, v2, s4 dst_sel:DWORD dst_unused:UNUSED_PAD src0_sel:WORD_1 src1_sel:DWORD
	s_movk_i32 s4, 0x7f
	v_cmp_lt_i16_e32 vcc, s4, v1
	s_mov_b64 s[4:5], 0
                                        ; implicit-def: $sgpr10
	s_and_saveexec_b64 s[6:7], vcc
	s_xor_b64 s[6:7], exec, s[6:7]
	s_cbranch_execnz .LBB49_4053
; %bb.2005:
	s_or_saveexec_b64 s[6:7], s[6:7]
	v_mov_b32_e32 v4, s10
	s_xor_b64 exec, exec, s[6:7]
	s_cbranch_execnz .LBB49_4056
.LBB49_2006:
	s_or_b64 exec, exec, s[6:7]
	s_and_saveexec_b64 s[6:7], s[4:5]
	s_cbranch_execz .LBB49_2008
.LBB49_2007:
	v_bfe_u32 v1, v2, 16, 3
	v_ffbh_u32_e32 v8, v1
	v_min_u32_e32 v8, 32, v8
	v_lshrrev_b32_e32 v4, 19, v2
	v_subrev_u32_e32 v9, 28, v8
	v_and_b32_e32 v4, 15, v4
	v_lshlrev_b32_sdwa v9, v9, v2 dst_sel:DWORD dst_unused:UNUSED_PAD src0_sel:DWORD src1_sel:WORD_1
	v_bfe_u32 v5, v2, 19, 4
	v_sub_u32_e32 v8, 29, v8
	v_and_b32_e32 v9, 7, v9
	v_cmp_eq_u16_e32 vcc, 0, v4
	v_cndmask_b32_e32 v1, v1, v9, vcc
	v_cndmask_b32_e32 v4, v5, v8, vcc
	v_lshlrev_b32_e32 v5, 8, v2
	v_mov_b32_e32 v8, 0x3b800000
	v_lshlrev_b32_e32 v1, 20, v1
	v_and_b32_e32 v5, 0x80000000, v5
	v_lshl_add_u32 v4, v4, 23, v8
	v_or3_b32 v4, v5, v4, v1
.LBB49_2008:
	s_or_b64 exec, exec, s[6:7]
	s_nop 0
	v_mfma_f32_16x16x4f32 a[0:3], v0, v4, a[0:3]
	s_movk_i32 s4, 0x7f
	v_cmp_gt_i16_sdwa s[6:7], v6, s4 src0_sel:BYTE_3 src1_sel:DWORD
	s_mov_b64 s[4:5], 0
                                        ; implicit-def: $sgpr10
	s_and_saveexec_b64 s[8:9], s[6:7]
	s_xor_b64 s[6:7], exec, s[8:9]
	s_cbranch_execnz .LBB49_4057
; %bb.2009:
	s_or_saveexec_b64 s[6:7], s[6:7]
	v_mov_b32_e32 v0, s10
	s_xor_b64 exec, exec, s[6:7]
	s_cbranch_execnz .LBB49_4060
.LBB49_2010:
	s_or_b64 exec, exec, s[6:7]
	s_and_saveexec_b64 s[6:7], s[4:5]
	s_cbranch_execz .LBB49_2012
.LBB49_2011:
	v_bfe_u32 v0, v6, 24, 3
	v_ffbh_u32_e32 v8, v0
	v_min_u32_e32 v8, 32, v8
	v_lshrrev_b32_e32 v4, 27, v6
	v_subrev_u32_e32 v9, 28, v8
	v_and_b32_e32 v1, 0x80000000, v6
	v_and_b32_e32 v4, 15, v4
	v_bfe_u32 v5, v6, 27, 4
	v_lshlrev_b32_sdwa v6, v9, v6 dst_sel:DWORD dst_unused:UNUSED_PAD src0_sel:DWORD src1_sel:BYTE_3
	v_sub_u32_e32 v8, 29, v8
	v_and_b32_e32 v6, 7, v6
	v_cmp_eq_u16_e32 vcc, 0, v4
	v_cndmask_b32_e32 v0, v0, v6, vcc
	v_cndmask_b32_e32 v4, v5, v8, vcc
	v_mov_b32_e32 v5, 0x3b800000
	v_lshlrev_b32_e32 v0, 20, v0
	v_lshl_add_u32 v4, v4, 23, v5
	v_or3_b32 v0, v1, v4, v0
.LBB49_2012:
	s_or_b64 exec, exec, s[6:7]
	s_movk_i32 s4, 0x7f
	v_cmp_gt_i16_sdwa s[6:7], v2, s4 src0_sel:BYTE_3 src1_sel:DWORD
	s_mov_b64 s[4:5], 0
                                        ; implicit-def: $sgpr10
	s_and_saveexec_b64 s[8:9], s[6:7]
	s_xor_b64 s[6:7], exec, s[8:9]
	s_cbranch_execnz .LBB49_4061
; %bb.2013:
	s_or_saveexec_b64 s[6:7], s[6:7]
	v_mov_b32_e32 v1, s10
	s_xor_b64 exec, exec, s[6:7]
	s_cbranch_execnz .LBB49_4064
.LBB49_2014:
	s_or_b64 exec, exec, s[6:7]
	s_and_saveexec_b64 s[6:7], s[4:5]
	s_cbranch_execz .LBB49_2016
.LBB49_2015:
	v_bfe_u32 v1, v2, 24, 3
	v_ffbh_u32_e32 v8, v1
	v_min_u32_e32 v8, 32, v8
	v_lshrrev_b32_e32 v5, 27, v2
	v_subrev_u32_e32 v9, 28, v8
	v_and_b32_e32 v4, 0x80000000, v2
	v_and_b32_e32 v5, 15, v5
	v_bfe_u32 v6, v2, 27, 4
	v_lshlrev_b32_sdwa v2, v9, v2 dst_sel:DWORD dst_unused:UNUSED_PAD src0_sel:DWORD src1_sel:BYTE_3
	v_sub_u32_e32 v8, 29, v8
	v_and_b32_e32 v2, 7, v2
	v_cmp_eq_u16_e32 vcc, 0, v5
	v_cndmask_b32_e32 v1, v1, v2, vcc
	v_cndmask_b32_e32 v2, v6, v8, vcc
	v_mov_b32_e32 v5, 0x3b800000
	v_lshlrev_b32_e32 v1, 20, v1
	v_lshl_add_u32 v2, v2, 23, v5
	v_or3_b32 v1, v4, v2, v1
.LBB49_2016:
	s_or_b64 exec, exec, s[6:7]
	s_nop 0
	v_mfma_f32_16x16x4f32 a[0:3], v0, v1, a[0:3]
	s_movk_i32 s4, 0x7f
	v_cmp_gt_i16_sdwa s[6:7], v7, s4 src0_sel:BYTE_0 src1_sel:DWORD
	s_mov_b64 s[4:5], 0
                                        ; implicit-def: $sgpr10
	s_and_saveexec_b64 s[8:9], s[6:7]
	s_xor_b64 s[6:7], exec, s[8:9]
	s_cbranch_execnz .LBB49_4065
; %bb.2017:
	s_or_saveexec_b64 s[6:7], s[6:7]
	v_mov_b32_e32 v0, s10
	s_xor_b64 exec, exec, s[6:7]
	s_cbranch_execnz .LBB49_4068
.LBB49_2018:
	s_or_b64 exec, exec, s[6:7]
	s_and_saveexec_b64 s[6:7], s[4:5]
	s_cbranch_execz .LBB49_2020
.LBB49_2019:
	v_mov_b32_e32 v0, 8
	v_and_b32_e32 v1, 7, v7
	v_lshrrev_b32_sdwa v0, v0, v7 dst_sel:BYTE_1 dst_unused:UNUSED_PAD src0_sel:DWORD src1_sel:DWORD
	v_ffbh_u32_e32 v2, v1
	v_or_b32_sdwa v0, v7, v0 dst_sel:DWORD dst_unused:UNUSED_PAD src0_sel:BYTE_0 src1_sel:DWORD
	v_min_u32_e32 v2, 32, v2
	v_lshrrev_b16_e32 v0, 3, v0
	v_subrev_u32_e32 v4, 28, v2
	v_and_b32_e32 v0, 15, v0
	v_lshlrev_b32_e32 v4, v4, v7
	v_sub_u32_e32 v2, 29, v2
	v_and_b32_e32 v4, 7, v4
	v_cmp_eq_u16_e32 vcc, 0, v0
	v_cndmask_b32_e32 v1, v1, v4, vcc
	v_cndmask_b32_e32 v0, v0, v2, vcc
	v_lshlrev_b32_e32 v2, 24, v7
	v_mov_b32_e32 v4, 0x3b800000
	v_lshlrev_b32_e32 v1, 20, v1
	v_and_b32_e32 v2, 0x80000000, v2
	v_lshl_add_u32 v0, v0, 23, v4
	v_or3_b32 v0, v2, v0, v1
.LBB49_2020:
	s_or_b64 exec, exec, s[6:7]
	s_movk_i32 s4, 0x7f
	v_cmp_gt_i16_sdwa s[6:7], v3, s4 src0_sel:BYTE_0 src1_sel:DWORD
	s_mov_b64 s[4:5], 0
                                        ; implicit-def: $sgpr10
	s_and_saveexec_b64 s[8:9], s[6:7]
	s_xor_b64 s[6:7], exec, s[8:9]
	s_cbranch_execnz .LBB49_4069
; %bb.2021:
	s_or_saveexec_b64 s[6:7], s[6:7]
	v_mov_b32_e32 v1, s10
	s_xor_b64 exec, exec, s[6:7]
	s_cbranch_execnz .LBB49_4072
.LBB49_2022:
	s_or_b64 exec, exec, s[6:7]
	s_and_saveexec_b64 s[6:7], s[4:5]
	s_cbranch_execz .LBB49_2024
.LBB49_2023:
	v_mov_b32_e32 v1, 8
	v_and_b32_e32 v2, 7, v3
	v_lshrrev_b32_sdwa v1, v1, v3 dst_sel:BYTE_1 dst_unused:UNUSED_PAD src0_sel:DWORD src1_sel:DWORD
	v_ffbh_u32_e32 v4, v2
	v_or_b32_sdwa v1, v3, v1 dst_sel:DWORD dst_unused:UNUSED_PAD src0_sel:BYTE_0 src1_sel:DWORD
	v_min_u32_e32 v4, 32, v4
	v_lshrrev_b16_e32 v1, 3, v1
	v_subrev_u32_e32 v5, 28, v4
	v_and_b32_e32 v1, 15, v1
	v_lshlrev_b32_e32 v5, v5, v3
	v_sub_u32_e32 v4, 29, v4
	v_and_b32_e32 v5, 7, v5
	v_cmp_eq_u16_e32 vcc, 0, v1
	v_cndmask_b32_e32 v2, v2, v5, vcc
	v_cndmask_b32_e32 v1, v1, v4, vcc
	v_lshlrev_b32_e32 v4, 24, v3
	v_mov_b32_e32 v5, 0x3b800000
	v_lshlrev_b32_e32 v2, 20, v2
	v_and_b32_e32 v4, 0x80000000, v4
	v_lshl_add_u32 v1, v1, 23, v5
	v_or3_b32 v1, v4, v1, v2
.LBB49_2024:
	s_or_b64 exec, exec, s[6:7]
	s_nop 0
	v_mfma_f32_16x16x4f32 a[0:3], v0, v1, a[0:3]
	v_lshrrev_b32_e32 v1, 8, v7
	s_movk_i32 s4, 0x7f
	v_cmp_gt_i16_sdwa s[6:7], v1, s4 src0_sel:BYTE_0 src1_sel:DWORD
	s_mov_b64 s[4:5], 0
                                        ; implicit-def: $sgpr10
	s_and_saveexec_b64 s[8:9], s[6:7]
	s_xor_b64 s[6:7], exec, s[8:9]
	s_cbranch_execnz .LBB49_4073
; %bb.2025:
	s_or_saveexec_b64 s[6:7], s[6:7]
	v_mov_b32_e32 v0, s10
	s_xor_b64 exec, exec, s[6:7]
	s_cbranch_execnz .LBB49_4076
.LBB49_2026:
	s_or_b64 exec, exec, s[6:7]
	s_and_saveexec_b64 s[6:7], s[4:5]
	s_cbranch_execz .LBB49_2028
.LBB49_2027:
	v_bfe_u32 v0, v7, 8, 3
	v_ffbh_u32_e32 v4, v0
	v_min_u32_e32 v4, 32, v4
	v_lshrrev_b16_e32 v2, 3, v1
	v_subrev_u32_e32 v5, 28, v4
	v_and_b32_e32 v2, 15, v2
	v_lshlrev_b32_e32 v1, v5, v1
	v_sub_u32_e32 v4, 29, v4
	v_and_b32_e32 v1, 7, v1
	v_cmp_eq_u16_e32 vcc, 0, v2
	v_cndmask_b32_e32 v0, v0, v1, vcc
	v_cndmask_b32_e32 v1, v2, v4, vcc
	v_lshlrev_b32_e32 v2, 16, v7
	v_mov_b32_e32 v4, 0x3b800000
	v_lshlrev_b32_e32 v0, 20, v0
	v_and_b32_e32 v2, 0x80000000, v2
	v_lshl_add_u32 v1, v1, 23, v4
	v_or3_b32 v0, v2, v1, v0
.LBB49_2028:
	s_or_b64 exec, exec, s[6:7]
	v_lshrrev_b32_e32 v1, 8, v3
	s_movk_i32 s4, 0x7f
	v_cmp_gt_i16_sdwa s[6:7], v1, s4 src0_sel:BYTE_0 src1_sel:DWORD
	s_mov_b64 s[4:5], 0
                                        ; implicit-def: $sgpr10
	s_and_saveexec_b64 s[8:9], s[6:7]
	s_xor_b64 s[6:7], exec, s[8:9]
	s_cbranch_execnz .LBB49_4077
; %bb.2029:
	s_or_saveexec_b64 s[6:7], s[6:7]
	v_mov_b32_e32 v2, s10
	s_xor_b64 exec, exec, s[6:7]
	s_cbranch_execnz .LBB49_4080
.LBB49_2030:
	s_or_b64 exec, exec, s[6:7]
	s_and_saveexec_b64 s[6:7], s[4:5]
	s_cbranch_execz .LBB49_2032
.LBB49_2031:
	v_bfe_u32 v2, v3, 8, 3
	v_ffbh_u32_e32 v5, v2
	v_min_u32_e32 v5, 32, v5
	v_lshrrev_b16_e32 v4, 3, v1
	v_subrev_u32_e32 v6, 28, v5
	v_and_b32_e32 v4, 15, v4
	v_lshlrev_b32_e32 v1, v6, v1
	v_sub_u32_e32 v5, 29, v5
	v_and_b32_e32 v1, 7, v1
	v_cmp_eq_u16_e32 vcc, 0, v4
	v_cndmask_b32_e32 v1, v2, v1, vcc
	v_cndmask_b32_e32 v2, v4, v5, vcc
	v_lshlrev_b32_e32 v4, 16, v3
	v_mov_b32_e32 v5, 0x3b800000
	v_lshlrev_b32_e32 v1, 20, v1
	v_and_b32_e32 v4, 0x80000000, v4
	v_lshl_add_u32 v2, v2, 23, v5
	v_or3_b32 v2, v4, v2, v1
.LBB49_2032:
	s_or_b64 exec, exec, s[6:7]
	s_nop 0
	v_mfma_f32_16x16x4f32 a[0:3], v0, v2, a[0:3]
	s_movk_i32 s4, 0xff
	v_and_b32_sdwa v1, v7, s4 dst_sel:DWORD dst_unused:UNUSED_PAD src0_sel:WORD_1 src1_sel:DWORD
	s_movk_i32 s4, 0x7f
	v_cmp_lt_i16_e32 vcc, s4, v1
	s_mov_b64 s[4:5], 0
                                        ; implicit-def: $sgpr10
	s_and_saveexec_b64 s[6:7], vcc
	s_xor_b64 s[6:7], exec, s[6:7]
	s_cbranch_execnz .LBB49_4081
; %bb.2033:
	s_or_saveexec_b64 s[6:7], s[6:7]
	v_mov_b32_e32 v0, s10
	s_xor_b64 exec, exec, s[6:7]
	s_cbranch_execnz .LBB49_4084
.LBB49_2034:
	s_or_b64 exec, exec, s[6:7]
	s_and_saveexec_b64 s[6:7], s[4:5]
	s_cbranch_execz .LBB49_2036
.LBB49_2035:
	v_bfe_u32 v0, v7, 16, 3
	v_ffbh_u32_e32 v4, v0
	v_min_u32_e32 v4, 32, v4
	v_lshrrev_b32_e32 v1, 19, v7
	v_subrev_u32_e32 v5, 28, v4
	v_and_b32_e32 v1, 15, v1
	v_lshlrev_b32_sdwa v5, v5, v7 dst_sel:DWORD dst_unused:UNUSED_PAD src0_sel:DWORD src1_sel:WORD_1
	v_bfe_u32 v2, v7, 19, 4
	v_sub_u32_e32 v4, 29, v4
	v_and_b32_e32 v5, 7, v5
	v_cmp_eq_u16_e32 vcc, 0, v1
	v_cndmask_b32_e32 v0, v0, v5, vcc
	v_cndmask_b32_e32 v1, v2, v4, vcc
	v_lshlrev_b32_e32 v2, 8, v7
	v_mov_b32_e32 v4, 0x3b800000
	v_lshlrev_b32_e32 v0, 20, v0
	v_and_b32_e32 v2, 0x80000000, v2
	v_lshl_add_u32 v1, v1, 23, v4
	v_or3_b32 v0, v2, v1, v0
.LBB49_2036:
	s_or_b64 exec, exec, s[6:7]
	s_movk_i32 s4, 0xff
	v_and_b32_sdwa v1, v3, s4 dst_sel:DWORD dst_unused:UNUSED_PAD src0_sel:WORD_1 src1_sel:DWORD
	s_movk_i32 s4, 0x7f
	v_cmp_lt_i16_e32 vcc, s4, v1
	s_mov_b64 s[4:5], 0
                                        ; implicit-def: $sgpr10
	s_and_saveexec_b64 s[6:7], vcc
	s_xor_b64 s[6:7], exec, s[6:7]
	s_cbranch_execnz .LBB49_4085
; %bb.2037:
	s_or_saveexec_b64 s[6:7], s[6:7]
	v_mov_b32_e32 v2, s10
	s_xor_b64 exec, exec, s[6:7]
	s_cbranch_execnz .LBB49_4088
.LBB49_2038:
	s_or_b64 exec, exec, s[6:7]
	s_and_saveexec_b64 s[6:7], s[4:5]
	s_cbranch_execz .LBB49_2040
.LBB49_2039:
	v_bfe_u32 v1, v3, 16, 3
	v_ffbh_u32_e32 v5, v1
	v_min_u32_e32 v5, 32, v5
	v_lshrrev_b32_e32 v2, 19, v3
	v_subrev_u32_e32 v6, 28, v5
	v_and_b32_e32 v2, 15, v2
	v_lshlrev_b32_sdwa v6, v6, v3 dst_sel:DWORD dst_unused:UNUSED_PAD src0_sel:DWORD src1_sel:WORD_1
	v_bfe_u32 v4, v3, 19, 4
	v_sub_u32_e32 v5, 29, v5
	v_and_b32_e32 v6, 7, v6
	v_cmp_eq_u16_e32 vcc, 0, v2
	v_cndmask_b32_e32 v1, v1, v6, vcc
	v_cndmask_b32_e32 v2, v4, v5, vcc
	v_lshlrev_b32_e32 v4, 8, v3
	v_mov_b32_e32 v5, 0x3b800000
	v_lshlrev_b32_e32 v1, 20, v1
	v_and_b32_e32 v4, 0x80000000, v4
	v_lshl_add_u32 v2, v2, 23, v5
	v_or3_b32 v2, v4, v2, v1
.LBB49_2040:
	s_or_b64 exec, exec, s[6:7]
	s_nop 0
	v_mfma_f32_16x16x4f32 a[0:3], v0, v2, a[0:3]
	s_movk_i32 s4, 0x7f
	v_cmp_gt_i16_sdwa s[6:7], v7, s4 src0_sel:BYTE_3 src1_sel:DWORD
	s_mov_b64 s[4:5], 0
                                        ; implicit-def: $sgpr10
	s_and_saveexec_b64 s[8:9], s[6:7]
	s_xor_b64 s[6:7], exec, s[8:9]
	s_cbranch_execnz .LBB49_4089
; %bb.2041:
	s_or_saveexec_b64 s[6:7], s[6:7]
	v_mov_b32_e32 v0, s10
	s_xor_b64 exec, exec, s[6:7]
	s_cbranch_execnz .LBB49_4092
.LBB49_2042:
	s_or_b64 exec, exec, s[6:7]
	s_and_saveexec_b64 s[6:7], s[4:5]
	s_cbranch_execz .LBB49_2044
.LBB49_2043:
	v_bfe_u32 v0, v7, 24, 3
	v_ffbh_u32_e32 v5, v0
	v_min_u32_e32 v5, 32, v5
	v_lshrrev_b32_e32 v2, 27, v7
	v_subrev_u32_e32 v6, 28, v5
	v_and_b32_e32 v2, 15, v2
	v_lshlrev_b32_sdwa v6, v6, v7 dst_sel:DWORD dst_unused:UNUSED_PAD src0_sel:DWORD src1_sel:BYTE_3
	v_bfe_u32 v4, v7, 27, 4
	v_sub_u32_e32 v5, 29, v5
	v_and_b32_e32 v6, 7, v6
	v_cmp_eq_u16_e32 vcc, 0, v2
	v_cndmask_b32_e32 v0, v0, v6, vcc
	v_cndmask_b32_e32 v2, v4, v5, vcc
	v_mov_b32_e32 v4, 0x3b800000
	v_and_b32_e32 v1, 0x80000000, v7
	v_lshlrev_b32_e32 v0, 20, v0
	v_lshl_add_u32 v2, v2, 23, v4
	v_or3_b32 v0, v1, v2, v0
.LBB49_2044:
	s_or_b64 exec, exec, s[6:7]
	s_movk_i32 s4, 0x7f
	v_cmp_gt_i16_sdwa s[6:7], v3, s4 src0_sel:BYTE_3 src1_sel:DWORD
	s_mov_b64 s[4:5], 0
                                        ; implicit-def: $sgpr10
	s_and_saveexec_b64 s[8:9], s[6:7]
	s_xor_b64 s[6:7], exec, s[8:9]
	s_cbranch_execnz .LBB49_4093
; %bb.2045:
	s_or_saveexec_b64 s[6:7], s[6:7]
	v_mov_b32_e32 v1, s10
	s_xor_b64 exec, exec, s[6:7]
	s_cbranch_execnz .LBB49_4096
.LBB49_2046:
	s_or_b64 exec, exec, s[6:7]
	s_and_saveexec_b64 s[6:7], s[4:5]
	s_cbranch_execz .LBB49_2048
.LBB49_2047:
	v_bfe_u32 v1, v3, 24, 3
	v_ffbh_u32_e32 v6, v1
	v_min_u32_e32 v6, 32, v6
	v_lshrrev_b32_e32 v4, 27, v3
	v_subrev_u32_e32 v7, 28, v6
	v_and_b32_e32 v2, 0x80000000, v3
	v_and_b32_e32 v4, 15, v4
	v_bfe_u32 v5, v3, 27, 4
	v_lshlrev_b32_sdwa v3, v7, v3 dst_sel:DWORD dst_unused:UNUSED_PAD src0_sel:DWORD src1_sel:BYTE_3
	v_sub_u32_e32 v6, 29, v6
	v_and_b32_e32 v3, 7, v3
	v_cmp_eq_u16_e32 vcc, 0, v4
	v_cndmask_b32_e32 v1, v1, v3, vcc
	v_cndmask_b32_e32 v3, v5, v6, vcc
	v_mov_b32_e32 v4, 0x3b800000
	v_lshlrev_b32_e32 v1, 20, v1
	v_lshl_add_u32 v3, v3, 23, v4
	v_or3_b32 v1, v2, v3, v1
.LBB49_2048:
	s_or_b64 exec, exec, s[6:7]
	s_nop 0
	v_mfma_f32_16x16x4f32 a[0:3], v0, v1, a[0:3]
	s_nop 7
	s_nop 2
	flat_store_dwordx4 v[16:17], a[0:3] offset:752
	s_waitcnt vmcnt(0) lgkmcnt(0)
	s_setpc_b64 s[30:31]
.LBB49_2049:
	s_movk_i32 s4, 0x80
	v_cmp_eq_u16_sdwa s[12:13], v14, s4 src0_sel:BYTE_0 src1_sel:DWORD
	s_mov_b64 s[4:5], -1
                                        ; implicit-def: $sgpr10
	s_and_saveexec_b64 s[8:9], s[12:13]
; %bb.2050:
	s_mov_b32 s10, 0x7f800001
	s_xor_b64 s[4:5], exec, -1
; %bb.2051:
	s_or_b64 exec, exec, s[8:9]
	s_and_b64 s[4:5], s[4:5], exec
	s_or_saveexec_b64 s[6:7], s[6:7]
	v_mov_b32_e32 v20, s10
	s_xor_b64 exec, exec, s[6:7]
	s_cbranch_execz .LBB49_2
.LBB49_2052:
	v_mov_b32_e32 v20, 0
	v_cmp_ne_u16_sdwa s[8:9], v14, v20 src0_sel:BYTE_0 src1_sel:DWORD
	s_andn2_b64 s[4:5], s[4:5], exec
	s_and_b64 s[8:9], s[8:9], exec
	s_or_b64 s[4:5], s[4:5], s[8:9]
	s_or_b64 exec, exec, s[6:7]
	s_and_saveexec_b64 s[6:7], s[4:5]
	s_cbranch_execnz .LBB49_3
	s_branch .LBB49_4
.LBB49_2053:
	s_movk_i32 s4, 0x80
	v_cmp_eq_u16_sdwa s[12:13], v10, s4 src0_sel:BYTE_0 src1_sel:DWORD
	s_mov_b64 s[4:5], -1
                                        ; implicit-def: $sgpr10
	s_and_saveexec_b64 s[8:9], s[12:13]
; %bb.2054:
	s_mov_b32 s10, 0x7f800001
	s_xor_b64 s[4:5], exec, -1
; %bb.2055:
	s_or_b64 exec, exec, s[8:9]
	s_and_b64 s[4:5], s[4:5], exec
	s_or_saveexec_b64 s[6:7], s[6:7]
	v_mov_b32_e32 v21, s10
	s_xor_b64 exec, exec, s[6:7]
	s_cbranch_execz .LBB49_6
.LBB49_2056:
	v_mov_b32_e32 v21, 0
	v_cmp_ne_u16_sdwa s[8:9], v10, v21 src0_sel:BYTE_0 src1_sel:DWORD
	s_andn2_b64 s[4:5], s[4:5], exec
	s_and_b64 s[8:9], s[8:9], exec
	s_or_b64 s[4:5], s[4:5], s[8:9]
	s_or_b64 exec, exec, s[6:7]
	s_and_saveexec_b64 s[6:7], s[4:5]
	s_cbranch_execnz .LBB49_7
	s_branch .LBB49_8
.LBB49_2057:
	s_movk_i32 s4, 0x80
	v_cmp_eq_u16_sdwa s[12:13], v21, s4 src0_sel:BYTE_0 src1_sel:DWORD
	s_mov_b64 s[4:5], -1
                                        ; implicit-def: $sgpr10
	s_and_saveexec_b64 s[8:9], s[12:13]
; %bb.2058:
	s_mov_b32 s10, 0x7f800001
	s_xor_b64 s[4:5], exec, -1
; %bb.2059:
	s_or_b64 exec, exec, s[8:9]
	s_and_b64 s[4:5], s[4:5], exec
	s_or_saveexec_b64 s[6:7], s[6:7]
	v_mov_b32_e32 v20, s10
	s_xor_b64 exec, exec, s[6:7]
	s_cbranch_execz .LBB49_10
.LBB49_2060:
	v_mov_b32_e32 v20, 0
	v_cmp_ne_u16_sdwa s[8:9], v21, v20 src0_sel:BYTE_0 src1_sel:DWORD
	s_andn2_b64 s[4:5], s[4:5], exec
	s_and_b64 s[8:9], s[8:9], exec
	s_or_b64 s[4:5], s[4:5], s[8:9]
	s_or_b64 exec, exec, s[6:7]
	s_and_saveexec_b64 s[6:7], s[4:5]
	s_cbranch_execnz .LBB49_11
	s_branch .LBB49_12
.LBB49_2061:
	s_movk_i32 s4, 0x80
	v_cmp_eq_u16_sdwa s[12:13], v21, s4 src0_sel:BYTE_0 src1_sel:DWORD
	s_mov_b64 s[4:5], -1
                                        ; implicit-def: $sgpr10
	s_and_saveexec_b64 s[8:9], s[12:13]
; %bb.2062:
	s_mov_b32 s10, 0x7f800001
	s_xor_b64 s[4:5], exec, -1
; %bb.2063:
	s_or_b64 exec, exec, s[8:9]
	s_and_b64 s[4:5], s[4:5], exec
	s_or_saveexec_b64 s[6:7], s[6:7]
	v_mov_b32_e32 v22, s10
	s_xor_b64 exec, exec, s[6:7]
	s_cbranch_execz .LBB49_14
.LBB49_2064:
	v_mov_b32_e32 v22, 0
	v_cmp_ne_u16_sdwa s[8:9], v21, v22 src0_sel:BYTE_0 src1_sel:DWORD
	s_andn2_b64 s[4:5], s[4:5], exec
	s_and_b64 s[8:9], s[8:9], exec
	s_or_b64 s[4:5], s[4:5], s[8:9]
	s_or_b64 exec, exec, s[6:7]
	s_and_saveexec_b64 s[6:7], s[4:5]
	s_cbranch_execnz .LBB49_15
	s_branch .LBB49_16
.LBB49_2065:
	s_movk_i32 s4, 0x80
	v_cmp_eq_u16_e32 vcc, s4, v21
	s_mov_b64 s[4:5], -1
                                        ; implicit-def: $sgpr10
	s_and_saveexec_b64 s[8:9], vcc
; %bb.2066:
	s_mov_b32 s10, 0x7f800001
	s_xor_b64 s[4:5], exec, -1
; %bb.2067:
	s_or_b64 exec, exec, s[8:9]
	s_and_b64 s[4:5], s[4:5], exec
                                        ; implicit-def: $vgpr21
	s_or_saveexec_b64 s[6:7], s[6:7]
	v_mov_b32_e32 v20, s10
	s_xor_b64 exec, exec, s[6:7]
	s_cbranch_execz .LBB49_18
.LBB49_2068:
	v_cmp_ne_u16_e32 vcc, 0, v21
	s_andn2_b64 s[4:5], s[4:5], exec
	s_and_b64 s[8:9], vcc, exec
	v_mov_b32_e32 v20, 0
	s_or_b64 s[4:5], s[4:5], s[8:9]
	s_or_b64 exec, exec, s[6:7]
	s_and_saveexec_b64 s[6:7], s[4:5]
	s_cbranch_execnz .LBB49_19
	s_branch .LBB49_20
.LBB49_2069:
	s_movk_i32 s4, 0x80
	v_cmp_eq_u16_e32 vcc, s4, v21
	s_mov_b64 s[4:5], -1
                                        ; implicit-def: $sgpr10
	s_and_saveexec_b64 s[8:9], vcc
; %bb.2070:
	s_mov_b32 s10, 0x7f800001
	s_xor_b64 s[4:5], exec, -1
; %bb.2071:
	s_or_b64 exec, exec, s[8:9]
	s_and_b64 s[4:5], s[4:5], exec
                                        ; implicit-def: $vgpr21
	s_or_saveexec_b64 s[6:7], s[6:7]
	v_mov_b32_e32 v22, s10
	s_xor_b64 exec, exec, s[6:7]
	s_cbranch_execz .LBB49_22
.LBB49_2072:
	v_cmp_ne_u16_e32 vcc, 0, v21
	s_andn2_b64 s[4:5], s[4:5], exec
	s_and_b64 s[8:9], vcc, exec
	v_mov_b32_e32 v22, 0
	s_or_b64 s[4:5], s[4:5], s[8:9]
	s_or_b64 exec, exec, s[6:7]
	s_and_saveexec_b64 s[6:7], s[4:5]
	s_cbranch_execnz .LBB49_23
	s_branch .LBB49_24
.LBB49_2073:
	s_movk_i32 s4, 0x80
	v_cmp_eq_u16_sdwa s[12:13], v14, s4 src0_sel:BYTE_3 src1_sel:DWORD
	s_mov_b64 s[4:5], -1
                                        ; implicit-def: $sgpr10
	s_and_saveexec_b64 s[8:9], s[12:13]
; %bb.2074:
	s_mov_b32 s10, 0x7f800001
	s_xor_b64 s[4:5], exec, -1
; %bb.2075:
	s_or_b64 exec, exec, s[8:9]
	s_and_b64 s[4:5], s[4:5], exec
	s_or_saveexec_b64 s[6:7], s[6:7]
	v_mov_b32_e32 v20, s10
	s_xor_b64 exec, exec, s[6:7]
	s_cbranch_execz .LBB49_26
.LBB49_2076:
	v_mov_b32_e32 v20, 0
	v_cmp_ne_u16_sdwa s[8:9], v14, v20 src0_sel:BYTE_3 src1_sel:DWORD
	s_andn2_b64 s[4:5], s[4:5], exec
	s_and_b64 s[8:9], s[8:9], exec
	s_or_b64 s[4:5], s[4:5], s[8:9]
	s_or_b64 exec, exec, s[6:7]
	s_and_saveexec_b64 s[6:7], s[4:5]
	s_cbranch_execnz .LBB49_27
	s_branch .LBB49_28
.LBB49_2077:
	s_movk_i32 s4, 0x80
	v_cmp_eq_u16_sdwa s[12:13], v10, s4 src0_sel:BYTE_3 src1_sel:DWORD
	s_mov_b64 s[4:5], -1
                                        ; implicit-def: $sgpr10
	s_and_saveexec_b64 s[8:9], s[12:13]
; %bb.2078:
	s_mov_b32 s10, 0x7f800001
	s_xor_b64 s[4:5], exec, -1
; %bb.2079:
	s_or_b64 exec, exec, s[8:9]
	s_and_b64 s[4:5], s[4:5], exec
	s_or_saveexec_b64 s[6:7], s[6:7]
	v_mov_b32_e32 v14, s10
	s_xor_b64 exec, exec, s[6:7]
	s_cbranch_execz .LBB49_30
.LBB49_2080:
	v_mov_b32_e32 v14, 0
	v_cmp_ne_u16_sdwa s[8:9], v10, v14 src0_sel:BYTE_3 src1_sel:DWORD
	s_andn2_b64 s[4:5], s[4:5], exec
	s_and_b64 s[8:9], s[8:9], exec
	s_or_b64 s[4:5], s[4:5], s[8:9]
	s_or_b64 exec, exec, s[6:7]
	s_and_saveexec_b64 s[6:7], s[4:5]
	s_cbranch_execnz .LBB49_31
	s_branch .LBB49_32
.LBB49_2081:
	s_movk_i32 s4, 0x80
	v_cmp_eq_u16_sdwa s[12:13], v15, s4 src0_sel:BYTE_0 src1_sel:DWORD
	s_mov_b64 s[4:5], -1
                                        ; implicit-def: $sgpr10
	s_and_saveexec_b64 s[8:9], s[12:13]
; %bb.2082:
	s_mov_b32 s10, 0x7f800001
	s_xor_b64 s[4:5], exec, -1
; %bb.2083:
	s_or_b64 exec, exec, s[8:9]
	s_and_b64 s[4:5], s[4:5], exec
	s_or_saveexec_b64 s[6:7], s[6:7]
	v_mov_b32_e32 v10, s10
	s_xor_b64 exec, exec, s[6:7]
	s_cbranch_execz .LBB49_34
.LBB49_2084:
	v_mov_b32_e32 v10, 0
	v_cmp_ne_u16_sdwa s[8:9], v15, v10 src0_sel:BYTE_0 src1_sel:DWORD
	s_andn2_b64 s[4:5], s[4:5], exec
	s_and_b64 s[8:9], s[8:9], exec
	s_or_b64 s[4:5], s[4:5], s[8:9]
	s_or_b64 exec, exec, s[6:7]
	s_and_saveexec_b64 s[6:7], s[4:5]
	s_cbranch_execnz .LBB49_35
	s_branch .LBB49_36
.LBB49_2085:
	s_movk_i32 s4, 0x80
	v_cmp_eq_u16_sdwa s[12:13], v11, s4 src0_sel:BYTE_0 src1_sel:DWORD
	s_mov_b64 s[4:5], -1
                                        ; implicit-def: $sgpr10
	s_and_saveexec_b64 s[8:9], s[12:13]
; %bb.2086:
	s_mov_b32 s10, 0x7f800001
	s_xor_b64 s[4:5], exec, -1
; %bb.2087:
	s_or_b64 exec, exec, s[8:9]
	s_and_b64 s[4:5], s[4:5], exec
	s_or_saveexec_b64 s[6:7], s[6:7]
	v_mov_b32_e32 v14, s10
	s_xor_b64 exec, exec, s[6:7]
	s_cbranch_execz .LBB49_38
.LBB49_2088:
	v_mov_b32_e32 v14, 0
	v_cmp_ne_u16_sdwa s[8:9], v11, v14 src0_sel:BYTE_0 src1_sel:DWORD
	s_andn2_b64 s[4:5], s[4:5], exec
	s_and_b64 s[8:9], s[8:9], exec
	s_or_b64 s[4:5], s[4:5], s[8:9]
	s_or_b64 exec, exec, s[6:7]
	s_and_saveexec_b64 s[6:7], s[4:5]
	s_cbranch_execnz .LBB49_39
	s_branch .LBB49_40
.LBB49_2089:
	s_movk_i32 s4, 0x80
	v_cmp_eq_u16_sdwa s[12:13], v14, s4 src0_sel:BYTE_0 src1_sel:DWORD
	s_mov_b64 s[4:5], -1
                                        ; implicit-def: $sgpr10
	s_and_saveexec_b64 s[8:9], s[12:13]
; %bb.2090:
	s_mov_b32 s10, 0x7f800001
	s_xor_b64 s[4:5], exec, -1
; %bb.2091:
	s_or_b64 exec, exec, s[8:9]
	s_and_b64 s[4:5], s[4:5], exec
	s_or_saveexec_b64 s[6:7], s[6:7]
	v_mov_b32_e32 v10, s10
	s_xor_b64 exec, exec, s[6:7]
	s_cbranch_execz .LBB49_42
.LBB49_2092:
	v_mov_b32_e32 v10, 0
	v_cmp_ne_u16_sdwa s[8:9], v14, v10 src0_sel:BYTE_0 src1_sel:DWORD
	s_andn2_b64 s[4:5], s[4:5], exec
	s_and_b64 s[8:9], s[8:9], exec
	s_or_b64 s[4:5], s[4:5], s[8:9]
	s_or_b64 exec, exec, s[6:7]
	s_and_saveexec_b64 s[6:7], s[4:5]
	s_cbranch_execnz .LBB49_43
	s_branch .LBB49_44
.LBB49_2093:
	s_movk_i32 s4, 0x80
	v_cmp_eq_u16_sdwa s[12:13], v14, s4 src0_sel:BYTE_0 src1_sel:DWORD
	s_mov_b64 s[4:5], -1
                                        ; implicit-def: $sgpr10
	s_and_saveexec_b64 s[8:9], s[12:13]
; %bb.2094:
	s_mov_b32 s10, 0x7f800001
	s_xor_b64 s[4:5], exec, -1
; %bb.2095:
	s_or_b64 exec, exec, s[8:9]
	s_and_b64 s[4:5], s[4:5], exec
	s_or_saveexec_b64 s[6:7], s[6:7]
	v_mov_b32_e32 v20, s10
	s_xor_b64 exec, exec, s[6:7]
	s_cbranch_execz .LBB49_46
.LBB49_2096:
	v_mov_b32_e32 v20, 0
	v_cmp_ne_u16_sdwa s[8:9], v14, v20 src0_sel:BYTE_0 src1_sel:DWORD
	s_andn2_b64 s[4:5], s[4:5], exec
	s_and_b64 s[8:9], s[8:9], exec
	s_or_b64 s[4:5], s[4:5], s[8:9]
	s_or_b64 exec, exec, s[6:7]
	s_and_saveexec_b64 s[6:7], s[4:5]
	s_cbranch_execnz .LBB49_47
	s_branch .LBB49_48
.LBB49_2097:
	s_movk_i32 s4, 0x80
	v_cmp_eq_u16_e32 vcc, s4, v14
	s_mov_b64 s[4:5], -1
                                        ; implicit-def: $sgpr10
	s_and_saveexec_b64 s[8:9], vcc
; %bb.2098:
	s_mov_b32 s10, 0x7f800001
	s_xor_b64 s[4:5], exec, -1
; %bb.2099:
	s_or_b64 exec, exec, s[8:9]
	s_and_b64 s[4:5], s[4:5], exec
                                        ; implicit-def: $vgpr14
	s_or_saveexec_b64 s[6:7], s[6:7]
	v_mov_b32_e32 v10, s10
	s_xor_b64 exec, exec, s[6:7]
	s_cbranch_execz .LBB49_50
.LBB49_2100:
	v_cmp_ne_u16_e32 vcc, 0, v14
	s_andn2_b64 s[4:5], s[4:5], exec
	s_and_b64 s[8:9], vcc, exec
	v_mov_b32_e32 v10, 0
	s_or_b64 s[4:5], s[4:5], s[8:9]
	s_or_b64 exec, exec, s[6:7]
	s_and_saveexec_b64 s[6:7], s[4:5]
	s_cbranch_execnz .LBB49_51
	s_branch .LBB49_52
.LBB49_2101:
	s_movk_i32 s4, 0x80
	v_cmp_eq_u16_e32 vcc, s4, v14
	s_mov_b64 s[4:5], -1
                                        ; implicit-def: $sgpr10
	s_and_saveexec_b64 s[8:9], vcc
; %bb.2102:
	s_mov_b32 s10, 0x7f800001
	s_xor_b64 s[4:5], exec, -1
; %bb.2103:
	s_or_b64 exec, exec, s[8:9]
	s_and_b64 s[4:5], s[4:5], exec
                                        ; implicit-def: $vgpr14
	s_or_saveexec_b64 s[6:7], s[6:7]
	v_mov_b32_e32 v20, s10
	s_xor_b64 exec, exec, s[6:7]
	s_cbranch_execz .LBB49_54
.LBB49_2104:
	v_cmp_ne_u16_e32 vcc, 0, v14
	s_andn2_b64 s[4:5], s[4:5], exec
	s_and_b64 s[8:9], vcc, exec
	v_mov_b32_e32 v20, 0
	s_or_b64 s[4:5], s[4:5], s[8:9]
	s_or_b64 exec, exec, s[6:7]
	s_and_saveexec_b64 s[6:7], s[4:5]
	s_cbranch_execnz .LBB49_55
	s_branch .LBB49_56
.LBB49_2105:
	s_movk_i32 s4, 0x80
	v_cmp_eq_u16_sdwa s[12:13], v15, s4 src0_sel:BYTE_3 src1_sel:DWORD
	s_mov_b64 s[4:5], -1
                                        ; implicit-def: $sgpr10
	s_and_saveexec_b64 s[8:9], s[12:13]
; %bb.2106:
	s_mov_b32 s10, 0x7f800001
	s_xor_b64 s[4:5], exec, -1
; %bb.2107:
	s_or_b64 exec, exec, s[8:9]
	s_and_b64 s[4:5], s[4:5], exec
	s_or_saveexec_b64 s[6:7], s[6:7]
	v_mov_b32_e32 v10, s10
	s_xor_b64 exec, exec, s[6:7]
	s_cbranch_execz .LBB49_58
.LBB49_2108:
	v_mov_b32_e32 v10, 0
	v_cmp_ne_u16_sdwa s[8:9], v15, v10 src0_sel:BYTE_3 src1_sel:DWORD
	s_andn2_b64 s[4:5], s[4:5], exec
	s_and_b64 s[8:9], s[8:9], exec
	s_or_b64 s[4:5], s[4:5], s[8:9]
	s_or_b64 exec, exec, s[6:7]
	s_and_saveexec_b64 s[6:7], s[4:5]
	s_cbranch_execnz .LBB49_59
	s_branch .LBB49_60
.LBB49_2109:
	s_movk_i32 s4, 0x80
	v_cmp_eq_u16_sdwa s[12:13], v11, s4 src0_sel:BYTE_3 src1_sel:DWORD
	s_mov_b64 s[4:5], -1
                                        ; implicit-def: $sgpr10
	s_and_saveexec_b64 s[8:9], s[12:13]
; %bb.2110:
	s_mov_b32 s10, 0x7f800001
	s_xor_b64 s[4:5], exec, -1
; %bb.2111:
	s_or_b64 exec, exec, s[8:9]
	s_and_b64 s[4:5], s[4:5], exec
	s_or_saveexec_b64 s[6:7], s[6:7]
	v_mov_b32_e32 v14, s10
	s_xor_b64 exec, exec, s[6:7]
	s_cbranch_execz .LBB49_62
.LBB49_2112:
	v_mov_b32_e32 v14, 0
	v_cmp_ne_u16_sdwa s[8:9], v11, v14 src0_sel:BYTE_3 src1_sel:DWORD
	s_andn2_b64 s[4:5], s[4:5], exec
	s_and_b64 s[8:9], s[8:9], exec
	s_or_b64 s[4:5], s[4:5], s[8:9]
	s_or_b64 exec, exec, s[6:7]
	s_and_saveexec_b64 s[6:7], s[4:5]
	s_cbranch_execnz .LBB49_63
	s_branch .LBB49_64
.LBB49_2113:
	s_movk_i32 s4, 0x80
	v_cmp_eq_u16_sdwa s[12:13], v16, s4 src0_sel:BYTE_0 src1_sel:DWORD
	s_mov_b64 s[4:5], -1
                                        ; implicit-def: $sgpr10
	s_and_saveexec_b64 s[8:9], s[12:13]
; %bb.2114:
	s_mov_b32 s10, 0x7f800001
	s_xor_b64 s[4:5], exec, -1
; %bb.2115:
	s_or_b64 exec, exec, s[8:9]
	s_and_b64 s[4:5], s[4:5], exec
	s_or_saveexec_b64 s[6:7], s[6:7]
	v_mov_b32_e32 v10, s10
	s_xor_b64 exec, exec, s[6:7]
	s_cbranch_execz .LBB49_66
.LBB49_2116:
	v_mov_b32_e32 v10, 0
	v_cmp_ne_u16_sdwa s[8:9], v16, v10 src0_sel:BYTE_0 src1_sel:DWORD
	s_andn2_b64 s[4:5], s[4:5], exec
	s_and_b64 s[8:9], s[8:9], exec
	s_or_b64 s[4:5], s[4:5], s[8:9]
	s_or_b64 exec, exec, s[6:7]
	s_and_saveexec_b64 s[6:7], s[4:5]
	s_cbranch_execnz .LBB49_67
	s_branch .LBB49_68
.LBB49_2117:
	s_movk_i32 s4, 0x80
	v_cmp_eq_u16_sdwa s[12:13], v12, s4 src0_sel:BYTE_0 src1_sel:DWORD
	s_mov_b64 s[4:5], -1
                                        ; implicit-def: $sgpr10
	s_and_saveexec_b64 s[8:9], s[12:13]
; %bb.2118:
	s_mov_b32 s10, 0x7f800001
	s_xor_b64 s[4:5], exec, -1
; %bb.2119:
	s_or_b64 exec, exec, s[8:9]
	s_and_b64 s[4:5], s[4:5], exec
	s_or_saveexec_b64 s[6:7], s[6:7]
	v_mov_b32_e32 v11, s10
	s_xor_b64 exec, exec, s[6:7]
	s_cbranch_execz .LBB49_70
.LBB49_2120:
	v_mov_b32_e32 v11, 0
	v_cmp_ne_u16_sdwa s[8:9], v12, v11 src0_sel:BYTE_0 src1_sel:DWORD
	s_andn2_b64 s[4:5], s[4:5], exec
	s_and_b64 s[8:9], s[8:9], exec
	s_or_b64 s[4:5], s[4:5], s[8:9]
	s_or_b64 exec, exec, s[6:7]
	s_and_saveexec_b64 s[6:7], s[4:5]
	s_cbranch_execnz .LBB49_71
	s_branch .LBB49_72
.LBB49_2121:
	s_movk_i32 s4, 0x80
	v_cmp_eq_u16_sdwa s[12:13], v11, s4 src0_sel:BYTE_0 src1_sel:DWORD
	s_mov_b64 s[4:5], -1
                                        ; implicit-def: $sgpr10
	s_and_saveexec_b64 s[8:9], s[12:13]
; %bb.2122:
	s_mov_b32 s10, 0x7f800001
	s_xor_b64 s[4:5], exec, -1
; %bb.2123:
	s_or_b64 exec, exec, s[8:9]
	s_and_b64 s[4:5], s[4:5], exec
	s_or_saveexec_b64 s[6:7], s[6:7]
	v_mov_b32_e32 v10, s10
	s_xor_b64 exec, exec, s[6:7]
	s_cbranch_execz .LBB49_74
.LBB49_2124:
	v_mov_b32_e32 v10, 0
	v_cmp_ne_u16_sdwa s[8:9], v11, v10 src0_sel:BYTE_0 src1_sel:DWORD
	s_andn2_b64 s[4:5], s[4:5], exec
	s_and_b64 s[8:9], s[8:9], exec
	s_or_b64 s[4:5], s[4:5], s[8:9]
	s_or_b64 exec, exec, s[6:7]
	s_and_saveexec_b64 s[6:7], s[4:5]
	s_cbranch_execnz .LBB49_75
	s_branch .LBB49_76
.LBB49_2125:
	s_movk_i32 s4, 0x80
	v_cmp_eq_u16_sdwa s[12:13], v11, s4 src0_sel:BYTE_0 src1_sel:DWORD
	s_mov_b64 s[4:5], -1
                                        ; implicit-def: $sgpr10
	s_and_saveexec_b64 s[8:9], s[12:13]
; %bb.2126:
	s_mov_b32 s10, 0x7f800001
	s_xor_b64 s[4:5], exec, -1
; %bb.2127:
	s_or_b64 exec, exec, s[8:9]
	s_and_b64 s[4:5], s[4:5], exec
	s_or_saveexec_b64 s[6:7], s[6:7]
	v_mov_b32_e32 v14, s10
	s_xor_b64 exec, exec, s[6:7]
	s_cbranch_execz .LBB49_78
.LBB49_2128:
	v_mov_b32_e32 v14, 0
	v_cmp_ne_u16_sdwa s[8:9], v11, v14 src0_sel:BYTE_0 src1_sel:DWORD
	s_andn2_b64 s[4:5], s[4:5], exec
	s_and_b64 s[8:9], s[8:9], exec
	s_or_b64 s[4:5], s[4:5], s[8:9]
	s_or_b64 exec, exec, s[6:7]
	s_and_saveexec_b64 s[6:7], s[4:5]
	s_cbranch_execnz .LBB49_79
	s_branch .LBB49_80
.LBB49_2129:
	s_movk_i32 s4, 0x80
	v_cmp_eq_u16_e32 vcc, s4, v11
	s_mov_b64 s[4:5], -1
                                        ; implicit-def: $sgpr10
	s_and_saveexec_b64 s[8:9], vcc
; %bb.2130:
	s_mov_b32 s10, 0x7f800001
	s_xor_b64 s[4:5], exec, -1
; %bb.2131:
	s_or_b64 exec, exec, s[8:9]
	s_and_b64 s[4:5], s[4:5], exec
                                        ; implicit-def: $vgpr11
	s_or_saveexec_b64 s[6:7], s[6:7]
	v_mov_b32_e32 v10, s10
	s_xor_b64 exec, exec, s[6:7]
	s_cbranch_execz .LBB49_82
.LBB49_2132:
	v_cmp_ne_u16_e32 vcc, 0, v11
	s_andn2_b64 s[4:5], s[4:5], exec
	s_and_b64 s[8:9], vcc, exec
	v_mov_b32_e32 v10, 0
	s_or_b64 s[4:5], s[4:5], s[8:9]
	s_or_b64 exec, exec, s[6:7]
	s_and_saveexec_b64 s[6:7], s[4:5]
	s_cbranch_execnz .LBB49_83
	s_branch .LBB49_84
.LBB49_2133:
	s_movk_i32 s4, 0x80
	v_cmp_eq_u16_e32 vcc, s4, v11
	s_mov_b64 s[4:5], -1
                                        ; implicit-def: $sgpr10
	s_and_saveexec_b64 s[8:9], vcc
; %bb.2134:
	s_mov_b32 s10, 0x7f800001
	s_xor_b64 s[4:5], exec, -1
; %bb.2135:
	s_or_b64 exec, exec, s[8:9]
	s_and_b64 s[4:5], s[4:5], exec
                                        ; implicit-def: $vgpr11
	s_or_saveexec_b64 s[6:7], s[6:7]
	v_mov_b32_e32 v14, s10
	s_xor_b64 exec, exec, s[6:7]
	s_cbranch_execz .LBB49_86
.LBB49_2136:
	v_cmp_ne_u16_e32 vcc, 0, v11
	s_andn2_b64 s[4:5], s[4:5], exec
	s_and_b64 s[8:9], vcc, exec
	v_mov_b32_e32 v14, 0
	s_or_b64 s[4:5], s[4:5], s[8:9]
	s_or_b64 exec, exec, s[6:7]
	s_and_saveexec_b64 s[6:7], s[4:5]
	s_cbranch_execnz .LBB49_87
	s_branch .LBB49_88
.LBB49_2137:
	s_movk_i32 s4, 0x80
	v_cmp_eq_u16_sdwa s[12:13], v16, s4 src0_sel:BYTE_3 src1_sel:DWORD
	s_mov_b64 s[4:5], -1
                                        ; implicit-def: $sgpr10
	s_and_saveexec_b64 s[8:9], s[12:13]
; %bb.2138:
	s_mov_b32 s10, 0x7f800001
	s_xor_b64 s[4:5], exec, -1
; %bb.2139:
	s_or_b64 exec, exec, s[8:9]
	s_and_b64 s[4:5], s[4:5], exec
	s_or_saveexec_b64 s[6:7], s[6:7]
	v_mov_b32_e32 v10, s10
	s_xor_b64 exec, exec, s[6:7]
	s_cbranch_execz .LBB49_90
.LBB49_2140:
	v_mov_b32_e32 v10, 0
	v_cmp_ne_u16_sdwa s[8:9], v16, v10 src0_sel:BYTE_3 src1_sel:DWORD
	s_andn2_b64 s[4:5], s[4:5], exec
	s_and_b64 s[8:9], s[8:9], exec
	s_or_b64 s[4:5], s[4:5], s[8:9]
	s_or_b64 exec, exec, s[6:7]
	s_and_saveexec_b64 s[6:7], s[4:5]
	s_cbranch_execnz .LBB49_91
	s_branch .LBB49_92
.LBB49_2141:
	s_movk_i32 s4, 0x80
	v_cmp_eq_u16_sdwa s[12:13], v12, s4 src0_sel:BYTE_3 src1_sel:DWORD
	s_mov_b64 s[4:5], -1
                                        ; implicit-def: $sgpr10
	s_and_saveexec_b64 s[8:9], s[12:13]
; %bb.2142:
	s_mov_b32 s10, 0x7f800001
	s_xor_b64 s[4:5], exec, -1
; %bb.2143:
	s_or_b64 exec, exec, s[8:9]
	s_and_b64 s[4:5], s[4:5], exec
	s_or_saveexec_b64 s[6:7], s[6:7]
	v_mov_b32_e32 v11, s10
	s_xor_b64 exec, exec, s[6:7]
	s_cbranch_execz .LBB49_94
.LBB49_2144:
	v_mov_b32_e32 v11, 0
	v_cmp_ne_u16_sdwa s[8:9], v12, v11 src0_sel:BYTE_3 src1_sel:DWORD
	s_andn2_b64 s[4:5], s[4:5], exec
	s_and_b64 s[8:9], s[8:9], exec
	s_or_b64 s[4:5], s[4:5], s[8:9]
	s_or_b64 exec, exec, s[6:7]
	s_and_saveexec_b64 s[6:7], s[4:5]
	s_cbranch_execnz .LBB49_95
	s_branch .LBB49_96
.LBB49_2145:
	s_movk_i32 s4, 0x80
	v_cmp_eq_u16_sdwa s[12:13], v17, s4 src0_sel:BYTE_0 src1_sel:DWORD
	s_mov_b64 s[4:5], -1
                                        ; implicit-def: $sgpr10
	s_and_saveexec_b64 s[8:9], s[12:13]
; %bb.2146:
	s_mov_b32 s10, 0x7f800001
	s_xor_b64 s[4:5], exec, -1
; %bb.2147:
	s_or_b64 exec, exec, s[8:9]
	s_and_b64 s[4:5], s[4:5], exec
	s_or_saveexec_b64 s[6:7], s[6:7]
	v_mov_b32_e32 v10, s10
	s_xor_b64 exec, exec, s[6:7]
	s_cbranch_execz .LBB49_98
.LBB49_2148:
	v_mov_b32_e32 v10, 0
	v_cmp_ne_u16_sdwa s[8:9], v17, v10 src0_sel:BYTE_0 src1_sel:DWORD
	s_andn2_b64 s[4:5], s[4:5], exec
	s_and_b64 s[8:9], s[8:9], exec
	s_or_b64 s[4:5], s[4:5], s[8:9]
	s_or_b64 exec, exec, s[6:7]
	s_and_saveexec_b64 s[6:7], s[4:5]
	s_cbranch_execnz .LBB49_99
	s_branch .LBB49_100
.LBB49_2149:
	s_movk_i32 s4, 0x80
	v_cmp_eq_u16_sdwa s[12:13], v13, s4 src0_sel:BYTE_0 src1_sel:DWORD
	s_mov_b64 s[4:5], -1
                                        ; implicit-def: $sgpr10
	s_and_saveexec_b64 s[8:9], s[12:13]
; %bb.2150:
	s_mov_b32 s10, 0x7f800001
	s_xor_b64 s[4:5], exec, -1
; %bb.2151:
	s_or_b64 exec, exec, s[8:9]
	s_and_b64 s[4:5], s[4:5], exec
	s_or_saveexec_b64 s[6:7], s[6:7]
	v_mov_b32_e32 v11, s10
	s_xor_b64 exec, exec, s[6:7]
	s_cbranch_execz .LBB49_102
.LBB49_2152:
	v_mov_b32_e32 v11, 0
	v_cmp_ne_u16_sdwa s[8:9], v13, v11 src0_sel:BYTE_0 src1_sel:DWORD
	s_andn2_b64 s[4:5], s[4:5], exec
	s_and_b64 s[8:9], s[8:9], exec
	s_or_b64 s[4:5], s[4:5], s[8:9]
	s_or_b64 exec, exec, s[6:7]
	s_and_saveexec_b64 s[6:7], s[4:5]
	s_cbranch_execnz .LBB49_103
	s_branch .LBB49_104
.LBB49_2153:
	s_movk_i32 s4, 0x80
	v_cmp_eq_u16_sdwa s[12:13], v11, s4 src0_sel:BYTE_0 src1_sel:DWORD
	s_mov_b64 s[4:5], -1
                                        ; implicit-def: $sgpr10
	s_and_saveexec_b64 s[8:9], s[12:13]
; %bb.2154:
	s_mov_b32 s10, 0x7f800001
	s_xor_b64 s[4:5], exec, -1
; %bb.2155:
	s_or_b64 exec, exec, s[8:9]
	s_and_b64 s[4:5], s[4:5], exec
	s_or_saveexec_b64 s[6:7], s[6:7]
	v_mov_b32_e32 v10, s10
	s_xor_b64 exec, exec, s[6:7]
	s_cbranch_execz .LBB49_106
.LBB49_2156:
	v_mov_b32_e32 v10, 0
	v_cmp_ne_u16_sdwa s[8:9], v11, v10 src0_sel:BYTE_0 src1_sel:DWORD
	s_andn2_b64 s[4:5], s[4:5], exec
	s_and_b64 s[8:9], s[8:9], exec
	s_or_b64 s[4:5], s[4:5], s[8:9]
	s_or_b64 exec, exec, s[6:7]
	s_and_saveexec_b64 s[6:7], s[4:5]
	s_cbranch_execnz .LBB49_107
	s_branch .LBB49_108
.LBB49_2157:
	s_movk_i32 s4, 0x80
	v_cmp_eq_u16_sdwa s[12:13], v11, s4 src0_sel:BYTE_0 src1_sel:DWORD
	s_mov_b64 s[4:5], -1
                                        ; implicit-def: $sgpr10
	s_and_saveexec_b64 s[8:9], s[12:13]
; %bb.2158:
	s_mov_b32 s10, 0x7f800001
	s_xor_b64 s[4:5], exec, -1
; %bb.2159:
	s_or_b64 exec, exec, s[8:9]
	s_and_b64 s[4:5], s[4:5], exec
	s_or_saveexec_b64 s[6:7], s[6:7]
	v_mov_b32_e32 v12, s10
	s_xor_b64 exec, exec, s[6:7]
	s_cbranch_execz .LBB49_110
.LBB49_2160:
	v_mov_b32_e32 v12, 0
	v_cmp_ne_u16_sdwa s[8:9], v11, v12 src0_sel:BYTE_0 src1_sel:DWORD
	s_andn2_b64 s[4:5], s[4:5], exec
	s_and_b64 s[8:9], s[8:9], exec
	s_or_b64 s[4:5], s[4:5], s[8:9]
	s_or_b64 exec, exec, s[6:7]
	s_and_saveexec_b64 s[6:7], s[4:5]
	s_cbranch_execnz .LBB49_111
	s_branch .LBB49_112
.LBB49_2161:
	s_movk_i32 s4, 0x80
	v_cmp_eq_u16_e32 vcc, s4, v11
	s_mov_b64 s[4:5], -1
                                        ; implicit-def: $sgpr10
	s_and_saveexec_b64 s[8:9], vcc
; %bb.2162:
	s_mov_b32 s10, 0x7f800001
	s_xor_b64 s[4:5], exec, -1
; %bb.2163:
	s_or_b64 exec, exec, s[8:9]
	s_and_b64 s[4:5], s[4:5], exec
                                        ; implicit-def: $vgpr11
	s_or_saveexec_b64 s[6:7], s[6:7]
	v_mov_b32_e32 v10, s10
	s_xor_b64 exec, exec, s[6:7]
	s_cbranch_execz .LBB49_114
.LBB49_2164:
	v_cmp_ne_u16_e32 vcc, 0, v11
	s_andn2_b64 s[4:5], s[4:5], exec
	s_and_b64 s[8:9], vcc, exec
	v_mov_b32_e32 v10, 0
	s_or_b64 s[4:5], s[4:5], s[8:9]
	s_or_b64 exec, exec, s[6:7]
	s_and_saveexec_b64 s[6:7], s[4:5]
	s_cbranch_execnz .LBB49_115
	s_branch .LBB49_116
.LBB49_2165:
	s_movk_i32 s4, 0x80
	v_cmp_eq_u16_e32 vcc, s4, v11
	s_mov_b64 s[4:5], -1
                                        ; implicit-def: $sgpr10
	s_and_saveexec_b64 s[8:9], vcc
; %bb.2166:
	s_mov_b32 s10, 0x7f800001
	s_xor_b64 s[4:5], exec, -1
; %bb.2167:
	s_or_b64 exec, exec, s[8:9]
	s_and_b64 s[4:5], s[4:5], exec
                                        ; implicit-def: $vgpr11
	s_or_saveexec_b64 s[6:7], s[6:7]
	v_mov_b32_e32 v12, s10
	s_xor_b64 exec, exec, s[6:7]
	s_cbranch_execz .LBB49_118
.LBB49_2168:
	v_cmp_ne_u16_e32 vcc, 0, v11
	s_andn2_b64 s[4:5], s[4:5], exec
	s_and_b64 s[8:9], vcc, exec
	v_mov_b32_e32 v12, 0
	s_or_b64 s[4:5], s[4:5], s[8:9]
	s_or_b64 exec, exec, s[6:7]
	s_and_saveexec_b64 s[6:7], s[4:5]
	s_cbranch_execnz .LBB49_119
	s_branch .LBB49_120
.LBB49_2169:
	s_movk_i32 s4, 0x80
	v_cmp_eq_u16_sdwa s[12:13], v17, s4 src0_sel:BYTE_3 src1_sel:DWORD
	s_mov_b64 s[4:5], -1
                                        ; implicit-def: $sgpr10
	s_and_saveexec_b64 s[8:9], s[12:13]
; %bb.2170:
	s_mov_b32 s10, 0x7f800001
	s_xor_b64 s[4:5], exec, -1
; %bb.2171:
	s_or_b64 exec, exec, s[8:9]
	s_and_b64 s[4:5], s[4:5], exec
	s_or_saveexec_b64 s[6:7], s[6:7]
	v_mov_b32_e32 v10, s10
	s_xor_b64 exec, exec, s[6:7]
	s_cbranch_execz .LBB49_122
.LBB49_2172:
	v_mov_b32_e32 v10, 0
	v_cmp_ne_u16_sdwa s[8:9], v17, v10 src0_sel:BYTE_3 src1_sel:DWORD
	s_andn2_b64 s[4:5], s[4:5], exec
	s_and_b64 s[8:9], s[8:9], exec
	s_or_b64 s[4:5], s[4:5], s[8:9]
	s_or_b64 exec, exec, s[6:7]
	s_and_saveexec_b64 s[6:7], s[4:5]
	s_cbranch_execnz .LBB49_123
	s_branch .LBB49_124
.LBB49_2173:
	s_movk_i32 s4, 0x80
	v_cmp_eq_u16_sdwa s[12:13], v13, s4 src0_sel:BYTE_3 src1_sel:DWORD
	s_mov_b64 s[4:5], -1
                                        ; implicit-def: $sgpr10
	s_and_saveexec_b64 s[8:9], s[12:13]
; %bb.2174:
	s_mov_b32 s10, 0x7f800001
	s_xor_b64 s[4:5], exec, -1
; %bb.2175:
	s_or_b64 exec, exec, s[8:9]
	s_and_b64 s[4:5], s[4:5], exec
	s_or_saveexec_b64 s[6:7], s[6:7]
	v_mov_b32_e32 v11, s10
	s_xor_b64 exec, exec, s[6:7]
	s_cbranch_execz .LBB49_126
.LBB49_2176:
	v_mov_b32_e32 v11, 0
	v_cmp_ne_u16_sdwa s[8:9], v13, v11 src0_sel:BYTE_3 src1_sel:DWORD
	s_andn2_b64 s[4:5], s[4:5], exec
	s_and_b64 s[8:9], s[8:9], exec
	s_or_b64 s[4:5], s[4:5], s[8:9]
	s_or_b64 exec, exec, s[6:7]
	s_and_saveexec_b64 s[6:7], s[4:5]
	s_cbranch_execnz .LBB49_127
	s_branch .LBB49_128
.LBB49_2177:
	s_movk_i32 s4, 0x80
	v_cmp_eq_u16_sdwa s[12:13], v6, s4 src0_sel:BYTE_0 src1_sel:DWORD
	s_mov_b64 s[4:5], -1
                                        ; implicit-def: $sgpr10
	s_and_saveexec_b64 s[8:9], s[12:13]
; %bb.2178:
	s_mov_b32 s10, 0x7f800001
	s_xor_b64 s[4:5], exec, -1
; %bb.2179:
	s_or_b64 exec, exec, s[8:9]
	s_and_b64 s[4:5], s[4:5], exec
	s_or_saveexec_b64 s[6:7], s[6:7]
	v_mov_b32_e32 v10, s10
	s_xor_b64 exec, exec, s[6:7]
	s_cbranch_execz .LBB49_130
.LBB49_2180:
	v_mov_b32_e32 v10, 0
	v_cmp_ne_u16_sdwa s[8:9], v6, v10 src0_sel:BYTE_0 src1_sel:DWORD
	s_andn2_b64 s[4:5], s[4:5], exec
	s_and_b64 s[8:9], s[8:9], exec
	s_or_b64 s[4:5], s[4:5], s[8:9]
	s_or_b64 exec, exec, s[6:7]
	s_and_saveexec_b64 s[6:7], s[4:5]
	s_cbranch_execnz .LBB49_131
	s_branch .LBB49_132
.LBB49_2181:
	s_movk_i32 s4, 0x80
	v_cmp_eq_u16_sdwa s[12:13], v2, s4 src0_sel:BYTE_0 src1_sel:DWORD
	s_mov_b64 s[4:5], -1
                                        ; implicit-def: $sgpr10
	s_and_saveexec_b64 s[8:9], s[12:13]
; %bb.2182:
	s_mov_b32 s10, 0x7f800001
	s_xor_b64 s[4:5], exec, -1
; %bb.2183:
	s_or_b64 exec, exec, s[8:9]
	s_and_b64 s[4:5], s[4:5], exec
	s_or_saveexec_b64 s[6:7], s[6:7]
	v_mov_b32_e32 v11, s10
	s_xor_b64 exec, exec, s[6:7]
	s_cbranch_execz .LBB49_134
.LBB49_2184:
	v_mov_b32_e32 v11, 0
	v_cmp_ne_u16_sdwa s[8:9], v2, v11 src0_sel:BYTE_0 src1_sel:DWORD
	s_andn2_b64 s[4:5], s[4:5], exec
	s_and_b64 s[8:9], s[8:9], exec
	s_or_b64 s[4:5], s[4:5], s[8:9]
	s_or_b64 exec, exec, s[6:7]
	s_and_saveexec_b64 s[6:7], s[4:5]
	s_cbranch_execnz .LBB49_135
	s_branch .LBB49_136
.LBB49_2185:
	s_movk_i32 s4, 0x80
	v_cmp_eq_u16_sdwa s[12:13], v11, s4 src0_sel:BYTE_0 src1_sel:DWORD
	s_mov_b64 s[4:5], -1
                                        ; implicit-def: $sgpr10
	s_and_saveexec_b64 s[8:9], s[12:13]
; %bb.2186:
	s_mov_b32 s10, 0x7f800001
	s_xor_b64 s[4:5], exec, -1
; %bb.2187:
	s_or_b64 exec, exec, s[8:9]
	s_and_b64 s[4:5], s[4:5], exec
	s_or_saveexec_b64 s[6:7], s[6:7]
	v_mov_b32_e32 v10, s10
	s_xor_b64 exec, exec, s[6:7]
	s_cbranch_execz .LBB49_138
.LBB49_2188:
	v_mov_b32_e32 v10, 0
	v_cmp_ne_u16_sdwa s[8:9], v11, v10 src0_sel:BYTE_0 src1_sel:DWORD
	s_andn2_b64 s[4:5], s[4:5], exec
	s_and_b64 s[8:9], s[8:9], exec
	s_or_b64 s[4:5], s[4:5], s[8:9]
	s_or_b64 exec, exec, s[6:7]
	s_and_saveexec_b64 s[6:7], s[4:5]
	s_cbranch_execnz .LBB49_139
	s_branch .LBB49_140
.LBB49_2189:
	s_movk_i32 s4, 0x80
	v_cmp_eq_u16_sdwa s[12:13], v11, s4 src0_sel:BYTE_0 src1_sel:DWORD
	s_mov_b64 s[4:5], -1
                                        ; implicit-def: $sgpr10
	s_and_saveexec_b64 s[8:9], s[12:13]
; %bb.2190:
	s_mov_b32 s10, 0x7f800001
	s_xor_b64 s[4:5], exec, -1
; %bb.2191:
	s_or_b64 exec, exec, s[8:9]
	s_and_b64 s[4:5], s[4:5], exec
	s_or_saveexec_b64 s[6:7], s[6:7]
	v_mov_b32_e32 v12, s10
	s_xor_b64 exec, exec, s[6:7]
	s_cbranch_execz .LBB49_142
.LBB49_2192:
	v_mov_b32_e32 v12, 0
	v_cmp_ne_u16_sdwa s[8:9], v11, v12 src0_sel:BYTE_0 src1_sel:DWORD
	s_andn2_b64 s[4:5], s[4:5], exec
	s_and_b64 s[8:9], s[8:9], exec
	s_or_b64 s[4:5], s[4:5], s[8:9]
	s_or_b64 exec, exec, s[6:7]
	s_and_saveexec_b64 s[6:7], s[4:5]
	s_cbranch_execnz .LBB49_143
	s_branch .LBB49_144
.LBB49_2193:
	s_movk_i32 s4, 0x80
	v_cmp_eq_u16_e32 vcc, s4, v11
	s_mov_b64 s[4:5], -1
                                        ; implicit-def: $sgpr10
	s_and_saveexec_b64 s[8:9], vcc
; %bb.2194:
	s_mov_b32 s10, 0x7f800001
	s_xor_b64 s[4:5], exec, -1
; %bb.2195:
	s_or_b64 exec, exec, s[8:9]
	s_and_b64 s[4:5], s[4:5], exec
                                        ; implicit-def: $vgpr11
	s_or_saveexec_b64 s[6:7], s[6:7]
	v_mov_b32_e32 v10, s10
	s_xor_b64 exec, exec, s[6:7]
	s_cbranch_execz .LBB49_146
.LBB49_2196:
	v_cmp_ne_u16_e32 vcc, 0, v11
	s_andn2_b64 s[4:5], s[4:5], exec
	s_and_b64 s[8:9], vcc, exec
	v_mov_b32_e32 v10, 0
	s_or_b64 s[4:5], s[4:5], s[8:9]
	s_or_b64 exec, exec, s[6:7]
	s_and_saveexec_b64 s[6:7], s[4:5]
	s_cbranch_execnz .LBB49_147
	s_branch .LBB49_148
.LBB49_2197:
	s_movk_i32 s4, 0x80
	v_cmp_eq_u16_e32 vcc, s4, v11
	s_mov_b64 s[4:5], -1
                                        ; implicit-def: $sgpr10
	s_and_saveexec_b64 s[8:9], vcc
; %bb.2198:
	s_mov_b32 s10, 0x7f800001
	s_xor_b64 s[4:5], exec, -1
; %bb.2199:
	s_or_b64 exec, exec, s[8:9]
	s_and_b64 s[4:5], s[4:5], exec
                                        ; implicit-def: $vgpr11
	s_or_saveexec_b64 s[6:7], s[6:7]
	v_mov_b32_e32 v12, s10
	s_xor_b64 exec, exec, s[6:7]
	s_cbranch_execz .LBB49_150
.LBB49_2200:
	v_cmp_ne_u16_e32 vcc, 0, v11
	s_andn2_b64 s[4:5], s[4:5], exec
	s_and_b64 s[8:9], vcc, exec
	v_mov_b32_e32 v12, 0
	s_or_b64 s[4:5], s[4:5], s[8:9]
	s_or_b64 exec, exec, s[6:7]
	s_and_saveexec_b64 s[6:7], s[4:5]
	s_cbranch_execnz .LBB49_151
	s_branch .LBB49_152
.LBB49_2201:
	s_movk_i32 s4, 0x80
	v_cmp_eq_u16_sdwa s[12:13], v6, s4 src0_sel:BYTE_3 src1_sel:DWORD
	s_mov_b64 s[4:5], -1
                                        ; implicit-def: $sgpr10
	s_and_saveexec_b64 s[8:9], s[12:13]
; %bb.2202:
	s_mov_b32 s10, 0x7f800001
	s_xor_b64 s[4:5], exec, -1
; %bb.2203:
	s_or_b64 exec, exec, s[8:9]
	s_and_b64 s[4:5], s[4:5], exec
	s_or_saveexec_b64 s[6:7], s[6:7]
	v_mov_b32_e32 v10, s10
	s_xor_b64 exec, exec, s[6:7]
	s_cbranch_execz .LBB49_154
.LBB49_2204:
	v_mov_b32_e32 v10, 0
	v_cmp_ne_u16_sdwa s[8:9], v6, v10 src0_sel:BYTE_3 src1_sel:DWORD
	s_andn2_b64 s[4:5], s[4:5], exec
	s_and_b64 s[8:9], s[8:9], exec
	s_or_b64 s[4:5], s[4:5], s[8:9]
	s_or_b64 exec, exec, s[6:7]
	s_and_saveexec_b64 s[6:7], s[4:5]
	s_cbranch_execnz .LBB49_155
	s_branch .LBB49_156
.LBB49_2205:
	s_movk_i32 s4, 0x80
	v_cmp_eq_u16_sdwa s[12:13], v2, s4 src0_sel:BYTE_3 src1_sel:DWORD
	s_mov_b64 s[4:5], -1
                                        ; implicit-def: $sgpr10
	s_and_saveexec_b64 s[8:9], s[12:13]
; %bb.2206:
	s_mov_b32 s10, 0x7f800001
	s_xor_b64 s[4:5], exec, -1
; %bb.2207:
	s_or_b64 exec, exec, s[8:9]
	s_and_b64 s[4:5], s[4:5], exec
	s_or_saveexec_b64 s[6:7], s[6:7]
	v_mov_b32_e32 v6, s10
	s_xor_b64 exec, exec, s[6:7]
	s_cbranch_execz .LBB49_158
.LBB49_2208:
	v_mov_b32_e32 v6, 0
	v_cmp_ne_u16_sdwa s[8:9], v2, v6 src0_sel:BYTE_3 src1_sel:DWORD
	s_andn2_b64 s[4:5], s[4:5], exec
	s_and_b64 s[8:9], s[8:9], exec
	s_or_b64 s[4:5], s[4:5], s[8:9]
	s_or_b64 exec, exec, s[6:7]
	s_and_saveexec_b64 s[6:7], s[4:5]
	s_cbranch_execnz .LBB49_159
	s_branch .LBB49_160
.LBB49_2209:
	s_movk_i32 s4, 0x80
	v_cmp_eq_u16_sdwa s[12:13], v7, s4 src0_sel:BYTE_0 src1_sel:DWORD
	s_mov_b64 s[4:5], -1
                                        ; implicit-def: $sgpr10
	s_and_saveexec_b64 s[8:9], s[12:13]
; %bb.2210:
	s_mov_b32 s10, 0x7f800001
	s_xor_b64 s[4:5], exec, -1
; %bb.2211:
	s_or_b64 exec, exec, s[8:9]
	s_and_b64 s[4:5], s[4:5], exec
	s_or_saveexec_b64 s[6:7], s[6:7]
	v_mov_b32_e32 v2, s10
	s_xor_b64 exec, exec, s[6:7]
	s_cbranch_execz .LBB49_162
.LBB49_2212:
	v_mov_b32_e32 v2, 0
	v_cmp_ne_u16_sdwa s[8:9], v7, v2 src0_sel:BYTE_0 src1_sel:DWORD
	s_andn2_b64 s[4:5], s[4:5], exec
	s_and_b64 s[8:9], s[8:9], exec
	s_or_b64 s[4:5], s[4:5], s[8:9]
	s_or_b64 exec, exec, s[6:7]
	s_and_saveexec_b64 s[6:7], s[4:5]
	s_cbranch_execnz .LBB49_163
	s_branch .LBB49_164
.LBB49_2213:
	s_movk_i32 s4, 0x80
	v_cmp_eq_u16_sdwa s[12:13], v3, s4 src0_sel:BYTE_0 src1_sel:DWORD
	s_mov_b64 s[4:5], -1
                                        ; implicit-def: $sgpr10
	s_and_saveexec_b64 s[8:9], s[12:13]
; %bb.2214:
	s_mov_b32 s10, 0x7f800001
	s_xor_b64 s[4:5], exec, -1
; %bb.2215:
	s_or_b64 exec, exec, s[8:9]
	s_and_b64 s[4:5], s[4:5], exec
	s_or_saveexec_b64 s[6:7], s[6:7]
	v_mov_b32_e32 v6, s10
	s_xor_b64 exec, exec, s[6:7]
	s_cbranch_execz .LBB49_166
.LBB49_2216:
	v_mov_b32_e32 v6, 0
	v_cmp_ne_u16_sdwa s[8:9], v3, v6 src0_sel:BYTE_0 src1_sel:DWORD
	s_andn2_b64 s[4:5], s[4:5], exec
	s_and_b64 s[8:9], s[8:9], exec
	s_or_b64 s[4:5], s[4:5], s[8:9]
	s_or_b64 exec, exec, s[6:7]
	s_and_saveexec_b64 s[6:7], s[4:5]
	s_cbranch_execnz .LBB49_167
	s_branch .LBB49_168
.LBB49_2217:
	s_movk_i32 s4, 0x80
	v_cmp_eq_u16_sdwa s[12:13], v6, s4 src0_sel:BYTE_0 src1_sel:DWORD
	s_mov_b64 s[4:5], -1
                                        ; implicit-def: $sgpr10
	s_and_saveexec_b64 s[8:9], s[12:13]
; %bb.2218:
	s_mov_b32 s10, 0x7f800001
	s_xor_b64 s[4:5], exec, -1
; %bb.2219:
	s_or_b64 exec, exec, s[8:9]
	s_and_b64 s[4:5], s[4:5], exec
	s_or_saveexec_b64 s[6:7], s[6:7]
	v_mov_b32_e32 v2, s10
	s_xor_b64 exec, exec, s[6:7]
	s_cbranch_execz .LBB49_170
.LBB49_2220:
	v_mov_b32_e32 v2, 0
	v_cmp_ne_u16_sdwa s[8:9], v6, v2 src0_sel:BYTE_0 src1_sel:DWORD
	s_andn2_b64 s[4:5], s[4:5], exec
	s_and_b64 s[8:9], s[8:9], exec
	s_or_b64 s[4:5], s[4:5], s[8:9]
	s_or_b64 exec, exec, s[6:7]
	s_and_saveexec_b64 s[6:7], s[4:5]
	s_cbranch_execnz .LBB49_171
	s_branch .LBB49_172
.LBB49_2221:
	s_movk_i32 s4, 0x80
	v_cmp_eq_u16_sdwa s[12:13], v6, s4 src0_sel:BYTE_0 src1_sel:DWORD
	s_mov_b64 s[4:5], -1
                                        ; implicit-def: $sgpr10
	s_and_saveexec_b64 s[8:9], s[12:13]
; %bb.2222:
	s_mov_b32 s10, 0x7f800001
	s_xor_b64 s[4:5], exec, -1
; %bb.2223:
	s_or_b64 exec, exec, s[8:9]
	s_and_b64 s[4:5], s[4:5], exec
	s_or_saveexec_b64 s[6:7], s[6:7]
	v_mov_b32_e32 v10, s10
	s_xor_b64 exec, exec, s[6:7]
	s_cbranch_execz .LBB49_174
.LBB49_2224:
	v_mov_b32_e32 v10, 0
	v_cmp_ne_u16_sdwa s[8:9], v6, v10 src0_sel:BYTE_0 src1_sel:DWORD
	s_andn2_b64 s[4:5], s[4:5], exec
	s_and_b64 s[8:9], s[8:9], exec
	s_or_b64 s[4:5], s[4:5], s[8:9]
	s_or_b64 exec, exec, s[6:7]
	s_and_saveexec_b64 s[6:7], s[4:5]
	s_cbranch_execnz .LBB49_175
	s_branch .LBB49_176
.LBB49_2225:
	s_movk_i32 s4, 0x80
	v_cmp_eq_u16_e32 vcc, s4, v6
	s_mov_b64 s[4:5], -1
                                        ; implicit-def: $sgpr10
	s_and_saveexec_b64 s[8:9], vcc
; %bb.2226:
	s_mov_b32 s10, 0x7f800001
	s_xor_b64 s[4:5], exec, -1
; %bb.2227:
	s_or_b64 exec, exec, s[8:9]
	s_and_b64 s[4:5], s[4:5], exec
                                        ; implicit-def: $vgpr6
	s_or_saveexec_b64 s[6:7], s[6:7]
	v_mov_b32_e32 v2, s10
	s_xor_b64 exec, exec, s[6:7]
	s_cbranch_execz .LBB49_178
.LBB49_2228:
	v_cmp_ne_u16_e32 vcc, 0, v6
	s_andn2_b64 s[4:5], s[4:5], exec
	s_and_b64 s[8:9], vcc, exec
	v_mov_b32_e32 v2, 0
	s_or_b64 s[4:5], s[4:5], s[8:9]
	s_or_b64 exec, exec, s[6:7]
	s_and_saveexec_b64 s[6:7], s[4:5]
	s_cbranch_execnz .LBB49_179
	s_branch .LBB49_180
.LBB49_2229:
	s_movk_i32 s4, 0x80
	v_cmp_eq_u16_e32 vcc, s4, v6
	s_mov_b64 s[4:5], -1
                                        ; implicit-def: $sgpr10
	s_and_saveexec_b64 s[8:9], vcc
; %bb.2230:
	s_mov_b32 s10, 0x7f800001
	s_xor_b64 s[4:5], exec, -1
; %bb.2231:
	s_or_b64 exec, exec, s[8:9]
	s_and_b64 s[4:5], s[4:5], exec
                                        ; implicit-def: $vgpr6
	s_or_saveexec_b64 s[6:7], s[6:7]
	v_mov_b32_e32 v10, s10
	s_xor_b64 exec, exec, s[6:7]
	s_cbranch_execz .LBB49_182
.LBB49_2232:
	v_cmp_ne_u16_e32 vcc, 0, v6
	s_andn2_b64 s[4:5], s[4:5], exec
	s_and_b64 s[8:9], vcc, exec
	v_mov_b32_e32 v10, 0
	s_or_b64 s[4:5], s[4:5], s[8:9]
	s_or_b64 exec, exec, s[6:7]
	s_and_saveexec_b64 s[6:7], s[4:5]
	s_cbranch_execnz .LBB49_183
	s_branch .LBB49_184
.LBB49_2233:
	s_movk_i32 s4, 0x80
	v_cmp_eq_u16_sdwa s[12:13], v7, s4 src0_sel:BYTE_3 src1_sel:DWORD
	s_mov_b64 s[4:5], -1
                                        ; implicit-def: $sgpr10
	s_and_saveexec_b64 s[8:9], s[12:13]
; %bb.2234:
	s_mov_b32 s10, 0x7f800001
	s_xor_b64 s[4:5], exec, -1
; %bb.2235:
	s_or_b64 exec, exec, s[8:9]
	s_and_b64 s[4:5], s[4:5], exec
	s_or_saveexec_b64 s[6:7], s[6:7]
	v_mov_b32_e32 v2, s10
	s_xor_b64 exec, exec, s[6:7]
	s_cbranch_execz .LBB49_186
.LBB49_2236:
	v_mov_b32_e32 v2, 0
	v_cmp_ne_u16_sdwa s[8:9], v7, v2 src0_sel:BYTE_3 src1_sel:DWORD
	s_andn2_b64 s[4:5], s[4:5], exec
	s_and_b64 s[8:9], s[8:9], exec
	s_or_b64 s[4:5], s[4:5], s[8:9]
	s_or_b64 exec, exec, s[6:7]
	s_and_saveexec_b64 s[6:7], s[4:5]
	s_cbranch_execnz .LBB49_187
	s_branch .LBB49_188
.LBB49_2237:
	s_movk_i32 s4, 0x80
	v_cmp_eq_u16_sdwa s[12:13], v3, s4 src0_sel:BYTE_3 src1_sel:DWORD
	s_mov_b64 s[4:5], -1
                                        ; implicit-def: $sgpr10
	s_and_saveexec_b64 s[8:9], s[12:13]
; %bb.2238:
	s_mov_b32 s10, 0x7f800001
	s_xor_b64 s[4:5], exec, -1
; %bb.2239:
	s_or_b64 exec, exec, s[8:9]
	s_and_b64 s[4:5], s[4:5], exec
	s_or_saveexec_b64 s[6:7], s[6:7]
	v_mov_b32_e32 v6, s10
	s_xor_b64 exec, exec, s[6:7]
	s_cbranch_execz .LBB49_190
.LBB49_2240:
	v_mov_b32_e32 v6, 0
	v_cmp_ne_u16_sdwa s[8:9], v3, v6 src0_sel:BYTE_3 src1_sel:DWORD
	s_andn2_b64 s[4:5], s[4:5], exec
	s_and_b64 s[8:9], s[8:9], exec
	s_or_b64 s[4:5], s[4:5], s[8:9]
	s_or_b64 exec, exec, s[6:7]
	s_and_saveexec_b64 s[6:7], s[4:5]
	s_cbranch_execnz .LBB49_191
	s_branch .LBB49_192
.LBB49_2241:
	s_movk_i32 s4, 0x80
	v_cmp_eq_u16_sdwa s[12:13], v8, s4 src0_sel:BYTE_0 src1_sel:DWORD
	s_mov_b64 s[4:5], -1
                                        ; implicit-def: $sgpr10
	s_and_saveexec_b64 s[8:9], s[12:13]
; %bb.2242:
	s_mov_b32 s10, 0x7f800001
	s_xor_b64 s[4:5], exec, -1
; %bb.2243:
	s_or_b64 exec, exec, s[8:9]
	s_and_b64 s[4:5], s[4:5], exec
	s_or_saveexec_b64 s[6:7], s[6:7]
	v_mov_b32_e32 v2, s10
	s_xor_b64 exec, exec, s[6:7]
	s_cbranch_execz .LBB49_194
.LBB49_2244:
	v_mov_b32_e32 v2, 0
	v_cmp_ne_u16_sdwa s[8:9], v8, v2 src0_sel:BYTE_0 src1_sel:DWORD
	s_andn2_b64 s[4:5], s[4:5], exec
	s_and_b64 s[8:9], s[8:9], exec
	s_or_b64 s[4:5], s[4:5], s[8:9]
	s_or_b64 exec, exec, s[6:7]
	s_and_saveexec_b64 s[6:7], s[4:5]
	s_cbranch_execnz .LBB49_195
	s_branch .LBB49_196
.LBB49_2245:
	s_movk_i32 s4, 0x80
	v_cmp_eq_u16_sdwa s[12:13], v4, s4 src0_sel:BYTE_0 src1_sel:DWORD
	s_mov_b64 s[4:5], -1
                                        ; implicit-def: $sgpr10
	s_and_saveexec_b64 s[8:9], s[12:13]
; %bb.2246:
	s_mov_b32 s10, 0x7f800001
	s_xor_b64 s[4:5], exec, -1
; %bb.2247:
	s_or_b64 exec, exec, s[8:9]
	s_and_b64 s[4:5], s[4:5], exec
	s_or_saveexec_b64 s[6:7], s[6:7]
	v_mov_b32_e32 v3, s10
	s_xor_b64 exec, exec, s[6:7]
	s_cbranch_execz .LBB49_198
.LBB49_2248:
	v_mov_b32_e32 v3, 0
	v_cmp_ne_u16_sdwa s[8:9], v4, v3 src0_sel:BYTE_0 src1_sel:DWORD
	s_andn2_b64 s[4:5], s[4:5], exec
	s_and_b64 s[8:9], s[8:9], exec
	s_or_b64 s[4:5], s[4:5], s[8:9]
	s_or_b64 exec, exec, s[6:7]
	s_and_saveexec_b64 s[6:7], s[4:5]
	s_cbranch_execnz .LBB49_199
	s_branch .LBB49_200
.LBB49_2249:
	s_movk_i32 s4, 0x80
	v_cmp_eq_u16_sdwa s[12:13], v3, s4 src0_sel:BYTE_0 src1_sel:DWORD
	s_mov_b64 s[4:5], -1
                                        ; implicit-def: $sgpr10
	s_and_saveexec_b64 s[8:9], s[12:13]
; %bb.2250:
	s_mov_b32 s10, 0x7f800001
	s_xor_b64 s[4:5], exec, -1
; %bb.2251:
	s_or_b64 exec, exec, s[8:9]
	s_and_b64 s[4:5], s[4:5], exec
	s_or_saveexec_b64 s[6:7], s[6:7]
	v_mov_b32_e32 v2, s10
	s_xor_b64 exec, exec, s[6:7]
	s_cbranch_execz .LBB49_202
.LBB49_2252:
	v_mov_b32_e32 v2, 0
	v_cmp_ne_u16_sdwa s[8:9], v3, v2 src0_sel:BYTE_0 src1_sel:DWORD
	s_andn2_b64 s[4:5], s[4:5], exec
	s_and_b64 s[8:9], s[8:9], exec
	s_or_b64 s[4:5], s[4:5], s[8:9]
	s_or_b64 exec, exec, s[6:7]
	s_and_saveexec_b64 s[6:7], s[4:5]
	s_cbranch_execnz .LBB49_203
	s_branch .LBB49_204
.LBB49_2253:
	s_movk_i32 s4, 0x80
	v_cmp_eq_u16_sdwa s[12:13], v3, s4 src0_sel:BYTE_0 src1_sel:DWORD
	s_mov_b64 s[4:5], -1
                                        ; implicit-def: $sgpr10
	s_and_saveexec_b64 s[8:9], s[12:13]
; %bb.2254:
	s_mov_b32 s10, 0x7f800001
	s_xor_b64 s[4:5], exec, -1
; %bb.2255:
	s_or_b64 exec, exec, s[8:9]
	s_and_b64 s[4:5], s[4:5], exec
	s_or_saveexec_b64 s[6:7], s[6:7]
	v_mov_b32_e32 v6, s10
	s_xor_b64 exec, exec, s[6:7]
	s_cbranch_execz .LBB49_206
.LBB49_2256:
	v_mov_b32_e32 v6, 0
	v_cmp_ne_u16_sdwa s[8:9], v3, v6 src0_sel:BYTE_0 src1_sel:DWORD
	s_andn2_b64 s[4:5], s[4:5], exec
	s_and_b64 s[8:9], s[8:9], exec
	s_or_b64 s[4:5], s[4:5], s[8:9]
	s_or_b64 exec, exec, s[6:7]
	s_and_saveexec_b64 s[6:7], s[4:5]
	s_cbranch_execnz .LBB49_207
	s_branch .LBB49_208
.LBB49_2257:
	s_movk_i32 s4, 0x80
	v_cmp_eq_u16_e32 vcc, s4, v3
	s_mov_b64 s[4:5], -1
                                        ; implicit-def: $sgpr10
	s_and_saveexec_b64 s[8:9], vcc
; %bb.2258:
	s_mov_b32 s10, 0x7f800001
	s_xor_b64 s[4:5], exec, -1
; %bb.2259:
	s_or_b64 exec, exec, s[8:9]
	s_and_b64 s[4:5], s[4:5], exec
                                        ; implicit-def: $vgpr3
	s_or_saveexec_b64 s[6:7], s[6:7]
	v_mov_b32_e32 v2, s10
	s_xor_b64 exec, exec, s[6:7]
	s_cbranch_execz .LBB49_210
.LBB49_2260:
	v_cmp_ne_u16_e32 vcc, 0, v3
	s_andn2_b64 s[4:5], s[4:5], exec
	s_and_b64 s[8:9], vcc, exec
	v_mov_b32_e32 v2, 0
	s_or_b64 s[4:5], s[4:5], s[8:9]
	s_or_b64 exec, exec, s[6:7]
	s_and_saveexec_b64 s[6:7], s[4:5]
	s_cbranch_execnz .LBB49_211
	s_branch .LBB49_212
.LBB49_2261:
	s_movk_i32 s4, 0x80
	v_cmp_eq_u16_e32 vcc, s4, v3
	s_mov_b64 s[4:5], -1
                                        ; implicit-def: $sgpr10
	s_and_saveexec_b64 s[8:9], vcc
; %bb.2262:
	s_mov_b32 s10, 0x7f800001
	s_xor_b64 s[4:5], exec, -1
; %bb.2263:
	s_or_b64 exec, exec, s[8:9]
	s_and_b64 s[4:5], s[4:5], exec
                                        ; implicit-def: $vgpr3
	s_or_saveexec_b64 s[6:7], s[6:7]
	v_mov_b32_e32 v6, s10
	s_xor_b64 exec, exec, s[6:7]
	s_cbranch_execz .LBB49_214
.LBB49_2264:
	v_cmp_ne_u16_e32 vcc, 0, v3
	s_andn2_b64 s[4:5], s[4:5], exec
	s_and_b64 s[8:9], vcc, exec
	v_mov_b32_e32 v6, 0
	s_or_b64 s[4:5], s[4:5], s[8:9]
	s_or_b64 exec, exec, s[6:7]
	s_and_saveexec_b64 s[6:7], s[4:5]
	s_cbranch_execnz .LBB49_215
	s_branch .LBB49_216
.LBB49_2265:
	s_movk_i32 s4, 0x80
	v_cmp_eq_u16_sdwa s[12:13], v8, s4 src0_sel:BYTE_3 src1_sel:DWORD
	s_mov_b64 s[4:5], -1
                                        ; implicit-def: $sgpr10
	s_and_saveexec_b64 s[8:9], s[12:13]
; %bb.2266:
	s_mov_b32 s10, 0x7f800001
	s_xor_b64 s[4:5], exec, -1
; %bb.2267:
	s_or_b64 exec, exec, s[8:9]
	s_and_b64 s[4:5], s[4:5], exec
	s_or_saveexec_b64 s[6:7], s[6:7]
	v_mov_b32_e32 v2, s10
	s_xor_b64 exec, exec, s[6:7]
	s_cbranch_execz .LBB49_218
.LBB49_2268:
	v_mov_b32_e32 v2, 0
	v_cmp_ne_u16_sdwa s[8:9], v8, v2 src0_sel:BYTE_3 src1_sel:DWORD
	s_andn2_b64 s[4:5], s[4:5], exec
	s_and_b64 s[8:9], s[8:9], exec
	s_or_b64 s[4:5], s[4:5], s[8:9]
	s_or_b64 exec, exec, s[6:7]
	s_and_saveexec_b64 s[6:7], s[4:5]
	s_cbranch_execnz .LBB49_219
	s_branch .LBB49_220
.LBB49_2269:
	s_movk_i32 s4, 0x80
	v_cmp_eq_u16_sdwa s[12:13], v4, s4 src0_sel:BYTE_3 src1_sel:DWORD
	s_mov_b64 s[4:5], -1
                                        ; implicit-def: $sgpr10
	s_and_saveexec_b64 s[8:9], s[12:13]
; %bb.2270:
	s_mov_b32 s10, 0x7f800001
	s_xor_b64 s[4:5], exec, -1
; %bb.2271:
	s_or_b64 exec, exec, s[8:9]
	s_and_b64 s[4:5], s[4:5], exec
	s_or_saveexec_b64 s[6:7], s[6:7]
	v_mov_b32_e32 v3, s10
	s_xor_b64 exec, exec, s[6:7]
	s_cbranch_execz .LBB49_222
.LBB49_2272:
	v_mov_b32_e32 v3, 0
	v_cmp_ne_u16_sdwa s[8:9], v4, v3 src0_sel:BYTE_3 src1_sel:DWORD
	s_andn2_b64 s[4:5], s[4:5], exec
	s_and_b64 s[8:9], s[8:9], exec
	s_or_b64 s[4:5], s[4:5], s[8:9]
	s_or_b64 exec, exec, s[6:7]
	s_and_saveexec_b64 s[6:7], s[4:5]
	s_cbranch_execnz .LBB49_223
	s_branch .LBB49_224
.LBB49_2273:
	s_movk_i32 s4, 0x80
	v_cmp_eq_u16_sdwa s[12:13], v9, s4 src0_sel:BYTE_0 src1_sel:DWORD
	s_mov_b64 s[4:5], -1
                                        ; implicit-def: $sgpr10
	s_and_saveexec_b64 s[8:9], s[12:13]
; %bb.2274:
	s_mov_b32 s10, 0x7f800001
	s_xor_b64 s[4:5], exec, -1
; %bb.2275:
	s_or_b64 exec, exec, s[8:9]
	s_and_b64 s[4:5], s[4:5], exec
	s_or_saveexec_b64 s[6:7], s[6:7]
	v_mov_b32_e32 v2, s10
	s_xor_b64 exec, exec, s[6:7]
	s_cbranch_execz .LBB49_226
.LBB49_2276:
	v_mov_b32_e32 v2, 0
	v_cmp_ne_u16_sdwa s[8:9], v9, v2 src0_sel:BYTE_0 src1_sel:DWORD
	s_andn2_b64 s[4:5], s[4:5], exec
	s_and_b64 s[8:9], s[8:9], exec
	s_or_b64 s[4:5], s[4:5], s[8:9]
	s_or_b64 exec, exec, s[6:7]
	s_and_saveexec_b64 s[6:7], s[4:5]
	s_cbranch_execnz .LBB49_227
	s_branch .LBB49_228
.LBB49_2277:
	s_movk_i32 s4, 0x80
	v_cmp_eq_u16_sdwa s[12:13], v5, s4 src0_sel:BYTE_0 src1_sel:DWORD
	s_mov_b64 s[4:5], -1
                                        ; implicit-def: $sgpr10
	s_and_saveexec_b64 s[8:9], s[12:13]
; %bb.2278:
	s_mov_b32 s10, 0x7f800001
	s_xor_b64 s[4:5], exec, -1
; %bb.2279:
	s_or_b64 exec, exec, s[8:9]
	s_and_b64 s[4:5], s[4:5], exec
	s_or_saveexec_b64 s[6:7], s[6:7]
	v_mov_b32_e32 v3, s10
	s_xor_b64 exec, exec, s[6:7]
	s_cbranch_execz .LBB49_230
.LBB49_2280:
	v_mov_b32_e32 v3, 0
	v_cmp_ne_u16_sdwa s[8:9], v5, v3 src0_sel:BYTE_0 src1_sel:DWORD
	s_andn2_b64 s[4:5], s[4:5], exec
	s_and_b64 s[8:9], s[8:9], exec
	s_or_b64 s[4:5], s[4:5], s[8:9]
	s_or_b64 exec, exec, s[6:7]
	s_and_saveexec_b64 s[6:7], s[4:5]
	s_cbranch_execnz .LBB49_231
	s_branch .LBB49_232
.LBB49_2281:
	s_movk_i32 s4, 0x80
	v_cmp_eq_u16_sdwa s[12:13], v3, s4 src0_sel:BYTE_0 src1_sel:DWORD
	s_mov_b64 s[4:5], -1
                                        ; implicit-def: $sgpr10
	s_and_saveexec_b64 s[8:9], s[12:13]
; %bb.2282:
	s_mov_b32 s10, 0x7f800001
	s_xor_b64 s[4:5], exec, -1
; %bb.2283:
	s_or_b64 exec, exec, s[8:9]
	s_and_b64 s[4:5], s[4:5], exec
	s_or_saveexec_b64 s[6:7], s[6:7]
	v_mov_b32_e32 v2, s10
	s_xor_b64 exec, exec, s[6:7]
	s_cbranch_execz .LBB49_234
.LBB49_2284:
	v_mov_b32_e32 v2, 0
	v_cmp_ne_u16_sdwa s[8:9], v3, v2 src0_sel:BYTE_0 src1_sel:DWORD
	s_andn2_b64 s[4:5], s[4:5], exec
	s_and_b64 s[8:9], s[8:9], exec
	s_or_b64 s[4:5], s[4:5], s[8:9]
	s_or_b64 exec, exec, s[6:7]
	s_and_saveexec_b64 s[6:7], s[4:5]
	s_cbranch_execnz .LBB49_235
	s_branch .LBB49_236
.LBB49_2285:
	s_movk_i32 s4, 0x80
	v_cmp_eq_u16_sdwa s[12:13], v3, s4 src0_sel:BYTE_0 src1_sel:DWORD
	s_mov_b64 s[4:5], -1
                                        ; implicit-def: $sgpr10
	s_and_saveexec_b64 s[8:9], s[12:13]
; %bb.2286:
	s_mov_b32 s10, 0x7f800001
	s_xor_b64 s[4:5], exec, -1
; %bb.2287:
	s_or_b64 exec, exec, s[8:9]
	s_and_b64 s[4:5], s[4:5], exec
	s_or_saveexec_b64 s[6:7], s[6:7]
	v_mov_b32_e32 v4, s10
	s_xor_b64 exec, exec, s[6:7]
	s_cbranch_execz .LBB49_238
.LBB49_2288:
	v_mov_b32_e32 v4, 0
	v_cmp_ne_u16_sdwa s[8:9], v3, v4 src0_sel:BYTE_0 src1_sel:DWORD
	s_andn2_b64 s[4:5], s[4:5], exec
	s_and_b64 s[8:9], s[8:9], exec
	s_or_b64 s[4:5], s[4:5], s[8:9]
	s_or_b64 exec, exec, s[6:7]
	s_and_saveexec_b64 s[6:7], s[4:5]
	s_cbranch_execnz .LBB49_239
	s_branch .LBB49_240
.LBB49_2289:
	s_movk_i32 s4, 0x80
	v_cmp_eq_u16_e32 vcc, s4, v3
	s_mov_b64 s[4:5], -1
                                        ; implicit-def: $sgpr10
	s_and_saveexec_b64 s[8:9], vcc
; %bb.2290:
	s_mov_b32 s10, 0x7f800001
	s_xor_b64 s[4:5], exec, -1
; %bb.2291:
	s_or_b64 exec, exec, s[8:9]
	s_and_b64 s[4:5], s[4:5], exec
                                        ; implicit-def: $vgpr3
	s_or_saveexec_b64 s[6:7], s[6:7]
	v_mov_b32_e32 v2, s10
	s_xor_b64 exec, exec, s[6:7]
	s_cbranch_execz .LBB49_242
.LBB49_2292:
	v_cmp_ne_u16_e32 vcc, 0, v3
	s_andn2_b64 s[4:5], s[4:5], exec
	s_and_b64 s[8:9], vcc, exec
	v_mov_b32_e32 v2, 0
	s_or_b64 s[4:5], s[4:5], s[8:9]
	s_or_b64 exec, exec, s[6:7]
	s_and_saveexec_b64 s[6:7], s[4:5]
	s_cbranch_execnz .LBB49_243
	s_branch .LBB49_244
.LBB49_2293:
	s_movk_i32 s4, 0x80
	v_cmp_eq_u16_e32 vcc, s4, v3
	s_mov_b64 s[4:5], -1
                                        ; implicit-def: $sgpr10
	s_and_saveexec_b64 s[8:9], vcc
; %bb.2294:
	s_mov_b32 s10, 0x7f800001
	s_xor_b64 s[4:5], exec, -1
; %bb.2295:
	s_or_b64 exec, exec, s[8:9]
	s_and_b64 s[4:5], s[4:5], exec
                                        ; implicit-def: $vgpr3
	s_or_saveexec_b64 s[6:7], s[6:7]
	v_mov_b32_e32 v4, s10
	s_xor_b64 exec, exec, s[6:7]
	s_cbranch_execz .LBB49_246
.LBB49_2296:
	v_cmp_ne_u16_e32 vcc, 0, v3
	s_andn2_b64 s[4:5], s[4:5], exec
	s_and_b64 s[8:9], vcc, exec
	v_mov_b32_e32 v4, 0
	s_or_b64 s[4:5], s[4:5], s[8:9]
	s_or_b64 exec, exec, s[6:7]
	s_and_saveexec_b64 s[6:7], s[4:5]
	s_cbranch_execnz .LBB49_247
	s_branch .LBB49_248
.LBB49_2297:
	s_movk_i32 s4, 0x80
	v_cmp_eq_u16_sdwa s[12:13], v9, s4 src0_sel:BYTE_3 src1_sel:DWORD
	s_mov_b64 s[4:5], -1
                                        ; implicit-def: $sgpr10
	s_and_saveexec_b64 s[8:9], s[12:13]
; %bb.2298:
	s_mov_b32 s10, 0x7f800001
	s_xor_b64 s[4:5], exec, -1
; %bb.2299:
	s_or_b64 exec, exec, s[8:9]
	s_and_b64 s[4:5], s[4:5], exec
	s_or_saveexec_b64 s[6:7], s[6:7]
	v_mov_b32_e32 v2, s10
	s_xor_b64 exec, exec, s[6:7]
	s_cbranch_execz .LBB49_250
.LBB49_2300:
	v_mov_b32_e32 v2, 0
	v_cmp_ne_u16_sdwa s[8:9], v9, v2 src0_sel:BYTE_3 src1_sel:DWORD
	s_andn2_b64 s[4:5], s[4:5], exec
	s_and_b64 s[8:9], s[8:9], exec
	s_or_b64 s[4:5], s[4:5], s[8:9]
	s_or_b64 exec, exec, s[6:7]
	s_and_saveexec_b64 s[6:7], s[4:5]
	s_cbranch_execnz .LBB49_251
	s_branch .LBB49_252
.LBB49_2301:
	s_movk_i32 s4, 0x80
	v_cmp_eq_u16_sdwa s[12:13], v5, s4 src0_sel:BYTE_3 src1_sel:DWORD
	s_mov_b64 s[4:5], -1
                                        ; implicit-def: $sgpr10
	s_and_saveexec_b64 s[8:9], s[12:13]
; %bb.2302:
	s_mov_b32 s10, 0x7f800001
	s_xor_b64 s[4:5], exec, -1
; %bb.2303:
	s_or_b64 exec, exec, s[8:9]
	s_and_b64 s[4:5], s[4:5], exec
	s_or_saveexec_b64 s[6:7], s[6:7]
	v_mov_b32_e32 v3, s10
	s_xor_b64 exec, exec, s[6:7]
	s_cbranch_execz .LBB49_254
.LBB49_2304:
	v_mov_b32_e32 v3, 0
	v_cmp_ne_u16_sdwa s[8:9], v5, v3 src0_sel:BYTE_3 src1_sel:DWORD
	s_andn2_b64 s[4:5], s[4:5], exec
	s_and_b64 s[8:9], s[8:9], exec
	s_or_b64 s[4:5], s[4:5], s[8:9]
	s_or_b64 exec, exec, s[6:7]
	s_and_saveexec_b64 s[6:7], s[4:5]
	s_cbranch_execnz .LBB49_255
	s_branch .LBB49_256
.LBB49_2305:
	s_movk_i32 s4, 0x80
	v_cmp_eq_u16_sdwa s[12:13], v14, s4 src0_sel:BYTE_0 src1_sel:DWORD
	s_mov_b64 s[4:5], -1
                                        ; implicit-def: $sgpr10
	s_and_saveexec_b64 s[8:9], s[12:13]
; %bb.2306:
	s_mov_b32 s10, 0x7f800001
	s_xor_b64 s[4:5], exec, -1
; %bb.2307:
	s_or_b64 exec, exec, s[8:9]
	s_and_b64 s[4:5], s[4:5], exec
	s_or_saveexec_b64 s[6:7], s[6:7]
	v_mov_b32_e32 v20, s10
	s_xor_b64 exec, exec, s[6:7]
	s_cbranch_execz .LBB49_258
.LBB49_2308:
	v_mov_b32_e32 v20, 0
	v_cmp_ne_u16_sdwa s[8:9], v14, v20 src0_sel:BYTE_0 src1_sel:DWORD
	s_andn2_b64 s[4:5], s[4:5], exec
	s_and_b64 s[8:9], s[8:9], exec
	s_or_b64 s[4:5], s[4:5], s[8:9]
	s_or_b64 exec, exec, s[6:7]
	s_and_saveexec_b64 s[6:7], s[4:5]
	s_cbranch_execnz .LBB49_259
	s_branch .LBB49_260
.LBB49_2309:
	s_movk_i32 s4, 0x80
	v_cmp_eq_u16_sdwa s[12:13], v10, s4 src0_sel:BYTE_0 src1_sel:DWORD
	s_mov_b64 s[4:5], -1
                                        ; implicit-def: $sgpr10
	s_and_saveexec_b64 s[8:9], s[12:13]
; %bb.2310:
	s_mov_b32 s10, 0x7f800001
	s_xor_b64 s[4:5], exec, -1
; %bb.2311:
	s_or_b64 exec, exec, s[8:9]
	s_and_b64 s[4:5], s[4:5], exec
	s_or_saveexec_b64 s[6:7], s[6:7]
	v_mov_b32_e32 v21, s10
	s_xor_b64 exec, exec, s[6:7]
	s_cbranch_execz .LBB49_262
.LBB49_2312:
	v_mov_b32_e32 v21, 0
	v_cmp_ne_u16_sdwa s[8:9], v10, v21 src0_sel:BYTE_0 src1_sel:DWORD
	s_andn2_b64 s[4:5], s[4:5], exec
	s_and_b64 s[8:9], s[8:9], exec
	s_or_b64 s[4:5], s[4:5], s[8:9]
	s_or_b64 exec, exec, s[6:7]
	s_and_saveexec_b64 s[6:7], s[4:5]
	s_cbranch_execnz .LBB49_263
	s_branch .LBB49_264
.LBB49_2313:
	s_movk_i32 s4, 0x80
	v_cmp_eq_u16_sdwa s[12:13], v21, s4 src0_sel:BYTE_0 src1_sel:DWORD
	s_mov_b64 s[4:5], -1
                                        ; implicit-def: $sgpr10
	s_and_saveexec_b64 s[8:9], s[12:13]
; %bb.2314:
	s_mov_b32 s10, 0x7f800001
	s_xor_b64 s[4:5], exec, -1
; %bb.2315:
	s_or_b64 exec, exec, s[8:9]
	s_and_b64 s[4:5], s[4:5], exec
	s_or_saveexec_b64 s[6:7], s[6:7]
	v_mov_b32_e32 v20, s10
	s_xor_b64 exec, exec, s[6:7]
	s_cbranch_execz .LBB49_266
.LBB49_2316:
	v_mov_b32_e32 v20, 0
	v_cmp_ne_u16_sdwa s[8:9], v21, v20 src0_sel:BYTE_0 src1_sel:DWORD
	s_andn2_b64 s[4:5], s[4:5], exec
	s_and_b64 s[8:9], s[8:9], exec
	s_or_b64 s[4:5], s[4:5], s[8:9]
	s_or_b64 exec, exec, s[6:7]
	s_and_saveexec_b64 s[6:7], s[4:5]
	s_cbranch_execnz .LBB49_267
	s_branch .LBB49_268
.LBB49_2317:
	s_movk_i32 s4, 0x80
	v_cmp_eq_u16_sdwa s[12:13], v21, s4 src0_sel:BYTE_0 src1_sel:DWORD
	s_mov_b64 s[4:5], -1
                                        ; implicit-def: $sgpr10
	s_and_saveexec_b64 s[8:9], s[12:13]
; %bb.2318:
	s_mov_b32 s10, 0x7f800001
	s_xor_b64 s[4:5], exec, -1
; %bb.2319:
	s_or_b64 exec, exec, s[8:9]
	s_and_b64 s[4:5], s[4:5], exec
	s_or_saveexec_b64 s[6:7], s[6:7]
	v_mov_b32_e32 v22, s10
	s_xor_b64 exec, exec, s[6:7]
	s_cbranch_execz .LBB49_270
.LBB49_2320:
	v_mov_b32_e32 v22, 0
	v_cmp_ne_u16_sdwa s[8:9], v21, v22 src0_sel:BYTE_0 src1_sel:DWORD
	s_andn2_b64 s[4:5], s[4:5], exec
	s_and_b64 s[8:9], s[8:9], exec
	s_or_b64 s[4:5], s[4:5], s[8:9]
	s_or_b64 exec, exec, s[6:7]
	s_and_saveexec_b64 s[6:7], s[4:5]
	s_cbranch_execnz .LBB49_271
	s_branch .LBB49_272
.LBB49_2321:
	s_movk_i32 s4, 0x80
	v_cmp_eq_u16_e32 vcc, s4, v21
	s_mov_b64 s[4:5], -1
                                        ; implicit-def: $sgpr10
	s_and_saveexec_b64 s[8:9], vcc
; %bb.2322:
	s_mov_b32 s10, 0x7f800001
	s_xor_b64 s[4:5], exec, -1
; %bb.2323:
	s_or_b64 exec, exec, s[8:9]
	s_and_b64 s[4:5], s[4:5], exec
                                        ; implicit-def: $vgpr21
	s_or_saveexec_b64 s[6:7], s[6:7]
	v_mov_b32_e32 v20, s10
	s_xor_b64 exec, exec, s[6:7]
	s_cbranch_execz .LBB49_274
.LBB49_2324:
	v_cmp_ne_u16_e32 vcc, 0, v21
	s_andn2_b64 s[4:5], s[4:5], exec
	s_and_b64 s[8:9], vcc, exec
	v_mov_b32_e32 v20, 0
	s_or_b64 s[4:5], s[4:5], s[8:9]
	s_or_b64 exec, exec, s[6:7]
	s_and_saveexec_b64 s[6:7], s[4:5]
	s_cbranch_execnz .LBB49_275
	s_branch .LBB49_276
.LBB49_2325:
	s_movk_i32 s4, 0x80
	v_cmp_eq_u16_e32 vcc, s4, v21
	s_mov_b64 s[4:5], -1
                                        ; implicit-def: $sgpr10
	s_and_saveexec_b64 s[8:9], vcc
; %bb.2326:
	s_mov_b32 s10, 0x7f800001
	s_xor_b64 s[4:5], exec, -1
; %bb.2327:
	s_or_b64 exec, exec, s[8:9]
	s_and_b64 s[4:5], s[4:5], exec
                                        ; implicit-def: $vgpr21
	s_or_saveexec_b64 s[6:7], s[6:7]
	v_mov_b32_e32 v22, s10
	s_xor_b64 exec, exec, s[6:7]
	s_cbranch_execz .LBB49_278
.LBB49_2328:
	v_cmp_ne_u16_e32 vcc, 0, v21
	s_andn2_b64 s[4:5], s[4:5], exec
	s_and_b64 s[8:9], vcc, exec
	v_mov_b32_e32 v22, 0
	s_or_b64 s[4:5], s[4:5], s[8:9]
	s_or_b64 exec, exec, s[6:7]
	s_and_saveexec_b64 s[6:7], s[4:5]
	s_cbranch_execnz .LBB49_279
	s_branch .LBB49_280
.LBB49_2329:
	s_movk_i32 s4, 0x80
	v_cmp_eq_u16_sdwa s[12:13], v14, s4 src0_sel:BYTE_3 src1_sel:DWORD
	s_mov_b64 s[4:5], -1
                                        ; implicit-def: $sgpr10
	s_and_saveexec_b64 s[8:9], s[12:13]
; %bb.2330:
	s_mov_b32 s10, 0x7f800001
	s_xor_b64 s[4:5], exec, -1
; %bb.2331:
	s_or_b64 exec, exec, s[8:9]
	s_and_b64 s[4:5], s[4:5], exec
	s_or_saveexec_b64 s[6:7], s[6:7]
	v_mov_b32_e32 v20, s10
	s_xor_b64 exec, exec, s[6:7]
	s_cbranch_execz .LBB49_282
.LBB49_2332:
	v_mov_b32_e32 v20, 0
	v_cmp_ne_u16_sdwa s[8:9], v14, v20 src0_sel:BYTE_3 src1_sel:DWORD
	s_andn2_b64 s[4:5], s[4:5], exec
	s_and_b64 s[8:9], s[8:9], exec
	s_or_b64 s[4:5], s[4:5], s[8:9]
	s_or_b64 exec, exec, s[6:7]
	s_and_saveexec_b64 s[6:7], s[4:5]
	s_cbranch_execnz .LBB49_283
	s_branch .LBB49_284
.LBB49_2333:
	s_movk_i32 s4, 0x80
	v_cmp_eq_u16_sdwa s[12:13], v10, s4 src0_sel:BYTE_3 src1_sel:DWORD
	s_mov_b64 s[4:5], -1
                                        ; implicit-def: $sgpr10
	s_and_saveexec_b64 s[8:9], s[12:13]
; %bb.2334:
	s_mov_b32 s10, 0x7f800001
	s_xor_b64 s[4:5], exec, -1
; %bb.2335:
	s_or_b64 exec, exec, s[8:9]
	s_and_b64 s[4:5], s[4:5], exec
	s_or_saveexec_b64 s[6:7], s[6:7]
	v_mov_b32_e32 v14, s10
	s_xor_b64 exec, exec, s[6:7]
	s_cbranch_execz .LBB49_286
.LBB49_2336:
	v_mov_b32_e32 v14, 0
	v_cmp_ne_u16_sdwa s[8:9], v10, v14 src0_sel:BYTE_3 src1_sel:DWORD
	s_andn2_b64 s[4:5], s[4:5], exec
	s_and_b64 s[8:9], s[8:9], exec
	s_or_b64 s[4:5], s[4:5], s[8:9]
	s_or_b64 exec, exec, s[6:7]
	s_and_saveexec_b64 s[6:7], s[4:5]
	s_cbranch_execnz .LBB49_287
	s_branch .LBB49_288
.LBB49_2337:
	s_movk_i32 s4, 0x80
	v_cmp_eq_u16_sdwa s[12:13], v15, s4 src0_sel:BYTE_0 src1_sel:DWORD
	s_mov_b64 s[4:5], -1
                                        ; implicit-def: $sgpr10
	s_and_saveexec_b64 s[8:9], s[12:13]
; %bb.2338:
	s_mov_b32 s10, 0x7f800001
	s_xor_b64 s[4:5], exec, -1
; %bb.2339:
	s_or_b64 exec, exec, s[8:9]
	s_and_b64 s[4:5], s[4:5], exec
	s_or_saveexec_b64 s[6:7], s[6:7]
	v_mov_b32_e32 v10, s10
	s_xor_b64 exec, exec, s[6:7]
	s_cbranch_execz .LBB49_290
.LBB49_2340:
	v_mov_b32_e32 v10, 0
	v_cmp_ne_u16_sdwa s[8:9], v15, v10 src0_sel:BYTE_0 src1_sel:DWORD
	s_andn2_b64 s[4:5], s[4:5], exec
	s_and_b64 s[8:9], s[8:9], exec
	s_or_b64 s[4:5], s[4:5], s[8:9]
	s_or_b64 exec, exec, s[6:7]
	s_and_saveexec_b64 s[6:7], s[4:5]
	s_cbranch_execnz .LBB49_291
	s_branch .LBB49_292
.LBB49_2341:
	s_movk_i32 s4, 0x80
	v_cmp_eq_u16_sdwa s[12:13], v11, s4 src0_sel:BYTE_0 src1_sel:DWORD
	s_mov_b64 s[4:5], -1
                                        ; implicit-def: $sgpr10
	s_and_saveexec_b64 s[8:9], s[12:13]
; %bb.2342:
	s_mov_b32 s10, 0x7f800001
	s_xor_b64 s[4:5], exec, -1
; %bb.2343:
	s_or_b64 exec, exec, s[8:9]
	s_and_b64 s[4:5], s[4:5], exec
	s_or_saveexec_b64 s[6:7], s[6:7]
	v_mov_b32_e32 v14, s10
	s_xor_b64 exec, exec, s[6:7]
	s_cbranch_execz .LBB49_294
.LBB49_2344:
	v_mov_b32_e32 v14, 0
	v_cmp_ne_u16_sdwa s[8:9], v11, v14 src0_sel:BYTE_0 src1_sel:DWORD
	s_andn2_b64 s[4:5], s[4:5], exec
	s_and_b64 s[8:9], s[8:9], exec
	s_or_b64 s[4:5], s[4:5], s[8:9]
	s_or_b64 exec, exec, s[6:7]
	s_and_saveexec_b64 s[6:7], s[4:5]
	s_cbranch_execnz .LBB49_295
	s_branch .LBB49_296
.LBB49_2345:
	s_movk_i32 s4, 0x80
	v_cmp_eq_u16_sdwa s[12:13], v14, s4 src0_sel:BYTE_0 src1_sel:DWORD
	s_mov_b64 s[4:5], -1
                                        ; implicit-def: $sgpr10
	s_and_saveexec_b64 s[8:9], s[12:13]
; %bb.2346:
	s_mov_b32 s10, 0x7f800001
	s_xor_b64 s[4:5], exec, -1
; %bb.2347:
	s_or_b64 exec, exec, s[8:9]
	s_and_b64 s[4:5], s[4:5], exec
	s_or_saveexec_b64 s[6:7], s[6:7]
	v_mov_b32_e32 v10, s10
	s_xor_b64 exec, exec, s[6:7]
	s_cbranch_execz .LBB49_298
.LBB49_2348:
	v_mov_b32_e32 v10, 0
	v_cmp_ne_u16_sdwa s[8:9], v14, v10 src0_sel:BYTE_0 src1_sel:DWORD
	s_andn2_b64 s[4:5], s[4:5], exec
	s_and_b64 s[8:9], s[8:9], exec
	s_or_b64 s[4:5], s[4:5], s[8:9]
	s_or_b64 exec, exec, s[6:7]
	s_and_saveexec_b64 s[6:7], s[4:5]
	s_cbranch_execnz .LBB49_299
	s_branch .LBB49_300
.LBB49_2349:
	s_movk_i32 s4, 0x80
	v_cmp_eq_u16_sdwa s[12:13], v14, s4 src0_sel:BYTE_0 src1_sel:DWORD
	s_mov_b64 s[4:5], -1
                                        ; implicit-def: $sgpr10
	s_and_saveexec_b64 s[8:9], s[12:13]
; %bb.2350:
	s_mov_b32 s10, 0x7f800001
	s_xor_b64 s[4:5], exec, -1
; %bb.2351:
	s_or_b64 exec, exec, s[8:9]
	s_and_b64 s[4:5], s[4:5], exec
	s_or_saveexec_b64 s[6:7], s[6:7]
	v_mov_b32_e32 v20, s10
	s_xor_b64 exec, exec, s[6:7]
	s_cbranch_execz .LBB49_302
.LBB49_2352:
	v_mov_b32_e32 v20, 0
	v_cmp_ne_u16_sdwa s[8:9], v14, v20 src0_sel:BYTE_0 src1_sel:DWORD
	s_andn2_b64 s[4:5], s[4:5], exec
	s_and_b64 s[8:9], s[8:9], exec
	s_or_b64 s[4:5], s[4:5], s[8:9]
	s_or_b64 exec, exec, s[6:7]
	s_and_saveexec_b64 s[6:7], s[4:5]
	s_cbranch_execnz .LBB49_303
	s_branch .LBB49_304
.LBB49_2353:
	s_movk_i32 s4, 0x80
	v_cmp_eq_u16_e32 vcc, s4, v14
	s_mov_b64 s[4:5], -1
                                        ; implicit-def: $sgpr10
	s_and_saveexec_b64 s[8:9], vcc
; %bb.2354:
	s_mov_b32 s10, 0x7f800001
	s_xor_b64 s[4:5], exec, -1
; %bb.2355:
	s_or_b64 exec, exec, s[8:9]
	s_and_b64 s[4:5], s[4:5], exec
                                        ; implicit-def: $vgpr14
	s_or_saveexec_b64 s[6:7], s[6:7]
	v_mov_b32_e32 v10, s10
	s_xor_b64 exec, exec, s[6:7]
	s_cbranch_execz .LBB49_306
.LBB49_2356:
	v_cmp_ne_u16_e32 vcc, 0, v14
	s_andn2_b64 s[4:5], s[4:5], exec
	s_and_b64 s[8:9], vcc, exec
	v_mov_b32_e32 v10, 0
	s_or_b64 s[4:5], s[4:5], s[8:9]
	s_or_b64 exec, exec, s[6:7]
	s_and_saveexec_b64 s[6:7], s[4:5]
	s_cbranch_execnz .LBB49_307
	s_branch .LBB49_308
.LBB49_2357:
	s_movk_i32 s4, 0x80
	v_cmp_eq_u16_e32 vcc, s4, v14
	s_mov_b64 s[4:5], -1
                                        ; implicit-def: $sgpr10
	s_and_saveexec_b64 s[8:9], vcc
; %bb.2358:
	s_mov_b32 s10, 0x7f800001
	s_xor_b64 s[4:5], exec, -1
; %bb.2359:
	s_or_b64 exec, exec, s[8:9]
	s_and_b64 s[4:5], s[4:5], exec
                                        ; implicit-def: $vgpr14
	s_or_saveexec_b64 s[6:7], s[6:7]
	v_mov_b32_e32 v20, s10
	s_xor_b64 exec, exec, s[6:7]
	s_cbranch_execz .LBB49_310
.LBB49_2360:
	v_cmp_ne_u16_e32 vcc, 0, v14
	s_andn2_b64 s[4:5], s[4:5], exec
	s_and_b64 s[8:9], vcc, exec
	v_mov_b32_e32 v20, 0
	s_or_b64 s[4:5], s[4:5], s[8:9]
	s_or_b64 exec, exec, s[6:7]
	s_and_saveexec_b64 s[6:7], s[4:5]
	s_cbranch_execnz .LBB49_311
	s_branch .LBB49_312
.LBB49_2361:
	s_movk_i32 s4, 0x80
	v_cmp_eq_u16_sdwa s[12:13], v15, s4 src0_sel:BYTE_3 src1_sel:DWORD
	s_mov_b64 s[4:5], -1
                                        ; implicit-def: $sgpr10
	s_and_saveexec_b64 s[8:9], s[12:13]
; %bb.2362:
	s_mov_b32 s10, 0x7f800001
	s_xor_b64 s[4:5], exec, -1
; %bb.2363:
	s_or_b64 exec, exec, s[8:9]
	s_and_b64 s[4:5], s[4:5], exec
	s_or_saveexec_b64 s[6:7], s[6:7]
	v_mov_b32_e32 v10, s10
	s_xor_b64 exec, exec, s[6:7]
	s_cbranch_execz .LBB49_314
.LBB49_2364:
	v_mov_b32_e32 v10, 0
	v_cmp_ne_u16_sdwa s[8:9], v15, v10 src0_sel:BYTE_3 src1_sel:DWORD
	s_andn2_b64 s[4:5], s[4:5], exec
	s_and_b64 s[8:9], s[8:9], exec
	s_or_b64 s[4:5], s[4:5], s[8:9]
	s_or_b64 exec, exec, s[6:7]
	s_and_saveexec_b64 s[6:7], s[4:5]
	s_cbranch_execnz .LBB49_315
	s_branch .LBB49_316
.LBB49_2365:
	s_movk_i32 s4, 0x80
	v_cmp_eq_u16_sdwa s[12:13], v11, s4 src0_sel:BYTE_3 src1_sel:DWORD
	s_mov_b64 s[4:5], -1
                                        ; implicit-def: $sgpr10
	s_and_saveexec_b64 s[8:9], s[12:13]
; %bb.2366:
	s_mov_b32 s10, 0x7f800001
	s_xor_b64 s[4:5], exec, -1
; %bb.2367:
	s_or_b64 exec, exec, s[8:9]
	s_and_b64 s[4:5], s[4:5], exec
	s_or_saveexec_b64 s[6:7], s[6:7]
	v_mov_b32_e32 v14, s10
	s_xor_b64 exec, exec, s[6:7]
	s_cbranch_execz .LBB49_318
.LBB49_2368:
	v_mov_b32_e32 v14, 0
	v_cmp_ne_u16_sdwa s[8:9], v11, v14 src0_sel:BYTE_3 src1_sel:DWORD
	s_andn2_b64 s[4:5], s[4:5], exec
	s_and_b64 s[8:9], s[8:9], exec
	s_or_b64 s[4:5], s[4:5], s[8:9]
	s_or_b64 exec, exec, s[6:7]
	s_and_saveexec_b64 s[6:7], s[4:5]
	s_cbranch_execnz .LBB49_319
	s_branch .LBB49_320
.LBB49_2369:
	s_movk_i32 s4, 0x80
	v_cmp_eq_u16_sdwa s[12:13], v16, s4 src0_sel:BYTE_0 src1_sel:DWORD
	s_mov_b64 s[4:5], -1
                                        ; implicit-def: $sgpr10
	s_and_saveexec_b64 s[8:9], s[12:13]
; %bb.2370:
	s_mov_b32 s10, 0x7f800001
	s_xor_b64 s[4:5], exec, -1
; %bb.2371:
	s_or_b64 exec, exec, s[8:9]
	s_and_b64 s[4:5], s[4:5], exec
	s_or_saveexec_b64 s[6:7], s[6:7]
	v_mov_b32_e32 v10, s10
	s_xor_b64 exec, exec, s[6:7]
	s_cbranch_execz .LBB49_322
.LBB49_2372:
	v_mov_b32_e32 v10, 0
	v_cmp_ne_u16_sdwa s[8:9], v16, v10 src0_sel:BYTE_0 src1_sel:DWORD
	s_andn2_b64 s[4:5], s[4:5], exec
	s_and_b64 s[8:9], s[8:9], exec
	s_or_b64 s[4:5], s[4:5], s[8:9]
	s_or_b64 exec, exec, s[6:7]
	s_and_saveexec_b64 s[6:7], s[4:5]
	s_cbranch_execnz .LBB49_323
	s_branch .LBB49_324
.LBB49_2373:
	s_movk_i32 s4, 0x80
	v_cmp_eq_u16_sdwa s[12:13], v12, s4 src0_sel:BYTE_0 src1_sel:DWORD
	s_mov_b64 s[4:5], -1
                                        ; implicit-def: $sgpr10
	s_and_saveexec_b64 s[8:9], s[12:13]
; %bb.2374:
	s_mov_b32 s10, 0x7f800001
	s_xor_b64 s[4:5], exec, -1
; %bb.2375:
	s_or_b64 exec, exec, s[8:9]
	s_and_b64 s[4:5], s[4:5], exec
	s_or_saveexec_b64 s[6:7], s[6:7]
	v_mov_b32_e32 v11, s10
	s_xor_b64 exec, exec, s[6:7]
	s_cbranch_execz .LBB49_326
.LBB49_2376:
	v_mov_b32_e32 v11, 0
	v_cmp_ne_u16_sdwa s[8:9], v12, v11 src0_sel:BYTE_0 src1_sel:DWORD
	s_andn2_b64 s[4:5], s[4:5], exec
	s_and_b64 s[8:9], s[8:9], exec
	s_or_b64 s[4:5], s[4:5], s[8:9]
	s_or_b64 exec, exec, s[6:7]
	s_and_saveexec_b64 s[6:7], s[4:5]
	s_cbranch_execnz .LBB49_327
	s_branch .LBB49_328
.LBB49_2377:
	s_movk_i32 s4, 0x80
	v_cmp_eq_u16_sdwa s[12:13], v11, s4 src0_sel:BYTE_0 src1_sel:DWORD
	s_mov_b64 s[4:5], -1
                                        ; implicit-def: $sgpr10
	s_and_saveexec_b64 s[8:9], s[12:13]
; %bb.2378:
	s_mov_b32 s10, 0x7f800001
	s_xor_b64 s[4:5], exec, -1
; %bb.2379:
	s_or_b64 exec, exec, s[8:9]
	s_and_b64 s[4:5], s[4:5], exec
	s_or_saveexec_b64 s[6:7], s[6:7]
	v_mov_b32_e32 v10, s10
	s_xor_b64 exec, exec, s[6:7]
	s_cbranch_execz .LBB49_330
.LBB49_2380:
	v_mov_b32_e32 v10, 0
	v_cmp_ne_u16_sdwa s[8:9], v11, v10 src0_sel:BYTE_0 src1_sel:DWORD
	s_andn2_b64 s[4:5], s[4:5], exec
	s_and_b64 s[8:9], s[8:9], exec
	s_or_b64 s[4:5], s[4:5], s[8:9]
	s_or_b64 exec, exec, s[6:7]
	s_and_saveexec_b64 s[6:7], s[4:5]
	s_cbranch_execnz .LBB49_331
	s_branch .LBB49_332
.LBB49_2381:
	s_movk_i32 s4, 0x80
	v_cmp_eq_u16_sdwa s[12:13], v11, s4 src0_sel:BYTE_0 src1_sel:DWORD
	s_mov_b64 s[4:5], -1
                                        ; implicit-def: $sgpr10
	s_and_saveexec_b64 s[8:9], s[12:13]
; %bb.2382:
	s_mov_b32 s10, 0x7f800001
	s_xor_b64 s[4:5], exec, -1
; %bb.2383:
	s_or_b64 exec, exec, s[8:9]
	s_and_b64 s[4:5], s[4:5], exec
	s_or_saveexec_b64 s[6:7], s[6:7]
	v_mov_b32_e32 v14, s10
	s_xor_b64 exec, exec, s[6:7]
	s_cbranch_execz .LBB49_334
.LBB49_2384:
	v_mov_b32_e32 v14, 0
	v_cmp_ne_u16_sdwa s[8:9], v11, v14 src0_sel:BYTE_0 src1_sel:DWORD
	s_andn2_b64 s[4:5], s[4:5], exec
	s_and_b64 s[8:9], s[8:9], exec
	s_or_b64 s[4:5], s[4:5], s[8:9]
	s_or_b64 exec, exec, s[6:7]
	s_and_saveexec_b64 s[6:7], s[4:5]
	s_cbranch_execnz .LBB49_335
	s_branch .LBB49_336
.LBB49_2385:
	s_movk_i32 s4, 0x80
	v_cmp_eq_u16_e32 vcc, s4, v11
	s_mov_b64 s[4:5], -1
                                        ; implicit-def: $sgpr10
	s_and_saveexec_b64 s[8:9], vcc
; %bb.2386:
	s_mov_b32 s10, 0x7f800001
	s_xor_b64 s[4:5], exec, -1
; %bb.2387:
	s_or_b64 exec, exec, s[8:9]
	s_and_b64 s[4:5], s[4:5], exec
                                        ; implicit-def: $vgpr11
	s_or_saveexec_b64 s[6:7], s[6:7]
	v_mov_b32_e32 v10, s10
	s_xor_b64 exec, exec, s[6:7]
	s_cbranch_execz .LBB49_338
.LBB49_2388:
	v_cmp_ne_u16_e32 vcc, 0, v11
	s_andn2_b64 s[4:5], s[4:5], exec
	s_and_b64 s[8:9], vcc, exec
	v_mov_b32_e32 v10, 0
	s_or_b64 s[4:5], s[4:5], s[8:9]
	s_or_b64 exec, exec, s[6:7]
	s_and_saveexec_b64 s[6:7], s[4:5]
	s_cbranch_execnz .LBB49_339
	s_branch .LBB49_340
.LBB49_2389:
	s_movk_i32 s4, 0x80
	v_cmp_eq_u16_e32 vcc, s4, v11
	s_mov_b64 s[4:5], -1
                                        ; implicit-def: $sgpr10
	s_and_saveexec_b64 s[8:9], vcc
; %bb.2390:
	s_mov_b32 s10, 0x7f800001
	s_xor_b64 s[4:5], exec, -1
; %bb.2391:
	s_or_b64 exec, exec, s[8:9]
	s_and_b64 s[4:5], s[4:5], exec
                                        ; implicit-def: $vgpr11
	s_or_saveexec_b64 s[6:7], s[6:7]
	v_mov_b32_e32 v14, s10
	s_xor_b64 exec, exec, s[6:7]
	s_cbranch_execz .LBB49_342
.LBB49_2392:
	v_cmp_ne_u16_e32 vcc, 0, v11
	s_andn2_b64 s[4:5], s[4:5], exec
	s_and_b64 s[8:9], vcc, exec
	v_mov_b32_e32 v14, 0
	s_or_b64 s[4:5], s[4:5], s[8:9]
	s_or_b64 exec, exec, s[6:7]
	s_and_saveexec_b64 s[6:7], s[4:5]
	s_cbranch_execnz .LBB49_343
	s_branch .LBB49_344
.LBB49_2393:
	s_movk_i32 s4, 0x80
	v_cmp_eq_u16_sdwa s[12:13], v16, s4 src0_sel:BYTE_3 src1_sel:DWORD
	s_mov_b64 s[4:5], -1
                                        ; implicit-def: $sgpr10
	s_and_saveexec_b64 s[8:9], s[12:13]
; %bb.2394:
	s_mov_b32 s10, 0x7f800001
	s_xor_b64 s[4:5], exec, -1
; %bb.2395:
	s_or_b64 exec, exec, s[8:9]
	s_and_b64 s[4:5], s[4:5], exec
	s_or_saveexec_b64 s[6:7], s[6:7]
	v_mov_b32_e32 v10, s10
	s_xor_b64 exec, exec, s[6:7]
	s_cbranch_execz .LBB49_346
.LBB49_2396:
	v_mov_b32_e32 v10, 0
	v_cmp_ne_u16_sdwa s[8:9], v16, v10 src0_sel:BYTE_3 src1_sel:DWORD
	s_andn2_b64 s[4:5], s[4:5], exec
	s_and_b64 s[8:9], s[8:9], exec
	s_or_b64 s[4:5], s[4:5], s[8:9]
	s_or_b64 exec, exec, s[6:7]
	s_and_saveexec_b64 s[6:7], s[4:5]
	s_cbranch_execnz .LBB49_347
	s_branch .LBB49_348
.LBB49_2397:
	s_movk_i32 s4, 0x80
	v_cmp_eq_u16_sdwa s[12:13], v12, s4 src0_sel:BYTE_3 src1_sel:DWORD
	s_mov_b64 s[4:5], -1
                                        ; implicit-def: $sgpr10
	s_and_saveexec_b64 s[8:9], s[12:13]
; %bb.2398:
	s_mov_b32 s10, 0x7f800001
	s_xor_b64 s[4:5], exec, -1
; %bb.2399:
	s_or_b64 exec, exec, s[8:9]
	s_and_b64 s[4:5], s[4:5], exec
	s_or_saveexec_b64 s[6:7], s[6:7]
	v_mov_b32_e32 v11, s10
	s_xor_b64 exec, exec, s[6:7]
	s_cbranch_execz .LBB49_350
.LBB49_2400:
	v_mov_b32_e32 v11, 0
	v_cmp_ne_u16_sdwa s[8:9], v12, v11 src0_sel:BYTE_3 src1_sel:DWORD
	s_andn2_b64 s[4:5], s[4:5], exec
	s_and_b64 s[8:9], s[8:9], exec
	s_or_b64 s[4:5], s[4:5], s[8:9]
	s_or_b64 exec, exec, s[6:7]
	s_and_saveexec_b64 s[6:7], s[4:5]
	s_cbranch_execnz .LBB49_351
	s_branch .LBB49_352
.LBB49_2401:
	s_movk_i32 s4, 0x80
	v_cmp_eq_u16_sdwa s[12:13], v17, s4 src0_sel:BYTE_0 src1_sel:DWORD
	s_mov_b64 s[4:5], -1
                                        ; implicit-def: $sgpr10
	s_and_saveexec_b64 s[8:9], s[12:13]
; %bb.2402:
	s_mov_b32 s10, 0x7f800001
	s_xor_b64 s[4:5], exec, -1
; %bb.2403:
	s_or_b64 exec, exec, s[8:9]
	s_and_b64 s[4:5], s[4:5], exec
	s_or_saveexec_b64 s[6:7], s[6:7]
	v_mov_b32_e32 v10, s10
	s_xor_b64 exec, exec, s[6:7]
	s_cbranch_execz .LBB49_354
.LBB49_2404:
	v_mov_b32_e32 v10, 0
	v_cmp_ne_u16_sdwa s[8:9], v17, v10 src0_sel:BYTE_0 src1_sel:DWORD
	s_andn2_b64 s[4:5], s[4:5], exec
	s_and_b64 s[8:9], s[8:9], exec
	s_or_b64 s[4:5], s[4:5], s[8:9]
	s_or_b64 exec, exec, s[6:7]
	s_and_saveexec_b64 s[6:7], s[4:5]
	s_cbranch_execnz .LBB49_355
	s_branch .LBB49_356
.LBB49_2405:
	s_movk_i32 s4, 0x80
	v_cmp_eq_u16_sdwa s[12:13], v13, s4 src0_sel:BYTE_0 src1_sel:DWORD
	s_mov_b64 s[4:5], -1
                                        ; implicit-def: $sgpr10
	s_and_saveexec_b64 s[8:9], s[12:13]
; %bb.2406:
	s_mov_b32 s10, 0x7f800001
	s_xor_b64 s[4:5], exec, -1
; %bb.2407:
	s_or_b64 exec, exec, s[8:9]
	s_and_b64 s[4:5], s[4:5], exec
	s_or_saveexec_b64 s[6:7], s[6:7]
	v_mov_b32_e32 v11, s10
	s_xor_b64 exec, exec, s[6:7]
	s_cbranch_execz .LBB49_358
.LBB49_2408:
	v_mov_b32_e32 v11, 0
	v_cmp_ne_u16_sdwa s[8:9], v13, v11 src0_sel:BYTE_0 src1_sel:DWORD
	s_andn2_b64 s[4:5], s[4:5], exec
	s_and_b64 s[8:9], s[8:9], exec
	s_or_b64 s[4:5], s[4:5], s[8:9]
	s_or_b64 exec, exec, s[6:7]
	s_and_saveexec_b64 s[6:7], s[4:5]
	s_cbranch_execnz .LBB49_359
	s_branch .LBB49_360
.LBB49_2409:
	s_movk_i32 s4, 0x80
	v_cmp_eq_u16_sdwa s[12:13], v11, s4 src0_sel:BYTE_0 src1_sel:DWORD
	s_mov_b64 s[4:5], -1
                                        ; implicit-def: $sgpr10
	s_and_saveexec_b64 s[8:9], s[12:13]
; %bb.2410:
	s_mov_b32 s10, 0x7f800001
	s_xor_b64 s[4:5], exec, -1
; %bb.2411:
	s_or_b64 exec, exec, s[8:9]
	s_and_b64 s[4:5], s[4:5], exec
	s_or_saveexec_b64 s[6:7], s[6:7]
	v_mov_b32_e32 v10, s10
	s_xor_b64 exec, exec, s[6:7]
	s_cbranch_execz .LBB49_362
.LBB49_2412:
	v_mov_b32_e32 v10, 0
	v_cmp_ne_u16_sdwa s[8:9], v11, v10 src0_sel:BYTE_0 src1_sel:DWORD
	s_andn2_b64 s[4:5], s[4:5], exec
	s_and_b64 s[8:9], s[8:9], exec
	s_or_b64 s[4:5], s[4:5], s[8:9]
	s_or_b64 exec, exec, s[6:7]
	s_and_saveexec_b64 s[6:7], s[4:5]
	s_cbranch_execnz .LBB49_363
	s_branch .LBB49_364
.LBB49_2413:
	s_movk_i32 s4, 0x80
	v_cmp_eq_u16_sdwa s[12:13], v11, s4 src0_sel:BYTE_0 src1_sel:DWORD
	s_mov_b64 s[4:5], -1
                                        ; implicit-def: $sgpr10
	s_and_saveexec_b64 s[8:9], s[12:13]
; %bb.2414:
	s_mov_b32 s10, 0x7f800001
	s_xor_b64 s[4:5], exec, -1
; %bb.2415:
	s_or_b64 exec, exec, s[8:9]
	s_and_b64 s[4:5], s[4:5], exec
	s_or_saveexec_b64 s[6:7], s[6:7]
	v_mov_b32_e32 v12, s10
	s_xor_b64 exec, exec, s[6:7]
	s_cbranch_execz .LBB49_366
.LBB49_2416:
	v_mov_b32_e32 v12, 0
	v_cmp_ne_u16_sdwa s[8:9], v11, v12 src0_sel:BYTE_0 src1_sel:DWORD
	s_andn2_b64 s[4:5], s[4:5], exec
	s_and_b64 s[8:9], s[8:9], exec
	s_or_b64 s[4:5], s[4:5], s[8:9]
	s_or_b64 exec, exec, s[6:7]
	s_and_saveexec_b64 s[6:7], s[4:5]
	s_cbranch_execnz .LBB49_367
	s_branch .LBB49_368
.LBB49_2417:
	s_movk_i32 s4, 0x80
	v_cmp_eq_u16_e32 vcc, s4, v11
	s_mov_b64 s[4:5], -1
                                        ; implicit-def: $sgpr10
	s_and_saveexec_b64 s[8:9], vcc
; %bb.2418:
	s_mov_b32 s10, 0x7f800001
	s_xor_b64 s[4:5], exec, -1
; %bb.2419:
	s_or_b64 exec, exec, s[8:9]
	s_and_b64 s[4:5], s[4:5], exec
                                        ; implicit-def: $vgpr11
	s_or_saveexec_b64 s[6:7], s[6:7]
	v_mov_b32_e32 v10, s10
	s_xor_b64 exec, exec, s[6:7]
	s_cbranch_execz .LBB49_370
.LBB49_2420:
	v_cmp_ne_u16_e32 vcc, 0, v11
	s_andn2_b64 s[4:5], s[4:5], exec
	s_and_b64 s[8:9], vcc, exec
	v_mov_b32_e32 v10, 0
	s_or_b64 s[4:5], s[4:5], s[8:9]
	s_or_b64 exec, exec, s[6:7]
	s_and_saveexec_b64 s[6:7], s[4:5]
	s_cbranch_execnz .LBB49_371
	s_branch .LBB49_372
.LBB49_2421:
	s_movk_i32 s4, 0x80
	v_cmp_eq_u16_e32 vcc, s4, v11
	s_mov_b64 s[4:5], -1
                                        ; implicit-def: $sgpr10
	s_and_saveexec_b64 s[8:9], vcc
; %bb.2422:
	s_mov_b32 s10, 0x7f800001
	s_xor_b64 s[4:5], exec, -1
; %bb.2423:
	s_or_b64 exec, exec, s[8:9]
	s_and_b64 s[4:5], s[4:5], exec
                                        ; implicit-def: $vgpr11
	s_or_saveexec_b64 s[6:7], s[6:7]
	v_mov_b32_e32 v12, s10
	s_xor_b64 exec, exec, s[6:7]
	s_cbranch_execz .LBB49_374
.LBB49_2424:
	v_cmp_ne_u16_e32 vcc, 0, v11
	s_andn2_b64 s[4:5], s[4:5], exec
	s_and_b64 s[8:9], vcc, exec
	v_mov_b32_e32 v12, 0
	s_or_b64 s[4:5], s[4:5], s[8:9]
	s_or_b64 exec, exec, s[6:7]
	s_and_saveexec_b64 s[6:7], s[4:5]
	s_cbranch_execnz .LBB49_375
	s_branch .LBB49_376
.LBB49_2425:
	s_movk_i32 s4, 0x80
	v_cmp_eq_u16_sdwa s[12:13], v17, s4 src0_sel:BYTE_3 src1_sel:DWORD
	s_mov_b64 s[4:5], -1
                                        ; implicit-def: $sgpr10
	s_and_saveexec_b64 s[8:9], s[12:13]
; %bb.2426:
	s_mov_b32 s10, 0x7f800001
	s_xor_b64 s[4:5], exec, -1
; %bb.2427:
	s_or_b64 exec, exec, s[8:9]
	s_and_b64 s[4:5], s[4:5], exec
	s_or_saveexec_b64 s[6:7], s[6:7]
	v_mov_b32_e32 v10, s10
	s_xor_b64 exec, exec, s[6:7]
	s_cbranch_execz .LBB49_378
.LBB49_2428:
	v_mov_b32_e32 v10, 0
	v_cmp_ne_u16_sdwa s[8:9], v17, v10 src0_sel:BYTE_3 src1_sel:DWORD
	s_andn2_b64 s[4:5], s[4:5], exec
	s_and_b64 s[8:9], s[8:9], exec
	s_or_b64 s[4:5], s[4:5], s[8:9]
	s_or_b64 exec, exec, s[6:7]
	s_and_saveexec_b64 s[6:7], s[4:5]
	s_cbranch_execnz .LBB49_379
	s_branch .LBB49_380
.LBB49_2429:
	s_movk_i32 s4, 0x80
	v_cmp_eq_u16_sdwa s[12:13], v13, s4 src0_sel:BYTE_3 src1_sel:DWORD
	s_mov_b64 s[4:5], -1
                                        ; implicit-def: $sgpr10
	s_and_saveexec_b64 s[8:9], s[12:13]
; %bb.2430:
	s_mov_b32 s10, 0x7f800001
	s_xor_b64 s[4:5], exec, -1
; %bb.2431:
	s_or_b64 exec, exec, s[8:9]
	s_and_b64 s[4:5], s[4:5], exec
	s_or_saveexec_b64 s[6:7], s[6:7]
	v_mov_b32_e32 v11, s10
	s_xor_b64 exec, exec, s[6:7]
	s_cbranch_execz .LBB49_382
.LBB49_2432:
	v_mov_b32_e32 v11, 0
	v_cmp_ne_u16_sdwa s[8:9], v13, v11 src0_sel:BYTE_3 src1_sel:DWORD
	s_andn2_b64 s[4:5], s[4:5], exec
	s_and_b64 s[8:9], s[8:9], exec
	s_or_b64 s[4:5], s[4:5], s[8:9]
	s_or_b64 exec, exec, s[6:7]
	s_and_saveexec_b64 s[6:7], s[4:5]
	s_cbranch_execnz .LBB49_383
	s_branch .LBB49_384
.LBB49_2433:
	s_movk_i32 s4, 0x80
	v_cmp_eq_u16_sdwa s[12:13], v6, s4 src0_sel:BYTE_0 src1_sel:DWORD
	s_mov_b64 s[4:5], -1
                                        ; implicit-def: $sgpr10
	s_and_saveexec_b64 s[8:9], s[12:13]
; %bb.2434:
	s_mov_b32 s10, 0x7f800001
	s_xor_b64 s[4:5], exec, -1
; %bb.2435:
	s_or_b64 exec, exec, s[8:9]
	s_and_b64 s[4:5], s[4:5], exec
	s_or_saveexec_b64 s[6:7], s[6:7]
	v_mov_b32_e32 v10, s10
	s_xor_b64 exec, exec, s[6:7]
	s_cbranch_execz .LBB49_386
.LBB49_2436:
	v_mov_b32_e32 v10, 0
	v_cmp_ne_u16_sdwa s[8:9], v6, v10 src0_sel:BYTE_0 src1_sel:DWORD
	s_andn2_b64 s[4:5], s[4:5], exec
	s_and_b64 s[8:9], s[8:9], exec
	s_or_b64 s[4:5], s[4:5], s[8:9]
	s_or_b64 exec, exec, s[6:7]
	s_and_saveexec_b64 s[6:7], s[4:5]
	s_cbranch_execnz .LBB49_387
	s_branch .LBB49_388
.LBB49_2437:
	s_movk_i32 s4, 0x80
	v_cmp_eq_u16_sdwa s[12:13], v2, s4 src0_sel:BYTE_0 src1_sel:DWORD
	s_mov_b64 s[4:5], -1
                                        ; implicit-def: $sgpr10
	s_and_saveexec_b64 s[8:9], s[12:13]
; %bb.2438:
	s_mov_b32 s10, 0x7f800001
	s_xor_b64 s[4:5], exec, -1
; %bb.2439:
	s_or_b64 exec, exec, s[8:9]
	s_and_b64 s[4:5], s[4:5], exec
	s_or_saveexec_b64 s[6:7], s[6:7]
	v_mov_b32_e32 v11, s10
	s_xor_b64 exec, exec, s[6:7]
	s_cbranch_execz .LBB49_390
.LBB49_2440:
	v_mov_b32_e32 v11, 0
	v_cmp_ne_u16_sdwa s[8:9], v2, v11 src0_sel:BYTE_0 src1_sel:DWORD
	s_andn2_b64 s[4:5], s[4:5], exec
	s_and_b64 s[8:9], s[8:9], exec
	s_or_b64 s[4:5], s[4:5], s[8:9]
	s_or_b64 exec, exec, s[6:7]
	s_and_saveexec_b64 s[6:7], s[4:5]
	s_cbranch_execnz .LBB49_391
	s_branch .LBB49_392
.LBB49_2441:
	s_movk_i32 s4, 0x80
	v_cmp_eq_u16_sdwa s[12:13], v11, s4 src0_sel:BYTE_0 src1_sel:DWORD
	s_mov_b64 s[4:5], -1
                                        ; implicit-def: $sgpr10
	s_and_saveexec_b64 s[8:9], s[12:13]
; %bb.2442:
	s_mov_b32 s10, 0x7f800001
	s_xor_b64 s[4:5], exec, -1
; %bb.2443:
	s_or_b64 exec, exec, s[8:9]
	s_and_b64 s[4:5], s[4:5], exec
	s_or_saveexec_b64 s[6:7], s[6:7]
	v_mov_b32_e32 v10, s10
	s_xor_b64 exec, exec, s[6:7]
	s_cbranch_execz .LBB49_394
.LBB49_2444:
	v_mov_b32_e32 v10, 0
	v_cmp_ne_u16_sdwa s[8:9], v11, v10 src0_sel:BYTE_0 src1_sel:DWORD
	s_andn2_b64 s[4:5], s[4:5], exec
	s_and_b64 s[8:9], s[8:9], exec
	s_or_b64 s[4:5], s[4:5], s[8:9]
	s_or_b64 exec, exec, s[6:7]
	s_and_saveexec_b64 s[6:7], s[4:5]
	s_cbranch_execnz .LBB49_395
	s_branch .LBB49_396
.LBB49_2445:
	s_movk_i32 s4, 0x80
	v_cmp_eq_u16_sdwa s[12:13], v11, s4 src0_sel:BYTE_0 src1_sel:DWORD
	s_mov_b64 s[4:5], -1
                                        ; implicit-def: $sgpr10
	s_and_saveexec_b64 s[8:9], s[12:13]
; %bb.2446:
	s_mov_b32 s10, 0x7f800001
	s_xor_b64 s[4:5], exec, -1
; %bb.2447:
	s_or_b64 exec, exec, s[8:9]
	s_and_b64 s[4:5], s[4:5], exec
	s_or_saveexec_b64 s[6:7], s[6:7]
	v_mov_b32_e32 v12, s10
	s_xor_b64 exec, exec, s[6:7]
	s_cbranch_execz .LBB49_398
.LBB49_2448:
	v_mov_b32_e32 v12, 0
	v_cmp_ne_u16_sdwa s[8:9], v11, v12 src0_sel:BYTE_0 src1_sel:DWORD
	s_andn2_b64 s[4:5], s[4:5], exec
	s_and_b64 s[8:9], s[8:9], exec
	s_or_b64 s[4:5], s[4:5], s[8:9]
	s_or_b64 exec, exec, s[6:7]
	s_and_saveexec_b64 s[6:7], s[4:5]
	s_cbranch_execnz .LBB49_399
	s_branch .LBB49_400
.LBB49_2449:
	s_movk_i32 s4, 0x80
	v_cmp_eq_u16_e32 vcc, s4, v11
	s_mov_b64 s[4:5], -1
                                        ; implicit-def: $sgpr10
	s_and_saveexec_b64 s[8:9], vcc
; %bb.2450:
	s_mov_b32 s10, 0x7f800001
	s_xor_b64 s[4:5], exec, -1
; %bb.2451:
	s_or_b64 exec, exec, s[8:9]
	s_and_b64 s[4:5], s[4:5], exec
                                        ; implicit-def: $vgpr11
	s_or_saveexec_b64 s[6:7], s[6:7]
	v_mov_b32_e32 v10, s10
	s_xor_b64 exec, exec, s[6:7]
	s_cbranch_execz .LBB49_402
.LBB49_2452:
	v_cmp_ne_u16_e32 vcc, 0, v11
	s_andn2_b64 s[4:5], s[4:5], exec
	s_and_b64 s[8:9], vcc, exec
	v_mov_b32_e32 v10, 0
	s_or_b64 s[4:5], s[4:5], s[8:9]
	s_or_b64 exec, exec, s[6:7]
	s_and_saveexec_b64 s[6:7], s[4:5]
	s_cbranch_execnz .LBB49_403
	s_branch .LBB49_404
.LBB49_2453:
	s_movk_i32 s4, 0x80
	v_cmp_eq_u16_e32 vcc, s4, v11
	s_mov_b64 s[4:5], -1
                                        ; implicit-def: $sgpr10
	s_and_saveexec_b64 s[8:9], vcc
; %bb.2454:
	s_mov_b32 s10, 0x7f800001
	s_xor_b64 s[4:5], exec, -1
; %bb.2455:
	s_or_b64 exec, exec, s[8:9]
	s_and_b64 s[4:5], s[4:5], exec
                                        ; implicit-def: $vgpr11
	s_or_saveexec_b64 s[6:7], s[6:7]
	v_mov_b32_e32 v12, s10
	s_xor_b64 exec, exec, s[6:7]
	s_cbranch_execz .LBB49_406
.LBB49_2456:
	v_cmp_ne_u16_e32 vcc, 0, v11
	s_andn2_b64 s[4:5], s[4:5], exec
	s_and_b64 s[8:9], vcc, exec
	v_mov_b32_e32 v12, 0
	s_or_b64 s[4:5], s[4:5], s[8:9]
	s_or_b64 exec, exec, s[6:7]
	s_and_saveexec_b64 s[6:7], s[4:5]
	s_cbranch_execnz .LBB49_407
	s_branch .LBB49_408
.LBB49_2457:
	s_movk_i32 s4, 0x80
	v_cmp_eq_u16_sdwa s[12:13], v6, s4 src0_sel:BYTE_3 src1_sel:DWORD
	s_mov_b64 s[4:5], -1
                                        ; implicit-def: $sgpr10
	s_and_saveexec_b64 s[8:9], s[12:13]
; %bb.2458:
	s_mov_b32 s10, 0x7f800001
	s_xor_b64 s[4:5], exec, -1
; %bb.2459:
	s_or_b64 exec, exec, s[8:9]
	s_and_b64 s[4:5], s[4:5], exec
	s_or_saveexec_b64 s[6:7], s[6:7]
	v_mov_b32_e32 v10, s10
	s_xor_b64 exec, exec, s[6:7]
	s_cbranch_execz .LBB49_410
.LBB49_2460:
	v_mov_b32_e32 v10, 0
	v_cmp_ne_u16_sdwa s[8:9], v6, v10 src0_sel:BYTE_3 src1_sel:DWORD
	s_andn2_b64 s[4:5], s[4:5], exec
	s_and_b64 s[8:9], s[8:9], exec
	s_or_b64 s[4:5], s[4:5], s[8:9]
	s_or_b64 exec, exec, s[6:7]
	s_and_saveexec_b64 s[6:7], s[4:5]
	s_cbranch_execnz .LBB49_411
	s_branch .LBB49_412
.LBB49_2461:
	s_movk_i32 s4, 0x80
	v_cmp_eq_u16_sdwa s[12:13], v2, s4 src0_sel:BYTE_3 src1_sel:DWORD
	s_mov_b64 s[4:5], -1
                                        ; implicit-def: $sgpr10
	s_and_saveexec_b64 s[8:9], s[12:13]
; %bb.2462:
	s_mov_b32 s10, 0x7f800001
	s_xor_b64 s[4:5], exec, -1
; %bb.2463:
	s_or_b64 exec, exec, s[8:9]
	s_and_b64 s[4:5], s[4:5], exec
	s_or_saveexec_b64 s[6:7], s[6:7]
	v_mov_b32_e32 v6, s10
	s_xor_b64 exec, exec, s[6:7]
	s_cbranch_execz .LBB49_414
.LBB49_2464:
	v_mov_b32_e32 v6, 0
	v_cmp_ne_u16_sdwa s[8:9], v2, v6 src0_sel:BYTE_3 src1_sel:DWORD
	s_andn2_b64 s[4:5], s[4:5], exec
	s_and_b64 s[8:9], s[8:9], exec
	s_or_b64 s[4:5], s[4:5], s[8:9]
	s_or_b64 exec, exec, s[6:7]
	s_and_saveexec_b64 s[6:7], s[4:5]
	s_cbranch_execnz .LBB49_415
	s_branch .LBB49_416
.LBB49_2465:
	s_movk_i32 s4, 0x80
	v_cmp_eq_u16_sdwa s[12:13], v7, s4 src0_sel:BYTE_0 src1_sel:DWORD
	s_mov_b64 s[4:5], -1
                                        ; implicit-def: $sgpr10
	s_and_saveexec_b64 s[8:9], s[12:13]
; %bb.2466:
	s_mov_b32 s10, 0x7f800001
	s_xor_b64 s[4:5], exec, -1
; %bb.2467:
	s_or_b64 exec, exec, s[8:9]
	s_and_b64 s[4:5], s[4:5], exec
	s_or_saveexec_b64 s[6:7], s[6:7]
	v_mov_b32_e32 v2, s10
	s_xor_b64 exec, exec, s[6:7]
	s_cbranch_execz .LBB49_418
.LBB49_2468:
	v_mov_b32_e32 v2, 0
	v_cmp_ne_u16_sdwa s[8:9], v7, v2 src0_sel:BYTE_0 src1_sel:DWORD
	s_andn2_b64 s[4:5], s[4:5], exec
	s_and_b64 s[8:9], s[8:9], exec
	s_or_b64 s[4:5], s[4:5], s[8:9]
	s_or_b64 exec, exec, s[6:7]
	s_and_saveexec_b64 s[6:7], s[4:5]
	s_cbranch_execnz .LBB49_419
	s_branch .LBB49_420
.LBB49_2469:
	s_movk_i32 s4, 0x80
	v_cmp_eq_u16_sdwa s[12:13], v3, s4 src0_sel:BYTE_0 src1_sel:DWORD
	s_mov_b64 s[4:5], -1
                                        ; implicit-def: $sgpr10
	s_and_saveexec_b64 s[8:9], s[12:13]
; %bb.2470:
	s_mov_b32 s10, 0x7f800001
	s_xor_b64 s[4:5], exec, -1
; %bb.2471:
	s_or_b64 exec, exec, s[8:9]
	s_and_b64 s[4:5], s[4:5], exec
	s_or_saveexec_b64 s[6:7], s[6:7]
	v_mov_b32_e32 v6, s10
	s_xor_b64 exec, exec, s[6:7]
	s_cbranch_execz .LBB49_422
.LBB49_2472:
	v_mov_b32_e32 v6, 0
	v_cmp_ne_u16_sdwa s[8:9], v3, v6 src0_sel:BYTE_0 src1_sel:DWORD
	s_andn2_b64 s[4:5], s[4:5], exec
	s_and_b64 s[8:9], s[8:9], exec
	s_or_b64 s[4:5], s[4:5], s[8:9]
	s_or_b64 exec, exec, s[6:7]
	s_and_saveexec_b64 s[6:7], s[4:5]
	s_cbranch_execnz .LBB49_423
	s_branch .LBB49_424
.LBB49_2473:
	s_movk_i32 s4, 0x80
	v_cmp_eq_u16_sdwa s[12:13], v6, s4 src0_sel:BYTE_0 src1_sel:DWORD
	s_mov_b64 s[4:5], -1
                                        ; implicit-def: $sgpr10
	s_and_saveexec_b64 s[8:9], s[12:13]
; %bb.2474:
	s_mov_b32 s10, 0x7f800001
	s_xor_b64 s[4:5], exec, -1
; %bb.2475:
	s_or_b64 exec, exec, s[8:9]
	s_and_b64 s[4:5], s[4:5], exec
	s_or_saveexec_b64 s[6:7], s[6:7]
	v_mov_b32_e32 v2, s10
	s_xor_b64 exec, exec, s[6:7]
	s_cbranch_execz .LBB49_426
.LBB49_2476:
	v_mov_b32_e32 v2, 0
	v_cmp_ne_u16_sdwa s[8:9], v6, v2 src0_sel:BYTE_0 src1_sel:DWORD
	s_andn2_b64 s[4:5], s[4:5], exec
	s_and_b64 s[8:9], s[8:9], exec
	s_or_b64 s[4:5], s[4:5], s[8:9]
	s_or_b64 exec, exec, s[6:7]
	s_and_saveexec_b64 s[6:7], s[4:5]
	s_cbranch_execnz .LBB49_427
	s_branch .LBB49_428
.LBB49_2477:
	s_movk_i32 s4, 0x80
	v_cmp_eq_u16_sdwa s[12:13], v6, s4 src0_sel:BYTE_0 src1_sel:DWORD
	s_mov_b64 s[4:5], -1
                                        ; implicit-def: $sgpr10
	s_and_saveexec_b64 s[8:9], s[12:13]
; %bb.2478:
	s_mov_b32 s10, 0x7f800001
	s_xor_b64 s[4:5], exec, -1
; %bb.2479:
	s_or_b64 exec, exec, s[8:9]
	s_and_b64 s[4:5], s[4:5], exec
	s_or_saveexec_b64 s[6:7], s[6:7]
	v_mov_b32_e32 v10, s10
	s_xor_b64 exec, exec, s[6:7]
	s_cbranch_execz .LBB49_430
.LBB49_2480:
	v_mov_b32_e32 v10, 0
	v_cmp_ne_u16_sdwa s[8:9], v6, v10 src0_sel:BYTE_0 src1_sel:DWORD
	s_andn2_b64 s[4:5], s[4:5], exec
	s_and_b64 s[8:9], s[8:9], exec
	s_or_b64 s[4:5], s[4:5], s[8:9]
	s_or_b64 exec, exec, s[6:7]
	s_and_saveexec_b64 s[6:7], s[4:5]
	s_cbranch_execnz .LBB49_431
	s_branch .LBB49_432
.LBB49_2481:
	s_movk_i32 s4, 0x80
	v_cmp_eq_u16_e32 vcc, s4, v6
	s_mov_b64 s[4:5], -1
                                        ; implicit-def: $sgpr10
	s_and_saveexec_b64 s[8:9], vcc
; %bb.2482:
	s_mov_b32 s10, 0x7f800001
	s_xor_b64 s[4:5], exec, -1
; %bb.2483:
	s_or_b64 exec, exec, s[8:9]
	s_and_b64 s[4:5], s[4:5], exec
                                        ; implicit-def: $vgpr6
	s_or_saveexec_b64 s[6:7], s[6:7]
	v_mov_b32_e32 v2, s10
	s_xor_b64 exec, exec, s[6:7]
	s_cbranch_execz .LBB49_434
.LBB49_2484:
	v_cmp_ne_u16_e32 vcc, 0, v6
	s_andn2_b64 s[4:5], s[4:5], exec
	s_and_b64 s[8:9], vcc, exec
	v_mov_b32_e32 v2, 0
	s_or_b64 s[4:5], s[4:5], s[8:9]
	s_or_b64 exec, exec, s[6:7]
	s_and_saveexec_b64 s[6:7], s[4:5]
	s_cbranch_execnz .LBB49_435
	s_branch .LBB49_436
.LBB49_2485:
	s_movk_i32 s4, 0x80
	v_cmp_eq_u16_e32 vcc, s4, v6
	s_mov_b64 s[4:5], -1
                                        ; implicit-def: $sgpr10
	s_and_saveexec_b64 s[8:9], vcc
; %bb.2486:
	s_mov_b32 s10, 0x7f800001
	s_xor_b64 s[4:5], exec, -1
; %bb.2487:
	s_or_b64 exec, exec, s[8:9]
	s_and_b64 s[4:5], s[4:5], exec
                                        ; implicit-def: $vgpr6
	s_or_saveexec_b64 s[6:7], s[6:7]
	v_mov_b32_e32 v10, s10
	s_xor_b64 exec, exec, s[6:7]
	s_cbranch_execz .LBB49_438
.LBB49_2488:
	v_cmp_ne_u16_e32 vcc, 0, v6
	s_andn2_b64 s[4:5], s[4:5], exec
	s_and_b64 s[8:9], vcc, exec
	v_mov_b32_e32 v10, 0
	s_or_b64 s[4:5], s[4:5], s[8:9]
	s_or_b64 exec, exec, s[6:7]
	s_and_saveexec_b64 s[6:7], s[4:5]
	s_cbranch_execnz .LBB49_439
	s_branch .LBB49_440
.LBB49_2489:
	s_movk_i32 s4, 0x80
	v_cmp_eq_u16_sdwa s[12:13], v7, s4 src0_sel:BYTE_3 src1_sel:DWORD
	s_mov_b64 s[4:5], -1
                                        ; implicit-def: $sgpr10
	s_and_saveexec_b64 s[8:9], s[12:13]
; %bb.2490:
	s_mov_b32 s10, 0x7f800001
	s_xor_b64 s[4:5], exec, -1
; %bb.2491:
	s_or_b64 exec, exec, s[8:9]
	s_and_b64 s[4:5], s[4:5], exec
	s_or_saveexec_b64 s[6:7], s[6:7]
	v_mov_b32_e32 v2, s10
	s_xor_b64 exec, exec, s[6:7]
	s_cbranch_execz .LBB49_442
.LBB49_2492:
	v_mov_b32_e32 v2, 0
	v_cmp_ne_u16_sdwa s[8:9], v7, v2 src0_sel:BYTE_3 src1_sel:DWORD
	s_andn2_b64 s[4:5], s[4:5], exec
	s_and_b64 s[8:9], s[8:9], exec
	s_or_b64 s[4:5], s[4:5], s[8:9]
	s_or_b64 exec, exec, s[6:7]
	s_and_saveexec_b64 s[6:7], s[4:5]
	s_cbranch_execnz .LBB49_443
	s_branch .LBB49_444
.LBB49_2493:
	s_movk_i32 s4, 0x80
	v_cmp_eq_u16_sdwa s[12:13], v3, s4 src0_sel:BYTE_3 src1_sel:DWORD
	s_mov_b64 s[4:5], -1
                                        ; implicit-def: $sgpr10
	s_and_saveexec_b64 s[8:9], s[12:13]
; %bb.2494:
	s_mov_b32 s10, 0x7f800001
	s_xor_b64 s[4:5], exec, -1
; %bb.2495:
	s_or_b64 exec, exec, s[8:9]
	s_and_b64 s[4:5], s[4:5], exec
	s_or_saveexec_b64 s[6:7], s[6:7]
	v_mov_b32_e32 v6, s10
	s_xor_b64 exec, exec, s[6:7]
	s_cbranch_execz .LBB49_446
.LBB49_2496:
	v_mov_b32_e32 v6, 0
	v_cmp_ne_u16_sdwa s[8:9], v3, v6 src0_sel:BYTE_3 src1_sel:DWORD
	s_andn2_b64 s[4:5], s[4:5], exec
	s_and_b64 s[8:9], s[8:9], exec
	s_or_b64 s[4:5], s[4:5], s[8:9]
	s_or_b64 exec, exec, s[6:7]
	s_and_saveexec_b64 s[6:7], s[4:5]
	s_cbranch_execnz .LBB49_447
	s_branch .LBB49_448
.LBB49_2497:
	s_movk_i32 s4, 0x80
	v_cmp_eq_u16_sdwa s[12:13], v8, s4 src0_sel:BYTE_0 src1_sel:DWORD
	s_mov_b64 s[4:5], -1
                                        ; implicit-def: $sgpr10
	s_and_saveexec_b64 s[8:9], s[12:13]
; %bb.2498:
	s_mov_b32 s10, 0x7f800001
	s_xor_b64 s[4:5], exec, -1
; %bb.2499:
	s_or_b64 exec, exec, s[8:9]
	s_and_b64 s[4:5], s[4:5], exec
	s_or_saveexec_b64 s[6:7], s[6:7]
	v_mov_b32_e32 v2, s10
	s_xor_b64 exec, exec, s[6:7]
	s_cbranch_execz .LBB49_450
.LBB49_2500:
	v_mov_b32_e32 v2, 0
	v_cmp_ne_u16_sdwa s[8:9], v8, v2 src0_sel:BYTE_0 src1_sel:DWORD
	s_andn2_b64 s[4:5], s[4:5], exec
	s_and_b64 s[8:9], s[8:9], exec
	s_or_b64 s[4:5], s[4:5], s[8:9]
	s_or_b64 exec, exec, s[6:7]
	s_and_saveexec_b64 s[6:7], s[4:5]
	s_cbranch_execnz .LBB49_451
	s_branch .LBB49_452
.LBB49_2501:
	s_movk_i32 s4, 0x80
	v_cmp_eq_u16_sdwa s[12:13], v4, s4 src0_sel:BYTE_0 src1_sel:DWORD
	s_mov_b64 s[4:5], -1
                                        ; implicit-def: $sgpr10
	s_and_saveexec_b64 s[8:9], s[12:13]
; %bb.2502:
	s_mov_b32 s10, 0x7f800001
	s_xor_b64 s[4:5], exec, -1
; %bb.2503:
	s_or_b64 exec, exec, s[8:9]
	s_and_b64 s[4:5], s[4:5], exec
	s_or_saveexec_b64 s[6:7], s[6:7]
	v_mov_b32_e32 v3, s10
	s_xor_b64 exec, exec, s[6:7]
	s_cbranch_execz .LBB49_454
.LBB49_2504:
	v_mov_b32_e32 v3, 0
	v_cmp_ne_u16_sdwa s[8:9], v4, v3 src0_sel:BYTE_0 src1_sel:DWORD
	s_andn2_b64 s[4:5], s[4:5], exec
	s_and_b64 s[8:9], s[8:9], exec
	s_or_b64 s[4:5], s[4:5], s[8:9]
	s_or_b64 exec, exec, s[6:7]
	s_and_saveexec_b64 s[6:7], s[4:5]
	s_cbranch_execnz .LBB49_455
	s_branch .LBB49_456
.LBB49_2505:
	s_movk_i32 s4, 0x80
	v_cmp_eq_u16_sdwa s[12:13], v3, s4 src0_sel:BYTE_0 src1_sel:DWORD
	s_mov_b64 s[4:5], -1
                                        ; implicit-def: $sgpr10
	s_and_saveexec_b64 s[8:9], s[12:13]
; %bb.2506:
	s_mov_b32 s10, 0x7f800001
	s_xor_b64 s[4:5], exec, -1
; %bb.2507:
	s_or_b64 exec, exec, s[8:9]
	s_and_b64 s[4:5], s[4:5], exec
	s_or_saveexec_b64 s[6:7], s[6:7]
	v_mov_b32_e32 v2, s10
	s_xor_b64 exec, exec, s[6:7]
	s_cbranch_execz .LBB49_458
.LBB49_2508:
	v_mov_b32_e32 v2, 0
	v_cmp_ne_u16_sdwa s[8:9], v3, v2 src0_sel:BYTE_0 src1_sel:DWORD
	s_andn2_b64 s[4:5], s[4:5], exec
	s_and_b64 s[8:9], s[8:9], exec
	s_or_b64 s[4:5], s[4:5], s[8:9]
	s_or_b64 exec, exec, s[6:7]
	s_and_saveexec_b64 s[6:7], s[4:5]
	s_cbranch_execnz .LBB49_459
	s_branch .LBB49_460
.LBB49_2509:
	s_movk_i32 s4, 0x80
	v_cmp_eq_u16_sdwa s[12:13], v3, s4 src0_sel:BYTE_0 src1_sel:DWORD
	s_mov_b64 s[4:5], -1
                                        ; implicit-def: $sgpr10
	s_and_saveexec_b64 s[8:9], s[12:13]
; %bb.2510:
	s_mov_b32 s10, 0x7f800001
	s_xor_b64 s[4:5], exec, -1
; %bb.2511:
	s_or_b64 exec, exec, s[8:9]
	s_and_b64 s[4:5], s[4:5], exec
	s_or_saveexec_b64 s[6:7], s[6:7]
	v_mov_b32_e32 v6, s10
	s_xor_b64 exec, exec, s[6:7]
	s_cbranch_execz .LBB49_462
.LBB49_2512:
	v_mov_b32_e32 v6, 0
	v_cmp_ne_u16_sdwa s[8:9], v3, v6 src0_sel:BYTE_0 src1_sel:DWORD
	s_andn2_b64 s[4:5], s[4:5], exec
	s_and_b64 s[8:9], s[8:9], exec
	s_or_b64 s[4:5], s[4:5], s[8:9]
	s_or_b64 exec, exec, s[6:7]
	s_and_saveexec_b64 s[6:7], s[4:5]
	s_cbranch_execnz .LBB49_463
	s_branch .LBB49_464
.LBB49_2513:
	s_movk_i32 s4, 0x80
	v_cmp_eq_u16_e32 vcc, s4, v3
	s_mov_b64 s[4:5], -1
                                        ; implicit-def: $sgpr10
	s_and_saveexec_b64 s[8:9], vcc
; %bb.2514:
	s_mov_b32 s10, 0x7f800001
	s_xor_b64 s[4:5], exec, -1
; %bb.2515:
	s_or_b64 exec, exec, s[8:9]
	s_and_b64 s[4:5], s[4:5], exec
                                        ; implicit-def: $vgpr3
	s_or_saveexec_b64 s[6:7], s[6:7]
	v_mov_b32_e32 v2, s10
	s_xor_b64 exec, exec, s[6:7]
	s_cbranch_execz .LBB49_466
.LBB49_2516:
	v_cmp_ne_u16_e32 vcc, 0, v3
	s_andn2_b64 s[4:5], s[4:5], exec
	s_and_b64 s[8:9], vcc, exec
	v_mov_b32_e32 v2, 0
	s_or_b64 s[4:5], s[4:5], s[8:9]
	s_or_b64 exec, exec, s[6:7]
	s_and_saveexec_b64 s[6:7], s[4:5]
	s_cbranch_execnz .LBB49_467
	s_branch .LBB49_468
.LBB49_2517:
	s_movk_i32 s4, 0x80
	v_cmp_eq_u16_e32 vcc, s4, v3
	s_mov_b64 s[4:5], -1
                                        ; implicit-def: $sgpr10
	s_and_saveexec_b64 s[8:9], vcc
; %bb.2518:
	s_mov_b32 s10, 0x7f800001
	s_xor_b64 s[4:5], exec, -1
; %bb.2519:
	s_or_b64 exec, exec, s[8:9]
	s_and_b64 s[4:5], s[4:5], exec
                                        ; implicit-def: $vgpr3
	s_or_saveexec_b64 s[6:7], s[6:7]
	v_mov_b32_e32 v6, s10
	s_xor_b64 exec, exec, s[6:7]
	s_cbranch_execz .LBB49_470
.LBB49_2520:
	v_cmp_ne_u16_e32 vcc, 0, v3
	s_andn2_b64 s[4:5], s[4:5], exec
	s_and_b64 s[8:9], vcc, exec
	v_mov_b32_e32 v6, 0
	s_or_b64 s[4:5], s[4:5], s[8:9]
	s_or_b64 exec, exec, s[6:7]
	s_and_saveexec_b64 s[6:7], s[4:5]
	s_cbranch_execnz .LBB49_471
	s_branch .LBB49_472
.LBB49_2521:
	s_movk_i32 s4, 0x80
	v_cmp_eq_u16_sdwa s[12:13], v8, s4 src0_sel:BYTE_3 src1_sel:DWORD
	s_mov_b64 s[4:5], -1
                                        ; implicit-def: $sgpr10
	s_and_saveexec_b64 s[8:9], s[12:13]
; %bb.2522:
	s_mov_b32 s10, 0x7f800001
	s_xor_b64 s[4:5], exec, -1
; %bb.2523:
	s_or_b64 exec, exec, s[8:9]
	s_and_b64 s[4:5], s[4:5], exec
	s_or_saveexec_b64 s[6:7], s[6:7]
	v_mov_b32_e32 v2, s10
	s_xor_b64 exec, exec, s[6:7]
	s_cbranch_execz .LBB49_474
.LBB49_2524:
	v_mov_b32_e32 v2, 0
	v_cmp_ne_u16_sdwa s[8:9], v8, v2 src0_sel:BYTE_3 src1_sel:DWORD
	s_andn2_b64 s[4:5], s[4:5], exec
	s_and_b64 s[8:9], s[8:9], exec
	s_or_b64 s[4:5], s[4:5], s[8:9]
	s_or_b64 exec, exec, s[6:7]
	s_and_saveexec_b64 s[6:7], s[4:5]
	s_cbranch_execnz .LBB49_475
	s_branch .LBB49_476
.LBB49_2525:
	s_movk_i32 s4, 0x80
	v_cmp_eq_u16_sdwa s[12:13], v4, s4 src0_sel:BYTE_3 src1_sel:DWORD
	s_mov_b64 s[4:5], -1
                                        ; implicit-def: $sgpr10
	s_and_saveexec_b64 s[8:9], s[12:13]
; %bb.2526:
	s_mov_b32 s10, 0x7f800001
	s_xor_b64 s[4:5], exec, -1
; %bb.2527:
	s_or_b64 exec, exec, s[8:9]
	s_and_b64 s[4:5], s[4:5], exec
	s_or_saveexec_b64 s[6:7], s[6:7]
	v_mov_b32_e32 v3, s10
	s_xor_b64 exec, exec, s[6:7]
	s_cbranch_execz .LBB49_478
.LBB49_2528:
	v_mov_b32_e32 v3, 0
	v_cmp_ne_u16_sdwa s[8:9], v4, v3 src0_sel:BYTE_3 src1_sel:DWORD
	s_andn2_b64 s[4:5], s[4:5], exec
	s_and_b64 s[8:9], s[8:9], exec
	s_or_b64 s[4:5], s[4:5], s[8:9]
	s_or_b64 exec, exec, s[6:7]
	s_and_saveexec_b64 s[6:7], s[4:5]
	s_cbranch_execnz .LBB49_479
	s_branch .LBB49_480
.LBB49_2529:
	s_movk_i32 s4, 0x80
	v_cmp_eq_u16_sdwa s[12:13], v9, s4 src0_sel:BYTE_0 src1_sel:DWORD
	s_mov_b64 s[4:5], -1
                                        ; implicit-def: $sgpr10
	s_and_saveexec_b64 s[8:9], s[12:13]
; %bb.2530:
	s_mov_b32 s10, 0x7f800001
	s_xor_b64 s[4:5], exec, -1
; %bb.2531:
	s_or_b64 exec, exec, s[8:9]
	s_and_b64 s[4:5], s[4:5], exec
	s_or_saveexec_b64 s[6:7], s[6:7]
	v_mov_b32_e32 v2, s10
	s_xor_b64 exec, exec, s[6:7]
	s_cbranch_execz .LBB49_482
.LBB49_2532:
	v_mov_b32_e32 v2, 0
	v_cmp_ne_u16_sdwa s[8:9], v9, v2 src0_sel:BYTE_0 src1_sel:DWORD
	s_andn2_b64 s[4:5], s[4:5], exec
	s_and_b64 s[8:9], s[8:9], exec
	s_or_b64 s[4:5], s[4:5], s[8:9]
	s_or_b64 exec, exec, s[6:7]
	s_and_saveexec_b64 s[6:7], s[4:5]
	s_cbranch_execnz .LBB49_483
	s_branch .LBB49_484
.LBB49_2533:
	s_movk_i32 s4, 0x80
	v_cmp_eq_u16_sdwa s[12:13], v5, s4 src0_sel:BYTE_0 src1_sel:DWORD
	s_mov_b64 s[4:5], -1
                                        ; implicit-def: $sgpr10
	s_and_saveexec_b64 s[8:9], s[12:13]
; %bb.2534:
	s_mov_b32 s10, 0x7f800001
	s_xor_b64 s[4:5], exec, -1
; %bb.2535:
	s_or_b64 exec, exec, s[8:9]
	s_and_b64 s[4:5], s[4:5], exec
	s_or_saveexec_b64 s[6:7], s[6:7]
	v_mov_b32_e32 v3, s10
	s_xor_b64 exec, exec, s[6:7]
	s_cbranch_execz .LBB49_486
.LBB49_2536:
	v_mov_b32_e32 v3, 0
	v_cmp_ne_u16_sdwa s[8:9], v5, v3 src0_sel:BYTE_0 src1_sel:DWORD
	s_andn2_b64 s[4:5], s[4:5], exec
	s_and_b64 s[8:9], s[8:9], exec
	s_or_b64 s[4:5], s[4:5], s[8:9]
	s_or_b64 exec, exec, s[6:7]
	s_and_saveexec_b64 s[6:7], s[4:5]
	s_cbranch_execnz .LBB49_487
	s_branch .LBB49_488
.LBB49_2537:
	s_movk_i32 s4, 0x80
	v_cmp_eq_u16_sdwa s[12:13], v3, s4 src0_sel:BYTE_0 src1_sel:DWORD
	s_mov_b64 s[4:5], -1
                                        ; implicit-def: $sgpr10
	s_and_saveexec_b64 s[8:9], s[12:13]
; %bb.2538:
	s_mov_b32 s10, 0x7f800001
	s_xor_b64 s[4:5], exec, -1
; %bb.2539:
	s_or_b64 exec, exec, s[8:9]
	s_and_b64 s[4:5], s[4:5], exec
	s_or_saveexec_b64 s[6:7], s[6:7]
	v_mov_b32_e32 v2, s10
	s_xor_b64 exec, exec, s[6:7]
	s_cbranch_execz .LBB49_490
.LBB49_2540:
	v_mov_b32_e32 v2, 0
	v_cmp_ne_u16_sdwa s[8:9], v3, v2 src0_sel:BYTE_0 src1_sel:DWORD
	s_andn2_b64 s[4:5], s[4:5], exec
	s_and_b64 s[8:9], s[8:9], exec
	s_or_b64 s[4:5], s[4:5], s[8:9]
	s_or_b64 exec, exec, s[6:7]
	s_and_saveexec_b64 s[6:7], s[4:5]
	s_cbranch_execnz .LBB49_491
	s_branch .LBB49_492
.LBB49_2541:
	s_movk_i32 s4, 0x80
	v_cmp_eq_u16_sdwa s[12:13], v3, s4 src0_sel:BYTE_0 src1_sel:DWORD
	s_mov_b64 s[4:5], -1
                                        ; implicit-def: $sgpr10
	s_and_saveexec_b64 s[8:9], s[12:13]
; %bb.2542:
	s_mov_b32 s10, 0x7f800001
	s_xor_b64 s[4:5], exec, -1
; %bb.2543:
	s_or_b64 exec, exec, s[8:9]
	s_and_b64 s[4:5], s[4:5], exec
	s_or_saveexec_b64 s[6:7], s[6:7]
	v_mov_b32_e32 v4, s10
	s_xor_b64 exec, exec, s[6:7]
	s_cbranch_execz .LBB49_494
.LBB49_2544:
	v_mov_b32_e32 v4, 0
	v_cmp_ne_u16_sdwa s[8:9], v3, v4 src0_sel:BYTE_0 src1_sel:DWORD
	s_andn2_b64 s[4:5], s[4:5], exec
	s_and_b64 s[8:9], s[8:9], exec
	s_or_b64 s[4:5], s[4:5], s[8:9]
	s_or_b64 exec, exec, s[6:7]
	s_and_saveexec_b64 s[6:7], s[4:5]
	s_cbranch_execnz .LBB49_495
	s_branch .LBB49_496
.LBB49_2545:
	s_movk_i32 s4, 0x80
	v_cmp_eq_u16_e32 vcc, s4, v3
	s_mov_b64 s[4:5], -1
                                        ; implicit-def: $sgpr10
	s_and_saveexec_b64 s[8:9], vcc
; %bb.2546:
	s_mov_b32 s10, 0x7f800001
	s_xor_b64 s[4:5], exec, -1
; %bb.2547:
	s_or_b64 exec, exec, s[8:9]
	s_and_b64 s[4:5], s[4:5], exec
                                        ; implicit-def: $vgpr3
	s_or_saveexec_b64 s[6:7], s[6:7]
	v_mov_b32_e32 v2, s10
	s_xor_b64 exec, exec, s[6:7]
	s_cbranch_execz .LBB49_498
.LBB49_2548:
	v_cmp_ne_u16_e32 vcc, 0, v3
	s_andn2_b64 s[4:5], s[4:5], exec
	s_and_b64 s[8:9], vcc, exec
	v_mov_b32_e32 v2, 0
	s_or_b64 s[4:5], s[4:5], s[8:9]
	s_or_b64 exec, exec, s[6:7]
	s_and_saveexec_b64 s[6:7], s[4:5]
	s_cbranch_execnz .LBB49_499
	s_branch .LBB49_500
.LBB49_2549:
	s_movk_i32 s4, 0x80
	v_cmp_eq_u16_e32 vcc, s4, v3
	s_mov_b64 s[4:5], -1
                                        ; implicit-def: $sgpr10
	s_and_saveexec_b64 s[8:9], vcc
; %bb.2550:
	s_mov_b32 s10, 0x7f800001
	s_xor_b64 s[4:5], exec, -1
; %bb.2551:
	s_or_b64 exec, exec, s[8:9]
	s_and_b64 s[4:5], s[4:5], exec
                                        ; implicit-def: $vgpr3
	s_or_saveexec_b64 s[6:7], s[6:7]
	v_mov_b32_e32 v4, s10
	s_xor_b64 exec, exec, s[6:7]
	s_cbranch_execz .LBB49_502
.LBB49_2552:
	v_cmp_ne_u16_e32 vcc, 0, v3
	s_andn2_b64 s[4:5], s[4:5], exec
	s_and_b64 s[8:9], vcc, exec
	v_mov_b32_e32 v4, 0
	s_or_b64 s[4:5], s[4:5], s[8:9]
	s_or_b64 exec, exec, s[6:7]
	s_and_saveexec_b64 s[6:7], s[4:5]
	s_cbranch_execnz .LBB49_503
	s_branch .LBB49_504
.LBB49_2553:
	s_movk_i32 s4, 0x80
	v_cmp_eq_u16_sdwa s[12:13], v9, s4 src0_sel:BYTE_3 src1_sel:DWORD
	s_mov_b64 s[4:5], -1
                                        ; implicit-def: $sgpr10
	s_and_saveexec_b64 s[8:9], s[12:13]
; %bb.2554:
	s_mov_b32 s10, 0x7f800001
	s_xor_b64 s[4:5], exec, -1
; %bb.2555:
	s_or_b64 exec, exec, s[8:9]
	s_and_b64 s[4:5], s[4:5], exec
	s_or_saveexec_b64 s[6:7], s[6:7]
	v_mov_b32_e32 v2, s10
	s_xor_b64 exec, exec, s[6:7]
	s_cbranch_execz .LBB49_506
.LBB49_2556:
	v_mov_b32_e32 v2, 0
	v_cmp_ne_u16_sdwa s[8:9], v9, v2 src0_sel:BYTE_3 src1_sel:DWORD
	s_andn2_b64 s[4:5], s[4:5], exec
	s_and_b64 s[8:9], s[8:9], exec
	s_or_b64 s[4:5], s[4:5], s[8:9]
	s_or_b64 exec, exec, s[6:7]
	s_and_saveexec_b64 s[6:7], s[4:5]
	s_cbranch_execnz .LBB49_507
	s_branch .LBB49_508
.LBB49_2557:
	s_movk_i32 s4, 0x80
	v_cmp_eq_u16_sdwa s[12:13], v5, s4 src0_sel:BYTE_3 src1_sel:DWORD
	s_mov_b64 s[4:5], -1
                                        ; implicit-def: $sgpr10
	s_and_saveexec_b64 s[8:9], s[12:13]
; %bb.2558:
	s_mov_b32 s10, 0x7f800001
	s_xor_b64 s[4:5], exec, -1
; %bb.2559:
	s_or_b64 exec, exec, s[8:9]
	s_and_b64 s[4:5], s[4:5], exec
	s_or_saveexec_b64 s[6:7], s[6:7]
	v_mov_b32_e32 v3, s10
	s_xor_b64 exec, exec, s[6:7]
	s_cbranch_execz .LBB49_510
.LBB49_2560:
	v_mov_b32_e32 v3, 0
	v_cmp_ne_u16_sdwa s[8:9], v5, v3 src0_sel:BYTE_3 src1_sel:DWORD
	s_andn2_b64 s[4:5], s[4:5], exec
	s_and_b64 s[8:9], s[8:9], exec
	s_or_b64 s[4:5], s[4:5], s[8:9]
	s_or_b64 exec, exec, s[6:7]
	s_and_saveexec_b64 s[6:7], s[4:5]
	s_cbranch_execnz .LBB49_511
	s_branch .LBB49_512
.LBB49_2561:
	s_movk_i32 s4, 0x80
	v_cmp_eq_u16_sdwa s[12:13], v14, s4 src0_sel:BYTE_0 src1_sel:DWORD
	s_mov_b64 s[4:5], -1
                                        ; implicit-def: $sgpr10
	s_and_saveexec_b64 s[8:9], s[12:13]
; %bb.2562:
	s_mov_b32 s10, 0x7f800001
	s_xor_b64 s[4:5], exec, -1
; %bb.2563:
	s_or_b64 exec, exec, s[8:9]
	s_and_b64 s[4:5], s[4:5], exec
	s_or_saveexec_b64 s[6:7], s[6:7]
	v_mov_b32_e32 v20, s10
	s_xor_b64 exec, exec, s[6:7]
	s_cbranch_execz .LBB49_514
.LBB49_2564:
	v_mov_b32_e32 v20, 0
	v_cmp_ne_u16_sdwa s[8:9], v14, v20 src0_sel:BYTE_0 src1_sel:DWORD
	s_andn2_b64 s[4:5], s[4:5], exec
	s_and_b64 s[8:9], s[8:9], exec
	s_or_b64 s[4:5], s[4:5], s[8:9]
	s_or_b64 exec, exec, s[6:7]
	s_and_saveexec_b64 s[6:7], s[4:5]
	s_cbranch_execnz .LBB49_515
	s_branch .LBB49_516
.LBB49_2565:
	s_movk_i32 s4, 0x80
	v_cmp_eq_u16_sdwa s[12:13], v10, s4 src0_sel:BYTE_0 src1_sel:DWORD
	s_mov_b64 s[4:5], -1
                                        ; implicit-def: $sgpr10
	s_and_saveexec_b64 s[8:9], s[12:13]
; %bb.2566:
	s_mov_b32 s10, 0x7f800001
	s_xor_b64 s[4:5], exec, -1
; %bb.2567:
	s_or_b64 exec, exec, s[8:9]
	s_and_b64 s[4:5], s[4:5], exec
	s_or_saveexec_b64 s[6:7], s[6:7]
	v_mov_b32_e32 v21, s10
	s_xor_b64 exec, exec, s[6:7]
	s_cbranch_execz .LBB49_518
.LBB49_2568:
	v_mov_b32_e32 v21, 0
	v_cmp_ne_u16_sdwa s[8:9], v10, v21 src0_sel:BYTE_0 src1_sel:DWORD
	s_andn2_b64 s[4:5], s[4:5], exec
	s_and_b64 s[8:9], s[8:9], exec
	s_or_b64 s[4:5], s[4:5], s[8:9]
	s_or_b64 exec, exec, s[6:7]
	s_and_saveexec_b64 s[6:7], s[4:5]
	s_cbranch_execnz .LBB49_519
	s_branch .LBB49_520
.LBB49_2569:
	s_movk_i32 s4, 0x80
	v_cmp_eq_u16_sdwa s[12:13], v21, s4 src0_sel:BYTE_0 src1_sel:DWORD
	s_mov_b64 s[4:5], -1
                                        ; implicit-def: $sgpr10
	s_and_saveexec_b64 s[8:9], s[12:13]
; %bb.2570:
	s_mov_b32 s10, 0x7f800001
	s_xor_b64 s[4:5], exec, -1
; %bb.2571:
	s_or_b64 exec, exec, s[8:9]
	s_and_b64 s[4:5], s[4:5], exec
	s_or_saveexec_b64 s[6:7], s[6:7]
	v_mov_b32_e32 v20, s10
	s_xor_b64 exec, exec, s[6:7]
	s_cbranch_execz .LBB49_522
.LBB49_2572:
	v_mov_b32_e32 v20, 0
	v_cmp_ne_u16_sdwa s[8:9], v21, v20 src0_sel:BYTE_0 src1_sel:DWORD
	s_andn2_b64 s[4:5], s[4:5], exec
	s_and_b64 s[8:9], s[8:9], exec
	s_or_b64 s[4:5], s[4:5], s[8:9]
	s_or_b64 exec, exec, s[6:7]
	s_and_saveexec_b64 s[6:7], s[4:5]
	s_cbranch_execnz .LBB49_523
	s_branch .LBB49_524
.LBB49_2573:
	s_movk_i32 s4, 0x80
	v_cmp_eq_u16_sdwa s[12:13], v21, s4 src0_sel:BYTE_0 src1_sel:DWORD
	s_mov_b64 s[4:5], -1
                                        ; implicit-def: $sgpr10
	s_and_saveexec_b64 s[8:9], s[12:13]
; %bb.2574:
	s_mov_b32 s10, 0x7f800001
	s_xor_b64 s[4:5], exec, -1
; %bb.2575:
	s_or_b64 exec, exec, s[8:9]
	s_and_b64 s[4:5], s[4:5], exec
	s_or_saveexec_b64 s[6:7], s[6:7]
	v_mov_b32_e32 v22, s10
	s_xor_b64 exec, exec, s[6:7]
	s_cbranch_execz .LBB49_526
.LBB49_2576:
	v_mov_b32_e32 v22, 0
	v_cmp_ne_u16_sdwa s[8:9], v21, v22 src0_sel:BYTE_0 src1_sel:DWORD
	s_andn2_b64 s[4:5], s[4:5], exec
	s_and_b64 s[8:9], s[8:9], exec
	s_or_b64 s[4:5], s[4:5], s[8:9]
	s_or_b64 exec, exec, s[6:7]
	s_and_saveexec_b64 s[6:7], s[4:5]
	s_cbranch_execnz .LBB49_527
	s_branch .LBB49_528
.LBB49_2577:
	s_movk_i32 s4, 0x80
	v_cmp_eq_u16_e32 vcc, s4, v21
	s_mov_b64 s[4:5], -1
                                        ; implicit-def: $sgpr10
	s_and_saveexec_b64 s[8:9], vcc
; %bb.2578:
	s_mov_b32 s10, 0x7f800001
	s_xor_b64 s[4:5], exec, -1
; %bb.2579:
	s_or_b64 exec, exec, s[8:9]
	s_and_b64 s[4:5], s[4:5], exec
                                        ; implicit-def: $vgpr21
	s_or_saveexec_b64 s[6:7], s[6:7]
	v_mov_b32_e32 v20, s10
	s_xor_b64 exec, exec, s[6:7]
	s_cbranch_execz .LBB49_530
.LBB49_2580:
	v_cmp_ne_u16_e32 vcc, 0, v21
	s_andn2_b64 s[4:5], s[4:5], exec
	s_and_b64 s[8:9], vcc, exec
	v_mov_b32_e32 v20, 0
	s_or_b64 s[4:5], s[4:5], s[8:9]
	s_or_b64 exec, exec, s[6:7]
	s_and_saveexec_b64 s[6:7], s[4:5]
	s_cbranch_execnz .LBB49_531
	s_branch .LBB49_532
.LBB49_2581:
	s_movk_i32 s4, 0x80
	v_cmp_eq_u16_e32 vcc, s4, v21
	s_mov_b64 s[4:5], -1
                                        ; implicit-def: $sgpr10
	s_and_saveexec_b64 s[8:9], vcc
; %bb.2582:
	s_mov_b32 s10, 0x7f800001
	s_xor_b64 s[4:5], exec, -1
; %bb.2583:
	s_or_b64 exec, exec, s[8:9]
	s_and_b64 s[4:5], s[4:5], exec
                                        ; implicit-def: $vgpr21
	s_or_saveexec_b64 s[6:7], s[6:7]
	v_mov_b32_e32 v22, s10
	s_xor_b64 exec, exec, s[6:7]
	s_cbranch_execz .LBB49_534
.LBB49_2584:
	v_cmp_ne_u16_e32 vcc, 0, v21
	s_andn2_b64 s[4:5], s[4:5], exec
	s_and_b64 s[8:9], vcc, exec
	v_mov_b32_e32 v22, 0
	s_or_b64 s[4:5], s[4:5], s[8:9]
	s_or_b64 exec, exec, s[6:7]
	s_and_saveexec_b64 s[6:7], s[4:5]
	s_cbranch_execnz .LBB49_535
	s_branch .LBB49_536
.LBB49_2585:
	s_movk_i32 s4, 0x80
	v_cmp_eq_u16_sdwa s[12:13], v14, s4 src0_sel:BYTE_3 src1_sel:DWORD
	s_mov_b64 s[4:5], -1
                                        ; implicit-def: $sgpr10
	s_and_saveexec_b64 s[8:9], s[12:13]
; %bb.2586:
	s_mov_b32 s10, 0x7f800001
	s_xor_b64 s[4:5], exec, -1
; %bb.2587:
	s_or_b64 exec, exec, s[8:9]
	s_and_b64 s[4:5], s[4:5], exec
	s_or_saveexec_b64 s[6:7], s[6:7]
	v_mov_b32_e32 v20, s10
	s_xor_b64 exec, exec, s[6:7]
	s_cbranch_execz .LBB49_538
.LBB49_2588:
	v_mov_b32_e32 v20, 0
	v_cmp_ne_u16_sdwa s[8:9], v14, v20 src0_sel:BYTE_3 src1_sel:DWORD
	s_andn2_b64 s[4:5], s[4:5], exec
	s_and_b64 s[8:9], s[8:9], exec
	s_or_b64 s[4:5], s[4:5], s[8:9]
	s_or_b64 exec, exec, s[6:7]
	s_and_saveexec_b64 s[6:7], s[4:5]
	s_cbranch_execnz .LBB49_539
	s_branch .LBB49_540
.LBB49_2589:
	s_movk_i32 s4, 0x80
	v_cmp_eq_u16_sdwa s[12:13], v10, s4 src0_sel:BYTE_3 src1_sel:DWORD
	s_mov_b64 s[4:5], -1
                                        ; implicit-def: $sgpr10
	s_and_saveexec_b64 s[8:9], s[12:13]
; %bb.2590:
	s_mov_b32 s10, 0x7f800001
	s_xor_b64 s[4:5], exec, -1
; %bb.2591:
	s_or_b64 exec, exec, s[8:9]
	s_and_b64 s[4:5], s[4:5], exec
	s_or_saveexec_b64 s[6:7], s[6:7]
	v_mov_b32_e32 v14, s10
	s_xor_b64 exec, exec, s[6:7]
	s_cbranch_execz .LBB49_542
.LBB49_2592:
	v_mov_b32_e32 v14, 0
	v_cmp_ne_u16_sdwa s[8:9], v10, v14 src0_sel:BYTE_3 src1_sel:DWORD
	s_andn2_b64 s[4:5], s[4:5], exec
	s_and_b64 s[8:9], s[8:9], exec
	s_or_b64 s[4:5], s[4:5], s[8:9]
	s_or_b64 exec, exec, s[6:7]
	s_and_saveexec_b64 s[6:7], s[4:5]
	s_cbranch_execnz .LBB49_543
	s_branch .LBB49_544
.LBB49_2593:
	s_movk_i32 s4, 0x80
	v_cmp_eq_u16_sdwa s[12:13], v15, s4 src0_sel:BYTE_0 src1_sel:DWORD
	s_mov_b64 s[4:5], -1
                                        ; implicit-def: $sgpr10
	s_and_saveexec_b64 s[8:9], s[12:13]
; %bb.2594:
	s_mov_b32 s10, 0x7f800001
	s_xor_b64 s[4:5], exec, -1
; %bb.2595:
	s_or_b64 exec, exec, s[8:9]
	s_and_b64 s[4:5], s[4:5], exec
	s_or_saveexec_b64 s[6:7], s[6:7]
	v_mov_b32_e32 v10, s10
	s_xor_b64 exec, exec, s[6:7]
	s_cbranch_execz .LBB49_546
.LBB49_2596:
	v_mov_b32_e32 v10, 0
	v_cmp_ne_u16_sdwa s[8:9], v15, v10 src0_sel:BYTE_0 src1_sel:DWORD
	s_andn2_b64 s[4:5], s[4:5], exec
	s_and_b64 s[8:9], s[8:9], exec
	s_or_b64 s[4:5], s[4:5], s[8:9]
	s_or_b64 exec, exec, s[6:7]
	s_and_saveexec_b64 s[6:7], s[4:5]
	s_cbranch_execnz .LBB49_547
	s_branch .LBB49_548
.LBB49_2597:
	s_movk_i32 s4, 0x80
	v_cmp_eq_u16_sdwa s[12:13], v11, s4 src0_sel:BYTE_0 src1_sel:DWORD
	s_mov_b64 s[4:5], -1
                                        ; implicit-def: $sgpr10
	s_and_saveexec_b64 s[8:9], s[12:13]
; %bb.2598:
	s_mov_b32 s10, 0x7f800001
	s_xor_b64 s[4:5], exec, -1
; %bb.2599:
	s_or_b64 exec, exec, s[8:9]
	s_and_b64 s[4:5], s[4:5], exec
	s_or_saveexec_b64 s[6:7], s[6:7]
	v_mov_b32_e32 v14, s10
	s_xor_b64 exec, exec, s[6:7]
	s_cbranch_execz .LBB49_550
.LBB49_2600:
	v_mov_b32_e32 v14, 0
	v_cmp_ne_u16_sdwa s[8:9], v11, v14 src0_sel:BYTE_0 src1_sel:DWORD
	s_andn2_b64 s[4:5], s[4:5], exec
	s_and_b64 s[8:9], s[8:9], exec
	s_or_b64 s[4:5], s[4:5], s[8:9]
	s_or_b64 exec, exec, s[6:7]
	s_and_saveexec_b64 s[6:7], s[4:5]
	s_cbranch_execnz .LBB49_551
	s_branch .LBB49_552
.LBB49_2601:
	s_movk_i32 s4, 0x80
	v_cmp_eq_u16_sdwa s[12:13], v14, s4 src0_sel:BYTE_0 src1_sel:DWORD
	s_mov_b64 s[4:5], -1
                                        ; implicit-def: $sgpr10
	s_and_saveexec_b64 s[8:9], s[12:13]
; %bb.2602:
	s_mov_b32 s10, 0x7f800001
	s_xor_b64 s[4:5], exec, -1
; %bb.2603:
	s_or_b64 exec, exec, s[8:9]
	s_and_b64 s[4:5], s[4:5], exec
	s_or_saveexec_b64 s[6:7], s[6:7]
	v_mov_b32_e32 v10, s10
	s_xor_b64 exec, exec, s[6:7]
	s_cbranch_execz .LBB49_554
.LBB49_2604:
	v_mov_b32_e32 v10, 0
	v_cmp_ne_u16_sdwa s[8:9], v14, v10 src0_sel:BYTE_0 src1_sel:DWORD
	s_andn2_b64 s[4:5], s[4:5], exec
	s_and_b64 s[8:9], s[8:9], exec
	s_or_b64 s[4:5], s[4:5], s[8:9]
	s_or_b64 exec, exec, s[6:7]
	s_and_saveexec_b64 s[6:7], s[4:5]
	s_cbranch_execnz .LBB49_555
	s_branch .LBB49_556
.LBB49_2605:
	s_movk_i32 s4, 0x80
	v_cmp_eq_u16_sdwa s[12:13], v14, s4 src0_sel:BYTE_0 src1_sel:DWORD
	s_mov_b64 s[4:5], -1
                                        ; implicit-def: $sgpr10
	s_and_saveexec_b64 s[8:9], s[12:13]
; %bb.2606:
	s_mov_b32 s10, 0x7f800001
	s_xor_b64 s[4:5], exec, -1
; %bb.2607:
	s_or_b64 exec, exec, s[8:9]
	s_and_b64 s[4:5], s[4:5], exec
	s_or_saveexec_b64 s[6:7], s[6:7]
	v_mov_b32_e32 v20, s10
	s_xor_b64 exec, exec, s[6:7]
	s_cbranch_execz .LBB49_558
.LBB49_2608:
	v_mov_b32_e32 v20, 0
	v_cmp_ne_u16_sdwa s[8:9], v14, v20 src0_sel:BYTE_0 src1_sel:DWORD
	s_andn2_b64 s[4:5], s[4:5], exec
	s_and_b64 s[8:9], s[8:9], exec
	s_or_b64 s[4:5], s[4:5], s[8:9]
	s_or_b64 exec, exec, s[6:7]
	s_and_saveexec_b64 s[6:7], s[4:5]
	s_cbranch_execnz .LBB49_559
	s_branch .LBB49_560
.LBB49_2609:
	s_movk_i32 s4, 0x80
	v_cmp_eq_u16_e32 vcc, s4, v14
	s_mov_b64 s[4:5], -1
                                        ; implicit-def: $sgpr10
	s_and_saveexec_b64 s[8:9], vcc
; %bb.2610:
	s_mov_b32 s10, 0x7f800001
	s_xor_b64 s[4:5], exec, -1
; %bb.2611:
	s_or_b64 exec, exec, s[8:9]
	s_and_b64 s[4:5], s[4:5], exec
                                        ; implicit-def: $vgpr14
	s_or_saveexec_b64 s[6:7], s[6:7]
	v_mov_b32_e32 v10, s10
	s_xor_b64 exec, exec, s[6:7]
	s_cbranch_execz .LBB49_562
.LBB49_2612:
	v_cmp_ne_u16_e32 vcc, 0, v14
	s_andn2_b64 s[4:5], s[4:5], exec
	s_and_b64 s[8:9], vcc, exec
	v_mov_b32_e32 v10, 0
	s_or_b64 s[4:5], s[4:5], s[8:9]
	s_or_b64 exec, exec, s[6:7]
	s_and_saveexec_b64 s[6:7], s[4:5]
	s_cbranch_execnz .LBB49_563
	s_branch .LBB49_564
.LBB49_2613:
	s_movk_i32 s4, 0x80
	v_cmp_eq_u16_e32 vcc, s4, v14
	s_mov_b64 s[4:5], -1
                                        ; implicit-def: $sgpr10
	s_and_saveexec_b64 s[8:9], vcc
; %bb.2614:
	s_mov_b32 s10, 0x7f800001
	s_xor_b64 s[4:5], exec, -1
; %bb.2615:
	s_or_b64 exec, exec, s[8:9]
	s_and_b64 s[4:5], s[4:5], exec
                                        ; implicit-def: $vgpr14
	s_or_saveexec_b64 s[6:7], s[6:7]
	v_mov_b32_e32 v20, s10
	s_xor_b64 exec, exec, s[6:7]
	s_cbranch_execz .LBB49_566
.LBB49_2616:
	v_cmp_ne_u16_e32 vcc, 0, v14
	s_andn2_b64 s[4:5], s[4:5], exec
	s_and_b64 s[8:9], vcc, exec
	v_mov_b32_e32 v20, 0
	s_or_b64 s[4:5], s[4:5], s[8:9]
	s_or_b64 exec, exec, s[6:7]
	s_and_saveexec_b64 s[6:7], s[4:5]
	s_cbranch_execnz .LBB49_567
	s_branch .LBB49_568
.LBB49_2617:
	s_movk_i32 s4, 0x80
	v_cmp_eq_u16_sdwa s[12:13], v15, s4 src0_sel:BYTE_3 src1_sel:DWORD
	s_mov_b64 s[4:5], -1
                                        ; implicit-def: $sgpr10
	s_and_saveexec_b64 s[8:9], s[12:13]
; %bb.2618:
	s_mov_b32 s10, 0x7f800001
	s_xor_b64 s[4:5], exec, -1
; %bb.2619:
	s_or_b64 exec, exec, s[8:9]
	s_and_b64 s[4:5], s[4:5], exec
	s_or_saveexec_b64 s[6:7], s[6:7]
	v_mov_b32_e32 v10, s10
	s_xor_b64 exec, exec, s[6:7]
	s_cbranch_execz .LBB49_570
.LBB49_2620:
	v_mov_b32_e32 v10, 0
	v_cmp_ne_u16_sdwa s[8:9], v15, v10 src0_sel:BYTE_3 src1_sel:DWORD
	s_andn2_b64 s[4:5], s[4:5], exec
	s_and_b64 s[8:9], s[8:9], exec
	s_or_b64 s[4:5], s[4:5], s[8:9]
	s_or_b64 exec, exec, s[6:7]
	s_and_saveexec_b64 s[6:7], s[4:5]
	s_cbranch_execnz .LBB49_571
	s_branch .LBB49_572
.LBB49_2621:
	s_movk_i32 s4, 0x80
	v_cmp_eq_u16_sdwa s[12:13], v11, s4 src0_sel:BYTE_3 src1_sel:DWORD
	s_mov_b64 s[4:5], -1
                                        ; implicit-def: $sgpr10
	s_and_saveexec_b64 s[8:9], s[12:13]
; %bb.2622:
	s_mov_b32 s10, 0x7f800001
	s_xor_b64 s[4:5], exec, -1
; %bb.2623:
	s_or_b64 exec, exec, s[8:9]
	s_and_b64 s[4:5], s[4:5], exec
	s_or_saveexec_b64 s[6:7], s[6:7]
	v_mov_b32_e32 v14, s10
	s_xor_b64 exec, exec, s[6:7]
	s_cbranch_execz .LBB49_574
.LBB49_2624:
	v_mov_b32_e32 v14, 0
	v_cmp_ne_u16_sdwa s[8:9], v11, v14 src0_sel:BYTE_3 src1_sel:DWORD
	s_andn2_b64 s[4:5], s[4:5], exec
	s_and_b64 s[8:9], s[8:9], exec
	s_or_b64 s[4:5], s[4:5], s[8:9]
	s_or_b64 exec, exec, s[6:7]
	s_and_saveexec_b64 s[6:7], s[4:5]
	s_cbranch_execnz .LBB49_575
	s_branch .LBB49_576
.LBB49_2625:
	s_movk_i32 s4, 0x80
	v_cmp_eq_u16_sdwa s[12:13], v16, s4 src0_sel:BYTE_0 src1_sel:DWORD
	s_mov_b64 s[4:5], -1
                                        ; implicit-def: $sgpr10
	s_and_saveexec_b64 s[8:9], s[12:13]
; %bb.2626:
	s_mov_b32 s10, 0x7f800001
	s_xor_b64 s[4:5], exec, -1
; %bb.2627:
	s_or_b64 exec, exec, s[8:9]
	s_and_b64 s[4:5], s[4:5], exec
	s_or_saveexec_b64 s[6:7], s[6:7]
	v_mov_b32_e32 v10, s10
	s_xor_b64 exec, exec, s[6:7]
	s_cbranch_execz .LBB49_578
.LBB49_2628:
	v_mov_b32_e32 v10, 0
	v_cmp_ne_u16_sdwa s[8:9], v16, v10 src0_sel:BYTE_0 src1_sel:DWORD
	s_andn2_b64 s[4:5], s[4:5], exec
	s_and_b64 s[8:9], s[8:9], exec
	s_or_b64 s[4:5], s[4:5], s[8:9]
	s_or_b64 exec, exec, s[6:7]
	s_and_saveexec_b64 s[6:7], s[4:5]
	s_cbranch_execnz .LBB49_579
	s_branch .LBB49_580
.LBB49_2629:
	s_movk_i32 s4, 0x80
	v_cmp_eq_u16_sdwa s[12:13], v12, s4 src0_sel:BYTE_0 src1_sel:DWORD
	s_mov_b64 s[4:5], -1
                                        ; implicit-def: $sgpr10
	s_and_saveexec_b64 s[8:9], s[12:13]
; %bb.2630:
	s_mov_b32 s10, 0x7f800001
	s_xor_b64 s[4:5], exec, -1
; %bb.2631:
	s_or_b64 exec, exec, s[8:9]
	s_and_b64 s[4:5], s[4:5], exec
	s_or_saveexec_b64 s[6:7], s[6:7]
	v_mov_b32_e32 v11, s10
	s_xor_b64 exec, exec, s[6:7]
	s_cbranch_execz .LBB49_582
.LBB49_2632:
	v_mov_b32_e32 v11, 0
	v_cmp_ne_u16_sdwa s[8:9], v12, v11 src0_sel:BYTE_0 src1_sel:DWORD
	s_andn2_b64 s[4:5], s[4:5], exec
	s_and_b64 s[8:9], s[8:9], exec
	s_or_b64 s[4:5], s[4:5], s[8:9]
	s_or_b64 exec, exec, s[6:7]
	s_and_saveexec_b64 s[6:7], s[4:5]
	s_cbranch_execnz .LBB49_583
	s_branch .LBB49_584
.LBB49_2633:
	s_movk_i32 s4, 0x80
	v_cmp_eq_u16_sdwa s[12:13], v11, s4 src0_sel:BYTE_0 src1_sel:DWORD
	s_mov_b64 s[4:5], -1
                                        ; implicit-def: $sgpr10
	s_and_saveexec_b64 s[8:9], s[12:13]
; %bb.2634:
	s_mov_b32 s10, 0x7f800001
	s_xor_b64 s[4:5], exec, -1
; %bb.2635:
	s_or_b64 exec, exec, s[8:9]
	s_and_b64 s[4:5], s[4:5], exec
	s_or_saveexec_b64 s[6:7], s[6:7]
	v_mov_b32_e32 v10, s10
	s_xor_b64 exec, exec, s[6:7]
	s_cbranch_execz .LBB49_586
.LBB49_2636:
	v_mov_b32_e32 v10, 0
	v_cmp_ne_u16_sdwa s[8:9], v11, v10 src0_sel:BYTE_0 src1_sel:DWORD
	s_andn2_b64 s[4:5], s[4:5], exec
	s_and_b64 s[8:9], s[8:9], exec
	s_or_b64 s[4:5], s[4:5], s[8:9]
	s_or_b64 exec, exec, s[6:7]
	s_and_saveexec_b64 s[6:7], s[4:5]
	s_cbranch_execnz .LBB49_587
	s_branch .LBB49_588
.LBB49_2637:
	s_movk_i32 s4, 0x80
	v_cmp_eq_u16_sdwa s[12:13], v11, s4 src0_sel:BYTE_0 src1_sel:DWORD
	s_mov_b64 s[4:5], -1
                                        ; implicit-def: $sgpr10
	s_and_saveexec_b64 s[8:9], s[12:13]
; %bb.2638:
	s_mov_b32 s10, 0x7f800001
	s_xor_b64 s[4:5], exec, -1
; %bb.2639:
	s_or_b64 exec, exec, s[8:9]
	s_and_b64 s[4:5], s[4:5], exec
	s_or_saveexec_b64 s[6:7], s[6:7]
	v_mov_b32_e32 v14, s10
	s_xor_b64 exec, exec, s[6:7]
	s_cbranch_execz .LBB49_590
.LBB49_2640:
	v_mov_b32_e32 v14, 0
	v_cmp_ne_u16_sdwa s[8:9], v11, v14 src0_sel:BYTE_0 src1_sel:DWORD
	s_andn2_b64 s[4:5], s[4:5], exec
	s_and_b64 s[8:9], s[8:9], exec
	s_or_b64 s[4:5], s[4:5], s[8:9]
	s_or_b64 exec, exec, s[6:7]
	s_and_saveexec_b64 s[6:7], s[4:5]
	s_cbranch_execnz .LBB49_591
	s_branch .LBB49_592
.LBB49_2641:
	s_movk_i32 s4, 0x80
	v_cmp_eq_u16_e32 vcc, s4, v11
	s_mov_b64 s[4:5], -1
                                        ; implicit-def: $sgpr10
	s_and_saveexec_b64 s[8:9], vcc
; %bb.2642:
	s_mov_b32 s10, 0x7f800001
	s_xor_b64 s[4:5], exec, -1
; %bb.2643:
	s_or_b64 exec, exec, s[8:9]
	s_and_b64 s[4:5], s[4:5], exec
                                        ; implicit-def: $vgpr11
	s_or_saveexec_b64 s[6:7], s[6:7]
	v_mov_b32_e32 v10, s10
	s_xor_b64 exec, exec, s[6:7]
	s_cbranch_execz .LBB49_594
.LBB49_2644:
	v_cmp_ne_u16_e32 vcc, 0, v11
	s_andn2_b64 s[4:5], s[4:5], exec
	s_and_b64 s[8:9], vcc, exec
	v_mov_b32_e32 v10, 0
	s_or_b64 s[4:5], s[4:5], s[8:9]
	s_or_b64 exec, exec, s[6:7]
	s_and_saveexec_b64 s[6:7], s[4:5]
	s_cbranch_execnz .LBB49_595
	s_branch .LBB49_596
.LBB49_2645:
	s_movk_i32 s4, 0x80
	v_cmp_eq_u16_e32 vcc, s4, v11
	s_mov_b64 s[4:5], -1
                                        ; implicit-def: $sgpr10
	s_and_saveexec_b64 s[8:9], vcc
; %bb.2646:
	s_mov_b32 s10, 0x7f800001
	s_xor_b64 s[4:5], exec, -1
; %bb.2647:
	s_or_b64 exec, exec, s[8:9]
	s_and_b64 s[4:5], s[4:5], exec
                                        ; implicit-def: $vgpr11
	s_or_saveexec_b64 s[6:7], s[6:7]
	v_mov_b32_e32 v14, s10
	s_xor_b64 exec, exec, s[6:7]
	s_cbranch_execz .LBB49_598
.LBB49_2648:
	v_cmp_ne_u16_e32 vcc, 0, v11
	s_andn2_b64 s[4:5], s[4:5], exec
	s_and_b64 s[8:9], vcc, exec
	v_mov_b32_e32 v14, 0
	s_or_b64 s[4:5], s[4:5], s[8:9]
	s_or_b64 exec, exec, s[6:7]
	s_and_saveexec_b64 s[6:7], s[4:5]
	s_cbranch_execnz .LBB49_599
	s_branch .LBB49_600
.LBB49_2649:
	s_movk_i32 s4, 0x80
	v_cmp_eq_u16_sdwa s[12:13], v16, s4 src0_sel:BYTE_3 src1_sel:DWORD
	s_mov_b64 s[4:5], -1
                                        ; implicit-def: $sgpr10
	s_and_saveexec_b64 s[8:9], s[12:13]
; %bb.2650:
	s_mov_b32 s10, 0x7f800001
	s_xor_b64 s[4:5], exec, -1
; %bb.2651:
	s_or_b64 exec, exec, s[8:9]
	s_and_b64 s[4:5], s[4:5], exec
	s_or_saveexec_b64 s[6:7], s[6:7]
	v_mov_b32_e32 v10, s10
	s_xor_b64 exec, exec, s[6:7]
	s_cbranch_execz .LBB49_602
.LBB49_2652:
	v_mov_b32_e32 v10, 0
	v_cmp_ne_u16_sdwa s[8:9], v16, v10 src0_sel:BYTE_3 src1_sel:DWORD
	s_andn2_b64 s[4:5], s[4:5], exec
	s_and_b64 s[8:9], s[8:9], exec
	s_or_b64 s[4:5], s[4:5], s[8:9]
	s_or_b64 exec, exec, s[6:7]
	s_and_saveexec_b64 s[6:7], s[4:5]
	s_cbranch_execnz .LBB49_603
	s_branch .LBB49_604
.LBB49_2653:
	s_movk_i32 s4, 0x80
	v_cmp_eq_u16_sdwa s[12:13], v12, s4 src0_sel:BYTE_3 src1_sel:DWORD
	s_mov_b64 s[4:5], -1
                                        ; implicit-def: $sgpr10
	s_and_saveexec_b64 s[8:9], s[12:13]
; %bb.2654:
	s_mov_b32 s10, 0x7f800001
	s_xor_b64 s[4:5], exec, -1
; %bb.2655:
	s_or_b64 exec, exec, s[8:9]
	s_and_b64 s[4:5], s[4:5], exec
	s_or_saveexec_b64 s[6:7], s[6:7]
	v_mov_b32_e32 v11, s10
	s_xor_b64 exec, exec, s[6:7]
	s_cbranch_execz .LBB49_606
.LBB49_2656:
	v_mov_b32_e32 v11, 0
	v_cmp_ne_u16_sdwa s[8:9], v12, v11 src0_sel:BYTE_3 src1_sel:DWORD
	s_andn2_b64 s[4:5], s[4:5], exec
	s_and_b64 s[8:9], s[8:9], exec
	s_or_b64 s[4:5], s[4:5], s[8:9]
	s_or_b64 exec, exec, s[6:7]
	s_and_saveexec_b64 s[6:7], s[4:5]
	s_cbranch_execnz .LBB49_607
	s_branch .LBB49_608
.LBB49_2657:
	s_movk_i32 s4, 0x80
	v_cmp_eq_u16_sdwa s[12:13], v17, s4 src0_sel:BYTE_0 src1_sel:DWORD
	s_mov_b64 s[4:5], -1
                                        ; implicit-def: $sgpr10
	s_and_saveexec_b64 s[8:9], s[12:13]
; %bb.2658:
	s_mov_b32 s10, 0x7f800001
	s_xor_b64 s[4:5], exec, -1
; %bb.2659:
	s_or_b64 exec, exec, s[8:9]
	s_and_b64 s[4:5], s[4:5], exec
	s_or_saveexec_b64 s[6:7], s[6:7]
	v_mov_b32_e32 v10, s10
	s_xor_b64 exec, exec, s[6:7]
	s_cbranch_execz .LBB49_610
.LBB49_2660:
	v_mov_b32_e32 v10, 0
	v_cmp_ne_u16_sdwa s[8:9], v17, v10 src0_sel:BYTE_0 src1_sel:DWORD
	s_andn2_b64 s[4:5], s[4:5], exec
	s_and_b64 s[8:9], s[8:9], exec
	s_or_b64 s[4:5], s[4:5], s[8:9]
	s_or_b64 exec, exec, s[6:7]
	s_and_saveexec_b64 s[6:7], s[4:5]
	s_cbranch_execnz .LBB49_611
	s_branch .LBB49_612
.LBB49_2661:
	s_movk_i32 s4, 0x80
	v_cmp_eq_u16_sdwa s[12:13], v13, s4 src0_sel:BYTE_0 src1_sel:DWORD
	s_mov_b64 s[4:5], -1
                                        ; implicit-def: $sgpr10
	s_and_saveexec_b64 s[8:9], s[12:13]
; %bb.2662:
	s_mov_b32 s10, 0x7f800001
	s_xor_b64 s[4:5], exec, -1
; %bb.2663:
	s_or_b64 exec, exec, s[8:9]
	s_and_b64 s[4:5], s[4:5], exec
	s_or_saveexec_b64 s[6:7], s[6:7]
	v_mov_b32_e32 v11, s10
	s_xor_b64 exec, exec, s[6:7]
	s_cbranch_execz .LBB49_614
.LBB49_2664:
	v_mov_b32_e32 v11, 0
	v_cmp_ne_u16_sdwa s[8:9], v13, v11 src0_sel:BYTE_0 src1_sel:DWORD
	s_andn2_b64 s[4:5], s[4:5], exec
	s_and_b64 s[8:9], s[8:9], exec
	s_or_b64 s[4:5], s[4:5], s[8:9]
	s_or_b64 exec, exec, s[6:7]
	s_and_saveexec_b64 s[6:7], s[4:5]
	s_cbranch_execnz .LBB49_615
	s_branch .LBB49_616
.LBB49_2665:
	s_movk_i32 s4, 0x80
	v_cmp_eq_u16_sdwa s[12:13], v11, s4 src0_sel:BYTE_0 src1_sel:DWORD
	s_mov_b64 s[4:5], -1
                                        ; implicit-def: $sgpr10
	s_and_saveexec_b64 s[8:9], s[12:13]
; %bb.2666:
	s_mov_b32 s10, 0x7f800001
	s_xor_b64 s[4:5], exec, -1
; %bb.2667:
	s_or_b64 exec, exec, s[8:9]
	s_and_b64 s[4:5], s[4:5], exec
	s_or_saveexec_b64 s[6:7], s[6:7]
	v_mov_b32_e32 v10, s10
	s_xor_b64 exec, exec, s[6:7]
	s_cbranch_execz .LBB49_618
.LBB49_2668:
	v_mov_b32_e32 v10, 0
	v_cmp_ne_u16_sdwa s[8:9], v11, v10 src0_sel:BYTE_0 src1_sel:DWORD
	s_andn2_b64 s[4:5], s[4:5], exec
	s_and_b64 s[8:9], s[8:9], exec
	s_or_b64 s[4:5], s[4:5], s[8:9]
	s_or_b64 exec, exec, s[6:7]
	s_and_saveexec_b64 s[6:7], s[4:5]
	s_cbranch_execnz .LBB49_619
	s_branch .LBB49_620
.LBB49_2669:
	s_movk_i32 s4, 0x80
	v_cmp_eq_u16_sdwa s[12:13], v11, s4 src0_sel:BYTE_0 src1_sel:DWORD
	s_mov_b64 s[4:5], -1
                                        ; implicit-def: $sgpr10
	s_and_saveexec_b64 s[8:9], s[12:13]
; %bb.2670:
	s_mov_b32 s10, 0x7f800001
	s_xor_b64 s[4:5], exec, -1
; %bb.2671:
	s_or_b64 exec, exec, s[8:9]
	s_and_b64 s[4:5], s[4:5], exec
	s_or_saveexec_b64 s[6:7], s[6:7]
	v_mov_b32_e32 v12, s10
	s_xor_b64 exec, exec, s[6:7]
	s_cbranch_execz .LBB49_622
.LBB49_2672:
	v_mov_b32_e32 v12, 0
	v_cmp_ne_u16_sdwa s[8:9], v11, v12 src0_sel:BYTE_0 src1_sel:DWORD
	s_andn2_b64 s[4:5], s[4:5], exec
	s_and_b64 s[8:9], s[8:9], exec
	s_or_b64 s[4:5], s[4:5], s[8:9]
	s_or_b64 exec, exec, s[6:7]
	s_and_saveexec_b64 s[6:7], s[4:5]
	s_cbranch_execnz .LBB49_623
	s_branch .LBB49_624
.LBB49_2673:
	s_movk_i32 s4, 0x80
	v_cmp_eq_u16_e32 vcc, s4, v11
	s_mov_b64 s[4:5], -1
                                        ; implicit-def: $sgpr10
	s_and_saveexec_b64 s[8:9], vcc
; %bb.2674:
	s_mov_b32 s10, 0x7f800001
	s_xor_b64 s[4:5], exec, -1
; %bb.2675:
	s_or_b64 exec, exec, s[8:9]
	s_and_b64 s[4:5], s[4:5], exec
                                        ; implicit-def: $vgpr11
	s_or_saveexec_b64 s[6:7], s[6:7]
	v_mov_b32_e32 v10, s10
	s_xor_b64 exec, exec, s[6:7]
	s_cbranch_execz .LBB49_626
.LBB49_2676:
	v_cmp_ne_u16_e32 vcc, 0, v11
	s_andn2_b64 s[4:5], s[4:5], exec
	s_and_b64 s[8:9], vcc, exec
	v_mov_b32_e32 v10, 0
	s_or_b64 s[4:5], s[4:5], s[8:9]
	s_or_b64 exec, exec, s[6:7]
	s_and_saveexec_b64 s[6:7], s[4:5]
	s_cbranch_execnz .LBB49_627
	s_branch .LBB49_628
.LBB49_2677:
	s_movk_i32 s4, 0x80
	v_cmp_eq_u16_e32 vcc, s4, v11
	s_mov_b64 s[4:5], -1
                                        ; implicit-def: $sgpr10
	s_and_saveexec_b64 s[8:9], vcc
; %bb.2678:
	s_mov_b32 s10, 0x7f800001
	s_xor_b64 s[4:5], exec, -1
; %bb.2679:
	s_or_b64 exec, exec, s[8:9]
	s_and_b64 s[4:5], s[4:5], exec
                                        ; implicit-def: $vgpr11
	s_or_saveexec_b64 s[6:7], s[6:7]
	v_mov_b32_e32 v12, s10
	s_xor_b64 exec, exec, s[6:7]
	s_cbranch_execz .LBB49_630
.LBB49_2680:
	v_cmp_ne_u16_e32 vcc, 0, v11
	s_andn2_b64 s[4:5], s[4:5], exec
	s_and_b64 s[8:9], vcc, exec
	v_mov_b32_e32 v12, 0
	s_or_b64 s[4:5], s[4:5], s[8:9]
	s_or_b64 exec, exec, s[6:7]
	s_and_saveexec_b64 s[6:7], s[4:5]
	s_cbranch_execnz .LBB49_631
	s_branch .LBB49_632
.LBB49_2681:
	s_movk_i32 s4, 0x80
	v_cmp_eq_u16_sdwa s[12:13], v17, s4 src0_sel:BYTE_3 src1_sel:DWORD
	s_mov_b64 s[4:5], -1
                                        ; implicit-def: $sgpr10
	s_and_saveexec_b64 s[8:9], s[12:13]
; %bb.2682:
	s_mov_b32 s10, 0x7f800001
	s_xor_b64 s[4:5], exec, -1
; %bb.2683:
	s_or_b64 exec, exec, s[8:9]
	s_and_b64 s[4:5], s[4:5], exec
	s_or_saveexec_b64 s[6:7], s[6:7]
	v_mov_b32_e32 v10, s10
	s_xor_b64 exec, exec, s[6:7]
	s_cbranch_execz .LBB49_634
.LBB49_2684:
	v_mov_b32_e32 v10, 0
	v_cmp_ne_u16_sdwa s[8:9], v17, v10 src0_sel:BYTE_3 src1_sel:DWORD
	s_andn2_b64 s[4:5], s[4:5], exec
	s_and_b64 s[8:9], s[8:9], exec
	s_or_b64 s[4:5], s[4:5], s[8:9]
	s_or_b64 exec, exec, s[6:7]
	s_and_saveexec_b64 s[6:7], s[4:5]
	s_cbranch_execnz .LBB49_635
	s_branch .LBB49_636
.LBB49_2685:
	s_movk_i32 s4, 0x80
	v_cmp_eq_u16_sdwa s[12:13], v13, s4 src0_sel:BYTE_3 src1_sel:DWORD
	s_mov_b64 s[4:5], -1
                                        ; implicit-def: $sgpr10
	s_and_saveexec_b64 s[8:9], s[12:13]
; %bb.2686:
	s_mov_b32 s10, 0x7f800001
	s_xor_b64 s[4:5], exec, -1
; %bb.2687:
	s_or_b64 exec, exec, s[8:9]
	s_and_b64 s[4:5], s[4:5], exec
	s_or_saveexec_b64 s[6:7], s[6:7]
	v_mov_b32_e32 v11, s10
	s_xor_b64 exec, exec, s[6:7]
	s_cbranch_execz .LBB49_638
.LBB49_2688:
	v_mov_b32_e32 v11, 0
	v_cmp_ne_u16_sdwa s[8:9], v13, v11 src0_sel:BYTE_3 src1_sel:DWORD
	s_andn2_b64 s[4:5], s[4:5], exec
	s_and_b64 s[8:9], s[8:9], exec
	s_or_b64 s[4:5], s[4:5], s[8:9]
	s_or_b64 exec, exec, s[6:7]
	s_and_saveexec_b64 s[6:7], s[4:5]
	s_cbranch_execnz .LBB49_639
	s_branch .LBB49_640
.LBB49_2689:
	s_movk_i32 s4, 0x80
	v_cmp_eq_u16_sdwa s[12:13], v6, s4 src0_sel:BYTE_0 src1_sel:DWORD
	s_mov_b64 s[4:5], -1
                                        ; implicit-def: $sgpr10
	s_and_saveexec_b64 s[8:9], s[12:13]
; %bb.2690:
	s_mov_b32 s10, 0x7f800001
	s_xor_b64 s[4:5], exec, -1
; %bb.2691:
	s_or_b64 exec, exec, s[8:9]
	s_and_b64 s[4:5], s[4:5], exec
	s_or_saveexec_b64 s[6:7], s[6:7]
	v_mov_b32_e32 v10, s10
	s_xor_b64 exec, exec, s[6:7]
	s_cbranch_execz .LBB49_642
.LBB49_2692:
	v_mov_b32_e32 v10, 0
	v_cmp_ne_u16_sdwa s[8:9], v6, v10 src0_sel:BYTE_0 src1_sel:DWORD
	s_andn2_b64 s[4:5], s[4:5], exec
	s_and_b64 s[8:9], s[8:9], exec
	s_or_b64 s[4:5], s[4:5], s[8:9]
	s_or_b64 exec, exec, s[6:7]
	s_and_saveexec_b64 s[6:7], s[4:5]
	s_cbranch_execnz .LBB49_643
	s_branch .LBB49_644
.LBB49_2693:
	s_movk_i32 s4, 0x80
	v_cmp_eq_u16_sdwa s[12:13], v2, s4 src0_sel:BYTE_0 src1_sel:DWORD
	s_mov_b64 s[4:5], -1
                                        ; implicit-def: $sgpr10
	s_and_saveexec_b64 s[8:9], s[12:13]
; %bb.2694:
	s_mov_b32 s10, 0x7f800001
	s_xor_b64 s[4:5], exec, -1
; %bb.2695:
	s_or_b64 exec, exec, s[8:9]
	s_and_b64 s[4:5], s[4:5], exec
	s_or_saveexec_b64 s[6:7], s[6:7]
	v_mov_b32_e32 v11, s10
	s_xor_b64 exec, exec, s[6:7]
	s_cbranch_execz .LBB49_646
.LBB49_2696:
	v_mov_b32_e32 v11, 0
	v_cmp_ne_u16_sdwa s[8:9], v2, v11 src0_sel:BYTE_0 src1_sel:DWORD
	s_andn2_b64 s[4:5], s[4:5], exec
	s_and_b64 s[8:9], s[8:9], exec
	s_or_b64 s[4:5], s[4:5], s[8:9]
	s_or_b64 exec, exec, s[6:7]
	s_and_saveexec_b64 s[6:7], s[4:5]
	s_cbranch_execnz .LBB49_647
	s_branch .LBB49_648
.LBB49_2697:
	s_movk_i32 s4, 0x80
	v_cmp_eq_u16_sdwa s[12:13], v11, s4 src0_sel:BYTE_0 src1_sel:DWORD
	s_mov_b64 s[4:5], -1
                                        ; implicit-def: $sgpr10
	s_and_saveexec_b64 s[8:9], s[12:13]
; %bb.2698:
	s_mov_b32 s10, 0x7f800001
	s_xor_b64 s[4:5], exec, -1
; %bb.2699:
	s_or_b64 exec, exec, s[8:9]
	s_and_b64 s[4:5], s[4:5], exec
	s_or_saveexec_b64 s[6:7], s[6:7]
	v_mov_b32_e32 v10, s10
	s_xor_b64 exec, exec, s[6:7]
	s_cbranch_execz .LBB49_650
.LBB49_2700:
	v_mov_b32_e32 v10, 0
	v_cmp_ne_u16_sdwa s[8:9], v11, v10 src0_sel:BYTE_0 src1_sel:DWORD
	s_andn2_b64 s[4:5], s[4:5], exec
	s_and_b64 s[8:9], s[8:9], exec
	s_or_b64 s[4:5], s[4:5], s[8:9]
	s_or_b64 exec, exec, s[6:7]
	s_and_saveexec_b64 s[6:7], s[4:5]
	s_cbranch_execnz .LBB49_651
	s_branch .LBB49_652
.LBB49_2701:
	s_movk_i32 s4, 0x80
	v_cmp_eq_u16_sdwa s[12:13], v11, s4 src0_sel:BYTE_0 src1_sel:DWORD
	s_mov_b64 s[4:5], -1
                                        ; implicit-def: $sgpr10
	s_and_saveexec_b64 s[8:9], s[12:13]
; %bb.2702:
	s_mov_b32 s10, 0x7f800001
	s_xor_b64 s[4:5], exec, -1
; %bb.2703:
	s_or_b64 exec, exec, s[8:9]
	s_and_b64 s[4:5], s[4:5], exec
	s_or_saveexec_b64 s[6:7], s[6:7]
	v_mov_b32_e32 v12, s10
	s_xor_b64 exec, exec, s[6:7]
	s_cbranch_execz .LBB49_654
.LBB49_2704:
	v_mov_b32_e32 v12, 0
	v_cmp_ne_u16_sdwa s[8:9], v11, v12 src0_sel:BYTE_0 src1_sel:DWORD
	s_andn2_b64 s[4:5], s[4:5], exec
	s_and_b64 s[8:9], s[8:9], exec
	s_or_b64 s[4:5], s[4:5], s[8:9]
	s_or_b64 exec, exec, s[6:7]
	s_and_saveexec_b64 s[6:7], s[4:5]
	s_cbranch_execnz .LBB49_655
	s_branch .LBB49_656
.LBB49_2705:
	s_movk_i32 s4, 0x80
	v_cmp_eq_u16_e32 vcc, s4, v11
	s_mov_b64 s[4:5], -1
                                        ; implicit-def: $sgpr10
	s_and_saveexec_b64 s[8:9], vcc
; %bb.2706:
	s_mov_b32 s10, 0x7f800001
	s_xor_b64 s[4:5], exec, -1
; %bb.2707:
	s_or_b64 exec, exec, s[8:9]
	s_and_b64 s[4:5], s[4:5], exec
                                        ; implicit-def: $vgpr11
	s_or_saveexec_b64 s[6:7], s[6:7]
	v_mov_b32_e32 v10, s10
	s_xor_b64 exec, exec, s[6:7]
	s_cbranch_execz .LBB49_658
.LBB49_2708:
	v_cmp_ne_u16_e32 vcc, 0, v11
	s_andn2_b64 s[4:5], s[4:5], exec
	s_and_b64 s[8:9], vcc, exec
	v_mov_b32_e32 v10, 0
	s_or_b64 s[4:5], s[4:5], s[8:9]
	s_or_b64 exec, exec, s[6:7]
	s_and_saveexec_b64 s[6:7], s[4:5]
	s_cbranch_execnz .LBB49_659
	s_branch .LBB49_660
.LBB49_2709:
	s_movk_i32 s4, 0x80
	v_cmp_eq_u16_e32 vcc, s4, v11
	s_mov_b64 s[4:5], -1
                                        ; implicit-def: $sgpr10
	s_and_saveexec_b64 s[8:9], vcc
; %bb.2710:
	s_mov_b32 s10, 0x7f800001
	s_xor_b64 s[4:5], exec, -1
; %bb.2711:
	s_or_b64 exec, exec, s[8:9]
	s_and_b64 s[4:5], s[4:5], exec
                                        ; implicit-def: $vgpr11
	s_or_saveexec_b64 s[6:7], s[6:7]
	v_mov_b32_e32 v12, s10
	s_xor_b64 exec, exec, s[6:7]
	s_cbranch_execz .LBB49_662
.LBB49_2712:
	v_cmp_ne_u16_e32 vcc, 0, v11
	s_andn2_b64 s[4:5], s[4:5], exec
	s_and_b64 s[8:9], vcc, exec
	v_mov_b32_e32 v12, 0
	s_or_b64 s[4:5], s[4:5], s[8:9]
	s_or_b64 exec, exec, s[6:7]
	s_and_saveexec_b64 s[6:7], s[4:5]
	s_cbranch_execnz .LBB49_663
	s_branch .LBB49_664
.LBB49_2713:
	s_movk_i32 s4, 0x80
	v_cmp_eq_u16_sdwa s[12:13], v6, s4 src0_sel:BYTE_3 src1_sel:DWORD
	s_mov_b64 s[4:5], -1
                                        ; implicit-def: $sgpr10
	s_and_saveexec_b64 s[8:9], s[12:13]
; %bb.2714:
	s_mov_b32 s10, 0x7f800001
	s_xor_b64 s[4:5], exec, -1
; %bb.2715:
	s_or_b64 exec, exec, s[8:9]
	s_and_b64 s[4:5], s[4:5], exec
	s_or_saveexec_b64 s[6:7], s[6:7]
	v_mov_b32_e32 v10, s10
	s_xor_b64 exec, exec, s[6:7]
	s_cbranch_execz .LBB49_666
.LBB49_2716:
	v_mov_b32_e32 v10, 0
	v_cmp_ne_u16_sdwa s[8:9], v6, v10 src0_sel:BYTE_3 src1_sel:DWORD
	s_andn2_b64 s[4:5], s[4:5], exec
	s_and_b64 s[8:9], s[8:9], exec
	s_or_b64 s[4:5], s[4:5], s[8:9]
	s_or_b64 exec, exec, s[6:7]
	s_and_saveexec_b64 s[6:7], s[4:5]
	s_cbranch_execnz .LBB49_667
	s_branch .LBB49_668
.LBB49_2717:
	s_movk_i32 s4, 0x80
	v_cmp_eq_u16_sdwa s[12:13], v2, s4 src0_sel:BYTE_3 src1_sel:DWORD
	s_mov_b64 s[4:5], -1
                                        ; implicit-def: $sgpr10
	s_and_saveexec_b64 s[8:9], s[12:13]
; %bb.2718:
	s_mov_b32 s10, 0x7f800001
	s_xor_b64 s[4:5], exec, -1
; %bb.2719:
	s_or_b64 exec, exec, s[8:9]
	s_and_b64 s[4:5], s[4:5], exec
	s_or_saveexec_b64 s[6:7], s[6:7]
	v_mov_b32_e32 v6, s10
	s_xor_b64 exec, exec, s[6:7]
	s_cbranch_execz .LBB49_670
.LBB49_2720:
	v_mov_b32_e32 v6, 0
	v_cmp_ne_u16_sdwa s[8:9], v2, v6 src0_sel:BYTE_3 src1_sel:DWORD
	s_andn2_b64 s[4:5], s[4:5], exec
	s_and_b64 s[8:9], s[8:9], exec
	s_or_b64 s[4:5], s[4:5], s[8:9]
	s_or_b64 exec, exec, s[6:7]
	s_and_saveexec_b64 s[6:7], s[4:5]
	s_cbranch_execnz .LBB49_671
	s_branch .LBB49_672
.LBB49_2721:
	s_movk_i32 s4, 0x80
	v_cmp_eq_u16_sdwa s[12:13], v7, s4 src0_sel:BYTE_0 src1_sel:DWORD
	s_mov_b64 s[4:5], -1
                                        ; implicit-def: $sgpr10
	s_and_saveexec_b64 s[8:9], s[12:13]
; %bb.2722:
	s_mov_b32 s10, 0x7f800001
	s_xor_b64 s[4:5], exec, -1
; %bb.2723:
	s_or_b64 exec, exec, s[8:9]
	s_and_b64 s[4:5], s[4:5], exec
	s_or_saveexec_b64 s[6:7], s[6:7]
	v_mov_b32_e32 v2, s10
	s_xor_b64 exec, exec, s[6:7]
	s_cbranch_execz .LBB49_674
.LBB49_2724:
	v_mov_b32_e32 v2, 0
	v_cmp_ne_u16_sdwa s[8:9], v7, v2 src0_sel:BYTE_0 src1_sel:DWORD
	s_andn2_b64 s[4:5], s[4:5], exec
	s_and_b64 s[8:9], s[8:9], exec
	s_or_b64 s[4:5], s[4:5], s[8:9]
	s_or_b64 exec, exec, s[6:7]
	s_and_saveexec_b64 s[6:7], s[4:5]
	s_cbranch_execnz .LBB49_675
	s_branch .LBB49_676
.LBB49_2725:
	s_movk_i32 s4, 0x80
	v_cmp_eq_u16_sdwa s[12:13], v3, s4 src0_sel:BYTE_0 src1_sel:DWORD
	s_mov_b64 s[4:5], -1
                                        ; implicit-def: $sgpr10
	s_and_saveexec_b64 s[8:9], s[12:13]
; %bb.2726:
	s_mov_b32 s10, 0x7f800001
	s_xor_b64 s[4:5], exec, -1
; %bb.2727:
	s_or_b64 exec, exec, s[8:9]
	s_and_b64 s[4:5], s[4:5], exec
	s_or_saveexec_b64 s[6:7], s[6:7]
	v_mov_b32_e32 v6, s10
	s_xor_b64 exec, exec, s[6:7]
	s_cbranch_execz .LBB49_678
.LBB49_2728:
	v_mov_b32_e32 v6, 0
	v_cmp_ne_u16_sdwa s[8:9], v3, v6 src0_sel:BYTE_0 src1_sel:DWORD
	s_andn2_b64 s[4:5], s[4:5], exec
	s_and_b64 s[8:9], s[8:9], exec
	s_or_b64 s[4:5], s[4:5], s[8:9]
	s_or_b64 exec, exec, s[6:7]
	s_and_saveexec_b64 s[6:7], s[4:5]
	s_cbranch_execnz .LBB49_679
	s_branch .LBB49_680
.LBB49_2729:
	s_movk_i32 s4, 0x80
	v_cmp_eq_u16_sdwa s[12:13], v6, s4 src0_sel:BYTE_0 src1_sel:DWORD
	s_mov_b64 s[4:5], -1
                                        ; implicit-def: $sgpr10
	s_and_saveexec_b64 s[8:9], s[12:13]
; %bb.2730:
	s_mov_b32 s10, 0x7f800001
	s_xor_b64 s[4:5], exec, -1
; %bb.2731:
	s_or_b64 exec, exec, s[8:9]
	s_and_b64 s[4:5], s[4:5], exec
	s_or_saveexec_b64 s[6:7], s[6:7]
	v_mov_b32_e32 v2, s10
	s_xor_b64 exec, exec, s[6:7]
	s_cbranch_execz .LBB49_682
.LBB49_2732:
	v_mov_b32_e32 v2, 0
	v_cmp_ne_u16_sdwa s[8:9], v6, v2 src0_sel:BYTE_0 src1_sel:DWORD
	s_andn2_b64 s[4:5], s[4:5], exec
	s_and_b64 s[8:9], s[8:9], exec
	s_or_b64 s[4:5], s[4:5], s[8:9]
	s_or_b64 exec, exec, s[6:7]
	s_and_saveexec_b64 s[6:7], s[4:5]
	s_cbranch_execnz .LBB49_683
	s_branch .LBB49_684
.LBB49_2733:
	s_movk_i32 s4, 0x80
	v_cmp_eq_u16_sdwa s[12:13], v6, s4 src0_sel:BYTE_0 src1_sel:DWORD
	s_mov_b64 s[4:5], -1
                                        ; implicit-def: $sgpr10
	s_and_saveexec_b64 s[8:9], s[12:13]
; %bb.2734:
	s_mov_b32 s10, 0x7f800001
	s_xor_b64 s[4:5], exec, -1
; %bb.2735:
	s_or_b64 exec, exec, s[8:9]
	s_and_b64 s[4:5], s[4:5], exec
	s_or_saveexec_b64 s[6:7], s[6:7]
	v_mov_b32_e32 v10, s10
	s_xor_b64 exec, exec, s[6:7]
	s_cbranch_execz .LBB49_686
.LBB49_2736:
	v_mov_b32_e32 v10, 0
	v_cmp_ne_u16_sdwa s[8:9], v6, v10 src0_sel:BYTE_0 src1_sel:DWORD
	s_andn2_b64 s[4:5], s[4:5], exec
	s_and_b64 s[8:9], s[8:9], exec
	s_or_b64 s[4:5], s[4:5], s[8:9]
	s_or_b64 exec, exec, s[6:7]
	s_and_saveexec_b64 s[6:7], s[4:5]
	s_cbranch_execnz .LBB49_687
	s_branch .LBB49_688
.LBB49_2737:
	s_movk_i32 s4, 0x80
	v_cmp_eq_u16_e32 vcc, s4, v6
	s_mov_b64 s[4:5], -1
                                        ; implicit-def: $sgpr10
	s_and_saveexec_b64 s[8:9], vcc
; %bb.2738:
	s_mov_b32 s10, 0x7f800001
	s_xor_b64 s[4:5], exec, -1
; %bb.2739:
	s_or_b64 exec, exec, s[8:9]
	s_and_b64 s[4:5], s[4:5], exec
                                        ; implicit-def: $vgpr6
	s_or_saveexec_b64 s[6:7], s[6:7]
	v_mov_b32_e32 v2, s10
	s_xor_b64 exec, exec, s[6:7]
	s_cbranch_execz .LBB49_690
.LBB49_2740:
	v_cmp_ne_u16_e32 vcc, 0, v6
	s_andn2_b64 s[4:5], s[4:5], exec
	s_and_b64 s[8:9], vcc, exec
	v_mov_b32_e32 v2, 0
	s_or_b64 s[4:5], s[4:5], s[8:9]
	s_or_b64 exec, exec, s[6:7]
	s_and_saveexec_b64 s[6:7], s[4:5]
	s_cbranch_execnz .LBB49_691
	s_branch .LBB49_692
.LBB49_2741:
	s_movk_i32 s4, 0x80
	v_cmp_eq_u16_e32 vcc, s4, v6
	s_mov_b64 s[4:5], -1
                                        ; implicit-def: $sgpr10
	s_and_saveexec_b64 s[8:9], vcc
; %bb.2742:
	s_mov_b32 s10, 0x7f800001
	s_xor_b64 s[4:5], exec, -1
; %bb.2743:
	s_or_b64 exec, exec, s[8:9]
	s_and_b64 s[4:5], s[4:5], exec
                                        ; implicit-def: $vgpr6
	s_or_saveexec_b64 s[6:7], s[6:7]
	v_mov_b32_e32 v10, s10
	s_xor_b64 exec, exec, s[6:7]
	s_cbranch_execz .LBB49_694
.LBB49_2744:
	v_cmp_ne_u16_e32 vcc, 0, v6
	s_andn2_b64 s[4:5], s[4:5], exec
	s_and_b64 s[8:9], vcc, exec
	v_mov_b32_e32 v10, 0
	s_or_b64 s[4:5], s[4:5], s[8:9]
	s_or_b64 exec, exec, s[6:7]
	s_and_saveexec_b64 s[6:7], s[4:5]
	s_cbranch_execnz .LBB49_695
	s_branch .LBB49_696
.LBB49_2745:
	s_movk_i32 s4, 0x80
	v_cmp_eq_u16_sdwa s[12:13], v7, s4 src0_sel:BYTE_3 src1_sel:DWORD
	s_mov_b64 s[4:5], -1
                                        ; implicit-def: $sgpr10
	s_and_saveexec_b64 s[8:9], s[12:13]
; %bb.2746:
	s_mov_b32 s10, 0x7f800001
	s_xor_b64 s[4:5], exec, -1
; %bb.2747:
	s_or_b64 exec, exec, s[8:9]
	s_and_b64 s[4:5], s[4:5], exec
	s_or_saveexec_b64 s[6:7], s[6:7]
	v_mov_b32_e32 v2, s10
	s_xor_b64 exec, exec, s[6:7]
	s_cbranch_execz .LBB49_698
.LBB49_2748:
	v_mov_b32_e32 v2, 0
	v_cmp_ne_u16_sdwa s[8:9], v7, v2 src0_sel:BYTE_3 src1_sel:DWORD
	s_andn2_b64 s[4:5], s[4:5], exec
	s_and_b64 s[8:9], s[8:9], exec
	s_or_b64 s[4:5], s[4:5], s[8:9]
	s_or_b64 exec, exec, s[6:7]
	s_and_saveexec_b64 s[6:7], s[4:5]
	s_cbranch_execnz .LBB49_699
	s_branch .LBB49_700
.LBB49_2749:
	s_movk_i32 s4, 0x80
	v_cmp_eq_u16_sdwa s[12:13], v3, s4 src0_sel:BYTE_3 src1_sel:DWORD
	s_mov_b64 s[4:5], -1
                                        ; implicit-def: $sgpr10
	s_and_saveexec_b64 s[8:9], s[12:13]
; %bb.2750:
	s_mov_b32 s10, 0x7f800001
	s_xor_b64 s[4:5], exec, -1
; %bb.2751:
	s_or_b64 exec, exec, s[8:9]
	s_and_b64 s[4:5], s[4:5], exec
	s_or_saveexec_b64 s[6:7], s[6:7]
	v_mov_b32_e32 v6, s10
	s_xor_b64 exec, exec, s[6:7]
	s_cbranch_execz .LBB49_702
.LBB49_2752:
	v_mov_b32_e32 v6, 0
	v_cmp_ne_u16_sdwa s[8:9], v3, v6 src0_sel:BYTE_3 src1_sel:DWORD
	s_andn2_b64 s[4:5], s[4:5], exec
	s_and_b64 s[8:9], s[8:9], exec
	s_or_b64 s[4:5], s[4:5], s[8:9]
	s_or_b64 exec, exec, s[6:7]
	s_and_saveexec_b64 s[6:7], s[4:5]
	s_cbranch_execnz .LBB49_703
	s_branch .LBB49_704
.LBB49_2753:
	s_movk_i32 s4, 0x80
	v_cmp_eq_u16_sdwa s[12:13], v8, s4 src0_sel:BYTE_0 src1_sel:DWORD
	s_mov_b64 s[4:5], -1
                                        ; implicit-def: $sgpr10
	s_and_saveexec_b64 s[8:9], s[12:13]
; %bb.2754:
	s_mov_b32 s10, 0x7f800001
	s_xor_b64 s[4:5], exec, -1
; %bb.2755:
	s_or_b64 exec, exec, s[8:9]
	s_and_b64 s[4:5], s[4:5], exec
	s_or_saveexec_b64 s[6:7], s[6:7]
	v_mov_b32_e32 v2, s10
	s_xor_b64 exec, exec, s[6:7]
	s_cbranch_execz .LBB49_706
.LBB49_2756:
	v_mov_b32_e32 v2, 0
	v_cmp_ne_u16_sdwa s[8:9], v8, v2 src0_sel:BYTE_0 src1_sel:DWORD
	s_andn2_b64 s[4:5], s[4:5], exec
	s_and_b64 s[8:9], s[8:9], exec
	s_or_b64 s[4:5], s[4:5], s[8:9]
	s_or_b64 exec, exec, s[6:7]
	s_and_saveexec_b64 s[6:7], s[4:5]
	s_cbranch_execnz .LBB49_707
	s_branch .LBB49_708
.LBB49_2757:
	s_movk_i32 s4, 0x80
	v_cmp_eq_u16_sdwa s[12:13], v4, s4 src0_sel:BYTE_0 src1_sel:DWORD
	s_mov_b64 s[4:5], -1
                                        ; implicit-def: $sgpr10
	s_and_saveexec_b64 s[8:9], s[12:13]
; %bb.2758:
	s_mov_b32 s10, 0x7f800001
	s_xor_b64 s[4:5], exec, -1
; %bb.2759:
	s_or_b64 exec, exec, s[8:9]
	s_and_b64 s[4:5], s[4:5], exec
	s_or_saveexec_b64 s[6:7], s[6:7]
	v_mov_b32_e32 v3, s10
	s_xor_b64 exec, exec, s[6:7]
	s_cbranch_execz .LBB49_710
.LBB49_2760:
	v_mov_b32_e32 v3, 0
	v_cmp_ne_u16_sdwa s[8:9], v4, v3 src0_sel:BYTE_0 src1_sel:DWORD
	s_andn2_b64 s[4:5], s[4:5], exec
	s_and_b64 s[8:9], s[8:9], exec
	s_or_b64 s[4:5], s[4:5], s[8:9]
	s_or_b64 exec, exec, s[6:7]
	s_and_saveexec_b64 s[6:7], s[4:5]
	s_cbranch_execnz .LBB49_711
	s_branch .LBB49_712
.LBB49_2761:
	s_movk_i32 s4, 0x80
	v_cmp_eq_u16_sdwa s[12:13], v3, s4 src0_sel:BYTE_0 src1_sel:DWORD
	s_mov_b64 s[4:5], -1
                                        ; implicit-def: $sgpr10
	s_and_saveexec_b64 s[8:9], s[12:13]
; %bb.2762:
	s_mov_b32 s10, 0x7f800001
	s_xor_b64 s[4:5], exec, -1
; %bb.2763:
	s_or_b64 exec, exec, s[8:9]
	s_and_b64 s[4:5], s[4:5], exec
	s_or_saveexec_b64 s[6:7], s[6:7]
	v_mov_b32_e32 v2, s10
	s_xor_b64 exec, exec, s[6:7]
	s_cbranch_execz .LBB49_714
.LBB49_2764:
	v_mov_b32_e32 v2, 0
	v_cmp_ne_u16_sdwa s[8:9], v3, v2 src0_sel:BYTE_0 src1_sel:DWORD
	s_andn2_b64 s[4:5], s[4:5], exec
	s_and_b64 s[8:9], s[8:9], exec
	s_or_b64 s[4:5], s[4:5], s[8:9]
	s_or_b64 exec, exec, s[6:7]
	s_and_saveexec_b64 s[6:7], s[4:5]
	s_cbranch_execnz .LBB49_715
	s_branch .LBB49_716
.LBB49_2765:
	s_movk_i32 s4, 0x80
	v_cmp_eq_u16_sdwa s[12:13], v3, s4 src0_sel:BYTE_0 src1_sel:DWORD
	s_mov_b64 s[4:5], -1
                                        ; implicit-def: $sgpr10
	s_and_saveexec_b64 s[8:9], s[12:13]
; %bb.2766:
	s_mov_b32 s10, 0x7f800001
	s_xor_b64 s[4:5], exec, -1
; %bb.2767:
	s_or_b64 exec, exec, s[8:9]
	s_and_b64 s[4:5], s[4:5], exec
	s_or_saveexec_b64 s[6:7], s[6:7]
	v_mov_b32_e32 v6, s10
	s_xor_b64 exec, exec, s[6:7]
	s_cbranch_execz .LBB49_718
.LBB49_2768:
	v_mov_b32_e32 v6, 0
	v_cmp_ne_u16_sdwa s[8:9], v3, v6 src0_sel:BYTE_0 src1_sel:DWORD
	s_andn2_b64 s[4:5], s[4:5], exec
	s_and_b64 s[8:9], s[8:9], exec
	s_or_b64 s[4:5], s[4:5], s[8:9]
	s_or_b64 exec, exec, s[6:7]
	s_and_saveexec_b64 s[6:7], s[4:5]
	s_cbranch_execnz .LBB49_719
	s_branch .LBB49_720
.LBB49_2769:
	s_movk_i32 s4, 0x80
	v_cmp_eq_u16_e32 vcc, s4, v3
	s_mov_b64 s[4:5], -1
                                        ; implicit-def: $sgpr10
	s_and_saveexec_b64 s[8:9], vcc
; %bb.2770:
	s_mov_b32 s10, 0x7f800001
	s_xor_b64 s[4:5], exec, -1
; %bb.2771:
	s_or_b64 exec, exec, s[8:9]
	s_and_b64 s[4:5], s[4:5], exec
                                        ; implicit-def: $vgpr3
	s_or_saveexec_b64 s[6:7], s[6:7]
	v_mov_b32_e32 v2, s10
	s_xor_b64 exec, exec, s[6:7]
	s_cbranch_execz .LBB49_722
.LBB49_2772:
	v_cmp_ne_u16_e32 vcc, 0, v3
	s_andn2_b64 s[4:5], s[4:5], exec
	s_and_b64 s[8:9], vcc, exec
	v_mov_b32_e32 v2, 0
	s_or_b64 s[4:5], s[4:5], s[8:9]
	s_or_b64 exec, exec, s[6:7]
	s_and_saveexec_b64 s[6:7], s[4:5]
	s_cbranch_execnz .LBB49_723
	s_branch .LBB49_724
.LBB49_2773:
	s_movk_i32 s4, 0x80
	v_cmp_eq_u16_e32 vcc, s4, v3
	s_mov_b64 s[4:5], -1
                                        ; implicit-def: $sgpr10
	s_and_saveexec_b64 s[8:9], vcc
; %bb.2774:
	s_mov_b32 s10, 0x7f800001
	s_xor_b64 s[4:5], exec, -1
; %bb.2775:
	s_or_b64 exec, exec, s[8:9]
	s_and_b64 s[4:5], s[4:5], exec
                                        ; implicit-def: $vgpr3
	s_or_saveexec_b64 s[6:7], s[6:7]
	v_mov_b32_e32 v6, s10
	s_xor_b64 exec, exec, s[6:7]
	s_cbranch_execz .LBB49_726
.LBB49_2776:
	v_cmp_ne_u16_e32 vcc, 0, v3
	s_andn2_b64 s[4:5], s[4:5], exec
	s_and_b64 s[8:9], vcc, exec
	v_mov_b32_e32 v6, 0
	s_or_b64 s[4:5], s[4:5], s[8:9]
	s_or_b64 exec, exec, s[6:7]
	s_and_saveexec_b64 s[6:7], s[4:5]
	s_cbranch_execnz .LBB49_727
	s_branch .LBB49_728
.LBB49_2777:
	s_movk_i32 s4, 0x80
	v_cmp_eq_u16_sdwa s[12:13], v8, s4 src0_sel:BYTE_3 src1_sel:DWORD
	s_mov_b64 s[4:5], -1
                                        ; implicit-def: $sgpr10
	s_and_saveexec_b64 s[8:9], s[12:13]
; %bb.2778:
	s_mov_b32 s10, 0x7f800001
	s_xor_b64 s[4:5], exec, -1
; %bb.2779:
	s_or_b64 exec, exec, s[8:9]
	s_and_b64 s[4:5], s[4:5], exec
	s_or_saveexec_b64 s[6:7], s[6:7]
	v_mov_b32_e32 v2, s10
	s_xor_b64 exec, exec, s[6:7]
	s_cbranch_execz .LBB49_730
.LBB49_2780:
	v_mov_b32_e32 v2, 0
	v_cmp_ne_u16_sdwa s[8:9], v8, v2 src0_sel:BYTE_3 src1_sel:DWORD
	s_andn2_b64 s[4:5], s[4:5], exec
	s_and_b64 s[8:9], s[8:9], exec
	s_or_b64 s[4:5], s[4:5], s[8:9]
	s_or_b64 exec, exec, s[6:7]
	s_and_saveexec_b64 s[6:7], s[4:5]
	s_cbranch_execnz .LBB49_731
	s_branch .LBB49_732
.LBB49_2781:
	s_movk_i32 s4, 0x80
	v_cmp_eq_u16_sdwa s[12:13], v4, s4 src0_sel:BYTE_3 src1_sel:DWORD
	s_mov_b64 s[4:5], -1
                                        ; implicit-def: $sgpr10
	s_and_saveexec_b64 s[8:9], s[12:13]
; %bb.2782:
	s_mov_b32 s10, 0x7f800001
	s_xor_b64 s[4:5], exec, -1
; %bb.2783:
	s_or_b64 exec, exec, s[8:9]
	s_and_b64 s[4:5], s[4:5], exec
	s_or_saveexec_b64 s[6:7], s[6:7]
	v_mov_b32_e32 v3, s10
	s_xor_b64 exec, exec, s[6:7]
	s_cbranch_execz .LBB49_734
.LBB49_2784:
	v_mov_b32_e32 v3, 0
	v_cmp_ne_u16_sdwa s[8:9], v4, v3 src0_sel:BYTE_3 src1_sel:DWORD
	s_andn2_b64 s[4:5], s[4:5], exec
	s_and_b64 s[8:9], s[8:9], exec
	s_or_b64 s[4:5], s[4:5], s[8:9]
	s_or_b64 exec, exec, s[6:7]
	s_and_saveexec_b64 s[6:7], s[4:5]
	s_cbranch_execnz .LBB49_735
	s_branch .LBB49_736
.LBB49_2785:
	s_movk_i32 s4, 0x80
	v_cmp_eq_u16_sdwa s[12:13], v9, s4 src0_sel:BYTE_0 src1_sel:DWORD
	s_mov_b64 s[4:5], -1
                                        ; implicit-def: $sgpr10
	s_and_saveexec_b64 s[8:9], s[12:13]
; %bb.2786:
	s_mov_b32 s10, 0x7f800001
	s_xor_b64 s[4:5], exec, -1
; %bb.2787:
	s_or_b64 exec, exec, s[8:9]
	s_and_b64 s[4:5], s[4:5], exec
	s_or_saveexec_b64 s[6:7], s[6:7]
	v_mov_b32_e32 v2, s10
	s_xor_b64 exec, exec, s[6:7]
	s_cbranch_execz .LBB49_738
.LBB49_2788:
	v_mov_b32_e32 v2, 0
	v_cmp_ne_u16_sdwa s[8:9], v9, v2 src0_sel:BYTE_0 src1_sel:DWORD
	s_andn2_b64 s[4:5], s[4:5], exec
	s_and_b64 s[8:9], s[8:9], exec
	s_or_b64 s[4:5], s[4:5], s[8:9]
	s_or_b64 exec, exec, s[6:7]
	s_and_saveexec_b64 s[6:7], s[4:5]
	s_cbranch_execnz .LBB49_739
	s_branch .LBB49_740
.LBB49_2789:
	s_movk_i32 s4, 0x80
	v_cmp_eq_u16_sdwa s[12:13], v5, s4 src0_sel:BYTE_0 src1_sel:DWORD
	s_mov_b64 s[4:5], -1
                                        ; implicit-def: $sgpr10
	s_and_saveexec_b64 s[8:9], s[12:13]
; %bb.2790:
	s_mov_b32 s10, 0x7f800001
	s_xor_b64 s[4:5], exec, -1
; %bb.2791:
	s_or_b64 exec, exec, s[8:9]
	s_and_b64 s[4:5], s[4:5], exec
	s_or_saveexec_b64 s[6:7], s[6:7]
	v_mov_b32_e32 v3, s10
	s_xor_b64 exec, exec, s[6:7]
	s_cbranch_execz .LBB49_742
.LBB49_2792:
	v_mov_b32_e32 v3, 0
	v_cmp_ne_u16_sdwa s[8:9], v5, v3 src0_sel:BYTE_0 src1_sel:DWORD
	s_andn2_b64 s[4:5], s[4:5], exec
	s_and_b64 s[8:9], s[8:9], exec
	s_or_b64 s[4:5], s[4:5], s[8:9]
	s_or_b64 exec, exec, s[6:7]
	s_and_saveexec_b64 s[6:7], s[4:5]
	s_cbranch_execnz .LBB49_743
	s_branch .LBB49_744
.LBB49_2793:
	s_movk_i32 s4, 0x80
	v_cmp_eq_u16_sdwa s[12:13], v3, s4 src0_sel:BYTE_0 src1_sel:DWORD
	s_mov_b64 s[4:5], -1
                                        ; implicit-def: $sgpr10
	s_and_saveexec_b64 s[8:9], s[12:13]
; %bb.2794:
	s_mov_b32 s10, 0x7f800001
	s_xor_b64 s[4:5], exec, -1
; %bb.2795:
	s_or_b64 exec, exec, s[8:9]
	s_and_b64 s[4:5], s[4:5], exec
	s_or_saveexec_b64 s[6:7], s[6:7]
	v_mov_b32_e32 v2, s10
	s_xor_b64 exec, exec, s[6:7]
	s_cbranch_execz .LBB49_746
.LBB49_2796:
	v_mov_b32_e32 v2, 0
	v_cmp_ne_u16_sdwa s[8:9], v3, v2 src0_sel:BYTE_0 src1_sel:DWORD
	s_andn2_b64 s[4:5], s[4:5], exec
	s_and_b64 s[8:9], s[8:9], exec
	s_or_b64 s[4:5], s[4:5], s[8:9]
	s_or_b64 exec, exec, s[6:7]
	s_and_saveexec_b64 s[6:7], s[4:5]
	s_cbranch_execnz .LBB49_747
	s_branch .LBB49_748
.LBB49_2797:
	s_movk_i32 s4, 0x80
	v_cmp_eq_u16_sdwa s[12:13], v3, s4 src0_sel:BYTE_0 src1_sel:DWORD
	s_mov_b64 s[4:5], -1
                                        ; implicit-def: $sgpr10
	s_and_saveexec_b64 s[8:9], s[12:13]
; %bb.2798:
	s_mov_b32 s10, 0x7f800001
	s_xor_b64 s[4:5], exec, -1
; %bb.2799:
	s_or_b64 exec, exec, s[8:9]
	s_and_b64 s[4:5], s[4:5], exec
	s_or_saveexec_b64 s[6:7], s[6:7]
	v_mov_b32_e32 v4, s10
	s_xor_b64 exec, exec, s[6:7]
	s_cbranch_execz .LBB49_750
.LBB49_2800:
	v_mov_b32_e32 v4, 0
	v_cmp_ne_u16_sdwa s[8:9], v3, v4 src0_sel:BYTE_0 src1_sel:DWORD
	s_andn2_b64 s[4:5], s[4:5], exec
	s_and_b64 s[8:9], s[8:9], exec
	s_or_b64 s[4:5], s[4:5], s[8:9]
	s_or_b64 exec, exec, s[6:7]
	s_and_saveexec_b64 s[6:7], s[4:5]
	s_cbranch_execnz .LBB49_751
	s_branch .LBB49_752
.LBB49_2801:
	s_movk_i32 s4, 0x80
	v_cmp_eq_u16_e32 vcc, s4, v3
	s_mov_b64 s[4:5], -1
                                        ; implicit-def: $sgpr10
	s_and_saveexec_b64 s[8:9], vcc
; %bb.2802:
	s_mov_b32 s10, 0x7f800001
	s_xor_b64 s[4:5], exec, -1
; %bb.2803:
	s_or_b64 exec, exec, s[8:9]
	s_and_b64 s[4:5], s[4:5], exec
                                        ; implicit-def: $vgpr3
	s_or_saveexec_b64 s[6:7], s[6:7]
	v_mov_b32_e32 v2, s10
	s_xor_b64 exec, exec, s[6:7]
	s_cbranch_execz .LBB49_754
.LBB49_2804:
	v_cmp_ne_u16_e32 vcc, 0, v3
	s_andn2_b64 s[4:5], s[4:5], exec
	s_and_b64 s[8:9], vcc, exec
	v_mov_b32_e32 v2, 0
	s_or_b64 s[4:5], s[4:5], s[8:9]
	s_or_b64 exec, exec, s[6:7]
	s_and_saveexec_b64 s[6:7], s[4:5]
	s_cbranch_execnz .LBB49_755
	s_branch .LBB49_756
.LBB49_2805:
	s_movk_i32 s4, 0x80
	v_cmp_eq_u16_e32 vcc, s4, v3
	s_mov_b64 s[4:5], -1
                                        ; implicit-def: $sgpr10
	s_and_saveexec_b64 s[8:9], vcc
; %bb.2806:
	s_mov_b32 s10, 0x7f800001
	s_xor_b64 s[4:5], exec, -1
; %bb.2807:
	s_or_b64 exec, exec, s[8:9]
	s_and_b64 s[4:5], s[4:5], exec
                                        ; implicit-def: $vgpr3
	s_or_saveexec_b64 s[6:7], s[6:7]
	v_mov_b32_e32 v4, s10
	s_xor_b64 exec, exec, s[6:7]
	s_cbranch_execz .LBB49_758
.LBB49_2808:
	v_cmp_ne_u16_e32 vcc, 0, v3
	s_andn2_b64 s[4:5], s[4:5], exec
	s_and_b64 s[8:9], vcc, exec
	v_mov_b32_e32 v4, 0
	s_or_b64 s[4:5], s[4:5], s[8:9]
	s_or_b64 exec, exec, s[6:7]
	s_and_saveexec_b64 s[6:7], s[4:5]
	s_cbranch_execnz .LBB49_759
	s_branch .LBB49_760
.LBB49_2809:
	s_movk_i32 s4, 0x80
	v_cmp_eq_u16_sdwa s[12:13], v9, s4 src0_sel:BYTE_3 src1_sel:DWORD
	s_mov_b64 s[4:5], -1
                                        ; implicit-def: $sgpr10
	s_and_saveexec_b64 s[8:9], s[12:13]
; %bb.2810:
	s_mov_b32 s10, 0x7f800001
	s_xor_b64 s[4:5], exec, -1
; %bb.2811:
	s_or_b64 exec, exec, s[8:9]
	s_and_b64 s[4:5], s[4:5], exec
	s_or_saveexec_b64 s[6:7], s[6:7]
	v_mov_b32_e32 v2, s10
	s_xor_b64 exec, exec, s[6:7]
	s_cbranch_execz .LBB49_762
.LBB49_2812:
	v_mov_b32_e32 v2, 0
	v_cmp_ne_u16_sdwa s[8:9], v9, v2 src0_sel:BYTE_3 src1_sel:DWORD
	s_andn2_b64 s[4:5], s[4:5], exec
	s_and_b64 s[8:9], s[8:9], exec
	s_or_b64 s[4:5], s[4:5], s[8:9]
	s_or_b64 exec, exec, s[6:7]
	s_and_saveexec_b64 s[6:7], s[4:5]
	s_cbranch_execnz .LBB49_763
	s_branch .LBB49_764
.LBB49_2813:
	s_movk_i32 s4, 0x80
	v_cmp_eq_u16_sdwa s[12:13], v5, s4 src0_sel:BYTE_3 src1_sel:DWORD
	s_mov_b64 s[4:5], -1
                                        ; implicit-def: $sgpr10
	s_and_saveexec_b64 s[8:9], s[12:13]
; %bb.2814:
	s_mov_b32 s10, 0x7f800001
	s_xor_b64 s[4:5], exec, -1
; %bb.2815:
	s_or_b64 exec, exec, s[8:9]
	s_and_b64 s[4:5], s[4:5], exec
	s_or_saveexec_b64 s[6:7], s[6:7]
	v_mov_b32_e32 v3, s10
	s_xor_b64 exec, exec, s[6:7]
	s_cbranch_execz .LBB49_766
.LBB49_2816:
	v_mov_b32_e32 v3, 0
	v_cmp_ne_u16_sdwa s[8:9], v5, v3 src0_sel:BYTE_3 src1_sel:DWORD
	s_andn2_b64 s[4:5], s[4:5], exec
	s_and_b64 s[8:9], s[8:9], exec
	s_or_b64 s[4:5], s[4:5], s[8:9]
	s_or_b64 exec, exec, s[6:7]
	s_and_saveexec_b64 s[6:7], s[4:5]
	s_cbranch_execnz .LBB49_767
	s_branch .LBB49_768
.LBB49_2817:
	s_movk_i32 s4, 0x80
	v_cmp_eq_u16_sdwa s[12:13], v14, s4 src0_sel:BYTE_0 src1_sel:DWORD
	s_mov_b64 s[4:5], -1
                                        ; implicit-def: $sgpr10
	s_and_saveexec_b64 s[8:9], s[12:13]
; %bb.2818:
	s_mov_b32 s10, 0x7f800001
	s_xor_b64 s[4:5], exec, -1
; %bb.2819:
	s_or_b64 exec, exec, s[8:9]
	s_and_b64 s[4:5], s[4:5], exec
	s_or_saveexec_b64 s[6:7], s[6:7]
	v_mov_b32_e32 v20, s10
	s_xor_b64 exec, exec, s[6:7]
	s_cbranch_execz .LBB49_770
.LBB49_2820:
	v_mov_b32_e32 v20, 0
	v_cmp_ne_u16_sdwa s[8:9], v14, v20 src0_sel:BYTE_0 src1_sel:DWORD
	s_andn2_b64 s[4:5], s[4:5], exec
	s_and_b64 s[8:9], s[8:9], exec
	s_or_b64 s[4:5], s[4:5], s[8:9]
	s_or_b64 exec, exec, s[6:7]
	s_and_saveexec_b64 s[6:7], s[4:5]
	s_cbranch_execnz .LBB49_771
	s_branch .LBB49_772
.LBB49_2821:
	s_movk_i32 s4, 0x80
	v_cmp_eq_u16_sdwa s[12:13], v10, s4 src0_sel:BYTE_0 src1_sel:DWORD
	s_mov_b64 s[4:5], -1
                                        ; implicit-def: $sgpr10
	s_and_saveexec_b64 s[8:9], s[12:13]
; %bb.2822:
	s_mov_b32 s10, 0x7f800001
	s_xor_b64 s[4:5], exec, -1
; %bb.2823:
	s_or_b64 exec, exec, s[8:9]
	s_and_b64 s[4:5], s[4:5], exec
	s_or_saveexec_b64 s[6:7], s[6:7]
	v_mov_b32_e32 v21, s10
	s_xor_b64 exec, exec, s[6:7]
	s_cbranch_execz .LBB49_774
.LBB49_2824:
	v_mov_b32_e32 v21, 0
	v_cmp_ne_u16_sdwa s[8:9], v10, v21 src0_sel:BYTE_0 src1_sel:DWORD
	s_andn2_b64 s[4:5], s[4:5], exec
	s_and_b64 s[8:9], s[8:9], exec
	s_or_b64 s[4:5], s[4:5], s[8:9]
	s_or_b64 exec, exec, s[6:7]
	s_and_saveexec_b64 s[6:7], s[4:5]
	s_cbranch_execnz .LBB49_775
	s_branch .LBB49_776
.LBB49_2825:
	s_movk_i32 s4, 0x80
	v_cmp_eq_u16_sdwa s[12:13], v21, s4 src0_sel:BYTE_0 src1_sel:DWORD
	s_mov_b64 s[4:5], -1
                                        ; implicit-def: $sgpr10
	s_and_saveexec_b64 s[8:9], s[12:13]
; %bb.2826:
	s_mov_b32 s10, 0x7f800001
	s_xor_b64 s[4:5], exec, -1
; %bb.2827:
	s_or_b64 exec, exec, s[8:9]
	s_and_b64 s[4:5], s[4:5], exec
	s_or_saveexec_b64 s[6:7], s[6:7]
	v_mov_b32_e32 v20, s10
	s_xor_b64 exec, exec, s[6:7]
	s_cbranch_execz .LBB49_778
.LBB49_2828:
	v_mov_b32_e32 v20, 0
	v_cmp_ne_u16_sdwa s[8:9], v21, v20 src0_sel:BYTE_0 src1_sel:DWORD
	s_andn2_b64 s[4:5], s[4:5], exec
	s_and_b64 s[8:9], s[8:9], exec
	s_or_b64 s[4:5], s[4:5], s[8:9]
	s_or_b64 exec, exec, s[6:7]
	s_and_saveexec_b64 s[6:7], s[4:5]
	s_cbranch_execnz .LBB49_779
	s_branch .LBB49_780
.LBB49_2829:
	s_movk_i32 s4, 0x80
	v_cmp_eq_u16_sdwa s[12:13], v21, s4 src0_sel:BYTE_0 src1_sel:DWORD
	s_mov_b64 s[4:5], -1
                                        ; implicit-def: $sgpr10
	s_and_saveexec_b64 s[8:9], s[12:13]
; %bb.2830:
	s_mov_b32 s10, 0x7f800001
	s_xor_b64 s[4:5], exec, -1
; %bb.2831:
	s_or_b64 exec, exec, s[8:9]
	s_and_b64 s[4:5], s[4:5], exec
	s_or_saveexec_b64 s[6:7], s[6:7]
	v_mov_b32_e32 v22, s10
	s_xor_b64 exec, exec, s[6:7]
	s_cbranch_execz .LBB49_782
.LBB49_2832:
	v_mov_b32_e32 v22, 0
	v_cmp_ne_u16_sdwa s[8:9], v21, v22 src0_sel:BYTE_0 src1_sel:DWORD
	s_andn2_b64 s[4:5], s[4:5], exec
	s_and_b64 s[8:9], s[8:9], exec
	s_or_b64 s[4:5], s[4:5], s[8:9]
	s_or_b64 exec, exec, s[6:7]
	s_and_saveexec_b64 s[6:7], s[4:5]
	s_cbranch_execnz .LBB49_783
	s_branch .LBB49_784
.LBB49_2833:
	s_movk_i32 s4, 0x80
	v_cmp_eq_u16_e32 vcc, s4, v21
	s_mov_b64 s[4:5], -1
                                        ; implicit-def: $sgpr10
	s_and_saveexec_b64 s[8:9], vcc
; %bb.2834:
	s_mov_b32 s10, 0x7f800001
	s_xor_b64 s[4:5], exec, -1
; %bb.2835:
	s_or_b64 exec, exec, s[8:9]
	s_and_b64 s[4:5], s[4:5], exec
                                        ; implicit-def: $vgpr21
	s_or_saveexec_b64 s[6:7], s[6:7]
	v_mov_b32_e32 v20, s10
	s_xor_b64 exec, exec, s[6:7]
	s_cbranch_execz .LBB49_786
.LBB49_2836:
	v_cmp_ne_u16_e32 vcc, 0, v21
	s_andn2_b64 s[4:5], s[4:5], exec
	s_and_b64 s[8:9], vcc, exec
	v_mov_b32_e32 v20, 0
	s_or_b64 s[4:5], s[4:5], s[8:9]
	s_or_b64 exec, exec, s[6:7]
	s_and_saveexec_b64 s[6:7], s[4:5]
	s_cbranch_execnz .LBB49_787
	s_branch .LBB49_788
.LBB49_2837:
	s_movk_i32 s4, 0x80
	v_cmp_eq_u16_e32 vcc, s4, v21
	s_mov_b64 s[4:5], -1
                                        ; implicit-def: $sgpr10
	s_and_saveexec_b64 s[8:9], vcc
; %bb.2838:
	s_mov_b32 s10, 0x7f800001
	s_xor_b64 s[4:5], exec, -1
; %bb.2839:
	s_or_b64 exec, exec, s[8:9]
	s_and_b64 s[4:5], s[4:5], exec
                                        ; implicit-def: $vgpr21
	s_or_saveexec_b64 s[6:7], s[6:7]
	v_mov_b32_e32 v22, s10
	s_xor_b64 exec, exec, s[6:7]
	s_cbranch_execz .LBB49_790
.LBB49_2840:
	v_cmp_ne_u16_e32 vcc, 0, v21
	s_andn2_b64 s[4:5], s[4:5], exec
	s_and_b64 s[8:9], vcc, exec
	v_mov_b32_e32 v22, 0
	s_or_b64 s[4:5], s[4:5], s[8:9]
	s_or_b64 exec, exec, s[6:7]
	s_and_saveexec_b64 s[6:7], s[4:5]
	s_cbranch_execnz .LBB49_791
	s_branch .LBB49_792
.LBB49_2841:
	s_movk_i32 s4, 0x80
	v_cmp_eq_u16_sdwa s[12:13], v14, s4 src0_sel:BYTE_3 src1_sel:DWORD
	s_mov_b64 s[4:5], -1
                                        ; implicit-def: $sgpr10
	s_and_saveexec_b64 s[8:9], s[12:13]
; %bb.2842:
	s_mov_b32 s10, 0x7f800001
	s_xor_b64 s[4:5], exec, -1
; %bb.2843:
	s_or_b64 exec, exec, s[8:9]
	s_and_b64 s[4:5], s[4:5], exec
	s_or_saveexec_b64 s[6:7], s[6:7]
	v_mov_b32_e32 v20, s10
	s_xor_b64 exec, exec, s[6:7]
	s_cbranch_execz .LBB49_794
.LBB49_2844:
	v_mov_b32_e32 v20, 0
	v_cmp_ne_u16_sdwa s[8:9], v14, v20 src0_sel:BYTE_3 src1_sel:DWORD
	s_andn2_b64 s[4:5], s[4:5], exec
	s_and_b64 s[8:9], s[8:9], exec
	s_or_b64 s[4:5], s[4:5], s[8:9]
	s_or_b64 exec, exec, s[6:7]
	s_and_saveexec_b64 s[6:7], s[4:5]
	s_cbranch_execnz .LBB49_795
	s_branch .LBB49_796
.LBB49_2845:
	s_movk_i32 s4, 0x80
	v_cmp_eq_u16_sdwa s[12:13], v10, s4 src0_sel:BYTE_3 src1_sel:DWORD
	s_mov_b64 s[4:5], -1
                                        ; implicit-def: $sgpr10
	s_and_saveexec_b64 s[8:9], s[12:13]
; %bb.2846:
	s_mov_b32 s10, 0x7f800001
	s_xor_b64 s[4:5], exec, -1
; %bb.2847:
	s_or_b64 exec, exec, s[8:9]
	s_and_b64 s[4:5], s[4:5], exec
	s_or_saveexec_b64 s[6:7], s[6:7]
	v_mov_b32_e32 v14, s10
	s_xor_b64 exec, exec, s[6:7]
	s_cbranch_execz .LBB49_798
.LBB49_2848:
	v_mov_b32_e32 v14, 0
	v_cmp_ne_u16_sdwa s[8:9], v10, v14 src0_sel:BYTE_3 src1_sel:DWORD
	s_andn2_b64 s[4:5], s[4:5], exec
	s_and_b64 s[8:9], s[8:9], exec
	s_or_b64 s[4:5], s[4:5], s[8:9]
	s_or_b64 exec, exec, s[6:7]
	s_and_saveexec_b64 s[6:7], s[4:5]
	s_cbranch_execnz .LBB49_799
	s_branch .LBB49_800
.LBB49_2849:
	s_movk_i32 s4, 0x80
	v_cmp_eq_u16_sdwa s[12:13], v15, s4 src0_sel:BYTE_0 src1_sel:DWORD
	s_mov_b64 s[4:5], -1
                                        ; implicit-def: $sgpr10
	s_and_saveexec_b64 s[8:9], s[12:13]
; %bb.2850:
	s_mov_b32 s10, 0x7f800001
	s_xor_b64 s[4:5], exec, -1
; %bb.2851:
	s_or_b64 exec, exec, s[8:9]
	s_and_b64 s[4:5], s[4:5], exec
	s_or_saveexec_b64 s[6:7], s[6:7]
	v_mov_b32_e32 v10, s10
	s_xor_b64 exec, exec, s[6:7]
	s_cbranch_execz .LBB49_802
.LBB49_2852:
	v_mov_b32_e32 v10, 0
	v_cmp_ne_u16_sdwa s[8:9], v15, v10 src0_sel:BYTE_0 src1_sel:DWORD
	s_andn2_b64 s[4:5], s[4:5], exec
	s_and_b64 s[8:9], s[8:9], exec
	s_or_b64 s[4:5], s[4:5], s[8:9]
	s_or_b64 exec, exec, s[6:7]
	s_and_saveexec_b64 s[6:7], s[4:5]
	s_cbranch_execnz .LBB49_803
	s_branch .LBB49_804
.LBB49_2853:
	s_movk_i32 s4, 0x80
	v_cmp_eq_u16_sdwa s[12:13], v11, s4 src0_sel:BYTE_0 src1_sel:DWORD
	s_mov_b64 s[4:5], -1
                                        ; implicit-def: $sgpr10
	s_and_saveexec_b64 s[8:9], s[12:13]
; %bb.2854:
	s_mov_b32 s10, 0x7f800001
	s_xor_b64 s[4:5], exec, -1
; %bb.2855:
	s_or_b64 exec, exec, s[8:9]
	s_and_b64 s[4:5], s[4:5], exec
	s_or_saveexec_b64 s[6:7], s[6:7]
	v_mov_b32_e32 v14, s10
	s_xor_b64 exec, exec, s[6:7]
	s_cbranch_execz .LBB49_806
.LBB49_2856:
	v_mov_b32_e32 v14, 0
	v_cmp_ne_u16_sdwa s[8:9], v11, v14 src0_sel:BYTE_0 src1_sel:DWORD
	s_andn2_b64 s[4:5], s[4:5], exec
	s_and_b64 s[8:9], s[8:9], exec
	s_or_b64 s[4:5], s[4:5], s[8:9]
	s_or_b64 exec, exec, s[6:7]
	s_and_saveexec_b64 s[6:7], s[4:5]
	s_cbranch_execnz .LBB49_807
	s_branch .LBB49_808
.LBB49_2857:
	s_movk_i32 s4, 0x80
	v_cmp_eq_u16_sdwa s[12:13], v14, s4 src0_sel:BYTE_0 src1_sel:DWORD
	s_mov_b64 s[4:5], -1
                                        ; implicit-def: $sgpr10
	s_and_saveexec_b64 s[8:9], s[12:13]
; %bb.2858:
	s_mov_b32 s10, 0x7f800001
	s_xor_b64 s[4:5], exec, -1
; %bb.2859:
	s_or_b64 exec, exec, s[8:9]
	s_and_b64 s[4:5], s[4:5], exec
	s_or_saveexec_b64 s[6:7], s[6:7]
	v_mov_b32_e32 v10, s10
	s_xor_b64 exec, exec, s[6:7]
	s_cbranch_execz .LBB49_810
.LBB49_2860:
	v_mov_b32_e32 v10, 0
	v_cmp_ne_u16_sdwa s[8:9], v14, v10 src0_sel:BYTE_0 src1_sel:DWORD
	s_andn2_b64 s[4:5], s[4:5], exec
	s_and_b64 s[8:9], s[8:9], exec
	s_or_b64 s[4:5], s[4:5], s[8:9]
	s_or_b64 exec, exec, s[6:7]
	s_and_saveexec_b64 s[6:7], s[4:5]
	s_cbranch_execnz .LBB49_811
	s_branch .LBB49_812
.LBB49_2861:
	s_movk_i32 s4, 0x80
	v_cmp_eq_u16_sdwa s[12:13], v14, s4 src0_sel:BYTE_0 src1_sel:DWORD
	s_mov_b64 s[4:5], -1
                                        ; implicit-def: $sgpr10
	s_and_saveexec_b64 s[8:9], s[12:13]
; %bb.2862:
	s_mov_b32 s10, 0x7f800001
	s_xor_b64 s[4:5], exec, -1
; %bb.2863:
	s_or_b64 exec, exec, s[8:9]
	s_and_b64 s[4:5], s[4:5], exec
	s_or_saveexec_b64 s[6:7], s[6:7]
	v_mov_b32_e32 v20, s10
	s_xor_b64 exec, exec, s[6:7]
	s_cbranch_execz .LBB49_814
.LBB49_2864:
	v_mov_b32_e32 v20, 0
	v_cmp_ne_u16_sdwa s[8:9], v14, v20 src0_sel:BYTE_0 src1_sel:DWORD
	s_andn2_b64 s[4:5], s[4:5], exec
	s_and_b64 s[8:9], s[8:9], exec
	s_or_b64 s[4:5], s[4:5], s[8:9]
	s_or_b64 exec, exec, s[6:7]
	s_and_saveexec_b64 s[6:7], s[4:5]
	s_cbranch_execnz .LBB49_815
	s_branch .LBB49_816
.LBB49_2865:
	s_movk_i32 s4, 0x80
	v_cmp_eq_u16_e32 vcc, s4, v14
	s_mov_b64 s[4:5], -1
                                        ; implicit-def: $sgpr10
	s_and_saveexec_b64 s[8:9], vcc
; %bb.2866:
	s_mov_b32 s10, 0x7f800001
	s_xor_b64 s[4:5], exec, -1
; %bb.2867:
	s_or_b64 exec, exec, s[8:9]
	s_and_b64 s[4:5], s[4:5], exec
                                        ; implicit-def: $vgpr14
	s_or_saveexec_b64 s[6:7], s[6:7]
	v_mov_b32_e32 v10, s10
	s_xor_b64 exec, exec, s[6:7]
	s_cbranch_execz .LBB49_818
.LBB49_2868:
	v_cmp_ne_u16_e32 vcc, 0, v14
	s_andn2_b64 s[4:5], s[4:5], exec
	s_and_b64 s[8:9], vcc, exec
	v_mov_b32_e32 v10, 0
	s_or_b64 s[4:5], s[4:5], s[8:9]
	s_or_b64 exec, exec, s[6:7]
	s_and_saveexec_b64 s[6:7], s[4:5]
	s_cbranch_execnz .LBB49_819
	s_branch .LBB49_820
.LBB49_2869:
	s_movk_i32 s4, 0x80
	v_cmp_eq_u16_e32 vcc, s4, v14
	s_mov_b64 s[4:5], -1
                                        ; implicit-def: $sgpr10
	s_and_saveexec_b64 s[8:9], vcc
; %bb.2870:
	s_mov_b32 s10, 0x7f800001
	s_xor_b64 s[4:5], exec, -1
; %bb.2871:
	s_or_b64 exec, exec, s[8:9]
	s_and_b64 s[4:5], s[4:5], exec
                                        ; implicit-def: $vgpr14
	s_or_saveexec_b64 s[6:7], s[6:7]
	v_mov_b32_e32 v20, s10
	s_xor_b64 exec, exec, s[6:7]
	s_cbranch_execz .LBB49_822
.LBB49_2872:
	v_cmp_ne_u16_e32 vcc, 0, v14
	s_andn2_b64 s[4:5], s[4:5], exec
	s_and_b64 s[8:9], vcc, exec
	v_mov_b32_e32 v20, 0
	s_or_b64 s[4:5], s[4:5], s[8:9]
	s_or_b64 exec, exec, s[6:7]
	s_and_saveexec_b64 s[6:7], s[4:5]
	s_cbranch_execnz .LBB49_823
	s_branch .LBB49_824
.LBB49_2873:
	s_movk_i32 s4, 0x80
	v_cmp_eq_u16_sdwa s[12:13], v15, s4 src0_sel:BYTE_3 src1_sel:DWORD
	s_mov_b64 s[4:5], -1
                                        ; implicit-def: $sgpr10
	s_and_saveexec_b64 s[8:9], s[12:13]
; %bb.2874:
	s_mov_b32 s10, 0x7f800001
	s_xor_b64 s[4:5], exec, -1
; %bb.2875:
	s_or_b64 exec, exec, s[8:9]
	s_and_b64 s[4:5], s[4:5], exec
	s_or_saveexec_b64 s[6:7], s[6:7]
	v_mov_b32_e32 v10, s10
	s_xor_b64 exec, exec, s[6:7]
	s_cbranch_execz .LBB49_826
.LBB49_2876:
	v_mov_b32_e32 v10, 0
	v_cmp_ne_u16_sdwa s[8:9], v15, v10 src0_sel:BYTE_3 src1_sel:DWORD
	s_andn2_b64 s[4:5], s[4:5], exec
	s_and_b64 s[8:9], s[8:9], exec
	s_or_b64 s[4:5], s[4:5], s[8:9]
	s_or_b64 exec, exec, s[6:7]
	s_and_saveexec_b64 s[6:7], s[4:5]
	s_cbranch_execnz .LBB49_827
	s_branch .LBB49_828
.LBB49_2877:
	s_movk_i32 s4, 0x80
	v_cmp_eq_u16_sdwa s[12:13], v11, s4 src0_sel:BYTE_3 src1_sel:DWORD
	s_mov_b64 s[4:5], -1
                                        ; implicit-def: $sgpr10
	s_and_saveexec_b64 s[8:9], s[12:13]
; %bb.2878:
	s_mov_b32 s10, 0x7f800001
	s_xor_b64 s[4:5], exec, -1
; %bb.2879:
	s_or_b64 exec, exec, s[8:9]
	s_and_b64 s[4:5], s[4:5], exec
	s_or_saveexec_b64 s[6:7], s[6:7]
	v_mov_b32_e32 v14, s10
	s_xor_b64 exec, exec, s[6:7]
	s_cbranch_execz .LBB49_830
.LBB49_2880:
	v_mov_b32_e32 v14, 0
	v_cmp_ne_u16_sdwa s[8:9], v11, v14 src0_sel:BYTE_3 src1_sel:DWORD
	s_andn2_b64 s[4:5], s[4:5], exec
	s_and_b64 s[8:9], s[8:9], exec
	s_or_b64 s[4:5], s[4:5], s[8:9]
	s_or_b64 exec, exec, s[6:7]
	s_and_saveexec_b64 s[6:7], s[4:5]
	s_cbranch_execnz .LBB49_831
	s_branch .LBB49_832
.LBB49_2881:
	s_movk_i32 s4, 0x80
	v_cmp_eq_u16_sdwa s[12:13], v16, s4 src0_sel:BYTE_0 src1_sel:DWORD
	s_mov_b64 s[4:5], -1
                                        ; implicit-def: $sgpr10
	s_and_saveexec_b64 s[8:9], s[12:13]
; %bb.2882:
	s_mov_b32 s10, 0x7f800001
	s_xor_b64 s[4:5], exec, -1
; %bb.2883:
	s_or_b64 exec, exec, s[8:9]
	s_and_b64 s[4:5], s[4:5], exec
	s_or_saveexec_b64 s[6:7], s[6:7]
	v_mov_b32_e32 v10, s10
	s_xor_b64 exec, exec, s[6:7]
	s_cbranch_execz .LBB49_834
.LBB49_2884:
	v_mov_b32_e32 v10, 0
	v_cmp_ne_u16_sdwa s[8:9], v16, v10 src0_sel:BYTE_0 src1_sel:DWORD
	s_andn2_b64 s[4:5], s[4:5], exec
	s_and_b64 s[8:9], s[8:9], exec
	s_or_b64 s[4:5], s[4:5], s[8:9]
	s_or_b64 exec, exec, s[6:7]
	s_and_saveexec_b64 s[6:7], s[4:5]
	s_cbranch_execnz .LBB49_835
	s_branch .LBB49_836
.LBB49_2885:
	s_movk_i32 s4, 0x80
	v_cmp_eq_u16_sdwa s[12:13], v12, s4 src0_sel:BYTE_0 src1_sel:DWORD
	s_mov_b64 s[4:5], -1
                                        ; implicit-def: $sgpr10
	s_and_saveexec_b64 s[8:9], s[12:13]
; %bb.2886:
	s_mov_b32 s10, 0x7f800001
	s_xor_b64 s[4:5], exec, -1
; %bb.2887:
	s_or_b64 exec, exec, s[8:9]
	s_and_b64 s[4:5], s[4:5], exec
	s_or_saveexec_b64 s[6:7], s[6:7]
	v_mov_b32_e32 v11, s10
	s_xor_b64 exec, exec, s[6:7]
	s_cbranch_execz .LBB49_838
.LBB49_2888:
	v_mov_b32_e32 v11, 0
	v_cmp_ne_u16_sdwa s[8:9], v12, v11 src0_sel:BYTE_0 src1_sel:DWORD
	s_andn2_b64 s[4:5], s[4:5], exec
	s_and_b64 s[8:9], s[8:9], exec
	s_or_b64 s[4:5], s[4:5], s[8:9]
	s_or_b64 exec, exec, s[6:7]
	s_and_saveexec_b64 s[6:7], s[4:5]
	s_cbranch_execnz .LBB49_839
	s_branch .LBB49_840
.LBB49_2889:
	s_movk_i32 s4, 0x80
	v_cmp_eq_u16_sdwa s[12:13], v11, s4 src0_sel:BYTE_0 src1_sel:DWORD
	s_mov_b64 s[4:5], -1
                                        ; implicit-def: $sgpr10
	s_and_saveexec_b64 s[8:9], s[12:13]
; %bb.2890:
	s_mov_b32 s10, 0x7f800001
	s_xor_b64 s[4:5], exec, -1
; %bb.2891:
	s_or_b64 exec, exec, s[8:9]
	s_and_b64 s[4:5], s[4:5], exec
	s_or_saveexec_b64 s[6:7], s[6:7]
	v_mov_b32_e32 v10, s10
	s_xor_b64 exec, exec, s[6:7]
	s_cbranch_execz .LBB49_842
.LBB49_2892:
	v_mov_b32_e32 v10, 0
	v_cmp_ne_u16_sdwa s[8:9], v11, v10 src0_sel:BYTE_0 src1_sel:DWORD
	s_andn2_b64 s[4:5], s[4:5], exec
	s_and_b64 s[8:9], s[8:9], exec
	s_or_b64 s[4:5], s[4:5], s[8:9]
	s_or_b64 exec, exec, s[6:7]
	s_and_saveexec_b64 s[6:7], s[4:5]
	s_cbranch_execnz .LBB49_843
	s_branch .LBB49_844
.LBB49_2893:
	s_movk_i32 s4, 0x80
	v_cmp_eq_u16_sdwa s[12:13], v11, s4 src0_sel:BYTE_0 src1_sel:DWORD
	s_mov_b64 s[4:5], -1
                                        ; implicit-def: $sgpr10
	s_and_saveexec_b64 s[8:9], s[12:13]
; %bb.2894:
	s_mov_b32 s10, 0x7f800001
	s_xor_b64 s[4:5], exec, -1
; %bb.2895:
	s_or_b64 exec, exec, s[8:9]
	s_and_b64 s[4:5], s[4:5], exec
	s_or_saveexec_b64 s[6:7], s[6:7]
	v_mov_b32_e32 v14, s10
	s_xor_b64 exec, exec, s[6:7]
	s_cbranch_execz .LBB49_846
.LBB49_2896:
	v_mov_b32_e32 v14, 0
	v_cmp_ne_u16_sdwa s[8:9], v11, v14 src0_sel:BYTE_0 src1_sel:DWORD
	s_andn2_b64 s[4:5], s[4:5], exec
	s_and_b64 s[8:9], s[8:9], exec
	s_or_b64 s[4:5], s[4:5], s[8:9]
	s_or_b64 exec, exec, s[6:7]
	s_and_saveexec_b64 s[6:7], s[4:5]
	s_cbranch_execnz .LBB49_847
	s_branch .LBB49_848
.LBB49_2897:
	s_movk_i32 s4, 0x80
	v_cmp_eq_u16_e32 vcc, s4, v11
	s_mov_b64 s[4:5], -1
                                        ; implicit-def: $sgpr10
	s_and_saveexec_b64 s[8:9], vcc
; %bb.2898:
	s_mov_b32 s10, 0x7f800001
	s_xor_b64 s[4:5], exec, -1
; %bb.2899:
	s_or_b64 exec, exec, s[8:9]
	s_and_b64 s[4:5], s[4:5], exec
                                        ; implicit-def: $vgpr11
	s_or_saveexec_b64 s[6:7], s[6:7]
	v_mov_b32_e32 v10, s10
	s_xor_b64 exec, exec, s[6:7]
	s_cbranch_execz .LBB49_850
.LBB49_2900:
	v_cmp_ne_u16_e32 vcc, 0, v11
	s_andn2_b64 s[4:5], s[4:5], exec
	s_and_b64 s[8:9], vcc, exec
	v_mov_b32_e32 v10, 0
	s_or_b64 s[4:5], s[4:5], s[8:9]
	s_or_b64 exec, exec, s[6:7]
	s_and_saveexec_b64 s[6:7], s[4:5]
	s_cbranch_execnz .LBB49_851
	s_branch .LBB49_852
.LBB49_2901:
	s_movk_i32 s4, 0x80
	v_cmp_eq_u16_e32 vcc, s4, v11
	s_mov_b64 s[4:5], -1
                                        ; implicit-def: $sgpr10
	s_and_saveexec_b64 s[8:9], vcc
; %bb.2902:
	s_mov_b32 s10, 0x7f800001
	s_xor_b64 s[4:5], exec, -1
; %bb.2903:
	s_or_b64 exec, exec, s[8:9]
	s_and_b64 s[4:5], s[4:5], exec
                                        ; implicit-def: $vgpr11
	s_or_saveexec_b64 s[6:7], s[6:7]
	v_mov_b32_e32 v14, s10
	s_xor_b64 exec, exec, s[6:7]
	s_cbranch_execz .LBB49_854
.LBB49_2904:
	v_cmp_ne_u16_e32 vcc, 0, v11
	s_andn2_b64 s[4:5], s[4:5], exec
	s_and_b64 s[8:9], vcc, exec
	v_mov_b32_e32 v14, 0
	s_or_b64 s[4:5], s[4:5], s[8:9]
	s_or_b64 exec, exec, s[6:7]
	s_and_saveexec_b64 s[6:7], s[4:5]
	s_cbranch_execnz .LBB49_855
	s_branch .LBB49_856
.LBB49_2905:
	s_movk_i32 s4, 0x80
	v_cmp_eq_u16_sdwa s[12:13], v16, s4 src0_sel:BYTE_3 src1_sel:DWORD
	s_mov_b64 s[4:5], -1
                                        ; implicit-def: $sgpr10
	s_and_saveexec_b64 s[8:9], s[12:13]
; %bb.2906:
	s_mov_b32 s10, 0x7f800001
	s_xor_b64 s[4:5], exec, -1
; %bb.2907:
	s_or_b64 exec, exec, s[8:9]
	s_and_b64 s[4:5], s[4:5], exec
	s_or_saveexec_b64 s[6:7], s[6:7]
	v_mov_b32_e32 v10, s10
	s_xor_b64 exec, exec, s[6:7]
	s_cbranch_execz .LBB49_858
.LBB49_2908:
	v_mov_b32_e32 v10, 0
	v_cmp_ne_u16_sdwa s[8:9], v16, v10 src0_sel:BYTE_3 src1_sel:DWORD
	s_andn2_b64 s[4:5], s[4:5], exec
	s_and_b64 s[8:9], s[8:9], exec
	s_or_b64 s[4:5], s[4:5], s[8:9]
	s_or_b64 exec, exec, s[6:7]
	s_and_saveexec_b64 s[6:7], s[4:5]
	s_cbranch_execnz .LBB49_859
	s_branch .LBB49_860
.LBB49_2909:
	s_movk_i32 s4, 0x80
	v_cmp_eq_u16_sdwa s[12:13], v12, s4 src0_sel:BYTE_3 src1_sel:DWORD
	s_mov_b64 s[4:5], -1
                                        ; implicit-def: $sgpr10
	s_and_saveexec_b64 s[8:9], s[12:13]
; %bb.2910:
	s_mov_b32 s10, 0x7f800001
	s_xor_b64 s[4:5], exec, -1
; %bb.2911:
	s_or_b64 exec, exec, s[8:9]
	s_and_b64 s[4:5], s[4:5], exec
	s_or_saveexec_b64 s[6:7], s[6:7]
	v_mov_b32_e32 v11, s10
	s_xor_b64 exec, exec, s[6:7]
	s_cbranch_execz .LBB49_862
.LBB49_2912:
	v_mov_b32_e32 v11, 0
	v_cmp_ne_u16_sdwa s[8:9], v12, v11 src0_sel:BYTE_3 src1_sel:DWORD
	s_andn2_b64 s[4:5], s[4:5], exec
	s_and_b64 s[8:9], s[8:9], exec
	s_or_b64 s[4:5], s[4:5], s[8:9]
	s_or_b64 exec, exec, s[6:7]
	s_and_saveexec_b64 s[6:7], s[4:5]
	s_cbranch_execnz .LBB49_863
	s_branch .LBB49_864
.LBB49_2913:
	s_movk_i32 s4, 0x80
	v_cmp_eq_u16_sdwa s[12:13], v17, s4 src0_sel:BYTE_0 src1_sel:DWORD
	s_mov_b64 s[4:5], -1
                                        ; implicit-def: $sgpr10
	s_and_saveexec_b64 s[8:9], s[12:13]
; %bb.2914:
	s_mov_b32 s10, 0x7f800001
	s_xor_b64 s[4:5], exec, -1
; %bb.2915:
	s_or_b64 exec, exec, s[8:9]
	s_and_b64 s[4:5], s[4:5], exec
	s_or_saveexec_b64 s[6:7], s[6:7]
	v_mov_b32_e32 v10, s10
	s_xor_b64 exec, exec, s[6:7]
	s_cbranch_execz .LBB49_866
.LBB49_2916:
	v_mov_b32_e32 v10, 0
	v_cmp_ne_u16_sdwa s[8:9], v17, v10 src0_sel:BYTE_0 src1_sel:DWORD
	s_andn2_b64 s[4:5], s[4:5], exec
	s_and_b64 s[8:9], s[8:9], exec
	s_or_b64 s[4:5], s[4:5], s[8:9]
	s_or_b64 exec, exec, s[6:7]
	s_and_saveexec_b64 s[6:7], s[4:5]
	s_cbranch_execnz .LBB49_867
	s_branch .LBB49_868
.LBB49_2917:
	s_movk_i32 s4, 0x80
	v_cmp_eq_u16_sdwa s[12:13], v13, s4 src0_sel:BYTE_0 src1_sel:DWORD
	s_mov_b64 s[4:5], -1
                                        ; implicit-def: $sgpr10
	s_and_saveexec_b64 s[8:9], s[12:13]
; %bb.2918:
	s_mov_b32 s10, 0x7f800001
	s_xor_b64 s[4:5], exec, -1
; %bb.2919:
	s_or_b64 exec, exec, s[8:9]
	s_and_b64 s[4:5], s[4:5], exec
	s_or_saveexec_b64 s[6:7], s[6:7]
	v_mov_b32_e32 v11, s10
	s_xor_b64 exec, exec, s[6:7]
	s_cbranch_execz .LBB49_870
.LBB49_2920:
	v_mov_b32_e32 v11, 0
	v_cmp_ne_u16_sdwa s[8:9], v13, v11 src0_sel:BYTE_0 src1_sel:DWORD
	s_andn2_b64 s[4:5], s[4:5], exec
	s_and_b64 s[8:9], s[8:9], exec
	s_or_b64 s[4:5], s[4:5], s[8:9]
	s_or_b64 exec, exec, s[6:7]
	s_and_saveexec_b64 s[6:7], s[4:5]
	s_cbranch_execnz .LBB49_871
	s_branch .LBB49_872
.LBB49_2921:
	s_movk_i32 s4, 0x80
	v_cmp_eq_u16_sdwa s[12:13], v11, s4 src0_sel:BYTE_0 src1_sel:DWORD
	s_mov_b64 s[4:5], -1
                                        ; implicit-def: $sgpr10
	s_and_saveexec_b64 s[8:9], s[12:13]
; %bb.2922:
	s_mov_b32 s10, 0x7f800001
	s_xor_b64 s[4:5], exec, -1
; %bb.2923:
	s_or_b64 exec, exec, s[8:9]
	s_and_b64 s[4:5], s[4:5], exec
	s_or_saveexec_b64 s[6:7], s[6:7]
	v_mov_b32_e32 v10, s10
	s_xor_b64 exec, exec, s[6:7]
	s_cbranch_execz .LBB49_874
.LBB49_2924:
	v_mov_b32_e32 v10, 0
	v_cmp_ne_u16_sdwa s[8:9], v11, v10 src0_sel:BYTE_0 src1_sel:DWORD
	s_andn2_b64 s[4:5], s[4:5], exec
	s_and_b64 s[8:9], s[8:9], exec
	s_or_b64 s[4:5], s[4:5], s[8:9]
	s_or_b64 exec, exec, s[6:7]
	s_and_saveexec_b64 s[6:7], s[4:5]
	s_cbranch_execnz .LBB49_875
	s_branch .LBB49_876
.LBB49_2925:
	s_movk_i32 s4, 0x80
	v_cmp_eq_u16_sdwa s[12:13], v11, s4 src0_sel:BYTE_0 src1_sel:DWORD
	s_mov_b64 s[4:5], -1
                                        ; implicit-def: $sgpr10
	s_and_saveexec_b64 s[8:9], s[12:13]
; %bb.2926:
	s_mov_b32 s10, 0x7f800001
	s_xor_b64 s[4:5], exec, -1
; %bb.2927:
	s_or_b64 exec, exec, s[8:9]
	s_and_b64 s[4:5], s[4:5], exec
	s_or_saveexec_b64 s[6:7], s[6:7]
	v_mov_b32_e32 v12, s10
	s_xor_b64 exec, exec, s[6:7]
	s_cbranch_execz .LBB49_878
.LBB49_2928:
	v_mov_b32_e32 v12, 0
	v_cmp_ne_u16_sdwa s[8:9], v11, v12 src0_sel:BYTE_0 src1_sel:DWORD
	s_andn2_b64 s[4:5], s[4:5], exec
	s_and_b64 s[8:9], s[8:9], exec
	s_or_b64 s[4:5], s[4:5], s[8:9]
	s_or_b64 exec, exec, s[6:7]
	s_and_saveexec_b64 s[6:7], s[4:5]
	s_cbranch_execnz .LBB49_879
	s_branch .LBB49_880
.LBB49_2929:
	s_movk_i32 s4, 0x80
	v_cmp_eq_u16_e32 vcc, s4, v11
	s_mov_b64 s[4:5], -1
                                        ; implicit-def: $sgpr10
	s_and_saveexec_b64 s[8:9], vcc
; %bb.2930:
	s_mov_b32 s10, 0x7f800001
	s_xor_b64 s[4:5], exec, -1
; %bb.2931:
	s_or_b64 exec, exec, s[8:9]
	s_and_b64 s[4:5], s[4:5], exec
                                        ; implicit-def: $vgpr11
	s_or_saveexec_b64 s[6:7], s[6:7]
	v_mov_b32_e32 v10, s10
	s_xor_b64 exec, exec, s[6:7]
	s_cbranch_execz .LBB49_882
.LBB49_2932:
	v_cmp_ne_u16_e32 vcc, 0, v11
	s_andn2_b64 s[4:5], s[4:5], exec
	s_and_b64 s[8:9], vcc, exec
	v_mov_b32_e32 v10, 0
	s_or_b64 s[4:5], s[4:5], s[8:9]
	s_or_b64 exec, exec, s[6:7]
	s_and_saveexec_b64 s[6:7], s[4:5]
	s_cbranch_execnz .LBB49_883
	s_branch .LBB49_884
.LBB49_2933:
	s_movk_i32 s4, 0x80
	v_cmp_eq_u16_e32 vcc, s4, v11
	s_mov_b64 s[4:5], -1
                                        ; implicit-def: $sgpr10
	s_and_saveexec_b64 s[8:9], vcc
; %bb.2934:
	s_mov_b32 s10, 0x7f800001
	s_xor_b64 s[4:5], exec, -1
; %bb.2935:
	s_or_b64 exec, exec, s[8:9]
	s_and_b64 s[4:5], s[4:5], exec
                                        ; implicit-def: $vgpr11
	s_or_saveexec_b64 s[6:7], s[6:7]
	v_mov_b32_e32 v12, s10
	s_xor_b64 exec, exec, s[6:7]
	s_cbranch_execz .LBB49_886
.LBB49_2936:
	v_cmp_ne_u16_e32 vcc, 0, v11
	s_andn2_b64 s[4:5], s[4:5], exec
	s_and_b64 s[8:9], vcc, exec
	v_mov_b32_e32 v12, 0
	s_or_b64 s[4:5], s[4:5], s[8:9]
	s_or_b64 exec, exec, s[6:7]
	s_and_saveexec_b64 s[6:7], s[4:5]
	s_cbranch_execnz .LBB49_887
	s_branch .LBB49_888
.LBB49_2937:
	s_movk_i32 s4, 0x80
	v_cmp_eq_u16_sdwa s[12:13], v17, s4 src0_sel:BYTE_3 src1_sel:DWORD
	s_mov_b64 s[4:5], -1
                                        ; implicit-def: $sgpr10
	s_and_saveexec_b64 s[8:9], s[12:13]
; %bb.2938:
	s_mov_b32 s10, 0x7f800001
	s_xor_b64 s[4:5], exec, -1
; %bb.2939:
	s_or_b64 exec, exec, s[8:9]
	s_and_b64 s[4:5], s[4:5], exec
	s_or_saveexec_b64 s[6:7], s[6:7]
	v_mov_b32_e32 v10, s10
	s_xor_b64 exec, exec, s[6:7]
	s_cbranch_execz .LBB49_890
.LBB49_2940:
	v_mov_b32_e32 v10, 0
	v_cmp_ne_u16_sdwa s[8:9], v17, v10 src0_sel:BYTE_3 src1_sel:DWORD
	s_andn2_b64 s[4:5], s[4:5], exec
	s_and_b64 s[8:9], s[8:9], exec
	s_or_b64 s[4:5], s[4:5], s[8:9]
	s_or_b64 exec, exec, s[6:7]
	s_and_saveexec_b64 s[6:7], s[4:5]
	s_cbranch_execnz .LBB49_891
	s_branch .LBB49_892
.LBB49_2941:
	s_movk_i32 s4, 0x80
	v_cmp_eq_u16_sdwa s[12:13], v13, s4 src0_sel:BYTE_3 src1_sel:DWORD
	s_mov_b64 s[4:5], -1
                                        ; implicit-def: $sgpr10
	s_and_saveexec_b64 s[8:9], s[12:13]
; %bb.2942:
	s_mov_b32 s10, 0x7f800001
	s_xor_b64 s[4:5], exec, -1
; %bb.2943:
	s_or_b64 exec, exec, s[8:9]
	s_and_b64 s[4:5], s[4:5], exec
	s_or_saveexec_b64 s[6:7], s[6:7]
	v_mov_b32_e32 v11, s10
	s_xor_b64 exec, exec, s[6:7]
	s_cbranch_execz .LBB49_894
.LBB49_2944:
	v_mov_b32_e32 v11, 0
	v_cmp_ne_u16_sdwa s[8:9], v13, v11 src0_sel:BYTE_3 src1_sel:DWORD
	s_andn2_b64 s[4:5], s[4:5], exec
	s_and_b64 s[8:9], s[8:9], exec
	s_or_b64 s[4:5], s[4:5], s[8:9]
	s_or_b64 exec, exec, s[6:7]
	s_and_saveexec_b64 s[6:7], s[4:5]
	s_cbranch_execnz .LBB49_895
	s_branch .LBB49_896
.LBB49_2945:
	s_movk_i32 s4, 0x80
	v_cmp_eq_u16_sdwa s[12:13], v6, s4 src0_sel:BYTE_0 src1_sel:DWORD
	s_mov_b64 s[4:5], -1
                                        ; implicit-def: $sgpr10
	s_and_saveexec_b64 s[8:9], s[12:13]
; %bb.2946:
	s_mov_b32 s10, 0x7f800001
	s_xor_b64 s[4:5], exec, -1
; %bb.2947:
	s_or_b64 exec, exec, s[8:9]
	s_and_b64 s[4:5], s[4:5], exec
	s_or_saveexec_b64 s[6:7], s[6:7]
	v_mov_b32_e32 v10, s10
	s_xor_b64 exec, exec, s[6:7]
	s_cbranch_execz .LBB49_898
.LBB49_2948:
	v_mov_b32_e32 v10, 0
	v_cmp_ne_u16_sdwa s[8:9], v6, v10 src0_sel:BYTE_0 src1_sel:DWORD
	s_andn2_b64 s[4:5], s[4:5], exec
	s_and_b64 s[8:9], s[8:9], exec
	s_or_b64 s[4:5], s[4:5], s[8:9]
	s_or_b64 exec, exec, s[6:7]
	s_and_saveexec_b64 s[6:7], s[4:5]
	s_cbranch_execnz .LBB49_899
	s_branch .LBB49_900
.LBB49_2949:
	s_movk_i32 s4, 0x80
	v_cmp_eq_u16_sdwa s[12:13], v2, s4 src0_sel:BYTE_0 src1_sel:DWORD
	s_mov_b64 s[4:5], -1
                                        ; implicit-def: $sgpr10
	s_and_saveexec_b64 s[8:9], s[12:13]
; %bb.2950:
	s_mov_b32 s10, 0x7f800001
	s_xor_b64 s[4:5], exec, -1
; %bb.2951:
	s_or_b64 exec, exec, s[8:9]
	s_and_b64 s[4:5], s[4:5], exec
	s_or_saveexec_b64 s[6:7], s[6:7]
	v_mov_b32_e32 v11, s10
	s_xor_b64 exec, exec, s[6:7]
	s_cbranch_execz .LBB49_902
.LBB49_2952:
	v_mov_b32_e32 v11, 0
	v_cmp_ne_u16_sdwa s[8:9], v2, v11 src0_sel:BYTE_0 src1_sel:DWORD
	s_andn2_b64 s[4:5], s[4:5], exec
	s_and_b64 s[8:9], s[8:9], exec
	s_or_b64 s[4:5], s[4:5], s[8:9]
	s_or_b64 exec, exec, s[6:7]
	s_and_saveexec_b64 s[6:7], s[4:5]
	s_cbranch_execnz .LBB49_903
	s_branch .LBB49_904
.LBB49_2953:
	s_movk_i32 s4, 0x80
	v_cmp_eq_u16_sdwa s[12:13], v11, s4 src0_sel:BYTE_0 src1_sel:DWORD
	s_mov_b64 s[4:5], -1
                                        ; implicit-def: $sgpr10
	s_and_saveexec_b64 s[8:9], s[12:13]
; %bb.2954:
	s_mov_b32 s10, 0x7f800001
	s_xor_b64 s[4:5], exec, -1
; %bb.2955:
	s_or_b64 exec, exec, s[8:9]
	s_and_b64 s[4:5], s[4:5], exec
	s_or_saveexec_b64 s[6:7], s[6:7]
	v_mov_b32_e32 v10, s10
	s_xor_b64 exec, exec, s[6:7]
	s_cbranch_execz .LBB49_906
.LBB49_2956:
	v_mov_b32_e32 v10, 0
	v_cmp_ne_u16_sdwa s[8:9], v11, v10 src0_sel:BYTE_0 src1_sel:DWORD
	s_andn2_b64 s[4:5], s[4:5], exec
	s_and_b64 s[8:9], s[8:9], exec
	s_or_b64 s[4:5], s[4:5], s[8:9]
	s_or_b64 exec, exec, s[6:7]
	s_and_saveexec_b64 s[6:7], s[4:5]
	s_cbranch_execnz .LBB49_907
	s_branch .LBB49_908
.LBB49_2957:
	s_movk_i32 s4, 0x80
	v_cmp_eq_u16_sdwa s[12:13], v11, s4 src0_sel:BYTE_0 src1_sel:DWORD
	s_mov_b64 s[4:5], -1
                                        ; implicit-def: $sgpr10
	s_and_saveexec_b64 s[8:9], s[12:13]
; %bb.2958:
	s_mov_b32 s10, 0x7f800001
	s_xor_b64 s[4:5], exec, -1
; %bb.2959:
	s_or_b64 exec, exec, s[8:9]
	s_and_b64 s[4:5], s[4:5], exec
	s_or_saveexec_b64 s[6:7], s[6:7]
	v_mov_b32_e32 v12, s10
	s_xor_b64 exec, exec, s[6:7]
	s_cbranch_execz .LBB49_910
.LBB49_2960:
	v_mov_b32_e32 v12, 0
	v_cmp_ne_u16_sdwa s[8:9], v11, v12 src0_sel:BYTE_0 src1_sel:DWORD
	s_andn2_b64 s[4:5], s[4:5], exec
	s_and_b64 s[8:9], s[8:9], exec
	s_or_b64 s[4:5], s[4:5], s[8:9]
	s_or_b64 exec, exec, s[6:7]
	s_and_saveexec_b64 s[6:7], s[4:5]
	s_cbranch_execnz .LBB49_911
	s_branch .LBB49_912
.LBB49_2961:
	s_movk_i32 s4, 0x80
	v_cmp_eq_u16_e32 vcc, s4, v11
	s_mov_b64 s[4:5], -1
                                        ; implicit-def: $sgpr10
	s_and_saveexec_b64 s[8:9], vcc
; %bb.2962:
	s_mov_b32 s10, 0x7f800001
	s_xor_b64 s[4:5], exec, -1
; %bb.2963:
	s_or_b64 exec, exec, s[8:9]
	s_and_b64 s[4:5], s[4:5], exec
                                        ; implicit-def: $vgpr11
	s_or_saveexec_b64 s[6:7], s[6:7]
	v_mov_b32_e32 v10, s10
	s_xor_b64 exec, exec, s[6:7]
	s_cbranch_execz .LBB49_914
.LBB49_2964:
	v_cmp_ne_u16_e32 vcc, 0, v11
	s_andn2_b64 s[4:5], s[4:5], exec
	s_and_b64 s[8:9], vcc, exec
	v_mov_b32_e32 v10, 0
	s_or_b64 s[4:5], s[4:5], s[8:9]
	s_or_b64 exec, exec, s[6:7]
	s_and_saveexec_b64 s[6:7], s[4:5]
	s_cbranch_execnz .LBB49_915
	s_branch .LBB49_916
.LBB49_2965:
	s_movk_i32 s4, 0x80
	v_cmp_eq_u16_e32 vcc, s4, v11
	s_mov_b64 s[4:5], -1
                                        ; implicit-def: $sgpr10
	s_and_saveexec_b64 s[8:9], vcc
; %bb.2966:
	s_mov_b32 s10, 0x7f800001
	s_xor_b64 s[4:5], exec, -1
; %bb.2967:
	s_or_b64 exec, exec, s[8:9]
	s_and_b64 s[4:5], s[4:5], exec
                                        ; implicit-def: $vgpr11
	s_or_saveexec_b64 s[6:7], s[6:7]
	v_mov_b32_e32 v12, s10
	s_xor_b64 exec, exec, s[6:7]
	s_cbranch_execz .LBB49_918
.LBB49_2968:
	v_cmp_ne_u16_e32 vcc, 0, v11
	s_andn2_b64 s[4:5], s[4:5], exec
	s_and_b64 s[8:9], vcc, exec
	v_mov_b32_e32 v12, 0
	s_or_b64 s[4:5], s[4:5], s[8:9]
	s_or_b64 exec, exec, s[6:7]
	s_and_saveexec_b64 s[6:7], s[4:5]
	s_cbranch_execnz .LBB49_919
	s_branch .LBB49_920
.LBB49_2969:
	s_movk_i32 s4, 0x80
	v_cmp_eq_u16_sdwa s[12:13], v6, s4 src0_sel:BYTE_3 src1_sel:DWORD
	s_mov_b64 s[4:5], -1
                                        ; implicit-def: $sgpr10
	s_and_saveexec_b64 s[8:9], s[12:13]
; %bb.2970:
	s_mov_b32 s10, 0x7f800001
	s_xor_b64 s[4:5], exec, -1
; %bb.2971:
	s_or_b64 exec, exec, s[8:9]
	s_and_b64 s[4:5], s[4:5], exec
	s_or_saveexec_b64 s[6:7], s[6:7]
	v_mov_b32_e32 v10, s10
	s_xor_b64 exec, exec, s[6:7]
	s_cbranch_execz .LBB49_922
.LBB49_2972:
	v_mov_b32_e32 v10, 0
	v_cmp_ne_u16_sdwa s[8:9], v6, v10 src0_sel:BYTE_3 src1_sel:DWORD
	s_andn2_b64 s[4:5], s[4:5], exec
	s_and_b64 s[8:9], s[8:9], exec
	s_or_b64 s[4:5], s[4:5], s[8:9]
	s_or_b64 exec, exec, s[6:7]
	s_and_saveexec_b64 s[6:7], s[4:5]
	s_cbranch_execnz .LBB49_923
	s_branch .LBB49_924
.LBB49_2973:
	s_movk_i32 s4, 0x80
	v_cmp_eq_u16_sdwa s[12:13], v2, s4 src0_sel:BYTE_3 src1_sel:DWORD
	s_mov_b64 s[4:5], -1
                                        ; implicit-def: $sgpr10
	s_and_saveexec_b64 s[8:9], s[12:13]
; %bb.2974:
	s_mov_b32 s10, 0x7f800001
	s_xor_b64 s[4:5], exec, -1
; %bb.2975:
	s_or_b64 exec, exec, s[8:9]
	s_and_b64 s[4:5], s[4:5], exec
	s_or_saveexec_b64 s[6:7], s[6:7]
	v_mov_b32_e32 v6, s10
	s_xor_b64 exec, exec, s[6:7]
	s_cbranch_execz .LBB49_926
.LBB49_2976:
	v_mov_b32_e32 v6, 0
	v_cmp_ne_u16_sdwa s[8:9], v2, v6 src0_sel:BYTE_3 src1_sel:DWORD
	s_andn2_b64 s[4:5], s[4:5], exec
	s_and_b64 s[8:9], s[8:9], exec
	s_or_b64 s[4:5], s[4:5], s[8:9]
	s_or_b64 exec, exec, s[6:7]
	s_and_saveexec_b64 s[6:7], s[4:5]
	s_cbranch_execnz .LBB49_927
	s_branch .LBB49_928
.LBB49_2977:
	s_movk_i32 s4, 0x80
	v_cmp_eq_u16_sdwa s[12:13], v7, s4 src0_sel:BYTE_0 src1_sel:DWORD
	s_mov_b64 s[4:5], -1
                                        ; implicit-def: $sgpr10
	s_and_saveexec_b64 s[8:9], s[12:13]
; %bb.2978:
	s_mov_b32 s10, 0x7f800001
	s_xor_b64 s[4:5], exec, -1
; %bb.2979:
	s_or_b64 exec, exec, s[8:9]
	s_and_b64 s[4:5], s[4:5], exec
	s_or_saveexec_b64 s[6:7], s[6:7]
	v_mov_b32_e32 v2, s10
	s_xor_b64 exec, exec, s[6:7]
	s_cbranch_execz .LBB49_930
.LBB49_2980:
	v_mov_b32_e32 v2, 0
	v_cmp_ne_u16_sdwa s[8:9], v7, v2 src0_sel:BYTE_0 src1_sel:DWORD
	s_andn2_b64 s[4:5], s[4:5], exec
	s_and_b64 s[8:9], s[8:9], exec
	s_or_b64 s[4:5], s[4:5], s[8:9]
	s_or_b64 exec, exec, s[6:7]
	s_and_saveexec_b64 s[6:7], s[4:5]
	s_cbranch_execnz .LBB49_931
	s_branch .LBB49_932
.LBB49_2981:
	s_movk_i32 s4, 0x80
	v_cmp_eq_u16_sdwa s[12:13], v3, s4 src0_sel:BYTE_0 src1_sel:DWORD
	s_mov_b64 s[4:5], -1
                                        ; implicit-def: $sgpr10
	s_and_saveexec_b64 s[8:9], s[12:13]
; %bb.2982:
	s_mov_b32 s10, 0x7f800001
	s_xor_b64 s[4:5], exec, -1
; %bb.2983:
	s_or_b64 exec, exec, s[8:9]
	s_and_b64 s[4:5], s[4:5], exec
	s_or_saveexec_b64 s[6:7], s[6:7]
	v_mov_b32_e32 v6, s10
	s_xor_b64 exec, exec, s[6:7]
	s_cbranch_execz .LBB49_934
.LBB49_2984:
	v_mov_b32_e32 v6, 0
	v_cmp_ne_u16_sdwa s[8:9], v3, v6 src0_sel:BYTE_0 src1_sel:DWORD
	s_andn2_b64 s[4:5], s[4:5], exec
	s_and_b64 s[8:9], s[8:9], exec
	s_or_b64 s[4:5], s[4:5], s[8:9]
	s_or_b64 exec, exec, s[6:7]
	s_and_saveexec_b64 s[6:7], s[4:5]
	s_cbranch_execnz .LBB49_935
	s_branch .LBB49_936
.LBB49_2985:
	s_movk_i32 s4, 0x80
	v_cmp_eq_u16_sdwa s[12:13], v6, s4 src0_sel:BYTE_0 src1_sel:DWORD
	s_mov_b64 s[4:5], -1
                                        ; implicit-def: $sgpr10
	s_and_saveexec_b64 s[8:9], s[12:13]
; %bb.2986:
	s_mov_b32 s10, 0x7f800001
	s_xor_b64 s[4:5], exec, -1
; %bb.2987:
	s_or_b64 exec, exec, s[8:9]
	s_and_b64 s[4:5], s[4:5], exec
	s_or_saveexec_b64 s[6:7], s[6:7]
	v_mov_b32_e32 v2, s10
	s_xor_b64 exec, exec, s[6:7]
	s_cbranch_execz .LBB49_938
.LBB49_2988:
	v_mov_b32_e32 v2, 0
	v_cmp_ne_u16_sdwa s[8:9], v6, v2 src0_sel:BYTE_0 src1_sel:DWORD
	s_andn2_b64 s[4:5], s[4:5], exec
	s_and_b64 s[8:9], s[8:9], exec
	s_or_b64 s[4:5], s[4:5], s[8:9]
	s_or_b64 exec, exec, s[6:7]
	s_and_saveexec_b64 s[6:7], s[4:5]
	s_cbranch_execnz .LBB49_939
	s_branch .LBB49_940
.LBB49_2989:
	s_movk_i32 s4, 0x80
	v_cmp_eq_u16_sdwa s[12:13], v6, s4 src0_sel:BYTE_0 src1_sel:DWORD
	s_mov_b64 s[4:5], -1
                                        ; implicit-def: $sgpr10
	s_and_saveexec_b64 s[8:9], s[12:13]
; %bb.2990:
	s_mov_b32 s10, 0x7f800001
	s_xor_b64 s[4:5], exec, -1
; %bb.2991:
	s_or_b64 exec, exec, s[8:9]
	s_and_b64 s[4:5], s[4:5], exec
	s_or_saveexec_b64 s[6:7], s[6:7]
	v_mov_b32_e32 v10, s10
	s_xor_b64 exec, exec, s[6:7]
	s_cbranch_execz .LBB49_942
.LBB49_2992:
	v_mov_b32_e32 v10, 0
	v_cmp_ne_u16_sdwa s[8:9], v6, v10 src0_sel:BYTE_0 src1_sel:DWORD
	s_andn2_b64 s[4:5], s[4:5], exec
	s_and_b64 s[8:9], s[8:9], exec
	s_or_b64 s[4:5], s[4:5], s[8:9]
	s_or_b64 exec, exec, s[6:7]
	s_and_saveexec_b64 s[6:7], s[4:5]
	s_cbranch_execnz .LBB49_943
	s_branch .LBB49_944
.LBB49_2993:
	s_movk_i32 s4, 0x80
	v_cmp_eq_u16_e32 vcc, s4, v6
	s_mov_b64 s[4:5], -1
                                        ; implicit-def: $sgpr10
	s_and_saveexec_b64 s[8:9], vcc
; %bb.2994:
	s_mov_b32 s10, 0x7f800001
	s_xor_b64 s[4:5], exec, -1
; %bb.2995:
	s_or_b64 exec, exec, s[8:9]
	s_and_b64 s[4:5], s[4:5], exec
                                        ; implicit-def: $vgpr6
	s_or_saveexec_b64 s[6:7], s[6:7]
	v_mov_b32_e32 v2, s10
	s_xor_b64 exec, exec, s[6:7]
	s_cbranch_execz .LBB49_946
.LBB49_2996:
	v_cmp_ne_u16_e32 vcc, 0, v6
	s_andn2_b64 s[4:5], s[4:5], exec
	s_and_b64 s[8:9], vcc, exec
	v_mov_b32_e32 v2, 0
	s_or_b64 s[4:5], s[4:5], s[8:9]
	s_or_b64 exec, exec, s[6:7]
	s_and_saveexec_b64 s[6:7], s[4:5]
	s_cbranch_execnz .LBB49_947
	s_branch .LBB49_948
.LBB49_2997:
	s_movk_i32 s4, 0x80
	v_cmp_eq_u16_e32 vcc, s4, v6
	s_mov_b64 s[4:5], -1
                                        ; implicit-def: $sgpr10
	s_and_saveexec_b64 s[8:9], vcc
; %bb.2998:
	s_mov_b32 s10, 0x7f800001
	s_xor_b64 s[4:5], exec, -1
; %bb.2999:
	s_or_b64 exec, exec, s[8:9]
	s_and_b64 s[4:5], s[4:5], exec
                                        ; implicit-def: $vgpr6
	s_or_saveexec_b64 s[6:7], s[6:7]
	v_mov_b32_e32 v10, s10
	s_xor_b64 exec, exec, s[6:7]
	s_cbranch_execz .LBB49_950
.LBB49_3000:
	v_cmp_ne_u16_e32 vcc, 0, v6
	s_andn2_b64 s[4:5], s[4:5], exec
	s_and_b64 s[8:9], vcc, exec
	v_mov_b32_e32 v10, 0
	s_or_b64 s[4:5], s[4:5], s[8:9]
	s_or_b64 exec, exec, s[6:7]
	s_and_saveexec_b64 s[6:7], s[4:5]
	s_cbranch_execnz .LBB49_951
	s_branch .LBB49_952
.LBB49_3001:
	s_movk_i32 s4, 0x80
	v_cmp_eq_u16_sdwa s[12:13], v7, s4 src0_sel:BYTE_3 src1_sel:DWORD
	s_mov_b64 s[4:5], -1
                                        ; implicit-def: $sgpr10
	s_and_saveexec_b64 s[8:9], s[12:13]
; %bb.3002:
	s_mov_b32 s10, 0x7f800001
	s_xor_b64 s[4:5], exec, -1
; %bb.3003:
	s_or_b64 exec, exec, s[8:9]
	s_and_b64 s[4:5], s[4:5], exec
	s_or_saveexec_b64 s[6:7], s[6:7]
	v_mov_b32_e32 v2, s10
	s_xor_b64 exec, exec, s[6:7]
	s_cbranch_execz .LBB49_954
.LBB49_3004:
	v_mov_b32_e32 v2, 0
	v_cmp_ne_u16_sdwa s[8:9], v7, v2 src0_sel:BYTE_3 src1_sel:DWORD
	s_andn2_b64 s[4:5], s[4:5], exec
	s_and_b64 s[8:9], s[8:9], exec
	s_or_b64 s[4:5], s[4:5], s[8:9]
	s_or_b64 exec, exec, s[6:7]
	s_and_saveexec_b64 s[6:7], s[4:5]
	s_cbranch_execnz .LBB49_955
	s_branch .LBB49_956
.LBB49_3005:
	s_movk_i32 s4, 0x80
	v_cmp_eq_u16_sdwa s[12:13], v3, s4 src0_sel:BYTE_3 src1_sel:DWORD
	s_mov_b64 s[4:5], -1
                                        ; implicit-def: $sgpr10
	s_and_saveexec_b64 s[8:9], s[12:13]
; %bb.3006:
	s_mov_b32 s10, 0x7f800001
	s_xor_b64 s[4:5], exec, -1
; %bb.3007:
	s_or_b64 exec, exec, s[8:9]
	s_and_b64 s[4:5], s[4:5], exec
	s_or_saveexec_b64 s[6:7], s[6:7]
	v_mov_b32_e32 v6, s10
	s_xor_b64 exec, exec, s[6:7]
	s_cbranch_execz .LBB49_958
.LBB49_3008:
	v_mov_b32_e32 v6, 0
	v_cmp_ne_u16_sdwa s[8:9], v3, v6 src0_sel:BYTE_3 src1_sel:DWORD
	s_andn2_b64 s[4:5], s[4:5], exec
	s_and_b64 s[8:9], s[8:9], exec
	s_or_b64 s[4:5], s[4:5], s[8:9]
	s_or_b64 exec, exec, s[6:7]
	s_and_saveexec_b64 s[6:7], s[4:5]
	s_cbranch_execnz .LBB49_959
	s_branch .LBB49_960
.LBB49_3009:
	s_movk_i32 s4, 0x80
	v_cmp_eq_u16_sdwa s[12:13], v8, s4 src0_sel:BYTE_0 src1_sel:DWORD
	s_mov_b64 s[4:5], -1
                                        ; implicit-def: $sgpr10
	s_and_saveexec_b64 s[8:9], s[12:13]
; %bb.3010:
	s_mov_b32 s10, 0x7f800001
	s_xor_b64 s[4:5], exec, -1
; %bb.3011:
	s_or_b64 exec, exec, s[8:9]
	s_and_b64 s[4:5], s[4:5], exec
	s_or_saveexec_b64 s[6:7], s[6:7]
	v_mov_b32_e32 v2, s10
	s_xor_b64 exec, exec, s[6:7]
	s_cbranch_execz .LBB49_962
.LBB49_3012:
	v_mov_b32_e32 v2, 0
	v_cmp_ne_u16_sdwa s[8:9], v8, v2 src0_sel:BYTE_0 src1_sel:DWORD
	s_andn2_b64 s[4:5], s[4:5], exec
	s_and_b64 s[8:9], s[8:9], exec
	s_or_b64 s[4:5], s[4:5], s[8:9]
	s_or_b64 exec, exec, s[6:7]
	s_and_saveexec_b64 s[6:7], s[4:5]
	s_cbranch_execnz .LBB49_963
	s_branch .LBB49_964
.LBB49_3013:
	s_movk_i32 s4, 0x80
	v_cmp_eq_u16_sdwa s[12:13], v4, s4 src0_sel:BYTE_0 src1_sel:DWORD
	s_mov_b64 s[4:5], -1
                                        ; implicit-def: $sgpr10
	s_and_saveexec_b64 s[8:9], s[12:13]
; %bb.3014:
	s_mov_b32 s10, 0x7f800001
	s_xor_b64 s[4:5], exec, -1
; %bb.3015:
	s_or_b64 exec, exec, s[8:9]
	s_and_b64 s[4:5], s[4:5], exec
	s_or_saveexec_b64 s[6:7], s[6:7]
	v_mov_b32_e32 v3, s10
	s_xor_b64 exec, exec, s[6:7]
	s_cbranch_execz .LBB49_966
.LBB49_3016:
	v_mov_b32_e32 v3, 0
	v_cmp_ne_u16_sdwa s[8:9], v4, v3 src0_sel:BYTE_0 src1_sel:DWORD
	s_andn2_b64 s[4:5], s[4:5], exec
	s_and_b64 s[8:9], s[8:9], exec
	s_or_b64 s[4:5], s[4:5], s[8:9]
	s_or_b64 exec, exec, s[6:7]
	s_and_saveexec_b64 s[6:7], s[4:5]
	s_cbranch_execnz .LBB49_967
	s_branch .LBB49_968
.LBB49_3017:
	s_movk_i32 s4, 0x80
	v_cmp_eq_u16_sdwa s[12:13], v3, s4 src0_sel:BYTE_0 src1_sel:DWORD
	s_mov_b64 s[4:5], -1
                                        ; implicit-def: $sgpr10
	s_and_saveexec_b64 s[8:9], s[12:13]
; %bb.3018:
	s_mov_b32 s10, 0x7f800001
	s_xor_b64 s[4:5], exec, -1
; %bb.3019:
	s_or_b64 exec, exec, s[8:9]
	s_and_b64 s[4:5], s[4:5], exec
	s_or_saveexec_b64 s[6:7], s[6:7]
	v_mov_b32_e32 v2, s10
	s_xor_b64 exec, exec, s[6:7]
	s_cbranch_execz .LBB49_970
.LBB49_3020:
	v_mov_b32_e32 v2, 0
	v_cmp_ne_u16_sdwa s[8:9], v3, v2 src0_sel:BYTE_0 src1_sel:DWORD
	s_andn2_b64 s[4:5], s[4:5], exec
	s_and_b64 s[8:9], s[8:9], exec
	s_or_b64 s[4:5], s[4:5], s[8:9]
	s_or_b64 exec, exec, s[6:7]
	s_and_saveexec_b64 s[6:7], s[4:5]
	s_cbranch_execnz .LBB49_971
	s_branch .LBB49_972
.LBB49_3021:
	s_movk_i32 s4, 0x80
	v_cmp_eq_u16_sdwa s[12:13], v3, s4 src0_sel:BYTE_0 src1_sel:DWORD
	s_mov_b64 s[4:5], -1
                                        ; implicit-def: $sgpr10
	s_and_saveexec_b64 s[8:9], s[12:13]
; %bb.3022:
	s_mov_b32 s10, 0x7f800001
	s_xor_b64 s[4:5], exec, -1
; %bb.3023:
	s_or_b64 exec, exec, s[8:9]
	s_and_b64 s[4:5], s[4:5], exec
	s_or_saveexec_b64 s[6:7], s[6:7]
	v_mov_b32_e32 v6, s10
	s_xor_b64 exec, exec, s[6:7]
	s_cbranch_execz .LBB49_974
.LBB49_3024:
	v_mov_b32_e32 v6, 0
	v_cmp_ne_u16_sdwa s[8:9], v3, v6 src0_sel:BYTE_0 src1_sel:DWORD
	s_andn2_b64 s[4:5], s[4:5], exec
	s_and_b64 s[8:9], s[8:9], exec
	s_or_b64 s[4:5], s[4:5], s[8:9]
	s_or_b64 exec, exec, s[6:7]
	s_and_saveexec_b64 s[6:7], s[4:5]
	s_cbranch_execnz .LBB49_975
	s_branch .LBB49_976
.LBB49_3025:
	s_movk_i32 s4, 0x80
	v_cmp_eq_u16_e32 vcc, s4, v3
	s_mov_b64 s[4:5], -1
                                        ; implicit-def: $sgpr10
	s_and_saveexec_b64 s[8:9], vcc
; %bb.3026:
	s_mov_b32 s10, 0x7f800001
	s_xor_b64 s[4:5], exec, -1
; %bb.3027:
	s_or_b64 exec, exec, s[8:9]
	s_and_b64 s[4:5], s[4:5], exec
                                        ; implicit-def: $vgpr3
	s_or_saveexec_b64 s[6:7], s[6:7]
	v_mov_b32_e32 v2, s10
	s_xor_b64 exec, exec, s[6:7]
	s_cbranch_execz .LBB49_978
.LBB49_3028:
	v_cmp_ne_u16_e32 vcc, 0, v3
	s_andn2_b64 s[4:5], s[4:5], exec
	s_and_b64 s[8:9], vcc, exec
	v_mov_b32_e32 v2, 0
	s_or_b64 s[4:5], s[4:5], s[8:9]
	s_or_b64 exec, exec, s[6:7]
	s_and_saveexec_b64 s[6:7], s[4:5]
	s_cbranch_execnz .LBB49_979
	s_branch .LBB49_980
.LBB49_3029:
	s_movk_i32 s4, 0x80
	v_cmp_eq_u16_e32 vcc, s4, v3
	s_mov_b64 s[4:5], -1
                                        ; implicit-def: $sgpr10
	s_and_saveexec_b64 s[8:9], vcc
; %bb.3030:
	s_mov_b32 s10, 0x7f800001
	s_xor_b64 s[4:5], exec, -1
; %bb.3031:
	s_or_b64 exec, exec, s[8:9]
	s_and_b64 s[4:5], s[4:5], exec
                                        ; implicit-def: $vgpr3
	s_or_saveexec_b64 s[6:7], s[6:7]
	v_mov_b32_e32 v6, s10
	s_xor_b64 exec, exec, s[6:7]
	s_cbranch_execz .LBB49_982
.LBB49_3032:
	v_cmp_ne_u16_e32 vcc, 0, v3
	s_andn2_b64 s[4:5], s[4:5], exec
	s_and_b64 s[8:9], vcc, exec
	v_mov_b32_e32 v6, 0
	s_or_b64 s[4:5], s[4:5], s[8:9]
	s_or_b64 exec, exec, s[6:7]
	s_and_saveexec_b64 s[6:7], s[4:5]
	s_cbranch_execnz .LBB49_983
	s_branch .LBB49_984
.LBB49_3033:
	s_movk_i32 s4, 0x80
	v_cmp_eq_u16_sdwa s[12:13], v8, s4 src0_sel:BYTE_3 src1_sel:DWORD
	s_mov_b64 s[4:5], -1
                                        ; implicit-def: $sgpr10
	s_and_saveexec_b64 s[8:9], s[12:13]
; %bb.3034:
	s_mov_b32 s10, 0x7f800001
	s_xor_b64 s[4:5], exec, -1
; %bb.3035:
	s_or_b64 exec, exec, s[8:9]
	s_and_b64 s[4:5], s[4:5], exec
	s_or_saveexec_b64 s[6:7], s[6:7]
	v_mov_b32_e32 v2, s10
	s_xor_b64 exec, exec, s[6:7]
	s_cbranch_execz .LBB49_986
.LBB49_3036:
	v_mov_b32_e32 v2, 0
	v_cmp_ne_u16_sdwa s[8:9], v8, v2 src0_sel:BYTE_3 src1_sel:DWORD
	s_andn2_b64 s[4:5], s[4:5], exec
	s_and_b64 s[8:9], s[8:9], exec
	s_or_b64 s[4:5], s[4:5], s[8:9]
	s_or_b64 exec, exec, s[6:7]
	s_and_saveexec_b64 s[6:7], s[4:5]
	s_cbranch_execnz .LBB49_987
	s_branch .LBB49_988
.LBB49_3037:
	s_movk_i32 s4, 0x80
	v_cmp_eq_u16_sdwa s[12:13], v4, s4 src0_sel:BYTE_3 src1_sel:DWORD
	s_mov_b64 s[4:5], -1
                                        ; implicit-def: $sgpr10
	s_and_saveexec_b64 s[8:9], s[12:13]
; %bb.3038:
	s_mov_b32 s10, 0x7f800001
	s_xor_b64 s[4:5], exec, -1
; %bb.3039:
	s_or_b64 exec, exec, s[8:9]
	s_and_b64 s[4:5], s[4:5], exec
	s_or_saveexec_b64 s[6:7], s[6:7]
	v_mov_b32_e32 v3, s10
	s_xor_b64 exec, exec, s[6:7]
	s_cbranch_execz .LBB49_990
.LBB49_3040:
	v_mov_b32_e32 v3, 0
	v_cmp_ne_u16_sdwa s[8:9], v4, v3 src0_sel:BYTE_3 src1_sel:DWORD
	s_andn2_b64 s[4:5], s[4:5], exec
	s_and_b64 s[8:9], s[8:9], exec
	s_or_b64 s[4:5], s[4:5], s[8:9]
	s_or_b64 exec, exec, s[6:7]
	s_and_saveexec_b64 s[6:7], s[4:5]
	s_cbranch_execnz .LBB49_991
	s_branch .LBB49_992
.LBB49_3041:
	s_movk_i32 s4, 0x80
	v_cmp_eq_u16_sdwa s[12:13], v9, s4 src0_sel:BYTE_0 src1_sel:DWORD
	s_mov_b64 s[4:5], -1
                                        ; implicit-def: $sgpr10
	s_and_saveexec_b64 s[8:9], s[12:13]
; %bb.3042:
	s_mov_b32 s10, 0x7f800001
	s_xor_b64 s[4:5], exec, -1
; %bb.3043:
	s_or_b64 exec, exec, s[8:9]
	s_and_b64 s[4:5], s[4:5], exec
	s_or_saveexec_b64 s[6:7], s[6:7]
	v_mov_b32_e32 v2, s10
	s_xor_b64 exec, exec, s[6:7]
	s_cbranch_execz .LBB49_994
.LBB49_3044:
	v_mov_b32_e32 v2, 0
	v_cmp_ne_u16_sdwa s[8:9], v9, v2 src0_sel:BYTE_0 src1_sel:DWORD
	s_andn2_b64 s[4:5], s[4:5], exec
	s_and_b64 s[8:9], s[8:9], exec
	s_or_b64 s[4:5], s[4:5], s[8:9]
	s_or_b64 exec, exec, s[6:7]
	s_and_saveexec_b64 s[6:7], s[4:5]
	s_cbranch_execnz .LBB49_995
	s_branch .LBB49_996
.LBB49_3045:
	s_movk_i32 s4, 0x80
	v_cmp_eq_u16_sdwa s[12:13], v5, s4 src0_sel:BYTE_0 src1_sel:DWORD
	s_mov_b64 s[4:5], -1
                                        ; implicit-def: $sgpr10
	s_and_saveexec_b64 s[8:9], s[12:13]
; %bb.3046:
	s_mov_b32 s10, 0x7f800001
	s_xor_b64 s[4:5], exec, -1
; %bb.3047:
	s_or_b64 exec, exec, s[8:9]
	s_and_b64 s[4:5], s[4:5], exec
	s_or_saveexec_b64 s[6:7], s[6:7]
	v_mov_b32_e32 v3, s10
	s_xor_b64 exec, exec, s[6:7]
	s_cbranch_execz .LBB49_998
.LBB49_3048:
	v_mov_b32_e32 v3, 0
	v_cmp_ne_u16_sdwa s[8:9], v5, v3 src0_sel:BYTE_0 src1_sel:DWORD
	s_andn2_b64 s[4:5], s[4:5], exec
	s_and_b64 s[8:9], s[8:9], exec
	s_or_b64 s[4:5], s[4:5], s[8:9]
	s_or_b64 exec, exec, s[6:7]
	s_and_saveexec_b64 s[6:7], s[4:5]
	s_cbranch_execnz .LBB49_999
	s_branch .LBB49_1000
.LBB49_3049:
	s_movk_i32 s4, 0x80
	v_cmp_eq_u16_sdwa s[12:13], v3, s4 src0_sel:BYTE_0 src1_sel:DWORD
	s_mov_b64 s[4:5], -1
                                        ; implicit-def: $sgpr10
	s_and_saveexec_b64 s[8:9], s[12:13]
; %bb.3050:
	s_mov_b32 s10, 0x7f800001
	s_xor_b64 s[4:5], exec, -1
; %bb.3051:
	s_or_b64 exec, exec, s[8:9]
	s_and_b64 s[4:5], s[4:5], exec
	s_or_saveexec_b64 s[6:7], s[6:7]
	v_mov_b32_e32 v2, s10
	s_xor_b64 exec, exec, s[6:7]
	s_cbranch_execz .LBB49_1002
.LBB49_3052:
	v_mov_b32_e32 v2, 0
	v_cmp_ne_u16_sdwa s[8:9], v3, v2 src0_sel:BYTE_0 src1_sel:DWORD
	s_andn2_b64 s[4:5], s[4:5], exec
	s_and_b64 s[8:9], s[8:9], exec
	s_or_b64 s[4:5], s[4:5], s[8:9]
	s_or_b64 exec, exec, s[6:7]
	s_and_saveexec_b64 s[6:7], s[4:5]
	s_cbranch_execnz .LBB49_1003
	s_branch .LBB49_1004
.LBB49_3053:
	s_movk_i32 s4, 0x80
	v_cmp_eq_u16_sdwa s[12:13], v3, s4 src0_sel:BYTE_0 src1_sel:DWORD
	s_mov_b64 s[4:5], -1
                                        ; implicit-def: $sgpr10
	s_and_saveexec_b64 s[8:9], s[12:13]
; %bb.3054:
	s_mov_b32 s10, 0x7f800001
	s_xor_b64 s[4:5], exec, -1
; %bb.3055:
	s_or_b64 exec, exec, s[8:9]
	s_and_b64 s[4:5], s[4:5], exec
	s_or_saveexec_b64 s[6:7], s[6:7]
	v_mov_b32_e32 v4, s10
	s_xor_b64 exec, exec, s[6:7]
	s_cbranch_execz .LBB49_1006
.LBB49_3056:
	v_mov_b32_e32 v4, 0
	v_cmp_ne_u16_sdwa s[8:9], v3, v4 src0_sel:BYTE_0 src1_sel:DWORD
	s_andn2_b64 s[4:5], s[4:5], exec
	s_and_b64 s[8:9], s[8:9], exec
	s_or_b64 s[4:5], s[4:5], s[8:9]
	s_or_b64 exec, exec, s[6:7]
	s_and_saveexec_b64 s[6:7], s[4:5]
	s_cbranch_execnz .LBB49_1007
	s_branch .LBB49_1008
.LBB49_3057:
	s_movk_i32 s4, 0x80
	v_cmp_eq_u16_e32 vcc, s4, v3
	s_mov_b64 s[4:5], -1
                                        ; implicit-def: $sgpr10
	s_and_saveexec_b64 s[8:9], vcc
; %bb.3058:
	s_mov_b32 s10, 0x7f800001
	s_xor_b64 s[4:5], exec, -1
; %bb.3059:
	s_or_b64 exec, exec, s[8:9]
	s_and_b64 s[4:5], s[4:5], exec
                                        ; implicit-def: $vgpr3
	s_or_saveexec_b64 s[6:7], s[6:7]
	v_mov_b32_e32 v2, s10
	s_xor_b64 exec, exec, s[6:7]
	s_cbranch_execz .LBB49_1010
.LBB49_3060:
	v_cmp_ne_u16_e32 vcc, 0, v3
	s_andn2_b64 s[4:5], s[4:5], exec
	s_and_b64 s[8:9], vcc, exec
	v_mov_b32_e32 v2, 0
	s_or_b64 s[4:5], s[4:5], s[8:9]
	s_or_b64 exec, exec, s[6:7]
	s_and_saveexec_b64 s[6:7], s[4:5]
	s_cbranch_execnz .LBB49_1011
	s_branch .LBB49_1012
.LBB49_3061:
	s_movk_i32 s4, 0x80
	v_cmp_eq_u16_e32 vcc, s4, v3
	s_mov_b64 s[4:5], -1
                                        ; implicit-def: $sgpr10
	s_and_saveexec_b64 s[8:9], vcc
; %bb.3062:
	s_mov_b32 s10, 0x7f800001
	s_xor_b64 s[4:5], exec, -1
; %bb.3063:
	s_or_b64 exec, exec, s[8:9]
	s_and_b64 s[4:5], s[4:5], exec
                                        ; implicit-def: $vgpr3
	s_or_saveexec_b64 s[6:7], s[6:7]
	v_mov_b32_e32 v4, s10
	s_xor_b64 exec, exec, s[6:7]
	s_cbranch_execz .LBB49_1014
.LBB49_3064:
	v_cmp_ne_u16_e32 vcc, 0, v3
	s_andn2_b64 s[4:5], s[4:5], exec
	s_and_b64 s[8:9], vcc, exec
	v_mov_b32_e32 v4, 0
	s_or_b64 s[4:5], s[4:5], s[8:9]
	s_or_b64 exec, exec, s[6:7]
	s_and_saveexec_b64 s[6:7], s[4:5]
	s_cbranch_execnz .LBB49_1015
	s_branch .LBB49_1016
.LBB49_3065:
	s_movk_i32 s4, 0x80
	v_cmp_eq_u16_sdwa s[12:13], v9, s4 src0_sel:BYTE_3 src1_sel:DWORD
	s_mov_b64 s[4:5], -1
                                        ; implicit-def: $sgpr10
	s_and_saveexec_b64 s[8:9], s[12:13]
; %bb.3066:
	s_mov_b32 s10, 0x7f800001
	s_xor_b64 s[4:5], exec, -1
; %bb.3067:
	s_or_b64 exec, exec, s[8:9]
	s_and_b64 s[4:5], s[4:5], exec
	s_or_saveexec_b64 s[6:7], s[6:7]
	v_mov_b32_e32 v2, s10
	s_xor_b64 exec, exec, s[6:7]
	s_cbranch_execz .LBB49_1018
.LBB49_3068:
	v_mov_b32_e32 v2, 0
	v_cmp_ne_u16_sdwa s[8:9], v9, v2 src0_sel:BYTE_3 src1_sel:DWORD
	s_andn2_b64 s[4:5], s[4:5], exec
	s_and_b64 s[8:9], s[8:9], exec
	s_or_b64 s[4:5], s[4:5], s[8:9]
	s_or_b64 exec, exec, s[6:7]
	s_and_saveexec_b64 s[6:7], s[4:5]
	s_cbranch_execnz .LBB49_1019
	s_branch .LBB49_1020
.LBB49_3069:
	s_movk_i32 s4, 0x80
	v_cmp_eq_u16_sdwa s[12:13], v5, s4 src0_sel:BYTE_3 src1_sel:DWORD
	s_mov_b64 s[4:5], -1
                                        ; implicit-def: $sgpr10
	s_and_saveexec_b64 s[8:9], s[12:13]
; %bb.3070:
	s_mov_b32 s10, 0x7f800001
	s_xor_b64 s[4:5], exec, -1
; %bb.3071:
	s_or_b64 exec, exec, s[8:9]
	s_and_b64 s[4:5], s[4:5], exec
	s_or_saveexec_b64 s[6:7], s[6:7]
	v_mov_b32_e32 v3, s10
	s_xor_b64 exec, exec, s[6:7]
	s_cbranch_execz .LBB49_1022
.LBB49_3072:
	v_mov_b32_e32 v3, 0
	v_cmp_ne_u16_sdwa s[8:9], v5, v3 src0_sel:BYTE_3 src1_sel:DWORD
	s_andn2_b64 s[4:5], s[4:5], exec
	s_and_b64 s[8:9], s[8:9], exec
	s_or_b64 s[4:5], s[4:5], s[8:9]
	s_or_b64 exec, exec, s[6:7]
	s_and_saveexec_b64 s[6:7], s[4:5]
	s_cbranch_execnz .LBB49_1023
	s_branch .LBB49_1024
.LBB49_3073:
	s_movk_i32 s4, 0x80
	v_cmp_eq_u16_sdwa s[12:13], v14, s4 src0_sel:BYTE_0 src1_sel:DWORD
	s_mov_b64 s[4:5], -1
                                        ; implicit-def: $sgpr10
	s_and_saveexec_b64 s[8:9], s[12:13]
; %bb.3074:
	s_mov_b32 s10, 0x7f800001
	s_xor_b64 s[4:5], exec, -1
; %bb.3075:
	s_or_b64 exec, exec, s[8:9]
	s_and_b64 s[4:5], s[4:5], exec
	s_or_saveexec_b64 s[6:7], s[6:7]
	v_mov_b32_e32 v20, s10
	s_xor_b64 exec, exec, s[6:7]
	s_cbranch_execz .LBB49_1026
.LBB49_3076:
	v_mov_b32_e32 v20, 0
	v_cmp_ne_u16_sdwa s[8:9], v14, v20 src0_sel:BYTE_0 src1_sel:DWORD
	s_andn2_b64 s[4:5], s[4:5], exec
	s_and_b64 s[8:9], s[8:9], exec
	s_or_b64 s[4:5], s[4:5], s[8:9]
	s_or_b64 exec, exec, s[6:7]
	s_and_saveexec_b64 s[6:7], s[4:5]
	s_cbranch_execnz .LBB49_1027
	s_branch .LBB49_1028
.LBB49_3077:
	s_movk_i32 s4, 0x80
	v_cmp_eq_u16_sdwa s[12:13], v10, s4 src0_sel:BYTE_0 src1_sel:DWORD
	s_mov_b64 s[4:5], -1
                                        ; implicit-def: $sgpr10
	s_and_saveexec_b64 s[8:9], s[12:13]
; %bb.3078:
	s_mov_b32 s10, 0x7f800001
	s_xor_b64 s[4:5], exec, -1
; %bb.3079:
	s_or_b64 exec, exec, s[8:9]
	s_and_b64 s[4:5], s[4:5], exec
	s_or_saveexec_b64 s[6:7], s[6:7]
	v_mov_b32_e32 v21, s10
	s_xor_b64 exec, exec, s[6:7]
	s_cbranch_execz .LBB49_1030
.LBB49_3080:
	v_mov_b32_e32 v21, 0
	v_cmp_ne_u16_sdwa s[8:9], v10, v21 src0_sel:BYTE_0 src1_sel:DWORD
	s_andn2_b64 s[4:5], s[4:5], exec
	s_and_b64 s[8:9], s[8:9], exec
	s_or_b64 s[4:5], s[4:5], s[8:9]
	s_or_b64 exec, exec, s[6:7]
	s_and_saveexec_b64 s[6:7], s[4:5]
	s_cbranch_execnz .LBB49_1031
	s_branch .LBB49_1032
.LBB49_3081:
	s_movk_i32 s4, 0x80
	v_cmp_eq_u16_sdwa s[12:13], v21, s4 src0_sel:BYTE_0 src1_sel:DWORD
	s_mov_b64 s[4:5], -1
                                        ; implicit-def: $sgpr10
	s_and_saveexec_b64 s[8:9], s[12:13]
; %bb.3082:
	s_mov_b32 s10, 0x7f800001
	s_xor_b64 s[4:5], exec, -1
; %bb.3083:
	s_or_b64 exec, exec, s[8:9]
	s_and_b64 s[4:5], s[4:5], exec
	s_or_saveexec_b64 s[6:7], s[6:7]
	v_mov_b32_e32 v20, s10
	s_xor_b64 exec, exec, s[6:7]
	s_cbranch_execz .LBB49_1034
.LBB49_3084:
	v_mov_b32_e32 v20, 0
	v_cmp_ne_u16_sdwa s[8:9], v21, v20 src0_sel:BYTE_0 src1_sel:DWORD
	s_andn2_b64 s[4:5], s[4:5], exec
	s_and_b64 s[8:9], s[8:9], exec
	s_or_b64 s[4:5], s[4:5], s[8:9]
	s_or_b64 exec, exec, s[6:7]
	s_and_saveexec_b64 s[6:7], s[4:5]
	s_cbranch_execnz .LBB49_1035
	s_branch .LBB49_1036
.LBB49_3085:
	s_movk_i32 s4, 0x80
	v_cmp_eq_u16_sdwa s[12:13], v21, s4 src0_sel:BYTE_0 src1_sel:DWORD
	s_mov_b64 s[4:5], -1
                                        ; implicit-def: $sgpr10
	s_and_saveexec_b64 s[8:9], s[12:13]
; %bb.3086:
	s_mov_b32 s10, 0x7f800001
	s_xor_b64 s[4:5], exec, -1
; %bb.3087:
	s_or_b64 exec, exec, s[8:9]
	s_and_b64 s[4:5], s[4:5], exec
	s_or_saveexec_b64 s[6:7], s[6:7]
	v_mov_b32_e32 v22, s10
	s_xor_b64 exec, exec, s[6:7]
	s_cbranch_execz .LBB49_1038
.LBB49_3088:
	v_mov_b32_e32 v22, 0
	v_cmp_ne_u16_sdwa s[8:9], v21, v22 src0_sel:BYTE_0 src1_sel:DWORD
	s_andn2_b64 s[4:5], s[4:5], exec
	s_and_b64 s[8:9], s[8:9], exec
	s_or_b64 s[4:5], s[4:5], s[8:9]
	s_or_b64 exec, exec, s[6:7]
	s_and_saveexec_b64 s[6:7], s[4:5]
	s_cbranch_execnz .LBB49_1039
	s_branch .LBB49_1040
.LBB49_3089:
	s_movk_i32 s4, 0x80
	v_cmp_eq_u16_e32 vcc, s4, v21
	s_mov_b64 s[4:5], -1
                                        ; implicit-def: $sgpr10
	s_and_saveexec_b64 s[8:9], vcc
; %bb.3090:
	s_mov_b32 s10, 0x7f800001
	s_xor_b64 s[4:5], exec, -1
; %bb.3091:
	s_or_b64 exec, exec, s[8:9]
	s_and_b64 s[4:5], s[4:5], exec
                                        ; implicit-def: $vgpr21
	s_or_saveexec_b64 s[6:7], s[6:7]
	v_mov_b32_e32 v20, s10
	s_xor_b64 exec, exec, s[6:7]
	s_cbranch_execz .LBB49_1042
.LBB49_3092:
	v_cmp_ne_u16_e32 vcc, 0, v21
	s_andn2_b64 s[4:5], s[4:5], exec
	s_and_b64 s[8:9], vcc, exec
	v_mov_b32_e32 v20, 0
	s_or_b64 s[4:5], s[4:5], s[8:9]
	s_or_b64 exec, exec, s[6:7]
	s_and_saveexec_b64 s[6:7], s[4:5]
	s_cbranch_execnz .LBB49_1043
	s_branch .LBB49_1044
.LBB49_3093:
	s_movk_i32 s4, 0x80
	v_cmp_eq_u16_e32 vcc, s4, v21
	s_mov_b64 s[4:5], -1
                                        ; implicit-def: $sgpr10
	s_and_saveexec_b64 s[8:9], vcc
; %bb.3094:
	s_mov_b32 s10, 0x7f800001
	s_xor_b64 s[4:5], exec, -1
; %bb.3095:
	s_or_b64 exec, exec, s[8:9]
	s_and_b64 s[4:5], s[4:5], exec
                                        ; implicit-def: $vgpr21
	s_or_saveexec_b64 s[6:7], s[6:7]
	v_mov_b32_e32 v22, s10
	s_xor_b64 exec, exec, s[6:7]
	s_cbranch_execz .LBB49_1046
.LBB49_3096:
	v_cmp_ne_u16_e32 vcc, 0, v21
	s_andn2_b64 s[4:5], s[4:5], exec
	s_and_b64 s[8:9], vcc, exec
	v_mov_b32_e32 v22, 0
	s_or_b64 s[4:5], s[4:5], s[8:9]
	s_or_b64 exec, exec, s[6:7]
	s_and_saveexec_b64 s[6:7], s[4:5]
	s_cbranch_execnz .LBB49_1047
	s_branch .LBB49_1048
.LBB49_3097:
	s_movk_i32 s4, 0x80
	v_cmp_eq_u16_sdwa s[12:13], v14, s4 src0_sel:BYTE_3 src1_sel:DWORD
	s_mov_b64 s[4:5], -1
                                        ; implicit-def: $sgpr10
	s_and_saveexec_b64 s[8:9], s[12:13]
; %bb.3098:
	s_mov_b32 s10, 0x7f800001
	s_xor_b64 s[4:5], exec, -1
; %bb.3099:
	s_or_b64 exec, exec, s[8:9]
	s_and_b64 s[4:5], s[4:5], exec
	s_or_saveexec_b64 s[6:7], s[6:7]
	v_mov_b32_e32 v20, s10
	s_xor_b64 exec, exec, s[6:7]
	s_cbranch_execz .LBB49_1050
.LBB49_3100:
	v_mov_b32_e32 v20, 0
	v_cmp_ne_u16_sdwa s[8:9], v14, v20 src0_sel:BYTE_3 src1_sel:DWORD
	s_andn2_b64 s[4:5], s[4:5], exec
	s_and_b64 s[8:9], s[8:9], exec
	s_or_b64 s[4:5], s[4:5], s[8:9]
	s_or_b64 exec, exec, s[6:7]
	s_and_saveexec_b64 s[6:7], s[4:5]
	s_cbranch_execnz .LBB49_1051
	s_branch .LBB49_1052
.LBB49_3101:
	s_movk_i32 s4, 0x80
	v_cmp_eq_u16_sdwa s[12:13], v10, s4 src0_sel:BYTE_3 src1_sel:DWORD
	s_mov_b64 s[4:5], -1
                                        ; implicit-def: $sgpr10
	s_and_saveexec_b64 s[8:9], s[12:13]
; %bb.3102:
	s_mov_b32 s10, 0x7f800001
	s_xor_b64 s[4:5], exec, -1
; %bb.3103:
	s_or_b64 exec, exec, s[8:9]
	s_and_b64 s[4:5], s[4:5], exec
	s_or_saveexec_b64 s[6:7], s[6:7]
	v_mov_b32_e32 v14, s10
	s_xor_b64 exec, exec, s[6:7]
	s_cbranch_execz .LBB49_1054
.LBB49_3104:
	v_mov_b32_e32 v14, 0
	v_cmp_ne_u16_sdwa s[8:9], v10, v14 src0_sel:BYTE_3 src1_sel:DWORD
	s_andn2_b64 s[4:5], s[4:5], exec
	s_and_b64 s[8:9], s[8:9], exec
	s_or_b64 s[4:5], s[4:5], s[8:9]
	s_or_b64 exec, exec, s[6:7]
	s_and_saveexec_b64 s[6:7], s[4:5]
	s_cbranch_execnz .LBB49_1055
	s_branch .LBB49_1056
.LBB49_3105:
	s_movk_i32 s4, 0x80
	v_cmp_eq_u16_sdwa s[12:13], v15, s4 src0_sel:BYTE_0 src1_sel:DWORD
	s_mov_b64 s[4:5], -1
                                        ; implicit-def: $sgpr10
	s_and_saveexec_b64 s[8:9], s[12:13]
; %bb.3106:
	s_mov_b32 s10, 0x7f800001
	s_xor_b64 s[4:5], exec, -1
; %bb.3107:
	s_or_b64 exec, exec, s[8:9]
	s_and_b64 s[4:5], s[4:5], exec
	s_or_saveexec_b64 s[6:7], s[6:7]
	v_mov_b32_e32 v10, s10
	s_xor_b64 exec, exec, s[6:7]
	s_cbranch_execz .LBB49_1058
.LBB49_3108:
	v_mov_b32_e32 v10, 0
	v_cmp_ne_u16_sdwa s[8:9], v15, v10 src0_sel:BYTE_0 src1_sel:DWORD
	s_andn2_b64 s[4:5], s[4:5], exec
	s_and_b64 s[8:9], s[8:9], exec
	s_or_b64 s[4:5], s[4:5], s[8:9]
	s_or_b64 exec, exec, s[6:7]
	s_and_saveexec_b64 s[6:7], s[4:5]
	s_cbranch_execnz .LBB49_1059
	s_branch .LBB49_1060
.LBB49_3109:
	s_movk_i32 s4, 0x80
	v_cmp_eq_u16_sdwa s[12:13], v11, s4 src0_sel:BYTE_0 src1_sel:DWORD
	s_mov_b64 s[4:5], -1
                                        ; implicit-def: $sgpr10
	s_and_saveexec_b64 s[8:9], s[12:13]
; %bb.3110:
	s_mov_b32 s10, 0x7f800001
	s_xor_b64 s[4:5], exec, -1
; %bb.3111:
	s_or_b64 exec, exec, s[8:9]
	s_and_b64 s[4:5], s[4:5], exec
	s_or_saveexec_b64 s[6:7], s[6:7]
	v_mov_b32_e32 v14, s10
	s_xor_b64 exec, exec, s[6:7]
	s_cbranch_execz .LBB49_1062
.LBB49_3112:
	v_mov_b32_e32 v14, 0
	v_cmp_ne_u16_sdwa s[8:9], v11, v14 src0_sel:BYTE_0 src1_sel:DWORD
	s_andn2_b64 s[4:5], s[4:5], exec
	s_and_b64 s[8:9], s[8:9], exec
	s_or_b64 s[4:5], s[4:5], s[8:9]
	s_or_b64 exec, exec, s[6:7]
	s_and_saveexec_b64 s[6:7], s[4:5]
	s_cbranch_execnz .LBB49_1063
	s_branch .LBB49_1064
.LBB49_3113:
	s_movk_i32 s4, 0x80
	v_cmp_eq_u16_sdwa s[12:13], v14, s4 src0_sel:BYTE_0 src1_sel:DWORD
	s_mov_b64 s[4:5], -1
                                        ; implicit-def: $sgpr10
	s_and_saveexec_b64 s[8:9], s[12:13]
; %bb.3114:
	s_mov_b32 s10, 0x7f800001
	s_xor_b64 s[4:5], exec, -1
; %bb.3115:
	s_or_b64 exec, exec, s[8:9]
	s_and_b64 s[4:5], s[4:5], exec
	s_or_saveexec_b64 s[6:7], s[6:7]
	v_mov_b32_e32 v10, s10
	s_xor_b64 exec, exec, s[6:7]
	s_cbranch_execz .LBB49_1066
.LBB49_3116:
	v_mov_b32_e32 v10, 0
	v_cmp_ne_u16_sdwa s[8:9], v14, v10 src0_sel:BYTE_0 src1_sel:DWORD
	s_andn2_b64 s[4:5], s[4:5], exec
	s_and_b64 s[8:9], s[8:9], exec
	s_or_b64 s[4:5], s[4:5], s[8:9]
	s_or_b64 exec, exec, s[6:7]
	s_and_saveexec_b64 s[6:7], s[4:5]
	s_cbranch_execnz .LBB49_1067
	s_branch .LBB49_1068
.LBB49_3117:
	s_movk_i32 s4, 0x80
	v_cmp_eq_u16_sdwa s[12:13], v14, s4 src0_sel:BYTE_0 src1_sel:DWORD
	s_mov_b64 s[4:5], -1
                                        ; implicit-def: $sgpr10
	s_and_saveexec_b64 s[8:9], s[12:13]
; %bb.3118:
	s_mov_b32 s10, 0x7f800001
	s_xor_b64 s[4:5], exec, -1
; %bb.3119:
	s_or_b64 exec, exec, s[8:9]
	s_and_b64 s[4:5], s[4:5], exec
	s_or_saveexec_b64 s[6:7], s[6:7]
	v_mov_b32_e32 v20, s10
	s_xor_b64 exec, exec, s[6:7]
	s_cbranch_execz .LBB49_1070
.LBB49_3120:
	v_mov_b32_e32 v20, 0
	v_cmp_ne_u16_sdwa s[8:9], v14, v20 src0_sel:BYTE_0 src1_sel:DWORD
	s_andn2_b64 s[4:5], s[4:5], exec
	s_and_b64 s[8:9], s[8:9], exec
	s_or_b64 s[4:5], s[4:5], s[8:9]
	s_or_b64 exec, exec, s[6:7]
	s_and_saveexec_b64 s[6:7], s[4:5]
	s_cbranch_execnz .LBB49_1071
	s_branch .LBB49_1072
.LBB49_3121:
	s_movk_i32 s4, 0x80
	v_cmp_eq_u16_e32 vcc, s4, v14
	s_mov_b64 s[4:5], -1
                                        ; implicit-def: $sgpr10
	s_and_saveexec_b64 s[8:9], vcc
; %bb.3122:
	s_mov_b32 s10, 0x7f800001
	s_xor_b64 s[4:5], exec, -1
; %bb.3123:
	s_or_b64 exec, exec, s[8:9]
	s_and_b64 s[4:5], s[4:5], exec
                                        ; implicit-def: $vgpr14
	s_or_saveexec_b64 s[6:7], s[6:7]
	v_mov_b32_e32 v10, s10
	s_xor_b64 exec, exec, s[6:7]
	s_cbranch_execz .LBB49_1074
.LBB49_3124:
	v_cmp_ne_u16_e32 vcc, 0, v14
	s_andn2_b64 s[4:5], s[4:5], exec
	s_and_b64 s[8:9], vcc, exec
	v_mov_b32_e32 v10, 0
	s_or_b64 s[4:5], s[4:5], s[8:9]
	s_or_b64 exec, exec, s[6:7]
	s_and_saveexec_b64 s[6:7], s[4:5]
	s_cbranch_execnz .LBB49_1075
	s_branch .LBB49_1076
.LBB49_3125:
	s_movk_i32 s4, 0x80
	v_cmp_eq_u16_e32 vcc, s4, v14
	s_mov_b64 s[4:5], -1
                                        ; implicit-def: $sgpr10
	s_and_saveexec_b64 s[8:9], vcc
; %bb.3126:
	s_mov_b32 s10, 0x7f800001
	s_xor_b64 s[4:5], exec, -1
; %bb.3127:
	s_or_b64 exec, exec, s[8:9]
	s_and_b64 s[4:5], s[4:5], exec
                                        ; implicit-def: $vgpr14
	s_or_saveexec_b64 s[6:7], s[6:7]
	v_mov_b32_e32 v20, s10
	s_xor_b64 exec, exec, s[6:7]
	s_cbranch_execz .LBB49_1078
.LBB49_3128:
	v_cmp_ne_u16_e32 vcc, 0, v14
	s_andn2_b64 s[4:5], s[4:5], exec
	s_and_b64 s[8:9], vcc, exec
	v_mov_b32_e32 v20, 0
	s_or_b64 s[4:5], s[4:5], s[8:9]
	s_or_b64 exec, exec, s[6:7]
	s_and_saveexec_b64 s[6:7], s[4:5]
	s_cbranch_execnz .LBB49_1079
	s_branch .LBB49_1080
.LBB49_3129:
	s_movk_i32 s4, 0x80
	v_cmp_eq_u16_sdwa s[12:13], v15, s4 src0_sel:BYTE_3 src1_sel:DWORD
	s_mov_b64 s[4:5], -1
                                        ; implicit-def: $sgpr10
	s_and_saveexec_b64 s[8:9], s[12:13]
; %bb.3130:
	s_mov_b32 s10, 0x7f800001
	s_xor_b64 s[4:5], exec, -1
; %bb.3131:
	s_or_b64 exec, exec, s[8:9]
	s_and_b64 s[4:5], s[4:5], exec
	s_or_saveexec_b64 s[6:7], s[6:7]
	v_mov_b32_e32 v10, s10
	s_xor_b64 exec, exec, s[6:7]
	s_cbranch_execz .LBB49_1082
.LBB49_3132:
	v_mov_b32_e32 v10, 0
	v_cmp_ne_u16_sdwa s[8:9], v15, v10 src0_sel:BYTE_3 src1_sel:DWORD
	s_andn2_b64 s[4:5], s[4:5], exec
	s_and_b64 s[8:9], s[8:9], exec
	s_or_b64 s[4:5], s[4:5], s[8:9]
	s_or_b64 exec, exec, s[6:7]
	s_and_saveexec_b64 s[6:7], s[4:5]
	s_cbranch_execnz .LBB49_1083
	s_branch .LBB49_1084
.LBB49_3133:
	s_movk_i32 s4, 0x80
	v_cmp_eq_u16_sdwa s[12:13], v11, s4 src0_sel:BYTE_3 src1_sel:DWORD
	s_mov_b64 s[4:5], -1
                                        ; implicit-def: $sgpr10
	s_and_saveexec_b64 s[8:9], s[12:13]
; %bb.3134:
	s_mov_b32 s10, 0x7f800001
	s_xor_b64 s[4:5], exec, -1
; %bb.3135:
	s_or_b64 exec, exec, s[8:9]
	s_and_b64 s[4:5], s[4:5], exec
	s_or_saveexec_b64 s[6:7], s[6:7]
	v_mov_b32_e32 v14, s10
	s_xor_b64 exec, exec, s[6:7]
	s_cbranch_execz .LBB49_1086
.LBB49_3136:
	v_mov_b32_e32 v14, 0
	v_cmp_ne_u16_sdwa s[8:9], v11, v14 src0_sel:BYTE_3 src1_sel:DWORD
	s_andn2_b64 s[4:5], s[4:5], exec
	s_and_b64 s[8:9], s[8:9], exec
	s_or_b64 s[4:5], s[4:5], s[8:9]
	s_or_b64 exec, exec, s[6:7]
	s_and_saveexec_b64 s[6:7], s[4:5]
	s_cbranch_execnz .LBB49_1087
	s_branch .LBB49_1088
.LBB49_3137:
	s_movk_i32 s4, 0x80
	v_cmp_eq_u16_sdwa s[12:13], v16, s4 src0_sel:BYTE_0 src1_sel:DWORD
	s_mov_b64 s[4:5], -1
                                        ; implicit-def: $sgpr10
	s_and_saveexec_b64 s[8:9], s[12:13]
; %bb.3138:
	s_mov_b32 s10, 0x7f800001
	s_xor_b64 s[4:5], exec, -1
; %bb.3139:
	s_or_b64 exec, exec, s[8:9]
	s_and_b64 s[4:5], s[4:5], exec
	s_or_saveexec_b64 s[6:7], s[6:7]
	v_mov_b32_e32 v10, s10
	s_xor_b64 exec, exec, s[6:7]
	s_cbranch_execz .LBB49_1090
.LBB49_3140:
	v_mov_b32_e32 v10, 0
	v_cmp_ne_u16_sdwa s[8:9], v16, v10 src0_sel:BYTE_0 src1_sel:DWORD
	s_andn2_b64 s[4:5], s[4:5], exec
	s_and_b64 s[8:9], s[8:9], exec
	s_or_b64 s[4:5], s[4:5], s[8:9]
	s_or_b64 exec, exec, s[6:7]
	s_and_saveexec_b64 s[6:7], s[4:5]
	s_cbranch_execnz .LBB49_1091
	s_branch .LBB49_1092
.LBB49_3141:
	s_movk_i32 s4, 0x80
	v_cmp_eq_u16_sdwa s[12:13], v12, s4 src0_sel:BYTE_0 src1_sel:DWORD
	s_mov_b64 s[4:5], -1
                                        ; implicit-def: $sgpr10
	s_and_saveexec_b64 s[8:9], s[12:13]
; %bb.3142:
	s_mov_b32 s10, 0x7f800001
	s_xor_b64 s[4:5], exec, -1
; %bb.3143:
	s_or_b64 exec, exec, s[8:9]
	s_and_b64 s[4:5], s[4:5], exec
	s_or_saveexec_b64 s[6:7], s[6:7]
	v_mov_b32_e32 v11, s10
	s_xor_b64 exec, exec, s[6:7]
	s_cbranch_execz .LBB49_1094
.LBB49_3144:
	v_mov_b32_e32 v11, 0
	v_cmp_ne_u16_sdwa s[8:9], v12, v11 src0_sel:BYTE_0 src1_sel:DWORD
	s_andn2_b64 s[4:5], s[4:5], exec
	s_and_b64 s[8:9], s[8:9], exec
	s_or_b64 s[4:5], s[4:5], s[8:9]
	s_or_b64 exec, exec, s[6:7]
	s_and_saveexec_b64 s[6:7], s[4:5]
	s_cbranch_execnz .LBB49_1095
	s_branch .LBB49_1096
.LBB49_3145:
	s_movk_i32 s4, 0x80
	v_cmp_eq_u16_sdwa s[12:13], v11, s4 src0_sel:BYTE_0 src1_sel:DWORD
	s_mov_b64 s[4:5], -1
                                        ; implicit-def: $sgpr10
	s_and_saveexec_b64 s[8:9], s[12:13]
; %bb.3146:
	s_mov_b32 s10, 0x7f800001
	s_xor_b64 s[4:5], exec, -1
; %bb.3147:
	s_or_b64 exec, exec, s[8:9]
	s_and_b64 s[4:5], s[4:5], exec
	s_or_saveexec_b64 s[6:7], s[6:7]
	v_mov_b32_e32 v10, s10
	s_xor_b64 exec, exec, s[6:7]
	s_cbranch_execz .LBB49_1098
.LBB49_3148:
	v_mov_b32_e32 v10, 0
	v_cmp_ne_u16_sdwa s[8:9], v11, v10 src0_sel:BYTE_0 src1_sel:DWORD
	s_andn2_b64 s[4:5], s[4:5], exec
	s_and_b64 s[8:9], s[8:9], exec
	s_or_b64 s[4:5], s[4:5], s[8:9]
	s_or_b64 exec, exec, s[6:7]
	s_and_saveexec_b64 s[6:7], s[4:5]
	s_cbranch_execnz .LBB49_1099
	s_branch .LBB49_1100
.LBB49_3149:
	s_movk_i32 s4, 0x80
	v_cmp_eq_u16_sdwa s[12:13], v11, s4 src0_sel:BYTE_0 src1_sel:DWORD
	s_mov_b64 s[4:5], -1
                                        ; implicit-def: $sgpr10
	s_and_saveexec_b64 s[8:9], s[12:13]
; %bb.3150:
	s_mov_b32 s10, 0x7f800001
	s_xor_b64 s[4:5], exec, -1
; %bb.3151:
	s_or_b64 exec, exec, s[8:9]
	s_and_b64 s[4:5], s[4:5], exec
	s_or_saveexec_b64 s[6:7], s[6:7]
	v_mov_b32_e32 v14, s10
	s_xor_b64 exec, exec, s[6:7]
	s_cbranch_execz .LBB49_1102
.LBB49_3152:
	v_mov_b32_e32 v14, 0
	v_cmp_ne_u16_sdwa s[8:9], v11, v14 src0_sel:BYTE_0 src1_sel:DWORD
	s_andn2_b64 s[4:5], s[4:5], exec
	s_and_b64 s[8:9], s[8:9], exec
	s_or_b64 s[4:5], s[4:5], s[8:9]
	s_or_b64 exec, exec, s[6:7]
	s_and_saveexec_b64 s[6:7], s[4:5]
	s_cbranch_execnz .LBB49_1103
	s_branch .LBB49_1104
.LBB49_3153:
	s_movk_i32 s4, 0x80
	v_cmp_eq_u16_e32 vcc, s4, v11
	s_mov_b64 s[4:5], -1
                                        ; implicit-def: $sgpr10
	s_and_saveexec_b64 s[8:9], vcc
; %bb.3154:
	s_mov_b32 s10, 0x7f800001
	s_xor_b64 s[4:5], exec, -1
; %bb.3155:
	s_or_b64 exec, exec, s[8:9]
	s_and_b64 s[4:5], s[4:5], exec
                                        ; implicit-def: $vgpr11
	s_or_saveexec_b64 s[6:7], s[6:7]
	v_mov_b32_e32 v10, s10
	s_xor_b64 exec, exec, s[6:7]
	s_cbranch_execz .LBB49_1106
.LBB49_3156:
	v_cmp_ne_u16_e32 vcc, 0, v11
	s_andn2_b64 s[4:5], s[4:5], exec
	s_and_b64 s[8:9], vcc, exec
	v_mov_b32_e32 v10, 0
	s_or_b64 s[4:5], s[4:5], s[8:9]
	s_or_b64 exec, exec, s[6:7]
	s_and_saveexec_b64 s[6:7], s[4:5]
	s_cbranch_execnz .LBB49_1107
	s_branch .LBB49_1108
.LBB49_3157:
	s_movk_i32 s4, 0x80
	v_cmp_eq_u16_e32 vcc, s4, v11
	s_mov_b64 s[4:5], -1
                                        ; implicit-def: $sgpr10
	s_and_saveexec_b64 s[8:9], vcc
; %bb.3158:
	s_mov_b32 s10, 0x7f800001
	s_xor_b64 s[4:5], exec, -1
; %bb.3159:
	s_or_b64 exec, exec, s[8:9]
	s_and_b64 s[4:5], s[4:5], exec
                                        ; implicit-def: $vgpr11
	s_or_saveexec_b64 s[6:7], s[6:7]
	v_mov_b32_e32 v14, s10
	s_xor_b64 exec, exec, s[6:7]
	s_cbranch_execz .LBB49_1110
.LBB49_3160:
	v_cmp_ne_u16_e32 vcc, 0, v11
	s_andn2_b64 s[4:5], s[4:5], exec
	s_and_b64 s[8:9], vcc, exec
	v_mov_b32_e32 v14, 0
	s_or_b64 s[4:5], s[4:5], s[8:9]
	s_or_b64 exec, exec, s[6:7]
	s_and_saveexec_b64 s[6:7], s[4:5]
	s_cbranch_execnz .LBB49_1111
	s_branch .LBB49_1112
.LBB49_3161:
	s_movk_i32 s4, 0x80
	v_cmp_eq_u16_sdwa s[12:13], v16, s4 src0_sel:BYTE_3 src1_sel:DWORD
	s_mov_b64 s[4:5], -1
                                        ; implicit-def: $sgpr10
	s_and_saveexec_b64 s[8:9], s[12:13]
; %bb.3162:
	s_mov_b32 s10, 0x7f800001
	s_xor_b64 s[4:5], exec, -1
; %bb.3163:
	s_or_b64 exec, exec, s[8:9]
	s_and_b64 s[4:5], s[4:5], exec
	s_or_saveexec_b64 s[6:7], s[6:7]
	v_mov_b32_e32 v10, s10
	s_xor_b64 exec, exec, s[6:7]
	s_cbranch_execz .LBB49_1114
.LBB49_3164:
	v_mov_b32_e32 v10, 0
	v_cmp_ne_u16_sdwa s[8:9], v16, v10 src0_sel:BYTE_3 src1_sel:DWORD
	s_andn2_b64 s[4:5], s[4:5], exec
	s_and_b64 s[8:9], s[8:9], exec
	s_or_b64 s[4:5], s[4:5], s[8:9]
	s_or_b64 exec, exec, s[6:7]
	s_and_saveexec_b64 s[6:7], s[4:5]
	s_cbranch_execnz .LBB49_1115
	s_branch .LBB49_1116
.LBB49_3165:
	s_movk_i32 s4, 0x80
	v_cmp_eq_u16_sdwa s[12:13], v12, s4 src0_sel:BYTE_3 src1_sel:DWORD
	s_mov_b64 s[4:5], -1
                                        ; implicit-def: $sgpr10
	s_and_saveexec_b64 s[8:9], s[12:13]
; %bb.3166:
	s_mov_b32 s10, 0x7f800001
	s_xor_b64 s[4:5], exec, -1
; %bb.3167:
	s_or_b64 exec, exec, s[8:9]
	s_and_b64 s[4:5], s[4:5], exec
	s_or_saveexec_b64 s[6:7], s[6:7]
	v_mov_b32_e32 v11, s10
	s_xor_b64 exec, exec, s[6:7]
	s_cbranch_execz .LBB49_1118
.LBB49_3168:
	v_mov_b32_e32 v11, 0
	v_cmp_ne_u16_sdwa s[8:9], v12, v11 src0_sel:BYTE_3 src1_sel:DWORD
	s_andn2_b64 s[4:5], s[4:5], exec
	s_and_b64 s[8:9], s[8:9], exec
	s_or_b64 s[4:5], s[4:5], s[8:9]
	s_or_b64 exec, exec, s[6:7]
	s_and_saveexec_b64 s[6:7], s[4:5]
	s_cbranch_execnz .LBB49_1119
	s_branch .LBB49_1120
.LBB49_3169:
	s_movk_i32 s4, 0x80
	v_cmp_eq_u16_sdwa s[12:13], v17, s4 src0_sel:BYTE_0 src1_sel:DWORD
	s_mov_b64 s[4:5], -1
                                        ; implicit-def: $sgpr10
	s_and_saveexec_b64 s[8:9], s[12:13]
; %bb.3170:
	s_mov_b32 s10, 0x7f800001
	s_xor_b64 s[4:5], exec, -1
; %bb.3171:
	s_or_b64 exec, exec, s[8:9]
	s_and_b64 s[4:5], s[4:5], exec
	s_or_saveexec_b64 s[6:7], s[6:7]
	v_mov_b32_e32 v10, s10
	s_xor_b64 exec, exec, s[6:7]
	s_cbranch_execz .LBB49_1122
.LBB49_3172:
	v_mov_b32_e32 v10, 0
	v_cmp_ne_u16_sdwa s[8:9], v17, v10 src0_sel:BYTE_0 src1_sel:DWORD
	s_andn2_b64 s[4:5], s[4:5], exec
	s_and_b64 s[8:9], s[8:9], exec
	s_or_b64 s[4:5], s[4:5], s[8:9]
	s_or_b64 exec, exec, s[6:7]
	s_and_saveexec_b64 s[6:7], s[4:5]
	s_cbranch_execnz .LBB49_1123
	s_branch .LBB49_1124
.LBB49_3173:
	s_movk_i32 s4, 0x80
	v_cmp_eq_u16_sdwa s[12:13], v13, s4 src0_sel:BYTE_0 src1_sel:DWORD
	s_mov_b64 s[4:5], -1
                                        ; implicit-def: $sgpr10
	s_and_saveexec_b64 s[8:9], s[12:13]
; %bb.3174:
	s_mov_b32 s10, 0x7f800001
	s_xor_b64 s[4:5], exec, -1
; %bb.3175:
	s_or_b64 exec, exec, s[8:9]
	s_and_b64 s[4:5], s[4:5], exec
	s_or_saveexec_b64 s[6:7], s[6:7]
	v_mov_b32_e32 v11, s10
	s_xor_b64 exec, exec, s[6:7]
	s_cbranch_execz .LBB49_1126
.LBB49_3176:
	v_mov_b32_e32 v11, 0
	v_cmp_ne_u16_sdwa s[8:9], v13, v11 src0_sel:BYTE_0 src1_sel:DWORD
	s_andn2_b64 s[4:5], s[4:5], exec
	s_and_b64 s[8:9], s[8:9], exec
	s_or_b64 s[4:5], s[4:5], s[8:9]
	s_or_b64 exec, exec, s[6:7]
	s_and_saveexec_b64 s[6:7], s[4:5]
	s_cbranch_execnz .LBB49_1127
	s_branch .LBB49_1128
.LBB49_3177:
	s_movk_i32 s4, 0x80
	v_cmp_eq_u16_sdwa s[12:13], v11, s4 src0_sel:BYTE_0 src1_sel:DWORD
	s_mov_b64 s[4:5], -1
                                        ; implicit-def: $sgpr10
	s_and_saveexec_b64 s[8:9], s[12:13]
; %bb.3178:
	s_mov_b32 s10, 0x7f800001
	s_xor_b64 s[4:5], exec, -1
; %bb.3179:
	s_or_b64 exec, exec, s[8:9]
	s_and_b64 s[4:5], s[4:5], exec
	s_or_saveexec_b64 s[6:7], s[6:7]
	v_mov_b32_e32 v10, s10
	s_xor_b64 exec, exec, s[6:7]
	s_cbranch_execz .LBB49_1130
.LBB49_3180:
	v_mov_b32_e32 v10, 0
	v_cmp_ne_u16_sdwa s[8:9], v11, v10 src0_sel:BYTE_0 src1_sel:DWORD
	s_andn2_b64 s[4:5], s[4:5], exec
	s_and_b64 s[8:9], s[8:9], exec
	s_or_b64 s[4:5], s[4:5], s[8:9]
	s_or_b64 exec, exec, s[6:7]
	s_and_saveexec_b64 s[6:7], s[4:5]
	s_cbranch_execnz .LBB49_1131
	s_branch .LBB49_1132
.LBB49_3181:
	s_movk_i32 s4, 0x80
	v_cmp_eq_u16_sdwa s[12:13], v11, s4 src0_sel:BYTE_0 src1_sel:DWORD
	s_mov_b64 s[4:5], -1
                                        ; implicit-def: $sgpr10
	s_and_saveexec_b64 s[8:9], s[12:13]
; %bb.3182:
	s_mov_b32 s10, 0x7f800001
	s_xor_b64 s[4:5], exec, -1
; %bb.3183:
	s_or_b64 exec, exec, s[8:9]
	s_and_b64 s[4:5], s[4:5], exec
	s_or_saveexec_b64 s[6:7], s[6:7]
	v_mov_b32_e32 v12, s10
	s_xor_b64 exec, exec, s[6:7]
	s_cbranch_execz .LBB49_1134
.LBB49_3184:
	v_mov_b32_e32 v12, 0
	v_cmp_ne_u16_sdwa s[8:9], v11, v12 src0_sel:BYTE_0 src1_sel:DWORD
	s_andn2_b64 s[4:5], s[4:5], exec
	s_and_b64 s[8:9], s[8:9], exec
	s_or_b64 s[4:5], s[4:5], s[8:9]
	s_or_b64 exec, exec, s[6:7]
	s_and_saveexec_b64 s[6:7], s[4:5]
	s_cbranch_execnz .LBB49_1135
	s_branch .LBB49_1136
.LBB49_3185:
	s_movk_i32 s4, 0x80
	v_cmp_eq_u16_e32 vcc, s4, v11
	s_mov_b64 s[4:5], -1
                                        ; implicit-def: $sgpr10
	s_and_saveexec_b64 s[8:9], vcc
; %bb.3186:
	s_mov_b32 s10, 0x7f800001
	s_xor_b64 s[4:5], exec, -1
; %bb.3187:
	s_or_b64 exec, exec, s[8:9]
	s_and_b64 s[4:5], s[4:5], exec
                                        ; implicit-def: $vgpr11
	s_or_saveexec_b64 s[6:7], s[6:7]
	v_mov_b32_e32 v10, s10
	s_xor_b64 exec, exec, s[6:7]
	s_cbranch_execz .LBB49_1138
.LBB49_3188:
	v_cmp_ne_u16_e32 vcc, 0, v11
	s_andn2_b64 s[4:5], s[4:5], exec
	s_and_b64 s[8:9], vcc, exec
	v_mov_b32_e32 v10, 0
	s_or_b64 s[4:5], s[4:5], s[8:9]
	s_or_b64 exec, exec, s[6:7]
	s_and_saveexec_b64 s[6:7], s[4:5]
	s_cbranch_execnz .LBB49_1139
	s_branch .LBB49_1140
.LBB49_3189:
	s_movk_i32 s4, 0x80
	v_cmp_eq_u16_e32 vcc, s4, v11
	s_mov_b64 s[4:5], -1
                                        ; implicit-def: $sgpr10
	s_and_saveexec_b64 s[8:9], vcc
; %bb.3190:
	s_mov_b32 s10, 0x7f800001
	s_xor_b64 s[4:5], exec, -1
; %bb.3191:
	s_or_b64 exec, exec, s[8:9]
	s_and_b64 s[4:5], s[4:5], exec
                                        ; implicit-def: $vgpr11
	s_or_saveexec_b64 s[6:7], s[6:7]
	v_mov_b32_e32 v12, s10
	s_xor_b64 exec, exec, s[6:7]
	s_cbranch_execz .LBB49_1142
.LBB49_3192:
	v_cmp_ne_u16_e32 vcc, 0, v11
	s_andn2_b64 s[4:5], s[4:5], exec
	s_and_b64 s[8:9], vcc, exec
	v_mov_b32_e32 v12, 0
	s_or_b64 s[4:5], s[4:5], s[8:9]
	s_or_b64 exec, exec, s[6:7]
	s_and_saveexec_b64 s[6:7], s[4:5]
	s_cbranch_execnz .LBB49_1143
	s_branch .LBB49_1144
.LBB49_3193:
	s_movk_i32 s4, 0x80
	v_cmp_eq_u16_sdwa s[12:13], v17, s4 src0_sel:BYTE_3 src1_sel:DWORD
	s_mov_b64 s[4:5], -1
                                        ; implicit-def: $sgpr10
	s_and_saveexec_b64 s[8:9], s[12:13]
; %bb.3194:
	s_mov_b32 s10, 0x7f800001
	s_xor_b64 s[4:5], exec, -1
; %bb.3195:
	s_or_b64 exec, exec, s[8:9]
	s_and_b64 s[4:5], s[4:5], exec
	s_or_saveexec_b64 s[6:7], s[6:7]
	v_mov_b32_e32 v10, s10
	s_xor_b64 exec, exec, s[6:7]
	s_cbranch_execz .LBB49_1146
.LBB49_3196:
	v_mov_b32_e32 v10, 0
	v_cmp_ne_u16_sdwa s[8:9], v17, v10 src0_sel:BYTE_3 src1_sel:DWORD
	s_andn2_b64 s[4:5], s[4:5], exec
	s_and_b64 s[8:9], s[8:9], exec
	s_or_b64 s[4:5], s[4:5], s[8:9]
	s_or_b64 exec, exec, s[6:7]
	s_and_saveexec_b64 s[6:7], s[4:5]
	s_cbranch_execnz .LBB49_1147
	s_branch .LBB49_1148
.LBB49_3197:
	s_movk_i32 s4, 0x80
	v_cmp_eq_u16_sdwa s[12:13], v13, s4 src0_sel:BYTE_3 src1_sel:DWORD
	s_mov_b64 s[4:5], -1
                                        ; implicit-def: $sgpr10
	s_and_saveexec_b64 s[8:9], s[12:13]
; %bb.3198:
	s_mov_b32 s10, 0x7f800001
	s_xor_b64 s[4:5], exec, -1
; %bb.3199:
	s_or_b64 exec, exec, s[8:9]
	s_and_b64 s[4:5], s[4:5], exec
	s_or_saveexec_b64 s[6:7], s[6:7]
	v_mov_b32_e32 v11, s10
	s_xor_b64 exec, exec, s[6:7]
	s_cbranch_execz .LBB49_1150
.LBB49_3200:
	v_mov_b32_e32 v11, 0
	v_cmp_ne_u16_sdwa s[8:9], v13, v11 src0_sel:BYTE_3 src1_sel:DWORD
	s_andn2_b64 s[4:5], s[4:5], exec
	s_and_b64 s[8:9], s[8:9], exec
	s_or_b64 s[4:5], s[4:5], s[8:9]
	s_or_b64 exec, exec, s[6:7]
	s_and_saveexec_b64 s[6:7], s[4:5]
	s_cbranch_execnz .LBB49_1151
	s_branch .LBB49_1152
.LBB49_3201:
	s_movk_i32 s4, 0x80
	v_cmp_eq_u16_sdwa s[12:13], v6, s4 src0_sel:BYTE_0 src1_sel:DWORD
	s_mov_b64 s[4:5], -1
                                        ; implicit-def: $sgpr10
	s_and_saveexec_b64 s[8:9], s[12:13]
; %bb.3202:
	s_mov_b32 s10, 0x7f800001
	s_xor_b64 s[4:5], exec, -1
; %bb.3203:
	s_or_b64 exec, exec, s[8:9]
	s_and_b64 s[4:5], s[4:5], exec
	s_or_saveexec_b64 s[6:7], s[6:7]
	v_mov_b32_e32 v10, s10
	s_xor_b64 exec, exec, s[6:7]
	s_cbranch_execz .LBB49_1154
.LBB49_3204:
	v_mov_b32_e32 v10, 0
	v_cmp_ne_u16_sdwa s[8:9], v6, v10 src0_sel:BYTE_0 src1_sel:DWORD
	s_andn2_b64 s[4:5], s[4:5], exec
	s_and_b64 s[8:9], s[8:9], exec
	s_or_b64 s[4:5], s[4:5], s[8:9]
	s_or_b64 exec, exec, s[6:7]
	s_and_saveexec_b64 s[6:7], s[4:5]
	s_cbranch_execnz .LBB49_1155
	s_branch .LBB49_1156
.LBB49_3205:
	s_movk_i32 s4, 0x80
	v_cmp_eq_u16_sdwa s[12:13], v2, s4 src0_sel:BYTE_0 src1_sel:DWORD
	s_mov_b64 s[4:5], -1
                                        ; implicit-def: $sgpr10
	s_and_saveexec_b64 s[8:9], s[12:13]
; %bb.3206:
	s_mov_b32 s10, 0x7f800001
	s_xor_b64 s[4:5], exec, -1
; %bb.3207:
	s_or_b64 exec, exec, s[8:9]
	s_and_b64 s[4:5], s[4:5], exec
	s_or_saveexec_b64 s[6:7], s[6:7]
	v_mov_b32_e32 v11, s10
	s_xor_b64 exec, exec, s[6:7]
	s_cbranch_execz .LBB49_1158
.LBB49_3208:
	v_mov_b32_e32 v11, 0
	v_cmp_ne_u16_sdwa s[8:9], v2, v11 src0_sel:BYTE_0 src1_sel:DWORD
	s_andn2_b64 s[4:5], s[4:5], exec
	s_and_b64 s[8:9], s[8:9], exec
	s_or_b64 s[4:5], s[4:5], s[8:9]
	s_or_b64 exec, exec, s[6:7]
	s_and_saveexec_b64 s[6:7], s[4:5]
	s_cbranch_execnz .LBB49_1159
	s_branch .LBB49_1160
.LBB49_3209:
	s_movk_i32 s4, 0x80
	v_cmp_eq_u16_sdwa s[12:13], v11, s4 src0_sel:BYTE_0 src1_sel:DWORD
	s_mov_b64 s[4:5], -1
                                        ; implicit-def: $sgpr10
	s_and_saveexec_b64 s[8:9], s[12:13]
; %bb.3210:
	s_mov_b32 s10, 0x7f800001
	s_xor_b64 s[4:5], exec, -1
; %bb.3211:
	s_or_b64 exec, exec, s[8:9]
	s_and_b64 s[4:5], s[4:5], exec
	s_or_saveexec_b64 s[6:7], s[6:7]
	v_mov_b32_e32 v10, s10
	s_xor_b64 exec, exec, s[6:7]
	s_cbranch_execz .LBB49_1162
.LBB49_3212:
	v_mov_b32_e32 v10, 0
	v_cmp_ne_u16_sdwa s[8:9], v11, v10 src0_sel:BYTE_0 src1_sel:DWORD
	s_andn2_b64 s[4:5], s[4:5], exec
	s_and_b64 s[8:9], s[8:9], exec
	s_or_b64 s[4:5], s[4:5], s[8:9]
	s_or_b64 exec, exec, s[6:7]
	s_and_saveexec_b64 s[6:7], s[4:5]
	s_cbranch_execnz .LBB49_1163
	s_branch .LBB49_1164
.LBB49_3213:
	s_movk_i32 s4, 0x80
	v_cmp_eq_u16_sdwa s[12:13], v11, s4 src0_sel:BYTE_0 src1_sel:DWORD
	s_mov_b64 s[4:5], -1
                                        ; implicit-def: $sgpr10
	s_and_saveexec_b64 s[8:9], s[12:13]
; %bb.3214:
	s_mov_b32 s10, 0x7f800001
	s_xor_b64 s[4:5], exec, -1
; %bb.3215:
	s_or_b64 exec, exec, s[8:9]
	s_and_b64 s[4:5], s[4:5], exec
	s_or_saveexec_b64 s[6:7], s[6:7]
	v_mov_b32_e32 v12, s10
	s_xor_b64 exec, exec, s[6:7]
	s_cbranch_execz .LBB49_1166
.LBB49_3216:
	v_mov_b32_e32 v12, 0
	v_cmp_ne_u16_sdwa s[8:9], v11, v12 src0_sel:BYTE_0 src1_sel:DWORD
	s_andn2_b64 s[4:5], s[4:5], exec
	s_and_b64 s[8:9], s[8:9], exec
	s_or_b64 s[4:5], s[4:5], s[8:9]
	s_or_b64 exec, exec, s[6:7]
	s_and_saveexec_b64 s[6:7], s[4:5]
	s_cbranch_execnz .LBB49_1167
	s_branch .LBB49_1168
.LBB49_3217:
	s_movk_i32 s4, 0x80
	v_cmp_eq_u16_e32 vcc, s4, v11
	s_mov_b64 s[4:5], -1
                                        ; implicit-def: $sgpr10
	s_and_saveexec_b64 s[8:9], vcc
; %bb.3218:
	s_mov_b32 s10, 0x7f800001
	s_xor_b64 s[4:5], exec, -1
; %bb.3219:
	s_or_b64 exec, exec, s[8:9]
	s_and_b64 s[4:5], s[4:5], exec
                                        ; implicit-def: $vgpr11
	s_or_saveexec_b64 s[6:7], s[6:7]
	v_mov_b32_e32 v10, s10
	s_xor_b64 exec, exec, s[6:7]
	s_cbranch_execz .LBB49_1170
.LBB49_3220:
	v_cmp_ne_u16_e32 vcc, 0, v11
	s_andn2_b64 s[4:5], s[4:5], exec
	s_and_b64 s[8:9], vcc, exec
	v_mov_b32_e32 v10, 0
	s_or_b64 s[4:5], s[4:5], s[8:9]
	s_or_b64 exec, exec, s[6:7]
	s_and_saveexec_b64 s[6:7], s[4:5]
	s_cbranch_execnz .LBB49_1171
	s_branch .LBB49_1172
.LBB49_3221:
	s_movk_i32 s4, 0x80
	v_cmp_eq_u16_e32 vcc, s4, v11
	s_mov_b64 s[4:5], -1
                                        ; implicit-def: $sgpr10
	s_and_saveexec_b64 s[8:9], vcc
; %bb.3222:
	s_mov_b32 s10, 0x7f800001
	s_xor_b64 s[4:5], exec, -1
; %bb.3223:
	s_or_b64 exec, exec, s[8:9]
	s_and_b64 s[4:5], s[4:5], exec
                                        ; implicit-def: $vgpr11
	s_or_saveexec_b64 s[6:7], s[6:7]
	v_mov_b32_e32 v12, s10
	s_xor_b64 exec, exec, s[6:7]
	s_cbranch_execz .LBB49_1174
.LBB49_3224:
	v_cmp_ne_u16_e32 vcc, 0, v11
	s_andn2_b64 s[4:5], s[4:5], exec
	s_and_b64 s[8:9], vcc, exec
	v_mov_b32_e32 v12, 0
	s_or_b64 s[4:5], s[4:5], s[8:9]
	s_or_b64 exec, exec, s[6:7]
	s_and_saveexec_b64 s[6:7], s[4:5]
	s_cbranch_execnz .LBB49_1175
	s_branch .LBB49_1176
.LBB49_3225:
	s_movk_i32 s4, 0x80
	v_cmp_eq_u16_sdwa s[12:13], v6, s4 src0_sel:BYTE_3 src1_sel:DWORD
	s_mov_b64 s[4:5], -1
                                        ; implicit-def: $sgpr10
	s_and_saveexec_b64 s[8:9], s[12:13]
; %bb.3226:
	s_mov_b32 s10, 0x7f800001
	s_xor_b64 s[4:5], exec, -1
; %bb.3227:
	s_or_b64 exec, exec, s[8:9]
	s_and_b64 s[4:5], s[4:5], exec
	s_or_saveexec_b64 s[6:7], s[6:7]
	v_mov_b32_e32 v10, s10
	s_xor_b64 exec, exec, s[6:7]
	s_cbranch_execz .LBB49_1178
.LBB49_3228:
	v_mov_b32_e32 v10, 0
	v_cmp_ne_u16_sdwa s[8:9], v6, v10 src0_sel:BYTE_3 src1_sel:DWORD
	s_andn2_b64 s[4:5], s[4:5], exec
	s_and_b64 s[8:9], s[8:9], exec
	s_or_b64 s[4:5], s[4:5], s[8:9]
	s_or_b64 exec, exec, s[6:7]
	s_and_saveexec_b64 s[6:7], s[4:5]
	s_cbranch_execnz .LBB49_1179
	s_branch .LBB49_1180
.LBB49_3229:
	s_movk_i32 s4, 0x80
	v_cmp_eq_u16_sdwa s[12:13], v2, s4 src0_sel:BYTE_3 src1_sel:DWORD
	s_mov_b64 s[4:5], -1
                                        ; implicit-def: $sgpr10
	s_and_saveexec_b64 s[8:9], s[12:13]
; %bb.3230:
	s_mov_b32 s10, 0x7f800001
	s_xor_b64 s[4:5], exec, -1
; %bb.3231:
	s_or_b64 exec, exec, s[8:9]
	s_and_b64 s[4:5], s[4:5], exec
	s_or_saveexec_b64 s[6:7], s[6:7]
	v_mov_b32_e32 v6, s10
	s_xor_b64 exec, exec, s[6:7]
	s_cbranch_execz .LBB49_1182
.LBB49_3232:
	v_mov_b32_e32 v6, 0
	v_cmp_ne_u16_sdwa s[8:9], v2, v6 src0_sel:BYTE_3 src1_sel:DWORD
	s_andn2_b64 s[4:5], s[4:5], exec
	s_and_b64 s[8:9], s[8:9], exec
	s_or_b64 s[4:5], s[4:5], s[8:9]
	s_or_b64 exec, exec, s[6:7]
	s_and_saveexec_b64 s[6:7], s[4:5]
	s_cbranch_execnz .LBB49_1183
	s_branch .LBB49_1184
.LBB49_3233:
	s_movk_i32 s4, 0x80
	v_cmp_eq_u16_sdwa s[12:13], v7, s4 src0_sel:BYTE_0 src1_sel:DWORD
	s_mov_b64 s[4:5], -1
                                        ; implicit-def: $sgpr10
	s_and_saveexec_b64 s[8:9], s[12:13]
; %bb.3234:
	s_mov_b32 s10, 0x7f800001
	s_xor_b64 s[4:5], exec, -1
; %bb.3235:
	s_or_b64 exec, exec, s[8:9]
	s_and_b64 s[4:5], s[4:5], exec
	s_or_saveexec_b64 s[6:7], s[6:7]
	v_mov_b32_e32 v2, s10
	s_xor_b64 exec, exec, s[6:7]
	s_cbranch_execz .LBB49_1186
.LBB49_3236:
	v_mov_b32_e32 v2, 0
	v_cmp_ne_u16_sdwa s[8:9], v7, v2 src0_sel:BYTE_0 src1_sel:DWORD
	s_andn2_b64 s[4:5], s[4:5], exec
	s_and_b64 s[8:9], s[8:9], exec
	s_or_b64 s[4:5], s[4:5], s[8:9]
	s_or_b64 exec, exec, s[6:7]
	s_and_saveexec_b64 s[6:7], s[4:5]
	s_cbranch_execnz .LBB49_1187
	s_branch .LBB49_1188
.LBB49_3237:
	s_movk_i32 s4, 0x80
	v_cmp_eq_u16_sdwa s[12:13], v3, s4 src0_sel:BYTE_0 src1_sel:DWORD
	s_mov_b64 s[4:5], -1
                                        ; implicit-def: $sgpr10
	s_and_saveexec_b64 s[8:9], s[12:13]
; %bb.3238:
	s_mov_b32 s10, 0x7f800001
	s_xor_b64 s[4:5], exec, -1
; %bb.3239:
	s_or_b64 exec, exec, s[8:9]
	s_and_b64 s[4:5], s[4:5], exec
	s_or_saveexec_b64 s[6:7], s[6:7]
	v_mov_b32_e32 v6, s10
	s_xor_b64 exec, exec, s[6:7]
	s_cbranch_execz .LBB49_1190
.LBB49_3240:
	v_mov_b32_e32 v6, 0
	v_cmp_ne_u16_sdwa s[8:9], v3, v6 src0_sel:BYTE_0 src1_sel:DWORD
	s_andn2_b64 s[4:5], s[4:5], exec
	s_and_b64 s[8:9], s[8:9], exec
	s_or_b64 s[4:5], s[4:5], s[8:9]
	s_or_b64 exec, exec, s[6:7]
	s_and_saveexec_b64 s[6:7], s[4:5]
	s_cbranch_execnz .LBB49_1191
	s_branch .LBB49_1192
.LBB49_3241:
	s_movk_i32 s4, 0x80
	v_cmp_eq_u16_sdwa s[12:13], v6, s4 src0_sel:BYTE_0 src1_sel:DWORD
	s_mov_b64 s[4:5], -1
                                        ; implicit-def: $sgpr10
	s_and_saveexec_b64 s[8:9], s[12:13]
; %bb.3242:
	s_mov_b32 s10, 0x7f800001
	s_xor_b64 s[4:5], exec, -1
; %bb.3243:
	s_or_b64 exec, exec, s[8:9]
	s_and_b64 s[4:5], s[4:5], exec
	s_or_saveexec_b64 s[6:7], s[6:7]
	v_mov_b32_e32 v2, s10
	s_xor_b64 exec, exec, s[6:7]
	s_cbranch_execz .LBB49_1194
.LBB49_3244:
	v_mov_b32_e32 v2, 0
	v_cmp_ne_u16_sdwa s[8:9], v6, v2 src0_sel:BYTE_0 src1_sel:DWORD
	s_andn2_b64 s[4:5], s[4:5], exec
	s_and_b64 s[8:9], s[8:9], exec
	s_or_b64 s[4:5], s[4:5], s[8:9]
	s_or_b64 exec, exec, s[6:7]
	s_and_saveexec_b64 s[6:7], s[4:5]
	s_cbranch_execnz .LBB49_1195
	s_branch .LBB49_1196
.LBB49_3245:
	s_movk_i32 s4, 0x80
	v_cmp_eq_u16_sdwa s[12:13], v6, s4 src0_sel:BYTE_0 src1_sel:DWORD
	s_mov_b64 s[4:5], -1
                                        ; implicit-def: $sgpr10
	s_and_saveexec_b64 s[8:9], s[12:13]
; %bb.3246:
	s_mov_b32 s10, 0x7f800001
	s_xor_b64 s[4:5], exec, -1
; %bb.3247:
	s_or_b64 exec, exec, s[8:9]
	s_and_b64 s[4:5], s[4:5], exec
	s_or_saveexec_b64 s[6:7], s[6:7]
	v_mov_b32_e32 v10, s10
	s_xor_b64 exec, exec, s[6:7]
	s_cbranch_execz .LBB49_1198
.LBB49_3248:
	v_mov_b32_e32 v10, 0
	v_cmp_ne_u16_sdwa s[8:9], v6, v10 src0_sel:BYTE_0 src1_sel:DWORD
	s_andn2_b64 s[4:5], s[4:5], exec
	s_and_b64 s[8:9], s[8:9], exec
	s_or_b64 s[4:5], s[4:5], s[8:9]
	s_or_b64 exec, exec, s[6:7]
	s_and_saveexec_b64 s[6:7], s[4:5]
	s_cbranch_execnz .LBB49_1199
	s_branch .LBB49_1200
.LBB49_3249:
	s_movk_i32 s4, 0x80
	v_cmp_eq_u16_e32 vcc, s4, v6
	s_mov_b64 s[4:5], -1
                                        ; implicit-def: $sgpr10
	s_and_saveexec_b64 s[8:9], vcc
; %bb.3250:
	s_mov_b32 s10, 0x7f800001
	s_xor_b64 s[4:5], exec, -1
; %bb.3251:
	s_or_b64 exec, exec, s[8:9]
	s_and_b64 s[4:5], s[4:5], exec
                                        ; implicit-def: $vgpr6
	s_or_saveexec_b64 s[6:7], s[6:7]
	v_mov_b32_e32 v2, s10
	s_xor_b64 exec, exec, s[6:7]
	s_cbranch_execz .LBB49_1202
.LBB49_3252:
	v_cmp_ne_u16_e32 vcc, 0, v6
	s_andn2_b64 s[4:5], s[4:5], exec
	s_and_b64 s[8:9], vcc, exec
	v_mov_b32_e32 v2, 0
	s_or_b64 s[4:5], s[4:5], s[8:9]
	s_or_b64 exec, exec, s[6:7]
	s_and_saveexec_b64 s[6:7], s[4:5]
	s_cbranch_execnz .LBB49_1203
	s_branch .LBB49_1204
.LBB49_3253:
	s_movk_i32 s4, 0x80
	v_cmp_eq_u16_e32 vcc, s4, v6
	s_mov_b64 s[4:5], -1
                                        ; implicit-def: $sgpr10
	s_and_saveexec_b64 s[8:9], vcc
; %bb.3254:
	s_mov_b32 s10, 0x7f800001
	s_xor_b64 s[4:5], exec, -1
; %bb.3255:
	s_or_b64 exec, exec, s[8:9]
	s_and_b64 s[4:5], s[4:5], exec
                                        ; implicit-def: $vgpr6
	s_or_saveexec_b64 s[6:7], s[6:7]
	v_mov_b32_e32 v10, s10
	s_xor_b64 exec, exec, s[6:7]
	s_cbranch_execz .LBB49_1206
.LBB49_3256:
	v_cmp_ne_u16_e32 vcc, 0, v6
	s_andn2_b64 s[4:5], s[4:5], exec
	s_and_b64 s[8:9], vcc, exec
	v_mov_b32_e32 v10, 0
	s_or_b64 s[4:5], s[4:5], s[8:9]
	s_or_b64 exec, exec, s[6:7]
	s_and_saveexec_b64 s[6:7], s[4:5]
	s_cbranch_execnz .LBB49_1207
	s_branch .LBB49_1208
.LBB49_3257:
	s_movk_i32 s4, 0x80
	v_cmp_eq_u16_sdwa s[12:13], v7, s4 src0_sel:BYTE_3 src1_sel:DWORD
	s_mov_b64 s[4:5], -1
                                        ; implicit-def: $sgpr10
	s_and_saveexec_b64 s[8:9], s[12:13]
; %bb.3258:
	s_mov_b32 s10, 0x7f800001
	s_xor_b64 s[4:5], exec, -1
; %bb.3259:
	s_or_b64 exec, exec, s[8:9]
	s_and_b64 s[4:5], s[4:5], exec
	s_or_saveexec_b64 s[6:7], s[6:7]
	v_mov_b32_e32 v2, s10
	s_xor_b64 exec, exec, s[6:7]
	s_cbranch_execz .LBB49_1210
.LBB49_3260:
	v_mov_b32_e32 v2, 0
	v_cmp_ne_u16_sdwa s[8:9], v7, v2 src0_sel:BYTE_3 src1_sel:DWORD
	s_andn2_b64 s[4:5], s[4:5], exec
	s_and_b64 s[8:9], s[8:9], exec
	s_or_b64 s[4:5], s[4:5], s[8:9]
	s_or_b64 exec, exec, s[6:7]
	s_and_saveexec_b64 s[6:7], s[4:5]
	s_cbranch_execnz .LBB49_1211
	s_branch .LBB49_1212
.LBB49_3261:
	s_movk_i32 s4, 0x80
	v_cmp_eq_u16_sdwa s[12:13], v3, s4 src0_sel:BYTE_3 src1_sel:DWORD
	s_mov_b64 s[4:5], -1
                                        ; implicit-def: $sgpr10
	s_and_saveexec_b64 s[8:9], s[12:13]
; %bb.3262:
	s_mov_b32 s10, 0x7f800001
	s_xor_b64 s[4:5], exec, -1
; %bb.3263:
	s_or_b64 exec, exec, s[8:9]
	s_and_b64 s[4:5], s[4:5], exec
	s_or_saveexec_b64 s[6:7], s[6:7]
	v_mov_b32_e32 v6, s10
	s_xor_b64 exec, exec, s[6:7]
	s_cbranch_execz .LBB49_1214
.LBB49_3264:
	v_mov_b32_e32 v6, 0
	v_cmp_ne_u16_sdwa s[8:9], v3, v6 src0_sel:BYTE_3 src1_sel:DWORD
	s_andn2_b64 s[4:5], s[4:5], exec
	s_and_b64 s[8:9], s[8:9], exec
	s_or_b64 s[4:5], s[4:5], s[8:9]
	s_or_b64 exec, exec, s[6:7]
	s_and_saveexec_b64 s[6:7], s[4:5]
	s_cbranch_execnz .LBB49_1215
	s_branch .LBB49_1216
.LBB49_3265:
	s_movk_i32 s4, 0x80
	v_cmp_eq_u16_sdwa s[12:13], v8, s4 src0_sel:BYTE_0 src1_sel:DWORD
	s_mov_b64 s[4:5], -1
                                        ; implicit-def: $sgpr10
	s_and_saveexec_b64 s[8:9], s[12:13]
; %bb.3266:
	s_mov_b32 s10, 0x7f800001
	s_xor_b64 s[4:5], exec, -1
; %bb.3267:
	s_or_b64 exec, exec, s[8:9]
	s_and_b64 s[4:5], s[4:5], exec
	s_or_saveexec_b64 s[6:7], s[6:7]
	v_mov_b32_e32 v2, s10
	s_xor_b64 exec, exec, s[6:7]
	s_cbranch_execz .LBB49_1218
.LBB49_3268:
	v_mov_b32_e32 v2, 0
	v_cmp_ne_u16_sdwa s[8:9], v8, v2 src0_sel:BYTE_0 src1_sel:DWORD
	s_andn2_b64 s[4:5], s[4:5], exec
	s_and_b64 s[8:9], s[8:9], exec
	s_or_b64 s[4:5], s[4:5], s[8:9]
	s_or_b64 exec, exec, s[6:7]
	s_and_saveexec_b64 s[6:7], s[4:5]
	s_cbranch_execnz .LBB49_1219
	s_branch .LBB49_1220
.LBB49_3269:
	s_movk_i32 s4, 0x80
	v_cmp_eq_u16_sdwa s[12:13], v4, s4 src0_sel:BYTE_0 src1_sel:DWORD
	s_mov_b64 s[4:5], -1
                                        ; implicit-def: $sgpr10
	s_and_saveexec_b64 s[8:9], s[12:13]
; %bb.3270:
	s_mov_b32 s10, 0x7f800001
	s_xor_b64 s[4:5], exec, -1
; %bb.3271:
	s_or_b64 exec, exec, s[8:9]
	s_and_b64 s[4:5], s[4:5], exec
	s_or_saveexec_b64 s[6:7], s[6:7]
	v_mov_b32_e32 v3, s10
	s_xor_b64 exec, exec, s[6:7]
	s_cbranch_execz .LBB49_1222
.LBB49_3272:
	v_mov_b32_e32 v3, 0
	v_cmp_ne_u16_sdwa s[8:9], v4, v3 src0_sel:BYTE_0 src1_sel:DWORD
	s_andn2_b64 s[4:5], s[4:5], exec
	s_and_b64 s[8:9], s[8:9], exec
	s_or_b64 s[4:5], s[4:5], s[8:9]
	s_or_b64 exec, exec, s[6:7]
	s_and_saveexec_b64 s[6:7], s[4:5]
	s_cbranch_execnz .LBB49_1223
	s_branch .LBB49_1224
.LBB49_3273:
	s_movk_i32 s4, 0x80
	v_cmp_eq_u16_sdwa s[12:13], v3, s4 src0_sel:BYTE_0 src1_sel:DWORD
	s_mov_b64 s[4:5], -1
                                        ; implicit-def: $sgpr10
	s_and_saveexec_b64 s[8:9], s[12:13]
; %bb.3274:
	s_mov_b32 s10, 0x7f800001
	s_xor_b64 s[4:5], exec, -1
; %bb.3275:
	s_or_b64 exec, exec, s[8:9]
	s_and_b64 s[4:5], s[4:5], exec
	s_or_saveexec_b64 s[6:7], s[6:7]
	v_mov_b32_e32 v2, s10
	s_xor_b64 exec, exec, s[6:7]
	s_cbranch_execz .LBB49_1226
.LBB49_3276:
	v_mov_b32_e32 v2, 0
	v_cmp_ne_u16_sdwa s[8:9], v3, v2 src0_sel:BYTE_0 src1_sel:DWORD
	s_andn2_b64 s[4:5], s[4:5], exec
	s_and_b64 s[8:9], s[8:9], exec
	s_or_b64 s[4:5], s[4:5], s[8:9]
	s_or_b64 exec, exec, s[6:7]
	s_and_saveexec_b64 s[6:7], s[4:5]
	s_cbranch_execnz .LBB49_1227
	s_branch .LBB49_1228
.LBB49_3277:
	s_movk_i32 s4, 0x80
	v_cmp_eq_u16_sdwa s[12:13], v3, s4 src0_sel:BYTE_0 src1_sel:DWORD
	s_mov_b64 s[4:5], -1
                                        ; implicit-def: $sgpr10
	s_and_saveexec_b64 s[8:9], s[12:13]
; %bb.3278:
	s_mov_b32 s10, 0x7f800001
	s_xor_b64 s[4:5], exec, -1
; %bb.3279:
	s_or_b64 exec, exec, s[8:9]
	s_and_b64 s[4:5], s[4:5], exec
	s_or_saveexec_b64 s[6:7], s[6:7]
	v_mov_b32_e32 v6, s10
	s_xor_b64 exec, exec, s[6:7]
	s_cbranch_execz .LBB49_1230
.LBB49_3280:
	v_mov_b32_e32 v6, 0
	v_cmp_ne_u16_sdwa s[8:9], v3, v6 src0_sel:BYTE_0 src1_sel:DWORD
	s_andn2_b64 s[4:5], s[4:5], exec
	s_and_b64 s[8:9], s[8:9], exec
	s_or_b64 s[4:5], s[4:5], s[8:9]
	s_or_b64 exec, exec, s[6:7]
	s_and_saveexec_b64 s[6:7], s[4:5]
	s_cbranch_execnz .LBB49_1231
	s_branch .LBB49_1232
.LBB49_3281:
	s_movk_i32 s4, 0x80
	v_cmp_eq_u16_e32 vcc, s4, v3
	s_mov_b64 s[4:5], -1
                                        ; implicit-def: $sgpr10
	s_and_saveexec_b64 s[8:9], vcc
; %bb.3282:
	s_mov_b32 s10, 0x7f800001
	s_xor_b64 s[4:5], exec, -1
; %bb.3283:
	s_or_b64 exec, exec, s[8:9]
	s_and_b64 s[4:5], s[4:5], exec
                                        ; implicit-def: $vgpr3
	s_or_saveexec_b64 s[6:7], s[6:7]
	v_mov_b32_e32 v2, s10
	s_xor_b64 exec, exec, s[6:7]
	s_cbranch_execz .LBB49_1234
.LBB49_3284:
	v_cmp_ne_u16_e32 vcc, 0, v3
	s_andn2_b64 s[4:5], s[4:5], exec
	s_and_b64 s[8:9], vcc, exec
	v_mov_b32_e32 v2, 0
	s_or_b64 s[4:5], s[4:5], s[8:9]
	s_or_b64 exec, exec, s[6:7]
	s_and_saveexec_b64 s[6:7], s[4:5]
	s_cbranch_execnz .LBB49_1235
	s_branch .LBB49_1236
.LBB49_3285:
	s_movk_i32 s4, 0x80
	v_cmp_eq_u16_e32 vcc, s4, v3
	s_mov_b64 s[4:5], -1
                                        ; implicit-def: $sgpr10
	s_and_saveexec_b64 s[8:9], vcc
; %bb.3286:
	s_mov_b32 s10, 0x7f800001
	s_xor_b64 s[4:5], exec, -1
; %bb.3287:
	s_or_b64 exec, exec, s[8:9]
	s_and_b64 s[4:5], s[4:5], exec
                                        ; implicit-def: $vgpr3
	s_or_saveexec_b64 s[6:7], s[6:7]
	v_mov_b32_e32 v6, s10
	s_xor_b64 exec, exec, s[6:7]
	s_cbranch_execz .LBB49_1238
.LBB49_3288:
	v_cmp_ne_u16_e32 vcc, 0, v3
	s_andn2_b64 s[4:5], s[4:5], exec
	s_and_b64 s[8:9], vcc, exec
	v_mov_b32_e32 v6, 0
	s_or_b64 s[4:5], s[4:5], s[8:9]
	s_or_b64 exec, exec, s[6:7]
	s_and_saveexec_b64 s[6:7], s[4:5]
	s_cbranch_execnz .LBB49_1239
	s_branch .LBB49_1240
.LBB49_3289:
	s_movk_i32 s4, 0x80
	v_cmp_eq_u16_sdwa s[12:13], v8, s4 src0_sel:BYTE_3 src1_sel:DWORD
	s_mov_b64 s[4:5], -1
                                        ; implicit-def: $sgpr10
	s_and_saveexec_b64 s[8:9], s[12:13]
; %bb.3290:
	s_mov_b32 s10, 0x7f800001
	s_xor_b64 s[4:5], exec, -1
; %bb.3291:
	s_or_b64 exec, exec, s[8:9]
	s_and_b64 s[4:5], s[4:5], exec
	s_or_saveexec_b64 s[6:7], s[6:7]
	v_mov_b32_e32 v2, s10
	s_xor_b64 exec, exec, s[6:7]
	s_cbranch_execz .LBB49_1242
.LBB49_3292:
	v_mov_b32_e32 v2, 0
	v_cmp_ne_u16_sdwa s[8:9], v8, v2 src0_sel:BYTE_3 src1_sel:DWORD
	s_andn2_b64 s[4:5], s[4:5], exec
	s_and_b64 s[8:9], s[8:9], exec
	s_or_b64 s[4:5], s[4:5], s[8:9]
	s_or_b64 exec, exec, s[6:7]
	s_and_saveexec_b64 s[6:7], s[4:5]
	s_cbranch_execnz .LBB49_1243
	s_branch .LBB49_1244
.LBB49_3293:
	s_movk_i32 s4, 0x80
	v_cmp_eq_u16_sdwa s[12:13], v4, s4 src0_sel:BYTE_3 src1_sel:DWORD
	s_mov_b64 s[4:5], -1
                                        ; implicit-def: $sgpr10
	s_and_saveexec_b64 s[8:9], s[12:13]
; %bb.3294:
	s_mov_b32 s10, 0x7f800001
	s_xor_b64 s[4:5], exec, -1
; %bb.3295:
	s_or_b64 exec, exec, s[8:9]
	s_and_b64 s[4:5], s[4:5], exec
	s_or_saveexec_b64 s[6:7], s[6:7]
	v_mov_b32_e32 v3, s10
	s_xor_b64 exec, exec, s[6:7]
	s_cbranch_execz .LBB49_1246
.LBB49_3296:
	v_mov_b32_e32 v3, 0
	v_cmp_ne_u16_sdwa s[8:9], v4, v3 src0_sel:BYTE_3 src1_sel:DWORD
	s_andn2_b64 s[4:5], s[4:5], exec
	s_and_b64 s[8:9], s[8:9], exec
	s_or_b64 s[4:5], s[4:5], s[8:9]
	s_or_b64 exec, exec, s[6:7]
	s_and_saveexec_b64 s[6:7], s[4:5]
	s_cbranch_execnz .LBB49_1247
	s_branch .LBB49_1248
.LBB49_3297:
	s_movk_i32 s4, 0x80
	v_cmp_eq_u16_sdwa s[12:13], v9, s4 src0_sel:BYTE_0 src1_sel:DWORD
	s_mov_b64 s[4:5], -1
                                        ; implicit-def: $sgpr10
	s_and_saveexec_b64 s[8:9], s[12:13]
; %bb.3298:
	s_mov_b32 s10, 0x7f800001
	s_xor_b64 s[4:5], exec, -1
; %bb.3299:
	s_or_b64 exec, exec, s[8:9]
	s_and_b64 s[4:5], s[4:5], exec
	s_or_saveexec_b64 s[6:7], s[6:7]
	v_mov_b32_e32 v2, s10
	s_xor_b64 exec, exec, s[6:7]
	s_cbranch_execz .LBB49_1250
.LBB49_3300:
	v_mov_b32_e32 v2, 0
	v_cmp_ne_u16_sdwa s[8:9], v9, v2 src0_sel:BYTE_0 src1_sel:DWORD
	s_andn2_b64 s[4:5], s[4:5], exec
	s_and_b64 s[8:9], s[8:9], exec
	s_or_b64 s[4:5], s[4:5], s[8:9]
	s_or_b64 exec, exec, s[6:7]
	s_and_saveexec_b64 s[6:7], s[4:5]
	s_cbranch_execnz .LBB49_1251
	s_branch .LBB49_1252
.LBB49_3301:
	s_movk_i32 s4, 0x80
	v_cmp_eq_u16_sdwa s[12:13], v5, s4 src0_sel:BYTE_0 src1_sel:DWORD
	s_mov_b64 s[4:5], -1
                                        ; implicit-def: $sgpr10
	s_and_saveexec_b64 s[8:9], s[12:13]
; %bb.3302:
	s_mov_b32 s10, 0x7f800001
	s_xor_b64 s[4:5], exec, -1
; %bb.3303:
	s_or_b64 exec, exec, s[8:9]
	s_and_b64 s[4:5], s[4:5], exec
	s_or_saveexec_b64 s[6:7], s[6:7]
	v_mov_b32_e32 v3, s10
	s_xor_b64 exec, exec, s[6:7]
	s_cbranch_execz .LBB49_1254
.LBB49_3304:
	v_mov_b32_e32 v3, 0
	v_cmp_ne_u16_sdwa s[8:9], v5, v3 src0_sel:BYTE_0 src1_sel:DWORD
	s_andn2_b64 s[4:5], s[4:5], exec
	s_and_b64 s[8:9], s[8:9], exec
	s_or_b64 s[4:5], s[4:5], s[8:9]
	s_or_b64 exec, exec, s[6:7]
	s_and_saveexec_b64 s[6:7], s[4:5]
	s_cbranch_execnz .LBB49_1255
	s_branch .LBB49_1256
.LBB49_3305:
	s_movk_i32 s4, 0x80
	v_cmp_eq_u16_sdwa s[12:13], v3, s4 src0_sel:BYTE_0 src1_sel:DWORD
	s_mov_b64 s[4:5], -1
                                        ; implicit-def: $sgpr10
	s_and_saveexec_b64 s[8:9], s[12:13]
; %bb.3306:
	s_mov_b32 s10, 0x7f800001
	s_xor_b64 s[4:5], exec, -1
; %bb.3307:
	s_or_b64 exec, exec, s[8:9]
	s_and_b64 s[4:5], s[4:5], exec
	s_or_saveexec_b64 s[6:7], s[6:7]
	v_mov_b32_e32 v2, s10
	s_xor_b64 exec, exec, s[6:7]
	s_cbranch_execz .LBB49_1258
.LBB49_3308:
	v_mov_b32_e32 v2, 0
	v_cmp_ne_u16_sdwa s[8:9], v3, v2 src0_sel:BYTE_0 src1_sel:DWORD
	s_andn2_b64 s[4:5], s[4:5], exec
	s_and_b64 s[8:9], s[8:9], exec
	s_or_b64 s[4:5], s[4:5], s[8:9]
	s_or_b64 exec, exec, s[6:7]
	s_and_saveexec_b64 s[6:7], s[4:5]
	s_cbranch_execnz .LBB49_1259
	s_branch .LBB49_1260
.LBB49_3309:
	s_movk_i32 s4, 0x80
	v_cmp_eq_u16_sdwa s[12:13], v3, s4 src0_sel:BYTE_0 src1_sel:DWORD
	s_mov_b64 s[4:5], -1
                                        ; implicit-def: $sgpr10
	s_and_saveexec_b64 s[8:9], s[12:13]
; %bb.3310:
	s_mov_b32 s10, 0x7f800001
	s_xor_b64 s[4:5], exec, -1
; %bb.3311:
	s_or_b64 exec, exec, s[8:9]
	s_and_b64 s[4:5], s[4:5], exec
	s_or_saveexec_b64 s[6:7], s[6:7]
	v_mov_b32_e32 v4, s10
	s_xor_b64 exec, exec, s[6:7]
	s_cbranch_execz .LBB49_1262
.LBB49_3312:
	v_mov_b32_e32 v4, 0
	v_cmp_ne_u16_sdwa s[8:9], v3, v4 src0_sel:BYTE_0 src1_sel:DWORD
	s_andn2_b64 s[4:5], s[4:5], exec
	s_and_b64 s[8:9], s[8:9], exec
	s_or_b64 s[4:5], s[4:5], s[8:9]
	s_or_b64 exec, exec, s[6:7]
	s_and_saveexec_b64 s[6:7], s[4:5]
	s_cbranch_execnz .LBB49_1263
	s_branch .LBB49_1264
.LBB49_3313:
	s_movk_i32 s4, 0x80
	v_cmp_eq_u16_e32 vcc, s4, v3
	s_mov_b64 s[4:5], -1
                                        ; implicit-def: $sgpr10
	s_and_saveexec_b64 s[8:9], vcc
; %bb.3314:
	s_mov_b32 s10, 0x7f800001
	s_xor_b64 s[4:5], exec, -1
; %bb.3315:
	s_or_b64 exec, exec, s[8:9]
	s_and_b64 s[4:5], s[4:5], exec
                                        ; implicit-def: $vgpr3
	s_or_saveexec_b64 s[6:7], s[6:7]
	v_mov_b32_e32 v2, s10
	s_xor_b64 exec, exec, s[6:7]
	s_cbranch_execz .LBB49_1266
.LBB49_3316:
	v_cmp_ne_u16_e32 vcc, 0, v3
	s_andn2_b64 s[4:5], s[4:5], exec
	s_and_b64 s[8:9], vcc, exec
	v_mov_b32_e32 v2, 0
	s_or_b64 s[4:5], s[4:5], s[8:9]
	s_or_b64 exec, exec, s[6:7]
	s_and_saveexec_b64 s[6:7], s[4:5]
	s_cbranch_execnz .LBB49_1267
	s_branch .LBB49_1268
.LBB49_3317:
	s_movk_i32 s4, 0x80
	v_cmp_eq_u16_e32 vcc, s4, v3
	s_mov_b64 s[4:5], -1
                                        ; implicit-def: $sgpr10
	s_and_saveexec_b64 s[8:9], vcc
; %bb.3318:
	s_mov_b32 s10, 0x7f800001
	s_xor_b64 s[4:5], exec, -1
; %bb.3319:
	s_or_b64 exec, exec, s[8:9]
	s_and_b64 s[4:5], s[4:5], exec
                                        ; implicit-def: $vgpr3
	s_or_saveexec_b64 s[6:7], s[6:7]
	v_mov_b32_e32 v4, s10
	s_xor_b64 exec, exec, s[6:7]
	s_cbranch_execz .LBB49_1270
.LBB49_3320:
	v_cmp_ne_u16_e32 vcc, 0, v3
	s_andn2_b64 s[4:5], s[4:5], exec
	s_and_b64 s[8:9], vcc, exec
	v_mov_b32_e32 v4, 0
	s_or_b64 s[4:5], s[4:5], s[8:9]
	s_or_b64 exec, exec, s[6:7]
	s_and_saveexec_b64 s[6:7], s[4:5]
	s_cbranch_execnz .LBB49_1271
	s_branch .LBB49_1272
.LBB49_3321:
	s_movk_i32 s4, 0x80
	v_cmp_eq_u16_sdwa s[12:13], v9, s4 src0_sel:BYTE_3 src1_sel:DWORD
	s_mov_b64 s[4:5], -1
                                        ; implicit-def: $sgpr10
	s_and_saveexec_b64 s[8:9], s[12:13]
; %bb.3322:
	s_mov_b32 s10, 0x7f800001
	s_xor_b64 s[4:5], exec, -1
; %bb.3323:
	s_or_b64 exec, exec, s[8:9]
	s_and_b64 s[4:5], s[4:5], exec
	s_or_saveexec_b64 s[6:7], s[6:7]
	v_mov_b32_e32 v2, s10
	s_xor_b64 exec, exec, s[6:7]
	s_cbranch_execz .LBB49_1274
.LBB49_3324:
	v_mov_b32_e32 v2, 0
	v_cmp_ne_u16_sdwa s[8:9], v9, v2 src0_sel:BYTE_3 src1_sel:DWORD
	s_andn2_b64 s[4:5], s[4:5], exec
	s_and_b64 s[8:9], s[8:9], exec
	s_or_b64 s[4:5], s[4:5], s[8:9]
	s_or_b64 exec, exec, s[6:7]
	s_and_saveexec_b64 s[6:7], s[4:5]
	s_cbranch_execnz .LBB49_1275
	s_branch .LBB49_1276
.LBB49_3325:
	s_movk_i32 s4, 0x80
	v_cmp_eq_u16_sdwa s[12:13], v5, s4 src0_sel:BYTE_3 src1_sel:DWORD
	s_mov_b64 s[4:5], -1
                                        ; implicit-def: $sgpr10
	s_and_saveexec_b64 s[8:9], s[12:13]
; %bb.3326:
	s_mov_b32 s10, 0x7f800001
	s_xor_b64 s[4:5], exec, -1
; %bb.3327:
	s_or_b64 exec, exec, s[8:9]
	s_and_b64 s[4:5], s[4:5], exec
	s_or_saveexec_b64 s[6:7], s[6:7]
	v_mov_b32_e32 v3, s10
	s_xor_b64 exec, exec, s[6:7]
	s_cbranch_execz .LBB49_1278
.LBB49_3328:
	v_mov_b32_e32 v3, 0
	v_cmp_ne_u16_sdwa s[8:9], v5, v3 src0_sel:BYTE_3 src1_sel:DWORD
	s_andn2_b64 s[4:5], s[4:5], exec
	s_and_b64 s[8:9], s[8:9], exec
	s_or_b64 s[4:5], s[4:5], s[8:9]
	s_or_b64 exec, exec, s[6:7]
	s_and_saveexec_b64 s[6:7], s[4:5]
	s_cbranch_execnz .LBB49_1279
	s_branch .LBB49_1280
.LBB49_3329:
	s_movk_i32 s4, 0x80
	v_cmp_eq_u16_sdwa s[12:13], v14, s4 src0_sel:BYTE_0 src1_sel:DWORD
	s_mov_b64 s[4:5], -1
                                        ; implicit-def: $sgpr10
	s_and_saveexec_b64 s[8:9], s[12:13]
; %bb.3330:
	s_mov_b32 s10, 0x7f800001
	s_xor_b64 s[4:5], exec, -1
; %bb.3331:
	s_or_b64 exec, exec, s[8:9]
	s_and_b64 s[4:5], s[4:5], exec
	s_or_saveexec_b64 s[6:7], s[6:7]
	v_mov_b32_e32 v20, s10
	s_xor_b64 exec, exec, s[6:7]
	s_cbranch_execz .LBB49_1282
.LBB49_3332:
	v_mov_b32_e32 v20, 0
	v_cmp_ne_u16_sdwa s[8:9], v14, v20 src0_sel:BYTE_0 src1_sel:DWORD
	s_andn2_b64 s[4:5], s[4:5], exec
	s_and_b64 s[8:9], s[8:9], exec
	s_or_b64 s[4:5], s[4:5], s[8:9]
	s_or_b64 exec, exec, s[6:7]
	s_and_saveexec_b64 s[6:7], s[4:5]
	s_cbranch_execnz .LBB49_1283
	s_branch .LBB49_1284
.LBB49_3333:
	s_movk_i32 s4, 0x80
	v_cmp_eq_u16_sdwa s[12:13], v10, s4 src0_sel:BYTE_0 src1_sel:DWORD
	s_mov_b64 s[4:5], -1
                                        ; implicit-def: $sgpr10
	s_and_saveexec_b64 s[8:9], s[12:13]
; %bb.3334:
	s_mov_b32 s10, 0x7f800001
	s_xor_b64 s[4:5], exec, -1
; %bb.3335:
	s_or_b64 exec, exec, s[8:9]
	s_and_b64 s[4:5], s[4:5], exec
	s_or_saveexec_b64 s[6:7], s[6:7]
	v_mov_b32_e32 v21, s10
	s_xor_b64 exec, exec, s[6:7]
	s_cbranch_execz .LBB49_1286
.LBB49_3336:
	v_mov_b32_e32 v21, 0
	v_cmp_ne_u16_sdwa s[8:9], v10, v21 src0_sel:BYTE_0 src1_sel:DWORD
	s_andn2_b64 s[4:5], s[4:5], exec
	s_and_b64 s[8:9], s[8:9], exec
	s_or_b64 s[4:5], s[4:5], s[8:9]
	s_or_b64 exec, exec, s[6:7]
	s_and_saveexec_b64 s[6:7], s[4:5]
	s_cbranch_execnz .LBB49_1287
	s_branch .LBB49_1288
.LBB49_3337:
	s_movk_i32 s4, 0x80
	v_cmp_eq_u16_sdwa s[12:13], v21, s4 src0_sel:BYTE_0 src1_sel:DWORD
	s_mov_b64 s[4:5], -1
                                        ; implicit-def: $sgpr10
	s_and_saveexec_b64 s[8:9], s[12:13]
; %bb.3338:
	s_mov_b32 s10, 0x7f800001
	s_xor_b64 s[4:5], exec, -1
; %bb.3339:
	s_or_b64 exec, exec, s[8:9]
	s_and_b64 s[4:5], s[4:5], exec
	s_or_saveexec_b64 s[6:7], s[6:7]
	v_mov_b32_e32 v20, s10
	s_xor_b64 exec, exec, s[6:7]
	s_cbranch_execz .LBB49_1290
.LBB49_3340:
	v_mov_b32_e32 v20, 0
	v_cmp_ne_u16_sdwa s[8:9], v21, v20 src0_sel:BYTE_0 src1_sel:DWORD
	s_andn2_b64 s[4:5], s[4:5], exec
	s_and_b64 s[8:9], s[8:9], exec
	s_or_b64 s[4:5], s[4:5], s[8:9]
	s_or_b64 exec, exec, s[6:7]
	s_and_saveexec_b64 s[6:7], s[4:5]
	s_cbranch_execnz .LBB49_1291
	s_branch .LBB49_1292
.LBB49_3341:
	s_movk_i32 s4, 0x80
	v_cmp_eq_u16_sdwa s[12:13], v21, s4 src0_sel:BYTE_0 src1_sel:DWORD
	s_mov_b64 s[4:5], -1
                                        ; implicit-def: $sgpr10
	s_and_saveexec_b64 s[8:9], s[12:13]
; %bb.3342:
	s_mov_b32 s10, 0x7f800001
	s_xor_b64 s[4:5], exec, -1
; %bb.3343:
	s_or_b64 exec, exec, s[8:9]
	s_and_b64 s[4:5], s[4:5], exec
	s_or_saveexec_b64 s[6:7], s[6:7]
	v_mov_b32_e32 v22, s10
	s_xor_b64 exec, exec, s[6:7]
	s_cbranch_execz .LBB49_1294
.LBB49_3344:
	v_mov_b32_e32 v22, 0
	v_cmp_ne_u16_sdwa s[8:9], v21, v22 src0_sel:BYTE_0 src1_sel:DWORD
	s_andn2_b64 s[4:5], s[4:5], exec
	s_and_b64 s[8:9], s[8:9], exec
	s_or_b64 s[4:5], s[4:5], s[8:9]
	s_or_b64 exec, exec, s[6:7]
	s_and_saveexec_b64 s[6:7], s[4:5]
	s_cbranch_execnz .LBB49_1295
	s_branch .LBB49_1296
.LBB49_3345:
	s_movk_i32 s4, 0x80
	v_cmp_eq_u16_e32 vcc, s4, v21
	s_mov_b64 s[4:5], -1
                                        ; implicit-def: $sgpr10
	s_and_saveexec_b64 s[8:9], vcc
; %bb.3346:
	s_mov_b32 s10, 0x7f800001
	s_xor_b64 s[4:5], exec, -1
; %bb.3347:
	s_or_b64 exec, exec, s[8:9]
	s_and_b64 s[4:5], s[4:5], exec
                                        ; implicit-def: $vgpr21
	s_or_saveexec_b64 s[6:7], s[6:7]
	v_mov_b32_e32 v20, s10
	s_xor_b64 exec, exec, s[6:7]
	s_cbranch_execz .LBB49_1298
.LBB49_3348:
	v_cmp_ne_u16_e32 vcc, 0, v21
	s_andn2_b64 s[4:5], s[4:5], exec
	s_and_b64 s[8:9], vcc, exec
	v_mov_b32_e32 v20, 0
	s_or_b64 s[4:5], s[4:5], s[8:9]
	s_or_b64 exec, exec, s[6:7]
	s_and_saveexec_b64 s[6:7], s[4:5]
	s_cbranch_execnz .LBB49_1299
	s_branch .LBB49_1300
.LBB49_3349:
	s_movk_i32 s4, 0x80
	v_cmp_eq_u16_e32 vcc, s4, v21
	s_mov_b64 s[4:5], -1
                                        ; implicit-def: $sgpr10
	s_and_saveexec_b64 s[8:9], vcc
; %bb.3350:
	s_mov_b32 s10, 0x7f800001
	s_xor_b64 s[4:5], exec, -1
; %bb.3351:
	s_or_b64 exec, exec, s[8:9]
	s_and_b64 s[4:5], s[4:5], exec
                                        ; implicit-def: $vgpr21
	s_or_saveexec_b64 s[6:7], s[6:7]
	v_mov_b32_e32 v22, s10
	s_xor_b64 exec, exec, s[6:7]
	s_cbranch_execz .LBB49_1302
.LBB49_3352:
	v_cmp_ne_u16_e32 vcc, 0, v21
	s_andn2_b64 s[4:5], s[4:5], exec
	s_and_b64 s[8:9], vcc, exec
	v_mov_b32_e32 v22, 0
	s_or_b64 s[4:5], s[4:5], s[8:9]
	s_or_b64 exec, exec, s[6:7]
	s_and_saveexec_b64 s[6:7], s[4:5]
	s_cbranch_execnz .LBB49_1303
	s_branch .LBB49_1304
.LBB49_3353:
	s_movk_i32 s4, 0x80
	v_cmp_eq_u16_sdwa s[12:13], v14, s4 src0_sel:BYTE_3 src1_sel:DWORD
	s_mov_b64 s[4:5], -1
                                        ; implicit-def: $sgpr10
	s_and_saveexec_b64 s[8:9], s[12:13]
; %bb.3354:
	s_mov_b32 s10, 0x7f800001
	s_xor_b64 s[4:5], exec, -1
; %bb.3355:
	s_or_b64 exec, exec, s[8:9]
	s_and_b64 s[4:5], s[4:5], exec
	s_or_saveexec_b64 s[6:7], s[6:7]
	v_mov_b32_e32 v20, s10
	s_xor_b64 exec, exec, s[6:7]
	s_cbranch_execz .LBB49_1306
.LBB49_3356:
	v_mov_b32_e32 v20, 0
	v_cmp_ne_u16_sdwa s[8:9], v14, v20 src0_sel:BYTE_3 src1_sel:DWORD
	s_andn2_b64 s[4:5], s[4:5], exec
	s_and_b64 s[8:9], s[8:9], exec
	s_or_b64 s[4:5], s[4:5], s[8:9]
	s_or_b64 exec, exec, s[6:7]
	s_and_saveexec_b64 s[6:7], s[4:5]
	s_cbranch_execnz .LBB49_1307
	s_branch .LBB49_1308
.LBB49_3357:
	s_movk_i32 s4, 0x80
	v_cmp_eq_u16_sdwa s[12:13], v10, s4 src0_sel:BYTE_3 src1_sel:DWORD
	s_mov_b64 s[4:5], -1
                                        ; implicit-def: $sgpr10
	s_and_saveexec_b64 s[8:9], s[12:13]
; %bb.3358:
	s_mov_b32 s10, 0x7f800001
	s_xor_b64 s[4:5], exec, -1
; %bb.3359:
	s_or_b64 exec, exec, s[8:9]
	s_and_b64 s[4:5], s[4:5], exec
	s_or_saveexec_b64 s[6:7], s[6:7]
	v_mov_b32_e32 v14, s10
	s_xor_b64 exec, exec, s[6:7]
	s_cbranch_execz .LBB49_1310
.LBB49_3360:
	v_mov_b32_e32 v14, 0
	v_cmp_ne_u16_sdwa s[8:9], v10, v14 src0_sel:BYTE_3 src1_sel:DWORD
	s_andn2_b64 s[4:5], s[4:5], exec
	s_and_b64 s[8:9], s[8:9], exec
	s_or_b64 s[4:5], s[4:5], s[8:9]
	s_or_b64 exec, exec, s[6:7]
	s_and_saveexec_b64 s[6:7], s[4:5]
	s_cbranch_execnz .LBB49_1311
	s_branch .LBB49_1312
.LBB49_3361:
	s_movk_i32 s4, 0x80
	v_cmp_eq_u16_sdwa s[12:13], v15, s4 src0_sel:BYTE_0 src1_sel:DWORD
	s_mov_b64 s[4:5], -1
                                        ; implicit-def: $sgpr10
	s_and_saveexec_b64 s[8:9], s[12:13]
; %bb.3362:
	s_mov_b32 s10, 0x7f800001
	s_xor_b64 s[4:5], exec, -1
; %bb.3363:
	s_or_b64 exec, exec, s[8:9]
	s_and_b64 s[4:5], s[4:5], exec
	s_or_saveexec_b64 s[6:7], s[6:7]
	v_mov_b32_e32 v10, s10
	s_xor_b64 exec, exec, s[6:7]
	s_cbranch_execz .LBB49_1314
.LBB49_3364:
	v_mov_b32_e32 v10, 0
	v_cmp_ne_u16_sdwa s[8:9], v15, v10 src0_sel:BYTE_0 src1_sel:DWORD
	s_andn2_b64 s[4:5], s[4:5], exec
	s_and_b64 s[8:9], s[8:9], exec
	s_or_b64 s[4:5], s[4:5], s[8:9]
	s_or_b64 exec, exec, s[6:7]
	s_and_saveexec_b64 s[6:7], s[4:5]
	s_cbranch_execnz .LBB49_1315
	s_branch .LBB49_1316
.LBB49_3365:
	s_movk_i32 s4, 0x80
	v_cmp_eq_u16_sdwa s[12:13], v11, s4 src0_sel:BYTE_0 src1_sel:DWORD
	s_mov_b64 s[4:5], -1
                                        ; implicit-def: $sgpr10
	s_and_saveexec_b64 s[8:9], s[12:13]
; %bb.3366:
	s_mov_b32 s10, 0x7f800001
	s_xor_b64 s[4:5], exec, -1
; %bb.3367:
	s_or_b64 exec, exec, s[8:9]
	s_and_b64 s[4:5], s[4:5], exec
	s_or_saveexec_b64 s[6:7], s[6:7]
	v_mov_b32_e32 v14, s10
	s_xor_b64 exec, exec, s[6:7]
	s_cbranch_execz .LBB49_1318
.LBB49_3368:
	v_mov_b32_e32 v14, 0
	v_cmp_ne_u16_sdwa s[8:9], v11, v14 src0_sel:BYTE_0 src1_sel:DWORD
	s_andn2_b64 s[4:5], s[4:5], exec
	s_and_b64 s[8:9], s[8:9], exec
	s_or_b64 s[4:5], s[4:5], s[8:9]
	s_or_b64 exec, exec, s[6:7]
	s_and_saveexec_b64 s[6:7], s[4:5]
	s_cbranch_execnz .LBB49_1319
	s_branch .LBB49_1320
.LBB49_3369:
	s_movk_i32 s4, 0x80
	v_cmp_eq_u16_sdwa s[12:13], v14, s4 src0_sel:BYTE_0 src1_sel:DWORD
	s_mov_b64 s[4:5], -1
                                        ; implicit-def: $sgpr10
	s_and_saveexec_b64 s[8:9], s[12:13]
; %bb.3370:
	s_mov_b32 s10, 0x7f800001
	s_xor_b64 s[4:5], exec, -1
; %bb.3371:
	s_or_b64 exec, exec, s[8:9]
	s_and_b64 s[4:5], s[4:5], exec
	s_or_saveexec_b64 s[6:7], s[6:7]
	v_mov_b32_e32 v10, s10
	s_xor_b64 exec, exec, s[6:7]
	s_cbranch_execz .LBB49_1322
.LBB49_3372:
	v_mov_b32_e32 v10, 0
	v_cmp_ne_u16_sdwa s[8:9], v14, v10 src0_sel:BYTE_0 src1_sel:DWORD
	s_andn2_b64 s[4:5], s[4:5], exec
	s_and_b64 s[8:9], s[8:9], exec
	s_or_b64 s[4:5], s[4:5], s[8:9]
	s_or_b64 exec, exec, s[6:7]
	s_and_saveexec_b64 s[6:7], s[4:5]
	s_cbranch_execnz .LBB49_1323
	s_branch .LBB49_1324
.LBB49_3373:
	s_movk_i32 s4, 0x80
	v_cmp_eq_u16_sdwa s[12:13], v14, s4 src0_sel:BYTE_0 src1_sel:DWORD
	s_mov_b64 s[4:5], -1
                                        ; implicit-def: $sgpr10
	s_and_saveexec_b64 s[8:9], s[12:13]
; %bb.3374:
	s_mov_b32 s10, 0x7f800001
	s_xor_b64 s[4:5], exec, -1
; %bb.3375:
	s_or_b64 exec, exec, s[8:9]
	s_and_b64 s[4:5], s[4:5], exec
	s_or_saveexec_b64 s[6:7], s[6:7]
	v_mov_b32_e32 v20, s10
	s_xor_b64 exec, exec, s[6:7]
	s_cbranch_execz .LBB49_1326
.LBB49_3376:
	v_mov_b32_e32 v20, 0
	v_cmp_ne_u16_sdwa s[8:9], v14, v20 src0_sel:BYTE_0 src1_sel:DWORD
	s_andn2_b64 s[4:5], s[4:5], exec
	s_and_b64 s[8:9], s[8:9], exec
	s_or_b64 s[4:5], s[4:5], s[8:9]
	s_or_b64 exec, exec, s[6:7]
	s_and_saveexec_b64 s[6:7], s[4:5]
	s_cbranch_execnz .LBB49_1327
	s_branch .LBB49_1328
.LBB49_3377:
	s_movk_i32 s4, 0x80
	v_cmp_eq_u16_e32 vcc, s4, v14
	s_mov_b64 s[4:5], -1
                                        ; implicit-def: $sgpr10
	s_and_saveexec_b64 s[8:9], vcc
; %bb.3378:
	s_mov_b32 s10, 0x7f800001
	s_xor_b64 s[4:5], exec, -1
; %bb.3379:
	s_or_b64 exec, exec, s[8:9]
	s_and_b64 s[4:5], s[4:5], exec
                                        ; implicit-def: $vgpr14
	s_or_saveexec_b64 s[6:7], s[6:7]
	v_mov_b32_e32 v10, s10
	s_xor_b64 exec, exec, s[6:7]
	s_cbranch_execz .LBB49_1330
.LBB49_3380:
	v_cmp_ne_u16_e32 vcc, 0, v14
	s_andn2_b64 s[4:5], s[4:5], exec
	s_and_b64 s[8:9], vcc, exec
	v_mov_b32_e32 v10, 0
	s_or_b64 s[4:5], s[4:5], s[8:9]
	s_or_b64 exec, exec, s[6:7]
	s_and_saveexec_b64 s[6:7], s[4:5]
	s_cbranch_execnz .LBB49_1331
	s_branch .LBB49_1332
.LBB49_3381:
	s_movk_i32 s4, 0x80
	v_cmp_eq_u16_e32 vcc, s4, v14
	s_mov_b64 s[4:5], -1
                                        ; implicit-def: $sgpr10
	s_and_saveexec_b64 s[8:9], vcc
; %bb.3382:
	s_mov_b32 s10, 0x7f800001
	s_xor_b64 s[4:5], exec, -1
; %bb.3383:
	s_or_b64 exec, exec, s[8:9]
	s_and_b64 s[4:5], s[4:5], exec
                                        ; implicit-def: $vgpr14
	s_or_saveexec_b64 s[6:7], s[6:7]
	v_mov_b32_e32 v20, s10
	s_xor_b64 exec, exec, s[6:7]
	s_cbranch_execz .LBB49_1334
.LBB49_3384:
	v_cmp_ne_u16_e32 vcc, 0, v14
	s_andn2_b64 s[4:5], s[4:5], exec
	s_and_b64 s[8:9], vcc, exec
	v_mov_b32_e32 v20, 0
	s_or_b64 s[4:5], s[4:5], s[8:9]
	s_or_b64 exec, exec, s[6:7]
	s_and_saveexec_b64 s[6:7], s[4:5]
	s_cbranch_execnz .LBB49_1335
	s_branch .LBB49_1336
.LBB49_3385:
	s_movk_i32 s4, 0x80
	v_cmp_eq_u16_sdwa s[12:13], v15, s4 src0_sel:BYTE_3 src1_sel:DWORD
	s_mov_b64 s[4:5], -1
                                        ; implicit-def: $sgpr10
	s_and_saveexec_b64 s[8:9], s[12:13]
; %bb.3386:
	s_mov_b32 s10, 0x7f800001
	s_xor_b64 s[4:5], exec, -1
; %bb.3387:
	s_or_b64 exec, exec, s[8:9]
	s_and_b64 s[4:5], s[4:5], exec
	s_or_saveexec_b64 s[6:7], s[6:7]
	v_mov_b32_e32 v10, s10
	s_xor_b64 exec, exec, s[6:7]
	s_cbranch_execz .LBB49_1338
.LBB49_3388:
	v_mov_b32_e32 v10, 0
	v_cmp_ne_u16_sdwa s[8:9], v15, v10 src0_sel:BYTE_3 src1_sel:DWORD
	s_andn2_b64 s[4:5], s[4:5], exec
	s_and_b64 s[8:9], s[8:9], exec
	s_or_b64 s[4:5], s[4:5], s[8:9]
	s_or_b64 exec, exec, s[6:7]
	s_and_saveexec_b64 s[6:7], s[4:5]
	s_cbranch_execnz .LBB49_1339
	s_branch .LBB49_1340
.LBB49_3389:
	s_movk_i32 s4, 0x80
	v_cmp_eq_u16_sdwa s[12:13], v11, s4 src0_sel:BYTE_3 src1_sel:DWORD
	s_mov_b64 s[4:5], -1
                                        ; implicit-def: $sgpr10
	s_and_saveexec_b64 s[8:9], s[12:13]
; %bb.3390:
	s_mov_b32 s10, 0x7f800001
	s_xor_b64 s[4:5], exec, -1
; %bb.3391:
	s_or_b64 exec, exec, s[8:9]
	s_and_b64 s[4:5], s[4:5], exec
	s_or_saveexec_b64 s[6:7], s[6:7]
	v_mov_b32_e32 v14, s10
	s_xor_b64 exec, exec, s[6:7]
	s_cbranch_execz .LBB49_1342
.LBB49_3392:
	v_mov_b32_e32 v14, 0
	v_cmp_ne_u16_sdwa s[8:9], v11, v14 src0_sel:BYTE_3 src1_sel:DWORD
	s_andn2_b64 s[4:5], s[4:5], exec
	s_and_b64 s[8:9], s[8:9], exec
	s_or_b64 s[4:5], s[4:5], s[8:9]
	s_or_b64 exec, exec, s[6:7]
	s_and_saveexec_b64 s[6:7], s[4:5]
	s_cbranch_execnz .LBB49_1343
	s_branch .LBB49_1344
.LBB49_3393:
	s_movk_i32 s4, 0x80
	v_cmp_eq_u16_sdwa s[12:13], v16, s4 src0_sel:BYTE_0 src1_sel:DWORD
	s_mov_b64 s[4:5], -1
                                        ; implicit-def: $sgpr10
	s_and_saveexec_b64 s[8:9], s[12:13]
; %bb.3394:
	s_mov_b32 s10, 0x7f800001
	s_xor_b64 s[4:5], exec, -1
; %bb.3395:
	s_or_b64 exec, exec, s[8:9]
	s_and_b64 s[4:5], s[4:5], exec
	s_or_saveexec_b64 s[6:7], s[6:7]
	v_mov_b32_e32 v10, s10
	s_xor_b64 exec, exec, s[6:7]
	s_cbranch_execz .LBB49_1346
.LBB49_3396:
	v_mov_b32_e32 v10, 0
	v_cmp_ne_u16_sdwa s[8:9], v16, v10 src0_sel:BYTE_0 src1_sel:DWORD
	s_andn2_b64 s[4:5], s[4:5], exec
	s_and_b64 s[8:9], s[8:9], exec
	s_or_b64 s[4:5], s[4:5], s[8:9]
	s_or_b64 exec, exec, s[6:7]
	s_and_saveexec_b64 s[6:7], s[4:5]
	s_cbranch_execnz .LBB49_1347
	s_branch .LBB49_1348
.LBB49_3397:
	s_movk_i32 s4, 0x80
	v_cmp_eq_u16_sdwa s[12:13], v12, s4 src0_sel:BYTE_0 src1_sel:DWORD
	s_mov_b64 s[4:5], -1
                                        ; implicit-def: $sgpr10
	s_and_saveexec_b64 s[8:9], s[12:13]
; %bb.3398:
	s_mov_b32 s10, 0x7f800001
	s_xor_b64 s[4:5], exec, -1
; %bb.3399:
	s_or_b64 exec, exec, s[8:9]
	s_and_b64 s[4:5], s[4:5], exec
	s_or_saveexec_b64 s[6:7], s[6:7]
	v_mov_b32_e32 v11, s10
	s_xor_b64 exec, exec, s[6:7]
	s_cbranch_execz .LBB49_1350
.LBB49_3400:
	v_mov_b32_e32 v11, 0
	v_cmp_ne_u16_sdwa s[8:9], v12, v11 src0_sel:BYTE_0 src1_sel:DWORD
	s_andn2_b64 s[4:5], s[4:5], exec
	s_and_b64 s[8:9], s[8:9], exec
	s_or_b64 s[4:5], s[4:5], s[8:9]
	s_or_b64 exec, exec, s[6:7]
	s_and_saveexec_b64 s[6:7], s[4:5]
	s_cbranch_execnz .LBB49_1351
	s_branch .LBB49_1352
.LBB49_3401:
	s_movk_i32 s4, 0x80
	v_cmp_eq_u16_sdwa s[12:13], v11, s4 src0_sel:BYTE_0 src1_sel:DWORD
	s_mov_b64 s[4:5], -1
                                        ; implicit-def: $sgpr10
	s_and_saveexec_b64 s[8:9], s[12:13]
; %bb.3402:
	s_mov_b32 s10, 0x7f800001
	s_xor_b64 s[4:5], exec, -1
; %bb.3403:
	s_or_b64 exec, exec, s[8:9]
	s_and_b64 s[4:5], s[4:5], exec
	s_or_saveexec_b64 s[6:7], s[6:7]
	v_mov_b32_e32 v10, s10
	s_xor_b64 exec, exec, s[6:7]
	s_cbranch_execz .LBB49_1354
.LBB49_3404:
	v_mov_b32_e32 v10, 0
	v_cmp_ne_u16_sdwa s[8:9], v11, v10 src0_sel:BYTE_0 src1_sel:DWORD
	s_andn2_b64 s[4:5], s[4:5], exec
	s_and_b64 s[8:9], s[8:9], exec
	s_or_b64 s[4:5], s[4:5], s[8:9]
	s_or_b64 exec, exec, s[6:7]
	s_and_saveexec_b64 s[6:7], s[4:5]
	s_cbranch_execnz .LBB49_1355
	s_branch .LBB49_1356
.LBB49_3405:
	s_movk_i32 s4, 0x80
	v_cmp_eq_u16_sdwa s[12:13], v11, s4 src0_sel:BYTE_0 src1_sel:DWORD
	s_mov_b64 s[4:5], -1
                                        ; implicit-def: $sgpr10
	s_and_saveexec_b64 s[8:9], s[12:13]
; %bb.3406:
	s_mov_b32 s10, 0x7f800001
	s_xor_b64 s[4:5], exec, -1
; %bb.3407:
	s_or_b64 exec, exec, s[8:9]
	s_and_b64 s[4:5], s[4:5], exec
	s_or_saveexec_b64 s[6:7], s[6:7]
	v_mov_b32_e32 v14, s10
	s_xor_b64 exec, exec, s[6:7]
	s_cbranch_execz .LBB49_1358
.LBB49_3408:
	v_mov_b32_e32 v14, 0
	v_cmp_ne_u16_sdwa s[8:9], v11, v14 src0_sel:BYTE_0 src1_sel:DWORD
	s_andn2_b64 s[4:5], s[4:5], exec
	s_and_b64 s[8:9], s[8:9], exec
	s_or_b64 s[4:5], s[4:5], s[8:9]
	s_or_b64 exec, exec, s[6:7]
	s_and_saveexec_b64 s[6:7], s[4:5]
	s_cbranch_execnz .LBB49_1359
	s_branch .LBB49_1360
.LBB49_3409:
	s_movk_i32 s4, 0x80
	v_cmp_eq_u16_e32 vcc, s4, v11
	s_mov_b64 s[4:5], -1
                                        ; implicit-def: $sgpr10
	s_and_saveexec_b64 s[8:9], vcc
; %bb.3410:
	s_mov_b32 s10, 0x7f800001
	s_xor_b64 s[4:5], exec, -1
; %bb.3411:
	s_or_b64 exec, exec, s[8:9]
	s_and_b64 s[4:5], s[4:5], exec
                                        ; implicit-def: $vgpr11
	s_or_saveexec_b64 s[6:7], s[6:7]
	v_mov_b32_e32 v10, s10
	s_xor_b64 exec, exec, s[6:7]
	s_cbranch_execz .LBB49_1362
.LBB49_3412:
	v_cmp_ne_u16_e32 vcc, 0, v11
	s_andn2_b64 s[4:5], s[4:5], exec
	s_and_b64 s[8:9], vcc, exec
	v_mov_b32_e32 v10, 0
	s_or_b64 s[4:5], s[4:5], s[8:9]
	s_or_b64 exec, exec, s[6:7]
	s_and_saveexec_b64 s[6:7], s[4:5]
	s_cbranch_execnz .LBB49_1363
	s_branch .LBB49_1364
.LBB49_3413:
	s_movk_i32 s4, 0x80
	v_cmp_eq_u16_e32 vcc, s4, v11
	s_mov_b64 s[4:5], -1
                                        ; implicit-def: $sgpr10
	s_and_saveexec_b64 s[8:9], vcc
; %bb.3414:
	s_mov_b32 s10, 0x7f800001
	s_xor_b64 s[4:5], exec, -1
; %bb.3415:
	s_or_b64 exec, exec, s[8:9]
	s_and_b64 s[4:5], s[4:5], exec
                                        ; implicit-def: $vgpr11
	s_or_saveexec_b64 s[6:7], s[6:7]
	v_mov_b32_e32 v14, s10
	s_xor_b64 exec, exec, s[6:7]
	s_cbranch_execz .LBB49_1366
.LBB49_3416:
	v_cmp_ne_u16_e32 vcc, 0, v11
	s_andn2_b64 s[4:5], s[4:5], exec
	s_and_b64 s[8:9], vcc, exec
	v_mov_b32_e32 v14, 0
	s_or_b64 s[4:5], s[4:5], s[8:9]
	s_or_b64 exec, exec, s[6:7]
	s_and_saveexec_b64 s[6:7], s[4:5]
	s_cbranch_execnz .LBB49_1367
	s_branch .LBB49_1368
.LBB49_3417:
	s_movk_i32 s4, 0x80
	v_cmp_eq_u16_sdwa s[12:13], v16, s4 src0_sel:BYTE_3 src1_sel:DWORD
	s_mov_b64 s[4:5], -1
                                        ; implicit-def: $sgpr10
	s_and_saveexec_b64 s[8:9], s[12:13]
; %bb.3418:
	s_mov_b32 s10, 0x7f800001
	s_xor_b64 s[4:5], exec, -1
; %bb.3419:
	s_or_b64 exec, exec, s[8:9]
	s_and_b64 s[4:5], s[4:5], exec
	s_or_saveexec_b64 s[6:7], s[6:7]
	v_mov_b32_e32 v10, s10
	s_xor_b64 exec, exec, s[6:7]
	s_cbranch_execz .LBB49_1370
.LBB49_3420:
	v_mov_b32_e32 v10, 0
	v_cmp_ne_u16_sdwa s[8:9], v16, v10 src0_sel:BYTE_3 src1_sel:DWORD
	s_andn2_b64 s[4:5], s[4:5], exec
	s_and_b64 s[8:9], s[8:9], exec
	s_or_b64 s[4:5], s[4:5], s[8:9]
	s_or_b64 exec, exec, s[6:7]
	s_and_saveexec_b64 s[6:7], s[4:5]
	s_cbranch_execnz .LBB49_1371
	s_branch .LBB49_1372
.LBB49_3421:
	s_movk_i32 s4, 0x80
	v_cmp_eq_u16_sdwa s[12:13], v12, s4 src0_sel:BYTE_3 src1_sel:DWORD
	s_mov_b64 s[4:5], -1
                                        ; implicit-def: $sgpr10
	s_and_saveexec_b64 s[8:9], s[12:13]
; %bb.3422:
	s_mov_b32 s10, 0x7f800001
	s_xor_b64 s[4:5], exec, -1
; %bb.3423:
	s_or_b64 exec, exec, s[8:9]
	s_and_b64 s[4:5], s[4:5], exec
	s_or_saveexec_b64 s[6:7], s[6:7]
	v_mov_b32_e32 v11, s10
	s_xor_b64 exec, exec, s[6:7]
	s_cbranch_execz .LBB49_1374
.LBB49_3424:
	v_mov_b32_e32 v11, 0
	v_cmp_ne_u16_sdwa s[8:9], v12, v11 src0_sel:BYTE_3 src1_sel:DWORD
	s_andn2_b64 s[4:5], s[4:5], exec
	s_and_b64 s[8:9], s[8:9], exec
	s_or_b64 s[4:5], s[4:5], s[8:9]
	s_or_b64 exec, exec, s[6:7]
	s_and_saveexec_b64 s[6:7], s[4:5]
	s_cbranch_execnz .LBB49_1375
	s_branch .LBB49_1376
.LBB49_3425:
	s_movk_i32 s4, 0x80
	v_cmp_eq_u16_sdwa s[12:13], v17, s4 src0_sel:BYTE_0 src1_sel:DWORD
	s_mov_b64 s[4:5], -1
                                        ; implicit-def: $sgpr10
	s_and_saveexec_b64 s[8:9], s[12:13]
; %bb.3426:
	s_mov_b32 s10, 0x7f800001
	s_xor_b64 s[4:5], exec, -1
; %bb.3427:
	s_or_b64 exec, exec, s[8:9]
	s_and_b64 s[4:5], s[4:5], exec
	s_or_saveexec_b64 s[6:7], s[6:7]
	v_mov_b32_e32 v10, s10
	s_xor_b64 exec, exec, s[6:7]
	s_cbranch_execz .LBB49_1378
.LBB49_3428:
	v_mov_b32_e32 v10, 0
	v_cmp_ne_u16_sdwa s[8:9], v17, v10 src0_sel:BYTE_0 src1_sel:DWORD
	s_andn2_b64 s[4:5], s[4:5], exec
	s_and_b64 s[8:9], s[8:9], exec
	s_or_b64 s[4:5], s[4:5], s[8:9]
	s_or_b64 exec, exec, s[6:7]
	s_and_saveexec_b64 s[6:7], s[4:5]
	s_cbranch_execnz .LBB49_1379
	s_branch .LBB49_1380
.LBB49_3429:
	s_movk_i32 s4, 0x80
	v_cmp_eq_u16_sdwa s[12:13], v13, s4 src0_sel:BYTE_0 src1_sel:DWORD
	s_mov_b64 s[4:5], -1
                                        ; implicit-def: $sgpr10
	s_and_saveexec_b64 s[8:9], s[12:13]
; %bb.3430:
	s_mov_b32 s10, 0x7f800001
	s_xor_b64 s[4:5], exec, -1
; %bb.3431:
	s_or_b64 exec, exec, s[8:9]
	s_and_b64 s[4:5], s[4:5], exec
	s_or_saveexec_b64 s[6:7], s[6:7]
	v_mov_b32_e32 v11, s10
	s_xor_b64 exec, exec, s[6:7]
	s_cbranch_execz .LBB49_1382
.LBB49_3432:
	v_mov_b32_e32 v11, 0
	v_cmp_ne_u16_sdwa s[8:9], v13, v11 src0_sel:BYTE_0 src1_sel:DWORD
	s_andn2_b64 s[4:5], s[4:5], exec
	s_and_b64 s[8:9], s[8:9], exec
	s_or_b64 s[4:5], s[4:5], s[8:9]
	s_or_b64 exec, exec, s[6:7]
	s_and_saveexec_b64 s[6:7], s[4:5]
	s_cbranch_execnz .LBB49_1383
	s_branch .LBB49_1384
.LBB49_3433:
	s_movk_i32 s4, 0x80
	v_cmp_eq_u16_sdwa s[12:13], v11, s4 src0_sel:BYTE_0 src1_sel:DWORD
	s_mov_b64 s[4:5], -1
                                        ; implicit-def: $sgpr10
	s_and_saveexec_b64 s[8:9], s[12:13]
; %bb.3434:
	s_mov_b32 s10, 0x7f800001
	s_xor_b64 s[4:5], exec, -1
; %bb.3435:
	s_or_b64 exec, exec, s[8:9]
	s_and_b64 s[4:5], s[4:5], exec
	s_or_saveexec_b64 s[6:7], s[6:7]
	v_mov_b32_e32 v10, s10
	s_xor_b64 exec, exec, s[6:7]
	s_cbranch_execz .LBB49_1386
.LBB49_3436:
	v_mov_b32_e32 v10, 0
	v_cmp_ne_u16_sdwa s[8:9], v11, v10 src0_sel:BYTE_0 src1_sel:DWORD
	s_andn2_b64 s[4:5], s[4:5], exec
	s_and_b64 s[8:9], s[8:9], exec
	s_or_b64 s[4:5], s[4:5], s[8:9]
	s_or_b64 exec, exec, s[6:7]
	s_and_saveexec_b64 s[6:7], s[4:5]
	s_cbranch_execnz .LBB49_1387
	s_branch .LBB49_1388
.LBB49_3437:
	s_movk_i32 s4, 0x80
	v_cmp_eq_u16_sdwa s[12:13], v11, s4 src0_sel:BYTE_0 src1_sel:DWORD
	s_mov_b64 s[4:5], -1
                                        ; implicit-def: $sgpr10
	s_and_saveexec_b64 s[8:9], s[12:13]
; %bb.3438:
	s_mov_b32 s10, 0x7f800001
	s_xor_b64 s[4:5], exec, -1
; %bb.3439:
	s_or_b64 exec, exec, s[8:9]
	s_and_b64 s[4:5], s[4:5], exec
	s_or_saveexec_b64 s[6:7], s[6:7]
	v_mov_b32_e32 v12, s10
	s_xor_b64 exec, exec, s[6:7]
	s_cbranch_execz .LBB49_1390
.LBB49_3440:
	v_mov_b32_e32 v12, 0
	v_cmp_ne_u16_sdwa s[8:9], v11, v12 src0_sel:BYTE_0 src1_sel:DWORD
	s_andn2_b64 s[4:5], s[4:5], exec
	s_and_b64 s[8:9], s[8:9], exec
	s_or_b64 s[4:5], s[4:5], s[8:9]
	s_or_b64 exec, exec, s[6:7]
	s_and_saveexec_b64 s[6:7], s[4:5]
	s_cbranch_execnz .LBB49_1391
	s_branch .LBB49_1392
.LBB49_3441:
	s_movk_i32 s4, 0x80
	v_cmp_eq_u16_e32 vcc, s4, v11
	s_mov_b64 s[4:5], -1
                                        ; implicit-def: $sgpr10
	s_and_saveexec_b64 s[8:9], vcc
; %bb.3442:
	s_mov_b32 s10, 0x7f800001
	s_xor_b64 s[4:5], exec, -1
; %bb.3443:
	s_or_b64 exec, exec, s[8:9]
	s_and_b64 s[4:5], s[4:5], exec
                                        ; implicit-def: $vgpr11
	s_or_saveexec_b64 s[6:7], s[6:7]
	v_mov_b32_e32 v10, s10
	s_xor_b64 exec, exec, s[6:7]
	s_cbranch_execz .LBB49_1394
.LBB49_3444:
	v_cmp_ne_u16_e32 vcc, 0, v11
	s_andn2_b64 s[4:5], s[4:5], exec
	s_and_b64 s[8:9], vcc, exec
	v_mov_b32_e32 v10, 0
	s_or_b64 s[4:5], s[4:5], s[8:9]
	s_or_b64 exec, exec, s[6:7]
	s_and_saveexec_b64 s[6:7], s[4:5]
	s_cbranch_execnz .LBB49_1395
	s_branch .LBB49_1396
.LBB49_3445:
	s_movk_i32 s4, 0x80
	v_cmp_eq_u16_e32 vcc, s4, v11
	s_mov_b64 s[4:5], -1
                                        ; implicit-def: $sgpr10
	s_and_saveexec_b64 s[8:9], vcc
; %bb.3446:
	s_mov_b32 s10, 0x7f800001
	s_xor_b64 s[4:5], exec, -1
; %bb.3447:
	s_or_b64 exec, exec, s[8:9]
	s_and_b64 s[4:5], s[4:5], exec
                                        ; implicit-def: $vgpr11
	s_or_saveexec_b64 s[6:7], s[6:7]
	v_mov_b32_e32 v12, s10
	s_xor_b64 exec, exec, s[6:7]
	s_cbranch_execz .LBB49_1398
.LBB49_3448:
	v_cmp_ne_u16_e32 vcc, 0, v11
	s_andn2_b64 s[4:5], s[4:5], exec
	s_and_b64 s[8:9], vcc, exec
	v_mov_b32_e32 v12, 0
	s_or_b64 s[4:5], s[4:5], s[8:9]
	s_or_b64 exec, exec, s[6:7]
	s_and_saveexec_b64 s[6:7], s[4:5]
	s_cbranch_execnz .LBB49_1399
	s_branch .LBB49_1400
.LBB49_3449:
	s_movk_i32 s4, 0x80
	v_cmp_eq_u16_sdwa s[12:13], v17, s4 src0_sel:BYTE_3 src1_sel:DWORD
	s_mov_b64 s[4:5], -1
                                        ; implicit-def: $sgpr10
	s_and_saveexec_b64 s[8:9], s[12:13]
; %bb.3450:
	s_mov_b32 s10, 0x7f800001
	s_xor_b64 s[4:5], exec, -1
; %bb.3451:
	s_or_b64 exec, exec, s[8:9]
	s_and_b64 s[4:5], s[4:5], exec
	s_or_saveexec_b64 s[6:7], s[6:7]
	v_mov_b32_e32 v10, s10
	s_xor_b64 exec, exec, s[6:7]
	s_cbranch_execz .LBB49_1402
.LBB49_3452:
	v_mov_b32_e32 v10, 0
	v_cmp_ne_u16_sdwa s[8:9], v17, v10 src0_sel:BYTE_3 src1_sel:DWORD
	s_andn2_b64 s[4:5], s[4:5], exec
	s_and_b64 s[8:9], s[8:9], exec
	s_or_b64 s[4:5], s[4:5], s[8:9]
	s_or_b64 exec, exec, s[6:7]
	s_and_saveexec_b64 s[6:7], s[4:5]
	s_cbranch_execnz .LBB49_1403
	s_branch .LBB49_1404
.LBB49_3453:
	s_movk_i32 s4, 0x80
	v_cmp_eq_u16_sdwa s[12:13], v13, s4 src0_sel:BYTE_3 src1_sel:DWORD
	s_mov_b64 s[4:5], -1
                                        ; implicit-def: $sgpr10
	s_and_saveexec_b64 s[8:9], s[12:13]
; %bb.3454:
	s_mov_b32 s10, 0x7f800001
	s_xor_b64 s[4:5], exec, -1
; %bb.3455:
	s_or_b64 exec, exec, s[8:9]
	s_and_b64 s[4:5], s[4:5], exec
	s_or_saveexec_b64 s[6:7], s[6:7]
	v_mov_b32_e32 v11, s10
	s_xor_b64 exec, exec, s[6:7]
	s_cbranch_execz .LBB49_1406
.LBB49_3456:
	v_mov_b32_e32 v11, 0
	v_cmp_ne_u16_sdwa s[8:9], v13, v11 src0_sel:BYTE_3 src1_sel:DWORD
	s_andn2_b64 s[4:5], s[4:5], exec
	s_and_b64 s[8:9], s[8:9], exec
	s_or_b64 s[4:5], s[4:5], s[8:9]
	s_or_b64 exec, exec, s[6:7]
	s_and_saveexec_b64 s[6:7], s[4:5]
	s_cbranch_execnz .LBB49_1407
	s_branch .LBB49_1408
.LBB49_3457:
	s_movk_i32 s4, 0x80
	v_cmp_eq_u16_sdwa s[12:13], v6, s4 src0_sel:BYTE_0 src1_sel:DWORD
	s_mov_b64 s[4:5], -1
                                        ; implicit-def: $sgpr10
	s_and_saveexec_b64 s[8:9], s[12:13]
; %bb.3458:
	s_mov_b32 s10, 0x7f800001
	s_xor_b64 s[4:5], exec, -1
; %bb.3459:
	s_or_b64 exec, exec, s[8:9]
	s_and_b64 s[4:5], s[4:5], exec
	s_or_saveexec_b64 s[6:7], s[6:7]
	v_mov_b32_e32 v10, s10
	s_xor_b64 exec, exec, s[6:7]
	s_cbranch_execz .LBB49_1410
.LBB49_3460:
	v_mov_b32_e32 v10, 0
	v_cmp_ne_u16_sdwa s[8:9], v6, v10 src0_sel:BYTE_0 src1_sel:DWORD
	s_andn2_b64 s[4:5], s[4:5], exec
	s_and_b64 s[8:9], s[8:9], exec
	s_or_b64 s[4:5], s[4:5], s[8:9]
	s_or_b64 exec, exec, s[6:7]
	s_and_saveexec_b64 s[6:7], s[4:5]
	s_cbranch_execnz .LBB49_1411
	s_branch .LBB49_1412
.LBB49_3461:
	s_movk_i32 s4, 0x80
	v_cmp_eq_u16_sdwa s[12:13], v2, s4 src0_sel:BYTE_0 src1_sel:DWORD
	s_mov_b64 s[4:5], -1
                                        ; implicit-def: $sgpr10
	s_and_saveexec_b64 s[8:9], s[12:13]
; %bb.3462:
	s_mov_b32 s10, 0x7f800001
	s_xor_b64 s[4:5], exec, -1
; %bb.3463:
	s_or_b64 exec, exec, s[8:9]
	s_and_b64 s[4:5], s[4:5], exec
	s_or_saveexec_b64 s[6:7], s[6:7]
	v_mov_b32_e32 v11, s10
	s_xor_b64 exec, exec, s[6:7]
	s_cbranch_execz .LBB49_1414
.LBB49_3464:
	v_mov_b32_e32 v11, 0
	v_cmp_ne_u16_sdwa s[8:9], v2, v11 src0_sel:BYTE_0 src1_sel:DWORD
	s_andn2_b64 s[4:5], s[4:5], exec
	s_and_b64 s[8:9], s[8:9], exec
	s_or_b64 s[4:5], s[4:5], s[8:9]
	s_or_b64 exec, exec, s[6:7]
	s_and_saveexec_b64 s[6:7], s[4:5]
	s_cbranch_execnz .LBB49_1415
	s_branch .LBB49_1416
.LBB49_3465:
	s_movk_i32 s4, 0x80
	v_cmp_eq_u16_sdwa s[12:13], v11, s4 src0_sel:BYTE_0 src1_sel:DWORD
	s_mov_b64 s[4:5], -1
                                        ; implicit-def: $sgpr10
	s_and_saveexec_b64 s[8:9], s[12:13]
; %bb.3466:
	s_mov_b32 s10, 0x7f800001
	s_xor_b64 s[4:5], exec, -1
; %bb.3467:
	s_or_b64 exec, exec, s[8:9]
	s_and_b64 s[4:5], s[4:5], exec
	s_or_saveexec_b64 s[6:7], s[6:7]
	v_mov_b32_e32 v10, s10
	s_xor_b64 exec, exec, s[6:7]
	s_cbranch_execz .LBB49_1418
.LBB49_3468:
	v_mov_b32_e32 v10, 0
	v_cmp_ne_u16_sdwa s[8:9], v11, v10 src0_sel:BYTE_0 src1_sel:DWORD
	s_andn2_b64 s[4:5], s[4:5], exec
	s_and_b64 s[8:9], s[8:9], exec
	s_or_b64 s[4:5], s[4:5], s[8:9]
	s_or_b64 exec, exec, s[6:7]
	s_and_saveexec_b64 s[6:7], s[4:5]
	s_cbranch_execnz .LBB49_1419
	s_branch .LBB49_1420
.LBB49_3469:
	s_movk_i32 s4, 0x80
	v_cmp_eq_u16_sdwa s[12:13], v11, s4 src0_sel:BYTE_0 src1_sel:DWORD
	s_mov_b64 s[4:5], -1
                                        ; implicit-def: $sgpr10
	s_and_saveexec_b64 s[8:9], s[12:13]
; %bb.3470:
	s_mov_b32 s10, 0x7f800001
	s_xor_b64 s[4:5], exec, -1
; %bb.3471:
	s_or_b64 exec, exec, s[8:9]
	s_and_b64 s[4:5], s[4:5], exec
	s_or_saveexec_b64 s[6:7], s[6:7]
	v_mov_b32_e32 v12, s10
	s_xor_b64 exec, exec, s[6:7]
	s_cbranch_execz .LBB49_1422
.LBB49_3472:
	v_mov_b32_e32 v12, 0
	v_cmp_ne_u16_sdwa s[8:9], v11, v12 src0_sel:BYTE_0 src1_sel:DWORD
	s_andn2_b64 s[4:5], s[4:5], exec
	s_and_b64 s[8:9], s[8:9], exec
	s_or_b64 s[4:5], s[4:5], s[8:9]
	s_or_b64 exec, exec, s[6:7]
	s_and_saveexec_b64 s[6:7], s[4:5]
	s_cbranch_execnz .LBB49_1423
	s_branch .LBB49_1424
.LBB49_3473:
	s_movk_i32 s4, 0x80
	v_cmp_eq_u16_e32 vcc, s4, v11
	s_mov_b64 s[4:5], -1
                                        ; implicit-def: $sgpr10
	s_and_saveexec_b64 s[8:9], vcc
; %bb.3474:
	s_mov_b32 s10, 0x7f800001
	s_xor_b64 s[4:5], exec, -1
; %bb.3475:
	s_or_b64 exec, exec, s[8:9]
	s_and_b64 s[4:5], s[4:5], exec
                                        ; implicit-def: $vgpr11
	s_or_saveexec_b64 s[6:7], s[6:7]
	v_mov_b32_e32 v10, s10
	s_xor_b64 exec, exec, s[6:7]
	s_cbranch_execz .LBB49_1426
.LBB49_3476:
	v_cmp_ne_u16_e32 vcc, 0, v11
	s_andn2_b64 s[4:5], s[4:5], exec
	s_and_b64 s[8:9], vcc, exec
	v_mov_b32_e32 v10, 0
	s_or_b64 s[4:5], s[4:5], s[8:9]
	s_or_b64 exec, exec, s[6:7]
	s_and_saveexec_b64 s[6:7], s[4:5]
	s_cbranch_execnz .LBB49_1427
	s_branch .LBB49_1428
.LBB49_3477:
	s_movk_i32 s4, 0x80
	v_cmp_eq_u16_e32 vcc, s4, v11
	s_mov_b64 s[4:5], -1
                                        ; implicit-def: $sgpr10
	s_and_saveexec_b64 s[8:9], vcc
; %bb.3478:
	s_mov_b32 s10, 0x7f800001
	s_xor_b64 s[4:5], exec, -1
; %bb.3479:
	s_or_b64 exec, exec, s[8:9]
	s_and_b64 s[4:5], s[4:5], exec
                                        ; implicit-def: $vgpr11
	s_or_saveexec_b64 s[6:7], s[6:7]
	v_mov_b32_e32 v12, s10
	s_xor_b64 exec, exec, s[6:7]
	s_cbranch_execz .LBB49_1430
.LBB49_3480:
	v_cmp_ne_u16_e32 vcc, 0, v11
	s_andn2_b64 s[4:5], s[4:5], exec
	s_and_b64 s[8:9], vcc, exec
	v_mov_b32_e32 v12, 0
	s_or_b64 s[4:5], s[4:5], s[8:9]
	s_or_b64 exec, exec, s[6:7]
	s_and_saveexec_b64 s[6:7], s[4:5]
	s_cbranch_execnz .LBB49_1431
	s_branch .LBB49_1432
.LBB49_3481:
	s_movk_i32 s4, 0x80
	v_cmp_eq_u16_sdwa s[12:13], v6, s4 src0_sel:BYTE_3 src1_sel:DWORD
	s_mov_b64 s[4:5], -1
                                        ; implicit-def: $sgpr10
	s_and_saveexec_b64 s[8:9], s[12:13]
; %bb.3482:
	s_mov_b32 s10, 0x7f800001
	s_xor_b64 s[4:5], exec, -1
; %bb.3483:
	s_or_b64 exec, exec, s[8:9]
	s_and_b64 s[4:5], s[4:5], exec
	s_or_saveexec_b64 s[6:7], s[6:7]
	v_mov_b32_e32 v10, s10
	s_xor_b64 exec, exec, s[6:7]
	s_cbranch_execz .LBB49_1434
.LBB49_3484:
	v_mov_b32_e32 v10, 0
	v_cmp_ne_u16_sdwa s[8:9], v6, v10 src0_sel:BYTE_3 src1_sel:DWORD
	s_andn2_b64 s[4:5], s[4:5], exec
	s_and_b64 s[8:9], s[8:9], exec
	s_or_b64 s[4:5], s[4:5], s[8:9]
	s_or_b64 exec, exec, s[6:7]
	s_and_saveexec_b64 s[6:7], s[4:5]
	s_cbranch_execnz .LBB49_1435
	s_branch .LBB49_1436
.LBB49_3485:
	s_movk_i32 s4, 0x80
	v_cmp_eq_u16_sdwa s[12:13], v2, s4 src0_sel:BYTE_3 src1_sel:DWORD
	s_mov_b64 s[4:5], -1
                                        ; implicit-def: $sgpr10
	s_and_saveexec_b64 s[8:9], s[12:13]
; %bb.3486:
	s_mov_b32 s10, 0x7f800001
	s_xor_b64 s[4:5], exec, -1
; %bb.3487:
	s_or_b64 exec, exec, s[8:9]
	s_and_b64 s[4:5], s[4:5], exec
	s_or_saveexec_b64 s[6:7], s[6:7]
	v_mov_b32_e32 v6, s10
	s_xor_b64 exec, exec, s[6:7]
	s_cbranch_execz .LBB49_1438
.LBB49_3488:
	v_mov_b32_e32 v6, 0
	v_cmp_ne_u16_sdwa s[8:9], v2, v6 src0_sel:BYTE_3 src1_sel:DWORD
	s_andn2_b64 s[4:5], s[4:5], exec
	s_and_b64 s[8:9], s[8:9], exec
	s_or_b64 s[4:5], s[4:5], s[8:9]
	s_or_b64 exec, exec, s[6:7]
	s_and_saveexec_b64 s[6:7], s[4:5]
	s_cbranch_execnz .LBB49_1439
	s_branch .LBB49_1440
.LBB49_3489:
	s_movk_i32 s4, 0x80
	v_cmp_eq_u16_sdwa s[12:13], v7, s4 src0_sel:BYTE_0 src1_sel:DWORD
	s_mov_b64 s[4:5], -1
                                        ; implicit-def: $sgpr10
	s_and_saveexec_b64 s[8:9], s[12:13]
; %bb.3490:
	s_mov_b32 s10, 0x7f800001
	s_xor_b64 s[4:5], exec, -1
; %bb.3491:
	s_or_b64 exec, exec, s[8:9]
	s_and_b64 s[4:5], s[4:5], exec
	s_or_saveexec_b64 s[6:7], s[6:7]
	v_mov_b32_e32 v2, s10
	s_xor_b64 exec, exec, s[6:7]
	s_cbranch_execz .LBB49_1442
.LBB49_3492:
	v_mov_b32_e32 v2, 0
	v_cmp_ne_u16_sdwa s[8:9], v7, v2 src0_sel:BYTE_0 src1_sel:DWORD
	s_andn2_b64 s[4:5], s[4:5], exec
	s_and_b64 s[8:9], s[8:9], exec
	s_or_b64 s[4:5], s[4:5], s[8:9]
	s_or_b64 exec, exec, s[6:7]
	s_and_saveexec_b64 s[6:7], s[4:5]
	s_cbranch_execnz .LBB49_1443
	s_branch .LBB49_1444
.LBB49_3493:
	s_movk_i32 s4, 0x80
	v_cmp_eq_u16_sdwa s[12:13], v3, s4 src0_sel:BYTE_0 src1_sel:DWORD
	s_mov_b64 s[4:5], -1
                                        ; implicit-def: $sgpr10
	s_and_saveexec_b64 s[8:9], s[12:13]
; %bb.3494:
	s_mov_b32 s10, 0x7f800001
	s_xor_b64 s[4:5], exec, -1
; %bb.3495:
	s_or_b64 exec, exec, s[8:9]
	s_and_b64 s[4:5], s[4:5], exec
	s_or_saveexec_b64 s[6:7], s[6:7]
	v_mov_b32_e32 v6, s10
	s_xor_b64 exec, exec, s[6:7]
	s_cbranch_execz .LBB49_1446
.LBB49_3496:
	v_mov_b32_e32 v6, 0
	v_cmp_ne_u16_sdwa s[8:9], v3, v6 src0_sel:BYTE_0 src1_sel:DWORD
	s_andn2_b64 s[4:5], s[4:5], exec
	s_and_b64 s[8:9], s[8:9], exec
	s_or_b64 s[4:5], s[4:5], s[8:9]
	s_or_b64 exec, exec, s[6:7]
	s_and_saveexec_b64 s[6:7], s[4:5]
	s_cbranch_execnz .LBB49_1447
	s_branch .LBB49_1448
.LBB49_3497:
	s_movk_i32 s4, 0x80
	v_cmp_eq_u16_sdwa s[12:13], v6, s4 src0_sel:BYTE_0 src1_sel:DWORD
	s_mov_b64 s[4:5], -1
                                        ; implicit-def: $sgpr10
	s_and_saveexec_b64 s[8:9], s[12:13]
; %bb.3498:
	s_mov_b32 s10, 0x7f800001
	s_xor_b64 s[4:5], exec, -1
; %bb.3499:
	s_or_b64 exec, exec, s[8:9]
	s_and_b64 s[4:5], s[4:5], exec
	s_or_saveexec_b64 s[6:7], s[6:7]
	v_mov_b32_e32 v2, s10
	s_xor_b64 exec, exec, s[6:7]
	s_cbranch_execz .LBB49_1450
.LBB49_3500:
	v_mov_b32_e32 v2, 0
	v_cmp_ne_u16_sdwa s[8:9], v6, v2 src0_sel:BYTE_0 src1_sel:DWORD
	s_andn2_b64 s[4:5], s[4:5], exec
	s_and_b64 s[8:9], s[8:9], exec
	s_or_b64 s[4:5], s[4:5], s[8:9]
	s_or_b64 exec, exec, s[6:7]
	s_and_saveexec_b64 s[6:7], s[4:5]
	s_cbranch_execnz .LBB49_1451
	s_branch .LBB49_1452
.LBB49_3501:
	s_movk_i32 s4, 0x80
	v_cmp_eq_u16_sdwa s[12:13], v6, s4 src0_sel:BYTE_0 src1_sel:DWORD
	s_mov_b64 s[4:5], -1
                                        ; implicit-def: $sgpr10
	s_and_saveexec_b64 s[8:9], s[12:13]
; %bb.3502:
	s_mov_b32 s10, 0x7f800001
	s_xor_b64 s[4:5], exec, -1
; %bb.3503:
	s_or_b64 exec, exec, s[8:9]
	s_and_b64 s[4:5], s[4:5], exec
	s_or_saveexec_b64 s[6:7], s[6:7]
	v_mov_b32_e32 v10, s10
	s_xor_b64 exec, exec, s[6:7]
	s_cbranch_execz .LBB49_1454
.LBB49_3504:
	v_mov_b32_e32 v10, 0
	v_cmp_ne_u16_sdwa s[8:9], v6, v10 src0_sel:BYTE_0 src1_sel:DWORD
	s_andn2_b64 s[4:5], s[4:5], exec
	s_and_b64 s[8:9], s[8:9], exec
	s_or_b64 s[4:5], s[4:5], s[8:9]
	s_or_b64 exec, exec, s[6:7]
	s_and_saveexec_b64 s[6:7], s[4:5]
	s_cbranch_execnz .LBB49_1455
	s_branch .LBB49_1456
.LBB49_3505:
	s_movk_i32 s4, 0x80
	v_cmp_eq_u16_e32 vcc, s4, v6
	s_mov_b64 s[4:5], -1
                                        ; implicit-def: $sgpr10
	s_and_saveexec_b64 s[8:9], vcc
; %bb.3506:
	s_mov_b32 s10, 0x7f800001
	s_xor_b64 s[4:5], exec, -1
; %bb.3507:
	s_or_b64 exec, exec, s[8:9]
	s_and_b64 s[4:5], s[4:5], exec
                                        ; implicit-def: $vgpr6
	s_or_saveexec_b64 s[6:7], s[6:7]
	v_mov_b32_e32 v2, s10
	s_xor_b64 exec, exec, s[6:7]
	s_cbranch_execz .LBB49_1458
.LBB49_3508:
	v_cmp_ne_u16_e32 vcc, 0, v6
	s_andn2_b64 s[4:5], s[4:5], exec
	s_and_b64 s[8:9], vcc, exec
	v_mov_b32_e32 v2, 0
	s_or_b64 s[4:5], s[4:5], s[8:9]
	s_or_b64 exec, exec, s[6:7]
	s_and_saveexec_b64 s[6:7], s[4:5]
	s_cbranch_execnz .LBB49_1459
	s_branch .LBB49_1460
.LBB49_3509:
	s_movk_i32 s4, 0x80
	v_cmp_eq_u16_e32 vcc, s4, v6
	s_mov_b64 s[4:5], -1
                                        ; implicit-def: $sgpr10
	s_and_saveexec_b64 s[8:9], vcc
; %bb.3510:
	s_mov_b32 s10, 0x7f800001
	s_xor_b64 s[4:5], exec, -1
; %bb.3511:
	s_or_b64 exec, exec, s[8:9]
	s_and_b64 s[4:5], s[4:5], exec
                                        ; implicit-def: $vgpr6
	s_or_saveexec_b64 s[6:7], s[6:7]
	v_mov_b32_e32 v10, s10
	s_xor_b64 exec, exec, s[6:7]
	s_cbranch_execz .LBB49_1462
.LBB49_3512:
	v_cmp_ne_u16_e32 vcc, 0, v6
	s_andn2_b64 s[4:5], s[4:5], exec
	s_and_b64 s[8:9], vcc, exec
	v_mov_b32_e32 v10, 0
	s_or_b64 s[4:5], s[4:5], s[8:9]
	s_or_b64 exec, exec, s[6:7]
	s_and_saveexec_b64 s[6:7], s[4:5]
	s_cbranch_execnz .LBB49_1463
	s_branch .LBB49_1464
.LBB49_3513:
	s_movk_i32 s4, 0x80
	v_cmp_eq_u16_sdwa s[12:13], v7, s4 src0_sel:BYTE_3 src1_sel:DWORD
	s_mov_b64 s[4:5], -1
                                        ; implicit-def: $sgpr10
	s_and_saveexec_b64 s[8:9], s[12:13]
; %bb.3514:
	s_mov_b32 s10, 0x7f800001
	s_xor_b64 s[4:5], exec, -1
; %bb.3515:
	s_or_b64 exec, exec, s[8:9]
	s_and_b64 s[4:5], s[4:5], exec
	s_or_saveexec_b64 s[6:7], s[6:7]
	v_mov_b32_e32 v2, s10
	s_xor_b64 exec, exec, s[6:7]
	s_cbranch_execz .LBB49_1466
.LBB49_3516:
	v_mov_b32_e32 v2, 0
	v_cmp_ne_u16_sdwa s[8:9], v7, v2 src0_sel:BYTE_3 src1_sel:DWORD
	s_andn2_b64 s[4:5], s[4:5], exec
	s_and_b64 s[8:9], s[8:9], exec
	s_or_b64 s[4:5], s[4:5], s[8:9]
	s_or_b64 exec, exec, s[6:7]
	s_and_saveexec_b64 s[6:7], s[4:5]
	s_cbranch_execnz .LBB49_1467
	s_branch .LBB49_1468
.LBB49_3517:
	s_movk_i32 s4, 0x80
	v_cmp_eq_u16_sdwa s[12:13], v3, s4 src0_sel:BYTE_3 src1_sel:DWORD
	s_mov_b64 s[4:5], -1
                                        ; implicit-def: $sgpr10
	s_and_saveexec_b64 s[8:9], s[12:13]
; %bb.3518:
	s_mov_b32 s10, 0x7f800001
	s_xor_b64 s[4:5], exec, -1
; %bb.3519:
	s_or_b64 exec, exec, s[8:9]
	s_and_b64 s[4:5], s[4:5], exec
	s_or_saveexec_b64 s[6:7], s[6:7]
	v_mov_b32_e32 v6, s10
	s_xor_b64 exec, exec, s[6:7]
	s_cbranch_execz .LBB49_1470
.LBB49_3520:
	v_mov_b32_e32 v6, 0
	v_cmp_ne_u16_sdwa s[8:9], v3, v6 src0_sel:BYTE_3 src1_sel:DWORD
	s_andn2_b64 s[4:5], s[4:5], exec
	s_and_b64 s[8:9], s[8:9], exec
	s_or_b64 s[4:5], s[4:5], s[8:9]
	s_or_b64 exec, exec, s[6:7]
	s_and_saveexec_b64 s[6:7], s[4:5]
	s_cbranch_execnz .LBB49_1471
	s_branch .LBB49_1472
.LBB49_3521:
	s_movk_i32 s4, 0x80
	v_cmp_eq_u16_sdwa s[12:13], v8, s4 src0_sel:BYTE_0 src1_sel:DWORD
	s_mov_b64 s[4:5], -1
                                        ; implicit-def: $sgpr10
	s_and_saveexec_b64 s[8:9], s[12:13]
; %bb.3522:
	s_mov_b32 s10, 0x7f800001
	s_xor_b64 s[4:5], exec, -1
; %bb.3523:
	s_or_b64 exec, exec, s[8:9]
	s_and_b64 s[4:5], s[4:5], exec
	s_or_saveexec_b64 s[6:7], s[6:7]
	v_mov_b32_e32 v2, s10
	s_xor_b64 exec, exec, s[6:7]
	s_cbranch_execz .LBB49_1474
.LBB49_3524:
	v_mov_b32_e32 v2, 0
	v_cmp_ne_u16_sdwa s[8:9], v8, v2 src0_sel:BYTE_0 src1_sel:DWORD
	s_andn2_b64 s[4:5], s[4:5], exec
	s_and_b64 s[8:9], s[8:9], exec
	s_or_b64 s[4:5], s[4:5], s[8:9]
	s_or_b64 exec, exec, s[6:7]
	s_and_saveexec_b64 s[6:7], s[4:5]
	s_cbranch_execnz .LBB49_1475
	s_branch .LBB49_1476
.LBB49_3525:
	s_movk_i32 s4, 0x80
	v_cmp_eq_u16_sdwa s[12:13], v4, s4 src0_sel:BYTE_0 src1_sel:DWORD
	s_mov_b64 s[4:5], -1
                                        ; implicit-def: $sgpr10
	s_and_saveexec_b64 s[8:9], s[12:13]
; %bb.3526:
	s_mov_b32 s10, 0x7f800001
	s_xor_b64 s[4:5], exec, -1
; %bb.3527:
	s_or_b64 exec, exec, s[8:9]
	s_and_b64 s[4:5], s[4:5], exec
	s_or_saveexec_b64 s[6:7], s[6:7]
	v_mov_b32_e32 v3, s10
	s_xor_b64 exec, exec, s[6:7]
	s_cbranch_execz .LBB49_1478
.LBB49_3528:
	v_mov_b32_e32 v3, 0
	v_cmp_ne_u16_sdwa s[8:9], v4, v3 src0_sel:BYTE_0 src1_sel:DWORD
	s_andn2_b64 s[4:5], s[4:5], exec
	s_and_b64 s[8:9], s[8:9], exec
	s_or_b64 s[4:5], s[4:5], s[8:9]
	s_or_b64 exec, exec, s[6:7]
	s_and_saveexec_b64 s[6:7], s[4:5]
	s_cbranch_execnz .LBB49_1479
	s_branch .LBB49_1480
.LBB49_3529:
	s_movk_i32 s4, 0x80
	v_cmp_eq_u16_sdwa s[12:13], v3, s4 src0_sel:BYTE_0 src1_sel:DWORD
	s_mov_b64 s[4:5], -1
                                        ; implicit-def: $sgpr10
	s_and_saveexec_b64 s[8:9], s[12:13]
; %bb.3530:
	s_mov_b32 s10, 0x7f800001
	s_xor_b64 s[4:5], exec, -1
; %bb.3531:
	s_or_b64 exec, exec, s[8:9]
	s_and_b64 s[4:5], s[4:5], exec
	s_or_saveexec_b64 s[6:7], s[6:7]
	v_mov_b32_e32 v2, s10
	s_xor_b64 exec, exec, s[6:7]
	s_cbranch_execz .LBB49_1482
.LBB49_3532:
	v_mov_b32_e32 v2, 0
	v_cmp_ne_u16_sdwa s[8:9], v3, v2 src0_sel:BYTE_0 src1_sel:DWORD
	s_andn2_b64 s[4:5], s[4:5], exec
	s_and_b64 s[8:9], s[8:9], exec
	s_or_b64 s[4:5], s[4:5], s[8:9]
	s_or_b64 exec, exec, s[6:7]
	s_and_saveexec_b64 s[6:7], s[4:5]
	s_cbranch_execnz .LBB49_1483
	s_branch .LBB49_1484
.LBB49_3533:
	s_movk_i32 s4, 0x80
	v_cmp_eq_u16_sdwa s[12:13], v3, s4 src0_sel:BYTE_0 src1_sel:DWORD
	s_mov_b64 s[4:5], -1
                                        ; implicit-def: $sgpr10
	s_and_saveexec_b64 s[8:9], s[12:13]
; %bb.3534:
	s_mov_b32 s10, 0x7f800001
	s_xor_b64 s[4:5], exec, -1
; %bb.3535:
	s_or_b64 exec, exec, s[8:9]
	s_and_b64 s[4:5], s[4:5], exec
	s_or_saveexec_b64 s[6:7], s[6:7]
	v_mov_b32_e32 v6, s10
	s_xor_b64 exec, exec, s[6:7]
	s_cbranch_execz .LBB49_1486
.LBB49_3536:
	v_mov_b32_e32 v6, 0
	v_cmp_ne_u16_sdwa s[8:9], v3, v6 src0_sel:BYTE_0 src1_sel:DWORD
	s_andn2_b64 s[4:5], s[4:5], exec
	s_and_b64 s[8:9], s[8:9], exec
	s_or_b64 s[4:5], s[4:5], s[8:9]
	s_or_b64 exec, exec, s[6:7]
	s_and_saveexec_b64 s[6:7], s[4:5]
	s_cbranch_execnz .LBB49_1487
	s_branch .LBB49_1488
.LBB49_3537:
	s_movk_i32 s4, 0x80
	v_cmp_eq_u16_e32 vcc, s4, v3
	s_mov_b64 s[4:5], -1
                                        ; implicit-def: $sgpr10
	s_and_saveexec_b64 s[8:9], vcc
; %bb.3538:
	s_mov_b32 s10, 0x7f800001
	s_xor_b64 s[4:5], exec, -1
; %bb.3539:
	s_or_b64 exec, exec, s[8:9]
	s_and_b64 s[4:5], s[4:5], exec
                                        ; implicit-def: $vgpr3
	s_or_saveexec_b64 s[6:7], s[6:7]
	v_mov_b32_e32 v2, s10
	s_xor_b64 exec, exec, s[6:7]
	s_cbranch_execz .LBB49_1490
.LBB49_3540:
	v_cmp_ne_u16_e32 vcc, 0, v3
	s_andn2_b64 s[4:5], s[4:5], exec
	s_and_b64 s[8:9], vcc, exec
	v_mov_b32_e32 v2, 0
	s_or_b64 s[4:5], s[4:5], s[8:9]
	s_or_b64 exec, exec, s[6:7]
	s_and_saveexec_b64 s[6:7], s[4:5]
	s_cbranch_execnz .LBB49_1491
	s_branch .LBB49_1492
.LBB49_3541:
	s_movk_i32 s4, 0x80
	v_cmp_eq_u16_e32 vcc, s4, v3
	s_mov_b64 s[4:5], -1
                                        ; implicit-def: $sgpr10
	s_and_saveexec_b64 s[8:9], vcc
; %bb.3542:
	s_mov_b32 s10, 0x7f800001
	s_xor_b64 s[4:5], exec, -1
; %bb.3543:
	s_or_b64 exec, exec, s[8:9]
	s_and_b64 s[4:5], s[4:5], exec
                                        ; implicit-def: $vgpr3
	s_or_saveexec_b64 s[6:7], s[6:7]
	v_mov_b32_e32 v6, s10
	s_xor_b64 exec, exec, s[6:7]
	s_cbranch_execz .LBB49_1494
.LBB49_3544:
	v_cmp_ne_u16_e32 vcc, 0, v3
	s_andn2_b64 s[4:5], s[4:5], exec
	s_and_b64 s[8:9], vcc, exec
	v_mov_b32_e32 v6, 0
	s_or_b64 s[4:5], s[4:5], s[8:9]
	s_or_b64 exec, exec, s[6:7]
	s_and_saveexec_b64 s[6:7], s[4:5]
	s_cbranch_execnz .LBB49_1495
	s_branch .LBB49_1496
.LBB49_3545:
	s_movk_i32 s4, 0x80
	v_cmp_eq_u16_sdwa s[12:13], v8, s4 src0_sel:BYTE_3 src1_sel:DWORD
	s_mov_b64 s[4:5], -1
                                        ; implicit-def: $sgpr10
	s_and_saveexec_b64 s[8:9], s[12:13]
; %bb.3546:
	s_mov_b32 s10, 0x7f800001
	s_xor_b64 s[4:5], exec, -1
; %bb.3547:
	s_or_b64 exec, exec, s[8:9]
	s_and_b64 s[4:5], s[4:5], exec
	s_or_saveexec_b64 s[6:7], s[6:7]
	v_mov_b32_e32 v2, s10
	s_xor_b64 exec, exec, s[6:7]
	s_cbranch_execz .LBB49_1498
.LBB49_3548:
	v_mov_b32_e32 v2, 0
	v_cmp_ne_u16_sdwa s[8:9], v8, v2 src0_sel:BYTE_3 src1_sel:DWORD
	s_andn2_b64 s[4:5], s[4:5], exec
	s_and_b64 s[8:9], s[8:9], exec
	s_or_b64 s[4:5], s[4:5], s[8:9]
	s_or_b64 exec, exec, s[6:7]
	s_and_saveexec_b64 s[6:7], s[4:5]
	s_cbranch_execnz .LBB49_1499
	s_branch .LBB49_1500
.LBB49_3549:
	s_movk_i32 s4, 0x80
	v_cmp_eq_u16_sdwa s[12:13], v4, s4 src0_sel:BYTE_3 src1_sel:DWORD
	s_mov_b64 s[4:5], -1
                                        ; implicit-def: $sgpr10
	s_and_saveexec_b64 s[8:9], s[12:13]
; %bb.3550:
	s_mov_b32 s10, 0x7f800001
	s_xor_b64 s[4:5], exec, -1
; %bb.3551:
	s_or_b64 exec, exec, s[8:9]
	s_and_b64 s[4:5], s[4:5], exec
	s_or_saveexec_b64 s[6:7], s[6:7]
	v_mov_b32_e32 v3, s10
	s_xor_b64 exec, exec, s[6:7]
	s_cbranch_execz .LBB49_1502
.LBB49_3552:
	v_mov_b32_e32 v3, 0
	v_cmp_ne_u16_sdwa s[8:9], v4, v3 src0_sel:BYTE_3 src1_sel:DWORD
	s_andn2_b64 s[4:5], s[4:5], exec
	s_and_b64 s[8:9], s[8:9], exec
	s_or_b64 s[4:5], s[4:5], s[8:9]
	s_or_b64 exec, exec, s[6:7]
	s_and_saveexec_b64 s[6:7], s[4:5]
	s_cbranch_execnz .LBB49_1503
	s_branch .LBB49_1504
.LBB49_3553:
	s_movk_i32 s4, 0x80
	v_cmp_eq_u16_sdwa s[12:13], v9, s4 src0_sel:BYTE_0 src1_sel:DWORD
	s_mov_b64 s[4:5], -1
                                        ; implicit-def: $sgpr10
	s_and_saveexec_b64 s[8:9], s[12:13]
; %bb.3554:
	s_mov_b32 s10, 0x7f800001
	s_xor_b64 s[4:5], exec, -1
; %bb.3555:
	s_or_b64 exec, exec, s[8:9]
	s_and_b64 s[4:5], s[4:5], exec
	s_or_saveexec_b64 s[6:7], s[6:7]
	v_mov_b32_e32 v2, s10
	s_xor_b64 exec, exec, s[6:7]
	s_cbranch_execz .LBB49_1506
.LBB49_3556:
	v_mov_b32_e32 v2, 0
	v_cmp_ne_u16_sdwa s[8:9], v9, v2 src0_sel:BYTE_0 src1_sel:DWORD
	s_andn2_b64 s[4:5], s[4:5], exec
	s_and_b64 s[8:9], s[8:9], exec
	s_or_b64 s[4:5], s[4:5], s[8:9]
	s_or_b64 exec, exec, s[6:7]
	s_and_saveexec_b64 s[6:7], s[4:5]
	s_cbranch_execnz .LBB49_1507
	s_branch .LBB49_1508
.LBB49_3557:
	s_movk_i32 s4, 0x80
	v_cmp_eq_u16_sdwa s[12:13], v5, s4 src0_sel:BYTE_0 src1_sel:DWORD
	s_mov_b64 s[4:5], -1
                                        ; implicit-def: $sgpr10
	s_and_saveexec_b64 s[8:9], s[12:13]
; %bb.3558:
	s_mov_b32 s10, 0x7f800001
	s_xor_b64 s[4:5], exec, -1
; %bb.3559:
	s_or_b64 exec, exec, s[8:9]
	s_and_b64 s[4:5], s[4:5], exec
	s_or_saveexec_b64 s[6:7], s[6:7]
	v_mov_b32_e32 v3, s10
	s_xor_b64 exec, exec, s[6:7]
	s_cbranch_execz .LBB49_1510
.LBB49_3560:
	v_mov_b32_e32 v3, 0
	v_cmp_ne_u16_sdwa s[8:9], v5, v3 src0_sel:BYTE_0 src1_sel:DWORD
	s_andn2_b64 s[4:5], s[4:5], exec
	s_and_b64 s[8:9], s[8:9], exec
	s_or_b64 s[4:5], s[4:5], s[8:9]
	s_or_b64 exec, exec, s[6:7]
	s_and_saveexec_b64 s[6:7], s[4:5]
	s_cbranch_execnz .LBB49_1511
	s_branch .LBB49_1512
.LBB49_3561:
	s_movk_i32 s4, 0x80
	v_cmp_eq_u16_sdwa s[12:13], v3, s4 src0_sel:BYTE_0 src1_sel:DWORD
	s_mov_b64 s[4:5], -1
                                        ; implicit-def: $sgpr10
	s_and_saveexec_b64 s[8:9], s[12:13]
; %bb.3562:
	s_mov_b32 s10, 0x7f800001
	s_xor_b64 s[4:5], exec, -1
; %bb.3563:
	s_or_b64 exec, exec, s[8:9]
	s_and_b64 s[4:5], s[4:5], exec
	s_or_saveexec_b64 s[6:7], s[6:7]
	v_mov_b32_e32 v2, s10
	s_xor_b64 exec, exec, s[6:7]
	s_cbranch_execz .LBB49_1514
.LBB49_3564:
	v_mov_b32_e32 v2, 0
	v_cmp_ne_u16_sdwa s[8:9], v3, v2 src0_sel:BYTE_0 src1_sel:DWORD
	s_andn2_b64 s[4:5], s[4:5], exec
	s_and_b64 s[8:9], s[8:9], exec
	s_or_b64 s[4:5], s[4:5], s[8:9]
	s_or_b64 exec, exec, s[6:7]
	s_and_saveexec_b64 s[6:7], s[4:5]
	s_cbranch_execnz .LBB49_1515
	s_branch .LBB49_1516
.LBB49_3565:
	s_movk_i32 s4, 0x80
	v_cmp_eq_u16_sdwa s[12:13], v3, s4 src0_sel:BYTE_0 src1_sel:DWORD
	s_mov_b64 s[4:5], -1
                                        ; implicit-def: $sgpr10
	s_and_saveexec_b64 s[8:9], s[12:13]
; %bb.3566:
	s_mov_b32 s10, 0x7f800001
	s_xor_b64 s[4:5], exec, -1
; %bb.3567:
	s_or_b64 exec, exec, s[8:9]
	s_and_b64 s[4:5], s[4:5], exec
	s_or_saveexec_b64 s[6:7], s[6:7]
	v_mov_b32_e32 v4, s10
	s_xor_b64 exec, exec, s[6:7]
	s_cbranch_execz .LBB49_1518
.LBB49_3568:
	v_mov_b32_e32 v4, 0
	v_cmp_ne_u16_sdwa s[8:9], v3, v4 src0_sel:BYTE_0 src1_sel:DWORD
	s_andn2_b64 s[4:5], s[4:5], exec
	s_and_b64 s[8:9], s[8:9], exec
	s_or_b64 s[4:5], s[4:5], s[8:9]
	s_or_b64 exec, exec, s[6:7]
	s_and_saveexec_b64 s[6:7], s[4:5]
	s_cbranch_execnz .LBB49_1519
	s_branch .LBB49_1520
.LBB49_3569:
	s_movk_i32 s4, 0x80
	v_cmp_eq_u16_e32 vcc, s4, v3
	s_mov_b64 s[4:5], -1
                                        ; implicit-def: $sgpr10
	s_and_saveexec_b64 s[8:9], vcc
; %bb.3570:
	s_mov_b32 s10, 0x7f800001
	s_xor_b64 s[4:5], exec, -1
; %bb.3571:
	s_or_b64 exec, exec, s[8:9]
	s_and_b64 s[4:5], s[4:5], exec
                                        ; implicit-def: $vgpr3
	s_or_saveexec_b64 s[6:7], s[6:7]
	v_mov_b32_e32 v2, s10
	s_xor_b64 exec, exec, s[6:7]
	s_cbranch_execz .LBB49_1522
.LBB49_3572:
	v_cmp_ne_u16_e32 vcc, 0, v3
	s_andn2_b64 s[4:5], s[4:5], exec
	s_and_b64 s[8:9], vcc, exec
	v_mov_b32_e32 v2, 0
	s_or_b64 s[4:5], s[4:5], s[8:9]
	s_or_b64 exec, exec, s[6:7]
	s_and_saveexec_b64 s[6:7], s[4:5]
	s_cbranch_execnz .LBB49_1523
	s_branch .LBB49_1524
.LBB49_3573:
	s_movk_i32 s4, 0x80
	v_cmp_eq_u16_e32 vcc, s4, v3
	s_mov_b64 s[4:5], -1
                                        ; implicit-def: $sgpr10
	s_and_saveexec_b64 s[8:9], vcc
; %bb.3574:
	s_mov_b32 s10, 0x7f800001
	s_xor_b64 s[4:5], exec, -1
; %bb.3575:
	s_or_b64 exec, exec, s[8:9]
	s_and_b64 s[4:5], s[4:5], exec
                                        ; implicit-def: $vgpr3
	s_or_saveexec_b64 s[6:7], s[6:7]
	v_mov_b32_e32 v4, s10
	s_xor_b64 exec, exec, s[6:7]
	s_cbranch_execz .LBB49_1526
.LBB49_3576:
	v_cmp_ne_u16_e32 vcc, 0, v3
	s_andn2_b64 s[4:5], s[4:5], exec
	s_and_b64 s[8:9], vcc, exec
	v_mov_b32_e32 v4, 0
	s_or_b64 s[4:5], s[4:5], s[8:9]
	s_or_b64 exec, exec, s[6:7]
	s_and_saveexec_b64 s[6:7], s[4:5]
	s_cbranch_execnz .LBB49_1527
	s_branch .LBB49_1528
.LBB49_3577:
	s_movk_i32 s4, 0x80
	v_cmp_eq_u16_sdwa s[12:13], v9, s4 src0_sel:BYTE_3 src1_sel:DWORD
	s_mov_b64 s[4:5], -1
                                        ; implicit-def: $sgpr10
	s_and_saveexec_b64 s[8:9], s[12:13]
; %bb.3578:
	s_mov_b32 s10, 0x7f800001
	s_xor_b64 s[4:5], exec, -1
; %bb.3579:
	s_or_b64 exec, exec, s[8:9]
	s_and_b64 s[4:5], s[4:5], exec
	s_or_saveexec_b64 s[6:7], s[6:7]
	v_mov_b32_e32 v2, s10
	s_xor_b64 exec, exec, s[6:7]
	s_cbranch_execz .LBB49_1530
.LBB49_3580:
	v_mov_b32_e32 v2, 0
	v_cmp_ne_u16_sdwa s[8:9], v9, v2 src0_sel:BYTE_3 src1_sel:DWORD
	s_andn2_b64 s[4:5], s[4:5], exec
	s_and_b64 s[8:9], s[8:9], exec
	s_or_b64 s[4:5], s[4:5], s[8:9]
	s_or_b64 exec, exec, s[6:7]
	s_and_saveexec_b64 s[6:7], s[4:5]
	s_cbranch_execnz .LBB49_1531
	s_branch .LBB49_1532
.LBB49_3581:
	s_movk_i32 s4, 0x80
	v_cmp_eq_u16_sdwa s[12:13], v5, s4 src0_sel:BYTE_3 src1_sel:DWORD
	s_mov_b64 s[4:5], -1
                                        ; implicit-def: $sgpr10
	s_and_saveexec_b64 s[8:9], s[12:13]
; %bb.3582:
	s_mov_b32 s10, 0x7f800001
	s_xor_b64 s[4:5], exec, -1
; %bb.3583:
	s_or_b64 exec, exec, s[8:9]
	s_and_b64 s[4:5], s[4:5], exec
	s_or_saveexec_b64 s[6:7], s[6:7]
	v_mov_b32_e32 v3, s10
	s_xor_b64 exec, exec, s[6:7]
	s_cbranch_execz .LBB49_1534
.LBB49_3584:
	v_mov_b32_e32 v3, 0
	v_cmp_ne_u16_sdwa s[8:9], v5, v3 src0_sel:BYTE_3 src1_sel:DWORD
	s_andn2_b64 s[4:5], s[4:5], exec
	s_and_b64 s[8:9], s[8:9], exec
	s_or_b64 s[4:5], s[4:5], s[8:9]
	s_or_b64 exec, exec, s[6:7]
	s_and_saveexec_b64 s[6:7], s[4:5]
	s_cbranch_execnz .LBB49_1535
	s_branch .LBB49_1536
.LBB49_3585:
	s_movk_i32 s4, 0x80
	v_cmp_eq_u16_sdwa s[12:13], v14, s4 src0_sel:BYTE_0 src1_sel:DWORD
	s_mov_b64 s[4:5], -1
                                        ; implicit-def: $sgpr10
	s_and_saveexec_b64 s[8:9], s[12:13]
; %bb.3586:
	s_mov_b32 s10, 0x7f800001
	s_xor_b64 s[4:5], exec, -1
; %bb.3587:
	s_or_b64 exec, exec, s[8:9]
	s_and_b64 s[4:5], s[4:5], exec
	s_or_saveexec_b64 s[6:7], s[6:7]
	v_mov_b32_e32 v20, s10
	s_xor_b64 exec, exec, s[6:7]
	s_cbranch_execz .LBB49_1538
.LBB49_3588:
	v_mov_b32_e32 v20, 0
	v_cmp_ne_u16_sdwa s[8:9], v14, v20 src0_sel:BYTE_0 src1_sel:DWORD
	s_andn2_b64 s[4:5], s[4:5], exec
	s_and_b64 s[8:9], s[8:9], exec
	s_or_b64 s[4:5], s[4:5], s[8:9]
	s_or_b64 exec, exec, s[6:7]
	s_and_saveexec_b64 s[6:7], s[4:5]
	s_cbranch_execnz .LBB49_1539
	s_branch .LBB49_1540
.LBB49_3589:
	s_movk_i32 s4, 0x80
	v_cmp_eq_u16_sdwa s[12:13], v10, s4 src0_sel:BYTE_0 src1_sel:DWORD
	s_mov_b64 s[4:5], -1
                                        ; implicit-def: $sgpr10
	s_and_saveexec_b64 s[8:9], s[12:13]
; %bb.3590:
	s_mov_b32 s10, 0x7f800001
	s_xor_b64 s[4:5], exec, -1
; %bb.3591:
	s_or_b64 exec, exec, s[8:9]
	s_and_b64 s[4:5], s[4:5], exec
	s_or_saveexec_b64 s[6:7], s[6:7]
	v_mov_b32_e32 v21, s10
	s_xor_b64 exec, exec, s[6:7]
	s_cbranch_execz .LBB49_1542
.LBB49_3592:
	v_mov_b32_e32 v21, 0
	v_cmp_ne_u16_sdwa s[8:9], v10, v21 src0_sel:BYTE_0 src1_sel:DWORD
	s_andn2_b64 s[4:5], s[4:5], exec
	s_and_b64 s[8:9], s[8:9], exec
	s_or_b64 s[4:5], s[4:5], s[8:9]
	s_or_b64 exec, exec, s[6:7]
	s_and_saveexec_b64 s[6:7], s[4:5]
	s_cbranch_execnz .LBB49_1543
	s_branch .LBB49_1544
.LBB49_3593:
	s_movk_i32 s4, 0x80
	v_cmp_eq_u16_sdwa s[12:13], v21, s4 src0_sel:BYTE_0 src1_sel:DWORD
	s_mov_b64 s[4:5], -1
                                        ; implicit-def: $sgpr10
	s_and_saveexec_b64 s[8:9], s[12:13]
; %bb.3594:
	s_mov_b32 s10, 0x7f800001
	s_xor_b64 s[4:5], exec, -1
; %bb.3595:
	s_or_b64 exec, exec, s[8:9]
	s_and_b64 s[4:5], s[4:5], exec
	s_or_saveexec_b64 s[6:7], s[6:7]
	v_mov_b32_e32 v20, s10
	s_xor_b64 exec, exec, s[6:7]
	s_cbranch_execz .LBB49_1546
.LBB49_3596:
	v_mov_b32_e32 v20, 0
	v_cmp_ne_u16_sdwa s[8:9], v21, v20 src0_sel:BYTE_0 src1_sel:DWORD
	s_andn2_b64 s[4:5], s[4:5], exec
	s_and_b64 s[8:9], s[8:9], exec
	s_or_b64 s[4:5], s[4:5], s[8:9]
	s_or_b64 exec, exec, s[6:7]
	s_and_saveexec_b64 s[6:7], s[4:5]
	s_cbranch_execnz .LBB49_1547
	s_branch .LBB49_1548
.LBB49_3597:
	s_movk_i32 s4, 0x80
	v_cmp_eq_u16_sdwa s[12:13], v21, s4 src0_sel:BYTE_0 src1_sel:DWORD
	s_mov_b64 s[4:5], -1
                                        ; implicit-def: $sgpr10
	s_and_saveexec_b64 s[8:9], s[12:13]
; %bb.3598:
	s_mov_b32 s10, 0x7f800001
	s_xor_b64 s[4:5], exec, -1
; %bb.3599:
	s_or_b64 exec, exec, s[8:9]
	s_and_b64 s[4:5], s[4:5], exec
	s_or_saveexec_b64 s[6:7], s[6:7]
	v_mov_b32_e32 v22, s10
	s_xor_b64 exec, exec, s[6:7]
	s_cbranch_execz .LBB49_1550
.LBB49_3600:
	v_mov_b32_e32 v22, 0
	v_cmp_ne_u16_sdwa s[8:9], v21, v22 src0_sel:BYTE_0 src1_sel:DWORD
	s_andn2_b64 s[4:5], s[4:5], exec
	s_and_b64 s[8:9], s[8:9], exec
	s_or_b64 s[4:5], s[4:5], s[8:9]
	s_or_b64 exec, exec, s[6:7]
	s_and_saveexec_b64 s[6:7], s[4:5]
	s_cbranch_execnz .LBB49_1551
	s_branch .LBB49_1552
.LBB49_3601:
	s_movk_i32 s4, 0x80
	v_cmp_eq_u16_e32 vcc, s4, v21
	s_mov_b64 s[4:5], -1
                                        ; implicit-def: $sgpr10
	s_and_saveexec_b64 s[8:9], vcc
; %bb.3602:
	s_mov_b32 s10, 0x7f800001
	s_xor_b64 s[4:5], exec, -1
; %bb.3603:
	s_or_b64 exec, exec, s[8:9]
	s_and_b64 s[4:5], s[4:5], exec
                                        ; implicit-def: $vgpr21
	s_or_saveexec_b64 s[6:7], s[6:7]
	v_mov_b32_e32 v20, s10
	s_xor_b64 exec, exec, s[6:7]
	s_cbranch_execz .LBB49_1554
.LBB49_3604:
	v_cmp_ne_u16_e32 vcc, 0, v21
	s_andn2_b64 s[4:5], s[4:5], exec
	s_and_b64 s[8:9], vcc, exec
	v_mov_b32_e32 v20, 0
	s_or_b64 s[4:5], s[4:5], s[8:9]
	s_or_b64 exec, exec, s[6:7]
	s_and_saveexec_b64 s[6:7], s[4:5]
	s_cbranch_execnz .LBB49_1555
	s_branch .LBB49_1556
.LBB49_3605:
	s_movk_i32 s4, 0x80
	v_cmp_eq_u16_e32 vcc, s4, v21
	s_mov_b64 s[4:5], -1
                                        ; implicit-def: $sgpr10
	s_and_saveexec_b64 s[8:9], vcc
; %bb.3606:
	s_mov_b32 s10, 0x7f800001
	s_xor_b64 s[4:5], exec, -1
; %bb.3607:
	s_or_b64 exec, exec, s[8:9]
	s_and_b64 s[4:5], s[4:5], exec
                                        ; implicit-def: $vgpr21
	s_or_saveexec_b64 s[6:7], s[6:7]
	v_mov_b32_e32 v22, s10
	s_xor_b64 exec, exec, s[6:7]
	s_cbranch_execz .LBB49_1558
.LBB49_3608:
	v_cmp_ne_u16_e32 vcc, 0, v21
	s_andn2_b64 s[4:5], s[4:5], exec
	s_and_b64 s[8:9], vcc, exec
	v_mov_b32_e32 v22, 0
	s_or_b64 s[4:5], s[4:5], s[8:9]
	s_or_b64 exec, exec, s[6:7]
	s_and_saveexec_b64 s[6:7], s[4:5]
	s_cbranch_execnz .LBB49_1559
	s_branch .LBB49_1560
.LBB49_3609:
	s_movk_i32 s4, 0x80
	v_cmp_eq_u16_sdwa s[12:13], v14, s4 src0_sel:BYTE_3 src1_sel:DWORD
	s_mov_b64 s[4:5], -1
                                        ; implicit-def: $sgpr10
	s_and_saveexec_b64 s[8:9], s[12:13]
; %bb.3610:
	s_mov_b32 s10, 0x7f800001
	s_xor_b64 s[4:5], exec, -1
; %bb.3611:
	s_or_b64 exec, exec, s[8:9]
	s_and_b64 s[4:5], s[4:5], exec
	s_or_saveexec_b64 s[6:7], s[6:7]
	v_mov_b32_e32 v20, s10
	s_xor_b64 exec, exec, s[6:7]
	s_cbranch_execz .LBB49_1562
.LBB49_3612:
	v_mov_b32_e32 v20, 0
	v_cmp_ne_u16_sdwa s[8:9], v14, v20 src0_sel:BYTE_3 src1_sel:DWORD
	s_andn2_b64 s[4:5], s[4:5], exec
	s_and_b64 s[8:9], s[8:9], exec
	s_or_b64 s[4:5], s[4:5], s[8:9]
	s_or_b64 exec, exec, s[6:7]
	s_and_saveexec_b64 s[6:7], s[4:5]
	s_cbranch_execnz .LBB49_1563
	s_branch .LBB49_1564
.LBB49_3613:
	s_movk_i32 s4, 0x80
	v_cmp_eq_u16_sdwa s[12:13], v10, s4 src0_sel:BYTE_3 src1_sel:DWORD
	s_mov_b64 s[4:5], -1
                                        ; implicit-def: $sgpr10
	s_and_saveexec_b64 s[8:9], s[12:13]
; %bb.3614:
	s_mov_b32 s10, 0x7f800001
	s_xor_b64 s[4:5], exec, -1
; %bb.3615:
	s_or_b64 exec, exec, s[8:9]
	s_and_b64 s[4:5], s[4:5], exec
	s_or_saveexec_b64 s[6:7], s[6:7]
	v_mov_b32_e32 v14, s10
	s_xor_b64 exec, exec, s[6:7]
	s_cbranch_execz .LBB49_1566
.LBB49_3616:
	v_mov_b32_e32 v14, 0
	v_cmp_ne_u16_sdwa s[8:9], v10, v14 src0_sel:BYTE_3 src1_sel:DWORD
	s_andn2_b64 s[4:5], s[4:5], exec
	s_and_b64 s[8:9], s[8:9], exec
	s_or_b64 s[4:5], s[4:5], s[8:9]
	s_or_b64 exec, exec, s[6:7]
	s_and_saveexec_b64 s[6:7], s[4:5]
	s_cbranch_execnz .LBB49_1567
	s_branch .LBB49_1568
.LBB49_3617:
	s_movk_i32 s4, 0x80
	v_cmp_eq_u16_sdwa s[12:13], v15, s4 src0_sel:BYTE_0 src1_sel:DWORD
	s_mov_b64 s[4:5], -1
                                        ; implicit-def: $sgpr10
	s_and_saveexec_b64 s[8:9], s[12:13]
; %bb.3618:
	s_mov_b32 s10, 0x7f800001
	s_xor_b64 s[4:5], exec, -1
; %bb.3619:
	s_or_b64 exec, exec, s[8:9]
	s_and_b64 s[4:5], s[4:5], exec
	s_or_saveexec_b64 s[6:7], s[6:7]
	v_mov_b32_e32 v10, s10
	s_xor_b64 exec, exec, s[6:7]
	s_cbranch_execz .LBB49_1570
.LBB49_3620:
	v_mov_b32_e32 v10, 0
	v_cmp_ne_u16_sdwa s[8:9], v15, v10 src0_sel:BYTE_0 src1_sel:DWORD
	s_andn2_b64 s[4:5], s[4:5], exec
	s_and_b64 s[8:9], s[8:9], exec
	s_or_b64 s[4:5], s[4:5], s[8:9]
	s_or_b64 exec, exec, s[6:7]
	s_and_saveexec_b64 s[6:7], s[4:5]
	s_cbranch_execnz .LBB49_1571
	s_branch .LBB49_1572
.LBB49_3621:
	s_movk_i32 s4, 0x80
	v_cmp_eq_u16_sdwa s[12:13], v11, s4 src0_sel:BYTE_0 src1_sel:DWORD
	s_mov_b64 s[4:5], -1
                                        ; implicit-def: $sgpr10
	s_and_saveexec_b64 s[8:9], s[12:13]
; %bb.3622:
	s_mov_b32 s10, 0x7f800001
	s_xor_b64 s[4:5], exec, -1
; %bb.3623:
	s_or_b64 exec, exec, s[8:9]
	s_and_b64 s[4:5], s[4:5], exec
	s_or_saveexec_b64 s[6:7], s[6:7]
	v_mov_b32_e32 v14, s10
	s_xor_b64 exec, exec, s[6:7]
	s_cbranch_execz .LBB49_1574
.LBB49_3624:
	v_mov_b32_e32 v14, 0
	v_cmp_ne_u16_sdwa s[8:9], v11, v14 src0_sel:BYTE_0 src1_sel:DWORD
	s_andn2_b64 s[4:5], s[4:5], exec
	s_and_b64 s[8:9], s[8:9], exec
	s_or_b64 s[4:5], s[4:5], s[8:9]
	s_or_b64 exec, exec, s[6:7]
	s_and_saveexec_b64 s[6:7], s[4:5]
	s_cbranch_execnz .LBB49_1575
	s_branch .LBB49_1576
.LBB49_3625:
	s_movk_i32 s4, 0x80
	v_cmp_eq_u16_sdwa s[12:13], v14, s4 src0_sel:BYTE_0 src1_sel:DWORD
	s_mov_b64 s[4:5], -1
                                        ; implicit-def: $sgpr10
	s_and_saveexec_b64 s[8:9], s[12:13]
; %bb.3626:
	s_mov_b32 s10, 0x7f800001
	s_xor_b64 s[4:5], exec, -1
; %bb.3627:
	s_or_b64 exec, exec, s[8:9]
	s_and_b64 s[4:5], s[4:5], exec
	s_or_saveexec_b64 s[6:7], s[6:7]
	v_mov_b32_e32 v10, s10
	s_xor_b64 exec, exec, s[6:7]
	s_cbranch_execz .LBB49_1578
.LBB49_3628:
	v_mov_b32_e32 v10, 0
	v_cmp_ne_u16_sdwa s[8:9], v14, v10 src0_sel:BYTE_0 src1_sel:DWORD
	s_andn2_b64 s[4:5], s[4:5], exec
	s_and_b64 s[8:9], s[8:9], exec
	s_or_b64 s[4:5], s[4:5], s[8:9]
	s_or_b64 exec, exec, s[6:7]
	s_and_saveexec_b64 s[6:7], s[4:5]
	s_cbranch_execnz .LBB49_1579
	s_branch .LBB49_1580
.LBB49_3629:
	s_movk_i32 s4, 0x80
	v_cmp_eq_u16_sdwa s[12:13], v14, s4 src0_sel:BYTE_0 src1_sel:DWORD
	s_mov_b64 s[4:5], -1
                                        ; implicit-def: $sgpr10
	s_and_saveexec_b64 s[8:9], s[12:13]
; %bb.3630:
	s_mov_b32 s10, 0x7f800001
	s_xor_b64 s[4:5], exec, -1
; %bb.3631:
	s_or_b64 exec, exec, s[8:9]
	s_and_b64 s[4:5], s[4:5], exec
	s_or_saveexec_b64 s[6:7], s[6:7]
	v_mov_b32_e32 v20, s10
	s_xor_b64 exec, exec, s[6:7]
	s_cbranch_execz .LBB49_1582
.LBB49_3632:
	v_mov_b32_e32 v20, 0
	v_cmp_ne_u16_sdwa s[8:9], v14, v20 src0_sel:BYTE_0 src1_sel:DWORD
	s_andn2_b64 s[4:5], s[4:5], exec
	s_and_b64 s[8:9], s[8:9], exec
	s_or_b64 s[4:5], s[4:5], s[8:9]
	s_or_b64 exec, exec, s[6:7]
	s_and_saveexec_b64 s[6:7], s[4:5]
	s_cbranch_execnz .LBB49_1583
	s_branch .LBB49_1584
.LBB49_3633:
	s_movk_i32 s4, 0x80
	v_cmp_eq_u16_e32 vcc, s4, v14
	s_mov_b64 s[4:5], -1
                                        ; implicit-def: $sgpr10
	s_and_saveexec_b64 s[8:9], vcc
; %bb.3634:
	s_mov_b32 s10, 0x7f800001
	s_xor_b64 s[4:5], exec, -1
; %bb.3635:
	s_or_b64 exec, exec, s[8:9]
	s_and_b64 s[4:5], s[4:5], exec
                                        ; implicit-def: $vgpr14
	s_or_saveexec_b64 s[6:7], s[6:7]
	v_mov_b32_e32 v10, s10
	s_xor_b64 exec, exec, s[6:7]
	s_cbranch_execz .LBB49_1586
.LBB49_3636:
	v_cmp_ne_u16_e32 vcc, 0, v14
	s_andn2_b64 s[4:5], s[4:5], exec
	s_and_b64 s[8:9], vcc, exec
	v_mov_b32_e32 v10, 0
	s_or_b64 s[4:5], s[4:5], s[8:9]
	s_or_b64 exec, exec, s[6:7]
	s_and_saveexec_b64 s[6:7], s[4:5]
	s_cbranch_execnz .LBB49_1587
	s_branch .LBB49_1588
.LBB49_3637:
	s_movk_i32 s4, 0x80
	v_cmp_eq_u16_e32 vcc, s4, v14
	s_mov_b64 s[4:5], -1
                                        ; implicit-def: $sgpr10
	s_and_saveexec_b64 s[8:9], vcc
; %bb.3638:
	s_mov_b32 s10, 0x7f800001
	s_xor_b64 s[4:5], exec, -1
; %bb.3639:
	s_or_b64 exec, exec, s[8:9]
	s_and_b64 s[4:5], s[4:5], exec
                                        ; implicit-def: $vgpr14
	s_or_saveexec_b64 s[6:7], s[6:7]
	v_mov_b32_e32 v20, s10
	s_xor_b64 exec, exec, s[6:7]
	s_cbranch_execz .LBB49_1590
.LBB49_3640:
	v_cmp_ne_u16_e32 vcc, 0, v14
	s_andn2_b64 s[4:5], s[4:5], exec
	s_and_b64 s[8:9], vcc, exec
	v_mov_b32_e32 v20, 0
	s_or_b64 s[4:5], s[4:5], s[8:9]
	s_or_b64 exec, exec, s[6:7]
	s_and_saveexec_b64 s[6:7], s[4:5]
	s_cbranch_execnz .LBB49_1591
	s_branch .LBB49_1592
.LBB49_3641:
	s_movk_i32 s4, 0x80
	v_cmp_eq_u16_sdwa s[12:13], v15, s4 src0_sel:BYTE_3 src1_sel:DWORD
	s_mov_b64 s[4:5], -1
                                        ; implicit-def: $sgpr10
	s_and_saveexec_b64 s[8:9], s[12:13]
; %bb.3642:
	s_mov_b32 s10, 0x7f800001
	s_xor_b64 s[4:5], exec, -1
; %bb.3643:
	s_or_b64 exec, exec, s[8:9]
	s_and_b64 s[4:5], s[4:5], exec
	s_or_saveexec_b64 s[6:7], s[6:7]
	v_mov_b32_e32 v10, s10
	s_xor_b64 exec, exec, s[6:7]
	s_cbranch_execz .LBB49_1594
.LBB49_3644:
	v_mov_b32_e32 v10, 0
	v_cmp_ne_u16_sdwa s[8:9], v15, v10 src0_sel:BYTE_3 src1_sel:DWORD
	s_andn2_b64 s[4:5], s[4:5], exec
	s_and_b64 s[8:9], s[8:9], exec
	s_or_b64 s[4:5], s[4:5], s[8:9]
	s_or_b64 exec, exec, s[6:7]
	s_and_saveexec_b64 s[6:7], s[4:5]
	s_cbranch_execnz .LBB49_1595
	s_branch .LBB49_1596
.LBB49_3645:
	s_movk_i32 s4, 0x80
	v_cmp_eq_u16_sdwa s[12:13], v11, s4 src0_sel:BYTE_3 src1_sel:DWORD
	s_mov_b64 s[4:5], -1
                                        ; implicit-def: $sgpr10
	s_and_saveexec_b64 s[8:9], s[12:13]
; %bb.3646:
	s_mov_b32 s10, 0x7f800001
	s_xor_b64 s[4:5], exec, -1
; %bb.3647:
	s_or_b64 exec, exec, s[8:9]
	s_and_b64 s[4:5], s[4:5], exec
	s_or_saveexec_b64 s[6:7], s[6:7]
	v_mov_b32_e32 v14, s10
	s_xor_b64 exec, exec, s[6:7]
	s_cbranch_execz .LBB49_1598
.LBB49_3648:
	v_mov_b32_e32 v14, 0
	v_cmp_ne_u16_sdwa s[8:9], v11, v14 src0_sel:BYTE_3 src1_sel:DWORD
	s_andn2_b64 s[4:5], s[4:5], exec
	s_and_b64 s[8:9], s[8:9], exec
	s_or_b64 s[4:5], s[4:5], s[8:9]
	s_or_b64 exec, exec, s[6:7]
	s_and_saveexec_b64 s[6:7], s[4:5]
	s_cbranch_execnz .LBB49_1599
	s_branch .LBB49_1600
.LBB49_3649:
	s_movk_i32 s4, 0x80
	v_cmp_eq_u16_sdwa s[12:13], v16, s4 src0_sel:BYTE_0 src1_sel:DWORD
	s_mov_b64 s[4:5], -1
                                        ; implicit-def: $sgpr10
	s_and_saveexec_b64 s[8:9], s[12:13]
; %bb.3650:
	s_mov_b32 s10, 0x7f800001
	s_xor_b64 s[4:5], exec, -1
; %bb.3651:
	s_or_b64 exec, exec, s[8:9]
	s_and_b64 s[4:5], s[4:5], exec
	s_or_saveexec_b64 s[6:7], s[6:7]
	v_mov_b32_e32 v10, s10
	s_xor_b64 exec, exec, s[6:7]
	s_cbranch_execz .LBB49_1602
.LBB49_3652:
	v_mov_b32_e32 v10, 0
	v_cmp_ne_u16_sdwa s[8:9], v16, v10 src0_sel:BYTE_0 src1_sel:DWORD
	s_andn2_b64 s[4:5], s[4:5], exec
	s_and_b64 s[8:9], s[8:9], exec
	s_or_b64 s[4:5], s[4:5], s[8:9]
	s_or_b64 exec, exec, s[6:7]
	s_and_saveexec_b64 s[6:7], s[4:5]
	s_cbranch_execnz .LBB49_1603
	s_branch .LBB49_1604
.LBB49_3653:
	s_movk_i32 s4, 0x80
	v_cmp_eq_u16_sdwa s[12:13], v12, s4 src0_sel:BYTE_0 src1_sel:DWORD
	s_mov_b64 s[4:5], -1
                                        ; implicit-def: $sgpr10
	s_and_saveexec_b64 s[8:9], s[12:13]
; %bb.3654:
	s_mov_b32 s10, 0x7f800001
	s_xor_b64 s[4:5], exec, -1
; %bb.3655:
	s_or_b64 exec, exec, s[8:9]
	s_and_b64 s[4:5], s[4:5], exec
	s_or_saveexec_b64 s[6:7], s[6:7]
	v_mov_b32_e32 v11, s10
	s_xor_b64 exec, exec, s[6:7]
	s_cbranch_execz .LBB49_1606
.LBB49_3656:
	v_mov_b32_e32 v11, 0
	v_cmp_ne_u16_sdwa s[8:9], v12, v11 src0_sel:BYTE_0 src1_sel:DWORD
	s_andn2_b64 s[4:5], s[4:5], exec
	s_and_b64 s[8:9], s[8:9], exec
	s_or_b64 s[4:5], s[4:5], s[8:9]
	s_or_b64 exec, exec, s[6:7]
	s_and_saveexec_b64 s[6:7], s[4:5]
	s_cbranch_execnz .LBB49_1607
	s_branch .LBB49_1608
.LBB49_3657:
	s_movk_i32 s4, 0x80
	v_cmp_eq_u16_sdwa s[12:13], v11, s4 src0_sel:BYTE_0 src1_sel:DWORD
	s_mov_b64 s[4:5], -1
                                        ; implicit-def: $sgpr10
	s_and_saveexec_b64 s[8:9], s[12:13]
; %bb.3658:
	s_mov_b32 s10, 0x7f800001
	s_xor_b64 s[4:5], exec, -1
; %bb.3659:
	s_or_b64 exec, exec, s[8:9]
	s_and_b64 s[4:5], s[4:5], exec
	s_or_saveexec_b64 s[6:7], s[6:7]
	v_mov_b32_e32 v10, s10
	s_xor_b64 exec, exec, s[6:7]
	s_cbranch_execz .LBB49_1610
.LBB49_3660:
	v_mov_b32_e32 v10, 0
	v_cmp_ne_u16_sdwa s[8:9], v11, v10 src0_sel:BYTE_0 src1_sel:DWORD
	s_andn2_b64 s[4:5], s[4:5], exec
	s_and_b64 s[8:9], s[8:9], exec
	s_or_b64 s[4:5], s[4:5], s[8:9]
	s_or_b64 exec, exec, s[6:7]
	s_and_saveexec_b64 s[6:7], s[4:5]
	s_cbranch_execnz .LBB49_1611
	s_branch .LBB49_1612
.LBB49_3661:
	s_movk_i32 s4, 0x80
	v_cmp_eq_u16_sdwa s[12:13], v11, s4 src0_sel:BYTE_0 src1_sel:DWORD
	s_mov_b64 s[4:5], -1
                                        ; implicit-def: $sgpr10
	s_and_saveexec_b64 s[8:9], s[12:13]
; %bb.3662:
	s_mov_b32 s10, 0x7f800001
	s_xor_b64 s[4:5], exec, -1
; %bb.3663:
	s_or_b64 exec, exec, s[8:9]
	s_and_b64 s[4:5], s[4:5], exec
	s_or_saveexec_b64 s[6:7], s[6:7]
	v_mov_b32_e32 v14, s10
	s_xor_b64 exec, exec, s[6:7]
	s_cbranch_execz .LBB49_1614
.LBB49_3664:
	v_mov_b32_e32 v14, 0
	v_cmp_ne_u16_sdwa s[8:9], v11, v14 src0_sel:BYTE_0 src1_sel:DWORD
	s_andn2_b64 s[4:5], s[4:5], exec
	s_and_b64 s[8:9], s[8:9], exec
	s_or_b64 s[4:5], s[4:5], s[8:9]
	s_or_b64 exec, exec, s[6:7]
	s_and_saveexec_b64 s[6:7], s[4:5]
	s_cbranch_execnz .LBB49_1615
	s_branch .LBB49_1616
.LBB49_3665:
	s_movk_i32 s4, 0x80
	v_cmp_eq_u16_e32 vcc, s4, v11
	s_mov_b64 s[4:5], -1
                                        ; implicit-def: $sgpr10
	s_and_saveexec_b64 s[8:9], vcc
; %bb.3666:
	s_mov_b32 s10, 0x7f800001
	s_xor_b64 s[4:5], exec, -1
; %bb.3667:
	s_or_b64 exec, exec, s[8:9]
	s_and_b64 s[4:5], s[4:5], exec
                                        ; implicit-def: $vgpr11
	s_or_saveexec_b64 s[6:7], s[6:7]
	v_mov_b32_e32 v10, s10
	s_xor_b64 exec, exec, s[6:7]
	s_cbranch_execz .LBB49_1618
.LBB49_3668:
	v_cmp_ne_u16_e32 vcc, 0, v11
	s_andn2_b64 s[4:5], s[4:5], exec
	s_and_b64 s[8:9], vcc, exec
	v_mov_b32_e32 v10, 0
	s_or_b64 s[4:5], s[4:5], s[8:9]
	s_or_b64 exec, exec, s[6:7]
	s_and_saveexec_b64 s[6:7], s[4:5]
	s_cbranch_execnz .LBB49_1619
	s_branch .LBB49_1620
.LBB49_3669:
	s_movk_i32 s4, 0x80
	v_cmp_eq_u16_e32 vcc, s4, v11
	s_mov_b64 s[4:5], -1
                                        ; implicit-def: $sgpr10
	s_and_saveexec_b64 s[8:9], vcc
; %bb.3670:
	s_mov_b32 s10, 0x7f800001
	s_xor_b64 s[4:5], exec, -1
; %bb.3671:
	s_or_b64 exec, exec, s[8:9]
	s_and_b64 s[4:5], s[4:5], exec
                                        ; implicit-def: $vgpr11
	s_or_saveexec_b64 s[6:7], s[6:7]
	v_mov_b32_e32 v14, s10
	s_xor_b64 exec, exec, s[6:7]
	s_cbranch_execz .LBB49_1622
.LBB49_3672:
	v_cmp_ne_u16_e32 vcc, 0, v11
	s_andn2_b64 s[4:5], s[4:5], exec
	s_and_b64 s[8:9], vcc, exec
	v_mov_b32_e32 v14, 0
	s_or_b64 s[4:5], s[4:5], s[8:9]
	s_or_b64 exec, exec, s[6:7]
	s_and_saveexec_b64 s[6:7], s[4:5]
	s_cbranch_execnz .LBB49_1623
	s_branch .LBB49_1624
.LBB49_3673:
	s_movk_i32 s4, 0x80
	v_cmp_eq_u16_sdwa s[12:13], v16, s4 src0_sel:BYTE_3 src1_sel:DWORD
	s_mov_b64 s[4:5], -1
                                        ; implicit-def: $sgpr10
	s_and_saveexec_b64 s[8:9], s[12:13]
; %bb.3674:
	s_mov_b32 s10, 0x7f800001
	s_xor_b64 s[4:5], exec, -1
; %bb.3675:
	s_or_b64 exec, exec, s[8:9]
	s_and_b64 s[4:5], s[4:5], exec
	s_or_saveexec_b64 s[6:7], s[6:7]
	v_mov_b32_e32 v10, s10
	s_xor_b64 exec, exec, s[6:7]
	s_cbranch_execz .LBB49_1626
.LBB49_3676:
	v_mov_b32_e32 v10, 0
	v_cmp_ne_u16_sdwa s[8:9], v16, v10 src0_sel:BYTE_3 src1_sel:DWORD
	s_andn2_b64 s[4:5], s[4:5], exec
	s_and_b64 s[8:9], s[8:9], exec
	s_or_b64 s[4:5], s[4:5], s[8:9]
	s_or_b64 exec, exec, s[6:7]
	s_and_saveexec_b64 s[6:7], s[4:5]
	s_cbranch_execnz .LBB49_1627
	s_branch .LBB49_1628
.LBB49_3677:
	s_movk_i32 s4, 0x80
	v_cmp_eq_u16_sdwa s[12:13], v12, s4 src0_sel:BYTE_3 src1_sel:DWORD
	s_mov_b64 s[4:5], -1
                                        ; implicit-def: $sgpr10
	s_and_saveexec_b64 s[8:9], s[12:13]
; %bb.3678:
	s_mov_b32 s10, 0x7f800001
	s_xor_b64 s[4:5], exec, -1
; %bb.3679:
	s_or_b64 exec, exec, s[8:9]
	s_and_b64 s[4:5], s[4:5], exec
	s_or_saveexec_b64 s[6:7], s[6:7]
	v_mov_b32_e32 v11, s10
	s_xor_b64 exec, exec, s[6:7]
	s_cbranch_execz .LBB49_1630
.LBB49_3680:
	v_mov_b32_e32 v11, 0
	v_cmp_ne_u16_sdwa s[8:9], v12, v11 src0_sel:BYTE_3 src1_sel:DWORD
	s_andn2_b64 s[4:5], s[4:5], exec
	s_and_b64 s[8:9], s[8:9], exec
	s_or_b64 s[4:5], s[4:5], s[8:9]
	s_or_b64 exec, exec, s[6:7]
	s_and_saveexec_b64 s[6:7], s[4:5]
	s_cbranch_execnz .LBB49_1631
	s_branch .LBB49_1632
.LBB49_3681:
	s_movk_i32 s4, 0x80
	v_cmp_eq_u16_sdwa s[12:13], v17, s4 src0_sel:BYTE_0 src1_sel:DWORD
	s_mov_b64 s[4:5], -1
                                        ; implicit-def: $sgpr10
	s_and_saveexec_b64 s[8:9], s[12:13]
; %bb.3682:
	s_mov_b32 s10, 0x7f800001
	s_xor_b64 s[4:5], exec, -1
; %bb.3683:
	s_or_b64 exec, exec, s[8:9]
	s_and_b64 s[4:5], s[4:5], exec
	s_or_saveexec_b64 s[6:7], s[6:7]
	v_mov_b32_e32 v10, s10
	s_xor_b64 exec, exec, s[6:7]
	s_cbranch_execz .LBB49_1634
.LBB49_3684:
	v_mov_b32_e32 v10, 0
	v_cmp_ne_u16_sdwa s[8:9], v17, v10 src0_sel:BYTE_0 src1_sel:DWORD
	s_andn2_b64 s[4:5], s[4:5], exec
	s_and_b64 s[8:9], s[8:9], exec
	s_or_b64 s[4:5], s[4:5], s[8:9]
	s_or_b64 exec, exec, s[6:7]
	s_and_saveexec_b64 s[6:7], s[4:5]
	s_cbranch_execnz .LBB49_1635
	s_branch .LBB49_1636
.LBB49_3685:
	s_movk_i32 s4, 0x80
	v_cmp_eq_u16_sdwa s[12:13], v13, s4 src0_sel:BYTE_0 src1_sel:DWORD
	s_mov_b64 s[4:5], -1
                                        ; implicit-def: $sgpr10
	s_and_saveexec_b64 s[8:9], s[12:13]
; %bb.3686:
	s_mov_b32 s10, 0x7f800001
	s_xor_b64 s[4:5], exec, -1
; %bb.3687:
	s_or_b64 exec, exec, s[8:9]
	s_and_b64 s[4:5], s[4:5], exec
	s_or_saveexec_b64 s[6:7], s[6:7]
	v_mov_b32_e32 v11, s10
	s_xor_b64 exec, exec, s[6:7]
	s_cbranch_execz .LBB49_1638
.LBB49_3688:
	v_mov_b32_e32 v11, 0
	v_cmp_ne_u16_sdwa s[8:9], v13, v11 src0_sel:BYTE_0 src1_sel:DWORD
	s_andn2_b64 s[4:5], s[4:5], exec
	s_and_b64 s[8:9], s[8:9], exec
	s_or_b64 s[4:5], s[4:5], s[8:9]
	s_or_b64 exec, exec, s[6:7]
	s_and_saveexec_b64 s[6:7], s[4:5]
	s_cbranch_execnz .LBB49_1639
	s_branch .LBB49_1640
.LBB49_3689:
	s_movk_i32 s4, 0x80
	v_cmp_eq_u16_sdwa s[12:13], v11, s4 src0_sel:BYTE_0 src1_sel:DWORD
	s_mov_b64 s[4:5], -1
                                        ; implicit-def: $sgpr10
	s_and_saveexec_b64 s[8:9], s[12:13]
; %bb.3690:
	s_mov_b32 s10, 0x7f800001
	s_xor_b64 s[4:5], exec, -1
; %bb.3691:
	s_or_b64 exec, exec, s[8:9]
	s_and_b64 s[4:5], s[4:5], exec
	s_or_saveexec_b64 s[6:7], s[6:7]
	v_mov_b32_e32 v10, s10
	s_xor_b64 exec, exec, s[6:7]
	s_cbranch_execz .LBB49_1642
.LBB49_3692:
	v_mov_b32_e32 v10, 0
	v_cmp_ne_u16_sdwa s[8:9], v11, v10 src0_sel:BYTE_0 src1_sel:DWORD
	s_andn2_b64 s[4:5], s[4:5], exec
	s_and_b64 s[8:9], s[8:9], exec
	s_or_b64 s[4:5], s[4:5], s[8:9]
	s_or_b64 exec, exec, s[6:7]
	s_and_saveexec_b64 s[6:7], s[4:5]
	s_cbranch_execnz .LBB49_1643
	s_branch .LBB49_1644
.LBB49_3693:
	s_movk_i32 s4, 0x80
	v_cmp_eq_u16_sdwa s[12:13], v11, s4 src0_sel:BYTE_0 src1_sel:DWORD
	s_mov_b64 s[4:5], -1
                                        ; implicit-def: $sgpr10
	s_and_saveexec_b64 s[8:9], s[12:13]
; %bb.3694:
	s_mov_b32 s10, 0x7f800001
	s_xor_b64 s[4:5], exec, -1
; %bb.3695:
	s_or_b64 exec, exec, s[8:9]
	s_and_b64 s[4:5], s[4:5], exec
	s_or_saveexec_b64 s[6:7], s[6:7]
	v_mov_b32_e32 v12, s10
	s_xor_b64 exec, exec, s[6:7]
	s_cbranch_execz .LBB49_1646
.LBB49_3696:
	v_mov_b32_e32 v12, 0
	v_cmp_ne_u16_sdwa s[8:9], v11, v12 src0_sel:BYTE_0 src1_sel:DWORD
	s_andn2_b64 s[4:5], s[4:5], exec
	s_and_b64 s[8:9], s[8:9], exec
	s_or_b64 s[4:5], s[4:5], s[8:9]
	s_or_b64 exec, exec, s[6:7]
	s_and_saveexec_b64 s[6:7], s[4:5]
	s_cbranch_execnz .LBB49_1647
	s_branch .LBB49_1648
.LBB49_3697:
	s_movk_i32 s4, 0x80
	v_cmp_eq_u16_e32 vcc, s4, v11
	s_mov_b64 s[4:5], -1
                                        ; implicit-def: $sgpr10
	s_and_saveexec_b64 s[8:9], vcc
; %bb.3698:
	s_mov_b32 s10, 0x7f800001
	s_xor_b64 s[4:5], exec, -1
; %bb.3699:
	s_or_b64 exec, exec, s[8:9]
	s_and_b64 s[4:5], s[4:5], exec
                                        ; implicit-def: $vgpr11
	s_or_saveexec_b64 s[6:7], s[6:7]
	v_mov_b32_e32 v10, s10
	s_xor_b64 exec, exec, s[6:7]
	s_cbranch_execz .LBB49_1650
.LBB49_3700:
	v_cmp_ne_u16_e32 vcc, 0, v11
	s_andn2_b64 s[4:5], s[4:5], exec
	s_and_b64 s[8:9], vcc, exec
	v_mov_b32_e32 v10, 0
	s_or_b64 s[4:5], s[4:5], s[8:9]
	s_or_b64 exec, exec, s[6:7]
	s_and_saveexec_b64 s[6:7], s[4:5]
	s_cbranch_execnz .LBB49_1651
	s_branch .LBB49_1652
.LBB49_3701:
	s_movk_i32 s4, 0x80
	v_cmp_eq_u16_e32 vcc, s4, v11
	s_mov_b64 s[4:5], -1
                                        ; implicit-def: $sgpr10
	s_and_saveexec_b64 s[8:9], vcc
; %bb.3702:
	s_mov_b32 s10, 0x7f800001
	s_xor_b64 s[4:5], exec, -1
; %bb.3703:
	s_or_b64 exec, exec, s[8:9]
	s_and_b64 s[4:5], s[4:5], exec
                                        ; implicit-def: $vgpr11
	s_or_saveexec_b64 s[6:7], s[6:7]
	v_mov_b32_e32 v12, s10
	s_xor_b64 exec, exec, s[6:7]
	s_cbranch_execz .LBB49_1654
.LBB49_3704:
	v_cmp_ne_u16_e32 vcc, 0, v11
	s_andn2_b64 s[4:5], s[4:5], exec
	s_and_b64 s[8:9], vcc, exec
	v_mov_b32_e32 v12, 0
	s_or_b64 s[4:5], s[4:5], s[8:9]
	s_or_b64 exec, exec, s[6:7]
	s_and_saveexec_b64 s[6:7], s[4:5]
	s_cbranch_execnz .LBB49_1655
	s_branch .LBB49_1656
.LBB49_3705:
	s_movk_i32 s4, 0x80
	v_cmp_eq_u16_sdwa s[12:13], v17, s4 src0_sel:BYTE_3 src1_sel:DWORD
	s_mov_b64 s[4:5], -1
                                        ; implicit-def: $sgpr10
	s_and_saveexec_b64 s[8:9], s[12:13]
; %bb.3706:
	s_mov_b32 s10, 0x7f800001
	s_xor_b64 s[4:5], exec, -1
; %bb.3707:
	s_or_b64 exec, exec, s[8:9]
	s_and_b64 s[4:5], s[4:5], exec
	s_or_saveexec_b64 s[6:7], s[6:7]
	v_mov_b32_e32 v10, s10
	s_xor_b64 exec, exec, s[6:7]
	s_cbranch_execz .LBB49_1658
.LBB49_3708:
	v_mov_b32_e32 v10, 0
	v_cmp_ne_u16_sdwa s[8:9], v17, v10 src0_sel:BYTE_3 src1_sel:DWORD
	s_andn2_b64 s[4:5], s[4:5], exec
	s_and_b64 s[8:9], s[8:9], exec
	s_or_b64 s[4:5], s[4:5], s[8:9]
	s_or_b64 exec, exec, s[6:7]
	s_and_saveexec_b64 s[6:7], s[4:5]
	s_cbranch_execnz .LBB49_1659
	s_branch .LBB49_1660
.LBB49_3709:
	s_movk_i32 s4, 0x80
	v_cmp_eq_u16_sdwa s[12:13], v13, s4 src0_sel:BYTE_3 src1_sel:DWORD
	s_mov_b64 s[4:5], -1
                                        ; implicit-def: $sgpr10
	s_and_saveexec_b64 s[8:9], s[12:13]
; %bb.3710:
	s_mov_b32 s10, 0x7f800001
	s_xor_b64 s[4:5], exec, -1
; %bb.3711:
	s_or_b64 exec, exec, s[8:9]
	s_and_b64 s[4:5], s[4:5], exec
	s_or_saveexec_b64 s[6:7], s[6:7]
	v_mov_b32_e32 v11, s10
	s_xor_b64 exec, exec, s[6:7]
	s_cbranch_execz .LBB49_1662
.LBB49_3712:
	v_mov_b32_e32 v11, 0
	v_cmp_ne_u16_sdwa s[8:9], v13, v11 src0_sel:BYTE_3 src1_sel:DWORD
	s_andn2_b64 s[4:5], s[4:5], exec
	s_and_b64 s[8:9], s[8:9], exec
	s_or_b64 s[4:5], s[4:5], s[8:9]
	s_or_b64 exec, exec, s[6:7]
	s_and_saveexec_b64 s[6:7], s[4:5]
	s_cbranch_execnz .LBB49_1663
	s_branch .LBB49_1664
.LBB49_3713:
	s_movk_i32 s4, 0x80
	v_cmp_eq_u16_sdwa s[12:13], v6, s4 src0_sel:BYTE_0 src1_sel:DWORD
	s_mov_b64 s[4:5], -1
                                        ; implicit-def: $sgpr10
	s_and_saveexec_b64 s[8:9], s[12:13]
; %bb.3714:
	s_mov_b32 s10, 0x7f800001
	s_xor_b64 s[4:5], exec, -1
; %bb.3715:
	s_or_b64 exec, exec, s[8:9]
	s_and_b64 s[4:5], s[4:5], exec
	s_or_saveexec_b64 s[6:7], s[6:7]
	v_mov_b32_e32 v10, s10
	s_xor_b64 exec, exec, s[6:7]
	s_cbranch_execz .LBB49_1666
.LBB49_3716:
	v_mov_b32_e32 v10, 0
	v_cmp_ne_u16_sdwa s[8:9], v6, v10 src0_sel:BYTE_0 src1_sel:DWORD
	s_andn2_b64 s[4:5], s[4:5], exec
	s_and_b64 s[8:9], s[8:9], exec
	s_or_b64 s[4:5], s[4:5], s[8:9]
	s_or_b64 exec, exec, s[6:7]
	s_and_saveexec_b64 s[6:7], s[4:5]
	s_cbranch_execnz .LBB49_1667
	s_branch .LBB49_1668
.LBB49_3717:
	s_movk_i32 s4, 0x80
	v_cmp_eq_u16_sdwa s[12:13], v2, s4 src0_sel:BYTE_0 src1_sel:DWORD
	s_mov_b64 s[4:5], -1
                                        ; implicit-def: $sgpr10
	s_and_saveexec_b64 s[8:9], s[12:13]
; %bb.3718:
	s_mov_b32 s10, 0x7f800001
	s_xor_b64 s[4:5], exec, -1
; %bb.3719:
	s_or_b64 exec, exec, s[8:9]
	s_and_b64 s[4:5], s[4:5], exec
	s_or_saveexec_b64 s[6:7], s[6:7]
	v_mov_b32_e32 v11, s10
	s_xor_b64 exec, exec, s[6:7]
	s_cbranch_execz .LBB49_1670
.LBB49_3720:
	v_mov_b32_e32 v11, 0
	v_cmp_ne_u16_sdwa s[8:9], v2, v11 src0_sel:BYTE_0 src1_sel:DWORD
	s_andn2_b64 s[4:5], s[4:5], exec
	s_and_b64 s[8:9], s[8:9], exec
	s_or_b64 s[4:5], s[4:5], s[8:9]
	s_or_b64 exec, exec, s[6:7]
	s_and_saveexec_b64 s[6:7], s[4:5]
	s_cbranch_execnz .LBB49_1671
	s_branch .LBB49_1672
.LBB49_3721:
	s_movk_i32 s4, 0x80
	v_cmp_eq_u16_sdwa s[12:13], v11, s4 src0_sel:BYTE_0 src1_sel:DWORD
	s_mov_b64 s[4:5], -1
                                        ; implicit-def: $sgpr10
	s_and_saveexec_b64 s[8:9], s[12:13]
; %bb.3722:
	s_mov_b32 s10, 0x7f800001
	s_xor_b64 s[4:5], exec, -1
; %bb.3723:
	s_or_b64 exec, exec, s[8:9]
	s_and_b64 s[4:5], s[4:5], exec
	s_or_saveexec_b64 s[6:7], s[6:7]
	v_mov_b32_e32 v10, s10
	s_xor_b64 exec, exec, s[6:7]
	s_cbranch_execz .LBB49_1674
.LBB49_3724:
	v_mov_b32_e32 v10, 0
	v_cmp_ne_u16_sdwa s[8:9], v11, v10 src0_sel:BYTE_0 src1_sel:DWORD
	s_andn2_b64 s[4:5], s[4:5], exec
	s_and_b64 s[8:9], s[8:9], exec
	s_or_b64 s[4:5], s[4:5], s[8:9]
	s_or_b64 exec, exec, s[6:7]
	s_and_saveexec_b64 s[6:7], s[4:5]
	s_cbranch_execnz .LBB49_1675
	s_branch .LBB49_1676
.LBB49_3725:
	s_movk_i32 s4, 0x80
	v_cmp_eq_u16_sdwa s[12:13], v11, s4 src0_sel:BYTE_0 src1_sel:DWORD
	s_mov_b64 s[4:5], -1
                                        ; implicit-def: $sgpr10
	s_and_saveexec_b64 s[8:9], s[12:13]
; %bb.3726:
	s_mov_b32 s10, 0x7f800001
	s_xor_b64 s[4:5], exec, -1
; %bb.3727:
	s_or_b64 exec, exec, s[8:9]
	s_and_b64 s[4:5], s[4:5], exec
	s_or_saveexec_b64 s[6:7], s[6:7]
	v_mov_b32_e32 v12, s10
	s_xor_b64 exec, exec, s[6:7]
	s_cbranch_execz .LBB49_1678
.LBB49_3728:
	v_mov_b32_e32 v12, 0
	v_cmp_ne_u16_sdwa s[8:9], v11, v12 src0_sel:BYTE_0 src1_sel:DWORD
	s_andn2_b64 s[4:5], s[4:5], exec
	s_and_b64 s[8:9], s[8:9], exec
	s_or_b64 s[4:5], s[4:5], s[8:9]
	s_or_b64 exec, exec, s[6:7]
	s_and_saveexec_b64 s[6:7], s[4:5]
	s_cbranch_execnz .LBB49_1679
	s_branch .LBB49_1680
.LBB49_3729:
	s_movk_i32 s4, 0x80
	v_cmp_eq_u16_e32 vcc, s4, v11
	s_mov_b64 s[4:5], -1
                                        ; implicit-def: $sgpr10
	s_and_saveexec_b64 s[8:9], vcc
; %bb.3730:
	s_mov_b32 s10, 0x7f800001
	s_xor_b64 s[4:5], exec, -1
; %bb.3731:
	s_or_b64 exec, exec, s[8:9]
	s_and_b64 s[4:5], s[4:5], exec
                                        ; implicit-def: $vgpr11
	s_or_saveexec_b64 s[6:7], s[6:7]
	v_mov_b32_e32 v10, s10
	s_xor_b64 exec, exec, s[6:7]
	s_cbranch_execz .LBB49_1682
.LBB49_3732:
	v_cmp_ne_u16_e32 vcc, 0, v11
	s_andn2_b64 s[4:5], s[4:5], exec
	s_and_b64 s[8:9], vcc, exec
	v_mov_b32_e32 v10, 0
	s_or_b64 s[4:5], s[4:5], s[8:9]
	s_or_b64 exec, exec, s[6:7]
	s_and_saveexec_b64 s[6:7], s[4:5]
	s_cbranch_execnz .LBB49_1683
	s_branch .LBB49_1684
.LBB49_3733:
	s_movk_i32 s4, 0x80
	v_cmp_eq_u16_e32 vcc, s4, v11
	s_mov_b64 s[4:5], -1
                                        ; implicit-def: $sgpr10
	s_and_saveexec_b64 s[8:9], vcc
; %bb.3734:
	s_mov_b32 s10, 0x7f800001
	s_xor_b64 s[4:5], exec, -1
; %bb.3735:
	s_or_b64 exec, exec, s[8:9]
	s_and_b64 s[4:5], s[4:5], exec
                                        ; implicit-def: $vgpr11
	s_or_saveexec_b64 s[6:7], s[6:7]
	v_mov_b32_e32 v12, s10
	s_xor_b64 exec, exec, s[6:7]
	s_cbranch_execz .LBB49_1686
.LBB49_3736:
	v_cmp_ne_u16_e32 vcc, 0, v11
	s_andn2_b64 s[4:5], s[4:5], exec
	s_and_b64 s[8:9], vcc, exec
	v_mov_b32_e32 v12, 0
	s_or_b64 s[4:5], s[4:5], s[8:9]
	s_or_b64 exec, exec, s[6:7]
	s_and_saveexec_b64 s[6:7], s[4:5]
	s_cbranch_execnz .LBB49_1687
	s_branch .LBB49_1688
.LBB49_3737:
	s_movk_i32 s4, 0x80
	v_cmp_eq_u16_sdwa s[12:13], v6, s4 src0_sel:BYTE_3 src1_sel:DWORD
	s_mov_b64 s[4:5], -1
                                        ; implicit-def: $sgpr10
	s_and_saveexec_b64 s[8:9], s[12:13]
; %bb.3738:
	s_mov_b32 s10, 0x7f800001
	s_xor_b64 s[4:5], exec, -1
; %bb.3739:
	s_or_b64 exec, exec, s[8:9]
	s_and_b64 s[4:5], s[4:5], exec
	s_or_saveexec_b64 s[6:7], s[6:7]
	v_mov_b32_e32 v10, s10
	s_xor_b64 exec, exec, s[6:7]
	s_cbranch_execz .LBB49_1690
.LBB49_3740:
	v_mov_b32_e32 v10, 0
	v_cmp_ne_u16_sdwa s[8:9], v6, v10 src0_sel:BYTE_3 src1_sel:DWORD
	s_andn2_b64 s[4:5], s[4:5], exec
	s_and_b64 s[8:9], s[8:9], exec
	s_or_b64 s[4:5], s[4:5], s[8:9]
	s_or_b64 exec, exec, s[6:7]
	s_and_saveexec_b64 s[6:7], s[4:5]
	s_cbranch_execnz .LBB49_1691
	s_branch .LBB49_1692
.LBB49_3741:
	s_movk_i32 s4, 0x80
	v_cmp_eq_u16_sdwa s[12:13], v2, s4 src0_sel:BYTE_3 src1_sel:DWORD
	s_mov_b64 s[4:5], -1
                                        ; implicit-def: $sgpr10
	s_and_saveexec_b64 s[8:9], s[12:13]
; %bb.3742:
	s_mov_b32 s10, 0x7f800001
	s_xor_b64 s[4:5], exec, -1
; %bb.3743:
	s_or_b64 exec, exec, s[8:9]
	s_and_b64 s[4:5], s[4:5], exec
	s_or_saveexec_b64 s[6:7], s[6:7]
	v_mov_b32_e32 v6, s10
	s_xor_b64 exec, exec, s[6:7]
	s_cbranch_execz .LBB49_1694
.LBB49_3744:
	v_mov_b32_e32 v6, 0
	v_cmp_ne_u16_sdwa s[8:9], v2, v6 src0_sel:BYTE_3 src1_sel:DWORD
	s_andn2_b64 s[4:5], s[4:5], exec
	s_and_b64 s[8:9], s[8:9], exec
	s_or_b64 s[4:5], s[4:5], s[8:9]
	s_or_b64 exec, exec, s[6:7]
	s_and_saveexec_b64 s[6:7], s[4:5]
	s_cbranch_execnz .LBB49_1695
	s_branch .LBB49_1696
.LBB49_3745:
	s_movk_i32 s4, 0x80
	v_cmp_eq_u16_sdwa s[12:13], v7, s4 src0_sel:BYTE_0 src1_sel:DWORD
	s_mov_b64 s[4:5], -1
                                        ; implicit-def: $sgpr10
	s_and_saveexec_b64 s[8:9], s[12:13]
; %bb.3746:
	s_mov_b32 s10, 0x7f800001
	s_xor_b64 s[4:5], exec, -1
; %bb.3747:
	s_or_b64 exec, exec, s[8:9]
	s_and_b64 s[4:5], s[4:5], exec
	s_or_saveexec_b64 s[6:7], s[6:7]
	v_mov_b32_e32 v2, s10
	s_xor_b64 exec, exec, s[6:7]
	s_cbranch_execz .LBB49_1698
.LBB49_3748:
	v_mov_b32_e32 v2, 0
	v_cmp_ne_u16_sdwa s[8:9], v7, v2 src0_sel:BYTE_0 src1_sel:DWORD
	s_andn2_b64 s[4:5], s[4:5], exec
	s_and_b64 s[8:9], s[8:9], exec
	s_or_b64 s[4:5], s[4:5], s[8:9]
	s_or_b64 exec, exec, s[6:7]
	s_and_saveexec_b64 s[6:7], s[4:5]
	s_cbranch_execnz .LBB49_1699
	s_branch .LBB49_1700
.LBB49_3749:
	s_movk_i32 s4, 0x80
	v_cmp_eq_u16_sdwa s[12:13], v3, s4 src0_sel:BYTE_0 src1_sel:DWORD
	s_mov_b64 s[4:5], -1
                                        ; implicit-def: $sgpr10
	s_and_saveexec_b64 s[8:9], s[12:13]
; %bb.3750:
	s_mov_b32 s10, 0x7f800001
	s_xor_b64 s[4:5], exec, -1
; %bb.3751:
	s_or_b64 exec, exec, s[8:9]
	s_and_b64 s[4:5], s[4:5], exec
	s_or_saveexec_b64 s[6:7], s[6:7]
	v_mov_b32_e32 v6, s10
	s_xor_b64 exec, exec, s[6:7]
	s_cbranch_execz .LBB49_1702
.LBB49_3752:
	v_mov_b32_e32 v6, 0
	v_cmp_ne_u16_sdwa s[8:9], v3, v6 src0_sel:BYTE_0 src1_sel:DWORD
	s_andn2_b64 s[4:5], s[4:5], exec
	s_and_b64 s[8:9], s[8:9], exec
	s_or_b64 s[4:5], s[4:5], s[8:9]
	s_or_b64 exec, exec, s[6:7]
	s_and_saveexec_b64 s[6:7], s[4:5]
	s_cbranch_execnz .LBB49_1703
	s_branch .LBB49_1704
.LBB49_3753:
	s_movk_i32 s4, 0x80
	v_cmp_eq_u16_sdwa s[12:13], v6, s4 src0_sel:BYTE_0 src1_sel:DWORD
	s_mov_b64 s[4:5], -1
                                        ; implicit-def: $sgpr10
	s_and_saveexec_b64 s[8:9], s[12:13]
; %bb.3754:
	s_mov_b32 s10, 0x7f800001
	s_xor_b64 s[4:5], exec, -1
; %bb.3755:
	s_or_b64 exec, exec, s[8:9]
	s_and_b64 s[4:5], s[4:5], exec
	s_or_saveexec_b64 s[6:7], s[6:7]
	v_mov_b32_e32 v2, s10
	s_xor_b64 exec, exec, s[6:7]
	s_cbranch_execz .LBB49_1706
.LBB49_3756:
	v_mov_b32_e32 v2, 0
	v_cmp_ne_u16_sdwa s[8:9], v6, v2 src0_sel:BYTE_0 src1_sel:DWORD
	s_andn2_b64 s[4:5], s[4:5], exec
	s_and_b64 s[8:9], s[8:9], exec
	s_or_b64 s[4:5], s[4:5], s[8:9]
	s_or_b64 exec, exec, s[6:7]
	s_and_saveexec_b64 s[6:7], s[4:5]
	s_cbranch_execnz .LBB49_1707
	s_branch .LBB49_1708
.LBB49_3757:
	s_movk_i32 s4, 0x80
	v_cmp_eq_u16_sdwa s[12:13], v6, s4 src0_sel:BYTE_0 src1_sel:DWORD
	s_mov_b64 s[4:5], -1
                                        ; implicit-def: $sgpr10
	s_and_saveexec_b64 s[8:9], s[12:13]
; %bb.3758:
	s_mov_b32 s10, 0x7f800001
	s_xor_b64 s[4:5], exec, -1
; %bb.3759:
	s_or_b64 exec, exec, s[8:9]
	s_and_b64 s[4:5], s[4:5], exec
	s_or_saveexec_b64 s[6:7], s[6:7]
	v_mov_b32_e32 v10, s10
	s_xor_b64 exec, exec, s[6:7]
	s_cbranch_execz .LBB49_1710
.LBB49_3760:
	v_mov_b32_e32 v10, 0
	v_cmp_ne_u16_sdwa s[8:9], v6, v10 src0_sel:BYTE_0 src1_sel:DWORD
	s_andn2_b64 s[4:5], s[4:5], exec
	s_and_b64 s[8:9], s[8:9], exec
	s_or_b64 s[4:5], s[4:5], s[8:9]
	s_or_b64 exec, exec, s[6:7]
	s_and_saveexec_b64 s[6:7], s[4:5]
	s_cbranch_execnz .LBB49_1711
	s_branch .LBB49_1712
.LBB49_3761:
	s_movk_i32 s4, 0x80
	v_cmp_eq_u16_e32 vcc, s4, v6
	s_mov_b64 s[4:5], -1
                                        ; implicit-def: $sgpr10
	s_and_saveexec_b64 s[8:9], vcc
; %bb.3762:
	s_mov_b32 s10, 0x7f800001
	s_xor_b64 s[4:5], exec, -1
; %bb.3763:
	s_or_b64 exec, exec, s[8:9]
	s_and_b64 s[4:5], s[4:5], exec
                                        ; implicit-def: $vgpr6
	s_or_saveexec_b64 s[6:7], s[6:7]
	v_mov_b32_e32 v2, s10
	s_xor_b64 exec, exec, s[6:7]
	s_cbranch_execz .LBB49_1714
.LBB49_3764:
	v_cmp_ne_u16_e32 vcc, 0, v6
	s_andn2_b64 s[4:5], s[4:5], exec
	s_and_b64 s[8:9], vcc, exec
	v_mov_b32_e32 v2, 0
	s_or_b64 s[4:5], s[4:5], s[8:9]
	s_or_b64 exec, exec, s[6:7]
	s_and_saveexec_b64 s[6:7], s[4:5]
	s_cbranch_execnz .LBB49_1715
	s_branch .LBB49_1716
.LBB49_3765:
	s_movk_i32 s4, 0x80
	v_cmp_eq_u16_e32 vcc, s4, v6
	s_mov_b64 s[4:5], -1
                                        ; implicit-def: $sgpr10
	s_and_saveexec_b64 s[8:9], vcc
; %bb.3766:
	s_mov_b32 s10, 0x7f800001
	s_xor_b64 s[4:5], exec, -1
; %bb.3767:
	s_or_b64 exec, exec, s[8:9]
	s_and_b64 s[4:5], s[4:5], exec
                                        ; implicit-def: $vgpr6
	s_or_saveexec_b64 s[6:7], s[6:7]
	v_mov_b32_e32 v10, s10
	s_xor_b64 exec, exec, s[6:7]
	s_cbranch_execz .LBB49_1718
.LBB49_3768:
	v_cmp_ne_u16_e32 vcc, 0, v6
	s_andn2_b64 s[4:5], s[4:5], exec
	s_and_b64 s[8:9], vcc, exec
	v_mov_b32_e32 v10, 0
	s_or_b64 s[4:5], s[4:5], s[8:9]
	s_or_b64 exec, exec, s[6:7]
	s_and_saveexec_b64 s[6:7], s[4:5]
	s_cbranch_execnz .LBB49_1719
	s_branch .LBB49_1720
.LBB49_3769:
	s_movk_i32 s4, 0x80
	v_cmp_eq_u16_sdwa s[12:13], v7, s4 src0_sel:BYTE_3 src1_sel:DWORD
	s_mov_b64 s[4:5], -1
                                        ; implicit-def: $sgpr10
	s_and_saveexec_b64 s[8:9], s[12:13]
; %bb.3770:
	s_mov_b32 s10, 0x7f800001
	s_xor_b64 s[4:5], exec, -1
; %bb.3771:
	s_or_b64 exec, exec, s[8:9]
	s_and_b64 s[4:5], s[4:5], exec
	s_or_saveexec_b64 s[6:7], s[6:7]
	v_mov_b32_e32 v2, s10
	s_xor_b64 exec, exec, s[6:7]
	s_cbranch_execz .LBB49_1722
.LBB49_3772:
	v_mov_b32_e32 v2, 0
	v_cmp_ne_u16_sdwa s[8:9], v7, v2 src0_sel:BYTE_3 src1_sel:DWORD
	s_andn2_b64 s[4:5], s[4:5], exec
	s_and_b64 s[8:9], s[8:9], exec
	s_or_b64 s[4:5], s[4:5], s[8:9]
	s_or_b64 exec, exec, s[6:7]
	s_and_saveexec_b64 s[6:7], s[4:5]
	s_cbranch_execnz .LBB49_1723
	s_branch .LBB49_1724
.LBB49_3773:
	s_movk_i32 s4, 0x80
	v_cmp_eq_u16_sdwa s[12:13], v3, s4 src0_sel:BYTE_3 src1_sel:DWORD
	s_mov_b64 s[4:5], -1
                                        ; implicit-def: $sgpr10
	s_and_saveexec_b64 s[8:9], s[12:13]
; %bb.3774:
	s_mov_b32 s10, 0x7f800001
	s_xor_b64 s[4:5], exec, -1
; %bb.3775:
	s_or_b64 exec, exec, s[8:9]
	s_and_b64 s[4:5], s[4:5], exec
	s_or_saveexec_b64 s[6:7], s[6:7]
	v_mov_b32_e32 v6, s10
	s_xor_b64 exec, exec, s[6:7]
	s_cbranch_execz .LBB49_1726
.LBB49_3776:
	v_mov_b32_e32 v6, 0
	v_cmp_ne_u16_sdwa s[8:9], v3, v6 src0_sel:BYTE_3 src1_sel:DWORD
	s_andn2_b64 s[4:5], s[4:5], exec
	s_and_b64 s[8:9], s[8:9], exec
	s_or_b64 s[4:5], s[4:5], s[8:9]
	s_or_b64 exec, exec, s[6:7]
	s_and_saveexec_b64 s[6:7], s[4:5]
	s_cbranch_execnz .LBB49_1727
	s_branch .LBB49_1728
.LBB49_3777:
	s_movk_i32 s4, 0x80
	v_cmp_eq_u16_sdwa s[12:13], v8, s4 src0_sel:BYTE_0 src1_sel:DWORD
	s_mov_b64 s[4:5], -1
                                        ; implicit-def: $sgpr10
	s_and_saveexec_b64 s[8:9], s[12:13]
; %bb.3778:
	s_mov_b32 s10, 0x7f800001
	s_xor_b64 s[4:5], exec, -1
; %bb.3779:
	s_or_b64 exec, exec, s[8:9]
	s_and_b64 s[4:5], s[4:5], exec
	s_or_saveexec_b64 s[6:7], s[6:7]
	v_mov_b32_e32 v2, s10
	s_xor_b64 exec, exec, s[6:7]
	s_cbranch_execz .LBB49_1730
.LBB49_3780:
	v_mov_b32_e32 v2, 0
	v_cmp_ne_u16_sdwa s[8:9], v8, v2 src0_sel:BYTE_0 src1_sel:DWORD
	s_andn2_b64 s[4:5], s[4:5], exec
	s_and_b64 s[8:9], s[8:9], exec
	s_or_b64 s[4:5], s[4:5], s[8:9]
	s_or_b64 exec, exec, s[6:7]
	s_and_saveexec_b64 s[6:7], s[4:5]
	s_cbranch_execnz .LBB49_1731
	s_branch .LBB49_1732
.LBB49_3781:
	s_movk_i32 s4, 0x80
	v_cmp_eq_u16_sdwa s[12:13], v4, s4 src0_sel:BYTE_0 src1_sel:DWORD
	s_mov_b64 s[4:5], -1
                                        ; implicit-def: $sgpr10
	s_and_saveexec_b64 s[8:9], s[12:13]
; %bb.3782:
	s_mov_b32 s10, 0x7f800001
	s_xor_b64 s[4:5], exec, -1
; %bb.3783:
	s_or_b64 exec, exec, s[8:9]
	s_and_b64 s[4:5], s[4:5], exec
	s_or_saveexec_b64 s[6:7], s[6:7]
	v_mov_b32_e32 v3, s10
	s_xor_b64 exec, exec, s[6:7]
	s_cbranch_execz .LBB49_1734
.LBB49_3784:
	v_mov_b32_e32 v3, 0
	v_cmp_ne_u16_sdwa s[8:9], v4, v3 src0_sel:BYTE_0 src1_sel:DWORD
	s_andn2_b64 s[4:5], s[4:5], exec
	s_and_b64 s[8:9], s[8:9], exec
	s_or_b64 s[4:5], s[4:5], s[8:9]
	s_or_b64 exec, exec, s[6:7]
	s_and_saveexec_b64 s[6:7], s[4:5]
	s_cbranch_execnz .LBB49_1735
	s_branch .LBB49_1736
.LBB49_3785:
	s_movk_i32 s4, 0x80
	v_cmp_eq_u16_sdwa s[12:13], v3, s4 src0_sel:BYTE_0 src1_sel:DWORD
	s_mov_b64 s[4:5], -1
                                        ; implicit-def: $sgpr10
	s_and_saveexec_b64 s[8:9], s[12:13]
; %bb.3786:
	s_mov_b32 s10, 0x7f800001
	s_xor_b64 s[4:5], exec, -1
; %bb.3787:
	s_or_b64 exec, exec, s[8:9]
	s_and_b64 s[4:5], s[4:5], exec
	s_or_saveexec_b64 s[6:7], s[6:7]
	v_mov_b32_e32 v2, s10
	s_xor_b64 exec, exec, s[6:7]
	s_cbranch_execz .LBB49_1738
.LBB49_3788:
	v_mov_b32_e32 v2, 0
	v_cmp_ne_u16_sdwa s[8:9], v3, v2 src0_sel:BYTE_0 src1_sel:DWORD
	s_andn2_b64 s[4:5], s[4:5], exec
	s_and_b64 s[8:9], s[8:9], exec
	s_or_b64 s[4:5], s[4:5], s[8:9]
	s_or_b64 exec, exec, s[6:7]
	s_and_saveexec_b64 s[6:7], s[4:5]
	s_cbranch_execnz .LBB49_1739
	s_branch .LBB49_1740
.LBB49_3789:
	s_movk_i32 s4, 0x80
	v_cmp_eq_u16_sdwa s[12:13], v3, s4 src0_sel:BYTE_0 src1_sel:DWORD
	s_mov_b64 s[4:5], -1
                                        ; implicit-def: $sgpr10
	s_and_saveexec_b64 s[8:9], s[12:13]
; %bb.3790:
	s_mov_b32 s10, 0x7f800001
	s_xor_b64 s[4:5], exec, -1
; %bb.3791:
	s_or_b64 exec, exec, s[8:9]
	s_and_b64 s[4:5], s[4:5], exec
	s_or_saveexec_b64 s[6:7], s[6:7]
	v_mov_b32_e32 v6, s10
	s_xor_b64 exec, exec, s[6:7]
	s_cbranch_execz .LBB49_1742
.LBB49_3792:
	v_mov_b32_e32 v6, 0
	v_cmp_ne_u16_sdwa s[8:9], v3, v6 src0_sel:BYTE_0 src1_sel:DWORD
	s_andn2_b64 s[4:5], s[4:5], exec
	s_and_b64 s[8:9], s[8:9], exec
	s_or_b64 s[4:5], s[4:5], s[8:9]
	s_or_b64 exec, exec, s[6:7]
	s_and_saveexec_b64 s[6:7], s[4:5]
	s_cbranch_execnz .LBB49_1743
	s_branch .LBB49_1744
.LBB49_3793:
	s_movk_i32 s4, 0x80
	v_cmp_eq_u16_e32 vcc, s4, v3
	s_mov_b64 s[4:5], -1
                                        ; implicit-def: $sgpr10
	s_and_saveexec_b64 s[8:9], vcc
; %bb.3794:
	s_mov_b32 s10, 0x7f800001
	s_xor_b64 s[4:5], exec, -1
; %bb.3795:
	s_or_b64 exec, exec, s[8:9]
	s_and_b64 s[4:5], s[4:5], exec
                                        ; implicit-def: $vgpr3
	s_or_saveexec_b64 s[6:7], s[6:7]
	v_mov_b32_e32 v2, s10
	s_xor_b64 exec, exec, s[6:7]
	s_cbranch_execz .LBB49_1746
.LBB49_3796:
	v_cmp_ne_u16_e32 vcc, 0, v3
	s_andn2_b64 s[4:5], s[4:5], exec
	s_and_b64 s[8:9], vcc, exec
	v_mov_b32_e32 v2, 0
	s_or_b64 s[4:5], s[4:5], s[8:9]
	s_or_b64 exec, exec, s[6:7]
	s_and_saveexec_b64 s[6:7], s[4:5]
	s_cbranch_execnz .LBB49_1747
	s_branch .LBB49_1748
.LBB49_3797:
	s_movk_i32 s4, 0x80
	v_cmp_eq_u16_e32 vcc, s4, v3
	s_mov_b64 s[4:5], -1
                                        ; implicit-def: $sgpr10
	s_and_saveexec_b64 s[8:9], vcc
; %bb.3798:
	s_mov_b32 s10, 0x7f800001
	s_xor_b64 s[4:5], exec, -1
; %bb.3799:
	s_or_b64 exec, exec, s[8:9]
	s_and_b64 s[4:5], s[4:5], exec
                                        ; implicit-def: $vgpr3
	s_or_saveexec_b64 s[6:7], s[6:7]
	v_mov_b32_e32 v6, s10
	s_xor_b64 exec, exec, s[6:7]
	s_cbranch_execz .LBB49_1750
.LBB49_3800:
	v_cmp_ne_u16_e32 vcc, 0, v3
	s_andn2_b64 s[4:5], s[4:5], exec
	s_and_b64 s[8:9], vcc, exec
	v_mov_b32_e32 v6, 0
	s_or_b64 s[4:5], s[4:5], s[8:9]
	s_or_b64 exec, exec, s[6:7]
	s_and_saveexec_b64 s[6:7], s[4:5]
	s_cbranch_execnz .LBB49_1751
	s_branch .LBB49_1752
.LBB49_3801:
	s_movk_i32 s4, 0x80
	v_cmp_eq_u16_sdwa s[12:13], v8, s4 src0_sel:BYTE_3 src1_sel:DWORD
	s_mov_b64 s[4:5], -1
                                        ; implicit-def: $sgpr10
	s_and_saveexec_b64 s[8:9], s[12:13]
; %bb.3802:
	s_mov_b32 s10, 0x7f800001
	s_xor_b64 s[4:5], exec, -1
; %bb.3803:
	s_or_b64 exec, exec, s[8:9]
	s_and_b64 s[4:5], s[4:5], exec
	s_or_saveexec_b64 s[6:7], s[6:7]
	v_mov_b32_e32 v2, s10
	s_xor_b64 exec, exec, s[6:7]
	s_cbranch_execz .LBB49_1754
.LBB49_3804:
	v_mov_b32_e32 v2, 0
	v_cmp_ne_u16_sdwa s[8:9], v8, v2 src0_sel:BYTE_3 src1_sel:DWORD
	s_andn2_b64 s[4:5], s[4:5], exec
	s_and_b64 s[8:9], s[8:9], exec
	s_or_b64 s[4:5], s[4:5], s[8:9]
	s_or_b64 exec, exec, s[6:7]
	s_and_saveexec_b64 s[6:7], s[4:5]
	s_cbranch_execnz .LBB49_1755
	s_branch .LBB49_1756
.LBB49_3805:
	s_movk_i32 s4, 0x80
	v_cmp_eq_u16_sdwa s[12:13], v4, s4 src0_sel:BYTE_3 src1_sel:DWORD
	s_mov_b64 s[4:5], -1
                                        ; implicit-def: $sgpr10
	s_and_saveexec_b64 s[8:9], s[12:13]
; %bb.3806:
	s_mov_b32 s10, 0x7f800001
	s_xor_b64 s[4:5], exec, -1
; %bb.3807:
	s_or_b64 exec, exec, s[8:9]
	s_and_b64 s[4:5], s[4:5], exec
	s_or_saveexec_b64 s[6:7], s[6:7]
	v_mov_b32_e32 v3, s10
	s_xor_b64 exec, exec, s[6:7]
	s_cbranch_execz .LBB49_1758
.LBB49_3808:
	v_mov_b32_e32 v3, 0
	v_cmp_ne_u16_sdwa s[8:9], v4, v3 src0_sel:BYTE_3 src1_sel:DWORD
	s_andn2_b64 s[4:5], s[4:5], exec
	s_and_b64 s[8:9], s[8:9], exec
	s_or_b64 s[4:5], s[4:5], s[8:9]
	s_or_b64 exec, exec, s[6:7]
	s_and_saveexec_b64 s[6:7], s[4:5]
	s_cbranch_execnz .LBB49_1759
	s_branch .LBB49_1760
.LBB49_3809:
	s_movk_i32 s4, 0x80
	v_cmp_eq_u16_sdwa s[12:13], v9, s4 src0_sel:BYTE_0 src1_sel:DWORD
	s_mov_b64 s[4:5], -1
                                        ; implicit-def: $sgpr10
	s_and_saveexec_b64 s[8:9], s[12:13]
; %bb.3810:
	s_mov_b32 s10, 0x7f800001
	s_xor_b64 s[4:5], exec, -1
; %bb.3811:
	s_or_b64 exec, exec, s[8:9]
	s_and_b64 s[4:5], s[4:5], exec
	s_or_saveexec_b64 s[6:7], s[6:7]
	v_mov_b32_e32 v2, s10
	s_xor_b64 exec, exec, s[6:7]
	s_cbranch_execz .LBB49_1762
.LBB49_3812:
	v_mov_b32_e32 v2, 0
	v_cmp_ne_u16_sdwa s[8:9], v9, v2 src0_sel:BYTE_0 src1_sel:DWORD
	s_andn2_b64 s[4:5], s[4:5], exec
	s_and_b64 s[8:9], s[8:9], exec
	s_or_b64 s[4:5], s[4:5], s[8:9]
	s_or_b64 exec, exec, s[6:7]
	s_and_saveexec_b64 s[6:7], s[4:5]
	s_cbranch_execnz .LBB49_1763
	s_branch .LBB49_1764
.LBB49_3813:
	s_movk_i32 s4, 0x80
	v_cmp_eq_u16_sdwa s[12:13], v5, s4 src0_sel:BYTE_0 src1_sel:DWORD
	s_mov_b64 s[4:5], -1
                                        ; implicit-def: $sgpr10
	s_and_saveexec_b64 s[8:9], s[12:13]
; %bb.3814:
	s_mov_b32 s10, 0x7f800001
	s_xor_b64 s[4:5], exec, -1
; %bb.3815:
	s_or_b64 exec, exec, s[8:9]
	s_and_b64 s[4:5], s[4:5], exec
	s_or_saveexec_b64 s[6:7], s[6:7]
	v_mov_b32_e32 v3, s10
	s_xor_b64 exec, exec, s[6:7]
	s_cbranch_execz .LBB49_1766
.LBB49_3816:
	v_mov_b32_e32 v3, 0
	v_cmp_ne_u16_sdwa s[8:9], v5, v3 src0_sel:BYTE_0 src1_sel:DWORD
	s_andn2_b64 s[4:5], s[4:5], exec
	s_and_b64 s[8:9], s[8:9], exec
	s_or_b64 s[4:5], s[4:5], s[8:9]
	s_or_b64 exec, exec, s[6:7]
	s_and_saveexec_b64 s[6:7], s[4:5]
	s_cbranch_execnz .LBB49_1767
	s_branch .LBB49_1768
.LBB49_3817:
	s_movk_i32 s4, 0x80
	v_cmp_eq_u16_sdwa s[12:13], v3, s4 src0_sel:BYTE_0 src1_sel:DWORD
	s_mov_b64 s[4:5], -1
                                        ; implicit-def: $sgpr10
	s_and_saveexec_b64 s[8:9], s[12:13]
; %bb.3818:
	s_mov_b32 s10, 0x7f800001
	s_xor_b64 s[4:5], exec, -1
; %bb.3819:
	s_or_b64 exec, exec, s[8:9]
	s_and_b64 s[4:5], s[4:5], exec
	s_or_saveexec_b64 s[6:7], s[6:7]
	v_mov_b32_e32 v2, s10
	s_xor_b64 exec, exec, s[6:7]
	s_cbranch_execz .LBB49_1770
.LBB49_3820:
	v_mov_b32_e32 v2, 0
	v_cmp_ne_u16_sdwa s[8:9], v3, v2 src0_sel:BYTE_0 src1_sel:DWORD
	s_andn2_b64 s[4:5], s[4:5], exec
	s_and_b64 s[8:9], s[8:9], exec
	s_or_b64 s[4:5], s[4:5], s[8:9]
	s_or_b64 exec, exec, s[6:7]
	s_and_saveexec_b64 s[6:7], s[4:5]
	s_cbranch_execnz .LBB49_1771
	s_branch .LBB49_1772
.LBB49_3821:
	s_movk_i32 s4, 0x80
	v_cmp_eq_u16_sdwa s[12:13], v3, s4 src0_sel:BYTE_0 src1_sel:DWORD
	s_mov_b64 s[4:5], -1
                                        ; implicit-def: $sgpr10
	s_and_saveexec_b64 s[8:9], s[12:13]
; %bb.3822:
	s_mov_b32 s10, 0x7f800001
	s_xor_b64 s[4:5], exec, -1
; %bb.3823:
	s_or_b64 exec, exec, s[8:9]
	s_and_b64 s[4:5], s[4:5], exec
	s_or_saveexec_b64 s[6:7], s[6:7]
	v_mov_b32_e32 v4, s10
	s_xor_b64 exec, exec, s[6:7]
	s_cbranch_execz .LBB49_1774
.LBB49_3824:
	v_mov_b32_e32 v4, 0
	v_cmp_ne_u16_sdwa s[8:9], v3, v4 src0_sel:BYTE_0 src1_sel:DWORD
	s_andn2_b64 s[4:5], s[4:5], exec
	s_and_b64 s[8:9], s[8:9], exec
	s_or_b64 s[4:5], s[4:5], s[8:9]
	s_or_b64 exec, exec, s[6:7]
	s_and_saveexec_b64 s[6:7], s[4:5]
	s_cbranch_execnz .LBB49_1775
	s_branch .LBB49_1776
.LBB49_3825:
	s_movk_i32 s4, 0x80
	v_cmp_eq_u16_e32 vcc, s4, v3
	s_mov_b64 s[4:5], -1
                                        ; implicit-def: $sgpr10
	s_and_saveexec_b64 s[8:9], vcc
; %bb.3826:
	s_mov_b32 s10, 0x7f800001
	s_xor_b64 s[4:5], exec, -1
; %bb.3827:
	s_or_b64 exec, exec, s[8:9]
	s_and_b64 s[4:5], s[4:5], exec
                                        ; implicit-def: $vgpr3
	s_or_saveexec_b64 s[6:7], s[6:7]
	v_mov_b32_e32 v2, s10
	s_xor_b64 exec, exec, s[6:7]
	s_cbranch_execz .LBB49_1778
.LBB49_3828:
	v_cmp_ne_u16_e32 vcc, 0, v3
	s_andn2_b64 s[4:5], s[4:5], exec
	s_and_b64 s[8:9], vcc, exec
	v_mov_b32_e32 v2, 0
	s_or_b64 s[4:5], s[4:5], s[8:9]
	s_or_b64 exec, exec, s[6:7]
	s_and_saveexec_b64 s[6:7], s[4:5]
	s_cbranch_execnz .LBB49_1779
	s_branch .LBB49_1780
.LBB49_3829:
	s_movk_i32 s4, 0x80
	v_cmp_eq_u16_e32 vcc, s4, v3
	s_mov_b64 s[4:5], -1
                                        ; implicit-def: $sgpr10
	s_and_saveexec_b64 s[8:9], vcc
; %bb.3830:
	s_mov_b32 s10, 0x7f800001
	s_xor_b64 s[4:5], exec, -1
; %bb.3831:
	s_or_b64 exec, exec, s[8:9]
	s_and_b64 s[4:5], s[4:5], exec
                                        ; implicit-def: $vgpr3
	s_or_saveexec_b64 s[6:7], s[6:7]
	v_mov_b32_e32 v4, s10
	s_xor_b64 exec, exec, s[6:7]
	s_cbranch_execz .LBB49_1782
.LBB49_3832:
	v_cmp_ne_u16_e32 vcc, 0, v3
	s_andn2_b64 s[4:5], s[4:5], exec
	s_and_b64 s[8:9], vcc, exec
	v_mov_b32_e32 v4, 0
	s_or_b64 s[4:5], s[4:5], s[8:9]
	s_or_b64 exec, exec, s[6:7]
	s_and_saveexec_b64 s[6:7], s[4:5]
	s_cbranch_execnz .LBB49_1783
	s_branch .LBB49_1784
.LBB49_3833:
	s_movk_i32 s4, 0x80
	v_cmp_eq_u16_sdwa s[12:13], v9, s4 src0_sel:BYTE_3 src1_sel:DWORD
	s_mov_b64 s[4:5], -1
                                        ; implicit-def: $sgpr10
	s_and_saveexec_b64 s[8:9], s[12:13]
; %bb.3834:
	s_mov_b32 s10, 0x7f800001
	s_xor_b64 s[4:5], exec, -1
; %bb.3835:
	s_or_b64 exec, exec, s[8:9]
	s_and_b64 s[4:5], s[4:5], exec
	s_or_saveexec_b64 s[6:7], s[6:7]
	v_mov_b32_e32 v2, s10
	s_xor_b64 exec, exec, s[6:7]
	s_cbranch_execz .LBB49_1786
.LBB49_3836:
	v_mov_b32_e32 v2, 0
	v_cmp_ne_u16_sdwa s[8:9], v9, v2 src0_sel:BYTE_3 src1_sel:DWORD
	s_andn2_b64 s[4:5], s[4:5], exec
	s_and_b64 s[8:9], s[8:9], exec
	s_or_b64 s[4:5], s[4:5], s[8:9]
	s_or_b64 exec, exec, s[6:7]
	s_and_saveexec_b64 s[6:7], s[4:5]
	s_cbranch_execnz .LBB49_1787
	s_branch .LBB49_1788
.LBB49_3837:
	s_movk_i32 s4, 0x80
	v_cmp_eq_u16_sdwa s[12:13], v5, s4 src0_sel:BYTE_3 src1_sel:DWORD
	s_mov_b64 s[4:5], -1
                                        ; implicit-def: $sgpr10
	s_and_saveexec_b64 s[8:9], s[12:13]
; %bb.3838:
	s_mov_b32 s10, 0x7f800001
	s_xor_b64 s[4:5], exec, -1
; %bb.3839:
	s_or_b64 exec, exec, s[8:9]
	s_and_b64 s[4:5], s[4:5], exec
	s_or_saveexec_b64 s[6:7], s[6:7]
	v_mov_b32_e32 v3, s10
	s_xor_b64 exec, exec, s[6:7]
	s_cbranch_execz .LBB49_1790
.LBB49_3840:
	v_mov_b32_e32 v3, 0
	v_cmp_ne_u16_sdwa s[8:9], v5, v3 src0_sel:BYTE_3 src1_sel:DWORD
	s_andn2_b64 s[4:5], s[4:5], exec
	s_and_b64 s[8:9], s[8:9], exec
	s_or_b64 s[4:5], s[4:5], s[8:9]
	s_or_b64 exec, exec, s[6:7]
	s_and_saveexec_b64 s[6:7], s[4:5]
	s_cbranch_execnz .LBB49_1791
	s_branch .LBB49_1792
.LBB49_3841:
	s_movk_i32 s4, 0x80
	v_cmp_eq_u16_sdwa s[12:13], v12, s4 src0_sel:BYTE_0 src1_sel:DWORD
	s_mov_b64 s[4:5], -1
                                        ; implicit-def: $sgpr10
	s_and_saveexec_b64 s[8:9], s[12:13]
; %bb.3842:
	s_mov_b32 s10, 0x7f800001
	s_xor_b64 s[4:5], exec, -1
; %bb.3843:
	s_or_b64 exec, exec, s[8:9]
	s_and_b64 s[4:5], s[4:5], exec
	s_or_saveexec_b64 s[6:7], s[6:7]
	v_mov_b32_e32 v18, s10
	s_xor_b64 exec, exec, s[6:7]
	s_cbranch_execz .LBB49_1794
.LBB49_3844:
	v_mov_b32_e32 v18, 0
	v_cmp_ne_u16_sdwa s[8:9], v12, v18 src0_sel:BYTE_0 src1_sel:DWORD
	s_andn2_b64 s[4:5], s[4:5], exec
	s_and_b64 s[8:9], s[8:9], exec
	s_or_b64 s[4:5], s[4:5], s[8:9]
	s_or_b64 exec, exec, s[6:7]
	s_and_saveexec_b64 s[6:7], s[4:5]
	s_cbranch_execnz .LBB49_1795
	s_branch .LBB49_1796
.LBB49_3845:
	s_movk_i32 s4, 0x80
	v_cmp_eq_u16_sdwa s[12:13], v8, s4 src0_sel:BYTE_0 src1_sel:DWORD
	s_mov_b64 s[4:5], -1
                                        ; implicit-def: $sgpr10
	s_and_saveexec_b64 s[8:9], s[12:13]
; %bb.3846:
	s_mov_b32 s10, 0x7f800001
	s_xor_b64 s[4:5], exec, -1
; %bb.3847:
	s_or_b64 exec, exec, s[8:9]
	s_and_b64 s[4:5], s[4:5], exec
	s_or_saveexec_b64 s[6:7], s[6:7]
	v_mov_b32_e32 v19, s10
	s_xor_b64 exec, exec, s[6:7]
	s_cbranch_execz .LBB49_1798
.LBB49_3848:
	v_mov_b32_e32 v19, 0
	v_cmp_ne_u16_sdwa s[8:9], v8, v19 src0_sel:BYTE_0 src1_sel:DWORD
	s_andn2_b64 s[4:5], s[4:5], exec
	s_and_b64 s[8:9], s[8:9], exec
	s_or_b64 s[4:5], s[4:5], s[8:9]
	s_or_b64 exec, exec, s[6:7]
	s_and_saveexec_b64 s[6:7], s[4:5]
	s_cbranch_execnz .LBB49_1799
	s_branch .LBB49_1800
.LBB49_3849:
	s_movk_i32 s4, 0x80
	v_cmp_eq_u16_sdwa s[12:13], v19, s4 src0_sel:BYTE_0 src1_sel:DWORD
	s_mov_b64 s[4:5], -1
                                        ; implicit-def: $sgpr10
	s_and_saveexec_b64 s[8:9], s[12:13]
; %bb.3850:
	s_mov_b32 s10, 0x7f800001
	s_xor_b64 s[4:5], exec, -1
; %bb.3851:
	s_or_b64 exec, exec, s[8:9]
	s_and_b64 s[4:5], s[4:5], exec
	s_or_saveexec_b64 s[6:7], s[6:7]
	v_mov_b32_e32 v18, s10
	s_xor_b64 exec, exec, s[6:7]
	s_cbranch_execz .LBB49_1802
.LBB49_3852:
	v_mov_b32_e32 v18, 0
	v_cmp_ne_u16_sdwa s[8:9], v19, v18 src0_sel:BYTE_0 src1_sel:DWORD
	s_andn2_b64 s[4:5], s[4:5], exec
	s_and_b64 s[8:9], s[8:9], exec
	s_or_b64 s[4:5], s[4:5], s[8:9]
	s_or_b64 exec, exec, s[6:7]
	s_and_saveexec_b64 s[6:7], s[4:5]
	s_cbranch_execnz .LBB49_1803
	s_branch .LBB49_1804
.LBB49_3853:
	s_movk_i32 s4, 0x80
	v_cmp_eq_u16_sdwa s[12:13], v19, s4 src0_sel:BYTE_0 src1_sel:DWORD
	s_mov_b64 s[4:5], -1
                                        ; implicit-def: $sgpr10
	s_and_saveexec_b64 s[8:9], s[12:13]
; %bb.3854:
	s_mov_b32 s10, 0x7f800001
	s_xor_b64 s[4:5], exec, -1
; %bb.3855:
	s_or_b64 exec, exec, s[8:9]
	s_and_b64 s[4:5], s[4:5], exec
	s_or_saveexec_b64 s[6:7], s[6:7]
	v_mov_b32_e32 v20, s10
	s_xor_b64 exec, exec, s[6:7]
	s_cbranch_execz .LBB49_1806
.LBB49_3856:
	v_mov_b32_e32 v20, 0
	v_cmp_ne_u16_sdwa s[8:9], v19, v20 src0_sel:BYTE_0 src1_sel:DWORD
	s_andn2_b64 s[4:5], s[4:5], exec
	s_and_b64 s[8:9], s[8:9], exec
	s_or_b64 s[4:5], s[4:5], s[8:9]
	s_or_b64 exec, exec, s[6:7]
	s_and_saveexec_b64 s[6:7], s[4:5]
	s_cbranch_execnz .LBB49_1807
	s_branch .LBB49_1808
.LBB49_3857:
	s_movk_i32 s4, 0x80
	v_cmp_eq_u16_e32 vcc, s4, v19
	s_mov_b64 s[4:5], -1
                                        ; implicit-def: $sgpr10
	s_and_saveexec_b64 s[8:9], vcc
; %bb.3858:
	s_mov_b32 s10, 0x7f800001
	s_xor_b64 s[4:5], exec, -1
; %bb.3859:
	s_or_b64 exec, exec, s[8:9]
	s_and_b64 s[4:5], s[4:5], exec
                                        ; implicit-def: $vgpr19
	s_or_saveexec_b64 s[6:7], s[6:7]
	v_mov_b32_e32 v18, s10
	s_xor_b64 exec, exec, s[6:7]
	s_cbranch_execz .LBB49_1810
.LBB49_3860:
	v_cmp_ne_u16_e32 vcc, 0, v19
	s_andn2_b64 s[4:5], s[4:5], exec
	s_and_b64 s[8:9], vcc, exec
	v_mov_b32_e32 v18, 0
	s_or_b64 s[4:5], s[4:5], s[8:9]
	s_or_b64 exec, exec, s[6:7]
	s_and_saveexec_b64 s[6:7], s[4:5]
	s_cbranch_execnz .LBB49_1811
	s_branch .LBB49_1812
.LBB49_3861:
	s_movk_i32 s4, 0x80
	v_cmp_eq_u16_e32 vcc, s4, v19
	s_mov_b64 s[4:5], -1
                                        ; implicit-def: $sgpr10
	s_and_saveexec_b64 s[8:9], vcc
; %bb.3862:
	s_mov_b32 s10, 0x7f800001
	s_xor_b64 s[4:5], exec, -1
; %bb.3863:
	s_or_b64 exec, exec, s[8:9]
	s_and_b64 s[4:5], s[4:5], exec
                                        ; implicit-def: $vgpr19
	s_or_saveexec_b64 s[6:7], s[6:7]
	v_mov_b32_e32 v20, s10
	s_xor_b64 exec, exec, s[6:7]
	s_cbranch_execz .LBB49_1814
.LBB49_3864:
	v_cmp_ne_u16_e32 vcc, 0, v19
	s_andn2_b64 s[4:5], s[4:5], exec
	s_and_b64 s[8:9], vcc, exec
	v_mov_b32_e32 v20, 0
	s_or_b64 s[4:5], s[4:5], s[8:9]
	s_or_b64 exec, exec, s[6:7]
	s_and_saveexec_b64 s[6:7], s[4:5]
	s_cbranch_execnz .LBB49_1815
	s_branch .LBB49_1816
.LBB49_3865:
	s_movk_i32 s4, 0x80
	v_cmp_eq_u16_sdwa s[12:13], v12, s4 src0_sel:BYTE_3 src1_sel:DWORD
	s_mov_b64 s[4:5], -1
                                        ; implicit-def: $sgpr10
	s_and_saveexec_b64 s[8:9], s[12:13]
; %bb.3866:
	s_mov_b32 s10, 0x7f800001
	s_xor_b64 s[4:5], exec, -1
; %bb.3867:
	s_or_b64 exec, exec, s[8:9]
	s_and_b64 s[4:5], s[4:5], exec
	s_or_saveexec_b64 s[6:7], s[6:7]
	v_mov_b32_e32 v18, s10
	s_xor_b64 exec, exec, s[6:7]
	s_cbranch_execz .LBB49_1818
.LBB49_3868:
	v_mov_b32_e32 v18, 0
	v_cmp_ne_u16_sdwa s[8:9], v12, v18 src0_sel:BYTE_3 src1_sel:DWORD
	s_andn2_b64 s[4:5], s[4:5], exec
	s_and_b64 s[8:9], s[8:9], exec
	s_or_b64 s[4:5], s[4:5], s[8:9]
	s_or_b64 exec, exec, s[6:7]
	s_and_saveexec_b64 s[6:7], s[4:5]
	s_cbranch_execnz .LBB49_1819
	s_branch .LBB49_1820
.LBB49_3869:
	s_movk_i32 s4, 0x80
	v_cmp_eq_u16_sdwa s[12:13], v8, s4 src0_sel:BYTE_3 src1_sel:DWORD
	s_mov_b64 s[4:5], -1
                                        ; implicit-def: $sgpr10
	s_and_saveexec_b64 s[8:9], s[12:13]
; %bb.3870:
	s_mov_b32 s10, 0x7f800001
	s_xor_b64 s[4:5], exec, -1
; %bb.3871:
	s_or_b64 exec, exec, s[8:9]
	s_and_b64 s[4:5], s[4:5], exec
	s_or_saveexec_b64 s[6:7], s[6:7]
	v_mov_b32_e32 v12, s10
	s_xor_b64 exec, exec, s[6:7]
	s_cbranch_execz .LBB49_1822
.LBB49_3872:
	v_mov_b32_e32 v12, 0
	v_cmp_ne_u16_sdwa s[8:9], v8, v12 src0_sel:BYTE_3 src1_sel:DWORD
	s_andn2_b64 s[4:5], s[4:5], exec
	s_and_b64 s[8:9], s[8:9], exec
	s_or_b64 s[4:5], s[4:5], s[8:9]
	s_or_b64 exec, exec, s[6:7]
	s_and_saveexec_b64 s[6:7], s[4:5]
	s_cbranch_execnz .LBB49_1823
	s_branch .LBB49_1824
.LBB49_3873:
	s_movk_i32 s4, 0x80
	v_cmp_eq_u16_sdwa s[12:13], v13, s4 src0_sel:BYTE_0 src1_sel:DWORD
	s_mov_b64 s[4:5], -1
                                        ; implicit-def: $sgpr10
	s_and_saveexec_b64 s[8:9], s[12:13]
; %bb.3874:
	s_mov_b32 s10, 0x7f800001
	s_xor_b64 s[4:5], exec, -1
; %bb.3875:
	s_or_b64 exec, exec, s[8:9]
	s_and_b64 s[4:5], s[4:5], exec
	s_or_saveexec_b64 s[6:7], s[6:7]
	v_mov_b32_e32 v8, s10
	s_xor_b64 exec, exec, s[6:7]
	s_cbranch_execz .LBB49_1826
.LBB49_3876:
	v_mov_b32_e32 v8, 0
	v_cmp_ne_u16_sdwa s[8:9], v13, v8 src0_sel:BYTE_0 src1_sel:DWORD
	s_andn2_b64 s[4:5], s[4:5], exec
	s_and_b64 s[8:9], s[8:9], exec
	s_or_b64 s[4:5], s[4:5], s[8:9]
	s_or_b64 exec, exec, s[6:7]
	s_and_saveexec_b64 s[6:7], s[4:5]
	s_cbranch_execnz .LBB49_1827
	s_branch .LBB49_1828
.LBB49_3877:
	s_movk_i32 s4, 0x80
	v_cmp_eq_u16_sdwa s[12:13], v9, s4 src0_sel:BYTE_0 src1_sel:DWORD
	s_mov_b64 s[4:5], -1
                                        ; implicit-def: $sgpr10
	s_and_saveexec_b64 s[8:9], s[12:13]
; %bb.3878:
	s_mov_b32 s10, 0x7f800001
	s_xor_b64 s[4:5], exec, -1
; %bb.3879:
	s_or_b64 exec, exec, s[8:9]
	s_and_b64 s[4:5], s[4:5], exec
	s_or_saveexec_b64 s[6:7], s[6:7]
	v_mov_b32_e32 v12, s10
	s_xor_b64 exec, exec, s[6:7]
	s_cbranch_execz .LBB49_1830
.LBB49_3880:
	v_mov_b32_e32 v12, 0
	v_cmp_ne_u16_sdwa s[8:9], v9, v12 src0_sel:BYTE_0 src1_sel:DWORD
	s_andn2_b64 s[4:5], s[4:5], exec
	s_and_b64 s[8:9], s[8:9], exec
	s_or_b64 s[4:5], s[4:5], s[8:9]
	s_or_b64 exec, exec, s[6:7]
	s_and_saveexec_b64 s[6:7], s[4:5]
	s_cbranch_execnz .LBB49_1831
	s_branch .LBB49_1832
.LBB49_3881:
	s_movk_i32 s4, 0x80
	v_cmp_eq_u16_sdwa s[12:13], v12, s4 src0_sel:BYTE_0 src1_sel:DWORD
	s_mov_b64 s[4:5], -1
                                        ; implicit-def: $sgpr10
	s_and_saveexec_b64 s[8:9], s[12:13]
; %bb.3882:
	s_mov_b32 s10, 0x7f800001
	s_xor_b64 s[4:5], exec, -1
; %bb.3883:
	s_or_b64 exec, exec, s[8:9]
	s_and_b64 s[4:5], s[4:5], exec
	s_or_saveexec_b64 s[6:7], s[6:7]
	v_mov_b32_e32 v8, s10
	s_xor_b64 exec, exec, s[6:7]
	s_cbranch_execz .LBB49_1834
.LBB49_3884:
	v_mov_b32_e32 v8, 0
	v_cmp_ne_u16_sdwa s[8:9], v12, v8 src0_sel:BYTE_0 src1_sel:DWORD
	s_andn2_b64 s[4:5], s[4:5], exec
	s_and_b64 s[8:9], s[8:9], exec
	s_or_b64 s[4:5], s[4:5], s[8:9]
	s_or_b64 exec, exec, s[6:7]
	s_and_saveexec_b64 s[6:7], s[4:5]
	s_cbranch_execnz .LBB49_1835
	s_branch .LBB49_1836
.LBB49_3885:
	s_movk_i32 s4, 0x80
	v_cmp_eq_u16_sdwa s[12:13], v12, s4 src0_sel:BYTE_0 src1_sel:DWORD
	s_mov_b64 s[4:5], -1
                                        ; implicit-def: $sgpr10
	s_and_saveexec_b64 s[8:9], s[12:13]
; %bb.3886:
	s_mov_b32 s10, 0x7f800001
	s_xor_b64 s[4:5], exec, -1
; %bb.3887:
	s_or_b64 exec, exec, s[8:9]
	s_and_b64 s[4:5], s[4:5], exec
	s_or_saveexec_b64 s[6:7], s[6:7]
	v_mov_b32_e32 v18, s10
	s_xor_b64 exec, exec, s[6:7]
	s_cbranch_execz .LBB49_1838
.LBB49_3888:
	v_mov_b32_e32 v18, 0
	v_cmp_ne_u16_sdwa s[8:9], v12, v18 src0_sel:BYTE_0 src1_sel:DWORD
	s_andn2_b64 s[4:5], s[4:5], exec
	s_and_b64 s[8:9], s[8:9], exec
	s_or_b64 s[4:5], s[4:5], s[8:9]
	s_or_b64 exec, exec, s[6:7]
	s_and_saveexec_b64 s[6:7], s[4:5]
	s_cbranch_execnz .LBB49_1839
	s_branch .LBB49_1840
.LBB49_3889:
	s_movk_i32 s4, 0x80
	v_cmp_eq_u16_e32 vcc, s4, v12
	s_mov_b64 s[4:5], -1
                                        ; implicit-def: $sgpr10
	s_and_saveexec_b64 s[8:9], vcc
; %bb.3890:
	s_mov_b32 s10, 0x7f800001
	s_xor_b64 s[4:5], exec, -1
; %bb.3891:
	s_or_b64 exec, exec, s[8:9]
	s_and_b64 s[4:5], s[4:5], exec
                                        ; implicit-def: $vgpr12
	s_or_saveexec_b64 s[6:7], s[6:7]
	v_mov_b32_e32 v8, s10
	s_xor_b64 exec, exec, s[6:7]
	s_cbranch_execz .LBB49_1842
.LBB49_3892:
	v_cmp_ne_u16_e32 vcc, 0, v12
	s_andn2_b64 s[4:5], s[4:5], exec
	s_and_b64 s[8:9], vcc, exec
	v_mov_b32_e32 v8, 0
	s_or_b64 s[4:5], s[4:5], s[8:9]
	s_or_b64 exec, exec, s[6:7]
	s_and_saveexec_b64 s[6:7], s[4:5]
	s_cbranch_execnz .LBB49_1843
	s_branch .LBB49_1844
.LBB49_3893:
	s_movk_i32 s4, 0x80
	v_cmp_eq_u16_e32 vcc, s4, v12
	s_mov_b64 s[4:5], -1
                                        ; implicit-def: $sgpr10
	s_and_saveexec_b64 s[8:9], vcc
; %bb.3894:
	s_mov_b32 s10, 0x7f800001
	s_xor_b64 s[4:5], exec, -1
; %bb.3895:
	s_or_b64 exec, exec, s[8:9]
	s_and_b64 s[4:5], s[4:5], exec
                                        ; implicit-def: $vgpr12
	s_or_saveexec_b64 s[6:7], s[6:7]
	v_mov_b32_e32 v18, s10
	s_xor_b64 exec, exec, s[6:7]
	s_cbranch_execz .LBB49_1846
.LBB49_3896:
	v_cmp_ne_u16_e32 vcc, 0, v12
	s_andn2_b64 s[4:5], s[4:5], exec
	s_and_b64 s[8:9], vcc, exec
	v_mov_b32_e32 v18, 0
	s_or_b64 s[4:5], s[4:5], s[8:9]
	s_or_b64 exec, exec, s[6:7]
	s_and_saveexec_b64 s[6:7], s[4:5]
	s_cbranch_execnz .LBB49_1847
	s_branch .LBB49_1848
.LBB49_3897:
	s_movk_i32 s4, 0x80
	v_cmp_eq_u16_sdwa s[12:13], v13, s4 src0_sel:BYTE_3 src1_sel:DWORD
	s_mov_b64 s[4:5], -1
                                        ; implicit-def: $sgpr10
	s_and_saveexec_b64 s[8:9], s[12:13]
; %bb.3898:
	s_mov_b32 s10, 0x7f800001
	s_xor_b64 s[4:5], exec, -1
; %bb.3899:
	s_or_b64 exec, exec, s[8:9]
	s_and_b64 s[4:5], s[4:5], exec
	s_or_saveexec_b64 s[6:7], s[6:7]
	v_mov_b32_e32 v8, s10
	s_xor_b64 exec, exec, s[6:7]
	s_cbranch_execz .LBB49_1850
.LBB49_3900:
	v_mov_b32_e32 v8, 0
	v_cmp_ne_u16_sdwa s[8:9], v13, v8 src0_sel:BYTE_3 src1_sel:DWORD
	s_andn2_b64 s[4:5], s[4:5], exec
	s_and_b64 s[8:9], s[8:9], exec
	s_or_b64 s[4:5], s[4:5], s[8:9]
	s_or_b64 exec, exec, s[6:7]
	s_and_saveexec_b64 s[6:7], s[4:5]
	s_cbranch_execnz .LBB49_1851
	s_branch .LBB49_1852
.LBB49_3901:
	s_movk_i32 s4, 0x80
	v_cmp_eq_u16_sdwa s[12:13], v9, s4 src0_sel:BYTE_3 src1_sel:DWORD
	s_mov_b64 s[4:5], -1
                                        ; implicit-def: $sgpr10
	s_and_saveexec_b64 s[8:9], s[12:13]
; %bb.3902:
	s_mov_b32 s10, 0x7f800001
	s_xor_b64 s[4:5], exec, -1
; %bb.3903:
	s_or_b64 exec, exec, s[8:9]
	s_and_b64 s[4:5], s[4:5], exec
	s_or_saveexec_b64 s[6:7], s[6:7]
	v_mov_b32_e32 v12, s10
	s_xor_b64 exec, exec, s[6:7]
	s_cbranch_execz .LBB49_1854
.LBB49_3904:
	v_mov_b32_e32 v12, 0
	v_cmp_ne_u16_sdwa s[8:9], v9, v12 src0_sel:BYTE_3 src1_sel:DWORD
	s_andn2_b64 s[4:5], s[4:5], exec
	s_and_b64 s[8:9], s[8:9], exec
	s_or_b64 s[4:5], s[4:5], s[8:9]
	s_or_b64 exec, exec, s[6:7]
	s_and_saveexec_b64 s[6:7], s[4:5]
	s_cbranch_execnz .LBB49_1855
	s_branch .LBB49_1856
.LBB49_3905:
	s_movk_i32 s4, 0x80
	v_cmp_eq_u16_sdwa s[12:13], v14, s4 src0_sel:BYTE_0 src1_sel:DWORD
	s_mov_b64 s[4:5], -1
                                        ; implicit-def: $sgpr10
	s_and_saveexec_b64 s[8:9], s[12:13]
; %bb.3906:
	s_mov_b32 s10, 0x7f800001
	s_xor_b64 s[4:5], exec, -1
; %bb.3907:
	s_or_b64 exec, exec, s[8:9]
	s_and_b64 s[4:5], s[4:5], exec
	s_or_saveexec_b64 s[6:7], s[6:7]
	v_mov_b32_e32 v8, s10
	s_xor_b64 exec, exec, s[6:7]
	s_cbranch_execz .LBB49_1858
.LBB49_3908:
	v_mov_b32_e32 v8, 0
	v_cmp_ne_u16_sdwa s[8:9], v14, v8 src0_sel:BYTE_0 src1_sel:DWORD
	s_andn2_b64 s[4:5], s[4:5], exec
	s_and_b64 s[8:9], s[8:9], exec
	s_or_b64 s[4:5], s[4:5], s[8:9]
	s_or_b64 exec, exec, s[6:7]
	s_and_saveexec_b64 s[6:7], s[4:5]
	s_cbranch_execnz .LBB49_1859
	s_branch .LBB49_1860
.LBB49_3909:
	s_movk_i32 s4, 0x80
	v_cmp_eq_u16_sdwa s[12:13], v10, s4 src0_sel:BYTE_0 src1_sel:DWORD
	s_mov_b64 s[4:5], -1
                                        ; implicit-def: $sgpr10
	s_and_saveexec_b64 s[8:9], s[12:13]
; %bb.3910:
	s_mov_b32 s10, 0x7f800001
	s_xor_b64 s[4:5], exec, -1
; %bb.3911:
	s_or_b64 exec, exec, s[8:9]
	s_and_b64 s[4:5], s[4:5], exec
	s_or_saveexec_b64 s[6:7], s[6:7]
	v_mov_b32_e32 v9, s10
	s_xor_b64 exec, exec, s[6:7]
	s_cbranch_execz .LBB49_1862
.LBB49_3912:
	v_mov_b32_e32 v9, 0
	v_cmp_ne_u16_sdwa s[8:9], v10, v9 src0_sel:BYTE_0 src1_sel:DWORD
	s_andn2_b64 s[4:5], s[4:5], exec
	s_and_b64 s[8:9], s[8:9], exec
	s_or_b64 s[4:5], s[4:5], s[8:9]
	s_or_b64 exec, exec, s[6:7]
	s_and_saveexec_b64 s[6:7], s[4:5]
	s_cbranch_execnz .LBB49_1863
	s_branch .LBB49_1864
.LBB49_3913:
	s_movk_i32 s4, 0x80
	v_cmp_eq_u16_sdwa s[12:13], v9, s4 src0_sel:BYTE_0 src1_sel:DWORD
	s_mov_b64 s[4:5], -1
                                        ; implicit-def: $sgpr10
	s_and_saveexec_b64 s[8:9], s[12:13]
; %bb.3914:
	s_mov_b32 s10, 0x7f800001
	s_xor_b64 s[4:5], exec, -1
; %bb.3915:
	s_or_b64 exec, exec, s[8:9]
	s_and_b64 s[4:5], s[4:5], exec
	s_or_saveexec_b64 s[6:7], s[6:7]
	v_mov_b32_e32 v8, s10
	s_xor_b64 exec, exec, s[6:7]
	s_cbranch_execz .LBB49_1866
.LBB49_3916:
	v_mov_b32_e32 v8, 0
	v_cmp_ne_u16_sdwa s[8:9], v9, v8 src0_sel:BYTE_0 src1_sel:DWORD
	s_andn2_b64 s[4:5], s[4:5], exec
	s_and_b64 s[8:9], s[8:9], exec
	s_or_b64 s[4:5], s[4:5], s[8:9]
	s_or_b64 exec, exec, s[6:7]
	s_and_saveexec_b64 s[6:7], s[4:5]
	s_cbranch_execnz .LBB49_1867
	s_branch .LBB49_1868
.LBB49_3917:
	s_movk_i32 s4, 0x80
	v_cmp_eq_u16_sdwa s[12:13], v9, s4 src0_sel:BYTE_0 src1_sel:DWORD
	s_mov_b64 s[4:5], -1
                                        ; implicit-def: $sgpr10
	s_and_saveexec_b64 s[8:9], s[12:13]
; %bb.3918:
	s_mov_b32 s10, 0x7f800001
	s_xor_b64 s[4:5], exec, -1
; %bb.3919:
	s_or_b64 exec, exec, s[8:9]
	s_and_b64 s[4:5], s[4:5], exec
	s_or_saveexec_b64 s[6:7], s[6:7]
	v_mov_b32_e32 v12, s10
	s_xor_b64 exec, exec, s[6:7]
	s_cbranch_execz .LBB49_1870
.LBB49_3920:
	v_mov_b32_e32 v12, 0
	v_cmp_ne_u16_sdwa s[8:9], v9, v12 src0_sel:BYTE_0 src1_sel:DWORD
	s_andn2_b64 s[4:5], s[4:5], exec
	s_and_b64 s[8:9], s[8:9], exec
	s_or_b64 s[4:5], s[4:5], s[8:9]
	s_or_b64 exec, exec, s[6:7]
	s_and_saveexec_b64 s[6:7], s[4:5]
	s_cbranch_execnz .LBB49_1871
	s_branch .LBB49_1872
.LBB49_3921:
	s_movk_i32 s4, 0x80
	v_cmp_eq_u16_e32 vcc, s4, v9
	s_mov_b64 s[4:5], -1
                                        ; implicit-def: $sgpr10
	s_and_saveexec_b64 s[8:9], vcc
; %bb.3922:
	s_mov_b32 s10, 0x7f800001
	s_xor_b64 s[4:5], exec, -1
; %bb.3923:
	s_or_b64 exec, exec, s[8:9]
	s_and_b64 s[4:5], s[4:5], exec
                                        ; implicit-def: $vgpr9
	s_or_saveexec_b64 s[6:7], s[6:7]
	v_mov_b32_e32 v8, s10
	s_xor_b64 exec, exec, s[6:7]
	s_cbranch_execz .LBB49_1874
.LBB49_3924:
	v_cmp_ne_u16_e32 vcc, 0, v9
	s_andn2_b64 s[4:5], s[4:5], exec
	s_and_b64 s[8:9], vcc, exec
	v_mov_b32_e32 v8, 0
	s_or_b64 s[4:5], s[4:5], s[8:9]
	s_or_b64 exec, exec, s[6:7]
	s_and_saveexec_b64 s[6:7], s[4:5]
	s_cbranch_execnz .LBB49_1875
	s_branch .LBB49_1876
.LBB49_3925:
	s_movk_i32 s4, 0x80
	v_cmp_eq_u16_e32 vcc, s4, v9
	s_mov_b64 s[4:5], -1
                                        ; implicit-def: $sgpr10
	s_and_saveexec_b64 s[8:9], vcc
; %bb.3926:
	s_mov_b32 s10, 0x7f800001
	s_xor_b64 s[4:5], exec, -1
; %bb.3927:
	s_or_b64 exec, exec, s[8:9]
	s_and_b64 s[4:5], s[4:5], exec
                                        ; implicit-def: $vgpr9
	s_or_saveexec_b64 s[6:7], s[6:7]
	v_mov_b32_e32 v12, s10
	s_xor_b64 exec, exec, s[6:7]
	s_cbranch_execz .LBB49_1878
.LBB49_3928:
	v_cmp_ne_u16_e32 vcc, 0, v9
	s_andn2_b64 s[4:5], s[4:5], exec
	s_and_b64 s[8:9], vcc, exec
	v_mov_b32_e32 v12, 0
	s_or_b64 s[4:5], s[4:5], s[8:9]
	s_or_b64 exec, exec, s[6:7]
	s_and_saveexec_b64 s[6:7], s[4:5]
	s_cbranch_execnz .LBB49_1879
	s_branch .LBB49_1880
.LBB49_3929:
	s_movk_i32 s4, 0x80
	v_cmp_eq_u16_sdwa s[12:13], v14, s4 src0_sel:BYTE_3 src1_sel:DWORD
	s_mov_b64 s[4:5], -1
                                        ; implicit-def: $sgpr10
	s_and_saveexec_b64 s[8:9], s[12:13]
; %bb.3930:
	s_mov_b32 s10, 0x7f800001
	s_xor_b64 s[4:5], exec, -1
; %bb.3931:
	s_or_b64 exec, exec, s[8:9]
	s_and_b64 s[4:5], s[4:5], exec
	s_or_saveexec_b64 s[6:7], s[6:7]
	v_mov_b32_e32 v8, s10
	s_xor_b64 exec, exec, s[6:7]
	s_cbranch_execz .LBB49_1882
.LBB49_3932:
	v_mov_b32_e32 v8, 0
	v_cmp_ne_u16_sdwa s[8:9], v14, v8 src0_sel:BYTE_3 src1_sel:DWORD
	s_andn2_b64 s[4:5], s[4:5], exec
	s_and_b64 s[8:9], s[8:9], exec
	s_or_b64 s[4:5], s[4:5], s[8:9]
	s_or_b64 exec, exec, s[6:7]
	s_and_saveexec_b64 s[6:7], s[4:5]
	s_cbranch_execnz .LBB49_1883
	s_branch .LBB49_1884
.LBB49_3933:
	s_movk_i32 s4, 0x80
	v_cmp_eq_u16_sdwa s[12:13], v10, s4 src0_sel:BYTE_3 src1_sel:DWORD
	s_mov_b64 s[4:5], -1
                                        ; implicit-def: $sgpr10
	s_and_saveexec_b64 s[8:9], s[12:13]
; %bb.3934:
	s_mov_b32 s10, 0x7f800001
	s_xor_b64 s[4:5], exec, -1
; %bb.3935:
	s_or_b64 exec, exec, s[8:9]
	s_and_b64 s[4:5], s[4:5], exec
	s_or_saveexec_b64 s[6:7], s[6:7]
	v_mov_b32_e32 v9, s10
	s_xor_b64 exec, exec, s[6:7]
	s_cbranch_execz .LBB49_1886
.LBB49_3936:
	v_mov_b32_e32 v9, 0
	v_cmp_ne_u16_sdwa s[8:9], v10, v9 src0_sel:BYTE_3 src1_sel:DWORD
	s_andn2_b64 s[4:5], s[4:5], exec
	s_and_b64 s[8:9], s[8:9], exec
	s_or_b64 s[4:5], s[4:5], s[8:9]
	s_or_b64 exec, exec, s[6:7]
	s_and_saveexec_b64 s[6:7], s[4:5]
	s_cbranch_execnz .LBB49_1887
	s_branch .LBB49_1888
.LBB49_3937:
	s_movk_i32 s4, 0x80
	v_cmp_eq_u16_sdwa s[12:13], v15, s4 src0_sel:BYTE_0 src1_sel:DWORD
	s_mov_b64 s[4:5], -1
                                        ; implicit-def: $sgpr10
	s_and_saveexec_b64 s[8:9], s[12:13]
; %bb.3938:
	s_mov_b32 s10, 0x7f800001
	s_xor_b64 s[4:5], exec, -1
; %bb.3939:
	s_or_b64 exec, exec, s[8:9]
	s_and_b64 s[4:5], s[4:5], exec
	s_or_saveexec_b64 s[6:7], s[6:7]
	v_mov_b32_e32 v8, s10
	s_xor_b64 exec, exec, s[6:7]
	s_cbranch_execz .LBB49_1890
.LBB49_3940:
	v_mov_b32_e32 v8, 0
	v_cmp_ne_u16_sdwa s[8:9], v15, v8 src0_sel:BYTE_0 src1_sel:DWORD
	s_andn2_b64 s[4:5], s[4:5], exec
	s_and_b64 s[8:9], s[8:9], exec
	s_or_b64 s[4:5], s[4:5], s[8:9]
	s_or_b64 exec, exec, s[6:7]
	s_and_saveexec_b64 s[6:7], s[4:5]
	s_cbranch_execnz .LBB49_1891
	s_branch .LBB49_1892
.LBB49_3941:
	s_movk_i32 s4, 0x80
	v_cmp_eq_u16_sdwa s[12:13], v11, s4 src0_sel:BYTE_0 src1_sel:DWORD
	s_mov_b64 s[4:5], -1
                                        ; implicit-def: $sgpr10
	s_and_saveexec_b64 s[8:9], s[12:13]
; %bb.3942:
	s_mov_b32 s10, 0x7f800001
	s_xor_b64 s[4:5], exec, -1
; %bb.3943:
	s_or_b64 exec, exec, s[8:9]
	s_and_b64 s[4:5], s[4:5], exec
	s_or_saveexec_b64 s[6:7], s[6:7]
	v_mov_b32_e32 v9, s10
	s_xor_b64 exec, exec, s[6:7]
	s_cbranch_execz .LBB49_1894
.LBB49_3944:
	v_mov_b32_e32 v9, 0
	v_cmp_ne_u16_sdwa s[8:9], v11, v9 src0_sel:BYTE_0 src1_sel:DWORD
	s_andn2_b64 s[4:5], s[4:5], exec
	s_and_b64 s[8:9], s[8:9], exec
	s_or_b64 s[4:5], s[4:5], s[8:9]
	s_or_b64 exec, exec, s[6:7]
	s_and_saveexec_b64 s[6:7], s[4:5]
	s_cbranch_execnz .LBB49_1895
	s_branch .LBB49_1896
.LBB49_3945:
	s_movk_i32 s4, 0x80
	v_cmp_eq_u16_sdwa s[12:13], v9, s4 src0_sel:BYTE_0 src1_sel:DWORD
	s_mov_b64 s[4:5], -1
                                        ; implicit-def: $sgpr10
	s_and_saveexec_b64 s[8:9], s[12:13]
; %bb.3946:
	s_mov_b32 s10, 0x7f800001
	s_xor_b64 s[4:5], exec, -1
; %bb.3947:
	s_or_b64 exec, exec, s[8:9]
	s_and_b64 s[4:5], s[4:5], exec
	s_or_saveexec_b64 s[6:7], s[6:7]
	v_mov_b32_e32 v8, s10
	s_xor_b64 exec, exec, s[6:7]
	s_cbranch_execz .LBB49_1898
.LBB49_3948:
	v_mov_b32_e32 v8, 0
	v_cmp_ne_u16_sdwa s[8:9], v9, v8 src0_sel:BYTE_0 src1_sel:DWORD
	s_andn2_b64 s[4:5], s[4:5], exec
	s_and_b64 s[8:9], s[8:9], exec
	s_or_b64 s[4:5], s[4:5], s[8:9]
	s_or_b64 exec, exec, s[6:7]
	s_and_saveexec_b64 s[6:7], s[4:5]
	s_cbranch_execnz .LBB49_1899
	s_branch .LBB49_1900
.LBB49_3949:
	s_movk_i32 s4, 0x80
	v_cmp_eq_u16_sdwa s[12:13], v9, s4 src0_sel:BYTE_0 src1_sel:DWORD
	s_mov_b64 s[4:5], -1
                                        ; implicit-def: $sgpr10
	s_and_saveexec_b64 s[8:9], s[12:13]
; %bb.3950:
	s_mov_b32 s10, 0x7f800001
	s_xor_b64 s[4:5], exec, -1
; %bb.3951:
	s_or_b64 exec, exec, s[8:9]
	s_and_b64 s[4:5], s[4:5], exec
	s_or_saveexec_b64 s[6:7], s[6:7]
	v_mov_b32_e32 v10, s10
	s_xor_b64 exec, exec, s[6:7]
	s_cbranch_execz .LBB49_1902
.LBB49_3952:
	v_mov_b32_e32 v10, 0
	v_cmp_ne_u16_sdwa s[8:9], v9, v10 src0_sel:BYTE_0 src1_sel:DWORD
	s_andn2_b64 s[4:5], s[4:5], exec
	s_and_b64 s[8:9], s[8:9], exec
	s_or_b64 s[4:5], s[4:5], s[8:9]
	s_or_b64 exec, exec, s[6:7]
	s_and_saveexec_b64 s[6:7], s[4:5]
	s_cbranch_execnz .LBB49_1903
	s_branch .LBB49_1904
.LBB49_3953:
	s_movk_i32 s4, 0x80
	v_cmp_eq_u16_e32 vcc, s4, v9
	s_mov_b64 s[4:5], -1
                                        ; implicit-def: $sgpr10
	s_and_saveexec_b64 s[8:9], vcc
; %bb.3954:
	s_mov_b32 s10, 0x7f800001
	s_xor_b64 s[4:5], exec, -1
; %bb.3955:
	s_or_b64 exec, exec, s[8:9]
	s_and_b64 s[4:5], s[4:5], exec
                                        ; implicit-def: $vgpr9
	s_or_saveexec_b64 s[6:7], s[6:7]
	v_mov_b32_e32 v8, s10
	s_xor_b64 exec, exec, s[6:7]
	s_cbranch_execz .LBB49_1906
.LBB49_3956:
	v_cmp_ne_u16_e32 vcc, 0, v9
	s_andn2_b64 s[4:5], s[4:5], exec
	s_and_b64 s[8:9], vcc, exec
	v_mov_b32_e32 v8, 0
	s_or_b64 s[4:5], s[4:5], s[8:9]
	s_or_b64 exec, exec, s[6:7]
	s_and_saveexec_b64 s[6:7], s[4:5]
	s_cbranch_execnz .LBB49_1907
	s_branch .LBB49_1908
.LBB49_3957:
	s_movk_i32 s4, 0x80
	v_cmp_eq_u16_e32 vcc, s4, v9
	s_mov_b64 s[4:5], -1
                                        ; implicit-def: $sgpr10
	s_and_saveexec_b64 s[8:9], vcc
; %bb.3958:
	s_mov_b32 s10, 0x7f800001
	s_xor_b64 s[4:5], exec, -1
; %bb.3959:
	s_or_b64 exec, exec, s[8:9]
	s_and_b64 s[4:5], s[4:5], exec
                                        ; implicit-def: $vgpr9
	s_or_saveexec_b64 s[6:7], s[6:7]
	v_mov_b32_e32 v10, s10
	s_xor_b64 exec, exec, s[6:7]
	s_cbranch_execz .LBB49_1910
.LBB49_3960:
	v_cmp_ne_u16_e32 vcc, 0, v9
	s_andn2_b64 s[4:5], s[4:5], exec
	s_and_b64 s[8:9], vcc, exec
	v_mov_b32_e32 v10, 0
	s_or_b64 s[4:5], s[4:5], s[8:9]
	s_or_b64 exec, exec, s[6:7]
	s_and_saveexec_b64 s[6:7], s[4:5]
	s_cbranch_execnz .LBB49_1911
	s_branch .LBB49_1912
.LBB49_3961:
	s_movk_i32 s4, 0x80
	v_cmp_eq_u16_sdwa s[12:13], v15, s4 src0_sel:BYTE_3 src1_sel:DWORD
	s_mov_b64 s[4:5], -1
                                        ; implicit-def: $sgpr10
	s_and_saveexec_b64 s[8:9], s[12:13]
; %bb.3962:
	s_mov_b32 s10, 0x7f800001
	s_xor_b64 s[4:5], exec, -1
; %bb.3963:
	s_or_b64 exec, exec, s[8:9]
	s_and_b64 s[4:5], s[4:5], exec
	s_or_saveexec_b64 s[6:7], s[6:7]
	v_mov_b32_e32 v8, s10
	s_xor_b64 exec, exec, s[6:7]
	s_cbranch_execz .LBB49_1914
.LBB49_3964:
	v_mov_b32_e32 v8, 0
	v_cmp_ne_u16_sdwa s[8:9], v15, v8 src0_sel:BYTE_3 src1_sel:DWORD
	s_andn2_b64 s[4:5], s[4:5], exec
	s_and_b64 s[8:9], s[8:9], exec
	s_or_b64 s[4:5], s[4:5], s[8:9]
	s_or_b64 exec, exec, s[6:7]
	s_and_saveexec_b64 s[6:7], s[4:5]
	s_cbranch_execnz .LBB49_1915
	s_branch .LBB49_1916
.LBB49_3965:
	s_movk_i32 s4, 0x80
	v_cmp_eq_u16_sdwa s[12:13], v11, s4 src0_sel:BYTE_3 src1_sel:DWORD
	s_mov_b64 s[4:5], -1
                                        ; implicit-def: $sgpr10
	s_and_saveexec_b64 s[8:9], s[12:13]
; %bb.3966:
	s_mov_b32 s10, 0x7f800001
	s_xor_b64 s[4:5], exec, -1
; %bb.3967:
	s_or_b64 exec, exec, s[8:9]
	s_and_b64 s[4:5], s[4:5], exec
	s_or_saveexec_b64 s[6:7], s[6:7]
	v_mov_b32_e32 v9, s10
	s_xor_b64 exec, exec, s[6:7]
	s_cbranch_execz .LBB49_1918
.LBB49_3968:
	v_mov_b32_e32 v9, 0
	v_cmp_ne_u16_sdwa s[8:9], v11, v9 src0_sel:BYTE_3 src1_sel:DWORD
	s_andn2_b64 s[4:5], s[4:5], exec
	s_and_b64 s[8:9], s[8:9], exec
	s_or_b64 s[4:5], s[4:5], s[8:9]
	s_or_b64 exec, exec, s[6:7]
	s_and_saveexec_b64 s[6:7], s[4:5]
	s_cbranch_execnz .LBB49_1919
	s_branch .LBB49_1920
.LBB49_3969:
	s_movk_i32 s4, 0x80
	v_cmp_eq_u16_sdwa s[12:13], v4, s4 src0_sel:BYTE_0 src1_sel:DWORD
	s_mov_b64 s[4:5], -1
                                        ; implicit-def: $sgpr10
	s_and_saveexec_b64 s[8:9], s[12:13]
; %bb.3970:
	s_mov_b32 s10, 0x7f800001
	s_xor_b64 s[4:5], exec, -1
; %bb.3971:
	s_or_b64 exec, exec, s[8:9]
	s_and_b64 s[4:5], s[4:5], exec
	s_or_saveexec_b64 s[6:7], s[6:7]
	v_mov_b32_e32 v8, s10
	s_xor_b64 exec, exec, s[6:7]
	s_cbranch_execz .LBB49_1922
.LBB49_3972:
	v_mov_b32_e32 v8, 0
	v_cmp_ne_u16_sdwa s[8:9], v4, v8 src0_sel:BYTE_0 src1_sel:DWORD
	s_andn2_b64 s[4:5], s[4:5], exec
	s_and_b64 s[8:9], s[8:9], exec
	s_or_b64 s[4:5], s[4:5], s[8:9]
	s_or_b64 exec, exec, s[6:7]
	s_and_saveexec_b64 s[6:7], s[4:5]
	s_cbranch_execnz .LBB49_1923
	s_branch .LBB49_1924
.LBB49_3973:
	s_movk_i32 s4, 0x80
	v_cmp_eq_u16_sdwa s[12:13], v0, s4 src0_sel:BYTE_0 src1_sel:DWORD
	s_mov_b64 s[4:5], -1
                                        ; implicit-def: $sgpr10
	s_and_saveexec_b64 s[8:9], s[12:13]
; %bb.3974:
	s_mov_b32 s10, 0x7f800001
	s_xor_b64 s[4:5], exec, -1
; %bb.3975:
	s_or_b64 exec, exec, s[8:9]
	s_and_b64 s[4:5], s[4:5], exec
	s_or_saveexec_b64 s[6:7], s[6:7]
	v_mov_b32_e32 v9, s10
	s_xor_b64 exec, exec, s[6:7]
	s_cbranch_execz .LBB49_1926
.LBB49_3976:
	v_mov_b32_e32 v9, 0
	v_cmp_ne_u16_sdwa s[8:9], v0, v9 src0_sel:BYTE_0 src1_sel:DWORD
	s_andn2_b64 s[4:5], s[4:5], exec
	s_and_b64 s[8:9], s[8:9], exec
	s_or_b64 s[4:5], s[4:5], s[8:9]
	s_or_b64 exec, exec, s[6:7]
	s_and_saveexec_b64 s[6:7], s[4:5]
	s_cbranch_execnz .LBB49_1927
	s_branch .LBB49_1928
.LBB49_3977:
	s_movk_i32 s4, 0x80
	v_cmp_eq_u16_sdwa s[12:13], v9, s4 src0_sel:BYTE_0 src1_sel:DWORD
	s_mov_b64 s[4:5], -1
                                        ; implicit-def: $sgpr10
	s_and_saveexec_b64 s[8:9], s[12:13]
; %bb.3978:
	s_mov_b32 s10, 0x7f800001
	s_xor_b64 s[4:5], exec, -1
; %bb.3979:
	s_or_b64 exec, exec, s[8:9]
	s_and_b64 s[4:5], s[4:5], exec
	s_or_saveexec_b64 s[6:7], s[6:7]
	v_mov_b32_e32 v8, s10
	s_xor_b64 exec, exec, s[6:7]
	s_cbranch_execz .LBB49_1930
.LBB49_3980:
	v_mov_b32_e32 v8, 0
	v_cmp_ne_u16_sdwa s[8:9], v9, v8 src0_sel:BYTE_0 src1_sel:DWORD
	s_andn2_b64 s[4:5], s[4:5], exec
	s_and_b64 s[8:9], s[8:9], exec
	s_or_b64 s[4:5], s[4:5], s[8:9]
	s_or_b64 exec, exec, s[6:7]
	s_and_saveexec_b64 s[6:7], s[4:5]
	s_cbranch_execnz .LBB49_1931
	s_branch .LBB49_1932
.LBB49_3981:
	s_movk_i32 s4, 0x80
	v_cmp_eq_u16_sdwa s[12:13], v9, s4 src0_sel:BYTE_0 src1_sel:DWORD
	s_mov_b64 s[4:5], -1
                                        ; implicit-def: $sgpr10
	s_and_saveexec_b64 s[8:9], s[12:13]
; %bb.3982:
	s_mov_b32 s10, 0x7f800001
	s_xor_b64 s[4:5], exec, -1
; %bb.3983:
	s_or_b64 exec, exec, s[8:9]
	s_and_b64 s[4:5], s[4:5], exec
	s_or_saveexec_b64 s[6:7], s[6:7]
	v_mov_b32_e32 v10, s10
	s_xor_b64 exec, exec, s[6:7]
	s_cbranch_execz .LBB49_1934
.LBB49_3984:
	v_mov_b32_e32 v10, 0
	v_cmp_ne_u16_sdwa s[8:9], v9, v10 src0_sel:BYTE_0 src1_sel:DWORD
	s_andn2_b64 s[4:5], s[4:5], exec
	s_and_b64 s[8:9], s[8:9], exec
	s_or_b64 s[4:5], s[4:5], s[8:9]
	s_or_b64 exec, exec, s[6:7]
	s_and_saveexec_b64 s[6:7], s[4:5]
	s_cbranch_execnz .LBB49_1935
	s_branch .LBB49_1936
.LBB49_3985:
	s_movk_i32 s4, 0x80
	v_cmp_eq_u16_e32 vcc, s4, v9
	s_mov_b64 s[4:5], -1
                                        ; implicit-def: $sgpr10
	s_and_saveexec_b64 s[8:9], vcc
; %bb.3986:
	s_mov_b32 s10, 0x7f800001
	s_xor_b64 s[4:5], exec, -1
; %bb.3987:
	s_or_b64 exec, exec, s[8:9]
	s_and_b64 s[4:5], s[4:5], exec
                                        ; implicit-def: $vgpr9
	s_or_saveexec_b64 s[6:7], s[6:7]
	v_mov_b32_e32 v8, s10
	s_xor_b64 exec, exec, s[6:7]
	s_cbranch_execz .LBB49_1938
.LBB49_3988:
	v_cmp_ne_u16_e32 vcc, 0, v9
	s_andn2_b64 s[4:5], s[4:5], exec
	s_and_b64 s[8:9], vcc, exec
	v_mov_b32_e32 v8, 0
	s_or_b64 s[4:5], s[4:5], s[8:9]
	s_or_b64 exec, exec, s[6:7]
	s_and_saveexec_b64 s[6:7], s[4:5]
	s_cbranch_execnz .LBB49_1939
	s_branch .LBB49_1940
.LBB49_3989:
	s_movk_i32 s4, 0x80
	v_cmp_eq_u16_e32 vcc, s4, v9
	s_mov_b64 s[4:5], -1
                                        ; implicit-def: $sgpr10
	s_and_saveexec_b64 s[8:9], vcc
; %bb.3990:
	s_mov_b32 s10, 0x7f800001
	s_xor_b64 s[4:5], exec, -1
; %bb.3991:
	s_or_b64 exec, exec, s[8:9]
	s_and_b64 s[4:5], s[4:5], exec
                                        ; implicit-def: $vgpr9
	s_or_saveexec_b64 s[6:7], s[6:7]
	v_mov_b32_e32 v10, s10
	s_xor_b64 exec, exec, s[6:7]
	s_cbranch_execz .LBB49_1942
.LBB49_3992:
	v_cmp_ne_u16_e32 vcc, 0, v9
	s_andn2_b64 s[4:5], s[4:5], exec
	s_and_b64 s[8:9], vcc, exec
	v_mov_b32_e32 v10, 0
	s_or_b64 s[4:5], s[4:5], s[8:9]
	s_or_b64 exec, exec, s[6:7]
	s_and_saveexec_b64 s[6:7], s[4:5]
	s_cbranch_execnz .LBB49_1943
	s_branch .LBB49_1944
.LBB49_3993:
	s_movk_i32 s4, 0x80
	v_cmp_eq_u16_sdwa s[12:13], v4, s4 src0_sel:BYTE_3 src1_sel:DWORD
	s_mov_b64 s[4:5], -1
                                        ; implicit-def: $sgpr10
	s_and_saveexec_b64 s[8:9], s[12:13]
; %bb.3994:
	s_mov_b32 s10, 0x7f800001
	s_xor_b64 s[4:5], exec, -1
; %bb.3995:
	s_or_b64 exec, exec, s[8:9]
	s_and_b64 s[4:5], s[4:5], exec
	s_or_saveexec_b64 s[6:7], s[6:7]
	v_mov_b32_e32 v8, s10
	s_xor_b64 exec, exec, s[6:7]
	s_cbranch_execz .LBB49_1946
.LBB49_3996:
	v_mov_b32_e32 v8, 0
	v_cmp_ne_u16_sdwa s[8:9], v4, v8 src0_sel:BYTE_3 src1_sel:DWORD
	s_andn2_b64 s[4:5], s[4:5], exec
	s_and_b64 s[8:9], s[8:9], exec
	s_or_b64 s[4:5], s[4:5], s[8:9]
	s_or_b64 exec, exec, s[6:7]
	s_and_saveexec_b64 s[6:7], s[4:5]
	s_cbranch_execnz .LBB49_1947
	s_branch .LBB49_1948
.LBB49_3997:
	s_movk_i32 s4, 0x80
	v_cmp_eq_u16_sdwa s[12:13], v0, s4 src0_sel:BYTE_3 src1_sel:DWORD
	s_mov_b64 s[4:5], -1
                                        ; implicit-def: $sgpr10
	s_and_saveexec_b64 s[8:9], s[12:13]
; %bb.3998:
	s_mov_b32 s10, 0x7f800001
	s_xor_b64 s[4:5], exec, -1
; %bb.3999:
	s_or_b64 exec, exec, s[8:9]
	s_and_b64 s[4:5], s[4:5], exec
	s_or_saveexec_b64 s[6:7], s[6:7]
	v_mov_b32_e32 v4, s10
	s_xor_b64 exec, exec, s[6:7]
	s_cbranch_execz .LBB49_1950
.LBB49_4000:
	v_mov_b32_e32 v4, 0
	v_cmp_ne_u16_sdwa s[8:9], v0, v4 src0_sel:BYTE_3 src1_sel:DWORD
	s_andn2_b64 s[4:5], s[4:5], exec
	s_and_b64 s[8:9], s[8:9], exec
	s_or_b64 s[4:5], s[4:5], s[8:9]
	s_or_b64 exec, exec, s[6:7]
	s_and_saveexec_b64 s[6:7], s[4:5]
	s_cbranch_execnz .LBB49_1951
	s_branch .LBB49_1952
.LBB49_4001:
	s_movk_i32 s4, 0x80
	v_cmp_eq_u16_sdwa s[12:13], v5, s4 src0_sel:BYTE_0 src1_sel:DWORD
	s_mov_b64 s[4:5], -1
                                        ; implicit-def: $sgpr10
	s_and_saveexec_b64 s[8:9], s[12:13]
; %bb.4002:
	s_mov_b32 s10, 0x7f800001
	s_xor_b64 s[4:5], exec, -1
; %bb.4003:
	s_or_b64 exec, exec, s[8:9]
	s_and_b64 s[4:5], s[4:5], exec
	s_or_saveexec_b64 s[6:7], s[6:7]
	v_mov_b32_e32 v0, s10
	s_xor_b64 exec, exec, s[6:7]
	s_cbranch_execz .LBB49_1954
.LBB49_4004:
	v_mov_b32_e32 v0, 0
	v_cmp_ne_u16_sdwa s[8:9], v5, v0 src0_sel:BYTE_0 src1_sel:DWORD
	s_andn2_b64 s[4:5], s[4:5], exec
	s_and_b64 s[8:9], s[8:9], exec
	s_or_b64 s[4:5], s[4:5], s[8:9]
	s_or_b64 exec, exec, s[6:7]
	s_and_saveexec_b64 s[6:7], s[4:5]
	s_cbranch_execnz .LBB49_1955
	s_branch .LBB49_1956
.LBB49_4005:
	s_movk_i32 s4, 0x80
	v_cmp_eq_u16_sdwa s[12:13], v1, s4 src0_sel:BYTE_0 src1_sel:DWORD
	s_mov_b64 s[4:5], -1
                                        ; implicit-def: $sgpr10
	s_and_saveexec_b64 s[8:9], s[12:13]
; %bb.4006:
	s_mov_b32 s10, 0x7f800001
	s_xor_b64 s[4:5], exec, -1
; %bb.4007:
	s_or_b64 exec, exec, s[8:9]
	s_and_b64 s[4:5], s[4:5], exec
	s_or_saveexec_b64 s[6:7], s[6:7]
	v_mov_b32_e32 v4, s10
	s_xor_b64 exec, exec, s[6:7]
	s_cbranch_execz .LBB49_1958
.LBB49_4008:
	v_mov_b32_e32 v4, 0
	v_cmp_ne_u16_sdwa s[8:9], v1, v4 src0_sel:BYTE_0 src1_sel:DWORD
	s_andn2_b64 s[4:5], s[4:5], exec
	s_and_b64 s[8:9], s[8:9], exec
	s_or_b64 s[4:5], s[4:5], s[8:9]
	s_or_b64 exec, exec, s[6:7]
	s_and_saveexec_b64 s[6:7], s[4:5]
	s_cbranch_execnz .LBB49_1959
	s_branch .LBB49_1960
.LBB49_4009:
	s_movk_i32 s4, 0x80
	v_cmp_eq_u16_sdwa s[12:13], v4, s4 src0_sel:BYTE_0 src1_sel:DWORD
	s_mov_b64 s[4:5], -1
                                        ; implicit-def: $sgpr10
	s_and_saveexec_b64 s[8:9], s[12:13]
; %bb.4010:
	s_mov_b32 s10, 0x7f800001
	s_xor_b64 s[4:5], exec, -1
; %bb.4011:
	s_or_b64 exec, exec, s[8:9]
	s_and_b64 s[4:5], s[4:5], exec
	s_or_saveexec_b64 s[6:7], s[6:7]
	v_mov_b32_e32 v0, s10
	s_xor_b64 exec, exec, s[6:7]
	s_cbranch_execz .LBB49_1962
.LBB49_4012:
	v_mov_b32_e32 v0, 0
	v_cmp_ne_u16_sdwa s[8:9], v4, v0 src0_sel:BYTE_0 src1_sel:DWORD
	s_andn2_b64 s[4:5], s[4:5], exec
	s_and_b64 s[8:9], s[8:9], exec
	s_or_b64 s[4:5], s[4:5], s[8:9]
	s_or_b64 exec, exec, s[6:7]
	s_and_saveexec_b64 s[6:7], s[4:5]
	s_cbranch_execnz .LBB49_1963
	s_branch .LBB49_1964
.LBB49_4013:
	s_movk_i32 s4, 0x80
	v_cmp_eq_u16_sdwa s[12:13], v4, s4 src0_sel:BYTE_0 src1_sel:DWORD
	s_mov_b64 s[4:5], -1
                                        ; implicit-def: $sgpr10
	s_and_saveexec_b64 s[8:9], s[12:13]
; %bb.4014:
	s_mov_b32 s10, 0x7f800001
	s_xor_b64 s[4:5], exec, -1
; %bb.4015:
	s_or_b64 exec, exec, s[8:9]
	s_and_b64 s[4:5], s[4:5], exec
	s_or_saveexec_b64 s[6:7], s[6:7]
	v_mov_b32_e32 v8, s10
	s_xor_b64 exec, exec, s[6:7]
	s_cbranch_execz .LBB49_1966
.LBB49_4016:
	v_mov_b32_e32 v8, 0
	v_cmp_ne_u16_sdwa s[8:9], v4, v8 src0_sel:BYTE_0 src1_sel:DWORD
	s_andn2_b64 s[4:5], s[4:5], exec
	s_and_b64 s[8:9], s[8:9], exec
	s_or_b64 s[4:5], s[4:5], s[8:9]
	s_or_b64 exec, exec, s[6:7]
	s_and_saveexec_b64 s[6:7], s[4:5]
	s_cbranch_execnz .LBB49_1967
	s_branch .LBB49_1968
.LBB49_4017:
	s_movk_i32 s4, 0x80
	v_cmp_eq_u16_e32 vcc, s4, v4
	s_mov_b64 s[4:5], -1
                                        ; implicit-def: $sgpr10
	s_and_saveexec_b64 s[8:9], vcc
; %bb.4018:
	s_mov_b32 s10, 0x7f800001
	s_xor_b64 s[4:5], exec, -1
; %bb.4019:
	s_or_b64 exec, exec, s[8:9]
	s_and_b64 s[4:5], s[4:5], exec
                                        ; implicit-def: $vgpr4
	s_or_saveexec_b64 s[6:7], s[6:7]
	v_mov_b32_e32 v0, s10
	s_xor_b64 exec, exec, s[6:7]
	s_cbranch_execz .LBB49_1970
.LBB49_4020:
	v_cmp_ne_u16_e32 vcc, 0, v4
	s_andn2_b64 s[4:5], s[4:5], exec
	s_and_b64 s[8:9], vcc, exec
	v_mov_b32_e32 v0, 0
	s_or_b64 s[4:5], s[4:5], s[8:9]
	s_or_b64 exec, exec, s[6:7]
	s_and_saveexec_b64 s[6:7], s[4:5]
	s_cbranch_execnz .LBB49_1971
	s_branch .LBB49_1972
.LBB49_4021:
	s_movk_i32 s4, 0x80
	v_cmp_eq_u16_e32 vcc, s4, v4
	s_mov_b64 s[4:5], -1
                                        ; implicit-def: $sgpr10
	s_and_saveexec_b64 s[8:9], vcc
; %bb.4022:
	s_mov_b32 s10, 0x7f800001
	s_xor_b64 s[4:5], exec, -1
; %bb.4023:
	s_or_b64 exec, exec, s[8:9]
	s_and_b64 s[4:5], s[4:5], exec
                                        ; implicit-def: $vgpr4
	s_or_saveexec_b64 s[6:7], s[6:7]
	v_mov_b32_e32 v8, s10
	s_xor_b64 exec, exec, s[6:7]
	s_cbranch_execz .LBB49_1974
.LBB49_4024:
	v_cmp_ne_u16_e32 vcc, 0, v4
	s_andn2_b64 s[4:5], s[4:5], exec
	s_and_b64 s[8:9], vcc, exec
	v_mov_b32_e32 v8, 0
	s_or_b64 s[4:5], s[4:5], s[8:9]
	s_or_b64 exec, exec, s[6:7]
	s_and_saveexec_b64 s[6:7], s[4:5]
	s_cbranch_execnz .LBB49_1975
	s_branch .LBB49_1976
.LBB49_4025:
	s_movk_i32 s4, 0x80
	v_cmp_eq_u16_sdwa s[12:13], v5, s4 src0_sel:BYTE_3 src1_sel:DWORD
	s_mov_b64 s[4:5], -1
                                        ; implicit-def: $sgpr10
	s_and_saveexec_b64 s[8:9], s[12:13]
; %bb.4026:
	s_mov_b32 s10, 0x7f800001
	s_xor_b64 s[4:5], exec, -1
; %bb.4027:
	s_or_b64 exec, exec, s[8:9]
	s_and_b64 s[4:5], s[4:5], exec
	s_or_saveexec_b64 s[6:7], s[6:7]
	v_mov_b32_e32 v0, s10
	s_xor_b64 exec, exec, s[6:7]
	s_cbranch_execz .LBB49_1978
.LBB49_4028:
	v_mov_b32_e32 v0, 0
	v_cmp_ne_u16_sdwa s[8:9], v5, v0 src0_sel:BYTE_3 src1_sel:DWORD
	s_andn2_b64 s[4:5], s[4:5], exec
	s_and_b64 s[8:9], s[8:9], exec
	s_or_b64 s[4:5], s[4:5], s[8:9]
	s_or_b64 exec, exec, s[6:7]
	s_and_saveexec_b64 s[6:7], s[4:5]
	s_cbranch_execnz .LBB49_1979
	s_branch .LBB49_1980
.LBB49_4029:
	s_movk_i32 s4, 0x80
	v_cmp_eq_u16_sdwa s[12:13], v1, s4 src0_sel:BYTE_3 src1_sel:DWORD
	s_mov_b64 s[4:5], -1
                                        ; implicit-def: $sgpr10
	s_and_saveexec_b64 s[8:9], s[12:13]
; %bb.4030:
	s_mov_b32 s10, 0x7f800001
	s_xor_b64 s[4:5], exec, -1
; %bb.4031:
	s_or_b64 exec, exec, s[8:9]
	s_and_b64 s[4:5], s[4:5], exec
	s_or_saveexec_b64 s[6:7], s[6:7]
	v_mov_b32_e32 v4, s10
	s_xor_b64 exec, exec, s[6:7]
	s_cbranch_execz .LBB49_1982
.LBB49_4032:
	v_mov_b32_e32 v4, 0
	v_cmp_ne_u16_sdwa s[8:9], v1, v4 src0_sel:BYTE_3 src1_sel:DWORD
	s_andn2_b64 s[4:5], s[4:5], exec
	s_and_b64 s[8:9], s[8:9], exec
	s_or_b64 s[4:5], s[4:5], s[8:9]
	s_or_b64 exec, exec, s[6:7]
	s_and_saveexec_b64 s[6:7], s[4:5]
	s_cbranch_execnz .LBB49_1983
	s_branch .LBB49_1984
.LBB49_4033:
	s_movk_i32 s4, 0x80
	v_cmp_eq_u16_sdwa s[12:13], v6, s4 src0_sel:BYTE_0 src1_sel:DWORD
	s_mov_b64 s[4:5], -1
                                        ; implicit-def: $sgpr10
	s_and_saveexec_b64 s[8:9], s[12:13]
; %bb.4034:
	s_mov_b32 s10, 0x7f800001
	s_xor_b64 s[4:5], exec, -1
; %bb.4035:
	s_or_b64 exec, exec, s[8:9]
	s_and_b64 s[4:5], s[4:5], exec
	s_or_saveexec_b64 s[6:7], s[6:7]
	v_mov_b32_e32 v0, s10
	s_xor_b64 exec, exec, s[6:7]
	s_cbranch_execz .LBB49_1986
.LBB49_4036:
	v_mov_b32_e32 v0, 0
	v_cmp_ne_u16_sdwa s[8:9], v6, v0 src0_sel:BYTE_0 src1_sel:DWORD
	s_andn2_b64 s[4:5], s[4:5], exec
	s_and_b64 s[8:9], s[8:9], exec
	s_or_b64 s[4:5], s[4:5], s[8:9]
	s_or_b64 exec, exec, s[6:7]
	s_and_saveexec_b64 s[6:7], s[4:5]
	s_cbranch_execnz .LBB49_1987
	s_branch .LBB49_1988
.LBB49_4037:
	s_movk_i32 s4, 0x80
	v_cmp_eq_u16_sdwa s[12:13], v2, s4 src0_sel:BYTE_0 src1_sel:DWORD
	s_mov_b64 s[4:5], -1
                                        ; implicit-def: $sgpr10
	s_and_saveexec_b64 s[8:9], s[12:13]
; %bb.4038:
	s_mov_b32 s10, 0x7f800001
	s_xor_b64 s[4:5], exec, -1
; %bb.4039:
	s_or_b64 exec, exec, s[8:9]
	s_and_b64 s[4:5], s[4:5], exec
	s_or_saveexec_b64 s[6:7], s[6:7]
	v_mov_b32_e32 v1, s10
	s_xor_b64 exec, exec, s[6:7]
	s_cbranch_execz .LBB49_1990
.LBB49_4040:
	v_mov_b32_e32 v1, 0
	v_cmp_ne_u16_sdwa s[8:9], v2, v1 src0_sel:BYTE_0 src1_sel:DWORD
	s_andn2_b64 s[4:5], s[4:5], exec
	s_and_b64 s[8:9], s[8:9], exec
	s_or_b64 s[4:5], s[4:5], s[8:9]
	s_or_b64 exec, exec, s[6:7]
	s_and_saveexec_b64 s[6:7], s[4:5]
	s_cbranch_execnz .LBB49_1991
	s_branch .LBB49_1992
.LBB49_4041:
	s_movk_i32 s4, 0x80
	v_cmp_eq_u16_sdwa s[12:13], v1, s4 src0_sel:BYTE_0 src1_sel:DWORD
	s_mov_b64 s[4:5], -1
                                        ; implicit-def: $sgpr10
	s_and_saveexec_b64 s[8:9], s[12:13]
; %bb.4042:
	s_mov_b32 s10, 0x7f800001
	s_xor_b64 s[4:5], exec, -1
; %bb.4043:
	s_or_b64 exec, exec, s[8:9]
	s_and_b64 s[4:5], s[4:5], exec
	s_or_saveexec_b64 s[6:7], s[6:7]
	v_mov_b32_e32 v0, s10
	s_xor_b64 exec, exec, s[6:7]
	s_cbranch_execz .LBB49_1994
.LBB49_4044:
	v_mov_b32_e32 v0, 0
	v_cmp_ne_u16_sdwa s[8:9], v1, v0 src0_sel:BYTE_0 src1_sel:DWORD
	s_andn2_b64 s[4:5], s[4:5], exec
	s_and_b64 s[8:9], s[8:9], exec
	s_or_b64 s[4:5], s[4:5], s[8:9]
	s_or_b64 exec, exec, s[6:7]
	s_and_saveexec_b64 s[6:7], s[4:5]
	s_cbranch_execnz .LBB49_1995
	s_branch .LBB49_1996
.LBB49_4045:
	s_movk_i32 s4, 0x80
	v_cmp_eq_u16_sdwa s[12:13], v1, s4 src0_sel:BYTE_0 src1_sel:DWORD
	s_mov_b64 s[4:5], -1
                                        ; implicit-def: $sgpr10
	s_and_saveexec_b64 s[8:9], s[12:13]
; %bb.4046:
	s_mov_b32 s10, 0x7f800001
	s_xor_b64 s[4:5], exec, -1
; %bb.4047:
	s_or_b64 exec, exec, s[8:9]
	s_and_b64 s[4:5], s[4:5], exec
	s_or_saveexec_b64 s[6:7], s[6:7]
	v_mov_b32_e32 v4, s10
	s_xor_b64 exec, exec, s[6:7]
	s_cbranch_execz .LBB49_1998
.LBB49_4048:
	v_mov_b32_e32 v4, 0
	v_cmp_ne_u16_sdwa s[8:9], v1, v4 src0_sel:BYTE_0 src1_sel:DWORD
	s_andn2_b64 s[4:5], s[4:5], exec
	s_and_b64 s[8:9], s[8:9], exec
	s_or_b64 s[4:5], s[4:5], s[8:9]
	s_or_b64 exec, exec, s[6:7]
	s_and_saveexec_b64 s[6:7], s[4:5]
	s_cbranch_execnz .LBB49_1999
	s_branch .LBB49_2000
.LBB49_4049:
	s_movk_i32 s4, 0x80
	v_cmp_eq_u16_e32 vcc, s4, v1
	s_mov_b64 s[4:5], -1
                                        ; implicit-def: $sgpr10
	s_and_saveexec_b64 s[8:9], vcc
; %bb.4050:
	s_mov_b32 s10, 0x7f800001
	s_xor_b64 s[4:5], exec, -1
; %bb.4051:
	s_or_b64 exec, exec, s[8:9]
	s_and_b64 s[4:5], s[4:5], exec
                                        ; implicit-def: $vgpr1
	s_or_saveexec_b64 s[6:7], s[6:7]
	v_mov_b32_e32 v0, s10
	s_xor_b64 exec, exec, s[6:7]
	s_cbranch_execz .LBB49_2002
.LBB49_4052:
	v_cmp_ne_u16_e32 vcc, 0, v1
	s_andn2_b64 s[4:5], s[4:5], exec
	s_and_b64 s[8:9], vcc, exec
	v_mov_b32_e32 v0, 0
	s_or_b64 s[4:5], s[4:5], s[8:9]
	s_or_b64 exec, exec, s[6:7]
	s_and_saveexec_b64 s[6:7], s[4:5]
	s_cbranch_execnz .LBB49_2003
	s_branch .LBB49_2004
.LBB49_4053:
	s_movk_i32 s4, 0x80
	v_cmp_eq_u16_e32 vcc, s4, v1
	s_mov_b64 s[4:5], -1
                                        ; implicit-def: $sgpr10
	s_and_saveexec_b64 s[8:9], vcc
; %bb.4054:
	s_mov_b32 s10, 0x7f800001
	s_xor_b64 s[4:5], exec, -1
; %bb.4055:
	s_or_b64 exec, exec, s[8:9]
	s_and_b64 s[4:5], s[4:5], exec
                                        ; implicit-def: $vgpr1
	s_or_saveexec_b64 s[6:7], s[6:7]
	v_mov_b32_e32 v4, s10
	s_xor_b64 exec, exec, s[6:7]
	s_cbranch_execz .LBB49_2006
.LBB49_4056:
	v_cmp_ne_u16_e32 vcc, 0, v1
	s_andn2_b64 s[4:5], s[4:5], exec
	s_and_b64 s[8:9], vcc, exec
	v_mov_b32_e32 v4, 0
	s_or_b64 s[4:5], s[4:5], s[8:9]
	s_or_b64 exec, exec, s[6:7]
	s_and_saveexec_b64 s[6:7], s[4:5]
	s_cbranch_execnz .LBB49_2007
	s_branch .LBB49_2008
.LBB49_4057:
	s_movk_i32 s4, 0x80
	v_cmp_eq_u16_sdwa s[12:13], v6, s4 src0_sel:BYTE_3 src1_sel:DWORD
	s_mov_b64 s[4:5], -1
                                        ; implicit-def: $sgpr10
	s_and_saveexec_b64 s[8:9], s[12:13]
; %bb.4058:
	s_mov_b32 s10, 0x7f800001
	s_xor_b64 s[4:5], exec, -1
; %bb.4059:
	s_or_b64 exec, exec, s[8:9]
	s_and_b64 s[4:5], s[4:5], exec
	s_or_saveexec_b64 s[6:7], s[6:7]
	v_mov_b32_e32 v0, s10
	s_xor_b64 exec, exec, s[6:7]
	s_cbranch_execz .LBB49_2010
.LBB49_4060:
	v_mov_b32_e32 v0, 0
	v_cmp_ne_u16_sdwa s[8:9], v6, v0 src0_sel:BYTE_3 src1_sel:DWORD
	s_andn2_b64 s[4:5], s[4:5], exec
	s_and_b64 s[8:9], s[8:9], exec
	s_or_b64 s[4:5], s[4:5], s[8:9]
	s_or_b64 exec, exec, s[6:7]
	s_and_saveexec_b64 s[6:7], s[4:5]
	s_cbranch_execnz .LBB49_2011
	s_branch .LBB49_2012
.LBB49_4061:
	s_movk_i32 s4, 0x80
	v_cmp_eq_u16_sdwa s[12:13], v2, s4 src0_sel:BYTE_3 src1_sel:DWORD
	s_mov_b64 s[4:5], -1
                                        ; implicit-def: $sgpr10
	s_and_saveexec_b64 s[8:9], s[12:13]
; %bb.4062:
	s_mov_b32 s10, 0x7f800001
	s_xor_b64 s[4:5], exec, -1
; %bb.4063:
	s_or_b64 exec, exec, s[8:9]
	s_and_b64 s[4:5], s[4:5], exec
	s_or_saveexec_b64 s[6:7], s[6:7]
	v_mov_b32_e32 v1, s10
	s_xor_b64 exec, exec, s[6:7]
	s_cbranch_execz .LBB49_2014
.LBB49_4064:
	v_mov_b32_e32 v1, 0
	v_cmp_ne_u16_sdwa s[8:9], v2, v1 src0_sel:BYTE_3 src1_sel:DWORD
	s_andn2_b64 s[4:5], s[4:5], exec
	s_and_b64 s[8:9], s[8:9], exec
	s_or_b64 s[4:5], s[4:5], s[8:9]
	s_or_b64 exec, exec, s[6:7]
	s_and_saveexec_b64 s[6:7], s[4:5]
	s_cbranch_execnz .LBB49_2015
	s_branch .LBB49_2016
.LBB49_4065:
	s_movk_i32 s4, 0x80
	v_cmp_eq_u16_sdwa s[12:13], v7, s4 src0_sel:BYTE_0 src1_sel:DWORD
	s_mov_b64 s[4:5], -1
                                        ; implicit-def: $sgpr10
	s_and_saveexec_b64 s[8:9], s[12:13]
; %bb.4066:
	s_mov_b32 s10, 0x7f800001
	s_xor_b64 s[4:5], exec, -1
; %bb.4067:
	s_or_b64 exec, exec, s[8:9]
	s_and_b64 s[4:5], s[4:5], exec
	s_or_saveexec_b64 s[6:7], s[6:7]
	v_mov_b32_e32 v0, s10
	s_xor_b64 exec, exec, s[6:7]
	s_cbranch_execz .LBB49_2018
.LBB49_4068:
	v_mov_b32_e32 v0, 0
	v_cmp_ne_u16_sdwa s[8:9], v7, v0 src0_sel:BYTE_0 src1_sel:DWORD
	s_andn2_b64 s[4:5], s[4:5], exec
	s_and_b64 s[8:9], s[8:9], exec
	s_or_b64 s[4:5], s[4:5], s[8:9]
	s_or_b64 exec, exec, s[6:7]
	s_and_saveexec_b64 s[6:7], s[4:5]
	s_cbranch_execnz .LBB49_2019
	s_branch .LBB49_2020
.LBB49_4069:
	s_movk_i32 s4, 0x80
	v_cmp_eq_u16_sdwa s[12:13], v3, s4 src0_sel:BYTE_0 src1_sel:DWORD
	s_mov_b64 s[4:5], -1
                                        ; implicit-def: $sgpr10
	s_and_saveexec_b64 s[8:9], s[12:13]
; %bb.4070:
	s_mov_b32 s10, 0x7f800001
	s_xor_b64 s[4:5], exec, -1
; %bb.4071:
	s_or_b64 exec, exec, s[8:9]
	s_and_b64 s[4:5], s[4:5], exec
	s_or_saveexec_b64 s[6:7], s[6:7]
	v_mov_b32_e32 v1, s10
	s_xor_b64 exec, exec, s[6:7]
	s_cbranch_execz .LBB49_2022
.LBB49_4072:
	v_mov_b32_e32 v1, 0
	v_cmp_ne_u16_sdwa s[8:9], v3, v1 src0_sel:BYTE_0 src1_sel:DWORD
	s_andn2_b64 s[4:5], s[4:5], exec
	s_and_b64 s[8:9], s[8:9], exec
	s_or_b64 s[4:5], s[4:5], s[8:9]
	s_or_b64 exec, exec, s[6:7]
	s_and_saveexec_b64 s[6:7], s[4:5]
	s_cbranch_execnz .LBB49_2023
	s_branch .LBB49_2024
.LBB49_4073:
	s_movk_i32 s4, 0x80
	v_cmp_eq_u16_sdwa s[12:13], v1, s4 src0_sel:BYTE_0 src1_sel:DWORD
	s_mov_b64 s[4:5], -1
                                        ; implicit-def: $sgpr10
	s_and_saveexec_b64 s[8:9], s[12:13]
; %bb.4074:
	s_mov_b32 s10, 0x7f800001
	s_xor_b64 s[4:5], exec, -1
; %bb.4075:
	s_or_b64 exec, exec, s[8:9]
	s_and_b64 s[4:5], s[4:5], exec
	s_or_saveexec_b64 s[6:7], s[6:7]
	v_mov_b32_e32 v0, s10
	s_xor_b64 exec, exec, s[6:7]
	s_cbranch_execz .LBB49_2026
.LBB49_4076:
	v_mov_b32_e32 v0, 0
	v_cmp_ne_u16_sdwa s[8:9], v1, v0 src0_sel:BYTE_0 src1_sel:DWORD
	s_andn2_b64 s[4:5], s[4:5], exec
	s_and_b64 s[8:9], s[8:9], exec
	s_or_b64 s[4:5], s[4:5], s[8:9]
	s_or_b64 exec, exec, s[6:7]
	s_and_saveexec_b64 s[6:7], s[4:5]
	s_cbranch_execnz .LBB49_2027
	s_branch .LBB49_2028
.LBB49_4077:
	s_movk_i32 s4, 0x80
	v_cmp_eq_u16_sdwa s[12:13], v1, s4 src0_sel:BYTE_0 src1_sel:DWORD
	s_mov_b64 s[4:5], -1
                                        ; implicit-def: $sgpr10
	s_and_saveexec_b64 s[8:9], s[12:13]
; %bb.4078:
	s_mov_b32 s10, 0x7f800001
	s_xor_b64 s[4:5], exec, -1
; %bb.4079:
	s_or_b64 exec, exec, s[8:9]
	s_and_b64 s[4:5], s[4:5], exec
	s_or_saveexec_b64 s[6:7], s[6:7]
	v_mov_b32_e32 v2, s10
	s_xor_b64 exec, exec, s[6:7]
	s_cbranch_execz .LBB49_2030
.LBB49_4080:
	v_mov_b32_e32 v2, 0
	v_cmp_ne_u16_sdwa s[8:9], v1, v2 src0_sel:BYTE_0 src1_sel:DWORD
	s_andn2_b64 s[4:5], s[4:5], exec
	s_and_b64 s[8:9], s[8:9], exec
	s_or_b64 s[4:5], s[4:5], s[8:9]
	s_or_b64 exec, exec, s[6:7]
	s_and_saveexec_b64 s[6:7], s[4:5]
	s_cbranch_execnz .LBB49_2031
	s_branch .LBB49_2032
.LBB49_4081:
	s_movk_i32 s4, 0x80
	v_cmp_eq_u16_e32 vcc, s4, v1
	s_mov_b64 s[4:5], -1
                                        ; implicit-def: $sgpr10
	s_and_saveexec_b64 s[8:9], vcc
; %bb.4082:
	s_mov_b32 s10, 0x7f800001
	s_xor_b64 s[4:5], exec, -1
; %bb.4083:
	s_or_b64 exec, exec, s[8:9]
	s_and_b64 s[4:5], s[4:5], exec
                                        ; implicit-def: $vgpr1
	s_or_saveexec_b64 s[6:7], s[6:7]
	v_mov_b32_e32 v0, s10
	s_xor_b64 exec, exec, s[6:7]
	s_cbranch_execz .LBB49_2034
.LBB49_4084:
	v_cmp_ne_u16_e32 vcc, 0, v1
	s_andn2_b64 s[4:5], s[4:5], exec
	s_and_b64 s[8:9], vcc, exec
	v_mov_b32_e32 v0, 0
	s_or_b64 s[4:5], s[4:5], s[8:9]
	s_or_b64 exec, exec, s[6:7]
	s_and_saveexec_b64 s[6:7], s[4:5]
	s_cbranch_execnz .LBB49_2035
	s_branch .LBB49_2036
.LBB49_4085:
	s_movk_i32 s4, 0x80
	v_cmp_eq_u16_e32 vcc, s4, v1
	s_mov_b64 s[4:5], -1
                                        ; implicit-def: $sgpr10
	s_and_saveexec_b64 s[8:9], vcc
; %bb.4086:
	s_mov_b32 s10, 0x7f800001
	s_xor_b64 s[4:5], exec, -1
; %bb.4087:
	s_or_b64 exec, exec, s[8:9]
	s_and_b64 s[4:5], s[4:5], exec
                                        ; implicit-def: $vgpr1
	s_or_saveexec_b64 s[6:7], s[6:7]
	v_mov_b32_e32 v2, s10
	s_xor_b64 exec, exec, s[6:7]
	s_cbranch_execz .LBB49_2038
.LBB49_4088:
	v_cmp_ne_u16_e32 vcc, 0, v1
	s_andn2_b64 s[4:5], s[4:5], exec
	s_and_b64 s[8:9], vcc, exec
	v_mov_b32_e32 v2, 0
	s_or_b64 s[4:5], s[4:5], s[8:9]
	s_or_b64 exec, exec, s[6:7]
	s_and_saveexec_b64 s[6:7], s[4:5]
	s_cbranch_execnz .LBB49_2039
	s_branch .LBB49_2040
.LBB49_4089:
	s_movk_i32 s4, 0x80
	v_cmp_eq_u16_sdwa s[12:13], v7, s4 src0_sel:BYTE_3 src1_sel:DWORD
	s_mov_b64 s[4:5], -1
                                        ; implicit-def: $sgpr10
	s_and_saveexec_b64 s[8:9], s[12:13]
; %bb.4090:
	s_mov_b32 s10, 0x7f800001
	s_xor_b64 s[4:5], exec, -1
; %bb.4091:
	s_or_b64 exec, exec, s[8:9]
	s_and_b64 s[4:5], s[4:5], exec
	s_or_saveexec_b64 s[6:7], s[6:7]
	v_mov_b32_e32 v0, s10
	s_xor_b64 exec, exec, s[6:7]
	s_cbranch_execz .LBB49_2042
.LBB49_4092:
	v_mov_b32_e32 v0, 0
	v_cmp_ne_u16_sdwa s[8:9], v7, v0 src0_sel:BYTE_3 src1_sel:DWORD
	s_andn2_b64 s[4:5], s[4:5], exec
	s_and_b64 s[8:9], s[8:9], exec
	s_or_b64 s[4:5], s[4:5], s[8:9]
	s_or_b64 exec, exec, s[6:7]
	s_and_saveexec_b64 s[6:7], s[4:5]
	s_cbranch_execnz .LBB49_2043
	s_branch .LBB49_2044
.LBB49_4093:
	s_movk_i32 s4, 0x80
	v_cmp_eq_u16_sdwa s[12:13], v3, s4 src0_sel:BYTE_3 src1_sel:DWORD
	s_mov_b64 s[4:5], -1
                                        ; implicit-def: $sgpr10
	s_and_saveexec_b64 s[8:9], s[12:13]
; %bb.4094:
	s_mov_b32 s10, 0x7f800001
	s_xor_b64 s[4:5], exec, -1
; %bb.4095:
	s_or_b64 exec, exec, s[8:9]
	s_and_b64 s[4:5], s[4:5], exec
	s_or_saveexec_b64 s[6:7], s[6:7]
	v_mov_b32_e32 v1, s10
	s_xor_b64 exec, exec, s[6:7]
	s_cbranch_execz .LBB49_2046
.LBB49_4096:
	v_mov_b32_e32 v1, 0
	v_cmp_ne_u16_sdwa s[8:9], v3, v1 src0_sel:BYTE_3 src1_sel:DWORD
	s_andn2_b64 s[4:5], s[4:5], exec
	s_and_b64 s[8:9], s[8:9], exec
	s_or_b64 s[4:5], s[4:5], s[8:9]
	s_or_b64 exec, exec, s[6:7]
	s_and_saveexec_b64 s[6:7], s[4:5]
	s_cbranch_execnz .LBB49_2047
	s_branch .LBB49_2048
.Lfunc_end49:
	.size	_ZNK2ck6detail7applierIiJLi0ELi1ELi2ELi3ELi4ELi5ELi6ELi7EEEclIZNKS_11static_fordINS_8SequenceIJLi1ELi8EEEENS5_IJLi0ELi1EEEEEclIZZNKS_52BlockwiseGemmXdlops_pipeline_bpreshuffle_bdequant_v3ILNS_26BlockGemmPipelineSchedulerE0ELi256ENS_9f8_fnuz_tENS_7pk_i4_tESC_fNS_16TensorDescriptorINS_5TupleIJNS_5EmbedINSF_IJNS_17integral_constantIiLi8EEENSH_IiLi256EEENSH_IiLi16EEEEEENSF_IJSK_NSH_IiLi128EEENSH_IiLi1EEEEEELb0EEENS_3XorINSF_IJSJ_SI_EEELb1EEENS_11PassThroughISK_EENS_7UnMergeINSF_IJSI_SN_EEELb0EEENST_ISJ_EESU_NST_ISI_EENS_21Merge_v3_division_modINSF_IJSJ_SN_EEEEESU_EEENSF_IJNS5_IJLi0EEEENS5_IJLi2ELi1EEEENS5_IJLi3EEEENS5_IJLi5EEEENS5_IJLi4EEEENS5_IJLi6EEEENS5_IJLi7EEEENS5_IJLi9ELi8EEEENS5_IJLi10EEEEEEENSF_IJNS5_IJLi1ELi2ELi3EEEENS5_IJLi4ELi5EEEES19_NS5_IJLi7ELi8EEEENS5_IJLi9EEEES1C_NS5_IJLi11EEEENS5_IJLi12EEEENS5_IJLi13EEEEEEENS5_IJLi11ELi12ELi13EEEENSH_IlLl32768EEEEENSE_INSF_IJNSV_INSF_IJSI_SN_SN_NSH_IiLi32EEEEEELb0EEEEEENSF_IJS14_EEENSF_IJNS5_IJLi1ELi2ELi3ELi4EEEEEEES1U_NSH_IlLl256EEEEENSE_INSF_IJSP_SS_SU_SX_SY_SU_SZ_S12_SU_NS10_INSF_IJSI_SK_EEEEENSV_INSF_IJSI_NSH_IiLi2EEESK_EEELb0EEEEEENSF_IJS14_S15_S16_S17_S18_S19_S1A_S1B_S1C_NS5_IJLi11ELi13EEEES1J_EEENSF_IJS1E_S1F_S19_S1G_S1H_S1C_S1I_S1J_S1K_NS5_IJLi14EEEENS5_IJLi15ELi16ELi17EEEEEEENS5_IJLi15ELi16ELi17ELi14EEEES1N_EENSE_INSF_IJS1R_NS10_ISW_EES22_EEENSF_IJS14_NS5_IJLi1ELi3EEEENS5_IJLi2EEEEEEENSF_IJS1U_S17_NS5_IJLi6ELi7ELi8EEEEEEENS5_IJLi6ELi7ELi8ELi5EEEES1W_EELi16ELi32ELi256ELi256ELi128ELi16ELi16ELi8ELi8ELi32ELb0EE3RunILb1ELNS_10TailNumberE1ENSE_INSF_IJNSG_INSF_IJiiEEENSF_IJiSN_EEELb0EEENSV_IS2N_Lb0EEENST_IiEEEEENSF_IJS14_S2E_NS5_IJLi1EEEEEEENSF_IJNS5_IJLi1ELi2EEEENS5_IJLi3ELi4EEEES17_EEENS5_IJLi3ELi5ELi4EEEElEES1O_NS_35ThreadGroupTensorSliceTransfer_v4r1INS_15ThisThreadBlockILi256EEENS_16tensor_operation12element_wise11PassThroughES35_LNS_25InMemoryDataOperationEnumE0ENS5_IJLi8ELi256ELi16EEEENS5_IJLi8ELi32ELi1EEEENS5_IJLi1ELi0ELi2EEEESC_SC_RKS2Z_KS1O_S39_NS5_IJLi0ELi1ELi2EEEELi2ELi2ELi16ELi16ELi1ELi1ELb0ELb1ELi2EiEENS_13DynamicBufferILNS_16AddressSpaceEnumE1EKSC_lLb1ELNS_22AmdBufferCoherenceEnumE0EiEENSF_IJNS3F_ILS3G_2ESC_S1N_Lb1ELS3I_0EiEES3K_EEENSF_IJiiiEEENSE_INSF_IJNSG_INSF_IJiiiiEEENSF_IJiiiSN_EEELb0EEEEEES1T_S1V_S1U_lEENS_32ThreadwiseTensorSliceTransfer_v2ISD_SD_RKS3R_KS1X_NS5_IJLi8ELi1ELi1ELi32EEEENS5_IJLi1ELi2ELi0ELi3EEEELi3ELi32ELi0ELb1ELb0ELb0EEENS3F_ILS3G_1EKSD_lLb1ELS3I_0EiEENSF_IJNS_12StaticBufferILS3G_4ESD_Li256ELb1EEES42_EEES3N_NS_25StaticBufferTupleOfVectorILS3G_4EfLi64ELi4ELb1ELb0EEEEEvRKT1_RKT2_RT3_RKT4_RT5_RKT6_RKT7_RT8_RKT9_RT10_RKT11_RT12_iENKUlT_E0_clINSH_IiLi5EEEEEDaS51_EUlS51_E_EEvS51_EUlS51_E_EEvS51_, .Lfunc_end49-_ZNK2ck6detail7applierIiJLi0ELi1ELi2ELi3ELi4ELi5ELi6ELi7EEEclIZNKS_11static_fordINS_8SequenceIJLi1ELi8EEEENS5_IJLi0ELi1EEEEEclIZZNKS_52BlockwiseGemmXdlops_pipeline_bpreshuffle_bdequant_v3ILNS_26BlockGemmPipelineSchedulerE0ELi256ENS_9f8_fnuz_tENS_7pk_i4_tESC_fNS_16TensorDescriptorINS_5TupleIJNS_5EmbedINSF_IJNS_17integral_constantIiLi8EEENSH_IiLi256EEENSH_IiLi16EEEEEENSF_IJSK_NSH_IiLi128EEENSH_IiLi1EEEEEELb0EEENS_3XorINSF_IJSJ_SI_EEELb1EEENS_11PassThroughISK_EENS_7UnMergeINSF_IJSI_SN_EEELb0EEENST_ISJ_EESU_NST_ISI_EENS_21Merge_v3_division_modINSF_IJSJ_SN_EEEEESU_EEENSF_IJNS5_IJLi0EEEENS5_IJLi2ELi1EEEENS5_IJLi3EEEENS5_IJLi5EEEENS5_IJLi4EEEENS5_IJLi6EEEENS5_IJLi7EEEENS5_IJLi9ELi8EEEENS5_IJLi10EEEEEEENSF_IJNS5_IJLi1ELi2ELi3EEEENS5_IJLi4ELi5EEEES19_NS5_IJLi7ELi8EEEENS5_IJLi9EEEES1C_NS5_IJLi11EEEENS5_IJLi12EEEENS5_IJLi13EEEEEEENS5_IJLi11ELi12ELi13EEEENSH_IlLl32768EEEEENSE_INSF_IJNSV_INSF_IJSI_SN_SN_NSH_IiLi32EEEEEELb0EEEEEENSF_IJS14_EEENSF_IJNS5_IJLi1ELi2ELi3ELi4EEEEEEES1U_NSH_IlLl256EEEEENSE_INSF_IJSP_SS_SU_SX_SY_SU_SZ_S12_SU_NS10_INSF_IJSI_SK_EEEEENSV_INSF_IJSI_NSH_IiLi2EEESK_EEELb0EEEEEENSF_IJS14_S15_S16_S17_S18_S19_S1A_S1B_S1C_NS5_IJLi11ELi13EEEES1J_EEENSF_IJS1E_S1F_S19_S1G_S1H_S1C_S1I_S1J_S1K_NS5_IJLi14EEEENS5_IJLi15ELi16ELi17EEEEEEENS5_IJLi15ELi16ELi17ELi14EEEES1N_EENSE_INSF_IJS1R_NS10_ISW_EES22_EEENSF_IJS14_NS5_IJLi1ELi3EEEENS5_IJLi2EEEEEEENSF_IJS1U_S17_NS5_IJLi6ELi7ELi8EEEEEEENS5_IJLi6ELi7ELi8ELi5EEEES1W_EELi16ELi32ELi256ELi256ELi128ELi16ELi16ELi8ELi8ELi32ELb0EE3RunILb1ELNS_10TailNumberE1ENSE_INSF_IJNSG_INSF_IJiiEEENSF_IJiSN_EEELb0EEENSV_IS2N_Lb0EEENST_IiEEEEENSF_IJS14_S2E_NS5_IJLi1EEEEEEENSF_IJNS5_IJLi1ELi2EEEENS5_IJLi3ELi4EEEES17_EEENS5_IJLi3ELi5ELi4EEEElEES1O_NS_35ThreadGroupTensorSliceTransfer_v4r1INS_15ThisThreadBlockILi256EEENS_16tensor_operation12element_wise11PassThroughES35_LNS_25InMemoryDataOperationEnumE0ENS5_IJLi8ELi256ELi16EEEENS5_IJLi8ELi32ELi1EEEENS5_IJLi1ELi0ELi2EEEESC_SC_RKS2Z_KS1O_S39_NS5_IJLi0ELi1ELi2EEEELi2ELi2ELi16ELi16ELi1ELi1ELb0ELb1ELi2EiEENS_13DynamicBufferILNS_16AddressSpaceEnumE1EKSC_lLb1ELNS_22AmdBufferCoherenceEnumE0EiEENSF_IJNS3F_ILS3G_2ESC_S1N_Lb1ELS3I_0EiEES3K_EEENSF_IJiiiEEENSE_INSF_IJNSG_INSF_IJiiiiEEENSF_IJiiiSN_EEELb0EEEEEES1T_S1V_S1U_lEENS_32ThreadwiseTensorSliceTransfer_v2ISD_SD_RKS3R_KS1X_NS5_IJLi8ELi1ELi1ELi32EEEENS5_IJLi1ELi2ELi0ELi3EEEELi3ELi32ELi0ELb1ELb0ELb0EEENS3F_ILS3G_1EKSD_lLb1ELS3I_0EiEENSF_IJNS_12StaticBufferILS3G_4ESD_Li256ELb1EEES42_EEES3N_NS_25StaticBufferTupleOfVectorILS3G_4EfLi64ELi4ELb1ELb0EEEEEvRKT1_RKT2_RT3_RKT4_RT5_RKT6_RKT7_RT8_RKT9_RT10_RKT11_RT12_iENKUlT_E0_clINSH_IiLi5EEEEEDaS51_EUlS51_E_EEvS51_EUlS51_E_EEvS51_
                                        ; -- End function
	.section	.AMDGPU.csdata,"",@progbits
; Function info:
; codeLenInByte = 133608
; NumSgprs: 36
; NumVgprs: 26
; NumAgprs: 4
; TotalNumVgprs: 32
; ScratchSize: 0
; MemoryBound: 1
	.text
	.p2align	2                               ; -- Begin function _ZNK2ck6detail7applierIiJLi0ELi1ELi2ELi3ELi4ELi5ELi6ELi7EEEclIZNKS_11static_fordINS_8SequenceIJLi1ELi8EEEENS5_IJLi0ELi1EEEEEclIZZNKS_52BlockwiseGemmXdlops_pipeline_bpreshuffle_bdequant_v3ILNS_26BlockGemmPipelineSchedulerE0ELi256ENS_9f8_fnuz_tENS_7pk_i4_tESC_fNS_16TensorDescriptorINS_5TupleIJNS_5EmbedINSF_IJNS_17integral_constantIiLi8EEENSH_IiLi256EEENSH_IiLi16EEEEEENSF_IJSK_NSH_IiLi128EEENSH_IiLi1EEEEEELb0EEENS_3XorINSF_IJSJ_SI_EEELb1EEENS_11PassThroughISK_EENS_7UnMergeINSF_IJSI_SN_EEELb0EEENST_ISJ_EESU_NST_ISI_EENS_21Merge_v3_division_modINSF_IJSJ_SN_EEEEESU_EEENSF_IJNS5_IJLi0EEEENS5_IJLi2ELi1EEEENS5_IJLi3EEEENS5_IJLi5EEEENS5_IJLi4EEEENS5_IJLi6EEEENS5_IJLi7EEEENS5_IJLi9ELi8EEEENS5_IJLi10EEEEEEENSF_IJNS5_IJLi1ELi2ELi3EEEENS5_IJLi4ELi5EEEES19_NS5_IJLi7ELi8EEEENS5_IJLi9EEEES1C_NS5_IJLi11EEEENS5_IJLi12EEEENS5_IJLi13EEEEEEENS5_IJLi11ELi12ELi13EEEENSH_IlLl32768EEEEENSE_INSF_IJNSV_INSF_IJSI_SN_SN_NSH_IiLi32EEEEEELb0EEEEEENSF_IJS14_EEENSF_IJNS5_IJLi1ELi2ELi3ELi4EEEEEEES1U_NSH_IlLl256EEEEENSE_INSF_IJSP_SS_SU_SX_SY_SU_SZ_S12_SU_NS10_INSF_IJSI_SK_EEEEENSV_INSF_IJSI_NSH_IiLi2EEESK_EEELb0EEEEEENSF_IJS14_S15_S16_S17_S18_S19_S1A_S1B_S1C_NS5_IJLi11ELi13EEEES1J_EEENSF_IJS1E_S1F_S19_S1G_S1H_S1C_S1I_S1J_S1K_NS5_IJLi14EEEENS5_IJLi15ELi16ELi17EEEEEEENS5_IJLi15ELi16ELi17ELi14EEEES1N_EENSE_INSF_IJS1R_NS10_ISW_EES22_EEENSF_IJS14_NS5_IJLi1ELi3EEEENS5_IJLi2EEEEEEENSF_IJS1U_S17_NS5_IJLi6ELi7ELi8EEEEEEENS5_IJLi6ELi7ELi8ELi5EEEES1W_EELi16ELi32ELi256ELi256ELi128ELi16ELi16ELi8ELi8ELi32ELb0EE3RunILb1ELNS_10TailNumberE1ENSE_INSF_IJNSG_INSF_IJiiEEENSF_IJiSN_EEELb0EEENSV_IS2N_Lb0EEENST_IiEEEEENSF_IJS14_S2E_NS5_IJLi1EEEEEEENSF_IJNS5_IJLi1ELi2EEEENS5_IJLi3ELi4EEEES17_EEENS5_IJLi3ELi5ELi4EEEElEES1O_NS_35ThreadGroupTensorSliceTransfer_v4r1INS_15ThisThreadBlockILi256EEENS_16tensor_operation12element_wise11PassThroughES35_LNS_25InMemoryDataOperationEnumE0ENS5_IJLi8ELi256ELi16EEEENS5_IJLi8ELi32ELi1EEEENS5_IJLi1ELi0ELi2EEEESC_SC_RKS2Z_KS1O_S39_NS5_IJLi0ELi1ELi2EEEELi2ELi2ELi16ELi16ELi1ELi1ELb0ELb1ELi2EiEENS_13DynamicBufferILNS_16AddressSpaceEnumE1EKSC_lLb1ELNS_22AmdBufferCoherenceEnumE0EiEENSF_IJNS3F_ILS3G_2ESC_S1N_Lb1ELS3I_0EiEES3K_EEENSF_IJiiiEEENSE_INSF_IJNSG_INSF_IJiiiiEEENSF_IJiiiSN_EEELb0EEEEEES1T_S1V_S1U_lEENS_32ThreadwiseTensorSliceTransfer_v2ISD_SD_RKS3R_KS1X_NS5_IJLi8ELi1ELi1ELi32EEEENS5_IJLi1ELi2ELi0ELi3EEEELi3ELi32ELi0ELb1ELb0ELb0EEENS3F_ILS3G_1EKSD_lLb1ELS3I_0EiEENSF_IJNS_12StaticBufferILS3G_4ESD_Li256ELb1EEES42_EEES3N_NS_25StaticBufferTupleOfVectorILS3G_4EfLi64ELi4ELb1ELb0EEEEEvRKT1_RKT2_RT3_RKT4_RT5_RKT6_RKT7_RT8_RKT9_RT10_RKT11_RT12_iENKUlT_E0_clINSH_IiLi6EEEEEDaS51_EUlS51_E_EEvS51_EUlS51_E_EEvS51_
	.type	_ZNK2ck6detail7applierIiJLi0ELi1ELi2ELi3ELi4ELi5ELi6ELi7EEEclIZNKS_11static_fordINS_8SequenceIJLi1ELi8EEEENS5_IJLi0ELi1EEEEEclIZZNKS_52BlockwiseGemmXdlops_pipeline_bpreshuffle_bdequant_v3ILNS_26BlockGemmPipelineSchedulerE0ELi256ENS_9f8_fnuz_tENS_7pk_i4_tESC_fNS_16TensorDescriptorINS_5TupleIJNS_5EmbedINSF_IJNS_17integral_constantIiLi8EEENSH_IiLi256EEENSH_IiLi16EEEEEENSF_IJSK_NSH_IiLi128EEENSH_IiLi1EEEEEELb0EEENS_3XorINSF_IJSJ_SI_EEELb1EEENS_11PassThroughISK_EENS_7UnMergeINSF_IJSI_SN_EEELb0EEENST_ISJ_EESU_NST_ISI_EENS_21Merge_v3_division_modINSF_IJSJ_SN_EEEEESU_EEENSF_IJNS5_IJLi0EEEENS5_IJLi2ELi1EEEENS5_IJLi3EEEENS5_IJLi5EEEENS5_IJLi4EEEENS5_IJLi6EEEENS5_IJLi7EEEENS5_IJLi9ELi8EEEENS5_IJLi10EEEEEEENSF_IJNS5_IJLi1ELi2ELi3EEEENS5_IJLi4ELi5EEEES19_NS5_IJLi7ELi8EEEENS5_IJLi9EEEES1C_NS5_IJLi11EEEENS5_IJLi12EEEENS5_IJLi13EEEEEEENS5_IJLi11ELi12ELi13EEEENSH_IlLl32768EEEEENSE_INSF_IJNSV_INSF_IJSI_SN_SN_NSH_IiLi32EEEEEELb0EEEEEENSF_IJS14_EEENSF_IJNS5_IJLi1ELi2ELi3ELi4EEEEEEES1U_NSH_IlLl256EEEEENSE_INSF_IJSP_SS_SU_SX_SY_SU_SZ_S12_SU_NS10_INSF_IJSI_SK_EEEEENSV_INSF_IJSI_NSH_IiLi2EEESK_EEELb0EEEEEENSF_IJS14_S15_S16_S17_S18_S19_S1A_S1B_S1C_NS5_IJLi11ELi13EEEES1J_EEENSF_IJS1E_S1F_S19_S1G_S1H_S1C_S1I_S1J_S1K_NS5_IJLi14EEEENS5_IJLi15ELi16ELi17EEEEEEENS5_IJLi15ELi16ELi17ELi14EEEES1N_EENSE_INSF_IJS1R_NS10_ISW_EES22_EEENSF_IJS14_NS5_IJLi1ELi3EEEENS5_IJLi2EEEEEEENSF_IJS1U_S17_NS5_IJLi6ELi7ELi8EEEEEEENS5_IJLi6ELi7ELi8ELi5EEEES1W_EELi16ELi32ELi256ELi256ELi128ELi16ELi16ELi8ELi8ELi32ELb0EE3RunILb1ELNS_10TailNumberE1ENSE_INSF_IJNSG_INSF_IJiiEEENSF_IJiSN_EEELb0EEENSV_IS2N_Lb0EEENST_IiEEEEENSF_IJS14_S2E_NS5_IJLi1EEEEEEENSF_IJNS5_IJLi1ELi2EEEENS5_IJLi3ELi4EEEES17_EEENS5_IJLi3ELi5ELi4EEEElEES1O_NS_35ThreadGroupTensorSliceTransfer_v4r1INS_15ThisThreadBlockILi256EEENS_16tensor_operation12element_wise11PassThroughES35_LNS_25InMemoryDataOperationEnumE0ENS5_IJLi8ELi256ELi16EEEENS5_IJLi8ELi32ELi1EEEENS5_IJLi1ELi0ELi2EEEESC_SC_RKS2Z_KS1O_S39_NS5_IJLi0ELi1ELi2EEEELi2ELi2ELi16ELi16ELi1ELi1ELb0ELb1ELi2EiEENS_13DynamicBufferILNS_16AddressSpaceEnumE1EKSC_lLb1ELNS_22AmdBufferCoherenceEnumE0EiEENSF_IJNS3F_ILS3G_2ESC_S1N_Lb1ELS3I_0EiEES3K_EEENSF_IJiiiEEENSE_INSF_IJNSG_INSF_IJiiiiEEENSF_IJiiiSN_EEELb0EEEEEES1T_S1V_S1U_lEENS_32ThreadwiseTensorSliceTransfer_v2ISD_SD_RKS3R_KS1X_NS5_IJLi8ELi1ELi1ELi32EEEENS5_IJLi1ELi2ELi0ELi3EEEELi3ELi32ELi0ELb1ELb0ELb0EEENS3F_ILS3G_1EKSD_lLb1ELS3I_0EiEENSF_IJNS_12StaticBufferILS3G_4ESD_Li256ELb1EEES42_EEES3N_NS_25StaticBufferTupleOfVectorILS3G_4EfLi64ELi4ELb1ELb0EEEEEvRKT1_RKT2_RT3_RKT4_RT5_RKT6_RKT7_RT8_RKT9_RT10_RKT11_RT12_iENKUlT_E0_clINSH_IiLi6EEEEEDaS51_EUlS51_E_EEvS51_EUlS51_E_EEvS51_,@function
_ZNK2ck6detail7applierIiJLi0ELi1ELi2ELi3ELi4ELi5ELi6ELi7EEEclIZNKS_11static_fordINS_8SequenceIJLi1ELi8EEEENS5_IJLi0ELi1EEEEEclIZZNKS_52BlockwiseGemmXdlops_pipeline_bpreshuffle_bdequant_v3ILNS_26BlockGemmPipelineSchedulerE0ELi256ENS_9f8_fnuz_tENS_7pk_i4_tESC_fNS_16TensorDescriptorINS_5TupleIJNS_5EmbedINSF_IJNS_17integral_constantIiLi8EEENSH_IiLi256EEENSH_IiLi16EEEEEENSF_IJSK_NSH_IiLi128EEENSH_IiLi1EEEEEELb0EEENS_3XorINSF_IJSJ_SI_EEELb1EEENS_11PassThroughISK_EENS_7UnMergeINSF_IJSI_SN_EEELb0EEENST_ISJ_EESU_NST_ISI_EENS_21Merge_v3_division_modINSF_IJSJ_SN_EEEEESU_EEENSF_IJNS5_IJLi0EEEENS5_IJLi2ELi1EEEENS5_IJLi3EEEENS5_IJLi5EEEENS5_IJLi4EEEENS5_IJLi6EEEENS5_IJLi7EEEENS5_IJLi9ELi8EEEENS5_IJLi10EEEEEEENSF_IJNS5_IJLi1ELi2ELi3EEEENS5_IJLi4ELi5EEEES19_NS5_IJLi7ELi8EEEENS5_IJLi9EEEES1C_NS5_IJLi11EEEENS5_IJLi12EEEENS5_IJLi13EEEEEEENS5_IJLi11ELi12ELi13EEEENSH_IlLl32768EEEEENSE_INSF_IJNSV_INSF_IJSI_SN_SN_NSH_IiLi32EEEEEELb0EEEEEENSF_IJS14_EEENSF_IJNS5_IJLi1ELi2ELi3ELi4EEEEEEES1U_NSH_IlLl256EEEEENSE_INSF_IJSP_SS_SU_SX_SY_SU_SZ_S12_SU_NS10_INSF_IJSI_SK_EEEEENSV_INSF_IJSI_NSH_IiLi2EEESK_EEELb0EEEEEENSF_IJS14_S15_S16_S17_S18_S19_S1A_S1B_S1C_NS5_IJLi11ELi13EEEES1J_EEENSF_IJS1E_S1F_S19_S1G_S1H_S1C_S1I_S1J_S1K_NS5_IJLi14EEEENS5_IJLi15ELi16ELi17EEEEEEENS5_IJLi15ELi16ELi17ELi14EEEES1N_EENSE_INSF_IJS1R_NS10_ISW_EES22_EEENSF_IJS14_NS5_IJLi1ELi3EEEENS5_IJLi2EEEEEEENSF_IJS1U_S17_NS5_IJLi6ELi7ELi8EEEEEEENS5_IJLi6ELi7ELi8ELi5EEEES1W_EELi16ELi32ELi256ELi256ELi128ELi16ELi16ELi8ELi8ELi32ELb0EE3RunILb1ELNS_10TailNumberE1ENSE_INSF_IJNSG_INSF_IJiiEEENSF_IJiSN_EEELb0EEENSV_IS2N_Lb0EEENST_IiEEEEENSF_IJS14_S2E_NS5_IJLi1EEEEEEENSF_IJNS5_IJLi1ELi2EEEENS5_IJLi3ELi4EEEES17_EEENS5_IJLi3ELi5ELi4EEEElEES1O_NS_35ThreadGroupTensorSliceTransfer_v4r1INS_15ThisThreadBlockILi256EEENS_16tensor_operation12element_wise11PassThroughES35_LNS_25InMemoryDataOperationEnumE0ENS5_IJLi8ELi256ELi16EEEENS5_IJLi8ELi32ELi1EEEENS5_IJLi1ELi0ELi2EEEESC_SC_RKS2Z_KS1O_S39_NS5_IJLi0ELi1ELi2EEEELi2ELi2ELi16ELi16ELi1ELi1ELb0ELb1ELi2EiEENS_13DynamicBufferILNS_16AddressSpaceEnumE1EKSC_lLb1ELNS_22AmdBufferCoherenceEnumE0EiEENSF_IJNS3F_ILS3G_2ESC_S1N_Lb1ELS3I_0EiEES3K_EEENSF_IJiiiEEENSE_INSF_IJNSG_INSF_IJiiiiEEENSF_IJiiiSN_EEELb0EEEEEES1T_S1V_S1U_lEENS_32ThreadwiseTensorSliceTransfer_v2ISD_SD_RKS3R_KS1X_NS5_IJLi8ELi1ELi1ELi32EEEENS5_IJLi1ELi2ELi0ELi3EEEELi3ELi32ELi0ELb1ELb0ELb0EEENS3F_ILS3G_1EKSD_lLb1ELS3I_0EiEENSF_IJNS_12StaticBufferILS3G_4ESD_Li256ELb1EEES42_EEES3N_NS_25StaticBufferTupleOfVectorILS3G_4EfLi64ELi4ELb1ELb0EEEEEvRKT1_RKT2_RT3_RKT4_RT5_RKT6_RKT7_RT8_RKT9_RT10_RKT11_RT12_iENKUlT_E0_clINSH_IiLi6EEEEEDaS51_EUlS51_E_EEvS51_EUlS51_E_EEvS51_: ; @_ZNK2ck6detail7applierIiJLi0ELi1ELi2ELi3ELi4ELi5ELi6ELi7EEEclIZNKS_11static_fordINS_8SequenceIJLi1ELi8EEEENS5_IJLi0ELi1EEEEEclIZZNKS_52BlockwiseGemmXdlops_pipeline_bpreshuffle_bdequant_v3ILNS_26BlockGemmPipelineSchedulerE0ELi256ENS_9f8_fnuz_tENS_7pk_i4_tESC_fNS_16TensorDescriptorINS_5TupleIJNS_5EmbedINSF_IJNS_17integral_constantIiLi8EEENSH_IiLi256EEENSH_IiLi16EEEEEENSF_IJSK_NSH_IiLi128EEENSH_IiLi1EEEEEELb0EEENS_3XorINSF_IJSJ_SI_EEELb1EEENS_11PassThroughISK_EENS_7UnMergeINSF_IJSI_SN_EEELb0EEENST_ISJ_EESU_NST_ISI_EENS_21Merge_v3_division_modINSF_IJSJ_SN_EEEEESU_EEENSF_IJNS5_IJLi0EEEENS5_IJLi2ELi1EEEENS5_IJLi3EEEENS5_IJLi5EEEENS5_IJLi4EEEENS5_IJLi6EEEENS5_IJLi7EEEENS5_IJLi9ELi8EEEENS5_IJLi10EEEEEEENSF_IJNS5_IJLi1ELi2ELi3EEEENS5_IJLi4ELi5EEEES19_NS5_IJLi7ELi8EEEENS5_IJLi9EEEES1C_NS5_IJLi11EEEENS5_IJLi12EEEENS5_IJLi13EEEEEEENS5_IJLi11ELi12ELi13EEEENSH_IlLl32768EEEEENSE_INSF_IJNSV_INSF_IJSI_SN_SN_NSH_IiLi32EEEEEELb0EEEEEENSF_IJS14_EEENSF_IJNS5_IJLi1ELi2ELi3ELi4EEEEEEES1U_NSH_IlLl256EEEEENSE_INSF_IJSP_SS_SU_SX_SY_SU_SZ_S12_SU_NS10_INSF_IJSI_SK_EEEEENSV_INSF_IJSI_NSH_IiLi2EEESK_EEELb0EEEEEENSF_IJS14_S15_S16_S17_S18_S19_S1A_S1B_S1C_NS5_IJLi11ELi13EEEES1J_EEENSF_IJS1E_S1F_S19_S1G_S1H_S1C_S1I_S1J_S1K_NS5_IJLi14EEEENS5_IJLi15ELi16ELi17EEEEEEENS5_IJLi15ELi16ELi17ELi14EEEES1N_EENSE_INSF_IJS1R_NS10_ISW_EES22_EEENSF_IJS14_NS5_IJLi1ELi3EEEENS5_IJLi2EEEEEEENSF_IJS1U_S17_NS5_IJLi6ELi7ELi8EEEEEEENS5_IJLi6ELi7ELi8ELi5EEEES1W_EELi16ELi32ELi256ELi256ELi128ELi16ELi16ELi8ELi8ELi32ELb0EE3RunILb1ELNS_10TailNumberE1ENSE_INSF_IJNSG_INSF_IJiiEEENSF_IJiSN_EEELb0EEENSV_IS2N_Lb0EEENST_IiEEEEENSF_IJS14_S2E_NS5_IJLi1EEEEEEENSF_IJNS5_IJLi1ELi2EEEENS5_IJLi3ELi4EEEES17_EEENS5_IJLi3ELi5ELi4EEEElEES1O_NS_35ThreadGroupTensorSliceTransfer_v4r1INS_15ThisThreadBlockILi256EEENS_16tensor_operation12element_wise11PassThroughES35_LNS_25InMemoryDataOperationEnumE0ENS5_IJLi8ELi256ELi16EEEENS5_IJLi8ELi32ELi1EEEENS5_IJLi1ELi0ELi2EEEESC_SC_RKS2Z_KS1O_S39_NS5_IJLi0ELi1ELi2EEEELi2ELi2ELi16ELi16ELi1ELi1ELb0ELb1ELi2EiEENS_13DynamicBufferILNS_16AddressSpaceEnumE1EKSC_lLb1ELNS_22AmdBufferCoherenceEnumE0EiEENSF_IJNS3F_ILS3G_2ESC_S1N_Lb1ELS3I_0EiEES3K_EEENSF_IJiiiEEENSE_INSF_IJNSG_INSF_IJiiiiEEENSF_IJiiiSN_EEELb0EEEEEES1T_S1V_S1U_lEENS_32ThreadwiseTensorSliceTransfer_v2ISD_SD_RKS3R_KS1X_NS5_IJLi8ELi1ELi1ELi32EEEENS5_IJLi1ELi2ELi0ELi3EEEELi3ELi32ELi0ELb1ELb0ELb0EEENS3F_ILS3G_1EKSD_lLb1ELS3I_0EiEENSF_IJNS_12StaticBufferILS3G_4ESD_Li256ELb1EEES42_EEES3N_NS_25StaticBufferTupleOfVectorILS3G_4EfLi64ELi4ELb1ELb0EEEEEvRKT1_RKT2_RT3_RKT4_RT5_RKT6_RKT7_RT8_RKT9_RT10_RKT11_RT12_iENKUlT_E0_clINSH_IiLi6EEEEEDaS51_EUlS51_E_EEvS51_EUlS51_E_EEvS51_
; %bb.0:
	s_waitcnt vmcnt(0) expcnt(0) lgkmcnt(0)
	flat_load_dwordx4 v[20:23], v[0:1] offset:8
	flat_load_dwordx2 v[18:19], v[0:1] offset:24
	s_movk_i32 s4, 0x7f
                                        ; implicit-def: $sgpr10
	s_waitcnt vmcnt(0) lgkmcnt(0)
	flat_load_dwordx4 v[14:17], v[20:21]
	flat_load_dwordx4 v[10:13], v[22:23]
	flat_load_dwordx4 v[6:9], v[20:21] offset:16
	flat_load_dwordx4 v[2:5], v[22:23] offset:16
	s_waitcnt vmcnt(0) lgkmcnt(0)
	v_cmp_gt_i16_sdwa s[6:7], v14, s4 src0_sel:BYTE_0 src1_sel:DWORD
	s_mov_b64 s[4:5], 0
	s_and_saveexec_b64 s[8:9], s[6:7]
	s_xor_b64 s[6:7], exec, s[8:9]
	s_cbranch_execnz .LBB50_2049
; %bb.1:
	s_or_saveexec_b64 s[6:7], s[6:7]
	v_mov_b32_e32 v20, s10
	s_xor_b64 exec, exec, s[6:7]
	s_cbranch_execnz .LBB50_2052
.LBB50_2:
	s_or_b64 exec, exec, s[6:7]
	s_and_saveexec_b64 s[6:7], s[4:5]
	s_cbranch_execz .LBB50_4
.LBB50_3:
	v_and_b32_e32 v20, 7, v14
	v_ffbh_u32_e32 v22, v20
	v_min_u32_e32 v22, 32, v22
	v_lshrrev_b16_e32 v21, 3, v14
	v_subrev_u32_e32 v23, 28, v22
	v_and_b32_e32 v21, 15, v21
	v_lshlrev_b32_e32 v23, v23, v14
	v_sub_u32_e32 v22, 29, v22
	v_and_b32_e32 v23, 7, v23
	v_cmp_eq_u16_e32 vcc, 0, v21
	v_cndmask_b32_e32 v20, v20, v23, vcc
	v_cndmask_b32_e32 v21, v21, v22, vcc
	v_lshlrev_b32_e32 v22, 24, v14
	v_mov_b32_e32 v23, 0x3b800000
	v_lshlrev_b32_e32 v20, 20, v20
	v_and_b32_e32 v22, 0x80000000, v22
	v_lshl_add_u32 v21, v21, 23, v23
	v_or3_b32 v20, v22, v21, v20
.LBB50_4:
	s_or_b64 exec, exec, s[6:7]
	s_movk_i32 s4, 0x7f
	v_cmp_gt_i16_sdwa s[6:7], v10, s4 src0_sel:BYTE_0 src1_sel:DWORD
	s_mov_b64 s[4:5], 0
                                        ; implicit-def: $sgpr10
	s_and_saveexec_b64 s[8:9], s[6:7]
	s_xor_b64 s[6:7], exec, s[8:9]
	s_cbranch_execnz .LBB50_2053
; %bb.5:
	s_or_saveexec_b64 s[6:7], s[6:7]
	v_mov_b32_e32 v21, s10
	s_xor_b64 exec, exec, s[6:7]
	s_cbranch_execnz .LBB50_2056
.LBB50_6:
	s_or_b64 exec, exec, s[6:7]
	s_and_saveexec_b64 s[6:7], s[4:5]
	s_cbranch_execz .LBB50_8
.LBB50_7:
	v_and_b32_e32 v21, 7, v10
	v_ffbh_u32_e32 v23, v21
	v_min_u32_e32 v23, 32, v23
	v_lshrrev_b16_e32 v22, 3, v10
	v_subrev_u32_e32 v24, 28, v23
	v_and_b32_e32 v22, 15, v22
	v_lshlrev_b32_e32 v24, v24, v10
	v_sub_u32_e32 v23, 29, v23
	v_and_b32_e32 v24, 7, v24
	v_cmp_eq_u16_e32 vcc, 0, v22
	v_cndmask_b32_e32 v21, v21, v24, vcc
	v_cndmask_b32_e32 v22, v22, v23, vcc
	v_lshlrev_b32_e32 v23, 24, v10
	v_mov_b32_e32 v24, 0x3b800000
	v_lshlrev_b32_e32 v21, 20, v21
	v_and_b32_e32 v23, 0x80000000, v23
	v_lshl_add_u32 v22, v22, 23, v24
	v_or3_b32 v21, v23, v22, v21
.LBB50_8:
	s_or_b64 exec, exec, s[6:7]
	flat_load_dwordx4 a[0:3], v[18:19] offset:768
	s_movk_i32 s4, 0x7f
                                        ; implicit-def: $sgpr10
	s_waitcnt vmcnt(0) lgkmcnt(0)
	v_mfma_f32_16x16x4f32 a[0:3], v20, v21, a[0:3]
	v_lshrrev_b32_e32 v21, 8, v14
	v_cmp_gt_i16_sdwa s[6:7], v21, s4 src0_sel:BYTE_0 src1_sel:DWORD
	s_mov_b64 s[4:5], 0
	s_and_saveexec_b64 s[8:9], s[6:7]
	s_xor_b64 s[6:7], exec, s[8:9]
	s_cbranch_execnz .LBB50_2057
; %bb.9:
	s_or_saveexec_b64 s[6:7], s[6:7]
	v_mov_b32_e32 v20, s10
	s_xor_b64 exec, exec, s[6:7]
	s_cbranch_execnz .LBB50_2060
.LBB50_10:
	s_or_b64 exec, exec, s[6:7]
	s_and_saveexec_b64 s[6:7], s[4:5]
	s_cbranch_execz .LBB50_12
.LBB50_11:
	v_bfe_u32 v20, v14, 8, 3
	v_ffbh_u32_e32 v23, v20
	v_min_u32_e32 v23, 32, v23
	v_lshrrev_b16_e32 v22, 3, v21
	v_subrev_u32_e32 v24, 28, v23
	v_and_b32_e32 v22, 15, v22
	v_lshlrev_b32_e32 v21, v24, v21
	v_sub_u32_e32 v23, 29, v23
	v_and_b32_e32 v21, 7, v21
	v_cmp_eq_u16_e32 vcc, 0, v22
	v_cndmask_b32_e32 v20, v20, v21, vcc
	v_cndmask_b32_e32 v21, v22, v23, vcc
	v_lshlrev_b32_e32 v22, 16, v14
	v_mov_b32_e32 v23, 0x3b800000
	v_lshlrev_b32_e32 v20, 20, v20
	v_and_b32_e32 v22, 0x80000000, v22
	v_lshl_add_u32 v21, v21, 23, v23
	v_or3_b32 v20, v22, v21, v20
.LBB50_12:
	s_or_b64 exec, exec, s[6:7]
	v_lshrrev_b32_e32 v21, 8, v10
	s_movk_i32 s4, 0x7f
	v_cmp_gt_i16_sdwa s[6:7], v21, s4 src0_sel:BYTE_0 src1_sel:DWORD
	s_mov_b64 s[4:5], 0
                                        ; implicit-def: $sgpr10
	s_and_saveexec_b64 s[8:9], s[6:7]
	s_xor_b64 s[6:7], exec, s[8:9]
	s_cbranch_execnz .LBB50_2061
; %bb.13:
	s_or_saveexec_b64 s[6:7], s[6:7]
	v_mov_b32_e32 v22, s10
	s_xor_b64 exec, exec, s[6:7]
	s_cbranch_execnz .LBB50_2064
.LBB50_14:
	s_or_b64 exec, exec, s[6:7]
	s_and_saveexec_b64 s[6:7], s[4:5]
	s_cbranch_execz .LBB50_16
.LBB50_15:
	v_bfe_u32 v22, v10, 8, 3
	v_ffbh_u32_e32 v24, v22
	v_min_u32_e32 v24, 32, v24
	v_lshrrev_b16_e32 v23, 3, v21
	v_subrev_u32_e32 v25, 28, v24
	v_and_b32_e32 v23, 15, v23
	v_lshlrev_b32_e32 v21, v25, v21
	v_sub_u32_e32 v24, 29, v24
	v_and_b32_e32 v21, 7, v21
	v_cmp_eq_u16_e32 vcc, 0, v23
	v_cndmask_b32_e32 v21, v22, v21, vcc
	v_cndmask_b32_e32 v22, v23, v24, vcc
	v_lshlrev_b32_e32 v23, 16, v10
	v_mov_b32_e32 v24, 0x3b800000
	v_lshlrev_b32_e32 v21, 20, v21
	v_and_b32_e32 v23, 0x80000000, v23
	v_lshl_add_u32 v22, v22, 23, v24
	v_or3_b32 v22, v23, v22, v21
.LBB50_16:
	s_or_b64 exec, exec, s[6:7]
	s_nop 0
	v_mfma_f32_16x16x4f32 a[0:3], v20, v22, a[0:3]
	s_movk_i32 s4, 0xff
	v_and_b32_sdwa v21, v14, s4 dst_sel:DWORD dst_unused:UNUSED_PAD src0_sel:WORD_1 src1_sel:DWORD
	s_movk_i32 s4, 0x7f
	v_cmp_lt_i16_e32 vcc, s4, v21
	s_mov_b64 s[4:5], 0
                                        ; implicit-def: $sgpr10
	s_and_saveexec_b64 s[6:7], vcc
	s_xor_b64 s[6:7], exec, s[6:7]
	s_cbranch_execnz .LBB50_2065
; %bb.17:
	s_or_saveexec_b64 s[6:7], s[6:7]
	v_mov_b32_e32 v20, s10
	s_xor_b64 exec, exec, s[6:7]
	s_cbranch_execnz .LBB50_2068
.LBB50_18:
	s_or_b64 exec, exec, s[6:7]
	s_and_saveexec_b64 s[6:7], s[4:5]
	s_cbranch_execz .LBB50_20
.LBB50_19:
	v_bfe_u32 v20, v14, 16, 3
	v_ffbh_u32_e32 v23, v20
	v_min_u32_e32 v23, 32, v23
	v_lshrrev_b32_e32 v21, 19, v14
	v_subrev_u32_e32 v24, 28, v23
	v_and_b32_e32 v21, 15, v21
	v_lshlrev_b32_sdwa v24, v24, v14 dst_sel:DWORD dst_unused:UNUSED_PAD src0_sel:DWORD src1_sel:WORD_1
	v_bfe_u32 v22, v14, 19, 4
	v_sub_u32_e32 v23, 29, v23
	v_and_b32_e32 v24, 7, v24
	v_cmp_eq_u16_e32 vcc, 0, v21
	v_cndmask_b32_e32 v20, v20, v24, vcc
	v_cndmask_b32_e32 v21, v22, v23, vcc
	v_lshlrev_b32_e32 v22, 8, v14
	v_mov_b32_e32 v23, 0x3b800000
	v_lshlrev_b32_e32 v20, 20, v20
	v_and_b32_e32 v22, 0x80000000, v22
	v_lshl_add_u32 v21, v21, 23, v23
	v_or3_b32 v20, v22, v21, v20
.LBB50_20:
	s_or_b64 exec, exec, s[6:7]
	s_movk_i32 s4, 0xff
	v_and_b32_sdwa v21, v10, s4 dst_sel:DWORD dst_unused:UNUSED_PAD src0_sel:WORD_1 src1_sel:DWORD
	s_movk_i32 s4, 0x7f
	v_cmp_lt_i16_e32 vcc, s4, v21
	s_mov_b64 s[4:5], 0
                                        ; implicit-def: $sgpr10
	s_and_saveexec_b64 s[6:7], vcc
	s_xor_b64 s[6:7], exec, s[6:7]
	s_cbranch_execnz .LBB50_2069
; %bb.21:
	s_or_saveexec_b64 s[6:7], s[6:7]
	v_mov_b32_e32 v22, s10
	s_xor_b64 exec, exec, s[6:7]
	s_cbranch_execnz .LBB50_2072
.LBB50_22:
	s_or_b64 exec, exec, s[6:7]
	s_and_saveexec_b64 s[6:7], s[4:5]
	s_cbranch_execz .LBB50_24
.LBB50_23:
	v_bfe_u32 v21, v10, 16, 3
	v_ffbh_u32_e32 v24, v21
	v_min_u32_e32 v24, 32, v24
	v_lshrrev_b32_e32 v22, 19, v10
	v_subrev_u32_e32 v25, 28, v24
	v_and_b32_e32 v22, 15, v22
	v_lshlrev_b32_sdwa v25, v25, v10 dst_sel:DWORD dst_unused:UNUSED_PAD src0_sel:DWORD src1_sel:WORD_1
	v_bfe_u32 v23, v10, 19, 4
	v_sub_u32_e32 v24, 29, v24
	v_and_b32_e32 v25, 7, v25
	v_cmp_eq_u16_e32 vcc, 0, v22
	v_cndmask_b32_e32 v21, v21, v25, vcc
	v_cndmask_b32_e32 v22, v23, v24, vcc
	v_lshlrev_b32_e32 v23, 8, v10
	v_mov_b32_e32 v24, 0x3b800000
	v_lshlrev_b32_e32 v21, 20, v21
	v_and_b32_e32 v23, 0x80000000, v23
	v_lshl_add_u32 v22, v22, 23, v24
	v_or3_b32 v22, v23, v22, v21
.LBB50_24:
	s_or_b64 exec, exec, s[6:7]
	s_nop 0
	v_mfma_f32_16x16x4f32 a[0:3], v20, v22, a[0:3]
	s_movk_i32 s4, 0x7f
	v_cmp_gt_i16_sdwa s[6:7], v14, s4 src0_sel:BYTE_3 src1_sel:DWORD
	s_mov_b64 s[4:5], 0
                                        ; implicit-def: $sgpr10
	s_and_saveexec_b64 s[8:9], s[6:7]
	s_xor_b64 s[6:7], exec, s[8:9]
	s_cbranch_execnz .LBB50_2073
; %bb.25:
	s_or_saveexec_b64 s[6:7], s[6:7]
	v_mov_b32_e32 v20, s10
	s_xor_b64 exec, exec, s[6:7]
	s_cbranch_execnz .LBB50_2076
.LBB50_26:
	s_or_b64 exec, exec, s[6:7]
	s_and_saveexec_b64 s[6:7], s[4:5]
	s_cbranch_execz .LBB50_28
.LBB50_27:
	v_bfe_u32 v20, v14, 24, 3
	v_ffbh_u32_e32 v24, v20
	v_min_u32_e32 v24, 32, v24
	v_lshrrev_b32_e32 v22, 27, v14
	v_subrev_u32_e32 v25, 28, v24
	v_and_b32_e32 v21, 0x80000000, v14
	v_and_b32_e32 v22, 15, v22
	v_bfe_u32 v23, v14, 27, 4
	v_lshlrev_b32_sdwa v14, v25, v14 dst_sel:DWORD dst_unused:UNUSED_PAD src0_sel:DWORD src1_sel:BYTE_3
	v_sub_u32_e32 v24, 29, v24
	v_and_b32_e32 v14, 7, v14
	v_cmp_eq_u16_e32 vcc, 0, v22
	v_cndmask_b32_e32 v14, v20, v14, vcc
	v_cndmask_b32_e32 v20, v23, v24, vcc
	v_mov_b32_e32 v22, 0x3b800000
	v_lshlrev_b32_e32 v14, 20, v14
	v_lshl_add_u32 v20, v20, 23, v22
	v_or3_b32 v20, v21, v20, v14
.LBB50_28:
	s_or_b64 exec, exec, s[6:7]
	s_movk_i32 s4, 0x7f
	v_cmp_gt_i16_sdwa s[6:7], v10, s4 src0_sel:BYTE_3 src1_sel:DWORD
	s_mov_b64 s[4:5], 0
                                        ; implicit-def: $sgpr10
	s_and_saveexec_b64 s[8:9], s[6:7]
	s_xor_b64 s[6:7], exec, s[8:9]
	s_cbranch_execnz .LBB50_2077
; %bb.29:
	s_or_saveexec_b64 s[6:7], s[6:7]
	v_mov_b32_e32 v14, s10
	s_xor_b64 exec, exec, s[6:7]
	s_cbranch_execnz .LBB50_2080
.LBB50_30:
	s_or_b64 exec, exec, s[6:7]
	s_and_saveexec_b64 s[6:7], s[4:5]
	s_cbranch_execz .LBB50_32
.LBB50_31:
	v_bfe_u32 v14, v10, 24, 3
	v_ffbh_u32_e32 v24, v14
	v_min_u32_e32 v24, 32, v24
	v_lshrrev_b32_e32 v22, 27, v10
	v_subrev_u32_e32 v25, 28, v24
	v_and_b32_e32 v21, 0x80000000, v10
	v_and_b32_e32 v22, 15, v22
	v_bfe_u32 v23, v10, 27, 4
	v_lshlrev_b32_sdwa v10, v25, v10 dst_sel:DWORD dst_unused:UNUSED_PAD src0_sel:DWORD src1_sel:BYTE_3
	v_sub_u32_e32 v24, 29, v24
	v_and_b32_e32 v10, 7, v10
	v_cmp_eq_u16_e32 vcc, 0, v22
	v_cndmask_b32_e32 v10, v14, v10, vcc
	v_cndmask_b32_e32 v14, v23, v24, vcc
	v_mov_b32_e32 v22, 0x3b800000
	v_lshlrev_b32_e32 v10, 20, v10
	v_lshl_add_u32 v14, v14, 23, v22
	v_or3_b32 v14, v21, v14, v10
.LBB50_32:
	s_or_b64 exec, exec, s[6:7]
	s_nop 0
	v_mfma_f32_16x16x4f32 a[0:3], v20, v14, a[0:3]
	s_movk_i32 s4, 0x7f
	v_cmp_gt_i16_sdwa s[6:7], v15, s4 src0_sel:BYTE_0 src1_sel:DWORD
	s_mov_b64 s[4:5], 0
                                        ; implicit-def: $sgpr10
	s_and_saveexec_b64 s[8:9], s[6:7]
	s_xor_b64 s[6:7], exec, s[8:9]
	s_cbranch_execnz .LBB50_2081
; %bb.33:
	s_or_saveexec_b64 s[6:7], s[6:7]
	v_mov_b32_e32 v10, s10
	s_xor_b64 exec, exec, s[6:7]
	s_cbranch_execnz .LBB50_2084
.LBB50_34:
	s_or_b64 exec, exec, s[6:7]
	s_and_saveexec_b64 s[6:7], s[4:5]
	s_cbranch_execz .LBB50_36
.LBB50_35:
	v_and_b32_e32 v10, 7, v15
	v_ffbh_u32_e32 v20, v10
	v_min_u32_e32 v20, 32, v20
	v_lshrrev_b16_e32 v14, 3, v15
	v_subrev_u32_e32 v21, 28, v20
	v_and_b32_e32 v14, 15, v14
	v_lshlrev_b32_e32 v21, v21, v15
	v_sub_u32_e32 v20, 29, v20
	v_and_b32_e32 v21, 7, v21
	v_cmp_eq_u16_e32 vcc, 0, v14
	v_cndmask_b32_e32 v10, v10, v21, vcc
	v_cndmask_b32_e32 v14, v14, v20, vcc
	v_lshlrev_b32_e32 v20, 24, v15
	v_mov_b32_e32 v21, 0x3b800000
	v_lshlrev_b32_e32 v10, 20, v10
	v_and_b32_e32 v20, 0x80000000, v20
	v_lshl_add_u32 v14, v14, 23, v21
	v_or3_b32 v10, v20, v14, v10
.LBB50_36:
	s_or_b64 exec, exec, s[6:7]
	s_movk_i32 s4, 0x7f
	v_cmp_gt_i16_sdwa s[6:7], v11, s4 src0_sel:BYTE_0 src1_sel:DWORD
	s_mov_b64 s[4:5], 0
                                        ; implicit-def: $sgpr10
	s_and_saveexec_b64 s[8:9], s[6:7]
	s_xor_b64 s[6:7], exec, s[8:9]
	s_cbranch_execnz .LBB50_2085
; %bb.37:
	s_or_saveexec_b64 s[6:7], s[6:7]
	v_mov_b32_e32 v14, s10
	s_xor_b64 exec, exec, s[6:7]
	s_cbranch_execnz .LBB50_2088
.LBB50_38:
	s_or_b64 exec, exec, s[6:7]
	s_and_saveexec_b64 s[6:7], s[4:5]
	s_cbranch_execz .LBB50_40
.LBB50_39:
	v_and_b32_e32 v14, 7, v11
	v_ffbh_u32_e32 v21, v14
	v_min_u32_e32 v21, 32, v21
	v_lshrrev_b16_e32 v20, 3, v11
	v_subrev_u32_e32 v22, 28, v21
	v_and_b32_e32 v20, 15, v20
	v_lshlrev_b32_e32 v22, v22, v11
	v_sub_u32_e32 v21, 29, v21
	v_and_b32_e32 v22, 7, v22
	v_cmp_eq_u16_e32 vcc, 0, v20
	v_cndmask_b32_e32 v14, v14, v22, vcc
	v_cndmask_b32_e32 v20, v20, v21, vcc
	v_lshlrev_b32_e32 v21, 24, v11
	v_mov_b32_e32 v22, 0x3b800000
	v_lshlrev_b32_e32 v14, 20, v14
	v_and_b32_e32 v21, 0x80000000, v21
	v_lshl_add_u32 v20, v20, 23, v22
	v_or3_b32 v14, v21, v20, v14
.LBB50_40:
	s_or_b64 exec, exec, s[6:7]
	s_nop 0
	v_mfma_f32_16x16x4f32 a[0:3], v10, v14, a[0:3]
	v_lshrrev_b32_e32 v14, 8, v15
	s_movk_i32 s4, 0x7f
	v_cmp_gt_i16_sdwa s[6:7], v14, s4 src0_sel:BYTE_0 src1_sel:DWORD
	s_mov_b64 s[4:5], 0
                                        ; implicit-def: $sgpr10
	s_and_saveexec_b64 s[8:9], s[6:7]
	s_xor_b64 s[6:7], exec, s[8:9]
	s_cbranch_execnz .LBB50_2089
; %bb.41:
	s_or_saveexec_b64 s[6:7], s[6:7]
	v_mov_b32_e32 v10, s10
	s_xor_b64 exec, exec, s[6:7]
	s_cbranch_execnz .LBB50_2092
.LBB50_42:
	s_or_b64 exec, exec, s[6:7]
	s_and_saveexec_b64 s[6:7], s[4:5]
	s_cbranch_execz .LBB50_44
.LBB50_43:
	v_bfe_u32 v10, v15, 8, 3
	v_ffbh_u32_e32 v21, v10
	v_min_u32_e32 v21, 32, v21
	v_lshrrev_b16_e32 v20, 3, v14
	v_subrev_u32_e32 v22, 28, v21
	v_and_b32_e32 v20, 15, v20
	v_lshlrev_b32_e32 v14, v22, v14
	v_sub_u32_e32 v21, 29, v21
	v_and_b32_e32 v14, 7, v14
	v_cmp_eq_u16_e32 vcc, 0, v20
	v_cndmask_b32_e32 v10, v10, v14, vcc
	v_cndmask_b32_e32 v14, v20, v21, vcc
	v_lshlrev_b32_e32 v20, 16, v15
	v_mov_b32_e32 v21, 0x3b800000
	v_lshlrev_b32_e32 v10, 20, v10
	v_and_b32_e32 v20, 0x80000000, v20
	v_lshl_add_u32 v14, v14, 23, v21
	v_or3_b32 v10, v20, v14, v10
.LBB50_44:
	s_or_b64 exec, exec, s[6:7]
	v_lshrrev_b32_e32 v14, 8, v11
	s_movk_i32 s4, 0x7f
	v_cmp_gt_i16_sdwa s[6:7], v14, s4 src0_sel:BYTE_0 src1_sel:DWORD
	s_mov_b64 s[4:5], 0
                                        ; implicit-def: $sgpr10
	s_and_saveexec_b64 s[8:9], s[6:7]
	s_xor_b64 s[6:7], exec, s[8:9]
	s_cbranch_execnz .LBB50_2093
; %bb.45:
	s_or_saveexec_b64 s[6:7], s[6:7]
	v_mov_b32_e32 v20, s10
	s_xor_b64 exec, exec, s[6:7]
	s_cbranch_execnz .LBB50_2096
.LBB50_46:
	s_or_b64 exec, exec, s[6:7]
	s_and_saveexec_b64 s[6:7], s[4:5]
	s_cbranch_execz .LBB50_48
.LBB50_47:
	v_bfe_u32 v20, v11, 8, 3
	v_ffbh_u32_e32 v22, v20
	v_min_u32_e32 v22, 32, v22
	v_lshrrev_b16_e32 v21, 3, v14
	v_subrev_u32_e32 v23, 28, v22
	v_and_b32_e32 v21, 15, v21
	v_lshlrev_b32_e32 v14, v23, v14
	v_sub_u32_e32 v22, 29, v22
	v_and_b32_e32 v14, 7, v14
	v_cmp_eq_u16_e32 vcc, 0, v21
	v_cndmask_b32_e32 v14, v20, v14, vcc
	v_cndmask_b32_e32 v20, v21, v22, vcc
	v_lshlrev_b32_e32 v21, 16, v11
	v_mov_b32_e32 v22, 0x3b800000
	v_lshlrev_b32_e32 v14, 20, v14
	v_and_b32_e32 v21, 0x80000000, v21
	v_lshl_add_u32 v20, v20, 23, v22
	v_or3_b32 v20, v21, v20, v14
.LBB50_48:
	s_or_b64 exec, exec, s[6:7]
	s_nop 0
	v_mfma_f32_16x16x4f32 a[0:3], v10, v20, a[0:3]
	s_movk_i32 s4, 0xff
	v_and_b32_sdwa v14, v15, s4 dst_sel:DWORD dst_unused:UNUSED_PAD src0_sel:WORD_1 src1_sel:DWORD
	s_movk_i32 s4, 0x7f
	v_cmp_lt_i16_e32 vcc, s4, v14
	s_mov_b64 s[4:5], 0
                                        ; implicit-def: $sgpr10
	s_and_saveexec_b64 s[6:7], vcc
	s_xor_b64 s[6:7], exec, s[6:7]
	s_cbranch_execnz .LBB50_2097
; %bb.49:
	s_or_saveexec_b64 s[6:7], s[6:7]
	v_mov_b32_e32 v10, s10
	s_xor_b64 exec, exec, s[6:7]
	s_cbranch_execnz .LBB50_2100
.LBB50_50:
	s_or_b64 exec, exec, s[6:7]
	s_and_saveexec_b64 s[6:7], s[4:5]
	s_cbranch_execz .LBB50_52
.LBB50_51:
	v_bfe_u32 v10, v15, 16, 3
	v_ffbh_u32_e32 v21, v10
	v_min_u32_e32 v21, 32, v21
	v_lshrrev_b32_e32 v14, 19, v15
	v_subrev_u32_e32 v22, 28, v21
	v_and_b32_e32 v14, 15, v14
	v_lshlrev_b32_sdwa v22, v22, v15 dst_sel:DWORD dst_unused:UNUSED_PAD src0_sel:DWORD src1_sel:WORD_1
	v_bfe_u32 v20, v15, 19, 4
	v_sub_u32_e32 v21, 29, v21
	v_and_b32_e32 v22, 7, v22
	v_cmp_eq_u16_e32 vcc, 0, v14
	v_cndmask_b32_e32 v10, v10, v22, vcc
	v_cndmask_b32_e32 v14, v20, v21, vcc
	v_lshlrev_b32_e32 v20, 8, v15
	v_mov_b32_e32 v21, 0x3b800000
	v_lshlrev_b32_e32 v10, 20, v10
	v_and_b32_e32 v20, 0x80000000, v20
	v_lshl_add_u32 v14, v14, 23, v21
	v_or3_b32 v10, v20, v14, v10
.LBB50_52:
	s_or_b64 exec, exec, s[6:7]
	s_movk_i32 s4, 0xff
	v_and_b32_sdwa v14, v11, s4 dst_sel:DWORD dst_unused:UNUSED_PAD src0_sel:WORD_1 src1_sel:DWORD
	s_movk_i32 s4, 0x7f
	v_cmp_lt_i16_e32 vcc, s4, v14
	s_mov_b64 s[4:5], 0
                                        ; implicit-def: $sgpr10
	s_and_saveexec_b64 s[6:7], vcc
	s_xor_b64 s[6:7], exec, s[6:7]
	s_cbranch_execnz .LBB50_2101
; %bb.53:
	s_or_saveexec_b64 s[6:7], s[6:7]
	v_mov_b32_e32 v20, s10
	s_xor_b64 exec, exec, s[6:7]
	s_cbranch_execnz .LBB50_2104
.LBB50_54:
	s_or_b64 exec, exec, s[6:7]
	s_and_saveexec_b64 s[6:7], s[4:5]
	s_cbranch_execz .LBB50_56
.LBB50_55:
	v_bfe_u32 v14, v11, 16, 3
	v_ffbh_u32_e32 v22, v14
	v_min_u32_e32 v22, 32, v22
	v_lshrrev_b32_e32 v20, 19, v11
	v_subrev_u32_e32 v23, 28, v22
	v_and_b32_e32 v20, 15, v20
	v_lshlrev_b32_sdwa v23, v23, v11 dst_sel:DWORD dst_unused:UNUSED_PAD src0_sel:DWORD src1_sel:WORD_1
	v_bfe_u32 v21, v11, 19, 4
	v_sub_u32_e32 v22, 29, v22
	v_and_b32_e32 v23, 7, v23
	v_cmp_eq_u16_e32 vcc, 0, v20
	v_cndmask_b32_e32 v14, v14, v23, vcc
	v_cndmask_b32_e32 v20, v21, v22, vcc
	v_lshlrev_b32_e32 v21, 8, v11
	v_mov_b32_e32 v22, 0x3b800000
	v_lshlrev_b32_e32 v14, 20, v14
	v_and_b32_e32 v21, 0x80000000, v21
	v_lshl_add_u32 v20, v20, 23, v22
	v_or3_b32 v20, v21, v20, v14
.LBB50_56:
	s_or_b64 exec, exec, s[6:7]
	s_nop 0
	v_mfma_f32_16x16x4f32 a[0:3], v10, v20, a[0:3]
	s_movk_i32 s4, 0x7f
	v_cmp_gt_i16_sdwa s[6:7], v15, s4 src0_sel:BYTE_3 src1_sel:DWORD
	s_mov_b64 s[4:5], 0
                                        ; implicit-def: $sgpr10
	s_and_saveexec_b64 s[8:9], s[6:7]
	s_xor_b64 s[6:7], exec, s[8:9]
	s_cbranch_execnz .LBB50_2105
; %bb.57:
	s_or_saveexec_b64 s[6:7], s[6:7]
	v_mov_b32_e32 v10, s10
	s_xor_b64 exec, exec, s[6:7]
	s_cbranch_execnz .LBB50_2108
.LBB50_58:
	s_or_b64 exec, exec, s[6:7]
	s_and_saveexec_b64 s[6:7], s[4:5]
	s_cbranch_execz .LBB50_60
.LBB50_59:
	v_bfe_u32 v10, v15, 24, 3
	v_ffbh_u32_e32 v22, v10
	v_min_u32_e32 v22, 32, v22
	v_lshrrev_b32_e32 v20, 27, v15
	v_subrev_u32_e32 v23, 28, v22
	v_and_b32_e32 v14, 0x80000000, v15
	v_and_b32_e32 v20, 15, v20
	v_bfe_u32 v21, v15, 27, 4
	v_lshlrev_b32_sdwa v15, v23, v15 dst_sel:DWORD dst_unused:UNUSED_PAD src0_sel:DWORD src1_sel:BYTE_3
	v_sub_u32_e32 v22, 29, v22
	v_and_b32_e32 v15, 7, v15
	v_cmp_eq_u16_e32 vcc, 0, v20
	v_cndmask_b32_e32 v10, v10, v15, vcc
	v_cndmask_b32_e32 v15, v21, v22, vcc
	v_mov_b32_e32 v20, 0x3b800000
	v_lshlrev_b32_e32 v10, 20, v10
	v_lshl_add_u32 v15, v15, 23, v20
	v_or3_b32 v10, v14, v15, v10
.LBB50_60:
	s_or_b64 exec, exec, s[6:7]
	s_movk_i32 s4, 0x7f
	v_cmp_gt_i16_sdwa s[6:7], v11, s4 src0_sel:BYTE_3 src1_sel:DWORD
	s_mov_b64 s[4:5], 0
                                        ; implicit-def: $sgpr10
	s_and_saveexec_b64 s[8:9], s[6:7]
	s_xor_b64 s[6:7], exec, s[8:9]
	s_cbranch_execnz .LBB50_2109
; %bb.61:
	s_or_saveexec_b64 s[6:7], s[6:7]
	v_mov_b32_e32 v14, s10
	s_xor_b64 exec, exec, s[6:7]
	s_cbranch_execnz .LBB50_2112
.LBB50_62:
	s_or_b64 exec, exec, s[6:7]
	s_and_saveexec_b64 s[6:7], s[4:5]
	s_cbranch_execz .LBB50_64
.LBB50_63:
	v_bfe_u32 v14, v11, 24, 3
	v_ffbh_u32_e32 v22, v14
	v_min_u32_e32 v22, 32, v22
	v_lshrrev_b32_e32 v20, 27, v11
	v_subrev_u32_e32 v23, 28, v22
	v_and_b32_e32 v15, 0x80000000, v11
	v_and_b32_e32 v20, 15, v20
	v_bfe_u32 v21, v11, 27, 4
	v_lshlrev_b32_sdwa v11, v23, v11 dst_sel:DWORD dst_unused:UNUSED_PAD src0_sel:DWORD src1_sel:BYTE_3
	v_sub_u32_e32 v22, 29, v22
	v_and_b32_e32 v11, 7, v11
	v_cmp_eq_u16_e32 vcc, 0, v20
	v_cndmask_b32_e32 v11, v14, v11, vcc
	v_cndmask_b32_e32 v14, v21, v22, vcc
	v_mov_b32_e32 v20, 0x3b800000
	v_lshlrev_b32_e32 v11, 20, v11
	v_lshl_add_u32 v14, v14, 23, v20
	v_or3_b32 v14, v15, v14, v11
.LBB50_64:
	s_or_b64 exec, exec, s[6:7]
	s_nop 0
	v_mfma_f32_16x16x4f32 a[0:3], v10, v14, a[0:3]
	s_movk_i32 s4, 0x7f
	v_cmp_gt_i16_sdwa s[6:7], v16, s4 src0_sel:BYTE_0 src1_sel:DWORD
	s_mov_b64 s[4:5], 0
                                        ; implicit-def: $sgpr10
	s_and_saveexec_b64 s[8:9], s[6:7]
	s_xor_b64 s[6:7], exec, s[8:9]
	s_cbranch_execnz .LBB50_2113
; %bb.65:
	s_or_saveexec_b64 s[6:7], s[6:7]
	v_mov_b32_e32 v10, s10
	s_xor_b64 exec, exec, s[6:7]
	s_cbranch_execnz .LBB50_2116
.LBB50_66:
	s_or_b64 exec, exec, s[6:7]
	s_and_saveexec_b64 s[6:7], s[4:5]
	s_cbranch_execz .LBB50_68
.LBB50_67:
	v_and_b32_e32 v10, 7, v16
	v_ffbh_u32_e32 v14, v10
	v_min_u32_e32 v14, 32, v14
	v_lshrrev_b16_e32 v11, 3, v16
	v_subrev_u32_e32 v15, 28, v14
	v_and_b32_e32 v11, 15, v11
	v_lshlrev_b32_e32 v15, v15, v16
	v_sub_u32_e32 v14, 29, v14
	v_and_b32_e32 v15, 7, v15
	v_cmp_eq_u16_e32 vcc, 0, v11
	v_cndmask_b32_e32 v10, v10, v15, vcc
	v_cndmask_b32_e32 v11, v11, v14, vcc
	v_lshlrev_b32_e32 v14, 24, v16
	v_mov_b32_e32 v15, 0x3b800000
	v_lshlrev_b32_e32 v10, 20, v10
	v_and_b32_e32 v14, 0x80000000, v14
	v_lshl_add_u32 v11, v11, 23, v15
	v_or3_b32 v10, v14, v11, v10
.LBB50_68:
	s_or_b64 exec, exec, s[6:7]
	s_movk_i32 s4, 0x7f
	v_cmp_gt_i16_sdwa s[6:7], v12, s4 src0_sel:BYTE_0 src1_sel:DWORD
	s_mov_b64 s[4:5], 0
                                        ; implicit-def: $sgpr10
	s_and_saveexec_b64 s[8:9], s[6:7]
	s_xor_b64 s[6:7], exec, s[8:9]
	s_cbranch_execnz .LBB50_2117
; %bb.69:
	s_or_saveexec_b64 s[6:7], s[6:7]
	v_mov_b32_e32 v11, s10
	s_xor_b64 exec, exec, s[6:7]
	s_cbranch_execnz .LBB50_2120
.LBB50_70:
	s_or_b64 exec, exec, s[6:7]
	s_and_saveexec_b64 s[6:7], s[4:5]
	s_cbranch_execz .LBB50_72
.LBB50_71:
	v_and_b32_e32 v11, 7, v12
	v_ffbh_u32_e32 v15, v11
	v_min_u32_e32 v15, 32, v15
	v_lshrrev_b16_e32 v14, 3, v12
	v_subrev_u32_e32 v20, 28, v15
	v_and_b32_e32 v14, 15, v14
	v_lshlrev_b32_e32 v20, v20, v12
	v_sub_u32_e32 v15, 29, v15
	v_and_b32_e32 v20, 7, v20
	v_cmp_eq_u16_e32 vcc, 0, v14
	v_cndmask_b32_e32 v11, v11, v20, vcc
	v_cndmask_b32_e32 v14, v14, v15, vcc
	v_lshlrev_b32_e32 v15, 24, v12
	v_mov_b32_e32 v20, 0x3b800000
	v_lshlrev_b32_e32 v11, 20, v11
	v_and_b32_e32 v15, 0x80000000, v15
	v_lshl_add_u32 v14, v14, 23, v20
	v_or3_b32 v11, v15, v14, v11
.LBB50_72:
	s_or_b64 exec, exec, s[6:7]
	s_nop 0
	v_mfma_f32_16x16x4f32 a[0:3], v10, v11, a[0:3]
	v_lshrrev_b32_e32 v11, 8, v16
	s_movk_i32 s4, 0x7f
	v_cmp_gt_i16_sdwa s[6:7], v11, s4 src0_sel:BYTE_0 src1_sel:DWORD
	s_mov_b64 s[4:5], 0
                                        ; implicit-def: $sgpr10
	s_and_saveexec_b64 s[8:9], s[6:7]
	s_xor_b64 s[6:7], exec, s[8:9]
	s_cbranch_execnz .LBB50_2121
; %bb.73:
	s_or_saveexec_b64 s[6:7], s[6:7]
	v_mov_b32_e32 v10, s10
	s_xor_b64 exec, exec, s[6:7]
	s_cbranch_execnz .LBB50_2124
.LBB50_74:
	s_or_b64 exec, exec, s[6:7]
	s_and_saveexec_b64 s[6:7], s[4:5]
	s_cbranch_execz .LBB50_76
.LBB50_75:
	v_bfe_u32 v10, v16, 8, 3
	v_ffbh_u32_e32 v15, v10
	v_min_u32_e32 v15, 32, v15
	v_lshrrev_b16_e32 v14, 3, v11
	v_subrev_u32_e32 v20, 28, v15
	v_and_b32_e32 v14, 15, v14
	v_lshlrev_b32_e32 v11, v20, v11
	v_sub_u32_e32 v15, 29, v15
	v_and_b32_e32 v11, 7, v11
	v_cmp_eq_u16_e32 vcc, 0, v14
	v_cndmask_b32_e32 v10, v10, v11, vcc
	v_cndmask_b32_e32 v11, v14, v15, vcc
	v_lshlrev_b32_e32 v14, 16, v16
	v_mov_b32_e32 v15, 0x3b800000
	v_lshlrev_b32_e32 v10, 20, v10
	v_and_b32_e32 v14, 0x80000000, v14
	v_lshl_add_u32 v11, v11, 23, v15
	v_or3_b32 v10, v14, v11, v10
.LBB50_76:
	s_or_b64 exec, exec, s[6:7]
	v_lshrrev_b32_e32 v11, 8, v12
	s_movk_i32 s4, 0x7f
	v_cmp_gt_i16_sdwa s[6:7], v11, s4 src0_sel:BYTE_0 src1_sel:DWORD
	s_mov_b64 s[4:5], 0
                                        ; implicit-def: $sgpr10
	s_and_saveexec_b64 s[8:9], s[6:7]
	s_xor_b64 s[6:7], exec, s[8:9]
	s_cbranch_execnz .LBB50_2125
; %bb.77:
	s_or_saveexec_b64 s[6:7], s[6:7]
	v_mov_b32_e32 v14, s10
	s_xor_b64 exec, exec, s[6:7]
	s_cbranch_execnz .LBB50_2128
.LBB50_78:
	s_or_b64 exec, exec, s[6:7]
	s_and_saveexec_b64 s[6:7], s[4:5]
	s_cbranch_execz .LBB50_80
.LBB50_79:
	v_bfe_u32 v14, v12, 8, 3
	v_ffbh_u32_e32 v20, v14
	v_min_u32_e32 v20, 32, v20
	v_lshrrev_b16_e32 v15, 3, v11
	v_subrev_u32_e32 v21, 28, v20
	v_and_b32_e32 v15, 15, v15
	v_lshlrev_b32_e32 v11, v21, v11
	v_sub_u32_e32 v20, 29, v20
	v_and_b32_e32 v11, 7, v11
	v_cmp_eq_u16_e32 vcc, 0, v15
	v_cndmask_b32_e32 v11, v14, v11, vcc
	v_cndmask_b32_e32 v14, v15, v20, vcc
	v_lshlrev_b32_e32 v15, 16, v12
	v_mov_b32_e32 v20, 0x3b800000
	v_lshlrev_b32_e32 v11, 20, v11
	v_and_b32_e32 v15, 0x80000000, v15
	v_lshl_add_u32 v14, v14, 23, v20
	v_or3_b32 v14, v15, v14, v11
.LBB50_80:
	s_or_b64 exec, exec, s[6:7]
	s_nop 0
	v_mfma_f32_16x16x4f32 a[0:3], v10, v14, a[0:3]
	s_movk_i32 s4, 0xff
	v_and_b32_sdwa v11, v16, s4 dst_sel:DWORD dst_unused:UNUSED_PAD src0_sel:WORD_1 src1_sel:DWORD
	s_movk_i32 s4, 0x7f
	v_cmp_lt_i16_e32 vcc, s4, v11
	s_mov_b64 s[4:5], 0
                                        ; implicit-def: $sgpr10
	s_and_saveexec_b64 s[6:7], vcc
	s_xor_b64 s[6:7], exec, s[6:7]
	s_cbranch_execnz .LBB50_2129
; %bb.81:
	s_or_saveexec_b64 s[6:7], s[6:7]
	v_mov_b32_e32 v10, s10
	s_xor_b64 exec, exec, s[6:7]
	s_cbranch_execnz .LBB50_2132
.LBB50_82:
	s_or_b64 exec, exec, s[6:7]
	s_and_saveexec_b64 s[6:7], s[4:5]
	s_cbranch_execz .LBB50_84
.LBB50_83:
	v_bfe_u32 v10, v16, 16, 3
	v_ffbh_u32_e32 v15, v10
	v_min_u32_e32 v15, 32, v15
	v_lshrrev_b32_e32 v11, 19, v16
	v_subrev_u32_e32 v20, 28, v15
	v_and_b32_e32 v11, 15, v11
	v_lshlrev_b32_sdwa v20, v20, v16 dst_sel:DWORD dst_unused:UNUSED_PAD src0_sel:DWORD src1_sel:WORD_1
	v_bfe_u32 v14, v16, 19, 4
	v_sub_u32_e32 v15, 29, v15
	v_and_b32_e32 v20, 7, v20
	v_cmp_eq_u16_e32 vcc, 0, v11
	v_cndmask_b32_e32 v10, v10, v20, vcc
	v_cndmask_b32_e32 v11, v14, v15, vcc
	v_lshlrev_b32_e32 v14, 8, v16
	v_mov_b32_e32 v15, 0x3b800000
	v_lshlrev_b32_e32 v10, 20, v10
	v_and_b32_e32 v14, 0x80000000, v14
	v_lshl_add_u32 v11, v11, 23, v15
	v_or3_b32 v10, v14, v11, v10
.LBB50_84:
	s_or_b64 exec, exec, s[6:7]
	s_movk_i32 s4, 0xff
	v_and_b32_sdwa v11, v12, s4 dst_sel:DWORD dst_unused:UNUSED_PAD src0_sel:WORD_1 src1_sel:DWORD
	s_movk_i32 s4, 0x7f
	v_cmp_lt_i16_e32 vcc, s4, v11
	s_mov_b64 s[4:5], 0
                                        ; implicit-def: $sgpr10
	s_and_saveexec_b64 s[6:7], vcc
	s_xor_b64 s[6:7], exec, s[6:7]
	s_cbranch_execnz .LBB50_2133
; %bb.85:
	s_or_saveexec_b64 s[6:7], s[6:7]
	v_mov_b32_e32 v14, s10
	s_xor_b64 exec, exec, s[6:7]
	s_cbranch_execnz .LBB50_2136
.LBB50_86:
	s_or_b64 exec, exec, s[6:7]
	s_and_saveexec_b64 s[6:7], s[4:5]
	s_cbranch_execz .LBB50_88
.LBB50_87:
	v_bfe_u32 v11, v12, 16, 3
	v_ffbh_u32_e32 v20, v11
	v_min_u32_e32 v20, 32, v20
	v_lshrrev_b32_e32 v14, 19, v12
	v_subrev_u32_e32 v21, 28, v20
	v_and_b32_e32 v14, 15, v14
	v_lshlrev_b32_sdwa v21, v21, v12 dst_sel:DWORD dst_unused:UNUSED_PAD src0_sel:DWORD src1_sel:WORD_1
	v_bfe_u32 v15, v12, 19, 4
	v_sub_u32_e32 v20, 29, v20
	v_and_b32_e32 v21, 7, v21
	v_cmp_eq_u16_e32 vcc, 0, v14
	v_cndmask_b32_e32 v11, v11, v21, vcc
	v_cndmask_b32_e32 v14, v15, v20, vcc
	v_lshlrev_b32_e32 v15, 8, v12
	v_mov_b32_e32 v20, 0x3b800000
	v_lshlrev_b32_e32 v11, 20, v11
	v_and_b32_e32 v15, 0x80000000, v15
	v_lshl_add_u32 v14, v14, 23, v20
	v_or3_b32 v14, v15, v14, v11
.LBB50_88:
	s_or_b64 exec, exec, s[6:7]
	s_nop 0
	v_mfma_f32_16x16x4f32 a[0:3], v10, v14, a[0:3]
	s_movk_i32 s4, 0x7f
	v_cmp_gt_i16_sdwa s[6:7], v16, s4 src0_sel:BYTE_3 src1_sel:DWORD
	s_mov_b64 s[4:5], 0
                                        ; implicit-def: $sgpr10
	s_and_saveexec_b64 s[8:9], s[6:7]
	s_xor_b64 s[6:7], exec, s[8:9]
	s_cbranch_execnz .LBB50_2137
; %bb.89:
	s_or_saveexec_b64 s[6:7], s[6:7]
	v_mov_b32_e32 v10, s10
	s_xor_b64 exec, exec, s[6:7]
	s_cbranch_execnz .LBB50_2140
.LBB50_90:
	s_or_b64 exec, exec, s[6:7]
	s_and_saveexec_b64 s[6:7], s[4:5]
	s_cbranch_execz .LBB50_92
.LBB50_91:
	v_bfe_u32 v10, v16, 24, 3
	v_ffbh_u32_e32 v20, v10
	v_min_u32_e32 v20, 32, v20
	v_lshrrev_b32_e32 v14, 27, v16
	v_subrev_u32_e32 v21, 28, v20
	v_and_b32_e32 v11, 0x80000000, v16
	v_and_b32_e32 v14, 15, v14
	v_bfe_u32 v15, v16, 27, 4
	v_lshlrev_b32_sdwa v16, v21, v16 dst_sel:DWORD dst_unused:UNUSED_PAD src0_sel:DWORD src1_sel:BYTE_3
	v_sub_u32_e32 v20, 29, v20
	v_and_b32_e32 v16, 7, v16
	v_cmp_eq_u16_e32 vcc, 0, v14
	v_cndmask_b32_e32 v10, v10, v16, vcc
	v_cndmask_b32_e32 v14, v15, v20, vcc
	v_mov_b32_e32 v15, 0x3b800000
	v_lshlrev_b32_e32 v10, 20, v10
	v_lshl_add_u32 v14, v14, 23, v15
	v_or3_b32 v10, v11, v14, v10
.LBB50_92:
	s_or_b64 exec, exec, s[6:7]
	s_movk_i32 s4, 0x7f
	v_cmp_gt_i16_sdwa s[6:7], v12, s4 src0_sel:BYTE_3 src1_sel:DWORD
	s_mov_b64 s[4:5], 0
                                        ; implicit-def: $sgpr10
	s_and_saveexec_b64 s[8:9], s[6:7]
	s_xor_b64 s[6:7], exec, s[8:9]
	s_cbranch_execnz .LBB50_2141
; %bb.93:
	s_or_saveexec_b64 s[6:7], s[6:7]
	v_mov_b32_e32 v11, s10
	s_xor_b64 exec, exec, s[6:7]
	s_cbranch_execnz .LBB50_2144
.LBB50_94:
	s_or_b64 exec, exec, s[6:7]
	s_and_saveexec_b64 s[6:7], s[4:5]
	s_cbranch_execz .LBB50_96
.LBB50_95:
	v_bfe_u32 v11, v12, 24, 3
	v_ffbh_u32_e32 v20, v11
	v_min_u32_e32 v20, 32, v20
	v_lshrrev_b32_e32 v15, 27, v12
	v_subrev_u32_e32 v21, 28, v20
	v_and_b32_e32 v14, 0x80000000, v12
	v_and_b32_e32 v15, 15, v15
	v_bfe_u32 v16, v12, 27, 4
	v_lshlrev_b32_sdwa v12, v21, v12 dst_sel:DWORD dst_unused:UNUSED_PAD src0_sel:DWORD src1_sel:BYTE_3
	v_sub_u32_e32 v20, 29, v20
	v_and_b32_e32 v12, 7, v12
	v_cmp_eq_u16_e32 vcc, 0, v15
	v_cndmask_b32_e32 v11, v11, v12, vcc
	v_cndmask_b32_e32 v12, v16, v20, vcc
	v_mov_b32_e32 v15, 0x3b800000
	v_lshlrev_b32_e32 v11, 20, v11
	v_lshl_add_u32 v12, v12, 23, v15
	v_or3_b32 v11, v14, v12, v11
.LBB50_96:
	s_or_b64 exec, exec, s[6:7]
	s_nop 0
	v_mfma_f32_16x16x4f32 a[0:3], v10, v11, a[0:3]
	s_movk_i32 s4, 0x7f
	v_cmp_gt_i16_sdwa s[6:7], v17, s4 src0_sel:BYTE_0 src1_sel:DWORD
	s_mov_b64 s[4:5], 0
                                        ; implicit-def: $sgpr10
	s_and_saveexec_b64 s[8:9], s[6:7]
	s_xor_b64 s[6:7], exec, s[8:9]
	s_cbranch_execnz .LBB50_2145
; %bb.97:
	s_or_saveexec_b64 s[6:7], s[6:7]
	v_mov_b32_e32 v10, s10
	s_xor_b64 exec, exec, s[6:7]
	s_cbranch_execnz .LBB50_2148
.LBB50_98:
	s_or_b64 exec, exec, s[6:7]
	s_and_saveexec_b64 s[6:7], s[4:5]
	s_cbranch_execz .LBB50_100
.LBB50_99:
	v_and_b32_e32 v10, 7, v17
	v_ffbh_u32_e32 v12, v10
	v_min_u32_e32 v12, 32, v12
	v_lshrrev_b16_e32 v11, 3, v17
	v_subrev_u32_e32 v14, 28, v12
	v_and_b32_e32 v11, 15, v11
	v_lshlrev_b32_e32 v14, v14, v17
	v_sub_u32_e32 v12, 29, v12
	v_and_b32_e32 v14, 7, v14
	v_cmp_eq_u16_e32 vcc, 0, v11
	v_cndmask_b32_e32 v10, v10, v14, vcc
	v_cndmask_b32_e32 v11, v11, v12, vcc
	v_lshlrev_b32_e32 v12, 24, v17
	v_mov_b32_e32 v14, 0x3b800000
	v_lshlrev_b32_e32 v10, 20, v10
	v_and_b32_e32 v12, 0x80000000, v12
	v_lshl_add_u32 v11, v11, 23, v14
	v_or3_b32 v10, v12, v11, v10
.LBB50_100:
	s_or_b64 exec, exec, s[6:7]
	s_movk_i32 s4, 0x7f
	v_cmp_gt_i16_sdwa s[6:7], v13, s4 src0_sel:BYTE_0 src1_sel:DWORD
	s_mov_b64 s[4:5], 0
                                        ; implicit-def: $sgpr10
	s_and_saveexec_b64 s[8:9], s[6:7]
	s_xor_b64 s[6:7], exec, s[8:9]
	s_cbranch_execnz .LBB50_2149
; %bb.101:
	s_or_saveexec_b64 s[6:7], s[6:7]
	v_mov_b32_e32 v11, s10
	s_xor_b64 exec, exec, s[6:7]
	s_cbranch_execnz .LBB50_2152
.LBB50_102:
	s_or_b64 exec, exec, s[6:7]
	s_and_saveexec_b64 s[6:7], s[4:5]
	s_cbranch_execz .LBB50_104
.LBB50_103:
	v_and_b32_e32 v11, 7, v13
	v_ffbh_u32_e32 v14, v11
	v_min_u32_e32 v14, 32, v14
	v_lshrrev_b16_e32 v12, 3, v13
	v_subrev_u32_e32 v15, 28, v14
	v_and_b32_e32 v12, 15, v12
	v_lshlrev_b32_e32 v15, v15, v13
	v_sub_u32_e32 v14, 29, v14
	v_and_b32_e32 v15, 7, v15
	v_cmp_eq_u16_e32 vcc, 0, v12
	v_cndmask_b32_e32 v11, v11, v15, vcc
	v_cndmask_b32_e32 v12, v12, v14, vcc
	v_lshlrev_b32_e32 v14, 24, v13
	v_mov_b32_e32 v15, 0x3b800000
	v_lshlrev_b32_e32 v11, 20, v11
	v_and_b32_e32 v14, 0x80000000, v14
	v_lshl_add_u32 v12, v12, 23, v15
	v_or3_b32 v11, v14, v12, v11
.LBB50_104:
	s_or_b64 exec, exec, s[6:7]
	s_nop 0
	v_mfma_f32_16x16x4f32 a[0:3], v10, v11, a[0:3]
	v_lshrrev_b32_e32 v11, 8, v17
	s_movk_i32 s4, 0x7f
	v_cmp_gt_i16_sdwa s[6:7], v11, s4 src0_sel:BYTE_0 src1_sel:DWORD
	s_mov_b64 s[4:5], 0
                                        ; implicit-def: $sgpr10
	s_and_saveexec_b64 s[8:9], s[6:7]
	s_xor_b64 s[6:7], exec, s[8:9]
	s_cbranch_execnz .LBB50_2153
; %bb.105:
	s_or_saveexec_b64 s[6:7], s[6:7]
	v_mov_b32_e32 v10, s10
	s_xor_b64 exec, exec, s[6:7]
	s_cbranch_execnz .LBB50_2156
.LBB50_106:
	s_or_b64 exec, exec, s[6:7]
	s_and_saveexec_b64 s[6:7], s[4:5]
	s_cbranch_execz .LBB50_108
.LBB50_107:
	v_bfe_u32 v10, v17, 8, 3
	v_ffbh_u32_e32 v14, v10
	v_min_u32_e32 v14, 32, v14
	v_lshrrev_b16_e32 v12, 3, v11
	v_subrev_u32_e32 v15, 28, v14
	v_and_b32_e32 v12, 15, v12
	v_lshlrev_b32_e32 v11, v15, v11
	v_sub_u32_e32 v14, 29, v14
	v_and_b32_e32 v11, 7, v11
	v_cmp_eq_u16_e32 vcc, 0, v12
	v_cndmask_b32_e32 v10, v10, v11, vcc
	v_cndmask_b32_e32 v11, v12, v14, vcc
	v_lshlrev_b32_e32 v12, 16, v17
	v_mov_b32_e32 v14, 0x3b800000
	v_lshlrev_b32_e32 v10, 20, v10
	v_and_b32_e32 v12, 0x80000000, v12
	v_lshl_add_u32 v11, v11, 23, v14
	v_or3_b32 v10, v12, v11, v10
.LBB50_108:
	s_or_b64 exec, exec, s[6:7]
	v_lshrrev_b32_e32 v11, 8, v13
	s_movk_i32 s4, 0x7f
	v_cmp_gt_i16_sdwa s[6:7], v11, s4 src0_sel:BYTE_0 src1_sel:DWORD
	s_mov_b64 s[4:5], 0
                                        ; implicit-def: $sgpr10
	s_and_saveexec_b64 s[8:9], s[6:7]
	s_xor_b64 s[6:7], exec, s[8:9]
	s_cbranch_execnz .LBB50_2157
; %bb.109:
	s_or_saveexec_b64 s[6:7], s[6:7]
	v_mov_b32_e32 v12, s10
	s_xor_b64 exec, exec, s[6:7]
	s_cbranch_execnz .LBB50_2160
.LBB50_110:
	s_or_b64 exec, exec, s[6:7]
	s_and_saveexec_b64 s[6:7], s[4:5]
	s_cbranch_execz .LBB50_112
.LBB50_111:
	v_bfe_u32 v12, v13, 8, 3
	v_ffbh_u32_e32 v15, v12
	v_min_u32_e32 v15, 32, v15
	v_lshrrev_b16_e32 v14, 3, v11
	v_subrev_u32_e32 v16, 28, v15
	v_and_b32_e32 v14, 15, v14
	v_lshlrev_b32_e32 v11, v16, v11
	v_sub_u32_e32 v15, 29, v15
	v_and_b32_e32 v11, 7, v11
	v_cmp_eq_u16_e32 vcc, 0, v14
	v_cndmask_b32_e32 v11, v12, v11, vcc
	v_cndmask_b32_e32 v12, v14, v15, vcc
	v_lshlrev_b32_e32 v14, 16, v13
	v_mov_b32_e32 v15, 0x3b800000
	v_lshlrev_b32_e32 v11, 20, v11
	v_and_b32_e32 v14, 0x80000000, v14
	v_lshl_add_u32 v12, v12, 23, v15
	v_or3_b32 v12, v14, v12, v11
.LBB50_112:
	s_or_b64 exec, exec, s[6:7]
	s_nop 0
	v_mfma_f32_16x16x4f32 a[0:3], v10, v12, a[0:3]
	s_movk_i32 s4, 0xff
	v_and_b32_sdwa v11, v17, s4 dst_sel:DWORD dst_unused:UNUSED_PAD src0_sel:WORD_1 src1_sel:DWORD
	s_movk_i32 s4, 0x7f
	v_cmp_lt_i16_e32 vcc, s4, v11
	s_mov_b64 s[4:5], 0
                                        ; implicit-def: $sgpr10
	s_and_saveexec_b64 s[6:7], vcc
	s_xor_b64 s[6:7], exec, s[6:7]
	s_cbranch_execnz .LBB50_2161
; %bb.113:
	s_or_saveexec_b64 s[6:7], s[6:7]
	v_mov_b32_e32 v10, s10
	s_xor_b64 exec, exec, s[6:7]
	s_cbranch_execnz .LBB50_2164
.LBB50_114:
	s_or_b64 exec, exec, s[6:7]
	s_and_saveexec_b64 s[6:7], s[4:5]
	s_cbranch_execz .LBB50_116
.LBB50_115:
	v_bfe_u32 v10, v17, 16, 3
	v_ffbh_u32_e32 v14, v10
	v_min_u32_e32 v14, 32, v14
	v_lshrrev_b32_e32 v11, 19, v17
	v_subrev_u32_e32 v15, 28, v14
	v_and_b32_e32 v11, 15, v11
	v_lshlrev_b32_sdwa v15, v15, v17 dst_sel:DWORD dst_unused:UNUSED_PAD src0_sel:DWORD src1_sel:WORD_1
	v_bfe_u32 v12, v17, 19, 4
	v_sub_u32_e32 v14, 29, v14
	v_and_b32_e32 v15, 7, v15
	v_cmp_eq_u16_e32 vcc, 0, v11
	v_cndmask_b32_e32 v10, v10, v15, vcc
	v_cndmask_b32_e32 v11, v12, v14, vcc
	v_lshlrev_b32_e32 v12, 8, v17
	v_mov_b32_e32 v14, 0x3b800000
	v_lshlrev_b32_e32 v10, 20, v10
	v_and_b32_e32 v12, 0x80000000, v12
	v_lshl_add_u32 v11, v11, 23, v14
	v_or3_b32 v10, v12, v11, v10
.LBB50_116:
	s_or_b64 exec, exec, s[6:7]
	s_movk_i32 s4, 0xff
	v_and_b32_sdwa v11, v13, s4 dst_sel:DWORD dst_unused:UNUSED_PAD src0_sel:WORD_1 src1_sel:DWORD
	s_movk_i32 s4, 0x7f
	v_cmp_lt_i16_e32 vcc, s4, v11
	s_mov_b64 s[4:5], 0
                                        ; implicit-def: $sgpr10
	s_and_saveexec_b64 s[6:7], vcc
	s_xor_b64 s[6:7], exec, s[6:7]
	s_cbranch_execnz .LBB50_2165
; %bb.117:
	s_or_saveexec_b64 s[6:7], s[6:7]
	v_mov_b32_e32 v12, s10
	s_xor_b64 exec, exec, s[6:7]
	s_cbranch_execnz .LBB50_2168
.LBB50_118:
	s_or_b64 exec, exec, s[6:7]
	s_and_saveexec_b64 s[6:7], s[4:5]
	s_cbranch_execz .LBB50_120
.LBB50_119:
	v_bfe_u32 v11, v13, 16, 3
	v_ffbh_u32_e32 v15, v11
	v_min_u32_e32 v15, 32, v15
	v_lshrrev_b32_e32 v12, 19, v13
	v_subrev_u32_e32 v16, 28, v15
	v_and_b32_e32 v12, 15, v12
	v_lshlrev_b32_sdwa v16, v16, v13 dst_sel:DWORD dst_unused:UNUSED_PAD src0_sel:DWORD src1_sel:WORD_1
	v_bfe_u32 v14, v13, 19, 4
	v_sub_u32_e32 v15, 29, v15
	v_and_b32_e32 v16, 7, v16
	v_cmp_eq_u16_e32 vcc, 0, v12
	v_cndmask_b32_e32 v11, v11, v16, vcc
	v_cndmask_b32_e32 v12, v14, v15, vcc
	v_lshlrev_b32_e32 v14, 8, v13
	v_mov_b32_e32 v15, 0x3b800000
	v_lshlrev_b32_e32 v11, 20, v11
	v_and_b32_e32 v14, 0x80000000, v14
	v_lshl_add_u32 v12, v12, 23, v15
	v_or3_b32 v12, v14, v12, v11
.LBB50_120:
	s_or_b64 exec, exec, s[6:7]
	s_nop 0
	v_mfma_f32_16x16x4f32 a[0:3], v10, v12, a[0:3]
	s_movk_i32 s4, 0x7f
	v_cmp_gt_i16_sdwa s[6:7], v17, s4 src0_sel:BYTE_3 src1_sel:DWORD
	s_mov_b64 s[4:5], 0
                                        ; implicit-def: $sgpr10
	s_and_saveexec_b64 s[8:9], s[6:7]
	s_xor_b64 s[6:7], exec, s[8:9]
	s_cbranch_execnz .LBB50_2169
; %bb.121:
	s_or_saveexec_b64 s[6:7], s[6:7]
	v_mov_b32_e32 v10, s10
	s_xor_b64 exec, exec, s[6:7]
	s_cbranch_execnz .LBB50_2172
.LBB50_122:
	s_or_b64 exec, exec, s[6:7]
	s_and_saveexec_b64 s[6:7], s[4:5]
	s_cbranch_execz .LBB50_124
.LBB50_123:
	v_bfe_u32 v10, v17, 24, 3
	v_ffbh_u32_e32 v15, v10
	v_min_u32_e32 v15, 32, v15
	v_lshrrev_b32_e32 v12, 27, v17
	v_subrev_u32_e32 v16, 28, v15
	v_and_b32_e32 v12, 15, v12
	v_lshlrev_b32_sdwa v16, v16, v17 dst_sel:DWORD dst_unused:UNUSED_PAD src0_sel:DWORD src1_sel:BYTE_3
	v_bfe_u32 v14, v17, 27, 4
	v_sub_u32_e32 v15, 29, v15
	v_and_b32_e32 v16, 7, v16
	v_cmp_eq_u16_e32 vcc, 0, v12
	v_cndmask_b32_e32 v10, v10, v16, vcc
	v_cndmask_b32_e32 v12, v14, v15, vcc
	v_mov_b32_e32 v14, 0x3b800000
	v_and_b32_e32 v11, 0x80000000, v17
	v_lshlrev_b32_e32 v10, 20, v10
	v_lshl_add_u32 v12, v12, 23, v14
	v_or3_b32 v10, v11, v12, v10
.LBB50_124:
	s_or_b64 exec, exec, s[6:7]
	s_movk_i32 s4, 0x7f
	v_cmp_gt_i16_sdwa s[6:7], v13, s4 src0_sel:BYTE_3 src1_sel:DWORD
	s_mov_b64 s[4:5], 0
                                        ; implicit-def: $sgpr10
	s_and_saveexec_b64 s[8:9], s[6:7]
	s_xor_b64 s[6:7], exec, s[8:9]
	s_cbranch_execnz .LBB50_2173
; %bb.125:
	s_or_saveexec_b64 s[6:7], s[6:7]
	v_mov_b32_e32 v11, s10
	s_xor_b64 exec, exec, s[6:7]
	s_cbranch_execnz .LBB50_2176
.LBB50_126:
	s_or_b64 exec, exec, s[6:7]
	s_and_saveexec_b64 s[6:7], s[4:5]
	s_cbranch_execz .LBB50_128
.LBB50_127:
	v_bfe_u32 v11, v13, 24, 3
	v_ffbh_u32_e32 v16, v11
	v_min_u32_e32 v16, 32, v16
	v_lshrrev_b32_e32 v14, 27, v13
	v_subrev_u32_e32 v17, 28, v16
	v_and_b32_e32 v12, 0x80000000, v13
	v_and_b32_e32 v14, 15, v14
	v_bfe_u32 v15, v13, 27, 4
	v_lshlrev_b32_sdwa v13, v17, v13 dst_sel:DWORD dst_unused:UNUSED_PAD src0_sel:DWORD src1_sel:BYTE_3
	v_sub_u32_e32 v16, 29, v16
	v_and_b32_e32 v13, 7, v13
	v_cmp_eq_u16_e32 vcc, 0, v14
	v_cndmask_b32_e32 v11, v11, v13, vcc
	v_cndmask_b32_e32 v13, v15, v16, vcc
	v_mov_b32_e32 v14, 0x3b800000
	v_lshlrev_b32_e32 v11, 20, v11
	v_lshl_add_u32 v13, v13, 23, v14
	v_or3_b32 v11, v12, v13, v11
.LBB50_128:
	s_or_b64 exec, exec, s[6:7]
	s_nop 0
	v_mfma_f32_16x16x4f32 a[0:3], v10, v11, a[0:3]
	s_movk_i32 s4, 0x7f
	v_cmp_gt_i16_sdwa s[6:7], v6, s4 src0_sel:BYTE_0 src1_sel:DWORD
	s_mov_b64 s[4:5], 0
                                        ; implicit-def: $sgpr10
	s_and_saveexec_b64 s[8:9], s[6:7]
	s_xor_b64 s[6:7], exec, s[8:9]
	s_cbranch_execnz .LBB50_2177
; %bb.129:
	s_or_saveexec_b64 s[6:7], s[6:7]
	v_mov_b32_e32 v10, s10
	s_xor_b64 exec, exec, s[6:7]
	s_cbranch_execnz .LBB50_2180
.LBB50_130:
	s_or_b64 exec, exec, s[6:7]
	s_and_saveexec_b64 s[6:7], s[4:5]
	s_cbranch_execz .LBB50_132
.LBB50_131:
	v_and_b32_e32 v10, 7, v6
	v_ffbh_u32_e32 v12, v10
	v_min_u32_e32 v12, 32, v12
	v_lshrrev_b16_e32 v11, 3, v6
	v_subrev_u32_e32 v13, 28, v12
	v_and_b32_e32 v11, 15, v11
	v_lshlrev_b32_e32 v13, v13, v6
	v_sub_u32_e32 v12, 29, v12
	v_and_b32_e32 v13, 7, v13
	v_cmp_eq_u16_e32 vcc, 0, v11
	v_cndmask_b32_e32 v10, v10, v13, vcc
	v_cndmask_b32_e32 v11, v11, v12, vcc
	v_lshlrev_b32_e32 v12, 24, v6
	v_mov_b32_e32 v13, 0x3b800000
	v_lshlrev_b32_e32 v10, 20, v10
	v_and_b32_e32 v12, 0x80000000, v12
	v_lshl_add_u32 v11, v11, 23, v13
	v_or3_b32 v10, v12, v11, v10
.LBB50_132:
	s_or_b64 exec, exec, s[6:7]
	s_movk_i32 s4, 0x7f
	v_cmp_gt_i16_sdwa s[6:7], v2, s4 src0_sel:BYTE_0 src1_sel:DWORD
	s_mov_b64 s[4:5], 0
                                        ; implicit-def: $sgpr10
	s_and_saveexec_b64 s[8:9], s[6:7]
	s_xor_b64 s[6:7], exec, s[8:9]
	s_cbranch_execnz .LBB50_2181
; %bb.133:
	s_or_saveexec_b64 s[6:7], s[6:7]
	v_mov_b32_e32 v11, s10
	s_xor_b64 exec, exec, s[6:7]
	s_cbranch_execnz .LBB50_2184
.LBB50_134:
	s_or_b64 exec, exec, s[6:7]
	s_and_saveexec_b64 s[6:7], s[4:5]
	s_cbranch_execz .LBB50_136
.LBB50_135:
	v_and_b32_e32 v11, 7, v2
	v_ffbh_u32_e32 v13, v11
	v_min_u32_e32 v13, 32, v13
	v_lshrrev_b16_e32 v12, 3, v2
	v_subrev_u32_e32 v14, 28, v13
	v_and_b32_e32 v12, 15, v12
	v_lshlrev_b32_e32 v14, v14, v2
	v_sub_u32_e32 v13, 29, v13
	v_and_b32_e32 v14, 7, v14
	v_cmp_eq_u16_e32 vcc, 0, v12
	v_cndmask_b32_e32 v11, v11, v14, vcc
	v_cndmask_b32_e32 v12, v12, v13, vcc
	v_lshlrev_b32_e32 v13, 24, v2
	v_mov_b32_e32 v14, 0x3b800000
	v_lshlrev_b32_e32 v11, 20, v11
	v_and_b32_e32 v13, 0x80000000, v13
	v_lshl_add_u32 v12, v12, 23, v14
	v_or3_b32 v11, v13, v12, v11
.LBB50_136:
	s_or_b64 exec, exec, s[6:7]
	s_nop 0
	v_mfma_f32_16x16x4f32 a[0:3], v10, v11, a[0:3]
	v_lshrrev_b32_e32 v11, 8, v6
	s_movk_i32 s4, 0x7f
	v_cmp_gt_i16_sdwa s[6:7], v11, s4 src0_sel:BYTE_0 src1_sel:DWORD
	s_mov_b64 s[4:5], 0
                                        ; implicit-def: $sgpr10
	s_and_saveexec_b64 s[8:9], s[6:7]
	s_xor_b64 s[6:7], exec, s[8:9]
	s_cbranch_execnz .LBB50_2185
; %bb.137:
	s_or_saveexec_b64 s[6:7], s[6:7]
	v_mov_b32_e32 v10, s10
	s_xor_b64 exec, exec, s[6:7]
	s_cbranch_execnz .LBB50_2188
.LBB50_138:
	s_or_b64 exec, exec, s[6:7]
	s_and_saveexec_b64 s[6:7], s[4:5]
	s_cbranch_execz .LBB50_140
.LBB50_139:
	v_bfe_u32 v10, v6, 8, 3
	v_ffbh_u32_e32 v13, v10
	v_min_u32_e32 v13, 32, v13
	v_lshrrev_b16_e32 v12, 3, v11
	v_subrev_u32_e32 v14, 28, v13
	v_and_b32_e32 v12, 15, v12
	v_lshlrev_b32_e32 v11, v14, v11
	v_sub_u32_e32 v13, 29, v13
	v_and_b32_e32 v11, 7, v11
	v_cmp_eq_u16_e32 vcc, 0, v12
	v_cndmask_b32_e32 v10, v10, v11, vcc
	v_cndmask_b32_e32 v11, v12, v13, vcc
	v_lshlrev_b32_e32 v12, 16, v6
	v_mov_b32_e32 v13, 0x3b800000
	v_lshlrev_b32_e32 v10, 20, v10
	v_and_b32_e32 v12, 0x80000000, v12
	v_lshl_add_u32 v11, v11, 23, v13
	v_or3_b32 v10, v12, v11, v10
.LBB50_140:
	s_or_b64 exec, exec, s[6:7]
	v_lshrrev_b32_e32 v11, 8, v2
	s_movk_i32 s4, 0x7f
	v_cmp_gt_i16_sdwa s[6:7], v11, s4 src0_sel:BYTE_0 src1_sel:DWORD
	s_mov_b64 s[4:5], 0
                                        ; implicit-def: $sgpr10
	s_and_saveexec_b64 s[8:9], s[6:7]
	s_xor_b64 s[6:7], exec, s[8:9]
	s_cbranch_execnz .LBB50_2189
; %bb.141:
	s_or_saveexec_b64 s[6:7], s[6:7]
	v_mov_b32_e32 v12, s10
	s_xor_b64 exec, exec, s[6:7]
	s_cbranch_execnz .LBB50_2192
.LBB50_142:
	s_or_b64 exec, exec, s[6:7]
	s_and_saveexec_b64 s[6:7], s[4:5]
	s_cbranch_execz .LBB50_144
.LBB50_143:
	v_bfe_u32 v12, v2, 8, 3
	v_ffbh_u32_e32 v14, v12
	v_min_u32_e32 v14, 32, v14
	v_lshrrev_b16_e32 v13, 3, v11
	v_subrev_u32_e32 v15, 28, v14
	v_and_b32_e32 v13, 15, v13
	v_lshlrev_b32_e32 v11, v15, v11
	v_sub_u32_e32 v14, 29, v14
	v_and_b32_e32 v11, 7, v11
	v_cmp_eq_u16_e32 vcc, 0, v13
	v_cndmask_b32_e32 v11, v12, v11, vcc
	v_cndmask_b32_e32 v12, v13, v14, vcc
	v_lshlrev_b32_e32 v13, 16, v2
	v_mov_b32_e32 v14, 0x3b800000
	v_lshlrev_b32_e32 v11, 20, v11
	v_and_b32_e32 v13, 0x80000000, v13
	v_lshl_add_u32 v12, v12, 23, v14
	v_or3_b32 v12, v13, v12, v11
.LBB50_144:
	s_or_b64 exec, exec, s[6:7]
	s_nop 0
	v_mfma_f32_16x16x4f32 a[0:3], v10, v12, a[0:3]
	s_movk_i32 s4, 0xff
	v_and_b32_sdwa v11, v6, s4 dst_sel:DWORD dst_unused:UNUSED_PAD src0_sel:WORD_1 src1_sel:DWORD
	s_movk_i32 s4, 0x7f
	v_cmp_lt_i16_e32 vcc, s4, v11
	s_mov_b64 s[4:5], 0
                                        ; implicit-def: $sgpr10
	s_and_saveexec_b64 s[6:7], vcc
	s_xor_b64 s[6:7], exec, s[6:7]
	s_cbranch_execnz .LBB50_2193
; %bb.145:
	s_or_saveexec_b64 s[6:7], s[6:7]
	v_mov_b32_e32 v10, s10
	s_xor_b64 exec, exec, s[6:7]
	s_cbranch_execnz .LBB50_2196
.LBB50_146:
	s_or_b64 exec, exec, s[6:7]
	s_and_saveexec_b64 s[6:7], s[4:5]
	s_cbranch_execz .LBB50_148
.LBB50_147:
	v_bfe_u32 v10, v6, 16, 3
	v_ffbh_u32_e32 v13, v10
	v_min_u32_e32 v13, 32, v13
	v_lshrrev_b32_e32 v11, 19, v6
	v_subrev_u32_e32 v14, 28, v13
	v_and_b32_e32 v11, 15, v11
	v_lshlrev_b32_sdwa v14, v14, v6 dst_sel:DWORD dst_unused:UNUSED_PAD src0_sel:DWORD src1_sel:WORD_1
	v_bfe_u32 v12, v6, 19, 4
	v_sub_u32_e32 v13, 29, v13
	v_and_b32_e32 v14, 7, v14
	v_cmp_eq_u16_e32 vcc, 0, v11
	v_cndmask_b32_e32 v10, v10, v14, vcc
	v_cndmask_b32_e32 v11, v12, v13, vcc
	v_lshlrev_b32_e32 v12, 8, v6
	v_mov_b32_e32 v13, 0x3b800000
	v_lshlrev_b32_e32 v10, 20, v10
	v_and_b32_e32 v12, 0x80000000, v12
	v_lshl_add_u32 v11, v11, 23, v13
	v_or3_b32 v10, v12, v11, v10
.LBB50_148:
	s_or_b64 exec, exec, s[6:7]
	s_movk_i32 s4, 0xff
	v_and_b32_sdwa v11, v2, s4 dst_sel:DWORD dst_unused:UNUSED_PAD src0_sel:WORD_1 src1_sel:DWORD
	s_movk_i32 s4, 0x7f
	v_cmp_lt_i16_e32 vcc, s4, v11
	s_mov_b64 s[4:5], 0
                                        ; implicit-def: $sgpr10
	s_and_saveexec_b64 s[6:7], vcc
	s_xor_b64 s[6:7], exec, s[6:7]
	s_cbranch_execnz .LBB50_2197
; %bb.149:
	s_or_saveexec_b64 s[6:7], s[6:7]
	v_mov_b32_e32 v12, s10
	s_xor_b64 exec, exec, s[6:7]
	s_cbranch_execnz .LBB50_2200
.LBB50_150:
	s_or_b64 exec, exec, s[6:7]
	s_and_saveexec_b64 s[6:7], s[4:5]
	s_cbranch_execz .LBB50_152
.LBB50_151:
	v_bfe_u32 v11, v2, 16, 3
	v_ffbh_u32_e32 v14, v11
	v_min_u32_e32 v14, 32, v14
	v_lshrrev_b32_e32 v12, 19, v2
	v_subrev_u32_e32 v15, 28, v14
	v_and_b32_e32 v12, 15, v12
	v_lshlrev_b32_sdwa v15, v15, v2 dst_sel:DWORD dst_unused:UNUSED_PAD src0_sel:DWORD src1_sel:WORD_1
	v_bfe_u32 v13, v2, 19, 4
	v_sub_u32_e32 v14, 29, v14
	v_and_b32_e32 v15, 7, v15
	v_cmp_eq_u16_e32 vcc, 0, v12
	v_cndmask_b32_e32 v11, v11, v15, vcc
	v_cndmask_b32_e32 v12, v13, v14, vcc
	v_lshlrev_b32_e32 v13, 8, v2
	v_mov_b32_e32 v14, 0x3b800000
	v_lshlrev_b32_e32 v11, 20, v11
	v_and_b32_e32 v13, 0x80000000, v13
	v_lshl_add_u32 v12, v12, 23, v14
	v_or3_b32 v12, v13, v12, v11
.LBB50_152:
	s_or_b64 exec, exec, s[6:7]
	s_nop 0
	v_mfma_f32_16x16x4f32 a[0:3], v10, v12, a[0:3]
	s_movk_i32 s4, 0x7f
	v_cmp_gt_i16_sdwa s[6:7], v6, s4 src0_sel:BYTE_3 src1_sel:DWORD
	s_mov_b64 s[4:5], 0
                                        ; implicit-def: $sgpr10
	s_and_saveexec_b64 s[8:9], s[6:7]
	s_xor_b64 s[6:7], exec, s[8:9]
	s_cbranch_execnz .LBB50_2201
; %bb.153:
	s_or_saveexec_b64 s[6:7], s[6:7]
	v_mov_b32_e32 v10, s10
	s_xor_b64 exec, exec, s[6:7]
	s_cbranch_execnz .LBB50_2204
.LBB50_154:
	s_or_b64 exec, exec, s[6:7]
	s_and_saveexec_b64 s[6:7], s[4:5]
	s_cbranch_execz .LBB50_156
.LBB50_155:
	v_bfe_u32 v10, v6, 24, 3
	v_ffbh_u32_e32 v14, v10
	v_min_u32_e32 v14, 32, v14
	v_lshrrev_b32_e32 v12, 27, v6
	v_subrev_u32_e32 v15, 28, v14
	v_and_b32_e32 v11, 0x80000000, v6
	v_and_b32_e32 v12, 15, v12
	v_bfe_u32 v13, v6, 27, 4
	v_lshlrev_b32_sdwa v6, v15, v6 dst_sel:DWORD dst_unused:UNUSED_PAD src0_sel:DWORD src1_sel:BYTE_3
	v_sub_u32_e32 v14, 29, v14
	v_and_b32_e32 v6, 7, v6
	v_cmp_eq_u16_e32 vcc, 0, v12
	v_cndmask_b32_e32 v6, v10, v6, vcc
	v_cndmask_b32_e32 v10, v13, v14, vcc
	v_mov_b32_e32 v12, 0x3b800000
	v_lshlrev_b32_e32 v6, 20, v6
	v_lshl_add_u32 v10, v10, 23, v12
	v_or3_b32 v10, v11, v10, v6
.LBB50_156:
	s_or_b64 exec, exec, s[6:7]
	s_movk_i32 s4, 0x7f
	v_cmp_gt_i16_sdwa s[6:7], v2, s4 src0_sel:BYTE_3 src1_sel:DWORD
	s_mov_b64 s[4:5], 0
                                        ; implicit-def: $sgpr10
	s_and_saveexec_b64 s[8:9], s[6:7]
	s_xor_b64 s[6:7], exec, s[8:9]
	s_cbranch_execnz .LBB50_2205
; %bb.157:
	s_or_saveexec_b64 s[6:7], s[6:7]
	v_mov_b32_e32 v6, s10
	s_xor_b64 exec, exec, s[6:7]
	s_cbranch_execnz .LBB50_2208
.LBB50_158:
	s_or_b64 exec, exec, s[6:7]
	s_and_saveexec_b64 s[6:7], s[4:5]
	s_cbranch_execz .LBB50_160
.LBB50_159:
	v_bfe_u32 v6, v2, 24, 3
	v_ffbh_u32_e32 v14, v6
	v_min_u32_e32 v14, 32, v14
	v_lshrrev_b32_e32 v12, 27, v2
	v_subrev_u32_e32 v15, 28, v14
	v_and_b32_e32 v11, 0x80000000, v2
	v_and_b32_e32 v12, 15, v12
	v_bfe_u32 v13, v2, 27, 4
	v_lshlrev_b32_sdwa v2, v15, v2 dst_sel:DWORD dst_unused:UNUSED_PAD src0_sel:DWORD src1_sel:BYTE_3
	v_sub_u32_e32 v14, 29, v14
	v_and_b32_e32 v2, 7, v2
	v_cmp_eq_u16_e32 vcc, 0, v12
	v_cndmask_b32_e32 v2, v6, v2, vcc
	v_cndmask_b32_e32 v6, v13, v14, vcc
	v_mov_b32_e32 v12, 0x3b800000
	v_lshlrev_b32_e32 v2, 20, v2
	v_lshl_add_u32 v6, v6, 23, v12
	v_or3_b32 v6, v11, v6, v2
.LBB50_160:
	s_or_b64 exec, exec, s[6:7]
	s_nop 0
	v_mfma_f32_16x16x4f32 a[0:3], v10, v6, a[0:3]
	s_movk_i32 s4, 0x7f
	v_cmp_gt_i16_sdwa s[6:7], v7, s4 src0_sel:BYTE_0 src1_sel:DWORD
	s_mov_b64 s[4:5], 0
                                        ; implicit-def: $sgpr10
	s_and_saveexec_b64 s[8:9], s[6:7]
	s_xor_b64 s[6:7], exec, s[8:9]
	s_cbranch_execnz .LBB50_2209
; %bb.161:
	s_or_saveexec_b64 s[6:7], s[6:7]
	v_mov_b32_e32 v2, s10
	s_xor_b64 exec, exec, s[6:7]
	s_cbranch_execnz .LBB50_2212
.LBB50_162:
	s_or_b64 exec, exec, s[6:7]
	s_and_saveexec_b64 s[6:7], s[4:5]
	s_cbranch_execz .LBB50_164
.LBB50_163:
	v_and_b32_e32 v2, 7, v7
	v_ffbh_u32_e32 v10, v2
	v_min_u32_e32 v10, 32, v10
	v_lshrrev_b16_e32 v6, 3, v7
	v_subrev_u32_e32 v11, 28, v10
	v_and_b32_e32 v6, 15, v6
	v_lshlrev_b32_e32 v11, v11, v7
	v_sub_u32_e32 v10, 29, v10
	v_and_b32_e32 v11, 7, v11
	v_cmp_eq_u16_e32 vcc, 0, v6
	v_cndmask_b32_e32 v2, v2, v11, vcc
	v_cndmask_b32_e32 v6, v6, v10, vcc
	v_lshlrev_b32_e32 v10, 24, v7
	v_mov_b32_e32 v11, 0x3b800000
	v_lshlrev_b32_e32 v2, 20, v2
	v_and_b32_e32 v10, 0x80000000, v10
	v_lshl_add_u32 v6, v6, 23, v11
	v_or3_b32 v2, v10, v6, v2
.LBB50_164:
	s_or_b64 exec, exec, s[6:7]
	s_movk_i32 s4, 0x7f
	v_cmp_gt_i16_sdwa s[6:7], v3, s4 src0_sel:BYTE_0 src1_sel:DWORD
	s_mov_b64 s[4:5], 0
                                        ; implicit-def: $sgpr10
	s_and_saveexec_b64 s[8:9], s[6:7]
	s_xor_b64 s[6:7], exec, s[8:9]
	s_cbranch_execnz .LBB50_2213
; %bb.165:
	s_or_saveexec_b64 s[6:7], s[6:7]
	v_mov_b32_e32 v6, s10
	s_xor_b64 exec, exec, s[6:7]
	s_cbranch_execnz .LBB50_2216
.LBB50_166:
	s_or_b64 exec, exec, s[6:7]
	s_and_saveexec_b64 s[6:7], s[4:5]
	s_cbranch_execz .LBB50_168
.LBB50_167:
	v_and_b32_e32 v6, 7, v3
	v_ffbh_u32_e32 v11, v6
	v_min_u32_e32 v11, 32, v11
	v_lshrrev_b16_e32 v10, 3, v3
	v_subrev_u32_e32 v12, 28, v11
	v_and_b32_e32 v10, 15, v10
	v_lshlrev_b32_e32 v12, v12, v3
	v_sub_u32_e32 v11, 29, v11
	v_and_b32_e32 v12, 7, v12
	v_cmp_eq_u16_e32 vcc, 0, v10
	v_cndmask_b32_e32 v6, v6, v12, vcc
	v_cndmask_b32_e32 v10, v10, v11, vcc
	v_lshlrev_b32_e32 v11, 24, v3
	v_mov_b32_e32 v12, 0x3b800000
	v_lshlrev_b32_e32 v6, 20, v6
	v_and_b32_e32 v11, 0x80000000, v11
	v_lshl_add_u32 v10, v10, 23, v12
	v_or3_b32 v6, v11, v10, v6
.LBB50_168:
	s_or_b64 exec, exec, s[6:7]
	s_nop 0
	v_mfma_f32_16x16x4f32 a[0:3], v2, v6, a[0:3]
	v_lshrrev_b32_e32 v6, 8, v7
	s_movk_i32 s4, 0x7f
	v_cmp_gt_i16_sdwa s[6:7], v6, s4 src0_sel:BYTE_0 src1_sel:DWORD
	s_mov_b64 s[4:5], 0
                                        ; implicit-def: $sgpr10
	s_and_saveexec_b64 s[8:9], s[6:7]
	s_xor_b64 s[6:7], exec, s[8:9]
	s_cbranch_execnz .LBB50_2217
; %bb.169:
	s_or_saveexec_b64 s[6:7], s[6:7]
	v_mov_b32_e32 v2, s10
	s_xor_b64 exec, exec, s[6:7]
	s_cbranch_execnz .LBB50_2220
.LBB50_170:
	s_or_b64 exec, exec, s[6:7]
	s_and_saveexec_b64 s[6:7], s[4:5]
	s_cbranch_execz .LBB50_172
.LBB50_171:
	v_bfe_u32 v2, v7, 8, 3
	v_ffbh_u32_e32 v11, v2
	v_min_u32_e32 v11, 32, v11
	v_lshrrev_b16_e32 v10, 3, v6
	v_subrev_u32_e32 v12, 28, v11
	v_and_b32_e32 v10, 15, v10
	v_lshlrev_b32_e32 v6, v12, v6
	v_sub_u32_e32 v11, 29, v11
	v_and_b32_e32 v6, 7, v6
	v_cmp_eq_u16_e32 vcc, 0, v10
	v_cndmask_b32_e32 v2, v2, v6, vcc
	v_cndmask_b32_e32 v6, v10, v11, vcc
	v_lshlrev_b32_e32 v10, 16, v7
	v_mov_b32_e32 v11, 0x3b800000
	v_lshlrev_b32_e32 v2, 20, v2
	v_and_b32_e32 v10, 0x80000000, v10
	v_lshl_add_u32 v6, v6, 23, v11
	v_or3_b32 v2, v10, v6, v2
.LBB50_172:
	s_or_b64 exec, exec, s[6:7]
	v_lshrrev_b32_e32 v6, 8, v3
	s_movk_i32 s4, 0x7f
	v_cmp_gt_i16_sdwa s[6:7], v6, s4 src0_sel:BYTE_0 src1_sel:DWORD
	s_mov_b64 s[4:5], 0
                                        ; implicit-def: $sgpr10
	s_and_saveexec_b64 s[8:9], s[6:7]
	s_xor_b64 s[6:7], exec, s[8:9]
	s_cbranch_execnz .LBB50_2221
; %bb.173:
	s_or_saveexec_b64 s[6:7], s[6:7]
	v_mov_b32_e32 v10, s10
	s_xor_b64 exec, exec, s[6:7]
	s_cbranch_execnz .LBB50_2224
.LBB50_174:
	s_or_b64 exec, exec, s[6:7]
	s_and_saveexec_b64 s[6:7], s[4:5]
	s_cbranch_execz .LBB50_176
.LBB50_175:
	v_bfe_u32 v10, v3, 8, 3
	v_ffbh_u32_e32 v12, v10
	v_min_u32_e32 v12, 32, v12
	v_lshrrev_b16_e32 v11, 3, v6
	v_subrev_u32_e32 v13, 28, v12
	v_and_b32_e32 v11, 15, v11
	v_lshlrev_b32_e32 v6, v13, v6
	v_sub_u32_e32 v12, 29, v12
	v_and_b32_e32 v6, 7, v6
	v_cmp_eq_u16_e32 vcc, 0, v11
	v_cndmask_b32_e32 v6, v10, v6, vcc
	v_cndmask_b32_e32 v10, v11, v12, vcc
	v_lshlrev_b32_e32 v11, 16, v3
	v_mov_b32_e32 v12, 0x3b800000
	v_lshlrev_b32_e32 v6, 20, v6
	v_and_b32_e32 v11, 0x80000000, v11
	v_lshl_add_u32 v10, v10, 23, v12
	v_or3_b32 v10, v11, v10, v6
.LBB50_176:
	s_or_b64 exec, exec, s[6:7]
	s_nop 0
	v_mfma_f32_16x16x4f32 a[0:3], v2, v10, a[0:3]
	s_movk_i32 s4, 0xff
	v_and_b32_sdwa v6, v7, s4 dst_sel:DWORD dst_unused:UNUSED_PAD src0_sel:WORD_1 src1_sel:DWORD
	s_movk_i32 s4, 0x7f
	v_cmp_lt_i16_e32 vcc, s4, v6
	s_mov_b64 s[4:5], 0
                                        ; implicit-def: $sgpr10
	s_and_saveexec_b64 s[6:7], vcc
	s_xor_b64 s[6:7], exec, s[6:7]
	s_cbranch_execnz .LBB50_2225
; %bb.177:
	s_or_saveexec_b64 s[6:7], s[6:7]
	v_mov_b32_e32 v2, s10
	s_xor_b64 exec, exec, s[6:7]
	s_cbranch_execnz .LBB50_2228
.LBB50_178:
	s_or_b64 exec, exec, s[6:7]
	s_and_saveexec_b64 s[6:7], s[4:5]
	s_cbranch_execz .LBB50_180
.LBB50_179:
	v_bfe_u32 v2, v7, 16, 3
	v_ffbh_u32_e32 v11, v2
	v_min_u32_e32 v11, 32, v11
	v_lshrrev_b32_e32 v6, 19, v7
	v_subrev_u32_e32 v12, 28, v11
	v_and_b32_e32 v6, 15, v6
	v_lshlrev_b32_sdwa v12, v12, v7 dst_sel:DWORD dst_unused:UNUSED_PAD src0_sel:DWORD src1_sel:WORD_1
	v_bfe_u32 v10, v7, 19, 4
	v_sub_u32_e32 v11, 29, v11
	v_and_b32_e32 v12, 7, v12
	v_cmp_eq_u16_e32 vcc, 0, v6
	v_cndmask_b32_e32 v2, v2, v12, vcc
	v_cndmask_b32_e32 v6, v10, v11, vcc
	v_lshlrev_b32_e32 v10, 8, v7
	v_mov_b32_e32 v11, 0x3b800000
	v_lshlrev_b32_e32 v2, 20, v2
	v_and_b32_e32 v10, 0x80000000, v10
	v_lshl_add_u32 v6, v6, 23, v11
	v_or3_b32 v2, v10, v6, v2
.LBB50_180:
	s_or_b64 exec, exec, s[6:7]
	s_movk_i32 s4, 0xff
	v_and_b32_sdwa v6, v3, s4 dst_sel:DWORD dst_unused:UNUSED_PAD src0_sel:WORD_1 src1_sel:DWORD
	s_movk_i32 s4, 0x7f
	v_cmp_lt_i16_e32 vcc, s4, v6
	s_mov_b64 s[4:5], 0
                                        ; implicit-def: $sgpr10
	s_and_saveexec_b64 s[6:7], vcc
	s_xor_b64 s[6:7], exec, s[6:7]
	s_cbranch_execnz .LBB50_2229
; %bb.181:
	s_or_saveexec_b64 s[6:7], s[6:7]
	v_mov_b32_e32 v10, s10
	s_xor_b64 exec, exec, s[6:7]
	s_cbranch_execnz .LBB50_2232
.LBB50_182:
	s_or_b64 exec, exec, s[6:7]
	s_and_saveexec_b64 s[6:7], s[4:5]
	s_cbranch_execz .LBB50_184
.LBB50_183:
	v_bfe_u32 v6, v3, 16, 3
	v_ffbh_u32_e32 v12, v6
	v_min_u32_e32 v12, 32, v12
	v_lshrrev_b32_e32 v10, 19, v3
	v_subrev_u32_e32 v13, 28, v12
	v_and_b32_e32 v10, 15, v10
	v_lshlrev_b32_sdwa v13, v13, v3 dst_sel:DWORD dst_unused:UNUSED_PAD src0_sel:DWORD src1_sel:WORD_1
	v_bfe_u32 v11, v3, 19, 4
	v_sub_u32_e32 v12, 29, v12
	v_and_b32_e32 v13, 7, v13
	v_cmp_eq_u16_e32 vcc, 0, v10
	v_cndmask_b32_e32 v6, v6, v13, vcc
	v_cndmask_b32_e32 v10, v11, v12, vcc
	v_lshlrev_b32_e32 v11, 8, v3
	v_mov_b32_e32 v12, 0x3b800000
	v_lshlrev_b32_e32 v6, 20, v6
	v_and_b32_e32 v11, 0x80000000, v11
	v_lshl_add_u32 v10, v10, 23, v12
	v_or3_b32 v10, v11, v10, v6
.LBB50_184:
	s_or_b64 exec, exec, s[6:7]
	s_nop 0
	v_mfma_f32_16x16x4f32 a[0:3], v2, v10, a[0:3]
	s_movk_i32 s4, 0x7f
	v_cmp_gt_i16_sdwa s[6:7], v7, s4 src0_sel:BYTE_3 src1_sel:DWORD
	s_mov_b64 s[4:5], 0
                                        ; implicit-def: $sgpr10
	s_and_saveexec_b64 s[8:9], s[6:7]
	s_xor_b64 s[6:7], exec, s[8:9]
	s_cbranch_execnz .LBB50_2233
; %bb.185:
	s_or_saveexec_b64 s[6:7], s[6:7]
	v_mov_b32_e32 v2, s10
	s_xor_b64 exec, exec, s[6:7]
	s_cbranch_execnz .LBB50_2236
.LBB50_186:
	s_or_b64 exec, exec, s[6:7]
	s_and_saveexec_b64 s[6:7], s[4:5]
	s_cbranch_execz .LBB50_188
.LBB50_187:
	v_bfe_u32 v2, v7, 24, 3
	v_ffbh_u32_e32 v12, v2
	v_min_u32_e32 v12, 32, v12
	v_lshrrev_b32_e32 v10, 27, v7
	v_subrev_u32_e32 v13, 28, v12
	v_and_b32_e32 v6, 0x80000000, v7
	v_and_b32_e32 v10, 15, v10
	v_bfe_u32 v11, v7, 27, 4
	v_lshlrev_b32_sdwa v7, v13, v7 dst_sel:DWORD dst_unused:UNUSED_PAD src0_sel:DWORD src1_sel:BYTE_3
	v_sub_u32_e32 v12, 29, v12
	v_and_b32_e32 v7, 7, v7
	v_cmp_eq_u16_e32 vcc, 0, v10
	v_cndmask_b32_e32 v2, v2, v7, vcc
	v_cndmask_b32_e32 v7, v11, v12, vcc
	v_mov_b32_e32 v10, 0x3b800000
	v_lshlrev_b32_e32 v2, 20, v2
	v_lshl_add_u32 v7, v7, 23, v10
	v_or3_b32 v2, v6, v7, v2
.LBB50_188:
	s_or_b64 exec, exec, s[6:7]
	s_movk_i32 s4, 0x7f
	v_cmp_gt_i16_sdwa s[6:7], v3, s4 src0_sel:BYTE_3 src1_sel:DWORD
	s_mov_b64 s[4:5], 0
                                        ; implicit-def: $sgpr10
	s_and_saveexec_b64 s[8:9], s[6:7]
	s_xor_b64 s[6:7], exec, s[8:9]
	s_cbranch_execnz .LBB50_2237
; %bb.189:
	s_or_saveexec_b64 s[6:7], s[6:7]
	v_mov_b32_e32 v6, s10
	s_xor_b64 exec, exec, s[6:7]
	s_cbranch_execnz .LBB50_2240
.LBB50_190:
	s_or_b64 exec, exec, s[6:7]
	s_and_saveexec_b64 s[6:7], s[4:5]
	s_cbranch_execz .LBB50_192
.LBB50_191:
	v_bfe_u32 v6, v3, 24, 3
	v_ffbh_u32_e32 v12, v6
	v_min_u32_e32 v12, 32, v12
	v_lshrrev_b32_e32 v10, 27, v3
	v_subrev_u32_e32 v13, 28, v12
	v_and_b32_e32 v7, 0x80000000, v3
	v_and_b32_e32 v10, 15, v10
	v_bfe_u32 v11, v3, 27, 4
	v_lshlrev_b32_sdwa v3, v13, v3 dst_sel:DWORD dst_unused:UNUSED_PAD src0_sel:DWORD src1_sel:BYTE_3
	v_sub_u32_e32 v12, 29, v12
	v_and_b32_e32 v3, 7, v3
	v_cmp_eq_u16_e32 vcc, 0, v10
	v_cndmask_b32_e32 v3, v6, v3, vcc
	v_cndmask_b32_e32 v6, v11, v12, vcc
	v_mov_b32_e32 v10, 0x3b800000
	v_lshlrev_b32_e32 v3, 20, v3
	v_lshl_add_u32 v6, v6, 23, v10
	v_or3_b32 v6, v7, v6, v3
.LBB50_192:
	s_or_b64 exec, exec, s[6:7]
	s_nop 0
	v_mfma_f32_16x16x4f32 a[0:3], v2, v6, a[0:3]
	s_movk_i32 s4, 0x7f
	v_cmp_gt_i16_sdwa s[6:7], v8, s4 src0_sel:BYTE_0 src1_sel:DWORD
	s_mov_b64 s[4:5], 0
                                        ; implicit-def: $sgpr10
	s_and_saveexec_b64 s[8:9], s[6:7]
	s_xor_b64 s[6:7], exec, s[8:9]
	s_cbranch_execnz .LBB50_2241
; %bb.193:
	s_or_saveexec_b64 s[6:7], s[6:7]
	v_mov_b32_e32 v2, s10
	s_xor_b64 exec, exec, s[6:7]
	s_cbranch_execnz .LBB50_2244
.LBB50_194:
	s_or_b64 exec, exec, s[6:7]
	s_and_saveexec_b64 s[6:7], s[4:5]
	s_cbranch_execz .LBB50_196
.LBB50_195:
	v_and_b32_e32 v2, 7, v8
	v_ffbh_u32_e32 v6, v2
	v_min_u32_e32 v6, 32, v6
	v_lshrrev_b16_e32 v3, 3, v8
	v_subrev_u32_e32 v7, 28, v6
	v_and_b32_e32 v3, 15, v3
	v_lshlrev_b32_e32 v7, v7, v8
	v_sub_u32_e32 v6, 29, v6
	v_and_b32_e32 v7, 7, v7
	v_cmp_eq_u16_e32 vcc, 0, v3
	v_cndmask_b32_e32 v2, v2, v7, vcc
	v_cndmask_b32_e32 v3, v3, v6, vcc
	v_lshlrev_b32_e32 v6, 24, v8
	v_mov_b32_e32 v7, 0x3b800000
	v_lshlrev_b32_e32 v2, 20, v2
	v_and_b32_e32 v6, 0x80000000, v6
	v_lshl_add_u32 v3, v3, 23, v7
	v_or3_b32 v2, v6, v3, v2
.LBB50_196:
	s_or_b64 exec, exec, s[6:7]
	s_movk_i32 s4, 0x7f
	v_cmp_gt_i16_sdwa s[6:7], v4, s4 src0_sel:BYTE_0 src1_sel:DWORD
	s_mov_b64 s[4:5], 0
                                        ; implicit-def: $sgpr10
	s_and_saveexec_b64 s[8:9], s[6:7]
	s_xor_b64 s[6:7], exec, s[8:9]
	s_cbranch_execnz .LBB50_2245
; %bb.197:
	s_or_saveexec_b64 s[6:7], s[6:7]
	v_mov_b32_e32 v3, s10
	s_xor_b64 exec, exec, s[6:7]
	s_cbranch_execnz .LBB50_2248
.LBB50_198:
	s_or_b64 exec, exec, s[6:7]
	s_and_saveexec_b64 s[6:7], s[4:5]
	s_cbranch_execz .LBB50_200
.LBB50_199:
	v_and_b32_e32 v3, 7, v4
	v_ffbh_u32_e32 v7, v3
	v_min_u32_e32 v7, 32, v7
	v_lshrrev_b16_e32 v6, 3, v4
	v_subrev_u32_e32 v10, 28, v7
	v_and_b32_e32 v6, 15, v6
	v_lshlrev_b32_e32 v10, v10, v4
	v_sub_u32_e32 v7, 29, v7
	v_and_b32_e32 v10, 7, v10
	v_cmp_eq_u16_e32 vcc, 0, v6
	v_cndmask_b32_e32 v3, v3, v10, vcc
	v_cndmask_b32_e32 v6, v6, v7, vcc
	v_lshlrev_b32_e32 v7, 24, v4
	v_mov_b32_e32 v10, 0x3b800000
	v_lshlrev_b32_e32 v3, 20, v3
	v_and_b32_e32 v7, 0x80000000, v7
	v_lshl_add_u32 v6, v6, 23, v10
	v_or3_b32 v3, v7, v6, v3
.LBB50_200:
	s_or_b64 exec, exec, s[6:7]
	s_nop 0
	v_mfma_f32_16x16x4f32 a[0:3], v2, v3, a[0:3]
	v_lshrrev_b32_e32 v3, 8, v8
	s_movk_i32 s4, 0x7f
	v_cmp_gt_i16_sdwa s[6:7], v3, s4 src0_sel:BYTE_0 src1_sel:DWORD
	s_mov_b64 s[4:5], 0
                                        ; implicit-def: $sgpr10
	s_and_saveexec_b64 s[8:9], s[6:7]
	s_xor_b64 s[6:7], exec, s[8:9]
	s_cbranch_execnz .LBB50_2249
; %bb.201:
	s_or_saveexec_b64 s[6:7], s[6:7]
	v_mov_b32_e32 v2, s10
	s_xor_b64 exec, exec, s[6:7]
	s_cbranch_execnz .LBB50_2252
.LBB50_202:
	s_or_b64 exec, exec, s[6:7]
	s_and_saveexec_b64 s[6:7], s[4:5]
	s_cbranch_execz .LBB50_204
.LBB50_203:
	v_bfe_u32 v2, v8, 8, 3
	v_ffbh_u32_e32 v7, v2
	v_min_u32_e32 v7, 32, v7
	v_lshrrev_b16_e32 v6, 3, v3
	v_subrev_u32_e32 v10, 28, v7
	v_and_b32_e32 v6, 15, v6
	v_lshlrev_b32_e32 v3, v10, v3
	v_sub_u32_e32 v7, 29, v7
	v_and_b32_e32 v3, 7, v3
	v_cmp_eq_u16_e32 vcc, 0, v6
	v_cndmask_b32_e32 v2, v2, v3, vcc
	v_cndmask_b32_e32 v3, v6, v7, vcc
	v_lshlrev_b32_e32 v6, 16, v8
	v_mov_b32_e32 v7, 0x3b800000
	v_lshlrev_b32_e32 v2, 20, v2
	v_and_b32_e32 v6, 0x80000000, v6
	v_lshl_add_u32 v3, v3, 23, v7
	v_or3_b32 v2, v6, v3, v2
.LBB50_204:
	s_or_b64 exec, exec, s[6:7]
	v_lshrrev_b32_e32 v3, 8, v4
	s_movk_i32 s4, 0x7f
	v_cmp_gt_i16_sdwa s[6:7], v3, s4 src0_sel:BYTE_0 src1_sel:DWORD
	s_mov_b64 s[4:5], 0
                                        ; implicit-def: $sgpr10
	s_and_saveexec_b64 s[8:9], s[6:7]
	s_xor_b64 s[6:7], exec, s[8:9]
	s_cbranch_execnz .LBB50_2253
; %bb.205:
	s_or_saveexec_b64 s[6:7], s[6:7]
	v_mov_b32_e32 v6, s10
	s_xor_b64 exec, exec, s[6:7]
	s_cbranch_execnz .LBB50_2256
.LBB50_206:
	s_or_b64 exec, exec, s[6:7]
	s_and_saveexec_b64 s[6:7], s[4:5]
	s_cbranch_execz .LBB50_208
.LBB50_207:
	v_bfe_u32 v6, v4, 8, 3
	v_ffbh_u32_e32 v10, v6
	v_min_u32_e32 v10, 32, v10
	v_lshrrev_b16_e32 v7, 3, v3
	v_subrev_u32_e32 v11, 28, v10
	v_and_b32_e32 v7, 15, v7
	v_lshlrev_b32_e32 v3, v11, v3
	v_sub_u32_e32 v10, 29, v10
	v_and_b32_e32 v3, 7, v3
	v_cmp_eq_u16_e32 vcc, 0, v7
	v_cndmask_b32_e32 v3, v6, v3, vcc
	v_cndmask_b32_e32 v6, v7, v10, vcc
	v_lshlrev_b32_e32 v7, 16, v4
	v_mov_b32_e32 v10, 0x3b800000
	v_lshlrev_b32_e32 v3, 20, v3
	v_and_b32_e32 v7, 0x80000000, v7
	v_lshl_add_u32 v6, v6, 23, v10
	v_or3_b32 v6, v7, v6, v3
.LBB50_208:
	s_or_b64 exec, exec, s[6:7]
	s_nop 0
	v_mfma_f32_16x16x4f32 a[0:3], v2, v6, a[0:3]
	s_movk_i32 s4, 0xff
	v_and_b32_sdwa v3, v8, s4 dst_sel:DWORD dst_unused:UNUSED_PAD src0_sel:WORD_1 src1_sel:DWORD
	s_movk_i32 s4, 0x7f
	v_cmp_lt_i16_e32 vcc, s4, v3
	s_mov_b64 s[4:5], 0
                                        ; implicit-def: $sgpr10
	s_and_saveexec_b64 s[6:7], vcc
	s_xor_b64 s[6:7], exec, s[6:7]
	s_cbranch_execnz .LBB50_2257
; %bb.209:
	s_or_saveexec_b64 s[6:7], s[6:7]
	v_mov_b32_e32 v2, s10
	s_xor_b64 exec, exec, s[6:7]
	s_cbranch_execnz .LBB50_2260
.LBB50_210:
	s_or_b64 exec, exec, s[6:7]
	s_and_saveexec_b64 s[6:7], s[4:5]
	s_cbranch_execz .LBB50_212
.LBB50_211:
	v_bfe_u32 v2, v8, 16, 3
	v_ffbh_u32_e32 v7, v2
	v_min_u32_e32 v7, 32, v7
	v_lshrrev_b32_e32 v3, 19, v8
	v_subrev_u32_e32 v10, 28, v7
	v_and_b32_e32 v3, 15, v3
	v_lshlrev_b32_sdwa v10, v10, v8 dst_sel:DWORD dst_unused:UNUSED_PAD src0_sel:DWORD src1_sel:WORD_1
	v_bfe_u32 v6, v8, 19, 4
	v_sub_u32_e32 v7, 29, v7
	v_and_b32_e32 v10, 7, v10
	v_cmp_eq_u16_e32 vcc, 0, v3
	v_cndmask_b32_e32 v2, v2, v10, vcc
	v_cndmask_b32_e32 v3, v6, v7, vcc
	v_lshlrev_b32_e32 v6, 8, v8
	v_mov_b32_e32 v7, 0x3b800000
	v_lshlrev_b32_e32 v2, 20, v2
	v_and_b32_e32 v6, 0x80000000, v6
	v_lshl_add_u32 v3, v3, 23, v7
	v_or3_b32 v2, v6, v3, v2
.LBB50_212:
	s_or_b64 exec, exec, s[6:7]
	s_movk_i32 s4, 0xff
	v_and_b32_sdwa v3, v4, s4 dst_sel:DWORD dst_unused:UNUSED_PAD src0_sel:WORD_1 src1_sel:DWORD
	s_movk_i32 s4, 0x7f
	v_cmp_lt_i16_e32 vcc, s4, v3
	s_mov_b64 s[4:5], 0
                                        ; implicit-def: $sgpr10
	s_and_saveexec_b64 s[6:7], vcc
	s_xor_b64 s[6:7], exec, s[6:7]
	s_cbranch_execnz .LBB50_2261
; %bb.213:
	s_or_saveexec_b64 s[6:7], s[6:7]
	v_mov_b32_e32 v6, s10
	s_xor_b64 exec, exec, s[6:7]
	s_cbranch_execnz .LBB50_2264
.LBB50_214:
	s_or_b64 exec, exec, s[6:7]
	s_and_saveexec_b64 s[6:7], s[4:5]
	s_cbranch_execz .LBB50_216
.LBB50_215:
	v_bfe_u32 v3, v4, 16, 3
	v_ffbh_u32_e32 v10, v3
	v_min_u32_e32 v10, 32, v10
	v_lshrrev_b32_e32 v6, 19, v4
	v_subrev_u32_e32 v11, 28, v10
	v_and_b32_e32 v6, 15, v6
	v_lshlrev_b32_sdwa v11, v11, v4 dst_sel:DWORD dst_unused:UNUSED_PAD src0_sel:DWORD src1_sel:WORD_1
	v_bfe_u32 v7, v4, 19, 4
	v_sub_u32_e32 v10, 29, v10
	v_and_b32_e32 v11, 7, v11
	v_cmp_eq_u16_e32 vcc, 0, v6
	v_cndmask_b32_e32 v3, v3, v11, vcc
	v_cndmask_b32_e32 v6, v7, v10, vcc
	v_lshlrev_b32_e32 v7, 8, v4
	v_mov_b32_e32 v10, 0x3b800000
	v_lshlrev_b32_e32 v3, 20, v3
	v_and_b32_e32 v7, 0x80000000, v7
	v_lshl_add_u32 v6, v6, 23, v10
	v_or3_b32 v6, v7, v6, v3
.LBB50_216:
	s_or_b64 exec, exec, s[6:7]
	s_nop 0
	v_mfma_f32_16x16x4f32 a[0:3], v2, v6, a[0:3]
	s_movk_i32 s4, 0x7f
	v_cmp_gt_i16_sdwa s[6:7], v8, s4 src0_sel:BYTE_3 src1_sel:DWORD
	s_mov_b64 s[4:5], 0
                                        ; implicit-def: $sgpr10
	s_and_saveexec_b64 s[8:9], s[6:7]
	s_xor_b64 s[6:7], exec, s[8:9]
	s_cbranch_execnz .LBB50_2265
; %bb.217:
	s_or_saveexec_b64 s[6:7], s[6:7]
	v_mov_b32_e32 v2, s10
	s_xor_b64 exec, exec, s[6:7]
	s_cbranch_execnz .LBB50_2268
.LBB50_218:
	s_or_b64 exec, exec, s[6:7]
	s_and_saveexec_b64 s[6:7], s[4:5]
	s_cbranch_execz .LBB50_220
.LBB50_219:
	v_bfe_u32 v2, v8, 24, 3
	v_ffbh_u32_e32 v10, v2
	v_min_u32_e32 v10, 32, v10
	v_lshrrev_b32_e32 v6, 27, v8
	v_subrev_u32_e32 v11, 28, v10
	v_and_b32_e32 v3, 0x80000000, v8
	v_and_b32_e32 v6, 15, v6
	v_bfe_u32 v7, v8, 27, 4
	v_lshlrev_b32_sdwa v8, v11, v8 dst_sel:DWORD dst_unused:UNUSED_PAD src0_sel:DWORD src1_sel:BYTE_3
	v_sub_u32_e32 v10, 29, v10
	v_and_b32_e32 v8, 7, v8
	v_cmp_eq_u16_e32 vcc, 0, v6
	v_cndmask_b32_e32 v2, v2, v8, vcc
	v_cndmask_b32_e32 v6, v7, v10, vcc
	v_mov_b32_e32 v7, 0x3b800000
	v_lshlrev_b32_e32 v2, 20, v2
	v_lshl_add_u32 v6, v6, 23, v7
	v_or3_b32 v2, v3, v6, v2
.LBB50_220:
	s_or_b64 exec, exec, s[6:7]
	s_movk_i32 s4, 0x7f
	v_cmp_gt_i16_sdwa s[6:7], v4, s4 src0_sel:BYTE_3 src1_sel:DWORD
	s_mov_b64 s[4:5], 0
                                        ; implicit-def: $sgpr10
	s_and_saveexec_b64 s[8:9], s[6:7]
	s_xor_b64 s[6:7], exec, s[8:9]
	s_cbranch_execnz .LBB50_2269
; %bb.221:
	s_or_saveexec_b64 s[6:7], s[6:7]
	v_mov_b32_e32 v3, s10
	s_xor_b64 exec, exec, s[6:7]
	s_cbranch_execnz .LBB50_2272
.LBB50_222:
	s_or_b64 exec, exec, s[6:7]
	s_and_saveexec_b64 s[6:7], s[4:5]
	s_cbranch_execz .LBB50_224
.LBB50_223:
	v_bfe_u32 v3, v4, 24, 3
	v_ffbh_u32_e32 v10, v3
	v_min_u32_e32 v10, 32, v10
	v_lshrrev_b32_e32 v7, 27, v4
	v_subrev_u32_e32 v11, 28, v10
	v_and_b32_e32 v6, 0x80000000, v4
	v_and_b32_e32 v7, 15, v7
	v_bfe_u32 v8, v4, 27, 4
	v_lshlrev_b32_sdwa v4, v11, v4 dst_sel:DWORD dst_unused:UNUSED_PAD src0_sel:DWORD src1_sel:BYTE_3
	v_sub_u32_e32 v10, 29, v10
	v_and_b32_e32 v4, 7, v4
	v_cmp_eq_u16_e32 vcc, 0, v7
	v_cndmask_b32_e32 v3, v3, v4, vcc
	v_cndmask_b32_e32 v4, v8, v10, vcc
	v_mov_b32_e32 v7, 0x3b800000
	v_lshlrev_b32_e32 v3, 20, v3
	v_lshl_add_u32 v4, v4, 23, v7
	v_or3_b32 v3, v6, v4, v3
.LBB50_224:
	s_or_b64 exec, exec, s[6:7]
	s_nop 0
	v_mfma_f32_16x16x4f32 a[0:3], v2, v3, a[0:3]
	s_movk_i32 s4, 0x7f
	v_cmp_gt_i16_sdwa s[6:7], v9, s4 src0_sel:BYTE_0 src1_sel:DWORD
	s_mov_b64 s[4:5], 0
                                        ; implicit-def: $sgpr10
	s_and_saveexec_b64 s[8:9], s[6:7]
	s_xor_b64 s[6:7], exec, s[8:9]
	s_cbranch_execnz .LBB50_2273
; %bb.225:
	s_or_saveexec_b64 s[6:7], s[6:7]
	v_mov_b32_e32 v2, s10
	s_xor_b64 exec, exec, s[6:7]
	s_cbranch_execnz .LBB50_2276
.LBB50_226:
	s_or_b64 exec, exec, s[6:7]
	s_and_saveexec_b64 s[6:7], s[4:5]
	s_cbranch_execz .LBB50_228
.LBB50_227:
	v_mov_b32_e32 v2, 8
	v_and_b32_e32 v3, 7, v9
	v_lshrrev_b32_sdwa v2, v2, v9 dst_sel:BYTE_1 dst_unused:UNUSED_PAD src0_sel:DWORD src1_sel:DWORD
	v_ffbh_u32_e32 v4, v3
	v_or_b32_sdwa v2, v9, v2 dst_sel:DWORD dst_unused:UNUSED_PAD src0_sel:BYTE_0 src1_sel:DWORD
	v_min_u32_e32 v4, 32, v4
	v_lshrrev_b16_e32 v2, 3, v2
	v_subrev_u32_e32 v6, 28, v4
	v_and_b32_e32 v2, 15, v2
	v_lshlrev_b32_e32 v6, v6, v9
	v_sub_u32_e32 v4, 29, v4
	v_and_b32_e32 v6, 7, v6
	v_cmp_eq_u16_e32 vcc, 0, v2
	v_cndmask_b32_e32 v3, v3, v6, vcc
	v_cndmask_b32_e32 v2, v2, v4, vcc
	v_lshlrev_b32_e32 v4, 24, v9
	v_mov_b32_e32 v6, 0x3b800000
	v_lshlrev_b32_e32 v3, 20, v3
	v_and_b32_e32 v4, 0x80000000, v4
	v_lshl_add_u32 v2, v2, 23, v6
	v_or3_b32 v2, v4, v2, v3
.LBB50_228:
	s_or_b64 exec, exec, s[6:7]
	s_movk_i32 s4, 0x7f
	v_cmp_gt_i16_sdwa s[6:7], v5, s4 src0_sel:BYTE_0 src1_sel:DWORD
	s_mov_b64 s[4:5], 0
                                        ; implicit-def: $sgpr10
	s_and_saveexec_b64 s[8:9], s[6:7]
	s_xor_b64 s[6:7], exec, s[8:9]
	s_cbranch_execnz .LBB50_2277
; %bb.229:
	s_or_saveexec_b64 s[6:7], s[6:7]
	v_mov_b32_e32 v3, s10
	s_xor_b64 exec, exec, s[6:7]
	s_cbranch_execnz .LBB50_2280
.LBB50_230:
	s_or_b64 exec, exec, s[6:7]
	s_and_saveexec_b64 s[6:7], s[4:5]
	s_cbranch_execz .LBB50_232
.LBB50_231:
	v_mov_b32_e32 v3, 8
	v_and_b32_e32 v4, 7, v5
	v_lshrrev_b32_sdwa v3, v3, v5 dst_sel:BYTE_1 dst_unused:UNUSED_PAD src0_sel:DWORD src1_sel:DWORD
	v_ffbh_u32_e32 v6, v4
	v_or_b32_sdwa v3, v5, v3 dst_sel:DWORD dst_unused:UNUSED_PAD src0_sel:BYTE_0 src1_sel:DWORD
	v_min_u32_e32 v6, 32, v6
	v_lshrrev_b16_e32 v3, 3, v3
	v_subrev_u32_e32 v7, 28, v6
	v_and_b32_e32 v3, 15, v3
	v_lshlrev_b32_e32 v7, v7, v5
	v_sub_u32_e32 v6, 29, v6
	v_and_b32_e32 v7, 7, v7
	v_cmp_eq_u16_e32 vcc, 0, v3
	v_cndmask_b32_e32 v4, v4, v7, vcc
	v_cndmask_b32_e32 v3, v3, v6, vcc
	v_lshlrev_b32_e32 v6, 24, v5
	v_mov_b32_e32 v7, 0x3b800000
	v_lshlrev_b32_e32 v4, 20, v4
	v_and_b32_e32 v6, 0x80000000, v6
	v_lshl_add_u32 v3, v3, 23, v7
	v_or3_b32 v3, v6, v3, v4
.LBB50_232:
	s_or_b64 exec, exec, s[6:7]
	s_nop 0
	v_mfma_f32_16x16x4f32 a[0:3], v2, v3, a[0:3]
	v_lshrrev_b32_e32 v3, 8, v9
	s_movk_i32 s4, 0x7f
	v_cmp_gt_i16_sdwa s[6:7], v3, s4 src0_sel:BYTE_0 src1_sel:DWORD
	s_mov_b64 s[4:5], 0
                                        ; implicit-def: $sgpr10
	s_and_saveexec_b64 s[8:9], s[6:7]
	s_xor_b64 s[6:7], exec, s[8:9]
	s_cbranch_execnz .LBB50_2281
; %bb.233:
	s_or_saveexec_b64 s[6:7], s[6:7]
	v_mov_b32_e32 v2, s10
	s_xor_b64 exec, exec, s[6:7]
	s_cbranch_execnz .LBB50_2284
.LBB50_234:
	s_or_b64 exec, exec, s[6:7]
	s_and_saveexec_b64 s[6:7], s[4:5]
	s_cbranch_execz .LBB50_236
.LBB50_235:
	v_bfe_u32 v2, v9, 8, 3
	v_ffbh_u32_e32 v6, v2
	v_min_u32_e32 v6, 32, v6
	v_lshrrev_b16_e32 v4, 3, v3
	v_subrev_u32_e32 v7, 28, v6
	v_and_b32_e32 v4, 15, v4
	v_lshlrev_b32_e32 v3, v7, v3
	v_sub_u32_e32 v6, 29, v6
	v_and_b32_e32 v3, 7, v3
	v_cmp_eq_u16_e32 vcc, 0, v4
	v_cndmask_b32_e32 v2, v2, v3, vcc
	v_cndmask_b32_e32 v3, v4, v6, vcc
	v_lshlrev_b32_e32 v4, 16, v9
	v_mov_b32_e32 v6, 0x3b800000
	v_lshlrev_b32_e32 v2, 20, v2
	v_and_b32_e32 v4, 0x80000000, v4
	v_lshl_add_u32 v3, v3, 23, v6
	v_or3_b32 v2, v4, v3, v2
.LBB50_236:
	s_or_b64 exec, exec, s[6:7]
	v_lshrrev_b32_e32 v3, 8, v5
	s_movk_i32 s4, 0x7f
	v_cmp_gt_i16_sdwa s[6:7], v3, s4 src0_sel:BYTE_0 src1_sel:DWORD
	s_mov_b64 s[4:5], 0
                                        ; implicit-def: $sgpr10
	s_and_saveexec_b64 s[8:9], s[6:7]
	s_xor_b64 s[6:7], exec, s[8:9]
	s_cbranch_execnz .LBB50_2285
; %bb.237:
	s_or_saveexec_b64 s[6:7], s[6:7]
	v_mov_b32_e32 v4, s10
	s_xor_b64 exec, exec, s[6:7]
	s_cbranch_execnz .LBB50_2288
.LBB50_238:
	s_or_b64 exec, exec, s[6:7]
	s_and_saveexec_b64 s[6:7], s[4:5]
	s_cbranch_execz .LBB50_240
.LBB50_239:
	v_bfe_u32 v4, v5, 8, 3
	v_ffbh_u32_e32 v7, v4
	v_min_u32_e32 v7, 32, v7
	v_lshrrev_b16_e32 v6, 3, v3
	v_subrev_u32_e32 v8, 28, v7
	v_and_b32_e32 v6, 15, v6
	v_lshlrev_b32_e32 v3, v8, v3
	v_sub_u32_e32 v7, 29, v7
	v_and_b32_e32 v3, 7, v3
	v_cmp_eq_u16_e32 vcc, 0, v6
	v_cndmask_b32_e32 v3, v4, v3, vcc
	v_cndmask_b32_e32 v4, v6, v7, vcc
	v_lshlrev_b32_e32 v6, 16, v5
	v_mov_b32_e32 v7, 0x3b800000
	v_lshlrev_b32_e32 v3, 20, v3
	v_and_b32_e32 v6, 0x80000000, v6
	v_lshl_add_u32 v4, v4, 23, v7
	v_or3_b32 v4, v6, v4, v3
.LBB50_240:
	s_or_b64 exec, exec, s[6:7]
	s_nop 0
	v_mfma_f32_16x16x4f32 a[0:3], v2, v4, a[0:3]
	s_movk_i32 s4, 0xff
	v_and_b32_sdwa v3, v9, s4 dst_sel:DWORD dst_unused:UNUSED_PAD src0_sel:WORD_1 src1_sel:DWORD
	s_movk_i32 s4, 0x7f
	v_cmp_lt_i16_e32 vcc, s4, v3
	s_mov_b64 s[4:5], 0
                                        ; implicit-def: $sgpr10
	s_and_saveexec_b64 s[6:7], vcc
	s_xor_b64 s[6:7], exec, s[6:7]
	s_cbranch_execnz .LBB50_2289
; %bb.241:
	s_or_saveexec_b64 s[6:7], s[6:7]
	v_mov_b32_e32 v2, s10
	s_xor_b64 exec, exec, s[6:7]
	s_cbranch_execnz .LBB50_2292
.LBB50_242:
	s_or_b64 exec, exec, s[6:7]
	s_and_saveexec_b64 s[6:7], s[4:5]
	s_cbranch_execz .LBB50_244
.LBB50_243:
	v_bfe_u32 v2, v9, 16, 3
	v_ffbh_u32_e32 v6, v2
	v_min_u32_e32 v6, 32, v6
	v_lshrrev_b32_e32 v3, 19, v9
	v_subrev_u32_e32 v7, 28, v6
	v_and_b32_e32 v3, 15, v3
	v_lshlrev_b32_sdwa v7, v7, v9 dst_sel:DWORD dst_unused:UNUSED_PAD src0_sel:DWORD src1_sel:WORD_1
	v_bfe_u32 v4, v9, 19, 4
	v_sub_u32_e32 v6, 29, v6
	v_and_b32_e32 v7, 7, v7
	v_cmp_eq_u16_e32 vcc, 0, v3
	v_cndmask_b32_e32 v2, v2, v7, vcc
	v_cndmask_b32_e32 v3, v4, v6, vcc
	v_lshlrev_b32_e32 v4, 8, v9
	v_mov_b32_e32 v6, 0x3b800000
	v_lshlrev_b32_e32 v2, 20, v2
	v_and_b32_e32 v4, 0x80000000, v4
	v_lshl_add_u32 v3, v3, 23, v6
	v_or3_b32 v2, v4, v3, v2
.LBB50_244:
	s_or_b64 exec, exec, s[6:7]
	s_movk_i32 s4, 0xff
	v_and_b32_sdwa v3, v5, s4 dst_sel:DWORD dst_unused:UNUSED_PAD src0_sel:WORD_1 src1_sel:DWORD
	s_movk_i32 s4, 0x7f
	v_cmp_lt_i16_e32 vcc, s4, v3
	s_mov_b64 s[4:5], 0
                                        ; implicit-def: $sgpr10
	s_and_saveexec_b64 s[6:7], vcc
	s_xor_b64 s[6:7], exec, s[6:7]
	s_cbranch_execnz .LBB50_2293
; %bb.245:
	s_or_saveexec_b64 s[6:7], s[6:7]
	v_mov_b32_e32 v4, s10
	s_xor_b64 exec, exec, s[6:7]
	s_cbranch_execnz .LBB50_2296
.LBB50_246:
	s_or_b64 exec, exec, s[6:7]
	s_and_saveexec_b64 s[6:7], s[4:5]
	s_cbranch_execz .LBB50_248
.LBB50_247:
	v_bfe_u32 v3, v5, 16, 3
	v_ffbh_u32_e32 v7, v3
	v_min_u32_e32 v7, 32, v7
	v_lshrrev_b32_e32 v4, 19, v5
	v_subrev_u32_e32 v8, 28, v7
	v_and_b32_e32 v4, 15, v4
	v_lshlrev_b32_sdwa v8, v8, v5 dst_sel:DWORD dst_unused:UNUSED_PAD src0_sel:DWORD src1_sel:WORD_1
	v_bfe_u32 v6, v5, 19, 4
	v_sub_u32_e32 v7, 29, v7
	v_and_b32_e32 v8, 7, v8
	v_cmp_eq_u16_e32 vcc, 0, v4
	v_cndmask_b32_e32 v3, v3, v8, vcc
	v_cndmask_b32_e32 v4, v6, v7, vcc
	v_lshlrev_b32_e32 v6, 8, v5
	v_mov_b32_e32 v7, 0x3b800000
	v_lshlrev_b32_e32 v3, 20, v3
	v_and_b32_e32 v6, 0x80000000, v6
	v_lshl_add_u32 v4, v4, 23, v7
	v_or3_b32 v4, v6, v4, v3
.LBB50_248:
	s_or_b64 exec, exec, s[6:7]
	s_nop 0
	v_mfma_f32_16x16x4f32 a[0:3], v2, v4, a[0:3]
	s_movk_i32 s4, 0x7f
	v_cmp_gt_i16_sdwa s[6:7], v9, s4 src0_sel:BYTE_3 src1_sel:DWORD
	s_mov_b64 s[4:5], 0
                                        ; implicit-def: $sgpr10
	s_and_saveexec_b64 s[8:9], s[6:7]
	s_xor_b64 s[6:7], exec, s[8:9]
	s_cbranch_execnz .LBB50_2297
; %bb.249:
	s_or_saveexec_b64 s[6:7], s[6:7]
	v_mov_b32_e32 v2, s10
	s_xor_b64 exec, exec, s[6:7]
	s_cbranch_execnz .LBB50_2300
.LBB50_250:
	s_or_b64 exec, exec, s[6:7]
	s_and_saveexec_b64 s[6:7], s[4:5]
	s_cbranch_execz .LBB50_252
.LBB50_251:
	v_bfe_u32 v2, v9, 24, 3
	v_ffbh_u32_e32 v7, v2
	v_min_u32_e32 v7, 32, v7
	v_lshrrev_b32_e32 v4, 27, v9
	v_subrev_u32_e32 v8, 28, v7
	v_and_b32_e32 v4, 15, v4
	v_lshlrev_b32_sdwa v8, v8, v9 dst_sel:DWORD dst_unused:UNUSED_PAD src0_sel:DWORD src1_sel:BYTE_3
	v_bfe_u32 v6, v9, 27, 4
	v_sub_u32_e32 v7, 29, v7
	v_and_b32_e32 v8, 7, v8
	v_cmp_eq_u16_e32 vcc, 0, v4
	v_cndmask_b32_e32 v2, v2, v8, vcc
	v_cndmask_b32_e32 v4, v6, v7, vcc
	v_mov_b32_e32 v6, 0x3b800000
	v_and_b32_e32 v3, 0x80000000, v9
	v_lshlrev_b32_e32 v2, 20, v2
	v_lshl_add_u32 v4, v4, 23, v6
	v_or3_b32 v2, v3, v4, v2
.LBB50_252:
	s_or_b64 exec, exec, s[6:7]
	s_movk_i32 s4, 0x7f
	v_cmp_gt_i16_sdwa s[6:7], v5, s4 src0_sel:BYTE_3 src1_sel:DWORD
	s_mov_b64 s[4:5], 0
                                        ; implicit-def: $sgpr10
	s_and_saveexec_b64 s[8:9], s[6:7]
	s_xor_b64 s[6:7], exec, s[8:9]
	s_cbranch_execnz .LBB50_2301
; %bb.253:
	s_or_saveexec_b64 s[6:7], s[6:7]
	v_mov_b32_e32 v3, s10
	s_xor_b64 exec, exec, s[6:7]
	s_cbranch_execnz .LBB50_2304
.LBB50_254:
	s_or_b64 exec, exec, s[6:7]
	s_and_saveexec_b64 s[6:7], s[4:5]
	s_cbranch_execz .LBB50_256
.LBB50_255:
	v_bfe_u32 v3, v5, 24, 3
	v_ffbh_u32_e32 v8, v3
	v_min_u32_e32 v8, 32, v8
	v_lshrrev_b32_e32 v6, 27, v5
	v_subrev_u32_e32 v9, 28, v8
	v_and_b32_e32 v4, 0x80000000, v5
	v_and_b32_e32 v6, 15, v6
	v_bfe_u32 v7, v5, 27, 4
	v_lshlrev_b32_sdwa v5, v9, v5 dst_sel:DWORD dst_unused:UNUSED_PAD src0_sel:DWORD src1_sel:BYTE_3
	v_sub_u32_e32 v8, 29, v8
	v_and_b32_e32 v5, 7, v5
	v_cmp_eq_u16_e32 vcc, 0, v6
	v_cndmask_b32_e32 v3, v3, v5, vcc
	v_cndmask_b32_e32 v5, v7, v8, vcc
	v_mov_b32_e32 v6, 0x3b800000
	v_lshlrev_b32_e32 v3, 20, v3
	v_lshl_add_u32 v5, v5, 23, v6
	v_or3_b32 v3, v4, v5, v3
.LBB50_256:
	s_or_b64 exec, exec, s[6:7]
	s_nop 0
	v_mfma_f32_16x16x4f32 a[0:3], v2, v3, a[0:3]
	s_movk_i32 s4, 0x7f
                                        ; implicit-def: $sgpr10
	s_nop 7
	s_nop 1
	flat_store_dwordx4 v[18:19], a[0:3] offset:768
	flat_load_dwordx4 v[20:23], v[0:1] offset:8
	s_nop 0
	flat_load_dwordx2 v[18:19], v[0:1] offset:24
	s_waitcnt vmcnt(0) lgkmcnt(0)
	flat_load_dwordx4 v[14:17], v[20:21]
	flat_load_dwordx4 v[6:9], v[20:21] offset:16
	flat_load_dwordx4 v[10:13], v[22:23] offset:32
	;; [unrolled: 1-line block ×3, first 2 shown]
	s_waitcnt vmcnt(0) lgkmcnt(0)
	v_cmp_gt_i16_sdwa s[6:7], v14, s4 src0_sel:BYTE_0 src1_sel:DWORD
	s_mov_b64 s[4:5], 0
	s_and_saveexec_b64 s[8:9], s[6:7]
	s_xor_b64 s[6:7], exec, s[8:9]
	s_cbranch_execnz .LBB50_2305
; %bb.257:
	s_or_saveexec_b64 s[6:7], s[6:7]
	v_mov_b32_e32 v20, s10
	s_xor_b64 exec, exec, s[6:7]
	s_cbranch_execnz .LBB50_2308
.LBB50_258:
	s_or_b64 exec, exec, s[6:7]
	s_and_saveexec_b64 s[6:7], s[4:5]
	s_cbranch_execz .LBB50_260
.LBB50_259:
	v_and_b32_e32 v20, 7, v14
	v_ffbh_u32_e32 v22, v20
	v_min_u32_e32 v22, 32, v22
	v_lshrrev_b16_e32 v21, 3, v14
	v_subrev_u32_e32 v23, 28, v22
	v_and_b32_e32 v21, 15, v21
	v_lshlrev_b32_e32 v23, v23, v14
	v_sub_u32_e32 v22, 29, v22
	v_and_b32_e32 v23, 7, v23
	v_cmp_eq_u16_e32 vcc, 0, v21
	v_cndmask_b32_e32 v20, v20, v23, vcc
	v_cndmask_b32_e32 v21, v21, v22, vcc
	v_lshlrev_b32_e32 v22, 24, v14
	v_mov_b32_e32 v23, 0x3b800000
	v_lshlrev_b32_e32 v20, 20, v20
	v_and_b32_e32 v22, 0x80000000, v22
	v_lshl_add_u32 v21, v21, 23, v23
	v_or3_b32 v20, v22, v21, v20
.LBB50_260:
	s_or_b64 exec, exec, s[6:7]
	s_movk_i32 s4, 0x7f
	v_cmp_gt_i16_sdwa s[6:7], v10, s4 src0_sel:BYTE_0 src1_sel:DWORD
	s_mov_b64 s[4:5], 0
                                        ; implicit-def: $sgpr10
	s_and_saveexec_b64 s[8:9], s[6:7]
	s_xor_b64 s[6:7], exec, s[8:9]
	s_cbranch_execnz .LBB50_2309
; %bb.261:
	s_or_saveexec_b64 s[6:7], s[6:7]
	v_mov_b32_e32 v21, s10
	s_xor_b64 exec, exec, s[6:7]
	s_cbranch_execnz .LBB50_2312
.LBB50_262:
	s_or_b64 exec, exec, s[6:7]
	s_and_saveexec_b64 s[6:7], s[4:5]
	s_cbranch_execz .LBB50_264
.LBB50_263:
	v_and_b32_e32 v21, 7, v10
	v_ffbh_u32_e32 v23, v21
	v_min_u32_e32 v23, 32, v23
	v_lshrrev_b16_e32 v22, 3, v10
	v_subrev_u32_e32 v24, 28, v23
	v_and_b32_e32 v22, 15, v22
	v_lshlrev_b32_e32 v24, v24, v10
	v_sub_u32_e32 v23, 29, v23
	v_and_b32_e32 v24, 7, v24
	v_cmp_eq_u16_e32 vcc, 0, v22
	v_cndmask_b32_e32 v21, v21, v24, vcc
	v_cndmask_b32_e32 v22, v22, v23, vcc
	v_lshlrev_b32_e32 v23, 24, v10
	v_mov_b32_e32 v24, 0x3b800000
	v_lshlrev_b32_e32 v21, 20, v21
	v_and_b32_e32 v23, 0x80000000, v23
	v_lshl_add_u32 v22, v22, 23, v24
	v_or3_b32 v21, v23, v22, v21
.LBB50_264:
	s_or_b64 exec, exec, s[6:7]
	flat_load_dwordx4 a[0:3], v[18:19] offset:784
	s_movk_i32 s4, 0x7f
                                        ; implicit-def: $sgpr10
	s_waitcnt vmcnt(0) lgkmcnt(0)
	v_mfma_f32_16x16x4f32 a[0:3], v20, v21, a[0:3]
	v_lshrrev_b32_e32 v21, 8, v14
	v_cmp_gt_i16_sdwa s[6:7], v21, s4 src0_sel:BYTE_0 src1_sel:DWORD
	s_mov_b64 s[4:5], 0
	s_and_saveexec_b64 s[8:9], s[6:7]
	s_xor_b64 s[6:7], exec, s[8:9]
	s_cbranch_execnz .LBB50_2313
; %bb.265:
	s_or_saveexec_b64 s[6:7], s[6:7]
	v_mov_b32_e32 v20, s10
	s_xor_b64 exec, exec, s[6:7]
	s_cbranch_execnz .LBB50_2316
.LBB50_266:
	s_or_b64 exec, exec, s[6:7]
	s_and_saveexec_b64 s[6:7], s[4:5]
	s_cbranch_execz .LBB50_268
.LBB50_267:
	v_bfe_u32 v20, v14, 8, 3
	v_ffbh_u32_e32 v23, v20
	v_min_u32_e32 v23, 32, v23
	v_lshrrev_b16_e32 v22, 3, v21
	v_subrev_u32_e32 v24, 28, v23
	v_and_b32_e32 v22, 15, v22
	v_lshlrev_b32_e32 v21, v24, v21
	v_sub_u32_e32 v23, 29, v23
	v_and_b32_e32 v21, 7, v21
	v_cmp_eq_u16_e32 vcc, 0, v22
	v_cndmask_b32_e32 v20, v20, v21, vcc
	v_cndmask_b32_e32 v21, v22, v23, vcc
	v_lshlrev_b32_e32 v22, 16, v14
	v_mov_b32_e32 v23, 0x3b800000
	v_lshlrev_b32_e32 v20, 20, v20
	v_and_b32_e32 v22, 0x80000000, v22
	v_lshl_add_u32 v21, v21, 23, v23
	v_or3_b32 v20, v22, v21, v20
.LBB50_268:
	s_or_b64 exec, exec, s[6:7]
	v_lshrrev_b32_e32 v21, 8, v10
	s_movk_i32 s4, 0x7f
	v_cmp_gt_i16_sdwa s[6:7], v21, s4 src0_sel:BYTE_0 src1_sel:DWORD
	s_mov_b64 s[4:5], 0
                                        ; implicit-def: $sgpr10
	s_and_saveexec_b64 s[8:9], s[6:7]
	s_xor_b64 s[6:7], exec, s[8:9]
	s_cbranch_execnz .LBB50_2317
; %bb.269:
	s_or_saveexec_b64 s[6:7], s[6:7]
	v_mov_b32_e32 v22, s10
	s_xor_b64 exec, exec, s[6:7]
	s_cbranch_execnz .LBB50_2320
.LBB50_270:
	s_or_b64 exec, exec, s[6:7]
	s_and_saveexec_b64 s[6:7], s[4:5]
	s_cbranch_execz .LBB50_272
.LBB50_271:
	v_bfe_u32 v22, v10, 8, 3
	v_ffbh_u32_e32 v24, v22
	v_min_u32_e32 v24, 32, v24
	v_lshrrev_b16_e32 v23, 3, v21
	v_subrev_u32_e32 v25, 28, v24
	v_and_b32_e32 v23, 15, v23
	v_lshlrev_b32_e32 v21, v25, v21
	v_sub_u32_e32 v24, 29, v24
	v_and_b32_e32 v21, 7, v21
	v_cmp_eq_u16_e32 vcc, 0, v23
	v_cndmask_b32_e32 v21, v22, v21, vcc
	v_cndmask_b32_e32 v22, v23, v24, vcc
	v_lshlrev_b32_e32 v23, 16, v10
	v_mov_b32_e32 v24, 0x3b800000
	v_lshlrev_b32_e32 v21, 20, v21
	v_and_b32_e32 v23, 0x80000000, v23
	v_lshl_add_u32 v22, v22, 23, v24
	v_or3_b32 v22, v23, v22, v21
.LBB50_272:
	s_or_b64 exec, exec, s[6:7]
	s_nop 0
	v_mfma_f32_16x16x4f32 a[0:3], v20, v22, a[0:3]
	s_movk_i32 s4, 0xff
	v_and_b32_sdwa v21, v14, s4 dst_sel:DWORD dst_unused:UNUSED_PAD src0_sel:WORD_1 src1_sel:DWORD
	s_movk_i32 s4, 0x7f
	v_cmp_lt_i16_e32 vcc, s4, v21
	s_mov_b64 s[4:5], 0
                                        ; implicit-def: $sgpr10
	s_and_saveexec_b64 s[6:7], vcc
	s_xor_b64 s[6:7], exec, s[6:7]
	s_cbranch_execnz .LBB50_2321
; %bb.273:
	s_or_saveexec_b64 s[6:7], s[6:7]
	v_mov_b32_e32 v20, s10
	s_xor_b64 exec, exec, s[6:7]
	s_cbranch_execnz .LBB50_2324
.LBB50_274:
	s_or_b64 exec, exec, s[6:7]
	s_and_saveexec_b64 s[6:7], s[4:5]
	s_cbranch_execz .LBB50_276
.LBB50_275:
	v_bfe_u32 v20, v14, 16, 3
	v_ffbh_u32_e32 v23, v20
	v_min_u32_e32 v23, 32, v23
	v_lshrrev_b32_e32 v21, 19, v14
	v_subrev_u32_e32 v24, 28, v23
	v_and_b32_e32 v21, 15, v21
	v_lshlrev_b32_sdwa v24, v24, v14 dst_sel:DWORD dst_unused:UNUSED_PAD src0_sel:DWORD src1_sel:WORD_1
	v_bfe_u32 v22, v14, 19, 4
	v_sub_u32_e32 v23, 29, v23
	v_and_b32_e32 v24, 7, v24
	v_cmp_eq_u16_e32 vcc, 0, v21
	v_cndmask_b32_e32 v20, v20, v24, vcc
	v_cndmask_b32_e32 v21, v22, v23, vcc
	v_lshlrev_b32_e32 v22, 8, v14
	v_mov_b32_e32 v23, 0x3b800000
	v_lshlrev_b32_e32 v20, 20, v20
	v_and_b32_e32 v22, 0x80000000, v22
	v_lshl_add_u32 v21, v21, 23, v23
	v_or3_b32 v20, v22, v21, v20
.LBB50_276:
	s_or_b64 exec, exec, s[6:7]
	s_movk_i32 s4, 0xff
	v_and_b32_sdwa v21, v10, s4 dst_sel:DWORD dst_unused:UNUSED_PAD src0_sel:WORD_1 src1_sel:DWORD
	s_movk_i32 s4, 0x7f
	v_cmp_lt_i16_e32 vcc, s4, v21
	s_mov_b64 s[4:5], 0
                                        ; implicit-def: $sgpr10
	s_and_saveexec_b64 s[6:7], vcc
	s_xor_b64 s[6:7], exec, s[6:7]
	s_cbranch_execnz .LBB50_2325
; %bb.277:
	s_or_saveexec_b64 s[6:7], s[6:7]
	v_mov_b32_e32 v22, s10
	s_xor_b64 exec, exec, s[6:7]
	s_cbranch_execnz .LBB50_2328
.LBB50_278:
	s_or_b64 exec, exec, s[6:7]
	s_and_saveexec_b64 s[6:7], s[4:5]
	s_cbranch_execz .LBB50_280
.LBB50_279:
	v_bfe_u32 v21, v10, 16, 3
	v_ffbh_u32_e32 v24, v21
	v_min_u32_e32 v24, 32, v24
	v_lshrrev_b32_e32 v22, 19, v10
	v_subrev_u32_e32 v25, 28, v24
	v_and_b32_e32 v22, 15, v22
	v_lshlrev_b32_sdwa v25, v25, v10 dst_sel:DWORD dst_unused:UNUSED_PAD src0_sel:DWORD src1_sel:WORD_1
	v_bfe_u32 v23, v10, 19, 4
	v_sub_u32_e32 v24, 29, v24
	v_and_b32_e32 v25, 7, v25
	v_cmp_eq_u16_e32 vcc, 0, v22
	v_cndmask_b32_e32 v21, v21, v25, vcc
	v_cndmask_b32_e32 v22, v23, v24, vcc
	v_lshlrev_b32_e32 v23, 8, v10
	v_mov_b32_e32 v24, 0x3b800000
	v_lshlrev_b32_e32 v21, 20, v21
	v_and_b32_e32 v23, 0x80000000, v23
	v_lshl_add_u32 v22, v22, 23, v24
	v_or3_b32 v22, v23, v22, v21
.LBB50_280:
	s_or_b64 exec, exec, s[6:7]
	s_nop 0
	v_mfma_f32_16x16x4f32 a[0:3], v20, v22, a[0:3]
	s_movk_i32 s4, 0x7f
	v_cmp_gt_i16_sdwa s[6:7], v14, s4 src0_sel:BYTE_3 src1_sel:DWORD
	s_mov_b64 s[4:5], 0
                                        ; implicit-def: $sgpr10
	s_and_saveexec_b64 s[8:9], s[6:7]
	s_xor_b64 s[6:7], exec, s[8:9]
	s_cbranch_execnz .LBB50_2329
; %bb.281:
	s_or_saveexec_b64 s[6:7], s[6:7]
	v_mov_b32_e32 v20, s10
	s_xor_b64 exec, exec, s[6:7]
	s_cbranch_execnz .LBB50_2332
.LBB50_282:
	s_or_b64 exec, exec, s[6:7]
	s_and_saveexec_b64 s[6:7], s[4:5]
	s_cbranch_execz .LBB50_284
.LBB50_283:
	v_bfe_u32 v20, v14, 24, 3
	v_ffbh_u32_e32 v24, v20
	v_min_u32_e32 v24, 32, v24
	v_lshrrev_b32_e32 v22, 27, v14
	v_subrev_u32_e32 v25, 28, v24
	v_and_b32_e32 v21, 0x80000000, v14
	v_and_b32_e32 v22, 15, v22
	v_bfe_u32 v23, v14, 27, 4
	v_lshlrev_b32_sdwa v14, v25, v14 dst_sel:DWORD dst_unused:UNUSED_PAD src0_sel:DWORD src1_sel:BYTE_3
	v_sub_u32_e32 v24, 29, v24
	v_and_b32_e32 v14, 7, v14
	v_cmp_eq_u16_e32 vcc, 0, v22
	v_cndmask_b32_e32 v14, v20, v14, vcc
	v_cndmask_b32_e32 v20, v23, v24, vcc
	v_mov_b32_e32 v22, 0x3b800000
	v_lshlrev_b32_e32 v14, 20, v14
	v_lshl_add_u32 v20, v20, 23, v22
	v_or3_b32 v20, v21, v20, v14
.LBB50_284:
	s_or_b64 exec, exec, s[6:7]
	s_movk_i32 s4, 0x7f
	v_cmp_gt_i16_sdwa s[6:7], v10, s4 src0_sel:BYTE_3 src1_sel:DWORD
	s_mov_b64 s[4:5], 0
                                        ; implicit-def: $sgpr10
	s_and_saveexec_b64 s[8:9], s[6:7]
	s_xor_b64 s[6:7], exec, s[8:9]
	s_cbranch_execnz .LBB50_2333
; %bb.285:
	s_or_saveexec_b64 s[6:7], s[6:7]
	v_mov_b32_e32 v14, s10
	s_xor_b64 exec, exec, s[6:7]
	s_cbranch_execnz .LBB50_2336
.LBB50_286:
	s_or_b64 exec, exec, s[6:7]
	s_and_saveexec_b64 s[6:7], s[4:5]
	s_cbranch_execz .LBB50_288
.LBB50_287:
	v_bfe_u32 v14, v10, 24, 3
	v_ffbh_u32_e32 v24, v14
	v_min_u32_e32 v24, 32, v24
	v_lshrrev_b32_e32 v22, 27, v10
	v_subrev_u32_e32 v25, 28, v24
	v_and_b32_e32 v21, 0x80000000, v10
	v_and_b32_e32 v22, 15, v22
	v_bfe_u32 v23, v10, 27, 4
	v_lshlrev_b32_sdwa v10, v25, v10 dst_sel:DWORD dst_unused:UNUSED_PAD src0_sel:DWORD src1_sel:BYTE_3
	v_sub_u32_e32 v24, 29, v24
	v_and_b32_e32 v10, 7, v10
	v_cmp_eq_u16_e32 vcc, 0, v22
	v_cndmask_b32_e32 v10, v14, v10, vcc
	v_cndmask_b32_e32 v14, v23, v24, vcc
	v_mov_b32_e32 v22, 0x3b800000
	v_lshlrev_b32_e32 v10, 20, v10
	v_lshl_add_u32 v14, v14, 23, v22
	v_or3_b32 v14, v21, v14, v10
.LBB50_288:
	s_or_b64 exec, exec, s[6:7]
	s_nop 0
	v_mfma_f32_16x16x4f32 a[0:3], v20, v14, a[0:3]
	s_movk_i32 s4, 0x7f
	v_cmp_gt_i16_sdwa s[6:7], v15, s4 src0_sel:BYTE_0 src1_sel:DWORD
	s_mov_b64 s[4:5], 0
                                        ; implicit-def: $sgpr10
	s_and_saveexec_b64 s[8:9], s[6:7]
	s_xor_b64 s[6:7], exec, s[8:9]
	s_cbranch_execnz .LBB50_2337
; %bb.289:
	s_or_saveexec_b64 s[6:7], s[6:7]
	v_mov_b32_e32 v10, s10
	s_xor_b64 exec, exec, s[6:7]
	s_cbranch_execnz .LBB50_2340
.LBB50_290:
	s_or_b64 exec, exec, s[6:7]
	s_and_saveexec_b64 s[6:7], s[4:5]
	s_cbranch_execz .LBB50_292
.LBB50_291:
	v_and_b32_e32 v10, 7, v15
	v_ffbh_u32_e32 v20, v10
	v_min_u32_e32 v20, 32, v20
	v_lshrrev_b16_e32 v14, 3, v15
	v_subrev_u32_e32 v21, 28, v20
	v_and_b32_e32 v14, 15, v14
	v_lshlrev_b32_e32 v21, v21, v15
	v_sub_u32_e32 v20, 29, v20
	v_and_b32_e32 v21, 7, v21
	v_cmp_eq_u16_e32 vcc, 0, v14
	v_cndmask_b32_e32 v10, v10, v21, vcc
	v_cndmask_b32_e32 v14, v14, v20, vcc
	v_lshlrev_b32_e32 v20, 24, v15
	v_mov_b32_e32 v21, 0x3b800000
	v_lshlrev_b32_e32 v10, 20, v10
	v_and_b32_e32 v20, 0x80000000, v20
	v_lshl_add_u32 v14, v14, 23, v21
	v_or3_b32 v10, v20, v14, v10
.LBB50_292:
	s_or_b64 exec, exec, s[6:7]
	s_movk_i32 s4, 0x7f
	v_cmp_gt_i16_sdwa s[6:7], v11, s4 src0_sel:BYTE_0 src1_sel:DWORD
	s_mov_b64 s[4:5], 0
                                        ; implicit-def: $sgpr10
	s_and_saveexec_b64 s[8:9], s[6:7]
	s_xor_b64 s[6:7], exec, s[8:9]
	s_cbranch_execnz .LBB50_2341
; %bb.293:
	s_or_saveexec_b64 s[6:7], s[6:7]
	v_mov_b32_e32 v14, s10
	s_xor_b64 exec, exec, s[6:7]
	s_cbranch_execnz .LBB50_2344
.LBB50_294:
	s_or_b64 exec, exec, s[6:7]
	s_and_saveexec_b64 s[6:7], s[4:5]
	s_cbranch_execz .LBB50_296
.LBB50_295:
	v_and_b32_e32 v14, 7, v11
	v_ffbh_u32_e32 v21, v14
	v_min_u32_e32 v21, 32, v21
	v_lshrrev_b16_e32 v20, 3, v11
	v_subrev_u32_e32 v22, 28, v21
	v_and_b32_e32 v20, 15, v20
	v_lshlrev_b32_e32 v22, v22, v11
	v_sub_u32_e32 v21, 29, v21
	v_and_b32_e32 v22, 7, v22
	v_cmp_eq_u16_e32 vcc, 0, v20
	v_cndmask_b32_e32 v14, v14, v22, vcc
	v_cndmask_b32_e32 v20, v20, v21, vcc
	v_lshlrev_b32_e32 v21, 24, v11
	v_mov_b32_e32 v22, 0x3b800000
	v_lshlrev_b32_e32 v14, 20, v14
	v_and_b32_e32 v21, 0x80000000, v21
	v_lshl_add_u32 v20, v20, 23, v22
	v_or3_b32 v14, v21, v20, v14
.LBB50_296:
	s_or_b64 exec, exec, s[6:7]
	s_nop 0
	v_mfma_f32_16x16x4f32 a[0:3], v10, v14, a[0:3]
	v_lshrrev_b32_e32 v14, 8, v15
	s_movk_i32 s4, 0x7f
	v_cmp_gt_i16_sdwa s[6:7], v14, s4 src0_sel:BYTE_0 src1_sel:DWORD
	s_mov_b64 s[4:5], 0
                                        ; implicit-def: $sgpr10
	s_and_saveexec_b64 s[8:9], s[6:7]
	s_xor_b64 s[6:7], exec, s[8:9]
	s_cbranch_execnz .LBB50_2345
; %bb.297:
	s_or_saveexec_b64 s[6:7], s[6:7]
	v_mov_b32_e32 v10, s10
	s_xor_b64 exec, exec, s[6:7]
	s_cbranch_execnz .LBB50_2348
.LBB50_298:
	s_or_b64 exec, exec, s[6:7]
	s_and_saveexec_b64 s[6:7], s[4:5]
	s_cbranch_execz .LBB50_300
.LBB50_299:
	v_bfe_u32 v10, v15, 8, 3
	v_ffbh_u32_e32 v21, v10
	v_min_u32_e32 v21, 32, v21
	v_lshrrev_b16_e32 v20, 3, v14
	v_subrev_u32_e32 v22, 28, v21
	v_and_b32_e32 v20, 15, v20
	v_lshlrev_b32_e32 v14, v22, v14
	v_sub_u32_e32 v21, 29, v21
	v_and_b32_e32 v14, 7, v14
	v_cmp_eq_u16_e32 vcc, 0, v20
	v_cndmask_b32_e32 v10, v10, v14, vcc
	v_cndmask_b32_e32 v14, v20, v21, vcc
	v_lshlrev_b32_e32 v20, 16, v15
	v_mov_b32_e32 v21, 0x3b800000
	v_lshlrev_b32_e32 v10, 20, v10
	v_and_b32_e32 v20, 0x80000000, v20
	v_lshl_add_u32 v14, v14, 23, v21
	v_or3_b32 v10, v20, v14, v10
.LBB50_300:
	s_or_b64 exec, exec, s[6:7]
	v_lshrrev_b32_e32 v14, 8, v11
	s_movk_i32 s4, 0x7f
	v_cmp_gt_i16_sdwa s[6:7], v14, s4 src0_sel:BYTE_0 src1_sel:DWORD
	s_mov_b64 s[4:5], 0
                                        ; implicit-def: $sgpr10
	s_and_saveexec_b64 s[8:9], s[6:7]
	s_xor_b64 s[6:7], exec, s[8:9]
	s_cbranch_execnz .LBB50_2349
; %bb.301:
	s_or_saveexec_b64 s[6:7], s[6:7]
	v_mov_b32_e32 v20, s10
	s_xor_b64 exec, exec, s[6:7]
	s_cbranch_execnz .LBB50_2352
.LBB50_302:
	s_or_b64 exec, exec, s[6:7]
	s_and_saveexec_b64 s[6:7], s[4:5]
	s_cbranch_execz .LBB50_304
.LBB50_303:
	v_bfe_u32 v20, v11, 8, 3
	v_ffbh_u32_e32 v22, v20
	v_min_u32_e32 v22, 32, v22
	v_lshrrev_b16_e32 v21, 3, v14
	v_subrev_u32_e32 v23, 28, v22
	v_and_b32_e32 v21, 15, v21
	v_lshlrev_b32_e32 v14, v23, v14
	v_sub_u32_e32 v22, 29, v22
	v_and_b32_e32 v14, 7, v14
	v_cmp_eq_u16_e32 vcc, 0, v21
	v_cndmask_b32_e32 v14, v20, v14, vcc
	v_cndmask_b32_e32 v20, v21, v22, vcc
	v_lshlrev_b32_e32 v21, 16, v11
	v_mov_b32_e32 v22, 0x3b800000
	v_lshlrev_b32_e32 v14, 20, v14
	v_and_b32_e32 v21, 0x80000000, v21
	v_lshl_add_u32 v20, v20, 23, v22
	v_or3_b32 v20, v21, v20, v14
.LBB50_304:
	s_or_b64 exec, exec, s[6:7]
	s_nop 0
	v_mfma_f32_16x16x4f32 a[0:3], v10, v20, a[0:3]
	s_movk_i32 s4, 0xff
	v_and_b32_sdwa v14, v15, s4 dst_sel:DWORD dst_unused:UNUSED_PAD src0_sel:WORD_1 src1_sel:DWORD
	s_movk_i32 s4, 0x7f
	v_cmp_lt_i16_e32 vcc, s4, v14
	s_mov_b64 s[4:5], 0
                                        ; implicit-def: $sgpr10
	s_and_saveexec_b64 s[6:7], vcc
	s_xor_b64 s[6:7], exec, s[6:7]
	s_cbranch_execnz .LBB50_2353
; %bb.305:
	s_or_saveexec_b64 s[6:7], s[6:7]
	v_mov_b32_e32 v10, s10
	s_xor_b64 exec, exec, s[6:7]
	s_cbranch_execnz .LBB50_2356
.LBB50_306:
	s_or_b64 exec, exec, s[6:7]
	s_and_saveexec_b64 s[6:7], s[4:5]
	s_cbranch_execz .LBB50_308
.LBB50_307:
	v_bfe_u32 v10, v15, 16, 3
	v_ffbh_u32_e32 v21, v10
	v_min_u32_e32 v21, 32, v21
	v_lshrrev_b32_e32 v14, 19, v15
	v_subrev_u32_e32 v22, 28, v21
	v_and_b32_e32 v14, 15, v14
	v_lshlrev_b32_sdwa v22, v22, v15 dst_sel:DWORD dst_unused:UNUSED_PAD src0_sel:DWORD src1_sel:WORD_1
	v_bfe_u32 v20, v15, 19, 4
	v_sub_u32_e32 v21, 29, v21
	v_and_b32_e32 v22, 7, v22
	v_cmp_eq_u16_e32 vcc, 0, v14
	v_cndmask_b32_e32 v10, v10, v22, vcc
	v_cndmask_b32_e32 v14, v20, v21, vcc
	v_lshlrev_b32_e32 v20, 8, v15
	v_mov_b32_e32 v21, 0x3b800000
	v_lshlrev_b32_e32 v10, 20, v10
	v_and_b32_e32 v20, 0x80000000, v20
	v_lshl_add_u32 v14, v14, 23, v21
	v_or3_b32 v10, v20, v14, v10
.LBB50_308:
	s_or_b64 exec, exec, s[6:7]
	s_movk_i32 s4, 0xff
	v_and_b32_sdwa v14, v11, s4 dst_sel:DWORD dst_unused:UNUSED_PAD src0_sel:WORD_1 src1_sel:DWORD
	s_movk_i32 s4, 0x7f
	v_cmp_lt_i16_e32 vcc, s4, v14
	s_mov_b64 s[4:5], 0
                                        ; implicit-def: $sgpr10
	s_and_saveexec_b64 s[6:7], vcc
	s_xor_b64 s[6:7], exec, s[6:7]
	s_cbranch_execnz .LBB50_2357
; %bb.309:
	s_or_saveexec_b64 s[6:7], s[6:7]
	v_mov_b32_e32 v20, s10
	s_xor_b64 exec, exec, s[6:7]
	s_cbranch_execnz .LBB50_2360
.LBB50_310:
	s_or_b64 exec, exec, s[6:7]
	s_and_saveexec_b64 s[6:7], s[4:5]
	s_cbranch_execz .LBB50_312
.LBB50_311:
	v_bfe_u32 v14, v11, 16, 3
	v_ffbh_u32_e32 v22, v14
	v_min_u32_e32 v22, 32, v22
	v_lshrrev_b32_e32 v20, 19, v11
	v_subrev_u32_e32 v23, 28, v22
	v_and_b32_e32 v20, 15, v20
	v_lshlrev_b32_sdwa v23, v23, v11 dst_sel:DWORD dst_unused:UNUSED_PAD src0_sel:DWORD src1_sel:WORD_1
	v_bfe_u32 v21, v11, 19, 4
	v_sub_u32_e32 v22, 29, v22
	v_and_b32_e32 v23, 7, v23
	v_cmp_eq_u16_e32 vcc, 0, v20
	v_cndmask_b32_e32 v14, v14, v23, vcc
	v_cndmask_b32_e32 v20, v21, v22, vcc
	v_lshlrev_b32_e32 v21, 8, v11
	v_mov_b32_e32 v22, 0x3b800000
	v_lshlrev_b32_e32 v14, 20, v14
	v_and_b32_e32 v21, 0x80000000, v21
	v_lshl_add_u32 v20, v20, 23, v22
	v_or3_b32 v20, v21, v20, v14
.LBB50_312:
	s_or_b64 exec, exec, s[6:7]
	s_nop 0
	v_mfma_f32_16x16x4f32 a[0:3], v10, v20, a[0:3]
	s_movk_i32 s4, 0x7f
	v_cmp_gt_i16_sdwa s[6:7], v15, s4 src0_sel:BYTE_3 src1_sel:DWORD
	s_mov_b64 s[4:5], 0
                                        ; implicit-def: $sgpr10
	s_and_saveexec_b64 s[8:9], s[6:7]
	s_xor_b64 s[6:7], exec, s[8:9]
	s_cbranch_execnz .LBB50_2361
; %bb.313:
	s_or_saveexec_b64 s[6:7], s[6:7]
	v_mov_b32_e32 v10, s10
	s_xor_b64 exec, exec, s[6:7]
	s_cbranch_execnz .LBB50_2364
.LBB50_314:
	s_or_b64 exec, exec, s[6:7]
	s_and_saveexec_b64 s[6:7], s[4:5]
	s_cbranch_execz .LBB50_316
.LBB50_315:
	v_bfe_u32 v10, v15, 24, 3
	v_ffbh_u32_e32 v22, v10
	v_min_u32_e32 v22, 32, v22
	v_lshrrev_b32_e32 v20, 27, v15
	v_subrev_u32_e32 v23, 28, v22
	v_and_b32_e32 v14, 0x80000000, v15
	v_and_b32_e32 v20, 15, v20
	v_bfe_u32 v21, v15, 27, 4
	v_lshlrev_b32_sdwa v15, v23, v15 dst_sel:DWORD dst_unused:UNUSED_PAD src0_sel:DWORD src1_sel:BYTE_3
	v_sub_u32_e32 v22, 29, v22
	v_and_b32_e32 v15, 7, v15
	v_cmp_eq_u16_e32 vcc, 0, v20
	v_cndmask_b32_e32 v10, v10, v15, vcc
	v_cndmask_b32_e32 v15, v21, v22, vcc
	v_mov_b32_e32 v20, 0x3b800000
	v_lshlrev_b32_e32 v10, 20, v10
	v_lshl_add_u32 v15, v15, 23, v20
	v_or3_b32 v10, v14, v15, v10
.LBB50_316:
	s_or_b64 exec, exec, s[6:7]
	s_movk_i32 s4, 0x7f
	v_cmp_gt_i16_sdwa s[6:7], v11, s4 src0_sel:BYTE_3 src1_sel:DWORD
	s_mov_b64 s[4:5], 0
                                        ; implicit-def: $sgpr10
	s_and_saveexec_b64 s[8:9], s[6:7]
	s_xor_b64 s[6:7], exec, s[8:9]
	s_cbranch_execnz .LBB50_2365
; %bb.317:
	s_or_saveexec_b64 s[6:7], s[6:7]
	v_mov_b32_e32 v14, s10
	s_xor_b64 exec, exec, s[6:7]
	s_cbranch_execnz .LBB50_2368
.LBB50_318:
	s_or_b64 exec, exec, s[6:7]
	s_and_saveexec_b64 s[6:7], s[4:5]
	s_cbranch_execz .LBB50_320
.LBB50_319:
	v_bfe_u32 v14, v11, 24, 3
	v_ffbh_u32_e32 v22, v14
	v_min_u32_e32 v22, 32, v22
	v_lshrrev_b32_e32 v20, 27, v11
	v_subrev_u32_e32 v23, 28, v22
	v_and_b32_e32 v15, 0x80000000, v11
	v_and_b32_e32 v20, 15, v20
	v_bfe_u32 v21, v11, 27, 4
	v_lshlrev_b32_sdwa v11, v23, v11 dst_sel:DWORD dst_unused:UNUSED_PAD src0_sel:DWORD src1_sel:BYTE_3
	v_sub_u32_e32 v22, 29, v22
	v_and_b32_e32 v11, 7, v11
	v_cmp_eq_u16_e32 vcc, 0, v20
	v_cndmask_b32_e32 v11, v14, v11, vcc
	v_cndmask_b32_e32 v14, v21, v22, vcc
	v_mov_b32_e32 v20, 0x3b800000
	v_lshlrev_b32_e32 v11, 20, v11
	v_lshl_add_u32 v14, v14, 23, v20
	v_or3_b32 v14, v15, v14, v11
.LBB50_320:
	s_or_b64 exec, exec, s[6:7]
	s_nop 0
	v_mfma_f32_16x16x4f32 a[0:3], v10, v14, a[0:3]
	s_movk_i32 s4, 0x7f
	v_cmp_gt_i16_sdwa s[6:7], v16, s4 src0_sel:BYTE_0 src1_sel:DWORD
	s_mov_b64 s[4:5], 0
                                        ; implicit-def: $sgpr10
	s_and_saveexec_b64 s[8:9], s[6:7]
	s_xor_b64 s[6:7], exec, s[8:9]
	s_cbranch_execnz .LBB50_2369
; %bb.321:
	s_or_saveexec_b64 s[6:7], s[6:7]
	v_mov_b32_e32 v10, s10
	s_xor_b64 exec, exec, s[6:7]
	s_cbranch_execnz .LBB50_2372
.LBB50_322:
	s_or_b64 exec, exec, s[6:7]
	s_and_saveexec_b64 s[6:7], s[4:5]
	s_cbranch_execz .LBB50_324
.LBB50_323:
	v_and_b32_e32 v10, 7, v16
	v_ffbh_u32_e32 v14, v10
	v_min_u32_e32 v14, 32, v14
	v_lshrrev_b16_e32 v11, 3, v16
	v_subrev_u32_e32 v15, 28, v14
	v_and_b32_e32 v11, 15, v11
	v_lshlrev_b32_e32 v15, v15, v16
	v_sub_u32_e32 v14, 29, v14
	v_and_b32_e32 v15, 7, v15
	v_cmp_eq_u16_e32 vcc, 0, v11
	v_cndmask_b32_e32 v10, v10, v15, vcc
	v_cndmask_b32_e32 v11, v11, v14, vcc
	v_lshlrev_b32_e32 v14, 24, v16
	v_mov_b32_e32 v15, 0x3b800000
	v_lshlrev_b32_e32 v10, 20, v10
	v_and_b32_e32 v14, 0x80000000, v14
	v_lshl_add_u32 v11, v11, 23, v15
	v_or3_b32 v10, v14, v11, v10
.LBB50_324:
	s_or_b64 exec, exec, s[6:7]
	s_movk_i32 s4, 0x7f
	v_cmp_gt_i16_sdwa s[6:7], v12, s4 src0_sel:BYTE_0 src1_sel:DWORD
	s_mov_b64 s[4:5], 0
                                        ; implicit-def: $sgpr10
	s_and_saveexec_b64 s[8:9], s[6:7]
	s_xor_b64 s[6:7], exec, s[8:9]
	s_cbranch_execnz .LBB50_2373
; %bb.325:
	s_or_saveexec_b64 s[6:7], s[6:7]
	v_mov_b32_e32 v11, s10
	s_xor_b64 exec, exec, s[6:7]
	s_cbranch_execnz .LBB50_2376
.LBB50_326:
	s_or_b64 exec, exec, s[6:7]
	s_and_saveexec_b64 s[6:7], s[4:5]
	s_cbranch_execz .LBB50_328
.LBB50_327:
	v_and_b32_e32 v11, 7, v12
	v_ffbh_u32_e32 v15, v11
	v_min_u32_e32 v15, 32, v15
	v_lshrrev_b16_e32 v14, 3, v12
	v_subrev_u32_e32 v20, 28, v15
	v_and_b32_e32 v14, 15, v14
	v_lshlrev_b32_e32 v20, v20, v12
	v_sub_u32_e32 v15, 29, v15
	v_and_b32_e32 v20, 7, v20
	v_cmp_eq_u16_e32 vcc, 0, v14
	v_cndmask_b32_e32 v11, v11, v20, vcc
	v_cndmask_b32_e32 v14, v14, v15, vcc
	v_lshlrev_b32_e32 v15, 24, v12
	v_mov_b32_e32 v20, 0x3b800000
	v_lshlrev_b32_e32 v11, 20, v11
	v_and_b32_e32 v15, 0x80000000, v15
	v_lshl_add_u32 v14, v14, 23, v20
	v_or3_b32 v11, v15, v14, v11
.LBB50_328:
	s_or_b64 exec, exec, s[6:7]
	s_nop 0
	v_mfma_f32_16x16x4f32 a[0:3], v10, v11, a[0:3]
	v_lshrrev_b32_e32 v11, 8, v16
	s_movk_i32 s4, 0x7f
	v_cmp_gt_i16_sdwa s[6:7], v11, s4 src0_sel:BYTE_0 src1_sel:DWORD
	s_mov_b64 s[4:5], 0
                                        ; implicit-def: $sgpr10
	s_and_saveexec_b64 s[8:9], s[6:7]
	s_xor_b64 s[6:7], exec, s[8:9]
	s_cbranch_execnz .LBB50_2377
; %bb.329:
	s_or_saveexec_b64 s[6:7], s[6:7]
	v_mov_b32_e32 v10, s10
	s_xor_b64 exec, exec, s[6:7]
	s_cbranch_execnz .LBB50_2380
.LBB50_330:
	s_or_b64 exec, exec, s[6:7]
	s_and_saveexec_b64 s[6:7], s[4:5]
	s_cbranch_execz .LBB50_332
.LBB50_331:
	v_bfe_u32 v10, v16, 8, 3
	v_ffbh_u32_e32 v15, v10
	v_min_u32_e32 v15, 32, v15
	v_lshrrev_b16_e32 v14, 3, v11
	v_subrev_u32_e32 v20, 28, v15
	v_and_b32_e32 v14, 15, v14
	v_lshlrev_b32_e32 v11, v20, v11
	v_sub_u32_e32 v15, 29, v15
	v_and_b32_e32 v11, 7, v11
	v_cmp_eq_u16_e32 vcc, 0, v14
	v_cndmask_b32_e32 v10, v10, v11, vcc
	v_cndmask_b32_e32 v11, v14, v15, vcc
	v_lshlrev_b32_e32 v14, 16, v16
	v_mov_b32_e32 v15, 0x3b800000
	v_lshlrev_b32_e32 v10, 20, v10
	v_and_b32_e32 v14, 0x80000000, v14
	v_lshl_add_u32 v11, v11, 23, v15
	v_or3_b32 v10, v14, v11, v10
.LBB50_332:
	s_or_b64 exec, exec, s[6:7]
	v_lshrrev_b32_e32 v11, 8, v12
	s_movk_i32 s4, 0x7f
	v_cmp_gt_i16_sdwa s[6:7], v11, s4 src0_sel:BYTE_0 src1_sel:DWORD
	s_mov_b64 s[4:5], 0
                                        ; implicit-def: $sgpr10
	s_and_saveexec_b64 s[8:9], s[6:7]
	s_xor_b64 s[6:7], exec, s[8:9]
	s_cbranch_execnz .LBB50_2381
; %bb.333:
	s_or_saveexec_b64 s[6:7], s[6:7]
	v_mov_b32_e32 v14, s10
	s_xor_b64 exec, exec, s[6:7]
	s_cbranch_execnz .LBB50_2384
.LBB50_334:
	s_or_b64 exec, exec, s[6:7]
	s_and_saveexec_b64 s[6:7], s[4:5]
	s_cbranch_execz .LBB50_336
.LBB50_335:
	v_bfe_u32 v14, v12, 8, 3
	v_ffbh_u32_e32 v20, v14
	v_min_u32_e32 v20, 32, v20
	v_lshrrev_b16_e32 v15, 3, v11
	v_subrev_u32_e32 v21, 28, v20
	v_and_b32_e32 v15, 15, v15
	v_lshlrev_b32_e32 v11, v21, v11
	v_sub_u32_e32 v20, 29, v20
	v_and_b32_e32 v11, 7, v11
	v_cmp_eq_u16_e32 vcc, 0, v15
	v_cndmask_b32_e32 v11, v14, v11, vcc
	v_cndmask_b32_e32 v14, v15, v20, vcc
	v_lshlrev_b32_e32 v15, 16, v12
	v_mov_b32_e32 v20, 0x3b800000
	v_lshlrev_b32_e32 v11, 20, v11
	v_and_b32_e32 v15, 0x80000000, v15
	v_lshl_add_u32 v14, v14, 23, v20
	v_or3_b32 v14, v15, v14, v11
.LBB50_336:
	s_or_b64 exec, exec, s[6:7]
	s_nop 0
	v_mfma_f32_16x16x4f32 a[0:3], v10, v14, a[0:3]
	s_movk_i32 s4, 0xff
	v_and_b32_sdwa v11, v16, s4 dst_sel:DWORD dst_unused:UNUSED_PAD src0_sel:WORD_1 src1_sel:DWORD
	s_movk_i32 s4, 0x7f
	v_cmp_lt_i16_e32 vcc, s4, v11
	s_mov_b64 s[4:5], 0
                                        ; implicit-def: $sgpr10
	s_and_saveexec_b64 s[6:7], vcc
	s_xor_b64 s[6:7], exec, s[6:7]
	s_cbranch_execnz .LBB50_2385
; %bb.337:
	s_or_saveexec_b64 s[6:7], s[6:7]
	v_mov_b32_e32 v10, s10
	s_xor_b64 exec, exec, s[6:7]
	s_cbranch_execnz .LBB50_2388
.LBB50_338:
	s_or_b64 exec, exec, s[6:7]
	s_and_saveexec_b64 s[6:7], s[4:5]
	s_cbranch_execz .LBB50_340
.LBB50_339:
	v_bfe_u32 v10, v16, 16, 3
	v_ffbh_u32_e32 v15, v10
	v_min_u32_e32 v15, 32, v15
	v_lshrrev_b32_e32 v11, 19, v16
	v_subrev_u32_e32 v20, 28, v15
	v_and_b32_e32 v11, 15, v11
	v_lshlrev_b32_sdwa v20, v20, v16 dst_sel:DWORD dst_unused:UNUSED_PAD src0_sel:DWORD src1_sel:WORD_1
	v_bfe_u32 v14, v16, 19, 4
	v_sub_u32_e32 v15, 29, v15
	v_and_b32_e32 v20, 7, v20
	v_cmp_eq_u16_e32 vcc, 0, v11
	v_cndmask_b32_e32 v10, v10, v20, vcc
	v_cndmask_b32_e32 v11, v14, v15, vcc
	v_lshlrev_b32_e32 v14, 8, v16
	v_mov_b32_e32 v15, 0x3b800000
	v_lshlrev_b32_e32 v10, 20, v10
	v_and_b32_e32 v14, 0x80000000, v14
	v_lshl_add_u32 v11, v11, 23, v15
	v_or3_b32 v10, v14, v11, v10
.LBB50_340:
	s_or_b64 exec, exec, s[6:7]
	s_movk_i32 s4, 0xff
	v_and_b32_sdwa v11, v12, s4 dst_sel:DWORD dst_unused:UNUSED_PAD src0_sel:WORD_1 src1_sel:DWORD
	s_movk_i32 s4, 0x7f
	v_cmp_lt_i16_e32 vcc, s4, v11
	s_mov_b64 s[4:5], 0
                                        ; implicit-def: $sgpr10
	s_and_saveexec_b64 s[6:7], vcc
	s_xor_b64 s[6:7], exec, s[6:7]
	s_cbranch_execnz .LBB50_2389
; %bb.341:
	s_or_saveexec_b64 s[6:7], s[6:7]
	v_mov_b32_e32 v14, s10
	s_xor_b64 exec, exec, s[6:7]
	s_cbranch_execnz .LBB50_2392
.LBB50_342:
	s_or_b64 exec, exec, s[6:7]
	s_and_saveexec_b64 s[6:7], s[4:5]
	s_cbranch_execz .LBB50_344
.LBB50_343:
	v_bfe_u32 v11, v12, 16, 3
	v_ffbh_u32_e32 v20, v11
	v_min_u32_e32 v20, 32, v20
	v_lshrrev_b32_e32 v14, 19, v12
	v_subrev_u32_e32 v21, 28, v20
	v_and_b32_e32 v14, 15, v14
	v_lshlrev_b32_sdwa v21, v21, v12 dst_sel:DWORD dst_unused:UNUSED_PAD src0_sel:DWORD src1_sel:WORD_1
	v_bfe_u32 v15, v12, 19, 4
	v_sub_u32_e32 v20, 29, v20
	v_and_b32_e32 v21, 7, v21
	v_cmp_eq_u16_e32 vcc, 0, v14
	v_cndmask_b32_e32 v11, v11, v21, vcc
	v_cndmask_b32_e32 v14, v15, v20, vcc
	v_lshlrev_b32_e32 v15, 8, v12
	v_mov_b32_e32 v20, 0x3b800000
	v_lshlrev_b32_e32 v11, 20, v11
	v_and_b32_e32 v15, 0x80000000, v15
	v_lshl_add_u32 v14, v14, 23, v20
	v_or3_b32 v14, v15, v14, v11
.LBB50_344:
	s_or_b64 exec, exec, s[6:7]
	s_nop 0
	v_mfma_f32_16x16x4f32 a[0:3], v10, v14, a[0:3]
	s_movk_i32 s4, 0x7f
	v_cmp_gt_i16_sdwa s[6:7], v16, s4 src0_sel:BYTE_3 src1_sel:DWORD
	s_mov_b64 s[4:5], 0
                                        ; implicit-def: $sgpr10
	s_and_saveexec_b64 s[8:9], s[6:7]
	s_xor_b64 s[6:7], exec, s[8:9]
	s_cbranch_execnz .LBB50_2393
; %bb.345:
	s_or_saveexec_b64 s[6:7], s[6:7]
	v_mov_b32_e32 v10, s10
	s_xor_b64 exec, exec, s[6:7]
	s_cbranch_execnz .LBB50_2396
.LBB50_346:
	s_or_b64 exec, exec, s[6:7]
	s_and_saveexec_b64 s[6:7], s[4:5]
	s_cbranch_execz .LBB50_348
.LBB50_347:
	v_bfe_u32 v10, v16, 24, 3
	v_ffbh_u32_e32 v20, v10
	v_min_u32_e32 v20, 32, v20
	v_lshrrev_b32_e32 v14, 27, v16
	v_subrev_u32_e32 v21, 28, v20
	v_and_b32_e32 v11, 0x80000000, v16
	v_and_b32_e32 v14, 15, v14
	v_bfe_u32 v15, v16, 27, 4
	v_lshlrev_b32_sdwa v16, v21, v16 dst_sel:DWORD dst_unused:UNUSED_PAD src0_sel:DWORD src1_sel:BYTE_3
	v_sub_u32_e32 v20, 29, v20
	v_and_b32_e32 v16, 7, v16
	v_cmp_eq_u16_e32 vcc, 0, v14
	v_cndmask_b32_e32 v10, v10, v16, vcc
	v_cndmask_b32_e32 v14, v15, v20, vcc
	v_mov_b32_e32 v15, 0x3b800000
	v_lshlrev_b32_e32 v10, 20, v10
	v_lshl_add_u32 v14, v14, 23, v15
	v_or3_b32 v10, v11, v14, v10
.LBB50_348:
	s_or_b64 exec, exec, s[6:7]
	s_movk_i32 s4, 0x7f
	v_cmp_gt_i16_sdwa s[6:7], v12, s4 src0_sel:BYTE_3 src1_sel:DWORD
	s_mov_b64 s[4:5], 0
                                        ; implicit-def: $sgpr10
	s_and_saveexec_b64 s[8:9], s[6:7]
	s_xor_b64 s[6:7], exec, s[8:9]
	s_cbranch_execnz .LBB50_2397
; %bb.349:
	s_or_saveexec_b64 s[6:7], s[6:7]
	v_mov_b32_e32 v11, s10
	s_xor_b64 exec, exec, s[6:7]
	s_cbranch_execnz .LBB50_2400
.LBB50_350:
	s_or_b64 exec, exec, s[6:7]
	s_and_saveexec_b64 s[6:7], s[4:5]
	s_cbranch_execz .LBB50_352
.LBB50_351:
	v_bfe_u32 v11, v12, 24, 3
	v_ffbh_u32_e32 v20, v11
	v_min_u32_e32 v20, 32, v20
	v_lshrrev_b32_e32 v15, 27, v12
	v_subrev_u32_e32 v21, 28, v20
	v_and_b32_e32 v14, 0x80000000, v12
	v_and_b32_e32 v15, 15, v15
	v_bfe_u32 v16, v12, 27, 4
	v_lshlrev_b32_sdwa v12, v21, v12 dst_sel:DWORD dst_unused:UNUSED_PAD src0_sel:DWORD src1_sel:BYTE_3
	v_sub_u32_e32 v20, 29, v20
	v_and_b32_e32 v12, 7, v12
	v_cmp_eq_u16_e32 vcc, 0, v15
	v_cndmask_b32_e32 v11, v11, v12, vcc
	v_cndmask_b32_e32 v12, v16, v20, vcc
	v_mov_b32_e32 v15, 0x3b800000
	v_lshlrev_b32_e32 v11, 20, v11
	v_lshl_add_u32 v12, v12, 23, v15
	v_or3_b32 v11, v14, v12, v11
.LBB50_352:
	s_or_b64 exec, exec, s[6:7]
	s_nop 0
	v_mfma_f32_16x16x4f32 a[0:3], v10, v11, a[0:3]
	s_movk_i32 s4, 0x7f
	v_cmp_gt_i16_sdwa s[6:7], v17, s4 src0_sel:BYTE_0 src1_sel:DWORD
	s_mov_b64 s[4:5], 0
                                        ; implicit-def: $sgpr10
	s_and_saveexec_b64 s[8:9], s[6:7]
	s_xor_b64 s[6:7], exec, s[8:9]
	s_cbranch_execnz .LBB50_2401
; %bb.353:
	s_or_saveexec_b64 s[6:7], s[6:7]
	v_mov_b32_e32 v10, s10
	s_xor_b64 exec, exec, s[6:7]
	s_cbranch_execnz .LBB50_2404
.LBB50_354:
	s_or_b64 exec, exec, s[6:7]
	s_and_saveexec_b64 s[6:7], s[4:5]
	s_cbranch_execz .LBB50_356
.LBB50_355:
	v_and_b32_e32 v10, 7, v17
	v_ffbh_u32_e32 v12, v10
	v_min_u32_e32 v12, 32, v12
	v_lshrrev_b16_e32 v11, 3, v17
	v_subrev_u32_e32 v14, 28, v12
	v_and_b32_e32 v11, 15, v11
	v_lshlrev_b32_e32 v14, v14, v17
	v_sub_u32_e32 v12, 29, v12
	v_and_b32_e32 v14, 7, v14
	v_cmp_eq_u16_e32 vcc, 0, v11
	v_cndmask_b32_e32 v10, v10, v14, vcc
	v_cndmask_b32_e32 v11, v11, v12, vcc
	v_lshlrev_b32_e32 v12, 24, v17
	v_mov_b32_e32 v14, 0x3b800000
	v_lshlrev_b32_e32 v10, 20, v10
	v_and_b32_e32 v12, 0x80000000, v12
	v_lshl_add_u32 v11, v11, 23, v14
	v_or3_b32 v10, v12, v11, v10
.LBB50_356:
	s_or_b64 exec, exec, s[6:7]
	s_movk_i32 s4, 0x7f
	v_cmp_gt_i16_sdwa s[6:7], v13, s4 src0_sel:BYTE_0 src1_sel:DWORD
	s_mov_b64 s[4:5], 0
                                        ; implicit-def: $sgpr10
	s_and_saveexec_b64 s[8:9], s[6:7]
	s_xor_b64 s[6:7], exec, s[8:9]
	s_cbranch_execnz .LBB50_2405
; %bb.357:
	s_or_saveexec_b64 s[6:7], s[6:7]
	v_mov_b32_e32 v11, s10
	s_xor_b64 exec, exec, s[6:7]
	s_cbranch_execnz .LBB50_2408
.LBB50_358:
	s_or_b64 exec, exec, s[6:7]
	s_and_saveexec_b64 s[6:7], s[4:5]
	s_cbranch_execz .LBB50_360
.LBB50_359:
	v_and_b32_e32 v11, 7, v13
	v_ffbh_u32_e32 v14, v11
	v_min_u32_e32 v14, 32, v14
	v_lshrrev_b16_e32 v12, 3, v13
	v_subrev_u32_e32 v15, 28, v14
	v_and_b32_e32 v12, 15, v12
	v_lshlrev_b32_e32 v15, v15, v13
	v_sub_u32_e32 v14, 29, v14
	v_and_b32_e32 v15, 7, v15
	v_cmp_eq_u16_e32 vcc, 0, v12
	v_cndmask_b32_e32 v11, v11, v15, vcc
	v_cndmask_b32_e32 v12, v12, v14, vcc
	v_lshlrev_b32_e32 v14, 24, v13
	v_mov_b32_e32 v15, 0x3b800000
	v_lshlrev_b32_e32 v11, 20, v11
	v_and_b32_e32 v14, 0x80000000, v14
	v_lshl_add_u32 v12, v12, 23, v15
	v_or3_b32 v11, v14, v12, v11
.LBB50_360:
	s_or_b64 exec, exec, s[6:7]
	s_nop 0
	v_mfma_f32_16x16x4f32 a[0:3], v10, v11, a[0:3]
	v_lshrrev_b32_e32 v11, 8, v17
	s_movk_i32 s4, 0x7f
	v_cmp_gt_i16_sdwa s[6:7], v11, s4 src0_sel:BYTE_0 src1_sel:DWORD
	s_mov_b64 s[4:5], 0
                                        ; implicit-def: $sgpr10
	s_and_saveexec_b64 s[8:9], s[6:7]
	s_xor_b64 s[6:7], exec, s[8:9]
	s_cbranch_execnz .LBB50_2409
; %bb.361:
	s_or_saveexec_b64 s[6:7], s[6:7]
	v_mov_b32_e32 v10, s10
	s_xor_b64 exec, exec, s[6:7]
	s_cbranch_execnz .LBB50_2412
.LBB50_362:
	s_or_b64 exec, exec, s[6:7]
	s_and_saveexec_b64 s[6:7], s[4:5]
	s_cbranch_execz .LBB50_364
.LBB50_363:
	v_bfe_u32 v10, v17, 8, 3
	v_ffbh_u32_e32 v14, v10
	v_min_u32_e32 v14, 32, v14
	v_lshrrev_b16_e32 v12, 3, v11
	v_subrev_u32_e32 v15, 28, v14
	v_and_b32_e32 v12, 15, v12
	v_lshlrev_b32_e32 v11, v15, v11
	v_sub_u32_e32 v14, 29, v14
	v_and_b32_e32 v11, 7, v11
	v_cmp_eq_u16_e32 vcc, 0, v12
	v_cndmask_b32_e32 v10, v10, v11, vcc
	v_cndmask_b32_e32 v11, v12, v14, vcc
	v_lshlrev_b32_e32 v12, 16, v17
	v_mov_b32_e32 v14, 0x3b800000
	v_lshlrev_b32_e32 v10, 20, v10
	v_and_b32_e32 v12, 0x80000000, v12
	v_lshl_add_u32 v11, v11, 23, v14
	v_or3_b32 v10, v12, v11, v10
.LBB50_364:
	s_or_b64 exec, exec, s[6:7]
	v_lshrrev_b32_e32 v11, 8, v13
	s_movk_i32 s4, 0x7f
	v_cmp_gt_i16_sdwa s[6:7], v11, s4 src0_sel:BYTE_0 src1_sel:DWORD
	s_mov_b64 s[4:5], 0
                                        ; implicit-def: $sgpr10
	s_and_saveexec_b64 s[8:9], s[6:7]
	s_xor_b64 s[6:7], exec, s[8:9]
	s_cbranch_execnz .LBB50_2413
; %bb.365:
	s_or_saveexec_b64 s[6:7], s[6:7]
	v_mov_b32_e32 v12, s10
	s_xor_b64 exec, exec, s[6:7]
	s_cbranch_execnz .LBB50_2416
.LBB50_366:
	s_or_b64 exec, exec, s[6:7]
	s_and_saveexec_b64 s[6:7], s[4:5]
	s_cbranch_execz .LBB50_368
.LBB50_367:
	v_bfe_u32 v12, v13, 8, 3
	v_ffbh_u32_e32 v15, v12
	v_min_u32_e32 v15, 32, v15
	v_lshrrev_b16_e32 v14, 3, v11
	v_subrev_u32_e32 v16, 28, v15
	v_and_b32_e32 v14, 15, v14
	v_lshlrev_b32_e32 v11, v16, v11
	v_sub_u32_e32 v15, 29, v15
	v_and_b32_e32 v11, 7, v11
	v_cmp_eq_u16_e32 vcc, 0, v14
	v_cndmask_b32_e32 v11, v12, v11, vcc
	v_cndmask_b32_e32 v12, v14, v15, vcc
	v_lshlrev_b32_e32 v14, 16, v13
	v_mov_b32_e32 v15, 0x3b800000
	v_lshlrev_b32_e32 v11, 20, v11
	v_and_b32_e32 v14, 0x80000000, v14
	v_lshl_add_u32 v12, v12, 23, v15
	v_or3_b32 v12, v14, v12, v11
.LBB50_368:
	s_or_b64 exec, exec, s[6:7]
	s_nop 0
	v_mfma_f32_16x16x4f32 a[0:3], v10, v12, a[0:3]
	s_movk_i32 s4, 0xff
	v_and_b32_sdwa v11, v17, s4 dst_sel:DWORD dst_unused:UNUSED_PAD src0_sel:WORD_1 src1_sel:DWORD
	s_movk_i32 s4, 0x7f
	v_cmp_lt_i16_e32 vcc, s4, v11
	s_mov_b64 s[4:5], 0
                                        ; implicit-def: $sgpr10
	s_and_saveexec_b64 s[6:7], vcc
	s_xor_b64 s[6:7], exec, s[6:7]
	s_cbranch_execnz .LBB50_2417
; %bb.369:
	s_or_saveexec_b64 s[6:7], s[6:7]
	v_mov_b32_e32 v10, s10
	s_xor_b64 exec, exec, s[6:7]
	s_cbranch_execnz .LBB50_2420
.LBB50_370:
	s_or_b64 exec, exec, s[6:7]
	s_and_saveexec_b64 s[6:7], s[4:5]
	s_cbranch_execz .LBB50_372
.LBB50_371:
	v_bfe_u32 v10, v17, 16, 3
	v_ffbh_u32_e32 v14, v10
	v_min_u32_e32 v14, 32, v14
	v_lshrrev_b32_e32 v11, 19, v17
	v_subrev_u32_e32 v15, 28, v14
	v_and_b32_e32 v11, 15, v11
	v_lshlrev_b32_sdwa v15, v15, v17 dst_sel:DWORD dst_unused:UNUSED_PAD src0_sel:DWORD src1_sel:WORD_1
	v_bfe_u32 v12, v17, 19, 4
	v_sub_u32_e32 v14, 29, v14
	v_and_b32_e32 v15, 7, v15
	v_cmp_eq_u16_e32 vcc, 0, v11
	v_cndmask_b32_e32 v10, v10, v15, vcc
	v_cndmask_b32_e32 v11, v12, v14, vcc
	v_lshlrev_b32_e32 v12, 8, v17
	v_mov_b32_e32 v14, 0x3b800000
	v_lshlrev_b32_e32 v10, 20, v10
	v_and_b32_e32 v12, 0x80000000, v12
	v_lshl_add_u32 v11, v11, 23, v14
	v_or3_b32 v10, v12, v11, v10
.LBB50_372:
	s_or_b64 exec, exec, s[6:7]
	s_movk_i32 s4, 0xff
	v_and_b32_sdwa v11, v13, s4 dst_sel:DWORD dst_unused:UNUSED_PAD src0_sel:WORD_1 src1_sel:DWORD
	s_movk_i32 s4, 0x7f
	v_cmp_lt_i16_e32 vcc, s4, v11
	s_mov_b64 s[4:5], 0
                                        ; implicit-def: $sgpr10
	s_and_saveexec_b64 s[6:7], vcc
	s_xor_b64 s[6:7], exec, s[6:7]
	s_cbranch_execnz .LBB50_2421
; %bb.373:
	s_or_saveexec_b64 s[6:7], s[6:7]
	v_mov_b32_e32 v12, s10
	s_xor_b64 exec, exec, s[6:7]
	s_cbranch_execnz .LBB50_2424
.LBB50_374:
	s_or_b64 exec, exec, s[6:7]
	s_and_saveexec_b64 s[6:7], s[4:5]
	s_cbranch_execz .LBB50_376
.LBB50_375:
	v_bfe_u32 v11, v13, 16, 3
	v_ffbh_u32_e32 v15, v11
	v_min_u32_e32 v15, 32, v15
	v_lshrrev_b32_e32 v12, 19, v13
	v_subrev_u32_e32 v16, 28, v15
	v_and_b32_e32 v12, 15, v12
	v_lshlrev_b32_sdwa v16, v16, v13 dst_sel:DWORD dst_unused:UNUSED_PAD src0_sel:DWORD src1_sel:WORD_1
	v_bfe_u32 v14, v13, 19, 4
	v_sub_u32_e32 v15, 29, v15
	v_and_b32_e32 v16, 7, v16
	v_cmp_eq_u16_e32 vcc, 0, v12
	v_cndmask_b32_e32 v11, v11, v16, vcc
	v_cndmask_b32_e32 v12, v14, v15, vcc
	v_lshlrev_b32_e32 v14, 8, v13
	v_mov_b32_e32 v15, 0x3b800000
	v_lshlrev_b32_e32 v11, 20, v11
	v_and_b32_e32 v14, 0x80000000, v14
	v_lshl_add_u32 v12, v12, 23, v15
	v_or3_b32 v12, v14, v12, v11
.LBB50_376:
	s_or_b64 exec, exec, s[6:7]
	s_nop 0
	v_mfma_f32_16x16x4f32 a[0:3], v10, v12, a[0:3]
	s_movk_i32 s4, 0x7f
	v_cmp_gt_i16_sdwa s[6:7], v17, s4 src0_sel:BYTE_3 src1_sel:DWORD
	s_mov_b64 s[4:5], 0
                                        ; implicit-def: $sgpr10
	s_and_saveexec_b64 s[8:9], s[6:7]
	s_xor_b64 s[6:7], exec, s[8:9]
	s_cbranch_execnz .LBB50_2425
; %bb.377:
	s_or_saveexec_b64 s[6:7], s[6:7]
	v_mov_b32_e32 v10, s10
	s_xor_b64 exec, exec, s[6:7]
	s_cbranch_execnz .LBB50_2428
.LBB50_378:
	s_or_b64 exec, exec, s[6:7]
	s_and_saveexec_b64 s[6:7], s[4:5]
	s_cbranch_execz .LBB50_380
.LBB50_379:
	v_bfe_u32 v10, v17, 24, 3
	v_ffbh_u32_e32 v15, v10
	v_min_u32_e32 v15, 32, v15
	v_lshrrev_b32_e32 v12, 27, v17
	v_subrev_u32_e32 v16, 28, v15
	v_and_b32_e32 v12, 15, v12
	v_lshlrev_b32_sdwa v16, v16, v17 dst_sel:DWORD dst_unused:UNUSED_PAD src0_sel:DWORD src1_sel:BYTE_3
	v_bfe_u32 v14, v17, 27, 4
	v_sub_u32_e32 v15, 29, v15
	v_and_b32_e32 v16, 7, v16
	v_cmp_eq_u16_e32 vcc, 0, v12
	v_cndmask_b32_e32 v10, v10, v16, vcc
	v_cndmask_b32_e32 v12, v14, v15, vcc
	v_mov_b32_e32 v14, 0x3b800000
	v_and_b32_e32 v11, 0x80000000, v17
	v_lshlrev_b32_e32 v10, 20, v10
	v_lshl_add_u32 v12, v12, 23, v14
	v_or3_b32 v10, v11, v12, v10
.LBB50_380:
	s_or_b64 exec, exec, s[6:7]
	s_movk_i32 s4, 0x7f
	v_cmp_gt_i16_sdwa s[6:7], v13, s4 src0_sel:BYTE_3 src1_sel:DWORD
	s_mov_b64 s[4:5], 0
                                        ; implicit-def: $sgpr10
	s_and_saveexec_b64 s[8:9], s[6:7]
	s_xor_b64 s[6:7], exec, s[8:9]
	s_cbranch_execnz .LBB50_2429
; %bb.381:
	s_or_saveexec_b64 s[6:7], s[6:7]
	v_mov_b32_e32 v11, s10
	s_xor_b64 exec, exec, s[6:7]
	s_cbranch_execnz .LBB50_2432
.LBB50_382:
	s_or_b64 exec, exec, s[6:7]
	s_and_saveexec_b64 s[6:7], s[4:5]
	s_cbranch_execz .LBB50_384
.LBB50_383:
	v_bfe_u32 v11, v13, 24, 3
	v_ffbh_u32_e32 v16, v11
	v_min_u32_e32 v16, 32, v16
	v_lshrrev_b32_e32 v14, 27, v13
	v_subrev_u32_e32 v17, 28, v16
	v_and_b32_e32 v12, 0x80000000, v13
	v_and_b32_e32 v14, 15, v14
	v_bfe_u32 v15, v13, 27, 4
	v_lshlrev_b32_sdwa v13, v17, v13 dst_sel:DWORD dst_unused:UNUSED_PAD src0_sel:DWORD src1_sel:BYTE_3
	v_sub_u32_e32 v16, 29, v16
	v_and_b32_e32 v13, 7, v13
	v_cmp_eq_u16_e32 vcc, 0, v14
	v_cndmask_b32_e32 v11, v11, v13, vcc
	v_cndmask_b32_e32 v13, v15, v16, vcc
	v_mov_b32_e32 v14, 0x3b800000
	v_lshlrev_b32_e32 v11, 20, v11
	v_lshl_add_u32 v13, v13, 23, v14
	v_or3_b32 v11, v12, v13, v11
.LBB50_384:
	s_or_b64 exec, exec, s[6:7]
	s_nop 0
	v_mfma_f32_16x16x4f32 a[0:3], v10, v11, a[0:3]
	s_movk_i32 s4, 0x7f
	v_cmp_gt_i16_sdwa s[6:7], v6, s4 src0_sel:BYTE_0 src1_sel:DWORD
	s_mov_b64 s[4:5], 0
                                        ; implicit-def: $sgpr10
	s_and_saveexec_b64 s[8:9], s[6:7]
	s_xor_b64 s[6:7], exec, s[8:9]
	s_cbranch_execnz .LBB50_2433
; %bb.385:
	s_or_saveexec_b64 s[6:7], s[6:7]
	v_mov_b32_e32 v10, s10
	s_xor_b64 exec, exec, s[6:7]
	s_cbranch_execnz .LBB50_2436
.LBB50_386:
	s_or_b64 exec, exec, s[6:7]
	s_and_saveexec_b64 s[6:7], s[4:5]
	s_cbranch_execz .LBB50_388
.LBB50_387:
	v_and_b32_e32 v10, 7, v6
	v_ffbh_u32_e32 v12, v10
	v_min_u32_e32 v12, 32, v12
	v_lshrrev_b16_e32 v11, 3, v6
	v_subrev_u32_e32 v13, 28, v12
	v_and_b32_e32 v11, 15, v11
	v_lshlrev_b32_e32 v13, v13, v6
	v_sub_u32_e32 v12, 29, v12
	v_and_b32_e32 v13, 7, v13
	v_cmp_eq_u16_e32 vcc, 0, v11
	v_cndmask_b32_e32 v10, v10, v13, vcc
	v_cndmask_b32_e32 v11, v11, v12, vcc
	v_lshlrev_b32_e32 v12, 24, v6
	v_mov_b32_e32 v13, 0x3b800000
	v_lshlrev_b32_e32 v10, 20, v10
	v_and_b32_e32 v12, 0x80000000, v12
	v_lshl_add_u32 v11, v11, 23, v13
	v_or3_b32 v10, v12, v11, v10
.LBB50_388:
	s_or_b64 exec, exec, s[6:7]
	s_movk_i32 s4, 0x7f
	v_cmp_gt_i16_sdwa s[6:7], v2, s4 src0_sel:BYTE_0 src1_sel:DWORD
	s_mov_b64 s[4:5], 0
                                        ; implicit-def: $sgpr10
	s_and_saveexec_b64 s[8:9], s[6:7]
	s_xor_b64 s[6:7], exec, s[8:9]
	s_cbranch_execnz .LBB50_2437
; %bb.389:
	s_or_saveexec_b64 s[6:7], s[6:7]
	v_mov_b32_e32 v11, s10
	s_xor_b64 exec, exec, s[6:7]
	s_cbranch_execnz .LBB50_2440
.LBB50_390:
	s_or_b64 exec, exec, s[6:7]
	s_and_saveexec_b64 s[6:7], s[4:5]
	s_cbranch_execz .LBB50_392
.LBB50_391:
	v_and_b32_e32 v11, 7, v2
	v_ffbh_u32_e32 v13, v11
	v_min_u32_e32 v13, 32, v13
	v_lshrrev_b16_e32 v12, 3, v2
	v_subrev_u32_e32 v14, 28, v13
	v_and_b32_e32 v12, 15, v12
	v_lshlrev_b32_e32 v14, v14, v2
	v_sub_u32_e32 v13, 29, v13
	v_and_b32_e32 v14, 7, v14
	v_cmp_eq_u16_e32 vcc, 0, v12
	v_cndmask_b32_e32 v11, v11, v14, vcc
	v_cndmask_b32_e32 v12, v12, v13, vcc
	v_lshlrev_b32_e32 v13, 24, v2
	v_mov_b32_e32 v14, 0x3b800000
	v_lshlrev_b32_e32 v11, 20, v11
	v_and_b32_e32 v13, 0x80000000, v13
	v_lshl_add_u32 v12, v12, 23, v14
	v_or3_b32 v11, v13, v12, v11
.LBB50_392:
	s_or_b64 exec, exec, s[6:7]
	s_nop 0
	v_mfma_f32_16x16x4f32 a[0:3], v10, v11, a[0:3]
	v_lshrrev_b32_e32 v11, 8, v6
	s_movk_i32 s4, 0x7f
	v_cmp_gt_i16_sdwa s[6:7], v11, s4 src0_sel:BYTE_0 src1_sel:DWORD
	s_mov_b64 s[4:5], 0
                                        ; implicit-def: $sgpr10
	s_and_saveexec_b64 s[8:9], s[6:7]
	s_xor_b64 s[6:7], exec, s[8:9]
	s_cbranch_execnz .LBB50_2441
; %bb.393:
	s_or_saveexec_b64 s[6:7], s[6:7]
	v_mov_b32_e32 v10, s10
	s_xor_b64 exec, exec, s[6:7]
	s_cbranch_execnz .LBB50_2444
.LBB50_394:
	s_or_b64 exec, exec, s[6:7]
	s_and_saveexec_b64 s[6:7], s[4:5]
	s_cbranch_execz .LBB50_396
.LBB50_395:
	v_bfe_u32 v10, v6, 8, 3
	v_ffbh_u32_e32 v13, v10
	v_min_u32_e32 v13, 32, v13
	v_lshrrev_b16_e32 v12, 3, v11
	v_subrev_u32_e32 v14, 28, v13
	v_and_b32_e32 v12, 15, v12
	v_lshlrev_b32_e32 v11, v14, v11
	v_sub_u32_e32 v13, 29, v13
	v_and_b32_e32 v11, 7, v11
	v_cmp_eq_u16_e32 vcc, 0, v12
	v_cndmask_b32_e32 v10, v10, v11, vcc
	v_cndmask_b32_e32 v11, v12, v13, vcc
	v_lshlrev_b32_e32 v12, 16, v6
	v_mov_b32_e32 v13, 0x3b800000
	v_lshlrev_b32_e32 v10, 20, v10
	v_and_b32_e32 v12, 0x80000000, v12
	v_lshl_add_u32 v11, v11, 23, v13
	v_or3_b32 v10, v12, v11, v10
.LBB50_396:
	s_or_b64 exec, exec, s[6:7]
	v_lshrrev_b32_e32 v11, 8, v2
	s_movk_i32 s4, 0x7f
	v_cmp_gt_i16_sdwa s[6:7], v11, s4 src0_sel:BYTE_0 src1_sel:DWORD
	s_mov_b64 s[4:5], 0
                                        ; implicit-def: $sgpr10
	s_and_saveexec_b64 s[8:9], s[6:7]
	s_xor_b64 s[6:7], exec, s[8:9]
	s_cbranch_execnz .LBB50_2445
; %bb.397:
	s_or_saveexec_b64 s[6:7], s[6:7]
	v_mov_b32_e32 v12, s10
	s_xor_b64 exec, exec, s[6:7]
	s_cbranch_execnz .LBB50_2448
.LBB50_398:
	s_or_b64 exec, exec, s[6:7]
	s_and_saveexec_b64 s[6:7], s[4:5]
	s_cbranch_execz .LBB50_400
.LBB50_399:
	v_bfe_u32 v12, v2, 8, 3
	v_ffbh_u32_e32 v14, v12
	v_min_u32_e32 v14, 32, v14
	v_lshrrev_b16_e32 v13, 3, v11
	v_subrev_u32_e32 v15, 28, v14
	v_and_b32_e32 v13, 15, v13
	v_lshlrev_b32_e32 v11, v15, v11
	v_sub_u32_e32 v14, 29, v14
	v_and_b32_e32 v11, 7, v11
	v_cmp_eq_u16_e32 vcc, 0, v13
	v_cndmask_b32_e32 v11, v12, v11, vcc
	v_cndmask_b32_e32 v12, v13, v14, vcc
	v_lshlrev_b32_e32 v13, 16, v2
	v_mov_b32_e32 v14, 0x3b800000
	v_lshlrev_b32_e32 v11, 20, v11
	v_and_b32_e32 v13, 0x80000000, v13
	v_lshl_add_u32 v12, v12, 23, v14
	v_or3_b32 v12, v13, v12, v11
.LBB50_400:
	s_or_b64 exec, exec, s[6:7]
	s_nop 0
	v_mfma_f32_16x16x4f32 a[0:3], v10, v12, a[0:3]
	s_movk_i32 s4, 0xff
	v_and_b32_sdwa v11, v6, s4 dst_sel:DWORD dst_unused:UNUSED_PAD src0_sel:WORD_1 src1_sel:DWORD
	s_movk_i32 s4, 0x7f
	v_cmp_lt_i16_e32 vcc, s4, v11
	s_mov_b64 s[4:5], 0
                                        ; implicit-def: $sgpr10
	s_and_saveexec_b64 s[6:7], vcc
	s_xor_b64 s[6:7], exec, s[6:7]
	s_cbranch_execnz .LBB50_2449
; %bb.401:
	s_or_saveexec_b64 s[6:7], s[6:7]
	v_mov_b32_e32 v10, s10
	s_xor_b64 exec, exec, s[6:7]
	s_cbranch_execnz .LBB50_2452
.LBB50_402:
	s_or_b64 exec, exec, s[6:7]
	s_and_saveexec_b64 s[6:7], s[4:5]
	s_cbranch_execz .LBB50_404
.LBB50_403:
	v_bfe_u32 v10, v6, 16, 3
	v_ffbh_u32_e32 v13, v10
	v_min_u32_e32 v13, 32, v13
	v_lshrrev_b32_e32 v11, 19, v6
	v_subrev_u32_e32 v14, 28, v13
	v_and_b32_e32 v11, 15, v11
	v_lshlrev_b32_sdwa v14, v14, v6 dst_sel:DWORD dst_unused:UNUSED_PAD src0_sel:DWORD src1_sel:WORD_1
	v_bfe_u32 v12, v6, 19, 4
	v_sub_u32_e32 v13, 29, v13
	v_and_b32_e32 v14, 7, v14
	v_cmp_eq_u16_e32 vcc, 0, v11
	v_cndmask_b32_e32 v10, v10, v14, vcc
	v_cndmask_b32_e32 v11, v12, v13, vcc
	v_lshlrev_b32_e32 v12, 8, v6
	v_mov_b32_e32 v13, 0x3b800000
	v_lshlrev_b32_e32 v10, 20, v10
	v_and_b32_e32 v12, 0x80000000, v12
	v_lshl_add_u32 v11, v11, 23, v13
	v_or3_b32 v10, v12, v11, v10
.LBB50_404:
	s_or_b64 exec, exec, s[6:7]
	s_movk_i32 s4, 0xff
	v_and_b32_sdwa v11, v2, s4 dst_sel:DWORD dst_unused:UNUSED_PAD src0_sel:WORD_1 src1_sel:DWORD
	s_movk_i32 s4, 0x7f
	v_cmp_lt_i16_e32 vcc, s4, v11
	s_mov_b64 s[4:5], 0
                                        ; implicit-def: $sgpr10
	s_and_saveexec_b64 s[6:7], vcc
	s_xor_b64 s[6:7], exec, s[6:7]
	s_cbranch_execnz .LBB50_2453
; %bb.405:
	s_or_saveexec_b64 s[6:7], s[6:7]
	v_mov_b32_e32 v12, s10
	s_xor_b64 exec, exec, s[6:7]
	s_cbranch_execnz .LBB50_2456
.LBB50_406:
	s_or_b64 exec, exec, s[6:7]
	s_and_saveexec_b64 s[6:7], s[4:5]
	s_cbranch_execz .LBB50_408
.LBB50_407:
	v_bfe_u32 v11, v2, 16, 3
	v_ffbh_u32_e32 v14, v11
	v_min_u32_e32 v14, 32, v14
	v_lshrrev_b32_e32 v12, 19, v2
	v_subrev_u32_e32 v15, 28, v14
	v_and_b32_e32 v12, 15, v12
	v_lshlrev_b32_sdwa v15, v15, v2 dst_sel:DWORD dst_unused:UNUSED_PAD src0_sel:DWORD src1_sel:WORD_1
	v_bfe_u32 v13, v2, 19, 4
	v_sub_u32_e32 v14, 29, v14
	v_and_b32_e32 v15, 7, v15
	v_cmp_eq_u16_e32 vcc, 0, v12
	v_cndmask_b32_e32 v11, v11, v15, vcc
	v_cndmask_b32_e32 v12, v13, v14, vcc
	v_lshlrev_b32_e32 v13, 8, v2
	v_mov_b32_e32 v14, 0x3b800000
	v_lshlrev_b32_e32 v11, 20, v11
	v_and_b32_e32 v13, 0x80000000, v13
	v_lshl_add_u32 v12, v12, 23, v14
	v_or3_b32 v12, v13, v12, v11
.LBB50_408:
	s_or_b64 exec, exec, s[6:7]
	s_nop 0
	v_mfma_f32_16x16x4f32 a[0:3], v10, v12, a[0:3]
	s_movk_i32 s4, 0x7f
	v_cmp_gt_i16_sdwa s[6:7], v6, s4 src0_sel:BYTE_3 src1_sel:DWORD
	s_mov_b64 s[4:5], 0
                                        ; implicit-def: $sgpr10
	s_and_saveexec_b64 s[8:9], s[6:7]
	s_xor_b64 s[6:7], exec, s[8:9]
	s_cbranch_execnz .LBB50_2457
; %bb.409:
	s_or_saveexec_b64 s[6:7], s[6:7]
	v_mov_b32_e32 v10, s10
	s_xor_b64 exec, exec, s[6:7]
	s_cbranch_execnz .LBB50_2460
.LBB50_410:
	s_or_b64 exec, exec, s[6:7]
	s_and_saveexec_b64 s[6:7], s[4:5]
	s_cbranch_execz .LBB50_412
.LBB50_411:
	v_bfe_u32 v10, v6, 24, 3
	v_ffbh_u32_e32 v14, v10
	v_min_u32_e32 v14, 32, v14
	v_lshrrev_b32_e32 v12, 27, v6
	v_subrev_u32_e32 v15, 28, v14
	v_and_b32_e32 v11, 0x80000000, v6
	v_and_b32_e32 v12, 15, v12
	v_bfe_u32 v13, v6, 27, 4
	v_lshlrev_b32_sdwa v6, v15, v6 dst_sel:DWORD dst_unused:UNUSED_PAD src0_sel:DWORD src1_sel:BYTE_3
	v_sub_u32_e32 v14, 29, v14
	v_and_b32_e32 v6, 7, v6
	v_cmp_eq_u16_e32 vcc, 0, v12
	v_cndmask_b32_e32 v6, v10, v6, vcc
	v_cndmask_b32_e32 v10, v13, v14, vcc
	v_mov_b32_e32 v12, 0x3b800000
	v_lshlrev_b32_e32 v6, 20, v6
	v_lshl_add_u32 v10, v10, 23, v12
	v_or3_b32 v10, v11, v10, v6
.LBB50_412:
	s_or_b64 exec, exec, s[6:7]
	s_movk_i32 s4, 0x7f
	v_cmp_gt_i16_sdwa s[6:7], v2, s4 src0_sel:BYTE_3 src1_sel:DWORD
	s_mov_b64 s[4:5], 0
                                        ; implicit-def: $sgpr10
	s_and_saveexec_b64 s[8:9], s[6:7]
	s_xor_b64 s[6:7], exec, s[8:9]
	s_cbranch_execnz .LBB50_2461
; %bb.413:
	s_or_saveexec_b64 s[6:7], s[6:7]
	v_mov_b32_e32 v6, s10
	s_xor_b64 exec, exec, s[6:7]
	s_cbranch_execnz .LBB50_2464
.LBB50_414:
	s_or_b64 exec, exec, s[6:7]
	s_and_saveexec_b64 s[6:7], s[4:5]
	s_cbranch_execz .LBB50_416
.LBB50_415:
	v_bfe_u32 v6, v2, 24, 3
	v_ffbh_u32_e32 v14, v6
	v_min_u32_e32 v14, 32, v14
	v_lshrrev_b32_e32 v12, 27, v2
	v_subrev_u32_e32 v15, 28, v14
	v_and_b32_e32 v11, 0x80000000, v2
	v_and_b32_e32 v12, 15, v12
	v_bfe_u32 v13, v2, 27, 4
	v_lshlrev_b32_sdwa v2, v15, v2 dst_sel:DWORD dst_unused:UNUSED_PAD src0_sel:DWORD src1_sel:BYTE_3
	v_sub_u32_e32 v14, 29, v14
	v_and_b32_e32 v2, 7, v2
	v_cmp_eq_u16_e32 vcc, 0, v12
	v_cndmask_b32_e32 v2, v6, v2, vcc
	v_cndmask_b32_e32 v6, v13, v14, vcc
	v_mov_b32_e32 v12, 0x3b800000
	v_lshlrev_b32_e32 v2, 20, v2
	v_lshl_add_u32 v6, v6, 23, v12
	v_or3_b32 v6, v11, v6, v2
.LBB50_416:
	s_or_b64 exec, exec, s[6:7]
	s_nop 0
	v_mfma_f32_16x16x4f32 a[0:3], v10, v6, a[0:3]
	s_movk_i32 s4, 0x7f
	v_cmp_gt_i16_sdwa s[6:7], v7, s4 src0_sel:BYTE_0 src1_sel:DWORD
	s_mov_b64 s[4:5], 0
                                        ; implicit-def: $sgpr10
	s_and_saveexec_b64 s[8:9], s[6:7]
	s_xor_b64 s[6:7], exec, s[8:9]
	s_cbranch_execnz .LBB50_2465
; %bb.417:
	s_or_saveexec_b64 s[6:7], s[6:7]
	v_mov_b32_e32 v2, s10
	s_xor_b64 exec, exec, s[6:7]
	s_cbranch_execnz .LBB50_2468
.LBB50_418:
	s_or_b64 exec, exec, s[6:7]
	s_and_saveexec_b64 s[6:7], s[4:5]
	s_cbranch_execz .LBB50_420
.LBB50_419:
	v_and_b32_e32 v2, 7, v7
	v_ffbh_u32_e32 v10, v2
	v_min_u32_e32 v10, 32, v10
	v_lshrrev_b16_e32 v6, 3, v7
	v_subrev_u32_e32 v11, 28, v10
	v_and_b32_e32 v6, 15, v6
	v_lshlrev_b32_e32 v11, v11, v7
	v_sub_u32_e32 v10, 29, v10
	v_and_b32_e32 v11, 7, v11
	v_cmp_eq_u16_e32 vcc, 0, v6
	v_cndmask_b32_e32 v2, v2, v11, vcc
	v_cndmask_b32_e32 v6, v6, v10, vcc
	v_lshlrev_b32_e32 v10, 24, v7
	v_mov_b32_e32 v11, 0x3b800000
	v_lshlrev_b32_e32 v2, 20, v2
	v_and_b32_e32 v10, 0x80000000, v10
	v_lshl_add_u32 v6, v6, 23, v11
	v_or3_b32 v2, v10, v6, v2
.LBB50_420:
	s_or_b64 exec, exec, s[6:7]
	s_movk_i32 s4, 0x7f
	v_cmp_gt_i16_sdwa s[6:7], v3, s4 src0_sel:BYTE_0 src1_sel:DWORD
	s_mov_b64 s[4:5], 0
                                        ; implicit-def: $sgpr10
	s_and_saveexec_b64 s[8:9], s[6:7]
	s_xor_b64 s[6:7], exec, s[8:9]
	s_cbranch_execnz .LBB50_2469
; %bb.421:
	s_or_saveexec_b64 s[6:7], s[6:7]
	v_mov_b32_e32 v6, s10
	s_xor_b64 exec, exec, s[6:7]
	s_cbranch_execnz .LBB50_2472
.LBB50_422:
	s_or_b64 exec, exec, s[6:7]
	s_and_saveexec_b64 s[6:7], s[4:5]
	s_cbranch_execz .LBB50_424
.LBB50_423:
	v_and_b32_e32 v6, 7, v3
	v_ffbh_u32_e32 v11, v6
	v_min_u32_e32 v11, 32, v11
	v_lshrrev_b16_e32 v10, 3, v3
	v_subrev_u32_e32 v12, 28, v11
	v_and_b32_e32 v10, 15, v10
	v_lshlrev_b32_e32 v12, v12, v3
	v_sub_u32_e32 v11, 29, v11
	v_and_b32_e32 v12, 7, v12
	v_cmp_eq_u16_e32 vcc, 0, v10
	v_cndmask_b32_e32 v6, v6, v12, vcc
	v_cndmask_b32_e32 v10, v10, v11, vcc
	v_lshlrev_b32_e32 v11, 24, v3
	v_mov_b32_e32 v12, 0x3b800000
	v_lshlrev_b32_e32 v6, 20, v6
	v_and_b32_e32 v11, 0x80000000, v11
	v_lshl_add_u32 v10, v10, 23, v12
	v_or3_b32 v6, v11, v10, v6
.LBB50_424:
	s_or_b64 exec, exec, s[6:7]
	s_nop 0
	v_mfma_f32_16x16x4f32 a[0:3], v2, v6, a[0:3]
	v_lshrrev_b32_e32 v6, 8, v7
	s_movk_i32 s4, 0x7f
	v_cmp_gt_i16_sdwa s[6:7], v6, s4 src0_sel:BYTE_0 src1_sel:DWORD
	s_mov_b64 s[4:5], 0
                                        ; implicit-def: $sgpr10
	s_and_saveexec_b64 s[8:9], s[6:7]
	s_xor_b64 s[6:7], exec, s[8:9]
	s_cbranch_execnz .LBB50_2473
; %bb.425:
	s_or_saveexec_b64 s[6:7], s[6:7]
	v_mov_b32_e32 v2, s10
	s_xor_b64 exec, exec, s[6:7]
	s_cbranch_execnz .LBB50_2476
.LBB50_426:
	s_or_b64 exec, exec, s[6:7]
	s_and_saveexec_b64 s[6:7], s[4:5]
	s_cbranch_execz .LBB50_428
.LBB50_427:
	v_bfe_u32 v2, v7, 8, 3
	v_ffbh_u32_e32 v11, v2
	v_min_u32_e32 v11, 32, v11
	v_lshrrev_b16_e32 v10, 3, v6
	v_subrev_u32_e32 v12, 28, v11
	v_and_b32_e32 v10, 15, v10
	v_lshlrev_b32_e32 v6, v12, v6
	v_sub_u32_e32 v11, 29, v11
	v_and_b32_e32 v6, 7, v6
	v_cmp_eq_u16_e32 vcc, 0, v10
	v_cndmask_b32_e32 v2, v2, v6, vcc
	v_cndmask_b32_e32 v6, v10, v11, vcc
	v_lshlrev_b32_e32 v10, 16, v7
	v_mov_b32_e32 v11, 0x3b800000
	v_lshlrev_b32_e32 v2, 20, v2
	v_and_b32_e32 v10, 0x80000000, v10
	v_lshl_add_u32 v6, v6, 23, v11
	v_or3_b32 v2, v10, v6, v2
.LBB50_428:
	s_or_b64 exec, exec, s[6:7]
	v_lshrrev_b32_e32 v6, 8, v3
	s_movk_i32 s4, 0x7f
	v_cmp_gt_i16_sdwa s[6:7], v6, s4 src0_sel:BYTE_0 src1_sel:DWORD
	s_mov_b64 s[4:5], 0
                                        ; implicit-def: $sgpr10
	s_and_saveexec_b64 s[8:9], s[6:7]
	s_xor_b64 s[6:7], exec, s[8:9]
	s_cbranch_execnz .LBB50_2477
; %bb.429:
	s_or_saveexec_b64 s[6:7], s[6:7]
	v_mov_b32_e32 v10, s10
	s_xor_b64 exec, exec, s[6:7]
	s_cbranch_execnz .LBB50_2480
.LBB50_430:
	s_or_b64 exec, exec, s[6:7]
	s_and_saveexec_b64 s[6:7], s[4:5]
	s_cbranch_execz .LBB50_432
.LBB50_431:
	v_bfe_u32 v10, v3, 8, 3
	v_ffbh_u32_e32 v12, v10
	v_min_u32_e32 v12, 32, v12
	v_lshrrev_b16_e32 v11, 3, v6
	v_subrev_u32_e32 v13, 28, v12
	v_and_b32_e32 v11, 15, v11
	v_lshlrev_b32_e32 v6, v13, v6
	v_sub_u32_e32 v12, 29, v12
	v_and_b32_e32 v6, 7, v6
	v_cmp_eq_u16_e32 vcc, 0, v11
	v_cndmask_b32_e32 v6, v10, v6, vcc
	v_cndmask_b32_e32 v10, v11, v12, vcc
	v_lshlrev_b32_e32 v11, 16, v3
	v_mov_b32_e32 v12, 0x3b800000
	v_lshlrev_b32_e32 v6, 20, v6
	v_and_b32_e32 v11, 0x80000000, v11
	v_lshl_add_u32 v10, v10, 23, v12
	v_or3_b32 v10, v11, v10, v6
.LBB50_432:
	s_or_b64 exec, exec, s[6:7]
	s_nop 0
	v_mfma_f32_16x16x4f32 a[0:3], v2, v10, a[0:3]
	s_movk_i32 s4, 0xff
	v_and_b32_sdwa v6, v7, s4 dst_sel:DWORD dst_unused:UNUSED_PAD src0_sel:WORD_1 src1_sel:DWORD
	s_movk_i32 s4, 0x7f
	v_cmp_lt_i16_e32 vcc, s4, v6
	s_mov_b64 s[4:5], 0
                                        ; implicit-def: $sgpr10
	s_and_saveexec_b64 s[6:7], vcc
	s_xor_b64 s[6:7], exec, s[6:7]
	s_cbranch_execnz .LBB50_2481
; %bb.433:
	s_or_saveexec_b64 s[6:7], s[6:7]
	v_mov_b32_e32 v2, s10
	s_xor_b64 exec, exec, s[6:7]
	s_cbranch_execnz .LBB50_2484
.LBB50_434:
	s_or_b64 exec, exec, s[6:7]
	s_and_saveexec_b64 s[6:7], s[4:5]
	s_cbranch_execz .LBB50_436
.LBB50_435:
	v_bfe_u32 v2, v7, 16, 3
	v_ffbh_u32_e32 v11, v2
	v_min_u32_e32 v11, 32, v11
	v_lshrrev_b32_e32 v6, 19, v7
	v_subrev_u32_e32 v12, 28, v11
	v_and_b32_e32 v6, 15, v6
	v_lshlrev_b32_sdwa v12, v12, v7 dst_sel:DWORD dst_unused:UNUSED_PAD src0_sel:DWORD src1_sel:WORD_1
	v_bfe_u32 v10, v7, 19, 4
	v_sub_u32_e32 v11, 29, v11
	v_and_b32_e32 v12, 7, v12
	v_cmp_eq_u16_e32 vcc, 0, v6
	v_cndmask_b32_e32 v2, v2, v12, vcc
	v_cndmask_b32_e32 v6, v10, v11, vcc
	v_lshlrev_b32_e32 v10, 8, v7
	v_mov_b32_e32 v11, 0x3b800000
	v_lshlrev_b32_e32 v2, 20, v2
	v_and_b32_e32 v10, 0x80000000, v10
	v_lshl_add_u32 v6, v6, 23, v11
	v_or3_b32 v2, v10, v6, v2
.LBB50_436:
	s_or_b64 exec, exec, s[6:7]
	s_movk_i32 s4, 0xff
	v_and_b32_sdwa v6, v3, s4 dst_sel:DWORD dst_unused:UNUSED_PAD src0_sel:WORD_1 src1_sel:DWORD
	s_movk_i32 s4, 0x7f
	v_cmp_lt_i16_e32 vcc, s4, v6
	s_mov_b64 s[4:5], 0
                                        ; implicit-def: $sgpr10
	s_and_saveexec_b64 s[6:7], vcc
	s_xor_b64 s[6:7], exec, s[6:7]
	s_cbranch_execnz .LBB50_2485
; %bb.437:
	s_or_saveexec_b64 s[6:7], s[6:7]
	v_mov_b32_e32 v10, s10
	s_xor_b64 exec, exec, s[6:7]
	s_cbranch_execnz .LBB50_2488
.LBB50_438:
	s_or_b64 exec, exec, s[6:7]
	s_and_saveexec_b64 s[6:7], s[4:5]
	s_cbranch_execz .LBB50_440
.LBB50_439:
	v_bfe_u32 v6, v3, 16, 3
	v_ffbh_u32_e32 v12, v6
	v_min_u32_e32 v12, 32, v12
	v_lshrrev_b32_e32 v10, 19, v3
	v_subrev_u32_e32 v13, 28, v12
	v_and_b32_e32 v10, 15, v10
	v_lshlrev_b32_sdwa v13, v13, v3 dst_sel:DWORD dst_unused:UNUSED_PAD src0_sel:DWORD src1_sel:WORD_1
	v_bfe_u32 v11, v3, 19, 4
	v_sub_u32_e32 v12, 29, v12
	v_and_b32_e32 v13, 7, v13
	v_cmp_eq_u16_e32 vcc, 0, v10
	v_cndmask_b32_e32 v6, v6, v13, vcc
	v_cndmask_b32_e32 v10, v11, v12, vcc
	v_lshlrev_b32_e32 v11, 8, v3
	v_mov_b32_e32 v12, 0x3b800000
	v_lshlrev_b32_e32 v6, 20, v6
	v_and_b32_e32 v11, 0x80000000, v11
	v_lshl_add_u32 v10, v10, 23, v12
	v_or3_b32 v10, v11, v10, v6
.LBB50_440:
	s_or_b64 exec, exec, s[6:7]
	s_nop 0
	v_mfma_f32_16x16x4f32 a[0:3], v2, v10, a[0:3]
	s_movk_i32 s4, 0x7f
	v_cmp_gt_i16_sdwa s[6:7], v7, s4 src0_sel:BYTE_3 src1_sel:DWORD
	s_mov_b64 s[4:5], 0
                                        ; implicit-def: $sgpr10
	s_and_saveexec_b64 s[8:9], s[6:7]
	s_xor_b64 s[6:7], exec, s[8:9]
	s_cbranch_execnz .LBB50_2489
; %bb.441:
	s_or_saveexec_b64 s[6:7], s[6:7]
	v_mov_b32_e32 v2, s10
	s_xor_b64 exec, exec, s[6:7]
	s_cbranch_execnz .LBB50_2492
.LBB50_442:
	s_or_b64 exec, exec, s[6:7]
	s_and_saveexec_b64 s[6:7], s[4:5]
	s_cbranch_execz .LBB50_444
.LBB50_443:
	v_bfe_u32 v2, v7, 24, 3
	v_ffbh_u32_e32 v12, v2
	v_min_u32_e32 v12, 32, v12
	v_lshrrev_b32_e32 v10, 27, v7
	v_subrev_u32_e32 v13, 28, v12
	v_and_b32_e32 v6, 0x80000000, v7
	v_and_b32_e32 v10, 15, v10
	v_bfe_u32 v11, v7, 27, 4
	v_lshlrev_b32_sdwa v7, v13, v7 dst_sel:DWORD dst_unused:UNUSED_PAD src0_sel:DWORD src1_sel:BYTE_3
	v_sub_u32_e32 v12, 29, v12
	v_and_b32_e32 v7, 7, v7
	v_cmp_eq_u16_e32 vcc, 0, v10
	v_cndmask_b32_e32 v2, v2, v7, vcc
	v_cndmask_b32_e32 v7, v11, v12, vcc
	v_mov_b32_e32 v10, 0x3b800000
	v_lshlrev_b32_e32 v2, 20, v2
	v_lshl_add_u32 v7, v7, 23, v10
	v_or3_b32 v2, v6, v7, v2
.LBB50_444:
	s_or_b64 exec, exec, s[6:7]
	s_movk_i32 s4, 0x7f
	v_cmp_gt_i16_sdwa s[6:7], v3, s4 src0_sel:BYTE_3 src1_sel:DWORD
	s_mov_b64 s[4:5], 0
                                        ; implicit-def: $sgpr10
	s_and_saveexec_b64 s[8:9], s[6:7]
	s_xor_b64 s[6:7], exec, s[8:9]
	s_cbranch_execnz .LBB50_2493
; %bb.445:
	s_or_saveexec_b64 s[6:7], s[6:7]
	v_mov_b32_e32 v6, s10
	s_xor_b64 exec, exec, s[6:7]
	s_cbranch_execnz .LBB50_2496
.LBB50_446:
	s_or_b64 exec, exec, s[6:7]
	s_and_saveexec_b64 s[6:7], s[4:5]
	s_cbranch_execz .LBB50_448
.LBB50_447:
	v_bfe_u32 v6, v3, 24, 3
	v_ffbh_u32_e32 v12, v6
	v_min_u32_e32 v12, 32, v12
	v_lshrrev_b32_e32 v10, 27, v3
	v_subrev_u32_e32 v13, 28, v12
	v_and_b32_e32 v7, 0x80000000, v3
	v_and_b32_e32 v10, 15, v10
	v_bfe_u32 v11, v3, 27, 4
	v_lshlrev_b32_sdwa v3, v13, v3 dst_sel:DWORD dst_unused:UNUSED_PAD src0_sel:DWORD src1_sel:BYTE_3
	v_sub_u32_e32 v12, 29, v12
	v_and_b32_e32 v3, 7, v3
	v_cmp_eq_u16_e32 vcc, 0, v10
	v_cndmask_b32_e32 v3, v6, v3, vcc
	v_cndmask_b32_e32 v6, v11, v12, vcc
	v_mov_b32_e32 v10, 0x3b800000
	v_lshlrev_b32_e32 v3, 20, v3
	v_lshl_add_u32 v6, v6, 23, v10
	v_or3_b32 v6, v7, v6, v3
.LBB50_448:
	s_or_b64 exec, exec, s[6:7]
	s_nop 0
	v_mfma_f32_16x16x4f32 a[0:3], v2, v6, a[0:3]
	s_movk_i32 s4, 0x7f
	v_cmp_gt_i16_sdwa s[6:7], v8, s4 src0_sel:BYTE_0 src1_sel:DWORD
	s_mov_b64 s[4:5], 0
                                        ; implicit-def: $sgpr10
	s_and_saveexec_b64 s[8:9], s[6:7]
	s_xor_b64 s[6:7], exec, s[8:9]
	s_cbranch_execnz .LBB50_2497
; %bb.449:
	s_or_saveexec_b64 s[6:7], s[6:7]
	v_mov_b32_e32 v2, s10
	s_xor_b64 exec, exec, s[6:7]
	s_cbranch_execnz .LBB50_2500
.LBB50_450:
	s_or_b64 exec, exec, s[6:7]
	s_and_saveexec_b64 s[6:7], s[4:5]
	s_cbranch_execz .LBB50_452
.LBB50_451:
	v_and_b32_e32 v2, 7, v8
	v_ffbh_u32_e32 v6, v2
	v_min_u32_e32 v6, 32, v6
	v_lshrrev_b16_e32 v3, 3, v8
	v_subrev_u32_e32 v7, 28, v6
	v_and_b32_e32 v3, 15, v3
	v_lshlrev_b32_e32 v7, v7, v8
	v_sub_u32_e32 v6, 29, v6
	v_and_b32_e32 v7, 7, v7
	v_cmp_eq_u16_e32 vcc, 0, v3
	v_cndmask_b32_e32 v2, v2, v7, vcc
	v_cndmask_b32_e32 v3, v3, v6, vcc
	v_lshlrev_b32_e32 v6, 24, v8
	v_mov_b32_e32 v7, 0x3b800000
	v_lshlrev_b32_e32 v2, 20, v2
	v_and_b32_e32 v6, 0x80000000, v6
	v_lshl_add_u32 v3, v3, 23, v7
	v_or3_b32 v2, v6, v3, v2
.LBB50_452:
	s_or_b64 exec, exec, s[6:7]
	s_movk_i32 s4, 0x7f
	v_cmp_gt_i16_sdwa s[6:7], v4, s4 src0_sel:BYTE_0 src1_sel:DWORD
	s_mov_b64 s[4:5], 0
                                        ; implicit-def: $sgpr10
	s_and_saveexec_b64 s[8:9], s[6:7]
	s_xor_b64 s[6:7], exec, s[8:9]
	s_cbranch_execnz .LBB50_2501
; %bb.453:
	s_or_saveexec_b64 s[6:7], s[6:7]
	v_mov_b32_e32 v3, s10
	s_xor_b64 exec, exec, s[6:7]
	s_cbranch_execnz .LBB50_2504
.LBB50_454:
	s_or_b64 exec, exec, s[6:7]
	s_and_saveexec_b64 s[6:7], s[4:5]
	s_cbranch_execz .LBB50_456
.LBB50_455:
	v_and_b32_e32 v3, 7, v4
	v_ffbh_u32_e32 v7, v3
	v_min_u32_e32 v7, 32, v7
	v_lshrrev_b16_e32 v6, 3, v4
	v_subrev_u32_e32 v10, 28, v7
	v_and_b32_e32 v6, 15, v6
	v_lshlrev_b32_e32 v10, v10, v4
	v_sub_u32_e32 v7, 29, v7
	v_and_b32_e32 v10, 7, v10
	v_cmp_eq_u16_e32 vcc, 0, v6
	v_cndmask_b32_e32 v3, v3, v10, vcc
	v_cndmask_b32_e32 v6, v6, v7, vcc
	v_lshlrev_b32_e32 v7, 24, v4
	v_mov_b32_e32 v10, 0x3b800000
	v_lshlrev_b32_e32 v3, 20, v3
	v_and_b32_e32 v7, 0x80000000, v7
	v_lshl_add_u32 v6, v6, 23, v10
	v_or3_b32 v3, v7, v6, v3
.LBB50_456:
	s_or_b64 exec, exec, s[6:7]
	s_nop 0
	v_mfma_f32_16x16x4f32 a[0:3], v2, v3, a[0:3]
	v_lshrrev_b32_e32 v3, 8, v8
	s_movk_i32 s4, 0x7f
	v_cmp_gt_i16_sdwa s[6:7], v3, s4 src0_sel:BYTE_0 src1_sel:DWORD
	s_mov_b64 s[4:5], 0
                                        ; implicit-def: $sgpr10
	s_and_saveexec_b64 s[8:9], s[6:7]
	s_xor_b64 s[6:7], exec, s[8:9]
	s_cbranch_execnz .LBB50_2505
; %bb.457:
	s_or_saveexec_b64 s[6:7], s[6:7]
	v_mov_b32_e32 v2, s10
	s_xor_b64 exec, exec, s[6:7]
	s_cbranch_execnz .LBB50_2508
.LBB50_458:
	s_or_b64 exec, exec, s[6:7]
	s_and_saveexec_b64 s[6:7], s[4:5]
	s_cbranch_execz .LBB50_460
.LBB50_459:
	v_bfe_u32 v2, v8, 8, 3
	v_ffbh_u32_e32 v7, v2
	v_min_u32_e32 v7, 32, v7
	v_lshrrev_b16_e32 v6, 3, v3
	v_subrev_u32_e32 v10, 28, v7
	v_and_b32_e32 v6, 15, v6
	v_lshlrev_b32_e32 v3, v10, v3
	v_sub_u32_e32 v7, 29, v7
	v_and_b32_e32 v3, 7, v3
	v_cmp_eq_u16_e32 vcc, 0, v6
	v_cndmask_b32_e32 v2, v2, v3, vcc
	v_cndmask_b32_e32 v3, v6, v7, vcc
	v_lshlrev_b32_e32 v6, 16, v8
	v_mov_b32_e32 v7, 0x3b800000
	v_lshlrev_b32_e32 v2, 20, v2
	v_and_b32_e32 v6, 0x80000000, v6
	v_lshl_add_u32 v3, v3, 23, v7
	v_or3_b32 v2, v6, v3, v2
.LBB50_460:
	s_or_b64 exec, exec, s[6:7]
	v_lshrrev_b32_e32 v3, 8, v4
	s_movk_i32 s4, 0x7f
	v_cmp_gt_i16_sdwa s[6:7], v3, s4 src0_sel:BYTE_0 src1_sel:DWORD
	s_mov_b64 s[4:5], 0
                                        ; implicit-def: $sgpr10
	s_and_saveexec_b64 s[8:9], s[6:7]
	s_xor_b64 s[6:7], exec, s[8:9]
	s_cbranch_execnz .LBB50_2509
; %bb.461:
	s_or_saveexec_b64 s[6:7], s[6:7]
	v_mov_b32_e32 v6, s10
	s_xor_b64 exec, exec, s[6:7]
	s_cbranch_execnz .LBB50_2512
.LBB50_462:
	s_or_b64 exec, exec, s[6:7]
	s_and_saveexec_b64 s[6:7], s[4:5]
	s_cbranch_execz .LBB50_464
.LBB50_463:
	v_bfe_u32 v6, v4, 8, 3
	v_ffbh_u32_e32 v10, v6
	v_min_u32_e32 v10, 32, v10
	v_lshrrev_b16_e32 v7, 3, v3
	v_subrev_u32_e32 v11, 28, v10
	v_and_b32_e32 v7, 15, v7
	v_lshlrev_b32_e32 v3, v11, v3
	v_sub_u32_e32 v10, 29, v10
	v_and_b32_e32 v3, 7, v3
	v_cmp_eq_u16_e32 vcc, 0, v7
	v_cndmask_b32_e32 v3, v6, v3, vcc
	v_cndmask_b32_e32 v6, v7, v10, vcc
	v_lshlrev_b32_e32 v7, 16, v4
	v_mov_b32_e32 v10, 0x3b800000
	v_lshlrev_b32_e32 v3, 20, v3
	v_and_b32_e32 v7, 0x80000000, v7
	v_lshl_add_u32 v6, v6, 23, v10
	v_or3_b32 v6, v7, v6, v3
.LBB50_464:
	s_or_b64 exec, exec, s[6:7]
	s_nop 0
	v_mfma_f32_16x16x4f32 a[0:3], v2, v6, a[0:3]
	s_movk_i32 s4, 0xff
	v_and_b32_sdwa v3, v8, s4 dst_sel:DWORD dst_unused:UNUSED_PAD src0_sel:WORD_1 src1_sel:DWORD
	s_movk_i32 s4, 0x7f
	v_cmp_lt_i16_e32 vcc, s4, v3
	s_mov_b64 s[4:5], 0
                                        ; implicit-def: $sgpr10
	s_and_saveexec_b64 s[6:7], vcc
	s_xor_b64 s[6:7], exec, s[6:7]
	s_cbranch_execnz .LBB50_2513
; %bb.465:
	s_or_saveexec_b64 s[6:7], s[6:7]
	v_mov_b32_e32 v2, s10
	s_xor_b64 exec, exec, s[6:7]
	s_cbranch_execnz .LBB50_2516
.LBB50_466:
	s_or_b64 exec, exec, s[6:7]
	s_and_saveexec_b64 s[6:7], s[4:5]
	s_cbranch_execz .LBB50_468
.LBB50_467:
	v_bfe_u32 v2, v8, 16, 3
	v_ffbh_u32_e32 v7, v2
	v_min_u32_e32 v7, 32, v7
	v_lshrrev_b32_e32 v3, 19, v8
	v_subrev_u32_e32 v10, 28, v7
	v_and_b32_e32 v3, 15, v3
	v_lshlrev_b32_sdwa v10, v10, v8 dst_sel:DWORD dst_unused:UNUSED_PAD src0_sel:DWORD src1_sel:WORD_1
	v_bfe_u32 v6, v8, 19, 4
	v_sub_u32_e32 v7, 29, v7
	v_and_b32_e32 v10, 7, v10
	v_cmp_eq_u16_e32 vcc, 0, v3
	v_cndmask_b32_e32 v2, v2, v10, vcc
	v_cndmask_b32_e32 v3, v6, v7, vcc
	v_lshlrev_b32_e32 v6, 8, v8
	v_mov_b32_e32 v7, 0x3b800000
	v_lshlrev_b32_e32 v2, 20, v2
	v_and_b32_e32 v6, 0x80000000, v6
	v_lshl_add_u32 v3, v3, 23, v7
	v_or3_b32 v2, v6, v3, v2
.LBB50_468:
	s_or_b64 exec, exec, s[6:7]
	s_movk_i32 s4, 0xff
	v_and_b32_sdwa v3, v4, s4 dst_sel:DWORD dst_unused:UNUSED_PAD src0_sel:WORD_1 src1_sel:DWORD
	s_movk_i32 s4, 0x7f
	v_cmp_lt_i16_e32 vcc, s4, v3
	s_mov_b64 s[4:5], 0
                                        ; implicit-def: $sgpr10
	s_and_saveexec_b64 s[6:7], vcc
	s_xor_b64 s[6:7], exec, s[6:7]
	s_cbranch_execnz .LBB50_2517
; %bb.469:
	s_or_saveexec_b64 s[6:7], s[6:7]
	v_mov_b32_e32 v6, s10
	s_xor_b64 exec, exec, s[6:7]
	s_cbranch_execnz .LBB50_2520
.LBB50_470:
	s_or_b64 exec, exec, s[6:7]
	s_and_saveexec_b64 s[6:7], s[4:5]
	s_cbranch_execz .LBB50_472
.LBB50_471:
	v_bfe_u32 v3, v4, 16, 3
	v_ffbh_u32_e32 v10, v3
	v_min_u32_e32 v10, 32, v10
	v_lshrrev_b32_e32 v6, 19, v4
	v_subrev_u32_e32 v11, 28, v10
	v_and_b32_e32 v6, 15, v6
	v_lshlrev_b32_sdwa v11, v11, v4 dst_sel:DWORD dst_unused:UNUSED_PAD src0_sel:DWORD src1_sel:WORD_1
	v_bfe_u32 v7, v4, 19, 4
	v_sub_u32_e32 v10, 29, v10
	v_and_b32_e32 v11, 7, v11
	v_cmp_eq_u16_e32 vcc, 0, v6
	v_cndmask_b32_e32 v3, v3, v11, vcc
	v_cndmask_b32_e32 v6, v7, v10, vcc
	v_lshlrev_b32_e32 v7, 8, v4
	v_mov_b32_e32 v10, 0x3b800000
	v_lshlrev_b32_e32 v3, 20, v3
	v_and_b32_e32 v7, 0x80000000, v7
	v_lshl_add_u32 v6, v6, 23, v10
	v_or3_b32 v6, v7, v6, v3
.LBB50_472:
	s_or_b64 exec, exec, s[6:7]
	s_nop 0
	v_mfma_f32_16x16x4f32 a[0:3], v2, v6, a[0:3]
	s_movk_i32 s4, 0x7f
	v_cmp_gt_i16_sdwa s[6:7], v8, s4 src0_sel:BYTE_3 src1_sel:DWORD
	s_mov_b64 s[4:5], 0
                                        ; implicit-def: $sgpr10
	s_and_saveexec_b64 s[8:9], s[6:7]
	s_xor_b64 s[6:7], exec, s[8:9]
	s_cbranch_execnz .LBB50_2521
; %bb.473:
	s_or_saveexec_b64 s[6:7], s[6:7]
	v_mov_b32_e32 v2, s10
	s_xor_b64 exec, exec, s[6:7]
	s_cbranch_execnz .LBB50_2524
.LBB50_474:
	s_or_b64 exec, exec, s[6:7]
	s_and_saveexec_b64 s[6:7], s[4:5]
	s_cbranch_execz .LBB50_476
.LBB50_475:
	v_bfe_u32 v2, v8, 24, 3
	v_ffbh_u32_e32 v10, v2
	v_min_u32_e32 v10, 32, v10
	v_lshrrev_b32_e32 v6, 27, v8
	v_subrev_u32_e32 v11, 28, v10
	v_and_b32_e32 v3, 0x80000000, v8
	v_and_b32_e32 v6, 15, v6
	v_bfe_u32 v7, v8, 27, 4
	v_lshlrev_b32_sdwa v8, v11, v8 dst_sel:DWORD dst_unused:UNUSED_PAD src0_sel:DWORD src1_sel:BYTE_3
	v_sub_u32_e32 v10, 29, v10
	v_and_b32_e32 v8, 7, v8
	v_cmp_eq_u16_e32 vcc, 0, v6
	v_cndmask_b32_e32 v2, v2, v8, vcc
	v_cndmask_b32_e32 v6, v7, v10, vcc
	v_mov_b32_e32 v7, 0x3b800000
	v_lshlrev_b32_e32 v2, 20, v2
	v_lshl_add_u32 v6, v6, 23, v7
	v_or3_b32 v2, v3, v6, v2
.LBB50_476:
	s_or_b64 exec, exec, s[6:7]
	s_movk_i32 s4, 0x7f
	v_cmp_gt_i16_sdwa s[6:7], v4, s4 src0_sel:BYTE_3 src1_sel:DWORD
	s_mov_b64 s[4:5], 0
                                        ; implicit-def: $sgpr10
	s_and_saveexec_b64 s[8:9], s[6:7]
	s_xor_b64 s[6:7], exec, s[8:9]
	s_cbranch_execnz .LBB50_2525
; %bb.477:
	s_or_saveexec_b64 s[6:7], s[6:7]
	v_mov_b32_e32 v3, s10
	s_xor_b64 exec, exec, s[6:7]
	s_cbranch_execnz .LBB50_2528
.LBB50_478:
	s_or_b64 exec, exec, s[6:7]
	s_and_saveexec_b64 s[6:7], s[4:5]
	s_cbranch_execz .LBB50_480
.LBB50_479:
	v_bfe_u32 v3, v4, 24, 3
	v_ffbh_u32_e32 v10, v3
	v_min_u32_e32 v10, 32, v10
	v_lshrrev_b32_e32 v7, 27, v4
	v_subrev_u32_e32 v11, 28, v10
	v_and_b32_e32 v6, 0x80000000, v4
	v_and_b32_e32 v7, 15, v7
	v_bfe_u32 v8, v4, 27, 4
	v_lshlrev_b32_sdwa v4, v11, v4 dst_sel:DWORD dst_unused:UNUSED_PAD src0_sel:DWORD src1_sel:BYTE_3
	v_sub_u32_e32 v10, 29, v10
	v_and_b32_e32 v4, 7, v4
	v_cmp_eq_u16_e32 vcc, 0, v7
	v_cndmask_b32_e32 v3, v3, v4, vcc
	v_cndmask_b32_e32 v4, v8, v10, vcc
	v_mov_b32_e32 v7, 0x3b800000
	v_lshlrev_b32_e32 v3, 20, v3
	v_lshl_add_u32 v4, v4, 23, v7
	v_or3_b32 v3, v6, v4, v3
.LBB50_480:
	s_or_b64 exec, exec, s[6:7]
	s_nop 0
	v_mfma_f32_16x16x4f32 a[0:3], v2, v3, a[0:3]
	s_movk_i32 s4, 0x7f
	v_cmp_gt_i16_sdwa s[6:7], v9, s4 src0_sel:BYTE_0 src1_sel:DWORD
	s_mov_b64 s[4:5], 0
                                        ; implicit-def: $sgpr10
	s_and_saveexec_b64 s[8:9], s[6:7]
	s_xor_b64 s[6:7], exec, s[8:9]
	s_cbranch_execnz .LBB50_2529
; %bb.481:
	s_or_saveexec_b64 s[6:7], s[6:7]
	v_mov_b32_e32 v2, s10
	s_xor_b64 exec, exec, s[6:7]
	s_cbranch_execnz .LBB50_2532
.LBB50_482:
	s_or_b64 exec, exec, s[6:7]
	s_and_saveexec_b64 s[6:7], s[4:5]
	s_cbranch_execz .LBB50_484
.LBB50_483:
	v_mov_b32_e32 v2, 8
	v_and_b32_e32 v3, 7, v9
	v_lshrrev_b32_sdwa v2, v2, v9 dst_sel:BYTE_1 dst_unused:UNUSED_PAD src0_sel:DWORD src1_sel:DWORD
	v_ffbh_u32_e32 v4, v3
	v_or_b32_sdwa v2, v9, v2 dst_sel:DWORD dst_unused:UNUSED_PAD src0_sel:BYTE_0 src1_sel:DWORD
	v_min_u32_e32 v4, 32, v4
	v_lshrrev_b16_e32 v2, 3, v2
	v_subrev_u32_e32 v6, 28, v4
	v_and_b32_e32 v2, 15, v2
	v_lshlrev_b32_e32 v6, v6, v9
	v_sub_u32_e32 v4, 29, v4
	v_and_b32_e32 v6, 7, v6
	v_cmp_eq_u16_e32 vcc, 0, v2
	v_cndmask_b32_e32 v3, v3, v6, vcc
	v_cndmask_b32_e32 v2, v2, v4, vcc
	v_lshlrev_b32_e32 v4, 24, v9
	v_mov_b32_e32 v6, 0x3b800000
	v_lshlrev_b32_e32 v3, 20, v3
	v_and_b32_e32 v4, 0x80000000, v4
	v_lshl_add_u32 v2, v2, 23, v6
	v_or3_b32 v2, v4, v2, v3
.LBB50_484:
	s_or_b64 exec, exec, s[6:7]
	s_movk_i32 s4, 0x7f
	v_cmp_gt_i16_sdwa s[6:7], v5, s4 src0_sel:BYTE_0 src1_sel:DWORD
	s_mov_b64 s[4:5], 0
                                        ; implicit-def: $sgpr10
	s_and_saveexec_b64 s[8:9], s[6:7]
	s_xor_b64 s[6:7], exec, s[8:9]
	s_cbranch_execnz .LBB50_2533
; %bb.485:
	s_or_saveexec_b64 s[6:7], s[6:7]
	v_mov_b32_e32 v3, s10
	s_xor_b64 exec, exec, s[6:7]
	s_cbranch_execnz .LBB50_2536
.LBB50_486:
	s_or_b64 exec, exec, s[6:7]
	s_and_saveexec_b64 s[6:7], s[4:5]
	s_cbranch_execz .LBB50_488
.LBB50_487:
	v_mov_b32_e32 v3, 8
	v_and_b32_e32 v4, 7, v5
	v_lshrrev_b32_sdwa v3, v3, v5 dst_sel:BYTE_1 dst_unused:UNUSED_PAD src0_sel:DWORD src1_sel:DWORD
	v_ffbh_u32_e32 v6, v4
	v_or_b32_sdwa v3, v5, v3 dst_sel:DWORD dst_unused:UNUSED_PAD src0_sel:BYTE_0 src1_sel:DWORD
	v_min_u32_e32 v6, 32, v6
	v_lshrrev_b16_e32 v3, 3, v3
	v_subrev_u32_e32 v7, 28, v6
	v_and_b32_e32 v3, 15, v3
	v_lshlrev_b32_e32 v7, v7, v5
	v_sub_u32_e32 v6, 29, v6
	v_and_b32_e32 v7, 7, v7
	v_cmp_eq_u16_e32 vcc, 0, v3
	v_cndmask_b32_e32 v4, v4, v7, vcc
	v_cndmask_b32_e32 v3, v3, v6, vcc
	v_lshlrev_b32_e32 v6, 24, v5
	v_mov_b32_e32 v7, 0x3b800000
	v_lshlrev_b32_e32 v4, 20, v4
	v_and_b32_e32 v6, 0x80000000, v6
	v_lshl_add_u32 v3, v3, 23, v7
	v_or3_b32 v3, v6, v3, v4
.LBB50_488:
	s_or_b64 exec, exec, s[6:7]
	s_nop 0
	v_mfma_f32_16x16x4f32 a[0:3], v2, v3, a[0:3]
	v_lshrrev_b32_e32 v3, 8, v9
	s_movk_i32 s4, 0x7f
	v_cmp_gt_i16_sdwa s[6:7], v3, s4 src0_sel:BYTE_0 src1_sel:DWORD
	s_mov_b64 s[4:5], 0
                                        ; implicit-def: $sgpr10
	s_and_saveexec_b64 s[8:9], s[6:7]
	s_xor_b64 s[6:7], exec, s[8:9]
	s_cbranch_execnz .LBB50_2537
; %bb.489:
	s_or_saveexec_b64 s[6:7], s[6:7]
	v_mov_b32_e32 v2, s10
	s_xor_b64 exec, exec, s[6:7]
	s_cbranch_execnz .LBB50_2540
.LBB50_490:
	s_or_b64 exec, exec, s[6:7]
	s_and_saveexec_b64 s[6:7], s[4:5]
	s_cbranch_execz .LBB50_492
.LBB50_491:
	v_bfe_u32 v2, v9, 8, 3
	v_ffbh_u32_e32 v6, v2
	v_min_u32_e32 v6, 32, v6
	v_lshrrev_b16_e32 v4, 3, v3
	v_subrev_u32_e32 v7, 28, v6
	v_and_b32_e32 v4, 15, v4
	v_lshlrev_b32_e32 v3, v7, v3
	v_sub_u32_e32 v6, 29, v6
	v_and_b32_e32 v3, 7, v3
	v_cmp_eq_u16_e32 vcc, 0, v4
	v_cndmask_b32_e32 v2, v2, v3, vcc
	v_cndmask_b32_e32 v3, v4, v6, vcc
	v_lshlrev_b32_e32 v4, 16, v9
	v_mov_b32_e32 v6, 0x3b800000
	v_lshlrev_b32_e32 v2, 20, v2
	v_and_b32_e32 v4, 0x80000000, v4
	v_lshl_add_u32 v3, v3, 23, v6
	v_or3_b32 v2, v4, v3, v2
.LBB50_492:
	s_or_b64 exec, exec, s[6:7]
	v_lshrrev_b32_e32 v3, 8, v5
	s_movk_i32 s4, 0x7f
	v_cmp_gt_i16_sdwa s[6:7], v3, s4 src0_sel:BYTE_0 src1_sel:DWORD
	s_mov_b64 s[4:5], 0
                                        ; implicit-def: $sgpr10
	s_and_saveexec_b64 s[8:9], s[6:7]
	s_xor_b64 s[6:7], exec, s[8:9]
	s_cbranch_execnz .LBB50_2541
; %bb.493:
	s_or_saveexec_b64 s[6:7], s[6:7]
	v_mov_b32_e32 v4, s10
	s_xor_b64 exec, exec, s[6:7]
	s_cbranch_execnz .LBB50_2544
.LBB50_494:
	s_or_b64 exec, exec, s[6:7]
	s_and_saveexec_b64 s[6:7], s[4:5]
	s_cbranch_execz .LBB50_496
.LBB50_495:
	v_bfe_u32 v4, v5, 8, 3
	v_ffbh_u32_e32 v7, v4
	v_min_u32_e32 v7, 32, v7
	v_lshrrev_b16_e32 v6, 3, v3
	v_subrev_u32_e32 v8, 28, v7
	v_and_b32_e32 v6, 15, v6
	v_lshlrev_b32_e32 v3, v8, v3
	v_sub_u32_e32 v7, 29, v7
	v_and_b32_e32 v3, 7, v3
	v_cmp_eq_u16_e32 vcc, 0, v6
	v_cndmask_b32_e32 v3, v4, v3, vcc
	v_cndmask_b32_e32 v4, v6, v7, vcc
	v_lshlrev_b32_e32 v6, 16, v5
	v_mov_b32_e32 v7, 0x3b800000
	v_lshlrev_b32_e32 v3, 20, v3
	v_and_b32_e32 v6, 0x80000000, v6
	v_lshl_add_u32 v4, v4, 23, v7
	v_or3_b32 v4, v6, v4, v3
.LBB50_496:
	s_or_b64 exec, exec, s[6:7]
	s_nop 0
	v_mfma_f32_16x16x4f32 a[0:3], v2, v4, a[0:3]
	s_movk_i32 s4, 0xff
	v_and_b32_sdwa v3, v9, s4 dst_sel:DWORD dst_unused:UNUSED_PAD src0_sel:WORD_1 src1_sel:DWORD
	s_movk_i32 s4, 0x7f
	v_cmp_lt_i16_e32 vcc, s4, v3
	s_mov_b64 s[4:5], 0
                                        ; implicit-def: $sgpr10
	s_and_saveexec_b64 s[6:7], vcc
	s_xor_b64 s[6:7], exec, s[6:7]
	s_cbranch_execnz .LBB50_2545
; %bb.497:
	s_or_saveexec_b64 s[6:7], s[6:7]
	v_mov_b32_e32 v2, s10
	s_xor_b64 exec, exec, s[6:7]
	s_cbranch_execnz .LBB50_2548
.LBB50_498:
	s_or_b64 exec, exec, s[6:7]
	s_and_saveexec_b64 s[6:7], s[4:5]
	s_cbranch_execz .LBB50_500
.LBB50_499:
	v_bfe_u32 v2, v9, 16, 3
	v_ffbh_u32_e32 v6, v2
	v_min_u32_e32 v6, 32, v6
	v_lshrrev_b32_e32 v3, 19, v9
	v_subrev_u32_e32 v7, 28, v6
	v_and_b32_e32 v3, 15, v3
	v_lshlrev_b32_sdwa v7, v7, v9 dst_sel:DWORD dst_unused:UNUSED_PAD src0_sel:DWORD src1_sel:WORD_1
	v_bfe_u32 v4, v9, 19, 4
	v_sub_u32_e32 v6, 29, v6
	v_and_b32_e32 v7, 7, v7
	v_cmp_eq_u16_e32 vcc, 0, v3
	v_cndmask_b32_e32 v2, v2, v7, vcc
	v_cndmask_b32_e32 v3, v4, v6, vcc
	v_lshlrev_b32_e32 v4, 8, v9
	v_mov_b32_e32 v6, 0x3b800000
	v_lshlrev_b32_e32 v2, 20, v2
	v_and_b32_e32 v4, 0x80000000, v4
	v_lshl_add_u32 v3, v3, 23, v6
	v_or3_b32 v2, v4, v3, v2
.LBB50_500:
	s_or_b64 exec, exec, s[6:7]
	s_movk_i32 s4, 0xff
	v_and_b32_sdwa v3, v5, s4 dst_sel:DWORD dst_unused:UNUSED_PAD src0_sel:WORD_1 src1_sel:DWORD
	s_movk_i32 s4, 0x7f
	v_cmp_lt_i16_e32 vcc, s4, v3
	s_mov_b64 s[4:5], 0
                                        ; implicit-def: $sgpr10
	s_and_saveexec_b64 s[6:7], vcc
	s_xor_b64 s[6:7], exec, s[6:7]
	s_cbranch_execnz .LBB50_2549
; %bb.501:
	s_or_saveexec_b64 s[6:7], s[6:7]
	v_mov_b32_e32 v4, s10
	s_xor_b64 exec, exec, s[6:7]
	s_cbranch_execnz .LBB50_2552
.LBB50_502:
	s_or_b64 exec, exec, s[6:7]
	s_and_saveexec_b64 s[6:7], s[4:5]
	s_cbranch_execz .LBB50_504
.LBB50_503:
	v_bfe_u32 v3, v5, 16, 3
	v_ffbh_u32_e32 v7, v3
	v_min_u32_e32 v7, 32, v7
	v_lshrrev_b32_e32 v4, 19, v5
	v_subrev_u32_e32 v8, 28, v7
	v_and_b32_e32 v4, 15, v4
	v_lshlrev_b32_sdwa v8, v8, v5 dst_sel:DWORD dst_unused:UNUSED_PAD src0_sel:DWORD src1_sel:WORD_1
	v_bfe_u32 v6, v5, 19, 4
	v_sub_u32_e32 v7, 29, v7
	v_and_b32_e32 v8, 7, v8
	v_cmp_eq_u16_e32 vcc, 0, v4
	v_cndmask_b32_e32 v3, v3, v8, vcc
	v_cndmask_b32_e32 v4, v6, v7, vcc
	v_lshlrev_b32_e32 v6, 8, v5
	v_mov_b32_e32 v7, 0x3b800000
	v_lshlrev_b32_e32 v3, 20, v3
	v_and_b32_e32 v6, 0x80000000, v6
	v_lshl_add_u32 v4, v4, 23, v7
	v_or3_b32 v4, v6, v4, v3
.LBB50_504:
	s_or_b64 exec, exec, s[6:7]
	s_nop 0
	v_mfma_f32_16x16x4f32 a[0:3], v2, v4, a[0:3]
	s_movk_i32 s4, 0x7f
	v_cmp_gt_i16_sdwa s[6:7], v9, s4 src0_sel:BYTE_3 src1_sel:DWORD
	s_mov_b64 s[4:5], 0
                                        ; implicit-def: $sgpr10
	s_and_saveexec_b64 s[8:9], s[6:7]
	s_xor_b64 s[6:7], exec, s[8:9]
	s_cbranch_execnz .LBB50_2553
; %bb.505:
	s_or_saveexec_b64 s[6:7], s[6:7]
	v_mov_b32_e32 v2, s10
	s_xor_b64 exec, exec, s[6:7]
	s_cbranch_execnz .LBB50_2556
.LBB50_506:
	s_or_b64 exec, exec, s[6:7]
	s_and_saveexec_b64 s[6:7], s[4:5]
	s_cbranch_execz .LBB50_508
.LBB50_507:
	v_bfe_u32 v2, v9, 24, 3
	v_ffbh_u32_e32 v7, v2
	v_min_u32_e32 v7, 32, v7
	v_lshrrev_b32_e32 v4, 27, v9
	v_subrev_u32_e32 v8, 28, v7
	v_and_b32_e32 v4, 15, v4
	v_lshlrev_b32_sdwa v8, v8, v9 dst_sel:DWORD dst_unused:UNUSED_PAD src0_sel:DWORD src1_sel:BYTE_3
	v_bfe_u32 v6, v9, 27, 4
	v_sub_u32_e32 v7, 29, v7
	v_and_b32_e32 v8, 7, v8
	v_cmp_eq_u16_e32 vcc, 0, v4
	v_cndmask_b32_e32 v2, v2, v8, vcc
	v_cndmask_b32_e32 v4, v6, v7, vcc
	v_mov_b32_e32 v6, 0x3b800000
	v_and_b32_e32 v3, 0x80000000, v9
	v_lshlrev_b32_e32 v2, 20, v2
	v_lshl_add_u32 v4, v4, 23, v6
	v_or3_b32 v2, v3, v4, v2
.LBB50_508:
	s_or_b64 exec, exec, s[6:7]
	s_movk_i32 s4, 0x7f
	v_cmp_gt_i16_sdwa s[6:7], v5, s4 src0_sel:BYTE_3 src1_sel:DWORD
	s_mov_b64 s[4:5], 0
                                        ; implicit-def: $sgpr10
	s_and_saveexec_b64 s[8:9], s[6:7]
	s_xor_b64 s[6:7], exec, s[8:9]
	s_cbranch_execnz .LBB50_2557
; %bb.509:
	s_or_saveexec_b64 s[6:7], s[6:7]
	v_mov_b32_e32 v3, s10
	s_xor_b64 exec, exec, s[6:7]
	s_cbranch_execnz .LBB50_2560
.LBB50_510:
	s_or_b64 exec, exec, s[6:7]
	s_and_saveexec_b64 s[6:7], s[4:5]
	s_cbranch_execz .LBB50_512
.LBB50_511:
	v_bfe_u32 v3, v5, 24, 3
	v_ffbh_u32_e32 v8, v3
	v_min_u32_e32 v8, 32, v8
	v_lshrrev_b32_e32 v6, 27, v5
	v_subrev_u32_e32 v9, 28, v8
	v_and_b32_e32 v4, 0x80000000, v5
	v_and_b32_e32 v6, 15, v6
	v_bfe_u32 v7, v5, 27, 4
	v_lshlrev_b32_sdwa v5, v9, v5 dst_sel:DWORD dst_unused:UNUSED_PAD src0_sel:DWORD src1_sel:BYTE_3
	v_sub_u32_e32 v8, 29, v8
	v_and_b32_e32 v5, 7, v5
	v_cmp_eq_u16_e32 vcc, 0, v6
	v_cndmask_b32_e32 v3, v3, v5, vcc
	v_cndmask_b32_e32 v5, v7, v8, vcc
	v_mov_b32_e32 v6, 0x3b800000
	v_lshlrev_b32_e32 v3, 20, v3
	v_lshl_add_u32 v5, v5, 23, v6
	v_or3_b32 v3, v4, v5, v3
.LBB50_512:
	s_or_b64 exec, exec, s[6:7]
	s_nop 0
	v_mfma_f32_16x16x4f32 a[0:3], v2, v3, a[0:3]
	s_movk_i32 s4, 0x7f
                                        ; implicit-def: $sgpr10
	s_nop 7
	s_nop 1
	flat_store_dwordx4 v[18:19], a[0:3] offset:784
	flat_load_dwordx4 v[20:23], v[0:1] offset:8
	s_nop 0
	flat_load_dwordx2 v[18:19], v[0:1] offset:24
	s_waitcnt vmcnt(0) lgkmcnt(0)
	flat_load_dwordx4 v[14:17], v[20:21]
	flat_load_dwordx4 v[6:9], v[20:21] offset:16
	flat_load_dwordx4 v[10:13], v[22:23] offset:64
	;; [unrolled: 1-line block ×3, first 2 shown]
	s_waitcnt vmcnt(0) lgkmcnt(0)
	v_cmp_gt_i16_sdwa s[6:7], v14, s4 src0_sel:BYTE_0 src1_sel:DWORD
	s_mov_b64 s[4:5], 0
	s_and_saveexec_b64 s[8:9], s[6:7]
	s_xor_b64 s[6:7], exec, s[8:9]
	s_cbranch_execnz .LBB50_2561
; %bb.513:
	s_or_saveexec_b64 s[6:7], s[6:7]
	v_mov_b32_e32 v20, s10
	s_xor_b64 exec, exec, s[6:7]
	s_cbranch_execnz .LBB50_2564
.LBB50_514:
	s_or_b64 exec, exec, s[6:7]
	s_and_saveexec_b64 s[6:7], s[4:5]
	s_cbranch_execz .LBB50_516
.LBB50_515:
	v_and_b32_e32 v20, 7, v14
	v_ffbh_u32_e32 v22, v20
	v_min_u32_e32 v22, 32, v22
	v_lshrrev_b16_e32 v21, 3, v14
	v_subrev_u32_e32 v23, 28, v22
	v_and_b32_e32 v21, 15, v21
	v_lshlrev_b32_e32 v23, v23, v14
	v_sub_u32_e32 v22, 29, v22
	v_and_b32_e32 v23, 7, v23
	v_cmp_eq_u16_e32 vcc, 0, v21
	v_cndmask_b32_e32 v20, v20, v23, vcc
	v_cndmask_b32_e32 v21, v21, v22, vcc
	v_lshlrev_b32_e32 v22, 24, v14
	v_mov_b32_e32 v23, 0x3b800000
	v_lshlrev_b32_e32 v20, 20, v20
	v_and_b32_e32 v22, 0x80000000, v22
	v_lshl_add_u32 v21, v21, 23, v23
	v_or3_b32 v20, v22, v21, v20
.LBB50_516:
	s_or_b64 exec, exec, s[6:7]
	s_movk_i32 s4, 0x7f
	v_cmp_gt_i16_sdwa s[6:7], v10, s4 src0_sel:BYTE_0 src1_sel:DWORD
	s_mov_b64 s[4:5], 0
                                        ; implicit-def: $sgpr10
	s_and_saveexec_b64 s[8:9], s[6:7]
	s_xor_b64 s[6:7], exec, s[8:9]
	s_cbranch_execnz .LBB50_2565
; %bb.517:
	s_or_saveexec_b64 s[6:7], s[6:7]
	v_mov_b32_e32 v21, s10
	s_xor_b64 exec, exec, s[6:7]
	s_cbranch_execnz .LBB50_2568
.LBB50_518:
	s_or_b64 exec, exec, s[6:7]
	s_and_saveexec_b64 s[6:7], s[4:5]
	s_cbranch_execz .LBB50_520
.LBB50_519:
	v_and_b32_e32 v21, 7, v10
	v_ffbh_u32_e32 v23, v21
	v_min_u32_e32 v23, 32, v23
	v_lshrrev_b16_e32 v22, 3, v10
	v_subrev_u32_e32 v24, 28, v23
	v_and_b32_e32 v22, 15, v22
	v_lshlrev_b32_e32 v24, v24, v10
	v_sub_u32_e32 v23, 29, v23
	v_and_b32_e32 v24, 7, v24
	v_cmp_eq_u16_e32 vcc, 0, v22
	v_cndmask_b32_e32 v21, v21, v24, vcc
	v_cndmask_b32_e32 v22, v22, v23, vcc
	v_lshlrev_b32_e32 v23, 24, v10
	v_mov_b32_e32 v24, 0x3b800000
	v_lshlrev_b32_e32 v21, 20, v21
	v_and_b32_e32 v23, 0x80000000, v23
	v_lshl_add_u32 v22, v22, 23, v24
	v_or3_b32 v21, v23, v22, v21
.LBB50_520:
	s_or_b64 exec, exec, s[6:7]
	flat_load_dwordx4 a[0:3], v[18:19] offset:800
	s_movk_i32 s4, 0x7f
                                        ; implicit-def: $sgpr10
	s_waitcnt vmcnt(0) lgkmcnt(0)
	v_mfma_f32_16x16x4f32 a[0:3], v20, v21, a[0:3]
	v_lshrrev_b32_e32 v21, 8, v14
	v_cmp_gt_i16_sdwa s[6:7], v21, s4 src0_sel:BYTE_0 src1_sel:DWORD
	s_mov_b64 s[4:5], 0
	s_and_saveexec_b64 s[8:9], s[6:7]
	s_xor_b64 s[6:7], exec, s[8:9]
	s_cbranch_execnz .LBB50_2569
; %bb.521:
	s_or_saveexec_b64 s[6:7], s[6:7]
	v_mov_b32_e32 v20, s10
	s_xor_b64 exec, exec, s[6:7]
	s_cbranch_execnz .LBB50_2572
.LBB50_522:
	s_or_b64 exec, exec, s[6:7]
	s_and_saveexec_b64 s[6:7], s[4:5]
	s_cbranch_execz .LBB50_524
.LBB50_523:
	v_bfe_u32 v20, v14, 8, 3
	v_ffbh_u32_e32 v23, v20
	v_min_u32_e32 v23, 32, v23
	v_lshrrev_b16_e32 v22, 3, v21
	v_subrev_u32_e32 v24, 28, v23
	v_and_b32_e32 v22, 15, v22
	v_lshlrev_b32_e32 v21, v24, v21
	v_sub_u32_e32 v23, 29, v23
	v_and_b32_e32 v21, 7, v21
	v_cmp_eq_u16_e32 vcc, 0, v22
	v_cndmask_b32_e32 v20, v20, v21, vcc
	v_cndmask_b32_e32 v21, v22, v23, vcc
	v_lshlrev_b32_e32 v22, 16, v14
	v_mov_b32_e32 v23, 0x3b800000
	v_lshlrev_b32_e32 v20, 20, v20
	v_and_b32_e32 v22, 0x80000000, v22
	v_lshl_add_u32 v21, v21, 23, v23
	v_or3_b32 v20, v22, v21, v20
.LBB50_524:
	s_or_b64 exec, exec, s[6:7]
	v_lshrrev_b32_e32 v21, 8, v10
	s_movk_i32 s4, 0x7f
	v_cmp_gt_i16_sdwa s[6:7], v21, s4 src0_sel:BYTE_0 src1_sel:DWORD
	s_mov_b64 s[4:5], 0
                                        ; implicit-def: $sgpr10
	s_and_saveexec_b64 s[8:9], s[6:7]
	s_xor_b64 s[6:7], exec, s[8:9]
	s_cbranch_execnz .LBB50_2573
; %bb.525:
	s_or_saveexec_b64 s[6:7], s[6:7]
	v_mov_b32_e32 v22, s10
	s_xor_b64 exec, exec, s[6:7]
	s_cbranch_execnz .LBB50_2576
.LBB50_526:
	s_or_b64 exec, exec, s[6:7]
	s_and_saveexec_b64 s[6:7], s[4:5]
	s_cbranch_execz .LBB50_528
.LBB50_527:
	v_bfe_u32 v22, v10, 8, 3
	v_ffbh_u32_e32 v24, v22
	v_min_u32_e32 v24, 32, v24
	v_lshrrev_b16_e32 v23, 3, v21
	v_subrev_u32_e32 v25, 28, v24
	v_and_b32_e32 v23, 15, v23
	v_lshlrev_b32_e32 v21, v25, v21
	v_sub_u32_e32 v24, 29, v24
	v_and_b32_e32 v21, 7, v21
	v_cmp_eq_u16_e32 vcc, 0, v23
	v_cndmask_b32_e32 v21, v22, v21, vcc
	v_cndmask_b32_e32 v22, v23, v24, vcc
	v_lshlrev_b32_e32 v23, 16, v10
	v_mov_b32_e32 v24, 0x3b800000
	v_lshlrev_b32_e32 v21, 20, v21
	v_and_b32_e32 v23, 0x80000000, v23
	v_lshl_add_u32 v22, v22, 23, v24
	v_or3_b32 v22, v23, v22, v21
.LBB50_528:
	s_or_b64 exec, exec, s[6:7]
	s_nop 0
	v_mfma_f32_16x16x4f32 a[0:3], v20, v22, a[0:3]
	s_movk_i32 s4, 0xff
	v_and_b32_sdwa v21, v14, s4 dst_sel:DWORD dst_unused:UNUSED_PAD src0_sel:WORD_1 src1_sel:DWORD
	s_movk_i32 s4, 0x7f
	v_cmp_lt_i16_e32 vcc, s4, v21
	s_mov_b64 s[4:5], 0
                                        ; implicit-def: $sgpr10
	s_and_saveexec_b64 s[6:7], vcc
	s_xor_b64 s[6:7], exec, s[6:7]
	s_cbranch_execnz .LBB50_2577
; %bb.529:
	s_or_saveexec_b64 s[6:7], s[6:7]
	v_mov_b32_e32 v20, s10
	s_xor_b64 exec, exec, s[6:7]
	s_cbranch_execnz .LBB50_2580
.LBB50_530:
	s_or_b64 exec, exec, s[6:7]
	s_and_saveexec_b64 s[6:7], s[4:5]
	s_cbranch_execz .LBB50_532
.LBB50_531:
	v_bfe_u32 v20, v14, 16, 3
	v_ffbh_u32_e32 v23, v20
	v_min_u32_e32 v23, 32, v23
	v_lshrrev_b32_e32 v21, 19, v14
	v_subrev_u32_e32 v24, 28, v23
	v_and_b32_e32 v21, 15, v21
	v_lshlrev_b32_sdwa v24, v24, v14 dst_sel:DWORD dst_unused:UNUSED_PAD src0_sel:DWORD src1_sel:WORD_1
	v_bfe_u32 v22, v14, 19, 4
	v_sub_u32_e32 v23, 29, v23
	v_and_b32_e32 v24, 7, v24
	v_cmp_eq_u16_e32 vcc, 0, v21
	v_cndmask_b32_e32 v20, v20, v24, vcc
	v_cndmask_b32_e32 v21, v22, v23, vcc
	v_lshlrev_b32_e32 v22, 8, v14
	v_mov_b32_e32 v23, 0x3b800000
	v_lshlrev_b32_e32 v20, 20, v20
	v_and_b32_e32 v22, 0x80000000, v22
	v_lshl_add_u32 v21, v21, 23, v23
	v_or3_b32 v20, v22, v21, v20
.LBB50_532:
	s_or_b64 exec, exec, s[6:7]
	s_movk_i32 s4, 0xff
	v_and_b32_sdwa v21, v10, s4 dst_sel:DWORD dst_unused:UNUSED_PAD src0_sel:WORD_1 src1_sel:DWORD
	s_movk_i32 s4, 0x7f
	v_cmp_lt_i16_e32 vcc, s4, v21
	s_mov_b64 s[4:5], 0
                                        ; implicit-def: $sgpr10
	s_and_saveexec_b64 s[6:7], vcc
	s_xor_b64 s[6:7], exec, s[6:7]
	s_cbranch_execnz .LBB50_2581
; %bb.533:
	s_or_saveexec_b64 s[6:7], s[6:7]
	v_mov_b32_e32 v22, s10
	s_xor_b64 exec, exec, s[6:7]
	s_cbranch_execnz .LBB50_2584
.LBB50_534:
	s_or_b64 exec, exec, s[6:7]
	s_and_saveexec_b64 s[6:7], s[4:5]
	s_cbranch_execz .LBB50_536
.LBB50_535:
	v_bfe_u32 v21, v10, 16, 3
	v_ffbh_u32_e32 v24, v21
	v_min_u32_e32 v24, 32, v24
	v_lshrrev_b32_e32 v22, 19, v10
	v_subrev_u32_e32 v25, 28, v24
	v_and_b32_e32 v22, 15, v22
	v_lshlrev_b32_sdwa v25, v25, v10 dst_sel:DWORD dst_unused:UNUSED_PAD src0_sel:DWORD src1_sel:WORD_1
	v_bfe_u32 v23, v10, 19, 4
	v_sub_u32_e32 v24, 29, v24
	v_and_b32_e32 v25, 7, v25
	v_cmp_eq_u16_e32 vcc, 0, v22
	v_cndmask_b32_e32 v21, v21, v25, vcc
	v_cndmask_b32_e32 v22, v23, v24, vcc
	v_lshlrev_b32_e32 v23, 8, v10
	v_mov_b32_e32 v24, 0x3b800000
	v_lshlrev_b32_e32 v21, 20, v21
	v_and_b32_e32 v23, 0x80000000, v23
	v_lshl_add_u32 v22, v22, 23, v24
	v_or3_b32 v22, v23, v22, v21
.LBB50_536:
	s_or_b64 exec, exec, s[6:7]
	s_nop 0
	v_mfma_f32_16x16x4f32 a[0:3], v20, v22, a[0:3]
	s_movk_i32 s4, 0x7f
	v_cmp_gt_i16_sdwa s[6:7], v14, s4 src0_sel:BYTE_3 src1_sel:DWORD
	s_mov_b64 s[4:5], 0
                                        ; implicit-def: $sgpr10
	s_and_saveexec_b64 s[8:9], s[6:7]
	s_xor_b64 s[6:7], exec, s[8:9]
	s_cbranch_execnz .LBB50_2585
; %bb.537:
	s_or_saveexec_b64 s[6:7], s[6:7]
	v_mov_b32_e32 v20, s10
	s_xor_b64 exec, exec, s[6:7]
	s_cbranch_execnz .LBB50_2588
.LBB50_538:
	s_or_b64 exec, exec, s[6:7]
	s_and_saveexec_b64 s[6:7], s[4:5]
	s_cbranch_execz .LBB50_540
.LBB50_539:
	v_bfe_u32 v20, v14, 24, 3
	v_ffbh_u32_e32 v24, v20
	v_min_u32_e32 v24, 32, v24
	v_lshrrev_b32_e32 v22, 27, v14
	v_subrev_u32_e32 v25, 28, v24
	v_and_b32_e32 v21, 0x80000000, v14
	v_and_b32_e32 v22, 15, v22
	v_bfe_u32 v23, v14, 27, 4
	v_lshlrev_b32_sdwa v14, v25, v14 dst_sel:DWORD dst_unused:UNUSED_PAD src0_sel:DWORD src1_sel:BYTE_3
	v_sub_u32_e32 v24, 29, v24
	v_and_b32_e32 v14, 7, v14
	v_cmp_eq_u16_e32 vcc, 0, v22
	v_cndmask_b32_e32 v14, v20, v14, vcc
	v_cndmask_b32_e32 v20, v23, v24, vcc
	v_mov_b32_e32 v22, 0x3b800000
	v_lshlrev_b32_e32 v14, 20, v14
	v_lshl_add_u32 v20, v20, 23, v22
	v_or3_b32 v20, v21, v20, v14
.LBB50_540:
	s_or_b64 exec, exec, s[6:7]
	s_movk_i32 s4, 0x7f
	v_cmp_gt_i16_sdwa s[6:7], v10, s4 src0_sel:BYTE_3 src1_sel:DWORD
	s_mov_b64 s[4:5], 0
                                        ; implicit-def: $sgpr10
	s_and_saveexec_b64 s[8:9], s[6:7]
	s_xor_b64 s[6:7], exec, s[8:9]
	s_cbranch_execnz .LBB50_2589
; %bb.541:
	s_or_saveexec_b64 s[6:7], s[6:7]
	v_mov_b32_e32 v14, s10
	s_xor_b64 exec, exec, s[6:7]
	s_cbranch_execnz .LBB50_2592
.LBB50_542:
	s_or_b64 exec, exec, s[6:7]
	s_and_saveexec_b64 s[6:7], s[4:5]
	s_cbranch_execz .LBB50_544
.LBB50_543:
	v_bfe_u32 v14, v10, 24, 3
	v_ffbh_u32_e32 v24, v14
	v_min_u32_e32 v24, 32, v24
	v_lshrrev_b32_e32 v22, 27, v10
	v_subrev_u32_e32 v25, 28, v24
	v_and_b32_e32 v21, 0x80000000, v10
	v_and_b32_e32 v22, 15, v22
	v_bfe_u32 v23, v10, 27, 4
	v_lshlrev_b32_sdwa v10, v25, v10 dst_sel:DWORD dst_unused:UNUSED_PAD src0_sel:DWORD src1_sel:BYTE_3
	v_sub_u32_e32 v24, 29, v24
	v_and_b32_e32 v10, 7, v10
	v_cmp_eq_u16_e32 vcc, 0, v22
	v_cndmask_b32_e32 v10, v14, v10, vcc
	v_cndmask_b32_e32 v14, v23, v24, vcc
	v_mov_b32_e32 v22, 0x3b800000
	v_lshlrev_b32_e32 v10, 20, v10
	v_lshl_add_u32 v14, v14, 23, v22
	v_or3_b32 v14, v21, v14, v10
.LBB50_544:
	s_or_b64 exec, exec, s[6:7]
	s_nop 0
	v_mfma_f32_16x16x4f32 a[0:3], v20, v14, a[0:3]
	s_movk_i32 s4, 0x7f
	v_cmp_gt_i16_sdwa s[6:7], v15, s4 src0_sel:BYTE_0 src1_sel:DWORD
	s_mov_b64 s[4:5], 0
                                        ; implicit-def: $sgpr10
	s_and_saveexec_b64 s[8:9], s[6:7]
	s_xor_b64 s[6:7], exec, s[8:9]
	s_cbranch_execnz .LBB50_2593
; %bb.545:
	s_or_saveexec_b64 s[6:7], s[6:7]
	v_mov_b32_e32 v10, s10
	s_xor_b64 exec, exec, s[6:7]
	s_cbranch_execnz .LBB50_2596
.LBB50_546:
	s_or_b64 exec, exec, s[6:7]
	s_and_saveexec_b64 s[6:7], s[4:5]
	s_cbranch_execz .LBB50_548
.LBB50_547:
	v_and_b32_e32 v10, 7, v15
	v_ffbh_u32_e32 v20, v10
	v_min_u32_e32 v20, 32, v20
	v_lshrrev_b16_e32 v14, 3, v15
	v_subrev_u32_e32 v21, 28, v20
	v_and_b32_e32 v14, 15, v14
	v_lshlrev_b32_e32 v21, v21, v15
	v_sub_u32_e32 v20, 29, v20
	v_and_b32_e32 v21, 7, v21
	v_cmp_eq_u16_e32 vcc, 0, v14
	v_cndmask_b32_e32 v10, v10, v21, vcc
	v_cndmask_b32_e32 v14, v14, v20, vcc
	v_lshlrev_b32_e32 v20, 24, v15
	v_mov_b32_e32 v21, 0x3b800000
	v_lshlrev_b32_e32 v10, 20, v10
	v_and_b32_e32 v20, 0x80000000, v20
	v_lshl_add_u32 v14, v14, 23, v21
	v_or3_b32 v10, v20, v14, v10
.LBB50_548:
	s_or_b64 exec, exec, s[6:7]
	s_movk_i32 s4, 0x7f
	v_cmp_gt_i16_sdwa s[6:7], v11, s4 src0_sel:BYTE_0 src1_sel:DWORD
	s_mov_b64 s[4:5], 0
                                        ; implicit-def: $sgpr10
	s_and_saveexec_b64 s[8:9], s[6:7]
	s_xor_b64 s[6:7], exec, s[8:9]
	s_cbranch_execnz .LBB50_2597
; %bb.549:
	s_or_saveexec_b64 s[6:7], s[6:7]
	v_mov_b32_e32 v14, s10
	s_xor_b64 exec, exec, s[6:7]
	s_cbranch_execnz .LBB50_2600
.LBB50_550:
	s_or_b64 exec, exec, s[6:7]
	s_and_saveexec_b64 s[6:7], s[4:5]
	s_cbranch_execz .LBB50_552
.LBB50_551:
	v_and_b32_e32 v14, 7, v11
	v_ffbh_u32_e32 v21, v14
	v_min_u32_e32 v21, 32, v21
	v_lshrrev_b16_e32 v20, 3, v11
	v_subrev_u32_e32 v22, 28, v21
	v_and_b32_e32 v20, 15, v20
	v_lshlrev_b32_e32 v22, v22, v11
	v_sub_u32_e32 v21, 29, v21
	v_and_b32_e32 v22, 7, v22
	v_cmp_eq_u16_e32 vcc, 0, v20
	v_cndmask_b32_e32 v14, v14, v22, vcc
	v_cndmask_b32_e32 v20, v20, v21, vcc
	v_lshlrev_b32_e32 v21, 24, v11
	v_mov_b32_e32 v22, 0x3b800000
	v_lshlrev_b32_e32 v14, 20, v14
	v_and_b32_e32 v21, 0x80000000, v21
	v_lshl_add_u32 v20, v20, 23, v22
	v_or3_b32 v14, v21, v20, v14
.LBB50_552:
	s_or_b64 exec, exec, s[6:7]
	s_nop 0
	v_mfma_f32_16x16x4f32 a[0:3], v10, v14, a[0:3]
	v_lshrrev_b32_e32 v14, 8, v15
	s_movk_i32 s4, 0x7f
	v_cmp_gt_i16_sdwa s[6:7], v14, s4 src0_sel:BYTE_0 src1_sel:DWORD
	s_mov_b64 s[4:5], 0
                                        ; implicit-def: $sgpr10
	s_and_saveexec_b64 s[8:9], s[6:7]
	s_xor_b64 s[6:7], exec, s[8:9]
	s_cbranch_execnz .LBB50_2601
; %bb.553:
	s_or_saveexec_b64 s[6:7], s[6:7]
	v_mov_b32_e32 v10, s10
	s_xor_b64 exec, exec, s[6:7]
	s_cbranch_execnz .LBB50_2604
.LBB50_554:
	s_or_b64 exec, exec, s[6:7]
	s_and_saveexec_b64 s[6:7], s[4:5]
	s_cbranch_execz .LBB50_556
.LBB50_555:
	v_bfe_u32 v10, v15, 8, 3
	v_ffbh_u32_e32 v21, v10
	v_min_u32_e32 v21, 32, v21
	v_lshrrev_b16_e32 v20, 3, v14
	v_subrev_u32_e32 v22, 28, v21
	v_and_b32_e32 v20, 15, v20
	v_lshlrev_b32_e32 v14, v22, v14
	v_sub_u32_e32 v21, 29, v21
	v_and_b32_e32 v14, 7, v14
	v_cmp_eq_u16_e32 vcc, 0, v20
	v_cndmask_b32_e32 v10, v10, v14, vcc
	v_cndmask_b32_e32 v14, v20, v21, vcc
	v_lshlrev_b32_e32 v20, 16, v15
	v_mov_b32_e32 v21, 0x3b800000
	v_lshlrev_b32_e32 v10, 20, v10
	v_and_b32_e32 v20, 0x80000000, v20
	v_lshl_add_u32 v14, v14, 23, v21
	v_or3_b32 v10, v20, v14, v10
.LBB50_556:
	s_or_b64 exec, exec, s[6:7]
	v_lshrrev_b32_e32 v14, 8, v11
	s_movk_i32 s4, 0x7f
	v_cmp_gt_i16_sdwa s[6:7], v14, s4 src0_sel:BYTE_0 src1_sel:DWORD
	s_mov_b64 s[4:5], 0
                                        ; implicit-def: $sgpr10
	s_and_saveexec_b64 s[8:9], s[6:7]
	s_xor_b64 s[6:7], exec, s[8:9]
	s_cbranch_execnz .LBB50_2605
; %bb.557:
	s_or_saveexec_b64 s[6:7], s[6:7]
	v_mov_b32_e32 v20, s10
	s_xor_b64 exec, exec, s[6:7]
	s_cbranch_execnz .LBB50_2608
.LBB50_558:
	s_or_b64 exec, exec, s[6:7]
	s_and_saveexec_b64 s[6:7], s[4:5]
	s_cbranch_execz .LBB50_560
.LBB50_559:
	v_bfe_u32 v20, v11, 8, 3
	v_ffbh_u32_e32 v22, v20
	v_min_u32_e32 v22, 32, v22
	v_lshrrev_b16_e32 v21, 3, v14
	v_subrev_u32_e32 v23, 28, v22
	v_and_b32_e32 v21, 15, v21
	v_lshlrev_b32_e32 v14, v23, v14
	v_sub_u32_e32 v22, 29, v22
	v_and_b32_e32 v14, 7, v14
	v_cmp_eq_u16_e32 vcc, 0, v21
	v_cndmask_b32_e32 v14, v20, v14, vcc
	v_cndmask_b32_e32 v20, v21, v22, vcc
	v_lshlrev_b32_e32 v21, 16, v11
	v_mov_b32_e32 v22, 0x3b800000
	v_lshlrev_b32_e32 v14, 20, v14
	v_and_b32_e32 v21, 0x80000000, v21
	v_lshl_add_u32 v20, v20, 23, v22
	v_or3_b32 v20, v21, v20, v14
.LBB50_560:
	s_or_b64 exec, exec, s[6:7]
	s_nop 0
	v_mfma_f32_16x16x4f32 a[0:3], v10, v20, a[0:3]
	s_movk_i32 s4, 0xff
	v_and_b32_sdwa v14, v15, s4 dst_sel:DWORD dst_unused:UNUSED_PAD src0_sel:WORD_1 src1_sel:DWORD
	s_movk_i32 s4, 0x7f
	v_cmp_lt_i16_e32 vcc, s4, v14
	s_mov_b64 s[4:5], 0
                                        ; implicit-def: $sgpr10
	s_and_saveexec_b64 s[6:7], vcc
	s_xor_b64 s[6:7], exec, s[6:7]
	s_cbranch_execnz .LBB50_2609
; %bb.561:
	s_or_saveexec_b64 s[6:7], s[6:7]
	v_mov_b32_e32 v10, s10
	s_xor_b64 exec, exec, s[6:7]
	s_cbranch_execnz .LBB50_2612
.LBB50_562:
	s_or_b64 exec, exec, s[6:7]
	s_and_saveexec_b64 s[6:7], s[4:5]
	s_cbranch_execz .LBB50_564
.LBB50_563:
	v_bfe_u32 v10, v15, 16, 3
	v_ffbh_u32_e32 v21, v10
	v_min_u32_e32 v21, 32, v21
	v_lshrrev_b32_e32 v14, 19, v15
	v_subrev_u32_e32 v22, 28, v21
	v_and_b32_e32 v14, 15, v14
	v_lshlrev_b32_sdwa v22, v22, v15 dst_sel:DWORD dst_unused:UNUSED_PAD src0_sel:DWORD src1_sel:WORD_1
	v_bfe_u32 v20, v15, 19, 4
	v_sub_u32_e32 v21, 29, v21
	v_and_b32_e32 v22, 7, v22
	v_cmp_eq_u16_e32 vcc, 0, v14
	v_cndmask_b32_e32 v10, v10, v22, vcc
	v_cndmask_b32_e32 v14, v20, v21, vcc
	v_lshlrev_b32_e32 v20, 8, v15
	v_mov_b32_e32 v21, 0x3b800000
	v_lshlrev_b32_e32 v10, 20, v10
	v_and_b32_e32 v20, 0x80000000, v20
	v_lshl_add_u32 v14, v14, 23, v21
	v_or3_b32 v10, v20, v14, v10
.LBB50_564:
	s_or_b64 exec, exec, s[6:7]
	s_movk_i32 s4, 0xff
	v_and_b32_sdwa v14, v11, s4 dst_sel:DWORD dst_unused:UNUSED_PAD src0_sel:WORD_1 src1_sel:DWORD
	s_movk_i32 s4, 0x7f
	v_cmp_lt_i16_e32 vcc, s4, v14
	s_mov_b64 s[4:5], 0
                                        ; implicit-def: $sgpr10
	s_and_saveexec_b64 s[6:7], vcc
	s_xor_b64 s[6:7], exec, s[6:7]
	s_cbranch_execnz .LBB50_2613
; %bb.565:
	s_or_saveexec_b64 s[6:7], s[6:7]
	v_mov_b32_e32 v20, s10
	s_xor_b64 exec, exec, s[6:7]
	s_cbranch_execnz .LBB50_2616
.LBB50_566:
	s_or_b64 exec, exec, s[6:7]
	s_and_saveexec_b64 s[6:7], s[4:5]
	s_cbranch_execz .LBB50_568
.LBB50_567:
	v_bfe_u32 v14, v11, 16, 3
	v_ffbh_u32_e32 v22, v14
	v_min_u32_e32 v22, 32, v22
	v_lshrrev_b32_e32 v20, 19, v11
	v_subrev_u32_e32 v23, 28, v22
	v_and_b32_e32 v20, 15, v20
	v_lshlrev_b32_sdwa v23, v23, v11 dst_sel:DWORD dst_unused:UNUSED_PAD src0_sel:DWORD src1_sel:WORD_1
	v_bfe_u32 v21, v11, 19, 4
	v_sub_u32_e32 v22, 29, v22
	v_and_b32_e32 v23, 7, v23
	v_cmp_eq_u16_e32 vcc, 0, v20
	v_cndmask_b32_e32 v14, v14, v23, vcc
	v_cndmask_b32_e32 v20, v21, v22, vcc
	v_lshlrev_b32_e32 v21, 8, v11
	v_mov_b32_e32 v22, 0x3b800000
	v_lshlrev_b32_e32 v14, 20, v14
	v_and_b32_e32 v21, 0x80000000, v21
	v_lshl_add_u32 v20, v20, 23, v22
	v_or3_b32 v20, v21, v20, v14
.LBB50_568:
	s_or_b64 exec, exec, s[6:7]
	s_nop 0
	v_mfma_f32_16x16x4f32 a[0:3], v10, v20, a[0:3]
	s_movk_i32 s4, 0x7f
	v_cmp_gt_i16_sdwa s[6:7], v15, s4 src0_sel:BYTE_3 src1_sel:DWORD
	s_mov_b64 s[4:5], 0
                                        ; implicit-def: $sgpr10
	s_and_saveexec_b64 s[8:9], s[6:7]
	s_xor_b64 s[6:7], exec, s[8:9]
	s_cbranch_execnz .LBB50_2617
; %bb.569:
	s_or_saveexec_b64 s[6:7], s[6:7]
	v_mov_b32_e32 v10, s10
	s_xor_b64 exec, exec, s[6:7]
	s_cbranch_execnz .LBB50_2620
.LBB50_570:
	s_or_b64 exec, exec, s[6:7]
	s_and_saveexec_b64 s[6:7], s[4:5]
	s_cbranch_execz .LBB50_572
.LBB50_571:
	v_bfe_u32 v10, v15, 24, 3
	v_ffbh_u32_e32 v22, v10
	v_min_u32_e32 v22, 32, v22
	v_lshrrev_b32_e32 v20, 27, v15
	v_subrev_u32_e32 v23, 28, v22
	v_and_b32_e32 v14, 0x80000000, v15
	v_and_b32_e32 v20, 15, v20
	v_bfe_u32 v21, v15, 27, 4
	v_lshlrev_b32_sdwa v15, v23, v15 dst_sel:DWORD dst_unused:UNUSED_PAD src0_sel:DWORD src1_sel:BYTE_3
	v_sub_u32_e32 v22, 29, v22
	v_and_b32_e32 v15, 7, v15
	v_cmp_eq_u16_e32 vcc, 0, v20
	v_cndmask_b32_e32 v10, v10, v15, vcc
	v_cndmask_b32_e32 v15, v21, v22, vcc
	v_mov_b32_e32 v20, 0x3b800000
	v_lshlrev_b32_e32 v10, 20, v10
	v_lshl_add_u32 v15, v15, 23, v20
	v_or3_b32 v10, v14, v15, v10
.LBB50_572:
	s_or_b64 exec, exec, s[6:7]
	s_movk_i32 s4, 0x7f
	v_cmp_gt_i16_sdwa s[6:7], v11, s4 src0_sel:BYTE_3 src1_sel:DWORD
	s_mov_b64 s[4:5], 0
                                        ; implicit-def: $sgpr10
	s_and_saveexec_b64 s[8:9], s[6:7]
	s_xor_b64 s[6:7], exec, s[8:9]
	s_cbranch_execnz .LBB50_2621
; %bb.573:
	s_or_saveexec_b64 s[6:7], s[6:7]
	v_mov_b32_e32 v14, s10
	s_xor_b64 exec, exec, s[6:7]
	s_cbranch_execnz .LBB50_2624
.LBB50_574:
	s_or_b64 exec, exec, s[6:7]
	s_and_saveexec_b64 s[6:7], s[4:5]
	s_cbranch_execz .LBB50_576
.LBB50_575:
	v_bfe_u32 v14, v11, 24, 3
	v_ffbh_u32_e32 v22, v14
	v_min_u32_e32 v22, 32, v22
	v_lshrrev_b32_e32 v20, 27, v11
	v_subrev_u32_e32 v23, 28, v22
	v_and_b32_e32 v15, 0x80000000, v11
	v_and_b32_e32 v20, 15, v20
	v_bfe_u32 v21, v11, 27, 4
	v_lshlrev_b32_sdwa v11, v23, v11 dst_sel:DWORD dst_unused:UNUSED_PAD src0_sel:DWORD src1_sel:BYTE_3
	v_sub_u32_e32 v22, 29, v22
	v_and_b32_e32 v11, 7, v11
	v_cmp_eq_u16_e32 vcc, 0, v20
	v_cndmask_b32_e32 v11, v14, v11, vcc
	v_cndmask_b32_e32 v14, v21, v22, vcc
	v_mov_b32_e32 v20, 0x3b800000
	v_lshlrev_b32_e32 v11, 20, v11
	v_lshl_add_u32 v14, v14, 23, v20
	v_or3_b32 v14, v15, v14, v11
.LBB50_576:
	s_or_b64 exec, exec, s[6:7]
	s_nop 0
	v_mfma_f32_16x16x4f32 a[0:3], v10, v14, a[0:3]
	s_movk_i32 s4, 0x7f
	v_cmp_gt_i16_sdwa s[6:7], v16, s4 src0_sel:BYTE_0 src1_sel:DWORD
	s_mov_b64 s[4:5], 0
                                        ; implicit-def: $sgpr10
	s_and_saveexec_b64 s[8:9], s[6:7]
	s_xor_b64 s[6:7], exec, s[8:9]
	s_cbranch_execnz .LBB50_2625
; %bb.577:
	s_or_saveexec_b64 s[6:7], s[6:7]
	v_mov_b32_e32 v10, s10
	s_xor_b64 exec, exec, s[6:7]
	s_cbranch_execnz .LBB50_2628
.LBB50_578:
	s_or_b64 exec, exec, s[6:7]
	s_and_saveexec_b64 s[6:7], s[4:5]
	s_cbranch_execz .LBB50_580
.LBB50_579:
	v_and_b32_e32 v10, 7, v16
	v_ffbh_u32_e32 v14, v10
	v_min_u32_e32 v14, 32, v14
	v_lshrrev_b16_e32 v11, 3, v16
	v_subrev_u32_e32 v15, 28, v14
	v_and_b32_e32 v11, 15, v11
	v_lshlrev_b32_e32 v15, v15, v16
	v_sub_u32_e32 v14, 29, v14
	v_and_b32_e32 v15, 7, v15
	v_cmp_eq_u16_e32 vcc, 0, v11
	v_cndmask_b32_e32 v10, v10, v15, vcc
	v_cndmask_b32_e32 v11, v11, v14, vcc
	v_lshlrev_b32_e32 v14, 24, v16
	v_mov_b32_e32 v15, 0x3b800000
	v_lshlrev_b32_e32 v10, 20, v10
	v_and_b32_e32 v14, 0x80000000, v14
	v_lshl_add_u32 v11, v11, 23, v15
	v_or3_b32 v10, v14, v11, v10
.LBB50_580:
	s_or_b64 exec, exec, s[6:7]
	s_movk_i32 s4, 0x7f
	v_cmp_gt_i16_sdwa s[6:7], v12, s4 src0_sel:BYTE_0 src1_sel:DWORD
	s_mov_b64 s[4:5], 0
                                        ; implicit-def: $sgpr10
	s_and_saveexec_b64 s[8:9], s[6:7]
	s_xor_b64 s[6:7], exec, s[8:9]
	s_cbranch_execnz .LBB50_2629
; %bb.581:
	s_or_saveexec_b64 s[6:7], s[6:7]
	v_mov_b32_e32 v11, s10
	s_xor_b64 exec, exec, s[6:7]
	s_cbranch_execnz .LBB50_2632
.LBB50_582:
	s_or_b64 exec, exec, s[6:7]
	s_and_saveexec_b64 s[6:7], s[4:5]
	s_cbranch_execz .LBB50_584
.LBB50_583:
	v_and_b32_e32 v11, 7, v12
	v_ffbh_u32_e32 v15, v11
	v_min_u32_e32 v15, 32, v15
	v_lshrrev_b16_e32 v14, 3, v12
	v_subrev_u32_e32 v20, 28, v15
	v_and_b32_e32 v14, 15, v14
	v_lshlrev_b32_e32 v20, v20, v12
	v_sub_u32_e32 v15, 29, v15
	v_and_b32_e32 v20, 7, v20
	v_cmp_eq_u16_e32 vcc, 0, v14
	v_cndmask_b32_e32 v11, v11, v20, vcc
	v_cndmask_b32_e32 v14, v14, v15, vcc
	v_lshlrev_b32_e32 v15, 24, v12
	v_mov_b32_e32 v20, 0x3b800000
	v_lshlrev_b32_e32 v11, 20, v11
	v_and_b32_e32 v15, 0x80000000, v15
	v_lshl_add_u32 v14, v14, 23, v20
	v_or3_b32 v11, v15, v14, v11
.LBB50_584:
	s_or_b64 exec, exec, s[6:7]
	s_nop 0
	v_mfma_f32_16x16x4f32 a[0:3], v10, v11, a[0:3]
	v_lshrrev_b32_e32 v11, 8, v16
	s_movk_i32 s4, 0x7f
	v_cmp_gt_i16_sdwa s[6:7], v11, s4 src0_sel:BYTE_0 src1_sel:DWORD
	s_mov_b64 s[4:5], 0
                                        ; implicit-def: $sgpr10
	s_and_saveexec_b64 s[8:9], s[6:7]
	s_xor_b64 s[6:7], exec, s[8:9]
	s_cbranch_execnz .LBB50_2633
; %bb.585:
	s_or_saveexec_b64 s[6:7], s[6:7]
	v_mov_b32_e32 v10, s10
	s_xor_b64 exec, exec, s[6:7]
	s_cbranch_execnz .LBB50_2636
.LBB50_586:
	s_or_b64 exec, exec, s[6:7]
	s_and_saveexec_b64 s[6:7], s[4:5]
	s_cbranch_execz .LBB50_588
.LBB50_587:
	v_bfe_u32 v10, v16, 8, 3
	v_ffbh_u32_e32 v15, v10
	v_min_u32_e32 v15, 32, v15
	v_lshrrev_b16_e32 v14, 3, v11
	v_subrev_u32_e32 v20, 28, v15
	v_and_b32_e32 v14, 15, v14
	v_lshlrev_b32_e32 v11, v20, v11
	v_sub_u32_e32 v15, 29, v15
	v_and_b32_e32 v11, 7, v11
	v_cmp_eq_u16_e32 vcc, 0, v14
	v_cndmask_b32_e32 v10, v10, v11, vcc
	v_cndmask_b32_e32 v11, v14, v15, vcc
	v_lshlrev_b32_e32 v14, 16, v16
	v_mov_b32_e32 v15, 0x3b800000
	v_lshlrev_b32_e32 v10, 20, v10
	v_and_b32_e32 v14, 0x80000000, v14
	v_lshl_add_u32 v11, v11, 23, v15
	v_or3_b32 v10, v14, v11, v10
.LBB50_588:
	s_or_b64 exec, exec, s[6:7]
	v_lshrrev_b32_e32 v11, 8, v12
	s_movk_i32 s4, 0x7f
	v_cmp_gt_i16_sdwa s[6:7], v11, s4 src0_sel:BYTE_0 src1_sel:DWORD
	s_mov_b64 s[4:5], 0
                                        ; implicit-def: $sgpr10
	s_and_saveexec_b64 s[8:9], s[6:7]
	s_xor_b64 s[6:7], exec, s[8:9]
	s_cbranch_execnz .LBB50_2637
; %bb.589:
	s_or_saveexec_b64 s[6:7], s[6:7]
	v_mov_b32_e32 v14, s10
	s_xor_b64 exec, exec, s[6:7]
	s_cbranch_execnz .LBB50_2640
.LBB50_590:
	s_or_b64 exec, exec, s[6:7]
	s_and_saveexec_b64 s[6:7], s[4:5]
	s_cbranch_execz .LBB50_592
.LBB50_591:
	v_bfe_u32 v14, v12, 8, 3
	v_ffbh_u32_e32 v20, v14
	v_min_u32_e32 v20, 32, v20
	v_lshrrev_b16_e32 v15, 3, v11
	v_subrev_u32_e32 v21, 28, v20
	v_and_b32_e32 v15, 15, v15
	v_lshlrev_b32_e32 v11, v21, v11
	v_sub_u32_e32 v20, 29, v20
	v_and_b32_e32 v11, 7, v11
	v_cmp_eq_u16_e32 vcc, 0, v15
	v_cndmask_b32_e32 v11, v14, v11, vcc
	v_cndmask_b32_e32 v14, v15, v20, vcc
	v_lshlrev_b32_e32 v15, 16, v12
	v_mov_b32_e32 v20, 0x3b800000
	v_lshlrev_b32_e32 v11, 20, v11
	v_and_b32_e32 v15, 0x80000000, v15
	v_lshl_add_u32 v14, v14, 23, v20
	v_or3_b32 v14, v15, v14, v11
.LBB50_592:
	s_or_b64 exec, exec, s[6:7]
	s_nop 0
	v_mfma_f32_16x16x4f32 a[0:3], v10, v14, a[0:3]
	s_movk_i32 s4, 0xff
	v_and_b32_sdwa v11, v16, s4 dst_sel:DWORD dst_unused:UNUSED_PAD src0_sel:WORD_1 src1_sel:DWORD
	s_movk_i32 s4, 0x7f
	v_cmp_lt_i16_e32 vcc, s4, v11
	s_mov_b64 s[4:5], 0
                                        ; implicit-def: $sgpr10
	s_and_saveexec_b64 s[6:7], vcc
	s_xor_b64 s[6:7], exec, s[6:7]
	s_cbranch_execnz .LBB50_2641
; %bb.593:
	s_or_saveexec_b64 s[6:7], s[6:7]
	v_mov_b32_e32 v10, s10
	s_xor_b64 exec, exec, s[6:7]
	s_cbranch_execnz .LBB50_2644
.LBB50_594:
	s_or_b64 exec, exec, s[6:7]
	s_and_saveexec_b64 s[6:7], s[4:5]
	s_cbranch_execz .LBB50_596
.LBB50_595:
	v_bfe_u32 v10, v16, 16, 3
	v_ffbh_u32_e32 v15, v10
	v_min_u32_e32 v15, 32, v15
	v_lshrrev_b32_e32 v11, 19, v16
	v_subrev_u32_e32 v20, 28, v15
	v_and_b32_e32 v11, 15, v11
	v_lshlrev_b32_sdwa v20, v20, v16 dst_sel:DWORD dst_unused:UNUSED_PAD src0_sel:DWORD src1_sel:WORD_1
	v_bfe_u32 v14, v16, 19, 4
	v_sub_u32_e32 v15, 29, v15
	v_and_b32_e32 v20, 7, v20
	v_cmp_eq_u16_e32 vcc, 0, v11
	v_cndmask_b32_e32 v10, v10, v20, vcc
	v_cndmask_b32_e32 v11, v14, v15, vcc
	v_lshlrev_b32_e32 v14, 8, v16
	v_mov_b32_e32 v15, 0x3b800000
	v_lshlrev_b32_e32 v10, 20, v10
	v_and_b32_e32 v14, 0x80000000, v14
	v_lshl_add_u32 v11, v11, 23, v15
	v_or3_b32 v10, v14, v11, v10
.LBB50_596:
	s_or_b64 exec, exec, s[6:7]
	s_movk_i32 s4, 0xff
	v_and_b32_sdwa v11, v12, s4 dst_sel:DWORD dst_unused:UNUSED_PAD src0_sel:WORD_1 src1_sel:DWORD
	s_movk_i32 s4, 0x7f
	v_cmp_lt_i16_e32 vcc, s4, v11
	s_mov_b64 s[4:5], 0
                                        ; implicit-def: $sgpr10
	s_and_saveexec_b64 s[6:7], vcc
	s_xor_b64 s[6:7], exec, s[6:7]
	s_cbranch_execnz .LBB50_2645
; %bb.597:
	s_or_saveexec_b64 s[6:7], s[6:7]
	v_mov_b32_e32 v14, s10
	s_xor_b64 exec, exec, s[6:7]
	s_cbranch_execnz .LBB50_2648
.LBB50_598:
	s_or_b64 exec, exec, s[6:7]
	s_and_saveexec_b64 s[6:7], s[4:5]
	s_cbranch_execz .LBB50_600
.LBB50_599:
	v_bfe_u32 v11, v12, 16, 3
	v_ffbh_u32_e32 v20, v11
	v_min_u32_e32 v20, 32, v20
	v_lshrrev_b32_e32 v14, 19, v12
	v_subrev_u32_e32 v21, 28, v20
	v_and_b32_e32 v14, 15, v14
	v_lshlrev_b32_sdwa v21, v21, v12 dst_sel:DWORD dst_unused:UNUSED_PAD src0_sel:DWORD src1_sel:WORD_1
	v_bfe_u32 v15, v12, 19, 4
	v_sub_u32_e32 v20, 29, v20
	v_and_b32_e32 v21, 7, v21
	v_cmp_eq_u16_e32 vcc, 0, v14
	v_cndmask_b32_e32 v11, v11, v21, vcc
	v_cndmask_b32_e32 v14, v15, v20, vcc
	v_lshlrev_b32_e32 v15, 8, v12
	v_mov_b32_e32 v20, 0x3b800000
	v_lshlrev_b32_e32 v11, 20, v11
	v_and_b32_e32 v15, 0x80000000, v15
	v_lshl_add_u32 v14, v14, 23, v20
	v_or3_b32 v14, v15, v14, v11
.LBB50_600:
	s_or_b64 exec, exec, s[6:7]
	s_nop 0
	v_mfma_f32_16x16x4f32 a[0:3], v10, v14, a[0:3]
	s_movk_i32 s4, 0x7f
	v_cmp_gt_i16_sdwa s[6:7], v16, s4 src0_sel:BYTE_3 src1_sel:DWORD
	s_mov_b64 s[4:5], 0
                                        ; implicit-def: $sgpr10
	s_and_saveexec_b64 s[8:9], s[6:7]
	s_xor_b64 s[6:7], exec, s[8:9]
	s_cbranch_execnz .LBB50_2649
; %bb.601:
	s_or_saveexec_b64 s[6:7], s[6:7]
	v_mov_b32_e32 v10, s10
	s_xor_b64 exec, exec, s[6:7]
	s_cbranch_execnz .LBB50_2652
.LBB50_602:
	s_or_b64 exec, exec, s[6:7]
	s_and_saveexec_b64 s[6:7], s[4:5]
	s_cbranch_execz .LBB50_604
.LBB50_603:
	v_bfe_u32 v10, v16, 24, 3
	v_ffbh_u32_e32 v20, v10
	v_min_u32_e32 v20, 32, v20
	v_lshrrev_b32_e32 v14, 27, v16
	v_subrev_u32_e32 v21, 28, v20
	v_and_b32_e32 v11, 0x80000000, v16
	v_and_b32_e32 v14, 15, v14
	v_bfe_u32 v15, v16, 27, 4
	v_lshlrev_b32_sdwa v16, v21, v16 dst_sel:DWORD dst_unused:UNUSED_PAD src0_sel:DWORD src1_sel:BYTE_3
	v_sub_u32_e32 v20, 29, v20
	v_and_b32_e32 v16, 7, v16
	v_cmp_eq_u16_e32 vcc, 0, v14
	v_cndmask_b32_e32 v10, v10, v16, vcc
	v_cndmask_b32_e32 v14, v15, v20, vcc
	v_mov_b32_e32 v15, 0x3b800000
	v_lshlrev_b32_e32 v10, 20, v10
	v_lshl_add_u32 v14, v14, 23, v15
	v_or3_b32 v10, v11, v14, v10
.LBB50_604:
	s_or_b64 exec, exec, s[6:7]
	s_movk_i32 s4, 0x7f
	v_cmp_gt_i16_sdwa s[6:7], v12, s4 src0_sel:BYTE_3 src1_sel:DWORD
	s_mov_b64 s[4:5], 0
                                        ; implicit-def: $sgpr10
	s_and_saveexec_b64 s[8:9], s[6:7]
	s_xor_b64 s[6:7], exec, s[8:9]
	s_cbranch_execnz .LBB50_2653
; %bb.605:
	s_or_saveexec_b64 s[6:7], s[6:7]
	v_mov_b32_e32 v11, s10
	s_xor_b64 exec, exec, s[6:7]
	s_cbranch_execnz .LBB50_2656
.LBB50_606:
	s_or_b64 exec, exec, s[6:7]
	s_and_saveexec_b64 s[6:7], s[4:5]
	s_cbranch_execz .LBB50_608
.LBB50_607:
	v_bfe_u32 v11, v12, 24, 3
	v_ffbh_u32_e32 v20, v11
	v_min_u32_e32 v20, 32, v20
	v_lshrrev_b32_e32 v15, 27, v12
	v_subrev_u32_e32 v21, 28, v20
	v_and_b32_e32 v14, 0x80000000, v12
	v_and_b32_e32 v15, 15, v15
	v_bfe_u32 v16, v12, 27, 4
	v_lshlrev_b32_sdwa v12, v21, v12 dst_sel:DWORD dst_unused:UNUSED_PAD src0_sel:DWORD src1_sel:BYTE_3
	v_sub_u32_e32 v20, 29, v20
	v_and_b32_e32 v12, 7, v12
	v_cmp_eq_u16_e32 vcc, 0, v15
	v_cndmask_b32_e32 v11, v11, v12, vcc
	v_cndmask_b32_e32 v12, v16, v20, vcc
	v_mov_b32_e32 v15, 0x3b800000
	v_lshlrev_b32_e32 v11, 20, v11
	v_lshl_add_u32 v12, v12, 23, v15
	v_or3_b32 v11, v14, v12, v11
.LBB50_608:
	s_or_b64 exec, exec, s[6:7]
	s_nop 0
	v_mfma_f32_16x16x4f32 a[0:3], v10, v11, a[0:3]
	s_movk_i32 s4, 0x7f
	v_cmp_gt_i16_sdwa s[6:7], v17, s4 src0_sel:BYTE_0 src1_sel:DWORD
	s_mov_b64 s[4:5], 0
                                        ; implicit-def: $sgpr10
	s_and_saveexec_b64 s[8:9], s[6:7]
	s_xor_b64 s[6:7], exec, s[8:9]
	s_cbranch_execnz .LBB50_2657
; %bb.609:
	s_or_saveexec_b64 s[6:7], s[6:7]
	v_mov_b32_e32 v10, s10
	s_xor_b64 exec, exec, s[6:7]
	s_cbranch_execnz .LBB50_2660
.LBB50_610:
	s_or_b64 exec, exec, s[6:7]
	s_and_saveexec_b64 s[6:7], s[4:5]
	s_cbranch_execz .LBB50_612
.LBB50_611:
	v_and_b32_e32 v10, 7, v17
	v_ffbh_u32_e32 v12, v10
	v_min_u32_e32 v12, 32, v12
	v_lshrrev_b16_e32 v11, 3, v17
	v_subrev_u32_e32 v14, 28, v12
	v_and_b32_e32 v11, 15, v11
	v_lshlrev_b32_e32 v14, v14, v17
	v_sub_u32_e32 v12, 29, v12
	v_and_b32_e32 v14, 7, v14
	v_cmp_eq_u16_e32 vcc, 0, v11
	v_cndmask_b32_e32 v10, v10, v14, vcc
	v_cndmask_b32_e32 v11, v11, v12, vcc
	v_lshlrev_b32_e32 v12, 24, v17
	v_mov_b32_e32 v14, 0x3b800000
	v_lshlrev_b32_e32 v10, 20, v10
	v_and_b32_e32 v12, 0x80000000, v12
	v_lshl_add_u32 v11, v11, 23, v14
	v_or3_b32 v10, v12, v11, v10
.LBB50_612:
	s_or_b64 exec, exec, s[6:7]
	s_movk_i32 s4, 0x7f
	v_cmp_gt_i16_sdwa s[6:7], v13, s4 src0_sel:BYTE_0 src1_sel:DWORD
	s_mov_b64 s[4:5], 0
                                        ; implicit-def: $sgpr10
	s_and_saveexec_b64 s[8:9], s[6:7]
	s_xor_b64 s[6:7], exec, s[8:9]
	s_cbranch_execnz .LBB50_2661
; %bb.613:
	s_or_saveexec_b64 s[6:7], s[6:7]
	v_mov_b32_e32 v11, s10
	s_xor_b64 exec, exec, s[6:7]
	s_cbranch_execnz .LBB50_2664
.LBB50_614:
	s_or_b64 exec, exec, s[6:7]
	s_and_saveexec_b64 s[6:7], s[4:5]
	s_cbranch_execz .LBB50_616
.LBB50_615:
	v_and_b32_e32 v11, 7, v13
	v_ffbh_u32_e32 v14, v11
	v_min_u32_e32 v14, 32, v14
	v_lshrrev_b16_e32 v12, 3, v13
	v_subrev_u32_e32 v15, 28, v14
	v_and_b32_e32 v12, 15, v12
	v_lshlrev_b32_e32 v15, v15, v13
	v_sub_u32_e32 v14, 29, v14
	v_and_b32_e32 v15, 7, v15
	v_cmp_eq_u16_e32 vcc, 0, v12
	v_cndmask_b32_e32 v11, v11, v15, vcc
	v_cndmask_b32_e32 v12, v12, v14, vcc
	v_lshlrev_b32_e32 v14, 24, v13
	v_mov_b32_e32 v15, 0x3b800000
	v_lshlrev_b32_e32 v11, 20, v11
	v_and_b32_e32 v14, 0x80000000, v14
	v_lshl_add_u32 v12, v12, 23, v15
	v_or3_b32 v11, v14, v12, v11
.LBB50_616:
	s_or_b64 exec, exec, s[6:7]
	s_nop 0
	v_mfma_f32_16x16x4f32 a[0:3], v10, v11, a[0:3]
	v_lshrrev_b32_e32 v11, 8, v17
	s_movk_i32 s4, 0x7f
	v_cmp_gt_i16_sdwa s[6:7], v11, s4 src0_sel:BYTE_0 src1_sel:DWORD
	s_mov_b64 s[4:5], 0
                                        ; implicit-def: $sgpr10
	s_and_saveexec_b64 s[8:9], s[6:7]
	s_xor_b64 s[6:7], exec, s[8:9]
	s_cbranch_execnz .LBB50_2665
; %bb.617:
	s_or_saveexec_b64 s[6:7], s[6:7]
	v_mov_b32_e32 v10, s10
	s_xor_b64 exec, exec, s[6:7]
	s_cbranch_execnz .LBB50_2668
.LBB50_618:
	s_or_b64 exec, exec, s[6:7]
	s_and_saveexec_b64 s[6:7], s[4:5]
	s_cbranch_execz .LBB50_620
.LBB50_619:
	v_bfe_u32 v10, v17, 8, 3
	v_ffbh_u32_e32 v14, v10
	v_min_u32_e32 v14, 32, v14
	v_lshrrev_b16_e32 v12, 3, v11
	v_subrev_u32_e32 v15, 28, v14
	v_and_b32_e32 v12, 15, v12
	v_lshlrev_b32_e32 v11, v15, v11
	v_sub_u32_e32 v14, 29, v14
	v_and_b32_e32 v11, 7, v11
	v_cmp_eq_u16_e32 vcc, 0, v12
	v_cndmask_b32_e32 v10, v10, v11, vcc
	v_cndmask_b32_e32 v11, v12, v14, vcc
	v_lshlrev_b32_e32 v12, 16, v17
	v_mov_b32_e32 v14, 0x3b800000
	v_lshlrev_b32_e32 v10, 20, v10
	v_and_b32_e32 v12, 0x80000000, v12
	v_lshl_add_u32 v11, v11, 23, v14
	v_or3_b32 v10, v12, v11, v10
.LBB50_620:
	s_or_b64 exec, exec, s[6:7]
	v_lshrrev_b32_e32 v11, 8, v13
	s_movk_i32 s4, 0x7f
	v_cmp_gt_i16_sdwa s[6:7], v11, s4 src0_sel:BYTE_0 src1_sel:DWORD
	s_mov_b64 s[4:5], 0
                                        ; implicit-def: $sgpr10
	s_and_saveexec_b64 s[8:9], s[6:7]
	s_xor_b64 s[6:7], exec, s[8:9]
	s_cbranch_execnz .LBB50_2669
; %bb.621:
	s_or_saveexec_b64 s[6:7], s[6:7]
	v_mov_b32_e32 v12, s10
	s_xor_b64 exec, exec, s[6:7]
	s_cbranch_execnz .LBB50_2672
.LBB50_622:
	s_or_b64 exec, exec, s[6:7]
	s_and_saveexec_b64 s[6:7], s[4:5]
	s_cbranch_execz .LBB50_624
.LBB50_623:
	v_bfe_u32 v12, v13, 8, 3
	v_ffbh_u32_e32 v15, v12
	v_min_u32_e32 v15, 32, v15
	v_lshrrev_b16_e32 v14, 3, v11
	v_subrev_u32_e32 v16, 28, v15
	v_and_b32_e32 v14, 15, v14
	v_lshlrev_b32_e32 v11, v16, v11
	v_sub_u32_e32 v15, 29, v15
	v_and_b32_e32 v11, 7, v11
	v_cmp_eq_u16_e32 vcc, 0, v14
	v_cndmask_b32_e32 v11, v12, v11, vcc
	v_cndmask_b32_e32 v12, v14, v15, vcc
	v_lshlrev_b32_e32 v14, 16, v13
	v_mov_b32_e32 v15, 0x3b800000
	v_lshlrev_b32_e32 v11, 20, v11
	v_and_b32_e32 v14, 0x80000000, v14
	v_lshl_add_u32 v12, v12, 23, v15
	v_or3_b32 v12, v14, v12, v11
.LBB50_624:
	s_or_b64 exec, exec, s[6:7]
	s_nop 0
	v_mfma_f32_16x16x4f32 a[0:3], v10, v12, a[0:3]
	s_movk_i32 s4, 0xff
	v_and_b32_sdwa v11, v17, s4 dst_sel:DWORD dst_unused:UNUSED_PAD src0_sel:WORD_1 src1_sel:DWORD
	s_movk_i32 s4, 0x7f
	v_cmp_lt_i16_e32 vcc, s4, v11
	s_mov_b64 s[4:5], 0
                                        ; implicit-def: $sgpr10
	s_and_saveexec_b64 s[6:7], vcc
	s_xor_b64 s[6:7], exec, s[6:7]
	s_cbranch_execnz .LBB50_2673
; %bb.625:
	s_or_saveexec_b64 s[6:7], s[6:7]
	v_mov_b32_e32 v10, s10
	s_xor_b64 exec, exec, s[6:7]
	s_cbranch_execnz .LBB50_2676
.LBB50_626:
	s_or_b64 exec, exec, s[6:7]
	s_and_saveexec_b64 s[6:7], s[4:5]
	s_cbranch_execz .LBB50_628
.LBB50_627:
	v_bfe_u32 v10, v17, 16, 3
	v_ffbh_u32_e32 v14, v10
	v_min_u32_e32 v14, 32, v14
	v_lshrrev_b32_e32 v11, 19, v17
	v_subrev_u32_e32 v15, 28, v14
	v_and_b32_e32 v11, 15, v11
	v_lshlrev_b32_sdwa v15, v15, v17 dst_sel:DWORD dst_unused:UNUSED_PAD src0_sel:DWORD src1_sel:WORD_1
	v_bfe_u32 v12, v17, 19, 4
	v_sub_u32_e32 v14, 29, v14
	v_and_b32_e32 v15, 7, v15
	v_cmp_eq_u16_e32 vcc, 0, v11
	v_cndmask_b32_e32 v10, v10, v15, vcc
	v_cndmask_b32_e32 v11, v12, v14, vcc
	v_lshlrev_b32_e32 v12, 8, v17
	v_mov_b32_e32 v14, 0x3b800000
	v_lshlrev_b32_e32 v10, 20, v10
	v_and_b32_e32 v12, 0x80000000, v12
	v_lshl_add_u32 v11, v11, 23, v14
	v_or3_b32 v10, v12, v11, v10
.LBB50_628:
	s_or_b64 exec, exec, s[6:7]
	s_movk_i32 s4, 0xff
	v_and_b32_sdwa v11, v13, s4 dst_sel:DWORD dst_unused:UNUSED_PAD src0_sel:WORD_1 src1_sel:DWORD
	s_movk_i32 s4, 0x7f
	v_cmp_lt_i16_e32 vcc, s4, v11
	s_mov_b64 s[4:5], 0
                                        ; implicit-def: $sgpr10
	s_and_saveexec_b64 s[6:7], vcc
	s_xor_b64 s[6:7], exec, s[6:7]
	s_cbranch_execnz .LBB50_2677
; %bb.629:
	s_or_saveexec_b64 s[6:7], s[6:7]
	v_mov_b32_e32 v12, s10
	s_xor_b64 exec, exec, s[6:7]
	s_cbranch_execnz .LBB50_2680
.LBB50_630:
	s_or_b64 exec, exec, s[6:7]
	s_and_saveexec_b64 s[6:7], s[4:5]
	s_cbranch_execz .LBB50_632
.LBB50_631:
	v_bfe_u32 v11, v13, 16, 3
	v_ffbh_u32_e32 v15, v11
	v_min_u32_e32 v15, 32, v15
	v_lshrrev_b32_e32 v12, 19, v13
	v_subrev_u32_e32 v16, 28, v15
	v_and_b32_e32 v12, 15, v12
	v_lshlrev_b32_sdwa v16, v16, v13 dst_sel:DWORD dst_unused:UNUSED_PAD src0_sel:DWORD src1_sel:WORD_1
	v_bfe_u32 v14, v13, 19, 4
	v_sub_u32_e32 v15, 29, v15
	v_and_b32_e32 v16, 7, v16
	v_cmp_eq_u16_e32 vcc, 0, v12
	v_cndmask_b32_e32 v11, v11, v16, vcc
	v_cndmask_b32_e32 v12, v14, v15, vcc
	v_lshlrev_b32_e32 v14, 8, v13
	v_mov_b32_e32 v15, 0x3b800000
	v_lshlrev_b32_e32 v11, 20, v11
	v_and_b32_e32 v14, 0x80000000, v14
	v_lshl_add_u32 v12, v12, 23, v15
	v_or3_b32 v12, v14, v12, v11
.LBB50_632:
	s_or_b64 exec, exec, s[6:7]
	s_nop 0
	v_mfma_f32_16x16x4f32 a[0:3], v10, v12, a[0:3]
	s_movk_i32 s4, 0x7f
	v_cmp_gt_i16_sdwa s[6:7], v17, s4 src0_sel:BYTE_3 src1_sel:DWORD
	s_mov_b64 s[4:5], 0
                                        ; implicit-def: $sgpr10
	s_and_saveexec_b64 s[8:9], s[6:7]
	s_xor_b64 s[6:7], exec, s[8:9]
	s_cbranch_execnz .LBB50_2681
; %bb.633:
	s_or_saveexec_b64 s[6:7], s[6:7]
	v_mov_b32_e32 v10, s10
	s_xor_b64 exec, exec, s[6:7]
	s_cbranch_execnz .LBB50_2684
.LBB50_634:
	s_or_b64 exec, exec, s[6:7]
	s_and_saveexec_b64 s[6:7], s[4:5]
	s_cbranch_execz .LBB50_636
.LBB50_635:
	v_bfe_u32 v10, v17, 24, 3
	v_ffbh_u32_e32 v15, v10
	v_min_u32_e32 v15, 32, v15
	v_lshrrev_b32_e32 v12, 27, v17
	v_subrev_u32_e32 v16, 28, v15
	v_and_b32_e32 v12, 15, v12
	v_lshlrev_b32_sdwa v16, v16, v17 dst_sel:DWORD dst_unused:UNUSED_PAD src0_sel:DWORD src1_sel:BYTE_3
	v_bfe_u32 v14, v17, 27, 4
	v_sub_u32_e32 v15, 29, v15
	v_and_b32_e32 v16, 7, v16
	v_cmp_eq_u16_e32 vcc, 0, v12
	v_cndmask_b32_e32 v10, v10, v16, vcc
	v_cndmask_b32_e32 v12, v14, v15, vcc
	v_mov_b32_e32 v14, 0x3b800000
	v_and_b32_e32 v11, 0x80000000, v17
	v_lshlrev_b32_e32 v10, 20, v10
	v_lshl_add_u32 v12, v12, 23, v14
	v_or3_b32 v10, v11, v12, v10
.LBB50_636:
	s_or_b64 exec, exec, s[6:7]
	s_movk_i32 s4, 0x7f
	v_cmp_gt_i16_sdwa s[6:7], v13, s4 src0_sel:BYTE_3 src1_sel:DWORD
	s_mov_b64 s[4:5], 0
                                        ; implicit-def: $sgpr10
	s_and_saveexec_b64 s[8:9], s[6:7]
	s_xor_b64 s[6:7], exec, s[8:9]
	s_cbranch_execnz .LBB50_2685
; %bb.637:
	s_or_saveexec_b64 s[6:7], s[6:7]
	v_mov_b32_e32 v11, s10
	s_xor_b64 exec, exec, s[6:7]
	s_cbranch_execnz .LBB50_2688
.LBB50_638:
	s_or_b64 exec, exec, s[6:7]
	s_and_saveexec_b64 s[6:7], s[4:5]
	s_cbranch_execz .LBB50_640
.LBB50_639:
	v_bfe_u32 v11, v13, 24, 3
	v_ffbh_u32_e32 v16, v11
	v_min_u32_e32 v16, 32, v16
	v_lshrrev_b32_e32 v14, 27, v13
	v_subrev_u32_e32 v17, 28, v16
	v_and_b32_e32 v12, 0x80000000, v13
	v_and_b32_e32 v14, 15, v14
	v_bfe_u32 v15, v13, 27, 4
	v_lshlrev_b32_sdwa v13, v17, v13 dst_sel:DWORD dst_unused:UNUSED_PAD src0_sel:DWORD src1_sel:BYTE_3
	v_sub_u32_e32 v16, 29, v16
	v_and_b32_e32 v13, 7, v13
	v_cmp_eq_u16_e32 vcc, 0, v14
	v_cndmask_b32_e32 v11, v11, v13, vcc
	v_cndmask_b32_e32 v13, v15, v16, vcc
	v_mov_b32_e32 v14, 0x3b800000
	v_lshlrev_b32_e32 v11, 20, v11
	v_lshl_add_u32 v13, v13, 23, v14
	v_or3_b32 v11, v12, v13, v11
.LBB50_640:
	s_or_b64 exec, exec, s[6:7]
	s_nop 0
	v_mfma_f32_16x16x4f32 a[0:3], v10, v11, a[0:3]
	s_movk_i32 s4, 0x7f
	v_cmp_gt_i16_sdwa s[6:7], v6, s4 src0_sel:BYTE_0 src1_sel:DWORD
	s_mov_b64 s[4:5], 0
                                        ; implicit-def: $sgpr10
	s_and_saveexec_b64 s[8:9], s[6:7]
	s_xor_b64 s[6:7], exec, s[8:9]
	s_cbranch_execnz .LBB50_2689
; %bb.641:
	s_or_saveexec_b64 s[6:7], s[6:7]
	v_mov_b32_e32 v10, s10
	s_xor_b64 exec, exec, s[6:7]
	s_cbranch_execnz .LBB50_2692
.LBB50_642:
	s_or_b64 exec, exec, s[6:7]
	s_and_saveexec_b64 s[6:7], s[4:5]
	s_cbranch_execz .LBB50_644
.LBB50_643:
	v_and_b32_e32 v10, 7, v6
	v_ffbh_u32_e32 v12, v10
	v_min_u32_e32 v12, 32, v12
	v_lshrrev_b16_e32 v11, 3, v6
	v_subrev_u32_e32 v13, 28, v12
	v_and_b32_e32 v11, 15, v11
	v_lshlrev_b32_e32 v13, v13, v6
	v_sub_u32_e32 v12, 29, v12
	v_and_b32_e32 v13, 7, v13
	v_cmp_eq_u16_e32 vcc, 0, v11
	v_cndmask_b32_e32 v10, v10, v13, vcc
	v_cndmask_b32_e32 v11, v11, v12, vcc
	v_lshlrev_b32_e32 v12, 24, v6
	v_mov_b32_e32 v13, 0x3b800000
	v_lshlrev_b32_e32 v10, 20, v10
	v_and_b32_e32 v12, 0x80000000, v12
	v_lshl_add_u32 v11, v11, 23, v13
	v_or3_b32 v10, v12, v11, v10
.LBB50_644:
	s_or_b64 exec, exec, s[6:7]
	s_movk_i32 s4, 0x7f
	v_cmp_gt_i16_sdwa s[6:7], v2, s4 src0_sel:BYTE_0 src1_sel:DWORD
	s_mov_b64 s[4:5], 0
                                        ; implicit-def: $sgpr10
	s_and_saveexec_b64 s[8:9], s[6:7]
	s_xor_b64 s[6:7], exec, s[8:9]
	s_cbranch_execnz .LBB50_2693
; %bb.645:
	s_or_saveexec_b64 s[6:7], s[6:7]
	v_mov_b32_e32 v11, s10
	s_xor_b64 exec, exec, s[6:7]
	s_cbranch_execnz .LBB50_2696
.LBB50_646:
	s_or_b64 exec, exec, s[6:7]
	s_and_saveexec_b64 s[6:7], s[4:5]
	s_cbranch_execz .LBB50_648
.LBB50_647:
	v_and_b32_e32 v11, 7, v2
	v_ffbh_u32_e32 v13, v11
	v_min_u32_e32 v13, 32, v13
	v_lshrrev_b16_e32 v12, 3, v2
	v_subrev_u32_e32 v14, 28, v13
	v_and_b32_e32 v12, 15, v12
	v_lshlrev_b32_e32 v14, v14, v2
	v_sub_u32_e32 v13, 29, v13
	v_and_b32_e32 v14, 7, v14
	v_cmp_eq_u16_e32 vcc, 0, v12
	v_cndmask_b32_e32 v11, v11, v14, vcc
	v_cndmask_b32_e32 v12, v12, v13, vcc
	v_lshlrev_b32_e32 v13, 24, v2
	v_mov_b32_e32 v14, 0x3b800000
	v_lshlrev_b32_e32 v11, 20, v11
	v_and_b32_e32 v13, 0x80000000, v13
	v_lshl_add_u32 v12, v12, 23, v14
	v_or3_b32 v11, v13, v12, v11
.LBB50_648:
	s_or_b64 exec, exec, s[6:7]
	s_nop 0
	v_mfma_f32_16x16x4f32 a[0:3], v10, v11, a[0:3]
	v_lshrrev_b32_e32 v11, 8, v6
	s_movk_i32 s4, 0x7f
	v_cmp_gt_i16_sdwa s[6:7], v11, s4 src0_sel:BYTE_0 src1_sel:DWORD
	s_mov_b64 s[4:5], 0
                                        ; implicit-def: $sgpr10
	s_and_saveexec_b64 s[8:9], s[6:7]
	s_xor_b64 s[6:7], exec, s[8:9]
	s_cbranch_execnz .LBB50_2697
; %bb.649:
	s_or_saveexec_b64 s[6:7], s[6:7]
	v_mov_b32_e32 v10, s10
	s_xor_b64 exec, exec, s[6:7]
	s_cbranch_execnz .LBB50_2700
.LBB50_650:
	s_or_b64 exec, exec, s[6:7]
	s_and_saveexec_b64 s[6:7], s[4:5]
	s_cbranch_execz .LBB50_652
.LBB50_651:
	v_bfe_u32 v10, v6, 8, 3
	v_ffbh_u32_e32 v13, v10
	v_min_u32_e32 v13, 32, v13
	v_lshrrev_b16_e32 v12, 3, v11
	v_subrev_u32_e32 v14, 28, v13
	v_and_b32_e32 v12, 15, v12
	v_lshlrev_b32_e32 v11, v14, v11
	v_sub_u32_e32 v13, 29, v13
	v_and_b32_e32 v11, 7, v11
	v_cmp_eq_u16_e32 vcc, 0, v12
	v_cndmask_b32_e32 v10, v10, v11, vcc
	v_cndmask_b32_e32 v11, v12, v13, vcc
	v_lshlrev_b32_e32 v12, 16, v6
	v_mov_b32_e32 v13, 0x3b800000
	v_lshlrev_b32_e32 v10, 20, v10
	v_and_b32_e32 v12, 0x80000000, v12
	v_lshl_add_u32 v11, v11, 23, v13
	v_or3_b32 v10, v12, v11, v10
.LBB50_652:
	s_or_b64 exec, exec, s[6:7]
	v_lshrrev_b32_e32 v11, 8, v2
	s_movk_i32 s4, 0x7f
	v_cmp_gt_i16_sdwa s[6:7], v11, s4 src0_sel:BYTE_0 src1_sel:DWORD
	s_mov_b64 s[4:5], 0
                                        ; implicit-def: $sgpr10
	s_and_saveexec_b64 s[8:9], s[6:7]
	s_xor_b64 s[6:7], exec, s[8:9]
	s_cbranch_execnz .LBB50_2701
; %bb.653:
	s_or_saveexec_b64 s[6:7], s[6:7]
	v_mov_b32_e32 v12, s10
	s_xor_b64 exec, exec, s[6:7]
	s_cbranch_execnz .LBB50_2704
.LBB50_654:
	s_or_b64 exec, exec, s[6:7]
	s_and_saveexec_b64 s[6:7], s[4:5]
	s_cbranch_execz .LBB50_656
.LBB50_655:
	v_bfe_u32 v12, v2, 8, 3
	v_ffbh_u32_e32 v14, v12
	v_min_u32_e32 v14, 32, v14
	v_lshrrev_b16_e32 v13, 3, v11
	v_subrev_u32_e32 v15, 28, v14
	v_and_b32_e32 v13, 15, v13
	v_lshlrev_b32_e32 v11, v15, v11
	v_sub_u32_e32 v14, 29, v14
	v_and_b32_e32 v11, 7, v11
	v_cmp_eq_u16_e32 vcc, 0, v13
	v_cndmask_b32_e32 v11, v12, v11, vcc
	v_cndmask_b32_e32 v12, v13, v14, vcc
	v_lshlrev_b32_e32 v13, 16, v2
	v_mov_b32_e32 v14, 0x3b800000
	v_lshlrev_b32_e32 v11, 20, v11
	v_and_b32_e32 v13, 0x80000000, v13
	v_lshl_add_u32 v12, v12, 23, v14
	v_or3_b32 v12, v13, v12, v11
.LBB50_656:
	s_or_b64 exec, exec, s[6:7]
	s_nop 0
	v_mfma_f32_16x16x4f32 a[0:3], v10, v12, a[0:3]
	s_movk_i32 s4, 0xff
	v_and_b32_sdwa v11, v6, s4 dst_sel:DWORD dst_unused:UNUSED_PAD src0_sel:WORD_1 src1_sel:DWORD
	s_movk_i32 s4, 0x7f
	v_cmp_lt_i16_e32 vcc, s4, v11
	s_mov_b64 s[4:5], 0
                                        ; implicit-def: $sgpr10
	s_and_saveexec_b64 s[6:7], vcc
	s_xor_b64 s[6:7], exec, s[6:7]
	s_cbranch_execnz .LBB50_2705
; %bb.657:
	s_or_saveexec_b64 s[6:7], s[6:7]
	v_mov_b32_e32 v10, s10
	s_xor_b64 exec, exec, s[6:7]
	s_cbranch_execnz .LBB50_2708
.LBB50_658:
	s_or_b64 exec, exec, s[6:7]
	s_and_saveexec_b64 s[6:7], s[4:5]
	s_cbranch_execz .LBB50_660
.LBB50_659:
	v_bfe_u32 v10, v6, 16, 3
	v_ffbh_u32_e32 v13, v10
	v_min_u32_e32 v13, 32, v13
	v_lshrrev_b32_e32 v11, 19, v6
	v_subrev_u32_e32 v14, 28, v13
	v_and_b32_e32 v11, 15, v11
	v_lshlrev_b32_sdwa v14, v14, v6 dst_sel:DWORD dst_unused:UNUSED_PAD src0_sel:DWORD src1_sel:WORD_1
	v_bfe_u32 v12, v6, 19, 4
	v_sub_u32_e32 v13, 29, v13
	v_and_b32_e32 v14, 7, v14
	v_cmp_eq_u16_e32 vcc, 0, v11
	v_cndmask_b32_e32 v10, v10, v14, vcc
	v_cndmask_b32_e32 v11, v12, v13, vcc
	v_lshlrev_b32_e32 v12, 8, v6
	v_mov_b32_e32 v13, 0x3b800000
	v_lshlrev_b32_e32 v10, 20, v10
	v_and_b32_e32 v12, 0x80000000, v12
	v_lshl_add_u32 v11, v11, 23, v13
	v_or3_b32 v10, v12, v11, v10
.LBB50_660:
	s_or_b64 exec, exec, s[6:7]
	s_movk_i32 s4, 0xff
	v_and_b32_sdwa v11, v2, s4 dst_sel:DWORD dst_unused:UNUSED_PAD src0_sel:WORD_1 src1_sel:DWORD
	s_movk_i32 s4, 0x7f
	v_cmp_lt_i16_e32 vcc, s4, v11
	s_mov_b64 s[4:5], 0
                                        ; implicit-def: $sgpr10
	s_and_saveexec_b64 s[6:7], vcc
	s_xor_b64 s[6:7], exec, s[6:7]
	s_cbranch_execnz .LBB50_2709
; %bb.661:
	s_or_saveexec_b64 s[6:7], s[6:7]
	v_mov_b32_e32 v12, s10
	s_xor_b64 exec, exec, s[6:7]
	s_cbranch_execnz .LBB50_2712
.LBB50_662:
	s_or_b64 exec, exec, s[6:7]
	s_and_saveexec_b64 s[6:7], s[4:5]
	s_cbranch_execz .LBB50_664
.LBB50_663:
	v_bfe_u32 v11, v2, 16, 3
	v_ffbh_u32_e32 v14, v11
	v_min_u32_e32 v14, 32, v14
	v_lshrrev_b32_e32 v12, 19, v2
	v_subrev_u32_e32 v15, 28, v14
	v_and_b32_e32 v12, 15, v12
	v_lshlrev_b32_sdwa v15, v15, v2 dst_sel:DWORD dst_unused:UNUSED_PAD src0_sel:DWORD src1_sel:WORD_1
	v_bfe_u32 v13, v2, 19, 4
	v_sub_u32_e32 v14, 29, v14
	v_and_b32_e32 v15, 7, v15
	v_cmp_eq_u16_e32 vcc, 0, v12
	v_cndmask_b32_e32 v11, v11, v15, vcc
	v_cndmask_b32_e32 v12, v13, v14, vcc
	v_lshlrev_b32_e32 v13, 8, v2
	v_mov_b32_e32 v14, 0x3b800000
	v_lshlrev_b32_e32 v11, 20, v11
	v_and_b32_e32 v13, 0x80000000, v13
	v_lshl_add_u32 v12, v12, 23, v14
	v_or3_b32 v12, v13, v12, v11
.LBB50_664:
	s_or_b64 exec, exec, s[6:7]
	s_nop 0
	v_mfma_f32_16x16x4f32 a[0:3], v10, v12, a[0:3]
	s_movk_i32 s4, 0x7f
	v_cmp_gt_i16_sdwa s[6:7], v6, s4 src0_sel:BYTE_3 src1_sel:DWORD
	s_mov_b64 s[4:5], 0
                                        ; implicit-def: $sgpr10
	s_and_saveexec_b64 s[8:9], s[6:7]
	s_xor_b64 s[6:7], exec, s[8:9]
	s_cbranch_execnz .LBB50_2713
; %bb.665:
	s_or_saveexec_b64 s[6:7], s[6:7]
	v_mov_b32_e32 v10, s10
	s_xor_b64 exec, exec, s[6:7]
	s_cbranch_execnz .LBB50_2716
.LBB50_666:
	s_or_b64 exec, exec, s[6:7]
	s_and_saveexec_b64 s[6:7], s[4:5]
	s_cbranch_execz .LBB50_668
.LBB50_667:
	v_bfe_u32 v10, v6, 24, 3
	v_ffbh_u32_e32 v14, v10
	v_min_u32_e32 v14, 32, v14
	v_lshrrev_b32_e32 v12, 27, v6
	v_subrev_u32_e32 v15, 28, v14
	v_and_b32_e32 v11, 0x80000000, v6
	v_and_b32_e32 v12, 15, v12
	v_bfe_u32 v13, v6, 27, 4
	v_lshlrev_b32_sdwa v6, v15, v6 dst_sel:DWORD dst_unused:UNUSED_PAD src0_sel:DWORD src1_sel:BYTE_3
	v_sub_u32_e32 v14, 29, v14
	v_and_b32_e32 v6, 7, v6
	v_cmp_eq_u16_e32 vcc, 0, v12
	v_cndmask_b32_e32 v6, v10, v6, vcc
	v_cndmask_b32_e32 v10, v13, v14, vcc
	v_mov_b32_e32 v12, 0x3b800000
	v_lshlrev_b32_e32 v6, 20, v6
	v_lshl_add_u32 v10, v10, 23, v12
	v_or3_b32 v10, v11, v10, v6
.LBB50_668:
	s_or_b64 exec, exec, s[6:7]
	s_movk_i32 s4, 0x7f
	v_cmp_gt_i16_sdwa s[6:7], v2, s4 src0_sel:BYTE_3 src1_sel:DWORD
	s_mov_b64 s[4:5], 0
                                        ; implicit-def: $sgpr10
	s_and_saveexec_b64 s[8:9], s[6:7]
	s_xor_b64 s[6:7], exec, s[8:9]
	s_cbranch_execnz .LBB50_2717
; %bb.669:
	s_or_saveexec_b64 s[6:7], s[6:7]
	v_mov_b32_e32 v6, s10
	s_xor_b64 exec, exec, s[6:7]
	s_cbranch_execnz .LBB50_2720
.LBB50_670:
	s_or_b64 exec, exec, s[6:7]
	s_and_saveexec_b64 s[6:7], s[4:5]
	s_cbranch_execz .LBB50_672
.LBB50_671:
	v_bfe_u32 v6, v2, 24, 3
	v_ffbh_u32_e32 v14, v6
	v_min_u32_e32 v14, 32, v14
	v_lshrrev_b32_e32 v12, 27, v2
	v_subrev_u32_e32 v15, 28, v14
	v_and_b32_e32 v11, 0x80000000, v2
	v_and_b32_e32 v12, 15, v12
	v_bfe_u32 v13, v2, 27, 4
	v_lshlrev_b32_sdwa v2, v15, v2 dst_sel:DWORD dst_unused:UNUSED_PAD src0_sel:DWORD src1_sel:BYTE_3
	v_sub_u32_e32 v14, 29, v14
	v_and_b32_e32 v2, 7, v2
	v_cmp_eq_u16_e32 vcc, 0, v12
	v_cndmask_b32_e32 v2, v6, v2, vcc
	v_cndmask_b32_e32 v6, v13, v14, vcc
	v_mov_b32_e32 v12, 0x3b800000
	v_lshlrev_b32_e32 v2, 20, v2
	v_lshl_add_u32 v6, v6, 23, v12
	v_or3_b32 v6, v11, v6, v2
.LBB50_672:
	s_or_b64 exec, exec, s[6:7]
	s_nop 0
	v_mfma_f32_16x16x4f32 a[0:3], v10, v6, a[0:3]
	s_movk_i32 s4, 0x7f
	v_cmp_gt_i16_sdwa s[6:7], v7, s4 src0_sel:BYTE_0 src1_sel:DWORD
	s_mov_b64 s[4:5], 0
                                        ; implicit-def: $sgpr10
	s_and_saveexec_b64 s[8:9], s[6:7]
	s_xor_b64 s[6:7], exec, s[8:9]
	s_cbranch_execnz .LBB50_2721
; %bb.673:
	s_or_saveexec_b64 s[6:7], s[6:7]
	v_mov_b32_e32 v2, s10
	s_xor_b64 exec, exec, s[6:7]
	s_cbranch_execnz .LBB50_2724
.LBB50_674:
	s_or_b64 exec, exec, s[6:7]
	s_and_saveexec_b64 s[6:7], s[4:5]
	s_cbranch_execz .LBB50_676
.LBB50_675:
	v_and_b32_e32 v2, 7, v7
	v_ffbh_u32_e32 v10, v2
	v_min_u32_e32 v10, 32, v10
	v_lshrrev_b16_e32 v6, 3, v7
	v_subrev_u32_e32 v11, 28, v10
	v_and_b32_e32 v6, 15, v6
	v_lshlrev_b32_e32 v11, v11, v7
	v_sub_u32_e32 v10, 29, v10
	v_and_b32_e32 v11, 7, v11
	v_cmp_eq_u16_e32 vcc, 0, v6
	v_cndmask_b32_e32 v2, v2, v11, vcc
	v_cndmask_b32_e32 v6, v6, v10, vcc
	v_lshlrev_b32_e32 v10, 24, v7
	v_mov_b32_e32 v11, 0x3b800000
	v_lshlrev_b32_e32 v2, 20, v2
	v_and_b32_e32 v10, 0x80000000, v10
	v_lshl_add_u32 v6, v6, 23, v11
	v_or3_b32 v2, v10, v6, v2
.LBB50_676:
	s_or_b64 exec, exec, s[6:7]
	s_movk_i32 s4, 0x7f
	v_cmp_gt_i16_sdwa s[6:7], v3, s4 src0_sel:BYTE_0 src1_sel:DWORD
	s_mov_b64 s[4:5], 0
                                        ; implicit-def: $sgpr10
	s_and_saveexec_b64 s[8:9], s[6:7]
	s_xor_b64 s[6:7], exec, s[8:9]
	s_cbranch_execnz .LBB50_2725
; %bb.677:
	s_or_saveexec_b64 s[6:7], s[6:7]
	v_mov_b32_e32 v6, s10
	s_xor_b64 exec, exec, s[6:7]
	s_cbranch_execnz .LBB50_2728
.LBB50_678:
	s_or_b64 exec, exec, s[6:7]
	s_and_saveexec_b64 s[6:7], s[4:5]
	s_cbranch_execz .LBB50_680
.LBB50_679:
	v_and_b32_e32 v6, 7, v3
	v_ffbh_u32_e32 v11, v6
	v_min_u32_e32 v11, 32, v11
	v_lshrrev_b16_e32 v10, 3, v3
	v_subrev_u32_e32 v12, 28, v11
	v_and_b32_e32 v10, 15, v10
	v_lshlrev_b32_e32 v12, v12, v3
	v_sub_u32_e32 v11, 29, v11
	v_and_b32_e32 v12, 7, v12
	v_cmp_eq_u16_e32 vcc, 0, v10
	v_cndmask_b32_e32 v6, v6, v12, vcc
	v_cndmask_b32_e32 v10, v10, v11, vcc
	v_lshlrev_b32_e32 v11, 24, v3
	v_mov_b32_e32 v12, 0x3b800000
	v_lshlrev_b32_e32 v6, 20, v6
	v_and_b32_e32 v11, 0x80000000, v11
	v_lshl_add_u32 v10, v10, 23, v12
	v_or3_b32 v6, v11, v10, v6
.LBB50_680:
	s_or_b64 exec, exec, s[6:7]
	s_nop 0
	v_mfma_f32_16x16x4f32 a[0:3], v2, v6, a[0:3]
	v_lshrrev_b32_e32 v6, 8, v7
	s_movk_i32 s4, 0x7f
	v_cmp_gt_i16_sdwa s[6:7], v6, s4 src0_sel:BYTE_0 src1_sel:DWORD
	s_mov_b64 s[4:5], 0
                                        ; implicit-def: $sgpr10
	s_and_saveexec_b64 s[8:9], s[6:7]
	s_xor_b64 s[6:7], exec, s[8:9]
	s_cbranch_execnz .LBB50_2729
; %bb.681:
	s_or_saveexec_b64 s[6:7], s[6:7]
	v_mov_b32_e32 v2, s10
	s_xor_b64 exec, exec, s[6:7]
	s_cbranch_execnz .LBB50_2732
.LBB50_682:
	s_or_b64 exec, exec, s[6:7]
	s_and_saveexec_b64 s[6:7], s[4:5]
	s_cbranch_execz .LBB50_684
.LBB50_683:
	v_bfe_u32 v2, v7, 8, 3
	v_ffbh_u32_e32 v11, v2
	v_min_u32_e32 v11, 32, v11
	v_lshrrev_b16_e32 v10, 3, v6
	v_subrev_u32_e32 v12, 28, v11
	v_and_b32_e32 v10, 15, v10
	v_lshlrev_b32_e32 v6, v12, v6
	v_sub_u32_e32 v11, 29, v11
	v_and_b32_e32 v6, 7, v6
	v_cmp_eq_u16_e32 vcc, 0, v10
	v_cndmask_b32_e32 v2, v2, v6, vcc
	v_cndmask_b32_e32 v6, v10, v11, vcc
	v_lshlrev_b32_e32 v10, 16, v7
	v_mov_b32_e32 v11, 0x3b800000
	v_lshlrev_b32_e32 v2, 20, v2
	v_and_b32_e32 v10, 0x80000000, v10
	v_lshl_add_u32 v6, v6, 23, v11
	v_or3_b32 v2, v10, v6, v2
.LBB50_684:
	s_or_b64 exec, exec, s[6:7]
	v_lshrrev_b32_e32 v6, 8, v3
	s_movk_i32 s4, 0x7f
	v_cmp_gt_i16_sdwa s[6:7], v6, s4 src0_sel:BYTE_0 src1_sel:DWORD
	s_mov_b64 s[4:5], 0
                                        ; implicit-def: $sgpr10
	s_and_saveexec_b64 s[8:9], s[6:7]
	s_xor_b64 s[6:7], exec, s[8:9]
	s_cbranch_execnz .LBB50_2733
; %bb.685:
	s_or_saveexec_b64 s[6:7], s[6:7]
	v_mov_b32_e32 v10, s10
	s_xor_b64 exec, exec, s[6:7]
	s_cbranch_execnz .LBB50_2736
.LBB50_686:
	s_or_b64 exec, exec, s[6:7]
	s_and_saveexec_b64 s[6:7], s[4:5]
	s_cbranch_execz .LBB50_688
.LBB50_687:
	v_bfe_u32 v10, v3, 8, 3
	v_ffbh_u32_e32 v12, v10
	v_min_u32_e32 v12, 32, v12
	v_lshrrev_b16_e32 v11, 3, v6
	v_subrev_u32_e32 v13, 28, v12
	v_and_b32_e32 v11, 15, v11
	v_lshlrev_b32_e32 v6, v13, v6
	v_sub_u32_e32 v12, 29, v12
	v_and_b32_e32 v6, 7, v6
	v_cmp_eq_u16_e32 vcc, 0, v11
	v_cndmask_b32_e32 v6, v10, v6, vcc
	v_cndmask_b32_e32 v10, v11, v12, vcc
	v_lshlrev_b32_e32 v11, 16, v3
	v_mov_b32_e32 v12, 0x3b800000
	v_lshlrev_b32_e32 v6, 20, v6
	v_and_b32_e32 v11, 0x80000000, v11
	v_lshl_add_u32 v10, v10, 23, v12
	v_or3_b32 v10, v11, v10, v6
.LBB50_688:
	s_or_b64 exec, exec, s[6:7]
	s_nop 0
	v_mfma_f32_16x16x4f32 a[0:3], v2, v10, a[0:3]
	s_movk_i32 s4, 0xff
	v_and_b32_sdwa v6, v7, s4 dst_sel:DWORD dst_unused:UNUSED_PAD src0_sel:WORD_1 src1_sel:DWORD
	s_movk_i32 s4, 0x7f
	v_cmp_lt_i16_e32 vcc, s4, v6
	s_mov_b64 s[4:5], 0
                                        ; implicit-def: $sgpr10
	s_and_saveexec_b64 s[6:7], vcc
	s_xor_b64 s[6:7], exec, s[6:7]
	s_cbranch_execnz .LBB50_2737
; %bb.689:
	s_or_saveexec_b64 s[6:7], s[6:7]
	v_mov_b32_e32 v2, s10
	s_xor_b64 exec, exec, s[6:7]
	s_cbranch_execnz .LBB50_2740
.LBB50_690:
	s_or_b64 exec, exec, s[6:7]
	s_and_saveexec_b64 s[6:7], s[4:5]
	s_cbranch_execz .LBB50_692
.LBB50_691:
	v_bfe_u32 v2, v7, 16, 3
	v_ffbh_u32_e32 v11, v2
	v_min_u32_e32 v11, 32, v11
	v_lshrrev_b32_e32 v6, 19, v7
	v_subrev_u32_e32 v12, 28, v11
	v_and_b32_e32 v6, 15, v6
	v_lshlrev_b32_sdwa v12, v12, v7 dst_sel:DWORD dst_unused:UNUSED_PAD src0_sel:DWORD src1_sel:WORD_1
	v_bfe_u32 v10, v7, 19, 4
	v_sub_u32_e32 v11, 29, v11
	v_and_b32_e32 v12, 7, v12
	v_cmp_eq_u16_e32 vcc, 0, v6
	v_cndmask_b32_e32 v2, v2, v12, vcc
	v_cndmask_b32_e32 v6, v10, v11, vcc
	v_lshlrev_b32_e32 v10, 8, v7
	v_mov_b32_e32 v11, 0x3b800000
	v_lshlrev_b32_e32 v2, 20, v2
	v_and_b32_e32 v10, 0x80000000, v10
	v_lshl_add_u32 v6, v6, 23, v11
	v_or3_b32 v2, v10, v6, v2
.LBB50_692:
	s_or_b64 exec, exec, s[6:7]
	s_movk_i32 s4, 0xff
	v_and_b32_sdwa v6, v3, s4 dst_sel:DWORD dst_unused:UNUSED_PAD src0_sel:WORD_1 src1_sel:DWORD
	s_movk_i32 s4, 0x7f
	v_cmp_lt_i16_e32 vcc, s4, v6
	s_mov_b64 s[4:5], 0
                                        ; implicit-def: $sgpr10
	s_and_saveexec_b64 s[6:7], vcc
	s_xor_b64 s[6:7], exec, s[6:7]
	s_cbranch_execnz .LBB50_2741
; %bb.693:
	s_or_saveexec_b64 s[6:7], s[6:7]
	v_mov_b32_e32 v10, s10
	s_xor_b64 exec, exec, s[6:7]
	s_cbranch_execnz .LBB50_2744
.LBB50_694:
	s_or_b64 exec, exec, s[6:7]
	s_and_saveexec_b64 s[6:7], s[4:5]
	s_cbranch_execz .LBB50_696
.LBB50_695:
	v_bfe_u32 v6, v3, 16, 3
	v_ffbh_u32_e32 v12, v6
	v_min_u32_e32 v12, 32, v12
	v_lshrrev_b32_e32 v10, 19, v3
	v_subrev_u32_e32 v13, 28, v12
	v_and_b32_e32 v10, 15, v10
	v_lshlrev_b32_sdwa v13, v13, v3 dst_sel:DWORD dst_unused:UNUSED_PAD src0_sel:DWORD src1_sel:WORD_1
	v_bfe_u32 v11, v3, 19, 4
	v_sub_u32_e32 v12, 29, v12
	v_and_b32_e32 v13, 7, v13
	v_cmp_eq_u16_e32 vcc, 0, v10
	v_cndmask_b32_e32 v6, v6, v13, vcc
	v_cndmask_b32_e32 v10, v11, v12, vcc
	v_lshlrev_b32_e32 v11, 8, v3
	v_mov_b32_e32 v12, 0x3b800000
	v_lshlrev_b32_e32 v6, 20, v6
	v_and_b32_e32 v11, 0x80000000, v11
	v_lshl_add_u32 v10, v10, 23, v12
	v_or3_b32 v10, v11, v10, v6
.LBB50_696:
	s_or_b64 exec, exec, s[6:7]
	s_nop 0
	v_mfma_f32_16x16x4f32 a[0:3], v2, v10, a[0:3]
	s_movk_i32 s4, 0x7f
	v_cmp_gt_i16_sdwa s[6:7], v7, s4 src0_sel:BYTE_3 src1_sel:DWORD
	s_mov_b64 s[4:5], 0
                                        ; implicit-def: $sgpr10
	s_and_saveexec_b64 s[8:9], s[6:7]
	s_xor_b64 s[6:7], exec, s[8:9]
	s_cbranch_execnz .LBB50_2745
; %bb.697:
	s_or_saveexec_b64 s[6:7], s[6:7]
	v_mov_b32_e32 v2, s10
	s_xor_b64 exec, exec, s[6:7]
	s_cbranch_execnz .LBB50_2748
.LBB50_698:
	s_or_b64 exec, exec, s[6:7]
	s_and_saveexec_b64 s[6:7], s[4:5]
	s_cbranch_execz .LBB50_700
.LBB50_699:
	v_bfe_u32 v2, v7, 24, 3
	v_ffbh_u32_e32 v12, v2
	v_min_u32_e32 v12, 32, v12
	v_lshrrev_b32_e32 v10, 27, v7
	v_subrev_u32_e32 v13, 28, v12
	v_and_b32_e32 v6, 0x80000000, v7
	v_and_b32_e32 v10, 15, v10
	v_bfe_u32 v11, v7, 27, 4
	v_lshlrev_b32_sdwa v7, v13, v7 dst_sel:DWORD dst_unused:UNUSED_PAD src0_sel:DWORD src1_sel:BYTE_3
	v_sub_u32_e32 v12, 29, v12
	v_and_b32_e32 v7, 7, v7
	v_cmp_eq_u16_e32 vcc, 0, v10
	v_cndmask_b32_e32 v2, v2, v7, vcc
	v_cndmask_b32_e32 v7, v11, v12, vcc
	v_mov_b32_e32 v10, 0x3b800000
	v_lshlrev_b32_e32 v2, 20, v2
	v_lshl_add_u32 v7, v7, 23, v10
	v_or3_b32 v2, v6, v7, v2
.LBB50_700:
	s_or_b64 exec, exec, s[6:7]
	s_movk_i32 s4, 0x7f
	v_cmp_gt_i16_sdwa s[6:7], v3, s4 src0_sel:BYTE_3 src1_sel:DWORD
	s_mov_b64 s[4:5], 0
                                        ; implicit-def: $sgpr10
	s_and_saveexec_b64 s[8:9], s[6:7]
	s_xor_b64 s[6:7], exec, s[8:9]
	s_cbranch_execnz .LBB50_2749
; %bb.701:
	s_or_saveexec_b64 s[6:7], s[6:7]
	v_mov_b32_e32 v6, s10
	s_xor_b64 exec, exec, s[6:7]
	s_cbranch_execnz .LBB50_2752
.LBB50_702:
	s_or_b64 exec, exec, s[6:7]
	s_and_saveexec_b64 s[6:7], s[4:5]
	s_cbranch_execz .LBB50_704
.LBB50_703:
	v_bfe_u32 v6, v3, 24, 3
	v_ffbh_u32_e32 v12, v6
	v_min_u32_e32 v12, 32, v12
	v_lshrrev_b32_e32 v10, 27, v3
	v_subrev_u32_e32 v13, 28, v12
	v_and_b32_e32 v7, 0x80000000, v3
	v_and_b32_e32 v10, 15, v10
	v_bfe_u32 v11, v3, 27, 4
	v_lshlrev_b32_sdwa v3, v13, v3 dst_sel:DWORD dst_unused:UNUSED_PAD src0_sel:DWORD src1_sel:BYTE_3
	v_sub_u32_e32 v12, 29, v12
	v_and_b32_e32 v3, 7, v3
	v_cmp_eq_u16_e32 vcc, 0, v10
	v_cndmask_b32_e32 v3, v6, v3, vcc
	v_cndmask_b32_e32 v6, v11, v12, vcc
	v_mov_b32_e32 v10, 0x3b800000
	v_lshlrev_b32_e32 v3, 20, v3
	v_lshl_add_u32 v6, v6, 23, v10
	v_or3_b32 v6, v7, v6, v3
.LBB50_704:
	s_or_b64 exec, exec, s[6:7]
	s_nop 0
	v_mfma_f32_16x16x4f32 a[0:3], v2, v6, a[0:3]
	s_movk_i32 s4, 0x7f
	v_cmp_gt_i16_sdwa s[6:7], v8, s4 src0_sel:BYTE_0 src1_sel:DWORD
	s_mov_b64 s[4:5], 0
                                        ; implicit-def: $sgpr10
	s_and_saveexec_b64 s[8:9], s[6:7]
	s_xor_b64 s[6:7], exec, s[8:9]
	s_cbranch_execnz .LBB50_2753
; %bb.705:
	s_or_saveexec_b64 s[6:7], s[6:7]
	v_mov_b32_e32 v2, s10
	s_xor_b64 exec, exec, s[6:7]
	s_cbranch_execnz .LBB50_2756
.LBB50_706:
	s_or_b64 exec, exec, s[6:7]
	s_and_saveexec_b64 s[6:7], s[4:5]
	s_cbranch_execz .LBB50_708
.LBB50_707:
	v_and_b32_e32 v2, 7, v8
	v_ffbh_u32_e32 v6, v2
	v_min_u32_e32 v6, 32, v6
	v_lshrrev_b16_e32 v3, 3, v8
	v_subrev_u32_e32 v7, 28, v6
	v_and_b32_e32 v3, 15, v3
	v_lshlrev_b32_e32 v7, v7, v8
	v_sub_u32_e32 v6, 29, v6
	v_and_b32_e32 v7, 7, v7
	v_cmp_eq_u16_e32 vcc, 0, v3
	v_cndmask_b32_e32 v2, v2, v7, vcc
	v_cndmask_b32_e32 v3, v3, v6, vcc
	v_lshlrev_b32_e32 v6, 24, v8
	v_mov_b32_e32 v7, 0x3b800000
	v_lshlrev_b32_e32 v2, 20, v2
	v_and_b32_e32 v6, 0x80000000, v6
	v_lshl_add_u32 v3, v3, 23, v7
	v_or3_b32 v2, v6, v3, v2
.LBB50_708:
	s_or_b64 exec, exec, s[6:7]
	s_movk_i32 s4, 0x7f
	v_cmp_gt_i16_sdwa s[6:7], v4, s4 src0_sel:BYTE_0 src1_sel:DWORD
	s_mov_b64 s[4:5], 0
                                        ; implicit-def: $sgpr10
	s_and_saveexec_b64 s[8:9], s[6:7]
	s_xor_b64 s[6:7], exec, s[8:9]
	s_cbranch_execnz .LBB50_2757
; %bb.709:
	s_or_saveexec_b64 s[6:7], s[6:7]
	v_mov_b32_e32 v3, s10
	s_xor_b64 exec, exec, s[6:7]
	s_cbranch_execnz .LBB50_2760
.LBB50_710:
	s_or_b64 exec, exec, s[6:7]
	s_and_saveexec_b64 s[6:7], s[4:5]
	s_cbranch_execz .LBB50_712
.LBB50_711:
	v_and_b32_e32 v3, 7, v4
	v_ffbh_u32_e32 v7, v3
	v_min_u32_e32 v7, 32, v7
	v_lshrrev_b16_e32 v6, 3, v4
	v_subrev_u32_e32 v10, 28, v7
	v_and_b32_e32 v6, 15, v6
	v_lshlrev_b32_e32 v10, v10, v4
	v_sub_u32_e32 v7, 29, v7
	v_and_b32_e32 v10, 7, v10
	v_cmp_eq_u16_e32 vcc, 0, v6
	v_cndmask_b32_e32 v3, v3, v10, vcc
	v_cndmask_b32_e32 v6, v6, v7, vcc
	v_lshlrev_b32_e32 v7, 24, v4
	v_mov_b32_e32 v10, 0x3b800000
	v_lshlrev_b32_e32 v3, 20, v3
	v_and_b32_e32 v7, 0x80000000, v7
	v_lshl_add_u32 v6, v6, 23, v10
	v_or3_b32 v3, v7, v6, v3
.LBB50_712:
	s_or_b64 exec, exec, s[6:7]
	s_nop 0
	v_mfma_f32_16x16x4f32 a[0:3], v2, v3, a[0:3]
	v_lshrrev_b32_e32 v3, 8, v8
	s_movk_i32 s4, 0x7f
	v_cmp_gt_i16_sdwa s[6:7], v3, s4 src0_sel:BYTE_0 src1_sel:DWORD
	s_mov_b64 s[4:5], 0
                                        ; implicit-def: $sgpr10
	s_and_saveexec_b64 s[8:9], s[6:7]
	s_xor_b64 s[6:7], exec, s[8:9]
	s_cbranch_execnz .LBB50_2761
; %bb.713:
	s_or_saveexec_b64 s[6:7], s[6:7]
	v_mov_b32_e32 v2, s10
	s_xor_b64 exec, exec, s[6:7]
	s_cbranch_execnz .LBB50_2764
.LBB50_714:
	s_or_b64 exec, exec, s[6:7]
	s_and_saveexec_b64 s[6:7], s[4:5]
	s_cbranch_execz .LBB50_716
.LBB50_715:
	v_bfe_u32 v2, v8, 8, 3
	v_ffbh_u32_e32 v7, v2
	v_min_u32_e32 v7, 32, v7
	v_lshrrev_b16_e32 v6, 3, v3
	v_subrev_u32_e32 v10, 28, v7
	v_and_b32_e32 v6, 15, v6
	v_lshlrev_b32_e32 v3, v10, v3
	v_sub_u32_e32 v7, 29, v7
	v_and_b32_e32 v3, 7, v3
	v_cmp_eq_u16_e32 vcc, 0, v6
	v_cndmask_b32_e32 v2, v2, v3, vcc
	v_cndmask_b32_e32 v3, v6, v7, vcc
	v_lshlrev_b32_e32 v6, 16, v8
	v_mov_b32_e32 v7, 0x3b800000
	v_lshlrev_b32_e32 v2, 20, v2
	v_and_b32_e32 v6, 0x80000000, v6
	v_lshl_add_u32 v3, v3, 23, v7
	v_or3_b32 v2, v6, v3, v2
.LBB50_716:
	s_or_b64 exec, exec, s[6:7]
	v_lshrrev_b32_e32 v3, 8, v4
	s_movk_i32 s4, 0x7f
	v_cmp_gt_i16_sdwa s[6:7], v3, s4 src0_sel:BYTE_0 src1_sel:DWORD
	s_mov_b64 s[4:5], 0
                                        ; implicit-def: $sgpr10
	s_and_saveexec_b64 s[8:9], s[6:7]
	s_xor_b64 s[6:7], exec, s[8:9]
	s_cbranch_execnz .LBB50_2765
; %bb.717:
	s_or_saveexec_b64 s[6:7], s[6:7]
	v_mov_b32_e32 v6, s10
	s_xor_b64 exec, exec, s[6:7]
	s_cbranch_execnz .LBB50_2768
.LBB50_718:
	s_or_b64 exec, exec, s[6:7]
	s_and_saveexec_b64 s[6:7], s[4:5]
	s_cbranch_execz .LBB50_720
.LBB50_719:
	v_bfe_u32 v6, v4, 8, 3
	v_ffbh_u32_e32 v10, v6
	v_min_u32_e32 v10, 32, v10
	v_lshrrev_b16_e32 v7, 3, v3
	v_subrev_u32_e32 v11, 28, v10
	v_and_b32_e32 v7, 15, v7
	v_lshlrev_b32_e32 v3, v11, v3
	v_sub_u32_e32 v10, 29, v10
	v_and_b32_e32 v3, 7, v3
	v_cmp_eq_u16_e32 vcc, 0, v7
	v_cndmask_b32_e32 v3, v6, v3, vcc
	v_cndmask_b32_e32 v6, v7, v10, vcc
	v_lshlrev_b32_e32 v7, 16, v4
	v_mov_b32_e32 v10, 0x3b800000
	v_lshlrev_b32_e32 v3, 20, v3
	v_and_b32_e32 v7, 0x80000000, v7
	v_lshl_add_u32 v6, v6, 23, v10
	v_or3_b32 v6, v7, v6, v3
.LBB50_720:
	s_or_b64 exec, exec, s[6:7]
	s_nop 0
	v_mfma_f32_16x16x4f32 a[0:3], v2, v6, a[0:3]
	s_movk_i32 s4, 0xff
	v_and_b32_sdwa v3, v8, s4 dst_sel:DWORD dst_unused:UNUSED_PAD src0_sel:WORD_1 src1_sel:DWORD
	s_movk_i32 s4, 0x7f
	v_cmp_lt_i16_e32 vcc, s4, v3
	s_mov_b64 s[4:5], 0
                                        ; implicit-def: $sgpr10
	s_and_saveexec_b64 s[6:7], vcc
	s_xor_b64 s[6:7], exec, s[6:7]
	s_cbranch_execnz .LBB50_2769
; %bb.721:
	s_or_saveexec_b64 s[6:7], s[6:7]
	v_mov_b32_e32 v2, s10
	s_xor_b64 exec, exec, s[6:7]
	s_cbranch_execnz .LBB50_2772
.LBB50_722:
	s_or_b64 exec, exec, s[6:7]
	s_and_saveexec_b64 s[6:7], s[4:5]
	s_cbranch_execz .LBB50_724
.LBB50_723:
	v_bfe_u32 v2, v8, 16, 3
	v_ffbh_u32_e32 v7, v2
	v_min_u32_e32 v7, 32, v7
	v_lshrrev_b32_e32 v3, 19, v8
	v_subrev_u32_e32 v10, 28, v7
	v_and_b32_e32 v3, 15, v3
	v_lshlrev_b32_sdwa v10, v10, v8 dst_sel:DWORD dst_unused:UNUSED_PAD src0_sel:DWORD src1_sel:WORD_1
	v_bfe_u32 v6, v8, 19, 4
	v_sub_u32_e32 v7, 29, v7
	v_and_b32_e32 v10, 7, v10
	v_cmp_eq_u16_e32 vcc, 0, v3
	v_cndmask_b32_e32 v2, v2, v10, vcc
	v_cndmask_b32_e32 v3, v6, v7, vcc
	v_lshlrev_b32_e32 v6, 8, v8
	v_mov_b32_e32 v7, 0x3b800000
	v_lshlrev_b32_e32 v2, 20, v2
	v_and_b32_e32 v6, 0x80000000, v6
	v_lshl_add_u32 v3, v3, 23, v7
	v_or3_b32 v2, v6, v3, v2
.LBB50_724:
	s_or_b64 exec, exec, s[6:7]
	s_movk_i32 s4, 0xff
	v_and_b32_sdwa v3, v4, s4 dst_sel:DWORD dst_unused:UNUSED_PAD src0_sel:WORD_1 src1_sel:DWORD
	s_movk_i32 s4, 0x7f
	v_cmp_lt_i16_e32 vcc, s4, v3
	s_mov_b64 s[4:5], 0
                                        ; implicit-def: $sgpr10
	s_and_saveexec_b64 s[6:7], vcc
	s_xor_b64 s[6:7], exec, s[6:7]
	s_cbranch_execnz .LBB50_2773
; %bb.725:
	s_or_saveexec_b64 s[6:7], s[6:7]
	v_mov_b32_e32 v6, s10
	s_xor_b64 exec, exec, s[6:7]
	s_cbranch_execnz .LBB50_2776
.LBB50_726:
	s_or_b64 exec, exec, s[6:7]
	s_and_saveexec_b64 s[6:7], s[4:5]
	s_cbranch_execz .LBB50_728
.LBB50_727:
	v_bfe_u32 v3, v4, 16, 3
	v_ffbh_u32_e32 v10, v3
	v_min_u32_e32 v10, 32, v10
	v_lshrrev_b32_e32 v6, 19, v4
	v_subrev_u32_e32 v11, 28, v10
	v_and_b32_e32 v6, 15, v6
	v_lshlrev_b32_sdwa v11, v11, v4 dst_sel:DWORD dst_unused:UNUSED_PAD src0_sel:DWORD src1_sel:WORD_1
	v_bfe_u32 v7, v4, 19, 4
	v_sub_u32_e32 v10, 29, v10
	v_and_b32_e32 v11, 7, v11
	v_cmp_eq_u16_e32 vcc, 0, v6
	v_cndmask_b32_e32 v3, v3, v11, vcc
	v_cndmask_b32_e32 v6, v7, v10, vcc
	v_lshlrev_b32_e32 v7, 8, v4
	v_mov_b32_e32 v10, 0x3b800000
	v_lshlrev_b32_e32 v3, 20, v3
	v_and_b32_e32 v7, 0x80000000, v7
	v_lshl_add_u32 v6, v6, 23, v10
	v_or3_b32 v6, v7, v6, v3
.LBB50_728:
	s_or_b64 exec, exec, s[6:7]
	s_nop 0
	v_mfma_f32_16x16x4f32 a[0:3], v2, v6, a[0:3]
	s_movk_i32 s4, 0x7f
	v_cmp_gt_i16_sdwa s[6:7], v8, s4 src0_sel:BYTE_3 src1_sel:DWORD
	s_mov_b64 s[4:5], 0
                                        ; implicit-def: $sgpr10
	s_and_saveexec_b64 s[8:9], s[6:7]
	s_xor_b64 s[6:7], exec, s[8:9]
	s_cbranch_execnz .LBB50_2777
; %bb.729:
	s_or_saveexec_b64 s[6:7], s[6:7]
	v_mov_b32_e32 v2, s10
	s_xor_b64 exec, exec, s[6:7]
	s_cbranch_execnz .LBB50_2780
.LBB50_730:
	s_or_b64 exec, exec, s[6:7]
	s_and_saveexec_b64 s[6:7], s[4:5]
	s_cbranch_execz .LBB50_732
.LBB50_731:
	v_bfe_u32 v2, v8, 24, 3
	v_ffbh_u32_e32 v10, v2
	v_min_u32_e32 v10, 32, v10
	v_lshrrev_b32_e32 v6, 27, v8
	v_subrev_u32_e32 v11, 28, v10
	v_and_b32_e32 v3, 0x80000000, v8
	v_and_b32_e32 v6, 15, v6
	v_bfe_u32 v7, v8, 27, 4
	v_lshlrev_b32_sdwa v8, v11, v8 dst_sel:DWORD dst_unused:UNUSED_PAD src0_sel:DWORD src1_sel:BYTE_3
	v_sub_u32_e32 v10, 29, v10
	v_and_b32_e32 v8, 7, v8
	v_cmp_eq_u16_e32 vcc, 0, v6
	v_cndmask_b32_e32 v2, v2, v8, vcc
	v_cndmask_b32_e32 v6, v7, v10, vcc
	v_mov_b32_e32 v7, 0x3b800000
	v_lshlrev_b32_e32 v2, 20, v2
	v_lshl_add_u32 v6, v6, 23, v7
	v_or3_b32 v2, v3, v6, v2
.LBB50_732:
	s_or_b64 exec, exec, s[6:7]
	s_movk_i32 s4, 0x7f
	v_cmp_gt_i16_sdwa s[6:7], v4, s4 src0_sel:BYTE_3 src1_sel:DWORD
	s_mov_b64 s[4:5], 0
                                        ; implicit-def: $sgpr10
	s_and_saveexec_b64 s[8:9], s[6:7]
	s_xor_b64 s[6:7], exec, s[8:9]
	s_cbranch_execnz .LBB50_2781
; %bb.733:
	s_or_saveexec_b64 s[6:7], s[6:7]
	v_mov_b32_e32 v3, s10
	s_xor_b64 exec, exec, s[6:7]
	s_cbranch_execnz .LBB50_2784
.LBB50_734:
	s_or_b64 exec, exec, s[6:7]
	s_and_saveexec_b64 s[6:7], s[4:5]
	s_cbranch_execz .LBB50_736
.LBB50_735:
	v_bfe_u32 v3, v4, 24, 3
	v_ffbh_u32_e32 v10, v3
	v_min_u32_e32 v10, 32, v10
	v_lshrrev_b32_e32 v7, 27, v4
	v_subrev_u32_e32 v11, 28, v10
	v_and_b32_e32 v6, 0x80000000, v4
	v_and_b32_e32 v7, 15, v7
	v_bfe_u32 v8, v4, 27, 4
	v_lshlrev_b32_sdwa v4, v11, v4 dst_sel:DWORD dst_unused:UNUSED_PAD src0_sel:DWORD src1_sel:BYTE_3
	v_sub_u32_e32 v10, 29, v10
	v_and_b32_e32 v4, 7, v4
	v_cmp_eq_u16_e32 vcc, 0, v7
	v_cndmask_b32_e32 v3, v3, v4, vcc
	v_cndmask_b32_e32 v4, v8, v10, vcc
	v_mov_b32_e32 v7, 0x3b800000
	v_lshlrev_b32_e32 v3, 20, v3
	v_lshl_add_u32 v4, v4, 23, v7
	v_or3_b32 v3, v6, v4, v3
.LBB50_736:
	s_or_b64 exec, exec, s[6:7]
	s_nop 0
	v_mfma_f32_16x16x4f32 a[0:3], v2, v3, a[0:3]
	s_movk_i32 s4, 0x7f
	v_cmp_gt_i16_sdwa s[6:7], v9, s4 src0_sel:BYTE_0 src1_sel:DWORD
	s_mov_b64 s[4:5], 0
                                        ; implicit-def: $sgpr10
	s_and_saveexec_b64 s[8:9], s[6:7]
	s_xor_b64 s[6:7], exec, s[8:9]
	s_cbranch_execnz .LBB50_2785
; %bb.737:
	s_or_saveexec_b64 s[6:7], s[6:7]
	v_mov_b32_e32 v2, s10
	s_xor_b64 exec, exec, s[6:7]
	s_cbranch_execnz .LBB50_2788
.LBB50_738:
	s_or_b64 exec, exec, s[6:7]
	s_and_saveexec_b64 s[6:7], s[4:5]
	s_cbranch_execz .LBB50_740
.LBB50_739:
	v_mov_b32_e32 v2, 8
	v_and_b32_e32 v3, 7, v9
	v_lshrrev_b32_sdwa v2, v2, v9 dst_sel:BYTE_1 dst_unused:UNUSED_PAD src0_sel:DWORD src1_sel:DWORD
	v_ffbh_u32_e32 v4, v3
	v_or_b32_sdwa v2, v9, v2 dst_sel:DWORD dst_unused:UNUSED_PAD src0_sel:BYTE_0 src1_sel:DWORD
	v_min_u32_e32 v4, 32, v4
	v_lshrrev_b16_e32 v2, 3, v2
	v_subrev_u32_e32 v6, 28, v4
	v_and_b32_e32 v2, 15, v2
	v_lshlrev_b32_e32 v6, v6, v9
	v_sub_u32_e32 v4, 29, v4
	v_and_b32_e32 v6, 7, v6
	v_cmp_eq_u16_e32 vcc, 0, v2
	v_cndmask_b32_e32 v3, v3, v6, vcc
	v_cndmask_b32_e32 v2, v2, v4, vcc
	v_lshlrev_b32_e32 v4, 24, v9
	v_mov_b32_e32 v6, 0x3b800000
	v_lshlrev_b32_e32 v3, 20, v3
	v_and_b32_e32 v4, 0x80000000, v4
	v_lshl_add_u32 v2, v2, 23, v6
	v_or3_b32 v2, v4, v2, v3
.LBB50_740:
	s_or_b64 exec, exec, s[6:7]
	s_movk_i32 s4, 0x7f
	v_cmp_gt_i16_sdwa s[6:7], v5, s4 src0_sel:BYTE_0 src1_sel:DWORD
	s_mov_b64 s[4:5], 0
                                        ; implicit-def: $sgpr10
	s_and_saveexec_b64 s[8:9], s[6:7]
	s_xor_b64 s[6:7], exec, s[8:9]
	s_cbranch_execnz .LBB50_2789
; %bb.741:
	s_or_saveexec_b64 s[6:7], s[6:7]
	v_mov_b32_e32 v3, s10
	s_xor_b64 exec, exec, s[6:7]
	s_cbranch_execnz .LBB50_2792
.LBB50_742:
	s_or_b64 exec, exec, s[6:7]
	s_and_saveexec_b64 s[6:7], s[4:5]
	s_cbranch_execz .LBB50_744
.LBB50_743:
	v_mov_b32_e32 v3, 8
	v_and_b32_e32 v4, 7, v5
	v_lshrrev_b32_sdwa v3, v3, v5 dst_sel:BYTE_1 dst_unused:UNUSED_PAD src0_sel:DWORD src1_sel:DWORD
	v_ffbh_u32_e32 v6, v4
	v_or_b32_sdwa v3, v5, v3 dst_sel:DWORD dst_unused:UNUSED_PAD src0_sel:BYTE_0 src1_sel:DWORD
	v_min_u32_e32 v6, 32, v6
	v_lshrrev_b16_e32 v3, 3, v3
	v_subrev_u32_e32 v7, 28, v6
	v_and_b32_e32 v3, 15, v3
	v_lshlrev_b32_e32 v7, v7, v5
	v_sub_u32_e32 v6, 29, v6
	v_and_b32_e32 v7, 7, v7
	v_cmp_eq_u16_e32 vcc, 0, v3
	v_cndmask_b32_e32 v4, v4, v7, vcc
	v_cndmask_b32_e32 v3, v3, v6, vcc
	v_lshlrev_b32_e32 v6, 24, v5
	v_mov_b32_e32 v7, 0x3b800000
	v_lshlrev_b32_e32 v4, 20, v4
	v_and_b32_e32 v6, 0x80000000, v6
	v_lshl_add_u32 v3, v3, 23, v7
	v_or3_b32 v3, v6, v3, v4
.LBB50_744:
	s_or_b64 exec, exec, s[6:7]
	s_nop 0
	v_mfma_f32_16x16x4f32 a[0:3], v2, v3, a[0:3]
	v_lshrrev_b32_e32 v3, 8, v9
	s_movk_i32 s4, 0x7f
	v_cmp_gt_i16_sdwa s[6:7], v3, s4 src0_sel:BYTE_0 src1_sel:DWORD
	s_mov_b64 s[4:5], 0
                                        ; implicit-def: $sgpr10
	s_and_saveexec_b64 s[8:9], s[6:7]
	s_xor_b64 s[6:7], exec, s[8:9]
	s_cbranch_execnz .LBB50_2793
; %bb.745:
	s_or_saveexec_b64 s[6:7], s[6:7]
	v_mov_b32_e32 v2, s10
	s_xor_b64 exec, exec, s[6:7]
	s_cbranch_execnz .LBB50_2796
.LBB50_746:
	s_or_b64 exec, exec, s[6:7]
	s_and_saveexec_b64 s[6:7], s[4:5]
	s_cbranch_execz .LBB50_748
.LBB50_747:
	v_bfe_u32 v2, v9, 8, 3
	v_ffbh_u32_e32 v6, v2
	v_min_u32_e32 v6, 32, v6
	v_lshrrev_b16_e32 v4, 3, v3
	v_subrev_u32_e32 v7, 28, v6
	v_and_b32_e32 v4, 15, v4
	v_lshlrev_b32_e32 v3, v7, v3
	v_sub_u32_e32 v6, 29, v6
	v_and_b32_e32 v3, 7, v3
	v_cmp_eq_u16_e32 vcc, 0, v4
	v_cndmask_b32_e32 v2, v2, v3, vcc
	v_cndmask_b32_e32 v3, v4, v6, vcc
	v_lshlrev_b32_e32 v4, 16, v9
	v_mov_b32_e32 v6, 0x3b800000
	v_lshlrev_b32_e32 v2, 20, v2
	v_and_b32_e32 v4, 0x80000000, v4
	v_lshl_add_u32 v3, v3, 23, v6
	v_or3_b32 v2, v4, v3, v2
.LBB50_748:
	s_or_b64 exec, exec, s[6:7]
	v_lshrrev_b32_e32 v3, 8, v5
	s_movk_i32 s4, 0x7f
	v_cmp_gt_i16_sdwa s[6:7], v3, s4 src0_sel:BYTE_0 src1_sel:DWORD
	s_mov_b64 s[4:5], 0
                                        ; implicit-def: $sgpr10
	s_and_saveexec_b64 s[8:9], s[6:7]
	s_xor_b64 s[6:7], exec, s[8:9]
	s_cbranch_execnz .LBB50_2797
; %bb.749:
	s_or_saveexec_b64 s[6:7], s[6:7]
	v_mov_b32_e32 v4, s10
	s_xor_b64 exec, exec, s[6:7]
	s_cbranch_execnz .LBB50_2800
.LBB50_750:
	s_or_b64 exec, exec, s[6:7]
	s_and_saveexec_b64 s[6:7], s[4:5]
	s_cbranch_execz .LBB50_752
.LBB50_751:
	v_bfe_u32 v4, v5, 8, 3
	v_ffbh_u32_e32 v7, v4
	v_min_u32_e32 v7, 32, v7
	v_lshrrev_b16_e32 v6, 3, v3
	v_subrev_u32_e32 v8, 28, v7
	v_and_b32_e32 v6, 15, v6
	v_lshlrev_b32_e32 v3, v8, v3
	v_sub_u32_e32 v7, 29, v7
	v_and_b32_e32 v3, 7, v3
	v_cmp_eq_u16_e32 vcc, 0, v6
	v_cndmask_b32_e32 v3, v4, v3, vcc
	v_cndmask_b32_e32 v4, v6, v7, vcc
	v_lshlrev_b32_e32 v6, 16, v5
	v_mov_b32_e32 v7, 0x3b800000
	v_lshlrev_b32_e32 v3, 20, v3
	v_and_b32_e32 v6, 0x80000000, v6
	v_lshl_add_u32 v4, v4, 23, v7
	v_or3_b32 v4, v6, v4, v3
.LBB50_752:
	s_or_b64 exec, exec, s[6:7]
	s_nop 0
	v_mfma_f32_16x16x4f32 a[0:3], v2, v4, a[0:3]
	s_movk_i32 s4, 0xff
	v_and_b32_sdwa v3, v9, s4 dst_sel:DWORD dst_unused:UNUSED_PAD src0_sel:WORD_1 src1_sel:DWORD
	s_movk_i32 s4, 0x7f
	v_cmp_lt_i16_e32 vcc, s4, v3
	s_mov_b64 s[4:5], 0
                                        ; implicit-def: $sgpr10
	s_and_saveexec_b64 s[6:7], vcc
	s_xor_b64 s[6:7], exec, s[6:7]
	s_cbranch_execnz .LBB50_2801
; %bb.753:
	s_or_saveexec_b64 s[6:7], s[6:7]
	v_mov_b32_e32 v2, s10
	s_xor_b64 exec, exec, s[6:7]
	s_cbranch_execnz .LBB50_2804
.LBB50_754:
	s_or_b64 exec, exec, s[6:7]
	s_and_saveexec_b64 s[6:7], s[4:5]
	s_cbranch_execz .LBB50_756
.LBB50_755:
	v_bfe_u32 v2, v9, 16, 3
	v_ffbh_u32_e32 v6, v2
	v_min_u32_e32 v6, 32, v6
	v_lshrrev_b32_e32 v3, 19, v9
	v_subrev_u32_e32 v7, 28, v6
	v_and_b32_e32 v3, 15, v3
	v_lshlrev_b32_sdwa v7, v7, v9 dst_sel:DWORD dst_unused:UNUSED_PAD src0_sel:DWORD src1_sel:WORD_1
	v_bfe_u32 v4, v9, 19, 4
	v_sub_u32_e32 v6, 29, v6
	v_and_b32_e32 v7, 7, v7
	v_cmp_eq_u16_e32 vcc, 0, v3
	v_cndmask_b32_e32 v2, v2, v7, vcc
	v_cndmask_b32_e32 v3, v4, v6, vcc
	v_lshlrev_b32_e32 v4, 8, v9
	v_mov_b32_e32 v6, 0x3b800000
	v_lshlrev_b32_e32 v2, 20, v2
	v_and_b32_e32 v4, 0x80000000, v4
	v_lshl_add_u32 v3, v3, 23, v6
	v_or3_b32 v2, v4, v3, v2
.LBB50_756:
	s_or_b64 exec, exec, s[6:7]
	s_movk_i32 s4, 0xff
	v_and_b32_sdwa v3, v5, s4 dst_sel:DWORD dst_unused:UNUSED_PAD src0_sel:WORD_1 src1_sel:DWORD
	s_movk_i32 s4, 0x7f
	v_cmp_lt_i16_e32 vcc, s4, v3
	s_mov_b64 s[4:5], 0
                                        ; implicit-def: $sgpr10
	s_and_saveexec_b64 s[6:7], vcc
	s_xor_b64 s[6:7], exec, s[6:7]
	s_cbranch_execnz .LBB50_2805
; %bb.757:
	s_or_saveexec_b64 s[6:7], s[6:7]
	v_mov_b32_e32 v4, s10
	s_xor_b64 exec, exec, s[6:7]
	s_cbranch_execnz .LBB50_2808
.LBB50_758:
	s_or_b64 exec, exec, s[6:7]
	s_and_saveexec_b64 s[6:7], s[4:5]
	s_cbranch_execz .LBB50_760
.LBB50_759:
	v_bfe_u32 v3, v5, 16, 3
	v_ffbh_u32_e32 v7, v3
	v_min_u32_e32 v7, 32, v7
	v_lshrrev_b32_e32 v4, 19, v5
	v_subrev_u32_e32 v8, 28, v7
	v_and_b32_e32 v4, 15, v4
	v_lshlrev_b32_sdwa v8, v8, v5 dst_sel:DWORD dst_unused:UNUSED_PAD src0_sel:DWORD src1_sel:WORD_1
	v_bfe_u32 v6, v5, 19, 4
	v_sub_u32_e32 v7, 29, v7
	v_and_b32_e32 v8, 7, v8
	v_cmp_eq_u16_e32 vcc, 0, v4
	v_cndmask_b32_e32 v3, v3, v8, vcc
	v_cndmask_b32_e32 v4, v6, v7, vcc
	v_lshlrev_b32_e32 v6, 8, v5
	v_mov_b32_e32 v7, 0x3b800000
	v_lshlrev_b32_e32 v3, 20, v3
	v_and_b32_e32 v6, 0x80000000, v6
	v_lshl_add_u32 v4, v4, 23, v7
	v_or3_b32 v4, v6, v4, v3
.LBB50_760:
	s_or_b64 exec, exec, s[6:7]
	s_nop 0
	v_mfma_f32_16x16x4f32 a[0:3], v2, v4, a[0:3]
	s_movk_i32 s4, 0x7f
	v_cmp_gt_i16_sdwa s[6:7], v9, s4 src0_sel:BYTE_3 src1_sel:DWORD
	s_mov_b64 s[4:5], 0
                                        ; implicit-def: $sgpr10
	s_and_saveexec_b64 s[8:9], s[6:7]
	s_xor_b64 s[6:7], exec, s[8:9]
	s_cbranch_execnz .LBB50_2809
; %bb.761:
	s_or_saveexec_b64 s[6:7], s[6:7]
	v_mov_b32_e32 v2, s10
	s_xor_b64 exec, exec, s[6:7]
	s_cbranch_execnz .LBB50_2812
.LBB50_762:
	s_or_b64 exec, exec, s[6:7]
	s_and_saveexec_b64 s[6:7], s[4:5]
	s_cbranch_execz .LBB50_764
.LBB50_763:
	v_bfe_u32 v2, v9, 24, 3
	v_ffbh_u32_e32 v7, v2
	v_min_u32_e32 v7, 32, v7
	v_lshrrev_b32_e32 v4, 27, v9
	v_subrev_u32_e32 v8, 28, v7
	v_and_b32_e32 v4, 15, v4
	v_lshlrev_b32_sdwa v8, v8, v9 dst_sel:DWORD dst_unused:UNUSED_PAD src0_sel:DWORD src1_sel:BYTE_3
	v_bfe_u32 v6, v9, 27, 4
	v_sub_u32_e32 v7, 29, v7
	v_and_b32_e32 v8, 7, v8
	v_cmp_eq_u16_e32 vcc, 0, v4
	v_cndmask_b32_e32 v2, v2, v8, vcc
	v_cndmask_b32_e32 v4, v6, v7, vcc
	v_mov_b32_e32 v6, 0x3b800000
	v_and_b32_e32 v3, 0x80000000, v9
	v_lshlrev_b32_e32 v2, 20, v2
	v_lshl_add_u32 v4, v4, 23, v6
	v_or3_b32 v2, v3, v4, v2
.LBB50_764:
	s_or_b64 exec, exec, s[6:7]
	s_movk_i32 s4, 0x7f
	v_cmp_gt_i16_sdwa s[6:7], v5, s4 src0_sel:BYTE_3 src1_sel:DWORD
	s_mov_b64 s[4:5], 0
                                        ; implicit-def: $sgpr10
	s_and_saveexec_b64 s[8:9], s[6:7]
	s_xor_b64 s[6:7], exec, s[8:9]
	s_cbranch_execnz .LBB50_2813
; %bb.765:
	s_or_saveexec_b64 s[6:7], s[6:7]
	v_mov_b32_e32 v3, s10
	s_xor_b64 exec, exec, s[6:7]
	s_cbranch_execnz .LBB50_2816
.LBB50_766:
	s_or_b64 exec, exec, s[6:7]
	s_and_saveexec_b64 s[6:7], s[4:5]
	s_cbranch_execz .LBB50_768
.LBB50_767:
	v_bfe_u32 v3, v5, 24, 3
	v_ffbh_u32_e32 v8, v3
	v_min_u32_e32 v8, 32, v8
	v_lshrrev_b32_e32 v6, 27, v5
	v_subrev_u32_e32 v9, 28, v8
	v_and_b32_e32 v4, 0x80000000, v5
	v_and_b32_e32 v6, 15, v6
	v_bfe_u32 v7, v5, 27, 4
	v_lshlrev_b32_sdwa v5, v9, v5 dst_sel:DWORD dst_unused:UNUSED_PAD src0_sel:DWORD src1_sel:BYTE_3
	v_sub_u32_e32 v8, 29, v8
	v_and_b32_e32 v5, 7, v5
	v_cmp_eq_u16_e32 vcc, 0, v6
	v_cndmask_b32_e32 v3, v3, v5, vcc
	v_cndmask_b32_e32 v5, v7, v8, vcc
	v_mov_b32_e32 v6, 0x3b800000
	v_lshlrev_b32_e32 v3, 20, v3
	v_lshl_add_u32 v5, v5, 23, v6
	v_or3_b32 v3, v4, v5, v3
.LBB50_768:
	s_or_b64 exec, exec, s[6:7]
	s_nop 0
	v_mfma_f32_16x16x4f32 a[0:3], v2, v3, a[0:3]
	s_movk_i32 s4, 0x7f
                                        ; implicit-def: $sgpr10
	s_nop 7
	s_nop 1
	flat_store_dwordx4 v[18:19], a[0:3] offset:800
	flat_load_dwordx4 v[20:23], v[0:1] offset:8
	s_nop 0
	flat_load_dwordx2 v[18:19], v[0:1] offset:24
	s_waitcnt vmcnt(0) lgkmcnt(0)
	flat_load_dwordx4 v[14:17], v[20:21]
	flat_load_dwordx4 v[6:9], v[20:21] offset:16
	flat_load_dwordx4 v[10:13], v[22:23] offset:96
	;; [unrolled: 1-line block ×3, first 2 shown]
	s_waitcnt vmcnt(0) lgkmcnt(0)
	v_cmp_gt_i16_sdwa s[6:7], v14, s4 src0_sel:BYTE_0 src1_sel:DWORD
	s_mov_b64 s[4:5], 0
	s_and_saveexec_b64 s[8:9], s[6:7]
	s_xor_b64 s[6:7], exec, s[8:9]
	s_cbranch_execnz .LBB50_2817
; %bb.769:
	s_or_saveexec_b64 s[6:7], s[6:7]
	v_mov_b32_e32 v20, s10
	s_xor_b64 exec, exec, s[6:7]
	s_cbranch_execnz .LBB50_2820
.LBB50_770:
	s_or_b64 exec, exec, s[6:7]
	s_and_saveexec_b64 s[6:7], s[4:5]
	s_cbranch_execz .LBB50_772
.LBB50_771:
	v_and_b32_e32 v20, 7, v14
	v_ffbh_u32_e32 v22, v20
	v_min_u32_e32 v22, 32, v22
	v_lshrrev_b16_e32 v21, 3, v14
	v_subrev_u32_e32 v23, 28, v22
	v_and_b32_e32 v21, 15, v21
	v_lshlrev_b32_e32 v23, v23, v14
	v_sub_u32_e32 v22, 29, v22
	v_and_b32_e32 v23, 7, v23
	v_cmp_eq_u16_e32 vcc, 0, v21
	v_cndmask_b32_e32 v20, v20, v23, vcc
	v_cndmask_b32_e32 v21, v21, v22, vcc
	v_lshlrev_b32_e32 v22, 24, v14
	v_mov_b32_e32 v23, 0x3b800000
	v_lshlrev_b32_e32 v20, 20, v20
	v_and_b32_e32 v22, 0x80000000, v22
	v_lshl_add_u32 v21, v21, 23, v23
	v_or3_b32 v20, v22, v21, v20
.LBB50_772:
	s_or_b64 exec, exec, s[6:7]
	s_movk_i32 s4, 0x7f
	v_cmp_gt_i16_sdwa s[6:7], v10, s4 src0_sel:BYTE_0 src1_sel:DWORD
	s_mov_b64 s[4:5], 0
                                        ; implicit-def: $sgpr10
	s_and_saveexec_b64 s[8:9], s[6:7]
	s_xor_b64 s[6:7], exec, s[8:9]
	s_cbranch_execnz .LBB50_2821
; %bb.773:
	s_or_saveexec_b64 s[6:7], s[6:7]
	v_mov_b32_e32 v21, s10
	s_xor_b64 exec, exec, s[6:7]
	s_cbranch_execnz .LBB50_2824
.LBB50_774:
	s_or_b64 exec, exec, s[6:7]
	s_and_saveexec_b64 s[6:7], s[4:5]
	s_cbranch_execz .LBB50_776
.LBB50_775:
	v_and_b32_e32 v21, 7, v10
	v_ffbh_u32_e32 v23, v21
	v_min_u32_e32 v23, 32, v23
	v_lshrrev_b16_e32 v22, 3, v10
	v_subrev_u32_e32 v24, 28, v23
	v_and_b32_e32 v22, 15, v22
	v_lshlrev_b32_e32 v24, v24, v10
	v_sub_u32_e32 v23, 29, v23
	v_and_b32_e32 v24, 7, v24
	v_cmp_eq_u16_e32 vcc, 0, v22
	v_cndmask_b32_e32 v21, v21, v24, vcc
	v_cndmask_b32_e32 v22, v22, v23, vcc
	v_lshlrev_b32_e32 v23, 24, v10
	v_mov_b32_e32 v24, 0x3b800000
	v_lshlrev_b32_e32 v21, 20, v21
	v_and_b32_e32 v23, 0x80000000, v23
	v_lshl_add_u32 v22, v22, 23, v24
	v_or3_b32 v21, v23, v22, v21
.LBB50_776:
	s_or_b64 exec, exec, s[6:7]
	flat_load_dwordx4 a[0:3], v[18:19] offset:816
	s_movk_i32 s4, 0x7f
                                        ; implicit-def: $sgpr10
	s_waitcnt vmcnt(0) lgkmcnt(0)
	v_mfma_f32_16x16x4f32 a[0:3], v20, v21, a[0:3]
	v_lshrrev_b32_e32 v21, 8, v14
	v_cmp_gt_i16_sdwa s[6:7], v21, s4 src0_sel:BYTE_0 src1_sel:DWORD
	s_mov_b64 s[4:5], 0
	s_and_saveexec_b64 s[8:9], s[6:7]
	s_xor_b64 s[6:7], exec, s[8:9]
	s_cbranch_execnz .LBB50_2825
; %bb.777:
	s_or_saveexec_b64 s[6:7], s[6:7]
	v_mov_b32_e32 v20, s10
	s_xor_b64 exec, exec, s[6:7]
	s_cbranch_execnz .LBB50_2828
.LBB50_778:
	s_or_b64 exec, exec, s[6:7]
	s_and_saveexec_b64 s[6:7], s[4:5]
	s_cbranch_execz .LBB50_780
.LBB50_779:
	v_bfe_u32 v20, v14, 8, 3
	v_ffbh_u32_e32 v23, v20
	v_min_u32_e32 v23, 32, v23
	v_lshrrev_b16_e32 v22, 3, v21
	v_subrev_u32_e32 v24, 28, v23
	v_and_b32_e32 v22, 15, v22
	v_lshlrev_b32_e32 v21, v24, v21
	v_sub_u32_e32 v23, 29, v23
	v_and_b32_e32 v21, 7, v21
	v_cmp_eq_u16_e32 vcc, 0, v22
	v_cndmask_b32_e32 v20, v20, v21, vcc
	v_cndmask_b32_e32 v21, v22, v23, vcc
	v_lshlrev_b32_e32 v22, 16, v14
	v_mov_b32_e32 v23, 0x3b800000
	v_lshlrev_b32_e32 v20, 20, v20
	v_and_b32_e32 v22, 0x80000000, v22
	v_lshl_add_u32 v21, v21, 23, v23
	v_or3_b32 v20, v22, v21, v20
.LBB50_780:
	s_or_b64 exec, exec, s[6:7]
	v_lshrrev_b32_e32 v21, 8, v10
	s_movk_i32 s4, 0x7f
	v_cmp_gt_i16_sdwa s[6:7], v21, s4 src0_sel:BYTE_0 src1_sel:DWORD
	s_mov_b64 s[4:5], 0
                                        ; implicit-def: $sgpr10
	s_and_saveexec_b64 s[8:9], s[6:7]
	s_xor_b64 s[6:7], exec, s[8:9]
	s_cbranch_execnz .LBB50_2829
; %bb.781:
	s_or_saveexec_b64 s[6:7], s[6:7]
	v_mov_b32_e32 v22, s10
	s_xor_b64 exec, exec, s[6:7]
	s_cbranch_execnz .LBB50_2832
.LBB50_782:
	s_or_b64 exec, exec, s[6:7]
	s_and_saveexec_b64 s[6:7], s[4:5]
	s_cbranch_execz .LBB50_784
.LBB50_783:
	v_bfe_u32 v22, v10, 8, 3
	v_ffbh_u32_e32 v24, v22
	v_min_u32_e32 v24, 32, v24
	v_lshrrev_b16_e32 v23, 3, v21
	v_subrev_u32_e32 v25, 28, v24
	v_and_b32_e32 v23, 15, v23
	v_lshlrev_b32_e32 v21, v25, v21
	v_sub_u32_e32 v24, 29, v24
	v_and_b32_e32 v21, 7, v21
	v_cmp_eq_u16_e32 vcc, 0, v23
	v_cndmask_b32_e32 v21, v22, v21, vcc
	v_cndmask_b32_e32 v22, v23, v24, vcc
	v_lshlrev_b32_e32 v23, 16, v10
	v_mov_b32_e32 v24, 0x3b800000
	v_lshlrev_b32_e32 v21, 20, v21
	v_and_b32_e32 v23, 0x80000000, v23
	v_lshl_add_u32 v22, v22, 23, v24
	v_or3_b32 v22, v23, v22, v21
.LBB50_784:
	s_or_b64 exec, exec, s[6:7]
	s_nop 0
	v_mfma_f32_16x16x4f32 a[0:3], v20, v22, a[0:3]
	s_movk_i32 s4, 0xff
	v_and_b32_sdwa v21, v14, s4 dst_sel:DWORD dst_unused:UNUSED_PAD src0_sel:WORD_1 src1_sel:DWORD
	s_movk_i32 s4, 0x7f
	v_cmp_lt_i16_e32 vcc, s4, v21
	s_mov_b64 s[4:5], 0
                                        ; implicit-def: $sgpr10
	s_and_saveexec_b64 s[6:7], vcc
	s_xor_b64 s[6:7], exec, s[6:7]
	s_cbranch_execnz .LBB50_2833
; %bb.785:
	s_or_saveexec_b64 s[6:7], s[6:7]
	v_mov_b32_e32 v20, s10
	s_xor_b64 exec, exec, s[6:7]
	s_cbranch_execnz .LBB50_2836
.LBB50_786:
	s_or_b64 exec, exec, s[6:7]
	s_and_saveexec_b64 s[6:7], s[4:5]
	s_cbranch_execz .LBB50_788
.LBB50_787:
	v_bfe_u32 v20, v14, 16, 3
	v_ffbh_u32_e32 v23, v20
	v_min_u32_e32 v23, 32, v23
	v_lshrrev_b32_e32 v21, 19, v14
	v_subrev_u32_e32 v24, 28, v23
	v_and_b32_e32 v21, 15, v21
	v_lshlrev_b32_sdwa v24, v24, v14 dst_sel:DWORD dst_unused:UNUSED_PAD src0_sel:DWORD src1_sel:WORD_1
	v_bfe_u32 v22, v14, 19, 4
	v_sub_u32_e32 v23, 29, v23
	v_and_b32_e32 v24, 7, v24
	v_cmp_eq_u16_e32 vcc, 0, v21
	v_cndmask_b32_e32 v20, v20, v24, vcc
	v_cndmask_b32_e32 v21, v22, v23, vcc
	v_lshlrev_b32_e32 v22, 8, v14
	v_mov_b32_e32 v23, 0x3b800000
	v_lshlrev_b32_e32 v20, 20, v20
	v_and_b32_e32 v22, 0x80000000, v22
	v_lshl_add_u32 v21, v21, 23, v23
	v_or3_b32 v20, v22, v21, v20
.LBB50_788:
	s_or_b64 exec, exec, s[6:7]
	s_movk_i32 s4, 0xff
	v_and_b32_sdwa v21, v10, s4 dst_sel:DWORD dst_unused:UNUSED_PAD src0_sel:WORD_1 src1_sel:DWORD
	s_movk_i32 s4, 0x7f
	v_cmp_lt_i16_e32 vcc, s4, v21
	s_mov_b64 s[4:5], 0
                                        ; implicit-def: $sgpr10
	s_and_saveexec_b64 s[6:7], vcc
	s_xor_b64 s[6:7], exec, s[6:7]
	s_cbranch_execnz .LBB50_2837
; %bb.789:
	s_or_saveexec_b64 s[6:7], s[6:7]
	v_mov_b32_e32 v22, s10
	s_xor_b64 exec, exec, s[6:7]
	s_cbranch_execnz .LBB50_2840
.LBB50_790:
	s_or_b64 exec, exec, s[6:7]
	s_and_saveexec_b64 s[6:7], s[4:5]
	s_cbranch_execz .LBB50_792
.LBB50_791:
	v_bfe_u32 v21, v10, 16, 3
	v_ffbh_u32_e32 v24, v21
	v_min_u32_e32 v24, 32, v24
	v_lshrrev_b32_e32 v22, 19, v10
	v_subrev_u32_e32 v25, 28, v24
	v_and_b32_e32 v22, 15, v22
	v_lshlrev_b32_sdwa v25, v25, v10 dst_sel:DWORD dst_unused:UNUSED_PAD src0_sel:DWORD src1_sel:WORD_1
	v_bfe_u32 v23, v10, 19, 4
	v_sub_u32_e32 v24, 29, v24
	v_and_b32_e32 v25, 7, v25
	v_cmp_eq_u16_e32 vcc, 0, v22
	v_cndmask_b32_e32 v21, v21, v25, vcc
	v_cndmask_b32_e32 v22, v23, v24, vcc
	v_lshlrev_b32_e32 v23, 8, v10
	v_mov_b32_e32 v24, 0x3b800000
	v_lshlrev_b32_e32 v21, 20, v21
	v_and_b32_e32 v23, 0x80000000, v23
	v_lshl_add_u32 v22, v22, 23, v24
	v_or3_b32 v22, v23, v22, v21
.LBB50_792:
	s_or_b64 exec, exec, s[6:7]
	s_nop 0
	v_mfma_f32_16x16x4f32 a[0:3], v20, v22, a[0:3]
	s_movk_i32 s4, 0x7f
	v_cmp_gt_i16_sdwa s[6:7], v14, s4 src0_sel:BYTE_3 src1_sel:DWORD
	s_mov_b64 s[4:5], 0
                                        ; implicit-def: $sgpr10
	s_and_saveexec_b64 s[8:9], s[6:7]
	s_xor_b64 s[6:7], exec, s[8:9]
	s_cbranch_execnz .LBB50_2841
; %bb.793:
	s_or_saveexec_b64 s[6:7], s[6:7]
	v_mov_b32_e32 v20, s10
	s_xor_b64 exec, exec, s[6:7]
	s_cbranch_execnz .LBB50_2844
.LBB50_794:
	s_or_b64 exec, exec, s[6:7]
	s_and_saveexec_b64 s[6:7], s[4:5]
	s_cbranch_execz .LBB50_796
.LBB50_795:
	v_bfe_u32 v20, v14, 24, 3
	v_ffbh_u32_e32 v24, v20
	v_min_u32_e32 v24, 32, v24
	v_lshrrev_b32_e32 v22, 27, v14
	v_subrev_u32_e32 v25, 28, v24
	v_and_b32_e32 v21, 0x80000000, v14
	v_and_b32_e32 v22, 15, v22
	v_bfe_u32 v23, v14, 27, 4
	v_lshlrev_b32_sdwa v14, v25, v14 dst_sel:DWORD dst_unused:UNUSED_PAD src0_sel:DWORD src1_sel:BYTE_3
	v_sub_u32_e32 v24, 29, v24
	v_and_b32_e32 v14, 7, v14
	v_cmp_eq_u16_e32 vcc, 0, v22
	v_cndmask_b32_e32 v14, v20, v14, vcc
	v_cndmask_b32_e32 v20, v23, v24, vcc
	v_mov_b32_e32 v22, 0x3b800000
	v_lshlrev_b32_e32 v14, 20, v14
	v_lshl_add_u32 v20, v20, 23, v22
	v_or3_b32 v20, v21, v20, v14
.LBB50_796:
	s_or_b64 exec, exec, s[6:7]
	s_movk_i32 s4, 0x7f
	v_cmp_gt_i16_sdwa s[6:7], v10, s4 src0_sel:BYTE_3 src1_sel:DWORD
	s_mov_b64 s[4:5], 0
                                        ; implicit-def: $sgpr10
	s_and_saveexec_b64 s[8:9], s[6:7]
	s_xor_b64 s[6:7], exec, s[8:9]
	s_cbranch_execnz .LBB50_2845
; %bb.797:
	s_or_saveexec_b64 s[6:7], s[6:7]
	v_mov_b32_e32 v14, s10
	s_xor_b64 exec, exec, s[6:7]
	s_cbranch_execnz .LBB50_2848
.LBB50_798:
	s_or_b64 exec, exec, s[6:7]
	s_and_saveexec_b64 s[6:7], s[4:5]
	s_cbranch_execz .LBB50_800
.LBB50_799:
	v_bfe_u32 v14, v10, 24, 3
	v_ffbh_u32_e32 v24, v14
	v_min_u32_e32 v24, 32, v24
	v_lshrrev_b32_e32 v22, 27, v10
	v_subrev_u32_e32 v25, 28, v24
	v_and_b32_e32 v21, 0x80000000, v10
	v_and_b32_e32 v22, 15, v22
	v_bfe_u32 v23, v10, 27, 4
	v_lshlrev_b32_sdwa v10, v25, v10 dst_sel:DWORD dst_unused:UNUSED_PAD src0_sel:DWORD src1_sel:BYTE_3
	v_sub_u32_e32 v24, 29, v24
	v_and_b32_e32 v10, 7, v10
	v_cmp_eq_u16_e32 vcc, 0, v22
	v_cndmask_b32_e32 v10, v14, v10, vcc
	v_cndmask_b32_e32 v14, v23, v24, vcc
	v_mov_b32_e32 v22, 0x3b800000
	v_lshlrev_b32_e32 v10, 20, v10
	v_lshl_add_u32 v14, v14, 23, v22
	v_or3_b32 v14, v21, v14, v10
.LBB50_800:
	s_or_b64 exec, exec, s[6:7]
	s_nop 0
	v_mfma_f32_16x16x4f32 a[0:3], v20, v14, a[0:3]
	s_movk_i32 s4, 0x7f
	v_cmp_gt_i16_sdwa s[6:7], v15, s4 src0_sel:BYTE_0 src1_sel:DWORD
	s_mov_b64 s[4:5], 0
                                        ; implicit-def: $sgpr10
	s_and_saveexec_b64 s[8:9], s[6:7]
	s_xor_b64 s[6:7], exec, s[8:9]
	s_cbranch_execnz .LBB50_2849
; %bb.801:
	s_or_saveexec_b64 s[6:7], s[6:7]
	v_mov_b32_e32 v10, s10
	s_xor_b64 exec, exec, s[6:7]
	s_cbranch_execnz .LBB50_2852
.LBB50_802:
	s_or_b64 exec, exec, s[6:7]
	s_and_saveexec_b64 s[6:7], s[4:5]
	s_cbranch_execz .LBB50_804
.LBB50_803:
	v_and_b32_e32 v10, 7, v15
	v_ffbh_u32_e32 v20, v10
	v_min_u32_e32 v20, 32, v20
	v_lshrrev_b16_e32 v14, 3, v15
	v_subrev_u32_e32 v21, 28, v20
	v_and_b32_e32 v14, 15, v14
	v_lshlrev_b32_e32 v21, v21, v15
	v_sub_u32_e32 v20, 29, v20
	v_and_b32_e32 v21, 7, v21
	v_cmp_eq_u16_e32 vcc, 0, v14
	v_cndmask_b32_e32 v10, v10, v21, vcc
	v_cndmask_b32_e32 v14, v14, v20, vcc
	v_lshlrev_b32_e32 v20, 24, v15
	v_mov_b32_e32 v21, 0x3b800000
	v_lshlrev_b32_e32 v10, 20, v10
	v_and_b32_e32 v20, 0x80000000, v20
	v_lshl_add_u32 v14, v14, 23, v21
	v_or3_b32 v10, v20, v14, v10
.LBB50_804:
	s_or_b64 exec, exec, s[6:7]
	s_movk_i32 s4, 0x7f
	v_cmp_gt_i16_sdwa s[6:7], v11, s4 src0_sel:BYTE_0 src1_sel:DWORD
	s_mov_b64 s[4:5], 0
                                        ; implicit-def: $sgpr10
	s_and_saveexec_b64 s[8:9], s[6:7]
	s_xor_b64 s[6:7], exec, s[8:9]
	s_cbranch_execnz .LBB50_2853
; %bb.805:
	s_or_saveexec_b64 s[6:7], s[6:7]
	v_mov_b32_e32 v14, s10
	s_xor_b64 exec, exec, s[6:7]
	s_cbranch_execnz .LBB50_2856
.LBB50_806:
	s_or_b64 exec, exec, s[6:7]
	s_and_saveexec_b64 s[6:7], s[4:5]
	s_cbranch_execz .LBB50_808
.LBB50_807:
	v_and_b32_e32 v14, 7, v11
	v_ffbh_u32_e32 v21, v14
	v_min_u32_e32 v21, 32, v21
	v_lshrrev_b16_e32 v20, 3, v11
	v_subrev_u32_e32 v22, 28, v21
	v_and_b32_e32 v20, 15, v20
	v_lshlrev_b32_e32 v22, v22, v11
	v_sub_u32_e32 v21, 29, v21
	v_and_b32_e32 v22, 7, v22
	v_cmp_eq_u16_e32 vcc, 0, v20
	v_cndmask_b32_e32 v14, v14, v22, vcc
	v_cndmask_b32_e32 v20, v20, v21, vcc
	v_lshlrev_b32_e32 v21, 24, v11
	v_mov_b32_e32 v22, 0x3b800000
	v_lshlrev_b32_e32 v14, 20, v14
	v_and_b32_e32 v21, 0x80000000, v21
	v_lshl_add_u32 v20, v20, 23, v22
	v_or3_b32 v14, v21, v20, v14
.LBB50_808:
	s_or_b64 exec, exec, s[6:7]
	s_nop 0
	v_mfma_f32_16x16x4f32 a[0:3], v10, v14, a[0:3]
	v_lshrrev_b32_e32 v14, 8, v15
	s_movk_i32 s4, 0x7f
	v_cmp_gt_i16_sdwa s[6:7], v14, s4 src0_sel:BYTE_0 src1_sel:DWORD
	s_mov_b64 s[4:5], 0
                                        ; implicit-def: $sgpr10
	s_and_saveexec_b64 s[8:9], s[6:7]
	s_xor_b64 s[6:7], exec, s[8:9]
	s_cbranch_execnz .LBB50_2857
; %bb.809:
	s_or_saveexec_b64 s[6:7], s[6:7]
	v_mov_b32_e32 v10, s10
	s_xor_b64 exec, exec, s[6:7]
	s_cbranch_execnz .LBB50_2860
.LBB50_810:
	s_or_b64 exec, exec, s[6:7]
	s_and_saveexec_b64 s[6:7], s[4:5]
	s_cbranch_execz .LBB50_812
.LBB50_811:
	v_bfe_u32 v10, v15, 8, 3
	v_ffbh_u32_e32 v21, v10
	v_min_u32_e32 v21, 32, v21
	v_lshrrev_b16_e32 v20, 3, v14
	v_subrev_u32_e32 v22, 28, v21
	v_and_b32_e32 v20, 15, v20
	v_lshlrev_b32_e32 v14, v22, v14
	v_sub_u32_e32 v21, 29, v21
	v_and_b32_e32 v14, 7, v14
	v_cmp_eq_u16_e32 vcc, 0, v20
	v_cndmask_b32_e32 v10, v10, v14, vcc
	v_cndmask_b32_e32 v14, v20, v21, vcc
	v_lshlrev_b32_e32 v20, 16, v15
	v_mov_b32_e32 v21, 0x3b800000
	v_lshlrev_b32_e32 v10, 20, v10
	v_and_b32_e32 v20, 0x80000000, v20
	v_lshl_add_u32 v14, v14, 23, v21
	v_or3_b32 v10, v20, v14, v10
.LBB50_812:
	s_or_b64 exec, exec, s[6:7]
	v_lshrrev_b32_e32 v14, 8, v11
	s_movk_i32 s4, 0x7f
	v_cmp_gt_i16_sdwa s[6:7], v14, s4 src0_sel:BYTE_0 src1_sel:DWORD
	s_mov_b64 s[4:5], 0
                                        ; implicit-def: $sgpr10
	s_and_saveexec_b64 s[8:9], s[6:7]
	s_xor_b64 s[6:7], exec, s[8:9]
	s_cbranch_execnz .LBB50_2861
; %bb.813:
	s_or_saveexec_b64 s[6:7], s[6:7]
	v_mov_b32_e32 v20, s10
	s_xor_b64 exec, exec, s[6:7]
	s_cbranch_execnz .LBB50_2864
.LBB50_814:
	s_or_b64 exec, exec, s[6:7]
	s_and_saveexec_b64 s[6:7], s[4:5]
	s_cbranch_execz .LBB50_816
.LBB50_815:
	v_bfe_u32 v20, v11, 8, 3
	v_ffbh_u32_e32 v22, v20
	v_min_u32_e32 v22, 32, v22
	v_lshrrev_b16_e32 v21, 3, v14
	v_subrev_u32_e32 v23, 28, v22
	v_and_b32_e32 v21, 15, v21
	v_lshlrev_b32_e32 v14, v23, v14
	v_sub_u32_e32 v22, 29, v22
	v_and_b32_e32 v14, 7, v14
	v_cmp_eq_u16_e32 vcc, 0, v21
	v_cndmask_b32_e32 v14, v20, v14, vcc
	v_cndmask_b32_e32 v20, v21, v22, vcc
	v_lshlrev_b32_e32 v21, 16, v11
	v_mov_b32_e32 v22, 0x3b800000
	v_lshlrev_b32_e32 v14, 20, v14
	v_and_b32_e32 v21, 0x80000000, v21
	v_lshl_add_u32 v20, v20, 23, v22
	v_or3_b32 v20, v21, v20, v14
.LBB50_816:
	s_or_b64 exec, exec, s[6:7]
	s_nop 0
	v_mfma_f32_16x16x4f32 a[0:3], v10, v20, a[0:3]
	s_movk_i32 s4, 0xff
	v_and_b32_sdwa v14, v15, s4 dst_sel:DWORD dst_unused:UNUSED_PAD src0_sel:WORD_1 src1_sel:DWORD
	s_movk_i32 s4, 0x7f
	v_cmp_lt_i16_e32 vcc, s4, v14
	s_mov_b64 s[4:5], 0
                                        ; implicit-def: $sgpr10
	s_and_saveexec_b64 s[6:7], vcc
	s_xor_b64 s[6:7], exec, s[6:7]
	s_cbranch_execnz .LBB50_2865
; %bb.817:
	s_or_saveexec_b64 s[6:7], s[6:7]
	v_mov_b32_e32 v10, s10
	s_xor_b64 exec, exec, s[6:7]
	s_cbranch_execnz .LBB50_2868
.LBB50_818:
	s_or_b64 exec, exec, s[6:7]
	s_and_saveexec_b64 s[6:7], s[4:5]
	s_cbranch_execz .LBB50_820
.LBB50_819:
	v_bfe_u32 v10, v15, 16, 3
	v_ffbh_u32_e32 v21, v10
	v_min_u32_e32 v21, 32, v21
	v_lshrrev_b32_e32 v14, 19, v15
	v_subrev_u32_e32 v22, 28, v21
	v_and_b32_e32 v14, 15, v14
	v_lshlrev_b32_sdwa v22, v22, v15 dst_sel:DWORD dst_unused:UNUSED_PAD src0_sel:DWORD src1_sel:WORD_1
	v_bfe_u32 v20, v15, 19, 4
	v_sub_u32_e32 v21, 29, v21
	v_and_b32_e32 v22, 7, v22
	v_cmp_eq_u16_e32 vcc, 0, v14
	v_cndmask_b32_e32 v10, v10, v22, vcc
	v_cndmask_b32_e32 v14, v20, v21, vcc
	v_lshlrev_b32_e32 v20, 8, v15
	v_mov_b32_e32 v21, 0x3b800000
	v_lshlrev_b32_e32 v10, 20, v10
	v_and_b32_e32 v20, 0x80000000, v20
	v_lshl_add_u32 v14, v14, 23, v21
	v_or3_b32 v10, v20, v14, v10
.LBB50_820:
	s_or_b64 exec, exec, s[6:7]
	s_movk_i32 s4, 0xff
	v_and_b32_sdwa v14, v11, s4 dst_sel:DWORD dst_unused:UNUSED_PAD src0_sel:WORD_1 src1_sel:DWORD
	s_movk_i32 s4, 0x7f
	v_cmp_lt_i16_e32 vcc, s4, v14
	s_mov_b64 s[4:5], 0
                                        ; implicit-def: $sgpr10
	s_and_saveexec_b64 s[6:7], vcc
	s_xor_b64 s[6:7], exec, s[6:7]
	s_cbranch_execnz .LBB50_2869
; %bb.821:
	s_or_saveexec_b64 s[6:7], s[6:7]
	v_mov_b32_e32 v20, s10
	s_xor_b64 exec, exec, s[6:7]
	s_cbranch_execnz .LBB50_2872
.LBB50_822:
	s_or_b64 exec, exec, s[6:7]
	s_and_saveexec_b64 s[6:7], s[4:5]
	s_cbranch_execz .LBB50_824
.LBB50_823:
	v_bfe_u32 v14, v11, 16, 3
	v_ffbh_u32_e32 v22, v14
	v_min_u32_e32 v22, 32, v22
	v_lshrrev_b32_e32 v20, 19, v11
	v_subrev_u32_e32 v23, 28, v22
	v_and_b32_e32 v20, 15, v20
	v_lshlrev_b32_sdwa v23, v23, v11 dst_sel:DWORD dst_unused:UNUSED_PAD src0_sel:DWORD src1_sel:WORD_1
	v_bfe_u32 v21, v11, 19, 4
	v_sub_u32_e32 v22, 29, v22
	v_and_b32_e32 v23, 7, v23
	v_cmp_eq_u16_e32 vcc, 0, v20
	v_cndmask_b32_e32 v14, v14, v23, vcc
	v_cndmask_b32_e32 v20, v21, v22, vcc
	v_lshlrev_b32_e32 v21, 8, v11
	v_mov_b32_e32 v22, 0x3b800000
	v_lshlrev_b32_e32 v14, 20, v14
	v_and_b32_e32 v21, 0x80000000, v21
	v_lshl_add_u32 v20, v20, 23, v22
	v_or3_b32 v20, v21, v20, v14
.LBB50_824:
	s_or_b64 exec, exec, s[6:7]
	s_nop 0
	v_mfma_f32_16x16x4f32 a[0:3], v10, v20, a[0:3]
	s_movk_i32 s4, 0x7f
	v_cmp_gt_i16_sdwa s[6:7], v15, s4 src0_sel:BYTE_3 src1_sel:DWORD
	s_mov_b64 s[4:5], 0
                                        ; implicit-def: $sgpr10
	s_and_saveexec_b64 s[8:9], s[6:7]
	s_xor_b64 s[6:7], exec, s[8:9]
	s_cbranch_execnz .LBB50_2873
; %bb.825:
	s_or_saveexec_b64 s[6:7], s[6:7]
	v_mov_b32_e32 v10, s10
	s_xor_b64 exec, exec, s[6:7]
	s_cbranch_execnz .LBB50_2876
.LBB50_826:
	s_or_b64 exec, exec, s[6:7]
	s_and_saveexec_b64 s[6:7], s[4:5]
	s_cbranch_execz .LBB50_828
.LBB50_827:
	v_bfe_u32 v10, v15, 24, 3
	v_ffbh_u32_e32 v22, v10
	v_min_u32_e32 v22, 32, v22
	v_lshrrev_b32_e32 v20, 27, v15
	v_subrev_u32_e32 v23, 28, v22
	v_and_b32_e32 v14, 0x80000000, v15
	v_and_b32_e32 v20, 15, v20
	v_bfe_u32 v21, v15, 27, 4
	v_lshlrev_b32_sdwa v15, v23, v15 dst_sel:DWORD dst_unused:UNUSED_PAD src0_sel:DWORD src1_sel:BYTE_3
	v_sub_u32_e32 v22, 29, v22
	v_and_b32_e32 v15, 7, v15
	v_cmp_eq_u16_e32 vcc, 0, v20
	v_cndmask_b32_e32 v10, v10, v15, vcc
	v_cndmask_b32_e32 v15, v21, v22, vcc
	v_mov_b32_e32 v20, 0x3b800000
	v_lshlrev_b32_e32 v10, 20, v10
	v_lshl_add_u32 v15, v15, 23, v20
	v_or3_b32 v10, v14, v15, v10
.LBB50_828:
	s_or_b64 exec, exec, s[6:7]
	s_movk_i32 s4, 0x7f
	v_cmp_gt_i16_sdwa s[6:7], v11, s4 src0_sel:BYTE_3 src1_sel:DWORD
	s_mov_b64 s[4:5], 0
                                        ; implicit-def: $sgpr10
	s_and_saveexec_b64 s[8:9], s[6:7]
	s_xor_b64 s[6:7], exec, s[8:9]
	s_cbranch_execnz .LBB50_2877
; %bb.829:
	s_or_saveexec_b64 s[6:7], s[6:7]
	v_mov_b32_e32 v14, s10
	s_xor_b64 exec, exec, s[6:7]
	s_cbranch_execnz .LBB50_2880
.LBB50_830:
	s_or_b64 exec, exec, s[6:7]
	s_and_saveexec_b64 s[6:7], s[4:5]
	s_cbranch_execz .LBB50_832
.LBB50_831:
	v_bfe_u32 v14, v11, 24, 3
	v_ffbh_u32_e32 v22, v14
	v_min_u32_e32 v22, 32, v22
	v_lshrrev_b32_e32 v20, 27, v11
	v_subrev_u32_e32 v23, 28, v22
	v_and_b32_e32 v15, 0x80000000, v11
	v_and_b32_e32 v20, 15, v20
	v_bfe_u32 v21, v11, 27, 4
	v_lshlrev_b32_sdwa v11, v23, v11 dst_sel:DWORD dst_unused:UNUSED_PAD src0_sel:DWORD src1_sel:BYTE_3
	v_sub_u32_e32 v22, 29, v22
	v_and_b32_e32 v11, 7, v11
	v_cmp_eq_u16_e32 vcc, 0, v20
	v_cndmask_b32_e32 v11, v14, v11, vcc
	v_cndmask_b32_e32 v14, v21, v22, vcc
	v_mov_b32_e32 v20, 0x3b800000
	v_lshlrev_b32_e32 v11, 20, v11
	v_lshl_add_u32 v14, v14, 23, v20
	v_or3_b32 v14, v15, v14, v11
.LBB50_832:
	s_or_b64 exec, exec, s[6:7]
	s_nop 0
	v_mfma_f32_16x16x4f32 a[0:3], v10, v14, a[0:3]
	s_movk_i32 s4, 0x7f
	v_cmp_gt_i16_sdwa s[6:7], v16, s4 src0_sel:BYTE_0 src1_sel:DWORD
	s_mov_b64 s[4:5], 0
                                        ; implicit-def: $sgpr10
	s_and_saveexec_b64 s[8:9], s[6:7]
	s_xor_b64 s[6:7], exec, s[8:9]
	s_cbranch_execnz .LBB50_2881
; %bb.833:
	s_or_saveexec_b64 s[6:7], s[6:7]
	v_mov_b32_e32 v10, s10
	s_xor_b64 exec, exec, s[6:7]
	s_cbranch_execnz .LBB50_2884
.LBB50_834:
	s_or_b64 exec, exec, s[6:7]
	s_and_saveexec_b64 s[6:7], s[4:5]
	s_cbranch_execz .LBB50_836
.LBB50_835:
	v_and_b32_e32 v10, 7, v16
	v_ffbh_u32_e32 v14, v10
	v_min_u32_e32 v14, 32, v14
	v_lshrrev_b16_e32 v11, 3, v16
	v_subrev_u32_e32 v15, 28, v14
	v_and_b32_e32 v11, 15, v11
	v_lshlrev_b32_e32 v15, v15, v16
	v_sub_u32_e32 v14, 29, v14
	v_and_b32_e32 v15, 7, v15
	v_cmp_eq_u16_e32 vcc, 0, v11
	v_cndmask_b32_e32 v10, v10, v15, vcc
	v_cndmask_b32_e32 v11, v11, v14, vcc
	v_lshlrev_b32_e32 v14, 24, v16
	v_mov_b32_e32 v15, 0x3b800000
	v_lshlrev_b32_e32 v10, 20, v10
	v_and_b32_e32 v14, 0x80000000, v14
	v_lshl_add_u32 v11, v11, 23, v15
	v_or3_b32 v10, v14, v11, v10
.LBB50_836:
	s_or_b64 exec, exec, s[6:7]
	s_movk_i32 s4, 0x7f
	v_cmp_gt_i16_sdwa s[6:7], v12, s4 src0_sel:BYTE_0 src1_sel:DWORD
	s_mov_b64 s[4:5], 0
                                        ; implicit-def: $sgpr10
	s_and_saveexec_b64 s[8:9], s[6:7]
	s_xor_b64 s[6:7], exec, s[8:9]
	s_cbranch_execnz .LBB50_2885
; %bb.837:
	s_or_saveexec_b64 s[6:7], s[6:7]
	v_mov_b32_e32 v11, s10
	s_xor_b64 exec, exec, s[6:7]
	s_cbranch_execnz .LBB50_2888
.LBB50_838:
	s_or_b64 exec, exec, s[6:7]
	s_and_saveexec_b64 s[6:7], s[4:5]
	s_cbranch_execz .LBB50_840
.LBB50_839:
	v_and_b32_e32 v11, 7, v12
	v_ffbh_u32_e32 v15, v11
	v_min_u32_e32 v15, 32, v15
	v_lshrrev_b16_e32 v14, 3, v12
	v_subrev_u32_e32 v20, 28, v15
	v_and_b32_e32 v14, 15, v14
	v_lshlrev_b32_e32 v20, v20, v12
	v_sub_u32_e32 v15, 29, v15
	v_and_b32_e32 v20, 7, v20
	v_cmp_eq_u16_e32 vcc, 0, v14
	v_cndmask_b32_e32 v11, v11, v20, vcc
	v_cndmask_b32_e32 v14, v14, v15, vcc
	v_lshlrev_b32_e32 v15, 24, v12
	v_mov_b32_e32 v20, 0x3b800000
	v_lshlrev_b32_e32 v11, 20, v11
	v_and_b32_e32 v15, 0x80000000, v15
	v_lshl_add_u32 v14, v14, 23, v20
	v_or3_b32 v11, v15, v14, v11
.LBB50_840:
	s_or_b64 exec, exec, s[6:7]
	s_nop 0
	v_mfma_f32_16x16x4f32 a[0:3], v10, v11, a[0:3]
	v_lshrrev_b32_e32 v11, 8, v16
	s_movk_i32 s4, 0x7f
	v_cmp_gt_i16_sdwa s[6:7], v11, s4 src0_sel:BYTE_0 src1_sel:DWORD
	s_mov_b64 s[4:5], 0
                                        ; implicit-def: $sgpr10
	s_and_saveexec_b64 s[8:9], s[6:7]
	s_xor_b64 s[6:7], exec, s[8:9]
	s_cbranch_execnz .LBB50_2889
; %bb.841:
	s_or_saveexec_b64 s[6:7], s[6:7]
	v_mov_b32_e32 v10, s10
	s_xor_b64 exec, exec, s[6:7]
	s_cbranch_execnz .LBB50_2892
.LBB50_842:
	s_or_b64 exec, exec, s[6:7]
	s_and_saveexec_b64 s[6:7], s[4:5]
	s_cbranch_execz .LBB50_844
.LBB50_843:
	v_bfe_u32 v10, v16, 8, 3
	v_ffbh_u32_e32 v15, v10
	v_min_u32_e32 v15, 32, v15
	v_lshrrev_b16_e32 v14, 3, v11
	v_subrev_u32_e32 v20, 28, v15
	v_and_b32_e32 v14, 15, v14
	v_lshlrev_b32_e32 v11, v20, v11
	v_sub_u32_e32 v15, 29, v15
	v_and_b32_e32 v11, 7, v11
	v_cmp_eq_u16_e32 vcc, 0, v14
	v_cndmask_b32_e32 v10, v10, v11, vcc
	v_cndmask_b32_e32 v11, v14, v15, vcc
	v_lshlrev_b32_e32 v14, 16, v16
	v_mov_b32_e32 v15, 0x3b800000
	v_lshlrev_b32_e32 v10, 20, v10
	v_and_b32_e32 v14, 0x80000000, v14
	v_lshl_add_u32 v11, v11, 23, v15
	v_or3_b32 v10, v14, v11, v10
.LBB50_844:
	s_or_b64 exec, exec, s[6:7]
	v_lshrrev_b32_e32 v11, 8, v12
	s_movk_i32 s4, 0x7f
	v_cmp_gt_i16_sdwa s[6:7], v11, s4 src0_sel:BYTE_0 src1_sel:DWORD
	s_mov_b64 s[4:5], 0
                                        ; implicit-def: $sgpr10
	s_and_saveexec_b64 s[8:9], s[6:7]
	s_xor_b64 s[6:7], exec, s[8:9]
	s_cbranch_execnz .LBB50_2893
; %bb.845:
	s_or_saveexec_b64 s[6:7], s[6:7]
	v_mov_b32_e32 v14, s10
	s_xor_b64 exec, exec, s[6:7]
	s_cbranch_execnz .LBB50_2896
.LBB50_846:
	s_or_b64 exec, exec, s[6:7]
	s_and_saveexec_b64 s[6:7], s[4:5]
	s_cbranch_execz .LBB50_848
.LBB50_847:
	v_bfe_u32 v14, v12, 8, 3
	v_ffbh_u32_e32 v20, v14
	v_min_u32_e32 v20, 32, v20
	v_lshrrev_b16_e32 v15, 3, v11
	v_subrev_u32_e32 v21, 28, v20
	v_and_b32_e32 v15, 15, v15
	v_lshlrev_b32_e32 v11, v21, v11
	v_sub_u32_e32 v20, 29, v20
	v_and_b32_e32 v11, 7, v11
	v_cmp_eq_u16_e32 vcc, 0, v15
	v_cndmask_b32_e32 v11, v14, v11, vcc
	v_cndmask_b32_e32 v14, v15, v20, vcc
	v_lshlrev_b32_e32 v15, 16, v12
	v_mov_b32_e32 v20, 0x3b800000
	v_lshlrev_b32_e32 v11, 20, v11
	v_and_b32_e32 v15, 0x80000000, v15
	v_lshl_add_u32 v14, v14, 23, v20
	v_or3_b32 v14, v15, v14, v11
.LBB50_848:
	s_or_b64 exec, exec, s[6:7]
	s_nop 0
	v_mfma_f32_16x16x4f32 a[0:3], v10, v14, a[0:3]
	s_movk_i32 s4, 0xff
	v_and_b32_sdwa v11, v16, s4 dst_sel:DWORD dst_unused:UNUSED_PAD src0_sel:WORD_1 src1_sel:DWORD
	s_movk_i32 s4, 0x7f
	v_cmp_lt_i16_e32 vcc, s4, v11
	s_mov_b64 s[4:5], 0
                                        ; implicit-def: $sgpr10
	s_and_saveexec_b64 s[6:7], vcc
	s_xor_b64 s[6:7], exec, s[6:7]
	s_cbranch_execnz .LBB50_2897
; %bb.849:
	s_or_saveexec_b64 s[6:7], s[6:7]
	v_mov_b32_e32 v10, s10
	s_xor_b64 exec, exec, s[6:7]
	s_cbranch_execnz .LBB50_2900
.LBB50_850:
	s_or_b64 exec, exec, s[6:7]
	s_and_saveexec_b64 s[6:7], s[4:5]
	s_cbranch_execz .LBB50_852
.LBB50_851:
	v_bfe_u32 v10, v16, 16, 3
	v_ffbh_u32_e32 v15, v10
	v_min_u32_e32 v15, 32, v15
	v_lshrrev_b32_e32 v11, 19, v16
	v_subrev_u32_e32 v20, 28, v15
	v_and_b32_e32 v11, 15, v11
	v_lshlrev_b32_sdwa v20, v20, v16 dst_sel:DWORD dst_unused:UNUSED_PAD src0_sel:DWORD src1_sel:WORD_1
	v_bfe_u32 v14, v16, 19, 4
	v_sub_u32_e32 v15, 29, v15
	v_and_b32_e32 v20, 7, v20
	v_cmp_eq_u16_e32 vcc, 0, v11
	v_cndmask_b32_e32 v10, v10, v20, vcc
	v_cndmask_b32_e32 v11, v14, v15, vcc
	v_lshlrev_b32_e32 v14, 8, v16
	v_mov_b32_e32 v15, 0x3b800000
	v_lshlrev_b32_e32 v10, 20, v10
	v_and_b32_e32 v14, 0x80000000, v14
	v_lshl_add_u32 v11, v11, 23, v15
	v_or3_b32 v10, v14, v11, v10
.LBB50_852:
	s_or_b64 exec, exec, s[6:7]
	s_movk_i32 s4, 0xff
	v_and_b32_sdwa v11, v12, s4 dst_sel:DWORD dst_unused:UNUSED_PAD src0_sel:WORD_1 src1_sel:DWORD
	s_movk_i32 s4, 0x7f
	v_cmp_lt_i16_e32 vcc, s4, v11
	s_mov_b64 s[4:5], 0
                                        ; implicit-def: $sgpr10
	s_and_saveexec_b64 s[6:7], vcc
	s_xor_b64 s[6:7], exec, s[6:7]
	s_cbranch_execnz .LBB50_2901
; %bb.853:
	s_or_saveexec_b64 s[6:7], s[6:7]
	v_mov_b32_e32 v14, s10
	s_xor_b64 exec, exec, s[6:7]
	s_cbranch_execnz .LBB50_2904
.LBB50_854:
	s_or_b64 exec, exec, s[6:7]
	s_and_saveexec_b64 s[6:7], s[4:5]
	s_cbranch_execz .LBB50_856
.LBB50_855:
	v_bfe_u32 v11, v12, 16, 3
	v_ffbh_u32_e32 v20, v11
	v_min_u32_e32 v20, 32, v20
	v_lshrrev_b32_e32 v14, 19, v12
	v_subrev_u32_e32 v21, 28, v20
	v_and_b32_e32 v14, 15, v14
	v_lshlrev_b32_sdwa v21, v21, v12 dst_sel:DWORD dst_unused:UNUSED_PAD src0_sel:DWORD src1_sel:WORD_1
	v_bfe_u32 v15, v12, 19, 4
	v_sub_u32_e32 v20, 29, v20
	v_and_b32_e32 v21, 7, v21
	v_cmp_eq_u16_e32 vcc, 0, v14
	v_cndmask_b32_e32 v11, v11, v21, vcc
	v_cndmask_b32_e32 v14, v15, v20, vcc
	v_lshlrev_b32_e32 v15, 8, v12
	v_mov_b32_e32 v20, 0x3b800000
	v_lshlrev_b32_e32 v11, 20, v11
	v_and_b32_e32 v15, 0x80000000, v15
	v_lshl_add_u32 v14, v14, 23, v20
	v_or3_b32 v14, v15, v14, v11
.LBB50_856:
	s_or_b64 exec, exec, s[6:7]
	s_nop 0
	v_mfma_f32_16x16x4f32 a[0:3], v10, v14, a[0:3]
	s_movk_i32 s4, 0x7f
	v_cmp_gt_i16_sdwa s[6:7], v16, s4 src0_sel:BYTE_3 src1_sel:DWORD
	s_mov_b64 s[4:5], 0
                                        ; implicit-def: $sgpr10
	s_and_saveexec_b64 s[8:9], s[6:7]
	s_xor_b64 s[6:7], exec, s[8:9]
	s_cbranch_execnz .LBB50_2905
; %bb.857:
	s_or_saveexec_b64 s[6:7], s[6:7]
	v_mov_b32_e32 v10, s10
	s_xor_b64 exec, exec, s[6:7]
	s_cbranch_execnz .LBB50_2908
.LBB50_858:
	s_or_b64 exec, exec, s[6:7]
	s_and_saveexec_b64 s[6:7], s[4:5]
	s_cbranch_execz .LBB50_860
.LBB50_859:
	v_bfe_u32 v10, v16, 24, 3
	v_ffbh_u32_e32 v20, v10
	v_min_u32_e32 v20, 32, v20
	v_lshrrev_b32_e32 v14, 27, v16
	v_subrev_u32_e32 v21, 28, v20
	v_and_b32_e32 v11, 0x80000000, v16
	v_and_b32_e32 v14, 15, v14
	v_bfe_u32 v15, v16, 27, 4
	v_lshlrev_b32_sdwa v16, v21, v16 dst_sel:DWORD dst_unused:UNUSED_PAD src0_sel:DWORD src1_sel:BYTE_3
	v_sub_u32_e32 v20, 29, v20
	v_and_b32_e32 v16, 7, v16
	v_cmp_eq_u16_e32 vcc, 0, v14
	v_cndmask_b32_e32 v10, v10, v16, vcc
	v_cndmask_b32_e32 v14, v15, v20, vcc
	v_mov_b32_e32 v15, 0x3b800000
	v_lshlrev_b32_e32 v10, 20, v10
	v_lshl_add_u32 v14, v14, 23, v15
	v_or3_b32 v10, v11, v14, v10
.LBB50_860:
	s_or_b64 exec, exec, s[6:7]
	s_movk_i32 s4, 0x7f
	v_cmp_gt_i16_sdwa s[6:7], v12, s4 src0_sel:BYTE_3 src1_sel:DWORD
	s_mov_b64 s[4:5], 0
                                        ; implicit-def: $sgpr10
	s_and_saveexec_b64 s[8:9], s[6:7]
	s_xor_b64 s[6:7], exec, s[8:9]
	s_cbranch_execnz .LBB50_2909
; %bb.861:
	s_or_saveexec_b64 s[6:7], s[6:7]
	v_mov_b32_e32 v11, s10
	s_xor_b64 exec, exec, s[6:7]
	s_cbranch_execnz .LBB50_2912
.LBB50_862:
	s_or_b64 exec, exec, s[6:7]
	s_and_saveexec_b64 s[6:7], s[4:5]
	s_cbranch_execz .LBB50_864
.LBB50_863:
	v_bfe_u32 v11, v12, 24, 3
	v_ffbh_u32_e32 v20, v11
	v_min_u32_e32 v20, 32, v20
	v_lshrrev_b32_e32 v15, 27, v12
	v_subrev_u32_e32 v21, 28, v20
	v_and_b32_e32 v14, 0x80000000, v12
	v_and_b32_e32 v15, 15, v15
	v_bfe_u32 v16, v12, 27, 4
	v_lshlrev_b32_sdwa v12, v21, v12 dst_sel:DWORD dst_unused:UNUSED_PAD src0_sel:DWORD src1_sel:BYTE_3
	v_sub_u32_e32 v20, 29, v20
	v_and_b32_e32 v12, 7, v12
	v_cmp_eq_u16_e32 vcc, 0, v15
	v_cndmask_b32_e32 v11, v11, v12, vcc
	v_cndmask_b32_e32 v12, v16, v20, vcc
	v_mov_b32_e32 v15, 0x3b800000
	v_lshlrev_b32_e32 v11, 20, v11
	v_lshl_add_u32 v12, v12, 23, v15
	v_or3_b32 v11, v14, v12, v11
.LBB50_864:
	s_or_b64 exec, exec, s[6:7]
	s_nop 0
	v_mfma_f32_16x16x4f32 a[0:3], v10, v11, a[0:3]
	s_movk_i32 s4, 0x7f
	v_cmp_gt_i16_sdwa s[6:7], v17, s4 src0_sel:BYTE_0 src1_sel:DWORD
	s_mov_b64 s[4:5], 0
                                        ; implicit-def: $sgpr10
	s_and_saveexec_b64 s[8:9], s[6:7]
	s_xor_b64 s[6:7], exec, s[8:9]
	s_cbranch_execnz .LBB50_2913
; %bb.865:
	s_or_saveexec_b64 s[6:7], s[6:7]
	v_mov_b32_e32 v10, s10
	s_xor_b64 exec, exec, s[6:7]
	s_cbranch_execnz .LBB50_2916
.LBB50_866:
	s_or_b64 exec, exec, s[6:7]
	s_and_saveexec_b64 s[6:7], s[4:5]
	s_cbranch_execz .LBB50_868
.LBB50_867:
	v_and_b32_e32 v10, 7, v17
	v_ffbh_u32_e32 v12, v10
	v_min_u32_e32 v12, 32, v12
	v_lshrrev_b16_e32 v11, 3, v17
	v_subrev_u32_e32 v14, 28, v12
	v_and_b32_e32 v11, 15, v11
	v_lshlrev_b32_e32 v14, v14, v17
	v_sub_u32_e32 v12, 29, v12
	v_and_b32_e32 v14, 7, v14
	v_cmp_eq_u16_e32 vcc, 0, v11
	v_cndmask_b32_e32 v10, v10, v14, vcc
	v_cndmask_b32_e32 v11, v11, v12, vcc
	v_lshlrev_b32_e32 v12, 24, v17
	v_mov_b32_e32 v14, 0x3b800000
	v_lshlrev_b32_e32 v10, 20, v10
	v_and_b32_e32 v12, 0x80000000, v12
	v_lshl_add_u32 v11, v11, 23, v14
	v_or3_b32 v10, v12, v11, v10
.LBB50_868:
	s_or_b64 exec, exec, s[6:7]
	s_movk_i32 s4, 0x7f
	v_cmp_gt_i16_sdwa s[6:7], v13, s4 src0_sel:BYTE_0 src1_sel:DWORD
	s_mov_b64 s[4:5], 0
                                        ; implicit-def: $sgpr10
	s_and_saveexec_b64 s[8:9], s[6:7]
	s_xor_b64 s[6:7], exec, s[8:9]
	s_cbranch_execnz .LBB50_2917
; %bb.869:
	s_or_saveexec_b64 s[6:7], s[6:7]
	v_mov_b32_e32 v11, s10
	s_xor_b64 exec, exec, s[6:7]
	s_cbranch_execnz .LBB50_2920
.LBB50_870:
	s_or_b64 exec, exec, s[6:7]
	s_and_saveexec_b64 s[6:7], s[4:5]
	s_cbranch_execz .LBB50_872
.LBB50_871:
	v_and_b32_e32 v11, 7, v13
	v_ffbh_u32_e32 v14, v11
	v_min_u32_e32 v14, 32, v14
	v_lshrrev_b16_e32 v12, 3, v13
	v_subrev_u32_e32 v15, 28, v14
	v_and_b32_e32 v12, 15, v12
	v_lshlrev_b32_e32 v15, v15, v13
	v_sub_u32_e32 v14, 29, v14
	v_and_b32_e32 v15, 7, v15
	v_cmp_eq_u16_e32 vcc, 0, v12
	v_cndmask_b32_e32 v11, v11, v15, vcc
	v_cndmask_b32_e32 v12, v12, v14, vcc
	v_lshlrev_b32_e32 v14, 24, v13
	v_mov_b32_e32 v15, 0x3b800000
	v_lshlrev_b32_e32 v11, 20, v11
	v_and_b32_e32 v14, 0x80000000, v14
	v_lshl_add_u32 v12, v12, 23, v15
	v_or3_b32 v11, v14, v12, v11
.LBB50_872:
	s_or_b64 exec, exec, s[6:7]
	s_nop 0
	v_mfma_f32_16x16x4f32 a[0:3], v10, v11, a[0:3]
	v_lshrrev_b32_e32 v11, 8, v17
	s_movk_i32 s4, 0x7f
	v_cmp_gt_i16_sdwa s[6:7], v11, s4 src0_sel:BYTE_0 src1_sel:DWORD
	s_mov_b64 s[4:5], 0
                                        ; implicit-def: $sgpr10
	s_and_saveexec_b64 s[8:9], s[6:7]
	s_xor_b64 s[6:7], exec, s[8:9]
	s_cbranch_execnz .LBB50_2921
; %bb.873:
	s_or_saveexec_b64 s[6:7], s[6:7]
	v_mov_b32_e32 v10, s10
	s_xor_b64 exec, exec, s[6:7]
	s_cbranch_execnz .LBB50_2924
.LBB50_874:
	s_or_b64 exec, exec, s[6:7]
	s_and_saveexec_b64 s[6:7], s[4:5]
	s_cbranch_execz .LBB50_876
.LBB50_875:
	v_bfe_u32 v10, v17, 8, 3
	v_ffbh_u32_e32 v14, v10
	v_min_u32_e32 v14, 32, v14
	v_lshrrev_b16_e32 v12, 3, v11
	v_subrev_u32_e32 v15, 28, v14
	v_and_b32_e32 v12, 15, v12
	v_lshlrev_b32_e32 v11, v15, v11
	v_sub_u32_e32 v14, 29, v14
	v_and_b32_e32 v11, 7, v11
	v_cmp_eq_u16_e32 vcc, 0, v12
	v_cndmask_b32_e32 v10, v10, v11, vcc
	v_cndmask_b32_e32 v11, v12, v14, vcc
	v_lshlrev_b32_e32 v12, 16, v17
	v_mov_b32_e32 v14, 0x3b800000
	v_lshlrev_b32_e32 v10, 20, v10
	v_and_b32_e32 v12, 0x80000000, v12
	v_lshl_add_u32 v11, v11, 23, v14
	v_or3_b32 v10, v12, v11, v10
.LBB50_876:
	s_or_b64 exec, exec, s[6:7]
	v_lshrrev_b32_e32 v11, 8, v13
	s_movk_i32 s4, 0x7f
	v_cmp_gt_i16_sdwa s[6:7], v11, s4 src0_sel:BYTE_0 src1_sel:DWORD
	s_mov_b64 s[4:5], 0
                                        ; implicit-def: $sgpr10
	s_and_saveexec_b64 s[8:9], s[6:7]
	s_xor_b64 s[6:7], exec, s[8:9]
	s_cbranch_execnz .LBB50_2925
; %bb.877:
	s_or_saveexec_b64 s[6:7], s[6:7]
	v_mov_b32_e32 v12, s10
	s_xor_b64 exec, exec, s[6:7]
	s_cbranch_execnz .LBB50_2928
.LBB50_878:
	s_or_b64 exec, exec, s[6:7]
	s_and_saveexec_b64 s[6:7], s[4:5]
	s_cbranch_execz .LBB50_880
.LBB50_879:
	v_bfe_u32 v12, v13, 8, 3
	v_ffbh_u32_e32 v15, v12
	v_min_u32_e32 v15, 32, v15
	v_lshrrev_b16_e32 v14, 3, v11
	v_subrev_u32_e32 v16, 28, v15
	v_and_b32_e32 v14, 15, v14
	v_lshlrev_b32_e32 v11, v16, v11
	v_sub_u32_e32 v15, 29, v15
	v_and_b32_e32 v11, 7, v11
	v_cmp_eq_u16_e32 vcc, 0, v14
	v_cndmask_b32_e32 v11, v12, v11, vcc
	v_cndmask_b32_e32 v12, v14, v15, vcc
	v_lshlrev_b32_e32 v14, 16, v13
	v_mov_b32_e32 v15, 0x3b800000
	v_lshlrev_b32_e32 v11, 20, v11
	v_and_b32_e32 v14, 0x80000000, v14
	v_lshl_add_u32 v12, v12, 23, v15
	v_or3_b32 v12, v14, v12, v11
.LBB50_880:
	s_or_b64 exec, exec, s[6:7]
	s_nop 0
	v_mfma_f32_16x16x4f32 a[0:3], v10, v12, a[0:3]
	s_movk_i32 s4, 0xff
	v_and_b32_sdwa v11, v17, s4 dst_sel:DWORD dst_unused:UNUSED_PAD src0_sel:WORD_1 src1_sel:DWORD
	s_movk_i32 s4, 0x7f
	v_cmp_lt_i16_e32 vcc, s4, v11
	s_mov_b64 s[4:5], 0
                                        ; implicit-def: $sgpr10
	s_and_saveexec_b64 s[6:7], vcc
	s_xor_b64 s[6:7], exec, s[6:7]
	s_cbranch_execnz .LBB50_2929
; %bb.881:
	s_or_saveexec_b64 s[6:7], s[6:7]
	v_mov_b32_e32 v10, s10
	s_xor_b64 exec, exec, s[6:7]
	s_cbranch_execnz .LBB50_2932
.LBB50_882:
	s_or_b64 exec, exec, s[6:7]
	s_and_saveexec_b64 s[6:7], s[4:5]
	s_cbranch_execz .LBB50_884
.LBB50_883:
	v_bfe_u32 v10, v17, 16, 3
	v_ffbh_u32_e32 v14, v10
	v_min_u32_e32 v14, 32, v14
	v_lshrrev_b32_e32 v11, 19, v17
	v_subrev_u32_e32 v15, 28, v14
	v_and_b32_e32 v11, 15, v11
	v_lshlrev_b32_sdwa v15, v15, v17 dst_sel:DWORD dst_unused:UNUSED_PAD src0_sel:DWORD src1_sel:WORD_1
	v_bfe_u32 v12, v17, 19, 4
	v_sub_u32_e32 v14, 29, v14
	v_and_b32_e32 v15, 7, v15
	v_cmp_eq_u16_e32 vcc, 0, v11
	v_cndmask_b32_e32 v10, v10, v15, vcc
	v_cndmask_b32_e32 v11, v12, v14, vcc
	v_lshlrev_b32_e32 v12, 8, v17
	v_mov_b32_e32 v14, 0x3b800000
	v_lshlrev_b32_e32 v10, 20, v10
	v_and_b32_e32 v12, 0x80000000, v12
	v_lshl_add_u32 v11, v11, 23, v14
	v_or3_b32 v10, v12, v11, v10
.LBB50_884:
	s_or_b64 exec, exec, s[6:7]
	s_movk_i32 s4, 0xff
	v_and_b32_sdwa v11, v13, s4 dst_sel:DWORD dst_unused:UNUSED_PAD src0_sel:WORD_1 src1_sel:DWORD
	s_movk_i32 s4, 0x7f
	v_cmp_lt_i16_e32 vcc, s4, v11
	s_mov_b64 s[4:5], 0
                                        ; implicit-def: $sgpr10
	s_and_saveexec_b64 s[6:7], vcc
	s_xor_b64 s[6:7], exec, s[6:7]
	s_cbranch_execnz .LBB50_2933
; %bb.885:
	s_or_saveexec_b64 s[6:7], s[6:7]
	v_mov_b32_e32 v12, s10
	s_xor_b64 exec, exec, s[6:7]
	s_cbranch_execnz .LBB50_2936
.LBB50_886:
	s_or_b64 exec, exec, s[6:7]
	s_and_saveexec_b64 s[6:7], s[4:5]
	s_cbranch_execz .LBB50_888
.LBB50_887:
	v_bfe_u32 v11, v13, 16, 3
	v_ffbh_u32_e32 v15, v11
	v_min_u32_e32 v15, 32, v15
	v_lshrrev_b32_e32 v12, 19, v13
	v_subrev_u32_e32 v16, 28, v15
	v_and_b32_e32 v12, 15, v12
	v_lshlrev_b32_sdwa v16, v16, v13 dst_sel:DWORD dst_unused:UNUSED_PAD src0_sel:DWORD src1_sel:WORD_1
	v_bfe_u32 v14, v13, 19, 4
	v_sub_u32_e32 v15, 29, v15
	v_and_b32_e32 v16, 7, v16
	v_cmp_eq_u16_e32 vcc, 0, v12
	v_cndmask_b32_e32 v11, v11, v16, vcc
	v_cndmask_b32_e32 v12, v14, v15, vcc
	v_lshlrev_b32_e32 v14, 8, v13
	v_mov_b32_e32 v15, 0x3b800000
	v_lshlrev_b32_e32 v11, 20, v11
	v_and_b32_e32 v14, 0x80000000, v14
	v_lshl_add_u32 v12, v12, 23, v15
	v_or3_b32 v12, v14, v12, v11
.LBB50_888:
	s_or_b64 exec, exec, s[6:7]
	s_nop 0
	v_mfma_f32_16x16x4f32 a[0:3], v10, v12, a[0:3]
	s_movk_i32 s4, 0x7f
	v_cmp_gt_i16_sdwa s[6:7], v17, s4 src0_sel:BYTE_3 src1_sel:DWORD
	s_mov_b64 s[4:5], 0
                                        ; implicit-def: $sgpr10
	s_and_saveexec_b64 s[8:9], s[6:7]
	s_xor_b64 s[6:7], exec, s[8:9]
	s_cbranch_execnz .LBB50_2937
; %bb.889:
	s_or_saveexec_b64 s[6:7], s[6:7]
	v_mov_b32_e32 v10, s10
	s_xor_b64 exec, exec, s[6:7]
	s_cbranch_execnz .LBB50_2940
.LBB50_890:
	s_or_b64 exec, exec, s[6:7]
	s_and_saveexec_b64 s[6:7], s[4:5]
	s_cbranch_execz .LBB50_892
.LBB50_891:
	v_bfe_u32 v10, v17, 24, 3
	v_ffbh_u32_e32 v15, v10
	v_min_u32_e32 v15, 32, v15
	v_lshrrev_b32_e32 v12, 27, v17
	v_subrev_u32_e32 v16, 28, v15
	v_and_b32_e32 v12, 15, v12
	v_lshlrev_b32_sdwa v16, v16, v17 dst_sel:DWORD dst_unused:UNUSED_PAD src0_sel:DWORD src1_sel:BYTE_3
	v_bfe_u32 v14, v17, 27, 4
	v_sub_u32_e32 v15, 29, v15
	v_and_b32_e32 v16, 7, v16
	v_cmp_eq_u16_e32 vcc, 0, v12
	v_cndmask_b32_e32 v10, v10, v16, vcc
	v_cndmask_b32_e32 v12, v14, v15, vcc
	v_mov_b32_e32 v14, 0x3b800000
	v_and_b32_e32 v11, 0x80000000, v17
	v_lshlrev_b32_e32 v10, 20, v10
	v_lshl_add_u32 v12, v12, 23, v14
	v_or3_b32 v10, v11, v12, v10
.LBB50_892:
	s_or_b64 exec, exec, s[6:7]
	s_movk_i32 s4, 0x7f
	v_cmp_gt_i16_sdwa s[6:7], v13, s4 src0_sel:BYTE_3 src1_sel:DWORD
	s_mov_b64 s[4:5], 0
                                        ; implicit-def: $sgpr10
	s_and_saveexec_b64 s[8:9], s[6:7]
	s_xor_b64 s[6:7], exec, s[8:9]
	s_cbranch_execnz .LBB50_2941
; %bb.893:
	s_or_saveexec_b64 s[6:7], s[6:7]
	v_mov_b32_e32 v11, s10
	s_xor_b64 exec, exec, s[6:7]
	s_cbranch_execnz .LBB50_2944
.LBB50_894:
	s_or_b64 exec, exec, s[6:7]
	s_and_saveexec_b64 s[6:7], s[4:5]
	s_cbranch_execz .LBB50_896
.LBB50_895:
	v_bfe_u32 v11, v13, 24, 3
	v_ffbh_u32_e32 v16, v11
	v_min_u32_e32 v16, 32, v16
	v_lshrrev_b32_e32 v14, 27, v13
	v_subrev_u32_e32 v17, 28, v16
	v_and_b32_e32 v12, 0x80000000, v13
	v_and_b32_e32 v14, 15, v14
	v_bfe_u32 v15, v13, 27, 4
	v_lshlrev_b32_sdwa v13, v17, v13 dst_sel:DWORD dst_unused:UNUSED_PAD src0_sel:DWORD src1_sel:BYTE_3
	v_sub_u32_e32 v16, 29, v16
	v_and_b32_e32 v13, 7, v13
	v_cmp_eq_u16_e32 vcc, 0, v14
	v_cndmask_b32_e32 v11, v11, v13, vcc
	v_cndmask_b32_e32 v13, v15, v16, vcc
	v_mov_b32_e32 v14, 0x3b800000
	v_lshlrev_b32_e32 v11, 20, v11
	v_lshl_add_u32 v13, v13, 23, v14
	v_or3_b32 v11, v12, v13, v11
.LBB50_896:
	s_or_b64 exec, exec, s[6:7]
	s_nop 0
	v_mfma_f32_16x16x4f32 a[0:3], v10, v11, a[0:3]
	s_movk_i32 s4, 0x7f
	v_cmp_gt_i16_sdwa s[6:7], v6, s4 src0_sel:BYTE_0 src1_sel:DWORD
	s_mov_b64 s[4:5], 0
                                        ; implicit-def: $sgpr10
	s_and_saveexec_b64 s[8:9], s[6:7]
	s_xor_b64 s[6:7], exec, s[8:9]
	s_cbranch_execnz .LBB50_2945
; %bb.897:
	s_or_saveexec_b64 s[6:7], s[6:7]
	v_mov_b32_e32 v10, s10
	s_xor_b64 exec, exec, s[6:7]
	s_cbranch_execnz .LBB50_2948
.LBB50_898:
	s_or_b64 exec, exec, s[6:7]
	s_and_saveexec_b64 s[6:7], s[4:5]
	s_cbranch_execz .LBB50_900
.LBB50_899:
	v_and_b32_e32 v10, 7, v6
	v_ffbh_u32_e32 v12, v10
	v_min_u32_e32 v12, 32, v12
	v_lshrrev_b16_e32 v11, 3, v6
	v_subrev_u32_e32 v13, 28, v12
	v_and_b32_e32 v11, 15, v11
	v_lshlrev_b32_e32 v13, v13, v6
	v_sub_u32_e32 v12, 29, v12
	v_and_b32_e32 v13, 7, v13
	v_cmp_eq_u16_e32 vcc, 0, v11
	v_cndmask_b32_e32 v10, v10, v13, vcc
	v_cndmask_b32_e32 v11, v11, v12, vcc
	v_lshlrev_b32_e32 v12, 24, v6
	v_mov_b32_e32 v13, 0x3b800000
	v_lshlrev_b32_e32 v10, 20, v10
	v_and_b32_e32 v12, 0x80000000, v12
	v_lshl_add_u32 v11, v11, 23, v13
	v_or3_b32 v10, v12, v11, v10
.LBB50_900:
	s_or_b64 exec, exec, s[6:7]
	s_movk_i32 s4, 0x7f
	v_cmp_gt_i16_sdwa s[6:7], v2, s4 src0_sel:BYTE_0 src1_sel:DWORD
	s_mov_b64 s[4:5], 0
                                        ; implicit-def: $sgpr10
	s_and_saveexec_b64 s[8:9], s[6:7]
	s_xor_b64 s[6:7], exec, s[8:9]
	s_cbranch_execnz .LBB50_2949
; %bb.901:
	s_or_saveexec_b64 s[6:7], s[6:7]
	v_mov_b32_e32 v11, s10
	s_xor_b64 exec, exec, s[6:7]
	s_cbranch_execnz .LBB50_2952
.LBB50_902:
	s_or_b64 exec, exec, s[6:7]
	s_and_saveexec_b64 s[6:7], s[4:5]
	s_cbranch_execz .LBB50_904
.LBB50_903:
	v_and_b32_e32 v11, 7, v2
	v_ffbh_u32_e32 v13, v11
	v_min_u32_e32 v13, 32, v13
	v_lshrrev_b16_e32 v12, 3, v2
	v_subrev_u32_e32 v14, 28, v13
	v_and_b32_e32 v12, 15, v12
	v_lshlrev_b32_e32 v14, v14, v2
	v_sub_u32_e32 v13, 29, v13
	v_and_b32_e32 v14, 7, v14
	v_cmp_eq_u16_e32 vcc, 0, v12
	v_cndmask_b32_e32 v11, v11, v14, vcc
	v_cndmask_b32_e32 v12, v12, v13, vcc
	v_lshlrev_b32_e32 v13, 24, v2
	v_mov_b32_e32 v14, 0x3b800000
	v_lshlrev_b32_e32 v11, 20, v11
	v_and_b32_e32 v13, 0x80000000, v13
	v_lshl_add_u32 v12, v12, 23, v14
	v_or3_b32 v11, v13, v12, v11
.LBB50_904:
	s_or_b64 exec, exec, s[6:7]
	s_nop 0
	v_mfma_f32_16x16x4f32 a[0:3], v10, v11, a[0:3]
	v_lshrrev_b32_e32 v11, 8, v6
	s_movk_i32 s4, 0x7f
	v_cmp_gt_i16_sdwa s[6:7], v11, s4 src0_sel:BYTE_0 src1_sel:DWORD
	s_mov_b64 s[4:5], 0
                                        ; implicit-def: $sgpr10
	s_and_saveexec_b64 s[8:9], s[6:7]
	s_xor_b64 s[6:7], exec, s[8:9]
	s_cbranch_execnz .LBB50_2953
; %bb.905:
	s_or_saveexec_b64 s[6:7], s[6:7]
	v_mov_b32_e32 v10, s10
	s_xor_b64 exec, exec, s[6:7]
	s_cbranch_execnz .LBB50_2956
.LBB50_906:
	s_or_b64 exec, exec, s[6:7]
	s_and_saveexec_b64 s[6:7], s[4:5]
	s_cbranch_execz .LBB50_908
.LBB50_907:
	v_bfe_u32 v10, v6, 8, 3
	v_ffbh_u32_e32 v13, v10
	v_min_u32_e32 v13, 32, v13
	v_lshrrev_b16_e32 v12, 3, v11
	v_subrev_u32_e32 v14, 28, v13
	v_and_b32_e32 v12, 15, v12
	v_lshlrev_b32_e32 v11, v14, v11
	v_sub_u32_e32 v13, 29, v13
	v_and_b32_e32 v11, 7, v11
	v_cmp_eq_u16_e32 vcc, 0, v12
	v_cndmask_b32_e32 v10, v10, v11, vcc
	v_cndmask_b32_e32 v11, v12, v13, vcc
	v_lshlrev_b32_e32 v12, 16, v6
	v_mov_b32_e32 v13, 0x3b800000
	v_lshlrev_b32_e32 v10, 20, v10
	v_and_b32_e32 v12, 0x80000000, v12
	v_lshl_add_u32 v11, v11, 23, v13
	v_or3_b32 v10, v12, v11, v10
.LBB50_908:
	s_or_b64 exec, exec, s[6:7]
	v_lshrrev_b32_e32 v11, 8, v2
	s_movk_i32 s4, 0x7f
	v_cmp_gt_i16_sdwa s[6:7], v11, s4 src0_sel:BYTE_0 src1_sel:DWORD
	s_mov_b64 s[4:5], 0
                                        ; implicit-def: $sgpr10
	s_and_saveexec_b64 s[8:9], s[6:7]
	s_xor_b64 s[6:7], exec, s[8:9]
	s_cbranch_execnz .LBB50_2957
; %bb.909:
	s_or_saveexec_b64 s[6:7], s[6:7]
	v_mov_b32_e32 v12, s10
	s_xor_b64 exec, exec, s[6:7]
	s_cbranch_execnz .LBB50_2960
.LBB50_910:
	s_or_b64 exec, exec, s[6:7]
	s_and_saveexec_b64 s[6:7], s[4:5]
	s_cbranch_execz .LBB50_912
.LBB50_911:
	v_bfe_u32 v12, v2, 8, 3
	v_ffbh_u32_e32 v14, v12
	v_min_u32_e32 v14, 32, v14
	v_lshrrev_b16_e32 v13, 3, v11
	v_subrev_u32_e32 v15, 28, v14
	v_and_b32_e32 v13, 15, v13
	v_lshlrev_b32_e32 v11, v15, v11
	v_sub_u32_e32 v14, 29, v14
	v_and_b32_e32 v11, 7, v11
	v_cmp_eq_u16_e32 vcc, 0, v13
	v_cndmask_b32_e32 v11, v12, v11, vcc
	v_cndmask_b32_e32 v12, v13, v14, vcc
	v_lshlrev_b32_e32 v13, 16, v2
	v_mov_b32_e32 v14, 0x3b800000
	v_lshlrev_b32_e32 v11, 20, v11
	v_and_b32_e32 v13, 0x80000000, v13
	v_lshl_add_u32 v12, v12, 23, v14
	v_or3_b32 v12, v13, v12, v11
.LBB50_912:
	s_or_b64 exec, exec, s[6:7]
	s_nop 0
	v_mfma_f32_16x16x4f32 a[0:3], v10, v12, a[0:3]
	s_movk_i32 s4, 0xff
	v_and_b32_sdwa v11, v6, s4 dst_sel:DWORD dst_unused:UNUSED_PAD src0_sel:WORD_1 src1_sel:DWORD
	s_movk_i32 s4, 0x7f
	v_cmp_lt_i16_e32 vcc, s4, v11
	s_mov_b64 s[4:5], 0
                                        ; implicit-def: $sgpr10
	s_and_saveexec_b64 s[6:7], vcc
	s_xor_b64 s[6:7], exec, s[6:7]
	s_cbranch_execnz .LBB50_2961
; %bb.913:
	s_or_saveexec_b64 s[6:7], s[6:7]
	v_mov_b32_e32 v10, s10
	s_xor_b64 exec, exec, s[6:7]
	s_cbranch_execnz .LBB50_2964
.LBB50_914:
	s_or_b64 exec, exec, s[6:7]
	s_and_saveexec_b64 s[6:7], s[4:5]
	s_cbranch_execz .LBB50_916
.LBB50_915:
	v_bfe_u32 v10, v6, 16, 3
	v_ffbh_u32_e32 v13, v10
	v_min_u32_e32 v13, 32, v13
	v_lshrrev_b32_e32 v11, 19, v6
	v_subrev_u32_e32 v14, 28, v13
	v_and_b32_e32 v11, 15, v11
	v_lshlrev_b32_sdwa v14, v14, v6 dst_sel:DWORD dst_unused:UNUSED_PAD src0_sel:DWORD src1_sel:WORD_1
	v_bfe_u32 v12, v6, 19, 4
	v_sub_u32_e32 v13, 29, v13
	v_and_b32_e32 v14, 7, v14
	v_cmp_eq_u16_e32 vcc, 0, v11
	v_cndmask_b32_e32 v10, v10, v14, vcc
	v_cndmask_b32_e32 v11, v12, v13, vcc
	v_lshlrev_b32_e32 v12, 8, v6
	v_mov_b32_e32 v13, 0x3b800000
	v_lshlrev_b32_e32 v10, 20, v10
	v_and_b32_e32 v12, 0x80000000, v12
	v_lshl_add_u32 v11, v11, 23, v13
	v_or3_b32 v10, v12, v11, v10
.LBB50_916:
	s_or_b64 exec, exec, s[6:7]
	s_movk_i32 s4, 0xff
	v_and_b32_sdwa v11, v2, s4 dst_sel:DWORD dst_unused:UNUSED_PAD src0_sel:WORD_1 src1_sel:DWORD
	s_movk_i32 s4, 0x7f
	v_cmp_lt_i16_e32 vcc, s4, v11
	s_mov_b64 s[4:5], 0
                                        ; implicit-def: $sgpr10
	s_and_saveexec_b64 s[6:7], vcc
	s_xor_b64 s[6:7], exec, s[6:7]
	s_cbranch_execnz .LBB50_2965
; %bb.917:
	s_or_saveexec_b64 s[6:7], s[6:7]
	v_mov_b32_e32 v12, s10
	s_xor_b64 exec, exec, s[6:7]
	s_cbranch_execnz .LBB50_2968
.LBB50_918:
	s_or_b64 exec, exec, s[6:7]
	s_and_saveexec_b64 s[6:7], s[4:5]
	s_cbranch_execz .LBB50_920
.LBB50_919:
	v_bfe_u32 v11, v2, 16, 3
	v_ffbh_u32_e32 v14, v11
	v_min_u32_e32 v14, 32, v14
	v_lshrrev_b32_e32 v12, 19, v2
	v_subrev_u32_e32 v15, 28, v14
	v_and_b32_e32 v12, 15, v12
	v_lshlrev_b32_sdwa v15, v15, v2 dst_sel:DWORD dst_unused:UNUSED_PAD src0_sel:DWORD src1_sel:WORD_1
	v_bfe_u32 v13, v2, 19, 4
	v_sub_u32_e32 v14, 29, v14
	v_and_b32_e32 v15, 7, v15
	v_cmp_eq_u16_e32 vcc, 0, v12
	v_cndmask_b32_e32 v11, v11, v15, vcc
	v_cndmask_b32_e32 v12, v13, v14, vcc
	v_lshlrev_b32_e32 v13, 8, v2
	v_mov_b32_e32 v14, 0x3b800000
	v_lshlrev_b32_e32 v11, 20, v11
	v_and_b32_e32 v13, 0x80000000, v13
	v_lshl_add_u32 v12, v12, 23, v14
	v_or3_b32 v12, v13, v12, v11
.LBB50_920:
	s_or_b64 exec, exec, s[6:7]
	s_nop 0
	v_mfma_f32_16x16x4f32 a[0:3], v10, v12, a[0:3]
	s_movk_i32 s4, 0x7f
	v_cmp_gt_i16_sdwa s[6:7], v6, s4 src0_sel:BYTE_3 src1_sel:DWORD
	s_mov_b64 s[4:5], 0
                                        ; implicit-def: $sgpr10
	s_and_saveexec_b64 s[8:9], s[6:7]
	s_xor_b64 s[6:7], exec, s[8:9]
	s_cbranch_execnz .LBB50_2969
; %bb.921:
	s_or_saveexec_b64 s[6:7], s[6:7]
	v_mov_b32_e32 v10, s10
	s_xor_b64 exec, exec, s[6:7]
	s_cbranch_execnz .LBB50_2972
.LBB50_922:
	s_or_b64 exec, exec, s[6:7]
	s_and_saveexec_b64 s[6:7], s[4:5]
	s_cbranch_execz .LBB50_924
.LBB50_923:
	v_bfe_u32 v10, v6, 24, 3
	v_ffbh_u32_e32 v14, v10
	v_min_u32_e32 v14, 32, v14
	v_lshrrev_b32_e32 v12, 27, v6
	v_subrev_u32_e32 v15, 28, v14
	v_and_b32_e32 v11, 0x80000000, v6
	v_and_b32_e32 v12, 15, v12
	v_bfe_u32 v13, v6, 27, 4
	v_lshlrev_b32_sdwa v6, v15, v6 dst_sel:DWORD dst_unused:UNUSED_PAD src0_sel:DWORD src1_sel:BYTE_3
	v_sub_u32_e32 v14, 29, v14
	v_and_b32_e32 v6, 7, v6
	v_cmp_eq_u16_e32 vcc, 0, v12
	v_cndmask_b32_e32 v6, v10, v6, vcc
	v_cndmask_b32_e32 v10, v13, v14, vcc
	v_mov_b32_e32 v12, 0x3b800000
	v_lshlrev_b32_e32 v6, 20, v6
	v_lshl_add_u32 v10, v10, 23, v12
	v_or3_b32 v10, v11, v10, v6
.LBB50_924:
	s_or_b64 exec, exec, s[6:7]
	s_movk_i32 s4, 0x7f
	v_cmp_gt_i16_sdwa s[6:7], v2, s4 src0_sel:BYTE_3 src1_sel:DWORD
	s_mov_b64 s[4:5], 0
                                        ; implicit-def: $sgpr10
	s_and_saveexec_b64 s[8:9], s[6:7]
	s_xor_b64 s[6:7], exec, s[8:9]
	s_cbranch_execnz .LBB50_2973
; %bb.925:
	s_or_saveexec_b64 s[6:7], s[6:7]
	v_mov_b32_e32 v6, s10
	s_xor_b64 exec, exec, s[6:7]
	s_cbranch_execnz .LBB50_2976
.LBB50_926:
	s_or_b64 exec, exec, s[6:7]
	s_and_saveexec_b64 s[6:7], s[4:5]
	s_cbranch_execz .LBB50_928
.LBB50_927:
	v_bfe_u32 v6, v2, 24, 3
	v_ffbh_u32_e32 v14, v6
	v_min_u32_e32 v14, 32, v14
	v_lshrrev_b32_e32 v12, 27, v2
	v_subrev_u32_e32 v15, 28, v14
	v_and_b32_e32 v11, 0x80000000, v2
	v_and_b32_e32 v12, 15, v12
	v_bfe_u32 v13, v2, 27, 4
	v_lshlrev_b32_sdwa v2, v15, v2 dst_sel:DWORD dst_unused:UNUSED_PAD src0_sel:DWORD src1_sel:BYTE_3
	v_sub_u32_e32 v14, 29, v14
	v_and_b32_e32 v2, 7, v2
	v_cmp_eq_u16_e32 vcc, 0, v12
	v_cndmask_b32_e32 v2, v6, v2, vcc
	v_cndmask_b32_e32 v6, v13, v14, vcc
	v_mov_b32_e32 v12, 0x3b800000
	v_lshlrev_b32_e32 v2, 20, v2
	v_lshl_add_u32 v6, v6, 23, v12
	v_or3_b32 v6, v11, v6, v2
.LBB50_928:
	s_or_b64 exec, exec, s[6:7]
	s_nop 0
	v_mfma_f32_16x16x4f32 a[0:3], v10, v6, a[0:3]
	s_movk_i32 s4, 0x7f
	v_cmp_gt_i16_sdwa s[6:7], v7, s4 src0_sel:BYTE_0 src1_sel:DWORD
	s_mov_b64 s[4:5], 0
                                        ; implicit-def: $sgpr10
	s_and_saveexec_b64 s[8:9], s[6:7]
	s_xor_b64 s[6:7], exec, s[8:9]
	s_cbranch_execnz .LBB50_2977
; %bb.929:
	s_or_saveexec_b64 s[6:7], s[6:7]
	v_mov_b32_e32 v2, s10
	s_xor_b64 exec, exec, s[6:7]
	s_cbranch_execnz .LBB50_2980
.LBB50_930:
	s_or_b64 exec, exec, s[6:7]
	s_and_saveexec_b64 s[6:7], s[4:5]
	s_cbranch_execz .LBB50_932
.LBB50_931:
	v_and_b32_e32 v2, 7, v7
	v_ffbh_u32_e32 v10, v2
	v_min_u32_e32 v10, 32, v10
	v_lshrrev_b16_e32 v6, 3, v7
	v_subrev_u32_e32 v11, 28, v10
	v_and_b32_e32 v6, 15, v6
	v_lshlrev_b32_e32 v11, v11, v7
	v_sub_u32_e32 v10, 29, v10
	v_and_b32_e32 v11, 7, v11
	v_cmp_eq_u16_e32 vcc, 0, v6
	v_cndmask_b32_e32 v2, v2, v11, vcc
	v_cndmask_b32_e32 v6, v6, v10, vcc
	v_lshlrev_b32_e32 v10, 24, v7
	v_mov_b32_e32 v11, 0x3b800000
	v_lshlrev_b32_e32 v2, 20, v2
	v_and_b32_e32 v10, 0x80000000, v10
	v_lshl_add_u32 v6, v6, 23, v11
	v_or3_b32 v2, v10, v6, v2
.LBB50_932:
	s_or_b64 exec, exec, s[6:7]
	s_movk_i32 s4, 0x7f
	v_cmp_gt_i16_sdwa s[6:7], v3, s4 src0_sel:BYTE_0 src1_sel:DWORD
	s_mov_b64 s[4:5], 0
                                        ; implicit-def: $sgpr10
	s_and_saveexec_b64 s[8:9], s[6:7]
	s_xor_b64 s[6:7], exec, s[8:9]
	s_cbranch_execnz .LBB50_2981
; %bb.933:
	s_or_saveexec_b64 s[6:7], s[6:7]
	v_mov_b32_e32 v6, s10
	s_xor_b64 exec, exec, s[6:7]
	s_cbranch_execnz .LBB50_2984
.LBB50_934:
	s_or_b64 exec, exec, s[6:7]
	s_and_saveexec_b64 s[6:7], s[4:5]
	s_cbranch_execz .LBB50_936
.LBB50_935:
	v_and_b32_e32 v6, 7, v3
	v_ffbh_u32_e32 v11, v6
	v_min_u32_e32 v11, 32, v11
	v_lshrrev_b16_e32 v10, 3, v3
	v_subrev_u32_e32 v12, 28, v11
	v_and_b32_e32 v10, 15, v10
	v_lshlrev_b32_e32 v12, v12, v3
	v_sub_u32_e32 v11, 29, v11
	v_and_b32_e32 v12, 7, v12
	v_cmp_eq_u16_e32 vcc, 0, v10
	v_cndmask_b32_e32 v6, v6, v12, vcc
	v_cndmask_b32_e32 v10, v10, v11, vcc
	v_lshlrev_b32_e32 v11, 24, v3
	v_mov_b32_e32 v12, 0x3b800000
	v_lshlrev_b32_e32 v6, 20, v6
	v_and_b32_e32 v11, 0x80000000, v11
	v_lshl_add_u32 v10, v10, 23, v12
	v_or3_b32 v6, v11, v10, v6
.LBB50_936:
	s_or_b64 exec, exec, s[6:7]
	s_nop 0
	v_mfma_f32_16x16x4f32 a[0:3], v2, v6, a[0:3]
	v_lshrrev_b32_e32 v6, 8, v7
	s_movk_i32 s4, 0x7f
	v_cmp_gt_i16_sdwa s[6:7], v6, s4 src0_sel:BYTE_0 src1_sel:DWORD
	s_mov_b64 s[4:5], 0
                                        ; implicit-def: $sgpr10
	s_and_saveexec_b64 s[8:9], s[6:7]
	s_xor_b64 s[6:7], exec, s[8:9]
	s_cbranch_execnz .LBB50_2985
; %bb.937:
	s_or_saveexec_b64 s[6:7], s[6:7]
	v_mov_b32_e32 v2, s10
	s_xor_b64 exec, exec, s[6:7]
	s_cbranch_execnz .LBB50_2988
.LBB50_938:
	s_or_b64 exec, exec, s[6:7]
	s_and_saveexec_b64 s[6:7], s[4:5]
	s_cbranch_execz .LBB50_940
.LBB50_939:
	v_bfe_u32 v2, v7, 8, 3
	v_ffbh_u32_e32 v11, v2
	v_min_u32_e32 v11, 32, v11
	v_lshrrev_b16_e32 v10, 3, v6
	v_subrev_u32_e32 v12, 28, v11
	v_and_b32_e32 v10, 15, v10
	v_lshlrev_b32_e32 v6, v12, v6
	v_sub_u32_e32 v11, 29, v11
	v_and_b32_e32 v6, 7, v6
	v_cmp_eq_u16_e32 vcc, 0, v10
	v_cndmask_b32_e32 v2, v2, v6, vcc
	v_cndmask_b32_e32 v6, v10, v11, vcc
	v_lshlrev_b32_e32 v10, 16, v7
	v_mov_b32_e32 v11, 0x3b800000
	v_lshlrev_b32_e32 v2, 20, v2
	v_and_b32_e32 v10, 0x80000000, v10
	v_lshl_add_u32 v6, v6, 23, v11
	v_or3_b32 v2, v10, v6, v2
.LBB50_940:
	s_or_b64 exec, exec, s[6:7]
	v_lshrrev_b32_e32 v6, 8, v3
	s_movk_i32 s4, 0x7f
	v_cmp_gt_i16_sdwa s[6:7], v6, s4 src0_sel:BYTE_0 src1_sel:DWORD
	s_mov_b64 s[4:5], 0
                                        ; implicit-def: $sgpr10
	s_and_saveexec_b64 s[8:9], s[6:7]
	s_xor_b64 s[6:7], exec, s[8:9]
	s_cbranch_execnz .LBB50_2989
; %bb.941:
	s_or_saveexec_b64 s[6:7], s[6:7]
	v_mov_b32_e32 v10, s10
	s_xor_b64 exec, exec, s[6:7]
	s_cbranch_execnz .LBB50_2992
.LBB50_942:
	s_or_b64 exec, exec, s[6:7]
	s_and_saveexec_b64 s[6:7], s[4:5]
	s_cbranch_execz .LBB50_944
.LBB50_943:
	v_bfe_u32 v10, v3, 8, 3
	v_ffbh_u32_e32 v12, v10
	v_min_u32_e32 v12, 32, v12
	v_lshrrev_b16_e32 v11, 3, v6
	v_subrev_u32_e32 v13, 28, v12
	v_and_b32_e32 v11, 15, v11
	v_lshlrev_b32_e32 v6, v13, v6
	v_sub_u32_e32 v12, 29, v12
	v_and_b32_e32 v6, 7, v6
	v_cmp_eq_u16_e32 vcc, 0, v11
	v_cndmask_b32_e32 v6, v10, v6, vcc
	v_cndmask_b32_e32 v10, v11, v12, vcc
	v_lshlrev_b32_e32 v11, 16, v3
	v_mov_b32_e32 v12, 0x3b800000
	v_lshlrev_b32_e32 v6, 20, v6
	v_and_b32_e32 v11, 0x80000000, v11
	v_lshl_add_u32 v10, v10, 23, v12
	v_or3_b32 v10, v11, v10, v6
.LBB50_944:
	s_or_b64 exec, exec, s[6:7]
	s_nop 0
	v_mfma_f32_16x16x4f32 a[0:3], v2, v10, a[0:3]
	s_movk_i32 s4, 0xff
	v_and_b32_sdwa v6, v7, s4 dst_sel:DWORD dst_unused:UNUSED_PAD src0_sel:WORD_1 src1_sel:DWORD
	s_movk_i32 s4, 0x7f
	v_cmp_lt_i16_e32 vcc, s4, v6
	s_mov_b64 s[4:5], 0
                                        ; implicit-def: $sgpr10
	s_and_saveexec_b64 s[6:7], vcc
	s_xor_b64 s[6:7], exec, s[6:7]
	s_cbranch_execnz .LBB50_2993
; %bb.945:
	s_or_saveexec_b64 s[6:7], s[6:7]
	v_mov_b32_e32 v2, s10
	s_xor_b64 exec, exec, s[6:7]
	s_cbranch_execnz .LBB50_2996
.LBB50_946:
	s_or_b64 exec, exec, s[6:7]
	s_and_saveexec_b64 s[6:7], s[4:5]
	s_cbranch_execz .LBB50_948
.LBB50_947:
	v_bfe_u32 v2, v7, 16, 3
	v_ffbh_u32_e32 v11, v2
	v_min_u32_e32 v11, 32, v11
	v_lshrrev_b32_e32 v6, 19, v7
	v_subrev_u32_e32 v12, 28, v11
	v_and_b32_e32 v6, 15, v6
	v_lshlrev_b32_sdwa v12, v12, v7 dst_sel:DWORD dst_unused:UNUSED_PAD src0_sel:DWORD src1_sel:WORD_1
	v_bfe_u32 v10, v7, 19, 4
	v_sub_u32_e32 v11, 29, v11
	v_and_b32_e32 v12, 7, v12
	v_cmp_eq_u16_e32 vcc, 0, v6
	v_cndmask_b32_e32 v2, v2, v12, vcc
	v_cndmask_b32_e32 v6, v10, v11, vcc
	v_lshlrev_b32_e32 v10, 8, v7
	v_mov_b32_e32 v11, 0x3b800000
	v_lshlrev_b32_e32 v2, 20, v2
	v_and_b32_e32 v10, 0x80000000, v10
	v_lshl_add_u32 v6, v6, 23, v11
	v_or3_b32 v2, v10, v6, v2
.LBB50_948:
	s_or_b64 exec, exec, s[6:7]
	s_movk_i32 s4, 0xff
	v_and_b32_sdwa v6, v3, s4 dst_sel:DWORD dst_unused:UNUSED_PAD src0_sel:WORD_1 src1_sel:DWORD
	s_movk_i32 s4, 0x7f
	v_cmp_lt_i16_e32 vcc, s4, v6
	s_mov_b64 s[4:5], 0
                                        ; implicit-def: $sgpr10
	s_and_saveexec_b64 s[6:7], vcc
	s_xor_b64 s[6:7], exec, s[6:7]
	s_cbranch_execnz .LBB50_2997
; %bb.949:
	s_or_saveexec_b64 s[6:7], s[6:7]
	v_mov_b32_e32 v10, s10
	s_xor_b64 exec, exec, s[6:7]
	s_cbranch_execnz .LBB50_3000
.LBB50_950:
	s_or_b64 exec, exec, s[6:7]
	s_and_saveexec_b64 s[6:7], s[4:5]
	s_cbranch_execz .LBB50_952
.LBB50_951:
	v_bfe_u32 v6, v3, 16, 3
	v_ffbh_u32_e32 v12, v6
	v_min_u32_e32 v12, 32, v12
	v_lshrrev_b32_e32 v10, 19, v3
	v_subrev_u32_e32 v13, 28, v12
	v_and_b32_e32 v10, 15, v10
	v_lshlrev_b32_sdwa v13, v13, v3 dst_sel:DWORD dst_unused:UNUSED_PAD src0_sel:DWORD src1_sel:WORD_1
	v_bfe_u32 v11, v3, 19, 4
	v_sub_u32_e32 v12, 29, v12
	v_and_b32_e32 v13, 7, v13
	v_cmp_eq_u16_e32 vcc, 0, v10
	v_cndmask_b32_e32 v6, v6, v13, vcc
	v_cndmask_b32_e32 v10, v11, v12, vcc
	v_lshlrev_b32_e32 v11, 8, v3
	v_mov_b32_e32 v12, 0x3b800000
	v_lshlrev_b32_e32 v6, 20, v6
	v_and_b32_e32 v11, 0x80000000, v11
	v_lshl_add_u32 v10, v10, 23, v12
	v_or3_b32 v10, v11, v10, v6
.LBB50_952:
	s_or_b64 exec, exec, s[6:7]
	s_nop 0
	v_mfma_f32_16x16x4f32 a[0:3], v2, v10, a[0:3]
	s_movk_i32 s4, 0x7f
	v_cmp_gt_i16_sdwa s[6:7], v7, s4 src0_sel:BYTE_3 src1_sel:DWORD
	s_mov_b64 s[4:5], 0
                                        ; implicit-def: $sgpr10
	s_and_saveexec_b64 s[8:9], s[6:7]
	s_xor_b64 s[6:7], exec, s[8:9]
	s_cbranch_execnz .LBB50_3001
; %bb.953:
	s_or_saveexec_b64 s[6:7], s[6:7]
	v_mov_b32_e32 v2, s10
	s_xor_b64 exec, exec, s[6:7]
	s_cbranch_execnz .LBB50_3004
.LBB50_954:
	s_or_b64 exec, exec, s[6:7]
	s_and_saveexec_b64 s[6:7], s[4:5]
	s_cbranch_execz .LBB50_956
.LBB50_955:
	v_bfe_u32 v2, v7, 24, 3
	v_ffbh_u32_e32 v12, v2
	v_min_u32_e32 v12, 32, v12
	v_lshrrev_b32_e32 v10, 27, v7
	v_subrev_u32_e32 v13, 28, v12
	v_and_b32_e32 v6, 0x80000000, v7
	v_and_b32_e32 v10, 15, v10
	v_bfe_u32 v11, v7, 27, 4
	v_lshlrev_b32_sdwa v7, v13, v7 dst_sel:DWORD dst_unused:UNUSED_PAD src0_sel:DWORD src1_sel:BYTE_3
	v_sub_u32_e32 v12, 29, v12
	v_and_b32_e32 v7, 7, v7
	v_cmp_eq_u16_e32 vcc, 0, v10
	v_cndmask_b32_e32 v2, v2, v7, vcc
	v_cndmask_b32_e32 v7, v11, v12, vcc
	v_mov_b32_e32 v10, 0x3b800000
	v_lshlrev_b32_e32 v2, 20, v2
	v_lshl_add_u32 v7, v7, 23, v10
	v_or3_b32 v2, v6, v7, v2
.LBB50_956:
	s_or_b64 exec, exec, s[6:7]
	s_movk_i32 s4, 0x7f
	v_cmp_gt_i16_sdwa s[6:7], v3, s4 src0_sel:BYTE_3 src1_sel:DWORD
	s_mov_b64 s[4:5], 0
                                        ; implicit-def: $sgpr10
	s_and_saveexec_b64 s[8:9], s[6:7]
	s_xor_b64 s[6:7], exec, s[8:9]
	s_cbranch_execnz .LBB50_3005
; %bb.957:
	s_or_saveexec_b64 s[6:7], s[6:7]
	v_mov_b32_e32 v6, s10
	s_xor_b64 exec, exec, s[6:7]
	s_cbranch_execnz .LBB50_3008
.LBB50_958:
	s_or_b64 exec, exec, s[6:7]
	s_and_saveexec_b64 s[6:7], s[4:5]
	s_cbranch_execz .LBB50_960
.LBB50_959:
	v_bfe_u32 v6, v3, 24, 3
	v_ffbh_u32_e32 v12, v6
	v_min_u32_e32 v12, 32, v12
	v_lshrrev_b32_e32 v10, 27, v3
	v_subrev_u32_e32 v13, 28, v12
	v_and_b32_e32 v7, 0x80000000, v3
	v_and_b32_e32 v10, 15, v10
	v_bfe_u32 v11, v3, 27, 4
	v_lshlrev_b32_sdwa v3, v13, v3 dst_sel:DWORD dst_unused:UNUSED_PAD src0_sel:DWORD src1_sel:BYTE_3
	v_sub_u32_e32 v12, 29, v12
	v_and_b32_e32 v3, 7, v3
	v_cmp_eq_u16_e32 vcc, 0, v10
	v_cndmask_b32_e32 v3, v6, v3, vcc
	v_cndmask_b32_e32 v6, v11, v12, vcc
	v_mov_b32_e32 v10, 0x3b800000
	v_lshlrev_b32_e32 v3, 20, v3
	v_lshl_add_u32 v6, v6, 23, v10
	v_or3_b32 v6, v7, v6, v3
.LBB50_960:
	s_or_b64 exec, exec, s[6:7]
	s_nop 0
	v_mfma_f32_16x16x4f32 a[0:3], v2, v6, a[0:3]
	s_movk_i32 s4, 0x7f
	v_cmp_gt_i16_sdwa s[6:7], v8, s4 src0_sel:BYTE_0 src1_sel:DWORD
	s_mov_b64 s[4:5], 0
                                        ; implicit-def: $sgpr10
	s_and_saveexec_b64 s[8:9], s[6:7]
	s_xor_b64 s[6:7], exec, s[8:9]
	s_cbranch_execnz .LBB50_3009
; %bb.961:
	s_or_saveexec_b64 s[6:7], s[6:7]
	v_mov_b32_e32 v2, s10
	s_xor_b64 exec, exec, s[6:7]
	s_cbranch_execnz .LBB50_3012
.LBB50_962:
	s_or_b64 exec, exec, s[6:7]
	s_and_saveexec_b64 s[6:7], s[4:5]
	s_cbranch_execz .LBB50_964
.LBB50_963:
	v_and_b32_e32 v2, 7, v8
	v_ffbh_u32_e32 v6, v2
	v_min_u32_e32 v6, 32, v6
	v_lshrrev_b16_e32 v3, 3, v8
	v_subrev_u32_e32 v7, 28, v6
	v_and_b32_e32 v3, 15, v3
	v_lshlrev_b32_e32 v7, v7, v8
	v_sub_u32_e32 v6, 29, v6
	v_and_b32_e32 v7, 7, v7
	v_cmp_eq_u16_e32 vcc, 0, v3
	v_cndmask_b32_e32 v2, v2, v7, vcc
	v_cndmask_b32_e32 v3, v3, v6, vcc
	v_lshlrev_b32_e32 v6, 24, v8
	v_mov_b32_e32 v7, 0x3b800000
	v_lshlrev_b32_e32 v2, 20, v2
	v_and_b32_e32 v6, 0x80000000, v6
	v_lshl_add_u32 v3, v3, 23, v7
	v_or3_b32 v2, v6, v3, v2
.LBB50_964:
	s_or_b64 exec, exec, s[6:7]
	s_movk_i32 s4, 0x7f
	v_cmp_gt_i16_sdwa s[6:7], v4, s4 src0_sel:BYTE_0 src1_sel:DWORD
	s_mov_b64 s[4:5], 0
                                        ; implicit-def: $sgpr10
	s_and_saveexec_b64 s[8:9], s[6:7]
	s_xor_b64 s[6:7], exec, s[8:9]
	s_cbranch_execnz .LBB50_3013
; %bb.965:
	s_or_saveexec_b64 s[6:7], s[6:7]
	v_mov_b32_e32 v3, s10
	s_xor_b64 exec, exec, s[6:7]
	s_cbranch_execnz .LBB50_3016
.LBB50_966:
	s_or_b64 exec, exec, s[6:7]
	s_and_saveexec_b64 s[6:7], s[4:5]
	s_cbranch_execz .LBB50_968
.LBB50_967:
	v_and_b32_e32 v3, 7, v4
	v_ffbh_u32_e32 v7, v3
	v_min_u32_e32 v7, 32, v7
	v_lshrrev_b16_e32 v6, 3, v4
	v_subrev_u32_e32 v10, 28, v7
	v_and_b32_e32 v6, 15, v6
	v_lshlrev_b32_e32 v10, v10, v4
	v_sub_u32_e32 v7, 29, v7
	v_and_b32_e32 v10, 7, v10
	v_cmp_eq_u16_e32 vcc, 0, v6
	v_cndmask_b32_e32 v3, v3, v10, vcc
	v_cndmask_b32_e32 v6, v6, v7, vcc
	v_lshlrev_b32_e32 v7, 24, v4
	v_mov_b32_e32 v10, 0x3b800000
	v_lshlrev_b32_e32 v3, 20, v3
	v_and_b32_e32 v7, 0x80000000, v7
	v_lshl_add_u32 v6, v6, 23, v10
	v_or3_b32 v3, v7, v6, v3
.LBB50_968:
	s_or_b64 exec, exec, s[6:7]
	s_nop 0
	v_mfma_f32_16x16x4f32 a[0:3], v2, v3, a[0:3]
	v_lshrrev_b32_e32 v3, 8, v8
	s_movk_i32 s4, 0x7f
	v_cmp_gt_i16_sdwa s[6:7], v3, s4 src0_sel:BYTE_0 src1_sel:DWORD
	s_mov_b64 s[4:5], 0
                                        ; implicit-def: $sgpr10
	s_and_saveexec_b64 s[8:9], s[6:7]
	s_xor_b64 s[6:7], exec, s[8:9]
	s_cbranch_execnz .LBB50_3017
; %bb.969:
	s_or_saveexec_b64 s[6:7], s[6:7]
	v_mov_b32_e32 v2, s10
	s_xor_b64 exec, exec, s[6:7]
	s_cbranch_execnz .LBB50_3020
.LBB50_970:
	s_or_b64 exec, exec, s[6:7]
	s_and_saveexec_b64 s[6:7], s[4:5]
	s_cbranch_execz .LBB50_972
.LBB50_971:
	v_bfe_u32 v2, v8, 8, 3
	v_ffbh_u32_e32 v7, v2
	v_min_u32_e32 v7, 32, v7
	v_lshrrev_b16_e32 v6, 3, v3
	v_subrev_u32_e32 v10, 28, v7
	v_and_b32_e32 v6, 15, v6
	v_lshlrev_b32_e32 v3, v10, v3
	v_sub_u32_e32 v7, 29, v7
	v_and_b32_e32 v3, 7, v3
	v_cmp_eq_u16_e32 vcc, 0, v6
	v_cndmask_b32_e32 v2, v2, v3, vcc
	v_cndmask_b32_e32 v3, v6, v7, vcc
	v_lshlrev_b32_e32 v6, 16, v8
	v_mov_b32_e32 v7, 0x3b800000
	v_lshlrev_b32_e32 v2, 20, v2
	v_and_b32_e32 v6, 0x80000000, v6
	v_lshl_add_u32 v3, v3, 23, v7
	v_or3_b32 v2, v6, v3, v2
.LBB50_972:
	s_or_b64 exec, exec, s[6:7]
	v_lshrrev_b32_e32 v3, 8, v4
	s_movk_i32 s4, 0x7f
	v_cmp_gt_i16_sdwa s[6:7], v3, s4 src0_sel:BYTE_0 src1_sel:DWORD
	s_mov_b64 s[4:5], 0
                                        ; implicit-def: $sgpr10
	s_and_saveexec_b64 s[8:9], s[6:7]
	s_xor_b64 s[6:7], exec, s[8:9]
	s_cbranch_execnz .LBB50_3021
; %bb.973:
	s_or_saveexec_b64 s[6:7], s[6:7]
	v_mov_b32_e32 v6, s10
	s_xor_b64 exec, exec, s[6:7]
	s_cbranch_execnz .LBB50_3024
.LBB50_974:
	s_or_b64 exec, exec, s[6:7]
	s_and_saveexec_b64 s[6:7], s[4:5]
	s_cbranch_execz .LBB50_976
.LBB50_975:
	v_bfe_u32 v6, v4, 8, 3
	v_ffbh_u32_e32 v10, v6
	v_min_u32_e32 v10, 32, v10
	v_lshrrev_b16_e32 v7, 3, v3
	v_subrev_u32_e32 v11, 28, v10
	v_and_b32_e32 v7, 15, v7
	v_lshlrev_b32_e32 v3, v11, v3
	v_sub_u32_e32 v10, 29, v10
	v_and_b32_e32 v3, 7, v3
	v_cmp_eq_u16_e32 vcc, 0, v7
	v_cndmask_b32_e32 v3, v6, v3, vcc
	v_cndmask_b32_e32 v6, v7, v10, vcc
	v_lshlrev_b32_e32 v7, 16, v4
	v_mov_b32_e32 v10, 0x3b800000
	v_lshlrev_b32_e32 v3, 20, v3
	v_and_b32_e32 v7, 0x80000000, v7
	v_lshl_add_u32 v6, v6, 23, v10
	v_or3_b32 v6, v7, v6, v3
.LBB50_976:
	s_or_b64 exec, exec, s[6:7]
	s_nop 0
	v_mfma_f32_16x16x4f32 a[0:3], v2, v6, a[0:3]
	s_movk_i32 s4, 0xff
	v_and_b32_sdwa v3, v8, s4 dst_sel:DWORD dst_unused:UNUSED_PAD src0_sel:WORD_1 src1_sel:DWORD
	s_movk_i32 s4, 0x7f
	v_cmp_lt_i16_e32 vcc, s4, v3
	s_mov_b64 s[4:5], 0
                                        ; implicit-def: $sgpr10
	s_and_saveexec_b64 s[6:7], vcc
	s_xor_b64 s[6:7], exec, s[6:7]
	s_cbranch_execnz .LBB50_3025
; %bb.977:
	s_or_saveexec_b64 s[6:7], s[6:7]
	v_mov_b32_e32 v2, s10
	s_xor_b64 exec, exec, s[6:7]
	s_cbranch_execnz .LBB50_3028
.LBB50_978:
	s_or_b64 exec, exec, s[6:7]
	s_and_saveexec_b64 s[6:7], s[4:5]
	s_cbranch_execz .LBB50_980
.LBB50_979:
	v_bfe_u32 v2, v8, 16, 3
	v_ffbh_u32_e32 v7, v2
	v_min_u32_e32 v7, 32, v7
	v_lshrrev_b32_e32 v3, 19, v8
	v_subrev_u32_e32 v10, 28, v7
	v_and_b32_e32 v3, 15, v3
	v_lshlrev_b32_sdwa v10, v10, v8 dst_sel:DWORD dst_unused:UNUSED_PAD src0_sel:DWORD src1_sel:WORD_1
	v_bfe_u32 v6, v8, 19, 4
	v_sub_u32_e32 v7, 29, v7
	v_and_b32_e32 v10, 7, v10
	v_cmp_eq_u16_e32 vcc, 0, v3
	v_cndmask_b32_e32 v2, v2, v10, vcc
	v_cndmask_b32_e32 v3, v6, v7, vcc
	v_lshlrev_b32_e32 v6, 8, v8
	v_mov_b32_e32 v7, 0x3b800000
	v_lshlrev_b32_e32 v2, 20, v2
	v_and_b32_e32 v6, 0x80000000, v6
	v_lshl_add_u32 v3, v3, 23, v7
	v_or3_b32 v2, v6, v3, v2
.LBB50_980:
	s_or_b64 exec, exec, s[6:7]
	s_movk_i32 s4, 0xff
	v_and_b32_sdwa v3, v4, s4 dst_sel:DWORD dst_unused:UNUSED_PAD src0_sel:WORD_1 src1_sel:DWORD
	s_movk_i32 s4, 0x7f
	v_cmp_lt_i16_e32 vcc, s4, v3
	s_mov_b64 s[4:5], 0
                                        ; implicit-def: $sgpr10
	s_and_saveexec_b64 s[6:7], vcc
	s_xor_b64 s[6:7], exec, s[6:7]
	s_cbranch_execnz .LBB50_3029
; %bb.981:
	s_or_saveexec_b64 s[6:7], s[6:7]
	v_mov_b32_e32 v6, s10
	s_xor_b64 exec, exec, s[6:7]
	s_cbranch_execnz .LBB50_3032
.LBB50_982:
	s_or_b64 exec, exec, s[6:7]
	s_and_saveexec_b64 s[6:7], s[4:5]
	s_cbranch_execz .LBB50_984
.LBB50_983:
	v_bfe_u32 v3, v4, 16, 3
	v_ffbh_u32_e32 v10, v3
	v_min_u32_e32 v10, 32, v10
	v_lshrrev_b32_e32 v6, 19, v4
	v_subrev_u32_e32 v11, 28, v10
	v_and_b32_e32 v6, 15, v6
	v_lshlrev_b32_sdwa v11, v11, v4 dst_sel:DWORD dst_unused:UNUSED_PAD src0_sel:DWORD src1_sel:WORD_1
	v_bfe_u32 v7, v4, 19, 4
	v_sub_u32_e32 v10, 29, v10
	v_and_b32_e32 v11, 7, v11
	v_cmp_eq_u16_e32 vcc, 0, v6
	v_cndmask_b32_e32 v3, v3, v11, vcc
	v_cndmask_b32_e32 v6, v7, v10, vcc
	v_lshlrev_b32_e32 v7, 8, v4
	v_mov_b32_e32 v10, 0x3b800000
	v_lshlrev_b32_e32 v3, 20, v3
	v_and_b32_e32 v7, 0x80000000, v7
	v_lshl_add_u32 v6, v6, 23, v10
	v_or3_b32 v6, v7, v6, v3
.LBB50_984:
	s_or_b64 exec, exec, s[6:7]
	s_nop 0
	v_mfma_f32_16x16x4f32 a[0:3], v2, v6, a[0:3]
	s_movk_i32 s4, 0x7f
	v_cmp_gt_i16_sdwa s[6:7], v8, s4 src0_sel:BYTE_3 src1_sel:DWORD
	s_mov_b64 s[4:5], 0
                                        ; implicit-def: $sgpr10
	s_and_saveexec_b64 s[8:9], s[6:7]
	s_xor_b64 s[6:7], exec, s[8:9]
	s_cbranch_execnz .LBB50_3033
; %bb.985:
	s_or_saveexec_b64 s[6:7], s[6:7]
	v_mov_b32_e32 v2, s10
	s_xor_b64 exec, exec, s[6:7]
	s_cbranch_execnz .LBB50_3036
.LBB50_986:
	s_or_b64 exec, exec, s[6:7]
	s_and_saveexec_b64 s[6:7], s[4:5]
	s_cbranch_execz .LBB50_988
.LBB50_987:
	v_bfe_u32 v2, v8, 24, 3
	v_ffbh_u32_e32 v10, v2
	v_min_u32_e32 v10, 32, v10
	v_lshrrev_b32_e32 v6, 27, v8
	v_subrev_u32_e32 v11, 28, v10
	v_and_b32_e32 v3, 0x80000000, v8
	v_and_b32_e32 v6, 15, v6
	v_bfe_u32 v7, v8, 27, 4
	v_lshlrev_b32_sdwa v8, v11, v8 dst_sel:DWORD dst_unused:UNUSED_PAD src0_sel:DWORD src1_sel:BYTE_3
	v_sub_u32_e32 v10, 29, v10
	v_and_b32_e32 v8, 7, v8
	v_cmp_eq_u16_e32 vcc, 0, v6
	v_cndmask_b32_e32 v2, v2, v8, vcc
	v_cndmask_b32_e32 v6, v7, v10, vcc
	v_mov_b32_e32 v7, 0x3b800000
	v_lshlrev_b32_e32 v2, 20, v2
	v_lshl_add_u32 v6, v6, 23, v7
	v_or3_b32 v2, v3, v6, v2
.LBB50_988:
	s_or_b64 exec, exec, s[6:7]
	s_movk_i32 s4, 0x7f
	v_cmp_gt_i16_sdwa s[6:7], v4, s4 src0_sel:BYTE_3 src1_sel:DWORD
	s_mov_b64 s[4:5], 0
                                        ; implicit-def: $sgpr10
	s_and_saveexec_b64 s[8:9], s[6:7]
	s_xor_b64 s[6:7], exec, s[8:9]
	s_cbranch_execnz .LBB50_3037
; %bb.989:
	s_or_saveexec_b64 s[6:7], s[6:7]
	v_mov_b32_e32 v3, s10
	s_xor_b64 exec, exec, s[6:7]
	s_cbranch_execnz .LBB50_3040
.LBB50_990:
	s_or_b64 exec, exec, s[6:7]
	s_and_saveexec_b64 s[6:7], s[4:5]
	s_cbranch_execz .LBB50_992
.LBB50_991:
	v_bfe_u32 v3, v4, 24, 3
	v_ffbh_u32_e32 v10, v3
	v_min_u32_e32 v10, 32, v10
	v_lshrrev_b32_e32 v7, 27, v4
	v_subrev_u32_e32 v11, 28, v10
	v_and_b32_e32 v6, 0x80000000, v4
	v_and_b32_e32 v7, 15, v7
	v_bfe_u32 v8, v4, 27, 4
	v_lshlrev_b32_sdwa v4, v11, v4 dst_sel:DWORD dst_unused:UNUSED_PAD src0_sel:DWORD src1_sel:BYTE_3
	v_sub_u32_e32 v10, 29, v10
	v_and_b32_e32 v4, 7, v4
	v_cmp_eq_u16_e32 vcc, 0, v7
	v_cndmask_b32_e32 v3, v3, v4, vcc
	v_cndmask_b32_e32 v4, v8, v10, vcc
	v_mov_b32_e32 v7, 0x3b800000
	v_lshlrev_b32_e32 v3, 20, v3
	v_lshl_add_u32 v4, v4, 23, v7
	v_or3_b32 v3, v6, v4, v3
.LBB50_992:
	s_or_b64 exec, exec, s[6:7]
	s_nop 0
	v_mfma_f32_16x16x4f32 a[0:3], v2, v3, a[0:3]
	s_movk_i32 s4, 0x7f
	v_cmp_gt_i16_sdwa s[6:7], v9, s4 src0_sel:BYTE_0 src1_sel:DWORD
	s_mov_b64 s[4:5], 0
                                        ; implicit-def: $sgpr10
	s_and_saveexec_b64 s[8:9], s[6:7]
	s_xor_b64 s[6:7], exec, s[8:9]
	s_cbranch_execnz .LBB50_3041
; %bb.993:
	s_or_saveexec_b64 s[6:7], s[6:7]
	v_mov_b32_e32 v2, s10
	s_xor_b64 exec, exec, s[6:7]
	s_cbranch_execnz .LBB50_3044
.LBB50_994:
	s_or_b64 exec, exec, s[6:7]
	s_and_saveexec_b64 s[6:7], s[4:5]
	s_cbranch_execz .LBB50_996
.LBB50_995:
	v_mov_b32_e32 v2, 8
	v_and_b32_e32 v3, 7, v9
	v_lshrrev_b32_sdwa v2, v2, v9 dst_sel:BYTE_1 dst_unused:UNUSED_PAD src0_sel:DWORD src1_sel:DWORD
	v_ffbh_u32_e32 v4, v3
	v_or_b32_sdwa v2, v9, v2 dst_sel:DWORD dst_unused:UNUSED_PAD src0_sel:BYTE_0 src1_sel:DWORD
	v_min_u32_e32 v4, 32, v4
	v_lshrrev_b16_e32 v2, 3, v2
	v_subrev_u32_e32 v6, 28, v4
	v_and_b32_e32 v2, 15, v2
	v_lshlrev_b32_e32 v6, v6, v9
	v_sub_u32_e32 v4, 29, v4
	v_and_b32_e32 v6, 7, v6
	v_cmp_eq_u16_e32 vcc, 0, v2
	v_cndmask_b32_e32 v3, v3, v6, vcc
	v_cndmask_b32_e32 v2, v2, v4, vcc
	v_lshlrev_b32_e32 v4, 24, v9
	v_mov_b32_e32 v6, 0x3b800000
	v_lshlrev_b32_e32 v3, 20, v3
	v_and_b32_e32 v4, 0x80000000, v4
	v_lshl_add_u32 v2, v2, 23, v6
	v_or3_b32 v2, v4, v2, v3
.LBB50_996:
	s_or_b64 exec, exec, s[6:7]
	s_movk_i32 s4, 0x7f
	v_cmp_gt_i16_sdwa s[6:7], v5, s4 src0_sel:BYTE_0 src1_sel:DWORD
	s_mov_b64 s[4:5], 0
                                        ; implicit-def: $sgpr10
	s_and_saveexec_b64 s[8:9], s[6:7]
	s_xor_b64 s[6:7], exec, s[8:9]
	s_cbranch_execnz .LBB50_3045
; %bb.997:
	s_or_saveexec_b64 s[6:7], s[6:7]
	v_mov_b32_e32 v3, s10
	s_xor_b64 exec, exec, s[6:7]
	s_cbranch_execnz .LBB50_3048
.LBB50_998:
	s_or_b64 exec, exec, s[6:7]
	s_and_saveexec_b64 s[6:7], s[4:5]
	s_cbranch_execz .LBB50_1000
.LBB50_999:
	v_mov_b32_e32 v3, 8
	v_and_b32_e32 v4, 7, v5
	v_lshrrev_b32_sdwa v3, v3, v5 dst_sel:BYTE_1 dst_unused:UNUSED_PAD src0_sel:DWORD src1_sel:DWORD
	v_ffbh_u32_e32 v6, v4
	v_or_b32_sdwa v3, v5, v3 dst_sel:DWORD dst_unused:UNUSED_PAD src0_sel:BYTE_0 src1_sel:DWORD
	v_min_u32_e32 v6, 32, v6
	v_lshrrev_b16_e32 v3, 3, v3
	v_subrev_u32_e32 v7, 28, v6
	v_and_b32_e32 v3, 15, v3
	v_lshlrev_b32_e32 v7, v7, v5
	v_sub_u32_e32 v6, 29, v6
	v_and_b32_e32 v7, 7, v7
	v_cmp_eq_u16_e32 vcc, 0, v3
	v_cndmask_b32_e32 v4, v4, v7, vcc
	v_cndmask_b32_e32 v3, v3, v6, vcc
	v_lshlrev_b32_e32 v6, 24, v5
	v_mov_b32_e32 v7, 0x3b800000
	v_lshlrev_b32_e32 v4, 20, v4
	v_and_b32_e32 v6, 0x80000000, v6
	v_lshl_add_u32 v3, v3, 23, v7
	v_or3_b32 v3, v6, v3, v4
.LBB50_1000:
	s_or_b64 exec, exec, s[6:7]
	s_nop 0
	v_mfma_f32_16x16x4f32 a[0:3], v2, v3, a[0:3]
	v_lshrrev_b32_e32 v3, 8, v9
	s_movk_i32 s4, 0x7f
	v_cmp_gt_i16_sdwa s[6:7], v3, s4 src0_sel:BYTE_0 src1_sel:DWORD
	s_mov_b64 s[4:5], 0
                                        ; implicit-def: $sgpr10
	s_and_saveexec_b64 s[8:9], s[6:7]
	s_xor_b64 s[6:7], exec, s[8:9]
	s_cbranch_execnz .LBB50_3049
; %bb.1001:
	s_or_saveexec_b64 s[6:7], s[6:7]
	v_mov_b32_e32 v2, s10
	s_xor_b64 exec, exec, s[6:7]
	s_cbranch_execnz .LBB50_3052
.LBB50_1002:
	s_or_b64 exec, exec, s[6:7]
	s_and_saveexec_b64 s[6:7], s[4:5]
	s_cbranch_execz .LBB50_1004
.LBB50_1003:
	v_bfe_u32 v2, v9, 8, 3
	v_ffbh_u32_e32 v6, v2
	v_min_u32_e32 v6, 32, v6
	v_lshrrev_b16_e32 v4, 3, v3
	v_subrev_u32_e32 v7, 28, v6
	v_and_b32_e32 v4, 15, v4
	v_lshlrev_b32_e32 v3, v7, v3
	v_sub_u32_e32 v6, 29, v6
	v_and_b32_e32 v3, 7, v3
	v_cmp_eq_u16_e32 vcc, 0, v4
	v_cndmask_b32_e32 v2, v2, v3, vcc
	v_cndmask_b32_e32 v3, v4, v6, vcc
	v_lshlrev_b32_e32 v4, 16, v9
	v_mov_b32_e32 v6, 0x3b800000
	v_lshlrev_b32_e32 v2, 20, v2
	v_and_b32_e32 v4, 0x80000000, v4
	v_lshl_add_u32 v3, v3, 23, v6
	v_or3_b32 v2, v4, v3, v2
.LBB50_1004:
	s_or_b64 exec, exec, s[6:7]
	v_lshrrev_b32_e32 v3, 8, v5
	s_movk_i32 s4, 0x7f
	v_cmp_gt_i16_sdwa s[6:7], v3, s4 src0_sel:BYTE_0 src1_sel:DWORD
	s_mov_b64 s[4:5], 0
                                        ; implicit-def: $sgpr10
	s_and_saveexec_b64 s[8:9], s[6:7]
	s_xor_b64 s[6:7], exec, s[8:9]
	s_cbranch_execnz .LBB50_3053
; %bb.1005:
	s_or_saveexec_b64 s[6:7], s[6:7]
	v_mov_b32_e32 v4, s10
	s_xor_b64 exec, exec, s[6:7]
	s_cbranch_execnz .LBB50_3056
.LBB50_1006:
	s_or_b64 exec, exec, s[6:7]
	s_and_saveexec_b64 s[6:7], s[4:5]
	s_cbranch_execz .LBB50_1008
.LBB50_1007:
	v_bfe_u32 v4, v5, 8, 3
	v_ffbh_u32_e32 v7, v4
	v_min_u32_e32 v7, 32, v7
	v_lshrrev_b16_e32 v6, 3, v3
	v_subrev_u32_e32 v8, 28, v7
	v_and_b32_e32 v6, 15, v6
	v_lshlrev_b32_e32 v3, v8, v3
	v_sub_u32_e32 v7, 29, v7
	v_and_b32_e32 v3, 7, v3
	v_cmp_eq_u16_e32 vcc, 0, v6
	v_cndmask_b32_e32 v3, v4, v3, vcc
	v_cndmask_b32_e32 v4, v6, v7, vcc
	v_lshlrev_b32_e32 v6, 16, v5
	v_mov_b32_e32 v7, 0x3b800000
	v_lshlrev_b32_e32 v3, 20, v3
	v_and_b32_e32 v6, 0x80000000, v6
	v_lshl_add_u32 v4, v4, 23, v7
	v_or3_b32 v4, v6, v4, v3
.LBB50_1008:
	s_or_b64 exec, exec, s[6:7]
	s_nop 0
	v_mfma_f32_16x16x4f32 a[0:3], v2, v4, a[0:3]
	s_movk_i32 s4, 0xff
	v_and_b32_sdwa v3, v9, s4 dst_sel:DWORD dst_unused:UNUSED_PAD src0_sel:WORD_1 src1_sel:DWORD
	s_movk_i32 s4, 0x7f
	v_cmp_lt_i16_e32 vcc, s4, v3
	s_mov_b64 s[4:5], 0
                                        ; implicit-def: $sgpr10
	s_and_saveexec_b64 s[6:7], vcc
	s_xor_b64 s[6:7], exec, s[6:7]
	s_cbranch_execnz .LBB50_3057
; %bb.1009:
	s_or_saveexec_b64 s[6:7], s[6:7]
	v_mov_b32_e32 v2, s10
	s_xor_b64 exec, exec, s[6:7]
	s_cbranch_execnz .LBB50_3060
.LBB50_1010:
	s_or_b64 exec, exec, s[6:7]
	s_and_saveexec_b64 s[6:7], s[4:5]
	s_cbranch_execz .LBB50_1012
.LBB50_1011:
	v_bfe_u32 v2, v9, 16, 3
	v_ffbh_u32_e32 v6, v2
	v_min_u32_e32 v6, 32, v6
	v_lshrrev_b32_e32 v3, 19, v9
	v_subrev_u32_e32 v7, 28, v6
	v_and_b32_e32 v3, 15, v3
	v_lshlrev_b32_sdwa v7, v7, v9 dst_sel:DWORD dst_unused:UNUSED_PAD src0_sel:DWORD src1_sel:WORD_1
	v_bfe_u32 v4, v9, 19, 4
	v_sub_u32_e32 v6, 29, v6
	v_and_b32_e32 v7, 7, v7
	v_cmp_eq_u16_e32 vcc, 0, v3
	v_cndmask_b32_e32 v2, v2, v7, vcc
	v_cndmask_b32_e32 v3, v4, v6, vcc
	v_lshlrev_b32_e32 v4, 8, v9
	v_mov_b32_e32 v6, 0x3b800000
	v_lshlrev_b32_e32 v2, 20, v2
	v_and_b32_e32 v4, 0x80000000, v4
	v_lshl_add_u32 v3, v3, 23, v6
	v_or3_b32 v2, v4, v3, v2
.LBB50_1012:
	s_or_b64 exec, exec, s[6:7]
	s_movk_i32 s4, 0xff
	v_and_b32_sdwa v3, v5, s4 dst_sel:DWORD dst_unused:UNUSED_PAD src0_sel:WORD_1 src1_sel:DWORD
	s_movk_i32 s4, 0x7f
	v_cmp_lt_i16_e32 vcc, s4, v3
	s_mov_b64 s[4:5], 0
                                        ; implicit-def: $sgpr10
	s_and_saveexec_b64 s[6:7], vcc
	s_xor_b64 s[6:7], exec, s[6:7]
	s_cbranch_execnz .LBB50_3061
; %bb.1013:
	s_or_saveexec_b64 s[6:7], s[6:7]
	v_mov_b32_e32 v4, s10
	s_xor_b64 exec, exec, s[6:7]
	s_cbranch_execnz .LBB50_3064
.LBB50_1014:
	s_or_b64 exec, exec, s[6:7]
	s_and_saveexec_b64 s[6:7], s[4:5]
	s_cbranch_execz .LBB50_1016
.LBB50_1015:
	v_bfe_u32 v3, v5, 16, 3
	v_ffbh_u32_e32 v7, v3
	v_min_u32_e32 v7, 32, v7
	v_lshrrev_b32_e32 v4, 19, v5
	v_subrev_u32_e32 v8, 28, v7
	v_and_b32_e32 v4, 15, v4
	v_lshlrev_b32_sdwa v8, v8, v5 dst_sel:DWORD dst_unused:UNUSED_PAD src0_sel:DWORD src1_sel:WORD_1
	v_bfe_u32 v6, v5, 19, 4
	v_sub_u32_e32 v7, 29, v7
	v_and_b32_e32 v8, 7, v8
	v_cmp_eq_u16_e32 vcc, 0, v4
	v_cndmask_b32_e32 v3, v3, v8, vcc
	v_cndmask_b32_e32 v4, v6, v7, vcc
	v_lshlrev_b32_e32 v6, 8, v5
	v_mov_b32_e32 v7, 0x3b800000
	v_lshlrev_b32_e32 v3, 20, v3
	v_and_b32_e32 v6, 0x80000000, v6
	v_lshl_add_u32 v4, v4, 23, v7
	v_or3_b32 v4, v6, v4, v3
.LBB50_1016:
	s_or_b64 exec, exec, s[6:7]
	s_nop 0
	v_mfma_f32_16x16x4f32 a[0:3], v2, v4, a[0:3]
	s_movk_i32 s4, 0x7f
	v_cmp_gt_i16_sdwa s[6:7], v9, s4 src0_sel:BYTE_3 src1_sel:DWORD
	s_mov_b64 s[4:5], 0
                                        ; implicit-def: $sgpr10
	s_and_saveexec_b64 s[8:9], s[6:7]
	s_xor_b64 s[6:7], exec, s[8:9]
	s_cbranch_execnz .LBB50_3065
; %bb.1017:
	s_or_saveexec_b64 s[6:7], s[6:7]
	v_mov_b32_e32 v2, s10
	s_xor_b64 exec, exec, s[6:7]
	s_cbranch_execnz .LBB50_3068
.LBB50_1018:
	s_or_b64 exec, exec, s[6:7]
	s_and_saveexec_b64 s[6:7], s[4:5]
	s_cbranch_execz .LBB50_1020
.LBB50_1019:
	v_bfe_u32 v2, v9, 24, 3
	v_ffbh_u32_e32 v7, v2
	v_min_u32_e32 v7, 32, v7
	v_lshrrev_b32_e32 v4, 27, v9
	v_subrev_u32_e32 v8, 28, v7
	v_and_b32_e32 v4, 15, v4
	v_lshlrev_b32_sdwa v8, v8, v9 dst_sel:DWORD dst_unused:UNUSED_PAD src0_sel:DWORD src1_sel:BYTE_3
	v_bfe_u32 v6, v9, 27, 4
	v_sub_u32_e32 v7, 29, v7
	v_and_b32_e32 v8, 7, v8
	v_cmp_eq_u16_e32 vcc, 0, v4
	v_cndmask_b32_e32 v2, v2, v8, vcc
	v_cndmask_b32_e32 v4, v6, v7, vcc
	v_mov_b32_e32 v6, 0x3b800000
	v_and_b32_e32 v3, 0x80000000, v9
	v_lshlrev_b32_e32 v2, 20, v2
	v_lshl_add_u32 v4, v4, 23, v6
	v_or3_b32 v2, v3, v4, v2
.LBB50_1020:
	s_or_b64 exec, exec, s[6:7]
	s_movk_i32 s4, 0x7f
	v_cmp_gt_i16_sdwa s[6:7], v5, s4 src0_sel:BYTE_3 src1_sel:DWORD
	s_mov_b64 s[4:5], 0
                                        ; implicit-def: $sgpr10
	s_and_saveexec_b64 s[8:9], s[6:7]
	s_xor_b64 s[6:7], exec, s[8:9]
	s_cbranch_execnz .LBB50_3069
; %bb.1021:
	s_or_saveexec_b64 s[6:7], s[6:7]
	v_mov_b32_e32 v3, s10
	s_xor_b64 exec, exec, s[6:7]
	s_cbranch_execnz .LBB50_3072
.LBB50_1022:
	s_or_b64 exec, exec, s[6:7]
	s_and_saveexec_b64 s[6:7], s[4:5]
	s_cbranch_execz .LBB50_1024
.LBB50_1023:
	v_bfe_u32 v3, v5, 24, 3
	v_ffbh_u32_e32 v8, v3
	v_min_u32_e32 v8, 32, v8
	v_lshrrev_b32_e32 v6, 27, v5
	v_subrev_u32_e32 v9, 28, v8
	v_and_b32_e32 v4, 0x80000000, v5
	v_and_b32_e32 v6, 15, v6
	v_bfe_u32 v7, v5, 27, 4
	v_lshlrev_b32_sdwa v5, v9, v5 dst_sel:DWORD dst_unused:UNUSED_PAD src0_sel:DWORD src1_sel:BYTE_3
	v_sub_u32_e32 v8, 29, v8
	v_and_b32_e32 v5, 7, v5
	v_cmp_eq_u16_e32 vcc, 0, v6
	v_cndmask_b32_e32 v3, v3, v5, vcc
	v_cndmask_b32_e32 v5, v7, v8, vcc
	v_mov_b32_e32 v6, 0x3b800000
	v_lshlrev_b32_e32 v3, 20, v3
	v_lshl_add_u32 v5, v5, 23, v6
	v_or3_b32 v3, v4, v5, v3
.LBB50_1024:
	s_or_b64 exec, exec, s[6:7]
	s_nop 0
	v_mfma_f32_16x16x4f32 a[0:3], v2, v3, a[0:3]
	s_movk_i32 s4, 0x7f
                                        ; implicit-def: $sgpr10
	s_nop 7
	s_nop 1
	flat_store_dwordx4 v[18:19], a[0:3] offset:816
	flat_load_dwordx4 v[20:23], v[0:1] offset:8
	s_nop 0
	flat_load_dwordx2 v[18:19], v[0:1] offset:24
	s_waitcnt vmcnt(0) lgkmcnt(0)
	flat_load_dwordx4 v[14:17], v[20:21]
	flat_load_dwordx4 v[6:9], v[20:21] offset:16
	flat_load_dwordx4 v[10:13], v[22:23] offset:128
	;; [unrolled: 1-line block ×3, first 2 shown]
	s_waitcnt vmcnt(0) lgkmcnt(0)
	v_cmp_gt_i16_sdwa s[6:7], v14, s4 src0_sel:BYTE_0 src1_sel:DWORD
	s_mov_b64 s[4:5], 0
	s_and_saveexec_b64 s[8:9], s[6:7]
	s_xor_b64 s[6:7], exec, s[8:9]
	s_cbranch_execnz .LBB50_3073
; %bb.1025:
	s_or_saveexec_b64 s[6:7], s[6:7]
	v_mov_b32_e32 v20, s10
	s_xor_b64 exec, exec, s[6:7]
	s_cbranch_execnz .LBB50_3076
.LBB50_1026:
	s_or_b64 exec, exec, s[6:7]
	s_and_saveexec_b64 s[6:7], s[4:5]
	s_cbranch_execz .LBB50_1028
.LBB50_1027:
	v_and_b32_e32 v20, 7, v14
	v_ffbh_u32_e32 v22, v20
	v_min_u32_e32 v22, 32, v22
	v_lshrrev_b16_e32 v21, 3, v14
	v_subrev_u32_e32 v23, 28, v22
	v_and_b32_e32 v21, 15, v21
	v_lshlrev_b32_e32 v23, v23, v14
	v_sub_u32_e32 v22, 29, v22
	v_and_b32_e32 v23, 7, v23
	v_cmp_eq_u16_e32 vcc, 0, v21
	v_cndmask_b32_e32 v20, v20, v23, vcc
	v_cndmask_b32_e32 v21, v21, v22, vcc
	v_lshlrev_b32_e32 v22, 24, v14
	v_mov_b32_e32 v23, 0x3b800000
	v_lshlrev_b32_e32 v20, 20, v20
	v_and_b32_e32 v22, 0x80000000, v22
	v_lshl_add_u32 v21, v21, 23, v23
	v_or3_b32 v20, v22, v21, v20
.LBB50_1028:
	s_or_b64 exec, exec, s[6:7]
	s_movk_i32 s4, 0x7f
	v_cmp_gt_i16_sdwa s[6:7], v10, s4 src0_sel:BYTE_0 src1_sel:DWORD
	s_mov_b64 s[4:5], 0
                                        ; implicit-def: $sgpr10
	s_and_saveexec_b64 s[8:9], s[6:7]
	s_xor_b64 s[6:7], exec, s[8:9]
	s_cbranch_execnz .LBB50_3077
; %bb.1029:
	s_or_saveexec_b64 s[6:7], s[6:7]
	v_mov_b32_e32 v21, s10
	s_xor_b64 exec, exec, s[6:7]
	s_cbranch_execnz .LBB50_3080
.LBB50_1030:
	s_or_b64 exec, exec, s[6:7]
	s_and_saveexec_b64 s[6:7], s[4:5]
	s_cbranch_execz .LBB50_1032
.LBB50_1031:
	v_and_b32_e32 v21, 7, v10
	v_ffbh_u32_e32 v23, v21
	v_min_u32_e32 v23, 32, v23
	v_lshrrev_b16_e32 v22, 3, v10
	v_subrev_u32_e32 v24, 28, v23
	v_and_b32_e32 v22, 15, v22
	v_lshlrev_b32_e32 v24, v24, v10
	v_sub_u32_e32 v23, 29, v23
	v_and_b32_e32 v24, 7, v24
	v_cmp_eq_u16_e32 vcc, 0, v22
	v_cndmask_b32_e32 v21, v21, v24, vcc
	v_cndmask_b32_e32 v22, v22, v23, vcc
	v_lshlrev_b32_e32 v23, 24, v10
	v_mov_b32_e32 v24, 0x3b800000
	v_lshlrev_b32_e32 v21, 20, v21
	v_and_b32_e32 v23, 0x80000000, v23
	v_lshl_add_u32 v22, v22, 23, v24
	v_or3_b32 v21, v23, v22, v21
.LBB50_1032:
	s_or_b64 exec, exec, s[6:7]
	flat_load_dwordx4 a[0:3], v[18:19] offset:832
	s_movk_i32 s4, 0x7f
                                        ; implicit-def: $sgpr10
	s_waitcnt vmcnt(0) lgkmcnt(0)
	v_mfma_f32_16x16x4f32 a[0:3], v20, v21, a[0:3]
	v_lshrrev_b32_e32 v21, 8, v14
	v_cmp_gt_i16_sdwa s[6:7], v21, s4 src0_sel:BYTE_0 src1_sel:DWORD
	s_mov_b64 s[4:5], 0
	s_and_saveexec_b64 s[8:9], s[6:7]
	s_xor_b64 s[6:7], exec, s[8:9]
	s_cbranch_execnz .LBB50_3081
; %bb.1033:
	s_or_saveexec_b64 s[6:7], s[6:7]
	v_mov_b32_e32 v20, s10
	s_xor_b64 exec, exec, s[6:7]
	s_cbranch_execnz .LBB50_3084
.LBB50_1034:
	s_or_b64 exec, exec, s[6:7]
	s_and_saveexec_b64 s[6:7], s[4:5]
	s_cbranch_execz .LBB50_1036
.LBB50_1035:
	v_bfe_u32 v20, v14, 8, 3
	v_ffbh_u32_e32 v23, v20
	v_min_u32_e32 v23, 32, v23
	v_lshrrev_b16_e32 v22, 3, v21
	v_subrev_u32_e32 v24, 28, v23
	v_and_b32_e32 v22, 15, v22
	v_lshlrev_b32_e32 v21, v24, v21
	v_sub_u32_e32 v23, 29, v23
	v_and_b32_e32 v21, 7, v21
	v_cmp_eq_u16_e32 vcc, 0, v22
	v_cndmask_b32_e32 v20, v20, v21, vcc
	v_cndmask_b32_e32 v21, v22, v23, vcc
	v_lshlrev_b32_e32 v22, 16, v14
	v_mov_b32_e32 v23, 0x3b800000
	v_lshlrev_b32_e32 v20, 20, v20
	v_and_b32_e32 v22, 0x80000000, v22
	v_lshl_add_u32 v21, v21, 23, v23
	v_or3_b32 v20, v22, v21, v20
.LBB50_1036:
	s_or_b64 exec, exec, s[6:7]
	v_lshrrev_b32_e32 v21, 8, v10
	s_movk_i32 s4, 0x7f
	v_cmp_gt_i16_sdwa s[6:7], v21, s4 src0_sel:BYTE_0 src1_sel:DWORD
	s_mov_b64 s[4:5], 0
                                        ; implicit-def: $sgpr10
	s_and_saveexec_b64 s[8:9], s[6:7]
	s_xor_b64 s[6:7], exec, s[8:9]
	s_cbranch_execnz .LBB50_3085
; %bb.1037:
	s_or_saveexec_b64 s[6:7], s[6:7]
	v_mov_b32_e32 v22, s10
	s_xor_b64 exec, exec, s[6:7]
	s_cbranch_execnz .LBB50_3088
.LBB50_1038:
	s_or_b64 exec, exec, s[6:7]
	s_and_saveexec_b64 s[6:7], s[4:5]
	s_cbranch_execz .LBB50_1040
.LBB50_1039:
	v_bfe_u32 v22, v10, 8, 3
	v_ffbh_u32_e32 v24, v22
	v_min_u32_e32 v24, 32, v24
	v_lshrrev_b16_e32 v23, 3, v21
	v_subrev_u32_e32 v25, 28, v24
	v_and_b32_e32 v23, 15, v23
	v_lshlrev_b32_e32 v21, v25, v21
	v_sub_u32_e32 v24, 29, v24
	v_and_b32_e32 v21, 7, v21
	v_cmp_eq_u16_e32 vcc, 0, v23
	v_cndmask_b32_e32 v21, v22, v21, vcc
	v_cndmask_b32_e32 v22, v23, v24, vcc
	v_lshlrev_b32_e32 v23, 16, v10
	v_mov_b32_e32 v24, 0x3b800000
	v_lshlrev_b32_e32 v21, 20, v21
	v_and_b32_e32 v23, 0x80000000, v23
	v_lshl_add_u32 v22, v22, 23, v24
	v_or3_b32 v22, v23, v22, v21
.LBB50_1040:
	s_or_b64 exec, exec, s[6:7]
	s_nop 0
	v_mfma_f32_16x16x4f32 a[0:3], v20, v22, a[0:3]
	s_movk_i32 s4, 0xff
	v_and_b32_sdwa v21, v14, s4 dst_sel:DWORD dst_unused:UNUSED_PAD src0_sel:WORD_1 src1_sel:DWORD
	s_movk_i32 s4, 0x7f
	v_cmp_lt_i16_e32 vcc, s4, v21
	s_mov_b64 s[4:5], 0
                                        ; implicit-def: $sgpr10
	s_and_saveexec_b64 s[6:7], vcc
	s_xor_b64 s[6:7], exec, s[6:7]
	s_cbranch_execnz .LBB50_3089
; %bb.1041:
	s_or_saveexec_b64 s[6:7], s[6:7]
	v_mov_b32_e32 v20, s10
	s_xor_b64 exec, exec, s[6:7]
	s_cbranch_execnz .LBB50_3092
.LBB50_1042:
	s_or_b64 exec, exec, s[6:7]
	s_and_saveexec_b64 s[6:7], s[4:5]
	s_cbranch_execz .LBB50_1044
.LBB50_1043:
	v_bfe_u32 v20, v14, 16, 3
	v_ffbh_u32_e32 v23, v20
	v_min_u32_e32 v23, 32, v23
	v_lshrrev_b32_e32 v21, 19, v14
	v_subrev_u32_e32 v24, 28, v23
	v_and_b32_e32 v21, 15, v21
	v_lshlrev_b32_sdwa v24, v24, v14 dst_sel:DWORD dst_unused:UNUSED_PAD src0_sel:DWORD src1_sel:WORD_1
	v_bfe_u32 v22, v14, 19, 4
	v_sub_u32_e32 v23, 29, v23
	v_and_b32_e32 v24, 7, v24
	v_cmp_eq_u16_e32 vcc, 0, v21
	v_cndmask_b32_e32 v20, v20, v24, vcc
	v_cndmask_b32_e32 v21, v22, v23, vcc
	v_lshlrev_b32_e32 v22, 8, v14
	v_mov_b32_e32 v23, 0x3b800000
	v_lshlrev_b32_e32 v20, 20, v20
	v_and_b32_e32 v22, 0x80000000, v22
	v_lshl_add_u32 v21, v21, 23, v23
	v_or3_b32 v20, v22, v21, v20
.LBB50_1044:
	s_or_b64 exec, exec, s[6:7]
	s_movk_i32 s4, 0xff
	v_and_b32_sdwa v21, v10, s4 dst_sel:DWORD dst_unused:UNUSED_PAD src0_sel:WORD_1 src1_sel:DWORD
	s_movk_i32 s4, 0x7f
	v_cmp_lt_i16_e32 vcc, s4, v21
	s_mov_b64 s[4:5], 0
                                        ; implicit-def: $sgpr10
	s_and_saveexec_b64 s[6:7], vcc
	s_xor_b64 s[6:7], exec, s[6:7]
	s_cbranch_execnz .LBB50_3093
; %bb.1045:
	s_or_saveexec_b64 s[6:7], s[6:7]
	v_mov_b32_e32 v22, s10
	s_xor_b64 exec, exec, s[6:7]
	s_cbranch_execnz .LBB50_3096
.LBB50_1046:
	s_or_b64 exec, exec, s[6:7]
	s_and_saveexec_b64 s[6:7], s[4:5]
	s_cbranch_execz .LBB50_1048
.LBB50_1047:
	v_bfe_u32 v21, v10, 16, 3
	v_ffbh_u32_e32 v24, v21
	v_min_u32_e32 v24, 32, v24
	v_lshrrev_b32_e32 v22, 19, v10
	v_subrev_u32_e32 v25, 28, v24
	v_and_b32_e32 v22, 15, v22
	v_lshlrev_b32_sdwa v25, v25, v10 dst_sel:DWORD dst_unused:UNUSED_PAD src0_sel:DWORD src1_sel:WORD_1
	v_bfe_u32 v23, v10, 19, 4
	v_sub_u32_e32 v24, 29, v24
	v_and_b32_e32 v25, 7, v25
	v_cmp_eq_u16_e32 vcc, 0, v22
	v_cndmask_b32_e32 v21, v21, v25, vcc
	v_cndmask_b32_e32 v22, v23, v24, vcc
	v_lshlrev_b32_e32 v23, 8, v10
	v_mov_b32_e32 v24, 0x3b800000
	v_lshlrev_b32_e32 v21, 20, v21
	v_and_b32_e32 v23, 0x80000000, v23
	v_lshl_add_u32 v22, v22, 23, v24
	v_or3_b32 v22, v23, v22, v21
.LBB50_1048:
	s_or_b64 exec, exec, s[6:7]
	s_nop 0
	v_mfma_f32_16x16x4f32 a[0:3], v20, v22, a[0:3]
	s_movk_i32 s4, 0x7f
	v_cmp_gt_i16_sdwa s[6:7], v14, s4 src0_sel:BYTE_3 src1_sel:DWORD
	s_mov_b64 s[4:5], 0
                                        ; implicit-def: $sgpr10
	s_and_saveexec_b64 s[8:9], s[6:7]
	s_xor_b64 s[6:7], exec, s[8:9]
	s_cbranch_execnz .LBB50_3097
; %bb.1049:
	s_or_saveexec_b64 s[6:7], s[6:7]
	v_mov_b32_e32 v20, s10
	s_xor_b64 exec, exec, s[6:7]
	s_cbranch_execnz .LBB50_3100
.LBB50_1050:
	s_or_b64 exec, exec, s[6:7]
	s_and_saveexec_b64 s[6:7], s[4:5]
	s_cbranch_execz .LBB50_1052
.LBB50_1051:
	v_bfe_u32 v20, v14, 24, 3
	v_ffbh_u32_e32 v24, v20
	v_min_u32_e32 v24, 32, v24
	v_lshrrev_b32_e32 v22, 27, v14
	v_subrev_u32_e32 v25, 28, v24
	v_and_b32_e32 v21, 0x80000000, v14
	v_and_b32_e32 v22, 15, v22
	v_bfe_u32 v23, v14, 27, 4
	v_lshlrev_b32_sdwa v14, v25, v14 dst_sel:DWORD dst_unused:UNUSED_PAD src0_sel:DWORD src1_sel:BYTE_3
	v_sub_u32_e32 v24, 29, v24
	v_and_b32_e32 v14, 7, v14
	v_cmp_eq_u16_e32 vcc, 0, v22
	v_cndmask_b32_e32 v14, v20, v14, vcc
	v_cndmask_b32_e32 v20, v23, v24, vcc
	v_mov_b32_e32 v22, 0x3b800000
	v_lshlrev_b32_e32 v14, 20, v14
	v_lshl_add_u32 v20, v20, 23, v22
	v_or3_b32 v20, v21, v20, v14
.LBB50_1052:
	s_or_b64 exec, exec, s[6:7]
	s_movk_i32 s4, 0x7f
	v_cmp_gt_i16_sdwa s[6:7], v10, s4 src0_sel:BYTE_3 src1_sel:DWORD
	s_mov_b64 s[4:5], 0
                                        ; implicit-def: $sgpr10
	s_and_saveexec_b64 s[8:9], s[6:7]
	s_xor_b64 s[6:7], exec, s[8:9]
	s_cbranch_execnz .LBB50_3101
; %bb.1053:
	s_or_saveexec_b64 s[6:7], s[6:7]
	v_mov_b32_e32 v14, s10
	s_xor_b64 exec, exec, s[6:7]
	s_cbranch_execnz .LBB50_3104
.LBB50_1054:
	s_or_b64 exec, exec, s[6:7]
	s_and_saveexec_b64 s[6:7], s[4:5]
	s_cbranch_execz .LBB50_1056
.LBB50_1055:
	v_bfe_u32 v14, v10, 24, 3
	v_ffbh_u32_e32 v24, v14
	v_min_u32_e32 v24, 32, v24
	v_lshrrev_b32_e32 v22, 27, v10
	v_subrev_u32_e32 v25, 28, v24
	v_and_b32_e32 v21, 0x80000000, v10
	v_and_b32_e32 v22, 15, v22
	v_bfe_u32 v23, v10, 27, 4
	v_lshlrev_b32_sdwa v10, v25, v10 dst_sel:DWORD dst_unused:UNUSED_PAD src0_sel:DWORD src1_sel:BYTE_3
	v_sub_u32_e32 v24, 29, v24
	v_and_b32_e32 v10, 7, v10
	v_cmp_eq_u16_e32 vcc, 0, v22
	v_cndmask_b32_e32 v10, v14, v10, vcc
	v_cndmask_b32_e32 v14, v23, v24, vcc
	v_mov_b32_e32 v22, 0x3b800000
	v_lshlrev_b32_e32 v10, 20, v10
	v_lshl_add_u32 v14, v14, 23, v22
	v_or3_b32 v14, v21, v14, v10
.LBB50_1056:
	s_or_b64 exec, exec, s[6:7]
	s_nop 0
	v_mfma_f32_16x16x4f32 a[0:3], v20, v14, a[0:3]
	s_movk_i32 s4, 0x7f
	v_cmp_gt_i16_sdwa s[6:7], v15, s4 src0_sel:BYTE_0 src1_sel:DWORD
	s_mov_b64 s[4:5], 0
                                        ; implicit-def: $sgpr10
	s_and_saveexec_b64 s[8:9], s[6:7]
	s_xor_b64 s[6:7], exec, s[8:9]
	s_cbranch_execnz .LBB50_3105
; %bb.1057:
	s_or_saveexec_b64 s[6:7], s[6:7]
	v_mov_b32_e32 v10, s10
	s_xor_b64 exec, exec, s[6:7]
	s_cbranch_execnz .LBB50_3108
.LBB50_1058:
	s_or_b64 exec, exec, s[6:7]
	s_and_saveexec_b64 s[6:7], s[4:5]
	s_cbranch_execz .LBB50_1060
.LBB50_1059:
	v_and_b32_e32 v10, 7, v15
	v_ffbh_u32_e32 v20, v10
	v_min_u32_e32 v20, 32, v20
	v_lshrrev_b16_e32 v14, 3, v15
	v_subrev_u32_e32 v21, 28, v20
	v_and_b32_e32 v14, 15, v14
	v_lshlrev_b32_e32 v21, v21, v15
	v_sub_u32_e32 v20, 29, v20
	v_and_b32_e32 v21, 7, v21
	v_cmp_eq_u16_e32 vcc, 0, v14
	v_cndmask_b32_e32 v10, v10, v21, vcc
	v_cndmask_b32_e32 v14, v14, v20, vcc
	v_lshlrev_b32_e32 v20, 24, v15
	v_mov_b32_e32 v21, 0x3b800000
	v_lshlrev_b32_e32 v10, 20, v10
	v_and_b32_e32 v20, 0x80000000, v20
	v_lshl_add_u32 v14, v14, 23, v21
	v_or3_b32 v10, v20, v14, v10
.LBB50_1060:
	s_or_b64 exec, exec, s[6:7]
	s_movk_i32 s4, 0x7f
	v_cmp_gt_i16_sdwa s[6:7], v11, s4 src0_sel:BYTE_0 src1_sel:DWORD
	s_mov_b64 s[4:5], 0
                                        ; implicit-def: $sgpr10
	s_and_saveexec_b64 s[8:9], s[6:7]
	s_xor_b64 s[6:7], exec, s[8:9]
	s_cbranch_execnz .LBB50_3109
; %bb.1061:
	s_or_saveexec_b64 s[6:7], s[6:7]
	v_mov_b32_e32 v14, s10
	s_xor_b64 exec, exec, s[6:7]
	s_cbranch_execnz .LBB50_3112
.LBB50_1062:
	s_or_b64 exec, exec, s[6:7]
	s_and_saveexec_b64 s[6:7], s[4:5]
	s_cbranch_execz .LBB50_1064
.LBB50_1063:
	v_and_b32_e32 v14, 7, v11
	v_ffbh_u32_e32 v21, v14
	v_min_u32_e32 v21, 32, v21
	v_lshrrev_b16_e32 v20, 3, v11
	v_subrev_u32_e32 v22, 28, v21
	v_and_b32_e32 v20, 15, v20
	v_lshlrev_b32_e32 v22, v22, v11
	v_sub_u32_e32 v21, 29, v21
	v_and_b32_e32 v22, 7, v22
	v_cmp_eq_u16_e32 vcc, 0, v20
	v_cndmask_b32_e32 v14, v14, v22, vcc
	v_cndmask_b32_e32 v20, v20, v21, vcc
	v_lshlrev_b32_e32 v21, 24, v11
	v_mov_b32_e32 v22, 0x3b800000
	v_lshlrev_b32_e32 v14, 20, v14
	v_and_b32_e32 v21, 0x80000000, v21
	v_lshl_add_u32 v20, v20, 23, v22
	v_or3_b32 v14, v21, v20, v14
.LBB50_1064:
	s_or_b64 exec, exec, s[6:7]
	s_nop 0
	v_mfma_f32_16x16x4f32 a[0:3], v10, v14, a[0:3]
	v_lshrrev_b32_e32 v14, 8, v15
	s_movk_i32 s4, 0x7f
	v_cmp_gt_i16_sdwa s[6:7], v14, s4 src0_sel:BYTE_0 src1_sel:DWORD
	s_mov_b64 s[4:5], 0
                                        ; implicit-def: $sgpr10
	s_and_saveexec_b64 s[8:9], s[6:7]
	s_xor_b64 s[6:7], exec, s[8:9]
	s_cbranch_execnz .LBB50_3113
; %bb.1065:
	s_or_saveexec_b64 s[6:7], s[6:7]
	v_mov_b32_e32 v10, s10
	s_xor_b64 exec, exec, s[6:7]
	s_cbranch_execnz .LBB50_3116
.LBB50_1066:
	s_or_b64 exec, exec, s[6:7]
	s_and_saveexec_b64 s[6:7], s[4:5]
	s_cbranch_execz .LBB50_1068
.LBB50_1067:
	v_bfe_u32 v10, v15, 8, 3
	v_ffbh_u32_e32 v21, v10
	v_min_u32_e32 v21, 32, v21
	v_lshrrev_b16_e32 v20, 3, v14
	v_subrev_u32_e32 v22, 28, v21
	v_and_b32_e32 v20, 15, v20
	v_lshlrev_b32_e32 v14, v22, v14
	v_sub_u32_e32 v21, 29, v21
	v_and_b32_e32 v14, 7, v14
	v_cmp_eq_u16_e32 vcc, 0, v20
	v_cndmask_b32_e32 v10, v10, v14, vcc
	v_cndmask_b32_e32 v14, v20, v21, vcc
	v_lshlrev_b32_e32 v20, 16, v15
	v_mov_b32_e32 v21, 0x3b800000
	v_lshlrev_b32_e32 v10, 20, v10
	v_and_b32_e32 v20, 0x80000000, v20
	v_lshl_add_u32 v14, v14, 23, v21
	v_or3_b32 v10, v20, v14, v10
.LBB50_1068:
	s_or_b64 exec, exec, s[6:7]
	v_lshrrev_b32_e32 v14, 8, v11
	s_movk_i32 s4, 0x7f
	v_cmp_gt_i16_sdwa s[6:7], v14, s4 src0_sel:BYTE_0 src1_sel:DWORD
	s_mov_b64 s[4:5], 0
                                        ; implicit-def: $sgpr10
	s_and_saveexec_b64 s[8:9], s[6:7]
	s_xor_b64 s[6:7], exec, s[8:9]
	s_cbranch_execnz .LBB50_3117
; %bb.1069:
	s_or_saveexec_b64 s[6:7], s[6:7]
	v_mov_b32_e32 v20, s10
	s_xor_b64 exec, exec, s[6:7]
	s_cbranch_execnz .LBB50_3120
.LBB50_1070:
	s_or_b64 exec, exec, s[6:7]
	s_and_saveexec_b64 s[6:7], s[4:5]
	s_cbranch_execz .LBB50_1072
.LBB50_1071:
	v_bfe_u32 v20, v11, 8, 3
	v_ffbh_u32_e32 v22, v20
	v_min_u32_e32 v22, 32, v22
	v_lshrrev_b16_e32 v21, 3, v14
	v_subrev_u32_e32 v23, 28, v22
	v_and_b32_e32 v21, 15, v21
	v_lshlrev_b32_e32 v14, v23, v14
	v_sub_u32_e32 v22, 29, v22
	v_and_b32_e32 v14, 7, v14
	v_cmp_eq_u16_e32 vcc, 0, v21
	v_cndmask_b32_e32 v14, v20, v14, vcc
	v_cndmask_b32_e32 v20, v21, v22, vcc
	v_lshlrev_b32_e32 v21, 16, v11
	v_mov_b32_e32 v22, 0x3b800000
	v_lshlrev_b32_e32 v14, 20, v14
	v_and_b32_e32 v21, 0x80000000, v21
	v_lshl_add_u32 v20, v20, 23, v22
	v_or3_b32 v20, v21, v20, v14
.LBB50_1072:
	s_or_b64 exec, exec, s[6:7]
	s_nop 0
	v_mfma_f32_16x16x4f32 a[0:3], v10, v20, a[0:3]
	s_movk_i32 s4, 0xff
	v_and_b32_sdwa v14, v15, s4 dst_sel:DWORD dst_unused:UNUSED_PAD src0_sel:WORD_1 src1_sel:DWORD
	s_movk_i32 s4, 0x7f
	v_cmp_lt_i16_e32 vcc, s4, v14
	s_mov_b64 s[4:5], 0
                                        ; implicit-def: $sgpr10
	s_and_saveexec_b64 s[6:7], vcc
	s_xor_b64 s[6:7], exec, s[6:7]
	s_cbranch_execnz .LBB50_3121
; %bb.1073:
	s_or_saveexec_b64 s[6:7], s[6:7]
	v_mov_b32_e32 v10, s10
	s_xor_b64 exec, exec, s[6:7]
	s_cbranch_execnz .LBB50_3124
.LBB50_1074:
	s_or_b64 exec, exec, s[6:7]
	s_and_saveexec_b64 s[6:7], s[4:5]
	s_cbranch_execz .LBB50_1076
.LBB50_1075:
	v_bfe_u32 v10, v15, 16, 3
	v_ffbh_u32_e32 v21, v10
	v_min_u32_e32 v21, 32, v21
	v_lshrrev_b32_e32 v14, 19, v15
	v_subrev_u32_e32 v22, 28, v21
	v_and_b32_e32 v14, 15, v14
	v_lshlrev_b32_sdwa v22, v22, v15 dst_sel:DWORD dst_unused:UNUSED_PAD src0_sel:DWORD src1_sel:WORD_1
	v_bfe_u32 v20, v15, 19, 4
	v_sub_u32_e32 v21, 29, v21
	v_and_b32_e32 v22, 7, v22
	v_cmp_eq_u16_e32 vcc, 0, v14
	v_cndmask_b32_e32 v10, v10, v22, vcc
	v_cndmask_b32_e32 v14, v20, v21, vcc
	v_lshlrev_b32_e32 v20, 8, v15
	v_mov_b32_e32 v21, 0x3b800000
	v_lshlrev_b32_e32 v10, 20, v10
	v_and_b32_e32 v20, 0x80000000, v20
	v_lshl_add_u32 v14, v14, 23, v21
	v_or3_b32 v10, v20, v14, v10
.LBB50_1076:
	s_or_b64 exec, exec, s[6:7]
	s_movk_i32 s4, 0xff
	v_and_b32_sdwa v14, v11, s4 dst_sel:DWORD dst_unused:UNUSED_PAD src0_sel:WORD_1 src1_sel:DWORD
	s_movk_i32 s4, 0x7f
	v_cmp_lt_i16_e32 vcc, s4, v14
	s_mov_b64 s[4:5], 0
                                        ; implicit-def: $sgpr10
	s_and_saveexec_b64 s[6:7], vcc
	s_xor_b64 s[6:7], exec, s[6:7]
	s_cbranch_execnz .LBB50_3125
; %bb.1077:
	s_or_saveexec_b64 s[6:7], s[6:7]
	v_mov_b32_e32 v20, s10
	s_xor_b64 exec, exec, s[6:7]
	s_cbranch_execnz .LBB50_3128
.LBB50_1078:
	s_or_b64 exec, exec, s[6:7]
	s_and_saveexec_b64 s[6:7], s[4:5]
	s_cbranch_execz .LBB50_1080
.LBB50_1079:
	v_bfe_u32 v14, v11, 16, 3
	v_ffbh_u32_e32 v22, v14
	v_min_u32_e32 v22, 32, v22
	v_lshrrev_b32_e32 v20, 19, v11
	v_subrev_u32_e32 v23, 28, v22
	v_and_b32_e32 v20, 15, v20
	v_lshlrev_b32_sdwa v23, v23, v11 dst_sel:DWORD dst_unused:UNUSED_PAD src0_sel:DWORD src1_sel:WORD_1
	v_bfe_u32 v21, v11, 19, 4
	v_sub_u32_e32 v22, 29, v22
	v_and_b32_e32 v23, 7, v23
	v_cmp_eq_u16_e32 vcc, 0, v20
	v_cndmask_b32_e32 v14, v14, v23, vcc
	v_cndmask_b32_e32 v20, v21, v22, vcc
	v_lshlrev_b32_e32 v21, 8, v11
	v_mov_b32_e32 v22, 0x3b800000
	v_lshlrev_b32_e32 v14, 20, v14
	v_and_b32_e32 v21, 0x80000000, v21
	v_lshl_add_u32 v20, v20, 23, v22
	v_or3_b32 v20, v21, v20, v14
.LBB50_1080:
	s_or_b64 exec, exec, s[6:7]
	s_nop 0
	v_mfma_f32_16x16x4f32 a[0:3], v10, v20, a[0:3]
	s_movk_i32 s4, 0x7f
	v_cmp_gt_i16_sdwa s[6:7], v15, s4 src0_sel:BYTE_3 src1_sel:DWORD
	s_mov_b64 s[4:5], 0
                                        ; implicit-def: $sgpr10
	s_and_saveexec_b64 s[8:9], s[6:7]
	s_xor_b64 s[6:7], exec, s[8:9]
	s_cbranch_execnz .LBB50_3129
; %bb.1081:
	s_or_saveexec_b64 s[6:7], s[6:7]
	v_mov_b32_e32 v10, s10
	s_xor_b64 exec, exec, s[6:7]
	s_cbranch_execnz .LBB50_3132
.LBB50_1082:
	s_or_b64 exec, exec, s[6:7]
	s_and_saveexec_b64 s[6:7], s[4:5]
	s_cbranch_execz .LBB50_1084
.LBB50_1083:
	v_bfe_u32 v10, v15, 24, 3
	v_ffbh_u32_e32 v22, v10
	v_min_u32_e32 v22, 32, v22
	v_lshrrev_b32_e32 v20, 27, v15
	v_subrev_u32_e32 v23, 28, v22
	v_and_b32_e32 v14, 0x80000000, v15
	v_and_b32_e32 v20, 15, v20
	v_bfe_u32 v21, v15, 27, 4
	v_lshlrev_b32_sdwa v15, v23, v15 dst_sel:DWORD dst_unused:UNUSED_PAD src0_sel:DWORD src1_sel:BYTE_3
	v_sub_u32_e32 v22, 29, v22
	v_and_b32_e32 v15, 7, v15
	v_cmp_eq_u16_e32 vcc, 0, v20
	v_cndmask_b32_e32 v10, v10, v15, vcc
	v_cndmask_b32_e32 v15, v21, v22, vcc
	v_mov_b32_e32 v20, 0x3b800000
	v_lshlrev_b32_e32 v10, 20, v10
	v_lshl_add_u32 v15, v15, 23, v20
	v_or3_b32 v10, v14, v15, v10
.LBB50_1084:
	s_or_b64 exec, exec, s[6:7]
	s_movk_i32 s4, 0x7f
	v_cmp_gt_i16_sdwa s[6:7], v11, s4 src0_sel:BYTE_3 src1_sel:DWORD
	s_mov_b64 s[4:5], 0
                                        ; implicit-def: $sgpr10
	s_and_saveexec_b64 s[8:9], s[6:7]
	s_xor_b64 s[6:7], exec, s[8:9]
	s_cbranch_execnz .LBB50_3133
; %bb.1085:
	s_or_saveexec_b64 s[6:7], s[6:7]
	v_mov_b32_e32 v14, s10
	s_xor_b64 exec, exec, s[6:7]
	s_cbranch_execnz .LBB50_3136
.LBB50_1086:
	s_or_b64 exec, exec, s[6:7]
	s_and_saveexec_b64 s[6:7], s[4:5]
	s_cbranch_execz .LBB50_1088
.LBB50_1087:
	v_bfe_u32 v14, v11, 24, 3
	v_ffbh_u32_e32 v22, v14
	v_min_u32_e32 v22, 32, v22
	v_lshrrev_b32_e32 v20, 27, v11
	v_subrev_u32_e32 v23, 28, v22
	v_and_b32_e32 v15, 0x80000000, v11
	v_and_b32_e32 v20, 15, v20
	v_bfe_u32 v21, v11, 27, 4
	v_lshlrev_b32_sdwa v11, v23, v11 dst_sel:DWORD dst_unused:UNUSED_PAD src0_sel:DWORD src1_sel:BYTE_3
	v_sub_u32_e32 v22, 29, v22
	v_and_b32_e32 v11, 7, v11
	v_cmp_eq_u16_e32 vcc, 0, v20
	v_cndmask_b32_e32 v11, v14, v11, vcc
	v_cndmask_b32_e32 v14, v21, v22, vcc
	v_mov_b32_e32 v20, 0x3b800000
	v_lshlrev_b32_e32 v11, 20, v11
	v_lshl_add_u32 v14, v14, 23, v20
	v_or3_b32 v14, v15, v14, v11
.LBB50_1088:
	s_or_b64 exec, exec, s[6:7]
	s_nop 0
	v_mfma_f32_16x16x4f32 a[0:3], v10, v14, a[0:3]
	s_movk_i32 s4, 0x7f
	v_cmp_gt_i16_sdwa s[6:7], v16, s4 src0_sel:BYTE_0 src1_sel:DWORD
	s_mov_b64 s[4:5], 0
                                        ; implicit-def: $sgpr10
	s_and_saveexec_b64 s[8:9], s[6:7]
	s_xor_b64 s[6:7], exec, s[8:9]
	s_cbranch_execnz .LBB50_3137
; %bb.1089:
	s_or_saveexec_b64 s[6:7], s[6:7]
	v_mov_b32_e32 v10, s10
	s_xor_b64 exec, exec, s[6:7]
	s_cbranch_execnz .LBB50_3140
.LBB50_1090:
	s_or_b64 exec, exec, s[6:7]
	s_and_saveexec_b64 s[6:7], s[4:5]
	s_cbranch_execz .LBB50_1092
.LBB50_1091:
	v_and_b32_e32 v10, 7, v16
	v_ffbh_u32_e32 v14, v10
	v_min_u32_e32 v14, 32, v14
	v_lshrrev_b16_e32 v11, 3, v16
	v_subrev_u32_e32 v15, 28, v14
	v_and_b32_e32 v11, 15, v11
	v_lshlrev_b32_e32 v15, v15, v16
	v_sub_u32_e32 v14, 29, v14
	v_and_b32_e32 v15, 7, v15
	v_cmp_eq_u16_e32 vcc, 0, v11
	v_cndmask_b32_e32 v10, v10, v15, vcc
	v_cndmask_b32_e32 v11, v11, v14, vcc
	v_lshlrev_b32_e32 v14, 24, v16
	v_mov_b32_e32 v15, 0x3b800000
	v_lshlrev_b32_e32 v10, 20, v10
	v_and_b32_e32 v14, 0x80000000, v14
	v_lshl_add_u32 v11, v11, 23, v15
	v_or3_b32 v10, v14, v11, v10
.LBB50_1092:
	s_or_b64 exec, exec, s[6:7]
	s_movk_i32 s4, 0x7f
	v_cmp_gt_i16_sdwa s[6:7], v12, s4 src0_sel:BYTE_0 src1_sel:DWORD
	s_mov_b64 s[4:5], 0
                                        ; implicit-def: $sgpr10
	s_and_saveexec_b64 s[8:9], s[6:7]
	s_xor_b64 s[6:7], exec, s[8:9]
	s_cbranch_execnz .LBB50_3141
; %bb.1093:
	s_or_saveexec_b64 s[6:7], s[6:7]
	v_mov_b32_e32 v11, s10
	s_xor_b64 exec, exec, s[6:7]
	s_cbranch_execnz .LBB50_3144
.LBB50_1094:
	s_or_b64 exec, exec, s[6:7]
	s_and_saveexec_b64 s[6:7], s[4:5]
	s_cbranch_execz .LBB50_1096
.LBB50_1095:
	v_and_b32_e32 v11, 7, v12
	v_ffbh_u32_e32 v15, v11
	v_min_u32_e32 v15, 32, v15
	v_lshrrev_b16_e32 v14, 3, v12
	v_subrev_u32_e32 v20, 28, v15
	v_and_b32_e32 v14, 15, v14
	v_lshlrev_b32_e32 v20, v20, v12
	v_sub_u32_e32 v15, 29, v15
	v_and_b32_e32 v20, 7, v20
	v_cmp_eq_u16_e32 vcc, 0, v14
	v_cndmask_b32_e32 v11, v11, v20, vcc
	v_cndmask_b32_e32 v14, v14, v15, vcc
	v_lshlrev_b32_e32 v15, 24, v12
	v_mov_b32_e32 v20, 0x3b800000
	v_lshlrev_b32_e32 v11, 20, v11
	v_and_b32_e32 v15, 0x80000000, v15
	v_lshl_add_u32 v14, v14, 23, v20
	v_or3_b32 v11, v15, v14, v11
.LBB50_1096:
	s_or_b64 exec, exec, s[6:7]
	s_nop 0
	v_mfma_f32_16x16x4f32 a[0:3], v10, v11, a[0:3]
	v_lshrrev_b32_e32 v11, 8, v16
	s_movk_i32 s4, 0x7f
	v_cmp_gt_i16_sdwa s[6:7], v11, s4 src0_sel:BYTE_0 src1_sel:DWORD
	s_mov_b64 s[4:5], 0
                                        ; implicit-def: $sgpr10
	s_and_saveexec_b64 s[8:9], s[6:7]
	s_xor_b64 s[6:7], exec, s[8:9]
	s_cbranch_execnz .LBB50_3145
; %bb.1097:
	s_or_saveexec_b64 s[6:7], s[6:7]
	v_mov_b32_e32 v10, s10
	s_xor_b64 exec, exec, s[6:7]
	s_cbranch_execnz .LBB50_3148
.LBB50_1098:
	s_or_b64 exec, exec, s[6:7]
	s_and_saveexec_b64 s[6:7], s[4:5]
	s_cbranch_execz .LBB50_1100
.LBB50_1099:
	v_bfe_u32 v10, v16, 8, 3
	v_ffbh_u32_e32 v15, v10
	v_min_u32_e32 v15, 32, v15
	v_lshrrev_b16_e32 v14, 3, v11
	v_subrev_u32_e32 v20, 28, v15
	v_and_b32_e32 v14, 15, v14
	v_lshlrev_b32_e32 v11, v20, v11
	v_sub_u32_e32 v15, 29, v15
	v_and_b32_e32 v11, 7, v11
	v_cmp_eq_u16_e32 vcc, 0, v14
	v_cndmask_b32_e32 v10, v10, v11, vcc
	v_cndmask_b32_e32 v11, v14, v15, vcc
	v_lshlrev_b32_e32 v14, 16, v16
	v_mov_b32_e32 v15, 0x3b800000
	v_lshlrev_b32_e32 v10, 20, v10
	v_and_b32_e32 v14, 0x80000000, v14
	v_lshl_add_u32 v11, v11, 23, v15
	v_or3_b32 v10, v14, v11, v10
.LBB50_1100:
	s_or_b64 exec, exec, s[6:7]
	v_lshrrev_b32_e32 v11, 8, v12
	s_movk_i32 s4, 0x7f
	v_cmp_gt_i16_sdwa s[6:7], v11, s4 src0_sel:BYTE_0 src1_sel:DWORD
	s_mov_b64 s[4:5], 0
                                        ; implicit-def: $sgpr10
	s_and_saveexec_b64 s[8:9], s[6:7]
	s_xor_b64 s[6:7], exec, s[8:9]
	s_cbranch_execnz .LBB50_3149
; %bb.1101:
	s_or_saveexec_b64 s[6:7], s[6:7]
	v_mov_b32_e32 v14, s10
	s_xor_b64 exec, exec, s[6:7]
	s_cbranch_execnz .LBB50_3152
.LBB50_1102:
	s_or_b64 exec, exec, s[6:7]
	s_and_saveexec_b64 s[6:7], s[4:5]
	s_cbranch_execz .LBB50_1104
.LBB50_1103:
	v_bfe_u32 v14, v12, 8, 3
	v_ffbh_u32_e32 v20, v14
	v_min_u32_e32 v20, 32, v20
	v_lshrrev_b16_e32 v15, 3, v11
	v_subrev_u32_e32 v21, 28, v20
	v_and_b32_e32 v15, 15, v15
	v_lshlrev_b32_e32 v11, v21, v11
	v_sub_u32_e32 v20, 29, v20
	v_and_b32_e32 v11, 7, v11
	v_cmp_eq_u16_e32 vcc, 0, v15
	v_cndmask_b32_e32 v11, v14, v11, vcc
	v_cndmask_b32_e32 v14, v15, v20, vcc
	v_lshlrev_b32_e32 v15, 16, v12
	v_mov_b32_e32 v20, 0x3b800000
	v_lshlrev_b32_e32 v11, 20, v11
	v_and_b32_e32 v15, 0x80000000, v15
	v_lshl_add_u32 v14, v14, 23, v20
	v_or3_b32 v14, v15, v14, v11
.LBB50_1104:
	s_or_b64 exec, exec, s[6:7]
	s_nop 0
	v_mfma_f32_16x16x4f32 a[0:3], v10, v14, a[0:3]
	s_movk_i32 s4, 0xff
	v_and_b32_sdwa v11, v16, s4 dst_sel:DWORD dst_unused:UNUSED_PAD src0_sel:WORD_1 src1_sel:DWORD
	s_movk_i32 s4, 0x7f
	v_cmp_lt_i16_e32 vcc, s4, v11
	s_mov_b64 s[4:5], 0
                                        ; implicit-def: $sgpr10
	s_and_saveexec_b64 s[6:7], vcc
	s_xor_b64 s[6:7], exec, s[6:7]
	s_cbranch_execnz .LBB50_3153
; %bb.1105:
	s_or_saveexec_b64 s[6:7], s[6:7]
	v_mov_b32_e32 v10, s10
	s_xor_b64 exec, exec, s[6:7]
	s_cbranch_execnz .LBB50_3156
.LBB50_1106:
	s_or_b64 exec, exec, s[6:7]
	s_and_saveexec_b64 s[6:7], s[4:5]
	s_cbranch_execz .LBB50_1108
.LBB50_1107:
	v_bfe_u32 v10, v16, 16, 3
	v_ffbh_u32_e32 v15, v10
	v_min_u32_e32 v15, 32, v15
	v_lshrrev_b32_e32 v11, 19, v16
	v_subrev_u32_e32 v20, 28, v15
	v_and_b32_e32 v11, 15, v11
	v_lshlrev_b32_sdwa v20, v20, v16 dst_sel:DWORD dst_unused:UNUSED_PAD src0_sel:DWORD src1_sel:WORD_1
	v_bfe_u32 v14, v16, 19, 4
	v_sub_u32_e32 v15, 29, v15
	v_and_b32_e32 v20, 7, v20
	v_cmp_eq_u16_e32 vcc, 0, v11
	v_cndmask_b32_e32 v10, v10, v20, vcc
	v_cndmask_b32_e32 v11, v14, v15, vcc
	v_lshlrev_b32_e32 v14, 8, v16
	v_mov_b32_e32 v15, 0x3b800000
	v_lshlrev_b32_e32 v10, 20, v10
	v_and_b32_e32 v14, 0x80000000, v14
	v_lshl_add_u32 v11, v11, 23, v15
	v_or3_b32 v10, v14, v11, v10
.LBB50_1108:
	s_or_b64 exec, exec, s[6:7]
	s_movk_i32 s4, 0xff
	v_and_b32_sdwa v11, v12, s4 dst_sel:DWORD dst_unused:UNUSED_PAD src0_sel:WORD_1 src1_sel:DWORD
	s_movk_i32 s4, 0x7f
	v_cmp_lt_i16_e32 vcc, s4, v11
	s_mov_b64 s[4:5], 0
                                        ; implicit-def: $sgpr10
	s_and_saveexec_b64 s[6:7], vcc
	s_xor_b64 s[6:7], exec, s[6:7]
	s_cbranch_execnz .LBB50_3157
; %bb.1109:
	s_or_saveexec_b64 s[6:7], s[6:7]
	v_mov_b32_e32 v14, s10
	s_xor_b64 exec, exec, s[6:7]
	s_cbranch_execnz .LBB50_3160
.LBB50_1110:
	s_or_b64 exec, exec, s[6:7]
	s_and_saveexec_b64 s[6:7], s[4:5]
	s_cbranch_execz .LBB50_1112
.LBB50_1111:
	v_bfe_u32 v11, v12, 16, 3
	v_ffbh_u32_e32 v20, v11
	v_min_u32_e32 v20, 32, v20
	v_lshrrev_b32_e32 v14, 19, v12
	v_subrev_u32_e32 v21, 28, v20
	v_and_b32_e32 v14, 15, v14
	v_lshlrev_b32_sdwa v21, v21, v12 dst_sel:DWORD dst_unused:UNUSED_PAD src0_sel:DWORD src1_sel:WORD_1
	v_bfe_u32 v15, v12, 19, 4
	v_sub_u32_e32 v20, 29, v20
	v_and_b32_e32 v21, 7, v21
	v_cmp_eq_u16_e32 vcc, 0, v14
	v_cndmask_b32_e32 v11, v11, v21, vcc
	v_cndmask_b32_e32 v14, v15, v20, vcc
	v_lshlrev_b32_e32 v15, 8, v12
	v_mov_b32_e32 v20, 0x3b800000
	v_lshlrev_b32_e32 v11, 20, v11
	v_and_b32_e32 v15, 0x80000000, v15
	v_lshl_add_u32 v14, v14, 23, v20
	v_or3_b32 v14, v15, v14, v11
.LBB50_1112:
	s_or_b64 exec, exec, s[6:7]
	s_nop 0
	v_mfma_f32_16x16x4f32 a[0:3], v10, v14, a[0:3]
	s_movk_i32 s4, 0x7f
	v_cmp_gt_i16_sdwa s[6:7], v16, s4 src0_sel:BYTE_3 src1_sel:DWORD
	s_mov_b64 s[4:5], 0
                                        ; implicit-def: $sgpr10
	s_and_saveexec_b64 s[8:9], s[6:7]
	s_xor_b64 s[6:7], exec, s[8:9]
	s_cbranch_execnz .LBB50_3161
; %bb.1113:
	s_or_saveexec_b64 s[6:7], s[6:7]
	v_mov_b32_e32 v10, s10
	s_xor_b64 exec, exec, s[6:7]
	s_cbranch_execnz .LBB50_3164
.LBB50_1114:
	s_or_b64 exec, exec, s[6:7]
	s_and_saveexec_b64 s[6:7], s[4:5]
	s_cbranch_execz .LBB50_1116
.LBB50_1115:
	v_bfe_u32 v10, v16, 24, 3
	v_ffbh_u32_e32 v20, v10
	v_min_u32_e32 v20, 32, v20
	v_lshrrev_b32_e32 v14, 27, v16
	v_subrev_u32_e32 v21, 28, v20
	v_and_b32_e32 v11, 0x80000000, v16
	v_and_b32_e32 v14, 15, v14
	v_bfe_u32 v15, v16, 27, 4
	v_lshlrev_b32_sdwa v16, v21, v16 dst_sel:DWORD dst_unused:UNUSED_PAD src0_sel:DWORD src1_sel:BYTE_3
	v_sub_u32_e32 v20, 29, v20
	v_and_b32_e32 v16, 7, v16
	v_cmp_eq_u16_e32 vcc, 0, v14
	v_cndmask_b32_e32 v10, v10, v16, vcc
	v_cndmask_b32_e32 v14, v15, v20, vcc
	v_mov_b32_e32 v15, 0x3b800000
	v_lshlrev_b32_e32 v10, 20, v10
	v_lshl_add_u32 v14, v14, 23, v15
	v_or3_b32 v10, v11, v14, v10
.LBB50_1116:
	s_or_b64 exec, exec, s[6:7]
	s_movk_i32 s4, 0x7f
	v_cmp_gt_i16_sdwa s[6:7], v12, s4 src0_sel:BYTE_3 src1_sel:DWORD
	s_mov_b64 s[4:5], 0
                                        ; implicit-def: $sgpr10
	s_and_saveexec_b64 s[8:9], s[6:7]
	s_xor_b64 s[6:7], exec, s[8:9]
	s_cbranch_execnz .LBB50_3165
; %bb.1117:
	s_or_saveexec_b64 s[6:7], s[6:7]
	v_mov_b32_e32 v11, s10
	s_xor_b64 exec, exec, s[6:7]
	s_cbranch_execnz .LBB50_3168
.LBB50_1118:
	s_or_b64 exec, exec, s[6:7]
	s_and_saveexec_b64 s[6:7], s[4:5]
	s_cbranch_execz .LBB50_1120
.LBB50_1119:
	v_bfe_u32 v11, v12, 24, 3
	v_ffbh_u32_e32 v20, v11
	v_min_u32_e32 v20, 32, v20
	v_lshrrev_b32_e32 v15, 27, v12
	v_subrev_u32_e32 v21, 28, v20
	v_and_b32_e32 v14, 0x80000000, v12
	v_and_b32_e32 v15, 15, v15
	v_bfe_u32 v16, v12, 27, 4
	v_lshlrev_b32_sdwa v12, v21, v12 dst_sel:DWORD dst_unused:UNUSED_PAD src0_sel:DWORD src1_sel:BYTE_3
	v_sub_u32_e32 v20, 29, v20
	v_and_b32_e32 v12, 7, v12
	v_cmp_eq_u16_e32 vcc, 0, v15
	v_cndmask_b32_e32 v11, v11, v12, vcc
	v_cndmask_b32_e32 v12, v16, v20, vcc
	v_mov_b32_e32 v15, 0x3b800000
	v_lshlrev_b32_e32 v11, 20, v11
	v_lshl_add_u32 v12, v12, 23, v15
	v_or3_b32 v11, v14, v12, v11
.LBB50_1120:
	s_or_b64 exec, exec, s[6:7]
	s_nop 0
	v_mfma_f32_16x16x4f32 a[0:3], v10, v11, a[0:3]
	s_movk_i32 s4, 0x7f
	v_cmp_gt_i16_sdwa s[6:7], v17, s4 src0_sel:BYTE_0 src1_sel:DWORD
	s_mov_b64 s[4:5], 0
                                        ; implicit-def: $sgpr10
	s_and_saveexec_b64 s[8:9], s[6:7]
	s_xor_b64 s[6:7], exec, s[8:9]
	s_cbranch_execnz .LBB50_3169
; %bb.1121:
	s_or_saveexec_b64 s[6:7], s[6:7]
	v_mov_b32_e32 v10, s10
	s_xor_b64 exec, exec, s[6:7]
	s_cbranch_execnz .LBB50_3172
.LBB50_1122:
	s_or_b64 exec, exec, s[6:7]
	s_and_saveexec_b64 s[6:7], s[4:5]
	s_cbranch_execz .LBB50_1124
.LBB50_1123:
	v_and_b32_e32 v10, 7, v17
	v_ffbh_u32_e32 v12, v10
	v_min_u32_e32 v12, 32, v12
	v_lshrrev_b16_e32 v11, 3, v17
	v_subrev_u32_e32 v14, 28, v12
	v_and_b32_e32 v11, 15, v11
	v_lshlrev_b32_e32 v14, v14, v17
	v_sub_u32_e32 v12, 29, v12
	v_and_b32_e32 v14, 7, v14
	v_cmp_eq_u16_e32 vcc, 0, v11
	v_cndmask_b32_e32 v10, v10, v14, vcc
	v_cndmask_b32_e32 v11, v11, v12, vcc
	v_lshlrev_b32_e32 v12, 24, v17
	v_mov_b32_e32 v14, 0x3b800000
	v_lshlrev_b32_e32 v10, 20, v10
	v_and_b32_e32 v12, 0x80000000, v12
	v_lshl_add_u32 v11, v11, 23, v14
	v_or3_b32 v10, v12, v11, v10
.LBB50_1124:
	s_or_b64 exec, exec, s[6:7]
	s_movk_i32 s4, 0x7f
	v_cmp_gt_i16_sdwa s[6:7], v13, s4 src0_sel:BYTE_0 src1_sel:DWORD
	s_mov_b64 s[4:5], 0
                                        ; implicit-def: $sgpr10
	s_and_saveexec_b64 s[8:9], s[6:7]
	s_xor_b64 s[6:7], exec, s[8:9]
	s_cbranch_execnz .LBB50_3173
; %bb.1125:
	s_or_saveexec_b64 s[6:7], s[6:7]
	v_mov_b32_e32 v11, s10
	s_xor_b64 exec, exec, s[6:7]
	s_cbranch_execnz .LBB50_3176
.LBB50_1126:
	s_or_b64 exec, exec, s[6:7]
	s_and_saveexec_b64 s[6:7], s[4:5]
	s_cbranch_execz .LBB50_1128
.LBB50_1127:
	v_and_b32_e32 v11, 7, v13
	v_ffbh_u32_e32 v14, v11
	v_min_u32_e32 v14, 32, v14
	v_lshrrev_b16_e32 v12, 3, v13
	v_subrev_u32_e32 v15, 28, v14
	v_and_b32_e32 v12, 15, v12
	v_lshlrev_b32_e32 v15, v15, v13
	v_sub_u32_e32 v14, 29, v14
	v_and_b32_e32 v15, 7, v15
	v_cmp_eq_u16_e32 vcc, 0, v12
	v_cndmask_b32_e32 v11, v11, v15, vcc
	v_cndmask_b32_e32 v12, v12, v14, vcc
	v_lshlrev_b32_e32 v14, 24, v13
	v_mov_b32_e32 v15, 0x3b800000
	v_lshlrev_b32_e32 v11, 20, v11
	v_and_b32_e32 v14, 0x80000000, v14
	v_lshl_add_u32 v12, v12, 23, v15
	v_or3_b32 v11, v14, v12, v11
.LBB50_1128:
	s_or_b64 exec, exec, s[6:7]
	s_nop 0
	v_mfma_f32_16x16x4f32 a[0:3], v10, v11, a[0:3]
	v_lshrrev_b32_e32 v11, 8, v17
	s_movk_i32 s4, 0x7f
	v_cmp_gt_i16_sdwa s[6:7], v11, s4 src0_sel:BYTE_0 src1_sel:DWORD
	s_mov_b64 s[4:5], 0
                                        ; implicit-def: $sgpr10
	s_and_saveexec_b64 s[8:9], s[6:7]
	s_xor_b64 s[6:7], exec, s[8:9]
	s_cbranch_execnz .LBB50_3177
; %bb.1129:
	s_or_saveexec_b64 s[6:7], s[6:7]
	v_mov_b32_e32 v10, s10
	s_xor_b64 exec, exec, s[6:7]
	s_cbranch_execnz .LBB50_3180
.LBB50_1130:
	s_or_b64 exec, exec, s[6:7]
	s_and_saveexec_b64 s[6:7], s[4:5]
	s_cbranch_execz .LBB50_1132
.LBB50_1131:
	v_bfe_u32 v10, v17, 8, 3
	v_ffbh_u32_e32 v14, v10
	v_min_u32_e32 v14, 32, v14
	v_lshrrev_b16_e32 v12, 3, v11
	v_subrev_u32_e32 v15, 28, v14
	v_and_b32_e32 v12, 15, v12
	v_lshlrev_b32_e32 v11, v15, v11
	v_sub_u32_e32 v14, 29, v14
	v_and_b32_e32 v11, 7, v11
	v_cmp_eq_u16_e32 vcc, 0, v12
	v_cndmask_b32_e32 v10, v10, v11, vcc
	v_cndmask_b32_e32 v11, v12, v14, vcc
	v_lshlrev_b32_e32 v12, 16, v17
	v_mov_b32_e32 v14, 0x3b800000
	v_lshlrev_b32_e32 v10, 20, v10
	v_and_b32_e32 v12, 0x80000000, v12
	v_lshl_add_u32 v11, v11, 23, v14
	v_or3_b32 v10, v12, v11, v10
.LBB50_1132:
	s_or_b64 exec, exec, s[6:7]
	v_lshrrev_b32_e32 v11, 8, v13
	s_movk_i32 s4, 0x7f
	v_cmp_gt_i16_sdwa s[6:7], v11, s4 src0_sel:BYTE_0 src1_sel:DWORD
	s_mov_b64 s[4:5], 0
                                        ; implicit-def: $sgpr10
	s_and_saveexec_b64 s[8:9], s[6:7]
	s_xor_b64 s[6:7], exec, s[8:9]
	s_cbranch_execnz .LBB50_3181
; %bb.1133:
	s_or_saveexec_b64 s[6:7], s[6:7]
	v_mov_b32_e32 v12, s10
	s_xor_b64 exec, exec, s[6:7]
	s_cbranch_execnz .LBB50_3184
.LBB50_1134:
	s_or_b64 exec, exec, s[6:7]
	s_and_saveexec_b64 s[6:7], s[4:5]
	s_cbranch_execz .LBB50_1136
.LBB50_1135:
	v_bfe_u32 v12, v13, 8, 3
	v_ffbh_u32_e32 v15, v12
	v_min_u32_e32 v15, 32, v15
	v_lshrrev_b16_e32 v14, 3, v11
	v_subrev_u32_e32 v16, 28, v15
	v_and_b32_e32 v14, 15, v14
	v_lshlrev_b32_e32 v11, v16, v11
	v_sub_u32_e32 v15, 29, v15
	v_and_b32_e32 v11, 7, v11
	v_cmp_eq_u16_e32 vcc, 0, v14
	v_cndmask_b32_e32 v11, v12, v11, vcc
	v_cndmask_b32_e32 v12, v14, v15, vcc
	v_lshlrev_b32_e32 v14, 16, v13
	v_mov_b32_e32 v15, 0x3b800000
	v_lshlrev_b32_e32 v11, 20, v11
	v_and_b32_e32 v14, 0x80000000, v14
	v_lshl_add_u32 v12, v12, 23, v15
	v_or3_b32 v12, v14, v12, v11
.LBB50_1136:
	s_or_b64 exec, exec, s[6:7]
	s_nop 0
	v_mfma_f32_16x16x4f32 a[0:3], v10, v12, a[0:3]
	s_movk_i32 s4, 0xff
	v_and_b32_sdwa v11, v17, s4 dst_sel:DWORD dst_unused:UNUSED_PAD src0_sel:WORD_1 src1_sel:DWORD
	s_movk_i32 s4, 0x7f
	v_cmp_lt_i16_e32 vcc, s4, v11
	s_mov_b64 s[4:5], 0
                                        ; implicit-def: $sgpr10
	s_and_saveexec_b64 s[6:7], vcc
	s_xor_b64 s[6:7], exec, s[6:7]
	s_cbranch_execnz .LBB50_3185
; %bb.1137:
	s_or_saveexec_b64 s[6:7], s[6:7]
	v_mov_b32_e32 v10, s10
	s_xor_b64 exec, exec, s[6:7]
	s_cbranch_execnz .LBB50_3188
.LBB50_1138:
	s_or_b64 exec, exec, s[6:7]
	s_and_saveexec_b64 s[6:7], s[4:5]
	s_cbranch_execz .LBB50_1140
.LBB50_1139:
	v_bfe_u32 v10, v17, 16, 3
	v_ffbh_u32_e32 v14, v10
	v_min_u32_e32 v14, 32, v14
	v_lshrrev_b32_e32 v11, 19, v17
	v_subrev_u32_e32 v15, 28, v14
	v_and_b32_e32 v11, 15, v11
	v_lshlrev_b32_sdwa v15, v15, v17 dst_sel:DWORD dst_unused:UNUSED_PAD src0_sel:DWORD src1_sel:WORD_1
	v_bfe_u32 v12, v17, 19, 4
	v_sub_u32_e32 v14, 29, v14
	v_and_b32_e32 v15, 7, v15
	v_cmp_eq_u16_e32 vcc, 0, v11
	v_cndmask_b32_e32 v10, v10, v15, vcc
	v_cndmask_b32_e32 v11, v12, v14, vcc
	v_lshlrev_b32_e32 v12, 8, v17
	v_mov_b32_e32 v14, 0x3b800000
	v_lshlrev_b32_e32 v10, 20, v10
	v_and_b32_e32 v12, 0x80000000, v12
	v_lshl_add_u32 v11, v11, 23, v14
	v_or3_b32 v10, v12, v11, v10
.LBB50_1140:
	s_or_b64 exec, exec, s[6:7]
	s_movk_i32 s4, 0xff
	v_and_b32_sdwa v11, v13, s4 dst_sel:DWORD dst_unused:UNUSED_PAD src0_sel:WORD_1 src1_sel:DWORD
	s_movk_i32 s4, 0x7f
	v_cmp_lt_i16_e32 vcc, s4, v11
	s_mov_b64 s[4:5], 0
                                        ; implicit-def: $sgpr10
	s_and_saveexec_b64 s[6:7], vcc
	s_xor_b64 s[6:7], exec, s[6:7]
	s_cbranch_execnz .LBB50_3189
; %bb.1141:
	s_or_saveexec_b64 s[6:7], s[6:7]
	v_mov_b32_e32 v12, s10
	s_xor_b64 exec, exec, s[6:7]
	s_cbranch_execnz .LBB50_3192
.LBB50_1142:
	s_or_b64 exec, exec, s[6:7]
	s_and_saveexec_b64 s[6:7], s[4:5]
	s_cbranch_execz .LBB50_1144
.LBB50_1143:
	v_bfe_u32 v11, v13, 16, 3
	v_ffbh_u32_e32 v15, v11
	v_min_u32_e32 v15, 32, v15
	v_lshrrev_b32_e32 v12, 19, v13
	v_subrev_u32_e32 v16, 28, v15
	v_and_b32_e32 v12, 15, v12
	v_lshlrev_b32_sdwa v16, v16, v13 dst_sel:DWORD dst_unused:UNUSED_PAD src0_sel:DWORD src1_sel:WORD_1
	v_bfe_u32 v14, v13, 19, 4
	v_sub_u32_e32 v15, 29, v15
	v_and_b32_e32 v16, 7, v16
	v_cmp_eq_u16_e32 vcc, 0, v12
	v_cndmask_b32_e32 v11, v11, v16, vcc
	v_cndmask_b32_e32 v12, v14, v15, vcc
	v_lshlrev_b32_e32 v14, 8, v13
	v_mov_b32_e32 v15, 0x3b800000
	v_lshlrev_b32_e32 v11, 20, v11
	v_and_b32_e32 v14, 0x80000000, v14
	v_lshl_add_u32 v12, v12, 23, v15
	v_or3_b32 v12, v14, v12, v11
.LBB50_1144:
	s_or_b64 exec, exec, s[6:7]
	s_nop 0
	v_mfma_f32_16x16x4f32 a[0:3], v10, v12, a[0:3]
	s_movk_i32 s4, 0x7f
	v_cmp_gt_i16_sdwa s[6:7], v17, s4 src0_sel:BYTE_3 src1_sel:DWORD
	s_mov_b64 s[4:5], 0
                                        ; implicit-def: $sgpr10
	s_and_saveexec_b64 s[8:9], s[6:7]
	s_xor_b64 s[6:7], exec, s[8:9]
	s_cbranch_execnz .LBB50_3193
; %bb.1145:
	s_or_saveexec_b64 s[6:7], s[6:7]
	v_mov_b32_e32 v10, s10
	s_xor_b64 exec, exec, s[6:7]
	s_cbranch_execnz .LBB50_3196
.LBB50_1146:
	s_or_b64 exec, exec, s[6:7]
	s_and_saveexec_b64 s[6:7], s[4:5]
	s_cbranch_execz .LBB50_1148
.LBB50_1147:
	v_bfe_u32 v10, v17, 24, 3
	v_ffbh_u32_e32 v15, v10
	v_min_u32_e32 v15, 32, v15
	v_lshrrev_b32_e32 v12, 27, v17
	v_subrev_u32_e32 v16, 28, v15
	v_and_b32_e32 v12, 15, v12
	v_lshlrev_b32_sdwa v16, v16, v17 dst_sel:DWORD dst_unused:UNUSED_PAD src0_sel:DWORD src1_sel:BYTE_3
	v_bfe_u32 v14, v17, 27, 4
	v_sub_u32_e32 v15, 29, v15
	v_and_b32_e32 v16, 7, v16
	v_cmp_eq_u16_e32 vcc, 0, v12
	v_cndmask_b32_e32 v10, v10, v16, vcc
	v_cndmask_b32_e32 v12, v14, v15, vcc
	v_mov_b32_e32 v14, 0x3b800000
	v_and_b32_e32 v11, 0x80000000, v17
	v_lshlrev_b32_e32 v10, 20, v10
	v_lshl_add_u32 v12, v12, 23, v14
	v_or3_b32 v10, v11, v12, v10
.LBB50_1148:
	s_or_b64 exec, exec, s[6:7]
	s_movk_i32 s4, 0x7f
	v_cmp_gt_i16_sdwa s[6:7], v13, s4 src0_sel:BYTE_3 src1_sel:DWORD
	s_mov_b64 s[4:5], 0
                                        ; implicit-def: $sgpr10
	s_and_saveexec_b64 s[8:9], s[6:7]
	s_xor_b64 s[6:7], exec, s[8:9]
	s_cbranch_execnz .LBB50_3197
; %bb.1149:
	s_or_saveexec_b64 s[6:7], s[6:7]
	v_mov_b32_e32 v11, s10
	s_xor_b64 exec, exec, s[6:7]
	s_cbranch_execnz .LBB50_3200
.LBB50_1150:
	s_or_b64 exec, exec, s[6:7]
	s_and_saveexec_b64 s[6:7], s[4:5]
	s_cbranch_execz .LBB50_1152
.LBB50_1151:
	v_bfe_u32 v11, v13, 24, 3
	v_ffbh_u32_e32 v16, v11
	v_min_u32_e32 v16, 32, v16
	v_lshrrev_b32_e32 v14, 27, v13
	v_subrev_u32_e32 v17, 28, v16
	v_and_b32_e32 v12, 0x80000000, v13
	v_and_b32_e32 v14, 15, v14
	v_bfe_u32 v15, v13, 27, 4
	v_lshlrev_b32_sdwa v13, v17, v13 dst_sel:DWORD dst_unused:UNUSED_PAD src0_sel:DWORD src1_sel:BYTE_3
	v_sub_u32_e32 v16, 29, v16
	v_and_b32_e32 v13, 7, v13
	v_cmp_eq_u16_e32 vcc, 0, v14
	v_cndmask_b32_e32 v11, v11, v13, vcc
	v_cndmask_b32_e32 v13, v15, v16, vcc
	v_mov_b32_e32 v14, 0x3b800000
	v_lshlrev_b32_e32 v11, 20, v11
	v_lshl_add_u32 v13, v13, 23, v14
	v_or3_b32 v11, v12, v13, v11
.LBB50_1152:
	s_or_b64 exec, exec, s[6:7]
	s_nop 0
	v_mfma_f32_16x16x4f32 a[0:3], v10, v11, a[0:3]
	s_movk_i32 s4, 0x7f
	v_cmp_gt_i16_sdwa s[6:7], v6, s4 src0_sel:BYTE_0 src1_sel:DWORD
	s_mov_b64 s[4:5], 0
                                        ; implicit-def: $sgpr10
	s_and_saveexec_b64 s[8:9], s[6:7]
	s_xor_b64 s[6:7], exec, s[8:9]
	s_cbranch_execnz .LBB50_3201
; %bb.1153:
	s_or_saveexec_b64 s[6:7], s[6:7]
	v_mov_b32_e32 v10, s10
	s_xor_b64 exec, exec, s[6:7]
	s_cbranch_execnz .LBB50_3204
.LBB50_1154:
	s_or_b64 exec, exec, s[6:7]
	s_and_saveexec_b64 s[6:7], s[4:5]
	s_cbranch_execz .LBB50_1156
.LBB50_1155:
	v_and_b32_e32 v10, 7, v6
	v_ffbh_u32_e32 v12, v10
	v_min_u32_e32 v12, 32, v12
	v_lshrrev_b16_e32 v11, 3, v6
	v_subrev_u32_e32 v13, 28, v12
	v_and_b32_e32 v11, 15, v11
	v_lshlrev_b32_e32 v13, v13, v6
	v_sub_u32_e32 v12, 29, v12
	v_and_b32_e32 v13, 7, v13
	v_cmp_eq_u16_e32 vcc, 0, v11
	v_cndmask_b32_e32 v10, v10, v13, vcc
	v_cndmask_b32_e32 v11, v11, v12, vcc
	v_lshlrev_b32_e32 v12, 24, v6
	v_mov_b32_e32 v13, 0x3b800000
	v_lshlrev_b32_e32 v10, 20, v10
	v_and_b32_e32 v12, 0x80000000, v12
	v_lshl_add_u32 v11, v11, 23, v13
	v_or3_b32 v10, v12, v11, v10
.LBB50_1156:
	s_or_b64 exec, exec, s[6:7]
	s_movk_i32 s4, 0x7f
	v_cmp_gt_i16_sdwa s[6:7], v2, s4 src0_sel:BYTE_0 src1_sel:DWORD
	s_mov_b64 s[4:5], 0
                                        ; implicit-def: $sgpr10
	s_and_saveexec_b64 s[8:9], s[6:7]
	s_xor_b64 s[6:7], exec, s[8:9]
	s_cbranch_execnz .LBB50_3205
; %bb.1157:
	s_or_saveexec_b64 s[6:7], s[6:7]
	v_mov_b32_e32 v11, s10
	s_xor_b64 exec, exec, s[6:7]
	s_cbranch_execnz .LBB50_3208
.LBB50_1158:
	s_or_b64 exec, exec, s[6:7]
	s_and_saveexec_b64 s[6:7], s[4:5]
	s_cbranch_execz .LBB50_1160
.LBB50_1159:
	v_and_b32_e32 v11, 7, v2
	v_ffbh_u32_e32 v13, v11
	v_min_u32_e32 v13, 32, v13
	v_lshrrev_b16_e32 v12, 3, v2
	v_subrev_u32_e32 v14, 28, v13
	v_and_b32_e32 v12, 15, v12
	v_lshlrev_b32_e32 v14, v14, v2
	v_sub_u32_e32 v13, 29, v13
	v_and_b32_e32 v14, 7, v14
	v_cmp_eq_u16_e32 vcc, 0, v12
	v_cndmask_b32_e32 v11, v11, v14, vcc
	v_cndmask_b32_e32 v12, v12, v13, vcc
	v_lshlrev_b32_e32 v13, 24, v2
	v_mov_b32_e32 v14, 0x3b800000
	v_lshlrev_b32_e32 v11, 20, v11
	v_and_b32_e32 v13, 0x80000000, v13
	v_lshl_add_u32 v12, v12, 23, v14
	v_or3_b32 v11, v13, v12, v11
.LBB50_1160:
	s_or_b64 exec, exec, s[6:7]
	s_nop 0
	v_mfma_f32_16x16x4f32 a[0:3], v10, v11, a[0:3]
	v_lshrrev_b32_e32 v11, 8, v6
	s_movk_i32 s4, 0x7f
	v_cmp_gt_i16_sdwa s[6:7], v11, s4 src0_sel:BYTE_0 src1_sel:DWORD
	s_mov_b64 s[4:5], 0
                                        ; implicit-def: $sgpr10
	s_and_saveexec_b64 s[8:9], s[6:7]
	s_xor_b64 s[6:7], exec, s[8:9]
	s_cbranch_execnz .LBB50_3209
; %bb.1161:
	s_or_saveexec_b64 s[6:7], s[6:7]
	v_mov_b32_e32 v10, s10
	s_xor_b64 exec, exec, s[6:7]
	s_cbranch_execnz .LBB50_3212
.LBB50_1162:
	s_or_b64 exec, exec, s[6:7]
	s_and_saveexec_b64 s[6:7], s[4:5]
	s_cbranch_execz .LBB50_1164
.LBB50_1163:
	v_bfe_u32 v10, v6, 8, 3
	v_ffbh_u32_e32 v13, v10
	v_min_u32_e32 v13, 32, v13
	v_lshrrev_b16_e32 v12, 3, v11
	v_subrev_u32_e32 v14, 28, v13
	v_and_b32_e32 v12, 15, v12
	v_lshlrev_b32_e32 v11, v14, v11
	v_sub_u32_e32 v13, 29, v13
	v_and_b32_e32 v11, 7, v11
	v_cmp_eq_u16_e32 vcc, 0, v12
	v_cndmask_b32_e32 v10, v10, v11, vcc
	v_cndmask_b32_e32 v11, v12, v13, vcc
	v_lshlrev_b32_e32 v12, 16, v6
	v_mov_b32_e32 v13, 0x3b800000
	v_lshlrev_b32_e32 v10, 20, v10
	v_and_b32_e32 v12, 0x80000000, v12
	v_lshl_add_u32 v11, v11, 23, v13
	v_or3_b32 v10, v12, v11, v10
.LBB50_1164:
	s_or_b64 exec, exec, s[6:7]
	v_lshrrev_b32_e32 v11, 8, v2
	s_movk_i32 s4, 0x7f
	v_cmp_gt_i16_sdwa s[6:7], v11, s4 src0_sel:BYTE_0 src1_sel:DWORD
	s_mov_b64 s[4:5], 0
                                        ; implicit-def: $sgpr10
	s_and_saveexec_b64 s[8:9], s[6:7]
	s_xor_b64 s[6:7], exec, s[8:9]
	s_cbranch_execnz .LBB50_3213
; %bb.1165:
	s_or_saveexec_b64 s[6:7], s[6:7]
	v_mov_b32_e32 v12, s10
	s_xor_b64 exec, exec, s[6:7]
	s_cbranch_execnz .LBB50_3216
.LBB50_1166:
	s_or_b64 exec, exec, s[6:7]
	s_and_saveexec_b64 s[6:7], s[4:5]
	s_cbranch_execz .LBB50_1168
.LBB50_1167:
	v_bfe_u32 v12, v2, 8, 3
	v_ffbh_u32_e32 v14, v12
	v_min_u32_e32 v14, 32, v14
	v_lshrrev_b16_e32 v13, 3, v11
	v_subrev_u32_e32 v15, 28, v14
	v_and_b32_e32 v13, 15, v13
	v_lshlrev_b32_e32 v11, v15, v11
	v_sub_u32_e32 v14, 29, v14
	v_and_b32_e32 v11, 7, v11
	v_cmp_eq_u16_e32 vcc, 0, v13
	v_cndmask_b32_e32 v11, v12, v11, vcc
	v_cndmask_b32_e32 v12, v13, v14, vcc
	v_lshlrev_b32_e32 v13, 16, v2
	v_mov_b32_e32 v14, 0x3b800000
	v_lshlrev_b32_e32 v11, 20, v11
	v_and_b32_e32 v13, 0x80000000, v13
	v_lshl_add_u32 v12, v12, 23, v14
	v_or3_b32 v12, v13, v12, v11
.LBB50_1168:
	s_or_b64 exec, exec, s[6:7]
	s_nop 0
	v_mfma_f32_16x16x4f32 a[0:3], v10, v12, a[0:3]
	s_movk_i32 s4, 0xff
	v_and_b32_sdwa v11, v6, s4 dst_sel:DWORD dst_unused:UNUSED_PAD src0_sel:WORD_1 src1_sel:DWORD
	s_movk_i32 s4, 0x7f
	v_cmp_lt_i16_e32 vcc, s4, v11
	s_mov_b64 s[4:5], 0
                                        ; implicit-def: $sgpr10
	s_and_saveexec_b64 s[6:7], vcc
	s_xor_b64 s[6:7], exec, s[6:7]
	s_cbranch_execnz .LBB50_3217
; %bb.1169:
	s_or_saveexec_b64 s[6:7], s[6:7]
	v_mov_b32_e32 v10, s10
	s_xor_b64 exec, exec, s[6:7]
	s_cbranch_execnz .LBB50_3220
.LBB50_1170:
	s_or_b64 exec, exec, s[6:7]
	s_and_saveexec_b64 s[6:7], s[4:5]
	s_cbranch_execz .LBB50_1172
.LBB50_1171:
	v_bfe_u32 v10, v6, 16, 3
	v_ffbh_u32_e32 v13, v10
	v_min_u32_e32 v13, 32, v13
	v_lshrrev_b32_e32 v11, 19, v6
	v_subrev_u32_e32 v14, 28, v13
	v_and_b32_e32 v11, 15, v11
	v_lshlrev_b32_sdwa v14, v14, v6 dst_sel:DWORD dst_unused:UNUSED_PAD src0_sel:DWORD src1_sel:WORD_1
	v_bfe_u32 v12, v6, 19, 4
	v_sub_u32_e32 v13, 29, v13
	v_and_b32_e32 v14, 7, v14
	v_cmp_eq_u16_e32 vcc, 0, v11
	v_cndmask_b32_e32 v10, v10, v14, vcc
	v_cndmask_b32_e32 v11, v12, v13, vcc
	v_lshlrev_b32_e32 v12, 8, v6
	v_mov_b32_e32 v13, 0x3b800000
	v_lshlrev_b32_e32 v10, 20, v10
	v_and_b32_e32 v12, 0x80000000, v12
	v_lshl_add_u32 v11, v11, 23, v13
	v_or3_b32 v10, v12, v11, v10
.LBB50_1172:
	s_or_b64 exec, exec, s[6:7]
	s_movk_i32 s4, 0xff
	v_and_b32_sdwa v11, v2, s4 dst_sel:DWORD dst_unused:UNUSED_PAD src0_sel:WORD_1 src1_sel:DWORD
	s_movk_i32 s4, 0x7f
	v_cmp_lt_i16_e32 vcc, s4, v11
	s_mov_b64 s[4:5], 0
                                        ; implicit-def: $sgpr10
	s_and_saveexec_b64 s[6:7], vcc
	s_xor_b64 s[6:7], exec, s[6:7]
	s_cbranch_execnz .LBB50_3221
; %bb.1173:
	s_or_saveexec_b64 s[6:7], s[6:7]
	v_mov_b32_e32 v12, s10
	s_xor_b64 exec, exec, s[6:7]
	s_cbranch_execnz .LBB50_3224
.LBB50_1174:
	s_or_b64 exec, exec, s[6:7]
	s_and_saveexec_b64 s[6:7], s[4:5]
	s_cbranch_execz .LBB50_1176
.LBB50_1175:
	v_bfe_u32 v11, v2, 16, 3
	v_ffbh_u32_e32 v14, v11
	v_min_u32_e32 v14, 32, v14
	v_lshrrev_b32_e32 v12, 19, v2
	v_subrev_u32_e32 v15, 28, v14
	v_and_b32_e32 v12, 15, v12
	v_lshlrev_b32_sdwa v15, v15, v2 dst_sel:DWORD dst_unused:UNUSED_PAD src0_sel:DWORD src1_sel:WORD_1
	v_bfe_u32 v13, v2, 19, 4
	v_sub_u32_e32 v14, 29, v14
	v_and_b32_e32 v15, 7, v15
	v_cmp_eq_u16_e32 vcc, 0, v12
	v_cndmask_b32_e32 v11, v11, v15, vcc
	v_cndmask_b32_e32 v12, v13, v14, vcc
	v_lshlrev_b32_e32 v13, 8, v2
	v_mov_b32_e32 v14, 0x3b800000
	v_lshlrev_b32_e32 v11, 20, v11
	v_and_b32_e32 v13, 0x80000000, v13
	v_lshl_add_u32 v12, v12, 23, v14
	v_or3_b32 v12, v13, v12, v11
.LBB50_1176:
	s_or_b64 exec, exec, s[6:7]
	s_nop 0
	v_mfma_f32_16x16x4f32 a[0:3], v10, v12, a[0:3]
	s_movk_i32 s4, 0x7f
	v_cmp_gt_i16_sdwa s[6:7], v6, s4 src0_sel:BYTE_3 src1_sel:DWORD
	s_mov_b64 s[4:5], 0
                                        ; implicit-def: $sgpr10
	s_and_saveexec_b64 s[8:9], s[6:7]
	s_xor_b64 s[6:7], exec, s[8:9]
	s_cbranch_execnz .LBB50_3225
; %bb.1177:
	s_or_saveexec_b64 s[6:7], s[6:7]
	v_mov_b32_e32 v10, s10
	s_xor_b64 exec, exec, s[6:7]
	s_cbranch_execnz .LBB50_3228
.LBB50_1178:
	s_or_b64 exec, exec, s[6:7]
	s_and_saveexec_b64 s[6:7], s[4:5]
	s_cbranch_execz .LBB50_1180
.LBB50_1179:
	v_bfe_u32 v10, v6, 24, 3
	v_ffbh_u32_e32 v14, v10
	v_min_u32_e32 v14, 32, v14
	v_lshrrev_b32_e32 v12, 27, v6
	v_subrev_u32_e32 v15, 28, v14
	v_and_b32_e32 v11, 0x80000000, v6
	v_and_b32_e32 v12, 15, v12
	v_bfe_u32 v13, v6, 27, 4
	v_lshlrev_b32_sdwa v6, v15, v6 dst_sel:DWORD dst_unused:UNUSED_PAD src0_sel:DWORD src1_sel:BYTE_3
	v_sub_u32_e32 v14, 29, v14
	v_and_b32_e32 v6, 7, v6
	v_cmp_eq_u16_e32 vcc, 0, v12
	v_cndmask_b32_e32 v6, v10, v6, vcc
	v_cndmask_b32_e32 v10, v13, v14, vcc
	v_mov_b32_e32 v12, 0x3b800000
	v_lshlrev_b32_e32 v6, 20, v6
	v_lshl_add_u32 v10, v10, 23, v12
	v_or3_b32 v10, v11, v10, v6
.LBB50_1180:
	s_or_b64 exec, exec, s[6:7]
	s_movk_i32 s4, 0x7f
	v_cmp_gt_i16_sdwa s[6:7], v2, s4 src0_sel:BYTE_3 src1_sel:DWORD
	s_mov_b64 s[4:5], 0
                                        ; implicit-def: $sgpr10
	s_and_saveexec_b64 s[8:9], s[6:7]
	s_xor_b64 s[6:7], exec, s[8:9]
	s_cbranch_execnz .LBB50_3229
; %bb.1181:
	s_or_saveexec_b64 s[6:7], s[6:7]
	v_mov_b32_e32 v6, s10
	s_xor_b64 exec, exec, s[6:7]
	s_cbranch_execnz .LBB50_3232
.LBB50_1182:
	s_or_b64 exec, exec, s[6:7]
	s_and_saveexec_b64 s[6:7], s[4:5]
	s_cbranch_execz .LBB50_1184
.LBB50_1183:
	v_bfe_u32 v6, v2, 24, 3
	v_ffbh_u32_e32 v14, v6
	v_min_u32_e32 v14, 32, v14
	v_lshrrev_b32_e32 v12, 27, v2
	v_subrev_u32_e32 v15, 28, v14
	v_and_b32_e32 v11, 0x80000000, v2
	v_and_b32_e32 v12, 15, v12
	v_bfe_u32 v13, v2, 27, 4
	v_lshlrev_b32_sdwa v2, v15, v2 dst_sel:DWORD dst_unused:UNUSED_PAD src0_sel:DWORD src1_sel:BYTE_3
	v_sub_u32_e32 v14, 29, v14
	v_and_b32_e32 v2, 7, v2
	v_cmp_eq_u16_e32 vcc, 0, v12
	v_cndmask_b32_e32 v2, v6, v2, vcc
	v_cndmask_b32_e32 v6, v13, v14, vcc
	v_mov_b32_e32 v12, 0x3b800000
	v_lshlrev_b32_e32 v2, 20, v2
	v_lshl_add_u32 v6, v6, 23, v12
	v_or3_b32 v6, v11, v6, v2
.LBB50_1184:
	s_or_b64 exec, exec, s[6:7]
	s_nop 0
	v_mfma_f32_16x16x4f32 a[0:3], v10, v6, a[0:3]
	s_movk_i32 s4, 0x7f
	v_cmp_gt_i16_sdwa s[6:7], v7, s4 src0_sel:BYTE_0 src1_sel:DWORD
	s_mov_b64 s[4:5], 0
                                        ; implicit-def: $sgpr10
	s_and_saveexec_b64 s[8:9], s[6:7]
	s_xor_b64 s[6:7], exec, s[8:9]
	s_cbranch_execnz .LBB50_3233
; %bb.1185:
	s_or_saveexec_b64 s[6:7], s[6:7]
	v_mov_b32_e32 v2, s10
	s_xor_b64 exec, exec, s[6:7]
	s_cbranch_execnz .LBB50_3236
.LBB50_1186:
	s_or_b64 exec, exec, s[6:7]
	s_and_saveexec_b64 s[6:7], s[4:5]
	s_cbranch_execz .LBB50_1188
.LBB50_1187:
	v_and_b32_e32 v2, 7, v7
	v_ffbh_u32_e32 v10, v2
	v_min_u32_e32 v10, 32, v10
	v_lshrrev_b16_e32 v6, 3, v7
	v_subrev_u32_e32 v11, 28, v10
	v_and_b32_e32 v6, 15, v6
	v_lshlrev_b32_e32 v11, v11, v7
	v_sub_u32_e32 v10, 29, v10
	v_and_b32_e32 v11, 7, v11
	v_cmp_eq_u16_e32 vcc, 0, v6
	v_cndmask_b32_e32 v2, v2, v11, vcc
	v_cndmask_b32_e32 v6, v6, v10, vcc
	v_lshlrev_b32_e32 v10, 24, v7
	v_mov_b32_e32 v11, 0x3b800000
	v_lshlrev_b32_e32 v2, 20, v2
	v_and_b32_e32 v10, 0x80000000, v10
	v_lshl_add_u32 v6, v6, 23, v11
	v_or3_b32 v2, v10, v6, v2
.LBB50_1188:
	s_or_b64 exec, exec, s[6:7]
	s_movk_i32 s4, 0x7f
	v_cmp_gt_i16_sdwa s[6:7], v3, s4 src0_sel:BYTE_0 src1_sel:DWORD
	s_mov_b64 s[4:5], 0
                                        ; implicit-def: $sgpr10
	s_and_saveexec_b64 s[8:9], s[6:7]
	s_xor_b64 s[6:7], exec, s[8:9]
	s_cbranch_execnz .LBB50_3237
; %bb.1189:
	s_or_saveexec_b64 s[6:7], s[6:7]
	v_mov_b32_e32 v6, s10
	s_xor_b64 exec, exec, s[6:7]
	s_cbranch_execnz .LBB50_3240
.LBB50_1190:
	s_or_b64 exec, exec, s[6:7]
	s_and_saveexec_b64 s[6:7], s[4:5]
	s_cbranch_execz .LBB50_1192
.LBB50_1191:
	v_and_b32_e32 v6, 7, v3
	v_ffbh_u32_e32 v11, v6
	v_min_u32_e32 v11, 32, v11
	v_lshrrev_b16_e32 v10, 3, v3
	v_subrev_u32_e32 v12, 28, v11
	v_and_b32_e32 v10, 15, v10
	v_lshlrev_b32_e32 v12, v12, v3
	v_sub_u32_e32 v11, 29, v11
	v_and_b32_e32 v12, 7, v12
	v_cmp_eq_u16_e32 vcc, 0, v10
	v_cndmask_b32_e32 v6, v6, v12, vcc
	v_cndmask_b32_e32 v10, v10, v11, vcc
	v_lshlrev_b32_e32 v11, 24, v3
	v_mov_b32_e32 v12, 0x3b800000
	v_lshlrev_b32_e32 v6, 20, v6
	v_and_b32_e32 v11, 0x80000000, v11
	v_lshl_add_u32 v10, v10, 23, v12
	v_or3_b32 v6, v11, v10, v6
.LBB50_1192:
	s_or_b64 exec, exec, s[6:7]
	s_nop 0
	v_mfma_f32_16x16x4f32 a[0:3], v2, v6, a[0:3]
	v_lshrrev_b32_e32 v6, 8, v7
	s_movk_i32 s4, 0x7f
	v_cmp_gt_i16_sdwa s[6:7], v6, s4 src0_sel:BYTE_0 src1_sel:DWORD
	s_mov_b64 s[4:5], 0
                                        ; implicit-def: $sgpr10
	s_and_saveexec_b64 s[8:9], s[6:7]
	s_xor_b64 s[6:7], exec, s[8:9]
	s_cbranch_execnz .LBB50_3241
; %bb.1193:
	s_or_saveexec_b64 s[6:7], s[6:7]
	v_mov_b32_e32 v2, s10
	s_xor_b64 exec, exec, s[6:7]
	s_cbranch_execnz .LBB50_3244
.LBB50_1194:
	s_or_b64 exec, exec, s[6:7]
	s_and_saveexec_b64 s[6:7], s[4:5]
	s_cbranch_execz .LBB50_1196
.LBB50_1195:
	v_bfe_u32 v2, v7, 8, 3
	v_ffbh_u32_e32 v11, v2
	v_min_u32_e32 v11, 32, v11
	v_lshrrev_b16_e32 v10, 3, v6
	v_subrev_u32_e32 v12, 28, v11
	v_and_b32_e32 v10, 15, v10
	v_lshlrev_b32_e32 v6, v12, v6
	v_sub_u32_e32 v11, 29, v11
	v_and_b32_e32 v6, 7, v6
	v_cmp_eq_u16_e32 vcc, 0, v10
	v_cndmask_b32_e32 v2, v2, v6, vcc
	v_cndmask_b32_e32 v6, v10, v11, vcc
	v_lshlrev_b32_e32 v10, 16, v7
	v_mov_b32_e32 v11, 0x3b800000
	v_lshlrev_b32_e32 v2, 20, v2
	v_and_b32_e32 v10, 0x80000000, v10
	v_lshl_add_u32 v6, v6, 23, v11
	v_or3_b32 v2, v10, v6, v2
.LBB50_1196:
	s_or_b64 exec, exec, s[6:7]
	v_lshrrev_b32_e32 v6, 8, v3
	s_movk_i32 s4, 0x7f
	v_cmp_gt_i16_sdwa s[6:7], v6, s4 src0_sel:BYTE_0 src1_sel:DWORD
	s_mov_b64 s[4:5], 0
                                        ; implicit-def: $sgpr10
	s_and_saveexec_b64 s[8:9], s[6:7]
	s_xor_b64 s[6:7], exec, s[8:9]
	s_cbranch_execnz .LBB50_3245
; %bb.1197:
	s_or_saveexec_b64 s[6:7], s[6:7]
	v_mov_b32_e32 v10, s10
	s_xor_b64 exec, exec, s[6:7]
	s_cbranch_execnz .LBB50_3248
.LBB50_1198:
	s_or_b64 exec, exec, s[6:7]
	s_and_saveexec_b64 s[6:7], s[4:5]
	s_cbranch_execz .LBB50_1200
.LBB50_1199:
	v_bfe_u32 v10, v3, 8, 3
	v_ffbh_u32_e32 v12, v10
	v_min_u32_e32 v12, 32, v12
	v_lshrrev_b16_e32 v11, 3, v6
	v_subrev_u32_e32 v13, 28, v12
	v_and_b32_e32 v11, 15, v11
	v_lshlrev_b32_e32 v6, v13, v6
	v_sub_u32_e32 v12, 29, v12
	v_and_b32_e32 v6, 7, v6
	v_cmp_eq_u16_e32 vcc, 0, v11
	v_cndmask_b32_e32 v6, v10, v6, vcc
	v_cndmask_b32_e32 v10, v11, v12, vcc
	v_lshlrev_b32_e32 v11, 16, v3
	v_mov_b32_e32 v12, 0x3b800000
	v_lshlrev_b32_e32 v6, 20, v6
	v_and_b32_e32 v11, 0x80000000, v11
	v_lshl_add_u32 v10, v10, 23, v12
	v_or3_b32 v10, v11, v10, v6
.LBB50_1200:
	s_or_b64 exec, exec, s[6:7]
	s_nop 0
	v_mfma_f32_16x16x4f32 a[0:3], v2, v10, a[0:3]
	s_movk_i32 s4, 0xff
	v_and_b32_sdwa v6, v7, s4 dst_sel:DWORD dst_unused:UNUSED_PAD src0_sel:WORD_1 src1_sel:DWORD
	s_movk_i32 s4, 0x7f
	v_cmp_lt_i16_e32 vcc, s4, v6
	s_mov_b64 s[4:5], 0
                                        ; implicit-def: $sgpr10
	s_and_saveexec_b64 s[6:7], vcc
	s_xor_b64 s[6:7], exec, s[6:7]
	s_cbranch_execnz .LBB50_3249
; %bb.1201:
	s_or_saveexec_b64 s[6:7], s[6:7]
	v_mov_b32_e32 v2, s10
	s_xor_b64 exec, exec, s[6:7]
	s_cbranch_execnz .LBB50_3252
.LBB50_1202:
	s_or_b64 exec, exec, s[6:7]
	s_and_saveexec_b64 s[6:7], s[4:5]
	s_cbranch_execz .LBB50_1204
.LBB50_1203:
	v_bfe_u32 v2, v7, 16, 3
	v_ffbh_u32_e32 v11, v2
	v_min_u32_e32 v11, 32, v11
	v_lshrrev_b32_e32 v6, 19, v7
	v_subrev_u32_e32 v12, 28, v11
	v_and_b32_e32 v6, 15, v6
	v_lshlrev_b32_sdwa v12, v12, v7 dst_sel:DWORD dst_unused:UNUSED_PAD src0_sel:DWORD src1_sel:WORD_1
	v_bfe_u32 v10, v7, 19, 4
	v_sub_u32_e32 v11, 29, v11
	v_and_b32_e32 v12, 7, v12
	v_cmp_eq_u16_e32 vcc, 0, v6
	v_cndmask_b32_e32 v2, v2, v12, vcc
	v_cndmask_b32_e32 v6, v10, v11, vcc
	v_lshlrev_b32_e32 v10, 8, v7
	v_mov_b32_e32 v11, 0x3b800000
	v_lshlrev_b32_e32 v2, 20, v2
	v_and_b32_e32 v10, 0x80000000, v10
	v_lshl_add_u32 v6, v6, 23, v11
	v_or3_b32 v2, v10, v6, v2
.LBB50_1204:
	s_or_b64 exec, exec, s[6:7]
	s_movk_i32 s4, 0xff
	v_and_b32_sdwa v6, v3, s4 dst_sel:DWORD dst_unused:UNUSED_PAD src0_sel:WORD_1 src1_sel:DWORD
	s_movk_i32 s4, 0x7f
	v_cmp_lt_i16_e32 vcc, s4, v6
	s_mov_b64 s[4:5], 0
                                        ; implicit-def: $sgpr10
	s_and_saveexec_b64 s[6:7], vcc
	s_xor_b64 s[6:7], exec, s[6:7]
	s_cbranch_execnz .LBB50_3253
; %bb.1205:
	s_or_saveexec_b64 s[6:7], s[6:7]
	v_mov_b32_e32 v10, s10
	s_xor_b64 exec, exec, s[6:7]
	s_cbranch_execnz .LBB50_3256
.LBB50_1206:
	s_or_b64 exec, exec, s[6:7]
	s_and_saveexec_b64 s[6:7], s[4:5]
	s_cbranch_execz .LBB50_1208
.LBB50_1207:
	v_bfe_u32 v6, v3, 16, 3
	v_ffbh_u32_e32 v12, v6
	v_min_u32_e32 v12, 32, v12
	v_lshrrev_b32_e32 v10, 19, v3
	v_subrev_u32_e32 v13, 28, v12
	v_and_b32_e32 v10, 15, v10
	v_lshlrev_b32_sdwa v13, v13, v3 dst_sel:DWORD dst_unused:UNUSED_PAD src0_sel:DWORD src1_sel:WORD_1
	v_bfe_u32 v11, v3, 19, 4
	v_sub_u32_e32 v12, 29, v12
	v_and_b32_e32 v13, 7, v13
	v_cmp_eq_u16_e32 vcc, 0, v10
	v_cndmask_b32_e32 v6, v6, v13, vcc
	v_cndmask_b32_e32 v10, v11, v12, vcc
	v_lshlrev_b32_e32 v11, 8, v3
	v_mov_b32_e32 v12, 0x3b800000
	v_lshlrev_b32_e32 v6, 20, v6
	v_and_b32_e32 v11, 0x80000000, v11
	v_lshl_add_u32 v10, v10, 23, v12
	v_or3_b32 v10, v11, v10, v6
.LBB50_1208:
	s_or_b64 exec, exec, s[6:7]
	s_nop 0
	v_mfma_f32_16x16x4f32 a[0:3], v2, v10, a[0:3]
	s_movk_i32 s4, 0x7f
	v_cmp_gt_i16_sdwa s[6:7], v7, s4 src0_sel:BYTE_3 src1_sel:DWORD
	s_mov_b64 s[4:5], 0
                                        ; implicit-def: $sgpr10
	s_and_saveexec_b64 s[8:9], s[6:7]
	s_xor_b64 s[6:7], exec, s[8:9]
	s_cbranch_execnz .LBB50_3257
; %bb.1209:
	s_or_saveexec_b64 s[6:7], s[6:7]
	v_mov_b32_e32 v2, s10
	s_xor_b64 exec, exec, s[6:7]
	s_cbranch_execnz .LBB50_3260
.LBB50_1210:
	s_or_b64 exec, exec, s[6:7]
	s_and_saveexec_b64 s[6:7], s[4:5]
	s_cbranch_execz .LBB50_1212
.LBB50_1211:
	v_bfe_u32 v2, v7, 24, 3
	v_ffbh_u32_e32 v12, v2
	v_min_u32_e32 v12, 32, v12
	v_lshrrev_b32_e32 v10, 27, v7
	v_subrev_u32_e32 v13, 28, v12
	v_and_b32_e32 v6, 0x80000000, v7
	v_and_b32_e32 v10, 15, v10
	v_bfe_u32 v11, v7, 27, 4
	v_lshlrev_b32_sdwa v7, v13, v7 dst_sel:DWORD dst_unused:UNUSED_PAD src0_sel:DWORD src1_sel:BYTE_3
	v_sub_u32_e32 v12, 29, v12
	v_and_b32_e32 v7, 7, v7
	v_cmp_eq_u16_e32 vcc, 0, v10
	v_cndmask_b32_e32 v2, v2, v7, vcc
	v_cndmask_b32_e32 v7, v11, v12, vcc
	v_mov_b32_e32 v10, 0x3b800000
	v_lshlrev_b32_e32 v2, 20, v2
	v_lshl_add_u32 v7, v7, 23, v10
	v_or3_b32 v2, v6, v7, v2
.LBB50_1212:
	s_or_b64 exec, exec, s[6:7]
	s_movk_i32 s4, 0x7f
	v_cmp_gt_i16_sdwa s[6:7], v3, s4 src0_sel:BYTE_3 src1_sel:DWORD
	s_mov_b64 s[4:5], 0
                                        ; implicit-def: $sgpr10
	s_and_saveexec_b64 s[8:9], s[6:7]
	s_xor_b64 s[6:7], exec, s[8:9]
	s_cbranch_execnz .LBB50_3261
; %bb.1213:
	s_or_saveexec_b64 s[6:7], s[6:7]
	v_mov_b32_e32 v6, s10
	s_xor_b64 exec, exec, s[6:7]
	s_cbranch_execnz .LBB50_3264
.LBB50_1214:
	s_or_b64 exec, exec, s[6:7]
	s_and_saveexec_b64 s[6:7], s[4:5]
	s_cbranch_execz .LBB50_1216
.LBB50_1215:
	v_bfe_u32 v6, v3, 24, 3
	v_ffbh_u32_e32 v12, v6
	v_min_u32_e32 v12, 32, v12
	v_lshrrev_b32_e32 v10, 27, v3
	v_subrev_u32_e32 v13, 28, v12
	v_and_b32_e32 v7, 0x80000000, v3
	v_and_b32_e32 v10, 15, v10
	v_bfe_u32 v11, v3, 27, 4
	v_lshlrev_b32_sdwa v3, v13, v3 dst_sel:DWORD dst_unused:UNUSED_PAD src0_sel:DWORD src1_sel:BYTE_3
	v_sub_u32_e32 v12, 29, v12
	v_and_b32_e32 v3, 7, v3
	v_cmp_eq_u16_e32 vcc, 0, v10
	v_cndmask_b32_e32 v3, v6, v3, vcc
	v_cndmask_b32_e32 v6, v11, v12, vcc
	v_mov_b32_e32 v10, 0x3b800000
	v_lshlrev_b32_e32 v3, 20, v3
	v_lshl_add_u32 v6, v6, 23, v10
	v_or3_b32 v6, v7, v6, v3
.LBB50_1216:
	s_or_b64 exec, exec, s[6:7]
	s_nop 0
	v_mfma_f32_16x16x4f32 a[0:3], v2, v6, a[0:3]
	s_movk_i32 s4, 0x7f
	v_cmp_gt_i16_sdwa s[6:7], v8, s4 src0_sel:BYTE_0 src1_sel:DWORD
	s_mov_b64 s[4:5], 0
                                        ; implicit-def: $sgpr10
	s_and_saveexec_b64 s[8:9], s[6:7]
	s_xor_b64 s[6:7], exec, s[8:9]
	s_cbranch_execnz .LBB50_3265
; %bb.1217:
	s_or_saveexec_b64 s[6:7], s[6:7]
	v_mov_b32_e32 v2, s10
	s_xor_b64 exec, exec, s[6:7]
	s_cbranch_execnz .LBB50_3268
.LBB50_1218:
	s_or_b64 exec, exec, s[6:7]
	s_and_saveexec_b64 s[6:7], s[4:5]
	s_cbranch_execz .LBB50_1220
.LBB50_1219:
	v_and_b32_e32 v2, 7, v8
	v_ffbh_u32_e32 v6, v2
	v_min_u32_e32 v6, 32, v6
	v_lshrrev_b16_e32 v3, 3, v8
	v_subrev_u32_e32 v7, 28, v6
	v_and_b32_e32 v3, 15, v3
	v_lshlrev_b32_e32 v7, v7, v8
	v_sub_u32_e32 v6, 29, v6
	v_and_b32_e32 v7, 7, v7
	v_cmp_eq_u16_e32 vcc, 0, v3
	v_cndmask_b32_e32 v2, v2, v7, vcc
	v_cndmask_b32_e32 v3, v3, v6, vcc
	v_lshlrev_b32_e32 v6, 24, v8
	v_mov_b32_e32 v7, 0x3b800000
	v_lshlrev_b32_e32 v2, 20, v2
	v_and_b32_e32 v6, 0x80000000, v6
	v_lshl_add_u32 v3, v3, 23, v7
	v_or3_b32 v2, v6, v3, v2
.LBB50_1220:
	s_or_b64 exec, exec, s[6:7]
	s_movk_i32 s4, 0x7f
	v_cmp_gt_i16_sdwa s[6:7], v4, s4 src0_sel:BYTE_0 src1_sel:DWORD
	s_mov_b64 s[4:5], 0
                                        ; implicit-def: $sgpr10
	s_and_saveexec_b64 s[8:9], s[6:7]
	s_xor_b64 s[6:7], exec, s[8:9]
	s_cbranch_execnz .LBB50_3269
; %bb.1221:
	s_or_saveexec_b64 s[6:7], s[6:7]
	v_mov_b32_e32 v3, s10
	s_xor_b64 exec, exec, s[6:7]
	s_cbranch_execnz .LBB50_3272
.LBB50_1222:
	s_or_b64 exec, exec, s[6:7]
	s_and_saveexec_b64 s[6:7], s[4:5]
	s_cbranch_execz .LBB50_1224
.LBB50_1223:
	v_and_b32_e32 v3, 7, v4
	v_ffbh_u32_e32 v7, v3
	v_min_u32_e32 v7, 32, v7
	v_lshrrev_b16_e32 v6, 3, v4
	v_subrev_u32_e32 v10, 28, v7
	v_and_b32_e32 v6, 15, v6
	v_lshlrev_b32_e32 v10, v10, v4
	v_sub_u32_e32 v7, 29, v7
	v_and_b32_e32 v10, 7, v10
	v_cmp_eq_u16_e32 vcc, 0, v6
	v_cndmask_b32_e32 v3, v3, v10, vcc
	v_cndmask_b32_e32 v6, v6, v7, vcc
	v_lshlrev_b32_e32 v7, 24, v4
	v_mov_b32_e32 v10, 0x3b800000
	v_lshlrev_b32_e32 v3, 20, v3
	v_and_b32_e32 v7, 0x80000000, v7
	v_lshl_add_u32 v6, v6, 23, v10
	v_or3_b32 v3, v7, v6, v3
.LBB50_1224:
	s_or_b64 exec, exec, s[6:7]
	s_nop 0
	v_mfma_f32_16x16x4f32 a[0:3], v2, v3, a[0:3]
	v_lshrrev_b32_e32 v3, 8, v8
	s_movk_i32 s4, 0x7f
	v_cmp_gt_i16_sdwa s[6:7], v3, s4 src0_sel:BYTE_0 src1_sel:DWORD
	s_mov_b64 s[4:5], 0
                                        ; implicit-def: $sgpr10
	s_and_saveexec_b64 s[8:9], s[6:7]
	s_xor_b64 s[6:7], exec, s[8:9]
	s_cbranch_execnz .LBB50_3273
; %bb.1225:
	s_or_saveexec_b64 s[6:7], s[6:7]
	v_mov_b32_e32 v2, s10
	s_xor_b64 exec, exec, s[6:7]
	s_cbranch_execnz .LBB50_3276
.LBB50_1226:
	s_or_b64 exec, exec, s[6:7]
	s_and_saveexec_b64 s[6:7], s[4:5]
	s_cbranch_execz .LBB50_1228
.LBB50_1227:
	v_bfe_u32 v2, v8, 8, 3
	v_ffbh_u32_e32 v7, v2
	v_min_u32_e32 v7, 32, v7
	v_lshrrev_b16_e32 v6, 3, v3
	v_subrev_u32_e32 v10, 28, v7
	v_and_b32_e32 v6, 15, v6
	v_lshlrev_b32_e32 v3, v10, v3
	v_sub_u32_e32 v7, 29, v7
	v_and_b32_e32 v3, 7, v3
	v_cmp_eq_u16_e32 vcc, 0, v6
	v_cndmask_b32_e32 v2, v2, v3, vcc
	v_cndmask_b32_e32 v3, v6, v7, vcc
	v_lshlrev_b32_e32 v6, 16, v8
	v_mov_b32_e32 v7, 0x3b800000
	v_lshlrev_b32_e32 v2, 20, v2
	v_and_b32_e32 v6, 0x80000000, v6
	v_lshl_add_u32 v3, v3, 23, v7
	v_or3_b32 v2, v6, v3, v2
.LBB50_1228:
	s_or_b64 exec, exec, s[6:7]
	v_lshrrev_b32_e32 v3, 8, v4
	s_movk_i32 s4, 0x7f
	v_cmp_gt_i16_sdwa s[6:7], v3, s4 src0_sel:BYTE_0 src1_sel:DWORD
	s_mov_b64 s[4:5], 0
                                        ; implicit-def: $sgpr10
	s_and_saveexec_b64 s[8:9], s[6:7]
	s_xor_b64 s[6:7], exec, s[8:9]
	s_cbranch_execnz .LBB50_3277
; %bb.1229:
	s_or_saveexec_b64 s[6:7], s[6:7]
	v_mov_b32_e32 v6, s10
	s_xor_b64 exec, exec, s[6:7]
	s_cbranch_execnz .LBB50_3280
.LBB50_1230:
	s_or_b64 exec, exec, s[6:7]
	s_and_saveexec_b64 s[6:7], s[4:5]
	s_cbranch_execz .LBB50_1232
.LBB50_1231:
	v_bfe_u32 v6, v4, 8, 3
	v_ffbh_u32_e32 v10, v6
	v_min_u32_e32 v10, 32, v10
	v_lshrrev_b16_e32 v7, 3, v3
	v_subrev_u32_e32 v11, 28, v10
	v_and_b32_e32 v7, 15, v7
	v_lshlrev_b32_e32 v3, v11, v3
	v_sub_u32_e32 v10, 29, v10
	v_and_b32_e32 v3, 7, v3
	v_cmp_eq_u16_e32 vcc, 0, v7
	v_cndmask_b32_e32 v3, v6, v3, vcc
	v_cndmask_b32_e32 v6, v7, v10, vcc
	v_lshlrev_b32_e32 v7, 16, v4
	v_mov_b32_e32 v10, 0x3b800000
	v_lshlrev_b32_e32 v3, 20, v3
	v_and_b32_e32 v7, 0x80000000, v7
	v_lshl_add_u32 v6, v6, 23, v10
	v_or3_b32 v6, v7, v6, v3
.LBB50_1232:
	s_or_b64 exec, exec, s[6:7]
	s_nop 0
	v_mfma_f32_16x16x4f32 a[0:3], v2, v6, a[0:3]
	s_movk_i32 s4, 0xff
	v_and_b32_sdwa v3, v8, s4 dst_sel:DWORD dst_unused:UNUSED_PAD src0_sel:WORD_1 src1_sel:DWORD
	s_movk_i32 s4, 0x7f
	v_cmp_lt_i16_e32 vcc, s4, v3
	s_mov_b64 s[4:5], 0
                                        ; implicit-def: $sgpr10
	s_and_saveexec_b64 s[6:7], vcc
	s_xor_b64 s[6:7], exec, s[6:7]
	s_cbranch_execnz .LBB50_3281
; %bb.1233:
	s_or_saveexec_b64 s[6:7], s[6:7]
	v_mov_b32_e32 v2, s10
	s_xor_b64 exec, exec, s[6:7]
	s_cbranch_execnz .LBB50_3284
.LBB50_1234:
	s_or_b64 exec, exec, s[6:7]
	s_and_saveexec_b64 s[6:7], s[4:5]
	s_cbranch_execz .LBB50_1236
.LBB50_1235:
	v_bfe_u32 v2, v8, 16, 3
	v_ffbh_u32_e32 v7, v2
	v_min_u32_e32 v7, 32, v7
	v_lshrrev_b32_e32 v3, 19, v8
	v_subrev_u32_e32 v10, 28, v7
	v_and_b32_e32 v3, 15, v3
	v_lshlrev_b32_sdwa v10, v10, v8 dst_sel:DWORD dst_unused:UNUSED_PAD src0_sel:DWORD src1_sel:WORD_1
	v_bfe_u32 v6, v8, 19, 4
	v_sub_u32_e32 v7, 29, v7
	v_and_b32_e32 v10, 7, v10
	v_cmp_eq_u16_e32 vcc, 0, v3
	v_cndmask_b32_e32 v2, v2, v10, vcc
	v_cndmask_b32_e32 v3, v6, v7, vcc
	v_lshlrev_b32_e32 v6, 8, v8
	v_mov_b32_e32 v7, 0x3b800000
	v_lshlrev_b32_e32 v2, 20, v2
	v_and_b32_e32 v6, 0x80000000, v6
	v_lshl_add_u32 v3, v3, 23, v7
	v_or3_b32 v2, v6, v3, v2
.LBB50_1236:
	s_or_b64 exec, exec, s[6:7]
	s_movk_i32 s4, 0xff
	v_and_b32_sdwa v3, v4, s4 dst_sel:DWORD dst_unused:UNUSED_PAD src0_sel:WORD_1 src1_sel:DWORD
	s_movk_i32 s4, 0x7f
	v_cmp_lt_i16_e32 vcc, s4, v3
	s_mov_b64 s[4:5], 0
                                        ; implicit-def: $sgpr10
	s_and_saveexec_b64 s[6:7], vcc
	s_xor_b64 s[6:7], exec, s[6:7]
	s_cbranch_execnz .LBB50_3285
; %bb.1237:
	s_or_saveexec_b64 s[6:7], s[6:7]
	v_mov_b32_e32 v6, s10
	s_xor_b64 exec, exec, s[6:7]
	s_cbranch_execnz .LBB50_3288
.LBB50_1238:
	s_or_b64 exec, exec, s[6:7]
	s_and_saveexec_b64 s[6:7], s[4:5]
	s_cbranch_execz .LBB50_1240
.LBB50_1239:
	v_bfe_u32 v3, v4, 16, 3
	v_ffbh_u32_e32 v10, v3
	v_min_u32_e32 v10, 32, v10
	v_lshrrev_b32_e32 v6, 19, v4
	v_subrev_u32_e32 v11, 28, v10
	v_and_b32_e32 v6, 15, v6
	v_lshlrev_b32_sdwa v11, v11, v4 dst_sel:DWORD dst_unused:UNUSED_PAD src0_sel:DWORD src1_sel:WORD_1
	v_bfe_u32 v7, v4, 19, 4
	v_sub_u32_e32 v10, 29, v10
	v_and_b32_e32 v11, 7, v11
	v_cmp_eq_u16_e32 vcc, 0, v6
	v_cndmask_b32_e32 v3, v3, v11, vcc
	v_cndmask_b32_e32 v6, v7, v10, vcc
	v_lshlrev_b32_e32 v7, 8, v4
	v_mov_b32_e32 v10, 0x3b800000
	v_lshlrev_b32_e32 v3, 20, v3
	v_and_b32_e32 v7, 0x80000000, v7
	v_lshl_add_u32 v6, v6, 23, v10
	v_or3_b32 v6, v7, v6, v3
.LBB50_1240:
	s_or_b64 exec, exec, s[6:7]
	s_nop 0
	v_mfma_f32_16x16x4f32 a[0:3], v2, v6, a[0:3]
	s_movk_i32 s4, 0x7f
	v_cmp_gt_i16_sdwa s[6:7], v8, s4 src0_sel:BYTE_3 src1_sel:DWORD
	s_mov_b64 s[4:5], 0
                                        ; implicit-def: $sgpr10
	s_and_saveexec_b64 s[8:9], s[6:7]
	s_xor_b64 s[6:7], exec, s[8:9]
	s_cbranch_execnz .LBB50_3289
; %bb.1241:
	s_or_saveexec_b64 s[6:7], s[6:7]
	v_mov_b32_e32 v2, s10
	s_xor_b64 exec, exec, s[6:7]
	s_cbranch_execnz .LBB50_3292
.LBB50_1242:
	s_or_b64 exec, exec, s[6:7]
	s_and_saveexec_b64 s[6:7], s[4:5]
	s_cbranch_execz .LBB50_1244
.LBB50_1243:
	v_bfe_u32 v2, v8, 24, 3
	v_ffbh_u32_e32 v10, v2
	v_min_u32_e32 v10, 32, v10
	v_lshrrev_b32_e32 v6, 27, v8
	v_subrev_u32_e32 v11, 28, v10
	v_and_b32_e32 v3, 0x80000000, v8
	v_and_b32_e32 v6, 15, v6
	v_bfe_u32 v7, v8, 27, 4
	v_lshlrev_b32_sdwa v8, v11, v8 dst_sel:DWORD dst_unused:UNUSED_PAD src0_sel:DWORD src1_sel:BYTE_3
	v_sub_u32_e32 v10, 29, v10
	v_and_b32_e32 v8, 7, v8
	v_cmp_eq_u16_e32 vcc, 0, v6
	v_cndmask_b32_e32 v2, v2, v8, vcc
	v_cndmask_b32_e32 v6, v7, v10, vcc
	v_mov_b32_e32 v7, 0x3b800000
	v_lshlrev_b32_e32 v2, 20, v2
	v_lshl_add_u32 v6, v6, 23, v7
	v_or3_b32 v2, v3, v6, v2
.LBB50_1244:
	s_or_b64 exec, exec, s[6:7]
	s_movk_i32 s4, 0x7f
	v_cmp_gt_i16_sdwa s[6:7], v4, s4 src0_sel:BYTE_3 src1_sel:DWORD
	s_mov_b64 s[4:5], 0
                                        ; implicit-def: $sgpr10
	s_and_saveexec_b64 s[8:9], s[6:7]
	s_xor_b64 s[6:7], exec, s[8:9]
	s_cbranch_execnz .LBB50_3293
; %bb.1245:
	s_or_saveexec_b64 s[6:7], s[6:7]
	v_mov_b32_e32 v3, s10
	s_xor_b64 exec, exec, s[6:7]
	s_cbranch_execnz .LBB50_3296
.LBB50_1246:
	s_or_b64 exec, exec, s[6:7]
	s_and_saveexec_b64 s[6:7], s[4:5]
	s_cbranch_execz .LBB50_1248
.LBB50_1247:
	v_bfe_u32 v3, v4, 24, 3
	v_ffbh_u32_e32 v10, v3
	v_min_u32_e32 v10, 32, v10
	v_lshrrev_b32_e32 v7, 27, v4
	v_subrev_u32_e32 v11, 28, v10
	v_and_b32_e32 v6, 0x80000000, v4
	v_and_b32_e32 v7, 15, v7
	v_bfe_u32 v8, v4, 27, 4
	v_lshlrev_b32_sdwa v4, v11, v4 dst_sel:DWORD dst_unused:UNUSED_PAD src0_sel:DWORD src1_sel:BYTE_3
	v_sub_u32_e32 v10, 29, v10
	v_and_b32_e32 v4, 7, v4
	v_cmp_eq_u16_e32 vcc, 0, v7
	v_cndmask_b32_e32 v3, v3, v4, vcc
	v_cndmask_b32_e32 v4, v8, v10, vcc
	v_mov_b32_e32 v7, 0x3b800000
	v_lshlrev_b32_e32 v3, 20, v3
	v_lshl_add_u32 v4, v4, 23, v7
	v_or3_b32 v3, v6, v4, v3
.LBB50_1248:
	s_or_b64 exec, exec, s[6:7]
	s_nop 0
	v_mfma_f32_16x16x4f32 a[0:3], v2, v3, a[0:3]
	s_movk_i32 s4, 0x7f
	v_cmp_gt_i16_sdwa s[6:7], v9, s4 src0_sel:BYTE_0 src1_sel:DWORD
	s_mov_b64 s[4:5], 0
                                        ; implicit-def: $sgpr10
	s_and_saveexec_b64 s[8:9], s[6:7]
	s_xor_b64 s[6:7], exec, s[8:9]
	s_cbranch_execnz .LBB50_3297
; %bb.1249:
	s_or_saveexec_b64 s[6:7], s[6:7]
	v_mov_b32_e32 v2, s10
	s_xor_b64 exec, exec, s[6:7]
	s_cbranch_execnz .LBB50_3300
.LBB50_1250:
	s_or_b64 exec, exec, s[6:7]
	s_and_saveexec_b64 s[6:7], s[4:5]
	s_cbranch_execz .LBB50_1252
.LBB50_1251:
	v_mov_b32_e32 v2, 8
	v_and_b32_e32 v3, 7, v9
	v_lshrrev_b32_sdwa v2, v2, v9 dst_sel:BYTE_1 dst_unused:UNUSED_PAD src0_sel:DWORD src1_sel:DWORD
	v_ffbh_u32_e32 v4, v3
	v_or_b32_sdwa v2, v9, v2 dst_sel:DWORD dst_unused:UNUSED_PAD src0_sel:BYTE_0 src1_sel:DWORD
	v_min_u32_e32 v4, 32, v4
	v_lshrrev_b16_e32 v2, 3, v2
	v_subrev_u32_e32 v6, 28, v4
	v_and_b32_e32 v2, 15, v2
	v_lshlrev_b32_e32 v6, v6, v9
	v_sub_u32_e32 v4, 29, v4
	v_and_b32_e32 v6, 7, v6
	v_cmp_eq_u16_e32 vcc, 0, v2
	v_cndmask_b32_e32 v3, v3, v6, vcc
	v_cndmask_b32_e32 v2, v2, v4, vcc
	v_lshlrev_b32_e32 v4, 24, v9
	v_mov_b32_e32 v6, 0x3b800000
	v_lshlrev_b32_e32 v3, 20, v3
	v_and_b32_e32 v4, 0x80000000, v4
	v_lshl_add_u32 v2, v2, 23, v6
	v_or3_b32 v2, v4, v2, v3
.LBB50_1252:
	s_or_b64 exec, exec, s[6:7]
	s_movk_i32 s4, 0x7f
	v_cmp_gt_i16_sdwa s[6:7], v5, s4 src0_sel:BYTE_0 src1_sel:DWORD
	s_mov_b64 s[4:5], 0
                                        ; implicit-def: $sgpr10
	s_and_saveexec_b64 s[8:9], s[6:7]
	s_xor_b64 s[6:7], exec, s[8:9]
	s_cbranch_execnz .LBB50_3301
; %bb.1253:
	s_or_saveexec_b64 s[6:7], s[6:7]
	v_mov_b32_e32 v3, s10
	s_xor_b64 exec, exec, s[6:7]
	s_cbranch_execnz .LBB50_3304
.LBB50_1254:
	s_or_b64 exec, exec, s[6:7]
	s_and_saveexec_b64 s[6:7], s[4:5]
	s_cbranch_execz .LBB50_1256
.LBB50_1255:
	v_mov_b32_e32 v3, 8
	v_and_b32_e32 v4, 7, v5
	v_lshrrev_b32_sdwa v3, v3, v5 dst_sel:BYTE_1 dst_unused:UNUSED_PAD src0_sel:DWORD src1_sel:DWORD
	v_ffbh_u32_e32 v6, v4
	v_or_b32_sdwa v3, v5, v3 dst_sel:DWORD dst_unused:UNUSED_PAD src0_sel:BYTE_0 src1_sel:DWORD
	v_min_u32_e32 v6, 32, v6
	v_lshrrev_b16_e32 v3, 3, v3
	v_subrev_u32_e32 v7, 28, v6
	v_and_b32_e32 v3, 15, v3
	v_lshlrev_b32_e32 v7, v7, v5
	v_sub_u32_e32 v6, 29, v6
	v_and_b32_e32 v7, 7, v7
	v_cmp_eq_u16_e32 vcc, 0, v3
	v_cndmask_b32_e32 v4, v4, v7, vcc
	v_cndmask_b32_e32 v3, v3, v6, vcc
	v_lshlrev_b32_e32 v6, 24, v5
	v_mov_b32_e32 v7, 0x3b800000
	v_lshlrev_b32_e32 v4, 20, v4
	v_and_b32_e32 v6, 0x80000000, v6
	v_lshl_add_u32 v3, v3, 23, v7
	v_or3_b32 v3, v6, v3, v4
.LBB50_1256:
	s_or_b64 exec, exec, s[6:7]
	s_nop 0
	v_mfma_f32_16x16x4f32 a[0:3], v2, v3, a[0:3]
	v_lshrrev_b32_e32 v3, 8, v9
	s_movk_i32 s4, 0x7f
	v_cmp_gt_i16_sdwa s[6:7], v3, s4 src0_sel:BYTE_0 src1_sel:DWORD
	s_mov_b64 s[4:5], 0
                                        ; implicit-def: $sgpr10
	s_and_saveexec_b64 s[8:9], s[6:7]
	s_xor_b64 s[6:7], exec, s[8:9]
	s_cbranch_execnz .LBB50_3305
; %bb.1257:
	s_or_saveexec_b64 s[6:7], s[6:7]
	v_mov_b32_e32 v2, s10
	s_xor_b64 exec, exec, s[6:7]
	s_cbranch_execnz .LBB50_3308
.LBB50_1258:
	s_or_b64 exec, exec, s[6:7]
	s_and_saveexec_b64 s[6:7], s[4:5]
	s_cbranch_execz .LBB50_1260
.LBB50_1259:
	v_bfe_u32 v2, v9, 8, 3
	v_ffbh_u32_e32 v6, v2
	v_min_u32_e32 v6, 32, v6
	v_lshrrev_b16_e32 v4, 3, v3
	v_subrev_u32_e32 v7, 28, v6
	v_and_b32_e32 v4, 15, v4
	v_lshlrev_b32_e32 v3, v7, v3
	v_sub_u32_e32 v6, 29, v6
	v_and_b32_e32 v3, 7, v3
	v_cmp_eq_u16_e32 vcc, 0, v4
	v_cndmask_b32_e32 v2, v2, v3, vcc
	v_cndmask_b32_e32 v3, v4, v6, vcc
	v_lshlrev_b32_e32 v4, 16, v9
	v_mov_b32_e32 v6, 0x3b800000
	v_lshlrev_b32_e32 v2, 20, v2
	v_and_b32_e32 v4, 0x80000000, v4
	v_lshl_add_u32 v3, v3, 23, v6
	v_or3_b32 v2, v4, v3, v2
.LBB50_1260:
	s_or_b64 exec, exec, s[6:7]
	v_lshrrev_b32_e32 v3, 8, v5
	s_movk_i32 s4, 0x7f
	v_cmp_gt_i16_sdwa s[6:7], v3, s4 src0_sel:BYTE_0 src1_sel:DWORD
	s_mov_b64 s[4:5], 0
                                        ; implicit-def: $sgpr10
	s_and_saveexec_b64 s[8:9], s[6:7]
	s_xor_b64 s[6:7], exec, s[8:9]
	s_cbranch_execnz .LBB50_3309
; %bb.1261:
	s_or_saveexec_b64 s[6:7], s[6:7]
	v_mov_b32_e32 v4, s10
	s_xor_b64 exec, exec, s[6:7]
	s_cbranch_execnz .LBB50_3312
.LBB50_1262:
	s_or_b64 exec, exec, s[6:7]
	s_and_saveexec_b64 s[6:7], s[4:5]
	s_cbranch_execz .LBB50_1264
.LBB50_1263:
	v_bfe_u32 v4, v5, 8, 3
	v_ffbh_u32_e32 v7, v4
	v_min_u32_e32 v7, 32, v7
	v_lshrrev_b16_e32 v6, 3, v3
	v_subrev_u32_e32 v8, 28, v7
	v_and_b32_e32 v6, 15, v6
	v_lshlrev_b32_e32 v3, v8, v3
	v_sub_u32_e32 v7, 29, v7
	v_and_b32_e32 v3, 7, v3
	v_cmp_eq_u16_e32 vcc, 0, v6
	v_cndmask_b32_e32 v3, v4, v3, vcc
	v_cndmask_b32_e32 v4, v6, v7, vcc
	v_lshlrev_b32_e32 v6, 16, v5
	v_mov_b32_e32 v7, 0x3b800000
	v_lshlrev_b32_e32 v3, 20, v3
	v_and_b32_e32 v6, 0x80000000, v6
	v_lshl_add_u32 v4, v4, 23, v7
	v_or3_b32 v4, v6, v4, v3
.LBB50_1264:
	s_or_b64 exec, exec, s[6:7]
	s_nop 0
	v_mfma_f32_16x16x4f32 a[0:3], v2, v4, a[0:3]
	s_movk_i32 s4, 0xff
	v_and_b32_sdwa v3, v9, s4 dst_sel:DWORD dst_unused:UNUSED_PAD src0_sel:WORD_1 src1_sel:DWORD
	s_movk_i32 s4, 0x7f
	v_cmp_lt_i16_e32 vcc, s4, v3
	s_mov_b64 s[4:5], 0
                                        ; implicit-def: $sgpr10
	s_and_saveexec_b64 s[6:7], vcc
	s_xor_b64 s[6:7], exec, s[6:7]
	s_cbranch_execnz .LBB50_3313
; %bb.1265:
	s_or_saveexec_b64 s[6:7], s[6:7]
	v_mov_b32_e32 v2, s10
	s_xor_b64 exec, exec, s[6:7]
	s_cbranch_execnz .LBB50_3316
.LBB50_1266:
	s_or_b64 exec, exec, s[6:7]
	s_and_saveexec_b64 s[6:7], s[4:5]
	s_cbranch_execz .LBB50_1268
.LBB50_1267:
	v_bfe_u32 v2, v9, 16, 3
	v_ffbh_u32_e32 v6, v2
	v_min_u32_e32 v6, 32, v6
	v_lshrrev_b32_e32 v3, 19, v9
	v_subrev_u32_e32 v7, 28, v6
	v_and_b32_e32 v3, 15, v3
	v_lshlrev_b32_sdwa v7, v7, v9 dst_sel:DWORD dst_unused:UNUSED_PAD src0_sel:DWORD src1_sel:WORD_1
	v_bfe_u32 v4, v9, 19, 4
	v_sub_u32_e32 v6, 29, v6
	v_and_b32_e32 v7, 7, v7
	v_cmp_eq_u16_e32 vcc, 0, v3
	v_cndmask_b32_e32 v2, v2, v7, vcc
	v_cndmask_b32_e32 v3, v4, v6, vcc
	v_lshlrev_b32_e32 v4, 8, v9
	v_mov_b32_e32 v6, 0x3b800000
	v_lshlrev_b32_e32 v2, 20, v2
	v_and_b32_e32 v4, 0x80000000, v4
	v_lshl_add_u32 v3, v3, 23, v6
	v_or3_b32 v2, v4, v3, v2
.LBB50_1268:
	s_or_b64 exec, exec, s[6:7]
	s_movk_i32 s4, 0xff
	v_and_b32_sdwa v3, v5, s4 dst_sel:DWORD dst_unused:UNUSED_PAD src0_sel:WORD_1 src1_sel:DWORD
	s_movk_i32 s4, 0x7f
	v_cmp_lt_i16_e32 vcc, s4, v3
	s_mov_b64 s[4:5], 0
                                        ; implicit-def: $sgpr10
	s_and_saveexec_b64 s[6:7], vcc
	s_xor_b64 s[6:7], exec, s[6:7]
	s_cbranch_execnz .LBB50_3317
; %bb.1269:
	s_or_saveexec_b64 s[6:7], s[6:7]
	v_mov_b32_e32 v4, s10
	s_xor_b64 exec, exec, s[6:7]
	s_cbranch_execnz .LBB50_3320
.LBB50_1270:
	s_or_b64 exec, exec, s[6:7]
	s_and_saveexec_b64 s[6:7], s[4:5]
	s_cbranch_execz .LBB50_1272
.LBB50_1271:
	v_bfe_u32 v3, v5, 16, 3
	v_ffbh_u32_e32 v7, v3
	v_min_u32_e32 v7, 32, v7
	v_lshrrev_b32_e32 v4, 19, v5
	v_subrev_u32_e32 v8, 28, v7
	v_and_b32_e32 v4, 15, v4
	v_lshlrev_b32_sdwa v8, v8, v5 dst_sel:DWORD dst_unused:UNUSED_PAD src0_sel:DWORD src1_sel:WORD_1
	v_bfe_u32 v6, v5, 19, 4
	v_sub_u32_e32 v7, 29, v7
	v_and_b32_e32 v8, 7, v8
	v_cmp_eq_u16_e32 vcc, 0, v4
	v_cndmask_b32_e32 v3, v3, v8, vcc
	v_cndmask_b32_e32 v4, v6, v7, vcc
	v_lshlrev_b32_e32 v6, 8, v5
	v_mov_b32_e32 v7, 0x3b800000
	v_lshlrev_b32_e32 v3, 20, v3
	v_and_b32_e32 v6, 0x80000000, v6
	v_lshl_add_u32 v4, v4, 23, v7
	v_or3_b32 v4, v6, v4, v3
.LBB50_1272:
	s_or_b64 exec, exec, s[6:7]
	s_nop 0
	v_mfma_f32_16x16x4f32 a[0:3], v2, v4, a[0:3]
	s_movk_i32 s4, 0x7f
	v_cmp_gt_i16_sdwa s[6:7], v9, s4 src0_sel:BYTE_3 src1_sel:DWORD
	s_mov_b64 s[4:5], 0
                                        ; implicit-def: $sgpr10
	s_and_saveexec_b64 s[8:9], s[6:7]
	s_xor_b64 s[6:7], exec, s[8:9]
	s_cbranch_execnz .LBB50_3321
; %bb.1273:
	s_or_saveexec_b64 s[6:7], s[6:7]
	v_mov_b32_e32 v2, s10
	s_xor_b64 exec, exec, s[6:7]
	s_cbranch_execnz .LBB50_3324
.LBB50_1274:
	s_or_b64 exec, exec, s[6:7]
	s_and_saveexec_b64 s[6:7], s[4:5]
	s_cbranch_execz .LBB50_1276
.LBB50_1275:
	v_bfe_u32 v2, v9, 24, 3
	v_ffbh_u32_e32 v7, v2
	v_min_u32_e32 v7, 32, v7
	v_lshrrev_b32_e32 v4, 27, v9
	v_subrev_u32_e32 v8, 28, v7
	v_and_b32_e32 v4, 15, v4
	v_lshlrev_b32_sdwa v8, v8, v9 dst_sel:DWORD dst_unused:UNUSED_PAD src0_sel:DWORD src1_sel:BYTE_3
	v_bfe_u32 v6, v9, 27, 4
	v_sub_u32_e32 v7, 29, v7
	v_and_b32_e32 v8, 7, v8
	v_cmp_eq_u16_e32 vcc, 0, v4
	v_cndmask_b32_e32 v2, v2, v8, vcc
	v_cndmask_b32_e32 v4, v6, v7, vcc
	v_mov_b32_e32 v6, 0x3b800000
	v_and_b32_e32 v3, 0x80000000, v9
	v_lshlrev_b32_e32 v2, 20, v2
	v_lshl_add_u32 v4, v4, 23, v6
	v_or3_b32 v2, v3, v4, v2
.LBB50_1276:
	s_or_b64 exec, exec, s[6:7]
	s_movk_i32 s4, 0x7f
	v_cmp_gt_i16_sdwa s[6:7], v5, s4 src0_sel:BYTE_3 src1_sel:DWORD
	s_mov_b64 s[4:5], 0
                                        ; implicit-def: $sgpr10
	s_and_saveexec_b64 s[8:9], s[6:7]
	s_xor_b64 s[6:7], exec, s[8:9]
	s_cbranch_execnz .LBB50_3325
; %bb.1277:
	s_or_saveexec_b64 s[6:7], s[6:7]
	v_mov_b32_e32 v3, s10
	s_xor_b64 exec, exec, s[6:7]
	s_cbranch_execnz .LBB50_3328
.LBB50_1278:
	s_or_b64 exec, exec, s[6:7]
	s_and_saveexec_b64 s[6:7], s[4:5]
	s_cbranch_execz .LBB50_1280
.LBB50_1279:
	v_bfe_u32 v3, v5, 24, 3
	v_ffbh_u32_e32 v8, v3
	v_min_u32_e32 v8, 32, v8
	v_lshrrev_b32_e32 v6, 27, v5
	v_subrev_u32_e32 v9, 28, v8
	v_and_b32_e32 v4, 0x80000000, v5
	v_and_b32_e32 v6, 15, v6
	v_bfe_u32 v7, v5, 27, 4
	v_lshlrev_b32_sdwa v5, v9, v5 dst_sel:DWORD dst_unused:UNUSED_PAD src0_sel:DWORD src1_sel:BYTE_3
	v_sub_u32_e32 v8, 29, v8
	v_and_b32_e32 v5, 7, v5
	v_cmp_eq_u16_e32 vcc, 0, v6
	v_cndmask_b32_e32 v3, v3, v5, vcc
	v_cndmask_b32_e32 v5, v7, v8, vcc
	v_mov_b32_e32 v6, 0x3b800000
	v_lshlrev_b32_e32 v3, 20, v3
	v_lshl_add_u32 v5, v5, 23, v6
	v_or3_b32 v3, v4, v5, v3
.LBB50_1280:
	s_or_b64 exec, exec, s[6:7]
	s_nop 0
	v_mfma_f32_16x16x4f32 a[0:3], v2, v3, a[0:3]
	s_movk_i32 s4, 0x7f
                                        ; implicit-def: $sgpr10
	s_nop 7
	s_nop 1
	flat_store_dwordx4 v[18:19], a[0:3] offset:832
	flat_load_dwordx4 v[20:23], v[0:1] offset:8
	s_nop 0
	flat_load_dwordx2 v[18:19], v[0:1] offset:24
	s_waitcnt vmcnt(0) lgkmcnt(0)
	flat_load_dwordx4 v[14:17], v[20:21]
	flat_load_dwordx4 v[6:9], v[20:21] offset:16
	flat_load_dwordx4 v[10:13], v[22:23] offset:160
	;; [unrolled: 1-line block ×3, first 2 shown]
	s_waitcnt vmcnt(0) lgkmcnt(0)
	v_cmp_gt_i16_sdwa s[6:7], v14, s4 src0_sel:BYTE_0 src1_sel:DWORD
	s_mov_b64 s[4:5], 0
	s_and_saveexec_b64 s[8:9], s[6:7]
	s_xor_b64 s[6:7], exec, s[8:9]
	s_cbranch_execnz .LBB50_3329
; %bb.1281:
	s_or_saveexec_b64 s[6:7], s[6:7]
	v_mov_b32_e32 v20, s10
	s_xor_b64 exec, exec, s[6:7]
	s_cbranch_execnz .LBB50_3332
.LBB50_1282:
	s_or_b64 exec, exec, s[6:7]
	s_and_saveexec_b64 s[6:7], s[4:5]
	s_cbranch_execz .LBB50_1284
.LBB50_1283:
	v_and_b32_e32 v20, 7, v14
	v_ffbh_u32_e32 v22, v20
	v_min_u32_e32 v22, 32, v22
	v_lshrrev_b16_e32 v21, 3, v14
	v_subrev_u32_e32 v23, 28, v22
	v_and_b32_e32 v21, 15, v21
	v_lshlrev_b32_e32 v23, v23, v14
	v_sub_u32_e32 v22, 29, v22
	v_and_b32_e32 v23, 7, v23
	v_cmp_eq_u16_e32 vcc, 0, v21
	v_cndmask_b32_e32 v20, v20, v23, vcc
	v_cndmask_b32_e32 v21, v21, v22, vcc
	v_lshlrev_b32_e32 v22, 24, v14
	v_mov_b32_e32 v23, 0x3b800000
	v_lshlrev_b32_e32 v20, 20, v20
	v_and_b32_e32 v22, 0x80000000, v22
	v_lshl_add_u32 v21, v21, 23, v23
	v_or3_b32 v20, v22, v21, v20
.LBB50_1284:
	s_or_b64 exec, exec, s[6:7]
	s_movk_i32 s4, 0x7f
	v_cmp_gt_i16_sdwa s[6:7], v10, s4 src0_sel:BYTE_0 src1_sel:DWORD
	s_mov_b64 s[4:5], 0
                                        ; implicit-def: $sgpr10
	s_and_saveexec_b64 s[8:9], s[6:7]
	s_xor_b64 s[6:7], exec, s[8:9]
	s_cbranch_execnz .LBB50_3333
; %bb.1285:
	s_or_saveexec_b64 s[6:7], s[6:7]
	v_mov_b32_e32 v21, s10
	s_xor_b64 exec, exec, s[6:7]
	s_cbranch_execnz .LBB50_3336
.LBB50_1286:
	s_or_b64 exec, exec, s[6:7]
	s_and_saveexec_b64 s[6:7], s[4:5]
	s_cbranch_execz .LBB50_1288
.LBB50_1287:
	v_and_b32_e32 v21, 7, v10
	v_ffbh_u32_e32 v23, v21
	v_min_u32_e32 v23, 32, v23
	v_lshrrev_b16_e32 v22, 3, v10
	v_subrev_u32_e32 v24, 28, v23
	v_and_b32_e32 v22, 15, v22
	v_lshlrev_b32_e32 v24, v24, v10
	v_sub_u32_e32 v23, 29, v23
	v_and_b32_e32 v24, 7, v24
	v_cmp_eq_u16_e32 vcc, 0, v22
	v_cndmask_b32_e32 v21, v21, v24, vcc
	v_cndmask_b32_e32 v22, v22, v23, vcc
	v_lshlrev_b32_e32 v23, 24, v10
	v_mov_b32_e32 v24, 0x3b800000
	v_lshlrev_b32_e32 v21, 20, v21
	v_and_b32_e32 v23, 0x80000000, v23
	v_lshl_add_u32 v22, v22, 23, v24
	v_or3_b32 v21, v23, v22, v21
.LBB50_1288:
	s_or_b64 exec, exec, s[6:7]
	flat_load_dwordx4 a[0:3], v[18:19] offset:848
	s_movk_i32 s4, 0x7f
                                        ; implicit-def: $sgpr10
	s_waitcnt vmcnt(0) lgkmcnt(0)
	v_mfma_f32_16x16x4f32 a[0:3], v20, v21, a[0:3]
	v_lshrrev_b32_e32 v21, 8, v14
	v_cmp_gt_i16_sdwa s[6:7], v21, s4 src0_sel:BYTE_0 src1_sel:DWORD
	s_mov_b64 s[4:5], 0
	s_and_saveexec_b64 s[8:9], s[6:7]
	s_xor_b64 s[6:7], exec, s[8:9]
	s_cbranch_execnz .LBB50_3337
; %bb.1289:
	s_or_saveexec_b64 s[6:7], s[6:7]
	v_mov_b32_e32 v20, s10
	s_xor_b64 exec, exec, s[6:7]
	s_cbranch_execnz .LBB50_3340
.LBB50_1290:
	s_or_b64 exec, exec, s[6:7]
	s_and_saveexec_b64 s[6:7], s[4:5]
	s_cbranch_execz .LBB50_1292
.LBB50_1291:
	v_bfe_u32 v20, v14, 8, 3
	v_ffbh_u32_e32 v23, v20
	v_min_u32_e32 v23, 32, v23
	v_lshrrev_b16_e32 v22, 3, v21
	v_subrev_u32_e32 v24, 28, v23
	v_and_b32_e32 v22, 15, v22
	v_lshlrev_b32_e32 v21, v24, v21
	v_sub_u32_e32 v23, 29, v23
	v_and_b32_e32 v21, 7, v21
	v_cmp_eq_u16_e32 vcc, 0, v22
	v_cndmask_b32_e32 v20, v20, v21, vcc
	v_cndmask_b32_e32 v21, v22, v23, vcc
	v_lshlrev_b32_e32 v22, 16, v14
	v_mov_b32_e32 v23, 0x3b800000
	v_lshlrev_b32_e32 v20, 20, v20
	v_and_b32_e32 v22, 0x80000000, v22
	v_lshl_add_u32 v21, v21, 23, v23
	v_or3_b32 v20, v22, v21, v20
.LBB50_1292:
	s_or_b64 exec, exec, s[6:7]
	v_lshrrev_b32_e32 v21, 8, v10
	s_movk_i32 s4, 0x7f
	v_cmp_gt_i16_sdwa s[6:7], v21, s4 src0_sel:BYTE_0 src1_sel:DWORD
	s_mov_b64 s[4:5], 0
                                        ; implicit-def: $sgpr10
	s_and_saveexec_b64 s[8:9], s[6:7]
	s_xor_b64 s[6:7], exec, s[8:9]
	s_cbranch_execnz .LBB50_3341
; %bb.1293:
	s_or_saveexec_b64 s[6:7], s[6:7]
	v_mov_b32_e32 v22, s10
	s_xor_b64 exec, exec, s[6:7]
	s_cbranch_execnz .LBB50_3344
.LBB50_1294:
	s_or_b64 exec, exec, s[6:7]
	s_and_saveexec_b64 s[6:7], s[4:5]
	s_cbranch_execz .LBB50_1296
.LBB50_1295:
	v_bfe_u32 v22, v10, 8, 3
	v_ffbh_u32_e32 v24, v22
	v_min_u32_e32 v24, 32, v24
	v_lshrrev_b16_e32 v23, 3, v21
	v_subrev_u32_e32 v25, 28, v24
	v_and_b32_e32 v23, 15, v23
	v_lshlrev_b32_e32 v21, v25, v21
	v_sub_u32_e32 v24, 29, v24
	v_and_b32_e32 v21, 7, v21
	v_cmp_eq_u16_e32 vcc, 0, v23
	v_cndmask_b32_e32 v21, v22, v21, vcc
	v_cndmask_b32_e32 v22, v23, v24, vcc
	v_lshlrev_b32_e32 v23, 16, v10
	v_mov_b32_e32 v24, 0x3b800000
	v_lshlrev_b32_e32 v21, 20, v21
	v_and_b32_e32 v23, 0x80000000, v23
	v_lshl_add_u32 v22, v22, 23, v24
	v_or3_b32 v22, v23, v22, v21
.LBB50_1296:
	s_or_b64 exec, exec, s[6:7]
	s_nop 0
	v_mfma_f32_16x16x4f32 a[0:3], v20, v22, a[0:3]
	s_movk_i32 s4, 0xff
	v_and_b32_sdwa v21, v14, s4 dst_sel:DWORD dst_unused:UNUSED_PAD src0_sel:WORD_1 src1_sel:DWORD
	s_movk_i32 s4, 0x7f
	v_cmp_lt_i16_e32 vcc, s4, v21
	s_mov_b64 s[4:5], 0
                                        ; implicit-def: $sgpr10
	s_and_saveexec_b64 s[6:7], vcc
	s_xor_b64 s[6:7], exec, s[6:7]
	s_cbranch_execnz .LBB50_3345
; %bb.1297:
	s_or_saveexec_b64 s[6:7], s[6:7]
	v_mov_b32_e32 v20, s10
	s_xor_b64 exec, exec, s[6:7]
	s_cbranch_execnz .LBB50_3348
.LBB50_1298:
	s_or_b64 exec, exec, s[6:7]
	s_and_saveexec_b64 s[6:7], s[4:5]
	s_cbranch_execz .LBB50_1300
.LBB50_1299:
	v_bfe_u32 v20, v14, 16, 3
	v_ffbh_u32_e32 v23, v20
	v_min_u32_e32 v23, 32, v23
	v_lshrrev_b32_e32 v21, 19, v14
	v_subrev_u32_e32 v24, 28, v23
	v_and_b32_e32 v21, 15, v21
	v_lshlrev_b32_sdwa v24, v24, v14 dst_sel:DWORD dst_unused:UNUSED_PAD src0_sel:DWORD src1_sel:WORD_1
	v_bfe_u32 v22, v14, 19, 4
	v_sub_u32_e32 v23, 29, v23
	v_and_b32_e32 v24, 7, v24
	v_cmp_eq_u16_e32 vcc, 0, v21
	v_cndmask_b32_e32 v20, v20, v24, vcc
	v_cndmask_b32_e32 v21, v22, v23, vcc
	v_lshlrev_b32_e32 v22, 8, v14
	v_mov_b32_e32 v23, 0x3b800000
	v_lshlrev_b32_e32 v20, 20, v20
	v_and_b32_e32 v22, 0x80000000, v22
	v_lshl_add_u32 v21, v21, 23, v23
	v_or3_b32 v20, v22, v21, v20
.LBB50_1300:
	s_or_b64 exec, exec, s[6:7]
	s_movk_i32 s4, 0xff
	v_and_b32_sdwa v21, v10, s4 dst_sel:DWORD dst_unused:UNUSED_PAD src0_sel:WORD_1 src1_sel:DWORD
	s_movk_i32 s4, 0x7f
	v_cmp_lt_i16_e32 vcc, s4, v21
	s_mov_b64 s[4:5], 0
                                        ; implicit-def: $sgpr10
	s_and_saveexec_b64 s[6:7], vcc
	s_xor_b64 s[6:7], exec, s[6:7]
	s_cbranch_execnz .LBB50_3349
; %bb.1301:
	s_or_saveexec_b64 s[6:7], s[6:7]
	v_mov_b32_e32 v22, s10
	s_xor_b64 exec, exec, s[6:7]
	s_cbranch_execnz .LBB50_3352
.LBB50_1302:
	s_or_b64 exec, exec, s[6:7]
	s_and_saveexec_b64 s[6:7], s[4:5]
	s_cbranch_execz .LBB50_1304
.LBB50_1303:
	v_bfe_u32 v21, v10, 16, 3
	v_ffbh_u32_e32 v24, v21
	v_min_u32_e32 v24, 32, v24
	v_lshrrev_b32_e32 v22, 19, v10
	v_subrev_u32_e32 v25, 28, v24
	v_and_b32_e32 v22, 15, v22
	v_lshlrev_b32_sdwa v25, v25, v10 dst_sel:DWORD dst_unused:UNUSED_PAD src0_sel:DWORD src1_sel:WORD_1
	v_bfe_u32 v23, v10, 19, 4
	v_sub_u32_e32 v24, 29, v24
	v_and_b32_e32 v25, 7, v25
	v_cmp_eq_u16_e32 vcc, 0, v22
	v_cndmask_b32_e32 v21, v21, v25, vcc
	v_cndmask_b32_e32 v22, v23, v24, vcc
	v_lshlrev_b32_e32 v23, 8, v10
	v_mov_b32_e32 v24, 0x3b800000
	v_lshlrev_b32_e32 v21, 20, v21
	v_and_b32_e32 v23, 0x80000000, v23
	v_lshl_add_u32 v22, v22, 23, v24
	v_or3_b32 v22, v23, v22, v21
.LBB50_1304:
	s_or_b64 exec, exec, s[6:7]
	s_nop 0
	v_mfma_f32_16x16x4f32 a[0:3], v20, v22, a[0:3]
	s_movk_i32 s4, 0x7f
	v_cmp_gt_i16_sdwa s[6:7], v14, s4 src0_sel:BYTE_3 src1_sel:DWORD
	s_mov_b64 s[4:5], 0
                                        ; implicit-def: $sgpr10
	s_and_saveexec_b64 s[8:9], s[6:7]
	s_xor_b64 s[6:7], exec, s[8:9]
	s_cbranch_execnz .LBB50_3353
; %bb.1305:
	s_or_saveexec_b64 s[6:7], s[6:7]
	v_mov_b32_e32 v20, s10
	s_xor_b64 exec, exec, s[6:7]
	s_cbranch_execnz .LBB50_3356
.LBB50_1306:
	s_or_b64 exec, exec, s[6:7]
	s_and_saveexec_b64 s[6:7], s[4:5]
	s_cbranch_execz .LBB50_1308
.LBB50_1307:
	v_bfe_u32 v20, v14, 24, 3
	v_ffbh_u32_e32 v24, v20
	v_min_u32_e32 v24, 32, v24
	v_lshrrev_b32_e32 v22, 27, v14
	v_subrev_u32_e32 v25, 28, v24
	v_and_b32_e32 v21, 0x80000000, v14
	v_and_b32_e32 v22, 15, v22
	v_bfe_u32 v23, v14, 27, 4
	v_lshlrev_b32_sdwa v14, v25, v14 dst_sel:DWORD dst_unused:UNUSED_PAD src0_sel:DWORD src1_sel:BYTE_3
	v_sub_u32_e32 v24, 29, v24
	v_and_b32_e32 v14, 7, v14
	v_cmp_eq_u16_e32 vcc, 0, v22
	v_cndmask_b32_e32 v14, v20, v14, vcc
	v_cndmask_b32_e32 v20, v23, v24, vcc
	v_mov_b32_e32 v22, 0x3b800000
	v_lshlrev_b32_e32 v14, 20, v14
	v_lshl_add_u32 v20, v20, 23, v22
	v_or3_b32 v20, v21, v20, v14
.LBB50_1308:
	s_or_b64 exec, exec, s[6:7]
	s_movk_i32 s4, 0x7f
	v_cmp_gt_i16_sdwa s[6:7], v10, s4 src0_sel:BYTE_3 src1_sel:DWORD
	s_mov_b64 s[4:5], 0
                                        ; implicit-def: $sgpr10
	s_and_saveexec_b64 s[8:9], s[6:7]
	s_xor_b64 s[6:7], exec, s[8:9]
	s_cbranch_execnz .LBB50_3357
; %bb.1309:
	s_or_saveexec_b64 s[6:7], s[6:7]
	v_mov_b32_e32 v14, s10
	s_xor_b64 exec, exec, s[6:7]
	s_cbranch_execnz .LBB50_3360
.LBB50_1310:
	s_or_b64 exec, exec, s[6:7]
	s_and_saveexec_b64 s[6:7], s[4:5]
	s_cbranch_execz .LBB50_1312
.LBB50_1311:
	v_bfe_u32 v14, v10, 24, 3
	v_ffbh_u32_e32 v24, v14
	v_min_u32_e32 v24, 32, v24
	v_lshrrev_b32_e32 v22, 27, v10
	v_subrev_u32_e32 v25, 28, v24
	v_and_b32_e32 v21, 0x80000000, v10
	v_and_b32_e32 v22, 15, v22
	v_bfe_u32 v23, v10, 27, 4
	v_lshlrev_b32_sdwa v10, v25, v10 dst_sel:DWORD dst_unused:UNUSED_PAD src0_sel:DWORD src1_sel:BYTE_3
	v_sub_u32_e32 v24, 29, v24
	v_and_b32_e32 v10, 7, v10
	v_cmp_eq_u16_e32 vcc, 0, v22
	v_cndmask_b32_e32 v10, v14, v10, vcc
	v_cndmask_b32_e32 v14, v23, v24, vcc
	v_mov_b32_e32 v22, 0x3b800000
	v_lshlrev_b32_e32 v10, 20, v10
	v_lshl_add_u32 v14, v14, 23, v22
	v_or3_b32 v14, v21, v14, v10
.LBB50_1312:
	s_or_b64 exec, exec, s[6:7]
	s_nop 0
	v_mfma_f32_16x16x4f32 a[0:3], v20, v14, a[0:3]
	s_movk_i32 s4, 0x7f
	v_cmp_gt_i16_sdwa s[6:7], v15, s4 src0_sel:BYTE_0 src1_sel:DWORD
	s_mov_b64 s[4:5], 0
                                        ; implicit-def: $sgpr10
	s_and_saveexec_b64 s[8:9], s[6:7]
	s_xor_b64 s[6:7], exec, s[8:9]
	s_cbranch_execnz .LBB50_3361
; %bb.1313:
	s_or_saveexec_b64 s[6:7], s[6:7]
	v_mov_b32_e32 v10, s10
	s_xor_b64 exec, exec, s[6:7]
	s_cbranch_execnz .LBB50_3364
.LBB50_1314:
	s_or_b64 exec, exec, s[6:7]
	s_and_saveexec_b64 s[6:7], s[4:5]
	s_cbranch_execz .LBB50_1316
.LBB50_1315:
	v_and_b32_e32 v10, 7, v15
	v_ffbh_u32_e32 v20, v10
	v_min_u32_e32 v20, 32, v20
	v_lshrrev_b16_e32 v14, 3, v15
	v_subrev_u32_e32 v21, 28, v20
	v_and_b32_e32 v14, 15, v14
	v_lshlrev_b32_e32 v21, v21, v15
	v_sub_u32_e32 v20, 29, v20
	v_and_b32_e32 v21, 7, v21
	v_cmp_eq_u16_e32 vcc, 0, v14
	v_cndmask_b32_e32 v10, v10, v21, vcc
	v_cndmask_b32_e32 v14, v14, v20, vcc
	v_lshlrev_b32_e32 v20, 24, v15
	v_mov_b32_e32 v21, 0x3b800000
	v_lshlrev_b32_e32 v10, 20, v10
	v_and_b32_e32 v20, 0x80000000, v20
	v_lshl_add_u32 v14, v14, 23, v21
	v_or3_b32 v10, v20, v14, v10
.LBB50_1316:
	s_or_b64 exec, exec, s[6:7]
	s_movk_i32 s4, 0x7f
	v_cmp_gt_i16_sdwa s[6:7], v11, s4 src0_sel:BYTE_0 src1_sel:DWORD
	s_mov_b64 s[4:5], 0
                                        ; implicit-def: $sgpr10
	s_and_saveexec_b64 s[8:9], s[6:7]
	s_xor_b64 s[6:7], exec, s[8:9]
	s_cbranch_execnz .LBB50_3365
; %bb.1317:
	s_or_saveexec_b64 s[6:7], s[6:7]
	v_mov_b32_e32 v14, s10
	s_xor_b64 exec, exec, s[6:7]
	s_cbranch_execnz .LBB50_3368
.LBB50_1318:
	s_or_b64 exec, exec, s[6:7]
	s_and_saveexec_b64 s[6:7], s[4:5]
	s_cbranch_execz .LBB50_1320
.LBB50_1319:
	v_and_b32_e32 v14, 7, v11
	v_ffbh_u32_e32 v21, v14
	v_min_u32_e32 v21, 32, v21
	v_lshrrev_b16_e32 v20, 3, v11
	v_subrev_u32_e32 v22, 28, v21
	v_and_b32_e32 v20, 15, v20
	v_lshlrev_b32_e32 v22, v22, v11
	v_sub_u32_e32 v21, 29, v21
	v_and_b32_e32 v22, 7, v22
	v_cmp_eq_u16_e32 vcc, 0, v20
	v_cndmask_b32_e32 v14, v14, v22, vcc
	v_cndmask_b32_e32 v20, v20, v21, vcc
	v_lshlrev_b32_e32 v21, 24, v11
	v_mov_b32_e32 v22, 0x3b800000
	v_lshlrev_b32_e32 v14, 20, v14
	v_and_b32_e32 v21, 0x80000000, v21
	v_lshl_add_u32 v20, v20, 23, v22
	v_or3_b32 v14, v21, v20, v14
.LBB50_1320:
	s_or_b64 exec, exec, s[6:7]
	s_nop 0
	v_mfma_f32_16x16x4f32 a[0:3], v10, v14, a[0:3]
	v_lshrrev_b32_e32 v14, 8, v15
	s_movk_i32 s4, 0x7f
	v_cmp_gt_i16_sdwa s[6:7], v14, s4 src0_sel:BYTE_0 src1_sel:DWORD
	s_mov_b64 s[4:5], 0
                                        ; implicit-def: $sgpr10
	s_and_saveexec_b64 s[8:9], s[6:7]
	s_xor_b64 s[6:7], exec, s[8:9]
	s_cbranch_execnz .LBB50_3369
; %bb.1321:
	s_or_saveexec_b64 s[6:7], s[6:7]
	v_mov_b32_e32 v10, s10
	s_xor_b64 exec, exec, s[6:7]
	s_cbranch_execnz .LBB50_3372
.LBB50_1322:
	s_or_b64 exec, exec, s[6:7]
	s_and_saveexec_b64 s[6:7], s[4:5]
	s_cbranch_execz .LBB50_1324
.LBB50_1323:
	v_bfe_u32 v10, v15, 8, 3
	v_ffbh_u32_e32 v21, v10
	v_min_u32_e32 v21, 32, v21
	v_lshrrev_b16_e32 v20, 3, v14
	v_subrev_u32_e32 v22, 28, v21
	v_and_b32_e32 v20, 15, v20
	v_lshlrev_b32_e32 v14, v22, v14
	v_sub_u32_e32 v21, 29, v21
	v_and_b32_e32 v14, 7, v14
	v_cmp_eq_u16_e32 vcc, 0, v20
	v_cndmask_b32_e32 v10, v10, v14, vcc
	v_cndmask_b32_e32 v14, v20, v21, vcc
	v_lshlrev_b32_e32 v20, 16, v15
	v_mov_b32_e32 v21, 0x3b800000
	v_lshlrev_b32_e32 v10, 20, v10
	v_and_b32_e32 v20, 0x80000000, v20
	v_lshl_add_u32 v14, v14, 23, v21
	v_or3_b32 v10, v20, v14, v10
.LBB50_1324:
	s_or_b64 exec, exec, s[6:7]
	v_lshrrev_b32_e32 v14, 8, v11
	s_movk_i32 s4, 0x7f
	v_cmp_gt_i16_sdwa s[6:7], v14, s4 src0_sel:BYTE_0 src1_sel:DWORD
	s_mov_b64 s[4:5], 0
                                        ; implicit-def: $sgpr10
	s_and_saveexec_b64 s[8:9], s[6:7]
	s_xor_b64 s[6:7], exec, s[8:9]
	s_cbranch_execnz .LBB50_3373
; %bb.1325:
	s_or_saveexec_b64 s[6:7], s[6:7]
	v_mov_b32_e32 v20, s10
	s_xor_b64 exec, exec, s[6:7]
	s_cbranch_execnz .LBB50_3376
.LBB50_1326:
	s_or_b64 exec, exec, s[6:7]
	s_and_saveexec_b64 s[6:7], s[4:5]
	s_cbranch_execz .LBB50_1328
.LBB50_1327:
	v_bfe_u32 v20, v11, 8, 3
	v_ffbh_u32_e32 v22, v20
	v_min_u32_e32 v22, 32, v22
	v_lshrrev_b16_e32 v21, 3, v14
	v_subrev_u32_e32 v23, 28, v22
	v_and_b32_e32 v21, 15, v21
	v_lshlrev_b32_e32 v14, v23, v14
	v_sub_u32_e32 v22, 29, v22
	v_and_b32_e32 v14, 7, v14
	v_cmp_eq_u16_e32 vcc, 0, v21
	v_cndmask_b32_e32 v14, v20, v14, vcc
	v_cndmask_b32_e32 v20, v21, v22, vcc
	v_lshlrev_b32_e32 v21, 16, v11
	v_mov_b32_e32 v22, 0x3b800000
	v_lshlrev_b32_e32 v14, 20, v14
	v_and_b32_e32 v21, 0x80000000, v21
	v_lshl_add_u32 v20, v20, 23, v22
	v_or3_b32 v20, v21, v20, v14
.LBB50_1328:
	s_or_b64 exec, exec, s[6:7]
	s_nop 0
	v_mfma_f32_16x16x4f32 a[0:3], v10, v20, a[0:3]
	s_movk_i32 s4, 0xff
	v_and_b32_sdwa v14, v15, s4 dst_sel:DWORD dst_unused:UNUSED_PAD src0_sel:WORD_1 src1_sel:DWORD
	s_movk_i32 s4, 0x7f
	v_cmp_lt_i16_e32 vcc, s4, v14
	s_mov_b64 s[4:5], 0
                                        ; implicit-def: $sgpr10
	s_and_saveexec_b64 s[6:7], vcc
	s_xor_b64 s[6:7], exec, s[6:7]
	s_cbranch_execnz .LBB50_3377
; %bb.1329:
	s_or_saveexec_b64 s[6:7], s[6:7]
	v_mov_b32_e32 v10, s10
	s_xor_b64 exec, exec, s[6:7]
	s_cbranch_execnz .LBB50_3380
.LBB50_1330:
	s_or_b64 exec, exec, s[6:7]
	s_and_saveexec_b64 s[6:7], s[4:5]
	s_cbranch_execz .LBB50_1332
.LBB50_1331:
	v_bfe_u32 v10, v15, 16, 3
	v_ffbh_u32_e32 v21, v10
	v_min_u32_e32 v21, 32, v21
	v_lshrrev_b32_e32 v14, 19, v15
	v_subrev_u32_e32 v22, 28, v21
	v_and_b32_e32 v14, 15, v14
	v_lshlrev_b32_sdwa v22, v22, v15 dst_sel:DWORD dst_unused:UNUSED_PAD src0_sel:DWORD src1_sel:WORD_1
	v_bfe_u32 v20, v15, 19, 4
	v_sub_u32_e32 v21, 29, v21
	v_and_b32_e32 v22, 7, v22
	v_cmp_eq_u16_e32 vcc, 0, v14
	v_cndmask_b32_e32 v10, v10, v22, vcc
	v_cndmask_b32_e32 v14, v20, v21, vcc
	v_lshlrev_b32_e32 v20, 8, v15
	v_mov_b32_e32 v21, 0x3b800000
	v_lshlrev_b32_e32 v10, 20, v10
	v_and_b32_e32 v20, 0x80000000, v20
	v_lshl_add_u32 v14, v14, 23, v21
	v_or3_b32 v10, v20, v14, v10
.LBB50_1332:
	s_or_b64 exec, exec, s[6:7]
	s_movk_i32 s4, 0xff
	v_and_b32_sdwa v14, v11, s4 dst_sel:DWORD dst_unused:UNUSED_PAD src0_sel:WORD_1 src1_sel:DWORD
	s_movk_i32 s4, 0x7f
	v_cmp_lt_i16_e32 vcc, s4, v14
	s_mov_b64 s[4:5], 0
                                        ; implicit-def: $sgpr10
	s_and_saveexec_b64 s[6:7], vcc
	s_xor_b64 s[6:7], exec, s[6:7]
	s_cbranch_execnz .LBB50_3381
; %bb.1333:
	s_or_saveexec_b64 s[6:7], s[6:7]
	v_mov_b32_e32 v20, s10
	s_xor_b64 exec, exec, s[6:7]
	s_cbranch_execnz .LBB50_3384
.LBB50_1334:
	s_or_b64 exec, exec, s[6:7]
	s_and_saveexec_b64 s[6:7], s[4:5]
	s_cbranch_execz .LBB50_1336
.LBB50_1335:
	v_bfe_u32 v14, v11, 16, 3
	v_ffbh_u32_e32 v22, v14
	v_min_u32_e32 v22, 32, v22
	v_lshrrev_b32_e32 v20, 19, v11
	v_subrev_u32_e32 v23, 28, v22
	v_and_b32_e32 v20, 15, v20
	v_lshlrev_b32_sdwa v23, v23, v11 dst_sel:DWORD dst_unused:UNUSED_PAD src0_sel:DWORD src1_sel:WORD_1
	v_bfe_u32 v21, v11, 19, 4
	v_sub_u32_e32 v22, 29, v22
	v_and_b32_e32 v23, 7, v23
	v_cmp_eq_u16_e32 vcc, 0, v20
	v_cndmask_b32_e32 v14, v14, v23, vcc
	v_cndmask_b32_e32 v20, v21, v22, vcc
	v_lshlrev_b32_e32 v21, 8, v11
	v_mov_b32_e32 v22, 0x3b800000
	v_lshlrev_b32_e32 v14, 20, v14
	v_and_b32_e32 v21, 0x80000000, v21
	v_lshl_add_u32 v20, v20, 23, v22
	v_or3_b32 v20, v21, v20, v14
.LBB50_1336:
	s_or_b64 exec, exec, s[6:7]
	s_nop 0
	v_mfma_f32_16x16x4f32 a[0:3], v10, v20, a[0:3]
	s_movk_i32 s4, 0x7f
	v_cmp_gt_i16_sdwa s[6:7], v15, s4 src0_sel:BYTE_3 src1_sel:DWORD
	s_mov_b64 s[4:5], 0
                                        ; implicit-def: $sgpr10
	s_and_saveexec_b64 s[8:9], s[6:7]
	s_xor_b64 s[6:7], exec, s[8:9]
	s_cbranch_execnz .LBB50_3385
; %bb.1337:
	s_or_saveexec_b64 s[6:7], s[6:7]
	v_mov_b32_e32 v10, s10
	s_xor_b64 exec, exec, s[6:7]
	s_cbranch_execnz .LBB50_3388
.LBB50_1338:
	s_or_b64 exec, exec, s[6:7]
	s_and_saveexec_b64 s[6:7], s[4:5]
	s_cbranch_execz .LBB50_1340
.LBB50_1339:
	v_bfe_u32 v10, v15, 24, 3
	v_ffbh_u32_e32 v22, v10
	v_min_u32_e32 v22, 32, v22
	v_lshrrev_b32_e32 v20, 27, v15
	v_subrev_u32_e32 v23, 28, v22
	v_and_b32_e32 v14, 0x80000000, v15
	v_and_b32_e32 v20, 15, v20
	v_bfe_u32 v21, v15, 27, 4
	v_lshlrev_b32_sdwa v15, v23, v15 dst_sel:DWORD dst_unused:UNUSED_PAD src0_sel:DWORD src1_sel:BYTE_3
	v_sub_u32_e32 v22, 29, v22
	v_and_b32_e32 v15, 7, v15
	v_cmp_eq_u16_e32 vcc, 0, v20
	v_cndmask_b32_e32 v10, v10, v15, vcc
	v_cndmask_b32_e32 v15, v21, v22, vcc
	v_mov_b32_e32 v20, 0x3b800000
	v_lshlrev_b32_e32 v10, 20, v10
	v_lshl_add_u32 v15, v15, 23, v20
	v_or3_b32 v10, v14, v15, v10
.LBB50_1340:
	s_or_b64 exec, exec, s[6:7]
	s_movk_i32 s4, 0x7f
	v_cmp_gt_i16_sdwa s[6:7], v11, s4 src0_sel:BYTE_3 src1_sel:DWORD
	s_mov_b64 s[4:5], 0
                                        ; implicit-def: $sgpr10
	s_and_saveexec_b64 s[8:9], s[6:7]
	s_xor_b64 s[6:7], exec, s[8:9]
	s_cbranch_execnz .LBB50_3389
; %bb.1341:
	s_or_saveexec_b64 s[6:7], s[6:7]
	v_mov_b32_e32 v14, s10
	s_xor_b64 exec, exec, s[6:7]
	s_cbranch_execnz .LBB50_3392
.LBB50_1342:
	s_or_b64 exec, exec, s[6:7]
	s_and_saveexec_b64 s[6:7], s[4:5]
	s_cbranch_execz .LBB50_1344
.LBB50_1343:
	v_bfe_u32 v14, v11, 24, 3
	v_ffbh_u32_e32 v22, v14
	v_min_u32_e32 v22, 32, v22
	v_lshrrev_b32_e32 v20, 27, v11
	v_subrev_u32_e32 v23, 28, v22
	v_and_b32_e32 v15, 0x80000000, v11
	v_and_b32_e32 v20, 15, v20
	v_bfe_u32 v21, v11, 27, 4
	v_lshlrev_b32_sdwa v11, v23, v11 dst_sel:DWORD dst_unused:UNUSED_PAD src0_sel:DWORD src1_sel:BYTE_3
	v_sub_u32_e32 v22, 29, v22
	v_and_b32_e32 v11, 7, v11
	v_cmp_eq_u16_e32 vcc, 0, v20
	v_cndmask_b32_e32 v11, v14, v11, vcc
	v_cndmask_b32_e32 v14, v21, v22, vcc
	v_mov_b32_e32 v20, 0x3b800000
	v_lshlrev_b32_e32 v11, 20, v11
	v_lshl_add_u32 v14, v14, 23, v20
	v_or3_b32 v14, v15, v14, v11
.LBB50_1344:
	s_or_b64 exec, exec, s[6:7]
	s_nop 0
	v_mfma_f32_16x16x4f32 a[0:3], v10, v14, a[0:3]
	s_movk_i32 s4, 0x7f
	v_cmp_gt_i16_sdwa s[6:7], v16, s4 src0_sel:BYTE_0 src1_sel:DWORD
	s_mov_b64 s[4:5], 0
                                        ; implicit-def: $sgpr10
	s_and_saveexec_b64 s[8:9], s[6:7]
	s_xor_b64 s[6:7], exec, s[8:9]
	s_cbranch_execnz .LBB50_3393
; %bb.1345:
	s_or_saveexec_b64 s[6:7], s[6:7]
	v_mov_b32_e32 v10, s10
	s_xor_b64 exec, exec, s[6:7]
	s_cbranch_execnz .LBB50_3396
.LBB50_1346:
	s_or_b64 exec, exec, s[6:7]
	s_and_saveexec_b64 s[6:7], s[4:5]
	s_cbranch_execz .LBB50_1348
.LBB50_1347:
	v_and_b32_e32 v10, 7, v16
	v_ffbh_u32_e32 v14, v10
	v_min_u32_e32 v14, 32, v14
	v_lshrrev_b16_e32 v11, 3, v16
	v_subrev_u32_e32 v15, 28, v14
	v_and_b32_e32 v11, 15, v11
	v_lshlrev_b32_e32 v15, v15, v16
	v_sub_u32_e32 v14, 29, v14
	v_and_b32_e32 v15, 7, v15
	v_cmp_eq_u16_e32 vcc, 0, v11
	v_cndmask_b32_e32 v10, v10, v15, vcc
	v_cndmask_b32_e32 v11, v11, v14, vcc
	v_lshlrev_b32_e32 v14, 24, v16
	v_mov_b32_e32 v15, 0x3b800000
	v_lshlrev_b32_e32 v10, 20, v10
	v_and_b32_e32 v14, 0x80000000, v14
	v_lshl_add_u32 v11, v11, 23, v15
	v_or3_b32 v10, v14, v11, v10
.LBB50_1348:
	s_or_b64 exec, exec, s[6:7]
	s_movk_i32 s4, 0x7f
	v_cmp_gt_i16_sdwa s[6:7], v12, s4 src0_sel:BYTE_0 src1_sel:DWORD
	s_mov_b64 s[4:5], 0
                                        ; implicit-def: $sgpr10
	s_and_saveexec_b64 s[8:9], s[6:7]
	s_xor_b64 s[6:7], exec, s[8:9]
	s_cbranch_execnz .LBB50_3397
; %bb.1349:
	s_or_saveexec_b64 s[6:7], s[6:7]
	v_mov_b32_e32 v11, s10
	s_xor_b64 exec, exec, s[6:7]
	s_cbranch_execnz .LBB50_3400
.LBB50_1350:
	s_or_b64 exec, exec, s[6:7]
	s_and_saveexec_b64 s[6:7], s[4:5]
	s_cbranch_execz .LBB50_1352
.LBB50_1351:
	v_and_b32_e32 v11, 7, v12
	v_ffbh_u32_e32 v15, v11
	v_min_u32_e32 v15, 32, v15
	v_lshrrev_b16_e32 v14, 3, v12
	v_subrev_u32_e32 v20, 28, v15
	v_and_b32_e32 v14, 15, v14
	v_lshlrev_b32_e32 v20, v20, v12
	v_sub_u32_e32 v15, 29, v15
	v_and_b32_e32 v20, 7, v20
	v_cmp_eq_u16_e32 vcc, 0, v14
	v_cndmask_b32_e32 v11, v11, v20, vcc
	v_cndmask_b32_e32 v14, v14, v15, vcc
	v_lshlrev_b32_e32 v15, 24, v12
	v_mov_b32_e32 v20, 0x3b800000
	v_lshlrev_b32_e32 v11, 20, v11
	v_and_b32_e32 v15, 0x80000000, v15
	v_lshl_add_u32 v14, v14, 23, v20
	v_or3_b32 v11, v15, v14, v11
.LBB50_1352:
	s_or_b64 exec, exec, s[6:7]
	s_nop 0
	v_mfma_f32_16x16x4f32 a[0:3], v10, v11, a[0:3]
	v_lshrrev_b32_e32 v11, 8, v16
	s_movk_i32 s4, 0x7f
	v_cmp_gt_i16_sdwa s[6:7], v11, s4 src0_sel:BYTE_0 src1_sel:DWORD
	s_mov_b64 s[4:5], 0
                                        ; implicit-def: $sgpr10
	s_and_saveexec_b64 s[8:9], s[6:7]
	s_xor_b64 s[6:7], exec, s[8:9]
	s_cbranch_execnz .LBB50_3401
; %bb.1353:
	s_or_saveexec_b64 s[6:7], s[6:7]
	v_mov_b32_e32 v10, s10
	s_xor_b64 exec, exec, s[6:7]
	s_cbranch_execnz .LBB50_3404
.LBB50_1354:
	s_or_b64 exec, exec, s[6:7]
	s_and_saveexec_b64 s[6:7], s[4:5]
	s_cbranch_execz .LBB50_1356
.LBB50_1355:
	v_bfe_u32 v10, v16, 8, 3
	v_ffbh_u32_e32 v15, v10
	v_min_u32_e32 v15, 32, v15
	v_lshrrev_b16_e32 v14, 3, v11
	v_subrev_u32_e32 v20, 28, v15
	v_and_b32_e32 v14, 15, v14
	v_lshlrev_b32_e32 v11, v20, v11
	v_sub_u32_e32 v15, 29, v15
	v_and_b32_e32 v11, 7, v11
	v_cmp_eq_u16_e32 vcc, 0, v14
	v_cndmask_b32_e32 v10, v10, v11, vcc
	v_cndmask_b32_e32 v11, v14, v15, vcc
	v_lshlrev_b32_e32 v14, 16, v16
	v_mov_b32_e32 v15, 0x3b800000
	v_lshlrev_b32_e32 v10, 20, v10
	v_and_b32_e32 v14, 0x80000000, v14
	v_lshl_add_u32 v11, v11, 23, v15
	v_or3_b32 v10, v14, v11, v10
.LBB50_1356:
	s_or_b64 exec, exec, s[6:7]
	v_lshrrev_b32_e32 v11, 8, v12
	s_movk_i32 s4, 0x7f
	v_cmp_gt_i16_sdwa s[6:7], v11, s4 src0_sel:BYTE_0 src1_sel:DWORD
	s_mov_b64 s[4:5], 0
                                        ; implicit-def: $sgpr10
	s_and_saveexec_b64 s[8:9], s[6:7]
	s_xor_b64 s[6:7], exec, s[8:9]
	s_cbranch_execnz .LBB50_3405
; %bb.1357:
	s_or_saveexec_b64 s[6:7], s[6:7]
	v_mov_b32_e32 v14, s10
	s_xor_b64 exec, exec, s[6:7]
	s_cbranch_execnz .LBB50_3408
.LBB50_1358:
	s_or_b64 exec, exec, s[6:7]
	s_and_saveexec_b64 s[6:7], s[4:5]
	s_cbranch_execz .LBB50_1360
.LBB50_1359:
	v_bfe_u32 v14, v12, 8, 3
	v_ffbh_u32_e32 v20, v14
	v_min_u32_e32 v20, 32, v20
	v_lshrrev_b16_e32 v15, 3, v11
	v_subrev_u32_e32 v21, 28, v20
	v_and_b32_e32 v15, 15, v15
	v_lshlrev_b32_e32 v11, v21, v11
	v_sub_u32_e32 v20, 29, v20
	v_and_b32_e32 v11, 7, v11
	v_cmp_eq_u16_e32 vcc, 0, v15
	v_cndmask_b32_e32 v11, v14, v11, vcc
	v_cndmask_b32_e32 v14, v15, v20, vcc
	v_lshlrev_b32_e32 v15, 16, v12
	v_mov_b32_e32 v20, 0x3b800000
	v_lshlrev_b32_e32 v11, 20, v11
	v_and_b32_e32 v15, 0x80000000, v15
	v_lshl_add_u32 v14, v14, 23, v20
	v_or3_b32 v14, v15, v14, v11
.LBB50_1360:
	s_or_b64 exec, exec, s[6:7]
	s_nop 0
	v_mfma_f32_16x16x4f32 a[0:3], v10, v14, a[0:3]
	s_movk_i32 s4, 0xff
	v_and_b32_sdwa v11, v16, s4 dst_sel:DWORD dst_unused:UNUSED_PAD src0_sel:WORD_1 src1_sel:DWORD
	s_movk_i32 s4, 0x7f
	v_cmp_lt_i16_e32 vcc, s4, v11
	s_mov_b64 s[4:5], 0
                                        ; implicit-def: $sgpr10
	s_and_saveexec_b64 s[6:7], vcc
	s_xor_b64 s[6:7], exec, s[6:7]
	s_cbranch_execnz .LBB50_3409
; %bb.1361:
	s_or_saveexec_b64 s[6:7], s[6:7]
	v_mov_b32_e32 v10, s10
	s_xor_b64 exec, exec, s[6:7]
	s_cbranch_execnz .LBB50_3412
.LBB50_1362:
	s_or_b64 exec, exec, s[6:7]
	s_and_saveexec_b64 s[6:7], s[4:5]
	s_cbranch_execz .LBB50_1364
.LBB50_1363:
	v_bfe_u32 v10, v16, 16, 3
	v_ffbh_u32_e32 v15, v10
	v_min_u32_e32 v15, 32, v15
	v_lshrrev_b32_e32 v11, 19, v16
	v_subrev_u32_e32 v20, 28, v15
	v_and_b32_e32 v11, 15, v11
	v_lshlrev_b32_sdwa v20, v20, v16 dst_sel:DWORD dst_unused:UNUSED_PAD src0_sel:DWORD src1_sel:WORD_1
	v_bfe_u32 v14, v16, 19, 4
	v_sub_u32_e32 v15, 29, v15
	v_and_b32_e32 v20, 7, v20
	v_cmp_eq_u16_e32 vcc, 0, v11
	v_cndmask_b32_e32 v10, v10, v20, vcc
	v_cndmask_b32_e32 v11, v14, v15, vcc
	v_lshlrev_b32_e32 v14, 8, v16
	v_mov_b32_e32 v15, 0x3b800000
	v_lshlrev_b32_e32 v10, 20, v10
	v_and_b32_e32 v14, 0x80000000, v14
	v_lshl_add_u32 v11, v11, 23, v15
	v_or3_b32 v10, v14, v11, v10
.LBB50_1364:
	s_or_b64 exec, exec, s[6:7]
	s_movk_i32 s4, 0xff
	v_and_b32_sdwa v11, v12, s4 dst_sel:DWORD dst_unused:UNUSED_PAD src0_sel:WORD_1 src1_sel:DWORD
	s_movk_i32 s4, 0x7f
	v_cmp_lt_i16_e32 vcc, s4, v11
	s_mov_b64 s[4:5], 0
                                        ; implicit-def: $sgpr10
	s_and_saveexec_b64 s[6:7], vcc
	s_xor_b64 s[6:7], exec, s[6:7]
	s_cbranch_execnz .LBB50_3413
; %bb.1365:
	s_or_saveexec_b64 s[6:7], s[6:7]
	v_mov_b32_e32 v14, s10
	s_xor_b64 exec, exec, s[6:7]
	s_cbranch_execnz .LBB50_3416
.LBB50_1366:
	s_or_b64 exec, exec, s[6:7]
	s_and_saveexec_b64 s[6:7], s[4:5]
	s_cbranch_execz .LBB50_1368
.LBB50_1367:
	v_bfe_u32 v11, v12, 16, 3
	v_ffbh_u32_e32 v20, v11
	v_min_u32_e32 v20, 32, v20
	v_lshrrev_b32_e32 v14, 19, v12
	v_subrev_u32_e32 v21, 28, v20
	v_and_b32_e32 v14, 15, v14
	v_lshlrev_b32_sdwa v21, v21, v12 dst_sel:DWORD dst_unused:UNUSED_PAD src0_sel:DWORD src1_sel:WORD_1
	v_bfe_u32 v15, v12, 19, 4
	v_sub_u32_e32 v20, 29, v20
	v_and_b32_e32 v21, 7, v21
	v_cmp_eq_u16_e32 vcc, 0, v14
	v_cndmask_b32_e32 v11, v11, v21, vcc
	v_cndmask_b32_e32 v14, v15, v20, vcc
	v_lshlrev_b32_e32 v15, 8, v12
	v_mov_b32_e32 v20, 0x3b800000
	v_lshlrev_b32_e32 v11, 20, v11
	v_and_b32_e32 v15, 0x80000000, v15
	v_lshl_add_u32 v14, v14, 23, v20
	v_or3_b32 v14, v15, v14, v11
.LBB50_1368:
	s_or_b64 exec, exec, s[6:7]
	s_nop 0
	v_mfma_f32_16x16x4f32 a[0:3], v10, v14, a[0:3]
	s_movk_i32 s4, 0x7f
	v_cmp_gt_i16_sdwa s[6:7], v16, s4 src0_sel:BYTE_3 src1_sel:DWORD
	s_mov_b64 s[4:5], 0
                                        ; implicit-def: $sgpr10
	s_and_saveexec_b64 s[8:9], s[6:7]
	s_xor_b64 s[6:7], exec, s[8:9]
	s_cbranch_execnz .LBB50_3417
; %bb.1369:
	s_or_saveexec_b64 s[6:7], s[6:7]
	v_mov_b32_e32 v10, s10
	s_xor_b64 exec, exec, s[6:7]
	s_cbranch_execnz .LBB50_3420
.LBB50_1370:
	s_or_b64 exec, exec, s[6:7]
	s_and_saveexec_b64 s[6:7], s[4:5]
	s_cbranch_execz .LBB50_1372
.LBB50_1371:
	v_bfe_u32 v10, v16, 24, 3
	v_ffbh_u32_e32 v20, v10
	v_min_u32_e32 v20, 32, v20
	v_lshrrev_b32_e32 v14, 27, v16
	v_subrev_u32_e32 v21, 28, v20
	v_and_b32_e32 v11, 0x80000000, v16
	v_and_b32_e32 v14, 15, v14
	v_bfe_u32 v15, v16, 27, 4
	v_lshlrev_b32_sdwa v16, v21, v16 dst_sel:DWORD dst_unused:UNUSED_PAD src0_sel:DWORD src1_sel:BYTE_3
	v_sub_u32_e32 v20, 29, v20
	v_and_b32_e32 v16, 7, v16
	v_cmp_eq_u16_e32 vcc, 0, v14
	v_cndmask_b32_e32 v10, v10, v16, vcc
	v_cndmask_b32_e32 v14, v15, v20, vcc
	v_mov_b32_e32 v15, 0x3b800000
	v_lshlrev_b32_e32 v10, 20, v10
	v_lshl_add_u32 v14, v14, 23, v15
	v_or3_b32 v10, v11, v14, v10
.LBB50_1372:
	s_or_b64 exec, exec, s[6:7]
	s_movk_i32 s4, 0x7f
	v_cmp_gt_i16_sdwa s[6:7], v12, s4 src0_sel:BYTE_3 src1_sel:DWORD
	s_mov_b64 s[4:5], 0
                                        ; implicit-def: $sgpr10
	s_and_saveexec_b64 s[8:9], s[6:7]
	s_xor_b64 s[6:7], exec, s[8:9]
	s_cbranch_execnz .LBB50_3421
; %bb.1373:
	s_or_saveexec_b64 s[6:7], s[6:7]
	v_mov_b32_e32 v11, s10
	s_xor_b64 exec, exec, s[6:7]
	s_cbranch_execnz .LBB50_3424
.LBB50_1374:
	s_or_b64 exec, exec, s[6:7]
	s_and_saveexec_b64 s[6:7], s[4:5]
	s_cbranch_execz .LBB50_1376
.LBB50_1375:
	v_bfe_u32 v11, v12, 24, 3
	v_ffbh_u32_e32 v20, v11
	v_min_u32_e32 v20, 32, v20
	v_lshrrev_b32_e32 v15, 27, v12
	v_subrev_u32_e32 v21, 28, v20
	v_and_b32_e32 v14, 0x80000000, v12
	v_and_b32_e32 v15, 15, v15
	v_bfe_u32 v16, v12, 27, 4
	v_lshlrev_b32_sdwa v12, v21, v12 dst_sel:DWORD dst_unused:UNUSED_PAD src0_sel:DWORD src1_sel:BYTE_3
	v_sub_u32_e32 v20, 29, v20
	v_and_b32_e32 v12, 7, v12
	v_cmp_eq_u16_e32 vcc, 0, v15
	v_cndmask_b32_e32 v11, v11, v12, vcc
	v_cndmask_b32_e32 v12, v16, v20, vcc
	v_mov_b32_e32 v15, 0x3b800000
	v_lshlrev_b32_e32 v11, 20, v11
	v_lshl_add_u32 v12, v12, 23, v15
	v_or3_b32 v11, v14, v12, v11
.LBB50_1376:
	s_or_b64 exec, exec, s[6:7]
	s_nop 0
	v_mfma_f32_16x16x4f32 a[0:3], v10, v11, a[0:3]
	s_movk_i32 s4, 0x7f
	v_cmp_gt_i16_sdwa s[6:7], v17, s4 src0_sel:BYTE_0 src1_sel:DWORD
	s_mov_b64 s[4:5], 0
                                        ; implicit-def: $sgpr10
	s_and_saveexec_b64 s[8:9], s[6:7]
	s_xor_b64 s[6:7], exec, s[8:9]
	s_cbranch_execnz .LBB50_3425
; %bb.1377:
	s_or_saveexec_b64 s[6:7], s[6:7]
	v_mov_b32_e32 v10, s10
	s_xor_b64 exec, exec, s[6:7]
	s_cbranch_execnz .LBB50_3428
.LBB50_1378:
	s_or_b64 exec, exec, s[6:7]
	s_and_saveexec_b64 s[6:7], s[4:5]
	s_cbranch_execz .LBB50_1380
.LBB50_1379:
	v_and_b32_e32 v10, 7, v17
	v_ffbh_u32_e32 v12, v10
	v_min_u32_e32 v12, 32, v12
	v_lshrrev_b16_e32 v11, 3, v17
	v_subrev_u32_e32 v14, 28, v12
	v_and_b32_e32 v11, 15, v11
	v_lshlrev_b32_e32 v14, v14, v17
	v_sub_u32_e32 v12, 29, v12
	v_and_b32_e32 v14, 7, v14
	v_cmp_eq_u16_e32 vcc, 0, v11
	v_cndmask_b32_e32 v10, v10, v14, vcc
	v_cndmask_b32_e32 v11, v11, v12, vcc
	v_lshlrev_b32_e32 v12, 24, v17
	v_mov_b32_e32 v14, 0x3b800000
	v_lshlrev_b32_e32 v10, 20, v10
	v_and_b32_e32 v12, 0x80000000, v12
	v_lshl_add_u32 v11, v11, 23, v14
	v_or3_b32 v10, v12, v11, v10
.LBB50_1380:
	s_or_b64 exec, exec, s[6:7]
	s_movk_i32 s4, 0x7f
	v_cmp_gt_i16_sdwa s[6:7], v13, s4 src0_sel:BYTE_0 src1_sel:DWORD
	s_mov_b64 s[4:5], 0
                                        ; implicit-def: $sgpr10
	s_and_saveexec_b64 s[8:9], s[6:7]
	s_xor_b64 s[6:7], exec, s[8:9]
	s_cbranch_execnz .LBB50_3429
; %bb.1381:
	s_or_saveexec_b64 s[6:7], s[6:7]
	v_mov_b32_e32 v11, s10
	s_xor_b64 exec, exec, s[6:7]
	s_cbranch_execnz .LBB50_3432
.LBB50_1382:
	s_or_b64 exec, exec, s[6:7]
	s_and_saveexec_b64 s[6:7], s[4:5]
	s_cbranch_execz .LBB50_1384
.LBB50_1383:
	v_and_b32_e32 v11, 7, v13
	v_ffbh_u32_e32 v14, v11
	v_min_u32_e32 v14, 32, v14
	v_lshrrev_b16_e32 v12, 3, v13
	v_subrev_u32_e32 v15, 28, v14
	v_and_b32_e32 v12, 15, v12
	v_lshlrev_b32_e32 v15, v15, v13
	v_sub_u32_e32 v14, 29, v14
	v_and_b32_e32 v15, 7, v15
	v_cmp_eq_u16_e32 vcc, 0, v12
	v_cndmask_b32_e32 v11, v11, v15, vcc
	v_cndmask_b32_e32 v12, v12, v14, vcc
	v_lshlrev_b32_e32 v14, 24, v13
	v_mov_b32_e32 v15, 0x3b800000
	v_lshlrev_b32_e32 v11, 20, v11
	v_and_b32_e32 v14, 0x80000000, v14
	v_lshl_add_u32 v12, v12, 23, v15
	v_or3_b32 v11, v14, v12, v11
.LBB50_1384:
	s_or_b64 exec, exec, s[6:7]
	s_nop 0
	v_mfma_f32_16x16x4f32 a[0:3], v10, v11, a[0:3]
	v_lshrrev_b32_e32 v11, 8, v17
	s_movk_i32 s4, 0x7f
	v_cmp_gt_i16_sdwa s[6:7], v11, s4 src0_sel:BYTE_0 src1_sel:DWORD
	s_mov_b64 s[4:5], 0
                                        ; implicit-def: $sgpr10
	s_and_saveexec_b64 s[8:9], s[6:7]
	s_xor_b64 s[6:7], exec, s[8:9]
	s_cbranch_execnz .LBB50_3433
; %bb.1385:
	s_or_saveexec_b64 s[6:7], s[6:7]
	v_mov_b32_e32 v10, s10
	s_xor_b64 exec, exec, s[6:7]
	s_cbranch_execnz .LBB50_3436
.LBB50_1386:
	s_or_b64 exec, exec, s[6:7]
	s_and_saveexec_b64 s[6:7], s[4:5]
	s_cbranch_execz .LBB50_1388
.LBB50_1387:
	v_bfe_u32 v10, v17, 8, 3
	v_ffbh_u32_e32 v14, v10
	v_min_u32_e32 v14, 32, v14
	v_lshrrev_b16_e32 v12, 3, v11
	v_subrev_u32_e32 v15, 28, v14
	v_and_b32_e32 v12, 15, v12
	v_lshlrev_b32_e32 v11, v15, v11
	v_sub_u32_e32 v14, 29, v14
	v_and_b32_e32 v11, 7, v11
	v_cmp_eq_u16_e32 vcc, 0, v12
	v_cndmask_b32_e32 v10, v10, v11, vcc
	v_cndmask_b32_e32 v11, v12, v14, vcc
	v_lshlrev_b32_e32 v12, 16, v17
	v_mov_b32_e32 v14, 0x3b800000
	v_lshlrev_b32_e32 v10, 20, v10
	v_and_b32_e32 v12, 0x80000000, v12
	v_lshl_add_u32 v11, v11, 23, v14
	v_or3_b32 v10, v12, v11, v10
.LBB50_1388:
	s_or_b64 exec, exec, s[6:7]
	v_lshrrev_b32_e32 v11, 8, v13
	s_movk_i32 s4, 0x7f
	v_cmp_gt_i16_sdwa s[6:7], v11, s4 src0_sel:BYTE_0 src1_sel:DWORD
	s_mov_b64 s[4:5], 0
                                        ; implicit-def: $sgpr10
	s_and_saveexec_b64 s[8:9], s[6:7]
	s_xor_b64 s[6:7], exec, s[8:9]
	s_cbranch_execnz .LBB50_3437
; %bb.1389:
	s_or_saveexec_b64 s[6:7], s[6:7]
	v_mov_b32_e32 v12, s10
	s_xor_b64 exec, exec, s[6:7]
	s_cbranch_execnz .LBB50_3440
.LBB50_1390:
	s_or_b64 exec, exec, s[6:7]
	s_and_saveexec_b64 s[6:7], s[4:5]
	s_cbranch_execz .LBB50_1392
.LBB50_1391:
	v_bfe_u32 v12, v13, 8, 3
	v_ffbh_u32_e32 v15, v12
	v_min_u32_e32 v15, 32, v15
	v_lshrrev_b16_e32 v14, 3, v11
	v_subrev_u32_e32 v16, 28, v15
	v_and_b32_e32 v14, 15, v14
	v_lshlrev_b32_e32 v11, v16, v11
	v_sub_u32_e32 v15, 29, v15
	v_and_b32_e32 v11, 7, v11
	v_cmp_eq_u16_e32 vcc, 0, v14
	v_cndmask_b32_e32 v11, v12, v11, vcc
	v_cndmask_b32_e32 v12, v14, v15, vcc
	v_lshlrev_b32_e32 v14, 16, v13
	v_mov_b32_e32 v15, 0x3b800000
	v_lshlrev_b32_e32 v11, 20, v11
	v_and_b32_e32 v14, 0x80000000, v14
	v_lshl_add_u32 v12, v12, 23, v15
	v_or3_b32 v12, v14, v12, v11
.LBB50_1392:
	s_or_b64 exec, exec, s[6:7]
	s_nop 0
	v_mfma_f32_16x16x4f32 a[0:3], v10, v12, a[0:3]
	s_movk_i32 s4, 0xff
	v_and_b32_sdwa v11, v17, s4 dst_sel:DWORD dst_unused:UNUSED_PAD src0_sel:WORD_1 src1_sel:DWORD
	s_movk_i32 s4, 0x7f
	v_cmp_lt_i16_e32 vcc, s4, v11
	s_mov_b64 s[4:5], 0
                                        ; implicit-def: $sgpr10
	s_and_saveexec_b64 s[6:7], vcc
	s_xor_b64 s[6:7], exec, s[6:7]
	s_cbranch_execnz .LBB50_3441
; %bb.1393:
	s_or_saveexec_b64 s[6:7], s[6:7]
	v_mov_b32_e32 v10, s10
	s_xor_b64 exec, exec, s[6:7]
	s_cbranch_execnz .LBB50_3444
.LBB50_1394:
	s_or_b64 exec, exec, s[6:7]
	s_and_saveexec_b64 s[6:7], s[4:5]
	s_cbranch_execz .LBB50_1396
.LBB50_1395:
	v_bfe_u32 v10, v17, 16, 3
	v_ffbh_u32_e32 v14, v10
	v_min_u32_e32 v14, 32, v14
	v_lshrrev_b32_e32 v11, 19, v17
	v_subrev_u32_e32 v15, 28, v14
	v_and_b32_e32 v11, 15, v11
	v_lshlrev_b32_sdwa v15, v15, v17 dst_sel:DWORD dst_unused:UNUSED_PAD src0_sel:DWORD src1_sel:WORD_1
	v_bfe_u32 v12, v17, 19, 4
	v_sub_u32_e32 v14, 29, v14
	v_and_b32_e32 v15, 7, v15
	v_cmp_eq_u16_e32 vcc, 0, v11
	v_cndmask_b32_e32 v10, v10, v15, vcc
	v_cndmask_b32_e32 v11, v12, v14, vcc
	v_lshlrev_b32_e32 v12, 8, v17
	v_mov_b32_e32 v14, 0x3b800000
	v_lshlrev_b32_e32 v10, 20, v10
	v_and_b32_e32 v12, 0x80000000, v12
	v_lshl_add_u32 v11, v11, 23, v14
	v_or3_b32 v10, v12, v11, v10
.LBB50_1396:
	s_or_b64 exec, exec, s[6:7]
	s_movk_i32 s4, 0xff
	v_and_b32_sdwa v11, v13, s4 dst_sel:DWORD dst_unused:UNUSED_PAD src0_sel:WORD_1 src1_sel:DWORD
	s_movk_i32 s4, 0x7f
	v_cmp_lt_i16_e32 vcc, s4, v11
	s_mov_b64 s[4:5], 0
                                        ; implicit-def: $sgpr10
	s_and_saveexec_b64 s[6:7], vcc
	s_xor_b64 s[6:7], exec, s[6:7]
	s_cbranch_execnz .LBB50_3445
; %bb.1397:
	s_or_saveexec_b64 s[6:7], s[6:7]
	v_mov_b32_e32 v12, s10
	s_xor_b64 exec, exec, s[6:7]
	s_cbranch_execnz .LBB50_3448
.LBB50_1398:
	s_or_b64 exec, exec, s[6:7]
	s_and_saveexec_b64 s[6:7], s[4:5]
	s_cbranch_execz .LBB50_1400
.LBB50_1399:
	v_bfe_u32 v11, v13, 16, 3
	v_ffbh_u32_e32 v15, v11
	v_min_u32_e32 v15, 32, v15
	v_lshrrev_b32_e32 v12, 19, v13
	v_subrev_u32_e32 v16, 28, v15
	v_and_b32_e32 v12, 15, v12
	v_lshlrev_b32_sdwa v16, v16, v13 dst_sel:DWORD dst_unused:UNUSED_PAD src0_sel:DWORD src1_sel:WORD_1
	v_bfe_u32 v14, v13, 19, 4
	v_sub_u32_e32 v15, 29, v15
	v_and_b32_e32 v16, 7, v16
	v_cmp_eq_u16_e32 vcc, 0, v12
	v_cndmask_b32_e32 v11, v11, v16, vcc
	v_cndmask_b32_e32 v12, v14, v15, vcc
	v_lshlrev_b32_e32 v14, 8, v13
	v_mov_b32_e32 v15, 0x3b800000
	v_lshlrev_b32_e32 v11, 20, v11
	v_and_b32_e32 v14, 0x80000000, v14
	v_lshl_add_u32 v12, v12, 23, v15
	v_or3_b32 v12, v14, v12, v11
.LBB50_1400:
	s_or_b64 exec, exec, s[6:7]
	s_nop 0
	v_mfma_f32_16x16x4f32 a[0:3], v10, v12, a[0:3]
	s_movk_i32 s4, 0x7f
	v_cmp_gt_i16_sdwa s[6:7], v17, s4 src0_sel:BYTE_3 src1_sel:DWORD
	s_mov_b64 s[4:5], 0
                                        ; implicit-def: $sgpr10
	s_and_saveexec_b64 s[8:9], s[6:7]
	s_xor_b64 s[6:7], exec, s[8:9]
	s_cbranch_execnz .LBB50_3449
; %bb.1401:
	s_or_saveexec_b64 s[6:7], s[6:7]
	v_mov_b32_e32 v10, s10
	s_xor_b64 exec, exec, s[6:7]
	s_cbranch_execnz .LBB50_3452
.LBB50_1402:
	s_or_b64 exec, exec, s[6:7]
	s_and_saveexec_b64 s[6:7], s[4:5]
	s_cbranch_execz .LBB50_1404
.LBB50_1403:
	v_bfe_u32 v10, v17, 24, 3
	v_ffbh_u32_e32 v15, v10
	v_min_u32_e32 v15, 32, v15
	v_lshrrev_b32_e32 v12, 27, v17
	v_subrev_u32_e32 v16, 28, v15
	v_and_b32_e32 v12, 15, v12
	v_lshlrev_b32_sdwa v16, v16, v17 dst_sel:DWORD dst_unused:UNUSED_PAD src0_sel:DWORD src1_sel:BYTE_3
	v_bfe_u32 v14, v17, 27, 4
	v_sub_u32_e32 v15, 29, v15
	v_and_b32_e32 v16, 7, v16
	v_cmp_eq_u16_e32 vcc, 0, v12
	v_cndmask_b32_e32 v10, v10, v16, vcc
	v_cndmask_b32_e32 v12, v14, v15, vcc
	v_mov_b32_e32 v14, 0x3b800000
	v_and_b32_e32 v11, 0x80000000, v17
	v_lshlrev_b32_e32 v10, 20, v10
	v_lshl_add_u32 v12, v12, 23, v14
	v_or3_b32 v10, v11, v12, v10
.LBB50_1404:
	s_or_b64 exec, exec, s[6:7]
	s_movk_i32 s4, 0x7f
	v_cmp_gt_i16_sdwa s[6:7], v13, s4 src0_sel:BYTE_3 src1_sel:DWORD
	s_mov_b64 s[4:5], 0
                                        ; implicit-def: $sgpr10
	s_and_saveexec_b64 s[8:9], s[6:7]
	s_xor_b64 s[6:7], exec, s[8:9]
	s_cbranch_execnz .LBB50_3453
; %bb.1405:
	s_or_saveexec_b64 s[6:7], s[6:7]
	v_mov_b32_e32 v11, s10
	s_xor_b64 exec, exec, s[6:7]
	s_cbranch_execnz .LBB50_3456
.LBB50_1406:
	s_or_b64 exec, exec, s[6:7]
	s_and_saveexec_b64 s[6:7], s[4:5]
	s_cbranch_execz .LBB50_1408
.LBB50_1407:
	v_bfe_u32 v11, v13, 24, 3
	v_ffbh_u32_e32 v16, v11
	v_min_u32_e32 v16, 32, v16
	v_lshrrev_b32_e32 v14, 27, v13
	v_subrev_u32_e32 v17, 28, v16
	v_and_b32_e32 v12, 0x80000000, v13
	v_and_b32_e32 v14, 15, v14
	v_bfe_u32 v15, v13, 27, 4
	v_lshlrev_b32_sdwa v13, v17, v13 dst_sel:DWORD dst_unused:UNUSED_PAD src0_sel:DWORD src1_sel:BYTE_3
	v_sub_u32_e32 v16, 29, v16
	v_and_b32_e32 v13, 7, v13
	v_cmp_eq_u16_e32 vcc, 0, v14
	v_cndmask_b32_e32 v11, v11, v13, vcc
	v_cndmask_b32_e32 v13, v15, v16, vcc
	v_mov_b32_e32 v14, 0x3b800000
	v_lshlrev_b32_e32 v11, 20, v11
	v_lshl_add_u32 v13, v13, 23, v14
	v_or3_b32 v11, v12, v13, v11
.LBB50_1408:
	s_or_b64 exec, exec, s[6:7]
	s_nop 0
	v_mfma_f32_16x16x4f32 a[0:3], v10, v11, a[0:3]
	s_movk_i32 s4, 0x7f
	v_cmp_gt_i16_sdwa s[6:7], v6, s4 src0_sel:BYTE_0 src1_sel:DWORD
	s_mov_b64 s[4:5], 0
                                        ; implicit-def: $sgpr10
	s_and_saveexec_b64 s[8:9], s[6:7]
	s_xor_b64 s[6:7], exec, s[8:9]
	s_cbranch_execnz .LBB50_3457
; %bb.1409:
	s_or_saveexec_b64 s[6:7], s[6:7]
	v_mov_b32_e32 v10, s10
	s_xor_b64 exec, exec, s[6:7]
	s_cbranch_execnz .LBB50_3460
.LBB50_1410:
	s_or_b64 exec, exec, s[6:7]
	s_and_saveexec_b64 s[6:7], s[4:5]
	s_cbranch_execz .LBB50_1412
.LBB50_1411:
	v_and_b32_e32 v10, 7, v6
	v_ffbh_u32_e32 v12, v10
	v_min_u32_e32 v12, 32, v12
	v_lshrrev_b16_e32 v11, 3, v6
	v_subrev_u32_e32 v13, 28, v12
	v_and_b32_e32 v11, 15, v11
	v_lshlrev_b32_e32 v13, v13, v6
	v_sub_u32_e32 v12, 29, v12
	v_and_b32_e32 v13, 7, v13
	v_cmp_eq_u16_e32 vcc, 0, v11
	v_cndmask_b32_e32 v10, v10, v13, vcc
	v_cndmask_b32_e32 v11, v11, v12, vcc
	v_lshlrev_b32_e32 v12, 24, v6
	v_mov_b32_e32 v13, 0x3b800000
	v_lshlrev_b32_e32 v10, 20, v10
	v_and_b32_e32 v12, 0x80000000, v12
	v_lshl_add_u32 v11, v11, 23, v13
	v_or3_b32 v10, v12, v11, v10
.LBB50_1412:
	s_or_b64 exec, exec, s[6:7]
	s_movk_i32 s4, 0x7f
	v_cmp_gt_i16_sdwa s[6:7], v2, s4 src0_sel:BYTE_0 src1_sel:DWORD
	s_mov_b64 s[4:5], 0
                                        ; implicit-def: $sgpr10
	s_and_saveexec_b64 s[8:9], s[6:7]
	s_xor_b64 s[6:7], exec, s[8:9]
	s_cbranch_execnz .LBB50_3461
; %bb.1413:
	s_or_saveexec_b64 s[6:7], s[6:7]
	v_mov_b32_e32 v11, s10
	s_xor_b64 exec, exec, s[6:7]
	s_cbranch_execnz .LBB50_3464
.LBB50_1414:
	s_or_b64 exec, exec, s[6:7]
	s_and_saveexec_b64 s[6:7], s[4:5]
	s_cbranch_execz .LBB50_1416
.LBB50_1415:
	v_and_b32_e32 v11, 7, v2
	v_ffbh_u32_e32 v13, v11
	v_min_u32_e32 v13, 32, v13
	v_lshrrev_b16_e32 v12, 3, v2
	v_subrev_u32_e32 v14, 28, v13
	v_and_b32_e32 v12, 15, v12
	v_lshlrev_b32_e32 v14, v14, v2
	v_sub_u32_e32 v13, 29, v13
	v_and_b32_e32 v14, 7, v14
	v_cmp_eq_u16_e32 vcc, 0, v12
	v_cndmask_b32_e32 v11, v11, v14, vcc
	v_cndmask_b32_e32 v12, v12, v13, vcc
	v_lshlrev_b32_e32 v13, 24, v2
	v_mov_b32_e32 v14, 0x3b800000
	v_lshlrev_b32_e32 v11, 20, v11
	v_and_b32_e32 v13, 0x80000000, v13
	v_lshl_add_u32 v12, v12, 23, v14
	v_or3_b32 v11, v13, v12, v11
.LBB50_1416:
	s_or_b64 exec, exec, s[6:7]
	s_nop 0
	v_mfma_f32_16x16x4f32 a[0:3], v10, v11, a[0:3]
	v_lshrrev_b32_e32 v11, 8, v6
	s_movk_i32 s4, 0x7f
	v_cmp_gt_i16_sdwa s[6:7], v11, s4 src0_sel:BYTE_0 src1_sel:DWORD
	s_mov_b64 s[4:5], 0
                                        ; implicit-def: $sgpr10
	s_and_saveexec_b64 s[8:9], s[6:7]
	s_xor_b64 s[6:7], exec, s[8:9]
	s_cbranch_execnz .LBB50_3465
; %bb.1417:
	s_or_saveexec_b64 s[6:7], s[6:7]
	v_mov_b32_e32 v10, s10
	s_xor_b64 exec, exec, s[6:7]
	s_cbranch_execnz .LBB50_3468
.LBB50_1418:
	s_or_b64 exec, exec, s[6:7]
	s_and_saveexec_b64 s[6:7], s[4:5]
	s_cbranch_execz .LBB50_1420
.LBB50_1419:
	v_bfe_u32 v10, v6, 8, 3
	v_ffbh_u32_e32 v13, v10
	v_min_u32_e32 v13, 32, v13
	v_lshrrev_b16_e32 v12, 3, v11
	v_subrev_u32_e32 v14, 28, v13
	v_and_b32_e32 v12, 15, v12
	v_lshlrev_b32_e32 v11, v14, v11
	v_sub_u32_e32 v13, 29, v13
	v_and_b32_e32 v11, 7, v11
	v_cmp_eq_u16_e32 vcc, 0, v12
	v_cndmask_b32_e32 v10, v10, v11, vcc
	v_cndmask_b32_e32 v11, v12, v13, vcc
	v_lshlrev_b32_e32 v12, 16, v6
	v_mov_b32_e32 v13, 0x3b800000
	v_lshlrev_b32_e32 v10, 20, v10
	v_and_b32_e32 v12, 0x80000000, v12
	v_lshl_add_u32 v11, v11, 23, v13
	v_or3_b32 v10, v12, v11, v10
.LBB50_1420:
	s_or_b64 exec, exec, s[6:7]
	v_lshrrev_b32_e32 v11, 8, v2
	s_movk_i32 s4, 0x7f
	v_cmp_gt_i16_sdwa s[6:7], v11, s4 src0_sel:BYTE_0 src1_sel:DWORD
	s_mov_b64 s[4:5], 0
                                        ; implicit-def: $sgpr10
	s_and_saveexec_b64 s[8:9], s[6:7]
	s_xor_b64 s[6:7], exec, s[8:9]
	s_cbranch_execnz .LBB50_3469
; %bb.1421:
	s_or_saveexec_b64 s[6:7], s[6:7]
	v_mov_b32_e32 v12, s10
	s_xor_b64 exec, exec, s[6:7]
	s_cbranch_execnz .LBB50_3472
.LBB50_1422:
	s_or_b64 exec, exec, s[6:7]
	s_and_saveexec_b64 s[6:7], s[4:5]
	s_cbranch_execz .LBB50_1424
.LBB50_1423:
	v_bfe_u32 v12, v2, 8, 3
	v_ffbh_u32_e32 v14, v12
	v_min_u32_e32 v14, 32, v14
	v_lshrrev_b16_e32 v13, 3, v11
	v_subrev_u32_e32 v15, 28, v14
	v_and_b32_e32 v13, 15, v13
	v_lshlrev_b32_e32 v11, v15, v11
	v_sub_u32_e32 v14, 29, v14
	v_and_b32_e32 v11, 7, v11
	v_cmp_eq_u16_e32 vcc, 0, v13
	v_cndmask_b32_e32 v11, v12, v11, vcc
	v_cndmask_b32_e32 v12, v13, v14, vcc
	v_lshlrev_b32_e32 v13, 16, v2
	v_mov_b32_e32 v14, 0x3b800000
	v_lshlrev_b32_e32 v11, 20, v11
	v_and_b32_e32 v13, 0x80000000, v13
	v_lshl_add_u32 v12, v12, 23, v14
	v_or3_b32 v12, v13, v12, v11
.LBB50_1424:
	s_or_b64 exec, exec, s[6:7]
	s_nop 0
	v_mfma_f32_16x16x4f32 a[0:3], v10, v12, a[0:3]
	s_movk_i32 s4, 0xff
	v_and_b32_sdwa v11, v6, s4 dst_sel:DWORD dst_unused:UNUSED_PAD src0_sel:WORD_1 src1_sel:DWORD
	s_movk_i32 s4, 0x7f
	v_cmp_lt_i16_e32 vcc, s4, v11
	s_mov_b64 s[4:5], 0
                                        ; implicit-def: $sgpr10
	s_and_saveexec_b64 s[6:7], vcc
	s_xor_b64 s[6:7], exec, s[6:7]
	s_cbranch_execnz .LBB50_3473
; %bb.1425:
	s_or_saveexec_b64 s[6:7], s[6:7]
	v_mov_b32_e32 v10, s10
	s_xor_b64 exec, exec, s[6:7]
	s_cbranch_execnz .LBB50_3476
.LBB50_1426:
	s_or_b64 exec, exec, s[6:7]
	s_and_saveexec_b64 s[6:7], s[4:5]
	s_cbranch_execz .LBB50_1428
.LBB50_1427:
	v_bfe_u32 v10, v6, 16, 3
	v_ffbh_u32_e32 v13, v10
	v_min_u32_e32 v13, 32, v13
	v_lshrrev_b32_e32 v11, 19, v6
	v_subrev_u32_e32 v14, 28, v13
	v_and_b32_e32 v11, 15, v11
	v_lshlrev_b32_sdwa v14, v14, v6 dst_sel:DWORD dst_unused:UNUSED_PAD src0_sel:DWORD src1_sel:WORD_1
	v_bfe_u32 v12, v6, 19, 4
	v_sub_u32_e32 v13, 29, v13
	v_and_b32_e32 v14, 7, v14
	v_cmp_eq_u16_e32 vcc, 0, v11
	v_cndmask_b32_e32 v10, v10, v14, vcc
	v_cndmask_b32_e32 v11, v12, v13, vcc
	v_lshlrev_b32_e32 v12, 8, v6
	v_mov_b32_e32 v13, 0x3b800000
	v_lshlrev_b32_e32 v10, 20, v10
	v_and_b32_e32 v12, 0x80000000, v12
	v_lshl_add_u32 v11, v11, 23, v13
	v_or3_b32 v10, v12, v11, v10
.LBB50_1428:
	s_or_b64 exec, exec, s[6:7]
	s_movk_i32 s4, 0xff
	v_and_b32_sdwa v11, v2, s4 dst_sel:DWORD dst_unused:UNUSED_PAD src0_sel:WORD_1 src1_sel:DWORD
	s_movk_i32 s4, 0x7f
	v_cmp_lt_i16_e32 vcc, s4, v11
	s_mov_b64 s[4:5], 0
                                        ; implicit-def: $sgpr10
	s_and_saveexec_b64 s[6:7], vcc
	s_xor_b64 s[6:7], exec, s[6:7]
	s_cbranch_execnz .LBB50_3477
; %bb.1429:
	s_or_saveexec_b64 s[6:7], s[6:7]
	v_mov_b32_e32 v12, s10
	s_xor_b64 exec, exec, s[6:7]
	s_cbranch_execnz .LBB50_3480
.LBB50_1430:
	s_or_b64 exec, exec, s[6:7]
	s_and_saveexec_b64 s[6:7], s[4:5]
	s_cbranch_execz .LBB50_1432
.LBB50_1431:
	v_bfe_u32 v11, v2, 16, 3
	v_ffbh_u32_e32 v14, v11
	v_min_u32_e32 v14, 32, v14
	v_lshrrev_b32_e32 v12, 19, v2
	v_subrev_u32_e32 v15, 28, v14
	v_and_b32_e32 v12, 15, v12
	v_lshlrev_b32_sdwa v15, v15, v2 dst_sel:DWORD dst_unused:UNUSED_PAD src0_sel:DWORD src1_sel:WORD_1
	v_bfe_u32 v13, v2, 19, 4
	v_sub_u32_e32 v14, 29, v14
	v_and_b32_e32 v15, 7, v15
	v_cmp_eq_u16_e32 vcc, 0, v12
	v_cndmask_b32_e32 v11, v11, v15, vcc
	v_cndmask_b32_e32 v12, v13, v14, vcc
	v_lshlrev_b32_e32 v13, 8, v2
	v_mov_b32_e32 v14, 0x3b800000
	v_lshlrev_b32_e32 v11, 20, v11
	v_and_b32_e32 v13, 0x80000000, v13
	v_lshl_add_u32 v12, v12, 23, v14
	v_or3_b32 v12, v13, v12, v11
.LBB50_1432:
	s_or_b64 exec, exec, s[6:7]
	s_nop 0
	v_mfma_f32_16x16x4f32 a[0:3], v10, v12, a[0:3]
	s_movk_i32 s4, 0x7f
	v_cmp_gt_i16_sdwa s[6:7], v6, s4 src0_sel:BYTE_3 src1_sel:DWORD
	s_mov_b64 s[4:5], 0
                                        ; implicit-def: $sgpr10
	s_and_saveexec_b64 s[8:9], s[6:7]
	s_xor_b64 s[6:7], exec, s[8:9]
	s_cbranch_execnz .LBB50_3481
; %bb.1433:
	s_or_saveexec_b64 s[6:7], s[6:7]
	v_mov_b32_e32 v10, s10
	s_xor_b64 exec, exec, s[6:7]
	s_cbranch_execnz .LBB50_3484
.LBB50_1434:
	s_or_b64 exec, exec, s[6:7]
	s_and_saveexec_b64 s[6:7], s[4:5]
	s_cbranch_execz .LBB50_1436
.LBB50_1435:
	v_bfe_u32 v10, v6, 24, 3
	v_ffbh_u32_e32 v14, v10
	v_min_u32_e32 v14, 32, v14
	v_lshrrev_b32_e32 v12, 27, v6
	v_subrev_u32_e32 v15, 28, v14
	v_and_b32_e32 v11, 0x80000000, v6
	v_and_b32_e32 v12, 15, v12
	v_bfe_u32 v13, v6, 27, 4
	v_lshlrev_b32_sdwa v6, v15, v6 dst_sel:DWORD dst_unused:UNUSED_PAD src0_sel:DWORD src1_sel:BYTE_3
	v_sub_u32_e32 v14, 29, v14
	v_and_b32_e32 v6, 7, v6
	v_cmp_eq_u16_e32 vcc, 0, v12
	v_cndmask_b32_e32 v6, v10, v6, vcc
	v_cndmask_b32_e32 v10, v13, v14, vcc
	v_mov_b32_e32 v12, 0x3b800000
	v_lshlrev_b32_e32 v6, 20, v6
	v_lshl_add_u32 v10, v10, 23, v12
	v_or3_b32 v10, v11, v10, v6
.LBB50_1436:
	s_or_b64 exec, exec, s[6:7]
	s_movk_i32 s4, 0x7f
	v_cmp_gt_i16_sdwa s[6:7], v2, s4 src0_sel:BYTE_3 src1_sel:DWORD
	s_mov_b64 s[4:5], 0
                                        ; implicit-def: $sgpr10
	s_and_saveexec_b64 s[8:9], s[6:7]
	s_xor_b64 s[6:7], exec, s[8:9]
	s_cbranch_execnz .LBB50_3485
; %bb.1437:
	s_or_saveexec_b64 s[6:7], s[6:7]
	v_mov_b32_e32 v6, s10
	s_xor_b64 exec, exec, s[6:7]
	s_cbranch_execnz .LBB50_3488
.LBB50_1438:
	s_or_b64 exec, exec, s[6:7]
	s_and_saveexec_b64 s[6:7], s[4:5]
	s_cbranch_execz .LBB50_1440
.LBB50_1439:
	v_bfe_u32 v6, v2, 24, 3
	v_ffbh_u32_e32 v14, v6
	v_min_u32_e32 v14, 32, v14
	v_lshrrev_b32_e32 v12, 27, v2
	v_subrev_u32_e32 v15, 28, v14
	v_and_b32_e32 v11, 0x80000000, v2
	v_and_b32_e32 v12, 15, v12
	v_bfe_u32 v13, v2, 27, 4
	v_lshlrev_b32_sdwa v2, v15, v2 dst_sel:DWORD dst_unused:UNUSED_PAD src0_sel:DWORD src1_sel:BYTE_3
	v_sub_u32_e32 v14, 29, v14
	v_and_b32_e32 v2, 7, v2
	v_cmp_eq_u16_e32 vcc, 0, v12
	v_cndmask_b32_e32 v2, v6, v2, vcc
	v_cndmask_b32_e32 v6, v13, v14, vcc
	v_mov_b32_e32 v12, 0x3b800000
	v_lshlrev_b32_e32 v2, 20, v2
	v_lshl_add_u32 v6, v6, 23, v12
	v_or3_b32 v6, v11, v6, v2
.LBB50_1440:
	s_or_b64 exec, exec, s[6:7]
	s_nop 0
	v_mfma_f32_16x16x4f32 a[0:3], v10, v6, a[0:3]
	s_movk_i32 s4, 0x7f
	v_cmp_gt_i16_sdwa s[6:7], v7, s4 src0_sel:BYTE_0 src1_sel:DWORD
	s_mov_b64 s[4:5], 0
                                        ; implicit-def: $sgpr10
	s_and_saveexec_b64 s[8:9], s[6:7]
	s_xor_b64 s[6:7], exec, s[8:9]
	s_cbranch_execnz .LBB50_3489
; %bb.1441:
	s_or_saveexec_b64 s[6:7], s[6:7]
	v_mov_b32_e32 v2, s10
	s_xor_b64 exec, exec, s[6:7]
	s_cbranch_execnz .LBB50_3492
.LBB50_1442:
	s_or_b64 exec, exec, s[6:7]
	s_and_saveexec_b64 s[6:7], s[4:5]
	s_cbranch_execz .LBB50_1444
.LBB50_1443:
	v_and_b32_e32 v2, 7, v7
	v_ffbh_u32_e32 v10, v2
	v_min_u32_e32 v10, 32, v10
	v_lshrrev_b16_e32 v6, 3, v7
	v_subrev_u32_e32 v11, 28, v10
	v_and_b32_e32 v6, 15, v6
	v_lshlrev_b32_e32 v11, v11, v7
	v_sub_u32_e32 v10, 29, v10
	v_and_b32_e32 v11, 7, v11
	v_cmp_eq_u16_e32 vcc, 0, v6
	v_cndmask_b32_e32 v2, v2, v11, vcc
	v_cndmask_b32_e32 v6, v6, v10, vcc
	v_lshlrev_b32_e32 v10, 24, v7
	v_mov_b32_e32 v11, 0x3b800000
	v_lshlrev_b32_e32 v2, 20, v2
	v_and_b32_e32 v10, 0x80000000, v10
	v_lshl_add_u32 v6, v6, 23, v11
	v_or3_b32 v2, v10, v6, v2
.LBB50_1444:
	s_or_b64 exec, exec, s[6:7]
	s_movk_i32 s4, 0x7f
	v_cmp_gt_i16_sdwa s[6:7], v3, s4 src0_sel:BYTE_0 src1_sel:DWORD
	s_mov_b64 s[4:5], 0
                                        ; implicit-def: $sgpr10
	s_and_saveexec_b64 s[8:9], s[6:7]
	s_xor_b64 s[6:7], exec, s[8:9]
	s_cbranch_execnz .LBB50_3493
; %bb.1445:
	s_or_saveexec_b64 s[6:7], s[6:7]
	v_mov_b32_e32 v6, s10
	s_xor_b64 exec, exec, s[6:7]
	s_cbranch_execnz .LBB50_3496
.LBB50_1446:
	s_or_b64 exec, exec, s[6:7]
	s_and_saveexec_b64 s[6:7], s[4:5]
	s_cbranch_execz .LBB50_1448
.LBB50_1447:
	v_and_b32_e32 v6, 7, v3
	v_ffbh_u32_e32 v11, v6
	v_min_u32_e32 v11, 32, v11
	v_lshrrev_b16_e32 v10, 3, v3
	v_subrev_u32_e32 v12, 28, v11
	v_and_b32_e32 v10, 15, v10
	v_lshlrev_b32_e32 v12, v12, v3
	v_sub_u32_e32 v11, 29, v11
	v_and_b32_e32 v12, 7, v12
	v_cmp_eq_u16_e32 vcc, 0, v10
	v_cndmask_b32_e32 v6, v6, v12, vcc
	v_cndmask_b32_e32 v10, v10, v11, vcc
	v_lshlrev_b32_e32 v11, 24, v3
	v_mov_b32_e32 v12, 0x3b800000
	v_lshlrev_b32_e32 v6, 20, v6
	v_and_b32_e32 v11, 0x80000000, v11
	v_lshl_add_u32 v10, v10, 23, v12
	v_or3_b32 v6, v11, v10, v6
.LBB50_1448:
	s_or_b64 exec, exec, s[6:7]
	s_nop 0
	v_mfma_f32_16x16x4f32 a[0:3], v2, v6, a[0:3]
	v_lshrrev_b32_e32 v6, 8, v7
	s_movk_i32 s4, 0x7f
	v_cmp_gt_i16_sdwa s[6:7], v6, s4 src0_sel:BYTE_0 src1_sel:DWORD
	s_mov_b64 s[4:5], 0
                                        ; implicit-def: $sgpr10
	s_and_saveexec_b64 s[8:9], s[6:7]
	s_xor_b64 s[6:7], exec, s[8:9]
	s_cbranch_execnz .LBB50_3497
; %bb.1449:
	s_or_saveexec_b64 s[6:7], s[6:7]
	v_mov_b32_e32 v2, s10
	s_xor_b64 exec, exec, s[6:7]
	s_cbranch_execnz .LBB50_3500
.LBB50_1450:
	s_or_b64 exec, exec, s[6:7]
	s_and_saveexec_b64 s[6:7], s[4:5]
	s_cbranch_execz .LBB50_1452
.LBB50_1451:
	v_bfe_u32 v2, v7, 8, 3
	v_ffbh_u32_e32 v11, v2
	v_min_u32_e32 v11, 32, v11
	v_lshrrev_b16_e32 v10, 3, v6
	v_subrev_u32_e32 v12, 28, v11
	v_and_b32_e32 v10, 15, v10
	v_lshlrev_b32_e32 v6, v12, v6
	v_sub_u32_e32 v11, 29, v11
	v_and_b32_e32 v6, 7, v6
	v_cmp_eq_u16_e32 vcc, 0, v10
	v_cndmask_b32_e32 v2, v2, v6, vcc
	v_cndmask_b32_e32 v6, v10, v11, vcc
	v_lshlrev_b32_e32 v10, 16, v7
	v_mov_b32_e32 v11, 0x3b800000
	v_lshlrev_b32_e32 v2, 20, v2
	v_and_b32_e32 v10, 0x80000000, v10
	v_lshl_add_u32 v6, v6, 23, v11
	v_or3_b32 v2, v10, v6, v2
.LBB50_1452:
	s_or_b64 exec, exec, s[6:7]
	v_lshrrev_b32_e32 v6, 8, v3
	s_movk_i32 s4, 0x7f
	v_cmp_gt_i16_sdwa s[6:7], v6, s4 src0_sel:BYTE_0 src1_sel:DWORD
	s_mov_b64 s[4:5], 0
                                        ; implicit-def: $sgpr10
	s_and_saveexec_b64 s[8:9], s[6:7]
	s_xor_b64 s[6:7], exec, s[8:9]
	s_cbranch_execnz .LBB50_3501
; %bb.1453:
	s_or_saveexec_b64 s[6:7], s[6:7]
	v_mov_b32_e32 v10, s10
	s_xor_b64 exec, exec, s[6:7]
	s_cbranch_execnz .LBB50_3504
.LBB50_1454:
	s_or_b64 exec, exec, s[6:7]
	s_and_saveexec_b64 s[6:7], s[4:5]
	s_cbranch_execz .LBB50_1456
.LBB50_1455:
	v_bfe_u32 v10, v3, 8, 3
	v_ffbh_u32_e32 v12, v10
	v_min_u32_e32 v12, 32, v12
	v_lshrrev_b16_e32 v11, 3, v6
	v_subrev_u32_e32 v13, 28, v12
	v_and_b32_e32 v11, 15, v11
	v_lshlrev_b32_e32 v6, v13, v6
	v_sub_u32_e32 v12, 29, v12
	v_and_b32_e32 v6, 7, v6
	v_cmp_eq_u16_e32 vcc, 0, v11
	v_cndmask_b32_e32 v6, v10, v6, vcc
	v_cndmask_b32_e32 v10, v11, v12, vcc
	v_lshlrev_b32_e32 v11, 16, v3
	v_mov_b32_e32 v12, 0x3b800000
	v_lshlrev_b32_e32 v6, 20, v6
	v_and_b32_e32 v11, 0x80000000, v11
	v_lshl_add_u32 v10, v10, 23, v12
	v_or3_b32 v10, v11, v10, v6
.LBB50_1456:
	s_or_b64 exec, exec, s[6:7]
	s_nop 0
	v_mfma_f32_16x16x4f32 a[0:3], v2, v10, a[0:3]
	s_movk_i32 s4, 0xff
	v_and_b32_sdwa v6, v7, s4 dst_sel:DWORD dst_unused:UNUSED_PAD src0_sel:WORD_1 src1_sel:DWORD
	s_movk_i32 s4, 0x7f
	v_cmp_lt_i16_e32 vcc, s4, v6
	s_mov_b64 s[4:5], 0
                                        ; implicit-def: $sgpr10
	s_and_saveexec_b64 s[6:7], vcc
	s_xor_b64 s[6:7], exec, s[6:7]
	s_cbranch_execnz .LBB50_3505
; %bb.1457:
	s_or_saveexec_b64 s[6:7], s[6:7]
	v_mov_b32_e32 v2, s10
	s_xor_b64 exec, exec, s[6:7]
	s_cbranch_execnz .LBB50_3508
.LBB50_1458:
	s_or_b64 exec, exec, s[6:7]
	s_and_saveexec_b64 s[6:7], s[4:5]
	s_cbranch_execz .LBB50_1460
.LBB50_1459:
	v_bfe_u32 v2, v7, 16, 3
	v_ffbh_u32_e32 v11, v2
	v_min_u32_e32 v11, 32, v11
	v_lshrrev_b32_e32 v6, 19, v7
	v_subrev_u32_e32 v12, 28, v11
	v_and_b32_e32 v6, 15, v6
	v_lshlrev_b32_sdwa v12, v12, v7 dst_sel:DWORD dst_unused:UNUSED_PAD src0_sel:DWORD src1_sel:WORD_1
	v_bfe_u32 v10, v7, 19, 4
	v_sub_u32_e32 v11, 29, v11
	v_and_b32_e32 v12, 7, v12
	v_cmp_eq_u16_e32 vcc, 0, v6
	v_cndmask_b32_e32 v2, v2, v12, vcc
	v_cndmask_b32_e32 v6, v10, v11, vcc
	v_lshlrev_b32_e32 v10, 8, v7
	v_mov_b32_e32 v11, 0x3b800000
	v_lshlrev_b32_e32 v2, 20, v2
	v_and_b32_e32 v10, 0x80000000, v10
	v_lshl_add_u32 v6, v6, 23, v11
	v_or3_b32 v2, v10, v6, v2
.LBB50_1460:
	s_or_b64 exec, exec, s[6:7]
	s_movk_i32 s4, 0xff
	v_and_b32_sdwa v6, v3, s4 dst_sel:DWORD dst_unused:UNUSED_PAD src0_sel:WORD_1 src1_sel:DWORD
	s_movk_i32 s4, 0x7f
	v_cmp_lt_i16_e32 vcc, s4, v6
	s_mov_b64 s[4:5], 0
                                        ; implicit-def: $sgpr10
	s_and_saveexec_b64 s[6:7], vcc
	s_xor_b64 s[6:7], exec, s[6:7]
	s_cbranch_execnz .LBB50_3509
; %bb.1461:
	s_or_saveexec_b64 s[6:7], s[6:7]
	v_mov_b32_e32 v10, s10
	s_xor_b64 exec, exec, s[6:7]
	s_cbranch_execnz .LBB50_3512
.LBB50_1462:
	s_or_b64 exec, exec, s[6:7]
	s_and_saveexec_b64 s[6:7], s[4:5]
	s_cbranch_execz .LBB50_1464
.LBB50_1463:
	v_bfe_u32 v6, v3, 16, 3
	v_ffbh_u32_e32 v12, v6
	v_min_u32_e32 v12, 32, v12
	v_lshrrev_b32_e32 v10, 19, v3
	v_subrev_u32_e32 v13, 28, v12
	v_and_b32_e32 v10, 15, v10
	v_lshlrev_b32_sdwa v13, v13, v3 dst_sel:DWORD dst_unused:UNUSED_PAD src0_sel:DWORD src1_sel:WORD_1
	v_bfe_u32 v11, v3, 19, 4
	v_sub_u32_e32 v12, 29, v12
	v_and_b32_e32 v13, 7, v13
	v_cmp_eq_u16_e32 vcc, 0, v10
	v_cndmask_b32_e32 v6, v6, v13, vcc
	v_cndmask_b32_e32 v10, v11, v12, vcc
	v_lshlrev_b32_e32 v11, 8, v3
	v_mov_b32_e32 v12, 0x3b800000
	v_lshlrev_b32_e32 v6, 20, v6
	v_and_b32_e32 v11, 0x80000000, v11
	v_lshl_add_u32 v10, v10, 23, v12
	v_or3_b32 v10, v11, v10, v6
.LBB50_1464:
	s_or_b64 exec, exec, s[6:7]
	s_nop 0
	v_mfma_f32_16x16x4f32 a[0:3], v2, v10, a[0:3]
	s_movk_i32 s4, 0x7f
	v_cmp_gt_i16_sdwa s[6:7], v7, s4 src0_sel:BYTE_3 src1_sel:DWORD
	s_mov_b64 s[4:5], 0
                                        ; implicit-def: $sgpr10
	s_and_saveexec_b64 s[8:9], s[6:7]
	s_xor_b64 s[6:7], exec, s[8:9]
	s_cbranch_execnz .LBB50_3513
; %bb.1465:
	s_or_saveexec_b64 s[6:7], s[6:7]
	v_mov_b32_e32 v2, s10
	s_xor_b64 exec, exec, s[6:7]
	s_cbranch_execnz .LBB50_3516
.LBB50_1466:
	s_or_b64 exec, exec, s[6:7]
	s_and_saveexec_b64 s[6:7], s[4:5]
	s_cbranch_execz .LBB50_1468
.LBB50_1467:
	v_bfe_u32 v2, v7, 24, 3
	v_ffbh_u32_e32 v12, v2
	v_min_u32_e32 v12, 32, v12
	v_lshrrev_b32_e32 v10, 27, v7
	v_subrev_u32_e32 v13, 28, v12
	v_and_b32_e32 v6, 0x80000000, v7
	v_and_b32_e32 v10, 15, v10
	v_bfe_u32 v11, v7, 27, 4
	v_lshlrev_b32_sdwa v7, v13, v7 dst_sel:DWORD dst_unused:UNUSED_PAD src0_sel:DWORD src1_sel:BYTE_3
	v_sub_u32_e32 v12, 29, v12
	v_and_b32_e32 v7, 7, v7
	v_cmp_eq_u16_e32 vcc, 0, v10
	v_cndmask_b32_e32 v2, v2, v7, vcc
	v_cndmask_b32_e32 v7, v11, v12, vcc
	v_mov_b32_e32 v10, 0x3b800000
	v_lshlrev_b32_e32 v2, 20, v2
	v_lshl_add_u32 v7, v7, 23, v10
	v_or3_b32 v2, v6, v7, v2
.LBB50_1468:
	s_or_b64 exec, exec, s[6:7]
	s_movk_i32 s4, 0x7f
	v_cmp_gt_i16_sdwa s[6:7], v3, s4 src0_sel:BYTE_3 src1_sel:DWORD
	s_mov_b64 s[4:5], 0
                                        ; implicit-def: $sgpr10
	s_and_saveexec_b64 s[8:9], s[6:7]
	s_xor_b64 s[6:7], exec, s[8:9]
	s_cbranch_execnz .LBB50_3517
; %bb.1469:
	s_or_saveexec_b64 s[6:7], s[6:7]
	v_mov_b32_e32 v6, s10
	s_xor_b64 exec, exec, s[6:7]
	s_cbranch_execnz .LBB50_3520
.LBB50_1470:
	s_or_b64 exec, exec, s[6:7]
	s_and_saveexec_b64 s[6:7], s[4:5]
	s_cbranch_execz .LBB50_1472
.LBB50_1471:
	v_bfe_u32 v6, v3, 24, 3
	v_ffbh_u32_e32 v12, v6
	v_min_u32_e32 v12, 32, v12
	v_lshrrev_b32_e32 v10, 27, v3
	v_subrev_u32_e32 v13, 28, v12
	v_and_b32_e32 v7, 0x80000000, v3
	v_and_b32_e32 v10, 15, v10
	v_bfe_u32 v11, v3, 27, 4
	v_lshlrev_b32_sdwa v3, v13, v3 dst_sel:DWORD dst_unused:UNUSED_PAD src0_sel:DWORD src1_sel:BYTE_3
	v_sub_u32_e32 v12, 29, v12
	v_and_b32_e32 v3, 7, v3
	v_cmp_eq_u16_e32 vcc, 0, v10
	v_cndmask_b32_e32 v3, v6, v3, vcc
	v_cndmask_b32_e32 v6, v11, v12, vcc
	v_mov_b32_e32 v10, 0x3b800000
	v_lshlrev_b32_e32 v3, 20, v3
	v_lshl_add_u32 v6, v6, 23, v10
	v_or3_b32 v6, v7, v6, v3
.LBB50_1472:
	s_or_b64 exec, exec, s[6:7]
	s_nop 0
	v_mfma_f32_16x16x4f32 a[0:3], v2, v6, a[0:3]
	s_movk_i32 s4, 0x7f
	v_cmp_gt_i16_sdwa s[6:7], v8, s4 src0_sel:BYTE_0 src1_sel:DWORD
	s_mov_b64 s[4:5], 0
                                        ; implicit-def: $sgpr10
	s_and_saveexec_b64 s[8:9], s[6:7]
	s_xor_b64 s[6:7], exec, s[8:9]
	s_cbranch_execnz .LBB50_3521
; %bb.1473:
	s_or_saveexec_b64 s[6:7], s[6:7]
	v_mov_b32_e32 v2, s10
	s_xor_b64 exec, exec, s[6:7]
	s_cbranch_execnz .LBB50_3524
.LBB50_1474:
	s_or_b64 exec, exec, s[6:7]
	s_and_saveexec_b64 s[6:7], s[4:5]
	s_cbranch_execz .LBB50_1476
.LBB50_1475:
	v_and_b32_e32 v2, 7, v8
	v_ffbh_u32_e32 v6, v2
	v_min_u32_e32 v6, 32, v6
	v_lshrrev_b16_e32 v3, 3, v8
	v_subrev_u32_e32 v7, 28, v6
	v_and_b32_e32 v3, 15, v3
	v_lshlrev_b32_e32 v7, v7, v8
	v_sub_u32_e32 v6, 29, v6
	v_and_b32_e32 v7, 7, v7
	v_cmp_eq_u16_e32 vcc, 0, v3
	v_cndmask_b32_e32 v2, v2, v7, vcc
	v_cndmask_b32_e32 v3, v3, v6, vcc
	v_lshlrev_b32_e32 v6, 24, v8
	v_mov_b32_e32 v7, 0x3b800000
	v_lshlrev_b32_e32 v2, 20, v2
	v_and_b32_e32 v6, 0x80000000, v6
	v_lshl_add_u32 v3, v3, 23, v7
	v_or3_b32 v2, v6, v3, v2
.LBB50_1476:
	s_or_b64 exec, exec, s[6:7]
	s_movk_i32 s4, 0x7f
	v_cmp_gt_i16_sdwa s[6:7], v4, s4 src0_sel:BYTE_0 src1_sel:DWORD
	s_mov_b64 s[4:5], 0
                                        ; implicit-def: $sgpr10
	s_and_saveexec_b64 s[8:9], s[6:7]
	s_xor_b64 s[6:7], exec, s[8:9]
	s_cbranch_execnz .LBB50_3525
; %bb.1477:
	s_or_saveexec_b64 s[6:7], s[6:7]
	v_mov_b32_e32 v3, s10
	s_xor_b64 exec, exec, s[6:7]
	s_cbranch_execnz .LBB50_3528
.LBB50_1478:
	s_or_b64 exec, exec, s[6:7]
	s_and_saveexec_b64 s[6:7], s[4:5]
	s_cbranch_execz .LBB50_1480
.LBB50_1479:
	v_and_b32_e32 v3, 7, v4
	v_ffbh_u32_e32 v7, v3
	v_min_u32_e32 v7, 32, v7
	v_lshrrev_b16_e32 v6, 3, v4
	v_subrev_u32_e32 v10, 28, v7
	v_and_b32_e32 v6, 15, v6
	v_lshlrev_b32_e32 v10, v10, v4
	v_sub_u32_e32 v7, 29, v7
	v_and_b32_e32 v10, 7, v10
	v_cmp_eq_u16_e32 vcc, 0, v6
	v_cndmask_b32_e32 v3, v3, v10, vcc
	v_cndmask_b32_e32 v6, v6, v7, vcc
	v_lshlrev_b32_e32 v7, 24, v4
	v_mov_b32_e32 v10, 0x3b800000
	v_lshlrev_b32_e32 v3, 20, v3
	v_and_b32_e32 v7, 0x80000000, v7
	v_lshl_add_u32 v6, v6, 23, v10
	v_or3_b32 v3, v7, v6, v3
.LBB50_1480:
	s_or_b64 exec, exec, s[6:7]
	s_nop 0
	v_mfma_f32_16x16x4f32 a[0:3], v2, v3, a[0:3]
	v_lshrrev_b32_e32 v3, 8, v8
	s_movk_i32 s4, 0x7f
	v_cmp_gt_i16_sdwa s[6:7], v3, s4 src0_sel:BYTE_0 src1_sel:DWORD
	s_mov_b64 s[4:5], 0
                                        ; implicit-def: $sgpr10
	s_and_saveexec_b64 s[8:9], s[6:7]
	s_xor_b64 s[6:7], exec, s[8:9]
	s_cbranch_execnz .LBB50_3529
; %bb.1481:
	s_or_saveexec_b64 s[6:7], s[6:7]
	v_mov_b32_e32 v2, s10
	s_xor_b64 exec, exec, s[6:7]
	s_cbranch_execnz .LBB50_3532
.LBB50_1482:
	s_or_b64 exec, exec, s[6:7]
	s_and_saveexec_b64 s[6:7], s[4:5]
	s_cbranch_execz .LBB50_1484
.LBB50_1483:
	v_bfe_u32 v2, v8, 8, 3
	v_ffbh_u32_e32 v7, v2
	v_min_u32_e32 v7, 32, v7
	v_lshrrev_b16_e32 v6, 3, v3
	v_subrev_u32_e32 v10, 28, v7
	v_and_b32_e32 v6, 15, v6
	v_lshlrev_b32_e32 v3, v10, v3
	v_sub_u32_e32 v7, 29, v7
	v_and_b32_e32 v3, 7, v3
	v_cmp_eq_u16_e32 vcc, 0, v6
	v_cndmask_b32_e32 v2, v2, v3, vcc
	v_cndmask_b32_e32 v3, v6, v7, vcc
	v_lshlrev_b32_e32 v6, 16, v8
	v_mov_b32_e32 v7, 0x3b800000
	v_lshlrev_b32_e32 v2, 20, v2
	v_and_b32_e32 v6, 0x80000000, v6
	v_lshl_add_u32 v3, v3, 23, v7
	v_or3_b32 v2, v6, v3, v2
.LBB50_1484:
	s_or_b64 exec, exec, s[6:7]
	v_lshrrev_b32_e32 v3, 8, v4
	s_movk_i32 s4, 0x7f
	v_cmp_gt_i16_sdwa s[6:7], v3, s4 src0_sel:BYTE_0 src1_sel:DWORD
	s_mov_b64 s[4:5], 0
                                        ; implicit-def: $sgpr10
	s_and_saveexec_b64 s[8:9], s[6:7]
	s_xor_b64 s[6:7], exec, s[8:9]
	s_cbranch_execnz .LBB50_3533
; %bb.1485:
	s_or_saveexec_b64 s[6:7], s[6:7]
	v_mov_b32_e32 v6, s10
	s_xor_b64 exec, exec, s[6:7]
	s_cbranch_execnz .LBB50_3536
.LBB50_1486:
	s_or_b64 exec, exec, s[6:7]
	s_and_saveexec_b64 s[6:7], s[4:5]
	s_cbranch_execz .LBB50_1488
.LBB50_1487:
	v_bfe_u32 v6, v4, 8, 3
	v_ffbh_u32_e32 v10, v6
	v_min_u32_e32 v10, 32, v10
	v_lshrrev_b16_e32 v7, 3, v3
	v_subrev_u32_e32 v11, 28, v10
	v_and_b32_e32 v7, 15, v7
	v_lshlrev_b32_e32 v3, v11, v3
	v_sub_u32_e32 v10, 29, v10
	v_and_b32_e32 v3, 7, v3
	v_cmp_eq_u16_e32 vcc, 0, v7
	v_cndmask_b32_e32 v3, v6, v3, vcc
	v_cndmask_b32_e32 v6, v7, v10, vcc
	v_lshlrev_b32_e32 v7, 16, v4
	v_mov_b32_e32 v10, 0x3b800000
	v_lshlrev_b32_e32 v3, 20, v3
	v_and_b32_e32 v7, 0x80000000, v7
	v_lshl_add_u32 v6, v6, 23, v10
	v_or3_b32 v6, v7, v6, v3
.LBB50_1488:
	s_or_b64 exec, exec, s[6:7]
	s_nop 0
	v_mfma_f32_16x16x4f32 a[0:3], v2, v6, a[0:3]
	s_movk_i32 s4, 0xff
	v_and_b32_sdwa v3, v8, s4 dst_sel:DWORD dst_unused:UNUSED_PAD src0_sel:WORD_1 src1_sel:DWORD
	s_movk_i32 s4, 0x7f
	v_cmp_lt_i16_e32 vcc, s4, v3
	s_mov_b64 s[4:5], 0
                                        ; implicit-def: $sgpr10
	s_and_saveexec_b64 s[6:7], vcc
	s_xor_b64 s[6:7], exec, s[6:7]
	s_cbranch_execnz .LBB50_3537
; %bb.1489:
	s_or_saveexec_b64 s[6:7], s[6:7]
	v_mov_b32_e32 v2, s10
	s_xor_b64 exec, exec, s[6:7]
	s_cbranch_execnz .LBB50_3540
.LBB50_1490:
	s_or_b64 exec, exec, s[6:7]
	s_and_saveexec_b64 s[6:7], s[4:5]
	s_cbranch_execz .LBB50_1492
.LBB50_1491:
	v_bfe_u32 v2, v8, 16, 3
	v_ffbh_u32_e32 v7, v2
	v_min_u32_e32 v7, 32, v7
	v_lshrrev_b32_e32 v3, 19, v8
	v_subrev_u32_e32 v10, 28, v7
	v_and_b32_e32 v3, 15, v3
	v_lshlrev_b32_sdwa v10, v10, v8 dst_sel:DWORD dst_unused:UNUSED_PAD src0_sel:DWORD src1_sel:WORD_1
	v_bfe_u32 v6, v8, 19, 4
	v_sub_u32_e32 v7, 29, v7
	v_and_b32_e32 v10, 7, v10
	v_cmp_eq_u16_e32 vcc, 0, v3
	v_cndmask_b32_e32 v2, v2, v10, vcc
	v_cndmask_b32_e32 v3, v6, v7, vcc
	v_lshlrev_b32_e32 v6, 8, v8
	v_mov_b32_e32 v7, 0x3b800000
	v_lshlrev_b32_e32 v2, 20, v2
	v_and_b32_e32 v6, 0x80000000, v6
	v_lshl_add_u32 v3, v3, 23, v7
	v_or3_b32 v2, v6, v3, v2
.LBB50_1492:
	s_or_b64 exec, exec, s[6:7]
	s_movk_i32 s4, 0xff
	v_and_b32_sdwa v3, v4, s4 dst_sel:DWORD dst_unused:UNUSED_PAD src0_sel:WORD_1 src1_sel:DWORD
	s_movk_i32 s4, 0x7f
	v_cmp_lt_i16_e32 vcc, s4, v3
	s_mov_b64 s[4:5], 0
                                        ; implicit-def: $sgpr10
	s_and_saveexec_b64 s[6:7], vcc
	s_xor_b64 s[6:7], exec, s[6:7]
	s_cbranch_execnz .LBB50_3541
; %bb.1493:
	s_or_saveexec_b64 s[6:7], s[6:7]
	v_mov_b32_e32 v6, s10
	s_xor_b64 exec, exec, s[6:7]
	s_cbranch_execnz .LBB50_3544
.LBB50_1494:
	s_or_b64 exec, exec, s[6:7]
	s_and_saveexec_b64 s[6:7], s[4:5]
	s_cbranch_execz .LBB50_1496
.LBB50_1495:
	v_bfe_u32 v3, v4, 16, 3
	v_ffbh_u32_e32 v10, v3
	v_min_u32_e32 v10, 32, v10
	v_lshrrev_b32_e32 v6, 19, v4
	v_subrev_u32_e32 v11, 28, v10
	v_and_b32_e32 v6, 15, v6
	v_lshlrev_b32_sdwa v11, v11, v4 dst_sel:DWORD dst_unused:UNUSED_PAD src0_sel:DWORD src1_sel:WORD_1
	v_bfe_u32 v7, v4, 19, 4
	v_sub_u32_e32 v10, 29, v10
	v_and_b32_e32 v11, 7, v11
	v_cmp_eq_u16_e32 vcc, 0, v6
	v_cndmask_b32_e32 v3, v3, v11, vcc
	v_cndmask_b32_e32 v6, v7, v10, vcc
	v_lshlrev_b32_e32 v7, 8, v4
	v_mov_b32_e32 v10, 0x3b800000
	v_lshlrev_b32_e32 v3, 20, v3
	v_and_b32_e32 v7, 0x80000000, v7
	v_lshl_add_u32 v6, v6, 23, v10
	v_or3_b32 v6, v7, v6, v3
.LBB50_1496:
	s_or_b64 exec, exec, s[6:7]
	s_nop 0
	v_mfma_f32_16x16x4f32 a[0:3], v2, v6, a[0:3]
	s_movk_i32 s4, 0x7f
	v_cmp_gt_i16_sdwa s[6:7], v8, s4 src0_sel:BYTE_3 src1_sel:DWORD
	s_mov_b64 s[4:5], 0
                                        ; implicit-def: $sgpr10
	s_and_saveexec_b64 s[8:9], s[6:7]
	s_xor_b64 s[6:7], exec, s[8:9]
	s_cbranch_execnz .LBB50_3545
; %bb.1497:
	s_or_saveexec_b64 s[6:7], s[6:7]
	v_mov_b32_e32 v2, s10
	s_xor_b64 exec, exec, s[6:7]
	s_cbranch_execnz .LBB50_3548
.LBB50_1498:
	s_or_b64 exec, exec, s[6:7]
	s_and_saveexec_b64 s[6:7], s[4:5]
	s_cbranch_execz .LBB50_1500
.LBB50_1499:
	v_bfe_u32 v2, v8, 24, 3
	v_ffbh_u32_e32 v10, v2
	v_min_u32_e32 v10, 32, v10
	v_lshrrev_b32_e32 v6, 27, v8
	v_subrev_u32_e32 v11, 28, v10
	v_and_b32_e32 v3, 0x80000000, v8
	v_and_b32_e32 v6, 15, v6
	v_bfe_u32 v7, v8, 27, 4
	v_lshlrev_b32_sdwa v8, v11, v8 dst_sel:DWORD dst_unused:UNUSED_PAD src0_sel:DWORD src1_sel:BYTE_3
	v_sub_u32_e32 v10, 29, v10
	v_and_b32_e32 v8, 7, v8
	v_cmp_eq_u16_e32 vcc, 0, v6
	v_cndmask_b32_e32 v2, v2, v8, vcc
	v_cndmask_b32_e32 v6, v7, v10, vcc
	v_mov_b32_e32 v7, 0x3b800000
	v_lshlrev_b32_e32 v2, 20, v2
	v_lshl_add_u32 v6, v6, 23, v7
	v_or3_b32 v2, v3, v6, v2
.LBB50_1500:
	s_or_b64 exec, exec, s[6:7]
	s_movk_i32 s4, 0x7f
	v_cmp_gt_i16_sdwa s[6:7], v4, s4 src0_sel:BYTE_3 src1_sel:DWORD
	s_mov_b64 s[4:5], 0
                                        ; implicit-def: $sgpr10
	s_and_saveexec_b64 s[8:9], s[6:7]
	s_xor_b64 s[6:7], exec, s[8:9]
	s_cbranch_execnz .LBB50_3549
; %bb.1501:
	s_or_saveexec_b64 s[6:7], s[6:7]
	v_mov_b32_e32 v3, s10
	s_xor_b64 exec, exec, s[6:7]
	s_cbranch_execnz .LBB50_3552
.LBB50_1502:
	s_or_b64 exec, exec, s[6:7]
	s_and_saveexec_b64 s[6:7], s[4:5]
	s_cbranch_execz .LBB50_1504
.LBB50_1503:
	v_bfe_u32 v3, v4, 24, 3
	v_ffbh_u32_e32 v10, v3
	v_min_u32_e32 v10, 32, v10
	v_lshrrev_b32_e32 v7, 27, v4
	v_subrev_u32_e32 v11, 28, v10
	v_and_b32_e32 v6, 0x80000000, v4
	v_and_b32_e32 v7, 15, v7
	v_bfe_u32 v8, v4, 27, 4
	v_lshlrev_b32_sdwa v4, v11, v4 dst_sel:DWORD dst_unused:UNUSED_PAD src0_sel:DWORD src1_sel:BYTE_3
	v_sub_u32_e32 v10, 29, v10
	v_and_b32_e32 v4, 7, v4
	v_cmp_eq_u16_e32 vcc, 0, v7
	v_cndmask_b32_e32 v3, v3, v4, vcc
	v_cndmask_b32_e32 v4, v8, v10, vcc
	v_mov_b32_e32 v7, 0x3b800000
	v_lshlrev_b32_e32 v3, 20, v3
	v_lshl_add_u32 v4, v4, 23, v7
	v_or3_b32 v3, v6, v4, v3
.LBB50_1504:
	s_or_b64 exec, exec, s[6:7]
	s_nop 0
	v_mfma_f32_16x16x4f32 a[0:3], v2, v3, a[0:3]
	s_movk_i32 s4, 0x7f
	v_cmp_gt_i16_sdwa s[6:7], v9, s4 src0_sel:BYTE_0 src1_sel:DWORD
	s_mov_b64 s[4:5], 0
                                        ; implicit-def: $sgpr10
	s_and_saveexec_b64 s[8:9], s[6:7]
	s_xor_b64 s[6:7], exec, s[8:9]
	s_cbranch_execnz .LBB50_3553
; %bb.1505:
	s_or_saveexec_b64 s[6:7], s[6:7]
	v_mov_b32_e32 v2, s10
	s_xor_b64 exec, exec, s[6:7]
	s_cbranch_execnz .LBB50_3556
.LBB50_1506:
	s_or_b64 exec, exec, s[6:7]
	s_and_saveexec_b64 s[6:7], s[4:5]
	s_cbranch_execz .LBB50_1508
.LBB50_1507:
	v_mov_b32_e32 v2, 8
	v_and_b32_e32 v3, 7, v9
	v_lshrrev_b32_sdwa v2, v2, v9 dst_sel:BYTE_1 dst_unused:UNUSED_PAD src0_sel:DWORD src1_sel:DWORD
	v_ffbh_u32_e32 v4, v3
	v_or_b32_sdwa v2, v9, v2 dst_sel:DWORD dst_unused:UNUSED_PAD src0_sel:BYTE_0 src1_sel:DWORD
	v_min_u32_e32 v4, 32, v4
	v_lshrrev_b16_e32 v2, 3, v2
	v_subrev_u32_e32 v6, 28, v4
	v_and_b32_e32 v2, 15, v2
	v_lshlrev_b32_e32 v6, v6, v9
	v_sub_u32_e32 v4, 29, v4
	v_and_b32_e32 v6, 7, v6
	v_cmp_eq_u16_e32 vcc, 0, v2
	v_cndmask_b32_e32 v3, v3, v6, vcc
	v_cndmask_b32_e32 v2, v2, v4, vcc
	v_lshlrev_b32_e32 v4, 24, v9
	v_mov_b32_e32 v6, 0x3b800000
	v_lshlrev_b32_e32 v3, 20, v3
	v_and_b32_e32 v4, 0x80000000, v4
	v_lshl_add_u32 v2, v2, 23, v6
	v_or3_b32 v2, v4, v2, v3
.LBB50_1508:
	s_or_b64 exec, exec, s[6:7]
	s_movk_i32 s4, 0x7f
	v_cmp_gt_i16_sdwa s[6:7], v5, s4 src0_sel:BYTE_0 src1_sel:DWORD
	s_mov_b64 s[4:5], 0
                                        ; implicit-def: $sgpr10
	s_and_saveexec_b64 s[8:9], s[6:7]
	s_xor_b64 s[6:7], exec, s[8:9]
	s_cbranch_execnz .LBB50_3557
; %bb.1509:
	s_or_saveexec_b64 s[6:7], s[6:7]
	v_mov_b32_e32 v3, s10
	s_xor_b64 exec, exec, s[6:7]
	s_cbranch_execnz .LBB50_3560
.LBB50_1510:
	s_or_b64 exec, exec, s[6:7]
	s_and_saveexec_b64 s[6:7], s[4:5]
	s_cbranch_execz .LBB50_1512
.LBB50_1511:
	v_mov_b32_e32 v3, 8
	v_and_b32_e32 v4, 7, v5
	v_lshrrev_b32_sdwa v3, v3, v5 dst_sel:BYTE_1 dst_unused:UNUSED_PAD src0_sel:DWORD src1_sel:DWORD
	v_ffbh_u32_e32 v6, v4
	v_or_b32_sdwa v3, v5, v3 dst_sel:DWORD dst_unused:UNUSED_PAD src0_sel:BYTE_0 src1_sel:DWORD
	v_min_u32_e32 v6, 32, v6
	v_lshrrev_b16_e32 v3, 3, v3
	v_subrev_u32_e32 v7, 28, v6
	v_and_b32_e32 v3, 15, v3
	v_lshlrev_b32_e32 v7, v7, v5
	v_sub_u32_e32 v6, 29, v6
	v_and_b32_e32 v7, 7, v7
	v_cmp_eq_u16_e32 vcc, 0, v3
	v_cndmask_b32_e32 v4, v4, v7, vcc
	v_cndmask_b32_e32 v3, v3, v6, vcc
	v_lshlrev_b32_e32 v6, 24, v5
	v_mov_b32_e32 v7, 0x3b800000
	v_lshlrev_b32_e32 v4, 20, v4
	v_and_b32_e32 v6, 0x80000000, v6
	v_lshl_add_u32 v3, v3, 23, v7
	v_or3_b32 v3, v6, v3, v4
.LBB50_1512:
	s_or_b64 exec, exec, s[6:7]
	s_nop 0
	v_mfma_f32_16x16x4f32 a[0:3], v2, v3, a[0:3]
	v_lshrrev_b32_e32 v3, 8, v9
	s_movk_i32 s4, 0x7f
	v_cmp_gt_i16_sdwa s[6:7], v3, s4 src0_sel:BYTE_0 src1_sel:DWORD
	s_mov_b64 s[4:5], 0
                                        ; implicit-def: $sgpr10
	s_and_saveexec_b64 s[8:9], s[6:7]
	s_xor_b64 s[6:7], exec, s[8:9]
	s_cbranch_execnz .LBB50_3561
; %bb.1513:
	s_or_saveexec_b64 s[6:7], s[6:7]
	v_mov_b32_e32 v2, s10
	s_xor_b64 exec, exec, s[6:7]
	s_cbranch_execnz .LBB50_3564
.LBB50_1514:
	s_or_b64 exec, exec, s[6:7]
	s_and_saveexec_b64 s[6:7], s[4:5]
	s_cbranch_execz .LBB50_1516
.LBB50_1515:
	v_bfe_u32 v2, v9, 8, 3
	v_ffbh_u32_e32 v6, v2
	v_min_u32_e32 v6, 32, v6
	v_lshrrev_b16_e32 v4, 3, v3
	v_subrev_u32_e32 v7, 28, v6
	v_and_b32_e32 v4, 15, v4
	v_lshlrev_b32_e32 v3, v7, v3
	v_sub_u32_e32 v6, 29, v6
	v_and_b32_e32 v3, 7, v3
	v_cmp_eq_u16_e32 vcc, 0, v4
	v_cndmask_b32_e32 v2, v2, v3, vcc
	v_cndmask_b32_e32 v3, v4, v6, vcc
	v_lshlrev_b32_e32 v4, 16, v9
	v_mov_b32_e32 v6, 0x3b800000
	v_lshlrev_b32_e32 v2, 20, v2
	v_and_b32_e32 v4, 0x80000000, v4
	v_lshl_add_u32 v3, v3, 23, v6
	v_or3_b32 v2, v4, v3, v2
.LBB50_1516:
	s_or_b64 exec, exec, s[6:7]
	v_lshrrev_b32_e32 v3, 8, v5
	s_movk_i32 s4, 0x7f
	v_cmp_gt_i16_sdwa s[6:7], v3, s4 src0_sel:BYTE_0 src1_sel:DWORD
	s_mov_b64 s[4:5], 0
                                        ; implicit-def: $sgpr10
	s_and_saveexec_b64 s[8:9], s[6:7]
	s_xor_b64 s[6:7], exec, s[8:9]
	s_cbranch_execnz .LBB50_3565
; %bb.1517:
	s_or_saveexec_b64 s[6:7], s[6:7]
	v_mov_b32_e32 v4, s10
	s_xor_b64 exec, exec, s[6:7]
	s_cbranch_execnz .LBB50_3568
.LBB50_1518:
	s_or_b64 exec, exec, s[6:7]
	s_and_saveexec_b64 s[6:7], s[4:5]
	s_cbranch_execz .LBB50_1520
.LBB50_1519:
	v_bfe_u32 v4, v5, 8, 3
	v_ffbh_u32_e32 v7, v4
	v_min_u32_e32 v7, 32, v7
	v_lshrrev_b16_e32 v6, 3, v3
	v_subrev_u32_e32 v8, 28, v7
	v_and_b32_e32 v6, 15, v6
	v_lshlrev_b32_e32 v3, v8, v3
	v_sub_u32_e32 v7, 29, v7
	v_and_b32_e32 v3, 7, v3
	v_cmp_eq_u16_e32 vcc, 0, v6
	v_cndmask_b32_e32 v3, v4, v3, vcc
	v_cndmask_b32_e32 v4, v6, v7, vcc
	v_lshlrev_b32_e32 v6, 16, v5
	v_mov_b32_e32 v7, 0x3b800000
	v_lshlrev_b32_e32 v3, 20, v3
	v_and_b32_e32 v6, 0x80000000, v6
	v_lshl_add_u32 v4, v4, 23, v7
	v_or3_b32 v4, v6, v4, v3
.LBB50_1520:
	s_or_b64 exec, exec, s[6:7]
	s_nop 0
	v_mfma_f32_16x16x4f32 a[0:3], v2, v4, a[0:3]
	s_movk_i32 s4, 0xff
	v_and_b32_sdwa v3, v9, s4 dst_sel:DWORD dst_unused:UNUSED_PAD src0_sel:WORD_1 src1_sel:DWORD
	s_movk_i32 s4, 0x7f
	v_cmp_lt_i16_e32 vcc, s4, v3
	s_mov_b64 s[4:5], 0
                                        ; implicit-def: $sgpr10
	s_and_saveexec_b64 s[6:7], vcc
	s_xor_b64 s[6:7], exec, s[6:7]
	s_cbranch_execnz .LBB50_3569
; %bb.1521:
	s_or_saveexec_b64 s[6:7], s[6:7]
	v_mov_b32_e32 v2, s10
	s_xor_b64 exec, exec, s[6:7]
	s_cbranch_execnz .LBB50_3572
.LBB50_1522:
	s_or_b64 exec, exec, s[6:7]
	s_and_saveexec_b64 s[6:7], s[4:5]
	s_cbranch_execz .LBB50_1524
.LBB50_1523:
	v_bfe_u32 v2, v9, 16, 3
	v_ffbh_u32_e32 v6, v2
	v_min_u32_e32 v6, 32, v6
	v_lshrrev_b32_e32 v3, 19, v9
	v_subrev_u32_e32 v7, 28, v6
	v_and_b32_e32 v3, 15, v3
	v_lshlrev_b32_sdwa v7, v7, v9 dst_sel:DWORD dst_unused:UNUSED_PAD src0_sel:DWORD src1_sel:WORD_1
	v_bfe_u32 v4, v9, 19, 4
	v_sub_u32_e32 v6, 29, v6
	v_and_b32_e32 v7, 7, v7
	v_cmp_eq_u16_e32 vcc, 0, v3
	v_cndmask_b32_e32 v2, v2, v7, vcc
	v_cndmask_b32_e32 v3, v4, v6, vcc
	v_lshlrev_b32_e32 v4, 8, v9
	v_mov_b32_e32 v6, 0x3b800000
	v_lshlrev_b32_e32 v2, 20, v2
	v_and_b32_e32 v4, 0x80000000, v4
	v_lshl_add_u32 v3, v3, 23, v6
	v_or3_b32 v2, v4, v3, v2
.LBB50_1524:
	s_or_b64 exec, exec, s[6:7]
	s_movk_i32 s4, 0xff
	v_and_b32_sdwa v3, v5, s4 dst_sel:DWORD dst_unused:UNUSED_PAD src0_sel:WORD_1 src1_sel:DWORD
	s_movk_i32 s4, 0x7f
	v_cmp_lt_i16_e32 vcc, s4, v3
	s_mov_b64 s[4:5], 0
                                        ; implicit-def: $sgpr10
	s_and_saveexec_b64 s[6:7], vcc
	s_xor_b64 s[6:7], exec, s[6:7]
	s_cbranch_execnz .LBB50_3573
; %bb.1525:
	s_or_saveexec_b64 s[6:7], s[6:7]
	v_mov_b32_e32 v4, s10
	s_xor_b64 exec, exec, s[6:7]
	s_cbranch_execnz .LBB50_3576
.LBB50_1526:
	s_or_b64 exec, exec, s[6:7]
	s_and_saveexec_b64 s[6:7], s[4:5]
	s_cbranch_execz .LBB50_1528
.LBB50_1527:
	v_bfe_u32 v3, v5, 16, 3
	v_ffbh_u32_e32 v7, v3
	v_min_u32_e32 v7, 32, v7
	v_lshrrev_b32_e32 v4, 19, v5
	v_subrev_u32_e32 v8, 28, v7
	v_and_b32_e32 v4, 15, v4
	v_lshlrev_b32_sdwa v8, v8, v5 dst_sel:DWORD dst_unused:UNUSED_PAD src0_sel:DWORD src1_sel:WORD_1
	v_bfe_u32 v6, v5, 19, 4
	v_sub_u32_e32 v7, 29, v7
	v_and_b32_e32 v8, 7, v8
	v_cmp_eq_u16_e32 vcc, 0, v4
	v_cndmask_b32_e32 v3, v3, v8, vcc
	v_cndmask_b32_e32 v4, v6, v7, vcc
	v_lshlrev_b32_e32 v6, 8, v5
	v_mov_b32_e32 v7, 0x3b800000
	v_lshlrev_b32_e32 v3, 20, v3
	v_and_b32_e32 v6, 0x80000000, v6
	v_lshl_add_u32 v4, v4, 23, v7
	v_or3_b32 v4, v6, v4, v3
.LBB50_1528:
	s_or_b64 exec, exec, s[6:7]
	s_nop 0
	v_mfma_f32_16x16x4f32 a[0:3], v2, v4, a[0:3]
	s_movk_i32 s4, 0x7f
	v_cmp_gt_i16_sdwa s[6:7], v9, s4 src0_sel:BYTE_3 src1_sel:DWORD
	s_mov_b64 s[4:5], 0
                                        ; implicit-def: $sgpr10
	s_and_saveexec_b64 s[8:9], s[6:7]
	s_xor_b64 s[6:7], exec, s[8:9]
	s_cbranch_execnz .LBB50_3577
; %bb.1529:
	s_or_saveexec_b64 s[6:7], s[6:7]
	v_mov_b32_e32 v2, s10
	s_xor_b64 exec, exec, s[6:7]
	s_cbranch_execnz .LBB50_3580
.LBB50_1530:
	s_or_b64 exec, exec, s[6:7]
	s_and_saveexec_b64 s[6:7], s[4:5]
	s_cbranch_execz .LBB50_1532
.LBB50_1531:
	v_bfe_u32 v2, v9, 24, 3
	v_ffbh_u32_e32 v7, v2
	v_min_u32_e32 v7, 32, v7
	v_lshrrev_b32_e32 v4, 27, v9
	v_subrev_u32_e32 v8, 28, v7
	v_and_b32_e32 v4, 15, v4
	v_lshlrev_b32_sdwa v8, v8, v9 dst_sel:DWORD dst_unused:UNUSED_PAD src0_sel:DWORD src1_sel:BYTE_3
	v_bfe_u32 v6, v9, 27, 4
	v_sub_u32_e32 v7, 29, v7
	v_and_b32_e32 v8, 7, v8
	v_cmp_eq_u16_e32 vcc, 0, v4
	v_cndmask_b32_e32 v2, v2, v8, vcc
	v_cndmask_b32_e32 v4, v6, v7, vcc
	v_mov_b32_e32 v6, 0x3b800000
	v_and_b32_e32 v3, 0x80000000, v9
	v_lshlrev_b32_e32 v2, 20, v2
	v_lshl_add_u32 v4, v4, 23, v6
	v_or3_b32 v2, v3, v4, v2
.LBB50_1532:
	s_or_b64 exec, exec, s[6:7]
	s_movk_i32 s4, 0x7f
	v_cmp_gt_i16_sdwa s[6:7], v5, s4 src0_sel:BYTE_3 src1_sel:DWORD
	s_mov_b64 s[4:5], 0
                                        ; implicit-def: $sgpr10
	s_and_saveexec_b64 s[8:9], s[6:7]
	s_xor_b64 s[6:7], exec, s[8:9]
	s_cbranch_execnz .LBB50_3581
; %bb.1533:
	s_or_saveexec_b64 s[6:7], s[6:7]
	v_mov_b32_e32 v3, s10
	s_xor_b64 exec, exec, s[6:7]
	s_cbranch_execnz .LBB50_3584
.LBB50_1534:
	s_or_b64 exec, exec, s[6:7]
	s_and_saveexec_b64 s[6:7], s[4:5]
	s_cbranch_execz .LBB50_1536
.LBB50_1535:
	v_bfe_u32 v3, v5, 24, 3
	v_ffbh_u32_e32 v8, v3
	v_min_u32_e32 v8, 32, v8
	v_lshrrev_b32_e32 v6, 27, v5
	v_subrev_u32_e32 v9, 28, v8
	v_and_b32_e32 v4, 0x80000000, v5
	v_and_b32_e32 v6, 15, v6
	v_bfe_u32 v7, v5, 27, 4
	v_lshlrev_b32_sdwa v5, v9, v5 dst_sel:DWORD dst_unused:UNUSED_PAD src0_sel:DWORD src1_sel:BYTE_3
	v_sub_u32_e32 v8, 29, v8
	v_and_b32_e32 v5, 7, v5
	v_cmp_eq_u16_e32 vcc, 0, v6
	v_cndmask_b32_e32 v3, v3, v5, vcc
	v_cndmask_b32_e32 v5, v7, v8, vcc
	v_mov_b32_e32 v6, 0x3b800000
	v_lshlrev_b32_e32 v3, 20, v3
	v_lshl_add_u32 v5, v5, 23, v6
	v_or3_b32 v3, v4, v5, v3
.LBB50_1536:
	s_or_b64 exec, exec, s[6:7]
	s_nop 0
	v_mfma_f32_16x16x4f32 a[0:3], v2, v3, a[0:3]
	s_movk_i32 s4, 0x7f
                                        ; implicit-def: $sgpr10
	s_nop 7
	s_nop 1
	flat_store_dwordx4 v[18:19], a[0:3] offset:848
	flat_load_dwordx4 v[20:23], v[0:1] offset:8
	s_nop 0
	flat_load_dwordx2 v[18:19], v[0:1] offset:24
	s_waitcnt vmcnt(0) lgkmcnt(0)
	flat_load_dwordx4 v[14:17], v[20:21]
	flat_load_dwordx4 v[6:9], v[20:21] offset:16
	flat_load_dwordx4 v[10:13], v[22:23] offset:192
	;; [unrolled: 1-line block ×3, first 2 shown]
	s_waitcnt vmcnt(0) lgkmcnt(0)
	v_cmp_gt_i16_sdwa s[6:7], v14, s4 src0_sel:BYTE_0 src1_sel:DWORD
	s_mov_b64 s[4:5], 0
	s_and_saveexec_b64 s[8:9], s[6:7]
	s_xor_b64 s[6:7], exec, s[8:9]
	s_cbranch_execnz .LBB50_3585
; %bb.1537:
	s_or_saveexec_b64 s[6:7], s[6:7]
	v_mov_b32_e32 v20, s10
	s_xor_b64 exec, exec, s[6:7]
	s_cbranch_execnz .LBB50_3588
.LBB50_1538:
	s_or_b64 exec, exec, s[6:7]
	s_and_saveexec_b64 s[6:7], s[4:5]
	s_cbranch_execz .LBB50_1540
.LBB50_1539:
	v_and_b32_e32 v20, 7, v14
	v_ffbh_u32_e32 v22, v20
	v_min_u32_e32 v22, 32, v22
	v_lshrrev_b16_e32 v21, 3, v14
	v_subrev_u32_e32 v23, 28, v22
	v_and_b32_e32 v21, 15, v21
	v_lshlrev_b32_e32 v23, v23, v14
	v_sub_u32_e32 v22, 29, v22
	v_and_b32_e32 v23, 7, v23
	v_cmp_eq_u16_e32 vcc, 0, v21
	v_cndmask_b32_e32 v20, v20, v23, vcc
	v_cndmask_b32_e32 v21, v21, v22, vcc
	v_lshlrev_b32_e32 v22, 24, v14
	v_mov_b32_e32 v23, 0x3b800000
	v_lshlrev_b32_e32 v20, 20, v20
	v_and_b32_e32 v22, 0x80000000, v22
	v_lshl_add_u32 v21, v21, 23, v23
	v_or3_b32 v20, v22, v21, v20
.LBB50_1540:
	s_or_b64 exec, exec, s[6:7]
	s_movk_i32 s4, 0x7f
	v_cmp_gt_i16_sdwa s[6:7], v10, s4 src0_sel:BYTE_0 src1_sel:DWORD
	s_mov_b64 s[4:5], 0
                                        ; implicit-def: $sgpr10
	s_and_saveexec_b64 s[8:9], s[6:7]
	s_xor_b64 s[6:7], exec, s[8:9]
	s_cbranch_execnz .LBB50_3589
; %bb.1541:
	s_or_saveexec_b64 s[6:7], s[6:7]
	v_mov_b32_e32 v21, s10
	s_xor_b64 exec, exec, s[6:7]
	s_cbranch_execnz .LBB50_3592
.LBB50_1542:
	s_or_b64 exec, exec, s[6:7]
	s_and_saveexec_b64 s[6:7], s[4:5]
	s_cbranch_execz .LBB50_1544
.LBB50_1543:
	v_and_b32_e32 v21, 7, v10
	v_ffbh_u32_e32 v23, v21
	v_min_u32_e32 v23, 32, v23
	v_lshrrev_b16_e32 v22, 3, v10
	v_subrev_u32_e32 v24, 28, v23
	v_and_b32_e32 v22, 15, v22
	v_lshlrev_b32_e32 v24, v24, v10
	v_sub_u32_e32 v23, 29, v23
	v_and_b32_e32 v24, 7, v24
	v_cmp_eq_u16_e32 vcc, 0, v22
	v_cndmask_b32_e32 v21, v21, v24, vcc
	v_cndmask_b32_e32 v22, v22, v23, vcc
	v_lshlrev_b32_e32 v23, 24, v10
	v_mov_b32_e32 v24, 0x3b800000
	v_lshlrev_b32_e32 v21, 20, v21
	v_and_b32_e32 v23, 0x80000000, v23
	v_lshl_add_u32 v22, v22, 23, v24
	v_or3_b32 v21, v23, v22, v21
.LBB50_1544:
	s_or_b64 exec, exec, s[6:7]
	flat_load_dwordx4 a[0:3], v[18:19] offset:864
	s_movk_i32 s4, 0x7f
                                        ; implicit-def: $sgpr10
	s_waitcnt vmcnt(0) lgkmcnt(0)
	v_mfma_f32_16x16x4f32 a[0:3], v20, v21, a[0:3]
	v_lshrrev_b32_e32 v21, 8, v14
	v_cmp_gt_i16_sdwa s[6:7], v21, s4 src0_sel:BYTE_0 src1_sel:DWORD
	s_mov_b64 s[4:5], 0
	s_and_saveexec_b64 s[8:9], s[6:7]
	s_xor_b64 s[6:7], exec, s[8:9]
	s_cbranch_execnz .LBB50_3593
; %bb.1545:
	s_or_saveexec_b64 s[6:7], s[6:7]
	v_mov_b32_e32 v20, s10
	s_xor_b64 exec, exec, s[6:7]
	s_cbranch_execnz .LBB50_3596
.LBB50_1546:
	s_or_b64 exec, exec, s[6:7]
	s_and_saveexec_b64 s[6:7], s[4:5]
	s_cbranch_execz .LBB50_1548
.LBB50_1547:
	v_bfe_u32 v20, v14, 8, 3
	v_ffbh_u32_e32 v23, v20
	v_min_u32_e32 v23, 32, v23
	v_lshrrev_b16_e32 v22, 3, v21
	v_subrev_u32_e32 v24, 28, v23
	v_and_b32_e32 v22, 15, v22
	v_lshlrev_b32_e32 v21, v24, v21
	v_sub_u32_e32 v23, 29, v23
	v_and_b32_e32 v21, 7, v21
	v_cmp_eq_u16_e32 vcc, 0, v22
	v_cndmask_b32_e32 v20, v20, v21, vcc
	v_cndmask_b32_e32 v21, v22, v23, vcc
	v_lshlrev_b32_e32 v22, 16, v14
	v_mov_b32_e32 v23, 0x3b800000
	v_lshlrev_b32_e32 v20, 20, v20
	v_and_b32_e32 v22, 0x80000000, v22
	v_lshl_add_u32 v21, v21, 23, v23
	v_or3_b32 v20, v22, v21, v20
.LBB50_1548:
	s_or_b64 exec, exec, s[6:7]
	v_lshrrev_b32_e32 v21, 8, v10
	s_movk_i32 s4, 0x7f
	v_cmp_gt_i16_sdwa s[6:7], v21, s4 src0_sel:BYTE_0 src1_sel:DWORD
	s_mov_b64 s[4:5], 0
                                        ; implicit-def: $sgpr10
	s_and_saveexec_b64 s[8:9], s[6:7]
	s_xor_b64 s[6:7], exec, s[8:9]
	s_cbranch_execnz .LBB50_3597
; %bb.1549:
	s_or_saveexec_b64 s[6:7], s[6:7]
	v_mov_b32_e32 v22, s10
	s_xor_b64 exec, exec, s[6:7]
	s_cbranch_execnz .LBB50_3600
.LBB50_1550:
	s_or_b64 exec, exec, s[6:7]
	s_and_saveexec_b64 s[6:7], s[4:5]
	s_cbranch_execz .LBB50_1552
.LBB50_1551:
	v_bfe_u32 v22, v10, 8, 3
	v_ffbh_u32_e32 v24, v22
	v_min_u32_e32 v24, 32, v24
	v_lshrrev_b16_e32 v23, 3, v21
	v_subrev_u32_e32 v25, 28, v24
	v_and_b32_e32 v23, 15, v23
	v_lshlrev_b32_e32 v21, v25, v21
	v_sub_u32_e32 v24, 29, v24
	v_and_b32_e32 v21, 7, v21
	v_cmp_eq_u16_e32 vcc, 0, v23
	v_cndmask_b32_e32 v21, v22, v21, vcc
	v_cndmask_b32_e32 v22, v23, v24, vcc
	v_lshlrev_b32_e32 v23, 16, v10
	v_mov_b32_e32 v24, 0x3b800000
	v_lshlrev_b32_e32 v21, 20, v21
	v_and_b32_e32 v23, 0x80000000, v23
	v_lshl_add_u32 v22, v22, 23, v24
	v_or3_b32 v22, v23, v22, v21
.LBB50_1552:
	s_or_b64 exec, exec, s[6:7]
	s_nop 0
	v_mfma_f32_16x16x4f32 a[0:3], v20, v22, a[0:3]
	s_movk_i32 s4, 0xff
	v_and_b32_sdwa v21, v14, s4 dst_sel:DWORD dst_unused:UNUSED_PAD src0_sel:WORD_1 src1_sel:DWORD
	s_movk_i32 s4, 0x7f
	v_cmp_lt_i16_e32 vcc, s4, v21
	s_mov_b64 s[4:5], 0
                                        ; implicit-def: $sgpr10
	s_and_saveexec_b64 s[6:7], vcc
	s_xor_b64 s[6:7], exec, s[6:7]
	s_cbranch_execnz .LBB50_3601
; %bb.1553:
	s_or_saveexec_b64 s[6:7], s[6:7]
	v_mov_b32_e32 v20, s10
	s_xor_b64 exec, exec, s[6:7]
	s_cbranch_execnz .LBB50_3604
.LBB50_1554:
	s_or_b64 exec, exec, s[6:7]
	s_and_saveexec_b64 s[6:7], s[4:5]
	s_cbranch_execz .LBB50_1556
.LBB50_1555:
	v_bfe_u32 v20, v14, 16, 3
	v_ffbh_u32_e32 v23, v20
	v_min_u32_e32 v23, 32, v23
	v_lshrrev_b32_e32 v21, 19, v14
	v_subrev_u32_e32 v24, 28, v23
	v_and_b32_e32 v21, 15, v21
	v_lshlrev_b32_sdwa v24, v24, v14 dst_sel:DWORD dst_unused:UNUSED_PAD src0_sel:DWORD src1_sel:WORD_1
	v_bfe_u32 v22, v14, 19, 4
	v_sub_u32_e32 v23, 29, v23
	v_and_b32_e32 v24, 7, v24
	v_cmp_eq_u16_e32 vcc, 0, v21
	v_cndmask_b32_e32 v20, v20, v24, vcc
	v_cndmask_b32_e32 v21, v22, v23, vcc
	v_lshlrev_b32_e32 v22, 8, v14
	v_mov_b32_e32 v23, 0x3b800000
	v_lshlrev_b32_e32 v20, 20, v20
	v_and_b32_e32 v22, 0x80000000, v22
	v_lshl_add_u32 v21, v21, 23, v23
	v_or3_b32 v20, v22, v21, v20
.LBB50_1556:
	s_or_b64 exec, exec, s[6:7]
	s_movk_i32 s4, 0xff
	v_and_b32_sdwa v21, v10, s4 dst_sel:DWORD dst_unused:UNUSED_PAD src0_sel:WORD_1 src1_sel:DWORD
	s_movk_i32 s4, 0x7f
	v_cmp_lt_i16_e32 vcc, s4, v21
	s_mov_b64 s[4:5], 0
                                        ; implicit-def: $sgpr10
	s_and_saveexec_b64 s[6:7], vcc
	s_xor_b64 s[6:7], exec, s[6:7]
	s_cbranch_execnz .LBB50_3605
; %bb.1557:
	s_or_saveexec_b64 s[6:7], s[6:7]
	v_mov_b32_e32 v22, s10
	s_xor_b64 exec, exec, s[6:7]
	s_cbranch_execnz .LBB50_3608
.LBB50_1558:
	s_or_b64 exec, exec, s[6:7]
	s_and_saveexec_b64 s[6:7], s[4:5]
	s_cbranch_execz .LBB50_1560
.LBB50_1559:
	v_bfe_u32 v21, v10, 16, 3
	v_ffbh_u32_e32 v24, v21
	v_min_u32_e32 v24, 32, v24
	v_lshrrev_b32_e32 v22, 19, v10
	v_subrev_u32_e32 v25, 28, v24
	v_and_b32_e32 v22, 15, v22
	v_lshlrev_b32_sdwa v25, v25, v10 dst_sel:DWORD dst_unused:UNUSED_PAD src0_sel:DWORD src1_sel:WORD_1
	v_bfe_u32 v23, v10, 19, 4
	v_sub_u32_e32 v24, 29, v24
	v_and_b32_e32 v25, 7, v25
	v_cmp_eq_u16_e32 vcc, 0, v22
	v_cndmask_b32_e32 v21, v21, v25, vcc
	v_cndmask_b32_e32 v22, v23, v24, vcc
	v_lshlrev_b32_e32 v23, 8, v10
	v_mov_b32_e32 v24, 0x3b800000
	v_lshlrev_b32_e32 v21, 20, v21
	v_and_b32_e32 v23, 0x80000000, v23
	v_lshl_add_u32 v22, v22, 23, v24
	v_or3_b32 v22, v23, v22, v21
.LBB50_1560:
	s_or_b64 exec, exec, s[6:7]
	s_nop 0
	v_mfma_f32_16x16x4f32 a[0:3], v20, v22, a[0:3]
	s_movk_i32 s4, 0x7f
	v_cmp_gt_i16_sdwa s[6:7], v14, s4 src0_sel:BYTE_3 src1_sel:DWORD
	s_mov_b64 s[4:5], 0
                                        ; implicit-def: $sgpr10
	s_and_saveexec_b64 s[8:9], s[6:7]
	s_xor_b64 s[6:7], exec, s[8:9]
	s_cbranch_execnz .LBB50_3609
; %bb.1561:
	s_or_saveexec_b64 s[6:7], s[6:7]
	v_mov_b32_e32 v20, s10
	s_xor_b64 exec, exec, s[6:7]
	s_cbranch_execnz .LBB50_3612
.LBB50_1562:
	s_or_b64 exec, exec, s[6:7]
	s_and_saveexec_b64 s[6:7], s[4:5]
	s_cbranch_execz .LBB50_1564
.LBB50_1563:
	v_bfe_u32 v20, v14, 24, 3
	v_ffbh_u32_e32 v24, v20
	v_min_u32_e32 v24, 32, v24
	v_lshrrev_b32_e32 v22, 27, v14
	v_subrev_u32_e32 v25, 28, v24
	v_and_b32_e32 v21, 0x80000000, v14
	v_and_b32_e32 v22, 15, v22
	v_bfe_u32 v23, v14, 27, 4
	v_lshlrev_b32_sdwa v14, v25, v14 dst_sel:DWORD dst_unused:UNUSED_PAD src0_sel:DWORD src1_sel:BYTE_3
	v_sub_u32_e32 v24, 29, v24
	v_and_b32_e32 v14, 7, v14
	v_cmp_eq_u16_e32 vcc, 0, v22
	v_cndmask_b32_e32 v14, v20, v14, vcc
	v_cndmask_b32_e32 v20, v23, v24, vcc
	v_mov_b32_e32 v22, 0x3b800000
	v_lshlrev_b32_e32 v14, 20, v14
	v_lshl_add_u32 v20, v20, 23, v22
	v_or3_b32 v20, v21, v20, v14
.LBB50_1564:
	s_or_b64 exec, exec, s[6:7]
	s_movk_i32 s4, 0x7f
	v_cmp_gt_i16_sdwa s[6:7], v10, s4 src0_sel:BYTE_3 src1_sel:DWORD
	s_mov_b64 s[4:5], 0
                                        ; implicit-def: $sgpr10
	s_and_saveexec_b64 s[8:9], s[6:7]
	s_xor_b64 s[6:7], exec, s[8:9]
	s_cbranch_execnz .LBB50_3613
; %bb.1565:
	s_or_saveexec_b64 s[6:7], s[6:7]
	v_mov_b32_e32 v14, s10
	s_xor_b64 exec, exec, s[6:7]
	s_cbranch_execnz .LBB50_3616
.LBB50_1566:
	s_or_b64 exec, exec, s[6:7]
	s_and_saveexec_b64 s[6:7], s[4:5]
	s_cbranch_execz .LBB50_1568
.LBB50_1567:
	v_bfe_u32 v14, v10, 24, 3
	v_ffbh_u32_e32 v24, v14
	v_min_u32_e32 v24, 32, v24
	v_lshrrev_b32_e32 v22, 27, v10
	v_subrev_u32_e32 v25, 28, v24
	v_and_b32_e32 v21, 0x80000000, v10
	v_and_b32_e32 v22, 15, v22
	v_bfe_u32 v23, v10, 27, 4
	v_lshlrev_b32_sdwa v10, v25, v10 dst_sel:DWORD dst_unused:UNUSED_PAD src0_sel:DWORD src1_sel:BYTE_3
	v_sub_u32_e32 v24, 29, v24
	v_and_b32_e32 v10, 7, v10
	v_cmp_eq_u16_e32 vcc, 0, v22
	v_cndmask_b32_e32 v10, v14, v10, vcc
	v_cndmask_b32_e32 v14, v23, v24, vcc
	v_mov_b32_e32 v22, 0x3b800000
	v_lshlrev_b32_e32 v10, 20, v10
	v_lshl_add_u32 v14, v14, 23, v22
	v_or3_b32 v14, v21, v14, v10
.LBB50_1568:
	s_or_b64 exec, exec, s[6:7]
	s_nop 0
	v_mfma_f32_16x16x4f32 a[0:3], v20, v14, a[0:3]
	s_movk_i32 s4, 0x7f
	v_cmp_gt_i16_sdwa s[6:7], v15, s4 src0_sel:BYTE_0 src1_sel:DWORD
	s_mov_b64 s[4:5], 0
                                        ; implicit-def: $sgpr10
	s_and_saveexec_b64 s[8:9], s[6:7]
	s_xor_b64 s[6:7], exec, s[8:9]
	s_cbranch_execnz .LBB50_3617
; %bb.1569:
	s_or_saveexec_b64 s[6:7], s[6:7]
	v_mov_b32_e32 v10, s10
	s_xor_b64 exec, exec, s[6:7]
	s_cbranch_execnz .LBB50_3620
.LBB50_1570:
	s_or_b64 exec, exec, s[6:7]
	s_and_saveexec_b64 s[6:7], s[4:5]
	s_cbranch_execz .LBB50_1572
.LBB50_1571:
	v_and_b32_e32 v10, 7, v15
	v_ffbh_u32_e32 v20, v10
	v_min_u32_e32 v20, 32, v20
	v_lshrrev_b16_e32 v14, 3, v15
	v_subrev_u32_e32 v21, 28, v20
	v_and_b32_e32 v14, 15, v14
	v_lshlrev_b32_e32 v21, v21, v15
	v_sub_u32_e32 v20, 29, v20
	v_and_b32_e32 v21, 7, v21
	v_cmp_eq_u16_e32 vcc, 0, v14
	v_cndmask_b32_e32 v10, v10, v21, vcc
	v_cndmask_b32_e32 v14, v14, v20, vcc
	v_lshlrev_b32_e32 v20, 24, v15
	v_mov_b32_e32 v21, 0x3b800000
	v_lshlrev_b32_e32 v10, 20, v10
	v_and_b32_e32 v20, 0x80000000, v20
	v_lshl_add_u32 v14, v14, 23, v21
	v_or3_b32 v10, v20, v14, v10
.LBB50_1572:
	s_or_b64 exec, exec, s[6:7]
	s_movk_i32 s4, 0x7f
	v_cmp_gt_i16_sdwa s[6:7], v11, s4 src0_sel:BYTE_0 src1_sel:DWORD
	s_mov_b64 s[4:5], 0
                                        ; implicit-def: $sgpr10
	s_and_saveexec_b64 s[8:9], s[6:7]
	s_xor_b64 s[6:7], exec, s[8:9]
	s_cbranch_execnz .LBB50_3621
; %bb.1573:
	s_or_saveexec_b64 s[6:7], s[6:7]
	v_mov_b32_e32 v14, s10
	s_xor_b64 exec, exec, s[6:7]
	s_cbranch_execnz .LBB50_3624
.LBB50_1574:
	s_or_b64 exec, exec, s[6:7]
	s_and_saveexec_b64 s[6:7], s[4:5]
	s_cbranch_execz .LBB50_1576
.LBB50_1575:
	v_and_b32_e32 v14, 7, v11
	v_ffbh_u32_e32 v21, v14
	v_min_u32_e32 v21, 32, v21
	v_lshrrev_b16_e32 v20, 3, v11
	v_subrev_u32_e32 v22, 28, v21
	v_and_b32_e32 v20, 15, v20
	v_lshlrev_b32_e32 v22, v22, v11
	v_sub_u32_e32 v21, 29, v21
	v_and_b32_e32 v22, 7, v22
	v_cmp_eq_u16_e32 vcc, 0, v20
	v_cndmask_b32_e32 v14, v14, v22, vcc
	v_cndmask_b32_e32 v20, v20, v21, vcc
	v_lshlrev_b32_e32 v21, 24, v11
	v_mov_b32_e32 v22, 0x3b800000
	v_lshlrev_b32_e32 v14, 20, v14
	v_and_b32_e32 v21, 0x80000000, v21
	v_lshl_add_u32 v20, v20, 23, v22
	v_or3_b32 v14, v21, v20, v14
.LBB50_1576:
	s_or_b64 exec, exec, s[6:7]
	s_nop 0
	v_mfma_f32_16x16x4f32 a[0:3], v10, v14, a[0:3]
	v_lshrrev_b32_e32 v14, 8, v15
	s_movk_i32 s4, 0x7f
	v_cmp_gt_i16_sdwa s[6:7], v14, s4 src0_sel:BYTE_0 src1_sel:DWORD
	s_mov_b64 s[4:5], 0
                                        ; implicit-def: $sgpr10
	s_and_saveexec_b64 s[8:9], s[6:7]
	s_xor_b64 s[6:7], exec, s[8:9]
	s_cbranch_execnz .LBB50_3625
; %bb.1577:
	s_or_saveexec_b64 s[6:7], s[6:7]
	v_mov_b32_e32 v10, s10
	s_xor_b64 exec, exec, s[6:7]
	s_cbranch_execnz .LBB50_3628
.LBB50_1578:
	s_or_b64 exec, exec, s[6:7]
	s_and_saveexec_b64 s[6:7], s[4:5]
	s_cbranch_execz .LBB50_1580
.LBB50_1579:
	v_bfe_u32 v10, v15, 8, 3
	v_ffbh_u32_e32 v21, v10
	v_min_u32_e32 v21, 32, v21
	v_lshrrev_b16_e32 v20, 3, v14
	v_subrev_u32_e32 v22, 28, v21
	v_and_b32_e32 v20, 15, v20
	v_lshlrev_b32_e32 v14, v22, v14
	v_sub_u32_e32 v21, 29, v21
	v_and_b32_e32 v14, 7, v14
	v_cmp_eq_u16_e32 vcc, 0, v20
	v_cndmask_b32_e32 v10, v10, v14, vcc
	v_cndmask_b32_e32 v14, v20, v21, vcc
	v_lshlrev_b32_e32 v20, 16, v15
	v_mov_b32_e32 v21, 0x3b800000
	v_lshlrev_b32_e32 v10, 20, v10
	v_and_b32_e32 v20, 0x80000000, v20
	v_lshl_add_u32 v14, v14, 23, v21
	v_or3_b32 v10, v20, v14, v10
.LBB50_1580:
	s_or_b64 exec, exec, s[6:7]
	v_lshrrev_b32_e32 v14, 8, v11
	s_movk_i32 s4, 0x7f
	v_cmp_gt_i16_sdwa s[6:7], v14, s4 src0_sel:BYTE_0 src1_sel:DWORD
	s_mov_b64 s[4:5], 0
                                        ; implicit-def: $sgpr10
	s_and_saveexec_b64 s[8:9], s[6:7]
	s_xor_b64 s[6:7], exec, s[8:9]
	s_cbranch_execnz .LBB50_3629
; %bb.1581:
	s_or_saveexec_b64 s[6:7], s[6:7]
	v_mov_b32_e32 v20, s10
	s_xor_b64 exec, exec, s[6:7]
	s_cbranch_execnz .LBB50_3632
.LBB50_1582:
	s_or_b64 exec, exec, s[6:7]
	s_and_saveexec_b64 s[6:7], s[4:5]
	s_cbranch_execz .LBB50_1584
.LBB50_1583:
	v_bfe_u32 v20, v11, 8, 3
	v_ffbh_u32_e32 v22, v20
	v_min_u32_e32 v22, 32, v22
	v_lshrrev_b16_e32 v21, 3, v14
	v_subrev_u32_e32 v23, 28, v22
	v_and_b32_e32 v21, 15, v21
	v_lshlrev_b32_e32 v14, v23, v14
	v_sub_u32_e32 v22, 29, v22
	v_and_b32_e32 v14, 7, v14
	v_cmp_eq_u16_e32 vcc, 0, v21
	v_cndmask_b32_e32 v14, v20, v14, vcc
	v_cndmask_b32_e32 v20, v21, v22, vcc
	v_lshlrev_b32_e32 v21, 16, v11
	v_mov_b32_e32 v22, 0x3b800000
	v_lshlrev_b32_e32 v14, 20, v14
	v_and_b32_e32 v21, 0x80000000, v21
	v_lshl_add_u32 v20, v20, 23, v22
	v_or3_b32 v20, v21, v20, v14
.LBB50_1584:
	s_or_b64 exec, exec, s[6:7]
	s_nop 0
	v_mfma_f32_16x16x4f32 a[0:3], v10, v20, a[0:3]
	s_movk_i32 s4, 0xff
	v_and_b32_sdwa v14, v15, s4 dst_sel:DWORD dst_unused:UNUSED_PAD src0_sel:WORD_1 src1_sel:DWORD
	s_movk_i32 s4, 0x7f
	v_cmp_lt_i16_e32 vcc, s4, v14
	s_mov_b64 s[4:5], 0
                                        ; implicit-def: $sgpr10
	s_and_saveexec_b64 s[6:7], vcc
	s_xor_b64 s[6:7], exec, s[6:7]
	s_cbranch_execnz .LBB50_3633
; %bb.1585:
	s_or_saveexec_b64 s[6:7], s[6:7]
	v_mov_b32_e32 v10, s10
	s_xor_b64 exec, exec, s[6:7]
	s_cbranch_execnz .LBB50_3636
.LBB50_1586:
	s_or_b64 exec, exec, s[6:7]
	s_and_saveexec_b64 s[6:7], s[4:5]
	s_cbranch_execz .LBB50_1588
.LBB50_1587:
	v_bfe_u32 v10, v15, 16, 3
	v_ffbh_u32_e32 v21, v10
	v_min_u32_e32 v21, 32, v21
	v_lshrrev_b32_e32 v14, 19, v15
	v_subrev_u32_e32 v22, 28, v21
	v_and_b32_e32 v14, 15, v14
	v_lshlrev_b32_sdwa v22, v22, v15 dst_sel:DWORD dst_unused:UNUSED_PAD src0_sel:DWORD src1_sel:WORD_1
	v_bfe_u32 v20, v15, 19, 4
	v_sub_u32_e32 v21, 29, v21
	v_and_b32_e32 v22, 7, v22
	v_cmp_eq_u16_e32 vcc, 0, v14
	v_cndmask_b32_e32 v10, v10, v22, vcc
	v_cndmask_b32_e32 v14, v20, v21, vcc
	v_lshlrev_b32_e32 v20, 8, v15
	v_mov_b32_e32 v21, 0x3b800000
	v_lshlrev_b32_e32 v10, 20, v10
	v_and_b32_e32 v20, 0x80000000, v20
	v_lshl_add_u32 v14, v14, 23, v21
	v_or3_b32 v10, v20, v14, v10
.LBB50_1588:
	s_or_b64 exec, exec, s[6:7]
	s_movk_i32 s4, 0xff
	v_and_b32_sdwa v14, v11, s4 dst_sel:DWORD dst_unused:UNUSED_PAD src0_sel:WORD_1 src1_sel:DWORD
	s_movk_i32 s4, 0x7f
	v_cmp_lt_i16_e32 vcc, s4, v14
	s_mov_b64 s[4:5], 0
                                        ; implicit-def: $sgpr10
	s_and_saveexec_b64 s[6:7], vcc
	s_xor_b64 s[6:7], exec, s[6:7]
	s_cbranch_execnz .LBB50_3637
; %bb.1589:
	s_or_saveexec_b64 s[6:7], s[6:7]
	v_mov_b32_e32 v20, s10
	s_xor_b64 exec, exec, s[6:7]
	s_cbranch_execnz .LBB50_3640
.LBB50_1590:
	s_or_b64 exec, exec, s[6:7]
	s_and_saveexec_b64 s[6:7], s[4:5]
	s_cbranch_execz .LBB50_1592
.LBB50_1591:
	v_bfe_u32 v14, v11, 16, 3
	v_ffbh_u32_e32 v22, v14
	v_min_u32_e32 v22, 32, v22
	v_lshrrev_b32_e32 v20, 19, v11
	v_subrev_u32_e32 v23, 28, v22
	v_and_b32_e32 v20, 15, v20
	v_lshlrev_b32_sdwa v23, v23, v11 dst_sel:DWORD dst_unused:UNUSED_PAD src0_sel:DWORD src1_sel:WORD_1
	v_bfe_u32 v21, v11, 19, 4
	v_sub_u32_e32 v22, 29, v22
	v_and_b32_e32 v23, 7, v23
	v_cmp_eq_u16_e32 vcc, 0, v20
	v_cndmask_b32_e32 v14, v14, v23, vcc
	v_cndmask_b32_e32 v20, v21, v22, vcc
	v_lshlrev_b32_e32 v21, 8, v11
	v_mov_b32_e32 v22, 0x3b800000
	v_lshlrev_b32_e32 v14, 20, v14
	v_and_b32_e32 v21, 0x80000000, v21
	v_lshl_add_u32 v20, v20, 23, v22
	v_or3_b32 v20, v21, v20, v14
.LBB50_1592:
	s_or_b64 exec, exec, s[6:7]
	s_nop 0
	v_mfma_f32_16x16x4f32 a[0:3], v10, v20, a[0:3]
	s_movk_i32 s4, 0x7f
	v_cmp_gt_i16_sdwa s[6:7], v15, s4 src0_sel:BYTE_3 src1_sel:DWORD
	s_mov_b64 s[4:5], 0
                                        ; implicit-def: $sgpr10
	s_and_saveexec_b64 s[8:9], s[6:7]
	s_xor_b64 s[6:7], exec, s[8:9]
	s_cbranch_execnz .LBB50_3641
; %bb.1593:
	s_or_saveexec_b64 s[6:7], s[6:7]
	v_mov_b32_e32 v10, s10
	s_xor_b64 exec, exec, s[6:7]
	s_cbranch_execnz .LBB50_3644
.LBB50_1594:
	s_or_b64 exec, exec, s[6:7]
	s_and_saveexec_b64 s[6:7], s[4:5]
	s_cbranch_execz .LBB50_1596
.LBB50_1595:
	v_bfe_u32 v10, v15, 24, 3
	v_ffbh_u32_e32 v22, v10
	v_min_u32_e32 v22, 32, v22
	v_lshrrev_b32_e32 v20, 27, v15
	v_subrev_u32_e32 v23, 28, v22
	v_and_b32_e32 v14, 0x80000000, v15
	v_and_b32_e32 v20, 15, v20
	v_bfe_u32 v21, v15, 27, 4
	v_lshlrev_b32_sdwa v15, v23, v15 dst_sel:DWORD dst_unused:UNUSED_PAD src0_sel:DWORD src1_sel:BYTE_3
	v_sub_u32_e32 v22, 29, v22
	v_and_b32_e32 v15, 7, v15
	v_cmp_eq_u16_e32 vcc, 0, v20
	v_cndmask_b32_e32 v10, v10, v15, vcc
	v_cndmask_b32_e32 v15, v21, v22, vcc
	v_mov_b32_e32 v20, 0x3b800000
	v_lshlrev_b32_e32 v10, 20, v10
	v_lshl_add_u32 v15, v15, 23, v20
	v_or3_b32 v10, v14, v15, v10
.LBB50_1596:
	s_or_b64 exec, exec, s[6:7]
	s_movk_i32 s4, 0x7f
	v_cmp_gt_i16_sdwa s[6:7], v11, s4 src0_sel:BYTE_3 src1_sel:DWORD
	s_mov_b64 s[4:5], 0
                                        ; implicit-def: $sgpr10
	s_and_saveexec_b64 s[8:9], s[6:7]
	s_xor_b64 s[6:7], exec, s[8:9]
	s_cbranch_execnz .LBB50_3645
; %bb.1597:
	s_or_saveexec_b64 s[6:7], s[6:7]
	v_mov_b32_e32 v14, s10
	s_xor_b64 exec, exec, s[6:7]
	s_cbranch_execnz .LBB50_3648
.LBB50_1598:
	s_or_b64 exec, exec, s[6:7]
	s_and_saveexec_b64 s[6:7], s[4:5]
	s_cbranch_execz .LBB50_1600
.LBB50_1599:
	v_bfe_u32 v14, v11, 24, 3
	v_ffbh_u32_e32 v22, v14
	v_min_u32_e32 v22, 32, v22
	v_lshrrev_b32_e32 v20, 27, v11
	v_subrev_u32_e32 v23, 28, v22
	v_and_b32_e32 v15, 0x80000000, v11
	v_and_b32_e32 v20, 15, v20
	v_bfe_u32 v21, v11, 27, 4
	v_lshlrev_b32_sdwa v11, v23, v11 dst_sel:DWORD dst_unused:UNUSED_PAD src0_sel:DWORD src1_sel:BYTE_3
	v_sub_u32_e32 v22, 29, v22
	v_and_b32_e32 v11, 7, v11
	v_cmp_eq_u16_e32 vcc, 0, v20
	v_cndmask_b32_e32 v11, v14, v11, vcc
	v_cndmask_b32_e32 v14, v21, v22, vcc
	v_mov_b32_e32 v20, 0x3b800000
	v_lshlrev_b32_e32 v11, 20, v11
	v_lshl_add_u32 v14, v14, 23, v20
	v_or3_b32 v14, v15, v14, v11
.LBB50_1600:
	s_or_b64 exec, exec, s[6:7]
	s_nop 0
	v_mfma_f32_16x16x4f32 a[0:3], v10, v14, a[0:3]
	s_movk_i32 s4, 0x7f
	v_cmp_gt_i16_sdwa s[6:7], v16, s4 src0_sel:BYTE_0 src1_sel:DWORD
	s_mov_b64 s[4:5], 0
                                        ; implicit-def: $sgpr10
	s_and_saveexec_b64 s[8:9], s[6:7]
	s_xor_b64 s[6:7], exec, s[8:9]
	s_cbranch_execnz .LBB50_3649
; %bb.1601:
	s_or_saveexec_b64 s[6:7], s[6:7]
	v_mov_b32_e32 v10, s10
	s_xor_b64 exec, exec, s[6:7]
	s_cbranch_execnz .LBB50_3652
.LBB50_1602:
	s_or_b64 exec, exec, s[6:7]
	s_and_saveexec_b64 s[6:7], s[4:5]
	s_cbranch_execz .LBB50_1604
.LBB50_1603:
	v_and_b32_e32 v10, 7, v16
	v_ffbh_u32_e32 v14, v10
	v_min_u32_e32 v14, 32, v14
	v_lshrrev_b16_e32 v11, 3, v16
	v_subrev_u32_e32 v15, 28, v14
	v_and_b32_e32 v11, 15, v11
	v_lshlrev_b32_e32 v15, v15, v16
	v_sub_u32_e32 v14, 29, v14
	v_and_b32_e32 v15, 7, v15
	v_cmp_eq_u16_e32 vcc, 0, v11
	v_cndmask_b32_e32 v10, v10, v15, vcc
	v_cndmask_b32_e32 v11, v11, v14, vcc
	v_lshlrev_b32_e32 v14, 24, v16
	v_mov_b32_e32 v15, 0x3b800000
	v_lshlrev_b32_e32 v10, 20, v10
	v_and_b32_e32 v14, 0x80000000, v14
	v_lshl_add_u32 v11, v11, 23, v15
	v_or3_b32 v10, v14, v11, v10
.LBB50_1604:
	s_or_b64 exec, exec, s[6:7]
	s_movk_i32 s4, 0x7f
	v_cmp_gt_i16_sdwa s[6:7], v12, s4 src0_sel:BYTE_0 src1_sel:DWORD
	s_mov_b64 s[4:5], 0
                                        ; implicit-def: $sgpr10
	s_and_saveexec_b64 s[8:9], s[6:7]
	s_xor_b64 s[6:7], exec, s[8:9]
	s_cbranch_execnz .LBB50_3653
; %bb.1605:
	s_or_saveexec_b64 s[6:7], s[6:7]
	v_mov_b32_e32 v11, s10
	s_xor_b64 exec, exec, s[6:7]
	s_cbranch_execnz .LBB50_3656
.LBB50_1606:
	s_or_b64 exec, exec, s[6:7]
	s_and_saveexec_b64 s[6:7], s[4:5]
	s_cbranch_execz .LBB50_1608
.LBB50_1607:
	v_and_b32_e32 v11, 7, v12
	v_ffbh_u32_e32 v15, v11
	v_min_u32_e32 v15, 32, v15
	v_lshrrev_b16_e32 v14, 3, v12
	v_subrev_u32_e32 v20, 28, v15
	v_and_b32_e32 v14, 15, v14
	v_lshlrev_b32_e32 v20, v20, v12
	v_sub_u32_e32 v15, 29, v15
	v_and_b32_e32 v20, 7, v20
	v_cmp_eq_u16_e32 vcc, 0, v14
	v_cndmask_b32_e32 v11, v11, v20, vcc
	v_cndmask_b32_e32 v14, v14, v15, vcc
	v_lshlrev_b32_e32 v15, 24, v12
	v_mov_b32_e32 v20, 0x3b800000
	v_lshlrev_b32_e32 v11, 20, v11
	v_and_b32_e32 v15, 0x80000000, v15
	v_lshl_add_u32 v14, v14, 23, v20
	v_or3_b32 v11, v15, v14, v11
.LBB50_1608:
	s_or_b64 exec, exec, s[6:7]
	s_nop 0
	v_mfma_f32_16x16x4f32 a[0:3], v10, v11, a[0:3]
	v_lshrrev_b32_e32 v11, 8, v16
	s_movk_i32 s4, 0x7f
	v_cmp_gt_i16_sdwa s[6:7], v11, s4 src0_sel:BYTE_0 src1_sel:DWORD
	s_mov_b64 s[4:5], 0
                                        ; implicit-def: $sgpr10
	s_and_saveexec_b64 s[8:9], s[6:7]
	s_xor_b64 s[6:7], exec, s[8:9]
	s_cbranch_execnz .LBB50_3657
; %bb.1609:
	s_or_saveexec_b64 s[6:7], s[6:7]
	v_mov_b32_e32 v10, s10
	s_xor_b64 exec, exec, s[6:7]
	s_cbranch_execnz .LBB50_3660
.LBB50_1610:
	s_or_b64 exec, exec, s[6:7]
	s_and_saveexec_b64 s[6:7], s[4:5]
	s_cbranch_execz .LBB50_1612
.LBB50_1611:
	v_bfe_u32 v10, v16, 8, 3
	v_ffbh_u32_e32 v15, v10
	v_min_u32_e32 v15, 32, v15
	v_lshrrev_b16_e32 v14, 3, v11
	v_subrev_u32_e32 v20, 28, v15
	v_and_b32_e32 v14, 15, v14
	v_lshlrev_b32_e32 v11, v20, v11
	v_sub_u32_e32 v15, 29, v15
	v_and_b32_e32 v11, 7, v11
	v_cmp_eq_u16_e32 vcc, 0, v14
	v_cndmask_b32_e32 v10, v10, v11, vcc
	v_cndmask_b32_e32 v11, v14, v15, vcc
	v_lshlrev_b32_e32 v14, 16, v16
	v_mov_b32_e32 v15, 0x3b800000
	v_lshlrev_b32_e32 v10, 20, v10
	v_and_b32_e32 v14, 0x80000000, v14
	v_lshl_add_u32 v11, v11, 23, v15
	v_or3_b32 v10, v14, v11, v10
.LBB50_1612:
	s_or_b64 exec, exec, s[6:7]
	v_lshrrev_b32_e32 v11, 8, v12
	s_movk_i32 s4, 0x7f
	v_cmp_gt_i16_sdwa s[6:7], v11, s4 src0_sel:BYTE_0 src1_sel:DWORD
	s_mov_b64 s[4:5], 0
                                        ; implicit-def: $sgpr10
	s_and_saveexec_b64 s[8:9], s[6:7]
	s_xor_b64 s[6:7], exec, s[8:9]
	s_cbranch_execnz .LBB50_3661
; %bb.1613:
	s_or_saveexec_b64 s[6:7], s[6:7]
	v_mov_b32_e32 v14, s10
	s_xor_b64 exec, exec, s[6:7]
	s_cbranch_execnz .LBB50_3664
.LBB50_1614:
	s_or_b64 exec, exec, s[6:7]
	s_and_saveexec_b64 s[6:7], s[4:5]
	s_cbranch_execz .LBB50_1616
.LBB50_1615:
	v_bfe_u32 v14, v12, 8, 3
	v_ffbh_u32_e32 v20, v14
	v_min_u32_e32 v20, 32, v20
	v_lshrrev_b16_e32 v15, 3, v11
	v_subrev_u32_e32 v21, 28, v20
	v_and_b32_e32 v15, 15, v15
	v_lshlrev_b32_e32 v11, v21, v11
	v_sub_u32_e32 v20, 29, v20
	v_and_b32_e32 v11, 7, v11
	v_cmp_eq_u16_e32 vcc, 0, v15
	v_cndmask_b32_e32 v11, v14, v11, vcc
	v_cndmask_b32_e32 v14, v15, v20, vcc
	v_lshlrev_b32_e32 v15, 16, v12
	v_mov_b32_e32 v20, 0x3b800000
	v_lshlrev_b32_e32 v11, 20, v11
	v_and_b32_e32 v15, 0x80000000, v15
	v_lshl_add_u32 v14, v14, 23, v20
	v_or3_b32 v14, v15, v14, v11
.LBB50_1616:
	s_or_b64 exec, exec, s[6:7]
	s_nop 0
	v_mfma_f32_16x16x4f32 a[0:3], v10, v14, a[0:3]
	s_movk_i32 s4, 0xff
	v_and_b32_sdwa v11, v16, s4 dst_sel:DWORD dst_unused:UNUSED_PAD src0_sel:WORD_1 src1_sel:DWORD
	s_movk_i32 s4, 0x7f
	v_cmp_lt_i16_e32 vcc, s4, v11
	s_mov_b64 s[4:5], 0
                                        ; implicit-def: $sgpr10
	s_and_saveexec_b64 s[6:7], vcc
	s_xor_b64 s[6:7], exec, s[6:7]
	s_cbranch_execnz .LBB50_3665
; %bb.1617:
	s_or_saveexec_b64 s[6:7], s[6:7]
	v_mov_b32_e32 v10, s10
	s_xor_b64 exec, exec, s[6:7]
	s_cbranch_execnz .LBB50_3668
.LBB50_1618:
	s_or_b64 exec, exec, s[6:7]
	s_and_saveexec_b64 s[6:7], s[4:5]
	s_cbranch_execz .LBB50_1620
.LBB50_1619:
	v_bfe_u32 v10, v16, 16, 3
	v_ffbh_u32_e32 v15, v10
	v_min_u32_e32 v15, 32, v15
	v_lshrrev_b32_e32 v11, 19, v16
	v_subrev_u32_e32 v20, 28, v15
	v_and_b32_e32 v11, 15, v11
	v_lshlrev_b32_sdwa v20, v20, v16 dst_sel:DWORD dst_unused:UNUSED_PAD src0_sel:DWORD src1_sel:WORD_1
	v_bfe_u32 v14, v16, 19, 4
	v_sub_u32_e32 v15, 29, v15
	v_and_b32_e32 v20, 7, v20
	v_cmp_eq_u16_e32 vcc, 0, v11
	v_cndmask_b32_e32 v10, v10, v20, vcc
	v_cndmask_b32_e32 v11, v14, v15, vcc
	v_lshlrev_b32_e32 v14, 8, v16
	v_mov_b32_e32 v15, 0x3b800000
	v_lshlrev_b32_e32 v10, 20, v10
	v_and_b32_e32 v14, 0x80000000, v14
	v_lshl_add_u32 v11, v11, 23, v15
	v_or3_b32 v10, v14, v11, v10
.LBB50_1620:
	s_or_b64 exec, exec, s[6:7]
	s_movk_i32 s4, 0xff
	v_and_b32_sdwa v11, v12, s4 dst_sel:DWORD dst_unused:UNUSED_PAD src0_sel:WORD_1 src1_sel:DWORD
	s_movk_i32 s4, 0x7f
	v_cmp_lt_i16_e32 vcc, s4, v11
	s_mov_b64 s[4:5], 0
                                        ; implicit-def: $sgpr10
	s_and_saveexec_b64 s[6:7], vcc
	s_xor_b64 s[6:7], exec, s[6:7]
	s_cbranch_execnz .LBB50_3669
; %bb.1621:
	s_or_saveexec_b64 s[6:7], s[6:7]
	v_mov_b32_e32 v14, s10
	s_xor_b64 exec, exec, s[6:7]
	s_cbranch_execnz .LBB50_3672
.LBB50_1622:
	s_or_b64 exec, exec, s[6:7]
	s_and_saveexec_b64 s[6:7], s[4:5]
	s_cbranch_execz .LBB50_1624
.LBB50_1623:
	v_bfe_u32 v11, v12, 16, 3
	v_ffbh_u32_e32 v20, v11
	v_min_u32_e32 v20, 32, v20
	v_lshrrev_b32_e32 v14, 19, v12
	v_subrev_u32_e32 v21, 28, v20
	v_and_b32_e32 v14, 15, v14
	v_lshlrev_b32_sdwa v21, v21, v12 dst_sel:DWORD dst_unused:UNUSED_PAD src0_sel:DWORD src1_sel:WORD_1
	v_bfe_u32 v15, v12, 19, 4
	v_sub_u32_e32 v20, 29, v20
	v_and_b32_e32 v21, 7, v21
	v_cmp_eq_u16_e32 vcc, 0, v14
	v_cndmask_b32_e32 v11, v11, v21, vcc
	v_cndmask_b32_e32 v14, v15, v20, vcc
	v_lshlrev_b32_e32 v15, 8, v12
	v_mov_b32_e32 v20, 0x3b800000
	v_lshlrev_b32_e32 v11, 20, v11
	v_and_b32_e32 v15, 0x80000000, v15
	v_lshl_add_u32 v14, v14, 23, v20
	v_or3_b32 v14, v15, v14, v11
.LBB50_1624:
	s_or_b64 exec, exec, s[6:7]
	s_nop 0
	v_mfma_f32_16x16x4f32 a[0:3], v10, v14, a[0:3]
	s_movk_i32 s4, 0x7f
	v_cmp_gt_i16_sdwa s[6:7], v16, s4 src0_sel:BYTE_3 src1_sel:DWORD
	s_mov_b64 s[4:5], 0
                                        ; implicit-def: $sgpr10
	s_and_saveexec_b64 s[8:9], s[6:7]
	s_xor_b64 s[6:7], exec, s[8:9]
	s_cbranch_execnz .LBB50_3673
; %bb.1625:
	s_or_saveexec_b64 s[6:7], s[6:7]
	v_mov_b32_e32 v10, s10
	s_xor_b64 exec, exec, s[6:7]
	s_cbranch_execnz .LBB50_3676
.LBB50_1626:
	s_or_b64 exec, exec, s[6:7]
	s_and_saveexec_b64 s[6:7], s[4:5]
	s_cbranch_execz .LBB50_1628
.LBB50_1627:
	v_bfe_u32 v10, v16, 24, 3
	v_ffbh_u32_e32 v20, v10
	v_min_u32_e32 v20, 32, v20
	v_lshrrev_b32_e32 v14, 27, v16
	v_subrev_u32_e32 v21, 28, v20
	v_and_b32_e32 v11, 0x80000000, v16
	v_and_b32_e32 v14, 15, v14
	v_bfe_u32 v15, v16, 27, 4
	v_lshlrev_b32_sdwa v16, v21, v16 dst_sel:DWORD dst_unused:UNUSED_PAD src0_sel:DWORD src1_sel:BYTE_3
	v_sub_u32_e32 v20, 29, v20
	v_and_b32_e32 v16, 7, v16
	v_cmp_eq_u16_e32 vcc, 0, v14
	v_cndmask_b32_e32 v10, v10, v16, vcc
	v_cndmask_b32_e32 v14, v15, v20, vcc
	v_mov_b32_e32 v15, 0x3b800000
	v_lshlrev_b32_e32 v10, 20, v10
	v_lshl_add_u32 v14, v14, 23, v15
	v_or3_b32 v10, v11, v14, v10
.LBB50_1628:
	s_or_b64 exec, exec, s[6:7]
	s_movk_i32 s4, 0x7f
	v_cmp_gt_i16_sdwa s[6:7], v12, s4 src0_sel:BYTE_3 src1_sel:DWORD
	s_mov_b64 s[4:5], 0
                                        ; implicit-def: $sgpr10
	s_and_saveexec_b64 s[8:9], s[6:7]
	s_xor_b64 s[6:7], exec, s[8:9]
	s_cbranch_execnz .LBB50_3677
; %bb.1629:
	s_or_saveexec_b64 s[6:7], s[6:7]
	v_mov_b32_e32 v11, s10
	s_xor_b64 exec, exec, s[6:7]
	s_cbranch_execnz .LBB50_3680
.LBB50_1630:
	s_or_b64 exec, exec, s[6:7]
	s_and_saveexec_b64 s[6:7], s[4:5]
	s_cbranch_execz .LBB50_1632
.LBB50_1631:
	v_bfe_u32 v11, v12, 24, 3
	v_ffbh_u32_e32 v20, v11
	v_min_u32_e32 v20, 32, v20
	v_lshrrev_b32_e32 v15, 27, v12
	v_subrev_u32_e32 v21, 28, v20
	v_and_b32_e32 v14, 0x80000000, v12
	v_and_b32_e32 v15, 15, v15
	v_bfe_u32 v16, v12, 27, 4
	v_lshlrev_b32_sdwa v12, v21, v12 dst_sel:DWORD dst_unused:UNUSED_PAD src0_sel:DWORD src1_sel:BYTE_3
	v_sub_u32_e32 v20, 29, v20
	v_and_b32_e32 v12, 7, v12
	v_cmp_eq_u16_e32 vcc, 0, v15
	v_cndmask_b32_e32 v11, v11, v12, vcc
	v_cndmask_b32_e32 v12, v16, v20, vcc
	v_mov_b32_e32 v15, 0x3b800000
	v_lshlrev_b32_e32 v11, 20, v11
	v_lshl_add_u32 v12, v12, 23, v15
	v_or3_b32 v11, v14, v12, v11
.LBB50_1632:
	s_or_b64 exec, exec, s[6:7]
	s_nop 0
	v_mfma_f32_16x16x4f32 a[0:3], v10, v11, a[0:3]
	s_movk_i32 s4, 0x7f
	v_cmp_gt_i16_sdwa s[6:7], v17, s4 src0_sel:BYTE_0 src1_sel:DWORD
	s_mov_b64 s[4:5], 0
                                        ; implicit-def: $sgpr10
	s_and_saveexec_b64 s[8:9], s[6:7]
	s_xor_b64 s[6:7], exec, s[8:9]
	s_cbranch_execnz .LBB50_3681
; %bb.1633:
	s_or_saveexec_b64 s[6:7], s[6:7]
	v_mov_b32_e32 v10, s10
	s_xor_b64 exec, exec, s[6:7]
	s_cbranch_execnz .LBB50_3684
.LBB50_1634:
	s_or_b64 exec, exec, s[6:7]
	s_and_saveexec_b64 s[6:7], s[4:5]
	s_cbranch_execz .LBB50_1636
.LBB50_1635:
	v_and_b32_e32 v10, 7, v17
	v_ffbh_u32_e32 v12, v10
	v_min_u32_e32 v12, 32, v12
	v_lshrrev_b16_e32 v11, 3, v17
	v_subrev_u32_e32 v14, 28, v12
	v_and_b32_e32 v11, 15, v11
	v_lshlrev_b32_e32 v14, v14, v17
	v_sub_u32_e32 v12, 29, v12
	v_and_b32_e32 v14, 7, v14
	v_cmp_eq_u16_e32 vcc, 0, v11
	v_cndmask_b32_e32 v10, v10, v14, vcc
	v_cndmask_b32_e32 v11, v11, v12, vcc
	v_lshlrev_b32_e32 v12, 24, v17
	v_mov_b32_e32 v14, 0x3b800000
	v_lshlrev_b32_e32 v10, 20, v10
	v_and_b32_e32 v12, 0x80000000, v12
	v_lshl_add_u32 v11, v11, 23, v14
	v_or3_b32 v10, v12, v11, v10
.LBB50_1636:
	s_or_b64 exec, exec, s[6:7]
	s_movk_i32 s4, 0x7f
	v_cmp_gt_i16_sdwa s[6:7], v13, s4 src0_sel:BYTE_0 src1_sel:DWORD
	s_mov_b64 s[4:5], 0
                                        ; implicit-def: $sgpr10
	s_and_saveexec_b64 s[8:9], s[6:7]
	s_xor_b64 s[6:7], exec, s[8:9]
	s_cbranch_execnz .LBB50_3685
; %bb.1637:
	s_or_saveexec_b64 s[6:7], s[6:7]
	v_mov_b32_e32 v11, s10
	s_xor_b64 exec, exec, s[6:7]
	s_cbranch_execnz .LBB50_3688
.LBB50_1638:
	s_or_b64 exec, exec, s[6:7]
	s_and_saveexec_b64 s[6:7], s[4:5]
	s_cbranch_execz .LBB50_1640
.LBB50_1639:
	v_and_b32_e32 v11, 7, v13
	v_ffbh_u32_e32 v14, v11
	v_min_u32_e32 v14, 32, v14
	v_lshrrev_b16_e32 v12, 3, v13
	v_subrev_u32_e32 v15, 28, v14
	v_and_b32_e32 v12, 15, v12
	v_lshlrev_b32_e32 v15, v15, v13
	v_sub_u32_e32 v14, 29, v14
	v_and_b32_e32 v15, 7, v15
	v_cmp_eq_u16_e32 vcc, 0, v12
	v_cndmask_b32_e32 v11, v11, v15, vcc
	v_cndmask_b32_e32 v12, v12, v14, vcc
	v_lshlrev_b32_e32 v14, 24, v13
	v_mov_b32_e32 v15, 0x3b800000
	v_lshlrev_b32_e32 v11, 20, v11
	v_and_b32_e32 v14, 0x80000000, v14
	v_lshl_add_u32 v12, v12, 23, v15
	v_or3_b32 v11, v14, v12, v11
.LBB50_1640:
	s_or_b64 exec, exec, s[6:7]
	s_nop 0
	v_mfma_f32_16x16x4f32 a[0:3], v10, v11, a[0:3]
	v_lshrrev_b32_e32 v11, 8, v17
	s_movk_i32 s4, 0x7f
	v_cmp_gt_i16_sdwa s[6:7], v11, s4 src0_sel:BYTE_0 src1_sel:DWORD
	s_mov_b64 s[4:5], 0
                                        ; implicit-def: $sgpr10
	s_and_saveexec_b64 s[8:9], s[6:7]
	s_xor_b64 s[6:7], exec, s[8:9]
	s_cbranch_execnz .LBB50_3689
; %bb.1641:
	s_or_saveexec_b64 s[6:7], s[6:7]
	v_mov_b32_e32 v10, s10
	s_xor_b64 exec, exec, s[6:7]
	s_cbranch_execnz .LBB50_3692
.LBB50_1642:
	s_or_b64 exec, exec, s[6:7]
	s_and_saveexec_b64 s[6:7], s[4:5]
	s_cbranch_execz .LBB50_1644
.LBB50_1643:
	v_bfe_u32 v10, v17, 8, 3
	v_ffbh_u32_e32 v14, v10
	v_min_u32_e32 v14, 32, v14
	v_lshrrev_b16_e32 v12, 3, v11
	v_subrev_u32_e32 v15, 28, v14
	v_and_b32_e32 v12, 15, v12
	v_lshlrev_b32_e32 v11, v15, v11
	v_sub_u32_e32 v14, 29, v14
	v_and_b32_e32 v11, 7, v11
	v_cmp_eq_u16_e32 vcc, 0, v12
	v_cndmask_b32_e32 v10, v10, v11, vcc
	v_cndmask_b32_e32 v11, v12, v14, vcc
	v_lshlrev_b32_e32 v12, 16, v17
	v_mov_b32_e32 v14, 0x3b800000
	v_lshlrev_b32_e32 v10, 20, v10
	v_and_b32_e32 v12, 0x80000000, v12
	v_lshl_add_u32 v11, v11, 23, v14
	v_or3_b32 v10, v12, v11, v10
.LBB50_1644:
	s_or_b64 exec, exec, s[6:7]
	v_lshrrev_b32_e32 v11, 8, v13
	s_movk_i32 s4, 0x7f
	v_cmp_gt_i16_sdwa s[6:7], v11, s4 src0_sel:BYTE_0 src1_sel:DWORD
	s_mov_b64 s[4:5], 0
                                        ; implicit-def: $sgpr10
	s_and_saveexec_b64 s[8:9], s[6:7]
	s_xor_b64 s[6:7], exec, s[8:9]
	s_cbranch_execnz .LBB50_3693
; %bb.1645:
	s_or_saveexec_b64 s[6:7], s[6:7]
	v_mov_b32_e32 v12, s10
	s_xor_b64 exec, exec, s[6:7]
	s_cbranch_execnz .LBB50_3696
.LBB50_1646:
	s_or_b64 exec, exec, s[6:7]
	s_and_saveexec_b64 s[6:7], s[4:5]
	s_cbranch_execz .LBB50_1648
.LBB50_1647:
	v_bfe_u32 v12, v13, 8, 3
	v_ffbh_u32_e32 v15, v12
	v_min_u32_e32 v15, 32, v15
	v_lshrrev_b16_e32 v14, 3, v11
	v_subrev_u32_e32 v16, 28, v15
	v_and_b32_e32 v14, 15, v14
	v_lshlrev_b32_e32 v11, v16, v11
	v_sub_u32_e32 v15, 29, v15
	v_and_b32_e32 v11, 7, v11
	v_cmp_eq_u16_e32 vcc, 0, v14
	v_cndmask_b32_e32 v11, v12, v11, vcc
	v_cndmask_b32_e32 v12, v14, v15, vcc
	v_lshlrev_b32_e32 v14, 16, v13
	v_mov_b32_e32 v15, 0x3b800000
	v_lshlrev_b32_e32 v11, 20, v11
	v_and_b32_e32 v14, 0x80000000, v14
	v_lshl_add_u32 v12, v12, 23, v15
	v_or3_b32 v12, v14, v12, v11
.LBB50_1648:
	s_or_b64 exec, exec, s[6:7]
	s_nop 0
	v_mfma_f32_16x16x4f32 a[0:3], v10, v12, a[0:3]
	s_movk_i32 s4, 0xff
	v_and_b32_sdwa v11, v17, s4 dst_sel:DWORD dst_unused:UNUSED_PAD src0_sel:WORD_1 src1_sel:DWORD
	s_movk_i32 s4, 0x7f
	v_cmp_lt_i16_e32 vcc, s4, v11
	s_mov_b64 s[4:5], 0
                                        ; implicit-def: $sgpr10
	s_and_saveexec_b64 s[6:7], vcc
	s_xor_b64 s[6:7], exec, s[6:7]
	s_cbranch_execnz .LBB50_3697
; %bb.1649:
	s_or_saveexec_b64 s[6:7], s[6:7]
	v_mov_b32_e32 v10, s10
	s_xor_b64 exec, exec, s[6:7]
	s_cbranch_execnz .LBB50_3700
.LBB50_1650:
	s_or_b64 exec, exec, s[6:7]
	s_and_saveexec_b64 s[6:7], s[4:5]
	s_cbranch_execz .LBB50_1652
.LBB50_1651:
	v_bfe_u32 v10, v17, 16, 3
	v_ffbh_u32_e32 v14, v10
	v_min_u32_e32 v14, 32, v14
	v_lshrrev_b32_e32 v11, 19, v17
	v_subrev_u32_e32 v15, 28, v14
	v_and_b32_e32 v11, 15, v11
	v_lshlrev_b32_sdwa v15, v15, v17 dst_sel:DWORD dst_unused:UNUSED_PAD src0_sel:DWORD src1_sel:WORD_1
	v_bfe_u32 v12, v17, 19, 4
	v_sub_u32_e32 v14, 29, v14
	v_and_b32_e32 v15, 7, v15
	v_cmp_eq_u16_e32 vcc, 0, v11
	v_cndmask_b32_e32 v10, v10, v15, vcc
	v_cndmask_b32_e32 v11, v12, v14, vcc
	v_lshlrev_b32_e32 v12, 8, v17
	v_mov_b32_e32 v14, 0x3b800000
	v_lshlrev_b32_e32 v10, 20, v10
	v_and_b32_e32 v12, 0x80000000, v12
	v_lshl_add_u32 v11, v11, 23, v14
	v_or3_b32 v10, v12, v11, v10
.LBB50_1652:
	s_or_b64 exec, exec, s[6:7]
	s_movk_i32 s4, 0xff
	v_and_b32_sdwa v11, v13, s4 dst_sel:DWORD dst_unused:UNUSED_PAD src0_sel:WORD_1 src1_sel:DWORD
	s_movk_i32 s4, 0x7f
	v_cmp_lt_i16_e32 vcc, s4, v11
	s_mov_b64 s[4:5], 0
                                        ; implicit-def: $sgpr10
	s_and_saveexec_b64 s[6:7], vcc
	s_xor_b64 s[6:7], exec, s[6:7]
	s_cbranch_execnz .LBB50_3701
; %bb.1653:
	s_or_saveexec_b64 s[6:7], s[6:7]
	v_mov_b32_e32 v12, s10
	s_xor_b64 exec, exec, s[6:7]
	s_cbranch_execnz .LBB50_3704
.LBB50_1654:
	s_or_b64 exec, exec, s[6:7]
	s_and_saveexec_b64 s[6:7], s[4:5]
	s_cbranch_execz .LBB50_1656
.LBB50_1655:
	v_bfe_u32 v11, v13, 16, 3
	v_ffbh_u32_e32 v15, v11
	v_min_u32_e32 v15, 32, v15
	v_lshrrev_b32_e32 v12, 19, v13
	v_subrev_u32_e32 v16, 28, v15
	v_and_b32_e32 v12, 15, v12
	v_lshlrev_b32_sdwa v16, v16, v13 dst_sel:DWORD dst_unused:UNUSED_PAD src0_sel:DWORD src1_sel:WORD_1
	v_bfe_u32 v14, v13, 19, 4
	v_sub_u32_e32 v15, 29, v15
	v_and_b32_e32 v16, 7, v16
	v_cmp_eq_u16_e32 vcc, 0, v12
	v_cndmask_b32_e32 v11, v11, v16, vcc
	v_cndmask_b32_e32 v12, v14, v15, vcc
	v_lshlrev_b32_e32 v14, 8, v13
	v_mov_b32_e32 v15, 0x3b800000
	v_lshlrev_b32_e32 v11, 20, v11
	v_and_b32_e32 v14, 0x80000000, v14
	v_lshl_add_u32 v12, v12, 23, v15
	v_or3_b32 v12, v14, v12, v11
.LBB50_1656:
	s_or_b64 exec, exec, s[6:7]
	s_nop 0
	v_mfma_f32_16x16x4f32 a[0:3], v10, v12, a[0:3]
	s_movk_i32 s4, 0x7f
	v_cmp_gt_i16_sdwa s[6:7], v17, s4 src0_sel:BYTE_3 src1_sel:DWORD
	s_mov_b64 s[4:5], 0
                                        ; implicit-def: $sgpr10
	s_and_saveexec_b64 s[8:9], s[6:7]
	s_xor_b64 s[6:7], exec, s[8:9]
	s_cbranch_execnz .LBB50_3705
; %bb.1657:
	s_or_saveexec_b64 s[6:7], s[6:7]
	v_mov_b32_e32 v10, s10
	s_xor_b64 exec, exec, s[6:7]
	s_cbranch_execnz .LBB50_3708
.LBB50_1658:
	s_or_b64 exec, exec, s[6:7]
	s_and_saveexec_b64 s[6:7], s[4:5]
	s_cbranch_execz .LBB50_1660
.LBB50_1659:
	v_bfe_u32 v10, v17, 24, 3
	v_ffbh_u32_e32 v15, v10
	v_min_u32_e32 v15, 32, v15
	v_lshrrev_b32_e32 v12, 27, v17
	v_subrev_u32_e32 v16, 28, v15
	v_and_b32_e32 v12, 15, v12
	v_lshlrev_b32_sdwa v16, v16, v17 dst_sel:DWORD dst_unused:UNUSED_PAD src0_sel:DWORD src1_sel:BYTE_3
	v_bfe_u32 v14, v17, 27, 4
	v_sub_u32_e32 v15, 29, v15
	v_and_b32_e32 v16, 7, v16
	v_cmp_eq_u16_e32 vcc, 0, v12
	v_cndmask_b32_e32 v10, v10, v16, vcc
	v_cndmask_b32_e32 v12, v14, v15, vcc
	v_mov_b32_e32 v14, 0x3b800000
	v_and_b32_e32 v11, 0x80000000, v17
	v_lshlrev_b32_e32 v10, 20, v10
	v_lshl_add_u32 v12, v12, 23, v14
	v_or3_b32 v10, v11, v12, v10
.LBB50_1660:
	s_or_b64 exec, exec, s[6:7]
	s_movk_i32 s4, 0x7f
	v_cmp_gt_i16_sdwa s[6:7], v13, s4 src0_sel:BYTE_3 src1_sel:DWORD
	s_mov_b64 s[4:5], 0
                                        ; implicit-def: $sgpr10
	s_and_saveexec_b64 s[8:9], s[6:7]
	s_xor_b64 s[6:7], exec, s[8:9]
	s_cbranch_execnz .LBB50_3709
; %bb.1661:
	s_or_saveexec_b64 s[6:7], s[6:7]
	v_mov_b32_e32 v11, s10
	s_xor_b64 exec, exec, s[6:7]
	s_cbranch_execnz .LBB50_3712
.LBB50_1662:
	s_or_b64 exec, exec, s[6:7]
	s_and_saveexec_b64 s[6:7], s[4:5]
	s_cbranch_execz .LBB50_1664
.LBB50_1663:
	v_bfe_u32 v11, v13, 24, 3
	v_ffbh_u32_e32 v16, v11
	v_min_u32_e32 v16, 32, v16
	v_lshrrev_b32_e32 v14, 27, v13
	v_subrev_u32_e32 v17, 28, v16
	v_and_b32_e32 v12, 0x80000000, v13
	v_and_b32_e32 v14, 15, v14
	v_bfe_u32 v15, v13, 27, 4
	v_lshlrev_b32_sdwa v13, v17, v13 dst_sel:DWORD dst_unused:UNUSED_PAD src0_sel:DWORD src1_sel:BYTE_3
	v_sub_u32_e32 v16, 29, v16
	v_and_b32_e32 v13, 7, v13
	v_cmp_eq_u16_e32 vcc, 0, v14
	v_cndmask_b32_e32 v11, v11, v13, vcc
	v_cndmask_b32_e32 v13, v15, v16, vcc
	v_mov_b32_e32 v14, 0x3b800000
	v_lshlrev_b32_e32 v11, 20, v11
	v_lshl_add_u32 v13, v13, 23, v14
	v_or3_b32 v11, v12, v13, v11
.LBB50_1664:
	s_or_b64 exec, exec, s[6:7]
	s_nop 0
	v_mfma_f32_16x16x4f32 a[0:3], v10, v11, a[0:3]
	s_movk_i32 s4, 0x7f
	v_cmp_gt_i16_sdwa s[6:7], v6, s4 src0_sel:BYTE_0 src1_sel:DWORD
	s_mov_b64 s[4:5], 0
                                        ; implicit-def: $sgpr10
	s_and_saveexec_b64 s[8:9], s[6:7]
	s_xor_b64 s[6:7], exec, s[8:9]
	s_cbranch_execnz .LBB50_3713
; %bb.1665:
	s_or_saveexec_b64 s[6:7], s[6:7]
	v_mov_b32_e32 v10, s10
	s_xor_b64 exec, exec, s[6:7]
	s_cbranch_execnz .LBB50_3716
.LBB50_1666:
	s_or_b64 exec, exec, s[6:7]
	s_and_saveexec_b64 s[6:7], s[4:5]
	s_cbranch_execz .LBB50_1668
.LBB50_1667:
	v_and_b32_e32 v10, 7, v6
	v_ffbh_u32_e32 v12, v10
	v_min_u32_e32 v12, 32, v12
	v_lshrrev_b16_e32 v11, 3, v6
	v_subrev_u32_e32 v13, 28, v12
	v_and_b32_e32 v11, 15, v11
	v_lshlrev_b32_e32 v13, v13, v6
	v_sub_u32_e32 v12, 29, v12
	v_and_b32_e32 v13, 7, v13
	v_cmp_eq_u16_e32 vcc, 0, v11
	v_cndmask_b32_e32 v10, v10, v13, vcc
	v_cndmask_b32_e32 v11, v11, v12, vcc
	v_lshlrev_b32_e32 v12, 24, v6
	v_mov_b32_e32 v13, 0x3b800000
	v_lshlrev_b32_e32 v10, 20, v10
	v_and_b32_e32 v12, 0x80000000, v12
	v_lshl_add_u32 v11, v11, 23, v13
	v_or3_b32 v10, v12, v11, v10
.LBB50_1668:
	s_or_b64 exec, exec, s[6:7]
	s_movk_i32 s4, 0x7f
	v_cmp_gt_i16_sdwa s[6:7], v2, s4 src0_sel:BYTE_0 src1_sel:DWORD
	s_mov_b64 s[4:5], 0
                                        ; implicit-def: $sgpr10
	s_and_saveexec_b64 s[8:9], s[6:7]
	s_xor_b64 s[6:7], exec, s[8:9]
	s_cbranch_execnz .LBB50_3717
; %bb.1669:
	s_or_saveexec_b64 s[6:7], s[6:7]
	v_mov_b32_e32 v11, s10
	s_xor_b64 exec, exec, s[6:7]
	s_cbranch_execnz .LBB50_3720
.LBB50_1670:
	s_or_b64 exec, exec, s[6:7]
	s_and_saveexec_b64 s[6:7], s[4:5]
	s_cbranch_execz .LBB50_1672
.LBB50_1671:
	v_and_b32_e32 v11, 7, v2
	v_ffbh_u32_e32 v13, v11
	v_min_u32_e32 v13, 32, v13
	v_lshrrev_b16_e32 v12, 3, v2
	v_subrev_u32_e32 v14, 28, v13
	v_and_b32_e32 v12, 15, v12
	v_lshlrev_b32_e32 v14, v14, v2
	v_sub_u32_e32 v13, 29, v13
	v_and_b32_e32 v14, 7, v14
	v_cmp_eq_u16_e32 vcc, 0, v12
	v_cndmask_b32_e32 v11, v11, v14, vcc
	v_cndmask_b32_e32 v12, v12, v13, vcc
	v_lshlrev_b32_e32 v13, 24, v2
	v_mov_b32_e32 v14, 0x3b800000
	v_lshlrev_b32_e32 v11, 20, v11
	v_and_b32_e32 v13, 0x80000000, v13
	v_lshl_add_u32 v12, v12, 23, v14
	v_or3_b32 v11, v13, v12, v11
.LBB50_1672:
	s_or_b64 exec, exec, s[6:7]
	s_nop 0
	v_mfma_f32_16x16x4f32 a[0:3], v10, v11, a[0:3]
	v_lshrrev_b32_e32 v11, 8, v6
	s_movk_i32 s4, 0x7f
	v_cmp_gt_i16_sdwa s[6:7], v11, s4 src0_sel:BYTE_0 src1_sel:DWORD
	s_mov_b64 s[4:5], 0
                                        ; implicit-def: $sgpr10
	s_and_saveexec_b64 s[8:9], s[6:7]
	s_xor_b64 s[6:7], exec, s[8:9]
	s_cbranch_execnz .LBB50_3721
; %bb.1673:
	s_or_saveexec_b64 s[6:7], s[6:7]
	v_mov_b32_e32 v10, s10
	s_xor_b64 exec, exec, s[6:7]
	s_cbranch_execnz .LBB50_3724
.LBB50_1674:
	s_or_b64 exec, exec, s[6:7]
	s_and_saveexec_b64 s[6:7], s[4:5]
	s_cbranch_execz .LBB50_1676
.LBB50_1675:
	v_bfe_u32 v10, v6, 8, 3
	v_ffbh_u32_e32 v13, v10
	v_min_u32_e32 v13, 32, v13
	v_lshrrev_b16_e32 v12, 3, v11
	v_subrev_u32_e32 v14, 28, v13
	v_and_b32_e32 v12, 15, v12
	v_lshlrev_b32_e32 v11, v14, v11
	v_sub_u32_e32 v13, 29, v13
	v_and_b32_e32 v11, 7, v11
	v_cmp_eq_u16_e32 vcc, 0, v12
	v_cndmask_b32_e32 v10, v10, v11, vcc
	v_cndmask_b32_e32 v11, v12, v13, vcc
	v_lshlrev_b32_e32 v12, 16, v6
	v_mov_b32_e32 v13, 0x3b800000
	v_lshlrev_b32_e32 v10, 20, v10
	v_and_b32_e32 v12, 0x80000000, v12
	v_lshl_add_u32 v11, v11, 23, v13
	v_or3_b32 v10, v12, v11, v10
.LBB50_1676:
	s_or_b64 exec, exec, s[6:7]
	v_lshrrev_b32_e32 v11, 8, v2
	s_movk_i32 s4, 0x7f
	v_cmp_gt_i16_sdwa s[6:7], v11, s4 src0_sel:BYTE_0 src1_sel:DWORD
	s_mov_b64 s[4:5], 0
                                        ; implicit-def: $sgpr10
	s_and_saveexec_b64 s[8:9], s[6:7]
	s_xor_b64 s[6:7], exec, s[8:9]
	s_cbranch_execnz .LBB50_3725
; %bb.1677:
	s_or_saveexec_b64 s[6:7], s[6:7]
	v_mov_b32_e32 v12, s10
	s_xor_b64 exec, exec, s[6:7]
	s_cbranch_execnz .LBB50_3728
.LBB50_1678:
	s_or_b64 exec, exec, s[6:7]
	s_and_saveexec_b64 s[6:7], s[4:5]
	s_cbranch_execz .LBB50_1680
.LBB50_1679:
	v_bfe_u32 v12, v2, 8, 3
	v_ffbh_u32_e32 v14, v12
	v_min_u32_e32 v14, 32, v14
	v_lshrrev_b16_e32 v13, 3, v11
	v_subrev_u32_e32 v15, 28, v14
	v_and_b32_e32 v13, 15, v13
	v_lshlrev_b32_e32 v11, v15, v11
	v_sub_u32_e32 v14, 29, v14
	v_and_b32_e32 v11, 7, v11
	v_cmp_eq_u16_e32 vcc, 0, v13
	v_cndmask_b32_e32 v11, v12, v11, vcc
	v_cndmask_b32_e32 v12, v13, v14, vcc
	v_lshlrev_b32_e32 v13, 16, v2
	v_mov_b32_e32 v14, 0x3b800000
	v_lshlrev_b32_e32 v11, 20, v11
	v_and_b32_e32 v13, 0x80000000, v13
	v_lshl_add_u32 v12, v12, 23, v14
	v_or3_b32 v12, v13, v12, v11
.LBB50_1680:
	s_or_b64 exec, exec, s[6:7]
	s_nop 0
	v_mfma_f32_16x16x4f32 a[0:3], v10, v12, a[0:3]
	s_movk_i32 s4, 0xff
	v_and_b32_sdwa v11, v6, s4 dst_sel:DWORD dst_unused:UNUSED_PAD src0_sel:WORD_1 src1_sel:DWORD
	s_movk_i32 s4, 0x7f
	v_cmp_lt_i16_e32 vcc, s4, v11
	s_mov_b64 s[4:5], 0
                                        ; implicit-def: $sgpr10
	s_and_saveexec_b64 s[6:7], vcc
	s_xor_b64 s[6:7], exec, s[6:7]
	s_cbranch_execnz .LBB50_3729
; %bb.1681:
	s_or_saveexec_b64 s[6:7], s[6:7]
	v_mov_b32_e32 v10, s10
	s_xor_b64 exec, exec, s[6:7]
	s_cbranch_execnz .LBB50_3732
.LBB50_1682:
	s_or_b64 exec, exec, s[6:7]
	s_and_saveexec_b64 s[6:7], s[4:5]
	s_cbranch_execz .LBB50_1684
.LBB50_1683:
	v_bfe_u32 v10, v6, 16, 3
	v_ffbh_u32_e32 v13, v10
	v_min_u32_e32 v13, 32, v13
	v_lshrrev_b32_e32 v11, 19, v6
	v_subrev_u32_e32 v14, 28, v13
	v_and_b32_e32 v11, 15, v11
	v_lshlrev_b32_sdwa v14, v14, v6 dst_sel:DWORD dst_unused:UNUSED_PAD src0_sel:DWORD src1_sel:WORD_1
	v_bfe_u32 v12, v6, 19, 4
	v_sub_u32_e32 v13, 29, v13
	v_and_b32_e32 v14, 7, v14
	v_cmp_eq_u16_e32 vcc, 0, v11
	v_cndmask_b32_e32 v10, v10, v14, vcc
	v_cndmask_b32_e32 v11, v12, v13, vcc
	v_lshlrev_b32_e32 v12, 8, v6
	v_mov_b32_e32 v13, 0x3b800000
	v_lshlrev_b32_e32 v10, 20, v10
	v_and_b32_e32 v12, 0x80000000, v12
	v_lshl_add_u32 v11, v11, 23, v13
	v_or3_b32 v10, v12, v11, v10
.LBB50_1684:
	s_or_b64 exec, exec, s[6:7]
	s_movk_i32 s4, 0xff
	v_and_b32_sdwa v11, v2, s4 dst_sel:DWORD dst_unused:UNUSED_PAD src0_sel:WORD_1 src1_sel:DWORD
	s_movk_i32 s4, 0x7f
	v_cmp_lt_i16_e32 vcc, s4, v11
	s_mov_b64 s[4:5], 0
                                        ; implicit-def: $sgpr10
	s_and_saveexec_b64 s[6:7], vcc
	s_xor_b64 s[6:7], exec, s[6:7]
	s_cbranch_execnz .LBB50_3733
; %bb.1685:
	s_or_saveexec_b64 s[6:7], s[6:7]
	v_mov_b32_e32 v12, s10
	s_xor_b64 exec, exec, s[6:7]
	s_cbranch_execnz .LBB50_3736
.LBB50_1686:
	s_or_b64 exec, exec, s[6:7]
	s_and_saveexec_b64 s[6:7], s[4:5]
	s_cbranch_execz .LBB50_1688
.LBB50_1687:
	v_bfe_u32 v11, v2, 16, 3
	v_ffbh_u32_e32 v14, v11
	v_min_u32_e32 v14, 32, v14
	v_lshrrev_b32_e32 v12, 19, v2
	v_subrev_u32_e32 v15, 28, v14
	v_and_b32_e32 v12, 15, v12
	v_lshlrev_b32_sdwa v15, v15, v2 dst_sel:DWORD dst_unused:UNUSED_PAD src0_sel:DWORD src1_sel:WORD_1
	v_bfe_u32 v13, v2, 19, 4
	v_sub_u32_e32 v14, 29, v14
	v_and_b32_e32 v15, 7, v15
	v_cmp_eq_u16_e32 vcc, 0, v12
	v_cndmask_b32_e32 v11, v11, v15, vcc
	v_cndmask_b32_e32 v12, v13, v14, vcc
	v_lshlrev_b32_e32 v13, 8, v2
	v_mov_b32_e32 v14, 0x3b800000
	v_lshlrev_b32_e32 v11, 20, v11
	v_and_b32_e32 v13, 0x80000000, v13
	v_lshl_add_u32 v12, v12, 23, v14
	v_or3_b32 v12, v13, v12, v11
.LBB50_1688:
	s_or_b64 exec, exec, s[6:7]
	s_nop 0
	v_mfma_f32_16x16x4f32 a[0:3], v10, v12, a[0:3]
	s_movk_i32 s4, 0x7f
	v_cmp_gt_i16_sdwa s[6:7], v6, s4 src0_sel:BYTE_3 src1_sel:DWORD
	s_mov_b64 s[4:5], 0
                                        ; implicit-def: $sgpr10
	s_and_saveexec_b64 s[8:9], s[6:7]
	s_xor_b64 s[6:7], exec, s[8:9]
	s_cbranch_execnz .LBB50_3737
; %bb.1689:
	s_or_saveexec_b64 s[6:7], s[6:7]
	v_mov_b32_e32 v10, s10
	s_xor_b64 exec, exec, s[6:7]
	s_cbranch_execnz .LBB50_3740
.LBB50_1690:
	s_or_b64 exec, exec, s[6:7]
	s_and_saveexec_b64 s[6:7], s[4:5]
	s_cbranch_execz .LBB50_1692
.LBB50_1691:
	v_bfe_u32 v10, v6, 24, 3
	v_ffbh_u32_e32 v14, v10
	v_min_u32_e32 v14, 32, v14
	v_lshrrev_b32_e32 v12, 27, v6
	v_subrev_u32_e32 v15, 28, v14
	v_and_b32_e32 v11, 0x80000000, v6
	v_and_b32_e32 v12, 15, v12
	v_bfe_u32 v13, v6, 27, 4
	v_lshlrev_b32_sdwa v6, v15, v6 dst_sel:DWORD dst_unused:UNUSED_PAD src0_sel:DWORD src1_sel:BYTE_3
	v_sub_u32_e32 v14, 29, v14
	v_and_b32_e32 v6, 7, v6
	v_cmp_eq_u16_e32 vcc, 0, v12
	v_cndmask_b32_e32 v6, v10, v6, vcc
	v_cndmask_b32_e32 v10, v13, v14, vcc
	v_mov_b32_e32 v12, 0x3b800000
	v_lshlrev_b32_e32 v6, 20, v6
	v_lshl_add_u32 v10, v10, 23, v12
	v_or3_b32 v10, v11, v10, v6
.LBB50_1692:
	s_or_b64 exec, exec, s[6:7]
	s_movk_i32 s4, 0x7f
	v_cmp_gt_i16_sdwa s[6:7], v2, s4 src0_sel:BYTE_3 src1_sel:DWORD
	s_mov_b64 s[4:5], 0
                                        ; implicit-def: $sgpr10
	s_and_saveexec_b64 s[8:9], s[6:7]
	s_xor_b64 s[6:7], exec, s[8:9]
	s_cbranch_execnz .LBB50_3741
; %bb.1693:
	s_or_saveexec_b64 s[6:7], s[6:7]
	v_mov_b32_e32 v6, s10
	s_xor_b64 exec, exec, s[6:7]
	s_cbranch_execnz .LBB50_3744
.LBB50_1694:
	s_or_b64 exec, exec, s[6:7]
	s_and_saveexec_b64 s[6:7], s[4:5]
	s_cbranch_execz .LBB50_1696
.LBB50_1695:
	v_bfe_u32 v6, v2, 24, 3
	v_ffbh_u32_e32 v14, v6
	v_min_u32_e32 v14, 32, v14
	v_lshrrev_b32_e32 v12, 27, v2
	v_subrev_u32_e32 v15, 28, v14
	v_and_b32_e32 v11, 0x80000000, v2
	v_and_b32_e32 v12, 15, v12
	v_bfe_u32 v13, v2, 27, 4
	v_lshlrev_b32_sdwa v2, v15, v2 dst_sel:DWORD dst_unused:UNUSED_PAD src0_sel:DWORD src1_sel:BYTE_3
	v_sub_u32_e32 v14, 29, v14
	v_and_b32_e32 v2, 7, v2
	v_cmp_eq_u16_e32 vcc, 0, v12
	v_cndmask_b32_e32 v2, v6, v2, vcc
	v_cndmask_b32_e32 v6, v13, v14, vcc
	v_mov_b32_e32 v12, 0x3b800000
	v_lshlrev_b32_e32 v2, 20, v2
	v_lshl_add_u32 v6, v6, 23, v12
	v_or3_b32 v6, v11, v6, v2
.LBB50_1696:
	s_or_b64 exec, exec, s[6:7]
	s_nop 0
	v_mfma_f32_16x16x4f32 a[0:3], v10, v6, a[0:3]
	s_movk_i32 s4, 0x7f
	v_cmp_gt_i16_sdwa s[6:7], v7, s4 src0_sel:BYTE_0 src1_sel:DWORD
	s_mov_b64 s[4:5], 0
                                        ; implicit-def: $sgpr10
	s_and_saveexec_b64 s[8:9], s[6:7]
	s_xor_b64 s[6:7], exec, s[8:9]
	s_cbranch_execnz .LBB50_3745
; %bb.1697:
	s_or_saveexec_b64 s[6:7], s[6:7]
	v_mov_b32_e32 v2, s10
	s_xor_b64 exec, exec, s[6:7]
	s_cbranch_execnz .LBB50_3748
.LBB50_1698:
	s_or_b64 exec, exec, s[6:7]
	s_and_saveexec_b64 s[6:7], s[4:5]
	s_cbranch_execz .LBB50_1700
.LBB50_1699:
	v_and_b32_e32 v2, 7, v7
	v_ffbh_u32_e32 v10, v2
	v_min_u32_e32 v10, 32, v10
	v_lshrrev_b16_e32 v6, 3, v7
	v_subrev_u32_e32 v11, 28, v10
	v_and_b32_e32 v6, 15, v6
	v_lshlrev_b32_e32 v11, v11, v7
	v_sub_u32_e32 v10, 29, v10
	v_and_b32_e32 v11, 7, v11
	v_cmp_eq_u16_e32 vcc, 0, v6
	v_cndmask_b32_e32 v2, v2, v11, vcc
	v_cndmask_b32_e32 v6, v6, v10, vcc
	v_lshlrev_b32_e32 v10, 24, v7
	v_mov_b32_e32 v11, 0x3b800000
	v_lshlrev_b32_e32 v2, 20, v2
	v_and_b32_e32 v10, 0x80000000, v10
	v_lshl_add_u32 v6, v6, 23, v11
	v_or3_b32 v2, v10, v6, v2
.LBB50_1700:
	s_or_b64 exec, exec, s[6:7]
	s_movk_i32 s4, 0x7f
	v_cmp_gt_i16_sdwa s[6:7], v3, s4 src0_sel:BYTE_0 src1_sel:DWORD
	s_mov_b64 s[4:5], 0
                                        ; implicit-def: $sgpr10
	s_and_saveexec_b64 s[8:9], s[6:7]
	s_xor_b64 s[6:7], exec, s[8:9]
	s_cbranch_execnz .LBB50_3749
; %bb.1701:
	s_or_saveexec_b64 s[6:7], s[6:7]
	v_mov_b32_e32 v6, s10
	s_xor_b64 exec, exec, s[6:7]
	s_cbranch_execnz .LBB50_3752
.LBB50_1702:
	s_or_b64 exec, exec, s[6:7]
	s_and_saveexec_b64 s[6:7], s[4:5]
	s_cbranch_execz .LBB50_1704
.LBB50_1703:
	v_and_b32_e32 v6, 7, v3
	v_ffbh_u32_e32 v11, v6
	v_min_u32_e32 v11, 32, v11
	v_lshrrev_b16_e32 v10, 3, v3
	v_subrev_u32_e32 v12, 28, v11
	v_and_b32_e32 v10, 15, v10
	v_lshlrev_b32_e32 v12, v12, v3
	v_sub_u32_e32 v11, 29, v11
	v_and_b32_e32 v12, 7, v12
	v_cmp_eq_u16_e32 vcc, 0, v10
	v_cndmask_b32_e32 v6, v6, v12, vcc
	v_cndmask_b32_e32 v10, v10, v11, vcc
	v_lshlrev_b32_e32 v11, 24, v3
	v_mov_b32_e32 v12, 0x3b800000
	v_lshlrev_b32_e32 v6, 20, v6
	v_and_b32_e32 v11, 0x80000000, v11
	v_lshl_add_u32 v10, v10, 23, v12
	v_or3_b32 v6, v11, v10, v6
.LBB50_1704:
	s_or_b64 exec, exec, s[6:7]
	s_nop 0
	v_mfma_f32_16x16x4f32 a[0:3], v2, v6, a[0:3]
	v_lshrrev_b32_e32 v6, 8, v7
	s_movk_i32 s4, 0x7f
	v_cmp_gt_i16_sdwa s[6:7], v6, s4 src0_sel:BYTE_0 src1_sel:DWORD
	s_mov_b64 s[4:5], 0
                                        ; implicit-def: $sgpr10
	s_and_saveexec_b64 s[8:9], s[6:7]
	s_xor_b64 s[6:7], exec, s[8:9]
	s_cbranch_execnz .LBB50_3753
; %bb.1705:
	s_or_saveexec_b64 s[6:7], s[6:7]
	v_mov_b32_e32 v2, s10
	s_xor_b64 exec, exec, s[6:7]
	s_cbranch_execnz .LBB50_3756
.LBB50_1706:
	s_or_b64 exec, exec, s[6:7]
	s_and_saveexec_b64 s[6:7], s[4:5]
	s_cbranch_execz .LBB50_1708
.LBB50_1707:
	v_bfe_u32 v2, v7, 8, 3
	v_ffbh_u32_e32 v11, v2
	v_min_u32_e32 v11, 32, v11
	v_lshrrev_b16_e32 v10, 3, v6
	v_subrev_u32_e32 v12, 28, v11
	v_and_b32_e32 v10, 15, v10
	v_lshlrev_b32_e32 v6, v12, v6
	v_sub_u32_e32 v11, 29, v11
	v_and_b32_e32 v6, 7, v6
	v_cmp_eq_u16_e32 vcc, 0, v10
	v_cndmask_b32_e32 v2, v2, v6, vcc
	v_cndmask_b32_e32 v6, v10, v11, vcc
	v_lshlrev_b32_e32 v10, 16, v7
	v_mov_b32_e32 v11, 0x3b800000
	v_lshlrev_b32_e32 v2, 20, v2
	v_and_b32_e32 v10, 0x80000000, v10
	v_lshl_add_u32 v6, v6, 23, v11
	v_or3_b32 v2, v10, v6, v2
.LBB50_1708:
	s_or_b64 exec, exec, s[6:7]
	v_lshrrev_b32_e32 v6, 8, v3
	s_movk_i32 s4, 0x7f
	v_cmp_gt_i16_sdwa s[6:7], v6, s4 src0_sel:BYTE_0 src1_sel:DWORD
	s_mov_b64 s[4:5], 0
                                        ; implicit-def: $sgpr10
	s_and_saveexec_b64 s[8:9], s[6:7]
	s_xor_b64 s[6:7], exec, s[8:9]
	s_cbranch_execnz .LBB50_3757
; %bb.1709:
	s_or_saveexec_b64 s[6:7], s[6:7]
	v_mov_b32_e32 v10, s10
	s_xor_b64 exec, exec, s[6:7]
	s_cbranch_execnz .LBB50_3760
.LBB50_1710:
	s_or_b64 exec, exec, s[6:7]
	s_and_saveexec_b64 s[6:7], s[4:5]
	s_cbranch_execz .LBB50_1712
.LBB50_1711:
	v_bfe_u32 v10, v3, 8, 3
	v_ffbh_u32_e32 v12, v10
	v_min_u32_e32 v12, 32, v12
	v_lshrrev_b16_e32 v11, 3, v6
	v_subrev_u32_e32 v13, 28, v12
	v_and_b32_e32 v11, 15, v11
	v_lshlrev_b32_e32 v6, v13, v6
	v_sub_u32_e32 v12, 29, v12
	v_and_b32_e32 v6, 7, v6
	v_cmp_eq_u16_e32 vcc, 0, v11
	v_cndmask_b32_e32 v6, v10, v6, vcc
	v_cndmask_b32_e32 v10, v11, v12, vcc
	v_lshlrev_b32_e32 v11, 16, v3
	v_mov_b32_e32 v12, 0x3b800000
	v_lshlrev_b32_e32 v6, 20, v6
	v_and_b32_e32 v11, 0x80000000, v11
	v_lshl_add_u32 v10, v10, 23, v12
	v_or3_b32 v10, v11, v10, v6
.LBB50_1712:
	s_or_b64 exec, exec, s[6:7]
	s_nop 0
	v_mfma_f32_16x16x4f32 a[0:3], v2, v10, a[0:3]
	s_movk_i32 s4, 0xff
	v_and_b32_sdwa v6, v7, s4 dst_sel:DWORD dst_unused:UNUSED_PAD src0_sel:WORD_1 src1_sel:DWORD
	s_movk_i32 s4, 0x7f
	v_cmp_lt_i16_e32 vcc, s4, v6
	s_mov_b64 s[4:5], 0
                                        ; implicit-def: $sgpr10
	s_and_saveexec_b64 s[6:7], vcc
	s_xor_b64 s[6:7], exec, s[6:7]
	s_cbranch_execnz .LBB50_3761
; %bb.1713:
	s_or_saveexec_b64 s[6:7], s[6:7]
	v_mov_b32_e32 v2, s10
	s_xor_b64 exec, exec, s[6:7]
	s_cbranch_execnz .LBB50_3764
.LBB50_1714:
	s_or_b64 exec, exec, s[6:7]
	s_and_saveexec_b64 s[6:7], s[4:5]
	s_cbranch_execz .LBB50_1716
.LBB50_1715:
	v_bfe_u32 v2, v7, 16, 3
	v_ffbh_u32_e32 v11, v2
	v_min_u32_e32 v11, 32, v11
	v_lshrrev_b32_e32 v6, 19, v7
	v_subrev_u32_e32 v12, 28, v11
	v_and_b32_e32 v6, 15, v6
	v_lshlrev_b32_sdwa v12, v12, v7 dst_sel:DWORD dst_unused:UNUSED_PAD src0_sel:DWORD src1_sel:WORD_1
	v_bfe_u32 v10, v7, 19, 4
	v_sub_u32_e32 v11, 29, v11
	v_and_b32_e32 v12, 7, v12
	v_cmp_eq_u16_e32 vcc, 0, v6
	v_cndmask_b32_e32 v2, v2, v12, vcc
	v_cndmask_b32_e32 v6, v10, v11, vcc
	v_lshlrev_b32_e32 v10, 8, v7
	v_mov_b32_e32 v11, 0x3b800000
	v_lshlrev_b32_e32 v2, 20, v2
	v_and_b32_e32 v10, 0x80000000, v10
	v_lshl_add_u32 v6, v6, 23, v11
	v_or3_b32 v2, v10, v6, v2
.LBB50_1716:
	s_or_b64 exec, exec, s[6:7]
	s_movk_i32 s4, 0xff
	v_and_b32_sdwa v6, v3, s4 dst_sel:DWORD dst_unused:UNUSED_PAD src0_sel:WORD_1 src1_sel:DWORD
	s_movk_i32 s4, 0x7f
	v_cmp_lt_i16_e32 vcc, s4, v6
	s_mov_b64 s[4:5], 0
                                        ; implicit-def: $sgpr10
	s_and_saveexec_b64 s[6:7], vcc
	s_xor_b64 s[6:7], exec, s[6:7]
	s_cbranch_execnz .LBB50_3765
; %bb.1717:
	s_or_saveexec_b64 s[6:7], s[6:7]
	v_mov_b32_e32 v10, s10
	s_xor_b64 exec, exec, s[6:7]
	s_cbranch_execnz .LBB50_3768
.LBB50_1718:
	s_or_b64 exec, exec, s[6:7]
	s_and_saveexec_b64 s[6:7], s[4:5]
	s_cbranch_execz .LBB50_1720
.LBB50_1719:
	v_bfe_u32 v6, v3, 16, 3
	v_ffbh_u32_e32 v12, v6
	v_min_u32_e32 v12, 32, v12
	v_lshrrev_b32_e32 v10, 19, v3
	v_subrev_u32_e32 v13, 28, v12
	v_and_b32_e32 v10, 15, v10
	v_lshlrev_b32_sdwa v13, v13, v3 dst_sel:DWORD dst_unused:UNUSED_PAD src0_sel:DWORD src1_sel:WORD_1
	v_bfe_u32 v11, v3, 19, 4
	v_sub_u32_e32 v12, 29, v12
	v_and_b32_e32 v13, 7, v13
	v_cmp_eq_u16_e32 vcc, 0, v10
	v_cndmask_b32_e32 v6, v6, v13, vcc
	v_cndmask_b32_e32 v10, v11, v12, vcc
	v_lshlrev_b32_e32 v11, 8, v3
	v_mov_b32_e32 v12, 0x3b800000
	v_lshlrev_b32_e32 v6, 20, v6
	v_and_b32_e32 v11, 0x80000000, v11
	v_lshl_add_u32 v10, v10, 23, v12
	v_or3_b32 v10, v11, v10, v6
.LBB50_1720:
	s_or_b64 exec, exec, s[6:7]
	s_nop 0
	v_mfma_f32_16x16x4f32 a[0:3], v2, v10, a[0:3]
	s_movk_i32 s4, 0x7f
	v_cmp_gt_i16_sdwa s[6:7], v7, s4 src0_sel:BYTE_3 src1_sel:DWORD
	s_mov_b64 s[4:5], 0
                                        ; implicit-def: $sgpr10
	s_and_saveexec_b64 s[8:9], s[6:7]
	s_xor_b64 s[6:7], exec, s[8:9]
	s_cbranch_execnz .LBB50_3769
; %bb.1721:
	s_or_saveexec_b64 s[6:7], s[6:7]
	v_mov_b32_e32 v2, s10
	s_xor_b64 exec, exec, s[6:7]
	s_cbranch_execnz .LBB50_3772
.LBB50_1722:
	s_or_b64 exec, exec, s[6:7]
	s_and_saveexec_b64 s[6:7], s[4:5]
	s_cbranch_execz .LBB50_1724
.LBB50_1723:
	v_bfe_u32 v2, v7, 24, 3
	v_ffbh_u32_e32 v12, v2
	v_min_u32_e32 v12, 32, v12
	v_lshrrev_b32_e32 v10, 27, v7
	v_subrev_u32_e32 v13, 28, v12
	v_and_b32_e32 v6, 0x80000000, v7
	v_and_b32_e32 v10, 15, v10
	v_bfe_u32 v11, v7, 27, 4
	v_lshlrev_b32_sdwa v7, v13, v7 dst_sel:DWORD dst_unused:UNUSED_PAD src0_sel:DWORD src1_sel:BYTE_3
	v_sub_u32_e32 v12, 29, v12
	v_and_b32_e32 v7, 7, v7
	v_cmp_eq_u16_e32 vcc, 0, v10
	v_cndmask_b32_e32 v2, v2, v7, vcc
	v_cndmask_b32_e32 v7, v11, v12, vcc
	v_mov_b32_e32 v10, 0x3b800000
	v_lshlrev_b32_e32 v2, 20, v2
	v_lshl_add_u32 v7, v7, 23, v10
	v_or3_b32 v2, v6, v7, v2
.LBB50_1724:
	s_or_b64 exec, exec, s[6:7]
	s_movk_i32 s4, 0x7f
	v_cmp_gt_i16_sdwa s[6:7], v3, s4 src0_sel:BYTE_3 src1_sel:DWORD
	s_mov_b64 s[4:5], 0
                                        ; implicit-def: $sgpr10
	s_and_saveexec_b64 s[8:9], s[6:7]
	s_xor_b64 s[6:7], exec, s[8:9]
	s_cbranch_execnz .LBB50_3773
; %bb.1725:
	s_or_saveexec_b64 s[6:7], s[6:7]
	v_mov_b32_e32 v6, s10
	s_xor_b64 exec, exec, s[6:7]
	s_cbranch_execnz .LBB50_3776
.LBB50_1726:
	s_or_b64 exec, exec, s[6:7]
	s_and_saveexec_b64 s[6:7], s[4:5]
	s_cbranch_execz .LBB50_1728
.LBB50_1727:
	v_bfe_u32 v6, v3, 24, 3
	v_ffbh_u32_e32 v12, v6
	v_min_u32_e32 v12, 32, v12
	v_lshrrev_b32_e32 v10, 27, v3
	v_subrev_u32_e32 v13, 28, v12
	v_and_b32_e32 v7, 0x80000000, v3
	v_and_b32_e32 v10, 15, v10
	v_bfe_u32 v11, v3, 27, 4
	v_lshlrev_b32_sdwa v3, v13, v3 dst_sel:DWORD dst_unused:UNUSED_PAD src0_sel:DWORD src1_sel:BYTE_3
	v_sub_u32_e32 v12, 29, v12
	v_and_b32_e32 v3, 7, v3
	v_cmp_eq_u16_e32 vcc, 0, v10
	v_cndmask_b32_e32 v3, v6, v3, vcc
	v_cndmask_b32_e32 v6, v11, v12, vcc
	v_mov_b32_e32 v10, 0x3b800000
	v_lshlrev_b32_e32 v3, 20, v3
	v_lshl_add_u32 v6, v6, 23, v10
	v_or3_b32 v6, v7, v6, v3
.LBB50_1728:
	s_or_b64 exec, exec, s[6:7]
	s_nop 0
	v_mfma_f32_16x16x4f32 a[0:3], v2, v6, a[0:3]
	s_movk_i32 s4, 0x7f
	v_cmp_gt_i16_sdwa s[6:7], v8, s4 src0_sel:BYTE_0 src1_sel:DWORD
	s_mov_b64 s[4:5], 0
                                        ; implicit-def: $sgpr10
	s_and_saveexec_b64 s[8:9], s[6:7]
	s_xor_b64 s[6:7], exec, s[8:9]
	s_cbranch_execnz .LBB50_3777
; %bb.1729:
	s_or_saveexec_b64 s[6:7], s[6:7]
	v_mov_b32_e32 v2, s10
	s_xor_b64 exec, exec, s[6:7]
	s_cbranch_execnz .LBB50_3780
.LBB50_1730:
	s_or_b64 exec, exec, s[6:7]
	s_and_saveexec_b64 s[6:7], s[4:5]
	s_cbranch_execz .LBB50_1732
.LBB50_1731:
	v_and_b32_e32 v2, 7, v8
	v_ffbh_u32_e32 v6, v2
	v_min_u32_e32 v6, 32, v6
	v_lshrrev_b16_e32 v3, 3, v8
	v_subrev_u32_e32 v7, 28, v6
	v_and_b32_e32 v3, 15, v3
	v_lshlrev_b32_e32 v7, v7, v8
	v_sub_u32_e32 v6, 29, v6
	v_and_b32_e32 v7, 7, v7
	v_cmp_eq_u16_e32 vcc, 0, v3
	v_cndmask_b32_e32 v2, v2, v7, vcc
	v_cndmask_b32_e32 v3, v3, v6, vcc
	v_lshlrev_b32_e32 v6, 24, v8
	v_mov_b32_e32 v7, 0x3b800000
	v_lshlrev_b32_e32 v2, 20, v2
	v_and_b32_e32 v6, 0x80000000, v6
	v_lshl_add_u32 v3, v3, 23, v7
	v_or3_b32 v2, v6, v3, v2
.LBB50_1732:
	s_or_b64 exec, exec, s[6:7]
	s_movk_i32 s4, 0x7f
	v_cmp_gt_i16_sdwa s[6:7], v4, s4 src0_sel:BYTE_0 src1_sel:DWORD
	s_mov_b64 s[4:5], 0
                                        ; implicit-def: $sgpr10
	s_and_saveexec_b64 s[8:9], s[6:7]
	s_xor_b64 s[6:7], exec, s[8:9]
	s_cbranch_execnz .LBB50_3781
; %bb.1733:
	s_or_saveexec_b64 s[6:7], s[6:7]
	v_mov_b32_e32 v3, s10
	s_xor_b64 exec, exec, s[6:7]
	s_cbranch_execnz .LBB50_3784
.LBB50_1734:
	s_or_b64 exec, exec, s[6:7]
	s_and_saveexec_b64 s[6:7], s[4:5]
	s_cbranch_execz .LBB50_1736
.LBB50_1735:
	v_and_b32_e32 v3, 7, v4
	v_ffbh_u32_e32 v7, v3
	v_min_u32_e32 v7, 32, v7
	v_lshrrev_b16_e32 v6, 3, v4
	v_subrev_u32_e32 v10, 28, v7
	v_and_b32_e32 v6, 15, v6
	v_lshlrev_b32_e32 v10, v10, v4
	v_sub_u32_e32 v7, 29, v7
	v_and_b32_e32 v10, 7, v10
	v_cmp_eq_u16_e32 vcc, 0, v6
	v_cndmask_b32_e32 v3, v3, v10, vcc
	v_cndmask_b32_e32 v6, v6, v7, vcc
	v_lshlrev_b32_e32 v7, 24, v4
	v_mov_b32_e32 v10, 0x3b800000
	v_lshlrev_b32_e32 v3, 20, v3
	v_and_b32_e32 v7, 0x80000000, v7
	v_lshl_add_u32 v6, v6, 23, v10
	v_or3_b32 v3, v7, v6, v3
.LBB50_1736:
	s_or_b64 exec, exec, s[6:7]
	s_nop 0
	v_mfma_f32_16x16x4f32 a[0:3], v2, v3, a[0:3]
	v_lshrrev_b32_e32 v3, 8, v8
	s_movk_i32 s4, 0x7f
	v_cmp_gt_i16_sdwa s[6:7], v3, s4 src0_sel:BYTE_0 src1_sel:DWORD
	s_mov_b64 s[4:5], 0
                                        ; implicit-def: $sgpr10
	s_and_saveexec_b64 s[8:9], s[6:7]
	s_xor_b64 s[6:7], exec, s[8:9]
	s_cbranch_execnz .LBB50_3785
; %bb.1737:
	s_or_saveexec_b64 s[6:7], s[6:7]
	v_mov_b32_e32 v2, s10
	s_xor_b64 exec, exec, s[6:7]
	s_cbranch_execnz .LBB50_3788
.LBB50_1738:
	s_or_b64 exec, exec, s[6:7]
	s_and_saveexec_b64 s[6:7], s[4:5]
	s_cbranch_execz .LBB50_1740
.LBB50_1739:
	v_bfe_u32 v2, v8, 8, 3
	v_ffbh_u32_e32 v7, v2
	v_min_u32_e32 v7, 32, v7
	v_lshrrev_b16_e32 v6, 3, v3
	v_subrev_u32_e32 v10, 28, v7
	v_and_b32_e32 v6, 15, v6
	v_lshlrev_b32_e32 v3, v10, v3
	v_sub_u32_e32 v7, 29, v7
	v_and_b32_e32 v3, 7, v3
	v_cmp_eq_u16_e32 vcc, 0, v6
	v_cndmask_b32_e32 v2, v2, v3, vcc
	v_cndmask_b32_e32 v3, v6, v7, vcc
	v_lshlrev_b32_e32 v6, 16, v8
	v_mov_b32_e32 v7, 0x3b800000
	v_lshlrev_b32_e32 v2, 20, v2
	v_and_b32_e32 v6, 0x80000000, v6
	v_lshl_add_u32 v3, v3, 23, v7
	v_or3_b32 v2, v6, v3, v2
.LBB50_1740:
	s_or_b64 exec, exec, s[6:7]
	v_lshrrev_b32_e32 v3, 8, v4
	s_movk_i32 s4, 0x7f
	v_cmp_gt_i16_sdwa s[6:7], v3, s4 src0_sel:BYTE_0 src1_sel:DWORD
	s_mov_b64 s[4:5], 0
                                        ; implicit-def: $sgpr10
	s_and_saveexec_b64 s[8:9], s[6:7]
	s_xor_b64 s[6:7], exec, s[8:9]
	s_cbranch_execnz .LBB50_3789
; %bb.1741:
	s_or_saveexec_b64 s[6:7], s[6:7]
	v_mov_b32_e32 v6, s10
	s_xor_b64 exec, exec, s[6:7]
	s_cbranch_execnz .LBB50_3792
.LBB50_1742:
	s_or_b64 exec, exec, s[6:7]
	s_and_saveexec_b64 s[6:7], s[4:5]
	s_cbranch_execz .LBB50_1744
.LBB50_1743:
	v_bfe_u32 v6, v4, 8, 3
	v_ffbh_u32_e32 v10, v6
	v_min_u32_e32 v10, 32, v10
	v_lshrrev_b16_e32 v7, 3, v3
	v_subrev_u32_e32 v11, 28, v10
	v_and_b32_e32 v7, 15, v7
	v_lshlrev_b32_e32 v3, v11, v3
	v_sub_u32_e32 v10, 29, v10
	v_and_b32_e32 v3, 7, v3
	v_cmp_eq_u16_e32 vcc, 0, v7
	v_cndmask_b32_e32 v3, v6, v3, vcc
	v_cndmask_b32_e32 v6, v7, v10, vcc
	v_lshlrev_b32_e32 v7, 16, v4
	v_mov_b32_e32 v10, 0x3b800000
	v_lshlrev_b32_e32 v3, 20, v3
	v_and_b32_e32 v7, 0x80000000, v7
	v_lshl_add_u32 v6, v6, 23, v10
	v_or3_b32 v6, v7, v6, v3
.LBB50_1744:
	s_or_b64 exec, exec, s[6:7]
	s_nop 0
	v_mfma_f32_16x16x4f32 a[0:3], v2, v6, a[0:3]
	s_movk_i32 s4, 0xff
	v_and_b32_sdwa v3, v8, s4 dst_sel:DWORD dst_unused:UNUSED_PAD src0_sel:WORD_1 src1_sel:DWORD
	s_movk_i32 s4, 0x7f
	v_cmp_lt_i16_e32 vcc, s4, v3
	s_mov_b64 s[4:5], 0
                                        ; implicit-def: $sgpr10
	s_and_saveexec_b64 s[6:7], vcc
	s_xor_b64 s[6:7], exec, s[6:7]
	s_cbranch_execnz .LBB50_3793
; %bb.1745:
	s_or_saveexec_b64 s[6:7], s[6:7]
	v_mov_b32_e32 v2, s10
	s_xor_b64 exec, exec, s[6:7]
	s_cbranch_execnz .LBB50_3796
.LBB50_1746:
	s_or_b64 exec, exec, s[6:7]
	s_and_saveexec_b64 s[6:7], s[4:5]
	s_cbranch_execz .LBB50_1748
.LBB50_1747:
	v_bfe_u32 v2, v8, 16, 3
	v_ffbh_u32_e32 v7, v2
	v_min_u32_e32 v7, 32, v7
	v_lshrrev_b32_e32 v3, 19, v8
	v_subrev_u32_e32 v10, 28, v7
	v_and_b32_e32 v3, 15, v3
	v_lshlrev_b32_sdwa v10, v10, v8 dst_sel:DWORD dst_unused:UNUSED_PAD src0_sel:DWORD src1_sel:WORD_1
	v_bfe_u32 v6, v8, 19, 4
	v_sub_u32_e32 v7, 29, v7
	v_and_b32_e32 v10, 7, v10
	v_cmp_eq_u16_e32 vcc, 0, v3
	v_cndmask_b32_e32 v2, v2, v10, vcc
	v_cndmask_b32_e32 v3, v6, v7, vcc
	v_lshlrev_b32_e32 v6, 8, v8
	v_mov_b32_e32 v7, 0x3b800000
	v_lshlrev_b32_e32 v2, 20, v2
	v_and_b32_e32 v6, 0x80000000, v6
	v_lshl_add_u32 v3, v3, 23, v7
	v_or3_b32 v2, v6, v3, v2
.LBB50_1748:
	s_or_b64 exec, exec, s[6:7]
	s_movk_i32 s4, 0xff
	v_and_b32_sdwa v3, v4, s4 dst_sel:DWORD dst_unused:UNUSED_PAD src0_sel:WORD_1 src1_sel:DWORD
	s_movk_i32 s4, 0x7f
	v_cmp_lt_i16_e32 vcc, s4, v3
	s_mov_b64 s[4:5], 0
                                        ; implicit-def: $sgpr10
	s_and_saveexec_b64 s[6:7], vcc
	s_xor_b64 s[6:7], exec, s[6:7]
	s_cbranch_execnz .LBB50_3797
; %bb.1749:
	s_or_saveexec_b64 s[6:7], s[6:7]
	v_mov_b32_e32 v6, s10
	s_xor_b64 exec, exec, s[6:7]
	s_cbranch_execnz .LBB50_3800
.LBB50_1750:
	s_or_b64 exec, exec, s[6:7]
	s_and_saveexec_b64 s[6:7], s[4:5]
	s_cbranch_execz .LBB50_1752
.LBB50_1751:
	v_bfe_u32 v3, v4, 16, 3
	v_ffbh_u32_e32 v10, v3
	v_min_u32_e32 v10, 32, v10
	v_lshrrev_b32_e32 v6, 19, v4
	v_subrev_u32_e32 v11, 28, v10
	v_and_b32_e32 v6, 15, v6
	v_lshlrev_b32_sdwa v11, v11, v4 dst_sel:DWORD dst_unused:UNUSED_PAD src0_sel:DWORD src1_sel:WORD_1
	v_bfe_u32 v7, v4, 19, 4
	v_sub_u32_e32 v10, 29, v10
	v_and_b32_e32 v11, 7, v11
	v_cmp_eq_u16_e32 vcc, 0, v6
	v_cndmask_b32_e32 v3, v3, v11, vcc
	v_cndmask_b32_e32 v6, v7, v10, vcc
	v_lshlrev_b32_e32 v7, 8, v4
	v_mov_b32_e32 v10, 0x3b800000
	v_lshlrev_b32_e32 v3, 20, v3
	v_and_b32_e32 v7, 0x80000000, v7
	v_lshl_add_u32 v6, v6, 23, v10
	v_or3_b32 v6, v7, v6, v3
.LBB50_1752:
	s_or_b64 exec, exec, s[6:7]
	s_nop 0
	v_mfma_f32_16x16x4f32 a[0:3], v2, v6, a[0:3]
	s_movk_i32 s4, 0x7f
	v_cmp_gt_i16_sdwa s[6:7], v8, s4 src0_sel:BYTE_3 src1_sel:DWORD
	s_mov_b64 s[4:5], 0
                                        ; implicit-def: $sgpr10
	s_and_saveexec_b64 s[8:9], s[6:7]
	s_xor_b64 s[6:7], exec, s[8:9]
	s_cbranch_execnz .LBB50_3801
; %bb.1753:
	s_or_saveexec_b64 s[6:7], s[6:7]
	v_mov_b32_e32 v2, s10
	s_xor_b64 exec, exec, s[6:7]
	s_cbranch_execnz .LBB50_3804
.LBB50_1754:
	s_or_b64 exec, exec, s[6:7]
	s_and_saveexec_b64 s[6:7], s[4:5]
	s_cbranch_execz .LBB50_1756
.LBB50_1755:
	v_bfe_u32 v2, v8, 24, 3
	v_ffbh_u32_e32 v10, v2
	v_min_u32_e32 v10, 32, v10
	v_lshrrev_b32_e32 v6, 27, v8
	v_subrev_u32_e32 v11, 28, v10
	v_and_b32_e32 v3, 0x80000000, v8
	v_and_b32_e32 v6, 15, v6
	v_bfe_u32 v7, v8, 27, 4
	v_lshlrev_b32_sdwa v8, v11, v8 dst_sel:DWORD dst_unused:UNUSED_PAD src0_sel:DWORD src1_sel:BYTE_3
	v_sub_u32_e32 v10, 29, v10
	v_and_b32_e32 v8, 7, v8
	v_cmp_eq_u16_e32 vcc, 0, v6
	v_cndmask_b32_e32 v2, v2, v8, vcc
	v_cndmask_b32_e32 v6, v7, v10, vcc
	v_mov_b32_e32 v7, 0x3b800000
	v_lshlrev_b32_e32 v2, 20, v2
	v_lshl_add_u32 v6, v6, 23, v7
	v_or3_b32 v2, v3, v6, v2
.LBB50_1756:
	s_or_b64 exec, exec, s[6:7]
	s_movk_i32 s4, 0x7f
	v_cmp_gt_i16_sdwa s[6:7], v4, s4 src0_sel:BYTE_3 src1_sel:DWORD
	s_mov_b64 s[4:5], 0
                                        ; implicit-def: $sgpr10
	s_and_saveexec_b64 s[8:9], s[6:7]
	s_xor_b64 s[6:7], exec, s[8:9]
	s_cbranch_execnz .LBB50_3805
; %bb.1757:
	s_or_saveexec_b64 s[6:7], s[6:7]
	v_mov_b32_e32 v3, s10
	s_xor_b64 exec, exec, s[6:7]
	s_cbranch_execnz .LBB50_3808
.LBB50_1758:
	s_or_b64 exec, exec, s[6:7]
	s_and_saveexec_b64 s[6:7], s[4:5]
	s_cbranch_execz .LBB50_1760
.LBB50_1759:
	v_bfe_u32 v3, v4, 24, 3
	v_ffbh_u32_e32 v10, v3
	v_min_u32_e32 v10, 32, v10
	v_lshrrev_b32_e32 v7, 27, v4
	v_subrev_u32_e32 v11, 28, v10
	v_and_b32_e32 v6, 0x80000000, v4
	v_and_b32_e32 v7, 15, v7
	v_bfe_u32 v8, v4, 27, 4
	v_lshlrev_b32_sdwa v4, v11, v4 dst_sel:DWORD dst_unused:UNUSED_PAD src0_sel:DWORD src1_sel:BYTE_3
	v_sub_u32_e32 v10, 29, v10
	v_and_b32_e32 v4, 7, v4
	v_cmp_eq_u16_e32 vcc, 0, v7
	v_cndmask_b32_e32 v3, v3, v4, vcc
	v_cndmask_b32_e32 v4, v8, v10, vcc
	v_mov_b32_e32 v7, 0x3b800000
	v_lshlrev_b32_e32 v3, 20, v3
	v_lshl_add_u32 v4, v4, 23, v7
	v_or3_b32 v3, v6, v4, v3
.LBB50_1760:
	s_or_b64 exec, exec, s[6:7]
	s_nop 0
	v_mfma_f32_16x16x4f32 a[0:3], v2, v3, a[0:3]
	s_movk_i32 s4, 0x7f
	v_cmp_gt_i16_sdwa s[6:7], v9, s4 src0_sel:BYTE_0 src1_sel:DWORD
	s_mov_b64 s[4:5], 0
                                        ; implicit-def: $sgpr10
	s_and_saveexec_b64 s[8:9], s[6:7]
	s_xor_b64 s[6:7], exec, s[8:9]
	s_cbranch_execnz .LBB50_3809
; %bb.1761:
	s_or_saveexec_b64 s[6:7], s[6:7]
	v_mov_b32_e32 v2, s10
	s_xor_b64 exec, exec, s[6:7]
	s_cbranch_execnz .LBB50_3812
.LBB50_1762:
	s_or_b64 exec, exec, s[6:7]
	s_and_saveexec_b64 s[6:7], s[4:5]
	s_cbranch_execz .LBB50_1764
.LBB50_1763:
	v_mov_b32_e32 v2, 8
	v_and_b32_e32 v3, 7, v9
	v_lshrrev_b32_sdwa v2, v2, v9 dst_sel:BYTE_1 dst_unused:UNUSED_PAD src0_sel:DWORD src1_sel:DWORD
	v_ffbh_u32_e32 v4, v3
	v_or_b32_sdwa v2, v9, v2 dst_sel:DWORD dst_unused:UNUSED_PAD src0_sel:BYTE_0 src1_sel:DWORD
	v_min_u32_e32 v4, 32, v4
	v_lshrrev_b16_e32 v2, 3, v2
	v_subrev_u32_e32 v6, 28, v4
	v_and_b32_e32 v2, 15, v2
	v_lshlrev_b32_e32 v6, v6, v9
	v_sub_u32_e32 v4, 29, v4
	v_and_b32_e32 v6, 7, v6
	v_cmp_eq_u16_e32 vcc, 0, v2
	v_cndmask_b32_e32 v3, v3, v6, vcc
	v_cndmask_b32_e32 v2, v2, v4, vcc
	v_lshlrev_b32_e32 v4, 24, v9
	v_mov_b32_e32 v6, 0x3b800000
	v_lshlrev_b32_e32 v3, 20, v3
	v_and_b32_e32 v4, 0x80000000, v4
	v_lshl_add_u32 v2, v2, 23, v6
	v_or3_b32 v2, v4, v2, v3
.LBB50_1764:
	s_or_b64 exec, exec, s[6:7]
	s_movk_i32 s4, 0x7f
	v_cmp_gt_i16_sdwa s[6:7], v5, s4 src0_sel:BYTE_0 src1_sel:DWORD
	s_mov_b64 s[4:5], 0
                                        ; implicit-def: $sgpr10
	s_and_saveexec_b64 s[8:9], s[6:7]
	s_xor_b64 s[6:7], exec, s[8:9]
	s_cbranch_execnz .LBB50_3813
; %bb.1765:
	s_or_saveexec_b64 s[6:7], s[6:7]
	v_mov_b32_e32 v3, s10
	s_xor_b64 exec, exec, s[6:7]
	s_cbranch_execnz .LBB50_3816
.LBB50_1766:
	s_or_b64 exec, exec, s[6:7]
	s_and_saveexec_b64 s[6:7], s[4:5]
	s_cbranch_execz .LBB50_1768
.LBB50_1767:
	v_mov_b32_e32 v3, 8
	v_and_b32_e32 v4, 7, v5
	v_lshrrev_b32_sdwa v3, v3, v5 dst_sel:BYTE_1 dst_unused:UNUSED_PAD src0_sel:DWORD src1_sel:DWORD
	v_ffbh_u32_e32 v6, v4
	v_or_b32_sdwa v3, v5, v3 dst_sel:DWORD dst_unused:UNUSED_PAD src0_sel:BYTE_0 src1_sel:DWORD
	v_min_u32_e32 v6, 32, v6
	v_lshrrev_b16_e32 v3, 3, v3
	v_subrev_u32_e32 v7, 28, v6
	v_and_b32_e32 v3, 15, v3
	v_lshlrev_b32_e32 v7, v7, v5
	v_sub_u32_e32 v6, 29, v6
	v_and_b32_e32 v7, 7, v7
	v_cmp_eq_u16_e32 vcc, 0, v3
	v_cndmask_b32_e32 v4, v4, v7, vcc
	v_cndmask_b32_e32 v3, v3, v6, vcc
	v_lshlrev_b32_e32 v6, 24, v5
	v_mov_b32_e32 v7, 0x3b800000
	v_lshlrev_b32_e32 v4, 20, v4
	v_and_b32_e32 v6, 0x80000000, v6
	v_lshl_add_u32 v3, v3, 23, v7
	v_or3_b32 v3, v6, v3, v4
.LBB50_1768:
	s_or_b64 exec, exec, s[6:7]
	s_nop 0
	v_mfma_f32_16x16x4f32 a[0:3], v2, v3, a[0:3]
	v_lshrrev_b32_e32 v3, 8, v9
	s_movk_i32 s4, 0x7f
	v_cmp_gt_i16_sdwa s[6:7], v3, s4 src0_sel:BYTE_0 src1_sel:DWORD
	s_mov_b64 s[4:5], 0
                                        ; implicit-def: $sgpr10
	s_and_saveexec_b64 s[8:9], s[6:7]
	s_xor_b64 s[6:7], exec, s[8:9]
	s_cbranch_execnz .LBB50_3817
; %bb.1769:
	s_or_saveexec_b64 s[6:7], s[6:7]
	v_mov_b32_e32 v2, s10
	s_xor_b64 exec, exec, s[6:7]
	s_cbranch_execnz .LBB50_3820
.LBB50_1770:
	s_or_b64 exec, exec, s[6:7]
	s_and_saveexec_b64 s[6:7], s[4:5]
	s_cbranch_execz .LBB50_1772
.LBB50_1771:
	v_bfe_u32 v2, v9, 8, 3
	v_ffbh_u32_e32 v6, v2
	v_min_u32_e32 v6, 32, v6
	v_lshrrev_b16_e32 v4, 3, v3
	v_subrev_u32_e32 v7, 28, v6
	v_and_b32_e32 v4, 15, v4
	v_lshlrev_b32_e32 v3, v7, v3
	v_sub_u32_e32 v6, 29, v6
	v_and_b32_e32 v3, 7, v3
	v_cmp_eq_u16_e32 vcc, 0, v4
	v_cndmask_b32_e32 v2, v2, v3, vcc
	v_cndmask_b32_e32 v3, v4, v6, vcc
	v_lshlrev_b32_e32 v4, 16, v9
	v_mov_b32_e32 v6, 0x3b800000
	v_lshlrev_b32_e32 v2, 20, v2
	v_and_b32_e32 v4, 0x80000000, v4
	v_lshl_add_u32 v3, v3, 23, v6
	v_or3_b32 v2, v4, v3, v2
.LBB50_1772:
	s_or_b64 exec, exec, s[6:7]
	v_lshrrev_b32_e32 v3, 8, v5
	s_movk_i32 s4, 0x7f
	v_cmp_gt_i16_sdwa s[6:7], v3, s4 src0_sel:BYTE_0 src1_sel:DWORD
	s_mov_b64 s[4:5], 0
                                        ; implicit-def: $sgpr10
	s_and_saveexec_b64 s[8:9], s[6:7]
	s_xor_b64 s[6:7], exec, s[8:9]
	s_cbranch_execnz .LBB50_3821
; %bb.1773:
	s_or_saveexec_b64 s[6:7], s[6:7]
	v_mov_b32_e32 v4, s10
	s_xor_b64 exec, exec, s[6:7]
	s_cbranch_execnz .LBB50_3824
.LBB50_1774:
	s_or_b64 exec, exec, s[6:7]
	s_and_saveexec_b64 s[6:7], s[4:5]
	s_cbranch_execz .LBB50_1776
.LBB50_1775:
	v_bfe_u32 v4, v5, 8, 3
	v_ffbh_u32_e32 v7, v4
	v_min_u32_e32 v7, 32, v7
	v_lshrrev_b16_e32 v6, 3, v3
	v_subrev_u32_e32 v8, 28, v7
	v_and_b32_e32 v6, 15, v6
	v_lshlrev_b32_e32 v3, v8, v3
	v_sub_u32_e32 v7, 29, v7
	v_and_b32_e32 v3, 7, v3
	v_cmp_eq_u16_e32 vcc, 0, v6
	v_cndmask_b32_e32 v3, v4, v3, vcc
	v_cndmask_b32_e32 v4, v6, v7, vcc
	v_lshlrev_b32_e32 v6, 16, v5
	v_mov_b32_e32 v7, 0x3b800000
	v_lshlrev_b32_e32 v3, 20, v3
	v_and_b32_e32 v6, 0x80000000, v6
	v_lshl_add_u32 v4, v4, 23, v7
	v_or3_b32 v4, v6, v4, v3
.LBB50_1776:
	s_or_b64 exec, exec, s[6:7]
	s_nop 0
	v_mfma_f32_16x16x4f32 a[0:3], v2, v4, a[0:3]
	s_movk_i32 s4, 0xff
	v_and_b32_sdwa v3, v9, s4 dst_sel:DWORD dst_unused:UNUSED_PAD src0_sel:WORD_1 src1_sel:DWORD
	s_movk_i32 s4, 0x7f
	v_cmp_lt_i16_e32 vcc, s4, v3
	s_mov_b64 s[4:5], 0
                                        ; implicit-def: $sgpr10
	s_and_saveexec_b64 s[6:7], vcc
	s_xor_b64 s[6:7], exec, s[6:7]
	s_cbranch_execnz .LBB50_3825
; %bb.1777:
	s_or_saveexec_b64 s[6:7], s[6:7]
	v_mov_b32_e32 v2, s10
	s_xor_b64 exec, exec, s[6:7]
	s_cbranch_execnz .LBB50_3828
.LBB50_1778:
	s_or_b64 exec, exec, s[6:7]
	s_and_saveexec_b64 s[6:7], s[4:5]
	s_cbranch_execz .LBB50_1780
.LBB50_1779:
	v_bfe_u32 v2, v9, 16, 3
	v_ffbh_u32_e32 v6, v2
	v_min_u32_e32 v6, 32, v6
	v_lshrrev_b32_e32 v3, 19, v9
	v_subrev_u32_e32 v7, 28, v6
	v_and_b32_e32 v3, 15, v3
	v_lshlrev_b32_sdwa v7, v7, v9 dst_sel:DWORD dst_unused:UNUSED_PAD src0_sel:DWORD src1_sel:WORD_1
	v_bfe_u32 v4, v9, 19, 4
	v_sub_u32_e32 v6, 29, v6
	v_and_b32_e32 v7, 7, v7
	v_cmp_eq_u16_e32 vcc, 0, v3
	v_cndmask_b32_e32 v2, v2, v7, vcc
	v_cndmask_b32_e32 v3, v4, v6, vcc
	v_lshlrev_b32_e32 v4, 8, v9
	v_mov_b32_e32 v6, 0x3b800000
	v_lshlrev_b32_e32 v2, 20, v2
	v_and_b32_e32 v4, 0x80000000, v4
	v_lshl_add_u32 v3, v3, 23, v6
	v_or3_b32 v2, v4, v3, v2
.LBB50_1780:
	s_or_b64 exec, exec, s[6:7]
	s_movk_i32 s4, 0xff
	v_and_b32_sdwa v3, v5, s4 dst_sel:DWORD dst_unused:UNUSED_PAD src0_sel:WORD_1 src1_sel:DWORD
	s_movk_i32 s4, 0x7f
	v_cmp_lt_i16_e32 vcc, s4, v3
	s_mov_b64 s[4:5], 0
                                        ; implicit-def: $sgpr10
	s_and_saveexec_b64 s[6:7], vcc
	s_xor_b64 s[6:7], exec, s[6:7]
	s_cbranch_execnz .LBB50_3829
; %bb.1781:
	s_or_saveexec_b64 s[6:7], s[6:7]
	v_mov_b32_e32 v4, s10
	s_xor_b64 exec, exec, s[6:7]
	s_cbranch_execnz .LBB50_3832
.LBB50_1782:
	s_or_b64 exec, exec, s[6:7]
	s_and_saveexec_b64 s[6:7], s[4:5]
	s_cbranch_execz .LBB50_1784
.LBB50_1783:
	v_bfe_u32 v3, v5, 16, 3
	v_ffbh_u32_e32 v7, v3
	v_min_u32_e32 v7, 32, v7
	v_lshrrev_b32_e32 v4, 19, v5
	v_subrev_u32_e32 v8, 28, v7
	v_and_b32_e32 v4, 15, v4
	v_lshlrev_b32_sdwa v8, v8, v5 dst_sel:DWORD dst_unused:UNUSED_PAD src0_sel:DWORD src1_sel:WORD_1
	v_bfe_u32 v6, v5, 19, 4
	v_sub_u32_e32 v7, 29, v7
	v_and_b32_e32 v8, 7, v8
	v_cmp_eq_u16_e32 vcc, 0, v4
	v_cndmask_b32_e32 v3, v3, v8, vcc
	v_cndmask_b32_e32 v4, v6, v7, vcc
	v_lshlrev_b32_e32 v6, 8, v5
	v_mov_b32_e32 v7, 0x3b800000
	v_lshlrev_b32_e32 v3, 20, v3
	v_and_b32_e32 v6, 0x80000000, v6
	v_lshl_add_u32 v4, v4, 23, v7
	v_or3_b32 v4, v6, v4, v3
.LBB50_1784:
	s_or_b64 exec, exec, s[6:7]
	s_nop 0
	v_mfma_f32_16x16x4f32 a[0:3], v2, v4, a[0:3]
	s_movk_i32 s4, 0x7f
	v_cmp_gt_i16_sdwa s[6:7], v9, s4 src0_sel:BYTE_3 src1_sel:DWORD
	s_mov_b64 s[4:5], 0
                                        ; implicit-def: $sgpr10
	s_and_saveexec_b64 s[8:9], s[6:7]
	s_xor_b64 s[6:7], exec, s[8:9]
	s_cbranch_execnz .LBB50_3833
; %bb.1785:
	s_or_saveexec_b64 s[6:7], s[6:7]
	v_mov_b32_e32 v2, s10
	s_xor_b64 exec, exec, s[6:7]
	s_cbranch_execnz .LBB50_3836
.LBB50_1786:
	s_or_b64 exec, exec, s[6:7]
	s_and_saveexec_b64 s[6:7], s[4:5]
	s_cbranch_execz .LBB50_1788
.LBB50_1787:
	v_bfe_u32 v2, v9, 24, 3
	v_ffbh_u32_e32 v7, v2
	v_min_u32_e32 v7, 32, v7
	v_lshrrev_b32_e32 v4, 27, v9
	v_subrev_u32_e32 v8, 28, v7
	v_and_b32_e32 v4, 15, v4
	v_lshlrev_b32_sdwa v8, v8, v9 dst_sel:DWORD dst_unused:UNUSED_PAD src0_sel:DWORD src1_sel:BYTE_3
	v_bfe_u32 v6, v9, 27, 4
	v_sub_u32_e32 v7, 29, v7
	v_and_b32_e32 v8, 7, v8
	v_cmp_eq_u16_e32 vcc, 0, v4
	v_cndmask_b32_e32 v2, v2, v8, vcc
	v_cndmask_b32_e32 v4, v6, v7, vcc
	v_mov_b32_e32 v6, 0x3b800000
	v_and_b32_e32 v3, 0x80000000, v9
	v_lshlrev_b32_e32 v2, 20, v2
	v_lshl_add_u32 v4, v4, 23, v6
	v_or3_b32 v2, v3, v4, v2
.LBB50_1788:
	s_or_b64 exec, exec, s[6:7]
	s_movk_i32 s4, 0x7f
	v_cmp_gt_i16_sdwa s[6:7], v5, s4 src0_sel:BYTE_3 src1_sel:DWORD
	s_mov_b64 s[4:5], 0
                                        ; implicit-def: $sgpr10
	s_and_saveexec_b64 s[8:9], s[6:7]
	s_xor_b64 s[6:7], exec, s[8:9]
	s_cbranch_execnz .LBB50_3837
; %bb.1789:
	s_or_saveexec_b64 s[6:7], s[6:7]
	v_mov_b32_e32 v3, s10
	s_xor_b64 exec, exec, s[6:7]
	s_cbranch_execnz .LBB50_3840
.LBB50_1790:
	s_or_b64 exec, exec, s[6:7]
	s_and_saveexec_b64 s[6:7], s[4:5]
	s_cbranch_execz .LBB50_1792
.LBB50_1791:
	v_bfe_u32 v3, v5, 24, 3
	v_ffbh_u32_e32 v8, v3
	v_min_u32_e32 v8, 32, v8
	v_lshrrev_b32_e32 v6, 27, v5
	v_subrev_u32_e32 v9, 28, v8
	v_and_b32_e32 v4, 0x80000000, v5
	v_and_b32_e32 v6, 15, v6
	v_bfe_u32 v7, v5, 27, 4
	v_lshlrev_b32_sdwa v5, v9, v5 dst_sel:DWORD dst_unused:UNUSED_PAD src0_sel:DWORD src1_sel:BYTE_3
	v_sub_u32_e32 v8, 29, v8
	v_and_b32_e32 v5, 7, v5
	v_cmp_eq_u16_e32 vcc, 0, v6
	v_cndmask_b32_e32 v3, v3, v5, vcc
	v_cndmask_b32_e32 v5, v7, v8, vcc
	v_mov_b32_e32 v6, 0x3b800000
	v_lshlrev_b32_e32 v3, 20, v3
	v_lshl_add_u32 v5, v5, 23, v6
	v_or3_b32 v3, v4, v5, v3
.LBB50_1792:
	s_or_b64 exec, exec, s[6:7]
	s_nop 0
	v_mfma_f32_16x16x4f32 a[0:3], v2, v3, a[0:3]
	s_movk_i32 s4, 0x7f
                                        ; implicit-def: $sgpr10
	s_nop 7
	s_nop 1
	flat_store_dwordx4 v[18:19], a[0:3] offset:864
	flat_load_dwordx4 v[18:21], v[0:1] offset:8
	s_nop 0
	flat_load_dwordx2 v[16:17], v[0:1] offset:24
	s_waitcnt vmcnt(0) lgkmcnt(0)
	flat_load_dwordx4 v[12:15], v[18:19]
	flat_load_dwordx4 v[4:7], v[18:19] offset:16
	flat_load_dwordx4 v[8:11], v[20:21] offset:224
	;; [unrolled: 1-line block ×3, first 2 shown]
	s_waitcnt vmcnt(0) lgkmcnt(0)
	v_cmp_gt_i16_sdwa s[6:7], v12, s4 src0_sel:BYTE_0 src1_sel:DWORD
	s_mov_b64 s[4:5], 0
	s_and_saveexec_b64 s[8:9], s[6:7]
	s_xor_b64 s[6:7], exec, s[8:9]
	s_cbranch_execnz .LBB50_3841
; %bb.1793:
	s_or_saveexec_b64 s[6:7], s[6:7]
	v_mov_b32_e32 v18, s10
	s_xor_b64 exec, exec, s[6:7]
	s_cbranch_execnz .LBB50_3844
.LBB50_1794:
	s_or_b64 exec, exec, s[6:7]
	s_and_saveexec_b64 s[6:7], s[4:5]
	s_cbranch_execz .LBB50_1796
.LBB50_1795:
	v_and_b32_e32 v18, 7, v12
	v_ffbh_u32_e32 v20, v18
	v_min_u32_e32 v20, 32, v20
	v_lshrrev_b16_e32 v19, 3, v12
	v_subrev_u32_e32 v21, 28, v20
	v_and_b32_e32 v19, 15, v19
	v_lshlrev_b32_e32 v21, v21, v12
	v_sub_u32_e32 v20, 29, v20
	v_and_b32_e32 v21, 7, v21
	v_cmp_eq_u16_e32 vcc, 0, v19
	v_cndmask_b32_e32 v18, v18, v21, vcc
	v_cndmask_b32_e32 v19, v19, v20, vcc
	v_lshlrev_b32_e32 v20, 24, v12
	v_mov_b32_e32 v21, 0x3b800000
	v_lshlrev_b32_e32 v18, 20, v18
	v_and_b32_e32 v20, 0x80000000, v20
	v_lshl_add_u32 v19, v19, 23, v21
	v_or3_b32 v18, v20, v19, v18
.LBB50_1796:
	s_or_b64 exec, exec, s[6:7]
	s_movk_i32 s4, 0x7f
	v_cmp_gt_i16_sdwa s[6:7], v8, s4 src0_sel:BYTE_0 src1_sel:DWORD
	s_mov_b64 s[4:5], 0
                                        ; implicit-def: $sgpr10
	s_and_saveexec_b64 s[8:9], s[6:7]
	s_xor_b64 s[6:7], exec, s[8:9]
	s_cbranch_execnz .LBB50_3845
; %bb.1797:
	s_or_saveexec_b64 s[6:7], s[6:7]
	v_mov_b32_e32 v19, s10
	s_xor_b64 exec, exec, s[6:7]
	s_cbranch_execnz .LBB50_3848
.LBB50_1798:
	s_or_b64 exec, exec, s[6:7]
	s_and_saveexec_b64 s[6:7], s[4:5]
	s_cbranch_execz .LBB50_1800
.LBB50_1799:
	v_and_b32_e32 v19, 7, v8
	v_ffbh_u32_e32 v21, v19
	v_min_u32_e32 v21, 32, v21
	v_lshrrev_b16_e32 v20, 3, v8
	v_subrev_u32_e32 v22, 28, v21
	v_and_b32_e32 v20, 15, v20
	v_lshlrev_b32_e32 v22, v22, v8
	v_sub_u32_e32 v21, 29, v21
	v_and_b32_e32 v22, 7, v22
	v_cmp_eq_u16_e32 vcc, 0, v20
	v_cndmask_b32_e32 v19, v19, v22, vcc
	v_cndmask_b32_e32 v20, v20, v21, vcc
	v_lshlrev_b32_e32 v21, 24, v8
	v_mov_b32_e32 v22, 0x3b800000
	v_lshlrev_b32_e32 v19, 20, v19
	v_and_b32_e32 v21, 0x80000000, v21
	v_lshl_add_u32 v20, v20, 23, v22
	v_or3_b32 v19, v21, v20, v19
.LBB50_1800:
	s_or_b64 exec, exec, s[6:7]
	flat_load_dwordx4 a[0:3], v[16:17] offset:880
	s_movk_i32 s4, 0x7f
                                        ; implicit-def: $sgpr10
	s_waitcnt vmcnt(0) lgkmcnt(0)
	v_mfma_f32_16x16x4f32 a[0:3], v18, v19, a[0:3]
	v_lshrrev_b32_e32 v19, 8, v12
	v_cmp_gt_i16_sdwa s[6:7], v19, s4 src0_sel:BYTE_0 src1_sel:DWORD
	s_mov_b64 s[4:5], 0
	s_and_saveexec_b64 s[8:9], s[6:7]
	s_xor_b64 s[6:7], exec, s[8:9]
	s_cbranch_execnz .LBB50_3849
; %bb.1801:
	s_or_saveexec_b64 s[6:7], s[6:7]
	v_mov_b32_e32 v18, s10
	s_xor_b64 exec, exec, s[6:7]
	s_cbranch_execnz .LBB50_3852
.LBB50_1802:
	s_or_b64 exec, exec, s[6:7]
	s_and_saveexec_b64 s[6:7], s[4:5]
	s_cbranch_execz .LBB50_1804
.LBB50_1803:
	v_bfe_u32 v18, v12, 8, 3
	v_ffbh_u32_e32 v21, v18
	v_min_u32_e32 v21, 32, v21
	v_lshrrev_b16_e32 v20, 3, v19
	v_subrev_u32_e32 v22, 28, v21
	v_and_b32_e32 v20, 15, v20
	v_lshlrev_b32_e32 v19, v22, v19
	v_sub_u32_e32 v21, 29, v21
	v_and_b32_e32 v19, 7, v19
	v_cmp_eq_u16_e32 vcc, 0, v20
	v_cndmask_b32_e32 v18, v18, v19, vcc
	v_cndmask_b32_e32 v19, v20, v21, vcc
	v_lshlrev_b32_e32 v20, 16, v12
	v_mov_b32_e32 v21, 0x3b800000
	v_lshlrev_b32_e32 v18, 20, v18
	v_and_b32_e32 v20, 0x80000000, v20
	v_lshl_add_u32 v19, v19, 23, v21
	v_or3_b32 v18, v20, v19, v18
.LBB50_1804:
	s_or_b64 exec, exec, s[6:7]
	v_lshrrev_b32_e32 v19, 8, v8
	s_movk_i32 s4, 0x7f
	v_cmp_gt_i16_sdwa s[6:7], v19, s4 src0_sel:BYTE_0 src1_sel:DWORD
	s_mov_b64 s[4:5], 0
                                        ; implicit-def: $sgpr10
	s_and_saveexec_b64 s[8:9], s[6:7]
	s_xor_b64 s[6:7], exec, s[8:9]
	s_cbranch_execnz .LBB50_3853
; %bb.1805:
	s_or_saveexec_b64 s[6:7], s[6:7]
	v_mov_b32_e32 v20, s10
	s_xor_b64 exec, exec, s[6:7]
	s_cbranch_execnz .LBB50_3856
.LBB50_1806:
	s_or_b64 exec, exec, s[6:7]
	s_and_saveexec_b64 s[6:7], s[4:5]
	s_cbranch_execz .LBB50_1808
.LBB50_1807:
	v_bfe_u32 v20, v8, 8, 3
	v_ffbh_u32_e32 v22, v20
	v_min_u32_e32 v22, 32, v22
	v_lshrrev_b16_e32 v21, 3, v19
	v_subrev_u32_e32 v23, 28, v22
	v_and_b32_e32 v21, 15, v21
	v_lshlrev_b32_e32 v19, v23, v19
	v_sub_u32_e32 v22, 29, v22
	v_and_b32_e32 v19, 7, v19
	v_cmp_eq_u16_e32 vcc, 0, v21
	v_cndmask_b32_e32 v19, v20, v19, vcc
	v_cndmask_b32_e32 v20, v21, v22, vcc
	v_lshlrev_b32_e32 v21, 16, v8
	v_mov_b32_e32 v22, 0x3b800000
	v_lshlrev_b32_e32 v19, 20, v19
	v_and_b32_e32 v21, 0x80000000, v21
	v_lshl_add_u32 v20, v20, 23, v22
	v_or3_b32 v20, v21, v20, v19
.LBB50_1808:
	s_or_b64 exec, exec, s[6:7]
	s_nop 0
	v_mfma_f32_16x16x4f32 a[0:3], v18, v20, a[0:3]
	s_movk_i32 s4, 0xff
	v_and_b32_sdwa v19, v12, s4 dst_sel:DWORD dst_unused:UNUSED_PAD src0_sel:WORD_1 src1_sel:DWORD
	s_movk_i32 s4, 0x7f
	v_cmp_lt_i16_e32 vcc, s4, v19
	s_mov_b64 s[4:5], 0
                                        ; implicit-def: $sgpr10
	s_and_saveexec_b64 s[6:7], vcc
	s_xor_b64 s[6:7], exec, s[6:7]
	s_cbranch_execnz .LBB50_3857
; %bb.1809:
	s_or_saveexec_b64 s[6:7], s[6:7]
	v_mov_b32_e32 v18, s10
	s_xor_b64 exec, exec, s[6:7]
	s_cbranch_execnz .LBB50_3860
.LBB50_1810:
	s_or_b64 exec, exec, s[6:7]
	s_and_saveexec_b64 s[6:7], s[4:5]
	s_cbranch_execz .LBB50_1812
.LBB50_1811:
	v_bfe_u32 v18, v12, 16, 3
	v_ffbh_u32_e32 v21, v18
	v_min_u32_e32 v21, 32, v21
	v_lshrrev_b32_e32 v19, 19, v12
	v_subrev_u32_e32 v22, 28, v21
	v_and_b32_e32 v19, 15, v19
	v_lshlrev_b32_sdwa v22, v22, v12 dst_sel:DWORD dst_unused:UNUSED_PAD src0_sel:DWORD src1_sel:WORD_1
	v_bfe_u32 v20, v12, 19, 4
	v_sub_u32_e32 v21, 29, v21
	v_and_b32_e32 v22, 7, v22
	v_cmp_eq_u16_e32 vcc, 0, v19
	v_cndmask_b32_e32 v18, v18, v22, vcc
	v_cndmask_b32_e32 v19, v20, v21, vcc
	v_lshlrev_b32_e32 v20, 8, v12
	v_mov_b32_e32 v21, 0x3b800000
	v_lshlrev_b32_e32 v18, 20, v18
	v_and_b32_e32 v20, 0x80000000, v20
	v_lshl_add_u32 v19, v19, 23, v21
	v_or3_b32 v18, v20, v19, v18
.LBB50_1812:
	s_or_b64 exec, exec, s[6:7]
	s_movk_i32 s4, 0xff
	v_and_b32_sdwa v19, v8, s4 dst_sel:DWORD dst_unused:UNUSED_PAD src0_sel:WORD_1 src1_sel:DWORD
	s_movk_i32 s4, 0x7f
	v_cmp_lt_i16_e32 vcc, s4, v19
	s_mov_b64 s[4:5], 0
                                        ; implicit-def: $sgpr10
	s_and_saveexec_b64 s[6:7], vcc
	s_xor_b64 s[6:7], exec, s[6:7]
	s_cbranch_execnz .LBB50_3861
; %bb.1813:
	s_or_saveexec_b64 s[6:7], s[6:7]
	v_mov_b32_e32 v20, s10
	s_xor_b64 exec, exec, s[6:7]
	s_cbranch_execnz .LBB50_3864
.LBB50_1814:
	s_or_b64 exec, exec, s[6:7]
	s_and_saveexec_b64 s[6:7], s[4:5]
	s_cbranch_execz .LBB50_1816
.LBB50_1815:
	v_bfe_u32 v19, v8, 16, 3
	v_ffbh_u32_e32 v22, v19
	v_min_u32_e32 v22, 32, v22
	v_lshrrev_b32_e32 v20, 19, v8
	v_subrev_u32_e32 v23, 28, v22
	v_and_b32_e32 v20, 15, v20
	v_lshlrev_b32_sdwa v23, v23, v8 dst_sel:DWORD dst_unused:UNUSED_PAD src0_sel:DWORD src1_sel:WORD_1
	v_bfe_u32 v21, v8, 19, 4
	v_sub_u32_e32 v22, 29, v22
	v_and_b32_e32 v23, 7, v23
	v_cmp_eq_u16_e32 vcc, 0, v20
	v_cndmask_b32_e32 v19, v19, v23, vcc
	v_cndmask_b32_e32 v20, v21, v22, vcc
	v_lshlrev_b32_e32 v21, 8, v8
	v_mov_b32_e32 v22, 0x3b800000
	v_lshlrev_b32_e32 v19, 20, v19
	v_and_b32_e32 v21, 0x80000000, v21
	v_lshl_add_u32 v20, v20, 23, v22
	v_or3_b32 v20, v21, v20, v19
.LBB50_1816:
	s_or_b64 exec, exec, s[6:7]
	s_nop 0
	v_mfma_f32_16x16x4f32 a[0:3], v18, v20, a[0:3]
	s_movk_i32 s4, 0x7f
	v_cmp_gt_i16_sdwa s[6:7], v12, s4 src0_sel:BYTE_3 src1_sel:DWORD
	s_mov_b64 s[4:5], 0
                                        ; implicit-def: $sgpr10
	s_and_saveexec_b64 s[8:9], s[6:7]
	s_xor_b64 s[6:7], exec, s[8:9]
	s_cbranch_execnz .LBB50_3865
; %bb.1817:
	s_or_saveexec_b64 s[6:7], s[6:7]
	v_mov_b32_e32 v18, s10
	s_xor_b64 exec, exec, s[6:7]
	s_cbranch_execnz .LBB50_3868
.LBB50_1818:
	s_or_b64 exec, exec, s[6:7]
	s_and_saveexec_b64 s[6:7], s[4:5]
	s_cbranch_execz .LBB50_1820
.LBB50_1819:
	v_bfe_u32 v18, v12, 24, 3
	v_ffbh_u32_e32 v22, v18
	v_min_u32_e32 v22, 32, v22
	v_lshrrev_b32_e32 v20, 27, v12
	v_subrev_u32_e32 v23, 28, v22
	v_and_b32_e32 v19, 0x80000000, v12
	v_and_b32_e32 v20, 15, v20
	v_bfe_u32 v21, v12, 27, 4
	v_lshlrev_b32_sdwa v12, v23, v12 dst_sel:DWORD dst_unused:UNUSED_PAD src0_sel:DWORD src1_sel:BYTE_3
	v_sub_u32_e32 v22, 29, v22
	v_and_b32_e32 v12, 7, v12
	v_cmp_eq_u16_e32 vcc, 0, v20
	v_cndmask_b32_e32 v12, v18, v12, vcc
	v_cndmask_b32_e32 v18, v21, v22, vcc
	v_mov_b32_e32 v20, 0x3b800000
	v_lshlrev_b32_e32 v12, 20, v12
	v_lshl_add_u32 v18, v18, 23, v20
	v_or3_b32 v18, v19, v18, v12
.LBB50_1820:
	s_or_b64 exec, exec, s[6:7]
	s_movk_i32 s4, 0x7f
	v_cmp_gt_i16_sdwa s[6:7], v8, s4 src0_sel:BYTE_3 src1_sel:DWORD
	s_mov_b64 s[4:5], 0
                                        ; implicit-def: $sgpr10
	s_and_saveexec_b64 s[8:9], s[6:7]
	s_xor_b64 s[6:7], exec, s[8:9]
	s_cbranch_execnz .LBB50_3869
; %bb.1821:
	s_or_saveexec_b64 s[6:7], s[6:7]
	v_mov_b32_e32 v12, s10
	s_xor_b64 exec, exec, s[6:7]
	s_cbranch_execnz .LBB50_3872
.LBB50_1822:
	s_or_b64 exec, exec, s[6:7]
	s_and_saveexec_b64 s[6:7], s[4:5]
	s_cbranch_execz .LBB50_1824
.LBB50_1823:
	v_bfe_u32 v12, v8, 24, 3
	v_ffbh_u32_e32 v22, v12
	v_min_u32_e32 v22, 32, v22
	v_lshrrev_b32_e32 v20, 27, v8
	v_subrev_u32_e32 v23, 28, v22
	v_and_b32_e32 v19, 0x80000000, v8
	v_and_b32_e32 v20, 15, v20
	v_bfe_u32 v21, v8, 27, 4
	v_lshlrev_b32_sdwa v8, v23, v8 dst_sel:DWORD dst_unused:UNUSED_PAD src0_sel:DWORD src1_sel:BYTE_3
	v_sub_u32_e32 v22, 29, v22
	v_and_b32_e32 v8, 7, v8
	v_cmp_eq_u16_e32 vcc, 0, v20
	v_cndmask_b32_e32 v8, v12, v8, vcc
	v_cndmask_b32_e32 v12, v21, v22, vcc
	v_mov_b32_e32 v20, 0x3b800000
	v_lshlrev_b32_e32 v8, 20, v8
	v_lshl_add_u32 v12, v12, 23, v20
	v_or3_b32 v12, v19, v12, v8
.LBB50_1824:
	s_or_b64 exec, exec, s[6:7]
	s_nop 0
	v_mfma_f32_16x16x4f32 a[0:3], v18, v12, a[0:3]
	s_movk_i32 s4, 0x7f
	v_cmp_gt_i16_sdwa s[6:7], v13, s4 src0_sel:BYTE_0 src1_sel:DWORD
	s_mov_b64 s[4:5], 0
                                        ; implicit-def: $sgpr10
	s_and_saveexec_b64 s[8:9], s[6:7]
	s_xor_b64 s[6:7], exec, s[8:9]
	s_cbranch_execnz .LBB50_3873
; %bb.1825:
	s_or_saveexec_b64 s[6:7], s[6:7]
	v_mov_b32_e32 v8, s10
	s_xor_b64 exec, exec, s[6:7]
	s_cbranch_execnz .LBB50_3876
.LBB50_1826:
	s_or_b64 exec, exec, s[6:7]
	s_and_saveexec_b64 s[6:7], s[4:5]
	s_cbranch_execz .LBB50_1828
.LBB50_1827:
	v_and_b32_e32 v8, 7, v13
	v_ffbh_u32_e32 v18, v8
	v_min_u32_e32 v18, 32, v18
	v_lshrrev_b16_e32 v12, 3, v13
	v_subrev_u32_e32 v19, 28, v18
	v_and_b32_e32 v12, 15, v12
	v_lshlrev_b32_e32 v19, v19, v13
	v_sub_u32_e32 v18, 29, v18
	v_and_b32_e32 v19, 7, v19
	v_cmp_eq_u16_e32 vcc, 0, v12
	v_cndmask_b32_e32 v8, v8, v19, vcc
	v_cndmask_b32_e32 v12, v12, v18, vcc
	v_lshlrev_b32_e32 v18, 24, v13
	v_mov_b32_e32 v19, 0x3b800000
	v_lshlrev_b32_e32 v8, 20, v8
	v_and_b32_e32 v18, 0x80000000, v18
	v_lshl_add_u32 v12, v12, 23, v19
	v_or3_b32 v8, v18, v12, v8
.LBB50_1828:
	s_or_b64 exec, exec, s[6:7]
	s_movk_i32 s4, 0x7f
	v_cmp_gt_i16_sdwa s[6:7], v9, s4 src0_sel:BYTE_0 src1_sel:DWORD
	s_mov_b64 s[4:5], 0
                                        ; implicit-def: $sgpr10
	s_and_saveexec_b64 s[8:9], s[6:7]
	s_xor_b64 s[6:7], exec, s[8:9]
	s_cbranch_execnz .LBB50_3877
; %bb.1829:
	s_or_saveexec_b64 s[6:7], s[6:7]
	v_mov_b32_e32 v12, s10
	s_xor_b64 exec, exec, s[6:7]
	s_cbranch_execnz .LBB50_3880
.LBB50_1830:
	s_or_b64 exec, exec, s[6:7]
	s_and_saveexec_b64 s[6:7], s[4:5]
	s_cbranch_execz .LBB50_1832
.LBB50_1831:
	v_and_b32_e32 v12, 7, v9
	v_ffbh_u32_e32 v19, v12
	v_min_u32_e32 v19, 32, v19
	v_lshrrev_b16_e32 v18, 3, v9
	v_subrev_u32_e32 v20, 28, v19
	v_and_b32_e32 v18, 15, v18
	v_lshlrev_b32_e32 v20, v20, v9
	v_sub_u32_e32 v19, 29, v19
	v_and_b32_e32 v20, 7, v20
	v_cmp_eq_u16_e32 vcc, 0, v18
	v_cndmask_b32_e32 v12, v12, v20, vcc
	v_cndmask_b32_e32 v18, v18, v19, vcc
	v_lshlrev_b32_e32 v19, 24, v9
	v_mov_b32_e32 v20, 0x3b800000
	v_lshlrev_b32_e32 v12, 20, v12
	v_and_b32_e32 v19, 0x80000000, v19
	v_lshl_add_u32 v18, v18, 23, v20
	v_or3_b32 v12, v19, v18, v12
.LBB50_1832:
	s_or_b64 exec, exec, s[6:7]
	s_nop 0
	v_mfma_f32_16x16x4f32 a[0:3], v8, v12, a[0:3]
	v_lshrrev_b32_e32 v12, 8, v13
	s_movk_i32 s4, 0x7f
	v_cmp_gt_i16_sdwa s[6:7], v12, s4 src0_sel:BYTE_0 src1_sel:DWORD
	s_mov_b64 s[4:5], 0
                                        ; implicit-def: $sgpr10
	s_and_saveexec_b64 s[8:9], s[6:7]
	s_xor_b64 s[6:7], exec, s[8:9]
	s_cbranch_execnz .LBB50_3881
; %bb.1833:
	s_or_saveexec_b64 s[6:7], s[6:7]
	v_mov_b32_e32 v8, s10
	s_xor_b64 exec, exec, s[6:7]
	s_cbranch_execnz .LBB50_3884
.LBB50_1834:
	s_or_b64 exec, exec, s[6:7]
	s_and_saveexec_b64 s[6:7], s[4:5]
	s_cbranch_execz .LBB50_1836
.LBB50_1835:
	v_bfe_u32 v8, v13, 8, 3
	v_ffbh_u32_e32 v19, v8
	v_min_u32_e32 v19, 32, v19
	v_lshrrev_b16_e32 v18, 3, v12
	v_subrev_u32_e32 v20, 28, v19
	v_and_b32_e32 v18, 15, v18
	v_lshlrev_b32_e32 v12, v20, v12
	v_sub_u32_e32 v19, 29, v19
	v_and_b32_e32 v12, 7, v12
	v_cmp_eq_u16_e32 vcc, 0, v18
	v_cndmask_b32_e32 v8, v8, v12, vcc
	v_cndmask_b32_e32 v12, v18, v19, vcc
	v_lshlrev_b32_e32 v18, 16, v13
	v_mov_b32_e32 v19, 0x3b800000
	v_lshlrev_b32_e32 v8, 20, v8
	v_and_b32_e32 v18, 0x80000000, v18
	v_lshl_add_u32 v12, v12, 23, v19
	v_or3_b32 v8, v18, v12, v8
.LBB50_1836:
	s_or_b64 exec, exec, s[6:7]
	v_lshrrev_b32_e32 v12, 8, v9
	s_movk_i32 s4, 0x7f
	v_cmp_gt_i16_sdwa s[6:7], v12, s4 src0_sel:BYTE_0 src1_sel:DWORD
	s_mov_b64 s[4:5], 0
                                        ; implicit-def: $sgpr10
	s_and_saveexec_b64 s[8:9], s[6:7]
	s_xor_b64 s[6:7], exec, s[8:9]
	s_cbranch_execnz .LBB50_3885
; %bb.1837:
	s_or_saveexec_b64 s[6:7], s[6:7]
	v_mov_b32_e32 v18, s10
	s_xor_b64 exec, exec, s[6:7]
	s_cbranch_execnz .LBB50_3888
.LBB50_1838:
	s_or_b64 exec, exec, s[6:7]
	s_and_saveexec_b64 s[6:7], s[4:5]
	s_cbranch_execz .LBB50_1840
.LBB50_1839:
	v_bfe_u32 v18, v9, 8, 3
	v_ffbh_u32_e32 v20, v18
	v_min_u32_e32 v20, 32, v20
	v_lshrrev_b16_e32 v19, 3, v12
	v_subrev_u32_e32 v21, 28, v20
	v_and_b32_e32 v19, 15, v19
	v_lshlrev_b32_e32 v12, v21, v12
	v_sub_u32_e32 v20, 29, v20
	v_and_b32_e32 v12, 7, v12
	v_cmp_eq_u16_e32 vcc, 0, v19
	v_cndmask_b32_e32 v12, v18, v12, vcc
	v_cndmask_b32_e32 v18, v19, v20, vcc
	v_lshlrev_b32_e32 v19, 16, v9
	v_mov_b32_e32 v20, 0x3b800000
	v_lshlrev_b32_e32 v12, 20, v12
	v_and_b32_e32 v19, 0x80000000, v19
	v_lshl_add_u32 v18, v18, 23, v20
	v_or3_b32 v18, v19, v18, v12
.LBB50_1840:
	s_or_b64 exec, exec, s[6:7]
	s_nop 0
	v_mfma_f32_16x16x4f32 a[0:3], v8, v18, a[0:3]
	s_movk_i32 s4, 0xff
	v_and_b32_sdwa v12, v13, s4 dst_sel:DWORD dst_unused:UNUSED_PAD src0_sel:WORD_1 src1_sel:DWORD
	s_movk_i32 s4, 0x7f
	v_cmp_lt_i16_e32 vcc, s4, v12
	s_mov_b64 s[4:5], 0
                                        ; implicit-def: $sgpr10
	s_and_saveexec_b64 s[6:7], vcc
	s_xor_b64 s[6:7], exec, s[6:7]
	s_cbranch_execnz .LBB50_3889
; %bb.1841:
	s_or_saveexec_b64 s[6:7], s[6:7]
	v_mov_b32_e32 v8, s10
	s_xor_b64 exec, exec, s[6:7]
	s_cbranch_execnz .LBB50_3892
.LBB50_1842:
	s_or_b64 exec, exec, s[6:7]
	s_and_saveexec_b64 s[6:7], s[4:5]
	s_cbranch_execz .LBB50_1844
.LBB50_1843:
	v_bfe_u32 v8, v13, 16, 3
	v_ffbh_u32_e32 v19, v8
	v_min_u32_e32 v19, 32, v19
	v_lshrrev_b32_e32 v12, 19, v13
	v_subrev_u32_e32 v20, 28, v19
	v_and_b32_e32 v12, 15, v12
	v_lshlrev_b32_sdwa v20, v20, v13 dst_sel:DWORD dst_unused:UNUSED_PAD src0_sel:DWORD src1_sel:WORD_1
	v_bfe_u32 v18, v13, 19, 4
	v_sub_u32_e32 v19, 29, v19
	v_and_b32_e32 v20, 7, v20
	v_cmp_eq_u16_e32 vcc, 0, v12
	v_cndmask_b32_e32 v8, v8, v20, vcc
	v_cndmask_b32_e32 v12, v18, v19, vcc
	v_lshlrev_b32_e32 v18, 8, v13
	v_mov_b32_e32 v19, 0x3b800000
	v_lshlrev_b32_e32 v8, 20, v8
	v_and_b32_e32 v18, 0x80000000, v18
	v_lshl_add_u32 v12, v12, 23, v19
	v_or3_b32 v8, v18, v12, v8
.LBB50_1844:
	s_or_b64 exec, exec, s[6:7]
	s_movk_i32 s4, 0xff
	v_and_b32_sdwa v12, v9, s4 dst_sel:DWORD dst_unused:UNUSED_PAD src0_sel:WORD_1 src1_sel:DWORD
	s_movk_i32 s4, 0x7f
	v_cmp_lt_i16_e32 vcc, s4, v12
	s_mov_b64 s[4:5], 0
                                        ; implicit-def: $sgpr10
	s_and_saveexec_b64 s[6:7], vcc
	s_xor_b64 s[6:7], exec, s[6:7]
	s_cbranch_execnz .LBB50_3893
; %bb.1845:
	s_or_saveexec_b64 s[6:7], s[6:7]
	v_mov_b32_e32 v18, s10
	s_xor_b64 exec, exec, s[6:7]
	s_cbranch_execnz .LBB50_3896
.LBB50_1846:
	s_or_b64 exec, exec, s[6:7]
	s_and_saveexec_b64 s[6:7], s[4:5]
	s_cbranch_execz .LBB50_1848
.LBB50_1847:
	v_bfe_u32 v12, v9, 16, 3
	v_ffbh_u32_e32 v20, v12
	v_min_u32_e32 v20, 32, v20
	v_lshrrev_b32_e32 v18, 19, v9
	v_subrev_u32_e32 v21, 28, v20
	v_and_b32_e32 v18, 15, v18
	v_lshlrev_b32_sdwa v21, v21, v9 dst_sel:DWORD dst_unused:UNUSED_PAD src0_sel:DWORD src1_sel:WORD_1
	v_bfe_u32 v19, v9, 19, 4
	v_sub_u32_e32 v20, 29, v20
	v_and_b32_e32 v21, 7, v21
	v_cmp_eq_u16_e32 vcc, 0, v18
	v_cndmask_b32_e32 v12, v12, v21, vcc
	v_cndmask_b32_e32 v18, v19, v20, vcc
	v_lshlrev_b32_e32 v19, 8, v9
	v_mov_b32_e32 v20, 0x3b800000
	v_lshlrev_b32_e32 v12, 20, v12
	v_and_b32_e32 v19, 0x80000000, v19
	v_lshl_add_u32 v18, v18, 23, v20
	v_or3_b32 v18, v19, v18, v12
.LBB50_1848:
	s_or_b64 exec, exec, s[6:7]
	s_nop 0
	v_mfma_f32_16x16x4f32 a[0:3], v8, v18, a[0:3]
	s_movk_i32 s4, 0x7f
	v_cmp_gt_i16_sdwa s[6:7], v13, s4 src0_sel:BYTE_3 src1_sel:DWORD
	s_mov_b64 s[4:5], 0
                                        ; implicit-def: $sgpr10
	s_and_saveexec_b64 s[8:9], s[6:7]
	s_xor_b64 s[6:7], exec, s[8:9]
	s_cbranch_execnz .LBB50_3897
; %bb.1849:
	s_or_saveexec_b64 s[6:7], s[6:7]
	v_mov_b32_e32 v8, s10
	s_xor_b64 exec, exec, s[6:7]
	s_cbranch_execnz .LBB50_3900
.LBB50_1850:
	s_or_b64 exec, exec, s[6:7]
	s_and_saveexec_b64 s[6:7], s[4:5]
	s_cbranch_execz .LBB50_1852
.LBB50_1851:
	v_bfe_u32 v8, v13, 24, 3
	v_ffbh_u32_e32 v20, v8
	v_min_u32_e32 v20, 32, v20
	v_lshrrev_b32_e32 v18, 27, v13
	v_subrev_u32_e32 v21, 28, v20
	v_and_b32_e32 v12, 0x80000000, v13
	v_and_b32_e32 v18, 15, v18
	v_bfe_u32 v19, v13, 27, 4
	v_lshlrev_b32_sdwa v13, v21, v13 dst_sel:DWORD dst_unused:UNUSED_PAD src0_sel:DWORD src1_sel:BYTE_3
	v_sub_u32_e32 v20, 29, v20
	v_and_b32_e32 v13, 7, v13
	v_cmp_eq_u16_e32 vcc, 0, v18
	v_cndmask_b32_e32 v8, v8, v13, vcc
	v_cndmask_b32_e32 v13, v19, v20, vcc
	v_mov_b32_e32 v18, 0x3b800000
	v_lshlrev_b32_e32 v8, 20, v8
	v_lshl_add_u32 v13, v13, 23, v18
	v_or3_b32 v8, v12, v13, v8
.LBB50_1852:
	s_or_b64 exec, exec, s[6:7]
	s_movk_i32 s4, 0x7f
	v_cmp_gt_i16_sdwa s[6:7], v9, s4 src0_sel:BYTE_3 src1_sel:DWORD
	s_mov_b64 s[4:5], 0
                                        ; implicit-def: $sgpr10
	s_and_saveexec_b64 s[8:9], s[6:7]
	s_xor_b64 s[6:7], exec, s[8:9]
	s_cbranch_execnz .LBB50_3901
; %bb.1853:
	s_or_saveexec_b64 s[6:7], s[6:7]
	v_mov_b32_e32 v12, s10
	s_xor_b64 exec, exec, s[6:7]
	s_cbranch_execnz .LBB50_3904
.LBB50_1854:
	s_or_b64 exec, exec, s[6:7]
	s_and_saveexec_b64 s[6:7], s[4:5]
	s_cbranch_execz .LBB50_1856
.LBB50_1855:
	v_bfe_u32 v12, v9, 24, 3
	v_ffbh_u32_e32 v20, v12
	v_min_u32_e32 v20, 32, v20
	v_lshrrev_b32_e32 v18, 27, v9
	v_subrev_u32_e32 v21, 28, v20
	v_and_b32_e32 v13, 0x80000000, v9
	v_and_b32_e32 v18, 15, v18
	v_bfe_u32 v19, v9, 27, 4
	v_lshlrev_b32_sdwa v9, v21, v9 dst_sel:DWORD dst_unused:UNUSED_PAD src0_sel:DWORD src1_sel:BYTE_3
	v_sub_u32_e32 v20, 29, v20
	v_and_b32_e32 v9, 7, v9
	v_cmp_eq_u16_e32 vcc, 0, v18
	v_cndmask_b32_e32 v9, v12, v9, vcc
	v_cndmask_b32_e32 v12, v19, v20, vcc
	v_mov_b32_e32 v18, 0x3b800000
	v_lshlrev_b32_e32 v9, 20, v9
	v_lshl_add_u32 v12, v12, 23, v18
	v_or3_b32 v12, v13, v12, v9
.LBB50_1856:
	s_or_b64 exec, exec, s[6:7]
	s_nop 0
	v_mfma_f32_16x16x4f32 a[0:3], v8, v12, a[0:3]
	s_movk_i32 s4, 0x7f
	v_cmp_gt_i16_sdwa s[6:7], v14, s4 src0_sel:BYTE_0 src1_sel:DWORD
	s_mov_b64 s[4:5], 0
                                        ; implicit-def: $sgpr10
	s_and_saveexec_b64 s[8:9], s[6:7]
	s_xor_b64 s[6:7], exec, s[8:9]
	s_cbranch_execnz .LBB50_3905
; %bb.1857:
	s_or_saveexec_b64 s[6:7], s[6:7]
	v_mov_b32_e32 v8, s10
	s_xor_b64 exec, exec, s[6:7]
	s_cbranch_execnz .LBB50_3908
.LBB50_1858:
	s_or_b64 exec, exec, s[6:7]
	s_and_saveexec_b64 s[6:7], s[4:5]
	s_cbranch_execz .LBB50_1860
.LBB50_1859:
	v_and_b32_e32 v8, 7, v14
	v_ffbh_u32_e32 v12, v8
	v_min_u32_e32 v12, 32, v12
	v_lshrrev_b16_e32 v9, 3, v14
	v_subrev_u32_e32 v13, 28, v12
	v_and_b32_e32 v9, 15, v9
	v_lshlrev_b32_e32 v13, v13, v14
	v_sub_u32_e32 v12, 29, v12
	v_and_b32_e32 v13, 7, v13
	v_cmp_eq_u16_e32 vcc, 0, v9
	v_cndmask_b32_e32 v8, v8, v13, vcc
	v_cndmask_b32_e32 v9, v9, v12, vcc
	v_lshlrev_b32_e32 v12, 24, v14
	v_mov_b32_e32 v13, 0x3b800000
	v_lshlrev_b32_e32 v8, 20, v8
	v_and_b32_e32 v12, 0x80000000, v12
	v_lshl_add_u32 v9, v9, 23, v13
	v_or3_b32 v8, v12, v9, v8
.LBB50_1860:
	s_or_b64 exec, exec, s[6:7]
	s_movk_i32 s4, 0x7f
	v_cmp_gt_i16_sdwa s[6:7], v10, s4 src0_sel:BYTE_0 src1_sel:DWORD
	s_mov_b64 s[4:5], 0
                                        ; implicit-def: $sgpr10
	s_and_saveexec_b64 s[8:9], s[6:7]
	s_xor_b64 s[6:7], exec, s[8:9]
	s_cbranch_execnz .LBB50_3909
; %bb.1861:
	s_or_saveexec_b64 s[6:7], s[6:7]
	v_mov_b32_e32 v9, s10
	s_xor_b64 exec, exec, s[6:7]
	s_cbranch_execnz .LBB50_3912
.LBB50_1862:
	s_or_b64 exec, exec, s[6:7]
	s_and_saveexec_b64 s[6:7], s[4:5]
	s_cbranch_execz .LBB50_1864
.LBB50_1863:
	v_and_b32_e32 v9, 7, v10
	v_ffbh_u32_e32 v13, v9
	v_min_u32_e32 v13, 32, v13
	v_lshrrev_b16_e32 v12, 3, v10
	v_subrev_u32_e32 v18, 28, v13
	v_and_b32_e32 v12, 15, v12
	v_lshlrev_b32_e32 v18, v18, v10
	v_sub_u32_e32 v13, 29, v13
	v_and_b32_e32 v18, 7, v18
	v_cmp_eq_u16_e32 vcc, 0, v12
	v_cndmask_b32_e32 v9, v9, v18, vcc
	v_cndmask_b32_e32 v12, v12, v13, vcc
	v_lshlrev_b32_e32 v13, 24, v10
	v_mov_b32_e32 v18, 0x3b800000
	v_lshlrev_b32_e32 v9, 20, v9
	v_and_b32_e32 v13, 0x80000000, v13
	v_lshl_add_u32 v12, v12, 23, v18
	v_or3_b32 v9, v13, v12, v9
.LBB50_1864:
	s_or_b64 exec, exec, s[6:7]
	s_nop 0
	v_mfma_f32_16x16x4f32 a[0:3], v8, v9, a[0:3]
	v_lshrrev_b32_e32 v9, 8, v14
	s_movk_i32 s4, 0x7f
	v_cmp_gt_i16_sdwa s[6:7], v9, s4 src0_sel:BYTE_0 src1_sel:DWORD
	s_mov_b64 s[4:5], 0
                                        ; implicit-def: $sgpr10
	s_and_saveexec_b64 s[8:9], s[6:7]
	s_xor_b64 s[6:7], exec, s[8:9]
	s_cbranch_execnz .LBB50_3913
; %bb.1865:
	s_or_saveexec_b64 s[6:7], s[6:7]
	v_mov_b32_e32 v8, s10
	s_xor_b64 exec, exec, s[6:7]
	s_cbranch_execnz .LBB50_3916
.LBB50_1866:
	s_or_b64 exec, exec, s[6:7]
	s_and_saveexec_b64 s[6:7], s[4:5]
	s_cbranch_execz .LBB50_1868
.LBB50_1867:
	v_bfe_u32 v8, v14, 8, 3
	v_ffbh_u32_e32 v13, v8
	v_min_u32_e32 v13, 32, v13
	v_lshrrev_b16_e32 v12, 3, v9
	v_subrev_u32_e32 v18, 28, v13
	v_and_b32_e32 v12, 15, v12
	v_lshlrev_b32_e32 v9, v18, v9
	v_sub_u32_e32 v13, 29, v13
	v_and_b32_e32 v9, 7, v9
	v_cmp_eq_u16_e32 vcc, 0, v12
	v_cndmask_b32_e32 v8, v8, v9, vcc
	v_cndmask_b32_e32 v9, v12, v13, vcc
	v_lshlrev_b32_e32 v12, 16, v14
	v_mov_b32_e32 v13, 0x3b800000
	v_lshlrev_b32_e32 v8, 20, v8
	v_and_b32_e32 v12, 0x80000000, v12
	v_lshl_add_u32 v9, v9, 23, v13
	v_or3_b32 v8, v12, v9, v8
.LBB50_1868:
	s_or_b64 exec, exec, s[6:7]
	v_lshrrev_b32_e32 v9, 8, v10
	s_movk_i32 s4, 0x7f
	v_cmp_gt_i16_sdwa s[6:7], v9, s4 src0_sel:BYTE_0 src1_sel:DWORD
	s_mov_b64 s[4:5], 0
                                        ; implicit-def: $sgpr10
	s_and_saveexec_b64 s[8:9], s[6:7]
	s_xor_b64 s[6:7], exec, s[8:9]
	s_cbranch_execnz .LBB50_3917
; %bb.1869:
	s_or_saveexec_b64 s[6:7], s[6:7]
	v_mov_b32_e32 v12, s10
	s_xor_b64 exec, exec, s[6:7]
	s_cbranch_execnz .LBB50_3920
.LBB50_1870:
	s_or_b64 exec, exec, s[6:7]
	s_and_saveexec_b64 s[6:7], s[4:5]
	s_cbranch_execz .LBB50_1872
.LBB50_1871:
	v_bfe_u32 v12, v10, 8, 3
	v_ffbh_u32_e32 v18, v12
	v_min_u32_e32 v18, 32, v18
	v_lshrrev_b16_e32 v13, 3, v9
	v_subrev_u32_e32 v19, 28, v18
	v_and_b32_e32 v13, 15, v13
	v_lshlrev_b32_e32 v9, v19, v9
	v_sub_u32_e32 v18, 29, v18
	v_and_b32_e32 v9, 7, v9
	v_cmp_eq_u16_e32 vcc, 0, v13
	v_cndmask_b32_e32 v9, v12, v9, vcc
	v_cndmask_b32_e32 v12, v13, v18, vcc
	v_lshlrev_b32_e32 v13, 16, v10
	v_mov_b32_e32 v18, 0x3b800000
	v_lshlrev_b32_e32 v9, 20, v9
	v_and_b32_e32 v13, 0x80000000, v13
	v_lshl_add_u32 v12, v12, 23, v18
	v_or3_b32 v12, v13, v12, v9
.LBB50_1872:
	s_or_b64 exec, exec, s[6:7]
	s_nop 0
	v_mfma_f32_16x16x4f32 a[0:3], v8, v12, a[0:3]
	s_movk_i32 s4, 0xff
	v_and_b32_sdwa v9, v14, s4 dst_sel:DWORD dst_unused:UNUSED_PAD src0_sel:WORD_1 src1_sel:DWORD
	s_movk_i32 s4, 0x7f
	v_cmp_lt_i16_e32 vcc, s4, v9
	s_mov_b64 s[4:5], 0
                                        ; implicit-def: $sgpr10
	s_and_saveexec_b64 s[6:7], vcc
	s_xor_b64 s[6:7], exec, s[6:7]
	s_cbranch_execnz .LBB50_3921
; %bb.1873:
	s_or_saveexec_b64 s[6:7], s[6:7]
	v_mov_b32_e32 v8, s10
	s_xor_b64 exec, exec, s[6:7]
	s_cbranch_execnz .LBB50_3924
.LBB50_1874:
	s_or_b64 exec, exec, s[6:7]
	s_and_saveexec_b64 s[6:7], s[4:5]
	s_cbranch_execz .LBB50_1876
.LBB50_1875:
	v_bfe_u32 v8, v14, 16, 3
	v_ffbh_u32_e32 v13, v8
	v_min_u32_e32 v13, 32, v13
	v_lshrrev_b32_e32 v9, 19, v14
	v_subrev_u32_e32 v18, 28, v13
	v_and_b32_e32 v9, 15, v9
	v_lshlrev_b32_sdwa v18, v18, v14 dst_sel:DWORD dst_unused:UNUSED_PAD src0_sel:DWORD src1_sel:WORD_1
	v_bfe_u32 v12, v14, 19, 4
	v_sub_u32_e32 v13, 29, v13
	v_and_b32_e32 v18, 7, v18
	v_cmp_eq_u16_e32 vcc, 0, v9
	v_cndmask_b32_e32 v8, v8, v18, vcc
	v_cndmask_b32_e32 v9, v12, v13, vcc
	v_lshlrev_b32_e32 v12, 8, v14
	v_mov_b32_e32 v13, 0x3b800000
	v_lshlrev_b32_e32 v8, 20, v8
	v_and_b32_e32 v12, 0x80000000, v12
	v_lshl_add_u32 v9, v9, 23, v13
	v_or3_b32 v8, v12, v9, v8
.LBB50_1876:
	s_or_b64 exec, exec, s[6:7]
	s_movk_i32 s4, 0xff
	v_and_b32_sdwa v9, v10, s4 dst_sel:DWORD dst_unused:UNUSED_PAD src0_sel:WORD_1 src1_sel:DWORD
	s_movk_i32 s4, 0x7f
	v_cmp_lt_i16_e32 vcc, s4, v9
	s_mov_b64 s[4:5], 0
                                        ; implicit-def: $sgpr10
	s_and_saveexec_b64 s[6:7], vcc
	s_xor_b64 s[6:7], exec, s[6:7]
	s_cbranch_execnz .LBB50_3925
; %bb.1877:
	s_or_saveexec_b64 s[6:7], s[6:7]
	v_mov_b32_e32 v12, s10
	s_xor_b64 exec, exec, s[6:7]
	s_cbranch_execnz .LBB50_3928
.LBB50_1878:
	s_or_b64 exec, exec, s[6:7]
	s_and_saveexec_b64 s[6:7], s[4:5]
	s_cbranch_execz .LBB50_1880
.LBB50_1879:
	v_bfe_u32 v9, v10, 16, 3
	v_ffbh_u32_e32 v18, v9
	v_min_u32_e32 v18, 32, v18
	v_lshrrev_b32_e32 v12, 19, v10
	v_subrev_u32_e32 v19, 28, v18
	v_and_b32_e32 v12, 15, v12
	v_lshlrev_b32_sdwa v19, v19, v10 dst_sel:DWORD dst_unused:UNUSED_PAD src0_sel:DWORD src1_sel:WORD_1
	v_bfe_u32 v13, v10, 19, 4
	v_sub_u32_e32 v18, 29, v18
	v_and_b32_e32 v19, 7, v19
	v_cmp_eq_u16_e32 vcc, 0, v12
	v_cndmask_b32_e32 v9, v9, v19, vcc
	v_cndmask_b32_e32 v12, v13, v18, vcc
	v_lshlrev_b32_e32 v13, 8, v10
	v_mov_b32_e32 v18, 0x3b800000
	v_lshlrev_b32_e32 v9, 20, v9
	v_and_b32_e32 v13, 0x80000000, v13
	v_lshl_add_u32 v12, v12, 23, v18
	v_or3_b32 v12, v13, v12, v9
.LBB50_1880:
	s_or_b64 exec, exec, s[6:7]
	s_nop 0
	v_mfma_f32_16x16x4f32 a[0:3], v8, v12, a[0:3]
	s_movk_i32 s4, 0x7f
	v_cmp_gt_i16_sdwa s[6:7], v14, s4 src0_sel:BYTE_3 src1_sel:DWORD
	s_mov_b64 s[4:5], 0
                                        ; implicit-def: $sgpr10
	s_and_saveexec_b64 s[8:9], s[6:7]
	s_xor_b64 s[6:7], exec, s[8:9]
	s_cbranch_execnz .LBB50_3929
; %bb.1881:
	s_or_saveexec_b64 s[6:7], s[6:7]
	v_mov_b32_e32 v8, s10
	s_xor_b64 exec, exec, s[6:7]
	s_cbranch_execnz .LBB50_3932
.LBB50_1882:
	s_or_b64 exec, exec, s[6:7]
	s_and_saveexec_b64 s[6:7], s[4:5]
	s_cbranch_execz .LBB50_1884
.LBB50_1883:
	v_bfe_u32 v8, v14, 24, 3
	v_ffbh_u32_e32 v18, v8
	v_min_u32_e32 v18, 32, v18
	v_lshrrev_b32_e32 v12, 27, v14
	v_subrev_u32_e32 v19, 28, v18
	v_and_b32_e32 v9, 0x80000000, v14
	v_and_b32_e32 v12, 15, v12
	v_bfe_u32 v13, v14, 27, 4
	v_lshlrev_b32_sdwa v14, v19, v14 dst_sel:DWORD dst_unused:UNUSED_PAD src0_sel:DWORD src1_sel:BYTE_3
	v_sub_u32_e32 v18, 29, v18
	v_and_b32_e32 v14, 7, v14
	v_cmp_eq_u16_e32 vcc, 0, v12
	v_cndmask_b32_e32 v8, v8, v14, vcc
	v_cndmask_b32_e32 v12, v13, v18, vcc
	v_mov_b32_e32 v13, 0x3b800000
	v_lshlrev_b32_e32 v8, 20, v8
	v_lshl_add_u32 v12, v12, 23, v13
	v_or3_b32 v8, v9, v12, v8
.LBB50_1884:
	s_or_b64 exec, exec, s[6:7]
	s_movk_i32 s4, 0x7f
	v_cmp_gt_i16_sdwa s[6:7], v10, s4 src0_sel:BYTE_3 src1_sel:DWORD
	s_mov_b64 s[4:5], 0
                                        ; implicit-def: $sgpr10
	s_and_saveexec_b64 s[8:9], s[6:7]
	s_xor_b64 s[6:7], exec, s[8:9]
	s_cbranch_execnz .LBB50_3933
; %bb.1885:
	s_or_saveexec_b64 s[6:7], s[6:7]
	v_mov_b32_e32 v9, s10
	s_xor_b64 exec, exec, s[6:7]
	s_cbranch_execnz .LBB50_3936
.LBB50_1886:
	s_or_b64 exec, exec, s[6:7]
	s_and_saveexec_b64 s[6:7], s[4:5]
	s_cbranch_execz .LBB50_1888
.LBB50_1887:
	v_bfe_u32 v9, v10, 24, 3
	v_ffbh_u32_e32 v18, v9
	v_min_u32_e32 v18, 32, v18
	v_lshrrev_b32_e32 v13, 27, v10
	v_subrev_u32_e32 v19, 28, v18
	v_and_b32_e32 v12, 0x80000000, v10
	v_and_b32_e32 v13, 15, v13
	v_bfe_u32 v14, v10, 27, 4
	v_lshlrev_b32_sdwa v10, v19, v10 dst_sel:DWORD dst_unused:UNUSED_PAD src0_sel:DWORD src1_sel:BYTE_3
	v_sub_u32_e32 v18, 29, v18
	v_and_b32_e32 v10, 7, v10
	v_cmp_eq_u16_e32 vcc, 0, v13
	v_cndmask_b32_e32 v9, v9, v10, vcc
	v_cndmask_b32_e32 v10, v14, v18, vcc
	v_mov_b32_e32 v13, 0x3b800000
	v_lshlrev_b32_e32 v9, 20, v9
	v_lshl_add_u32 v10, v10, 23, v13
	v_or3_b32 v9, v12, v10, v9
.LBB50_1888:
	s_or_b64 exec, exec, s[6:7]
	s_nop 0
	v_mfma_f32_16x16x4f32 a[0:3], v8, v9, a[0:3]
	s_movk_i32 s4, 0x7f
	v_cmp_gt_i16_sdwa s[6:7], v15, s4 src0_sel:BYTE_0 src1_sel:DWORD
	s_mov_b64 s[4:5], 0
                                        ; implicit-def: $sgpr10
	s_and_saveexec_b64 s[8:9], s[6:7]
	s_xor_b64 s[6:7], exec, s[8:9]
	s_cbranch_execnz .LBB50_3937
; %bb.1889:
	s_or_saveexec_b64 s[6:7], s[6:7]
	v_mov_b32_e32 v8, s10
	s_xor_b64 exec, exec, s[6:7]
	s_cbranch_execnz .LBB50_3940
.LBB50_1890:
	s_or_b64 exec, exec, s[6:7]
	s_and_saveexec_b64 s[6:7], s[4:5]
	s_cbranch_execz .LBB50_1892
.LBB50_1891:
	v_and_b32_e32 v8, 7, v15
	v_ffbh_u32_e32 v10, v8
	v_min_u32_e32 v10, 32, v10
	v_lshrrev_b16_e32 v9, 3, v15
	v_subrev_u32_e32 v12, 28, v10
	v_and_b32_e32 v9, 15, v9
	v_lshlrev_b32_e32 v12, v12, v15
	v_sub_u32_e32 v10, 29, v10
	v_and_b32_e32 v12, 7, v12
	v_cmp_eq_u16_e32 vcc, 0, v9
	v_cndmask_b32_e32 v8, v8, v12, vcc
	v_cndmask_b32_e32 v9, v9, v10, vcc
	v_lshlrev_b32_e32 v10, 24, v15
	v_mov_b32_e32 v12, 0x3b800000
	v_lshlrev_b32_e32 v8, 20, v8
	v_and_b32_e32 v10, 0x80000000, v10
	v_lshl_add_u32 v9, v9, 23, v12
	v_or3_b32 v8, v10, v9, v8
.LBB50_1892:
	s_or_b64 exec, exec, s[6:7]
	s_movk_i32 s4, 0x7f
	v_cmp_gt_i16_sdwa s[6:7], v11, s4 src0_sel:BYTE_0 src1_sel:DWORD
	s_mov_b64 s[4:5], 0
                                        ; implicit-def: $sgpr10
	s_and_saveexec_b64 s[8:9], s[6:7]
	s_xor_b64 s[6:7], exec, s[8:9]
	s_cbranch_execnz .LBB50_3941
; %bb.1893:
	s_or_saveexec_b64 s[6:7], s[6:7]
	v_mov_b32_e32 v9, s10
	s_xor_b64 exec, exec, s[6:7]
	s_cbranch_execnz .LBB50_3944
.LBB50_1894:
	s_or_b64 exec, exec, s[6:7]
	s_and_saveexec_b64 s[6:7], s[4:5]
	s_cbranch_execz .LBB50_1896
.LBB50_1895:
	v_and_b32_e32 v9, 7, v11
	v_ffbh_u32_e32 v12, v9
	v_min_u32_e32 v12, 32, v12
	v_lshrrev_b16_e32 v10, 3, v11
	v_subrev_u32_e32 v13, 28, v12
	v_and_b32_e32 v10, 15, v10
	v_lshlrev_b32_e32 v13, v13, v11
	v_sub_u32_e32 v12, 29, v12
	v_and_b32_e32 v13, 7, v13
	v_cmp_eq_u16_e32 vcc, 0, v10
	v_cndmask_b32_e32 v9, v9, v13, vcc
	v_cndmask_b32_e32 v10, v10, v12, vcc
	v_lshlrev_b32_e32 v12, 24, v11
	v_mov_b32_e32 v13, 0x3b800000
	v_lshlrev_b32_e32 v9, 20, v9
	v_and_b32_e32 v12, 0x80000000, v12
	v_lshl_add_u32 v10, v10, 23, v13
	v_or3_b32 v9, v12, v10, v9
.LBB50_1896:
	s_or_b64 exec, exec, s[6:7]
	s_nop 0
	v_mfma_f32_16x16x4f32 a[0:3], v8, v9, a[0:3]
	v_lshrrev_b32_e32 v9, 8, v15
	s_movk_i32 s4, 0x7f
	v_cmp_gt_i16_sdwa s[6:7], v9, s4 src0_sel:BYTE_0 src1_sel:DWORD
	s_mov_b64 s[4:5], 0
                                        ; implicit-def: $sgpr10
	s_and_saveexec_b64 s[8:9], s[6:7]
	s_xor_b64 s[6:7], exec, s[8:9]
	s_cbranch_execnz .LBB50_3945
; %bb.1897:
	s_or_saveexec_b64 s[6:7], s[6:7]
	v_mov_b32_e32 v8, s10
	s_xor_b64 exec, exec, s[6:7]
	s_cbranch_execnz .LBB50_3948
.LBB50_1898:
	s_or_b64 exec, exec, s[6:7]
	s_and_saveexec_b64 s[6:7], s[4:5]
	s_cbranch_execz .LBB50_1900
.LBB50_1899:
	v_bfe_u32 v8, v15, 8, 3
	v_ffbh_u32_e32 v12, v8
	v_min_u32_e32 v12, 32, v12
	v_lshrrev_b16_e32 v10, 3, v9
	v_subrev_u32_e32 v13, 28, v12
	v_and_b32_e32 v10, 15, v10
	v_lshlrev_b32_e32 v9, v13, v9
	v_sub_u32_e32 v12, 29, v12
	v_and_b32_e32 v9, 7, v9
	v_cmp_eq_u16_e32 vcc, 0, v10
	v_cndmask_b32_e32 v8, v8, v9, vcc
	v_cndmask_b32_e32 v9, v10, v12, vcc
	v_lshlrev_b32_e32 v10, 16, v15
	v_mov_b32_e32 v12, 0x3b800000
	v_lshlrev_b32_e32 v8, 20, v8
	v_and_b32_e32 v10, 0x80000000, v10
	v_lshl_add_u32 v9, v9, 23, v12
	v_or3_b32 v8, v10, v9, v8
.LBB50_1900:
	s_or_b64 exec, exec, s[6:7]
	v_lshrrev_b32_e32 v9, 8, v11
	s_movk_i32 s4, 0x7f
	v_cmp_gt_i16_sdwa s[6:7], v9, s4 src0_sel:BYTE_0 src1_sel:DWORD
	s_mov_b64 s[4:5], 0
                                        ; implicit-def: $sgpr10
	s_and_saveexec_b64 s[8:9], s[6:7]
	s_xor_b64 s[6:7], exec, s[8:9]
	s_cbranch_execnz .LBB50_3949
; %bb.1901:
	s_or_saveexec_b64 s[6:7], s[6:7]
	v_mov_b32_e32 v10, s10
	s_xor_b64 exec, exec, s[6:7]
	s_cbranch_execnz .LBB50_3952
.LBB50_1902:
	s_or_b64 exec, exec, s[6:7]
	s_and_saveexec_b64 s[6:7], s[4:5]
	s_cbranch_execz .LBB50_1904
.LBB50_1903:
	v_bfe_u32 v10, v11, 8, 3
	v_ffbh_u32_e32 v13, v10
	v_min_u32_e32 v13, 32, v13
	v_lshrrev_b16_e32 v12, 3, v9
	v_subrev_u32_e32 v14, 28, v13
	v_and_b32_e32 v12, 15, v12
	v_lshlrev_b32_e32 v9, v14, v9
	v_sub_u32_e32 v13, 29, v13
	v_and_b32_e32 v9, 7, v9
	v_cmp_eq_u16_e32 vcc, 0, v12
	v_cndmask_b32_e32 v9, v10, v9, vcc
	v_cndmask_b32_e32 v10, v12, v13, vcc
	v_lshlrev_b32_e32 v12, 16, v11
	v_mov_b32_e32 v13, 0x3b800000
	v_lshlrev_b32_e32 v9, 20, v9
	v_and_b32_e32 v12, 0x80000000, v12
	v_lshl_add_u32 v10, v10, 23, v13
	v_or3_b32 v10, v12, v10, v9
.LBB50_1904:
	s_or_b64 exec, exec, s[6:7]
	s_nop 0
	v_mfma_f32_16x16x4f32 a[0:3], v8, v10, a[0:3]
	s_movk_i32 s4, 0xff
	v_and_b32_sdwa v9, v15, s4 dst_sel:DWORD dst_unused:UNUSED_PAD src0_sel:WORD_1 src1_sel:DWORD
	s_movk_i32 s4, 0x7f
	v_cmp_lt_i16_e32 vcc, s4, v9
	s_mov_b64 s[4:5], 0
                                        ; implicit-def: $sgpr10
	s_and_saveexec_b64 s[6:7], vcc
	s_xor_b64 s[6:7], exec, s[6:7]
	s_cbranch_execnz .LBB50_3953
; %bb.1905:
	s_or_saveexec_b64 s[6:7], s[6:7]
	v_mov_b32_e32 v8, s10
	s_xor_b64 exec, exec, s[6:7]
	s_cbranch_execnz .LBB50_3956
.LBB50_1906:
	s_or_b64 exec, exec, s[6:7]
	s_and_saveexec_b64 s[6:7], s[4:5]
	s_cbranch_execz .LBB50_1908
.LBB50_1907:
	v_bfe_u32 v8, v15, 16, 3
	v_ffbh_u32_e32 v12, v8
	v_min_u32_e32 v12, 32, v12
	v_lshrrev_b32_e32 v9, 19, v15
	v_subrev_u32_e32 v13, 28, v12
	v_and_b32_e32 v9, 15, v9
	v_lshlrev_b32_sdwa v13, v13, v15 dst_sel:DWORD dst_unused:UNUSED_PAD src0_sel:DWORD src1_sel:WORD_1
	v_bfe_u32 v10, v15, 19, 4
	v_sub_u32_e32 v12, 29, v12
	v_and_b32_e32 v13, 7, v13
	v_cmp_eq_u16_e32 vcc, 0, v9
	v_cndmask_b32_e32 v8, v8, v13, vcc
	v_cndmask_b32_e32 v9, v10, v12, vcc
	v_lshlrev_b32_e32 v10, 8, v15
	v_mov_b32_e32 v12, 0x3b800000
	v_lshlrev_b32_e32 v8, 20, v8
	v_and_b32_e32 v10, 0x80000000, v10
	v_lshl_add_u32 v9, v9, 23, v12
	v_or3_b32 v8, v10, v9, v8
.LBB50_1908:
	s_or_b64 exec, exec, s[6:7]
	s_movk_i32 s4, 0xff
	v_and_b32_sdwa v9, v11, s4 dst_sel:DWORD dst_unused:UNUSED_PAD src0_sel:WORD_1 src1_sel:DWORD
	s_movk_i32 s4, 0x7f
	v_cmp_lt_i16_e32 vcc, s4, v9
	s_mov_b64 s[4:5], 0
                                        ; implicit-def: $sgpr10
	s_and_saveexec_b64 s[6:7], vcc
	s_xor_b64 s[6:7], exec, s[6:7]
	s_cbranch_execnz .LBB50_3957
; %bb.1909:
	s_or_saveexec_b64 s[6:7], s[6:7]
	v_mov_b32_e32 v10, s10
	s_xor_b64 exec, exec, s[6:7]
	s_cbranch_execnz .LBB50_3960
.LBB50_1910:
	s_or_b64 exec, exec, s[6:7]
	s_and_saveexec_b64 s[6:7], s[4:5]
	s_cbranch_execz .LBB50_1912
.LBB50_1911:
	v_bfe_u32 v9, v11, 16, 3
	v_ffbh_u32_e32 v13, v9
	v_min_u32_e32 v13, 32, v13
	v_lshrrev_b32_e32 v10, 19, v11
	v_subrev_u32_e32 v14, 28, v13
	v_and_b32_e32 v10, 15, v10
	v_lshlrev_b32_sdwa v14, v14, v11 dst_sel:DWORD dst_unused:UNUSED_PAD src0_sel:DWORD src1_sel:WORD_1
	v_bfe_u32 v12, v11, 19, 4
	v_sub_u32_e32 v13, 29, v13
	v_and_b32_e32 v14, 7, v14
	v_cmp_eq_u16_e32 vcc, 0, v10
	v_cndmask_b32_e32 v9, v9, v14, vcc
	v_cndmask_b32_e32 v10, v12, v13, vcc
	v_lshlrev_b32_e32 v12, 8, v11
	v_mov_b32_e32 v13, 0x3b800000
	v_lshlrev_b32_e32 v9, 20, v9
	v_and_b32_e32 v12, 0x80000000, v12
	v_lshl_add_u32 v10, v10, 23, v13
	v_or3_b32 v10, v12, v10, v9
.LBB50_1912:
	s_or_b64 exec, exec, s[6:7]
	s_nop 0
	v_mfma_f32_16x16x4f32 a[0:3], v8, v10, a[0:3]
	s_movk_i32 s4, 0x7f
	v_cmp_gt_i16_sdwa s[6:7], v15, s4 src0_sel:BYTE_3 src1_sel:DWORD
	s_mov_b64 s[4:5], 0
                                        ; implicit-def: $sgpr10
	s_and_saveexec_b64 s[8:9], s[6:7]
	s_xor_b64 s[6:7], exec, s[8:9]
	s_cbranch_execnz .LBB50_3961
; %bb.1913:
	s_or_saveexec_b64 s[6:7], s[6:7]
	v_mov_b32_e32 v8, s10
	s_xor_b64 exec, exec, s[6:7]
	s_cbranch_execnz .LBB50_3964
.LBB50_1914:
	s_or_b64 exec, exec, s[6:7]
	s_and_saveexec_b64 s[6:7], s[4:5]
	s_cbranch_execz .LBB50_1916
.LBB50_1915:
	v_bfe_u32 v8, v15, 24, 3
	v_ffbh_u32_e32 v13, v8
	v_min_u32_e32 v13, 32, v13
	v_lshrrev_b32_e32 v10, 27, v15
	v_subrev_u32_e32 v14, 28, v13
	v_and_b32_e32 v10, 15, v10
	v_lshlrev_b32_sdwa v14, v14, v15 dst_sel:DWORD dst_unused:UNUSED_PAD src0_sel:DWORD src1_sel:BYTE_3
	v_bfe_u32 v12, v15, 27, 4
	v_sub_u32_e32 v13, 29, v13
	v_and_b32_e32 v14, 7, v14
	v_cmp_eq_u16_e32 vcc, 0, v10
	v_cndmask_b32_e32 v8, v8, v14, vcc
	v_cndmask_b32_e32 v10, v12, v13, vcc
	v_mov_b32_e32 v12, 0x3b800000
	v_and_b32_e32 v9, 0x80000000, v15
	v_lshlrev_b32_e32 v8, 20, v8
	v_lshl_add_u32 v10, v10, 23, v12
	v_or3_b32 v8, v9, v10, v8
.LBB50_1916:
	s_or_b64 exec, exec, s[6:7]
	s_movk_i32 s4, 0x7f
	v_cmp_gt_i16_sdwa s[6:7], v11, s4 src0_sel:BYTE_3 src1_sel:DWORD
	s_mov_b64 s[4:5], 0
                                        ; implicit-def: $sgpr10
	s_and_saveexec_b64 s[8:9], s[6:7]
	s_xor_b64 s[6:7], exec, s[8:9]
	s_cbranch_execnz .LBB50_3965
; %bb.1917:
	s_or_saveexec_b64 s[6:7], s[6:7]
	v_mov_b32_e32 v9, s10
	s_xor_b64 exec, exec, s[6:7]
	s_cbranch_execnz .LBB50_3968
.LBB50_1918:
	s_or_b64 exec, exec, s[6:7]
	s_and_saveexec_b64 s[6:7], s[4:5]
	s_cbranch_execz .LBB50_1920
.LBB50_1919:
	v_bfe_u32 v9, v11, 24, 3
	v_ffbh_u32_e32 v14, v9
	v_min_u32_e32 v14, 32, v14
	v_lshrrev_b32_e32 v12, 27, v11
	v_subrev_u32_e32 v15, 28, v14
	v_and_b32_e32 v10, 0x80000000, v11
	v_and_b32_e32 v12, 15, v12
	v_bfe_u32 v13, v11, 27, 4
	v_lshlrev_b32_sdwa v11, v15, v11 dst_sel:DWORD dst_unused:UNUSED_PAD src0_sel:DWORD src1_sel:BYTE_3
	v_sub_u32_e32 v14, 29, v14
	v_and_b32_e32 v11, 7, v11
	v_cmp_eq_u16_e32 vcc, 0, v12
	v_cndmask_b32_e32 v9, v9, v11, vcc
	v_cndmask_b32_e32 v11, v13, v14, vcc
	v_mov_b32_e32 v12, 0x3b800000
	v_lshlrev_b32_e32 v9, 20, v9
	v_lshl_add_u32 v11, v11, 23, v12
	v_or3_b32 v9, v10, v11, v9
.LBB50_1920:
	s_or_b64 exec, exec, s[6:7]
	s_nop 0
	v_mfma_f32_16x16x4f32 a[0:3], v8, v9, a[0:3]
	s_movk_i32 s4, 0x7f
	v_cmp_gt_i16_sdwa s[6:7], v4, s4 src0_sel:BYTE_0 src1_sel:DWORD
	s_mov_b64 s[4:5], 0
                                        ; implicit-def: $sgpr10
	s_and_saveexec_b64 s[8:9], s[6:7]
	s_xor_b64 s[6:7], exec, s[8:9]
	s_cbranch_execnz .LBB50_3969
; %bb.1921:
	s_or_saveexec_b64 s[6:7], s[6:7]
	v_mov_b32_e32 v8, s10
	s_xor_b64 exec, exec, s[6:7]
	s_cbranch_execnz .LBB50_3972
.LBB50_1922:
	s_or_b64 exec, exec, s[6:7]
	s_and_saveexec_b64 s[6:7], s[4:5]
	s_cbranch_execz .LBB50_1924
.LBB50_1923:
	v_and_b32_e32 v8, 7, v4
	v_ffbh_u32_e32 v10, v8
	v_min_u32_e32 v10, 32, v10
	v_lshrrev_b16_e32 v9, 3, v4
	v_subrev_u32_e32 v11, 28, v10
	v_and_b32_e32 v9, 15, v9
	v_lshlrev_b32_e32 v11, v11, v4
	v_sub_u32_e32 v10, 29, v10
	v_and_b32_e32 v11, 7, v11
	v_cmp_eq_u16_e32 vcc, 0, v9
	v_cndmask_b32_e32 v8, v8, v11, vcc
	v_cndmask_b32_e32 v9, v9, v10, vcc
	v_lshlrev_b32_e32 v10, 24, v4
	v_mov_b32_e32 v11, 0x3b800000
	v_lshlrev_b32_e32 v8, 20, v8
	v_and_b32_e32 v10, 0x80000000, v10
	v_lshl_add_u32 v9, v9, 23, v11
	v_or3_b32 v8, v10, v9, v8
.LBB50_1924:
	s_or_b64 exec, exec, s[6:7]
	s_movk_i32 s4, 0x7f
	v_cmp_gt_i16_sdwa s[6:7], v0, s4 src0_sel:BYTE_0 src1_sel:DWORD
	s_mov_b64 s[4:5], 0
                                        ; implicit-def: $sgpr10
	s_and_saveexec_b64 s[8:9], s[6:7]
	s_xor_b64 s[6:7], exec, s[8:9]
	s_cbranch_execnz .LBB50_3973
; %bb.1925:
	s_or_saveexec_b64 s[6:7], s[6:7]
	v_mov_b32_e32 v9, s10
	s_xor_b64 exec, exec, s[6:7]
	s_cbranch_execnz .LBB50_3976
.LBB50_1926:
	s_or_b64 exec, exec, s[6:7]
	s_and_saveexec_b64 s[6:7], s[4:5]
	s_cbranch_execz .LBB50_1928
.LBB50_1927:
	v_and_b32_e32 v9, 7, v0
	v_ffbh_u32_e32 v11, v9
	v_min_u32_e32 v11, 32, v11
	v_lshrrev_b16_e32 v10, 3, v0
	v_subrev_u32_e32 v12, 28, v11
	v_and_b32_e32 v10, 15, v10
	v_lshlrev_b32_e32 v12, v12, v0
	v_sub_u32_e32 v11, 29, v11
	v_and_b32_e32 v12, 7, v12
	v_cmp_eq_u16_e32 vcc, 0, v10
	v_cndmask_b32_e32 v9, v9, v12, vcc
	v_cndmask_b32_e32 v10, v10, v11, vcc
	v_lshlrev_b32_e32 v11, 24, v0
	v_mov_b32_e32 v12, 0x3b800000
	v_lshlrev_b32_e32 v9, 20, v9
	v_and_b32_e32 v11, 0x80000000, v11
	v_lshl_add_u32 v10, v10, 23, v12
	v_or3_b32 v9, v11, v10, v9
.LBB50_1928:
	s_or_b64 exec, exec, s[6:7]
	s_nop 0
	v_mfma_f32_16x16x4f32 a[0:3], v8, v9, a[0:3]
	v_lshrrev_b32_e32 v9, 8, v4
	s_movk_i32 s4, 0x7f
	v_cmp_gt_i16_sdwa s[6:7], v9, s4 src0_sel:BYTE_0 src1_sel:DWORD
	s_mov_b64 s[4:5], 0
                                        ; implicit-def: $sgpr10
	s_and_saveexec_b64 s[8:9], s[6:7]
	s_xor_b64 s[6:7], exec, s[8:9]
	s_cbranch_execnz .LBB50_3977
; %bb.1929:
	s_or_saveexec_b64 s[6:7], s[6:7]
	v_mov_b32_e32 v8, s10
	s_xor_b64 exec, exec, s[6:7]
	s_cbranch_execnz .LBB50_3980
.LBB50_1930:
	s_or_b64 exec, exec, s[6:7]
	s_and_saveexec_b64 s[6:7], s[4:5]
	s_cbranch_execz .LBB50_1932
.LBB50_1931:
	v_bfe_u32 v8, v4, 8, 3
	v_ffbh_u32_e32 v11, v8
	v_min_u32_e32 v11, 32, v11
	v_lshrrev_b16_e32 v10, 3, v9
	v_subrev_u32_e32 v12, 28, v11
	v_and_b32_e32 v10, 15, v10
	v_lshlrev_b32_e32 v9, v12, v9
	v_sub_u32_e32 v11, 29, v11
	v_and_b32_e32 v9, 7, v9
	v_cmp_eq_u16_e32 vcc, 0, v10
	v_cndmask_b32_e32 v8, v8, v9, vcc
	v_cndmask_b32_e32 v9, v10, v11, vcc
	v_lshlrev_b32_e32 v10, 16, v4
	v_mov_b32_e32 v11, 0x3b800000
	v_lshlrev_b32_e32 v8, 20, v8
	v_and_b32_e32 v10, 0x80000000, v10
	v_lshl_add_u32 v9, v9, 23, v11
	v_or3_b32 v8, v10, v9, v8
.LBB50_1932:
	s_or_b64 exec, exec, s[6:7]
	v_lshrrev_b32_e32 v9, 8, v0
	s_movk_i32 s4, 0x7f
	v_cmp_gt_i16_sdwa s[6:7], v9, s4 src0_sel:BYTE_0 src1_sel:DWORD
	s_mov_b64 s[4:5], 0
                                        ; implicit-def: $sgpr10
	s_and_saveexec_b64 s[8:9], s[6:7]
	s_xor_b64 s[6:7], exec, s[8:9]
	s_cbranch_execnz .LBB50_3981
; %bb.1933:
	s_or_saveexec_b64 s[6:7], s[6:7]
	v_mov_b32_e32 v10, s10
	s_xor_b64 exec, exec, s[6:7]
	s_cbranch_execnz .LBB50_3984
.LBB50_1934:
	s_or_b64 exec, exec, s[6:7]
	s_and_saveexec_b64 s[6:7], s[4:5]
	s_cbranch_execz .LBB50_1936
.LBB50_1935:
	v_bfe_u32 v10, v0, 8, 3
	v_ffbh_u32_e32 v12, v10
	v_min_u32_e32 v12, 32, v12
	v_lshrrev_b16_e32 v11, 3, v9
	v_subrev_u32_e32 v13, 28, v12
	v_and_b32_e32 v11, 15, v11
	v_lshlrev_b32_e32 v9, v13, v9
	v_sub_u32_e32 v12, 29, v12
	v_and_b32_e32 v9, 7, v9
	v_cmp_eq_u16_e32 vcc, 0, v11
	v_cndmask_b32_e32 v9, v10, v9, vcc
	v_cndmask_b32_e32 v10, v11, v12, vcc
	v_lshlrev_b32_e32 v11, 16, v0
	v_mov_b32_e32 v12, 0x3b800000
	v_lshlrev_b32_e32 v9, 20, v9
	v_and_b32_e32 v11, 0x80000000, v11
	v_lshl_add_u32 v10, v10, 23, v12
	v_or3_b32 v10, v11, v10, v9
.LBB50_1936:
	s_or_b64 exec, exec, s[6:7]
	s_nop 0
	v_mfma_f32_16x16x4f32 a[0:3], v8, v10, a[0:3]
	s_movk_i32 s4, 0xff
	v_and_b32_sdwa v9, v4, s4 dst_sel:DWORD dst_unused:UNUSED_PAD src0_sel:WORD_1 src1_sel:DWORD
	s_movk_i32 s4, 0x7f
	v_cmp_lt_i16_e32 vcc, s4, v9
	s_mov_b64 s[4:5], 0
                                        ; implicit-def: $sgpr10
	s_and_saveexec_b64 s[6:7], vcc
	s_xor_b64 s[6:7], exec, s[6:7]
	s_cbranch_execnz .LBB50_3985
; %bb.1937:
	s_or_saveexec_b64 s[6:7], s[6:7]
	v_mov_b32_e32 v8, s10
	s_xor_b64 exec, exec, s[6:7]
	s_cbranch_execnz .LBB50_3988
.LBB50_1938:
	s_or_b64 exec, exec, s[6:7]
	s_and_saveexec_b64 s[6:7], s[4:5]
	s_cbranch_execz .LBB50_1940
.LBB50_1939:
	v_bfe_u32 v8, v4, 16, 3
	v_ffbh_u32_e32 v11, v8
	v_min_u32_e32 v11, 32, v11
	v_lshrrev_b32_e32 v9, 19, v4
	v_subrev_u32_e32 v12, 28, v11
	v_and_b32_e32 v9, 15, v9
	v_lshlrev_b32_sdwa v12, v12, v4 dst_sel:DWORD dst_unused:UNUSED_PAD src0_sel:DWORD src1_sel:WORD_1
	v_bfe_u32 v10, v4, 19, 4
	v_sub_u32_e32 v11, 29, v11
	v_and_b32_e32 v12, 7, v12
	v_cmp_eq_u16_e32 vcc, 0, v9
	v_cndmask_b32_e32 v8, v8, v12, vcc
	v_cndmask_b32_e32 v9, v10, v11, vcc
	v_lshlrev_b32_e32 v10, 8, v4
	v_mov_b32_e32 v11, 0x3b800000
	v_lshlrev_b32_e32 v8, 20, v8
	v_and_b32_e32 v10, 0x80000000, v10
	v_lshl_add_u32 v9, v9, 23, v11
	v_or3_b32 v8, v10, v9, v8
.LBB50_1940:
	s_or_b64 exec, exec, s[6:7]
	s_movk_i32 s4, 0xff
	v_and_b32_sdwa v9, v0, s4 dst_sel:DWORD dst_unused:UNUSED_PAD src0_sel:WORD_1 src1_sel:DWORD
	s_movk_i32 s4, 0x7f
	v_cmp_lt_i16_e32 vcc, s4, v9
	s_mov_b64 s[4:5], 0
                                        ; implicit-def: $sgpr10
	s_and_saveexec_b64 s[6:7], vcc
	s_xor_b64 s[6:7], exec, s[6:7]
	s_cbranch_execnz .LBB50_3989
; %bb.1941:
	s_or_saveexec_b64 s[6:7], s[6:7]
	v_mov_b32_e32 v10, s10
	s_xor_b64 exec, exec, s[6:7]
	s_cbranch_execnz .LBB50_3992
.LBB50_1942:
	s_or_b64 exec, exec, s[6:7]
	s_and_saveexec_b64 s[6:7], s[4:5]
	s_cbranch_execz .LBB50_1944
.LBB50_1943:
	v_bfe_u32 v9, v0, 16, 3
	v_ffbh_u32_e32 v12, v9
	v_min_u32_e32 v12, 32, v12
	v_lshrrev_b32_e32 v10, 19, v0
	v_subrev_u32_e32 v13, 28, v12
	v_and_b32_e32 v10, 15, v10
	v_lshlrev_b32_sdwa v13, v13, v0 dst_sel:DWORD dst_unused:UNUSED_PAD src0_sel:DWORD src1_sel:WORD_1
	v_bfe_u32 v11, v0, 19, 4
	v_sub_u32_e32 v12, 29, v12
	v_and_b32_e32 v13, 7, v13
	v_cmp_eq_u16_e32 vcc, 0, v10
	v_cndmask_b32_e32 v9, v9, v13, vcc
	v_cndmask_b32_e32 v10, v11, v12, vcc
	v_lshlrev_b32_e32 v11, 8, v0
	v_mov_b32_e32 v12, 0x3b800000
	v_lshlrev_b32_e32 v9, 20, v9
	v_and_b32_e32 v11, 0x80000000, v11
	v_lshl_add_u32 v10, v10, 23, v12
	v_or3_b32 v10, v11, v10, v9
.LBB50_1944:
	s_or_b64 exec, exec, s[6:7]
	s_nop 0
	v_mfma_f32_16x16x4f32 a[0:3], v8, v10, a[0:3]
	s_movk_i32 s4, 0x7f
	v_cmp_gt_i16_sdwa s[6:7], v4, s4 src0_sel:BYTE_3 src1_sel:DWORD
	s_mov_b64 s[4:5], 0
                                        ; implicit-def: $sgpr10
	s_and_saveexec_b64 s[8:9], s[6:7]
	s_xor_b64 s[6:7], exec, s[8:9]
	s_cbranch_execnz .LBB50_3993
; %bb.1945:
	s_or_saveexec_b64 s[6:7], s[6:7]
	v_mov_b32_e32 v8, s10
	s_xor_b64 exec, exec, s[6:7]
	s_cbranch_execnz .LBB50_3996
.LBB50_1946:
	s_or_b64 exec, exec, s[6:7]
	s_and_saveexec_b64 s[6:7], s[4:5]
	s_cbranch_execz .LBB50_1948
.LBB50_1947:
	v_bfe_u32 v8, v4, 24, 3
	v_ffbh_u32_e32 v12, v8
	v_min_u32_e32 v12, 32, v12
	v_lshrrev_b32_e32 v10, 27, v4
	v_subrev_u32_e32 v13, 28, v12
	v_and_b32_e32 v9, 0x80000000, v4
	v_and_b32_e32 v10, 15, v10
	v_bfe_u32 v11, v4, 27, 4
	v_lshlrev_b32_sdwa v4, v13, v4 dst_sel:DWORD dst_unused:UNUSED_PAD src0_sel:DWORD src1_sel:BYTE_3
	v_sub_u32_e32 v12, 29, v12
	v_and_b32_e32 v4, 7, v4
	v_cmp_eq_u16_e32 vcc, 0, v10
	v_cndmask_b32_e32 v4, v8, v4, vcc
	v_cndmask_b32_e32 v8, v11, v12, vcc
	v_mov_b32_e32 v10, 0x3b800000
	v_lshlrev_b32_e32 v4, 20, v4
	v_lshl_add_u32 v8, v8, 23, v10
	v_or3_b32 v8, v9, v8, v4
.LBB50_1948:
	s_or_b64 exec, exec, s[6:7]
	s_movk_i32 s4, 0x7f
	v_cmp_gt_i16_sdwa s[6:7], v0, s4 src0_sel:BYTE_3 src1_sel:DWORD
	s_mov_b64 s[4:5], 0
                                        ; implicit-def: $sgpr10
	s_and_saveexec_b64 s[8:9], s[6:7]
	s_xor_b64 s[6:7], exec, s[8:9]
	s_cbranch_execnz .LBB50_3997
; %bb.1949:
	s_or_saveexec_b64 s[6:7], s[6:7]
	v_mov_b32_e32 v4, s10
	s_xor_b64 exec, exec, s[6:7]
	s_cbranch_execnz .LBB50_4000
.LBB50_1950:
	s_or_b64 exec, exec, s[6:7]
	s_and_saveexec_b64 s[6:7], s[4:5]
	s_cbranch_execz .LBB50_1952
.LBB50_1951:
	v_bfe_u32 v4, v0, 24, 3
	v_ffbh_u32_e32 v12, v4
	v_min_u32_e32 v12, 32, v12
	v_lshrrev_b32_e32 v10, 27, v0
	v_subrev_u32_e32 v13, 28, v12
	v_and_b32_e32 v9, 0x80000000, v0
	v_and_b32_e32 v10, 15, v10
	v_bfe_u32 v11, v0, 27, 4
	v_lshlrev_b32_sdwa v0, v13, v0 dst_sel:DWORD dst_unused:UNUSED_PAD src0_sel:DWORD src1_sel:BYTE_3
	v_sub_u32_e32 v12, 29, v12
	v_and_b32_e32 v0, 7, v0
	v_cmp_eq_u16_e32 vcc, 0, v10
	v_cndmask_b32_e32 v0, v4, v0, vcc
	v_cndmask_b32_e32 v4, v11, v12, vcc
	v_mov_b32_e32 v10, 0x3b800000
	v_lshlrev_b32_e32 v0, 20, v0
	v_lshl_add_u32 v4, v4, 23, v10
	v_or3_b32 v4, v9, v4, v0
.LBB50_1952:
	s_or_b64 exec, exec, s[6:7]
	s_nop 0
	v_mfma_f32_16x16x4f32 a[0:3], v8, v4, a[0:3]
	s_movk_i32 s4, 0x7f
	v_cmp_gt_i16_sdwa s[6:7], v5, s4 src0_sel:BYTE_0 src1_sel:DWORD
	s_mov_b64 s[4:5], 0
                                        ; implicit-def: $sgpr10
	s_and_saveexec_b64 s[8:9], s[6:7]
	s_xor_b64 s[6:7], exec, s[8:9]
	s_cbranch_execnz .LBB50_4001
; %bb.1953:
	s_or_saveexec_b64 s[6:7], s[6:7]
	v_mov_b32_e32 v0, s10
	s_xor_b64 exec, exec, s[6:7]
	s_cbranch_execnz .LBB50_4004
.LBB50_1954:
	s_or_b64 exec, exec, s[6:7]
	s_and_saveexec_b64 s[6:7], s[4:5]
	s_cbranch_execz .LBB50_1956
.LBB50_1955:
	v_and_b32_e32 v0, 7, v5
	v_ffbh_u32_e32 v8, v0
	v_min_u32_e32 v8, 32, v8
	v_lshrrev_b16_e32 v4, 3, v5
	v_subrev_u32_e32 v9, 28, v8
	v_and_b32_e32 v4, 15, v4
	v_lshlrev_b32_e32 v9, v9, v5
	v_sub_u32_e32 v8, 29, v8
	v_and_b32_e32 v9, 7, v9
	v_cmp_eq_u16_e32 vcc, 0, v4
	v_cndmask_b32_e32 v0, v0, v9, vcc
	v_cndmask_b32_e32 v4, v4, v8, vcc
	v_lshlrev_b32_e32 v8, 24, v5
	v_mov_b32_e32 v9, 0x3b800000
	v_lshlrev_b32_e32 v0, 20, v0
	v_and_b32_e32 v8, 0x80000000, v8
	v_lshl_add_u32 v4, v4, 23, v9
	v_or3_b32 v0, v8, v4, v0
.LBB50_1956:
	s_or_b64 exec, exec, s[6:7]
	s_movk_i32 s4, 0x7f
	v_cmp_gt_i16_sdwa s[6:7], v1, s4 src0_sel:BYTE_0 src1_sel:DWORD
	s_mov_b64 s[4:5], 0
                                        ; implicit-def: $sgpr10
	s_and_saveexec_b64 s[8:9], s[6:7]
	s_xor_b64 s[6:7], exec, s[8:9]
	s_cbranch_execnz .LBB50_4005
; %bb.1957:
	s_or_saveexec_b64 s[6:7], s[6:7]
	v_mov_b32_e32 v4, s10
	s_xor_b64 exec, exec, s[6:7]
	s_cbranch_execnz .LBB50_4008
.LBB50_1958:
	s_or_b64 exec, exec, s[6:7]
	s_and_saveexec_b64 s[6:7], s[4:5]
	s_cbranch_execz .LBB50_1960
.LBB50_1959:
	v_and_b32_e32 v4, 7, v1
	v_ffbh_u32_e32 v9, v4
	v_min_u32_e32 v9, 32, v9
	v_lshrrev_b16_e32 v8, 3, v1
	v_subrev_u32_e32 v10, 28, v9
	v_and_b32_e32 v8, 15, v8
	v_lshlrev_b32_e32 v10, v10, v1
	v_sub_u32_e32 v9, 29, v9
	v_and_b32_e32 v10, 7, v10
	v_cmp_eq_u16_e32 vcc, 0, v8
	v_cndmask_b32_e32 v4, v4, v10, vcc
	v_cndmask_b32_e32 v8, v8, v9, vcc
	v_lshlrev_b32_e32 v9, 24, v1
	v_mov_b32_e32 v10, 0x3b800000
	v_lshlrev_b32_e32 v4, 20, v4
	v_and_b32_e32 v9, 0x80000000, v9
	v_lshl_add_u32 v8, v8, 23, v10
	v_or3_b32 v4, v9, v8, v4
.LBB50_1960:
	s_or_b64 exec, exec, s[6:7]
	s_nop 0
	v_mfma_f32_16x16x4f32 a[0:3], v0, v4, a[0:3]
	v_lshrrev_b32_e32 v4, 8, v5
	s_movk_i32 s4, 0x7f
	v_cmp_gt_i16_sdwa s[6:7], v4, s4 src0_sel:BYTE_0 src1_sel:DWORD
	s_mov_b64 s[4:5], 0
                                        ; implicit-def: $sgpr10
	s_and_saveexec_b64 s[8:9], s[6:7]
	s_xor_b64 s[6:7], exec, s[8:9]
	s_cbranch_execnz .LBB50_4009
; %bb.1961:
	s_or_saveexec_b64 s[6:7], s[6:7]
	v_mov_b32_e32 v0, s10
	s_xor_b64 exec, exec, s[6:7]
	s_cbranch_execnz .LBB50_4012
.LBB50_1962:
	s_or_b64 exec, exec, s[6:7]
	s_and_saveexec_b64 s[6:7], s[4:5]
	s_cbranch_execz .LBB50_1964
.LBB50_1963:
	v_bfe_u32 v0, v5, 8, 3
	v_ffbh_u32_e32 v9, v0
	v_min_u32_e32 v9, 32, v9
	v_lshrrev_b16_e32 v8, 3, v4
	v_subrev_u32_e32 v10, 28, v9
	v_and_b32_e32 v8, 15, v8
	v_lshlrev_b32_e32 v4, v10, v4
	v_sub_u32_e32 v9, 29, v9
	v_and_b32_e32 v4, 7, v4
	v_cmp_eq_u16_e32 vcc, 0, v8
	v_cndmask_b32_e32 v0, v0, v4, vcc
	v_cndmask_b32_e32 v4, v8, v9, vcc
	v_lshlrev_b32_e32 v8, 16, v5
	v_mov_b32_e32 v9, 0x3b800000
	v_lshlrev_b32_e32 v0, 20, v0
	v_and_b32_e32 v8, 0x80000000, v8
	v_lshl_add_u32 v4, v4, 23, v9
	v_or3_b32 v0, v8, v4, v0
.LBB50_1964:
	s_or_b64 exec, exec, s[6:7]
	v_lshrrev_b32_e32 v4, 8, v1
	s_movk_i32 s4, 0x7f
	v_cmp_gt_i16_sdwa s[6:7], v4, s4 src0_sel:BYTE_0 src1_sel:DWORD
	s_mov_b64 s[4:5], 0
                                        ; implicit-def: $sgpr10
	s_and_saveexec_b64 s[8:9], s[6:7]
	s_xor_b64 s[6:7], exec, s[8:9]
	s_cbranch_execnz .LBB50_4013
; %bb.1965:
	s_or_saveexec_b64 s[6:7], s[6:7]
	v_mov_b32_e32 v8, s10
	s_xor_b64 exec, exec, s[6:7]
	s_cbranch_execnz .LBB50_4016
.LBB50_1966:
	s_or_b64 exec, exec, s[6:7]
	s_and_saveexec_b64 s[6:7], s[4:5]
	s_cbranch_execz .LBB50_1968
.LBB50_1967:
	v_bfe_u32 v8, v1, 8, 3
	v_ffbh_u32_e32 v10, v8
	v_min_u32_e32 v10, 32, v10
	v_lshrrev_b16_e32 v9, 3, v4
	v_subrev_u32_e32 v11, 28, v10
	v_and_b32_e32 v9, 15, v9
	v_lshlrev_b32_e32 v4, v11, v4
	v_sub_u32_e32 v10, 29, v10
	v_and_b32_e32 v4, 7, v4
	v_cmp_eq_u16_e32 vcc, 0, v9
	v_cndmask_b32_e32 v4, v8, v4, vcc
	v_cndmask_b32_e32 v8, v9, v10, vcc
	v_lshlrev_b32_e32 v9, 16, v1
	v_mov_b32_e32 v10, 0x3b800000
	v_lshlrev_b32_e32 v4, 20, v4
	v_and_b32_e32 v9, 0x80000000, v9
	v_lshl_add_u32 v8, v8, 23, v10
	v_or3_b32 v8, v9, v8, v4
.LBB50_1968:
	s_or_b64 exec, exec, s[6:7]
	s_nop 0
	v_mfma_f32_16x16x4f32 a[0:3], v0, v8, a[0:3]
	s_movk_i32 s4, 0xff
	v_and_b32_sdwa v4, v5, s4 dst_sel:DWORD dst_unused:UNUSED_PAD src0_sel:WORD_1 src1_sel:DWORD
	s_movk_i32 s4, 0x7f
	v_cmp_lt_i16_e32 vcc, s4, v4
	s_mov_b64 s[4:5], 0
                                        ; implicit-def: $sgpr10
	s_and_saveexec_b64 s[6:7], vcc
	s_xor_b64 s[6:7], exec, s[6:7]
	s_cbranch_execnz .LBB50_4017
; %bb.1969:
	s_or_saveexec_b64 s[6:7], s[6:7]
	v_mov_b32_e32 v0, s10
	s_xor_b64 exec, exec, s[6:7]
	s_cbranch_execnz .LBB50_4020
.LBB50_1970:
	s_or_b64 exec, exec, s[6:7]
	s_and_saveexec_b64 s[6:7], s[4:5]
	s_cbranch_execz .LBB50_1972
.LBB50_1971:
	v_bfe_u32 v0, v5, 16, 3
	v_ffbh_u32_e32 v9, v0
	v_min_u32_e32 v9, 32, v9
	v_lshrrev_b32_e32 v4, 19, v5
	v_subrev_u32_e32 v10, 28, v9
	v_and_b32_e32 v4, 15, v4
	v_lshlrev_b32_sdwa v10, v10, v5 dst_sel:DWORD dst_unused:UNUSED_PAD src0_sel:DWORD src1_sel:WORD_1
	v_bfe_u32 v8, v5, 19, 4
	v_sub_u32_e32 v9, 29, v9
	v_and_b32_e32 v10, 7, v10
	v_cmp_eq_u16_e32 vcc, 0, v4
	v_cndmask_b32_e32 v0, v0, v10, vcc
	v_cndmask_b32_e32 v4, v8, v9, vcc
	v_lshlrev_b32_e32 v8, 8, v5
	v_mov_b32_e32 v9, 0x3b800000
	v_lshlrev_b32_e32 v0, 20, v0
	v_and_b32_e32 v8, 0x80000000, v8
	v_lshl_add_u32 v4, v4, 23, v9
	v_or3_b32 v0, v8, v4, v0
.LBB50_1972:
	s_or_b64 exec, exec, s[6:7]
	s_movk_i32 s4, 0xff
	v_and_b32_sdwa v4, v1, s4 dst_sel:DWORD dst_unused:UNUSED_PAD src0_sel:WORD_1 src1_sel:DWORD
	s_movk_i32 s4, 0x7f
	v_cmp_lt_i16_e32 vcc, s4, v4
	s_mov_b64 s[4:5], 0
                                        ; implicit-def: $sgpr10
	s_and_saveexec_b64 s[6:7], vcc
	s_xor_b64 s[6:7], exec, s[6:7]
	s_cbranch_execnz .LBB50_4021
; %bb.1973:
	s_or_saveexec_b64 s[6:7], s[6:7]
	v_mov_b32_e32 v8, s10
	s_xor_b64 exec, exec, s[6:7]
	s_cbranch_execnz .LBB50_4024
.LBB50_1974:
	s_or_b64 exec, exec, s[6:7]
	s_and_saveexec_b64 s[6:7], s[4:5]
	s_cbranch_execz .LBB50_1976
.LBB50_1975:
	v_bfe_u32 v4, v1, 16, 3
	v_ffbh_u32_e32 v10, v4
	v_min_u32_e32 v10, 32, v10
	v_lshrrev_b32_e32 v8, 19, v1
	v_subrev_u32_e32 v11, 28, v10
	v_and_b32_e32 v8, 15, v8
	v_lshlrev_b32_sdwa v11, v11, v1 dst_sel:DWORD dst_unused:UNUSED_PAD src0_sel:DWORD src1_sel:WORD_1
	v_bfe_u32 v9, v1, 19, 4
	v_sub_u32_e32 v10, 29, v10
	v_and_b32_e32 v11, 7, v11
	v_cmp_eq_u16_e32 vcc, 0, v8
	v_cndmask_b32_e32 v4, v4, v11, vcc
	v_cndmask_b32_e32 v8, v9, v10, vcc
	v_lshlrev_b32_e32 v9, 8, v1
	v_mov_b32_e32 v10, 0x3b800000
	v_lshlrev_b32_e32 v4, 20, v4
	v_and_b32_e32 v9, 0x80000000, v9
	v_lshl_add_u32 v8, v8, 23, v10
	v_or3_b32 v8, v9, v8, v4
.LBB50_1976:
	s_or_b64 exec, exec, s[6:7]
	s_nop 0
	v_mfma_f32_16x16x4f32 a[0:3], v0, v8, a[0:3]
	s_movk_i32 s4, 0x7f
	v_cmp_gt_i16_sdwa s[6:7], v5, s4 src0_sel:BYTE_3 src1_sel:DWORD
	s_mov_b64 s[4:5], 0
                                        ; implicit-def: $sgpr10
	s_and_saveexec_b64 s[8:9], s[6:7]
	s_xor_b64 s[6:7], exec, s[8:9]
	s_cbranch_execnz .LBB50_4025
; %bb.1977:
	s_or_saveexec_b64 s[6:7], s[6:7]
	v_mov_b32_e32 v0, s10
	s_xor_b64 exec, exec, s[6:7]
	s_cbranch_execnz .LBB50_4028
.LBB50_1978:
	s_or_b64 exec, exec, s[6:7]
	s_and_saveexec_b64 s[6:7], s[4:5]
	s_cbranch_execz .LBB50_1980
.LBB50_1979:
	v_bfe_u32 v0, v5, 24, 3
	v_ffbh_u32_e32 v10, v0
	v_min_u32_e32 v10, 32, v10
	v_lshrrev_b32_e32 v8, 27, v5
	v_subrev_u32_e32 v11, 28, v10
	v_and_b32_e32 v4, 0x80000000, v5
	v_and_b32_e32 v8, 15, v8
	v_bfe_u32 v9, v5, 27, 4
	v_lshlrev_b32_sdwa v5, v11, v5 dst_sel:DWORD dst_unused:UNUSED_PAD src0_sel:DWORD src1_sel:BYTE_3
	v_sub_u32_e32 v10, 29, v10
	v_and_b32_e32 v5, 7, v5
	v_cmp_eq_u16_e32 vcc, 0, v8
	v_cndmask_b32_e32 v0, v0, v5, vcc
	v_cndmask_b32_e32 v5, v9, v10, vcc
	v_mov_b32_e32 v8, 0x3b800000
	v_lshlrev_b32_e32 v0, 20, v0
	v_lshl_add_u32 v5, v5, 23, v8
	v_or3_b32 v0, v4, v5, v0
.LBB50_1980:
	s_or_b64 exec, exec, s[6:7]
	s_movk_i32 s4, 0x7f
	v_cmp_gt_i16_sdwa s[6:7], v1, s4 src0_sel:BYTE_3 src1_sel:DWORD
	s_mov_b64 s[4:5], 0
                                        ; implicit-def: $sgpr10
	s_and_saveexec_b64 s[8:9], s[6:7]
	s_xor_b64 s[6:7], exec, s[8:9]
	s_cbranch_execnz .LBB50_4029
; %bb.1981:
	s_or_saveexec_b64 s[6:7], s[6:7]
	v_mov_b32_e32 v4, s10
	s_xor_b64 exec, exec, s[6:7]
	s_cbranch_execnz .LBB50_4032
.LBB50_1982:
	s_or_b64 exec, exec, s[6:7]
	s_and_saveexec_b64 s[6:7], s[4:5]
	s_cbranch_execz .LBB50_1984
.LBB50_1983:
	v_bfe_u32 v4, v1, 24, 3
	v_ffbh_u32_e32 v10, v4
	v_min_u32_e32 v10, 32, v10
	v_lshrrev_b32_e32 v8, 27, v1
	v_subrev_u32_e32 v11, 28, v10
	v_and_b32_e32 v5, 0x80000000, v1
	v_and_b32_e32 v8, 15, v8
	v_bfe_u32 v9, v1, 27, 4
	v_lshlrev_b32_sdwa v1, v11, v1 dst_sel:DWORD dst_unused:UNUSED_PAD src0_sel:DWORD src1_sel:BYTE_3
	v_sub_u32_e32 v10, 29, v10
	v_and_b32_e32 v1, 7, v1
	v_cmp_eq_u16_e32 vcc, 0, v8
	v_cndmask_b32_e32 v1, v4, v1, vcc
	v_cndmask_b32_e32 v4, v9, v10, vcc
	v_mov_b32_e32 v8, 0x3b800000
	v_lshlrev_b32_e32 v1, 20, v1
	v_lshl_add_u32 v4, v4, 23, v8
	v_or3_b32 v4, v5, v4, v1
.LBB50_1984:
	s_or_b64 exec, exec, s[6:7]
	s_nop 0
	v_mfma_f32_16x16x4f32 a[0:3], v0, v4, a[0:3]
	s_movk_i32 s4, 0x7f
	v_cmp_gt_i16_sdwa s[6:7], v6, s4 src0_sel:BYTE_0 src1_sel:DWORD
	s_mov_b64 s[4:5], 0
                                        ; implicit-def: $sgpr10
	s_and_saveexec_b64 s[8:9], s[6:7]
	s_xor_b64 s[6:7], exec, s[8:9]
	s_cbranch_execnz .LBB50_4033
; %bb.1985:
	s_or_saveexec_b64 s[6:7], s[6:7]
	v_mov_b32_e32 v0, s10
	s_xor_b64 exec, exec, s[6:7]
	s_cbranch_execnz .LBB50_4036
.LBB50_1986:
	s_or_b64 exec, exec, s[6:7]
	s_and_saveexec_b64 s[6:7], s[4:5]
	s_cbranch_execz .LBB50_1988
.LBB50_1987:
	v_and_b32_e32 v0, 7, v6
	v_ffbh_u32_e32 v4, v0
	v_min_u32_e32 v4, 32, v4
	v_lshrrev_b16_e32 v1, 3, v6
	v_subrev_u32_e32 v5, 28, v4
	v_and_b32_e32 v1, 15, v1
	v_lshlrev_b32_e32 v5, v5, v6
	v_sub_u32_e32 v4, 29, v4
	v_and_b32_e32 v5, 7, v5
	v_cmp_eq_u16_e32 vcc, 0, v1
	v_cndmask_b32_e32 v0, v0, v5, vcc
	v_cndmask_b32_e32 v1, v1, v4, vcc
	v_lshlrev_b32_e32 v4, 24, v6
	v_mov_b32_e32 v5, 0x3b800000
	v_lshlrev_b32_e32 v0, 20, v0
	v_and_b32_e32 v4, 0x80000000, v4
	v_lshl_add_u32 v1, v1, 23, v5
	v_or3_b32 v0, v4, v1, v0
.LBB50_1988:
	s_or_b64 exec, exec, s[6:7]
	s_movk_i32 s4, 0x7f
	v_cmp_gt_i16_sdwa s[6:7], v2, s4 src0_sel:BYTE_0 src1_sel:DWORD
	s_mov_b64 s[4:5], 0
                                        ; implicit-def: $sgpr10
	s_and_saveexec_b64 s[8:9], s[6:7]
	s_xor_b64 s[6:7], exec, s[8:9]
	s_cbranch_execnz .LBB50_4037
; %bb.1989:
	s_or_saveexec_b64 s[6:7], s[6:7]
	v_mov_b32_e32 v1, s10
	s_xor_b64 exec, exec, s[6:7]
	s_cbranch_execnz .LBB50_4040
.LBB50_1990:
	s_or_b64 exec, exec, s[6:7]
	s_and_saveexec_b64 s[6:7], s[4:5]
	s_cbranch_execz .LBB50_1992
.LBB50_1991:
	v_and_b32_e32 v1, 7, v2
	v_ffbh_u32_e32 v5, v1
	v_min_u32_e32 v5, 32, v5
	v_lshrrev_b16_e32 v4, 3, v2
	v_subrev_u32_e32 v8, 28, v5
	v_and_b32_e32 v4, 15, v4
	v_lshlrev_b32_e32 v8, v8, v2
	v_sub_u32_e32 v5, 29, v5
	v_and_b32_e32 v8, 7, v8
	v_cmp_eq_u16_e32 vcc, 0, v4
	v_cndmask_b32_e32 v1, v1, v8, vcc
	v_cndmask_b32_e32 v4, v4, v5, vcc
	v_lshlrev_b32_e32 v5, 24, v2
	v_mov_b32_e32 v8, 0x3b800000
	v_lshlrev_b32_e32 v1, 20, v1
	v_and_b32_e32 v5, 0x80000000, v5
	v_lshl_add_u32 v4, v4, 23, v8
	v_or3_b32 v1, v5, v4, v1
.LBB50_1992:
	s_or_b64 exec, exec, s[6:7]
	s_nop 0
	v_mfma_f32_16x16x4f32 a[0:3], v0, v1, a[0:3]
	v_lshrrev_b32_e32 v1, 8, v6
	s_movk_i32 s4, 0x7f
	v_cmp_gt_i16_sdwa s[6:7], v1, s4 src0_sel:BYTE_0 src1_sel:DWORD
	s_mov_b64 s[4:5], 0
                                        ; implicit-def: $sgpr10
	s_and_saveexec_b64 s[8:9], s[6:7]
	s_xor_b64 s[6:7], exec, s[8:9]
	s_cbranch_execnz .LBB50_4041
; %bb.1993:
	s_or_saveexec_b64 s[6:7], s[6:7]
	v_mov_b32_e32 v0, s10
	s_xor_b64 exec, exec, s[6:7]
	s_cbranch_execnz .LBB50_4044
.LBB50_1994:
	s_or_b64 exec, exec, s[6:7]
	s_and_saveexec_b64 s[6:7], s[4:5]
	s_cbranch_execz .LBB50_1996
.LBB50_1995:
	v_bfe_u32 v0, v6, 8, 3
	v_ffbh_u32_e32 v5, v0
	v_min_u32_e32 v5, 32, v5
	v_lshrrev_b16_e32 v4, 3, v1
	v_subrev_u32_e32 v8, 28, v5
	v_and_b32_e32 v4, 15, v4
	v_lshlrev_b32_e32 v1, v8, v1
	v_sub_u32_e32 v5, 29, v5
	v_and_b32_e32 v1, 7, v1
	v_cmp_eq_u16_e32 vcc, 0, v4
	v_cndmask_b32_e32 v0, v0, v1, vcc
	v_cndmask_b32_e32 v1, v4, v5, vcc
	v_lshlrev_b32_e32 v4, 16, v6
	v_mov_b32_e32 v5, 0x3b800000
	v_lshlrev_b32_e32 v0, 20, v0
	v_and_b32_e32 v4, 0x80000000, v4
	v_lshl_add_u32 v1, v1, 23, v5
	v_or3_b32 v0, v4, v1, v0
.LBB50_1996:
	s_or_b64 exec, exec, s[6:7]
	v_lshrrev_b32_e32 v1, 8, v2
	s_movk_i32 s4, 0x7f
	v_cmp_gt_i16_sdwa s[6:7], v1, s4 src0_sel:BYTE_0 src1_sel:DWORD
	s_mov_b64 s[4:5], 0
                                        ; implicit-def: $sgpr10
	s_and_saveexec_b64 s[8:9], s[6:7]
	s_xor_b64 s[6:7], exec, s[8:9]
	s_cbranch_execnz .LBB50_4045
; %bb.1997:
	s_or_saveexec_b64 s[6:7], s[6:7]
	v_mov_b32_e32 v4, s10
	s_xor_b64 exec, exec, s[6:7]
	s_cbranch_execnz .LBB50_4048
.LBB50_1998:
	s_or_b64 exec, exec, s[6:7]
	s_and_saveexec_b64 s[6:7], s[4:5]
	s_cbranch_execz .LBB50_2000
.LBB50_1999:
	v_bfe_u32 v4, v2, 8, 3
	v_ffbh_u32_e32 v8, v4
	v_min_u32_e32 v8, 32, v8
	v_lshrrev_b16_e32 v5, 3, v1
	v_subrev_u32_e32 v9, 28, v8
	v_and_b32_e32 v5, 15, v5
	v_lshlrev_b32_e32 v1, v9, v1
	v_sub_u32_e32 v8, 29, v8
	v_and_b32_e32 v1, 7, v1
	v_cmp_eq_u16_e32 vcc, 0, v5
	v_cndmask_b32_e32 v1, v4, v1, vcc
	v_cndmask_b32_e32 v4, v5, v8, vcc
	v_lshlrev_b32_e32 v5, 16, v2
	v_mov_b32_e32 v8, 0x3b800000
	v_lshlrev_b32_e32 v1, 20, v1
	v_and_b32_e32 v5, 0x80000000, v5
	v_lshl_add_u32 v4, v4, 23, v8
	v_or3_b32 v4, v5, v4, v1
.LBB50_2000:
	s_or_b64 exec, exec, s[6:7]
	s_nop 0
	v_mfma_f32_16x16x4f32 a[0:3], v0, v4, a[0:3]
	s_movk_i32 s4, 0xff
	v_and_b32_sdwa v1, v6, s4 dst_sel:DWORD dst_unused:UNUSED_PAD src0_sel:WORD_1 src1_sel:DWORD
	s_movk_i32 s4, 0x7f
	v_cmp_lt_i16_e32 vcc, s4, v1
	s_mov_b64 s[4:5], 0
                                        ; implicit-def: $sgpr10
	s_and_saveexec_b64 s[6:7], vcc
	s_xor_b64 s[6:7], exec, s[6:7]
	s_cbranch_execnz .LBB50_4049
; %bb.2001:
	s_or_saveexec_b64 s[6:7], s[6:7]
	v_mov_b32_e32 v0, s10
	s_xor_b64 exec, exec, s[6:7]
	s_cbranch_execnz .LBB50_4052
.LBB50_2002:
	s_or_b64 exec, exec, s[6:7]
	s_and_saveexec_b64 s[6:7], s[4:5]
	s_cbranch_execz .LBB50_2004
.LBB50_2003:
	v_bfe_u32 v0, v6, 16, 3
	v_ffbh_u32_e32 v5, v0
	v_min_u32_e32 v5, 32, v5
	v_lshrrev_b32_e32 v1, 19, v6
	v_subrev_u32_e32 v8, 28, v5
	v_and_b32_e32 v1, 15, v1
	v_lshlrev_b32_sdwa v8, v8, v6 dst_sel:DWORD dst_unused:UNUSED_PAD src0_sel:DWORD src1_sel:WORD_1
	v_bfe_u32 v4, v6, 19, 4
	v_sub_u32_e32 v5, 29, v5
	v_and_b32_e32 v8, 7, v8
	v_cmp_eq_u16_e32 vcc, 0, v1
	v_cndmask_b32_e32 v0, v0, v8, vcc
	v_cndmask_b32_e32 v1, v4, v5, vcc
	v_lshlrev_b32_e32 v4, 8, v6
	v_mov_b32_e32 v5, 0x3b800000
	v_lshlrev_b32_e32 v0, 20, v0
	v_and_b32_e32 v4, 0x80000000, v4
	v_lshl_add_u32 v1, v1, 23, v5
	v_or3_b32 v0, v4, v1, v0
.LBB50_2004:
	s_or_b64 exec, exec, s[6:7]
	s_movk_i32 s4, 0xff
	v_and_b32_sdwa v1, v2, s4 dst_sel:DWORD dst_unused:UNUSED_PAD src0_sel:WORD_1 src1_sel:DWORD
	s_movk_i32 s4, 0x7f
	v_cmp_lt_i16_e32 vcc, s4, v1
	s_mov_b64 s[4:5], 0
                                        ; implicit-def: $sgpr10
	s_and_saveexec_b64 s[6:7], vcc
	s_xor_b64 s[6:7], exec, s[6:7]
	s_cbranch_execnz .LBB50_4053
; %bb.2005:
	s_or_saveexec_b64 s[6:7], s[6:7]
	v_mov_b32_e32 v4, s10
	s_xor_b64 exec, exec, s[6:7]
	s_cbranch_execnz .LBB50_4056
.LBB50_2006:
	s_or_b64 exec, exec, s[6:7]
	s_and_saveexec_b64 s[6:7], s[4:5]
	s_cbranch_execz .LBB50_2008
.LBB50_2007:
	v_bfe_u32 v1, v2, 16, 3
	v_ffbh_u32_e32 v8, v1
	v_min_u32_e32 v8, 32, v8
	v_lshrrev_b32_e32 v4, 19, v2
	v_subrev_u32_e32 v9, 28, v8
	v_and_b32_e32 v4, 15, v4
	v_lshlrev_b32_sdwa v9, v9, v2 dst_sel:DWORD dst_unused:UNUSED_PAD src0_sel:DWORD src1_sel:WORD_1
	v_bfe_u32 v5, v2, 19, 4
	v_sub_u32_e32 v8, 29, v8
	v_and_b32_e32 v9, 7, v9
	v_cmp_eq_u16_e32 vcc, 0, v4
	v_cndmask_b32_e32 v1, v1, v9, vcc
	v_cndmask_b32_e32 v4, v5, v8, vcc
	v_lshlrev_b32_e32 v5, 8, v2
	v_mov_b32_e32 v8, 0x3b800000
	v_lshlrev_b32_e32 v1, 20, v1
	v_and_b32_e32 v5, 0x80000000, v5
	v_lshl_add_u32 v4, v4, 23, v8
	v_or3_b32 v4, v5, v4, v1
.LBB50_2008:
	s_or_b64 exec, exec, s[6:7]
	s_nop 0
	v_mfma_f32_16x16x4f32 a[0:3], v0, v4, a[0:3]
	s_movk_i32 s4, 0x7f
	v_cmp_gt_i16_sdwa s[6:7], v6, s4 src0_sel:BYTE_3 src1_sel:DWORD
	s_mov_b64 s[4:5], 0
                                        ; implicit-def: $sgpr10
	s_and_saveexec_b64 s[8:9], s[6:7]
	s_xor_b64 s[6:7], exec, s[8:9]
	s_cbranch_execnz .LBB50_4057
; %bb.2009:
	s_or_saveexec_b64 s[6:7], s[6:7]
	v_mov_b32_e32 v0, s10
	s_xor_b64 exec, exec, s[6:7]
	s_cbranch_execnz .LBB50_4060
.LBB50_2010:
	s_or_b64 exec, exec, s[6:7]
	s_and_saveexec_b64 s[6:7], s[4:5]
	s_cbranch_execz .LBB50_2012
.LBB50_2011:
	v_bfe_u32 v0, v6, 24, 3
	v_ffbh_u32_e32 v8, v0
	v_min_u32_e32 v8, 32, v8
	v_lshrrev_b32_e32 v4, 27, v6
	v_subrev_u32_e32 v9, 28, v8
	v_and_b32_e32 v1, 0x80000000, v6
	v_and_b32_e32 v4, 15, v4
	v_bfe_u32 v5, v6, 27, 4
	v_lshlrev_b32_sdwa v6, v9, v6 dst_sel:DWORD dst_unused:UNUSED_PAD src0_sel:DWORD src1_sel:BYTE_3
	v_sub_u32_e32 v8, 29, v8
	v_and_b32_e32 v6, 7, v6
	v_cmp_eq_u16_e32 vcc, 0, v4
	v_cndmask_b32_e32 v0, v0, v6, vcc
	v_cndmask_b32_e32 v4, v5, v8, vcc
	v_mov_b32_e32 v5, 0x3b800000
	v_lshlrev_b32_e32 v0, 20, v0
	v_lshl_add_u32 v4, v4, 23, v5
	v_or3_b32 v0, v1, v4, v0
.LBB50_2012:
	s_or_b64 exec, exec, s[6:7]
	s_movk_i32 s4, 0x7f
	v_cmp_gt_i16_sdwa s[6:7], v2, s4 src0_sel:BYTE_3 src1_sel:DWORD
	s_mov_b64 s[4:5], 0
                                        ; implicit-def: $sgpr10
	s_and_saveexec_b64 s[8:9], s[6:7]
	s_xor_b64 s[6:7], exec, s[8:9]
	s_cbranch_execnz .LBB50_4061
; %bb.2013:
	s_or_saveexec_b64 s[6:7], s[6:7]
	v_mov_b32_e32 v1, s10
	s_xor_b64 exec, exec, s[6:7]
	s_cbranch_execnz .LBB50_4064
.LBB50_2014:
	s_or_b64 exec, exec, s[6:7]
	s_and_saveexec_b64 s[6:7], s[4:5]
	s_cbranch_execz .LBB50_2016
.LBB50_2015:
	v_bfe_u32 v1, v2, 24, 3
	v_ffbh_u32_e32 v8, v1
	v_min_u32_e32 v8, 32, v8
	v_lshrrev_b32_e32 v5, 27, v2
	v_subrev_u32_e32 v9, 28, v8
	v_and_b32_e32 v4, 0x80000000, v2
	v_and_b32_e32 v5, 15, v5
	v_bfe_u32 v6, v2, 27, 4
	v_lshlrev_b32_sdwa v2, v9, v2 dst_sel:DWORD dst_unused:UNUSED_PAD src0_sel:DWORD src1_sel:BYTE_3
	v_sub_u32_e32 v8, 29, v8
	v_and_b32_e32 v2, 7, v2
	v_cmp_eq_u16_e32 vcc, 0, v5
	v_cndmask_b32_e32 v1, v1, v2, vcc
	v_cndmask_b32_e32 v2, v6, v8, vcc
	v_mov_b32_e32 v5, 0x3b800000
	v_lshlrev_b32_e32 v1, 20, v1
	v_lshl_add_u32 v2, v2, 23, v5
	v_or3_b32 v1, v4, v2, v1
.LBB50_2016:
	s_or_b64 exec, exec, s[6:7]
	s_nop 0
	v_mfma_f32_16x16x4f32 a[0:3], v0, v1, a[0:3]
	s_movk_i32 s4, 0x7f
	v_cmp_gt_i16_sdwa s[6:7], v7, s4 src0_sel:BYTE_0 src1_sel:DWORD
	s_mov_b64 s[4:5], 0
                                        ; implicit-def: $sgpr10
	s_and_saveexec_b64 s[8:9], s[6:7]
	s_xor_b64 s[6:7], exec, s[8:9]
	s_cbranch_execnz .LBB50_4065
; %bb.2017:
	s_or_saveexec_b64 s[6:7], s[6:7]
	v_mov_b32_e32 v0, s10
	s_xor_b64 exec, exec, s[6:7]
	s_cbranch_execnz .LBB50_4068
.LBB50_2018:
	s_or_b64 exec, exec, s[6:7]
	s_and_saveexec_b64 s[6:7], s[4:5]
	s_cbranch_execz .LBB50_2020
.LBB50_2019:
	v_mov_b32_e32 v0, 8
	v_and_b32_e32 v1, 7, v7
	v_lshrrev_b32_sdwa v0, v0, v7 dst_sel:BYTE_1 dst_unused:UNUSED_PAD src0_sel:DWORD src1_sel:DWORD
	v_ffbh_u32_e32 v2, v1
	v_or_b32_sdwa v0, v7, v0 dst_sel:DWORD dst_unused:UNUSED_PAD src0_sel:BYTE_0 src1_sel:DWORD
	v_min_u32_e32 v2, 32, v2
	v_lshrrev_b16_e32 v0, 3, v0
	v_subrev_u32_e32 v4, 28, v2
	v_and_b32_e32 v0, 15, v0
	v_lshlrev_b32_e32 v4, v4, v7
	v_sub_u32_e32 v2, 29, v2
	v_and_b32_e32 v4, 7, v4
	v_cmp_eq_u16_e32 vcc, 0, v0
	v_cndmask_b32_e32 v1, v1, v4, vcc
	v_cndmask_b32_e32 v0, v0, v2, vcc
	v_lshlrev_b32_e32 v2, 24, v7
	v_mov_b32_e32 v4, 0x3b800000
	v_lshlrev_b32_e32 v1, 20, v1
	v_and_b32_e32 v2, 0x80000000, v2
	v_lshl_add_u32 v0, v0, 23, v4
	v_or3_b32 v0, v2, v0, v1
.LBB50_2020:
	s_or_b64 exec, exec, s[6:7]
	s_movk_i32 s4, 0x7f
	v_cmp_gt_i16_sdwa s[6:7], v3, s4 src0_sel:BYTE_0 src1_sel:DWORD
	s_mov_b64 s[4:5], 0
                                        ; implicit-def: $sgpr10
	s_and_saveexec_b64 s[8:9], s[6:7]
	s_xor_b64 s[6:7], exec, s[8:9]
	s_cbranch_execnz .LBB50_4069
; %bb.2021:
	s_or_saveexec_b64 s[6:7], s[6:7]
	v_mov_b32_e32 v1, s10
	s_xor_b64 exec, exec, s[6:7]
	s_cbranch_execnz .LBB50_4072
.LBB50_2022:
	s_or_b64 exec, exec, s[6:7]
	s_and_saveexec_b64 s[6:7], s[4:5]
	s_cbranch_execz .LBB50_2024
.LBB50_2023:
	v_mov_b32_e32 v1, 8
	v_and_b32_e32 v2, 7, v3
	v_lshrrev_b32_sdwa v1, v1, v3 dst_sel:BYTE_1 dst_unused:UNUSED_PAD src0_sel:DWORD src1_sel:DWORD
	v_ffbh_u32_e32 v4, v2
	v_or_b32_sdwa v1, v3, v1 dst_sel:DWORD dst_unused:UNUSED_PAD src0_sel:BYTE_0 src1_sel:DWORD
	v_min_u32_e32 v4, 32, v4
	v_lshrrev_b16_e32 v1, 3, v1
	v_subrev_u32_e32 v5, 28, v4
	v_and_b32_e32 v1, 15, v1
	v_lshlrev_b32_e32 v5, v5, v3
	v_sub_u32_e32 v4, 29, v4
	v_and_b32_e32 v5, 7, v5
	v_cmp_eq_u16_e32 vcc, 0, v1
	v_cndmask_b32_e32 v2, v2, v5, vcc
	v_cndmask_b32_e32 v1, v1, v4, vcc
	v_lshlrev_b32_e32 v4, 24, v3
	v_mov_b32_e32 v5, 0x3b800000
	v_lshlrev_b32_e32 v2, 20, v2
	v_and_b32_e32 v4, 0x80000000, v4
	v_lshl_add_u32 v1, v1, 23, v5
	v_or3_b32 v1, v4, v1, v2
.LBB50_2024:
	s_or_b64 exec, exec, s[6:7]
	s_nop 0
	v_mfma_f32_16x16x4f32 a[0:3], v0, v1, a[0:3]
	v_lshrrev_b32_e32 v1, 8, v7
	s_movk_i32 s4, 0x7f
	v_cmp_gt_i16_sdwa s[6:7], v1, s4 src0_sel:BYTE_0 src1_sel:DWORD
	s_mov_b64 s[4:5], 0
                                        ; implicit-def: $sgpr10
	s_and_saveexec_b64 s[8:9], s[6:7]
	s_xor_b64 s[6:7], exec, s[8:9]
	s_cbranch_execnz .LBB50_4073
; %bb.2025:
	s_or_saveexec_b64 s[6:7], s[6:7]
	v_mov_b32_e32 v0, s10
	s_xor_b64 exec, exec, s[6:7]
	s_cbranch_execnz .LBB50_4076
.LBB50_2026:
	s_or_b64 exec, exec, s[6:7]
	s_and_saveexec_b64 s[6:7], s[4:5]
	s_cbranch_execz .LBB50_2028
.LBB50_2027:
	v_bfe_u32 v0, v7, 8, 3
	v_ffbh_u32_e32 v4, v0
	v_min_u32_e32 v4, 32, v4
	v_lshrrev_b16_e32 v2, 3, v1
	v_subrev_u32_e32 v5, 28, v4
	v_and_b32_e32 v2, 15, v2
	v_lshlrev_b32_e32 v1, v5, v1
	v_sub_u32_e32 v4, 29, v4
	v_and_b32_e32 v1, 7, v1
	v_cmp_eq_u16_e32 vcc, 0, v2
	v_cndmask_b32_e32 v0, v0, v1, vcc
	v_cndmask_b32_e32 v1, v2, v4, vcc
	v_lshlrev_b32_e32 v2, 16, v7
	v_mov_b32_e32 v4, 0x3b800000
	v_lshlrev_b32_e32 v0, 20, v0
	v_and_b32_e32 v2, 0x80000000, v2
	v_lshl_add_u32 v1, v1, 23, v4
	v_or3_b32 v0, v2, v1, v0
.LBB50_2028:
	s_or_b64 exec, exec, s[6:7]
	v_lshrrev_b32_e32 v1, 8, v3
	s_movk_i32 s4, 0x7f
	v_cmp_gt_i16_sdwa s[6:7], v1, s4 src0_sel:BYTE_0 src1_sel:DWORD
	s_mov_b64 s[4:5], 0
                                        ; implicit-def: $sgpr10
	s_and_saveexec_b64 s[8:9], s[6:7]
	s_xor_b64 s[6:7], exec, s[8:9]
	s_cbranch_execnz .LBB50_4077
; %bb.2029:
	s_or_saveexec_b64 s[6:7], s[6:7]
	v_mov_b32_e32 v2, s10
	s_xor_b64 exec, exec, s[6:7]
	s_cbranch_execnz .LBB50_4080
.LBB50_2030:
	s_or_b64 exec, exec, s[6:7]
	s_and_saveexec_b64 s[6:7], s[4:5]
	s_cbranch_execz .LBB50_2032
.LBB50_2031:
	v_bfe_u32 v2, v3, 8, 3
	v_ffbh_u32_e32 v5, v2
	v_min_u32_e32 v5, 32, v5
	v_lshrrev_b16_e32 v4, 3, v1
	v_subrev_u32_e32 v6, 28, v5
	v_and_b32_e32 v4, 15, v4
	v_lshlrev_b32_e32 v1, v6, v1
	v_sub_u32_e32 v5, 29, v5
	v_and_b32_e32 v1, 7, v1
	v_cmp_eq_u16_e32 vcc, 0, v4
	v_cndmask_b32_e32 v1, v2, v1, vcc
	v_cndmask_b32_e32 v2, v4, v5, vcc
	v_lshlrev_b32_e32 v4, 16, v3
	v_mov_b32_e32 v5, 0x3b800000
	v_lshlrev_b32_e32 v1, 20, v1
	v_and_b32_e32 v4, 0x80000000, v4
	v_lshl_add_u32 v2, v2, 23, v5
	v_or3_b32 v2, v4, v2, v1
.LBB50_2032:
	s_or_b64 exec, exec, s[6:7]
	s_nop 0
	v_mfma_f32_16x16x4f32 a[0:3], v0, v2, a[0:3]
	s_movk_i32 s4, 0xff
	v_and_b32_sdwa v1, v7, s4 dst_sel:DWORD dst_unused:UNUSED_PAD src0_sel:WORD_1 src1_sel:DWORD
	s_movk_i32 s4, 0x7f
	v_cmp_lt_i16_e32 vcc, s4, v1
	s_mov_b64 s[4:5], 0
                                        ; implicit-def: $sgpr10
	s_and_saveexec_b64 s[6:7], vcc
	s_xor_b64 s[6:7], exec, s[6:7]
	s_cbranch_execnz .LBB50_4081
; %bb.2033:
	s_or_saveexec_b64 s[6:7], s[6:7]
	v_mov_b32_e32 v0, s10
	s_xor_b64 exec, exec, s[6:7]
	s_cbranch_execnz .LBB50_4084
.LBB50_2034:
	s_or_b64 exec, exec, s[6:7]
	s_and_saveexec_b64 s[6:7], s[4:5]
	s_cbranch_execz .LBB50_2036
.LBB50_2035:
	v_bfe_u32 v0, v7, 16, 3
	v_ffbh_u32_e32 v4, v0
	v_min_u32_e32 v4, 32, v4
	v_lshrrev_b32_e32 v1, 19, v7
	v_subrev_u32_e32 v5, 28, v4
	v_and_b32_e32 v1, 15, v1
	v_lshlrev_b32_sdwa v5, v5, v7 dst_sel:DWORD dst_unused:UNUSED_PAD src0_sel:DWORD src1_sel:WORD_1
	v_bfe_u32 v2, v7, 19, 4
	v_sub_u32_e32 v4, 29, v4
	v_and_b32_e32 v5, 7, v5
	v_cmp_eq_u16_e32 vcc, 0, v1
	v_cndmask_b32_e32 v0, v0, v5, vcc
	v_cndmask_b32_e32 v1, v2, v4, vcc
	v_lshlrev_b32_e32 v2, 8, v7
	v_mov_b32_e32 v4, 0x3b800000
	v_lshlrev_b32_e32 v0, 20, v0
	v_and_b32_e32 v2, 0x80000000, v2
	v_lshl_add_u32 v1, v1, 23, v4
	v_or3_b32 v0, v2, v1, v0
.LBB50_2036:
	s_or_b64 exec, exec, s[6:7]
	s_movk_i32 s4, 0xff
	v_and_b32_sdwa v1, v3, s4 dst_sel:DWORD dst_unused:UNUSED_PAD src0_sel:WORD_1 src1_sel:DWORD
	s_movk_i32 s4, 0x7f
	v_cmp_lt_i16_e32 vcc, s4, v1
	s_mov_b64 s[4:5], 0
                                        ; implicit-def: $sgpr10
	s_and_saveexec_b64 s[6:7], vcc
	s_xor_b64 s[6:7], exec, s[6:7]
	s_cbranch_execnz .LBB50_4085
; %bb.2037:
	s_or_saveexec_b64 s[6:7], s[6:7]
	v_mov_b32_e32 v2, s10
	s_xor_b64 exec, exec, s[6:7]
	s_cbranch_execnz .LBB50_4088
.LBB50_2038:
	s_or_b64 exec, exec, s[6:7]
	s_and_saveexec_b64 s[6:7], s[4:5]
	s_cbranch_execz .LBB50_2040
.LBB50_2039:
	v_bfe_u32 v1, v3, 16, 3
	v_ffbh_u32_e32 v5, v1
	v_min_u32_e32 v5, 32, v5
	v_lshrrev_b32_e32 v2, 19, v3
	v_subrev_u32_e32 v6, 28, v5
	v_and_b32_e32 v2, 15, v2
	v_lshlrev_b32_sdwa v6, v6, v3 dst_sel:DWORD dst_unused:UNUSED_PAD src0_sel:DWORD src1_sel:WORD_1
	v_bfe_u32 v4, v3, 19, 4
	v_sub_u32_e32 v5, 29, v5
	v_and_b32_e32 v6, 7, v6
	v_cmp_eq_u16_e32 vcc, 0, v2
	v_cndmask_b32_e32 v1, v1, v6, vcc
	v_cndmask_b32_e32 v2, v4, v5, vcc
	v_lshlrev_b32_e32 v4, 8, v3
	v_mov_b32_e32 v5, 0x3b800000
	v_lshlrev_b32_e32 v1, 20, v1
	v_and_b32_e32 v4, 0x80000000, v4
	v_lshl_add_u32 v2, v2, 23, v5
	v_or3_b32 v2, v4, v2, v1
.LBB50_2040:
	s_or_b64 exec, exec, s[6:7]
	s_nop 0
	v_mfma_f32_16x16x4f32 a[0:3], v0, v2, a[0:3]
	s_movk_i32 s4, 0x7f
	v_cmp_gt_i16_sdwa s[6:7], v7, s4 src0_sel:BYTE_3 src1_sel:DWORD
	s_mov_b64 s[4:5], 0
                                        ; implicit-def: $sgpr10
	s_and_saveexec_b64 s[8:9], s[6:7]
	s_xor_b64 s[6:7], exec, s[8:9]
	s_cbranch_execnz .LBB50_4089
; %bb.2041:
	s_or_saveexec_b64 s[6:7], s[6:7]
	v_mov_b32_e32 v0, s10
	s_xor_b64 exec, exec, s[6:7]
	s_cbranch_execnz .LBB50_4092
.LBB50_2042:
	s_or_b64 exec, exec, s[6:7]
	s_and_saveexec_b64 s[6:7], s[4:5]
	s_cbranch_execz .LBB50_2044
.LBB50_2043:
	v_bfe_u32 v0, v7, 24, 3
	v_ffbh_u32_e32 v5, v0
	v_min_u32_e32 v5, 32, v5
	v_lshrrev_b32_e32 v2, 27, v7
	v_subrev_u32_e32 v6, 28, v5
	v_and_b32_e32 v2, 15, v2
	v_lshlrev_b32_sdwa v6, v6, v7 dst_sel:DWORD dst_unused:UNUSED_PAD src0_sel:DWORD src1_sel:BYTE_3
	v_bfe_u32 v4, v7, 27, 4
	v_sub_u32_e32 v5, 29, v5
	v_and_b32_e32 v6, 7, v6
	v_cmp_eq_u16_e32 vcc, 0, v2
	v_cndmask_b32_e32 v0, v0, v6, vcc
	v_cndmask_b32_e32 v2, v4, v5, vcc
	v_mov_b32_e32 v4, 0x3b800000
	v_and_b32_e32 v1, 0x80000000, v7
	v_lshlrev_b32_e32 v0, 20, v0
	v_lshl_add_u32 v2, v2, 23, v4
	v_or3_b32 v0, v1, v2, v0
.LBB50_2044:
	s_or_b64 exec, exec, s[6:7]
	s_movk_i32 s4, 0x7f
	v_cmp_gt_i16_sdwa s[6:7], v3, s4 src0_sel:BYTE_3 src1_sel:DWORD
	s_mov_b64 s[4:5], 0
                                        ; implicit-def: $sgpr10
	s_and_saveexec_b64 s[8:9], s[6:7]
	s_xor_b64 s[6:7], exec, s[8:9]
	s_cbranch_execnz .LBB50_4093
; %bb.2045:
	s_or_saveexec_b64 s[6:7], s[6:7]
	v_mov_b32_e32 v1, s10
	s_xor_b64 exec, exec, s[6:7]
	s_cbranch_execnz .LBB50_4096
.LBB50_2046:
	s_or_b64 exec, exec, s[6:7]
	s_and_saveexec_b64 s[6:7], s[4:5]
	s_cbranch_execz .LBB50_2048
.LBB50_2047:
	v_bfe_u32 v1, v3, 24, 3
	v_ffbh_u32_e32 v6, v1
	v_min_u32_e32 v6, 32, v6
	v_lshrrev_b32_e32 v4, 27, v3
	v_subrev_u32_e32 v7, 28, v6
	v_and_b32_e32 v2, 0x80000000, v3
	v_and_b32_e32 v4, 15, v4
	v_bfe_u32 v5, v3, 27, 4
	v_lshlrev_b32_sdwa v3, v7, v3 dst_sel:DWORD dst_unused:UNUSED_PAD src0_sel:DWORD src1_sel:BYTE_3
	v_sub_u32_e32 v6, 29, v6
	v_and_b32_e32 v3, 7, v3
	v_cmp_eq_u16_e32 vcc, 0, v4
	v_cndmask_b32_e32 v1, v1, v3, vcc
	v_cndmask_b32_e32 v3, v5, v6, vcc
	v_mov_b32_e32 v4, 0x3b800000
	v_lshlrev_b32_e32 v1, 20, v1
	v_lshl_add_u32 v3, v3, 23, v4
	v_or3_b32 v1, v2, v3, v1
.LBB50_2048:
	s_or_b64 exec, exec, s[6:7]
	s_nop 0
	v_mfma_f32_16x16x4f32 a[0:3], v0, v1, a[0:3]
	s_nop 7
	s_nop 2
	flat_store_dwordx4 v[16:17], a[0:3] offset:880
	s_waitcnt vmcnt(0) lgkmcnt(0)
	s_setpc_b64 s[30:31]
.LBB50_2049:
	s_movk_i32 s4, 0x80
	v_cmp_eq_u16_sdwa s[12:13], v14, s4 src0_sel:BYTE_0 src1_sel:DWORD
	s_mov_b64 s[4:5], -1
                                        ; implicit-def: $sgpr10
	s_and_saveexec_b64 s[8:9], s[12:13]
; %bb.2050:
	s_mov_b32 s10, 0x7f800001
	s_xor_b64 s[4:5], exec, -1
; %bb.2051:
	s_or_b64 exec, exec, s[8:9]
	s_and_b64 s[4:5], s[4:5], exec
	s_or_saveexec_b64 s[6:7], s[6:7]
	v_mov_b32_e32 v20, s10
	s_xor_b64 exec, exec, s[6:7]
	s_cbranch_execz .LBB50_2
.LBB50_2052:
	v_mov_b32_e32 v20, 0
	v_cmp_ne_u16_sdwa s[8:9], v14, v20 src0_sel:BYTE_0 src1_sel:DWORD
	s_andn2_b64 s[4:5], s[4:5], exec
	s_and_b64 s[8:9], s[8:9], exec
	s_or_b64 s[4:5], s[4:5], s[8:9]
	s_or_b64 exec, exec, s[6:7]
	s_and_saveexec_b64 s[6:7], s[4:5]
	s_cbranch_execnz .LBB50_3
	s_branch .LBB50_4
.LBB50_2053:
	s_movk_i32 s4, 0x80
	v_cmp_eq_u16_sdwa s[12:13], v10, s4 src0_sel:BYTE_0 src1_sel:DWORD
	s_mov_b64 s[4:5], -1
                                        ; implicit-def: $sgpr10
	s_and_saveexec_b64 s[8:9], s[12:13]
; %bb.2054:
	s_mov_b32 s10, 0x7f800001
	s_xor_b64 s[4:5], exec, -1
; %bb.2055:
	s_or_b64 exec, exec, s[8:9]
	s_and_b64 s[4:5], s[4:5], exec
	s_or_saveexec_b64 s[6:7], s[6:7]
	v_mov_b32_e32 v21, s10
	s_xor_b64 exec, exec, s[6:7]
	s_cbranch_execz .LBB50_6
.LBB50_2056:
	v_mov_b32_e32 v21, 0
	v_cmp_ne_u16_sdwa s[8:9], v10, v21 src0_sel:BYTE_0 src1_sel:DWORD
	s_andn2_b64 s[4:5], s[4:5], exec
	s_and_b64 s[8:9], s[8:9], exec
	s_or_b64 s[4:5], s[4:5], s[8:9]
	s_or_b64 exec, exec, s[6:7]
	s_and_saveexec_b64 s[6:7], s[4:5]
	s_cbranch_execnz .LBB50_7
	s_branch .LBB50_8
.LBB50_2057:
	s_movk_i32 s4, 0x80
	v_cmp_eq_u16_sdwa s[12:13], v21, s4 src0_sel:BYTE_0 src1_sel:DWORD
	s_mov_b64 s[4:5], -1
                                        ; implicit-def: $sgpr10
	s_and_saveexec_b64 s[8:9], s[12:13]
; %bb.2058:
	s_mov_b32 s10, 0x7f800001
	s_xor_b64 s[4:5], exec, -1
; %bb.2059:
	s_or_b64 exec, exec, s[8:9]
	s_and_b64 s[4:5], s[4:5], exec
	s_or_saveexec_b64 s[6:7], s[6:7]
	v_mov_b32_e32 v20, s10
	s_xor_b64 exec, exec, s[6:7]
	s_cbranch_execz .LBB50_10
.LBB50_2060:
	v_mov_b32_e32 v20, 0
	v_cmp_ne_u16_sdwa s[8:9], v21, v20 src0_sel:BYTE_0 src1_sel:DWORD
	s_andn2_b64 s[4:5], s[4:5], exec
	s_and_b64 s[8:9], s[8:9], exec
	s_or_b64 s[4:5], s[4:5], s[8:9]
	s_or_b64 exec, exec, s[6:7]
	s_and_saveexec_b64 s[6:7], s[4:5]
	s_cbranch_execnz .LBB50_11
	s_branch .LBB50_12
.LBB50_2061:
	s_movk_i32 s4, 0x80
	v_cmp_eq_u16_sdwa s[12:13], v21, s4 src0_sel:BYTE_0 src1_sel:DWORD
	s_mov_b64 s[4:5], -1
                                        ; implicit-def: $sgpr10
	s_and_saveexec_b64 s[8:9], s[12:13]
; %bb.2062:
	s_mov_b32 s10, 0x7f800001
	s_xor_b64 s[4:5], exec, -1
; %bb.2063:
	s_or_b64 exec, exec, s[8:9]
	s_and_b64 s[4:5], s[4:5], exec
	s_or_saveexec_b64 s[6:7], s[6:7]
	v_mov_b32_e32 v22, s10
	s_xor_b64 exec, exec, s[6:7]
	s_cbranch_execz .LBB50_14
.LBB50_2064:
	v_mov_b32_e32 v22, 0
	v_cmp_ne_u16_sdwa s[8:9], v21, v22 src0_sel:BYTE_0 src1_sel:DWORD
	s_andn2_b64 s[4:5], s[4:5], exec
	s_and_b64 s[8:9], s[8:9], exec
	s_or_b64 s[4:5], s[4:5], s[8:9]
	s_or_b64 exec, exec, s[6:7]
	s_and_saveexec_b64 s[6:7], s[4:5]
	s_cbranch_execnz .LBB50_15
	s_branch .LBB50_16
.LBB50_2065:
	s_movk_i32 s4, 0x80
	v_cmp_eq_u16_e32 vcc, s4, v21
	s_mov_b64 s[4:5], -1
                                        ; implicit-def: $sgpr10
	s_and_saveexec_b64 s[8:9], vcc
; %bb.2066:
	s_mov_b32 s10, 0x7f800001
	s_xor_b64 s[4:5], exec, -1
; %bb.2067:
	s_or_b64 exec, exec, s[8:9]
	s_and_b64 s[4:5], s[4:5], exec
                                        ; implicit-def: $vgpr21
	s_or_saveexec_b64 s[6:7], s[6:7]
	v_mov_b32_e32 v20, s10
	s_xor_b64 exec, exec, s[6:7]
	s_cbranch_execz .LBB50_18
.LBB50_2068:
	v_cmp_ne_u16_e32 vcc, 0, v21
	s_andn2_b64 s[4:5], s[4:5], exec
	s_and_b64 s[8:9], vcc, exec
	v_mov_b32_e32 v20, 0
	s_or_b64 s[4:5], s[4:5], s[8:9]
	s_or_b64 exec, exec, s[6:7]
	s_and_saveexec_b64 s[6:7], s[4:5]
	s_cbranch_execnz .LBB50_19
	s_branch .LBB50_20
.LBB50_2069:
	s_movk_i32 s4, 0x80
	v_cmp_eq_u16_e32 vcc, s4, v21
	s_mov_b64 s[4:5], -1
                                        ; implicit-def: $sgpr10
	s_and_saveexec_b64 s[8:9], vcc
; %bb.2070:
	s_mov_b32 s10, 0x7f800001
	s_xor_b64 s[4:5], exec, -1
; %bb.2071:
	s_or_b64 exec, exec, s[8:9]
	s_and_b64 s[4:5], s[4:5], exec
                                        ; implicit-def: $vgpr21
	s_or_saveexec_b64 s[6:7], s[6:7]
	v_mov_b32_e32 v22, s10
	s_xor_b64 exec, exec, s[6:7]
	s_cbranch_execz .LBB50_22
.LBB50_2072:
	v_cmp_ne_u16_e32 vcc, 0, v21
	s_andn2_b64 s[4:5], s[4:5], exec
	s_and_b64 s[8:9], vcc, exec
	v_mov_b32_e32 v22, 0
	s_or_b64 s[4:5], s[4:5], s[8:9]
	s_or_b64 exec, exec, s[6:7]
	s_and_saveexec_b64 s[6:7], s[4:5]
	s_cbranch_execnz .LBB50_23
	s_branch .LBB50_24
.LBB50_2073:
	s_movk_i32 s4, 0x80
	v_cmp_eq_u16_sdwa s[12:13], v14, s4 src0_sel:BYTE_3 src1_sel:DWORD
	s_mov_b64 s[4:5], -1
                                        ; implicit-def: $sgpr10
	s_and_saveexec_b64 s[8:9], s[12:13]
; %bb.2074:
	s_mov_b32 s10, 0x7f800001
	s_xor_b64 s[4:5], exec, -1
; %bb.2075:
	s_or_b64 exec, exec, s[8:9]
	s_and_b64 s[4:5], s[4:5], exec
	s_or_saveexec_b64 s[6:7], s[6:7]
	v_mov_b32_e32 v20, s10
	s_xor_b64 exec, exec, s[6:7]
	s_cbranch_execz .LBB50_26
.LBB50_2076:
	v_mov_b32_e32 v20, 0
	v_cmp_ne_u16_sdwa s[8:9], v14, v20 src0_sel:BYTE_3 src1_sel:DWORD
	s_andn2_b64 s[4:5], s[4:5], exec
	s_and_b64 s[8:9], s[8:9], exec
	s_or_b64 s[4:5], s[4:5], s[8:9]
	s_or_b64 exec, exec, s[6:7]
	s_and_saveexec_b64 s[6:7], s[4:5]
	s_cbranch_execnz .LBB50_27
	s_branch .LBB50_28
.LBB50_2077:
	s_movk_i32 s4, 0x80
	v_cmp_eq_u16_sdwa s[12:13], v10, s4 src0_sel:BYTE_3 src1_sel:DWORD
	s_mov_b64 s[4:5], -1
                                        ; implicit-def: $sgpr10
	s_and_saveexec_b64 s[8:9], s[12:13]
; %bb.2078:
	s_mov_b32 s10, 0x7f800001
	s_xor_b64 s[4:5], exec, -1
; %bb.2079:
	s_or_b64 exec, exec, s[8:9]
	s_and_b64 s[4:5], s[4:5], exec
	s_or_saveexec_b64 s[6:7], s[6:7]
	v_mov_b32_e32 v14, s10
	s_xor_b64 exec, exec, s[6:7]
	s_cbranch_execz .LBB50_30
.LBB50_2080:
	v_mov_b32_e32 v14, 0
	v_cmp_ne_u16_sdwa s[8:9], v10, v14 src0_sel:BYTE_3 src1_sel:DWORD
	s_andn2_b64 s[4:5], s[4:5], exec
	s_and_b64 s[8:9], s[8:9], exec
	s_or_b64 s[4:5], s[4:5], s[8:9]
	s_or_b64 exec, exec, s[6:7]
	s_and_saveexec_b64 s[6:7], s[4:5]
	s_cbranch_execnz .LBB50_31
	s_branch .LBB50_32
.LBB50_2081:
	s_movk_i32 s4, 0x80
	v_cmp_eq_u16_sdwa s[12:13], v15, s4 src0_sel:BYTE_0 src1_sel:DWORD
	s_mov_b64 s[4:5], -1
                                        ; implicit-def: $sgpr10
	s_and_saveexec_b64 s[8:9], s[12:13]
; %bb.2082:
	s_mov_b32 s10, 0x7f800001
	s_xor_b64 s[4:5], exec, -1
; %bb.2083:
	s_or_b64 exec, exec, s[8:9]
	s_and_b64 s[4:5], s[4:5], exec
	s_or_saveexec_b64 s[6:7], s[6:7]
	v_mov_b32_e32 v10, s10
	s_xor_b64 exec, exec, s[6:7]
	s_cbranch_execz .LBB50_34
.LBB50_2084:
	v_mov_b32_e32 v10, 0
	v_cmp_ne_u16_sdwa s[8:9], v15, v10 src0_sel:BYTE_0 src1_sel:DWORD
	s_andn2_b64 s[4:5], s[4:5], exec
	s_and_b64 s[8:9], s[8:9], exec
	s_or_b64 s[4:5], s[4:5], s[8:9]
	s_or_b64 exec, exec, s[6:7]
	s_and_saveexec_b64 s[6:7], s[4:5]
	s_cbranch_execnz .LBB50_35
	s_branch .LBB50_36
.LBB50_2085:
	s_movk_i32 s4, 0x80
	v_cmp_eq_u16_sdwa s[12:13], v11, s4 src0_sel:BYTE_0 src1_sel:DWORD
	s_mov_b64 s[4:5], -1
                                        ; implicit-def: $sgpr10
	s_and_saveexec_b64 s[8:9], s[12:13]
; %bb.2086:
	s_mov_b32 s10, 0x7f800001
	s_xor_b64 s[4:5], exec, -1
; %bb.2087:
	s_or_b64 exec, exec, s[8:9]
	s_and_b64 s[4:5], s[4:5], exec
	s_or_saveexec_b64 s[6:7], s[6:7]
	v_mov_b32_e32 v14, s10
	s_xor_b64 exec, exec, s[6:7]
	s_cbranch_execz .LBB50_38
.LBB50_2088:
	v_mov_b32_e32 v14, 0
	v_cmp_ne_u16_sdwa s[8:9], v11, v14 src0_sel:BYTE_0 src1_sel:DWORD
	s_andn2_b64 s[4:5], s[4:5], exec
	s_and_b64 s[8:9], s[8:9], exec
	s_or_b64 s[4:5], s[4:5], s[8:9]
	s_or_b64 exec, exec, s[6:7]
	s_and_saveexec_b64 s[6:7], s[4:5]
	s_cbranch_execnz .LBB50_39
	s_branch .LBB50_40
.LBB50_2089:
	s_movk_i32 s4, 0x80
	v_cmp_eq_u16_sdwa s[12:13], v14, s4 src0_sel:BYTE_0 src1_sel:DWORD
	s_mov_b64 s[4:5], -1
                                        ; implicit-def: $sgpr10
	s_and_saveexec_b64 s[8:9], s[12:13]
; %bb.2090:
	s_mov_b32 s10, 0x7f800001
	s_xor_b64 s[4:5], exec, -1
; %bb.2091:
	s_or_b64 exec, exec, s[8:9]
	s_and_b64 s[4:5], s[4:5], exec
	s_or_saveexec_b64 s[6:7], s[6:7]
	v_mov_b32_e32 v10, s10
	s_xor_b64 exec, exec, s[6:7]
	s_cbranch_execz .LBB50_42
.LBB50_2092:
	v_mov_b32_e32 v10, 0
	v_cmp_ne_u16_sdwa s[8:9], v14, v10 src0_sel:BYTE_0 src1_sel:DWORD
	s_andn2_b64 s[4:5], s[4:5], exec
	s_and_b64 s[8:9], s[8:9], exec
	s_or_b64 s[4:5], s[4:5], s[8:9]
	s_or_b64 exec, exec, s[6:7]
	s_and_saveexec_b64 s[6:7], s[4:5]
	s_cbranch_execnz .LBB50_43
	s_branch .LBB50_44
.LBB50_2093:
	s_movk_i32 s4, 0x80
	v_cmp_eq_u16_sdwa s[12:13], v14, s4 src0_sel:BYTE_0 src1_sel:DWORD
	s_mov_b64 s[4:5], -1
                                        ; implicit-def: $sgpr10
	s_and_saveexec_b64 s[8:9], s[12:13]
; %bb.2094:
	s_mov_b32 s10, 0x7f800001
	s_xor_b64 s[4:5], exec, -1
; %bb.2095:
	s_or_b64 exec, exec, s[8:9]
	s_and_b64 s[4:5], s[4:5], exec
	s_or_saveexec_b64 s[6:7], s[6:7]
	v_mov_b32_e32 v20, s10
	s_xor_b64 exec, exec, s[6:7]
	s_cbranch_execz .LBB50_46
.LBB50_2096:
	v_mov_b32_e32 v20, 0
	v_cmp_ne_u16_sdwa s[8:9], v14, v20 src0_sel:BYTE_0 src1_sel:DWORD
	s_andn2_b64 s[4:5], s[4:5], exec
	s_and_b64 s[8:9], s[8:9], exec
	s_or_b64 s[4:5], s[4:5], s[8:9]
	s_or_b64 exec, exec, s[6:7]
	s_and_saveexec_b64 s[6:7], s[4:5]
	s_cbranch_execnz .LBB50_47
	s_branch .LBB50_48
.LBB50_2097:
	s_movk_i32 s4, 0x80
	v_cmp_eq_u16_e32 vcc, s4, v14
	s_mov_b64 s[4:5], -1
                                        ; implicit-def: $sgpr10
	s_and_saveexec_b64 s[8:9], vcc
; %bb.2098:
	s_mov_b32 s10, 0x7f800001
	s_xor_b64 s[4:5], exec, -1
; %bb.2099:
	s_or_b64 exec, exec, s[8:9]
	s_and_b64 s[4:5], s[4:5], exec
                                        ; implicit-def: $vgpr14
	s_or_saveexec_b64 s[6:7], s[6:7]
	v_mov_b32_e32 v10, s10
	s_xor_b64 exec, exec, s[6:7]
	s_cbranch_execz .LBB50_50
.LBB50_2100:
	v_cmp_ne_u16_e32 vcc, 0, v14
	s_andn2_b64 s[4:5], s[4:5], exec
	s_and_b64 s[8:9], vcc, exec
	v_mov_b32_e32 v10, 0
	s_or_b64 s[4:5], s[4:5], s[8:9]
	s_or_b64 exec, exec, s[6:7]
	s_and_saveexec_b64 s[6:7], s[4:5]
	s_cbranch_execnz .LBB50_51
	s_branch .LBB50_52
.LBB50_2101:
	s_movk_i32 s4, 0x80
	v_cmp_eq_u16_e32 vcc, s4, v14
	s_mov_b64 s[4:5], -1
                                        ; implicit-def: $sgpr10
	s_and_saveexec_b64 s[8:9], vcc
; %bb.2102:
	s_mov_b32 s10, 0x7f800001
	s_xor_b64 s[4:5], exec, -1
; %bb.2103:
	s_or_b64 exec, exec, s[8:9]
	s_and_b64 s[4:5], s[4:5], exec
                                        ; implicit-def: $vgpr14
	s_or_saveexec_b64 s[6:7], s[6:7]
	v_mov_b32_e32 v20, s10
	s_xor_b64 exec, exec, s[6:7]
	s_cbranch_execz .LBB50_54
.LBB50_2104:
	v_cmp_ne_u16_e32 vcc, 0, v14
	s_andn2_b64 s[4:5], s[4:5], exec
	s_and_b64 s[8:9], vcc, exec
	v_mov_b32_e32 v20, 0
	s_or_b64 s[4:5], s[4:5], s[8:9]
	s_or_b64 exec, exec, s[6:7]
	s_and_saveexec_b64 s[6:7], s[4:5]
	s_cbranch_execnz .LBB50_55
	s_branch .LBB50_56
.LBB50_2105:
	s_movk_i32 s4, 0x80
	v_cmp_eq_u16_sdwa s[12:13], v15, s4 src0_sel:BYTE_3 src1_sel:DWORD
	s_mov_b64 s[4:5], -1
                                        ; implicit-def: $sgpr10
	s_and_saveexec_b64 s[8:9], s[12:13]
; %bb.2106:
	s_mov_b32 s10, 0x7f800001
	s_xor_b64 s[4:5], exec, -1
; %bb.2107:
	s_or_b64 exec, exec, s[8:9]
	s_and_b64 s[4:5], s[4:5], exec
	s_or_saveexec_b64 s[6:7], s[6:7]
	v_mov_b32_e32 v10, s10
	s_xor_b64 exec, exec, s[6:7]
	s_cbranch_execz .LBB50_58
.LBB50_2108:
	v_mov_b32_e32 v10, 0
	v_cmp_ne_u16_sdwa s[8:9], v15, v10 src0_sel:BYTE_3 src1_sel:DWORD
	s_andn2_b64 s[4:5], s[4:5], exec
	s_and_b64 s[8:9], s[8:9], exec
	s_or_b64 s[4:5], s[4:5], s[8:9]
	s_or_b64 exec, exec, s[6:7]
	s_and_saveexec_b64 s[6:7], s[4:5]
	s_cbranch_execnz .LBB50_59
	s_branch .LBB50_60
.LBB50_2109:
	s_movk_i32 s4, 0x80
	v_cmp_eq_u16_sdwa s[12:13], v11, s4 src0_sel:BYTE_3 src1_sel:DWORD
	s_mov_b64 s[4:5], -1
                                        ; implicit-def: $sgpr10
	s_and_saveexec_b64 s[8:9], s[12:13]
; %bb.2110:
	s_mov_b32 s10, 0x7f800001
	s_xor_b64 s[4:5], exec, -1
; %bb.2111:
	s_or_b64 exec, exec, s[8:9]
	s_and_b64 s[4:5], s[4:5], exec
	s_or_saveexec_b64 s[6:7], s[6:7]
	v_mov_b32_e32 v14, s10
	s_xor_b64 exec, exec, s[6:7]
	s_cbranch_execz .LBB50_62
.LBB50_2112:
	v_mov_b32_e32 v14, 0
	v_cmp_ne_u16_sdwa s[8:9], v11, v14 src0_sel:BYTE_3 src1_sel:DWORD
	s_andn2_b64 s[4:5], s[4:5], exec
	s_and_b64 s[8:9], s[8:9], exec
	s_or_b64 s[4:5], s[4:5], s[8:9]
	s_or_b64 exec, exec, s[6:7]
	s_and_saveexec_b64 s[6:7], s[4:5]
	s_cbranch_execnz .LBB50_63
	s_branch .LBB50_64
.LBB50_2113:
	s_movk_i32 s4, 0x80
	v_cmp_eq_u16_sdwa s[12:13], v16, s4 src0_sel:BYTE_0 src1_sel:DWORD
	s_mov_b64 s[4:5], -1
                                        ; implicit-def: $sgpr10
	s_and_saveexec_b64 s[8:9], s[12:13]
; %bb.2114:
	s_mov_b32 s10, 0x7f800001
	s_xor_b64 s[4:5], exec, -1
; %bb.2115:
	s_or_b64 exec, exec, s[8:9]
	s_and_b64 s[4:5], s[4:5], exec
	s_or_saveexec_b64 s[6:7], s[6:7]
	v_mov_b32_e32 v10, s10
	s_xor_b64 exec, exec, s[6:7]
	s_cbranch_execz .LBB50_66
.LBB50_2116:
	v_mov_b32_e32 v10, 0
	v_cmp_ne_u16_sdwa s[8:9], v16, v10 src0_sel:BYTE_0 src1_sel:DWORD
	s_andn2_b64 s[4:5], s[4:5], exec
	s_and_b64 s[8:9], s[8:9], exec
	s_or_b64 s[4:5], s[4:5], s[8:9]
	s_or_b64 exec, exec, s[6:7]
	s_and_saveexec_b64 s[6:7], s[4:5]
	s_cbranch_execnz .LBB50_67
	s_branch .LBB50_68
.LBB50_2117:
	s_movk_i32 s4, 0x80
	v_cmp_eq_u16_sdwa s[12:13], v12, s4 src0_sel:BYTE_0 src1_sel:DWORD
	s_mov_b64 s[4:5], -1
                                        ; implicit-def: $sgpr10
	s_and_saveexec_b64 s[8:9], s[12:13]
; %bb.2118:
	s_mov_b32 s10, 0x7f800001
	s_xor_b64 s[4:5], exec, -1
; %bb.2119:
	s_or_b64 exec, exec, s[8:9]
	s_and_b64 s[4:5], s[4:5], exec
	s_or_saveexec_b64 s[6:7], s[6:7]
	v_mov_b32_e32 v11, s10
	s_xor_b64 exec, exec, s[6:7]
	s_cbranch_execz .LBB50_70
.LBB50_2120:
	v_mov_b32_e32 v11, 0
	v_cmp_ne_u16_sdwa s[8:9], v12, v11 src0_sel:BYTE_0 src1_sel:DWORD
	s_andn2_b64 s[4:5], s[4:5], exec
	s_and_b64 s[8:9], s[8:9], exec
	s_or_b64 s[4:5], s[4:5], s[8:9]
	s_or_b64 exec, exec, s[6:7]
	s_and_saveexec_b64 s[6:7], s[4:5]
	s_cbranch_execnz .LBB50_71
	s_branch .LBB50_72
.LBB50_2121:
	s_movk_i32 s4, 0x80
	v_cmp_eq_u16_sdwa s[12:13], v11, s4 src0_sel:BYTE_0 src1_sel:DWORD
	s_mov_b64 s[4:5], -1
                                        ; implicit-def: $sgpr10
	s_and_saveexec_b64 s[8:9], s[12:13]
; %bb.2122:
	s_mov_b32 s10, 0x7f800001
	s_xor_b64 s[4:5], exec, -1
; %bb.2123:
	s_or_b64 exec, exec, s[8:9]
	s_and_b64 s[4:5], s[4:5], exec
	s_or_saveexec_b64 s[6:7], s[6:7]
	v_mov_b32_e32 v10, s10
	s_xor_b64 exec, exec, s[6:7]
	s_cbranch_execz .LBB50_74
.LBB50_2124:
	v_mov_b32_e32 v10, 0
	v_cmp_ne_u16_sdwa s[8:9], v11, v10 src0_sel:BYTE_0 src1_sel:DWORD
	s_andn2_b64 s[4:5], s[4:5], exec
	s_and_b64 s[8:9], s[8:9], exec
	s_or_b64 s[4:5], s[4:5], s[8:9]
	s_or_b64 exec, exec, s[6:7]
	s_and_saveexec_b64 s[6:7], s[4:5]
	s_cbranch_execnz .LBB50_75
	s_branch .LBB50_76
.LBB50_2125:
	s_movk_i32 s4, 0x80
	v_cmp_eq_u16_sdwa s[12:13], v11, s4 src0_sel:BYTE_0 src1_sel:DWORD
	s_mov_b64 s[4:5], -1
                                        ; implicit-def: $sgpr10
	s_and_saveexec_b64 s[8:9], s[12:13]
; %bb.2126:
	s_mov_b32 s10, 0x7f800001
	s_xor_b64 s[4:5], exec, -1
; %bb.2127:
	s_or_b64 exec, exec, s[8:9]
	s_and_b64 s[4:5], s[4:5], exec
	s_or_saveexec_b64 s[6:7], s[6:7]
	v_mov_b32_e32 v14, s10
	s_xor_b64 exec, exec, s[6:7]
	s_cbranch_execz .LBB50_78
.LBB50_2128:
	v_mov_b32_e32 v14, 0
	v_cmp_ne_u16_sdwa s[8:9], v11, v14 src0_sel:BYTE_0 src1_sel:DWORD
	s_andn2_b64 s[4:5], s[4:5], exec
	s_and_b64 s[8:9], s[8:9], exec
	s_or_b64 s[4:5], s[4:5], s[8:9]
	s_or_b64 exec, exec, s[6:7]
	s_and_saveexec_b64 s[6:7], s[4:5]
	s_cbranch_execnz .LBB50_79
	s_branch .LBB50_80
.LBB50_2129:
	s_movk_i32 s4, 0x80
	v_cmp_eq_u16_e32 vcc, s4, v11
	s_mov_b64 s[4:5], -1
                                        ; implicit-def: $sgpr10
	s_and_saveexec_b64 s[8:9], vcc
; %bb.2130:
	s_mov_b32 s10, 0x7f800001
	s_xor_b64 s[4:5], exec, -1
; %bb.2131:
	s_or_b64 exec, exec, s[8:9]
	s_and_b64 s[4:5], s[4:5], exec
                                        ; implicit-def: $vgpr11
	s_or_saveexec_b64 s[6:7], s[6:7]
	v_mov_b32_e32 v10, s10
	s_xor_b64 exec, exec, s[6:7]
	s_cbranch_execz .LBB50_82
.LBB50_2132:
	v_cmp_ne_u16_e32 vcc, 0, v11
	s_andn2_b64 s[4:5], s[4:5], exec
	s_and_b64 s[8:9], vcc, exec
	v_mov_b32_e32 v10, 0
	s_or_b64 s[4:5], s[4:5], s[8:9]
	s_or_b64 exec, exec, s[6:7]
	s_and_saveexec_b64 s[6:7], s[4:5]
	s_cbranch_execnz .LBB50_83
	s_branch .LBB50_84
.LBB50_2133:
	s_movk_i32 s4, 0x80
	v_cmp_eq_u16_e32 vcc, s4, v11
	s_mov_b64 s[4:5], -1
                                        ; implicit-def: $sgpr10
	s_and_saveexec_b64 s[8:9], vcc
; %bb.2134:
	s_mov_b32 s10, 0x7f800001
	s_xor_b64 s[4:5], exec, -1
; %bb.2135:
	s_or_b64 exec, exec, s[8:9]
	s_and_b64 s[4:5], s[4:5], exec
                                        ; implicit-def: $vgpr11
	s_or_saveexec_b64 s[6:7], s[6:7]
	v_mov_b32_e32 v14, s10
	s_xor_b64 exec, exec, s[6:7]
	s_cbranch_execz .LBB50_86
.LBB50_2136:
	v_cmp_ne_u16_e32 vcc, 0, v11
	s_andn2_b64 s[4:5], s[4:5], exec
	s_and_b64 s[8:9], vcc, exec
	v_mov_b32_e32 v14, 0
	s_or_b64 s[4:5], s[4:5], s[8:9]
	s_or_b64 exec, exec, s[6:7]
	s_and_saveexec_b64 s[6:7], s[4:5]
	s_cbranch_execnz .LBB50_87
	s_branch .LBB50_88
.LBB50_2137:
	s_movk_i32 s4, 0x80
	v_cmp_eq_u16_sdwa s[12:13], v16, s4 src0_sel:BYTE_3 src1_sel:DWORD
	s_mov_b64 s[4:5], -1
                                        ; implicit-def: $sgpr10
	s_and_saveexec_b64 s[8:9], s[12:13]
; %bb.2138:
	s_mov_b32 s10, 0x7f800001
	s_xor_b64 s[4:5], exec, -1
; %bb.2139:
	s_or_b64 exec, exec, s[8:9]
	s_and_b64 s[4:5], s[4:5], exec
	s_or_saveexec_b64 s[6:7], s[6:7]
	v_mov_b32_e32 v10, s10
	s_xor_b64 exec, exec, s[6:7]
	s_cbranch_execz .LBB50_90
.LBB50_2140:
	v_mov_b32_e32 v10, 0
	v_cmp_ne_u16_sdwa s[8:9], v16, v10 src0_sel:BYTE_3 src1_sel:DWORD
	s_andn2_b64 s[4:5], s[4:5], exec
	s_and_b64 s[8:9], s[8:9], exec
	s_or_b64 s[4:5], s[4:5], s[8:9]
	s_or_b64 exec, exec, s[6:7]
	s_and_saveexec_b64 s[6:7], s[4:5]
	s_cbranch_execnz .LBB50_91
	s_branch .LBB50_92
.LBB50_2141:
	s_movk_i32 s4, 0x80
	v_cmp_eq_u16_sdwa s[12:13], v12, s4 src0_sel:BYTE_3 src1_sel:DWORD
	s_mov_b64 s[4:5], -1
                                        ; implicit-def: $sgpr10
	s_and_saveexec_b64 s[8:9], s[12:13]
; %bb.2142:
	s_mov_b32 s10, 0x7f800001
	s_xor_b64 s[4:5], exec, -1
; %bb.2143:
	s_or_b64 exec, exec, s[8:9]
	s_and_b64 s[4:5], s[4:5], exec
	s_or_saveexec_b64 s[6:7], s[6:7]
	v_mov_b32_e32 v11, s10
	s_xor_b64 exec, exec, s[6:7]
	s_cbranch_execz .LBB50_94
.LBB50_2144:
	v_mov_b32_e32 v11, 0
	v_cmp_ne_u16_sdwa s[8:9], v12, v11 src0_sel:BYTE_3 src1_sel:DWORD
	s_andn2_b64 s[4:5], s[4:5], exec
	s_and_b64 s[8:9], s[8:9], exec
	s_or_b64 s[4:5], s[4:5], s[8:9]
	s_or_b64 exec, exec, s[6:7]
	s_and_saveexec_b64 s[6:7], s[4:5]
	s_cbranch_execnz .LBB50_95
	s_branch .LBB50_96
.LBB50_2145:
	s_movk_i32 s4, 0x80
	v_cmp_eq_u16_sdwa s[12:13], v17, s4 src0_sel:BYTE_0 src1_sel:DWORD
	s_mov_b64 s[4:5], -1
                                        ; implicit-def: $sgpr10
	s_and_saveexec_b64 s[8:9], s[12:13]
; %bb.2146:
	s_mov_b32 s10, 0x7f800001
	s_xor_b64 s[4:5], exec, -1
; %bb.2147:
	s_or_b64 exec, exec, s[8:9]
	s_and_b64 s[4:5], s[4:5], exec
	s_or_saveexec_b64 s[6:7], s[6:7]
	v_mov_b32_e32 v10, s10
	s_xor_b64 exec, exec, s[6:7]
	s_cbranch_execz .LBB50_98
.LBB50_2148:
	v_mov_b32_e32 v10, 0
	v_cmp_ne_u16_sdwa s[8:9], v17, v10 src0_sel:BYTE_0 src1_sel:DWORD
	s_andn2_b64 s[4:5], s[4:5], exec
	s_and_b64 s[8:9], s[8:9], exec
	s_or_b64 s[4:5], s[4:5], s[8:9]
	s_or_b64 exec, exec, s[6:7]
	s_and_saveexec_b64 s[6:7], s[4:5]
	s_cbranch_execnz .LBB50_99
	s_branch .LBB50_100
.LBB50_2149:
	s_movk_i32 s4, 0x80
	v_cmp_eq_u16_sdwa s[12:13], v13, s4 src0_sel:BYTE_0 src1_sel:DWORD
	s_mov_b64 s[4:5], -1
                                        ; implicit-def: $sgpr10
	s_and_saveexec_b64 s[8:9], s[12:13]
; %bb.2150:
	s_mov_b32 s10, 0x7f800001
	s_xor_b64 s[4:5], exec, -1
; %bb.2151:
	s_or_b64 exec, exec, s[8:9]
	s_and_b64 s[4:5], s[4:5], exec
	s_or_saveexec_b64 s[6:7], s[6:7]
	v_mov_b32_e32 v11, s10
	s_xor_b64 exec, exec, s[6:7]
	s_cbranch_execz .LBB50_102
.LBB50_2152:
	v_mov_b32_e32 v11, 0
	v_cmp_ne_u16_sdwa s[8:9], v13, v11 src0_sel:BYTE_0 src1_sel:DWORD
	s_andn2_b64 s[4:5], s[4:5], exec
	s_and_b64 s[8:9], s[8:9], exec
	s_or_b64 s[4:5], s[4:5], s[8:9]
	s_or_b64 exec, exec, s[6:7]
	s_and_saveexec_b64 s[6:7], s[4:5]
	s_cbranch_execnz .LBB50_103
	s_branch .LBB50_104
.LBB50_2153:
	s_movk_i32 s4, 0x80
	v_cmp_eq_u16_sdwa s[12:13], v11, s4 src0_sel:BYTE_0 src1_sel:DWORD
	s_mov_b64 s[4:5], -1
                                        ; implicit-def: $sgpr10
	s_and_saveexec_b64 s[8:9], s[12:13]
; %bb.2154:
	s_mov_b32 s10, 0x7f800001
	s_xor_b64 s[4:5], exec, -1
; %bb.2155:
	s_or_b64 exec, exec, s[8:9]
	s_and_b64 s[4:5], s[4:5], exec
	s_or_saveexec_b64 s[6:7], s[6:7]
	v_mov_b32_e32 v10, s10
	s_xor_b64 exec, exec, s[6:7]
	s_cbranch_execz .LBB50_106
.LBB50_2156:
	v_mov_b32_e32 v10, 0
	v_cmp_ne_u16_sdwa s[8:9], v11, v10 src0_sel:BYTE_0 src1_sel:DWORD
	s_andn2_b64 s[4:5], s[4:5], exec
	s_and_b64 s[8:9], s[8:9], exec
	s_or_b64 s[4:5], s[4:5], s[8:9]
	s_or_b64 exec, exec, s[6:7]
	s_and_saveexec_b64 s[6:7], s[4:5]
	s_cbranch_execnz .LBB50_107
	s_branch .LBB50_108
.LBB50_2157:
	s_movk_i32 s4, 0x80
	v_cmp_eq_u16_sdwa s[12:13], v11, s4 src0_sel:BYTE_0 src1_sel:DWORD
	s_mov_b64 s[4:5], -1
                                        ; implicit-def: $sgpr10
	s_and_saveexec_b64 s[8:9], s[12:13]
; %bb.2158:
	s_mov_b32 s10, 0x7f800001
	s_xor_b64 s[4:5], exec, -1
; %bb.2159:
	s_or_b64 exec, exec, s[8:9]
	s_and_b64 s[4:5], s[4:5], exec
	s_or_saveexec_b64 s[6:7], s[6:7]
	v_mov_b32_e32 v12, s10
	s_xor_b64 exec, exec, s[6:7]
	s_cbranch_execz .LBB50_110
.LBB50_2160:
	v_mov_b32_e32 v12, 0
	v_cmp_ne_u16_sdwa s[8:9], v11, v12 src0_sel:BYTE_0 src1_sel:DWORD
	s_andn2_b64 s[4:5], s[4:5], exec
	s_and_b64 s[8:9], s[8:9], exec
	s_or_b64 s[4:5], s[4:5], s[8:9]
	s_or_b64 exec, exec, s[6:7]
	s_and_saveexec_b64 s[6:7], s[4:5]
	s_cbranch_execnz .LBB50_111
	s_branch .LBB50_112
.LBB50_2161:
	s_movk_i32 s4, 0x80
	v_cmp_eq_u16_e32 vcc, s4, v11
	s_mov_b64 s[4:5], -1
                                        ; implicit-def: $sgpr10
	s_and_saveexec_b64 s[8:9], vcc
; %bb.2162:
	s_mov_b32 s10, 0x7f800001
	s_xor_b64 s[4:5], exec, -1
; %bb.2163:
	s_or_b64 exec, exec, s[8:9]
	s_and_b64 s[4:5], s[4:5], exec
                                        ; implicit-def: $vgpr11
	s_or_saveexec_b64 s[6:7], s[6:7]
	v_mov_b32_e32 v10, s10
	s_xor_b64 exec, exec, s[6:7]
	s_cbranch_execz .LBB50_114
.LBB50_2164:
	v_cmp_ne_u16_e32 vcc, 0, v11
	s_andn2_b64 s[4:5], s[4:5], exec
	s_and_b64 s[8:9], vcc, exec
	v_mov_b32_e32 v10, 0
	s_or_b64 s[4:5], s[4:5], s[8:9]
	s_or_b64 exec, exec, s[6:7]
	s_and_saveexec_b64 s[6:7], s[4:5]
	s_cbranch_execnz .LBB50_115
	s_branch .LBB50_116
.LBB50_2165:
	s_movk_i32 s4, 0x80
	v_cmp_eq_u16_e32 vcc, s4, v11
	s_mov_b64 s[4:5], -1
                                        ; implicit-def: $sgpr10
	s_and_saveexec_b64 s[8:9], vcc
; %bb.2166:
	s_mov_b32 s10, 0x7f800001
	s_xor_b64 s[4:5], exec, -1
; %bb.2167:
	s_or_b64 exec, exec, s[8:9]
	s_and_b64 s[4:5], s[4:5], exec
                                        ; implicit-def: $vgpr11
	s_or_saveexec_b64 s[6:7], s[6:7]
	v_mov_b32_e32 v12, s10
	s_xor_b64 exec, exec, s[6:7]
	s_cbranch_execz .LBB50_118
.LBB50_2168:
	v_cmp_ne_u16_e32 vcc, 0, v11
	s_andn2_b64 s[4:5], s[4:5], exec
	s_and_b64 s[8:9], vcc, exec
	v_mov_b32_e32 v12, 0
	s_or_b64 s[4:5], s[4:5], s[8:9]
	s_or_b64 exec, exec, s[6:7]
	s_and_saveexec_b64 s[6:7], s[4:5]
	s_cbranch_execnz .LBB50_119
	s_branch .LBB50_120
.LBB50_2169:
	s_movk_i32 s4, 0x80
	v_cmp_eq_u16_sdwa s[12:13], v17, s4 src0_sel:BYTE_3 src1_sel:DWORD
	s_mov_b64 s[4:5], -1
                                        ; implicit-def: $sgpr10
	s_and_saveexec_b64 s[8:9], s[12:13]
; %bb.2170:
	s_mov_b32 s10, 0x7f800001
	s_xor_b64 s[4:5], exec, -1
; %bb.2171:
	s_or_b64 exec, exec, s[8:9]
	s_and_b64 s[4:5], s[4:5], exec
	s_or_saveexec_b64 s[6:7], s[6:7]
	v_mov_b32_e32 v10, s10
	s_xor_b64 exec, exec, s[6:7]
	s_cbranch_execz .LBB50_122
.LBB50_2172:
	v_mov_b32_e32 v10, 0
	v_cmp_ne_u16_sdwa s[8:9], v17, v10 src0_sel:BYTE_3 src1_sel:DWORD
	s_andn2_b64 s[4:5], s[4:5], exec
	s_and_b64 s[8:9], s[8:9], exec
	s_or_b64 s[4:5], s[4:5], s[8:9]
	s_or_b64 exec, exec, s[6:7]
	s_and_saveexec_b64 s[6:7], s[4:5]
	s_cbranch_execnz .LBB50_123
	s_branch .LBB50_124
.LBB50_2173:
	s_movk_i32 s4, 0x80
	v_cmp_eq_u16_sdwa s[12:13], v13, s4 src0_sel:BYTE_3 src1_sel:DWORD
	s_mov_b64 s[4:5], -1
                                        ; implicit-def: $sgpr10
	s_and_saveexec_b64 s[8:9], s[12:13]
; %bb.2174:
	s_mov_b32 s10, 0x7f800001
	s_xor_b64 s[4:5], exec, -1
; %bb.2175:
	s_or_b64 exec, exec, s[8:9]
	s_and_b64 s[4:5], s[4:5], exec
	s_or_saveexec_b64 s[6:7], s[6:7]
	v_mov_b32_e32 v11, s10
	s_xor_b64 exec, exec, s[6:7]
	s_cbranch_execz .LBB50_126
.LBB50_2176:
	v_mov_b32_e32 v11, 0
	v_cmp_ne_u16_sdwa s[8:9], v13, v11 src0_sel:BYTE_3 src1_sel:DWORD
	s_andn2_b64 s[4:5], s[4:5], exec
	s_and_b64 s[8:9], s[8:9], exec
	s_or_b64 s[4:5], s[4:5], s[8:9]
	s_or_b64 exec, exec, s[6:7]
	s_and_saveexec_b64 s[6:7], s[4:5]
	s_cbranch_execnz .LBB50_127
	s_branch .LBB50_128
.LBB50_2177:
	s_movk_i32 s4, 0x80
	v_cmp_eq_u16_sdwa s[12:13], v6, s4 src0_sel:BYTE_0 src1_sel:DWORD
	s_mov_b64 s[4:5], -1
                                        ; implicit-def: $sgpr10
	s_and_saveexec_b64 s[8:9], s[12:13]
; %bb.2178:
	s_mov_b32 s10, 0x7f800001
	s_xor_b64 s[4:5], exec, -1
; %bb.2179:
	s_or_b64 exec, exec, s[8:9]
	s_and_b64 s[4:5], s[4:5], exec
	s_or_saveexec_b64 s[6:7], s[6:7]
	v_mov_b32_e32 v10, s10
	s_xor_b64 exec, exec, s[6:7]
	s_cbranch_execz .LBB50_130
.LBB50_2180:
	v_mov_b32_e32 v10, 0
	v_cmp_ne_u16_sdwa s[8:9], v6, v10 src0_sel:BYTE_0 src1_sel:DWORD
	s_andn2_b64 s[4:5], s[4:5], exec
	s_and_b64 s[8:9], s[8:9], exec
	s_or_b64 s[4:5], s[4:5], s[8:9]
	s_or_b64 exec, exec, s[6:7]
	s_and_saveexec_b64 s[6:7], s[4:5]
	s_cbranch_execnz .LBB50_131
	s_branch .LBB50_132
.LBB50_2181:
	s_movk_i32 s4, 0x80
	v_cmp_eq_u16_sdwa s[12:13], v2, s4 src0_sel:BYTE_0 src1_sel:DWORD
	s_mov_b64 s[4:5], -1
                                        ; implicit-def: $sgpr10
	s_and_saveexec_b64 s[8:9], s[12:13]
; %bb.2182:
	s_mov_b32 s10, 0x7f800001
	s_xor_b64 s[4:5], exec, -1
; %bb.2183:
	s_or_b64 exec, exec, s[8:9]
	s_and_b64 s[4:5], s[4:5], exec
	s_or_saveexec_b64 s[6:7], s[6:7]
	v_mov_b32_e32 v11, s10
	s_xor_b64 exec, exec, s[6:7]
	s_cbranch_execz .LBB50_134
.LBB50_2184:
	v_mov_b32_e32 v11, 0
	v_cmp_ne_u16_sdwa s[8:9], v2, v11 src0_sel:BYTE_0 src1_sel:DWORD
	s_andn2_b64 s[4:5], s[4:5], exec
	s_and_b64 s[8:9], s[8:9], exec
	s_or_b64 s[4:5], s[4:5], s[8:9]
	s_or_b64 exec, exec, s[6:7]
	s_and_saveexec_b64 s[6:7], s[4:5]
	s_cbranch_execnz .LBB50_135
	s_branch .LBB50_136
.LBB50_2185:
	s_movk_i32 s4, 0x80
	v_cmp_eq_u16_sdwa s[12:13], v11, s4 src0_sel:BYTE_0 src1_sel:DWORD
	s_mov_b64 s[4:5], -1
                                        ; implicit-def: $sgpr10
	s_and_saveexec_b64 s[8:9], s[12:13]
; %bb.2186:
	s_mov_b32 s10, 0x7f800001
	s_xor_b64 s[4:5], exec, -1
; %bb.2187:
	s_or_b64 exec, exec, s[8:9]
	s_and_b64 s[4:5], s[4:5], exec
	s_or_saveexec_b64 s[6:7], s[6:7]
	v_mov_b32_e32 v10, s10
	s_xor_b64 exec, exec, s[6:7]
	s_cbranch_execz .LBB50_138
.LBB50_2188:
	v_mov_b32_e32 v10, 0
	v_cmp_ne_u16_sdwa s[8:9], v11, v10 src0_sel:BYTE_0 src1_sel:DWORD
	s_andn2_b64 s[4:5], s[4:5], exec
	s_and_b64 s[8:9], s[8:9], exec
	s_or_b64 s[4:5], s[4:5], s[8:9]
	s_or_b64 exec, exec, s[6:7]
	s_and_saveexec_b64 s[6:7], s[4:5]
	s_cbranch_execnz .LBB50_139
	s_branch .LBB50_140
.LBB50_2189:
	s_movk_i32 s4, 0x80
	v_cmp_eq_u16_sdwa s[12:13], v11, s4 src0_sel:BYTE_0 src1_sel:DWORD
	s_mov_b64 s[4:5], -1
                                        ; implicit-def: $sgpr10
	s_and_saveexec_b64 s[8:9], s[12:13]
; %bb.2190:
	s_mov_b32 s10, 0x7f800001
	s_xor_b64 s[4:5], exec, -1
; %bb.2191:
	s_or_b64 exec, exec, s[8:9]
	s_and_b64 s[4:5], s[4:5], exec
	s_or_saveexec_b64 s[6:7], s[6:7]
	v_mov_b32_e32 v12, s10
	s_xor_b64 exec, exec, s[6:7]
	s_cbranch_execz .LBB50_142
.LBB50_2192:
	v_mov_b32_e32 v12, 0
	v_cmp_ne_u16_sdwa s[8:9], v11, v12 src0_sel:BYTE_0 src1_sel:DWORD
	s_andn2_b64 s[4:5], s[4:5], exec
	s_and_b64 s[8:9], s[8:9], exec
	s_or_b64 s[4:5], s[4:5], s[8:9]
	s_or_b64 exec, exec, s[6:7]
	s_and_saveexec_b64 s[6:7], s[4:5]
	s_cbranch_execnz .LBB50_143
	s_branch .LBB50_144
.LBB50_2193:
	s_movk_i32 s4, 0x80
	v_cmp_eq_u16_e32 vcc, s4, v11
	s_mov_b64 s[4:5], -1
                                        ; implicit-def: $sgpr10
	s_and_saveexec_b64 s[8:9], vcc
; %bb.2194:
	s_mov_b32 s10, 0x7f800001
	s_xor_b64 s[4:5], exec, -1
; %bb.2195:
	s_or_b64 exec, exec, s[8:9]
	s_and_b64 s[4:5], s[4:5], exec
                                        ; implicit-def: $vgpr11
	s_or_saveexec_b64 s[6:7], s[6:7]
	v_mov_b32_e32 v10, s10
	s_xor_b64 exec, exec, s[6:7]
	s_cbranch_execz .LBB50_146
.LBB50_2196:
	v_cmp_ne_u16_e32 vcc, 0, v11
	s_andn2_b64 s[4:5], s[4:5], exec
	s_and_b64 s[8:9], vcc, exec
	v_mov_b32_e32 v10, 0
	s_or_b64 s[4:5], s[4:5], s[8:9]
	s_or_b64 exec, exec, s[6:7]
	s_and_saveexec_b64 s[6:7], s[4:5]
	s_cbranch_execnz .LBB50_147
	s_branch .LBB50_148
.LBB50_2197:
	s_movk_i32 s4, 0x80
	v_cmp_eq_u16_e32 vcc, s4, v11
	s_mov_b64 s[4:5], -1
                                        ; implicit-def: $sgpr10
	s_and_saveexec_b64 s[8:9], vcc
; %bb.2198:
	s_mov_b32 s10, 0x7f800001
	s_xor_b64 s[4:5], exec, -1
; %bb.2199:
	s_or_b64 exec, exec, s[8:9]
	s_and_b64 s[4:5], s[4:5], exec
                                        ; implicit-def: $vgpr11
	s_or_saveexec_b64 s[6:7], s[6:7]
	v_mov_b32_e32 v12, s10
	s_xor_b64 exec, exec, s[6:7]
	s_cbranch_execz .LBB50_150
.LBB50_2200:
	v_cmp_ne_u16_e32 vcc, 0, v11
	s_andn2_b64 s[4:5], s[4:5], exec
	s_and_b64 s[8:9], vcc, exec
	v_mov_b32_e32 v12, 0
	s_or_b64 s[4:5], s[4:5], s[8:9]
	s_or_b64 exec, exec, s[6:7]
	s_and_saveexec_b64 s[6:7], s[4:5]
	s_cbranch_execnz .LBB50_151
	s_branch .LBB50_152
.LBB50_2201:
	s_movk_i32 s4, 0x80
	v_cmp_eq_u16_sdwa s[12:13], v6, s4 src0_sel:BYTE_3 src1_sel:DWORD
	s_mov_b64 s[4:5], -1
                                        ; implicit-def: $sgpr10
	s_and_saveexec_b64 s[8:9], s[12:13]
; %bb.2202:
	s_mov_b32 s10, 0x7f800001
	s_xor_b64 s[4:5], exec, -1
; %bb.2203:
	s_or_b64 exec, exec, s[8:9]
	s_and_b64 s[4:5], s[4:5], exec
	s_or_saveexec_b64 s[6:7], s[6:7]
	v_mov_b32_e32 v10, s10
	s_xor_b64 exec, exec, s[6:7]
	s_cbranch_execz .LBB50_154
.LBB50_2204:
	v_mov_b32_e32 v10, 0
	v_cmp_ne_u16_sdwa s[8:9], v6, v10 src0_sel:BYTE_3 src1_sel:DWORD
	s_andn2_b64 s[4:5], s[4:5], exec
	s_and_b64 s[8:9], s[8:9], exec
	s_or_b64 s[4:5], s[4:5], s[8:9]
	s_or_b64 exec, exec, s[6:7]
	s_and_saveexec_b64 s[6:7], s[4:5]
	s_cbranch_execnz .LBB50_155
	s_branch .LBB50_156
.LBB50_2205:
	s_movk_i32 s4, 0x80
	v_cmp_eq_u16_sdwa s[12:13], v2, s4 src0_sel:BYTE_3 src1_sel:DWORD
	s_mov_b64 s[4:5], -1
                                        ; implicit-def: $sgpr10
	s_and_saveexec_b64 s[8:9], s[12:13]
; %bb.2206:
	s_mov_b32 s10, 0x7f800001
	s_xor_b64 s[4:5], exec, -1
; %bb.2207:
	s_or_b64 exec, exec, s[8:9]
	s_and_b64 s[4:5], s[4:5], exec
	s_or_saveexec_b64 s[6:7], s[6:7]
	v_mov_b32_e32 v6, s10
	s_xor_b64 exec, exec, s[6:7]
	s_cbranch_execz .LBB50_158
.LBB50_2208:
	v_mov_b32_e32 v6, 0
	v_cmp_ne_u16_sdwa s[8:9], v2, v6 src0_sel:BYTE_3 src1_sel:DWORD
	s_andn2_b64 s[4:5], s[4:5], exec
	s_and_b64 s[8:9], s[8:9], exec
	s_or_b64 s[4:5], s[4:5], s[8:9]
	s_or_b64 exec, exec, s[6:7]
	s_and_saveexec_b64 s[6:7], s[4:5]
	s_cbranch_execnz .LBB50_159
	s_branch .LBB50_160
.LBB50_2209:
	s_movk_i32 s4, 0x80
	v_cmp_eq_u16_sdwa s[12:13], v7, s4 src0_sel:BYTE_0 src1_sel:DWORD
	s_mov_b64 s[4:5], -1
                                        ; implicit-def: $sgpr10
	s_and_saveexec_b64 s[8:9], s[12:13]
; %bb.2210:
	s_mov_b32 s10, 0x7f800001
	s_xor_b64 s[4:5], exec, -1
; %bb.2211:
	s_or_b64 exec, exec, s[8:9]
	s_and_b64 s[4:5], s[4:5], exec
	s_or_saveexec_b64 s[6:7], s[6:7]
	v_mov_b32_e32 v2, s10
	s_xor_b64 exec, exec, s[6:7]
	s_cbranch_execz .LBB50_162
.LBB50_2212:
	v_mov_b32_e32 v2, 0
	v_cmp_ne_u16_sdwa s[8:9], v7, v2 src0_sel:BYTE_0 src1_sel:DWORD
	s_andn2_b64 s[4:5], s[4:5], exec
	s_and_b64 s[8:9], s[8:9], exec
	s_or_b64 s[4:5], s[4:5], s[8:9]
	s_or_b64 exec, exec, s[6:7]
	s_and_saveexec_b64 s[6:7], s[4:5]
	s_cbranch_execnz .LBB50_163
	s_branch .LBB50_164
.LBB50_2213:
	s_movk_i32 s4, 0x80
	v_cmp_eq_u16_sdwa s[12:13], v3, s4 src0_sel:BYTE_0 src1_sel:DWORD
	s_mov_b64 s[4:5], -1
                                        ; implicit-def: $sgpr10
	s_and_saveexec_b64 s[8:9], s[12:13]
; %bb.2214:
	s_mov_b32 s10, 0x7f800001
	s_xor_b64 s[4:5], exec, -1
; %bb.2215:
	s_or_b64 exec, exec, s[8:9]
	s_and_b64 s[4:5], s[4:5], exec
	s_or_saveexec_b64 s[6:7], s[6:7]
	v_mov_b32_e32 v6, s10
	s_xor_b64 exec, exec, s[6:7]
	s_cbranch_execz .LBB50_166
.LBB50_2216:
	v_mov_b32_e32 v6, 0
	v_cmp_ne_u16_sdwa s[8:9], v3, v6 src0_sel:BYTE_0 src1_sel:DWORD
	s_andn2_b64 s[4:5], s[4:5], exec
	s_and_b64 s[8:9], s[8:9], exec
	s_or_b64 s[4:5], s[4:5], s[8:9]
	s_or_b64 exec, exec, s[6:7]
	s_and_saveexec_b64 s[6:7], s[4:5]
	s_cbranch_execnz .LBB50_167
	s_branch .LBB50_168
.LBB50_2217:
	s_movk_i32 s4, 0x80
	v_cmp_eq_u16_sdwa s[12:13], v6, s4 src0_sel:BYTE_0 src1_sel:DWORD
	s_mov_b64 s[4:5], -1
                                        ; implicit-def: $sgpr10
	s_and_saveexec_b64 s[8:9], s[12:13]
; %bb.2218:
	s_mov_b32 s10, 0x7f800001
	s_xor_b64 s[4:5], exec, -1
; %bb.2219:
	s_or_b64 exec, exec, s[8:9]
	s_and_b64 s[4:5], s[4:5], exec
	s_or_saveexec_b64 s[6:7], s[6:7]
	v_mov_b32_e32 v2, s10
	s_xor_b64 exec, exec, s[6:7]
	s_cbranch_execz .LBB50_170
.LBB50_2220:
	v_mov_b32_e32 v2, 0
	v_cmp_ne_u16_sdwa s[8:9], v6, v2 src0_sel:BYTE_0 src1_sel:DWORD
	s_andn2_b64 s[4:5], s[4:5], exec
	s_and_b64 s[8:9], s[8:9], exec
	s_or_b64 s[4:5], s[4:5], s[8:9]
	s_or_b64 exec, exec, s[6:7]
	s_and_saveexec_b64 s[6:7], s[4:5]
	s_cbranch_execnz .LBB50_171
	s_branch .LBB50_172
.LBB50_2221:
	s_movk_i32 s4, 0x80
	v_cmp_eq_u16_sdwa s[12:13], v6, s4 src0_sel:BYTE_0 src1_sel:DWORD
	s_mov_b64 s[4:5], -1
                                        ; implicit-def: $sgpr10
	s_and_saveexec_b64 s[8:9], s[12:13]
; %bb.2222:
	s_mov_b32 s10, 0x7f800001
	s_xor_b64 s[4:5], exec, -1
; %bb.2223:
	s_or_b64 exec, exec, s[8:9]
	s_and_b64 s[4:5], s[4:5], exec
	s_or_saveexec_b64 s[6:7], s[6:7]
	v_mov_b32_e32 v10, s10
	s_xor_b64 exec, exec, s[6:7]
	s_cbranch_execz .LBB50_174
.LBB50_2224:
	v_mov_b32_e32 v10, 0
	v_cmp_ne_u16_sdwa s[8:9], v6, v10 src0_sel:BYTE_0 src1_sel:DWORD
	s_andn2_b64 s[4:5], s[4:5], exec
	s_and_b64 s[8:9], s[8:9], exec
	s_or_b64 s[4:5], s[4:5], s[8:9]
	s_or_b64 exec, exec, s[6:7]
	s_and_saveexec_b64 s[6:7], s[4:5]
	s_cbranch_execnz .LBB50_175
	s_branch .LBB50_176
.LBB50_2225:
	s_movk_i32 s4, 0x80
	v_cmp_eq_u16_e32 vcc, s4, v6
	s_mov_b64 s[4:5], -1
                                        ; implicit-def: $sgpr10
	s_and_saveexec_b64 s[8:9], vcc
; %bb.2226:
	s_mov_b32 s10, 0x7f800001
	s_xor_b64 s[4:5], exec, -1
; %bb.2227:
	s_or_b64 exec, exec, s[8:9]
	s_and_b64 s[4:5], s[4:5], exec
                                        ; implicit-def: $vgpr6
	s_or_saveexec_b64 s[6:7], s[6:7]
	v_mov_b32_e32 v2, s10
	s_xor_b64 exec, exec, s[6:7]
	s_cbranch_execz .LBB50_178
.LBB50_2228:
	v_cmp_ne_u16_e32 vcc, 0, v6
	s_andn2_b64 s[4:5], s[4:5], exec
	s_and_b64 s[8:9], vcc, exec
	v_mov_b32_e32 v2, 0
	s_or_b64 s[4:5], s[4:5], s[8:9]
	s_or_b64 exec, exec, s[6:7]
	s_and_saveexec_b64 s[6:7], s[4:5]
	s_cbranch_execnz .LBB50_179
	s_branch .LBB50_180
.LBB50_2229:
	s_movk_i32 s4, 0x80
	v_cmp_eq_u16_e32 vcc, s4, v6
	s_mov_b64 s[4:5], -1
                                        ; implicit-def: $sgpr10
	s_and_saveexec_b64 s[8:9], vcc
; %bb.2230:
	s_mov_b32 s10, 0x7f800001
	s_xor_b64 s[4:5], exec, -1
; %bb.2231:
	s_or_b64 exec, exec, s[8:9]
	s_and_b64 s[4:5], s[4:5], exec
                                        ; implicit-def: $vgpr6
	s_or_saveexec_b64 s[6:7], s[6:7]
	v_mov_b32_e32 v10, s10
	s_xor_b64 exec, exec, s[6:7]
	s_cbranch_execz .LBB50_182
.LBB50_2232:
	v_cmp_ne_u16_e32 vcc, 0, v6
	s_andn2_b64 s[4:5], s[4:5], exec
	s_and_b64 s[8:9], vcc, exec
	v_mov_b32_e32 v10, 0
	s_or_b64 s[4:5], s[4:5], s[8:9]
	s_or_b64 exec, exec, s[6:7]
	s_and_saveexec_b64 s[6:7], s[4:5]
	s_cbranch_execnz .LBB50_183
	s_branch .LBB50_184
.LBB50_2233:
	s_movk_i32 s4, 0x80
	v_cmp_eq_u16_sdwa s[12:13], v7, s4 src0_sel:BYTE_3 src1_sel:DWORD
	s_mov_b64 s[4:5], -1
                                        ; implicit-def: $sgpr10
	s_and_saveexec_b64 s[8:9], s[12:13]
; %bb.2234:
	s_mov_b32 s10, 0x7f800001
	s_xor_b64 s[4:5], exec, -1
; %bb.2235:
	s_or_b64 exec, exec, s[8:9]
	s_and_b64 s[4:5], s[4:5], exec
	s_or_saveexec_b64 s[6:7], s[6:7]
	v_mov_b32_e32 v2, s10
	s_xor_b64 exec, exec, s[6:7]
	s_cbranch_execz .LBB50_186
.LBB50_2236:
	v_mov_b32_e32 v2, 0
	v_cmp_ne_u16_sdwa s[8:9], v7, v2 src0_sel:BYTE_3 src1_sel:DWORD
	s_andn2_b64 s[4:5], s[4:5], exec
	s_and_b64 s[8:9], s[8:9], exec
	s_or_b64 s[4:5], s[4:5], s[8:9]
	s_or_b64 exec, exec, s[6:7]
	s_and_saveexec_b64 s[6:7], s[4:5]
	s_cbranch_execnz .LBB50_187
	s_branch .LBB50_188
.LBB50_2237:
	s_movk_i32 s4, 0x80
	v_cmp_eq_u16_sdwa s[12:13], v3, s4 src0_sel:BYTE_3 src1_sel:DWORD
	s_mov_b64 s[4:5], -1
                                        ; implicit-def: $sgpr10
	s_and_saveexec_b64 s[8:9], s[12:13]
; %bb.2238:
	s_mov_b32 s10, 0x7f800001
	s_xor_b64 s[4:5], exec, -1
; %bb.2239:
	s_or_b64 exec, exec, s[8:9]
	s_and_b64 s[4:5], s[4:5], exec
	s_or_saveexec_b64 s[6:7], s[6:7]
	v_mov_b32_e32 v6, s10
	s_xor_b64 exec, exec, s[6:7]
	s_cbranch_execz .LBB50_190
.LBB50_2240:
	v_mov_b32_e32 v6, 0
	v_cmp_ne_u16_sdwa s[8:9], v3, v6 src0_sel:BYTE_3 src1_sel:DWORD
	s_andn2_b64 s[4:5], s[4:5], exec
	s_and_b64 s[8:9], s[8:9], exec
	s_or_b64 s[4:5], s[4:5], s[8:9]
	s_or_b64 exec, exec, s[6:7]
	s_and_saveexec_b64 s[6:7], s[4:5]
	s_cbranch_execnz .LBB50_191
	s_branch .LBB50_192
.LBB50_2241:
	s_movk_i32 s4, 0x80
	v_cmp_eq_u16_sdwa s[12:13], v8, s4 src0_sel:BYTE_0 src1_sel:DWORD
	s_mov_b64 s[4:5], -1
                                        ; implicit-def: $sgpr10
	s_and_saveexec_b64 s[8:9], s[12:13]
; %bb.2242:
	s_mov_b32 s10, 0x7f800001
	s_xor_b64 s[4:5], exec, -1
; %bb.2243:
	s_or_b64 exec, exec, s[8:9]
	s_and_b64 s[4:5], s[4:5], exec
	s_or_saveexec_b64 s[6:7], s[6:7]
	v_mov_b32_e32 v2, s10
	s_xor_b64 exec, exec, s[6:7]
	s_cbranch_execz .LBB50_194
.LBB50_2244:
	v_mov_b32_e32 v2, 0
	v_cmp_ne_u16_sdwa s[8:9], v8, v2 src0_sel:BYTE_0 src1_sel:DWORD
	s_andn2_b64 s[4:5], s[4:5], exec
	s_and_b64 s[8:9], s[8:9], exec
	s_or_b64 s[4:5], s[4:5], s[8:9]
	s_or_b64 exec, exec, s[6:7]
	s_and_saveexec_b64 s[6:7], s[4:5]
	s_cbranch_execnz .LBB50_195
	s_branch .LBB50_196
.LBB50_2245:
	s_movk_i32 s4, 0x80
	v_cmp_eq_u16_sdwa s[12:13], v4, s4 src0_sel:BYTE_0 src1_sel:DWORD
	s_mov_b64 s[4:5], -1
                                        ; implicit-def: $sgpr10
	s_and_saveexec_b64 s[8:9], s[12:13]
; %bb.2246:
	s_mov_b32 s10, 0x7f800001
	s_xor_b64 s[4:5], exec, -1
; %bb.2247:
	s_or_b64 exec, exec, s[8:9]
	s_and_b64 s[4:5], s[4:5], exec
	s_or_saveexec_b64 s[6:7], s[6:7]
	v_mov_b32_e32 v3, s10
	s_xor_b64 exec, exec, s[6:7]
	s_cbranch_execz .LBB50_198
.LBB50_2248:
	v_mov_b32_e32 v3, 0
	v_cmp_ne_u16_sdwa s[8:9], v4, v3 src0_sel:BYTE_0 src1_sel:DWORD
	s_andn2_b64 s[4:5], s[4:5], exec
	s_and_b64 s[8:9], s[8:9], exec
	s_or_b64 s[4:5], s[4:5], s[8:9]
	s_or_b64 exec, exec, s[6:7]
	s_and_saveexec_b64 s[6:7], s[4:5]
	s_cbranch_execnz .LBB50_199
	s_branch .LBB50_200
.LBB50_2249:
	s_movk_i32 s4, 0x80
	v_cmp_eq_u16_sdwa s[12:13], v3, s4 src0_sel:BYTE_0 src1_sel:DWORD
	s_mov_b64 s[4:5], -1
                                        ; implicit-def: $sgpr10
	s_and_saveexec_b64 s[8:9], s[12:13]
; %bb.2250:
	s_mov_b32 s10, 0x7f800001
	s_xor_b64 s[4:5], exec, -1
; %bb.2251:
	s_or_b64 exec, exec, s[8:9]
	s_and_b64 s[4:5], s[4:5], exec
	s_or_saveexec_b64 s[6:7], s[6:7]
	v_mov_b32_e32 v2, s10
	s_xor_b64 exec, exec, s[6:7]
	s_cbranch_execz .LBB50_202
.LBB50_2252:
	v_mov_b32_e32 v2, 0
	v_cmp_ne_u16_sdwa s[8:9], v3, v2 src0_sel:BYTE_0 src1_sel:DWORD
	s_andn2_b64 s[4:5], s[4:5], exec
	s_and_b64 s[8:9], s[8:9], exec
	s_or_b64 s[4:5], s[4:5], s[8:9]
	s_or_b64 exec, exec, s[6:7]
	s_and_saveexec_b64 s[6:7], s[4:5]
	s_cbranch_execnz .LBB50_203
	s_branch .LBB50_204
.LBB50_2253:
	s_movk_i32 s4, 0x80
	v_cmp_eq_u16_sdwa s[12:13], v3, s4 src0_sel:BYTE_0 src1_sel:DWORD
	s_mov_b64 s[4:5], -1
                                        ; implicit-def: $sgpr10
	s_and_saveexec_b64 s[8:9], s[12:13]
; %bb.2254:
	s_mov_b32 s10, 0x7f800001
	s_xor_b64 s[4:5], exec, -1
; %bb.2255:
	s_or_b64 exec, exec, s[8:9]
	s_and_b64 s[4:5], s[4:5], exec
	s_or_saveexec_b64 s[6:7], s[6:7]
	v_mov_b32_e32 v6, s10
	s_xor_b64 exec, exec, s[6:7]
	s_cbranch_execz .LBB50_206
.LBB50_2256:
	v_mov_b32_e32 v6, 0
	v_cmp_ne_u16_sdwa s[8:9], v3, v6 src0_sel:BYTE_0 src1_sel:DWORD
	s_andn2_b64 s[4:5], s[4:5], exec
	s_and_b64 s[8:9], s[8:9], exec
	s_or_b64 s[4:5], s[4:5], s[8:9]
	s_or_b64 exec, exec, s[6:7]
	s_and_saveexec_b64 s[6:7], s[4:5]
	s_cbranch_execnz .LBB50_207
	s_branch .LBB50_208
.LBB50_2257:
	s_movk_i32 s4, 0x80
	v_cmp_eq_u16_e32 vcc, s4, v3
	s_mov_b64 s[4:5], -1
                                        ; implicit-def: $sgpr10
	s_and_saveexec_b64 s[8:9], vcc
; %bb.2258:
	s_mov_b32 s10, 0x7f800001
	s_xor_b64 s[4:5], exec, -1
; %bb.2259:
	s_or_b64 exec, exec, s[8:9]
	s_and_b64 s[4:5], s[4:5], exec
                                        ; implicit-def: $vgpr3
	s_or_saveexec_b64 s[6:7], s[6:7]
	v_mov_b32_e32 v2, s10
	s_xor_b64 exec, exec, s[6:7]
	s_cbranch_execz .LBB50_210
.LBB50_2260:
	v_cmp_ne_u16_e32 vcc, 0, v3
	s_andn2_b64 s[4:5], s[4:5], exec
	s_and_b64 s[8:9], vcc, exec
	v_mov_b32_e32 v2, 0
	s_or_b64 s[4:5], s[4:5], s[8:9]
	s_or_b64 exec, exec, s[6:7]
	s_and_saveexec_b64 s[6:7], s[4:5]
	s_cbranch_execnz .LBB50_211
	s_branch .LBB50_212
.LBB50_2261:
	s_movk_i32 s4, 0x80
	v_cmp_eq_u16_e32 vcc, s4, v3
	s_mov_b64 s[4:5], -1
                                        ; implicit-def: $sgpr10
	s_and_saveexec_b64 s[8:9], vcc
; %bb.2262:
	s_mov_b32 s10, 0x7f800001
	s_xor_b64 s[4:5], exec, -1
; %bb.2263:
	s_or_b64 exec, exec, s[8:9]
	s_and_b64 s[4:5], s[4:5], exec
                                        ; implicit-def: $vgpr3
	s_or_saveexec_b64 s[6:7], s[6:7]
	v_mov_b32_e32 v6, s10
	s_xor_b64 exec, exec, s[6:7]
	s_cbranch_execz .LBB50_214
.LBB50_2264:
	v_cmp_ne_u16_e32 vcc, 0, v3
	s_andn2_b64 s[4:5], s[4:5], exec
	s_and_b64 s[8:9], vcc, exec
	v_mov_b32_e32 v6, 0
	s_or_b64 s[4:5], s[4:5], s[8:9]
	s_or_b64 exec, exec, s[6:7]
	s_and_saveexec_b64 s[6:7], s[4:5]
	s_cbranch_execnz .LBB50_215
	s_branch .LBB50_216
.LBB50_2265:
	s_movk_i32 s4, 0x80
	v_cmp_eq_u16_sdwa s[12:13], v8, s4 src0_sel:BYTE_3 src1_sel:DWORD
	s_mov_b64 s[4:5], -1
                                        ; implicit-def: $sgpr10
	s_and_saveexec_b64 s[8:9], s[12:13]
; %bb.2266:
	s_mov_b32 s10, 0x7f800001
	s_xor_b64 s[4:5], exec, -1
; %bb.2267:
	s_or_b64 exec, exec, s[8:9]
	s_and_b64 s[4:5], s[4:5], exec
	s_or_saveexec_b64 s[6:7], s[6:7]
	v_mov_b32_e32 v2, s10
	s_xor_b64 exec, exec, s[6:7]
	s_cbranch_execz .LBB50_218
.LBB50_2268:
	v_mov_b32_e32 v2, 0
	v_cmp_ne_u16_sdwa s[8:9], v8, v2 src0_sel:BYTE_3 src1_sel:DWORD
	s_andn2_b64 s[4:5], s[4:5], exec
	s_and_b64 s[8:9], s[8:9], exec
	s_or_b64 s[4:5], s[4:5], s[8:9]
	s_or_b64 exec, exec, s[6:7]
	s_and_saveexec_b64 s[6:7], s[4:5]
	s_cbranch_execnz .LBB50_219
	s_branch .LBB50_220
.LBB50_2269:
	s_movk_i32 s4, 0x80
	v_cmp_eq_u16_sdwa s[12:13], v4, s4 src0_sel:BYTE_3 src1_sel:DWORD
	s_mov_b64 s[4:5], -1
                                        ; implicit-def: $sgpr10
	s_and_saveexec_b64 s[8:9], s[12:13]
; %bb.2270:
	s_mov_b32 s10, 0x7f800001
	s_xor_b64 s[4:5], exec, -1
; %bb.2271:
	s_or_b64 exec, exec, s[8:9]
	s_and_b64 s[4:5], s[4:5], exec
	s_or_saveexec_b64 s[6:7], s[6:7]
	v_mov_b32_e32 v3, s10
	s_xor_b64 exec, exec, s[6:7]
	s_cbranch_execz .LBB50_222
.LBB50_2272:
	v_mov_b32_e32 v3, 0
	v_cmp_ne_u16_sdwa s[8:9], v4, v3 src0_sel:BYTE_3 src1_sel:DWORD
	s_andn2_b64 s[4:5], s[4:5], exec
	s_and_b64 s[8:9], s[8:9], exec
	s_or_b64 s[4:5], s[4:5], s[8:9]
	s_or_b64 exec, exec, s[6:7]
	s_and_saveexec_b64 s[6:7], s[4:5]
	s_cbranch_execnz .LBB50_223
	s_branch .LBB50_224
.LBB50_2273:
	s_movk_i32 s4, 0x80
	v_cmp_eq_u16_sdwa s[12:13], v9, s4 src0_sel:BYTE_0 src1_sel:DWORD
	s_mov_b64 s[4:5], -1
                                        ; implicit-def: $sgpr10
	s_and_saveexec_b64 s[8:9], s[12:13]
; %bb.2274:
	s_mov_b32 s10, 0x7f800001
	s_xor_b64 s[4:5], exec, -1
; %bb.2275:
	s_or_b64 exec, exec, s[8:9]
	s_and_b64 s[4:5], s[4:5], exec
	s_or_saveexec_b64 s[6:7], s[6:7]
	v_mov_b32_e32 v2, s10
	s_xor_b64 exec, exec, s[6:7]
	s_cbranch_execz .LBB50_226
.LBB50_2276:
	v_mov_b32_e32 v2, 0
	v_cmp_ne_u16_sdwa s[8:9], v9, v2 src0_sel:BYTE_0 src1_sel:DWORD
	s_andn2_b64 s[4:5], s[4:5], exec
	s_and_b64 s[8:9], s[8:9], exec
	s_or_b64 s[4:5], s[4:5], s[8:9]
	s_or_b64 exec, exec, s[6:7]
	s_and_saveexec_b64 s[6:7], s[4:5]
	s_cbranch_execnz .LBB50_227
	s_branch .LBB50_228
.LBB50_2277:
	s_movk_i32 s4, 0x80
	v_cmp_eq_u16_sdwa s[12:13], v5, s4 src0_sel:BYTE_0 src1_sel:DWORD
	s_mov_b64 s[4:5], -1
                                        ; implicit-def: $sgpr10
	s_and_saveexec_b64 s[8:9], s[12:13]
; %bb.2278:
	s_mov_b32 s10, 0x7f800001
	s_xor_b64 s[4:5], exec, -1
; %bb.2279:
	s_or_b64 exec, exec, s[8:9]
	s_and_b64 s[4:5], s[4:5], exec
	s_or_saveexec_b64 s[6:7], s[6:7]
	v_mov_b32_e32 v3, s10
	s_xor_b64 exec, exec, s[6:7]
	s_cbranch_execz .LBB50_230
.LBB50_2280:
	v_mov_b32_e32 v3, 0
	v_cmp_ne_u16_sdwa s[8:9], v5, v3 src0_sel:BYTE_0 src1_sel:DWORD
	s_andn2_b64 s[4:5], s[4:5], exec
	s_and_b64 s[8:9], s[8:9], exec
	s_or_b64 s[4:5], s[4:5], s[8:9]
	s_or_b64 exec, exec, s[6:7]
	s_and_saveexec_b64 s[6:7], s[4:5]
	s_cbranch_execnz .LBB50_231
	s_branch .LBB50_232
.LBB50_2281:
	s_movk_i32 s4, 0x80
	v_cmp_eq_u16_sdwa s[12:13], v3, s4 src0_sel:BYTE_0 src1_sel:DWORD
	s_mov_b64 s[4:5], -1
                                        ; implicit-def: $sgpr10
	s_and_saveexec_b64 s[8:9], s[12:13]
; %bb.2282:
	s_mov_b32 s10, 0x7f800001
	s_xor_b64 s[4:5], exec, -1
; %bb.2283:
	s_or_b64 exec, exec, s[8:9]
	s_and_b64 s[4:5], s[4:5], exec
	s_or_saveexec_b64 s[6:7], s[6:7]
	v_mov_b32_e32 v2, s10
	s_xor_b64 exec, exec, s[6:7]
	s_cbranch_execz .LBB50_234
.LBB50_2284:
	v_mov_b32_e32 v2, 0
	v_cmp_ne_u16_sdwa s[8:9], v3, v2 src0_sel:BYTE_0 src1_sel:DWORD
	s_andn2_b64 s[4:5], s[4:5], exec
	s_and_b64 s[8:9], s[8:9], exec
	s_or_b64 s[4:5], s[4:5], s[8:9]
	s_or_b64 exec, exec, s[6:7]
	s_and_saveexec_b64 s[6:7], s[4:5]
	s_cbranch_execnz .LBB50_235
	s_branch .LBB50_236
.LBB50_2285:
	s_movk_i32 s4, 0x80
	v_cmp_eq_u16_sdwa s[12:13], v3, s4 src0_sel:BYTE_0 src1_sel:DWORD
	s_mov_b64 s[4:5], -1
                                        ; implicit-def: $sgpr10
	s_and_saveexec_b64 s[8:9], s[12:13]
; %bb.2286:
	s_mov_b32 s10, 0x7f800001
	s_xor_b64 s[4:5], exec, -1
; %bb.2287:
	s_or_b64 exec, exec, s[8:9]
	s_and_b64 s[4:5], s[4:5], exec
	s_or_saveexec_b64 s[6:7], s[6:7]
	v_mov_b32_e32 v4, s10
	s_xor_b64 exec, exec, s[6:7]
	s_cbranch_execz .LBB50_238
.LBB50_2288:
	v_mov_b32_e32 v4, 0
	v_cmp_ne_u16_sdwa s[8:9], v3, v4 src0_sel:BYTE_0 src1_sel:DWORD
	s_andn2_b64 s[4:5], s[4:5], exec
	s_and_b64 s[8:9], s[8:9], exec
	s_or_b64 s[4:5], s[4:5], s[8:9]
	s_or_b64 exec, exec, s[6:7]
	s_and_saveexec_b64 s[6:7], s[4:5]
	s_cbranch_execnz .LBB50_239
	s_branch .LBB50_240
.LBB50_2289:
	s_movk_i32 s4, 0x80
	v_cmp_eq_u16_e32 vcc, s4, v3
	s_mov_b64 s[4:5], -1
                                        ; implicit-def: $sgpr10
	s_and_saveexec_b64 s[8:9], vcc
; %bb.2290:
	s_mov_b32 s10, 0x7f800001
	s_xor_b64 s[4:5], exec, -1
; %bb.2291:
	s_or_b64 exec, exec, s[8:9]
	s_and_b64 s[4:5], s[4:5], exec
                                        ; implicit-def: $vgpr3
	s_or_saveexec_b64 s[6:7], s[6:7]
	v_mov_b32_e32 v2, s10
	s_xor_b64 exec, exec, s[6:7]
	s_cbranch_execz .LBB50_242
.LBB50_2292:
	v_cmp_ne_u16_e32 vcc, 0, v3
	s_andn2_b64 s[4:5], s[4:5], exec
	s_and_b64 s[8:9], vcc, exec
	v_mov_b32_e32 v2, 0
	s_or_b64 s[4:5], s[4:5], s[8:9]
	s_or_b64 exec, exec, s[6:7]
	s_and_saveexec_b64 s[6:7], s[4:5]
	s_cbranch_execnz .LBB50_243
	s_branch .LBB50_244
.LBB50_2293:
	s_movk_i32 s4, 0x80
	v_cmp_eq_u16_e32 vcc, s4, v3
	s_mov_b64 s[4:5], -1
                                        ; implicit-def: $sgpr10
	s_and_saveexec_b64 s[8:9], vcc
; %bb.2294:
	s_mov_b32 s10, 0x7f800001
	s_xor_b64 s[4:5], exec, -1
; %bb.2295:
	s_or_b64 exec, exec, s[8:9]
	s_and_b64 s[4:5], s[4:5], exec
                                        ; implicit-def: $vgpr3
	s_or_saveexec_b64 s[6:7], s[6:7]
	v_mov_b32_e32 v4, s10
	s_xor_b64 exec, exec, s[6:7]
	s_cbranch_execz .LBB50_246
.LBB50_2296:
	v_cmp_ne_u16_e32 vcc, 0, v3
	s_andn2_b64 s[4:5], s[4:5], exec
	s_and_b64 s[8:9], vcc, exec
	v_mov_b32_e32 v4, 0
	s_or_b64 s[4:5], s[4:5], s[8:9]
	s_or_b64 exec, exec, s[6:7]
	s_and_saveexec_b64 s[6:7], s[4:5]
	s_cbranch_execnz .LBB50_247
	s_branch .LBB50_248
.LBB50_2297:
	s_movk_i32 s4, 0x80
	v_cmp_eq_u16_sdwa s[12:13], v9, s4 src0_sel:BYTE_3 src1_sel:DWORD
	s_mov_b64 s[4:5], -1
                                        ; implicit-def: $sgpr10
	s_and_saveexec_b64 s[8:9], s[12:13]
; %bb.2298:
	s_mov_b32 s10, 0x7f800001
	s_xor_b64 s[4:5], exec, -1
; %bb.2299:
	s_or_b64 exec, exec, s[8:9]
	s_and_b64 s[4:5], s[4:5], exec
	s_or_saveexec_b64 s[6:7], s[6:7]
	v_mov_b32_e32 v2, s10
	s_xor_b64 exec, exec, s[6:7]
	s_cbranch_execz .LBB50_250
.LBB50_2300:
	v_mov_b32_e32 v2, 0
	v_cmp_ne_u16_sdwa s[8:9], v9, v2 src0_sel:BYTE_3 src1_sel:DWORD
	s_andn2_b64 s[4:5], s[4:5], exec
	s_and_b64 s[8:9], s[8:9], exec
	s_or_b64 s[4:5], s[4:5], s[8:9]
	s_or_b64 exec, exec, s[6:7]
	s_and_saveexec_b64 s[6:7], s[4:5]
	s_cbranch_execnz .LBB50_251
	s_branch .LBB50_252
.LBB50_2301:
	s_movk_i32 s4, 0x80
	v_cmp_eq_u16_sdwa s[12:13], v5, s4 src0_sel:BYTE_3 src1_sel:DWORD
	s_mov_b64 s[4:5], -1
                                        ; implicit-def: $sgpr10
	s_and_saveexec_b64 s[8:9], s[12:13]
; %bb.2302:
	s_mov_b32 s10, 0x7f800001
	s_xor_b64 s[4:5], exec, -1
; %bb.2303:
	s_or_b64 exec, exec, s[8:9]
	s_and_b64 s[4:5], s[4:5], exec
	s_or_saveexec_b64 s[6:7], s[6:7]
	v_mov_b32_e32 v3, s10
	s_xor_b64 exec, exec, s[6:7]
	s_cbranch_execz .LBB50_254
.LBB50_2304:
	v_mov_b32_e32 v3, 0
	v_cmp_ne_u16_sdwa s[8:9], v5, v3 src0_sel:BYTE_3 src1_sel:DWORD
	s_andn2_b64 s[4:5], s[4:5], exec
	s_and_b64 s[8:9], s[8:9], exec
	s_or_b64 s[4:5], s[4:5], s[8:9]
	s_or_b64 exec, exec, s[6:7]
	s_and_saveexec_b64 s[6:7], s[4:5]
	s_cbranch_execnz .LBB50_255
	s_branch .LBB50_256
.LBB50_2305:
	s_movk_i32 s4, 0x80
	v_cmp_eq_u16_sdwa s[12:13], v14, s4 src0_sel:BYTE_0 src1_sel:DWORD
	s_mov_b64 s[4:5], -1
                                        ; implicit-def: $sgpr10
	s_and_saveexec_b64 s[8:9], s[12:13]
; %bb.2306:
	s_mov_b32 s10, 0x7f800001
	s_xor_b64 s[4:5], exec, -1
; %bb.2307:
	s_or_b64 exec, exec, s[8:9]
	s_and_b64 s[4:5], s[4:5], exec
	s_or_saveexec_b64 s[6:7], s[6:7]
	v_mov_b32_e32 v20, s10
	s_xor_b64 exec, exec, s[6:7]
	s_cbranch_execz .LBB50_258
.LBB50_2308:
	v_mov_b32_e32 v20, 0
	v_cmp_ne_u16_sdwa s[8:9], v14, v20 src0_sel:BYTE_0 src1_sel:DWORD
	s_andn2_b64 s[4:5], s[4:5], exec
	s_and_b64 s[8:9], s[8:9], exec
	s_or_b64 s[4:5], s[4:5], s[8:9]
	s_or_b64 exec, exec, s[6:7]
	s_and_saveexec_b64 s[6:7], s[4:5]
	s_cbranch_execnz .LBB50_259
	s_branch .LBB50_260
.LBB50_2309:
	s_movk_i32 s4, 0x80
	v_cmp_eq_u16_sdwa s[12:13], v10, s4 src0_sel:BYTE_0 src1_sel:DWORD
	s_mov_b64 s[4:5], -1
                                        ; implicit-def: $sgpr10
	s_and_saveexec_b64 s[8:9], s[12:13]
; %bb.2310:
	s_mov_b32 s10, 0x7f800001
	s_xor_b64 s[4:5], exec, -1
; %bb.2311:
	s_or_b64 exec, exec, s[8:9]
	s_and_b64 s[4:5], s[4:5], exec
	s_or_saveexec_b64 s[6:7], s[6:7]
	v_mov_b32_e32 v21, s10
	s_xor_b64 exec, exec, s[6:7]
	s_cbranch_execz .LBB50_262
.LBB50_2312:
	v_mov_b32_e32 v21, 0
	v_cmp_ne_u16_sdwa s[8:9], v10, v21 src0_sel:BYTE_0 src1_sel:DWORD
	s_andn2_b64 s[4:5], s[4:5], exec
	s_and_b64 s[8:9], s[8:9], exec
	s_or_b64 s[4:5], s[4:5], s[8:9]
	s_or_b64 exec, exec, s[6:7]
	s_and_saveexec_b64 s[6:7], s[4:5]
	s_cbranch_execnz .LBB50_263
	s_branch .LBB50_264
.LBB50_2313:
	s_movk_i32 s4, 0x80
	v_cmp_eq_u16_sdwa s[12:13], v21, s4 src0_sel:BYTE_0 src1_sel:DWORD
	s_mov_b64 s[4:5], -1
                                        ; implicit-def: $sgpr10
	s_and_saveexec_b64 s[8:9], s[12:13]
; %bb.2314:
	s_mov_b32 s10, 0x7f800001
	s_xor_b64 s[4:5], exec, -1
; %bb.2315:
	s_or_b64 exec, exec, s[8:9]
	s_and_b64 s[4:5], s[4:5], exec
	s_or_saveexec_b64 s[6:7], s[6:7]
	v_mov_b32_e32 v20, s10
	s_xor_b64 exec, exec, s[6:7]
	s_cbranch_execz .LBB50_266
.LBB50_2316:
	v_mov_b32_e32 v20, 0
	v_cmp_ne_u16_sdwa s[8:9], v21, v20 src0_sel:BYTE_0 src1_sel:DWORD
	s_andn2_b64 s[4:5], s[4:5], exec
	s_and_b64 s[8:9], s[8:9], exec
	s_or_b64 s[4:5], s[4:5], s[8:9]
	s_or_b64 exec, exec, s[6:7]
	s_and_saveexec_b64 s[6:7], s[4:5]
	s_cbranch_execnz .LBB50_267
	s_branch .LBB50_268
.LBB50_2317:
	s_movk_i32 s4, 0x80
	v_cmp_eq_u16_sdwa s[12:13], v21, s4 src0_sel:BYTE_0 src1_sel:DWORD
	s_mov_b64 s[4:5], -1
                                        ; implicit-def: $sgpr10
	s_and_saveexec_b64 s[8:9], s[12:13]
; %bb.2318:
	s_mov_b32 s10, 0x7f800001
	s_xor_b64 s[4:5], exec, -1
; %bb.2319:
	s_or_b64 exec, exec, s[8:9]
	s_and_b64 s[4:5], s[4:5], exec
	s_or_saveexec_b64 s[6:7], s[6:7]
	v_mov_b32_e32 v22, s10
	s_xor_b64 exec, exec, s[6:7]
	s_cbranch_execz .LBB50_270
.LBB50_2320:
	v_mov_b32_e32 v22, 0
	v_cmp_ne_u16_sdwa s[8:9], v21, v22 src0_sel:BYTE_0 src1_sel:DWORD
	s_andn2_b64 s[4:5], s[4:5], exec
	s_and_b64 s[8:9], s[8:9], exec
	s_or_b64 s[4:5], s[4:5], s[8:9]
	s_or_b64 exec, exec, s[6:7]
	s_and_saveexec_b64 s[6:7], s[4:5]
	s_cbranch_execnz .LBB50_271
	s_branch .LBB50_272
.LBB50_2321:
	s_movk_i32 s4, 0x80
	v_cmp_eq_u16_e32 vcc, s4, v21
	s_mov_b64 s[4:5], -1
                                        ; implicit-def: $sgpr10
	s_and_saveexec_b64 s[8:9], vcc
; %bb.2322:
	s_mov_b32 s10, 0x7f800001
	s_xor_b64 s[4:5], exec, -1
; %bb.2323:
	s_or_b64 exec, exec, s[8:9]
	s_and_b64 s[4:5], s[4:5], exec
                                        ; implicit-def: $vgpr21
	s_or_saveexec_b64 s[6:7], s[6:7]
	v_mov_b32_e32 v20, s10
	s_xor_b64 exec, exec, s[6:7]
	s_cbranch_execz .LBB50_274
.LBB50_2324:
	v_cmp_ne_u16_e32 vcc, 0, v21
	s_andn2_b64 s[4:5], s[4:5], exec
	s_and_b64 s[8:9], vcc, exec
	v_mov_b32_e32 v20, 0
	s_or_b64 s[4:5], s[4:5], s[8:9]
	s_or_b64 exec, exec, s[6:7]
	s_and_saveexec_b64 s[6:7], s[4:5]
	s_cbranch_execnz .LBB50_275
	s_branch .LBB50_276
.LBB50_2325:
	s_movk_i32 s4, 0x80
	v_cmp_eq_u16_e32 vcc, s4, v21
	s_mov_b64 s[4:5], -1
                                        ; implicit-def: $sgpr10
	s_and_saveexec_b64 s[8:9], vcc
; %bb.2326:
	s_mov_b32 s10, 0x7f800001
	s_xor_b64 s[4:5], exec, -1
; %bb.2327:
	s_or_b64 exec, exec, s[8:9]
	s_and_b64 s[4:5], s[4:5], exec
                                        ; implicit-def: $vgpr21
	s_or_saveexec_b64 s[6:7], s[6:7]
	v_mov_b32_e32 v22, s10
	s_xor_b64 exec, exec, s[6:7]
	s_cbranch_execz .LBB50_278
.LBB50_2328:
	v_cmp_ne_u16_e32 vcc, 0, v21
	s_andn2_b64 s[4:5], s[4:5], exec
	s_and_b64 s[8:9], vcc, exec
	v_mov_b32_e32 v22, 0
	s_or_b64 s[4:5], s[4:5], s[8:9]
	s_or_b64 exec, exec, s[6:7]
	s_and_saveexec_b64 s[6:7], s[4:5]
	s_cbranch_execnz .LBB50_279
	s_branch .LBB50_280
.LBB50_2329:
	s_movk_i32 s4, 0x80
	v_cmp_eq_u16_sdwa s[12:13], v14, s4 src0_sel:BYTE_3 src1_sel:DWORD
	s_mov_b64 s[4:5], -1
                                        ; implicit-def: $sgpr10
	s_and_saveexec_b64 s[8:9], s[12:13]
; %bb.2330:
	s_mov_b32 s10, 0x7f800001
	s_xor_b64 s[4:5], exec, -1
; %bb.2331:
	s_or_b64 exec, exec, s[8:9]
	s_and_b64 s[4:5], s[4:5], exec
	s_or_saveexec_b64 s[6:7], s[6:7]
	v_mov_b32_e32 v20, s10
	s_xor_b64 exec, exec, s[6:7]
	s_cbranch_execz .LBB50_282
.LBB50_2332:
	v_mov_b32_e32 v20, 0
	v_cmp_ne_u16_sdwa s[8:9], v14, v20 src0_sel:BYTE_3 src1_sel:DWORD
	s_andn2_b64 s[4:5], s[4:5], exec
	s_and_b64 s[8:9], s[8:9], exec
	s_or_b64 s[4:5], s[4:5], s[8:9]
	s_or_b64 exec, exec, s[6:7]
	s_and_saveexec_b64 s[6:7], s[4:5]
	s_cbranch_execnz .LBB50_283
	s_branch .LBB50_284
.LBB50_2333:
	s_movk_i32 s4, 0x80
	v_cmp_eq_u16_sdwa s[12:13], v10, s4 src0_sel:BYTE_3 src1_sel:DWORD
	s_mov_b64 s[4:5], -1
                                        ; implicit-def: $sgpr10
	s_and_saveexec_b64 s[8:9], s[12:13]
; %bb.2334:
	s_mov_b32 s10, 0x7f800001
	s_xor_b64 s[4:5], exec, -1
; %bb.2335:
	s_or_b64 exec, exec, s[8:9]
	s_and_b64 s[4:5], s[4:5], exec
	s_or_saveexec_b64 s[6:7], s[6:7]
	v_mov_b32_e32 v14, s10
	s_xor_b64 exec, exec, s[6:7]
	s_cbranch_execz .LBB50_286
.LBB50_2336:
	v_mov_b32_e32 v14, 0
	v_cmp_ne_u16_sdwa s[8:9], v10, v14 src0_sel:BYTE_3 src1_sel:DWORD
	s_andn2_b64 s[4:5], s[4:5], exec
	s_and_b64 s[8:9], s[8:9], exec
	s_or_b64 s[4:5], s[4:5], s[8:9]
	s_or_b64 exec, exec, s[6:7]
	s_and_saveexec_b64 s[6:7], s[4:5]
	s_cbranch_execnz .LBB50_287
	s_branch .LBB50_288
.LBB50_2337:
	s_movk_i32 s4, 0x80
	v_cmp_eq_u16_sdwa s[12:13], v15, s4 src0_sel:BYTE_0 src1_sel:DWORD
	s_mov_b64 s[4:5], -1
                                        ; implicit-def: $sgpr10
	s_and_saveexec_b64 s[8:9], s[12:13]
; %bb.2338:
	s_mov_b32 s10, 0x7f800001
	s_xor_b64 s[4:5], exec, -1
; %bb.2339:
	s_or_b64 exec, exec, s[8:9]
	s_and_b64 s[4:5], s[4:5], exec
	s_or_saveexec_b64 s[6:7], s[6:7]
	v_mov_b32_e32 v10, s10
	s_xor_b64 exec, exec, s[6:7]
	s_cbranch_execz .LBB50_290
.LBB50_2340:
	v_mov_b32_e32 v10, 0
	v_cmp_ne_u16_sdwa s[8:9], v15, v10 src0_sel:BYTE_0 src1_sel:DWORD
	s_andn2_b64 s[4:5], s[4:5], exec
	s_and_b64 s[8:9], s[8:9], exec
	s_or_b64 s[4:5], s[4:5], s[8:9]
	s_or_b64 exec, exec, s[6:7]
	s_and_saveexec_b64 s[6:7], s[4:5]
	s_cbranch_execnz .LBB50_291
	s_branch .LBB50_292
.LBB50_2341:
	s_movk_i32 s4, 0x80
	v_cmp_eq_u16_sdwa s[12:13], v11, s4 src0_sel:BYTE_0 src1_sel:DWORD
	s_mov_b64 s[4:5], -1
                                        ; implicit-def: $sgpr10
	s_and_saveexec_b64 s[8:9], s[12:13]
; %bb.2342:
	s_mov_b32 s10, 0x7f800001
	s_xor_b64 s[4:5], exec, -1
; %bb.2343:
	s_or_b64 exec, exec, s[8:9]
	s_and_b64 s[4:5], s[4:5], exec
	s_or_saveexec_b64 s[6:7], s[6:7]
	v_mov_b32_e32 v14, s10
	s_xor_b64 exec, exec, s[6:7]
	s_cbranch_execz .LBB50_294
.LBB50_2344:
	v_mov_b32_e32 v14, 0
	v_cmp_ne_u16_sdwa s[8:9], v11, v14 src0_sel:BYTE_0 src1_sel:DWORD
	s_andn2_b64 s[4:5], s[4:5], exec
	s_and_b64 s[8:9], s[8:9], exec
	s_or_b64 s[4:5], s[4:5], s[8:9]
	s_or_b64 exec, exec, s[6:7]
	s_and_saveexec_b64 s[6:7], s[4:5]
	s_cbranch_execnz .LBB50_295
	s_branch .LBB50_296
.LBB50_2345:
	s_movk_i32 s4, 0x80
	v_cmp_eq_u16_sdwa s[12:13], v14, s4 src0_sel:BYTE_0 src1_sel:DWORD
	s_mov_b64 s[4:5], -1
                                        ; implicit-def: $sgpr10
	s_and_saveexec_b64 s[8:9], s[12:13]
; %bb.2346:
	s_mov_b32 s10, 0x7f800001
	s_xor_b64 s[4:5], exec, -1
; %bb.2347:
	s_or_b64 exec, exec, s[8:9]
	s_and_b64 s[4:5], s[4:5], exec
	s_or_saveexec_b64 s[6:7], s[6:7]
	v_mov_b32_e32 v10, s10
	s_xor_b64 exec, exec, s[6:7]
	s_cbranch_execz .LBB50_298
.LBB50_2348:
	v_mov_b32_e32 v10, 0
	v_cmp_ne_u16_sdwa s[8:9], v14, v10 src0_sel:BYTE_0 src1_sel:DWORD
	s_andn2_b64 s[4:5], s[4:5], exec
	s_and_b64 s[8:9], s[8:9], exec
	s_or_b64 s[4:5], s[4:5], s[8:9]
	s_or_b64 exec, exec, s[6:7]
	s_and_saveexec_b64 s[6:7], s[4:5]
	s_cbranch_execnz .LBB50_299
	s_branch .LBB50_300
.LBB50_2349:
	s_movk_i32 s4, 0x80
	v_cmp_eq_u16_sdwa s[12:13], v14, s4 src0_sel:BYTE_0 src1_sel:DWORD
	s_mov_b64 s[4:5], -1
                                        ; implicit-def: $sgpr10
	s_and_saveexec_b64 s[8:9], s[12:13]
; %bb.2350:
	s_mov_b32 s10, 0x7f800001
	s_xor_b64 s[4:5], exec, -1
; %bb.2351:
	s_or_b64 exec, exec, s[8:9]
	s_and_b64 s[4:5], s[4:5], exec
	s_or_saveexec_b64 s[6:7], s[6:7]
	v_mov_b32_e32 v20, s10
	s_xor_b64 exec, exec, s[6:7]
	s_cbranch_execz .LBB50_302
.LBB50_2352:
	v_mov_b32_e32 v20, 0
	v_cmp_ne_u16_sdwa s[8:9], v14, v20 src0_sel:BYTE_0 src1_sel:DWORD
	s_andn2_b64 s[4:5], s[4:5], exec
	s_and_b64 s[8:9], s[8:9], exec
	s_or_b64 s[4:5], s[4:5], s[8:9]
	s_or_b64 exec, exec, s[6:7]
	s_and_saveexec_b64 s[6:7], s[4:5]
	s_cbranch_execnz .LBB50_303
	s_branch .LBB50_304
.LBB50_2353:
	s_movk_i32 s4, 0x80
	v_cmp_eq_u16_e32 vcc, s4, v14
	s_mov_b64 s[4:5], -1
                                        ; implicit-def: $sgpr10
	s_and_saveexec_b64 s[8:9], vcc
; %bb.2354:
	s_mov_b32 s10, 0x7f800001
	s_xor_b64 s[4:5], exec, -1
; %bb.2355:
	s_or_b64 exec, exec, s[8:9]
	s_and_b64 s[4:5], s[4:5], exec
                                        ; implicit-def: $vgpr14
	s_or_saveexec_b64 s[6:7], s[6:7]
	v_mov_b32_e32 v10, s10
	s_xor_b64 exec, exec, s[6:7]
	s_cbranch_execz .LBB50_306
.LBB50_2356:
	v_cmp_ne_u16_e32 vcc, 0, v14
	s_andn2_b64 s[4:5], s[4:5], exec
	s_and_b64 s[8:9], vcc, exec
	v_mov_b32_e32 v10, 0
	s_or_b64 s[4:5], s[4:5], s[8:9]
	s_or_b64 exec, exec, s[6:7]
	s_and_saveexec_b64 s[6:7], s[4:5]
	s_cbranch_execnz .LBB50_307
	s_branch .LBB50_308
.LBB50_2357:
	s_movk_i32 s4, 0x80
	v_cmp_eq_u16_e32 vcc, s4, v14
	s_mov_b64 s[4:5], -1
                                        ; implicit-def: $sgpr10
	s_and_saveexec_b64 s[8:9], vcc
; %bb.2358:
	s_mov_b32 s10, 0x7f800001
	s_xor_b64 s[4:5], exec, -1
; %bb.2359:
	s_or_b64 exec, exec, s[8:9]
	s_and_b64 s[4:5], s[4:5], exec
                                        ; implicit-def: $vgpr14
	s_or_saveexec_b64 s[6:7], s[6:7]
	v_mov_b32_e32 v20, s10
	s_xor_b64 exec, exec, s[6:7]
	s_cbranch_execz .LBB50_310
.LBB50_2360:
	v_cmp_ne_u16_e32 vcc, 0, v14
	s_andn2_b64 s[4:5], s[4:5], exec
	s_and_b64 s[8:9], vcc, exec
	v_mov_b32_e32 v20, 0
	s_or_b64 s[4:5], s[4:5], s[8:9]
	s_or_b64 exec, exec, s[6:7]
	s_and_saveexec_b64 s[6:7], s[4:5]
	s_cbranch_execnz .LBB50_311
	s_branch .LBB50_312
.LBB50_2361:
	s_movk_i32 s4, 0x80
	v_cmp_eq_u16_sdwa s[12:13], v15, s4 src0_sel:BYTE_3 src1_sel:DWORD
	s_mov_b64 s[4:5], -1
                                        ; implicit-def: $sgpr10
	s_and_saveexec_b64 s[8:9], s[12:13]
; %bb.2362:
	s_mov_b32 s10, 0x7f800001
	s_xor_b64 s[4:5], exec, -1
; %bb.2363:
	s_or_b64 exec, exec, s[8:9]
	s_and_b64 s[4:5], s[4:5], exec
	s_or_saveexec_b64 s[6:7], s[6:7]
	v_mov_b32_e32 v10, s10
	s_xor_b64 exec, exec, s[6:7]
	s_cbranch_execz .LBB50_314
.LBB50_2364:
	v_mov_b32_e32 v10, 0
	v_cmp_ne_u16_sdwa s[8:9], v15, v10 src0_sel:BYTE_3 src1_sel:DWORD
	s_andn2_b64 s[4:5], s[4:5], exec
	s_and_b64 s[8:9], s[8:9], exec
	s_or_b64 s[4:5], s[4:5], s[8:9]
	s_or_b64 exec, exec, s[6:7]
	s_and_saveexec_b64 s[6:7], s[4:5]
	s_cbranch_execnz .LBB50_315
	s_branch .LBB50_316
.LBB50_2365:
	s_movk_i32 s4, 0x80
	v_cmp_eq_u16_sdwa s[12:13], v11, s4 src0_sel:BYTE_3 src1_sel:DWORD
	s_mov_b64 s[4:5], -1
                                        ; implicit-def: $sgpr10
	s_and_saveexec_b64 s[8:9], s[12:13]
; %bb.2366:
	s_mov_b32 s10, 0x7f800001
	s_xor_b64 s[4:5], exec, -1
; %bb.2367:
	s_or_b64 exec, exec, s[8:9]
	s_and_b64 s[4:5], s[4:5], exec
	s_or_saveexec_b64 s[6:7], s[6:7]
	v_mov_b32_e32 v14, s10
	s_xor_b64 exec, exec, s[6:7]
	s_cbranch_execz .LBB50_318
.LBB50_2368:
	v_mov_b32_e32 v14, 0
	v_cmp_ne_u16_sdwa s[8:9], v11, v14 src0_sel:BYTE_3 src1_sel:DWORD
	s_andn2_b64 s[4:5], s[4:5], exec
	s_and_b64 s[8:9], s[8:9], exec
	s_or_b64 s[4:5], s[4:5], s[8:9]
	s_or_b64 exec, exec, s[6:7]
	s_and_saveexec_b64 s[6:7], s[4:5]
	s_cbranch_execnz .LBB50_319
	s_branch .LBB50_320
.LBB50_2369:
	s_movk_i32 s4, 0x80
	v_cmp_eq_u16_sdwa s[12:13], v16, s4 src0_sel:BYTE_0 src1_sel:DWORD
	s_mov_b64 s[4:5], -1
                                        ; implicit-def: $sgpr10
	s_and_saveexec_b64 s[8:9], s[12:13]
; %bb.2370:
	s_mov_b32 s10, 0x7f800001
	s_xor_b64 s[4:5], exec, -1
; %bb.2371:
	s_or_b64 exec, exec, s[8:9]
	s_and_b64 s[4:5], s[4:5], exec
	s_or_saveexec_b64 s[6:7], s[6:7]
	v_mov_b32_e32 v10, s10
	s_xor_b64 exec, exec, s[6:7]
	s_cbranch_execz .LBB50_322
.LBB50_2372:
	v_mov_b32_e32 v10, 0
	v_cmp_ne_u16_sdwa s[8:9], v16, v10 src0_sel:BYTE_0 src1_sel:DWORD
	s_andn2_b64 s[4:5], s[4:5], exec
	s_and_b64 s[8:9], s[8:9], exec
	s_or_b64 s[4:5], s[4:5], s[8:9]
	s_or_b64 exec, exec, s[6:7]
	s_and_saveexec_b64 s[6:7], s[4:5]
	s_cbranch_execnz .LBB50_323
	s_branch .LBB50_324
.LBB50_2373:
	s_movk_i32 s4, 0x80
	v_cmp_eq_u16_sdwa s[12:13], v12, s4 src0_sel:BYTE_0 src1_sel:DWORD
	s_mov_b64 s[4:5], -1
                                        ; implicit-def: $sgpr10
	s_and_saveexec_b64 s[8:9], s[12:13]
; %bb.2374:
	s_mov_b32 s10, 0x7f800001
	s_xor_b64 s[4:5], exec, -1
; %bb.2375:
	s_or_b64 exec, exec, s[8:9]
	s_and_b64 s[4:5], s[4:5], exec
	s_or_saveexec_b64 s[6:7], s[6:7]
	v_mov_b32_e32 v11, s10
	s_xor_b64 exec, exec, s[6:7]
	s_cbranch_execz .LBB50_326
.LBB50_2376:
	v_mov_b32_e32 v11, 0
	v_cmp_ne_u16_sdwa s[8:9], v12, v11 src0_sel:BYTE_0 src1_sel:DWORD
	s_andn2_b64 s[4:5], s[4:5], exec
	s_and_b64 s[8:9], s[8:9], exec
	s_or_b64 s[4:5], s[4:5], s[8:9]
	s_or_b64 exec, exec, s[6:7]
	s_and_saveexec_b64 s[6:7], s[4:5]
	s_cbranch_execnz .LBB50_327
	s_branch .LBB50_328
.LBB50_2377:
	s_movk_i32 s4, 0x80
	v_cmp_eq_u16_sdwa s[12:13], v11, s4 src0_sel:BYTE_0 src1_sel:DWORD
	s_mov_b64 s[4:5], -1
                                        ; implicit-def: $sgpr10
	s_and_saveexec_b64 s[8:9], s[12:13]
; %bb.2378:
	s_mov_b32 s10, 0x7f800001
	s_xor_b64 s[4:5], exec, -1
; %bb.2379:
	s_or_b64 exec, exec, s[8:9]
	s_and_b64 s[4:5], s[4:5], exec
	s_or_saveexec_b64 s[6:7], s[6:7]
	v_mov_b32_e32 v10, s10
	s_xor_b64 exec, exec, s[6:7]
	s_cbranch_execz .LBB50_330
.LBB50_2380:
	v_mov_b32_e32 v10, 0
	v_cmp_ne_u16_sdwa s[8:9], v11, v10 src0_sel:BYTE_0 src1_sel:DWORD
	s_andn2_b64 s[4:5], s[4:5], exec
	s_and_b64 s[8:9], s[8:9], exec
	s_or_b64 s[4:5], s[4:5], s[8:9]
	s_or_b64 exec, exec, s[6:7]
	s_and_saveexec_b64 s[6:7], s[4:5]
	s_cbranch_execnz .LBB50_331
	s_branch .LBB50_332
.LBB50_2381:
	s_movk_i32 s4, 0x80
	v_cmp_eq_u16_sdwa s[12:13], v11, s4 src0_sel:BYTE_0 src1_sel:DWORD
	s_mov_b64 s[4:5], -1
                                        ; implicit-def: $sgpr10
	s_and_saveexec_b64 s[8:9], s[12:13]
; %bb.2382:
	s_mov_b32 s10, 0x7f800001
	s_xor_b64 s[4:5], exec, -1
; %bb.2383:
	s_or_b64 exec, exec, s[8:9]
	s_and_b64 s[4:5], s[4:5], exec
	s_or_saveexec_b64 s[6:7], s[6:7]
	v_mov_b32_e32 v14, s10
	s_xor_b64 exec, exec, s[6:7]
	s_cbranch_execz .LBB50_334
.LBB50_2384:
	v_mov_b32_e32 v14, 0
	v_cmp_ne_u16_sdwa s[8:9], v11, v14 src0_sel:BYTE_0 src1_sel:DWORD
	s_andn2_b64 s[4:5], s[4:5], exec
	s_and_b64 s[8:9], s[8:9], exec
	s_or_b64 s[4:5], s[4:5], s[8:9]
	s_or_b64 exec, exec, s[6:7]
	s_and_saveexec_b64 s[6:7], s[4:5]
	s_cbranch_execnz .LBB50_335
	s_branch .LBB50_336
.LBB50_2385:
	s_movk_i32 s4, 0x80
	v_cmp_eq_u16_e32 vcc, s4, v11
	s_mov_b64 s[4:5], -1
                                        ; implicit-def: $sgpr10
	s_and_saveexec_b64 s[8:9], vcc
; %bb.2386:
	s_mov_b32 s10, 0x7f800001
	s_xor_b64 s[4:5], exec, -1
; %bb.2387:
	s_or_b64 exec, exec, s[8:9]
	s_and_b64 s[4:5], s[4:5], exec
                                        ; implicit-def: $vgpr11
	s_or_saveexec_b64 s[6:7], s[6:7]
	v_mov_b32_e32 v10, s10
	s_xor_b64 exec, exec, s[6:7]
	s_cbranch_execz .LBB50_338
.LBB50_2388:
	v_cmp_ne_u16_e32 vcc, 0, v11
	s_andn2_b64 s[4:5], s[4:5], exec
	s_and_b64 s[8:9], vcc, exec
	v_mov_b32_e32 v10, 0
	s_or_b64 s[4:5], s[4:5], s[8:9]
	s_or_b64 exec, exec, s[6:7]
	s_and_saveexec_b64 s[6:7], s[4:5]
	s_cbranch_execnz .LBB50_339
	s_branch .LBB50_340
.LBB50_2389:
	s_movk_i32 s4, 0x80
	v_cmp_eq_u16_e32 vcc, s4, v11
	s_mov_b64 s[4:5], -1
                                        ; implicit-def: $sgpr10
	s_and_saveexec_b64 s[8:9], vcc
; %bb.2390:
	s_mov_b32 s10, 0x7f800001
	s_xor_b64 s[4:5], exec, -1
; %bb.2391:
	s_or_b64 exec, exec, s[8:9]
	s_and_b64 s[4:5], s[4:5], exec
                                        ; implicit-def: $vgpr11
	s_or_saveexec_b64 s[6:7], s[6:7]
	v_mov_b32_e32 v14, s10
	s_xor_b64 exec, exec, s[6:7]
	s_cbranch_execz .LBB50_342
.LBB50_2392:
	v_cmp_ne_u16_e32 vcc, 0, v11
	s_andn2_b64 s[4:5], s[4:5], exec
	s_and_b64 s[8:9], vcc, exec
	v_mov_b32_e32 v14, 0
	s_or_b64 s[4:5], s[4:5], s[8:9]
	s_or_b64 exec, exec, s[6:7]
	s_and_saveexec_b64 s[6:7], s[4:5]
	s_cbranch_execnz .LBB50_343
	s_branch .LBB50_344
.LBB50_2393:
	s_movk_i32 s4, 0x80
	v_cmp_eq_u16_sdwa s[12:13], v16, s4 src0_sel:BYTE_3 src1_sel:DWORD
	s_mov_b64 s[4:5], -1
                                        ; implicit-def: $sgpr10
	s_and_saveexec_b64 s[8:9], s[12:13]
; %bb.2394:
	s_mov_b32 s10, 0x7f800001
	s_xor_b64 s[4:5], exec, -1
; %bb.2395:
	s_or_b64 exec, exec, s[8:9]
	s_and_b64 s[4:5], s[4:5], exec
	s_or_saveexec_b64 s[6:7], s[6:7]
	v_mov_b32_e32 v10, s10
	s_xor_b64 exec, exec, s[6:7]
	s_cbranch_execz .LBB50_346
.LBB50_2396:
	v_mov_b32_e32 v10, 0
	v_cmp_ne_u16_sdwa s[8:9], v16, v10 src0_sel:BYTE_3 src1_sel:DWORD
	s_andn2_b64 s[4:5], s[4:5], exec
	s_and_b64 s[8:9], s[8:9], exec
	s_or_b64 s[4:5], s[4:5], s[8:9]
	s_or_b64 exec, exec, s[6:7]
	s_and_saveexec_b64 s[6:7], s[4:5]
	s_cbranch_execnz .LBB50_347
	s_branch .LBB50_348
.LBB50_2397:
	s_movk_i32 s4, 0x80
	v_cmp_eq_u16_sdwa s[12:13], v12, s4 src0_sel:BYTE_3 src1_sel:DWORD
	s_mov_b64 s[4:5], -1
                                        ; implicit-def: $sgpr10
	s_and_saveexec_b64 s[8:9], s[12:13]
; %bb.2398:
	s_mov_b32 s10, 0x7f800001
	s_xor_b64 s[4:5], exec, -1
; %bb.2399:
	s_or_b64 exec, exec, s[8:9]
	s_and_b64 s[4:5], s[4:5], exec
	s_or_saveexec_b64 s[6:7], s[6:7]
	v_mov_b32_e32 v11, s10
	s_xor_b64 exec, exec, s[6:7]
	s_cbranch_execz .LBB50_350
.LBB50_2400:
	v_mov_b32_e32 v11, 0
	v_cmp_ne_u16_sdwa s[8:9], v12, v11 src0_sel:BYTE_3 src1_sel:DWORD
	s_andn2_b64 s[4:5], s[4:5], exec
	s_and_b64 s[8:9], s[8:9], exec
	s_or_b64 s[4:5], s[4:5], s[8:9]
	s_or_b64 exec, exec, s[6:7]
	s_and_saveexec_b64 s[6:7], s[4:5]
	s_cbranch_execnz .LBB50_351
	s_branch .LBB50_352
.LBB50_2401:
	s_movk_i32 s4, 0x80
	v_cmp_eq_u16_sdwa s[12:13], v17, s4 src0_sel:BYTE_0 src1_sel:DWORD
	s_mov_b64 s[4:5], -1
                                        ; implicit-def: $sgpr10
	s_and_saveexec_b64 s[8:9], s[12:13]
; %bb.2402:
	s_mov_b32 s10, 0x7f800001
	s_xor_b64 s[4:5], exec, -1
; %bb.2403:
	s_or_b64 exec, exec, s[8:9]
	s_and_b64 s[4:5], s[4:5], exec
	s_or_saveexec_b64 s[6:7], s[6:7]
	v_mov_b32_e32 v10, s10
	s_xor_b64 exec, exec, s[6:7]
	s_cbranch_execz .LBB50_354
.LBB50_2404:
	v_mov_b32_e32 v10, 0
	v_cmp_ne_u16_sdwa s[8:9], v17, v10 src0_sel:BYTE_0 src1_sel:DWORD
	s_andn2_b64 s[4:5], s[4:5], exec
	s_and_b64 s[8:9], s[8:9], exec
	s_or_b64 s[4:5], s[4:5], s[8:9]
	s_or_b64 exec, exec, s[6:7]
	s_and_saveexec_b64 s[6:7], s[4:5]
	s_cbranch_execnz .LBB50_355
	s_branch .LBB50_356
.LBB50_2405:
	s_movk_i32 s4, 0x80
	v_cmp_eq_u16_sdwa s[12:13], v13, s4 src0_sel:BYTE_0 src1_sel:DWORD
	s_mov_b64 s[4:5], -1
                                        ; implicit-def: $sgpr10
	s_and_saveexec_b64 s[8:9], s[12:13]
; %bb.2406:
	s_mov_b32 s10, 0x7f800001
	s_xor_b64 s[4:5], exec, -1
; %bb.2407:
	s_or_b64 exec, exec, s[8:9]
	s_and_b64 s[4:5], s[4:5], exec
	s_or_saveexec_b64 s[6:7], s[6:7]
	v_mov_b32_e32 v11, s10
	s_xor_b64 exec, exec, s[6:7]
	s_cbranch_execz .LBB50_358
.LBB50_2408:
	v_mov_b32_e32 v11, 0
	v_cmp_ne_u16_sdwa s[8:9], v13, v11 src0_sel:BYTE_0 src1_sel:DWORD
	s_andn2_b64 s[4:5], s[4:5], exec
	s_and_b64 s[8:9], s[8:9], exec
	s_or_b64 s[4:5], s[4:5], s[8:9]
	s_or_b64 exec, exec, s[6:7]
	s_and_saveexec_b64 s[6:7], s[4:5]
	s_cbranch_execnz .LBB50_359
	s_branch .LBB50_360
.LBB50_2409:
	s_movk_i32 s4, 0x80
	v_cmp_eq_u16_sdwa s[12:13], v11, s4 src0_sel:BYTE_0 src1_sel:DWORD
	s_mov_b64 s[4:5], -1
                                        ; implicit-def: $sgpr10
	s_and_saveexec_b64 s[8:9], s[12:13]
; %bb.2410:
	s_mov_b32 s10, 0x7f800001
	s_xor_b64 s[4:5], exec, -1
; %bb.2411:
	s_or_b64 exec, exec, s[8:9]
	s_and_b64 s[4:5], s[4:5], exec
	s_or_saveexec_b64 s[6:7], s[6:7]
	v_mov_b32_e32 v10, s10
	s_xor_b64 exec, exec, s[6:7]
	s_cbranch_execz .LBB50_362
.LBB50_2412:
	v_mov_b32_e32 v10, 0
	v_cmp_ne_u16_sdwa s[8:9], v11, v10 src0_sel:BYTE_0 src1_sel:DWORD
	s_andn2_b64 s[4:5], s[4:5], exec
	s_and_b64 s[8:9], s[8:9], exec
	s_or_b64 s[4:5], s[4:5], s[8:9]
	s_or_b64 exec, exec, s[6:7]
	s_and_saveexec_b64 s[6:7], s[4:5]
	s_cbranch_execnz .LBB50_363
	s_branch .LBB50_364
.LBB50_2413:
	s_movk_i32 s4, 0x80
	v_cmp_eq_u16_sdwa s[12:13], v11, s4 src0_sel:BYTE_0 src1_sel:DWORD
	s_mov_b64 s[4:5], -1
                                        ; implicit-def: $sgpr10
	s_and_saveexec_b64 s[8:9], s[12:13]
; %bb.2414:
	s_mov_b32 s10, 0x7f800001
	s_xor_b64 s[4:5], exec, -1
; %bb.2415:
	s_or_b64 exec, exec, s[8:9]
	s_and_b64 s[4:5], s[4:5], exec
	s_or_saveexec_b64 s[6:7], s[6:7]
	v_mov_b32_e32 v12, s10
	s_xor_b64 exec, exec, s[6:7]
	s_cbranch_execz .LBB50_366
.LBB50_2416:
	v_mov_b32_e32 v12, 0
	v_cmp_ne_u16_sdwa s[8:9], v11, v12 src0_sel:BYTE_0 src1_sel:DWORD
	s_andn2_b64 s[4:5], s[4:5], exec
	s_and_b64 s[8:9], s[8:9], exec
	s_or_b64 s[4:5], s[4:5], s[8:9]
	s_or_b64 exec, exec, s[6:7]
	s_and_saveexec_b64 s[6:7], s[4:5]
	s_cbranch_execnz .LBB50_367
	s_branch .LBB50_368
.LBB50_2417:
	s_movk_i32 s4, 0x80
	v_cmp_eq_u16_e32 vcc, s4, v11
	s_mov_b64 s[4:5], -1
                                        ; implicit-def: $sgpr10
	s_and_saveexec_b64 s[8:9], vcc
; %bb.2418:
	s_mov_b32 s10, 0x7f800001
	s_xor_b64 s[4:5], exec, -1
; %bb.2419:
	s_or_b64 exec, exec, s[8:9]
	s_and_b64 s[4:5], s[4:5], exec
                                        ; implicit-def: $vgpr11
	s_or_saveexec_b64 s[6:7], s[6:7]
	v_mov_b32_e32 v10, s10
	s_xor_b64 exec, exec, s[6:7]
	s_cbranch_execz .LBB50_370
.LBB50_2420:
	v_cmp_ne_u16_e32 vcc, 0, v11
	s_andn2_b64 s[4:5], s[4:5], exec
	s_and_b64 s[8:9], vcc, exec
	v_mov_b32_e32 v10, 0
	s_or_b64 s[4:5], s[4:5], s[8:9]
	s_or_b64 exec, exec, s[6:7]
	s_and_saveexec_b64 s[6:7], s[4:5]
	s_cbranch_execnz .LBB50_371
	s_branch .LBB50_372
.LBB50_2421:
	s_movk_i32 s4, 0x80
	v_cmp_eq_u16_e32 vcc, s4, v11
	s_mov_b64 s[4:5], -1
                                        ; implicit-def: $sgpr10
	s_and_saveexec_b64 s[8:9], vcc
; %bb.2422:
	s_mov_b32 s10, 0x7f800001
	s_xor_b64 s[4:5], exec, -1
; %bb.2423:
	s_or_b64 exec, exec, s[8:9]
	s_and_b64 s[4:5], s[4:5], exec
                                        ; implicit-def: $vgpr11
	s_or_saveexec_b64 s[6:7], s[6:7]
	v_mov_b32_e32 v12, s10
	s_xor_b64 exec, exec, s[6:7]
	s_cbranch_execz .LBB50_374
.LBB50_2424:
	v_cmp_ne_u16_e32 vcc, 0, v11
	s_andn2_b64 s[4:5], s[4:5], exec
	s_and_b64 s[8:9], vcc, exec
	v_mov_b32_e32 v12, 0
	s_or_b64 s[4:5], s[4:5], s[8:9]
	s_or_b64 exec, exec, s[6:7]
	s_and_saveexec_b64 s[6:7], s[4:5]
	s_cbranch_execnz .LBB50_375
	s_branch .LBB50_376
.LBB50_2425:
	s_movk_i32 s4, 0x80
	v_cmp_eq_u16_sdwa s[12:13], v17, s4 src0_sel:BYTE_3 src1_sel:DWORD
	s_mov_b64 s[4:5], -1
                                        ; implicit-def: $sgpr10
	s_and_saveexec_b64 s[8:9], s[12:13]
; %bb.2426:
	s_mov_b32 s10, 0x7f800001
	s_xor_b64 s[4:5], exec, -1
; %bb.2427:
	s_or_b64 exec, exec, s[8:9]
	s_and_b64 s[4:5], s[4:5], exec
	s_or_saveexec_b64 s[6:7], s[6:7]
	v_mov_b32_e32 v10, s10
	s_xor_b64 exec, exec, s[6:7]
	s_cbranch_execz .LBB50_378
.LBB50_2428:
	v_mov_b32_e32 v10, 0
	v_cmp_ne_u16_sdwa s[8:9], v17, v10 src0_sel:BYTE_3 src1_sel:DWORD
	s_andn2_b64 s[4:5], s[4:5], exec
	s_and_b64 s[8:9], s[8:9], exec
	s_or_b64 s[4:5], s[4:5], s[8:9]
	s_or_b64 exec, exec, s[6:7]
	s_and_saveexec_b64 s[6:7], s[4:5]
	s_cbranch_execnz .LBB50_379
	s_branch .LBB50_380
.LBB50_2429:
	s_movk_i32 s4, 0x80
	v_cmp_eq_u16_sdwa s[12:13], v13, s4 src0_sel:BYTE_3 src1_sel:DWORD
	s_mov_b64 s[4:5], -1
                                        ; implicit-def: $sgpr10
	s_and_saveexec_b64 s[8:9], s[12:13]
; %bb.2430:
	s_mov_b32 s10, 0x7f800001
	s_xor_b64 s[4:5], exec, -1
; %bb.2431:
	s_or_b64 exec, exec, s[8:9]
	s_and_b64 s[4:5], s[4:5], exec
	s_or_saveexec_b64 s[6:7], s[6:7]
	v_mov_b32_e32 v11, s10
	s_xor_b64 exec, exec, s[6:7]
	s_cbranch_execz .LBB50_382
.LBB50_2432:
	v_mov_b32_e32 v11, 0
	v_cmp_ne_u16_sdwa s[8:9], v13, v11 src0_sel:BYTE_3 src1_sel:DWORD
	s_andn2_b64 s[4:5], s[4:5], exec
	s_and_b64 s[8:9], s[8:9], exec
	s_or_b64 s[4:5], s[4:5], s[8:9]
	s_or_b64 exec, exec, s[6:7]
	s_and_saveexec_b64 s[6:7], s[4:5]
	s_cbranch_execnz .LBB50_383
	s_branch .LBB50_384
.LBB50_2433:
	s_movk_i32 s4, 0x80
	v_cmp_eq_u16_sdwa s[12:13], v6, s4 src0_sel:BYTE_0 src1_sel:DWORD
	s_mov_b64 s[4:5], -1
                                        ; implicit-def: $sgpr10
	s_and_saveexec_b64 s[8:9], s[12:13]
; %bb.2434:
	s_mov_b32 s10, 0x7f800001
	s_xor_b64 s[4:5], exec, -1
; %bb.2435:
	s_or_b64 exec, exec, s[8:9]
	s_and_b64 s[4:5], s[4:5], exec
	s_or_saveexec_b64 s[6:7], s[6:7]
	v_mov_b32_e32 v10, s10
	s_xor_b64 exec, exec, s[6:7]
	s_cbranch_execz .LBB50_386
.LBB50_2436:
	v_mov_b32_e32 v10, 0
	v_cmp_ne_u16_sdwa s[8:9], v6, v10 src0_sel:BYTE_0 src1_sel:DWORD
	s_andn2_b64 s[4:5], s[4:5], exec
	s_and_b64 s[8:9], s[8:9], exec
	s_or_b64 s[4:5], s[4:5], s[8:9]
	s_or_b64 exec, exec, s[6:7]
	s_and_saveexec_b64 s[6:7], s[4:5]
	s_cbranch_execnz .LBB50_387
	s_branch .LBB50_388
.LBB50_2437:
	s_movk_i32 s4, 0x80
	v_cmp_eq_u16_sdwa s[12:13], v2, s4 src0_sel:BYTE_0 src1_sel:DWORD
	s_mov_b64 s[4:5], -1
                                        ; implicit-def: $sgpr10
	s_and_saveexec_b64 s[8:9], s[12:13]
; %bb.2438:
	s_mov_b32 s10, 0x7f800001
	s_xor_b64 s[4:5], exec, -1
; %bb.2439:
	s_or_b64 exec, exec, s[8:9]
	s_and_b64 s[4:5], s[4:5], exec
	s_or_saveexec_b64 s[6:7], s[6:7]
	v_mov_b32_e32 v11, s10
	s_xor_b64 exec, exec, s[6:7]
	s_cbranch_execz .LBB50_390
.LBB50_2440:
	v_mov_b32_e32 v11, 0
	v_cmp_ne_u16_sdwa s[8:9], v2, v11 src0_sel:BYTE_0 src1_sel:DWORD
	s_andn2_b64 s[4:5], s[4:5], exec
	s_and_b64 s[8:9], s[8:9], exec
	s_or_b64 s[4:5], s[4:5], s[8:9]
	s_or_b64 exec, exec, s[6:7]
	s_and_saveexec_b64 s[6:7], s[4:5]
	s_cbranch_execnz .LBB50_391
	s_branch .LBB50_392
.LBB50_2441:
	s_movk_i32 s4, 0x80
	v_cmp_eq_u16_sdwa s[12:13], v11, s4 src0_sel:BYTE_0 src1_sel:DWORD
	s_mov_b64 s[4:5], -1
                                        ; implicit-def: $sgpr10
	s_and_saveexec_b64 s[8:9], s[12:13]
; %bb.2442:
	s_mov_b32 s10, 0x7f800001
	s_xor_b64 s[4:5], exec, -1
; %bb.2443:
	s_or_b64 exec, exec, s[8:9]
	s_and_b64 s[4:5], s[4:5], exec
	s_or_saveexec_b64 s[6:7], s[6:7]
	v_mov_b32_e32 v10, s10
	s_xor_b64 exec, exec, s[6:7]
	s_cbranch_execz .LBB50_394
.LBB50_2444:
	v_mov_b32_e32 v10, 0
	v_cmp_ne_u16_sdwa s[8:9], v11, v10 src0_sel:BYTE_0 src1_sel:DWORD
	s_andn2_b64 s[4:5], s[4:5], exec
	s_and_b64 s[8:9], s[8:9], exec
	s_or_b64 s[4:5], s[4:5], s[8:9]
	s_or_b64 exec, exec, s[6:7]
	s_and_saveexec_b64 s[6:7], s[4:5]
	s_cbranch_execnz .LBB50_395
	s_branch .LBB50_396
.LBB50_2445:
	s_movk_i32 s4, 0x80
	v_cmp_eq_u16_sdwa s[12:13], v11, s4 src0_sel:BYTE_0 src1_sel:DWORD
	s_mov_b64 s[4:5], -1
                                        ; implicit-def: $sgpr10
	s_and_saveexec_b64 s[8:9], s[12:13]
; %bb.2446:
	s_mov_b32 s10, 0x7f800001
	s_xor_b64 s[4:5], exec, -1
; %bb.2447:
	s_or_b64 exec, exec, s[8:9]
	s_and_b64 s[4:5], s[4:5], exec
	s_or_saveexec_b64 s[6:7], s[6:7]
	v_mov_b32_e32 v12, s10
	s_xor_b64 exec, exec, s[6:7]
	s_cbranch_execz .LBB50_398
.LBB50_2448:
	v_mov_b32_e32 v12, 0
	v_cmp_ne_u16_sdwa s[8:9], v11, v12 src0_sel:BYTE_0 src1_sel:DWORD
	s_andn2_b64 s[4:5], s[4:5], exec
	s_and_b64 s[8:9], s[8:9], exec
	s_or_b64 s[4:5], s[4:5], s[8:9]
	s_or_b64 exec, exec, s[6:7]
	s_and_saveexec_b64 s[6:7], s[4:5]
	s_cbranch_execnz .LBB50_399
	s_branch .LBB50_400
.LBB50_2449:
	s_movk_i32 s4, 0x80
	v_cmp_eq_u16_e32 vcc, s4, v11
	s_mov_b64 s[4:5], -1
                                        ; implicit-def: $sgpr10
	s_and_saveexec_b64 s[8:9], vcc
; %bb.2450:
	s_mov_b32 s10, 0x7f800001
	s_xor_b64 s[4:5], exec, -1
; %bb.2451:
	s_or_b64 exec, exec, s[8:9]
	s_and_b64 s[4:5], s[4:5], exec
                                        ; implicit-def: $vgpr11
	s_or_saveexec_b64 s[6:7], s[6:7]
	v_mov_b32_e32 v10, s10
	s_xor_b64 exec, exec, s[6:7]
	s_cbranch_execz .LBB50_402
.LBB50_2452:
	v_cmp_ne_u16_e32 vcc, 0, v11
	s_andn2_b64 s[4:5], s[4:5], exec
	s_and_b64 s[8:9], vcc, exec
	v_mov_b32_e32 v10, 0
	s_or_b64 s[4:5], s[4:5], s[8:9]
	s_or_b64 exec, exec, s[6:7]
	s_and_saveexec_b64 s[6:7], s[4:5]
	s_cbranch_execnz .LBB50_403
	s_branch .LBB50_404
.LBB50_2453:
	s_movk_i32 s4, 0x80
	v_cmp_eq_u16_e32 vcc, s4, v11
	s_mov_b64 s[4:5], -1
                                        ; implicit-def: $sgpr10
	s_and_saveexec_b64 s[8:9], vcc
; %bb.2454:
	s_mov_b32 s10, 0x7f800001
	s_xor_b64 s[4:5], exec, -1
; %bb.2455:
	s_or_b64 exec, exec, s[8:9]
	s_and_b64 s[4:5], s[4:5], exec
                                        ; implicit-def: $vgpr11
	s_or_saveexec_b64 s[6:7], s[6:7]
	v_mov_b32_e32 v12, s10
	s_xor_b64 exec, exec, s[6:7]
	s_cbranch_execz .LBB50_406
.LBB50_2456:
	v_cmp_ne_u16_e32 vcc, 0, v11
	s_andn2_b64 s[4:5], s[4:5], exec
	s_and_b64 s[8:9], vcc, exec
	v_mov_b32_e32 v12, 0
	s_or_b64 s[4:5], s[4:5], s[8:9]
	s_or_b64 exec, exec, s[6:7]
	s_and_saveexec_b64 s[6:7], s[4:5]
	s_cbranch_execnz .LBB50_407
	s_branch .LBB50_408
.LBB50_2457:
	s_movk_i32 s4, 0x80
	v_cmp_eq_u16_sdwa s[12:13], v6, s4 src0_sel:BYTE_3 src1_sel:DWORD
	s_mov_b64 s[4:5], -1
                                        ; implicit-def: $sgpr10
	s_and_saveexec_b64 s[8:9], s[12:13]
; %bb.2458:
	s_mov_b32 s10, 0x7f800001
	s_xor_b64 s[4:5], exec, -1
; %bb.2459:
	s_or_b64 exec, exec, s[8:9]
	s_and_b64 s[4:5], s[4:5], exec
	s_or_saveexec_b64 s[6:7], s[6:7]
	v_mov_b32_e32 v10, s10
	s_xor_b64 exec, exec, s[6:7]
	s_cbranch_execz .LBB50_410
.LBB50_2460:
	v_mov_b32_e32 v10, 0
	v_cmp_ne_u16_sdwa s[8:9], v6, v10 src0_sel:BYTE_3 src1_sel:DWORD
	s_andn2_b64 s[4:5], s[4:5], exec
	s_and_b64 s[8:9], s[8:9], exec
	s_or_b64 s[4:5], s[4:5], s[8:9]
	s_or_b64 exec, exec, s[6:7]
	s_and_saveexec_b64 s[6:7], s[4:5]
	s_cbranch_execnz .LBB50_411
	s_branch .LBB50_412
.LBB50_2461:
	s_movk_i32 s4, 0x80
	v_cmp_eq_u16_sdwa s[12:13], v2, s4 src0_sel:BYTE_3 src1_sel:DWORD
	s_mov_b64 s[4:5], -1
                                        ; implicit-def: $sgpr10
	s_and_saveexec_b64 s[8:9], s[12:13]
; %bb.2462:
	s_mov_b32 s10, 0x7f800001
	s_xor_b64 s[4:5], exec, -1
; %bb.2463:
	s_or_b64 exec, exec, s[8:9]
	s_and_b64 s[4:5], s[4:5], exec
	s_or_saveexec_b64 s[6:7], s[6:7]
	v_mov_b32_e32 v6, s10
	s_xor_b64 exec, exec, s[6:7]
	s_cbranch_execz .LBB50_414
.LBB50_2464:
	v_mov_b32_e32 v6, 0
	v_cmp_ne_u16_sdwa s[8:9], v2, v6 src0_sel:BYTE_3 src1_sel:DWORD
	s_andn2_b64 s[4:5], s[4:5], exec
	s_and_b64 s[8:9], s[8:9], exec
	s_or_b64 s[4:5], s[4:5], s[8:9]
	s_or_b64 exec, exec, s[6:7]
	s_and_saveexec_b64 s[6:7], s[4:5]
	s_cbranch_execnz .LBB50_415
	s_branch .LBB50_416
.LBB50_2465:
	s_movk_i32 s4, 0x80
	v_cmp_eq_u16_sdwa s[12:13], v7, s4 src0_sel:BYTE_0 src1_sel:DWORD
	s_mov_b64 s[4:5], -1
                                        ; implicit-def: $sgpr10
	s_and_saveexec_b64 s[8:9], s[12:13]
; %bb.2466:
	s_mov_b32 s10, 0x7f800001
	s_xor_b64 s[4:5], exec, -1
; %bb.2467:
	s_or_b64 exec, exec, s[8:9]
	s_and_b64 s[4:5], s[4:5], exec
	s_or_saveexec_b64 s[6:7], s[6:7]
	v_mov_b32_e32 v2, s10
	s_xor_b64 exec, exec, s[6:7]
	s_cbranch_execz .LBB50_418
.LBB50_2468:
	v_mov_b32_e32 v2, 0
	v_cmp_ne_u16_sdwa s[8:9], v7, v2 src0_sel:BYTE_0 src1_sel:DWORD
	s_andn2_b64 s[4:5], s[4:5], exec
	s_and_b64 s[8:9], s[8:9], exec
	s_or_b64 s[4:5], s[4:5], s[8:9]
	s_or_b64 exec, exec, s[6:7]
	s_and_saveexec_b64 s[6:7], s[4:5]
	s_cbranch_execnz .LBB50_419
	s_branch .LBB50_420
.LBB50_2469:
	s_movk_i32 s4, 0x80
	v_cmp_eq_u16_sdwa s[12:13], v3, s4 src0_sel:BYTE_0 src1_sel:DWORD
	s_mov_b64 s[4:5], -1
                                        ; implicit-def: $sgpr10
	s_and_saveexec_b64 s[8:9], s[12:13]
; %bb.2470:
	s_mov_b32 s10, 0x7f800001
	s_xor_b64 s[4:5], exec, -1
; %bb.2471:
	s_or_b64 exec, exec, s[8:9]
	s_and_b64 s[4:5], s[4:5], exec
	s_or_saveexec_b64 s[6:7], s[6:7]
	v_mov_b32_e32 v6, s10
	s_xor_b64 exec, exec, s[6:7]
	s_cbranch_execz .LBB50_422
.LBB50_2472:
	v_mov_b32_e32 v6, 0
	v_cmp_ne_u16_sdwa s[8:9], v3, v6 src0_sel:BYTE_0 src1_sel:DWORD
	s_andn2_b64 s[4:5], s[4:5], exec
	s_and_b64 s[8:9], s[8:9], exec
	s_or_b64 s[4:5], s[4:5], s[8:9]
	s_or_b64 exec, exec, s[6:7]
	s_and_saveexec_b64 s[6:7], s[4:5]
	s_cbranch_execnz .LBB50_423
	s_branch .LBB50_424
.LBB50_2473:
	s_movk_i32 s4, 0x80
	v_cmp_eq_u16_sdwa s[12:13], v6, s4 src0_sel:BYTE_0 src1_sel:DWORD
	s_mov_b64 s[4:5], -1
                                        ; implicit-def: $sgpr10
	s_and_saveexec_b64 s[8:9], s[12:13]
; %bb.2474:
	s_mov_b32 s10, 0x7f800001
	s_xor_b64 s[4:5], exec, -1
; %bb.2475:
	s_or_b64 exec, exec, s[8:9]
	s_and_b64 s[4:5], s[4:5], exec
	s_or_saveexec_b64 s[6:7], s[6:7]
	v_mov_b32_e32 v2, s10
	s_xor_b64 exec, exec, s[6:7]
	s_cbranch_execz .LBB50_426
.LBB50_2476:
	v_mov_b32_e32 v2, 0
	v_cmp_ne_u16_sdwa s[8:9], v6, v2 src0_sel:BYTE_0 src1_sel:DWORD
	s_andn2_b64 s[4:5], s[4:5], exec
	s_and_b64 s[8:9], s[8:9], exec
	s_or_b64 s[4:5], s[4:5], s[8:9]
	s_or_b64 exec, exec, s[6:7]
	s_and_saveexec_b64 s[6:7], s[4:5]
	s_cbranch_execnz .LBB50_427
	s_branch .LBB50_428
.LBB50_2477:
	s_movk_i32 s4, 0x80
	v_cmp_eq_u16_sdwa s[12:13], v6, s4 src0_sel:BYTE_0 src1_sel:DWORD
	s_mov_b64 s[4:5], -1
                                        ; implicit-def: $sgpr10
	s_and_saveexec_b64 s[8:9], s[12:13]
; %bb.2478:
	s_mov_b32 s10, 0x7f800001
	s_xor_b64 s[4:5], exec, -1
; %bb.2479:
	s_or_b64 exec, exec, s[8:9]
	s_and_b64 s[4:5], s[4:5], exec
	s_or_saveexec_b64 s[6:7], s[6:7]
	v_mov_b32_e32 v10, s10
	s_xor_b64 exec, exec, s[6:7]
	s_cbranch_execz .LBB50_430
.LBB50_2480:
	v_mov_b32_e32 v10, 0
	v_cmp_ne_u16_sdwa s[8:9], v6, v10 src0_sel:BYTE_0 src1_sel:DWORD
	s_andn2_b64 s[4:5], s[4:5], exec
	s_and_b64 s[8:9], s[8:9], exec
	s_or_b64 s[4:5], s[4:5], s[8:9]
	s_or_b64 exec, exec, s[6:7]
	s_and_saveexec_b64 s[6:7], s[4:5]
	s_cbranch_execnz .LBB50_431
	s_branch .LBB50_432
.LBB50_2481:
	s_movk_i32 s4, 0x80
	v_cmp_eq_u16_e32 vcc, s4, v6
	s_mov_b64 s[4:5], -1
                                        ; implicit-def: $sgpr10
	s_and_saveexec_b64 s[8:9], vcc
; %bb.2482:
	s_mov_b32 s10, 0x7f800001
	s_xor_b64 s[4:5], exec, -1
; %bb.2483:
	s_or_b64 exec, exec, s[8:9]
	s_and_b64 s[4:5], s[4:5], exec
                                        ; implicit-def: $vgpr6
	s_or_saveexec_b64 s[6:7], s[6:7]
	v_mov_b32_e32 v2, s10
	s_xor_b64 exec, exec, s[6:7]
	s_cbranch_execz .LBB50_434
.LBB50_2484:
	v_cmp_ne_u16_e32 vcc, 0, v6
	s_andn2_b64 s[4:5], s[4:5], exec
	s_and_b64 s[8:9], vcc, exec
	v_mov_b32_e32 v2, 0
	s_or_b64 s[4:5], s[4:5], s[8:9]
	s_or_b64 exec, exec, s[6:7]
	s_and_saveexec_b64 s[6:7], s[4:5]
	s_cbranch_execnz .LBB50_435
	s_branch .LBB50_436
.LBB50_2485:
	s_movk_i32 s4, 0x80
	v_cmp_eq_u16_e32 vcc, s4, v6
	s_mov_b64 s[4:5], -1
                                        ; implicit-def: $sgpr10
	s_and_saveexec_b64 s[8:9], vcc
; %bb.2486:
	s_mov_b32 s10, 0x7f800001
	s_xor_b64 s[4:5], exec, -1
; %bb.2487:
	s_or_b64 exec, exec, s[8:9]
	s_and_b64 s[4:5], s[4:5], exec
                                        ; implicit-def: $vgpr6
	s_or_saveexec_b64 s[6:7], s[6:7]
	v_mov_b32_e32 v10, s10
	s_xor_b64 exec, exec, s[6:7]
	s_cbranch_execz .LBB50_438
.LBB50_2488:
	v_cmp_ne_u16_e32 vcc, 0, v6
	s_andn2_b64 s[4:5], s[4:5], exec
	s_and_b64 s[8:9], vcc, exec
	v_mov_b32_e32 v10, 0
	s_or_b64 s[4:5], s[4:5], s[8:9]
	s_or_b64 exec, exec, s[6:7]
	s_and_saveexec_b64 s[6:7], s[4:5]
	s_cbranch_execnz .LBB50_439
	s_branch .LBB50_440
.LBB50_2489:
	s_movk_i32 s4, 0x80
	v_cmp_eq_u16_sdwa s[12:13], v7, s4 src0_sel:BYTE_3 src1_sel:DWORD
	s_mov_b64 s[4:5], -1
                                        ; implicit-def: $sgpr10
	s_and_saveexec_b64 s[8:9], s[12:13]
; %bb.2490:
	s_mov_b32 s10, 0x7f800001
	s_xor_b64 s[4:5], exec, -1
; %bb.2491:
	s_or_b64 exec, exec, s[8:9]
	s_and_b64 s[4:5], s[4:5], exec
	s_or_saveexec_b64 s[6:7], s[6:7]
	v_mov_b32_e32 v2, s10
	s_xor_b64 exec, exec, s[6:7]
	s_cbranch_execz .LBB50_442
.LBB50_2492:
	v_mov_b32_e32 v2, 0
	v_cmp_ne_u16_sdwa s[8:9], v7, v2 src0_sel:BYTE_3 src1_sel:DWORD
	s_andn2_b64 s[4:5], s[4:5], exec
	s_and_b64 s[8:9], s[8:9], exec
	s_or_b64 s[4:5], s[4:5], s[8:9]
	s_or_b64 exec, exec, s[6:7]
	s_and_saveexec_b64 s[6:7], s[4:5]
	s_cbranch_execnz .LBB50_443
	s_branch .LBB50_444
.LBB50_2493:
	s_movk_i32 s4, 0x80
	v_cmp_eq_u16_sdwa s[12:13], v3, s4 src0_sel:BYTE_3 src1_sel:DWORD
	s_mov_b64 s[4:5], -1
                                        ; implicit-def: $sgpr10
	s_and_saveexec_b64 s[8:9], s[12:13]
; %bb.2494:
	s_mov_b32 s10, 0x7f800001
	s_xor_b64 s[4:5], exec, -1
; %bb.2495:
	s_or_b64 exec, exec, s[8:9]
	s_and_b64 s[4:5], s[4:5], exec
	s_or_saveexec_b64 s[6:7], s[6:7]
	v_mov_b32_e32 v6, s10
	s_xor_b64 exec, exec, s[6:7]
	s_cbranch_execz .LBB50_446
.LBB50_2496:
	v_mov_b32_e32 v6, 0
	v_cmp_ne_u16_sdwa s[8:9], v3, v6 src0_sel:BYTE_3 src1_sel:DWORD
	s_andn2_b64 s[4:5], s[4:5], exec
	s_and_b64 s[8:9], s[8:9], exec
	s_or_b64 s[4:5], s[4:5], s[8:9]
	s_or_b64 exec, exec, s[6:7]
	s_and_saveexec_b64 s[6:7], s[4:5]
	s_cbranch_execnz .LBB50_447
	s_branch .LBB50_448
.LBB50_2497:
	s_movk_i32 s4, 0x80
	v_cmp_eq_u16_sdwa s[12:13], v8, s4 src0_sel:BYTE_0 src1_sel:DWORD
	s_mov_b64 s[4:5], -1
                                        ; implicit-def: $sgpr10
	s_and_saveexec_b64 s[8:9], s[12:13]
; %bb.2498:
	s_mov_b32 s10, 0x7f800001
	s_xor_b64 s[4:5], exec, -1
; %bb.2499:
	s_or_b64 exec, exec, s[8:9]
	s_and_b64 s[4:5], s[4:5], exec
	s_or_saveexec_b64 s[6:7], s[6:7]
	v_mov_b32_e32 v2, s10
	s_xor_b64 exec, exec, s[6:7]
	s_cbranch_execz .LBB50_450
.LBB50_2500:
	v_mov_b32_e32 v2, 0
	v_cmp_ne_u16_sdwa s[8:9], v8, v2 src0_sel:BYTE_0 src1_sel:DWORD
	s_andn2_b64 s[4:5], s[4:5], exec
	s_and_b64 s[8:9], s[8:9], exec
	s_or_b64 s[4:5], s[4:5], s[8:9]
	s_or_b64 exec, exec, s[6:7]
	s_and_saveexec_b64 s[6:7], s[4:5]
	s_cbranch_execnz .LBB50_451
	s_branch .LBB50_452
.LBB50_2501:
	s_movk_i32 s4, 0x80
	v_cmp_eq_u16_sdwa s[12:13], v4, s4 src0_sel:BYTE_0 src1_sel:DWORD
	s_mov_b64 s[4:5], -1
                                        ; implicit-def: $sgpr10
	s_and_saveexec_b64 s[8:9], s[12:13]
; %bb.2502:
	s_mov_b32 s10, 0x7f800001
	s_xor_b64 s[4:5], exec, -1
; %bb.2503:
	s_or_b64 exec, exec, s[8:9]
	s_and_b64 s[4:5], s[4:5], exec
	s_or_saveexec_b64 s[6:7], s[6:7]
	v_mov_b32_e32 v3, s10
	s_xor_b64 exec, exec, s[6:7]
	s_cbranch_execz .LBB50_454
.LBB50_2504:
	v_mov_b32_e32 v3, 0
	v_cmp_ne_u16_sdwa s[8:9], v4, v3 src0_sel:BYTE_0 src1_sel:DWORD
	s_andn2_b64 s[4:5], s[4:5], exec
	s_and_b64 s[8:9], s[8:9], exec
	s_or_b64 s[4:5], s[4:5], s[8:9]
	s_or_b64 exec, exec, s[6:7]
	s_and_saveexec_b64 s[6:7], s[4:5]
	s_cbranch_execnz .LBB50_455
	s_branch .LBB50_456
.LBB50_2505:
	s_movk_i32 s4, 0x80
	v_cmp_eq_u16_sdwa s[12:13], v3, s4 src0_sel:BYTE_0 src1_sel:DWORD
	s_mov_b64 s[4:5], -1
                                        ; implicit-def: $sgpr10
	s_and_saveexec_b64 s[8:9], s[12:13]
; %bb.2506:
	s_mov_b32 s10, 0x7f800001
	s_xor_b64 s[4:5], exec, -1
; %bb.2507:
	s_or_b64 exec, exec, s[8:9]
	s_and_b64 s[4:5], s[4:5], exec
	s_or_saveexec_b64 s[6:7], s[6:7]
	v_mov_b32_e32 v2, s10
	s_xor_b64 exec, exec, s[6:7]
	s_cbranch_execz .LBB50_458
.LBB50_2508:
	v_mov_b32_e32 v2, 0
	v_cmp_ne_u16_sdwa s[8:9], v3, v2 src0_sel:BYTE_0 src1_sel:DWORD
	s_andn2_b64 s[4:5], s[4:5], exec
	s_and_b64 s[8:9], s[8:9], exec
	s_or_b64 s[4:5], s[4:5], s[8:9]
	s_or_b64 exec, exec, s[6:7]
	s_and_saveexec_b64 s[6:7], s[4:5]
	s_cbranch_execnz .LBB50_459
	s_branch .LBB50_460
.LBB50_2509:
	s_movk_i32 s4, 0x80
	v_cmp_eq_u16_sdwa s[12:13], v3, s4 src0_sel:BYTE_0 src1_sel:DWORD
	s_mov_b64 s[4:5], -1
                                        ; implicit-def: $sgpr10
	s_and_saveexec_b64 s[8:9], s[12:13]
; %bb.2510:
	s_mov_b32 s10, 0x7f800001
	s_xor_b64 s[4:5], exec, -1
; %bb.2511:
	s_or_b64 exec, exec, s[8:9]
	s_and_b64 s[4:5], s[4:5], exec
	s_or_saveexec_b64 s[6:7], s[6:7]
	v_mov_b32_e32 v6, s10
	s_xor_b64 exec, exec, s[6:7]
	s_cbranch_execz .LBB50_462
.LBB50_2512:
	v_mov_b32_e32 v6, 0
	v_cmp_ne_u16_sdwa s[8:9], v3, v6 src0_sel:BYTE_0 src1_sel:DWORD
	s_andn2_b64 s[4:5], s[4:5], exec
	s_and_b64 s[8:9], s[8:9], exec
	s_or_b64 s[4:5], s[4:5], s[8:9]
	s_or_b64 exec, exec, s[6:7]
	s_and_saveexec_b64 s[6:7], s[4:5]
	s_cbranch_execnz .LBB50_463
	s_branch .LBB50_464
.LBB50_2513:
	s_movk_i32 s4, 0x80
	v_cmp_eq_u16_e32 vcc, s4, v3
	s_mov_b64 s[4:5], -1
                                        ; implicit-def: $sgpr10
	s_and_saveexec_b64 s[8:9], vcc
; %bb.2514:
	s_mov_b32 s10, 0x7f800001
	s_xor_b64 s[4:5], exec, -1
; %bb.2515:
	s_or_b64 exec, exec, s[8:9]
	s_and_b64 s[4:5], s[4:5], exec
                                        ; implicit-def: $vgpr3
	s_or_saveexec_b64 s[6:7], s[6:7]
	v_mov_b32_e32 v2, s10
	s_xor_b64 exec, exec, s[6:7]
	s_cbranch_execz .LBB50_466
.LBB50_2516:
	v_cmp_ne_u16_e32 vcc, 0, v3
	s_andn2_b64 s[4:5], s[4:5], exec
	s_and_b64 s[8:9], vcc, exec
	v_mov_b32_e32 v2, 0
	s_or_b64 s[4:5], s[4:5], s[8:9]
	s_or_b64 exec, exec, s[6:7]
	s_and_saveexec_b64 s[6:7], s[4:5]
	s_cbranch_execnz .LBB50_467
	s_branch .LBB50_468
.LBB50_2517:
	s_movk_i32 s4, 0x80
	v_cmp_eq_u16_e32 vcc, s4, v3
	s_mov_b64 s[4:5], -1
                                        ; implicit-def: $sgpr10
	s_and_saveexec_b64 s[8:9], vcc
; %bb.2518:
	s_mov_b32 s10, 0x7f800001
	s_xor_b64 s[4:5], exec, -1
; %bb.2519:
	s_or_b64 exec, exec, s[8:9]
	s_and_b64 s[4:5], s[4:5], exec
                                        ; implicit-def: $vgpr3
	s_or_saveexec_b64 s[6:7], s[6:7]
	v_mov_b32_e32 v6, s10
	s_xor_b64 exec, exec, s[6:7]
	s_cbranch_execz .LBB50_470
.LBB50_2520:
	v_cmp_ne_u16_e32 vcc, 0, v3
	s_andn2_b64 s[4:5], s[4:5], exec
	s_and_b64 s[8:9], vcc, exec
	v_mov_b32_e32 v6, 0
	s_or_b64 s[4:5], s[4:5], s[8:9]
	s_or_b64 exec, exec, s[6:7]
	s_and_saveexec_b64 s[6:7], s[4:5]
	s_cbranch_execnz .LBB50_471
	s_branch .LBB50_472
.LBB50_2521:
	s_movk_i32 s4, 0x80
	v_cmp_eq_u16_sdwa s[12:13], v8, s4 src0_sel:BYTE_3 src1_sel:DWORD
	s_mov_b64 s[4:5], -1
                                        ; implicit-def: $sgpr10
	s_and_saveexec_b64 s[8:9], s[12:13]
; %bb.2522:
	s_mov_b32 s10, 0x7f800001
	s_xor_b64 s[4:5], exec, -1
; %bb.2523:
	s_or_b64 exec, exec, s[8:9]
	s_and_b64 s[4:5], s[4:5], exec
	s_or_saveexec_b64 s[6:7], s[6:7]
	v_mov_b32_e32 v2, s10
	s_xor_b64 exec, exec, s[6:7]
	s_cbranch_execz .LBB50_474
.LBB50_2524:
	v_mov_b32_e32 v2, 0
	v_cmp_ne_u16_sdwa s[8:9], v8, v2 src0_sel:BYTE_3 src1_sel:DWORD
	s_andn2_b64 s[4:5], s[4:5], exec
	s_and_b64 s[8:9], s[8:9], exec
	s_or_b64 s[4:5], s[4:5], s[8:9]
	s_or_b64 exec, exec, s[6:7]
	s_and_saveexec_b64 s[6:7], s[4:5]
	s_cbranch_execnz .LBB50_475
	s_branch .LBB50_476
.LBB50_2525:
	s_movk_i32 s4, 0x80
	v_cmp_eq_u16_sdwa s[12:13], v4, s4 src0_sel:BYTE_3 src1_sel:DWORD
	s_mov_b64 s[4:5], -1
                                        ; implicit-def: $sgpr10
	s_and_saveexec_b64 s[8:9], s[12:13]
; %bb.2526:
	s_mov_b32 s10, 0x7f800001
	s_xor_b64 s[4:5], exec, -1
; %bb.2527:
	s_or_b64 exec, exec, s[8:9]
	s_and_b64 s[4:5], s[4:5], exec
	s_or_saveexec_b64 s[6:7], s[6:7]
	v_mov_b32_e32 v3, s10
	s_xor_b64 exec, exec, s[6:7]
	s_cbranch_execz .LBB50_478
.LBB50_2528:
	v_mov_b32_e32 v3, 0
	v_cmp_ne_u16_sdwa s[8:9], v4, v3 src0_sel:BYTE_3 src1_sel:DWORD
	s_andn2_b64 s[4:5], s[4:5], exec
	s_and_b64 s[8:9], s[8:9], exec
	s_or_b64 s[4:5], s[4:5], s[8:9]
	s_or_b64 exec, exec, s[6:7]
	s_and_saveexec_b64 s[6:7], s[4:5]
	s_cbranch_execnz .LBB50_479
	s_branch .LBB50_480
.LBB50_2529:
	s_movk_i32 s4, 0x80
	v_cmp_eq_u16_sdwa s[12:13], v9, s4 src0_sel:BYTE_0 src1_sel:DWORD
	s_mov_b64 s[4:5], -1
                                        ; implicit-def: $sgpr10
	s_and_saveexec_b64 s[8:9], s[12:13]
; %bb.2530:
	s_mov_b32 s10, 0x7f800001
	s_xor_b64 s[4:5], exec, -1
; %bb.2531:
	s_or_b64 exec, exec, s[8:9]
	s_and_b64 s[4:5], s[4:5], exec
	s_or_saveexec_b64 s[6:7], s[6:7]
	v_mov_b32_e32 v2, s10
	s_xor_b64 exec, exec, s[6:7]
	s_cbranch_execz .LBB50_482
.LBB50_2532:
	v_mov_b32_e32 v2, 0
	v_cmp_ne_u16_sdwa s[8:9], v9, v2 src0_sel:BYTE_0 src1_sel:DWORD
	s_andn2_b64 s[4:5], s[4:5], exec
	s_and_b64 s[8:9], s[8:9], exec
	s_or_b64 s[4:5], s[4:5], s[8:9]
	s_or_b64 exec, exec, s[6:7]
	s_and_saveexec_b64 s[6:7], s[4:5]
	s_cbranch_execnz .LBB50_483
	s_branch .LBB50_484
.LBB50_2533:
	s_movk_i32 s4, 0x80
	v_cmp_eq_u16_sdwa s[12:13], v5, s4 src0_sel:BYTE_0 src1_sel:DWORD
	s_mov_b64 s[4:5], -1
                                        ; implicit-def: $sgpr10
	s_and_saveexec_b64 s[8:9], s[12:13]
; %bb.2534:
	s_mov_b32 s10, 0x7f800001
	s_xor_b64 s[4:5], exec, -1
; %bb.2535:
	s_or_b64 exec, exec, s[8:9]
	s_and_b64 s[4:5], s[4:5], exec
	s_or_saveexec_b64 s[6:7], s[6:7]
	v_mov_b32_e32 v3, s10
	s_xor_b64 exec, exec, s[6:7]
	s_cbranch_execz .LBB50_486
.LBB50_2536:
	v_mov_b32_e32 v3, 0
	v_cmp_ne_u16_sdwa s[8:9], v5, v3 src0_sel:BYTE_0 src1_sel:DWORD
	s_andn2_b64 s[4:5], s[4:5], exec
	s_and_b64 s[8:9], s[8:9], exec
	s_or_b64 s[4:5], s[4:5], s[8:9]
	s_or_b64 exec, exec, s[6:7]
	s_and_saveexec_b64 s[6:7], s[4:5]
	s_cbranch_execnz .LBB50_487
	s_branch .LBB50_488
.LBB50_2537:
	s_movk_i32 s4, 0x80
	v_cmp_eq_u16_sdwa s[12:13], v3, s4 src0_sel:BYTE_0 src1_sel:DWORD
	s_mov_b64 s[4:5], -1
                                        ; implicit-def: $sgpr10
	s_and_saveexec_b64 s[8:9], s[12:13]
; %bb.2538:
	s_mov_b32 s10, 0x7f800001
	s_xor_b64 s[4:5], exec, -1
; %bb.2539:
	s_or_b64 exec, exec, s[8:9]
	s_and_b64 s[4:5], s[4:5], exec
	s_or_saveexec_b64 s[6:7], s[6:7]
	v_mov_b32_e32 v2, s10
	s_xor_b64 exec, exec, s[6:7]
	s_cbranch_execz .LBB50_490
.LBB50_2540:
	v_mov_b32_e32 v2, 0
	v_cmp_ne_u16_sdwa s[8:9], v3, v2 src0_sel:BYTE_0 src1_sel:DWORD
	s_andn2_b64 s[4:5], s[4:5], exec
	s_and_b64 s[8:9], s[8:9], exec
	s_or_b64 s[4:5], s[4:5], s[8:9]
	s_or_b64 exec, exec, s[6:7]
	s_and_saveexec_b64 s[6:7], s[4:5]
	s_cbranch_execnz .LBB50_491
	s_branch .LBB50_492
.LBB50_2541:
	s_movk_i32 s4, 0x80
	v_cmp_eq_u16_sdwa s[12:13], v3, s4 src0_sel:BYTE_0 src1_sel:DWORD
	s_mov_b64 s[4:5], -1
                                        ; implicit-def: $sgpr10
	s_and_saveexec_b64 s[8:9], s[12:13]
; %bb.2542:
	s_mov_b32 s10, 0x7f800001
	s_xor_b64 s[4:5], exec, -1
; %bb.2543:
	s_or_b64 exec, exec, s[8:9]
	s_and_b64 s[4:5], s[4:5], exec
	s_or_saveexec_b64 s[6:7], s[6:7]
	v_mov_b32_e32 v4, s10
	s_xor_b64 exec, exec, s[6:7]
	s_cbranch_execz .LBB50_494
.LBB50_2544:
	v_mov_b32_e32 v4, 0
	v_cmp_ne_u16_sdwa s[8:9], v3, v4 src0_sel:BYTE_0 src1_sel:DWORD
	s_andn2_b64 s[4:5], s[4:5], exec
	s_and_b64 s[8:9], s[8:9], exec
	s_or_b64 s[4:5], s[4:5], s[8:9]
	s_or_b64 exec, exec, s[6:7]
	s_and_saveexec_b64 s[6:7], s[4:5]
	s_cbranch_execnz .LBB50_495
	s_branch .LBB50_496
.LBB50_2545:
	s_movk_i32 s4, 0x80
	v_cmp_eq_u16_e32 vcc, s4, v3
	s_mov_b64 s[4:5], -1
                                        ; implicit-def: $sgpr10
	s_and_saveexec_b64 s[8:9], vcc
; %bb.2546:
	s_mov_b32 s10, 0x7f800001
	s_xor_b64 s[4:5], exec, -1
; %bb.2547:
	s_or_b64 exec, exec, s[8:9]
	s_and_b64 s[4:5], s[4:5], exec
                                        ; implicit-def: $vgpr3
	s_or_saveexec_b64 s[6:7], s[6:7]
	v_mov_b32_e32 v2, s10
	s_xor_b64 exec, exec, s[6:7]
	s_cbranch_execz .LBB50_498
.LBB50_2548:
	v_cmp_ne_u16_e32 vcc, 0, v3
	s_andn2_b64 s[4:5], s[4:5], exec
	s_and_b64 s[8:9], vcc, exec
	v_mov_b32_e32 v2, 0
	s_or_b64 s[4:5], s[4:5], s[8:9]
	s_or_b64 exec, exec, s[6:7]
	s_and_saveexec_b64 s[6:7], s[4:5]
	s_cbranch_execnz .LBB50_499
	s_branch .LBB50_500
.LBB50_2549:
	s_movk_i32 s4, 0x80
	v_cmp_eq_u16_e32 vcc, s4, v3
	s_mov_b64 s[4:5], -1
                                        ; implicit-def: $sgpr10
	s_and_saveexec_b64 s[8:9], vcc
; %bb.2550:
	s_mov_b32 s10, 0x7f800001
	s_xor_b64 s[4:5], exec, -1
; %bb.2551:
	s_or_b64 exec, exec, s[8:9]
	s_and_b64 s[4:5], s[4:5], exec
                                        ; implicit-def: $vgpr3
	s_or_saveexec_b64 s[6:7], s[6:7]
	v_mov_b32_e32 v4, s10
	s_xor_b64 exec, exec, s[6:7]
	s_cbranch_execz .LBB50_502
.LBB50_2552:
	v_cmp_ne_u16_e32 vcc, 0, v3
	s_andn2_b64 s[4:5], s[4:5], exec
	s_and_b64 s[8:9], vcc, exec
	v_mov_b32_e32 v4, 0
	s_or_b64 s[4:5], s[4:5], s[8:9]
	s_or_b64 exec, exec, s[6:7]
	s_and_saveexec_b64 s[6:7], s[4:5]
	s_cbranch_execnz .LBB50_503
	s_branch .LBB50_504
.LBB50_2553:
	s_movk_i32 s4, 0x80
	v_cmp_eq_u16_sdwa s[12:13], v9, s4 src0_sel:BYTE_3 src1_sel:DWORD
	s_mov_b64 s[4:5], -1
                                        ; implicit-def: $sgpr10
	s_and_saveexec_b64 s[8:9], s[12:13]
; %bb.2554:
	s_mov_b32 s10, 0x7f800001
	s_xor_b64 s[4:5], exec, -1
; %bb.2555:
	s_or_b64 exec, exec, s[8:9]
	s_and_b64 s[4:5], s[4:5], exec
	s_or_saveexec_b64 s[6:7], s[6:7]
	v_mov_b32_e32 v2, s10
	s_xor_b64 exec, exec, s[6:7]
	s_cbranch_execz .LBB50_506
.LBB50_2556:
	v_mov_b32_e32 v2, 0
	v_cmp_ne_u16_sdwa s[8:9], v9, v2 src0_sel:BYTE_3 src1_sel:DWORD
	s_andn2_b64 s[4:5], s[4:5], exec
	s_and_b64 s[8:9], s[8:9], exec
	s_or_b64 s[4:5], s[4:5], s[8:9]
	s_or_b64 exec, exec, s[6:7]
	s_and_saveexec_b64 s[6:7], s[4:5]
	s_cbranch_execnz .LBB50_507
	s_branch .LBB50_508
.LBB50_2557:
	s_movk_i32 s4, 0x80
	v_cmp_eq_u16_sdwa s[12:13], v5, s4 src0_sel:BYTE_3 src1_sel:DWORD
	s_mov_b64 s[4:5], -1
                                        ; implicit-def: $sgpr10
	s_and_saveexec_b64 s[8:9], s[12:13]
; %bb.2558:
	s_mov_b32 s10, 0x7f800001
	s_xor_b64 s[4:5], exec, -1
; %bb.2559:
	s_or_b64 exec, exec, s[8:9]
	s_and_b64 s[4:5], s[4:5], exec
	s_or_saveexec_b64 s[6:7], s[6:7]
	v_mov_b32_e32 v3, s10
	s_xor_b64 exec, exec, s[6:7]
	s_cbranch_execz .LBB50_510
.LBB50_2560:
	v_mov_b32_e32 v3, 0
	v_cmp_ne_u16_sdwa s[8:9], v5, v3 src0_sel:BYTE_3 src1_sel:DWORD
	s_andn2_b64 s[4:5], s[4:5], exec
	s_and_b64 s[8:9], s[8:9], exec
	s_or_b64 s[4:5], s[4:5], s[8:9]
	s_or_b64 exec, exec, s[6:7]
	s_and_saveexec_b64 s[6:7], s[4:5]
	s_cbranch_execnz .LBB50_511
	s_branch .LBB50_512
.LBB50_2561:
	s_movk_i32 s4, 0x80
	v_cmp_eq_u16_sdwa s[12:13], v14, s4 src0_sel:BYTE_0 src1_sel:DWORD
	s_mov_b64 s[4:5], -1
                                        ; implicit-def: $sgpr10
	s_and_saveexec_b64 s[8:9], s[12:13]
; %bb.2562:
	s_mov_b32 s10, 0x7f800001
	s_xor_b64 s[4:5], exec, -1
; %bb.2563:
	s_or_b64 exec, exec, s[8:9]
	s_and_b64 s[4:5], s[4:5], exec
	s_or_saveexec_b64 s[6:7], s[6:7]
	v_mov_b32_e32 v20, s10
	s_xor_b64 exec, exec, s[6:7]
	s_cbranch_execz .LBB50_514
.LBB50_2564:
	v_mov_b32_e32 v20, 0
	v_cmp_ne_u16_sdwa s[8:9], v14, v20 src0_sel:BYTE_0 src1_sel:DWORD
	s_andn2_b64 s[4:5], s[4:5], exec
	s_and_b64 s[8:9], s[8:9], exec
	s_or_b64 s[4:5], s[4:5], s[8:9]
	s_or_b64 exec, exec, s[6:7]
	s_and_saveexec_b64 s[6:7], s[4:5]
	s_cbranch_execnz .LBB50_515
	s_branch .LBB50_516
.LBB50_2565:
	s_movk_i32 s4, 0x80
	v_cmp_eq_u16_sdwa s[12:13], v10, s4 src0_sel:BYTE_0 src1_sel:DWORD
	s_mov_b64 s[4:5], -1
                                        ; implicit-def: $sgpr10
	s_and_saveexec_b64 s[8:9], s[12:13]
; %bb.2566:
	s_mov_b32 s10, 0x7f800001
	s_xor_b64 s[4:5], exec, -1
; %bb.2567:
	s_or_b64 exec, exec, s[8:9]
	s_and_b64 s[4:5], s[4:5], exec
	s_or_saveexec_b64 s[6:7], s[6:7]
	v_mov_b32_e32 v21, s10
	s_xor_b64 exec, exec, s[6:7]
	s_cbranch_execz .LBB50_518
.LBB50_2568:
	v_mov_b32_e32 v21, 0
	v_cmp_ne_u16_sdwa s[8:9], v10, v21 src0_sel:BYTE_0 src1_sel:DWORD
	s_andn2_b64 s[4:5], s[4:5], exec
	s_and_b64 s[8:9], s[8:9], exec
	s_or_b64 s[4:5], s[4:5], s[8:9]
	s_or_b64 exec, exec, s[6:7]
	s_and_saveexec_b64 s[6:7], s[4:5]
	s_cbranch_execnz .LBB50_519
	s_branch .LBB50_520
.LBB50_2569:
	s_movk_i32 s4, 0x80
	v_cmp_eq_u16_sdwa s[12:13], v21, s4 src0_sel:BYTE_0 src1_sel:DWORD
	s_mov_b64 s[4:5], -1
                                        ; implicit-def: $sgpr10
	s_and_saveexec_b64 s[8:9], s[12:13]
; %bb.2570:
	s_mov_b32 s10, 0x7f800001
	s_xor_b64 s[4:5], exec, -1
; %bb.2571:
	s_or_b64 exec, exec, s[8:9]
	s_and_b64 s[4:5], s[4:5], exec
	s_or_saveexec_b64 s[6:7], s[6:7]
	v_mov_b32_e32 v20, s10
	s_xor_b64 exec, exec, s[6:7]
	s_cbranch_execz .LBB50_522
.LBB50_2572:
	v_mov_b32_e32 v20, 0
	v_cmp_ne_u16_sdwa s[8:9], v21, v20 src0_sel:BYTE_0 src1_sel:DWORD
	s_andn2_b64 s[4:5], s[4:5], exec
	s_and_b64 s[8:9], s[8:9], exec
	s_or_b64 s[4:5], s[4:5], s[8:9]
	s_or_b64 exec, exec, s[6:7]
	s_and_saveexec_b64 s[6:7], s[4:5]
	s_cbranch_execnz .LBB50_523
	s_branch .LBB50_524
.LBB50_2573:
	s_movk_i32 s4, 0x80
	v_cmp_eq_u16_sdwa s[12:13], v21, s4 src0_sel:BYTE_0 src1_sel:DWORD
	s_mov_b64 s[4:5], -1
                                        ; implicit-def: $sgpr10
	s_and_saveexec_b64 s[8:9], s[12:13]
; %bb.2574:
	s_mov_b32 s10, 0x7f800001
	s_xor_b64 s[4:5], exec, -1
; %bb.2575:
	s_or_b64 exec, exec, s[8:9]
	s_and_b64 s[4:5], s[4:5], exec
	s_or_saveexec_b64 s[6:7], s[6:7]
	v_mov_b32_e32 v22, s10
	s_xor_b64 exec, exec, s[6:7]
	s_cbranch_execz .LBB50_526
.LBB50_2576:
	v_mov_b32_e32 v22, 0
	v_cmp_ne_u16_sdwa s[8:9], v21, v22 src0_sel:BYTE_0 src1_sel:DWORD
	s_andn2_b64 s[4:5], s[4:5], exec
	s_and_b64 s[8:9], s[8:9], exec
	s_or_b64 s[4:5], s[4:5], s[8:9]
	s_or_b64 exec, exec, s[6:7]
	s_and_saveexec_b64 s[6:7], s[4:5]
	s_cbranch_execnz .LBB50_527
	s_branch .LBB50_528
.LBB50_2577:
	s_movk_i32 s4, 0x80
	v_cmp_eq_u16_e32 vcc, s4, v21
	s_mov_b64 s[4:5], -1
                                        ; implicit-def: $sgpr10
	s_and_saveexec_b64 s[8:9], vcc
; %bb.2578:
	s_mov_b32 s10, 0x7f800001
	s_xor_b64 s[4:5], exec, -1
; %bb.2579:
	s_or_b64 exec, exec, s[8:9]
	s_and_b64 s[4:5], s[4:5], exec
                                        ; implicit-def: $vgpr21
	s_or_saveexec_b64 s[6:7], s[6:7]
	v_mov_b32_e32 v20, s10
	s_xor_b64 exec, exec, s[6:7]
	s_cbranch_execz .LBB50_530
.LBB50_2580:
	v_cmp_ne_u16_e32 vcc, 0, v21
	s_andn2_b64 s[4:5], s[4:5], exec
	s_and_b64 s[8:9], vcc, exec
	v_mov_b32_e32 v20, 0
	s_or_b64 s[4:5], s[4:5], s[8:9]
	s_or_b64 exec, exec, s[6:7]
	s_and_saveexec_b64 s[6:7], s[4:5]
	s_cbranch_execnz .LBB50_531
	s_branch .LBB50_532
.LBB50_2581:
	s_movk_i32 s4, 0x80
	v_cmp_eq_u16_e32 vcc, s4, v21
	s_mov_b64 s[4:5], -1
                                        ; implicit-def: $sgpr10
	s_and_saveexec_b64 s[8:9], vcc
; %bb.2582:
	s_mov_b32 s10, 0x7f800001
	s_xor_b64 s[4:5], exec, -1
; %bb.2583:
	s_or_b64 exec, exec, s[8:9]
	s_and_b64 s[4:5], s[4:5], exec
                                        ; implicit-def: $vgpr21
	s_or_saveexec_b64 s[6:7], s[6:7]
	v_mov_b32_e32 v22, s10
	s_xor_b64 exec, exec, s[6:7]
	s_cbranch_execz .LBB50_534
.LBB50_2584:
	v_cmp_ne_u16_e32 vcc, 0, v21
	s_andn2_b64 s[4:5], s[4:5], exec
	s_and_b64 s[8:9], vcc, exec
	v_mov_b32_e32 v22, 0
	s_or_b64 s[4:5], s[4:5], s[8:9]
	s_or_b64 exec, exec, s[6:7]
	s_and_saveexec_b64 s[6:7], s[4:5]
	s_cbranch_execnz .LBB50_535
	s_branch .LBB50_536
.LBB50_2585:
	s_movk_i32 s4, 0x80
	v_cmp_eq_u16_sdwa s[12:13], v14, s4 src0_sel:BYTE_3 src1_sel:DWORD
	s_mov_b64 s[4:5], -1
                                        ; implicit-def: $sgpr10
	s_and_saveexec_b64 s[8:9], s[12:13]
; %bb.2586:
	s_mov_b32 s10, 0x7f800001
	s_xor_b64 s[4:5], exec, -1
; %bb.2587:
	s_or_b64 exec, exec, s[8:9]
	s_and_b64 s[4:5], s[4:5], exec
	s_or_saveexec_b64 s[6:7], s[6:7]
	v_mov_b32_e32 v20, s10
	s_xor_b64 exec, exec, s[6:7]
	s_cbranch_execz .LBB50_538
.LBB50_2588:
	v_mov_b32_e32 v20, 0
	v_cmp_ne_u16_sdwa s[8:9], v14, v20 src0_sel:BYTE_3 src1_sel:DWORD
	s_andn2_b64 s[4:5], s[4:5], exec
	s_and_b64 s[8:9], s[8:9], exec
	s_or_b64 s[4:5], s[4:5], s[8:9]
	s_or_b64 exec, exec, s[6:7]
	s_and_saveexec_b64 s[6:7], s[4:5]
	s_cbranch_execnz .LBB50_539
	s_branch .LBB50_540
.LBB50_2589:
	s_movk_i32 s4, 0x80
	v_cmp_eq_u16_sdwa s[12:13], v10, s4 src0_sel:BYTE_3 src1_sel:DWORD
	s_mov_b64 s[4:5], -1
                                        ; implicit-def: $sgpr10
	s_and_saveexec_b64 s[8:9], s[12:13]
; %bb.2590:
	s_mov_b32 s10, 0x7f800001
	s_xor_b64 s[4:5], exec, -1
; %bb.2591:
	s_or_b64 exec, exec, s[8:9]
	s_and_b64 s[4:5], s[4:5], exec
	s_or_saveexec_b64 s[6:7], s[6:7]
	v_mov_b32_e32 v14, s10
	s_xor_b64 exec, exec, s[6:7]
	s_cbranch_execz .LBB50_542
.LBB50_2592:
	v_mov_b32_e32 v14, 0
	v_cmp_ne_u16_sdwa s[8:9], v10, v14 src0_sel:BYTE_3 src1_sel:DWORD
	s_andn2_b64 s[4:5], s[4:5], exec
	s_and_b64 s[8:9], s[8:9], exec
	s_or_b64 s[4:5], s[4:5], s[8:9]
	s_or_b64 exec, exec, s[6:7]
	s_and_saveexec_b64 s[6:7], s[4:5]
	s_cbranch_execnz .LBB50_543
	s_branch .LBB50_544
.LBB50_2593:
	s_movk_i32 s4, 0x80
	v_cmp_eq_u16_sdwa s[12:13], v15, s4 src0_sel:BYTE_0 src1_sel:DWORD
	s_mov_b64 s[4:5], -1
                                        ; implicit-def: $sgpr10
	s_and_saveexec_b64 s[8:9], s[12:13]
; %bb.2594:
	s_mov_b32 s10, 0x7f800001
	s_xor_b64 s[4:5], exec, -1
; %bb.2595:
	s_or_b64 exec, exec, s[8:9]
	s_and_b64 s[4:5], s[4:5], exec
	s_or_saveexec_b64 s[6:7], s[6:7]
	v_mov_b32_e32 v10, s10
	s_xor_b64 exec, exec, s[6:7]
	s_cbranch_execz .LBB50_546
.LBB50_2596:
	v_mov_b32_e32 v10, 0
	v_cmp_ne_u16_sdwa s[8:9], v15, v10 src0_sel:BYTE_0 src1_sel:DWORD
	s_andn2_b64 s[4:5], s[4:5], exec
	s_and_b64 s[8:9], s[8:9], exec
	s_or_b64 s[4:5], s[4:5], s[8:9]
	s_or_b64 exec, exec, s[6:7]
	s_and_saveexec_b64 s[6:7], s[4:5]
	s_cbranch_execnz .LBB50_547
	s_branch .LBB50_548
.LBB50_2597:
	s_movk_i32 s4, 0x80
	v_cmp_eq_u16_sdwa s[12:13], v11, s4 src0_sel:BYTE_0 src1_sel:DWORD
	s_mov_b64 s[4:5], -1
                                        ; implicit-def: $sgpr10
	s_and_saveexec_b64 s[8:9], s[12:13]
; %bb.2598:
	s_mov_b32 s10, 0x7f800001
	s_xor_b64 s[4:5], exec, -1
; %bb.2599:
	s_or_b64 exec, exec, s[8:9]
	s_and_b64 s[4:5], s[4:5], exec
	s_or_saveexec_b64 s[6:7], s[6:7]
	v_mov_b32_e32 v14, s10
	s_xor_b64 exec, exec, s[6:7]
	s_cbranch_execz .LBB50_550
.LBB50_2600:
	v_mov_b32_e32 v14, 0
	v_cmp_ne_u16_sdwa s[8:9], v11, v14 src0_sel:BYTE_0 src1_sel:DWORD
	s_andn2_b64 s[4:5], s[4:5], exec
	s_and_b64 s[8:9], s[8:9], exec
	s_or_b64 s[4:5], s[4:5], s[8:9]
	s_or_b64 exec, exec, s[6:7]
	s_and_saveexec_b64 s[6:7], s[4:5]
	s_cbranch_execnz .LBB50_551
	s_branch .LBB50_552
.LBB50_2601:
	s_movk_i32 s4, 0x80
	v_cmp_eq_u16_sdwa s[12:13], v14, s4 src0_sel:BYTE_0 src1_sel:DWORD
	s_mov_b64 s[4:5], -1
                                        ; implicit-def: $sgpr10
	s_and_saveexec_b64 s[8:9], s[12:13]
; %bb.2602:
	s_mov_b32 s10, 0x7f800001
	s_xor_b64 s[4:5], exec, -1
; %bb.2603:
	s_or_b64 exec, exec, s[8:9]
	s_and_b64 s[4:5], s[4:5], exec
	s_or_saveexec_b64 s[6:7], s[6:7]
	v_mov_b32_e32 v10, s10
	s_xor_b64 exec, exec, s[6:7]
	s_cbranch_execz .LBB50_554
.LBB50_2604:
	v_mov_b32_e32 v10, 0
	v_cmp_ne_u16_sdwa s[8:9], v14, v10 src0_sel:BYTE_0 src1_sel:DWORD
	s_andn2_b64 s[4:5], s[4:5], exec
	s_and_b64 s[8:9], s[8:9], exec
	s_or_b64 s[4:5], s[4:5], s[8:9]
	s_or_b64 exec, exec, s[6:7]
	s_and_saveexec_b64 s[6:7], s[4:5]
	s_cbranch_execnz .LBB50_555
	s_branch .LBB50_556
.LBB50_2605:
	s_movk_i32 s4, 0x80
	v_cmp_eq_u16_sdwa s[12:13], v14, s4 src0_sel:BYTE_0 src1_sel:DWORD
	s_mov_b64 s[4:5], -1
                                        ; implicit-def: $sgpr10
	s_and_saveexec_b64 s[8:9], s[12:13]
; %bb.2606:
	s_mov_b32 s10, 0x7f800001
	s_xor_b64 s[4:5], exec, -1
; %bb.2607:
	s_or_b64 exec, exec, s[8:9]
	s_and_b64 s[4:5], s[4:5], exec
	s_or_saveexec_b64 s[6:7], s[6:7]
	v_mov_b32_e32 v20, s10
	s_xor_b64 exec, exec, s[6:7]
	s_cbranch_execz .LBB50_558
.LBB50_2608:
	v_mov_b32_e32 v20, 0
	v_cmp_ne_u16_sdwa s[8:9], v14, v20 src0_sel:BYTE_0 src1_sel:DWORD
	s_andn2_b64 s[4:5], s[4:5], exec
	s_and_b64 s[8:9], s[8:9], exec
	s_or_b64 s[4:5], s[4:5], s[8:9]
	s_or_b64 exec, exec, s[6:7]
	s_and_saveexec_b64 s[6:7], s[4:5]
	s_cbranch_execnz .LBB50_559
	s_branch .LBB50_560
.LBB50_2609:
	s_movk_i32 s4, 0x80
	v_cmp_eq_u16_e32 vcc, s4, v14
	s_mov_b64 s[4:5], -1
                                        ; implicit-def: $sgpr10
	s_and_saveexec_b64 s[8:9], vcc
; %bb.2610:
	s_mov_b32 s10, 0x7f800001
	s_xor_b64 s[4:5], exec, -1
; %bb.2611:
	s_or_b64 exec, exec, s[8:9]
	s_and_b64 s[4:5], s[4:5], exec
                                        ; implicit-def: $vgpr14
	s_or_saveexec_b64 s[6:7], s[6:7]
	v_mov_b32_e32 v10, s10
	s_xor_b64 exec, exec, s[6:7]
	s_cbranch_execz .LBB50_562
.LBB50_2612:
	v_cmp_ne_u16_e32 vcc, 0, v14
	s_andn2_b64 s[4:5], s[4:5], exec
	s_and_b64 s[8:9], vcc, exec
	v_mov_b32_e32 v10, 0
	s_or_b64 s[4:5], s[4:5], s[8:9]
	s_or_b64 exec, exec, s[6:7]
	s_and_saveexec_b64 s[6:7], s[4:5]
	s_cbranch_execnz .LBB50_563
	s_branch .LBB50_564
.LBB50_2613:
	s_movk_i32 s4, 0x80
	v_cmp_eq_u16_e32 vcc, s4, v14
	s_mov_b64 s[4:5], -1
                                        ; implicit-def: $sgpr10
	s_and_saveexec_b64 s[8:9], vcc
; %bb.2614:
	s_mov_b32 s10, 0x7f800001
	s_xor_b64 s[4:5], exec, -1
; %bb.2615:
	s_or_b64 exec, exec, s[8:9]
	s_and_b64 s[4:5], s[4:5], exec
                                        ; implicit-def: $vgpr14
	s_or_saveexec_b64 s[6:7], s[6:7]
	v_mov_b32_e32 v20, s10
	s_xor_b64 exec, exec, s[6:7]
	s_cbranch_execz .LBB50_566
.LBB50_2616:
	v_cmp_ne_u16_e32 vcc, 0, v14
	s_andn2_b64 s[4:5], s[4:5], exec
	s_and_b64 s[8:9], vcc, exec
	v_mov_b32_e32 v20, 0
	s_or_b64 s[4:5], s[4:5], s[8:9]
	s_or_b64 exec, exec, s[6:7]
	s_and_saveexec_b64 s[6:7], s[4:5]
	s_cbranch_execnz .LBB50_567
	s_branch .LBB50_568
.LBB50_2617:
	s_movk_i32 s4, 0x80
	v_cmp_eq_u16_sdwa s[12:13], v15, s4 src0_sel:BYTE_3 src1_sel:DWORD
	s_mov_b64 s[4:5], -1
                                        ; implicit-def: $sgpr10
	s_and_saveexec_b64 s[8:9], s[12:13]
; %bb.2618:
	s_mov_b32 s10, 0x7f800001
	s_xor_b64 s[4:5], exec, -1
; %bb.2619:
	s_or_b64 exec, exec, s[8:9]
	s_and_b64 s[4:5], s[4:5], exec
	s_or_saveexec_b64 s[6:7], s[6:7]
	v_mov_b32_e32 v10, s10
	s_xor_b64 exec, exec, s[6:7]
	s_cbranch_execz .LBB50_570
.LBB50_2620:
	v_mov_b32_e32 v10, 0
	v_cmp_ne_u16_sdwa s[8:9], v15, v10 src0_sel:BYTE_3 src1_sel:DWORD
	s_andn2_b64 s[4:5], s[4:5], exec
	s_and_b64 s[8:9], s[8:9], exec
	s_or_b64 s[4:5], s[4:5], s[8:9]
	s_or_b64 exec, exec, s[6:7]
	s_and_saveexec_b64 s[6:7], s[4:5]
	s_cbranch_execnz .LBB50_571
	s_branch .LBB50_572
.LBB50_2621:
	s_movk_i32 s4, 0x80
	v_cmp_eq_u16_sdwa s[12:13], v11, s4 src0_sel:BYTE_3 src1_sel:DWORD
	s_mov_b64 s[4:5], -1
                                        ; implicit-def: $sgpr10
	s_and_saveexec_b64 s[8:9], s[12:13]
; %bb.2622:
	s_mov_b32 s10, 0x7f800001
	s_xor_b64 s[4:5], exec, -1
; %bb.2623:
	s_or_b64 exec, exec, s[8:9]
	s_and_b64 s[4:5], s[4:5], exec
	s_or_saveexec_b64 s[6:7], s[6:7]
	v_mov_b32_e32 v14, s10
	s_xor_b64 exec, exec, s[6:7]
	s_cbranch_execz .LBB50_574
.LBB50_2624:
	v_mov_b32_e32 v14, 0
	v_cmp_ne_u16_sdwa s[8:9], v11, v14 src0_sel:BYTE_3 src1_sel:DWORD
	s_andn2_b64 s[4:5], s[4:5], exec
	s_and_b64 s[8:9], s[8:9], exec
	s_or_b64 s[4:5], s[4:5], s[8:9]
	s_or_b64 exec, exec, s[6:7]
	s_and_saveexec_b64 s[6:7], s[4:5]
	s_cbranch_execnz .LBB50_575
	s_branch .LBB50_576
.LBB50_2625:
	s_movk_i32 s4, 0x80
	v_cmp_eq_u16_sdwa s[12:13], v16, s4 src0_sel:BYTE_0 src1_sel:DWORD
	s_mov_b64 s[4:5], -1
                                        ; implicit-def: $sgpr10
	s_and_saveexec_b64 s[8:9], s[12:13]
; %bb.2626:
	s_mov_b32 s10, 0x7f800001
	s_xor_b64 s[4:5], exec, -1
; %bb.2627:
	s_or_b64 exec, exec, s[8:9]
	s_and_b64 s[4:5], s[4:5], exec
	s_or_saveexec_b64 s[6:7], s[6:7]
	v_mov_b32_e32 v10, s10
	s_xor_b64 exec, exec, s[6:7]
	s_cbranch_execz .LBB50_578
.LBB50_2628:
	v_mov_b32_e32 v10, 0
	v_cmp_ne_u16_sdwa s[8:9], v16, v10 src0_sel:BYTE_0 src1_sel:DWORD
	s_andn2_b64 s[4:5], s[4:5], exec
	s_and_b64 s[8:9], s[8:9], exec
	s_or_b64 s[4:5], s[4:5], s[8:9]
	s_or_b64 exec, exec, s[6:7]
	s_and_saveexec_b64 s[6:7], s[4:5]
	s_cbranch_execnz .LBB50_579
	s_branch .LBB50_580
.LBB50_2629:
	s_movk_i32 s4, 0x80
	v_cmp_eq_u16_sdwa s[12:13], v12, s4 src0_sel:BYTE_0 src1_sel:DWORD
	s_mov_b64 s[4:5], -1
                                        ; implicit-def: $sgpr10
	s_and_saveexec_b64 s[8:9], s[12:13]
; %bb.2630:
	s_mov_b32 s10, 0x7f800001
	s_xor_b64 s[4:5], exec, -1
; %bb.2631:
	s_or_b64 exec, exec, s[8:9]
	s_and_b64 s[4:5], s[4:5], exec
	s_or_saveexec_b64 s[6:7], s[6:7]
	v_mov_b32_e32 v11, s10
	s_xor_b64 exec, exec, s[6:7]
	s_cbranch_execz .LBB50_582
.LBB50_2632:
	v_mov_b32_e32 v11, 0
	v_cmp_ne_u16_sdwa s[8:9], v12, v11 src0_sel:BYTE_0 src1_sel:DWORD
	s_andn2_b64 s[4:5], s[4:5], exec
	s_and_b64 s[8:9], s[8:9], exec
	s_or_b64 s[4:5], s[4:5], s[8:9]
	s_or_b64 exec, exec, s[6:7]
	s_and_saveexec_b64 s[6:7], s[4:5]
	s_cbranch_execnz .LBB50_583
	s_branch .LBB50_584
.LBB50_2633:
	s_movk_i32 s4, 0x80
	v_cmp_eq_u16_sdwa s[12:13], v11, s4 src0_sel:BYTE_0 src1_sel:DWORD
	s_mov_b64 s[4:5], -1
                                        ; implicit-def: $sgpr10
	s_and_saveexec_b64 s[8:9], s[12:13]
; %bb.2634:
	s_mov_b32 s10, 0x7f800001
	s_xor_b64 s[4:5], exec, -1
; %bb.2635:
	s_or_b64 exec, exec, s[8:9]
	s_and_b64 s[4:5], s[4:5], exec
	s_or_saveexec_b64 s[6:7], s[6:7]
	v_mov_b32_e32 v10, s10
	s_xor_b64 exec, exec, s[6:7]
	s_cbranch_execz .LBB50_586
.LBB50_2636:
	v_mov_b32_e32 v10, 0
	v_cmp_ne_u16_sdwa s[8:9], v11, v10 src0_sel:BYTE_0 src1_sel:DWORD
	s_andn2_b64 s[4:5], s[4:5], exec
	s_and_b64 s[8:9], s[8:9], exec
	s_or_b64 s[4:5], s[4:5], s[8:9]
	s_or_b64 exec, exec, s[6:7]
	s_and_saveexec_b64 s[6:7], s[4:5]
	s_cbranch_execnz .LBB50_587
	s_branch .LBB50_588
.LBB50_2637:
	s_movk_i32 s4, 0x80
	v_cmp_eq_u16_sdwa s[12:13], v11, s4 src0_sel:BYTE_0 src1_sel:DWORD
	s_mov_b64 s[4:5], -1
                                        ; implicit-def: $sgpr10
	s_and_saveexec_b64 s[8:9], s[12:13]
; %bb.2638:
	s_mov_b32 s10, 0x7f800001
	s_xor_b64 s[4:5], exec, -1
; %bb.2639:
	s_or_b64 exec, exec, s[8:9]
	s_and_b64 s[4:5], s[4:5], exec
	s_or_saveexec_b64 s[6:7], s[6:7]
	v_mov_b32_e32 v14, s10
	s_xor_b64 exec, exec, s[6:7]
	s_cbranch_execz .LBB50_590
.LBB50_2640:
	v_mov_b32_e32 v14, 0
	v_cmp_ne_u16_sdwa s[8:9], v11, v14 src0_sel:BYTE_0 src1_sel:DWORD
	s_andn2_b64 s[4:5], s[4:5], exec
	s_and_b64 s[8:9], s[8:9], exec
	s_or_b64 s[4:5], s[4:5], s[8:9]
	s_or_b64 exec, exec, s[6:7]
	s_and_saveexec_b64 s[6:7], s[4:5]
	s_cbranch_execnz .LBB50_591
	s_branch .LBB50_592
.LBB50_2641:
	s_movk_i32 s4, 0x80
	v_cmp_eq_u16_e32 vcc, s4, v11
	s_mov_b64 s[4:5], -1
                                        ; implicit-def: $sgpr10
	s_and_saveexec_b64 s[8:9], vcc
; %bb.2642:
	s_mov_b32 s10, 0x7f800001
	s_xor_b64 s[4:5], exec, -1
; %bb.2643:
	s_or_b64 exec, exec, s[8:9]
	s_and_b64 s[4:5], s[4:5], exec
                                        ; implicit-def: $vgpr11
	s_or_saveexec_b64 s[6:7], s[6:7]
	v_mov_b32_e32 v10, s10
	s_xor_b64 exec, exec, s[6:7]
	s_cbranch_execz .LBB50_594
.LBB50_2644:
	v_cmp_ne_u16_e32 vcc, 0, v11
	s_andn2_b64 s[4:5], s[4:5], exec
	s_and_b64 s[8:9], vcc, exec
	v_mov_b32_e32 v10, 0
	s_or_b64 s[4:5], s[4:5], s[8:9]
	s_or_b64 exec, exec, s[6:7]
	s_and_saveexec_b64 s[6:7], s[4:5]
	s_cbranch_execnz .LBB50_595
	s_branch .LBB50_596
.LBB50_2645:
	s_movk_i32 s4, 0x80
	v_cmp_eq_u16_e32 vcc, s4, v11
	s_mov_b64 s[4:5], -1
                                        ; implicit-def: $sgpr10
	s_and_saveexec_b64 s[8:9], vcc
; %bb.2646:
	s_mov_b32 s10, 0x7f800001
	s_xor_b64 s[4:5], exec, -1
; %bb.2647:
	s_or_b64 exec, exec, s[8:9]
	s_and_b64 s[4:5], s[4:5], exec
                                        ; implicit-def: $vgpr11
	s_or_saveexec_b64 s[6:7], s[6:7]
	v_mov_b32_e32 v14, s10
	s_xor_b64 exec, exec, s[6:7]
	s_cbranch_execz .LBB50_598
.LBB50_2648:
	v_cmp_ne_u16_e32 vcc, 0, v11
	s_andn2_b64 s[4:5], s[4:5], exec
	s_and_b64 s[8:9], vcc, exec
	v_mov_b32_e32 v14, 0
	s_or_b64 s[4:5], s[4:5], s[8:9]
	s_or_b64 exec, exec, s[6:7]
	s_and_saveexec_b64 s[6:7], s[4:5]
	s_cbranch_execnz .LBB50_599
	s_branch .LBB50_600
.LBB50_2649:
	s_movk_i32 s4, 0x80
	v_cmp_eq_u16_sdwa s[12:13], v16, s4 src0_sel:BYTE_3 src1_sel:DWORD
	s_mov_b64 s[4:5], -1
                                        ; implicit-def: $sgpr10
	s_and_saveexec_b64 s[8:9], s[12:13]
; %bb.2650:
	s_mov_b32 s10, 0x7f800001
	s_xor_b64 s[4:5], exec, -1
; %bb.2651:
	s_or_b64 exec, exec, s[8:9]
	s_and_b64 s[4:5], s[4:5], exec
	s_or_saveexec_b64 s[6:7], s[6:7]
	v_mov_b32_e32 v10, s10
	s_xor_b64 exec, exec, s[6:7]
	s_cbranch_execz .LBB50_602
.LBB50_2652:
	v_mov_b32_e32 v10, 0
	v_cmp_ne_u16_sdwa s[8:9], v16, v10 src0_sel:BYTE_3 src1_sel:DWORD
	s_andn2_b64 s[4:5], s[4:5], exec
	s_and_b64 s[8:9], s[8:9], exec
	s_or_b64 s[4:5], s[4:5], s[8:9]
	s_or_b64 exec, exec, s[6:7]
	s_and_saveexec_b64 s[6:7], s[4:5]
	s_cbranch_execnz .LBB50_603
	s_branch .LBB50_604
.LBB50_2653:
	s_movk_i32 s4, 0x80
	v_cmp_eq_u16_sdwa s[12:13], v12, s4 src0_sel:BYTE_3 src1_sel:DWORD
	s_mov_b64 s[4:5], -1
                                        ; implicit-def: $sgpr10
	s_and_saveexec_b64 s[8:9], s[12:13]
; %bb.2654:
	s_mov_b32 s10, 0x7f800001
	s_xor_b64 s[4:5], exec, -1
; %bb.2655:
	s_or_b64 exec, exec, s[8:9]
	s_and_b64 s[4:5], s[4:5], exec
	s_or_saveexec_b64 s[6:7], s[6:7]
	v_mov_b32_e32 v11, s10
	s_xor_b64 exec, exec, s[6:7]
	s_cbranch_execz .LBB50_606
.LBB50_2656:
	v_mov_b32_e32 v11, 0
	v_cmp_ne_u16_sdwa s[8:9], v12, v11 src0_sel:BYTE_3 src1_sel:DWORD
	s_andn2_b64 s[4:5], s[4:5], exec
	s_and_b64 s[8:9], s[8:9], exec
	s_or_b64 s[4:5], s[4:5], s[8:9]
	s_or_b64 exec, exec, s[6:7]
	s_and_saveexec_b64 s[6:7], s[4:5]
	s_cbranch_execnz .LBB50_607
	s_branch .LBB50_608
.LBB50_2657:
	s_movk_i32 s4, 0x80
	v_cmp_eq_u16_sdwa s[12:13], v17, s4 src0_sel:BYTE_0 src1_sel:DWORD
	s_mov_b64 s[4:5], -1
                                        ; implicit-def: $sgpr10
	s_and_saveexec_b64 s[8:9], s[12:13]
; %bb.2658:
	s_mov_b32 s10, 0x7f800001
	s_xor_b64 s[4:5], exec, -1
; %bb.2659:
	s_or_b64 exec, exec, s[8:9]
	s_and_b64 s[4:5], s[4:5], exec
	s_or_saveexec_b64 s[6:7], s[6:7]
	v_mov_b32_e32 v10, s10
	s_xor_b64 exec, exec, s[6:7]
	s_cbranch_execz .LBB50_610
.LBB50_2660:
	v_mov_b32_e32 v10, 0
	v_cmp_ne_u16_sdwa s[8:9], v17, v10 src0_sel:BYTE_0 src1_sel:DWORD
	s_andn2_b64 s[4:5], s[4:5], exec
	s_and_b64 s[8:9], s[8:9], exec
	s_or_b64 s[4:5], s[4:5], s[8:9]
	s_or_b64 exec, exec, s[6:7]
	s_and_saveexec_b64 s[6:7], s[4:5]
	s_cbranch_execnz .LBB50_611
	s_branch .LBB50_612
.LBB50_2661:
	s_movk_i32 s4, 0x80
	v_cmp_eq_u16_sdwa s[12:13], v13, s4 src0_sel:BYTE_0 src1_sel:DWORD
	s_mov_b64 s[4:5], -1
                                        ; implicit-def: $sgpr10
	s_and_saveexec_b64 s[8:9], s[12:13]
; %bb.2662:
	s_mov_b32 s10, 0x7f800001
	s_xor_b64 s[4:5], exec, -1
; %bb.2663:
	s_or_b64 exec, exec, s[8:9]
	s_and_b64 s[4:5], s[4:5], exec
	s_or_saveexec_b64 s[6:7], s[6:7]
	v_mov_b32_e32 v11, s10
	s_xor_b64 exec, exec, s[6:7]
	s_cbranch_execz .LBB50_614
.LBB50_2664:
	v_mov_b32_e32 v11, 0
	v_cmp_ne_u16_sdwa s[8:9], v13, v11 src0_sel:BYTE_0 src1_sel:DWORD
	s_andn2_b64 s[4:5], s[4:5], exec
	s_and_b64 s[8:9], s[8:9], exec
	s_or_b64 s[4:5], s[4:5], s[8:9]
	s_or_b64 exec, exec, s[6:7]
	s_and_saveexec_b64 s[6:7], s[4:5]
	s_cbranch_execnz .LBB50_615
	s_branch .LBB50_616
.LBB50_2665:
	s_movk_i32 s4, 0x80
	v_cmp_eq_u16_sdwa s[12:13], v11, s4 src0_sel:BYTE_0 src1_sel:DWORD
	s_mov_b64 s[4:5], -1
                                        ; implicit-def: $sgpr10
	s_and_saveexec_b64 s[8:9], s[12:13]
; %bb.2666:
	s_mov_b32 s10, 0x7f800001
	s_xor_b64 s[4:5], exec, -1
; %bb.2667:
	s_or_b64 exec, exec, s[8:9]
	s_and_b64 s[4:5], s[4:5], exec
	s_or_saveexec_b64 s[6:7], s[6:7]
	v_mov_b32_e32 v10, s10
	s_xor_b64 exec, exec, s[6:7]
	s_cbranch_execz .LBB50_618
.LBB50_2668:
	v_mov_b32_e32 v10, 0
	v_cmp_ne_u16_sdwa s[8:9], v11, v10 src0_sel:BYTE_0 src1_sel:DWORD
	s_andn2_b64 s[4:5], s[4:5], exec
	s_and_b64 s[8:9], s[8:9], exec
	s_or_b64 s[4:5], s[4:5], s[8:9]
	s_or_b64 exec, exec, s[6:7]
	s_and_saveexec_b64 s[6:7], s[4:5]
	s_cbranch_execnz .LBB50_619
	s_branch .LBB50_620
.LBB50_2669:
	s_movk_i32 s4, 0x80
	v_cmp_eq_u16_sdwa s[12:13], v11, s4 src0_sel:BYTE_0 src1_sel:DWORD
	s_mov_b64 s[4:5], -1
                                        ; implicit-def: $sgpr10
	s_and_saveexec_b64 s[8:9], s[12:13]
; %bb.2670:
	s_mov_b32 s10, 0x7f800001
	s_xor_b64 s[4:5], exec, -1
; %bb.2671:
	s_or_b64 exec, exec, s[8:9]
	s_and_b64 s[4:5], s[4:5], exec
	s_or_saveexec_b64 s[6:7], s[6:7]
	v_mov_b32_e32 v12, s10
	s_xor_b64 exec, exec, s[6:7]
	s_cbranch_execz .LBB50_622
.LBB50_2672:
	v_mov_b32_e32 v12, 0
	v_cmp_ne_u16_sdwa s[8:9], v11, v12 src0_sel:BYTE_0 src1_sel:DWORD
	s_andn2_b64 s[4:5], s[4:5], exec
	s_and_b64 s[8:9], s[8:9], exec
	s_or_b64 s[4:5], s[4:5], s[8:9]
	s_or_b64 exec, exec, s[6:7]
	s_and_saveexec_b64 s[6:7], s[4:5]
	s_cbranch_execnz .LBB50_623
	s_branch .LBB50_624
.LBB50_2673:
	s_movk_i32 s4, 0x80
	v_cmp_eq_u16_e32 vcc, s4, v11
	s_mov_b64 s[4:5], -1
                                        ; implicit-def: $sgpr10
	s_and_saveexec_b64 s[8:9], vcc
; %bb.2674:
	s_mov_b32 s10, 0x7f800001
	s_xor_b64 s[4:5], exec, -1
; %bb.2675:
	s_or_b64 exec, exec, s[8:9]
	s_and_b64 s[4:5], s[4:5], exec
                                        ; implicit-def: $vgpr11
	s_or_saveexec_b64 s[6:7], s[6:7]
	v_mov_b32_e32 v10, s10
	s_xor_b64 exec, exec, s[6:7]
	s_cbranch_execz .LBB50_626
.LBB50_2676:
	v_cmp_ne_u16_e32 vcc, 0, v11
	s_andn2_b64 s[4:5], s[4:5], exec
	s_and_b64 s[8:9], vcc, exec
	v_mov_b32_e32 v10, 0
	s_or_b64 s[4:5], s[4:5], s[8:9]
	s_or_b64 exec, exec, s[6:7]
	s_and_saveexec_b64 s[6:7], s[4:5]
	s_cbranch_execnz .LBB50_627
	s_branch .LBB50_628
.LBB50_2677:
	s_movk_i32 s4, 0x80
	v_cmp_eq_u16_e32 vcc, s4, v11
	s_mov_b64 s[4:5], -1
                                        ; implicit-def: $sgpr10
	s_and_saveexec_b64 s[8:9], vcc
; %bb.2678:
	s_mov_b32 s10, 0x7f800001
	s_xor_b64 s[4:5], exec, -1
; %bb.2679:
	s_or_b64 exec, exec, s[8:9]
	s_and_b64 s[4:5], s[4:5], exec
                                        ; implicit-def: $vgpr11
	s_or_saveexec_b64 s[6:7], s[6:7]
	v_mov_b32_e32 v12, s10
	s_xor_b64 exec, exec, s[6:7]
	s_cbranch_execz .LBB50_630
.LBB50_2680:
	v_cmp_ne_u16_e32 vcc, 0, v11
	s_andn2_b64 s[4:5], s[4:5], exec
	s_and_b64 s[8:9], vcc, exec
	v_mov_b32_e32 v12, 0
	s_or_b64 s[4:5], s[4:5], s[8:9]
	s_or_b64 exec, exec, s[6:7]
	s_and_saveexec_b64 s[6:7], s[4:5]
	s_cbranch_execnz .LBB50_631
	s_branch .LBB50_632
.LBB50_2681:
	s_movk_i32 s4, 0x80
	v_cmp_eq_u16_sdwa s[12:13], v17, s4 src0_sel:BYTE_3 src1_sel:DWORD
	s_mov_b64 s[4:5], -1
                                        ; implicit-def: $sgpr10
	s_and_saveexec_b64 s[8:9], s[12:13]
; %bb.2682:
	s_mov_b32 s10, 0x7f800001
	s_xor_b64 s[4:5], exec, -1
; %bb.2683:
	s_or_b64 exec, exec, s[8:9]
	s_and_b64 s[4:5], s[4:5], exec
	s_or_saveexec_b64 s[6:7], s[6:7]
	v_mov_b32_e32 v10, s10
	s_xor_b64 exec, exec, s[6:7]
	s_cbranch_execz .LBB50_634
.LBB50_2684:
	v_mov_b32_e32 v10, 0
	v_cmp_ne_u16_sdwa s[8:9], v17, v10 src0_sel:BYTE_3 src1_sel:DWORD
	s_andn2_b64 s[4:5], s[4:5], exec
	s_and_b64 s[8:9], s[8:9], exec
	s_or_b64 s[4:5], s[4:5], s[8:9]
	s_or_b64 exec, exec, s[6:7]
	s_and_saveexec_b64 s[6:7], s[4:5]
	s_cbranch_execnz .LBB50_635
	s_branch .LBB50_636
.LBB50_2685:
	s_movk_i32 s4, 0x80
	v_cmp_eq_u16_sdwa s[12:13], v13, s4 src0_sel:BYTE_3 src1_sel:DWORD
	s_mov_b64 s[4:5], -1
                                        ; implicit-def: $sgpr10
	s_and_saveexec_b64 s[8:9], s[12:13]
; %bb.2686:
	s_mov_b32 s10, 0x7f800001
	s_xor_b64 s[4:5], exec, -1
; %bb.2687:
	s_or_b64 exec, exec, s[8:9]
	s_and_b64 s[4:5], s[4:5], exec
	s_or_saveexec_b64 s[6:7], s[6:7]
	v_mov_b32_e32 v11, s10
	s_xor_b64 exec, exec, s[6:7]
	s_cbranch_execz .LBB50_638
.LBB50_2688:
	v_mov_b32_e32 v11, 0
	v_cmp_ne_u16_sdwa s[8:9], v13, v11 src0_sel:BYTE_3 src1_sel:DWORD
	s_andn2_b64 s[4:5], s[4:5], exec
	s_and_b64 s[8:9], s[8:9], exec
	s_or_b64 s[4:5], s[4:5], s[8:9]
	s_or_b64 exec, exec, s[6:7]
	s_and_saveexec_b64 s[6:7], s[4:5]
	s_cbranch_execnz .LBB50_639
	s_branch .LBB50_640
.LBB50_2689:
	s_movk_i32 s4, 0x80
	v_cmp_eq_u16_sdwa s[12:13], v6, s4 src0_sel:BYTE_0 src1_sel:DWORD
	s_mov_b64 s[4:5], -1
                                        ; implicit-def: $sgpr10
	s_and_saveexec_b64 s[8:9], s[12:13]
; %bb.2690:
	s_mov_b32 s10, 0x7f800001
	s_xor_b64 s[4:5], exec, -1
; %bb.2691:
	s_or_b64 exec, exec, s[8:9]
	s_and_b64 s[4:5], s[4:5], exec
	s_or_saveexec_b64 s[6:7], s[6:7]
	v_mov_b32_e32 v10, s10
	s_xor_b64 exec, exec, s[6:7]
	s_cbranch_execz .LBB50_642
.LBB50_2692:
	v_mov_b32_e32 v10, 0
	v_cmp_ne_u16_sdwa s[8:9], v6, v10 src0_sel:BYTE_0 src1_sel:DWORD
	s_andn2_b64 s[4:5], s[4:5], exec
	s_and_b64 s[8:9], s[8:9], exec
	s_or_b64 s[4:5], s[4:5], s[8:9]
	s_or_b64 exec, exec, s[6:7]
	s_and_saveexec_b64 s[6:7], s[4:5]
	s_cbranch_execnz .LBB50_643
	s_branch .LBB50_644
.LBB50_2693:
	s_movk_i32 s4, 0x80
	v_cmp_eq_u16_sdwa s[12:13], v2, s4 src0_sel:BYTE_0 src1_sel:DWORD
	s_mov_b64 s[4:5], -1
                                        ; implicit-def: $sgpr10
	s_and_saveexec_b64 s[8:9], s[12:13]
; %bb.2694:
	s_mov_b32 s10, 0x7f800001
	s_xor_b64 s[4:5], exec, -1
; %bb.2695:
	s_or_b64 exec, exec, s[8:9]
	s_and_b64 s[4:5], s[4:5], exec
	s_or_saveexec_b64 s[6:7], s[6:7]
	v_mov_b32_e32 v11, s10
	s_xor_b64 exec, exec, s[6:7]
	s_cbranch_execz .LBB50_646
.LBB50_2696:
	v_mov_b32_e32 v11, 0
	v_cmp_ne_u16_sdwa s[8:9], v2, v11 src0_sel:BYTE_0 src1_sel:DWORD
	s_andn2_b64 s[4:5], s[4:5], exec
	s_and_b64 s[8:9], s[8:9], exec
	s_or_b64 s[4:5], s[4:5], s[8:9]
	s_or_b64 exec, exec, s[6:7]
	s_and_saveexec_b64 s[6:7], s[4:5]
	s_cbranch_execnz .LBB50_647
	s_branch .LBB50_648
.LBB50_2697:
	s_movk_i32 s4, 0x80
	v_cmp_eq_u16_sdwa s[12:13], v11, s4 src0_sel:BYTE_0 src1_sel:DWORD
	s_mov_b64 s[4:5], -1
                                        ; implicit-def: $sgpr10
	s_and_saveexec_b64 s[8:9], s[12:13]
; %bb.2698:
	s_mov_b32 s10, 0x7f800001
	s_xor_b64 s[4:5], exec, -1
; %bb.2699:
	s_or_b64 exec, exec, s[8:9]
	s_and_b64 s[4:5], s[4:5], exec
	s_or_saveexec_b64 s[6:7], s[6:7]
	v_mov_b32_e32 v10, s10
	s_xor_b64 exec, exec, s[6:7]
	s_cbranch_execz .LBB50_650
.LBB50_2700:
	v_mov_b32_e32 v10, 0
	v_cmp_ne_u16_sdwa s[8:9], v11, v10 src0_sel:BYTE_0 src1_sel:DWORD
	s_andn2_b64 s[4:5], s[4:5], exec
	s_and_b64 s[8:9], s[8:9], exec
	s_or_b64 s[4:5], s[4:5], s[8:9]
	s_or_b64 exec, exec, s[6:7]
	s_and_saveexec_b64 s[6:7], s[4:5]
	s_cbranch_execnz .LBB50_651
	s_branch .LBB50_652
.LBB50_2701:
	s_movk_i32 s4, 0x80
	v_cmp_eq_u16_sdwa s[12:13], v11, s4 src0_sel:BYTE_0 src1_sel:DWORD
	s_mov_b64 s[4:5], -1
                                        ; implicit-def: $sgpr10
	s_and_saveexec_b64 s[8:9], s[12:13]
; %bb.2702:
	s_mov_b32 s10, 0x7f800001
	s_xor_b64 s[4:5], exec, -1
; %bb.2703:
	s_or_b64 exec, exec, s[8:9]
	s_and_b64 s[4:5], s[4:5], exec
	s_or_saveexec_b64 s[6:7], s[6:7]
	v_mov_b32_e32 v12, s10
	s_xor_b64 exec, exec, s[6:7]
	s_cbranch_execz .LBB50_654
.LBB50_2704:
	v_mov_b32_e32 v12, 0
	v_cmp_ne_u16_sdwa s[8:9], v11, v12 src0_sel:BYTE_0 src1_sel:DWORD
	s_andn2_b64 s[4:5], s[4:5], exec
	s_and_b64 s[8:9], s[8:9], exec
	s_or_b64 s[4:5], s[4:5], s[8:9]
	s_or_b64 exec, exec, s[6:7]
	s_and_saveexec_b64 s[6:7], s[4:5]
	s_cbranch_execnz .LBB50_655
	s_branch .LBB50_656
.LBB50_2705:
	s_movk_i32 s4, 0x80
	v_cmp_eq_u16_e32 vcc, s4, v11
	s_mov_b64 s[4:5], -1
                                        ; implicit-def: $sgpr10
	s_and_saveexec_b64 s[8:9], vcc
; %bb.2706:
	s_mov_b32 s10, 0x7f800001
	s_xor_b64 s[4:5], exec, -1
; %bb.2707:
	s_or_b64 exec, exec, s[8:9]
	s_and_b64 s[4:5], s[4:5], exec
                                        ; implicit-def: $vgpr11
	s_or_saveexec_b64 s[6:7], s[6:7]
	v_mov_b32_e32 v10, s10
	s_xor_b64 exec, exec, s[6:7]
	s_cbranch_execz .LBB50_658
.LBB50_2708:
	v_cmp_ne_u16_e32 vcc, 0, v11
	s_andn2_b64 s[4:5], s[4:5], exec
	s_and_b64 s[8:9], vcc, exec
	v_mov_b32_e32 v10, 0
	s_or_b64 s[4:5], s[4:5], s[8:9]
	s_or_b64 exec, exec, s[6:7]
	s_and_saveexec_b64 s[6:7], s[4:5]
	s_cbranch_execnz .LBB50_659
	s_branch .LBB50_660
.LBB50_2709:
	s_movk_i32 s4, 0x80
	v_cmp_eq_u16_e32 vcc, s4, v11
	s_mov_b64 s[4:5], -1
                                        ; implicit-def: $sgpr10
	s_and_saveexec_b64 s[8:9], vcc
; %bb.2710:
	s_mov_b32 s10, 0x7f800001
	s_xor_b64 s[4:5], exec, -1
; %bb.2711:
	s_or_b64 exec, exec, s[8:9]
	s_and_b64 s[4:5], s[4:5], exec
                                        ; implicit-def: $vgpr11
	s_or_saveexec_b64 s[6:7], s[6:7]
	v_mov_b32_e32 v12, s10
	s_xor_b64 exec, exec, s[6:7]
	s_cbranch_execz .LBB50_662
.LBB50_2712:
	v_cmp_ne_u16_e32 vcc, 0, v11
	s_andn2_b64 s[4:5], s[4:5], exec
	s_and_b64 s[8:9], vcc, exec
	v_mov_b32_e32 v12, 0
	s_or_b64 s[4:5], s[4:5], s[8:9]
	s_or_b64 exec, exec, s[6:7]
	s_and_saveexec_b64 s[6:7], s[4:5]
	s_cbranch_execnz .LBB50_663
	s_branch .LBB50_664
.LBB50_2713:
	s_movk_i32 s4, 0x80
	v_cmp_eq_u16_sdwa s[12:13], v6, s4 src0_sel:BYTE_3 src1_sel:DWORD
	s_mov_b64 s[4:5], -1
                                        ; implicit-def: $sgpr10
	s_and_saveexec_b64 s[8:9], s[12:13]
; %bb.2714:
	s_mov_b32 s10, 0x7f800001
	s_xor_b64 s[4:5], exec, -1
; %bb.2715:
	s_or_b64 exec, exec, s[8:9]
	s_and_b64 s[4:5], s[4:5], exec
	s_or_saveexec_b64 s[6:7], s[6:7]
	v_mov_b32_e32 v10, s10
	s_xor_b64 exec, exec, s[6:7]
	s_cbranch_execz .LBB50_666
.LBB50_2716:
	v_mov_b32_e32 v10, 0
	v_cmp_ne_u16_sdwa s[8:9], v6, v10 src0_sel:BYTE_3 src1_sel:DWORD
	s_andn2_b64 s[4:5], s[4:5], exec
	s_and_b64 s[8:9], s[8:9], exec
	s_or_b64 s[4:5], s[4:5], s[8:9]
	s_or_b64 exec, exec, s[6:7]
	s_and_saveexec_b64 s[6:7], s[4:5]
	s_cbranch_execnz .LBB50_667
	s_branch .LBB50_668
.LBB50_2717:
	s_movk_i32 s4, 0x80
	v_cmp_eq_u16_sdwa s[12:13], v2, s4 src0_sel:BYTE_3 src1_sel:DWORD
	s_mov_b64 s[4:5], -1
                                        ; implicit-def: $sgpr10
	s_and_saveexec_b64 s[8:9], s[12:13]
; %bb.2718:
	s_mov_b32 s10, 0x7f800001
	s_xor_b64 s[4:5], exec, -1
; %bb.2719:
	s_or_b64 exec, exec, s[8:9]
	s_and_b64 s[4:5], s[4:5], exec
	s_or_saveexec_b64 s[6:7], s[6:7]
	v_mov_b32_e32 v6, s10
	s_xor_b64 exec, exec, s[6:7]
	s_cbranch_execz .LBB50_670
.LBB50_2720:
	v_mov_b32_e32 v6, 0
	v_cmp_ne_u16_sdwa s[8:9], v2, v6 src0_sel:BYTE_3 src1_sel:DWORD
	s_andn2_b64 s[4:5], s[4:5], exec
	s_and_b64 s[8:9], s[8:9], exec
	s_or_b64 s[4:5], s[4:5], s[8:9]
	s_or_b64 exec, exec, s[6:7]
	s_and_saveexec_b64 s[6:7], s[4:5]
	s_cbranch_execnz .LBB50_671
	s_branch .LBB50_672
.LBB50_2721:
	s_movk_i32 s4, 0x80
	v_cmp_eq_u16_sdwa s[12:13], v7, s4 src0_sel:BYTE_0 src1_sel:DWORD
	s_mov_b64 s[4:5], -1
                                        ; implicit-def: $sgpr10
	s_and_saveexec_b64 s[8:9], s[12:13]
; %bb.2722:
	s_mov_b32 s10, 0x7f800001
	s_xor_b64 s[4:5], exec, -1
; %bb.2723:
	s_or_b64 exec, exec, s[8:9]
	s_and_b64 s[4:5], s[4:5], exec
	s_or_saveexec_b64 s[6:7], s[6:7]
	v_mov_b32_e32 v2, s10
	s_xor_b64 exec, exec, s[6:7]
	s_cbranch_execz .LBB50_674
.LBB50_2724:
	v_mov_b32_e32 v2, 0
	v_cmp_ne_u16_sdwa s[8:9], v7, v2 src0_sel:BYTE_0 src1_sel:DWORD
	s_andn2_b64 s[4:5], s[4:5], exec
	s_and_b64 s[8:9], s[8:9], exec
	s_or_b64 s[4:5], s[4:5], s[8:9]
	s_or_b64 exec, exec, s[6:7]
	s_and_saveexec_b64 s[6:7], s[4:5]
	s_cbranch_execnz .LBB50_675
	s_branch .LBB50_676
.LBB50_2725:
	s_movk_i32 s4, 0x80
	v_cmp_eq_u16_sdwa s[12:13], v3, s4 src0_sel:BYTE_0 src1_sel:DWORD
	s_mov_b64 s[4:5], -1
                                        ; implicit-def: $sgpr10
	s_and_saveexec_b64 s[8:9], s[12:13]
; %bb.2726:
	s_mov_b32 s10, 0x7f800001
	s_xor_b64 s[4:5], exec, -1
; %bb.2727:
	s_or_b64 exec, exec, s[8:9]
	s_and_b64 s[4:5], s[4:5], exec
	s_or_saveexec_b64 s[6:7], s[6:7]
	v_mov_b32_e32 v6, s10
	s_xor_b64 exec, exec, s[6:7]
	s_cbranch_execz .LBB50_678
.LBB50_2728:
	v_mov_b32_e32 v6, 0
	v_cmp_ne_u16_sdwa s[8:9], v3, v6 src0_sel:BYTE_0 src1_sel:DWORD
	s_andn2_b64 s[4:5], s[4:5], exec
	s_and_b64 s[8:9], s[8:9], exec
	s_or_b64 s[4:5], s[4:5], s[8:9]
	s_or_b64 exec, exec, s[6:7]
	s_and_saveexec_b64 s[6:7], s[4:5]
	s_cbranch_execnz .LBB50_679
	s_branch .LBB50_680
.LBB50_2729:
	s_movk_i32 s4, 0x80
	v_cmp_eq_u16_sdwa s[12:13], v6, s4 src0_sel:BYTE_0 src1_sel:DWORD
	s_mov_b64 s[4:5], -1
                                        ; implicit-def: $sgpr10
	s_and_saveexec_b64 s[8:9], s[12:13]
; %bb.2730:
	s_mov_b32 s10, 0x7f800001
	s_xor_b64 s[4:5], exec, -1
; %bb.2731:
	s_or_b64 exec, exec, s[8:9]
	s_and_b64 s[4:5], s[4:5], exec
	s_or_saveexec_b64 s[6:7], s[6:7]
	v_mov_b32_e32 v2, s10
	s_xor_b64 exec, exec, s[6:7]
	s_cbranch_execz .LBB50_682
.LBB50_2732:
	v_mov_b32_e32 v2, 0
	v_cmp_ne_u16_sdwa s[8:9], v6, v2 src0_sel:BYTE_0 src1_sel:DWORD
	s_andn2_b64 s[4:5], s[4:5], exec
	s_and_b64 s[8:9], s[8:9], exec
	s_or_b64 s[4:5], s[4:5], s[8:9]
	s_or_b64 exec, exec, s[6:7]
	s_and_saveexec_b64 s[6:7], s[4:5]
	s_cbranch_execnz .LBB50_683
	s_branch .LBB50_684
.LBB50_2733:
	s_movk_i32 s4, 0x80
	v_cmp_eq_u16_sdwa s[12:13], v6, s4 src0_sel:BYTE_0 src1_sel:DWORD
	s_mov_b64 s[4:5], -1
                                        ; implicit-def: $sgpr10
	s_and_saveexec_b64 s[8:9], s[12:13]
; %bb.2734:
	s_mov_b32 s10, 0x7f800001
	s_xor_b64 s[4:5], exec, -1
; %bb.2735:
	s_or_b64 exec, exec, s[8:9]
	s_and_b64 s[4:5], s[4:5], exec
	s_or_saveexec_b64 s[6:7], s[6:7]
	v_mov_b32_e32 v10, s10
	s_xor_b64 exec, exec, s[6:7]
	s_cbranch_execz .LBB50_686
.LBB50_2736:
	v_mov_b32_e32 v10, 0
	v_cmp_ne_u16_sdwa s[8:9], v6, v10 src0_sel:BYTE_0 src1_sel:DWORD
	s_andn2_b64 s[4:5], s[4:5], exec
	s_and_b64 s[8:9], s[8:9], exec
	s_or_b64 s[4:5], s[4:5], s[8:9]
	s_or_b64 exec, exec, s[6:7]
	s_and_saveexec_b64 s[6:7], s[4:5]
	s_cbranch_execnz .LBB50_687
	s_branch .LBB50_688
.LBB50_2737:
	s_movk_i32 s4, 0x80
	v_cmp_eq_u16_e32 vcc, s4, v6
	s_mov_b64 s[4:5], -1
                                        ; implicit-def: $sgpr10
	s_and_saveexec_b64 s[8:9], vcc
; %bb.2738:
	s_mov_b32 s10, 0x7f800001
	s_xor_b64 s[4:5], exec, -1
; %bb.2739:
	s_or_b64 exec, exec, s[8:9]
	s_and_b64 s[4:5], s[4:5], exec
                                        ; implicit-def: $vgpr6
	s_or_saveexec_b64 s[6:7], s[6:7]
	v_mov_b32_e32 v2, s10
	s_xor_b64 exec, exec, s[6:7]
	s_cbranch_execz .LBB50_690
.LBB50_2740:
	v_cmp_ne_u16_e32 vcc, 0, v6
	s_andn2_b64 s[4:5], s[4:5], exec
	s_and_b64 s[8:9], vcc, exec
	v_mov_b32_e32 v2, 0
	s_or_b64 s[4:5], s[4:5], s[8:9]
	s_or_b64 exec, exec, s[6:7]
	s_and_saveexec_b64 s[6:7], s[4:5]
	s_cbranch_execnz .LBB50_691
	s_branch .LBB50_692
.LBB50_2741:
	s_movk_i32 s4, 0x80
	v_cmp_eq_u16_e32 vcc, s4, v6
	s_mov_b64 s[4:5], -1
                                        ; implicit-def: $sgpr10
	s_and_saveexec_b64 s[8:9], vcc
; %bb.2742:
	s_mov_b32 s10, 0x7f800001
	s_xor_b64 s[4:5], exec, -1
; %bb.2743:
	s_or_b64 exec, exec, s[8:9]
	s_and_b64 s[4:5], s[4:5], exec
                                        ; implicit-def: $vgpr6
	s_or_saveexec_b64 s[6:7], s[6:7]
	v_mov_b32_e32 v10, s10
	s_xor_b64 exec, exec, s[6:7]
	s_cbranch_execz .LBB50_694
.LBB50_2744:
	v_cmp_ne_u16_e32 vcc, 0, v6
	s_andn2_b64 s[4:5], s[4:5], exec
	s_and_b64 s[8:9], vcc, exec
	v_mov_b32_e32 v10, 0
	s_or_b64 s[4:5], s[4:5], s[8:9]
	s_or_b64 exec, exec, s[6:7]
	s_and_saveexec_b64 s[6:7], s[4:5]
	s_cbranch_execnz .LBB50_695
	s_branch .LBB50_696
.LBB50_2745:
	s_movk_i32 s4, 0x80
	v_cmp_eq_u16_sdwa s[12:13], v7, s4 src0_sel:BYTE_3 src1_sel:DWORD
	s_mov_b64 s[4:5], -1
                                        ; implicit-def: $sgpr10
	s_and_saveexec_b64 s[8:9], s[12:13]
; %bb.2746:
	s_mov_b32 s10, 0x7f800001
	s_xor_b64 s[4:5], exec, -1
; %bb.2747:
	s_or_b64 exec, exec, s[8:9]
	s_and_b64 s[4:5], s[4:5], exec
	s_or_saveexec_b64 s[6:7], s[6:7]
	v_mov_b32_e32 v2, s10
	s_xor_b64 exec, exec, s[6:7]
	s_cbranch_execz .LBB50_698
.LBB50_2748:
	v_mov_b32_e32 v2, 0
	v_cmp_ne_u16_sdwa s[8:9], v7, v2 src0_sel:BYTE_3 src1_sel:DWORD
	s_andn2_b64 s[4:5], s[4:5], exec
	s_and_b64 s[8:9], s[8:9], exec
	s_or_b64 s[4:5], s[4:5], s[8:9]
	s_or_b64 exec, exec, s[6:7]
	s_and_saveexec_b64 s[6:7], s[4:5]
	s_cbranch_execnz .LBB50_699
	s_branch .LBB50_700
.LBB50_2749:
	s_movk_i32 s4, 0x80
	v_cmp_eq_u16_sdwa s[12:13], v3, s4 src0_sel:BYTE_3 src1_sel:DWORD
	s_mov_b64 s[4:5], -1
                                        ; implicit-def: $sgpr10
	s_and_saveexec_b64 s[8:9], s[12:13]
; %bb.2750:
	s_mov_b32 s10, 0x7f800001
	s_xor_b64 s[4:5], exec, -1
; %bb.2751:
	s_or_b64 exec, exec, s[8:9]
	s_and_b64 s[4:5], s[4:5], exec
	s_or_saveexec_b64 s[6:7], s[6:7]
	v_mov_b32_e32 v6, s10
	s_xor_b64 exec, exec, s[6:7]
	s_cbranch_execz .LBB50_702
.LBB50_2752:
	v_mov_b32_e32 v6, 0
	v_cmp_ne_u16_sdwa s[8:9], v3, v6 src0_sel:BYTE_3 src1_sel:DWORD
	s_andn2_b64 s[4:5], s[4:5], exec
	s_and_b64 s[8:9], s[8:9], exec
	s_or_b64 s[4:5], s[4:5], s[8:9]
	s_or_b64 exec, exec, s[6:7]
	s_and_saveexec_b64 s[6:7], s[4:5]
	s_cbranch_execnz .LBB50_703
	s_branch .LBB50_704
.LBB50_2753:
	s_movk_i32 s4, 0x80
	v_cmp_eq_u16_sdwa s[12:13], v8, s4 src0_sel:BYTE_0 src1_sel:DWORD
	s_mov_b64 s[4:5], -1
                                        ; implicit-def: $sgpr10
	s_and_saveexec_b64 s[8:9], s[12:13]
; %bb.2754:
	s_mov_b32 s10, 0x7f800001
	s_xor_b64 s[4:5], exec, -1
; %bb.2755:
	s_or_b64 exec, exec, s[8:9]
	s_and_b64 s[4:5], s[4:5], exec
	s_or_saveexec_b64 s[6:7], s[6:7]
	v_mov_b32_e32 v2, s10
	s_xor_b64 exec, exec, s[6:7]
	s_cbranch_execz .LBB50_706
.LBB50_2756:
	v_mov_b32_e32 v2, 0
	v_cmp_ne_u16_sdwa s[8:9], v8, v2 src0_sel:BYTE_0 src1_sel:DWORD
	s_andn2_b64 s[4:5], s[4:5], exec
	s_and_b64 s[8:9], s[8:9], exec
	s_or_b64 s[4:5], s[4:5], s[8:9]
	s_or_b64 exec, exec, s[6:7]
	s_and_saveexec_b64 s[6:7], s[4:5]
	s_cbranch_execnz .LBB50_707
	s_branch .LBB50_708
.LBB50_2757:
	s_movk_i32 s4, 0x80
	v_cmp_eq_u16_sdwa s[12:13], v4, s4 src0_sel:BYTE_0 src1_sel:DWORD
	s_mov_b64 s[4:5], -1
                                        ; implicit-def: $sgpr10
	s_and_saveexec_b64 s[8:9], s[12:13]
; %bb.2758:
	s_mov_b32 s10, 0x7f800001
	s_xor_b64 s[4:5], exec, -1
; %bb.2759:
	s_or_b64 exec, exec, s[8:9]
	s_and_b64 s[4:5], s[4:5], exec
	s_or_saveexec_b64 s[6:7], s[6:7]
	v_mov_b32_e32 v3, s10
	s_xor_b64 exec, exec, s[6:7]
	s_cbranch_execz .LBB50_710
.LBB50_2760:
	v_mov_b32_e32 v3, 0
	v_cmp_ne_u16_sdwa s[8:9], v4, v3 src0_sel:BYTE_0 src1_sel:DWORD
	s_andn2_b64 s[4:5], s[4:5], exec
	s_and_b64 s[8:9], s[8:9], exec
	s_or_b64 s[4:5], s[4:5], s[8:9]
	s_or_b64 exec, exec, s[6:7]
	s_and_saveexec_b64 s[6:7], s[4:5]
	s_cbranch_execnz .LBB50_711
	s_branch .LBB50_712
.LBB50_2761:
	s_movk_i32 s4, 0x80
	v_cmp_eq_u16_sdwa s[12:13], v3, s4 src0_sel:BYTE_0 src1_sel:DWORD
	s_mov_b64 s[4:5], -1
                                        ; implicit-def: $sgpr10
	s_and_saveexec_b64 s[8:9], s[12:13]
; %bb.2762:
	s_mov_b32 s10, 0x7f800001
	s_xor_b64 s[4:5], exec, -1
; %bb.2763:
	s_or_b64 exec, exec, s[8:9]
	s_and_b64 s[4:5], s[4:5], exec
	s_or_saveexec_b64 s[6:7], s[6:7]
	v_mov_b32_e32 v2, s10
	s_xor_b64 exec, exec, s[6:7]
	s_cbranch_execz .LBB50_714
.LBB50_2764:
	v_mov_b32_e32 v2, 0
	v_cmp_ne_u16_sdwa s[8:9], v3, v2 src0_sel:BYTE_0 src1_sel:DWORD
	s_andn2_b64 s[4:5], s[4:5], exec
	s_and_b64 s[8:9], s[8:9], exec
	s_or_b64 s[4:5], s[4:5], s[8:9]
	s_or_b64 exec, exec, s[6:7]
	s_and_saveexec_b64 s[6:7], s[4:5]
	s_cbranch_execnz .LBB50_715
	s_branch .LBB50_716
.LBB50_2765:
	s_movk_i32 s4, 0x80
	v_cmp_eq_u16_sdwa s[12:13], v3, s4 src0_sel:BYTE_0 src1_sel:DWORD
	s_mov_b64 s[4:5], -1
                                        ; implicit-def: $sgpr10
	s_and_saveexec_b64 s[8:9], s[12:13]
; %bb.2766:
	s_mov_b32 s10, 0x7f800001
	s_xor_b64 s[4:5], exec, -1
; %bb.2767:
	s_or_b64 exec, exec, s[8:9]
	s_and_b64 s[4:5], s[4:5], exec
	s_or_saveexec_b64 s[6:7], s[6:7]
	v_mov_b32_e32 v6, s10
	s_xor_b64 exec, exec, s[6:7]
	s_cbranch_execz .LBB50_718
.LBB50_2768:
	v_mov_b32_e32 v6, 0
	v_cmp_ne_u16_sdwa s[8:9], v3, v6 src0_sel:BYTE_0 src1_sel:DWORD
	s_andn2_b64 s[4:5], s[4:5], exec
	s_and_b64 s[8:9], s[8:9], exec
	s_or_b64 s[4:5], s[4:5], s[8:9]
	s_or_b64 exec, exec, s[6:7]
	s_and_saveexec_b64 s[6:7], s[4:5]
	s_cbranch_execnz .LBB50_719
	s_branch .LBB50_720
.LBB50_2769:
	s_movk_i32 s4, 0x80
	v_cmp_eq_u16_e32 vcc, s4, v3
	s_mov_b64 s[4:5], -1
                                        ; implicit-def: $sgpr10
	s_and_saveexec_b64 s[8:9], vcc
; %bb.2770:
	s_mov_b32 s10, 0x7f800001
	s_xor_b64 s[4:5], exec, -1
; %bb.2771:
	s_or_b64 exec, exec, s[8:9]
	s_and_b64 s[4:5], s[4:5], exec
                                        ; implicit-def: $vgpr3
	s_or_saveexec_b64 s[6:7], s[6:7]
	v_mov_b32_e32 v2, s10
	s_xor_b64 exec, exec, s[6:7]
	s_cbranch_execz .LBB50_722
.LBB50_2772:
	v_cmp_ne_u16_e32 vcc, 0, v3
	s_andn2_b64 s[4:5], s[4:5], exec
	s_and_b64 s[8:9], vcc, exec
	v_mov_b32_e32 v2, 0
	s_or_b64 s[4:5], s[4:5], s[8:9]
	s_or_b64 exec, exec, s[6:7]
	s_and_saveexec_b64 s[6:7], s[4:5]
	s_cbranch_execnz .LBB50_723
	s_branch .LBB50_724
.LBB50_2773:
	s_movk_i32 s4, 0x80
	v_cmp_eq_u16_e32 vcc, s4, v3
	s_mov_b64 s[4:5], -1
                                        ; implicit-def: $sgpr10
	s_and_saveexec_b64 s[8:9], vcc
; %bb.2774:
	s_mov_b32 s10, 0x7f800001
	s_xor_b64 s[4:5], exec, -1
; %bb.2775:
	s_or_b64 exec, exec, s[8:9]
	s_and_b64 s[4:5], s[4:5], exec
                                        ; implicit-def: $vgpr3
	s_or_saveexec_b64 s[6:7], s[6:7]
	v_mov_b32_e32 v6, s10
	s_xor_b64 exec, exec, s[6:7]
	s_cbranch_execz .LBB50_726
.LBB50_2776:
	v_cmp_ne_u16_e32 vcc, 0, v3
	s_andn2_b64 s[4:5], s[4:5], exec
	s_and_b64 s[8:9], vcc, exec
	v_mov_b32_e32 v6, 0
	s_or_b64 s[4:5], s[4:5], s[8:9]
	s_or_b64 exec, exec, s[6:7]
	s_and_saveexec_b64 s[6:7], s[4:5]
	s_cbranch_execnz .LBB50_727
	s_branch .LBB50_728
.LBB50_2777:
	s_movk_i32 s4, 0x80
	v_cmp_eq_u16_sdwa s[12:13], v8, s4 src0_sel:BYTE_3 src1_sel:DWORD
	s_mov_b64 s[4:5], -1
                                        ; implicit-def: $sgpr10
	s_and_saveexec_b64 s[8:9], s[12:13]
; %bb.2778:
	s_mov_b32 s10, 0x7f800001
	s_xor_b64 s[4:5], exec, -1
; %bb.2779:
	s_or_b64 exec, exec, s[8:9]
	s_and_b64 s[4:5], s[4:5], exec
	s_or_saveexec_b64 s[6:7], s[6:7]
	v_mov_b32_e32 v2, s10
	s_xor_b64 exec, exec, s[6:7]
	s_cbranch_execz .LBB50_730
.LBB50_2780:
	v_mov_b32_e32 v2, 0
	v_cmp_ne_u16_sdwa s[8:9], v8, v2 src0_sel:BYTE_3 src1_sel:DWORD
	s_andn2_b64 s[4:5], s[4:5], exec
	s_and_b64 s[8:9], s[8:9], exec
	s_or_b64 s[4:5], s[4:5], s[8:9]
	s_or_b64 exec, exec, s[6:7]
	s_and_saveexec_b64 s[6:7], s[4:5]
	s_cbranch_execnz .LBB50_731
	s_branch .LBB50_732
.LBB50_2781:
	s_movk_i32 s4, 0x80
	v_cmp_eq_u16_sdwa s[12:13], v4, s4 src0_sel:BYTE_3 src1_sel:DWORD
	s_mov_b64 s[4:5], -1
                                        ; implicit-def: $sgpr10
	s_and_saveexec_b64 s[8:9], s[12:13]
; %bb.2782:
	s_mov_b32 s10, 0x7f800001
	s_xor_b64 s[4:5], exec, -1
; %bb.2783:
	s_or_b64 exec, exec, s[8:9]
	s_and_b64 s[4:5], s[4:5], exec
	s_or_saveexec_b64 s[6:7], s[6:7]
	v_mov_b32_e32 v3, s10
	s_xor_b64 exec, exec, s[6:7]
	s_cbranch_execz .LBB50_734
.LBB50_2784:
	v_mov_b32_e32 v3, 0
	v_cmp_ne_u16_sdwa s[8:9], v4, v3 src0_sel:BYTE_3 src1_sel:DWORD
	s_andn2_b64 s[4:5], s[4:5], exec
	s_and_b64 s[8:9], s[8:9], exec
	s_or_b64 s[4:5], s[4:5], s[8:9]
	s_or_b64 exec, exec, s[6:7]
	s_and_saveexec_b64 s[6:7], s[4:5]
	s_cbranch_execnz .LBB50_735
	s_branch .LBB50_736
.LBB50_2785:
	s_movk_i32 s4, 0x80
	v_cmp_eq_u16_sdwa s[12:13], v9, s4 src0_sel:BYTE_0 src1_sel:DWORD
	s_mov_b64 s[4:5], -1
                                        ; implicit-def: $sgpr10
	s_and_saveexec_b64 s[8:9], s[12:13]
; %bb.2786:
	s_mov_b32 s10, 0x7f800001
	s_xor_b64 s[4:5], exec, -1
; %bb.2787:
	s_or_b64 exec, exec, s[8:9]
	s_and_b64 s[4:5], s[4:5], exec
	s_or_saveexec_b64 s[6:7], s[6:7]
	v_mov_b32_e32 v2, s10
	s_xor_b64 exec, exec, s[6:7]
	s_cbranch_execz .LBB50_738
.LBB50_2788:
	v_mov_b32_e32 v2, 0
	v_cmp_ne_u16_sdwa s[8:9], v9, v2 src0_sel:BYTE_0 src1_sel:DWORD
	s_andn2_b64 s[4:5], s[4:5], exec
	s_and_b64 s[8:9], s[8:9], exec
	s_or_b64 s[4:5], s[4:5], s[8:9]
	s_or_b64 exec, exec, s[6:7]
	s_and_saveexec_b64 s[6:7], s[4:5]
	s_cbranch_execnz .LBB50_739
	s_branch .LBB50_740
.LBB50_2789:
	s_movk_i32 s4, 0x80
	v_cmp_eq_u16_sdwa s[12:13], v5, s4 src0_sel:BYTE_0 src1_sel:DWORD
	s_mov_b64 s[4:5], -1
                                        ; implicit-def: $sgpr10
	s_and_saveexec_b64 s[8:9], s[12:13]
; %bb.2790:
	s_mov_b32 s10, 0x7f800001
	s_xor_b64 s[4:5], exec, -1
; %bb.2791:
	s_or_b64 exec, exec, s[8:9]
	s_and_b64 s[4:5], s[4:5], exec
	s_or_saveexec_b64 s[6:7], s[6:7]
	v_mov_b32_e32 v3, s10
	s_xor_b64 exec, exec, s[6:7]
	s_cbranch_execz .LBB50_742
.LBB50_2792:
	v_mov_b32_e32 v3, 0
	v_cmp_ne_u16_sdwa s[8:9], v5, v3 src0_sel:BYTE_0 src1_sel:DWORD
	s_andn2_b64 s[4:5], s[4:5], exec
	s_and_b64 s[8:9], s[8:9], exec
	s_or_b64 s[4:5], s[4:5], s[8:9]
	s_or_b64 exec, exec, s[6:7]
	s_and_saveexec_b64 s[6:7], s[4:5]
	s_cbranch_execnz .LBB50_743
	s_branch .LBB50_744
.LBB50_2793:
	s_movk_i32 s4, 0x80
	v_cmp_eq_u16_sdwa s[12:13], v3, s4 src0_sel:BYTE_0 src1_sel:DWORD
	s_mov_b64 s[4:5], -1
                                        ; implicit-def: $sgpr10
	s_and_saveexec_b64 s[8:9], s[12:13]
; %bb.2794:
	s_mov_b32 s10, 0x7f800001
	s_xor_b64 s[4:5], exec, -1
; %bb.2795:
	s_or_b64 exec, exec, s[8:9]
	s_and_b64 s[4:5], s[4:5], exec
	s_or_saveexec_b64 s[6:7], s[6:7]
	v_mov_b32_e32 v2, s10
	s_xor_b64 exec, exec, s[6:7]
	s_cbranch_execz .LBB50_746
.LBB50_2796:
	v_mov_b32_e32 v2, 0
	v_cmp_ne_u16_sdwa s[8:9], v3, v2 src0_sel:BYTE_0 src1_sel:DWORD
	s_andn2_b64 s[4:5], s[4:5], exec
	s_and_b64 s[8:9], s[8:9], exec
	s_or_b64 s[4:5], s[4:5], s[8:9]
	s_or_b64 exec, exec, s[6:7]
	s_and_saveexec_b64 s[6:7], s[4:5]
	s_cbranch_execnz .LBB50_747
	s_branch .LBB50_748
.LBB50_2797:
	s_movk_i32 s4, 0x80
	v_cmp_eq_u16_sdwa s[12:13], v3, s4 src0_sel:BYTE_0 src1_sel:DWORD
	s_mov_b64 s[4:5], -1
                                        ; implicit-def: $sgpr10
	s_and_saveexec_b64 s[8:9], s[12:13]
; %bb.2798:
	s_mov_b32 s10, 0x7f800001
	s_xor_b64 s[4:5], exec, -1
; %bb.2799:
	s_or_b64 exec, exec, s[8:9]
	s_and_b64 s[4:5], s[4:5], exec
	s_or_saveexec_b64 s[6:7], s[6:7]
	v_mov_b32_e32 v4, s10
	s_xor_b64 exec, exec, s[6:7]
	s_cbranch_execz .LBB50_750
.LBB50_2800:
	v_mov_b32_e32 v4, 0
	v_cmp_ne_u16_sdwa s[8:9], v3, v4 src0_sel:BYTE_0 src1_sel:DWORD
	s_andn2_b64 s[4:5], s[4:5], exec
	s_and_b64 s[8:9], s[8:9], exec
	s_or_b64 s[4:5], s[4:5], s[8:9]
	s_or_b64 exec, exec, s[6:7]
	s_and_saveexec_b64 s[6:7], s[4:5]
	s_cbranch_execnz .LBB50_751
	s_branch .LBB50_752
.LBB50_2801:
	s_movk_i32 s4, 0x80
	v_cmp_eq_u16_e32 vcc, s4, v3
	s_mov_b64 s[4:5], -1
                                        ; implicit-def: $sgpr10
	s_and_saveexec_b64 s[8:9], vcc
; %bb.2802:
	s_mov_b32 s10, 0x7f800001
	s_xor_b64 s[4:5], exec, -1
; %bb.2803:
	s_or_b64 exec, exec, s[8:9]
	s_and_b64 s[4:5], s[4:5], exec
                                        ; implicit-def: $vgpr3
	s_or_saveexec_b64 s[6:7], s[6:7]
	v_mov_b32_e32 v2, s10
	s_xor_b64 exec, exec, s[6:7]
	s_cbranch_execz .LBB50_754
.LBB50_2804:
	v_cmp_ne_u16_e32 vcc, 0, v3
	s_andn2_b64 s[4:5], s[4:5], exec
	s_and_b64 s[8:9], vcc, exec
	v_mov_b32_e32 v2, 0
	s_or_b64 s[4:5], s[4:5], s[8:9]
	s_or_b64 exec, exec, s[6:7]
	s_and_saveexec_b64 s[6:7], s[4:5]
	s_cbranch_execnz .LBB50_755
	s_branch .LBB50_756
.LBB50_2805:
	s_movk_i32 s4, 0x80
	v_cmp_eq_u16_e32 vcc, s4, v3
	s_mov_b64 s[4:5], -1
                                        ; implicit-def: $sgpr10
	s_and_saveexec_b64 s[8:9], vcc
; %bb.2806:
	s_mov_b32 s10, 0x7f800001
	s_xor_b64 s[4:5], exec, -1
; %bb.2807:
	s_or_b64 exec, exec, s[8:9]
	s_and_b64 s[4:5], s[4:5], exec
                                        ; implicit-def: $vgpr3
	s_or_saveexec_b64 s[6:7], s[6:7]
	v_mov_b32_e32 v4, s10
	s_xor_b64 exec, exec, s[6:7]
	s_cbranch_execz .LBB50_758
.LBB50_2808:
	v_cmp_ne_u16_e32 vcc, 0, v3
	s_andn2_b64 s[4:5], s[4:5], exec
	s_and_b64 s[8:9], vcc, exec
	v_mov_b32_e32 v4, 0
	s_or_b64 s[4:5], s[4:5], s[8:9]
	s_or_b64 exec, exec, s[6:7]
	s_and_saveexec_b64 s[6:7], s[4:5]
	s_cbranch_execnz .LBB50_759
	s_branch .LBB50_760
.LBB50_2809:
	s_movk_i32 s4, 0x80
	v_cmp_eq_u16_sdwa s[12:13], v9, s4 src0_sel:BYTE_3 src1_sel:DWORD
	s_mov_b64 s[4:5], -1
                                        ; implicit-def: $sgpr10
	s_and_saveexec_b64 s[8:9], s[12:13]
; %bb.2810:
	s_mov_b32 s10, 0x7f800001
	s_xor_b64 s[4:5], exec, -1
; %bb.2811:
	s_or_b64 exec, exec, s[8:9]
	s_and_b64 s[4:5], s[4:5], exec
	s_or_saveexec_b64 s[6:7], s[6:7]
	v_mov_b32_e32 v2, s10
	s_xor_b64 exec, exec, s[6:7]
	s_cbranch_execz .LBB50_762
.LBB50_2812:
	v_mov_b32_e32 v2, 0
	v_cmp_ne_u16_sdwa s[8:9], v9, v2 src0_sel:BYTE_3 src1_sel:DWORD
	s_andn2_b64 s[4:5], s[4:5], exec
	s_and_b64 s[8:9], s[8:9], exec
	s_or_b64 s[4:5], s[4:5], s[8:9]
	s_or_b64 exec, exec, s[6:7]
	s_and_saveexec_b64 s[6:7], s[4:5]
	s_cbranch_execnz .LBB50_763
	s_branch .LBB50_764
.LBB50_2813:
	s_movk_i32 s4, 0x80
	v_cmp_eq_u16_sdwa s[12:13], v5, s4 src0_sel:BYTE_3 src1_sel:DWORD
	s_mov_b64 s[4:5], -1
                                        ; implicit-def: $sgpr10
	s_and_saveexec_b64 s[8:9], s[12:13]
; %bb.2814:
	s_mov_b32 s10, 0x7f800001
	s_xor_b64 s[4:5], exec, -1
; %bb.2815:
	s_or_b64 exec, exec, s[8:9]
	s_and_b64 s[4:5], s[4:5], exec
	s_or_saveexec_b64 s[6:7], s[6:7]
	v_mov_b32_e32 v3, s10
	s_xor_b64 exec, exec, s[6:7]
	s_cbranch_execz .LBB50_766
.LBB50_2816:
	v_mov_b32_e32 v3, 0
	v_cmp_ne_u16_sdwa s[8:9], v5, v3 src0_sel:BYTE_3 src1_sel:DWORD
	s_andn2_b64 s[4:5], s[4:5], exec
	s_and_b64 s[8:9], s[8:9], exec
	s_or_b64 s[4:5], s[4:5], s[8:9]
	s_or_b64 exec, exec, s[6:7]
	s_and_saveexec_b64 s[6:7], s[4:5]
	s_cbranch_execnz .LBB50_767
	s_branch .LBB50_768
.LBB50_2817:
	s_movk_i32 s4, 0x80
	v_cmp_eq_u16_sdwa s[12:13], v14, s4 src0_sel:BYTE_0 src1_sel:DWORD
	s_mov_b64 s[4:5], -1
                                        ; implicit-def: $sgpr10
	s_and_saveexec_b64 s[8:9], s[12:13]
; %bb.2818:
	s_mov_b32 s10, 0x7f800001
	s_xor_b64 s[4:5], exec, -1
; %bb.2819:
	s_or_b64 exec, exec, s[8:9]
	s_and_b64 s[4:5], s[4:5], exec
	s_or_saveexec_b64 s[6:7], s[6:7]
	v_mov_b32_e32 v20, s10
	s_xor_b64 exec, exec, s[6:7]
	s_cbranch_execz .LBB50_770
.LBB50_2820:
	v_mov_b32_e32 v20, 0
	v_cmp_ne_u16_sdwa s[8:9], v14, v20 src0_sel:BYTE_0 src1_sel:DWORD
	s_andn2_b64 s[4:5], s[4:5], exec
	s_and_b64 s[8:9], s[8:9], exec
	s_or_b64 s[4:5], s[4:5], s[8:9]
	s_or_b64 exec, exec, s[6:7]
	s_and_saveexec_b64 s[6:7], s[4:5]
	s_cbranch_execnz .LBB50_771
	s_branch .LBB50_772
.LBB50_2821:
	s_movk_i32 s4, 0x80
	v_cmp_eq_u16_sdwa s[12:13], v10, s4 src0_sel:BYTE_0 src1_sel:DWORD
	s_mov_b64 s[4:5], -1
                                        ; implicit-def: $sgpr10
	s_and_saveexec_b64 s[8:9], s[12:13]
; %bb.2822:
	s_mov_b32 s10, 0x7f800001
	s_xor_b64 s[4:5], exec, -1
; %bb.2823:
	s_or_b64 exec, exec, s[8:9]
	s_and_b64 s[4:5], s[4:5], exec
	s_or_saveexec_b64 s[6:7], s[6:7]
	v_mov_b32_e32 v21, s10
	s_xor_b64 exec, exec, s[6:7]
	s_cbranch_execz .LBB50_774
.LBB50_2824:
	v_mov_b32_e32 v21, 0
	v_cmp_ne_u16_sdwa s[8:9], v10, v21 src0_sel:BYTE_0 src1_sel:DWORD
	s_andn2_b64 s[4:5], s[4:5], exec
	s_and_b64 s[8:9], s[8:9], exec
	s_or_b64 s[4:5], s[4:5], s[8:9]
	s_or_b64 exec, exec, s[6:7]
	s_and_saveexec_b64 s[6:7], s[4:5]
	s_cbranch_execnz .LBB50_775
	s_branch .LBB50_776
.LBB50_2825:
	s_movk_i32 s4, 0x80
	v_cmp_eq_u16_sdwa s[12:13], v21, s4 src0_sel:BYTE_0 src1_sel:DWORD
	s_mov_b64 s[4:5], -1
                                        ; implicit-def: $sgpr10
	s_and_saveexec_b64 s[8:9], s[12:13]
; %bb.2826:
	s_mov_b32 s10, 0x7f800001
	s_xor_b64 s[4:5], exec, -1
; %bb.2827:
	s_or_b64 exec, exec, s[8:9]
	s_and_b64 s[4:5], s[4:5], exec
	s_or_saveexec_b64 s[6:7], s[6:7]
	v_mov_b32_e32 v20, s10
	s_xor_b64 exec, exec, s[6:7]
	s_cbranch_execz .LBB50_778
.LBB50_2828:
	v_mov_b32_e32 v20, 0
	v_cmp_ne_u16_sdwa s[8:9], v21, v20 src0_sel:BYTE_0 src1_sel:DWORD
	s_andn2_b64 s[4:5], s[4:5], exec
	s_and_b64 s[8:9], s[8:9], exec
	s_or_b64 s[4:5], s[4:5], s[8:9]
	s_or_b64 exec, exec, s[6:7]
	s_and_saveexec_b64 s[6:7], s[4:5]
	s_cbranch_execnz .LBB50_779
	s_branch .LBB50_780
.LBB50_2829:
	s_movk_i32 s4, 0x80
	v_cmp_eq_u16_sdwa s[12:13], v21, s4 src0_sel:BYTE_0 src1_sel:DWORD
	s_mov_b64 s[4:5], -1
                                        ; implicit-def: $sgpr10
	s_and_saveexec_b64 s[8:9], s[12:13]
; %bb.2830:
	s_mov_b32 s10, 0x7f800001
	s_xor_b64 s[4:5], exec, -1
; %bb.2831:
	s_or_b64 exec, exec, s[8:9]
	s_and_b64 s[4:5], s[4:5], exec
	s_or_saveexec_b64 s[6:7], s[6:7]
	v_mov_b32_e32 v22, s10
	s_xor_b64 exec, exec, s[6:7]
	s_cbranch_execz .LBB50_782
.LBB50_2832:
	v_mov_b32_e32 v22, 0
	v_cmp_ne_u16_sdwa s[8:9], v21, v22 src0_sel:BYTE_0 src1_sel:DWORD
	s_andn2_b64 s[4:5], s[4:5], exec
	s_and_b64 s[8:9], s[8:9], exec
	s_or_b64 s[4:5], s[4:5], s[8:9]
	s_or_b64 exec, exec, s[6:7]
	s_and_saveexec_b64 s[6:7], s[4:5]
	s_cbranch_execnz .LBB50_783
	s_branch .LBB50_784
.LBB50_2833:
	s_movk_i32 s4, 0x80
	v_cmp_eq_u16_e32 vcc, s4, v21
	s_mov_b64 s[4:5], -1
                                        ; implicit-def: $sgpr10
	s_and_saveexec_b64 s[8:9], vcc
; %bb.2834:
	s_mov_b32 s10, 0x7f800001
	s_xor_b64 s[4:5], exec, -1
; %bb.2835:
	s_or_b64 exec, exec, s[8:9]
	s_and_b64 s[4:5], s[4:5], exec
                                        ; implicit-def: $vgpr21
	s_or_saveexec_b64 s[6:7], s[6:7]
	v_mov_b32_e32 v20, s10
	s_xor_b64 exec, exec, s[6:7]
	s_cbranch_execz .LBB50_786
.LBB50_2836:
	v_cmp_ne_u16_e32 vcc, 0, v21
	s_andn2_b64 s[4:5], s[4:5], exec
	s_and_b64 s[8:9], vcc, exec
	v_mov_b32_e32 v20, 0
	s_or_b64 s[4:5], s[4:5], s[8:9]
	s_or_b64 exec, exec, s[6:7]
	s_and_saveexec_b64 s[6:7], s[4:5]
	s_cbranch_execnz .LBB50_787
	s_branch .LBB50_788
.LBB50_2837:
	s_movk_i32 s4, 0x80
	v_cmp_eq_u16_e32 vcc, s4, v21
	s_mov_b64 s[4:5], -1
                                        ; implicit-def: $sgpr10
	s_and_saveexec_b64 s[8:9], vcc
; %bb.2838:
	s_mov_b32 s10, 0x7f800001
	s_xor_b64 s[4:5], exec, -1
; %bb.2839:
	s_or_b64 exec, exec, s[8:9]
	s_and_b64 s[4:5], s[4:5], exec
                                        ; implicit-def: $vgpr21
	s_or_saveexec_b64 s[6:7], s[6:7]
	v_mov_b32_e32 v22, s10
	s_xor_b64 exec, exec, s[6:7]
	s_cbranch_execz .LBB50_790
.LBB50_2840:
	v_cmp_ne_u16_e32 vcc, 0, v21
	s_andn2_b64 s[4:5], s[4:5], exec
	s_and_b64 s[8:9], vcc, exec
	v_mov_b32_e32 v22, 0
	s_or_b64 s[4:5], s[4:5], s[8:9]
	s_or_b64 exec, exec, s[6:7]
	s_and_saveexec_b64 s[6:7], s[4:5]
	s_cbranch_execnz .LBB50_791
	s_branch .LBB50_792
.LBB50_2841:
	s_movk_i32 s4, 0x80
	v_cmp_eq_u16_sdwa s[12:13], v14, s4 src0_sel:BYTE_3 src1_sel:DWORD
	s_mov_b64 s[4:5], -1
                                        ; implicit-def: $sgpr10
	s_and_saveexec_b64 s[8:9], s[12:13]
; %bb.2842:
	s_mov_b32 s10, 0x7f800001
	s_xor_b64 s[4:5], exec, -1
; %bb.2843:
	s_or_b64 exec, exec, s[8:9]
	s_and_b64 s[4:5], s[4:5], exec
	s_or_saveexec_b64 s[6:7], s[6:7]
	v_mov_b32_e32 v20, s10
	s_xor_b64 exec, exec, s[6:7]
	s_cbranch_execz .LBB50_794
.LBB50_2844:
	v_mov_b32_e32 v20, 0
	v_cmp_ne_u16_sdwa s[8:9], v14, v20 src0_sel:BYTE_3 src1_sel:DWORD
	s_andn2_b64 s[4:5], s[4:5], exec
	s_and_b64 s[8:9], s[8:9], exec
	s_or_b64 s[4:5], s[4:5], s[8:9]
	s_or_b64 exec, exec, s[6:7]
	s_and_saveexec_b64 s[6:7], s[4:5]
	s_cbranch_execnz .LBB50_795
	s_branch .LBB50_796
.LBB50_2845:
	s_movk_i32 s4, 0x80
	v_cmp_eq_u16_sdwa s[12:13], v10, s4 src0_sel:BYTE_3 src1_sel:DWORD
	s_mov_b64 s[4:5], -1
                                        ; implicit-def: $sgpr10
	s_and_saveexec_b64 s[8:9], s[12:13]
; %bb.2846:
	s_mov_b32 s10, 0x7f800001
	s_xor_b64 s[4:5], exec, -1
; %bb.2847:
	s_or_b64 exec, exec, s[8:9]
	s_and_b64 s[4:5], s[4:5], exec
	s_or_saveexec_b64 s[6:7], s[6:7]
	v_mov_b32_e32 v14, s10
	s_xor_b64 exec, exec, s[6:7]
	s_cbranch_execz .LBB50_798
.LBB50_2848:
	v_mov_b32_e32 v14, 0
	v_cmp_ne_u16_sdwa s[8:9], v10, v14 src0_sel:BYTE_3 src1_sel:DWORD
	s_andn2_b64 s[4:5], s[4:5], exec
	s_and_b64 s[8:9], s[8:9], exec
	s_or_b64 s[4:5], s[4:5], s[8:9]
	s_or_b64 exec, exec, s[6:7]
	s_and_saveexec_b64 s[6:7], s[4:5]
	s_cbranch_execnz .LBB50_799
	s_branch .LBB50_800
.LBB50_2849:
	s_movk_i32 s4, 0x80
	v_cmp_eq_u16_sdwa s[12:13], v15, s4 src0_sel:BYTE_0 src1_sel:DWORD
	s_mov_b64 s[4:5], -1
                                        ; implicit-def: $sgpr10
	s_and_saveexec_b64 s[8:9], s[12:13]
; %bb.2850:
	s_mov_b32 s10, 0x7f800001
	s_xor_b64 s[4:5], exec, -1
; %bb.2851:
	s_or_b64 exec, exec, s[8:9]
	s_and_b64 s[4:5], s[4:5], exec
	s_or_saveexec_b64 s[6:7], s[6:7]
	v_mov_b32_e32 v10, s10
	s_xor_b64 exec, exec, s[6:7]
	s_cbranch_execz .LBB50_802
.LBB50_2852:
	v_mov_b32_e32 v10, 0
	v_cmp_ne_u16_sdwa s[8:9], v15, v10 src0_sel:BYTE_0 src1_sel:DWORD
	s_andn2_b64 s[4:5], s[4:5], exec
	s_and_b64 s[8:9], s[8:9], exec
	s_or_b64 s[4:5], s[4:5], s[8:9]
	s_or_b64 exec, exec, s[6:7]
	s_and_saveexec_b64 s[6:7], s[4:5]
	s_cbranch_execnz .LBB50_803
	s_branch .LBB50_804
.LBB50_2853:
	s_movk_i32 s4, 0x80
	v_cmp_eq_u16_sdwa s[12:13], v11, s4 src0_sel:BYTE_0 src1_sel:DWORD
	s_mov_b64 s[4:5], -1
                                        ; implicit-def: $sgpr10
	s_and_saveexec_b64 s[8:9], s[12:13]
; %bb.2854:
	s_mov_b32 s10, 0x7f800001
	s_xor_b64 s[4:5], exec, -1
; %bb.2855:
	s_or_b64 exec, exec, s[8:9]
	s_and_b64 s[4:5], s[4:5], exec
	s_or_saveexec_b64 s[6:7], s[6:7]
	v_mov_b32_e32 v14, s10
	s_xor_b64 exec, exec, s[6:7]
	s_cbranch_execz .LBB50_806
.LBB50_2856:
	v_mov_b32_e32 v14, 0
	v_cmp_ne_u16_sdwa s[8:9], v11, v14 src0_sel:BYTE_0 src1_sel:DWORD
	s_andn2_b64 s[4:5], s[4:5], exec
	s_and_b64 s[8:9], s[8:9], exec
	s_or_b64 s[4:5], s[4:5], s[8:9]
	s_or_b64 exec, exec, s[6:7]
	s_and_saveexec_b64 s[6:7], s[4:5]
	s_cbranch_execnz .LBB50_807
	s_branch .LBB50_808
.LBB50_2857:
	s_movk_i32 s4, 0x80
	v_cmp_eq_u16_sdwa s[12:13], v14, s4 src0_sel:BYTE_0 src1_sel:DWORD
	s_mov_b64 s[4:5], -1
                                        ; implicit-def: $sgpr10
	s_and_saveexec_b64 s[8:9], s[12:13]
; %bb.2858:
	s_mov_b32 s10, 0x7f800001
	s_xor_b64 s[4:5], exec, -1
; %bb.2859:
	s_or_b64 exec, exec, s[8:9]
	s_and_b64 s[4:5], s[4:5], exec
	s_or_saveexec_b64 s[6:7], s[6:7]
	v_mov_b32_e32 v10, s10
	s_xor_b64 exec, exec, s[6:7]
	s_cbranch_execz .LBB50_810
.LBB50_2860:
	v_mov_b32_e32 v10, 0
	v_cmp_ne_u16_sdwa s[8:9], v14, v10 src0_sel:BYTE_0 src1_sel:DWORD
	s_andn2_b64 s[4:5], s[4:5], exec
	s_and_b64 s[8:9], s[8:9], exec
	s_or_b64 s[4:5], s[4:5], s[8:9]
	s_or_b64 exec, exec, s[6:7]
	s_and_saveexec_b64 s[6:7], s[4:5]
	s_cbranch_execnz .LBB50_811
	s_branch .LBB50_812
.LBB50_2861:
	s_movk_i32 s4, 0x80
	v_cmp_eq_u16_sdwa s[12:13], v14, s4 src0_sel:BYTE_0 src1_sel:DWORD
	s_mov_b64 s[4:5], -1
                                        ; implicit-def: $sgpr10
	s_and_saveexec_b64 s[8:9], s[12:13]
; %bb.2862:
	s_mov_b32 s10, 0x7f800001
	s_xor_b64 s[4:5], exec, -1
; %bb.2863:
	s_or_b64 exec, exec, s[8:9]
	s_and_b64 s[4:5], s[4:5], exec
	s_or_saveexec_b64 s[6:7], s[6:7]
	v_mov_b32_e32 v20, s10
	s_xor_b64 exec, exec, s[6:7]
	s_cbranch_execz .LBB50_814
.LBB50_2864:
	v_mov_b32_e32 v20, 0
	v_cmp_ne_u16_sdwa s[8:9], v14, v20 src0_sel:BYTE_0 src1_sel:DWORD
	s_andn2_b64 s[4:5], s[4:5], exec
	s_and_b64 s[8:9], s[8:9], exec
	s_or_b64 s[4:5], s[4:5], s[8:9]
	s_or_b64 exec, exec, s[6:7]
	s_and_saveexec_b64 s[6:7], s[4:5]
	s_cbranch_execnz .LBB50_815
	s_branch .LBB50_816
.LBB50_2865:
	s_movk_i32 s4, 0x80
	v_cmp_eq_u16_e32 vcc, s4, v14
	s_mov_b64 s[4:5], -1
                                        ; implicit-def: $sgpr10
	s_and_saveexec_b64 s[8:9], vcc
; %bb.2866:
	s_mov_b32 s10, 0x7f800001
	s_xor_b64 s[4:5], exec, -1
; %bb.2867:
	s_or_b64 exec, exec, s[8:9]
	s_and_b64 s[4:5], s[4:5], exec
                                        ; implicit-def: $vgpr14
	s_or_saveexec_b64 s[6:7], s[6:7]
	v_mov_b32_e32 v10, s10
	s_xor_b64 exec, exec, s[6:7]
	s_cbranch_execz .LBB50_818
.LBB50_2868:
	v_cmp_ne_u16_e32 vcc, 0, v14
	s_andn2_b64 s[4:5], s[4:5], exec
	s_and_b64 s[8:9], vcc, exec
	v_mov_b32_e32 v10, 0
	s_or_b64 s[4:5], s[4:5], s[8:9]
	s_or_b64 exec, exec, s[6:7]
	s_and_saveexec_b64 s[6:7], s[4:5]
	s_cbranch_execnz .LBB50_819
	s_branch .LBB50_820
.LBB50_2869:
	s_movk_i32 s4, 0x80
	v_cmp_eq_u16_e32 vcc, s4, v14
	s_mov_b64 s[4:5], -1
                                        ; implicit-def: $sgpr10
	s_and_saveexec_b64 s[8:9], vcc
; %bb.2870:
	s_mov_b32 s10, 0x7f800001
	s_xor_b64 s[4:5], exec, -1
; %bb.2871:
	s_or_b64 exec, exec, s[8:9]
	s_and_b64 s[4:5], s[4:5], exec
                                        ; implicit-def: $vgpr14
	s_or_saveexec_b64 s[6:7], s[6:7]
	v_mov_b32_e32 v20, s10
	s_xor_b64 exec, exec, s[6:7]
	s_cbranch_execz .LBB50_822
.LBB50_2872:
	v_cmp_ne_u16_e32 vcc, 0, v14
	s_andn2_b64 s[4:5], s[4:5], exec
	s_and_b64 s[8:9], vcc, exec
	v_mov_b32_e32 v20, 0
	s_or_b64 s[4:5], s[4:5], s[8:9]
	s_or_b64 exec, exec, s[6:7]
	s_and_saveexec_b64 s[6:7], s[4:5]
	s_cbranch_execnz .LBB50_823
	s_branch .LBB50_824
.LBB50_2873:
	s_movk_i32 s4, 0x80
	v_cmp_eq_u16_sdwa s[12:13], v15, s4 src0_sel:BYTE_3 src1_sel:DWORD
	s_mov_b64 s[4:5], -1
                                        ; implicit-def: $sgpr10
	s_and_saveexec_b64 s[8:9], s[12:13]
; %bb.2874:
	s_mov_b32 s10, 0x7f800001
	s_xor_b64 s[4:5], exec, -1
; %bb.2875:
	s_or_b64 exec, exec, s[8:9]
	s_and_b64 s[4:5], s[4:5], exec
	s_or_saveexec_b64 s[6:7], s[6:7]
	v_mov_b32_e32 v10, s10
	s_xor_b64 exec, exec, s[6:7]
	s_cbranch_execz .LBB50_826
.LBB50_2876:
	v_mov_b32_e32 v10, 0
	v_cmp_ne_u16_sdwa s[8:9], v15, v10 src0_sel:BYTE_3 src1_sel:DWORD
	s_andn2_b64 s[4:5], s[4:5], exec
	s_and_b64 s[8:9], s[8:9], exec
	s_or_b64 s[4:5], s[4:5], s[8:9]
	s_or_b64 exec, exec, s[6:7]
	s_and_saveexec_b64 s[6:7], s[4:5]
	s_cbranch_execnz .LBB50_827
	s_branch .LBB50_828
.LBB50_2877:
	s_movk_i32 s4, 0x80
	v_cmp_eq_u16_sdwa s[12:13], v11, s4 src0_sel:BYTE_3 src1_sel:DWORD
	s_mov_b64 s[4:5], -1
                                        ; implicit-def: $sgpr10
	s_and_saveexec_b64 s[8:9], s[12:13]
; %bb.2878:
	s_mov_b32 s10, 0x7f800001
	s_xor_b64 s[4:5], exec, -1
; %bb.2879:
	s_or_b64 exec, exec, s[8:9]
	s_and_b64 s[4:5], s[4:5], exec
	s_or_saveexec_b64 s[6:7], s[6:7]
	v_mov_b32_e32 v14, s10
	s_xor_b64 exec, exec, s[6:7]
	s_cbranch_execz .LBB50_830
.LBB50_2880:
	v_mov_b32_e32 v14, 0
	v_cmp_ne_u16_sdwa s[8:9], v11, v14 src0_sel:BYTE_3 src1_sel:DWORD
	s_andn2_b64 s[4:5], s[4:5], exec
	s_and_b64 s[8:9], s[8:9], exec
	s_or_b64 s[4:5], s[4:5], s[8:9]
	s_or_b64 exec, exec, s[6:7]
	s_and_saveexec_b64 s[6:7], s[4:5]
	s_cbranch_execnz .LBB50_831
	s_branch .LBB50_832
.LBB50_2881:
	s_movk_i32 s4, 0x80
	v_cmp_eq_u16_sdwa s[12:13], v16, s4 src0_sel:BYTE_0 src1_sel:DWORD
	s_mov_b64 s[4:5], -1
                                        ; implicit-def: $sgpr10
	s_and_saveexec_b64 s[8:9], s[12:13]
; %bb.2882:
	s_mov_b32 s10, 0x7f800001
	s_xor_b64 s[4:5], exec, -1
; %bb.2883:
	s_or_b64 exec, exec, s[8:9]
	s_and_b64 s[4:5], s[4:5], exec
	s_or_saveexec_b64 s[6:7], s[6:7]
	v_mov_b32_e32 v10, s10
	s_xor_b64 exec, exec, s[6:7]
	s_cbranch_execz .LBB50_834
.LBB50_2884:
	v_mov_b32_e32 v10, 0
	v_cmp_ne_u16_sdwa s[8:9], v16, v10 src0_sel:BYTE_0 src1_sel:DWORD
	s_andn2_b64 s[4:5], s[4:5], exec
	s_and_b64 s[8:9], s[8:9], exec
	s_or_b64 s[4:5], s[4:5], s[8:9]
	s_or_b64 exec, exec, s[6:7]
	s_and_saveexec_b64 s[6:7], s[4:5]
	s_cbranch_execnz .LBB50_835
	s_branch .LBB50_836
.LBB50_2885:
	s_movk_i32 s4, 0x80
	v_cmp_eq_u16_sdwa s[12:13], v12, s4 src0_sel:BYTE_0 src1_sel:DWORD
	s_mov_b64 s[4:5], -1
                                        ; implicit-def: $sgpr10
	s_and_saveexec_b64 s[8:9], s[12:13]
; %bb.2886:
	s_mov_b32 s10, 0x7f800001
	s_xor_b64 s[4:5], exec, -1
; %bb.2887:
	s_or_b64 exec, exec, s[8:9]
	s_and_b64 s[4:5], s[4:5], exec
	s_or_saveexec_b64 s[6:7], s[6:7]
	v_mov_b32_e32 v11, s10
	s_xor_b64 exec, exec, s[6:7]
	s_cbranch_execz .LBB50_838
.LBB50_2888:
	v_mov_b32_e32 v11, 0
	v_cmp_ne_u16_sdwa s[8:9], v12, v11 src0_sel:BYTE_0 src1_sel:DWORD
	s_andn2_b64 s[4:5], s[4:5], exec
	s_and_b64 s[8:9], s[8:9], exec
	s_or_b64 s[4:5], s[4:5], s[8:9]
	s_or_b64 exec, exec, s[6:7]
	s_and_saveexec_b64 s[6:7], s[4:5]
	s_cbranch_execnz .LBB50_839
	s_branch .LBB50_840
.LBB50_2889:
	s_movk_i32 s4, 0x80
	v_cmp_eq_u16_sdwa s[12:13], v11, s4 src0_sel:BYTE_0 src1_sel:DWORD
	s_mov_b64 s[4:5], -1
                                        ; implicit-def: $sgpr10
	s_and_saveexec_b64 s[8:9], s[12:13]
; %bb.2890:
	s_mov_b32 s10, 0x7f800001
	s_xor_b64 s[4:5], exec, -1
; %bb.2891:
	s_or_b64 exec, exec, s[8:9]
	s_and_b64 s[4:5], s[4:5], exec
	s_or_saveexec_b64 s[6:7], s[6:7]
	v_mov_b32_e32 v10, s10
	s_xor_b64 exec, exec, s[6:7]
	s_cbranch_execz .LBB50_842
.LBB50_2892:
	v_mov_b32_e32 v10, 0
	v_cmp_ne_u16_sdwa s[8:9], v11, v10 src0_sel:BYTE_0 src1_sel:DWORD
	s_andn2_b64 s[4:5], s[4:5], exec
	s_and_b64 s[8:9], s[8:9], exec
	s_or_b64 s[4:5], s[4:5], s[8:9]
	s_or_b64 exec, exec, s[6:7]
	s_and_saveexec_b64 s[6:7], s[4:5]
	s_cbranch_execnz .LBB50_843
	s_branch .LBB50_844
.LBB50_2893:
	s_movk_i32 s4, 0x80
	v_cmp_eq_u16_sdwa s[12:13], v11, s4 src0_sel:BYTE_0 src1_sel:DWORD
	s_mov_b64 s[4:5], -1
                                        ; implicit-def: $sgpr10
	s_and_saveexec_b64 s[8:9], s[12:13]
; %bb.2894:
	s_mov_b32 s10, 0x7f800001
	s_xor_b64 s[4:5], exec, -1
; %bb.2895:
	s_or_b64 exec, exec, s[8:9]
	s_and_b64 s[4:5], s[4:5], exec
	s_or_saveexec_b64 s[6:7], s[6:7]
	v_mov_b32_e32 v14, s10
	s_xor_b64 exec, exec, s[6:7]
	s_cbranch_execz .LBB50_846
.LBB50_2896:
	v_mov_b32_e32 v14, 0
	v_cmp_ne_u16_sdwa s[8:9], v11, v14 src0_sel:BYTE_0 src1_sel:DWORD
	s_andn2_b64 s[4:5], s[4:5], exec
	s_and_b64 s[8:9], s[8:9], exec
	s_or_b64 s[4:5], s[4:5], s[8:9]
	s_or_b64 exec, exec, s[6:7]
	s_and_saveexec_b64 s[6:7], s[4:5]
	s_cbranch_execnz .LBB50_847
	s_branch .LBB50_848
.LBB50_2897:
	s_movk_i32 s4, 0x80
	v_cmp_eq_u16_e32 vcc, s4, v11
	s_mov_b64 s[4:5], -1
                                        ; implicit-def: $sgpr10
	s_and_saveexec_b64 s[8:9], vcc
; %bb.2898:
	s_mov_b32 s10, 0x7f800001
	s_xor_b64 s[4:5], exec, -1
; %bb.2899:
	s_or_b64 exec, exec, s[8:9]
	s_and_b64 s[4:5], s[4:5], exec
                                        ; implicit-def: $vgpr11
	s_or_saveexec_b64 s[6:7], s[6:7]
	v_mov_b32_e32 v10, s10
	s_xor_b64 exec, exec, s[6:7]
	s_cbranch_execz .LBB50_850
.LBB50_2900:
	v_cmp_ne_u16_e32 vcc, 0, v11
	s_andn2_b64 s[4:5], s[4:5], exec
	s_and_b64 s[8:9], vcc, exec
	v_mov_b32_e32 v10, 0
	s_or_b64 s[4:5], s[4:5], s[8:9]
	s_or_b64 exec, exec, s[6:7]
	s_and_saveexec_b64 s[6:7], s[4:5]
	s_cbranch_execnz .LBB50_851
	s_branch .LBB50_852
.LBB50_2901:
	s_movk_i32 s4, 0x80
	v_cmp_eq_u16_e32 vcc, s4, v11
	s_mov_b64 s[4:5], -1
                                        ; implicit-def: $sgpr10
	s_and_saveexec_b64 s[8:9], vcc
; %bb.2902:
	s_mov_b32 s10, 0x7f800001
	s_xor_b64 s[4:5], exec, -1
; %bb.2903:
	s_or_b64 exec, exec, s[8:9]
	s_and_b64 s[4:5], s[4:5], exec
                                        ; implicit-def: $vgpr11
	s_or_saveexec_b64 s[6:7], s[6:7]
	v_mov_b32_e32 v14, s10
	s_xor_b64 exec, exec, s[6:7]
	s_cbranch_execz .LBB50_854
.LBB50_2904:
	v_cmp_ne_u16_e32 vcc, 0, v11
	s_andn2_b64 s[4:5], s[4:5], exec
	s_and_b64 s[8:9], vcc, exec
	v_mov_b32_e32 v14, 0
	s_or_b64 s[4:5], s[4:5], s[8:9]
	s_or_b64 exec, exec, s[6:7]
	s_and_saveexec_b64 s[6:7], s[4:5]
	s_cbranch_execnz .LBB50_855
	s_branch .LBB50_856
.LBB50_2905:
	s_movk_i32 s4, 0x80
	v_cmp_eq_u16_sdwa s[12:13], v16, s4 src0_sel:BYTE_3 src1_sel:DWORD
	s_mov_b64 s[4:5], -1
                                        ; implicit-def: $sgpr10
	s_and_saveexec_b64 s[8:9], s[12:13]
; %bb.2906:
	s_mov_b32 s10, 0x7f800001
	s_xor_b64 s[4:5], exec, -1
; %bb.2907:
	s_or_b64 exec, exec, s[8:9]
	s_and_b64 s[4:5], s[4:5], exec
	s_or_saveexec_b64 s[6:7], s[6:7]
	v_mov_b32_e32 v10, s10
	s_xor_b64 exec, exec, s[6:7]
	s_cbranch_execz .LBB50_858
.LBB50_2908:
	v_mov_b32_e32 v10, 0
	v_cmp_ne_u16_sdwa s[8:9], v16, v10 src0_sel:BYTE_3 src1_sel:DWORD
	s_andn2_b64 s[4:5], s[4:5], exec
	s_and_b64 s[8:9], s[8:9], exec
	s_or_b64 s[4:5], s[4:5], s[8:9]
	s_or_b64 exec, exec, s[6:7]
	s_and_saveexec_b64 s[6:7], s[4:5]
	s_cbranch_execnz .LBB50_859
	s_branch .LBB50_860
.LBB50_2909:
	s_movk_i32 s4, 0x80
	v_cmp_eq_u16_sdwa s[12:13], v12, s4 src0_sel:BYTE_3 src1_sel:DWORD
	s_mov_b64 s[4:5], -1
                                        ; implicit-def: $sgpr10
	s_and_saveexec_b64 s[8:9], s[12:13]
; %bb.2910:
	s_mov_b32 s10, 0x7f800001
	s_xor_b64 s[4:5], exec, -1
; %bb.2911:
	s_or_b64 exec, exec, s[8:9]
	s_and_b64 s[4:5], s[4:5], exec
	s_or_saveexec_b64 s[6:7], s[6:7]
	v_mov_b32_e32 v11, s10
	s_xor_b64 exec, exec, s[6:7]
	s_cbranch_execz .LBB50_862
.LBB50_2912:
	v_mov_b32_e32 v11, 0
	v_cmp_ne_u16_sdwa s[8:9], v12, v11 src0_sel:BYTE_3 src1_sel:DWORD
	s_andn2_b64 s[4:5], s[4:5], exec
	s_and_b64 s[8:9], s[8:9], exec
	s_or_b64 s[4:5], s[4:5], s[8:9]
	s_or_b64 exec, exec, s[6:7]
	s_and_saveexec_b64 s[6:7], s[4:5]
	s_cbranch_execnz .LBB50_863
	s_branch .LBB50_864
.LBB50_2913:
	s_movk_i32 s4, 0x80
	v_cmp_eq_u16_sdwa s[12:13], v17, s4 src0_sel:BYTE_0 src1_sel:DWORD
	s_mov_b64 s[4:5], -1
                                        ; implicit-def: $sgpr10
	s_and_saveexec_b64 s[8:9], s[12:13]
; %bb.2914:
	s_mov_b32 s10, 0x7f800001
	s_xor_b64 s[4:5], exec, -1
; %bb.2915:
	s_or_b64 exec, exec, s[8:9]
	s_and_b64 s[4:5], s[4:5], exec
	s_or_saveexec_b64 s[6:7], s[6:7]
	v_mov_b32_e32 v10, s10
	s_xor_b64 exec, exec, s[6:7]
	s_cbranch_execz .LBB50_866
.LBB50_2916:
	v_mov_b32_e32 v10, 0
	v_cmp_ne_u16_sdwa s[8:9], v17, v10 src0_sel:BYTE_0 src1_sel:DWORD
	s_andn2_b64 s[4:5], s[4:5], exec
	s_and_b64 s[8:9], s[8:9], exec
	s_or_b64 s[4:5], s[4:5], s[8:9]
	s_or_b64 exec, exec, s[6:7]
	s_and_saveexec_b64 s[6:7], s[4:5]
	s_cbranch_execnz .LBB50_867
	s_branch .LBB50_868
.LBB50_2917:
	s_movk_i32 s4, 0x80
	v_cmp_eq_u16_sdwa s[12:13], v13, s4 src0_sel:BYTE_0 src1_sel:DWORD
	s_mov_b64 s[4:5], -1
                                        ; implicit-def: $sgpr10
	s_and_saveexec_b64 s[8:9], s[12:13]
; %bb.2918:
	s_mov_b32 s10, 0x7f800001
	s_xor_b64 s[4:5], exec, -1
; %bb.2919:
	s_or_b64 exec, exec, s[8:9]
	s_and_b64 s[4:5], s[4:5], exec
	s_or_saveexec_b64 s[6:7], s[6:7]
	v_mov_b32_e32 v11, s10
	s_xor_b64 exec, exec, s[6:7]
	s_cbranch_execz .LBB50_870
.LBB50_2920:
	v_mov_b32_e32 v11, 0
	v_cmp_ne_u16_sdwa s[8:9], v13, v11 src0_sel:BYTE_0 src1_sel:DWORD
	s_andn2_b64 s[4:5], s[4:5], exec
	s_and_b64 s[8:9], s[8:9], exec
	s_or_b64 s[4:5], s[4:5], s[8:9]
	s_or_b64 exec, exec, s[6:7]
	s_and_saveexec_b64 s[6:7], s[4:5]
	s_cbranch_execnz .LBB50_871
	s_branch .LBB50_872
.LBB50_2921:
	s_movk_i32 s4, 0x80
	v_cmp_eq_u16_sdwa s[12:13], v11, s4 src0_sel:BYTE_0 src1_sel:DWORD
	s_mov_b64 s[4:5], -1
                                        ; implicit-def: $sgpr10
	s_and_saveexec_b64 s[8:9], s[12:13]
; %bb.2922:
	s_mov_b32 s10, 0x7f800001
	s_xor_b64 s[4:5], exec, -1
; %bb.2923:
	s_or_b64 exec, exec, s[8:9]
	s_and_b64 s[4:5], s[4:5], exec
	s_or_saveexec_b64 s[6:7], s[6:7]
	v_mov_b32_e32 v10, s10
	s_xor_b64 exec, exec, s[6:7]
	s_cbranch_execz .LBB50_874
.LBB50_2924:
	v_mov_b32_e32 v10, 0
	v_cmp_ne_u16_sdwa s[8:9], v11, v10 src0_sel:BYTE_0 src1_sel:DWORD
	s_andn2_b64 s[4:5], s[4:5], exec
	s_and_b64 s[8:9], s[8:9], exec
	s_or_b64 s[4:5], s[4:5], s[8:9]
	s_or_b64 exec, exec, s[6:7]
	s_and_saveexec_b64 s[6:7], s[4:5]
	s_cbranch_execnz .LBB50_875
	s_branch .LBB50_876
.LBB50_2925:
	s_movk_i32 s4, 0x80
	v_cmp_eq_u16_sdwa s[12:13], v11, s4 src0_sel:BYTE_0 src1_sel:DWORD
	s_mov_b64 s[4:5], -1
                                        ; implicit-def: $sgpr10
	s_and_saveexec_b64 s[8:9], s[12:13]
; %bb.2926:
	s_mov_b32 s10, 0x7f800001
	s_xor_b64 s[4:5], exec, -1
; %bb.2927:
	s_or_b64 exec, exec, s[8:9]
	s_and_b64 s[4:5], s[4:5], exec
	s_or_saveexec_b64 s[6:7], s[6:7]
	v_mov_b32_e32 v12, s10
	s_xor_b64 exec, exec, s[6:7]
	s_cbranch_execz .LBB50_878
.LBB50_2928:
	v_mov_b32_e32 v12, 0
	v_cmp_ne_u16_sdwa s[8:9], v11, v12 src0_sel:BYTE_0 src1_sel:DWORD
	s_andn2_b64 s[4:5], s[4:5], exec
	s_and_b64 s[8:9], s[8:9], exec
	s_or_b64 s[4:5], s[4:5], s[8:9]
	s_or_b64 exec, exec, s[6:7]
	s_and_saveexec_b64 s[6:7], s[4:5]
	s_cbranch_execnz .LBB50_879
	s_branch .LBB50_880
.LBB50_2929:
	s_movk_i32 s4, 0x80
	v_cmp_eq_u16_e32 vcc, s4, v11
	s_mov_b64 s[4:5], -1
                                        ; implicit-def: $sgpr10
	s_and_saveexec_b64 s[8:9], vcc
; %bb.2930:
	s_mov_b32 s10, 0x7f800001
	s_xor_b64 s[4:5], exec, -1
; %bb.2931:
	s_or_b64 exec, exec, s[8:9]
	s_and_b64 s[4:5], s[4:5], exec
                                        ; implicit-def: $vgpr11
	s_or_saveexec_b64 s[6:7], s[6:7]
	v_mov_b32_e32 v10, s10
	s_xor_b64 exec, exec, s[6:7]
	s_cbranch_execz .LBB50_882
.LBB50_2932:
	v_cmp_ne_u16_e32 vcc, 0, v11
	s_andn2_b64 s[4:5], s[4:5], exec
	s_and_b64 s[8:9], vcc, exec
	v_mov_b32_e32 v10, 0
	s_or_b64 s[4:5], s[4:5], s[8:9]
	s_or_b64 exec, exec, s[6:7]
	s_and_saveexec_b64 s[6:7], s[4:5]
	s_cbranch_execnz .LBB50_883
	s_branch .LBB50_884
.LBB50_2933:
	s_movk_i32 s4, 0x80
	v_cmp_eq_u16_e32 vcc, s4, v11
	s_mov_b64 s[4:5], -1
                                        ; implicit-def: $sgpr10
	s_and_saveexec_b64 s[8:9], vcc
; %bb.2934:
	s_mov_b32 s10, 0x7f800001
	s_xor_b64 s[4:5], exec, -1
; %bb.2935:
	s_or_b64 exec, exec, s[8:9]
	s_and_b64 s[4:5], s[4:5], exec
                                        ; implicit-def: $vgpr11
	s_or_saveexec_b64 s[6:7], s[6:7]
	v_mov_b32_e32 v12, s10
	s_xor_b64 exec, exec, s[6:7]
	s_cbranch_execz .LBB50_886
.LBB50_2936:
	v_cmp_ne_u16_e32 vcc, 0, v11
	s_andn2_b64 s[4:5], s[4:5], exec
	s_and_b64 s[8:9], vcc, exec
	v_mov_b32_e32 v12, 0
	s_or_b64 s[4:5], s[4:5], s[8:9]
	s_or_b64 exec, exec, s[6:7]
	s_and_saveexec_b64 s[6:7], s[4:5]
	s_cbranch_execnz .LBB50_887
	s_branch .LBB50_888
.LBB50_2937:
	s_movk_i32 s4, 0x80
	v_cmp_eq_u16_sdwa s[12:13], v17, s4 src0_sel:BYTE_3 src1_sel:DWORD
	s_mov_b64 s[4:5], -1
                                        ; implicit-def: $sgpr10
	s_and_saveexec_b64 s[8:9], s[12:13]
; %bb.2938:
	s_mov_b32 s10, 0x7f800001
	s_xor_b64 s[4:5], exec, -1
; %bb.2939:
	s_or_b64 exec, exec, s[8:9]
	s_and_b64 s[4:5], s[4:5], exec
	s_or_saveexec_b64 s[6:7], s[6:7]
	v_mov_b32_e32 v10, s10
	s_xor_b64 exec, exec, s[6:7]
	s_cbranch_execz .LBB50_890
.LBB50_2940:
	v_mov_b32_e32 v10, 0
	v_cmp_ne_u16_sdwa s[8:9], v17, v10 src0_sel:BYTE_3 src1_sel:DWORD
	s_andn2_b64 s[4:5], s[4:5], exec
	s_and_b64 s[8:9], s[8:9], exec
	s_or_b64 s[4:5], s[4:5], s[8:9]
	s_or_b64 exec, exec, s[6:7]
	s_and_saveexec_b64 s[6:7], s[4:5]
	s_cbranch_execnz .LBB50_891
	s_branch .LBB50_892
.LBB50_2941:
	s_movk_i32 s4, 0x80
	v_cmp_eq_u16_sdwa s[12:13], v13, s4 src0_sel:BYTE_3 src1_sel:DWORD
	s_mov_b64 s[4:5], -1
                                        ; implicit-def: $sgpr10
	s_and_saveexec_b64 s[8:9], s[12:13]
; %bb.2942:
	s_mov_b32 s10, 0x7f800001
	s_xor_b64 s[4:5], exec, -1
; %bb.2943:
	s_or_b64 exec, exec, s[8:9]
	s_and_b64 s[4:5], s[4:5], exec
	s_or_saveexec_b64 s[6:7], s[6:7]
	v_mov_b32_e32 v11, s10
	s_xor_b64 exec, exec, s[6:7]
	s_cbranch_execz .LBB50_894
.LBB50_2944:
	v_mov_b32_e32 v11, 0
	v_cmp_ne_u16_sdwa s[8:9], v13, v11 src0_sel:BYTE_3 src1_sel:DWORD
	s_andn2_b64 s[4:5], s[4:5], exec
	s_and_b64 s[8:9], s[8:9], exec
	s_or_b64 s[4:5], s[4:5], s[8:9]
	s_or_b64 exec, exec, s[6:7]
	s_and_saveexec_b64 s[6:7], s[4:5]
	s_cbranch_execnz .LBB50_895
	s_branch .LBB50_896
.LBB50_2945:
	s_movk_i32 s4, 0x80
	v_cmp_eq_u16_sdwa s[12:13], v6, s4 src0_sel:BYTE_0 src1_sel:DWORD
	s_mov_b64 s[4:5], -1
                                        ; implicit-def: $sgpr10
	s_and_saveexec_b64 s[8:9], s[12:13]
; %bb.2946:
	s_mov_b32 s10, 0x7f800001
	s_xor_b64 s[4:5], exec, -1
; %bb.2947:
	s_or_b64 exec, exec, s[8:9]
	s_and_b64 s[4:5], s[4:5], exec
	s_or_saveexec_b64 s[6:7], s[6:7]
	v_mov_b32_e32 v10, s10
	s_xor_b64 exec, exec, s[6:7]
	s_cbranch_execz .LBB50_898
.LBB50_2948:
	v_mov_b32_e32 v10, 0
	v_cmp_ne_u16_sdwa s[8:9], v6, v10 src0_sel:BYTE_0 src1_sel:DWORD
	s_andn2_b64 s[4:5], s[4:5], exec
	s_and_b64 s[8:9], s[8:9], exec
	s_or_b64 s[4:5], s[4:5], s[8:9]
	s_or_b64 exec, exec, s[6:7]
	s_and_saveexec_b64 s[6:7], s[4:5]
	s_cbranch_execnz .LBB50_899
	s_branch .LBB50_900
.LBB50_2949:
	s_movk_i32 s4, 0x80
	v_cmp_eq_u16_sdwa s[12:13], v2, s4 src0_sel:BYTE_0 src1_sel:DWORD
	s_mov_b64 s[4:5], -1
                                        ; implicit-def: $sgpr10
	s_and_saveexec_b64 s[8:9], s[12:13]
; %bb.2950:
	s_mov_b32 s10, 0x7f800001
	s_xor_b64 s[4:5], exec, -1
; %bb.2951:
	s_or_b64 exec, exec, s[8:9]
	s_and_b64 s[4:5], s[4:5], exec
	s_or_saveexec_b64 s[6:7], s[6:7]
	v_mov_b32_e32 v11, s10
	s_xor_b64 exec, exec, s[6:7]
	s_cbranch_execz .LBB50_902
.LBB50_2952:
	v_mov_b32_e32 v11, 0
	v_cmp_ne_u16_sdwa s[8:9], v2, v11 src0_sel:BYTE_0 src1_sel:DWORD
	s_andn2_b64 s[4:5], s[4:5], exec
	s_and_b64 s[8:9], s[8:9], exec
	s_or_b64 s[4:5], s[4:5], s[8:9]
	s_or_b64 exec, exec, s[6:7]
	s_and_saveexec_b64 s[6:7], s[4:5]
	s_cbranch_execnz .LBB50_903
	s_branch .LBB50_904
.LBB50_2953:
	s_movk_i32 s4, 0x80
	v_cmp_eq_u16_sdwa s[12:13], v11, s4 src0_sel:BYTE_0 src1_sel:DWORD
	s_mov_b64 s[4:5], -1
                                        ; implicit-def: $sgpr10
	s_and_saveexec_b64 s[8:9], s[12:13]
; %bb.2954:
	s_mov_b32 s10, 0x7f800001
	s_xor_b64 s[4:5], exec, -1
; %bb.2955:
	s_or_b64 exec, exec, s[8:9]
	s_and_b64 s[4:5], s[4:5], exec
	s_or_saveexec_b64 s[6:7], s[6:7]
	v_mov_b32_e32 v10, s10
	s_xor_b64 exec, exec, s[6:7]
	s_cbranch_execz .LBB50_906
.LBB50_2956:
	v_mov_b32_e32 v10, 0
	v_cmp_ne_u16_sdwa s[8:9], v11, v10 src0_sel:BYTE_0 src1_sel:DWORD
	s_andn2_b64 s[4:5], s[4:5], exec
	s_and_b64 s[8:9], s[8:9], exec
	s_or_b64 s[4:5], s[4:5], s[8:9]
	s_or_b64 exec, exec, s[6:7]
	s_and_saveexec_b64 s[6:7], s[4:5]
	s_cbranch_execnz .LBB50_907
	s_branch .LBB50_908
.LBB50_2957:
	s_movk_i32 s4, 0x80
	v_cmp_eq_u16_sdwa s[12:13], v11, s4 src0_sel:BYTE_0 src1_sel:DWORD
	s_mov_b64 s[4:5], -1
                                        ; implicit-def: $sgpr10
	s_and_saveexec_b64 s[8:9], s[12:13]
; %bb.2958:
	s_mov_b32 s10, 0x7f800001
	s_xor_b64 s[4:5], exec, -1
; %bb.2959:
	s_or_b64 exec, exec, s[8:9]
	s_and_b64 s[4:5], s[4:5], exec
	s_or_saveexec_b64 s[6:7], s[6:7]
	v_mov_b32_e32 v12, s10
	s_xor_b64 exec, exec, s[6:7]
	s_cbranch_execz .LBB50_910
.LBB50_2960:
	v_mov_b32_e32 v12, 0
	v_cmp_ne_u16_sdwa s[8:9], v11, v12 src0_sel:BYTE_0 src1_sel:DWORD
	s_andn2_b64 s[4:5], s[4:5], exec
	s_and_b64 s[8:9], s[8:9], exec
	s_or_b64 s[4:5], s[4:5], s[8:9]
	s_or_b64 exec, exec, s[6:7]
	s_and_saveexec_b64 s[6:7], s[4:5]
	s_cbranch_execnz .LBB50_911
	s_branch .LBB50_912
.LBB50_2961:
	s_movk_i32 s4, 0x80
	v_cmp_eq_u16_e32 vcc, s4, v11
	s_mov_b64 s[4:5], -1
                                        ; implicit-def: $sgpr10
	s_and_saveexec_b64 s[8:9], vcc
; %bb.2962:
	s_mov_b32 s10, 0x7f800001
	s_xor_b64 s[4:5], exec, -1
; %bb.2963:
	s_or_b64 exec, exec, s[8:9]
	s_and_b64 s[4:5], s[4:5], exec
                                        ; implicit-def: $vgpr11
	s_or_saveexec_b64 s[6:7], s[6:7]
	v_mov_b32_e32 v10, s10
	s_xor_b64 exec, exec, s[6:7]
	s_cbranch_execz .LBB50_914
.LBB50_2964:
	v_cmp_ne_u16_e32 vcc, 0, v11
	s_andn2_b64 s[4:5], s[4:5], exec
	s_and_b64 s[8:9], vcc, exec
	v_mov_b32_e32 v10, 0
	s_or_b64 s[4:5], s[4:5], s[8:9]
	s_or_b64 exec, exec, s[6:7]
	s_and_saveexec_b64 s[6:7], s[4:5]
	s_cbranch_execnz .LBB50_915
	s_branch .LBB50_916
.LBB50_2965:
	s_movk_i32 s4, 0x80
	v_cmp_eq_u16_e32 vcc, s4, v11
	s_mov_b64 s[4:5], -1
                                        ; implicit-def: $sgpr10
	s_and_saveexec_b64 s[8:9], vcc
; %bb.2966:
	s_mov_b32 s10, 0x7f800001
	s_xor_b64 s[4:5], exec, -1
; %bb.2967:
	s_or_b64 exec, exec, s[8:9]
	s_and_b64 s[4:5], s[4:5], exec
                                        ; implicit-def: $vgpr11
	s_or_saveexec_b64 s[6:7], s[6:7]
	v_mov_b32_e32 v12, s10
	s_xor_b64 exec, exec, s[6:7]
	s_cbranch_execz .LBB50_918
.LBB50_2968:
	v_cmp_ne_u16_e32 vcc, 0, v11
	s_andn2_b64 s[4:5], s[4:5], exec
	s_and_b64 s[8:9], vcc, exec
	v_mov_b32_e32 v12, 0
	s_or_b64 s[4:5], s[4:5], s[8:9]
	s_or_b64 exec, exec, s[6:7]
	s_and_saveexec_b64 s[6:7], s[4:5]
	s_cbranch_execnz .LBB50_919
	s_branch .LBB50_920
.LBB50_2969:
	s_movk_i32 s4, 0x80
	v_cmp_eq_u16_sdwa s[12:13], v6, s4 src0_sel:BYTE_3 src1_sel:DWORD
	s_mov_b64 s[4:5], -1
                                        ; implicit-def: $sgpr10
	s_and_saveexec_b64 s[8:9], s[12:13]
; %bb.2970:
	s_mov_b32 s10, 0x7f800001
	s_xor_b64 s[4:5], exec, -1
; %bb.2971:
	s_or_b64 exec, exec, s[8:9]
	s_and_b64 s[4:5], s[4:5], exec
	s_or_saveexec_b64 s[6:7], s[6:7]
	v_mov_b32_e32 v10, s10
	s_xor_b64 exec, exec, s[6:7]
	s_cbranch_execz .LBB50_922
.LBB50_2972:
	v_mov_b32_e32 v10, 0
	v_cmp_ne_u16_sdwa s[8:9], v6, v10 src0_sel:BYTE_3 src1_sel:DWORD
	s_andn2_b64 s[4:5], s[4:5], exec
	s_and_b64 s[8:9], s[8:9], exec
	s_or_b64 s[4:5], s[4:5], s[8:9]
	s_or_b64 exec, exec, s[6:7]
	s_and_saveexec_b64 s[6:7], s[4:5]
	s_cbranch_execnz .LBB50_923
	s_branch .LBB50_924
.LBB50_2973:
	s_movk_i32 s4, 0x80
	v_cmp_eq_u16_sdwa s[12:13], v2, s4 src0_sel:BYTE_3 src1_sel:DWORD
	s_mov_b64 s[4:5], -1
                                        ; implicit-def: $sgpr10
	s_and_saveexec_b64 s[8:9], s[12:13]
; %bb.2974:
	s_mov_b32 s10, 0x7f800001
	s_xor_b64 s[4:5], exec, -1
; %bb.2975:
	s_or_b64 exec, exec, s[8:9]
	s_and_b64 s[4:5], s[4:5], exec
	s_or_saveexec_b64 s[6:7], s[6:7]
	v_mov_b32_e32 v6, s10
	s_xor_b64 exec, exec, s[6:7]
	s_cbranch_execz .LBB50_926
.LBB50_2976:
	v_mov_b32_e32 v6, 0
	v_cmp_ne_u16_sdwa s[8:9], v2, v6 src0_sel:BYTE_3 src1_sel:DWORD
	s_andn2_b64 s[4:5], s[4:5], exec
	s_and_b64 s[8:9], s[8:9], exec
	s_or_b64 s[4:5], s[4:5], s[8:9]
	s_or_b64 exec, exec, s[6:7]
	s_and_saveexec_b64 s[6:7], s[4:5]
	s_cbranch_execnz .LBB50_927
	s_branch .LBB50_928
.LBB50_2977:
	s_movk_i32 s4, 0x80
	v_cmp_eq_u16_sdwa s[12:13], v7, s4 src0_sel:BYTE_0 src1_sel:DWORD
	s_mov_b64 s[4:5], -1
                                        ; implicit-def: $sgpr10
	s_and_saveexec_b64 s[8:9], s[12:13]
; %bb.2978:
	s_mov_b32 s10, 0x7f800001
	s_xor_b64 s[4:5], exec, -1
; %bb.2979:
	s_or_b64 exec, exec, s[8:9]
	s_and_b64 s[4:5], s[4:5], exec
	s_or_saveexec_b64 s[6:7], s[6:7]
	v_mov_b32_e32 v2, s10
	s_xor_b64 exec, exec, s[6:7]
	s_cbranch_execz .LBB50_930
.LBB50_2980:
	v_mov_b32_e32 v2, 0
	v_cmp_ne_u16_sdwa s[8:9], v7, v2 src0_sel:BYTE_0 src1_sel:DWORD
	s_andn2_b64 s[4:5], s[4:5], exec
	s_and_b64 s[8:9], s[8:9], exec
	s_or_b64 s[4:5], s[4:5], s[8:9]
	s_or_b64 exec, exec, s[6:7]
	s_and_saveexec_b64 s[6:7], s[4:5]
	s_cbranch_execnz .LBB50_931
	s_branch .LBB50_932
.LBB50_2981:
	s_movk_i32 s4, 0x80
	v_cmp_eq_u16_sdwa s[12:13], v3, s4 src0_sel:BYTE_0 src1_sel:DWORD
	s_mov_b64 s[4:5], -1
                                        ; implicit-def: $sgpr10
	s_and_saveexec_b64 s[8:9], s[12:13]
; %bb.2982:
	s_mov_b32 s10, 0x7f800001
	s_xor_b64 s[4:5], exec, -1
; %bb.2983:
	s_or_b64 exec, exec, s[8:9]
	s_and_b64 s[4:5], s[4:5], exec
	s_or_saveexec_b64 s[6:7], s[6:7]
	v_mov_b32_e32 v6, s10
	s_xor_b64 exec, exec, s[6:7]
	s_cbranch_execz .LBB50_934
.LBB50_2984:
	v_mov_b32_e32 v6, 0
	v_cmp_ne_u16_sdwa s[8:9], v3, v6 src0_sel:BYTE_0 src1_sel:DWORD
	s_andn2_b64 s[4:5], s[4:5], exec
	s_and_b64 s[8:9], s[8:9], exec
	s_or_b64 s[4:5], s[4:5], s[8:9]
	s_or_b64 exec, exec, s[6:7]
	s_and_saveexec_b64 s[6:7], s[4:5]
	s_cbranch_execnz .LBB50_935
	s_branch .LBB50_936
.LBB50_2985:
	s_movk_i32 s4, 0x80
	v_cmp_eq_u16_sdwa s[12:13], v6, s4 src0_sel:BYTE_0 src1_sel:DWORD
	s_mov_b64 s[4:5], -1
                                        ; implicit-def: $sgpr10
	s_and_saveexec_b64 s[8:9], s[12:13]
; %bb.2986:
	s_mov_b32 s10, 0x7f800001
	s_xor_b64 s[4:5], exec, -1
; %bb.2987:
	s_or_b64 exec, exec, s[8:9]
	s_and_b64 s[4:5], s[4:5], exec
	s_or_saveexec_b64 s[6:7], s[6:7]
	v_mov_b32_e32 v2, s10
	s_xor_b64 exec, exec, s[6:7]
	s_cbranch_execz .LBB50_938
.LBB50_2988:
	v_mov_b32_e32 v2, 0
	v_cmp_ne_u16_sdwa s[8:9], v6, v2 src0_sel:BYTE_0 src1_sel:DWORD
	s_andn2_b64 s[4:5], s[4:5], exec
	s_and_b64 s[8:9], s[8:9], exec
	s_or_b64 s[4:5], s[4:5], s[8:9]
	s_or_b64 exec, exec, s[6:7]
	s_and_saveexec_b64 s[6:7], s[4:5]
	s_cbranch_execnz .LBB50_939
	s_branch .LBB50_940
.LBB50_2989:
	s_movk_i32 s4, 0x80
	v_cmp_eq_u16_sdwa s[12:13], v6, s4 src0_sel:BYTE_0 src1_sel:DWORD
	s_mov_b64 s[4:5], -1
                                        ; implicit-def: $sgpr10
	s_and_saveexec_b64 s[8:9], s[12:13]
; %bb.2990:
	s_mov_b32 s10, 0x7f800001
	s_xor_b64 s[4:5], exec, -1
; %bb.2991:
	s_or_b64 exec, exec, s[8:9]
	s_and_b64 s[4:5], s[4:5], exec
	s_or_saveexec_b64 s[6:7], s[6:7]
	v_mov_b32_e32 v10, s10
	s_xor_b64 exec, exec, s[6:7]
	s_cbranch_execz .LBB50_942
.LBB50_2992:
	v_mov_b32_e32 v10, 0
	v_cmp_ne_u16_sdwa s[8:9], v6, v10 src0_sel:BYTE_0 src1_sel:DWORD
	s_andn2_b64 s[4:5], s[4:5], exec
	s_and_b64 s[8:9], s[8:9], exec
	s_or_b64 s[4:5], s[4:5], s[8:9]
	s_or_b64 exec, exec, s[6:7]
	s_and_saveexec_b64 s[6:7], s[4:5]
	s_cbranch_execnz .LBB50_943
	s_branch .LBB50_944
.LBB50_2993:
	s_movk_i32 s4, 0x80
	v_cmp_eq_u16_e32 vcc, s4, v6
	s_mov_b64 s[4:5], -1
                                        ; implicit-def: $sgpr10
	s_and_saveexec_b64 s[8:9], vcc
; %bb.2994:
	s_mov_b32 s10, 0x7f800001
	s_xor_b64 s[4:5], exec, -1
; %bb.2995:
	s_or_b64 exec, exec, s[8:9]
	s_and_b64 s[4:5], s[4:5], exec
                                        ; implicit-def: $vgpr6
	s_or_saveexec_b64 s[6:7], s[6:7]
	v_mov_b32_e32 v2, s10
	s_xor_b64 exec, exec, s[6:7]
	s_cbranch_execz .LBB50_946
.LBB50_2996:
	v_cmp_ne_u16_e32 vcc, 0, v6
	s_andn2_b64 s[4:5], s[4:5], exec
	s_and_b64 s[8:9], vcc, exec
	v_mov_b32_e32 v2, 0
	s_or_b64 s[4:5], s[4:5], s[8:9]
	s_or_b64 exec, exec, s[6:7]
	s_and_saveexec_b64 s[6:7], s[4:5]
	s_cbranch_execnz .LBB50_947
	s_branch .LBB50_948
.LBB50_2997:
	s_movk_i32 s4, 0x80
	v_cmp_eq_u16_e32 vcc, s4, v6
	s_mov_b64 s[4:5], -1
                                        ; implicit-def: $sgpr10
	s_and_saveexec_b64 s[8:9], vcc
; %bb.2998:
	s_mov_b32 s10, 0x7f800001
	s_xor_b64 s[4:5], exec, -1
; %bb.2999:
	s_or_b64 exec, exec, s[8:9]
	s_and_b64 s[4:5], s[4:5], exec
                                        ; implicit-def: $vgpr6
	s_or_saveexec_b64 s[6:7], s[6:7]
	v_mov_b32_e32 v10, s10
	s_xor_b64 exec, exec, s[6:7]
	s_cbranch_execz .LBB50_950
.LBB50_3000:
	v_cmp_ne_u16_e32 vcc, 0, v6
	s_andn2_b64 s[4:5], s[4:5], exec
	s_and_b64 s[8:9], vcc, exec
	v_mov_b32_e32 v10, 0
	s_or_b64 s[4:5], s[4:5], s[8:9]
	s_or_b64 exec, exec, s[6:7]
	s_and_saveexec_b64 s[6:7], s[4:5]
	s_cbranch_execnz .LBB50_951
	s_branch .LBB50_952
.LBB50_3001:
	s_movk_i32 s4, 0x80
	v_cmp_eq_u16_sdwa s[12:13], v7, s4 src0_sel:BYTE_3 src1_sel:DWORD
	s_mov_b64 s[4:5], -1
                                        ; implicit-def: $sgpr10
	s_and_saveexec_b64 s[8:9], s[12:13]
; %bb.3002:
	s_mov_b32 s10, 0x7f800001
	s_xor_b64 s[4:5], exec, -1
; %bb.3003:
	s_or_b64 exec, exec, s[8:9]
	s_and_b64 s[4:5], s[4:5], exec
	s_or_saveexec_b64 s[6:7], s[6:7]
	v_mov_b32_e32 v2, s10
	s_xor_b64 exec, exec, s[6:7]
	s_cbranch_execz .LBB50_954
.LBB50_3004:
	v_mov_b32_e32 v2, 0
	v_cmp_ne_u16_sdwa s[8:9], v7, v2 src0_sel:BYTE_3 src1_sel:DWORD
	s_andn2_b64 s[4:5], s[4:5], exec
	s_and_b64 s[8:9], s[8:9], exec
	s_or_b64 s[4:5], s[4:5], s[8:9]
	s_or_b64 exec, exec, s[6:7]
	s_and_saveexec_b64 s[6:7], s[4:5]
	s_cbranch_execnz .LBB50_955
	s_branch .LBB50_956
.LBB50_3005:
	s_movk_i32 s4, 0x80
	v_cmp_eq_u16_sdwa s[12:13], v3, s4 src0_sel:BYTE_3 src1_sel:DWORD
	s_mov_b64 s[4:5], -1
                                        ; implicit-def: $sgpr10
	s_and_saveexec_b64 s[8:9], s[12:13]
; %bb.3006:
	s_mov_b32 s10, 0x7f800001
	s_xor_b64 s[4:5], exec, -1
; %bb.3007:
	s_or_b64 exec, exec, s[8:9]
	s_and_b64 s[4:5], s[4:5], exec
	s_or_saveexec_b64 s[6:7], s[6:7]
	v_mov_b32_e32 v6, s10
	s_xor_b64 exec, exec, s[6:7]
	s_cbranch_execz .LBB50_958
.LBB50_3008:
	v_mov_b32_e32 v6, 0
	v_cmp_ne_u16_sdwa s[8:9], v3, v6 src0_sel:BYTE_3 src1_sel:DWORD
	s_andn2_b64 s[4:5], s[4:5], exec
	s_and_b64 s[8:9], s[8:9], exec
	s_or_b64 s[4:5], s[4:5], s[8:9]
	s_or_b64 exec, exec, s[6:7]
	s_and_saveexec_b64 s[6:7], s[4:5]
	s_cbranch_execnz .LBB50_959
	s_branch .LBB50_960
.LBB50_3009:
	s_movk_i32 s4, 0x80
	v_cmp_eq_u16_sdwa s[12:13], v8, s4 src0_sel:BYTE_0 src1_sel:DWORD
	s_mov_b64 s[4:5], -1
                                        ; implicit-def: $sgpr10
	s_and_saveexec_b64 s[8:9], s[12:13]
; %bb.3010:
	s_mov_b32 s10, 0x7f800001
	s_xor_b64 s[4:5], exec, -1
; %bb.3011:
	s_or_b64 exec, exec, s[8:9]
	s_and_b64 s[4:5], s[4:5], exec
	s_or_saveexec_b64 s[6:7], s[6:7]
	v_mov_b32_e32 v2, s10
	s_xor_b64 exec, exec, s[6:7]
	s_cbranch_execz .LBB50_962
.LBB50_3012:
	v_mov_b32_e32 v2, 0
	v_cmp_ne_u16_sdwa s[8:9], v8, v2 src0_sel:BYTE_0 src1_sel:DWORD
	s_andn2_b64 s[4:5], s[4:5], exec
	s_and_b64 s[8:9], s[8:9], exec
	s_or_b64 s[4:5], s[4:5], s[8:9]
	s_or_b64 exec, exec, s[6:7]
	s_and_saveexec_b64 s[6:7], s[4:5]
	s_cbranch_execnz .LBB50_963
	s_branch .LBB50_964
.LBB50_3013:
	s_movk_i32 s4, 0x80
	v_cmp_eq_u16_sdwa s[12:13], v4, s4 src0_sel:BYTE_0 src1_sel:DWORD
	s_mov_b64 s[4:5], -1
                                        ; implicit-def: $sgpr10
	s_and_saveexec_b64 s[8:9], s[12:13]
; %bb.3014:
	s_mov_b32 s10, 0x7f800001
	s_xor_b64 s[4:5], exec, -1
; %bb.3015:
	s_or_b64 exec, exec, s[8:9]
	s_and_b64 s[4:5], s[4:5], exec
	s_or_saveexec_b64 s[6:7], s[6:7]
	v_mov_b32_e32 v3, s10
	s_xor_b64 exec, exec, s[6:7]
	s_cbranch_execz .LBB50_966
.LBB50_3016:
	v_mov_b32_e32 v3, 0
	v_cmp_ne_u16_sdwa s[8:9], v4, v3 src0_sel:BYTE_0 src1_sel:DWORD
	s_andn2_b64 s[4:5], s[4:5], exec
	s_and_b64 s[8:9], s[8:9], exec
	s_or_b64 s[4:5], s[4:5], s[8:9]
	s_or_b64 exec, exec, s[6:7]
	s_and_saveexec_b64 s[6:7], s[4:5]
	s_cbranch_execnz .LBB50_967
	s_branch .LBB50_968
.LBB50_3017:
	s_movk_i32 s4, 0x80
	v_cmp_eq_u16_sdwa s[12:13], v3, s4 src0_sel:BYTE_0 src1_sel:DWORD
	s_mov_b64 s[4:5], -1
                                        ; implicit-def: $sgpr10
	s_and_saveexec_b64 s[8:9], s[12:13]
; %bb.3018:
	s_mov_b32 s10, 0x7f800001
	s_xor_b64 s[4:5], exec, -1
; %bb.3019:
	s_or_b64 exec, exec, s[8:9]
	s_and_b64 s[4:5], s[4:5], exec
	s_or_saveexec_b64 s[6:7], s[6:7]
	v_mov_b32_e32 v2, s10
	s_xor_b64 exec, exec, s[6:7]
	s_cbranch_execz .LBB50_970
.LBB50_3020:
	v_mov_b32_e32 v2, 0
	v_cmp_ne_u16_sdwa s[8:9], v3, v2 src0_sel:BYTE_0 src1_sel:DWORD
	s_andn2_b64 s[4:5], s[4:5], exec
	s_and_b64 s[8:9], s[8:9], exec
	s_or_b64 s[4:5], s[4:5], s[8:9]
	s_or_b64 exec, exec, s[6:7]
	s_and_saveexec_b64 s[6:7], s[4:5]
	s_cbranch_execnz .LBB50_971
	s_branch .LBB50_972
.LBB50_3021:
	s_movk_i32 s4, 0x80
	v_cmp_eq_u16_sdwa s[12:13], v3, s4 src0_sel:BYTE_0 src1_sel:DWORD
	s_mov_b64 s[4:5], -1
                                        ; implicit-def: $sgpr10
	s_and_saveexec_b64 s[8:9], s[12:13]
; %bb.3022:
	s_mov_b32 s10, 0x7f800001
	s_xor_b64 s[4:5], exec, -1
; %bb.3023:
	s_or_b64 exec, exec, s[8:9]
	s_and_b64 s[4:5], s[4:5], exec
	s_or_saveexec_b64 s[6:7], s[6:7]
	v_mov_b32_e32 v6, s10
	s_xor_b64 exec, exec, s[6:7]
	s_cbranch_execz .LBB50_974
.LBB50_3024:
	v_mov_b32_e32 v6, 0
	v_cmp_ne_u16_sdwa s[8:9], v3, v6 src0_sel:BYTE_0 src1_sel:DWORD
	s_andn2_b64 s[4:5], s[4:5], exec
	s_and_b64 s[8:9], s[8:9], exec
	s_or_b64 s[4:5], s[4:5], s[8:9]
	s_or_b64 exec, exec, s[6:7]
	s_and_saveexec_b64 s[6:7], s[4:5]
	s_cbranch_execnz .LBB50_975
	s_branch .LBB50_976
.LBB50_3025:
	s_movk_i32 s4, 0x80
	v_cmp_eq_u16_e32 vcc, s4, v3
	s_mov_b64 s[4:5], -1
                                        ; implicit-def: $sgpr10
	s_and_saveexec_b64 s[8:9], vcc
; %bb.3026:
	s_mov_b32 s10, 0x7f800001
	s_xor_b64 s[4:5], exec, -1
; %bb.3027:
	s_or_b64 exec, exec, s[8:9]
	s_and_b64 s[4:5], s[4:5], exec
                                        ; implicit-def: $vgpr3
	s_or_saveexec_b64 s[6:7], s[6:7]
	v_mov_b32_e32 v2, s10
	s_xor_b64 exec, exec, s[6:7]
	s_cbranch_execz .LBB50_978
.LBB50_3028:
	v_cmp_ne_u16_e32 vcc, 0, v3
	s_andn2_b64 s[4:5], s[4:5], exec
	s_and_b64 s[8:9], vcc, exec
	v_mov_b32_e32 v2, 0
	s_or_b64 s[4:5], s[4:5], s[8:9]
	s_or_b64 exec, exec, s[6:7]
	s_and_saveexec_b64 s[6:7], s[4:5]
	s_cbranch_execnz .LBB50_979
	s_branch .LBB50_980
.LBB50_3029:
	s_movk_i32 s4, 0x80
	v_cmp_eq_u16_e32 vcc, s4, v3
	s_mov_b64 s[4:5], -1
                                        ; implicit-def: $sgpr10
	s_and_saveexec_b64 s[8:9], vcc
; %bb.3030:
	s_mov_b32 s10, 0x7f800001
	s_xor_b64 s[4:5], exec, -1
; %bb.3031:
	s_or_b64 exec, exec, s[8:9]
	s_and_b64 s[4:5], s[4:5], exec
                                        ; implicit-def: $vgpr3
	s_or_saveexec_b64 s[6:7], s[6:7]
	v_mov_b32_e32 v6, s10
	s_xor_b64 exec, exec, s[6:7]
	s_cbranch_execz .LBB50_982
.LBB50_3032:
	v_cmp_ne_u16_e32 vcc, 0, v3
	s_andn2_b64 s[4:5], s[4:5], exec
	s_and_b64 s[8:9], vcc, exec
	v_mov_b32_e32 v6, 0
	s_or_b64 s[4:5], s[4:5], s[8:9]
	s_or_b64 exec, exec, s[6:7]
	s_and_saveexec_b64 s[6:7], s[4:5]
	s_cbranch_execnz .LBB50_983
	s_branch .LBB50_984
.LBB50_3033:
	s_movk_i32 s4, 0x80
	v_cmp_eq_u16_sdwa s[12:13], v8, s4 src0_sel:BYTE_3 src1_sel:DWORD
	s_mov_b64 s[4:5], -1
                                        ; implicit-def: $sgpr10
	s_and_saveexec_b64 s[8:9], s[12:13]
; %bb.3034:
	s_mov_b32 s10, 0x7f800001
	s_xor_b64 s[4:5], exec, -1
; %bb.3035:
	s_or_b64 exec, exec, s[8:9]
	s_and_b64 s[4:5], s[4:5], exec
	s_or_saveexec_b64 s[6:7], s[6:7]
	v_mov_b32_e32 v2, s10
	s_xor_b64 exec, exec, s[6:7]
	s_cbranch_execz .LBB50_986
.LBB50_3036:
	v_mov_b32_e32 v2, 0
	v_cmp_ne_u16_sdwa s[8:9], v8, v2 src0_sel:BYTE_3 src1_sel:DWORD
	s_andn2_b64 s[4:5], s[4:5], exec
	s_and_b64 s[8:9], s[8:9], exec
	s_or_b64 s[4:5], s[4:5], s[8:9]
	s_or_b64 exec, exec, s[6:7]
	s_and_saveexec_b64 s[6:7], s[4:5]
	s_cbranch_execnz .LBB50_987
	s_branch .LBB50_988
.LBB50_3037:
	s_movk_i32 s4, 0x80
	v_cmp_eq_u16_sdwa s[12:13], v4, s4 src0_sel:BYTE_3 src1_sel:DWORD
	s_mov_b64 s[4:5], -1
                                        ; implicit-def: $sgpr10
	s_and_saveexec_b64 s[8:9], s[12:13]
; %bb.3038:
	s_mov_b32 s10, 0x7f800001
	s_xor_b64 s[4:5], exec, -1
; %bb.3039:
	s_or_b64 exec, exec, s[8:9]
	s_and_b64 s[4:5], s[4:5], exec
	s_or_saveexec_b64 s[6:7], s[6:7]
	v_mov_b32_e32 v3, s10
	s_xor_b64 exec, exec, s[6:7]
	s_cbranch_execz .LBB50_990
.LBB50_3040:
	v_mov_b32_e32 v3, 0
	v_cmp_ne_u16_sdwa s[8:9], v4, v3 src0_sel:BYTE_3 src1_sel:DWORD
	s_andn2_b64 s[4:5], s[4:5], exec
	s_and_b64 s[8:9], s[8:9], exec
	s_or_b64 s[4:5], s[4:5], s[8:9]
	s_or_b64 exec, exec, s[6:7]
	s_and_saveexec_b64 s[6:7], s[4:5]
	s_cbranch_execnz .LBB50_991
	s_branch .LBB50_992
.LBB50_3041:
	s_movk_i32 s4, 0x80
	v_cmp_eq_u16_sdwa s[12:13], v9, s4 src0_sel:BYTE_0 src1_sel:DWORD
	s_mov_b64 s[4:5], -1
                                        ; implicit-def: $sgpr10
	s_and_saveexec_b64 s[8:9], s[12:13]
; %bb.3042:
	s_mov_b32 s10, 0x7f800001
	s_xor_b64 s[4:5], exec, -1
; %bb.3043:
	s_or_b64 exec, exec, s[8:9]
	s_and_b64 s[4:5], s[4:5], exec
	s_or_saveexec_b64 s[6:7], s[6:7]
	v_mov_b32_e32 v2, s10
	s_xor_b64 exec, exec, s[6:7]
	s_cbranch_execz .LBB50_994
.LBB50_3044:
	v_mov_b32_e32 v2, 0
	v_cmp_ne_u16_sdwa s[8:9], v9, v2 src0_sel:BYTE_0 src1_sel:DWORD
	s_andn2_b64 s[4:5], s[4:5], exec
	s_and_b64 s[8:9], s[8:9], exec
	s_or_b64 s[4:5], s[4:5], s[8:9]
	s_or_b64 exec, exec, s[6:7]
	s_and_saveexec_b64 s[6:7], s[4:5]
	s_cbranch_execnz .LBB50_995
	s_branch .LBB50_996
.LBB50_3045:
	s_movk_i32 s4, 0x80
	v_cmp_eq_u16_sdwa s[12:13], v5, s4 src0_sel:BYTE_0 src1_sel:DWORD
	s_mov_b64 s[4:5], -1
                                        ; implicit-def: $sgpr10
	s_and_saveexec_b64 s[8:9], s[12:13]
; %bb.3046:
	s_mov_b32 s10, 0x7f800001
	s_xor_b64 s[4:5], exec, -1
; %bb.3047:
	s_or_b64 exec, exec, s[8:9]
	s_and_b64 s[4:5], s[4:5], exec
	s_or_saveexec_b64 s[6:7], s[6:7]
	v_mov_b32_e32 v3, s10
	s_xor_b64 exec, exec, s[6:7]
	s_cbranch_execz .LBB50_998
.LBB50_3048:
	v_mov_b32_e32 v3, 0
	v_cmp_ne_u16_sdwa s[8:9], v5, v3 src0_sel:BYTE_0 src1_sel:DWORD
	s_andn2_b64 s[4:5], s[4:5], exec
	s_and_b64 s[8:9], s[8:9], exec
	s_or_b64 s[4:5], s[4:5], s[8:9]
	s_or_b64 exec, exec, s[6:7]
	s_and_saveexec_b64 s[6:7], s[4:5]
	s_cbranch_execnz .LBB50_999
	s_branch .LBB50_1000
.LBB50_3049:
	s_movk_i32 s4, 0x80
	v_cmp_eq_u16_sdwa s[12:13], v3, s4 src0_sel:BYTE_0 src1_sel:DWORD
	s_mov_b64 s[4:5], -1
                                        ; implicit-def: $sgpr10
	s_and_saveexec_b64 s[8:9], s[12:13]
; %bb.3050:
	s_mov_b32 s10, 0x7f800001
	s_xor_b64 s[4:5], exec, -1
; %bb.3051:
	s_or_b64 exec, exec, s[8:9]
	s_and_b64 s[4:5], s[4:5], exec
	s_or_saveexec_b64 s[6:7], s[6:7]
	v_mov_b32_e32 v2, s10
	s_xor_b64 exec, exec, s[6:7]
	s_cbranch_execz .LBB50_1002
.LBB50_3052:
	v_mov_b32_e32 v2, 0
	v_cmp_ne_u16_sdwa s[8:9], v3, v2 src0_sel:BYTE_0 src1_sel:DWORD
	s_andn2_b64 s[4:5], s[4:5], exec
	s_and_b64 s[8:9], s[8:9], exec
	s_or_b64 s[4:5], s[4:5], s[8:9]
	s_or_b64 exec, exec, s[6:7]
	s_and_saveexec_b64 s[6:7], s[4:5]
	s_cbranch_execnz .LBB50_1003
	s_branch .LBB50_1004
.LBB50_3053:
	s_movk_i32 s4, 0x80
	v_cmp_eq_u16_sdwa s[12:13], v3, s4 src0_sel:BYTE_0 src1_sel:DWORD
	s_mov_b64 s[4:5], -1
                                        ; implicit-def: $sgpr10
	s_and_saveexec_b64 s[8:9], s[12:13]
; %bb.3054:
	s_mov_b32 s10, 0x7f800001
	s_xor_b64 s[4:5], exec, -1
; %bb.3055:
	s_or_b64 exec, exec, s[8:9]
	s_and_b64 s[4:5], s[4:5], exec
	s_or_saveexec_b64 s[6:7], s[6:7]
	v_mov_b32_e32 v4, s10
	s_xor_b64 exec, exec, s[6:7]
	s_cbranch_execz .LBB50_1006
.LBB50_3056:
	v_mov_b32_e32 v4, 0
	v_cmp_ne_u16_sdwa s[8:9], v3, v4 src0_sel:BYTE_0 src1_sel:DWORD
	s_andn2_b64 s[4:5], s[4:5], exec
	s_and_b64 s[8:9], s[8:9], exec
	s_or_b64 s[4:5], s[4:5], s[8:9]
	s_or_b64 exec, exec, s[6:7]
	s_and_saveexec_b64 s[6:7], s[4:5]
	s_cbranch_execnz .LBB50_1007
	s_branch .LBB50_1008
.LBB50_3057:
	s_movk_i32 s4, 0x80
	v_cmp_eq_u16_e32 vcc, s4, v3
	s_mov_b64 s[4:5], -1
                                        ; implicit-def: $sgpr10
	s_and_saveexec_b64 s[8:9], vcc
; %bb.3058:
	s_mov_b32 s10, 0x7f800001
	s_xor_b64 s[4:5], exec, -1
; %bb.3059:
	s_or_b64 exec, exec, s[8:9]
	s_and_b64 s[4:5], s[4:5], exec
                                        ; implicit-def: $vgpr3
	s_or_saveexec_b64 s[6:7], s[6:7]
	v_mov_b32_e32 v2, s10
	s_xor_b64 exec, exec, s[6:7]
	s_cbranch_execz .LBB50_1010
.LBB50_3060:
	v_cmp_ne_u16_e32 vcc, 0, v3
	s_andn2_b64 s[4:5], s[4:5], exec
	s_and_b64 s[8:9], vcc, exec
	v_mov_b32_e32 v2, 0
	s_or_b64 s[4:5], s[4:5], s[8:9]
	s_or_b64 exec, exec, s[6:7]
	s_and_saveexec_b64 s[6:7], s[4:5]
	s_cbranch_execnz .LBB50_1011
	s_branch .LBB50_1012
.LBB50_3061:
	s_movk_i32 s4, 0x80
	v_cmp_eq_u16_e32 vcc, s4, v3
	s_mov_b64 s[4:5], -1
                                        ; implicit-def: $sgpr10
	s_and_saveexec_b64 s[8:9], vcc
; %bb.3062:
	s_mov_b32 s10, 0x7f800001
	s_xor_b64 s[4:5], exec, -1
; %bb.3063:
	s_or_b64 exec, exec, s[8:9]
	s_and_b64 s[4:5], s[4:5], exec
                                        ; implicit-def: $vgpr3
	s_or_saveexec_b64 s[6:7], s[6:7]
	v_mov_b32_e32 v4, s10
	s_xor_b64 exec, exec, s[6:7]
	s_cbranch_execz .LBB50_1014
.LBB50_3064:
	v_cmp_ne_u16_e32 vcc, 0, v3
	s_andn2_b64 s[4:5], s[4:5], exec
	s_and_b64 s[8:9], vcc, exec
	v_mov_b32_e32 v4, 0
	s_or_b64 s[4:5], s[4:5], s[8:9]
	s_or_b64 exec, exec, s[6:7]
	s_and_saveexec_b64 s[6:7], s[4:5]
	s_cbranch_execnz .LBB50_1015
	s_branch .LBB50_1016
.LBB50_3065:
	s_movk_i32 s4, 0x80
	v_cmp_eq_u16_sdwa s[12:13], v9, s4 src0_sel:BYTE_3 src1_sel:DWORD
	s_mov_b64 s[4:5], -1
                                        ; implicit-def: $sgpr10
	s_and_saveexec_b64 s[8:9], s[12:13]
; %bb.3066:
	s_mov_b32 s10, 0x7f800001
	s_xor_b64 s[4:5], exec, -1
; %bb.3067:
	s_or_b64 exec, exec, s[8:9]
	s_and_b64 s[4:5], s[4:5], exec
	s_or_saveexec_b64 s[6:7], s[6:7]
	v_mov_b32_e32 v2, s10
	s_xor_b64 exec, exec, s[6:7]
	s_cbranch_execz .LBB50_1018
.LBB50_3068:
	v_mov_b32_e32 v2, 0
	v_cmp_ne_u16_sdwa s[8:9], v9, v2 src0_sel:BYTE_3 src1_sel:DWORD
	s_andn2_b64 s[4:5], s[4:5], exec
	s_and_b64 s[8:9], s[8:9], exec
	s_or_b64 s[4:5], s[4:5], s[8:9]
	s_or_b64 exec, exec, s[6:7]
	s_and_saveexec_b64 s[6:7], s[4:5]
	s_cbranch_execnz .LBB50_1019
	s_branch .LBB50_1020
.LBB50_3069:
	s_movk_i32 s4, 0x80
	v_cmp_eq_u16_sdwa s[12:13], v5, s4 src0_sel:BYTE_3 src1_sel:DWORD
	s_mov_b64 s[4:5], -1
                                        ; implicit-def: $sgpr10
	s_and_saveexec_b64 s[8:9], s[12:13]
; %bb.3070:
	s_mov_b32 s10, 0x7f800001
	s_xor_b64 s[4:5], exec, -1
; %bb.3071:
	s_or_b64 exec, exec, s[8:9]
	s_and_b64 s[4:5], s[4:5], exec
	s_or_saveexec_b64 s[6:7], s[6:7]
	v_mov_b32_e32 v3, s10
	s_xor_b64 exec, exec, s[6:7]
	s_cbranch_execz .LBB50_1022
.LBB50_3072:
	v_mov_b32_e32 v3, 0
	v_cmp_ne_u16_sdwa s[8:9], v5, v3 src0_sel:BYTE_3 src1_sel:DWORD
	s_andn2_b64 s[4:5], s[4:5], exec
	s_and_b64 s[8:9], s[8:9], exec
	s_or_b64 s[4:5], s[4:5], s[8:9]
	s_or_b64 exec, exec, s[6:7]
	s_and_saveexec_b64 s[6:7], s[4:5]
	s_cbranch_execnz .LBB50_1023
	s_branch .LBB50_1024
.LBB50_3073:
	s_movk_i32 s4, 0x80
	v_cmp_eq_u16_sdwa s[12:13], v14, s4 src0_sel:BYTE_0 src1_sel:DWORD
	s_mov_b64 s[4:5], -1
                                        ; implicit-def: $sgpr10
	s_and_saveexec_b64 s[8:9], s[12:13]
; %bb.3074:
	s_mov_b32 s10, 0x7f800001
	s_xor_b64 s[4:5], exec, -1
; %bb.3075:
	s_or_b64 exec, exec, s[8:9]
	s_and_b64 s[4:5], s[4:5], exec
	s_or_saveexec_b64 s[6:7], s[6:7]
	v_mov_b32_e32 v20, s10
	s_xor_b64 exec, exec, s[6:7]
	s_cbranch_execz .LBB50_1026
.LBB50_3076:
	v_mov_b32_e32 v20, 0
	v_cmp_ne_u16_sdwa s[8:9], v14, v20 src0_sel:BYTE_0 src1_sel:DWORD
	s_andn2_b64 s[4:5], s[4:5], exec
	s_and_b64 s[8:9], s[8:9], exec
	s_or_b64 s[4:5], s[4:5], s[8:9]
	s_or_b64 exec, exec, s[6:7]
	s_and_saveexec_b64 s[6:7], s[4:5]
	s_cbranch_execnz .LBB50_1027
	s_branch .LBB50_1028
.LBB50_3077:
	s_movk_i32 s4, 0x80
	v_cmp_eq_u16_sdwa s[12:13], v10, s4 src0_sel:BYTE_0 src1_sel:DWORD
	s_mov_b64 s[4:5], -1
                                        ; implicit-def: $sgpr10
	s_and_saveexec_b64 s[8:9], s[12:13]
; %bb.3078:
	s_mov_b32 s10, 0x7f800001
	s_xor_b64 s[4:5], exec, -1
; %bb.3079:
	s_or_b64 exec, exec, s[8:9]
	s_and_b64 s[4:5], s[4:5], exec
	s_or_saveexec_b64 s[6:7], s[6:7]
	v_mov_b32_e32 v21, s10
	s_xor_b64 exec, exec, s[6:7]
	s_cbranch_execz .LBB50_1030
.LBB50_3080:
	v_mov_b32_e32 v21, 0
	v_cmp_ne_u16_sdwa s[8:9], v10, v21 src0_sel:BYTE_0 src1_sel:DWORD
	s_andn2_b64 s[4:5], s[4:5], exec
	s_and_b64 s[8:9], s[8:9], exec
	s_or_b64 s[4:5], s[4:5], s[8:9]
	s_or_b64 exec, exec, s[6:7]
	s_and_saveexec_b64 s[6:7], s[4:5]
	s_cbranch_execnz .LBB50_1031
	s_branch .LBB50_1032
.LBB50_3081:
	s_movk_i32 s4, 0x80
	v_cmp_eq_u16_sdwa s[12:13], v21, s4 src0_sel:BYTE_0 src1_sel:DWORD
	s_mov_b64 s[4:5], -1
                                        ; implicit-def: $sgpr10
	s_and_saveexec_b64 s[8:9], s[12:13]
; %bb.3082:
	s_mov_b32 s10, 0x7f800001
	s_xor_b64 s[4:5], exec, -1
; %bb.3083:
	s_or_b64 exec, exec, s[8:9]
	s_and_b64 s[4:5], s[4:5], exec
	s_or_saveexec_b64 s[6:7], s[6:7]
	v_mov_b32_e32 v20, s10
	s_xor_b64 exec, exec, s[6:7]
	s_cbranch_execz .LBB50_1034
.LBB50_3084:
	v_mov_b32_e32 v20, 0
	v_cmp_ne_u16_sdwa s[8:9], v21, v20 src0_sel:BYTE_0 src1_sel:DWORD
	s_andn2_b64 s[4:5], s[4:5], exec
	s_and_b64 s[8:9], s[8:9], exec
	s_or_b64 s[4:5], s[4:5], s[8:9]
	s_or_b64 exec, exec, s[6:7]
	s_and_saveexec_b64 s[6:7], s[4:5]
	s_cbranch_execnz .LBB50_1035
	s_branch .LBB50_1036
.LBB50_3085:
	s_movk_i32 s4, 0x80
	v_cmp_eq_u16_sdwa s[12:13], v21, s4 src0_sel:BYTE_0 src1_sel:DWORD
	s_mov_b64 s[4:5], -1
                                        ; implicit-def: $sgpr10
	s_and_saveexec_b64 s[8:9], s[12:13]
; %bb.3086:
	s_mov_b32 s10, 0x7f800001
	s_xor_b64 s[4:5], exec, -1
; %bb.3087:
	s_or_b64 exec, exec, s[8:9]
	s_and_b64 s[4:5], s[4:5], exec
	s_or_saveexec_b64 s[6:7], s[6:7]
	v_mov_b32_e32 v22, s10
	s_xor_b64 exec, exec, s[6:7]
	s_cbranch_execz .LBB50_1038
.LBB50_3088:
	v_mov_b32_e32 v22, 0
	v_cmp_ne_u16_sdwa s[8:9], v21, v22 src0_sel:BYTE_0 src1_sel:DWORD
	s_andn2_b64 s[4:5], s[4:5], exec
	s_and_b64 s[8:9], s[8:9], exec
	s_or_b64 s[4:5], s[4:5], s[8:9]
	s_or_b64 exec, exec, s[6:7]
	s_and_saveexec_b64 s[6:7], s[4:5]
	s_cbranch_execnz .LBB50_1039
	s_branch .LBB50_1040
.LBB50_3089:
	s_movk_i32 s4, 0x80
	v_cmp_eq_u16_e32 vcc, s4, v21
	s_mov_b64 s[4:5], -1
                                        ; implicit-def: $sgpr10
	s_and_saveexec_b64 s[8:9], vcc
; %bb.3090:
	s_mov_b32 s10, 0x7f800001
	s_xor_b64 s[4:5], exec, -1
; %bb.3091:
	s_or_b64 exec, exec, s[8:9]
	s_and_b64 s[4:5], s[4:5], exec
                                        ; implicit-def: $vgpr21
	s_or_saveexec_b64 s[6:7], s[6:7]
	v_mov_b32_e32 v20, s10
	s_xor_b64 exec, exec, s[6:7]
	s_cbranch_execz .LBB50_1042
.LBB50_3092:
	v_cmp_ne_u16_e32 vcc, 0, v21
	s_andn2_b64 s[4:5], s[4:5], exec
	s_and_b64 s[8:9], vcc, exec
	v_mov_b32_e32 v20, 0
	s_or_b64 s[4:5], s[4:5], s[8:9]
	s_or_b64 exec, exec, s[6:7]
	s_and_saveexec_b64 s[6:7], s[4:5]
	s_cbranch_execnz .LBB50_1043
	s_branch .LBB50_1044
.LBB50_3093:
	s_movk_i32 s4, 0x80
	v_cmp_eq_u16_e32 vcc, s4, v21
	s_mov_b64 s[4:5], -1
                                        ; implicit-def: $sgpr10
	s_and_saveexec_b64 s[8:9], vcc
; %bb.3094:
	s_mov_b32 s10, 0x7f800001
	s_xor_b64 s[4:5], exec, -1
; %bb.3095:
	s_or_b64 exec, exec, s[8:9]
	s_and_b64 s[4:5], s[4:5], exec
                                        ; implicit-def: $vgpr21
	s_or_saveexec_b64 s[6:7], s[6:7]
	v_mov_b32_e32 v22, s10
	s_xor_b64 exec, exec, s[6:7]
	s_cbranch_execz .LBB50_1046
.LBB50_3096:
	v_cmp_ne_u16_e32 vcc, 0, v21
	s_andn2_b64 s[4:5], s[4:5], exec
	s_and_b64 s[8:9], vcc, exec
	v_mov_b32_e32 v22, 0
	s_or_b64 s[4:5], s[4:5], s[8:9]
	s_or_b64 exec, exec, s[6:7]
	s_and_saveexec_b64 s[6:7], s[4:5]
	s_cbranch_execnz .LBB50_1047
	s_branch .LBB50_1048
.LBB50_3097:
	s_movk_i32 s4, 0x80
	v_cmp_eq_u16_sdwa s[12:13], v14, s4 src0_sel:BYTE_3 src1_sel:DWORD
	s_mov_b64 s[4:5], -1
                                        ; implicit-def: $sgpr10
	s_and_saveexec_b64 s[8:9], s[12:13]
; %bb.3098:
	s_mov_b32 s10, 0x7f800001
	s_xor_b64 s[4:5], exec, -1
; %bb.3099:
	s_or_b64 exec, exec, s[8:9]
	s_and_b64 s[4:5], s[4:5], exec
	s_or_saveexec_b64 s[6:7], s[6:7]
	v_mov_b32_e32 v20, s10
	s_xor_b64 exec, exec, s[6:7]
	s_cbranch_execz .LBB50_1050
.LBB50_3100:
	v_mov_b32_e32 v20, 0
	v_cmp_ne_u16_sdwa s[8:9], v14, v20 src0_sel:BYTE_3 src1_sel:DWORD
	s_andn2_b64 s[4:5], s[4:5], exec
	s_and_b64 s[8:9], s[8:9], exec
	s_or_b64 s[4:5], s[4:5], s[8:9]
	s_or_b64 exec, exec, s[6:7]
	s_and_saveexec_b64 s[6:7], s[4:5]
	s_cbranch_execnz .LBB50_1051
	s_branch .LBB50_1052
.LBB50_3101:
	s_movk_i32 s4, 0x80
	v_cmp_eq_u16_sdwa s[12:13], v10, s4 src0_sel:BYTE_3 src1_sel:DWORD
	s_mov_b64 s[4:5], -1
                                        ; implicit-def: $sgpr10
	s_and_saveexec_b64 s[8:9], s[12:13]
; %bb.3102:
	s_mov_b32 s10, 0x7f800001
	s_xor_b64 s[4:5], exec, -1
; %bb.3103:
	s_or_b64 exec, exec, s[8:9]
	s_and_b64 s[4:5], s[4:5], exec
	s_or_saveexec_b64 s[6:7], s[6:7]
	v_mov_b32_e32 v14, s10
	s_xor_b64 exec, exec, s[6:7]
	s_cbranch_execz .LBB50_1054
.LBB50_3104:
	v_mov_b32_e32 v14, 0
	v_cmp_ne_u16_sdwa s[8:9], v10, v14 src0_sel:BYTE_3 src1_sel:DWORD
	s_andn2_b64 s[4:5], s[4:5], exec
	s_and_b64 s[8:9], s[8:9], exec
	s_or_b64 s[4:5], s[4:5], s[8:9]
	s_or_b64 exec, exec, s[6:7]
	s_and_saveexec_b64 s[6:7], s[4:5]
	s_cbranch_execnz .LBB50_1055
	s_branch .LBB50_1056
.LBB50_3105:
	s_movk_i32 s4, 0x80
	v_cmp_eq_u16_sdwa s[12:13], v15, s4 src0_sel:BYTE_0 src1_sel:DWORD
	s_mov_b64 s[4:5], -1
                                        ; implicit-def: $sgpr10
	s_and_saveexec_b64 s[8:9], s[12:13]
; %bb.3106:
	s_mov_b32 s10, 0x7f800001
	s_xor_b64 s[4:5], exec, -1
; %bb.3107:
	s_or_b64 exec, exec, s[8:9]
	s_and_b64 s[4:5], s[4:5], exec
	s_or_saveexec_b64 s[6:7], s[6:7]
	v_mov_b32_e32 v10, s10
	s_xor_b64 exec, exec, s[6:7]
	s_cbranch_execz .LBB50_1058
.LBB50_3108:
	v_mov_b32_e32 v10, 0
	v_cmp_ne_u16_sdwa s[8:9], v15, v10 src0_sel:BYTE_0 src1_sel:DWORD
	s_andn2_b64 s[4:5], s[4:5], exec
	s_and_b64 s[8:9], s[8:9], exec
	s_or_b64 s[4:5], s[4:5], s[8:9]
	s_or_b64 exec, exec, s[6:7]
	s_and_saveexec_b64 s[6:7], s[4:5]
	s_cbranch_execnz .LBB50_1059
	s_branch .LBB50_1060
.LBB50_3109:
	s_movk_i32 s4, 0x80
	v_cmp_eq_u16_sdwa s[12:13], v11, s4 src0_sel:BYTE_0 src1_sel:DWORD
	s_mov_b64 s[4:5], -1
                                        ; implicit-def: $sgpr10
	s_and_saveexec_b64 s[8:9], s[12:13]
; %bb.3110:
	s_mov_b32 s10, 0x7f800001
	s_xor_b64 s[4:5], exec, -1
; %bb.3111:
	s_or_b64 exec, exec, s[8:9]
	s_and_b64 s[4:5], s[4:5], exec
	s_or_saveexec_b64 s[6:7], s[6:7]
	v_mov_b32_e32 v14, s10
	s_xor_b64 exec, exec, s[6:7]
	s_cbranch_execz .LBB50_1062
.LBB50_3112:
	v_mov_b32_e32 v14, 0
	v_cmp_ne_u16_sdwa s[8:9], v11, v14 src0_sel:BYTE_0 src1_sel:DWORD
	s_andn2_b64 s[4:5], s[4:5], exec
	s_and_b64 s[8:9], s[8:9], exec
	s_or_b64 s[4:5], s[4:5], s[8:9]
	s_or_b64 exec, exec, s[6:7]
	s_and_saveexec_b64 s[6:7], s[4:5]
	s_cbranch_execnz .LBB50_1063
	s_branch .LBB50_1064
.LBB50_3113:
	s_movk_i32 s4, 0x80
	v_cmp_eq_u16_sdwa s[12:13], v14, s4 src0_sel:BYTE_0 src1_sel:DWORD
	s_mov_b64 s[4:5], -1
                                        ; implicit-def: $sgpr10
	s_and_saveexec_b64 s[8:9], s[12:13]
; %bb.3114:
	s_mov_b32 s10, 0x7f800001
	s_xor_b64 s[4:5], exec, -1
; %bb.3115:
	s_or_b64 exec, exec, s[8:9]
	s_and_b64 s[4:5], s[4:5], exec
	s_or_saveexec_b64 s[6:7], s[6:7]
	v_mov_b32_e32 v10, s10
	s_xor_b64 exec, exec, s[6:7]
	s_cbranch_execz .LBB50_1066
.LBB50_3116:
	v_mov_b32_e32 v10, 0
	v_cmp_ne_u16_sdwa s[8:9], v14, v10 src0_sel:BYTE_0 src1_sel:DWORD
	s_andn2_b64 s[4:5], s[4:5], exec
	s_and_b64 s[8:9], s[8:9], exec
	s_or_b64 s[4:5], s[4:5], s[8:9]
	s_or_b64 exec, exec, s[6:7]
	s_and_saveexec_b64 s[6:7], s[4:5]
	s_cbranch_execnz .LBB50_1067
	s_branch .LBB50_1068
.LBB50_3117:
	s_movk_i32 s4, 0x80
	v_cmp_eq_u16_sdwa s[12:13], v14, s4 src0_sel:BYTE_0 src1_sel:DWORD
	s_mov_b64 s[4:5], -1
                                        ; implicit-def: $sgpr10
	s_and_saveexec_b64 s[8:9], s[12:13]
; %bb.3118:
	s_mov_b32 s10, 0x7f800001
	s_xor_b64 s[4:5], exec, -1
; %bb.3119:
	s_or_b64 exec, exec, s[8:9]
	s_and_b64 s[4:5], s[4:5], exec
	s_or_saveexec_b64 s[6:7], s[6:7]
	v_mov_b32_e32 v20, s10
	s_xor_b64 exec, exec, s[6:7]
	s_cbranch_execz .LBB50_1070
.LBB50_3120:
	v_mov_b32_e32 v20, 0
	v_cmp_ne_u16_sdwa s[8:9], v14, v20 src0_sel:BYTE_0 src1_sel:DWORD
	s_andn2_b64 s[4:5], s[4:5], exec
	s_and_b64 s[8:9], s[8:9], exec
	s_or_b64 s[4:5], s[4:5], s[8:9]
	s_or_b64 exec, exec, s[6:7]
	s_and_saveexec_b64 s[6:7], s[4:5]
	s_cbranch_execnz .LBB50_1071
	s_branch .LBB50_1072
.LBB50_3121:
	s_movk_i32 s4, 0x80
	v_cmp_eq_u16_e32 vcc, s4, v14
	s_mov_b64 s[4:5], -1
                                        ; implicit-def: $sgpr10
	s_and_saveexec_b64 s[8:9], vcc
; %bb.3122:
	s_mov_b32 s10, 0x7f800001
	s_xor_b64 s[4:5], exec, -1
; %bb.3123:
	s_or_b64 exec, exec, s[8:9]
	s_and_b64 s[4:5], s[4:5], exec
                                        ; implicit-def: $vgpr14
	s_or_saveexec_b64 s[6:7], s[6:7]
	v_mov_b32_e32 v10, s10
	s_xor_b64 exec, exec, s[6:7]
	s_cbranch_execz .LBB50_1074
.LBB50_3124:
	v_cmp_ne_u16_e32 vcc, 0, v14
	s_andn2_b64 s[4:5], s[4:5], exec
	s_and_b64 s[8:9], vcc, exec
	v_mov_b32_e32 v10, 0
	s_or_b64 s[4:5], s[4:5], s[8:9]
	s_or_b64 exec, exec, s[6:7]
	s_and_saveexec_b64 s[6:7], s[4:5]
	s_cbranch_execnz .LBB50_1075
	s_branch .LBB50_1076
.LBB50_3125:
	s_movk_i32 s4, 0x80
	v_cmp_eq_u16_e32 vcc, s4, v14
	s_mov_b64 s[4:5], -1
                                        ; implicit-def: $sgpr10
	s_and_saveexec_b64 s[8:9], vcc
; %bb.3126:
	s_mov_b32 s10, 0x7f800001
	s_xor_b64 s[4:5], exec, -1
; %bb.3127:
	s_or_b64 exec, exec, s[8:9]
	s_and_b64 s[4:5], s[4:5], exec
                                        ; implicit-def: $vgpr14
	s_or_saveexec_b64 s[6:7], s[6:7]
	v_mov_b32_e32 v20, s10
	s_xor_b64 exec, exec, s[6:7]
	s_cbranch_execz .LBB50_1078
.LBB50_3128:
	v_cmp_ne_u16_e32 vcc, 0, v14
	s_andn2_b64 s[4:5], s[4:5], exec
	s_and_b64 s[8:9], vcc, exec
	v_mov_b32_e32 v20, 0
	s_or_b64 s[4:5], s[4:5], s[8:9]
	s_or_b64 exec, exec, s[6:7]
	s_and_saveexec_b64 s[6:7], s[4:5]
	s_cbranch_execnz .LBB50_1079
	s_branch .LBB50_1080
.LBB50_3129:
	s_movk_i32 s4, 0x80
	v_cmp_eq_u16_sdwa s[12:13], v15, s4 src0_sel:BYTE_3 src1_sel:DWORD
	s_mov_b64 s[4:5], -1
                                        ; implicit-def: $sgpr10
	s_and_saveexec_b64 s[8:9], s[12:13]
; %bb.3130:
	s_mov_b32 s10, 0x7f800001
	s_xor_b64 s[4:5], exec, -1
; %bb.3131:
	s_or_b64 exec, exec, s[8:9]
	s_and_b64 s[4:5], s[4:5], exec
	s_or_saveexec_b64 s[6:7], s[6:7]
	v_mov_b32_e32 v10, s10
	s_xor_b64 exec, exec, s[6:7]
	s_cbranch_execz .LBB50_1082
.LBB50_3132:
	v_mov_b32_e32 v10, 0
	v_cmp_ne_u16_sdwa s[8:9], v15, v10 src0_sel:BYTE_3 src1_sel:DWORD
	s_andn2_b64 s[4:5], s[4:5], exec
	s_and_b64 s[8:9], s[8:9], exec
	s_or_b64 s[4:5], s[4:5], s[8:9]
	s_or_b64 exec, exec, s[6:7]
	s_and_saveexec_b64 s[6:7], s[4:5]
	s_cbranch_execnz .LBB50_1083
	s_branch .LBB50_1084
.LBB50_3133:
	s_movk_i32 s4, 0x80
	v_cmp_eq_u16_sdwa s[12:13], v11, s4 src0_sel:BYTE_3 src1_sel:DWORD
	s_mov_b64 s[4:5], -1
                                        ; implicit-def: $sgpr10
	s_and_saveexec_b64 s[8:9], s[12:13]
; %bb.3134:
	s_mov_b32 s10, 0x7f800001
	s_xor_b64 s[4:5], exec, -1
; %bb.3135:
	s_or_b64 exec, exec, s[8:9]
	s_and_b64 s[4:5], s[4:5], exec
	s_or_saveexec_b64 s[6:7], s[6:7]
	v_mov_b32_e32 v14, s10
	s_xor_b64 exec, exec, s[6:7]
	s_cbranch_execz .LBB50_1086
.LBB50_3136:
	v_mov_b32_e32 v14, 0
	v_cmp_ne_u16_sdwa s[8:9], v11, v14 src0_sel:BYTE_3 src1_sel:DWORD
	s_andn2_b64 s[4:5], s[4:5], exec
	s_and_b64 s[8:9], s[8:9], exec
	s_or_b64 s[4:5], s[4:5], s[8:9]
	s_or_b64 exec, exec, s[6:7]
	s_and_saveexec_b64 s[6:7], s[4:5]
	s_cbranch_execnz .LBB50_1087
	s_branch .LBB50_1088
.LBB50_3137:
	s_movk_i32 s4, 0x80
	v_cmp_eq_u16_sdwa s[12:13], v16, s4 src0_sel:BYTE_0 src1_sel:DWORD
	s_mov_b64 s[4:5], -1
                                        ; implicit-def: $sgpr10
	s_and_saveexec_b64 s[8:9], s[12:13]
; %bb.3138:
	s_mov_b32 s10, 0x7f800001
	s_xor_b64 s[4:5], exec, -1
; %bb.3139:
	s_or_b64 exec, exec, s[8:9]
	s_and_b64 s[4:5], s[4:5], exec
	s_or_saveexec_b64 s[6:7], s[6:7]
	v_mov_b32_e32 v10, s10
	s_xor_b64 exec, exec, s[6:7]
	s_cbranch_execz .LBB50_1090
.LBB50_3140:
	v_mov_b32_e32 v10, 0
	v_cmp_ne_u16_sdwa s[8:9], v16, v10 src0_sel:BYTE_0 src1_sel:DWORD
	s_andn2_b64 s[4:5], s[4:5], exec
	s_and_b64 s[8:9], s[8:9], exec
	s_or_b64 s[4:5], s[4:5], s[8:9]
	s_or_b64 exec, exec, s[6:7]
	s_and_saveexec_b64 s[6:7], s[4:5]
	s_cbranch_execnz .LBB50_1091
	s_branch .LBB50_1092
.LBB50_3141:
	s_movk_i32 s4, 0x80
	v_cmp_eq_u16_sdwa s[12:13], v12, s4 src0_sel:BYTE_0 src1_sel:DWORD
	s_mov_b64 s[4:5], -1
                                        ; implicit-def: $sgpr10
	s_and_saveexec_b64 s[8:9], s[12:13]
; %bb.3142:
	s_mov_b32 s10, 0x7f800001
	s_xor_b64 s[4:5], exec, -1
; %bb.3143:
	s_or_b64 exec, exec, s[8:9]
	s_and_b64 s[4:5], s[4:5], exec
	s_or_saveexec_b64 s[6:7], s[6:7]
	v_mov_b32_e32 v11, s10
	s_xor_b64 exec, exec, s[6:7]
	s_cbranch_execz .LBB50_1094
.LBB50_3144:
	v_mov_b32_e32 v11, 0
	v_cmp_ne_u16_sdwa s[8:9], v12, v11 src0_sel:BYTE_0 src1_sel:DWORD
	s_andn2_b64 s[4:5], s[4:5], exec
	s_and_b64 s[8:9], s[8:9], exec
	s_or_b64 s[4:5], s[4:5], s[8:9]
	s_or_b64 exec, exec, s[6:7]
	s_and_saveexec_b64 s[6:7], s[4:5]
	s_cbranch_execnz .LBB50_1095
	s_branch .LBB50_1096
.LBB50_3145:
	s_movk_i32 s4, 0x80
	v_cmp_eq_u16_sdwa s[12:13], v11, s4 src0_sel:BYTE_0 src1_sel:DWORD
	s_mov_b64 s[4:5], -1
                                        ; implicit-def: $sgpr10
	s_and_saveexec_b64 s[8:9], s[12:13]
; %bb.3146:
	s_mov_b32 s10, 0x7f800001
	s_xor_b64 s[4:5], exec, -1
; %bb.3147:
	s_or_b64 exec, exec, s[8:9]
	s_and_b64 s[4:5], s[4:5], exec
	s_or_saveexec_b64 s[6:7], s[6:7]
	v_mov_b32_e32 v10, s10
	s_xor_b64 exec, exec, s[6:7]
	s_cbranch_execz .LBB50_1098
.LBB50_3148:
	v_mov_b32_e32 v10, 0
	v_cmp_ne_u16_sdwa s[8:9], v11, v10 src0_sel:BYTE_0 src1_sel:DWORD
	s_andn2_b64 s[4:5], s[4:5], exec
	s_and_b64 s[8:9], s[8:9], exec
	s_or_b64 s[4:5], s[4:5], s[8:9]
	s_or_b64 exec, exec, s[6:7]
	s_and_saveexec_b64 s[6:7], s[4:5]
	s_cbranch_execnz .LBB50_1099
	s_branch .LBB50_1100
.LBB50_3149:
	s_movk_i32 s4, 0x80
	v_cmp_eq_u16_sdwa s[12:13], v11, s4 src0_sel:BYTE_0 src1_sel:DWORD
	s_mov_b64 s[4:5], -1
                                        ; implicit-def: $sgpr10
	s_and_saveexec_b64 s[8:9], s[12:13]
; %bb.3150:
	s_mov_b32 s10, 0x7f800001
	s_xor_b64 s[4:5], exec, -1
; %bb.3151:
	s_or_b64 exec, exec, s[8:9]
	s_and_b64 s[4:5], s[4:5], exec
	s_or_saveexec_b64 s[6:7], s[6:7]
	v_mov_b32_e32 v14, s10
	s_xor_b64 exec, exec, s[6:7]
	s_cbranch_execz .LBB50_1102
.LBB50_3152:
	v_mov_b32_e32 v14, 0
	v_cmp_ne_u16_sdwa s[8:9], v11, v14 src0_sel:BYTE_0 src1_sel:DWORD
	s_andn2_b64 s[4:5], s[4:5], exec
	s_and_b64 s[8:9], s[8:9], exec
	s_or_b64 s[4:5], s[4:5], s[8:9]
	s_or_b64 exec, exec, s[6:7]
	s_and_saveexec_b64 s[6:7], s[4:5]
	s_cbranch_execnz .LBB50_1103
	s_branch .LBB50_1104
.LBB50_3153:
	s_movk_i32 s4, 0x80
	v_cmp_eq_u16_e32 vcc, s4, v11
	s_mov_b64 s[4:5], -1
                                        ; implicit-def: $sgpr10
	s_and_saveexec_b64 s[8:9], vcc
; %bb.3154:
	s_mov_b32 s10, 0x7f800001
	s_xor_b64 s[4:5], exec, -1
; %bb.3155:
	s_or_b64 exec, exec, s[8:9]
	s_and_b64 s[4:5], s[4:5], exec
                                        ; implicit-def: $vgpr11
	s_or_saveexec_b64 s[6:7], s[6:7]
	v_mov_b32_e32 v10, s10
	s_xor_b64 exec, exec, s[6:7]
	s_cbranch_execz .LBB50_1106
.LBB50_3156:
	v_cmp_ne_u16_e32 vcc, 0, v11
	s_andn2_b64 s[4:5], s[4:5], exec
	s_and_b64 s[8:9], vcc, exec
	v_mov_b32_e32 v10, 0
	s_or_b64 s[4:5], s[4:5], s[8:9]
	s_or_b64 exec, exec, s[6:7]
	s_and_saveexec_b64 s[6:7], s[4:5]
	s_cbranch_execnz .LBB50_1107
	s_branch .LBB50_1108
.LBB50_3157:
	s_movk_i32 s4, 0x80
	v_cmp_eq_u16_e32 vcc, s4, v11
	s_mov_b64 s[4:5], -1
                                        ; implicit-def: $sgpr10
	s_and_saveexec_b64 s[8:9], vcc
; %bb.3158:
	s_mov_b32 s10, 0x7f800001
	s_xor_b64 s[4:5], exec, -1
; %bb.3159:
	s_or_b64 exec, exec, s[8:9]
	s_and_b64 s[4:5], s[4:5], exec
                                        ; implicit-def: $vgpr11
	s_or_saveexec_b64 s[6:7], s[6:7]
	v_mov_b32_e32 v14, s10
	s_xor_b64 exec, exec, s[6:7]
	s_cbranch_execz .LBB50_1110
.LBB50_3160:
	v_cmp_ne_u16_e32 vcc, 0, v11
	s_andn2_b64 s[4:5], s[4:5], exec
	s_and_b64 s[8:9], vcc, exec
	v_mov_b32_e32 v14, 0
	s_or_b64 s[4:5], s[4:5], s[8:9]
	s_or_b64 exec, exec, s[6:7]
	s_and_saveexec_b64 s[6:7], s[4:5]
	s_cbranch_execnz .LBB50_1111
	s_branch .LBB50_1112
.LBB50_3161:
	s_movk_i32 s4, 0x80
	v_cmp_eq_u16_sdwa s[12:13], v16, s4 src0_sel:BYTE_3 src1_sel:DWORD
	s_mov_b64 s[4:5], -1
                                        ; implicit-def: $sgpr10
	s_and_saveexec_b64 s[8:9], s[12:13]
; %bb.3162:
	s_mov_b32 s10, 0x7f800001
	s_xor_b64 s[4:5], exec, -1
; %bb.3163:
	s_or_b64 exec, exec, s[8:9]
	s_and_b64 s[4:5], s[4:5], exec
	s_or_saveexec_b64 s[6:7], s[6:7]
	v_mov_b32_e32 v10, s10
	s_xor_b64 exec, exec, s[6:7]
	s_cbranch_execz .LBB50_1114
.LBB50_3164:
	v_mov_b32_e32 v10, 0
	v_cmp_ne_u16_sdwa s[8:9], v16, v10 src0_sel:BYTE_3 src1_sel:DWORD
	s_andn2_b64 s[4:5], s[4:5], exec
	s_and_b64 s[8:9], s[8:9], exec
	s_or_b64 s[4:5], s[4:5], s[8:9]
	s_or_b64 exec, exec, s[6:7]
	s_and_saveexec_b64 s[6:7], s[4:5]
	s_cbranch_execnz .LBB50_1115
	s_branch .LBB50_1116
.LBB50_3165:
	s_movk_i32 s4, 0x80
	v_cmp_eq_u16_sdwa s[12:13], v12, s4 src0_sel:BYTE_3 src1_sel:DWORD
	s_mov_b64 s[4:5], -1
                                        ; implicit-def: $sgpr10
	s_and_saveexec_b64 s[8:9], s[12:13]
; %bb.3166:
	s_mov_b32 s10, 0x7f800001
	s_xor_b64 s[4:5], exec, -1
; %bb.3167:
	s_or_b64 exec, exec, s[8:9]
	s_and_b64 s[4:5], s[4:5], exec
	s_or_saveexec_b64 s[6:7], s[6:7]
	v_mov_b32_e32 v11, s10
	s_xor_b64 exec, exec, s[6:7]
	s_cbranch_execz .LBB50_1118
.LBB50_3168:
	v_mov_b32_e32 v11, 0
	v_cmp_ne_u16_sdwa s[8:9], v12, v11 src0_sel:BYTE_3 src1_sel:DWORD
	s_andn2_b64 s[4:5], s[4:5], exec
	s_and_b64 s[8:9], s[8:9], exec
	s_or_b64 s[4:5], s[4:5], s[8:9]
	s_or_b64 exec, exec, s[6:7]
	s_and_saveexec_b64 s[6:7], s[4:5]
	s_cbranch_execnz .LBB50_1119
	s_branch .LBB50_1120
.LBB50_3169:
	s_movk_i32 s4, 0x80
	v_cmp_eq_u16_sdwa s[12:13], v17, s4 src0_sel:BYTE_0 src1_sel:DWORD
	s_mov_b64 s[4:5], -1
                                        ; implicit-def: $sgpr10
	s_and_saveexec_b64 s[8:9], s[12:13]
; %bb.3170:
	s_mov_b32 s10, 0x7f800001
	s_xor_b64 s[4:5], exec, -1
; %bb.3171:
	s_or_b64 exec, exec, s[8:9]
	s_and_b64 s[4:5], s[4:5], exec
	s_or_saveexec_b64 s[6:7], s[6:7]
	v_mov_b32_e32 v10, s10
	s_xor_b64 exec, exec, s[6:7]
	s_cbranch_execz .LBB50_1122
.LBB50_3172:
	v_mov_b32_e32 v10, 0
	v_cmp_ne_u16_sdwa s[8:9], v17, v10 src0_sel:BYTE_0 src1_sel:DWORD
	s_andn2_b64 s[4:5], s[4:5], exec
	s_and_b64 s[8:9], s[8:9], exec
	s_or_b64 s[4:5], s[4:5], s[8:9]
	s_or_b64 exec, exec, s[6:7]
	s_and_saveexec_b64 s[6:7], s[4:5]
	s_cbranch_execnz .LBB50_1123
	s_branch .LBB50_1124
.LBB50_3173:
	s_movk_i32 s4, 0x80
	v_cmp_eq_u16_sdwa s[12:13], v13, s4 src0_sel:BYTE_0 src1_sel:DWORD
	s_mov_b64 s[4:5], -1
                                        ; implicit-def: $sgpr10
	s_and_saveexec_b64 s[8:9], s[12:13]
; %bb.3174:
	s_mov_b32 s10, 0x7f800001
	s_xor_b64 s[4:5], exec, -1
; %bb.3175:
	s_or_b64 exec, exec, s[8:9]
	s_and_b64 s[4:5], s[4:5], exec
	s_or_saveexec_b64 s[6:7], s[6:7]
	v_mov_b32_e32 v11, s10
	s_xor_b64 exec, exec, s[6:7]
	s_cbranch_execz .LBB50_1126
.LBB50_3176:
	v_mov_b32_e32 v11, 0
	v_cmp_ne_u16_sdwa s[8:9], v13, v11 src0_sel:BYTE_0 src1_sel:DWORD
	s_andn2_b64 s[4:5], s[4:5], exec
	s_and_b64 s[8:9], s[8:9], exec
	s_or_b64 s[4:5], s[4:5], s[8:9]
	s_or_b64 exec, exec, s[6:7]
	s_and_saveexec_b64 s[6:7], s[4:5]
	s_cbranch_execnz .LBB50_1127
	s_branch .LBB50_1128
.LBB50_3177:
	s_movk_i32 s4, 0x80
	v_cmp_eq_u16_sdwa s[12:13], v11, s4 src0_sel:BYTE_0 src1_sel:DWORD
	s_mov_b64 s[4:5], -1
                                        ; implicit-def: $sgpr10
	s_and_saveexec_b64 s[8:9], s[12:13]
; %bb.3178:
	s_mov_b32 s10, 0x7f800001
	s_xor_b64 s[4:5], exec, -1
; %bb.3179:
	s_or_b64 exec, exec, s[8:9]
	s_and_b64 s[4:5], s[4:5], exec
	s_or_saveexec_b64 s[6:7], s[6:7]
	v_mov_b32_e32 v10, s10
	s_xor_b64 exec, exec, s[6:7]
	s_cbranch_execz .LBB50_1130
.LBB50_3180:
	v_mov_b32_e32 v10, 0
	v_cmp_ne_u16_sdwa s[8:9], v11, v10 src0_sel:BYTE_0 src1_sel:DWORD
	s_andn2_b64 s[4:5], s[4:5], exec
	s_and_b64 s[8:9], s[8:9], exec
	s_or_b64 s[4:5], s[4:5], s[8:9]
	s_or_b64 exec, exec, s[6:7]
	s_and_saveexec_b64 s[6:7], s[4:5]
	s_cbranch_execnz .LBB50_1131
	s_branch .LBB50_1132
.LBB50_3181:
	s_movk_i32 s4, 0x80
	v_cmp_eq_u16_sdwa s[12:13], v11, s4 src0_sel:BYTE_0 src1_sel:DWORD
	s_mov_b64 s[4:5], -1
                                        ; implicit-def: $sgpr10
	s_and_saveexec_b64 s[8:9], s[12:13]
; %bb.3182:
	s_mov_b32 s10, 0x7f800001
	s_xor_b64 s[4:5], exec, -1
; %bb.3183:
	s_or_b64 exec, exec, s[8:9]
	s_and_b64 s[4:5], s[4:5], exec
	s_or_saveexec_b64 s[6:7], s[6:7]
	v_mov_b32_e32 v12, s10
	s_xor_b64 exec, exec, s[6:7]
	s_cbranch_execz .LBB50_1134
.LBB50_3184:
	v_mov_b32_e32 v12, 0
	v_cmp_ne_u16_sdwa s[8:9], v11, v12 src0_sel:BYTE_0 src1_sel:DWORD
	s_andn2_b64 s[4:5], s[4:5], exec
	s_and_b64 s[8:9], s[8:9], exec
	s_or_b64 s[4:5], s[4:5], s[8:9]
	s_or_b64 exec, exec, s[6:7]
	s_and_saveexec_b64 s[6:7], s[4:5]
	s_cbranch_execnz .LBB50_1135
	s_branch .LBB50_1136
.LBB50_3185:
	s_movk_i32 s4, 0x80
	v_cmp_eq_u16_e32 vcc, s4, v11
	s_mov_b64 s[4:5], -1
                                        ; implicit-def: $sgpr10
	s_and_saveexec_b64 s[8:9], vcc
; %bb.3186:
	s_mov_b32 s10, 0x7f800001
	s_xor_b64 s[4:5], exec, -1
; %bb.3187:
	s_or_b64 exec, exec, s[8:9]
	s_and_b64 s[4:5], s[4:5], exec
                                        ; implicit-def: $vgpr11
	s_or_saveexec_b64 s[6:7], s[6:7]
	v_mov_b32_e32 v10, s10
	s_xor_b64 exec, exec, s[6:7]
	s_cbranch_execz .LBB50_1138
.LBB50_3188:
	v_cmp_ne_u16_e32 vcc, 0, v11
	s_andn2_b64 s[4:5], s[4:5], exec
	s_and_b64 s[8:9], vcc, exec
	v_mov_b32_e32 v10, 0
	s_or_b64 s[4:5], s[4:5], s[8:9]
	s_or_b64 exec, exec, s[6:7]
	s_and_saveexec_b64 s[6:7], s[4:5]
	s_cbranch_execnz .LBB50_1139
	s_branch .LBB50_1140
.LBB50_3189:
	s_movk_i32 s4, 0x80
	v_cmp_eq_u16_e32 vcc, s4, v11
	s_mov_b64 s[4:5], -1
                                        ; implicit-def: $sgpr10
	s_and_saveexec_b64 s[8:9], vcc
; %bb.3190:
	s_mov_b32 s10, 0x7f800001
	s_xor_b64 s[4:5], exec, -1
; %bb.3191:
	s_or_b64 exec, exec, s[8:9]
	s_and_b64 s[4:5], s[4:5], exec
                                        ; implicit-def: $vgpr11
	s_or_saveexec_b64 s[6:7], s[6:7]
	v_mov_b32_e32 v12, s10
	s_xor_b64 exec, exec, s[6:7]
	s_cbranch_execz .LBB50_1142
.LBB50_3192:
	v_cmp_ne_u16_e32 vcc, 0, v11
	s_andn2_b64 s[4:5], s[4:5], exec
	s_and_b64 s[8:9], vcc, exec
	v_mov_b32_e32 v12, 0
	s_or_b64 s[4:5], s[4:5], s[8:9]
	s_or_b64 exec, exec, s[6:7]
	s_and_saveexec_b64 s[6:7], s[4:5]
	s_cbranch_execnz .LBB50_1143
	s_branch .LBB50_1144
.LBB50_3193:
	s_movk_i32 s4, 0x80
	v_cmp_eq_u16_sdwa s[12:13], v17, s4 src0_sel:BYTE_3 src1_sel:DWORD
	s_mov_b64 s[4:5], -1
                                        ; implicit-def: $sgpr10
	s_and_saveexec_b64 s[8:9], s[12:13]
; %bb.3194:
	s_mov_b32 s10, 0x7f800001
	s_xor_b64 s[4:5], exec, -1
; %bb.3195:
	s_or_b64 exec, exec, s[8:9]
	s_and_b64 s[4:5], s[4:5], exec
	s_or_saveexec_b64 s[6:7], s[6:7]
	v_mov_b32_e32 v10, s10
	s_xor_b64 exec, exec, s[6:7]
	s_cbranch_execz .LBB50_1146
.LBB50_3196:
	v_mov_b32_e32 v10, 0
	v_cmp_ne_u16_sdwa s[8:9], v17, v10 src0_sel:BYTE_3 src1_sel:DWORD
	s_andn2_b64 s[4:5], s[4:5], exec
	s_and_b64 s[8:9], s[8:9], exec
	s_or_b64 s[4:5], s[4:5], s[8:9]
	s_or_b64 exec, exec, s[6:7]
	s_and_saveexec_b64 s[6:7], s[4:5]
	s_cbranch_execnz .LBB50_1147
	s_branch .LBB50_1148
.LBB50_3197:
	s_movk_i32 s4, 0x80
	v_cmp_eq_u16_sdwa s[12:13], v13, s4 src0_sel:BYTE_3 src1_sel:DWORD
	s_mov_b64 s[4:5], -1
                                        ; implicit-def: $sgpr10
	s_and_saveexec_b64 s[8:9], s[12:13]
; %bb.3198:
	s_mov_b32 s10, 0x7f800001
	s_xor_b64 s[4:5], exec, -1
; %bb.3199:
	s_or_b64 exec, exec, s[8:9]
	s_and_b64 s[4:5], s[4:5], exec
	s_or_saveexec_b64 s[6:7], s[6:7]
	v_mov_b32_e32 v11, s10
	s_xor_b64 exec, exec, s[6:7]
	s_cbranch_execz .LBB50_1150
.LBB50_3200:
	v_mov_b32_e32 v11, 0
	v_cmp_ne_u16_sdwa s[8:9], v13, v11 src0_sel:BYTE_3 src1_sel:DWORD
	s_andn2_b64 s[4:5], s[4:5], exec
	s_and_b64 s[8:9], s[8:9], exec
	s_or_b64 s[4:5], s[4:5], s[8:9]
	s_or_b64 exec, exec, s[6:7]
	s_and_saveexec_b64 s[6:7], s[4:5]
	s_cbranch_execnz .LBB50_1151
	s_branch .LBB50_1152
.LBB50_3201:
	s_movk_i32 s4, 0x80
	v_cmp_eq_u16_sdwa s[12:13], v6, s4 src0_sel:BYTE_0 src1_sel:DWORD
	s_mov_b64 s[4:5], -1
                                        ; implicit-def: $sgpr10
	s_and_saveexec_b64 s[8:9], s[12:13]
; %bb.3202:
	s_mov_b32 s10, 0x7f800001
	s_xor_b64 s[4:5], exec, -1
; %bb.3203:
	s_or_b64 exec, exec, s[8:9]
	s_and_b64 s[4:5], s[4:5], exec
	s_or_saveexec_b64 s[6:7], s[6:7]
	v_mov_b32_e32 v10, s10
	s_xor_b64 exec, exec, s[6:7]
	s_cbranch_execz .LBB50_1154
.LBB50_3204:
	v_mov_b32_e32 v10, 0
	v_cmp_ne_u16_sdwa s[8:9], v6, v10 src0_sel:BYTE_0 src1_sel:DWORD
	s_andn2_b64 s[4:5], s[4:5], exec
	s_and_b64 s[8:9], s[8:9], exec
	s_or_b64 s[4:5], s[4:5], s[8:9]
	s_or_b64 exec, exec, s[6:7]
	s_and_saveexec_b64 s[6:7], s[4:5]
	s_cbranch_execnz .LBB50_1155
	s_branch .LBB50_1156
.LBB50_3205:
	s_movk_i32 s4, 0x80
	v_cmp_eq_u16_sdwa s[12:13], v2, s4 src0_sel:BYTE_0 src1_sel:DWORD
	s_mov_b64 s[4:5], -1
                                        ; implicit-def: $sgpr10
	s_and_saveexec_b64 s[8:9], s[12:13]
; %bb.3206:
	s_mov_b32 s10, 0x7f800001
	s_xor_b64 s[4:5], exec, -1
; %bb.3207:
	s_or_b64 exec, exec, s[8:9]
	s_and_b64 s[4:5], s[4:5], exec
	s_or_saveexec_b64 s[6:7], s[6:7]
	v_mov_b32_e32 v11, s10
	s_xor_b64 exec, exec, s[6:7]
	s_cbranch_execz .LBB50_1158
.LBB50_3208:
	v_mov_b32_e32 v11, 0
	v_cmp_ne_u16_sdwa s[8:9], v2, v11 src0_sel:BYTE_0 src1_sel:DWORD
	s_andn2_b64 s[4:5], s[4:5], exec
	s_and_b64 s[8:9], s[8:9], exec
	s_or_b64 s[4:5], s[4:5], s[8:9]
	s_or_b64 exec, exec, s[6:7]
	s_and_saveexec_b64 s[6:7], s[4:5]
	s_cbranch_execnz .LBB50_1159
	s_branch .LBB50_1160
.LBB50_3209:
	s_movk_i32 s4, 0x80
	v_cmp_eq_u16_sdwa s[12:13], v11, s4 src0_sel:BYTE_0 src1_sel:DWORD
	s_mov_b64 s[4:5], -1
                                        ; implicit-def: $sgpr10
	s_and_saveexec_b64 s[8:9], s[12:13]
; %bb.3210:
	s_mov_b32 s10, 0x7f800001
	s_xor_b64 s[4:5], exec, -1
; %bb.3211:
	s_or_b64 exec, exec, s[8:9]
	s_and_b64 s[4:5], s[4:5], exec
	s_or_saveexec_b64 s[6:7], s[6:7]
	v_mov_b32_e32 v10, s10
	s_xor_b64 exec, exec, s[6:7]
	s_cbranch_execz .LBB50_1162
.LBB50_3212:
	v_mov_b32_e32 v10, 0
	v_cmp_ne_u16_sdwa s[8:9], v11, v10 src0_sel:BYTE_0 src1_sel:DWORD
	s_andn2_b64 s[4:5], s[4:5], exec
	s_and_b64 s[8:9], s[8:9], exec
	s_or_b64 s[4:5], s[4:5], s[8:9]
	s_or_b64 exec, exec, s[6:7]
	s_and_saveexec_b64 s[6:7], s[4:5]
	s_cbranch_execnz .LBB50_1163
	s_branch .LBB50_1164
.LBB50_3213:
	s_movk_i32 s4, 0x80
	v_cmp_eq_u16_sdwa s[12:13], v11, s4 src0_sel:BYTE_0 src1_sel:DWORD
	s_mov_b64 s[4:5], -1
                                        ; implicit-def: $sgpr10
	s_and_saveexec_b64 s[8:9], s[12:13]
; %bb.3214:
	s_mov_b32 s10, 0x7f800001
	s_xor_b64 s[4:5], exec, -1
; %bb.3215:
	s_or_b64 exec, exec, s[8:9]
	s_and_b64 s[4:5], s[4:5], exec
	s_or_saveexec_b64 s[6:7], s[6:7]
	v_mov_b32_e32 v12, s10
	s_xor_b64 exec, exec, s[6:7]
	s_cbranch_execz .LBB50_1166
.LBB50_3216:
	v_mov_b32_e32 v12, 0
	v_cmp_ne_u16_sdwa s[8:9], v11, v12 src0_sel:BYTE_0 src1_sel:DWORD
	s_andn2_b64 s[4:5], s[4:5], exec
	s_and_b64 s[8:9], s[8:9], exec
	s_or_b64 s[4:5], s[4:5], s[8:9]
	s_or_b64 exec, exec, s[6:7]
	s_and_saveexec_b64 s[6:7], s[4:5]
	s_cbranch_execnz .LBB50_1167
	s_branch .LBB50_1168
.LBB50_3217:
	s_movk_i32 s4, 0x80
	v_cmp_eq_u16_e32 vcc, s4, v11
	s_mov_b64 s[4:5], -1
                                        ; implicit-def: $sgpr10
	s_and_saveexec_b64 s[8:9], vcc
; %bb.3218:
	s_mov_b32 s10, 0x7f800001
	s_xor_b64 s[4:5], exec, -1
; %bb.3219:
	s_or_b64 exec, exec, s[8:9]
	s_and_b64 s[4:5], s[4:5], exec
                                        ; implicit-def: $vgpr11
	s_or_saveexec_b64 s[6:7], s[6:7]
	v_mov_b32_e32 v10, s10
	s_xor_b64 exec, exec, s[6:7]
	s_cbranch_execz .LBB50_1170
.LBB50_3220:
	v_cmp_ne_u16_e32 vcc, 0, v11
	s_andn2_b64 s[4:5], s[4:5], exec
	s_and_b64 s[8:9], vcc, exec
	v_mov_b32_e32 v10, 0
	s_or_b64 s[4:5], s[4:5], s[8:9]
	s_or_b64 exec, exec, s[6:7]
	s_and_saveexec_b64 s[6:7], s[4:5]
	s_cbranch_execnz .LBB50_1171
	s_branch .LBB50_1172
.LBB50_3221:
	s_movk_i32 s4, 0x80
	v_cmp_eq_u16_e32 vcc, s4, v11
	s_mov_b64 s[4:5], -1
                                        ; implicit-def: $sgpr10
	s_and_saveexec_b64 s[8:9], vcc
; %bb.3222:
	s_mov_b32 s10, 0x7f800001
	s_xor_b64 s[4:5], exec, -1
; %bb.3223:
	s_or_b64 exec, exec, s[8:9]
	s_and_b64 s[4:5], s[4:5], exec
                                        ; implicit-def: $vgpr11
	s_or_saveexec_b64 s[6:7], s[6:7]
	v_mov_b32_e32 v12, s10
	s_xor_b64 exec, exec, s[6:7]
	s_cbranch_execz .LBB50_1174
.LBB50_3224:
	v_cmp_ne_u16_e32 vcc, 0, v11
	s_andn2_b64 s[4:5], s[4:5], exec
	s_and_b64 s[8:9], vcc, exec
	v_mov_b32_e32 v12, 0
	s_or_b64 s[4:5], s[4:5], s[8:9]
	s_or_b64 exec, exec, s[6:7]
	s_and_saveexec_b64 s[6:7], s[4:5]
	s_cbranch_execnz .LBB50_1175
	s_branch .LBB50_1176
.LBB50_3225:
	s_movk_i32 s4, 0x80
	v_cmp_eq_u16_sdwa s[12:13], v6, s4 src0_sel:BYTE_3 src1_sel:DWORD
	s_mov_b64 s[4:5], -1
                                        ; implicit-def: $sgpr10
	s_and_saveexec_b64 s[8:9], s[12:13]
; %bb.3226:
	s_mov_b32 s10, 0x7f800001
	s_xor_b64 s[4:5], exec, -1
; %bb.3227:
	s_or_b64 exec, exec, s[8:9]
	s_and_b64 s[4:5], s[4:5], exec
	s_or_saveexec_b64 s[6:7], s[6:7]
	v_mov_b32_e32 v10, s10
	s_xor_b64 exec, exec, s[6:7]
	s_cbranch_execz .LBB50_1178
.LBB50_3228:
	v_mov_b32_e32 v10, 0
	v_cmp_ne_u16_sdwa s[8:9], v6, v10 src0_sel:BYTE_3 src1_sel:DWORD
	s_andn2_b64 s[4:5], s[4:5], exec
	s_and_b64 s[8:9], s[8:9], exec
	s_or_b64 s[4:5], s[4:5], s[8:9]
	s_or_b64 exec, exec, s[6:7]
	s_and_saveexec_b64 s[6:7], s[4:5]
	s_cbranch_execnz .LBB50_1179
	s_branch .LBB50_1180
.LBB50_3229:
	s_movk_i32 s4, 0x80
	v_cmp_eq_u16_sdwa s[12:13], v2, s4 src0_sel:BYTE_3 src1_sel:DWORD
	s_mov_b64 s[4:5], -1
                                        ; implicit-def: $sgpr10
	s_and_saveexec_b64 s[8:9], s[12:13]
; %bb.3230:
	s_mov_b32 s10, 0x7f800001
	s_xor_b64 s[4:5], exec, -1
; %bb.3231:
	s_or_b64 exec, exec, s[8:9]
	s_and_b64 s[4:5], s[4:5], exec
	s_or_saveexec_b64 s[6:7], s[6:7]
	v_mov_b32_e32 v6, s10
	s_xor_b64 exec, exec, s[6:7]
	s_cbranch_execz .LBB50_1182
.LBB50_3232:
	v_mov_b32_e32 v6, 0
	v_cmp_ne_u16_sdwa s[8:9], v2, v6 src0_sel:BYTE_3 src1_sel:DWORD
	s_andn2_b64 s[4:5], s[4:5], exec
	s_and_b64 s[8:9], s[8:9], exec
	s_or_b64 s[4:5], s[4:5], s[8:9]
	s_or_b64 exec, exec, s[6:7]
	s_and_saveexec_b64 s[6:7], s[4:5]
	s_cbranch_execnz .LBB50_1183
	s_branch .LBB50_1184
.LBB50_3233:
	s_movk_i32 s4, 0x80
	v_cmp_eq_u16_sdwa s[12:13], v7, s4 src0_sel:BYTE_0 src1_sel:DWORD
	s_mov_b64 s[4:5], -1
                                        ; implicit-def: $sgpr10
	s_and_saveexec_b64 s[8:9], s[12:13]
; %bb.3234:
	s_mov_b32 s10, 0x7f800001
	s_xor_b64 s[4:5], exec, -1
; %bb.3235:
	s_or_b64 exec, exec, s[8:9]
	s_and_b64 s[4:5], s[4:5], exec
	s_or_saveexec_b64 s[6:7], s[6:7]
	v_mov_b32_e32 v2, s10
	s_xor_b64 exec, exec, s[6:7]
	s_cbranch_execz .LBB50_1186
.LBB50_3236:
	v_mov_b32_e32 v2, 0
	v_cmp_ne_u16_sdwa s[8:9], v7, v2 src0_sel:BYTE_0 src1_sel:DWORD
	s_andn2_b64 s[4:5], s[4:5], exec
	s_and_b64 s[8:9], s[8:9], exec
	s_or_b64 s[4:5], s[4:5], s[8:9]
	s_or_b64 exec, exec, s[6:7]
	s_and_saveexec_b64 s[6:7], s[4:5]
	s_cbranch_execnz .LBB50_1187
	s_branch .LBB50_1188
.LBB50_3237:
	s_movk_i32 s4, 0x80
	v_cmp_eq_u16_sdwa s[12:13], v3, s4 src0_sel:BYTE_0 src1_sel:DWORD
	s_mov_b64 s[4:5], -1
                                        ; implicit-def: $sgpr10
	s_and_saveexec_b64 s[8:9], s[12:13]
; %bb.3238:
	s_mov_b32 s10, 0x7f800001
	s_xor_b64 s[4:5], exec, -1
; %bb.3239:
	s_or_b64 exec, exec, s[8:9]
	s_and_b64 s[4:5], s[4:5], exec
	s_or_saveexec_b64 s[6:7], s[6:7]
	v_mov_b32_e32 v6, s10
	s_xor_b64 exec, exec, s[6:7]
	s_cbranch_execz .LBB50_1190
.LBB50_3240:
	v_mov_b32_e32 v6, 0
	v_cmp_ne_u16_sdwa s[8:9], v3, v6 src0_sel:BYTE_0 src1_sel:DWORD
	s_andn2_b64 s[4:5], s[4:5], exec
	s_and_b64 s[8:9], s[8:9], exec
	s_or_b64 s[4:5], s[4:5], s[8:9]
	s_or_b64 exec, exec, s[6:7]
	s_and_saveexec_b64 s[6:7], s[4:5]
	s_cbranch_execnz .LBB50_1191
	s_branch .LBB50_1192
.LBB50_3241:
	s_movk_i32 s4, 0x80
	v_cmp_eq_u16_sdwa s[12:13], v6, s4 src0_sel:BYTE_0 src1_sel:DWORD
	s_mov_b64 s[4:5], -1
                                        ; implicit-def: $sgpr10
	s_and_saveexec_b64 s[8:9], s[12:13]
; %bb.3242:
	s_mov_b32 s10, 0x7f800001
	s_xor_b64 s[4:5], exec, -1
; %bb.3243:
	s_or_b64 exec, exec, s[8:9]
	s_and_b64 s[4:5], s[4:5], exec
	s_or_saveexec_b64 s[6:7], s[6:7]
	v_mov_b32_e32 v2, s10
	s_xor_b64 exec, exec, s[6:7]
	s_cbranch_execz .LBB50_1194
.LBB50_3244:
	v_mov_b32_e32 v2, 0
	v_cmp_ne_u16_sdwa s[8:9], v6, v2 src0_sel:BYTE_0 src1_sel:DWORD
	s_andn2_b64 s[4:5], s[4:5], exec
	s_and_b64 s[8:9], s[8:9], exec
	s_or_b64 s[4:5], s[4:5], s[8:9]
	s_or_b64 exec, exec, s[6:7]
	s_and_saveexec_b64 s[6:7], s[4:5]
	s_cbranch_execnz .LBB50_1195
	s_branch .LBB50_1196
.LBB50_3245:
	s_movk_i32 s4, 0x80
	v_cmp_eq_u16_sdwa s[12:13], v6, s4 src0_sel:BYTE_0 src1_sel:DWORD
	s_mov_b64 s[4:5], -1
                                        ; implicit-def: $sgpr10
	s_and_saveexec_b64 s[8:9], s[12:13]
; %bb.3246:
	s_mov_b32 s10, 0x7f800001
	s_xor_b64 s[4:5], exec, -1
; %bb.3247:
	s_or_b64 exec, exec, s[8:9]
	s_and_b64 s[4:5], s[4:5], exec
	s_or_saveexec_b64 s[6:7], s[6:7]
	v_mov_b32_e32 v10, s10
	s_xor_b64 exec, exec, s[6:7]
	s_cbranch_execz .LBB50_1198
.LBB50_3248:
	v_mov_b32_e32 v10, 0
	v_cmp_ne_u16_sdwa s[8:9], v6, v10 src0_sel:BYTE_0 src1_sel:DWORD
	s_andn2_b64 s[4:5], s[4:5], exec
	s_and_b64 s[8:9], s[8:9], exec
	s_or_b64 s[4:5], s[4:5], s[8:9]
	s_or_b64 exec, exec, s[6:7]
	s_and_saveexec_b64 s[6:7], s[4:5]
	s_cbranch_execnz .LBB50_1199
	s_branch .LBB50_1200
.LBB50_3249:
	s_movk_i32 s4, 0x80
	v_cmp_eq_u16_e32 vcc, s4, v6
	s_mov_b64 s[4:5], -1
                                        ; implicit-def: $sgpr10
	s_and_saveexec_b64 s[8:9], vcc
; %bb.3250:
	s_mov_b32 s10, 0x7f800001
	s_xor_b64 s[4:5], exec, -1
; %bb.3251:
	s_or_b64 exec, exec, s[8:9]
	s_and_b64 s[4:5], s[4:5], exec
                                        ; implicit-def: $vgpr6
	s_or_saveexec_b64 s[6:7], s[6:7]
	v_mov_b32_e32 v2, s10
	s_xor_b64 exec, exec, s[6:7]
	s_cbranch_execz .LBB50_1202
.LBB50_3252:
	v_cmp_ne_u16_e32 vcc, 0, v6
	s_andn2_b64 s[4:5], s[4:5], exec
	s_and_b64 s[8:9], vcc, exec
	v_mov_b32_e32 v2, 0
	s_or_b64 s[4:5], s[4:5], s[8:9]
	s_or_b64 exec, exec, s[6:7]
	s_and_saveexec_b64 s[6:7], s[4:5]
	s_cbranch_execnz .LBB50_1203
	s_branch .LBB50_1204
.LBB50_3253:
	s_movk_i32 s4, 0x80
	v_cmp_eq_u16_e32 vcc, s4, v6
	s_mov_b64 s[4:5], -1
                                        ; implicit-def: $sgpr10
	s_and_saveexec_b64 s[8:9], vcc
; %bb.3254:
	s_mov_b32 s10, 0x7f800001
	s_xor_b64 s[4:5], exec, -1
; %bb.3255:
	s_or_b64 exec, exec, s[8:9]
	s_and_b64 s[4:5], s[4:5], exec
                                        ; implicit-def: $vgpr6
	s_or_saveexec_b64 s[6:7], s[6:7]
	v_mov_b32_e32 v10, s10
	s_xor_b64 exec, exec, s[6:7]
	s_cbranch_execz .LBB50_1206
.LBB50_3256:
	v_cmp_ne_u16_e32 vcc, 0, v6
	s_andn2_b64 s[4:5], s[4:5], exec
	s_and_b64 s[8:9], vcc, exec
	v_mov_b32_e32 v10, 0
	s_or_b64 s[4:5], s[4:5], s[8:9]
	s_or_b64 exec, exec, s[6:7]
	s_and_saveexec_b64 s[6:7], s[4:5]
	s_cbranch_execnz .LBB50_1207
	s_branch .LBB50_1208
.LBB50_3257:
	s_movk_i32 s4, 0x80
	v_cmp_eq_u16_sdwa s[12:13], v7, s4 src0_sel:BYTE_3 src1_sel:DWORD
	s_mov_b64 s[4:5], -1
                                        ; implicit-def: $sgpr10
	s_and_saveexec_b64 s[8:9], s[12:13]
; %bb.3258:
	s_mov_b32 s10, 0x7f800001
	s_xor_b64 s[4:5], exec, -1
; %bb.3259:
	s_or_b64 exec, exec, s[8:9]
	s_and_b64 s[4:5], s[4:5], exec
	s_or_saveexec_b64 s[6:7], s[6:7]
	v_mov_b32_e32 v2, s10
	s_xor_b64 exec, exec, s[6:7]
	s_cbranch_execz .LBB50_1210
.LBB50_3260:
	v_mov_b32_e32 v2, 0
	v_cmp_ne_u16_sdwa s[8:9], v7, v2 src0_sel:BYTE_3 src1_sel:DWORD
	s_andn2_b64 s[4:5], s[4:5], exec
	s_and_b64 s[8:9], s[8:9], exec
	s_or_b64 s[4:5], s[4:5], s[8:9]
	s_or_b64 exec, exec, s[6:7]
	s_and_saveexec_b64 s[6:7], s[4:5]
	s_cbranch_execnz .LBB50_1211
	s_branch .LBB50_1212
.LBB50_3261:
	s_movk_i32 s4, 0x80
	v_cmp_eq_u16_sdwa s[12:13], v3, s4 src0_sel:BYTE_3 src1_sel:DWORD
	s_mov_b64 s[4:5], -1
                                        ; implicit-def: $sgpr10
	s_and_saveexec_b64 s[8:9], s[12:13]
; %bb.3262:
	s_mov_b32 s10, 0x7f800001
	s_xor_b64 s[4:5], exec, -1
; %bb.3263:
	s_or_b64 exec, exec, s[8:9]
	s_and_b64 s[4:5], s[4:5], exec
	s_or_saveexec_b64 s[6:7], s[6:7]
	v_mov_b32_e32 v6, s10
	s_xor_b64 exec, exec, s[6:7]
	s_cbranch_execz .LBB50_1214
.LBB50_3264:
	v_mov_b32_e32 v6, 0
	v_cmp_ne_u16_sdwa s[8:9], v3, v6 src0_sel:BYTE_3 src1_sel:DWORD
	s_andn2_b64 s[4:5], s[4:5], exec
	s_and_b64 s[8:9], s[8:9], exec
	s_or_b64 s[4:5], s[4:5], s[8:9]
	s_or_b64 exec, exec, s[6:7]
	s_and_saveexec_b64 s[6:7], s[4:5]
	s_cbranch_execnz .LBB50_1215
	s_branch .LBB50_1216
.LBB50_3265:
	s_movk_i32 s4, 0x80
	v_cmp_eq_u16_sdwa s[12:13], v8, s4 src0_sel:BYTE_0 src1_sel:DWORD
	s_mov_b64 s[4:5], -1
                                        ; implicit-def: $sgpr10
	s_and_saveexec_b64 s[8:9], s[12:13]
; %bb.3266:
	s_mov_b32 s10, 0x7f800001
	s_xor_b64 s[4:5], exec, -1
; %bb.3267:
	s_or_b64 exec, exec, s[8:9]
	s_and_b64 s[4:5], s[4:5], exec
	s_or_saveexec_b64 s[6:7], s[6:7]
	v_mov_b32_e32 v2, s10
	s_xor_b64 exec, exec, s[6:7]
	s_cbranch_execz .LBB50_1218
.LBB50_3268:
	v_mov_b32_e32 v2, 0
	v_cmp_ne_u16_sdwa s[8:9], v8, v2 src0_sel:BYTE_0 src1_sel:DWORD
	s_andn2_b64 s[4:5], s[4:5], exec
	s_and_b64 s[8:9], s[8:9], exec
	s_or_b64 s[4:5], s[4:5], s[8:9]
	s_or_b64 exec, exec, s[6:7]
	s_and_saveexec_b64 s[6:7], s[4:5]
	s_cbranch_execnz .LBB50_1219
	s_branch .LBB50_1220
.LBB50_3269:
	s_movk_i32 s4, 0x80
	v_cmp_eq_u16_sdwa s[12:13], v4, s4 src0_sel:BYTE_0 src1_sel:DWORD
	s_mov_b64 s[4:5], -1
                                        ; implicit-def: $sgpr10
	s_and_saveexec_b64 s[8:9], s[12:13]
; %bb.3270:
	s_mov_b32 s10, 0x7f800001
	s_xor_b64 s[4:5], exec, -1
; %bb.3271:
	s_or_b64 exec, exec, s[8:9]
	s_and_b64 s[4:5], s[4:5], exec
	s_or_saveexec_b64 s[6:7], s[6:7]
	v_mov_b32_e32 v3, s10
	s_xor_b64 exec, exec, s[6:7]
	s_cbranch_execz .LBB50_1222
.LBB50_3272:
	v_mov_b32_e32 v3, 0
	v_cmp_ne_u16_sdwa s[8:9], v4, v3 src0_sel:BYTE_0 src1_sel:DWORD
	s_andn2_b64 s[4:5], s[4:5], exec
	s_and_b64 s[8:9], s[8:9], exec
	s_or_b64 s[4:5], s[4:5], s[8:9]
	s_or_b64 exec, exec, s[6:7]
	s_and_saveexec_b64 s[6:7], s[4:5]
	s_cbranch_execnz .LBB50_1223
	s_branch .LBB50_1224
.LBB50_3273:
	s_movk_i32 s4, 0x80
	v_cmp_eq_u16_sdwa s[12:13], v3, s4 src0_sel:BYTE_0 src1_sel:DWORD
	s_mov_b64 s[4:5], -1
                                        ; implicit-def: $sgpr10
	s_and_saveexec_b64 s[8:9], s[12:13]
; %bb.3274:
	s_mov_b32 s10, 0x7f800001
	s_xor_b64 s[4:5], exec, -1
; %bb.3275:
	s_or_b64 exec, exec, s[8:9]
	s_and_b64 s[4:5], s[4:5], exec
	s_or_saveexec_b64 s[6:7], s[6:7]
	v_mov_b32_e32 v2, s10
	s_xor_b64 exec, exec, s[6:7]
	s_cbranch_execz .LBB50_1226
.LBB50_3276:
	v_mov_b32_e32 v2, 0
	v_cmp_ne_u16_sdwa s[8:9], v3, v2 src0_sel:BYTE_0 src1_sel:DWORD
	s_andn2_b64 s[4:5], s[4:5], exec
	s_and_b64 s[8:9], s[8:9], exec
	s_or_b64 s[4:5], s[4:5], s[8:9]
	s_or_b64 exec, exec, s[6:7]
	s_and_saveexec_b64 s[6:7], s[4:5]
	s_cbranch_execnz .LBB50_1227
	s_branch .LBB50_1228
.LBB50_3277:
	s_movk_i32 s4, 0x80
	v_cmp_eq_u16_sdwa s[12:13], v3, s4 src0_sel:BYTE_0 src1_sel:DWORD
	s_mov_b64 s[4:5], -1
                                        ; implicit-def: $sgpr10
	s_and_saveexec_b64 s[8:9], s[12:13]
; %bb.3278:
	s_mov_b32 s10, 0x7f800001
	s_xor_b64 s[4:5], exec, -1
; %bb.3279:
	s_or_b64 exec, exec, s[8:9]
	s_and_b64 s[4:5], s[4:5], exec
	s_or_saveexec_b64 s[6:7], s[6:7]
	v_mov_b32_e32 v6, s10
	s_xor_b64 exec, exec, s[6:7]
	s_cbranch_execz .LBB50_1230
.LBB50_3280:
	v_mov_b32_e32 v6, 0
	v_cmp_ne_u16_sdwa s[8:9], v3, v6 src0_sel:BYTE_0 src1_sel:DWORD
	s_andn2_b64 s[4:5], s[4:5], exec
	s_and_b64 s[8:9], s[8:9], exec
	s_or_b64 s[4:5], s[4:5], s[8:9]
	s_or_b64 exec, exec, s[6:7]
	s_and_saveexec_b64 s[6:7], s[4:5]
	s_cbranch_execnz .LBB50_1231
	s_branch .LBB50_1232
.LBB50_3281:
	s_movk_i32 s4, 0x80
	v_cmp_eq_u16_e32 vcc, s4, v3
	s_mov_b64 s[4:5], -1
                                        ; implicit-def: $sgpr10
	s_and_saveexec_b64 s[8:9], vcc
; %bb.3282:
	s_mov_b32 s10, 0x7f800001
	s_xor_b64 s[4:5], exec, -1
; %bb.3283:
	s_or_b64 exec, exec, s[8:9]
	s_and_b64 s[4:5], s[4:5], exec
                                        ; implicit-def: $vgpr3
	s_or_saveexec_b64 s[6:7], s[6:7]
	v_mov_b32_e32 v2, s10
	s_xor_b64 exec, exec, s[6:7]
	s_cbranch_execz .LBB50_1234
.LBB50_3284:
	v_cmp_ne_u16_e32 vcc, 0, v3
	s_andn2_b64 s[4:5], s[4:5], exec
	s_and_b64 s[8:9], vcc, exec
	v_mov_b32_e32 v2, 0
	s_or_b64 s[4:5], s[4:5], s[8:9]
	s_or_b64 exec, exec, s[6:7]
	s_and_saveexec_b64 s[6:7], s[4:5]
	s_cbranch_execnz .LBB50_1235
	s_branch .LBB50_1236
.LBB50_3285:
	s_movk_i32 s4, 0x80
	v_cmp_eq_u16_e32 vcc, s4, v3
	s_mov_b64 s[4:5], -1
                                        ; implicit-def: $sgpr10
	s_and_saveexec_b64 s[8:9], vcc
; %bb.3286:
	s_mov_b32 s10, 0x7f800001
	s_xor_b64 s[4:5], exec, -1
; %bb.3287:
	s_or_b64 exec, exec, s[8:9]
	s_and_b64 s[4:5], s[4:5], exec
                                        ; implicit-def: $vgpr3
	s_or_saveexec_b64 s[6:7], s[6:7]
	v_mov_b32_e32 v6, s10
	s_xor_b64 exec, exec, s[6:7]
	s_cbranch_execz .LBB50_1238
.LBB50_3288:
	v_cmp_ne_u16_e32 vcc, 0, v3
	s_andn2_b64 s[4:5], s[4:5], exec
	s_and_b64 s[8:9], vcc, exec
	v_mov_b32_e32 v6, 0
	s_or_b64 s[4:5], s[4:5], s[8:9]
	s_or_b64 exec, exec, s[6:7]
	s_and_saveexec_b64 s[6:7], s[4:5]
	s_cbranch_execnz .LBB50_1239
	s_branch .LBB50_1240
.LBB50_3289:
	s_movk_i32 s4, 0x80
	v_cmp_eq_u16_sdwa s[12:13], v8, s4 src0_sel:BYTE_3 src1_sel:DWORD
	s_mov_b64 s[4:5], -1
                                        ; implicit-def: $sgpr10
	s_and_saveexec_b64 s[8:9], s[12:13]
; %bb.3290:
	s_mov_b32 s10, 0x7f800001
	s_xor_b64 s[4:5], exec, -1
; %bb.3291:
	s_or_b64 exec, exec, s[8:9]
	s_and_b64 s[4:5], s[4:5], exec
	s_or_saveexec_b64 s[6:7], s[6:7]
	v_mov_b32_e32 v2, s10
	s_xor_b64 exec, exec, s[6:7]
	s_cbranch_execz .LBB50_1242
.LBB50_3292:
	v_mov_b32_e32 v2, 0
	v_cmp_ne_u16_sdwa s[8:9], v8, v2 src0_sel:BYTE_3 src1_sel:DWORD
	s_andn2_b64 s[4:5], s[4:5], exec
	s_and_b64 s[8:9], s[8:9], exec
	s_or_b64 s[4:5], s[4:5], s[8:9]
	s_or_b64 exec, exec, s[6:7]
	s_and_saveexec_b64 s[6:7], s[4:5]
	s_cbranch_execnz .LBB50_1243
	s_branch .LBB50_1244
.LBB50_3293:
	s_movk_i32 s4, 0x80
	v_cmp_eq_u16_sdwa s[12:13], v4, s4 src0_sel:BYTE_3 src1_sel:DWORD
	s_mov_b64 s[4:5], -1
                                        ; implicit-def: $sgpr10
	s_and_saveexec_b64 s[8:9], s[12:13]
; %bb.3294:
	s_mov_b32 s10, 0x7f800001
	s_xor_b64 s[4:5], exec, -1
; %bb.3295:
	s_or_b64 exec, exec, s[8:9]
	s_and_b64 s[4:5], s[4:5], exec
	s_or_saveexec_b64 s[6:7], s[6:7]
	v_mov_b32_e32 v3, s10
	s_xor_b64 exec, exec, s[6:7]
	s_cbranch_execz .LBB50_1246
.LBB50_3296:
	v_mov_b32_e32 v3, 0
	v_cmp_ne_u16_sdwa s[8:9], v4, v3 src0_sel:BYTE_3 src1_sel:DWORD
	s_andn2_b64 s[4:5], s[4:5], exec
	s_and_b64 s[8:9], s[8:9], exec
	s_or_b64 s[4:5], s[4:5], s[8:9]
	s_or_b64 exec, exec, s[6:7]
	s_and_saveexec_b64 s[6:7], s[4:5]
	s_cbranch_execnz .LBB50_1247
	s_branch .LBB50_1248
.LBB50_3297:
	s_movk_i32 s4, 0x80
	v_cmp_eq_u16_sdwa s[12:13], v9, s4 src0_sel:BYTE_0 src1_sel:DWORD
	s_mov_b64 s[4:5], -1
                                        ; implicit-def: $sgpr10
	s_and_saveexec_b64 s[8:9], s[12:13]
; %bb.3298:
	s_mov_b32 s10, 0x7f800001
	s_xor_b64 s[4:5], exec, -1
; %bb.3299:
	s_or_b64 exec, exec, s[8:9]
	s_and_b64 s[4:5], s[4:5], exec
	s_or_saveexec_b64 s[6:7], s[6:7]
	v_mov_b32_e32 v2, s10
	s_xor_b64 exec, exec, s[6:7]
	s_cbranch_execz .LBB50_1250
.LBB50_3300:
	v_mov_b32_e32 v2, 0
	v_cmp_ne_u16_sdwa s[8:9], v9, v2 src0_sel:BYTE_0 src1_sel:DWORD
	s_andn2_b64 s[4:5], s[4:5], exec
	s_and_b64 s[8:9], s[8:9], exec
	s_or_b64 s[4:5], s[4:5], s[8:9]
	s_or_b64 exec, exec, s[6:7]
	s_and_saveexec_b64 s[6:7], s[4:5]
	s_cbranch_execnz .LBB50_1251
	s_branch .LBB50_1252
.LBB50_3301:
	s_movk_i32 s4, 0x80
	v_cmp_eq_u16_sdwa s[12:13], v5, s4 src0_sel:BYTE_0 src1_sel:DWORD
	s_mov_b64 s[4:5], -1
                                        ; implicit-def: $sgpr10
	s_and_saveexec_b64 s[8:9], s[12:13]
; %bb.3302:
	s_mov_b32 s10, 0x7f800001
	s_xor_b64 s[4:5], exec, -1
; %bb.3303:
	s_or_b64 exec, exec, s[8:9]
	s_and_b64 s[4:5], s[4:5], exec
	s_or_saveexec_b64 s[6:7], s[6:7]
	v_mov_b32_e32 v3, s10
	s_xor_b64 exec, exec, s[6:7]
	s_cbranch_execz .LBB50_1254
.LBB50_3304:
	v_mov_b32_e32 v3, 0
	v_cmp_ne_u16_sdwa s[8:9], v5, v3 src0_sel:BYTE_0 src1_sel:DWORD
	s_andn2_b64 s[4:5], s[4:5], exec
	s_and_b64 s[8:9], s[8:9], exec
	s_or_b64 s[4:5], s[4:5], s[8:9]
	s_or_b64 exec, exec, s[6:7]
	s_and_saveexec_b64 s[6:7], s[4:5]
	s_cbranch_execnz .LBB50_1255
	s_branch .LBB50_1256
.LBB50_3305:
	s_movk_i32 s4, 0x80
	v_cmp_eq_u16_sdwa s[12:13], v3, s4 src0_sel:BYTE_0 src1_sel:DWORD
	s_mov_b64 s[4:5], -1
                                        ; implicit-def: $sgpr10
	s_and_saveexec_b64 s[8:9], s[12:13]
; %bb.3306:
	s_mov_b32 s10, 0x7f800001
	s_xor_b64 s[4:5], exec, -1
; %bb.3307:
	s_or_b64 exec, exec, s[8:9]
	s_and_b64 s[4:5], s[4:5], exec
	s_or_saveexec_b64 s[6:7], s[6:7]
	v_mov_b32_e32 v2, s10
	s_xor_b64 exec, exec, s[6:7]
	s_cbranch_execz .LBB50_1258
.LBB50_3308:
	v_mov_b32_e32 v2, 0
	v_cmp_ne_u16_sdwa s[8:9], v3, v2 src0_sel:BYTE_0 src1_sel:DWORD
	s_andn2_b64 s[4:5], s[4:5], exec
	s_and_b64 s[8:9], s[8:9], exec
	s_or_b64 s[4:5], s[4:5], s[8:9]
	s_or_b64 exec, exec, s[6:7]
	s_and_saveexec_b64 s[6:7], s[4:5]
	s_cbranch_execnz .LBB50_1259
	s_branch .LBB50_1260
.LBB50_3309:
	s_movk_i32 s4, 0x80
	v_cmp_eq_u16_sdwa s[12:13], v3, s4 src0_sel:BYTE_0 src1_sel:DWORD
	s_mov_b64 s[4:5], -1
                                        ; implicit-def: $sgpr10
	s_and_saveexec_b64 s[8:9], s[12:13]
; %bb.3310:
	s_mov_b32 s10, 0x7f800001
	s_xor_b64 s[4:5], exec, -1
; %bb.3311:
	s_or_b64 exec, exec, s[8:9]
	s_and_b64 s[4:5], s[4:5], exec
	s_or_saveexec_b64 s[6:7], s[6:7]
	v_mov_b32_e32 v4, s10
	s_xor_b64 exec, exec, s[6:7]
	s_cbranch_execz .LBB50_1262
.LBB50_3312:
	v_mov_b32_e32 v4, 0
	v_cmp_ne_u16_sdwa s[8:9], v3, v4 src0_sel:BYTE_0 src1_sel:DWORD
	s_andn2_b64 s[4:5], s[4:5], exec
	s_and_b64 s[8:9], s[8:9], exec
	s_or_b64 s[4:5], s[4:5], s[8:9]
	s_or_b64 exec, exec, s[6:7]
	s_and_saveexec_b64 s[6:7], s[4:5]
	s_cbranch_execnz .LBB50_1263
	s_branch .LBB50_1264
.LBB50_3313:
	s_movk_i32 s4, 0x80
	v_cmp_eq_u16_e32 vcc, s4, v3
	s_mov_b64 s[4:5], -1
                                        ; implicit-def: $sgpr10
	s_and_saveexec_b64 s[8:9], vcc
; %bb.3314:
	s_mov_b32 s10, 0x7f800001
	s_xor_b64 s[4:5], exec, -1
; %bb.3315:
	s_or_b64 exec, exec, s[8:9]
	s_and_b64 s[4:5], s[4:5], exec
                                        ; implicit-def: $vgpr3
	s_or_saveexec_b64 s[6:7], s[6:7]
	v_mov_b32_e32 v2, s10
	s_xor_b64 exec, exec, s[6:7]
	s_cbranch_execz .LBB50_1266
.LBB50_3316:
	v_cmp_ne_u16_e32 vcc, 0, v3
	s_andn2_b64 s[4:5], s[4:5], exec
	s_and_b64 s[8:9], vcc, exec
	v_mov_b32_e32 v2, 0
	s_or_b64 s[4:5], s[4:5], s[8:9]
	s_or_b64 exec, exec, s[6:7]
	s_and_saveexec_b64 s[6:7], s[4:5]
	s_cbranch_execnz .LBB50_1267
	s_branch .LBB50_1268
.LBB50_3317:
	s_movk_i32 s4, 0x80
	v_cmp_eq_u16_e32 vcc, s4, v3
	s_mov_b64 s[4:5], -1
                                        ; implicit-def: $sgpr10
	s_and_saveexec_b64 s[8:9], vcc
; %bb.3318:
	s_mov_b32 s10, 0x7f800001
	s_xor_b64 s[4:5], exec, -1
; %bb.3319:
	s_or_b64 exec, exec, s[8:9]
	s_and_b64 s[4:5], s[4:5], exec
                                        ; implicit-def: $vgpr3
	s_or_saveexec_b64 s[6:7], s[6:7]
	v_mov_b32_e32 v4, s10
	s_xor_b64 exec, exec, s[6:7]
	s_cbranch_execz .LBB50_1270
.LBB50_3320:
	v_cmp_ne_u16_e32 vcc, 0, v3
	s_andn2_b64 s[4:5], s[4:5], exec
	s_and_b64 s[8:9], vcc, exec
	v_mov_b32_e32 v4, 0
	s_or_b64 s[4:5], s[4:5], s[8:9]
	s_or_b64 exec, exec, s[6:7]
	s_and_saveexec_b64 s[6:7], s[4:5]
	s_cbranch_execnz .LBB50_1271
	s_branch .LBB50_1272
.LBB50_3321:
	s_movk_i32 s4, 0x80
	v_cmp_eq_u16_sdwa s[12:13], v9, s4 src0_sel:BYTE_3 src1_sel:DWORD
	s_mov_b64 s[4:5], -1
                                        ; implicit-def: $sgpr10
	s_and_saveexec_b64 s[8:9], s[12:13]
; %bb.3322:
	s_mov_b32 s10, 0x7f800001
	s_xor_b64 s[4:5], exec, -1
; %bb.3323:
	s_or_b64 exec, exec, s[8:9]
	s_and_b64 s[4:5], s[4:5], exec
	s_or_saveexec_b64 s[6:7], s[6:7]
	v_mov_b32_e32 v2, s10
	s_xor_b64 exec, exec, s[6:7]
	s_cbranch_execz .LBB50_1274
.LBB50_3324:
	v_mov_b32_e32 v2, 0
	v_cmp_ne_u16_sdwa s[8:9], v9, v2 src0_sel:BYTE_3 src1_sel:DWORD
	s_andn2_b64 s[4:5], s[4:5], exec
	s_and_b64 s[8:9], s[8:9], exec
	s_or_b64 s[4:5], s[4:5], s[8:9]
	s_or_b64 exec, exec, s[6:7]
	s_and_saveexec_b64 s[6:7], s[4:5]
	s_cbranch_execnz .LBB50_1275
	s_branch .LBB50_1276
.LBB50_3325:
	s_movk_i32 s4, 0x80
	v_cmp_eq_u16_sdwa s[12:13], v5, s4 src0_sel:BYTE_3 src1_sel:DWORD
	s_mov_b64 s[4:5], -1
                                        ; implicit-def: $sgpr10
	s_and_saveexec_b64 s[8:9], s[12:13]
; %bb.3326:
	s_mov_b32 s10, 0x7f800001
	s_xor_b64 s[4:5], exec, -1
; %bb.3327:
	s_or_b64 exec, exec, s[8:9]
	s_and_b64 s[4:5], s[4:5], exec
	s_or_saveexec_b64 s[6:7], s[6:7]
	v_mov_b32_e32 v3, s10
	s_xor_b64 exec, exec, s[6:7]
	s_cbranch_execz .LBB50_1278
.LBB50_3328:
	v_mov_b32_e32 v3, 0
	v_cmp_ne_u16_sdwa s[8:9], v5, v3 src0_sel:BYTE_3 src1_sel:DWORD
	s_andn2_b64 s[4:5], s[4:5], exec
	s_and_b64 s[8:9], s[8:9], exec
	s_or_b64 s[4:5], s[4:5], s[8:9]
	s_or_b64 exec, exec, s[6:7]
	s_and_saveexec_b64 s[6:7], s[4:5]
	s_cbranch_execnz .LBB50_1279
	s_branch .LBB50_1280
.LBB50_3329:
	s_movk_i32 s4, 0x80
	v_cmp_eq_u16_sdwa s[12:13], v14, s4 src0_sel:BYTE_0 src1_sel:DWORD
	s_mov_b64 s[4:5], -1
                                        ; implicit-def: $sgpr10
	s_and_saveexec_b64 s[8:9], s[12:13]
; %bb.3330:
	s_mov_b32 s10, 0x7f800001
	s_xor_b64 s[4:5], exec, -1
; %bb.3331:
	s_or_b64 exec, exec, s[8:9]
	s_and_b64 s[4:5], s[4:5], exec
	s_or_saveexec_b64 s[6:7], s[6:7]
	v_mov_b32_e32 v20, s10
	s_xor_b64 exec, exec, s[6:7]
	s_cbranch_execz .LBB50_1282
.LBB50_3332:
	v_mov_b32_e32 v20, 0
	v_cmp_ne_u16_sdwa s[8:9], v14, v20 src0_sel:BYTE_0 src1_sel:DWORD
	s_andn2_b64 s[4:5], s[4:5], exec
	s_and_b64 s[8:9], s[8:9], exec
	s_or_b64 s[4:5], s[4:5], s[8:9]
	s_or_b64 exec, exec, s[6:7]
	s_and_saveexec_b64 s[6:7], s[4:5]
	s_cbranch_execnz .LBB50_1283
	s_branch .LBB50_1284
.LBB50_3333:
	s_movk_i32 s4, 0x80
	v_cmp_eq_u16_sdwa s[12:13], v10, s4 src0_sel:BYTE_0 src1_sel:DWORD
	s_mov_b64 s[4:5], -1
                                        ; implicit-def: $sgpr10
	s_and_saveexec_b64 s[8:9], s[12:13]
; %bb.3334:
	s_mov_b32 s10, 0x7f800001
	s_xor_b64 s[4:5], exec, -1
; %bb.3335:
	s_or_b64 exec, exec, s[8:9]
	s_and_b64 s[4:5], s[4:5], exec
	s_or_saveexec_b64 s[6:7], s[6:7]
	v_mov_b32_e32 v21, s10
	s_xor_b64 exec, exec, s[6:7]
	s_cbranch_execz .LBB50_1286
.LBB50_3336:
	v_mov_b32_e32 v21, 0
	v_cmp_ne_u16_sdwa s[8:9], v10, v21 src0_sel:BYTE_0 src1_sel:DWORD
	s_andn2_b64 s[4:5], s[4:5], exec
	s_and_b64 s[8:9], s[8:9], exec
	s_or_b64 s[4:5], s[4:5], s[8:9]
	s_or_b64 exec, exec, s[6:7]
	s_and_saveexec_b64 s[6:7], s[4:5]
	s_cbranch_execnz .LBB50_1287
	s_branch .LBB50_1288
.LBB50_3337:
	s_movk_i32 s4, 0x80
	v_cmp_eq_u16_sdwa s[12:13], v21, s4 src0_sel:BYTE_0 src1_sel:DWORD
	s_mov_b64 s[4:5], -1
                                        ; implicit-def: $sgpr10
	s_and_saveexec_b64 s[8:9], s[12:13]
; %bb.3338:
	s_mov_b32 s10, 0x7f800001
	s_xor_b64 s[4:5], exec, -1
; %bb.3339:
	s_or_b64 exec, exec, s[8:9]
	s_and_b64 s[4:5], s[4:5], exec
	s_or_saveexec_b64 s[6:7], s[6:7]
	v_mov_b32_e32 v20, s10
	s_xor_b64 exec, exec, s[6:7]
	s_cbranch_execz .LBB50_1290
.LBB50_3340:
	v_mov_b32_e32 v20, 0
	v_cmp_ne_u16_sdwa s[8:9], v21, v20 src0_sel:BYTE_0 src1_sel:DWORD
	s_andn2_b64 s[4:5], s[4:5], exec
	s_and_b64 s[8:9], s[8:9], exec
	s_or_b64 s[4:5], s[4:5], s[8:9]
	s_or_b64 exec, exec, s[6:7]
	s_and_saveexec_b64 s[6:7], s[4:5]
	s_cbranch_execnz .LBB50_1291
	s_branch .LBB50_1292
.LBB50_3341:
	s_movk_i32 s4, 0x80
	v_cmp_eq_u16_sdwa s[12:13], v21, s4 src0_sel:BYTE_0 src1_sel:DWORD
	s_mov_b64 s[4:5], -1
                                        ; implicit-def: $sgpr10
	s_and_saveexec_b64 s[8:9], s[12:13]
; %bb.3342:
	s_mov_b32 s10, 0x7f800001
	s_xor_b64 s[4:5], exec, -1
; %bb.3343:
	s_or_b64 exec, exec, s[8:9]
	s_and_b64 s[4:5], s[4:5], exec
	s_or_saveexec_b64 s[6:7], s[6:7]
	v_mov_b32_e32 v22, s10
	s_xor_b64 exec, exec, s[6:7]
	s_cbranch_execz .LBB50_1294
.LBB50_3344:
	v_mov_b32_e32 v22, 0
	v_cmp_ne_u16_sdwa s[8:9], v21, v22 src0_sel:BYTE_0 src1_sel:DWORD
	s_andn2_b64 s[4:5], s[4:5], exec
	s_and_b64 s[8:9], s[8:9], exec
	s_or_b64 s[4:5], s[4:5], s[8:9]
	s_or_b64 exec, exec, s[6:7]
	s_and_saveexec_b64 s[6:7], s[4:5]
	s_cbranch_execnz .LBB50_1295
	s_branch .LBB50_1296
.LBB50_3345:
	s_movk_i32 s4, 0x80
	v_cmp_eq_u16_e32 vcc, s4, v21
	s_mov_b64 s[4:5], -1
                                        ; implicit-def: $sgpr10
	s_and_saveexec_b64 s[8:9], vcc
; %bb.3346:
	s_mov_b32 s10, 0x7f800001
	s_xor_b64 s[4:5], exec, -1
; %bb.3347:
	s_or_b64 exec, exec, s[8:9]
	s_and_b64 s[4:5], s[4:5], exec
                                        ; implicit-def: $vgpr21
	s_or_saveexec_b64 s[6:7], s[6:7]
	v_mov_b32_e32 v20, s10
	s_xor_b64 exec, exec, s[6:7]
	s_cbranch_execz .LBB50_1298
.LBB50_3348:
	v_cmp_ne_u16_e32 vcc, 0, v21
	s_andn2_b64 s[4:5], s[4:5], exec
	s_and_b64 s[8:9], vcc, exec
	v_mov_b32_e32 v20, 0
	s_or_b64 s[4:5], s[4:5], s[8:9]
	s_or_b64 exec, exec, s[6:7]
	s_and_saveexec_b64 s[6:7], s[4:5]
	s_cbranch_execnz .LBB50_1299
	s_branch .LBB50_1300
.LBB50_3349:
	s_movk_i32 s4, 0x80
	v_cmp_eq_u16_e32 vcc, s4, v21
	s_mov_b64 s[4:5], -1
                                        ; implicit-def: $sgpr10
	s_and_saveexec_b64 s[8:9], vcc
; %bb.3350:
	s_mov_b32 s10, 0x7f800001
	s_xor_b64 s[4:5], exec, -1
; %bb.3351:
	s_or_b64 exec, exec, s[8:9]
	s_and_b64 s[4:5], s[4:5], exec
                                        ; implicit-def: $vgpr21
	s_or_saveexec_b64 s[6:7], s[6:7]
	v_mov_b32_e32 v22, s10
	s_xor_b64 exec, exec, s[6:7]
	s_cbranch_execz .LBB50_1302
.LBB50_3352:
	v_cmp_ne_u16_e32 vcc, 0, v21
	s_andn2_b64 s[4:5], s[4:5], exec
	s_and_b64 s[8:9], vcc, exec
	v_mov_b32_e32 v22, 0
	s_or_b64 s[4:5], s[4:5], s[8:9]
	s_or_b64 exec, exec, s[6:7]
	s_and_saveexec_b64 s[6:7], s[4:5]
	s_cbranch_execnz .LBB50_1303
	s_branch .LBB50_1304
.LBB50_3353:
	s_movk_i32 s4, 0x80
	v_cmp_eq_u16_sdwa s[12:13], v14, s4 src0_sel:BYTE_3 src1_sel:DWORD
	s_mov_b64 s[4:5], -1
                                        ; implicit-def: $sgpr10
	s_and_saveexec_b64 s[8:9], s[12:13]
; %bb.3354:
	s_mov_b32 s10, 0x7f800001
	s_xor_b64 s[4:5], exec, -1
; %bb.3355:
	s_or_b64 exec, exec, s[8:9]
	s_and_b64 s[4:5], s[4:5], exec
	s_or_saveexec_b64 s[6:7], s[6:7]
	v_mov_b32_e32 v20, s10
	s_xor_b64 exec, exec, s[6:7]
	s_cbranch_execz .LBB50_1306
.LBB50_3356:
	v_mov_b32_e32 v20, 0
	v_cmp_ne_u16_sdwa s[8:9], v14, v20 src0_sel:BYTE_3 src1_sel:DWORD
	s_andn2_b64 s[4:5], s[4:5], exec
	s_and_b64 s[8:9], s[8:9], exec
	s_or_b64 s[4:5], s[4:5], s[8:9]
	s_or_b64 exec, exec, s[6:7]
	s_and_saveexec_b64 s[6:7], s[4:5]
	s_cbranch_execnz .LBB50_1307
	s_branch .LBB50_1308
.LBB50_3357:
	s_movk_i32 s4, 0x80
	v_cmp_eq_u16_sdwa s[12:13], v10, s4 src0_sel:BYTE_3 src1_sel:DWORD
	s_mov_b64 s[4:5], -1
                                        ; implicit-def: $sgpr10
	s_and_saveexec_b64 s[8:9], s[12:13]
; %bb.3358:
	s_mov_b32 s10, 0x7f800001
	s_xor_b64 s[4:5], exec, -1
; %bb.3359:
	s_or_b64 exec, exec, s[8:9]
	s_and_b64 s[4:5], s[4:5], exec
	s_or_saveexec_b64 s[6:7], s[6:7]
	v_mov_b32_e32 v14, s10
	s_xor_b64 exec, exec, s[6:7]
	s_cbranch_execz .LBB50_1310
.LBB50_3360:
	v_mov_b32_e32 v14, 0
	v_cmp_ne_u16_sdwa s[8:9], v10, v14 src0_sel:BYTE_3 src1_sel:DWORD
	s_andn2_b64 s[4:5], s[4:5], exec
	s_and_b64 s[8:9], s[8:9], exec
	s_or_b64 s[4:5], s[4:5], s[8:9]
	s_or_b64 exec, exec, s[6:7]
	s_and_saveexec_b64 s[6:7], s[4:5]
	s_cbranch_execnz .LBB50_1311
	s_branch .LBB50_1312
.LBB50_3361:
	s_movk_i32 s4, 0x80
	v_cmp_eq_u16_sdwa s[12:13], v15, s4 src0_sel:BYTE_0 src1_sel:DWORD
	s_mov_b64 s[4:5], -1
                                        ; implicit-def: $sgpr10
	s_and_saveexec_b64 s[8:9], s[12:13]
; %bb.3362:
	s_mov_b32 s10, 0x7f800001
	s_xor_b64 s[4:5], exec, -1
; %bb.3363:
	s_or_b64 exec, exec, s[8:9]
	s_and_b64 s[4:5], s[4:5], exec
	s_or_saveexec_b64 s[6:7], s[6:7]
	v_mov_b32_e32 v10, s10
	s_xor_b64 exec, exec, s[6:7]
	s_cbranch_execz .LBB50_1314
.LBB50_3364:
	v_mov_b32_e32 v10, 0
	v_cmp_ne_u16_sdwa s[8:9], v15, v10 src0_sel:BYTE_0 src1_sel:DWORD
	s_andn2_b64 s[4:5], s[4:5], exec
	s_and_b64 s[8:9], s[8:9], exec
	s_or_b64 s[4:5], s[4:5], s[8:9]
	s_or_b64 exec, exec, s[6:7]
	s_and_saveexec_b64 s[6:7], s[4:5]
	s_cbranch_execnz .LBB50_1315
	s_branch .LBB50_1316
.LBB50_3365:
	s_movk_i32 s4, 0x80
	v_cmp_eq_u16_sdwa s[12:13], v11, s4 src0_sel:BYTE_0 src1_sel:DWORD
	s_mov_b64 s[4:5], -1
                                        ; implicit-def: $sgpr10
	s_and_saveexec_b64 s[8:9], s[12:13]
; %bb.3366:
	s_mov_b32 s10, 0x7f800001
	s_xor_b64 s[4:5], exec, -1
; %bb.3367:
	s_or_b64 exec, exec, s[8:9]
	s_and_b64 s[4:5], s[4:5], exec
	s_or_saveexec_b64 s[6:7], s[6:7]
	v_mov_b32_e32 v14, s10
	s_xor_b64 exec, exec, s[6:7]
	s_cbranch_execz .LBB50_1318
.LBB50_3368:
	v_mov_b32_e32 v14, 0
	v_cmp_ne_u16_sdwa s[8:9], v11, v14 src0_sel:BYTE_0 src1_sel:DWORD
	s_andn2_b64 s[4:5], s[4:5], exec
	s_and_b64 s[8:9], s[8:9], exec
	s_or_b64 s[4:5], s[4:5], s[8:9]
	s_or_b64 exec, exec, s[6:7]
	s_and_saveexec_b64 s[6:7], s[4:5]
	s_cbranch_execnz .LBB50_1319
	s_branch .LBB50_1320
.LBB50_3369:
	s_movk_i32 s4, 0x80
	v_cmp_eq_u16_sdwa s[12:13], v14, s4 src0_sel:BYTE_0 src1_sel:DWORD
	s_mov_b64 s[4:5], -1
                                        ; implicit-def: $sgpr10
	s_and_saveexec_b64 s[8:9], s[12:13]
; %bb.3370:
	s_mov_b32 s10, 0x7f800001
	s_xor_b64 s[4:5], exec, -1
; %bb.3371:
	s_or_b64 exec, exec, s[8:9]
	s_and_b64 s[4:5], s[4:5], exec
	s_or_saveexec_b64 s[6:7], s[6:7]
	v_mov_b32_e32 v10, s10
	s_xor_b64 exec, exec, s[6:7]
	s_cbranch_execz .LBB50_1322
.LBB50_3372:
	v_mov_b32_e32 v10, 0
	v_cmp_ne_u16_sdwa s[8:9], v14, v10 src0_sel:BYTE_0 src1_sel:DWORD
	s_andn2_b64 s[4:5], s[4:5], exec
	s_and_b64 s[8:9], s[8:9], exec
	s_or_b64 s[4:5], s[4:5], s[8:9]
	s_or_b64 exec, exec, s[6:7]
	s_and_saveexec_b64 s[6:7], s[4:5]
	s_cbranch_execnz .LBB50_1323
	s_branch .LBB50_1324
.LBB50_3373:
	s_movk_i32 s4, 0x80
	v_cmp_eq_u16_sdwa s[12:13], v14, s4 src0_sel:BYTE_0 src1_sel:DWORD
	s_mov_b64 s[4:5], -1
                                        ; implicit-def: $sgpr10
	s_and_saveexec_b64 s[8:9], s[12:13]
; %bb.3374:
	s_mov_b32 s10, 0x7f800001
	s_xor_b64 s[4:5], exec, -1
; %bb.3375:
	s_or_b64 exec, exec, s[8:9]
	s_and_b64 s[4:5], s[4:5], exec
	s_or_saveexec_b64 s[6:7], s[6:7]
	v_mov_b32_e32 v20, s10
	s_xor_b64 exec, exec, s[6:7]
	s_cbranch_execz .LBB50_1326
.LBB50_3376:
	v_mov_b32_e32 v20, 0
	v_cmp_ne_u16_sdwa s[8:9], v14, v20 src0_sel:BYTE_0 src1_sel:DWORD
	s_andn2_b64 s[4:5], s[4:5], exec
	s_and_b64 s[8:9], s[8:9], exec
	s_or_b64 s[4:5], s[4:5], s[8:9]
	s_or_b64 exec, exec, s[6:7]
	s_and_saveexec_b64 s[6:7], s[4:5]
	s_cbranch_execnz .LBB50_1327
	s_branch .LBB50_1328
.LBB50_3377:
	s_movk_i32 s4, 0x80
	v_cmp_eq_u16_e32 vcc, s4, v14
	s_mov_b64 s[4:5], -1
                                        ; implicit-def: $sgpr10
	s_and_saveexec_b64 s[8:9], vcc
; %bb.3378:
	s_mov_b32 s10, 0x7f800001
	s_xor_b64 s[4:5], exec, -1
; %bb.3379:
	s_or_b64 exec, exec, s[8:9]
	s_and_b64 s[4:5], s[4:5], exec
                                        ; implicit-def: $vgpr14
	s_or_saveexec_b64 s[6:7], s[6:7]
	v_mov_b32_e32 v10, s10
	s_xor_b64 exec, exec, s[6:7]
	s_cbranch_execz .LBB50_1330
.LBB50_3380:
	v_cmp_ne_u16_e32 vcc, 0, v14
	s_andn2_b64 s[4:5], s[4:5], exec
	s_and_b64 s[8:9], vcc, exec
	v_mov_b32_e32 v10, 0
	s_or_b64 s[4:5], s[4:5], s[8:9]
	s_or_b64 exec, exec, s[6:7]
	s_and_saveexec_b64 s[6:7], s[4:5]
	s_cbranch_execnz .LBB50_1331
	s_branch .LBB50_1332
.LBB50_3381:
	s_movk_i32 s4, 0x80
	v_cmp_eq_u16_e32 vcc, s4, v14
	s_mov_b64 s[4:5], -1
                                        ; implicit-def: $sgpr10
	s_and_saveexec_b64 s[8:9], vcc
; %bb.3382:
	s_mov_b32 s10, 0x7f800001
	s_xor_b64 s[4:5], exec, -1
; %bb.3383:
	s_or_b64 exec, exec, s[8:9]
	s_and_b64 s[4:5], s[4:5], exec
                                        ; implicit-def: $vgpr14
	s_or_saveexec_b64 s[6:7], s[6:7]
	v_mov_b32_e32 v20, s10
	s_xor_b64 exec, exec, s[6:7]
	s_cbranch_execz .LBB50_1334
.LBB50_3384:
	v_cmp_ne_u16_e32 vcc, 0, v14
	s_andn2_b64 s[4:5], s[4:5], exec
	s_and_b64 s[8:9], vcc, exec
	v_mov_b32_e32 v20, 0
	s_or_b64 s[4:5], s[4:5], s[8:9]
	s_or_b64 exec, exec, s[6:7]
	s_and_saveexec_b64 s[6:7], s[4:5]
	s_cbranch_execnz .LBB50_1335
	s_branch .LBB50_1336
.LBB50_3385:
	s_movk_i32 s4, 0x80
	v_cmp_eq_u16_sdwa s[12:13], v15, s4 src0_sel:BYTE_3 src1_sel:DWORD
	s_mov_b64 s[4:5], -1
                                        ; implicit-def: $sgpr10
	s_and_saveexec_b64 s[8:9], s[12:13]
; %bb.3386:
	s_mov_b32 s10, 0x7f800001
	s_xor_b64 s[4:5], exec, -1
; %bb.3387:
	s_or_b64 exec, exec, s[8:9]
	s_and_b64 s[4:5], s[4:5], exec
	s_or_saveexec_b64 s[6:7], s[6:7]
	v_mov_b32_e32 v10, s10
	s_xor_b64 exec, exec, s[6:7]
	s_cbranch_execz .LBB50_1338
.LBB50_3388:
	v_mov_b32_e32 v10, 0
	v_cmp_ne_u16_sdwa s[8:9], v15, v10 src0_sel:BYTE_3 src1_sel:DWORD
	s_andn2_b64 s[4:5], s[4:5], exec
	s_and_b64 s[8:9], s[8:9], exec
	s_or_b64 s[4:5], s[4:5], s[8:9]
	s_or_b64 exec, exec, s[6:7]
	s_and_saveexec_b64 s[6:7], s[4:5]
	s_cbranch_execnz .LBB50_1339
	s_branch .LBB50_1340
.LBB50_3389:
	s_movk_i32 s4, 0x80
	v_cmp_eq_u16_sdwa s[12:13], v11, s4 src0_sel:BYTE_3 src1_sel:DWORD
	s_mov_b64 s[4:5], -1
                                        ; implicit-def: $sgpr10
	s_and_saveexec_b64 s[8:9], s[12:13]
; %bb.3390:
	s_mov_b32 s10, 0x7f800001
	s_xor_b64 s[4:5], exec, -1
; %bb.3391:
	s_or_b64 exec, exec, s[8:9]
	s_and_b64 s[4:5], s[4:5], exec
	s_or_saveexec_b64 s[6:7], s[6:7]
	v_mov_b32_e32 v14, s10
	s_xor_b64 exec, exec, s[6:7]
	s_cbranch_execz .LBB50_1342
.LBB50_3392:
	v_mov_b32_e32 v14, 0
	v_cmp_ne_u16_sdwa s[8:9], v11, v14 src0_sel:BYTE_3 src1_sel:DWORD
	s_andn2_b64 s[4:5], s[4:5], exec
	s_and_b64 s[8:9], s[8:9], exec
	s_or_b64 s[4:5], s[4:5], s[8:9]
	s_or_b64 exec, exec, s[6:7]
	s_and_saveexec_b64 s[6:7], s[4:5]
	s_cbranch_execnz .LBB50_1343
	s_branch .LBB50_1344
.LBB50_3393:
	s_movk_i32 s4, 0x80
	v_cmp_eq_u16_sdwa s[12:13], v16, s4 src0_sel:BYTE_0 src1_sel:DWORD
	s_mov_b64 s[4:5], -1
                                        ; implicit-def: $sgpr10
	s_and_saveexec_b64 s[8:9], s[12:13]
; %bb.3394:
	s_mov_b32 s10, 0x7f800001
	s_xor_b64 s[4:5], exec, -1
; %bb.3395:
	s_or_b64 exec, exec, s[8:9]
	s_and_b64 s[4:5], s[4:5], exec
	s_or_saveexec_b64 s[6:7], s[6:7]
	v_mov_b32_e32 v10, s10
	s_xor_b64 exec, exec, s[6:7]
	s_cbranch_execz .LBB50_1346
.LBB50_3396:
	v_mov_b32_e32 v10, 0
	v_cmp_ne_u16_sdwa s[8:9], v16, v10 src0_sel:BYTE_0 src1_sel:DWORD
	s_andn2_b64 s[4:5], s[4:5], exec
	s_and_b64 s[8:9], s[8:9], exec
	s_or_b64 s[4:5], s[4:5], s[8:9]
	s_or_b64 exec, exec, s[6:7]
	s_and_saveexec_b64 s[6:7], s[4:5]
	s_cbranch_execnz .LBB50_1347
	s_branch .LBB50_1348
.LBB50_3397:
	s_movk_i32 s4, 0x80
	v_cmp_eq_u16_sdwa s[12:13], v12, s4 src0_sel:BYTE_0 src1_sel:DWORD
	s_mov_b64 s[4:5], -1
                                        ; implicit-def: $sgpr10
	s_and_saveexec_b64 s[8:9], s[12:13]
; %bb.3398:
	s_mov_b32 s10, 0x7f800001
	s_xor_b64 s[4:5], exec, -1
; %bb.3399:
	s_or_b64 exec, exec, s[8:9]
	s_and_b64 s[4:5], s[4:5], exec
	s_or_saveexec_b64 s[6:7], s[6:7]
	v_mov_b32_e32 v11, s10
	s_xor_b64 exec, exec, s[6:7]
	s_cbranch_execz .LBB50_1350
.LBB50_3400:
	v_mov_b32_e32 v11, 0
	v_cmp_ne_u16_sdwa s[8:9], v12, v11 src0_sel:BYTE_0 src1_sel:DWORD
	s_andn2_b64 s[4:5], s[4:5], exec
	s_and_b64 s[8:9], s[8:9], exec
	s_or_b64 s[4:5], s[4:5], s[8:9]
	s_or_b64 exec, exec, s[6:7]
	s_and_saveexec_b64 s[6:7], s[4:5]
	s_cbranch_execnz .LBB50_1351
	s_branch .LBB50_1352
.LBB50_3401:
	s_movk_i32 s4, 0x80
	v_cmp_eq_u16_sdwa s[12:13], v11, s4 src0_sel:BYTE_0 src1_sel:DWORD
	s_mov_b64 s[4:5], -1
                                        ; implicit-def: $sgpr10
	s_and_saveexec_b64 s[8:9], s[12:13]
; %bb.3402:
	s_mov_b32 s10, 0x7f800001
	s_xor_b64 s[4:5], exec, -1
; %bb.3403:
	s_or_b64 exec, exec, s[8:9]
	s_and_b64 s[4:5], s[4:5], exec
	s_or_saveexec_b64 s[6:7], s[6:7]
	v_mov_b32_e32 v10, s10
	s_xor_b64 exec, exec, s[6:7]
	s_cbranch_execz .LBB50_1354
.LBB50_3404:
	v_mov_b32_e32 v10, 0
	v_cmp_ne_u16_sdwa s[8:9], v11, v10 src0_sel:BYTE_0 src1_sel:DWORD
	s_andn2_b64 s[4:5], s[4:5], exec
	s_and_b64 s[8:9], s[8:9], exec
	s_or_b64 s[4:5], s[4:5], s[8:9]
	s_or_b64 exec, exec, s[6:7]
	s_and_saveexec_b64 s[6:7], s[4:5]
	s_cbranch_execnz .LBB50_1355
	s_branch .LBB50_1356
.LBB50_3405:
	s_movk_i32 s4, 0x80
	v_cmp_eq_u16_sdwa s[12:13], v11, s4 src0_sel:BYTE_0 src1_sel:DWORD
	s_mov_b64 s[4:5], -1
                                        ; implicit-def: $sgpr10
	s_and_saveexec_b64 s[8:9], s[12:13]
; %bb.3406:
	s_mov_b32 s10, 0x7f800001
	s_xor_b64 s[4:5], exec, -1
; %bb.3407:
	s_or_b64 exec, exec, s[8:9]
	s_and_b64 s[4:5], s[4:5], exec
	s_or_saveexec_b64 s[6:7], s[6:7]
	v_mov_b32_e32 v14, s10
	s_xor_b64 exec, exec, s[6:7]
	s_cbranch_execz .LBB50_1358
.LBB50_3408:
	v_mov_b32_e32 v14, 0
	v_cmp_ne_u16_sdwa s[8:9], v11, v14 src0_sel:BYTE_0 src1_sel:DWORD
	s_andn2_b64 s[4:5], s[4:5], exec
	s_and_b64 s[8:9], s[8:9], exec
	s_or_b64 s[4:5], s[4:5], s[8:9]
	s_or_b64 exec, exec, s[6:7]
	s_and_saveexec_b64 s[6:7], s[4:5]
	s_cbranch_execnz .LBB50_1359
	s_branch .LBB50_1360
.LBB50_3409:
	s_movk_i32 s4, 0x80
	v_cmp_eq_u16_e32 vcc, s4, v11
	s_mov_b64 s[4:5], -1
                                        ; implicit-def: $sgpr10
	s_and_saveexec_b64 s[8:9], vcc
; %bb.3410:
	s_mov_b32 s10, 0x7f800001
	s_xor_b64 s[4:5], exec, -1
; %bb.3411:
	s_or_b64 exec, exec, s[8:9]
	s_and_b64 s[4:5], s[4:5], exec
                                        ; implicit-def: $vgpr11
	s_or_saveexec_b64 s[6:7], s[6:7]
	v_mov_b32_e32 v10, s10
	s_xor_b64 exec, exec, s[6:7]
	s_cbranch_execz .LBB50_1362
.LBB50_3412:
	v_cmp_ne_u16_e32 vcc, 0, v11
	s_andn2_b64 s[4:5], s[4:5], exec
	s_and_b64 s[8:9], vcc, exec
	v_mov_b32_e32 v10, 0
	s_or_b64 s[4:5], s[4:5], s[8:9]
	s_or_b64 exec, exec, s[6:7]
	s_and_saveexec_b64 s[6:7], s[4:5]
	s_cbranch_execnz .LBB50_1363
	s_branch .LBB50_1364
.LBB50_3413:
	s_movk_i32 s4, 0x80
	v_cmp_eq_u16_e32 vcc, s4, v11
	s_mov_b64 s[4:5], -1
                                        ; implicit-def: $sgpr10
	s_and_saveexec_b64 s[8:9], vcc
; %bb.3414:
	s_mov_b32 s10, 0x7f800001
	s_xor_b64 s[4:5], exec, -1
; %bb.3415:
	s_or_b64 exec, exec, s[8:9]
	s_and_b64 s[4:5], s[4:5], exec
                                        ; implicit-def: $vgpr11
	s_or_saveexec_b64 s[6:7], s[6:7]
	v_mov_b32_e32 v14, s10
	s_xor_b64 exec, exec, s[6:7]
	s_cbranch_execz .LBB50_1366
.LBB50_3416:
	v_cmp_ne_u16_e32 vcc, 0, v11
	s_andn2_b64 s[4:5], s[4:5], exec
	s_and_b64 s[8:9], vcc, exec
	v_mov_b32_e32 v14, 0
	s_or_b64 s[4:5], s[4:5], s[8:9]
	s_or_b64 exec, exec, s[6:7]
	s_and_saveexec_b64 s[6:7], s[4:5]
	s_cbranch_execnz .LBB50_1367
	s_branch .LBB50_1368
.LBB50_3417:
	s_movk_i32 s4, 0x80
	v_cmp_eq_u16_sdwa s[12:13], v16, s4 src0_sel:BYTE_3 src1_sel:DWORD
	s_mov_b64 s[4:5], -1
                                        ; implicit-def: $sgpr10
	s_and_saveexec_b64 s[8:9], s[12:13]
; %bb.3418:
	s_mov_b32 s10, 0x7f800001
	s_xor_b64 s[4:5], exec, -1
; %bb.3419:
	s_or_b64 exec, exec, s[8:9]
	s_and_b64 s[4:5], s[4:5], exec
	s_or_saveexec_b64 s[6:7], s[6:7]
	v_mov_b32_e32 v10, s10
	s_xor_b64 exec, exec, s[6:7]
	s_cbranch_execz .LBB50_1370
.LBB50_3420:
	v_mov_b32_e32 v10, 0
	v_cmp_ne_u16_sdwa s[8:9], v16, v10 src0_sel:BYTE_3 src1_sel:DWORD
	s_andn2_b64 s[4:5], s[4:5], exec
	s_and_b64 s[8:9], s[8:9], exec
	s_or_b64 s[4:5], s[4:5], s[8:9]
	s_or_b64 exec, exec, s[6:7]
	s_and_saveexec_b64 s[6:7], s[4:5]
	s_cbranch_execnz .LBB50_1371
	s_branch .LBB50_1372
.LBB50_3421:
	s_movk_i32 s4, 0x80
	v_cmp_eq_u16_sdwa s[12:13], v12, s4 src0_sel:BYTE_3 src1_sel:DWORD
	s_mov_b64 s[4:5], -1
                                        ; implicit-def: $sgpr10
	s_and_saveexec_b64 s[8:9], s[12:13]
; %bb.3422:
	s_mov_b32 s10, 0x7f800001
	s_xor_b64 s[4:5], exec, -1
; %bb.3423:
	s_or_b64 exec, exec, s[8:9]
	s_and_b64 s[4:5], s[4:5], exec
	s_or_saveexec_b64 s[6:7], s[6:7]
	v_mov_b32_e32 v11, s10
	s_xor_b64 exec, exec, s[6:7]
	s_cbranch_execz .LBB50_1374
.LBB50_3424:
	v_mov_b32_e32 v11, 0
	v_cmp_ne_u16_sdwa s[8:9], v12, v11 src0_sel:BYTE_3 src1_sel:DWORD
	s_andn2_b64 s[4:5], s[4:5], exec
	s_and_b64 s[8:9], s[8:9], exec
	s_or_b64 s[4:5], s[4:5], s[8:9]
	s_or_b64 exec, exec, s[6:7]
	s_and_saveexec_b64 s[6:7], s[4:5]
	s_cbranch_execnz .LBB50_1375
	s_branch .LBB50_1376
.LBB50_3425:
	s_movk_i32 s4, 0x80
	v_cmp_eq_u16_sdwa s[12:13], v17, s4 src0_sel:BYTE_0 src1_sel:DWORD
	s_mov_b64 s[4:5], -1
                                        ; implicit-def: $sgpr10
	s_and_saveexec_b64 s[8:9], s[12:13]
; %bb.3426:
	s_mov_b32 s10, 0x7f800001
	s_xor_b64 s[4:5], exec, -1
; %bb.3427:
	s_or_b64 exec, exec, s[8:9]
	s_and_b64 s[4:5], s[4:5], exec
	s_or_saveexec_b64 s[6:7], s[6:7]
	v_mov_b32_e32 v10, s10
	s_xor_b64 exec, exec, s[6:7]
	s_cbranch_execz .LBB50_1378
.LBB50_3428:
	v_mov_b32_e32 v10, 0
	v_cmp_ne_u16_sdwa s[8:9], v17, v10 src0_sel:BYTE_0 src1_sel:DWORD
	s_andn2_b64 s[4:5], s[4:5], exec
	s_and_b64 s[8:9], s[8:9], exec
	s_or_b64 s[4:5], s[4:5], s[8:9]
	s_or_b64 exec, exec, s[6:7]
	s_and_saveexec_b64 s[6:7], s[4:5]
	s_cbranch_execnz .LBB50_1379
	s_branch .LBB50_1380
.LBB50_3429:
	s_movk_i32 s4, 0x80
	v_cmp_eq_u16_sdwa s[12:13], v13, s4 src0_sel:BYTE_0 src1_sel:DWORD
	s_mov_b64 s[4:5], -1
                                        ; implicit-def: $sgpr10
	s_and_saveexec_b64 s[8:9], s[12:13]
; %bb.3430:
	s_mov_b32 s10, 0x7f800001
	s_xor_b64 s[4:5], exec, -1
; %bb.3431:
	s_or_b64 exec, exec, s[8:9]
	s_and_b64 s[4:5], s[4:5], exec
	s_or_saveexec_b64 s[6:7], s[6:7]
	v_mov_b32_e32 v11, s10
	s_xor_b64 exec, exec, s[6:7]
	s_cbranch_execz .LBB50_1382
.LBB50_3432:
	v_mov_b32_e32 v11, 0
	v_cmp_ne_u16_sdwa s[8:9], v13, v11 src0_sel:BYTE_0 src1_sel:DWORD
	s_andn2_b64 s[4:5], s[4:5], exec
	s_and_b64 s[8:9], s[8:9], exec
	s_or_b64 s[4:5], s[4:5], s[8:9]
	s_or_b64 exec, exec, s[6:7]
	s_and_saveexec_b64 s[6:7], s[4:5]
	s_cbranch_execnz .LBB50_1383
	s_branch .LBB50_1384
.LBB50_3433:
	s_movk_i32 s4, 0x80
	v_cmp_eq_u16_sdwa s[12:13], v11, s4 src0_sel:BYTE_0 src1_sel:DWORD
	s_mov_b64 s[4:5], -1
                                        ; implicit-def: $sgpr10
	s_and_saveexec_b64 s[8:9], s[12:13]
; %bb.3434:
	s_mov_b32 s10, 0x7f800001
	s_xor_b64 s[4:5], exec, -1
; %bb.3435:
	s_or_b64 exec, exec, s[8:9]
	s_and_b64 s[4:5], s[4:5], exec
	s_or_saveexec_b64 s[6:7], s[6:7]
	v_mov_b32_e32 v10, s10
	s_xor_b64 exec, exec, s[6:7]
	s_cbranch_execz .LBB50_1386
.LBB50_3436:
	v_mov_b32_e32 v10, 0
	v_cmp_ne_u16_sdwa s[8:9], v11, v10 src0_sel:BYTE_0 src1_sel:DWORD
	s_andn2_b64 s[4:5], s[4:5], exec
	s_and_b64 s[8:9], s[8:9], exec
	s_or_b64 s[4:5], s[4:5], s[8:9]
	s_or_b64 exec, exec, s[6:7]
	s_and_saveexec_b64 s[6:7], s[4:5]
	s_cbranch_execnz .LBB50_1387
	s_branch .LBB50_1388
.LBB50_3437:
	s_movk_i32 s4, 0x80
	v_cmp_eq_u16_sdwa s[12:13], v11, s4 src0_sel:BYTE_0 src1_sel:DWORD
	s_mov_b64 s[4:5], -1
                                        ; implicit-def: $sgpr10
	s_and_saveexec_b64 s[8:9], s[12:13]
; %bb.3438:
	s_mov_b32 s10, 0x7f800001
	s_xor_b64 s[4:5], exec, -1
; %bb.3439:
	s_or_b64 exec, exec, s[8:9]
	s_and_b64 s[4:5], s[4:5], exec
	s_or_saveexec_b64 s[6:7], s[6:7]
	v_mov_b32_e32 v12, s10
	s_xor_b64 exec, exec, s[6:7]
	s_cbranch_execz .LBB50_1390
.LBB50_3440:
	v_mov_b32_e32 v12, 0
	v_cmp_ne_u16_sdwa s[8:9], v11, v12 src0_sel:BYTE_0 src1_sel:DWORD
	s_andn2_b64 s[4:5], s[4:5], exec
	s_and_b64 s[8:9], s[8:9], exec
	s_or_b64 s[4:5], s[4:5], s[8:9]
	s_or_b64 exec, exec, s[6:7]
	s_and_saveexec_b64 s[6:7], s[4:5]
	s_cbranch_execnz .LBB50_1391
	s_branch .LBB50_1392
.LBB50_3441:
	s_movk_i32 s4, 0x80
	v_cmp_eq_u16_e32 vcc, s4, v11
	s_mov_b64 s[4:5], -1
                                        ; implicit-def: $sgpr10
	s_and_saveexec_b64 s[8:9], vcc
; %bb.3442:
	s_mov_b32 s10, 0x7f800001
	s_xor_b64 s[4:5], exec, -1
; %bb.3443:
	s_or_b64 exec, exec, s[8:9]
	s_and_b64 s[4:5], s[4:5], exec
                                        ; implicit-def: $vgpr11
	s_or_saveexec_b64 s[6:7], s[6:7]
	v_mov_b32_e32 v10, s10
	s_xor_b64 exec, exec, s[6:7]
	s_cbranch_execz .LBB50_1394
.LBB50_3444:
	v_cmp_ne_u16_e32 vcc, 0, v11
	s_andn2_b64 s[4:5], s[4:5], exec
	s_and_b64 s[8:9], vcc, exec
	v_mov_b32_e32 v10, 0
	s_or_b64 s[4:5], s[4:5], s[8:9]
	s_or_b64 exec, exec, s[6:7]
	s_and_saveexec_b64 s[6:7], s[4:5]
	s_cbranch_execnz .LBB50_1395
	s_branch .LBB50_1396
.LBB50_3445:
	s_movk_i32 s4, 0x80
	v_cmp_eq_u16_e32 vcc, s4, v11
	s_mov_b64 s[4:5], -1
                                        ; implicit-def: $sgpr10
	s_and_saveexec_b64 s[8:9], vcc
; %bb.3446:
	s_mov_b32 s10, 0x7f800001
	s_xor_b64 s[4:5], exec, -1
; %bb.3447:
	s_or_b64 exec, exec, s[8:9]
	s_and_b64 s[4:5], s[4:5], exec
                                        ; implicit-def: $vgpr11
	s_or_saveexec_b64 s[6:7], s[6:7]
	v_mov_b32_e32 v12, s10
	s_xor_b64 exec, exec, s[6:7]
	s_cbranch_execz .LBB50_1398
.LBB50_3448:
	v_cmp_ne_u16_e32 vcc, 0, v11
	s_andn2_b64 s[4:5], s[4:5], exec
	s_and_b64 s[8:9], vcc, exec
	v_mov_b32_e32 v12, 0
	s_or_b64 s[4:5], s[4:5], s[8:9]
	s_or_b64 exec, exec, s[6:7]
	s_and_saveexec_b64 s[6:7], s[4:5]
	s_cbranch_execnz .LBB50_1399
	s_branch .LBB50_1400
.LBB50_3449:
	s_movk_i32 s4, 0x80
	v_cmp_eq_u16_sdwa s[12:13], v17, s4 src0_sel:BYTE_3 src1_sel:DWORD
	s_mov_b64 s[4:5], -1
                                        ; implicit-def: $sgpr10
	s_and_saveexec_b64 s[8:9], s[12:13]
; %bb.3450:
	s_mov_b32 s10, 0x7f800001
	s_xor_b64 s[4:5], exec, -1
; %bb.3451:
	s_or_b64 exec, exec, s[8:9]
	s_and_b64 s[4:5], s[4:5], exec
	s_or_saveexec_b64 s[6:7], s[6:7]
	v_mov_b32_e32 v10, s10
	s_xor_b64 exec, exec, s[6:7]
	s_cbranch_execz .LBB50_1402
.LBB50_3452:
	v_mov_b32_e32 v10, 0
	v_cmp_ne_u16_sdwa s[8:9], v17, v10 src0_sel:BYTE_3 src1_sel:DWORD
	s_andn2_b64 s[4:5], s[4:5], exec
	s_and_b64 s[8:9], s[8:9], exec
	s_or_b64 s[4:5], s[4:5], s[8:9]
	s_or_b64 exec, exec, s[6:7]
	s_and_saveexec_b64 s[6:7], s[4:5]
	s_cbranch_execnz .LBB50_1403
	s_branch .LBB50_1404
.LBB50_3453:
	s_movk_i32 s4, 0x80
	v_cmp_eq_u16_sdwa s[12:13], v13, s4 src0_sel:BYTE_3 src1_sel:DWORD
	s_mov_b64 s[4:5], -1
                                        ; implicit-def: $sgpr10
	s_and_saveexec_b64 s[8:9], s[12:13]
; %bb.3454:
	s_mov_b32 s10, 0x7f800001
	s_xor_b64 s[4:5], exec, -1
; %bb.3455:
	s_or_b64 exec, exec, s[8:9]
	s_and_b64 s[4:5], s[4:5], exec
	s_or_saveexec_b64 s[6:7], s[6:7]
	v_mov_b32_e32 v11, s10
	s_xor_b64 exec, exec, s[6:7]
	s_cbranch_execz .LBB50_1406
.LBB50_3456:
	v_mov_b32_e32 v11, 0
	v_cmp_ne_u16_sdwa s[8:9], v13, v11 src0_sel:BYTE_3 src1_sel:DWORD
	s_andn2_b64 s[4:5], s[4:5], exec
	s_and_b64 s[8:9], s[8:9], exec
	s_or_b64 s[4:5], s[4:5], s[8:9]
	s_or_b64 exec, exec, s[6:7]
	s_and_saveexec_b64 s[6:7], s[4:5]
	s_cbranch_execnz .LBB50_1407
	s_branch .LBB50_1408
.LBB50_3457:
	s_movk_i32 s4, 0x80
	v_cmp_eq_u16_sdwa s[12:13], v6, s4 src0_sel:BYTE_0 src1_sel:DWORD
	s_mov_b64 s[4:5], -1
                                        ; implicit-def: $sgpr10
	s_and_saveexec_b64 s[8:9], s[12:13]
; %bb.3458:
	s_mov_b32 s10, 0x7f800001
	s_xor_b64 s[4:5], exec, -1
; %bb.3459:
	s_or_b64 exec, exec, s[8:9]
	s_and_b64 s[4:5], s[4:5], exec
	s_or_saveexec_b64 s[6:7], s[6:7]
	v_mov_b32_e32 v10, s10
	s_xor_b64 exec, exec, s[6:7]
	s_cbranch_execz .LBB50_1410
.LBB50_3460:
	v_mov_b32_e32 v10, 0
	v_cmp_ne_u16_sdwa s[8:9], v6, v10 src0_sel:BYTE_0 src1_sel:DWORD
	s_andn2_b64 s[4:5], s[4:5], exec
	s_and_b64 s[8:9], s[8:9], exec
	s_or_b64 s[4:5], s[4:5], s[8:9]
	s_or_b64 exec, exec, s[6:7]
	s_and_saveexec_b64 s[6:7], s[4:5]
	s_cbranch_execnz .LBB50_1411
	s_branch .LBB50_1412
.LBB50_3461:
	s_movk_i32 s4, 0x80
	v_cmp_eq_u16_sdwa s[12:13], v2, s4 src0_sel:BYTE_0 src1_sel:DWORD
	s_mov_b64 s[4:5], -1
                                        ; implicit-def: $sgpr10
	s_and_saveexec_b64 s[8:9], s[12:13]
; %bb.3462:
	s_mov_b32 s10, 0x7f800001
	s_xor_b64 s[4:5], exec, -1
; %bb.3463:
	s_or_b64 exec, exec, s[8:9]
	s_and_b64 s[4:5], s[4:5], exec
	s_or_saveexec_b64 s[6:7], s[6:7]
	v_mov_b32_e32 v11, s10
	s_xor_b64 exec, exec, s[6:7]
	s_cbranch_execz .LBB50_1414
.LBB50_3464:
	v_mov_b32_e32 v11, 0
	v_cmp_ne_u16_sdwa s[8:9], v2, v11 src0_sel:BYTE_0 src1_sel:DWORD
	s_andn2_b64 s[4:5], s[4:5], exec
	s_and_b64 s[8:9], s[8:9], exec
	s_or_b64 s[4:5], s[4:5], s[8:9]
	s_or_b64 exec, exec, s[6:7]
	s_and_saveexec_b64 s[6:7], s[4:5]
	s_cbranch_execnz .LBB50_1415
	s_branch .LBB50_1416
.LBB50_3465:
	s_movk_i32 s4, 0x80
	v_cmp_eq_u16_sdwa s[12:13], v11, s4 src0_sel:BYTE_0 src1_sel:DWORD
	s_mov_b64 s[4:5], -1
                                        ; implicit-def: $sgpr10
	s_and_saveexec_b64 s[8:9], s[12:13]
; %bb.3466:
	s_mov_b32 s10, 0x7f800001
	s_xor_b64 s[4:5], exec, -1
; %bb.3467:
	s_or_b64 exec, exec, s[8:9]
	s_and_b64 s[4:5], s[4:5], exec
	s_or_saveexec_b64 s[6:7], s[6:7]
	v_mov_b32_e32 v10, s10
	s_xor_b64 exec, exec, s[6:7]
	s_cbranch_execz .LBB50_1418
.LBB50_3468:
	v_mov_b32_e32 v10, 0
	v_cmp_ne_u16_sdwa s[8:9], v11, v10 src0_sel:BYTE_0 src1_sel:DWORD
	s_andn2_b64 s[4:5], s[4:5], exec
	s_and_b64 s[8:9], s[8:9], exec
	s_or_b64 s[4:5], s[4:5], s[8:9]
	s_or_b64 exec, exec, s[6:7]
	s_and_saveexec_b64 s[6:7], s[4:5]
	s_cbranch_execnz .LBB50_1419
	s_branch .LBB50_1420
.LBB50_3469:
	s_movk_i32 s4, 0x80
	v_cmp_eq_u16_sdwa s[12:13], v11, s4 src0_sel:BYTE_0 src1_sel:DWORD
	s_mov_b64 s[4:5], -1
                                        ; implicit-def: $sgpr10
	s_and_saveexec_b64 s[8:9], s[12:13]
; %bb.3470:
	s_mov_b32 s10, 0x7f800001
	s_xor_b64 s[4:5], exec, -1
; %bb.3471:
	s_or_b64 exec, exec, s[8:9]
	s_and_b64 s[4:5], s[4:5], exec
	s_or_saveexec_b64 s[6:7], s[6:7]
	v_mov_b32_e32 v12, s10
	s_xor_b64 exec, exec, s[6:7]
	s_cbranch_execz .LBB50_1422
.LBB50_3472:
	v_mov_b32_e32 v12, 0
	v_cmp_ne_u16_sdwa s[8:9], v11, v12 src0_sel:BYTE_0 src1_sel:DWORD
	s_andn2_b64 s[4:5], s[4:5], exec
	s_and_b64 s[8:9], s[8:9], exec
	s_or_b64 s[4:5], s[4:5], s[8:9]
	s_or_b64 exec, exec, s[6:7]
	s_and_saveexec_b64 s[6:7], s[4:5]
	s_cbranch_execnz .LBB50_1423
	s_branch .LBB50_1424
.LBB50_3473:
	s_movk_i32 s4, 0x80
	v_cmp_eq_u16_e32 vcc, s4, v11
	s_mov_b64 s[4:5], -1
                                        ; implicit-def: $sgpr10
	s_and_saveexec_b64 s[8:9], vcc
; %bb.3474:
	s_mov_b32 s10, 0x7f800001
	s_xor_b64 s[4:5], exec, -1
; %bb.3475:
	s_or_b64 exec, exec, s[8:9]
	s_and_b64 s[4:5], s[4:5], exec
                                        ; implicit-def: $vgpr11
	s_or_saveexec_b64 s[6:7], s[6:7]
	v_mov_b32_e32 v10, s10
	s_xor_b64 exec, exec, s[6:7]
	s_cbranch_execz .LBB50_1426
.LBB50_3476:
	v_cmp_ne_u16_e32 vcc, 0, v11
	s_andn2_b64 s[4:5], s[4:5], exec
	s_and_b64 s[8:9], vcc, exec
	v_mov_b32_e32 v10, 0
	s_or_b64 s[4:5], s[4:5], s[8:9]
	s_or_b64 exec, exec, s[6:7]
	s_and_saveexec_b64 s[6:7], s[4:5]
	s_cbranch_execnz .LBB50_1427
	s_branch .LBB50_1428
.LBB50_3477:
	s_movk_i32 s4, 0x80
	v_cmp_eq_u16_e32 vcc, s4, v11
	s_mov_b64 s[4:5], -1
                                        ; implicit-def: $sgpr10
	s_and_saveexec_b64 s[8:9], vcc
; %bb.3478:
	s_mov_b32 s10, 0x7f800001
	s_xor_b64 s[4:5], exec, -1
; %bb.3479:
	s_or_b64 exec, exec, s[8:9]
	s_and_b64 s[4:5], s[4:5], exec
                                        ; implicit-def: $vgpr11
	s_or_saveexec_b64 s[6:7], s[6:7]
	v_mov_b32_e32 v12, s10
	s_xor_b64 exec, exec, s[6:7]
	s_cbranch_execz .LBB50_1430
.LBB50_3480:
	v_cmp_ne_u16_e32 vcc, 0, v11
	s_andn2_b64 s[4:5], s[4:5], exec
	s_and_b64 s[8:9], vcc, exec
	v_mov_b32_e32 v12, 0
	s_or_b64 s[4:5], s[4:5], s[8:9]
	s_or_b64 exec, exec, s[6:7]
	s_and_saveexec_b64 s[6:7], s[4:5]
	s_cbranch_execnz .LBB50_1431
	s_branch .LBB50_1432
.LBB50_3481:
	s_movk_i32 s4, 0x80
	v_cmp_eq_u16_sdwa s[12:13], v6, s4 src0_sel:BYTE_3 src1_sel:DWORD
	s_mov_b64 s[4:5], -1
                                        ; implicit-def: $sgpr10
	s_and_saveexec_b64 s[8:9], s[12:13]
; %bb.3482:
	s_mov_b32 s10, 0x7f800001
	s_xor_b64 s[4:5], exec, -1
; %bb.3483:
	s_or_b64 exec, exec, s[8:9]
	s_and_b64 s[4:5], s[4:5], exec
	s_or_saveexec_b64 s[6:7], s[6:7]
	v_mov_b32_e32 v10, s10
	s_xor_b64 exec, exec, s[6:7]
	s_cbranch_execz .LBB50_1434
.LBB50_3484:
	v_mov_b32_e32 v10, 0
	v_cmp_ne_u16_sdwa s[8:9], v6, v10 src0_sel:BYTE_3 src1_sel:DWORD
	s_andn2_b64 s[4:5], s[4:5], exec
	s_and_b64 s[8:9], s[8:9], exec
	s_or_b64 s[4:5], s[4:5], s[8:9]
	s_or_b64 exec, exec, s[6:7]
	s_and_saveexec_b64 s[6:7], s[4:5]
	s_cbranch_execnz .LBB50_1435
	s_branch .LBB50_1436
.LBB50_3485:
	s_movk_i32 s4, 0x80
	v_cmp_eq_u16_sdwa s[12:13], v2, s4 src0_sel:BYTE_3 src1_sel:DWORD
	s_mov_b64 s[4:5], -1
                                        ; implicit-def: $sgpr10
	s_and_saveexec_b64 s[8:9], s[12:13]
; %bb.3486:
	s_mov_b32 s10, 0x7f800001
	s_xor_b64 s[4:5], exec, -1
; %bb.3487:
	s_or_b64 exec, exec, s[8:9]
	s_and_b64 s[4:5], s[4:5], exec
	s_or_saveexec_b64 s[6:7], s[6:7]
	v_mov_b32_e32 v6, s10
	s_xor_b64 exec, exec, s[6:7]
	s_cbranch_execz .LBB50_1438
.LBB50_3488:
	v_mov_b32_e32 v6, 0
	v_cmp_ne_u16_sdwa s[8:9], v2, v6 src0_sel:BYTE_3 src1_sel:DWORD
	s_andn2_b64 s[4:5], s[4:5], exec
	s_and_b64 s[8:9], s[8:9], exec
	s_or_b64 s[4:5], s[4:5], s[8:9]
	s_or_b64 exec, exec, s[6:7]
	s_and_saveexec_b64 s[6:7], s[4:5]
	s_cbranch_execnz .LBB50_1439
	s_branch .LBB50_1440
.LBB50_3489:
	s_movk_i32 s4, 0x80
	v_cmp_eq_u16_sdwa s[12:13], v7, s4 src0_sel:BYTE_0 src1_sel:DWORD
	s_mov_b64 s[4:5], -1
                                        ; implicit-def: $sgpr10
	s_and_saveexec_b64 s[8:9], s[12:13]
; %bb.3490:
	s_mov_b32 s10, 0x7f800001
	s_xor_b64 s[4:5], exec, -1
; %bb.3491:
	s_or_b64 exec, exec, s[8:9]
	s_and_b64 s[4:5], s[4:5], exec
	s_or_saveexec_b64 s[6:7], s[6:7]
	v_mov_b32_e32 v2, s10
	s_xor_b64 exec, exec, s[6:7]
	s_cbranch_execz .LBB50_1442
.LBB50_3492:
	v_mov_b32_e32 v2, 0
	v_cmp_ne_u16_sdwa s[8:9], v7, v2 src0_sel:BYTE_0 src1_sel:DWORD
	s_andn2_b64 s[4:5], s[4:5], exec
	s_and_b64 s[8:9], s[8:9], exec
	s_or_b64 s[4:5], s[4:5], s[8:9]
	s_or_b64 exec, exec, s[6:7]
	s_and_saveexec_b64 s[6:7], s[4:5]
	s_cbranch_execnz .LBB50_1443
	s_branch .LBB50_1444
.LBB50_3493:
	s_movk_i32 s4, 0x80
	v_cmp_eq_u16_sdwa s[12:13], v3, s4 src0_sel:BYTE_0 src1_sel:DWORD
	s_mov_b64 s[4:5], -1
                                        ; implicit-def: $sgpr10
	s_and_saveexec_b64 s[8:9], s[12:13]
; %bb.3494:
	s_mov_b32 s10, 0x7f800001
	s_xor_b64 s[4:5], exec, -1
; %bb.3495:
	s_or_b64 exec, exec, s[8:9]
	s_and_b64 s[4:5], s[4:5], exec
	s_or_saveexec_b64 s[6:7], s[6:7]
	v_mov_b32_e32 v6, s10
	s_xor_b64 exec, exec, s[6:7]
	s_cbranch_execz .LBB50_1446
.LBB50_3496:
	v_mov_b32_e32 v6, 0
	v_cmp_ne_u16_sdwa s[8:9], v3, v6 src0_sel:BYTE_0 src1_sel:DWORD
	s_andn2_b64 s[4:5], s[4:5], exec
	s_and_b64 s[8:9], s[8:9], exec
	s_or_b64 s[4:5], s[4:5], s[8:9]
	s_or_b64 exec, exec, s[6:7]
	s_and_saveexec_b64 s[6:7], s[4:5]
	s_cbranch_execnz .LBB50_1447
	s_branch .LBB50_1448
.LBB50_3497:
	s_movk_i32 s4, 0x80
	v_cmp_eq_u16_sdwa s[12:13], v6, s4 src0_sel:BYTE_0 src1_sel:DWORD
	s_mov_b64 s[4:5], -1
                                        ; implicit-def: $sgpr10
	s_and_saveexec_b64 s[8:9], s[12:13]
; %bb.3498:
	s_mov_b32 s10, 0x7f800001
	s_xor_b64 s[4:5], exec, -1
; %bb.3499:
	s_or_b64 exec, exec, s[8:9]
	s_and_b64 s[4:5], s[4:5], exec
	s_or_saveexec_b64 s[6:7], s[6:7]
	v_mov_b32_e32 v2, s10
	s_xor_b64 exec, exec, s[6:7]
	s_cbranch_execz .LBB50_1450
.LBB50_3500:
	v_mov_b32_e32 v2, 0
	v_cmp_ne_u16_sdwa s[8:9], v6, v2 src0_sel:BYTE_0 src1_sel:DWORD
	s_andn2_b64 s[4:5], s[4:5], exec
	s_and_b64 s[8:9], s[8:9], exec
	s_or_b64 s[4:5], s[4:5], s[8:9]
	s_or_b64 exec, exec, s[6:7]
	s_and_saveexec_b64 s[6:7], s[4:5]
	s_cbranch_execnz .LBB50_1451
	s_branch .LBB50_1452
.LBB50_3501:
	s_movk_i32 s4, 0x80
	v_cmp_eq_u16_sdwa s[12:13], v6, s4 src0_sel:BYTE_0 src1_sel:DWORD
	s_mov_b64 s[4:5], -1
                                        ; implicit-def: $sgpr10
	s_and_saveexec_b64 s[8:9], s[12:13]
; %bb.3502:
	s_mov_b32 s10, 0x7f800001
	s_xor_b64 s[4:5], exec, -1
; %bb.3503:
	s_or_b64 exec, exec, s[8:9]
	s_and_b64 s[4:5], s[4:5], exec
	s_or_saveexec_b64 s[6:7], s[6:7]
	v_mov_b32_e32 v10, s10
	s_xor_b64 exec, exec, s[6:7]
	s_cbranch_execz .LBB50_1454
.LBB50_3504:
	v_mov_b32_e32 v10, 0
	v_cmp_ne_u16_sdwa s[8:9], v6, v10 src0_sel:BYTE_0 src1_sel:DWORD
	s_andn2_b64 s[4:5], s[4:5], exec
	s_and_b64 s[8:9], s[8:9], exec
	s_or_b64 s[4:5], s[4:5], s[8:9]
	s_or_b64 exec, exec, s[6:7]
	s_and_saveexec_b64 s[6:7], s[4:5]
	s_cbranch_execnz .LBB50_1455
	s_branch .LBB50_1456
.LBB50_3505:
	s_movk_i32 s4, 0x80
	v_cmp_eq_u16_e32 vcc, s4, v6
	s_mov_b64 s[4:5], -1
                                        ; implicit-def: $sgpr10
	s_and_saveexec_b64 s[8:9], vcc
; %bb.3506:
	s_mov_b32 s10, 0x7f800001
	s_xor_b64 s[4:5], exec, -1
; %bb.3507:
	s_or_b64 exec, exec, s[8:9]
	s_and_b64 s[4:5], s[4:5], exec
                                        ; implicit-def: $vgpr6
	s_or_saveexec_b64 s[6:7], s[6:7]
	v_mov_b32_e32 v2, s10
	s_xor_b64 exec, exec, s[6:7]
	s_cbranch_execz .LBB50_1458
.LBB50_3508:
	v_cmp_ne_u16_e32 vcc, 0, v6
	s_andn2_b64 s[4:5], s[4:5], exec
	s_and_b64 s[8:9], vcc, exec
	v_mov_b32_e32 v2, 0
	s_or_b64 s[4:5], s[4:5], s[8:9]
	s_or_b64 exec, exec, s[6:7]
	s_and_saveexec_b64 s[6:7], s[4:5]
	s_cbranch_execnz .LBB50_1459
	s_branch .LBB50_1460
.LBB50_3509:
	s_movk_i32 s4, 0x80
	v_cmp_eq_u16_e32 vcc, s4, v6
	s_mov_b64 s[4:5], -1
                                        ; implicit-def: $sgpr10
	s_and_saveexec_b64 s[8:9], vcc
; %bb.3510:
	s_mov_b32 s10, 0x7f800001
	s_xor_b64 s[4:5], exec, -1
; %bb.3511:
	s_or_b64 exec, exec, s[8:9]
	s_and_b64 s[4:5], s[4:5], exec
                                        ; implicit-def: $vgpr6
	s_or_saveexec_b64 s[6:7], s[6:7]
	v_mov_b32_e32 v10, s10
	s_xor_b64 exec, exec, s[6:7]
	s_cbranch_execz .LBB50_1462
.LBB50_3512:
	v_cmp_ne_u16_e32 vcc, 0, v6
	s_andn2_b64 s[4:5], s[4:5], exec
	s_and_b64 s[8:9], vcc, exec
	v_mov_b32_e32 v10, 0
	s_or_b64 s[4:5], s[4:5], s[8:9]
	s_or_b64 exec, exec, s[6:7]
	s_and_saveexec_b64 s[6:7], s[4:5]
	s_cbranch_execnz .LBB50_1463
	s_branch .LBB50_1464
.LBB50_3513:
	s_movk_i32 s4, 0x80
	v_cmp_eq_u16_sdwa s[12:13], v7, s4 src0_sel:BYTE_3 src1_sel:DWORD
	s_mov_b64 s[4:5], -1
                                        ; implicit-def: $sgpr10
	s_and_saveexec_b64 s[8:9], s[12:13]
; %bb.3514:
	s_mov_b32 s10, 0x7f800001
	s_xor_b64 s[4:5], exec, -1
; %bb.3515:
	s_or_b64 exec, exec, s[8:9]
	s_and_b64 s[4:5], s[4:5], exec
	s_or_saveexec_b64 s[6:7], s[6:7]
	v_mov_b32_e32 v2, s10
	s_xor_b64 exec, exec, s[6:7]
	s_cbranch_execz .LBB50_1466
.LBB50_3516:
	v_mov_b32_e32 v2, 0
	v_cmp_ne_u16_sdwa s[8:9], v7, v2 src0_sel:BYTE_3 src1_sel:DWORD
	s_andn2_b64 s[4:5], s[4:5], exec
	s_and_b64 s[8:9], s[8:9], exec
	s_or_b64 s[4:5], s[4:5], s[8:9]
	s_or_b64 exec, exec, s[6:7]
	s_and_saveexec_b64 s[6:7], s[4:5]
	s_cbranch_execnz .LBB50_1467
	s_branch .LBB50_1468
.LBB50_3517:
	s_movk_i32 s4, 0x80
	v_cmp_eq_u16_sdwa s[12:13], v3, s4 src0_sel:BYTE_3 src1_sel:DWORD
	s_mov_b64 s[4:5], -1
                                        ; implicit-def: $sgpr10
	s_and_saveexec_b64 s[8:9], s[12:13]
; %bb.3518:
	s_mov_b32 s10, 0x7f800001
	s_xor_b64 s[4:5], exec, -1
; %bb.3519:
	s_or_b64 exec, exec, s[8:9]
	s_and_b64 s[4:5], s[4:5], exec
	s_or_saveexec_b64 s[6:7], s[6:7]
	v_mov_b32_e32 v6, s10
	s_xor_b64 exec, exec, s[6:7]
	s_cbranch_execz .LBB50_1470
.LBB50_3520:
	v_mov_b32_e32 v6, 0
	v_cmp_ne_u16_sdwa s[8:9], v3, v6 src0_sel:BYTE_3 src1_sel:DWORD
	s_andn2_b64 s[4:5], s[4:5], exec
	s_and_b64 s[8:9], s[8:9], exec
	s_or_b64 s[4:5], s[4:5], s[8:9]
	s_or_b64 exec, exec, s[6:7]
	s_and_saveexec_b64 s[6:7], s[4:5]
	s_cbranch_execnz .LBB50_1471
	s_branch .LBB50_1472
.LBB50_3521:
	s_movk_i32 s4, 0x80
	v_cmp_eq_u16_sdwa s[12:13], v8, s4 src0_sel:BYTE_0 src1_sel:DWORD
	s_mov_b64 s[4:5], -1
                                        ; implicit-def: $sgpr10
	s_and_saveexec_b64 s[8:9], s[12:13]
; %bb.3522:
	s_mov_b32 s10, 0x7f800001
	s_xor_b64 s[4:5], exec, -1
; %bb.3523:
	s_or_b64 exec, exec, s[8:9]
	s_and_b64 s[4:5], s[4:5], exec
	s_or_saveexec_b64 s[6:7], s[6:7]
	v_mov_b32_e32 v2, s10
	s_xor_b64 exec, exec, s[6:7]
	s_cbranch_execz .LBB50_1474
.LBB50_3524:
	v_mov_b32_e32 v2, 0
	v_cmp_ne_u16_sdwa s[8:9], v8, v2 src0_sel:BYTE_0 src1_sel:DWORD
	s_andn2_b64 s[4:5], s[4:5], exec
	s_and_b64 s[8:9], s[8:9], exec
	s_or_b64 s[4:5], s[4:5], s[8:9]
	s_or_b64 exec, exec, s[6:7]
	s_and_saveexec_b64 s[6:7], s[4:5]
	s_cbranch_execnz .LBB50_1475
	s_branch .LBB50_1476
.LBB50_3525:
	s_movk_i32 s4, 0x80
	v_cmp_eq_u16_sdwa s[12:13], v4, s4 src0_sel:BYTE_0 src1_sel:DWORD
	s_mov_b64 s[4:5], -1
                                        ; implicit-def: $sgpr10
	s_and_saveexec_b64 s[8:9], s[12:13]
; %bb.3526:
	s_mov_b32 s10, 0x7f800001
	s_xor_b64 s[4:5], exec, -1
; %bb.3527:
	s_or_b64 exec, exec, s[8:9]
	s_and_b64 s[4:5], s[4:5], exec
	s_or_saveexec_b64 s[6:7], s[6:7]
	v_mov_b32_e32 v3, s10
	s_xor_b64 exec, exec, s[6:7]
	s_cbranch_execz .LBB50_1478
.LBB50_3528:
	v_mov_b32_e32 v3, 0
	v_cmp_ne_u16_sdwa s[8:9], v4, v3 src0_sel:BYTE_0 src1_sel:DWORD
	s_andn2_b64 s[4:5], s[4:5], exec
	s_and_b64 s[8:9], s[8:9], exec
	s_or_b64 s[4:5], s[4:5], s[8:9]
	s_or_b64 exec, exec, s[6:7]
	s_and_saveexec_b64 s[6:7], s[4:5]
	s_cbranch_execnz .LBB50_1479
	s_branch .LBB50_1480
.LBB50_3529:
	s_movk_i32 s4, 0x80
	v_cmp_eq_u16_sdwa s[12:13], v3, s4 src0_sel:BYTE_0 src1_sel:DWORD
	s_mov_b64 s[4:5], -1
                                        ; implicit-def: $sgpr10
	s_and_saveexec_b64 s[8:9], s[12:13]
; %bb.3530:
	s_mov_b32 s10, 0x7f800001
	s_xor_b64 s[4:5], exec, -1
; %bb.3531:
	s_or_b64 exec, exec, s[8:9]
	s_and_b64 s[4:5], s[4:5], exec
	s_or_saveexec_b64 s[6:7], s[6:7]
	v_mov_b32_e32 v2, s10
	s_xor_b64 exec, exec, s[6:7]
	s_cbranch_execz .LBB50_1482
.LBB50_3532:
	v_mov_b32_e32 v2, 0
	v_cmp_ne_u16_sdwa s[8:9], v3, v2 src0_sel:BYTE_0 src1_sel:DWORD
	s_andn2_b64 s[4:5], s[4:5], exec
	s_and_b64 s[8:9], s[8:9], exec
	s_or_b64 s[4:5], s[4:5], s[8:9]
	s_or_b64 exec, exec, s[6:7]
	s_and_saveexec_b64 s[6:7], s[4:5]
	s_cbranch_execnz .LBB50_1483
	s_branch .LBB50_1484
.LBB50_3533:
	s_movk_i32 s4, 0x80
	v_cmp_eq_u16_sdwa s[12:13], v3, s4 src0_sel:BYTE_0 src1_sel:DWORD
	s_mov_b64 s[4:5], -1
                                        ; implicit-def: $sgpr10
	s_and_saveexec_b64 s[8:9], s[12:13]
; %bb.3534:
	s_mov_b32 s10, 0x7f800001
	s_xor_b64 s[4:5], exec, -1
; %bb.3535:
	s_or_b64 exec, exec, s[8:9]
	s_and_b64 s[4:5], s[4:5], exec
	s_or_saveexec_b64 s[6:7], s[6:7]
	v_mov_b32_e32 v6, s10
	s_xor_b64 exec, exec, s[6:7]
	s_cbranch_execz .LBB50_1486
.LBB50_3536:
	v_mov_b32_e32 v6, 0
	v_cmp_ne_u16_sdwa s[8:9], v3, v6 src0_sel:BYTE_0 src1_sel:DWORD
	s_andn2_b64 s[4:5], s[4:5], exec
	s_and_b64 s[8:9], s[8:9], exec
	s_or_b64 s[4:5], s[4:5], s[8:9]
	s_or_b64 exec, exec, s[6:7]
	s_and_saveexec_b64 s[6:7], s[4:5]
	s_cbranch_execnz .LBB50_1487
	s_branch .LBB50_1488
.LBB50_3537:
	s_movk_i32 s4, 0x80
	v_cmp_eq_u16_e32 vcc, s4, v3
	s_mov_b64 s[4:5], -1
                                        ; implicit-def: $sgpr10
	s_and_saveexec_b64 s[8:9], vcc
; %bb.3538:
	s_mov_b32 s10, 0x7f800001
	s_xor_b64 s[4:5], exec, -1
; %bb.3539:
	s_or_b64 exec, exec, s[8:9]
	s_and_b64 s[4:5], s[4:5], exec
                                        ; implicit-def: $vgpr3
	s_or_saveexec_b64 s[6:7], s[6:7]
	v_mov_b32_e32 v2, s10
	s_xor_b64 exec, exec, s[6:7]
	s_cbranch_execz .LBB50_1490
.LBB50_3540:
	v_cmp_ne_u16_e32 vcc, 0, v3
	s_andn2_b64 s[4:5], s[4:5], exec
	s_and_b64 s[8:9], vcc, exec
	v_mov_b32_e32 v2, 0
	s_or_b64 s[4:5], s[4:5], s[8:9]
	s_or_b64 exec, exec, s[6:7]
	s_and_saveexec_b64 s[6:7], s[4:5]
	s_cbranch_execnz .LBB50_1491
	s_branch .LBB50_1492
.LBB50_3541:
	s_movk_i32 s4, 0x80
	v_cmp_eq_u16_e32 vcc, s4, v3
	s_mov_b64 s[4:5], -1
                                        ; implicit-def: $sgpr10
	s_and_saveexec_b64 s[8:9], vcc
; %bb.3542:
	s_mov_b32 s10, 0x7f800001
	s_xor_b64 s[4:5], exec, -1
; %bb.3543:
	s_or_b64 exec, exec, s[8:9]
	s_and_b64 s[4:5], s[4:5], exec
                                        ; implicit-def: $vgpr3
	s_or_saveexec_b64 s[6:7], s[6:7]
	v_mov_b32_e32 v6, s10
	s_xor_b64 exec, exec, s[6:7]
	s_cbranch_execz .LBB50_1494
.LBB50_3544:
	v_cmp_ne_u16_e32 vcc, 0, v3
	s_andn2_b64 s[4:5], s[4:5], exec
	s_and_b64 s[8:9], vcc, exec
	v_mov_b32_e32 v6, 0
	s_or_b64 s[4:5], s[4:5], s[8:9]
	s_or_b64 exec, exec, s[6:7]
	s_and_saveexec_b64 s[6:7], s[4:5]
	s_cbranch_execnz .LBB50_1495
	s_branch .LBB50_1496
.LBB50_3545:
	s_movk_i32 s4, 0x80
	v_cmp_eq_u16_sdwa s[12:13], v8, s4 src0_sel:BYTE_3 src1_sel:DWORD
	s_mov_b64 s[4:5], -1
                                        ; implicit-def: $sgpr10
	s_and_saveexec_b64 s[8:9], s[12:13]
; %bb.3546:
	s_mov_b32 s10, 0x7f800001
	s_xor_b64 s[4:5], exec, -1
; %bb.3547:
	s_or_b64 exec, exec, s[8:9]
	s_and_b64 s[4:5], s[4:5], exec
	s_or_saveexec_b64 s[6:7], s[6:7]
	v_mov_b32_e32 v2, s10
	s_xor_b64 exec, exec, s[6:7]
	s_cbranch_execz .LBB50_1498
.LBB50_3548:
	v_mov_b32_e32 v2, 0
	v_cmp_ne_u16_sdwa s[8:9], v8, v2 src0_sel:BYTE_3 src1_sel:DWORD
	s_andn2_b64 s[4:5], s[4:5], exec
	s_and_b64 s[8:9], s[8:9], exec
	s_or_b64 s[4:5], s[4:5], s[8:9]
	s_or_b64 exec, exec, s[6:7]
	s_and_saveexec_b64 s[6:7], s[4:5]
	s_cbranch_execnz .LBB50_1499
	s_branch .LBB50_1500
.LBB50_3549:
	s_movk_i32 s4, 0x80
	v_cmp_eq_u16_sdwa s[12:13], v4, s4 src0_sel:BYTE_3 src1_sel:DWORD
	s_mov_b64 s[4:5], -1
                                        ; implicit-def: $sgpr10
	s_and_saveexec_b64 s[8:9], s[12:13]
; %bb.3550:
	s_mov_b32 s10, 0x7f800001
	s_xor_b64 s[4:5], exec, -1
; %bb.3551:
	s_or_b64 exec, exec, s[8:9]
	s_and_b64 s[4:5], s[4:5], exec
	s_or_saveexec_b64 s[6:7], s[6:7]
	v_mov_b32_e32 v3, s10
	s_xor_b64 exec, exec, s[6:7]
	s_cbranch_execz .LBB50_1502
.LBB50_3552:
	v_mov_b32_e32 v3, 0
	v_cmp_ne_u16_sdwa s[8:9], v4, v3 src0_sel:BYTE_3 src1_sel:DWORD
	s_andn2_b64 s[4:5], s[4:5], exec
	s_and_b64 s[8:9], s[8:9], exec
	s_or_b64 s[4:5], s[4:5], s[8:9]
	s_or_b64 exec, exec, s[6:7]
	s_and_saveexec_b64 s[6:7], s[4:5]
	s_cbranch_execnz .LBB50_1503
	s_branch .LBB50_1504
.LBB50_3553:
	s_movk_i32 s4, 0x80
	v_cmp_eq_u16_sdwa s[12:13], v9, s4 src0_sel:BYTE_0 src1_sel:DWORD
	s_mov_b64 s[4:5], -1
                                        ; implicit-def: $sgpr10
	s_and_saveexec_b64 s[8:9], s[12:13]
; %bb.3554:
	s_mov_b32 s10, 0x7f800001
	s_xor_b64 s[4:5], exec, -1
; %bb.3555:
	s_or_b64 exec, exec, s[8:9]
	s_and_b64 s[4:5], s[4:5], exec
	s_or_saveexec_b64 s[6:7], s[6:7]
	v_mov_b32_e32 v2, s10
	s_xor_b64 exec, exec, s[6:7]
	s_cbranch_execz .LBB50_1506
.LBB50_3556:
	v_mov_b32_e32 v2, 0
	v_cmp_ne_u16_sdwa s[8:9], v9, v2 src0_sel:BYTE_0 src1_sel:DWORD
	s_andn2_b64 s[4:5], s[4:5], exec
	s_and_b64 s[8:9], s[8:9], exec
	s_or_b64 s[4:5], s[4:5], s[8:9]
	s_or_b64 exec, exec, s[6:7]
	s_and_saveexec_b64 s[6:7], s[4:5]
	s_cbranch_execnz .LBB50_1507
	s_branch .LBB50_1508
.LBB50_3557:
	s_movk_i32 s4, 0x80
	v_cmp_eq_u16_sdwa s[12:13], v5, s4 src0_sel:BYTE_0 src1_sel:DWORD
	s_mov_b64 s[4:5], -1
                                        ; implicit-def: $sgpr10
	s_and_saveexec_b64 s[8:9], s[12:13]
; %bb.3558:
	s_mov_b32 s10, 0x7f800001
	s_xor_b64 s[4:5], exec, -1
; %bb.3559:
	s_or_b64 exec, exec, s[8:9]
	s_and_b64 s[4:5], s[4:5], exec
	s_or_saveexec_b64 s[6:7], s[6:7]
	v_mov_b32_e32 v3, s10
	s_xor_b64 exec, exec, s[6:7]
	s_cbranch_execz .LBB50_1510
.LBB50_3560:
	v_mov_b32_e32 v3, 0
	v_cmp_ne_u16_sdwa s[8:9], v5, v3 src0_sel:BYTE_0 src1_sel:DWORD
	s_andn2_b64 s[4:5], s[4:5], exec
	s_and_b64 s[8:9], s[8:9], exec
	s_or_b64 s[4:5], s[4:5], s[8:9]
	s_or_b64 exec, exec, s[6:7]
	s_and_saveexec_b64 s[6:7], s[4:5]
	s_cbranch_execnz .LBB50_1511
	s_branch .LBB50_1512
.LBB50_3561:
	s_movk_i32 s4, 0x80
	v_cmp_eq_u16_sdwa s[12:13], v3, s4 src0_sel:BYTE_0 src1_sel:DWORD
	s_mov_b64 s[4:5], -1
                                        ; implicit-def: $sgpr10
	s_and_saveexec_b64 s[8:9], s[12:13]
; %bb.3562:
	s_mov_b32 s10, 0x7f800001
	s_xor_b64 s[4:5], exec, -1
; %bb.3563:
	s_or_b64 exec, exec, s[8:9]
	s_and_b64 s[4:5], s[4:5], exec
	s_or_saveexec_b64 s[6:7], s[6:7]
	v_mov_b32_e32 v2, s10
	s_xor_b64 exec, exec, s[6:7]
	s_cbranch_execz .LBB50_1514
.LBB50_3564:
	v_mov_b32_e32 v2, 0
	v_cmp_ne_u16_sdwa s[8:9], v3, v2 src0_sel:BYTE_0 src1_sel:DWORD
	s_andn2_b64 s[4:5], s[4:5], exec
	s_and_b64 s[8:9], s[8:9], exec
	s_or_b64 s[4:5], s[4:5], s[8:9]
	s_or_b64 exec, exec, s[6:7]
	s_and_saveexec_b64 s[6:7], s[4:5]
	s_cbranch_execnz .LBB50_1515
	s_branch .LBB50_1516
.LBB50_3565:
	s_movk_i32 s4, 0x80
	v_cmp_eq_u16_sdwa s[12:13], v3, s4 src0_sel:BYTE_0 src1_sel:DWORD
	s_mov_b64 s[4:5], -1
                                        ; implicit-def: $sgpr10
	s_and_saveexec_b64 s[8:9], s[12:13]
; %bb.3566:
	s_mov_b32 s10, 0x7f800001
	s_xor_b64 s[4:5], exec, -1
; %bb.3567:
	s_or_b64 exec, exec, s[8:9]
	s_and_b64 s[4:5], s[4:5], exec
	s_or_saveexec_b64 s[6:7], s[6:7]
	v_mov_b32_e32 v4, s10
	s_xor_b64 exec, exec, s[6:7]
	s_cbranch_execz .LBB50_1518
.LBB50_3568:
	v_mov_b32_e32 v4, 0
	v_cmp_ne_u16_sdwa s[8:9], v3, v4 src0_sel:BYTE_0 src1_sel:DWORD
	s_andn2_b64 s[4:5], s[4:5], exec
	s_and_b64 s[8:9], s[8:9], exec
	s_or_b64 s[4:5], s[4:5], s[8:9]
	s_or_b64 exec, exec, s[6:7]
	s_and_saveexec_b64 s[6:7], s[4:5]
	s_cbranch_execnz .LBB50_1519
	s_branch .LBB50_1520
.LBB50_3569:
	s_movk_i32 s4, 0x80
	v_cmp_eq_u16_e32 vcc, s4, v3
	s_mov_b64 s[4:5], -1
                                        ; implicit-def: $sgpr10
	s_and_saveexec_b64 s[8:9], vcc
; %bb.3570:
	s_mov_b32 s10, 0x7f800001
	s_xor_b64 s[4:5], exec, -1
; %bb.3571:
	s_or_b64 exec, exec, s[8:9]
	s_and_b64 s[4:5], s[4:5], exec
                                        ; implicit-def: $vgpr3
	s_or_saveexec_b64 s[6:7], s[6:7]
	v_mov_b32_e32 v2, s10
	s_xor_b64 exec, exec, s[6:7]
	s_cbranch_execz .LBB50_1522
.LBB50_3572:
	v_cmp_ne_u16_e32 vcc, 0, v3
	s_andn2_b64 s[4:5], s[4:5], exec
	s_and_b64 s[8:9], vcc, exec
	v_mov_b32_e32 v2, 0
	s_or_b64 s[4:5], s[4:5], s[8:9]
	s_or_b64 exec, exec, s[6:7]
	s_and_saveexec_b64 s[6:7], s[4:5]
	s_cbranch_execnz .LBB50_1523
	s_branch .LBB50_1524
.LBB50_3573:
	s_movk_i32 s4, 0x80
	v_cmp_eq_u16_e32 vcc, s4, v3
	s_mov_b64 s[4:5], -1
                                        ; implicit-def: $sgpr10
	s_and_saveexec_b64 s[8:9], vcc
; %bb.3574:
	s_mov_b32 s10, 0x7f800001
	s_xor_b64 s[4:5], exec, -1
; %bb.3575:
	s_or_b64 exec, exec, s[8:9]
	s_and_b64 s[4:5], s[4:5], exec
                                        ; implicit-def: $vgpr3
	s_or_saveexec_b64 s[6:7], s[6:7]
	v_mov_b32_e32 v4, s10
	s_xor_b64 exec, exec, s[6:7]
	s_cbranch_execz .LBB50_1526
.LBB50_3576:
	v_cmp_ne_u16_e32 vcc, 0, v3
	s_andn2_b64 s[4:5], s[4:5], exec
	s_and_b64 s[8:9], vcc, exec
	v_mov_b32_e32 v4, 0
	s_or_b64 s[4:5], s[4:5], s[8:9]
	s_or_b64 exec, exec, s[6:7]
	s_and_saveexec_b64 s[6:7], s[4:5]
	s_cbranch_execnz .LBB50_1527
	s_branch .LBB50_1528
.LBB50_3577:
	s_movk_i32 s4, 0x80
	v_cmp_eq_u16_sdwa s[12:13], v9, s4 src0_sel:BYTE_3 src1_sel:DWORD
	s_mov_b64 s[4:5], -1
                                        ; implicit-def: $sgpr10
	s_and_saveexec_b64 s[8:9], s[12:13]
; %bb.3578:
	s_mov_b32 s10, 0x7f800001
	s_xor_b64 s[4:5], exec, -1
; %bb.3579:
	s_or_b64 exec, exec, s[8:9]
	s_and_b64 s[4:5], s[4:5], exec
	s_or_saveexec_b64 s[6:7], s[6:7]
	v_mov_b32_e32 v2, s10
	s_xor_b64 exec, exec, s[6:7]
	s_cbranch_execz .LBB50_1530
.LBB50_3580:
	v_mov_b32_e32 v2, 0
	v_cmp_ne_u16_sdwa s[8:9], v9, v2 src0_sel:BYTE_3 src1_sel:DWORD
	s_andn2_b64 s[4:5], s[4:5], exec
	s_and_b64 s[8:9], s[8:9], exec
	s_or_b64 s[4:5], s[4:5], s[8:9]
	s_or_b64 exec, exec, s[6:7]
	s_and_saveexec_b64 s[6:7], s[4:5]
	s_cbranch_execnz .LBB50_1531
	s_branch .LBB50_1532
.LBB50_3581:
	s_movk_i32 s4, 0x80
	v_cmp_eq_u16_sdwa s[12:13], v5, s4 src0_sel:BYTE_3 src1_sel:DWORD
	s_mov_b64 s[4:5], -1
                                        ; implicit-def: $sgpr10
	s_and_saveexec_b64 s[8:9], s[12:13]
; %bb.3582:
	s_mov_b32 s10, 0x7f800001
	s_xor_b64 s[4:5], exec, -1
; %bb.3583:
	s_or_b64 exec, exec, s[8:9]
	s_and_b64 s[4:5], s[4:5], exec
	s_or_saveexec_b64 s[6:7], s[6:7]
	v_mov_b32_e32 v3, s10
	s_xor_b64 exec, exec, s[6:7]
	s_cbranch_execz .LBB50_1534
.LBB50_3584:
	v_mov_b32_e32 v3, 0
	v_cmp_ne_u16_sdwa s[8:9], v5, v3 src0_sel:BYTE_3 src1_sel:DWORD
	s_andn2_b64 s[4:5], s[4:5], exec
	s_and_b64 s[8:9], s[8:9], exec
	s_or_b64 s[4:5], s[4:5], s[8:9]
	s_or_b64 exec, exec, s[6:7]
	s_and_saveexec_b64 s[6:7], s[4:5]
	s_cbranch_execnz .LBB50_1535
	s_branch .LBB50_1536
.LBB50_3585:
	s_movk_i32 s4, 0x80
	v_cmp_eq_u16_sdwa s[12:13], v14, s4 src0_sel:BYTE_0 src1_sel:DWORD
	s_mov_b64 s[4:5], -1
                                        ; implicit-def: $sgpr10
	s_and_saveexec_b64 s[8:9], s[12:13]
; %bb.3586:
	s_mov_b32 s10, 0x7f800001
	s_xor_b64 s[4:5], exec, -1
; %bb.3587:
	s_or_b64 exec, exec, s[8:9]
	s_and_b64 s[4:5], s[4:5], exec
	s_or_saveexec_b64 s[6:7], s[6:7]
	v_mov_b32_e32 v20, s10
	s_xor_b64 exec, exec, s[6:7]
	s_cbranch_execz .LBB50_1538
.LBB50_3588:
	v_mov_b32_e32 v20, 0
	v_cmp_ne_u16_sdwa s[8:9], v14, v20 src0_sel:BYTE_0 src1_sel:DWORD
	s_andn2_b64 s[4:5], s[4:5], exec
	s_and_b64 s[8:9], s[8:9], exec
	s_or_b64 s[4:5], s[4:5], s[8:9]
	s_or_b64 exec, exec, s[6:7]
	s_and_saveexec_b64 s[6:7], s[4:5]
	s_cbranch_execnz .LBB50_1539
	s_branch .LBB50_1540
.LBB50_3589:
	s_movk_i32 s4, 0x80
	v_cmp_eq_u16_sdwa s[12:13], v10, s4 src0_sel:BYTE_0 src1_sel:DWORD
	s_mov_b64 s[4:5], -1
                                        ; implicit-def: $sgpr10
	s_and_saveexec_b64 s[8:9], s[12:13]
; %bb.3590:
	s_mov_b32 s10, 0x7f800001
	s_xor_b64 s[4:5], exec, -1
; %bb.3591:
	s_or_b64 exec, exec, s[8:9]
	s_and_b64 s[4:5], s[4:5], exec
	s_or_saveexec_b64 s[6:7], s[6:7]
	v_mov_b32_e32 v21, s10
	s_xor_b64 exec, exec, s[6:7]
	s_cbranch_execz .LBB50_1542
.LBB50_3592:
	v_mov_b32_e32 v21, 0
	v_cmp_ne_u16_sdwa s[8:9], v10, v21 src0_sel:BYTE_0 src1_sel:DWORD
	s_andn2_b64 s[4:5], s[4:5], exec
	s_and_b64 s[8:9], s[8:9], exec
	s_or_b64 s[4:5], s[4:5], s[8:9]
	s_or_b64 exec, exec, s[6:7]
	s_and_saveexec_b64 s[6:7], s[4:5]
	s_cbranch_execnz .LBB50_1543
	s_branch .LBB50_1544
.LBB50_3593:
	s_movk_i32 s4, 0x80
	v_cmp_eq_u16_sdwa s[12:13], v21, s4 src0_sel:BYTE_0 src1_sel:DWORD
	s_mov_b64 s[4:5], -1
                                        ; implicit-def: $sgpr10
	s_and_saveexec_b64 s[8:9], s[12:13]
; %bb.3594:
	s_mov_b32 s10, 0x7f800001
	s_xor_b64 s[4:5], exec, -1
; %bb.3595:
	s_or_b64 exec, exec, s[8:9]
	s_and_b64 s[4:5], s[4:5], exec
	s_or_saveexec_b64 s[6:7], s[6:7]
	v_mov_b32_e32 v20, s10
	s_xor_b64 exec, exec, s[6:7]
	s_cbranch_execz .LBB50_1546
.LBB50_3596:
	v_mov_b32_e32 v20, 0
	v_cmp_ne_u16_sdwa s[8:9], v21, v20 src0_sel:BYTE_0 src1_sel:DWORD
	s_andn2_b64 s[4:5], s[4:5], exec
	s_and_b64 s[8:9], s[8:9], exec
	s_or_b64 s[4:5], s[4:5], s[8:9]
	s_or_b64 exec, exec, s[6:7]
	s_and_saveexec_b64 s[6:7], s[4:5]
	s_cbranch_execnz .LBB50_1547
	s_branch .LBB50_1548
.LBB50_3597:
	s_movk_i32 s4, 0x80
	v_cmp_eq_u16_sdwa s[12:13], v21, s4 src0_sel:BYTE_0 src1_sel:DWORD
	s_mov_b64 s[4:5], -1
                                        ; implicit-def: $sgpr10
	s_and_saveexec_b64 s[8:9], s[12:13]
; %bb.3598:
	s_mov_b32 s10, 0x7f800001
	s_xor_b64 s[4:5], exec, -1
; %bb.3599:
	s_or_b64 exec, exec, s[8:9]
	s_and_b64 s[4:5], s[4:5], exec
	s_or_saveexec_b64 s[6:7], s[6:7]
	v_mov_b32_e32 v22, s10
	s_xor_b64 exec, exec, s[6:7]
	s_cbranch_execz .LBB50_1550
.LBB50_3600:
	v_mov_b32_e32 v22, 0
	v_cmp_ne_u16_sdwa s[8:9], v21, v22 src0_sel:BYTE_0 src1_sel:DWORD
	s_andn2_b64 s[4:5], s[4:5], exec
	s_and_b64 s[8:9], s[8:9], exec
	s_or_b64 s[4:5], s[4:5], s[8:9]
	s_or_b64 exec, exec, s[6:7]
	s_and_saveexec_b64 s[6:7], s[4:5]
	s_cbranch_execnz .LBB50_1551
	s_branch .LBB50_1552
.LBB50_3601:
	s_movk_i32 s4, 0x80
	v_cmp_eq_u16_e32 vcc, s4, v21
	s_mov_b64 s[4:5], -1
                                        ; implicit-def: $sgpr10
	s_and_saveexec_b64 s[8:9], vcc
; %bb.3602:
	s_mov_b32 s10, 0x7f800001
	s_xor_b64 s[4:5], exec, -1
; %bb.3603:
	s_or_b64 exec, exec, s[8:9]
	s_and_b64 s[4:5], s[4:5], exec
                                        ; implicit-def: $vgpr21
	s_or_saveexec_b64 s[6:7], s[6:7]
	v_mov_b32_e32 v20, s10
	s_xor_b64 exec, exec, s[6:7]
	s_cbranch_execz .LBB50_1554
.LBB50_3604:
	v_cmp_ne_u16_e32 vcc, 0, v21
	s_andn2_b64 s[4:5], s[4:5], exec
	s_and_b64 s[8:9], vcc, exec
	v_mov_b32_e32 v20, 0
	s_or_b64 s[4:5], s[4:5], s[8:9]
	s_or_b64 exec, exec, s[6:7]
	s_and_saveexec_b64 s[6:7], s[4:5]
	s_cbranch_execnz .LBB50_1555
	s_branch .LBB50_1556
.LBB50_3605:
	s_movk_i32 s4, 0x80
	v_cmp_eq_u16_e32 vcc, s4, v21
	s_mov_b64 s[4:5], -1
                                        ; implicit-def: $sgpr10
	s_and_saveexec_b64 s[8:9], vcc
; %bb.3606:
	s_mov_b32 s10, 0x7f800001
	s_xor_b64 s[4:5], exec, -1
; %bb.3607:
	s_or_b64 exec, exec, s[8:9]
	s_and_b64 s[4:5], s[4:5], exec
                                        ; implicit-def: $vgpr21
	s_or_saveexec_b64 s[6:7], s[6:7]
	v_mov_b32_e32 v22, s10
	s_xor_b64 exec, exec, s[6:7]
	s_cbranch_execz .LBB50_1558
.LBB50_3608:
	v_cmp_ne_u16_e32 vcc, 0, v21
	s_andn2_b64 s[4:5], s[4:5], exec
	s_and_b64 s[8:9], vcc, exec
	v_mov_b32_e32 v22, 0
	s_or_b64 s[4:5], s[4:5], s[8:9]
	s_or_b64 exec, exec, s[6:7]
	s_and_saveexec_b64 s[6:7], s[4:5]
	s_cbranch_execnz .LBB50_1559
	s_branch .LBB50_1560
.LBB50_3609:
	s_movk_i32 s4, 0x80
	v_cmp_eq_u16_sdwa s[12:13], v14, s4 src0_sel:BYTE_3 src1_sel:DWORD
	s_mov_b64 s[4:5], -1
                                        ; implicit-def: $sgpr10
	s_and_saveexec_b64 s[8:9], s[12:13]
; %bb.3610:
	s_mov_b32 s10, 0x7f800001
	s_xor_b64 s[4:5], exec, -1
; %bb.3611:
	s_or_b64 exec, exec, s[8:9]
	s_and_b64 s[4:5], s[4:5], exec
	s_or_saveexec_b64 s[6:7], s[6:7]
	v_mov_b32_e32 v20, s10
	s_xor_b64 exec, exec, s[6:7]
	s_cbranch_execz .LBB50_1562
.LBB50_3612:
	v_mov_b32_e32 v20, 0
	v_cmp_ne_u16_sdwa s[8:9], v14, v20 src0_sel:BYTE_3 src1_sel:DWORD
	s_andn2_b64 s[4:5], s[4:5], exec
	s_and_b64 s[8:9], s[8:9], exec
	s_or_b64 s[4:5], s[4:5], s[8:9]
	s_or_b64 exec, exec, s[6:7]
	s_and_saveexec_b64 s[6:7], s[4:5]
	s_cbranch_execnz .LBB50_1563
	s_branch .LBB50_1564
.LBB50_3613:
	s_movk_i32 s4, 0x80
	v_cmp_eq_u16_sdwa s[12:13], v10, s4 src0_sel:BYTE_3 src1_sel:DWORD
	s_mov_b64 s[4:5], -1
                                        ; implicit-def: $sgpr10
	s_and_saveexec_b64 s[8:9], s[12:13]
; %bb.3614:
	s_mov_b32 s10, 0x7f800001
	s_xor_b64 s[4:5], exec, -1
; %bb.3615:
	s_or_b64 exec, exec, s[8:9]
	s_and_b64 s[4:5], s[4:5], exec
	s_or_saveexec_b64 s[6:7], s[6:7]
	v_mov_b32_e32 v14, s10
	s_xor_b64 exec, exec, s[6:7]
	s_cbranch_execz .LBB50_1566
.LBB50_3616:
	v_mov_b32_e32 v14, 0
	v_cmp_ne_u16_sdwa s[8:9], v10, v14 src0_sel:BYTE_3 src1_sel:DWORD
	s_andn2_b64 s[4:5], s[4:5], exec
	s_and_b64 s[8:9], s[8:9], exec
	s_or_b64 s[4:5], s[4:5], s[8:9]
	s_or_b64 exec, exec, s[6:7]
	s_and_saveexec_b64 s[6:7], s[4:5]
	s_cbranch_execnz .LBB50_1567
	s_branch .LBB50_1568
.LBB50_3617:
	s_movk_i32 s4, 0x80
	v_cmp_eq_u16_sdwa s[12:13], v15, s4 src0_sel:BYTE_0 src1_sel:DWORD
	s_mov_b64 s[4:5], -1
                                        ; implicit-def: $sgpr10
	s_and_saveexec_b64 s[8:9], s[12:13]
; %bb.3618:
	s_mov_b32 s10, 0x7f800001
	s_xor_b64 s[4:5], exec, -1
; %bb.3619:
	s_or_b64 exec, exec, s[8:9]
	s_and_b64 s[4:5], s[4:5], exec
	s_or_saveexec_b64 s[6:7], s[6:7]
	v_mov_b32_e32 v10, s10
	s_xor_b64 exec, exec, s[6:7]
	s_cbranch_execz .LBB50_1570
.LBB50_3620:
	v_mov_b32_e32 v10, 0
	v_cmp_ne_u16_sdwa s[8:9], v15, v10 src0_sel:BYTE_0 src1_sel:DWORD
	s_andn2_b64 s[4:5], s[4:5], exec
	s_and_b64 s[8:9], s[8:9], exec
	s_or_b64 s[4:5], s[4:5], s[8:9]
	s_or_b64 exec, exec, s[6:7]
	s_and_saveexec_b64 s[6:7], s[4:5]
	s_cbranch_execnz .LBB50_1571
	s_branch .LBB50_1572
.LBB50_3621:
	s_movk_i32 s4, 0x80
	v_cmp_eq_u16_sdwa s[12:13], v11, s4 src0_sel:BYTE_0 src1_sel:DWORD
	s_mov_b64 s[4:5], -1
                                        ; implicit-def: $sgpr10
	s_and_saveexec_b64 s[8:9], s[12:13]
; %bb.3622:
	s_mov_b32 s10, 0x7f800001
	s_xor_b64 s[4:5], exec, -1
; %bb.3623:
	s_or_b64 exec, exec, s[8:9]
	s_and_b64 s[4:5], s[4:5], exec
	s_or_saveexec_b64 s[6:7], s[6:7]
	v_mov_b32_e32 v14, s10
	s_xor_b64 exec, exec, s[6:7]
	s_cbranch_execz .LBB50_1574
.LBB50_3624:
	v_mov_b32_e32 v14, 0
	v_cmp_ne_u16_sdwa s[8:9], v11, v14 src0_sel:BYTE_0 src1_sel:DWORD
	s_andn2_b64 s[4:5], s[4:5], exec
	s_and_b64 s[8:9], s[8:9], exec
	s_or_b64 s[4:5], s[4:5], s[8:9]
	s_or_b64 exec, exec, s[6:7]
	s_and_saveexec_b64 s[6:7], s[4:5]
	s_cbranch_execnz .LBB50_1575
	s_branch .LBB50_1576
.LBB50_3625:
	s_movk_i32 s4, 0x80
	v_cmp_eq_u16_sdwa s[12:13], v14, s4 src0_sel:BYTE_0 src1_sel:DWORD
	s_mov_b64 s[4:5], -1
                                        ; implicit-def: $sgpr10
	s_and_saveexec_b64 s[8:9], s[12:13]
; %bb.3626:
	s_mov_b32 s10, 0x7f800001
	s_xor_b64 s[4:5], exec, -1
; %bb.3627:
	s_or_b64 exec, exec, s[8:9]
	s_and_b64 s[4:5], s[4:5], exec
	s_or_saveexec_b64 s[6:7], s[6:7]
	v_mov_b32_e32 v10, s10
	s_xor_b64 exec, exec, s[6:7]
	s_cbranch_execz .LBB50_1578
.LBB50_3628:
	v_mov_b32_e32 v10, 0
	v_cmp_ne_u16_sdwa s[8:9], v14, v10 src0_sel:BYTE_0 src1_sel:DWORD
	s_andn2_b64 s[4:5], s[4:5], exec
	s_and_b64 s[8:9], s[8:9], exec
	s_or_b64 s[4:5], s[4:5], s[8:9]
	s_or_b64 exec, exec, s[6:7]
	s_and_saveexec_b64 s[6:7], s[4:5]
	s_cbranch_execnz .LBB50_1579
	s_branch .LBB50_1580
.LBB50_3629:
	s_movk_i32 s4, 0x80
	v_cmp_eq_u16_sdwa s[12:13], v14, s4 src0_sel:BYTE_0 src1_sel:DWORD
	s_mov_b64 s[4:5], -1
                                        ; implicit-def: $sgpr10
	s_and_saveexec_b64 s[8:9], s[12:13]
; %bb.3630:
	s_mov_b32 s10, 0x7f800001
	s_xor_b64 s[4:5], exec, -1
; %bb.3631:
	s_or_b64 exec, exec, s[8:9]
	s_and_b64 s[4:5], s[4:5], exec
	s_or_saveexec_b64 s[6:7], s[6:7]
	v_mov_b32_e32 v20, s10
	s_xor_b64 exec, exec, s[6:7]
	s_cbranch_execz .LBB50_1582
.LBB50_3632:
	v_mov_b32_e32 v20, 0
	v_cmp_ne_u16_sdwa s[8:9], v14, v20 src0_sel:BYTE_0 src1_sel:DWORD
	s_andn2_b64 s[4:5], s[4:5], exec
	s_and_b64 s[8:9], s[8:9], exec
	s_or_b64 s[4:5], s[4:5], s[8:9]
	s_or_b64 exec, exec, s[6:7]
	s_and_saveexec_b64 s[6:7], s[4:5]
	s_cbranch_execnz .LBB50_1583
	s_branch .LBB50_1584
.LBB50_3633:
	s_movk_i32 s4, 0x80
	v_cmp_eq_u16_e32 vcc, s4, v14
	s_mov_b64 s[4:5], -1
                                        ; implicit-def: $sgpr10
	s_and_saveexec_b64 s[8:9], vcc
; %bb.3634:
	s_mov_b32 s10, 0x7f800001
	s_xor_b64 s[4:5], exec, -1
; %bb.3635:
	s_or_b64 exec, exec, s[8:9]
	s_and_b64 s[4:5], s[4:5], exec
                                        ; implicit-def: $vgpr14
	s_or_saveexec_b64 s[6:7], s[6:7]
	v_mov_b32_e32 v10, s10
	s_xor_b64 exec, exec, s[6:7]
	s_cbranch_execz .LBB50_1586
.LBB50_3636:
	v_cmp_ne_u16_e32 vcc, 0, v14
	s_andn2_b64 s[4:5], s[4:5], exec
	s_and_b64 s[8:9], vcc, exec
	v_mov_b32_e32 v10, 0
	s_or_b64 s[4:5], s[4:5], s[8:9]
	s_or_b64 exec, exec, s[6:7]
	s_and_saveexec_b64 s[6:7], s[4:5]
	s_cbranch_execnz .LBB50_1587
	s_branch .LBB50_1588
.LBB50_3637:
	s_movk_i32 s4, 0x80
	v_cmp_eq_u16_e32 vcc, s4, v14
	s_mov_b64 s[4:5], -1
                                        ; implicit-def: $sgpr10
	s_and_saveexec_b64 s[8:9], vcc
; %bb.3638:
	s_mov_b32 s10, 0x7f800001
	s_xor_b64 s[4:5], exec, -1
; %bb.3639:
	s_or_b64 exec, exec, s[8:9]
	s_and_b64 s[4:5], s[4:5], exec
                                        ; implicit-def: $vgpr14
	s_or_saveexec_b64 s[6:7], s[6:7]
	v_mov_b32_e32 v20, s10
	s_xor_b64 exec, exec, s[6:7]
	s_cbranch_execz .LBB50_1590
.LBB50_3640:
	v_cmp_ne_u16_e32 vcc, 0, v14
	s_andn2_b64 s[4:5], s[4:5], exec
	s_and_b64 s[8:9], vcc, exec
	v_mov_b32_e32 v20, 0
	s_or_b64 s[4:5], s[4:5], s[8:9]
	s_or_b64 exec, exec, s[6:7]
	s_and_saveexec_b64 s[6:7], s[4:5]
	s_cbranch_execnz .LBB50_1591
	s_branch .LBB50_1592
.LBB50_3641:
	s_movk_i32 s4, 0x80
	v_cmp_eq_u16_sdwa s[12:13], v15, s4 src0_sel:BYTE_3 src1_sel:DWORD
	s_mov_b64 s[4:5], -1
                                        ; implicit-def: $sgpr10
	s_and_saveexec_b64 s[8:9], s[12:13]
; %bb.3642:
	s_mov_b32 s10, 0x7f800001
	s_xor_b64 s[4:5], exec, -1
; %bb.3643:
	s_or_b64 exec, exec, s[8:9]
	s_and_b64 s[4:5], s[4:5], exec
	s_or_saveexec_b64 s[6:7], s[6:7]
	v_mov_b32_e32 v10, s10
	s_xor_b64 exec, exec, s[6:7]
	s_cbranch_execz .LBB50_1594
.LBB50_3644:
	v_mov_b32_e32 v10, 0
	v_cmp_ne_u16_sdwa s[8:9], v15, v10 src0_sel:BYTE_3 src1_sel:DWORD
	s_andn2_b64 s[4:5], s[4:5], exec
	s_and_b64 s[8:9], s[8:9], exec
	s_or_b64 s[4:5], s[4:5], s[8:9]
	s_or_b64 exec, exec, s[6:7]
	s_and_saveexec_b64 s[6:7], s[4:5]
	s_cbranch_execnz .LBB50_1595
	s_branch .LBB50_1596
.LBB50_3645:
	s_movk_i32 s4, 0x80
	v_cmp_eq_u16_sdwa s[12:13], v11, s4 src0_sel:BYTE_3 src1_sel:DWORD
	s_mov_b64 s[4:5], -1
                                        ; implicit-def: $sgpr10
	s_and_saveexec_b64 s[8:9], s[12:13]
; %bb.3646:
	s_mov_b32 s10, 0x7f800001
	s_xor_b64 s[4:5], exec, -1
; %bb.3647:
	s_or_b64 exec, exec, s[8:9]
	s_and_b64 s[4:5], s[4:5], exec
	s_or_saveexec_b64 s[6:7], s[6:7]
	v_mov_b32_e32 v14, s10
	s_xor_b64 exec, exec, s[6:7]
	s_cbranch_execz .LBB50_1598
.LBB50_3648:
	v_mov_b32_e32 v14, 0
	v_cmp_ne_u16_sdwa s[8:9], v11, v14 src0_sel:BYTE_3 src1_sel:DWORD
	s_andn2_b64 s[4:5], s[4:5], exec
	s_and_b64 s[8:9], s[8:9], exec
	s_or_b64 s[4:5], s[4:5], s[8:9]
	s_or_b64 exec, exec, s[6:7]
	s_and_saveexec_b64 s[6:7], s[4:5]
	s_cbranch_execnz .LBB50_1599
	s_branch .LBB50_1600
.LBB50_3649:
	s_movk_i32 s4, 0x80
	v_cmp_eq_u16_sdwa s[12:13], v16, s4 src0_sel:BYTE_0 src1_sel:DWORD
	s_mov_b64 s[4:5], -1
                                        ; implicit-def: $sgpr10
	s_and_saveexec_b64 s[8:9], s[12:13]
; %bb.3650:
	s_mov_b32 s10, 0x7f800001
	s_xor_b64 s[4:5], exec, -1
; %bb.3651:
	s_or_b64 exec, exec, s[8:9]
	s_and_b64 s[4:5], s[4:5], exec
	s_or_saveexec_b64 s[6:7], s[6:7]
	v_mov_b32_e32 v10, s10
	s_xor_b64 exec, exec, s[6:7]
	s_cbranch_execz .LBB50_1602
.LBB50_3652:
	v_mov_b32_e32 v10, 0
	v_cmp_ne_u16_sdwa s[8:9], v16, v10 src0_sel:BYTE_0 src1_sel:DWORD
	s_andn2_b64 s[4:5], s[4:5], exec
	s_and_b64 s[8:9], s[8:9], exec
	s_or_b64 s[4:5], s[4:5], s[8:9]
	s_or_b64 exec, exec, s[6:7]
	s_and_saveexec_b64 s[6:7], s[4:5]
	s_cbranch_execnz .LBB50_1603
	s_branch .LBB50_1604
.LBB50_3653:
	s_movk_i32 s4, 0x80
	v_cmp_eq_u16_sdwa s[12:13], v12, s4 src0_sel:BYTE_0 src1_sel:DWORD
	s_mov_b64 s[4:5], -1
                                        ; implicit-def: $sgpr10
	s_and_saveexec_b64 s[8:9], s[12:13]
; %bb.3654:
	s_mov_b32 s10, 0x7f800001
	s_xor_b64 s[4:5], exec, -1
; %bb.3655:
	s_or_b64 exec, exec, s[8:9]
	s_and_b64 s[4:5], s[4:5], exec
	s_or_saveexec_b64 s[6:7], s[6:7]
	v_mov_b32_e32 v11, s10
	s_xor_b64 exec, exec, s[6:7]
	s_cbranch_execz .LBB50_1606
.LBB50_3656:
	v_mov_b32_e32 v11, 0
	v_cmp_ne_u16_sdwa s[8:9], v12, v11 src0_sel:BYTE_0 src1_sel:DWORD
	s_andn2_b64 s[4:5], s[4:5], exec
	s_and_b64 s[8:9], s[8:9], exec
	s_or_b64 s[4:5], s[4:5], s[8:9]
	s_or_b64 exec, exec, s[6:7]
	s_and_saveexec_b64 s[6:7], s[4:5]
	s_cbranch_execnz .LBB50_1607
	s_branch .LBB50_1608
.LBB50_3657:
	s_movk_i32 s4, 0x80
	v_cmp_eq_u16_sdwa s[12:13], v11, s4 src0_sel:BYTE_0 src1_sel:DWORD
	s_mov_b64 s[4:5], -1
                                        ; implicit-def: $sgpr10
	s_and_saveexec_b64 s[8:9], s[12:13]
; %bb.3658:
	s_mov_b32 s10, 0x7f800001
	s_xor_b64 s[4:5], exec, -1
; %bb.3659:
	s_or_b64 exec, exec, s[8:9]
	s_and_b64 s[4:5], s[4:5], exec
	s_or_saveexec_b64 s[6:7], s[6:7]
	v_mov_b32_e32 v10, s10
	s_xor_b64 exec, exec, s[6:7]
	s_cbranch_execz .LBB50_1610
.LBB50_3660:
	v_mov_b32_e32 v10, 0
	v_cmp_ne_u16_sdwa s[8:9], v11, v10 src0_sel:BYTE_0 src1_sel:DWORD
	s_andn2_b64 s[4:5], s[4:5], exec
	s_and_b64 s[8:9], s[8:9], exec
	s_or_b64 s[4:5], s[4:5], s[8:9]
	s_or_b64 exec, exec, s[6:7]
	s_and_saveexec_b64 s[6:7], s[4:5]
	s_cbranch_execnz .LBB50_1611
	s_branch .LBB50_1612
.LBB50_3661:
	s_movk_i32 s4, 0x80
	v_cmp_eq_u16_sdwa s[12:13], v11, s4 src0_sel:BYTE_0 src1_sel:DWORD
	s_mov_b64 s[4:5], -1
                                        ; implicit-def: $sgpr10
	s_and_saveexec_b64 s[8:9], s[12:13]
; %bb.3662:
	s_mov_b32 s10, 0x7f800001
	s_xor_b64 s[4:5], exec, -1
; %bb.3663:
	s_or_b64 exec, exec, s[8:9]
	s_and_b64 s[4:5], s[4:5], exec
	s_or_saveexec_b64 s[6:7], s[6:7]
	v_mov_b32_e32 v14, s10
	s_xor_b64 exec, exec, s[6:7]
	s_cbranch_execz .LBB50_1614
.LBB50_3664:
	v_mov_b32_e32 v14, 0
	v_cmp_ne_u16_sdwa s[8:9], v11, v14 src0_sel:BYTE_0 src1_sel:DWORD
	s_andn2_b64 s[4:5], s[4:5], exec
	s_and_b64 s[8:9], s[8:9], exec
	s_or_b64 s[4:5], s[4:5], s[8:9]
	s_or_b64 exec, exec, s[6:7]
	s_and_saveexec_b64 s[6:7], s[4:5]
	s_cbranch_execnz .LBB50_1615
	s_branch .LBB50_1616
.LBB50_3665:
	s_movk_i32 s4, 0x80
	v_cmp_eq_u16_e32 vcc, s4, v11
	s_mov_b64 s[4:5], -1
                                        ; implicit-def: $sgpr10
	s_and_saveexec_b64 s[8:9], vcc
; %bb.3666:
	s_mov_b32 s10, 0x7f800001
	s_xor_b64 s[4:5], exec, -1
; %bb.3667:
	s_or_b64 exec, exec, s[8:9]
	s_and_b64 s[4:5], s[4:5], exec
                                        ; implicit-def: $vgpr11
	s_or_saveexec_b64 s[6:7], s[6:7]
	v_mov_b32_e32 v10, s10
	s_xor_b64 exec, exec, s[6:7]
	s_cbranch_execz .LBB50_1618
.LBB50_3668:
	v_cmp_ne_u16_e32 vcc, 0, v11
	s_andn2_b64 s[4:5], s[4:5], exec
	s_and_b64 s[8:9], vcc, exec
	v_mov_b32_e32 v10, 0
	s_or_b64 s[4:5], s[4:5], s[8:9]
	s_or_b64 exec, exec, s[6:7]
	s_and_saveexec_b64 s[6:7], s[4:5]
	s_cbranch_execnz .LBB50_1619
	s_branch .LBB50_1620
.LBB50_3669:
	s_movk_i32 s4, 0x80
	v_cmp_eq_u16_e32 vcc, s4, v11
	s_mov_b64 s[4:5], -1
                                        ; implicit-def: $sgpr10
	s_and_saveexec_b64 s[8:9], vcc
; %bb.3670:
	s_mov_b32 s10, 0x7f800001
	s_xor_b64 s[4:5], exec, -1
; %bb.3671:
	s_or_b64 exec, exec, s[8:9]
	s_and_b64 s[4:5], s[4:5], exec
                                        ; implicit-def: $vgpr11
	s_or_saveexec_b64 s[6:7], s[6:7]
	v_mov_b32_e32 v14, s10
	s_xor_b64 exec, exec, s[6:7]
	s_cbranch_execz .LBB50_1622
.LBB50_3672:
	v_cmp_ne_u16_e32 vcc, 0, v11
	s_andn2_b64 s[4:5], s[4:5], exec
	s_and_b64 s[8:9], vcc, exec
	v_mov_b32_e32 v14, 0
	s_or_b64 s[4:5], s[4:5], s[8:9]
	s_or_b64 exec, exec, s[6:7]
	s_and_saveexec_b64 s[6:7], s[4:5]
	s_cbranch_execnz .LBB50_1623
	s_branch .LBB50_1624
.LBB50_3673:
	s_movk_i32 s4, 0x80
	v_cmp_eq_u16_sdwa s[12:13], v16, s4 src0_sel:BYTE_3 src1_sel:DWORD
	s_mov_b64 s[4:5], -1
                                        ; implicit-def: $sgpr10
	s_and_saveexec_b64 s[8:9], s[12:13]
; %bb.3674:
	s_mov_b32 s10, 0x7f800001
	s_xor_b64 s[4:5], exec, -1
; %bb.3675:
	s_or_b64 exec, exec, s[8:9]
	s_and_b64 s[4:5], s[4:5], exec
	s_or_saveexec_b64 s[6:7], s[6:7]
	v_mov_b32_e32 v10, s10
	s_xor_b64 exec, exec, s[6:7]
	s_cbranch_execz .LBB50_1626
.LBB50_3676:
	v_mov_b32_e32 v10, 0
	v_cmp_ne_u16_sdwa s[8:9], v16, v10 src0_sel:BYTE_3 src1_sel:DWORD
	s_andn2_b64 s[4:5], s[4:5], exec
	s_and_b64 s[8:9], s[8:9], exec
	s_or_b64 s[4:5], s[4:5], s[8:9]
	s_or_b64 exec, exec, s[6:7]
	s_and_saveexec_b64 s[6:7], s[4:5]
	s_cbranch_execnz .LBB50_1627
	s_branch .LBB50_1628
.LBB50_3677:
	s_movk_i32 s4, 0x80
	v_cmp_eq_u16_sdwa s[12:13], v12, s4 src0_sel:BYTE_3 src1_sel:DWORD
	s_mov_b64 s[4:5], -1
                                        ; implicit-def: $sgpr10
	s_and_saveexec_b64 s[8:9], s[12:13]
; %bb.3678:
	s_mov_b32 s10, 0x7f800001
	s_xor_b64 s[4:5], exec, -1
; %bb.3679:
	s_or_b64 exec, exec, s[8:9]
	s_and_b64 s[4:5], s[4:5], exec
	s_or_saveexec_b64 s[6:7], s[6:7]
	v_mov_b32_e32 v11, s10
	s_xor_b64 exec, exec, s[6:7]
	s_cbranch_execz .LBB50_1630
.LBB50_3680:
	v_mov_b32_e32 v11, 0
	v_cmp_ne_u16_sdwa s[8:9], v12, v11 src0_sel:BYTE_3 src1_sel:DWORD
	s_andn2_b64 s[4:5], s[4:5], exec
	s_and_b64 s[8:9], s[8:9], exec
	s_or_b64 s[4:5], s[4:5], s[8:9]
	s_or_b64 exec, exec, s[6:7]
	s_and_saveexec_b64 s[6:7], s[4:5]
	s_cbranch_execnz .LBB50_1631
	s_branch .LBB50_1632
.LBB50_3681:
	s_movk_i32 s4, 0x80
	v_cmp_eq_u16_sdwa s[12:13], v17, s4 src0_sel:BYTE_0 src1_sel:DWORD
	s_mov_b64 s[4:5], -1
                                        ; implicit-def: $sgpr10
	s_and_saveexec_b64 s[8:9], s[12:13]
; %bb.3682:
	s_mov_b32 s10, 0x7f800001
	s_xor_b64 s[4:5], exec, -1
; %bb.3683:
	s_or_b64 exec, exec, s[8:9]
	s_and_b64 s[4:5], s[4:5], exec
	s_or_saveexec_b64 s[6:7], s[6:7]
	v_mov_b32_e32 v10, s10
	s_xor_b64 exec, exec, s[6:7]
	s_cbranch_execz .LBB50_1634
.LBB50_3684:
	v_mov_b32_e32 v10, 0
	v_cmp_ne_u16_sdwa s[8:9], v17, v10 src0_sel:BYTE_0 src1_sel:DWORD
	s_andn2_b64 s[4:5], s[4:5], exec
	s_and_b64 s[8:9], s[8:9], exec
	s_or_b64 s[4:5], s[4:5], s[8:9]
	s_or_b64 exec, exec, s[6:7]
	s_and_saveexec_b64 s[6:7], s[4:5]
	s_cbranch_execnz .LBB50_1635
	s_branch .LBB50_1636
.LBB50_3685:
	s_movk_i32 s4, 0x80
	v_cmp_eq_u16_sdwa s[12:13], v13, s4 src0_sel:BYTE_0 src1_sel:DWORD
	s_mov_b64 s[4:5], -1
                                        ; implicit-def: $sgpr10
	s_and_saveexec_b64 s[8:9], s[12:13]
; %bb.3686:
	s_mov_b32 s10, 0x7f800001
	s_xor_b64 s[4:5], exec, -1
; %bb.3687:
	s_or_b64 exec, exec, s[8:9]
	s_and_b64 s[4:5], s[4:5], exec
	s_or_saveexec_b64 s[6:7], s[6:7]
	v_mov_b32_e32 v11, s10
	s_xor_b64 exec, exec, s[6:7]
	s_cbranch_execz .LBB50_1638
.LBB50_3688:
	v_mov_b32_e32 v11, 0
	v_cmp_ne_u16_sdwa s[8:9], v13, v11 src0_sel:BYTE_0 src1_sel:DWORD
	s_andn2_b64 s[4:5], s[4:5], exec
	s_and_b64 s[8:9], s[8:9], exec
	s_or_b64 s[4:5], s[4:5], s[8:9]
	s_or_b64 exec, exec, s[6:7]
	s_and_saveexec_b64 s[6:7], s[4:5]
	s_cbranch_execnz .LBB50_1639
	s_branch .LBB50_1640
.LBB50_3689:
	s_movk_i32 s4, 0x80
	v_cmp_eq_u16_sdwa s[12:13], v11, s4 src0_sel:BYTE_0 src1_sel:DWORD
	s_mov_b64 s[4:5], -1
                                        ; implicit-def: $sgpr10
	s_and_saveexec_b64 s[8:9], s[12:13]
; %bb.3690:
	s_mov_b32 s10, 0x7f800001
	s_xor_b64 s[4:5], exec, -1
; %bb.3691:
	s_or_b64 exec, exec, s[8:9]
	s_and_b64 s[4:5], s[4:5], exec
	s_or_saveexec_b64 s[6:7], s[6:7]
	v_mov_b32_e32 v10, s10
	s_xor_b64 exec, exec, s[6:7]
	s_cbranch_execz .LBB50_1642
.LBB50_3692:
	v_mov_b32_e32 v10, 0
	v_cmp_ne_u16_sdwa s[8:9], v11, v10 src0_sel:BYTE_0 src1_sel:DWORD
	s_andn2_b64 s[4:5], s[4:5], exec
	s_and_b64 s[8:9], s[8:9], exec
	s_or_b64 s[4:5], s[4:5], s[8:9]
	s_or_b64 exec, exec, s[6:7]
	s_and_saveexec_b64 s[6:7], s[4:5]
	s_cbranch_execnz .LBB50_1643
	s_branch .LBB50_1644
.LBB50_3693:
	s_movk_i32 s4, 0x80
	v_cmp_eq_u16_sdwa s[12:13], v11, s4 src0_sel:BYTE_0 src1_sel:DWORD
	s_mov_b64 s[4:5], -1
                                        ; implicit-def: $sgpr10
	s_and_saveexec_b64 s[8:9], s[12:13]
; %bb.3694:
	s_mov_b32 s10, 0x7f800001
	s_xor_b64 s[4:5], exec, -1
; %bb.3695:
	s_or_b64 exec, exec, s[8:9]
	s_and_b64 s[4:5], s[4:5], exec
	s_or_saveexec_b64 s[6:7], s[6:7]
	v_mov_b32_e32 v12, s10
	s_xor_b64 exec, exec, s[6:7]
	s_cbranch_execz .LBB50_1646
.LBB50_3696:
	v_mov_b32_e32 v12, 0
	v_cmp_ne_u16_sdwa s[8:9], v11, v12 src0_sel:BYTE_0 src1_sel:DWORD
	s_andn2_b64 s[4:5], s[4:5], exec
	s_and_b64 s[8:9], s[8:9], exec
	s_or_b64 s[4:5], s[4:5], s[8:9]
	s_or_b64 exec, exec, s[6:7]
	s_and_saveexec_b64 s[6:7], s[4:5]
	s_cbranch_execnz .LBB50_1647
	s_branch .LBB50_1648
.LBB50_3697:
	s_movk_i32 s4, 0x80
	v_cmp_eq_u16_e32 vcc, s4, v11
	s_mov_b64 s[4:5], -1
                                        ; implicit-def: $sgpr10
	s_and_saveexec_b64 s[8:9], vcc
; %bb.3698:
	s_mov_b32 s10, 0x7f800001
	s_xor_b64 s[4:5], exec, -1
; %bb.3699:
	s_or_b64 exec, exec, s[8:9]
	s_and_b64 s[4:5], s[4:5], exec
                                        ; implicit-def: $vgpr11
	s_or_saveexec_b64 s[6:7], s[6:7]
	v_mov_b32_e32 v10, s10
	s_xor_b64 exec, exec, s[6:7]
	s_cbranch_execz .LBB50_1650
.LBB50_3700:
	v_cmp_ne_u16_e32 vcc, 0, v11
	s_andn2_b64 s[4:5], s[4:5], exec
	s_and_b64 s[8:9], vcc, exec
	v_mov_b32_e32 v10, 0
	s_or_b64 s[4:5], s[4:5], s[8:9]
	s_or_b64 exec, exec, s[6:7]
	s_and_saveexec_b64 s[6:7], s[4:5]
	s_cbranch_execnz .LBB50_1651
	s_branch .LBB50_1652
.LBB50_3701:
	s_movk_i32 s4, 0x80
	v_cmp_eq_u16_e32 vcc, s4, v11
	s_mov_b64 s[4:5], -1
                                        ; implicit-def: $sgpr10
	s_and_saveexec_b64 s[8:9], vcc
; %bb.3702:
	s_mov_b32 s10, 0x7f800001
	s_xor_b64 s[4:5], exec, -1
; %bb.3703:
	s_or_b64 exec, exec, s[8:9]
	s_and_b64 s[4:5], s[4:5], exec
                                        ; implicit-def: $vgpr11
	s_or_saveexec_b64 s[6:7], s[6:7]
	v_mov_b32_e32 v12, s10
	s_xor_b64 exec, exec, s[6:7]
	s_cbranch_execz .LBB50_1654
.LBB50_3704:
	v_cmp_ne_u16_e32 vcc, 0, v11
	s_andn2_b64 s[4:5], s[4:5], exec
	s_and_b64 s[8:9], vcc, exec
	v_mov_b32_e32 v12, 0
	s_or_b64 s[4:5], s[4:5], s[8:9]
	s_or_b64 exec, exec, s[6:7]
	s_and_saveexec_b64 s[6:7], s[4:5]
	s_cbranch_execnz .LBB50_1655
	s_branch .LBB50_1656
.LBB50_3705:
	s_movk_i32 s4, 0x80
	v_cmp_eq_u16_sdwa s[12:13], v17, s4 src0_sel:BYTE_3 src1_sel:DWORD
	s_mov_b64 s[4:5], -1
                                        ; implicit-def: $sgpr10
	s_and_saveexec_b64 s[8:9], s[12:13]
; %bb.3706:
	s_mov_b32 s10, 0x7f800001
	s_xor_b64 s[4:5], exec, -1
; %bb.3707:
	s_or_b64 exec, exec, s[8:9]
	s_and_b64 s[4:5], s[4:5], exec
	s_or_saveexec_b64 s[6:7], s[6:7]
	v_mov_b32_e32 v10, s10
	s_xor_b64 exec, exec, s[6:7]
	s_cbranch_execz .LBB50_1658
.LBB50_3708:
	v_mov_b32_e32 v10, 0
	v_cmp_ne_u16_sdwa s[8:9], v17, v10 src0_sel:BYTE_3 src1_sel:DWORD
	s_andn2_b64 s[4:5], s[4:5], exec
	s_and_b64 s[8:9], s[8:9], exec
	s_or_b64 s[4:5], s[4:5], s[8:9]
	s_or_b64 exec, exec, s[6:7]
	s_and_saveexec_b64 s[6:7], s[4:5]
	s_cbranch_execnz .LBB50_1659
	s_branch .LBB50_1660
.LBB50_3709:
	s_movk_i32 s4, 0x80
	v_cmp_eq_u16_sdwa s[12:13], v13, s4 src0_sel:BYTE_3 src1_sel:DWORD
	s_mov_b64 s[4:5], -1
                                        ; implicit-def: $sgpr10
	s_and_saveexec_b64 s[8:9], s[12:13]
; %bb.3710:
	s_mov_b32 s10, 0x7f800001
	s_xor_b64 s[4:5], exec, -1
; %bb.3711:
	s_or_b64 exec, exec, s[8:9]
	s_and_b64 s[4:5], s[4:5], exec
	s_or_saveexec_b64 s[6:7], s[6:7]
	v_mov_b32_e32 v11, s10
	s_xor_b64 exec, exec, s[6:7]
	s_cbranch_execz .LBB50_1662
.LBB50_3712:
	v_mov_b32_e32 v11, 0
	v_cmp_ne_u16_sdwa s[8:9], v13, v11 src0_sel:BYTE_3 src1_sel:DWORD
	s_andn2_b64 s[4:5], s[4:5], exec
	s_and_b64 s[8:9], s[8:9], exec
	s_or_b64 s[4:5], s[4:5], s[8:9]
	s_or_b64 exec, exec, s[6:7]
	s_and_saveexec_b64 s[6:7], s[4:5]
	s_cbranch_execnz .LBB50_1663
	s_branch .LBB50_1664
.LBB50_3713:
	s_movk_i32 s4, 0x80
	v_cmp_eq_u16_sdwa s[12:13], v6, s4 src0_sel:BYTE_0 src1_sel:DWORD
	s_mov_b64 s[4:5], -1
                                        ; implicit-def: $sgpr10
	s_and_saveexec_b64 s[8:9], s[12:13]
; %bb.3714:
	s_mov_b32 s10, 0x7f800001
	s_xor_b64 s[4:5], exec, -1
; %bb.3715:
	s_or_b64 exec, exec, s[8:9]
	s_and_b64 s[4:5], s[4:5], exec
	s_or_saveexec_b64 s[6:7], s[6:7]
	v_mov_b32_e32 v10, s10
	s_xor_b64 exec, exec, s[6:7]
	s_cbranch_execz .LBB50_1666
.LBB50_3716:
	v_mov_b32_e32 v10, 0
	v_cmp_ne_u16_sdwa s[8:9], v6, v10 src0_sel:BYTE_0 src1_sel:DWORD
	s_andn2_b64 s[4:5], s[4:5], exec
	s_and_b64 s[8:9], s[8:9], exec
	s_or_b64 s[4:5], s[4:5], s[8:9]
	s_or_b64 exec, exec, s[6:7]
	s_and_saveexec_b64 s[6:7], s[4:5]
	s_cbranch_execnz .LBB50_1667
	s_branch .LBB50_1668
.LBB50_3717:
	s_movk_i32 s4, 0x80
	v_cmp_eq_u16_sdwa s[12:13], v2, s4 src0_sel:BYTE_0 src1_sel:DWORD
	s_mov_b64 s[4:5], -1
                                        ; implicit-def: $sgpr10
	s_and_saveexec_b64 s[8:9], s[12:13]
; %bb.3718:
	s_mov_b32 s10, 0x7f800001
	s_xor_b64 s[4:5], exec, -1
; %bb.3719:
	s_or_b64 exec, exec, s[8:9]
	s_and_b64 s[4:5], s[4:5], exec
	s_or_saveexec_b64 s[6:7], s[6:7]
	v_mov_b32_e32 v11, s10
	s_xor_b64 exec, exec, s[6:7]
	s_cbranch_execz .LBB50_1670
.LBB50_3720:
	v_mov_b32_e32 v11, 0
	v_cmp_ne_u16_sdwa s[8:9], v2, v11 src0_sel:BYTE_0 src1_sel:DWORD
	s_andn2_b64 s[4:5], s[4:5], exec
	s_and_b64 s[8:9], s[8:9], exec
	s_or_b64 s[4:5], s[4:5], s[8:9]
	s_or_b64 exec, exec, s[6:7]
	s_and_saveexec_b64 s[6:7], s[4:5]
	s_cbranch_execnz .LBB50_1671
	s_branch .LBB50_1672
.LBB50_3721:
	s_movk_i32 s4, 0x80
	v_cmp_eq_u16_sdwa s[12:13], v11, s4 src0_sel:BYTE_0 src1_sel:DWORD
	s_mov_b64 s[4:5], -1
                                        ; implicit-def: $sgpr10
	s_and_saveexec_b64 s[8:9], s[12:13]
; %bb.3722:
	s_mov_b32 s10, 0x7f800001
	s_xor_b64 s[4:5], exec, -1
; %bb.3723:
	s_or_b64 exec, exec, s[8:9]
	s_and_b64 s[4:5], s[4:5], exec
	s_or_saveexec_b64 s[6:7], s[6:7]
	v_mov_b32_e32 v10, s10
	s_xor_b64 exec, exec, s[6:7]
	s_cbranch_execz .LBB50_1674
.LBB50_3724:
	v_mov_b32_e32 v10, 0
	v_cmp_ne_u16_sdwa s[8:9], v11, v10 src0_sel:BYTE_0 src1_sel:DWORD
	s_andn2_b64 s[4:5], s[4:5], exec
	s_and_b64 s[8:9], s[8:9], exec
	s_or_b64 s[4:5], s[4:5], s[8:9]
	s_or_b64 exec, exec, s[6:7]
	s_and_saveexec_b64 s[6:7], s[4:5]
	s_cbranch_execnz .LBB50_1675
	s_branch .LBB50_1676
.LBB50_3725:
	s_movk_i32 s4, 0x80
	v_cmp_eq_u16_sdwa s[12:13], v11, s4 src0_sel:BYTE_0 src1_sel:DWORD
	s_mov_b64 s[4:5], -1
                                        ; implicit-def: $sgpr10
	s_and_saveexec_b64 s[8:9], s[12:13]
; %bb.3726:
	s_mov_b32 s10, 0x7f800001
	s_xor_b64 s[4:5], exec, -1
; %bb.3727:
	s_or_b64 exec, exec, s[8:9]
	s_and_b64 s[4:5], s[4:5], exec
	s_or_saveexec_b64 s[6:7], s[6:7]
	v_mov_b32_e32 v12, s10
	s_xor_b64 exec, exec, s[6:7]
	s_cbranch_execz .LBB50_1678
.LBB50_3728:
	v_mov_b32_e32 v12, 0
	v_cmp_ne_u16_sdwa s[8:9], v11, v12 src0_sel:BYTE_0 src1_sel:DWORD
	s_andn2_b64 s[4:5], s[4:5], exec
	s_and_b64 s[8:9], s[8:9], exec
	s_or_b64 s[4:5], s[4:5], s[8:9]
	s_or_b64 exec, exec, s[6:7]
	s_and_saveexec_b64 s[6:7], s[4:5]
	s_cbranch_execnz .LBB50_1679
	s_branch .LBB50_1680
.LBB50_3729:
	s_movk_i32 s4, 0x80
	v_cmp_eq_u16_e32 vcc, s4, v11
	s_mov_b64 s[4:5], -1
                                        ; implicit-def: $sgpr10
	s_and_saveexec_b64 s[8:9], vcc
; %bb.3730:
	s_mov_b32 s10, 0x7f800001
	s_xor_b64 s[4:5], exec, -1
; %bb.3731:
	s_or_b64 exec, exec, s[8:9]
	s_and_b64 s[4:5], s[4:5], exec
                                        ; implicit-def: $vgpr11
	s_or_saveexec_b64 s[6:7], s[6:7]
	v_mov_b32_e32 v10, s10
	s_xor_b64 exec, exec, s[6:7]
	s_cbranch_execz .LBB50_1682
.LBB50_3732:
	v_cmp_ne_u16_e32 vcc, 0, v11
	s_andn2_b64 s[4:5], s[4:5], exec
	s_and_b64 s[8:9], vcc, exec
	v_mov_b32_e32 v10, 0
	s_or_b64 s[4:5], s[4:5], s[8:9]
	s_or_b64 exec, exec, s[6:7]
	s_and_saveexec_b64 s[6:7], s[4:5]
	s_cbranch_execnz .LBB50_1683
	s_branch .LBB50_1684
.LBB50_3733:
	s_movk_i32 s4, 0x80
	v_cmp_eq_u16_e32 vcc, s4, v11
	s_mov_b64 s[4:5], -1
                                        ; implicit-def: $sgpr10
	s_and_saveexec_b64 s[8:9], vcc
; %bb.3734:
	s_mov_b32 s10, 0x7f800001
	s_xor_b64 s[4:5], exec, -1
; %bb.3735:
	s_or_b64 exec, exec, s[8:9]
	s_and_b64 s[4:5], s[4:5], exec
                                        ; implicit-def: $vgpr11
	s_or_saveexec_b64 s[6:7], s[6:7]
	v_mov_b32_e32 v12, s10
	s_xor_b64 exec, exec, s[6:7]
	s_cbranch_execz .LBB50_1686
.LBB50_3736:
	v_cmp_ne_u16_e32 vcc, 0, v11
	s_andn2_b64 s[4:5], s[4:5], exec
	s_and_b64 s[8:9], vcc, exec
	v_mov_b32_e32 v12, 0
	s_or_b64 s[4:5], s[4:5], s[8:9]
	s_or_b64 exec, exec, s[6:7]
	s_and_saveexec_b64 s[6:7], s[4:5]
	s_cbranch_execnz .LBB50_1687
	s_branch .LBB50_1688
.LBB50_3737:
	s_movk_i32 s4, 0x80
	v_cmp_eq_u16_sdwa s[12:13], v6, s4 src0_sel:BYTE_3 src1_sel:DWORD
	s_mov_b64 s[4:5], -1
                                        ; implicit-def: $sgpr10
	s_and_saveexec_b64 s[8:9], s[12:13]
; %bb.3738:
	s_mov_b32 s10, 0x7f800001
	s_xor_b64 s[4:5], exec, -1
; %bb.3739:
	s_or_b64 exec, exec, s[8:9]
	s_and_b64 s[4:5], s[4:5], exec
	s_or_saveexec_b64 s[6:7], s[6:7]
	v_mov_b32_e32 v10, s10
	s_xor_b64 exec, exec, s[6:7]
	s_cbranch_execz .LBB50_1690
.LBB50_3740:
	v_mov_b32_e32 v10, 0
	v_cmp_ne_u16_sdwa s[8:9], v6, v10 src0_sel:BYTE_3 src1_sel:DWORD
	s_andn2_b64 s[4:5], s[4:5], exec
	s_and_b64 s[8:9], s[8:9], exec
	s_or_b64 s[4:5], s[4:5], s[8:9]
	s_or_b64 exec, exec, s[6:7]
	s_and_saveexec_b64 s[6:7], s[4:5]
	s_cbranch_execnz .LBB50_1691
	s_branch .LBB50_1692
.LBB50_3741:
	s_movk_i32 s4, 0x80
	v_cmp_eq_u16_sdwa s[12:13], v2, s4 src0_sel:BYTE_3 src1_sel:DWORD
	s_mov_b64 s[4:5], -1
                                        ; implicit-def: $sgpr10
	s_and_saveexec_b64 s[8:9], s[12:13]
; %bb.3742:
	s_mov_b32 s10, 0x7f800001
	s_xor_b64 s[4:5], exec, -1
; %bb.3743:
	s_or_b64 exec, exec, s[8:9]
	s_and_b64 s[4:5], s[4:5], exec
	s_or_saveexec_b64 s[6:7], s[6:7]
	v_mov_b32_e32 v6, s10
	s_xor_b64 exec, exec, s[6:7]
	s_cbranch_execz .LBB50_1694
.LBB50_3744:
	v_mov_b32_e32 v6, 0
	v_cmp_ne_u16_sdwa s[8:9], v2, v6 src0_sel:BYTE_3 src1_sel:DWORD
	s_andn2_b64 s[4:5], s[4:5], exec
	s_and_b64 s[8:9], s[8:9], exec
	s_or_b64 s[4:5], s[4:5], s[8:9]
	s_or_b64 exec, exec, s[6:7]
	s_and_saveexec_b64 s[6:7], s[4:5]
	s_cbranch_execnz .LBB50_1695
	s_branch .LBB50_1696
.LBB50_3745:
	s_movk_i32 s4, 0x80
	v_cmp_eq_u16_sdwa s[12:13], v7, s4 src0_sel:BYTE_0 src1_sel:DWORD
	s_mov_b64 s[4:5], -1
                                        ; implicit-def: $sgpr10
	s_and_saveexec_b64 s[8:9], s[12:13]
; %bb.3746:
	s_mov_b32 s10, 0x7f800001
	s_xor_b64 s[4:5], exec, -1
; %bb.3747:
	s_or_b64 exec, exec, s[8:9]
	s_and_b64 s[4:5], s[4:5], exec
	s_or_saveexec_b64 s[6:7], s[6:7]
	v_mov_b32_e32 v2, s10
	s_xor_b64 exec, exec, s[6:7]
	s_cbranch_execz .LBB50_1698
.LBB50_3748:
	v_mov_b32_e32 v2, 0
	v_cmp_ne_u16_sdwa s[8:9], v7, v2 src0_sel:BYTE_0 src1_sel:DWORD
	s_andn2_b64 s[4:5], s[4:5], exec
	s_and_b64 s[8:9], s[8:9], exec
	s_or_b64 s[4:5], s[4:5], s[8:9]
	s_or_b64 exec, exec, s[6:7]
	s_and_saveexec_b64 s[6:7], s[4:5]
	s_cbranch_execnz .LBB50_1699
	s_branch .LBB50_1700
.LBB50_3749:
	s_movk_i32 s4, 0x80
	v_cmp_eq_u16_sdwa s[12:13], v3, s4 src0_sel:BYTE_0 src1_sel:DWORD
	s_mov_b64 s[4:5], -1
                                        ; implicit-def: $sgpr10
	s_and_saveexec_b64 s[8:9], s[12:13]
; %bb.3750:
	s_mov_b32 s10, 0x7f800001
	s_xor_b64 s[4:5], exec, -1
; %bb.3751:
	s_or_b64 exec, exec, s[8:9]
	s_and_b64 s[4:5], s[4:5], exec
	s_or_saveexec_b64 s[6:7], s[6:7]
	v_mov_b32_e32 v6, s10
	s_xor_b64 exec, exec, s[6:7]
	s_cbranch_execz .LBB50_1702
.LBB50_3752:
	v_mov_b32_e32 v6, 0
	v_cmp_ne_u16_sdwa s[8:9], v3, v6 src0_sel:BYTE_0 src1_sel:DWORD
	s_andn2_b64 s[4:5], s[4:5], exec
	s_and_b64 s[8:9], s[8:9], exec
	s_or_b64 s[4:5], s[4:5], s[8:9]
	s_or_b64 exec, exec, s[6:7]
	s_and_saveexec_b64 s[6:7], s[4:5]
	s_cbranch_execnz .LBB50_1703
	s_branch .LBB50_1704
.LBB50_3753:
	s_movk_i32 s4, 0x80
	v_cmp_eq_u16_sdwa s[12:13], v6, s4 src0_sel:BYTE_0 src1_sel:DWORD
	s_mov_b64 s[4:5], -1
                                        ; implicit-def: $sgpr10
	s_and_saveexec_b64 s[8:9], s[12:13]
; %bb.3754:
	s_mov_b32 s10, 0x7f800001
	s_xor_b64 s[4:5], exec, -1
; %bb.3755:
	s_or_b64 exec, exec, s[8:9]
	s_and_b64 s[4:5], s[4:5], exec
	s_or_saveexec_b64 s[6:7], s[6:7]
	v_mov_b32_e32 v2, s10
	s_xor_b64 exec, exec, s[6:7]
	s_cbranch_execz .LBB50_1706
.LBB50_3756:
	v_mov_b32_e32 v2, 0
	v_cmp_ne_u16_sdwa s[8:9], v6, v2 src0_sel:BYTE_0 src1_sel:DWORD
	s_andn2_b64 s[4:5], s[4:5], exec
	s_and_b64 s[8:9], s[8:9], exec
	s_or_b64 s[4:5], s[4:5], s[8:9]
	s_or_b64 exec, exec, s[6:7]
	s_and_saveexec_b64 s[6:7], s[4:5]
	s_cbranch_execnz .LBB50_1707
	s_branch .LBB50_1708
.LBB50_3757:
	s_movk_i32 s4, 0x80
	v_cmp_eq_u16_sdwa s[12:13], v6, s4 src0_sel:BYTE_0 src1_sel:DWORD
	s_mov_b64 s[4:5], -1
                                        ; implicit-def: $sgpr10
	s_and_saveexec_b64 s[8:9], s[12:13]
; %bb.3758:
	s_mov_b32 s10, 0x7f800001
	s_xor_b64 s[4:5], exec, -1
; %bb.3759:
	s_or_b64 exec, exec, s[8:9]
	s_and_b64 s[4:5], s[4:5], exec
	s_or_saveexec_b64 s[6:7], s[6:7]
	v_mov_b32_e32 v10, s10
	s_xor_b64 exec, exec, s[6:7]
	s_cbranch_execz .LBB50_1710
.LBB50_3760:
	v_mov_b32_e32 v10, 0
	v_cmp_ne_u16_sdwa s[8:9], v6, v10 src0_sel:BYTE_0 src1_sel:DWORD
	s_andn2_b64 s[4:5], s[4:5], exec
	s_and_b64 s[8:9], s[8:9], exec
	s_or_b64 s[4:5], s[4:5], s[8:9]
	s_or_b64 exec, exec, s[6:7]
	s_and_saveexec_b64 s[6:7], s[4:5]
	s_cbranch_execnz .LBB50_1711
	s_branch .LBB50_1712
.LBB50_3761:
	s_movk_i32 s4, 0x80
	v_cmp_eq_u16_e32 vcc, s4, v6
	s_mov_b64 s[4:5], -1
                                        ; implicit-def: $sgpr10
	s_and_saveexec_b64 s[8:9], vcc
; %bb.3762:
	s_mov_b32 s10, 0x7f800001
	s_xor_b64 s[4:5], exec, -1
; %bb.3763:
	s_or_b64 exec, exec, s[8:9]
	s_and_b64 s[4:5], s[4:5], exec
                                        ; implicit-def: $vgpr6
	s_or_saveexec_b64 s[6:7], s[6:7]
	v_mov_b32_e32 v2, s10
	s_xor_b64 exec, exec, s[6:7]
	s_cbranch_execz .LBB50_1714
.LBB50_3764:
	v_cmp_ne_u16_e32 vcc, 0, v6
	s_andn2_b64 s[4:5], s[4:5], exec
	s_and_b64 s[8:9], vcc, exec
	v_mov_b32_e32 v2, 0
	s_or_b64 s[4:5], s[4:5], s[8:9]
	s_or_b64 exec, exec, s[6:7]
	s_and_saveexec_b64 s[6:7], s[4:5]
	s_cbranch_execnz .LBB50_1715
	s_branch .LBB50_1716
.LBB50_3765:
	s_movk_i32 s4, 0x80
	v_cmp_eq_u16_e32 vcc, s4, v6
	s_mov_b64 s[4:5], -1
                                        ; implicit-def: $sgpr10
	s_and_saveexec_b64 s[8:9], vcc
; %bb.3766:
	s_mov_b32 s10, 0x7f800001
	s_xor_b64 s[4:5], exec, -1
; %bb.3767:
	s_or_b64 exec, exec, s[8:9]
	s_and_b64 s[4:5], s[4:5], exec
                                        ; implicit-def: $vgpr6
	s_or_saveexec_b64 s[6:7], s[6:7]
	v_mov_b32_e32 v10, s10
	s_xor_b64 exec, exec, s[6:7]
	s_cbranch_execz .LBB50_1718
.LBB50_3768:
	v_cmp_ne_u16_e32 vcc, 0, v6
	s_andn2_b64 s[4:5], s[4:5], exec
	s_and_b64 s[8:9], vcc, exec
	v_mov_b32_e32 v10, 0
	s_or_b64 s[4:5], s[4:5], s[8:9]
	s_or_b64 exec, exec, s[6:7]
	s_and_saveexec_b64 s[6:7], s[4:5]
	s_cbranch_execnz .LBB50_1719
	s_branch .LBB50_1720
.LBB50_3769:
	s_movk_i32 s4, 0x80
	v_cmp_eq_u16_sdwa s[12:13], v7, s4 src0_sel:BYTE_3 src1_sel:DWORD
	s_mov_b64 s[4:5], -1
                                        ; implicit-def: $sgpr10
	s_and_saveexec_b64 s[8:9], s[12:13]
; %bb.3770:
	s_mov_b32 s10, 0x7f800001
	s_xor_b64 s[4:5], exec, -1
; %bb.3771:
	s_or_b64 exec, exec, s[8:9]
	s_and_b64 s[4:5], s[4:5], exec
	s_or_saveexec_b64 s[6:7], s[6:7]
	v_mov_b32_e32 v2, s10
	s_xor_b64 exec, exec, s[6:7]
	s_cbranch_execz .LBB50_1722
.LBB50_3772:
	v_mov_b32_e32 v2, 0
	v_cmp_ne_u16_sdwa s[8:9], v7, v2 src0_sel:BYTE_3 src1_sel:DWORD
	s_andn2_b64 s[4:5], s[4:5], exec
	s_and_b64 s[8:9], s[8:9], exec
	s_or_b64 s[4:5], s[4:5], s[8:9]
	s_or_b64 exec, exec, s[6:7]
	s_and_saveexec_b64 s[6:7], s[4:5]
	s_cbranch_execnz .LBB50_1723
	s_branch .LBB50_1724
.LBB50_3773:
	s_movk_i32 s4, 0x80
	v_cmp_eq_u16_sdwa s[12:13], v3, s4 src0_sel:BYTE_3 src1_sel:DWORD
	s_mov_b64 s[4:5], -1
                                        ; implicit-def: $sgpr10
	s_and_saveexec_b64 s[8:9], s[12:13]
; %bb.3774:
	s_mov_b32 s10, 0x7f800001
	s_xor_b64 s[4:5], exec, -1
; %bb.3775:
	s_or_b64 exec, exec, s[8:9]
	s_and_b64 s[4:5], s[4:5], exec
	s_or_saveexec_b64 s[6:7], s[6:7]
	v_mov_b32_e32 v6, s10
	s_xor_b64 exec, exec, s[6:7]
	s_cbranch_execz .LBB50_1726
.LBB50_3776:
	v_mov_b32_e32 v6, 0
	v_cmp_ne_u16_sdwa s[8:9], v3, v6 src0_sel:BYTE_3 src1_sel:DWORD
	s_andn2_b64 s[4:5], s[4:5], exec
	s_and_b64 s[8:9], s[8:9], exec
	s_or_b64 s[4:5], s[4:5], s[8:9]
	s_or_b64 exec, exec, s[6:7]
	s_and_saveexec_b64 s[6:7], s[4:5]
	s_cbranch_execnz .LBB50_1727
	s_branch .LBB50_1728
.LBB50_3777:
	s_movk_i32 s4, 0x80
	v_cmp_eq_u16_sdwa s[12:13], v8, s4 src0_sel:BYTE_0 src1_sel:DWORD
	s_mov_b64 s[4:5], -1
                                        ; implicit-def: $sgpr10
	s_and_saveexec_b64 s[8:9], s[12:13]
; %bb.3778:
	s_mov_b32 s10, 0x7f800001
	s_xor_b64 s[4:5], exec, -1
; %bb.3779:
	s_or_b64 exec, exec, s[8:9]
	s_and_b64 s[4:5], s[4:5], exec
	s_or_saveexec_b64 s[6:7], s[6:7]
	v_mov_b32_e32 v2, s10
	s_xor_b64 exec, exec, s[6:7]
	s_cbranch_execz .LBB50_1730
.LBB50_3780:
	v_mov_b32_e32 v2, 0
	v_cmp_ne_u16_sdwa s[8:9], v8, v2 src0_sel:BYTE_0 src1_sel:DWORD
	s_andn2_b64 s[4:5], s[4:5], exec
	s_and_b64 s[8:9], s[8:9], exec
	s_or_b64 s[4:5], s[4:5], s[8:9]
	s_or_b64 exec, exec, s[6:7]
	s_and_saveexec_b64 s[6:7], s[4:5]
	s_cbranch_execnz .LBB50_1731
	s_branch .LBB50_1732
.LBB50_3781:
	s_movk_i32 s4, 0x80
	v_cmp_eq_u16_sdwa s[12:13], v4, s4 src0_sel:BYTE_0 src1_sel:DWORD
	s_mov_b64 s[4:5], -1
                                        ; implicit-def: $sgpr10
	s_and_saveexec_b64 s[8:9], s[12:13]
; %bb.3782:
	s_mov_b32 s10, 0x7f800001
	s_xor_b64 s[4:5], exec, -1
; %bb.3783:
	s_or_b64 exec, exec, s[8:9]
	s_and_b64 s[4:5], s[4:5], exec
	s_or_saveexec_b64 s[6:7], s[6:7]
	v_mov_b32_e32 v3, s10
	s_xor_b64 exec, exec, s[6:7]
	s_cbranch_execz .LBB50_1734
.LBB50_3784:
	v_mov_b32_e32 v3, 0
	v_cmp_ne_u16_sdwa s[8:9], v4, v3 src0_sel:BYTE_0 src1_sel:DWORD
	s_andn2_b64 s[4:5], s[4:5], exec
	s_and_b64 s[8:9], s[8:9], exec
	s_or_b64 s[4:5], s[4:5], s[8:9]
	s_or_b64 exec, exec, s[6:7]
	s_and_saveexec_b64 s[6:7], s[4:5]
	s_cbranch_execnz .LBB50_1735
	s_branch .LBB50_1736
.LBB50_3785:
	s_movk_i32 s4, 0x80
	v_cmp_eq_u16_sdwa s[12:13], v3, s4 src0_sel:BYTE_0 src1_sel:DWORD
	s_mov_b64 s[4:5], -1
                                        ; implicit-def: $sgpr10
	s_and_saveexec_b64 s[8:9], s[12:13]
; %bb.3786:
	s_mov_b32 s10, 0x7f800001
	s_xor_b64 s[4:5], exec, -1
; %bb.3787:
	s_or_b64 exec, exec, s[8:9]
	s_and_b64 s[4:5], s[4:5], exec
	s_or_saveexec_b64 s[6:7], s[6:7]
	v_mov_b32_e32 v2, s10
	s_xor_b64 exec, exec, s[6:7]
	s_cbranch_execz .LBB50_1738
.LBB50_3788:
	v_mov_b32_e32 v2, 0
	v_cmp_ne_u16_sdwa s[8:9], v3, v2 src0_sel:BYTE_0 src1_sel:DWORD
	s_andn2_b64 s[4:5], s[4:5], exec
	s_and_b64 s[8:9], s[8:9], exec
	s_or_b64 s[4:5], s[4:5], s[8:9]
	s_or_b64 exec, exec, s[6:7]
	s_and_saveexec_b64 s[6:7], s[4:5]
	s_cbranch_execnz .LBB50_1739
	s_branch .LBB50_1740
.LBB50_3789:
	s_movk_i32 s4, 0x80
	v_cmp_eq_u16_sdwa s[12:13], v3, s4 src0_sel:BYTE_0 src1_sel:DWORD
	s_mov_b64 s[4:5], -1
                                        ; implicit-def: $sgpr10
	s_and_saveexec_b64 s[8:9], s[12:13]
; %bb.3790:
	s_mov_b32 s10, 0x7f800001
	s_xor_b64 s[4:5], exec, -1
; %bb.3791:
	s_or_b64 exec, exec, s[8:9]
	s_and_b64 s[4:5], s[4:5], exec
	s_or_saveexec_b64 s[6:7], s[6:7]
	v_mov_b32_e32 v6, s10
	s_xor_b64 exec, exec, s[6:7]
	s_cbranch_execz .LBB50_1742
.LBB50_3792:
	v_mov_b32_e32 v6, 0
	v_cmp_ne_u16_sdwa s[8:9], v3, v6 src0_sel:BYTE_0 src1_sel:DWORD
	s_andn2_b64 s[4:5], s[4:5], exec
	s_and_b64 s[8:9], s[8:9], exec
	s_or_b64 s[4:5], s[4:5], s[8:9]
	s_or_b64 exec, exec, s[6:7]
	s_and_saveexec_b64 s[6:7], s[4:5]
	s_cbranch_execnz .LBB50_1743
	s_branch .LBB50_1744
.LBB50_3793:
	s_movk_i32 s4, 0x80
	v_cmp_eq_u16_e32 vcc, s4, v3
	s_mov_b64 s[4:5], -1
                                        ; implicit-def: $sgpr10
	s_and_saveexec_b64 s[8:9], vcc
; %bb.3794:
	s_mov_b32 s10, 0x7f800001
	s_xor_b64 s[4:5], exec, -1
; %bb.3795:
	s_or_b64 exec, exec, s[8:9]
	s_and_b64 s[4:5], s[4:5], exec
                                        ; implicit-def: $vgpr3
	s_or_saveexec_b64 s[6:7], s[6:7]
	v_mov_b32_e32 v2, s10
	s_xor_b64 exec, exec, s[6:7]
	s_cbranch_execz .LBB50_1746
.LBB50_3796:
	v_cmp_ne_u16_e32 vcc, 0, v3
	s_andn2_b64 s[4:5], s[4:5], exec
	s_and_b64 s[8:9], vcc, exec
	v_mov_b32_e32 v2, 0
	s_or_b64 s[4:5], s[4:5], s[8:9]
	s_or_b64 exec, exec, s[6:7]
	s_and_saveexec_b64 s[6:7], s[4:5]
	s_cbranch_execnz .LBB50_1747
	s_branch .LBB50_1748
.LBB50_3797:
	s_movk_i32 s4, 0x80
	v_cmp_eq_u16_e32 vcc, s4, v3
	s_mov_b64 s[4:5], -1
                                        ; implicit-def: $sgpr10
	s_and_saveexec_b64 s[8:9], vcc
; %bb.3798:
	s_mov_b32 s10, 0x7f800001
	s_xor_b64 s[4:5], exec, -1
; %bb.3799:
	s_or_b64 exec, exec, s[8:9]
	s_and_b64 s[4:5], s[4:5], exec
                                        ; implicit-def: $vgpr3
	s_or_saveexec_b64 s[6:7], s[6:7]
	v_mov_b32_e32 v6, s10
	s_xor_b64 exec, exec, s[6:7]
	s_cbranch_execz .LBB50_1750
.LBB50_3800:
	v_cmp_ne_u16_e32 vcc, 0, v3
	s_andn2_b64 s[4:5], s[4:5], exec
	s_and_b64 s[8:9], vcc, exec
	v_mov_b32_e32 v6, 0
	s_or_b64 s[4:5], s[4:5], s[8:9]
	s_or_b64 exec, exec, s[6:7]
	s_and_saveexec_b64 s[6:7], s[4:5]
	s_cbranch_execnz .LBB50_1751
	s_branch .LBB50_1752
.LBB50_3801:
	s_movk_i32 s4, 0x80
	v_cmp_eq_u16_sdwa s[12:13], v8, s4 src0_sel:BYTE_3 src1_sel:DWORD
	s_mov_b64 s[4:5], -1
                                        ; implicit-def: $sgpr10
	s_and_saveexec_b64 s[8:9], s[12:13]
; %bb.3802:
	s_mov_b32 s10, 0x7f800001
	s_xor_b64 s[4:5], exec, -1
; %bb.3803:
	s_or_b64 exec, exec, s[8:9]
	s_and_b64 s[4:5], s[4:5], exec
	s_or_saveexec_b64 s[6:7], s[6:7]
	v_mov_b32_e32 v2, s10
	s_xor_b64 exec, exec, s[6:7]
	s_cbranch_execz .LBB50_1754
.LBB50_3804:
	v_mov_b32_e32 v2, 0
	v_cmp_ne_u16_sdwa s[8:9], v8, v2 src0_sel:BYTE_3 src1_sel:DWORD
	s_andn2_b64 s[4:5], s[4:5], exec
	s_and_b64 s[8:9], s[8:9], exec
	s_or_b64 s[4:5], s[4:5], s[8:9]
	s_or_b64 exec, exec, s[6:7]
	s_and_saveexec_b64 s[6:7], s[4:5]
	s_cbranch_execnz .LBB50_1755
	s_branch .LBB50_1756
.LBB50_3805:
	s_movk_i32 s4, 0x80
	v_cmp_eq_u16_sdwa s[12:13], v4, s4 src0_sel:BYTE_3 src1_sel:DWORD
	s_mov_b64 s[4:5], -1
                                        ; implicit-def: $sgpr10
	s_and_saveexec_b64 s[8:9], s[12:13]
; %bb.3806:
	s_mov_b32 s10, 0x7f800001
	s_xor_b64 s[4:5], exec, -1
; %bb.3807:
	s_or_b64 exec, exec, s[8:9]
	s_and_b64 s[4:5], s[4:5], exec
	s_or_saveexec_b64 s[6:7], s[6:7]
	v_mov_b32_e32 v3, s10
	s_xor_b64 exec, exec, s[6:7]
	s_cbranch_execz .LBB50_1758
.LBB50_3808:
	v_mov_b32_e32 v3, 0
	v_cmp_ne_u16_sdwa s[8:9], v4, v3 src0_sel:BYTE_3 src1_sel:DWORD
	s_andn2_b64 s[4:5], s[4:5], exec
	s_and_b64 s[8:9], s[8:9], exec
	s_or_b64 s[4:5], s[4:5], s[8:9]
	s_or_b64 exec, exec, s[6:7]
	s_and_saveexec_b64 s[6:7], s[4:5]
	s_cbranch_execnz .LBB50_1759
	s_branch .LBB50_1760
.LBB50_3809:
	s_movk_i32 s4, 0x80
	v_cmp_eq_u16_sdwa s[12:13], v9, s4 src0_sel:BYTE_0 src1_sel:DWORD
	s_mov_b64 s[4:5], -1
                                        ; implicit-def: $sgpr10
	s_and_saveexec_b64 s[8:9], s[12:13]
; %bb.3810:
	s_mov_b32 s10, 0x7f800001
	s_xor_b64 s[4:5], exec, -1
; %bb.3811:
	s_or_b64 exec, exec, s[8:9]
	s_and_b64 s[4:5], s[4:5], exec
	s_or_saveexec_b64 s[6:7], s[6:7]
	v_mov_b32_e32 v2, s10
	s_xor_b64 exec, exec, s[6:7]
	s_cbranch_execz .LBB50_1762
.LBB50_3812:
	v_mov_b32_e32 v2, 0
	v_cmp_ne_u16_sdwa s[8:9], v9, v2 src0_sel:BYTE_0 src1_sel:DWORD
	s_andn2_b64 s[4:5], s[4:5], exec
	s_and_b64 s[8:9], s[8:9], exec
	s_or_b64 s[4:5], s[4:5], s[8:9]
	s_or_b64 exec, exec, s[6:7]
	s_and_saveexec_b64 s[6:7], s[4:5]
	s_cbranch_execnz .LBB50_1763
	s_branch .LBB50_1764
.LBB50_3813:
	s_movk_i32 s4, 0x80
	v_cmp_eq_u16_sdwa s[12:13], v5, s4 src0_sel:BYTE_0 src1_sel:DWORD
	s_mov_b64 s[4:5], -1
                                        ; implicit-def: $sgpr10
	s_and_saveexec_b64 s[8:9], s[12:13]
; %bb.3814:
	s_mov_b32 s10, 0x7f800001
	s_xor_b64 s[4:5], exec, -1
; %bb.3815:
	s_or_b64 exec, exec, s[8:9]
	s_and_b64 s[4:5], s[4:5], exec
	s_or_saveexec_b64 s[6:7], s[6:7]
	v_mov_b32_e32 v3, s10
	s_xor_b64 exec, exec, s[6:7]
	s_cbranch_execz .LBB50_1766
.LBB50_3816:
	v_mov_b32_e32 v3, 0
	v_cmp_ne_u16_sdwa s[8:9], v5, v3 src0_sel:BYTE_0 src1_sel:DWORD
	s_andn2_b64 s[4:5], s[4:5], exec
	s_and_b64 s[8:9], s[8:9], exec
	s_or_b64 s[4:5], s[4:5], s[8:9]
	s_or_b64 exec, exec, s[6:7]
	s_and_saveexec_b64 s[6:7], s[4:5]
	s_cbranch_execnz .LBB50_1767
	s_branch .LBB50_1768
.LBB50_3817:
	s_movk_i32 s4, 0x80
	v_cmp_eq_u16_sdwa s[12:13], v3, s4 src0_sel:BYTE_0 src1_sel:DWORD
	s_mov_b64 s[4:5], -1
                                        ; implicit-def: $sgpr10
	s_and_saveexec_b64 s[8:9], s[12:13]
; %bb.3818:
	s_mov_b32 s10, 0x7f800001
	s_xor_b64 s[4:5], exec, -1
; %bb.3819:
	s_or_b64 exec, exec, s[8:9]
	s_and_b64 s[4:5], s[4:5], exec
	s_or_saveexec_b64 s[6:7], s[6:7]
	v_mov_b32_e32 v2, s10
	s_xor_b64 exec, exec, s[6:7]
	s_cbranch_execz .LBB50_1770
.LBB50_3820:
	v_mov_b32_e32 v2, 0
	v_cmp_ne_u16_sdwa s[8:9], v3, v2 src0_sel:BYTE_0 src1_sel:DWORD
	s_andn2_b64 s[4:5], s[4:5], exec
	s_and_b64 s[8:9], s[8:9], exec
	s_or_b64 s[4:5], s[4:5], s[8:9]
	s_or_b64 exec, exec, s[6:7]
	s_and_saveexec_b64 s[6:7], s[4:5]
	s_cbranch_execnz .LBB50_1771
	s_branch .LBB50_1772
.LBB50_3821:
	s_movk_i32 s4, 0x80
	v_cmp_eq_u16_sdwa s[12:13], v3, s4 src0_sel:BYTE_0 src1_sel:DWORD
	s_mov_b64 s[4:5], -1
                                        ; implicit-def: $sgpr10
	s_and_saveexec_b64 s[8:9], s[12:13]
; %bb.3822:
	s_mov_b32 s10, 0x7f800001
	s_xor_b64 s[4:5], exec, -1
; %bb.3823:
	s_or_b64 exec, exec, s[8:9]
	s_and_b64 s[4:5], s[4:5], exec
	s_or_saveexec_b64 s[6:7], s[6:7]
	v_mov_b32_e32 v4, s10
	s_xor_b64 exec, exec, s[6:7]
	s_cbranch_execz .LBB50_1774
.LBB50_3824:
	v_mov_b32_e32 v4, 0
	v_cmp_ne_u16_sdwa s[8:9], v3, v4 src0_sel:BYTE_0 src1_sel:DWORD
	s_andn2_b64 s[4:5], s[4:5], exec
	s_and_b64 s[8:9], s[8:9], exec
	s_or_b64 s[4:5], s[4:5], s[8:9]
	s_or_b64 exec, exec, s[6:7]
	s_and_saveexec_b64 s[6:7], s[4:5]
	s_cbranch_execnz .LBB50_1775
	s_branch .LBB50_1776
.LBB50_3825:
	s_movk_i32 s4, 0x80
	v_cmp_eq_u16_e32 vcc, s4, v3
	s_mov_b64 s[4:5], -1
                                        ; implicit-def: $sgpr10
	s_and_saveexec_b64 s[8:9], vcc
; %bb.3826:
	s_mov_b32 s10, 0x7f800001
	s_xor_b64 s[4:5], exec, -1
; %bb.3827:
	s_or_b64 exec, exec, s[8:9]
	s_and_b64 s[4:5], s[4:5], exec
                                        ; implicit-def: $vgpr3
	s_or_saveexec_b64 s[6:7], s[6:7]
	v_mov_b32_e32 v2, s10
	s_xor_b64 exec, exec, s[6:7]
	s_cbranch_execz .LBB50_1778
.LBB50_3828:
	v_cmp_ne_u16_e32 vcc, 0, v3
	s_andn2_b64 s[4:5], s[4:5], exec
	s_and_b64 s[8:9], vcc, exec
	v_mov_b32_e32 v2, 0
	s_or_b64 s[4:5], s[4:5], s[8:9]
	s_or_b64 exec, exec, s[6:7]
	s_and_saveexec_b64 s[6:7], s[4:5]
	s_cbranch_execnz .LBB50_1779
	s_branch .LBB50_1780
.LBB50_3829:
	s_movk_i32 s4, 0x80
	v_cmp_eq_u16_e32 vcc, s4, v3
	s_mov_b64 s[4:5], -1
                                        ; implicit-def: $sgpr10
	s_and_saveexec_b64 s[8:9], vcc
; %bb.3830:
	s_mov_b32 s10, 0x7f800001
	s_xor_b64 s[4:5], exec, -1
; %bb.3831:
	s_or_b64 exec, exec, s[8:9]
	s_and_b64 s[4:5], s[4:5], exec
                                        ; implicit-def: $vgpr3
	s_or_saveexec_b64 s[6:7], s[6:7]
	v_mov_b32_e32 v4, s10
	s_xor_b64 exec, exec, s[6:7]
	s_cbranch_execz .LBB50_1782
.LBB50_3832:
	v_cmp_ne_u16_e32 vcc, 0, v3
	s_andn2_b64 s[4:5], s[4:5], exec
	s_and_b64 s[8:9], vcc, exec
	v_mov_b32_e32 v4, 0
	s_or_b64 s[4:5], s[4:5], s[8:9]
	s_or_b64 exec, exec, s[6:7]
	s_and_saveexec_b64 s[6:7], s[4:5]
	s_cbranch_execnz .LBB50_1783
	s_branch .LBB50_1784
.LBB50_3833:
	s_movk_i32 s4, 0x80
	v_cmp_eq_u16_sdwa s[12:13], v9, s4 src0_sel:BYTE_3 src1_sel:DWORD
	s_mov_b64 s[4:5], -1
                                        ; implicit-def: $sgpr10
	s_and_saveexec_b64 s[8:9], s[12:13]
; %bb.3834:
	s_mov_b32 s10, 0x7f800001
	s_xor_b64 s[4:5], exec, -1
; %bb.3835:
	s_or_b64 exec, exec, s[8:9]
	s_and_b64 s[4:5], s[4:5], exec
	s_or_saveexec_b64 s[6:7], s[6:7]
	v_mov_b32_e32 v2, s10
	s_xor_b64 exec, exec, s[6:7]
	s_cbranch_execz .LBB50_1786
.LBB50_3836:
	v_mov_b32_e32 v2, 0
	v_cmp_ne_u16_sdwa s[8:9], v9, v2 src0_sel:BYTE_3 src1_sel:DWORD
	s_andn2_b64 s[4:5], s[4:5], exec
	s_and_b64 s[8:9], s[8:9], exec
	s_or_b64 s[4:5], s[4:5], s[8:9]
	s_or_b64 exec, exec, s[6:7]
	s_and_saveexec_b64 s[6:7], s[4:5]
	s_cbranch_execnz .LBB50_1787
	s_branch .LBB50_1788
.LBB50_3837:
	s_movk_i32 s4, 0x80
	v_cmp_eq_u16_sdwa s[12:13], v5, s4 src0_sel:BYTE_3 src1_sel:DWORD
	s_mov_b64 s[4:5], -1
                                        ; implicit-def: $sgpr10
	s_and_saveexec_b64 s[8:9], s[12:13]
; %bb.3838:
	s_mov_b32 s10, 0x7f800001
	s_xor_b64 s[4:5], exec, -1
; %bb.3839:
	s_or_b64 exec, exec, s[8:9]
	s_and_b64 s[4:5], s[4:5], exec
	s_or_saveexec_b64 s[6:7], s[6:7]
	v_mov_b32_e32 v3, s10
	s_xor_b64 exec, exec, s[6:7]
	s_cbranch_execz .LBB50_1790
.LBB50_3840:
	v_mov_b32_e32 v3, 0
	v_cmp_ne_u16_sdwa s[8:9], v5, v3 src0_sel:BYTE_3 src1_sel:DWORD
	s_andn2_b64 s[4:5], s[4:5], exec
	s_and_b64 s[8:9], s[8:9], exec
	s_or_b64 s[4:5], s[4:5], s[8:9]
	s_or_b64 exec, exec, s[6:7]
	s_and_saveexec_b64 s[6:7], s[4:5]
	s_cbranch_execnz .LBB50_1791
	s_branch .LBB50_1792
.LBB50_3841:
	s_movk_i32 s4, 0x80
	v_cmp_eq_u16_sdwa s[12:13], v12, s4 src0_sel:BYTE_0 src1_sel:DWORD
	s_mov_b64 s[4:5], -1
                                        ; implicit-def: $sgpr10
	s_and_saveexec_b64 s[8:9], s[12:13]
; %bb.3842:
	s_mov_b32 s10, 0x7f800001
	s_xor_b64 s[4:5], exec, -1
; %bb.3843:
	s_or_b64 exec, exec, s[8:9]
	s_and_b64 s[4:5], s[4:5], exec
	s_or_saveexec_b64 s[6:7], s[6:7]
	v_mov_b32_e32 v18, s10
	s_xor_b64 exec, exec, s[6:7]
	s_cbranch_execz .LBB50_1794
.LBB50_3844:
	v_mov_b32_e32 v18, 0
	v_cmp_ne_u16_sdwa s[8:9], v12, v18 src0_sel:BYTE_0 src1_sel:DWORD
	s_andn2_b64 s[4:5], s[4:5], exec
	s_and_b64 s[8:9], s[8:9], exec
	s_or_b64 s[4:5], s[4:5], s[8:9]
	s_or_b64 exec, exec, s[6:7]
	s_and_saveexec_b64 s[6:7], s[4:5]
	s_cbranch_execnz .LBB50_1795
	s_branch .LBB50_1796
.LBB50_3845:
	s_movk_i32 s4, 0x80
	v_cmp_eq_u16_sdwa s[12:13], v8, s4 src0_sel:BYTE_0 src1_sel:DWORD
	s_mov_b64 s[4:5], -1
                                        ; implicit-def: $sgpr10
	s_and_saveexec_b64 s[8:9], s[12:13]
; %bb.3846:
	s_mov_b32 s10, 0x7f800001
	s_xor_b64 s[4:5], exec, -1
; %bb.3847:
	s_or_b64 exec, exec, s[8:9]
	s_and_b64 s[4:5], s[4:5], exec
	s_or_saveexec_b64 s[6:7], s[6:7]
	v_mov_b32_e32 v19, s10
	s_xor_b64 exec, exec, s[6:7]
	s_cbranch_execz .LBB50_1798
.LBB50_3848:
	v_mov_b32_e32 v19, 0
	v_cmp_ne_u16_sdwa s[8:9], v8, v19 src0_sel:BYTE_0 src1_sel:DWORD
	s_andn2_b64 s[4:5], s[4:5], exec
	s_and_b64 s[8:9], s[8:9], exec
	s_or_b64 s[4:5], s[4:5], s[8:9]
	s_or_b64 exec, exec, s[6:7]
	s_and_saveexec_b64 s[6:7], s[4:5]
	s_cbranch_execnz .LBB50_1799
	s_branch .LBB50_1800
.LBB50_3849:
	s_movk_i32 s4, 0x80
	v_cmp_eq_u16_sdwa s[12:13], v19, s4 src0_sel:BYTE_0 src1_sel:DWORD
	s_mov_b64 s[4:5], -1
                                        ; implicit-def: $sgpr10
	s_and_saveexec_b64 s[8:9], s[12:13]
; %bb.3850:
	s_mov_b32 s10, 0x7f800001
	s_xor_b64 s[4:5], exec, -1
; %bb.3851:
	s_or_b64 exec, exec, s[8:9]
	s_and_b64 s[4:5], s[4:5], exec
	s_or_saveexec_b64 s[6:7], s[6:7]
	v_mov_b32_e32 v18, s10
	s_xor_b64 exec, exec, s[6:7]
	s_cbranch_execz .LBB50_1802
.LBB50_3852:
	v_mov_b32_e32 v18, 0
	v_cmp_ne_u16_sdwa s[8:9], v19, v18 src0_sel:BYTE_0 src1_sel:DWORD
	s_andn2_b64 s[4:5], s[4:5], exec
	s_and_b64 s[8:9], s[8:9], exec
	s_or_b64 s[4:5], s[4:5], s[8:9]
	s_or_b64 exec, exec, s[6:7]
	s_and_saveexec_b64 s[6:7], s[4:5]
	s_cbranch_execnz .LBB50_1803
	s_branch .LBB50_1804
.LBB50_3853:
	s_movk_i32 s4, 0x80
	v_cmp_eq_u16_sdwa s[12:13], v19, s4 src0_sel:BYTE_0 src1_sel:DWORD
	s_mov_b64 s[4:5], -1
                                        ; implicit-def: $sgpr10
	s_and_saveexec_b64 s[8:9], s[12:13]
; %bb.3854:
	s_mov_b32 s10, 0x7f800001
	s_xor_b64 s[4:5], exec, -1
; %bb.3855:
	s_or_b64 exec, exec, s[8:9]
	s_and_b64 s[4:5], s[4:5], exec
	s_or_saveexec_b64 s[6:7], s[6:7]
	v_mov_b32_e32 v20, s10
	s_xor_b64 exec, exec, s[6:7]
	s_cbranch_execz .LBB50_1806
.LBB50_3856:
	v_mov_b32_e32 v20, 0
	v_cmp_ne_u16_sdwa s[8:9], v19, v20 src0_sel:BYTE_0 src1_sel:DWORD
	s_andn2_b64 s[4:5], s[4:5], exec
	s_and_b64 s[8:9], s[8:9], exec
	s_or_b64 s[4:5], s[4:5], s[8:9]
	s_or_b64 exec, exec, s[6:7]
	s_and_saveexec_b64 s[6:7], s[4:5]
	s_cbranch_execnz .LBB50_1807
	s_branch .LBB50_1808
.LBB50_3857:
	s_movk_i32 s4, 0x80
	v_cmp_eq_u16_e32 vcc, s4, v19
	s_mov_b64 s[4:5], -1
                                        ; implicit-def: $sgpr10
	s_and_saveexec_b64 s[8:9], vcc
; %bb.3858:
	s_mov_b32 s10, 0x7f800001
	s_xor_b64 s[4:5], exec, -1
; %bb.3859:
	s_or_b64 exec, exec, s[8:9]
	s_and_b64 s[4:5], s[4:5], exec
                                        ; implicit-def: $vgpr19
	s_or_saveexec_b64 s[6:7], s[6:7]
	v_mov_b32_e32 v18, s10
	s_xor_b64 exec, exec, s[6:7]
	s_cbranch_execz .LBB50_1810
.LBB50_3860:
	v_cmp_ne_u16_e32 vcc, 0, v19
	s_andn2_b64 s[4:5], s[4:5], exec
	s_and_b64 s[8:9], vcc, exec
	v_mov_b32_e32 v18, 0
	s_or_b64 s[4:5], s[4:5], s[8:9]
	s_or_b64 exec, exec, s[6:7]
	s_and_saveexec_b64 s[6:7], s[4:5]
	s_cbranch_execnz .LBB50_1811
	s_branch .LBB50_1812
.LBB50_3861:
	s_movk_i32 s4, 0x80
	v_cmp_eq_u16_e32 vcc, s4, v19
	s_mov_b64 s[4:5], -1
                                        ; implicit-def: $sgpr10
	s_and_saveexec_b64 s[8:9], vcc
; %bb.3862:
	s_mov_b32 s10, 0x7f800001
	s_xor_b64 s[4:5], exec, -1
; %bb.3863:
	s_or_b64 exec, exec, s[8:9]
	s_and_b64 s[4:5], s[4:5], exec
                                        ; implicit-def: $vgpr19
	s_or_saveexec_b64 s[6:7], s[6:7]
	v_mov_b32_e32 v20, s10
	s_xor_b64 exec, exec, s[6:7]
	s_cbranch_execz .LBB50_1814
.LBB50_3864:
	v_cmp_ne_u16_e32 vcc, 0, v19
	s_andn2_b64 s[4:5], s[4:5], exec
	s_and_b64 s[8:9], vcc, exec
	v_mov_b32_e32 v20, 0
	s_or_b64 s[4:5], s[4:5], s[8:9]
	s_or_b64 exec, exec, s[6:7]
	s_and_saveexec_b64 s[6:7], s[4:5]
	s_cbranch_execnz .LBB50_1815
	s_branch .LBB50_1816
.LBB50_3865:
	s_movk_i32 s4, 0x80
	v_cmp_eq_u16_sdwa s[12:13], v12, s4 src0_sel:BYTE_3 src1_sel:DWORD
	s_mov_b64 s[4:5], -1
                                        ; implicit-def: $sgpr10
	s_and_saveexec_b64 s[8:9], s[12:13]
; %bb.3866:
	s_mov_b32 s10, 0x7f800001
	s_xor_b64 s[4:5], exec, -1
; %bb.3867:
	s_or_b64 exec, exec, s[8:9]
	s_and_b64 s[4:5], s[4:5], exec
	s_or_saveexec_b64 s[6:7], s[6:7]
	v_mov_b32_e32 v18, s10
	s_xor_b64 exec, exec, s[6:7]
	s_cbranch_execz .LBB50_1818
.LBB50_3868:
	v_mov_b32_e32 v18, 0
	v_cmp_ne_u16_sdwa s[8:9], v12, v18 src0_sel:BYTE_3 src1_sel:DWORD
	s_andn2_b64 s[4:5], s[4:5], exec
	s_and_b64 s[8:9], s[8:9], exec
	s_or_b64 s[4:5], s[4:5], s[8:9]
	s_or_b64 exec, exec, s[6:7]
	s_and_saveexec_b64 s[6:7], s[4:5]
	s_cbranch_execnz .LBB50_1819
	s_branch .LBB50_1820
.LBB50_3869:
	s_movk_i32 s4, 0x80
	v_cmp_eq_u16_sdwa s[12:13], v8, s4 src0_sel:BYTE_3 src1_sel:DWORD
	s_mov_b64 s[4:5], -1
                                        ; implicit-def: $sgpr10
	s_and_saveexec_b64 s[8:9], s[12:13]
; %bb.3870:
	s_mov_b32 s10, 0x7f800001
	s_xor_b64 s[4:5], exec, -1
; %bb.3871:
	s_or_b64 exec, exec, s[8:9]
	s_and_b64 s[4:5], s[4:5], exec
	s_or_saveexec_b64 s[6:7], s[6:7]
	v_mov_b32_e32 v12, s10
	s_xor_b64 exec, exec, s[6:7]
	s_cbranch_execz .LBB50_1822
.LBB50_3872:
	v_mov_b32_e32 v12, 0
	v_cmp_ne_u16_sdwa s[8:9], v8, v12 src0_sel:BYTE_3 src1_sel:DWORD
	s_andn2_b64 s[4:5], s[4:5], exec
	s_and_b64 s[8:9], s[8:9], exec
	s_or_b64 s[4:5], s[4:5], s[8:9]
	s_or_b64 exec, exec, s[6:7]
	s_and_saveexec_b64 s[6:7], s[4:5]
	s_cbranch_execnz .LBB50_1823
	s_branch .LBB50_1824
.LBB50_3873:
	s_movk_i32 s4, 0x80
	v_cmp_eq_u16_sdwa s[12:13], v13, s4 src0_sel:BYTE_0 src1_sel:DWORD
	s_mov_b64 s[4:5], -1
                                        ; implicit-def: $sgpr10
	s_and_saveexec_b64 s[8:9], s[12:13]
; %bb.3874:
	s_mov_b32 s10, 0x7f800001
	s_xor_b64 s[4:5], exec, -1
; %bb.3875:
	s_or_b64 exec, exec, s[8:9]
	s_and_b64 s[4:5], s[4:5], exec
	s_or_saveexec_b64 s[6:7], s[6:7]
	v_mov_b32_e32 v8, s10
	s_xor_b64 exec, exec, s[6:7]
	s_cbranch_execz .LBB50_1826
.LBB50_3876:
	v_mov_b32_e32 v8, 0
	v_cmp_ne_u16_sdwa s[8:9], v13, v8 src0_sel:BYTE_0 src1_sel:DWORD
	s_andn2_b64 s[4:5], s[4:5], exec
	s_and_b64 s[8:9], s[8:9], exec
	s_or_b64 s[4:5], s[4:5], s[8:9]
	s_or_b64 exec, exec, s[6:7]
	s_and_saveexec_b64 s[6:7], s[4:5]
	s_cbranch_execnz .LBB50_1827
	s_branch .LBB50_1828
.LBB50_3877:
	s_movk_i32 s4, 0x80
	v_cmp_eq_u16_sdwa s[12:13], v9, s4 src0_sel:BYTE_0 src1_sel:DWORD
	s_mov_b64 s[4:5], -1
                                        ; implicit-def: $sgpr10
	s_and_saveexec_b64 s[8:9], s[12:13]
; %bb.3878:
	s_mov_b32 s10, 0x7f800001
	s_xor_b64 s[4:5], exec, -1
; %bb.3879:
	s_or_b64 exec, exec, s[8:9]
	s_and_b64 s[4:5], s[4:5], exec
	s_or_saveexec_b64 s[6:7], s[6:7]
	v_mov_b32_e32 v12, s10
	s_xor_b64 exec, exec, s[6:7]
	s_cbranch_execz .LBB50_1830
.LBB50_3880:
	v_mov_b32_e32 v12, 0
	v_cmp_ne_u16_sdwa s[8:9], v9, v12 src0_sel:BYTE_0 src1_sel:DWORD
	s_andn2_b64 s[4:5], s[4:5], exec
	s_and_b64 s[8:9], s[8:9], exec
	s_or_b64 s[4:5], s[4:5], s[8:9]
	s_or_b64 exec, exec, s[6:7]
	s_and_saveexec_b64 s[6:7], s[4:5]
	s_cbranch_execnz .LBB50_1831
	s_branch .LBB50_1832
.LBB50_3881:
	s_movk_i32 s4, 0x80
	v_cmp_eq_u16_sdwa s[12:13], v12, s4 src0_sel:BYTE_0 src1_sel:DWORD
	s_mov_b64 s[4:5], -1
                                        ; implicit-def: $sgpr10
	s_and_saveexec_b64 s[8:9], s[12:13]
; %bb.3882:
	s_mov_b32 s10, 0x7f800001
	s_xor_b64 s[4:5], exec, -1
; %bb.3883:
	s_or_b64 exec, exec, s[8:9]
	s_and_b64 s[4:5], s[4:5], exec
	s_or_saveexec_b64 s[6:7], s[6:7]
	v_mov_b32_e32 v8, s10
	s_xor_b64 exec, exec, s[6:7]
	s_cbranch_execz .LBB50_1834
.LBB50_3884:
	v_mov_b32_e32 v8, 0
	v_cmp_ne_u16_sdwa s[8:9], v12, v8 src0_sel:BYTE_0 src1_sel:DWORD
	s_andn2_b64 s[4:5], s[4:5], exec
	s_and_b64 s[8:9], s[8:9], exec
	s_or_b64 s[4:5], s[4:5], s[8:9]
	s_or_b64 exec, exec, s[6:7]
	s_and_saveexec_b64 s[6:7], s[4:5]
	s_cbranch_execnz .LBB50_1835
	s_branch .LBB50_1836
.LBB50_3885:
	s_movk_i32 s4, 0x80
	v_cmp_eq_u16_sdwa s[12:13], v12, s4 src0_sel:BYTE_0 src1_sel:DWORD
	s_mov_b64 s[4:5], -1
                                        ; implicit-def: $sgpr10
	s_and_saveexec_b64 s[8:9], s[12:13]
; %bb.3886:
	s_mov_b32 s10, 0x7f800001
	s_xor_b64 s[4:5], exec, -1
; %bb.3887:
	s_or_b64 exec, exec, s[8:9]
	s_and_b64 s[4:5], s[4:5], exec
	s_or_saveexec_b64 s[6:7], s[6:7]
	v_mov_b32_e32 v18, s10
	s_xor_b64 exec, exec, s[6:7]
	s_cbranch_execz .LBB50_1838
.LBB50_3888:
	v_mov_b32_e32 v18, 0
	v_cmp_ne_u16_sdwa s[8:9], v12, v18 src0_sel:BYTE_0 src1_sel:DWORD
	s_andn2_b64 s[4:5], s[4:5], exec
	s_and_b64 s[8:9], s[8:9], exec
	s_or_b64 s[4:5], s[4:5], s[8:9]
	s_or_b64 exec, exec, s[6:7]
	s_and_saveexec_b64 s[6:7], s[4:5]
	s_cbranch_execnz .LBB50_1839
	s_branch .LBB50_1840
.LBB50_3889:
	s_movk_i32 s4, 0x80
	v_cmp_eq_u16_e32 vcc, s4, v12
	s_mov_b64 s[4:5], -1
                                        ; implicit-def: $sgpr10
	s_and_saveexec_b64 s[8:9], vcc
; %bb.3890:
	s_mov_b32 s10, 0x7f800001
	s_xor_b64 s[4:5], exec, -1
; %bb.3891:
	s_or_b64 exec, exec, s[8:9]
	s_and_b64 s[4:5], s[4:5], exec
                                        ; implicit-def: $vgpr12
	s_or_saveexec_b64 s[6:7], s[6:7]
	v_mov_b32_e32 v8, s10
	s_xor_b64 exec, exec, s[6:7]
	s_cbranch_execz .LBB50_1842
.LBB50_3892:
	v_cmp_ne_u16_e32 vcc, 0, v12
	s_andn2_b64 s[4:5], s[4:5], exec
	s_and_b64 s[8:9], vcc, exec
	v_mov_b32_e32 v8, 0
	s_or_b64 s[4:5], s[4:5], s[8:9]
	s_or_b64 exec, exec, s[6:7]
	s_and_saveexec_b64 s[6:7], s[4:5]
	s_cbranch_execnz .LBB50_1843
	s_branch .LBB50_1844
.LBB50_3893:
	s_movk_i32 s4, 0x80
	v_cmp_eq_u16_e32 vcc, s4, v12
	s_mov_b64 s[4:5], -1
                                        ; implicit-def: $sgpr10
	s_and_saveexec_b64 s[8:9], vcc
; %bb.3894:
	s_mov_b32 s10, 0x7f800001
	s_xor_b64 s[4:5], exec, -1
; %bb.3895:
	s_or_b64 exec, exec, s[8:9]
	s_and_b64 s[4:5], s[4:5], exec
                                        ; implicit-def: $vgpr12
	s_or_saveexec_b64 s[6:7], s[6:7]
	v_mov_b32_e32 v18, s10
	s_xor_b64 exec, exec, s[6:7]
	s_cbranch_execz .LBB50_1846
.LBB50_3896:
	v_cmp_ne_u16_e32 vcc, 0, v12
	s_andn2_b64 s[4:5], s[4:5], exec
	s_and_b64 s[8:9], vcc, exec
	v_mov_b32_e32 v18, 0
	s_or_b64 s[4:5], s[4:5], s[8:9]
	s_or_b64 exec, exec, s[6:7]
	s_and_saveexec_b64 s[6:7], s[4:5]
	s_cbranch_execnz .LBB50_1847
	s_branch .LBB50_1848
.LBB50_3897:
	s_movk_i32 s4, 0x80
	v_cmp_eq_u16_sdwa s[12:13], v13, s4 src0_sel:BYTE_3 src1_sel:DWORD
	s_mov_b64 s[4:5], -1
                                        ; implicit-def: $sgpr10
	s_and_saveexec_b64 s[8:9], s[12:13]
; %bb.3898:
	s_mov_b32 s10, 0x7f800001
	s_xor_b64 s[4:5], exec, -1
; %bb.3899:
	s_or_b64 exec, exec, s[8:9]
	s_and_b64 s[4:5], s[4:5], exec
	s_or_saveexec_b64 s[6:7], s[6:7]
	v_mov_b32_e32 v8, s10
	s_xor_b64 exec, exec, s[6:7]
	s_cbranch_execz .LBB50_1850
.LBB50_3900:
	v_mov_b32_e32 v8, 0
	v_cmp_ne_u16_sdwa s[8:9], v13, v8 src0_sel:BYTE_3 src1_sel:DWORD
	s_andn2_b64 s[4:5], s[4:5], exec
	s_and_b64 s[8:9], s[8:9], exec
	s_or_b64 s[4:5], s[4:5], s[8:9]
	s_or_b64 exec, exec, s[6:7]
	s_and_saveexec_b64 s[6:7], s[4:5]
	s_cbranch_execnz .LBB50_1851
	s_branch .LBB50_1852
.LBB50_3901:
	s_movk_i32 s4, 0x80
	v_cmp_eq_u16_sdwa s[12:13], v9, s4 src0_sel:BYTE_3 src1_sel:DWORD
	s_mov_b64 s[4:5], -1
                                        ; implicit-def: $sgpr10
	s_and_saveexec_b64 s[8:9], s[12:13]
; %bb.3902:
	s_mov_b32 s10, 0x7f800001
	s_xor_b64 s[4:5], exec, -1
; %bb.3903:
	s_or_b64 exec, exec, s[8:9]
	s_and_b64 s[4:5], s[4:5], exec
	s_or_saveexec_b64 s[6:7], s[6:7]
	v_mov_b32_e32 v12, s10
	s_xor_b64 exec, exec, s[6:7]
	s_cbranch_execz .LBB50_1854
.LBB50_3904:
	v_mov_b32_e32 v12, 0
	v_cmp_ne_u16_sdwa s[8:9], v9, v12 src0_sel:BYTE_3 src1_sel:DWORD
	s_andn2_b64 s[4:5], s[4:5], exec
	s_and_b64 s[8:9], s[8:9], exec
	s_or_b64 s[4:5], s[4:5], s[8:9]
	s_or_b64 exec, exec, s[6:7]
	s_and_saveexec_b64 s[6:7], s[4:5]
	s_cbranch_execnz .LBB50_1855
	s_branch .LBB50_1856
.LBB50_3905:
	s_movk_i32 s4, 0x80
	v_cmp_eq_u16_sdwa s[12:13], v14, s4 src0_sel:BYTE_0 src1_sel:DWORD
	s_mov_b64 s[4:5], -1
                                        ; implicit-def: $sgpr10
	s_and_saveexec_b64 s[8:9], s[12:13]
; %bb.3906:
	s_mov_b32 s10, 0x7f800001
	s_xor_b64 s[4:5], exec, -1
; %bb.3907:
	s_or_b64 exec, exec, s[8:9]
	s_and_b64 s[4:5], s[4:5], exec
	s_or_saveexec_b64 s[6:7], s[6:7]
	v_mov_b32_e32 v8, s10
	s_xor_b64 exec, exec, s[6:7]
	s_cbranch_execz .LBB50_1858
.LBB50_3908:
	v_mov_b32_e32 v8, 0
	v_cmp_ne_u16_sdwa s[8:9], v14, v8 src0_sel:BYTE_0 src1_sel:DWORD
	s_andn2_b64 s[4:5], s[4:5], exec
	s_and_b64 s[8:9], s[8:9], exec
	s_or_b64 s[4:5], s[4:5], s[8:9]
	s_or_b64 exec, exec, s[6:7]
	s_and_saveexec_b64 s[6:7], s[4:5]
	s_cbranch_execnz .LBB50_1859
	s_branch .LBB50_1860
.LBB50_3909:
	s_movk_i32 s4, 0x80
	v_cmp_eq_u16_sdwa s[12:13], v10, s4 src0_sel:BYTE_0 src1_sel:DWORD
	s_mov_b64 s[4:5], -1
                                        ; implicit-def: $sgpr10
	s_and_saveexec_b64 s[8:9], s[12:13]
; %bb.3910:
	s_mov_b32 s10, 0x7f800001
	s_xor_b64 s[4:5], exec, -1
; %bb.3911:
	s_or_b64 exec, exec, s[8:9]
	s_and_b64 s[4:5], s[4:5], exec
	s_or_saveexec_b64 s[6:7], s[6:7]
	v_mov_b32_e32 v9, s10
	s_xor_b64 exec, exec, s[6:7]
	s_cbranch_execz .LBB50_1862
.LBB50_3912:
	v_mov_b32_e32 v9, 0
	v_cmp_ne_u16_sdwa s[8:9], v10, v9 src0_sel:BYTE_0 src1_sel:DWORD
	s_andn2_b64 s[4:5], s[4:5], exec
	s_and_b64 s[8:9], s[8:9], exec
	s_or_b64 s[4:5], s[4:5], s[8:9]
	s_or_b64 exec, exec, s[6:7]
	s_and_saveexec_b64 s[6:7], s[4:5]
	s_cbranch_execnz .LBB50_1863
	s_branch .LBB50_1864
.LBB50_3913:
	s_movk_i32 s4, 0x80
	v_cmp_eq_u16_sdwa s[12:13], v9, s4 src0_sel:BYTE_0 src1_sel:DWORD
	s_mov_b64 s[4:5], -1
                                        ; implicit-def: $sgpr10
	s_and_saveexec_b64 s[8:9], s[12:13]
; %bb.3914:
	s_mov_b32 s10, 0x7f800001
	s_xor_b64 s[4:5], exec, -1
; %bb.3915:
	s_or_b64 exec, exec, s[8:9]
	s_and_b64 s[4:5], s[4:5], exec
	s_or_saveexec_b64 s[6:7], s[6:7]
	v_mov_b32_e32 v8, s10
	s_xor_b64 exec, exec, s[6:7]
	s_cbranch_execz .LBB50_1866
.LBB50_3916:
	v_mov_b32_e32 v8, 0
	v_cmp_ne_u16_sdwa s[8:9], v9, v8 src0_sel:BYTE_0 src1_sel:DWORD
	s_andn2_b64 s[4:5], s[4:5], exec
	s_and_b64 s[8:9], s[8:9], exec
	s_or_b64 s[4:5], s[4:5], s[8:9]
	s_or_b64 exec, exec, s[6:7]
	s_and_saveexec_b64 s[6:7], s[4:5]
	s_cbranch_execnz .LBB50_1867
	s_branch .LBB50_1868
.LBB50_3917:
	s_movk_i32 s4, 0x80
	v_cmp_eq_u16_sdwa s[12:13], v9, s4 src0_sel:BYTE_0 src1_sel:DWORD
	s_mov_b64 s[4:5], -1
                                        ; implicit-def: $sgpr10
	s_and_saveexec_b64 s[8:9], s[12:13]
; %bb.3918:
	s_mov_b32 s10, 0x7f800001
	s_xor_b64 s[4:5], exec, -1
; %bb.3919:
	s_or_b64 exec, exec, s[8:9]
	s_and_b64 s[4:5], s[4:5], exec
	s_or_saveexec_b64 s[6:7], s[6:7]
	v_mov_b32_e32 v12, s10
	s_xor_b64 exec, exec, s[6:7]
	s_cbranch_execz .LBB50_1870
.LBB50_3920:
	v_mov_b32_e32 v12, 0
	v_cmp_ne_u16_sdwa s[8:9], v9, v12 src0_sel:BYTE_0 src1_sel:DWORD
	s_andn2_b64 s[4:5], s[4:5], exec
	s_and_b64 s[8:9], s[8:9], exec
	s_or_b64 s[4:5], s[4:5], s[8:9]
	s_or_b64 exec, exec, s[6:7]
	s_and_saveexec_b64 s[6:7], s[4:5]
	s_cbranch_execnz .LBB50_1871
	s_branch .LBB50_1872
.LBB50_3921:
	s_movk_i32 s4, 0x80
	v_cmp_eq_u16_e32 vcc, s4, v9
	s_mov_b64 s[4:5], -1
                                        ; implicit-def: $sgpr10
	s_and_saveexec_b64 s[8:9], vcc
; %bb.3922:
	s_mov_b32 s10, 0x7f800001
	s_xor_b64 s[4:5], exec, -1
; %bb.3923:
	s_or_b64 exec, exec, s[8:9]
	s_and_b64 s[4:5], s[4:5], exec
                                        ; implicit-def: $vgpr9
	s_or_saveexec_b64 s[6:7], s[6:7]
	v_mov_b32_e32 v8, s10
	s_xor_b64 exec, exec, s[6:7]
	s_cbranch_execz .LBB50_1874
.LBB50_3924:
	v_cmp_ne_u16_e32 vcc, 0, v9
	s_andn2_b64 s[4:5], s[4:5], exec
	s_and_b64 s[8:9], vcc, exec
	v_mov_b32_e32 v8, 0
	s_or_b64 s[4:5], s[4:5], s[8:9]
	s_or_b64 exec, exec, s[6:7]
	s_and_saveexec_b64 s[6:7], s[4:5]
	s_cbranch_execnz .LBB50_1875
	s_branch .LBB50_1876
.LBB50_3925:
	s_movk_i32 s4, 0x80
	v_cmp_eq_u16_e32 vcc, s4, v9
	s_mov_b64 s[4:5], -1
                                        ; implicit-def: $sgpr10
	s_and_saveexec_b64 s[8:9], vcc
; %bb.3926:
	s_mov_b32 s10, 0x7f800001
	s_xor_b64 s[4:5], exec, -1
; %bb.3927:
	s_or_b64 exec, exec, s[8:9]
	s_and_b64 s[4:5], s[4:5], exec
                                        ; implicit-def: $vgpr9
	s_or_saveexec_b64 s[6:7], s[6:7]
	v_mov_b32_e32 v12, s10
	s_xor_b64 exec, exec, s[6:7]
	s_cbranch_execz .LBB50_1878
.LBB50_3928:
	v_cmp_ne_u16_e32 vcc, 0, v9
	s_andn2_b64 s[4:5], s[4:5], exec
	s_and_b64 s[8:9], vcc, exec
	v_mov_b32_e32 v12, 0
	s_or_b64 s[4:5], s[4:5], s[8:9]
	s_or_b64 exec, exec, s[6:7]
	s_and_saveexec_b64 s[6:7], s[4:5]
	s_cbranch_execnz .LBB50_1879
	s_branch .LBB50_1880
.LBB50_3929:
	s_movk_i32 s4, 0x80
	v_cmp_eq_u16_sdwa s[12:13], v14, s4 src0_sel:BYTE_3 src1_sel:DWORD
	s_mov_b64 s[4:5], -1
                                        ; implicit-def: $sgpr10
	s_and_saveexec_b64 s[8:9], s[12:13]
; %bb.3930:
	s_mov_b32 s10, 0x7f800001
	s_xor_b64 s[4:5], exec, -1
; %bb.3931:
	s_or_b64 exec, exec, s[8:9]
	s_and_b64 s[4:5], s[4:5], exec
	s_or_saveexec_b64 s[6:7], s[6:7]
	v_mov_b32_e32 v8, s10
	s_xor_b64 exec, exec, s[6:7]
	s_cbranch_execz .LBB50_1882
.LBB50_3932:
	v_mov_b32_e32 v8, 0
	v_cmp_ne_u16_sdwa s[8:9], v14, v8 src0_sel:BYTE_3 src1_sel:DWORD
	s_andn2_b64 s[4:5], s[4:5], exec
	s_and_b64 s[8:9], s[8:9], exec
	s_or_b64 s[4:5], s[4:5], s[8:9]
	s_or_b64 exec, exec, s[6:7]
	s_and_saveexec_b64 s[6:7], s[4:5]
	s_cbranch_execnz .LBB50_1883
	s_branch .LBB50_1884
.LBB50_3933:
	s_movk_i32 s4, 0x80
	v_cmp_eq_u16_sdwa s[12:13], v10, s4 src0_sel:BYTE_3 src1_sel:DWORD
	s_mov_b64 s[4:5], -1
                                        ; implicit-def: $sgpr10
	s_and_saveexec_b64 s[8:9], s[12:13]
; %bb.3934:
	s_mov_b32 s10, 0x7f800001
	s_xor_b64 s[4:5], exec, -1
; %bb.3935:
	s_or_b64 exec, exec, s[8:9]
	s_and_b64 s[4:5], s[4:5], exec
	s_or_saveexec_b64 s[6:7], s[6:7]
	v_mov_b32_e32 v9, s10
	s_xor_b64 exec, exec, s[6:7]
	s_cbranch_execz .LBB50_1886
.LBB50_3936:
	v_mov_b32_e32 v9, 0
	v_cmp_ne_u16_sdwa s[8:9], v10, v9 src0_sel:BYTE_3 src1_sel:DWORD
	s_andn2_b64 s[4:5], s[4:5], exec
	s_and_b64 s[8:9], s[8:9], exec
	s_or_b64 s[4:5], s[4:5], s[8:9]
	s_or_b64 exec, exec, s[6:7]
	s_and_saveexec_b64 s[6:7], s[4:5]
	s_cbranch_execnz .LBB50_1887
	s_branch .LBB50_1888
.LBB50_3937:
	s_movk_i32 s4, 0x80
	v_cmp_eq_u16_sdwa s[12:13], v15, s4 src0_sel:BYTE_0 src1_sel:DWORD
	s_mov_b64 s[4:5], -1
                                        ; implicit-def: $sgpr10
	s_and_saveexec_b64 s[8:9], s[12:13]
; %bb.3938:
	s_mov_b32 s10, 0x7f800001
	s_xor_b64 s[4:5], exec, -1
; %bb.3939:
	s_or_b64 exec, exec, s[8:9]
	s_and_b64 s[4:5], s[4:5], exec
	s_or_saveexec_b64 s[6:7], s[6:7]
	v_mov_b32_e32 v8, s10
	s_xor_b64 exec, exec, s[6:7]
	s_cbranch_execz .LBB50_1890
.LBB50_3940:
	v_mov_b32_e32 v8, 0
	v_cmp_ne_u16_sdwa s[8:9], v15, v8 src0_sel:BYTE_0 src1_sel:DWORD
	s_andn2_b64 s[4:5], s[4:5], exec
	s_and_b64 s[8:9], s[8:9], exec
	s_or_b64 s[4:5], s[4:5], s[8:9]
	s_or_b64 exec, exec, s[6:7]
	s_and_saveexec_b64 s[6:7], s[4:5]
	s_cbranch_execnz .LBB50_1891
	s_branch .LBB50_1892
.LBB50_3941:
	s_movk_i32 s4, 0x80
	v_cmp_eq_u16_sdwa s[12:13], v11, s4 src0_sel:BYTE_0 src1_sel:DWORD
	s_mov_b64 s[4:5], -1
                                        ; implicit-def: $sgpr10
	s_and_saveexec_b64 s[8:9], s[12:13]
; %bb.3942:
	s_mov_b32 s10, 0x7f800001
	s_xor_b64 s[4:5], exec, -1
; %bb.3943:
	s_or_b64 exec, exec, s[8:9]
	s_and_b64 s[4:5], s[4:5], exec
	s_or_saveexec_b64 s[6:7], s[6:7]
	v_mov_b32_e32 v9, s10
	s_xor_b64 exec, exec, s[6:7]
	s_cbranch_execz .LBB50_1894
.LBB50_3944:
	v_mov_b32_e32 v9, 0
	v_cmp_ne_u16_sdwa s[8:9], v11, v9 src0_sel:BYTE_0 src1_sel:DWORD
	s_andn2_b64 s[4:5], s[4:5], exec
	s_and_b64 s[8:9], s[8:9], exec
	s_or_b64 s[4:5], s[4:5], s[8:9]
	s_or_b64 exec, exec, s[6:7]
	s_and_saveexec_b64 s[6:7], s[4:5]
	s_cbranch_execnz .LBB50_1895
	s_branch .LBB50_1896
.LBB50_3945:
	s_movk_i32 s4, 0x80
	v_cmp_eq_u16_sdwa s[12:13], v9, s4 src0_sel:BYTE_0 src1_sel:DWORD
	s_mov_b64 s[4:5], -1
                                        ; implicit-def: $sgpr10
	s_and_saveexec_b64 s[8:9], s[12:13]
; %bb.3946:
	s_mov_b32 s10, 0x7f800001
	s_xor_b64 s[4:5], exec, -1
; %bb.3947:
	s_or_b64 exec, exec, s[8:9]
	s_and_b64 s[4:5], s[4:5], exec
	s_or_saveexec_b64 s[6:7], s[6:7]
	v_mov_b32_e32 v8, s10
	s_xor_b64 exec, exec, s[6:7]
	s_cbranch_execz .LBB50_1898
.LBB50_3948:
	v_mov_b32_e32 v8, 0
	v_cmp_ne_u16_sdwa s[8:9], v9, v8 src0_sel:BYTE_0 src1_sel:DWORD
	s_andn2_b64 s[4:5], s[4:5], exec
	s_and_b64 s[8:9], s[8:9], exec
	s_or_b64 s[4:5], s[4:5], s[8:9]
	s_or_b64 exec, exec, s[6:7]
	s_and_saveexec_b64 s[6:7], s[4:5]
	s_cbranch_execnz .LBB50_1899
	s_branch .LBB50_1900
.LBB50_3949:
	s_movk_i32 s4, 0x80
	v_cmp_eq_u16_sdwa s[12:13], v9, s4 src0_sel:BYTE_0 src1_sel:DWORD
	s_mov_b64 s[4:5], -1
                                        ; implicit-def: $sgpr10
	s_and_saveexec_b64 s[8:9], s[12:13]
; %bb.3950:
	s_mov_b32 s10, 0x7f800001
	s_xor_b64 s[4:5], exec, -1
; %bb.3951:
	s_or_b64 exec, exec, s[8:9]
	s_and_b64 s[4:5], s[4:5], exec
	s_or_saveexec_b64 s[6:7], s[6:7]
	v_mov_b32_e32 v10, s10
	s_xor_b64 exec, exec, s[6:7]
	s_cbranch_execz .LBB50_1902
.LBB50_3952:
	v_mov_b32_e32 v10, 0
	v_cmp_ne_u16_sdwa s[8:9], v9, v10 src0_sel:BYTE_0 src1_sel:DWORD
	s_andn2_b64 s[4:5], s[4:5], exec
	s_and_b64 s[8:9], s[8:9], exec
	s_or_b64 s[4:5], s[4:5], s[8:9]
	s_or_b64 exec, exec, s[6:7]
	s_and_saveexec_b64 s[6:7], s[4:5]
	s_cbranch_execnz .LBB50_1903
	s_branch .LBB50_1904
.LBB50_3953:
	s_movk_i32 s4, 0x80
	v_cmp_eq_u16_e32 vcc, s4, v9
	s_mov_b64 s[4:5], -1
                                        ; implicit-def: $sgpr10
	s_and_saveexec_b64 s[8:9], vcc
; %bb.3954:
	s_mov_b32 s10, 0x7f800001
	s_xor_b64 s[4:5], exec, -1
; %bb.3955:
	s_or_b64 exec, exec, s[8:9]
	s_and_b64 s[4:5], s[4:5], exec
                                        ; implicit-def: $vgpr9
	s_or_saveexec_b64 s[6:7], s[6:7]
	v_mov_b32_e32 v8, s10
	s_xor_b64 exec, exec, s[6:7]
	s_cbranch_execz .LBB50_1906
.LBB50_3956:
	v_cmp_ne_u16_e32 vcc, 0, v9
	s_andn2_b64 s[4:5], s[4:5], exec
	s_and_b64 s[8:9], vcc, exec
	v_mov_b32_e32 v8, 0
	s_or_b64 s[4:5], s[4:5], s[8:9]
	s_or_b64 exec, exec, s[6:7]
	s_and_saveexec_b64 s[6:7], s[4:5]
	s_cbranch_execnz .LBB50_1907
	s_branch .LBB50_1908
.LBB50_3957:
	s_movk_i32 s4, 0x80
	v_cmp_eq_u16_e32 vcc, s4, v9
	s_mov_b64 s[4:5], -1
                                        ; implicit-def: $sgpr10
	s_and_saveexec_b64 s[8:9], vcc
; %bb.3958:
	s_mov_b32 s10, 0x7f800001
	s_xor_b64 s[4:5], exec, -1
; %bb.3959:
	s_or_b64 exec, exec, s[8:9]
	s_and_b64 s[4:5], s[4:5], exec
                                        ; implicit-def: $vgpr9
	s_or_saveexec_b64 s[6:7], s[6:7]
	v_mov_b32_e32 v10, s10
	s_xor_b64 exec, exec, s[6:7]
	s_cbranch_execz .LBB50_1910
.LBB50_3960:
	v_cmp_ne_u16_e32 vcc, 0, v9
	s_andn2_b64 s[4:5], s[4:5], exec
	s_and_b64 s[8:9], vcc, exec
	v_mov_b32_e32 v10, 0
	s_or_b64 s[4:5], s[4:5], s[8:9]
	s_or_b64 exec, exec, s[6:7]
	s_and_saveexec_b64 s[6:7], s[4:5]
	s_cbranch_execnz .LBB50_1911
	s_branch .LBB50_1912
.LBB50_3961:
	s_movk_i32 s4, 0x80
	v_cmp_eq_u16_sdwa s[12:13], v15, s4 src0_sel:BYTE_3 src1_sel:DWORD
	s_mov_b64 s[4:5], -1
                                        ; implicit-def: $sgpr10
	s_and_saveexec_b64 s[8:9], s[12:13]
; %bb.3962:
	s_mov_b32 s10, 0x7f800001
	s_xor_b64 s[4:5], exec, -1
; %bb.3963:
	s_or_b64 exec, exec, s[8:9]
	s_and_b64 s[4:5], s[4:5], exec
	s_or_saveexec_b64 s[6:7], s[6:7]
	v_mov_b32_e32 v8, s10
	s_xor_b64 exec, exec, s[6:7]
	s_cbranch_execz .LBB50_1914
.LBB50_3964:
	v_mov_b32_e32 v8, 0
	v_cmp_ne_u16_sdwa s[8:9], v15, v8 src0_sel:BYTE_3 src1_sel:DWORD
	s_andn2_b64 s[4:5], s[4:5], exec
	s_and_b64 s[8:9], s[8:9], exec
	s_or_b64 s[4:5], s[4:5], s[8:9]
	s_or_b64 exec, exec, s[6:7]
	s_and_saveexec_b64 s[6:7], s[4:5]
	s_cbranch_execnz .LBB50_1915
	s_branch .LBB50_1916
.LBB50_3965:
	s_movk_i32 s4, 0x80
	v_cmp_eq_u16_sdwa s[12:13], v11, s4 src0_sel:BYTE_3 src1_sel:DWORD
	s_mov_b64 s[4:5], -1
                                        ; implicit-def: $sgpr10
	s_and_saveexec_b64 s[8:9], s[12:13]
; %bb.3966:
	s_mov_b32 s10, 0x7f800001
	s_xor_b64 s[4:5], exec, -1
; %bb.3967:
	s_or_b64 exec, exec, s[8:9]
	s_and_b64 s[4:5], s[4:5], exec
	s_or_saveexec_b64 s[6:7], s[6:7]
	v_mov_b32_e32 v9, s10
	s_xor_b64 exec, exec, s[6:7]
	s_cbranch_execz .LBB50_1918
.LBB50_3968:
	v_mov_b32_e32 v9, 0
	v_cmp_ne_u16_sdwa s[8:9], v11, v9 src0_sel:BYTE_3 src1_sel:DWORD
	s_andn2_b64 s[4:5], s[4:5], exec
	s_and_b64 s[8:9], s[8:9], exec
	s_or_b64 s[4:5], s[4:5], s[8:9]
	s_or_b64 exec, exec, s[6:7]
	s_and_saveexec_b64 s[6:7], s[4:5]
	s_cbranch_execnz .LBB50_1919
	s_branch .LBB50_1920
.LBB50_3969:
	s_movk_i32 s4, 0x80
	v_cmp_eq_u16_sdwa s[12:13], v4, s4 src0_sel:BYTE_0 src1_sel:DWORD
	s_mov_b64 s[4:5], -1
                                        ; implicit-def: $sgpr10
	s_and_saveexec_b64 s[8:9], s[12:13]
; %bb.3970:
	s_mov_b32 s10, 0x7f800001
	s_xor_b64 s[4:5], exec, -1
; %bb.3971:
	s_or_b64 exec, exec, s[8:9]
	s_and_b64 s[4:5], s[4:5], exec
	s_or_saveexec_b64 s[6:7], s[6:7]
	v_mov_b32_e32 v8, s10
	s_xor_b64 exec, exec, s[6:7]
	s_cbranch_execz .LBB50_1922
.LBB50_3972:
	v_mov_b32_e32 v8, 0
	v_cmp_ne_u16_sdwa s[8:9], v4, v8 src0_sel:BYTE_0 src1_sel:DWORD
	s_andn2_b64 s[4:5], s[4:5], exec
	s_and_b64 s[8:9], s[8:9], exec
	s_or_b64 s[4:5], s[4:5], s[8:9]
	s_or_b64 exec, exec, s[6:7]
	s_and_saveexec_b64 s[6:7], s[4:5]
	s_cbranch_execnz .LBB50_1923
	s_branch .LBB50_1924
.LBB50_3973:
	s_movk_i32 s4, 0x80
	v_cmp_eq_u16_sdwa s[12:13], v0, s4 src0_sel:BYTE_0 src1_sel:DWORD
	s_mov_b64 s[4:5], -1
                                        ; implicit-def: $sgpr10
	s_and_saveexec_b64 s[8:9], s[12:13]
; %bb.3974:
	s_mov_b32 s10, 0x7f800001
	s_xor_b64 s[4:5], exec, -1
; %bb.3975:
	s_or_b64 exec, exec, s[8:9]
	s_and_b64 s[4:5], s[4:5], exec
	s_or_saveexec_b64 s[6:7], s[6:7]
	v_mov_b32_e32 v9, s10
	s_xor_b64 exec, exec, s[6:7]
	s_cbranch_execz .LBB50_1926
.LBB50_3976:
	v_mov_b32_e32 v9, 0
	v_cmp_ne_u16_sdwa s[8:9], v0, v9 src0_sel:BYTE_0 src1_sel:DWORD
	s_andn2_b64 s[4:5], s[4:5], exec
	s_and_b64 s[8:9], s[8:9], exec
	s_or_b64 s[4:5], s[4:5], s[8:9]
	s_or_b64 exec, exec, s[6:7]
	s_and_saveexec_b64 s[6:7], s[4:5]
	s_cbranch_execnz .LBB50_1927
	s_branch .LBB50_1928
.LBB50_3977:
	s_movk_i32 s4, 0x80
	v_cmp_eq_u16_sdwa s[12:13], v9, s4 src0_sel:BYTE_0 src1_sel:DWORD
	s_mov_b64 s[4:5], -1
                                        ; implicit-def: $sgpr10
	s_and_saveexec_b64 s[8:9], s[12:13]
; %bb.3978:
	s_mov_b32 s10, 0x7f800001
	s_xor_b64 s[4:5], exec, -1
; %bb.3979:
	s_or_b64 exec, exec, s[8:9]
	s_and_b64 s[4:5], s[4:5], exec
	s_or_saveexec_b64 s[6:7], s[6:7]
	v_mov_b32_e32 v8, s10
	s_xor_b64 exec, exec, s[6:7]
	s_cbranch_execz .LBB50_1930
.LBB50_3980:
	v_mov_b32_e32 v8, 0
	v_cmp_ne_u16_sdwa s[8:9], v9, v8 src0_sel:BYTE_0 src1_sel:DWORD
	s_andn2_b64 s[4:5], s[4:5], exec
	s_and_b64 s[8:9], s[8:9], exec
	s_or_b64 s[4:5], s[4:5], s[8:9]
	s_or_b64 exec, exec, s[6:7]
	s_and_saveexec_b64 s[6:7], s[4:5]
	s_cbranch_execnz .LBB50_1931
	s_branch .LBB50_1932
.LBB50_3981:
	s_movk_i32 s4, 0x80
	v_cmp_eq_u16_sdwa s[12:13], v9, s4 src0_sel:BYTE_0 src1_sel:DWORD
	s_mov_b64 s[4:5], -1
                                        ; implicit-def: $sgpr10
	s_and_saveexec_b64 s[8:9], s[12:13]
; %bb.3982:
	s_mov_b32 s10, 0x7f800001
	s_xor_b64 s[4:5], exec, -1
; %bb.3983:
	s_or_b64 exec, exec, s[8:9]
	s_and_b64 s[4:5], s[4:5], exec
	s_or_saveexec_b64 s[6:7], s[6:7]
	v_mov_b32_e32 v10, s10
	s_xor_b64 exec, exec, s[6:7]
	s_cbranch_execz .LBB50_1934
.LBB50_3984:
	v_mov_b32_e32 v10, 0
	v_cmp_ne_u16_sdwa s[8:9], v9, v10 src0_sel:BYTE_0 src1_sel:DWORD
	s_andn2_b64 s[4:5], s[4:5], exec
	s_and_b64 s[8:9], s[8:9], exec
	s_or_b64 s[4:5], s[4:5], s[8:9]
	s_or_b64 exec, exec, s[6:7]
	s_and_saveexec_b64 s[6:7], s[4:5]
	s_cbranch_execnz .LBB50_1935
	s_branch .LBB50_1936
.LBB50_3985:
	s_movk_i32 s4, 0x80
	v_cmp_eq_u16_e32 vcc, s4, v9
	s_mov_b64 s[4:5], -1
                                        ; implicit-def: $sgpr10
	s_and_saveexec_b64 s[8:9], vcc
; %bb.3986:
	s_mov_b32 s10, 0x7f800001
	s_xor_b64 s[4:5], exec, -1
; %bb.3987:
	s_or_b64 exec, exec, s[8:9]
	s_and_b64 s[4:5], s[4:5], exec
                                        ; implicit-def: $vgpr9
	s_or_saveexec_b64 s[6:7], s[6:7]
	v_mov_b32_e32 v8, s10
	s_xor_b64 exec, exec, s[6:7]
	s_cbranch_execz .LBB50_1938
.LBB50_3988:
	v_cmp_ne_u16_e32 vcc, 0, v9
	s_andn2_b64 s[4:5], s[4:5], exec
	s_and_b64 s[8:9], vcc, exec
	v_mov_b32_e32 v8, 0
	s_or_b64 s[4:5], s[4:5], s[8:9]
	s_or_b64 exec, exec, s[6:7]
	s_and_saveexec_b64 s[6:7], s[4:5]
	s_cbranch_execnz .LBB50_1939
	s_branch .LBB50_1940
.LBB50_3989:
	s_movk_i32 s4, 0x80
	v_cmp_eq_u16_e32 vcc, s4, v9
	s_mov_b64 s[4:5], -1
                                        ; implicit-def: $sgpr10
	s_and_saveexec_b64 s[8:9], vcc
; %bb.3990:
	s_mov_b32 s10, 0x7f800001
	s_xor_b64 s[4:5], exec, -1
; %bb.3991:
	s_or_b64 exec, exec, s[8:9]
	s_and_b64 s[4:5], s[4:5], exec
                                        ; implicit-def: $vgpr9
	s_or_saveexec_b64 s[6:7], s[6:7]
	v_mov_b32_e32 v10, s10
	s_xor_b64 exec, exec, s[6:7]
	s_cbranch_execz .LBB50_1942
.LBB50_3992:
	v_cmp_ne_u16_e32 vcc, 0, v9
	s_andn2_b64 s[4:5], s[4:5], exec
	s_and_b64 s[8:9], vcc, exec
	v_mov_b32_e32 v10, 0
	s_or_b64 s[4:5], s[4:5], s[8:9]
	s_or_b64 exec, exec, s[6:7]
	s_and_saveexec_b64 s[6:7], s[4:5]
	s_cbranch_execnz .LBB50_1943
	s_branch .LBB50_1944
.LBB50_3993:
	s_movk_i32 s4, 0x80
	v_cmp_eq_u16_sdwa s[12:13], v4, s4 src0_sel:BYTE_3 src1_sel:DWORD
	s_mov_b64 s[4:5], -1
                                        ; implicit-def: $sgpr10
	s_and_saveexec_b64 s[8:9], s[12:13]
; %bb.3994:
	s_mov_b32 s10, 0x7f800001
	s_xor_b64 s[4:5], exec, -1
; %bb.3995:
	s_or_b64 exec, exec, s[8:9]
	s_and_b64 s[4:5], s[4:5], exec
	s_or_saveexec_b64 s[6:7], s[6:7]
	v_mov_b32_e32 v8, s10
	s_xor_b64 exec, exec, s[6:7]
	s_cbranch_execz .LBB50_1946
.LBB50_3996:
	v_mov_b32_e32 v8, 0
	v_cmp_ne_u16_sdwa s[8:9], v4, v8 src0_sel:BYTE_3 src1_sel:DWORD
	s_andn2_b64 s[4:5], s[4:5], exec
	s_and_b64 s[8:9], s[8:9], exec
	s_or_b64 s[4:5], s[4:5], s[8:9]
	s_or_b64 exec, exec, s[6:7]
	s_and_saveexec_b64 s[6:7], s[4:5]
	s_cbranch_execnz .LBB50_1947
	s_branch .LBB50_1948
.LBB50_3997:
	s_movk_i32 s4, 0x80
	v_cmp_eq_u16_sdwa s[12:13], v0, s4 src0_sel:BYTE_3 src1_sel:DWORD
	s_mov_b64 s[4:5], -1
                                        ; implicit-def: $sgpr10
	s_and_saveexec_b64 s[8:9], s[12:13]
; %bb.3998:
	s_mov_b32 s10, 0x7f800001
	s_xor_b64 s[4:5], exec, -1
; %bb.3999:
	s_or_b64 exec, exec, s[8:9]
	s_and_b64 s[4:5], s[4:5], exec
	s_or_saveexec_b64 s[6:7], s[6:7]
	v_mov_b32_e32 v4, s10
	s_xor_b64 exec, exec, s[6:7]
	s_cbranch_execz .LBB50_1950
.LBB50_4000:
	v_mov_b32_e32 v4, 0
	v_cmp_ne_u16_sdwa s[8:9], v0, v4 src0_sel:BYTE_3 src1_sel:DWORD
	s_andn2_b64 s[4:5], s[4:5], exec
	s_and_b64 s[8:9], s[8:9], exec
	s_or_b64 s[4:5], s[4:5], s[8:9]
	s_or_b64 exec, exec, s[6:7]
	s_and_saveexec_b64 s[6:7], s[4:5]
	s_cbranch_execnz .LBB50_1951
	s_branch .LBB50_1952
.LBB50_4001:
	s_movk_i32 s4, 0x80
	v_cmp_eq_u16_sdwa s[12:13], v5, s4 src0_sel:BYTE_0 src1_sel:DWORD
	s_mov_b64 s[4:5], -1
                                        ; implicit-def: $sgpr10
	s_and_saveexec_b64 s[8:9], s[12:13]
; %bb.4002:
	s_mov_b32 s10, 0x7f800001
	s_xor_b64 s[4:5], exec, -1
; %bb.4003:
	s_or_b64 exec, exec, s[8:9]
	s_and_b64 s[4:5], s[4:5], exec
	s_or_saveexec_b64 s[6:7], s[6:7]
	v_mov_b32_e32 v0, s10
	s_xor_b64 exec, exec, s[6:7]
	s_cbranch_execz .LBB50_1954
.LBB50_4004:
	v_mov_b32_e32 v0, 0
	v_cmp_ne_u16_sdwa s[8:9], v5, v0 src0_sel:BYTE_0 src1_sel:DWORD
	s_andn2_b64 s[4:5], s[4:5], exec
	s_and_b64 s[8:9], s[8:9], exec
	s_or_b64 s[4:5], s[4:5], s[8:9]
	s_or_b64 exec, exec, s[6:7]
	s_and_saveexec_b64 s[6:7], s[4:5]
	s_cbranch_execnz .LBB50_1955
	s_branch .LBB50_1956
.LBB50_4005:
	s_movk_i32 s4, 0x80
	v_cmp_eq_u16_sdwa s[12:13], v1, s4 src0_sel:BYTE_0 src1_sel:DWORD
	s_mov_b64 s[4:5], -1
                                        ; implicit-def: $sgpr10
	s_and_saveexec_b64 s[8:9], s[12:13]
; %bb.4006:
	s_mov_b32 s10, 0x7f800001
	s_xor_b64 s[4:5], exec, -1
; %bb.4007:
	s_or_b64 exec, exec, s[8:9]
	s_and_b64 s[4:5], s[4:5], exec
	s_or_saveexec_b64 s[6:7], s[6:7]
	v_mov_b32_e32 v4, s10
	s_xor_b64 exec, exec, s[6:7]
	s_cbranch_execz .LBB50_1958
.LBB50_4008:
	v_mov_b32_e32 v4, 0
	v_cmp_ne_u16_sdwa s[8:9], v1, v4 src0_sel:BYTE_0 src1_sel:DWORD
	s_andn2_b64 s[4:5], s[4:5], exec
	s_and_b64 s[8:9], s[8:9], exec
	s_or_b64 s[4:5], s[4:5], s[8:9]
	s_or_b64 exec, exec, s[6:7]
	s_and_saveexec_b64 s[6:7], s[4:5]
	s_cbranch_execnz .LBB50_1959
	s_branch .LBB50_1960
.LBB50_4009:
	s_movk_i32 s4, 0x80
	v_cmp_eq_u16_sdwa s[12:13], v4, s4 src0_sel:BYTE_0 src1_sel:DWORD
	s_mov_b64 s[4:5], -1
                                        ; implicit-def: $sgpr10
	s_and_saveexec_b64 s[8:9], s[12:13]
; %bb.4010:
	s_mov_b32 s10, 0x7f800001
	s_xor_b64 s[4:5], exec, -1
; %bb.4011:
	s_or_b64 exec, exec, s[8:9]
	s_and_b64 s[4:5], s[4:5], exec
	s_or_saveexec_b64 s[6:7], s[6:7]
	v_mov_b32_e32 v0, s10
	s_xor_b64 exec, exec, s[6:7]
	s_cbranch_execz .LBB50_1962
.LBB50_4012:
	v_mov_b32_e32 v0, 0
	v_cmp_ne_u16_sdwa s[8:9], v4, v0 src0_sel:BYTE_0 src1_sel:DWORD
	s_andn2_b64 s[4:5], s[4:5], exec
	s_and_b64 s[8:9], s[8:9], exec
	s_or_b64 s[4:5], s[4:5], s[8:9]
	s_or_b64 exec, exec, s[6:7]
	s_and_saveexec_b64 s[6:7], s[4:5]
	s_cbranch_execnz .LBB50_1963
	s_branch .LBB50_1964
.LBB50_4013:
	s_movk_i32 s4, 0x80
	v_cmp_eq_u16_sdwa s[12:13], v4, s4 src0_sel:BYTE_0 src1_sel:DWORD
	s_mov_b64 s[4:5], -1
                                        ; implicit-def: $sgpr10
	s_and_saveexec_b64 s[8:9], s[12:13]
; %bb.4014:
	s_mov_b32 s10, 0x7f800001
	s_xor_b64 s[4:5], exec, -1
; %bb.4015:
	s_or_b64 exec, exec, s[8:9]
	s_and_b64 s[4:5], s[4:5], exec
	s_or_saveexec_b64 s[6:7], s[6:7]
	v_mov_b32_e32 v8, s10
	s_xor_b64 exec, exec, s[6:7]
	s_cbranch_execz .LBB50_1966
.LBB50_4016:
	v_mov_b32_e32 v8, 0
	v_cmp_ne_u16_sdwa s[8:9], v4, v8 src0_sel:BYTE_0 src1_sel:DWORD
	s_andn2_b64 s[4:5], s[4:5], exec
	s_and_b64 s[8:9], s[8:9], exec
	s_or_b64 s[4:5], s[4:5], s[8:9]
	s_or_b64 exec, exec, s[6:7]
	s_and_saveexec_b64 s[6:7], s[4:5]
	s_cbranch_execnz .LBB50_1967
	s_branch .LBB50_1968
.LBB50_4017:
	s_movk_i32 s4, 0x80
	v_cmp_eq_u16_e32 vcc, s4, v4
	s_mov_b64 s[4:5], -1
                                        ; implicit-def: $sgpr10
	s_and_saveexec_b64 s[8:9], vcc
; %bb.4018:
	s_mov_b32 s10, 0x7f800001
	s_xor_b64 s[4:5], exec, -1
; %bb.4019:
	s_or_b64 exec, exec, s[8:9]
	s_and_b64 s[4:5], s[4:5], exec
                                        ; implicit-def: $vgpr4
	s_or_saveexec_b64 s[6:7], s[6:7]
	v_mov_b32_e32 v0, s10
	s_xor_b64 exec, exec, s[6:7]
	s_cbranch_execz .LBB50_1970
.LBB50_4020:
	v_cmp_ne_u16_e32 vcc, 0, v4
	s_andn2_b64 s[4:5], s[4:5], exec
	s_and_b64 s[8:9], vcc, exec
	v_mov_b32_e32 v0, 0
	s_or_b64 s[4:5], s[4:5], s[8:9]
	s_or_b64 exec, exec, s[6:7]
	s_and_saveexec_b64 s[6:7], s[4:5]
	s_cbranch_execnz .LBB50_1971
	s_branch .LBB50_1972
.LBB50_4021:
	s_movk_i32 s4, 0x80
	v_cmp_eq_u16_e32 vcc, s4, v4
	s_mov_b64 s[4:5], -1
                                        ; implicit-def: $sgpr10
	s_and_saveexec_b64 s[8:9], vcc
; %bb.4022:
	s_mov_b32 s10, 0x7f800001
	s_xor_b64 s[4:5], exec, -1
; %bb.4023:
	s_or_b64 exec, exec, s[8:9]
	s_and_b64 s[4:5], s[4:5], exec
                                        ; implicit-def: $vgpr4
	s_or_saveexec_b64 s[6:7], s[6:7]
	v_mov_b32_e32 v8, s10
	s_xor_b64 exec, exec, s[6:7]
	s_cbranch_execz .LBB50_1974
.LBB50_4024:
	v_cmp_ne_u16_e32 vcc, 0, v4
	s_andn2_b64 s[4:5], s[4:5], exec
	s_and_b64 s[8:9], vcc, exec
	v_mov_b32_e32 v8, 0
	s_or_b64 s[4:5], s[4:5], s[8:9]
	s_or_b64 exec, exec, s[6:7]
	s_and_saveexec_b64 s[6:7], s[4:5]
	s_cbranch_execnz .LBB50_1975
	s_branch .LBB50_1976
.LBB50_4025:
	s_movk_i32 s4, 0x80
	v_cmp_eq_u16_sdwa s[12:13], v5, s4 src0_sel:BYTE_3 src1_sel:DWORD
	s_mov_b64 s[4:5], -1
                                        ; implicit-def: $sgpr10
	s_and_saveexec_b64 s[8:9], s[12:13]
; %bb.4026:
	s_mov_b32 s10, 0x7f800001
	s_xor_b64 s[4:5], exec, -1
; %bb.4027:
	s_or_b64 exec, exec, s[8:9]
	s_and_b64 s[4:5], s[4:5], exec
	s_or_saveexec_b64 s[6:7], s[6:7]
	v_mov_b32_e32 v0, s10
	s_xor_b64 exec, exec, s[6:7]
	s_cbranch_execz .LBB50_1978
.LBB50_4028:
	v_mov_b32_e32 v0, 0
	v_cmp_ne_u16_sdwa s[8:9], v5, v0 src0_sel:BYTE_3 src1_sel:DWORD
	s_andn2_b64 s[4:5], s[4:5], exec
	s_and_b64 s[8:9], s[8:9], exec
	s_or_b64 s[4:5], s[4:5], s[8:9]
	s_or_b64 exec, exec, s[6:7]
	s_and_saveexec_b64 s[6:7], s[4:5]
	s_cbranch_execnz .LBB50_1979
	s_branch .LBB50_1980
.LBB50_4029:
	s_movk_i32 s4, 0x80
	v_cmp_eq_u16_sdwa s[12:13], v1, s4 src0_sel:BYTE_3 src1_sel:DWORD
	s_mov_b64 s[4:5], -1
                                        ; implicit-def: $sgpr10
	s_and_saveexec_b64 s[8:9], s[12:13]
; %bb.4030:
	s_mov_b32 s10, 0x7f800001
	s_xor_b64 s[4:5], exec, -1
; %bb.4031:
	s_or_b64 exec, exec, s[8:9]
	s_and_b64 s[4:5], s[4:5], exec
	s_or_saveexec_b64 s[6:7], s[6:7]
	v_mov_b32_e32 v4, s10
	s_xor_b64 exec, exec, s[6:7]
	s_cbranch_execz .LBB50_1982
.LBB50_4032:
	v_mov_b32_e32 v4, 0
	v_cmp_ne_u16_sdwa s[8:9], v1, v4 src0_sel:BYTE_3 src1_sel:DWORD
	s_andn2_b64 s[4:5], s[4:5], exec
	s_and_b64 s[8:9], s[8:9], exec
	s_or_b64 s[4:5], s[4:5], s[8:9]
	s_or_b64 exec, exec, s[6:7]
	s_and_saveexec_b64 s[6:7], s[4:5]
	s_cbranch_execnz .LBB50_1983
	s_branch .LBB50_1984
.LBB50_4033:
	s_movk_i32 s4, 0x80
	v_cmp_eq_u16_sdwa s[12:13], v6, s4 src0_sel:BYTE_0 src1_sel:DWORD
	s_mov_b64 s[4:5], -1
                                        ; implicit-def: $sgpr10
	s_and_saveexec_b64 s[8:9], s[12:13]
; %bb.4034:
	s_mov_b32 s10, 0x7f800001
	s_xor_b64 s[4:5], exec, -1
; %bb.4035:
	s_or_b64 exec, exec, s[8:9]
	s_and_b64 s[4:5], s[4:5], exec
	s_or_saveexec_b64 s[6:7], s[6:7]
	v_mov_b32_e32 v0, s10
	s_xor_b64 exec, exec, s[6:7]
	s_cbranch_execz .LBB50_1986
.LBB50_4036:
	v_mov_b32_e32 v0, 0
	v_cmp_ne_u16_sdwa s[8:9], v6, v0 src0_sel:BYTE_0 src1_sel:DWORD
	s_andn2_b64 s[4:5], s[4:5], exec
	s_and_b64 s[8:9], s[8:9], exec
	s_or_b64 s[4:5], s[4:5], s[8:9]
	s_or_b64 exec, exec, s[6:7]
	s_and_saveexec_b64 s[6:7], s[4:5]
	s_cbranch_execnz .LBB50_1987
	s_branch .LBB50_1988
.LBB50_4037:
	s_movk_i32 s4, 0x80
	v_cmp_eq_u16_sdwa s[12:13], v2, s4 src0_sel:BYTE_0 src1_sel:DWORD
	s_mov_b64 s[4:5], -1
                                        ; implicit-def: $sgpr10
	s_and_saveexec_b64 s[8:9], s[12:13]
; %bb.4038:
	s_mov_b32 s10, 0x7f800001
	s_xor_b64 s[4:5], exec, -1
; %bb.4039:
	s_or_b64 exec, exec, s[8:9]
	s_and_b64 s[4:5], s[4:5], exec
	s_or_saveexec_b64 s[6:7], s[6:7]
	v_mov_b32_e32 v1, s10
	s_xor_b64 exec, exec, s[6:7]
	s_cbranch_execz .LBB50_1990
.LBB50_4040:
	v_mov_b32_e32 v1, 0
	v_cmp_ne_u16_sdwa s[8:9], v2, v1 src0_sel:BYTE_0 src1_sel:DWORD
	s_andn2_b64 s[4:5], s[4:5], exec
	s_and_b64 s[8:9], s[8:9], exec
	s_or_b64 s[4:5], s[4:5], s[8:9]
	s_or_b64 exec, exec, s[6:7]
	s_and_saveexec_b64 s[6:7], s[4:5]
	s_cbranch_execnz .LBB50_1991
	s_branch .LBB50_1992
.LBB50_4041:
	s_movk_i32 s4, 0x80
	v_cmp_eq_u16_sdwa s[12:13], v1, s4 src0_sel:BYTE_0 src1_sel:DWORD
	s_mov_b64 s[4:5], -1
                                        ; implicit-def: $sgpr10
	s_and_saveexec_b64 s[8:9], s[12:13]
; %bb.4042:
	s_mov_b32 s10, 0x7f800001
	s_xor_b64 s[4:5], exec, -1
; %bb.4043:
	s_or_b64 exec, exec, s[8:9]
	s_and_b64 s[4:5], s[4:5], exec
	s_or_saveexec_b64 s[6:7], s[6:7]
	v_mov_b32_e32 v0, s10
	s_xor_b64 exec, exec, s[6:7]
	s_cbranch_execz .LBB50_1994
.LBB50_4044:
	v_mov_b32_e32 v0, 0
	v_cmp_ne_u16_sdwa s[8:9], v1, v0 src0_sel:BYTE_0 src1_sel:DWORD
	s_andn2_b64 s[4:5], s[4:5], exec
	s_and_b64 s[8:9], s[8:9], exec
	s_or_b64 s[4:5], s[4:5], s[8:9]
	s_or_b64 exec, exec, s[6:7]
	s_and_saveexec_b64 s[6:7], s[4:5]
	s_cbranch_execnz .LBB50_1995
	s_branch .LBB50_1996
.LBB50_4045:
	s_movk_i32 s4, 0x80
	v_cmp_eq_u16_sdwa s[12:13], v1, s4 src0_sel:BYTE_0 src1_sel:DWORD
	s_mov_b64 s[4:5], -1
                                        ; implicit-def: $sgpr10
	s_and_saveexec_b64 s[8:9], s[12:13]
; %bb.4046:
	s_mov_b32 s10, 0x7f800001
	s_xor_b64 s[4:5], exec, -1
; %bb.4047:
	s_or_b64 exec, exec, s[8:9]
	s_and_b64 s[4:5], s[4:5], exec
	s_or_saveexec_b64 s[6:7], s[6:7]
	v_mov_b32_e32 v4, s10
	s_xor_b64 exec, exec, s[6:7]
	s_cbranch_execz .LBB50_1998
.LBB50_4048:
	v_mov_b32_e32 v4, 0
	v_cmp_ne_u16_sdwa s[8:9], v1, v4 src0_sel:BYTE_0 src1_sel:DWORD
	s_andn2_b64 s[4:5], s[4:5], exec
	s_and_b64 s[8:9], s[8:9], exec
	s_or_b64 s[4:5], s[4:5], s[8:9]
	s_or_b64 exec, exec, s[6:7]
	s_and_saveexec_b64 s[6:7], s[4:5]
	s_cbranch_execnz .LBB50_1999
	s_branch .LBB50_2000
.LBB50_4049:
	s_movk_i32 s4, 0x80
	v_cmp_eq_u16_e32 vcc, s4, v1
	s_mov_b64 s[4:5], -1
                                        ; implicit-def: $sgpr10
	s_and_saveexec_b64 s[8:9], vcc
; %bb.4050:
	s_mov_b32 s10, 0x7f800001
	s_xor_b64 s[4:5], exec, -1
; %bb.4051:
	s_or_b64 exec, exec, s[8:9]
	s_and_b64 s[4:5], s[4:5], exec
                                        ; implicit-def: $vgpr1
	s_or_saveexec_b64 s[6:7], s[6:7]
	v_mov_b32_e32 v0, s10
	s_xor_b64 exec, exec, s[6:7]
	s_cbranch_execz .LBB50_2002
.LBB50_4052:
	v_cmp_ne_u16_e32 vcc, 0, v1
	s_andn2_b64 s[4:5], s[4:5], exec
	s_and_b64 s[8:9], vcc, exec
	v_mov_b32_e32 v0, 0
	s_or_b64 s[4:5], s[4:5], s[8:9]
	s_or_b64 exec, exec, s[6:7]
	s_and_saveexec_b64 s[6:7], s[4:5]
	s_cbranch_execnz .LBB50_2003
	s_branch .LBB50_2004
.LBB50_4053:
	s_movk_i32 s4, 0x80
	v_cmp_eq_u16_e32 vcc, s4, v1
	s_mov_b64 s[4:5], -1
                                        ; implicit-def: $sgpr10
	s_and_saveexec_b64 s[8:9], vcc
; %bb.4054:
	s_mov_b32 s10, 0x7f800001
	s_xor_b64 s[4:5], exec, -1
; %bb.4055:
	s_or_b64 exec, exec, s[8:9]
	s_and_b64 s[4:5], s[4:5], exec
                                        ; implicit-def: $vgpr1
	s_or_saveexec_b64 s[6:7], s[6:7]
	v_mov_b32_e32 v4, s10
	s_xor_b64 exec, exec, s[6:7]
	s_cbranch_execz .LBB50_2006
.LBB50_4056:
	v_cmp_ne_u16_e32 vcc, 0, v1
	s_andn2_b64 s[4:5], s[4:5], exec
	s_and_b64 s[8:9], vcc, exec
	v_mov_b32_e32 v4, 0
	s_or_b64 s[4:5], s[4:5], s[8:9]
	s_or_b64 exec, exec, s[6:7]
	s_and_saveexec_b64 s[6:7], s[4:5]
	s_cbranch_execnz .LBB50_2007
	s_branch .LBB50_2008
.LBB50_4057:
	s_movk_i32 s4, 0x80
	v_cmp_eq_u16_sdwa s[12:13], v6, s4 src0_sel:BYTE_3 src1_sel:DWORD
	s_mov_b64 s[4:5], -1
                                        ; implicit-def: $sgpr10
	s_and_saveexec_b64 s[8:9], s[12:13]
; %bb.4058:
	s_mov_b32 s10, 0x7f800001
	s_xor_b64 s[4:5], exec, -1
; %bb.4059:
	s_or_b64 exec, exec, s[8:9]
	s_and_b64 s[4:5], s[4:5], exec
	s_or_saveexec_b64 s[6:7], s[6:7]
	v_mov_b32_e32 v0, s10
	s_xor_b64 exec, exec, s[6:7]
	s_cbranch_execz .LBB50_2010
.LBB50_4060:
	v_mov_b32_e32 v0, 0
	v_cmp_ne_u16_sdwa s[8:9], v6, v0 src0_sel:BYTE_3 src1_sel:DWORD
	s_andn2_b64 s[4:5], s[4:5], exec
	s_and_b64 s[8:9], s[8:9], exec
	s_or_b64 s[4:5], s[4:5], s[8:9]
	s_or_b64 exec, exec, s[6:7]
	s_and_saveexec_b64 s[6:7], s[4:5]
	s_cbranch_execnz .LBB50_2011
	s_branch .LBB50_2012
.LBB50_4061:
	s_movk_i32 s4, 0x80
	v_cmp_eq_u16_sdwa s[12:13], v2, s4 src0_sel:BYTE_3 src1_sel:DWORD
	s_mov_b64 s[4:5], -1
                                        ; implicit-def: $sgpr10
	s_and_saveexec_b64 s[8:9], s[12:13]
; %bb.4062:
	s_mov_b32 s10, 0x7f800001
	s_xor_b64 s[4:5], exec, -1
; %bb.4063:
	s_or_b64 exec, exec, s[8:9]
	s_and_b64 s[4:5], s[4:5], exec
	s_or_saveexec_b64 s[6:7], s[6:7]
	v_mov_b32_e32 v1, s10
	s_xor_b64 exec, exec, s[6:7]
	s_cbranch_execz .LBB50_2014
.LBB50_4064:
	v_mov_b32_e32 v1, 0
	v_cmp_ne_u16_sdwa s[8:9], v2, v1 src0_sel:BYTE_3 src1_sel:DWORD
	s_andn2_b64 s[4:5], s[4:5], exec
	s_and_b64 s[8:9], s[8:9], exec
	s_or_b64 s[4:5], s[4:5], s[8:9]
	s_or_b64 exec, exec, s[6:7]
	s_and_saveexec_b64 s[6:7], s[4:5]
	s_cbranch_execnz .LBB50_2015
	s_branch .LBB50_2016
.LBB50_4065:
	s_movk_i32 s4, 0x80
	v_cmp_eq_u16_sdwa s[12:13], v7, s4 src0_sel:BYTE_0 src1_sel:DWORD
	s_mov_b64 s[4:5], -1
                                        ; implicit-def: $sgpr10
	s_and_saveexec_b64 s[8:9], s[12:13]
; %bb.4066:
	s_mov_b32 s10, 0x7f800001
	s_xor_b64 s[4:5], exec, -1
; %bb.4067:
	s_or_b64 exec, exec, s[8:9]
	s_and_b64 s[4:5], s[4:5], exec
	s_or_saveexec_b64 s[6:7], s[6:7]
	v_mov_b32_e32 v0, s10
	s_xor_b64 exec, exec, s[6:7]
	s_cbranch_execz .LBB50_2018
.LBB50_4068:
	v_mov_b32_e32 v0, 0
	v_cmp_ne_u16_sdwa s[8:9], v7, v0 src0_sel:BYTE_0 src1_sel:DWORD
	s_andn2_b64 s[4:5], s[4:5], exec
	s_and_b64 s[8:9], s[8:9], exec
	s_or_b64 s[4:5], s[4:5], s[8:9]
	s_or_b64 exec, exec, s[6:7]
	s_and_saveexec_b64 s[6:7], s[4:5]
	s_cbranch_execnz .LBB50_2019
	s_branch .LBB50_2020
.LBB50_4069:
	s_movk_i32 s4, 0x80
	v_cmp_eq_u16_sdwa s[12:13], v3, s4 src0_sel:BYTE_0 src1_sel:DWORD
	s_mov_b64 s[4:5], -1
                                        ; implicit-def: $sgpr10
	s_and_saveexec_b64 s[8:9], s[12:13]
; %bb.4070:
	s_mov_b32 s10, 0x7f800001
	s_xor_b64 s[4:5], exec, -1
; %bb.4071:
	s_or_b64 exec, exec, s[8:9]
	s_and_b64 s[4:5], s[4:5], exec
	s_or_saveexec_b64 s[6:7], s[6:7]
	v_mov_b32_e32 v1, s10
	s_xor_b64 exec, exec, s[6:7]
	s_cbranch_execz .LBB50_2022
.LBB50_4072:
	v_mov_b32_e32 v1, 0
	v_cmp_ne_u16_sdwa s[8:9], v3, v1 src0_sel:BYTE_0 src1_sel:DWORD
	s_andn2_b64 s[4:5], s[4:5], exec
	s_and_b64 s[8:9], s[8:9], exec
	s_or_b64 s[4:5], s[4:5], s[8:9]
	s_or_b64 exec, exec, s[6:7]
	s_and_saveexec_b64 s[6:7], s[4:5]
	s_cbranch_execnz .LBB50_2023
	s_branch .LBB50_2024
.LBB50_4073:
	s_movk_i32 s4, 0x80
	v_cmp_eq_u16_sdwa s[12:13], v1, s4 src0_sel:BYTE_0 src1_sel:DWORD
	s_mov_b64 s[4:5], -1
                                        ; implicit-def: $sgpr10
	s_and_saveexec_b64 s[8:9], s[12:13]
; %bb.4074:
	s_mov_b32 s10, 0x7f800001
	s_xor_b64 s[4:5], exec, -1
; %bb.4075:
	s_or_b64 exec, exec, s[8:9]
	s_and_b64 s[4:5], s[4:5], exec
	s_or_saveexec_b64 s[6:7], s[6:7]
	v_mov_b32_e32 v0, s10
	s_xor_b64 exec, exec, s[6:7]
	s_cbranch_execz .LBB50_2026
.LBB50_4076:
	v_mov_b32_e32 v0, 0
	v_cmp_ne_u16_sdwa s[8:9], v1, v0 src0_sel:BYTE_0 src1_sel:DWORD
	s_andn2_b64 s[4:5], s[4:5], exec
	s_and_b64 s[8:9], s[8:9], exec
	s_or_b64 s[4:5], s[4:5], s[8:9]
	s_or_b64 exec, exec, s[6:7]
	s_and_saveexec_b64 s[6:7], s[4:5]
	s_cbranch_execnz .LBB50_2027
	s_branch .LBB50_2028
.LBB50_4077:
	s_movk_i32 s4, 0x80
	v_cmp_eq_u16_sdwa s[12:13], v1, s4 src0_sel:BYTE_0 src1_sel:DWORD
	s_mov_b64 s[4:5], -1
                                        ; implicit-def: $sgpr10
	s_and_saveexec_b64 s[8:9], s[12:13]
; %bb.4078:
	s_mov_b32 s10, 0x7f800001
	s_xor_b64 s[4:5], exec, -1
; %bb.4079:
	s_or_b64 exec, exec, s[8:9]
	s_and_b64 s[4:5], s[4:5], exec
	s_or_saveexec_b64 s[6:7], s[6:7]
	v_mov_b32_e32 v2, s10
	s_xor_b64 exec, exec, s[6:7]
	s_cbranch_execz .LBB50_2030
.LBB50_4080:
	v_mov_b32_e32 v2, 0
	v_cmp_ne_u16_sdwa s[8:9], v1, v2 src0_sel:BYTE_0 src1_sel:DWORD
	s_andn2_b64 s[4:5], s[4:5], exec
	s_and_b64 s[8:9], s[8:9], exec
	s_or_b64 s[4:5], s[4:5], s[8:9]
	s_or_b64 exec, exec, s[6:7]
	s_and_saveexec_b64 s[6:7], s[4:5]
	s_cbranch_execnz .LBB50_2031
	s_branch .LBB50_2032
.LBB50_4081:
	s_movk_i32 s4, 0x80
	v_cmp_eq_u16_e32 vcc, s4, v1
	s_mov_b64 s[4:5], -1
                                        ; implicit-def: $sgpr10
	s_and_saveexec_b64 s[8:9], vcc
; %bb.4082:
	s_mov_b32 s10, 0x7f800001
	s_xor_b64 s[4:5], exec, -1
; %bb.4083:
	s_or_b64 exec, exec, s[8:9]
	s_and_b64 s[4:5], s[4:5], exec
                                        ; implicit-def: $vgpr1
	s_or_saveexec_b64 s[6:7], s[6:7]
	v_mov_b32_e32 v0, s10
	s_xor_b64 exec, exec, s[6:7]
	s_cbranch_execz .LBB50_2034
.LBB50_4084:
	v_cmp_ne_u16_e32 vcc, 0, v1
	s_andn2_b64 s[4:5], s[4:5], exec
	s_and_b64 s[8:9], vcc, exec
	v_mov_b32_e32 v0, 0
	s_or_b64 s[4:5], s[4:5], s[8:9]
	s_or_b64 exec, exec, s[6:7]
	s_and_saveexec_b64 s[6:7], s[4:5]
	s_cbranch_execnz .LBB50_2035
	s_branch .LBB50_2036
.LBB50_4085:
	s_movk_i32 s4, 0x80
	v_cmp_eq_u16_e32 vcc, s4, v1
	s_mov_b64 s[4:5], -1
                                        ; implicit-def: $sgpr10
	s_and_saveexec_b64 s[8:9], vcc
; %bb.4086:
	s_mov_b32 s10, 0x7f800001
	s_xor_b64 s[4:5], exec, -1
; %bb.4087:
	s_or_b64 exec, exec, s[8:9]
	s_and_b64 s[4:5], s[4:5], exec
                                        ; implicit-def: $vgpr1
	s_or_saveexec_b64 s[6:7], s[6:7]
	v_mov_b32_e32 v2, s10
	s_xor_b64 exec, exec, s[6:7]
	s_cbranch_execz .LBB50_2038
.LBB50_4088:
	v_cmp_ne_u16_e32 vcc, 0, v1
	s_andn2_b64 s[4:5], s[4:5], exec
	s_and_b64 s[8:9], vcc, exec
	v_mov_b32_e32 v2, 0
	s_or_b64 s[4:5], s[4:5], s[8:9]
	s_or_b64 exec, exec, s[6:7]
	s_and_saveexec_b64 s[6:7], s[4:5]
	s_cbranch_execnz .LBB50_2039
	s_branch .LBB50_2040
.LBB50_4089:
	s_movk_i32 s4, 0x80
	v_cmp_eq_u16_sdwa s[12:13], v7, s4 src0_sel:BYTE_3 src1_sel:DWORD
	s_mov_b64 s[4:5], -1
                                        ; implicit-def: $sgpr10
	s_and_saveexec_b64 s[8:9], s[12:13]
; %bb.4090:
	s_mov_b32 s10, 0x7f800001
	s_xor_b64 s[4:5], exec, -1
; %bb.4091:
	s_or_b64 exec, exec, s[8:9]
	s_and_b64 s[4:5], s[4:5], exec
	s_or_saveexec_b64 s[6:7], s[6:7]
	v_mov_b32_e32 v0, s10
	s_xor_b64 exec, exec, s[6:7]
	s_cbranch_execz .LBB50_2042
.LBB50_4092:
	v_mov_b32_e32 v0, 0
	v_cmp_ne_u16_sdwa s[8:9], v7, v0 src0_sel:BYTE_3 src1_sel:DWORD
	s_andn2_b64 s[4:5], s[4:5], exec
	s_and_b64 s[8:9], s[8:9], exec
	s_or_b64 s[4:5], s[4:5], s[8:9]
	s_or_b64 exec, exec, s[6:7]
	s_and_saveexec_b64 s[6:7], s[4:5]
	s_cbranch_execnz .LBB50_2043
	s_branch .LBB50_2044
.LBB50_4093:
	s_movk_i32 s4, 0x80
	v_cmp_eq_u16_sdwa s[12:13], v3, s4 src0_sel:BYTE_3 src1_sel:DWORD
	s_mov_b64 s[4:5], -1
                                        ; implicit-def: $sgpr10
	s_and_saveexec_b64 s[8:9], s[12:13]
; %bb.4094:
	s_mov_b32 s10, 0x7f800001
	s_xor_b64 s[4:5], exec, -1
; %bb.4095:
	s_or_b64 exec, exec, s[8:9]
	s_and_b64 s[4:5], s[4:5], exec
	s_or_saveexec_b64 s[6:7], s[6:7]
	v_mov_b32_e32 v1, s10
	s_xor_b64 exec, exec, s[6:7]
	s_cbranch_execz .LBB50_2046
.LBB50_4096:
	v_mov_b32_e32 v1, 0
	v_cmp_ne_u16_sdwa s[8:9], v3, v1 src0_sel:BYTE_3 src1_sel:DWORD
	s_andn2_b64 s[4:5], s[4:5], exec
	s_and_b64 s[8:9], s[8:9], exec
	s_or_b64 s[4:5], s[4:5], s[8:9]
	s_or_b64 exec, exec, s[6:7]
	s_and_saveexec_b64 s[6:7], s[4:5]
	s_cbranch_execnz .LBB50_2047
	s_branch .LBB50_2048
.Lfunc_end50:
	.size	_ZNK2ck6detail7applierIiJLi0ELi1ELi2ELi3ELi4ELi5ELi6ELi7EEEclIZNKS_11static_fordINS_8SequenceIJLi1ELi8EEEENS5_IJLi0ELi1EEEEEclIZZNKS_52BlockwiseGemmXdlops_pipeline_bpreshuffle_bdequant_v3ILNS_26BlockGemmPipelineSchedulerE0ELi256ENS_9f8_fnuz_tENS_7pk_i4_tESC_fNS_16TensorDescriptorINS_5TupleIJNS_5EmbedINSF_IJNS_17integral_constantIiLi8EEENSH_IiLi256EEENSH_IiLi16EEEEEENSF_IJSK_NSH_IiLi128EEENSH_IiLi1EEEEEELb0EEENS_3XorINSF_IJSJ_SI_EEELb1EEENS_11PassThroughISK_EENS_7UnMergeINSF_IJSI_SN_EEELb0EEENST_ISJ_EESU_NST_ISI_EENS_21Merge_v3_division_modINSF_IJSJ_SN_EEEEESU_EEENSF_IJNS5_IJLi0EEEENS5_IJLi2ELi1EEEENS5_IJLi3EEEENS5_IJLi5EEEENS5_IJLi4EEEENS5_IJLi6EEEENS5_IJLi7EEEENS5_IJLi9ELi8EEEENS5_IJLi10EEEEEEENSF_IJNS5_IJLi1ELi2ELi3EEEENS5_IJLi4ELi5EEEES19_NS5_IJLi7ELi8EEEENS5_IJLi9EEEES1C_NS5_IJLi11EEEENS5_IJLi12EEEENS5_IJLi13EEEEEEENS5_IJLi11ELi12ELi13EEEENSH_IlLl32768EEEEENSE_INSF_IJNSV_INSF_IJSI_SN_SN_NSH_IiLi32EEEEEELb0EEEEEENSF_IJS14_EEENSF_IJNS5_IJLi1ELi2ELi3ELi4EEEEEEES1U_NSH_IlLl256EEEEENSE_INSF_IJSP_SS_SU_SX_SY_SU_SZ_S12_SU_NS10_INSF_IJSI_SK_EEEEENSV_INSF_IJSI_NSH_IiLi2EEESK_EEELb0EEEEEENSF_IJS14_S15_S16_S17_S18_S19_S1A_S1B_S1C_NS5_IJLi11ELi13EEEES1J_EEENSF_IJS1E_S1F_S19_S1G_S1H_S1C_S1I_S1J_S1K_NS5_IJLi14EEEENS5_IJLi15ELi16ELi17EEEEEEENS5_IJLi15ELi16ELi17ELi14EEEES1N_EENSE_INSF_IJS1R_NS10_ISW_EES22_EEENSF_IJS14_NS5_IJLi1ELi3EEEENS5_IJLi2EEEEEEENSF_IJS1U_S17_NS5_IJLi6ELi7ELi8EEEEEEENS5_IJLi6ELi7ELi8ELi5EEEES1W_EELi16ELi32ELi256ELi256ELi128ELi16ELi16ELi8ELi8ELi32ELb0EE3RunILb1ELNS_10TailNumberE1ENSE_INSF_IJNSG_INSF_IJiiEEENSF_IJiSN_EEELb0EEENSV_IS2N_Lb0EEENST_IiEEEEENSF_IJS14_S2E_NS5_IJLi1EEEEEEENSF_IJNS5_IJLi1ELi2EEEENS5_IJLi3ELi4EEEES17_EEENS5_IJLi3ELi5ELi4EEEElEES1O_NS_35ThreadGroupTensorSliceTransfer_v4r1INS_15ThisThreadBlockILi256EEENS_16tensor_operation12element_wise11PassThroughES35_LNS_25InMemoryDataOperationEnumE0ENS5_IJLi8ELi256ELi16EEEENS5_IJLi8ELi32ELi1EEEENS5_IJLi1ELi0ELi2EEEESC_SC_RKS2Z_KS1O_S39_NS5_IJLi0ELi1ELi2EEEELi2ELi2ELi16ELi16ELi1ELi1ELb0ELb1ELi2EiEENS_13DynamicBufferILNS_16AddressSpaceEnumE1EKSC_lLb1ELNS_22AmdBufferCoherenceEnumE0EiEENSF_IJNS3F_ILS3G_2ESC_S1N_Lb1ELS3I_0EiEES3K_EEENSF_IJiiiEEENSE_INSF_IJNSG_INSF_IJiiiiEEENSF_IJiiiSN_EEELb0EEEEEES1T_S1V_S1U_lEENS_32ThreadwiseTensorSliceTransfer_v2ISD_SD_RKS3R_KS1X_NS5_IJLi8ELi1ELi1ELi32EEEENS5_IJLi1ELi2ELi0ELi3EEEELi3ELi32ELi0ELb1ELb0ELb0EEENS3F_ILS3G_1EKSD_lLb1ELS3I_0EiEENSF_IJNS_12StaticBufferILS3G_4ESD_Li256ELb1EEES42_EEES3N_NS_25StaticBufferTupleOfVectorILS3G_4EfLi64ELi4ELb1ELb0EEEEEvRKT1_RKT2_RT3_RKT4_RT5_RKT6_RKT7_RT8_RKT9_RT10_RKT11_RT12_iENKUlT_E0_clINSH_IiLi6EEEEEDaS51_EUlS51_E_EEvS51_EUlS51_E_EEvS51_, .Lfunc_end50-_ZNK2ck6detail7applierIiJLi0ELi1ELi2ELi3ELi4ELi5ELi6ELi7EEEclIZNKS_11static_fordINS_8SequenceIJLi1ELi8EEEENS5_IJLi0ELi1EEEEEclIZZNKS_52BlockwiseGemmXdlops_pipeline_bpreshuffle_bdequant_v3ILNS_26BlockGemmPipelineSchedulerE0ELi256ENS_9f8_fnuz_tENS_7pk_i4_tESC_fNS_16TensorDescriptorINS_5TupleIJNS_5EmbedINSF_IJNS_17integral_constantIiLi8EEENSH_IiLi256EEENSH_IiLi16EEEEEENSF_IJSK_NSH_IiLi128EEENSH_IiLi1EEEEEELb0EEENS_3XorINSF_IJSJ_SI_EEELb1EEENS_11PassThroughISK_EENS_7UnMergeINSF_IJSI_SN_EEELb0EEENST_ISJ_EESU_NST_ISI_EENS_21Merge_v3_division_modINSF_IJSJ_SN_EEEEESU_EEENSF_IJNS5_IJLi0EEEENS5_IJLi2ELi1EEEENS5_IJLi3EEEENS5_IJLi5EEEENS5_IJLi4EEEENS5_IJLi6EEEENS5_IJLi7EEEENS5_IJLi9ELi8EEEENS5_IJLi10EEEEEEENSF_IJNS5_IJLi1ELi2ELi3EEEENS5_IJLi4ELi5EEEES19_NS5_IJLi7ELi8EEEENS5_IJLi9EEEES1C_NS5_IJLi11EEEENS5_IJLi12EEEENS5_IJLi13EEEEEEENS5_IJLi11ELi12ELi13EEEENSH_IlLl32768EEEEENSE_INSF_IJNSV_INSF_IJSI_SN_SN_NSH_IiLi32EEEEEELb0EEEEEENSF_IJS14_EEENSF_IJNS5_IJLi1ELi2ELi3ELi4EEEEEEES1U_NSH_IlLl256EEEEENSE_INSF_IJSP_SS_SU_SX_SY_SU_SZ_S12_SU_NS10_INSF_IJSI_SK_EEEEENSV_INSF_IJSI_NSH_IiLi2EEESK_EEELb0EEEEEENSF_IJS14_S15_S16_S17_S18_S19_S1A_S1B_S1C_NS5_IJLi11ELi13EEEES1J_EEENSF_IJS1E_S1F_S19_S1G_S1H_S1C_S1I_S1J_S1K_NS5_IJLi14EEEENS5_IJLi15ELi16ELi17EEEEEEENS5_IJLi15ELi16ELi17ELi14EEEES1N_EENSE_INSF_IJS1R_NS10_ISW_EES22_EEENSF_IJS14_NS5_IJLi1ELi3EEEENS5_IJLi2EEEEEEENSF_IJS1U_S17_NS5_IJLi6ELi7ELi8EEEEEEENS5_IJLi6ELi7ELi8ELi5EEEES1W_EELi16ELi32ELi256ELi256ELi128ELi16ELi16ELi8ELi8ELi32ELb0EE3RunILb1ELNS_10TailNumberE1ENSE_INSF_IJNSG_INSF_IJiiEEENSF_IJiSN_EEELb0EEENSV_IS2N_Lb0EEENST_IiEEEEENSF_IJS14_S2E_NS5_IJLi1EEEEEEENSF_IJNS5_IJLi1ELi2EEEENS5_IJLi3ELi4EEEES17_EEENS5_IJLi3ELi5ELi4EEEElEES1O_NS_35ThreadGroupTensorSliceTransfer_v4r1INS_15ThisThreadBlockILi256EEENS_16tensor_operation12element_wise11PassThroughES35_LNS_25InMemoryDataOperationEnumE0ENS5_IJLi8ELi256ELi16EEEENS5_IJLi8ELi32ELi1EEEENS5_IJLi1ELi0ELi2EEEESC_SC_RKS2Z_KS1O_S39_NS5_IJLi0ELi1ELi2EEEELi2ELi2ELi16ELi16ELi1ELi1ELb0ELb1ELi2EiEENS_13DynamicBufferILNS_16AddressSpaceEnumE1EKSC_lLb1ELNS_22AmdBufferCoherenceEnumE0EiEENSF_IJNS3F_ILS3G_2ESC_S1N_Lb1ELS3I_0EiEES3K_EEENSF_IJiiiEEENSE_INSF_IJNSG_INSF_IJiiiiEEENSF_IJiiiSN_EEELb0EEEEEES1T_S1V_S1U_lEENS_32ThreadwiseTensorSliceTransfer_v2ISD_SD_RKS3R_KS1X_NS5_IJLi8ELi1ELi1ELi32EEEENS5_IJLi1ELi2ELi0ELi3EEEELi3ELi32ELi0ELb1ELb0ELb0EEENS3F_ILS3G_1EKSD_lLb1ELS3I_0EiEENSF_IJNS_12StaticBufferILS3G_4ESD_Li256ELb1EEES42_EEES3N_NS_25StaticBufferTupleOfVectorILS3G_4EfLi64ELi4ELb1ELb0EEEEEvRKT1_RKT2_RT3_RKT4_RT5_RKT6_RKT7_RT8_RKT9_RT10_RKT11_RT12_iENKUlT_E0_clINSH_IiLi6EEEEEDaS51_EUlS51_E_EEvS51_EUlS51_E_EEvS51_
                                        ; -- End function
	.section	.AMDGPU.csdata,"",@progbits
; Function info:
; codeLenInByte = 133608
; NumSgprs: 36
; NumVgprs: 26
; NumAgprs: 4
; TotalNumVgprs: 32
; ScratchSize: 0
; MemoryBound: 1
	.text
	.p2align	2                               ; -- Begin function _ZNK2ck6detail7applierIiJLi0ELi1ELi2ELi3ELi4ELi5ELi6ELi7EEEclIZNKS_11static_fordINS_8SequenceIJLi1ELi8EEEENS5_IJLi0ELi1EEEEEclIZZNKS_52BlockwiseGemmXdlops_pipeline_bpreshuffle_bdequant_v3ILNS_26BlockGemmPipelineSchedulerE0ELi256ENS_9f8_fnuz_tENS_7pk_i4_tESC_fNS_16TensorDescriptorINS_5TupleIJNS_5EmbedINSF_IJNS_17integral_constantIiLi8EEENSH_IiLi256EEENSH_IiLi16EEEEEENSF_IJSK_NSH_IiLi128EEENSH_IiLi1EEEEEELb0EEENS_3XorINSF_IJSJ_SI_EEELb1EEENS_11PassThroughISK_EENS_7UnMergeINSF_IJSI_SN_EEELb0EEENST_ISJ_EESU_NST_ISI_EENS_21Merge_v3_division_modINSF_IJSJ_SN_EEEEESU_EEENSF_IJNS5_IJLi0EEEENS5_IJLi2ELi1EEEENS5_IJLi3EEEENS5_IJLi5EEEENS5_IJLi4EEEENS5_IJLi6EEEENS5_IJLi7EEEENS5_IJLi9ELi8EEEENS5_IJLi10EEEEEEENSF_IJNS5_IJLi1ELi2ELi3EEEENS5_IJLi4ELi5EEEES19_NS5_IJLi7ELi8EEEENS5_IJLi9EEEES1C_NS5_IJLi11EEEENS5_IJLi12EEEENS5_IJLi13EEEEEEENS5_IJLi11ELi12ELi13EEEENSH_IlLl32768EEEEENSE_INSF_IJNSV_INSF_IJSI_SN_SN_NSH_IiLi32EEEEEELb0EEEEEENSF_IJS14_EEENSF_IJNS5_IJLi1ELi2ELi3ELi4EEEEEEES1U_NSH_IlLl256EEEEENSE_INSF_IJSP_SS_SU_SX_SY_SU_SZ_S12_SU_NS10_INSF_IJSI_SK_EEEEENSV_INSF_IJSI_NSH_IiLi2EEESK_EEELb0EEEEEENSF_IJS14_S15_S16_S17_S18_S19_S1A_S1B_S1C_NS5_IJLi11ELi13EEEES1J_EEENSF_IJS1E_S1F_S19_S1G_S1H_S1C_S1I_S1J_S1K_NS5_IJLi14EEEENS5_IJLi15ELi16ELi17EEEEEEENS5_IJLi15ELi16ELi17ELi14EEEES1N_EENSE_INSF_IJS1R_NS10_ISW_EES22_EEENSF_IJS14_NS5_IJLi1ELi3EEEENS5_IJLi2EEEEEEENSF_IJS1U_S17_NS5_IJLi6ELi7ELi8EEEEEEENS5_IJLi6ELi7ELi8ELi5EEEES1W_EELi16ELi32ELi256ELi256ELi128ELi16ELi16ELi8ELi8ELi32ELb0EE3RunILb1ELNS_10TailNumberE1ENSE_INSF_IJNSG_INSF_IJiiEEENSF_IJiSN_EEELb0EEENSV_IS2N_Lb0EEENST_IiEEEEENSF_IJS14_S2E_NS5_IJLi1EEEEEEENSF_IJNS5_IJLi1ELi2EEEENS5_IJLi3ELi4EEEES17_EEENS5_IJLi3ELi5ELi4EEEElEES1O_NS_35ThreadGroupTensorSliceTransfer_v4r1INS_15ThisThreadBlockILi256EEENS_16tensor_operation12element_wise11PassThroughES35_LNS_25InMemoryDataOperationEnumE0ENS5_IJLi8ELi256ELi16EEEENS5_IJLi8ELi32ELi1EEEENS5_IJLi1ELi0ELi2EEEESC_SC_RKS2Z_KS1O_S39_NS5_IJLi0ELi1ELi2EEEELi2ELi2ELi16ELi16ELi1ELi1ELb0ELb1ELi2EiEENS_13DynamicBufferILNS_16AddressSpaceEnumE1EKSC_lLb1ELNS_22AmdBufferCoherenceEnumE0EiEENSF_IJNS3F_ILS3G_2ESC_S1N_Lb1ELS3I_0EiEES3K_EEENSF_IJiiiEEENSE_INSF_IJNSG_INSF_IJiiiiEEENSF_IJiiiSN_EEELb0EEEEEES1T_S1V_S1U_lEENS_32ThreadwiseTensorSliceTransfer_v2ISD_SD_RKS3R_KS1X_NS5_IJLi8ELi1ELi1ELi32EEEENS5_IJLi1ELi2ELi0ELi3EEEELi3ELi32ELi0ELb1ELb0ELb0EEENS3F_ILS3G_1EKSD_lLb1ELS3I_0EiEENSF_IJNS_12StaticBufferILS3G_4ESD_Li256ELb1EEES42_EEES3N_NS_25StaticBufferTupleOfVectorILS3G_4EfLi64ELi4ELb1ELb0EEEEEvRKT1_RKT2_RT3_RKT4_RT5_RKT6_RKT7_RT8_RKT9_RT10_RKT11_RT12_iENKUlT_E0_clINSH_IiLi7EEEEEDaS51_EUlS51_E_EEvS51_EUlS51_E_EEvS51_
	.type	_ZNK2ck6detail7applierIiJLi0ELi1ELi2ELi3ELi4ELi5ELi6ELi7EEEclIZNKS_11static_fordINS_8SequenceIJLi1ELi8EEEENS5_IJLi0ELi1EEEEEclIZZNKS_52BlockwiseGemmXdlops_pipeline_bpreshuffle_bdequant_v3ILNS_26BlockGemmPipelineSchedulerE0ELi256ENS_9f8_fnuz_tENS_7pk_i4_tESC_fNS_16TensorDescriptorINS_5TupleIJNS_5EmbedINSF_IJNS_17integral_constantIiLi8EEENSH_IiLi256EEENSH_IiLi16EEEEEENSF_IJSK_NSH_IiLi128EEENSH_IiLi1EEEEEELb0EEENS_3XorINSF_IJSJ_SI_EEELb1EEENS_11PassThroughISK_EENS_7UnMergeINSF_IJSI_SN_EEELb0EEENST_ISJ_EESU_NST_ISI_EENS_21Merge_v3_division_modINSF_IJSJ_SN_EEEEESU_EEENSF_IJNS5_IJLi0EEEENS5_IJLi2ELi1EEEENS5_IJLi3EEEENS5_IJLi5EEEENS5_IJLi4EEEENS5_IJLi6EEEENS5_IJLi7EEEENS5_IJLi9ELi8EEEENS5_IJLi10EEEEEEENSF_IJNS5_IJLi1ELi2ELi3EEEENS5_IJLi4ELi5EEEES19_NS5_IJLi7ELi8EEEENS5_IJLi9EEEES1C_NS5_IJLi11EEEENS5_IJLi12EEEENS5_IJLi13EEEEEEENS5_IJLi11ELi12ELi13EEEENSH_IlLl32768EEEEENSE_INSF_IJNSV_INSF_IJSI_SN_SN_NSH_IiLi32EEEEEELb0EEEEEENSF_IJS14_EEENSF_IJNS5_IJLi1ELi2ELi3ELi4EEEEEEES1U_NSH_IlLl256EEEEENSE_INSF_IJSP_SS_SU_SX_SY_SU_SZ_S12_SU_NS10_INSF_IJSI_SK_EEEEENSV_INSF_IJSI_NSH_IiLi2EEESK_EEELb0EEEEEENSF_IJS14_S15_S16_S17_S18_S19_S1A_S1B_S1C_NS5_IJLi11ELi13EEEES1J_EEENSF_IJS1E_S1F_S19_S1G_S1H_S1C_S1I_S1J_S1K_NS5_IJLi14EEEENS5_IJLi15ELi16ELi17EEEEEEENS5_IJLi15ELi16ELi17ELi14EEEES1N_EENSE_INSF_IJS1R_NS10_ISW_EES22_EEENSF_IJS14_NS5_IJLi1ELi3EEEENS5_IJLi2EEEEEEENSF_IJS1U_S17_NS5_IJLi6ELi7ELi8EEEEEEENS5_IJLi6ELi7ELi8ELi5EEEES1W_EELi16ELi32ELi256ELi256ELi128ELi16ELi16ELi8ELi8ELi32ELb0EE3RunILb1ELNS_10TailNumberE1ENSE_INSF_IJNSG_INSF_IJiiEEENSF_IJiSN_EEELb0EEENSV_IS2N_Lb0EEENST_IiEEEEENSF_IJS14_S2E_NS5_IJLi1EEEEEEENSF_IJNS5_IJLi1ELi2EEEENS5_IJLi3ELi4EEEES17_EEENS5_IJLi3ELi5ELi4EEEElEES1O_NS_35ThreadGroupTensorSliceTransfer_v4r1INS_15ThisThreadBlockILi256EEENS_16tensor_operation12element_wise11PassThroughES35_LNS_25InMemoryDataOperationEnumE0ENS5_IJLi8ELi256ELi16EEEENS5_IJLi8ELi32ELi1EEEENS5_IJLi1ELi0ELi2EEEESC_SC_RKS2Z_KS1O_S39_NS5_IJLi0ELi1ELi2EEEELi2ELi2ELi16ELi16ELi1ELi1ELb0ELb1ELi2EiEENS_13DynamicBufferILNS_16AddressSpaceEnumE1EKSC_lLb1ELNS_22AmdBufferCoherenceEnumE0EiEENSF_IJNS3F_ILS3G_2ESC_S1N_Lb1ELS3I_0EiEES3K_EEENSF_IJiiiEEENSE_INSF_IJNSG_INSF_IJiiiiEEENSF_IJiiiSN_EEELb0EEEEEES1T_S1V_S1U_lEENS_32ThreadwiseTensorSliceTransfer_v2ISD_SD_RKS3R_KS1X_NS5_IJLi8ELi1ELi1ELi32EEEENS5_IJLi1ELi2ELi0ELi3EEEELi3ELi32ELi0ELb1ELb0ELb0EEENS3F_ILS3G_1EKSD_lLb1ELS3I_0EiEENSF_IJNS_12StaticBufferILS3G_4ESD_Li256ELb1EEES42_EEES3N_NS_25StaticBufferTupleOfVectorILS3G_4EfLi64ELi4ELb1ELb0EEEEEvRKT1_RKT2_RT3_RKT4_RT5_RKT6_RKT7_RT8_RKT9_RT10_RKT11_RT12_iENKUlT_E0_clINSH_IiLi7EEEEEDaS51_EUlS51_E_EEvS51_EUlS51_E_EEvS51_,@function
_ZNK2ck6detail7applierIiJLi0ELi1ELi2ELi3ELi4ELi5ELi6ELi7EEEclIZNKS_11static_fordINS_8SequenceIJLi1ELi8EEEENS5_IJLi0ELi1EEEEEclIZZNKS_52BlockwiseGemmXdlops_pipeline_bpreshuffle_bdequant_v3ILNS_26BlockGemmPipelineSchedulerE0ELi256ENS_9f8_fnuz_tENS_7pk_i4_tESC_fNS_16TensorDescriptorINS_5TupleIJNS_5EmbedINSF_IJNS_17integral_constantIiLi8EEENSH_IiLi256EEENSH_IiLi16EEEEEENSF_IJSK_NSH_IiLi128EEENSH_IiLi1EEEEEELb0EEENS_3XorINSF_IJSJ_SI_EEELb1EEENS_11PassThroughISK_EENS_7UnMergeINSF_IJSI_SN_EEELb0EEENST_ISJ_EESU_NST_ISI_EENS_21Merge_v3_division_modINSF_IJSJ_SN_EEEEESU_EEENSF_IJNS5_IJLi0EEEENS5_IJLi2ELi1EEEENS5_IJLi3EEEENS5_IJLi5EEEENS5_IJLi4EEEENS5_IJLi6EEEENS5_IJLi7EEEENS5_IJLi9ELi8EEEENS5_IJLi10EEEEEEENSF_IJNS5_IJLi1ELi2ELi3EEEENS5_IJLi4ELi5EEEES19_NS5_IJLi7ELi8EEEENS5_IJLi9EEEES1C_NS5_IJLi11EEEENS5_IJLi12EEEENS5_IJLi13EEEEEEENS5_IJLi11ELi12ELi13EEEENSH_IlLl32768EEEEENSE_INSF_IJNSV_INSF_IJSI_SN_SN_NSH_IiLi32EEEEEELb0EEEEEENSF_IJS14_EEENSF_IJNS5_IJLi1ELi2ELi3ELi4EEEEEEES1U_NSH_IlLl256EEEEENSE_INSF_IJSP_SS_SU_SX_SY_SU_SZ_S12_SU_NS10_INSF_IJSI_SK_EEEEENSV_INSF_IJSI_NSH_IiLi2EEESK_EEELb0EEEEEENSF_IJS14_S15_S16_S17_S18_S19_S1A_S1B_S1C_NS5_IJLi11ELi13EEEES1J_EEENSF_IJS1E_S1F_S19_S1G_S1H_S1C_S1I_S1J_S1K_NS5_IJLi14EEEENS5_IJLi15ELi16ELi17EEEEEEENS5_IJLi15ELi16ELi17ELi14EEEES1N_EENSE_INSF_IJS1R_NS10_ISW_EES22_EEENSF_IJS14_NS5_IJLi1ELi3EEEENS5_IJLi2EEEEEEENSF_IJS1U_S17_NS5_IJLi6ELi7ELi8EEEEEEENS5_IJLi6ELi7ELi8ELi5EEEES1W_EELi16ELi32ELi256ELi256ELi128ELi16ELi16ELi8ELi8ELi32ELb0EE3RunILb1ELNS_10TailNumberE1ENSE_INSF_IJNSG_INSF_IJiiEEENSF_IJiSN_EEELb0EEENSV_IS2N_Lb0EEENST_IiEEEEENSF_IJS14_S2E_NS5_IJLi1EEEEEEENSF_IJNS5_IJLi1ELi2EEEENS5_IJLi3ELi4EEEES17_EEENS5_IJLi3ELi5ELi4EEEElEES1O_NS_35ThreadGroupTensorSliceTransfer_v4r1INS_15ThisThreadBlockILi256EEENS_16tensor_operation12element_wise11PassThroughES35_LNS_25InMemoryDataOperationEnumE0ENS5_IJLi8ELi256ELi16EEEENS5_IJLi8ELi32ELi1EEEENS5_IJLi1ELi0ELi2EEEESC_SC_RKS2Z_KS1O_S39_NS5_IJLi0ELi1ELi2EEEELi2ELi2ELi16ELi16ELi1ELi1ELb0ELb1ELi2EiEENS_13DynamicBufferILNS_16AddressSpaceEnumE1EKSC_lLb1ELNS_22AmdBufferCoherenceEnumE0EiEENSF_IJNS3F_ILS3G_2ESC_S1N_Lb1ELS3I_0EiEES3K_EEENSF_IJiiiEEENSE_INSF_IJNSG_INSF_IJiiiiEEENSF_IJiiiSN_EEELb0EEEEEES1T_S1V_S1U_lEENS_32ThreadwiseTensorSliceTransfer_v2ISD_SD_RKS3R_KS1X_NS5_IJLi8ELi1ELi1ELi32EEEENS5_IJLi1ELi2ELi0ELi3EEEELi3ELi32ELi0ELb1ELb0ELb0EEENS3F_ILS3G_1EKSD_lLb1ELS3I_0EiEENSF_IJNS_12StaticBufferILS3G_4ESD_Li256ELb1EEES42_EEES3N_NS_25StaticBufferTupleOfVectorILS3G_4EfLi64ELi4ELb1ELb0EEEEEvRKT1_RKT2_RT3_RKT4_RT5_RKT6_RKT7_RT8_RKT9_RT10_RKT11_RT12_iENKUlT_E0_clINSH_IiLi7EEEEEDaS51_EUlS51_E_EEvS51_EUlS51_E_EEvS51_: ; @_ZNK2ck6detail7applierIiJLi0ELi1ELi2ELi3ELi4ELi5ELi6ELi7EEEclIZNKS_11static_fordINS_8SequenceIJLi1ELi8EEEENS5_IJLi0ELi1EEEEEclIZZNKS_52BlockwiseGemmXdlops_pipeline_bpreshuffle_bdequant_v3ILNS_26BlockGemmPipelineSchedulerE0ELi256ENS_9f8_fnuz_tENS_7pk_i4_tESC_fNS_16TensorDescriptorINS_5TupleIJNS_5EmbedINSF_IJNS_17integral_constantIiLi8EEENSH_IiLi256EEENSH_IiLi16EEEEEENSF_IJSK_NSH_IiLi128EEENSH_IiLi1EEEEEELb0EEENS_3XorINSF_IJSJ_SI_EEELb1EEENS_11PassThroughISK_EENS_7UnMergeINSF_IJSI_SN_EEELb0EEENST_ISJ_EESU_NST_ISI_EENS_21Merge_v3_division_modINSF_IJSJ_SN_EEEEESU_EEENSF_IJNS5_IJLi0EEEENS5_IJLi2ELi1EEEENS5_IJLi3EEEENS5_IJLi5EEEENS5_IJLi4EEEENS5_IJLi6EEEENS5_IJLi7EEEENS5_IJLi9ELi8EEEENS5_IJLi10EEEEEEENSF_IJNS5_IJLi1ELi2ELi3EEEENS5_IJLi4ELi5EEEES19_NS5_IJLi7ELi8EEEENS5_IJLi9EEEES1C_NS5_IJLi11EEEENS5_IJLi12EEEENS5_IJLi13EEEEEEENS5_IJLi11ELi12ELi13EEEENSH_IlLl32768EEEEENSE_INSF_IJNSV_INSF_IJSI_SN_SN_NSH_IiLi32EEEEEELb0EEEEEENSF_IJS14_EEENSF_IJNS5_IJLi1ELi2ELi3ELi4EEEEEEES1U_NSH_IlLl256EEEEENSE_INSF_IJSP_SS_SU_SX_SY_SU_SZ_S12_SU_NS10_INSF_IJSI_SK_EEEEENSV_INSF_IJSI_NSH_IiLi2EEESK_EEELb0EEEEEENSF_IJS14_S15_S16_S17_S18_S19_S1A_S1B_S1C_NS5_IJLi11ELi13EEEES1J_EEENSF_IJS1E_S1F_S19_S1G_S1H_S1C_S1I_S1J_S1K_NS5_IJLi14EEEENS5_IJLi15ELi16ELi17EEEEEEENS5_IJLi15ELi16ELi17ELi14EEEES1N_EENSE_INSF_IJS1R_NS10_ISW_EES22_EEENSF_IJS14_NS5_IJLi1ELi3EEEENS5_IJLi2EEEEEEENSF_IJS1U_S17_NS5_IJLi6ELi7ELi8EEEEEEENS5_IJLi6ELi7ELi8ELi5EEEES1W_EELi16ELi32ELi256ELi256ELi128ELi16ELi16ELi8ELi8ELi32ELb0EE3RunILb1ELNS_10TailNumberE1ENSE_INSF_IJNSG_INSF_IJiiEEENSF_IJiSN_EEELb0EEENSV_IS2N_Lb0EEENST_IiEEEEENSF_IJS14_S2E_NS5_IJLi1EEEEEEENSF_IJNS5_IJLi1ELi2EEEENS5_IJLi3ELi4EEEES17_EEENS5_IJLi3ELi5ELi4EEEElEES1O_NS_35ThreadGroupTensorSliceTransfer_v4r1INS_15ThisThreadBlockILi256EEENS_16tensor_operation12element_wise11PassThroughES35_LNS_25InMemoryDataOperationEnumE0ENS5_IJLi8ELi256ELi16EEEENS5_IJLi8ELi32ELi1EEEENS5_IJLi1ELi0ELi2EEEESC_SC_RKS2Z_KS1O_S39_NS5_IJLi0ELi1ELi2EEEELi2ELi2ELi16ELi16ELi1ELi1ELb0ELb1ELi2EiEENS_13DynamicBufferILNS_16AddressSpaceEnumE1EKSC_lLb1ELNS_22AmdBufferCoherenceEnumE0EiEENSF_IJNS3F_ILS3G_2ESC_S1N_Lb1ELS3I_0EiEES3K_EEENSF_IJiiiEEENSE_INSF_IJNSG_INSF_IJiiiiEEENSF_IJiiiSN_EEELb0EEEEEES1T_S1V_S1U_lEENS_32ThreadwiseTensorSliceTransfer_v2ISD_SD_RKS3R_KS1X_NS5_IJLi8ELi1ELi1ELi32EEEENS5_IJLi1ELi2ELi0ELi3EEEELi3ELi32ELi0ELb1ELb0ELb0EEENS3F_ILS3G_1EKSD_lLb1ELS3I_0EiEENSF_IJNS_12StaticBufferILS3G_4ESD_Li256ELb1EEES42_EEES3N_NS_25StaticBufferTupleOfVectorILS3G_4EfLi64ELi4ELb1ELb0EEEEEvRKT1_RKT2_RT3_RKT4_RT5_RKT6_RKT7_RT8_RKT9_RT10_RKT11_RT12_iENKUlT_E0_clINSH_IiLi7EEEEEDaS51_EUlS51_E_EEvS51_EUlS51_E_EEvS51_
; %bb.0:
	s_waitcnt vmcnt(0) expcnt(0) lgkmcnt(0)
	flat_load_dwordx4 v[20:23], v[0:1] offset:8
	flat_load_dwordx2 v[18:19], v[0:1] offset:24
	s_movk_i32 s4, 0x7f
                                        ; implicit-def: $sgpr10
	s_waitcnt vmcnt(0) lgkmcnt(0)
	flat_load_dwordx4 v[14:17], v[20:21] offset:32
	flat_load_dwordx4 v[6:9], v[20:21] offset:48
	flat_load_dwordx4 v[10:13], v[22:23]
	flat_load_dwordx4 v[2:5], v[22:23] offset:16
	s_waitcnt vmcnt(0) lgkmcnt(0)
	v_cmp_gt_i16_sdwa s[6:7], v14, s4 src0_sel:BYTE_0 src1_sel:DWORD
	s_mov_b64 s[4:5], 0
	s_and_saveexec_b64 s[8:9], s[6:7]
	s_xor_b64 s[6:7], exec, s[8:9]
	s_cbranch_execnz .LBB51_2049
; %bb.1:
	s_or_saveexec_b64 s[6:7], s[6:7]
	v_mov_b32_e32 v20, s10
	s_xor_b64 exec, exec, s[6:7]
	s_cbranch_execnz .LBB51_2052
.LBB51_2:
	s_or_b64 exec, exec, s[6:7]
	s_and_saveexec_b64 s[6:7], s[4:5]
	s_cbranch_execz .LBB51_4
.LBB51_3:
	v_and_b32_e32 v20, 7, v14
	v_ffbh_u32_e32 v22, v20
	v_min_u32_e32 v22, 32, v22
	v_lshrrev_b16_e32 v21, 3, v14
	v_subrev_u32_e32 v23, 28, v22
	v_and_b32_e32 v21, 15, v21
	v_lshlrev_b32_e32 v23, v23, v14
	v_sub_u32_e32 v22, 29, v22
	v_and_b32_e32 v23, 7, v23
	v_cmp_eq_u16_e32 vcc, 0, v21
	v_cndmask_b32_e32 v20, v20, v23, vcc
	v_cndmask_b32_e32 v21, v21, v22, vcc
	v_lshlrev_b32_e32 v22, 24, v14
	v_mov_b32_e32 v23, 0x3b800000
	v_lshlrev_b32_e32 v20, 20, v20
	v_and_b32_e32 v22, 0x80000000, v22
	v_lshl_add_u32 v21, v21, 23, v23
	v_or3_b32 v20, v22, v21, v20
.LBB51_4:
	s_or_b64 exec, exec, s[6:7]
	s_movk_i32 s4, 0x7f
	v_cmp_gt_i16_sdwa s[6:7], v10, s4 src0_sel:BYTE_0 src1_sel:DWORD
	s_mov_b64 s[4:5], 0
                                        ; implicit-def: $sgpr10
	s_and_saveexec_b64 s[8:9], s[6:7]
	s_xor_b64 s[6:7], exec, s[8:9]
	s_cbranch_execnz .LBB51_2053
; %bb.5:
	s_or_saveexec_b64 s[6:7], s[6:7]
	v_mov_b32_e32 v21, s10
	s_xor_b64 exec, exec, s[6:7]
	s_cbranch_execnz .LBB51_2056
.LBB51_6:
	s_or_b64 exec, exec, s[6:7]
	s_and_saveexec_b64 s[6:7], s[4:5]
	s_cbranch_execz .LBB51_8
.LBB51_7:
	v_and_b32_e32 v21, 7, v10
	v_ffbh_u32_e32 v23, v21
	v_min_u32_e32 v23, 32, v23
	v_lshrrev_b16_e32 v22, 3, v10
	v_subrev_u32_e32 v24, 28, v23
	v_and_b32_e32 v22, 15, v22
	v_lshlrev_b32_e32 v24, v24, v10
	v_sub_u32_e32 v23, 29, v23
	v_and_b32_e32 v24, 7, v24
	v_cmp_eq_u16_e32 vcc, 0, v22
	v_cndmask_b32_e32 v21, v21, v24, vcc
	v_cndmask_b32_e32 v22, v22, v23, vcc
	v_lshlrev_b32_e32 v23, 24, v10
	v_mov_b32_e32 v24, 0x3b800000
	v_lshlrev_b32_e32 v21, 20, v21
	v_and_b32_e32 v23, 0x80000000, v23
	v_lshl_add_u32 v22, v22, 23, v24
	v_or3_b32 v21, v23, v22, v21
.LBB51_8:
	s_or_b64 exec, exec, s[6:7]
	flat_load_dwordx4 a[0:3], v[18:19] offset:896
	s_movk_i32 s4, 0x7f
                                        ; implicit-def: $sgpr10
	s_waitcnt vmcnt(0) lgkmcnt(0)
	v_mfma_f32_16x16x4f32 a[0:3], v20, v21, a[0:3]
	v_lshrrev_b32_e32 v21, 8, v14
	v_cmp_gt_i16_sdwa s[6:7], v21, s4 src0_sel:BYTE_0 src1_sel:DWORD
	s_mov_b64 s[4:5], 0
	s_and_saveexec_b64 s[8:9], s[6:7]
	s_xor_b64 s[6:7], exec, s[8:9]
	s_cbranch_execnz .LBB51_2057
; %bb.9:
	s_or_saveexec_b64 s[6:7], s[6:7]
	v_mov_b32_e32 v20, s10
	s_xor_b64 exec, exec, s[6:7]
	s_cbranch_execnz .LBB51_2060
.LBB51_10:
	s_or_b64 exec, exec, s[6:7]
	s_and_saveexec_b64 s[6:7], s[4:5]
	s_cbranch_execz .LBB51_12
.LBB51_11:
	v_bfe_u32 v20, v14, 8, 3
	v_ffbh_u32_e32 v23, v20
	v_min_u32_e32 v23, 32, v23
	v_lshrrev_b16_e32 v22, 3, v21
	v_subrev_u32_e32 v24, 28, v23
	v_and_b32_e32 v22, 15, v22
	v_lshlrev_b32_e32 v21, v24, v21
	v_sub_u32_e32 v23, 29, v23
	v_and_b32_e32 v21, 7, v21
	v_cmp_eq_u16_e32 vcc, 0, v22
	v_cndmask_b32_e32 v20, v20, v21, vcc
	v_cndmask_b32_e32 v21, v22, v23, vcc
	v_lshlrev_b32_e32 v22, 16, v14
	v_mov_b32_e32 v23, 0x3b800000
	v_lshlrev_b32_e32 v20, 20, v20
	v_and_b32_e32 v22, 0x80000000, v22
	v_lshl_add_u32 v21, v21, 23, v23
	v_or3_b32 v20, v22, v21, v20
.LBB51_12:
	s_or_b64 exec, exec, s[6:7]
	v_lshrrev_b32_e32 v21, 8, v10
	s_movk_i32 s4, 0x7f
	v_cmp_gt_i16_sdwa s[6:7], v21, s4 src0_sel:BYTE_0 src1_sel:DWORD
	s_mov_b64 s[4:5], 0
                                        ; implicit-def: $sgpr10
	s_and_saveexec_b64 s[8:9], s[6:7]
	s_xor_b64 s[6:7], exec, s[8:9]
	s_cbranch_execnz .LBB51_2061
; %bb.13:
	s_or_saveexec_b64 s[6:7], s[6:7]
	v_mov_b32_e32 v22, s10
	s_xor_b64 exec, exec, s[6:7]
	s_cbranch_execnz .LBB51_2064
.LBB51_14:
	s_or_b64 exec, exec, s[6:7]
	s_and_saveexec_b64 s[6:7], s[4:5]
	s_cbranch_execz .LBB51_16
.LBB51_15:
	v_bfe_u32 v22, v10, 8, 3
	v_ffbh_u32_e32 v24, v22
	v_min_u32_e32 v24, 32, v24
	v_lshrrev_b16_e32 v23, 3, v21
	v_subrev_u32_e32 v25, 28, v24
	v_and_b32_e32 v23, 15, v23
	v_lshlrev_b32_e32 v21, v25, v21
	v_sub_u32_e32 v24, 29, v24
	v_and_b32_e32 v21, 7, v21
	v_cmp_eq_u16_e32 vcc, 0, v23
	v_cndmask_b32_e32 v21, v22, v21, vcc
	v_cndmask_b32_e32 v22, v23, v24, vcc
	v_lshlrev_b32_e32 v23, 16, v10
	v_mov_b32_e32 v24, 0x3b800000
	v_lshlrev_b32_e32 v21, 20, v21
	v_and_b32_e32 v23, 0x80000000, v23
	v_lshl_add_u32 v22, v22, 23, v24
	v_or3_b32 v22, v23, v22, v21
.LBB51_16:
	s_or_b64 exec, exec, s[6:7]
	s_nop 0
	v_mfma_f32_16x16x4f32 a[0:3], v20, v22, a[0:3]
	s_movk_i32 s4, 0xff
	v_and_b32_sdwa v21, v14, s4 dst_sel:DWORD dst_unused:UNUSED_PAD src0_sel:WORD_1 src1_sel:DWORD
	s_movk_i32 s4, 0x7f
	v_cmp_lt_i16_e32 vcc, s4, v21
	s_mov_b64 s[4:5], 0
                                        ; implicit-def: $sgpr10
	s_and_saveexec_b64 s[6:7], vcc
	s_xor_b64 s[6:7], exec, s[6:7]
	s_cbranch_execnz .LBB51_2065
; %bb.17:
	s_or_saveexec_b64 s[6:7], s[6:7]
	v_mov_b32_e32 v20, s10
	s_xor_b64 exec, exec, s[6:7]
	s_cbranch_execnz .LBB51_2068
.LBB51_18:
	s_or_b64 exec, exec, s[6:7]
	s_and_saveexec_b64 s[6:7], s[4:5]
	s_cbranch_execz .LBB51_20
.LBB51_19:
	v_bfe_u32 v20, v14, 16, 3
	v_ffbh_u32_e32 v23, v20
	v_min_u32_e32 v23, 32, v23
	v_lshrrev_b32_e32 v21, 19, v14
	v_subrev_u32_e32 v24, 28, v23
	v_and_b32_e32 v21, 15, v21
	v_lshlrev_b32_sdwa v24, v24, v14 dst_sel:DWORD dst_unused:UNUSED_PAD src0_sel:DWORD src1_sel:WORD_1
	v_bfe_u32 v22, v14, 19, 4
	v_sub_u32_e32 v23, 29, v23
	v_and_b32_e32 v24, 7, v24
	v_cmp_eq_u16_e32 vcc, 0, v21
	v_cndmask_b32_e32 v20, v20, v24, vcc
	v_cndmask_b32_e32 v21, v22, v23, vcc
	v_lshlrev_b32_e32 v22, 8, v14
	v_mov_b32_e32 v23, 0x3b800000
	v_lshlrev_b32_e32 v20, 20, v20
	v_and_b32_e32 v22, 0x80000000, v22
	v_lshl_add_u32 v21, v21, 23, v23
	v_or3_b32 v20, v22, v21, v20
.LBB51_20:
	s_or_b64 exec, exec, s[6:7]
	s_movk_i32 s4, 0xff
	v_and_b32_sdwa v21, v10, s4 dst_sel:DWORD dst_unused:UNUSED_PAD src0_sel:WORD_1 src1_sel:DWORD
	s_movk_i32 s4, 0x7f
	v_cmp_lt_i16_e32 vcc, s4, v21
	s_mov_b64 s[4:5], 0
                                        ; implicit-def: $sgpr10
	s_and_saveexec_b64 s[6:7], vcc
	s_xor_b64 s[6:7], exec, s[6:7]
	s_cbranch_execnz .LBB51_2069
; %bb.21:
	s_or_saveexec_b64 s[6:7], s[6:7]
	v_mov_b32_e32 v22, s10
	s_xor_b64 exec, exec, s[6:7]
	s_cbranch_execnz .LBB51_2072
.LBB51_22:
	s_or_b64 exec, exec, s[6:7]
	s_and_saveexec_b64 s[6:7], s[4:5]
	s_cbranch_execz .LBB51_24
.LBB51_23:
	v_bfe_u32 v21, v10, 16, 3
	v_ffbh_u32_e32 v24, v21
	v_min_u32_e32 v24, 32, v24
	v_lshrrev_b32_e32 v22, 19, v10
	v_subrev_u32_e32 v25, 28, v24
	v_and_b32_e32 v22, 15, v22
	v_lshlrev_b32_sdwa v25, v25, v10 dst_sel:DWORD dst_unused:UNUSED_PAD src0_sel:DWORD src1_sel:WORD_1
	v_bfe_u32 v23, v10, 19, 4
	v_sub_u32_e32 v24, 29, v24
	v_and_b32_e32 v25, 7, v25
	v_cmp_eq_u16_e32 vcc, 0, v22
	v_cndmask_b32_e32 v21, v21, v25, vcc
	v_cndmask_b32_e32 v22, v23, v24, vcc
	v_lshlrev_b32_e32 v23, 8, v10
	v_mov_b32_e32 v24, 0x3b800000
	v_lshlrev_b32_e32 v21, 20, v21
	v_and_b32_e32 v23, 0x80000000, v23
	v_lshl_add_u32 v22, v22, 23, v24
	v_or3_b32 v22, v23, v22, v21
.LBB51_24:
	s_or_b64 exec, exec, s[6:7]
	s_nop 0
	v_mfma_f32_16x16x4f32 a[0:3], v20, v22, a[0:3]
	s_movk_i32 s4, 0x7f
	v_cmp_gt_i16_sdwa s[6:7], v14, s4 src0_sel:BYTE_3 src1_sel:DWORD
	s_mov_b64 s[4:5], 0
                                        ; implicit-def: $sgpr10
	s_and_saveexec_b64 s[8:9], s[6:7]
	s_xor_b64 s[6:7], exec, s[8:9]
	s_cbranch_execnz .LBB51_2073
; %bb.25:
	s_or_saveexec_b64 s[6:7], s[6:7]
	v_mov_b32_e32 v20, s10
	s_xor_b64 exec, exec, s[6:7]
	s_cbranch_execnz .LBB51_2076
.LBB51_26:
	s_or_b64 exec, exec, s[6:7]
	s_and_saveexec_b64 s[6:7], s[4:5]
	s_cbranch_execz .LBB51_28
.LBB51_27:
	v_bfe_u32 v20, v14, 24, 3
	v_ffbh_u32_e32 v24, v20
	v_min_u32_e32 v24, 32, v24
	v_lshrrev_b32_e32 v22, 27, v14
	v_subrev_u32_e32 v25, 28, v24
	v_and_b32_e32 v21, 0x80000000, v14
	v_and_b32_e32 v22, 15, v22
	v_bfe_u32 v23, v14, 27, 4
	v_lshlrev_b32_sdwa v14, v25, v14 dst_sel:DWORD dst_unused:UNUSED_PAD src0_sel:DWORD src1_sel:BYTE_3
	v_sub_u32_e32 v24, 29, v24
	v_and_b32_e32 v14, 7, v14
	v_cmp_eq_u16_e32 vcc, 0, v22
	v_cndmask_b32_e32 v14, v20, v14, vcc
	v_cndmask_b32_e32 v20, v23, v24, vcc
	v_mov_b32_e32 v22, 0x3b800000
	v_lshlrev_b32_e32 v14, 20, v14
	v_lshl_add_u32 v20, v20, 23, v22
	v_or3_b32 v20, v21, v20, v14
.LBB51_28:
	s_or_b64 exec, exec, s[6:7]
	s_movk_i32 s4, 0x7f
	v_cmp_gt_i16_sdwa s[6:7], v10, s4 src0_sel:BYTE_3 src1_sel:DWORD
	s_mov_b64 s[4:5], 0
                                        ; implicit-def: $sgpr10
	s_and_saveexec_b64 s[8:9], s[6:7]
	s_xor_b64 s[6:7], exec, s[8:9]
	s_cbranch_execnz .LBB51_2077
; %bb.29:
	s_or_saveexec_b64 s[6:7], s[6:7]
	v_mov_b32_e32 v14, s10
	s_xor_b64 exec, exec, s[6:7]
	s_cbranch_execnz .LBB51_2080
.LBB51_30:
	s_or_b64 exec, exec, s[6:7]
	s_and_saveexec_b64 s[6:7], s[4:5]
	s_cbranch_execz .LBB51_32
.LBB51_31:
	v_bfe_u32 v14, v10, 24, 3
	v_ffbh_u32_e32 v24, v14
	v_min_u32_e32 v24, 32, v24
	v_lshrrev_b32_e32 v22, 27, v10
	v_subrev_u32_e32 v25, 28, v24
	v_and_b32_e32 v21, 0x80000000, v10
	v_and_b32_e32 v22, 15, v22
	v_bfe_u32 v23, v10, 27, 4
	v_lshlrev_b32_sdwa v10, v25, v10 dst_sel:DWORD dst_unused:UNUSED_PAD src0_sel:DWORD src1_sel:BYTE_3
	v_sub_u32_e32 v24, 29, v24
	v_and_b32_e32 v10, 7, v10
	v_cmp_eq_u16_e32 vcc, 0, v22
	v_cndmask_b32_e32 v10, v14, v10, vcc
	v_cndmask_b32_e32 v14, v23, v24, vcc
	v_mov_b32_e32 v22, 0x3b800000
	v_lshlrev_b32_e32 v10, 20, v10
	v_lshl_add_u32 v14, v14, 23, v22
	v_or3_b32 v14, v21, v14, v10
.LBB51_32:
	s_or_b64 exec, exec, s[6:7]
	s_nop 0
	v_mfma_f32_16x16x4f32 a[0:3], v20, v14, a[0:3]
	s_movk_i32 s4, 0x7f
	v_cmp_gt_i16_sdwa s[6:7], v15, s4 src0_sel:BYTE_0 src1_sel:DWORD
	s_mov_b64 s[4:5], 0
                                        ; implicit-def: $sgpr10
	s_and_saveexec_b64 s[8:9], s[6:7]
	s_xor_b64 s[6:7], exec, s[8:9]
	s_cbranch_execnz .LBB51_2081
; %bb.33:
	s_or_saveexec_b64 s[6:7], s[6:7]
	v_mov_b32_e32 v10, s10
	s_xor_b64 exec, exec, s[6:7]
	s_cbranch_execnz .LBB51_2084
.LBB51_34:
	s_or_b64 exec, exec, s[6:7]
	s_and_saveexec_b64 s[6:7], s[4:5]
	s_cbranch_execz .LBB51_36
.LBB51_35:
	v_and_b32_e32 v10, 7, v15
	v_ffbh_u32_e32 v20, v10
	v_min_u32_e32 v20, 32, v20
	v_lshrrev_b16_e32 v14, 3, v15
	v_subrev_u32_e32 v21, 28, v20
	v_and_b32_e32 v14, 15, v14
	v_lshlrev_b32_e32 v21, v21, v15
	v_sub_u32_e32 v20, 29, v20
	v_and_b32_e32 v21, 7, v21
	v_cmp_eq_u16_e32 vcc, 0, v14
	v_cndmask_b32_e32 v10, v10, v21, vcc
	v_cndmask_b32_e32 v14, v14, v20, vcc
	v_lshlrev_b32_e32 v20, 24, v15
	v_mov_b32_e32 v21, 0x3b800000
	v_lshlrev_b32_e32 v10, 20, v10
	v_and_b32_e32 v20, 0x80000000, v20
	v_lshl_add_u32 v14, v14, 23, v21
	v_or3_b32 v10, v20, v14, v10
.LBB51_36:
	s_or_b64 exec, exec, s[6:7]
	s_movk_i32 s4, 0x7f
	v_cmp_gt_i16_sdwa s[6:7], v11, s4 src0_sel:BYTE_0 src1_sel:DWORD
	s_mov_b64 s[4:5], 0
                                        ; implicit-def: $sgpr10
	s_and_saveexec_b64 s[8:9], s[6:7]
	s_xor_b64 s[6:7], exec, s[8:9]
	s_cbranch_execnz .LBB51_2085
; %bb.37:
	s_or_saveexec_b64 s[6:7], s[6:7]
	v_mov_b32_e32 v14, s10
	s_xor_b64 exec, exec, s[6:7]
	s_cbranch_execnz .LBB51_2088
.LBB51_38:
	s_or_b64 exec, exec, s[6:7]
	s_and_saveexec_b64 s[6:7], s[4:5]
	s_cbranch_execz .LBB51_40
.LBB51_39:
	v_and_b32_e32 v14, 7, v11
	v_ffbh_u32_e32 v21, v14
	v_min_u32_e32 v21, 32, v21
	v_lshrrev_b16_e32 v20, 3, v11
	v_subrev_u32_e32 v22, 28, v21
	v_and_b32_e32 v20, 15, v20
	v_lshlrev_b32_e32 v22, v22, v11
	v_sub_u32_e32 v21, 29, v21
	v_and_b32_e32 v22, 7, v22
	v_cmp_eq_u16_e32 vcc, 0, v20
	v_cndmask_b32_e32 v14, v14, v22, vcc
	v_cndmask_b32_e32 v20, v20, v21, vcc
	v_lshlrev_b32_e32 v21, 24, v11
	v_mov_b32_e32 v22, 0x3b800000
	v_lshlrev_b32_e32 v14, 20, v14
	v_and_b32_e32 v21, 0x80000000, v21
	v_lshl_add_u32 v20, v20, 23, v22
	v_or3_b32 v14, v21, v20, v14
.LBB51_40:
	s_or_b64 exec, exec, s[6:7]
	s_nop 0
	v_mfma_f32_16x16x4f32 a[0:3], v10, v14, a[0:3]
	v_lshrrev_b32_e32 v14, 8, v15
	s_movk_i32 s4, 0x7f
	v_cmp_gt_i16_sdwa s[6:7], v14, s4 src0_sel:BYTE_0 src1_sel:DWORD
	s_mov_b64 s[4:5], 0
                                        ; implicit-def: $sgpr10
	s_and_saveexec_b64 s[8:9], s[6:7]
	s_xor_b64 s[6:7], exec, s[8:9]
	s_cbranch_execnz .LBB51_2089
; %bb.41:
	s_or_saveexec_b64 s[6:7], s[6:7]
	v_mov_b32_e32 v10, s10
	s_xor_b64 exec, exec, s[6:7]
	s_cbranch_execnz .LBB51_2092
.LBB51_42:
	s_or_b64 exec, exec, s[6:7]
	s_and_saveexec_b64 s[6:7], s[4:5]
	s_cbranch_execz .LBB51_44
.LBB51_43:
	v_bfe_u32 v10, v15, 8, 3
	v_ffbh_u32_e32 v21, v10
	v_min_u32_e32 v21, 32, v21
	v_lshrrev_b16_e32 v20, 3, v14
	v_subrev_u32_e32 v22, 28, v21
	v_and_b32_e32 v20, 15, v20
	v_lshlrev_b32_e32 v14, v22, v14
	v_sub_u32_e32 v21, 29, v21
	v_and_b32_e32 v14, 7, v14
	v_cmp_eq_u16_e32 vcc, 0, v20
	v_cndmask_b32_e32 v10, v10, v14, vcc
	v_cndmask_b32_e32 v14, v20, v21, vcc
	v_lshlrev_b32_e32 v20, 16, v15
	v_mov_b32_e32 v21, 0x3b800000
	v_lshlrev_b32_e32 v10, 20, v10
	v_and_b32_e32 v20, 0x80000000, v20
	v_lshl_add_u32 v14, v14, 23, v21
	v_or3_b32 v10, v20, v14, v10
.LBB51_44:
	s_or_b64 exec, exec, s[6:7]
	v_lshrrev_b32_e32 v14, 8, v11
	s_movk_i32 s4, 0x7f
	v_cmp_gt_i16_sdwa s[6:7], v14, s4 src0_sel:BYTE_0 src1_sel:DWORD
	s_mov_b64 s[4:5], 0
                                        ; implicit-def: $sgpr10
	s_and_saveexec_b64 s[8:9], s[6:7]
	s_xor_b64 s[6:7], exec, s[8:9]
	s_cbranch_execnz .LBB51_2093
; %bb.45:
	s_or_saveexec_b64 s[6:7], s[6:7]
	v_mov_b32_e32 v20, s10
	s_xor_b64 exec, exec, s[6:7]
	s_cbranch_execnz .LBB51_2096
.LBB51_46:
	s_or_b64 exec, exec, s[6:7]
	s_and_saveexec_b64 s[6:7], s[4:5]
	s_cbranch_execz .LBB51_48
.LBB51_47:
	v_bfe_u32 v20, v11, 8, 3
	v_ffbh_u32_e32 v22, v20
	v_min_u32_e32 v22, 32, v22
	v_lshrrev_b16_e32 v21, 3, v14
	v_subrev_u32_e32 v23, 28, v22
	v_and_b32_e32 v21, 15, v21
	v_lshlrev_b32_e32 v14, v23, v14
	v_sub_u32_e32 v22, 29, v22
	v_and_b32_e32 v14, 7, v14
	v_cmp_eq_u16_e32 vcc, 0, v21
	v_cndmask_b32_e32 v14, v20, v14, vcc
	v_cndmask_b32_e32 v20, v21, v22, vcc
	v_lshlrev_b32_e32 v21, 16, v11
	v_mov_b32_e32 v22, 0x3b800000
	v_lshlrev_b32_e32 v14, 20, v14
	v_and_b32_e32 v21, 0x80000000, v21
	v_lshl_add_u32 v20, v20, 23, v22
	v_or3_b32 v20, v21, v20, v14
.LBB51_48:
	s_or_b64 exec, exec, s[6:7]
	s_nop 0
	v_mfma_f32_16x16x4f32 a[0:3], v10, v20, a[0:3]
	s_movk_i32 s4, 0xff
	v_and_b32_sdwa v14, v15, s4 dst_sel:DWORD dst_unused:UNUSED_PAD src0_sel:WORD_1 src1_sel:DWORD
	s_movk_i32 s4, 0x7f
	v_cmp_lt_i16_e32 vcc, s4, v14
	s_mov_b64 s[4:5], 0
                                        ; implicit-def: $sgpr10
	s_and_saveexec_b64 s[6:7], vcc
	s_xor_b64 s[6:7], exec, s[6:7]
	s_cbranch_execnz .LBB51_2097
; %bb.49:
	s_or_saveexec_b64 s[6:7], s[6:7]
	v_mov_b32_e32 v10, s10
	s_xor_b64 exec, exec, s[6:7]
	s_cbranch_execnz .LBB51_2100
.LBB51_50:
	s_or_b64 exec, exec, s[6:7]
	s_and_saveexec_b64 s[6:7], s[4:5]
	s_cbranch_execz .LBB51_52
.LBB51_51:
	v_bfe_u32 v10, v15, 16, 3
	v_ffbh_u32_e32 v21, v10
	v_min_u32_e32 v21, 32, v21
	v_lshrrev_b32_e32 v14, 19, v15
	v_subrev_u32_e32 v22, 28, v21
	v_and_b32_e32 v14, 15, v14
	v_lshlrev_b32_sdwa v22, v22, v15 dst_sel:DWORD dst_unused:UNUSED_PAD src0_sel:DWORD src1_sel:WORD_1
	v_bfe_u32 v20, v15, 19, 4
	v_sub_u32_e32 v21, 29, v21
	v_and_b32_e32 v22, 7, v22
	v_cmp_eq_u16_e32 vcc, 0, v14
	v_cndmask_b32_e32 v10, v10, v22, vcc
	v_cndmask_b32_e32 v14, v20, v21, vcc
	v_lshlrev_b32_e32 v20, 8, v15
	v_mov_b32_e32 v21, 0x3b800000
	v_lshlrev_b32_e32 v10, 20, v10
	v_and_b32_e32 v20, 0x80000000, v20
	v_lshl_add_u32 v14, v14, 23, v21
	v_or3_b32 v10, v20, v14, v10
.LBB51_52:
	s_or_b64 exec, exec, s[6:7]
	s_movk_i32 s4, 0xff
	v_and_b32_sdwa v14, v11, s4 dst_sel:DWORD dst_unused:UNUSED_PAD src0_sel:WORD_1 src1_sel:DWORD
	s_movk_i32 s4, 0x7f
	v_cmp_lt_i16_e32 vcc, s4, v14
	s_mov_b64 s[4:5], 0
                                        ; implicit-def: $sgpr10
	s_and_saveexec_b64 s[6:7], vcc
	s_xor_b64 s[6:7], exec, s[6:7]
	s_cbranch_execnz .LBB51_2101
; %bb.53:
	s_or_saveexec_b64 s[6:7], s[6:7]
	v_mov_b32_e32 v20, s10
	s_xor_b64 exec, exec, s[6:7]
	s_cbranch_execnz .LBB51_2104
.LBB51_54:
	s_or_b64 exec, exec, s[6:7]
	s_and_saveexec_b64 s[6:7], s[4:5]
	s_cbranch_execz .LBB51_56
.LBB51_55:
	v_bfe_u32 v14, v11, 16, 3
	v_ffbh_u32_e32 v22, v14
	v_min_u32_e32 v22, 32, v22
	v_lshrrev_b32_e32 v20, 19, v11
	v_subrev_u32_e32 v23, 28, v22
	v_and_b32_e32 v20, 15, v20
	v_lshlrev_b32_sdwa v23, v23, v11 dst_sel:DWORD dst_unused:UNUSED_PAD src0_sel:DWORD src1_sel:WORD_1
	v_bfe_u32 v21, v11, 19, 4
	v_sub_u32_e32 v22, 29, v22
	v_and_b32_e32 v23, 7, v23
	v_cmp_eq_u16_e32 vcc, 0, v20
	v_cndmask_b32_e32 v14, v14, v23, vcc
	v_cndmask_b32_e32 v20, v21, v22, vcc
	v_lshlrev_b32_e32 v21, 8, v11
	v_mov_b32_e32 v22, 0x3b800000
	v_lshlrev_b32_e32 v14, 20, v14
	v_and_b32_e32 v21, 0x80000000, v21
	v_lshl_add_u32 v20, v20, 23, v22
	v_or3_b32 v20, v21, v20, v14
.LBB51_56:
	s_or_b64 exec, exec, s[6:7]
	s_nop 0
	v_mfma_f32_16x16x4f32 a[0:3], v10, v20, a[0:3]
	s_movk_i32 s4, 0x7f
	v_cmp_gt_i16_sdwa s[6:7], v15, s4 src0_sel:BYTE_3 src1_sel:DWORD
	s_mov_b64 s[4:5], 0
                                        ; implicit-def: $sgpr10
	s_and_saveexec_b64 s[8:9], s[6:7]
	s_xor_b64 s[6:7], exec, s[8:9]
	s_cbranch_execnz .LBB51_2105
; %bb.57:
	s_or_saveexec_b64 s[6:7], s[6:7]
	v_mov_b32_e32 v10, s10
	s_xor_b64 exec, exec, s[6:7]
	s_cbranch_execnz .LBB51_2108
.LBB51_58:
	s_or_b64 exec, exec, s[6:7]
	s_and_saveexec_b64 s[6:7], s[4:5]
	s_cbranch_execz .LBB51_60
.LBB51_59:
	v_bfe_u32 v10, v15, 24, 3
	v_ffbh_u32_e32 v22, v10
	v_min_u32_e32 v22, 32, v22
	v_lshrrev_b32_e32 v20, 27, v15
	v_subrev_u32_e32 v23, 28, v22
	v_and_b32_e32 v14, 0x80000000, v15
	v_and_b32_e32 v20, 15, v20
	v_bfe_u32 v21, v15, 27, 4
	v_lshlrev_b32_sdwa v15, v23, v15 dst_sel:DWORD dst_unused:UNUSED_PAD src0_sel:DWORD src1_sel:BYTE_3
	v_sub_u32_e32 v22, 29, v22
	v_and_b32_e32 v15, 7, v15
	v_cmp_eq_u16_e32 vcc, 0, v20
	v_cndmask_b32_e32 v10, v10, v15, vcc
	v_cndmask_b32_e32 v15, v21, v22, vcc
	v_mov_b32_e32 v20, 0x3b800000
	v_lshlrev_b32_e32 v10, 20, v10
	v_lshl_add_u32 v15, v15, 23, v20
	v_or3_b32 v10, v14, v15, v10
.LBB51_60:
	s_or_b64 exec, exec, s[6:7]
	s_movk_i32 s4, 0x7f
	v_cmp_gt_i16_sdwa s[6:7], v11, s4 src0_sel:BYTE_3 src1_sel:DWORD
	s_mov_b64 s[4:5], 0
                                        ; implicit-def: $sgpr10
	s_and_saveexec_b64 s[8:9], s[6:7]
	s_xor_b64 s[6:7], exec, s[8:9]
	s_cbranch_execnz .LBB51_2109
; %bb.61:
	s_or_saveexec_b64 s[6:7], s[6:7]
	v_mov_b32_e32 v14, s10
	s_xor_b64 exec, exec, s[6:7]
	s_cbranch_execnz .LBB51_2112
.LBB51_62:
	s_or_b64 exec, exec, s[6:7]
	s_and_saveexec_b64 s[6:7], s[4:5]
	s_cbranch_execz .LBB51_64
.LBB51_63:
	v_bfe_u32 v14, v11, 24, 3
	v_ffbh_u32_e32 v22, v14
	v_min_u32_e32 v22, 32, v22
	v_lshrrev_b32_e32 v20, 27, v11
	v_subrev_u32_e32 v23, 28, v22
	v_and_b32_e32 v15, 0x80000000, v11
	v_and_b32_e32 v20, 15, v20
	v_bfe_u32 v21, v11, 27, 4
	v_lshlrev_b32_sdwa v11, v23, v11 dst_sel:DWORD dst_unused:UNUSED_PAD src0_sel:DWORD src1_sel:BYTE_3
	v_sub_u32_e32 v22, 29, v22
	v_and_b32_e32 v11, 7, v11
	v_cmp_eq_u16_e32 vcc, 0, v20
	v_cndmask_b32_e32 v11, v14, v11, vcc
	v_cndmask_b32_e32 v14, v21, v22, vcc
	v_mov_b32_e32 v20, 0x3b800000
	v_lshlrev_b32_e32 v11, 20, v11
	v_lshl_add_u32 v14, v14, 23, v20
	v_or3_b32 v14, v15, v14, v11
.LBB51_64:
	s_or_b64 exec, exec, s[6:7]
	s_nop 0
	v_mfma_f32_16x16x4f32 a[0:3], v10, v14, a[0:3]
	s_movk_i32 s4, 0x7f
	v_cmp_gt_i16_sdwa s[6:7], v16, s4 src0_sel:BYTE_0 src1_sel:DWORD
	s_mov_b64 s[4:5], 0
                                        ; implicit-def: $sgpr10
	s_and_saveexec_b64 s[8:9], s[6:7]
	s_xor_b64 s[6:7], exec, s[8:9]
	s_cbranch_execnz .LBB51_2113
; %bb.65:
	s_or_saveexec_b64 s[6:7], s[6:7]
	v_mov_b32_e32 v10, s10
	s_xor_b64 exec, exec, s[6:7]
	s_cbranch_execnz .LBB51_2116
.LBB51_66:
	s_or_b64 exec, exec, s[6:7]
	s_and_saveexec_b64 s[6:7], s[4:5]
	s_cbranch_execz .LBB51_68
.LBB51_67:
	v_and_b32_e32 v10, 7, v16
	v_ffbh_u32_e32 v14, v10
	v_min_u32_e32 v14, 32, v14
	v_lshrrev_b16_e32 v11, 3, v16
	v_subrev_u32_e32 v15, 28, v14
	v_and_b32_e32 v11, 15, v11
	v_lshlrev_b32_e32 v15, v15, v16
	v_sub_u32_e32 v14, 29, v14
	v_and_b32_e32 v15, 7, v15
	v_cmp_eq_u16_e32 vcc, 0, v11
	v_cndmask_b32_e32 v10, v10, v15, vcc
	v_cndmask_b32_e32 v11, v11, v14, vcc
	v_lshlrev_b32_e32 v14, 24, v16
	v_mov_b32_e32 v15, 0x3b800000
	v_lshlrev_b32_e32 v10, 20, v10
	v_and_b32_e32 v14, 0x80000000, v14
	v_lshl_add_u32 v11, v11, 23, v15
	v_or3_b32 v10, v14, v11, v10
.LBB51_68:
	s_or_b64 exec, exec, s[6:7]
	s_movk_i32 s4, 0x7f
	v_cmp_gt_i16_sdwa s[6:7], v12, s4 src0_sel:BYTE_0 src1_sel:DWORD
	s_mov_b64 s[4:5], 0
                                        ; implicit-def: $sgpr10
	s_and_saveexec_b64 s[8:9], s[6:7]
	s_xor_b64 s[6:7], exec, s[8:9]
	s_cbranch_execnz .LBB51_2117
; %bb.69:
	s_or_saveexec_b64 s[6:7], s[6:7]
	v_mov_b32_e32 v11, s10
	s_xor_b64 exec, exec, s[6:7]
	s_cbranch_execnz .LBB51_2120
.LBB51_70:
	s_or_b64 exec, exec, s[6:7]
	s_and_saveexec_b64 s[6:7], s[4:5]
	s_cbranch_execz .LBB51_72
.LBB51_71:
	v_and_b32_e32 v11, 7, v12
	v_ffbh_u32_e32 v15, v11
	v_min_u32_e32 v15, 32, v15
	v_lshrrev_b16_e32 v14, 3, v12
	v_subrev_u32_e32 v20, 28, v15
	v_and_b32_e32 v14, 15, v14
	v_lshlrev_b32_e32 v20, v20, v12
	v_sub_u32_e32 v15, 29, v15
	v_and_b32_e32 v20, 7, v20
	v_cmp_eq_u16_e32 vcc, 0, v14
	v_cndmask_b32_e32 v11, v11, v20, vcc
	v_cndmask_b32_e32 v14, v14, v15, vcc
	v_lshlrev_b32_e32 v15, 24, v12
	v_mov_b32_e32 v20, 0x3b800000
	v_lshlrev_b32_e32 v11, 20, v11
	v_and_b32_e32 v15, 0x80000000, v15
	v_lshl_add_u32 v14, v14, 23, v20
	v_or3_b32 v11, v15, v14, v11
.LBB51_72:
	s_or_b64 exec, exec, s[6:7]
	s_nop 0
	v_mfma_f32_16x16x4f32 a[0:3], v10, v11, a[0:3]
	v_lshrrev_b32_e32 v11, 8, v16
	s_movk_i32 s4, 0x7f
	v_cmp_gt_i16_sdwa s[6:7], v11, s4 src0_sel:BYTE_0 src1_sel:DWORD
	s_mov_b64 s[4:5], 0
                                        ; implicit-def: $sgpr10
	s_and_saveexec_b64 s[8:9], s[6:7]
	s_xor_b64 s[6:7], exec, s[8:9]
	s_cbranch_execnz .LBB51_2121
; %bb.73:
	s_or_saveexec_b64 s[6:7], s[6:7]
	v_mov_b32_e32 v10, s10
	s_xor_b64 exec, exec, s[6:7]
	s_cbranch_execnz .LBB51_2124
.LBB51_74:
	s_or_b64 exec, exec, s[6:7]
	s_and_saveexec_b64 s[6:7], s[4:5]
	s_cbranch_execz .LBB51_76
.LBB51_75:
	v_bfe_u32 v10, v16, 8, 3
	v_ffbh_u32_e32 v15, v10
	v_min_u32_e32 v15, 32, v15
	v_lshrrev_b16_e32 v14, 3, v11
	v_subrev_u32_e32 v20, 28, v15
	v_and_b32_e32 v14, 15, v14
	v_lshlrev_b32_e32 v11, v20, v11
	v_sub_u32_e32 v15, 29, v15
	v_and_b32_e32 v11, 7, v11
	v_cmp_eq_u16_e32 vcc, 0, v14
	v_cndmask_b32_e32 v10, v10, v11, vcc
	v_cndmask_b32_e32 v11, v14, v15, vcc
	v_lshlrev_b32_e32 v14, 16, v16
	v_mov_b32_e32 v15, 0x3b800000
	v_lshlrev_b32_e32 v10, 20, v10
	v_and_b32_e32 v14, 0x80000000, v14
	v_lshl_add_u32 v11, v11, 23, v15
	v_or3_b32 v10, v14, v11, v10
.LBB51_76:
	s_or_b64 exec, exec, s[6:7]
	v_lshrrev_b32_e32 v11, 8, v12
	s_movk_i32 s4, 0x7f
	v_cmp_gt_i16_sdwa s[6:7], v11, s4 src0_sel:BYTE_0 src1_sel:DWORD
	s_mov_b64 s[4:5], 0
                                        ; implicit-def: $sgpr10
	s_and_saveexec_b64 s[8:9], s[6:7]
	s_xor_b64 s[6:7], exec, s[8:9]
	s_cbranch_execnz .LBB51_2125
; %bb.77:
	s_or_saveexec_b64 s[6:7], s[6:7]
	v_mov_b32_e32 v14, s10
	s_xor_b64 exec, exec, s[6:7]
	s_cbranch_execnz .LBB51_2128
.LBB51_78:
	s_or_b64 exec, exec, s[6:7]
	s_and_saveexec_b64 s[6:7], s[4:5]
	s_cbranch_execz .LBB51_80
.LBB51_79:
	v_bfe_u32 v14, v12, 8, 3
	v_ffbh_u32_e32 v20, v14
	v_min_u32_e32 v20, 32, v20
	v_lshrrev_b16_e32 v15, 3, v11
	v_subrev_u32_e32 v21, 28, v20
	v_and_b32_e32 v15, 15, v15
	v_lshlrev_b32_e32 v11, v21, v11
	v_sub_u32_e32 v20, 29, v20
	v_and_b32_e32 v11, 7, v11
	v_cmp_eq_u16_e32 vcc, 0, v15
	v_cndmask_b32_e32 v11, v14, v11, vcc
	v_cndmask_b32_e32 v14, v15, v20, vcc
	v_lshlrev_b32_e32 v15, 16, v12
	v_mov_b32_e32 v20, 0x3b800000
	v_lshlrev_b32_e32 v11, 20, v11
	v_and_b32_e32 v15, 0x80000000, v15
	v_lshl_add_u32 v14, v14, 23, v20
	v_or3_b32 v14, v15, v14, v11
.LBB51_80:
	s_or_b64 exec, exec, s[6:7]
	s_nop 0
	v_mfma_f32_16x16x4f32 a[0:3], v10, v14, a[0:3]
	s_movk_i32 s4, 0xff
	v_and_b32_sdwa v11, v16, s4 dst_sel:DWORD dst_unused:UNUSED_PAD src0_sel:WORD_1 src1_sel:DWORD
	s_movk_i32 s4, 0x7f
	v_cmp_lt_i16_e32 vcc, s4, v11
	s_mov_b64 s[4:5], 0
                                        ; implicit-def: $sgpr10
	s_and_saveexec_b64 s[6:7], vcc
	s_xor_b64 s[6:7], exec, s[6:7]
	s_cbranch_execnz .LBB51_2129
; %bb.81:
	s_or_saveexec_b64 s[6:7], s[6:7]
	v_mov_b32_e32 v10, s10
	s_xor_b64 exec, exec, s[6:7]
	s_cbranch_execnz .LBB51_2132
.LBB51_82:
	s_or_b64 exec, exec, s[6:7]
	s_and_saveexec_b64 s[6:7], s[4:5]
	s_cbranch_execz .LBB51_84
.LBB51_83:
	v_bfe_u32 v10, v16, 16, 3
	v_ffbh_u32_e32 v15, v10
	v_min_u32_e32 v15, 32, v15
	v_lshrrev_b32_e32 v11, 19, v16
	v_subrev_u32_e32 v20, 28, v15
	v_and_b32_e32 v11, 15, v11
	v_lshlrev_b32_sdwa v20, v20, v16 dst_sel:DWORD dst_unused:UNUSED_PAD src0_sel:DWORD src1_sel:WORD_1
	v_bfe_u32 v14, v16, 19, 4
	v_sub_u32_e32 v15, 29, v15
	v_and_b32_e32 v20, 7, v20
	v_cmp_eq_u16_e32 vcc, 0, v11
	v_cndmask_b32_e32 v10, v10, v20, vcc
	v_cndmask_b32_e32 v11, v14, v15, vcc
	v_lshlrev_b32_e32 v14, 8, v16
	v_mov_b32_e32 v15, 0x3b800000
	v_lshlrev_b32_e32 v10, 20, v10
	v_and_b32_e32 v14, 0x80000000, v14
	v_lshl_add_u32 v11, v11, 23, v15
	v_or3_b32 v10, v14, v11, v10
.LBB51_84:
	s_or_b64 exec, exec, s[6:7]
	s_movk_i32 s4, 0xff
	v_and_b32_sdwa v11, v12, s4 dst_sel:DWORD dst_unused:UNUSED_PAD src0_sel:WORD_1 src1_sel:DWORD
	s_movk_i32 s4, 0x7f
	v_cmp_lt_i16_e32 vcc, s4, v11
	s_mov_b64 s[4:5], 0
                                        ; implicit-def: $sgpr10
	s_and_saveexec_b64 s[6:7], vcc
	s_xor_b64 s[6:7], exec, s[6:7]
	s_cbranch_execnz .LBB51_2133
; %bb.85:
	s_or_saveexec_b64 s[6:7], s[6:7]
	v_mov_b32_e32 v14, s10
	s_xor_b64 exec, exec, s[6:7]
	s_cbranch_execnz .LBB51_2136
.LBB51_86:
	s_or_b64 exec, exec, s[6:7]
	s_and_saveexec_b64 s[6:7], s[4:5]
	s_cbranch_execz .LBB51_88
.LBB51_87:
	v_bfe_u32 v11, v12, 16, 3
	v_ffbh_u32_e32 v20, v11
	v_min_u32_e32 v20, 32, v20
	v_lshrrev_b32_e32 v14, 19, v12
	v_subrev_u32_e32 v21, 28, v20
	v_and_b32_e32 v14, 15, v14
	v_lshlrev_b32_sdwa v21, v21, v12 dst_sel:DWORD dst_unused:UNUSED_PAD src0_sel:DWORD src1_sel:WORD_1
	v_bfe_u32 v15, v12, 19, 4
	v_sub_u32_e32 v20, 29, v20
	v_and_b32_e32 v21, 7, v21
	v_cmp_eq_u16_e32 vcc, 0, v14
	v_cndmask_b32_e32 v11, v11, v21, vcc
	v_cndmask_b32_e32 v14, v15, v20, vcc
	v_lshlrev_b32_e32 v15, 8, v12
	v_mov_b32_e32 v20, 0x3b800000
	v_lshlrev_b32_e32 v11, 20, v11
	v_and_b32_e32 v15, 0x80000000, v15
	v_lshl_add_u32 v14, v14, 23, v20
	v_or3_b32 v14, v15, v14, v11
.LBB51_88:
	s_or_b64 exec, exec, s[6:7]
	s_nop 0
	v_mfma_f32_16x16x4f32 a[0:3], v10, v14, a[0:3]
	s_movk_i32 s4, 0x7f
	v_cmp_gt_i16_sdwa s[6:7], v16, s4 src0_sel:BYTE_3 src1_sel:DWORD
	s_mov_b64 s[4:5], 0
                                        ; implicit-def: $sgpr10
	s_and_saveexec_b64 s[8:9], s[6:7]
	s_xor_b64 s[6:7], exec, s[8:9]
	s_cbranch_execnz .LBB51_2137
; %bb.89:
	s_or_saveexec_b64 s[6:7], s[6:7]
	v_mov_b32_e32 v10, s10
	s_xor_b64 exec, exec, s[6:7]
	s_cbranch_execnz .LBB51_2140
.LBB51_90:
	s_or_b64 exec, exec, s[6:7]
	s_and_saveexec_b64 s[6:7], s[4:5]
	s_cbranch_execz .LBB51_92
.LBB51_91:
	v_bfe_u32 v10, v16, 24, 3
	v_ffbh_u32_e32 v20, v10
	v_min_u32_e32 v20, 32, v20
	v_lshrrev_b32_e32 v14, 27, v16
	v_subrev_u32_e32 v21, 28, v20
	v_and_b32_e32 v11, 0x80000000, v16
	v_and_b32_e32 v14, 15, v14
	v_bfe_u32 v15, v16, 27, 4
	v_lshlrev_b32_sdwa v16, v21, v16 dst_sel:DWORD dst_unused:UNUSED_PAD src0_sel:DWORD src1_sel:BYTE_3
	v_sub_u32_e32 v20, 29, v20
	v_and_b32_e32 v16, 7, v16
	v_cmp_eq_u16_e32 vcc, 0, v14
	v_cndmask_b32_e32 v10, v10, v16, vcc
	v_cndmask_b32_e32 v14, v15, v20, vcc
	v_mov_b32_e32 v15, 0x3b800000
	v_lshlrev_b32_e32 v10, 20, v10
	v_lshl_add_u32 v14, v14, 23, v15
	v_or3_b32 v10, v11, v14, v10
.LBB51_92:
	s_or_b64 exec, exec, s[6:7]
	s_movk_i32 s4, 0x7f
	v_cmp_gt_i16_sdwa s[6:7], v12, s4 src0_sel:BYTE_3 src1_sel:DWORD
	s_mov_b64 s[4:5], 0
                                        ; implicit-def: $sgpr10
	s_and_saveexec_b64 s[8:9], s[6:7]
	s_xor_b64 s[6:7], exec, s[8:9]
	s_cbranch_execnz .LBB51_2141
; %bb.93:
	s_or_saveexec_b64 s[6:7], s[6:7]
	v_mov_b32_e32 v11, s10
	s_xor_b64 exec, exec, s[6:7]
	s_cbranch_execnz .LBB51_2144
.LBB51_94:
	s_or_b64 exec, exec, s[6:7]
	s_and_saveexec_b64 s[6:7], s[4:5]
	s_cbranch_execz .LBB51_96
.LBB51_95:
	v_bfe_u32 v11, v12, 24, 3
	v_ffbh_u32_e32 v20, v11
	v_min_u32_e32 v20, 32, v20
	v_lshrrev_b32_e32 v15, 27, v12
	v_subrev_u32_e32 v21, 28, v20
	v_and_b32_e32 v14, 0x80000000, v12
	v_and_b32_e32 v15, 15, v15
	v_bfe_u32 v16, v12, 27, 4
	v_lshlrev_b32_sdwa v12, v21, v12 dst_sel:DWORD dst_unused:UNUSED_PAD src0_sel:DWORD src1_sel:BYTE_3
	v_sub_u32_e32 v20, 29, v20
	v_and_b32_e32 v12, 7, v12
	v_cmp_eq_u16_e32 vcc, 0, v15
	v_cndmask_b32_e32 v11, v11, v12, vcc
	v_cndmask_b32_e32 v12, v16, v20, vcc
	v_mov_b32_e32 v15, 0x3b800000
	v_lshlrev_b32_e32 v11, 20, v11
	v_lshl_add_u32 v12, v12, 23, v15
	v_or3_b32 v11, v14, v12, v11
.LBB51_96:
	s_or_b64 exec, exec, s[6:7]
	s_nop 0
	v_mfma_f32_16x16x4f32 a[0:3], v10, v11, a[0:3]
	s_movk_i32 s4, 0x7f
	v_cmp_gt_i16_sdwa s[6:7], v17, s4 src0_sel:BYTE_0 src1_sel:DWORD
	s_mov_b64 s[4:5], 0
                                        ; implicit-def: $sgpr10
	s_and_saveexec_b64 s[8:9], s[6:7]
	s_xor_b64 s[6:7], exec, s[8:9]
	s_cbranch_execnz .LBB51_2145
; %bb.97:
	s_or_saveexec_b64 s[6:7], s[6:7]
	v_mov_b32_e32 v10, s10
	s_xor_b64 exec, exec, s[6:7]
	s_cbranch_execnz .LBB51_2148
.LBB51_98:
	s_or_b64 exec, exec, s[6:7]
	s_and_saveexec_b64 s[6:7], s[4:5]
	s_cbranch_execz .LBB51_100
.LBB51_99:
	v_and_b32_e32 v10, 7, v17
	v_ffbh_u32_e32 v12, v10
	v_min_u32_e32 v12, 32, v12
	v_lshrrev_b16_e32 v11, 3, v17
	v_subrev_u32_e32 v14, 28, v12
	v_and_b32_e32 v11, 15, v11
	v_lshlrev_b32_e32 v14, v14, v17
	v_sub_u32_e32 v12, 29, v12
	v_and_b32_e32 v14, 7, v14
	v_cmp_eq_u16_e32 vcc, 0, v11
	v_cndmask_b32_e32 v10, v10, v14, vcc
	v_cndmask_b32_e32 v11, v11, v12, vcc
	v_lshlrev_b32_e32 v12, 24, v17
	v_mov_b32_e32 v14, 0x3b800000
	v_lshlrev_b32_e32 v10, 20, v10
	v_and_b32_e32 v12, 0x80000000, v12
	v_lshl_add_u32 v11, v11, 23, v14
	v_or3_b32 v10, v12, v11, v10
.LBB51_100:
	s_or_b64 exec, exec, s[6:7]
	s_movk_i32 s4, 0x7f
	v_cmp_gt_i16_sdwa s[6:7], v13, s4 src0_sel:BYTE_0 src1_sel:DWORD
	s_mov_b64 s[4:5], 0
                                        ; implicit-def: $sgpr10
	s_and_saveexec_b64 s[8:9], s[6:7]
	s_xor_b64 s[6:7], exec, s[8:9]
	s_cbranch_execnz .LBB51_2149
; %bb.101:
	s_or_saveexec_b64 s[6:7], s[6:7]
	v_mov_b32_e32 v11, s10
	s_xor_b64 exec, exec, s[6:7]
	s_cbranch_execnz .LBB51_2152
.LBB51_102:
	s_or_b64 exec, exec, s[6:7]
	s_and_saveexec_b64 s[6:7], s[4:5]
	s_cbranch_execz .LBB51_104
.LBB51_103:
	v_and_b32_e32 v11, 7, v13
	v_ffbh_u32_e32 v14, v11
	v_min_u32_e32 v14, 32, v14
	v_lshrrev_b16_e32 v12, 3, v13
	v_subrev_u32_e32 v15, 28, v14
	v_and_b32_e32 v12, 15, v12
	v_lshlrev_b32_e32 v15, v15, v13
	v_sub_u32_e32 v14, 29, v14
	v_and_b32_e32 v15, 7, v15
	v_cmp_eq_u16_e32 vcc, 0, v12
	v_cndmask_b32_e32 v11, v11, v15, vcc
	v_cndmask_b32_e32 v12, v12, v14, vcc
	v_lshlrev_b32_e32 v14, 24, v13
	v_mov_b32_e32 v15, 0x3b800000
	v_lshlrev_b32_e32 v11, 20, v11
	v_and_b32_e32 v14, 0x80000000, v14
	v_lshl_add_u32 v12, v12, 23, v15
	v_or3_b32 v11, v14, v12, v11
.LBB51_104:
	s_or_b64 exec, exec, s[6:7]
	s_nop 0
	v_mfma_f32_16x16x4f32 a[0:3], v10, v11, a[0:3]
	v_lshrrev_b32_e32 v11, 8, v17
	s_movk_i32 s4, 0x7f
	v_cmp_gt_i16_sdwa s[6:7], v11, s4 src0_sel:BYTE_0 src1_sel:DWORD
	s_mov_b64 s[4:5], 0
                                        ; implicit-def: $sgpr10
	s_and_saveexec_b64 s[8:9], s[6:7]
	s_xor_b64 s[6:7], exec, s[8:9]
	s_cbranch_execnz .LBB51_2153
; %bb.105:
	s_or_saveexec_b64 s[6:7], s[6:7]
	v_mov_b32_e32 v10, s10
	s_xor_b64 exec, exec, s[6:7]
	s_cbranch_execnz .LBB51_2156
.LBB51_106:
	s_or_b64 exec, exec, s[6:7]
	s_and_saveexec_b64 s[6:7], s[4:5]
	s_cbranch_execz .LBB51_108
.LBB51_107:
	v_bfe_u32 v10, v17, 8, 3
	v_ffbh_u32_e32 v14, v10
	v_min_u32_e32 v14, 32, v14
	v_lshrrev_b16_e32 v12, 3, v11
	v_subrev_u32_e32 v15, 28, v14
	v_and_b32_e32 v12, 15, v12
	v_lshlrev_b32_e32 v11, v15, v11
	v_sub_u32_e32 v14, 29, v14
	v_and_b32_e32 v11, 7, v11
	v_cmp_eq_u16_e32 vcc, 0, v12
	v_cndmask_b32_e32 v10, v10, v11, vcc
	v_cndmask_b32_e32 v11, v12, v14, vcc
	v_lshlrev_b32_e32 v12, 16, v17
	v_mov_b32_e32 v14, 0x3b800000
	v_lshlrev_b32_e32 v10, 20, v10
	v_and_b32_e32 v12, 0x80000000, v12
	v_lshl_add_u32 v11, v11, 23, v14
	v_or3_b32 v10, v12, v11, v10
.LBB51_108:
	s_or_b64 exec, exec, s[6:7]
	v_lshrrev_b32_e32 v11, 8, v13
	s_movk_i32 s4, 0x7f
	v_cmp_gt_i16_sdwa s[6:7], v11, s4 src0_sel:BYTE_0 src1_sel:DWORD
	s_mov_b64 s[4:5], 0
                                        ; implicit-def: $sgpr10
	s_and_saveexec_b64 s[8:9], s[6:7]
	s_xor_b64 s[6:7], exec, s[8:9]
	s_cbranch_execnz .LBB51_2157
; %bb.109:
	s_or_saveexec_b64 s[6:7], s[6:7]
	v_mov_b32_e32 v12, s10
	s_xor_b64 exec, exec, s[6:7]
	s_cbranch_execnz .LBB51_2160
.LBB51_110:
	s_or_b64 exec, exec, s[6:7]
	s_and_saveexec_b64 s[6:7], s[4:5]
	s_cbranch_execz .LBB51_112
.LBB51_111:
	v_bfe_u32 v12, v13, 8, 3
	v_ffbh_u32_e32 v15, v12
	v_min_u32_e32 v15, 32, v15
	v_lshrrev_b16_e32 v14, 3, v11
	v_subrev_u32_e32 v16, 28, v15
	v_and_b32_e32 v14, 15, v14
	v_lshlrev_b32_e32 v11, v16, v11
	v_sub_u32_e32 v15, 29, v15
	v_and_b32_e32 v11, 7, v11
	v_cmp_eq_u16_e32 vcc, 0, v14
	v_cndmask_b32_e32 v11, v12, v11, vcc
	v_cndmask_b32_e32 v12, v14, v15, vcc
	v_lshlrev_b32_e32 v14, 16, v13
	v_mov_b32_e32 v15, 0x3b800000
	v_lshlrev_b32_e32 v11, 20, v11
	v_and_b32_e32 v14, 0x80000000, v14
	v_lshl_add_u32 v12, v12, 23, v15
	v_or3_b32 v12, v14, v12, v11
.LBB51_112:
	s_or_b64 exec, exec, s[6:7]
	s_nop 0
	v_mfma_f32_16x16x4f32 a[0:3], v10, v12, a[0:3]
	s_movk_i32 s4, 0xff
	v_and_b32_sdwa v11, v17, s4 dst_sel:DWORD dst_unused:UNUSED_PAD src0_sel:WORD_1 src1_sel:DWORD
	s_movk_i32 s4, 0x7f
	v_cmp_lt_i16_e32 vcc, s4, v11
	s_mov_b64 s[4:5], 0
                                        ; implicit-def: $sgpr10
	s_and_saveexec_b64 s[6:7], vcc
	s_xor_b64 s[6:7], exec, s[6:7]
	s_cbranch_execnz .LBB51_2161
; %bb.113:
	s_or_saveexec_b64 s[6:7], s[6:7]
	v_mov_b32_e32 v10, s10
	s_xor_b64 exec, exec, s[6:7]
	s_cbranch_execnz .LBB51_2164
.LBB51_114:
	s_or_b64 exec, exec, s[6:7]
	s_and_saveexec_b64 s[6:7], s[4:5]
	s_cbranch_execz .LBB51_116
.LBB51_115:
	v_bfe_u32 v10, v17, 16, 3
	v_ffbh_u32_e32 v14, v10
	v_min_u32_e32 v14, 32, v14
	v_lshrrev_b32_e32 v11, 19, v17
	v_subrev_u32_e32 v15, 28, v14
	v_and_b32_e32 v11, 15, v11
	v_lshlrev_b32_sdwa v15, v15, v17 dst_sel:DWORD dst_unused:UNUSED_PAD src0_sel:DWORD src1_sel:WORD_1
	v_bfe_u32 v12, v17, 19, 4
	v_sub_u32_e32 v14, 29, v14
	v_and_b32_e32 v15, 7, v15
	v_cmp_eq_u16_e32 vcc, 0, v11
	v_cndmask_b32_e32 v10, v10, v15, vcc
	v_cndmask_b32_e32 v11, v12, v14, vcc
	v_lshlrev_b32_e32 v12, 8, v17
	v_mov_b32_e32 v14, 0x3b800000
	v_lshlrev_b32_e32 v10, 20, v10
	v_and_b32_e32 v12, 0x80000000, v12
	v_lshl_add_u32 v11, v11, 23, v14
	v_or3_b32 v10, v12, v11, v10
.LBB51_116:
	s_or_b64 exec, exec, s[6:7]
	s_movk_i32 s4, 0xff
	v_and_b32_sdwa v11, v13, s4 dst_sel:DWORD dst_unused:UNUSED_PAD src0_sel:WORD_1 src1_sel:DWORD
	s_movk_i32 s4, 0x7f
	v_cmp_lt_i16_e32 vcc, s4, v11
	s_mov_b64 s[4:5], 0
                                        ; implicit-def: $sgpr10
	s_and_saveexec_b64 s[6:7], vcc
	s_xor_b64 s[6:7], exec, s[6:7]
	s_cbranch_execnz .LBB51_2165
; %bb.117:
	s_or_saveexec_b64 s[6:7], s[6:7]
	v_mov_b32_e32 v12, s10
	s_xor_b64 exec, exec, s[6:7]
	s_cbranch_execnz .LBB51_2168
.LBB51_118:
	s_or_b64 exec, exec, s[6:7]
	s_and_saveexec_b64 s[6:7], s[4:5]
	s_cbranch_execz .LBB51_120
.LBB51_119:
	v_bfe_u32 v11, v13, 16, 3
	v_ffbh_u32_e32 v15, v11
	v_min_u32_e32 v15, 32, v15
	v_lshrrev_b32_e32 v12, 19, v13
	v_subrev_u32_e32 v16, 28, v15
	v_and_b32_e32 v12, 15, v12
	v_lshlrev_b32_sdwa v16, v16, v13 dst_sel:DWORD dst_unused:UNUSED_PAD src0_sel:DWORD src1_sel:WORD_1
	v_bfe_u32 v14, v13, 19, 4
	v_sub_u32_e32 v15, 29, v15
	v_and_b32_e32 v16, 7, v16
	v_cmp_eq_u16_e32 vcc, 0, v12
	v_cndmask_b32_e32 v11, v11, v16, vcc
	v_cndmask_b32_e32 v12, v14, v15, vcc
	v_lshlrev_b32_e32 v14, 8, v13
	v_mov_b32_e32 v15, 0x3b800000
	v_lshlrev_b32_e32 v11, 20, v11
	v_and_b32_e32 v14, 0x80000000, v14
	v_lshl_add_u32 v12, v12, 23, v15
	v_or3_b32 v12, v14, v12, v11
.LBB51_120:
	s_or_b64 exec, exec, s[6:7]
	s_nop 0
	v_mfma_f32_16x16x4f32 a[0:3], v10, v12, a[0:3]
	s_movk_i32 s4, 0x7f
	v_cmp_gt_i16_sdwa s[6:7], v17, s4 src0_sel:BYTE_3 src1_sel:DWORD
	s_mov_b64 s[4:5], 0
                                        ; implicit-def: $sgpr10
	s_and_saveexec_b64 s[8:9], s[6:7]
	s_xor_b64 s[6:7], exec, s[8:9]
	s_cbranch_execnz .LBB51_2169
; %bb.121:
	s_or_saveexec_b64 s[6:7], s[6:7]
	v_mov_b32_e32 v10, s10
	s_xor_b64 exec, exec, s[6:7]
	s_cbranch_execnz .LBB51_2172
.LBB51_122:
	s_or_b64 exec, exec, s[6:7]
	s_and_saveexec_b64 s[6:7], s[4:5]
	s_cbranch_execz .LBB51_124
.LBB51_123:
	v_bfe_u32 v10, v17, 24, 3
	v_ffbh_u32_e32 v15, v10
	v_min_u32_e32 v15, 32, v15
	v_lshrrev_b32_e32 v12, 27, v17
	v_subrev_u32_e32 v16, 28, v15
	v_and_b32_e32 v12, 15, v12
	v_lshlrev_b32_sdwa v16, v16, v17 dst_sel:DWORD dst_unused:UNUSED_PAD src0_sel:DWORD src1_sel:BYTE_3
	v_bfe_u32 v14, v17, 27, 4
	v_sub_u32_e32 v15, 29, v15
	v_and_b32_e32 v16, 7, v16
	v_cmp_eq_u16_e32 vcc, 0, v12
	v_cndmask_b32_e32 v10, v10, v16, vcc
	v_cndmask_b32_e32 v12, v14, v15, vcc
	v_mov_b32_e32 v14, 0x3b800000
	v_and_b32_e32 v11, 0x80000000, v17
	v_lshlrev_b32_e32 v10, 20, v10
	v_lshl_add_u32 v12, v12, 23, v14
	v_or3_b32 v10, v11, v12, v10
.LBB51_124:
	s_or_b64 exec, exec, s[6:7]
	s_movk_i32 s4, 0x7f
	v_cmp_gt_i16_sdwa s[6:7], v13, s4 src0_sel:BYTE_3 src1_sel:DWORD
	s_mov_b64 s[4:5], 0
                                        ; implicit-def: $sgpr10
	s_and_saveexec_b64 s[8:9], s[6:7]
	s_xor_b64 s[6:7], exec, s[8:9]
	s_cbranch_execnz .LBB51_2173
; %bb.125:
	s_or_saveexec_b64 s[6:7], s[6:7]
	v_mov_b32_e32 v11, s10
	s_xor_b64 exec, exec, s[6:7]
	s_cbranch_execnz .LBB51_2176
.LBB51_126:
	s_or_b64 exec, exec, s[6:7]
	s_and_saveexec_b64 s[6:7], s[4:5]
	s_cbranch_execz .LBB51_128
.LBB51_127:
	v_bfe_u32 v11, v13, 24, 3
	v_ffbh_u32_e32 v16, v11
	v_min_u32_e32 v16, 32, v16
	v_lshrrev_b32_e32 v14, 27, v13
	v_subrev_u32_e32 v17, 28, v16
	v_and_b32_e32 v12, 0x80000000, v13
	v_and_b32_e32 v14, 15, v14
	v_bfe_u32 v15, v13, 27, 4
	v_lshlrev_b32_sdwa v13, v17, v13 dst_sel:DWORD dst_unused:UNUSED_PAD src0_sel:DWORD src1_sel:BYTE_3
	v_sub_u32_e32 v16, 29, v16
	v_and_b32_e32 v13, 7, v13
	v_cmp_eq_u16_e32 vcc, 0, v14
	v_cndmask_b32_e32 v11, v11, v13, vcc
	v_cndmask_b32_e32 v13, v15, v16, vcc
	v_mov_b32_e32 v14, 0x3b800000
	v_lshlrev_b32_e32 v11, 20, v11
	v_lshl_add_u32 v13, v13, 23, v14
	v_or3_b32 v11, v12, v13, v11
.LBB51_128:
	s_or_b64 exec, exec, s[6:7]
	s_nop 0
	v_mfma_f32_16x16x4f32 a[0:3], v10, v11, a[0:3]
	s_movk_i32 s4, 0x7f
	v_cmp_gt_i16_sdwa s[6:7], v6, s4 src0_sel:BYTE_0 src1_sel:DWORD
	s_mov_b64 s[4:5], 0
                                        ; implicit-def: $sgpr10
	s_and_saveexec_b64 s[8:9], s[6:7]
	s_xor_b64 s[6:7], exec, s[8:9]
	s_cbranch_execnz .LBB51_2177
; %bb.129:
	s_or_saveexec_b64 s[6:7], s[6:7]
	v_mov_b32_e32 v10, s10
	s_xor_b64 exec, exec, s[6:7]
	s_cbranch_execnz .LBB51_2180
.LBB51_130:
	s_or_b64 exec, exec, s[6:7]
	s_and_saveexec_b64 s[6:7], s[4:5]
	s_cbranch_execz .LBB51_132
.LBB51_131:
	v_and_b32_e32 v10, 7, v6
	v_ffbh_u32_e32 v12, v10
	v_min_u32_e32 v12, 32, v12
	v_lshrrev_b16_e32 v11, 3, v6
	v_subrev_u32_e32 v13, 28, v12
	v_and_b32_e32 v11, 15, v11
	v_lshlrev_b32_e32 v13, v13, v6
	v_sub_u32_e32 v12, 29, v12
	v_and_b32_e32 v13, 7, v13
	v_cmp_eq_u16_e32 vcc, 0, v11
	v_cndmask_b32_e32 v10, v10, v13, vcc
	v_cndmask_b32_e32 v11, v11, v12, vcc
	v_lshlrev_b32_e32 v12, 24, v6
	v_mov_b32_e32 v13, 0x3b800000
	v_lshlrev_b32_e32 v10, 20, v10
	v_and_b32_e32 v12, 0x80000000, v12
	v_lshl_add_u32 v11, v11, 23, v13
	v_or3_b32 v10, v12, v11, v10
.LBB51_132:
	s_or_b64 exec, exec, s[6:7]
	s_movk_i32 s4, 0x7f
	v_cmp_gt_i16_sdwa s[6:7], v2, s4 src0_sel:BYTE_0 src1_sel:DWORD
	s_mov_b64 s[4:5], 0
                                        ; implicit-def: $sgpr10
	s_and_saveexec_b64 s[8:9], s[6:7]
	s_xor_b64 s[6:7], exec, s[8:9]
	s_cbranch_execnz .LBB51_2181
; %bb.133:
	s_or_saveexec_b64 s[6:7], s[6:7]
	v_mov_b32_e32 v11, s10
	s_xor_b64 exec, exec, s[6:7]
	s_cbranch_execnz .LBB51_2184
.LBB51_134:
	s_or_b64 exec, exec, s[6:7]
	s_and_saveexec_b64 s[6:7], s[4:5]
	s_cbranch_execz .LBB51_136
.LBB51_135:
	v_and_b32_e32 v11, 7, v2
	v_ffbh_u32_e32 v13, v11
	v_min_u32_e32 v13, 32, v13
	v_lshrrev_b16_e32 v12, 3, v2
	v_subrev_u32_e32 v14, 28, v13
	v_and_b32_e32 v12, 15, v12
	v_lshlrev_b32_e32 v14, v14, v2
	v_sub_u32_e32 v13, 29, v13
	v_and_b32_e32 v14, 7, v14
	v_cmp_eq_u16_e32 vcc, 0, v12
	v_cndmask_b32_e32 v11, v11, v14, vcc
	v_cndmask_b32_e32 v12, v12, v13, vcc
	v_lshlrev_b32_e32 v13, 24, v2
	v_mov_b32_e32 v14, 0x3b800000
	v_lshlrev_b32_e32 v11, 20, v11
	v_and_b32_e32 v13, 0x80000000, v13
	v_lshl_add_u32 v12, v12, 23, v14
	v_or3_b32 v11, v13, v12, v11
.LBB51_136:
	s_or_b64 exec, exec, s[6:7]
	s_nop 0
	v_mfma_f32_16x16x4f32 a[0:3], v10, v11, a[0:3]
	v_lshrrev_b32_e32 v11, 8, v6
	s_movk_i32 s4, 0x7f
	v_cmp_gt_i16_sdwa s[6:7], v11, s4 src0_sel:BYTE_0 src1_sel:DWORD
	s_mov_b64 s[4:5], 0
                                        ; implicit-def: $sgpr10
	s_and_saveexec_b64 s[8:9], s[6:7]
	s_xor_b64 s[6:7], exec, s[8:9]
	s_cbranch_execnz .LBB51_2185
; %bb.137:
	s_or_saveexec_b64 s[6:7], s[6:7]
	v_mov_b32_e32 v10, s10
	s_xor_b64 exec, exec, s[6:7]
	s_cbranch_execnz .LBB51_2188
.LBB51_138:
	s_or_b64 exec, exec, s[6:7]
	s_and_saveexec_b64 s[6:7], s[4:5]
	s_cbranch_execz .LBB51_140
.LBB51_139:
	v_bfe_u32 v10, v6, 8, 3
	v_ffbh_u32_e32 v13, v10
	v_min_u32_e32 v13, 32, v13
	v_lshrrev_b16_e32 v12, 3, v11
	v_subrev_u32_e32 v14, 28, v13
	v_and_b32_e32 v12, 15, v12
	v_lshlrev_b32_e32 v11, v14, v11
	v_sub_u32_e32 v13, 29, v13
	v_and_b32_e32 v11, 7, v11
	v_cmp_eq_u16_e32 vcc, 0, v12
	v_cndmask_b32_e32 v10, v10, v11, vcc
	v_cndmask_b32_e32 v11, v12, v13, vcc
	v_lshlrev_b32_e32 v12, 16, v6
	v_mov_b32_e32 v13, 0x3b800000
	v_lshlrev_b32_e32 v10, 20, v10
	v_and_b32_e32 v12, 0x80000000, v12
	v_lshl_add_u32 v11, v11, 23, v13
	v_or3_b32 v10, v12, v11, v10
.LBB51_140:
	s_or_b64 exec, exec, s[6:7]
	v_lshrrev_b32_e32 v11, 8, v2
	s_movk_i32 s4, 0x7f
	v_cmp_gt_i16_sdwa s[6:7], v11, s4 src0_sel:BYTE_0 src1_sel:DWORD
	s_mov_b64 s[4:5], 0
                                        ; implicit-def: $sgpr10
	s_and_saveexec_b64 s[8:9], s[6:7]
	s_xor_b64 s[6:7], exec, s[8:9]
	s_cbranch_execnz .LBB51_2189
; %bb.141:
	s_or_saveexec_b64 s[6:7], s[6:7]
	v_mov_b32_e32 v12, s10
	s_xor_b64 exec, exec, s[6:7]
	s_cbranch_execnz .LBB51_2192
.LBB51_142:
	s_or_b64 exec, exec, s[6:7]
	s_and_saveexec_b64 s[6:7], s[4:5]
	s_cbranch_execz .LBB51_144
.LBB51_143:
	v_bfe_u32 v12, v2, 8, 3
	v_ffbh_u32_e32 v14, v12
	v_min_u32_e32 v14, 32, v14
	v_lshrrev_b16_e32 v13, 3, v11
	v_subrev_u32_e32 v15, 28, v14
	v_and_b32_e32 v13, 15, v13
	v_lshlrev_b32_e32 v11, v15, v11
	v_sub_u32_e32 v14, 29, v14
	v_and_b32_e32 v11, 7, v11
	v_cmp_eq_u16_e32 vcc, 0, v13
	v_cndmask_b32_e32 v11, v12, v11, vcc
	v_cndmask_b32_e32 v12, v13, v14, vcc
	v_lshlrev_b32_e32 v13, 16, v2
	v_mov_b32_e32 v14, 0x3b800000
	v_lshlrev_b32_e32 v11, 20, v11
	v_and_b32_e32 v13, 0x80000000, v13
	v_lshl_add_u32 v12, v12, 23, v14
	v_or3_b32 v12, v13, v12, v11
.LBB51_144:
	s_or_b64 exec, exec, s[6:7]
	s_nop 0
	v_mfma_f32_16x16x4f32 a[0:3], v10, v12, a[0:3]
	s_movk_i32 s4, 0xff
	v_and_b32_sdwa v11, v6, s4 dst_sel:DWORD dst_unused:UNUSED_PAD src0_sel:WORD_1 src1_sel:DWORD
	s_movk_i32 s4, 0x7f
	v_cmp_lt_i16_e32 vcc, s4, v11
	s_mov_b64 s[4:5], 0
                                        ; implicit-def: $sgpr10
	s_and_saveexec_b64 s[6:7], vcc
	s_xor_b64 s[6:7], exec, s[6:7]
	s_cbranch_execnz .LBB51_2193
; %bb.145:
	s_or_saveexec_b64 s[6:7], s[6:7]
	v_mov_b32_e32 v10, s10
	s_xor_b64 exec, exec, s[6:7]
	s_cbranch_execnz .LBB51_2196
.LBB51_146:
	s_or_b64 exec, exec, s[6:7]
	s_and_saveexec_b64 s[6:7], s[4:5]
	s_cbranch_execz .LBB51_148
.LBB51_147:
	v_bfe_u32 v10, v6, 16, 3
	v_ffbh_u32_e32 v13, v10
	v_min_u32_e32 v13, 32, v13
	v_lshrrev_b32_e32 v11, 19, v6
	v_subrev_u32_e32 v14, 28, v13
	v_and_b32_e32 v11, 15, v11
	v_lshlrev_b32_sdwa v14, v14, v6 dst_sel:DWORD dst_unused:UNUSED_PAD src0_sel:DWORD src1_sel:WORD_1
	v_bfe_u32 v12, v6, 19, 4
	v_sub_u32_e32 v13, 29, v13
	v_and_b32_e32 v14, 7, v14
	v_cmp_eq_u16_e32 vcc, 0, v11
	v_cndmask_b32_e32 v10, v10, v14, vcc
	v_cndmask_b32_e32 v11, v12, v13, vcc
	v_lshlrev_b32_e32 v12, 8, v6
	v_mov_b32_e32 v13, 0x3b800000
	v_lshlrev_b32_e32 v10, 20, v10
	v_and_b32_e32 v12, 0x80000000, v12
	v_lshl_add_u32 v11, v11, 23, v13
	v_or3_b32 v10, v12, v11, v10
.LBB51_148:
	s_or_b64 exec, exec, s[6:7]
	s_movk_i32 s4, 0xff
	v_and_b32_sdwa v11, v2, s4 dst_sel:DWORD dst_unused:UNUSED_PAD src0_sel:WORD_1 src1_sel:DWORD
	s_movk_i32 s4, 0x7f
	v_cmp_lt_i16_e32 vcc, s4, v11
	s_mov_b64 s[4:5], 0
                                        ; implicit-def: $sgpr10
	s_and_saveexec_b64 s[6:7], vcc
	s_xor_b64 s[6:7], exec, s[6:7]
	s_cbranch_execnz .LBB51_2197
; %bb.149:
	s_or_saveexec_b64 s[6:7], s[6:7]
	v_mov_b32_e32 v12, s10
	s_xor_b64 exec, exec, s[6:7]
	s_cbranch_execnz .LBB51_2200
.LBB51_150:
	s_or_b64 exec, exec, s[6:7]
	s_and_saveexec_b64 s[6:7], s[4:5]
	s_cbranch_execz .LBB51_152
.LBB51_151:
	v_bfe_u32 v11, v2, 16, 3
	v_ffbh_u32_e32 v14, v11
	v_min_u32_e32 v14, 32, v14
	v_lshrrev_b32_e32 v12, 19, v2
	v_subrev_u32_e32 v15, 28, v14
	v_and_b32_e32 v12, 15, v12
	v_lshlrev_b32_sdwa v15, v15, v2 dst_sel:DWORD dst_unused:UNUSED_PAD src0_sel:DWORD src1_sel:WORD_1
	v_bfe_u32 v13, v2, 19, 4
	v_sub_u32_e32 v14, 29, v14
	v_and_b32_e32 v15, 7, v15
	v_cmp_eq_u16_e32 vcc, 0, v12
	v_cndmask_b32_e32 v11, v11, v15, vcc
	v_cndmask_b32_e32 v12, v13, v14, vcc
	v_lshlrev_b32_e32 v13, 8, v2
	v_mov_b32_e32 v14, 0x3b800000
	v_lshlrev_b32_e32 v11, 20, v11
	v_and_b32_e32 v13, 0x80000000, v13
	v_lshl_add_u32 v12, v12, 23, v14
	v_or3_b32 v12, v13, v12, v11
.LBB51_152:
	s_or_b64 exec, exec, s[6:7]
	s_nop 0
	v_mfma_f32_16x16x4f32 a[0:3], v10, v12, a[0:3]
	s_movk_i32 s4, 0x7f
	v_cmp_gt_i16_sdwa s[6:7], v6, s4 src0_sel:BYTE_3 src1_sel:DWORD
	s_mov_b64 s[4:5], 0
                                        ; implicit-def: $sgpr10
	s_and_saveexec_b64 s[8:9], s[6:7]
	s_xor_b64 s[6:7], exec, s[8:9]
	s_cbranch_execnz .LBB51_2201
; %bb.153:
	s_or_saveexec_b64 s[6:7], s[6:7]
	v_mov_b32_e32 v10, s10
	s_xor_b64 exec, exec, s[6:7]
	s_cbranch_execnz .LBB51_2204
.LBB51_154:
	s_or_b64 exec, exec, s[6:7]
	s_and_saveexec_b64 s[6:7], s[4:5]
	s_cbranch_execz .LBB51_156
.LBB51_155:
	v_bfe_u32 v10, v6, 24, 3
	v_ffbh_u32_e32 v14, v10
	v_min_u32_e32 v14, 32, v14
	v_lshrrev_b32_e32 v12, 27, v6
	v_subrev_u32_e32 v15, 28, v14
	v_and_b32_e32 v11, 0x80000000, v6
	v_and_b32_e32 v12, 15, v12
	v_bfe_u32 v13, v6, 27, 4
	v_lshlrev_b32_sdwa v6, v15, v6 dst_sel:DWORD dst_unused:UNUSED_PAD src0_sel:DWORD src1_sel:BYTE_3
	v_sub_u32_e32 v14, 29, v14
	v_and_b32_e32 v6, 7, v6
	v_cmp_eq_u16_e32 vcc, 0, v12
	v_cndmask_b32_e32 v6, v10, v6, vcc
	v_cndmask_b32_e32 v10, v13, v14, vcc
	v_mov_b32_e32 v12, 0x3b800000
	v_lshlrev_b32_e32 v6, 20, v6
	v_lshl_add_u32 v10, v10, 23, v12
	v_or3_b32 v10, v11, v10, v6
.LBB51_156:
	s_or_b64 exec, exec, s[6:7]
	s_movk_i32 s4, 0x7f
	v_cmp_gt_i16_sdwa s[6:7], v2, s4 src0_sel:BYTE_3 src1_sel:DWORD
	s_mov_b64 s[4:5], 0
                                        ; implicit-def: $sgpr10
	s_and_saveexec_b64 s[8:9], s[6:7]
	s_xor_b64 s[6:7], exec, s[8:9]
	s_cbranch_execnz .LBB51_2205
; %bb.157:
	s_or_saveexec_b64 s[6:7], s[6:7]
	v_mov_b32_e32 v6, s10
	s_xor_b64 exec, exec, s[6:7]
	s_cbranch_execnz .LBB51_2208
.LBB51_158:
	s_or_b64 exec, exec, s[6:7]
	s_and_saveexec_b64 s[6:7], s[4:5]
	s_cbranch_execz .LBB51_160
.LBB51_159:
	v_bfe_u32 v6, v2, 24, 3
	v_ffbh_u32_e32 v14, v6
	v_min_u32_e32 v14, 32, v14
	v_lshrrev_b32_e32 v12, 27, v2
	v_subrev_u32_e32 v15, 28, v14
	v_and_b32_e32 v11, 0x80000000, v2
	v_and_b32_e32 v12, 15, v12
	v_bfe_u32 v13, v2, 27, 4
	v_lshlrev_b32_sdwa v2, v15, v2 dst_sel:DWORD dst_unused:UNUSED_PAD src0_sel:DWORD src1_sel:BYTE_3
	v_sub_u32_e32 v14, 29, v14
	v_and_b32_e32 v2, 7, v2
	v_cmp_eq_u16_e32 vcc, 0, v12
	v_cndmask_b32_e32 v2, v6, v2, vcc
	v_cndmask_b32_e32 v6, v13, v14, vcc
	v_mov_b32_e32 v12, 0x3b800000
	v_lshlrev_b32_e32 v2, 20, v2
	v_lshl_add_u32 v6, v6, 23, v12
	v_or3_b32 v6, v11, v6, v2
.LBB51_160:
	s_or_b64 exec, exec, s[6:7]
	s_nop 0
	v_mfma_f32_16x16x4f32 a[0:3], v10, v6, a[0:3]
	s_movk_i32 s4, 0x7f
	v_cmp_gt_i16_sdwa s[6:7], v7, s4 src0_sel:BYTE_0 src1_sel:DWORD
	s_mov_b64 s[4:5], 0
                                        ; implicit-def: $sgpr10
	s_and_saveexec_b64 s[8:9], s[6:7]
	s_xor_b64 s[6:7], exec, s[8:9]
	s_cbranch_execnz .LBB51_2209
; %bb.161:
	s_or_saveexec_b64 s[6:7], s[6:7]
	v_mov_b32_e32 v2, s10
	s_xor_b64 exec, exec, s[6:7]
	s_cbranch_execnz .LBB51_2212
.LBB51_162:
	s_or_b64 exec, exec, s[6:7]
	s_and_saveexec_b64 s[6:7], s[4:5]
	s_cbranch_execz .LBB51_164
.LBB51_163:
	v_and_b32_e32 v2, 7, v7
	v_ffbh_u32_e32 v10, v2
	v_min_u32_e32 v10, 32, v10
	v_lshrrev_b16_e32 v6, 3, v7
	v_subrev_u32_e32 v11, 28, v10
	v_and_b32_e32 v6, 15, v6
	v_lshlrev_b32_e32 v11, v11, v7
	v_sub_u32_e32 v10, 29, v10
	v_and_b32_e32 v11, 7, v11
	v_cmp_eq_u16_e32 vcc, 0, v6
	v_cndmask_b32_e32 v2, v2, v11, vcc
	v_cndmask_b32_e32 v6, v6, v10, vcc
	v_lshlrev_b32_e32 v10, 24, v7
	v_mov_b32_e32 v11, 0x3b800000
	v_lshlrev_b32_e32 v2, 20, v2
	v_and_b32_e32 v10, 0x80000000, v10
	v_lshl_add_u32 v6, v6, 23, v11
	v_or3_b32 v2, v10, v6, v2
.LBB51_164:
	s_or_b64 exec, exec, s[6:7]
	s_movk_i32 s4, 0x7f
	v_cmp_gt_i16_sdwa s[6:7], v3, s4 src0_sel:BYTE_0 src1_sel:DWORD
	s_mov_b64 s[4:5], 0
                                        ; implicit-def: $sgpr10
	s_and_saveexec_b64 s[8:9], s[6:7]
	s_xor_b64 s[6:7], exec, s[8:9]
	s_cbranch_execnz .LBB51_2213
; %bb.165:
	s_or_saveexec_b64 s[6:7], s[6:7]
	v_mov_b32_e32 v6, s10
	s_xor_b64 exec, exec, s[6:7]
	s_cbranch_execnz .LBB51_2216
.LBB51_166:
	s_or_b64 exec, exec, s[6:7]
	s_and_saveexec_b64 s[6:7], s[4:5]
	s_cbranch_execz .LBB51_168
.LBB51_167:
	v_and_b32_e32 v6, 7, v3
	v_ffbh_u32_e32 v11, v6
	v_min_u32_e32 v11, 32, v11
	v_lshrrev_b16_e32 v10, 3, v3
	v_subrev_u32_e32 v12, 28, v11
	v_and_b32_e32 v10, 15, v10
	v_lshlrev_b32_e32 v12, v12, v3
	v_sub_u32_e32 v11, 29, v11
	v_and_b32_e32 v12, 7, v12
	v_cmp_eq_u16_e32 vcc, 0, v10
	v_cndmask_b32_e32 v6, v6, v12, vcc
	v_cndmask_b32_e32 v10, v10, v11, vcc
	v_lshlrev_b32_e32 v11, 24, v3
	v_mov_b32_e32 v12, 0x3b800000
	v_lshlrev_b32_e32 v6, 20, v6
	v_and_b32_e32 v11, 0x80000000, v11
	v_lshl_add_u32 v10, v10, 23, v12
	v_or3_b32 v6, v11, v10, v6
.LBB51_168:
	s_or_b64 exec, exec, s[6:7]
	s_nop 0
	v_mfma_f32_16x16x4f32 a[0:3], v2, v6, a[0:3]
	v_lshrrev_b32_e32 v6, 8, v7
	s_movk_i32 s4, 0x7f
	v_cmp_gt_i16_sdwa s[6:7], v6, s4 src0_sel:BYTE_0 src1_sel:DWORD
	s_mov_b64 s[4:5], 0
                                        ; implicit-def: $sgpr10
	s_and_saveexec_b64 s[8:9], s[6:7]
	s_xor_b64 s[6:7], exec, s[8:9]
	s_cbranch_execnz .LBB51_2217
; %bb.169:
	s_or_saveexec_b64 s[6:7], s[6:7]
	v_mov_b32_e32 v2, s10
	s_xor_b64 exec, exec, s[6:7]
	s_cbranch_execnz .LBB51_2220
.LBB51_170:
	s_or_b64 exec, exec, s[6:7]
	s_and_saveexec_b64 s[6:7], s[4:5]
	s_cbranch_execz .LBB51_172
.LBB51_171:
	v_bfe_u32 v2, v7, 8, 3
	v_ffbh_u32_e32 v11, v2
	v_min_u32_e32 v11, 32, v11
	v_lshrrev_b16_e32 v10, 3, v6
	v_subrev_u32_e32 v12, 28, v11
	v_and_b32_e32 v10, 15, v10
	v_lshlrev_b32_e32 v6, v12, v6
	v_sub_u32_e32 v11, 29, v11
	v_and_b32_e32 v6, 7, v6
	v_cmp_eq_u16_e32 vcc, 0, v10
	v_cndmask_b32_e32 v2, v2, v6, vcc
	v_cndmask_b32_e32 v6, v10, v11, vcc
	v_lshlrev_b32_e32 v10, 16, v7
	v_mov_b32_e32 v11, 0x3b800000
	v_lshlrev_b32_e32 v2, 20, v2
	v_and_b32_e32 v10, 0x80000000, v10
	v_lshl_add_u32 v6, v6, 23, v11
	v_or3_b32 v2, v10, v6, v2
.LBB51_172:
	s_or_b64 exec, exec, s[6:7]
	v_lshrrev_b32_e32 v6, 8, v3
	s_movk_i32 s4, 0x7f
	v_cmp_gt_i16_sdwa s[6:7], v6, s4 src0_sel:BYTE_0 src1_sel:DWORD
	s_mov_b64 s[4:5], 0
                                        ; implicit-def: $sgpr10
	s_and_saveexec_b64 s[8:9], s[6:7]
	s_xor_b64 s[6:7], exec, s[8:9]
	s_cbranch_execnz .LBB51_2221
; %bb.173:
	s_or_saveexec_b64 s[6:7], s[6:7]
	v_mov_b32_e32 v10, s10
	s_xor_b64 exec, exec, s[6:7]
	s_cbranch_execnz .LBB51_2224
.LBB51_174:
	s_or_b64 exec, exec, s[6:7]
	s_and_saveexec_b64 s[6:7], s[4:5]
	s_cbranch_execz .LBB51_176
.LBB51_175:
	v_bfe_u32 v10, v3, 8, 3
	v_ffbh_u32_e32 v12, v10
	v_min_u32_e32 v12, 32, v12
	v_lshrrev_b16_e32 v11, 3, v6
	v_subrev_u32_e32 v13, 28, v12
	v_and_b32_e32 v11, 15, v11
	v_lshlrev_b32_e32 v6, v13, v6
	v_sub_u32_e32 v12, 29, v12
	v_and_b32_e32 v6, 7, v6
	v_cmp_eq_u16_e32 vcc, 0, v11
	v_cndmask_b32_e32 v6, v10, v6, vcc
	v_cndmask_b32_e32 v10, v11, v12, vcc
	v_lshlrev_b32_e32 v11, 16, v3
	v_mov_b32_e32 v12, 0x3b800000
	v_lshlrev_b32_e32 v6, 20, v6
	v_and_b32_e32 v11, 0x80000000, v11
	v_lshl_add_u32 v10, v10, 23, v12
	v_or3_b32 v10, v11, v10, v6
.LBB51_176:
	s_or_b64 exec, exec, s[6:7]
	s_nop 0
	v_mfma_f32_16x16x4f32 a[0:3], v2, v10, a[0:3]
	s_movk_i32 s4, 0xff
	v_and_b32_sdwa v6, v7, s4 dst_sel:DWORD dst_unused:UNUSED_PAD src0_sel:WORD_1 src1_sel:DWORD
	s_movk_i32 s4, 0x7f
	v_cmp_lt_i16_e32 vcc, s4, v6
	s_mov_b64 s[4:5], 0
                                        ; implicit-def: $sgpr10
	s_and_saveexec_b64 s[6:7], vcc
	s_xor_b64 s[6:7], exec, s[6:7]
	s_cbranch_execnz .LBB51_2225
; %bb.177:
	s_or_saveexec_b64 s[6:7], s[6:7]
	v_mov_b32_e32 v2, s10
	s_xor_b64 exec, exec, s[6:7]
	s_cbranch_execnz .LBB51_2228
.LBB51_178:
	s_or_b64 exec, exec, s[6:7]
	s_and_saveexec_b64 s[6:7], s[4:5]
	s_cbranch_execz .LBB51_180
.LBB51_179:
	v_bfe_u32 v2, v7, 16, 3
	v_ffbh_u32_e32 v11, v2
	v_min_u32_e32 v11, 32, v11
	v_lshrrev_b32_e32 v6, 19, v7
	v_subrev_u32_e32 v12, 28, v11
	v_and_b32_e32 v6, 15, v6
	v_lshlrev_b32_sdwa v12, v12, v7 dst_sel:DWORD dst_unused:UNUSED_PAD src0_sel:DWORD src1_sel:WORD_1
	v_bfe_u32 v10, v7, 19, 4
	v_sub_u32_e32 v11, 29, v11
	v_and_b32_e32 v12, 7, v12
	v_cmp_eq_u16_e32 vcc, 0, v6
	v_cndmask_b32_e32 v2, v2, v12, vcc
	v_cndmask_b32_e32 v6, v10, v11, vcc
	v_lshlrev_b32_e32 v10, 8, v7
	v_mov_b32_e32 v11, 0x3b800000
	v_lshlrev_b32_e32 v2, 20, v2
	v_and_b32_e32 v10, 0x80000000, v10
	v_lshl_add_u32 v6, v6, 23, v11
	v_or3_b32 v2, v10, v6, v2
.LBB51_180:
	s_or_b64 exec, exec, s[6:7]
	s_movk_i32 s4, 0xff
	v_and_b32_sdwa v6, v3, s4 dst_sel:DWORD dst_unused:UNUSED_PAD src0_sel:WORD_1 src1_sel:DWORD
	s_movk_i32 s4, 0x7f
	v_cmp_lt_i16_e32 vcc, s4, v6
	s_mov_b64 s[4:5], 0
                                        ; implicit-def: $sgpr10
	s_and_saveexec_b64 s[6:7], vcc
	s_xor_b64 s[6:7], exec, s[6:7]
	s_cbranch_execnz .LBB51_2229
; %bb.181:
	s_or_saveexec_b64 s[6:7], s[6:7]
	v_mov_b32_e32 v10, s10
	s_xor_b64 exec, exec, s[6:7]
	s_cbranch_execnz .LBB51_2232
.LBB51_182:
	s_or_b64 exec, exec, s[6:7]
	s_and_saveexec_b64 s[6:7], s[4:5]
	s_cbranch_execz .LBB51_184
.LBB51_183:
	v_bfe_u32 v6, v3, 16, 3
	v_ffbh_u32_e32 v12, v6
	v_min_u32_e32 v12, 32, v12
	v_lshrrev_b32_e32 v10, 19, v3
	v_subrev_u32_e32 v13, 28, v12
	v_and_b32_e32 v10, 15, v10
	v_lshlrev_b32_sdwa v13, v13, v3 dst_sel:DWORD dst_unused:UNUSED_PAD src0_sel:DWORD src1_sel:WORD_1
	v_bfe_u32 v11, v3, 19, 4
	v_sub_u32_e32 v12, 29, v12
	v_and_b32_e32 v13, 7, v13
	v_cmp_eq_u16_e32 vcc, 0, v10
	v_cndmask_b32_e32 v6, v6, v13, vcc
	v_cndmask_b32_e32 v10, v11, v12, vcc
	v_lshlrev_b32_e32 v11, 8, v3
	v_mov_b32_e32 v12, 0x3b800000
	v_lshlrev_b32_e32 v6, 20, v6
	v_and_b32_e32 v11, 0x80000000, v11
	v_lshl_add_u32 v10, v10, 23, v12
	v_or3_b32 v10, v11, v10, v6
.LBB51_184:
	s_or_b64 exec, exec, s[6:7]
	s_nop 0
	v_mfma_f32_16x16x4f32 a[0:3], v2, v10, a[0:3]
	s_movk_i32 s4, 0x7f
	v_cmp_gt_i16_sdwa s[6:7], v7, s4 src0_sel:BYTE_3 src1_sel:DWORD
	s_mov_b64 s[4:5], 0
                                        ; implicit-def: $sgpr10
	s_and_saveexec_b64 s[8:9], s[6:7]
	s_xor_b64 s[6:7], exec, s[8:9]
	s_cbranch_execnz .LBB51_2233
; %bb.185:
	s_or_saveexec_b64 s[6:7], s[6:7]
	v_mov_b32_e32 v2, s10
	s_xor_b64 exec, exec, s[6:7]
	s_cbranch_execnz .LBB51_2236
.LBB51_186:
	s_or_b64 exec, exec, s[6:7]
	s_and_saveexec_b64 s[6:7], s[4:5]
	s_cbranch_execz .LBB51_188
.LBB51_187:
	v_bfe_u32 v2, v7, 24, 3
	v_ffbh_u32_e32 v12, v2
	v_min_u32_e32 v12, 32, v12
	v_lshrrev_b32_e32 v10, 27, v7
	v_subrev_u32_e32 v13, 28, v12
	v_and_b32_e32 v6, 0x80000000, v7
	v_and_b32_e32 v10, 15, v10
	v_bfe_u32 v11, v7, 27, 4
	v_lshlrev_b32_sdwa v7, v13, v7 dst_sel:DWORD dst_unused:UNUSED_PAD src0_sel:DWORD src1_sel:BYTE_3
	v_sub_u32_e32 v12, 29, v12
	v_and_b32_e32 v7, 7, v7
	v_cmp_eq_u16_e32 vcc, 0, v10
	v_cndmask_b32_e32 v2, v2, v7, vcc
	v_cndmask_b32_e32 v7, v11, v12, vcc
	v_mov_b32_e32 v10, 0x3b800000
	v_lshlrev_b32_e32 v2, 20, v2
	v_lshl_add_u32 v7, v7, 23, v10
	v_or3_b32 v2, v6, v7, v2
.LBB51_188:
	s_or_b64 exec, exec, s[6:7]
	s_movk_i32 s4, 0x7f
	v_cmp_gt_i16_sdwa s[6:7], v3, s4 src0_sel:BYTE_3 src1_sel:DWORD
	s_mov_b64 s[4:5], 0
                                        ; implicit-def: $sgpr10
	s_and_saveexec_b64 s[8:9], s[6:7]
	s_xor_b64 s[6:7], exec, s[8:9]
	s_cbranch_execnz .LBB51_2237
; %bb.189:
	s_or_saveexec_b64 s[6:7], s[6:7]
	v_mov_b32_e32 v6, s10
	s_xor_b64 exec, exec, s[6:7]
	s_cbranch_execnz .LBB51_2240
.LBB51_190:
	s_or_b64 exec, exec, s[6:7]
	s_and_saveexec_b64 s[6:7], s[4:5]
	s_cbranch_execz .LBB51_192
.LBB51_191:
	v_bfe_u32 v6, v3, 24, 3
	v_ffbh_u32_e32 v12, v6
	v_min_u32_e32 v12, 32, v12
	v_lshrrev_b32_e32 v10, 27, v3
	v_subrev_u32_e32 v13, 28, v12
	v_and_b32_e32 v7, 0x80000000, v3
	v_and_b32_e32 v10, 15, v10
	v_bfe_u32 v11, v3, 27, 4
	v_lshlrev_b32_sdwa v3, v13, v3 dst_sel:DWORD dst_unused:UNUSED_PAD src0_sel:DWORD src1_sel:BYTE_3
	v_sub_u32_e32 v12, 29, v12
	v_and_b32_e32 v3, 7, v3
	v_cmp_eq_u16_e32 vcc, 0, v10
	v_cndmask_b32_e32 v3, v6, v3, vcc
	v_cndmask_b32_e32 v6, v11, v12, vcc
	v_mov_b32_e32 v10, 0x3b800000
	v_lshlrev_b32_e32 v3, 20, v3
	v_lshl_add_u32 v6, v6, 23, v10
	v_or3_b32 v6, v7, v6, v3
.LBB51_192:
	s_or_b64 exec, exec, s[6:7]
	s_nop 0
	v_mfma_f32_16x16x4f32 a[0:3], v2, v6, a[0:3]
	s_movk_i32 s4, 0x7f
	v_cmp_gt_i16_sdwa s[6:7], v8, s4 src0_sel:BYTE_0 src1_sel:DWORD
	s_mov_b64 s[4:5], 0
                                        ; implicit-def: $sgpr10
	s_and_saveexec_b64 s[8:9], s[6:7]
	s_xor_b64 s[6:7], exec, s[8:9]
	s_cbranch_execnz .LBB51_2241
; %bb.193:
	s_or_saveexec_b64 s[6:7], s[6:7]
	v_mov_b32_e32 v2, s10
	s_xor_b64 exec, exec, s[6:7]
	s_cbranch_execnz .LBB51_2244
.LBB51_194:
	s_or_b64 exec, exec, s[6:7]
	s_and_saveexec_b64 s[6:7], s[4:5]
	s_cbranch_execz .LBB51_196
.LBB51_195:
	v_and_b32_e32 v2, 7, v8
	v_ffbh_u32_e32 v6, v2
	v_min_u32_e32 v6, 32, v6
	v_lshrrev_b16_e32 v3, 3, v8
	v_subrev_u32_e32 v7, 28, v6
	v_and_b32_e32 v3, 15, v3
	v_lshlrev_b32_e32 v7, v7, v8
	v_sub_u32_e32 v6, 29, v6
	v_and_b32_e32 v7, 7, v7
	v_cmp_eq_u16_e32 vcc, 0, v3
	v_cndmask_b32_e32 v2, v2, v7, vcc
	v_cndmask_b32_e32 v3, v3, v6, vcc
	v_lshlrev_b32_e32 v6, 24, v8
	v_mov_b32_e32 v7, 0x3b800000
	v_lshlrev_b32_e32 v2, 20, v2
	v_and_b32_e32 v6, 0x80000000, v6
	v_lshl_add_u32 v3, v3, 23, v7
	v_or3_b32 v2, v6, v3, v2
.LBB51_196:
	s_or_b64 exec, exec, s[6:7]
	s_movk_i32 s4, 0x7f
	v_cmp_gt_i16_sdwa s[6:7], v4, s4 src0_sel:BYTE_0 src1_sel:DWORD
	s_mov_b64 s[4:5], 0
                                        ; implicit-def: $sgpr10
	s_and_saveexec_b64 s[8:9], s[6:7]
	s_xor_b64 s[6:7], exec, s[8:9]
	s_cbranch_execnz .LBB51_2245
; %bb.197:
	s_or_saveexec_b64 s[6:7], s[6:7]
	v_mov_b32_e32 v3, s10
	s_xor_b64 exec, exec, s[6:7]
	s_cbranch_execnz .LBB51_2248
.LBB51_198:
	s_or_b64 exec, exec, s[6:7]
	s_and_saveexec_b64 s[6:7], s[4:5]
	s_cbranch_execz .LBB51_200
.LBB51_199:
	v_and_b32_e32 v3, 7, v4
	v_ffbh_u32_e32 v7, v3
	v_min_u32_e32 v7, 32, v7
	v_lshrrev_b16_e32 v6, 3, v4
	v_subrev_u32_e32 v10, 28, v7
	v_and_b32_e32 v6, 15, v6
	v_lshlrev_b32_e32 v10, v10, v4
	v_sub_u32_e32 v7, 29, v7
	v_and_b32_e32 v10, 7, v10
	v_cmp_eq_u16_e32 vcc, 0, v6
	v_cndmask_b32_e32 v3, v3, v10, vcc
	v_cndmask_b32_e32 v6, v6, v7, vcc
	v_lshlrev_b32_e32 v7, 24, v4
	v_mov_b32_e32 v10, 0x3b800000
	v_lshlrev_b32_e32 v3, 20, v3
	v_and_b32_e32 v7, 0x80000000, v7
	v_lshl_add_u32 v6, v6, 23, v10
	v_or3_b32 v3, v7, v6, v3
.LBB51_200:
	s_or_b64 exec, exec, s[6:7]
	s_nop 0
	v_mfma_f32_16x16x4f32 a[0:3], v2, v3, a[0:3]
	v_lshrrev_b32_e32 v3, 8, v8
	s_movk_i32 s4, 0x7f
	v_cmp_gt_i16_sdwa s[6:7], v3, s4 src0_sel:BYTE_0 src1_sel:DWORD
	s_mov_b64 s[4:5], 0
                                        ; implicit-def: $sgpr10
	s_and_saveexec_b64 s[8:9], s[6:7]
	s_xor_b64 s[6:7], exec, s[8:9]
	s_cbranch_execnz .LBB51_2249
; %bb.201:
	s_or_saveexec_b64 s[6:7], s[6:7]
	v_mov_b32_e32 v2, s10
	s_xor_b64 exec, exec, s[6:7]
	s_cbranch_execnz .LBB51_2252
.LBB51_202:
	s_or_b64 exec, exec, s[6:7]
	s_and_saveexec_b64 s[6:7], s[4:5]
	s_cbranch_execz .LBB51_204
.LBB51_203:
	v_bfe_u32 v2, v8, 8, 3
	v_ffbh_u32_e32 v7, v2
	v_min_u32_e32 v7, 32, v7
	v_lshrrev_b16_e32 v6, 3, v3
	v_subrev_u32_e32 v10, 28, v7
	v_and_b32_e32 v6, 15, v6
	v_lshlrev_b32_e32 v3, v10, v3
	v_sub_u32_e32 v7, 29, v7
	v_and_b32_e32 v3, 7, v3
	v_cmp_eq_u16_e32 vcc, 0, v6
	v_cndmask_b32_e32 v2, v2, v3, vcc
	v_cndmask_b32_e32 v3, v6, v7, vcc
	v_lshlrev_b32_e32 v6, 16, v8
	v_mov_b32_e32 v7, 0x3b800000
	v_lshlrev_b32_e32 v2, 20, v2
	v_and_b32_e32 v6, 0x80000000, v6
	v_lshl_add_u32 v3, v3, 23, v7
	v_or3_b32 v2, v6, v3, v2
.LBB51_204:
	s_or_b64 exec, exec, s[6:7]
	v_lshrrev_b32_e32 v3, 8, v4
	s_movk_i32 s4, 0x7f
	v_cmp_gt_i16_sdwa s[6:7], v3, s4 src0_sel:BYTE_0 src1_sel:DWORD
	s_mov_b64 s[4:5], 0
                                        ; implicit-def: $sgpr10
	s_and_saveexec_b64 s[8:9], s[6:7]
	s_xor_b64 s[6:7], exec, s[8:9]
	s_cbranch_execnz .LBB51_2253
; %bb.205:
	s_or_saveexec_b64 s[6:7], s[6:7]
	v_mov_b32_e32 v6, s10
	s_xor_b64 exec, exec, s[6:7]
	s_cbranch_execnz .LBB51_2256
.LBB51_206:
	s_or_b64 exec, exec, s[6:7]
	s_and_saveexec_b64 s[6:7], s[4:5]
	s_cbranch_execz .LBB51_208
.LBB51_207:
	v_bfe_u32 v6, v4, 8, 3
	v_ffbh_u32_e32 v10, v6
	v_min_u32_e32 v10, 32, v10
	v_lshrrev_b16_e32 v7, 3, v3
	v_subrev_u32_e32 v11, 28, v10
	v_and_b32_e32 v7, 15, v7
	v_lshlrev_b32_e32 v3, v11, v3
	v_sub_u32_e32 v10, 29, v10
	v_and_b32_e32 v3, 7, v3
	v_cmp_eq_u16_e32 vcc, 0, v7
	v_cndmask_b32_e32 v3, v6, v3, vcc
	v_cndmask_b32_e32 v6, v7, v10, vcc
	v_lshlrev_b32_e32 v7, 16, v4
	v_mov_b32_e32 v10, 0x3b800000
	v_lshlrev_b32_e32 v3, 20, v3
	v_and_b32_e32 v7, 0x80000000, v7
	v_lshl_add_u32 v6, v6, 23, v10
	v_or3_b32 v6, v7, v6, v3
.LBB51_208:
	s_or_b64 exec, exec, s[6:7]
	s_nop 0
	v_mfma_f32_16x16x4f32 a[0:3], v2, v6, a[0:3]
	s_movk_i32 s4, 0xff
	v_and_b32_sdwa v3, v8, s4 dst_sel:DWORD dst_unused:UNUSED_PAD src0_sel:WORD_1 src1_sel:DWORD
	s_movk_i32 s4, 0x7f
	v_cmp_lt_i16_e32 vcc, s4, v3
	s_mov_b64 s[4:5], 0
                                        ; implicit-def: $sgpr10
	s_and_saveexec_b64 s[6:7], vcc
	s_xor_b64 s[6:7], exec, s[6:7]
	s_cbranch_execnz .LBB51_2257
; %bb.209:
	s_or_saveexec_b64 s[6:7], s[6:7]
	v_mov_b32_e32 v2, s10
	s_xor_b64 exec, exec, s[6:7]
	s_cbranch_execnz .LBB51_2260
.LBB51_210:
	s_or_b64 exec, exec, s[6:7]
	s_and_saveexec_b64 s[6:7], s[4:5]
	s_cbranch_execz .LBB51_212
.LBB51_211:
	v_bfe_u32 v2, v8, 16, 3
	v_ffbh_u32_e32 v7, v2
	v_min_u32_e32 v7, 32, v7
	v_lshrrev_b32_e32 v3, 19, v8
	v_subrev_u32_e32 v10, 28, v7
	v_and_b32_e32 v3, 15, v3
	v_lshlrev_b32_sdwa v10, v10, v8 dst_sel:DWORD dst_unused:UNUSED_PAD src0_sel:DWORD src1_sel:WORD_1
	v_bfe_u32 v6, v8, 19, 4
	v_sub_u32_e32 v7, 29, v7
	v_and_b32_e32 v10, 7, v10
	v_cmp_eq_u16_e32 vcc, 0, v3
	v_cndmask_b32_e32 v2, v2, v10, vcc
	v_cndmask_b32_e32 v3, v6, v7, vcc
	v_lshlrev_b32_e32 v6, 8, v8
	v_mov_b32_e32 v7, 0x3b800000
	v_lshlrev_b32_e32 v2, 20, v2
	v_and_b32_e32 v6, 0x80000000, v6
	v_lshl_add_u32 v3, v3, 23, v7
	v_or3_b32 v2, v6, v3, v2
.LBB51_212:
	s_or_b64 exec, exec, s[6:7]
	s_movk_i32 s4, 0xff
	v_and_b32_sdwa v3, v4, s4 dst_sel:DWORD dst_unused:UNUSED_PAD src0_sel:WORD_1 src1_sel:DWORD
	s_movk_i32 s4, 0x7f
	v_cmp_lt_i16_e32 vcc, s4, v3
	s_mov_b64 s[4:5], 0
                                        ; implicit-def: $sgpr10
	s_and_saveexec_b64 s[6:7], vcc
	s_xor_b64 s[6:7], exec, s[6:7]
	s_cbranch_execnz .LBB51_2261
; %bb.213:
	s_or_saveexec_b64 s[6:7], s[6:7]
	v_mov_b32_e32 v6, s10
	s_xor_b64 exec, exec, s[6:7]
	s_cbranch_execnz .LBB51_2264
.LBB51_214:
	s_or_b64 exec, exec, s[6:7]
	s_and_saveexec_b64 s[6:7], s[4:5]
	s_cbranch_execz .LBB51_216
.LBB51_215:
	v_bfe_u32 v3, v4, 16, 3
	v_ffbh_u32_e32 v10, v3
	v_min_u32_e32 v10, 32, v10
	v_lshrrev_b32_e32 v6, 19, v4
	v_subrev_u32_e32 v11, 28, v10
	v_and_b32_e32 v6, 15, v6
	v_lshlrev_b32_sdwa v11, v11, v4 dst_sel:DWORD dst_unused:UNUSED_PAD src0_sel:DWORD src1_sel:WORD_1
	v_bfe_u32 v7, v4, 19, 4
	v_sub_u32_e32 v10, 29, v10
	v_and_b32_e32 v11, 7, v11
	v_cmp_eq_u16_e32 vcc, 0, v6
	v_cndmask_b32_e32 v3, v3, v11, vcc
	v_cndmask_b32_e32 v6, v7, v10, vcc
	v_lshlrev_b32_e32 v7, 8, v4
	v_mov_b32_e32 v10, 0x3b800000
	v_lshlrev_b32_e32 v3, 20, v3
	v_and_b32_e32 v7, 0x80000000, v7
	v_lshl_add_u32 v6, v6, 23, v10
	v_or3_b32 v6, v7, v6, v3
.LBB51_216:
	s_or_b64 exec, exec, s[6:7]
	s_nop 0
	v_mfma_f32_16x16x4f32 a[0:3], v2, v6, a[0:3]
	s_movk_i32 s4, 0x7f
	v_cmp_gt_i16_sdwa s[6:7], v8, s4 src0_sel:BYTE_3 src1_sel:DWORD
	s_mov_b64 s[4:5], 0
                                        ; implicit-def: $sgpr10
	s_and_saveexec_b64 s[8:9], s[6:7]
	s_xor_b64 s[6:7], exec, s[8:9]
	s_cbranch_execnz .LBB51_2265
; %bb.217:
	s_or_saveexec_b64 s[6:7], s[6:7]
	v_mov_b32_e32 v2, s10
	s_xor_b64 exec, exec, s[6:7]
	s_cbranch_execnz .LBB51_2268
.LBB51_218:
	s_or_b64 exec, exec, s[6:7]
	s_and_saveexec_b64 s[6:7], s[4:5]
	s_cbranch_execz .LBB51_220
.LBB51_219:
	v_bfe_u32 v2, v8, 24, 3
	v_ffbh_u32_e32 v10, v2
	v_min_u32_e32 v10, 32, v10
	v_lshrrev_b32_e32 v6, 27, v8
	v_subrev_u32_e32 v11, 28, v10
	v_and_b32_e32 v3, 0x80000000, v8
	v_and_b32_e32 v6, 15, v6
	v_bfe_u32 v7, v8, 27, 4
	v_lshlrev_b32_sdwa v8, v11, v8 dst_sel:DWORD dst_unused:UNUSED_PAD src0_sel:DWORD src1_sel:BYTE_3
	v_sub_u32_e32 v10, 29, v10
	v_and_b32_e32 v8, 7, v8
	v_cmp_eq_u16_e32 vcc, 0, v6
	v_cndmask_b32_e32 v2, v2, v8, vcc
	v_cndmask_b32_e32 v6, v7, v10, vcc
	v_mov_b32_e32 v7, 0x3b800000
	v_lshlrev_b32_e32 v2, 20, v2
	v_lshl_add_u32 v6, v6, 23, v7
	v_or3_b32 v2, v3, v6, v2
.LBB51_220:
	s_or_b64 exec, exec, s[6:7]
	s_movk_i32 s4, 0x7f
	v_cmp_gt_i16_sdwa s[6:7], v4, s4 src0_sel:BYTE_3 src1_sel:DWORD
	s_mov_b64 s[4:5], 0
                                        ; implicit-def: $sgpr10
	s_and_saveexec_b64 s[8:9], s[6:7]
	s_xor_b64 s[6:7], exec, s[8:9]
	s_cbranch_execnz .LBB51_2269
; %bb.221:
	s_or_saveexec_b64 s[6:7], s[6:7]
	v_mov_b32_e32 v3, s10
	s_xor_b64 exec, exec, s[6:7]
	s_cbranch_execnz .LBB51_2272
.LBB51_222:
	s_or_b64 exec, exec, s[6:7]
	s_and_saveexec_b64 s[6:7], s[4:5]
	s_cbranch_execz .LBB51_224
.LBB51_223:
	v_bfe_u32 v3, v4, 24, 3
	v_ffbh_u32_e32 v10, v3
	v_min_u32_e32 v10, 32, v10
	v_lshrrev_b32_e32 v7, 27, v4
	v_subrev_u32_e32 v11, 28, v10
	v_and_b32_e32 v6, 0x80000000, v4
	v_and_b32_e32 v7, 15, v7
	v_bfe_u32 v8, v4, 27, 4
	v_lshlrev_b32_sdwa v4, v11, v4 dst_sel:DWORD dst_unused:UNUSED_PAD src0_sel:DWORD src1_sel:BYTE_3
	v_sub_u32_e32 v10, 29, v10
	v_and_b32_e32 v4, 7, v4
	v_cmp_eq_u16_e32 vcc, 0, v7
	v_cndmask_b32_e32 v3, v3, v4, vcc
	v_cndmask_b32_e32 v4, v8, v10, vcc
	v_mov_b32_e32 v7, 0x3b800000
	v_lshlrev_b32_e32 v3, 20, v3
	v_lshl_add_u32 v4, v4, 23, v7
	v_or3_b32 v3, v6, v4, v3
.LBB51_224:
	s_or_b64 exec, exec, s[6:7]
	s_nop 0
	v_mfma_f32_16x16x4f32 a[0:3], v2, v3, a[0:3]
	s_movk_i32 s4, 0x7f
	v_cmp_gt_i16_sdwa s[6:7], v9, s4 src0_sel:BYTE_0 src1_sel:DWORD
	s_mov_b64 s[4:5], 0
                                        ; implicit-def: $sgpr10
	s_and_saveexec_b64 s[8:9], s[6:7]
	s_xor_b64 s[6:7], exec, s[8:9]
	s_cbranch_execnz .LBB51_2273
; %bb.225:
	s_or_saveexec_b64 s[6:7], s[6:7]
	v_mov_b32_e32 v2, s10
	s_xor_b64 exec, exec, s[6:7]
	s_cbranch_execnz .LBB51_2276
.LBB51_226:
	s_or_b64 exec, exec, s[6:7]
	s_and_saveexec_b64 s[6:7], s[4:5]
	s_cbranch_execz .LBB51_228
.LBB51_227:
	v_mov_b32_e32 v2, 8
	v_and_b32_e32 v3, 7, v9
	v_lshrrev_b32_sdwa v2, v2, v9 dst_sel:BYTE_1 dst_unused:UNUSED_PAD src0_sel:DWORD src1_sel:DWORD
	v_ffbh_u32_e32 v4, v3
	v_or_b32_sdwa v2, v9, v2 dst_sel:DWORD dst_unused:UNUSED_PAD src0_sel:BYTE_0 src1_sel:DWORD
	v_min_u32_e32 v4, 32, v4
	v_lshrrev_b16_e32 v2, 3, v2
	v_subrev_u32_e32 v6, 28, v4
	v_and_b32_e32 v2, 15, v2
	v_lshlrev_b32_e32 v6, v6, v9
	v_sub_u32_e32 v4, 29, v4
	v_and_b32_e32 v6, 7, v6
	v_cmp_eq_u16_e32 vcc, 0, v2
	v_cndmask_b32_e32 v3, v3, v6, vcc
	v_cndmask_b32_e32 v2, v2, v4, vcc
	v_lshlrev_b32_e32 v4, 24, v9
	v_mov_b32_e32 v6, 0x3b800000
	v_lshlrev_b32_e32 v3, 20, v3
	v_and_b32_e32 v4, 0x80000000, v4
	v_lshl_add_u32 v2, v2, 23, v6
	v_or3_b32 v2, v4, v2, v3
.LBB51_228:
	s_or_b64 exec, exec, s[6:7]
	s_movk_i32 s4, 0x7f
	v_cmp_gt_i16_sdwa s[6:7], v5, s4 src0_sel:BYTE_0 src1_sel:DWORD
	s_mov_b64 s[4:5], 0
                                        ; implicit-def: $sgpr10
	s_and_saveexec_b64 s[8:9], s[6:7]
	s_xor_b64 s[6:7], exec, s[8:9]
	s_cbranch_execnz .LBB51_2277
; %bb.229:
	s_or_saveexec_b64 s[6:7], s[6:7]
	v_mov_b32_e32 v3, s10
	s_xor_b64 exec, exec, s[6:7]
	s_cbranch_execnz .LBB51_2280
.LBB51_230:
	s_or_b64 exec, exec, s[6:7]
	s_and_saveexec_b64 s[6:7], s[4:5]
	s_cbranch_execz .LBB51_232
.LBB51_231:
	v_mov_b32_e32 v3, 8
	v_and_b32_e32 v4, 7, v5
	v_lshrrev_b32_sdwa v3, v3, v5 dst_sel:BYTE_1 dst_unused:UNUSED_PAD src0_sel:DWORD src1_sel:DWORD
	v_ffbh_u32_e32 v6, v4
	v_or_b32_sdwa v3, v5, v3 dst_sel:DWORD dst_unused:UNUSED_PAD src0_sel:BYTE_0 src1_sel:DWORD
	v_min_u32_e32 v6, 32, v6
	v_lshrrev_b16_e32 v3, 3, v3
	v_subrev_u32_e32 v7, 28, v6
	v_and_b32_e32 v3, 15, v3
	v_lshlrev_b32_e32 v7, v7, v5
	v_sub_u32_e32 v6, 29, v6
	v_and_b32_e32 v7, 7, v7
	v_cmp_eq_u16_e32 vcc, 0, v3
	v_cndmask_b32_e32 v4, v4, v7, vcc
	v_cndmask_b32_e32 v3, v3, v6, vcc
	v_lshlrev_b32_e32 v6, 24, v5
	v_mov_b32_e32 v7, 0x3b800000
	v_lshlrev_b32_e32 v4, 20, v4
	v_and_b32_e32 v6, 0x80000000, v6
	v_lshl_add_u32 v3, v3, 23, v7
	v_or3_b32 v3, v6, v3, v4
.LBB51_232:
	s_or_b64 exec, exec, s[6:7]
	s_nop 0
	v_mfma_f32_16x16x4f32 a[0:3], v2, v3, a[0:3]
	v_lshrrev_b32_e32 v3, 8, v9
	s_movk_i32 s4, 0x7f
	v_cmp_gt_i16_sdwa s[6:7], v3, s4 src0_sel:BYTE_0 src1_sel:DWORD
	s_mov_b64 s[4:5], 0
                                        ; implicit-def: $sgpr10
	s_and_saveexec_b64 s[8:9], s[6:7]
	s_xor_b64 s[6:7], exec, s[8:9]
	s_cbranch_execnz .LBB51_2281
; %bb.233:
	s_or_saveexec_b64 s[6:7], s[6:7]
	v_mov_b32_e32 v2, s10
	s_xor_b64 exec, exec, s[6:7]
	s_cbranch_execnz .LBB51_2284
.LBB51_234:
	s_or_b64 exec, exec, s[6:7]
	s_and_saveexec_b64 s[6:7], s[4:5]
	s_cbranch_execz .LBB51_236
.LBB51_235:
	v_bfe_u32 v2, v9, 8, 3
	v_ffbh_u32_e32 v6, v2
	v_min_u32_e32 v6, 32, v6
	v_lshrrev_b16_e32 v4, 3, v3
	v_subrev_u32_e32 v7, 28, v6
	v_and_b32_e32 v4, 15, v4
	v_lshlrev_b32_e32 v3, v7, v3
	v_sub_u32_e32 v6, 29, v6
	v_and_b32_e32 v3, 7, v3
	v_cmp_eq_u16_e32 vcc, 0, v4
	v_cndmask_b32_e32 v2, v2, v3, vcc
	v_cndmask_b32_e32 v3, v4, v6, vcc
	v_lshlrev_b32_e32 v4, 16, v9
	v_mov_b32_e32 v6, 0x3b800000
	v_lshlrev_b32_e32 v2, 20, v2
	v_and_b32_e32 v4, 0x80000000, v4
	v_lshl_add_u32 v3, v3, 23, v6
	v_or3_b32 v2, v4, v3, v2
.LBB51_236:
	s_or_b64 exec, exec, s[6:7]
	v_lshrrev_b32_e32 v3, 8, v5
	s_movk_i32 s4, 0x7f
	v_cmp_gt_i16_sdwa s[6:7], v3, s4 src0_sel:BYTE_0 src1_sel:DWORD
	s_mov_b64 s[4:5], 0
                                        ; implicit-def: $sgpr10
	s_and_saveexec_b64 s[8:9], s[6:7]
	s_xor_b64 s[6:7], exec, s[8:9]
	s_cbranch_execnz .LBB51_2285
; %bb.237:
	s_or_saveexec_b64 s[6:7], s[6:7]
	v_mov_b32_e32 v4, s10
	s_xor_b64 exec, exec, s[6:7]
	s_cbranch_execnz .LBB51_2288
.LBB51_238:
	s_or_b64 exec, exec, s[6:7]
	s_and_saveexec_b64 s[6:7], s[4:5]
	s_cbranch_execz .LBB51_240
.LBB51_239:
	v_bfe_u32 v4, v5, 8, 3
	v_ffbh_u32_e32 v7, v4
	v_min_u32_e32 v7, 32, v7
	v_lshrrev_b16_e32 v6, 3, v3
	v_subrev_u32_e32 v8, 28, v7
	v_and_b32_e32 v6, 15, v6
	v_lshlrev_b32_e32 v3, v8, v3
	v_sub_u32_e32 v7, 29, v7
	v_and_b32_e32 v3, 7, v3
	v_cmp_eq_u16_e32 vcc, 0, v6
	v_cndmask_b32_e32 v3, v4, v3, vcc
	v_cndmask_b32_e32 v4, v6, v7, vcc
	v_lshlrev_b32_e32 v6, 16, v5
	v_mov_b32_e32 v7, 0x3b800000
	v_lshlrev_b32_e32 v3, 20, v3
	v_and_b32_e32 v6, 0x80000000, v6
	v_lshl_add_u32 v4, v4, 23, v7
	v_or3_b32 v4, v6, v4, v3
.LBB51_240:
	s_or_b64 exec, exec, s[6:7]
	s_nop 0
	v_mfma_f32_16x16x4f32 a[0:3], v2, v4, a[0:3]
	s_movk_i32 s4, 0xff
	v_and_b32_sdwa v3, v9, s4 dst_sel:DWORD dst_unused:UNUSED_PAD src0_sel:WORD_1 src1_sel:DWORD
	s_movk_i32 s4, 0x7f
	v_cmp_lt_i16_e32 vcc, s4, v3
	s_mov_b64 s[4:5], 0
                                        ; implicit-def: $sgpr10
	s_and_saveexec_b64 s[6:7], vcc
	s_xor_b64 s[6:7], exec, s[6:7]
	s_cbranch_execnz .LBB51_2289
; %bb.241:
	s_or_saveexec_b64 s[6:7], s[6:7]
	v_mov_b32_e32 v2, s10
	s_xor_b64 exec, exec, s[6:7]
	s_cbranch_execnz .LBB51_2292
.LBB51_242:
	s_or_b64 exec, exec, s[6:7]
	s_and_saveexec_b64 s[6:7], s[4:5]
	s_cbranch_execz .LBB51_244
.LBB51_243:
	v_bfe_u32 v2, v9, 16, 3
	v_ffbh_u32_e32 v6, v2
	v_min_u32_e32 v6, 32, v6
	v_lshrrev_b32_e32 v3, 19, v9
	v_subrev_u32_e32 v7, 28, v6
	v_and_b32_e32 v3, 15, v3
	v_lshlrev_b32_sdwa v7, v7, v9 dst_sel:DWORD dst_unused:UNUSED_PAD src0_sel:DWORD src1_sel:WORD_1
	v_bfe_u32 v4, v9, 19, 4
	v_sub_u32_e32 v6, 29, v6
	v_and_b32_e32 v7, 7, v7
	v_cmp_eq_u16_e32 vcc, 0, v3
	v_cndmask_b32_e32 v2, v2, v7, vcc
	v_cndmask_b32_e32 v3, v4, v6, vcc
	v_lshlrev_b32_e32 v4, 8, v9
	v_mov_b32_e32 v6, 0x3b800000
	v_lshlrev_b32_e32 v2, 20, v2
	v_and_b32_e32 v4, 0x80000000, v4
	v_lshl_add_u32 v3, v3, 23, v6
	v_or3_b32 v2, v4, v3, v2
.LBB51_244:
	s_or_b64 exec, exec, s[6:7]
	s_movk_i32 s4, 0xff
	v_and_b32_sdwa v3, v5, s4 dst_sel:DWORD dst_unused:UNUSED_PAD src0_sel:WORD_1 src1_sel:DWORD
	s_movk_i32 s4, 0x7f
	v_cmp_lt_i16_e32 vcc, s4, v3
	s_mov_b64 s[4:5], 0
                                        ; implicit-def: $sgpr10
	s_and_saveexec_b64 s[6:7], vcc
	s_xor_b64 s[6:7], exec, s[6:7]
	s_cbranch_execnz .LBB51_2293
; %bb.245:
	s_or_saveexec_b64 s[6:7], s[6:7]
	v_mov_b32_e32 v4, s10
	s_xor_b64 exec, exec, s[6:7]
	s_cbranch_execnz .LBB51_2296
.LBB51_246:
	s_or_b64 exec, exec, s[6:7]
	s_and_saveexec_b64 s[6:7], s[4:5]
	s_cbranch_execz .LBB51_248
.LBB51_247:
	v_bfe_u32 v3, v5, 16, 3
	v_ffbh_u32_e32 v7, v3
	v_min_u32_e32 v7, 32, v7
	v_lshrrev_b32_e32 v4, 19, v5
	v_subrev_u32_e32 v8, 28, v7
	v_and_b32_e32 v4, 15, v4
	v_lshlrev_b32_sdwa v8, v8, v5 dst_sel:DWORD dst_unused:UNUSED_PAD src0_sel:DWORD src1_sel:WORD_1
	v_bfe_u32 v6, v5, 19, 4
	v_sub_u32_e32 v7, 29, v7
	v_and_b32_e32 v8, 7, v8
	v_cmp_eq_u16_e32 vcc, 0, v4
	v_cndmask_b32_e32 v3, v3, v8, vcc
	v_cndmask_b32_e32 v4, v6, v7, vcc
	v_lshlrev_b32_e32 v6, 8, v5
	v_mov_b32_e32 v7, 0x3b800000
	v_lshlrev_b32_e32 v3, 20, v3
	v_and_b32_e32 v6, 0x80000000, v6
	v_lshl_add_u32 v4, v4, 23, v7
	v_or3_b32 v4, v6, v4, v3
.LBB51_248:
	s_or_b64 exec, exec, s[6:7]
	s_nop 0
	v_mfma_f32_16x16x4f32 a[0:3], v2, v4, a[0:3]
	s_movk_i32 s4, 0x7f
	v_cmp_gt_i16_sdwa s[6:7], v9, s4 src0_sel:BYTE_3 src1_sel:DWORD
	s_mov_b64 s[4:5], 0
                                        ; implicit-def: $sgpr10
	s_and_saveexec_b64 s[8:9], s[6:7]
	s_xor_b64 s[6:7], exec, s[8:9]
	s_cbranch_execnz .LBB51_2297
; %bb.249:
	s_or_saveexec_b64 s[6:7], s[6:7]
	v_mov_b32_e32 v2, s10
	s_xor_b64 exec, exec, s[6:7]
	s_cbranch_execnz .LBB51_2300
.LBB51_250:
	s_or_b64 exec, exec, s[6:7]
	s_and_saveexec_b64 s[6:7], s[4:5]
	s_cbranch_execz .LBB51_252
.LBB51_251:
	v_bfe_u32 v2, v9, 24, 3
	v_ffbh_u32_e32 v7, v2
	v_min_u32_e32 v7, 32, v7
	v_lshrrev_b32_e32 v4, 27, v9
	v_subrev_u32_e32 v8, 28, v7
	v_and_b32_e32 v4, 15, v4
	v_lshlrev_b32_sdwa v8, v8, v9 dst_sel:DWORD dst_unused:UNUSED_PAD src0_sel:DWORD src1_sel:BYTE_3
	v_bfe_u32 v6, v9, 27, 4
	v_sub_u32_e32 v7, 29, v7
	v_and_b32_e32 v8, 7, v8
	v_cmp_eq_u16_e32 vcc, 0, v4
	v_cndmask_b32_e32 v2, v2, v8, vcc
	v_cndmask_b32_e32 v4, v6, v7, vcc
	v_mov_b32_e32 v6, 0x3b800000
	v_and_b32_e32 v3, 0x80000000, v9
	v_lshlrev_b32_e32 v2, 20, v2
	v_lshl_add_u32 v4, v4, 23, v6
	v_or3_b32 v2, v3, v4, v2
.LBB51_252:
	s_or_b64 exec, exec, s[6:7]
	s_movk_i32 s4, 0x7f
	v_cmp_gt_i16_sdwa s[6:7], v5, s4 src0_sel:BYTE_3 src1_sel:DWORD
	s_mov_b64 s[4:5], 0
                                        ; implicit-def: $sgpr10
	s_and_saveexec_b64 s[8:9], s[6:7]
	s_xor_b64 s[6:7], exec, s[8:9]
	s_cbranch_execnz .LBB51_2301
; %bb.253:
	s_or_saveexec_b64 s[6:7], s[6:7]
	v_mov_b32_e32 v3, s10
	s_xor_b64 exec, exec, s[6:7]
	s_cbranch_execnz .LBB51_2304
.LBB51_254:
	s_or_b64 exec, exec, s[6:7]
	s_and_saveexec_b64 s[6:7], s[4:5]
	s_cbranch_execz .LBB51_256
.LBB51_255:
	v_bfe_u32 v3, v5, 24, 3
	v_ffbh_u32_e32 v8, v3
	v_min_u32_e32 v8, 32, v8
	v_lshrrev_b32_e32 v6, 27, v5
	v_subrev_u32_e32 v9, 28, v8
	v_and_b32_e32 v4, 0x80000000, v5
	v_and_b32_e32 v6, 15, v6
	v_bfe_u32 v7, v5, 27, 4
	v_lshlrev_b32_sdwa v5, v9, v5 dst_sel:DWORD dst_unused:UNUSED_PAD src0_sel:DWORD src1_sel:BYTE_3
	v_sub_u32_e32 v8, 29, v8
	v_and_b32_e32 v5, 7, v5
	v_cmp_eq_u16_e32 vcc, 0, v6
	v_cndmask_b32_e32 v3, v3, v5, vcc
	v_cndmask_b32_e32 v5, v7, v8, vcc
	v_mov_b32_e32 v6, 0x3b800000
	v_lshlrev_b32_e32 v3, 20, v3
	v_lshl_add_u32 v5, v5, 23, v6
	v_or3_b32 v3, v4, v5, v3
.LBB51_256:
	s_or_b64 exec, exec, s[6:7]
	s_nop 0
	v_mfma_f32_16x16x4f32 a[0:3], v2, v3, a[0:3]
	s_movk_i32 s4, 0x7f
                                        ; implicit-def: $sgpr10
	s_nop 7
	s_nop 1
	flat_store_dwordx4 v[18:19], a[0:3] offset:896
	flat_load_dwordx4 v[20:23], v[0:1] offset:8
	s_nop 0
	flat_load_dwordx2 v[18:19], v[0:1] offset:24
	s_waitcnt vmcnt(0) lgkmcnt(0)
	flat_load_dwordx4 v[14:17], v[20:21] offset:32
	flat_load_dwordx4 v[10:13], v[22:23] offset:32
	;; [unrolled: 1-line block ×4, first 2 shown]
	s_waitcnt vmcnt(0) lgkmcnt(0)
	v_cmp_gt_i16_sdwa s[6:7], v14, s4 src0_sel:BYTE_0 src1_sel:DWORD
	s_mov_b64 s[4:5], 0
	s_and_saveexec_b64 s[8:9], s[6:7]
	s_xor_b64 s[6:7], exec, s[8:9]
	s_cbranch_execnz .LBB51_2305
; %bb.257:
	s_or_saveexec_b64 s[6:7], s[6:7]
	v_mov_b32_e32 v20, s10
	s_xor_b64 exec, exec, s[6:7]
	s_cbranch_execnz .LBB51_2308
.LBB51_258:
	s_or_b64 exec, exec, s[6:7]
	s_and_saveexec_b64 s[6:7], s[4:5]
	s_cbranch_execz .LBB51_260
.LBB51_259:
	v_and_b32_e32 v20, 7, v14
	v_ffbh_u32_e32 v22, v20
	v_min_u32_e32 v22, 32, v22
	v_lshrrev_b16_e32 v21, 3, v14
	v_subrev_u32_e32 v23, 28, v22
	v_and_b32_e32 v21, 15, v21
	v_lshlrev_b32_e32 v23, v23, v14
	v_sub_u32_e32 v22, 29, v22
	v_and_b32_e32 v23, 7, v23
	v_cmp_eq_u16_e32 vcc, 0, v21
	v_cndmask_b32_e32 v20, v20, v23, vcc
	v_cndmask_b32_e32 v21, v21, v22, vcc
	v_lshlrev_b32_e32 v22, 24, v14
	v_mov_b32_e32 v23, 0x3b800000
	v_lshlrev_b32_e32 v20, 20, v20
	v_and_b32_e32 v22, 0x80000000, v22
	v_lshl_add_u32 v21, v21, 23, v23
	v_or3_b32 v20, v22, v21, v20
.LBB51_260:
	s_or_b64 exec, exec, s[6:7]
	s_movk_i32 s4, 0x7f
	v_cmp_gt_i16_sdwa s[6:7], v10, s4 src0_sel:BYTE_0 src1_sel:DWORD
	s_mov_b64 s[4:5], 0
                                        ; implicit-def: $sgpr10
	s_and_saveexec_b64 s[8:9], s[6:7]
	s_xor_b64 s[6:7], exec, s[8:9]
	s_cbranch_execnz .LBB51_2309
; %bb.261:
	s_or_saveexec_b64 s[6:7], s[6:7]
	v_mov_b32_e32 v21, s10
	s_xor_b64 exec, exec, s[6:7]
	s_cbranch_execnz .LBB51_2312
.LBB51_262:
	s_or_b64 exec, exec, s[6:7]
	s_and_saveexec_b64 s[6:7], s[4:5]
	s_cbranch_execz .LBB51_264
.LBB51_263:
	v_and_b32_e32 v21, 7, v10
	v_ffbh_u32_e32 v23, v21
	v_min_u32_e32 v23, 32, v23
	v_lshrrev_b16_e32 v22, 3, v10
	v_subrev_u32_e32 v24, 28, v23
	v_and_b32_e32 v22, 15, v22
	v_lshlrev_b32_e32 v24, v24, v10
	v_sub_u32_e32 v23, 29, v23
	v_and_b32_e32 v24, 7, v24
	v_cmp_eq_u16_e32 vcc, 0, v22
	v_cndmask_b32_e32 v21, v21, v24, vcc
	v_cndmask_b32_e32 v22, v22, v23, vcc
	v_lshlrev_b32_e32 v23, 24, v10
	v_mov_b32_e32 v24, 0x3b800000
	v_lshlrev_b32_e32 v21, 20, v21
	v_and_b32_e32 v23, 0x80000000, v23
	v_lshl_add_u32 v22, v22, 23, v24
	v_or3_b32 v21, v23, v22, v21
.LBB51_264:
	s_or_b64 exec, exec, s[6:7]
	flat_load_dwordx4 a[0:3], v[18:19] offset:912
	s_movk_i32 s4, 0x7f
                                        ; implicit-def: $sgpr10
	s_waitcnt vmcnt(0) lgkmcnt(0)
	v_mfma_f32_16x16x4f32 a[0:3], v20, v21, a[0:3]
	v_lshrrev_b32_e32 v21, 8, v14
	v_cmp_gt_i16_sdwa s[6:7], v21, s4 src0_sel:BYTE_0 src1_sel:DWORD
	s_mov_b64 s[4:5], 0
	s_and_saveexec_b64 s[8:9], s[6:7]
	s_xor_b64 s[6:7], exec, s[8:9]
	s_cbranch_execnz .LBB51_2313
; %bb.265:
	s_or_saveexec_b64 s[6:7], s[6:7]
	v_mov_b32_e32 v20, s10
	s_xor_b64 exec, exec, s[6:7]
	s_cbranch_execnz .LBB51_2316
.LBB51_266:
	s_or_b64 exec, exec, s[6:7]
	s_and_saveexec_b64 s[6:7], s[4:5]
	s_cbranch_execz .LBB51_268
.LBB51_267:
	v_bfe_u32 v20, v14, 8, 3
	v_ffbh_u32_e32 v23, v20
	v_min_u32_e32 v23, 32, v23
	v_lshrrev_b16_e32 v22, 3, v21
	v_subrev_u32_e32 v24, 28, v23
	v_and_b32_e32 v22, 15, v22
	v_lshlrev_b32_e32 v21, v24, v21
	v_sub_u32_e32 v23, 29, v23
	v_and_b32_e32 v21, 7, v21
	v_cmp_eq_u16_e32 vcc, 0, v22
	v_cndmask_b32_e32 v20, v20, v21, vcc
	v_cndmask_b32_e32 v21, v22, v23, vcc
	v_lshlrev_b32_e32 v22, 16, v14
	v_mov_b32_e32 v23, 0x3b800000
	v_lshlrev_b32_e32 v20, 20, v20
	v_and_b32_e32 v22, 0x80000000, v22
	v_lshl_add_u32 v21, v21, 23, v23
	v_or3_b32 v20, v22, v21, v20
.LBB51_268:
	s_or_b64 exec, exec, s[6:7]
	v_lshrrev_b32_e32 v21, 8, v10
	s_movk_i32 s4, 0x7f
	v_cmp_gt_i16_sdwa s[6:7], v21, s4 src0_sel:BYTE_0 src1_sel:DWORD
	s_mov_b64 s[4:5], 0
                                        ; implicit-def: $sgpr10
	s_and_saveexec_b64 s[8:9], s[6:7]
	s_xor_b64 s[6:7], exec, s[8:9]
	s_cbranch_execnz .LBB51_2317
; %bb.269:
	s_or_saveexec_b64 s[6:7], s[6:7]
	v_mov_b32_e32 v22, s10
	s_xor_b64 exec, exec, s[6:7]
	s_cbranch_execnz .LBB51_2320
.LBB51_270:
	s_or_b64 exec, exec, s[6:7]
	s_and_saveexec_b64 s[6:7], s[4:5]
	s_cbranch_execz .LBB51_272
.LBB51_271:
	v_bfe_u32 v22, v10, 8, 3
	v_ffbh_u32_e32 v24, v22
	v_min_u32_e32 v24, 32, v24
	v_lshrrev_b16_e32 v23, 3, v21
	v_subrev_u32_e32 v25, 28, v24
	v_and_b32_e32 v23, 15, v23
	v_lshlrev_b32_e32 v21, v25, v21
	v_sub_u32_e32 v24, 29, v24
	v_and_b32_e32 v21, 7, v21
	v_cmp_eq_u16_e32 vcc, 0, v23
	v_cndmask_b32_e32 v21, v22, v21, vcc
	v_cndmask_b32_e32 v22, v23, v24, vcc
	v_lshlrev_b32_e32 v23, 16, v10
	v_mov_b32_e32 v24, 0x3b800000
	v_lshlrev_b32_e32 v21, 20, v21
	v_and_b32_e32 v23, 0x80000000, v23
	v_lshl_add_u32 v22, v22, 23, v24
	v_or3_b32 v22, v23, v22, v21
.LBB51_272:
	s_or_b64 exec, exec, s[6:7]
	s_nop 0
	v_mfma_f32_16x16x4f32 a[0:3], v20, v22, a[0:3]
	s_movk_i32 s4, 0xff
	v_and_b32_sdwa v21, v14, s4 dst_sel:DWORD dst_unused:UNUSED_PAD src0_sel:WORD_1 src1_sel:DWORD
	s_movk_i32 s4, 0x7f
	v_cmp_lt_i16_e32 vcc, s4, v21
	s_mov_b64 s[4:5], 0
                                        ; implicit-def: $sgpr10
	s_and_saveexec_b64 s[6:7], vcc
	s_xor_b64 s[6:7], exec, s[6:7]
	s_cbranch_execnz .LBB51_2321
; %bb.273:
	s_or_saveexec_b64 s[6:7], s[6:7]
	v_mov_b32_e32 v20, s10
	s_xor_b64 exec, exec, s[6:7]
	s_cbranch_execnz .LBB51_2324
.LBB51_274:
	s_or_b64 exec, exec, s[6:7]
	s_and_saveexec_b64 s[6:7], s[4:5]
	s_cbranch_execz .LBB51_276
.LBB51_275:
	v_bfe_u32 v20, v14, 16, 3
	v_ffbh_u32_e32 v23, v20
	v_min_u32_e32 v23, 32, v23
	v_lshrrev_b32_e32 v21, 19, v14
	v_subrev_u32_e32 v24, 28, v23
	v_and_b32_e32 v21, 15, v21
	v_lshlrev_b32_sdwa v24, v24, v14 dst_sel:DWORD dst_unused:UNUSED_PAD src0_sel:DWORD src1_sel:WORD_1
	v_bfe_u32 v22, v14, 19, 4
	v_sub_u32_e32 v23, 29, v23
	v_and_b32_e32 v24, 7, v24
	v_cmp_eq_u16_e32 vcc, 0, v21
	v_cndmask_b32_e32 v20, v20, v24, vcc
	v_cndmask_b32_e32 v21, v22, v23, vcc
	v_lshlrev_b32_e32 v22, 8, v14
	v_mov_b32_e32 v23, 0x3b800000
	v_lshlrev_b32_e32 v20, 20, v20
	v_and_b32_e32 v22, 0x80000000, v22
	v_lshl_add_u32 v21, v21, 23, v23
	v_or3_b32 v20, v22, v21, v20
.LBB51_276:
	s_or_b64 exec, exec, s[6:7]
	s_movk_i32 s4, 0xff
	v_and_b32_sdwa v21, v10, s4 dst_sel:DWORD dst_unused:UNUSED_PAD src0_sel:WORD_1 src1_sel:DWORD
	s_movk_i32 s4, 0x7f
	v_cmp_lt_i16_e32 vcc, s4, v21
	s_mov_b64 s[4:5], 0
                                        ; implicit-def: $sgpr10
	s_and_saveexec_b64 s[6:7], vcc
	s_xor_b64 s[6:7], exec, s[6:7]
	s_cbranch_execnz .LBB51_2325
; %bb.277:
	s_or_saveexec_b64 s[6:7], s[6:7]
	v_mov_b32_e32 v22, s10
	s_xor_b64 exec, exec, s[6:7]
	s_cbranch_execnz .LBB51_2328
.LBB51_278:
	s_or_b64 exec, exec, s[6:7]
	s_and_saveexec_b64 s[6:7], s[4:5]
	s_cbranch_execz .LBB51_280
.LBB51_279:
	v_bfe_u32 v21, v10, 16, 3
	v_ffbh_u32_e32 v24, v21
	v_min_u32_e32 v24, 32, v24
	v_lshrrev_b32_e32 v22, 19, v10
	v_subrev_u32_e32 v25, 28, v24
	v_and_b32_e32 v22, 15, v22
	v_lshlrev_b32_sdwa v25, v25, v10 dst_sel:DWORD dst_unused:UNUSED_PAD src0_sel:DWORD src1_sel:WORD_1
	v_bfe_u32 v23, v10, 19, 4
	v_sub_u32_e32 v24, 29, v24
	v_and_b32_e32 v25, 7, v25
	v_cmp_eq_u16_e32 vcc, 0, v22
	v_cndmask_b32_e32 v21, v21, v25, vcc
	v_cndmask_b32_e32 v22, v23, v24, vcc
	v_lshlrev_b32_e32 v23, 8, v10
	v_mov_b32_e32 v24, 0x3b800000
	v_lshlrev_b32_e32 v21, 20, v21
	v_and_b32_e32 v23, 0x80000000, v23
	v_lshl_add_u32 v22, v22, 23, v24
	v_or3_b32 v22, v23, v22, v21
.LBB51_280:
	s_or_b64 exec, exec, s[6:7]
	s_nop 0
	v_mfma_f32_16x16x4f32 a[0:3], v20, v22, a[0:3]
	s_movk_i32 s4, 0x7f
	v_cmp_gt_i16_sdwa s[6:7], v14, s4 src0_sel:BYTE_3 src1_sel:DWORD
	s_mov_b64 s[4:5], 0
                                        ; implicit-def: $sgpr10
	s_and_saveexec_b64 s[8:9], s[6:7]
	s_xor_b64 s[6:7], exec, s[8:9]
	s_cbranch_execnz .LBB51_2329
; %bb.281:
	s_or_saveexec_b64 s[6:7], s[6:7]
	v_mov_b32_e32 v20, s10
	s_xor_b64 exec, exec, s[6:7]
	s_cbranch_execnz .LBB51_2332
.LBB51_282:
	s_or_b64 exec, exec, s[6:7]
	s_and_saveexec_b64 s[6:7], s[4:5]
	s_cbranch_execz .LBB51_284
.LBB51_283:
	v_bfe_u32 v20, v14, 24, 3
	v_ffbh_u32_e32 v24, v20
	v_min_u32_e32 v24, 32, v24
	v_lshrrev_b32_e32 v22, 27, v14
	v_subrev_u32_e32 v25, 28, v24
	v_and_b32_e32 v21, 0x80000000, v14
	v_and_b32_e32 v22, 15, v22
	v_bfe_u32 v23, v14, 27, 4
	v_lshlrev_b32_sdwa v14, v25, v14 dst_sel:DWORD dst_unused:UNUSED_PAD src0_sel:DWORD src1_sel:BYTE_3
	v_sub_u32_e32 v24, 29, v24
	v_and_b32_e32 v14, 7, v14
	v_cmp_eq_u16_e32 vcc, 0, v22
	v_cndmask_b32_e32 v14, v20, v14, vcc
	v_cndmask_b32_e32 v20, v23, v24, vcc
	v_mov_b32_e32 v22, 0x3b800000
	v_lshlrev_b32_e32 v14, 20, v14
	v_lshl_add_u32 v20, v20, 23, v22
	v_or3_b32 v20, v21, v20, v14
.LBB51_284:
	s_or_b64 exec, exec, s[6:7]
	s_movk_i32 s4, 0x7f
	v_cmp_gt_i16_sdwa s[6:7], v10, s4 src0_sel:BYTE_3 src1_sel:DWORD
	s_mov_b64 s[4:5], 0
                                        ; implicit-def: $sgpr10
	s_and_saveexec_b64 s[8:9], s[6:7]
	s_xor_b64 s[6:7], exec, s[8:9]
	s_cbranch_execnz .LBB51_2333
; %bb.285:
	s_or_saveexec_b64 s[6:7], s[6:7]
	v_mov_b32_e32 v14, s10
	s_xor_b64 exec, exec, s[6:7]
	s_cbranch_execnz .LBB51_2336
.LBB51_286:
	s_or_b64 exec, exec, s[6:7]
	s_and_saveexec_b64 s[6:7], s[4:5]
	s_cbranch_execz .LBB51_288
.LBB51_287:
	v_bfe_u32 v14, v10, 24, 3
	v_ffbh_u32_e32 v24, v14
	v_min_u32_e32 v24, 32, v24
	v_lshrrev_b32_e32 v22, 27, v10
	v_subrev_u32_e32 v25, 28, v24
	v_and_b32_e32 v21, 0x80000000, v10
	v_and_b32_e32 v22, 15, v22
	v_bfe_u32 v23, v10, 27, 4
	v_lshlrev_b32_sdwa v10, v25, v10 dst_sel:DWORD dst_unused:UNUSED_PAD src0_sel:DWORD src1_sel:BYTE_3
	v_sub_u32_e32 v24, 29, v24
	v_and_b32_e32 v10, 7, v10
	v_cmp_eq_u16_e32 vcc, 0, v22
	v_cndmask_b32_e32 v10, v14, v10, vcc
	v_cndmask_b32_e32 v14, v23, v24, vcc
	v_mov_b32_e32 v22, 0x3b800000
	v_lshlrev_b32_e32 v10, 20, v10
	v_lshl_add_u32 v14, v14, 23, v22
	v_or3_b32 v14, v21, v14, v10
.LBB51_288:
	s_or_b64 exec, exec, s[6:7]
	s_nop 0
	v_mfma_f32_16x16x4f32 a[0:3], v20, v14, a[0:3]
	s_movk_i32 s4, 0x7f
	v_cmp_gt_i16_sdwa s[6:7], v15, s4 src0_sel:BYTE_0 src1_sel:DWORD
	s_mov_b64 s[4:5], 0
                                        ; implicit-def: $sgpr10
	s_and_saveexec_b64 s[8:9], s[6:7]
	s_xor_b64 s[6:7], exec, s[8:9]
	s_cbranch_execnz .LBB51_2337
; %bb.289:
	s_or_saveexec_b64 s[6:7], s[6:7]
	v_mov_b32_e32 v10, s10
	s_xor_b64 exec, exec, s[6:7]
	s_cbranch_execnz .LBB51_2340
.LBB51_290:
	s_or_b64 exec, exec, s[6:7]
	s_and_saveexec_b64 s[6:7], s[4:5]
	s_cbranch_execz .LBB51_292
.LBB51_291:
	v_and_b32_e32 v10, 7, v15
	v_ffbh_u32_e32 v20, v10
	v_min_u32_e32 v20, 32, v20
	v_lshrrev_b16_e32 v14, 3, v15
	v_subrev_u32_e32 v21, 28, v20
	v_and_b32_e32 v14, 15, v14
	v_lshlrev_b32_e32 v21, v21, v15
	v_sub_u32_e32 v20, 29, v20
	v_and_b32_e32 v21, 7, v21
	v_cmp_eq_u16_e32 vcc, 0, v14
	v_cndmask_b32_e32 v10, v10, v21, vcc
	v_cndmask_b32_e32 v14, v14, v20, vcc
	v_lshlrev_b32_e32 v20, 24, v15
	v_mov_b32_e32 v21, 0x3b800000
	v_lshlrev_b32_e32 v10, 20, v10
	v_and_b32_e32 v20, 0x80000000, v20
	v_lshl_add_u32 v14, v14, 23, v21
	v_or3_b32 v10, v20, v14, v10
.LBB51_292:
	s_or_b64 exec, exec, s[6:7]
	s_movk_i32 s4, 0x7f
	v_cmp_gt_i16_sdwa s[6:7], v11, s4 src0_sel:BYTE_0 src1_sel:DWORD
	s_mov_b64 s[4:5], 0
                                        ; implicit-def: $sgpr10
	s_and_saveexec_b64 s[8:9], s[6:7]
	s_xor_b64 s[6:7], exec, s[8:9]
	s_cbranch_execnz .LBB51_2341
; %bb.293:
	s_or_saveexec_b64 s[6:7], s[6:7]
	v_mov_b32_e32 v14, s10
	s_xor_b64 exec, exec, s[6:7]
	s_cbranch_execnz .LBB51_2344
.LBB51_294:
	s_or_b64 exec, exec, s[6:7]
	s_and_saveexec_b64 s[6:7], s[4:5]
	s_cbranch_execz .LBB51_296
.LBB51_295:
	v_and_b32_e32 v14, 7, v11
	v_ffbh_u32_e32 v21, v14
	v_min_u32_e32 v21, 32, v21
	v_lshrrev_b16_e32 v20, 3, v11
	v_subrev_u32_e32 v22, 28, v21
	v_and_b32_e32 v20, 15, v20
	v_lshlrev_b32_e32 v22, v22, v11
	v_sub_u32_e32 v21, 29, v21
	v_and_b32_e32 v22, 7, v22
	v_cmp_eq_u16_e32 vcc, 0, v20
	v_cndmask_b32_e32 v14, v14, v22, vcc
	v_cndmask_b32_e32 v20, v20, v21, vcc
	v_lshlrev_b32_e32 v21, 24, v11
	v_mov_b32_e32 v22, 0x3b800000
	v_lshlrev_b32_e32 v14, 20, v14
	v_and_b32_e32 v21, 0x80000000, v21
	v_lshl_add_u32 v20, v20, 23, v22
	v_or3_b32 v14, v21, v20, v14
.LBB51_296:
	s_or_b64 exec, exec, s[6:7]
	s_nop 0
	v_mfma_f32_16x16x4f32 a[0:3], v10, v14, a[0:3]
	v_lshrrev_b32_e32 v14, 8, v15
	s_movk_i32 s4, 0x7f
	v_cmp_gt_i16_sdwa s[6:7], v14, s4 src0_sel:BYTE_0 src1_sel:DWORD
	s_mov_b64 s[4:5], 0
                                        ; implicit-def: $sgpr10
	s_and_saveexec_b64 s[8:9], s[6:7]
	s_xor_b64 s[6:7], exec, s[8:9]
	s_cbranch_execnz .LBB51_2345
; %bb.297:
	s_or_saveexec_b64 s[6:7], s[6:7]
	v_mov_b32_e32 v10, s10
	s_xor_b64 exec, exec, s[6:7]
	s_cbranch_execnz .LBB51_2348
.LBB51_298:
	s_or_b64 exec, exec, s[6:7]
	s_and_saveexec_b64 s[6:7], s[4:5]
	s_cbranch_execz .LBB51_300
.LBB51_299:
	v_bfe_u32 v10, v15, 8, 3
	v_ffbh_u32_e32 v21, v10
	v_min_u32_e32 v21, 32, v21
	v_lshrrev_b16_e32 v20, 3, v14
	v_subrev_u32_e32 v22, 28, v21
	v_and_b32_e32 v20, 15, v20
	v_lshlrev_b32_e32 v14, v22, v14
	v_sub_u32_e32 v21, 29, v21
	v_and_b32_e32 v14, 7, v14
	v_cmp_eq_u16_e32 vcc, 0, v20
	v_cndmask_b32_e32 v10, v10, v14, vcc
	v_cndmask_b32_e32 v14, v20, v21, vcc
	v_lshlrev_b32_e32 v20, 16, v15
	v_mov_b32_e32 v21, 0x3b800000
	v_lshlrev_b32_e32 v10, 20, v10
	v_and_b32_e32 v20, 0x80000000, v20
	v_lshl_add_u32 v14, v14, 23, v21
	v_or3_b32 v10, v20, v14, v10
.LBB51_300:
	s_or_b64 exec, exec, s[6:7]
	v_lshrrev_b32_e32 v14, 8, v11
	s_movk_i32 s4, 0x7f
	v_cmp_gt_i16_sdwa s[6:7], v14, s4 src0_sel:BYTE_0 src1_sel:DWORD
	s_mov_b64 s[4:5], 0
                                        ; implicit-def: $sgpr10
	s_and_saveexec_b64 s[8:9], s[6:7]
	s_xor_b64 s[6:7], exec, s[8:9]
	s_cbranch_execnz .LBB51_2349
; %bb.301:
	s_or_saveexec_b64 s[6:7], s[6:7]
	v_mov_b32_e32 v20, s10
	s_xor_b64 exec, exec, s[6:7]
	s_cbranch_execnz .LBB51_2352
.LBB51_302:
	s_or_b64 exec, exec, s[6:7]
	s_and_saveexec_b64 s[6:7], s[4:5]
	s_cbranch_execz .LBB51_304
.LBB51_303:
	v_bfe_u32 v20, v11, 8, 3
	v_ffbh_u32_e32 v22, v20
	v_min_u32_e32 v22, 32, v22
	v_lshrrev_b16_e32 v21, 3, v14
	v_subrev_u32_e32 v23, 28, v22
	v_and_b32_e32 v21, 15, v21
	v_lshlrev_b32_e32 v14, v23, v14
	v_sub_u32_e32 v22, 29, v22
	v_and_b32_e32 v14, 7, v14
	v_cmp_eq_u16_e32 vcc, 0, v21
	v_cndmask_b32_e32 v14, v20, v14, vcc
	v_cndmask_b32_e32 v20, v21, v22, vcc
	v_lshlrev_b32_e32 v21, 16, v11
	v_mov_b32_e32 v22, 0x3b800000
	v_lshlrev_b32_e32 v14, 20, v14
	v_and_b32_e32 v21, 0x80000000, v21
	v_lshl_add_u32 v20, v20, 23, v22
	v_or3_b32 v20, v21, v20, v14
.LBB51_304:
	s_or_b64 exec, exec, s[6:7]
	s_nop 0
	v_mfma_f32_16x16x4f32 a[0:3], v10, v20, a[0:3]
	s_movk_i32 s4, 0xff
	v_and_b32_sdwa v14, v15, s4 dst_sel:DWORD dst_unused:UNUSED_PAD src0_sel:WORD_1 src1_sel:DWORD
	s_movk_i32 s4, 0x7f
	v_cmp_lt_i16_e32 vcc, s4, v14
	s_mov_b64 s[4:5], 0
                                        ; implicit-def: $sgpr10
	s_and_saveexec_b64 s[6:7], vcc
	s_xor_b64 s[6:7], exec, s[6:7]
	s_cbranch_execnz .LBB51_2353
; %bb.305:
	s_or_saveexec_b64 s[6:7], s[6:7]
	v_mov_b32_e32 v10, s10
	s_xor_b64 exec, exec, s[6:7]
	s_cbranch_execnz .LBB51_2356
.LBB51_306:
	s_or_b64 exec, exec, s[6:7]
	s_and_saveexec_b64 s[6:7], s[4:5]
	s_cbranch_execz .LBB51_308
.LBB51_307:
	v_bfe_u32 v10, v15, 16, 3
	v_ffbh_u32_e32 v21, v10
	v_min_u32_e32 v21, 32, v21
	v_lshrrev_b32_e32 v14, 19, v15
	v_subrev_u32_e32 v22, 28, v21
	v_and_b32_e32 v14, 15, v14
	v_lshlrev_b32_sdwa v22, v22, v15 dst_sel:DWORD dst_unused:UNUSED_PAD src0_sel:DWORD src1_sel:WORD_1
	v_bfe_u32 v20, v15, 19, 4
	v_sub_u32_e32 v21, 29, v21
	v_and_b32_e32 v22, 7, v22
	v_cmp_eq_u16_e32 vcc, 0, v14
	v_cndmask_b32_e32 v10, v10, v22, vcc
	v_cndmask_b32_e32 v14, v20, v21, vcc
	v_lshlrev_b32_e32 v20, 8, v15
	v_mov_b32_e32 v21, 0x3b800000
	v_lshlrev_b32_e32 v10, 20, v10
	v_and_b32_e32 v20, 0x80000000, v20
	v_lshl_add_u32 v14, v14, 23, v21
	v_or3_b32 v10, v20, v14, v10
.LBB51_308:
	s_or_b64 exec, exec, s[6:7]
	s_movk_i32 s4, 0xff
	v_and_b32_sdwa v14, v11, s4 dst_sel:DWORD dst_unused:UNUSED_PAD src0_sel:WORD_1 src1_sel:DWORD
	s_movk_i32 s4, 0x7f
	v_cmp_lt_i16_e32 vcc, s4, v14
	s_mov_b64 s[4:5], 0
                                        ; implicit-def: $sgpr10
	s_and_saveexec_b64 s[6:7], vcc
	s_xor_b64 s[6:7], exec, s[6:7]
	s_cbranch_execnz .LBB51_2357
; %bb.309:
	s_or_saveexec_b64 s[6:7], s[6:7]
	v_mov_b32_e32 v20, s10
	s_xor_b64 exec, exec, s[6:7]
	s_cbranch_execnz .LBB51_2360
.LBB51_310:
	s_or_b64 exec, exec, s[6:7]
	s_and_saveexec_b64 s[6:7], s[4:5]
	s_cbranch_execz .LBB51_312
.LBB51_311:
	v_bfe_u32 v14, v11, 16, 3
	v_ffbh_u32_e32 v22, v14
	v_min_u32_e32 v22, 32, v22
	v_lshrrev_b32_e32 v20, 19, v11
	v_subrev_u32_e32 v23, 28, v22
	v_and_b32_e32 v20, 15, v20
	v_lshlrev_b32_sdwa v23, v23, v11 dst_sel:DWORD dst_unused:UNUSED_PAD src0_sel:DWORD src1_sel:WORD_1
	v_bfe_u32 v21, v11, 19, 4
	v_sub_u32_e32 v22, 29, v22
	v_and_b32_e32 v23, 7, v23
	v_cmp_eq_u16_e32 vcc, 0, v20
	v_cndmask_b32_e32 v14, v14, v23, vcc
	v_cndmask_b32_e32 v20, v21, v22, vcc
	v_lshlrev_b32_e32 v21, 8, v11
	v_mov_b32_e32 v22, 0x3b800000
	v_lshlrev_b32_e32 v14, 20, v14
	v_and_b32_e32 v21, 0x80000000, v21
	v_lshl_add_u32 v20, v20, 23, v22
	v_or3_b32 v20, v21, v20, v14
.LBB51_312:
	s_or_b64 exec, exec, s[6:7]
	s_nop 0
	v_mfma_f32_16x16x4f32 a[0:3], v10, v20, a[0:3]
	s_movk_i32 s4, 0x7f
	v_cmp_gt_i16_sdwa s[6:7], v15, s4 src0_sel:BYTE_3 src1_sel:DWORD
	s_mov_b64 s[4:5], 0
                                        ; implicit-def: $sgpr10
	s_and_saveexec_b64 s[8:9], s[6:7]
	s_xor_b64 s[6:7], exec, s[8:9]
	s_cbranch_execnz .LBB51_2361
; %bb.313:
	s_or_saveexec_b64 s[6:7], s[6:7]
	v_mov_b32_e32 v10, s10
	s_xor_b64 exec, exec, s[6:7]
	s_cbranch_execnz .LBB51_2364
.LBB51_314:
	s_or_b64 exec, exec, s[6:7]
	s_and_saveexec_b64 s[6:7], s[4:5]
	s_cbranch_execz .LBB51_316
.LBB51_315:
	v_bfe_u32 v10, v15, 24, 3
	v_ffbh_u32_e32 v22, v10
	v_min_u32_e32 v22, 32, v22
	v_lshrrev_b32_e32 v20, 27, v15
	v_subrev_u32_e32 v23, 28, v22
	v_and_b32_e32 v14, 0x80000000, v15
	v_and_b32_e32 v20, 15, v20
	v_bfe_u32 v21, v15, 27, 4
	v_lshlrev_b32_sdwa v15, v23, v15 dst_sel:DWORD dst_unused:UNUSED_PAD src0_sel:DWORD src1_sel:BYTE_3
	v_sub_u32_e32 v22, 29, v22
	v_and_b32_e32 v15, 7, v15
	v_cmp_eq_u16_e32 vcc, 0, v20
	v_cndmask_b32_e32 v10, v10, v15, vcc
	v_cndmask_b32_e32 v15, v21, v22, vcc
	v_mov_b32_e32 v20, 0x3b800000
	v_lshlrev_b32_e32 v10, 20, v10
	v_lshl_add_u32 v15, v15, 23, v20
	v_or3_b32 v10, v14, v15, v10
.LBB51_316:
	s_or_b64 exec, exec, s[6:7]
	s_movk_i32 s4, 0x7f
	v_cmp_gt_i16_sdwa s[6:7], v11, s4 src0_sel:BYTE_3 src1_sel:DWORD
	s_mov_b64 s[4:5], 0
                                        ; implicit-def: $sgpr10
	s_and_saveexec_b64 s[8:9], s[6:7]
	s_xor_b64 s[6:7], exec, s[8:9]
	s_cbranch_execnz .LBB51_2365
; %bb.317:
	s_or_saveexec_b64 s[6:7], s[6:7]
	v_mov_b32_e32 v14, s10
	s_xor_b64 exec, exec, s[6:7]
	s_cbranch_execnz .LBB51_2368
.LBB51_318:
	s_or_b64 exec, exec, s[6:7]
	s_and_saveexec_b64 s[6:7], s[4:5]
	s_cbranch_execz .LBB51_320
.LBB51_319:
	v_bfe_u32 v14, v11, 24, 3
	v_ffbh_u32_e32 v22, v14
	v_min_u32_e32 v22, 32, v22
	v_lshrrev_b32_e32 v20, 27, v11
	v_subrev_u32_e32 v23, 28, v22
	v_and_b32_e32 v15, 0x80000000, v11
	v_and_b32_e32 v20, 15, v20
	v_bfe_u32 v21, v11, 27, 4
	v_lshlrev_b32_sdwa v11, v23, v11 dst_sel:DWORD dst_unused:UNUSED_PAD src0_sel:DWORD src1_sel:BYTE_3
	v_sub_u32_e32 v22, 29, v22
	v_and_b32_e32 v11, 7, v11
	v_cmp_eq_u16_e32 vcc, 0, v20
	v_cndmask_b32_e32 v11, v14, v11, vcc
	v_cndmask_b32_e32 v14, v21, v22, vcc
	v_mov_b32_e32 v20, 0x3b800000
	v_lshlrev_b32_e32 v11, 20, v11
	v_lshl_add_u32 v14, v14, 23, v20
	v_or3_b32 v14, v15, v14, v11
.LBB51_320:
	s_or_b64 exec, exec, s[6:7]
	s_nop 0
	v_mfma_f32_16x16x4f32 a[0:3], v10, v14, a[0:3]
	s_movk_i32 s4, 0x7f
	v_cmp_gt_i16_sdwa s[6:7], v16, s4 src0_sel:BYTE_0 src1_sel:DWORD
	s_mov_b64 s[4:5], 0
                                        ; implicit-def: $sgpr10
	s_and_saveexec_b64 s[8:9], s[6:7]
	s_xor_b64 s[6:7], exec, s[8:9]
	s_cbranch_execnz .LBB51_2369
; %bb.321:
	s_or_saveexec_b64 s[6:7], s[6:7]
	v_mov_b32_e32 v10, s10
	s_xor_b64 exec, exec, s[6:7]
	s_cbranch_execnz .LBB51_2372
.LBB51_322:
	s_or_b64 exec, exec, s[6:7]
	s_and_saveexec_b64 s[6:7], s[4:5]
	s_cbranch_execz .LBB51_324
.LBB51_323:
	v_and_b32_e32 v10, 7, v16
	v_ffbh_u32_e32 v14, v10
	v_min_u32_e32 v14, 32, v14
	v_lshrrev_b16_e32 v11, 3, v16
	v_subrev_u32_e32 v15, 28, v14
	v_and_b32_e32 v11, 15, v11
	v_lshlrev_b32_e32 v15, v15, v16
	v_sub_u32_e32 v14, 29, v14
	v_and_b32_e32 v15, 7, v15
	v_cmp_eq_u16_e32 vcc, 0, v11
	v_cndmask_b32_e32 v10, v10, v15, vcc
	v_cndmask_b32_e32 v11, v11, v14, vcc
	v_lshlrev_b32_e32 v14, 24, v16
	v_mov_b32_e32 v15, 0x3b800000
	v_lshlrev_b32_e32 v10, 20, v10
	v_and_b32_e32 v14, 0x80000000, v14
	v_lshl_add_u32 v11, v11, 23, v15
	v_or3_b32 v10, v14, v11, v10
.LBB51_324:
	s_or_b64 exec, exec, s[6:7]
	s_movk_i32 s4, 0x7f
	v_cmp_gt_i16_sdwa s[6:7], v12, s4 src0_sel:BYTE_0 src1_sel:DWORD
	s_mov_b64 s[4:5], 0
                                        ; implicit-def: $sgpr10
	s_and_saveexec_b64 s[8:9], s[6:7]
	s_xor_b64 s[6:7], exec, s[8:9]
	s_cbranch_execnz .LBB51_2373
; %bb.325:
	s_or_saveexec_b64 s[6:7], s[6:7]
	v_mov_b32_e32 v11, s10
	s_xor_b64 exec, exec, s[6:7]
	s_cbranch_execnz .LBB51_2376
.LBB51_326:
	s_or_b64 exec, exec, s[6:7]
	s_and_saveexec_b64 s[6:7], s[4:5]
	s_cbranch_execz .LBB51_328
.LBB51_327:
	v_and_b32_e32 v11, 7, v12
	v_ffbh_u32_e32 v15, v11
	v_min_u32_e32 v15, 32, v15
	v_lshrrev_b16_e32 v14, 3, v12
	v_subrev_u32_e32 v20, 28, v15
	v_and_b32_e32 v14, 15, v14
	v_lshlrev_b32_e32 v20, v20, v12
	v_sub_u32_e32 v15, 29, v15
	v_and_b32_e32 v20, 7, v20
	v_cmp_eq_u16_e32 vcc, 0, v14
	v_cndmask_b32_e32 v11, v11, v20, vcc
	v_cndmask_b32_e32 v14, v14, v15, vcc
	v_lshlrev_b32_e32 v15, 24, v12
	v_mov_b32_e32 v20, 0x3b800000
	v_lshlrev_b32_e32 v11, 20, v11
	v_and_b32_e32 v15, 0x80000000, v15
	v_lshl_add_u32 v14, v14, 23, v20
	v_or3_b32 v11, v15, v14, v11
.LBB51_328:
	s_or_b64 exec, exec, s[6:7]
	s_nop 0
	v_mfma_f32_16x16x4f32 a[0:3], v10, v11, a[0:3]
	v_lshrrev_b32_e32 v11, 8, v16
	s_movk_i32 s4, 0x7f
	v_cmp_gt_i16_sdwa s[6:7], v11, s4 src0_sel:BYTE_0 src1_sel:DWORD
	s_mov_b64 s[4:5], 0
                                        ; implicit-def: $sgpr10
	s_and_saveexec_b64 s[8:9], s[6:7]
	s_xor_b64 s[6:7], exec, s[8:9]
	s_cbranch_execnz .LBB51_2377
; %bb.329:
	s_or_saveexec_b64 s[6:7], s[6:7]
	v_mov_b32_e32 v10, s10
	s_xor_b64 exec, exec, s[6:7]
	s_cbranch_execnz .LBB51_2380
.LBB51_330:
	s_or_b64 exec, exec, s[6:7]
	s_and_saveexec_b64 s[6:7], s[4:5]
	s_cbranch_execz .LBB51_332
.LBB51_331:
	v_bfe_u32 v10, v16, 8, 3
	v_ffbh_u32_e32 v15, v10
	v_min_u32_e32 v15, 32, v15
	v_lshrrev_b16_e32 v14, 3, v11
	v_subrev_u32_e32 v20, 28, v15
	v_and_b32_e32 v14, 15, v14
	v_lshlrev_b32_e32 v11, v20, v11
	v_sub_u32_e32 v15, 29, v15
	v_and_b32_e32 v11, 7, v11
	v_cmp_eq_u16_e32 vcc, 0, v14
	v_cndmask_b32_e32 v10, v10, v11, vcc
	v_cndmask_b32_e32 v11, v14, v15, vcc
	v_lshlrev_b32_e32 v14, 16, v16
	v_mov_b32_e32 v15, 0x3b800000
	v_lshlrev_b32_e32 v10, 20, v10
	v_and_b32_e32 v14, 0x80000000, v14
	v_lshl_add_u32 v11, v11, 23, v15
	v_or3_b32 v10, v14, v11, v10
.LBB51_332:
	s_or_b64 exec, exec, s[6:7]
	v_lshrrev_b32_e32 v11, 8, v12
	s_movk_i32 s4, 0x7f
	v_cmp_gt_i16_sdwa s[6:7], v11, s4 src0_sel:BYTE_0 src1_sel:DWORD
	s_mov_b64 s[4:5], 0
                                        ; implicit-def: $sgpr10
	s_and_saveexec_b64 s[8:9], s[6:7]
	s_xor_b64 s[6:7], exec, s[8:9]
	s_cbranch_execnz .LBB51_2381
; %bb.333:
	s_or_saveexec_b64 s[6:7], s[6:7]
	v_mov_b32_e32 v14, s10
	s_xor_b64 exec, exec, s[6:7]
	s_cbranch_execnz .LBB51_2384
.LBB51_334:
	s_or_b64 exec, exec, s[6:7]
	s_and_saveexec_b64 s[6:7], s[4:5]
	s_cbranch_execz .LBB51_336
.LBB51_335:
	v_bfe_u32 v14, v12, 8, 3
	v_ffbh_u32_e32 v20, v14
	v_min_u32_e32 v20, 32, v20
	v_lshrrev_b16_e32 v15, 3, v11
	v_subrev_u32_e32 v21, 28, v20
	v_and_b32_e32 v15, 15, v15
	v_lshlrev_b32_e32 v11, v21, v11
	v_sub_u32_e32 v20, 29, v20
	v_and_b32_e32 v11, 7, v11
	v_cmp_eq_u16_e32 vcc, 0, v15
	v_cndmask_b32_e32 v11, v14, v11, vcc
	v_cndmask_b32_e32 v14, v15, v20, vcc
	v_lshlrev_b32_e32 v15, 16, v12
	v_mov_b32_e32 v20, 0x3b800000
	v_lshlrev_b32_e32 v11, 20, v11
	v_and_b32_e32 v15, 0x80000000, v15
	v_lshl_add_u32 v14, v14, 23, v20
	v_or3_b32 v14, v15, v14, v11
.LBB51_336:
	s_or_b64 exec, exec, s[6:7]
	s_nop 0
	v_mfma_f32_16x16x4f32 a[0:3], v10, v14, a[0:3]
	s_movk_i32 s4, 0xff
	v_and_b32_sdwa v11, v16, s4 dst_sel:DWORD dst_unused:UNUSED_PAD src0_sel:WORD_1 src1_sel:DWORD
	s_movk_i32 s4, 0x7f
	v_cmp_lt_i16_e32 vcc, s4, v11
	s_mov_b64 s[4:5], 0
                                        ; implicit-def: $sgpr10
	s_and_saveexec_b64 s[6:7], vcc
	s_xor_b64 s[6:7], exec, s[6:7]
	s_cbranch_execnz .LBB51_2385
; %bb.337:
	s_or_saveexec_b64 s[6:7], s[6:7]
	v_mov_b32_e32 v10, s10
	s_xor_b64 exec, exec, s[6:7]
	s_cbranch_execnz .LBB51_2388
.LBB51_338:
	s_or_b64 exec, exec, s[6:7]
	s_and_saveexec_b64 s[6:7], s[4:5]
	s_cbranch_execz .LBB51_340
.LBB51_339:
	v_bfe_u32 v10, v16, 16, 3
	v_ffbh_u32_e32 v15, v10
	v_min_u32_e32 v15, 32, v15
	v_lshrrev_b32_e32 v11, 19, v16
	v_subrev_u32_e32 v20, 28, v15
	v_and_b32_e32 v11, 15, v11
	v_lshlrev_b32_sdwa v20, v20, v16 dst_sel:DWORD dst_unused:UNUSED_PAD src0_sel:DWORD src1_sel:WORD_1
	v_bfe_u32 v14, v16, 19, 4
	v_sub_u32_e32 v15, 29, v15
	v_and_b32_e32 v20, 7, v20
	v_cmp_eq_u16_e32 vcc, 0, v11
	v_cndmask_b32_e32 v10, v10, v20, vcc
	v_cndmask_b32_e32 v11, v14, v15, vcc
	v_lshlrev_b32_e32 v14, 8, v16
	v_mov_b32_e32 v15, 0x3b800000
	v_lshlrev_b32_e32 v10, 20, v10
	v_and_b32_e32 v14, 0x80000000, v14
	v_lshl_add_u32 v11, v11, 23, v15
	v_or3_b32 v10, v14, v11, v10
.LBB51_340:
	s_or_b64 exec, exec, s[6:7]
	s_movk_i32 s4, 0xff
	v_and_b32_sdwa v11, v12, s4 dst_sel:DWORD dst_unused:UNUSED_PAD src0_sel:WORD_1 src1_sel:DWORD
	s_movk_i32 s4, 0x7f
	v_cmp_lt_i16_e32 vcc, s4, v11
	s_mov_b64 s[4:5], 0
                                        ; implicit-def: $sgpr10
	s_and_saveexec_b64 s[6:7], vcc
	s_xor_b64 s[6:7], exec, s[6:7]
	s_cbranch_execnz .LBB51_2389
; %bb.341:
	s_or_saveexec_b64 s[6:7], s[6:7]
	v_mov_b32_e32 v14, s10
	s_xor_b64 exec, exec, s[6:7]
	s_cbranch_execnz .LBB51_2392
.LBB51_342:
	s_or_b64 exec, exec, s[6:7]
	s_and_saveexec_b64 s[6:7], s[4:5]
	s_cbranch_execz .LBB51_344
.LBB51_343:
	v_bfe_u32 v11, v12, 16, 3
	v_ffbh_u32_e32 v20, v11
	v_min_u32_e32 v20, 32, v20
	v_lshrrev_b32_e32 v14, 19, v12
	v_subrev_u32_e32 v21, 28, v20
	v_and_b32_e32 v14, 15, v14
	v_lshlrev_b32_sdwa v21, v21, v12 dst_sel:DWORD dst_unused:UNUSED_PAD src0_sel:DWORD src1_sel:WORD_1
	v_bfe_u32 v15, v12, 19, 4
	v_sub_u32_e32 v20, 29, v20
	v_and_b32_e32 v21, 7, v21
	v_cmp_eq_u16_e32 vcc, 0, v14
	v_cndmask_b32_e32 v11, v11, v21, vcc
	v_cndmask_b32_e32 v14, v15, v20, vcc
	v_lshlrev_b32_e32 v15, 8, v12
	v_mov_b32_e32 v20, 0x3b800000
	v_lshlrev_b32_e32 v11, 20, v11
	v_and_b32_e32 v15, 0x80000000, v15
	v_lshl_add_u32 v14, v14, 23, v20
	v_or3_b32 v14, v15, v14, v11
.LBB51_344:
	s_or_b64 exec, exec, s[6:7]
	s_nop 0
	v_mfma_f32_16x16x4f32 a[0:3], v10, v14, a[0:3]
	s_movk_i32 s4, 0x7f
	v_cmp_gt_i16_sdwa s[6:7], v16, s4 src0_sel:BYTE_3 src1_sel:DWORD
	s_mov_b64 s[4:5], 0
                                        ; implicit-def: $sgpr10
	s_and_saveexec_b64 s[8:9], s[6:7]
	s_xor_b64 s[6:7], exec, s[8:9]
	s_cbranch_execnz .LBB51_2393
; %bb.345:
	s_or_saveexec_b64 s[6:7], s[6:7]
	v_mov_b32_e32 v10, s10
	s_xor_b64 exec, exec, s[6:7]
	s_cbranch_execnz .LBB51_2396
.LBB51_346:
	s_or_b64 exec, exec, s[6:7]
	s_and_saveexec_b64 s[6:7], s[4:5]
	s_cbranch_execz .LBB51_348
.LBB51_347:
	v_bfe_u32 v10, v16, 24, 3
	v_ffbh_u32_e32 v20, v10
	v_min_u32_e32 v20, 32, v20
	v_lshrrev_b32_e32 v14, 27, v16
	v_subrev_u32_e32 v21, 28, v20
	v_and_b32_e32 v11, 0x80000000, v16
	v_and_b32_e32 v14, 15, v14
	v_bfe_u32 v15, v16, 27, 4
	v_lshlrev_b32_sdwa v16, v21, v16 dst_sel:DWORD dst_unused:UNUSED_PAD src0_sel:DWORD src1_sel:BYTE_3
	v_sub_u32_e32 v20, 29, v20
	v_and_b32_e32 v16, 7, v16
	v_cmp_eq_u16_e32 vcc, 0, v14
	v_cndmask_b32_e32 v10, v10, v16, vcc
	v_cndmask_b32_e32 v14, v15, v20, vcc
	v_mov_b32_e32 v15, 0x3b800000
	v_lshlrev_b32_e32 v10, 20, v10
	v_lshl_add_u32 v14, v14, 23, v15
	v_or3_b32 v10, v11, v14, v10
.LBB51_348:
	s_or_b64 exec, exec, s[6:7]
	s_movk_i32 s4, 0x7f
	v_cmp_gt_i16_sdwa s[6:7], v12, s4 src0_sel:BYTE_3 src1_sel:DWORD
	s_mov_b64 s[4:5], 0
                                        ; implicit-def: $sgpr10
	s_and_saveexec_b64 s[8:9], s[6:7]
	s_xor_b64 s[6:7], exec, s[8:9]
	s_cbranch_execnz .LBB51_2397
; %bb.349:
	s_or_saveexec_b64 s[6:7], s[6:7]
	v_mov_b32_e32 v11, s10
	s_xor_b64 exec, exec, s[6:7]
	s_cbranch_execnz .LBB51_2400
.LBB51_350:
	s_or_b64 exec, exec, s[6:7]
	s_and_saveexec_b64 s[6:7], s[4:5]
	s_cbranch_execz .LBB51_352
.LBB51_351:
	v_bfe_u32 v11, v12, 24, 3
	v_ffbh_u32_e32 v20, v11
	v_min_u32_e32 v20, 32, v20
	v_lshrrev_b32_e32 v15, 27, v12
	v_subrev_u32_e32 v21, 28, v20
	v_and_b32_e32 v14, 0x80000000, v12
	v_and_b32_e32 v15, 15, v15
	v_bfe_u32 v16, v12, 27, 4
	v_lshlrev_b32_sdwa v12, v21, v12 dst_sel:DWORD dst_unused:UNUSED_PAD src0_sel:DWORD src1_sel:BYTE_3
	v_sub_u32_e32 v20, 29, v20
	v_and_b32_e32 v12, 7, v12
	v_cmp_eq_u16_e32 vcc, 0, v15
	v_cndmask_b32_e32 v11, v11, v12, vcc
	v_cndmask_b32_e32 v12, v16, v20, vcc
	v_mov_b32_e32 v15, 0x3b800000
	v_lshlrev_b32_e32 v11, 20, v11
	v_lshl_add_u32 v12, v12, 23, v15
	v_or3_b32 v11, v14, v12, v11
.LBB51_352:
	s_or_b64 exec, exec, s[6:7]
	s_nop 0
	v_mfma_f32_16x16x4f32 a[0:3], v10, v11, a[0:3]
	s_movk_i32 s4, 0x7f
	v_cmp_gt_i16_sdwa s[6:7], v17, s4 src0_sel:BYTE_0 src1_sel:DWORD
	s_mov_b64 s[4:5], 0
                                        ; implicit-def: $sgpr10
	s_and_saveexec_b64 s[8:9], s[6:7]
	s_xor_b64 s[6:7], exec, s[8:9]
	s_cbranch_execnz .LBB51_2401
; %bb.353:
	s_or_saveexec_b64 s[6:7], s[6:7]
	v_mov_b32_e32 v10, s10
	s_xor_b64 exec, exec, s[6:7]
	s_cbranch_execnz .LBB51_2404
.LBB51_354:
	s_or_b64 exec, exec, s[6:7]
	s_and_saveexec_b64 s[6:7], s[4:5]
	s_cbranch_execz .LBB51_356
.LBB51_355:
	v_and_b32_e32 v10, 7, v17
	v_ffbh_u32_e32 v12, v10
	v_min_u32_e32 v12, 32, v12
	v_lshrrev_b16_e32 v11, 3, v17
	v_subrev_u32_e32 v14, 28, v12
	v_and_b32_e32 v11, 15, v11
	v_lshlrev_b32_e32 v14, v14, v17
	v_sub_u32_e32 v12, 29, v12
	v_and_b32_e32 v14, 7, v14
	v_cmp_eq_u16_e32 vcc, 0, v11
	v_cndmask_b32_e32 v10, v10, v14, vcc
	v_cndmask_b32_e32 v11, v11, v12, vcc
	v_lshlrev_b32_e32 v12, 24, v17
	v_mov_b32_e32 v14, 0x3b800000
	v_lshlrev_b32_e32 v10, 20, v10
	v_and_b32_e32 v12, 0x80000000, v12
	v_lshl_add_u32 v11, v11, 23, v14
	v_or3_b32 v10, v12, v11, v10
.LBB51_356:
	s_or_b64 exec, exec, s[6:7]
	s_movk_i32 s4, 0x7f
	v_cmp_gt_i16_sdwa s[6:7], v13, s4 src0_sel:BYTE_0 src1_sel:DWORD
	s_mov_b64 s[4:5], 0
                                        ; implicit-def: $sgpr10
	s_and_saveexec_b64 s[8:9], s[6:7]
	s_xor_b64 s[6:7], exec, s[8:9]
	s_cbranch_execnz .LBB51_2405
; %bb.357:
	s_or_saveexec_b64 s[6:7], s[6:7]
	v_mov_b32_e32 v11, s10
	s_xor_b64 exec, exec, s[6:7]
	s_cbranch_execnz .LBB51_2408
.LBB51_358:
	s_or_b64 exec, exec, s[6:7]
	s_and_saveexec_b64 s[6:7], s[4:5]
	s_cbranch_execz .LBB51_360
.LBB51_359:
	v_and_b32_e32 v11, 7, v13
	v_ffbh_u32_e32 v14, v11
	v_min_u32_e32 v14, 32, v14
	v_lshrrev_b16_e32 v12, 3, v13
	v_subrev_u32_e32 v15, 28, v14
	v_and_b32_e32 v12, 15, v12
	v_lshlrev_b32_e32 v15, v15, v13
	v_sub_u32_e32 v14, 29, v14
	v_and_b32_e32 v15, 7, v15
	v_cmp_eq_u16_e32 vcc, 0, v12
	v_cndmask_b32_e32 v11, v11, v15, vcc
	v_cndmask_b32_e32 v12, v12, v14, vcc
	v_lshlrev_b32_e32 v14, 24, v13
	v_mov_b32_e32 v15, 0x3b800000
	v_lshlrev_b32_e32 v11, 20, v11
	v_and_b32_e32 v14, 0x80000000, v14
	v_lshl_add_u32 v12, v12, 23, v15
	v_or3_b32 v11, v14, v12, v11
.LBB51_360:
	s_or_b64 exec, exec, s[6:7]
	s_nop 0
	v_mfma_f32_16x16x4f32 a[0:3], v10, v11, a[0:3]
	v_lshrrev_b32_e32 v11, 8, v17
	s_movk_i32 s4, 0x7f
	v_cmp_gt_i16_sdwa s[6:7], v11, s4 src0_sel:BYTE_0 src1_sel:DWORD
	s_mov_b64 s[4:5], 0
                                        ; implicit-def: $sgpr10
	s_and_saveexec_b64 s[8:9], s[6:7]
	s_xor_b64 s[6:7], exec, s[8:9]
	s_cbranch_execnz .LBB51_2409
; %bb.361:
	s_or_saveexec_b64 s[6:7], s[6:7]
	v_mov_b32_e32 v10, s10
	s_xor_b64 exec, exec, s[6:7]
	s_cbranch_execnz .LBB51_2412
.LBB51_362:
	s_or_b64 exec, exec, s[6:7]
	s_and_saveexec_b64 s[6:7], s[4:5]
	s_cbranch_execz .LBB51_364
.LBB51_363:
	v_bfe_u32 v10, v17, 8, 3
	v_ffbh_u32_e32 v14, v10
	v_min_u32_e32 v14, 32, v14
	v_lshrrev_b16_e32 v12, 3, v11
	v_subrev_u32_e32 v15, 28, v14
	v_and_b32_e32 v12, 15, v12
	v_lshlrev_b32_e32 v11, v15, v11
	v_sub_u32_e32 v14, 29, v14
	v_and_b32_e32 v11, 7, v11
	v_cmp_eq_u16_e32 vcc, 0, v12
	v_cndmask_b32_e32 v10, v10, v11, vcc
	v_cndmask_b32_e32 v11, v12, v14, vcc
	v_lshlrev_b32_e32 v12, 16, v17
	v_mov_b32_e32 v14, 0x3b800000
	v_lshlrev_b32_e32 v10, 20, v10
	v_and_b32_e32 v12, 0x80000000, v12
	v_lshl_add_u32 v11, v11, 23, v14
	v_or3_b32 v10, v12, v11, v10
.LBB51_364:
	s_or_b64 exec, exec, s[6:7]
	v_lshrrev_b32_e32 v11, 8, v13
	s_movk_i32 s4, 0x7f
	v_cmp_gt_i16_sdwa s[6:7], v11, s4 src0_sel:BYTE_0 src1_sel:DWORD
	s_mov_b64 s[4:5], 0
                                        ; implicit-def: $sgpr10
	s_and_saveexec_b64 s[8:9], s[6:7]
	s_xor_b64 s[6:7], exec, s[8:9]
	s_cbranch_execnz .LBB51_2413
; %bb.365:
	s_or_saveexec_b64 s[6:7], s[6:7]
	v_mov_b32_e32 v12, s10
	s_xor_b64 exec, exec, s[6:7]
	s_cbranch_execnz .LBB51_2416
.LBB51_366:
	s_or_b64 exec, exec, s[6:7]
	s_and_saveexec_b64 s[6:7], s[4:5]
	s_cbranch_execz .LBB51_368
.LBB51_367:
	v_bfe_u32 v12, v13, 8, 3
	v_ffbh_u32_e32 v15, v12
	v_min_u32_e32 v15, 32, v15
	v_lshrrev_b16_e32 v14, 3, v11
	v_subrev_u32_e32 v16, 28, v15
	v_and_b32_e32 v14, 15, v14
	v_lshlrev_b32_e32 v11, v16, v11
	v_sub_u32_e32 v15, 29, v15
	v_and_b32_e32 v11, 7, v11
	v_cmp_eq_u16_e32 vcc, 0, v14
	v_cndmask_b32_e32 v11, v12, v11, vcc
	v_cndmask_b32_e32 v12, v14, v15, vcc
	v_lshlrev_b32_e32 v14, 16, v13
	v_mov_b32_e32 v15, 0x3b800000
	v_lshlrev_b32_e32 v11, 20, v11
	v_and_b32_e32 v14, 0x80000000, v14
	v_lshl_add_u32 v12, v12, 23, v15
	v_or3_b32 v12, v14, v12, v11
.LBB51_368:
	s_or_b64 exec, exec, s[6:7]
	s_nop 0
	v_mfma_f32_16x16x4f32 a[0:3], v10, v12, a[0:3]
	s_movk_i32 s4, 0xff
	v_and_b32_sdwa v11, v17, s4 dst_sel:DWORD dst_unused:UNUSED_PAD src0_sel:WORD_1 src1_sel:DWORD
	s_movk_i32 s4, 0x7f
	v_cmp_lt_i16_e32 vcc, s4, v11
	s_mov_b64 s[4:5], 0
                                        ; implicit-def: $sgpr10
	s_and_saveexec_b64 s[6:7], vcc
	s_xor_b64 s[6:7], exec, s[6:7]
	s_cbranch_execnz .LBB51_2417
; %bb.369:
	s_or_saveexec_b64 s[6:7], s[6:7]
	v_mov_b32_e32 v10, s10
	s_xor_b64 exec, exec, s[6:7]
	s_cbranch_execnz .LBB51_2420
.LBB51_370:
	s_or_b64 exec, exec, s[6:7]
	s_and_saveexec_b64 s[6:7], s[4:5]
	s_cbranch_execz .LBB51_372
.LBB51_371:
	v_bfe_u32 v10, v17, 16, 3
	v_ffbh_u32_e32 v14, v10
	v_min_u32_e32 v14, 32, v14
	v_lshrrev_b32_e32 v11, 19, v17
	v_subrev_u32_e32 v15, 28, v14
	v_and_b32_e32 v11, 15, v11
	v_lshlrev_b32_sdwa v15, v15, v17 dst_sel:DWORD dst_unused:UNUSED_PAD src0_sel:DWORD src1_sel:WORD_1
	v_bfe_u32 v12, v17, 19, 4
	v_sub_u32_e32 v14, 29, v14
	v_and_b32_e32 v15, 7, v15
	v_cmp_eq_u16_e32 vcc, 0, v11
	v_cndmask_b32_e32 v10, v10, v15, vcc
	v_cndmask_b32_e32 v11, v12, v14, vcc
	v_lshlrev_b32_e32 v12, 8, v17
	v_mov_b32_e32 v14, 0x3b800000
	v_lshlrev_b32_e32 v10, 20, v10
	v_and_b32_e32 v12, 0x80000000, v12
	v_lshl_add_u32 v11, v11, 23, v14
	v_or3_b32 v10, v12, v11, v10
.LBB51_372:
	s_or_b64 exec, exec, s[6:7]
	s_movk_i32 s4, 0xff
	v_and_b32_sdwa v11, v13, s4 dst_sel:DWORD dst_unused:UNUSED_PAD src0_sel:WORD_1 src1_sel:DWORD
	s_movk_i32 s4, 0x7f
	v_cmp_lt_i16_e32 vcc, s4, v11
	s_mov_b64 s[4:5], 0
                                        ; implicit-def: $sgpr10
	s_and_saveexec_b64 s[6:7], vcc
	s_xor_b64 s[6:7], exec, s[6:7]
	s_cbranch_execnz .LBB51_2421
; %bb.373:
	s_or_saveexec_b64 s[6:7], s[6:7]
	v_mov_b32_e32 v12, s10
	s_xor_b64 exec, exec, s[6:7]
	s_cbranch_execnz .LBB51_2424
.LBB51_374:
	s_or_b64 exec, exec, s[6:7]
	s_and_saveexec_b64 s[6:7], s[4:5]
	s_cbranch_execz .LBB51_376
.LBB51_375:
	v_bfe_u32 v11, v13, 16, 3
	v_ffbh_u32_e32 v15, v11
	v_min_u32_e32 v15, 32, v15
	v_lshrrev_b32_e32 v12, 19, v13
	v_subrev_u32_e32 v16, 28, v15
	v_and_b32_e32 v12, 15, v12
	v_lshlrev_b32_sdwa v16, v16, v13 dst_sel:DWORD dst_unused:UNUSED_PAD src0_sel:DWORD src1_sel:WORD_1
	v_bfe_u32 v14, v13, 19, 4
	v_sub_u32_e32 v15, 29, v15
	v_and_b32_e32 v16, 7, v16
	v_cmp_eq_u16_e32 vcc, 0, v12
	v_cndmask_b32_e32 v11, v11, v16, vcc
	v_cndmask_b32_e32 v12, v14, v15, vcc
	v_lshlrev_b32_e32 v14, 8, v13
	v_mov_b32_e32 v15, 0x3b800000
	v_lshlrev_b32_e32 v11, 20, v11
	v_and_b32_e32 v14, 0x80000000, v14
	v_lshl_add_u32 v12, v12, 23, v15
	v_or3_b32 v12, v14, v12, v11
.LBB51_376:
	s_or_b64 exec, exec, s[6:7]
	s_nop 0
	v_mfma_f32_16x16x4f32 a[0:3], v10, v12, a[0:3]
	s_movk_i32 s4, 0x7f
	v_cmp_gt_i16_sdwa s[6:7], v17, s4 src0_sel:BYTE_3 src1_sel:DWORD
	s_mov_b64 s[4:5], 0
                                        ; implicit-def: $sgpr10
	s_and_saveexec_b64 s[8:9], s[6:7]
	s_xor_b64 s[6:7], exec, s[8:9]
	s_cbranch_execnz .LBB51_2425
; %bb.377:
	s_or_saveexec_b64 s[6:7], s[6:7]
	v_mov_b32_e32 v10, s10
	s_xor_b64 exec, exec, s[6:7]
	s_cbranch_execnz .LBB51_2428
.LBB51_378:
	s_or_b64 exec, exec, s[6:7]
	s_and_saveexec_b64 s[6:7], s[4:5]
	s_cbranch_execz .LBB51_380
.LBB51_379:
	v_bfe_u32 v10, v17, 24, 3
	v_ffbh_u32_e32 v15, v10
	v_min_u32_e32 v15, 32, v15
	v_lshrrev_b32_e32 v12, 27, v17
	v_subrev_u32_e32 v16, 28, v15
	v_and_b32_e32 v12, 15, v12
	v_lshlrev_b32_sdwa v16, v16, v17 dst_sel:DWORD dst_unused:UNUSED_PAD src0_sel:DWORD src1_sel:BYTE_3
	v_bfe_u32 v14, v17, 27, 4
	v_sub_u32_e32 v15, 29, v15
	v_and_b32_e32 v16, 7, v16
	v_cmp_eq_u16_e32 vcc, 0, v12
	v_cndmask_b32_e32 v10, v10, v16, vcc
	v_cndmask_b32_e32 v12, v14, v15, vcc
	v_mov_b32_e32 v14, 0x3b800000
	v_and_b32_e32 v11, 0x80000000, v17
	v_lshlrev_b32_e32 v10, 20, v10
	v_lshl_add_u32 v12, v12, 23, v14
	v_or3_b32 v10, v11, v12, v10
.LBB51_380:
	s_or_b64 exec, exec, s[6:7]
	s_movk_i32 s4, 0x7f
	v_cmp_gt_i16_sdwa s[6:7], v13, s4 src0_sel:BYTE_3 src1_sel:DWORD
	s_mov_b64 s[4:5], 0
                                        ; implicit-def: $sgpr10
	s_and_saveexec_b64 s[8:9], s[6:7]
	s_xor_b64 s[6:7], exec, s[8:9]
	s_cbranch_execnz .LBB51_2429
; %bb.381:
	s_or_saveexec_b64 s[6:7], s[6:7]
	v_mov_b32_e32 v11, s10
	s_xor_b64 exec, exec, s[6:7]
	s_cbranch_execnz .LBB51_2432
.LBB51_382:
	s_or_b64 exec, exec, s[6:7]
	s_and_saveexec_b64 s[6:7], s[4:5]
	s_cbranch_execz .LBB51_384
.LBB51_383:
	v_bfe_u32 v11, v13, 24, 3
	v_ffbh_u32_e32 v16, v11
	v_min_u32_e32 v16, 32, v16
	v_lshrrev_b32_e32 v14, 27, v13
	v_subrev_u32_e32 v17, 28, v16
	v_and_b32_e32 v12, 0x80000000, v13
	v_and_b32_e32 v14, 15, v14
	v_bfe_u32 v15, v13, 27, 4
	v_lshlrev_b32_sdwa v13, v17, v13 dst_sel:DWORD dst_unused:UNUSED_PAD src0_sel:DWORD src1_sel:BYTE_3
	v_sub_u32_e32 v16, 29, v16
	v_and_b32_e32 v13, 7, v13
	v_cmp_eq_u16_e32 vcc, 0, v14
	v_cndmask_b32_e32 v11, v11, v13, vcc
	v_cndmask_b32_e32 v13, v15, v16, vcc
	v_mov_b32_e32 v14, 0x3b800000
	v_lshlrev_b32_e32 v11, 20, v11
	v_lshl_add_u32 v13, v13, 23, v14
	v_or3_b32 v11, v12, v13, v11
.LBB51_384:
	s_or_b64 exec, exec, s[6:7]
	s_nop 0
	v_mfma_f32_16x16x4f32 a[0:3], v10, v11, a[0:3]
	s_movk_i32 s4, 0x7f
	v_cmp_gt_i16_sdwa s[6:7], v6, s4 src0_sel:BYTE_0 src1_sel:DWORD
	s_mov_b64 s[4:5], 0
                                        ; implicit-def: $sgpr10
	s_and_saveexec_b64 s[8:9], s[6:7]
	s_xor_b64 s[6:7], exec, s[8:9]
	s_cbranch_execnz .LBB51_2433
; %bb.385:
	s_or_saveexec_b64 s[6:7], s[6:7]
	v_mov_b32_e32 v10, s10
	s_xor_b64 exec, exec, s[6:7]
	s_cbranch_execnz .LBB51_2436
.LBB51_386:
	s_or_b64 exec, exec, s[6:7]
	s_and_saveexec_b64 s[6:7], s[4:5]
	s_cbranch_execz .LBB51_388
.LBB51_387:
	v_and_b32_e32 v10, 7, v6
	v_ffbh_u32_e32 v12, v10
	v_min_u32_e32 v12, 32, v12
	v_lshrrev_b16_e32 v11, 3, v6
	v_subrev_u32_e32 v13, 28, v12
	v_and_b32_e32 v11, 15, v11
	v_lshlrev_b32_e32 v13, v13, v6
	v_sub_u32_e32 v12, 29, v12
	v_and_b32_e32 v13, 7, v13
	v_cmp_eq_u16_e32 vcc, 0, v11
	v_cndmask_b32_e32 v10, v10, v13, vcc
	v_cndmask_b32_e32 v11, v11, v12, vcc
	v_lshlrev_b32_e32 v12, 24, v6
	v_mov_b32_e32 v13, 0x3b800000
	v_lshlrev_b32_e32 v10, 20, v10
	v_and_b32_e32 v12, 0x80000000, v12
	v_lshl_add_u32 v11, v11, 23, v13
	v_or3_b32 v10, v12, v11, v10
.LBB51_388:
	s_or_b64 exec, exec, s[6:7]
	s_movk_i32 s4, 0x7f
	v_cmp_gt_i16_sdwa s[6:7], v2, s4 src0_sel:BYTE_0 src1_sel:DWORD
	s_mov_b64 s[4:5], 0
                                        ; implicit-def: $sgpr10
	s_and_saveexec_b64 s[8:9], s[6:7]
	s_xor_b64 s[6:7], exec, s[8:9]
	s_cbranch_execnz .LBB51_2437
; %bb.389:
	s_or_saveexec_b64 s[6:7], s[6:7]
	v_mov_b32_e32 v11, s10
	s_xor_b64 exec, exec, s[6:7]
	s_cbranch_execnz .LBB51_2440
.LBB51_390:
	s_or_b64 exec, exec, s[6:7]
	s_and_saveexec_b64 s[6:7], s[4:5]
	s_cbranch_execz .LBB51_392
.LBB51_391:
	v_and_b32_e32 v11, 7, v2
	v_ffbh_u32_e32 v13, v11
	v_min_u32_e32 v13, 32, v13
	v_lshrrev_b16_e32 v12, 3, v2
	v_subrev_u32_e32 v14, 28, v13
	v_and_b32_e32 v12, 15, v12
	v_lshlrev_b32_e32 v14, v14, v2
	v_sub_u32_e32 v13, 29, v13
	v_and_b32_e32 v14, 7, v14
	v_cmp_eq_u16_e32 vcc, 0, v12
	v_cndmask_b32_e32 v11, v11, v14, vcc
	v_cndmask_b32_e32 v12, v12, v13, vcc
	v_lshlrev_b32_e32 v13, 24, v2
	v_mov_b32_e32 v14, 0x3b800000
	v_lshlrev_b32_e32 v11, 20, v11
	v_and_b32_e32 v13, 0x80000000, v13
	v_lshl_add_u32 v12, v12, 23, v14
	v_or3_b32 v11, v13, v12, v11
.LBB51_392:
	s_or_b64 exec, exec, s[6:7]
	s_nop 0
	v_mfma_f32_16x16x4f32 a[0:3], v10, v11, a[0:3]
	v_lshrrev_b32_e32 v11, 8, v6
	s_movk_i32 s4, 0x7f
	v_cmp_gt_i16_sdwa s[6:7], v11, s4 src0_sel:BYTE_0 src1_sel:DWORD
	s_mov_b64 s[4:5], 0
                                        ; implicit-def: $sgpr10
	s_and_saveexec_b64 s[8:9], s[6:7]
	s_xor_b64 s[6:7], exec, s[8:9]
	s_cbranch_execnz .LBB51_2441
; %bb.393:
	s_or_saveexec_b64 s[6:7], s[6:7]
	v_mov_b32_e32 v10, s10
	s_xor_b64 exec, exec, s[6:7]
	s_cbranch_execnz .LBB51_2444
.LBB51_394:
	s_or_b64 exec, exec, s[6:7]
	s_and_saveexec_b64 s[6:7], s[4:5]
	s_cbranch_execz .LBB51_396
.LBB51_395:
	v_bfe_u32 v10, v6, 8, 3
	v_ffbh_u32_e32 v13, v10
	v_min_u32_e32 v13, 32, v13
	v_lshrrev_b16_e32 v12, 3, v11
	v_subrev_u32_e32 v14, 28, v13
	v_and_b32_e32 v12, 15, v12
	v_lshlrev_b32_e32 v11, v14, v11
	v_sub_u32_e32 v13, 29, v13
	v_and_b32_e32 v11, 7, v11
	v_cmp_eq_u16_e32 vcc, 0, v12
	v_cndmask_b32_e32 v10, v10, v11, vcc
	v_cndmask_b32_e32 v11, v12, v13, vcc
	v_lshlrev_b32_e32 v12, 16, v6
	v_mov_b32_e32 v13, 0x3b800000
	v_lshlrev_b32_e32 v10, 20, v10
	v_and_b32_e32 v12, 0x80000000, v12
	v_lshl_add_u32 v11, v11, 23, v13
	v_or3_b32 v10, v12, v11, v10
.LBB51_396:
	s_or_b64 exec, exec, s[6:7]
	v_lshrrev_b32_e32 v11, 8, v2
	s_movk_i32 s4, 0x7f
	v_cmp_gt_i16_sdwa s[6:7], v11, s4 src0_sel:BYTE_0 src1_sel:DWORD
	s_mov_b64 s[4:5], 0
                                        ; implicit-def: $sgpr10
	s_and_saveexec_b64 s[8:9], s[6:7]
	s_xor_b64 s[6:7], exec, s[8:9]
	s_cbranch_execnz .LBB51_2445
; %bb.397:
	s_or_saveexec_b64 s[6:7], s[6:7]
	v_mov_b32_e32 v12, s10
	s_xor_b64 exec, exec, s[6:7]
	s_cbranch_execnz .LBB51_2448
.LBB51_398:
	s_or_b64 exec, exec, s[6:7]
	s_and_saveexec_b64 s[6:7], s[4:5]
	s_cbranch_execz .LBB51_400
.LBB51_399:
	v_bfe_u32 v12, v2, 8, 3
	v_ffbh_u32_e32 v14, v12
	v_min_u32_e32 v14, 32, v14
	v_lshrrev_b16_e32 v13, 3, v11
	v_subrev_u32_e32 v15, 28, v14
	v_and_b32_e32 v13, 15, v13
	v_lshlrev_b32_e32 v11, v15, v11
	v_sub_u32_e32 v14, 29, v14
	v_and_b32_e32 v11, 7, v11
	v_cmp_eq_u16_e32 vcc, 0, v13
	v_cndmask_b32_e32 v11, v12, v11, vcc
	v_cndmask_b32_e32 v12, v13, v14, vcc
	v_lshlrev_b32_e32 v13, 16, v2
	v_mov_b32_e32 v14, 0x3b800000
	v_lshlrev_b32_e32 v11, 20, v11
	v_and_b32_e32 v13, 0x80000000, v13
	v_lshl_add_u32 v12, v12, 23, v14
	v_or3_b32 v12, v13, v12, v11
.LBB51_400:
	s_or_b64 exec, exec, s[6:7]
	s_nop 0
	v_mfma_f32_16x16x4f32 a[0:3], v10, v12, a[0:3]
	s_movk_i32 s4, 0xff
	v_and_b32_sdwa v11, v6, s4 dst_sel:DWORD dst_unused:UNUSED_PAD src0_sel:WORD_1 src1_sel:DWORD
	s_movk_i32 s4, 0x7f
	v_cmp_lt_i16_e32 vcc, s4, v11
	s_mov_b64 s[4:5], 0
                                        ; implicit-def: $sgpr10
	s_and_saveexec_b64 s[6:7], vcc
	s_xor_b64 s[6:7], exec, s[6:7]
	s_cbranch_execnz .LBB51_2449
; %bb.401:
	s_or_saveexec_b64 s[6:7], s[6:7]
	v_mov_b32_e32 v10, s10
	s_xor_b64 exec, exec, s[6:7]
	s_cbranch_execnz .LBB51_2452
.LBB51_402:
	s_or_b64 exec, exec, s[6:7]
	s_and_saveexec_b64 s[6:7], s[4:5]
	s_cbranch_execz .LBB51_404
.LBB51_403:
	v_bfe_u32 v10, v6, 16, 3
	v_ffbh_u32_e32 v13, v10
	v_min_u32_e32 v13, 32, v13
	v_lshrrev_b32_e32 v11, 19, v6
	v_subrev_u32_e32 v14, 28, v13
	v_and_b32_e32 v11, 15, v11
	v_lshlrev_b32_sdwa v14, v14, v6 dst_sel:DWORD dst_unused:UNUSED_PAD src0_sel:DWORD src1_sel:WORD_1
	v_bfe_u32 v12, v6, 19, 4
	v_sub_u32_e32 v13, 29, v13
	v_and_b32_e32 v14, 7, v14
	v_cmp_eq_u16_e32 vcc, 0, v11
	v_cndmask_b32_e32 v10, v10, v14, vcc
	v_cndmask_b32_e32 v11, v12, v13, vcc
	v_lshlrev_b32_e32 v12, 8, v6
	v_mov_b32_e32 v13, 0x3b800000
	v_lshlrev_b32_e32 v10, 20, v10
	v_and_b32_e32 v12, 0x80000000, v12
	v_lshl_add_u32 v11, v11, 23, v13
	v_or3_b32 v10, v12, v11, v10
.LBB51_404:
	s_or_b64 exec, exec, s[6:7]
	s_movk_i32 s4, 0xff
	v_and_b32_sdwa v11, v2, s4 dst_sel:DWORD dst_unused:UNUSED_PAD src0_sel:WORD_1 src1_sel:DWORD
	s_movk_i32 s4, 0x7f
	v_cmp_lt_i16_e32 vcc, s4, v11
	s_mov_b64 s[4:5], 0
                                        ; implicit-def: $sgpr10
	s_and_saveexec_b64 s[6:7], vcc
	s_xor_b64 s[6:7], exec, s[6:7]
	s_cbranch_execnz .LBB51_2453
; %bb.405:
	s_or_saveexec_b64 s[6:7], s[6:7]
	v_mov_b32_e32 v12, s10
	s_xor_b64 exec, exec, s[6:7]
	s_cbranch_execnz .LBB51_2456
.LBB51_406:
	s_or_b64 exec, exec, s[6:7]
	s_and_saveexec_b64 s[6:7], s[4:5]
	s_cbranch_execz .LBB51_408
.LBB51_407:
	v_bfe_u32 v11, v2, 16, 3
	v_ffbh_u32_e32 v14, v11
	v_min_u32_e32 v14, 32, v14
	v_lshrrev_b32_e32 v12, 19, v2
	v_subrev_u32_e32 v15, 28, v14
	v_and_b32_e32 v12, 15, v12
	v_lshlrev_b32_sdwa v15, v15, v2 dst_sel:DWORD dst_unused:UNUSED_PAD src0_sel:DWORD src1_sel:WORD_1
	v_bfe_u32 v13, v2, 19, 4
	v_sub_u32_e32 v14, 29, v14
	v_and_b32_e32 v15, 7, v15
	v_cmp_eq_u16_e32 vcc, 0, v12
	v_cndmask_b32_e32 v11, v11, v15, vcc
	v_cndmask_b32_e32 v12, v13, v14, vcc
	v_lshlrev_b32_e32 v13, 8, v2
	v_mov_b32_e32 v14, 0x3b800000
	v_lshlrev_b32_e32 v11, 20, v11
	v_and_b32_e32 v13, 0x80000000, v13
	v_lshl_add_u32 v12, v12, 23, v14
	v_or3_b32 v12, v13, v12, v11
.LBB51_408:
	s_or_b64 exec, exec, s[6:7]
	s_nop 0
	v_mfma_f32_16x16x4f32 a[0:3], v10, v12, a[0:3]
	s_movk_i32 s4, 0x7f
	v_cmp_gt_i16_sdwa s[6:7], v6, s4 src0_sel:BYTE_3 src1_sel:DWORD
	s_mov_b64 s[4:5], 0
                                        ; implicit-def: $sgpr10
	s_and_saveexec_b64 s[8:9], s[6:7]
	s_xor_b64 s[6:7], exec, s[8:9]
	s_cbranch_execnz .LBB51_2457
; %bb.409:
	s_or_saveexec_b64 s[6:7], s[6:7]
	v_mov_b32_e32 v10, s10
	s_xor_b64 exec, exec, s[6:7]
	s_cbranch_execnz .LBB51_2460
.LBB51_410:
	s_or_b64 exec, exec, s[6:7]
	s_and_saveexec_b64 s[6:7], s[4:5]
	s_cbranch_execz .LBB51_412
.LBB51_411:
	v_bfe_u32 v10, v6, 24, 3
	v_ffbh_u32_e32 v14, v10
	v_min_u32_e32 v14, 32, v14
	v_lshrrev_b32_e32 v12, 27, v6
	v_subrev_u32_e32 v15, 28, v14
	v_and_b32_e32 v11, 0x80000000, v6
	v_and_b32_e32 v12, 15, v12
	v_bfe_u32 v13, v6, 27, 4
	v_lshlrev_b32_sdwa v6, v15, v6 dst_sel:DWORD dst_unused:UNUSED_PAD src0_sel:DWORD src1_sel:BYTE_3
	v_sub_u32_e32 v14, 29, v14
	v_and_b32_e32 v6, 7, v6
	v_cmp_eq_u16_e32 vcc, 0, v12
	v_cndmask_b32_e32 v6, v10, v6, vcc
	v_cndmask_b32_e32 v10, v13, v14, vcc
	v_mov_b32_e32 v12, 0x3b800000
	v_lshlrev_b32_e32 v6, 20, v6
	v_lshl_add_u32 v10, v10, 23, v12
	v_or3_b32 v10, v11, v10, v6
.LBB51_412:
	s_or_b64 exec, exec, s[6:7]
	s_movk_i32 s4, 0x7f
	v_cmp_gt_i16_sdwa s[6:7], v2, s4 src0_sel:BYTE_3 src1_sel:DWORD
	s_mov_b64 s[4:5], 0
                                        ; implicit-def: $sgpr10
	s_and_saveexec_b64 s[8:9], s[6:7]
	s_xor_b64 s[6:7], exec, s[8:9]
	s_cbranch_execnz .LBB51_2461
; %bb.413:
	s_or_saveexec_b64 s[6:7], s[6:7]
	v_mov_b32_e32 v6, s10
	s_xor_b64 exec, exec, s[6:7]
	s_cbranch_execnz .LBB51_2464
.LBB51_414:
	s_or_b64 exec, exec, s[6:7]
	s_and_saveexec_b64 s[6:7], s[4:5]
	s_cbranch_execz .LBB51_416
.LBB51_415:
	v_bfe_u32 v6, v2, 24, 3
	v_ffbh_u32_e32 v14, v6
	v_min_u32_e32 v14, 32, v14
	v_lshrrev_b32_e32 v12, 27, v2
	v_subrev_u32_e32 v15, 28, v14
	v_and_b32_e32 v11, 0x80000000, v2
	v_and_b32_e32 v12, 15, v12
	v_bfe_u32 v13, v2, 27, 4
	v_lshlrev_b32_sdwa v2, v15, v2 dst_sel:DWORD dst_unused:UNUSED_PAD src0_sel:DWORD src1_sel:BYTE_3
	v_sub_u32_e32 v14, 29, v14
	v_and_b32_e32 v2, 7, v2
	v_cmp_eq_u16_e32 vcc, 0, v12
	v_cndmask_b32_e32 v2, v6, v2, vcc
	v_cndmask_b32_e32 v6, v13, v14, vcc
	v_mov_b32_e32 v12, 0x3b800000
	v_lshlrev_b32_e32 v2, 20, v2
	v_lshl_add_u32 v6, v6, 23, v12
	v_or3_b32 v6, v11, v6, v2
.LBB51_416:
	s_or_b64 exec, exec, s[6:7]
	s_nop 0
	v_mfma_f32_16x16x4f32 a[0:3], v10, v6, a[0:3]
	s_movk_i32 s4, 0x7f
	v_cmp_gt_i16_sdwa s[6:7], v7, s4 src0_sel:BYTE_0 src1_sel:DWORD
	s_mov_b64 s[4:5], 0
                                        ; implicit-def: $sgpr10
	s_and_saveexec_b64 s[8:9], s[6:7]
	s_xor_b64 s[6:7], exec, s[8:9]
	s_cbranch_execnz .LBB51_2465
; %bb.417:
	s_or_saveexec_b64 s[6:7], s[6:7]
	v_mov_b32_e32 v2, s10
	s_xor_b64 exec, exec, s[6:7]
	s_cbranch_execnz .LBB51_2468
.LBB51_418:
	s_or_b64 exec, exec, s[6:7]
	s_and_saveexec_b64 s[6:7], s[4:5]
	s_cbranch_execz .LBB51_420
.LBB51_419:
	v_and_b32_e32 v2, 7, v7
	v_ffbh_u32_e32 v10, v2
	v_min_u32_e32 v10, 32, v10
	v_lshrrev_b16_e32 v6, 3, v7
	v_subrev_u32_e32 v11, 28, v10
	v_and_b32_e32 v6, 15, v6
	v_lshlrev_b32_e32 v11, v11, v7
	v_sub_u32_e32 v10, 29, v10
	v_and_b32_e32 v11, 7, v11
	v_cmp_eq_u16_e32 vcc, 0, v6
	v_cndmask_b32_e32 v2, v2, v11, vcc
	v_cndmask_b32_e32 v6, v6, v10, vcc
	v_lshlrev_b32_e32 v10, 24, v7
	v_mov_b32_e32 v11, 0x3b800000
	v_lshlrev_b32_e32 v2, 20, v2
	v_and_b32_e32 v10, 0x80000000, v10
	v_lshl_add_u32 v6, v6, 23, v11
	v_or3_b32 v2, v10, v6, v2
.LBB51_420:
	s_or_b64 exec, exec, s[6:7]
	s_movk_i32 s4, 0x7f
	v_cmp_gt_i16_sdwa s[6:7], v3, s4 src0_sel:BYTE_0 src1_sel:DWORD
	s_mov_b64 s[4:5], 0
                                        ; implicit-def: $sgpr10
	s_and_saveexec_b64 s[8:9], s[6:7]
	s_xor_b64 s[6:7], exec, s[8:9]
	s_cbranch_execnz .LBB51_2469
; %bb.421:
	s_or_saveexec_b64 s[6:7], s[6:7]
	v_mov_b32_e32 v6, s10
	s_xor_b64 exec, exec, s[6:7]
	s_cbranch_execnz .LBB51_2472
.LBB51_422:
	s_or_b64 exec, exec, s[6:7]
	s_and_saveexec_b64 s[6:7], s[4:5]
	s_cbranch_execz .LBB51_424
.LBB51_423:
	v_and_b32_e32 v6, 7, v3
	v_ffbh_u32_e32 v11, v6
	v_min_u32_e32 v11, 32, v11
	v_lshrrev_b16_e32 v10, 3, v3
	v_subrev_u32_e32 v12, 28, v11
	v_and_b32_e32 v10, 15, v10
	v_lshlrev_b32_e32 v12, v12, v3
	v_sub_u32_e32 v11, 29, v11
	v_and_b32_e32 v12, 7, v12
	v_cmp_eq_u16_e32 vcc, 0, v10
	v_cndmask_b32_e32 v6, v6, v12, vcc
	v_cndmask_b32_e32 v10, v10, v11, vcc
	v_lshlrev_b32_e32 v11, 24, v3
	v_mov_b32_e32 v12, 0x3b800000
	v_lshlrev_b32_e32 v6, 20, v6
	v_and_b32_e32 v11, 0x80000000, v11
	v_lshl_add_u32 v10, v10, 23, v12
	v_or3_b32 v6, v11, v10, v6
.LBB51_424:
	s_or_b64 exec, exec, s[6:7]
	s_nop 0
	v_mfma_f32_16x16x4f32 a[0:3], v2, v6, a[0:3]
	v_lshrrev_b32_e32 v6, 8, v7
	s_movk_i32 s4, 0x7f
	v_cmp_gt_i16_sdwa s[6:7], v6, s4 src0_sel:BYTE_0 src1_sel:DWORD
	s_mov_b64 s[4:5], 0
                                        ; implicit-def: $sgpr10
	s_and_saveexec_b64 s[8:9], s[6:7]
	s_xor_b64 s[6:7], exec, s[8:9]
	s_cbranch_execnz .LBB51_2473
; %bb.425:
	s_or_saveexec_b64 s[6:7], s[6:7]
	v_mov_b32_e32 v2, s10
	s_xor_b64 exec, exec, s[6:7]
	s_cbranch_execnz .LBB51_2476
.LBB51_426:
	s_or_b64 exec, exec, s[6:7]
	s_and_saveexec_b64 s[6:7], s[4:5]
	s_cbranch_execz .LBB51_428
.LBB51_427:
	v_bfe_u32 v2, v7, 8, 3
	v_ffbh_u32_e32 v11, v2
	v_min_u32_e32 v11, 32, v11
	v_lshrrev_b16_e32 v10, 3, v6
	v_subrev_u32_e32 v12, 28, v11
	v_and_b32_e32 v10, 15, v10
	v_lshlrev_b32_e32 v6, v12, v6
	v_sub_u32_e32 v11, 29, v11
	v_and_b32_e32 v6, 7, v6
	v_cmp_eq_u16_e32 vcc, 0, v10
	v_cndmask_b32_e32 v2, v2, v6, vcc
	v_cndmask_b32_e32 v6, v10, v11, vcc
	v_lshlrev_b32_e32 v10, 16, v7
	v_mov_b32_e32 v11, 0x3b800000
	v_lshlrev_b32_e32 v2, 20, v2
	v_and_b32_e32 v10, 0x80000000, v10
	v_lshl_add_u32 v6, v6, 23, v11
	v_or3_b32 v2, v10, v6, v2
.LBB51_428:
	s_or_b64 exec, exec, s[6:7]
	v_lshrrev_b32_e32 v6, 8, v3
	s_movk_i32 s4, 0x7f
	v_cmp_gt_i16_sdwa s[6:7], v6, s4 src0_sel:BYTE_0 src1_sel:DWORD
	s_mov_b64 s[4:5], 0
                                        ; implicit-def: $sgpr10
	s_and_saveexec_b64 s[8:9], s[6:7]
	s_xor_b64 s[6:7], exec, s[8:9]
	s_cbranch_execnz .LBB51_2477
; %bb.429:
	s_or_saveexec_b64 s[6:7], s[6:7]
	v_mov_b32_e32 v10, s10
	s_xor_b64 exec, exec, s[6:7]
	s_cbranch_execnz .LBB51_2480
.LBB51_430:
	s_or_b64 exec, exec, s[6:7]
	s_and_saveexec_b64 s[6:7], s[4:5]
	s_cbranch_execz .LBB51_432
.LBB51_431:
	v_bfe_u32 v10, v3, 8, 3
	v_ffbh_u32_e32 v12, v10
	v_min_u32_e32 v12, 32, v12
	v_lshrrev_b16_e32 v11, 3, v6
	v_subrev_u32_e32 v13, 28, v12
	v_and_b32_e32 v11, 15, v11
	v_lshlrev_b32_e32 v6, v13, v6
	v_sub_u32_e32 v12, 29, v12
	v_and_b32_e32 v6, 7, v6
	v_cmp_eq_u16_e32 vcc, 0, v11
	v_cndmask_b32_e32 v6, v10, v6, vcc
	v_cndmask_b32_e32 v10, v11, v12, vcc
	v_lshlrev_b32_e32 v11, 16, v3
	v_mov_b32_e32 v12, 0x3b800000
	v_lshlrev_b32_e32 v6, 20, v6
	v_and_b32_e32 v11, 0x80000000, v11
	v_lshl_add_u32 v10, v10, 23, v12
	v_or3_b32 v10, v11, v10, v6
.LBB51_432:
	s_or_b64 exec, exec, s[6:7]
	s_nop 0
	v_mfma_f32_16x16x4f32 a[0:3], v2, v10, a[0:3]
	s_movk_i32 s4, 0xff
	v_and_b32_sdwa v6, v7, s4 dst_sel:DWORD dst_unused:UNUSED_PAD src0_sel:WORD_1 src1_sel:DWORD
	s_movk_i32 s4, 0x7f
	v_cmp_lt_i16_e32 vcc, s4, v6
	s_mov_b64 s[4:5], 0
                                        ; implicit-def: $sgpr10
	s_and_saveexec_b64 s[6:7], vcc
	s_xor_b64 s[6:7], exec, s[6:7]
	s_cbranch_execnz .LBB51_2481
; %bb.433:
	s_or_saveexec_b64 s[6:7], s[6:7]
	v_mov_b32_e32 v2, s10
	s_xor_b64 exec, exec, s[6:7]
	s_cbranch_execnz .LBB51_2484
.LBB51_434:
	s_or_b64 exec, exec, s[6:7]
	s_and_saveexec_b64 s[6:7], s[4:5]
	s_cbranch_execz .LBB51_436
.LBB51_435:
	v_bfe_u32 v2, v7, 16, 3
	v_ffbh_u32_e32 v11, v2
	v_min_u32_e32 v11, 32, v11
	v_lshrrev_b32_e32 v6, 19, v7
	v_subrev_u32_e32 v12, 28, v11
	v_and_b32_e32 v6, 15, v6
	v_lshlrev_b32_sdwa v12, v12, v7 dst_sel:DWORD dst_unused:UNUSED_PAD src0_sel:DWORD src1_sel:WORD_1
	v_bfe_u32 v10, v7, 19, 4
	v_sub_u32_e32 v11, 29, v11
	v_and_b32_e32 v12, 7, v12
	v_cmp_eq_u16_e32 vcc, 0, v6
	v_cndmask_b32_e32 v2, v2, v12, vcc
	v_cndmask_b32_e32 v6, v10, v11, vcc
	v_lshlrev_b32_e32 v10, 8, v7
	v_mov_b32_e32 v11, 0x3b800000
	v_lshlrev_b32_e32 v2, 20, v2
	v_and_b32_e32 v10, 0x80000000, v10
	v_lshl_add_u32 v6, v6, 23, v11
	v_or3_b32 v2, v10, v6, v2
.LBB51_436:
	s_or_b64 exec, exec, s[6:7]
	s_movk_i32 s4, 0xff
	v_and_b32_sdwa v6, v3, s4 dst_sel:DWORD dst_unused:UNUSED_PAD src0_sel:WORD_1 src1_sel:DWORD
	s_movk_i32 s4, 0x7f
	v_cmp_lt_i16_e32 vcc, s4, v6
	s_mov_b64 s[4:5], 0
                                        ; implicit-def: $sgpr10
	s_and_saveexec_b64 s[6:7], vcc
	s_xor_b64 s[6:7], exec, s[6:7]
	s_cbranch_execnz .LBB51_2485
; %bb.437:
	s_or_saveexec_b64 s[6:7], s[6:7]
	v_mov_b32_e32 v10, s10
	s_xor_b64 exec, exec, s[6:7]
	s_cbranch_execnz .LBB51_2488
.LBB51_438:
	s_or_b64 exec, exec, s[6:7]
	s_and_saveexec_b64 s[6:7], s[4:5]
	s_cbranch_execz .LBB51_440
.LBB51_439:
	v_bfe_u32 v6, v3, 16, 3
	v_ffbh_u32_e32 v12, v6
	v_min_u32_e32 v12, 32, v12
	v_lshrrev_b32_e32 v10, 19, v3
	v_subrev_u32_e32 v13, 28, v12
	v_and_b32_e32 v10, 15, v10
	v_lshlrev_b32_sdwa v13, v13, v3 dst_sel:DWORD dst_unused:UNUSED_PAD src0_sel:DWORD src1_sel:WORD_1
	v_bfe_u32 v11, v3, 19, 4
	v_sub_u32_e32 v12, 29, v12
	v_and_b32_e32 v13, 7, v13
	v_cmp_eq_u16_e32 vcc, 0, v10
	v_cndmask_b32_e32 v6, v6, v13, vcc
	v_cndmask_b32_e32 v10, v11, v12, vcc
	v_lshlrev_b32_e32 v11, 8, v3
	v_mov_b32_e32 v12, 0x3b800000
	v_lshlrev_b32_e32 v6, 20, v6
	v_and_b32_e32 v11, 0x80000000, v11
	v_lshl_add_u32 v10, v10, 23, v12
	v_or3_b32 v10, v11, v10, v6
.LBB51_440:
	s_or_b64 exec, exec, s[6:7]
	s_nop 0
	v_mfma_f32_16x16x4f32 a[0:3], v2, v10, a[0:3]
	s_movk_i32 s4, 0x7f
	v_cmp_gt_i16_sdwa s[6:7], v7, s4 src0_sel:BYTE_3 src1_sel:DWORD
	s_mov_b64 s[4:5], 0
                                        ; implicit-def: $sgpr10
	s_and_saveexec_b64 s[8:9], s[6:7]
	s_xor_b64 s[6:7], exec, s[8:9]
	s_cbranch_execnz .LBB51_2489
; %bb.441:
	s_or_saveexec_b64 s[6:7], s[6:7]
	v_mov_b32_e32 v2, s10
	s_xor_b64 exec, exec, s[6:7]
	s_cbranch_execnz .LBB51_2492
.LBB51_442:
	s_or_b64 exec, exec, s[6:7]
	s_and_saveexec_b64 s[6:7], s[4:5]
	s_cbranch_execz .LBB51_444
.LBB51_443:
	v_bfe_u32 v2, v7, 24, 3
	v_ffbh_u32_e32 v12, v2
	v_min_u32_e32 v12, 32, v12
	v_lshrrev_b32_e32 v10, 27, v7
	v_subrev_u32_e32 v13, 28, v12
	v_and_b32_e32 v6, 0x80000000, v7
	v_and_b32_e32 v10, 15, v10
	v_bfe_u32 v11, v7, 27, 4
	v_lshlrev_b32_sdwa v7, v13, v7 dst_sel:DWORD dst_unused:UNUSED_PAD src0_sel:DWORD src1_sel:BYTE_3
	v_sub_u32_e32 v12, 29, v12
	v_and_b32_e32 v7, 7, v7
	v_cmp_eq_u16_e32 vcc, 0, v10
	v_cndmask_b32_e32 v2, v2, v7, vcc
	v_cndmask_b32_e32 v7, v11, v12, vcc
	v_mov_b32_e32 v10, 0x3b800000
	v_lshlrev_b32_e32 v2, 20, v2
	v_lshl_add_u32 v7, v7, 23, v10
	v_or3_b32 v2, v6, v7, v2
.LBB51_444:
	s_or_b64 exec, exec, s[6:7]
	s_movk_i32 s4, 0x7f
	v_cmp_gt_i16_sdwa s[6:7], v3, s4 src0_sel:BYTE_3 src1_sel:DWORD
	s_mov_b64 s[4:5], 0
                                        ; implicit-def: $sgpr10
	s_and_saveexec_b64 s[8:9], s[6:7]
	s_xor_b64 s[6:7], exec, s[8:9]
	s_cbranch_execnz .LBB51_2493
; %bb.445:
	s_or_saveexec_b64 s[6:7], s[6:7]
	v_mov_b32_e32 v6, s10
	s_xor_b64 exec, exec, s[6:7]
	s_cbranch_execnz .LBB51_2496
.LBB51_446:
	s_or_b64 exec, exec, s[6:7]
	s_and_saveexec_b64 s[6:7], s[4:5]
	s_cbranch_execz .LBB51_448
.LBB51_447:
	v_bfe_u32 v6, v3, 24, 3
	v_ffbh_u32_e32 v12, v6
	v_min_u32_e32 v12, 32, v12
	v_lshrrev_b32_e32 v10, 27, v3
	v_subrev_u32_e32 v13, 28, v12
	v_and_b32_e32 v7, 0x80000000, v3
	v_and_b32_e32 v10, 15, v10
	v_bfe_u32 v11, v3, 27, 4
	v_lshlrev_b32_sdwa v3, v13, v3 dst_sel:DWORD dst_unused:UNUSED_PAD src0_sel:DWORD src1_sel:BYTE_3
	v_sub_u32_e32 v12, 29, v12
	v_and_b32_e32 v3, 7, v3
	v_cmp_eq_u16_e32 vcc, 0, v10
	v_cndmask_b32_e32 v3, v6, v3, vcc
	v_cndmask_b32_e32 v6, v11, v12, vcc
	v_mov_b32_e32 v10, 0x3b800000
	v_lshlrev_b32_e32 v3, 20, v3
	v_lshl_add_u32 v6, v6, 23, v10
	v_or3_b32 v6, v7, v6, v3
.LBB51_448:
	s_or_b64 exec, exec, s[6:7]
	s_nop 0
	v_mfma_f32_16x16x4f32 a[0:3], v2, v6, a[0:3]
	s_movk_i32 s4, 0x7f
	v_cmp_gt_i16_sdwa s[6:7], v8, s4 src0_sel:BYTE_0 src1_sel:DWORD
	s_mov_b64 s[4:5], 0
                                        ; implicit-def: $sgpr10
	s_and_saveexec_b64 s[8:9], s[6:7]
	s_xor_b64 s[6:7], exec, s[8:9]
	s_cbranch_execnz .LBB51_2497
; %bb.449:
	s_or_saveexec_b64 s[6:7], s[6:7]
	v_mov_b32_e32 v2, s10
	s_xor_b64 exec, exec, s[6:7]
	s_cbranch_execnz .LBB51_2500
.LBB51_450:
	s_or_b64 exec, exec, s[6:7]
	s_and_saveexec_b64 s[6:7], s[4:5]
	s_cbranch_execz .LBB51_452
.LBB51_451:
	v_and_b32_e32 v2, 7, v8
	v_ffbh_u32_e32 v6, v2
	v_min_u32_e32 v6, 32, v6
	v_lshrrev_b16_e32 v3, 3, v8
	v_subrev_u32_e32 v7, 28, v6
	v_and_b32_e32 v3, 15, v3
	v_lshlrev_b32_e32 v7, v7, v8
	v_sub_u32_e32 v6, 29, v6
	v_and_b32_e32 v7, 7, v7
	v_cmp_eq_u16_e32 vcc, 0, v3
	v_cndmask_b32_e32 v2, v2, v7, vcc
	v_cndmask_b32_e32 v3, v3, v6, vcc
	v_lshlrev_b32_e32 v6, 24, v8
	v_mov_b32_e32 v7, 0x3b800000
	v_lshlrev_b32_e32 v2, 20, v2
	v_and_b32_e32 v6, 0x80000000, v6
	v_lshl_add_u32 v3, v3, 23, v7
	v_or3_b32 v2, v6, v3, v2
.LBB51_452:
	s_or_b64 exec, exec, s[6:7]
	s_movk_i32 s4, 0x7f
	v_cmp_gt_i16_sdwa s[6:7], v4, s4 src0_sel:BYTE_0 src1_sel:DWORD
	s_mov_b64 s[4:5], 0
                                        ; implicit-def: $sgpr10
	s_and_saveexec_b64 s[8:9], s[6:7]
	s_xor_b64 s[6:7], exec, s[8:9]
	s_cbranch_execnz .LBB51_2501
; %bb.453:
	s_or_saveexec_b64 s[6:7], s[6:7]
	v_mov_b32_e32 v3, s10
	s_xor_b64 exec, exec, s[6:7]
	s_cbranch_execnz .LBB51_2504
.LBB51_454:
	s_or_b64 exec, exec, s[6:7]
	s_and_saveexec_b64 s[6:7], s[4:5]
	s_cbranch_execz .LBB51_456
.LBB51_455:
	v_and_b32_e32 v3, 7, v4
	v_ffbh_u32_e32 v7, v3
	v_min_u32_e32 v7, 32, v7
	v_lshrrev_b16_e32 v6, 3, v4
	v_subrev_u32_e32 v10, 28, v7
	v_and_b32_e32 v6, 15, v6
	v_lshlrev_b32_e32 v10, v10, v4
	v_sub_u32_e32 v7, 29, v7
	v_and_b32_e32 v10, 7, v10
	v_cmp_eq_u16_e32 vcc, 0, v6
	v_cndmask_b32_e32 v3, v3, v10, vcc
	v_cndmask_b32_e32 v6, v6, v7, vcc
	v_lshlrev_b32_e32 v7, 24, v4
	v_mov_b32_e32 v10, 0x3b800000
	v_lshlrev_b32_e32 v3, 20, v3
	v_and_b32_e32 v7, 0x80000000, v7
	v_lshl_add_u32 v6, v6, 23, v10
	v_or3_b32 v3, v7, v6, v3
.LBB51_456:
	s_or_b64 exec, exec, s[6:7]
	s_nop 0
	v_mfma_f32_16x16x4f32 a[0:3], v2, v3, a[0:3]
	v_lshrrev_b32_e32 v3, 8, v8
	s_movk_i32 s4, 0x7f
	v_cmp_gt_i16_sdwa s[6:7], v3, s4 src0_sel:BYTE_0 src1_sel:DWORD
	s_mov_b64 s[4:5], 0
                                        ; implicit-def: $sgpr10
	s_and_saveexec_b64 s[8:9], s[6:7]
	s_xor_b64 s[6:7], exec, s[8:9]
	s_cbranch_execnz .LBB51_2505
; %bb.457:
	s_or_saveexec_b64 s[6:7], s[6:7]
	v_mov_b32_e32 v2, s10
	s_xor_b64 exec, exec, s[6:7]
	s_cbranch_execnz .LBB51_2508
.LBB51_458:
	s_or_b64 exec, exec, s[6:7]
	s_and_saveexec_b64 s[6:7], s[4:5]
	s_cbranch_execz .LBB51_460
.LBB51_459:
	v_bfe_u32 v2, v8, 8, 3
	v_ffbh_u32_e32 v7, v2
	v_min_u32_e32 v7, 32, v7
	v_lshrrev_b16_e32 v6, 3, v3
	v_subrev_u32_e32 v10, 28, v7
	v_and_b32_e32 v6, 15, v6
	v_lshlrev_b32_e32 v3, v10, v3
	v_sub_u32_e32 v7, 29, v7
	v_and_b32_e32 v3, 7, v3
	v_cmp_eq_u16_e32 vcc, 0, v6
	v_cndmask_b32_e32 v2, v2, v3, vcc
	v_cndmask_b32_e32 v3, v6, v7, vcc
	v_lshlrev_b32_e32 v6, 16, v8
	v_mov_b32_e32 v7, 0x3b800000
	v_lshlrev_b32_e32 v2, 20, v2
	v_and_b32_e32 v6, 0x80000000, v6
	v_lshl_add_u32 v3, v3, 23, v7
	v_or3_b32 v2, v6, v3, v2
.LBB51_460:
	s_or_b64 exec, exec, s[6:7]
	v_lshrrev_b32_e32 v3, 8, v4
	s_movk_i32 s4, 0x7f
	v_cmp_gt_i16_sdwa s[6:7], v3, s4 src0_sel:BYTE_0 src1_sel:DWORD
	s_mov_b64 s[4:5], 0
                                        ; implicit-def: $sgpr10
	s_and_saveexec_b64 s[8:9], s[6:7]
	s_xor_b64 s[6:7], exec, s[8:9]
	s_cbranch_execnz .LBB51_2509
; %bb.461:
	s_or_saveexec_b64 s[6:7], s[6:7]
	v_mov_b32_e32 v6, s10
	s_xor_b64 exec, exec, s[6:7]
	s_cbranch_execnz .LBB51_2512
.LBB51_462:
	s_or_b64 exec, exec, s[6:7]
	s_and_saveexec_b64 s[6:7], s[4:5]
	s_cbranch_execz .LBB51_464
.LBB51_463:
	v_bfe_u32 v6, v4, 8, 3
	v_ffbh_u32_e32 v10, v6
	v_min_u32_e32 v10, 32, v10
	v_lshrrev_b16_e32 v7, 3, v3
	v_subrev_u32_e32 v11, 28, v10
	v_and_b32_e32 v7, 15, v7
	v_lshlrev_b32_e32 v3, v11, v3
	v_sub_u32_e32 v10, 29, v10
	v_and_b32_e32 v3, 7, v3
	v_cmp_eq_u16_e32 vcc, 0, v7
	v_cndmask_b32_e32 v3, v6, v3, vcc
	v_cndmask_b32_e32 v6, v7, v10, vcc
	v_lshlrev_b32_e32 v7, 16, v4
	v_mov_b32_e32 v10, 0x3b800000
	v_lshlrev_b32_e32 v3, 20, v3
	v_and_b32_e32 v7, 0x80000000, v7
	v_lshl_add_u32 v6, v6, 23, v10
	v_or3_b32 v6, v7, v6, v3
.LBB51_464:
	s_or_b64 exec, exec, s[6:7]
	s_nop 0
	v_mfma_f32_16x16x4f32 a[0:3], v2, v6, a[0:3]
	s_movk_i32 s4, 0xff
	v_and_b32_sdwa v3, v8, s4 dst_sel:DWORD dst_unused:UNUSED_PAD src0_sel:WORD_1 src1_sel:DWORD
	s_movk_i32 s4, 0x7f
	v_cmp_lt_i16_e32 vcc, s4, v3
	s_mov_b64 s[4:5], 0
                                        ; implicit-def: $sgpr10
	s_and_saveexec_b64 s[6:7], vcc
	s_xor_b64 s[6:7], exec, s[6:7]
	s_cbranch_execnz .LBB51_2513
; %bb.465:
	s_or_saveexec_b64 s[6:7], s[6:7]
	v_mov_b32_e32 v2, s10
	s_xor_b64 exec, exec, s[6:7]
	s_cbranch_execnz .LBB51_2516
.LBB51_466:
	s_or_b64 exec, exec, s[6:7]
	s_and_saveexec_b64 s[6:7], s[4:5]
	s_cbranch_execz .LBB51_468
.LBB51_467:
	v_bfe_u32 v2, v8, 16, 3
	v_ffbh_u32_e32 v7, v2
	v_min_u32_e32 v7, 32, v7
	v_lshrrev_b32_e32 v3, 19, v8
	v_subrev_u32_e32 v10, 28, v7
	v_and_b32_e32 v3, 15, v3
	v_lshlrev_b32_sdwa v10, v10, v8 dst_sel:DWORD dst_unused:UNUSED_PAD src0_sel:DWORD src1_sel:WORD_1
	v_bfe_u32 v6, v8, 19, 4
	v_sub_u32_e32 v7, 29, v7
	v_and_b32_e32 v10, 7, v10
	v_cmp_eq_u16_e32 vcc, 0, v3
	v_cndmask_b32_e32 v2, v2, v10, vcc
	v_cndmask_b32_e32 v3, v6, v7, vcc
	v_lshlrev_b32_e32 v6, 8, v8
	v_mov_b32_e32 v7, 0x3b800000
	v_lshlrev_b32_e32 v2, 20, v2
	v_and_b32_e32 v6, 0x80000000, v6
	v_lshl_add_u32 v3, v3, 23, v7
	v_or3_b32 v2, v6, v3, v2
.LBB51_468:
	s_or_b64 exec, exec, s[6:7]
	s_movk_i32 s4, 0xff
	v_and_b32_sdwa v3, v4, s4 dst_sel:DWORD dst_unused:UNUSED_PAD src0_sel:WORD_1 src1_sel:DWORD
	s_movk_i32 s4, 0x7f
	v_cmp_lt_i16_e32 vcc, s4, v3
	s_mov_b64 s[4:5], 0
                                        ; implicit-def: $sgpr10
	s_and_saveexec_b64 s[6:7], vcc
	s_xor_b64 s[6:7], exec, s[6:7]
	s_cbranch_execnz .LBB51_2517
; %bb.469:
	s_or_saveexec_b64 s[6:7], s[6:7]
	v_mov_b32_e32 v6, s10
	s_xor_b64 exec, exec, s[6:7]
	s_cbranch_execnz .LBB51_2520
.LBB51_470:
	s_or_b64 exec, exec, s[6:7]
	s_and_saveexec_b64 s[6:7], s[4:5]
	s_cbranch_execz .LBB51_472
.LBB51_471:
	v_bfe_u32 v3, v4, 16, 3
	v_ffbh_u32_e32 v10, v3
	v_min_u32_e32 v10, 32, v10
	v_lshrrev_b32_e32 v6, 19, v4
	v_subrev_u32_e32 v11, 28, v10
	v_and_b32_e32 v6, 15, v6
	v_lshlrev_b32_sdwa v11, v11, v4 dst_sel:DWORD dst_unused:UNUSED_PAD src0_sel:DWORD src1_sel:WORD_1
	v_bfe_u32 v7, v4, 19, 4
	v_sub_u32_e32 v10, 29, v10
	v_and_b32_e32 v11, 7, v11
	v_cmp_eq_u16_e32 vcc, 0, v6
	v_cndmask_b32_e32 v3, v3, v11, vcc
	v_cndmask_b32_e32 v6, v7, v10, vcc
	v_lshlrev_b32_e32 v7, 8, v4
	v_mov_b32_e32 v10, 0x3b800000
	v_lshlrev_b32_e32 v3, 20, v3
	v_and_b32_e32 v7, 0x80000000, v7
	v_lshl_add_u32 v6, v6, 23, v10
	v_or3_b32 v6, v7, v6, v3
.LBB51_472:
	s_or_b64 exec, exec, s[6:7]
	s_nop 0
	v_mfma_f32_16x16x4f32 a[0:3], v2, v6, a[0:3]
	s_movk_i32 s4, 0x7f
	v_cmp_gt_i16_sdwa s[6:7], v8, s4 src0_sel:BYTE_3 src1_sel:DWORD
	s_mov_b64 s[4:5], 0
                                        ; implicit-def: $sgpr10
	s_and_saveexec_b64 s[8:9], s[6:7]
	s_xor_b64 s[6:7], exec, s[8:9]
	s_cbranch_execnz .LBB51_2521
; %bb.473:
	s_or_saveexec_b64 s[6:7], s[6:7]
	v_mov_b32_e32 v2, s10
	s_xor_b64 exec, exec, s[6:7]
	s_cbranch_execnz .LBB51_2524
.LBB51_474:
	s_or_b64 exec, exec, s[6:7]
	s_and_saveexec_b64 s[6:7], s[4:5]
	s_cbranch_execz .LBB51_476
.LBB51_475:
	v_bfe_u32 v2, v8, 24, 3
	v_ffbh_u32_e32 v10, v2
	v_min_u32_e32 v10, 32, v10
	v_lshrrev_b32_e32 v6, 27, v8
	v_subrev_u32_e32 v11, 28, v10
	v_and_b32_e32 v3, 0x80000000, v8
	v_and_b32_e32 v6, 15, v6
	v_bfe_u32 v7, v8, 27, 4
	v_lshlrev_b32_sdwa v8, v11, v8 dst_sel:DWORD dst_unused:UNUSED_PAD src0_sel:DWORD src1_sel:BYTE_3
	v_sub_u32_e32 v10, 29, v10
	v_and_b32_e32 v8, 7, v8
	v_cmp_eq_u16_e32 vcc, 0, v6
	v_cndmask_b32_e32 v2, v2, v8, vcc
	v_cndmask_b32_e32 v6, v7, v10, vcc
	v_mov_b32_e32 v7, 0x3b800000
	v_lshlrev_b32_e32 v2, 20, v2
	v_lshl_add_u32 v6, v6, 23, v7
	v_or3_b32 v2, v3, v6, v2
.LBB51_476:
	s_or_b64 exec, exec, s[6:7]
	s_movk_i32 s4, 0x7f
	v_cmp_gt_i16_sdwa s[6:7], v4, s4 src0_sel:BYTE_3 src1_sel:DWORD
	s_mov_b64 s[4:5], 0
                                        ; implicit-def: $sgpr10
	s_and_saveexec_b64 s[8:9], s[6:7]
	s_xor_b64 s[6:7], exec, s[8:9]
	s_cbranch_execnz .LBB51_2525
; %bb.477:
	s_or_saveexec_b64 s[6:7], s[6:7]
	v_mov_b32_e32 v3, s10
	s_xor_b64 exec, exec, s[6:7]
	s_cbranch_execnz .LBB51_2528
.LBB51_478:
	s_or_b64 exec, exec, s[6:7]
	s_and_saveexec_b64 s[6:7], s[4:5]
	s_cbranch_execz .LBB51_480
.LBB51_479:
	v_bfe_u32 v3, v4, 24, 3
	v_ffbh_u32_e32 v10, v3
	v_min_u32_e32 v10, 32, v10
	v_lshrrev_b32_e32 v7, 27, v4
	v_subrev_u32_e32 v11, 28, v10
	v_and_b32_e32 v6, 0x80000000, v4
	v_and_b32_e32 v7, 15, v7
	v_bfe_u32 v8, v4, 27, 4
	v_lshlrev_b32_sdwa v4, v11, v4 dst_sel:DWORD dst_unused:UNUSED_PAD src0_sel:DWORD src1_sel:BYTE_3
	v_sub_u32_e32 v10, 29, v10
	v_and_b32_e32 v4, 7, v4
	v_cmp_eq_u16_e32 vcc, 0, v7
	v_cndmask_b32_e32 v3, v3, v4, vcc
	v_cndmask_b32_e32 v4, v8, v10, vcc
	v_mov_b32_e32 v7, 0x3b800000
	v_lshlrev_b32_e32 v3, 20, v3
	v_lshl_add_u32 v4, v4, 23, v7
	v_or3_b32 v3, v6, v4, v3
.LBB51_480:
	s_or_b64 exec, exec, s[6:7]
	s_nop 0
	v_mfma_f32_16x16x4f32 a[0:3], v2, v3, a[0:3]
	s_movk_i32 s4, 0x7f
	v_cmp_gt_i16_sdwa s[6:7], v9, s4 src0_sel:BYTE_0 src1_sel:DWORD
	s_mov_b64 s[4:5], 0
                                        ; implicit-def: $sgpr10
	s_and_saveexec_b64 s[8:9], s[6:7]
	s_xor_b64 s[6:7], exec, s[8:9]
	s_cbranch_execnz .LBB51_2529
; %bb.481:
	s_or_saveexec_b64 s[6:7], s[6:7]
	v_mov_b32_e32 v2, s10
	s_xor_b64 exec, exec, s[6:7]
	s_cbranch_execnz .LBB51_2532
.LBB51_482:
	s_or_b64 exec, exec, s[6:7]
	s_and_saveexec_b64 s[6:7], s[4:5]
	s_cbranch_execz .LBB51_484
.LBB51_483:
	v_mov_b32_e32 v2, 8
	v_and_b32_e32 v3, 7, v9
	v_lshrrev_b32_sdwa v2, v2, v9 dst_sel:BYTE_1 dst_unused:UNUSED_PAD src0_sel:DWORD src1_sel:DWORD
	v_ffbh_u32_e32 v4, v3
	v_or_b32_sdwa v2, v9, v2 dst_sel:DWORD dst_unused:UNUSED_PAD src0_sel:BYTE_0 src1_sel:DWORD
	v_min_u32_e32 v4, 32, v4
	v_lshrrev_b16_e32 v2, 3, v2
	v_subrev_u32_e32 v6, 28, v4
	v_and_b32_e32 v2, 15, v2
	v_lshlrev_b32_e32 v6, v6, v9
	v_sub_u32_e32 v4, 29, v4
	v_and_b32_e32 v6, 7, v6
	v_cmp_eq_u16_e32 vcc, 0, v2
	v_cndmask_b32_e32 v3, v3, v6, vcc
	v_cndmask_b32_e32 v2, v2, v4, vcc
	v_lshlrev_b32_e32 v4, 24, v9
	v_mov_b32_e32 v6, 0x3b800000
	v_lshlrev_b32_e32 v3, 20, v3
	v_and_b32_e32 v4, 0x80000000, v4
	v_lshl_add_u32 v2, v2, 23, v6
	v_or3_b32 v2, v4, v2, v3
.LBB51_484:
	s_or_b64 exec, exec, s[6:7]
	s_movk_i32 s4, 0x7f
	v_cmp_gt_i16_sdwa s[6:7], v5, s4 src0_sel:BYTE_0 src1_sel:DWORD
	s_mov_b64 s[4:5], 0
                                        ; implicit-def: $sgpr10
	s_and_saveexec_b64 s[8:9], s[6:7]
	s_xor_b64 s[6:7], exec, s[8:9]
	s_cbranch_execnz .LBB51_2533
; %bb.485:
	s_or_saveexec_b64 s[6:7], s[6:7]
	v_mov_b32_e32 v3, s10
	s_xor_b64 exec, exec, s[6:7]
	s_cbranch_execnz .LBB51_2536
.LBB51_486:
	s_or_b64 exec, exec, s[6:7]
	s_and_saveexec_b64 s[6:7], s[4:5]
	s_cbranch_execz .LBB51_488
.LBB51_487:
	v_mov_b32_e32 v3, 8
	v_and_b32_e32 v4, 7, v5
	v_lshrrev_b32_sdwa v3, v3, v5 dst_sel:BYTE_1 dst_unused:UNUSED_PAD src0_sel:DWORD src1_sel:DWORD
	v_ffbh_u32_e32 v6, v4
	v_or_b32_sdwa v3, v5, v3 dst_sel:DWORD dst_unused:UNUSED_PAD src0_sel:BYTE_0 src1_sel:DWORD
	v_min_u32_e32 v6, 32, v6
	v_lshrrev_b16_e32 v3, 3, v3
	v_subrev_u32_e32 v7, 28, v6
	v_and_b32_e32 v3, 15, v3
	v_lshlrev_b32_e32 v7, v7, v5
	v_sub_u32_e32 v6, 29, v6
	v_and_b32_e32 v7, 7, v7
	v_cmp_eq_u16_e32 vcc, 0, v3
	v_cndmask_b32_e32 v4, v4, v7, vcc
	v_cndmask_b32_e32 v3, v3, v6, vcc
	v_lshlrev_b32_e32 v6, 24, v5
	v_mov_b32_e32 v7, 0x3b800000
	v_lshlrev_b32_e32 v4, 20, v4
	v_and_b32_e32 v6, 0x80000000, v6
	v_lshl_add_u32 v3, v3, 23, v7
	v_or3_b32 v3, v6, v3, v4
.LBB51_488:
	s_or_b64 exec, exec, s[6:7]
	s_nop 0
	v_mfma_f32_16x16x4f32 a[0:3], v2, v3, a[0:3]
	v_lshrrev_b32_e32 v3, 8, v9
	s_movk_i32 s4, 0x7f
	v_cmp_gt_i16_sdwa s[6:7], v3, s4 src0_sel:BYTE_0 src1_sel:DWORD
	s_mov_b64 s[4:5], 0
                                        ; implicit-def: $sgpr10
	s_and_saveexec_b64 s[8:9], s[6:7]
	s_xor_b64 s[6:7], exec, s[8:9]
	s_cbranch_execnz .LBB51_2537
; %bb.489:
	s_or_saveexec_b64 s[6:7], s[6:7]
	v_mov_b32_e32 v2, s10
	s_xor_b64 exec, exec, s[6:7]
	s_cbranch_execnz .LBB51_2540
.LBB51_490:
	s_or_b64 exec, exec, s[6:7]
	s_and_saveexec_b64 s[6:7], s[4:5]
	s_cbranch_execz .LBB51_492
.LBB51_491:
	v_bfe_u32 v2, v9, 8, 3
	v_ffbh_u32_e32 v6, v2
	v_min_u32_e32 v6, 32, v6
	v_lshrrev_b16_e32 v4, 3, v3
	v_subrev_u32_e32 v7, 28, v6
	v_and_b32_e32 v4, 15, v4
	v_lshlrev_b32_e32 v3, v7, v3
	v_sub_u32_e32 v6, 29, v6
	v_and_b32_e32 v3, 7, v3
	v_cmp_eq_u16_e32 vcc, 0, v4
	v_cndmask_b32_e32 v2, v2, v3, vcc
	v_cndmask_b32_e32 v3, v4, v6, vcc
	v_lshlrev_b32_e32 v4, 16, v9
	v_mov_b32_e32 v6, 0x3b800000
	v_lshlrev_b32_e32 v2, 20, v2
	v_and_b32_e32 v4, 0x80000000, v4
	v_lshl_add_u32 v3, v3, 23, v6
	v_or3_b32 v2, v4, v3, v2
.LBB51_492:
	s_or_b64 exec, exec, s[6:7]
	v_lshrrev_b32_e32 v3, 8, v5
	s_movk_i32 s4, 0x7f
	v_cmp_gt_i16_sdwa s[6:7], v3, s4 src0_sel:BYTE_0 src1_sel:DWORD
	s_mov_b64 s[4:5], 0
                                        ; implicit-def: $sgpr10
	s_and_saveexec_b64 s[8:9], s[6:7]
	s_xor_b64 s[6:7], exec, s[8:9]
	s_cbranch_execnz .LBB51_2541
; %bb.493:
	s_or_saveexec_b64 s[6:7], s[6:7]
	v_mov_b32_e32 v4, s10
	s_xor_b64 exec, exec, s[6:7]
	s_cbranch_execnz .LBB51_2544
.LBB51_494:
	s_or_b64 exec, exec, s[6:7]
	s_and_saveexec_b64 s[6:7], s[4:5]
	s_cbranch_execz .LBB51_496
.LBB51_495:
	v_bfe_u32 v4, v5, 8, 3
	v_ffbh_u32_e32 v7, v4
	v_min_u32_e32 v7, 32, v7
	v_lshrrev_b16_e32 v6, 3, v3
	v_subrev_u32_e32 v8, 28, v7
	v_and_b32_e32 v6, 15, v6
	v_lshlrev_b32_e32 v3, v8, v3
	v_sub_u32_e32 v7, 29, v7
	v_and_b32_e32 v3, 7, v3
	v_cmp_eq_u16_e32 vcc, 0, v6
	v_cndmask_b32_e32 v3, v4, v3, vcc
	v_cndmask_b32_e32 v4, v6, v7, vcc
	v_lshlrev_b32_e32 v6, 16, v5
	v_mov_b32_e32 v7, 0x3b800000
	v_lshlrev_b32_e32 v3, 20, v3
	v_and_b32_e32 v6, 0x80000000, v6
	v_lshl_add_u32 v4, v4, 23, v7
	v_or3_b32 v4, v6, v4, v3
.LBB51_496:
	s_or_b64 exec, exec, s[6:7]
	s_nop 0
	v_mfma_f32_16x16x4f32 a[0:3], v2, v4, a[0:3]
	s_movk_i32 s4, 0xff
	v_and_b32_sdwa v3, v9, s4 dst_sel:DWORD dst_unused:UNUSED_PAD src0_sel:WORD_1 src1_sel:DWORD
	s_movk_i32 s4, 0x7f
	v_cmp_lt_i16_e32 vcc, s4, v3
	s_mov_b64 s[4:5], 0
                                        ; implicit-def: $sgpr10
	s_and_saveexec_b64 s[6:7], vcc
	s_xor_b64 s[6:7], exec, s[6:7]
	s_cbranch_execnz .LBB51_2545
; %bb.497:
	s_or_saveexec_b64 s[6:7], s[6:7]
	v_mov_b32_e32 v2, s10
	s_xor_b64 exec, exec, s[6:7]
	s_cbranch_execnz .LBB51_2548
.LBB51_498:
	s_or_b64 exec, exec, s[6:7]
	s_and_saveexec_b64 s[6:7], s[4:5]
	s_cbranch_execz .LBB51_500
.LBB51_499:
	v_bfe_u32 v2, v9, 16, 3
	v_ffbh_u32_e32 v6, v2
	v_min_u32_e32 v6, 32, v6
	v_lshrrev_b32_e32 v3, 19, v9
	v_subrev_u32_e32 v7, 28, v6
	v_and_b32_e32 v3, 15, v3
	v_lshlrev_b32_sdwa v7, v7, v9 dst_sel:DWORD dst_unused:UNUSED_PAD src0_sel:DWORD src1_sel:WORD_1
	v_bfe_u32 v4, v9, 19, 4
	v_sub_u32_e32 v6, 29, v6
	v_and_b32_e32 v7, 7, v7
	v_cmp_eq_u16_e32 vcc, 0, v3
	v_cndmask_b32_e32 v2, v2, v7, vcc
	v_cndmask_b32_e32 v3, v4, v6, vcc
	v_lshlrev_b32_e32 v4, 8, v9
	v_mov_b32_e32 v6, 0x3b800000
	v_lshlrev_b32_e32 v2, 20, v2
	v_and_b32_e32 v4, 0x80000000, v4
	v_lshl_add_u32 v3, v3, 23, v6
	v_or3_b32 v2, v4, v3, v2
.LBB51_500:
	s_or_b64 exec, exec, s[6:7]
	s_movk_i32 s4, 0xff
	v_and_b32_sdwa v3, v5, s4 dst_sel:DWORD dst_unused:UNUSED_PAD src0_sel:WORD_1 src1_sel:DWORD
	s_movk_i32 s4, 0x7f
	v_cmp_lt_i16_e32 vcc, s4, v3
	s_mov_b64 s[4:5], 0
                                        ; implicit-def: $sgpr10
	s_and_saveexec_b64 s[6:7], vcc
	s_xor_b64 s[6:7], exec, s[6:7]
	s_cbranch_execnz .LBB51_2549
; %bb.501:
	s_or_saveexec_b64 s[6:7], s[6:7]
	v_mov_b32_e32 v4, s10
	s_xor_b64 exec, exec, s[6:7]
	s_cbranch_execnz .LBB51_2552
.LBB51_502:
	s_or_b64 exec, exec, s[6:7]
	s_and_saveexec_b64 s[6:7], s[4:5]
	s_cbranch_execz .LBB51_504
.LBB51_503:
	v_bfe_u32 v3, v5, 16, 3
	v_ffbh_u32_e32 v7, v3
	v_min_u32_e32 v7, 32, v7
	v_lshrrev_b32_e32 v4, 19, v5
	v_subrev_u32_e32 v8, 28, v7
	v_and_b32_e32 v4, 15, v4
	v_lshlrev_b32_sdwa v8, v8, v5 dst_sel:DWORD dst_unused:UNUSED_PAD src0_sel:DWORD src1_sel:WORD_1
	v_bfe_u32 v6, v5, 19, 4
	v_sub_u32_e32 v7, 29, v7
	v_and_b32_e32 v8, 7, v8
	v_cmp_eq_u16_e32 vcc, 0, v4
	v_cndmask_b32_e32 v3, v3, v8, vcc
	v_cndmask_b32_e32 v4, v6, v7, vcc
	v_lshlrev_b32_e32 v6, 8, v5
	v_mov_b32_e32 v7, 0x3b800000
	v_lshlrev_b32_e32 v3, 20, v3
	v_and_b32_e32 v6, 0x80000000, v6
	v_lshl_add_u32 v4, v4, 23, v7
	v_or3_b32 v4, v6, v4, v3
.LBB51_504:
	s_or_b64 exec, exec, s[6:7]
	s_nop 0
	v_mfma_f32_16x16x4f32 a[0:3], v2, v4, a[0:3]
	s_movk_i32 s4, 0x7f
	v_cmp_gt_i16_sdwa s[6:7], v9, s4 src0_sel:BYTE_3 src1_sel:DWORD
	s_mov_b64 s[4:5], 0
                                        ; implicit-def: $sgpr10
	s_and_saveexec_b64 s[8:9], s[6:7]
	s_xor_b64 s[6:7], exec, s[8:9]
	s_cbranch_execnz .LBB51_2553
; %bb.505:
	s_or_saveexec_b64 s[6:7], s[6:7]
	v_mov_b32_e32 v2, s10
	s_xor_b64 exec, exec, s[6:7]
	s_cbranch_execnz .LBB51_2556
.LBB51_506:
	s_or_b64 exec, exec, s[6:7]
	s_and_saveexec_b64 s[6:7], s[4:5]
	s_cbranch_execz .LBB51_508
.LBB51_507:
	v_bfe_u32 v2, v9, 24, 3
	v_ffbh_u32_e32 v7, v2
	v_min_u32_e32 v7, 32, v7
	v_lshrrev_b32_e32 v4, 27, v9
	v_subrev_u32_e32 v8, 28, v7
	v_and_b32_e32 v4, 15, v4
	v_lshlrev_b32_sdwa v8, v8, v9 dst_sel:DWORD dst_unused:UNUSED_PAD src0_sel:DWORD src1_sel:BYTE_3
	v_bfe_u32 v6, v9, 27, 4
	v_sub_u32_e32 v7, 29, v7
	v_and_b32_e32 v8, 7, v8
	v_cmp_eq_u16_e32 vcc, 0, v4
	v_cndmask_b32_e32 v2, v2, v8, vcc
	v_cndmask_b32_e32 v4, v6, v7, vcc
	v_mov_b32_e32 v6, 0x3b800000
	v_and_b32_e32 v3, 0x80000000, v9
	v_lshlrev_b32_e32 v2, 20, v2
	v_lshl_add_u32 v4, v4, 23, v6
	v_or3_b32 v2, v3, v4, v2
.LBB51_508:
	s_or_b64 exec, exec, s[6:7]
	s_movk_i32 s4, 0x7f
	v_cmp_gt_i16_sdwa s[6:7], v5, s4 src0_sel:BYTE_3 src1_sel:DWORD
	s_mov_b64 s[4:5], 0
                                        ; implicit-def: $sgpr10
	s_and_saveexec_b64 s[8:9], s[6:7]
	s_xor_b64 s[6:7], exec, s[8:9]
	s_cbranch_execnz .LBB51_2557
; %bb.509:
	s_or_saveexec_b64 s[6:7], s[6:7]
	v_mov_b32_e32 v3, s10
	s_xor_b64 exec, exec, s[6:7]
	s_cbranch_execnz .LBB51_2560
.LBB51_510:
	s_or_b64 exec, exec, s[6:7]
	s_and_saveexec_b64 s[6:7], s[4:5]
	s_cbranch_execz .LBB51_512
.LBB51_511:
	v_bfe_u32 v3, v5, 24, 3
	v_ffbh_u32_e32 v8, v3
	v_min_u32_e32 v8, 32, v8
	v_lshrrev_b32_e32 v6, 27, v5
	v_subrev_u32_e32 v9, 28, v8
	v_and_b32_e32 v4, 0x80000000, v5
	v_and_b32_e32 v6, 15, v6
	v_bfe_u32 v7, v5, 27, 4
	v_lshlrev_b32_sdwa v5, v9, v5 dst_sel:DWORD dst_unused:UNUSED_PAD src0_sel:DWORD src1_sel:BYTE_3
	v_sub_u32_e32 v8, 29, v8
	v_and_b32_e32 v5, 7, v5
	v_cmp_eq_u16_e32 vcc, 0, v6
	v_cndmask_b32_e32 v3, v3, v5, vcc
	v_cndmask_b32_e32 v5, v7, v8, vcc
	v_mov_b32_e32 v6, 0x3b800000
	v_lshlrev_b32_e32 v3, 20, v3
	v_lshl_add_u32 v5, v5, 23, v6
	v_or3_b32 v3, v4, v5, v3
.LBB51_512:
	s_or_b64 exec, exec, s[6:7]
	s_nop 0
	v_mfma_f32_16x16x4f32 a[0:3], v2, v3, a[0:3]
	s_movk_i32 s4, 0x7f
                                        ; implicit-def: $sgpr10
	s_nop 7
	s_nop 1
	flat_store_dwordx4 v[18:19], a[0:3] offset:912
	flat_load_dwordx4 v[20:23], v[0:1] offset:8
	s_nop 0
	flat_load_dwordx2 v[18:19], v[0:1] offset:24
	s_waitcnt vmcnt(0) lgkmcnt(0)
	flat_load_dwordx4 v[14:17], v[20:21] offset:32
	flat_load_dwordx4 v[6:9], v[20:21] offset:48
	flat_load_dwordx4 v[10:13], v[22:23] offset:64
	flat_load_dwordx4 v[2:5], v[22:23] offset:80
	s_waitcnt vmcnt(0) lgkmcnt(0)
	v_cmp_gt_i16_sdwa s[6:7], v14, s4 src0_sel:BYTE_0 src1_sel:DWORD
	s_mov_b64 s[4:5], 0
	s_and_saveexec_b64 s[8:9], s[6:7]
	s_xor_b64 s[6:7], exec, s[8:9]
	s_cbranch_execnz .LBB51_2561
; %bb.513:
	s_or_saveexec_b64 s[6:7], s[6:7]
	v_mov_b32_e32 v20, s10
	s_xor_b64 exec, exec, s[6:7]
	s_cbranch_execnz .LBB51_2564
.LBB51_514:
	s_or_b64 exec, exec, s[6:7]
	s_and_saveexec_b64 s[6:7], s[4:5]
	s_cbranch_execz .LBB51_516
.LBB51_515:
	v_and_b32_e32 v20, 7, v14
	v_ffbh_u32_e32 v22, v20
	v_min_u32_e32 v22, 32, v22
	v_lshrrev_b16_e32 v21, 3, v14
	v_subrev_u32_e32 v23, 28, v22
	v_and_b32_e32 v21, 15, v21
	v_lshlrev_b32_e32 v23, v23, v14
	v_sub_u32_e32 v22, 29, v22
	v_and_b32_e32 v23, 7, v23
	v_cmp_eq_u16_e32 vcc, 0, v21
	v_cndmask_b32_e32 v20, v20, v23, vcc
	v_cndmask_b32_e32 v21, v21, v22, vcc
	v_lshlrev_b32_e32 v22, 24, v14
	v_mov_b32_e32 v23, 0x3b800000
	v_lshlrev_b32_e32 v20, 20, v20
	v_and_b32_e32 v22, 0x80000000, v22
	v_lshl_add_u32 v21, v21, 23, v23
	v_or3_b32 v20, v22, v21, v20
.LBB51_516:
	s_or_b64 exec, exec, s[6:7]
	s_movk_i32 s4, 0x7f
	v_cmp_gt_i16_sdwa s[6:7], v10, s4 src0_sel:BYTE_0 src1_sel:DWORD
	s_mov_b64 s[4:5], 0
                                        ; implicit-def: $sgpr10
	s_and_saveexec_b64 s[8:9], s[6:7]
	s_xor_b64 s[6:7], exec, s[8:9]
	s_cbranch_execnz .LBB51_2565
; %bb.517:
	s_or_saveexec_b64 s[6:7], s[6:7]
	v_mov_b32_e32 v21, s10
	s_xor_b64 exec, exec, s[6:7]
	s_cbranch_execnz .LBB51_2568
.LBB51_518:
	s_or_b64 exec, exec, s[6:7]
	s_and_saveexec_b64 s[6:7], s[4:5]
	s_cbranch_execz .LBB51_520
.LBB51_519:
	v_and_b32_e32 v21, 7, v10
	v_ffbh_u32_e32 v23, v21
	v_min_u32_e32 v23, 32, v23
	v_lshrrev_b16_e32 v22, 3, v10
	v_subrev_u32_e32 v24, 28, v23
	v_and_b32_e32 v22, 15, v22
	v_lshlrev_b32_e32 v24, v24, v10
	v_sub_u32_e32 v23, 29, v23
	v_and_b32_e32 v24, 7, v24
	v_cmp_eq_u16_e32 vcc, 0, v22
	v_cndmask_b32_e32 v21, v21, v24, vcc
	v_cndmask_b32_e32 v22, v22, v23, vcc
	v_lshlrev_b32_e32 v23, 24, v10
	v_mov_b32_e32 v24, 0x3b800000
	v_lshlrev_b32_e32 v21, 20, v21
	v_and_b32_e32 v23, 0x80000000, v23
	v_lshl_add_u32 v22, v22, 23, v24
	v_or3_b32 v21, v23, v22, v21
.LBB51_520:
	s_or_b64 exec, exec, s[6:7]
	flat_load_dwordx4 a[0:3], v[18:19] offset:928
	s_movk_i32 s4, 0x7f
                                        ; implicit-def: $sgpr10
	s_waitcnt vmcnt(0) lgkmcnt(0)
	v_mfma_f32_16x16x4f32 a[0:3], v20, v21, a[0:3]
	v_lshrrev_b32_e32 v21, 8, v14
	v_cmp_gt_i16_sdwa s[6:7], v21, s4 src0_sel:BYTE_0 src1_sel:DWORD
	s_mov_b64 s[4:5], 0
	s_and_saveexec_b64 s[8:9], s[6:7]
	s_xor_b64 s[6:7], exec, s[8:9]
	s_cbranch_execnz .LBB51_2569
; %bb.521:
	s_or_saveexec_b64 s[6:7], s[6:7]
	v_mov_b32_e32 v20, s10
	s_xor_b64 exec, exec, s[6:7]
	s_cbranch_execnz .LBB51_2572
.LBB51_522:
	s_or_b64 exec, exec, s[6:7]
	s_and_saveexec_b64 s[6:7], s[4:5]
	s_cbranch_execz .LBB51_524
.LBB51_523:
	v_bfe_u32 v20, v14, 8, 3
	v_ffbh_u32_e32 v23, v20
	v_min_u32_e32 v23, 32, v23
	v_lshrrev_b16_e32 v22, 3, v21
	v_subrev_u32_e32 v24, 28, v23
	v_and_b32_e32 v22, 15, v22
	v_lshlrev_b32_e32 v21, v24, v21
	v_sub_u32_e32 v23, 29, v23
	v_and_b32_e32 v21, 7, v21
	v_cmp_eq_u16_e32 vcc, 0, v22
	v_cndmask_b32_e32 v20, v20, v21, vcc
	v_cndmask_b32_e32 v21, v22, v23, vcc
	v_lshlrev_b32_e32 v22, 16, v14
	v_mov_b32_e32 v23, 0x3b800000
	v_lshlrev_b32_e32 v20, 20, v20
	v_and_b32_e32 v22, 0x80000000, v22
	v_lshl_add_u32 v21, v21, 23, v23
	v_or3_b32 v20, v22, v21, v20
.LBB51_524:
	s_or_b64 exec, exec, s[6:7]
	v_lshrrev_b32_e32 v21, 8, v10
	s_movk_i32 s4, 0x7f
	v_cmp_gt_i16_sdwa s[6:7], v21, s4 src0_sel:BYTE_0 src1_sel:DWORD
	s_mov_b64 s[4:5], 0
                                        ; implicit-def: $sgpr10
	s_and_saveexec_b64 s[8:9], s[6:7]
	s_xor_b64 s[6:7], exec, s[8:9]
	s_cbranch_execnz .LBB51_2573
; %bb.525:
	s_or_saveexec_b64 s[6:7], s[6:7]
	v_mov_b32_e32 v22, s10
	s_xor_b64 exec, exec, s[6:7]
	s_cbranch_execnz .LBB51_2576
.LBB51_526:
	s_or_b64 exec, exec, s[6:7]
	s_and_saveexec_b64 s[6:7], s[4:5]
	s_cbranch_execz .LBB51_528
.LBB51_527:
	v_bfe_u32 v22, v10, 8, 3
	v_ffbh_u32_e32 v24, v22
	v_min_u32_e32 v24, 32, v24
	v_lshrrev_b16_e32 v23, 3, v21
	v_subrev_u32_e32 v25, 28, v24
	v_and_b32_e32 v23, 15, v23
	v_lshlrev_b32_e32 v21, v25, v21
	v_sub_u32_e32 v24, 29, v24
	v_and_b32_e32 v21, 7, v21
	v_cmp_eq_u16_e32 vcc, 0, v23
	v_cndmask_b32_e32 v21, v22, v21, vcc
	v_cndmask_b32_e32 v22, v23, v24, vcc
	v_lshlrev_b32_e32 v23, 16, v10
	v_mov_b32_e32 v24, 0x3b800000
	v_lshlrev_b32_e32 v21, 20, v21
	v_and_b32_e32 v23, 0x80000000, v23
	v_lshl_add_u32 v22, v22, 23, v24
	v_or3_b32 v22, v23, v22, v21
.LBB51_528:
	s_or_b64 exec, exec, s[6:7]
	s_nop 0
	v_mfma_f32_16x16x4f32 a[0:3], v20, v22, a[0:3]
	s_movk_i32 s4, 0xff
	v_and_b32_sdwa v21, v14, s4 dst_sel:DWORD dst_unused:UNUSED_PAD src0_sel:WORD_1 src1_sel:DWORD
	s_movk_i32 s4, 0x7f
	v_cmp_lt_i16_e32 vcc, s4, v21
	s_mov_b64 s[4:5], 0
                                        ; implicit-def: $sgpr10
	s_and_saveexec_b64 s[6:7], vcc
	s_xor_b64 s[6:7], exec, s[6:7]
	s_cbranch_execnz .LBB51_2577
; %bb.529:
	s_or_saveexec_b64 s[6:7], s[6:7]
	v_mov_b32_e32 v20, s10
	s_xor_b64 exec, exec, s[6:7]
	s_cbranch_execnz .LBB51_2580
.LBB51_530:
	s_or_b64 exec, exec, s[6:7]
	s_and_saveexec_b64 s[6:7], s[4:5]
	s_cbranch_execz .LBB51_532
.LBB51_531:
	v_bfe_u32 v20, v14, 16, 3
	v_ffbh_u32_e32 v23, v20
	v_min_u32_e32 v23, 32, v23
	v_lshrrev_b32_e32 v21, 19, v14
	v_subrev_u32_e32 v24, 28, v23
	v_and_b32_e32 v21, 15, v21
	v_lshlrev_b32_sdwa v24, v24, v14 dst_sel:DWORD dst_unused:UNUSED_PAD src0_sel:DWORD src1_sel:WORD_1
	v_bfe_u32 v22, v14, 19, 4
	v_sub_u32_e32 v23, 29, v23
	v_and_b32_e32 v24, 7, v24
	v_cmp_eq_u16_e32 vcc, 0, v21
	v_cndmask_b32_e32 v20, v20, v24, vcc
	v_cndmask_b32_e32 v21, v22, v23, vcc
	v_lshlrev_b32_e32 v22, 8, v14
	v_mov_b32_e32 v23, 0x3b800000
	v_lshlrev_b32_e32 v20, 20, v20
	v_and_b32_e32 v22, 0x80000000, v22
	v_lshl_add_u32 v21, v21, 23, v23
	v_or3_b32 v20, v22, v21, v20
.LBB51_532:
	s_or_b64 exec, exec, s[6:7]
	s_movk_i32 s4, 0xff
	v_and_b32_sdwa v21, v10, s4 dst_sel:DWORD dst_unused:UNUSED_PAD src0_sel:WORD_1 src1_sel:DWORD
	s_movk_i32 s4, 0x7f
	v_cmp_lt_i16_e32 vcc, s4, v21
	s_mov_b64 s[4:5], 0
                                        ; implicit-def: $sgpr10
	s_and_saveexec_b64 s[6:7], vcc
	s_xor_b64 s[6:7], exec, s[6:7]
	s_cbranch_execnz .LBB51_2581
; %bb.533:
	s_or_saveexec_b64 s[6:7], s[6:7]
	v_mov_b32_e32 v22, s10
	s_xor_b64 exec, exec, s[6:7]
	s_cbranch_execnz .LBB51_2584
.LBB51_534:
	s_or_b64 exec, exec, s[6:7]
	s_and_saveexec_b64 s[6:7], s[4:5]
	s_cbranch_execz .LBB51_536
.LBB51_535:
	v_bfe_u32 v21, v10, 16, 3
	v_ffbh_u32_e32 v24, v21
	v_min_u32_e32 v24, 32, v24
	v_lshrrev_b32_e32 v22, 19, v10
	v_subrev_u32_e32 v25, 28, v24
	v_and_b32_e32 v22, 15, v22
	v_lshlrev_b32_sdwa v25, v25, v10 dst_sel:DWORD dst_unused:UNUSED_PAD src0_sel:DWORD src1_sel:WORD_1
	v_bfe_u32 v23, v10, 19, 4
	v_sub_u32_e32 v24, 29, v24
	v_and_b32_e32 v25, 7, v25
	v_cmp_eq_u16_e32 vcc, 0, v22
	v_cndmask_b32_e32 v21, v21, v25, vcc
	v_cndmask_b32_e32 v22, v23, v24, vcc
	v_lshlrev_b32_e32 v23, 8, v10
	v_mov_b32_e32 v24, 0x3b800000
	v_lshlrev_b32_e32 v21, 20, v21
	v_and_b32_e32 v23, 0x80000000, v23
	v_lshl_add_u32 v22, v22, 23, v24
	v_or3_b32 v22, v23, v22, v21
.LBB51_536:
	s_or_b64 exec, exec, s[6:7]
	s_nop 0
	v_mfma_f32_16x16x4f32 a[0:3], v20, v22, a[0:3]
	s_movk_i32 s4, 0x7f
	v_cmp_gt_i16_sdwa s[6:7], v14, s4 src0_sel:BYTE_3 src1_sel:DWORD
	s_mov_b64 s[4:5], 0
                                        ; implicit-def: $sgpr10
	s_and_saveexec_b64 s[8:9], s[6:7]
	s_xor_b64 s[6:7], exec, s[8:9]
	s_cbranch_execnz .LBB51_2585
; %bb.537:
	s_or_saveexec_b64 s[6:7], s[6:7]
	v_mov_b32_e32 v20, s10
	s_xor_b64 exec, exec, s[6:7]
	s_cbranch_execnz .LBB51_2588
.LBB51_538:
	s_or_b64 exec, exec, s[6:7]
	s_and_saveexec_b64 s[6:7], s[4:5]
	s_cbranch_execz .LBB51_540
.LBB51_539:
	v_bfe_u32 v20, v14, 24, 3
	v_ffbh_u32_e32 v24, v20
	v_min_u32_e32 v24, 32, v24
	v_lshrrev_b32_e32 v22, 27, v14
	v_subrev_u32_e32 v25, 28, v24
	v_and_b32_e32 v21, 0x80000000, v14
	v_and_b32_e32 v22, 15, v22
	v_bfe_u32 v23, v14, 27, 4
	v_lshlrev_b32_sdwa v14, v25, v14 dst_sel:DWORD dst_unused:UNUSED_PAD src0_sel:DWORD src1_sel:BYTE_3
	v_sub_u32_e32 v24, 29, v24
	v_and_b32_e32 v14, 7, v14
	v_cmp_eq_u16_e32 vcc, 0, v22
	v_cndmask_b32_e32 v14, v20, v14, vcc
	v_cndmask_b32_e32 v20, v23, v24, vcc
	v_mov_b32_e32 v22, 0x3b800000
	v_lshlrev_b32_e32 v14, 20, v14
	v_lshl_add_u32 v20, v20, 23, v22
	v_or3_b32 v20, v21, v20, v14
.LBB51_540:
	s_or_b64 exec, exec, s[6:7]
	s_movk_i32 s4, 0x7f
	v_cmp_gt_i16_sdwa s[6:7], v10, s4 src0_sel:BYTE_3 src1_sel:DWORD
	s_mov_b64 s[4:5], 0
                                        ; implicit-def: $sgpr10
	s_and_saveexec_b64 s[8:9], s[6:7]
	s_xor_b64 s[6:7], exec, s[8:9]
	s_cbranch_execnz .LBB51_2589
; %bb.541:
	s_or_saveexec_b64 s[6:7], s[6:7]
	v_mov_b32_e32 v14, s10
	s_xor_b64 exec, exec, s[6:7]
	s_cbranch_execnz .LBB51_2592
.LBB51_542:
	s_or_b64 exec, exec, s[6:7]
	s_and_saveexec_b64 s[6:7], s[4:5]
	s_cbranch_execz .LBB51_544
.LBB51_543:
	v_bfe_u32 v14, v10, 24, 3
	v_ffbh_u32_e32 v24, v14
	v_min_u32_e32 v24, 32, v24
	v_lshrrev_b32_e32 v22, 27, v10
	v_subrev_u32_e32 v25, 28, v24
	v_and_b32_e32 v21, 0x80000000, v10
	v_and_b32_e32 v22, 15, v22
	v_bfe_u32 v23, v10, 27, 4
	v_lshlrev_b32_sdwa v10, v25, v10 dst_sel:DWORD dst_unused:UNUSED_PAD src0_sel:DWORD src1_sel:BYTE_3
	v_sub_u32_e32 v24, 29, v24
	v_and_b32_e32 v10, 7, v10
	v_cmp_eq_u16_e32 vcc, 0, v22
	v_cndmask_b32_e32 v10, v14, v10, vcc
	v_cndmask_b32_e32 v14, v23, v24, vcc
	v_mov_b32_e32 v22, 0x3b800000
	v_lshlrev_b32_e32 v10, 20, v10
	v_lshl_add_u32 v14, v14, 23, v22
	v_or3_b32 v14, v21, v14, v10
.LBB51_544:
	s_or_b64 exec, exec, s[6:7]
	s_nop 0
	v_mfma_f32_16x16x4f32 a[0:3], v20, v14, a[0:3]
	s_movk_i32 s4, 0x7f
	v_cmp_gt_i16_sdwa s[6:7], v15, s4 src0_sel:BYTE_0 src1_sel:DWORD
	s_mov_b64 s[4:5], 0
                                        ; implicit-def: $sgpr10
	s_and_saveexec_b64 s[8:9], s[6:7]
	s_xor_b64 s[6:7], exec, s[8:9]
	s_cbranch_execnz .LBB51_2593
; %bb.545:
	s_or_saveexec_b64 s[6:7], s[6:7]
	v_mov_b32_e32 v10, s10
	s_xor_b64 exec, exec, s[6:7]
	s_cbranch_execnz .LBB51_2596
.LBB51_546:
	s_or_b64 exec, exec, s[6:7]
	s_and_saveexec_b64 s[6:7], s[4:5]
	s_cbranch_execz .LBB51_548
.LBB51_547:
	v_and_b32_e32 v10, 7, v15
	v_ffbh_u32_e32 v20, v10
	v_min_u32_e32 v20, 32, v20
	v_lshrrev_b16_e32 v14, 3, v15
	v_subrev_u32_e32 v21, 28, v20
	v_and_b32_e32 v14, 15, v14
	v_lshlrev_b32_e32 v21, v21, v15
	v_sub_u32_e32 v20, 29, v20
	v_and_b32_e32 v21, 7, v21
	v_cmp_eq_u16_e32 vcc, 0, v14
	v_cndmask_b32_e32 v10, v10, v21, vcc
	v_cndmask_b32_e32 v14, v14, v20, vcc
	v_lshlrev_b32_e32 v20, 24, v15
	v_mov_b32_e32 v21, 0x3b800000
	v_lshlrev_b32_e32 v10, 20, v10
	v_and_b32_e32 v20, 0x80000000, v20
	v_lshl_add_u32 v14, v14, 23, v21
	v_or3_b32 v10, v20, v14, v10
.LBB51_548:
	s_or_b64 exec, exec, s[6:7]
	s_movk_i32 s4, 0x7f
	v_cmp_gt_i16_sdwa s[6:7], v11, s4 src0_sel:BYTE_0 src1_sel:DWORD
	s_mov_b64 s[4:5], 0
                                        ; implicit-def: $sgpr10
	s_and_saveexec_b64 s[8:9], s[6:7]
	s_xor_b64 s[6:7], exec, s[8:9]
	s_cbranch_execnz .LBB51_2597
; %bb.549:
	s_or_saveexec_b64 s[6:7], s[6:7]
	v_mov_b32_e32 v14, s10
	s_xor_b64 exec, exec, s[6:7]
	s_cbranch_execnz .LBB51_2600
.LBB51_550:
	s_or_b64 exec, exec, s[6:7]
	s_and_saveexec_b64 s[6:7], s[4:5]
	s_cbranch_execz .LBB51_552
.LBB51_551:
	v_and_b32_e32 v14, 7, v11
	v_ffbh_u32_e32 v21, v14
	v_min_u32_e32 v21, 32, v21
	v_lshrrev_b16_e32 v20, 3, v11
	v_subrev_u32_e32 v22, 28, v21
	v_and_b32_e32 v20, 15, v20
	v_lshlrev_b32_e32 v22, v22, v11
	v_sub_u32_e32 v21, 29, v21
	v_and_b32_e32 v22, 7, v22
	v_cmp_eq_u16_e32 vcc, 0, v20
	v_cndmask_b32_e32 v14, v14, v22, vcc
	v_cndmask_b32_e32 v20, v20, v21, vcc
	v_lshlrev_b32_e32 v21, 24, v11
	v_mov_b32_e32 v22, 0x3b800000
	v_lshlrev_b32_e32 v14, 20, v14
	v_and_b32_e32 v21, 0x80000000, v21
	v_lshl_add_u32 v20, v20, 23, v22
	v_or3_b32 v14, v21, v20, v14
.LBB51_552:
	s_or_b64 exec, exec, s[6:7]
	s_nop 0
	v_mfma_f32_16x16x4f32 a[0:3], v10, v14, a[0:3]
	v_lshrrev_b32_e32 v14, 8, v15
	s_movk_i32 s4, 0x7f
	v_cmp_gt_i16_sdwa s[6:7], v14, s4 src0_sel:BYTE_0 src1_sel:DWORD
	s_mov_b64 s[4:5], 0
                                        ; implicit-def: $sgpr10
	s_and_saveexec_b64 s[8:9], s[6:7]
	s_xor_b64 s[6:7], exec, s[8:9]
	s_cbranch_execnz .LBB51_2601
; %bb.553:
	s_or_saveexec_b64 s[6:7], s[6:7]
	v_mov_b32_e32 v10, s10
	s_xor_b64 exec, exec, s[6:7]
	s_cbranch_execnz .LBB51_2604
.LBB51_554:
	s_or_b64 exec, exec, s[6:7]
	s_and_saveexec_b64 s[6:7], s[4:5]
	s_cbranch_execz .LBB51_556
.LBB51_555:
	v_bfe_u32 v10, v15, 8, 3
	v_ffbh_u32_e32 v21, v10
	v_min_u32_e32 v21, 32, v21
	v_lshrrev_b16_e32 v20, 3, v14
	v_subrev_u32_e32 v22, 28, v21
	v_and_b32_e32 v20, 15, v20
	v_lshlrev_b32_e32 v14, v22, v14
	v_sub_u32_e32 v21, 29, v21
	v_and_b32_e32 v14, 7, v14
	v_cmp_eq_u16_e32 vcc, 0, v20
	v_cndmask_b32_e32 v10, v10, v14, vcc
	v_cndmask_b32_e32 v14, v20, v21, vcc
	v_lshlrev_b32_e32 v20, 16, v15
	v_mov_b32_e32 v21, 0x3b800000
	v_lshlrev_b32_e32 v10, 20, v10
	v_and_b32_e32 v20, 0x80000000, v20
	v_lshl_add_u32 v14, v14, 23, v21
	v_or3_b32 v10, v20, v14, v10
.LBB51_556:
	s_or_b64 exec, exec, s[6:7]
	v_lshrrev_b32_e32 v14, 8, v11
	s_movk_i32 s4, 0x7f
	v_cmp_gt_i16_sdwa s[6:7], v14, s4 src0_sel:BYTE_0 src1_sel:DWORD
	s_mov_b64 s[4:5], 0
                                        ; implicit-def: $sgpr10
	s_and_saveexec_b64 s[8:9], s[6:7]
	s_xor_b64 s[6:7], exec, s[8:9]
	s_cbranch_execnz .LBB51_2605
; %bb.557:
	s_or_saveexec_b64 s[6:7], s[6:7]
	v_mov_b32_e32 v20, s10
	s_xor_b64 exec, exec, s[6:7]
	s_cbranch_execnz .LBB51_2608
.LBB51_558:
	s_or_b64 exec, exec, s[6:7]
	s_and_saveexec_b64 s[6:7], s[4:5]
	s_cbranch_execz .LBB51_560
.LBB51_559:
	v_bfe_u32 v20, v11, 8, 3
	v_ffbh_u32_e32 v22, v20
	v_min_u32_e32 v22, 32, v22
	v_lshrrev_b16_e32 v21, 3, v14
	v_subrev_u32_e32 v23, 28, v22
	v_and_b32_e32 v21, 15, v21
	v_lshlrev_b32_e32 v14, v23, v14
	v_sub_u32_e32 v22, 29, v22
	v_and_b32_e32 v14, 7, v14
	v_cmp_eq_u16_e32 vcc, 0, v21
	v_cndmask_b32_e32 v14, v20, v14, vcc
	v_cndmask_b32_e32 v20, v21, v22, vcc
	v_lshlrev_b32_e32 v21, 16, v11
	v_mov_b32_e32 v22, 0x3b800000
	v_lshlrev_b32_e32 v14, 20, v14
	v_and_b32_e32 v21, 0x80000000, v21
	v_lshl_add_u32 v20, v20, 23, v22
	v_or3_b32 v20, v21, v20, v14
.LBB51_560:
	s_or_b64 exec, exec, s[6:7]
	s_nop 0
	v_mfma_f32_16x16x4f32 a[0:3], v10, v20, a[0:3]
	s_movk_i32 s4, 0xff
	v_and_b32_sdwa v14, v15, s4 dst_sel:DWORD dst_unused:UNUSED_PAD src0_sel:WORD_1 src1_sel:DWORD
	s_movk_i32 s4, 0x7f
	v_cmp_lt_i16_e32 vcc, s4, v14
	s_mov_b64 s[4:5], 0
                                        ; implicit-def: $sgpr10
	s_and_saveexec_b64 s[6:7], vcc
	s_xor_b64 s[6:7], exec, s[6:7]
	s_cbranch_execnz .LBB51_2609
; %bb.561:
	s_or_saveexec_b64 s[6:7], s[6:7]
	v_mov_b32_e32 v10, s10
	s_xor_b64 exec, exec, s[6:7]
	s_cbranch_execnz .LBB51_2612
.LBB51_562:
	s_or_b64 exec, exec, s[6:7]
	s_and_saveexec_b64 s[6:7], s[4:5]
	s_cbranch_execz .LBB51_564
.LBB51_563:
	v_bfe_u32 v10, v15, 16, 3
	v_ffbh_u32_e32 v21, v10
	v_min_u32_e32 v21, 32, v21
	v_lshrrev_b32_e32 v14, 19, v15
	v_subrev_u32_e32 v22, 28, v21
	v_and_b32_e32 v14, 15, v14
	v_lshlrev_b32_sdwa v22, v22, v15 dst_sel:DWORD dst_unused:UNUSED_PAD src0_sel:DWORD src1_sel:WORD_1
	v_bfe_u32 v20, v15, 19, 4
	v_sub_u32_e32 v21, 29, v21
	v_and_b32_e32 v22, 7, v22
	v_cmp_eq_u16_e32 vcc, 0, v14
	v_cndmask_b32_e32 v10, v10, v22, vcc
	v_cndmask_b32_e32 v14, v20, v21, vcc
	v_lshlrev_b32_e32 v20, 8, v15
	v_mov_b32_e32 v21, 0x3b800000
	v_lshlrev_b32_e32 v10, 20, v10
	v_and_b32_e32 v20, 0x80000000, v20
	v_lshl_add_u32 v14, v14, 23, v21
	v_or3_b32 v10, v20, v14, v10
.LBB51_564:
	s_or_b64 exec, exec, s[6:7]
	s_movk_i32 s4, 0xff
	v_and_b32_sdwa v14, v11, s4 dst_sel:DWORD dst_unused:UNUSED_PAD src0_sel:WORD_1 src1_sel:DWORD
	s_movk_i32 s4, 0x7f
	v_cmp_lt_i16_e32 vcc, s4, v14
	s_mov_b64 s[4:5], 0
                                        ; implicit-def: $sgpr10
	s_and_saveexec_b64 s[6:7], vcc
	s_xor_b64 s[6:7], exec, s[6:7]
	s_cbranch_execnz .LBB51_2613
; %bb.565:
	s_or_saveexec_b64 s[6:7], s[6:7]
	v_mov_b32_e32 v20, s10
	s_xor_b64 exec, exec, s[6:7]
	s_cbranch_execnz .LBB51_2616
.LBB51_566:
	s_or_b64 exec, exec, s[6:7]
	s_and_saveexec_b64 s[6:7], s[4:5]
	s_cbranch_execz .LBB51_568
.LBB51_567:
	v_bfe_u32 v14, v11, 16, 3
	v_ffbh_u32_e32 v22, v14
	v_min_u32_e32 v22, 32, v22
	v_lshrrev_b32_e32 v20, 19, v11
	v_subrev_u32_e32 v23, 28, v22
	v_and_b32_e32 v20, 15, v20
	v_lshlrev_b32_sdwa v23, v23, v11 dst_sel:DWORD dst_unused:UNUSED_PAD src0_sel:DWORD src1_sel:WORD_1
	v_bfe_u32 v21, v11, 19, 4
	v_sub_u32_e32 v22, 29, v22
	v_and_b32_e32 v23, 7, v23
	v_cmp_eq_u16_e32 vcc, 0, v20
	v_cndmask_b32_e32 v14, v14, v23, vcc
	v_cndmask_b32_e32 v20, v21, v22, vcc
	v_lshlrev_b32_e32 v21, 8, v11
	v_mov_b32_e32 v22, 0x3b800000
	v_lshlrev_b32_e32 v14, 20, v14
	v_and_b32_e32 v21, 0x80000000, v21
	v_lshl_add_u32 v20, v20, 23, v22
	v_or3_b32 v20, v21, v20, v14
.LBB51_568:
	s_or_b64 exec, exec, s[6:7]
	s_nop 0
	v_mfma_f32_16x16x4f32 a[0:3], v10, v20, a[0:3]
	s_movk_i32 s4, 0x7f
	v_cmp_gt_i16_sdwa s[6:7], v15, s4 src0_sel:BYTE_3 src1_sel:DWORD
	s_mov_b64 s[4:5], 0
                                        ; implicit-def: $sgpr10
	s_and_saveexec_b64 s[8:9], s[6:7]
	s_xor_b64 s[6:7], exec, s[8:9]
	s_cbranch_execnz .LBB51_2617
; %bb.569:
	s_or_saveexec_b64 s[6:7], s[6:7]
	v_mov_b32_e32 v10, s10
	s_xor_b64 exec, exec, s[6:7]
	s_cbranch_execnz .LBB51_2620
.LBB51_570:
	s_or_b64 exec, exec, s[6:7]
	s_and_saveexec_b64 s[6:7], s[4:5]
	s_cbranch_execz .LBB51_572
.LBB51_571:
	v_bfe_u32 v10, v15, 24, 3
	v_ffbh_u32_e32 v22, v10
	v_min_u32_e32 v22, 32, v22
	v_lshrrev_b32_e32 v20, 27, v15
	v_subrev_u32_e32 v23, 28, v22
	v_and_b32_e32 v14, 0x80000000, v15
	v_and_b32_e32 v20, 15, v20
	v_bfe_u32 v21, v15, 27, 4
	v_lshlrev_b32_sdwa v15, v23, v15 dst_sel:DWORD dst_unused:UNUSED_PAD src0_sel:DWORD src1_sel:BYTE_3
	v_sub_u32_e32 v22, 29, v22
	v_and_b32_e32 v15, 7, v15
	v_cmp_eq_u16_e32 vcc, 0, v20
	v_cndmask_b32_e32 v10, v10, v15, vcc
	v_cndmask_b32_e32 v15, v21, v22, vcc
	v_mov_b32_e32 v20, 0x3b800000
	v_lshlrev_b32_e32 v10, 20, v10
	v_lshl_add_u32 v15, v15, 23, v20
	v_or3_b32 v10, v14, v15, v10
.LBB51_572:
	s_or_b64 exec, exec, s[6:7]
	s_movk_i32 s4, 0x7f
	v_cmp_gt_i16_sdwa s[6:7], v11, s4 src0_sel:BYTE_3 src1_sel:DWORD
	s_mov_b64 s[4:5], 0
                                        ; implicit-def: $sgpr10
	s_and_saveexec_b64 s[8:9], s[6:7]
	s_xor_b64 s[6:7], exec, s[8:9]
	s_cbranch_execnz .LBB51_2621
; %bb.573:
	s_or_saveexec_b64 s[6:7], s[6:7]
	v_mov_b32_e32 v14, s10
	s_xor_b64 exec, exec, s[6:7]
	s_cbranch_execnz .LBB51_2624
.LBB51_574:
	s_or_b64 exec, exec, s[6:7]
	s_and_saveexec_b64 s[6:7], s[4:5]
	s_cbranch_execz .LBB51_576
.LBB51_575:
	v_bfe_u32 v14, v11, 24, 3
	v_ffbh_u32_e32 v22, v14
	v_min_u32_e32 v22, 32, v22
	v_lshrrev_b32_e32 v20, 27, v11
	v_subrev_u32_e32 v23, 28, v22
	v_and_b32_e32 v15, 0x80000000, v11
	v_and_b32_e32 v20, 15, v20
	v_bfe_u32 v21, v11, 27, 4
	v_lshlrev_b32_sdwa v11, v23, v11 dst_sel:DWORD dst_unused:UNUSED_PAD src0_sel:DWORD src1_sel:BYTE_3
	v_sub_u32_e32 v22, 29, v22
	v_and_b32_e32 v11, 7, v11
	v_cmp_eq_u16_e32 vcc, 0, v20
	v_cndmask_b32_e32 v11, v14, v11, vcc
	v_cndmask_b32_e32 v14, v21, v22, vcc
	v_mov_b32_e32 v20, 0x3b800000
	v_lshlrev_b32_e32 v11, 20, v11
	v_lshl_add_u32 v14, v14, 23, v20
	v_or3_b32 v14, v15, v14, v11
.LBB51_576:
	s_or_b64 exec, exec, s[6:7]
	s_nop 0
	v_mfma_f32_16x16x4f32 a[0:3], v10, v14, a[0:3]
	s_movk_i32 s4, 0x7f
	v_cmp_gt_i16_sdwa s[6:7], v16, s4 src0_sel:BYTE_0 src1_sel:DWORD
	s_mov_b64 s[4:5], 0
                                        ; implicit-def: $sgpr10
	s_and_saveexec_b64 s[8:9], s[6:7]
	s_xor_b64 s[6:7], exec, s[8:9]
	s_cbranch_execnz .LBB51_2625
; %bb.577:
	s_or_saveexec_b64 s[6:7], s[6:7]
	v_mov_b32_e32 v10, s10
	s_xor_b64 exec, exec, s[6:7]
	s_cbranch_execnz .LBB51_2628
.LBB51_578:
	s_or_b64 exec, exec, s[6:7]
	s_and_saveexec_b64 s[6:7], s[4:5]
	s_cbranch_execz .LBB51_580
.LBB51_579:
	v_and_b32_e32 v10, 7, v16
	v_ffbh_u32_e32 v14, v10
	v_min_u32_e32 v14, 32, v14
	v_lshrrev_b16_e32 v11, 3, v16
	v_subrev_u32_e32 v15, 28, v14
	v_and_b32_e32 v11, 15, v11
	v_lshlrev_b32_e32 v15, v15, v16
	v_sub_u32_e32 v14, 29, v14
	v_and_b32_e32 v15, 7, v15
	v_cmp_eq_u16_e32 vcc, 0, v11
	v_cndmask_b32_e32 v10, v10, v15, vcc
	v_cndmask_b32_e32 v11, v11, v14, vcc
	v_lshlrev_b32_e32 v14, 24, v16
	v_mov_b32_e32 v15, 0x3b800000
	v_lshlrev_b32_e32 v10, 20, v10
	v_and_b32_e32 v14, 0x80000000, v14
	v_lshl_add_u32 v11, v11, 23, v15
	v_or3_b32 v10, v14, v11, v10
.LBB51_580:
	s_or_b64 exec, exec, s[6:7]
	s_movk_i32 s4, 0x7f
	v_cmp_gt_i16_sdwa s[6:7], v12, s4 src0_sel:BYTE_0 src1_sel:DWORD
	s_mov_b64 s[4:5], 0
                                        ; implicit-def: $sgpr10
	s_and_saveexec_b64 s[8:9], s[6:7]
	s_xor_b64 s[6:7], exec, s[8:9]
	s_cbranch_execnz .LBB51_2629
; %bb.581:
	s_or_saveexec_b64 s[6:7], s[6:7]
	v_mov_b32_e32 v11, s10
	s_xor_b64 exec, exec, s[6:7]
	s_cbranch_execnz .LBB51_2632
.LBB51_582:
	s_or_b64 exec, exec, s[6:7]
	s_and_saveexec_b64 s[6:7], s[4:5]
	s_cbranch_execz .LBB51_584
.LBB51_583:
	v_and_b32_e32 v11, 7, v12
	v_ffbh_u32_e32 v15, v11
	v_min_u32_e32 v15, 32, v15
	v_lshrrev_b16_e32 v14, 3, v12
	v_subrev_u32_e32 v20, 28, v15
	v_and_b32_e32 v14, 15, v14
	v_lshlrev_b32_e32 v20, v20, v12
	v_sub_u32_e32 v15, 29, v15
	v_and_b32_e32 v20, 7, v20
	v_cmp_eq_u16_e32 vcc, 0, v14
	v_cndmask_b32_e32 v11, v11, v20, vcc
	v_cndmask_b32_e32 v14, v14, v15, vcc
	v_lshlrev_b32_e32 v15, 24, v12
	v_mov_b32_e32 v20, 0x3b800000
	v_lshlrev_b32_e32 v11, 20, v11
	v_and_b32_e32 v15, 0x80000000, v15
	v_lshl_add_u32 v14, v14, 23, v20
	v_or3_b32 v11, v15, v14, v11
.LBB51_584:
	s_or_b64 exec, exec, s[6:7]
	s_nop 0
	v_mfma_f32_16x16x4f32 a[0:3], v10, v11, a[0:3]
	v_lshrrev_b32_e32 v11, 8, v16
	s_movk_i32 s4, 0x7f
	v_cmp_gt_i16_sdwa s[6:7], v11, s4 src0_sel:BYTE_0 src1_sel:DWORD
	s_mov_b64 s[4:5], 0
                                        ; implicit-def: $sgpr10
	s_and_saveexec_b64 s[8:9], s[6:7]
	s_xor_b64 s[6:7], exec, s[8:9]
	s_cbranch_execnz .LBB51_2633
; %bb.585:
	s_or_saveexec_b64 s[6:7], s[6:7]
	v_mov_b32_e32 v10, s10
	s_xor_b64 exec, exec, s[6:7]
	s_cbranch_execnz .LBB51_2636
.LBB51_586:
	s_or_b64 exec, exec, s[6:7]
	s_and_saveexec_b64 s[6:7], s[4:5]
	s_cbranch_execz .LBB51_588
.LBB51_587:
	v_bfe_u32 v10, v16, 8, 3
	v_ffbh_u32_e32 v15, v10
	v_min_u32_e32 v15, 32, v15
	v_lshrrev_b16_e32 v14, 3, v11
	v_subrev_u32_e32 v20, 28, v15
	v_and_b32_e32 v14, 15, v14
	v_lshlrev_b32_e32 v11, v20, v11
	v_sub_u32_e32 v15, 29, v15
	v_and_b32_e32 v11, 7, v11
	v_cmp_eq_u16_e32 vcc, 0, v14
	v_cndmask_b32_e32 v10, v10, v11, vcc
	v_cndmask_b32_e32 v11, v14, v15, vcc
	v_lshlrev_b32_e32 v14, 16, v16
	v_mov_b32_e32 v15, 0x3b800000
	v_lshlrev_b32_e32 v10, 20, v10
	v_and_b32_e32 v14, 0x80000000, v14
	v_lshl_add_u32 v11, v11, 23, v15
	v_or3_b32 v10, v14, v11, v10
.LBB51_588:
	s_or_b64 exec, exec, s[6:7]
	v_lshrrev_b32_e32 v11, 8, v12
	s_movk_i32 s4, 0x7f
	v_cmp_gt_i16_sdwa s[6:7], v11, s4 src0_sel:BYTE_0 src1_sel:DWORD
	s_mov_b64 s[4:5], 0
                                        ; implicit-def: $sgpr10
	s_and_saveexec_b64 s[8:9], s[6:7]
	s_xor_b64 s[6:7], exec, s[8:9]
	s_cbranch_execnz .LBB51_2637
; %bb.589:
	s_or_saveexec_b64 s[6:7], s[6:7]
	v_mov_b32_e32 v14, s10
	s_xor_b64 exec, exec, s[6:7]
	s_cbranch_execnz .LBB51_2640
.LBB51_590:
	s_or_b64 exec, exec, s[6:7]
	s_and_saveexec_b64 s[6:7], s[4:5]
	s_cbranch_execz .LBB51_592
.LBB51_591:
	v_bfe_u32 v14, v12, 8, 3
	v_ffbh_u32_e32 v20, v14
	v_min_u32_e32 v20, 32, v20
	v_lshrrev_b16_e32 v15, 3, v11
	v_subrev_u32_e32 v21, 28, v20
	v_and_b32_e32 v15, 15, v15
	v_lshlrev_b32_e32 v11, v21, v11
	v_sub_u32_e32 v20, 29, v20
	v_and_b32_e32 v11, 7, v11
	v_cmp_eq_u16_e32 vcc, 0, v15
	v_cndmask_b32_e32 v11, v14, v11, vcc
	v_cndmask_b32_e32 v14, v15, v20, vcc
	v_lshlrev_b32_e32 v15, 16, v12
	v_mov_b32_e32 v20, 0x3b800000
	v_lshlrev_b32_e32 v11, 20, v11
	v_and_b32_e32 v15, 0x80000000, v15
	v_lshl_add_u32 v14, v14, 23, v20
	v_or3_b32 v14, v15, v14, v11
.LBB51_592:
	s_or_b64 exec, exec, s[6:7]
	s_nop 0
	v_mfma_f32_16x16x4f32 a[0:3], v10, v14, a[0:3]
	s_movk_i32 s4, 0xff
	v_and_b32_sdwa v11, v16, s4 dst_sel:DWORD dst_unused:UNUSED_PAD src0_sel:WORD_1 src1_sel:DWORD
	s_movk_i32 s4, 0x7f
	v_cmp_lt_i16_e32 vcc, s4, v11
	s_mov_b64 s[4:5], 0
                                        ; implicit-def: $sgpr10
	s_and_saveexec_b64 s[6:7], vcc
	s_xor_b64 s[6:7], exec, s[6:7]
	s_cbranch_execnz .LBB51_2641
; %bb.593:
	s_or_saveexec_b64 s[6:7], s[6:7]
	v_mov_b32_e32 v10, s10
	s_xor_b64 exec, exec, s[6:7]
	s_cbranch_execnz .LBB51_2644
.LBB51_594:
	s_or_b64 exec, exec, s[6:7]
	s_and_saveexec_b64 s[6:7], s[4:5]
	s_cbranch_execz .LBB51_596
.LBB51_595:
	v_bfe_u32 v10, v16, 16, 3
	v_ffbh_u32_e32 v15, v10
	v_min_u32_e32 v15, 32, v15
	v_lshrrev_b32_e32 v11, 19, v16
	v_subrev_u32_e32 v20, 28, v15
	v_and_b32_e32 v11, 15, v11
	v_lshlrev_b32_sdwa v20, v20, v16 dst_sel:DWORD dst_unused:UNUSED_PAD src0_sel:DWORD src1_sel:WORD_1
	v_bfe_u32 v14, v16, 19, 4
	v_sub_u32_e32 v15, 29, v15
	v_and_b32_e32 v20, 7, v20
	v_cmp_eq_u16_e32 vcc, 0, v11
	v_cndmask_b32_e32 v10, v10, v20, vcc
	v_cndmask_b32_e32 v11, v14, v15, vcc
	v_lshlrev_b32_e32 v14, 8, v16
	v_mov_b32_e32 v15, 0x3b800000
	v_lshlrev_b32_e32 v10, 20, v10
	v_and_b32_e32 v14, 0x80000000, v14
	v_lshl_add_u32 v11, v11, 23, v15
	v_or3_b32 v10, v14, v11, v10
.LBB51_596:
	s_or_b64 exec, exec, s[6:7]
	s_movk_i32 s4, 0xff
	v_and_b32_sdwa v11, v12, s4 dst_sel:DWORD dst_unused:UNUSED_PAD src0_sel:WORD_1 src1_sel:DWORD
	s_movk_i32 s4, 0x7f
	v_cmp_lt_i16_e32 vcc, s4, v11
	s_mov_b64 s[4:5], 0
                                        ; implicit-def: $sgpr10
	s_and_saveexec_b64 s[6:7], vcc
	s_xor_b64 s[6:7], exec, s[6:7]
	s_cbranch_execnz .LBB51_2645
; %bb.597:
	s_or_saveexec_b64 s[6:7], s[6:7]
	v_mov_b32_e32 v14, s10
	s_xor_b64 exec, exec, s[6:7]
	s_cbranch_execnz .LBB51_2648
.LBB51_598:
	s_or_b64 exec, exec, s[6:7]
	s_and_saveexec_b64 s[6:7], s[4:5]
	s_cbranch_execz .LBB51_600
.LBB51_599:
	v_bfe_u32 v11, v12, 16, 3
	v_ffbh_u32_e32 v20, v11
	v_min_u32_e32 v20, 32, v20
	v_lshrrev_b32_e32 v14, 19, v12
	v_subrev_u32_e32 v21, 28, v20
	v_and_b32_e32 v14, 15, v14
	v_lshlrev_b32_sdwa v21, v21, v12 dst_sel:DWORD dst_unused:UNUSED_PAD src0_sel:DWORD src1_sel:WORD_1
	v_bfe_u32 v15, v12, 19, 4
	v_sub_u32_e32 v20, 29, v20
	v_and_b32_e32 v21, 7, v21
	v_cmp_eq_u16_e32 vcc, 0, v14
	v_cndmask_b32_e32 v11, v11, v21, vcc
	v_cndmask_b32_e32 v14, v15, v20, vcc
	v_lshlrev_b32_e32 v15, 8, v12
	v_mov_b32_e32 v20, 0x3b800000
	v_lshlrev_b32_e32 v11, 20, v11
	v_and_b32_e32 v15, 0x80000000, v15
	v_lshl_add_u32 v14, v14, 23, v20
	v_or3_b32 v14, v15, v14, v11
.LBB51_600:
	s_or_b64 exec, exec, s[6:7]
	s_nop 0
	v_mfma_f32_16x16x4f32 a[0:3], v10, v14, a[0:3]
	s_movk_i32 s4, 0x7f
	v_cmp_gt_i16_sdwa s[6:7], v16, s4 src0_sel:BYTE_3 src1_sel:DWORD
	s_mov_b64 s[4:5], 0
                                        ; implicit-def: $sgpr10
	s_and_saveexec_b64 s[8:9], s[6:7]
	s_xor_b64 s[6:7], exec, s[8:9]
	s_cbranch_execnz .LBB51_2649
; %bb.601:
	s_or_saveexec_b64 s[6:7], s[6:7]
	v_mov_b32_e32 v10, s10
	s_xor_b64 exec, exec, s[6:7]
	s_cbranch_execnz .LBB51_2652
.LBB51_602:
	s_or_b64 exec, exec, s[6:7]
	s_and_saveexec_b64 s[6:7], s[4:5]
	s_cbranch_execz .LBB51_604
.LBB51_603:
	v_bfe_u32 v10, v16, 24, 3
	v_ffbh_u32_e32 v20, v10
	v_min_u32_e32 v20, 32, v20
	v_lshrrev_b32_e32 v14, 27, v16
	v_subrev_u32_e32 v21, 28, v20
	v_and_b32_e32 v11, 0x80000000, v16
	v_and_b32_e32 v14, 15, v14
	v_bfe_u32 v15, v16, 27, 4
	v_lshlrev_b32_sdwa v16, v21, v16 dst_sel:DWORD dst_unused:UNUSED_PAD src0_sel:DWORD src1_sel:BYTE_3
	v_sub_u32_e32 v20, 29, v20
	v_and_b32_e32 v16, 7, v16
	v_cmp_eq_u16_e32 vcc, 0, v14
	v_cndmask_b32_e32 v10, v10, v16, vcc
	v_cndmask_b32_e32 v14, v15, v20, vcc
	v_mov_b32_e32 v15, 0x3b800000
	v_lshlrev_b32_e32 v10, 20, v10
	v_lshl_add_u32 v14, v14, 23, v15
	v_or3_b32 v10, v11, v14, v10
.LBB51_604:
	s_or_b64 exec, exec, s[6:7]
	s_movk_i32 s4, 0x7f
	v_cmp_gt_i16_sdwa s[6:7], v12, s4 src0_sel:BYTE_3 src1_sel:DWORD
	s_mov_b64 s[4:5], 0
                                        ; implicit-def: $sgpr10
	s_and_saveexec_b64 s[8:9], s[6:7]
	s_xor_b64 s[6:7], exec, s[8:9]
	s_cbranch_execnz .LBB51_2653
; %bb.605:
	s_or_saveexec_b64 s[6:7], s[6:7]
	v_mov_b32_e32 v11, s10
	s_xor_b64 exec, exec, s[6:7]
	s_cbranch_execnz .LBB51_2656
.LBB51_606:
	s_or_b64 exec, exec, s[6:7]
	s_and_saveexec_b64 s[6:7], s[4:5]
	s_cbranch_execz .LBB51_608
.LBB51_607:
	v_bfe_u32 v11, v12, 24, 3
	v_ffbh_u32_e32 v20, v11
	v_min_u32_e32 v20, 32, v20
	v_lshrrev_b32_e32 v15, 27, v12
	v_subrev_u32_e32 v21, 28, v20
	v_and_b32_e32 v14, 0x80000000, v12
	v_and_b32_e32 v15, 15, v15
	v_bfe_u32 v16, v12, 27, 4
	v_lshlrev_b32_sdwa v12, v21, v12 dst_sel:DWORD dst_unused:UNUSED_PAD src0_sel:DWORD src1_sel:BYTE_3
	v_sub_u32_e32 v20, 29, v20
	v_and_b32_e32 v12, 7, v12
	v_cmp_eq_u16_e32 vcc, 0, v15
	v_cndmask_b32_e32 v11, v11, v12, vcc
	v_cndmask_b32_e32 v12, v16, v20, vcc
	v_mov_b32_e32 v15, 0x3b800000
	v_lshlrev_b32_e32 v11, 20, v11
	v_lshl_add_u32 v12, v12, 23, v15
	v_or3_b32 v11, v14, v12, v11
.LBB51_608:
	s_or_b64 exec, exec, s[6:7]
	s_nop 0
	v_mfma_f32_16x16x4f32 a[0:3], v10, v11, a[0:3]
	s_movk_i32 s4, 0x7f
	v_cmp_gt_i16_sdwa s[6:7], v17, s4 src0_sel:BYTE_0 src1_sel:DWORD
	s_mov_b64 s[4:5], 0
                                        ; implicit-def: $sgpr10
	s_and_saveexec_b64 s[8:9], s[6:7]
	s_xor_b64 s[6:7], exec, s[8:9]
	s_cbranch_execnz .LBB51_2657
; %bb.609:
	s_or_saveexec_b64 s[6:7], s[6:7]
	v_mov_b32_e32 v10, s10
	s_xor_b64 exec, exec, s[6:7]
	s_cbranch_execnz .LBB51_2660
.LBB51_610:
	s_or_b64 exec, exec, s[6:7]
	s_and_saveexec_b64 s[6:7], s[4:5]
	s_cbranch_execz .LBB51_612
.LBB51_611:
	v_and_b32_e32 v10, 7, v17
	v_ffbh_u32_e32 v12, v10
	v_min_u32_e32 v12, 32, v12
	v_lshrrev_b16_e32 v11, 3, v17
	v_subrev_u32_e32 v14, 28, v12
	v_and_b32_e32 v11, 15, v11
	v_lshlrev_b32_e32 v14, v14, v17
	v_sub_u32_e32 v12, 29, v12
	v_and_b32_e32 v14, 7, v14
	v_cmp_eq_u16_e32 vcc, 0, v11
	v_cndmask_b32_e32 v10, v10, v14, vcc
	v_cndmask_b32_e32 v11, v11, v12, vcc
	v_lshlrev_b32_e32 v12, 24, v17
	v_mov_b32_e32 v14, 0x3b800000
	v_lshlrev_b32_e32 v10, 20, v10
	v_and_b32_e32 v12, 0x80000000, v12
	v_lshl_add_u32 v11, v11, 23, v14
	v_or3_b32 v10, v12, v11, v10
.LBB51_612:
	s_or_b64 exec, exec, s[6:7]
	s_movk_i32 s4, 0x7f
	v_cmp_gt_i16_sdwa s[6:7], v13, s4 src0_sel:BYTE_0 src1_sel:DWORD
	s_mov_b64 s[4:5], 0
                                        ; implicit-def: $sgpr10
	s_and_saveexec_b64 s[8:9], s[6:7]
	s_xor_b64 s[6:7], exec, s[8:9]
	s_cbranch_execnz .LBB51_2661
; %bb.613:
	s_or_saveexec_b64 s[6:7], s[6:7]
	v_mov_b32_e32 v11, s10
	s_xor_b64 exec, exec, s[6:7]
	s_cbranch_execnz .LBB51_2664
.LBB51_614:
	s_or_b64 exec, exec, s[6:7]
	s_and_saveexec_b64 s[6:7], s[4:5]
	s_cbranch_execz .LBB51_616
.LBB51_615:
	v_and_b32_e32 v11, 7, v13
	v_ffbh_u32_e32 v14, v11
	v_min_u32_e32 v14, 32, v14
	v_lshrrev_b16_e32 v12, 3, v13
	v_subrev_u32_e32 v15, 28, v14
	v_and_b32_e32 v12, 15, v12
	v_lshlrev_b32_e32 v15, v15, v13
	v_sub_u32_e32 v14, 29, v14
	v_and_b32_e32 v15, 7, v15
	v_cmp_eq_u16_e32 vcc, 0, v12
	v_cndmask_b32_e32 v11, v11, v15, vcc
	v_cndmask_b32_e32 v12, v12, v14, vcc
	v_lshlrev_b32_e32 v14, 24, v13
	v_mov_b32_e32 v15, 0x3b800000
	v_lshlrev_b32_e32 v11, 20, v11
	v_and_b32_e32 v14, 0x80000000, v14
	v_lshl_add_u32 v12, v12, 23, v15
	v_or3_b32 v11, v14, v12, v11
.LBB51_616:
	s_or_b64 exec, exec, s[6:7]
	s_nop 0
	v_mfma_f32_16x16x4f32 a[0:3], v10, v11, a[0:3]
	v_lshrrev_b32_e32 v11, 8, v17
	s_movk_i32 s4, 0x7f
	v_cmp_gt_i16_sdwa s[6:7], v11, s4 src0_sel:BYTE_0 src1_sel:DWORD
	s_mov_b64 s[4:5], 0
                                        ; implicit-def: $sgpr10
	s_and_saveexec_b64 s[8:9], s[6:7]
	s_xor_b64 s[6:7], exec, s[8:9]
	s_cbranch_execnz .LBB51_2665
; %bb.617:
	s_or_saveexec_b64 s[6:7], s[6:7]
	v_mov_b32_e32 v10, s10
	s_xor_b64 exec, exec, s[6:7]
	s_cbranch_execnz .LBB51_2668
.LBB51_618:
	s_or_b64 exec, exec, s[6:7]
	s_and_saveexec_b64 s[6:7], s[4:5]
	s_cbranch_execz .LBB51_620
.LBB51_619:
	v_bfe_u32 v10, v17, 8, 3
	v_ffbh_u32_e32 v14, v10
	v_min_u32_e32 v14, 32, v14
	v_lshrrev_b16_e32 v12, 3, v11
	v_subrev_u32_e32 v15, 28, v14
	v_and_b32_e32 v12, 15, v12
	v_lshlrev_b32_e32 v11, v15, v11
	v_sub_u32_e32 v14, 29, v14
	v_and_b32_e32 v11, 7, v11
	v_cmp_eq_u16_e32 vcc, 0, v12
	v_cndmask_b32_e32 v10, v10, v11, vcc
	v_cndmask_b32_e32 v11, v12, v14, vcc
	v_lshlrev_b32_e32 v12, 16, v17
	v_mov_b32_e32 v14, 0x3b800000
	v_lshlrev_b32_e32 v10, 20, v10
	v_and_b32_e32 v12, 0x80000000, v12
	v_lshl_add_u32 v11, v11, 23, v14
	v_or3_b32 v10, v12, v11, v10
.LBB51_620:
	s_or_b64 exec, exec, s[6:7]
	v_lshrrev_b32_e32 v11, 8, v13
	s_movk_i32 s4, 0x7f
	v_cmp_gt_i16_sdwa s[6:7], v11, s4 src0_sel:BYTE_0 src1_sel:DWORD
	s_mov_b64 s[4:5], 0
                                        ; implicit-def: $sgpr10
	s_and_saveexec_b64 s[8:9], s[6:7]
	s_xor_b64 s[6:7], exec, s[8:9]
	s_cbranch_execnz .LBB51_2669
; %bb.621:
	s_or_saveexec_b64 s[6:7], s[6:7]
	v_mov_b32_e32 v12, s10
	s_xor_b64 exec, exec, s[6:7]
	s_cbranch_execnz .LBB51_2672
.LBB51_622:
	s_or_b64 exec, exec, s[6:7]
	s_and_saveexec_b64 s[6:7], s[4:5]
	s_cbranch_execz .LBB51_624
.LBB51_623:
	v_bfe_u32 v12, v13, 8, 3
	v_ffbh_u32_e32 v15, v12
	v_min_u32_e32 v15, 32, v15
	v_lshrrev_b16_e32 v14, 3, v11
	v_subrev_u32_e32 v16, 28, v15
	v_and_b32_e32 v14, 15, v14
	v_lshlrev_b32_e32 v11, v16, v11
	v_sub_u32_e32 v15, 29, v15
	v_and_b32_e32 v11, 7, v11
	v_cmp_eq_u16_e32 vcc, 0, v14
	v_cndmask_b32_e32 v11, v12, v11, vcc
	v_cndmask_b32_e32 v12, v14, v15, vcc
	v_lshlrev_b32_e32 v14, 16, v13
	v_mov_b32_e32 v15, 0x3b800000
	v_lshlrev_b32_e32 v11, 20, v11
	v_and_b32_e32 v14, 0x80000000, v14
	v_lshl_add_u32 v12, v12, 23, v15
	v_or3_b32 v12, v14, v12, v11
.LBB51_624:
	s_or_b64 exec, exec, s[6:7]
	s_nop 0
	v_mfma_f32_16x16x4f32 a[0:3], v10, v12, a[0:3]
	s_movk_i32 s4, 0xff
	v_and_b32_sdwa v11, v17, s4 dst_sel:DWORD dst_unused:UNUSED_PAD src0_sel:WORD_1 src1_sel:DWORD
	s_movk_i32 s4, 0x7f
	v_cmp_lt_i16_e32 vcc, s4, v11
	s_mov_b64 s[4:5], 0
                                        ; implicit-def: $sgpr10
	s_and_saveexec_b64 s[6:7], vcc
	s_xor_b64 s[6:7], exec, s[6:7]
	s_cbranch_execnz .LBB51_2673
; %bb.625:
	s_or_saveexec_b64 s[6:7], s[6:7]
	v_mov_b32_e32 v10, s10
	s_xor_b64 exec, exec, s[6:7]
	s_cbranch_execnz .LBB51_2676
.LBB51_626:
	s_or_b64 exec, exec, s[6:7]
	s_and_saveexec_b64 s[6:7], s[4:5]
	s_cbranch_execz .LBB51_628
.LBB51_627:
	v_bfe_u32 v10, v17, 16, 3
	v_ffbh_u32_e32 v14, v10
	v_min_u32_e32 v14, 32, v14
	v_lshrrev_b32_e32 v11, 19, v17
	v_subrev_u32_e32 v15, 28, v14
	v_and_b32_e32 v11, 15, v11
	v_lshlrev_b32_sdwa v15, v15, v17 dst_sel:DWORD dst_unused:UNUSED_PAD src0_sel:DWORD src1_sel:WORD_1
	v_bfe_u32 v12, v17, 19, 4
	v_sub_u32_e32 v14, 29, v14
	v_and_b32_e32 v15, 7, v15
	v_cmp_eq_u16_e32 vcc, 0, v11
	v_cndmask_b32_e32 v10, v10, v15, vcc
	v_cndmask_b32_e32 v11, v12, v14, vcc
	v_lshlrev_b32_e32 v12, 8, v17
	v_mov_b32_e32 v14, 0x3b800000
	v_lshlrev_b32_e32 v10, 20, v10
	v_and_b32_e32 v12, 0x80000000, v12
	v_lshl_add_u32 v11, v11, 23, v14
	v_or3_b32 v10, v12, v11, v10
.LBB51_628:
	s_or_b64 exec, exec, s[6:7]
	s_movk_i32 s4, 0xff
	v_and_b32_sdwa v11, v13, s4 dst_sel:DWORD dst_unused:UNUSED_PAD src0_sel:WORD_1 src1_sel:DWORD
	s_movk_i32 s4, 0x7f
	v_cmp_lt_i16_e32 vcc, s4, v11
	s_mov_b64 s[4:5], 0
                                        ; implicit-def: $sgpr10
	s_and_saveexec_b64 s[6:7], vcc
	s_xor_b64 s[6:7], exec, s[6:7]
	s_cbranch_execnz .LBB51_2677
; %bb.629:
	s_or_saveexec_b64 s[6:7], s[6:7]
	v_mov_b32_e32 v12, s10
	s_xor_b64 exec, exec, s[6:7]
	s_cbranch_execnz .LBB51_2680
.LBB51_630:
	s_or_b64 exec, exec, s[6:7]
	s_and_saveexec_b64 s[6:7], s[4:5]
	s_cbranch_execz .LBB51_632
.LBB51_631:
	v_bfe_u32 v11, v13, 16, 3
	v_ffbh_u32_e32 v15, v11
	v_min_u32_e32 v15, 32, v15
	v_lshrrev_b32_e32 v12, 19, v13
	v_subrev_u32_e32 v16, 28, v15
	v_and_b32_e32 v12, 15, v12
	v_lshlrev_b32_sdwa v16, v16, v13 dst_sel:DWORD dst_unused:UNUSED_PAD src0_sel:DWORD src1_sel:WORD_1
	v_bfe_u32 v14, v13, 19, 4
	v_sub_u32_e32 v15, 29, v15
	v_and_b32_e32 v16, 7, v16
	v_cmp_eq_u16_e32 vcc, 0, v12
	v_cndmask_b32_e32 v11, v11, v16, vcc
	v_cndmask_b32_e32 v12, v14, v15, vcc
	v_lshlrev_b32_e32 v14, 8, v13
	v_mov_b32_e32 v15, 0x3b800000
	v_lshlrev_b32_e32 v11, 20, v11
	v_and_b32_e32 v14, 0x80000000, v14
	v_lshl_add_u32 v12, v12, 23, v15
	v_or3_b32 v12, v14, v12, v11
.LBB51_632:
	s_or_b64 exec, exec, s[6:7]
	s_nop 0
	v_mfma_f32_16x16x4f32 a[0:3], v10, v12, a[0:3]
	s_movk_i32 s4, 0x7f
	v_cmp_gt_i16_sdwa s[6:7], v17, s4 src0_sel:BYTE_3 src1_sel:DWORD
	s_mov_b64 s[4:5], 0
                                        ; implicit-def: $sgpr10
	s_and_saveexec_b64 s[8:9], s[6:7]
	s_xor_b64 s[6:7], exec, s[8:9]
	s_cbranch_execnz .LBB51_2681
; %bb.633:
	s_or_saveexec_b64 s[6:7], s[6:7]
	v_mov_b32_e32 v10, s10
	s_xor_b64 exec, exec, s[6:7]
	s_cbranch_execnz .LBB51_2684
.LBB51_634:
	s_or_b64 exec, exec, s[6:7]
	s_and_saveexec_b64 s[6:7], s[4:5]
	s_cbranch_execz .LBB51_636
.LBB51_635:
	v_bfe_u32 v10, v17, 24, 3
	v_ffbh_u32_e32 v15, v10
	v_min_u32_e32 v15, 32, v15
	v_lshrrev_b32_e32 v12, 27, v17
	v_subrev_u32_e32 v16, 28, v15
	v_and_b32_e32 v12, 15, v12
	v_lshlrev_b32_sdwa v16, v16, v17 dst_sel:DWORD dst_unused:UNUSED_PAD src0_sel:DWORD src1_sel:BYTE_3
	v_bfe_u32 v14, v17, 27, 4
	v_sub_u32_e32 v15, 29, v15
	v_and_b32_e32 v16, 7, v16
	v_cmp_eq_u16_e32 vcc, 0, v12
	v_cndmask_b32_e32 v10, v10, v16, vcc
	v_cndmask_b32_e32 v12, v14, v15, vcc
	v_mov_b32_e32 v14, 0x3b800000
	v_and_b32_e32 v11, 0x80000000, v17
	v_lshlrev_b32_e32 v10, 20, v10
	v_lshl_add_u32 v12, v12, 23, v14
	v_or3_b32 v10, v11, v12, v10
.LBB51_636:
	s_or_b64 exec, exec, s[6:7]
	s_movk_i32 s4, 0x7f
	v_cmp_gt_i16_sdwa s[6:7], v13, s4 src0_sel:BYTE_3 src1_sel:DWORD
	s_mov_b64 s[4:5], 0
                                        ; implicit-def: $sgpr10
	s_and_saveexec_b64 s[8:9], s[6:7]
	s_xor_b64 s[6:7], exec, s[8:9]
	s_cbranch_execnz .LBB51_2685
; %bb.637:
	s_or_saveexec_b64 s[6:7], s[6:7]
	v_mov_b32_e32 v11, s10
	s_xor_b64 exec, exec, s[6:7]
	s_cbranch_execnz .LBB51_2688
.LBB51_638:
	s_or_b64 exec, exec, s[6:7]
	s_and_saveexec_b64 s[6:7], s[4:5]
	s_cbranch_execz .LBB51_640
.LBB51_639:
	v_bfe_u32 v11, v13, 24, 3
	v_ffbh_u32_e32 v16, v11
	v_min_u32_e32 v16, 32, v16
	v_lshrrev_b32_e32 v14, 27, v13
	v_subrev_u32_e32 v17, 28, v16
	v_and_b32_e32 v12, 0x80000000, v13
	v_and_b32_e32 v14, 15, v14
	v_bfe_u32 v15, v13, 27, 4
	v_lshlrev_b32_sdwa v13, v17, v13 dst_sel:DWORD dst_unused:UNUSED_PAD src0_sel:DWORD src1_sel:BYTE_3
	v_sub_u32_e32 v16, 29, v16
	v_and_b32_e32 v13, 7, v13
	v_cmp_eq_u16_e32 vcc, 0, v14
	v_cndmask_b32_e32 v11, v11, v13, vcc
	v_cndmask_b32_e32 v13, v15, v16, vcc
	v_mov_b32_e32 v14, 0x3b800000
	v_lshlrev_b32_e32 v11, 20, v11
	v_lshl_add_u32 v13, v13, 23, v14
	v_or3_b32 v11, v12, v13, v11
.LBB51_640:
	s_or_b64 exec, exec, s[6:7]
	s_nop 0
	v_mfma_f32_16x16x4f32 a[0:3], v10, v11, a[0:3]
	s_movk_i32 s4, 0x7f
	v_cmp_gt_i16_sdwa s[6:7], v6, s4 src0_sel:BYTE_0 src1_sel:DWORD
	s_mov_b64 s[4:5], 0
                                        ; implicit-def: $sgpr10
	s_and_saveexec_b64 s[8:9], s[6:7]
	s_xor_b64 s[6:7], exec, s[8:9]
	s_cbranch_execnz .LBB51_2689
; %bb.641:
	s_or_saveexec_b64 s[6:7], s[6:7]
	v_mov_b32_e32 v10, s10
	s_xor_b64 exec, exec, s[6:7]
	s_cbranch_execnz .LBB51_2692
.LBB51_642:
	s_or_b64 exec, exec, s[6:7]
	s_and_saveexec_b64 s[6:7], s[4:5]
	s_cbranch_execz .LBB51_644
.LBB51_643:
	v_and_b32_e32 v10, 7, v6
	v_ffbh_u32_e32 v12, v10
	v_min_u32_e32 v12, 32, v12
	v_lshrrev_b16_e32 v11, 3, v6
	v_subrev_u32_e32 v13, 28, v12
	v_and_b32_e32 v11, 15, v11
	v_lshlrev_b32_e32 v13, v13, v6
	v_sub_u32_e32 v12, 29, v12
	v_and_b32_e32 v13, 7, v13
	v_cmp_eq_u16_e32 vcc, 0, v11
	v_cndmask_b32_e32 v10, v10, v13, vcc
	v_cndmask_b32_e32 v11, v11, v12, vcc
	v_lshlrev_b32_e32 v12, 24, v6
	v_mov_b32_e32 v13, 0x3b800000
	v_lshlrev_b32_e32 v10, 20, v10
	v_and_b32_e32 v12, 0x80000000, v12
	v_lshl_add_u32 v11, v11, 23, v13
	v_or3_b32 v10, v12, v11, v10
.LBB51_644:
	s_or_b64 exec, exec, s[6:7]
	s_movk_i32 s4, 0x7f
	v_cmp_gt_i16_sdwa s[6:7], v2, s4 src0_sel:BYTE_0 src1_sel:DWORD
	s_mov_b64 s[4:5], 0
                                        ; implicit-def: $sgpr10
	s_and_saveexec_b64 s[8:9], s[6:7]
	s_xor_b64 s[6:7], exec, s[8:9]
	s_cbranch_execnz .LBB51_2693
; %bb.645:
	s_or_saveexec_b64 s[6:7], s[6:7]
	v_mov_b32_e32 v11, s10
	s_xor_b64 exec, exec, s[6:7]
	s_cbranch_execnz .LBB51_2696
.LBB51_646:
	s_or_b64 exec, exec, s[6:7]
	s_and_saveexec_b64 s[6:7], s[4:5]
	s_cbranch_execz .LBB51_648
.LBB51_647:
	v_and_b32_e32 v11, 7, v2
	v_ffbh_u32_e32 v13, v11
	v_min_u32_e32 v13, 32, v13
	v_lshrrev_b16_e32 v12, 3, v2
	v_subrev_u32_e32 v14, 28, v13
	v_and_b32_e32 v12, 15, v12
	v_lshlrev_b32_e32 v14, v14, v2
	v_sub_u32_e32 v13, 29, v13
	v_and_b32_e32 v14, 7, v14
	v_cmp_eq_u16_e32 vcc, 0, v12
	v_cndmask_b32_e32 v11, v11, v14, vcc
	v_cndmask_b32_e32 v12, v12, v13, vcc
	v_lshlrev_b32_e32 v13, 24, v2
	v_mov_b32_e32 v14, 0x3b800000
	v_lshlrev_b32_e32 v11, 20, v11
	v_and_b32_e32 v13, 0x80000000, v13
	v_lshl_add_u32 v12, v12, 23, v14
	v_or3_b32 v11, v13, v12, v11
.LBB51_648:
	s_or_b64 exec, exec, s[6:7]
	s_nop 0
	v_mfma_f32_16x16x4f32 a[0:3], v10, v11, a[0:3]
	v_lshrrev_b32_e32 v11, 8, v6
	s_movk_i32 s4, 0x7f
	v_cmp_gt_i16_sdwa s[6:7], v11, s4 src0_sel:BYTE_0 src1_sel:DWORD
	s_mov_b64 s[4:5], 0
                                        ; implicit-def: $sgpr10
	s_and_saveexec_b64 s[8:9], s[6:7]
	s_xor_b64 s[6:7], exec, s[8:9]
	s_cbranch_execnz .LBB51_2697
; %bb.649:
	s_or_saveexec_b64 s[6:7], s[6:7]
	v_mov_b32_e32 v10, s10
	s_xor_b64 exec, exec, s[6:7]
	s_cbranch_execnz .LBB51_2700
.LBB51_650:
	s_or_b64 exec, exec, s[6:7]
	s_and_saveexec_b64 s[6:7], s[4:5]
	s_cbranch_execz .LBB51_652
.LBB51_651:
	v_bfe_u32 v10, v6, 8, 3
	v_ffbh_u32_e32 v13, v10
	v_min_u32_e32 v13, 32, v13
	v_lshrrev_b16_e32 v12, 3, v11
	v_subrev_u32_e32 v14, 28, v13
	v_and_b32_e32 v12, 15, v12
	v_lshlrev_b32_e32 v11, v14, v11
	v_sub_u32_e32 v13, 29, v13
	v_and_b32_e32 v11, 7, v11
	v_cmp_eq_u16_e32 vcc, 0, v12
	v_cndmask_b32_e32 v10, v10, v11, vcc
	v_cndmask_b32_e32 v11, v12, v13, vcc
	v_lshlrev_b32_e32 v12, 16, v6
	v_mov_b32_e32 v13, 0x3b800000
	v_lshlrev_b32_e32 v10, 20, v10
	v_and_b32_e32 v12, 0x80000000, v12
	v_lshl_add_u32 v11, v11, 23, v13
	v_or3_b32 v10, v12, v11, v10
.LBB51_652:
	s_or_b64 exec, exec, s[6:7]
	v_lshrrev_b32_e32 v11, 8, v2
	s_movk_i32 s4, 0x7f
	v_cmp_gt_i16_sdwa s[6:7], v11, s4 src0_sel:BYTE_0 src1_sel:DWORD
	s_mov_b64 s[4:5], 0
                                        ; implicit-def: $sgpr10
	s_and_saveexec_b64 s[8:9], s[6:7]
	s_xor_b64 s[6:7], exec, s[8:9]
	s_cbranch_execnz .LBB51_2701
; %bb.653:
	s_or_saveexec_b64 s[6:7], s[6:7]
	v_mov_b32_e32 v12, s10
	s_xor_b64 exec, exec, s[6:7]
	s_cbranch_execnz .LBB51_2704
.LBB51_654:
	s_or_b64 exec, exec, s[6:7]
	s_and_saveexec_b64 s[6:7], s[4:5]
	s_cbranch_execz .LBB51_656
.LBB51_655:
	v_bfe_u32 v12, v2, 8, 3
	v_ffbh_u32_e32 v14, v12
	v_min_u32_e32 v14, 32, v14
	v_lshrrev_b16_e32 v13, 3, v11
	v_subrev_u32_e32 v15, 28, v14
	v_and_b32_e32 v13, 15, v13
	v_lshlrev_b32_e32 v11, v15, v11
	v_sub_u32_e32 v14, 29, v14
	v_and_b32_e32 v11, 7, v11
	v_cmp_eq_u16_e32 vcc, 0, v13
	v_cndmask_b32_e32 v11, v12, v11, vcc
	v_cndmask_b32_e32 v12, v13, v14, vcc
	v_lshlrev_b32_e32 v13, 16, v2
	v_mov_b32_e32 v14, 0x3b800000
	v_lshlrev_b32_e32 v11, 20, v11
	v_and_b32_e32 v13, 0x80000000, v13
	v_lshl_add_u32 v12, v12, 23, v14
	v_or3_b32 v12, v13, v12, v11
.LBB51_656:
	s_or_b64 exec, exec, s[6:7]
	s_nop 0
	v_mfma_f32_16x16x4f32 a[0:3], v10, v12, a[0:3]
	s_movk_i32 s4, 0xff
	v_and_b32_sdwa v11, v6, s4 dst_sel:DWORD dst_unused:UNUSED_PAD src0_sel:WORD_1 src1_sel:DWORD
	s_movk_i32 s4, 0x7f
	v_cmp_lt_i16_e32 vcc, s4, v11
	s_mov_b64 s[4:5], 0
                                        ; implicit-def: $sgpr10
	s_and_saveexec_b64 s[6:7], vcc
	s_xor_b64 s[6:7], exec, s[6:7]
	s_cbranch_execnz .LBB51_2705
; %bb.657:
	s_or_saveexec_b64 s[6:7], s[6:7]
	v_mov_b32_e32 v10, s10
	s_xor_b64 exec, exec, s[6:7]
	s_cbranch_execnz .LBB51_2708
.LBB51_658:
	s_or_b64 exec, exec, s[6:7]
	s_and_saveexec_b64 s[6:7], s[4:5]
	s_cbranch_execz .LBB51_660
.LBB51_659:
	v_bfe_u32 v10, v6, 16, 3
	v_ffbh_u32_e32 v13, v10
	v_min_u32_e32 v13, 32, v13
	v_lshrrev_b32_e32 v11, 19, v6
	v_subrev_u32_e32 v14, 28, v13
	v_and_b32_e32 v11, 15, v11
	v_lshlrev_b32_sdwa v14, v14, v6 dst_sel:DWORD dst_unused:UNUSED_PAD src0_sel:DWORD src1_sel:WORD_1
	v_bfe_u32 v12, v6, 19, 4
	v_sub_u32_e32 v13, 29, v13
	v_and_b32_e32 v14, 7, v14
	v_cmp_eq_u16_e32 vcc, 0, v11
	v_cndmask_b32_e32 v10, v10, v14, vcc
	v_cndmask_b32_e32 v11, v12, v13, vcc
	v_lshlrev_b32_e32 v12, 8, v6
	v_mov_b32_e32 v13, 0x3b800000
	v_lshlrev_b32_e32 v10, 20, v10
	v_and_b32_e32 v12, 0x80000000, v12
	v_lshl_add_u32 v11, v11, 23, v13
	v_or3_b32 v10, v12, v11, v10
.LBB51_660:
	s_or_b64 exec, exec, s[6:7]
	s_movk_i32 s4, 0xff
	v_and_b32_sdwa v11, v2, s4 dst_sel:DWORD dst_unused:UNUSED_PAD src0_sel:WORD_1 src1_sel:DWORD
	s_movk_i32 s4, 0x7f
	v_cmp_lt_i16_e32 vcc, s4, v11
	s_mov_b64 s[4:5], 0
                                        ; implicit-def: $sgpr10
	s_and_saveexec_b64 s[6:7], vcc
	s_xor_b64 s[6:7], exec, s[6:7]
	s_cbranch_execnz .LBB51_2709
; %bb.661:
	s_or_saveexec_b64 s[6:7], s[6:7]
	v_mov_b32_e32 v12, s10
	s_xor_b64 exec, exec, s[6:7]
	s_cbranch_execnz .LBB51_2712
.LBB51_662:
	s_or_b64 exec, exec, s[6:7]
	s_and_saveexec_b64 s[6:7], s[4:5]
	s_cbranch_execz .LBB51_664
.LBB51_663:
	v_bfe_u32 v11, v2, 16, 3
	v_ffbh_u32_e32 v14, v11
	v_min_u32_e32 v14, 32, v14
	v_lshrrev_b32_e32 v12, 19, v2
	v_subrev_u32_e32 v15, 28, v14
	v_and_b32_e32 v12, 15, v12
	v_lshlrev_b32_sdwa v15, v15, v2 dst_sel:DWORD dst_unused:UNUSED_PAD src0_sel:DWORD src1_sel:WORD_1
	v_bfe_u32 v13, v2, 19, 4
	v_sub_u32_e32 v14, 29, v14
	v_and_b32_e32 v15, 7, v15
	v_cmp_eq_u16_e32 vcc, 0, v12
	v_cndmask_b32_e32 v11, v11, v15, vcc
	v_cndmask_b32_e32 v12, v13, v14, vcc
	v_lshlrev_b32_e32 v13, 8, v2
	v_mov_b32_e32 v14, 0x3b800000
	v_lshlrev_b32_e32 v11, 20, v11
	v_and_b32_e32 v13, 0x80000000, v13
	v_lshl_add_u32 v12, v12, 23, v14
	v_or3_b32 v12, v13, v12, v11
.LBB51_664:
	s_or_b64 exec, exec, s[6:7]
	s_nop 0
	v_mfma_f32_16x16x4f32 a[0:3], v10, v12, a[0:3]
	s_movk_i32 s4, 0x7f
	v_cmp_gt_i16_sdwa s[6:7], v6, s4 src0_sel:BYTE_3 src1_sel:DWORD
	s_mov_b64 s[4:5], 0
                                        ; implicit-def: $sgpr10
	s_and_saveexec_b64 s[8:9], s[6:7]
	s_xor_b64 s[6:7], exec, s[8:9]
	s_cbranch_execnz .LBB51_2713
; %bb.665:
	s_or_saveexec_b64 s[6:7], s[6:7]
	v_mov_b32_e32 v10, s10
	s_xor_b64 exec, exec, s[6:7]
	s_cbranch_execnz .LBB51_2716
.LBB51_666:
	s_or_b64 exec, exec, s[6:7]
	s_and_saveexec_b64 s[6:7], s[4:5]
	s_cbranch_execz .LBB51_668
.LBB51_667:
	v_bfe_u32 v10, v6, 24, 3
	v_ffbh_u32_e32 v14, v10
	v_min_u32_e32 v14, 32, v14
	v_lshrrev_b32_e32 v12, 27, v6
	v_subrev_u32_e32 v15, 28, v14
	v_and_b32_e32 v11, 0x80000000, v6
	v_and_b32_e32 v12, 15, v12
	v_bfe_u32 v13, v6, 27, 4
	v_lshlrev_b32_sdwa v6, v15, v6 dst_sel:DWORD dst_unused:UNUSED_PAD src0_sel:DWORD src1_sel:BYTE_3
	v_sub_u32_e32 v14, 29, v14
	v_and_b32_e32 v6, 7, v6
	v_cmp_eq_u16_e32 vcc, 0, v12
	v_cndmask_b32_e32 v6, v10, v6, vcc
	v_cndmask_b32_e32 v10, v13, v14, vcc
	v_mov_b32_e32 v12, 0x3b800000
	v_lshlrev_b32_e32 v6, 20, v6
	v_lshl_add_u32 v10, v10, 23, v12
	v_or3_b32 v10, v11, v10, v6
.LBB51_668:
	s_or_b64 exec, exec, s[6:7]
	s_movk_i32 s4, 0x7f
	v_cmp_gt_i16_sdwa s[6:7], v2, s4 src0_sel:BYTE_3 src1_sel:DWORD
	s_mov_b64 s[4:5], 0
                                        ; implicit-def: $sgpr10
	s_and_saveexec_b64 s[8:9], s[6:7]
	s_xor_b64 s[6:7], exec, s[8:9]
	s_cbranch_execnz .LBB51_2717
; %bb.669:
	s_or_saveexec_b64 s[6:7], s[6:7]
	v_mov_b32_e32 v6, s10
	s_xor_b64 exec, exec, s[6:7]
	s_cbranch_execnz .LBB51_2720
.LBB51_670:
	s_or_b64 exec, exec, s[6:7]
	s_and_saveexec_b64 s[6:7], s[4:5]
	s_cbranch_execz .LBB51_672
.LBB51_671:
	v_bfe_u32 v6, v2, 24, 3
	v_ffbh_u32_e32 v14, v6
	v_min_u32_e32 v14, 32, v14
	v_lshrrev_b32_e32 v12, 27, v2
	v_subrev_u32_e32 v15, 28, v14
	v_and_b32_e32 v11, 0x80000000, v2
	v_and_b32_e32 v12, 15, v12
	v_bfe_u32 v13, v2, 27, 4
	v_lshlrev_b32_sdwa v2, v15, v2 dst_sel:DWORD dst_unused:UNUSED_PAD src0_sel:DWORD src1_sel:BYTE_3
	v_sub_u32_e32 v14, 29, v14
	v_and_b32_e32 v2, 7, v2
	v_cmp_eq_u16_e32 vcc, 0, v12
	v_cndmask_b32_e32 v2, v6, v2, vcc
	v_cndmask_b32_e32 v6, v13, v14, vcc
	v_mov_b32_e32 v12, 0x3b800000
	v_lshlrev_b32_e32 v2, 20, v2
	v_lshl_add_u32 v6, v6, 23, v12
	v_or3_b32 v6, v11, v6, v2
.LBB51_672:
	s_or_b64 exec, exec, s[6:7]
	s_nop 0
	v_mfma_f32_16x16x4f32 a[0:3], v10, v6, a[0:3]
	s_movk_i32 s4, 0x7f
	v_cmp_gt_i16_sdwa s[6:7], v7, s4 src0_sel:BYTE_0 src1_sel:DWORD
	s_mov_b64 s[4:5], 0
                                        ; implicit-def: $sgpr10
	s_and_saveexec_b64 s[8:9], s[6:7]
	s_xor_b64 s[6:7], exec, s[8:9]
	s_cbranch_execnz .LBB51_2721
; %bb.673:
	s_or_saveexec_b64 s[6:7], s[6:7]
	v_mov_b32_e32 v2, s10
	s_xor_b64 exec, exec, s[6:7]
	s_cbranch_execnz .LBB51_2724
.LBB51_674:
	s_or_b64 exec, exec, s[6:7]
	s_and_saveexec_b64 s[6:7], s[4:5]
	s_cbranch_execz .LBB51_676
.LBB51_675:
	v_and_b32_e32 v2, 7, v7
	v_ffbh_u32_e32 v10, v2
	v_min_u32_e32 v10, 32, v10
	v_lshrrev_b16_e32 v6, 3, v7
	v_subrev_u32_e32 v11, 28, v10
	v_and_b32_e32 v6, 15, v6
	v_lshlrev_b32_e32 v11, v11, v7
	v_sub_u32_e32 v10, 29, v10
	v_and_b32_e32 v11, 7, v11
	v_cmp_eq_u16_e32 vcc, 0, v6
	v_cndmask_b32_e32 v2, v2, v11, vcc
	v_cndmask_b32_e32 v6, v6, v10, vcc
	v_lshlrev_b32_e32 v10, 24, v7
	v_mov_b32_e32 v11, 0x3b800000
	v_lshlrev_b32_e32 v2, 20, v2
	v_and_b32_e32 v10, 0x80000000, v10
	v_lshl_add_u32 v6, v6, 23, v11
	v_or3_b32 v2, v10, v6, v2
.LBB51_676:
	s_or_b64 exec, exec, s[6:7]
	s_movk_i32 s4, 0x7f
	v_cmp_gt_i16_sdwa s[6:7], v3, s4 src0_sel:BYTE_0 src1_sel:DWORD
	s_mov_b64 s[4:5], 0
                                        ; implicit-def: $sgpr10
	s_and_saveexec_b64 s[8:9], s[6:7]
	s_xor_b64 s[6:7], exec, s[8:9]
	s_cbranch_execnz .LBB51_2725
; %bb.677:
	s_or_saveexec_b64 s[6:7], s[6:7]
	v_mov_b32_e32 v6, s10
	s_xor_b64 exec, exec, s[6:7]
	s_cbranch_execnz .LBB51_2728
.LBB51_678:
	s_or_b64 exec, exec, s[6:7]
	s_and_saveexec_b64 s[6:7], s[4:5]
	s_cbranch_execz .LBB51_680
.LBB51_679:
	v_and_b32_e32 v6, 7, v3
	v_ffbh_u32_e32 v11, v6
	v_min_u32_e32 v11, 32, v11
	v_lshrrev_b16_e32 v10, 3, v3
	v_subrev_u32_e32 v12, 28, v11
	v_and_b32_e32 v10, 15, v10
	v_lshlrev_b32_e32 v12, v12, v3
	v_sub_u32_e32 v11, 29, v11
	v_and_b32_e32 v12, 7, v12
	v_cmp_eq_u16_e32 vcc, 0, v10
	v_cndmask_b32_e32 v6, v6, v12, vcc
	v_cndmask_b32_e32 v10, v10, v11, vcc
	v_lshlrev_b32_e32 v11, 24, v3
	v_mov_b32_e32 v12, 0x3b800000
	v_lshlrev_b32_e32 v6, 20, v6
	v_and_b32_e32 v11, 0x80000000, v11
	v_lshl_add_u32 v10, v10, 23, v12
	v_or3_b32 v6, v11, v10, v6
.LBB51_680:
	s_or_b64 exec, exec, s[6:7]
	s_nop 0
	v_mfma_f32_16x16x4f32 a[0:3], v2, v6, a[0:3]
	v_lshrrev_b32_e32 v6, 8, v7
	s_movk_i32 s4, 0x7f
	v_cmp_gt_i16_sdwa s[6:7], v6, s4 src0_sel:BYTE_0 src1_sel:DWORD
	s_mov_b64 s[4:5], 0
                                        ; implicit-def: $sgpr10
	s_and_saveexec_b64 s[8:9], s[6:7]
	s_xor_b64 s[6:7], exec, s[8:9]
	s_cbranch_execnz .LBB51_2729
; %bb.681:
	s_or_saveexec_b64 s[6:7], s[6:7]
	v_mov_b32_e32 v2, s10
	s_xor_b64 exec, exec, s[6:7]
	s_cbranch_execnz .LBB51_2732
.LBB51_682:
	s_or_b64 exec, exec, s[6:7]
	s_and_saveexec_b64 s[6:7], s[4:5]
	s_cbranch_execz .LBB51_684
.LBB51_683:
	v_bfe_u32 v2, v7, 8, 3
	v_ffbh_u32_e32 v11, v2
	v_min_u32_e32 v11, 32, v11
	v_lshrrev_b16_e32 v10, 3, v6
	v_subrev_u32_e32 v12, 28, v11
	v_and_b32_e32 v10, 15, v10
	v_lshlrev_b32_e32 v6, v12, v6
	v_sub_u32_e32 v11, 29, v11
	v_and_b32_e32 v6, 7, v6
	v_cmp_eq_u16_e32 vcc, 0, v10
	v_cndmask_b32_e32 v2, v2, v6, vcc
	v_cndmask_b32_e32 v6, v10, v11, vcc
	v_lshlrev_b32_e32 v10, 16, v7
	v_mov_b32_e32 v11, 0x3b800000
	v_lshlrev_b32_e32 v2, 20, v2
	v_and_b32_e32 v10, 0x80000000, v10
	v_lshl_add_u32 v6, v6, 23, v11
	v_or3_b32 v2, v10, v6, v2
.LBB51_684:
	s_or_b64 exec, exec, s[6:7]
	v_lshrrev_b32_e32 v6, 8, v3
	s_movk_i32 s4, 0x7f
	v_cmp_gt_i16_sdwa s[6:7], v6, s4 src0_sel:BYTE_0 src1_sel:DWORD
	s_mov_b64 s[4:5], 0
                                        ; implicit-def: $sgpr10
	s_and_saveexec_b64 s[8:9], s[6:7]
	s_xor_b64 s[6:7], exec, s[8:9]
	s_cbranch_execnz .LBB51_2733
; %bb.685:
	s_or_saveexec_b64 s[6:7], s[6:7]
	v_mov_b32_e32 v10, s10
	s_xor_b64 exec, exec, s[6:7]
	s_cbranch_execnz .LBB51_2736
.LBB51_686:
	s_or_b64 exec, exec, s[6:7]
	s_and_saveexec_b64 s[6:7], s[4:5]
	s_cbranch_execz .LBB51_688
.LBB51_687:
	v_bfe_u32 v10, v3, 8, 3
	v_ffbh_u32_e32 v12, v10
	v_min_u32_e32 v12, 32, v12
	v_lshrrev_b16_e32 v11, 3, v6
	v_subrev_u32_e32 v13, 28, v12
	v_and_b32_e32 v11, 15, v11
	v_lshlrev_b32_e32 v6, v13, v6
	v_sub_u32_e32 v12, 29, v12
	v_and_b32_e32 v6, 7, v6
	v_cmp_eq_u16_e32 vcc, 0, v11
	v_cndmask_b32_e32 v6, v10, v6, vcc
	v_cndmask_b32_e32 v10, v11, v12, vcc
	v_lshlrev_b32_e32 v11, 16, v3
	v_mov_b32_e32 v12, 0x3b800000
	v_lshlrev_b32_e32 v6, 20, v6
	v_and_b32_e32 v11, 0x80000000, v11
	v_lshl_add_u32 v10, v10, 23, v12
	v_or3_b32 v10, v11, v10, v6
.LBB51_688:
	s_or_b64 exec, exec, s[6:7]
	s_nop 0
	v_mfma_f32_16x16x4f32 a[0:3], v2, v10, a[0:3]
	s_movk_i32 s4, 0xff
	v_and_b32_sdwa v6, v7, s4 dst_sel:DWORD dst_unused:UNUSED_PAD src0_sel:WORD_1 src1_sel:DWORD
	s_movk_i32 s4, 0x7f
	v_cmp_lt_i16_e32 vcc, s4, v6
	s_mov_b64 s[4:5], 0
                                        ; implicit-def: $sgpr10
	s_and_saveexec_b64 s[6:7], vcc
	s_xor_b64 s[6:7], exec, s[6:7]
	s_cbranch_execnz .LBB51_2737
; %bb.689:
	s_or_saveexec_b64 s[6:7], s[6:7]
	v_mov_b32_e32 v2, s10
	s_xor_b64 exec, exec, s[6:7]
	s_cbranch_execnz .LBB51_2740
.LBB51_690:
	s_or_b64 exec, exec, s[6:7]
	s_and_saveexec_b64 s[6:7], s[4:5]
	s_cbranch_execz .LBB51_692
.LBB51_691:
	v_bfe_u32 v2, v7, 16, 3
	v_ffbh_u32_e32 v11, v2
	v_min_u32_e32 v11, 32, v11
	v_lshrrev_b32_e32 v6, 19, v7
	v_subrev_u32_e32 v12, 28, v11
	v_and_b32_e32 v6, 15, v6
	v_lshlrev_b32_sdwa v12, v12, v7 dst_sel:DWORD dst_unused:UNUSED_PAD src0_sel:DWORD src1_sel:WORD_1
	v_bfe_u32 v10, v7, 19, 4
	v_sub_u32_e32 v11, 29, v11
	v_and_b32_e32 v12, 7, v12
	v_cmp_eq_u16_e32 vcc, 0, v6
	v_cndmask_b32_e32 v2, v2, v12, vcc
	v_cndmask_b32_e32 v6, v10, v11, vcc
	v_lshlrev_b32_e32 v10, 8, v7
	v_mov_b32_e32 v11, 0x3b800000
	v_lshlrev_b32_e32 v2, 20, v2
	v_and_b32_e32 v10, 0x80000000, v10
	v_lshl_add_u32 v6, v6, 23, v11
	v_or3_b32 v2, v10, v6, v2
.LBB51_692:
	s_or_b64 exec, exec, s[6:7]
	s_movk_i32 s4, 0xff
	v_and_b32_sdwa v6, v3, s4 dst_sel:DWORD dst_unused:UNUSED_PAD src0_sel:WORD_1 src1_sel:DWORD
	s_movk_i32 s4, 0x7f
	v_cmp_lt_i16_e32 vcc, s4, v6
	s_mov_b64 s[4:5], 0
                                        ; implicit-def: $sgpr10
	s_and_saveexec_b64 s[6:7], vcc
	s_xor_b64 s[6:7], exec, s[6:7]
	s_cbranch_execnz .LBB51_2741
; %bb.693:
	s_or_saveexec_b64 s[6:7], s[6:7]
	v_mov_b32_e32 v10, s10
	s_xor_b64 exec, exec, s[6:7]
	s_cbranch_execnz .LBB51_2744
.LBB51_694:
	s_or_b64 exec, exec, s[6:7]
	s_and_saveexec_b64 s[6:7], s[4:5]
	s_cbranch_execz .LBB51_696
.LBB51_695:
	v_bfe_u32 v6, v3, 16, 3
	v_ffbh_u32_e32 v12, v6
	v_min_u32_e32 v12, 32, v12
	v_lshrrev_b32_e32 v10, 19, v3
	v_subrev_u32_e32 v13, 28, v12
	v_and_b32_e32 v10, 15, v10
	v_lshlrev_b32_sdwa v13, v13, v3 dst_sel:DWORD dst_unused:UNUSED_PAD src0_sel:DWORD src1_sel:WORD_1
	v_bfe_u32 v11, v3, 19, 4
	v_sub_u32_e32 v12, 29, v12
	v_and_b32_e32 v13, 7, v13
	v_cmp_eq_u16_e32 vcc, 0, v10
	v_cndmask_b32_e32 v6, v6, v13, vcc
	v_cndmask_b32_e32 v10, v11, v12, vcc
	v_lshlrev_b32_e32 v11, 8, v3
	v_mov_b32_e32 v12, 0x3b800000
	v_lshlrev_b32_e32 v6, 20, v6
	v_and_b32_e32 v11, 0x80000000, v11
	v_lshl_add_u32 v10, v10, 23, v12
	v_or3_b32 v10, v11, v10, v6
.LBB51_696:
	s_or_b64 exec, exec, s[6:7]
	s_nop 0
	v_mfma_f32_16x16x4f32 a[0:3], v2, v10, a[0:3]
	s_movk_i32 s4, 0x7f
	v_cmp_gt_i16_sdwa s[6:7], v7, s4 src0_sel:BYTE_3 src1_sel:DWORD
	s_mov_b64 s[4:5], 0
                                        ; implicit-def: $sgpr10
	s_and_saveexec_b64 s[8:9], s[6:7]
	s_xor_b64 s[6:7], exec, s[8:9]
	s_cbranch_execnz .LBB51_2745
; %bb.697:
	s_or_saveexec_b64 s[6:7], s[6:7]
	v_mov_b32_e32 v2, s10
	s_xor_b64 exec, exec, s[6:7]
	s_cbranch_execnz .LBB51_2748
.LBB51_698:
	s_or_b64 exec, exec, s[6:7]
	s_and_saveexec_b64 s[6:7], s[4:5]
	s_cbranch_execz .LBB51_700
.LBB51_699:
	v_bfe_u32 v2, v7, 24, 3
	v_ffbh_u32_e32 v12, v2
	v_min_u32_e32 v12, 32, v12
	v_lshrrev_b32_e32 v10, 27, v7
	v_subrev_u32_e32 v13, 28, v12
	v_and_b32_e32 v6, 0x80000000, v7
	v_and_b32_e32 v10, 15, v10
	v_bfe_u32 v11, v7, 27, 4
	v_lshlrev_b32_sdwa v7, v13, v7 dst_sel:DWORD dst_unused:UNUSED_PAD src0_sel:DWORD src1_sel:BYTE_3
	v_sub_u32_e32 v12, 29, v12
	v_and_b32_e32 v7, 7, v7
	v_cmp_eq_u16_e32 vcc, 0, v10
	v_cndmask_b32_e32 v2, v2, v7, vcc
	v_cndmask_b32_e32 v7, v11, v12, vcc
	v_mov_b32_e32 v10, 0x3b800000
	v_lshlrev_b32_e32 v2, 20, v2
	v_lshl_add_u32 v7, v7, 23, v10
	v_or3_b32 v2, v6, v7, v2
.LBB51_700:
	s_or_b64 exec, exec, s[6:7]
	s_movk_i32 s4, 0x7f
	v_cmp_gt_i16_sdwa s[6:7], v3, s4 src0_sel:BYTE_3 src1_sel:DWORD
	s_mov_b64 s[4:5], 0
                                        ; implicit-def: $sgpr10
	s_and_saveexec_b64 s[8:9], s[6:7]
	s_xor_b64 s[6:7], exec, s[8:9]
	s_cbranch_execnz .LBB51_2749
; %bb.701:
	s_or_saveexec_b64 s[6:7], s[6:7]
	v_mov_b32_e32 v6, s10
	s_xor_b64 exec, exec, s[6:7]
	s_cbranch_execnz .LBB51_2752
.LBB51_702:
	s_or_b64 exec, exec, s[6:7]
	s_and_saveexec_b64 s[6:7], s[4:5]
	s_cbranch_execz .LBB51_704
.LBB51_703:
	v_bfe_u32 v6, v3, 24, 3
	v_ffbh_u32_e32 v12, v6
	v_min_u32_e32 v12, 32, v12
	v_lshrrev_b32_e32 v10, 27, v3
	v_subrev_u32_e32 v13, 28, v12
	v_and_b32_e32 v7, 0x80000000, v3
	v_and_b32_e32 v10, 15, v10
	v_bfe_u32 v11, v3, 27, 4
	v_lshlrev_b32_sdwa v3, v13, v3 dst_sel:DWORD dst_unused:UNUSED_PAD src0_sel:DWORD src1_sel:BYTE_3
	v_sub_u32_e32 v12, 29, v12
	v_and_b32_e32 v3, 7, v3
	v_cmp_eq_u16_e32 vcc, 0, v10
	v_cndmask_b32_e32 v3, v6, v3, vcc
	v_cndmask_b32_e32 v6, v11, v12, vcc
	v_mov_b32_e32 v10, 0x3b800000
	v_lshlrev_b32_e32 v3, 20, v3
	v_lshl_add_u32 v6, v6, 23, v10
	v_or3_b32 v6, v7, v6, v3
.LBB51_704:
	s_or_b64 exec, exec, s[6:7]
	s_nop 0
	v_mfma_f32_16x16x4f32 a[0:3], v2, v6, a[0:3]
	s_movk_i32 s4, 0x7f
	v_cmp_gt_i16_sdwa s[6:7], v8, s4 src0_sel:BYTE_0 src1_sel:DWORD
	s_mov_b64 s[4:5], 0
                                        ; implicit-def: $sgpr10
	s_and_saveexec_b64 s[8:9], s[6:7]
	s_xor_b64 s[6:7], exec, s[8:9]
	s_cbranch_execnz .LBB51_2753
; %bb.705:
	s_or_saveexec_b64 s[6:7], s[6:7]
	v_mov_b32_e32 v2, s10
	s_xor_b64 exec, exec, s[6:7]
	s_cbranch_execnz .LBB51_2756
.LBB51_706:
	s_or_b64 exec, exec, s[6:7]
	s_and_saveexec_b64 s[6:7], s[4:5]
	s_cbranch_execz .LBB51_708
.LBB51_707:
	v_and_b32_e32 v2, 7, v8
	v_ffbh_u32_e32 v6, v2
	v_min_u32_e32 v6, 32, v6
	v_lshrrev_b16_e32 v3, 3, v8
	v_subrev_u32_e32 v7, 28, v6
	v_and_b32_e32 v3, 15, v3
	v_lshlrev_b32_e32 v7, v7, v8
	v_sub_u32_e32 v6, 29, v6
	v_and_b32_e32 v7, 7, v7
	v_cmp_eq_u16_e32 vcc, 0, v3
	v_cndmask_b32_e32 v2, v2, v7, vcc
	v_cndmask_b32_e32 v3, v3, v6, vcc
	v_lshlrev_b32_e32 v6, 24, v8
	v_mov_b32_e32 v7, 0x3b800000
	v_lshlrev_b32_e32 v2, 20, v2
	v_and_b32_e32 v6, 0x80000000, v6
	v_lshl_add_u32 v3, v3, 23, v7
	v_or3_b32 v2, v6, v3, v2
.LBB51_708:
	s_or_b64 exec, exec, s[6:7]
	s_movk_i32 s4, 0x7f
	v_cmp_gt_i16_sdwa s[6:7], v4, s4 src0_sel:BYTE_0 src1_sel:DWORD
	s_mov_b64 s[4:5], 0
                                        ; implicit-def: $sgpr10
	s_and_saveexec_b64 s[8:9], s[6:7]
	s_xor_b64 s[6:7], exec, s[8:9]
	s_cbranch_execnz .LBB51_2757
; %bb.709:
	s_or_saveexec_b64 s[6:7], s[6:7]
	v_mov_b32_e32 v3, s10
	s_xor_b64 exec, exec, s[6:7]
	s_cbranch_execnz .LBB51_2760
.LBB51_710:
	s_or_b64 exec, exec, s[6:7]
	s_and_saveexec_b64 s[6:7], s[4:5]
	s_cbranch_execz .LBB51_712
.LBB51_711:
	v_and_b32_e32 v3, 7, v4
	v_ffbh_u32_e32 v7, v3
	v_min_u32_e32 v7, 32, v7
	v_lshrrev_b16_e32 v6, 3, v4
	v_subrev_u32_e32 v10, 28, v7
	v_and_b32_e32 v6, 15, v6
	v_lshlrev_b32_e32 v10, v10, v4
	v_sub_u32_e32 v7, 29, v7
	v_and_b32_e32 v10, 7, v10
	v_cmp_eq_u16_e32 vcc, 0, v6
	v_cndmask_b32_e32 v3, v3, v10, vcc
	v_cndmask_b32_e32 v6, v6, v7, vcc
	v_lshlrev_b32_e32 v7, 24, v4
	v_mov_b32_e32 v10, 0x3b800000
	v_lshlrev_b32_e32 v3, 20, v3
	v_and_b32_e32 v7, 0x80000000, v7
	v_lshl_add_u32 v6, v6, 23, v10
	v_or3_b32 v3, v7, v6, v3
.LBB51_712:
	s_or_b64 exec, exec, s[6:7]
	s_nop 0
	v_mfma_f32_16x16x4f32 a[0:3], v2, v3, a[0:3]
	v_lshrrev_b32_e32 v3, 8, v8
	s_movk_i32 s4, 0x7f
	v_cmp_gt_i16_sdwa s[6:7], v3, s4 src0_sel:BYTE_0 src1_sel:DWORD
	s_mov_b64 s[4:5], 0
                                        ; implicit-def: $sgpr10
	s_and_saveexec_b64 s[8:9], s[6:7]
	s_xor_b64 s[6:7], exec, s[8:9]
	s_cbranch_execnz .LBB51_2761
; %bb.713:
	s_or_saveexec_b64 s[6:7], s[6:7]
	v_mov_b32_e32 v2, s10
	s_xor_b64 exec, exec, s[6:7]
	s_cbranch_execnz .LBB51_2764
.LBB51_714:
	s_or_b64 exec, exec, s[6:7]
	s_and_saveexec_b64 s[6:7], s[4:5]
	s_cbranch_execz .LBB51_716
.LBB51_715:
	v_bfe_u32 v2, v8, 8, 3
	v_ffbh_u32_e32 v7, v2
	v_min_u32_e32 v7, 32, v7
	v_lshrrev_b16_e32 v6, 3, v3
	v_subrev_u32_e32 v10, 28, v7
	v_and_b32_e32 v6, 15, v6
	v_lshlrev_b32_e32 v3, v10, v3
	v_sub_u32_e32 v7, 29, v7
	v_and_b32_e32 v3, 7, v3
	v_cmp_eq_u16_e32 vcc, 0, v6
	v_cndmask_b32_e32 v2, v2, v3, vcc
	v_cndmask_b32_e32 v3, v6, v7, vcc
	v_lshlrev_b32_e32 v6, 16, v8
	v_mov_b32_e32 v7, 0x3b800000
	v_lshlrev_b32_e32 v2, 20, v2
	v_and_b32_e32 v6, 0x80000000, v6
	v_lshl_add_u32 v3, v3, 23, v7
	v_or3_b32 v2, v6, v3, v2
.LBB51_716:
	s_or_b64 exec, exec, s[6:7]
	v_lshrrev_b32_e32 v3, 8, v4
	s_movk_i32 s4, 0x7f
	v_cmp_gt_i16_sdwa s[6:7], v3, s4 src0_sel:BYTE_0 src1_sel:DWORD
	s_mov_b64 s[4:5], 0
                                        ; implicit-def: $sgpr10
	s_and_saveexec_b64 s[8:9], s[6:7]
	s_xor_b64 s[6:7], exec, s[8:9]
	s_cbranch_execnz .LBB51_2765
; %bb.717:
	s_or_saveexec_b64 s[6:7], s[6:7]
	v_mov_b32_e32 v6, s10
	s_xor_b64 exec, exec, s[6:7]
	s_cbranch_execnz .LBB51_2768
.LBB51_718:
	s_or_b64 exec, exec, s[6:7]
	s_and_saveexec_b64 s[6:7], s[4:5]
	s_cbranch_execz .LBB51_720
.LBB51_719:
	v_bfe_u32 v6, v4, 8, 3
	v_ffbh_u32_e32 v10, v6
	v_min_u32_e32 v10, 32, v10
	v_lshrrev_b16_e32 v7, 3, v3
	v_subrev_u32_e32 v11, 28, v10
	v_and_b32_e32 v7, 15, v7
	v_lshlrev_b32_e32 v3, v11, v3
	v_sub_u32_e32 v10, 29, v10
	v_and_b32_e32 v3, 7, v3
	v_cmp_eq_u16_e32 vcc, 0, v7
	v_cndmask_b32_e32 v3, v6, v3, vcc
	v_cndmask_b32_e32 v6, v7, v10, vcc
	v_lshlrev_b32_e32 v7, 16, v4
	v_mov_b32_e32 v10, 0x3b800000
	v_lshlrev_b32_e32 v3, 20, v3
	v_and_b32_e32 v7, 0x80000000, v7
	v_lshl_add_u32 v6, v6, 23, v10
	v_or3_b32 v6, v7, v6, v3
.LBB51_720:
	s_or_b64 exec, exec, s[6:7]
	s_nop 0
	v_mfma_f32_16x16x4f32 a[0:3], v2, v6, a[0:3]
	s_movk_i32 s4, 0xff
	v_and_b32_sdwa v3, v8, s4 dst_sel:DWORD dst_unused:UNUSED_PAD src0_sel:WORD_1 src1_sel:DWORD
	s_movk_i32 s4, 0x7f
	v_cmp_lt_i16_e32 vcc, s4, v3
	s_mov_b64 s[4:5], 0
                                        ; implicit-def: $sgpr10
	s_and_saveexec_b64 s[6:7], vcc
	s_xor_b64 s[6:7], exec, s[6:7]
	s_cbranch_execnz .LBB51_2769
; %bb.721:
	s_or_saveexec_b64 s[6:7], s[6:7]
	v_mov_b32_e32 v2, s10
	s_xor_b64 exec, exec, s[6:7]
	s_cbranch_execnz .LBB51_2772
.LBB51_722:
	s_or_b64 exec, exec, s[6:7]
	s_and_saveexec_b64 s[6:7], s[4:5]
	s_cbranch_execz .LBB51_724
.LBB51_723:
	v_bfe_u32 v2, v8, 16, 3
	v_ffbh_u32_e32 v7, v2
	v_min_u32_e32 v7, 32, v7
	v_lshrrev_b32_e32 v3, 19, v8
	v_subrev_u32_e32 v10, 28, v7
	v_and_b32_e32 v3, 15, v3
	v_lshlrev_b32_sdwa v10, v10, v8 dst_sel:DWORD dst_unused:UNUSED_PAD src0_sel:DWORD src1_sel:WORD_1
	v_bfe_u32 v6, v8, 19, 4
	v_sub_u32_e32 v7, 29, v7
	v_and_b32_e32 v10, 7, v10
	v_cmp_eq_u16_e32 vcc, 0, v3
	v_cndmask_b32_e32 v2, v2, v10, vcc
	v_cndmask_b32_e32 v3, v6, v7, vcc
	v_lshlrev_b32_e32 v6, 8, v8
	v_mov_b32_e32 v7, 0x3b800000
	v_lshlrev_b32_e32 v2, 20, v2
	v_and_b32_e32 v6, 0x80000000, v6
	v_lshl_add_u32 v3, v3, 23, v7
	v_or3_b32 v2, v6, v3, v2
.LBB51_724:
	s_or_b64 exec, exec, s[6:7]
	s_movk_i32 s4, 0xff
	v_and_b32_sdwa v3, v4, s4 dst_sel:DWORD dst_unused:UNUSED_PAD src0_sel:WORD_1 src1_sel:DWORD
	s_movk_i32 s4, 0x7f
	v_cmp_lt_i16_e32 vcc, s4, v3
	s_mov_b64 s[4:5], 0
                                        ; implicit-def: $sgpr10
	s_and_saveexec_b64 s[6:7], vcc
	s_xor_b64 s[6:7], exec, s[6:7]
	s_cbranch_execnz .LBB51_2773
; %bb.725:
	s_or_saveexec_b64 s[6:7], s[6:7]
	v_mov_b32_e32 v6, s10
	s_xor_b64 exec, exec, s[6:7]
	s_cbranch_execnz .LBB51_2776
.LBB51_726:
	s_or_b64 exec, exec, s[6:7]
	s_and_saveexec_b64 s[6:7], s[4:5]
	s_cbranch_execz .LBB51_728
.LBB51_727:
	v_bfe_u32 v3, v4, 16, 3
	v_ffbh_u32_e32 v10, v3
	v_min_u32_e32 v10, 32, v10
	v_lshrrev_b32_e32 v6, 19, v4
	v_subrev_u32_e32 v11, 28, v10
	v_and_b32_e32 v6, 15, v6
	v_lshlrev_b32_sdwa v11, v11, v4 dst_sel:DWORD dst_unused:UNUSED_PAD src0_sel:DWORD src1_sel:WORD_1
	v_bfe_u32 v7, v4, 19, 4
	v_sub_u32_e32 v10, 29, v10
	v_and_b32_e32 v11, 7, v11
	v_cmp_eq_u16_e32 vcc, 0, v6
	v_cndmask_b32_e32 v3, v3, v11, vcc
	v_cndmask_b32_e32 v6, v7, v10, vcc
	v_lshlrev_b32_e32 v7, 8, v4
	v_mov_b32_e32 v10, 0x3b800000
	v_lshlrev_b32_e32 v3, 20, v3
	v_and_b32_e32 v7, 0x80000000, v7
	v_lshl_add_u32 v6, v6, 23, v10
	v_or3_b32 v6, v7, v6, v3
.LBB51_728:
	s_or_b64 exec, exec, s[6:7]
	s_nop 0
	v_mfma_f32_16x16x4f32 a[0:3], v2, v6, a[0:3]
	s_movk_i32 s4, 0x7f
	v_cmp_gt_i16_sdwa s[6:7], v8, s4 src0_sel:BYTE_3 src1_sel:DWORD
	s_mov_b64 s[4:5], 0
                                        ; implicit-def: $sgpr10
	s_and_saveexec_b64 s[8:9], s[6:7]
	s_xor_b64 s[6:7], exec, s[8:9]
	s_cbranch_execnz .LBB51_2777
; %bb.729:
	s_or_saveexec_b64 s[6:7], s[6:7]
	v_mov_b32_e32 v2, s10
	s_xor_b64 exec, exec, s[6:7]
	s_cbranch_execnz .LBB51_2780
.LBB51_730:
	s_or_b64 exec, exec, s[6:7]
	s_and_saveexec_b64 s[6:7], s[4:5]
	s_cbranch_execz .LBB51_732
.LBB51_731:
	v_bfe_u32 v2, v8, 24, 3
	v_ffbh_u32_e32 v10, v2
	v_min_u32_e32 v10, 32, v10
	v_lshrrev_b32_e32 v6, 27, v8
	v_subrev_u32_e32 v11, 28, v10
	v_and_b32_e32 v3, 0x80000000, v8
	v_and_b32_e32 v6, 15, v6
	v_bfe_u32 v7, v8, 27, 4
	v_lshlrev_b32_sdwa v8, v11, v8 dst_sel:DWORD dst_unused:UNUSED_PAD src0_sel:DWORD src1_sel:BYTE_3
	v_sub_u32_e32 v10, 29, v10
	v_and_b32_e32 v8, 7, v8
	v_cmp_eq_u16_e32 vcc, 0, v6
	v_cndmask_b32_e32 v2, v2, v8, vcc
	v_cndmask_b32_e32 v6, v7, v10, vcc
	v_mov_b32_e32 v7, 0x3b800000
	v_lshlrev_b32_e32 v2, 20, v2
	v_lshl_add_u32 v6, v6, 23, v7
	v_or3_b32 v2, v3, v6, v2
.LBB51_732:
	s_or_b64 exec, exec, s[6:7]
	s_movk_i32 s4, 0x7f
	v_cmp_gt_i16_sdwa s[6:7], v4, s4 src0_sel:BYTE_3 src1_sel:DWORD
	s_mov_b64 s[4:5], 0
                                        ; implicit-def: $sgpr10
	s_and_saveexec_b64 s[8:9], s[6:7]
	s_xor_b64 s[6:7], exec, s[8:9]
	s_cbranch_execnz .LBB51_2781
; %bb.733:
	s_or_saveexec_b64 s[6:7], s[6:7]
	v_mov_b32_e32 v3, s10
	s_xor_b64 exec, exec, s[6:7]
	s_cbranch_execnz .LBB51_2784
.LBB51_734:
	s_or_b64 exec, exec, s[6:7]
	s_and_saveexec_b64 s[6:7], s[4:5]
	s_cbranch_execz .LBB51_736
.LBB51_735:
	v_bfe_u32 v3, v4, 24, 3
	v_ffbh_u32_e32 v10, v3
	v_min_u32_e32 v10, 32, v10
	v_lshrrev_b32_e32 v7, 27, v4
	v_subrev_u32_e32 v11, 28, v10
	v_and_b32_e32 v6, 0x80000000, v4
	v_and_b32_e32 v7, 15, v7
	v_bfe_u32 v8, v4, 27, 4
	v_lshlrev_b32_sdwa v4, v11, v4 dst_sel:DWORD dst_unused:UNUSED_PAD src0_sel:DWORD src1_sel:BYTE_3
	v_sub_u32_e32 v10, 29, v10
	v_and_b32_e32 v4, 7, v4
	v_cmp_eq_u16_e32 vcc, 0, v7
	v_cndmask_b32_e32 v3, v3, v4, vcc
	v_cndmask_b32_e32 v4, v8, v10, vcc
	v_mov_b32_e32 v7, 0x3b800000
	v_lshlrev_b32_e32 v3, 20, v3
	v_lshl_add_u32 v4, v4, 23, v7
	v_or3_b32 v3, v6, v4, v3
.LBB51_736:
	s_or_b64 exec, exec, s[6:7]
	s_nop 0
	v_mfma_f32_16x16x4f32 a[0:3], v2, v3, a[0:3]
	s_movk_i32 s4, 0x7f
	v_cmp_gt_i16_sdwa s[6:7], v9, s4 src0_sel:BYTE_0 src1_sel:DWORD
	s_mov_b64 s[4:5], 0
                                        ; implicit-def: $sgpr10
	s_and_saveexec_b64 s[8:9], s[6:7]
	s_xor_b64 s[6:7], exec, s[8:9]
	s_cbranch_execnz .LBB51_2785
; %bb.737:
	s_or_saveexec_b64 s[6:7], s[6:7]
	v_mov_b32_e32 v2, s10
	s_xor_b64 exec, exec, s[6:7]
	s_cbranch_execnz .LBB51_2788
.LBB51_738:
	s_or_b64 exec, exec, s[6:7]
	s_and_saveexec_b64 s[6:7], s[4:5]
	s_cbranch_execz .LBB51_740
.LBB51_739:
	v_mov_b32_e32 v2, 8
	v_and_b32_e32 v3, 7, v9
	v_lshrrev_b32_sdwa v2, v2, v9 dst_sel:BYTE_1 dst_unused:UNUSED_PAD src0_sel:DWORD src1_sel:DWORD
	v_ffbh_u32_e32 v4, v3
	v_or_b32_sdwa v2, v9, v2 dst_sel:DWORD dst_unused:UNUSED_PAD src0_sel:BYTE_0 src1_sel:DWORD
	v_min_u32_e32 v4, 32, v4
	v_lshrrev_b16_e32 v2, 3, v2
	v_subrev_u32_e32 v6, 28, v4
	v_and_b32_e32 v2, 15, v2
	v_lshlrev_b32_e32 v6, v6, v9
	v_sub_u32_e32 v4, 29, v4
	v_and_b32_e32 v6, 7, v6
	v_cmp_eq_u16_e32 vcc, 0, v2
	v_cndmask_b32_e32 v3, v3, v6, vcc
	v_cndmask_b32_e32 v2, v2, v4, vcc
	v_lshlrev_b32_e32 v4, 24, v9
	v_mov_b32_e32 v6, 0x3b800000
	v_lshlrev_b32_e32 v3, 20, v3
	v_and_b32_e32 v4, 0x80000000, v4
	v_lshl_add_u32 v2, v2, 23, v6
	v_or3_b32 v2, v4, v2, v3
.LBB51_740:
	s_or_b64 exec, exec, s[6:7]
	s_movk_i32 s4, 0x7f
	v_cmp_gt_i16_sdwa s[6:7], v5, s4 src0_sel:BYTE_0 src1_sel:DWORD
	s_mov_b64 s[4:5], 0
                                        ; implicit-def: $sgpr10
	s_and_saveexec_b64 s[8:9], s[6:7]
	s_xor_b64 s[6:7], exec, s[8:9]
	s_cbranch_execnz .LBB51_2789
; %bb.741:
	s_or_saveexec_b64 s[6:7], s[6:7]
	v_mov_b32_e32 v3, s10
	s_xor_b64 exec, exec, s[6:7]
	s_cbranch_execnz .LBB51_2792
.LBB51_742:
	s_or_b64 exec, exec, s[6:7]
	s_and_saveexec_b64 s[6:7], s[4:5]
	s_cbranch_execz .LBB51_744
.LBB51_743:
	v_mov_b32_e32 v3, 8
	v_and_b32_e32 v4, 7, v5
	v_lshrrev_b32_sdwa v3, v3, v5 dst_sel:BYTE_1 dst_unused:UNUSED_PAD src0_sel:DWORD src1_sel:DWORD
	v_ffbh_u32_e32 v6, v4
	v_or_b32_sdwa v3, v5, v3 dst_sel:DWORD dst_unused:UNUSED_PAD src0_sel:BYTE_0 src1_sel:DWORD
	v_min_u32_e32 v6, 32, v6
	v_lshrrev_b16_e32 v3, 3, v3
	v_subrev_u32_e32 v7, 28, v6
	v_and_b32_e32 v3, 15, v3
	v_lshlrev_b32_e32 v7, v7, v5
	v_sub_u32_e32 v6, 29, v6
	v_and_b32_e32 v7, 7, v7
	v_cmp_eq_u16_e32 vcc, 0, v3
	v_cndmask_b32_e32 v4, v4, v7, vcc
	v_cndmask_b32_e32 v3, v3, v6, vcc
	v_lshlrev_b32_e32 v6, 24, v5
	v_mov_b32_e32 v7, 0x3b800000
	v_lshlrev_b32_e32 v4, 20, v4
	v_and_b32_e32 v6, 0x80000000, v6
	v_lshl_add_u32 v3, v3, 23, v7
	v_or3_b32 v3, v6, v3, v4
.LBB51_744:
	s_or_b64 exec, exec, s[6:7]
	s_nop 0
	v_mfma_f32_16x16x4f32 a[0:3], v2, v3, a[0:3]
	v_lshrrev_b32_e32 v3, 8, v9
	s_movk_i32 s4, 0x7f
	v_cmp_gt_i16_sdwa s[6:7], v3, s4 src0_sel:BYTE_0 src1_sel:DWORD
	s_mov_b64 s[4:5], 0
                                        ; implicit-def: $sgpr10
	s_and_saveexec_b64 s[8:9], s[6:7]
	s_xor_b64 s[6:7], exec, s[8:9]
	s_cbranch_execnz .LBB51_2793
; %bb.745:
	s_or_saveexec_b64 s[6:7], s[6:7]
	v_mov_b32_e32 v2, s10
	s_xor_b64 exec, exec, s[6:7]
	s_cbranch_execnz .LBB51_2796
.LBB51_746:
	s_or_b64 exec, exec, s[6:7]
	s_and_saveexec_b64 s[6:7], s[4:5]
	s_cbranch_execz .LBB51_748
.LBB51_747:
	v_bfe_u32 v2, v9, 8, 3
	v_ffbh_u32_e32 v6, v2
	v_min_u32_e32 v6, 32, v6
	v_lshrrev_b16_e32 v4, 3, v3
	v_subrev_u32_e32 v7, 28, v6
	v_and_b32_e32 v4, 15, v4
	v_lshlrev_b32_e32 v3, v7, v3
	v_sub_u32_e32 v6, 29, v6
	v_and_b32_e32 v3, 7, v3
	v_cmp_eq_u16_e32 vcc, 0, v4
	v_cndmask_b32_e32 v2, v2, v3, vcc
	v_cndmask_b32_e32 v3, v4, v6, vcc
	v_lshlrev_b32_e32 v4, 16, v9
	v_mov_b32_e32 v6, 0x3b800000
	v_lshlrev_b32_e32 v2, 20, v2
	v_and_b32_e32 v4, 0x80000000, v4
	v_lshl_add_u32 v3, v3, 23, v6
	v_or3_b32 v2, v4, v3, v2
.LBB51_748:
	s_or_b64 exec, exec, s[6:7]
	v_lshrrev_b32_e32 v3, 8, v5
	s_movk_i32 s4, 0x7f
	v_cmp_gt_i16_sdwa s[6:7], v3, s4 src0_sel:BYTE_0 src1_sel:DWORD
	s_mov_b64 s[4:5], 0
                                        ; implicit-def: $sgpr10
	s_and_saveexec_b64 s[8:9], s[6:7]
	s_xor_b64 s[6:7], exec, s[8:9]
	s_cbranch_execnz .LBB51_2797
; %bb.749:
	s_or_saveexec_b64 s[6:7], s[6:7]
	v_mov_b32_e32 v4, s10
	s_xor_b64 exec, exec, s[6:7]
	s_cbranch_execnz .LBB51_2800
.LBB51_750:
	s_or_b64 exec, exec, s[6:7]
	s_and_saveexec_b64 s[6:7], s[4:5]
	s_cbranch_execz .LBB51_752
.LBB51_751:
	v_bfe_u32 v4, v5, 8, 3
	v_ffbh_u32_e32 v7, v4
	v_min_u32_e32 v7, 32, v7
	v_lshrrev_b16_e32 v6, 3, v3
	v_subrev_u32_e32 v8, 28, v7
	v_and_b32_e32 v6, 15, v6
	v_lshlrev_b32_e32 v3, v8, v3
	v_sub_u32_e32 v7, 29, v7
	v_and_b32_e32 v3, 7, v3
	v_cmp_eq_u16_e32 vcc, 0, v6
	v_cndmask_b32_e32 v3, v4, v3, vcc
	v_cndmask_b32_e32 v4, v6, v7, vcc
	v_lshlrev_b32_e32 v6, 16, v5
	v_mov_b32_e32 v7, 0x3b800000
	v_lshlrev_b32_e32 v3, 20, v3
	v_and_b32_e32 v6, 0x80000000, v6
	v_lshl_add_u32 v4, v4, 23, v7
	v_or3_b32 v4, v6, v4, v3
.LBB51_752:
	s_or_b64 exec, exec, s[6:7]
	s_nop 0
	v_mfma_f32_16x16x4f32 a[0:3], v2, v4, a[0:3]
	s_movk_i32 s4, 0xff
	v_and_b32_sdwa v3, v9, s4 dst_sel:DWORD dst_unused:UNUSED_PAD src0_sel:WORD_1 src1_sel:DWORD
	s_movk_i32 s4, 0x7f
	v_cmp_lt_i16_e32 vcc, s4, v3
	s_mov_b64 s[4:5], 0
                                        ; implicit-def: $sgpr10
	s_and_saveexec_b64 s[6:7], vcc
	s_xor_b64 s[6:7], exec, s[6:7]
	s_cbranch_execnz .LBB51_2801
; %bb.753:
	s_or_saveexec_b64 s[6:7], s[6:7]
	v_mov_b32_e32 v2, s10
	s_xor_b64 exec, exec, s[6:7]
	s_cbranch_execnz .LBB51_2804
.LBB51_754:
	s_or_b64 exec, exec, s[6:7]
	s_and_saveexec_b64 s[6:7], s[4:5]
	s_cbranch_execz .LBB51_756
.LBB51_755:
	v_bfe_u32 v2, v9, 16, 3
	v_ffbh_u32_e32 v6, v2
	v_min_u32_e32 v6, 32, v6
	v_lshrrev_b32_e32 v3, 19, v9
	v_subrev_u32_e32 v7, 28, v6
	v_and_b32_e32 v3, 15, v3
	v_lshlrev_b32_sdwa v7, v7, v9 dst_sel:DWORD dst_unused:UNUSED_PAD src0_sel:DWORD src1_sel:WORD_1
	v_bfe_u32 v4, v9, 19, 4
	v_sub_u32_e32 v6, 29, v6
	v_and_b32_e32 v7, 7, v7
	v_cmp_eq_u16_e32 vcc, 0, v3
	v_cndmask_b32_e32 v2, v2, v7, vcc
	v_cndmask_b32_e32 v3, v4, v6, vcc
	v_lshlrev_b32_e32 v4, 8, v9
	v_mov_b32_e32 v6, 0x3b800000
	v_lshlrev_b32_e32 v2, 20, v2
	v_and_b32_e32 v4, 0x80000000, v4
	v_lshl_add_u32 v3, v3, 23, v6
	v_or3_b32 v2, v4, v3, v2
.LBB51_756:
	s_or_b64 exec, exec, s[6:7]
	s_movk_i32 s4, 0xff
	v_and_b32_sdwa v3, v5, s4 dst_sel:DWORD dst_unused:UNUSED_PAD src0_sel:WORD_1 src1_sel:DWORD
	s_movk_i32 s4, 0x7f
	v_cmp_lt_i16_e32 vcc, s4, v3
	s_mov_b64 s[4:5], 0
                                        ; implicit-def: $sgpr10
	s_and_saveexec_b64 s[6:7], vcc
	s_xor_b64 s[6:7], exec, s[6:7]
	s_cbranch_execnz .LBB51_2805
; %bb.757:
	s_or_saveexec_b64 s[6:7], s[6:7]
	v_mov_b32_e32 v4, s10
	s_xor_b64 exec, exec, s[6:7]
	s_cbranch_execnz .LBB51_2808
.LBB51_758:
	s_or_b64 exec, exec, s[6:7]
	s_and_saveexec_b64 s[6:7], s[4:5]
	s_cbranch_execz .LBB51_760
.LBB51_759:
	v_bfe_u32 v3, v5, 16, 3
	v_ffbh_u32_e32 v7, v3
	v_min_u32_e32 v7, 32, v7
	v_lshrrev_b32_e32 v4, 19, v5
	v_subrev_u32_e32 v8, 28, v7
	v_and_b32_e32 v4, 15, v4
	v_lshlrev_b32_sdwa v8, v8, v5 dst_sel:DWORD dst_unused:UNUSED_PAD src0_sel:DWORD src1_sel:WORD_1
	v_bfe_u32 v6, v5, 19, 4
	v_sub_u32_e32 v7, 29, v7
	v_and_b32_e32 v8, 7, v8
	v_cmp_eq_u16_e32 vcc, 0, v4
	v_cndmask_b32_e32 v3, v3, v8, vcc
	v_cndmask_b32_e32 v4, v6, v7, vcc
	v_lshlrev_b32_e32 v6, 8, v5
	v_mov_b32_e32 v7, 0x3b800000
	v_lshlrev_b32_e32 v3, 20, v3
	v_and_b32_e32 v6, 0x80000000, v6
	v_lshl_add_u32 v4, v4, 23, v7
	v_or3_b32 v4, v6, v4, v3
.LBB51_760:
	s_or_b64 exec, exec, s[6:7]
	s_nop 0
	v_mfma_f32_16x16x4f32 a[0:3], v2, v4, a[0:3]
	s_movk_i32 s4, 0x7f
	v_cmp_gt_i16_sdwa s[6:7], v9, s4 src0_sel:BYTE_3 src1_sel:DWORD
	s_mov_b64 s[4:5], 0
                                        ; implicit-def: $sgpr10
	s_and_saveexec_b64 s[8:9], s[6:7]
	s_xor_b64 s[6:7], exec, s[8:9]
	s_cbranch_execnz .LBB51_2809
; %bb.761:
	s_or_saveexec_b64 s[6:7], s[6:7]
	v_mov_b32_e32 v2, s10
	s_xor_b64 exec, exec, s[6:7]
	s_cbranch_execnz .LBB51_2812
.LBB51_762:
	s_or_b64 exec, exec, s[6:7]
	s_and_saveexec_b64 s[6:7], s[4:5]
	s_cbranch_execz .LBB51_764
.LBB51_763:
	v_bfe_u32 v2, v9, 24, 3
	v_ffbh_u32_e32 v7, v2
	v_min_u32_e32 v7, 32, v7
	v_lshrrev_b32_e32 v4, 27, v9
	v_subrev_u32_e32 v8, 28, v7
	v_and_b32_e32 v4, 15, v4
	v_lshlrev_b32_sdwa v8, v8, v9 dst_sel:DWORD dst_unused:UNUSED_PAD src0_sel:DWORD src1_sel:BYTE_3
	v_bfe_u32 v6, v9, 27, 4
	v_sub_u32_e32 v7, 29, v7
	v_and_b32_e32 v8, 7, v8
	v_cmp_eq_u16_e32 vcc, 0, v4
	v_cndmask_b32_e32 v2, v2, v8, vcc
	v_cndmask_b32_e32 v4, v6, v7, vcc
	v_mov_b32_e32 v6, 0x3b800000
	v_and_b32_e32 v3, 0x80000000, v9
	v_lshlrev_b32_e32 v2, 20, v2
	v_lshl_add_u32 v4, v4, 23, v6
	v_or3_b32 v2, v3, v4, v2
.LBB51_764:
	s_or_b64 exec, exec, s[6:7]
	s_movk_i32 s4, 0x7f
	v_cmp_gt_i16_sdwa s[6:7], v5, s4 src0_sel:BYTE_3 src1_sel:DWORD
	s_mov_b64 s[4:5], 0
                                        ; implicit-def: $sgpr10
	s_and_saveexec_b64 s[8:9], s[6:7]
	s_xor_b64 s[6:7], exec, s[8:9]
	s_cbranch_execnz .LBB51_2813
; %bb.765:
	s_or_saveexec_b64 s[6:7], s[6:7]
	v_mov_b32_e32 v3, s10
	s_xor_b64 exec, exec, s[6:7]
	s_cbranch_execnz .LBB51_2816
.LBB51_766:
	s_or_b64 exec, exec, s[6:7]
	s_and_saveexec_b64 s[6:7], s[4:5]
	s_cbranch_execz .LBB51_768
.LBB51_767:
	v_bfe_u32 v3, v5, 24, 3
	v_ffbh_u32_e32 v8, v3
	v_min_u32_e32 v8, 32, v8
	v_lshrrev_b32_e32 v6, 27, v5
	v_subrev_u32_e32 v9, 28, v8
	v_and_b32_e32 v4, 0x80000000, v5
	v_and_b32_e32 v6, 15, v6
	v_bfe_u32 v7, v5, 27, 4
	v_lshlrev_b32_sdwa v5, v9, v5 dst_sel:DWORD dst_unused:UNUSED_PAD src0_sel:DWORD src1_sel:BYTE_3
	v_sub_u32_e32 v8, 29, v8
	v_and_b32_e32 v5, 7, v5
	v_cmp_eq_u16_e32 vcc, 0, v6
	v_cndmask_b32_e32 v3, v3, v5, vcc
	v_cndmask_b32_e32 v5, v7, v8, vcc
	v_mov_b32_e32 v6, 0x3b800000
	v_lshlrev_b32_e32 v3, 20, v3
	v_lshl_add_u32 v5, v5, 23, v6
	v_or3_b32 v3, v4, v5, v3
.LBB51_768:
	s_or_b64 exec, exec, s[6:7]
	s_nop 0
	v_mfma_f32_16x16x4f32 a[0:3], v2, v3, a[0:3]
	s_movk_i32 s4, 0x7f
                                        ; implicit-def: $sgpr10
	s_nop 7
	s_nop 1
	flat_store_dwordx4 v[18:19], a[0:3] offset:928
	flat_load_dwordx4 v[20:23], v[0:1] offset:8
	s_nop 0
	flat_load_dwordx2 v[18:19], v[0:1] offset:24
	s_waitcnt vmcnt(0) lgkmcnt(0)
	flat_load_dwordx4 v[14:17], v[20:21] offset:32
	flat_load_dwordx4 v[6:9], v[20:21] offset:48
	;; [unrolled: 1-line block ×4, first 2 shown]
	s_waitcnt vmcnt(0) lgkmcnt(0)
	v_cmp_gt_i16_sdwa s[6:7], v14, s4 src0_sel:BYTE_0 src1_sel:DWORD
	s_mov_b64 s[4:5], 0
	s_and_saveexec_b64 s[8:9], s[6:7]
	s_xor_b64 s[6:7], exec, s[8:9]
	s_cbranch_execnz .LBB51_2817
; %bb.769:
	s_or_saveexec_b64 s[6:7], s[6:7]
	v_mov_b32_e32 v20, s10
	s_xor_b64 exec, exec, s[6:7]
	s_cbranch_execnz .LBB51_2820
.LBB51_770:
	s_or_b64 exec, exec, s[6:7]
	s_and_saveexec_b64 s[6:7], s[4:5]
	s_cbranch_execz .LBB51_772
.LBB51_771:
	v_and_b32_e32 v20, 7, v14
	v_ffbh_u32_e32 v22, v20
	v_min_u32_e32 v22, 32, v22
	v_lshrrev_b16_e32 v21, 3, v14
	v_subrev_u32_e32 v23, 28, v22
	v_and_b32_e32 v21, 15, v21
	v_lshlrev_b32_e32 v23, v23, v14
	v_sub_u32_e32 v22, 29, v22
	v_and_b32_e32 v23, 7, v23
	v_cmp_eq_u16_e32 vcc, 0, v21
	v_cndmask_b32_e32 v20, v20, v23, vcc
	v_cndmask_b32_e32 v21, v21, v22, vcc
	v_lshlrev_b32_e32 v22, 24, v14
	v_mov_b32_e32 v23, 0x3b800000
	v_lshlrev_b32_e32 v20, 20, v20
	v_and_b32_e32 v22, 0x80000000, v22
	v_lshl_add_u32 v21, v21, 23, v23
	v_or3_b32 v20, v22, v21, v20
.LBB51_772:
	s_or_b64 exec, exec, s[6:7]
	s_movk_i32 s4, 0x7f
	v_cmp_gt_i16_sdwa s[6:7], v10, s4 src0_sel:BYTE_0 src1_sel:DWORD
	s_mov_b64 s[4:5], 0
                                        ; implicit-def: $sgpr10
	s_and_saveexec_b64 s[8:9], s[6:7]
	s_xor_b64 s[6:7], exec, s[8:9]
	s_cbranch_execnz .LBB51_2821
; %bb.773:
	s_or_saveexec_b64 s[6:7], s[6:7]
	v_mov_b32_e32 v21, s10
	s_xor_b64 exec, exec, s[6:7]
	s_cbranch_execnz .LBB51_2824
.LBB51_774:
	s_or_b64 exec, exec, s[6:7]
	s_and_saveexec_b64 s[6:7], s[4:5]
	s_cbranch_execz .LBB51_776
.LBB51_775:
	v_and_b32_e32 v21, 7, v10
	v_ffbh_u32_e32 v23, v21
	v_min_u32_e32 v23, 32, v23
	v_lshrrev_b16_e32 v22, 3, v10
	v_subrev_u32_e32 v24, 28, v23
	v_and_b32_e32 v22, 15, v22
	v_lshlrev_b32_e32 v24, v24, v10
	v_sub_u32_e32 v23, 29, v23
	v_and_b32_e32 v24, 7, v24
	v_cmp_eq_u16_e32 vcc, 0, v22
	v_cndmask_b32_e32 v21, v21, v24, vcc
	v_cndmask_b32_e32 v22, v22, v23, vcc
	v_lshlrev_b32_e32 v23, 24, v10
	v_mov_b32_e32 v24, 0x3b800000
	v_lshlrev_b32_e32 v21, 20, v21
	v_and_b32_e32 v23, 0x80000000, v23
	v_lshl_add_u32 v22, v22, 23, v24
	v_or3_b32 v21, v23, v22, v21
.LBB51_776:
	s_or_b64 exec, exec, s[6:7]
	flat_load_dwordx4 a[0:3], v[18:19] offset:944
	s_movk_i32 s4, 0x7f
                                        ; implicit-def: $sgpr10
	s_waitcnt vmcnt(0) lgkmcnt(0)
	v_mfma_f32_16x16x4f32 a[0:3], v20, v21, a[0:3]
	v_lshrrev_b32_e32 v21, 8, v14
	v_cmp_gt_i16_sdwa s[6:7], v21, s4 src0_sel:BYTE_0 src1_sel:DWORD
	s_mov_b64 s[4:5], 0
	s_and_saveexec_b64 s[8:9], s[6:7]
	s_xor_b64 s[6:7], exec, s[8:9]
	s_cbranch_execnz .LBB51_2825
; %bb.777:
	s_or_saveexec_b64 s[6:7], s[6:7]
	v_mov_b32_e32 v20, s10
	s_xor_b64 exec, exec, s[6:7]
	s_cbranch_execnz .LBB51_2828
.LBB51_778:
	s_or_b64 exec, exec, s[6:7]
	s_and_saveexec_b64 s[6:7], s[4:5]
	s_cbranch_execz .LBB51_780
.LBB51_779:
	v_bfe_u32 v20, v14, 8, 3
	v_ffbh_u32_e32 v23, v20
	v_min_u32_e32 v23, 32, v23
	v_lshrrev_b16_e32 v22, 3, v21
	v_subrev_u32_e32 v24, 28, v23
	v_and_b32_e32 v22, 15, v22
	v_lshlrev_b32_e32 v21, v24, v21
	v_sub_u32_e32 v23, 29, v23
	v_and_b32_e32 v21, 7, v21
	v_cmp_eq_u16_e32 vcc, 0, v22
	v_cndmask_b32_e32 v20, v20, v21, vcc
	v_cndmask_b32_e32 v21, v22, v23, vcc
	v_lshlrev_b32_e32 v22, 16, v14
	v_mov_b32_e32 v23, 0x3b800000
	v_lshlrev_b32_e32 v20, 20, v20
	v_and_b32_e32 v22, 0x80000000, v22
	v_lshl_add_u32 v21, v21, 23, v23
	v_or3_b32 v20, v22, v21, v20
.LBB51_780:
	s_or_b64 exec, exec, s[6:7]
	v_lshrrev_b32_e32 v21, 8, v10
	s_movk_i32 s4, 0x7f
	v_cmp_gt_i16_sdwa s[6:7], v21, s4 src0_sel:BYTE_0 src1_sel:DWORD
	s_mov_b64 s[4:5], 0
                                        ; implicit-def: $sgpr10
	s_and_saveexec_b64 s[8:9], s[6:7]
	s_xor_b64 s[6:7], exec, s[8:9]
	s_cbranch_execnz .LBB51_2829
; %bb.781:
	s_or_saveexec_b64 s[6:7], s[6:7]
	v_mov_b32_e32 v22, s10
	s_xor_b64 exec, exec, s[6:7]
	s_cbranch_execnz .LBB51_2832
.LBB51_782:
	s_or_b64 exec, exec, s[6:7]
	s_and_saveexec_b64 s[6:7], s[4:5]
	s_cbranch_execz .LBB51_784
.LBB51_783:
	v_bfe_u32 v22, v10, 8, 3
	v_ffbh_u32_e32 v24, v22
	v_min_u32_e32 v24, 32, v24
	v_lshrrev_b16_e32 v23, 3, v21
	v_subrev_u32_e32 v25, 28, v24
	v_and_b32_e32 v23, 15, v23
	v_lshlrev_b32_e32 v21, v25, v21
	v_sub_u32_e32 v24, 29, v24
	v_and_b32_e32 v21, 7, v21
	v_cmp_eq_u16_e32 vcc, 0, v23
	v_cndmask_b32_e32 v21, v22, v21, vcc
	v_cndmask_b32_e32 v22, v23, v24, vcc
	v_lshlrev_b32_e32 v23, 16, v10
	v_mov_b32_e32 v24, 0x3b800000
	v_lshlrev_b32_e32 v21, 20, v21
	v_and_b32_e32 v23, 0x80000000, v23
	v_lshl_add_u32 v22, v22, 23, v24
	v_or3_b32 v22, v23, v22, v21
.LBB51_784:
	s_or_b64 exec, exec, s[6:7]
	s_nop 0
	v_mfma_f32_16x16x4f32 a[0:3], v20, v22, a[0:3]
	s_movk_i32 s4, 0xff
	v_and_b32_sdwa v21, v14, s4 dst_sel:DWORD dst_unused:UNUSED_PAD src0_sel:WORD_1 src1_sel:DWORD
	s_movk_i32 s4, 0x7f
	v_cmp_lt_i16_e32 vcc, s4, v21
	s_mov_b64 s[4:5], 0
                                        ; implicit-def: $sgpr10
	s_and_saveexec_b64 s[6:7], vcc
	s_xor_b64 s[6:7], exec, s[6:7]
	s_cbranch_execnz .LBB51_2833
; %bb.785:
	s_or_saveexec_b64 s[6:7], s[6:7]
	v_mov_b32_e32 v20, s10
	s_xor_b64 exec, exec, s[6:7]
	s_cbranch_execnz .LBB51_2836
.LBB51_786:
	s_or_b64 exec, exec, s[6:7]
	s_and_saveexec_b64 s[6:7], s[4:5]
	s_cbranch_execz .LBB51_788
.LBB51_787:
	v_bfe_u32 v20, v14, 16, 3
	v_ffbh_u32_e32 v23, v20
	v_min_u32_e32 v23, 32, v23
	v_lshrrev_b32_e32 v21, 19, v14
	v_subrev_u32_e32 v24, 28, v23
	v_and_b32_e32 v21, 15, v21
	v_lshlrev_b32_sdwa v24, v24, v14 dst_sel:DWORD dst_unused:UNUSED_PAD src0_sel:DWORD src1_sel:WORD_1
	v_bfe_u32 v22, v14, 19, 4
	v_sub_u32_e32 v23, 29, v23
	v_and_b32_e32 v24, 7, v24
	v_cmp_eq_u16_e32 vcc, 0, v21
	v_cndmask_b32_e32 v20, v20, v24, vcc
	v_cndmask_b32_e32 v21, v22, v23, vcc
	v_lshlrev_b32_e32 v22, 8, v14
	v_mov_b32_e32 v23, 0x3b800000
	v_lshlrev_b32_e32 v20, 20, v20
	v_and_b32_e32 v22, 0x80000000, v22
	v_lshl_add_u32 v21, v21, 23, v23
	v_or3_b32 v20, v22, v21, v20
.LBB51_788:
	s_or_b64 exec, exec, s[6:7]
	s_movk_i32 s4, 0xff
	v_and_b32_sdwa v21, v10, s4 dst_sel:DWORD dst_unused:UNUSED_PAD src0_sel:WORD_1 src1_sel:DWORD
	s_movk_i32 s4, 0x7f
	v_cmp_lt_i16_e32 vcc, s4, v21
	s_mov_b64 s[4:5], 0
                                        ; implicit-def: $sgpr10
	s_and_saveexec_b64 s[6:7], vcc
	s_xor_b64 s[6:7], exec, s[6:7]
	s_cbranch_execnz .LBB51_2837
; %bb.789:
	s_or_saveexec_b64 s[6:7], s[6:7]
	v_mov_b32_e32 v22, s10
	s_xor_b64 exec, exec, s[6:7]
	s_cbranch_execnz .LBB51_2840
.LBB51_790:
	s_or_b64 exec, exec, s[6:7]
	s_and_saveexec_b64 s[6:7], s[4:5]
	s_cbranch_execz .LBB51_792
.LBB51_791:
	v_bfe_u32 v21, v10, 16, 3
	v_ffbh_u32_e32 v24, v21
	v_min_u32_e32 v24, 32, v24
	v_lshrrev_b32_e32 v22, 19, v10
	v_subrev_u32_e32 v25, 28, v24
	v_and_b32_e32 v22, 15, v22
	v_lshlrev_b32_sdwa v25, v25, v10 dst_sel:DWORD dst_unused:UNUSED_PAD src0_sel:DWORD src1_sel:WORD_1
	v_bfe_u32 v23, v10, 19, 4
	v_sub_u32_e32 v24, 29, v24
	v_and_b32_e32 v25, 7, v25
	v_cmp_eq_u16_e32 vcc, 0, v22
	v_cndmask_b32_e32 v21, v21, v25, vcc
	v_cndmask_b32_e32 v22, v23, v24, vcc
	v_lshlrev_b32_e32 v23, 8, v10
	v_mov_b32_e32 v24, 0x3b800000
	v_lshlrev_b32_e32 v21, 20, v21
	v_and_b32_e32 v23, 0x80000000, v23
	v_lshl_add_u32 v22, v22, 23, v24
	v_or3_b32 v22, v23, v22, v21
.LBB51_792:
	s_or_b64 exec, exec, s[6:7]
	s_nop 0
	v_mfma_f32_16x16x4f32 a[0:3], v20, v22, a[0:3]
	s_movk_i32 s4, 0x7f
	v_cmp_gt_i16_sdwa s[6:7], v14, s4 src0_sel:BYTE_3 src1_sel:DWORD
	s_mov_b64 s[4:5], 0
                                        ; implicit-def: $sgpr10
	s_and_saveexec_b64 s[8:9], s[6:7]
	s_xor_b64 s[6:7], exec, s[8:9]
	s_cbranch_execnz .LBB51_2841
; %bb.793:
	s_or_saveexec_b64 s[6:7], s[6:7]
	v_mov_b32_e32 v20, s10
	s_xor_b64 exec, exec, s[6:7]
	s_cbranch_execnz .LBB51_2844
.LBB51_794:
	s_or_b64 exec, exec, s[6:7]
	s_and_saveexec_b64 s[6:7], s[4:5]
	s_cbranch_execz .LBB51_796
.LBB51_795:
	v_bfe_u32 v20, v14, 24, 3
	v_ffbh_u32_e32 v24, v20
	v_min_u32_e32 v24, 32, v24
	v_lshrrev_b32_e32 v22, 27, v14
	v_subrev_u32_e32 v25, 28, v24
	v_and_b32_e32 v21, 0x80000000, v14
	v_and_b32_e32 v22, 15, v22
	v_bfe_u32 v23, v14, 27, 4
	v_lshlrev_b32_sdwa v14, v25, v14 dst_sel:DWORD dst_unused:UNUSED_PAD src0_sel:DWORD src1_sel:BYTE_3
	v_sub_u32_e32 v24, 29, v24
	v_and_b32_e32 v14, 7, v14
	v_cmp_eq_u16_e32 vcc, 0, v22
	v_cndmask_b32_e32 v14, v20, v14, vcc
	v_cndmask_b32_e32 v20, v23, v24, vcc
	v_mov_b32_e32 v22, 0x3b800000
	v_lshlrev_b32_e32 v14, 20, v14
	v_lshl_add_u32 v20, v20, 23, v22
	v_or3_b32 v20, v21, v20, v14
.LBB51_796:
	s_or_b64 exec, exec, s[6:7]
	s_movk_i32 s4, 0x7f
	v_cmp_gt_i16_sdwa s[6:7], v10, s4 src0_sel:BYTE_3 src1_sel:DWORD
	s_mov_b64 s[4:5], 0
                                        ; implicit-def: $sgpr10
	s_and_saveexec_b64 s[8:9], s[6:7]
	s_xor_b64 s[6:7], exec, s[8:9]
	s_cbranch_execnz .LBB51_2845
; %bb.797:
	s_or_saveexec_b64 s[6:7], s[6:7]
	v_mov_b32_e32 v14, s10
	s_xor_b64 exec, exec, s[6:7]
	s_cbranch_execnz .LBB51_2848
.LBB51_798:
	s_or_b64 exec, exec, s[6:7]
	s_and_saveexec_b64 s[6:7], s[4:5]
	s_cbranch_execz .LBB51_800
.LBB51_799:
	v_bfe_u32 v14, v10, 24, 3
	v_ffbh_u32_e32 v24, v14
	v_min_u32_e32 v24, 32, v24
	v_lshrrev_b32_e32 v22, 27, v10
	v_subrev_u32_e32 v25, 28, v24
	v_and_b32_e32 v21, 0x80000000, v10
	v_and_b32_e32 v22, 15, v22
	v_bfe_u32 v23, v10, 27, 4
	v_lshlrev_b32_sdwa v10, v25, v10 dst_sel:DWORD dst_unused:UNUSED_PAD src0_sel:DWORD src1_sel:BYTE_3
	v_sub_u32_e32 v24, 29, v24
	v_and_b32_e32 v10, 7, v10
	v_cmp_eq_u16_e32 vcc, 0, v22
	v_cndmask_b32_e32 v10, v14, v10, vcc
	v_cndmask_b32_e32 v14, v23, v24, vcc
	v_mov_b32_e32 v22, 0x3b800000
	v_lshlrev_b32_e32 v10, 20, v10
	v_lshl_add_u32 v14, v14, 23, v22
	v_or3_b32 v14, v21, v14, v10
.LBB51_800:
	s_or_b64 exec, exec, s[6:7]
	s_nop 0
	v_mfma_f32_16x16x4f32 a[0:3], v20, v14, a[0:3]
	s_movk_i32 s4, 0x7f
	v_cmp_gt_i16_sdwa s[6:7], v15, s4 src0_sel:BYTE_0 src1_sel:DWORD
	s_mov_b64 s[4:5], 0
                                        ; implicit-def: $sgpr10
	s_and_saveexec_b64 s[8:9], s[6:7]
	s_xor_b64 s[6:7], exec, s[8:9]
	s_cbranch_execnz .LBB51_2849
; %bb.801:
	s_or_saveexec_b64 s[6:7], s[6:7]
	v_mov_b32_e32 v10, s10
	s_xor_b64 exec, exec, s[6:7]
	s_cbranch_execnz .LBB51_2852
.LBB51_802:
	s_or_b64 exec, exec, s[6:7]
	s_and_saveexec_b64 s[6:7], s[4:5]
	s_cbranch_execz .LBB51_804
.LBB51_803:
	v_and_b32_e32 v10, 7, v15
	v_ffbh_u32_e32 v20, v10
	v_min_u32_e32 v20, 32, v20
	v_lshrrev_b16_e32 v14, 3, v15
	v_subrev_u32_e32 v21, 28, v20
	v_and_b32_e32 v14, 15, v14
	v_lshlrev_b32_e32 v21, v21, v15
	v_sub_u32_e32 v20, 29, v20
	v_and_b32_e32 v21, 7, v21
	v_cmp_eq_u16_e32 vcc, 0, v14
	v_cndmask_b32_e32 v10, v10, v21, vcc
	v_cndmask_b32_e32 v14, v14, v20, vcc
	v_lshlrev_b32_e32 v20, 24, v15
	v_mov_b32_e32 v21, 0x3b800000
	v_lshlrev_b32_e32 v10, 20, v10
	v_and_b32_e32 v20, 0x80000000, v20
	v_lshl_add_u32 v14, v14, 23, v21
	v_or3_b32 v10, v20, v14, v10
.LBB51_804:
	s_or_b64 exec, exec, s[6:7]
	s_movk_i32 s4, 0x7f
	v_cmp_gt_i16_sdwa s[6:7], v11, s4 src0_sel:BYTE_0 src1_sel:DWORD
	s_mov_b64 s[4:5], 0
                                        ; implicit-def: $sgpr10
	s_and_saveexec_b64 s[8:9], s[6:7]
	s_xor_b64 s[6:7], exec, s[8:9]
	s_cbranch_execnz .LBB51_2853
; %bb.805:
	s_or_saveexec_b64 s[6:7], s[6:7]
	v_mov_b32_e32 v14, s10
	s_xor_b64 exec, exec, s[6:7]
	s_cbranch_execnz .LBB51_2856
.LBB51_806:
	s_or_b64 exec, exec, s[6:7]
	s_and_saveexec_b64 s[6:7], s[4:5]
	s_cbranch_execz .LBB51_808
.LBB51_807:
	v_and_b32_e32 v14, 7, v11
	v_ffbh_u32_e32 v21, v14
	v_min_u32_e32 v21, 32, v21
	v_lshrrev_b16_e32 v20, 3, v11
	v_subrev_u32_e32 v22, 28, v21
	v_and_b32_e32 v20, 15, v20
	v_lshlrev_b32_e32 v22, v22, v11
	v_sub_u32_e32 v21, 29, v21
	v_and_b32_e32 v22, 7, v22
	v_cmp_eq_u16_e32 vcc, 0, v20
	v_cndmask_b32_e32 v14, v14, v22, vcc
	v_cndmask_b32_e32 v20, v20, v21, vcc
	v_lshlrev_b32_e32 v21, 24, v11
	v_mov_b32_e32 v22, 0x3b800000
	v_lshlrev_b32_e32 v14, 20, v14
	v_and_b32_e32 v21, 0x80000000, v21
	v_lshl_add_u32 v20, v20, 23, v22
	v_or3_b32 v14, v21, v20, v14
.LBB51_808:
	s_or_b64 exec, exec, s[6:7]
	s_nop 0
	v_mfma_f32_16x16x4f32 a[0:3], v10, v14, a[0:3]
	v_lshrrev_b32_e32 v14, 8, v15
	s_movk_i32 s4, 0x7f
	v_cmp_gt_i16_sdwa s[6:7], v14, s4 src0_sel:BYTE_0 src1_sel:DWORD
	s_mov_b64 s[4:5], 0
                                        ; implicit-def: $sgpr10
	s_and_saveexec_b64 s[8:9], s[6:7]
	s_xor_b64 s[6:7], exec, s[8:9]
	s_cbranch_execnz .LBB51_2857
; %bb.809:
	s_or_saveexec_b64 s[6:7], s[6:7]
	v_mov_b32_e32 v10, s10
	s_xor_b64 exec, exec, s[6:7]
	s_cbranch_execnz .LBB51_2860
.LBB51_810:
	s_or_b64 exec, exec, s[6:7]
	s_and_saveexec_b64 s[6:7], s[4:5]
	s_cbranch_execz .LBB51_812
.LBB51_811:
	v_bfe_u32 v10, v15, 8, 3
	v_ffbh_u32_e32 v21, v10
	v_min_u32_e32 v21, 32, v21
	v_lshrrev_b16_e32 v20, 3, v14
	v_subrev_u32_e32 v22, 28, v21
	v_and_b32_e32 v20, 15, v20
	v_lshlrev_b32_e32 v14, v22, v14
	v_sub_u32_e32 v21, 29, v21
	v_and_b32_e32 v14, 7, v14
	v_cmp_eq_u16_e32 vcc, 0, v20
	v_cndmask_b32_e32 v10, v10, v14, vcc
	v_cndmask_b32_e32 v14, v20, v21, vcc
	v_lshlrev_b32_e32 v20, 16, v15
	v_mov_b32_e32 v21, 0x3b800000
	v_lshlrev_b32_e32 v10, 20, v10
	v_and_b32_e32 v20, 0x80000000, v20
	v_lshl_add_u32 v14, v14, 23, v21
	v_or3_b32 v10, v20, v14, v10
.LBB51_812:
	s_or_b64 exec, exec, s[6:7]
	v_lshrrev_b32_e32 v14, 8, v11
	s_movk_i32 s4, 0x7f
	v_cmp_gt_i16_sdwa s[6:7], v14, s4 src0_sel:BYTE_0 src1_sel:DWORD
	s_mov_b64 s[4:5], 0
                                        ; implicit-def: $sgpr10
	s_and_saveexec_b64 s[8:9], s[6:7]
	s_xor_b64 s[6:7], exec, s[8:9]
	s_cbranch_execnz .LBB51_2861
; %bb.813:
	s_or_saveexec_b64 s[6:7], s[6:7]
	v_mov_b32_e32 v20, s10
	s_xor_b64 exec, exec, s[6:7]
	s_cbranch_execnz .LBB51_2864
.LBB51_814:
	s_or_b64 exec, exec, s[6:7]
	s_and_saveexec_b64 s[6:7], s[4:5]
	s_cbranch_execz .LBB51_816
.LBB51_815:
	v_bfe_u32 v20, v11, 8, 3
	v_ffbh_u32_e32 v22, v20
	v_min_u32_e32 v22, 32, v22
	v_lshrrev_b16_e32 v21, 3, v14
	v_subrev_u32_e32 v23, 28, v22
	v_and_b32_e32 v21, 15, v21
	v_lshlrev_b32_e32 v14, v23, v14
	v_sub_u32_e32 v22, 29, v22
	v_and_b32_e32 v14, 7, v14
	v_cmp_eq_u16_e32 vcc, 0, v21
	v_cndmask_b32_e32 v14, v20, v14, vcc
	v_cndmask_b32_e32 v20, v21, v22, vcc
	v_lshlrev_b32_e32 v21, 16, v11
	v_mov_b32_e32 v22, 0x3b800000
	v_lshlrev_b32_e32 v14, 20, v14
	v_and_b32_e32 v21, 0x80000000, v21
	v_lshl_add_u32 v20, v20, 23, v22
	v_or3_b32 v20, v21, v20, v14
.LBB51_816:
	s_or_b64 exec, exec, s[6:7]
	s_nop 0
	v_mfma_f32_16x16x4f32 a[0:3], v10, v20, a[0:3]
	s_movk_i32 s4, 0xff
	v_and_b32_sdwa v14, v15, s4 dst_sel:DWORD dst_unused:UNUSED_PAD src0_sel:WORD_1 src1_sel:DWORD
	s_movk_i32 s4, 0x7f
	v_cmp_lt_i16_e32 vcc, s4, v14
	s_mov_b64 s[4:5], 0
                                        ; implicit-def: $sgpr10
	s_and_saveexec_b64 s[6:7], vcc
	s_xor_b64 s[6:7], exec, s[6:7]
	s_cbranch_execnz .LBB51_2865
; %bb.817:
	s_or_saveexec_b64 s[6:7], s[6:7]
	v_mov_b32_e32 v10, s10
	s_xor_b64 exec, exec, s[6:7]
	s_cbranch_execnz .LBB51_2868
.LBB51_818:
	s_or_b64 exec, exec, s[6:7]
	s_and_saveexec_b64 s[6:7], s[4:5]
	s_cbranch_execz .LBB51_820
.LBB51_819:
	v_bfe_u32 v10, v15, 16, 3
	v_ffbh_u32_e32 v21, v10
	v_min_u32_e32 v21, 32, v21
	v_lshrrev_b32_e32 v14, 19, v15
	v_subrev_u32_e32 v22, 28, v21
	v_and_b32_e32 v14, 15, v14
	v_lshlrev_b32_sdwa v22, v22, v15 dst_sel:DWORD dst_unused:UNUSED_PAD src0_sel:DWORD src1_sel:WORD_1
	v_bfe_u32 v20, v15, 19, 4
	v_sub_u32_e32 v21, 29, v21
	v_and_b32_e32 v22, 7, v22
	v_cmp_eq_u16_e32 vcc, 0, v14
	v_cndmask_b32_e32 v10, v10, v22, vcc
	v_cndmask_b32_e32 v14, v20, v21, vcc
	v_lshlrev_b32_e32 v20, 8, v15
	v_mov_b32_e32 v21, 0x3b800000
	v_lshlrev_b32_e32 v10, 20, v10
	v_and_b32_e32 v20, 0x80000000, v20
	v_lshl_add_u32 v14, v14, 23, v21
	v_or3_b32 v10, v20, v14, v10
.LBB51_820:
	s_or_b64 exec, exec, s[6:7]
	s_movk_i32 s4, 0xff
	v_and_b32_sdwa v14, v11, s4 dst_sel:DWORD dst_unused:UNUSED_PAD src0_sel:WORD_1 src1_sel:DWORD
	s_movk_i32 s4, 0x7f
	v_cmp_lt_i16_e32 vcc, s4, v14
	s_mov_b64 s[4:5], 0
                                        ; implicit-def: $sgpr10
	s_and_saveexec_b64 s[6:7], vcc
	s_xor_b64 s[6:7], exec, s[6:7]
	s_cbranch_execnz .LBB51_2869
; %bb.821:
	s_or_saveexec_b64 s[6:7], s[6:7]
	v_mov_b32_e32 v20, s10
	s_xor_b64 exec, exec, s[6:7]
	s_cbranch_execnz .LBB51_2872
.LBB51_822:
	s_or_b64 exec, exec, s[6:7]
	s_and_saveexec_b64 s[6:7], s[4:5]
	s_cbranch_execz .LBB51_824
.LBB51_823:
	v_bfe_u32 v14, v11, 16, 3
	v_ffbh_u32_e32 v22, v14
	v_min_u32_e32 v22, 32, v22
	v_lshrrev_b32_e32 v20, 19, v11
	v_subrev_u32_e32 v23, 28, v22
	v_and_b32_e32 v20, 15, v20
	v_lshlrev_b32_sdwa v23, v23, v11 dst_sel:DWORD dst_unused:UNUSED_PAD src0_sel:DWORD src1_sel:WORD_1
	v_bfe_u32 v21, v11, 19, 4
	v_sub_u32_e32 v22, 29, v22
	v_and_b32_e32 v23, 7, v23
	v_cmp_eq_u16_e32 vcc, 0, v20
	v_cndmask_b32_e32 v14, v14, v23, vcc
	v_cndmask_b32_e32 v20, v21, v22, vcc
	v_lshlrev_b32_e32 v21, 8, v11
	v_mov_b32_e32 v22, 0x3b800000
	v_lshlrev_b32_e32 v14, 20, v14
	v_and_b32_e32 v21, 0x80000000, v21
	v_lshl_add_u32 v20, v20, 23, v22
	v_or3_b32 v20, v21, v20, v14
.LBB51_824:
	s_or_b64 exec, exec, s[6:7]
	s_nop 0
	v_mfma_f32_16x16x4f32 a[0:3], v10, v20, a[0:3]
	s_movk_i32 s4, 0x7f
	v_cmp_gt_i16_sdwa s[6:7], v15, s4 src0_sel:BYTE_3 src1_sel:DWORD
	s_mov_b64 s[4:5], 0
                                        ; implicit-def: $sgpr10
	s_and_saveexec_b64 s[8:9], s[6:7]
	s_xor_b64 s[6:7], exec, s[8:9]
	s_cbranch_execnz .LBB51_2873
; %bb.825:
	s_or_saveexec_b64 s[6:7], s[6:7]
	v_mov_b32_e32 v10, s10
	s_xor_b64 exec, exec, s[6:7]
	s_cbranch_execnz .LBB51_2876
.LBB51_826:
	s_or_b64 exec, exec, s[6:7]
	s_and_saveexec_b64 s[6:7], s[4:5]
	s_cbranch_execz .LBB51_828
.LBB51_827:
	v_bfe_u32 v10, v15, 24, 3
	v_ffbh_u32_e32 v22, v10
	v_min_u32_e32 v22, 32, v22
	v_lshrrev_b32_e32 v20, 27, v15
	v_subrev_u32_e32 v23, 28, v22
	v_and_b32_e32 v14, 0x80000000, v15
	v_and_b32_e32 v20, 15, v20
	v_bfe_u32 v21, v15, 27, 4
	v_lshlrev_b32_sdwa v15, v23, v15 dst_sel:DWORD dst_unused:UNUSED_PAD src0_sel:DWORD src1_sel:BYTE_3
	v_sub_u32_e32 v22, 29, v22
	v_and_b32_e32 v15, 7, v15
	v_cmp_eq_u16_e32 vcc, 0, v20
	v_cndmask_b32_e32 v10, v10, v15, vcc
	v_cndmask_b32_e32 v15, v21, v22, vcc
	v_mov_b32_e32 v20, 0x3b800000
	v_lshlrev_b32_e32 v10, 20, v10
	v_lshl_add_u32 v15, v15, 23, v20
	v_or3_b32 v10, v14, v15, v10
.LBB51_828:
	s_or_b64 exec, exec, s[6:7]
	s_movk_i32 s4, 0x7f
	v_cmp_gt_i16_sdwa s[6:7], v11, s4 src0_sel:BYTE_3 src1_sel:DWORD
	s_mov_b64 s[4:5], 0
                                        ; implicit-def: $sgpr10
	s_and_saveexec_b64 s[8:9], s[6:7]
	s_xor_b64 s[6:7], exec, s[8:9]
	s_cbranch_execnz .LBB51_2877
; %bb.829:
	s_or_saveexec_b64 s[6:7], s[6:7]
	v_mov_b32_e32 v14, s10
	s_xor_b64 exec, exec, s[6:7]
	s_cbranch_execnz .LBB51_2880
.LBB51_830:
	s_or_b64 exec, exec, s[6:7]
	s_and_saveexec_b64 s[6:7], s[4:5]
	s_cbranch_execz .LBB51_832
.LBB51_831:
	v_bfe_u32 v14, v11, 24, 3
	v_ffbh_u32_e32 v22, v14
	v_min_u32_e32 v22, 32, v22
	v_lshrrev_b32_e32 v20, 27, v11
	v_subrev_u32_e32 v23, 28, v22
	v_and_b32_e32 v15, 0x80000000, v11
	v_and_b32_e32 v20, 15, v20
	v_bfe_u32 v21, v11, 27, 4
	v_lshlrev_b32_sdwa v11, v23, v11 dst_sel:DWORD dst_unused:UNUSED_PAD src0_sel:DWORD src1_sel:BYTE_3
	v_sub_u32_e32 v22, 29, v22
	v_and_b32_e32 v11, 7, v11
	v_cmp_eq_u16_e32 vcc, 0, v20
	v_cndmask_b32_e32 v11, v14, v11, vcc
	v_cndmask_b32_e32 v14, v21, v22, vcc
	v_mov_b32_e32 v20, 0x3b800000
	v_lshlrev_b32_e32 v11, 20, v11
	v_lshl_add_u32 v14, v14, 23, v20
	v_or3_b32 v14, v15, v14, v11
.LBB51_832:
	s_or_b64 exec, exec, s[6:7]
	s_nop 0
	v_mfma_f32_16x16x4f32 a[0:3], v10, v14, a[0:3]
	s_movk_i32 s4, 0x7f
	v_cmp_gt_i16_sdwa s[6:7], v16, s4 src0_sel:BYTE_0 src1_sel:DWORD
	s_mov_b64 s[4:5], 0
                                        ; implicit-def: $sgpr10
	s_and_saveexec_b64 s[8:9], s[6:7]
	s_xor_b64 s[6:7], exec, s[8:9]
	s_cbranch_execnz .LBB51_2881
; %bb.833:
	s_or_saveexec_b64 s[6:7], s[6:7]
	v_mov_b32_e32 v10, s10
	s_xor_b64 exec, exec, s[6:7]
	s_cbranch_execnz .LBB51_2884
.LBB51_834:
	s_or_b64 exec, exec, s[6:7]
	s_and_saveexec_b64 s[6:7], s[4:5]
	s_cbranch_execz .LBB51_836
.LBB51_835:
	v_and_b32_e32 v10, 7, v16
	v_ffbh_u32_e32 v14, v10
	v_min_u32_e32 v14, 32, v14
	v_lshrrev_b16_e32 v11, 3, v16
	v_subrev_u32_e32 v15, 28, v14
	v_and_b32_e32 v11, 15, v11
	v_lshlrev_b32_e32 v15, v15, v16
	v_sub_u32_e32 v14, 29, v14
	v_and_b32_e32 v15, 7, v15
	v_cmp_eq_u16_e32 vcc, 0, v11
	v_cndmask_b32_e32 v10, v10, v15, vcc
	v_cndmask_b32_e32 v11, v11, v14, vcc
	v_lshlrev_b32_e32 v14, 24, v16
	v_mov_b32_e32 v15, 0x3b800000
	v_lshlrev_b32_e32 v10, 20, v10
	v_and_b32_e32 v14, 0x80000000, v14
	v_lshl_add_u32 v11, v11, 23, v15
	v_or3_b32 v10, v14, v11, v10
.LBB51_836:
	s_or_b64 exec, exec, s[6:7]
	s_movk_i32 s4, 0x7f
	v_cmp_gt_i16_sdwa s[6:7], v12, s4 src0_sel:BYTE_0 src1_sel:DWORD
	s_mov_b64 s[4:5], 0
                                        ; implicit-def: $sgpr10
	s_and_saveexec_b64 s[8:9], s[6:7]
	s_xor_b64 s[6:7], exec, s[8:9]
	s_cbranch_execnz .LBB51_2885
; %bb.837:
	s_or_saveexec_b64 s[6:7], s[6:7]
	v_mov_b32_e32 v11, s10
	s_xor_b64 exec, exec, s[6:7]
	s_cbranch_execnz .LBB51_2888
.LBB51_838:
	s_or_b64 exec, exec, s[6:7]
	s_and_saveexec_b64 s[6:7], s[4:5]
	s_cbranch_execz .LBB51_840
.LBB51_839:
	v_and_b32_e32 v11, 7, v12
	v_ffbh_u32_e32 v15, v11
	v_min_u32_e32 v15, 32, v15
	v_lshrrev_b16_e32 v14, 3, v12
	v_subrev_u32_e32 v20, 28, v15
	v_and_b32_e32 v14, 15, v14
	v_lshlrev_b32_e32 v20, v20, v12
	v_sub_u32_e32 v15, 29, v15
	v_and_b32_e32 v20, 7, v20
	v_cmp_eq_u16_e32 vcc, 0, v14
	v_cndmask_b32_e32 v11, v11, v20, vcc
	v_cndmask_b32_e32 v14, v14, v15, vcc
	v_lshlrev_b32_e32 v15, 24, v12
	v_mov_b32_e32 v20, 0x3b800000
	v_lshlrev_b32_e32 v11, 20, v11
	v_and_b32_e32 v15, 0x80000000, v15
	v_lshl_add_u32 v14, v14, 23, v20
	v_or3_b32 v11, v15, v14, v11
.LBB51_840:
	s_or_b64 exec, exec, s[6:7]
	s_nop 0
	v_mfma_f32_16x16x4f32 a[0:3], v10, v11, a[0:3]
	v_lshrrev_b32_e32 v11, 8, v16
	s_movk_i32 s4, 0x7f
	v_cmp_gt_i16_sdwa s[6:7], v11, s4 src0_sel:BYTE_0 src1_sel:DWORD
	s_mov_b64 s[4:5], 0
                                        ; implicit-def: $sgpr10
	s_and_saveexec_b64 s[8:9], s[6:7]
	s_xor_b64 s[6:7], exec, s[8:9]
	s_cbranch_execnz .LBB51_2889
; %bb.841:
	s_or_saveexec_b64 s[6:7], s[6:7]
	v_mov_b32_e32 v10, s10
	s_xor_b64 exec, exec, s[6:7]
	s_cbranch_execnz .LBB51_2892
.LBB51_842:
	s_or_b64 exec, exec, s[6:7]
	s_and_saveexec_b64 s[6:7], s[4:5]
	s_cbranch_execz .LBB51_844
.LBB51_843:
	v_bfe_u32 v10, v16, 8, 3
	v_ffbh_u32_e32 v15, v10
	v_min_u32_e32 v15, 32, v15
	v_lshrrev_b16_e32 v14, 3, v11
	v_subrev_u32_e32 v20, 28, v15
	v_and_b32_e32 v14, 15, v14
	v_lshlrev_b32_e32 v11, v20, v11
	v_sub_u32_e32 v15, 29, v15
	v_and_b32_e32 v11, 7, v11
	v_cmp_eq_u16_e32 vcc, 0, v14
	v_cndmask_b32_e32 v10, v10, v11, vcc
	v_cndmask_b32_e32 v11, v14, v15, vcc
	v_lshlrev_b32_e32 v14, 16, v16
	v_mov_b32_e32 v15, 0x3b800000
	v_lshlrev_b32_e32 v10, 20, v10
	v_and_b32_e32 v14, 0x80000000, v14
	v_lshl_add_u32 v11, v11, 23, v15
	v_or3_b32 v10, v14, v11, v10
.LBB51_844:
	s_or_b64 exec, exec, s[6:7]
	v_lshrrev_b32_e32 v11, 8, v12
	s_movk_i32 s4, 0x7f
	v_cmp_gt_i16_sdwa s[6:7], v11, s4 src0_sel:BYTE_0 src1_sel:DWORD
	s_mov_b64 s[4:5], 0
                                        ; implicit-def: $sgpr10
	s_and_saveexec_b64 s[8:9], s[6:7]
	s_xor_b64 s[6:7], exec, s[8:9]
	s_cbranch_execnz .LBB51_2893
; %bb.845:
	s_or_saveexec_b64 s[6:7], s[6:7]
	v_mov_b32_e32 v14, s10
	s_xor_b64 exec, exec, s[6:7]
	s_cbranch_execnz .LBB51_2896
.LBB51_846:
	s_or_b64 exec, exec, s[6:7]
	s_and_saveexec_b64 s[6:7], s[4:5]
	s_cbranch_execz .LBB51_848
.LBB51_847:
	v_bfe_u32 v14, v12, 8, 3
	v_ffbh_u32_e32 v20, v14
	v_min_u32_e32 v20, 32, v20
	v_lshrrev_b16_e32 v15, 3, v11
	v_subrev_u32_e32 v21, 28, v20
	v_and_b32_e32 v15, 15, v15
	v_lshlrev_b32_e32 v11, v21, v11
	v_sub_u32_e32 v20, 29, v20
	v_and_b32_e32 v11, 7, v11
	v_cmp_eq_u16_e32 vcc, 0, v15
	v_cndmask_b32_e32 v11, v14, v11, vcc
	v_cndmask_b32_e32 v14, v15, v20, vcc
	v_lshlrev_b32_e32 v15, 16, v12
	v_mov_b32_e32 v20, 0x3b800000
	v_lshlrev_b32_e32 v11, 20, v11
	v_and_b32_e32 v15, 0x80000000, v15
	v_lshl_add_u32 v14, v14, 23, v20
	v_or3_b32 v14, v15, v14, v11
.LBB51_848:
	s_or_b64 exec, exec, s[6:7]
	s_nop 0
	v_mfma_f32_16x16x4f32 a[0:3], v10, v14, a[0:3]
	s_movk_i32 s4, 0xff
	v_and_b32_sdwa v11, v16, s4 dst_sel:DWORD dst_unused:UNUSED_PAD src0_sel:WORD_1 src1_sel:DWORD
	s_movk_i32 s4, 0x7f
	v_cmp_lt_i16_e32 vcc, s4, v11
	s_mov_b64 s[4:5], 0
                                        ; implicit-def: $sgpr10
	s_and_saveexec_b64 s[6:7], vcc
	s_xor_b64 s[6:7], exec, s[6:7]
	s_cbranch_execnz .LBB51_2897
; %bb.849:
	s_or_saveexec_b64 s[6:7], s[6:7]
	v_mov_b32_e32 v10, s10
	s_xor_b64 exec, exec, s[6:7]
	s_cbranch_execnz .LBB51_2900
.LBB51_850:
	s_or_b64 exec, exec, s[6:7]
	s_and_saveexec_b64 s[6:7], s[4:5]
	s_cbranch_execz .LBB51_852
.LBB51_851:
	v_bfe_u32 v10, v16, 16, 3
	v_ffbh_u32_e32 v15, v10
	v_min_u32_e32 v15, 32, v15
	v_lshrrev_b32_e32 v11, 19, v16
	v_subrev_u32_e32 v20, 28, v15
	v_and_b32_e32 v11, 15, v11
	v_lshlrev_b32_sdwa v20, v20, v16 dst_sel:DWORD dst_unused:UNUSED_PAD src0_sel:DWORD src1_sel:WORD_1
	v_bfe_u32 v14, v16, 19, 4
	v_sub_u32_e32 v15, 29, v15
	v_and_b32_e32 v20, 7, v20
	v_cmp_eq_u16_e32 vcc, 0, v11
	v_cndmask_b32_e32 v10, v10, v20, vcc
	v_cndmask_b32_e32 v11, v14, v15, vcc
	v_lshlrev_b32_e32 v14, 8, v16
	v_mov_b32_e32 v15, 0x3b800000
	v_lshlrev_b32_e32 v10, 20, v10
	v_and_b32_e32 v14, 0x80000000, v14
	v_lshl_add_u32 v11, v11, 23, v15
	v_or3_b32 v10, v14, v11, v10
.LBB51_852:
	s_or_b64 exec, exec, s[6:7]
	s_movk_i32 s4, 0xff
	v_and_b32_sdwa v11, v12, s4 dst_sel:DWORD dst_unused:UNUSED_PAD src0_sel:WORD_1 src1_sel:DWORD
	s_movk_i32 s4, 0x7f
	v_cmp_lt_i16_e32 vcc, s4, v11
	s_mov_b64 s[4:5], 0
                                        ; implicit-def: $sgpr10
	s_and_saveexec_b64 s[6:7], vcc
	s_xor_b64 s[6:7], exec, s[6:7]
	s_cbranch_execnz .LBB51_2901
; %bb.853:
	s_or_saveexec_b64 s[6:7], s[6:7]
	v_mov_b32_e32 v14, s10
	s_xor_b64 exec, exec, s[6:7]
	s_cbranch_execnz .LBB51_2904
.LBB51_854:
	s_or_b64 exec, exec, s[6:7]
	s_and_saveexec_b64 s[6:7], s[4:5]
	s_cbranch_execz .LBB51_856
.LBB51_855:
	v_bfe_u32 v11, v12, 16, 3
	v_ffbh_u32_e32 v20, v11
	v_min_u32_e32 v20, 32, v20
	v_lshrrev_b32_e32 v14, 19, v12
	v_subrev_u32_e32 v21, 28, v20
	v_and_b32_e32 v14, 15, v14
	v_lshlrev_b32_sdwa v21, v21, v12 dst_sel:DWORD dst_unused:UNUSED_PAD src0_sel:DWORD src1_sel:WORD_1
	v_bfe_u32 v15, v12, 19, 4
	v_sub_u32_e32 v20, 29, v20
	v_and_b32_e32 v21, 7, v21
	v_cmp_eq_u16_e32 vcc, 0, v14
	v_cndmask_b32_e32 v11, v11, v21, vcc
	v_cndmask_b32_e32 v14, v15, v20, vcc
	v_lshlrev_b32_e32 v15, 8, v12
	v_mov_b32_e32 v20, 0x3b800000
	v_lshlrev_b32_e32 v11, 20, v11
	v_and_b32_e32 v15, 0x80000000, v15
	v_lshl_add_u32 v14, v14, 23, v20
	v_or3_b32 v14, v15, v14, v11
.LBB51_856:
	s_or_b64 exec, exec, s[6:7]
	s_nop 0
	v_mfma_f32_16x16x4f32 a[0:3], v10, v14, a[0:3]
	s_movk_i32 s4, 0x7f
	v_cmp_gt_i16_sdwa s[6:7], v16, s4 src0_sel:BYTE_3 src1_sel:DWORD
	s_mov_b64 s[4:5], 0
                                        ; implicit-def: $sgpr10
	s_and_saveexec_b64 s[8:9], s[6:7]
	s_xor_b64 s[6:7], exec, s[8:9]
	s_cbranch_execnz .LBB51_2905
; %bb.857:
	s_or_saveexec_b64 s[6:7], s[6:7]
	v_mov_b32_e32 v10, s10
	s_xor_b64 exec, exec, s[6:7]
	s_cbranch_execnz .LBB51_2908
.LBB51_858:
	s_or_b64 exec, exec, s[6:7]
	s_and_saveexec_b64 s[6:7], s[4:5]
	s_cbranch_execz .LBB51_860
.LBB51_859:
	v_bfe_u32 v10, v16, 24, 3
	v_ffbh_u32_e32 v20, v10
	v_min_u32_e32 v20, 32, v20
	v_lshrrev_b32_e32 v14, 27, v16
	v_subrev_u32_e32 v21, 28, v20
	v_and_b32_e32 v11, 0x80000000, v16
	v_and_b32_e32 v14, 15, v14
	v_bfe_u32 v15, v16, 27, 4
	v_lshlrev_b32_sdwa v16, v21, v16 dst_sel:DWORD dst_unused:UNUSED_PAD src0_sel:DWORD src1_sel:BYTE_3
	v_sub_u32_e32 v20, 29, v20
	v_and_b32_e32 v16, 7, v16
	v_cmp_eq_u16_e32 vcc, 0, v14
	v_cndmask_b32_e32 v10, v10, v16, vcc
	v_cndmask_b32_e32 v14, v15, v20, vcc
	v_mov_b32_e32 v15, 0x3b800000
	v_lshlrev_b32_e32 v10, 20, v10
	v_lshl_add_u32 v14, v14, 23, v15
	v_or3_b32 v10, v11, v14, v10
.LBB51_860:
	s_or_b64 exec, exec, s[6:7]
	s_movk_i32 s4, 0x7f
	v_cmp_gt_i16_sdwa s[6:7], v12, s4 src0_sel:BYTE_3 src1_sel:DWORD
	s_mov_b64 s[4:5], 0
                                        ; implicit-def: $sgpr10
	s_and_saveexec_b64 s[8:9], s[6:7]
	s_xor_b64 s[6:7], exec, s[8:9]
	s_cbranch_execnz .LBB51_2909
; %bb.861:
	s_or_saveexec_b64 s[6:7], s[6:7]
	v_mov_b32_e32 v11, s10
	s_xor_b64 exec, exec, s[6:7]
	s_cbranch_execnz .LBB51_2912
.LBB51_862:
	s_or_b64 exec, exec, s[6:7]
	s_and_saveexec_b64 s[6:7], s[4:5]
	s_cbranch_execz .LBB51_864
.LBB51_863:
	v_bfe_u32 v11, v12, 24, 3
	v_ffbh_u32_e32 v20, v11
	v_min_u32_e32 v20, 32, v20
	v_lshrrev_b32_e32 v15, 27, v12
	v_subrev_u32_e32 v21, 28, v20
	v_and_b32_e32 v14, 0x80000000, v12
	v_and_b32_e32 v15, 15, v15
	v_bfe_u32 v16, v12, 27, 4
	v_lshlrev_b32_sdwa v12, v21, v12 dst_sel:DWORD dst_unused:UNUSED_PAD src0_sel:DWORD src1_sel:BYTE_3
	v_sub_u32_e32 v20, 29, v20
	v_and_b32_e32 v12, 7, v12
	v_cmp_eq_u16_e32 vcc, 0, v15
	v_cndmask_b32_e32 v11, v11, v12, vcc
	v_cndmask_b32_e32 v12, v16, v20, vcc
	v_mov_b32_e32 v15, 0x3b800000
	v_lshlrev_b32_e32 v11, 20, v11
	v_lshl_add_u32 v12, v12, 23, v15
	v_or3_b32 v11, v14, v12, v11
.LBB51_864:
	s_or_b64 exec, exec, s[6:7]
	s_nop 0
	v_mfma_f32_16x16x4f32 a[0:3], v10, v11, a[0:3]
	s_movk_i32 s4, 0x7f
	v_cmp_gt_i16_sdwa s[6:7], v17, s4 src0_sel:BYTE_0 src1_sel:DWORD
	s_mov_b64 s[4:5], 0
                                        ; implicit-def: $sgpr10
	s_and_saveexec_b64 s[8:9], s[6:7]
	s_xor_b64 s[6:7], exec, s[8:9]
	s_cbranch_execnz .LBB51_2913
; %bb.865:
	s_or_saveexec_b64 s[6:7], s[6:7]
	v_mov_b32_e32 v10, s10
	s_xor_b64 exec, exec, s[6:7]
	s_cbranch_execnz .LBB51_2916
.LBB51_866:
	s_or_b64 exec, exec, s[6:7]
	s_and_saveexec_b64 s[6:7], s[4:5]
	s_cbranch_execz .LBB51_868
.LBB51_867:
	v_and_b32_e32 v10, 7, v17
	v_ffbh_u32_e32 v12, v10
	v_min_u32_e32 v12, 32, v12
	v_lshrrev_b16_e32 v11, 3, v17
	v_subrev_u32_e32 v14, 28, v12
	v_and_b32_e32 v11, 15, v11
	v_lshlrev_b32_e32 v14, v14, v17
	v_sub_u32_e32 v12, 29, v12
	v_and_b32_e32 v14, 7, v14
	v_cmp_eq_u16_e32 vcc, 0, v11
	v_cndmask_b32_e32 v10, v10, v14, vcc
	v_cndmask_b32_e32 v11, v11, v12, vcc
	v_lshlrev_b32_e32 v12, 24, v17
	v_mov_b32_e32 v14, 0x3b800000
	v_lshlrev_b32_e32 v10, 20, v10
	v_and_b32_e32 v12, 0x80000000, v12
	v_lshl_add_u32 v11, v11, 23, v14
	v_or3_b32 v10, v12, v11, v10
.LBB51_868:
	s_or_b64 exec, exec, s[6:7]
	s_movk_i32 s4, 0x7f
	v_cmp_gt_i16_sdwa s[6:7], v13, s4 src0_sel:BYTE_0 src1_sel:DWORD
	s_mov_b64 s[4:5], 0
                                        ; implicit-def: $sgpr10
	s_and_saveexec_b64 s[8:9], s[6:7]
	s_xor_b64 s[6:7], exec, s[8:9]
	s_cbranch_execnz .LBB51_2917
; %bb.869:
	s_or_saveexec_b64 s[6:7], s[6:7]
	v_mov_b32_e32 v11, s10
	s_xor_b64 exec, exec, s[6:7]
	s_cbranch_execnz .LBB51_2920
.LBB51_870:
	s_or_b64 exec, exec, s[6:7]
	s_and_saveexec_b64 s[6:7], s[4:5]
	s_cbranch_execz .LBB51_872
.LBB51_871:
	v_and_b32_e32 v11, 7, v13
	v_ffbh_u32_e32 v14, v11
	v_min_u32_e32 v14, 32, v14
	v_lshrrev_b16_e32 v12, 3, v13
	v_subrev_u32_e32 v15, 28, v14
	v_and_b32_e32 v12, 15, v12
	v_lshlrev_b32_e32 v15, v15, v13
	v_sub_u32_e32 v14, 29, v14
	v_and_b32_e32 v15, 7, v15
	v_cmp_eq_u16_e32 vcc, 0, v12
	v_cndmask_b32_e32 v11, v11, v15, vcc
	v_cndmask_b32_e32 v12, v12, v14, vcc
	v_lshlrev_b32_e32 v14, 24, v13
	v_mov_b32_e32 v15, 0x3b800000
	v_lshlrev_b32_e32 v11, 20, v11
	v_and_b32_e32 v14, 0x80000000, v14
	v_lshl_add_u32 v12, v12, 23, v15
	v_or3_b32 v11, v14, v12, v11
.LBB51_872:
	s_or_b64 exec, exec, s[6:7]
	s_nop 0
	v_mfma_f32_16x16x4f32 a[0:3], v10, v11, a[0:3]
	v_lshrrev_b32_e32 v11, 8, v17
	s_movk_i32 s4, 0x7f
	v_cmp_gt_i16_sdwa s[6:7], v11, s4 src0_sel:BYTE_0 src1_sel:DWORD
	s_mov_b64 s[4:5], 0
                                        ; implicit-def: $sgpr10
	s_and_saveexec_b64 s[8:9], s[6:7]
	s_xor_b64 s[6:7], exec, s[8:9]
	s_cbranch_execnz .LBB51_2921
; %bb.873:
	s_or_saveexec_b64 s[6:7], s[6:7]
	v_mov_b32_e32 v10, s10
	s_xor_b64 exec, exec, s[6:7]
	s_cbranch_execnz .LBB51_2924
.LBB51_874:
	s_or_b64 exec, exec, s[6:7]
	s_and_saveexec_b64 s[6:7], s[4:5]
	s_cbranch_execz .LBB51_876
.LBB51_875:
	v_bfe_u32 v10, v17, 8, 3
	v_ffbh_u32_e32 v14, v10
	v_min_u32_e32 v14, 32, v14
	v_lshrrev_b16_e32 v12, 3, v11
	v_subrev_u32_e32 v15, 28, v14
	v_and_b32_e32 v12, 15, v12
	v_lshlrev_b32_e32 v11, v15, v11
	v_sub_u32_e32 v14, 29, v14
	v_and_b32_e32 v11, 7, v11
	v_cmp_eq_u16_e32 vcc, 0, v12
	v_cndmask_b32_e32 v10, v10, v11, vcc
	v_cndmask_b32_e32 v11, v12, v14, vcc
	v_lshlrev_b32_e32 v12, 16, v17
	v_mov_b32_e32 v14, 0x3b800000
	v_lshlrev_b32_e32 v10, 20, v10
	v_and_b32_e32 v12, 0x80000000, v12
	v_lshl_add_u32 v11, v11, 23, v14
	v_or3_b32 v10, v12, v11, v10
.LBB51_876:
	s_or_b64 exec, exec, s[6:7]
	v_lshrrev_b32_e32 v11, 8, v13
	s_movk_i32 s4, 0x7f
	v_cmp_gt_i16_sdwa s[6:7], v11, s4 src0_sel:BYTE_0 src1_sel:DWORD
	s_mov_b64 s[4:5], 0
                                        ; implicit-def: $sgpr10
	s_and_saveexec_b64 s[8:9], s[6:7]
	s_xor_b64 s[6:7], exec, s[8:9]
	s_cbranch_execnz .LBB51_2925
; %bb.877:
	s_or_saveexec_b64 s[6:7], s[6:7]
	v_mov_b32_e32 v12, s10
	s_xor_b64 exec, exec, s[6:7]
	s_cbranch_execnz .LBB51_2928
.LBB51_878:
	s_or_b64 exec, exec, s[6:7]
	s_and_saveexec_b64 s[6:7], s[4:5]
	s_cbranch_execz .LBB51_880
.LBB51_879:
	v_bfe_u32 v12, v13, 8, 3
	v_ffbh_u32_e32 v15, v12
	v_min_u32_e32 v15, 32, v15
	v_lshrrev_b16_e32 v14, 3, v11
	v_subrev_u32_e32 v16, 28, v15
	v_and_b32_e32 v14, 15, v14
	v_lshlrev_b32_e32 v11, v16, v11
	v_sub_u32_e32 v15, 29, v15
	v_and_b32_e32 v11, 7, v11
	v_cmp_eq_u16_e32 vcc, 0, v14
	v_cndmask_b32_e32 v11, v12, v11, vcc
	v_cndmask_b32_e32 v12, v14, v15, vcc
	v_lshlrev_b32_e32 v14, 16, v13
	v_mov_b32_e32 v15, 0x3b800000
	v_lshlrev_b32_e32 v11, 20, v11
	v_and_b32_e32 v14, 0x80000000, v14
	v_lshl_add_u32 v12, v12, 23, v15
	v_or3_b32 v12, v14, v12, v11
.LBB51_880:
	s_or_b64 exec, exec, s[6:7]
	s_nop 0
	v_mfma_f32_16x16x4f32 a[0:3], v10, v12, a[0:3]
	s_movk_i32 s4, 0xff
	v_and_b32_sdwa v11, v17, s4 dst_sel:DWORD dst_unused:UNUSED_PAD src0_sel:WORD_1 src1_sel:DWORD
	s_movk_i32 s4, 0x7f
	v_cmp_lt_i16_e32 vcc, s4, v11
	s_mov_b64 s[4:5], 0
                                        ; implicit-def: $sgpr10
	s_and_saveexec_b64 s[6:7], vcc
	s_xor_b64 s[6:7], exec, s[6:7]
	s_cbranch_execnz .LBB51_2929
; %bb.881:
	s_or_saveexec_b64 s[6:7], s[6:7]
	v_mov_b32_e32 v10, s10
	s_xor_b64 exec, exec, s[6:7]
	s_cbranch_execnz .LBB51_2932
.LBB51_882:
	s_or_b64 exec, exec, s[6:7]
	s_and_saveexec_b64 s[6:7], s[4:5]
	s_cbranch_execz .LBB51_884
.LBB51_883:
	v_bfe_u32 v10, v17, 16, 3
	v_ffbh_u32_e32 v14, v10
	v_min_u32_e32 v14, 32, v14
	v_lshrrev_b32_e32 v11, 19, v17
	v_subrev_u32_e32 v15, 28, v14
	v_and_b32_e32 v11, 15, v11
	v_lshlrev_b32_sdwa v15, v15, v17 dst_sel:DWORD dst_unused:UNUSED_PAD src0_sel:DWORD src1_sel:WORD_1
	v_bfe_u32 v12, v17, 19, 4
	v_sub_u32_e32 v14, 29, v14
	v_and_b32_e32 v15, 7, v15
	v_cmp_eq_u16_e32 vcc, 0, v11
	v_cndmask_b32_e32 v10, v10, v15, vcc
	v_cndmask_b32_e32 v11, v12, v14, vcc
	v_lshlrev_b32_e32 v12, 8, v17
	v_mov_b32_e32 v14, 0x3b800000
	v_lshlrev_b32_e32 v10, 20, v10
	v_and_b32_e32 v12, 0x80000000, v12
	v_lshl_add_u32 v11, v11, 23, v14
	v_or3_b32 v10, v12, v11, v10
.LBB51_884:
	s_or_b64 exec, exec, s[6:7]
	s_movk_i32 s4, 0xff
	v_and_b32_sdwa v11, v13, s4 dst_sel:DWORD dst_unused:UNUSED_PAD src0_sel:WORD_1 src1_sel:DWORD
	s_movk_i32 s4, 0x7f
	v_cmp_lt_i16_e32 vcc, s4, v11
	s_mov_b64 s[4:5], 0
                                        ; implicit-def: $sgpr10
	s_and_saveexec_b64 s[6:7], vcc
	s_xor_b64 s[6:7], exec, s[6:7]
	s_cbranch_execnz .LBB51_2933
; %bb.885:
	s_or_saveexec_b64 s[6:7], s[6:7]
	v_mov_b32_e32 v12, s10
	s_xor_b64 exec, exec, s[6:7]
	s_cbranch_execnz .LBB51_2936
.LBB51_886:
	s_or_b64 exec, exec, s[6:7]
	s_and_saveexec_b64 s[6:7], s[4:5]
	s_cbranch_execz .LBB51_888
.LBB51_887:
	v_bfe_u32 v11, v13, 16, 3
	v_ffbh_u32_e32 v15, v11
	v_min_u32_e32 v15, 32, v15
	v_lshrrev_b32_e32 v12, 19, v13
	v_subrev_u32_e32 v16, 28, v15
	v_and_b32_e32 v12, 15, v12
	v_lshlrev_b32_sdwa v16, v16, v13 dst_sel:DWORD dst_unused:UNUSED_PAD src0_sel:DWORD src1_sel:WORD_1
	v_bfe_u32 v14, v13, 19, 4
	v_sub_u32_e32 v15, 29, v15
	v_and_b32_e32 v16, 7, v16
	v_cmp_eq_u16_e32 vcc, 0, v12
	v_cndmask_b32_e32 v11, v11, v16, vcc
	v_cndmask_b32_e32 v12, v14, v15, vcc
	v_lshlrev_b32_e32 v14, 8, v13
	v_mov_b32_e32 v15, 0x3b800000
	v_lshlrev_b32_e32 v11, 20, v11
	v_and_b32_e32 v14, 0x80000000, v14
	v_lshl_add_u32 v12, v12, 23, v15
	v_or3_b32 v12, v14, v12, v11
.LBB51_888:
	s_or_b64 exec, exec, s[6:7]
	s_nop 0
	v_mfma_f32_16x16x4f32 a[0:3], v10, v12, a[0:3]
	s_movk_i32 s4, 0x7f
	v_cmp_gt_i16_sdwa s[6:7], v17, s4 src0_sel:BYTE_3 src1_sel:DWORD
	s_mov_b64 s[4:5], 0
                                        ; implicit-def: $sgpr10
	s_and_saveexec_b64 s[8:9], s[6:7]
	s_xor_b64 s[6:7], exec, s[8:9]
	s_cbranch_execnz .LBB51_2937
; %bb.889:
	s_or_saveexec_b64 s[6:7], s[6:7]
	v_mov_b32_e32 v10, s10
	s_xor_b64 exec, exec, s[6:7]
	s_cbranch_execnz .LBB51_2940
.LBB51_890:
	s_or_b64 exec, exec, s[6:7]
	s_and_saveexec_b64 s[6:7], s[4:5]
	s_cbranch_execz .LBB51_892
.LBB51_891:
	v_bfe_u32 v10, v17, 24, 3
	v_ffbh_u32_e32 v15, v10
	v_min_u32_e32 v15, 32, v15
	v_lshrrev_b32_e32 v12, 27, v17
	v_subrev_u32_e32 v16, 28, v15
	v_and_b32_e32 v12, 15, v12
	v_lshlrev_b32_sdwa v16, v16, v17 dst_sel:DWORD dst_unused:UNUSED_PAD src0_sel:DWORD src1_sel:BYTE_3
	v_bfe_u32 v14, v17, 27, 4
	v_sub_u32_e32 v15, 29, v15
	v_and_b32_e32 v16, 7, v16
	v_cmp_eq_u16_e32 vcc, 0, v12
	v_cndmask_b32_e32 v10, v10, v16, vcc
	v_cndmask_b32_e32 v12, v14, v15, vcc
	v_mov_b32_e32 v14, 0x3b800000
	v_and_b32_e32 v11, 0x80000000, v17
	v_lshlrev_b32_e32 v10, 20, v10
	v_lshl_add_u32 v12, v12, 23, v14
	v_or3_b32 v10, v11, v12, v10
.LBB51_892:
	s_or_b64 exec, exec, s[6:7]
	s_movk_i32 s4, 0x7f
	v_cmp_gt_i16_sdwa s[6:7], v13, s4 src0_sel:BYTE_3 src1_sel:DWORD
	s_mov_b64 s[4:5], 0
                                        ; implicit-def: $sgpr10
	s_and_saveexec_b64 s[8:9], s[6:7]
	s_xor_b64 s[6:7], exec, s[8:9]
	s_cbranch_execnz .LBB51_2941
; %bb.893:
	s_or_saveexec_b64 s[6:7], s[6:7]
	v_mov_b32_e32 v11, s10
	s_xor_b64 exec, exec, s[6:7]
	s_cbranch_execnz .LBB51_2944
.LBB51_894:
	s_or_b64 exec, exec, s[6:7]
	s_and_saveexec_b64 s[6:7], s[4:5]
	s_cbranch_execz .LBB51_896
.LBB51_895:
	v_bfe_u32 v11, v13, 24, 3
	v_ffbh_u32_e32 v16, v11
	v_min_u32_e32 v16, 32, v16
	v_lshrrev_b32_e32 v14, 27, v13
	v_subrev_u32_e32 v17, 28, v16
	v_and_b32_e32 v12, 0x80000000, v13
	v_and_b32_e32 v14, 15, v14
	v_bfe_u32 v15, v13, 27, 4
	v_lshlrev_b32_sdwa v13, v17, v13 dst_sel:DWORD dst_unused:UNUSED_PAD src0_sel:DWORD src1_sel:BYTE_3
	v_sub_u32_e32 v16, 29, v16
	v_and_b32_e32 v13, 7, v13
	v_cmp_eq_u16_e32 vcc, 0, v14
	v_cndmask_b32_e32 v11, v11, v13, vcc
	v_cndmask_b32_e32 v13, v15, v16, vcc
	v_mov_b32_e32 v14, 0x3b800000
	v_lshlrev_b32_e32 v11, 20, v11
	v_lshl_add_u32 v13, v13, 23, v14
	v_or3_b32 v11, v12, v13, v11
.LBB51_896:
	s_or_b64 exec, exec, s[6:7]
	s_nop 0
	v_mfma_f32_16x16x4f32 a[0:3], v10, v11, a[0:3]
	s_movk_i32 s4, 0x7f
	v_cmp_gt_i16_sdwa s[6:7], v6, s4 src0_sel:BYTE_0 src1_sel:DWORD
	s_mov_b64 s[4:5], 0
                                        ; implicit-def: $sgpr10
	s_and_saveexec_b64 s[8:9], s[6:7]
	s_xor_b64 s[6:7], exec, s[8:9]
	s_cbranch_execnz .LBB51_2945
; %bb.897:
	s_or_saveexec_b64 s[6:7], s[6:7]
	v_mov_b32_e32 v10, s10
	s_xor_b64 exec, exec, s[6:7]
	s_cbranch_execnz .LBB51_2948
.LBB51_898:
	s_or_b64 exec, exec, s[6:7]
	s_and_saveexec_b64 s[6:7], s[4:5]
	s_cbranch_execz .LBB51_900
.LBB51_899:
	v_and_b32_e32 v10, 7, v6
	v_ffbh_u32_e32 v12, v10
	v_min_u32_e32 v12, 32, v12
	v_lshrrev_b16_e32 v11, 3, v6
	v_subrev_u32_e32 v13, 28, v12
	v_and_b32_e32 v11, 15, v11
	v_lshlrev_b32_e32 v13, v13, v6
	v_sub_u32_e32 v12, 29, v12
	v_and_b32_e32 v13, 7, v13
	v_cmp_eq_u16_e32 vcc, 0, v11
	v_cndmask_b32_e32 v10, v10, v13, vcc
	v_cndmask_b32_e32 v11, v11, v12, vcc
	v_lshlrev_b32_e32 v12, 24, v6
	v_mov_b32_e32 v13, 0x3b800000
	v_lshlrev_b32_e32 v10, 20, v10
	v_and_b32_e32 v12, 0x80000000, v12
	v_lshl_add_u32 v11, v11, 23, v13
	v_or3_b32 v10, v12, v11, v10
.LBB51_900:
	s_or_b64 exec, exec, s[6:7]
	s_movk_i32 s4, 0x7f
	v_cmp_gt_i16_sdwa s[6:7], v2, s4 src0_sel:BYTE_0 src1_sel:DWORD
	s_mov_b64 s[4:5], 0
                                        ; implicit-def: $sgpr10
	s_and_saveexec_b64 s[8:9], s[6:7]
	s_xor_b64 s[6:7], exec, s[8:9]
	s_cbranch_execnz .LBB51_2949
; %bb.901:
	s_or_saveexec_b64 s[6:7], s[6:7]
	v_mov_b32_e32 v11, s10
	s_xor_b64 exec, exec, s[6:7]
	s_cbranch_execnz .LBB51_2952
.LBB51_902:
	s_or_b64 exec, exec, s[6:7]
	s_and_saveexec_b64 s[6:7], s[4:5]
	s_cbranch_execz .LBB51_904
.LBB51_903:
	v_and_b32_e32 v11, 7, v2
	v_ffbh_u32_e32 v13, v11
	v_min_u32_e32 v13, 32, v13
	v_lshrrev_b16_e32 v12, 3, v2
	v_subrev_u32_e32 v14, 28, v13
	v_and_b32_e32 v12, 15, v12
	v_lshlrev_b32_e32 v14, v14, v2
	v_sub_u32_e32 v13, 29, v13
	v_and_b32_e32 v14, 7, v14
	v_cmp_eq_u16_e32 vcc, 0, v12
	v_cndmask_b32_e32 v11, v11, v14, vcc
	v_cndmask_b32_e32 v12, v12, v13, vcc
	v_lshlrev_b32_e32 v13, 24, v2
	v_mov_b32_e32 v14, 0x3b800000
	v_lshlrev_b32_e32 v11, 20, v11
	v_and_b32_e32 v13, 0x80000000, v13
	v_lshl_add_u32 v12, v12, 23, v14
	v_or3_b32 v11, v13, v12, v11
.LBB51_904:
	s_or_b64 exec, exec, s[6:7]
	s_nop 0
	v_mfma_f32_16x16x4f32 a[0:3], v10, v11, a[0:3]
	v_lshrrev_b32_e32 v11, 8, v6
	s_movk_i32 s4, 0x7f
	v_cmp_gt_i16_sdwa s[6:7], v11, s4 src0_sel:BYTE_0 src1_sel:DWORD
	s_mov_b64 s[4:5], 0
                                        ; implicit-def: $sgpr10
	s_and_saveexec_b64 s[8:9], s[6:7]
	s_xor_b64 s[6:7], exec, s[8:9]
	s_cbranch_execnz .LBB51_2953
; %bb.905:
	s_or_saveexec_b64 s[6:7], s[6:7]
	v_mov_b32_e32 v10, s10
	s_xor_b64 exec, exec, s[6:7]
	s_cbranch_execnz .LBB51_2956
.LBB51_906:
	s_or_b64 exec, exec, s[6:7]
	s_and_saveexec_b64 s[6:7], s[4:5]
	s_cbranch_execz .LBB51_908
.LBB51_907:
	v_bfe_u32 v10, v6, 8, 3
	v_ffbh_u32_e32 v13, v10
	v_min_u32_e32 v13, 32, v13
	v_lshrrev_b16_e32 v12, 3, v11
	v_subrev_u32_e32 v14, 28, v13
	v_and_b32_e32 v12, 15, v12
	v_lshlrev_b32_e32 v11, v14, v11
	v_sub_u32_e32 v13, 29, v13
	v_and_b32_e32 v11, 7, v11
	v_cmp_eq_u16_e32 vcc, 0, v12
	v_cndmask_b32_e32 v10, v10, v11, vcc
	v_cndmask_b32_e32 v11, v12, v13, vcc
	v_lshlrev_b32_e32 v12, 16, v6
	v_mov_b32_e32 v13, 0x3b800000
	v_lshlrev_b32_e32 v10, 20, v10
	v_and_b32_e32 v12, 0x80000000, v12
	v_lshl_add_u32 v11, v11, 23, v13
	v_or3_b32 v10, v12, v11, v10
.LBB51_908:
	s_or_b64 exec, exec, s[6:7]
	v_lshrrev_b32_e32 v11, 8, v2
	s_movk_i32 s4, 0x7f
	v_cmp_gt_i16_sdwa s[6:7], v11, s4 src0_sel:BYTE_0 src1_sel:DWORD
	s_mov_b64 s[4:5], 0
                                        ; implicit-def: $sgpr10
	s_and_saveexec_b64 s[8:9], s[6:7]
	s_xor_b64 s[6:7], exec, s[8:9]
	s_cbranch_execnz .LBB51_2957
; %bb.909:
	s_or_saveexec_b64 s[6:7], s[6:7]
	v_mov_b32_e32 v12, s10
	s_xor_b64 exec, exec, s[6:7]
	s_cbranch_execnz .LBB51_2960
.LBB51_910:
	s_or_b64 exec, exec, s[6:7]
	s_and_saveexec_b64 s[6:7], s[4:5]
	s_cbranch_execz .LBB51_912
.LBB51_911:
	v_bfe_u32 v12, v2, 8, 3
	v_ffbh_u32_e32 v14, v12
	v_min_u32_e32 v14, 32, v14
	v_lshrrev_b16_e32 v13, 3, v11
	v_subrev_u32_e32 v15, 28, v14
	v_and_b32_e32 v13, 15, v13
	v_lshlrev_b32_e32 v11, v15, v11
	v_sub_u32_e32 v14, 29, v14
	v_and_b32_e32 v11, 7, v11
	v_cmp_eq_u16_e32 vcc, 0, v13
	v_cndmask_b32_e32 v11, v12, v11, vcc
	v_cndmask_b32_e32 v12, v13, v14, vcc
	v_lshlrev_b32_e32 v13, 16, v2
	v_mov_b32_e32 v14, 0x3b800000
	v_lshlrev_b32_e32 v11, 20, v11
	v_and_b32_e32 v13, 0x80000000, v13
	v_lshl_add_u32 v12, v12, 23, v14
	v_or3_b32 v12, v13, v12, v11
.LBB51_912:
	s_or_b64 exec, exec, s[6:7]
	s_nop 0
	v_mfma_f32_16x16x4f32 a[0:3], v10, v12, a[0:3]
	s_movk_i32 s4, 0xff
	v_and_b32_sdwa v11, v6, s4 dst_sel:DWORD dst_unused:UNUSED_PAD src0_sel:WORD_1 src1_sel:DWORD
	s_movk_i32 s4, 0x7f
	v_cmp_lt_i16_e32 vcc, s4, v11
	s_mov_b64 s[4:5], 0
                                        ; implicit-def: $sgpr10
	s_and_saveexec_b64 s[6:7], vcc
	s_xor_b64 s[6:7], exec, s[6:7]
	s_cbranch_execnz .LBB51_2961
; %bb.913:
	s_or_saveexec_b64 s[6:7], s[6:7]
	v_mov_b32_e32 v10, s10
	s_xor_b64 exec, exec, s[6:7]
	s_cbranch_execnz .LBB51_2964
.LBB51_914:
	s_or_b64 exec, exec, s[6:7]
	s_and_saveexec_b64 s[6:7], s[4:5]
	s_cbranch_execz .LBB51_916
.LBB51_915:
	v_bfe_u32 v10, v6, 16, 3
	v_ffbh_u32_e32 v13, v10
	v_min_u32_e32 v13, 32, v13
	v_lshrrev_b32_e32 v11, 19, v6
	v_subrev_u32_e32 v14, 28, v13
	v_and_b32_e32 v11, 15, v11
	v_lshlrev_b32_sdwa v14, v14, v6 dst_sel:DWORD dst_unused:UNUSED_PAD src0_sel:DWORD src1_sel:WORD_1
	v_bfe_u32 v12, v6, 19, 4
	v_sub_u32_e32 v13, 29, v13
	v_and_b32_e32 v14, 7, v14
	v_cmp_eq_u16_e32 vcc, 0, v11
	v_cndmask_b32_e32 v10, v10, v14, vcc
	v_cndmask_b32_e32 v11, v12, v13, vcc
	v_lshlrev_b32_e32 v12, 8, v6
	v_mov_b32_e32 v13, 0x3b800000
	v_lshlrev_b32_e32 v10, 20, v10
	v_and_b32_e32 v12, 0x80000000, v12
	v_lshl_add_u32 v11, v11, 23, v13
	v_or3_b32 v10, v12, v11, v10
.LBB51_916:
	s_or_b64 exec, exec, s[6:7]
	s_movk_i32 s4, 0xff
	v_and_b32_sdwa v11, v2, s4 dst_sel:DWORD dst_unused:UNUSED_PAD src0_sel:WORD_1 src1_sel:DWORD
	s_movk_i32 s4, 0x7f
	v_cmp_lt_i16_e32 vcc, s4, v11
	s_mov_b64 s[4:5], 0
                                        ; implicit-def: $sgpr10
	s_and_saveexec_b64 s[6:7], vcc
	s_xor_b64 s[6:7], exec, s[6:7]
	s_cbranch_execnz .LBB51_2965
; %bb.917:
	s_or_saveexec_b64 s[6:7], s[6:7]
	v_mov_b32_e32 v12, s10
	s_xor_b64 exec, exec, s[6:7]
	s_cbranch_execnz .LBB51_2968
.LBB51_918:
	s_or_b64 exec, exec, s[6:7]
	s_and_saveexec_b64 s[6:7], s[4:5]
	s_cbranch_execz .LBB51_920
.LBB51_919:
	v_bfe_u32 v11, v2, 16, 3
	v_ffbh_u32_e32 v14, v11
	v_min_u32_e32 v14, 32, v14
	v_lshrrev_b32_e32 v12, 19, v2
	v_subrev_u32_e32 v15, 28, v14
	v_and_b32_e32 v12, 15, v12
	v_lshlrev_b32_sdwa v15, v15, v2 dst_sel:DWORD dst_unused:UNUSED_PAD src0_sel:DWORD src1_sel:WORD_1
	v_bfe_u32 v13, v2, 19, 4
	v_sub_u32_e32 v14, 29, v14
	v_and_b32_e32 v15, 7, v15
	v_cmp_eq_u16_e32 vcc, 0, v12
	v_cndmask_b32_e32 v11, v11, v15, vcc
	v_cndmask_b32_e32 v12, v13, v14, vcc
	v_lshlrev_b32_e32 v13, 8, v2
	v_mov_b32_e32 v14, 0x3b800000
	v_lshlrev_b32_e32 v11, 20, v11
	v_and_b32_e32 v13, 0x80000000, v13
	v_lshl_add_u32 v12, v12, 23, v14
	v_or3_b32 v12, v13, v12, v11
.LBB51_920:
	s_or_b64 exec, exec, s[6:7]
	s_nop 0
	v_mfma_f32_16x16x4f32 a[0:3], v10, v12, a[0:3]
	s_movk_i32 s4, 0x7f
	v_cmp_gt_i16_sdwa s[6:7], v6, s4 src0_sel:BYTE_3 src1_sel:DWORD
	s_mov_b64 s[4:5], 0
                                        ; implicit-def: $sgpr10
	s_and_saveexec_b64 s[8:9], s[6:7]
	s_xor_b64 s[6:7], exec, s[8:9]
	s_cbranch_execnz .LBB51_2969
; %bb.921:
	s_or_saveexec_b64 s[6:7], s[6:7]
	v_mov_b32_e32 v10, s10
	s_xor_b64 exec, exec, s[6:7]
	s_cbranch_execnz .LBB51_2972
.LBB51_922:
	s_or_b64 exec, exec, s[6:7]
	s_and_saveexec_b64 s[6:7], s[4:5]
	s_cbranch_execz .LBB51_924
.LBB51_923:
	v_bfe_u32 v10, v6, 24, 3
	v_ffbh_u32_e32 v14, v10
	v_min_u32_e32 v14, 32, v14
	v_lshrrev_b32_e32 v12, 27, v6
	v_subrev_u32_e32 v15, 28, v14
	v_and_b32_e32 v11, 0x80000000, v6
	v_and_b32_e32 v12, 15, v12
	v_bfe_u32 v13, v6, 27, 4
	v_lshlrev_b32_sdwa v6, v15, v6 dst_sel:DWORD dst_unused:UNUSED_PAD src0_sel:DWORD src1_sel:BYTE_3
	v_sub_u32_e32 v14, 29, v14
	v_and_b32_e32 v6, 7, v6
	v_cmp_eq_u16_e32 vcc, 0, v12
	v_cndmask_b32_e32 v6, v10, v6, vcc
	v_cndmask_b32_e32 v10, v13, v14, vcc
	v_mov_b32_e32 v12, 0x3b800000
	v_lshlrev_b32_e32 v6, 20, v6
	v_lshl_add_u32 v10, v10, 23, v12
	v_or3_b32 v10, v11, v10, v6
.LBB51_924:
	s_or_b64 exec, exec, s[6:7]
	s_movk_i32 s4, 0x7f
	v_cmp_gt_i16_sdwa s[6:7], v2, s4 src0_sel:BYTE_3 src1_sel:DWORD
	s_mov_b64 s[4:5], 0
                                        ; implicit-def: $sgpr10
	s_and_saveexec_b64 s[8:9], s[6:7]
	s_xor_b64 s[6:7], exec, s[8:9]
	s_cbranch_execnz .LBB51_2973
; %bb.925:
	s_or_saveexec_b64 s[6:7], s[6:7]
	v_mov_b32_e32 v6, s10
	s_xor_b64 exec, exec, s[6:7]
	s_cbranch_execnz .LBB51_2976
.LBB51_926:
	s_or_b64 exec, exec, s[6:7]
	s_and_saveexec_b64 s[6:7], s[4:5]
	s_cbranch_execz .LBB51_928
.LBB51_927:
	v_bfe_u32 v6, v2, 24, 3
	v_ffbh_u32_e32 v14, v6
	v_min_u32_e32 v14, 32, v14
	v_lshrrev_b32_e32 v12, 27, v2
	v_subrev_u32_e32 v15, 28, v14
	v_and_b32_e32 v11, 0x80000000, v2
	v_and_b32_e32 v12, 15, v12
	v_bfe_u32 v13, v2, 27, 4
	v_lshlrev_b32_sdwa v2, v15, v2 dst_sel:DWORD dst_unused:UNUSED_PAD src0_sel:DWORD src1_sel:BYTE_3
	v_sub_u32_e32 v14, 29, v14
	v_and_b32_e32 v2, 7, v2
	v_cmp_eq_u16_e32 vcc, 0, v12
	v_cndmask_b32_e32 v2, v6, v2, vcc
	v_cndmask_b32_e32 v6, v13, v14, vcc
	v_mov_b32_e32 v12, 0x3b800000
	v_lshlrev_b32_e32 v2, 20, v2
	v_lshl_add_u32 v6, v6, 23, v12
	v_or3_b32 v6, v11, v6, v2
.LBB51_928:
	s_or_b64 exec, exec, s[6:7]
	s_nop 0
	v_mfma_f32_16x16x4f32 a[0:3], v10, v6, a[0:3]
	s_movk_i32 s4, 0x7f
	v_cmp_gt_i16_sdwa s[6:7], v7, s4 src0_sel:BYTE_0 src1_sel:DWORD
	s_mov_b64 s[4:5], 0
                                        ; implicit-def: $sgpr10
	s_and_saveexec_b64 s[8:9], s[6:7]
	s_xor_b64 s[6:7], exec, s[8:9]
	s_cbranch_execnz .LBB51_2977
; %bb.929:
	s_or_saveexec_b64 s[6:7], s[6:7]
	v_mov_b32_e32 v2, s10
	s_xor_b64 exec, exec, s[6:7]
	s_cbranch_execnz .LBB51_2980
.LBB51_930:
	s_or_b64 exec, exec, s[6:7]
	s_and_saveexec_b64 s[6:7], s[4:5]
	s_cbranch_execz .LBB51_932
.LBB51_931:
	v_and_b32_e32 v2, 7, v7
	v_ffbh_u32_e32 v10, v2
	v_min_u32_e32 v10, 32, v10
	v_lshrrev_b16_e32 v6, 3, v7
	v_subrev_u32_e32 v11, 28, v10
	v_and_b32_e32 v6, 15, v6
	v_lshlrev_b32_e32 v11, v11, v7
	v_sub_u32_e32 v10, 29, v10
	v_and_b32_e32 v11, 7, v11
	v_cmp_eq_u16_e32 vcc, 0, v6
	v_cndmask_b32_e32 v2, v2, v11, vcc
	v_cndmask_b32_e32 v6, v6, v10, vcc
	v_lshlrev_b32_e32 v10, 24, v7
	v_mov_b32_e32 v11, 0x3b800000
	v_lshlrev_b32_e32 v2, 20, v2
	v_and_b32_e32 v10, 0x80000000, v10
	v_lshl_add_u32 v6, v6, 23, v11
	v_or3_b32 v2, v10, v6, v2
.LBB51_932:
	s_or_b64 exec, exec, s[6:7]
	s_movk_i32 s4, 0x7f
	v_cmp_gt_i16_sdwa s[6:7], v3, s4 src0_sel:BYTE_0 src1_sel:DWORD
	s_mov_b64 s[4:5], 0
                                        ; implicit-def: $sgpr10
	s_and_saveexec_b64 s[8:9], s[6:7]
	s_xor_b64 s[6:7], exec, s[8:9]
	s_cbranch_execnz .LBB51_2981
; %bb.933:
	s_or_saveexec_b64 s[6:7], s[6:7]
	v_mov_b32_e32 v6, s10
	s_xor_b64 exec, exec, s[6:7]
	s_cbranch_execnz .LBB51_2984
.LBB51_934:
	s_or_b64 exec, exec, s[6:7]
	s_and_saveexec_b64 s[6:7], s[4:5]
	s_cbranch_execz .LBB51_936
.LBB51_935:
	v_and_b32_e32 v6, 7, v3
	v_ffbh_u32_e32 v11, v6
	v_min_u32_e32 v11, 32, v11
	v_lshrrev_b16_e32 v10, 3, v3
	v_subrev_u32_e32 v12, 28, v11
	v_and_b32_e32 v10, 15, v10
	v_lshlrev_b32_e32 v12, v12, v3
	v_sub_u32_e32 v11, 29, v11
	v_and_b32_e32 v12, 7, v12
	v_cmp_eq_u16_e32 vcc, 0, v10
	v_cndmask_b32_e32 v6, v6, v12, vcc
	v_cndmask_b32_e32 v10, v10, v11, vcc
	v_lshlrev_b32_e32 v11, 24, v3
	v_mov_b32_e32 v12, 0x3b800000
	v_lshlrev_b32_e32 v6, 20, v6
	v_and_b32_e32 v11, 0x80000000, v11
	v_lshl_add_u32 v10, v10, 23, v12
	v_or3_b32 v6, v11, v10, v6
.LBB51_936:
	s_or_b64 exec, exec, s[6:7]
	s_nop 0
	v_mfma_f32_16x16x4f32 a[0:3], v2, v6, a[0:3]
	v_lshrrev_b32_e32 v6, 8, v7
	s_movk_i32 s4, 0x7f
	v_cmp_gt_i16_sdwa s[6:7], v6, s4 src0_sel:BYTE_0 src1_sel:DWORD
	s_mov_b64 s[4:5], 0
                                        ; implicit-def: $sgpr10
	s_and_saveexec_b64 s[8:9], s[6:7]
	s_xor_b64 s[6:7], exec, s[8:9]
	s_cbranch_execnz .LBB51_2985
; %bb.937:
	s_or_saveexec_b64 s[6:7], s[6:7]
	v_mov_b32_e32 v2, s10
	s_xor_b64 exec, exec, s[6:7]
	s_cbranch_execnz .LBB51_2988
.LBB51_938:
	s_or_b64 exec, exec, s[6:7]
	s_and_saveexec_b64 s[6:7], s[4:5]
	s_cbranch_execz .LBB51_940
.LBB51_939:
	v_bfe_u32 v2, v7, 8, 3
	v_ffbh_u32_e32 v11, v2
	v_min_u32_e32 v11, 32, v11
	v_lshrrev_b16_e32 v10, 3, v6
	v_subrev_u32_e32 v12, 28, v11
	v_and_b32_e32 v10, 15, v10
	v_lshlrev_b32_e32 v6, v12, v6
	v_sub_u32_e32 v11, 29, v11
	v_and_b32_e32 v6, 7, v6
	v_cmp_eq_u16_e32 vcc, 0, v10
	v_cndmask_b32_e32 v2, v2, v6, vcc
	v_cndmask_b32_e32 v6, v10, v11, vcc
	v_lshlrev_b32_e32 v10, 16, v7
	v_mov_b32_e32 v11, 0x3b800000
	v_lshlrev_b32_e32 v2, 20, v2
	v_and_b32_e32 v10, 0x80000000, v10
	v_lshl_add_u32 v6, v6, 23, v11
	v_or3_b32 v2, v10, v6, v2
.LBB51_940:
	s_or_b64 exec, exec, s[6:7]
	v_lshrrev_b32_e32 v6, 8, v3
	s_movk_i32 s4, 0x7f
	v_cmp_gt_i16_sdwa s[6:7], v6, s4 src0_sel:BYTE_0 src1_sel:DWORD
	s_mov_b64 s[4:5], 0
                                        ; implicit-def: $sgpr10
	s_and_saveexec_b64 s[8:9], s[6:7]
	s_xor_b64 s[6:7], exec, s[8:9]
	s_cbranch_execnz .LBB51_2989
; %bb.941:
	s_or_saveexec_b64 s[6:7], s[6:7]
	v_mov_b32_e32 v10, s10
	s_xor_b64 exec, exec, s[6:7]
	s_cbranch_execnz .LBB51_2992
.LBB51_942:
	s_or_b64 exec, exec, s[6:7]
	s_and_saveexec_b64 s[6:7], s[4:5]
	s_cbranch_execz .LBB51_944
.LBB51_943:
	v_bfe_u32 v10, v3, 8, 3
	v_ffbh_u32_e32 v12, v10
	v_min_u32_e32 v12, 32, v12
	v_lshrrev_b16_e32 v11, 3, v6
	v_subrev_u32_e32 v13, 28, v12
	v_and_b32_e32 v11, 15, v11
	v_lshlrev_b32_e32 v6, v13, v6
	v_sub_u32_e32 v12, 29, v12
	v_and_b32_e32 v6, 7, v6
	v_cmp_eq_u16_e32 vcc, 0, v11
	v_cndmask_b32_e32 v6, v10, v6, vcc
	v_cndmask_b32_e32 v10, v11, v12, vcc
	v_lshlrev_b32_e32 v11, 16, v3
	v_mov_b32_e32 v12, 0x3b800000
	v_lshlrev_b32_e32 v6, 20, v6
	v_and_b32_e32 v11, 0x80000000, v11
	v_lshl_add_u32 v10, v10, 23, v12
	v_or3_b32 v10, v11, v10, v6
.LBB51_944:
	s_or_b64 exec, exec, s[6:7]
	s_nop 0
	v_mfma_f32_16x16x4f32 a[0:3], v2, v10, a[0:3]
	s_movk_i32 s4, 0xff
	v_and_b32_sdwa v6, v7, s4 dst_sel:DWORD dst_unused:UNUSED_PAD src0_sel:WORD_1 src1_sel:DWORD
	s_movk_i32 s4, 0x7f
	v_cmp_lt_i16_e32 vcc, s4, v6
	s_mov_b64 s[4:5], 0
                                        ; implicit-def: $sgpr10
	s_and_saveexec_b64 s[6:7], vcc
	s_xor_b64 s[6:7], exec, s[6:7]
	s_cbranch_execnz .LBB51_2993
; %bb.945:
	s_or_saveexec_b64 s[6:7], s[6:7]
	v_mov_b32_e32 v2, s10
	s_xor_b64 exec, exec, s[6:7]
	s_cbranch_execnz .LBB51_2996
.LBB51_946:
	s_or_b64 exec, exec, s[6:7]
	s_and_saveexec_b64 s[6:7], s[4:5]
	s_cbranch_execz .LBB51_948
.LBB51_947:
	v_bfe_u32 v2, v7, 16, 3
	v_ffbh_u32_e32 v11, v2
	v_min_u32_e32 v11, 32, v11
	v_lshrrev_b32_e32 v6, 19, v7
	v_subrev_u32_e32 v12, 28, v11
	v_and_b32_e32 v6, 15, v6
	v_lshlrev_b32_sdwa v12, v12, v7 dst_sel:DWORD dst_unused:UNUSED_PAD src0_sel:DWORD src1_sel:WORD_1
	v_bfe_u32 v10, v7, 19, 4
	v_sub_u32_e32 v11, 29, v11
	v_and_b32_e32 v12, 7, v12
	v_cmp_eq_u16_e32 vcc, 0, v6
	v_cndmask_b32_e32 v2, v2, v12, vcc
	v_cndmask_b32_e32 v6, v10, v11, vcc
	v_lshlrev_b32_e32 v10, 8, v7
	v_mov_b32_e32 v11, 0x3b800000
	v_lshlrev_b32_e32 v2, 20, v2
	v_and_b32_e32 v10, 0x80000000, v10
	v_lshl_add_u32 v6, v6, 23, v11
	v_or3_b32 v2, v10, v6, v2
.LBB51_948:
	s_or_b64 exec, exec, s[6:7]
	s_movk_i32 s4, 0xff
	v_and_b32_sdwa v6, v3, s4 dst_sel:DWORD dst_unused:UNUSED_PAD src0_sel:WORD_1 src1_sel:DWORD
	s_movk_i32 s4, 0x7f
	v_cmp_lt_i16_e32 vcc, s4, v6
	s_mov_b64 s[4:5], 0
                                        ; implicit-def: $sgpr10
	s_and_saveexec_b64 s[6:7], vcc
	s_xor_b64 s[6:7], exec, s[6:7]
	s_cbranch_execnz .LBB51_2997
; %bb.949:
	s_or_saveexec_b64 s[6:7], s[6:7]
	v_mov_b32_e32 v10, s10
	s_xor_b64 exec, exec, s[6:7]
	s_cbranch_execnz .LBB51_3000
.LBB51_950:
	s_or_b64 exec, exec, s[6:7]
	s_and_saveexec_b64 s[6:7], s[4:5]
	s_cbranch_execz .LBB51_952
.LBB51_951:
	v_bfe_u32 v6, v3, 16, 3
	v_ffbh_u32_e32 v12, v6
	v_min_u32_e32 v12, 32, v12
	v_lshrrev_b32_e32 v10, 19, v3
	v_subrev_u32_e32 v13, 28, v12
	v_and_b32_e32 v10, 15, v10
	v_lshlrev_b32_sdwa v13, v13, v3 dst_sel:DWORD dst_unused:UNUSED_PAD src0_sel:DWORD src1_sel:WORD_1
	v_bfe_u32 v11, v3, 19, 4
	v_sub_u32_e32 v12, 29, v12
	v_and_b32_e32 v13, 7, v13
	v_cmp_eq_u16_e32 vcc, 0, v10
	v_cndmask_b32_e32 v6, v6, v13, vcc
	v_cndmask_b32_e32 v10, v11, v12, vcc
	v_lshlrev_b32_e32 v11, 8, v3
	v_mov_b32_e32 v12, 0x3b800000
	v_lshlrev_b32_e32 v6, 20, v6
	v_and_b32_e32 v11, 0x80000000, v11
	v_lshl_add_u32 v10, v10, 23, v12
	v_or3_b32 v10, v11, v10, v6
.LBB51_952:
	s_or_b64 exec, exec, s[6:7]
	s_nop 0
	v_mfma_f32_16x16x4f32 a[0:3], v2, v10, a[0:3]
	s_movk_i32 s4, 0x7f
	v_cmp_gt_i16_sdwa s[6:7], v7, s4 src0_sel:BYTE_3 src1_sel:DWORD
	s_mov_b64 s[4:5], 0
                                        ; implicit-def: $sgpr10
	s_and_saveexec_b64 s[8:9], s[6:7]
	s_xor_b64 s[6:7], exec, s[8:9]
	s_cbranch_execnz .LBB51_3001
; %bb.953:
	s_or_saveexec_b64 s[6:7], s[6:7]
	v_mov_b32_e32 v2, s10
	s_xor_b64 exec, exec, s[6:7]
	s_cbranch_execnz .LBB51_3004
.LBB51_954:
	s_or_b64 exec, exec, s[6:7]
	s_and_saveexec_b64 s[6:7], s[4:5]
	s_cbranch_execz .LBB51_956
.LBB51_955:
	v_bfe_u32 v2, v7, 24, 3
	v_ffbh_u32_e32 v12, v2
	v_min_u32_e32 v12, 32, v12
	v_lshrrev_b32_e32 v10, 27, v7
	v_subrev_u32_e32 v13, 28, v12
	v_and_b32_e32 v6, 0x80000000, v7
	v_and_b32_e32 v10, 15, v10
	v_bfe_u32 v11, v7, 27, 4
	v_lshlrev_b32_sdwa v7, v13, v7 dst_sel:DWORD dst_unused:UNUSED_PAD src0_sel:DWORD src1_sel:BYTE_3
	v_sub_u32_e32 v12, 29, v12
	v_and_b32_e32 v7, 7, v7
	v_cmp_eq_u16_e32 vcc, 0, v10
	v_cndmask_b32_e32 v2, v2, v7, vcc
	v_cndmask_b32_e32 v7, v11, v12, vcc
	v_mov_b32_e32 v10, 0x3b800000
	v_lshlrev_b32_e32 v2, 20, v2
	v_lshl_add_u32 v7, v7, 23, v10
	v_or3_b32 v2, v6, v7, v2
.LBB51_956:
	s_or_b64 exec, exec, s[6:7]
	s_movk_i32 s4, 0x7f
	v_cmp_gt_i16_sdwa s[6:7], v3, s4 src0_sel:BYTE_3 src1_sel:DWORD
	s_mov_b64 s[4:5], 0
                                        ; implicit-def: $sgpr10
	s_and_saveexec_b64 s[8:9], s[6:7]
	s_xor_b64 s[6:7], exec, s[8:9]
	s_cbranch_execnz .LBB51_3005
; %bb.957:
	s_or_saveexec_b64 s[6:7], s[6:7]
	v_mov_b32_e32 v6, s10
	s_xor_b64 exec, exec, s[6:7]
	s_cbranch_execnz .LBB51_3008
.LBB51_958:
	s_or_b64 exec, exec, s[6:7]
	s_and_saveexec_b64 s[6:7], s[4:5]
	s_cbranch_execz .LBB51_960
.LBB51_959:
	v_bfe_u32 v6, v3, 24, 3
	v_ffbh_u32_e32 v12, v6
	v_min_u32_e32 v12, 32, v12
	v_lshrrev_b32_e32 v10, 27, v3
	v_subrev_u32_e32 v13, 28, v12
	v_and_b32_e32 v7, 0x80000000, v3
	v_and_b32_e32 v10, 15, v10
	v_bfe_u32 v11, v3, 27, 4
	v_lshlrev_b32_sdwa v3, v13, v3 dst_sel:DWORD dst_unused:UNUSED_PAD src0_sel:DWORD src1_sel:BYTE_3
	v_sub_u32_e32 v12, 29, v12
	v_and_b32_e32 v3, 7, v3
	v_cmp_eq_u16_e32 vcc, 0, v10
	v_cndmask_b32_e32 v3, v6, v3, vcc
	v_cndmask_b32_e32 v6, v11, v12, vcc
	v_mov_b32_e32 v10, 0x3b800000
	v_lshlrev_b32_e32 v3, 20, v3
	v_lshl_add_u32 v6, v6, 23, v10
	v_or3_b32 v6, v7, v6, v3
.LBB51_960:
	s_or_b64 exec, exec, s[6:7]
	s_nop 0
	v_mfma_f32_16x16x4f32 a[0:3], v2, v6, a[0:3]
	s_movk_i32 s4, 0x7f
	v_cmp_gt_i16_sdwa s[6:7], v8, s4 src0_sel:BYTE_0 src1_sel:DWORD
	s_mov_b64 s[4:5], 0
                                        ; implicit-def: $sgpr10
	s_and_saveexec_b64 s[8:9], s[6:7]
	s_xor_b64 s[6:7], exec, s[8:9]
	s_cbranch_execnz .LBB51_3009
; %bb.961:
	s_or_saveexec_b64 s[6:7], s[6:7]
	v_mov_b32_e32 v2, s10
	s_xor_b64 exec, exec, s[6:7]
	s_cbranch_execnz .LBB51_3012
.LBB51_962:
	s_or_b64 exec, exec, s[6:7]
	s_and_saveexec_b64 s[6:7], s[4:5]
	s_cbranch_execz .LBB51_964
.LBB51_963:
	v_and_b32_e32 v2, 7, v8
	v_ffbh_u32_e32 v6, v2
	v_min_u32_e32 v6, 32, v6
	v_lshrrev_b16_e32 v3, 3, v8
	v_subrev_u32_e32 v7, 28, v6
	v_and_b32_e32 v3, 15, v3
	v_lshlrev_b32_e32 v7, v7, v8
	v_sub_u32_e32 v6, 29, v6
	v_and_b32_e32 v7, 7, v7
	v_cmp_eq_u16_e32 vcc, 0, v3
	v_cndmask_b32_e32 v2, v2, v7, vcc
	v_cndmask_b32_e32 v3, v3, v6, vcc
	v_lshlrev_b32_e32 v6, 24, v8
	v_mov_b32_e32 v7, 0x3b800000
	v_lshlrev_b32_e32 v2, 20, v2
	v_and_b32_e32 v6, 0x80000000, v6
	v_lshl_add_u32 v3, v3, 23, v7
	v_or3_b32 v2, v6, v3, v2
.LBB51_964:
	s_or_b64 exec, exec, s[6:7]
	s_movk_i32 s4, 0x7f
	v_cmp_gt_i16_sdwa s[6:7], v4, s4 src0_sel:BYTE_0 src1_sel:DWORD
	s_mov_b64 s[4:5], 0
                                        ; implicit-def: $sgpr10
	s_and_saveexec_b64 s[8:9], s[6:7]
	s_xor_b64 s[6:7], exec, s[8:9]
	s_cbranch_execnz .LBB51_3013
; %bb.965:
	s_or_saveexec_b64 s[6:7], s[6:7]
	v_mov_b32_e32 v3, s10
	s_xor_b64 exec, exec, s[6:7]
	s_cbranch_execnz .LBB51_3016
.LBB51_966:
	s_or_b64 exec, exec, s[6:7]
	s_and_saveexec_b64 s[6:7], s[4:5]
	s_cbranch_execz .LBB51_968
.LBB51_967:
	v_and_b32_e32 v3, 7, v4
	v_ffbh_u32_e32 v7, v3
	v_min_u32_e32 v7, 32, v7
	v_lshrrev_b16_e32 v6, 3, v4
	v_subrev_u32_e32 v10, 28, v7
	v_and_b32_e32 v6, 15, v6
	v_lshlrev_b32_e32 v10, v10, v4
	v_sub_u32_e32 v7, 29, v7
	v_and_b32_e32 v10, 7, v10
	v_cmp_eq_u16_e32 vcc, 0, v6
	v_cndmask_b32_e32 v3, v3, v10, vcc
	v_cndmask_b32_e32 v6, v6, v7, vcc
	v_lshlrev_b32_e32 v7, 24, v4
	v_mov_b32_e32 v10, 0x3b800000
	v_lshlrev_b32_e32 v3, 20, v3
	v_and_b32_e32 v7, 0x80000000, v7
	v_lshl_add_u32 v6, v6, 23, v10
	v_or3_b32 v3, v7, v6, v3
.LBB51_968:
	s_or_b64 exec, exec, s[6:7]
	s_nop 0
	v_mfma_f32_16x16x4f32 a[0:3], v2, v3, a[0:3]
	v_lshrrev_b32_e32 v3, 8, v8
	s_movk_i32 s4, 0x7f
	v_cmp_gt_i16_sdwa s[6:7], v3, s4 src0_sel:BYTE_0 src1_sel:DWORD
	s_mov_b64 s[4:5], 0
                                        ; implicit-def: $sgpr10
	s_and_saveexec_b64 s[8:9], s[6:7]
	s_xor_b64 s[6:7], exec, s[8:9]
	s_cbranch_execnz .LBB51_3017
; %bb.969:
	s_or_saveexec_b64 s[6:7], s[6:7]
	v_mov_b32_e32 v2, s10
	s_xor_b64 exec, exec, s[6:7]
	s_cbranch_execnz .LBB51_3020
.LBB51_970:
	s_or_b64 exec, exec, s[6:7]
	s_and_saveexec_b64 s[6:7], s[4:5]
	s_cbranch_execz .LBB51_972
.LBB51_971:
	v_bfe_u32 v2, v8, 8, 3
	v_ffbh_u32_e32 v7, v2
	v_min_u32_e32 v7, 32, v7
	v_lshrrev_b16_e32 v6, 3, v3
	v_subrev_u32_e32 v10, 28, v7
	v_and_b32_e32 v6, 15, v6
	v_lshlrev_b32_e32 v3, v10, v3
	v_sub_u32_e32 v7, 29, v7
	v_and_b32_e32 v3, 7, v3
	v_cmp_eq_u16_e32 vcc, 0, v6
	v_cndmask_b32_e32 v2, v2, v3, vcc
	v_cndmask_b32_e32 v3, v6, v7, vcc
	v_lshlrev_b32_e32 v6, 16, v8
	v_mov_b32_e32 v7, 0x3b800000
	v_lshlrev_b32_e32 v2, 20, v2
	v_and_b32_e32 v6, 0x80000000, v6
	v_lshl_add_u32 v3, v3, 23, v7
	v_or3_b32 v2, v6, v3, v2
.LBB51_972:
	s_or_b64 exec, exec, s[6:7]
	v_lshrrev_b32_e32 v3, 8, v4
	s_movk_i32 s4, 0x7f
	v_cmp_gt_i16_sdwa s[6:7], v3, s4 src0_sel:BYTE_0 src1_sel:DWORD
	s_mov_b64 s[4:5], 0
                                        ; implicit-def: $sgpr10
	s_and_saveexec_b64 s[8:9], s[6:7]
	s_xor_b64 s[6:7], exec, s[8:9]
	s_cbranch_execnz .LBB51_3021
; %bb.973:
	s_or_saveexec_b64 s[6:7], s[6:7]
	v_mov_b32_e32 v6, s10
	s_xor_b64 exec, exec, s[6:7]
	s_cbranch_execnz .LBB51_3024
.LBB51_974:
	s_or_b64 exec, exec, s[6:7]
	s_and_saveexec_b64 s[6:7], s[4:5]
	s_cbranch_execz .LBB51_976
.LBB51_975:
	v_bfe_u32 v6, v4, 8, 3
	v_ffbh_u32_e32 v10, v6
	v_min_u32_e32 v10, 32, v10
	v_lshrrev_b16_e32 v7, 3, v3
	v_subrev_u32_e32 v11, 28, v10
	v_and_b32_e32 v7, 15, v7
	v_lshlrev_b32_e32 v3, v11, v3
	v_sub_u32_e32 v10, 29, v10
	v_and_b32_e32 v3, 7, v3
	v_cmp_eq_u16_e32 vcc, 0, v7
	v_cndmask_b32_e32 v3, v6, v3, vcc
	v_cndmask_b32_e32 v6, v7, v10, vcc
	v_lshlrev_b32_e32 v7, 16, v4
	v_mov_b32_e32 v10, 0x3b800000
	v_lshlrev_b32_e32 v3, 20, v3
	v_and_b32_e32 v7, 0x80000000, v7
	v_lshl_add_u32 v6, v6, 23, v10
	v_or3_b32 v6, v7, v6, v3
.LBB51_976:
	s_or_b64 exec, exec, s[6:7]
	s_nop 0
	v_mfma_f32_16x16x4f32 a[0:3], v2, v6, a[0:3]
	s_movk_i32 s4, 0xff
	v_and_b32_sdwa v3, v8, s4 dst_sel:DWORD dst_unused:UNUSED_PAD src0_sel:WORD_1 src1_sel:DWORD
	s_movk_i32 s4, 0x7f
	v_cmp_lt_i16_e32 vcc, s4, v3
	s_mov_b64 s[4:5], 0
                                        ; implicit-def: $sgpr10
	s_and_saveexec_b64 s[6:7], vcc
	s_xor_b64 s[6:7], exec, s[6:7]
	s_cbranch_execnz .LBB51_3025
; %bb.977:
	s_or_saveexec_b64 s[6:7], s[6:7]
	v_mov_b32_e32 v2, s10
	s_xor_b64 exec, exec, s[6:7]
	s_cbranch_execnz .LBB51_3028
.LBB51_978:
	s_or_b64 exec, exec, s[6:7]
	s_and_saveexec_b64 s[6:7], s[4:5]
	s_cbranch_execz .LBB51_980
.LBB51_979:
	v_bfe_u32 v2, v8, 16, 3
	v_ffbh_u32_e32 v7, v2
	v_min_u32_e32 v7, 32, v7
	v_lshrrev_b32_e32 v3, 19, v8
	v_subrev_u32_e32 v10, 28, v7
	v_and_b32_e32 v3, 15, v3
	v_lshlrev_b32_sdwa v10, v10, v8 dst_sel:DWORD dst_unused:UNUSED_PAD src0_sel:DWORD src1_sel:WORD_1
	v_bfe_u32 v6, v8, 19, 4
	v_sub_u32_e32 v7, 29, v7
	v_and_b32_e32 v10, 7, v10
	v_cmp_eq_u16_e32 vcc, 0, v3
	v_cndmask_b32_e32 v2, v2, v10, vcc
	v_cndmask_b32_e32 v3, v6, v7, vcc
	v_lshlrev_b32_e32 v6, 8, v8
	v_mov_b32_e32 v7, 0x3b800000
	v_lshlrev_b32_e32 v2, 20, v2
	v_and_b32_e32 v6, 0x80000000, v6
	v_lshl_add_u32 v3, v3, 23, v7
	v_or3_b32 v2, v6, v3, v2
.LBB51_980:
	s_or_b64 exec, exec, s[6:7]
	s_movk_i32 s4, 0xff
	v_and_b32_sdwa v3, v4, s4 dst_sel:DWORD dst_unused:UNUSED_PAD src0_sel:WORD_1 src1_sel:DWORD
	s_movk_i32 s4, 0x7f
	v_cmp_lt_i16_e32 vcc, s4, v3
	s_mov_b64 s[4:5], 0
                                        ; implicit-def: $sgpr10
	s_and_saveexec_b64 s[6:7], vcc
	s_xor_b64 s[6:7], exec, s[6:7]
	s_cbranch_execnz .LBB51_3029
; %bb.981:
	s_or_saveexec_b64 s[6:7], s[6:7]
	v_mov_b32_e32 v6, s10
	s_xor_b64 exec, exec, s[6:7]
	s_cbranch_execnz .LBB51_3032
.LBB51_982:
	s_or_b64 exec, exec, s[6:7]
	s_and_saveexec_b64 s[6:7], s[4:5]
	s_cbranch_execz .LBB51_984
.LBB51_983:
	v_bfe_u32 v3, v4, 16, 3
	v_ffbh_u32_e32 v10, v3
	v_min_u32_e32 v10, 32, v10
	v_lshrrev_b32_e32 v6, 19, v4
	v_subrev_u32_e32 v11, 28, v10
	v_and_b32_e32 v6, 15, v6
	v_lshlrev_b32_sdwa v11, v11, v4 dst_sel:DWORD dst_unused:UNUSED_PAD src0_sel:DWORD src1_sel:WORD_1
	v_bfe_u32 v7, v4, 19, 4
	v_sub_u32_e32 v10, 29, v10
	v_and_b32_e32 v11, 7, v11
	v_cmp_eq_u16_e32 vcc, 0, v6
	v_cndmask_b32_e32 v3, v3, v11, vcc
	v_cndmask_b32_e32 v6, v7, v10, vcc
	v_lshlrev_b32_e32 v7, 8, v4
	v_mov_b32_e32 v10, 0x3b800000
	v_lshlrev_b32_e32 v3, 20, v3
	v_and_b32_e32 v7, 0x80000000, v7
	v_lshl_add_u32 v6, v6, 23, v10
	v_or3_b32 v6, v7, v6, v3
.LBB51_984:
	s_or_b64 exec, exec, s[6:7]
	s_nop 0
	v_mfma_f32_16x16x4f32 a[0:3], v2, v6, a[0:3]
	s_movk_i32 s4, 0x7f
	v_cmp_gt_i16_sdwa s[6:7], v8, s4 src0_sel:BYTE_3 src1_sel:DWORD
	s_mov_b64 s[4:5], 0
                                        ; implicit-def: $sgpr10
	s_and_saveexec_b64 s[8:9], s[6:7]
	s_xor_b64 s[6:7], exec, s[8:9]
	s_cbranch_execnz .LBB51_3033
; %bb.985:
	s_or_saveexec_b64 s[6:7], s[6:7]
	v_mov_b32_e32 v2, s10
	s_xor_b64 exec, exec, s[6:7]
	s_cbranch_execnz .LBB51_3036
.LBB51_986:
	s_or_b64 exec, exec, s[6:7]
	s_and_saveexec_b64 s[6:7], s[4:5]
	s_cbranch_execz .LBB51_988
.LBB51_987:
	v_bfe_u32 v2, v8, 24, 3
	v_ffbh_u32_e32 v10, v2
	v_min_u32_e32 v10, 32, v10
	v_lshrrev_b32_e32 v6, 27, v8
	v_subrev_u32_e32 v11, 28, v10
	v_and_b32_e32 v3, 0x80000000, v8
	v_and_b32_e32 v6, 15, v6
	v_bfe_u32 v7, v8, 27, 4
	v_lshlrev_b32_sdwa v8, v11, v8 dst_sel:DWORD dst_unused:UNUSED_PAD src0_sel:DWORD src1_sel:BYTE_3
	v_sub_u32_e32 v10, 29, v10
	v_and_b32_e32 v8, 7, v8
	v_cmp_eq_u16_e32 vcc, 0, v6
	v_cndmask_b32_e32 v2, v2, v8, vcc
	v_cndmask_b32_e32 v6, v7, v10, vcc
	v_mov_b32_e32 v7, 0x3b800000
	v_lshlrev_b32_e32 v2, 20, v2
	v_lshl_add_u32 v6, v6, 23, v7
	v_or3_b32 v2, v3, v6, v2
.LBB51_988:
	s_or_b64 exec, exec, s[6:7]
	s_movk_i32 s4, 0x7f
	v_cmp_gt_i16_sdwa s[6:7], v4, s4 src0_sel:BYTE_3 src1_sel:DWORD
	s_mov_b64 s[4:5], 0
                                        ; implicit-def: $sgpr10
	s_and_saveexec_b64 s[8:9], s[6:7]
	s_xor_b64 s[6:7], exec, s[8:9]
	s_cbranch_execnz .LBB51_3037
; %bb.989:
	s_or_saveexec_b64 s[6:7], s[6:7]
	v_mov_b32_e32 v3, s10
	s_xor_b64 exec, exec, s[6:7]
	s_cbranch_execnz .LBB51_3040
.LBB51_990:
	s_or_b64 exec, exec, s[6:7]
	s_and_saveexec_b64 s[6:7], s[4:5]
	s_cbranch_execz .LBB51_992
.LBB51_991:
	v_bfe_u32 v3, v4, 24, 3
	v_ffbh_u32_e32 v10, v3
	v_min_u32_e32 v10, 32, v10
	v_lshrrev_b32_e32 v7, 27, v4
	v_subrev_u32_e32 v11, 28, v10
	v_and_b32_e32 v6, 0x80000000, v4
	v_and_b32_e32 v7, 15, v7
	v_bfe_u32 v8, v4, 27, 4
	v_lshlrev_b32_sdwa v4, v11, v4 dst_sel:DWORD dst_unused:UNUSED_PAD src0_sel:DWORD src1_sel:BYTE_3
	v_sub_u32_e32 v10, 29, v10
	v_and_b32_e32 v4, 7, v4
	v_cmp_eq_u16_e32 vcc, 0, v7
	v_cndmask_b32_e32 v3, v3, v4, vcc
	v_cndmask_b32_e32 v4, v8, v10, vcc
	v_mov_b32_e32 v7, 0x3b800000
	v_lshlrev_b32_e32 v3, 20, v3
	v_lshl_add_u32 v4, v4, 23, v7
	v_or3_b32 v3, v6, v4, v3
.LBB51_992:
	s_or_b64 exec, exec, s[6:7]
	s_nop 0
	v_mfma_f32_16x16x4f32 a[0:3], v2, v3, a[0:3]
	s_movk_i32 s4, 0x7f
	v_cmp_gt_i16_sdwa s[6:7], v9, s4 src0_sel:BYTE_0 src1_sel:DWORD
	s_mov_b64 s[4:5], 0
                                        ; implicit-def: $sgpr10
	s_and_saveexec_b64 s[8:9], s[6:7]
	s_xor_b64 s[6:7], exec, s[8:9]
	s_cbranch_execnz .LBB51_3041
; %bb.993:
	s_or_saveexec_b64 s[6:7], s[6:7]
	v_mov_b32_e32 v2, s10
	s_xor_b64 exec, exec, s[6:7]
	s_cbranch_execnz .LBB51_3044
.LBB51_994:
	s_or_b64 exec, exec, s[6:7]
	s_and_saveexec_b64 s[6:7], s[4:5]
	s_cbranch_execz .LBB51_996
.LBB51_995:
	v_mov_b32_e32 v2, 8
	v_and_b32_e32 v3, 7, v9
	v_lshrrev_b32_sdwa v2, v2, v9 dst_sel:BYTE_1 dst_unused:UNUSED_PAD src0_sel:DWORD src1_sel:DWORD
	v_ffbh_u32_e32 v4, v3
	v_or_b32_sdwa v2, v9, v2 dst_sel:DWORD dst_unused:UNUSED_PAD src0_sel:BYTE_0 src1_sel:DWORD
	v_min_u32_e32 v4, 32, v4
	v_lshrrev_b16_e32 v2, 3, v2
	v_subrev_u32_e32 v6, 28, v4
	v_and_b32_e32 v2, 15, v2
	v_lshlrev_b32_e32 v6, v6, v9
	v_sub_u32_e32 v4, 29, v4
	v_and_b32_e32 v6, 7, v6
	v_cmp_eq_u16_e32 vcc, 0, v2
	v_cndmask_b32_e32 v3, v3, v6, vcc
	v_cndmask_b32_e32 v2, v2, v4, vcc
	v_lshlrev_b32_e32 v4, 24, v9
	v_mov_b32_e32 v6, 0x3b800000
	v_lshlrev_b32_e32 v3, 20, v3
	v_and_b32_e32 v4, 0x80000000, v4
	v_lshl_add_u32 v2, v2, 23, v6
	v_or3_b32 v2, v4, v2, v3
.LBB51_996:
	s_or_b64 exec, exec, s[6:7]
	s_movk_i32 s4, 0x7f
	v_cmp_gt_i16_sdwa s[6:7], v5, s4 src0_sel:BYTE_0 src1_sel:DWORD
	s_mov_b64 s[4:5], 0
                                        ; implicit-def: $sgpr10
	s_and_saveexec_b64 s[8:9], s[6:7]
	s_xor_b64 s[6:7], exec, s[8:9]
	s_cbranch_execnz .LBB51_3045
; %bb.997:
	s_or_saveexec_b64 s[6:7], s[6:7]
	v_mov_b32_e32 v3, s10
	s_xor_b64 exec, exec, s[6:7]
	s_cbranch_execnz .LBB51_3048
.LBB51_998:
	s_or_b64 exec, exec, s[6:7]
	s_and_saveexec_b64 s[6:7], s[4:5]
	s_cbranch_execz .LBB51_1000
.LBB51_999:
	v_mov_b32_e32 v3, 8
	v_and_b32_e32 v4, 7, v5
	v_lshrrev_b32_sdwa v3, v3, v5 dst_sel:BYTE_1 dst_unused:UNUSED_PAD src0_sel:DWORD src1_sel:DWORD
	v_ffbh_u32_e32 v6, v4
	v_or_b32_sdwa v3, v5, v3 dst_sel:DWORD dst_unused:UNUSED_PAD src0_sel:BYTE_0 src1_sel:DWORD
	v_min_u32_e32 v6, 32, v6
	v_lshrrev_b16_e32 v3, 3, v3
	v_subrev_u32_e32 v7, 28, v6
	v_and_b32_e32 v3, 15, v3
	v_lshlrev_b32_e32 v7, v7, v5
	v_sub_u32_e32 v6, 29, v6
	v_and_b32_e32 v7, 7, v7
	v_cmp_eq_u16_e32 vcc, 0, v3
	v_cndmask_b32_e32 v4, v4, v7, vcc
	v_cndmask_b32_e32 v3, v3, v6, vcc
	v_lshlrev_b32_e32 v6, 24, v5
	v_mov_b32_e32 v7, 0x3b800000
	v_lshlrev_b32_e32 v4, 20, v4
	v_and_b32_e32 v6, 0x80000000, v6
	v_lshl_add_u32 v3, v3, 23, v7
	v_or3_b32 v3, v6, v3, v4
.LBB51_1000:
	s_or_b64 exec, exec, s[6:7]
	s_nop 0
	v_mfma_f32_16x16x4f32 a[0:3], v2, v3, a[0:3]
	v_lshrrev_b32_e32 v3, 8, v9
	s_movk_i32 s4, 0x7f
	v_cmp_gt_i16_sdwa s[6:7], v3, s4 src0_sel:BYTE_0 src1_sel:DWORD
	s_mov_b64 s[4:5], 0
                                        ; implicit-def: $sgpr10
	s_and_saveexec_b64 s[8:9], s[6:7]
	s_xor_b64 s[6:7], exec, s[8:9]
	s_cbranch_execnz .LBB51_3049
; %bb.1001:
	s_or_saveexec_b64 s[6:7], s[6:7]
	v_mov_b32_e32 v2, s10
	s_xor_b64 exec, exec, s[6:7]
	s_cbranch_execnz .LBB51_3052
.LBB51_1002:
	s_or_b64 exec, exec, s[6:7]
	s_and_saveexec_b64 s[6:7], s[4:5]
	s_cbranch_execz .LBB51_1004
.LBB51_1003:
	v_bfe_u32 v2, v9, 8, 3
	v_ffbh_u32_e32 v6, v2
	v_min_u32_e32 v6, 32, v6
	v_lshrrev_b16_e32 v4, 3, v3
	v_subrev_u32_e32 v7, 28, v6
	v_and_b32_e32 v4, 15, v4
	v_lshlrev_b32_e32 v3, v7, v3
	v_sub_u32_e32 v6, 29, v6
	v_and_b32_e32 v3, 7, v3
	v_cmp_eq_u16_e32 vcc, 0, v4
	v_cndmask_b32_e32 v2, v2, v3, vcc
	v_cndmask_b32_e32 v3, v4, v6, vcc
	v_lshlrev_b32_e32 v4, 16, v9
	v_mov_b32_e32 v6, 0x3b800000
	v_lshlrev_b32_e32 v2, 20, v2
	v_and_b32_e32 v4, 0x80000000, v4
	v_lshl_add_u32 v3, v3, 23, v6
	v_or3_b32 v2, v4, v3, v2
.LBB51_1004:
	s_or_b64 exec, exec, s[6:7]
	v_lshrrev_b32_e32 v3, 8, v5
	s_movk_i32 s4, 0x7f
	v_cmp_gt_i16_sdwa s[6:7], v3, s4 src0_sel:BYTE_0 src1_sel:DWORD
	s_mov_b64 s[4:5], 0
                                        ; implicit-def: $sgpr10
	s_and_saveexec_b64 s[8:9], s[6:7]
	s_xor_b64 s[6:7], exec, s[8:9]
	s_cbranch_execnz .LBB51_3053
; %bb.1005:
	s_or_saveexec_b64 s[6:7], s[6:7]
	v_mov_b32_e32 v4, s10
	s_xor_b64 exec, exec, s[6:7]
	s_cbranch_execnz .LBB51_3056
.LBB51_1006:
	s_or_b64 exec, exec, s[6:7]
	s_and_saveexec_b64 s[6:7], s[4:5]
	s_cbranch_execz .LBB51_1008
.LBB51_1007:
	v_bfe_u32 v4, v5, 8, 3
	v_ffbh_u32_e32 v7, v4
	v_min_u32_e32 v7, 32, v7
	v_lshrrev_b16_e32 v6, 3, v3
	v_subrev_u32_e32 v8, 28, v7
	v_and_b32_e32 v6, 15, v6
	v_lshlrev_b32_e32 v3, v8, v3
	v_sub_u32_e32 v7, 29, v7
	v_and_b32_e32 v3, 7, v3
	v_cmp_eq_u16_e32 vcc, 0, v6
	v_cndmask_b32_e32 v3, v4, v3, vcc
	v_cndmask_b32_e32 v4, v6, v7, vcc
	v_lshlrev_b32_e32 v6, 16, v5
	v_mov_b32_e32 v7, 0x3b800000
	v_lshlrev_b32_e32 v3, 20, v3
	v_and_b32_e32 v6, 0x80000000, v6
	v_lshl_add_u32 v4, v4, 23, v7
	v_or3_b32 v4, v6, v4, v3
.LBB51_1008:
	s_or_b64 exec, exec, s[6:7]
	s_nop 0
	v_mfma_f32_16x16x4f32 a[0:3], v2, v4, a[0:3]
	s_movk_i32 s4, 0xff
	v_and_b32_sdwa v3, v9, s4 dst_sel:DWORD dst_unused:UNUSED_PAD src0_sel:WORD_1 src1_sel:DWORD
	s_movk_i32 s4, 0x7f
	v_cmp_lt_i16_e32 vcc, s4, v3
	s_mov_b64 s[4:5], 0
                                        ; implicit-def: $sgpr10
	s_and_saveexec_b64 s[6:7], vcc
	s_xor_b64 s[6:7], exec, s[6:7]
	s_cbranch_execnz .LBB51_3057
; %bb.1009:
	s_or_saveexec_b64 s[6:7], s[6:7]
	v_mov_b32_e32 v2, s10
	s_xor_b64 exec, exec, s[6:7]
	s_cbranch_execnz .LBB51_3060
.LBB51_1010:
	s_or_b64 exec, exec, s[6:7]
	s_and_saveexec_b64 s[6:7], s[4:5]
	s_cbranch_execz .LBB51_1012
.LBB51_1011:
	v_bfe_u32 v2, v9, 16, 3
	v_ffbh_u32_e32 v6, v2
	v_min_u32_e32 v6, 32, v6
	v_lshrrev_b32_e32 v3, 19, v9
	v_subrev_u32_e32 v7, 28, v6
	v_and_b32_e32 v3, 15, v3
	v_lshlrev_b32_sdwa v7, v7, v9 dst_sel:DWORD dst_unused:UNUSED_PAD src0_sel:DWORD src1_sel:WORD_1
	v_bfe_u32 v4, v9, 19, 4
	v_sub_u32_e32 v6, 29, v6
	v_and_b32_e32 v7, 7, v7
	v_cmp_eq_u16_e32 vcc, 0, v3
	v_cndmask_b32_e32 v2, v2, v7, vcc
	v_cndmask_b32_e32 v3, v4, v6, vcc
	v_lshlrev_b32_e32 v4, 8, v9
	v_mov_b32_e32 v6, 0x3b800000
	v_lshlrev_b32_e32 v2, 20, v2
	v_and_b32_e32 v4, 0x80000000, v4
	v_lshl_add_u32 v3, v3, 23, v6
	v_or3_b32 v2, v4, v3, v2
.LBB51_1012:
	s_or_b64 exec, exec, s[6:7]
	s_movk_i32 s4, 0xff
	v_and_b32_sdwa v3, v5, s4 dst_sel:DWORD dst_unused:UNUSED_PAD src0_sel:WORD_1 src1_sel:DWORD
	s_movk_i32 s4, 0x7f
	v_cmp_lt_i16_e32 vcc, s4, v3
	s_mov_b64 s[4:5], 0
                                        ; implicit-def: $sgpr10
	s_and_saveexec_b64 s[6:7], vcc
	s_xor_b64 s[6:7], exec, s[6:7]
	s_cbranch_execnz .LBB51_3061
; %bb.1013:
	s_or_saveexec_b64 s[6:7], s[6:7]
	v_mov_b32_e32 v4, s10
	s_xor_b64 exec, exec, s[6:7]
	s_cbranch_execnz .LBB51_3064
.LBB51_1014:
	s_or_b64 exec, exec, s[6:7]
	s_and_saveexec_b64 s[6:7], s[4:5]
	s_cbranch_execz .LBB51_1016
.LBB51_1015:
	v_bfe_u32 v3, v5, 16, 3
	v_ffbh_u32_e32 v7, v3
	v_min_u32_e32 v7, 32, v7
	v_lshrrev_b32_e32 v4, 19, v5
	v_subrev_u32_e32 v8, 28, v7
	v_and_b32_e32 v4, 15, v4
	v_lshlrev_b32_sdwa v8, v8, v5 dst_sel:DWORD dst_unused:UNUSED_PAD src0_sel:DWORD src1_sel:WORD_1
	v_bfe_u32 v6, v5, 19, 4
	v_sub_u32_e32 v7, 29, v7
	v_and_b32_e32 v8, 7, v8
	v_cmp_eq_u16_e32 vcc, 0, v4
	v_cndmask_b32_e32 v3, v3, v8, vcc
	v_cndmask_b32_e32 v4, v6, v7, vcc
	v_lshlrev_b32_e32 v6, 8, v5
	v_mov_b32_e32 v7, 0x3b800000
	v_lshlrev_b32_e32 v3, 20, v3
	v_and_b32_e32 v6, 0x80000000, v6
	v_lshl_add_u32 v4, v4, 23, v7
	v_or3_b32 v4, v6, v4, v3
.LBB51_1016:
	s_or_b64 exec, exec, s[6:7]
	s_nop 0
	v_mfma_f32_16x16x4f32 a[0:3], v2, v4, a[0:3]
	s_movk_i32 s4, 0x7f
	v_cmp_gt_i16_sdwa s[6:7], v9, s4 src0_sel:BYTE_3 src1_sel:DWORD
	s_mov_b64 s[4:5], 0
                                        ; implicit-def: $sgpr10
	s_and_saveexec_b64 s[8:9], s[6:7]
	s_xor_b64 s[6:7], exec, s[8:9]
	s_cbranch_execnz .LBB51_3065
; %bb.1017:
	s_or_saveexec_b64 s[6:7], s[6:7]
	v_mov_b32_e32 v2, s10
	s_xor_b64 exec, exec, s[6:7]
	s_cbranch_execnz .LBB51_3068
.LBB51_1018:
	s_or_b64 exec, exec, s[6:7]
	s_and_saveexec_b64 s[6:7], s[4:5]
	s_cbranch_execz .LBB51_1020
.LBB51_1019:
	v_bfe_u32 v2, v9, 24, 3
	v_ffbh_u32_e32 v7, v2
	v_min_u32_e32 v7, 32, v7
	v_lshrrev_b32_e32 v4, 27, v9
	v_subrev_u32_e32 v8, 28, v7
	v_and_b32_e32 v4, 15, v4
	v_lshlrev_b32_sdwa v8, v8, v9 dst_sel:DWORD dst_unused:UNUSED_PAD src0_sel:DWORD src1_sel:BYTE_3
	v_bfe_u32 v6, v9, 27, 4
	v_sub_u32_e32 v7, 29, v7
	v_and_b32_e32 v8, 7, v8
	v_cmp_eq_u16_e32 vcc, 0, v4
	v_cndmask_b32_e32 v2, v2, v8, vcc
	v_cndmask_b32_e32 v4, v6, v7, vcc
	v_mov_b32_e32 v6, 0x3b800000
	v_and_b32_e32 v3, 0x80000000, v9
	v_lshlrev_b32_e32 v2, 20, v2
	v_lshl_add_u32 v4, v4, 23, v6
	v_or3_b32 v2, v3, v4, v2
.LBB51_1020:
	s_or_b64 exec, exec, s[6:7]
	s_movk_i32 s4, 0x7f
	v_cmp_gt_i16_sdwa s[6:7], v5, s4 src0_sel:BYTE_3 src1_sel:DWORD
	s_mov_b64 s[4:5], 0
                                        ; implicit-def: $sgpr10
	s_and_saveexec_b64 s[8:9], s[6:7]
	s_xor_b64 s[6:7], exec, s[8:9]
	s_cbranch_execnz .LBB51_3069
; %bb.1021:
	s_or_saveexec_b64 s[6:7], s[6:7]
	v_mov_b32_e32 v3, s10
	s_xor_b64 exec, exec, s[6:7]
	s_cbranch_execnz .LBB51_3072
.LBB51_1022:
	s_or_b64 exec, exec, s[6:7]
	s_and_saveexec_b64 s[6:7], s[4:5]
	s_cbranch_execz .LBB51_1024
.LBB51_1023:
	v_bfe_u32 v3, v5, 24, 3
	v_ffbh_u32_e32 v8, v3
	v_min_u32_e32 v8, 32, v8
	v_lshrrev_b32_e32 v6, 27, v5
	v_subrev_u32_e32 v9, 28, v8
	v_and_b32_e32 v4, 0x80000000, v5
	v_and_b32_e32 v6, 15, v6
	v_bfe_u32 v7, v5, 27, 4
	v_lshlrev_b32_sdwa v5, v9, v5 dst_sel:DWORD dst_unused:UNUSED_PAD src0_sel:DWORD src1_sel:BYTE_3
	v_sub_u32_e32 v8, 29, v8
	v_and_b32_e32 v5, 7, v5
	v_cmp_eq_u16_e32 vcc, 0, v6
	v_cndmask_b32_e32 v3, v3, v5, vcc
	v_cndmask_b32_e32 v5, v7, v8, vcc
	v_mov_b32_e32 v6, 0x3b800000
	v_lshlrev_b32_e32 v3, 20, v3
	v_lshl_add_u32 v5, v5, 23, v6
	v_or3_b32 v3, v4, v5, v3
.LBB51_1024:
	s_or_b64 exec, exec, s[6:7]
	s_nop 0
	v_mfma_f32_16x16x4f32 a[0:3], v2, v3, a[0:3]
	s_movk_i32 s4, 0x7f
                                        ; implicit-def: $sgpr10
	s_nop 7
	s_nop 1
	flat_store_dwordx4 v[18:19], a[0:3] offset:944
	flat_load_dwordx4 v[20:23], v[0:1] offset:8
	s_nop 0
	flat_load_dwordx2 v[18:19], v[0:1] offset:24
	s_waitcnt vmcnt(0) lgkmcnt(0)
	flat_load_dwordx4 v[14:17], v[20:21] offset:32
	flat_load_dwordx4 v[6:9], v[20:21] offset:48
	;; [unrolled: 1-line block ×4, first 2 shown]
	s_waitcnt vmcnt(0) lgkmcnt(0)
	v_cmp_gt_i16_sdwa s[6:7], v14, s4 src0_sel:BYTE_0 src1_sel:DWORD
	s_mov_b64 s[4:5], 0
	s_and_saveexec_b64 s[8:9], s[6:7]
	s_xor_b64 s[6:7], exec, s[8:9]
	s_cbranch_execnz .LBB51_3073
; %bb.1025:
	s_or_saveexec_b64 s[6:7], s[6:7]
	v_mov_b32_e32 v20, s10
	s_xor_b64 exec, exec, s[6:7]
	s_cbranch_execnz .LBB51_3076
.LBB51_1026:
	s_or_b64 exec, exec, s[6:7]
	s_and_saveexec_b64 s[6:7], s[4:5]
	s_cbranch_execz .LBB51_1028
.LBB51_1027:
	v_and_b32_e32 v20, 7, v14
	v_ffbh_u32_e32 v22, v20
	v_min_u32_e32 v22, 32, v22
	v_lshrrev_b16_e32 v21, 3, v14
	v_subrev_u32_e32 v23, 28, v22
	v_and_b32_e32 v21, 15, v21
	v_lshlrev_b32_e32 v23, v23, v14
	v_sub_u32_e32 v22, 29, v22
	v_and_b32_e32 v23, 7, v23
	v_cmp_eq_u16_e32 vcc, 0, v21
	v_cndmask_b32_e32 v20, v20, v23, vcc
	v_cndmask_b32_e32 v21, v21, v22, vcc
	v_lshlrev_b32_e32 v22, 24, v14
	v_mov_b32_e32 v23, 0x3b800000
	v_lshlrev_b32_e32 v20, 20, v20
	v_and_b32_e32 v22, 0x80000000, v22
	v_lshl_add_u32 v21, v21, 23, v23
	v_or3_b32 v20, v22, v21, v20
.LBB51_1028:
	s_or_b64 exec, exec, s[6:7]
	s_movk_i32 s4, 0x7f
	v_cmp_gt_i16_sdwa s[6:7], v10, s4 src0_sel:BYTE_0 src1_sel:DWORD
	s_mov_b64 s[4:5], 0
                                        ; implicit-def: $sgpr10
	s_and_saveexec_b64 s[8:9], s[6:7]
	s_xor_b64 s[6:7], exec, s[8:9]
	s_cbranch_execnz .LBB51_3077
; %bb.1029:
	s_or_saveexec_b64 s[6:7], s[6:7]
	v_mov_b32_e32 v21, s10
	s_xor_b64 exec, exec, s[6:7]
	s_cbranch_execnz .LBB51_3080
.LBB51_1030:
	s_or_b64 exec, exec, s[6:7]
	s_and_saveexec_b64 s[6:7], s[4:5]
	s_cbranch_execz .LBB51_1032
.LBB51_1031:
	v_and_b32_e32 v21, 7, v10
	v_ffbh_u32_e32 v23, v21
	v_min_u32_e32 v23, 32, v23
	v_lshrrev_b16_e32 v22, 3, v10
	v_subrev_u32_e32 v24, 28, v23
	v_and_b32_e32 v22, 15, v22
	v_lshlrev_b32_e32 v24, v24, v10
	v_sub_u32_e32 v23, 29, v23
	v_and_b32_e32 v24, 7, v24
	v_cmp_eq_u16_e32 vcc, 0, v22
	v_cndmask_b32_e32 v21, v21, v24, vcc
	v_cndmask_b32_e32 v22, v22, v23, vcc
	v_lshlrev_b32_e32 v23, 24, v10
	v_mov_b32_e32 v24, 0x3b800000
	v_lshlrev_b32_e32 v21, 20, v21
	v_and_b32_e32 v23, 0x80000000, v23
	v_lshl_add_u32 v22, v22, 23, v24
	v_or3_b32 v21, v23, v22, v21
.LBB51_1032:
	s_or_b64 exec, exec, s[6:7]
	flat_load_dwordx4 a[0:3], v[18:19] offset:960
	s_movk_i32 s4, 0x7f
                                        ; implicit-def: $sgpr10
	s_waitcnt vmcnt(0) lgkmcnt(0)
	v_mfma_f32_16x16x4f32 a[0:3], v20, v21, a[0:3]
	v_lshrrev_b32_e32 v21, 8, v14
	v_cmp_gt_i16_sdwa s[6:7], v21, s4 src0_sel:BYTE_0 src1_sel:DWORD
	s_mov_b64 s[4:5], 0
	s_and_saveexec_b64 s[8:9], s[6:7]
	s_xor_b64 s[6:7], exec, s[8:9]
	s_cbranch_execnz .LBB51_3081
; %bb.1033:
	s_or_saveexec_b64 s[6:7], s[6:7]
	v_mov_b32_e32 v20, s10
	s_xor_b64 exec, exec, s[6:7]
	s_cbranch_execnz .LBB51_3084
.LBB51_1034:
	s_or_b64 exec, exec, s[6:7]
	s_and_saveexec_b64 s[6:7], s[4:5]
	s_cbranch_execz .LBB51_1036
.LBB51_1035:
	v_bfe_u32 v20, v14, 8, 3
	v_ffbh_u32_e32 v23, v20
	v_min_u32_e32 v23, 32, v23
	v_lshrrev_b16_e32 v22, 3, v21
	v_subrev_u32_e32 v24, 28, v23
	v_and_b32_e32 v22, 15, v22
	v_lshlrev_b32_e32 v21, v24, v21
	v_sub_u32_e32 v23, 29, v23
	v_and_b32_e32 v21, 7, v21
	v_cmp_eq_u16_e32 vcc, 0, v22
	v_cndmask_b32_e32 v20, v20, v21, vcc
	v_cndmask_b32_e32 v21, v22, v23, vcc
	v_lshlrev_b32_e32 v22, 16, v14
	v_mov_b32_e32 v23, 0x3b800000
	v_lshlrev_b32_e32 v20, 20, v20
	v_and_b32_e32 v22, 0x80000000, v22
	v_lshl_add_u32 v21, v21, 23, v23
	v_or3_b32 v20, v22, v21, v20
.LBB51_1036:
	s_or_b64 exec, exec, s[6:7]
	v_lshrrev_b32_e32 v21, 8, v10
	s_movk_i32 s4, 0x7f
	v_cmp_gt_i16_sdwa s[6:7], v21, s4 src0_sel:BYTE_0 src1_sel:DWORD
	s_mov_b64 s[4:5], 0
                                        ; implicit-def: $sgpr10
	s_and_saveexec_b64 s[8:9], s[6:7]
	s_xor_b64 s[6:7], exec, s[8:9]
	s_cbranch_execnz .LBB51_3085
; %bb.1037:
	s_or_saveexec_b64 s[6:7], s[6:7]
	v_mov_b32_e32 v22, s10
	s_xor_b64 exec, exec, s[6:7]
	s_cbranch_execnz .LBB51_3088
.LBB51_1038:
	s_or_b64 exec, exec, s[6:7]
	s_and_saveexec_b64 s[6:7], s[4:5]
	s_cbranch_execz .LBB51_1040
.LBB51_1039:
	v_bfe_u32 v22, v10, 8, 3
	v_ffbh_u32_e32 v24, v22
	v_min_u32_e32 v24, 32, v24
	v_lshrrev_b16_e32 v23, 3, v21
	v_subrev_u32_e32 v25, 28, v24
	v_and_b32_e32 v23, 15, v23
	v_lshlrev_b32_e32 v21, v25, v21
	v_sub_u32_e32 v24, 29, v24
	v_and_b32_e32 v21, 7, v21
	v_cmp_eq_u16_e32 vcc, 0, v23
	v_cndmask_b32_e32 v21, v22, v21, vcc
	v_cndmask_b32_e32 v22, v23, v24, vcc
	v_lshlrev_b32_e32 v23, 16, v10
	v_mov_b32_e32 v24, 0x3b800000
	v_lshlrev_b32_e32 v21, 20, v21
	v_and_b32_e32 v23, 0x80000000, v23
	v_lshl_add_u32 v22, v22, 23, v24
	v_or3_b32 v22, v23, v22, v21
.LBB51_1040:
	s_or_b64 exec, exec, s[6:7]
	s_nop 0
	v_mfma_f32_16x16x4f32 a[0:3], v20, v22, a[0:3]
	s_movk_i32 s4, 0xff
	v_and_b32_sdwa v21, v14, s4 dst_sel:DWORD dst_unused:UNUSED_PAD src0_sel:WORD_1 src1_sel:DWORD
	s_movk_i32 s4, 0x7f
	v_cmp_lt_i16_e32 vcc, s4, v21
	s_mov_b64 s[4:5], 0
                                        ; implicit-def: $sgpr10
	s_and_saveexec_b64 s[6:7], vcc
	s_xor_b64 s[6:7], exec, s[6:7]
	s_cbranch_execnz .LBB51_3089
; %bb.1041:
	s_or_saveexec_b64 s[6:7], s[6:7]
	v_mov_b32_e32 v20, s10
	s_xor_b64 exec, exec, s[6:7]
	s_cbranch_execnz .LBB51_3092
.LBB51_1042:
	s_or_b64 exec, exec, s[6:7]
	s_and_saveexec_b64 s[6:7], s[4:5]
	s_cbranch_execz .LBB51_1044
.LBB51_1043:
	v_bfe_u32 v20, v14, 16, 3
	v_ffbh_u32_e32 v23, v20
	v_min_u32_e32 v23, 32, v23
	v_lshrrev_b32_e32 v21, 19, v14
	v_subrev_u32_e32 v24, 28, v23
	v_and_b32_e32 v21, 15, v21
	v_lshlrev_b32_sdwa v24, v24, v14 dst_sel:DWORD dst_unused:UNUSED_PAD src0_sel:DWORD src1_sel:WORD_1
	v_bfe_u32 v22, v14, 19, 4
	v_sub_u32_e32 v23, 29, v23
	v_and_b32_e32 v24, 7, v24
	v_cmp_eq_u16_e32 vcc, 0, v21
	v_cndmask_b32_e32 v20, v20, v24, vcc
	v_cndmask_b32_e32 v21, v22, v23, vcc
	v_lshlrev_b32_e32 v22, 8, v14
	v_mov_b32_e32 v23, 0x3b800000
	v_lshlrev_b32_e32 v20, 20, v20
	v_and_b32_e32 v22, 0x80000000, v22
	v_lshl_add_u32 v21, v21, 23, v23
	v_or3_b32 v20, v22, v21, v20
.LBB51_1044:
	s_or_b64 exec, exec, s[6:7]
	s_movk_i32 s4, 0xff
	v_and_b32_sdwa v21, v10, s4 dst_sel:DWORD dst_unused:UNUSED_PAD src0_sel:WORD_1 src1_sel:DWORD
	s_movk_i32 s4, 0x7f
	v_cmp_lt_i16_e32 vcc, s4, v21
	s_mov_b64 s[4:5], 0
                                        ; implicit-def: $sgpr10
	s_and_saveexec_b64 s[6:7], vcc
	s_xor_b64 s[6:7], exec, s[6:7]
	s_cbranch_execnz .LBB51_3093
; %bb.1045:
	s_or_saveexec_b64 s[6:7], s[6:7]
	v_mov_b32_e32 v22, s10
	s_xor_b64 exec, exec, s[6:7]
	s_cbranch_execnz .LBB51_3096
.LBB51_1046:
	s_or_b64 exec, exec, s[6:7]
	s_and_saveexec_b64 s[6:7], s[4:5]
	s_cbranch_execz .LBB51_1048
.LBB51_1047:
	v_bfe_u32 v21, v10, 16, 3
	v_ffbh_u32_e32 v24, v21
	v_min_u32_e32 v24, 32, v24
	v_lshrrev_b32_e32 v22, 19, v10
	v_subrev_u32_e32 v25, 28, v24
	v_and_b32_e32 v22, 15, v22
	v_lshlrev_b32_sdwa v25, v25, v10 dst_sel:DWORD dst_unused:UNUSED_PAD src0_sel:DWORD src1_sel:WORD_1
	v_bfe_u32 v23, v10, 19, 4
	v_sub_u32_e32 v24, 29, v24
	v_and_b32_e32 v25, 7, v25
	v_cmp_eq_u16_e32 vcc, 0, v22
	v_cndmask_b32_e32 v21, v21, v25, vcc
	v_cndmask_b32_e32 v22, v23, v24, vcc
	v_lshlrev_b32_e32 v23, 8, v10
	v_mov_b32_e32 v24, 0x3b800000
	v_lshlrev_b32_e32 v21, 20, v21
	v_and_b32_e32 v23, 0x80000000, v23
	v_lshl_add_u32 v22, v22, 23, v24
	v_or3_b32 v22, v23, v22, v21
.LBB51_1048:
	s_or_b64 exec, exec, s[6:7]
	s_nop 0
	v_mfma_f32_16x16x4f32 a[0:3], v20, v22, a[0:3]
	s_movk_i32 s4, 0x7f
	v_cmp_gt_i16_sdwa s[6:7], v14, s4 src0_sel:BYTE_3 src1_sel:DWORD
	s_mov_b64 s[4:5], 0
                                        ; implicit-def: $sgpr10
	s_and_saveexec_b64 s[8:9], s[6:7]
	s_xor_b64 s[6:7], exec, s[8:9]
	s_cbranch_execnz .LBB51_3097
; %bb.1049:
	s_or_saveexec_b64 s[6:7], s[6:7]
	v_mov_b32_e32 v20, s10
	s_xor_b64 exec, exec, s[6:7]
	s_cbranch_execnz .LBB51_3100
.LBB51_1050:
	s_or_b64 exec, exec, s[6:7]
	s_and_saveexec_b64 s[6:7], s[4:5]
	s_cbranch_execz .LBB51_1052
.LBB51_1051:
	v_bfe_u32 v20, v14, 24, 3
	v_ffbh_u32_e32 v24, v20
	v_min_u32_e32 v24, 32, v24
	v_lshrrev_b32_e32 v22, 27, v14
	v_subrev_u32_e32 v25, 28, v24
	v_and_b32_e32 v21, 0x80000000, v14
	v_and_b32_e32 v22, 15, v22
	v_bfe_u32 v23, v14, 27, 4
	v_lshlrev_b32_sdwa v14, v25, v14 dst_sel:DWORD dst_unused:UNUSED_PAD src0_sel:DWORD src1_sel:BYTE_3
	v_sub_u32_e32 v24, 29, v24
	v_and_b32_e32 v14, 7, v14
	v_cmp_eq_u16_e32 vcc, 0, v22
	v_cndmask_b32_e32 v14, v20, v14, vcc
	v_cndmask_b32_e32 v20, v23, v24, vcc
	v_mov_b32_e32 v22, 0x3b800000
	v_lshlrev_b32_e32 v14, 20, v14
	v_lshl_add_u32 v20, v20, 23, v22
	v_or3_b32 v20, v21, v20, v14
.LBB51_1052:
	s_or_b64 exec, exec, s[6:7]
	s_movk_i32 s4, 0x7f
	v_cmp_gt_i16_sdwa s[6:7], v10, s4 src0_sel:BYTE_3 src1_sel:DWORD
	s_mov_b64 s[4:5], 0
                                        ; implicit-def: $sgpr10
	s_and_saveexec_b64 s[8:9], s[6:7]
	s_xor_b64 s[6:7], exec, s[8:9]
	s_cbranch_execnz .LBB51_3101
; %bb.1053:
	s_or_saveexec_b64 s[6:7], s[6:7]
	v_mov_b32_e32 v14, s10
	s_xor_b64 exec, exec, s[6:7]
	s_cbranch_execnz .LBB51_3104
.LBB51_1054:
	s_or_b64 exec, exec, s[6:7]
	s_and_saveexec_b64 s[6:7], s[4:5]
	s_cbranch_execz .LBB51_1056
.LBB51_1055:
	v_bfe_u32 v14, v10, 24, 3
	v_ffbh_u32_e32 v24, v14
	v_min_u32_e32 v24, 32, v24
	v_lshrrev_b32_e32 v22, 27, v10
	v_subrev_u32_e32 v25, 28, v24
	v_and_b32_e32 v21, 0x80000000, v10
	v_and_b32_e32 v22, 15, v22
	v_bfe_u32 v23, v10, 27, 4
	v_lshlrev_b32_sdwa v10, v25, v10 dst_sel:DWORD dst_unused:UNUSED_PAD src0_sel:DWORD src1_sel:BYTE_3
	v_sub_u32_e32 v24, 29, v24
	v_and_b32_e32 v10, 7, v10
	v_cmp_eq_u16_e32 vcc, 0, v22
	v_cndmask_b32_e32 v10, v14, v10, vcc
	v_cndmask_b32_e32 v14, v23, v24, vcc
	v_mov_b32_e32 v22, 0x3b800000
	v_lshlrev_b32_e32 v10, 20, v10
	v_lshl_add_u32 v14, v14, 23, v22
	v_or3_b32 v14, v21, v14, v10
.LBB51_1056:
	s_or_b64 exec, exec, s[6:7]
	s_nop 0
	v_mfma_f32_16x16x4f32 a[0:3], v20, v14, a[0:3]
	s_movk_i32 s4, 0x7f
	v_cmp_gt_i16_sdwa s[6:7], v15, s4 src0_sel:BYTE_0 src1_sel:DWORD
	s_mov_b64 s[4:5], 0
                                        ; implicit-def: $sgpr10
	s_and_saveexec_b64 s[8:9], s[6:7]
	s_xor_b64 s[6:7], exec, s[8:9]
	s_cbranch_execnz .LBB51_3105
; %bb.1057:
	s_or_saveexec_b64 s[6:7], s[6:7]
	v_mov_b32_e32 v10, s10
	s_xor_b64 exec, exec, s[6:7]
	s_cbranch_execnz .LBB51_3108
.LBB51_1058:
	s_or_b64 exec, exec, s[6:7]
	s_and_saveexec_b64 s[6:7], s[4:5]
	s_cbranch_execz .LBB51_1060
.LBB51_1059:
	v_and_b32_e32 v10, 7, v15
	v_ffbh_u32_e32 v20, v10
	v_min_u32_e32 v20, 32, v20
	v_lshrrev_b16_e32 v14, 3, v15
	v_subrev_u32_e32 v21, 28, v20
	v_and_b32_e32 v14, 15, v14
	v_lshlrev_b32_e32 v21, v21, v15
	v_sub_u32_e32 v20, 29, v20
	v_and_b32_e32 v21, 7, v21
	v_cmp_eq_u16_e32 vcc, 0, v14
	v_cndmask_b32_e32 v10, v10, v21, vcc
	v_cndmask_b32_e32 v14, v14, v20, vcc
	v_lshlrev_b32_e32 v20, 24, v15
	v_mov_b32_e32 v21, 0x3b800000
	v_lshlrev_b32_e32 v10, 20, v10
	v_and_b32_e32 v20, 0x80000000, v20
	v_lshl_add_u32 v14, v14, 23, v21
	v_or3_b32 v10, v20, v14, v10
.LBB51_1060:
	s_or_b64 exec, exec, s[6:7]
	s_movk_i32 s4, 0x7f
	v_cmp_gt_i16_sdwa s[6:7], v11, s4 src0_sel:BYTE_0 src1_sel:DWORD
	s_mov_b64 s[4:5], 0
                                        ; implicit-def: $sgpr10
	s_and_saveexec_b64 s[8:9], s[6:7]
	s_xor_b64 s[6:7], exec, s[8:9]
	s_cbranch_execnz .LBB51_3109
; %bb.1061:
	s_or_saveexec_b64 s[6:7], s[6:7]
	v_mov_b32_e32 v14, s10
	s_xor_b64 exec, exec, s[6:7]
	s_cbranch_execnz .LBB51_3112
.LBB51_1062:
	s_or_b64 exec, exec, s[6:7]
	s_and_saveexec_b64 s[6:7], s[4:5]
	s_cbranch_execz .LBB51_1064
.LBB51_1063:
	v_and_b32_e32 v14, 7, v11
	v_ffbh_u32_e32 v21, v14
	v_min_u32_e32 v21, 32, v21
	v_lshrrev_b16_e32 v20, 3, v11
	v_subrev_u32_e32 v22, 28, v21
	v_and_b32_e32 v20, 15, v20
	v_lshlrev_b32_e32 v22, v22, v11
	v_sub_u32_e32 v21, 29, v21
	v_and_b32_e32 v22, 7, v22
	v_cmp_eq_u16_e32 vcc, 0, v20
	v_cndmask_b32_e32 v14, v14, v22, vcc
	v_cndmask_b32_e32 v20, v20, v21, vcc
	v_lshlrev_b32_e32 v21, 24, v11
	v_mov_b32_e32 v22, 0x3b800000
	v_lshlrev_b32_e32 v14, 20, v14
	v_and_b32_e32 v21, 0x80000000, v21
	v_lshl_add_u32 v20, v20, 23, v22
	v_or3_b32 v14, v21, v20, v14
.LBB51_1064:
	s_or_b64 exec, exec, s[6:7]
	s_nop 0
	v_mfma_f32_16x16x4f32 a[0:3], v10, v14, a[0:3]
	v_lshrrev_b32_e32 v14, 8, v15
	s_movk_i32 s4, 0x7f
	v_cmp_gt_i16_sdwa s[6:7], v14, s4 src0_sel:BYTE_0 src1_sel:DWORD
	s_mov_b64 s[4:5], 0
                                        ; implicit-def: $sgpr10
	s_and_saveexec_b64 s[8:9], s[6:7]
	s_xor_b64 s[6:7], exec, s[8:9]
	s_cbranch_execnz .LBB51_3113
; %bb.1065:
	s_or_saveexec_b64 s[6:7], s[6:7]
	v_mov_b32_e32 v10, s10
	s_xor_b64 exec, exec, s[6:7]
	s_cbranch_execnz .LBB51_3116
.LBB51_1066:
	s_or_b64 exec, exec, s[6:7]
	s_and_saveexec_b64 s[6:7], s[4:5]
	s_cbranch_execz .LBB51_1068
.LBB51_1067:
	v_bfe_u32 v10, v15, 8, 3
	v_ffbh_u32_e32 v21, v10
	v_min_u32_e32 v21, 32, v21
	v_lshrrev_b16_e32 v20, 3, v14
	v_subrev_u32_e32 v22, 28, v21
	v_and_b32_e32 v20, 15, v20
	v_lshlrev_b32_e32 v14, v22, v14
	v_sub_u32_e32 v21, 29, v21
	v_and_b32_e32 v14, 7, v14
	v_cmp_eq_u16_e32 vcc, 0, v20
	v_cndmask_b32_e32 v10, v10, v14, vcc
	v_cndmask_b32_e32 v14, v20, v21, vcc
	v_lshlrev_b32_e32 v20, 16, v15
	v_mov_b32_e32 v21, 0x3b800000
	v_lshlrev_b32_e32 v10, 20, v10
	v_and_b32_e32 v20, 0x80000000, v20
	v_lshl_add_u32 v14, v14, 23, v21
	v_or3_b32 v10, v20, v14, v10
.LBB51_1068:
	s_or_b64 exec, exec, s[6:7]
	v_lshrrev_b32_e32 v14, 8, v11
	s_movk_i32 s4, 0x7f
	v_cmp_gt_i16_sdwa s[6:7], v14, s4 src0_sel:BYTE_0 src1_sel:DWORD
	s_mov_b64 s[4:5], 0
                                        ; implicit-def: $sgpr10
	s_and_saveexec_b64 s[8:9], s[6:7]
	s_xor_b64 s[6:7], exec, s[8:9]
	s_cbranch_execnz .LBB51_3117
; %bb.1069:
	s_or_saveexec_b64 s[6:7], s[6:7]
	v_mov_b32_e32 v20, s10
	s_xor_b64 exec, exec, s[6:7]
	s_cbranch_execnz .LBB51_3120
.LBB51_1070:
	s_or_b64 exec, exec, s[6:7]
	s_and_saveexec_b64 s[6:7], s[4:5]
	s_cbranch_execz .LBB51_1072
.LBB51_1071:
	v_bfe_u32 v20, v11, 8, 3
	v_ffbh_u32_e32 v22, v20
	v_min_u32_e32 v22, 32, v22
	v_lshrrev_b16_e32 v21, 3, v14
	v_subrev_u32_e32 v23, 28, v22
	v_and_b32_e32 v21, 15, v21
	v_lshlrev_b32_e32 v14, v23, v14
	v_sub_u32_e32 v22, 29, v22
	v_and_b32_e32 v14, 7, v14
	v_cmp_eq_u16_e32 vcc, 0, v21
	v_cndmask_b32_e32 v14, v20, v14, vcc
	v_cndmask_b32_e32 v20, v21, v22, vcc
	v_lshlrev_b32_e32 v21, 16, v11
	v_mov_b32_e32 v22, 0x3b800000
	v_lshlrev_b32_e32 v14, 20, v14
	v_and_b32_e32 v21, 0x80000000, v21
	v_lshl_add_u32 v20, v20, 23, v22
	v_or3_b32 v20, v21, v20, v14
.LBB51_1072:
	s_or_b64 exec, exec, s[6:7]
	s_nop 0
	v_mfma_f32_16x16x4f32 a[0:3], v10, v20, a[0:3]
	s_movk_i32 s4, 0xff
	v_and_b32_sdwa v14, v15, s4 dst_sel:DWORD dst_unused:UNUSED_PAD src0_sel:WORD_1 src1_sel:DWORD
	s_movk_i32 s4, 0x7f
	v_cmp_lt_i16_e32 vcc, s4, v14
	s_mov_b64 s[4:5], 0
                                        ; implicit-def: $sgpr10
	s_and_saveexec_b64 s[6:7], vcc
	s_xor_b64 s[6:7], exec, s[6:7]
	s_cbranch_execnz .LBB51_3121
; %bb.1073:
	s_or_saveexec_b64 s[6:7], s[6:7]
	v_mov_b32_e32 v10, s10
	s_xor_b64 exec, exec, s[6:7]
	s_cbranch_execnz .LBB51_3124
.LBB51_1074:
	s_or_b64 exec, exec, s[6:7]
	s_and_saveexec_b64 s[6:7], s[4:5]
	s_cbranch_execz .LBB51_1076
.LBB51_1075:
	v_bfe_u32 v10, v15, 16, 3
	v_ffbh_u32_e32 v21, v10
	v_min_u32_e32 v21, 32, v21
	v_lshrrev_b32_e32 v14, 19, v15
	v_subrev_u32_e32 v22, 28, v21
	v_and_b32_e32 v14, 15, v14
	v_lshlrev_b32_sdwa v22, v22, v15 dst_sel:DWORD dst_unused:UNUSED_PAD src0_sel:DWORD src1_sel:WORD_1
	v_bfe_u32 v20, v15, 19, 4
	v_sub_u32_e32 v21, 29, v21
	v_and_b32_e32 v22, 7, v22
	v_cmp_eq_u16_e32 vcc, 0, v14
	v_cndmask_b32_e32 v10, v10, v22, vcc
	v_cndmask_b32_e32 v14, v20, v21, vcc
	v_lshlrev_b32_e32 v20, 8, v15
	v_mov_b32_e32 v21, 0x3b800000
	v_lshlrev_b32_e32 v10, 20, v10
	v_and_b32_e32 v20, 0x80000000, v20
	v_lshl_add_u32 v14, v14, 23, v21
	v_or3_b32 v10, v20, v14, v10
.LBB51_1076:
	s_or_b64 exec, exec, s[6:7]
	s_movk_i32 s4, 0xff
	v_and_b32_sdwa v14, v11, s4 dst_sel:DWORD dst_unused:UNUSED_PAD src0_sel:WORD_1 src1_sel:DWORD
	s_movk_i32 s4, 0x7f
	v_cmp_lt_i16_e32 vcc, s4, v14
	s_mov_b64 s[4:5], 0
                                        ; implicit-def: $sgpr10
	s_and_saveexec_b64 s[6:7], vcc
	s_xor_b64 s[6:7], exec, s[6:7]
	s_cbranch_execnz .LBB51_3125
; %bb.1077:
	s_or_saveexec_b64 s[6:7], s[6:7]
	v_mov_b32_e32 v20, s10
	s_xor_b64 exec, exec, s[6:7]
	s_cbranch_execnz .LBB51_3128
.LBB51_1078:
	s_or_b64 exec, exec, s[6:7]
	s_and_saveexec_b64 s[6:7], s[4:5]
	s_cbranch_execz .LBB51_1080
.LBB51_1079:
	v_bfe_u32 v14, v11, 16, 3
	v_ffbh_u32_e32 v22, v14
	v_min_u32_e32 v22, 32, v22
	v_lshrrev_b32_e32 v20, 19, v11
	v_subrev_u32_e32 v23, 28, v22
	v_and_b32_e32 v20, 15, v20
	v_lshlrev_b32_sdwa v23, v23, v11 dst_sel:DWORD dst_unused:UNUSED_PAD src0_sel:DWORD src1_sel:WORD_1
	v_bfe_u32 v21, v11, 19, 4
	v_sub_u32_e32 v22, 29, v22
	v_and_b32_e32 v23, 7, v23
	v_cmp_eq_u16_e32 vcc, 0, v20
	v_cndmask_b32_e32 v14, v14, v23, vcc
	v_cndmask_b32_e32 v20, v21, v22, vcc
	v_lshlrev_b32_e32 v21, 8, v11
	v_mov_b32_e32 v22, 0x3b800000
	v_lshlrev_b32_e32 v14, 20, v14
	v_and_b32_e32 v21, 0x80000000, v21
	v_lshl_add_u32 v20, v20, 23, v22
	v_or3_b32 v20, v21, v20, v14
.LBB51_1080:
	s_or_b64 exec, exec, s[6:7]
	s_nop 0
	v_mfma_f32_16x16x4f32 a[0:3], v10, v20, a[0:3]
	s_movk_i32 s4, 0x7f
	v_cmp_gt_i16_sdwa s[6:7], v15, s4 src0_sel:BYTE_3 src1_sel:DWORD
	s_mov_b64 s[4:5], 0
                                        ; implicit-def: $sgpr10
	s_and_saveexec_b64 s[8:9], s[6:7]
	s_xor_b64 s[6:7], exec, s[8:9]
	s_cbranch_execnz .LBB51_3129
; %bb.1081:
	s_or_saveexec_b64 s[6:7], s[6:7]
	v_mov_b32_e32 v10, s10
	s_xor_b64 exec, exec, s[6:7]
	s_cbranch_execnz .LBB51_3132
.LBB51_1082:
	s_or_b64 exec, exec, s[6:7]
	s_and_saveexec_b64 s[6:7], s[4:5]
	s_cbranch_execz .LBB51_1084
.LBB51_1083:
	v_bfe_u32 v10, v15, 24, 3
	v_ffbh_u32_e32 v22, v10
	v_min_u32_e32 v22, 32, v22
	v_lshrrev_b32_e32 v20, 27, v15
	v_subrev_u32_e32 v23, 28, v22
	v_and_b32_e32 v14, 0x80000000, v15
	v_and_b32_e32 v20, 15, v20
	v_bfe_u32 v21, v15, 27, 4
	v_lshlrev_b32_sdwa v15, v23, v15 dst_sel:DWORD dst_unused:UNUSED_PAD src0_sel:DWORD src1_sel:BYTE_3
	v_sub_u32_e32 v22, 29, v22
	v_and_b32_e32 v15, 7, v15
	v_cmp_eq_u16_e32 vcc, 0, v20
	v_cndmask_b32_e32 v10, v10, v15, vcc
	v_cndmask_b32_e32 v15, v21, v22, vcc
	v_mov_b32_e32 v20, 0x3b800000
	v_lshlrev_b32_e32 v10, 20, v10
	v_lshl_add_u32 v15, v15, 23, v20
	v_or3_b32 v10, v14, v15, v10
.LBB51_1084:
	s_or_b64 exec, exec, s[6:7]
	s_movk_i32 s4, 0x7f
	v_cmp_gt_i16_sdwa s[6:7], v11, s4 src0_sel:BYTE_3 src1_sel:DWORD
	s_mov_b64 s[4:5], 0
                                        ; implicit-def: $sgpr10
	s_and_saveexec_b64 s[8:9], s[6:7]
	s_xor_b64 s[6:7], exec, s[8:9]
	s_cbranch_execnz .LBB51_3133
; %bb.1085:
	s_or_saveexec_b64 s[6:7], s[6:7]
	v_mov_b32_e32 v14, s10
	s_xor_b64 exec, exec, s[6:7]
	s_cbranch_execnz .LBB51_3136
.LBB51_1086:
	s_or_b64 exec, exec, s[6:7]
	s_and_saveexec_b64 s[6:7], s[4:5]
	s_cbranch_execz .LBB51_1088
.LBB51_1087:
	v_bfe_u32 v14, v11, 24, 3
	v_ffbh_u32_e32 v22, v14
	v_min_u32_e32 v22, 32, v22
	v_lshrrev_b32_e32 v20, 27, v11
	v_subrev_u32_e32 v23, 28, v22
	v_and_b32_e32 v15, 0x80000000, v11
	v_and_b32_e32 v20, 15, v20
	v_bfe_u32 v21, v11, 27, 4
	v_lshlrev_b32_sdwa v11, v23, v11 dst_sel:DWORD dst_unused:UNUSED_PAD src0_sel:DWORD src1_sel:BYTE_3
	v_sub_u32_e32 v22, 29, v22
	v_and_b32_e32 v11, 7, v11
	v_cmp_eq_u16_e32 vcc, 0, v20
	v_cndmask_b32_e32 v11, v14, v11, vcc
	v_cndmask_b32_e32 v14, v21, v22, vcc
	v_mov_b32_e32 v20, 0x3b800000
	v_lshlrev_b32_e32 v11, 20, v11
	v_lshl_add_u32 v14, v14, 23, v20
	v_or3_b32 v14, v15, v14, v11
.LBB51_1088:
	s_or_b64 exec, exec, s[6:7]
	s_nop 0
	v_mfma_f32_16x16x4f32 a[0:3], v10, v14, a[0:3]
	s_movk_i32 s4, 0x7f
	v_cmp_gt_i16_sdwa s[6:7], v16, s4 src0_sel:BYTE_0 src1_sel:DWORD
	s_mov_b64 s[4:5], 0
                                        ; implicit-def: $sgpr10
	s_and_saveexec_b64 s[8:9], s[6:7]
	s_xor_b64 s[6:7], exec, s[8:9]
	s_cbranch_execnz .LBB51_3137
; %bb.1089:
	s_or_saveexec_b64 s[6:7], s[6:7]
	v_mov_b32_e32 v10, s10
	s_xor_b64 exec, exec, s[6:7]
	s_cbranch_execnz .LBB51_3140
.LBB51_1090:
	s_or_b64 exec, exec, s[6:7]
	s_and_saveexec_b64 s[6:7], s[4:5]
	s_cbranch_execz .LBB51_1092
.LBB51_1091:
	v_and_b32_e32 v10, 7, v16
	v_ffbh_u32_e32 v14, v10
	v_min_u32_e32 v14, 32, v14
	v_lshrrev_b16_e32 v11, 3, v16
	v_subrev_u32_e32 v15, 28, v14
	v_and_b32_e32 v11, 15, v11
	v_lshlrev_b32_e32 v15, v15, v16
	v_sub_u32_e32 v14, 29, v14
	v_and_b32_e32 v15, 7, v15
	v_cmp_eq_u16_e32 vcc, 0, v11
	v_cndmask_b32_e32 v10, v10, v15, vcc
	v_cndmask_b32_e32 v11, v11, v14, vcc
	v_lshlrev_b32_e32 v14, 24, v16
	v_mov_b32_e32 v15, 0x3b800000
	v_lshlrev_b32_e32 v10, 20, v10
	v_and_b32_e32 v14, 0x80000000, v14
	v_lshl_add_u32 v11, v11, 23, v15
	v_or3_b32 v10, v14, v11, v10
.LBB51_1092:
	s_or_b64 exec, exec, s[6:7]
	s_movk_i32 s4, 0x7f
	v_cmp_gt_i16_sdwa s[6:7], v12, s4 src0_sel:BYTE_0 src1_sel:DWORD
	s_mov_b64 s[4:5], 0
                                        ; implicit-def: $sgpr10
	s_and_saveexec_b64 s[8:9], s[6:7]
	s_xor_b64 s[6:7], exec, s[8:9]
	s_cbranch_execnz .LBB51_3141
; %bb.1093:
	s_or_saveexec_b64 s[6:7], s[6:7]
	v_mov_b32_e32 v11, s10
	s_xor_b64 exec, exec, s[6:7]
	s_cbranch_execnz .LBB51_3144
.LBB51_1094:
	s_or_b64 exec, exec, s[6:7]
	s_and_saveexec_b64 s[6:7], s[4:5]
	s_cbranch_execz .LBB51_1096
.LBB51_1095:
	v_and_b32_e32 v11, 7, v12
	v_ffbh_u32_e32 v15, v11
	v_min_u32_e32 v15, 32, v15
	v_lshrrev_b16_e32 v14, 3, v12
	v_subrev_u32_e32 v20, 28, v15
	v_and_b32_e32 v14, 15, v14
	v_lshlrev_b32_e32 v20, v20, v12
	v_sub_u32_e32 v15, 29, v15
	v_and_b32_e32 v20, 7, v20
	v_cmp_eq_u16_e32 vcc, 0, v14
	v_cndmask_b32_e32 v11, v11, v20, vcc
	v_cndmask_b32_e32 v14, v14, v15, vcc
	v_lshlrev_b32_e32 v15, 24, v12
	v_mov_b32_e32 v20, 0x3b800000
	v_lshlrev_b32_e32 v11, 20, v11
	v_and_b32_e32 v15, 0x80000000, v15
	v_lshl_add_u32 v14, v14, 23, v20
	v_or3_b32 v11, v15, v14, v11
.LBB51_1096:
	s_or_b64 exec, exec, s[6:7]
	s_nop 0
	v_mfma_f32_16x16x4f32 a[0:3], v10, v11, a[0:3]
	v_lshrrev_b32_e32 v11, 8, v16
	s_movk_i32 s4, 0x7f
	v_cmp_gt_i16_sdwa s[6:7], v11, s4 src0_sel:BYTE_0 src1_sel:DWORD
	s_mov_b64 s[4:5], 0
                                        ; implicit-def: $sgpr10
	s_and_saveexec_b64 s[8:9], s[6:7]
	s_xor_b64 s[6:7], exec, s[8:9]
	s_cbranch_execnz .LBB51_3145
; %bb.1097:
	s_or_saveexec_b64 s[6:7], s[6:7]
	v_mov_b32_e32 v10, s10
	s_xor_b64 exec, exec, s[6:7]
	s_cbranch_execnz .LBB51_3148
.LBB51_1098:
	s_or_b64 exec, exec, s[6:7]
	s_and_saveexec_b64 s[6:7], s[4:5]
	s_cbranch_execz .LBB51_1100
.LBB51_1099:
	v_bfe_u32 v10, v16, 8, 3
	v_ffbh_u32_e32 v15, v10
	v_min_u32_e32 v15, 32, v15
	v_lshrrev_b16_e32 v14, 3, v11
	v_subrev_u32_e32 v20, 28, v15
	v_and_b32_e32 v14, 15, v14
	v_lshlrev_b32_e32 v11, v20, v11
	v_sub_u32_e32 v15, 29, v15
	v_and_b32_e32 v11, 7, v11
	v_cmp_eq_u16_e32 vcc, 0, v14
	v_cndmask_b32_e32 v10, v10, v11, vcc
	v_cndmask_b32_e32 v11, v14, v15, vcc
	v_lshlrev_b32_e32 v14, 16, v16
	v_mov_b32_e32 v15, 0x3b800000
	v_lshlrev_b32_e32 v10, 20, v10
	v_and_b32_e32 v14, 0x80000000, v14
	v_lshl_add_u32 v11, v11, 23, v15
	v_or3_b32 v10, v14, v11, v10
.LBB51_1100:
	s_or_b64 exec, exec, s[6:7]
	v_lshrrev_b32_e32 v11, 8, v12
	s_movk_i32 s4, 0x7f
	v_cmp_gt_i16_sdwa s[6:7], v11, s4 src0_sel:BYTE_0 src1_sel:DWORD
	s_mov_b64 s[4:5], 0
                                        ; implicit-def: $sgpr10
	s_and_saveexec_b64 s[8:9], s[6:7]
	s_xor_b64 s[6:7], exec, s[8:9]
	s_cbranch_execnz .LBB51_3149
; %bb.1101:
	s_or_saveexec_b64 s[6:7], s[6:7]
	v_mov_b32_e32 v14, s10
	s_xor_b64 exec, exec, s[6:7]
	s_cbranch_execnz .LBB51_3152
.LBB51_1102:
	s_or_b64 exec, exec, s[6:7]
	s_and_saveexec_b64 s[6:7], s[4:5]
	s_cbranch_execz .LBB51_1104
.LBB51_1103:
	v_bfe_u32 v14, v12, 8, 3
	v_ffbh_u32_e32 v20, v14
	v_min_u32_e32 v20, 32, v20
	v_lshrrev_b16_e32 v15, 3, v11
	v_subrev_u32_e32 v21, 28, v20
	v_and_b32_e32 v15, 15, v15
	v_lshlrev_b32_e32 v11, v21, v11
	v_sub_u32_e32 v20, 29, v20
	v_and_b32_e32 v11, 7, v11
	v_cmp_eq_u16_e32 vcc, 0, v15
	v_cndmask_b32_e32 v11, v14, v11, vcc
	v_cndmask_b32_e32 v14, v15, v20, vcc
	v_lshlrev_b32_e32 v15, 16, v12
	v_mov_b32_e32 v20, 0x3b800000
	v_lshlrev_b32_e32 v11, 20, v11
	v_and_b32_e32 v15, 0x80000000, v15
	v_lshl_add_u32 v14, v14, 23, v20
	v_or3_b32 v14, v15, v14, v11
.LBB51_1104:
	s_or_b64 exec, exec, s[6:7]
	s_nop 0
	v_mfma_f32_16x16x4f32 a[0:3], v10, v14, a[0:3]
	s_movk_i32 s4, 0xff
	v_and_b32_sdwa v11, v16, s4 dst_sel:DWORD dst_unused:UNUSED_PAD src0_sel:WORD_1 src1_sel:DWORD
	s_movk_i32 s4, 0x7f
	v_cmp_lt_i16_e32 vcc, s4, v11
	s_mov_b64 s[4:5], 0
                                        ; implicit-def: $sgpr10
	s_and_saveexec_b64 s[6:7], vcc
	s_xor_b64 s[6:7], exec, s[6:7]
	s_cbranch_execnz .LBB51_3153
; %bb.1105:
	s_or_saveexec_b64 s[6:7], s[6:7]
	v_mov_b32_e32 v10, s10
	s_xor_b64 exec, exec, s[6:7]
	s_cbranch_execnz .LBB51_3156
.LBB51_1106:
	s_or_b64 exec, exec, s[6:7]
	s_and_saveexec_b64 s[6:7], s[4:5]
	s_cbranch_execz .LBB51_1108
.LBB51_1107:
	v_bfe_u32 v10, v16, 16, 3
	v_ffbh_u32_e32 v15, v10
	v_min_u32_e32 v15, 32, v15
	v_lshrrev_b32_e32 v11, 19, v16
	v_subrev_u32_e32 v20, 28, v15
	v_and_b32_e32 v11, 15, v11
	v_lshlrev_b32_sdwa v20, v20, v16 dst_sel:DWORD dst_unused:UNUSED_PAD src0_sel:DWORD src1_sel:WORD_1
	v_bfe_u32 v14, v16, 19, 4
	v_sub_u32_e32 v15, 29, v15
	v_and_b32_e32 v20, 7, v20
	v_cmp_eq_u16_e32 vcc, 0, v11
	v_cndmask_b32_e32 v10, v10, v20, vcc
	v_cndmask_b32_e32 v11, v14, v15, vcc
	v_lshlrev_b32_e32 v14, 8, v16
	v_mov_b32_e32 v15, 0x3b800000
	v_lshlrev_b32_e32 v10, 20, v10
	v_and_b32_e32 v14, 0x80000000, v14
	v_lshl_add_u32 v11, v11, 23, v15
	v_or3_b32 v10, v14, v11, v10
.LBB51_1108:
	s_or_b64 exec, exec, s[6:7]
	s_movk_i32 s4, 0xff
	v_and_b32_sdwa v11, v12, s4 dst_sel:DWORD dst_unused:UNUSED_PAD src0_sel:WORD_1 src1_sel:DWORD
	s_movk_i32 s4, 0x7f
	v_cmp_lt_i16_e32 vcc, s4, v11
	s_mov_b64 s[4:5], 0
                                        ; implicit-def: $sgpr10
	s_and_saveexec_b64 s[6:7], vcc
	s_xor_b64 s[6:7], exec, s[6:7]
	s_cbranch_execnz .LBB51_3157
; %bb.1109:
	s_or_saveexec_b64 s[6:7], s[6:7]
	v_mov_b32_e32 v14, s10
	s_xor_b64 exec, exec, s[6:7]
	s_cbranch_execnz .LBB51_3160
.LBB51_1110:
	s_or_b64 exec, exec, s[6:7]
	s_and_saveexec_b64 s[6:7], s[4:5]
	s_cbranch_execz .LBB51_1112
.LBB51_1111:
	v_bfe_u32 v11, v12, 16, 3
	v_ffbh_u32_e32 v20, v11
	v_min_u32_e32 v20, 32, v20
	v_lshrrev_b32_e32 v14, 19, v12
	v_subrev_u32_e32 v21, 28, v20
	v_and_b32_e32 v14, 15, v14
	v_lshlrev_b32_sdwa v21, v21, v12 dst_sel:DWORD dst_unused:UNUSED_PAD src0_sel:DWORD src1_sel:WORD_1
	v_bfe_u32 v15, v12, 19, 4
	v_sub_u32_e32 v20, 29, v20
	v_and_b32_e32 v21, 7, v21
	v_cmp_eq_u16_e32 vcc, 0, v14
	v_cndmask_b32_e32 v11, v11, v21, vcc
	v_cndmask_b32_e32 v14, v15, v20, vcc
	v_lshlrev_b32_e32 v15, 8, v12
	v_mov_b32_e32 v20, 0x3b800000
	v_lshlrev_b32_e32 v11, 20, v11
	v_and_b32_e32 v15, 0x80000000, v15
	v_lshl_add_u32 v14, v14, 23, v20
	v_or3_b32 v14, v15, v14, v11
.LBB51_1112:
	s_or_b64 exec, exec, s[6:7]
	s_nop 0
	v_mfma_f32_16x16x4f32 a[0:3], v10, v14, a[0:3]
	s_movk_i32 s4, 0x7f
	v_cmp_gt_i16_sdwa s[6:7], v16, s4 src0_sel:BYTE_3 src1_sel:DWORD
	s_mov_b64 s[4:5], 0
                                        ; implicit-def: $sgpr10
	s_and_saveexec_b64 s[8:9], s[6:7]
	s_xor_b64 s[6:7], exec, s[8:9]
	s_cbranch_execnz .LBB51_3161
; %bb.1113:
	s_or_saveexec_b64 s[6:7], s[6:7]
	v_mov_b32_e32 v10, s10
	s_xor_b64 exec, exec, s[6:7]
	s_cbranch_execnz .LBB51_3164
.LBB51_1114:
	s_or_b64 exec, exec, s[6:7]
	s_and_saveexec_b64 s[6:7], s[4:5]
	s_cbranch_execz .LBB51_1116
.LBB51_1115:
	v_bfe_u32 v10, v16, 24, 3
	v_ffbh_u32_e32 v20, v10
	v_min_u32_e32 v20, 32, v20
	v_lshrrev_b32_e32 v14, 27, v16
	v_subrev_u32_e32 v21, 28, v20
	v_and_b32_e32 v11, 0x80000000, v16
	v_and_b32_e32 v14, 15, v14
	v_bfe_u32 v15, v16, 27, 4
	v_lshlrev_b32_sdwa v16, v21, v16 dst_sel:DWORD dst_unused:UNUSED_PAD src0_sel:DWORD src1_sel:BYTE_3
	v_sub_u32_e32 v20, 29, v20
	v_and_b32_e32 v16, 7, v16
	v_cmp_eq_u16_e32 vcc, 0, v14
	v_cndmask_b32_e32 v10, v10, v16, vcc
	v_cndmask_b32_e32 v14, v15, v20, vcc
	v_mov_b32_e32 v15, 0x3b800000
	v_lshlrev_b32_e32 v10, 20, v10
	v_lshl_add_u32 v14, v14, 23, v15
	v_or3_b32 v10, v11, v14, v10
.LBB51_1116:
	s_or_b64 exec, exec, s[6:7]
	s_movk_i32 s4, 0x7f
	v_cmp_gt_i16_sdwa s[6:7], v12, s4 src0_sel:BYTE_3 src1_sel:DWORD
	s_mov_b64 s[4:5], 0
                                        ; implicit-def: $sgpr10
	s_and_saveexec_b64 s[8:9], s[6:7]
	s_xor_b64 s[6:7], exec, s[8:9]
	s_cbranch_execnz .LBB51_3165
; %bb.1117:
	s_or_saveexec_b64 s[6:7], s[6:7]
	v_mov_b32_e32 v11, s10
	s_xor_b64 exec, exec, s[6:7]
	s_cbranch_execnz .LBB51_3168
.LBB51_1118:
	s_or_b64 exec, exec, s[6:7]
	s_and_saveexec_b64 s[6:7], s[4:5]
	s_cbranch_execz .LBB51_1120
.LBB51_1119:
	v_bfe_u32 v11, v12, 24, 3
	v_ffbh_u32_e32 v20, v11
	v_min_u32_e32 v20, 32, v20
	v_lshrrev_b32_e32 v15, 27, v12
	v_subrev_u32_e32 v21, 28, v20
	v_and_b32_e32 v14, 0x80000000, v12
	v_and_b32_e32 v15, 15, v15
	v_bfe_u32 v16, v12, 27, 4
	v_lshlrev_b32_sdwa v12, v21, v12 dst_sel:DWORD dst_unused:UNUSED_PAD src0_sel:DWORD src1_sel:BYTE_3
	v_sub_u32_e32 v20, 29, v20
	v_and_b32_e32 v12, 7, v12
	v_cmp_eq_u16_e32 vcc, 0, v15
	v_cndmask_b32_e32 v11, v11, v12, vcc
	v_cndmask_b32_e32 v12, v16, v20, vcc
	v_mov_b32_e32 v15, 0x3b800000
	v_lshlrev_b32_e32 v11, 20, v11
	v_lshl_add_u32 v12, v12, 23, v15
	v_or3_b32 v11, v14, v12, v11
.LBB51_1120:
	s_or_b64 exec, exec, s[6:7]
	s_nop 0
	v_mfma_f32_16x16x4f32 a[0:3], v10, v11, a[0:3]
	s_movk_i32 s4, 0x7f
	v_cmp_gt_i16_sdwa s[6:7], v17, s4 src0_sel:BYTE_0 src1_sel:DWORD
	s_mov_b64 s[4:5], 0
                                        ; implicit-def: $sgpr10
	s_and_saveexec_b64 s[8:9], s[6:7]
	s_xor_b64 s[6:7], exec, s[8:9]
	s_cbranch_execnz .LBB51_3169
; %bb.1121:
	s_or_saveexec_b64 s[6:7], s[6:7]
	v_mov_b32_e32 v10, s10
	s_xor_b64 exec, exec, s[6:7]
	s_cbranch_execnz .LBB51_3172
.LBB51_1122:
	s_or_b64 exec, exec, s[6:7]
	s_and_saveexec_b64 s[6:7], s[4:5]
	s_cbranch_execz .LBB51_1124
.LBB51_1123:
	v_and_b32_e32 v10, 7, v17
	v_ffbh_u32_e32 v12, v10
	v_min_u32_e32 v12, 32, v12
	v_lshrrev_b16_e32 v11, 3, v17
	v_subrev_u32_e32 v14, 28, v12
	v_and_b32_e32 v11, 15, v11
	v_lshlrev_b32_e32 v14, v14, v17
	v_sub_u32_e32 v12, 29, v12
	v_and_b32_e32 v14, 7, v14
	v_cmp_eq_u16_e32 vcc, 0, v11
	v_cndmask_b32_e32 v10, v10, v14, vcc
	v_cndmask_b32_e32 v11, v11, v12, vcc
	v_lshlrev_b32_e32 v12, 24, v17
	v_mov_b32_e32 v14, 0x3b800000
	v_lshlrev_b32_e32 v10, 20, v10
	v_and_b32_e32 v12, 0x80000000, v12
	v_lshl_add_u32 v11, v11, 23, v14
	v_or3_b32 v10, v12, v11, v10
.LBB51_1124:
	s_or_b64 exec, exec, s[6:7]
	s_movk_i32 s4, 0x7f
	v_cmp_gt_i16_sdwa s[6:7], v13, s4 src0_sel:BYTE_0 src1_sel:DWORD
	s_mov_b64 s[4:5], 0
                                        ; implicit-def: $sgpr10
	s_and_saveexec_b64 s[8:9], s[6:7]
	s_xor_b64 s[6:7], exec, s[8:9]
	s_cbranch_execnz .LBB51_3173
; %bb.1125:
	s_or_saveexec_b64 s[6:7], s[6:7]
	v_mov_b32_e32 v11, s10
	s_xor_b64 exec, exec, s[6:7]
	s_cbranch_execnz .LBB51_3176
.LBB51_1126:
	s_or_b64 exec, exec, s[6:7]
	s_and_saveexec_b64 s[6:7], s[4:5]
	s_cbranch_execz .LBB51_1128
.LBB51_1127:
	v_and_b32_e32 v11, 7, v13
	v_ffbh_u32_e32 v14, v11
	v_min_u32_e32 v14, 32, v14
	v_lshrrev_b16_e32 v12, 3, v13
	v_subrev_u32_e32 v15, 28, v14
	v_and_b32_e32 v12, 15, v12
	v_lshlrev_b32_e32 v15, v15, v13
	v_sub_u32_e32 v14, 29, v14
	v_and_b32_e32 v15, 7, v15
	v_cmp_eq_u16_e32 vcc, 0, v12
	v_cndmask_b32_e32 v11, v11, v15, vcc
	v_cndmask_b32_e32 v12, v12, v14, vcc
	v_lshlrev_b32_e32 v14, 24, v13
	v_mov_b32_e32 v15, 0x3b800000
	v_lshlrev_b32_e32 v11, 20, v11
	v_and_b32_e32 v14, 0x80000000, v14
	v_lshl_add_u32 v12, v12, 23, v15
	v_or3_b32 v11, v14, v12, v11
.LBB51_1128:
	s_or_b64 exec, exec, s[6:7]
	s_nop 0
	v_mfma_f32_16x16x4f32 a[0:3], v10, v11, a[0:3]
	v_lshrrev_b32_e32 v11, 8, v17
	s_movk_i32 s4, 0x7f
	v_cmp_gt_i16_sdwa s[6:7], v11, s4 src0_sel:BYTE_0 src1_sel:DWORD
	s_mov_b64 s[4:5], 0
                                        ; implicit-def: $sgpr10
	s_and_saveexec_b64 s[8:9], s[6:7]
	s_xor_b64 s[6:7], exec, s[8:9]
	s_cbranch_execnz .LBB51_3177
; %bb.1129:
	s_or_saveexec_b64 s[6:7], s[6:7]
	v_mov_b32_e32 v10, s10
	s_xor_b64 exec, exec, s[6:7]
	s_cbranch_execnz .LBB51_3180
.LBB51_1130:
	s_or_b64 exec, exec, s[6:7]
	s_and_saveexec_b64 s[6:7], s[4:5]
	s_cbranch_execz .LBB51_1132
.LBB51_1131:
	v_bfe_u32 v10, v17, 8, 3
	v_ffbh_u32_e32 v14, v10
	v_min_u32_e32 v14, 32, v14
	v_lshrrev_b16_e32 v12, 3, v11
	v_subrev_u32_e32 v15, 28, v14
	v_and_b32_e32 v12, 15, v12
	v_lshlrev_b32_e32 v11, v15, v11
	v_sub_u32_e32 v14, 29, v14
	v_and_b32_e32 v11, 7, v11
	v_cmp_eq_u16_e32 vcc, 0, v12
	v_cndmask_b32_e32 v10, v10, v11, vcc
	v_cndmask_b32_e32 v11, v12, v14, vcc
	v_lshlrev_b32_e32 v12, 16, v17
	v_mov_b32_e32 v14, 0x3b800000
	v_lshlrev_b32_e32 v10, 20, v10
	v_and_b32_e32 v12, 0x80000000, v12
	v_lshl_add_u32 v11, v11, 23, v14
	v_or3_b32 v10, v12, v11, v10
.LBB51_1132:
	s_or_b64 exec, exec, s[6:7]
	v_lshrrev_b32_e32 v11, 8, v13
	s_movk_i32 s4, 0x7f
	v_cmp_gt_i16_sdwa s[6:7], v11, s4 src0_sel:BYTE_0 src1_sel:DWORD
	s_mov_b64 s[4:5], 0
                                        ; implicit-def: $sgpr10
	s_and_saveexec_b64 s[8:9], s[6:7]
	s_xor_b64 s[6:7], exec, s[8:9]
	s_cbranch_execnz .LBB51_3181
; %bb.1133:
	s_or_saveexec_b64 s[6:7], s[6:7]
	v_mov_b32_e32 v12, s10
	s_xor_b64 exec, exec, s[6:7]
	s_cbranch_execnz .LBB51_3184
.LBB51_1134:
	s_or_b64 exec, exec, s[6:7]
	s_and_saveexec_b64 s[6:7], s[4:5]
	s_cbranch_execz .LBB51_1136
.LBB51_1135:
	v_bfe_u32 v12, v13, 8, 3
	v_ffbh_u32_e32 v15, v12
	v_min_u32_e32 v15, 32, v15
	v_lshrrev_b16_e32 v14, 3, v11
	v_subrev_u32_e32 v16, 28, v15
	v_and_b32_e32 v14, 15, v14
	v_lshlrev_b32_e32 v11, v16, v11
	v_sub_u32_e32 v15, 29, v15
	v_and_b32_e32 v11, 7, v11
	v_cmp_eq_u16_e32 vcc, 0, v14
	v_cndmask_b32_e32 v11, v12, v11, vcc
	v_cndmask_b32_e32 v12, v14, v15, vcc
	v_lshlrev_b32_e32 v14, 16, v13
	v_mov_b32_e32 v15, 0x3b800000
	v_lshlrev_b32_e32 v11, 20, v11
	v_and_b32_e32 v14, 0x80000000, v14
	v_lshl_add_u32 v12, v12, 23, v15
	v_or3_b32 v12, v14, v12, v11
.LBB51_1136:
	s_or_b64 exec, exec, s[6:7]
	s_nop 0
	v_mfma_f32_16x16x4f32 a[0:3], v10, v12, a[0:3]
	s_movk_i32 s4, 0xff
	v_and_b32_sdwa v11, v17, s4 dst_sel:DWORD dst_unused:UNUSED_PAD src0_sel:WORD_1 src1_sel:DWORD
	s_movk_i32 s4, 0x7f
	v_cmp_lt_i16_e32 vcc, s4, v11
	s_mov_b64 s[4:5], 0
                                        ; implicit-def: $sgpr10
	s_and_saveexec_b64 s[6:7], vcc
	s_xor_b64 s[6:7], exec, s[6:7]
	s_cbranch_execnz .LBB51_3185
; %bb.1137:
	s_or_saveexec_b64 s[6:7], s[6:7]
	v_mov_b32_e32 v10, s10
	s_xor_b64 exec, exec, s[6:7]
	s_cbranch_execnz .LBB51_3188
.LBB51_1138:
	s_or_b64 exec, exec, s[6:7]
	s_and_saveexec_b64 s[6:7], s[4:5]
	s_cbranch_execz .LBB51_1140
.LBB51_1139:
	v_bfe_u32 v10, v17, 16, 3
	v_ffbh_u32_e32 v14, v10
	v_min_u32_e32 v14, 32, v14
	v_lshrrev_b32_e32 v11, 19, v17
	v_subrev_u32_e32 v15, 28, v14
	v_and_b32_e32 v11, 15, v11
	v_lshlrev_b32_sdwa v15, v15, v17 dst_sel:DWORD dst_unused:UNUSED_PAD src0_sel:DWORD src1_sel:WORD_1
	v_bfe_u32 v12, v17, 19, 4
	v_sub_u32_e32 v14, 29, v14
	v_and_b32_e32 v15, 7, v15
	v_cmp_eq_u16_e32 vcc, 0, v11
	v_cndmask_b32_e32 v10, v10, v15, vcc
	v_cndmask_b32_e32 v11, v12, v14, vcc
	v_lshlrev_b32_e32 v12, 8, v17
	v_mov_b32_e32 v14, 0x3b800000
	v_lshlrev_b32_e32 v10, 20, v10
	v_and_b32_e32 v12, 0x80000000, v12
	v_lshl_add_u32 v11, v11, 23, v14
	v_or3_b32 v10, v12, v11, v10
.LBB51_1140:
	s_or_b64 exec, exec, s[6:7]
	s_movk_i32 s4, 0xff
	v_and_b32_sdwa v11, v13, s4 dst_sel:DWORD dst_unused:UNUSED_PAD src0_sel:WORD_1 src1_sel:DWORD
	s_movk_i32 s4, 0x7f
	v_cmp_lt_i16_e32 vcc, s4, v11
	s_mov_b64 s[4:5], 0
                                        ; implicit-def: $sgpr10
	s_and_saveexec_b64 s[6:7], vcc
	s_xor_b64 s[6:7], exec, s[6:7]
	s_cbranch_execnz .LBB51_3189
; %bb.1141:
	s_or_saveexec_b64 s[6:7], s[6:7]
	v_mov_b32_e32 v12, s10
	s_xor_b64 exec, exec, s[6:7]
	s_cbranch_execnz .LBB51_3192
.LBB51_1142:
	s_or_b64 exec, exec, s[6:7]
	s_and_saveexec_b64 s[6:7], s[4:5]
	s_cbranch_execz .LBB51_1144
.LBB51_1143:
	v_bfe_u32 v11, v13, 16, 3
	v_ffbh_u32_e32 v15, v11
	v_min_u32_e32 v15, 32, v15
	v_lshrrev_b32_e32 v12, 19, v13
	v_subrev_u32_e32 v16, 28, v15
	v_and_b32_e32 v12, 15, v12
	v_lshlrev_b32_sdwa v16, v16, v13 dst_sel:DWORD dst_unused:UNUSED_PAD src0_sel:DWORD src1_sel:WORD_1
	v_bfe_u32 v14, v13, 19, 4
	v_sub_u32_e32 v15, 29, v15
	v_and_b32_e32 v16, 7, v16
	v_cmp_eq_u16_e32 vcc, 0, v12
	v_cndmask_b32_e32 v11, v11, v16, vcc
	v_cndmask_b32_e32 v12, v14, v15, vcc
	v_lshlrev_b32_e32 v14, 8, v13
	v_mov_b32_e32 v15, 0x3b800000
	v_lshlrev_b32_e32 v11, 20, v11
	v_and_b32_e32 v14, 0x80000000, v14
	v_lshl_add_u32 v12, v12, 23, v15
	v_or3_b32 v12, v14, v12, v11
.LBB51_1144:
	s_or_b64 exec, exec, s[6:7]
	s_nop 0
	v_mfma_f32_16x16x4f32 a[0:3], v10, v12, a[0:3]
	s_movk_i32 s4, 0x7f
	v_cmp_gt_i16_sdwa s[6:7], v17, s4 src0_sel:BYTE_3 src1_sel:DWORD
	s_mov_b64 s[4:5], 0
                                        ; implicit-def: $sgpr10
	s_and_saveexec_b64 s[8:9], s[6:7]
	s_xor_b64 s[6:7], exec, s[8:9]
	s_cbranch_execnz .LBB51_3193
; %bb.1145:
	s_or_saveexec_b64 s[6:7], s[6:7]
	v_mov_b32_e32 v10, s10
	s_xor_b64 exec, exec, s[6:7]
	s_cbranch_execnz .LBB51_3196
.LBB51_1146:
	s_or_b64 exec, exec, s[6:7]
	s_and_saveexec_b64 s[6:7], s[4:5]
	s_cbranch_execz .LBB51_1148
.LBB51_1147:
	v_bfe_u32 v10, v17, 24, 3
	v_ffbh_u32_e32 v15, v10
	v_min_u32_e32 v15, 32, v15
	v_lshrrev_b32_e32 v12, 27, v17
	v_subrev_u32_e32 v16, 28, v15
	v_and_b32_e32 v12, 15, v12
	v_lshlrev_b32_sdwa v16, v16, v17 dst_sel:DWORD dst_unused:UNUSED_PAD src0_sel:DWORD src1_sel:BYTE_3
	v_bfe_u32 v14, v17, 27, 4
	v_sub_u32_e32 v15, 29, v15
	v_and_b32_e32 v16, 7, v16
	v_cmp_eq_u16_e32 vcc, 0, v12
	v_cndmask_b32_e32 v10, v10, v16, vcc
	v_cndmask_b32_e32 v12, v14, v15, vcc
	v_mov_b32_e32 v14, 0x3b800000
	v_and_b32_e32 v11, 0x80000000, v17
	v_lshlrev_b32_e32 v10, 20, v10
	v_lshl_add_u32 v12, v12, 23, v14
	v_or3_b32 v10, v11, v12, v10
.LBB51_1148:
	s_or_b64 exec, exec, s[6:7]
	s_movk_i32 s4, 0x7f
	v_cmp_gt_i16_sdwa s[6:7], v13, s4 src0_sel:BYTE_3 src1_sel:DWORD
	s_mov_b64 s[4:5], 0
                                        ; implicit-def: $sgpr10
	s_and_saveexec_b64 s[8:9], s[6:7]
	s_xor_b64 s[6:7], exec, s[8:9]
	s_cbranch_execnz .LBB51_3197
; %bb.1149:
	s_or_saveexec_b64 s[6:7], s[6:7]
	v_mov_b32_e32 v11, s10
	s_xor_b64 exec, exec, s[6:7]
	s_cbranch_execnz .LBB51_3200
.LBB51_1150:
	s_or_b64 exec, exec, s[6:7]
	s_and_saveexec_b64 s[6:7], s[4:5]
	s_cbranch_execz .LBB51_1152
.LBB51_1151:
	v_bfe_u32 v11, v13, 24, 3
	v_ffbh_u32_e32 v16, v11
	v_min_u32_e32 v16, 32, v16
	v_lshrrev_b32_e32 v14, 27, v13
	v_subrev_u32_e32 v17, 28, v16
	v_and_b32_e32 v12, 0x80000000, v13
	v_and_b32_e32 v14, 15, v14
	v_bfe_u32 v15, v13, 27, 4
	v_lshlrev_b32_sdwa v13, v17, v13 dst_sel:DWORD dst_unused:UNUSED_PAD src0_sel:DWORD src1_sel:BYTE_3
	v_sub_u32_e32 v16, 29, v16
	v_and_b32_e32 v13, 7, v13
	v_cmp_eq_u16_e32 vcc, 0, v14
	v_cndmask_b32_e32 v11, v11, v13, vcc
	v_cndmask_b32_e32 v13, v15, v16, vcc
	v_mov_b32_e32 v14, 0x3b800000
	v_lshlrev_b32_e32 v11, 20, v11
	v_lshl_add_u32 v13, v13, 23, v14
	v_or3_b32 v11, v12, v13, v11
.LBB51_1152:
	s_or_b64 exec, exec, s[6:7]
	s_nop 0
	v_mfma_f32_16x16x4f32 a[0:3], v10, v11, a[0:3]
	s_movk_i32 s4, 0x7f
	v_cmp_gt_i16_sdwa s[6:7], v6, s4 src0_sel:BYTE_0 src1_sel:DWORD
	s_mov_b64 s[4:5], 0
                                        ; implicit-def: $sgpr10
	s_and_saveexec_b64 s[8:9], s[6:7]
	s_xor_b64 s[6:7], exec, s[8:9]
	s_cbranch_execnz .LBB51_3201
; %bb.1153:
	s_or_saveexec_b64 s[6:7], s[6:7]
	v_mov_b32_e32 v10, s10
	s_xor_b64 exec, exec, s[6:7]
	s_cbranch_execnz .LBB51_3204
.LBB51_1154:
	s_or_b64 exec, exec, s[6:7]
	s_and_saveexec_b64 s[6:7], s[4:5]
	s_cbranch_execz .LBB51_1156
.LBB51_1155:
	v_and_b32_e32 v10, 7, v6
	v_ffbh_u32_e32 v12, v10
	v_min_u32_e32 v12, 32, v12
	v_lshrrev_b16_e32 v11, 3, v6
	v_subrev_u32_e32 v13, 28, v12
	v_and_b32_e32 v11, 15, v11
	v_lshlrev_b32_e32 v13, v13, v6
	v_sub_u32_e32 v12, 29, v12
	v_and_b32_e32 v13, 7, v13
	v_cmp_eq_u16_e32 vcc, 0, v11
	v_cndmask_b32_e32 v10, v10, v13, vcc
	v_cndmask_b32_e32 v11, v11, v12, vcc
	v_lshlrev_b32_e32 v12, 24, v6
	v_mov_b32_e32 v13, 0x3b800000
	v_lshlrev_b32_e32 v10, 20, v10
	v_and_b32_e32 v12, 0x80000000, v12
	v_lshl_add_u32 v11, v11, 23, v13
	v_or3_b32 v10, v12, v11, v10
.LBB51_1156:
	s_or_b64 exec, exec, s[6:7]
	s_movk_i32 s4, 0x7f
	v_cmp_gt_i16_sdwa s[6:7], v2, s4 src0_sel:BYTE_0 src1_sel:DWORD
	s_mov_b64 s[4:5], 0
                                        ; implicit-def: $sgpr10
	s_and_saveexec_b64 s[8:9], s[6:7]
	s_xor_b64 s[6:7], exec, s[8:9]
	s_cbranch_execnz .LBB51_3205
; %bb.1157:
	s_or_saveexec_b64 s[6:7], s[6:7]
	v_mov_b32_e32 v11, s10
	s_xor_b64 exec, exec, s[6:7]
	s_cbranch_execnz .LBB51_3208
.LBB51_1158:
	s_or_b64 exec, exec, s[6:7]
	s_and_saveexec_b64 s[6:7], s[4:5]
	s_cbranch_execz .LBB51_1160
.LBB51_1159:
	v_and_b32_e32 v11, 7, v2
	v_ffbh_u32_e32 v13, v11
	v_min_u32_e32 v13, 32, v13
	v_lshrrev_b16_e32 v12, 3, v2
	v_subrev_u32_e32 v14, 28, v13
	v_and_b32_e32 v12, 15, v12
	v_lshlrev_b32_e32 v14, v14, v2
	v_sub_u32_e32 v13, 29, v13
	v_and_b32_e32 v14, 7, v14
	v_cmp_eq_u16_e32 vcc, 0, v12
	v_cndmask_b32_e32 v11, v11, v14, vcc
	v_cndmask_b32_e32 v12, v12, v13, vcc
	v_lshlrev_b32_e32 v13, 24, v2
	v_mov_b32_e32 v14, 0x3b800000
	v_lshlrev_b32_e32 v11, 20, v11
	v_and_b32_e32 v13, 0x80000000, v13
	v_lshl_add_u32 v12, v12, 23, v14
	v_or3_b32 v11, v13, v12, v11
.LBB51_1160:
	s_or_b64 exec, exec, s[6:7]
	s_nop 0
	v_mfma_f32_16x16x4f32 a[0:3], v10, v11, a[0:3]
	v_lshrrev_b32_e32 v11, 8, v6
	s_movk_i32 s4, 0x7f
	v_cmp_gt_i16_sdwa s[6:7], v11, s4 src0_sel:BYTE_0 src1_sel:DWORD
	s_mov_b64 s[4:5], 0
                                        ; implicit-def: $sgpr10
	s_and_saveexec_b64 s[8:9], s[6:7]
	s_xor_b64 s[6:7], exec, s[8:9]
	s_cbranch_execnz .LBB51_3209
; %bb.1161:
	s_or_saveexec_b64 s[6:7], s[6:7]
	v_mov_b32_e32 v10, s10
	s_xor_b64 exec, exec, s[6:7]
	s_cbranch_execnz .LBB51_3212
.LBB51_1162:
	s_or_b64 exec, exec, s[6:7]
	s_and_saveexec_b64 s[6:7], s[4:5]
	s_cbranch_execz .LBB51_1164
.LBB51_1163:
	v_bfe_u32 v10, v6, 8, 3
	v_ffbh_u32_e32 v13, v10
	v_min_u32_e32 v13, 32, v13
	v_lshrrev_b16_e32 v12, 3, v11
	v_subrev_u32_e32 v14, 28, v13
	v_and_b32_e32 v12, 15, v12
	v_lshlrev_b32_e32 v11, v14, v11
	v_sub_u32_e32 v13, 29, v13
	v_and_b32_e32 v11, 7, v11
	v_cmp_eq_u16_e32 vcc, 0, v12
	v_cndmask_b32_e32 v10, v10, v11, vcc
	v_cndmask_b32_e32 v11, v12, v13, vcc
	v_lshlrev_b32_e32 v12, 16, v6
	v_mov_b32_e32 v13, 0x3b800000
	v_lshlrev_b32_e32 v10, 20, v10
	v_and_b32_e32 v12, 0x80000000, v12
	v_lshl_add_u32 v11, v11, 23, v13
	v_or3_b32 v10, v12, v11, v10
.LBB51_1164:
	s_or_b64 exec, exec, s[6:7]
	v_lshrrev_b32_e32 v11, 8, v2
	s_movk_i32 s4, 0x7f
	v_cmp_gt_i16_sdwa s[6:7], v11, s4 src0_sel:BYTE_0 src1_sel:DWORD
	s_mov_b64 s[4:5], 0
                                        ; implicit-def: $sgpr10
	s_and_saveexec_b64 s[8:9], s[6:7]
	s_xor_b64 s[6:7], exec, s[8:9]
	s_cbranch_execnz .LBB51_3213
; %bb.1165:
	s_or_saveexec_b64 s[6:7], s[6:7]
	v_mov_b32_e32 v12, s10
	s_xor_b64 exec, exec, s[6:7]
	s_cbranch_execnz .LBB51_3216
.LBB51_1166:
	s_or_b64 exec, exec, s[6:7]
	s_and_saveexec_b64 s[6:7], s[4:5]
	s_cbranch_execz .LBB51_1168
.LBB51_1167:
	v_bfe_u32 v12, v2, 8, 3
	v_ffbh_u32_e32 v14, v12
	v_min_u32_e32 v14, 32, v14
	v_lshrrev_b16_e32 v13, 3, v11
	v_subrev_u32_e32 v15, 28, v14
	v_and_b32_e32 v13, 15, v13
	v_lshlrev_b32_e32 v11, v15, v11
	v_sub_u32_e32 v14, 29, v14
	v_and_b32_e32 v11, 7, v11
	v_cmp_eq_u16_e32 vcc, 0, v13
	v_cndmask_b32_e32 v11, v12, v11, vcc
	v_cndmask_b32_e32 v12, v13, v14, vcc
	v_lshlrev_b32_e32 v13, 16, v2
	v_mov_b32_e32 v14, 0x3b800000
	v_lshlrev_b32_e32 v11, 20, v11
	v_and_b32_e32 v13, 0x80000000, v13
	v_lshl_add_u32 v12, v12, 23, v14
	v_or3_b32 v12, v13, v12, v11
.LBB51_1168:
	s_or_b64 exec, exec, s[6:7]
	s_nop 0
	v_mfma_f32_16x16x4f32 a[0:3], v10, v12, a[0:3]
	s_movk_i32 s4, 0xff
	v_and_b32_sdwa v11, v6, s4 dst_sel:DWORD dst_unused:UNUSED_PAD src0_sel:WORD_1 src1_sel:DWORD
	s_movk_i32 s4, 0x7f
	v_cmp_lt_i16_e32 vcc, s4, v11
	s_mov_b64 s[4:5], 0
                                        ; implicit-def: $sgpr10
	s_and_saveexec_b64 s[6:7], vcc
	s_xor_b64 s[6:7], exec, s[6:7]
	s_cbranch_execnz .LBB51_3217
; %bb.1169:
	s_or_saveexec_b64 s[6:7], s[6:7]
	v_mov_b32_e32 v10, s10
	s_xor_b64 exec, exec, s[6:7]
	s_cbranch_execnz .LBB51_3220
.LBB51_1170:
	s_or_b64 exec, exec, s[6:7]
	s_and_saveexec_b64 s[6:7], s[4:5]
	s_cbranch_execz .LBB51_1172
.LBB51_1171:
	v_bfe_u32 v10, v6, 16, 3
	v_ffbh_u32_e32 v13, v10
	v_min_u32_e32 v13, 32, v13
	v_lshrrev_b32_e32 v11, 19, v6
	v_subrev_u32_e32 v14, 28, v13
	v_and_b32_e32 v11, 15, v11
	v_lshlrev_b32_sdwa v14, v14, v6 dst_sel:DWORD dst_unused:UNUSED_PAD src0_sel:DWORD src1_sel:WORD_1
	v_bfe_u32 v12, v6, 19, 4
	v_sub_u32_e32 v13, 29, v13
	v_and_b32_e32 v14, 7, v14
	v_cmp_eq_u16_e32 vcc, 0, v11
	v_cndmask_b32_e32 v10, v10, v14, vcc
	v_cndmask_b32_e32 v11, v12, v13, vcc
	v_lshlrev_b32_e32 v12, 8, v6
	v_mov_b32_e32 v13, 0x3b800000
	v_lshlrev_b32_e32 v10, 20, v10
	v_and_b32_e32 v12, 0x80000000, v12
	v_lshl_add_u32 v11, v11, 23, v13
	v_or3_b32 v10, v12, v11, v10
.LBB51_1172:
	s_or_b64 exec, exec, s[6:7]
	s_movk_i32 s4, 0xff
	v_and_b32_sdwa v11, v2, s4 dst_sel:DWORD dst_unused:UNUSED_PAD src0_sel:WORD_1 src1_sel:DWORD
	s_movk_i32 s4, 0x7f
	v_cmp_lt_i16_e32 vcc, s4, v11
	s_mov_b64 s[4:5], 0
                                        ; implicit-def: $sgpr10
	s_and_saveexec_b64 s[6:7], vcc
	s_xor_b64 s[6:7], exec, s[6:7]
	s_cbranch_execnz .LBB51_3221
; %bb.1173:
	s_or_saveexec_b64 s[6:7], s[6:7]
	v_mov_b32_e32 v12, s10
	s_xor_b64 exec, exec, s[6:7]
	s_cbranch_execnz .LBB51_3224
.LBB51_1174:
	s_or_b64 exec, exec, s[6:7]
	s_and_saveexec_b64 s[6:7], s[4:5]
	s_cbranch_execz .LBB51_1176
.LBB51_1175:
	v_bfe_u32 v11, v2, 16, 3
	v_ffbh_u32_e32 v14, v11
	v_min_u32_e32 v14, 32, v14
	v_lshrrev_b32_e32 v12, 19, v2
	v_subrev_u32_e32 v15, 28, v14
	v_and_b32_e32 v12, 15, v12
	v_lshlrev_b32_sdwa v15, v15, v2 dst_sel:DWORD dst_unused:UNUSED_PAD src0_sel:DWORD src1_sel:WORD_1
	v_bfe_u32 v13, v2, 19, 4
	v_sub_u32_e32 v14, 29, v14
	v_and_b32_e32 v15, 7, v15
	v_cmp_eq_u16_e32 vcc, 0, v12
	v_cndmask_b32_e32 v11, v11, v15, vcc
	v_cndmask_b32_e32 v12, v13, v14, vcc
	v_lshlrev_b32_e32 v13, 8, v2
	v_mov_b32_e32 v14, 0x3b800000
	v_lshlrev_b32_e32 v11, 20, v11
	v_and_b32_e32 v13, 0x80000000, v13
	v_lshl_add_u32 v12, v12, 23, v14
	v_or3_b32 v12, v13, v12, v11
.LBB51_1176:
	s_or_b64 exec, exec, s[6:7]
	s_nop 0
	v_mfma_f32_16x16x4f32 a[0:3], v10, v12, a[0:3]
	s_movk_i32 s4, 0x7f
	v_cmp_gt_i16_sdwa s[6:7], v6, s4 src0_sel:BYTE_3 src1_sel:DWORD
	s_mov_b64 s[4:5], 0
                                        ; implicit-def: $sgpr10
	s_and_saveexec_b64 s[8:9], s[6:7]
	s_xor_b64 s[6:7], exec, s[8:9]
	s_cbranch_execnz .LBB51_3225
; %bb.1177:
	s_or_saveexec_b64 s[6:7], s[6:7]
	v_mov_b32_e32 v10, s10
	s_xor_b64 exec, exec, s[6:7]
	s_cbranch_execnz .LBB51_3228
.LBB51_1178:
	s_or_b64 exec, exec, s[6:7]
	s_and_saveexec_b64 s[6:7], s[4:5]
	s_cbranch_execz .LBB51_1180
.LBB51_1179:
	v_bfe_u32 v10, v6, 24, 3
	v_ffbh_u32_e32 v14, v10
	v_min_u32_e32 v14, 32, v14
	v_lshrrev_b32_e32 v12, 27, v6
	v_subrev_u32_e32 v15, 28, v14
	v_and_b32_e32 v11, 0x80000000, v6
	v_and_b32_e32 v12, 15, v12
	v_bfe_u32 v13, v6, 27, 4
	v_lshlrev_b32_sdwa v6, v15, v6 dst_sel:DWORD dst_unused:UNUSED_PAD src0_sel:DWORD src1_sel:BYTE_3
	v_sub_u32_e32 v14, 29, v14
	v_and_b32_e32 v6, 7, v6
	v_cmp_eq_u16_e32 vcc, 0, v12
	v_cndmask_b32_e32 v6, v10, v6, vcc
	v_cndmask_b32_e32 v10, v13, v14, vcc
	v_mov_b32_e32 v12, 0x3b800000
	v_lshlrev_b32_e32 v6, 20, v6
	v_lshl_add_u32 v10, v10, 23, v12
	v_or3_b32 v10, v11, v10, v6
.LBB51_1180:
	s_or_b64 exec, exec, s[6:7]
	s_movk_i32 s4, 0x7f
	v_cmp_gt_i16_sdwa s[6:7], v2, s4 src0_sel:BYTE_3 src1_sel:DWORD
	s_mov_b64 s[4:5], 0
                                        ; implicit-def: $sgpr10
	s_and_saveexec_b64 s[8:9], s[6:7]
	s_xor_b64 s[6:7], exec, s[8:9]
	s_cbranch_execnz .LBB51_3229
; %bb.1181:
	s_or_saveexec_b64 s[6:7], s[6:7]
	v_mov_b32_e32 v6, s10
	s_xor_b64 exec, exec, s[6:7]
	s_cbranch_execnz .LBB51_3232
.LBB51_1182:
	s_or_b64 exec, exec, s[6:7]
	s_and_saveexec_b64 s[6:7], s[4:5]
	s_cbranch_execz .LBB51_1184
.LBB51_1183:
	v_bfe_u32 v6, v2, 24, 3
	v_ffbh_u32_e32 v14, v6
	v_min_u32_e32 v14, 32, v14
	v_lshrrev_b32_e32 v12, 27, v2
	v_subrev_u32_e32 v15, 28, v14
	v_and_b32_e32 v11, 0x80000000, v2
	v_and_b32_e32 v12, 15, v12
	v_bfe_u32 v13, v2, 27, 4
	v_lshlrev_b32_sdwa v2, v15, v2 dst_sel:DWORD dst_unused:UNUSED_PAD src0_sel:DWORD src1_sel:BYTE_3
	v_sub_u32_e32 v14, 29, v14
	v_and_b32_e32 v2, 7, v2
	v_cmp_eq_u16_e32 vcc, 0, v12
	v_cndmask_b32_e32 v2, v6, v2, vcc
	v_cndmask_b32_e32 v6, v13, v14, vcc
	v_mov_b32_e32 v12, 0x3b800000
	v_lshlrev_b32_e32 v2, 20, v2
	v_lshl_add_u32 v6, v6, 23, v12
	v_or3_b32 v6, v11, v6, v2
.LBB51_1184:
	s_or_b64 exec, exec, s[6:7]
	s_nop 0
	v_mfma_f32_16x16x4f32 a[0:3], v10, v6, a[0:3]
	s_movk_i32 s4, 0x7f
	v_cmp_gt_i16_sdwa s[6:7], v7, s4 src0_sel:BYTE_0 src1_sel:DWORD
	s_mov_b64 s[4:5], 0
                                        ; implicit-def: $sgpr10
	s_and_saveexec_b64 s[8:9], s[6:7]
	s_xor_b64 s[6:7], exec, s[8:9]
	s_cbranch_execnz .LBB51_3233
; %bb.1185:
	s_or_saveexec_b64 s[6:7], s[6:7]
	v_mov_b32_e32 v2, s10
	s_xor_b64 exec, exec, s[6:7]
	s_cbranch_execnz .LBB51_3236
.LBB51_1186:
	s_or_b64 exec, exec, s[6:7]
	s_and_saveexec_b64 s[6:7], s[4:5]
	s_cbranch_execz .LBB51_1188
.LBB51_1187:
	v_and_b32_e32 v2, 7, v7
	v_ffbh_u32_e32 v10, v2
	v_min_u32_e32 v10, 32, v10
	v_lshrrev_b16_e32 v6, 3, v7
	v_subrev_u32_e32 v11, 28, v10
	v_and_b32_e32 v6, 15, v6
	v_lshlrev_b32_e32 v11, v11, v7
	v_sub_u32_e32 v10, 29, v10
	v_and_b32_e32 v11, 7, v11
	v_cmp_eq_u16_e32 vcc, 0, v6
	v_cndmask_b32_e32 v2, v2, v11, vcc
	v_cndmask_b32_e32 v6, v6, v10, vcc
	v_lshlrev_b32_e32 v10, 24, v7
	v_mov_b32_e32 v11, 0x3b800000
	v_lshlrev_b32_e32 v2, 20, v2
	v_and_b32_e32 v10, 0x80000000, v10
	v_lshl_add_u32 v6, v6, 23, v11
	v_or3_b32 v2, v10, v6, v2
.LBB51_1188:
	s_or_b64 exec, exec, s[6:7]
	s_movk_i32 s4, 0x7f
	v_cmp_gt_i16_sdwa s[6:7], v3, s4 src0_sel:BYTE_0 src1_sel:DWORD
	s_mov_b64 s[4:5], 0
                                        ; implicit-def: $sgpr10
	s_and_saveexec_b64 s[8:9], s[6:7]
	s_xor_b64 s[6:7], exec, s[8:9]
	s_cbranch_execnz .LBB51_3237
; %bb.1189:
	s_or_saveexec_b64 s[6:7], s[6:7]
	v_mov_b32_e32 v6, s10
	s_xor_b64 exec, exec, s[6:7]
	s_cbranch_execnz .LBB51_3240
.LBB51_1190:
	s_or_b64 exec, exec, s[6:7]
	s_and_saveexec_b64 s[6:7], s[4:5]
	s_cbranch_execz .LBB51_1192
.LBB51_1191:
	v_and_b32_e32 v6, 7, v3
	v_ffbh_u32_e32 v11, v6
	v_min_u32_e32 v11, 32, v11
	v_lshrrev_b16_e32 v10, 3, v3
	v_subrev_u32_e32 v12, 28, v11
	v_and_b32_e32 v10, 15, v10
	v_lshlrev_b32_e32 v12, v12, v3
	v_sub_u32_e32 v11, 29, v11
	v_and_b32_e32 v12, 7, v12
	v_cmp_eq_u16_e32 vcc, 0, v10
	v_cndmask_b32_e32 v6, v6, v12, vcc
	v_cndmask_b32_e32 v10, v10, v11, vcc
	v_lshlrev_b32_e32 v11, 24, v3
	v_mov_b32_e32 v12, 0x3b800000
	v_lshlrev_b32_e32 v6, 20, v6
	v_and_b32_e32 v11, 0x80000000, v11
	v_lshl_add_u32 v10, v10, 23, v12
	v_or3_b32 v6, v11, v10, v6
.LBB51_1192:
	s_or_b64 exec, exec, s[6:7]
	s_nop 0
	v_mfma_f32_16x16x4f32 a[0:3], v2, v6, a[0:3]
	v_lshrrev_b32_e32 v6, 8, v7
	s_movk_i32 s4, 0x7f
	v_cmp_gt_i16_sdwa s[6:7], v6, s4 src0_sel:BYTE_0 src1_sel:DWORD
	s_mov_b64 s[4:5], 0
                                        ; implicit-def: $sgpr10
	s_and_saveexec_b64 s[8:9], s[6:7]
	s_xor_b64 s[6:7], exec, s[8:9]
	s_cbranch_execnz .LBB51_3241
; %bb.1193:
	s_or_saveexec_b64 s[6:7], s[6:7]
	v_mov_b32_e32 v2, s10
	s_xor_b64 exec, exec, s[6:7]
	s_cbranch_execnz .LBB51_3244
.LBB51_1194:
	s_or_b64 exec, exec, s[6:7]
	s_and_saveexec_b64 s[6:7], s[4:5]
	s_cbranch_execz .LBB51_1196
.LBB51_1195:
	v_bfe_u32 v2, v7, 8, 3
	v_ffbh_u32_e32 v11, v2
	v_min_u32_e32 v11, 32, v11
	v_lshrrev_b16_e32 v10, 3, v6
	v_subrev_u32_e32 v12, 28, v11
	v_and_b32_e32 v10, 15, v10
	v_lshlrev_b32_e32 v6, v12, v6
	v_sub_u32_e32 v11, 29, v11
	v_and_b32_e32 v6, 7, v6
	v_cmp_eq_u16_e32 vcc, 0, v10
	v_cndmask_b32_e32 v2, v2, v6, vcc
	v_cndmask_b32_e32 v6, v10, v11, vcc
	v_lshlrev_b32_e32 v10, 16, v7
	v_mov_b32_e32 v11, 0x3b800000
	v_lshlrev_b32_e32 v2, 20, v2
	v_and_b32_e32 v10, 0x80000000, v10
	v_lshl_add_u32 v6, v6, 23, v11
	v_or3_b32 v2, v10, v6, v2
.LBB51_1196:
	s_or_b64 exec, exec, s[6:7]
	v_lshrrev_b32_e32 v6, 8, v3
	s_movk_i32 s4, 0x7f
	v_cmp_gt_i16_sdwa s[6:7], v6, s4 src0_sel:BYTE_0 src1_sel:DWORD
	s_mov_b64 s[4:5], 0
                                        ; implicit-def: $sgpr10
	s_and_saveexec_b64 s[8:9], s[6:7]
	s_xor_b64 s[6:7], exec, s[8:9]
	s_cbranch_execnz .LBB51_3245
; %bb.1197:
	s_or_saveexec_b64 s[6:7], s[6:7]
	v_mov_b32_e32 v10, s10
	s_xor_b64 exec, exec, s[6:7]
	s_cbranch_execnz .LBB51_3248
.LBB51_1198:
	s_or_b64 exec, exec, s[6:7]
	s_and_saveexec_b64 s[6:7], s[4:5]
	s_cbranch_execz .LBB51_1200
.LBB51_1199:
	v_bfe_u32 v10, v3, 8, 3
	v_ffbh_u32_e32 v12, v10
	v_min_u32_e32 v12, 32, v12
	v_lshrrev_b16_e32 v11, 3, v6
	v_subrev_u32_e32 v13, 28, v12
	v_and_b32_e32 v11, 15, v11
	v_lshlrev_b32_e32 v6, v13, v6
	v_sub_u32_e32 v12, 29, v12
	v_and_b32_e32 v6, 7, v6
	v_cmp_eq_u16_e32 vcc, 0, v11
	v_cndmask_b32_e32 v6, v10, v6, vcc
	v_cndmask_b32_e32 v10, v11, v12, vcc
	v_lshlrev_b32_e32 v11, 16, v3
	v_mov_b32_e32 v12, 0x3b800000
	v_lshlrev_b32_e32 v6, 20, v6
	v_and_b32_e32 v11, 0x80000000, v11
	v_lshl_add_u32 v10, v10, 23, v12
	v_or3_b32 v10, v11, v10, v6
.LBB51_1200:
	s_or_b64 exec, exec, s[6:7]
	s_nop 0
	v_mfma_f32_16x16x4f32 a[0:3], v2, v10, a[0:3]
	s_movk_i32 s4, 0xff
	v_and_b32_sdwa v6, v7, s4 dst_sel:DWORD dst_unused:UNUSED_PAD src0_sel:WORD_1 src1_sel:DWORD
	s_movk_i32 s4, 0x7f
	v_cmp_lt_i16_e32 vcc, s4, v6
	s_mov_b64 s[4:5], 0
                                        ; implicit-def: $sgpr10
	s_and_saveexec_b64 s[6:7], vcc
	s_xor_b64 s[6:7], exec, s[6:7]
	s_cbranch_execnz .LBB51_3249
; %bb.1201:
	s_or_saveexec_b64 s[6:7], s[6:7]
	v_mov_b32_e32 v2, s10
	s_xor_b64 exec, exec, s[6:7]
	s_cbranch_execnz .LBB51_3252
.LBB51_1202:
	s_or_b64 exec, exec, s[6:7]
	s_and_saveexec_b64 s[6:7], s[4:5]
	s_cbranch_execz .LBB51_1204
.LBB51_1203:
	v_bfe_u32 v2, v7, 16, 3
	v_ffbh_u32_e32 v11, v2
	v_min_u32_e32 v11, 32, v11
	v_lshrrev_b32_e32 v6, 19, v7
	v_subrev_u32_e32 v12, 28, v11
	v_and_b32_e32 v6, 15, v6
	v_lshlrev_b32_sdwa v12, v12, v7 dst_sel:DWORD dst_unused:UNUSED_PAD src0_sel:DWORD src1_sel:WORD_1
	v_bfe_u32 v10, v7, 19, 4
	v_sub_u32_e32 v11, 29, v11
	v_and_b32_e32 v12, 7, v12
	v_cmp_eq_u16_e32 vcc, 0, v6
	v_cndmask_b32_e32 v2, v2, v12, vcc
	v_cndmask_b32_e32 v6, v10, v11, vcc
	v_lshlrev_b32_e32 v10, 8, v7
	v_mov_b32_e32 v11, 0x3b800000
	v_lshlrev_b32_e32 v2, 20, v2
	v_and_b32_e32 v10, 0x80000000, v10
	v_lshl_add_u32 v6, v6, 23, v11
	v_or3_b32 v2, v10, v6, v2
.LBB51_1204:
	s_or_b64 exec, exec, s[6:7]
	s_movk_i32 s4, 0xff
	v_and_b32_sdwa v6, v3, s4 dst_sel:DWORD dst_unused:UNUSED_PAD src0_sel:WORD_1 src1_sel:DWORD
	s_movk_i32 s4, 0x7f
	v_cmp_lt_i16_e32 vcc, s4, v6
	s_mov_b64 s[4:5], 0
                                        ; implicit-def: $sgpr10
	s_and_saveexec_b64 s[6:7], vcc
	s_xor_b64 s[6:7], exec, s[6:7]
	s_cbranch_execnz .LBB51_3253
; %bb.1205:
	s_or_saveexec_b64 s[6:7], s[6:7]
	v_mov_b32_e32 v10, s10
	s_xor_b64 exec, exec, s[6:7]
	s_cbranch_execnz .LBB51_3256
.LBB51_1206:
	s_or_b64 exec, exec, s[6:7]
	s_and_saveexec_b64 s[6:7], s[4:5]
	s_cbranch_execz .LBB51_1208
.LBB51_1207:
	v_bfe_u32 v6, v3, 16, 3
	v_ffbh_u32_e32 v12, v6
	v_min_u32_e32 v12, 32, v12
	v_lshrrev_b32_e32 v10, 19, v3
	v_subrev_u32_e32 v13, 28, v12
	v_and_b32_e32 v10, 15, v10
	v_lshlrev_b32_sdwa v13, v13, v3 dst_sel:DWORD dst_unused:UNUSED_PAD src0_sel:DWORD src1_sel:WORD_1
	v_bfe_u32 v11, v3, 19, 4
	v_sub_u32_e32 v12, 29, v12
	v_and_b32_e32 v13, 7, v13
	v_cmp_eq_u16_e32 vcc, 0, v10
	v_cndmask_b32_e32 v6, v6, v13, vcc
	v_cndmask_b32_e32 v10, v11, v12, vcc
	v_lshlrev_b32_e32 v11, 8, v3
	v_mov_b32_e32 v12, 0x3b800000
	v_lshlrev_b32_e32 v6, 20, v6
	v_and_b32_e32 v11, 0x80000000, v11
	v_lshl_add_u32 v10, v10, 23, v12
	v_or3_b32 v10, v11, v10, v6
.LBB51_1208:
	s_or_b64 exec, exec, s[6:7]
	s_nop 0
	v_mfma_f32_16x16x4f32 a[0:3], v2, v10, a[0:3]
	s_movk_i32 s4, 0x7f
	v_cmp_gt_i16_sdwa s[6:7], v7, s4 src0_sel:BYTE_3 src1_sel:DWORD
	s_mov_b64 s[4:5], 0
                                        ; implicit-def: $sgpr10
	s_and_saveexec_b64 s[8:9], s[6:7]
	s_xor_b64 s[6:7], exec, s[8:9]
	s_cbranch_execnz .LBB51_3257
; %bb.1209:
	s_or_saveexec_b64 s[6:7], s[6:7]
	v_mov_b32_e32 v2, s10
	s_xor_b64 exec, exec, s[6:7]
	s_cbranch_execnz .LBB51_3260
.LBB51_1210:
	s_or_b64 exec, exec, s[6:7]
	s_and_saveexec_b64 s[6:7], s[4:5]
	s_cbranch_execz .LBB51_1212
.LBB51_1211:
	v_bfe_u32 v2, v7, 24, 3
	v_ffbh_u32_e32 v12, v2
	v_min_u32_e32 v12, 32, v12
	v_lshrrev_b32_e32 v10, 27, v7
	v_subrev_u32_e32 v13, 28, v12
	v_and_b32_e32 v6, 0x80000000, v7
	v_and_b32_e32 v10, 15, v10
	v_bfe_u32 v11, v7, 27, 4
	v_lshlrev_b32_sdwa v7, v13, v7 dst_sel:DWORD dst_unused:UNUSED_PAD src0_sel:DWORD src1_sel:BYTE_3
	v_sub_u32_e32 v12, 29, v12
	v_and_b32_e32 v7, 7, v7
	v_cmp_eq_u16_e32 vcc, 0, v10
	v_cndmask_b32_e32 v2, v2, v7, vcc
	v_cndmask_b32_e32 v7, v11, v12, vcc
	v_mov_b32_e32 v10, 0x3b800000
	v_lshlrev_b32_e32 v2, 20, v2
	v_lshl_add_u32 v7, v7, 23, v10
	v_or3_b32 v2, v6, v7, v2
.LBB51_1212:
	s_or_b64 exec, exec, s[6:7]
	s_movk_i32 s4, 0x7f
	v_cmp_gt_i16_sdwa s[6:7], v3, s4 src0_sel:BYTE_3 src1_sel:DWORD
	s_mov_b64 s[4:5], 0
                                        ; implicit-def: $sgpr10
	s_and_saveexec_b64 s[8:9], s[6:7]
	s_xor_b64 s[6:7], exec, s[8:9]
	s_cbranch_execnz .LBB51_3261
; %bb.1213:
	s_or_saveexec_b64 s[6:7], s[6:7]
	v_mov_b32_e32 v6, s10
	s_xor_b64 exec, exec, s[6:7]
	s_cbranch_execnz .LBB51_3264
.LBB51_1214:
	s_or_b64 exec, exec, s[6:7]
	s_and_saveexec_b64 s[6:7], s[4:5]
	s_cbranch_execz .LBB51_1216
.LBB51_1215:
	v_bfe_u32 v6, v3, 24, 3
	v_ffbh_u32_e32 v12, v6
	v_min_u32_e32 v12, 32, v12
	v_lshrrev_b32_e32 v10, 27, v3
	v_subrev_u32_e32 v13, 28, v12
	v_and_b32_e32 v7, 0x80000000, v3
	v_and_b32_e32 v10, 15, v10
	v_bfe_u32 v11, v3, 27, 4
	v_lshlrev_b32_sdwa v3, v13, v3 dst_sel:DWORD dst_unused:UNUSED_PAD src0_sel:DWORD src1_sel:BYTE_3
	v_sub_u32_e32 v12, 29, v12
	v_and_b32_e32 v3, 7, v3
	v_cmp_eq_u16_e32 vcc, 0, v10
	v_cndmask_b32_e32 v3, v6, v3, vcc
	v_cndmask_b32_e32 v6, v11, v12, vcc
	v_mov_b32_e32 v10, 0x3b800000
	v_lshlrev_b32_e32 v3, 20, v3
	v_lshl_add_u32 v6, v6, 23, v10
	v_or3_b32 v6, v7, v6, v3
.LBB51_1216:
	s_or_b64 exec, exec, s[6:7]
	s_nop 0
	v_mfma_f32_16x16x4f32 a[0:3], v2, v6, a[0:3]
	s_movk_i32 s4, 0x7f
	v_cmp_gt_i16_sdwa s[6:7], v8, s4 src0_sel:BYTE_0 src1_sel:DWORD
	s_mov_b64 s[4:5], 0
                                        ; implicit-def: $sgpr10
	s_and_saveexec_b64 s[8:9], s[6:7]
	s_xor_b64 s[6:7], exec, s[8:9]
	s_cbranch_execnz .LBB51_3265
; %bb.1217:
	s_or_saveexec_b64 s[6:7], s[6:7]
	v_mov_b32_e32 v2, s10
	s_xor_b64 exec, exec, s[6:7]
	s_cbranch_execnz .LBB51_3268
.LBB51_1218:
	s_or_b64 exec, exec, s[6:7]
	s_and_saveexec_b64 s[6:7], s[4:5]
	s_cbranch_execz .LBB51_1220
.LBB51_1219:
	v_and_b32_e32 v2, 7, v8
	v_ffbh_u32_e32 v6, v2
	v_min_u32_e32 v6, 32, v6
	v_lshrrev_b16_e32 v3, 3, v8
	v_subrev_u32_e32 v7, 28, v6
	v_and_b32_e32 v3, 15, v3
	v_lshlrev_b32_e32 v7, v7, v8
	v_sub_u32_e32 v6, 29, v6
	v_and_b32_e32 v7, 7, v7
	v_cmp_eq_u16_e32 vcc, 0, v3
	v_cndmask_b32_e32 v2, v2, v7, vcc
	v_cndmask_b32_e32 v3, v3, v6, vcc
	v_lshlrev_b32_e32 v6, 24, v8
	v_mov_b32_e32 v7, 0x3b800000
	v_lshlrev_b32_e32 v2, 20, v2
	v_and_b32_e32 v6, 0x80000000, v6
	v_lshl_add_u32 v3, v3, 23, v7
	v_or3_b32 v2, v6, v3, v2
.LBB51_1220:
	s_or_b64 exec, exec, s[6:7]
	s_movk_i32 s4, 0x7f
	v_cmp_gt_i16_sdwa s[6:7], v4, s4 src0_sel:BYTE_0 src1_sel:DWORD
	s_mov_b64 s[4:5], 0
                                        ; implicit-def: $sgpr10
	s_and_saveexec_b64 s[8:9], s[6:7]
	s_xor_b64 s[6:7], exec, s[8:9]
	s_cbranch_execnz .LBB51_3269
; %bb.1221:
	s_or_saveexec_b64 s[6:7], s[6:7]
	v_mov_b32_e32 v3, s10
	s_xor_b64 exec, exec, s[6:7]
	s_cbranch_execnz .LBB51_3272
.LBB51_1222:
	s_or_b64 exec, exec, s[6:7]
	s_and_saveexec_b64 s[6:7], s[4:5]
	s_cbranch_execz .LBB51_1224
.LBB51_1223:
	v_and_b32_e32 v3, 7, v4
	v_ffbh_u32_e32 v7, v3
	v_min_u32_e32 v7, 32, v7
	v_lshrrev_b16_e32 v6, 3, v4
	v_subrev_u32_e32 v10, 28, v7
	v_and_b32_e32 v6, 15, v6
	v_lshlrev_b32_e32 v10, v10, v4
	v_sub_u32_e32 v7, 29, v7
	v_and_b32_e32 v10, 7, v10
	v_cmp_eq_u16_e32 vcc, 0, v6
	v_cndmask_b32_e32 v3, v3, v10, vcc
	v_cndmask_b32_e32 v6, v6, v7, vcc
	v_lshlrev_b32_e32 v7, 24, v4
	v_mov_b32_e32 v10, 0x3b800000
	v_lshlrev_b32_e32 v3, 20, v3
	v_and_b32_e32 v7, 0x80000000, v7
	v_lshl_add_u32 v6, v6, 23, v10
	v_or3_b32 v3, v7, v6, v3
.LBB51_1224:
	s_or_b64 exec, exec, s[6:7]
	s_nop 0
	v_mfma_f32_16x16x4f32 a[0:3], v2, v3, a[0:3]
	v_lshrrev_b32_e32 v3, 8, v8
	s_movk_i32 s4, 0x7f
	v_cmp_gt_i16_sdwa s[6:7], v3, s4 src0_sel:BYTE_0 src1_sel:DWORD
	s_mov_b64 s[4:5], 0
                                        ; implicit-def: $sgpr10
	s_and_saveexec_b64 s[8:9], s[6:7]
	s_xor_b64 s[6:7], exec, s[8:9]
	s_cbranch_execnz .LBB51_3273
; %bb.1225:
	s_or_saveexec_b64 s[6:7], s[6:7]
	v_mov_b32_e32 v2, s10
	s_xor_b64 exec, exec, s[6:7]
	s_cbranch_execnz .LBB51_3276
.LBB51_1226:
	s_or_b64 exec, exec, s[6:7]
	s_and_saveexec_b64 s[6:7], s[4:5]
	s_cbranch_execz .LBB51_1228
.LBB51_1227:
	v_bfe_u32 v2, v8, 8, 3
	v_ffbh_u32_e32 v7, v2
	v_min_u32_e32 v7, 32, v7
	v_lshrrev_b16_e32 v6, 3, v3
	v_subrev_u32_e32 v10, 28, v7
	v_and_b32_e32 v6, 15, v6
	v_lshlrev_b32_e32 v3, v10, v3
	v_sub_u32_e32 v7, 29, v7
	v_and_b32_e32 v3, 7, v3
	v_cmp_eq_u16_e32 vcc, 0, v6
	v_cndmask_b32_e32 v2, v2, v3, vcc
	v_cndmask_b32_e32 v3, v6, v7, vcc
	v_lshlrev_b32_e32 v6, 16, v8
	v_mov_b32_e32 v7, 0x3b800000
	v_lshlrev_b32_e32 v2, 20, v2
	v_and_b32_e32 v6, 0x80000000, v6
	v_lshl_add_u32 v3, v3, 23, v7
	v_or3_b32 v2, v6, v3, v2
.LBB51_1228:
	s_or_b64 exec, exec, s[6:7]
	v_lshrrev_b32_e32 v3, 8, v4
	s_movk_i32 s4, 0x7f
	v_cmp_gt_i16_sdwa s[6:7], v3, s4 src0_sel:BYTE_0 src1_sel:DWORD
	s_mov_b64 s[4:5], 0
                                        ; implicit-def: $sgpr10
	s_and_saveexec_b64 s[8:9], s[6:7]
	s_xor_b64 s[6:7], exec, s[8:9]
	s_cbranch_execnz .LBB51_3277
; %bb.1229:
	s_or_saveexec_b64 s[6:7], s[6:7]
	v_mov_b32_e32 v6, s10
	s_xor_b64 exec, exec, s[6:7]
	s_cbranch_execnz .LBB51_3280
.LBB51_1230:
	s_or_b64 exec, exec, s[6:7]
	s_and_saveexec_b64 s[6:7], s[4:5]
	s_cbranch_execz .LBB51_1232
.LBB51_1231:
	v_bfe_u32 v6, v4, 8, 3
	v_ffbh_u32_e32 v10, v6
	v_min_u32_e32 v10, 32, v10
	v_lshrrev_b16_e32 v7, 3, v3
	v_subrev_u32_e32 v11, 28, v10
	v_and_b32_e32 v7, 15, v7
	v_lshlrev_b32_e32 v3, v11, v3
	v_sub_u32_e32 v10, 29, v10
	v_and_b32_e32 v3, 7, v3
	v_cmp_eq_u16_e32 vcc, 0, v7
	v_cndmask_b32_e32 v3, v6, v3, vcc
	v_cndmask_b32_e32 v6, v7, v10, vcc
	v_lshlrev_b32_e32 v7, 16, v4
	v_mov_b32_e32 v10, 0x3b800000
	v_lshlrev_b32_e32 v3, 20, v3
	v_and_b32_e32 v7, 0x80000000, v7
	v_lshl_add_u32 v6, v6, 23, v10
	v_or3_b32 v6, v7, v6, v3
.LBB51_1232:
	s_or_b64 exec, exec, s[6:7]
	s_nop 0
	v_mfma_f32_16x16x4f32 a[0:3], v2, v6, a[0:3]
	s_movk_i32 s4, 0xff
	v_and_b32_sdwa v3, v8, s4 dst_sel:DWORD dst_unused:UNUSED_PAD src0_sel:WORD_1 src1_sel:DWORD
	s_movk_i32 s4, 0x7f
	v_cmp_lt_i16_e32 vcc, s4, v3
	s_mov_b64 s[4:5], 0
                                        ; implicit-def: $sgpr10
	s_and_saveexec_b64 s[6:7], vcc
	s_xor_b64 s[6:7], exec, s[6:7]
	s_cbranch_execnz .LBB51_3281
; %bb.1233:
	s_or_saveexec_b64 s[6:7], s[6:7]
	v_mov_b32_e32 v2, s10
	s_xor_b64 exec, exec, s[6:7]
	s_cbranch_execnz .LBB51_3284
.LBB51_1234:
	s_or_b64 exec, exec, s[6:7]
	s_and_saveexec_b64 s[6:7], s[4:5]
	s_cbranch_execz .LBB51_1236
.LBB51_1235:
	v_bfe_u32 v2, v8, 16, 3
	v_ffbh_u32_e32 v7, v2
	v_min_u32_e32 v7, 32, v7
	v_lshrrev_b32_e32 v3, 19, v8
	v_subrev_u32_e32 v10, 28, v7
	v_and_b32_e32 v3, 15, v3
	v_lshlrev_b32_sdwa v10, v10, v8 dst_sel:DWORD dst_unused:UNUSED_PAD src0_sel:DWORD src1_sel:WORD_1
	v_bfe_u32 v6, v8, 19, 4
	v_sub_u32_e32 v7, 29, v7
	v_and_b32_e32 v10, 7, v10
	v_cmp_eq_u16_e32 vcc, 0, v3
	v_cndmask_b32_e32 v2, v2, v10, vcc
	v_cndmask_b32_e32 v3, v6, v7, vcc
	v_lshlrev_b32_e32 v6, 8, v8
	v_mov_b32_e32 v7, 0x3b800000
	v_lshlrev_b32_e32 v2, 20, v2
	v_and_b32_e32 v6, 0x80000000, v6
	v_lshl_add_u32 v3, v3, 23, v7
	v_or3_b32 v2, v6, v3, v2
.LBB51_1236:
	s_or_b64 exec, exec, s[6:7]
	s_movk_i32 s4, 0xff
	v_and_b32_sdwa v3, v4, s4 dst_sel:DWORD dst_unused:UNUSED_PAD src0_sel:WORD_1 src1_sel:DWORD
	s_movk_i32 s4, 0x7f
	v_cmp_lt_i16_e32 vcc, s4, v3
	s_mov_b64 s[4:5], 0
                                        ; implicit-def: $sgpr10
	s_and_saveexec_b64 s[6:7], vcc
	s_xor_b64 s[6:7], exec, s[6:7]
	s_cbranch_execnz .LBB51_3285
; %bb.1237:
	s_or_saveexec_b64 s[6:7], s[6:7]
	v_mov_b32_e32 v6, s10
	s_xor_b64 exec, exec, s[6:7]
	s_cbranch_execnz .LBB51_3288
.LBB51_1238:
	s_or_b64 exec, exec, s[6:7]
	s_and_saveexec_b64 s[6:7], s[4:5]
	s_cbranch_execz .LBB51_1240
.LBB51_1239:
	v_bfe_u32 v3, v4, 16, 3
	v_ffbh_u32_e32 v10, v3
	v_min_u32_e32 v10, 32, v10
	v_lshrrev_b32_e32 v6, 19, v4
	v_subrev_u32_e32 v11, 28, v10
	v_and_b32_e32 v6, 15, v6
	v_lshlrev_b32_sdwa v11, v11, v4 dst_sel:DWORD dst_unused:UNUSED_PAD src0_sel:DWORD src1_sel:WORD_1
	v_bfe_u32 v7, v4, 19, 4
	v_sub_u32_e32 v10, 29, v10
	v_and_b32_e32 v11, 7, v11
	v_cmp_eq_u16_e32 vcc, 0, v6
	v_cndmask_b32_e32 v3, v3, v11, vcc
	v_cndmask_b32_e32 v6, v7, v10, vcc
	v_lshlrev_b32_e32 v7, 8, v4
	v_mov_b32_e32 v10, 0x3b800000
	v_lshlrev_b32_e32 v3, 20, v3
	v_and_b32_e32 v7, 0x80000000, v7
	v_lshl_add_u32 v6, v6, 23, v10
	v_or3_b32 v6, v7, v6, v3
.LBB51_1240:
	s_or_b64 exec, exec, s[6:7]
	s_nop 0
	v_mfma_f32_16x16x4f32 a[0:3], v2, v6, a[0:3]
	s_movk_i32 s4, 0x7f
	v_cmp_gt_i16_sdwa s[6:7], v8, s4 src0_sel:BYTE_3 src1_sel:DWORD
	s_mov_b64 s[4:5], 0
                                        ; implicit-def: $sgpr10
	s_and_saveexec_b64 s[8:9], s[6:7]
	s_xor_b64 s[6:7], exec, s[8:9]
	s_cbranch_execnz .LBB51_3289
; %bb.1241:
	s_or_saveexec_b64 s[6:7], s[6:7]
	v_mov_b32_e32 v2, s10
	s_xor_b64 exec, exec, s[6:7]
	s_cbranch_execnz .LBB51_3292
.LBB51_1242:
	s_or_b64 exec, exec, s[6:7]
	s_and_saveexec_b64 s[6:7], s[4:5]
	s_cbranch_execz .LBB51_1244
.LBB51_1243:
	v_bfe_u32 v2, v8, 24, 3
	v_ffbh_u32_e32 v10, v2
	v_min_u32_e32 v10, 32, v10
	v_lshrrev_b32_e32 v6, 27, v8
	v_subrev_u32_e32 v11, 28, v10
	v_and_b32_e32 v3, 0x80000000, v8
	v_and_b32_e32 v6, 15, v6
	v_bfe_u32 v7, v8, 27, 4
	v_lshlrev_b32_sdwa v8, v11, v8 dst_sel:DWORD dst_unused:UNUSED_PAD src0_sel:DWORD src1_sel:BYTE_3
	v_sub_u32_e32 v10, 29, v10
	v_and_b32_e32 v8, 7, v8
	v_cmp_eq_u16_e32 vcc, 0, v6
	v_cndmask_b32_e32 v2, v2, v8, vcc
	v_cndmask_b32_e32 v6, v7, v10, vcc
	v_mov_b32_e32 v7, 0x3b800000
	v_lshlrev_b32_e32 v2, 20, v2
	v_lshl_add_u32 v6, v6, 23, v7
	v_or3_b32 v2, v3, v6, v2
.LBB51_1244:
	s_or_b64 exec, exec, s[6:7]
	s_movk_i32 s4, 0x7f
	v_cmp_gt_i16_sdwa s[6:7], v4, s4 src0_sel:BYTE_3 src1_sel:DWORD
	s_mov_b64 s[4:5], 0
                                        ; implicit-def: $sgpr10
	s_and_saveexec_b64 s[8:9], s[6:7]
	s_xor_b64 s[6:7], exec, s[8:9]
	s_cbranch_execnz .LBB51_3293
; %bb.1245:
	s_or_saveexec_b64 s[6:7], s[6:7]
	v_mov_b32_e32 v3, s10
	s_xor_b64 exec, exec, s[6:7]
	s_cbranch_execnz .LBB51_3296
.LBB51_1246:
	s_or_b64 exec, exec, s[6:7]
	s_and_saveexec_b64 s[6:7], s[4:5]
	s_cbranch_execz .LBB51_1248
.LBB51_1247:
	v_bfe_u32 v3, v4, 24, 3
	v_ffbh_u32_e32 v10, v3
	v_min_u32_e32 v10, 32, v10
	v_lshrrev_b32_e32 v7, 27, v4
	v_subrev_u32_e32 v11, 28, v10
	v_and_b32_e32 v6, 0x80000000, v4
	v_and_b32_e32 v7, 15, v7
	v_bfe_u32 v8, v4, 27, 4
	v_lshlrev_b32_sdwa v4, v11, v4 dst_sel:DWORD dst_unused:UNUSED_PAD src0_sel:DWORD src1_sel:BYTE_3
	v_sub_u32_e32 v10, 29, v10
	v_and_b32_e32 v4, 7, v4
	v_cmp_eq_u16_e32 vcc, 0, v7
	v_cndmask_b32_e32 v3, v3, v4, vcc
	v_cndmask_b32_e32 v4, v8, v10, vcc
	v_mov_b32_e32 v7, 0x3b800000
	v_lshlrev_b32_e32 v3, 20, v3
	v_lshl_add_u32 v4, v4, 23, v7
	v_or3_b32 v3, v6, v4, v3
.LBB51_1248:
	s_or_b64 exec, exec, s[6:7]
	s_nop 0
	v_mfma_f32_16x16x4f32 a[0:3], v2, v3, a[0:3]
	s_movk_i32 s4, 0x7f
	v_cmp_gt_i16_sdwa s[6:7], v9, s4 src0_sel:BYTE_0 src1_sel:DWORD
	s_mov_b64 s[4:5], 0
                                        ; implicit-def: $sgpr10
	s_and_saveexec_b64 s[8:9], s[6:7]
	s_xor_b64 s[6:7], exec, s[8:9]
	s_cbranch_execnz .LBB51_3297
; %bb.1249:
	s_or_saveexec_b64 s[6:7], s[6:7]
	v_mov_b32_e32 v2, s10
	s_xor_b64 exec, exec, s[6:7]
	s_cbranch_execnz .LBB51_3300
.LBB51_1250:
	s_or_b64 exec, exec, s[6:7]
	s_and_saveexec_b64 s[6:7], s[4:5]
	s_cbranch_execz .LBB51_1252
.LBB51_1251:
	v_mov_b32_e32 v2, 8
	v_and_b32_e32 v3, 7, v9
	v_lshrrev_b32_sdwa v2, v2, v9 dst_sel:BYTE_1 dst_unused:UNUSED_PAD src0_sel:DWORD src1_sel:DWORD
	v_ffbh_u32_e32 v4, v3
	v_or_b32_sdwa v2, v9, v2 dst_sel:DWORD dst_unused:UNUSED_PAD src0_sel:BYTE_0 src1_sel:DWORD
	v_min_u32_e32 v4, 32, v4
	v_lshrrev_b16_e32 v2, 3, v2
	v_subrev_u32_e32 v6, 28, v4
	v_and_b32_e32 v2, 15, v2
	v_lshlrev_b32_e32 v6, v6, v9
	v_sub_u32_e32 v4, 29, v4
	v_and_b32_e32 v6, 7, v6
	v_cmp_eq_u16_e32 vcc, 0, v2
	v_cndmask_b32_e32 v3, v3, v6, vcc
	v_cndmask_b32_e32 v2, v2, v4, vcc
	v_lshlrev_b32_e32 v4, 24, v9
	v_mov_b32_e32 v6, 0x3b800000
	v_lshlrev_b32_e32 v3, 20, v3
	v_and_b32_e32 v4, 0x80000000, v4
	v_lshl_add_u32 v2, v2, 23, v6
	v_or3_b32 v2, v4, v2, v3
.LBB51_1252:
	s_or_b64 exec, exec, s[6:7]
	s_movk_i32 s4, 0x7f
	v_cmp_gt_i16_sdwa s[6:7], v5, s4 src0_sel:BYTE_0 src1_sel:DWORD
	s_mov_b64 s[4:5], 0
                                        ; implicit-def: $sgpr10
	s_and_saveexec_b64 s[8:9], s[6:7]
	s_xor_b64 s[6:7], exec, s[8:9]
	s_cbranch_execnz .LBB51_3301
; %bb.1253:
	s_or_saveexec_b64 s[6:7], s[6:7]
	v_mov_b32_e32 v3, s10
	s_xor_b64 exec, exec, s[6:7]
	s_cbranch_execnz .LBB51_3304
.LBB51_1254:
	s_or_b64 exec, exec, s[6:7]
	s_and_saveexec_b64 s[6:7], s[4:5]
	s_cbranch_execz .LBB51_1256
.LBB51_1255:
	v_mov_b32_e32 v3, 8
	v_and_b32_e32 v4, 7, v5
	v_lshrrev_b32_sdwa v3, v3, v5 dst_sel:BYTE_1 dst_unused:UNUSED_PAD src0_sel:DWORD src1_sel:DWORD
	v_ffbh_u32_e32 v6, v4
	v_or_b32_sdwa v3, v5, v3 dst_sel:DWORD dst_unused:UNUSED_PAD src0_sel:BYTE_0 src1_sel:DWORD
	v_min_u32_e32 v6, 32, v6
	v_lshrrev_b16_e32 v3, 3, v3
	v_subrev_u32_e32 v7, 28, v6
	v_and_b32_e32 v3, 15, v3
	v_lshlrev_b32_e32 v7, v7, v5
	v_sub_u32_e32 v6, 29, v6
	v_and_b32_e32 v7, 7, v7
	v_cmp_eq_u16_e32 vcc, 0, v3
	v_cndmask_b32_e32 v4, v4, v7, vcc
	v_cndmask_b32_e32 v3, v3, v6, vcc
	v_lshlrev_b32_e32 v6, 24, v5
	v_mov_b32_e32 v7, 0x3b800000
	v_lshlrev_b32_e32 v4, 20, v4
	v_and_b32_e32 v6, 0x80000000, v6
	v_lshl_add_u32 v3, v3, 23, v7
	v_or3_b32 v3, v6, v3, v4
.LBB51_1256:
	s_or_b64 exec, exec, s[6:7]
	s_nop 0
	v_mfma_f32_16x16x4f32 a[0:3], v2, v3, a[0:3]
	v_lshrrev_b32_e32 v3, 8, v9
	s_movk_i32 s4, 0x7f
	v_cmp_gt_i16_sdwa s[6:7], v3, s4 src0_sel:BYTE_0 src1_sel:DWORD
	s_mov_b64 s[4:5], 0
                                        ; implicit-def: $sgpr10
	s_and_saveexec_b64 s[8:9], s[6:7]
	s_xor_b64 s[6:7], exec, s[8:9]
	s_cbranch_execnz .LBB51_3305
; %bb.1257:
	s_or_saveexec_b64 s[6:7], s[6:7]
	v_mov_b32_e32 v2, s10
	s_xor_b64 exec, exec, s[6:7]
	s_cbranch_execnz .LBB51_3308
.LBB51_1258:
	s_or_b64 exec, exec, s[6:7]
	s_and_saveexec_b64 s[6:7], s[4:5]
	s_cbranch_execz .LBB51_1260
.LBB51_1259:
	v_bfe_u32 v2, v9, 8, 3
	v_ffbh_u32_e32 v6, v2
	v_min_u32_e32 v6, 32, v6
	v_lshrrev_b16_e32 v4, 3, v3
	v_subrev_u32_e32 v7, 28, v6
	v_and_b32_e32 v4, 15, v4
	v_lshlrev_b32_e32 v3, v7, v3
	v_sub_u32_e32 v6, 29, v6
	v_and_b32_e32 v3, 7, v3
	v_cmp_eq_u16_e32 vcc, 0, v4
	v_cndmask_b32_e32 v2, v2, v3, vcc
	v_cndmask_b32_e32 v3, v4, v6, vcc
	v_lshlrev_b32_e32 v4, 16, v9
	v_mov_b32_e32 v6, 0x3b800000
	v_lshlrev_b32_e32 v2, 20, v2
	v_and_b32_e32 v4, 0x80000000, v4
	v_lshl_add_u32 v3, v3, 23, v6
	v_or3_b32 v2, v4, v3, v2
.LBB51_1260:
	s_or_b64 exec, exec, s[6:7]
	v_lshrrev_b32_e32 v3, 8, v5
	s_movk_i32 s4, 0x7f
	v_cmp_gt_i16_sdwa s[6:7], v3, s4 src0_sel:BYTE_0 src1_sel:DWORD
	s_mov_b64 s[4:5], 0
                                        ; implicit-def: $sgpr10
	s_and_saveexec_b64 s[8:9], s[6:7]
	s_xor_b64 s[6:7], exec, s[8:9]
	s_cbranch_execnz .LBB51_3309
; %bb.1261:
	s_or_saveexec_b64 s[6:7], s[6:7]
	v_mov_b32_e32 v4, s10
	s_xor_b64 exec, exec, s[6:7]
	s_cbranch_execnz .LBB51_3312
.LBB51_1262:
	s_or_b64 exec, exec, s[6:7]
	s_and_saveexec_b64 s[6:7], s[4:5]
	s_cbranch_execz .LBB51_1264
.LBB51_1263:
	v_bfe_u32 v4, v5, 8, 3
	v_ffbh_u32_e32 v7, v4
	v_min_u32_e32 v7, 32, v7
	v_lshrrev_b16_e32 v6, 3, v3
	v_subrev_u32_e32 v8, 28, v7
	v_and_b32_e32 v6, 15, v6
	v_lshlrev_b32_e32 v3, v8, v3
	v_sub_u32_e32 v7, 29, v7
	v_and_b32_e32 v3, 7, v3
	v_cmp_eq_u16_e32 vcc, 0, v6
	v_cndmask_b32_e32 v3, v4, v3, vcc
	v_cndmask_b32_e32 v4, v6, v7, vcc
	v_lshlrev_b32_e32 v6, 16, v5
	v_mov_b32_e32 v7, 0x3b800000
	v_lshlrev_b32_e32 v3, 20, v3
	v_and_b32_e32 v6, 0x80000000, v6
	v_lshl_add_u32 v4, v4, 23, v7
	v_or3_b32 v4, v6, v4, v3
.LBB51_1264:
	s_or_b64 exec, exec, s[6:7]
	s_nop 0
	v_mfma_f32_16x16x4f32 a[0:3], v2, v4, a[0:3]
	s_movk_i32 s4, 0xff
	v_and_b32_sdwa v3, v9, s4 dst_sel:DWORD dst_unused:UNUSED_PAD src0_sel:WORD_1 src1_sel:DWORD
	s_movk_i32 s4, 0x7f
	v_cmp_lt_i16_e32 vcc, s4, v3
	s_mov_b64 s[4:5], 0
                                        ; implicit-def: $sgpr10
	s_and_saveexec_b64 s[6:7], vcc
	s_xor_b64 s[6:7], exec, s[6:7]
	s_cbranch_execnz .LBB51_3313
; %bb.1265:
	s_or_saveexec_b64 s[6:7], s[6:7]
	v_mov_b32_e32 v2, s10
	s_xor_b64 exec, exec, s[6:7]
	s_cbranch_execnz .LBB51_3316
.LBB51_1266:
	s_or_b64 exec, exec, s[6:7]
	s_and_saveexec_b64 s[6:7], s[4:5]
	s_cbranch_execz .LBB51_1268
.LBB51_1267:
	v_bfe_u32 v2, v9, 16, 3
	v_ffbh_u32_e32 v6, v2
	v_min_u32_e32 v6, 32, v6
	v_lshrrev_b32_e32 v3, 19, v9
	v_subrev_u32_e32 v7, 28, v6
	v_and_b32_e32 v3, 15, v3
	v_lshlrev_b32_sdwa v7, v7, v9 dst_sel:DWORD dst_unused:UNUSED_PAD src0_sel:DWORD src1_sel:WORD_1
	v_bfe_u32 v4, v9, 19, 4
	v_sub_u32_e32 v6, 29, v6
	v_and_b32_e32 v7, 7, v7
	v_cmp_eq_u16_e32 vcc, 0, v3
	v_cndmask_b32_e32 v2, v2, v7, vcc
	v_cndmask_b32_e32 v3, v4, v6, vcc
	v_lshlrev_b32_e32 v4, 8, v9
	v_mov_b32_e32 v6, 0x3b800000
	v_lshlrev_b32_e32 v2, 20, v2
	v_and_b32_e32 v4, 0x80000000, v4
	v_lshl_add_u32 v3, v3, 23, v6
	v_or3_b32 v2, v4, v3, v2
.LBB51_1268:
	s_or_b64 exec, exec, s[6:7]
	s_movk_i32 s4, 0xff
	v_and_b32_sdwa v3, v5, s4 dst_sel:DWORD dst_unused:UNUSED_PAD src0_sel:WORD_1 src1_sel:DWORD
	s_movk_i32 s4, 0x7f
	v_cmp_lt_i16_e32 vcc, s4, v3
	s_mov_b64 s[4:5], 0
                                        ; implicit-def: $sgpr10
	s_and_saveexec_b64 s[6:7], vcc
	s_xor_b64 s[6:7], exec, s[6:7]
	s_cbranch_execnz .LBB51_3317
; %bb.1269:
	s_or_saveexec_b64 s[6:7], s[6:7]
	v_mov_b32_e32 v4, s10
	s_xor_b64 exec, exec, s[6:7]
	s_cbranch_execnz .LBB51_3320
.LBB51_1270:
	s_or_b64 exec, exec, s[6:7]
	s_and_saveexec_b64 s[6:7], s[4:5]
	s_cbranch_execz .LBB51_1272
.LBB51_1271:
	v_bfe_u32 v3, v5, 16, 3
	v_ffbh_u32_e32 v7, v3
	v_min_u32_e32 v7, 32, v7
	v_lshrrev_b32_e32 v4, 19, v5
	v_subrev_u32_e32 v8, 28, v7
	v_and_b32_e32 v4, 15, v4
	v_lshlrev_b32_sdwa v8, v8, v5 dst_sel:DWORD dst_unused:UNUSED_PAD src0_sel:DWORD src1_sel:WORD_1
	v_bfe_u32 v6, v5, 19, 4
	v_sub_u32_e32 v7, 29, v7
	v_and_b32_e32 v8, 7, v8
	v_cmp_eq_u16_e32 vcc, 0, v4
	v_cndmask_b32_e32 v3, v3, v8, vcc
	v_cndmask_b32_e32 v4, v6, v7, vcc
	v_lshlrev_b32_e32 v6, 8, v5
	v_mov_b32_e32 v7, 0x3b800000
	v_lshlrev_b32_e32 v3, 20, v3
	v_and_b32_e32 v6, 0x80000000, v6
	v_lshl_add_u32 v4, v4, 23, v7
	v_or3_b32 v4, v6, v4, v3
.LBB51_1272:
	s_or_b64 exec, exec, s[6:7]
	s_nop 0
	v_mfma_f32_16x16x4f32 a[0:3], v2, v4, a[0:3]
	s_movk_i32 s4, 0x7f
	v_cmp_gt_i16_sdwa s[6:7], v9, s4 src0_sel:BYTE_3 src1_sel:DWORD
	s_mov_b64 s[4:5], 0
                                        ; implicit-def: $sgpr10
	s_and_saveexec_b64 s[8:9], s[6:7]
	s_xor_b64 s[6:7], exec, s[8:9]
	s_cbranch_execnz .LBB51_3321
; %bb.1273:
	s_or_saveexec_b64 s[6:7], s[6:7]
	v_mov_b32_e32 v2, s10
	s_xor_b64 exec, exec, s[6:7]
	s_cbranch_execnz .LBB51_3324
.LBB51_1274:
	s_or_b64 exec, exec, s[6:7]
	s_and_saveexec_b64 s[6:7], s[4:5]
	s_cbranch_execz .LBB51_1276
.LBB51_1275:
	v_bfe_u32 v2, v9, 24, 3
	v_ffbh_u32_e32 v7, v2
	v_min_u32_e32 v7, 32, v7
	v_lshrrev_b32_e32 v4, 27, v9
	v_subrev_u32_e32 v8, 28, v7
	v_and_b32_e32 v4, 15, v4
	v_lshlrev_b32_sdwa v8, v8, v9 dst_sel:DWORD dst_unused:UNUSED_PAD src0_sel:DWORD src1_sel:BYTE_3
	v_bfe_u32 v6, v9, 27, 4
	v_sub_u32_e32 v7, 29, v7
	v_and_b32_e32 v8, 7, v8
	v_cmp_eq_u16_e32 vcc, 0, v4
	v_cndmask_b32_e32 v2, v2, v8, vcc
	v_cndmask_b32_e32 v4, v6, v7, vcc
	v_mov_b32_e32 v6, 0x3b800000
	v_and_b32_e32 v3, 0x80000000, v9
	v_lshlrev_b32_e32 v2, 20, v2
	v_lshl_add_u32 v4, v4, 23, v6
	v_or3_b32 v2, v3, v4, v2
.LBB51_1276:
	s_or_b64 exec, exec, s[6:7]
	s_movk_i32 s4, 0x7f
	v_cmp_gt_i16_sdwa s[6:7], v5, s4 src0_sel:BYTE_3 src1_sel:DWORD
	s_mov_b64 s[4:5], 0
                                        ; implicit-def: $sgpr10
	s_and_saveexec_b64 s[8:9], s[6:7]
	s_xor_b64 s[6:7], exec, s[8:9]
	s_cbranch_execnz .LBB51_3325
; %bb.1277:
	s_or_saveexec_b64 s[6:7], s[6:7]
	v_mov_b32_e32 v3, s10
	s_xor_b64 exec, exec, s[6:7]
	s_cbranch_execnz .LBB51_3328
.LBB51_1278:
	s_or_b64 exec, exec, s[6:7]
	s_and_saveexec_b64 s[6:7], s[4:5]
	s_cbranch_execz .LBB51_1280
.LBB51_1279:
	v_bfe_u32 v3, v5, 24, 3
	v_ffbh_u32_e32 v8, v3
	v_min_u32_e32 v8, 32, v8
	v_lshrrev_b32_e32 v6, 27, v5
	v_subrev_u32_e32 v9, 28, v8
	v_and_b32_e32 v4, 0x80000000, v5
	v_and_b32_e32 v6, 15, v6
	v_bfe_u32 v7, v5, 27, 4
	v_lshlrev_b32_sdwa v5, v9, v5 dst_sel:DWORD dst_unused:UNUSED_PAD src0_sel:DWORD src1_sel:BYTE_3
	v_sub_u32_e32 v8, 29, v8
	v_and_b32_e32 v5, 7, v5
	v_cmp_eq_u16_e32 vcc, 0, v6
	v_cndmask_b32_e32 v3, v3, v5, vcc
	v_cndmask_b32_e32 v5, v7, v8, vcc
	v_mov_b32_e32 v6, 0x3b800000
	v_lshlrev_b32_e32 v3, 20, v3
	v_lshl_add_u32 v5, v5, 23, v6
	v_or3_b32 v3, v4, v5, v3
.LBB51_1280:
	s_or_b64 exec, exec, s[6:7]
	s_nop 0
	v_mfma_f32_16x16x4f32 a[0:3], v2, v3, a[0:3]
	s_movk_i32 s4, 0x7f
                                        ; implicit-def: $sgpr10
	s_nop 7
	s_nop 1
	flat_store_dwordx4 v[18:19], a[0:3] offset:960
	flat_load_dwordx4 v[20:23], v[0:1] offset:8
	s_nop 0
	flat_load_dwordx2 v[18:19], v[0:1] offset:24
	s_waitcnt vmcnt(0) lgkmcnt(0)
	flat_load_dwordx4 v[14:17], v[20:21] offset:32
	flat_load_dwordx4 v[6:9], v[20:21] offset:48
	;; [unrolled: 1-line block ×4, first 2 shown]
	s_waitcnt vmcnt(0) lgkmcnt(0)
	v_cmp_gt_i16_sdwa s[6:7], v14, s4 src0_sel:BYTE_0 src1_sel:DWORD
	s_mov_b64 s[4:5], 0
	s_and_saveexec_b64 s[8:9], s[6:7]
	s_xor_b64 s[6:7], exec, s[8:9]
	s_cbranch_execnz .LBB51_3329
; %bb.1281:
	s_or_saveexec_b64 s[6:7], s[6:7]
	v_mov_b32_e32 v20, s10
	s_xor_b64 exec, exec, s[6:7]
	s_cbranch_execnz .LBB51_3332
.LBB51_1282:
	s_or_b64 exec, exec, s[6:7]
	s_and_saveexec_b64 s[6:7], s[4:5]
	s_cbranch_execz .LBB51_1284
.LBB51_1283:
	v_and_b32_e32 v20, 7, v14
	v_ffbh_u32_e32 v22, v20
	v_min_u32_e32 v22, 32, v22
	v_lshrrev_b16_e32 v21, 3, v14
	v_subrev_u32_e32 v23, 28, v22
	v_and_b32_e32 v21, 15, v21
	v_lshlrev_b32_e32 v23, v23, v14
	v_sub_u32_e32 v22, 29, v22
	v_and_b32_e32 v23, 7, v23
	v_cmp_eq_u16_e32 vcc, 0, v21
	v_cndmask_b32_e32 v20, v20, v23, vcc
	v_cndmask_b32_e32 v21, v21, v22, vcc
	v_lshlrev_b32_e32 v22, 24, v14
	v_mov_b32_e32 v23, 0x3b800000
	v_lshlrev_b32_e32 v20, 20, v20
	v_and_b32_e32 v22, 0x80000000, v22
	v_lshl_add_u32 v21, v21, 23, v23
	v_or3_b32 v20, v22, v21, v20
.LBB51_1284:
	s_or_b64 exec, exec, s[6:7]
	s_movk_i32 s4, 0x7f
	v_cmp_gt_i16_sdwa s[6:7], v10, s4 src0_sel:BYTE_0 src1_sel:DWORD
	s_mov_b64 s[4:5], 0
                                        ; implicit-def: $sgpr10
	s_and_saveexec_b64 s[8:9], s[6:7]
	s_xor_b64 s[6:7], exec, s[8:9]
	s_cbranch_execnz .LBB51_3333
; %bb.1285:
	s_or_saveexec_b64 s[6:7], s[6:7]
	v_mov_b32_e32 v21, s10
	s_xor_b64 exec, exec, s[6:7]
	s_cbranch_execnz .LBB51_3336
.LBB51_1286:
	s_or_b64 exec, exec, s[6:7]
	s_and_saveexec_b64 s[6:7], s[4:5]
	s_cbranch_execz .LBB51_1288
.LBB51_1287:
	v_and_b32_e32 v21, 7, v10
	v_ffbh_u32_e32 v23, v21
	v_min_u32_e32 v23, 32, v23
	v_lshrrev_b16_e32 v22, 3, v10
	v_subrev_u32_e32 v24, 28, v23
	v_and_b32_e32 v22, 15, v22
	v_lshlrev_b32_e32 v24, v24, v10
	v_sub_u32_e32 v23, 29, v23
	v_and_b32_e32 v24, 7, v24
	v_cmp_eq_u16_e32 vcc, 0, v22
	v_cndmask_b32_e32 v21, v21, v24, vcc
	v_cndmask_b32_e32 v22, v22, v23, vcc
	v_lshlrev_b32_e32 v23, 24, v10
	v_mov_b32_e32 v24, 0x3b800000
	v_lshlrev_b32_e32 v21, 20, v21
	v_and_b32_e32 v23, 0x80000000, v23
	v_lshl_add_u32 v22, v22, 23, v24
	v_or3_b32 v21, v23, v22, v21
.LBB51_1288:
	s_or_b64 exec, exec, s[6:7]
	flat_load_dwordx4 a[0:3], v[18:19] offset:976
	s_movk_i32 s4, 0x7f
                                        ; implicit-def: $sgpr10
	s_waitcnt vmcnt(0) lgkmcnt(0)
	v_mfma_f32_16x16x4f32 a[0:3], v20, v21, a[0:3]
	v_lshrrev_b32_e32 v21, 8, v14
	v_cmp_gt_i16_sdwa s[6:7], v21, s4 src0_sel:BYTE_0 src1_sel:DWORD
	s_mov_b64 s[4:5], 0
	s_and_saveexec_b64 s[8:9], s[6:7]
	s_xor_b64 s[6:7], exec, s[8:9]
	s_cbranch_execnz .LBB51_3337
; %bb.1289:
	s_or_saveexec_b64 s[6:7], s[6:7]
	v_mov_b32_e32 v20, s10
	s_xor_b64 exec, exec, s[6:7]
	s_cbranch_execnz .LBB51_3340
.LBB51_1290:
	s_or_b64 exec, exec, s[6:7]
	s_and_saveexec_b64 s[6:7], s[4:5]
	s_cbranch_execz .LBB51_1292
.LBB51_1291:
	v_bfe_u32 v20, v14, 8, 3
	v_ffbh_u32_e32 v23, v20
	v_min_u32_e32 v23, 32, v23
	v_lshrrev_b16_e32 v22, 3, v21
	v_subrev_u32_e32 v24, 28, v23
	v_and_b32_e32 v22, 15, v22
	v_lshlrev_b32_e32 v21, v24, v21
	v_sub_u32_e32 v23, 29, v23
	v_and_b32_e32 v21, 7, v21
	v_cmp_eq_u16_e32 vcc, 0, v22
	v_cndmask_b32_e32 v20, v20, v21, vcc
	v_cndmask_b32_e32 v21, v22, v23, vcc
	v_lshlrev_b32_e32 v22, 16, v14
	v_mov_b32_e32 v23, 0x3b800000
	v_lshlrev_b32_e32 v20, 20, v20
	v_and_b32_e32 v22, 0x80000000, v22
	v_lshl_add_u32 v21, v21, 23, v23
	v_or3_b32 v20, v22, v21, v20
.LBB51_1292:
	s_or_b64 exec, exec, s[6:7]
	v_lshrrev_b32_e32 v21, 8, v10
	s_movk_i32 s4, 0x7f
	v_cmp_gt_i16_sdwa s[6:7], v21, s4 src0_sel:BYTE_0 src1_sel:DWORD
	s_mov_b64 s[4:5], 0
                                        ; implicit-def: $sgpr10
	s_and_saveexec_b64 s[8:9], s[6:7]
	s_xor_b64 s[6:7], exec, s[8:9]
	s_cbranch_execnz .LBB51_3341
; %bb.1293:
	s_or_saveexec_b64 s[6:7], s[6:7]
	v_mov_b32_e32 v22, s10
	s_xor_b64 exec, exec, s[6:7]
	s_cbranch_execnz .LBB51_3344
.LBB51_1294:
	s_or_b64 exec, exec, s[6:7]
	s_and_saveexec_b64 s[6:7], s[4:5]
	s_cbranch_execz .LBB51_1296
.LBB51_1295:
	v_bfe_u32 v22, v10, 8, 3
	v_ffbh_u32_e32 v24, v22
	v_min_u32_e32 v24, 32, v24
	v_lshrrev_b16_e32 v23, 3, v21
	v_subrev_u32_e32 v25, 28, v24
	v_and_b32_e32 v23, 15, v23
	v_lshlrev_b32_e32 v21, v25, v21
	v_sub_u32_e32 v24, 29, v24
	v_and_b32_e32 v21, 7, v21
	v_cmp_eq_u16_e32 vcc, 0, v23
	v_cndmask_b32_e32 v21, v22, v21, vcc
	v_cndmask_b32_e32 v22, v23, v24, vcc
	v_lshlrev_b32_e32 v23, 16, v10
	v_mov_b32_e32 v24, 0x3b800000
	v_lshlrev_b32_e32 v21, 20, v21
	v_and_b32_e32 v23, 0x80000000, v23
	v_lshl_add_u32 v22, v22, 23, v24
	v_or3_b32 v22, v23, v22, v21
.LBB51_1296:
	s_or_b64 exec, exec, s[6:7]
	s_nop 0
	v_mfma_f32_16x16x4f32 a[0:3], v20, v22, a[0:3]
	s_movk_i32 s4, 0xff
	v_and_b32_sdwa v21, v14, s4 dst_sel:DWORD dst_unused:UNUSED_PAD src0_sel:WORD_1 src1_sel:DWORD
	s_movk_i32 s4, 0x7f
	v_cmp_lt_i16_e32 vcc, s4, v21
	s_mov_b64 s[4:5], 0
                                        ; implicit-def: $sgpr10
	s_and_saveexec_b64 s[6:7], vcc
	s_xor_b64 s[6:7], exec, s[6:7]
	s_cbranch_execnz .LBB51_3345
; %bb.1297:
	s_or_saveexec_b64 s[6:7], s[6:7]
	v_mov_b32_e32 v20, s10
	s_xor_b64 exec, exec, s[6:7]
	s_cbranch_execnz .LBB51_3348
.LBB51_1298:
	s_or_b64 exec, exec, s[6:7]
	s_and_saveexec_b64 s[6:7], s[4:5]
	s_cbranch_execz .LBB51_1300
.LBB51_1299:
	v_bfe_u32 v20, v14, 16, 3
	v_ffbh_u32_e32 v23, v20
	v_min_u32_e32 v23, 32, v23
	v_lshrrev_b32_e32 v21, 19, v14
	v_subrev_u32_e32 v24, 28, v23
	v_and_b32_e32 v21, 15, v21
	v_lshlrev_b32_sdwa v24, v24, v14 dst_sel:DWORD dst_unused:UNUSED_PAD src0_sel:DWORD src1_sel:WORD_1
	v_bfe_u32 v22, v14, 19, 4
	v_sub_u32_e32 v23, 29, v23
	v_and_b32_e32 v24, 7, v24
	v_cmp_eq_u16_e32 vcc, 0, v21
	v_cndmask_b32_e32 v20, v20, v24, vcc
	v_cndmask_b32_e32 v21, v22, v23, vcc
	v_lshlrev_b32_e32 v22, 8, v14
	v_mov_b32_e32 v23, 0x3b800000
	v_lshlrev_b32_e32 v20, 20, v20
	v_and_b32_e32 v22, 0x80000000, v22
	v_lshl_add_u32 v21, v21, 23, v23
	v_or3_b32 v20, v22, v21, v20
.LBB51_1300:
	s_or_b64 exec, exec, s[6:7]
	s_movk_i32 s4, 0xff
	v_and_b32_sdwa v21, v10, s4 dst_sel:DWORD dst_unused:UNUSED_PAD src0_sel:WORD_1 src1_sel:DWORD
	s_movk_i32 s4, 0x7f
	v_cmp_lt_i16_e32 vcc, s4, v21
	s_mov_b64 s[4:5], 0
                                        ; implicit-def: $sgpr10
	s_and_saveexec_b64 s[6:7], vcc
	s_xor_b64 s[6:7], exec, s[6:7]
	s_cbranch_execnz .LBB51_3349
; %bb.1301:
	s_or_saveexec_b64 s[6:7], s[6:7]
	v_mov_b32_e32 v22, s10
	s_xor_b64 exec, exec, s[6:7]
	s_cbranch_execnz .LBB51_3352
.LBB51_1302:
	s_or_b64 exec, exec, s[6:7]
	s_and_saveexec_b64 s[6:7], s[4:5]
	s_cbranch_execz .LBB51_1304
.LBB51_1303:
	v_bfe_u32 v21, v10, 16, 3
	v_ffbh_u32_e32 v24, v21
	v_min_u32_e32 v24, 32, v24
	v_lshrrev_b32_e32 v22, 19, v10
	v_subrev_u32_e32 v25, 28, v24
	v_and_b32_e32 v22, 15, v22
	v_lshlrev_b32_sdwa v25, v25, v10 dst_sel:DWORD dst_unused:UNUSED_PAD src0_sel:DWORD src1_sel:WORD_1
	v_bfe_u32 v23, v10, 19, 4
	v_sub_u32_e32 v24, 29, v24
	v_and_b32_e32 v25, 7, v25
	v_cmp_eq_u16_e32 vcc, 0, v22
	v_cndmask_b32_e32 v21, v21, v25, vcc
	v_cndmask_b32_e32 v22, v23, v24, vcc
	v_lshlrev_b32_e32 v23, 8, v10
	v_mov_b32_e32 v24, 0x3b800000
	v_lshlrev_b32_e32 v21, 20, v21
	v_and_b32_e32 v23, 0x80000000, v23
	v_lshl_add_u32 v22, v22, 23, v24
	v_or3_b32 v22, v23, v22, v21
.LBB51_1304:
	s_or_b64 exec, exec, s[6:7]
	s_nop 0
	v_mfma_f32_16x16x4f32 a[0:3], v20, v22, a[0:3]
	s_movk_i32 s4, 0x7f
	v_cmp_gt_i16_sdwa s[6:7], v14, s4 src0_sel:BYTE_3 src1_sel:DWORD
	s_mov_b64 s[4:5], 0
                                        ; implicit-def: $sgpr10
	s_and_saveexec_b64 s[8:9], s[6:7]
	s_xor_b64 s[6:7], exec, s[8:9]
	s_cbranch_execnz .LBB51_3353
; %bb.1305:
	s_or_saveexec_b64 s[6:7], s[6:7]
	v_mov_b32_e32 v20, s10
	s_xor_b64 exec, exec, s[6:7]
	s_cbranch_execnz .LBB51_3356
.LBB51_1306:
	s_or_b64 exec, exec, s[6:7]
	s_and_saveexec_b64 s[6:7], s[4:5]
	s_cbranch_execz .LBB51_1308
.LBB51_1307:
	v_bfe_u32 v20, v14, 24, 3
	v_ffbh_u32_e32 v24, v20
	v_min_u32_e32 v24, 32, v24
	v_lshrrev_b32_e32 v22, 27, v14
	v_subrev_u32_e32 v25, 28, v24
	v_and_b32_e32 v21, 0x80000000, v14
	v_and_b32_e32 v22, 15, v22
	v_bfe_u32 v23, v14, 27, 4
	v_lshlrev_b32_sdwa v14, v25, v14 dst_sel:DWORD dst_unused:UNUSED_PAD src0_sel:DWORD src1_sel:BYTE_3
	v_sub_u32_e32 v24, 29, v24
	v_and_b32_e32 v14, 7, v14
	v_cmp_eq_u16_e32 vcc, 0, v22
	v_cndmask_b32_e32 v14, v20, v14, vcc
	v_cndmask_b32_e32 v20, v23, v24, vcc
	v_mov_b32_e32 v22, 0x3b800000
	v_lshlrev_b32_e32 v14, 20, v14
	v_lshl_add_u32 v20, v20, 23, v22
	v_or3_b32 v20, v21, v20, v14
.LBB51_1308:
	s_or_b64 exec, exec, s[6:7]
	s_movk_i32 s4, 0x7f
	v_cmp_gt_i16_sdwa s[6:7], v10, s4 src0_sel:BYTE_3 src1_sel:DWORD
	s_mov_b64 s[4:5], 0
                                        ; implicit-def: $sgpr10
	s_and_saveexec_b64 s[8:9], s[6:7]
	s_xor_b64 s[6:7], exec, s[8:9]
	s_cbranch_execnz .LBB51_3357
; %bb.1309:
	s_or_saveexec_b64 s[6:7], s[6:7]
	v_mov_b32_e32 v14, s10
	s_xor_b64 exec, exec, s[6:7]
	s_cbranch_execnz .LBB51_3360
.LBB51_1310:
	s_or_b64 exec, exec, s[6:7]
	s_and_saveexec_b64 s[6:7], s[4:5]
	s_cbranch_execz .LBB51_1312
.LBB51_1311:
	v_bfe_u32 v14, v10, 24, 3
	v_ffbh_u32_e32 v24, v14
	v_min_u32_e32 v24, 32, v24
	v_lshrrev_b32_e32 v22, 27, v10
	v_subrev_u32_e32 v25, 28, v24
	v_and_b32_e32 v21, 0x80000000, v10
	v_and_b32_e32 v22, 15, v22
	v_bfe_u32 v23, v10, 27, 4
	v_lshlrev_b32_sdwa v10, v25, v10 dst_sel:DWORD dst_unused:UNUSED_PAD src0_sel:DWORD src1_sel:BYTE_3
	v_sub_u32_e32 v24, 29, v24
	v_and_b32_e32 v10, 7, v10
	v_cmp_eq_u16_e32 vcc, 0, v22
	v_cndmask_b32_e32 v10, v14, v10, vcc
	v_cndmask_b32_e32 v14, v23, v24, vcc
	v_mov_b32_e32 v22, 0x3b800000
	v_lshlrev_b32_e32 v10, 20, v10
	v_lshl_add_u32 v14, v14, 23, v22
	v_or3_b32 v14, v21, v14, v10
.LBB51_1312:
	s_or_b64 exec, exec, s[6:7]
	s_nop 0
	v_mfma_f32_16x16x4f32 a[0:3], v20, v14, a[0:3]
	s_movk_i32 s4, 0x7f
	v_cmp_gt_i16_sdwa s[6:7], v15, s4 src0_sel:BYTE_0 src1_sel:DWORD
	s_mov_b64 s[4:5], 0
                                        ; implicit-def: $sgpr10
	s_and_saveexec_b64 s[8:9], s[6:7]
	s_xor_b64 s[6:7], exec, s[8:9]
	s_cbranch_execnz .LBB51_3361
; %bb.1313:
	s_or_saveexec_b64 s[6:7], s[6:7]
	v_mov_b32_e32 v10, s10
	s_xor_b64 exec, exec, s[6:7]
	s_cbranch_execnz .LBB51_3364
.LBB51_1314:
	s_or_b64 exec, exec, s[6:7]
	s_and_saveexec_b64 s[6:7], s[4:5]
	s_cbranch_execz .LBB51_1316
.LBB51_1315:
	v_and_b32_e32 v10, 7, v15
	v_ffbh_u32_e32 v20, v10
	v_min_u32_e32 v20, 32, v20
	v_lshrrev_b16_e32 v14, 3, v15
	v_subrev_u32_e32 v21, 28, v20
	v_and_b32_e32 v14, 15, v14
	v_lshlrev_b32_e32 v21, v21, v15
	v_sub_u32_e32 v20, 29, v20
	v_and_b32_e32 v21, 7, v21
	v_cmp_eq_u16_e32 vcc, 0, v14
	v_cndmask_b32_e32 v10, v10, v21, vcc
	v_cndmask_b32_e32 v14, v14, v20, vcc
	v_lshlrev_b32_e32 v20, 24, v15
	v_mov_b32_e32 v21, 0x3b800000
	v_lshlrev_b32_e32 v10, 20, v10
	v_and_b32_e32 v20, 0x80000000, v20
	v_lshl_add_u32 v14, v14, 23, v21
	v_or3_b32 v10, v20, v14, v10
.LBB51_1316:
	s_or_b64 exec, exec, s[6:7]
	s_movk_i32 s4, 0x7f
	v_cmp_gt_i16_sdwa s[6:7], v11, s4 src0_sel:BYTE_0 src1_sel:DWORD
	s_mov_b64 s[4:5], 0
                                        ; implicit-def: $sgpr10
	s_and_saveexec_b64 s[8:9], s[6:7]
	s_xor_b64 s[6:7], exec, s[8:9]
	s_cbranch_execnz .LBB51_3365
; %bb.1317:
	s_or_saveexec_b64 s[6:7], s[6:7]
	v_mov_b32_e32 v14, s10
	s_xor_b64 exec, exec, s[6:7]
	s_cbranch_execnz .LBB51_3368
.LBB51_1318:
	s_or_b64 exec, exec, s[6:7]
	s_and_saveexec_b64 s[6:7], s[4:5]
	s_cbranch_execz .LBB51_1320
.LBB51_1319:
	v_and_b32_e32 v14, 7, v11
	v_ffbh_u32_e32 v21, v14
	v_min_u32_e32 v21, 32, v21
	v_lshrrev_b16_e32 v20, 3, v11
	v_subrev_u32_e32 v22, 28, v21
	v_and_b32_e32 v20, 15, v20
	v_lshlrev_b32_e32 v22, v22, v11
	v_sub_u32_e32 v21, 29, v21
	v_and_b32_e32 v22, 7, v22
	v_cmp_eq_u16_e32 vcc, 0, v20
	v_cndmask_b32_e32 v14, v14, v22, vcc
	v_cndmask_b32_e32 v20, v20, v21, vcc
	v_lshlrev_b32_e32 v21, 24, v11
	v_mov_b32_e32 v22, 0x3b800000
	v_lshlrev_b32_e32 v14, 20, v14
	v_and_b32_e32 v21, 0x80000000, v21
	v_lshl_add_u32 v20, v20, 23, v22
	v_or3_b32 v14, v21, v20, v14
.LBB51_1320:
	s_or_b64 exec, exec, s[6:7]
	s_nop 0
	v_mfma_f32_16x16x4f32 a[0:3], v10, v14, a[0:3]
	v_lshrrev_b32_e32 v14, 8, v15
	s_movk_i32 s4, 0x7f
	v_cmp_gt_i16_sdwa s[6:7], v14, s4 src0_sel:BYTE_0 src1_sel:DWORD
	s_mov_b64 s[4:5], 0
                                        ; implicit-def: $sgpr10
	s_and_saveexec_b64 s[8:9], s[6:7]
	s_xor_b64 s[6:7], exec, s[8:9]
	s_cbranch_execnz .LBB51_3369
; %bb.1321:
	s_or_saveexec_b64 s[6:7], s[6:7]
	v_mov_b32_e32 v10, s10
	s_xor_b64 exec, exec, s[6:7]
	s_cbranch_execnz .LBB51_3372
.LBB51_1322:
	s_or_b64 exec, exec, s[6:7]
	s_and_saveexec_b64 s[6:7], s[4:5]
	s_cbranch_execz .LBB51_1324
.LBB51_1323:
	v_bfe_u32 v10, v15, 8, 3
	v_ffbh_u32_e32 v21, v10
	v_min_u32_e32 v21, 32, v21
	v_lshrrev_b16_e32 v20, 3, v14
	v_subrev_u32_e32 v22, 28, v21
	v_and_b32_e32 v20, 15, v20
	v_lshlrev_b32_e32 v14, v22, v14
	v_sub_u32_e32 v21, 29, v21
	v_and_b32_e32 v14, 7, v14
	v_cmp_eq_u16_e32 vcc, 0, v20
	v_cndmask_b32_e32 v10, v10, v14, vcc
	v_cndmask_b32_e32 v14, v20, v21, vcc
	v_lshlrev_b32_e32 v20, 16, v15
	v_mov_b32_e32 v21, 0x3b800000
	v_lshlrev_b32_e32 v10, 20, v10
	v_and_b32_e32 v20, 0x80000000, v20
	v_lshl_add_u32 v14, v14, 23, v21
	v_or3_b32 v10, v20, v14, v10
.LBB51_1324:
	s_or_b64 exec, exec, s[6:7]
	v_lshrrev_b32_e32 v14, 8, v11
	s_movk_i32 s4, 0x7f
	v_cmp_gt_i16_sdwa s[6:7], v14, s4 src0_sel:BYTE_0 src1_sel:DWORD
	s_mov_b64 s[4:5], 0
                                        ; implicit-def: $sgpr10
	s_and_saveexec_b64 s[8:9], s[6:7]
	s_xor_b64 s[6:7], exec, s[8:9]
	s_cbranch_execnz .LBB51_3373
; %bb.1325:
	s_or_saveexec_b64 s[6:7], s[6:7]
	v_mov_b32_e32 v20, s10
	s_xor_b64 exec, exec, s[6:7]
	s_cbranch_execnz .LBB51_3376
.LBB51_1326:
	s_or_b64 exec, exec, s[6:7]
	s_and_saveexec_b64 s[6:7], s[4:5]
	s_cbranch_execz .LBB51_1328
.LBB51_1327:
	v_bfe_u32 v20, v11, 8, 3
	v_ffbh_u32_e32 v22, v20
	v_min_u32_e32 v22, 32, v22
	v_lshrrev_b16_e32 v21, 3, v14
	v_subrev_u32_e32 v23, 28, v22
	v_and_b32_e32 v21, 15, v21
	v_lshlrev_b32_e32 v14, v23, v14
	v_sub_u32_e32 v22, 29, v22
	v_and_b32_e32 v14, 7, v14
	v_cmp_eq_u16_e32 vcc, 0, v21
	v_cndmask_b32_e32 v14, v20, v14, vcc
	v_cndmask_b32_e32 v20, v21, v22, vcc
	v_lshlrev_b32_e32 v21, 16, v11
	v_mov_b32_e32 v22, 0x3b800000
	v_lshlrev_b32_e32 v14, 20, v14
	v_and_b32_e32 v21, 0x80000000, v21
	v_lshl_add_u32 v20, v20, 23, v22
	v_or3_b32 v20, v21, v20, v14
.LBB51_1328:
	s_or_b64 exec, exec, s[6:7]
	s_nop 0
	v_mfma_f32_16x16x4f32 a[0:3], v10, v20, a[0:3]
	s_movk_i32 s4, 0xff
	v_and_b32_sdwa v14, v15, s4 dst_sel:DWORD dst_unused:UNUSED_PAD src0_sel:WORD_1 src1_sel:DWORD
	s_movk_i32 s4, 0x7f
	v_cmp_lt_i16_e32 vcc, s4, v14
	s_mov_b64 s[4:5], 0
                                        ; implicit-def: $sgpr10
	s_and_saveexec_b64 s[6:7], vcc
	s_xor_b64 s[6:7], exec, s[6:7]
	s_cbranch_execnz .LBB51_3377
; %bb.1329:
	s_or_saveexec_b64 s[6:7], s[6:7]
	v_mov_b32_e32 v10, s10
	s_xor_b64 exec, exec, s[6:7]
	s_cbranch_execnz .LBB51_3380
.LBB51_1330:
	s_or_b64 exec, exec, s[6:7]
	s_and_saveexec_b64 s[6:7], s[4:5]
	s_cbranch_execz .LBB51_1332
.LBB51_1331:
	v_bfe_u32 v10, v15, 16, 3
	v_ffbh_u32_e32 v21, v10
	v_min_u32_e32 v21, 32, v21
	v_lshrrev_b32_e32 v14, 19, v15
	v_subrev_u32_e32 v22, 28, v21
	v_and_b32_e32 v14, 15, v14
	v_lshlrev_b32_sdwa v22, v22, v15 dst_sel:DWORD dst_unused:UNUSED_PAD src0_sel:DWORD src1_sel:WORD_1
	v_bfe_u32 v20, v15, 19, 4
	v_sub_u32_e32 v21, 29, v21
	v_and_b32_e32 v22, 7, v22
	v_cmp_eq_u16_e32 vcc, 0, v14
	v_cndmask_b32_e32 v10, v10, v22, vcc
	v_cndmask_b32_e32 v14, v20, v21, vcc
	v_lshlrev_b32_e32 v20, 8, v15
	v_mov_b32_e32 v21, 0x3b800000
	v_lshlrev_b32_e32 v10, 20, v10
	v_and_b32_e32 v20, 0x80000000, v20
	v_lshl_add_u32 v14, v14, 23, v21
	v_or3_b32 v10, v20, v14, v10
.LBB51_1332:
	s_or_b64 exec, exec, s[6:7]
	s_movk_i32 s4, 0xff
	v_and_b32_sdwa v14, v11, s4 dst_sel:DWORD dst_unused:UNUSED_PAD src0_sel:WORD_1 src1_sel:DWORD
	s_movk_i32 s4, 0x7f
	v_cmp_lt_i16_e32 vcc, s4, v14
	s_mov_b64 s[4:5], 0
                                        ; implicit-def: $sgpr10
	s_and_saveexec_b64 s[6:7], vcc
	s_xor_b64 s[6:7], exec, s[6:7]
	s_cbranch_execnz .LBB51_3381
; %bb.1333:
	s_or_saveexec_b64 s[6:7], s[6:7]
	v_mov_b32_e32 v20, s10
	s_xor_b64 exec, exec, s[6:7]
	s_cbranch_execnz .LBB51_3384
.LBB51_1334:
	s_or_b64 exec, exec, s[6:7]
	s_and_saveexec_b64 s[6:7], s[4:5]
	s_cbranch_execz .LBB51_1336
.LBB51_1335:
	v_bfe_u32 v14, v11, 16, 3
	v_ffbh_u32_e32 v22, v14
	v_min_u32_e32 v22, 32, v22
	v_lshrrev_b32_e32 v20, 19, v11
	v_subrev_u32_e32 v23, 28, v22
	v_and_b32_e32 v20, 15, v20
	v_lshlrev_b32_sdwa v23, v23, v11 dst_sel:DWORD dst_unused:UNUSED_PAD src0_sel:DWORD src1_sel:WORD_1
	v_bfe_u32 v21, v11, 19, 4
	v_sub_u32_e32 v22, 29, v22
	v_and_b32_e32 v23, 7, v23
	v_cmp_eq_u16_e32 vcc, 0, v20
	v_cndmask_b32_e32 v14, v14, v23, vcc
	v_cndmask_b32_e32 v20, v21, v22, vcc
	v_lshlrev_b32_e32 v21, 8, v11
	v_mov_b32_e32 v22, 0x3b800000
	v_lshlrev_b32_e32 v14, 20, v14
	v_and_b32_e32 v21, 0x80000000, v21
	v_lshl_add_u32 v20, v20, 23, v22
	v_or3_b32 v20, v21, v20, v14
.LBB51_1336:
	s_or_b64 exec, exec, s[6:7]
	s_nop 0
	v_mfma_f32_16x16x4f32 a[0:3], v10, v20, a[0:3]
	s_movk_i32 s4, 0x7f
	v_cmp_gt_i16_sdwa s[6:7], v15, s4 src0_sel:BYTE_3 src1_sel:DWORD
	s_mov_b64 s[4:5], 0
                                        ; implicit-def: $sgpr10
	s_and_saveexec_b64 s[8:9], s[6:7]
	s_xor_b64 s[6:7], exec, s[8:9]
	s_cbranch_execnz .LBB51_3385
; %bb.1337:
	s_or_saveexec_b64 s[6:7], s[6:7]
	v_mov_b32_e32 v10, s10
	s_xor_b64 exec, exec, s[6:7]
	s_cbranch_execnz .LBB51_3388
.LBB51_1338:
	s_or_b64 exec, exec, s[6:7]
	s_and_saveexec_b64 s[6:7], s[4:5]
	s_cbranch_execz .LBB51_1340
.LBB51_1339:
	v_bfe_u32 v10, v15, 24, 3
	v_ffbh_u32_e32 v22, v10
	v_min_u32_e32 v22, 32, v22
	v_lshrrev_b32_e32 v20, 27, v15
	v_subrev_u32_e32 v23, 28, v22
	v_and_b32_e32 v14, 0x80000000, v15
	v_and_b32_e32 v20, 15, v20
	v_bfe_u32 v21, v15, 27, 4
	v_lshlrev_b32_sdwa v15, v23, v15 dst_sel:DWORD dst_unused:UNUSED_PAD src0_sel:DWORD src1_sel:BYTE_3
	v_sub_u32_e32 v22, 29, v22
	v_and_b32_e32 v15, 7, v15
	v_cmp_eq_u16_e32 vcc, 0, v20
	v_cndmask_b32_e32 v10, v10, v15, vcc
	v_cndmask_b32_e32 v15, v21, v22, vcc
	v_mov_b32_e32 v20, 0x3b800000
	v_lshlrev_b32_e32 v10, 20, v10
	v_lshl_add_u32 v15, v15, 23, v20
	v_or3_b32 v10, v14, v15, v10
.LBB51_1340:
	s_or_b64 exec, exec, s[6:7]
	s_movk_i32 s4, 0x7f
	v_cmp_gt_i16_sdwa s[6:7], v11, s4 src0_sel:BYTE_3 src1_sel:DWORD
	s_mov_b64 s[4:5], 0
                                        ; implicit-def: $sgpr10
	s_and_saveexec_b64 s[8:9], s[6:7]
	s_xor_b64 s[6:7], exec, s[8:9]
	s_cbranch_execnz .LBB51_3389
; %bb.1341:
	s_or_saveexec_b64 s[6:7], s[6:7]
	v_mov_b32_e32 v14, s10
	s_xor_b64 exec, exec, s[6:7]
	s_cbranch_execnz .LBB51_3392
.LBB51_1342:
	s_or_b64 exec, exec, s[6:7]
	s_and_saveexec_b64 s[6:7], s[4:5]
	s_cbranch_execz .LBB51_1344
.LBB51_1343:
	v_bfe_u32 v14, v11, 24, 3
	v_ffbh_u32_e32 v22, v14
	v_min_u32_e32 v22, 32, v22
	v_lshrrev_b32_e32 v20, 27, v11
	v_subrev_u32_e32 v23, 28, v22
	v_and_b32_e32 v15, 0x80000000, v11
	v_and_b32_e32 v20, 15, v20
	v_bfe_u32 v21, v11, 27, 4
	v_lshlrev_b32_sdwa v11, v23, v11 dst_sel:DWORD dst_unused:UNUSED_PAD src0_sel:DWORD src1_sel:BYTE_3
	v_sub_u32_e32 v22, 29, v22
	v_and_b32_e32 v11, 7, v11
	v_cmp_eq_u16_e32 vcc, 0, v20
	v_cndmask_b32_e32 v11, v14, v11, vcc
	v_cndmask_b32_e32 v14, v21, v22, vcc
	v_mov_b32_e32 v20, 0x3b800000
	v_lshlrev_b32_e32 v11, 20, v11
	v_lshl_add_u32 v14, v14, 23, v20
	v_or3_b32 v14, v15, v14, v11
.LBB51_1344:
	s_or_b64 exec, exec, s[6:7]
	s_nop 0
	v_mfma_f32_16x16x4f32 a[0:3], v10, v14, a[0:3]
	s_movk_i32 s4, 0x7f
	v_cmp_gt_i16_sdwa s[6:7], v16, s4 src0_sel:BYTE_0 src1_sel:DWORD
	s_mov_b64 s[4:5], 0
                                        ; implicit-def: $sgpr10
	s_and_saveexec_b64 s[8:9], s[6:7]
	s_xor_b64 s[6:7], exec, s[8:9]
	s_cbranch_execnz .LBB51_3393
; %bb.1345:
	s_or_saveexec_b64 s[6:7], s[6:7]
	v_mov_b32_e32 v10, s10
	s_xor_b64 exec, exec, s[6:7]
	s_cbranch_execnz .LBB51_3396
.LBB51_1346:
	s_or_b64 exec, exec, s[6:7]
	s_and_saveexec_b64 s[6:7], s[4:5]
	s_cbranch_execz .LBB51_1348
.LBB51_1347:
	v_and_b32_e32 v10, 7, v16
	v_ffbh_u32_e32 v14, v10
	v_min_u32_e32 v14, 32, v14
	v_lshrrev_b16_e32 v11, 3, v16
	v_subrev_u32_e32 v15, 28, v14
	v_and_b32_e32 v11, 15, v11
	v_lshlrev_b32_e32 v15, v15, v16
	v_sub_u32_e32 v14, 29, v14
	v_and_b32_e32 v15, 7, v15
	v_cmp_eq_u16_e32 vcc, 0, v11
	v_cndmask_b32_e32 v10, v10, v15, vcc
	v_cndmask_b32_e32 v11, v11, v14, vcc
	v_lshlrev_b32_e32 v14, 24, v16
	v_mov_b32_e32 v15, 0x3b800000
	v_lshlrev_b32_e32 v10, 20, v10
	v_and_b32_e32 v14, 0x80000000, v14
	v_lshl_add_u32 v11, v11, 23, v15
	v_or3_b32 v10, v14, v11, v10
.LBB51_1348:
	s_or_b64 exec, exec, s[6:7]
	s_movk_i32 s4, 0x7f
	v_cmp_gt_i16_sdwa s[6:7], v12, s4 src0_sel:BYTE_0 src1_sel:DWORD
	s_mov_b64 s[4:5], 0
                                        ; implicit-def: $sgpr10
	s_and_saveexec_b64 s[8:9], s[6:7]
	s_xor_b64 s[6:7], exec, s[8:9]
	s_cbranch_execnz .LBB51_3397
; %bb.1349:
	s_or_saveexec_b64 s[6:7], s[6:7]
	v_mov_b32_e32 v11, s10
	s_xor_b64 exec, exec, s[6:7]
	s_cbranch_execnz .LBB51_3400
.LBB51_1350:
	s_or_b64 exec, exec, s[6:7]
	s_and_saveexec_b64 s[6:7], s[4:5]
	s_cbranch_execz .LBB51_1352
.LBB51_1351:
	v_and_b32_e32 v11, 7, v12
	v_ffbh_u32_e32 v15, v11
	v_min_u32_e32 v15, 32, v15
	v_lshrrev_b16_e32 v14, 3, v12
	v_subrev_u32_e32 v20, 28, v15
	v_and_b32_e32 v14, 15, v14
	v_lshlrev_b32_e32 v20, v20, v12
	v_sub_u32_e32 v15, 29, v15
	v_and_b32_e32 v20, 7, v20
	v_cmp_eq_u16_e32 vcc, 0, v14
	v_cndmask_b32_e32 v11, v11, v20, vcc
	v_cndmask_b32_e32 v14, v14, v15, vcc
	v_lshlrev_b32_e32 v15, 24, v12
	v_mov_b32_e32 v20, 0x3b800000
	v_lshlrev_b32_e32 v11, 20, v11
	v_and_b32_e32 v15, 0x80000000, v15
	v_lshl_add_u32 v14, v14, 23, v20
	v_or3_b32 v11, v15, v14, v11
.LBB51_1352:
	s_or_b64 exec, exec, s[6:7]
	s_nop 0
	v_mfma_f32_16x16x4f32 a[0:3], v10, v11, a[0:3]
	v_lshrrev_b32_e32 v11, 8, v16
	s_movk_i32 s4, 0x7f
	v_cmp_gt_i16_sdwa s[6:7], v11, s4 src0_sel:BYTE_0 src1_sel:DWORD
	s_mov_b64 s[4:5], 0
                                        ; implicit-def: $sgpr10
	s_and_saveexec_b64 s[8:9], s[6:7]
	s_xor_b64 s[6:7], exec, s[8:9]
	s_cbranch_execnz .LBB51_3401
; %bb.1353:
	s_or_saveexec_b64 s[6:7], s[6:7]
	v_mov_b32_e32 v10, s10
	s_xor_b64 exec, exec, s[6:7]
	s_cbranch_execnz .LBB51_3404
.LBB51_1354:
	s_or_b64 exec, exec, s[6:7]
	s_and_saveexec_b64 s[6:7], s[4:5]
	s_cbranch_execz .LBB51_1356
.LBB51_1355:
	v_bfe_u32 v10, v16, 8, 3
	v_ffbh_u32_e32 v15, v10
	v_min_u32_e32 v15, 32, v15
	v_lshrrev_b16_e32 v14, 3, v11
	v_subrev_u32_e32 v20, 28, v15
	v_and_b32_e32 v14, 15, v14
	v_lshlrev_b32_e32 v11, v20, v11
	v_sub_u32_e32 v15, 29, v15
	v_and_b32_e32 v11, 7, v11
	v_cmp_eq_u16_e32 vcc, 0, v14
	v_cndmask_b32_e32 v10, v10, v11, vcc
	v_cndmask_b32_e32 v11, v14, v15, vcc
	v_lshlrev_b32_e32 v14, 16, v16
	v_mov_b32_e32 v15, 0x3b800000
	v_lshlrev_b32_e32 v10, 20, v10
	v_and_b32_e32 v14, 0x80000000, v14
	v_lshl_add_u32 v11, v11, 23, v15
	v_or3_b32 v10, v14, v11, v10
.LBB51_1356:
	s_or_b64 exec, exec, s[6:7]
	v_lshrrev_b32_e32 v11, 8, v12
	s_movk_i32 s4, 0x7f
	v_cmp_gt_i16_sdwa s[6:7], v11, s4 src0_sel:BYTE_0 src1_sel:DWORD
	s_mov_b64 s[4:5], 0
                                        ; implicit-def: $sgpr10
	s_and_saveexec_b64 s[8:9], s[6:7]
	s_xor_b64 s[6:7], exec, s[8:9]
	s_cbranch_execnz .LBB51_3405
; %bb.1357:
	s_or_saveexec_b64 s[6:7], s[6:7]
	v_mov_b32_e32 v14, s10
	s_xor_b64 exec, exec, s[6:7]
	s_cbranch_execnz .LBB51_3408
.LBB51_1358:
	s_or_b64 exec, exec, s[6:7]
	s_and_saveexec_b64 s[6:7], s[4:5]
	s_cbranch_execz .LBB51_1360
.LBB51_1359:
	v_bfe_u32 v14, v12, 8, 3
	v_ffbh_u32_e32 v20, v14
	v_min_u32_e32 v20, 32, v20
	v_lshrrev_b16_e32 v15, 3, v11
	v_subrev_u32_e32 v21, 28, v20
	v_and_b32_e32 v15, 15, v15
	v_lshlrev_b32_e32 v11, v21, v11
	v_sub_u32_e32 v20, 29, v20
	v_and_b32_e32 v11, 7, v11
	v_cmp_eq_u16_e32 vcc, 0, v15
	v_cndmask_b32_e32 v11, v14, v11, vcc
	v_cndmask_b32_e32 v14, v15, v20, vcc
	v_lshlrev_b32_e32 v15, 16, v12
	v_mov_b32_e32 v20, 0x3b800000
	v_lshlrev_b32_e32 v11, 20, v11
	v_and_b32_e32 v15, 0x80000000, v15
	v_lshl_add_u32 v14, v14, 23, v20
	v_or3_b32 v14, v15, v14, v11
.LBB51_1360:
	s_or_b64 exec, exec, s[6:7]
	s_nop 0
	v_mfma_f32_16x16x4f32 a[0:3], v10, v14, a[0:3]
	s_movk_i32 s4, 0xff
	v_and_b32_sdwa v11, v16, s4 dst_sel:DWORD dst_unused:UNUSED_PAD src0_sel:WORD_1 src1_sel:DWORD
	s_movk_i32 s4, 0x7f
	v_cmp_lt_i16_e32 vcc, s4, v11
	s_mov_b64 s[4:5], 0
                                        ; implicit-def: $sgpr10
	s_and_saveexec_b64 s[6:7], vcc
	s_xor_b64 s[6:7], exec, s[6:7]
	s_cbranch_execnz .LBB51_3409
; %bb.1361:
	s_or_saveexec_b64 s[6:7], s[6:7]
	v_mov_b32_e32 v10, s10
	s_xor_b64 exec, exec, s[6:7]
	s_cbranch_execnz .LBB51_3412
.LBB51_1362:
	s_or_b64 exec, exec, s[6:7]
	s_and_saveexec_b64 s[6:7], s[4:5]
	s_cbranch_execz .LBB51_1364
.LBB51_1363:
	v_bfe_u32 v10, v16, 16, 3
	v_ffbh_u32_e32 v15, v10
	v_min_u32_e32 v15, 32, v15
	v_lshrrev_b32_e32 v11, 19, v16
	v_subrev_u32_e32 v20, 28, v15
	v_and_b32_e32 v11, 15, v11
	v_lshlrev_b32_sdwa v20, v20, v16 dst_sel:DWORD dst_unused:UNUSED_PAD src0_sel:DWORD src1_sel:WORD_1
	v_bfe_u32 v14, v16, 19, 4
	v_sub_u32_e32 v15, 29, v15
	v_and_b32_e32 v20, 7, v20
	v_cmp_eq_u16_e32 vcc, 0, v11
	v_cndmask_b32_e32 v10, v10, v20, vcc
	v_cndmask_b32_e32 v11, v14, v15, vcc
	v_lshlrev_b32_e32 v14, 8, v16
	v_mov_b32_e32 v15, 0x3b800000
	v_lshlrev_b32_e32 v10, 20, v10
	v_and_b32_e32 v14, 0x80000000, v14
	v_lshl_add_u32 v11, v11, 23, v15
	v_or3_b32 v10, v14, v11, v10
.LBB51_1364:
	s_or_b64 exec, exec, s[6:7]
	s_movk_i32 s4, 0xff
	v_and_b32_sdwa v11, v12, s4 dst_sel:DWORD dst_unused:UNUSED_PAD src0_sel:WORD_1 src1_sel:DWORD
	s_movk_i32 s4, 0x7f
	v_cmp_lt_i16_e32 vcc, s4, v11
	s_mov_b64 s[4:5], 0
                                        ; implicit-def: $sgpr10
	s_and_saveexec_b64 s[6:7], vcc
	s_xor_b64 s[6:7], exec, s[6:7]
	s_cbranch_execnz .LBB51_3413
; %bb.1365:
	s_or_saveexec_b64 s[6:7], s[6:7]
	v_mov_b32_e32 v14, s10
	s_xor_b64 exec, exec, s[6:7]
	s_cbranch_execnz .LBB51_3416
.LBB51_1366:
	s_or_b64 exec, exec, s[6:7]
	s_and_saveexec_b64 s[6:7], s[4:5]
	s_cbranch_execz .LBB51_1368
.LBB51_1367:
	v_bfe_u32 v11, v12, 16, 3
	v_ffbh_u32_e32 v20, v11
	v_min_u32_e32 v20, 32, v20
	v_lshrrev_b32_e32 v14, 19, v12
	v_subrev_u32_e32 v21, 28, v20
	v_and_b32_e32 v14, 15, v14
	v_lshlrev_b32_sdwa v21, v21, v12 dst_sel:DWORD dst_unused:UNUSED_PAD src0_sel:DWORD src1_sel:WORD_1
	v_bfe_u32 v15, v12, 19, 4
	v_sub_u32_e32 v20, 29, v20
	v_and_b32_e32 v21, 7, v21
	v_cmp_eq_u16_e32 vcc, 0, v14
	v_cndmask_b32_e32 v11, v11, v21, vcc
	v_cndmask_b32_e32 v14, v15, v20, vcc
	v_lshlrev_b32_e32 v15, 8, v12
	v_mov_b32_e32 v20, 0x3b800000
	v_lshlrev_b32_e32 v11, 20, v11
	v_and_b32_e32 v15, 0x80000000, v15
	v_lshl_add_u32 v14, v14, 23, v20
	v_or3_b32 v14, v15, v14, v11
.LBB51_1368:
	s_or_b64 exec, exec, s[6:7]
	s_nop 0
	v_mfma_f32_16x16x4f32 a[0:3], v10, v14, a[0:3]
	s_movk_i32 s4, 0x7f
	v_cmp_gt_i16_sdwa s[6:7], v16, s4 src0_sel:BYTE_3 src1_sel:DWORD
	s_mov_b64 s[4:5], 0
                                        ; implicit-def: $sgpr10
	s_and_saveexec_b64 s[8:9], s[6:7]
	s_xor_b64 s[6:7], exec, s[8:9]
	s_cbranch_execnz .LBB51_3417
; %bb.1369:
	s_or_saveexec_b64 s[6:7], s[6:7]
	v_mov_b32_e32 v10, s10
	s_xor_b64 exec, exec, s[6:7]
	s_cbranch_execnz .LBB51_3420
.LBB51_1370:
	s_or_b64 exec, exec, s[6:7]
	s_and_saveexec_b64 s[6:7], s[4:5]
	s_cbranch_execz .LBB51_1372
.LBB51_1371:
	v_bfe_u32 v10, v16, 24, 3
	v_ffbh_u32_e32 v20, v10
	v_min_u32_e32 v20, 32, v20
	v_lshrrev_b32_e32 v14, 27, v16
	v_subrev_u32_e32 v21, 28, v20
	v_and_b32_e32 v11, 0x80000000, v16
	v_and_b32_e32 v14, 15, v14
	v_bfe_u32 v15, v16, 27, 4
	v_lshlrev_b32_sdwa v16, v21, v16 dst_sel:DWORD dst_unused:UNUSED_PAD src0_sel:DWORD src1_sel:BYTE_3
	v_sub_u32_e32 v20, 29, v20
	v_and_b32_e32 v16, 7, v16
	v_cmp_eq_u16_e32 vcc, 0, v14
	v_cndmask_b32_e32 v10, v10, v16, vcc
	v_cndmask_b32_e32 v14, v15, v20, vcc
	v_mov_b32_e32 v15, 0x3b800000
	v_lshlrev_b32_e32 v10, 20, v10
	v_lshl_add_u32 v14, v14, 23, v15
	v_or3_b32 v10, v11, v14, v10
.LBB51_1372:
	s_or_b64 exec, exec, s[6:7]
	s_movk_i32 s4, 0x7f
	v_cmp_gt_i16_sdwa s[6:7], v12, s4 src0_sel:BYTE_3 src1_sel:DWORD
	s_mov_b64 s[4:5], 0
                                        ; implicit-def: $sgpr10
	s_and_saveexec_b64 s[8:9], s[6:7]
	s_xor_b64 s[6:7], exec, s[8:9]
	s_cbranch_execnz .LBB51_3421
; %bb.1373:
	s_or_saveexec_b64 s[6:7], s[6:7]
	v_mov_b32_e32 v11, s10
	s_xor_b64 exec, exec, s[6:7]
	s_cbranch_execnz .LBB51_3424
.LBB51_1374:
	s_or_b64 exec, exec, s[6:7]
	s_and_saveexec_b64 s[6:7], s[4:5]
	s_cbranch_execz .LBB51_1376
.LBB51_1375:
	v_bfe_u32 v11, v12, 24, 3
	v_ffbh_u32_e32 v20, v11
	v_min_u32_e32 v20, 32, v20
	v_lshrrev_b32_e32 v15, 27, v12
	v_subrev_u32_e32 v21, 28, v20
	v_and_b32_e32 v14, 0x80000000, v12
	v_and_b32_e32 v15, 15, v15
	v_bfe_u32 v16, v12, 27, 4
	v_lshlrev_b32_sdwa v12, v21, v12 dst_sel:DWORD dst_unused:UNUSED_PAD src0_sel:DWORD src1_sel:BYTE_3
	v_sub_u32_e32 v20, 29, v20
	v_and_b32_e32 v12, 7, v12
	v_cmp_eq_u16_e32 vcc, 0, v15
	v_cndmask_b32_e32 v11, v11, v12, vcc
	v_cndmask_b32_e32 v12, v16, v20, vcc
	v_mov_b32_e32 v15, 0x3b800000
	v_lshlrev_b32_e32 v11, 20, v11
	v_lshl_add_u32 v12, v12, 23, v15
	v_or3_b32 v11, v14, v12, v11
.LBB51_1376:
	s_or_b64 exec, exec, s[6:7]
	s_nop 0
	v_mfma_f32_16x16x4f32 a[0:3], v10, v11, a[0:3]
	s_movk_i32 s4, 0x7f
	v_cmp_gt_i16_sdwa s[6:7], v17, s4 src0_sel:BYTE_0 src1_sel:DWORD
	s_mov_b64 s[4:5], 0
                                        ; implicit-def: $sgpr10
	s_and_saveexec_b64 s[8:9], s[6:7]
	s_xor_b64 s[6:7], exec, s[8:9]
	s_cbranch_execnz .LBB51_3425
; %bb.1377:
	s_or_saveexec_b64 s[6:7], s[6:7]
	v_mov_b32_e32 v10, s10
	s_xor_b64 exec, exec, s[6:7]
	s_cbranch_execnz .LBB51_3428
.LBB51_1378:
	s_or_b64 exec, exec, s[6:7]
	s_and_saveexec_b64 s[6:7], s[4:5]
	s_cbranch_execz .LBB51_1380
.LBB51_1379:
	v_and_b32_e32 v10, 7, v17
	v_ffbh_u32_e32 v12, v10
	v_min_u32_e32 v12, 32, v12
	v_lshrrev_b16_e32 v11, 3, v17
	v_subrev_u32_e32 v14, 28, v12
	v_and_b32_e32 v11, 15, v11
	v_lshlrev_b32_e32 v14, v14, v17
	v_sub_u32_e32 v12, 29, v12
	v_and_b32_e32 v14, 7, v14
	v_cmp_eq_u16_e32 vcc, 0, v11
	v_cndmask_b32_e32 v10, v10, v14, vcc
	v_cndmask_b32_e32 v11, v11, v12, vcc
	v_lshlrev_b32_e32 v12, 24, v17
	v_mov_b32_e32 v14, 0x3b800000
	v_lshlrev_b32_e32 v10, 20, v10
	v_and_b32_e32 v12, 0x80000000, v12
	v_lshl_add_u32 v11, v11, 23, v14
	v_or3_b32 v10, v12, v11, v10
.LBB51_1380:
	s_or_b64 exec, exec, s[6:7]
	s_movk_i32 s4, 0x7f
	v_cmp_gt_i16_sdwa s[6:7], v13, s4 src0_sel:BYTE_0 src1_sel:DWORD
	s_mov_b64 s[4:5], 0
                                        ; implicit-def: $sgpr10
	s_and_saveexec_b64 s[8:9], s[6:7]
	s_xor_b64 s[6:7], exec, s[8:9]
	s_cbranch_execnz .LBB51_3429
; %bb.1381:
	s_or_saveexec_b64 s[6:7], s[6:7]
	v_mov_b32_e32 v11, s10
	s_xor_b64 exec, exec, s[6:7]
	s_cbranch_execnz .LBB51_3432
.LBB51_1382:
	s_or_b64 exec, exec, s[6:7]
	s_and_saveexec_b64 s[6:7], s[4:5]
	s_cbranch_execz .LBB51_1384
.LBB51_1383:
	v_and_b32_e32 v11, 7, v13
	v_ffbh_u32_e32 v14, v11
	v_min_u32_e32 v14, 32, v14
	v_lshrrev_b16_e32 v12, 3, v13
	v_subrev_u32_e32 v15, 28, v14
	v_and_b32_e32 v12, 15, v12
	v_lshlrev_b32_e32 v15, v15, v13
	v_sub_u32_e32 v14, 29, v14
	v_and_b32_e32 v15, 7, v15
	v_cmp_eq_u16_e32 vcc, 0, v12
	v_cndmask_b32_e32 v11, v11, v15, vcc
	v_cndmask_b32_e32 v12, v12, v14, vcc
	v_lshlrev_b32_e32 v14, 24, v13
	v_mov_b32_e32 v15, 0x3b800000
	v_lshlrev_b32_e32 v11, 20, v11
	v_and_b32_e32 v14, 0x80000000, v14
	v_lshl_add_u32 v12, v12, 23, v15
	v_or3_b32 v11, v14, v12, v11
.LBB51_1384:
	s_or_b64 exec, exec, s[6:7]
	s_nop 0
	v_mfma_f32_16x16x4f32 a[0:3], v10, v11, a[0:3]
	v_lshrrev_b32_e32 v11, 8, v17
	s_movk_i32 s4, 0x7f
	v_cmp_gt_i16_sdwa s[6:7], v11, s4 src0_sel:BYTE_0 src1_sel:DWORD
	s_mov_b64 s[4:5], 0
                                        ; implicit-def: $sgpr10
	s_and_saveexec_b64 s[8:9], s[6:7]
	s_xor_b64 s[6:7], exec, s[8:9]
	s_cbranch_execnz .LBB51_3433
; %bb.1385:
	s_or_saveexec_b64 s[6:7], s[6:7]
	v_mov_b32_e32 v10, s10
	s_xor_b64 exec, exec, s[6:7]
	s_cbranch_execnz .LBB51_3436
.LBB51_1386:
	s_or_b64 exec, exec, s[6:7]
	s_and_saveexec_b64 s[6:7], s[4:5]
	s_cbranch_execz .LBB51_1388
.LBB51_1387:
	v_bfe_u32 v10, v17, 8, 3
	v_ffbh_u32_e32 v14, v10
	v_min_u32_e32 v14, 32, v14
	v_lshrrev_b16_e32 v12, 3, v11
	v_subrev_u32_e32 v15, 28, v14
	v_and_b32_e32 v12, 15, v12
	v_lshlrev_b32_e32 v11, v15, v11
	v_sub_u32_e32 v14, 29, v14
	v_and_b32_e32 v11, 7, v11
	v_cmp_eq_u16_e32 vcc, 0, v12
	v_cndmask_b32_e32 v10, v10, v11, vcc
	v_cndmask_b32_e32 v11, v12, v14, vcc
	v_lshlrev_b32_e32 v12, 16, v17
	v_mov_b32_e32 v14, 0x3b800000
	v_lshlrev_b32_e32 v10, 20, v10
	v_and_b32_e32 v12, 0x80000000, v12
	v_lshl_add_u32 v11, v11, 23, v14
	v_or3_b32 v10, v12, v11, v10
.LBB51_1388:
	s_or_b64 exec, exec, s[6:7]
	v_lshrrev_b32_e32 v11, 8, v13
	s_movk_i32 s4, 0x7f
	v_cmp_gt_i16_sdwa s[6:7], v11, s4 src0_sel:BYTE_0 src1_sel:DWORD
	s_mov_b64 s[4:5], 0
                                        ; implicit-def: $sgpr10
	s_and_saveexec_b64 s[8:9], s[6:7]
	s_xor_b64 s[6:7], exec, s[8:9]
	s_cbranch_execnz .LBB51_3437
; %bb.1389:
	s_or_saveexec_b64 s[6:7], s[6:7]
	v_mov_b32_e32 v12, s10
	s_xor_b64 exec, exec, s[6:7]
	s_cbranch_execnz .LBB51_3440
.LBB51_1390:
	s_or_b64 exec, exec, s[6:7]
	s_and_saveexec_b64 s[6:7], s[4:5]
	s_cbranch_execz .LBB51_1392
.LBB51_1391:
	v_bfe_u32 v12, v13, 8, 3
	v_ffbh_u32_e32 v15, v12
	v_min_u32_e32 v15, 32, v15
	v_lshrrev_b16_e32 v14, 3, v11
	v_subrev_u32_e32 v16, 28, v15
	v_and_b32_e32 v14, 15, v14
	v_lshlrev_b32_e32 v11, v16, v11
	v_sub_u32_e32 v15, 29, v15
	v_and_b32_e32 v11, 7, v11
	v_cmp_eq_u16_e32 vcc, 0, v14
	v_cndmask_b32_e32 v11, v12, v11, vcc
	v_cndmask_b32_e32 v12, v14, v15, vcc
	v_lshlrev_b32_e32 v14, 16, v13
	v_mov_b32_e32 v15, 0x3b800000
	v_lshlrev_b32_e32 v11, 20, v11
	v_and_b32_e32 v14, 0x80000000, v14
	v_lshl_add_u32 v12, v12, 23, v15
	v_or3_b32 v12, v14, v12, v11
.LBB51_1392:
	s_or_b64 exec, exec, s[6:7]
	s_nop 0
	v_mfma_f32_16x16x4f32 a[0:3], v10, v12, a[0:3]
	s_movk_i32 s4, 0xff
	v_and_b32_sdwa v11, v17, s4 dst_sel:DWORD dst_unused:UNUSED_PAD src0_sel:WORD_1 src1_sel:DWORD
	s_movk_i32 s4, 0x7f
	v_cmp_lt_i16_e32 vcc, s4, v11
	s_mov_b64 s[4:5], 0
                                        ; implicit-def: $sgpr10
	s_and_saveexec_b64 s[6:7], vcc
	s_xor_b64 s[6:7], exec, s[6:7]
	s_cbranch_execnz .LBB51_3441
; %bb.1393:
	s_or_saveexec_b64 s[6:7], s[6:7]
	v_mov_b32_e32 v10, s10
	s_xor_b64 exec, exec, s[6:7]
	s_cbranch_execnz .LBB51_3444
.LBB51_1394:
	s_or_b64 exec, exec, s[6:7]
	s_and_saveexec_b64 s[6:7], s[4:5]
	s_cbranch_execz .LBB51_1396
.LBB51_1395:
	v_bfe_u32 v10, v17, 16, 3
	v_ffbh_u32_e32 v14, v10
	v_min_u32_e32 v14, 32, v14
	v_lshrrev_b32_e32 v11, 19, v17
	v_subrev_u32_e32 v15, 28, v14
	v_and_b32_e32 v11, 15, v11
	v_lshlrev_b32_sdwa v15, v15, v17 dst_sel:DWORD dst_unused:UNUSED_PAD src0_sel:DWORD src1_sel:WORD_1
	v_bfe_u32 v12, v17, 19, 4
	v_sub_u32_e32 v14, 29, v14
	v_and_b32_e32 v15, 7, v15
	v_cmp_eq_u16_e32 vcc, 0, v11
	v_cndmask_b32_e32 v10, v10, v15, vcc
	v_cndmask_b32_e32 v11, v12, v14, vcc
	v_lshlrev_b32_e32 v12, 8, v17
	v_mov_b32_e32 v14, 0x3b800000
	v_lshlrev_b32_e32 v10, 20, v10
	v_and_b32_e32 v12, 0x80000000, v12
	v_lshl_add_u32 v11, v11, 23, v14
	v_or3_b32 v10, v12, v11, v10
.LBB51_1396:
	s_or_b64 exec, exec, s[6:7]
	s_movk_i32 s4, 0xff
	v_and_b32_sdwa v11, v13, s4 dst_sel:DWORD dst_unused:UNUSED_PAD src0_sel:WORD_1 src1_sel:DWORD
	s_movk_i32 s4, 0x7f
	v_cmp_lt_i16_e32 vcc, s4, v11
	s_mov_b64 s[4:5], 0
                                        ; implicit-def: $sgpr10
	s_and_saveexec_b64 s[6:7], vcc
	s_xor_b64 s[6:7], exec, s[6:7]
	s_cbranch_execnz .LBB51_3445
; %bb.1397:
	s_or_saveexec_b64 s[6:7], s[6:7]
	v_mov_b32_e32 v12, s10
	s_xor_b64 exec, exec, s[6:7]
	s_cbranch_execnz .LBB51_3448
.LBB51_1398:
	s_or_b64 exec, exec, s[6:7]
	s_and_saveexec_b64 s[6:7], s[4:5]
	s_cbranch_execz .LBB51_1400
.LBB51_1399:
	v_bfe_u32 v11, v13, 16, 3
	v_ffbh_u32_e32 v15, v11
	v_min_u32_e32 v15, 32, v15
	v_lshrrev_b32_e32 v12, 19, v13
	v_subrev_u32_e32 v16, 28, v15
	v_and_b32_e32 v12, 15, v12
	v_lshlrev_b32_sdwa v16, v16, v13 dst_sel:DWORD dst_unused:UNUSED_PAD src0_sel:DWORD src1_sel:WORD_1
	v_bfe_u32 v14, v13, 19, 4
	v_sub_u32_e32 v15, 29, v15
	v_and_b32_e32 v16, 7, v16
	v_cmp_eq_u16_e32 vcc, 0, v12
	v_cndmask_b32_e32 v11, v11, v16, vcc
	v_cndmask_b32_e32 v12, v14, v15, vcc
	v_lshlrev_b32_e32 v14, 8, v13
	v_mov_b32_e32 v15, 0x3b800000
	v_lshlrev_b32_e32 v11, 20, v11
	v_and_b32_e32 v14, 0x80000000, v14
	v_lshl_add_u32 v12, v12, 23, v15
	v_or3_b32 v12, v14, v12, v11
.LBB51_1400:
	s_or_b64 exec, exec, s[6:7]
	s_nop 0
	v_mfma_f32_16x16x4f32 a[0:3], v10, v12, a[0:3]
	s_movk_i32 s4, 0x7f
	v_cmp_gt_i16_sdwa s[6:7], v17, s4 src0_sel:BYTE_3 src1_sel:DWORD
	s_mov_b64 s[4:5], 0
                                        ; implicit-def: $sgpr10
	s_and_saveexec_b64 s[8:9], s[6:7]
	s_xor_b64 s[6:7], exec, s[8:9]
	s_cbranch_execnz .LBB51_3449
; %bb.1401:
	s_or_saveexec_b64 s[6:7], s[6:7]
	v_mov_b32_e32 v10, s10
	s_xor_b64 exec, exec, s[6:7]
	s_cbranch_execnz .LBB51_3452
.LBB51_1402:
	s_or_b64 exec, exec, s[6:7]
	s_and_saveexec_b64 s[6:7], s[4:5]
	s_cbranch_execz .LBB51_1404
.LBB51_1403:
	v_bfe_u32 v10, v17, 24, 3
	v_ffbh_u32_e32 v15, v10
	v_min_u32_e32 v15, 32, v15
	v_lshrrev_b32_e32 v12, 27, v17
	v_subrev_u32_e32 v16, 28, v15
	v_and_b32_e32 v12, 15, v12
	v_lshlrev_b32_sdwa v16, v16, v17 dst_sel:DWORD dst_unused:UNUSED_PAD src0_sel:DWORD src1_sel:BYTE_3
	v_bfe_u32 v14, v17, 27, 4
	v_sub_u32_e32 v15, 29, v15
	v_and_b32_e32 v16, 7, v16
	v_cmp_eq_u16_e32 vcc, 0, v12
	v_cndmask_b32_e32 v10, v10, v16, vcc
	v_cndmask_b32_e32 v12, v14, v15, vcc
	v_mov_b32_e32 v14, 0x3b800000
	v_and_b32_e32 v11, 0x80000000, v17
	v_lshlrev_b32_e32 v10, 20, v10
	v_lshl_add_u32 v12, v12, 23, v14
	v_or3_b32 v10, v11, v12, v10
.LBB51_1404:
	s_or_b64 exec, exec, s[6:7]
	s_movk_i32 s4, 0x7f
	v_cmp_gt_i16_sdwa s[6:7], v13, s4 src0_sel:BYTE_3 src1_sel:DWORD
	s_mov_b64 s[4:5], 0
                                        ; implicit-def: $sgpr10
	s_and_saveexec_b64 s[8:9], s[6:7]
	s_xor_b64 s[6:7], exec, s[8:9]
	s_cbranch_execnz .LBB51_3453
; %bb.1405:
	s_or_saveexec_b64 s[6:7], s[6:7]
	v_mov_b32_e32 v11, s10
	s_xor_b64 exec, exec, s[6:7]
	s_cbranch_execnz .LBB51_3456
.LBB51_1406:
	s_or_b64 exec, exec, s[6:7]
	s_and_saveexec_b64 s[6:7], s[4:5]
	s_cbranch_execz .LBB51_1408
.LBB51_1407:
	v_bfe_u32 v11, v13, 24, 3
	v_ffbh_u32_e32 v16, v11
	v_min_u32_e32 v16, 32, v16
	v_lshrrev_b32_e32 v14, 27, v13
	v_subrev_u32_e32 v17, 28, v16
	v_and_b32_e32 v12, 0x80000000, v13
	v_and_b32_e32 v14, 15, v14
	v_bfe_u32 v15, v13, 27, 4
	v_lshlrev_b32_sdwa v13, v17, v13 dst_sel:DWORD dst_unused:UNUSED_PAD src0_sel:DWORD src1_sel:BYTE_3
	v_sub_u32_e32 v16, 29, v16
	v_and_b32_e32 v13, 7, v13
	v_cmp_eq_u16_e32 vcc, 0, v14
	v_cndmask_b32_e32 v11, v11, v13, vcc
	v_cndmask_b32_e32 v13, v15, v16, vcc
	v_mov_b32_e32 v14, 0x3b800000
	v_lshlrev_b32_e32 v11, 20, v11
	v_lshl_add_u32 v13, v13, 23, v14
	v_or3_b32 v11, v12, v13, v11
.LBB51_1408:
	s_or_b64 exec, exec, s[6:7]
	s_nop 0
	v_mfma_f32_16x16x4f32 a[0:3], v10, v11, a[0:3]
	s_movk_i32 s4, 0x7f
	v_cmp_gt_i16_sdwa s[6:7], v6, s4 src0_sel:BYTE_0 src1_sel:DWORD
	s_mov_b64 s[4:5], 0
                                        ; implicit-def: $sgpr10
	s_and_saveexec_b64 s[8:9], s[6:7]
	s_xor_b64 s[6:7], exec, s[8:9]
	s_cbranch_execnz .LBB51_3457
; %bb.1409:
	s_or_saveexec_b64 s[6:7], s[6:7]
	v_mov_b32_e32 v10, s10
	s_xor_b64 exec, exec, s[6:7]
	s_cbranch_execnz .LBB51_3460
.LBB51_1410:
	s_or_b64 exec, exec, s[6:7]
	s_and_saveexec_b64 s[6:7], s[4:5]
	s_cbranch_execz .LBB51_1412
.LBB51_1411:
	v_and_b32_e32 v10, 7, v6
	v_ffbh_u32_e32 v12, v10
	v_min_u32_e32 v12, 32, v12
	v_lshrrev_b16_e32 v11, 3, v6
	v_subrev_u32_e32 v13, 28, v12
	v_and_b32_e32 v11, 15, v11
	v_lshlrev_b32_e32 v13, v13, v6
	v_sub_u32_e32 v12, 29, v12
	v_and_b32_e32 v13, 7, v13
	v_cmp_eq_u16_e32 vcc, 0, v11
	v_cndmask_b32_e32 v10, v10, v13, vcc
	v_cndmask_b32_e32 v11, v11, v12, vcc
	v_lshlrev_b32_e32 v12, 24, v6
	v_mov_b32_e32 v13, 0x3b800000
	v_lshlrev_b32_e32 v10, 20, v10
	v_and_b32_e32 v12, 0x80000000, v12
	v_lshl_add_u32 v11, v11, 23, v13
	v_or3_b32 v10, v12, v11, v10
.LBB51_1412:
	s_or_b64 exec, exec, s[6:7]
	s_movk_i32 s4, 0x7f
	v_cmp_gt_i16_sdwa s[6:7], v2, s4 src0_sel:BYTE_0 src1_sel:DWORD
	s_mov_b64 s[4:5], 0
                                        ; implicit-def: $sgpr10
	s_and_saveexec_b64 s[8:9], s[6:7]
	s_xor_b64 s[6:7], exec, s[8:9]
	s_cbranch_execnz .LBB51_3461
; %bb.1413:
	s_or_saveexec_b64 s[6:7], s[6:7]
	v_mov_b32_e32 v11, s10
	s_xor_b64 exec, exec, s[6:7]
	s_cbranch_execnz .LBB51_3464
.LBB51_1414:
	s_or_b64 exec, exec, s[6:7]
	s_and_saveexec_b64 s[6:7], s[4:5]
	s_cbranch_execz .LBB51_1416
.LBB51_1415:
	v_and_b32_e32 v11, 7, v2
	v_ffbh_u32_e32 v13, v11
	v_min_u32_e32 v13, 32, v13
	v_lshrrev_b16_e32 v12, 3, v2
	v_subrev_u32_e32 v14, 28, v13
	v_and_b32_e32 v12, 15, v12
	v_lshlrev_b32_e32 v14, v14, v2
	v_sub_u32_e32 v13, 29, v13
	v_and_b32_e32 v14, 7, v14
	v_cmp_eq_u16_e32 vcc, 0, v12
	v_cndmask_b32_e32 v11, v11, v14, vcc
	v_cndmask_b32_e32 v12, v12, v13, vcc
	v_lshlrev_b32_e32 v13, 24, v2
	v_mov_b32_e32 v14, 0x3b800000
	v_lshlrev_b32_e32 v11, 20, v11
	v_and_b32_e32 v13, 0x80000000, v13
	v_lshl_add_u32 v12, v12, 23, v14
	v_or3_b32 v11, v13, v12, v11
.LBB51_1416:
	s_or_b64 exec, exec, s[6:7]
	s_nop 0
	v_mfma_f32_16x16x4f32 a[0:3], v10, v11, a[0:3]
	v_lshrrev_b32_e32 v11, 8, v6
	s_movk_i32 s4, 0x7f
	v_cmp_gt_i16_sdwa s[6:7], v11, s4 src0_sel:BYTE_0 src1_sel:DWORD
	s_mov_b64 s[4:5], 0
                                        ; implicit-def: $sgpr10
	s_and_saveexec_b64 s[8:9], s[6:7]
	s_xor_b64 s[6:7], exec, s[8:9]
	s_cbranch_execnz .LBB51_3465
; %bb.1417:
	s_or_saveexec_b64 s[6:7], s[6:7]
	v_mov_b32_e32 v10, s10
	s_xor_b64 exec, exec, s[6:7]
	s_cbranch_execnz .LBB51_3468
.LBB51_1418:
	s_or_b64 exec, exec, s[6:7]
	s_and_saveexec_b64 s[6:7], s[4:5]
	s_cbranch_execz .LBB51_1420
.LBB51_1419:
	v_bfe_u32 v10, v6, 8, 3
	v_ffbh_u32_e32 v13, v10
	v_min_u32_e32 v13, 32, v13
	v_lshrrev_b16_e32 v12, 3, v11
	v_subrev_u32_e32 v14, 28, v13
	v_and_b32_e32 v12, 15, v12
	v_lshlrev_b32_e32 v11, v14, v11
	v_sub_u32_e32 v13, 29, v13
	v_and_b32_e32 v11, 7, v11
	v_cmp_eq_u16_e32 vcc, 0, v12
	v_cndmask_b32_e32 v10, v10, v11, vcc
	v_cndmask_b32_e32 v11, v12, v13, vcc
	v_lshlrev_b32_e32 v12, 16, v6
	v_mov_b32_e32 v13, 0x3b800000
	v_lshlrev_b32_e32 v10, 20, v10
	v_and_b32_e32 v12, 0x80000000, v12
	v_lshl_add_u32 v11, v11, 23, v13
	v_or3_b32 v10, v12, v11, v10
.LBB51_1420:
	s_or_b64 exec, exec, s[6:7]
	v_lshrrev_b32_e32 v11, 8, v2
	s_movk_i32 s4, 0x7f
	v_cmp_gt_i16_sdwa s[6:7], v11, s4 src0_sel:BYTE_0 src1_sel:DWORD
	s_mov_b64 s[4:5], 0
                                        ; implicit-def: $sgpr10
	s_and_saveexec_b64 s[8:9], s[6:7]
	s_xor_b64 s[6:7], exec, s[8:9]
	s_cbranch_execnz .LBB51_3469
; %bb.1421:
	s_or_saveexec_b64 s[6:7], s[6:7]
	v_mov_b32_e32 v12, s10
	s_xor_b64 exec, exec, s[6:7]
	s_cbranch_execnz .LBB51_3472
.LBB51_1422:
	s_or_b64 exec, exec, s[6:7]
	s_and_saveexec_b64 s[6:7], s[4:5]
	s_cbranch_execz .LBB51_1424
.LBB51_1423:
	v_bfe_u32 v12, v2, 8, 3
	v_ffbh_u32_e32 v14, v12
	v_min_u32_e32 v14, 32, v14
	v_lshrrev_b16_e32 v13, 3, v11
	v_subrev_u32_e32 v15, 28, v14
	v_and_b32_e32 v13, 15, v13
	v_lshlrev_b32_e32 v11, v15, v11
	v_sub_u32_e32 v14, 29, v14
	v_and_b32_e32 v11, 7, v11
	v_cmp_eq_u16_e32 vcc, 0, v13
	v_cndmask_b32_e32 v11, v12, v11, vcc
	v_cndmask_b32_e32 v12, v13, v14, vcc
	v_lshlrev_b32_e32 v13, 16, v2
	v_mov_b32_e32 v14, 0x3b800000
	v_lshlrev_b32_e32 v11, 20, v11
	v_and_b32_e32 v13, 0x80000000, v13
	v_lshl_add_u32 v12, v12, 23, v14
	v_or3_b32 v12, v13, v12, v11
.LBB51_1424:
	s_or_b64 exec, exec, s[6:7]
	s_nop 0
	v_mfma_f32_16x16x4f32 a[0:3], v10, v12, a[0:3]
	s_movk_i32 s4, 0xff
	v_and_b32_sdwa v11, v6, s4 dst_sel:DWORD dst_unused:UNUSED_PAD src0_sel:WORD_1 src1_sel:DWORD
	s_movk_i32 s4, 0x7f
	v_cmp_lt_i16_e32 vcc, s4, v11
	s_mov_b64 s[4:5], 0
                                        ; implicit-def: $sgpr10
	s_and_saveexec_b64 s[6:7], vcc
	s_xor_b64 s[6:7], exec, s[6:7]
	s_cbranch_execnz .LBB51_3473
; %bb.1425:
	s_or_saveexec_b64 s[6:7], s[6:7]
	v_mov_b32_e32 v10, s10
	s_xor_b64 exec, exec, s[6:7]
	s_cbranch_execnz .LBB51_3476
.LBB51_1426:
	s_or_b64 exec, exec, s[6:7]
	s_and_saveexec_b64 s[6:7], s[4:5]
	s_cbranch_execz .LBB51_1428
.LBB51_1427:
	v_bfe_u32 v10, v6, 16, 3
	v_ffbh_u32_e32 v13, v10
	v_min_u32_e32 v13, 32, v13
	v_lshrrev_b32_e32 v11, 19, v6
	v_subrev_u32_e32 v14, 28, v13
	v_and_b32_e32 v11, 15, v11
	v_lshlrev_b32_sdwa v14, v14, v6 dst_sel:DWORD dst_unused:UNUSED_PAD src0_sel:DWORD src1_sel:WORD_1
	v_bfe_u32 v12, v6, 19, 4
	v_sub_u32_e32 v13, 29, v13
	v_and_b32_e32 v14, 7, v14
	v_cmp_eq_u16_e32 vcc, 0, v11
	v_cndmask_b32_e32 v10, v10, v14, vcc
	v_cndmask_b32_e32 v11, v12, v13, vcc
	v_lshlrev_b32_e32 v12, 8, v6
	v_mov_b32_e32 v13, 0x3b800000
	v_lshlrev_b32_e32 v10, 20, v10
	v_and_b32_e32 v12, 0x80000000, v12
	v_lshl_add_u32 v11, v11, 23, v13
	v_or3_b32 v10, v12, v11, v10
.LBB51_1428:
	s_or_b64 exec, exec, s[6:7]
	s_movk_i32 s4, 0xff
	v_and_b32_sdwa v11, v2, s4 dst_sel:DWORD dst_unused:UNUSED_PAD src0_sel:WORD_1 src1_sel:DWORD
	s_movk_i32 s4, 0x7f
	v_cmp_lt_i16_e32 vcc, s4, v11
	s_mov_b64 s[4:5], 0
                                        ; implicit-def: $sgpr10
	s_and_saveexec_b64 s[6:7], vcc
	s_xor_b64 s[6:7], exec, s[6:7]
	s_cbranch_execnz .LBB51_3477
; %bb.1429:
	s_or_saveexec_b64 s[6:7], s[6:7]
	v_mov_b32_e32 v12, s10
	s_xor_b64 exec, exec, s[6:7]
	s_cbranch_execnz .LBB51_3480
.LBB51_1430:
	s_or_b64 exec, exec, s[6:7]
	s_and_saveexec_b64 s[6:7], s[4:5]
	s_cbranch_execz .LBB51_1432
.LBB51_1431:
	v_bfe_u32 v11, v2, 16, 3
	v_ffbh_u32_e32 v14, v11
	v_min_u32_e32 v14, 32, v14
	v_lshrrev_b32_e32 v12, 19, v2
	v_subrev_u32_e32 v15, 28, v14
	v_and_b32_e32 v12, 15, v12
	v_lshlrev_b32_sdwa v15, v15, v2 dst_sel:DWORD dst_unused:UNUSED_PAD src0_sel:DWORD src1_sel:WORD_1
	v_bfe_u32 v13, v2, 19, 4
	v_sub_u32_e32 v14, 29, v14
	v_and_b32_e32 v15, 7, v15
	v_cmp_eq_u16_e32 vcc, 0, v12
	v_cndmask_b32_e32 v11, v11, v15, vcc
	v_cndmask_b32_e32 v12, v13, v14, vcc
	v_lshlrev_b32_e32 v13, 8, v2
	v_mov_b32_e32 v14, 0x3b800000
	v_lshlrev_b32_e32 v11, 20, v11
	v_and_b32_e32 v13, 0x80000000, v13
	v_lshl_add_u32 v12, v12, 23, v14
	v_or3_b32 v12, v13, v12, v11
.LBB51_1432:
	s_or_b64 exec, exec, s[6:7]
	s_nop 0
	v_mfma_f32_16x16x4f32 a[0:3], v10, v12, a[0:3]
	s_movk_i32 s4, 0x7f
	v_cmp_gt_i16_sdwa s[6:7], v6, s4 src0_sel:BYTE_3 src1_sel:DWORD
	s_mov_b64 s[4:5], 0
                                        ; implicit-def: $sgpr10
	s_and_saveexec_b64 s[8:9], s[6:7]
	s_xor_b64 s[6:7], exec, s[8:9]
	s_cbranch_execnz .LBB51_3481
; %bb.1433:
	s_or_saveexec_b64 s[6:7], s[6:7]
	v_mov_b32_e32 v10, s10
	s_xor_b64 exec, exec, s[6:7]
	s_cbranch_execnz .LBB51_3484
.LBB51_1434:
	s_or_b64 exec, exec, s[6:7]
	s_and_saveexec_b64 s[6:7], s[4:5]
	s_cbranch_execz .LBB51_1436
.LBB51_1435:
	v_bfe_u32 v10, v6, 24, 3
	v_ffbh_u32_e32 v14, v10
	v_min_u32_e32 v14, 32, v14
	v_lshrrev_b32_e32 v12, 27, v6
	v_subrev_u32_e32 v15, 28, v14
	v_and_b32_e32 v11, 0x80000000, v6
	v_and_b32_e32 v12, 15, v12
	v_bfe_u32 v13, v6, 27, 4
	v_lshlrev_b32_sdwa v6, v15, v6 dst_sel:DWORD dst_unused:UNUSED_PAD src0_sel:DWORD src1_sel:BYTE_3
	v_sub_u32_e32 v14, 29, v14
	v_and_b32_e32 v6, 7, v6
	v_cmp_eq_u16_e32 vcc, 0, v12
	v_cndmask_b32_e32 v6, v10, v6, vcc
	v_cndmask_b32_e32 v10, v13, v14, vcc
	v_mov_b32_e32 v12, 0x3b800000
	v_lshlrev_b32_e32 v6, 20, v6
	v_lshl_add_u32 v10, v10, 23, v12
	v_or3_b32 v10, v11, v10, v6
.LBB51_1436:
	s_or_b64 exec, exec, s[6:7]
	s_movk_i32 s4, 0x7f
	v_cmp_gt_i16_sdwa s[6:7], v2, s4 src0_sel:BYTE_3 src1_sel:DWORD
	s_mov_b64 s[4:5], 0
                                        ; implicit-def: $sgpr10
	s_and_saveexec_b64 s[8:9], s[6:7]
	s_xor_b64 s[6:7], exec, s[8:9]
	s_cbranch_execnz .LBB51_3485
; %bb.1437:
	s_or_saveexec_b64 s[6:7], s[6:7]
	v_mov_b32_e32 v6, s10
	s_xor_b64 exec, exec, s[6:7]
	s_cbranch_execnz .LBB51_3488
.LBB51_1438:
	s_or_b64 exec, exec, s[6:7]
	s_and_saveexec_b64 s[6:7], s[4:5]
	s_cbranch_execz .LBB51_1440
.LBB51_1439:
	v_bfe_u32 v6, v2, 24, 3
	v_ffbh_u32_e32 v14, v6
	v_min_u32_e32 v14, 32, v14
	v_lshrrev_b32_e32 v12, 27, v2
	v_subrev_u32_e32 v15, 28, v14
	v_and_b32_e32 v11, 0x80000000, v2
	v_and_b32_e32 v12, 15, v12
	v_bfe_u32 v13, v2, 27, 4
	v_lshlrev_b32_sdwa v2, v15, v2 dst_sel:DWORD dst_unused:UNUSED_PAD src0_sel:DWORD src1_sel:BYTE_3
	v_sub_u32_e32 v14, 29, v14
	v_and_b32_e32 v2, 7, v2
	v_cmp_eq_u16_e32 vcc, 0, v12
	v_cndmask_b32_e32 v2, v6, v2, vcc
	v_cndmask_b32_e32 v6, v13, v14, vcc
	v_mov_b32_e32 v12, 0x3b800000
	v_lshlrev_b32_e32 v2, 20, v2
	v_lshl_add_u32 v6, v6, 23, v12
	v_or3_b32 v6, v11, v6, v2
.LBB51_1440:
	s_or_b64 exec, exec, s[6:7]
	s_nop 0
	v_mfma_f32_16x16x4f32 a[0:3], v10, v6, a[0:3]
	s_movk_i32 s4, 0x7f
	v_cmp_gt_i16_sdwa s[6:7], v7, s4 src0_sel:BYTE_0 src1_sel:DWORD
	s_mov_b64 s[4:5], 0
                                        ; implicit-def: $sgpr10
	s_and_saveexec_b64 s[8:9], s[6:7]
	s_xor_b64 s[6:7], exec, s[8:9]
	s_cbranch_execnz .LBB51_3489
; %bb.1441:
	s_or_saveexec_b64 s[6:7], s[6:7]
	v_mov_b32_e32 v2, s10
	s_xor_b64 exec, exec, s[6:7]
	s_cbranch_execnz .LBB51_3492
.LBB51_1442:
	s_or_b64 exec, exec, s[6:7]
	s_and_saveexec_b64 s[6:7], s[4:5]
	s_cbranch_execz .LBB51_1444
.LBB51_1443:
	v_and_b32_e32 v2, 7, v7
	v_ffbh_u32_e32 v10, v2
	v_min_u32_e32 v10, 32, v10
	v_lshrrev_b16_e32 v6, 3, v7
	v_subrev_u32_e32 v11, 28, v10
	v_and_b32_e32 v6, 15, v6
	v_lshlrev_b32_e32 v11, v11, v7
	v_sub_u32_e32 v10, 29, v10
	v_and_b32_e32 v11, 7, v11
	v_cmp_eq_u16_e32 vcc, 0, v6
	v_cndmask_b32_e32 v2, v2, v11, vcc
	v_cndmask_b32_e32 v6, v6, v10, vcc
	v_lshlrev_b32_e32 v10, 24, v7
	v_mov_b32_e32 v11, 0x3b800000
	v_lshlrev_b32_e32 v2, 20, v2
	v_and_b32_e32 v10, 0x80000000, v10
	v_lshl_add_u32 v6, v6, 23, v11
	v_or3_b32 v2, v10, v6, v2
.LBB51_1444:
	s_or_b64 exec, exec, s[6:7]
	s_movk_i32 s4, 0x7f
	v_cmp_gt_i16_sdwa s[6:7], v3, s4 src0_sel:BYTE_0 src1_sel:DWORD
	s_mov_b64 s[4:5], 0
                                        ; implicit-def: $sgpr10
	s_and_saveexec_b64 s[8:9], s[6:7]
	s_xor_b64 s[6:7], exec, s[8:9]
	s_cbranch_execnz .LBB51_3493
; %bb.1445:
	s_or_saveexec_b64 s[6:7], s[6:7]
	v_mov_b32_e32 v6, s10
	s_xor_b64 exec, exec, s[6:7]
	s_cbranch_execnz .LBB51_3496
.LBB51_1446:
	s_or_b64 exec, exec, s[6:7]
	s_and_saveexec_b64 s[6:7], s[4:5]
	s_cbranch_execz .LBB51_1448
.LBB51_1447:
	v_and_b32_e32 v6, 7, v3
	v_ffbh_u32_e32 v11, v6
	v_min_u32_e32 v11, 32, v11
	v_lshrrev_b16_e32 v10, 3, v3
	v_subrev_u32_e32 v12, 28, v11
	v_and_b32_e32 v10, 15, v10
	v_lshlrev_b32_e32 v12, v12, v3
	v_sub_u32_e32 v11, 29, v11
	v_and_b32_e32 v12, 7, v12
	v_cmp_eq_u16_e32 vcc, 0, v10
	v_cndmask_b32_e32 v6, v6, v12, vcc
	v_cndmask_b32_e32 v10, v10, v11, vcc
	v_lshlrev_b32_e32 v11, 24, v3
	v_mov_b32_e32 v12, 0x3b800000
	v_lshlrev_b32_e32 v6, 20, v6
	v_and_b32_e32 v11, 0x80000000, v11
	v_lshl_add_u32 v10, v10, 23, v12
	v_or3_b32 v6, v11, v10, v6
.LBB51_1448:
	s_or_b64 exec, exec, s[6:7]
	s_nop 0
	v_mfma_f32_16x16x4f32 a[0:3], v2, v6, a[0:3]
	v_lshrrev_b32_e32 v6, 8, v7
	s_movk_i32 s4, 0x7f
	v_cmp_gt_i16_sdwa s[6:7], v6, s4 src0_sel:BYTE_0 src1_sel:DWORD
	s_mov_b64 s[4:5], 0
                                        ; implicit-def: $sgpr10
	s_and_saveexec_b64 s[8:9], s[6:7]
	s_xor_b64 s[6:7], exec, s[8:9]
	s_cbranch_execnz .LBB51_3497
; %bb.1449:
	s_or_saveexec_b64 s[6:7], s[6:7]
	v_mov_b32_e32 v2, s10
	s_xor_b64 exec, exec, s[6:7]
	s_cbranch_execnz .LBB51_3500
.LBB51_1450:
	s_or_b64 exec, exec, s[6:7]
	s_and_saveexec_b64 s[6:7], s[4:5]
	s_cbranch_execz .LBB51_1452
.LBB51_1451:
	v_bfe_u32 v2, v7, 8, 3
	v_ffbh_u32_e32 v11, v2
	v_min_u32_e32 v11, 32, v11
	v_lshrrev_b16_e32 v10, 3, v6
	v_subrev_u32_e32 v12, 28, v11
	v_and_b32_e32 v10, 15, v10
	v_lshlrev_b32_e32 v6, v12, v6
	v_sub_u32_e32 v11, 29, v11
	v_and_b32_e32 v6, 7, v6
	v_cmp_eq_u16_e32 vcc, 0, v10
	v_cndmask_b32_e32 v2, v2, v6, vcc
	v_cndmask_b32_e32 v6, v10, v11, vcc
	v_lshlrev_b32_e32 v10, 16, v7
	v_mov_b32_e32 v11, 0x3b800000
	v_lshlrev_b32_e32 v2, 20, v2
	v_and_b32_e32 v10, 0x80000000, v10
	v_lshl_add_u32 v6, v6, 23, v11
	v_or3_b32 v2, v10, v6, v2
.LBB51_1452:
	s_or_b64 exec, exec, s[6:7]
	v_lshrrev_b32_e32 v6, 8, v3
	s_movk_i32 s4, 0x7f
	v_cmp_gt_i16_sdwa s[6:7], v6, s4 src0_sel:BYTE_0 src1_sel:DWORD
	s_mov_b64 s[4:5], 0
                                        ; implicit-def: $sgpr10
	s_and_saveexec_b64 s[8:9], s[6:7]
	s_xor_b64 s[6:7], exec, s[8:9]
	s_cbranch_execnz .LBB51_3501
; %bb.1453:
	s_or_saveexec_b64 s[6:7], s[6:7]
	v_mov_b32_e32 v10, s10
	s_xor_b64 exec, exec, s[6:7]
	s_cbranch_execnz .LBB51_3504
.LBB51_1454:
	s_or_b64 exec, exec, s[6:7]
	s_and_saveexec_b64 s[6:7], s[4:5]
	s_cbranch_execz .LBB51_1456
.LBB51_1455:
	v_bfe_u32 v10, v3, 8, 3
	v_ffbh_u32_e32 v12, v10
	v_min_u32_e32 v12, 32, v12
	v_lshrrev_b16_e32 v11, 3, v6
	v_subrev_u32_e32 v13, 28, v12
	v_and_b32_e32 v11, 15, v11
	v_lshlrev_b32_e32 v6, v13, v6
	v_sub_u32_e32 v12, 29, v12
	v_and_b32_e32 v6, 7, v6
	v_cmp_eq_u16_e32 vcc, 0, v11
	v_cndmask_b32_e32 v6, v10, v6, vcc
	v_cndmask_b32_e32 v10, v11, v12, vcc
	v_lshlrev_b32_e32 v11, 16, v3
	v_mov_b32_e32 v12, 0x3b800000
	v_lshlrev_b32_e32 v6, 20, v6
	v_and_b32_e32 v11, 0x80000000, v11
	v_lshl_add_u32 v10, v10, 23, v12
	v_or3_b32 v10, v11, v10, v6
.LBB51_1456:
	s_or_b64 exec, exec, s[6:7]
	s_nop 0
	v_mfma_f32_16x16x4f32 a[0:3], v2, v10, a[0:3]
	s_movk_i32 s4, 0xff
	v_and_b32_sdwa v6, v7, s4 dst_sel:DWORD dst_unused:UNUSED_PAD src0_sel:WORD_1 src1_sel:DWORD
	s_movk_i32 s4, 0x7f
	v_cmp_lt_i16_e32 vcc, s4, v6
	s_mov_b64 s[4:5], 0
                                        ; implicit-def: $sgpr10
	s_and_saveexec_b64 s[6:7], vcc
	s_xor_b64 s[6:7], exec, s[6:7]
	s_cbranch_execnz .LBB51_3505
; %bb.1457:
	s_or_saveexec_b64 s[6:7], s[6:7]
	v_mov_b32_e32 v2, s10
	s_xor_b64 exec, exec, s[6:7]
	s_cbranch_execnz .LBB51_3508
.LBB51_1458:
	s_or_b64 exec, exec, s[6:7]
	s_and_saveexec_b64 s[6:7], s[4:5]
	s_cbranch_execz .LBB51_1460
.LBB51_1459:
	v_bfe_u32 v2, v7, 16, 3
	v_ffbh_u32_e32 v11, v2
	v_min_u32_e32 v11, 32, v11
	v_lshrrev_b32_e32 v6, 19, v7
	v_subrev_u32_e32 v12, 28, v11
	v_and_b32_e32 v6, 15, v6
	v_lshlrev_b32_sdwa v12, v12, v7 dst_sel:DWORD dst_unused:UNUSED_PAD src0_sel:DWORD src1_sel:WORD_1
	v_bfe_u32 v10, v7, 19, 4
	v_sub_u32_e32 v11, 29, v11
	v_and_b32_e32 v12, 7, v12
	v_cmp_eq_u16_e32 vcc, 0, v6
	v_cndmask_b32_e32 v2, v2, v12, vcc
	v_cndmask_b32_e32 v6, v10, v11, vcc
	v_lshlrev_b32_e32 v10, 8, v7
	v_mov_b32_e32 v11, 0x3b800000
	v_lshlrev_b32_e32 v2, 20, v2
	v_and_b32_e32 v10, 0x80000000, v10
	v_lshl_add_u32 v6, v6, 23, v11
	v_or3_b32 v2, v10, v6, v2
.LBB51_1460:
	s_or_b64 exec, exec, s[6:7]
	s_movk_i32 s4, 0xff
	v_and_b32_sdwa v6, v3, s4 dst_sel:DWORD dst_unused:UNUSED_PAD src0_sel:WORD_1 src1_sel:DWORD
	s_movk_i32 s4, 0x7f
	v_cmp_lt_i16_e32 vcc, s4, v6
	s_mov_b64 s[4:5], 0
                                        ; implicit-def: $sgpr10
	s_and_saveexec_b64 s[6:7], vcc
	s_xor_b64 s[6:7], exec, s[6:7]
	s_cbranch_execnz .LBB51_3509
; %bb.1461:
	s_or_saveexec_b64 s[6:7], s[6:7]
	v_mov_b32_e32 v10, s10
	s_xor_b64 exec, exec, s[6:7]
	s_cbranch_execnz .LBB51_3512
.LBB51_1462:
	s_or_b64 exec, exec, s[6:7]
	s_and_saveexec_b64 s[6:7], s[4:5]
	s_cbranch_execz .LBB51_1464
.LBB51_1463:
	v_bfe_u32 v6, v3, 16, 3
	v_ffbh_u32_e32 v12, v6
	v_min_u32_e32 v12, 32, v12
	v_lshrrev_b32_e32 v10, 19, v3
	v_subrev_u32_e32 v13, 28, v12
	v_and_b32_e32 v10, 15, v10
	v_lshlrev_b32_sdwa v13, v13, v3 dst_sel:DWORD dst_unused:UNUSED_PAD src0_sel:DWORD src1_sel:WORD_1
	v_bfe_u32 v11, v3, 19, 4
	v_sub_u32_e32 v12, 29, v12
	v_and_b32_e32 v13, 7, v13
	v_cmp_eq_u16_e32 vcc, 0, v10
	v_cndmask_b32_e32 v6, v6, v13, vcc
	v_cndmask_b32_e32 v10, v11, v12, vcc
	v_lshlrev_b32_e32 v11, 8, v3
	v_mov_b32_e32 v12, 0x3b800000
	v_lshlrev_b32_e32 v6, 20, v6
	v_and_b32_e32 v11, 0x80000000, v11
	v_lshl_add_u32 v10, v10, 23, v12
	v_or3_b32 v10, v11, v10, v6
.LBB51_1464:
	s_or_b64 exec, exec, s[6:7]
	s_nop 0
	v_mfma_f32_16x16x4f32 a[0:3], v2, v10, a[0:3]
	s_movk_i32 s4, 0x7f
	v_cmp_gt_i16_sdwa s[6:7], v7, s4 src0_sel:BYTE_3 src1_sel:DWORD
	s_mov_b64 s[4:5], 0
                                        ; implicit-def: $sgpr10
	s_and_saveexec_b64 s[8:9], s[6:7]
	s_xor_b64 s[6:7], exec, s[8:9]
	s_cbranch_execnz .LBB51_3513
; %bb.1465:
	s_or_saveexec_b64 s[6:7], s[6:7]
	v_mov_b32_e32 v2, s10
	s_xor_b64 exec, exec, s[6:7]
	s_cbranch_execnz .LBB51_3516
.LBB51_1466:
	s_or_b64 exec, exec, s[6:7]
	s_and_saveexec_b64 s[6:7], s[4:5]
	s_cbranch_execz .LBB51_1468
.LBB51_1467:
	v_bfe_u32 v2, v7, 24, 3
	v_ffbh_u32_e32 v12, v2
	v_min_u32_e32 v12, 32, v12
	v_lshrrev_b32_e32 v10, 27, v7
	v_subrev_u32_e32 v13, 28, v12
	v_and_b32_e32 v6, 0x80000000, v7
	v_and_b32_e32 v10, 15, v10
	v_bfe_u32 v11, v7, 27, 4
	v_lshlrev_b32_sdwa v7, v13, v7 dst_sel:DWORD dst_unused:UNUSED_PAD src0_sel:DWORD src1_sel:BYTE_3
	v_sub_u32_e32 v12, 29, v12
	v_and_b32_e32 v7, 7, v7
	v_cmp_eq_u16_e32 vcc, 0, v10
	v_cndmask_b32_e32 v2, v2, v7, vcc
	v_cndmask_b32_e32 v7, v11, v12, vcc
	v_mov_b32_e32 v10, 0x3b800000
	v_lshlrev_b32_e32 v2, 20, v2
	v_lshl_add_u32 v7, v7, 23, v10
	v_or3_b32 v2, v6, v7, v2
.LBB51_1468:
	s_or_b64 exec, exec, s[6:7]
	s_movk_i32 s4, 0x7f
	v_cmp_gt_i16_sdwa s[6:7], v3, s4 src0_sel:BYTE_3 src1_sel:DWORD
	s_mov_b64 s[4:5], 0
                                        ; implicit-def: $sgpr10
	s_and_saveexec_b64 s[8:9], s[6:7]
	s_xor_b64 s[6:7], exec, s[8:9]
	s_cbranch_execnz .LBB51_3517
; %bb.1469:
	s_or_saveexec_b64 s[6:7], s[6:7]
	v_mov_b32_e32 v6, s10
	s_xor_b64 exec, exec, s[6:7]
	s_cbranch_execnz .LBB51_3520
.LBB51_1470:
	s_or_b64 exec, exec, s[6:7]
	s_and_saveexec_b64 s[6:7], s[4:5]
	s_cbranch_execz .LBB51_1472
.LBB51_1471:
	v_bfe_u32 v6, v3, 24, 3
	v_ffbh_u32_e32 v12, v6
	v_min_u32_e32 v12, 32, v12
	v_lshrrev_b32_e32 v10, 27, v3
	v_subrev_u32_e32 v13, 28, v12
	v_and_b32_e32 v7, 0x80000000, v3
	v_and_b32_e32 v10, 15, v10
	v_bfe_u32 v11, v3, 27, 4
	v_lshlrev_b32_sdwa v3, v13, v3 dst_sel:DWORD dst_unused:UNUSED_PAD src0_sel:DWORD src1_sel:BYTE_3
	v_sub_u32_e32 v12, 29, v12
	v_and_b32_e32 v3, 7, v3
	v_cmp_eq_u16_e32 vcc, 0, v10
	v_cndmask_b32_e32 v3, v6, v3, vcc
	v_cndmask_b32_e32 v6, v11, v12, vcc
	v_mov_b32_e32 v10, 0x3b800000
	v_lshlrev_b32_e32 v3, 20, v3
	v_lshl_add_u32 v6, v6, 23, v10
	v_or3_b32 v6, v7, v6, v3
.LBB51_1472:
	s_or_b64 exec, exec, s[6:7]
	s_nop 0
	v_mfma_f32_16x16x4f32 a[0:3], v2, v6, a[0:3]
	s_movk_i32 s4, 0x7f
	v_cmp_gt_i16_sdwa s[6:7], v8, s4 src0_sel:BYTE_0 src1_sel:DWORD
	s_mov_b64 s[4:5], 0
                                        ; implicit-def: $sgpr10
	s_and_saveexec_b64 s[8:9], s[6:7]
	s_xor_b64 s[6:7], exec, s[8:9]
	s_cbranch_execnz .LBB51_3521
; %bb.1473:
	s_or_saveexec_b64 s[6:7], s[6:7]
	v_mov_b32_e32 v2, s10
	s_xor_b64 exec, exec, s[6:7]
	s_cbranch_execnz .LBB51_3524
.LBB51_1474:
	s_or_b64 exec, exec, s[6:7]
	s_and_saveexec_b64 s[6:7], s[4:5]
	s_cbranch_execz .LBB51_1476
.LBB51_1475:
	v_and_b32_e32 v2, 7, v8
	v_ffbh_u32_e32 v6, v2
	v_min_u32_e32 v6, 32, v6
	v_lshrrev_b16_e32 v3, 3, v8
	v_subrev_u32_e32 v7, 28, v6
	v_and_b32_e32 v3, 15, v3
	v_lshlrev_b32_e32 v7, v7, v8
	v_sub_u32_e32 v6, 29, v6
	v_and_b32_e32 v7, 7, v7
	v_cmp_eq_u16_e32 vcc, 0, v3
	v_cndmask_b32_e32 v2, v2, v7, vcc
	v_cndmask_b32_e32 v3, v3, v6, vcc
	v_lshlrev_b32_e32 v6, 24, v8
	v_mov_b32_e32 v7, 0x3b800000
	v_lshlrev_b32_e32 v2, 20, v2
	v_and_b32_e32 v6, 0x80000000, v6
	v_lshl_add_u32 v3, v3, 23, v7
	v_or3_b32 v2, v6, v3, v2
.LBB51_1476:
	s_or_b64 exec, exec, s[6:7]
	s_movk_i32 s4, 0x7f
	v_cmp_gt_i16_sdwa s[6:7], v4, s4 src0_sel:BYTE_0 src1_sel:DWORD
	s_mov_b64 s[4:5], 0
                                        ; implicit-def: $sgpr10
	s_and_saveexec_b64 s[8:9], s[6:7]
	s_xor_b64 s[6:7], exec, s[8:9]
	s_cbranch_execnz .LBB51_3525
; %bb.1477:
	s_or_saveexec_b64 s[6:7], s[6:7]
	v_mov_b32_e32 v3, s10
	s_xor_b64 exec, exec, s[6:7]
	s_cbranch_execnz .LBB51_3528
.LBB51_1478:
	s_or_b64 exec, exec, s[6:7]
	s_and_saveexec_b64 s[6:7], s[4:5]
	s_cbranch_execz .LBB51_1480
.LBB51_1479:
	v_and_b32_e32 v3, 7, v4
	v_ffbh_u32_e32 v7, v3
	v_min_u32_e32 v7, 32, v7
	v_lshrrev_b16_e32 v6, 3, v4
	v_subrev_u32_e32 v10, 28, v7
	v_and_b32_e32 v6, 15, v6
	v_lshlrev_b32_e32 v10, v10, v4
	v_sub_u32_e32 v7, 29, v7
	v_and_b32_e32 v10, 7, v10
	v_cmp_eq_u16_e32 vcc, 0, v6
	v_cndmask_b32_e32 v3, v3, v10, vcc
	v_cndmask_b32_e32 v6, v6, v7, vcc
	v_lshlrev_b32_e32 v7, 24, v4
	v_mov_b32_e32 v10, 0x3b800000
	v_lshlrev_b32_e32 v3, 20, v3
	v_and_b32_e32 v7, 0x80000000, v7
	v_lshl_add_u32 v6, v6, 23, v10
	v_or3_b32 v3, v7, v6, v3
.LBB51_1480:
	s_or_b64 exec, exec, s[6:7]
	s_nop 0
	v_mfma_f32_16x16x4f32 a[0:3], v2, v3, a[0:3]
	v_lshrrev_b32_e32 v3, 8, v8
	s_movk_i32 s4, 0x7f
	v_cmp_gt_i16_sdwa s[6:7], v3, s4 src0_sel:BYTE_0 src1_sel:DWORD
	s_mov_b64 s[4:5], 0
                                        ; implicit-def: $sgpr10
	s_and_saveexec_b64 s[8:9], s[6:7]
	s_xor_b64 s[6:7], exec, s[8:9]
	s_cbranch_execnz .LBB51_3529
; %bb.1481:
	s_or_saveexec_b64 s[6:7], s[6:7]
	v_mov_b32_e32 v2, s10
	s_xor_b64 exec, exec, s[6:7]
	s_cbranch_execnz .LBB51_3532
.LBB51_1482:
	s_or_b64 exec, exec, s[6:7]
	s_and_saveexec_b64 s[6:7], s[4:5]
	s_cbranch_execz .LBB51_1484
.LBB51_1483:
	v_bfe_u32 v2, v8, 8, 3
	v_ffbh_u32_e32 v7, v2
	v_min_u32_e32 v7, 32, v7
	v_lshrrev_b16_e32 v6, 3, v3
	v_subrev_u32_e32 v10, 28, v7
	v_and_b32_e32 v6, 15, v6
	v_lshlrev_b32_e32 v3, v10, v3
	v_sub_u32_e32 v7, 29, v7
	v_and_b32_e32 v3, 7, v3
	v_cmp_eq_u16_e32 vcc, 0, v6
	v_cndmask_b32_e32 v2, v2, v3, vcc
	v_cndmask_b32_e32 v3, v6, v7, vcc
	v_lshlrev_b32_e32 v6, 16, v8
	v_mov_b32_e32 v7, 0x3b800000
	v_lshlrev_b32_e32 v2, 20, v2
	v_and_b32_e32 v6, 0x80000000, v6
	v_lshl_add_u32 v3, v3, 23, v7
	v_or3_b32 v2, v6, v3, v2
.LBB51_1484:
	s_or_b64 exec, exec, s[6:7]
	v_lshrrev_b32_e32 v3, 8, v4
	s_movk_i32 s4, 0x7f
	v_cmp_gt_i16_sdwa s[6:7], v3, s4 src0_sel:BYTE_0 src1_sel:DWORD
	s_mov_b64 s[4:5], 0
                                        ; implicit-def: $sgpr10
	s_and_saveexec_b64 s[8:9], s[6:7]
	s_xor_b64 s[6:7], exec, s[8:9]
	s_cbranch_execnz .LBB51_3533
; %bb.1485:
	s_or_saveexec_b64 s[6:7], s[6:7]
	v_mov_b32_e32 v6, s10
	s_xor_b64 exec, exec, s[6:7]
	s_cbranch_execnz .LBB51_3536
.LBB51_1486:
	s_or_b64 exec, exec, s[6:7]
	s_and_saveexec_b64 s[6:7], s[4:5]
	s_cbranch_execz .LBB51_1488
.LBB51_1487:
	v_bfe_u32 v6, v4, 8, 3
	v_ffbh_u32_e32 v10, v6
	v_min_u32_e32 v10, 32, v10
	v_lshrrev_b16_e32 v7, 3, v3
	v_subrev_u32_e32 v11, 28, v10
	v_and_b32_e32 v7, 15, v7
	v_lshlrev_b32_e32 v3, v11, v3
	v_sub_u32_e32 v10, 29, v10
	v_and_b32_e32 v3, 7, v3
	v_cmp_eq_u16_e32 vcc, 0, v7
	v_cndmask_b32_e32 v3, v6, v3, vcc
	v_cndmask_b32_e32 v6, v7, v10, vcc
	v_lshlrev_b32_e32 v7, 16, v4
	v_mov_b32_e32 v10, 0x3b800000
	v_lshlrev_b32_e32 v3, 20, v3
	v_and_b32_e32 v7, 0x80000000, v7
	v_lshl_add_u32 v6, v6, 23, v10
	v_or3_b32 v6, v7, v6, v3
.LBB51_1488:
	s_or_b64 exec, exec, s[6:7]
	s_nop 0
	v_mfma_f32_16x16x4f32 a[0:3], v2, v6, a[0:3]
	s_movk_i32 s4, 0xff
	v_and_b32_sdwa v3, v8, s4 dst_sel:DWORD dst_unused:UNUSED_PAD src0_sel:WORD_1 src1_sel:DWORD
	s_movk_i32 s4, 0x7f
	v_cmp_lt_i16_e32 vcc, s4, v3
	s_mov_b64 s[4:5], 0
                                        ; implicit-def: $sgpr10
	s_and_saveexec_b64 s[6:7], vcc
	s_xor_b64 s[6:7], exec, s[6:7]
	s_cbranch_execnz .LBB51_3537
; %bb.1489:
	s_or_saveexec_b64 s[6:7], s[6:7]
	v_mov_b32_e32 v2, s10
	s_xor_b64 exec, exec, s[6:7]
	s_cbranch_execnz .LBB51_3540
.LBB51_1490:
	s_or_b64 exec, exec, s[6:7]
	s_and_saveexec_b64 s[6:7], s[4:5]
	s_cbranch_execz .LBB51_1492
.LBB51_1491:
	v_bfe_u32 v2, v8, 16, 3
	v_ffbh_u32_e32 v7, v2
	v_min_u32_e32 v7, 32, v7
	v_lshrrev_b32_e32 v3, 19, v8
	v_subrev_u32_e32 v10, 28, v7
	v_and_b32_e32 v3, 15, v3
	v_lshlrev_b32_sdwa v10, v10, v8 dst_sel:DWORD dst_unused:UNUSED_PAD src0_sel:DWORD src1_sel:WORD_1
	v_bfe_u32 v6, v8, 19, 4
	v_sub_u32_e32 v7, 29, v7
	v_and_b32_e32 v10, 7, v10
	v_cmp_eq_u16_e32 vcc, 0, v3
	v_cndmask_b32_e32 v2, v2, v10, vcc
	v_cndmask_b32_e32 v3, v6, v7, vcc
	v_lshlrev_b32_e32 v6, 8, v8
	v_mov_b32_e32 v7, 0x3b800000
	v_lshlrev_b32_e32 v2, 20, v2
	v_and_b32_e32 v6, 0x80000000, v6
	v_lshl_add_u32 v3, v3, 23, v7
	v_or3_b32 v2, v6, v3, v2
.LBB51_1492:
	s_or_b64 exec, exec, s[6:7]
	s_movk_i32 s4, 0xff
	v_and_b32_sdwa v3, v4, s4 dst_sel:DWORD dst_unused:UNUSED_PAD src0_sel:WORD_1 src1_sel:DWORD
	s_movk_i32 s4, 0x7f
	v_cmp_lt_i16_e32 vcc, s4, v3
	s_mov_b64 s[4:5], 0
                                        ; implicit-def: $sgpr10
	s_and_saveexec_b64 s[6:7], vcc
	s_xor_b64 s[6:7], exec, s[6:7]
	s_cbranch_execnz .LBB51_3541
; %bb.1493:
	s_or_saveexec_b64 s[6:7], s[6:7]
	v_mov_b32_e32 v6, s10
	s_xor_b64 exec, exec, s[6:7]
	s_cbranch_execnz .LBB51_3544
.LBB51_1494:
	s_or_b64 exec, exec, s[6:7]
	s_and_saveexec_b64 s[6:7], s[4:5]
	s_cbranch_execz .LBB51_1496
.LBB51_1495:
	v_bfe_u32 v3, v4, 16, 3
	v_ffbh_u32_e32 v10, v3
	v_min_u32_e32 v10, 32, v10
	v_lshrrev_b32_e32 v6, 19, v4
	v_subrev_u32_e32 v11, 28, v10
	v_and_b32_e32 v6, 15, v6
	v_lshlrev_b32_sdwa v11, v11, v4 dst_sel:DWORD dst_unused:UNUSED_PAD src0_sel:DWORD src1_sel:WORD_1
	v_bfe_u32 v7, v4, 19, 4
	v_sub_u32_e32 v10, 29, v10
	v_and_b32_e32 v11, 7, v11
	v_cmp_eq_u16_e32 vcc, 0, v6
	v_cndmask_b32_e32 v3, v3, v11, vcc
	v_cndmask_b32_e32 v6, v7, v10, vcc
	v_lshlrev_b32_e32 v7, 8, v4
	v_mov_b32_e32 v10, 0x3b800000
	v_lshlrev_b32_e32 v3, 20, v3
	v_and_b32_e32 v7, 0x80000000, v7
	v_lshl_add_u32 v6, v6, 23, v10
	v_or3_b32 v6, v7, v6, v3
.LBB51_1496:
	s_or_b64 exec, exec, s[6:7]
	s_nop 0
	v_mfma_f32_16x16x4f32 a[0:3], v2, v6, a[0:3]
	s_movk_i32 s4, 0x7f
	v_cmp_gt_i16_sdwa s[6:7], v8, s4 src0_sel:BYTE_3 src1_sel:DWORD
	s_mov_b64 s[4:5], 0
                                        ; implicit-def: $sgpr10
	s_and_saveexec_b64 s[8:9], s[6:7]
	s_xor_b64 s[6:7], exec, s[8:9]
	s_cbranch_execnz .LBB51_3545
; %bb.1497:
	s_or_saveexec_b64 s[6:7], s[6:7]
	v_mov_b32_e32 v2, s10
	s_xor_b64 exec, exec, s[6:7]
	s_cbranch_execnz .LBB51_3548
.LBB51_1498:
	s_or_b64 exec, exec, s[6:7]
	s_and_saveexec_b64 s[6:7], s[4:5]
	s_cbranch_execz .LBB51_1500
.LBB51_1499:
	v_bfe_u32 v2, v8, 24, 3
	v_ffbh_u32_e32 v10, v2
	v_min_u32_e32 v10, 32, v10
	v_lshrrev_b32_e32 v6, 27, v8
	v_subrev_u32_e32 v11, 28, v10
	v_and_b32_e32 v3, 0x80000000, v8
	v_and_b32_e32 v6, 15, v6
	v_bfe_u32 v7, v8, 27, 4
	v_lshlrev_b32_sdwa v8, v11, v8 dst_sel:DWORD dst_unused:UNUSED_PAD src0_sel:DWORD src1_sel:BYTE_3
	v_sub_u32_e32 v10, 29, v10
	v_and_b32_e32 v8, 7, v8
	v_cmp_eq_u16_e32 vcc, 0, v6
	v_cndmask_b32_e32 v2, v2, v8, vcc
	v_cndmask_b32_e32 v6, v7, v10, vcc
	v_mov_b32_e32 v7, 0x3b800000
	v_lshlrev_b32_e32 v2, 20, v2
	v_lshl_add_u32 v6, v6, 23, v7
	v_or3_b32 v2, v3, v6, v2
.LBB51_1500:
	s_or_b64 exec, exec, s[6:7]
	s_movk_i32 s4, 0x7f
	v_cmp_gt_i16_sdwa s[6:7], v4, s4 src0_sel:BYTE_3 src1_sel:DWORD
	s_mov_b64 s[4:5], 0
                                        ; implicit-def: $sgpr10
	s_and_saveexec_b64 s[8:9], s[6:7]
	s_xor_b64 s[6:7], exec, s[8:9]
	s_cbranch_execnz .LBB51_3549
; %bb.1501:
	s_or_saveexec_b64 s[6:7], s[6:7]
	v_mov_b32_e32 v3, s10
	s_xor_b64 exec, exec, s[6:7]
	s_cbranch_execnz .LBB51_3552
.LBB51_1502:
	s_or_b64 exec, exec, s[6:7]
	s_and_saveexec_b64 s[6:7], s[4:5]
	s_cbranch_execz .LBB51_1504
.LBB51_1503:
	v_bfe_u32 v3, v4, 24, 3
	v_ffbh_u32_e32 v10, v3
	v_min_u32_e32 v10, 32, v10
	v_lshrrev_b32_e32 v7, 27, v4
	v_subrev_u32_e32 v11, 28, v10
	v_and_b32_e32 v6, 0x80000000, v4
	v_and_b32_e32 v7, 15, v7
	v_bfe_u32 v8, v4, 27, 4
	v_lshlrev_b32_sdwa v4, v11, v4 dst_sel:DWORD dst_unused:UNUSED_PAD src0_sel:DWORD src1_sel:BYTE_3
	v_sub_u32_e32 v10, 29, v10
	v_and_b32_e32 v4, 7, v4
	v_cmp_eq_u16_e32 vcc, 0, v7
	v_cndmask_b32_e32 v3, v3, v4, vcc
	v_cndmask_b32_e32 v4, v8, v10, vcc
	v_mov_b32_e32 v7, 0x3b800000
	v_lshlrev_b32_e32 v3, 20, v3
	v_lshl_add_u32 v4, v4, 23, v7
	v_or3_b32 v3, v6, v4, v3
.LBB51_1504:
	s_or_b64 exec, exec, s[6:7]
	s_nop 0
	v_mfma_f32_16x16x4f32 a[0:3], v2, v3, a[0:3]
	s_movk_i32 s4, 0x7f
	v_cmp_gt_i16_sdwa s[6:7], v9, s4 src0_sel:BYTE_0 src1_sel:DWORD
	s_mov_b64 s[4:5], 0
                                        ; implicit-def: $sgpr10
	s_and_saveexec_b64 s[8:9], s[6:7]
	s_xor_b64 s[6:7], exec, s[8:9]
	s_cbranch_execnz .LBB51_3553
; %bb.1505:
	s_or_saveexec_b64 s[6:7], s[6:7]
	v_mov_b32_e32 v2, s10
	s_xor_b64 exec, exec, s[6:7]
	s_cbranch_execnz .LBB51_3556
.LBB51_1506:
	s_or_b64 exec, exec, s[6:7]
	s_and_saveexec_b64 s[6:7], s[4:5]
	s_cbranch_execz .LBB51_1508
.LBB51_1507:
	v_mov_b32_e32 v2, 8
	v_and_b32_e32 v3, 7, v9
	v_lshrrev_b32_sdwa v2, v2, v9 dst_sel:BYTE_1 dst_unused:UNUSED_PAD src0_sel:DWORD src1_sel:DWORD
	v_ffbh_u32_e32 v4, v3
	v_or_b32_sdwa v2, v9, v2 dst_sel:DWORD dst_unused:UNUSED_PAD src0_sel:BYTE_0 src1_sel:DWORD
	v_min_u32_e32 v4, 32, v4
	v_lshrrev_b16_e32 v2, 3, v2
	v_subrev_u32_e32 v6, 28, v4
	v_and_b32_e32 v2, 15, v2
	v_lshlrev_b32_e32 v6, v6, v9
	v_sub_u32_e32 v4, 29, v4
	v_and_b32_e32 v6, 7, v6
	v_cmp_eq_u16_e32 vcc, 0, v2
	v_cndmask_b32_e32 v3, v3, v6, vcc
	v_cndmask_b32_e32 v2, v2, v4, vcc
	v_lshlrev_b32_e32 v4, 24, v9
	v_mov_b32_e32 v6, 0x3b800000
	v_lshlrev_b32_e32 v3, 20, v3
	v_and_b32_e32 v4, 0x80000000, v4
	v_lshl_add_u32 v2, v2, 23, v6
	v_or3_b32 v2, v4, v2, v3
.LBB51_1508:
	s_or_b64 exec, exec, s[6:7]
	s_movk_i32 s4, 0x7f
	v_cmp_gt_i16_sdwa s[6:7], v5, s4 src0_sel:BYTE_0 src1_sel:DWORD
	s_mov_b64 s[4:5], 0
                                        ; implicit-def: $sgpr10
	s_and_saveexec_b64 s[8:9], s[6:7]
	s_xor_b64 s[6:7], exec, s[8:9]
	s_cbranch_execnz .LBB51_3557
; %bb.1509:
	s_or_saveexec_b64 s[6:7], s[6:7]
	v_mov_b32_e32 v3, s10
	s_xor_b64 exec, exec, s[6:7]
	s_cbranch_execnz .LBB51_3560
.LBB51_1510:
	s_or_b64 exec, exec, s[6:7]
	s_and_saveexec_b64 s[6:7], s[4:5]
	s_cbranch_execz .LBB51_1512
.LBB51_1511:
	v_mov_b32_e32 v3, 8
	v_and_b32_e32 v4, 7, v5
	v_lshrrev_b32_sdwa v3, v3, v5 dst_sel:BYTE_1 dst_unused:UNUSED_PAD src0_sel:DWORD src1_sel:DWORD
	v_ffbh_u32_e32 v6, v4
	v_or_b32_sdwa v3, v5, v3 dst_sel:DWORD dst_unused:UNUSED_PAD src0_sel:BYTE_0 src1_sel:DWORD
	v_min_u32_e32 v6, 32, v6
	v_lshrrev_b16_e32 v3, 3, v3
	v_subrev_u32_e32 v7, 28, v6
	v_and_b32_e32 v3, 15, v3
	v_lshlrev_b32_e32 v7, v7, v5
	v_sub_u32_e32 v6, 29, v6
	v_and_b32_e32 v7, 7, v7
	v_cmp_eq_u16_e32 vcc, 0, v3
	v_cndmask_b32_e32 v4, v4, v7, vcc
	v_cndmask_b32_e32 v3, v3, v6, vcc
	v_lshlrev_b32_e32 v6, 24, v5
	v_mov_b32_e32 v7, 0x3b800000
	v_lshlrev_b32_e32 v4, 20, v4
	v_and_b32_e32 v6, 0x80000000, v6
	v_lshl_add_u32 v3, v3, 23, v7
	v_or3_b32 v3, v6, v3, v4
.LBB51_1512:
	s_or_b64 exec, exec, s[6:7]
	s_nop 0
	v_mfma_f32_16x16x4f32 a[0:3], v2, v3, a[0:3]
	v_lshrrev_b32_e32 v3, 8, v9
	s_movk_i32 s4, 0x7f
	v_cmp_gt_i16_sdwa s[6:7], v3, s4 src0_sel:BYTE_0 src1_sel:DWORD
	s_mov_b64 s[4:5], 0
                                        ; implicit-def: $sgpr10
	s_and_saveexec_b64 s[8:9], s[6:7]
	s_xor_b64 s[6:7], exec, s[8:9]
	s_cbranch_execnz .LBB51_3561
; %bb.1513:
	s_or_saveexec_b64 s[6:7], s[6:7]
	v_mov_b32_e32 v2, s10
	s_xor_b64 exec, exec, s[6:7]
	s_cbranch_execnz .LBB51_3564
.LBB51_1514:
	s_or_b64 exec, exec, s[6:7]
	s_and_saveexec_b64 s[6:7], s[4:5]
	s_cbranch_execz .LBB51_1516
.LBB51_1515:
	v_bfe_u32 v2, v9, 8, 3
	v_ffbh_u32_e32 v6, v2
	v_min_u32_e32 v6, 32, v6
	v_lshrrev_b16_e32 v4, 3, v3
	v_subrev_u32_e32 v7, 28, v6
	v_and_b32_e32 v4, 15, v4
	v_lshlrev_b32_e32 v3, v7, v3
	v_sub_u32_e32 v6, 29, v6
	v_and_b32_e32 v3, 7, v3
	v_cmp_eq_u16_e32 vcc, 0, v4
	v_cndmask_b32_e32 v2, v2, v3, vcc
	v_cndmask_b32_e32 v3, v4, v6, vcc
	v_lshlrev_b32_e32 v4, 16, v9
	v_mov_b32_e32 v6, 0x3b800000
	v_lshlrev_b32_e32 v2, 20, v2
	v_and_b32_e32 v4, 0x80000000, v4
	v_lshl_add_u32 v3, v3, 23, v6
	v_or3_b32 v2, v4, v3, v2
.LBB51_1516:
	s_or_b64 exec, exec, s[6:7]
	v_lshrrev_b32_e32 v3, 8, v5
	s_movk_i32 s4, 0x7f
	v_cmp_gt_i16_sdwa s[6:7], v3, s4 src0_sel:BYTE_0 src1_sel:DWORD
	s_mov_b64 s[4:5], 0
                                        ; implicit-def: $sgpr10
	s_and_saveexec_b64 s[8:9], s[6:7]
	s_xor_b64 s[6:7], exec, s[8:9]
	s_cbranch_execnz .LBB51_3565
; %bb.1517:
	s_or_saveexec_b64 s[6:7], s[6:7]
	v_mov_b32_e32 v4, s10
	s_xor_b64 exec, exec, s[6:7]
	s_cbranch_execnz .LBB51_3568
.LBB51_1518:
	s_or_b64 exec, exec, s[6:7]
	s_and_saveexec_b64 s[6:7], s[4:5]
	s_cbranch_execz .LBB51_1520
.LBB51_1519:
	v_bfe_u32 v4, v5, 8, 3
	v_ffbh_u32_e32 v7, v4
	v_min_u32_e32 v7, 32, v7
	v_lshrrev_b16_e32 v6, 3, v3
	v_subrev_u32_e32 v8, 28, v7
	v_and_b32_e32 v6, 15, v6
	v_lshlrev_b32_e32 v3, v8, v3
	v_sub_u32_e32 v7, 29, v7
	v_and_b32_e32 v3, 7, v3
	v_cmp_eq_u16_e32 vcc, 0, v6
	v_cndmask_b32_e32 v3, v4, v3, vcc
	v_cndmask_b32_e32 v4, v6, v7, vcc
	v_lshlrev_b32_e32 v6, 16, v5
	v_mov_b32_e32 v7, 0x3b800000
	v_lshlrev_b32_e32 v3, 20, v3
	v_and_b32_e32 v6, 0x80000000, v6
	v_lshl_add_u32 v4, v4, 23, v7
	v_or3_b32 v4, v6, v4, v3
.LBB51_1520:
	s_or_b64 exec, exec, s[6:7]
	s_nop 0
	v_mfma_f32_16x16x4f32 a[0:3], v2, v4, a[0:3]
	s_movk_i32 s4, 0xff
	v_and_b32_sdwa v3, v9, s4 dst_sel:DWORD dst_unused:UNUSED_PAD src0_sel:WORD_1 src1_sel:DWORD
	s_movk_i32 s4, 0x7f
	v_cmp_lt_i16_e32 vcc, s4, v3
	s_mov_b64 s[4:5], 0
                                        ; implicit-def: $sgpr10
	s_and_saveexec_b64 s[6:7], vcc
	s_xor_b64 s[6:7], exec, s[6:7]
	s_cbranch_execnz .LBB51_3569
; %bb.1521:
	s_or_saveexec_b64 s[6:7], s[6:7]
	v_mov_b32_e32 v2, s10
	s_xor_b64 exec, exec, s[6:7]
	s_cbranch_execnz .LBB51_3572
.LBB51_1522:
	s_or_b64 exec, exec, s[6:7]
	s_and_saveexec_b64 s[6:7], s[4:5]
	s_cbranch_execz .LBB51_1524
.LBB51_1523:
	v_bfe_u32 v2, v9, 16, 3
	v_ffbh_u32_e32 v6, v2
	v_min_u32_e32 v6, 32, v6
	v_lshrrev_b32_e32 v3, 19, v9
	v_subrev_u32_e32 v7, 28, v6
	v_and_b32_e32 v3, 15, v3
	v_lshlrev_b32_sdwa v7, v7, v9 dst_sel:DWORD dst_unused:UNUSED_PAD src0_sel:DWORD src1_sel:WORD_1
	v_bfe_u32 v4, v9, 19, 4
	v_sub_u32_e32 v6, 29, v6
	v_and_b32_e32 v7, 7, v7
	v_cmp_eq_u16_e32 vcc, 0, v3
	v_cndmask_b32_e32 v2, v2, v7, vcc
	v_cndmask_b32_e32 v3, v4, v6, vcc
	v_lshlrev_b32_e32 v4, 8, v9
	v_mov_b32_e32 v6, 0x3b800000
	v_lshlrev_b32_e32 v2, 20, v2
	v_and_b32_e32 v4, 0x80000000, v4
	v_lshl_add_u32 v3, v3, 23, v6
	v_or3_b32 v2, v4, v3, v2
.LBB51_1524:
	s_or_b64 exec, exec, s[6:7]
	s_movk_i32 s4, 0xff
	v_and_b32_sdwa v3, v5, s4 dst_sel:DWORD dst_unused:UNUSED_PAD src0_sel:WORD_1 src1_sel:DWORD
	s_movk_i32 s4, 0x7f
	v_cmp_lt_i16_e32 vcc, s4, v3
	s_mov_b64 s[4:5], 0
                                        ; implicit-def: $sgpr10
	s_and_saveexec_b64 s[6:7], vcc
	s_xor_b64 s[6:7], exec, s[6:7]
	s_cbranch_execnz .LBB51_3573
; %bb.1525:
	s_or_saveexec_b64 s[6:7], s[6:7]
	v_mov_b32_e32 v4, s10
	s_xor_b64 exec, exec, s[6:7]
	s_cbranch_execnz .LBB51_3576
.LBB51_1526:
	s_or_b64 exec, exec, s[6:7]
	s_and_saveexec_b64 s[6:7], s[4:5]
	s_cbranch_execz .LBB51_1528
.LBB51_1527:
	v_bfe_u32 v3, v5, 16, 3
	v_ffbh_u32_e32 v7, v3
	v_min_u32_e32 v7, 32, v7
	v_lshrrev_b32_e32 v4, 19, v5
	v_subrev_u32_e32 v8, 28, v7
	v_and_b32_e32 v4, 15, v4
	v_lshlrev_b32_sdwa v8, v8, v5 dst_sel:DWORD dst_unused:UNUSED_PAD src0_sel:DWORD src1_sel:WORD_1
	v_bfe_u32 v6, v5, 19, 4
	v_sub_u32_e32 v7, 29, v7
	v_and_b32_e32 v8, 7, v8
	v_cmp_eq_u16_e32 vcc, 0, v4
	v_cndmask_b32_e32 v3, v3, v8, vcc
	v_cndmask_b32_e32 v4, v6, v7, vcc
	v_lshlrev_b32_e32 v6, 8, v5
	v_mov_b32_e32 v7, 0x3b800000
	v_lshlrev_b32_e32 v3, 20, v3
	v_and_b32_e32 v6, 0x80000000, v6
	v_lshl_add_u32 v4, v4, 23, v7
	v_or3_b32 v4, v6, v4, v3
.LBB51_1528:
	s_or_b64 exec, exec, s[6:7]
	s_nop 0
	v_mfma_f32_16x16x4f32 a[0:3], v2, v4, a[0:3]
	s_movk_i32 s4, 0x7f
	v_cmp_gt_i16_sdwa s[6:7], v9, s4 src0_sel:BYTE_3 src1_sel:DWORD
	s_mov_b64 s[4:5], 0
                                        ; implicit-def: $sgpr10
	s_and_saveexec_b64 s[8:9], s[6:7]
	s_xor_b64 s[6:7], exec, s[8:9]
	s_cbranch_execnz .LBB51_3577
; %bb.1529:
	s_or_saveexec_b64 s[6:7], s[6:7]
	v_mov_b32_e32 v2, s10
	s_xor_b64 exec, exec, s[6:7]
	s_cbranch_execnz .LBB51_3580
.LBB51_1530:
	s_or_b64 exec, exec, s[6:7]
	s_and_saveexec_b64 s[6:7], s[4:5]
	s_cbranch_execz .LBB51_1532
.LBB51_1531:
	v_bfe_u32 v2, v9, 24, 3
	v_ffbh_u32_e32 v7, v2
	v_min_u32_e32 v7, 32, v7
	v_lshrrev_b32_e32 v4, 27, v9
	v_subrev_u32_e32 v8, 28, v7
	v_and_b32_e32 v4, 15, v4
	v_lshlrev_b32_sdwa v8, v8, v9 dst_sel:DWORD dst_unused:UNUSED_PAD src0_sel:DWORD src1_sel:BYTE_3
	v_bfe_u32 v6, v9, 27, 4
	v_sub_u32_e32 v7, 29, v7
	v_and_b32_e32 v8, 7, v8
	v_cmp_eq_u16_e32 vcc, 0, v4
	v_cndmask_b32_e32 v2, v2, v8, vcc
	v_cndmask_b32_e32 v4, v6, v7, vcc
	v_mov_b32_e32 v6, 0x3b800000
	v_and_b32_e32 v3, 0x80000000, v9
	v_lshlrev_b32_e32 v2, 20, v2
	v_lshl_add_u32 v4, v4, 23, v6
	v_or3_b32 v2, v3, v4, v2
.LBB51_1532:
	s_or_b64 exec, exec, s[6:7]
	s_movk_i32 s4, 0x7f
	v_cmp_gt_i16_sdwa s[6:7], v5, s4 src0_sel:BYTE_3 src1_sel:DWORD
	s_mov_b64 s[4:5], 0
                                        ; implicit-def: $sgpr10
	s_and_saveexec_b64 s[8:9], s[6:7]
	s_xor_b64 s[6:7], exec, s[8:9]
	s_cbranch_execnz .LBB51_3581
; %bb.1533:
	s_or_saveexec_b64 s[6:7], s[6:7]
	v_mov_b32_e32 v3, s10
	s_xor_b64 exec, exec, s[6:7]
	s_cbranch_execnz .LBB51_3584
.LBB51_1534:
	s_or_b64 exec, exec, s[6:7]
	s_and_saveexec_b64 s[6:7], s[4:5]
	s_cbranch_execz .LBB51_1536
.LBB51_1535:
	v_bfe_u32 v3, v5, 24, 3
	v_ffbh_u32_e32 v8, v3
	v_min_u32_e32 v8, 32, v8
	v_lshrrev_b32_e32 v6, 27, v5
	v_subrev_u32_e32 v9, 28, v8
	v_and_b32_e32 v4, 0x80000000, v5
	v_and_b32_e32 v6, 15, v6
	v_bfe_u32 v7, v5, 27, 4
	v_lshlrev_b32_sdwa v5, v9, v5 dst_sel:DWORD dst_unused:UNUSED_PAD src0_sel:DWORD src1_sel:BYTE_3
	v_sub_u32_e32 v8, 29, v8
	v_and_b32_e32 v5, 7, v5
	v_cmp_eq_u16_e32 vcc, 0, v6
	v_cndmask_b32_e32 v3, v3, v5, vcc
	v_cndmask_b32_e32 v5, v7, v8, vcc
	v_mov_b32_e32 v6, 0x3b800000
	v_lshlrev_b32_e32 v3, 20, v3
	v_lshl_add_u32 v5, v5, 23, v6
	v_or3_b32 v3, v4, v5, v3
.LBB51_1536:
	s_or_b64 exec, exec, s[6:7]
	s_nop 0
	v_mfma_f32_16x16x4f32 a[0:3], v2, v3, a[0:3]
	s_movk_i32 s4, 0x7f
                                        ; implicit-def: $sgpr10
	s_nop 7
	s_nop 1
	flat_store_dwordx4 v[18:19], a[0:3] offset:976
	flat_load_dwordx4 v[20:23], v[0:1] offset:8
	s_nop 0
	flat_load_dwordx2 v[18:19], v[0:1] offset:24
	s_waitcnt vmcnt(0) lgkmcnt(0)
	flat_load_dwordx4 v[14:17], v[20:21] offset:32
	flat_load_dwordx4 v[6:9], v[20:21] offset:48
	;; [unrolled: 1-line block ×4, first 2 shown]
	s_waitcnt vmcnt(0) lgkmcnt(0)
	v_cmp_gt_i16_sdwa s[6:7], v14, s4 src0_sel:BYTE_0 src1_sel:DWORD
	s_mov_b64 s[4:5], 0
	s_and_saveexec_b64 s[8:9], s[6:7]
	s_xor_b64 s[6:7], exec, s[8:9]
	s_cbranch_execnz .LBB51_3585
; %bb.1537:
	s_or_saveexec_b64 s[6:7], s[6:7]
	v_mov_b32_e32 v20, s10
	s_xor_b64 exec, exec, s[6:7]
	s_cbranch_execnz .LBB51_3588
.LBB51_1538:
	s_or_b64 exec, exec, s[6:7]
	s_and_saveexec_b64 s[6:7], s[4:5]
	s_cbranch_execz .LBB51_1540
.LBB51_1539:
	v_and_b32_e32 v20, 7, v14
	v_ffbh_u32_e32 v22, v20
	v_min_u32_e32 v22, 32, v22
	v_lshrrev_b16_e32 v21, 3, v14
	v_subrev_u32_e32 v23, 28, v22
	v_and_b32_e32 v21, 15, v21
	v_lshlrev_b32_e32 v23, v23, v14
	v_sub_u32_e32 v22, 29, v22
	v_and_b32_e32 v23, 7, v23
	v_cmp_eq_u16_e32 vcc, 0, v21
	v_cndmask_b32_e32 v20, v20, v23, vcc
	v_cndmask_b32_e32 v21, v21, v22, vcc
	v_lshlrev_b32_e32 v22, 24, v14
	v_mov_b32_e32 v23, 0x3b800000
	v_lshlrev_b32_e32 v20, 20, v20
	v_and_b32_e32 v22, 0x80000000, v22
	v_lshl_add_u32 v21, v21, 23, v23
	v_or3_b32 v20, v22, v21, v20
.LBB51_1540:
	s_or_b64 exec, exec, s[6:7]
	s_movk_i32 s4, 0x7f
	v_cmp_gt_i16_sdwa s[6:7], v10, s4 src0_sel:BYTE_0 src1_sel:DWORD
	s_mov_b64 s[4:5], 0
                                        ; implicit-def: $sgpr10
	s_and_saveexec_b64 s[8:9], s[6:7]
	s_xor_b64 s[6:7], exec, s[8:9]
	s_cbranch_execnz .LBB51_3589
; %bb.1541:
	s_or_saveexec_b64 s[6:7], s[6:7]
	v_mov_b32_e32 v21, s10
	s_xor_b64 exec, exec, s[6:7]
	s_cbranch_execnz .LBB51_3592
.LBB51_1542:
	s_or_b64 exec, exec, s[6:7]
	s_and_saveexec_b64 s[6:7], s[4:5]
	s_cbranch_execz .LBB51_1544
.LBB51_1543:
	v_and_b32_e32 v21, 7, v10
	v_ffbh_u32_e32 v23, v21
	v_min_u32_e32 v23, 32, v23
	v_lshrrev_b16_e32 v22, 3, v10
	v_subrev_u32_e32 v24, 28, v23
	v_and_b32_e32 v22, 15, v22
	v_lshlrev_b32_e32 v24, v24, v10
	v_sub_u32_e32 v23, 29, v23
	v_and_b32_e32 v24, 7, v24
	v_cmp_eq_u16_e32 vcc, 0, v22
	v_cndmask_b32_e32 v21, v21, v24, vcc
	v_cndmask_b32_e32 v22, v22, v23, vcc
	v_lshlrev_b32_e32 v23, 24, v10
	v_mov_b32_e32 v24, 0x3b800000
	v_lshlrev_b32_e32 v21, 20, v21
	v_and_b32_e32 v23, 0x80000000, v23
	v_lshl_add_u32 v22, v22, 23, v24
	v_or3_b32 v21, v23, v22, v21
.LBB51_1544:
	s_or_b64 exec, exec, s[6:7]
	flat_load_dwordx4 a[0:3], v[18:19] offset:992
	s_movk_i32 s4, 0x7f
                                        ; implicit-def: $sgpr10
	s_waitcnt vmcnt(0) lgkmcnt(0)
	v_mfma_f32_16x16x4f32 a[0:3], v20, v21, a[0:3]
	v_lshrrev_b32_e32 v21, 8, v14
	v_cmp_gt_i16_sdwa s[6:7], v21, s4 src0_sel:BYTE_0 src1_sel:DWORD
	s_mov_b64 s[4:5], 0
	s_and_saveexec_b64 s[8:9], s[6:7]
	s_xor_b64 s[6:7], exec, s[8:9]
	s_cbranch_execnz .LBB51_3593
; %bb.1545:
	s_or_saveexec_b64 s[6:7], s[6:7]
	v_mov_b32_e32 v20, s10
	s_xor_b64 exec, exec, s[6:7]
	s_cbranch_execnz .LBB51_3596
.LBB51_1546:
	s_or_b64 exec, exec, s[6:7]
	s_and_saveexec_b64 s[6:7], s[4:5]
	s_cbranch_execz .LBB51_1548
.LBB51_1547:
	v_bfe_u32 v20, v14, 8, 3
	v_ffbh_u32_e32 v23, v20
	v_min_u32_e32 v23, 32, v23
	v_lshrrev_b16_e32 v22, 3, v21
	v_subrev_u32_e32 v24, 28, v23
	v_and_b32_e32 v22, 15, v22
	v_lshlrev_b32_e32 v21, v24, v21
	v_sub_u32_e32 v23, 29, v23
	v_and_b32_e32 v21, 7, v21
	v_cmp_eq_u16_e32 vcc, 0, v22
	v_cndmask_b32_e32 v20, v20, v21, vcc
	v_cndmask_b32_e32 v21, v22, v23, vcc
	v_lshlrev_b32_e32 v22, 16, v14
	v_mov_b32_e32 v23, 0x3b800000
	v_lshlrev_b32_e32 v20, 20, v20
	v_and_b32_e32 v22, 0x80000000, v22
	v_lshl_add_u32 v21, v21, 23, v23
	v_or3_b32 v20, v22, v21, v20
.LBB51_1548:
	s_or_b64 exec, exec, s[6:7]
	v_lshrrev_b32_e32 v21, 8, v10
	s_movk_i32 s4, 0x7f
	v_cmp_gt_i16_sdwa s[6:7], v21, s4 src0_sel:BYTE_0 src1_sel:DWORD
	s_mov_b64 s[4:5], 0
                                        ; implicit-def: $sgpr10
	s_and_saveexec_b64 s[8:9], s[6:7]
	s_xor_b64 s[6:7], exec, s[8:9]
	s_cbranch_execnz .LBB51_3597
; %bb.1549:
	s_or_saveexec_b64 s[6:7], s[6:7]
	v_mov_b32_e32 v22, s10
	s_xor_b64 exec, exec, s[6:7]
	s_cbranch_execnz .LBB51_3600
.LBB51_1550:
	s_or_b64 exec, exec, s[6:7]
	s_and_saveexec_b64 s[6:7], s[4:5]
	s_cbranch_execz .LBB51_1552
.LBB51_1551:
	v_bfe_u32 v22, v10, 8, 3
	v_ffbh_u32_e32 v24, v22
	v_min_u32_e32 v24, 32, v24
	v_lshrrev_b16_e32 v23, 3, v21
	v_subrev_u32_e32 v25, 28, v24
	v_and_b32_e32 v23, 15, v23
	v_lshlrev_b32_e32 v21, v25, v21
	v_sub_u32_e32 v24, 29, v24
	v_and_b32_e32 v21, 7, v21
	v_cmp_eq_u16_e32 vcc, 0, v23
	v_cndmask_b32_e32 v21, v22, v21, vcc
	v_cndmask_b32_e32 v22, v23, v24, vcc
	v_lshlrev_b32_e32 v23, 16, v10
	v_mov_b32_e32 v24, 0x3b800000
	v_lshlrev_b32_e32 v21, 20, v21
	v_and_b32_e32 v23, 0x80000000, v23
	v_lshl_add_u32 v22, v22, 23, v24
	v_or3_b32 v22, v23, v22, v21
.LBB51_1552:
	s_or_b64 exec, exec, s[6:7]
	s_nop 0
	v_mfma_f32_16x16x4f32 a[0:3], v20, v22, a[0:3]
	s_movk_i32 s4, 0xff
	v_and_b32_sdwa v21, v14, s4 dst_sel:DWORD dst_unused:UNUSED_PAD src0_sel:WORD_1 src1_sel:DWORD
	s_movk_i32 s4, 0x7f
	v_cmp_lt_i16_e32 vcc, s4, v21
	s_mov_b64 s[4:5], 0
                                        ; implicit-def: $sgpr10
	s_and_saveexec_b64 s[6:7], vcc
	s_xor_b64 s[6:7], exec, s[6:7]
	s_cbranch_execnz .LBB51_3601
; %bb.1553:
	s_or_saveexec_b64 s[6:7], s[6:7]
	v_mov_b32_e32 v20, s10
	s_xor_b64 exec, exec, s[6:7]
	s_cbranch_execnz .LBB51_3604
.LBB51_1554:
	s_or_b64 exec, exec, s[6:7]
	s_and_saveexec_b64 s[6:7], s[4:5]
	s_cbranch_execz .LBB51_1556
.LBB51_1555:
	v_bfe_u32 v20, v14, 16, 3
	v_ffbh_u32_e32 v23, v20
	v_min_u32_e32 v23, 32, v23
	v_lshrrev_b32_e32 v21, 19, v14
	v_subrev_u32_e32 v24, 28, v23
	v_and_b32_e32 v21, 15, v21
	v_lshlrev_b32_sdwa v24, v24, v14 dst_sel:DWORD dst_unused:UNUSED_PAD src0_sel:DWORD src1_sel:WORD_1
	v_bfe_u32 v22, v14, 19, 4
	v_sub_u32_e32 v23, 29, v23
	v_and_b32_e32 v24, 7, v24
	v_cmp_eq_u16_e32 vcc, 0, v21
	v_cndmask_b32_e32 v20, v20, v24, vcc
	v_cndmask_b32_e32 v21, v22, v23, vcc
	v_lshlrev_b32_e32 v22, 8, v14
	v_mov_b32_e32 v23, 0x3b800000
	v_lshlrev_b32_e32 v20, 20, v20
	v_and_b32_e32 v22, 0x80000000, v22
	v_lshl_add_u32 v21, v21, 23, v23
	v_or3_b32 v20, v22, v21, v20
.LBB51_1556:
	s_or_b64 exec, exec, s[6:7]
	s_movk_i32 s4, 0xff
	v_and_b32_sdwa v21, v10, s4 dst_sel:DWORD dst_unused:UNUSED_PAD src0_sel:WORD_1 src1_sel:DWORD
	s_movk_i32 s4, 0x7f
	v_cmp_lt_i16_e32 vcc, s4, v21
	s_mov_b64 s[4:5], 0
                                        ; implicit-def: $sgpr10
	s_and_saveexec_b64 s[6:7], vcc
	s_xor_b64 s[6:7], exec, s[6:7]
	s_cbranch_execnz .LBB51_3605
; %bb.1557:
	s_or_saveexec_b64 s[6:7], s[6:7]
	v_mov_b32_e32 v22, s10
	s_xor_b64 exec, exec, s[6:7]
	s_cbranch_execnz .LBB51_3608
.LBB51_1558:
	s_or_b64 exec, exec, s[6:7]
	s_and_saveexec_b64 s[6:7], s[4:5]
	s_cbranch_execz .LBB51_1560
.LBB51_1559:
	v_bfe_u32 v21, v10, 16, 3
	v_ffbh_u32_e32 v24, v21
	v_min_u32_e32 v24, 32, v24
	v_lshrrev_b32_e32 v22, 19, v10
	v_subrev_u32_e32 v25, 28, v24
	v_and_b32_e32 v22, 15, v22
	v_lshlrev_b32_sdwa v25, v25, v10 dst_sel:DWORD dst_unused:UNUSED_PAD src0_sel:DWORD src1_sel:WORD_1
	v_bfe_u32 v23, v10, 19, 4
	v_sub_u32_e32 v24, 29, v24
	v_and_b32_e32 v25, 7, v25
	v_cmp_eq_u16_e32 vcc, 0, v22
	v_cndmask_b32_e32 v21, v21, v25, vcc
	v_cndmask_b32_e32 v22, v23, v24, vcc
	v_lshlrev_b32_e32 v23, 8, v10
	v_mov_b32_e32 v24, 0x3b800000
	v_lshlrev_b32_e32 v21, 20, v21
	v_and_b32_e32 v23, 0x80000000, v23
	v_lshl_add_u32 v22, v22, 23, v24
	v_or3_b32 v22, v23, v22, v21
.LBB51_1560:
	s_or_b64 exec, exec, s[6:7]
	s_nop 0
	v_mfma_f32_16x16x4f32 a[0:3], v20, v22, a[0:3]
	s_movk_i32 s4, 0x7f
	v_cmp_gt_i16_sdwa s[6:7], v14, s4 src0_sel:BYTE_3 src1_sel:DWORD
	s_mov_b64 s[4:5], 0
                                        ; implicit-def: $sgpr10
	s_and_saveexec_b64 s[8:9], s[6:7]
	s_xor_b64 s[6:7], exec, s[8:9]
	s_cbranch_execnz .LBB51_3609
; %bb.1561:
	s_or_saveexec_b64 s[6:7], s[6:7]
	v_mov_b32_e32 v20, s10
	s_xor_b64 exec, exec, s[6:7]
	s_cbranch_execnz .LBB51_3612
.LBB51_1562:
	s_or_b64 exec, exec, s[6:7]
	s_and_saveexec_b64 s[6:7], s[4:5]
	s_cbranch_execz .LBB51_1564
.LBB51_1563:
	v_bfe_u32 v20, v14, 24, 3
	v_ffbh_u32_e32 v24, v20
	v_min_u32_e32 v24, 32, v24
	v_lshrrev_b32_e32 v22, 27, v14
	v_subrev_u32_e32 v25, 28, v24
	v_and_b32_e32 v21, 0x80000000, v14
	v_and_b32_e32 v22, 15, v22
	v_bfe_u32 v23, v14, 27, 4
	v_lshlrev_b32_sdwa v14, v25, v14 dst_sel:DWORD dst_unused:UNUSED_PAD src0_sel:DWORD src1_sel:BYTE_3
	v_sub_u32_e32 v24, 29, v24
	v_and_b32_e32 v14, 7, v14
	v_cmp_eq_u16_e32 vcc, 0, v22
	v_cndmask_b32_e32 v14, v20, v14, vcc
	v_cndmask_b32_e32 v20, v23, v24, vcc
	v_mov_b32_e32 v22, 0x3b800000
	v_lshlrev_b32_e32 v14, 20, v14
	v_lshl_add_u32 v20, v20, 23, v22
	v_or3_b32 v20, v21, v20, v14
.LBB51_1564:
	s_or_b64 exec, exec, s[6:7]
	s_movk_i32 s4, 0x7f
	v_cmp_gt_i16_sdwa s[6:7], v10, s4 src0_sel:BYTE_3 src1_sel:DWORD
	s_mov_b64 s[4:5], 0
                                        ; implicit-def: $sgpr10
	s_and_saveexec_b64 s[8:9], s[6:7]
	s_xor_b64 s[6:7], exec, s[8:9]
	s_cbranch_execnz .LBB51_3613
; %bb.1565:
	s_or_saveexec_b64 s[6:7], s[6:7]
	v_mov_b32_e32 v14, s10
	s_xor_b64 exec, exec, s[6:7]
	s_cbranch_execnz .LBB51_3616
.LBB51_1566:
	s_or_b64 exec, exec, s[6:7]
	s_and_saveexec_b64 s[6:7], s[4:5]
	s_cbranch_execz .LBB51_1568
.LBB51_1567:
	v_bfe_u32 v14, v10, 24, 3
	v_ffbh_u32_e32 v24, v14
	v_min_u32_e32 v24, 32, v24
	v_lshrrev_b32_e32 v22, 27, v10
	v_subrev_u32_e32 v25, 28, v24
	v_and_b32_e32 v21, 0x80000000, v10
	v_and_b32_e32 v22, 15, v22
	v_bfe_u32 v23, v10, 27, 4
	v_lshlrev_b32_sdwa v10, v25, v10 dst_sel:DWORD dst_unused:UNUSED_PAD src0_sel:DWORD src1_sel:BYTE_3
	v_sub_u32_e32 v24, 29, v24
	v_and_b32_e32 v10, 7, v10
	v_cmp_eq_u16_e32 vcc, 0, v22
	v_cndmask_b32_e32 v10, v14, v10, vcc
	v_cndmask_b32_e32 v14, v23, v24, vcc
	v_mov_b32_e32 v22, 0x3b800000
	v_lshlrev_b32_e32 v10, 20, v10
	v_lshl_add_u32 v14, v14, 23, v22
	v_or3_b32 v14, v21, v14, v10
.LBB51_1568:
	s_or_b64 exec, exec, s[6:7]
	s_nop 0
	v_mfma_f32_16x16x4f32 a[0:3], v20, v14, a[0:3]
	s_movk_i32 s4, 0x7f
	v_cmp_gt_i16_sdwa s[6:7], v15, s4 src0_sel:BYTE_0 src1_sel:DWORD
	s_mov_b64 s[4:5], 0
                                        ; implicit-def: $sgpr10
	s_and_saveexec_b64 s[8:9], s[6:7]
	s_xor_b64 s[6:7], exec, s[8:9]
	s_cbranch_execnz .LBB51_3617
; %bb.1569:
	s_or_saveexec_b64 s[6:7], s[6:7]
	v_mov_b32_e32 v10, s10
	s_xor_b64 exec, exec, s[6:7]
	s_cbranch_execnz .LBB51_3620
.LBB51_1570:
	s_or_b64 exec, exec, s[6:7]
	s_and_saveexec_b64 s[6:7], s[4:5]
	s_cbranch_execz .LBB51_1572
.LBB51_1571:
	v_and_b32_e32 v10, 7, v15
	v_ffbh_u32_e32 v20, v10
	v_min_u32_e32 v20, 32, v20
	v_lshrrev_b16_e32 v14, 3, v15
	v_subrev_u32_e32 v21, 28, v20
	v_and_b32_e32 v14, 15, v14
	v_lshlrev_b32_e32 v21, v21, v15
	v_sub_u32_e32 v20, 29, v20
	v_and_b32_e32 v21, 7, v21
	v_cmp_eq_u16_e32 vcc, 0, v14
	v_cndmask_b32_e32 v10, v10, v21, vcc
	v_cndmask_b32_e32 v14, v14, v20, vcc
	v_lshlrev_b32_e32 v20, 24, v15
	v_mov_b32_e32 v21, 0x3b800000
	v_lshlrev_b32_e32 v10, 20, v10
	v_and_b32_e32 v20, 0x80000000, v20
	v_lshl_add_u32 v14, v14, 23, v21
	v_or3_b32 v10, v20, v14, v10
.LBB51_1572:
	s_or_b64 exec, exec, s[6:7]
	s_movk_i32 s4, 0x7f
	v_cmp_gt_i16_sdwa s[6:7], v11, s4 src0_sel:BYTE_0 src1_sel:DWORD
	s_mov_b64 s[4:5], 0
                                        ; implicit-def: $sgpr10
	s_and_saveexec_b64 s[8:9], s[6:7]
	s_xor_b64 s[6:7], exec, s[8:9]
	s_cbranch_execnz .LBB51_3621
; %bb.1573:
	s_or_saveexec_b64 s[6:7], s[6:7]
	v_mov_b32_e32 v14, s10
	s_xor_b64 exec, exec, s[6:7]
	s_cbranch_execnz .LBB51_3624
.LBB51_1574:
	s_or_b64 exec, exec, s[6:7]
	s_and_saveexec_b64 s[6:7], s[4:5]
	s_cbranch_execz .LBB51_1576
.LBB51_1575:
	v_and_b32_e32 v14, 7, v11
	v_ffbh_u32_e32 v21, v14
	v_min_u32_e32 v21, 32, v21
	v_lshrrev_b16_e32 v20, 3, v11
	v_subrev_u32_e32 v22, 28, v21
	v_and_b32_e32 v20, 15, v20
	v_lshlrev_b32_e32 v22, v22, v11
	v_sub_u32_e32 v21, 29, v21
	v_and_b32_e32 v22, 7, v22
	v_cmp_eq_u16_e32 vcc, 0, v20
	v_cndmask_b32_e32 v14, v14, v22, vcc
	v_cndmask_b32_e32 v20, v20, v21, vcc
	v_lshlrev_b32_e32 v21, 24, v11
	v_mov_b32_e32 v22, 0x3b800000
	v_lshlrev_b32_e32 v14, 20, v14
	v_and_b32_e32 v21, 0x80000000, v21
	v_lshl_add_u32 v20, v20, 23, v22
	v_or3_b32 v14, v21, v20, v14
.LBB51_1576:
	s_or_b64 exec, exec, s[6:7]
	s_nop 0
	v_mfma_f32_16x16x4f32 a[0:3], v10, v14, a[0:3]
	v_lshrrev_b32_e32 v14, 8, v15
	s_movk_i32 s4, 0x7f
	v_cmp_gt_i16_sdwa s[6:7], v14, s4 src0_sel:BYTE_0 src1_sel:DWORD
	s_mov_b64 s[4:5], 0
                                        ; implicit-def: $sgpr10
	s_and_saveexec_b64 s[8:9], s[6:7]
	s_xor_b64 s[6:7], exec, s[8:9]
	s_cbranch_execnz .LBB51_3625
; %bb.1577:
	s_or_saveexec_b64 s[6:7], s[6:7]
	v_mov_b32_e32 v10, s10
	s_xor_b64 exec, exec, s[6:7]
	s_cbranch_execnz .LBB51_3628
.LBB51_1578:
	s_or_b64 exec, exec, s[6:7]
	s_and_saveexec_b64 s[6:7], s[4:5]
	s_cbranch_execz .LBB51_1580
.LBB51_1579:
	v_bfe_u32 v10, v15, 8, 3
	v_ffbh_u32_e32 v21, v10
	v_min_u32_e32 v21, 32, v21
	v_lshrrev_b16_e32 v20, 3, v14
	v_subrev_u32_e32 v22, 28, v21
	v_and_b32_e32 v20, 15, v20
	v_lshlrev_b32_e32 v14, v22, v14
	v_sub_u32_e32 v21, 29, v21
	v_and_b32_e32 v14, 7, v14
	v_cmp_eq_u16_e32 vcc, 0, v20
	v_cndmask_b32_e32 v10, v10, v14, vcc
	v_cndmask_b32_e32 v14, v20, v21, vcc
	v_lshlrev_b32_e32 v20, 16, v15
	v_mov_b32_e32 v21, 0x3b800000
	v_lshlrev_b32_e32 v10, 20, v10
	v_and_b32_e32 v20, 0x80000000, v20
	v_lshl_add_u32 v14, v14, 23, v21
	v_or3_b32 v10, v20, v14, v10
.LBB51_1580:
	s_or_b64 exec, exec, s[6:7]
	v_lshrrev_b32_e32 v14, 8, v11
	s_movk_i32 s4, 0x7f
	v_cmp_gt_i16_sdwa s[6:7], v14, s4 src0_sel:BYTE_0 src1_sel:DWORD
	s_mov_b64 s[4:5], 0
                                        ; implicit-def: $sgpr10
	s_and_saveexec_b64 s[8:9], s[6:7]
	s_xor_b64 s[6:7], exec, s[8:9]
	s_cbranch_execnz .LBB51_3629
; %bb.1581:
	s_or_saveexec_b64 s[6:7], s[6:7]
	v_mov_b32_e32 v20, s10
	s_xor_b64 exec, exec, s[6:7]
	s_cbranch_execnz .LBB51_3632
.LBB51_1582:
	s_or_b64 exec, exec, s[6:7]
	s_and_saveexec_b64 s[6:7], s[4:5]
	s_cbranch_execz .LBB51_1584
.LBB51_1583:
	v_bfe_u32 v20, v11, 8, 3
	v_ffbh_u32_e32 v22, v20
	v_min_u32_e32 v22, 32, v22
	v_lshrrev_b16_e32 v21, 3, v14
	v_subrev_u32_e32 v23, 28, v22
	v_and_b32_e32 v21, 15, v21
	v_lshlrev_b32_e32 v14, v23, v14
	v_sub_u32_e32 v22, 29, v22
	v_and_b32_e32 v14, 7, v14
	v_cmp_eq_u16_e32 vcc, 0, v21
	v_cndmask_b32_e32 v14, v20, v14, vcc
	v_cndmask_b32_e32 v20, v21, v22, vcc
	v_lshlrev_b32_e32 v21, 16, v11
	v_mov_b32_e32 v22, 0x3b800000
	v_lshlrev_b32_e32 v14, 20, v14
	v_and_b32_e32 v21, 0x80000000, v21
	v_lshl_add_u32 v20, v20, 23, v22
	v_or3_b32 v20, v21, v20, v14
.LBB51_1584:
	s_or_b64 exec, exec, s[6:7]
	s_nop 0
	v_mfma_f32_16x16x4f32 a[0:3], v10, v20, a[0:3]
	s_movk_i32 s4, 0xff
	v_and_b32_sdwa v14, v15, s4 dst_sel:DWORD dst_unused:UNUSED_PAD src0_sel:WORD_1 src1_sel:DWORD
	s_movk_i32 s4, 0x7f
	v_cmp_lt_i16_e32 vcc, s4, v14
	s_mov_b64 s[4:5], 0
                                        ; implicit-def: $sgpr10
	s_and_saveexec_b64 s[6:7], vcc
	s_xor_b64 s[6:7], exec, s[6:7]
	s_cbranch_execnz .LBB51_3633
; %bb.1585:
	s_or_saveexec_b64 s[6:7], s[6:7]
	v_mov_b32_e32 v10, s10
	s_xor_b64 exec, exec, s[6:7]
	s_cbranch_execnz .LBB51_3636
.LBB51_1586:
	s_or_b64 exec, exec, s[6:7]
	s_and_saveexec_b64 s[6:7], s[4:5]
	s_cbranch_execz .LBB51_1588
.LBB51_1587:
	v_bfe_u32 v10, v15, 16, 3
	v_ffbh_u32_e32 v21, v10
	v_min_u32_e32 v21, 32, v21
	v_lshrrev_b32_e32 v14, 19, v15
	v_subrev_u32_e32 v22, 28, v21
	v_and_b32_e32 v14, 15, v14
	v_lshlrev_b32_sdwa v22, v22, v15 dst_sel:DWORD dst_unused:UNUSED_PAD src0_sel:DWORD src1_sel:WORD_1
	v_bfe_u32 v20, v15, 19, 4
	v_sub_u32_e32 v21, 29, v21
	v_and_b32_e32 v22, 7, v22
	v_cmp_eq_u16_e32 vcc, 0, v14
	v_cndmask_b32_e32 v10, v10, v22, vcc
	v_cndmask_b32_e32 v14, v20, v21, vcc
	v_lshlrev_b32_e32 v20, 8, v15
	v_mov_b32_e32 v21, 0x3b800000
	v_lshlrev_b32_e32 v10, 20, v10
	v_and_b32_e32 v20, 0x80000000, v20
	v_lshl_add_u32 v14, v14, 23, v21
	v_or3_b32 v10, v20, v14, v10
.LBB51_1588:
	s_or_b64 exec, exec, s[6:7]
	s_movk_i32 s4, 0xff
	v_and_b32_sdwa v14, v11, s4 dst_sel:DWORD dst_unused:UNUSED_PAD src0_sel:WORD_1 src1_sel:DWORD
	s_movk_i32 s4, 0x7f
	v_cmp_lt_i16_e32 vcc, s4, v14
	s_mov_b64 s[4:5], 0
                                        ; implicit-def: $sgpr10
	s_and_saveexec_b64 s[6:7], vcc
	s_xor_b64 s[6:7], exec, s[6:7]
	s_cbranch_execnz .LBB51_3637
; %bb.1589:
	s_or_saveexec_b64 s[6:7], s[6:7]
	v_mov_b32_e32 v20, s10
	s_xor_b64 exec, exec, s[6:7]
	s_cbranch_execnz .LBB51_3640
.LBB51_1590:
	s_or_b64 exec, exec, s[6:7]
	s_and_saveexec_b64 s[6:7], s[4:5]
	s_cbranch_execz .LBB51_1592
.LBB51_1591:
	v_bfe_u32 v14, v11, 16, 3
	v_ffbh_u32_e32 v22, v14
	v_min_u32_e32 v22, 32, v22
	v_lshrrev_b32_e32 v20, 19, v11
	v_subrev_u32_e32 v23, 28, v22
	v_and_b32_e32 v20, 15, v20
	v_lshlrev_b32_sdwa v23, v23, v11 dst_sel:DWORD dst_unused:UNUSED_PAD src0_sel:DWORD src1_sel:WORD_1
	v_bfe_u32 v21, v11, 19, 4
	v_sub_u32_e32 v22, 29, v22
	v_and_b32_e32 v23, 7, v23
	v_cmp_eq_u16_e32 vcc, 0, v20
	v_cndmask_b32_e32 v14, v14, v23, vcc
	v_cndmask_b32_e32 v20, v21, v22, vcc
	v_lshlrev_b32_e32 v21, 8, v11
	v_mov_b32_e32 v22, 0x3b800000
	v_lshlrev_b32_e32 v14, 20, v14
	v_and_b32_e32 v21, 0x80000000, v21
	v_lshl_add_u32 v20, v20, 23, v22
	v_or3_b32 v20, v21, v20, v14
.LBB51_1592:
	s_or_b64 exec, exec, s[6:7]
	s_nop 0
	v_mfma_f32_16x16x4f32 a[0:3], v10, v20, a[0:3]
	s_movk_i32 s4, 0x7f
	v_cmp_gt_i16_sdwa s[6:7], v15, s4 src0_sel:BYTE_3 src1_sel:DWORD
	s_mov_b64 s[4:5], 0
                                        ; implicit-def: $sgpr10
	s_and_saveexec_b64 s[8:9], s[6:7]
	s_xor_b64 s[6:7], exec, s[8:9]
	s_cbranch_execnz .LBB51_3641
; %bb.1593:
	s_or_saveexec_b64 s[6:7], s[6:7]
	v_mov_b32_e32 v10, s10
	s_xor_b64 exec, exec, s[6:7]
	s_cbranch_execnz .LBB51_3644
.LBB51_1594:
	s_or_b64 exec, exec, s[6:7]
	s_and_saveexec_b64 s[6:7], s[4:5]
	s_cbranch_execz .LBB51_1596
.LBB51_1595:
	v_bfe_u32 v10, v15, 24, 3
	v_ffbh_u32_e32 v22, v10
	v_min_u32_e32 v22, 32, v22
	v_lshrrev_b32_e32 v20, 27, v15
	v_subrev_u32_e32 v23, 28, v22
	v_and_b32_e32 v14, 0x80000000, v15
	v_and_b32_e32 v20, 15, v20
	v_bfe_u32 v21, v15, 27, 4
	v_lshlrev_b32_sdwa v15, v23, v15 dst_sel:DWORD dst_unused:UNUSED_PAD src0_sel:DWORD src1_sel:BYTE_3
	v_sub_u32_e32 v22, 29, v22
	v_and_b32_e32 v15, 7, v15
	v_cmp_eq_u16_e32 vcc, 0, v20
	v_cndmask_b32_e32 v10, v10, v15, vcc
	v_cndmask_b32_e32 v15, v21, v22, vcc
	v_mov_b32_e32 v20, 0x3b800000
	v_lshlrev_b32_e32 v10, 20, v10
	v_lshl_add_u32 v15, v15, 23, v20
	v_or3_b32 v10, v14, v15, v10
.LBB51_1596:
	s_or_b64 exec, exec, s[6:7]
	s_movk_i32 s4, 0x7f
	v_cmp_gt_i16_sdwa s[6:7], v11, s4 src0_sel:BYTE_3 src1_sel:DWORD
	s_mov_b64 s[4:5], 0
                                        ; implicit-def: $sgpr10
	s_and_saveexec_b64 s[8:9], s[6:7]
	s_xor_b64 s[6:7], exec, s[8:9]
	s_cbranch_execnz .LBB51_3645
; %bb.1597:
	s_or_saveexec_b64 s[6:7], s[6:7]
	v_mov_b32_e32 v14, s10
	s_xor_b64 exec, exec, s[6:7]
	s_cbranch_execnz .LBB51_3648
.LBB51_1598:
	s_or_b64 exec, exec, s[6:7]
	s_and_saveexec_b64 s[6:7], s[4:5]
	s_cbranch_execz .LBB51_1600
.LBB51_1599:
	v_bfe_u32 v14, v11, 24, 3
	v_ffbh_u32_e32 v22, v14
	v_min_u32_e32 v22, 32, v22
	v_lshrrev_b32_e32 v20, 27, v11
	v_subrev_u32_e32 v23, 28, v22
	v_and_b32_e32 v15, 0x80000000, v11
	v_and_b32_e32 v20, 15, v20
	v_bfe_u32 v21, v11, 27, 4
	v_lshlrev_b32_sdwa v11, v23, v11 dst_sel:DWORD dst_unused:UNUSED_PAD src0_sel:DWORD src1_sel:BYTE_3
	v_sub_u32_e32 v22, 29, v22
	v_and_b32_e32 v11, 7, v11
	v_cmp_eq_u16_e32 vcc, 0, v20
	v_cndmask_b32_e32 v11, v14, v11, vcc
	v_cndmask_b32_e32 v14, v21, v22, vcc
	v_mov_b32_e32 v20, 0x3b800000
	v_lshlrev_b32_e32 v11, 20, v11
	v_lshl_add_u32 v14, v14, 23, v20
	v_or3_b32 v14, v15, v14, v11
.LBB51_1600:
	s_or_b64 exec, exec, s[6:7]
	s_nop 0
	v_mfma_f32_16x16x4f32 a[0:3], v10, v14, a[0:3]
	s_movk_i32 s4, 0x7f
	v_cmp_gt_i16_sdwa s[6:7], v16, s4 src0_sel:BYTE_0 src1_sel:DWORD
	s_mov_b64 s[4:5], 0
                                        ; implicit-def: $sgpr10
	s_and_saveexec_b64 s[8:9], s[6:7]
	s_xor_b64 s[6:7], exec, s[8:9]
	s_cbranch_execnz .LBB51_3649
; %bb.1601:
	s_or_saveexec_b64 s[6:7], s[6:7]
	v_mov_b32_e32 v10, s10
	s_xor_b64 exec, exec, s[6:7]
	s_cbranch_execnz .LBB51_3652
.LBB51_1602:
	s_or_b64 exec, exec, s[6:7]
	s_and_saveexec_b64 s[6:7], s[4:5]
	s_cbranch_execz .LBB51_1604
.LBB51_1603:
	v_and_b32_e32 v10, 7, v16
	v_ffbh_u32_e32 v14, v10
	v_min_u32_e32 v14, 32, v14
	v_lshrrev_b16_e32 v11, 3, v16
	v_subrev_u32_e32 v15, 28, v14
	v_and_b32_e32 v11, 15, v11
	v_lshlrev_b32_e32 v15, v15, v16
	v_sub_u32_e32 v14, 29, v14
	v_and_b32_e32 v15, 7, v15
	v_cmp_eq_u16_e32 vcc, 0, v11
	v_cndmask_b32_e32 v10, v10, v15, vcc
	v_cndmask_b32_e32 v11, v11, v14, vcc
	v_lshlrev_b32_e32 v14, 24, v16
	v_mov_b32_e32 v15, 0x3b800000
	v_lshlrev_b32_e32 v10, 20, v10
	v_and_b32_e32 v14, 0x80000000, v14
	v_lshl_add_u32 v11, v11, 23, v15
	v_or3_b32 v10, v14, v11, v10
.LBB51_1604:
	s_or_b64 exec, exec, s[6:7]
	s_movk_i32 s4, 0x7f
	v_cmp_gt_i16_sdwa s[6:7], v12, s4 src0_sel:BYTE_0 src1_sel:DWORD
	s_mov_b64 s[4:5], 0
                                        ; implicit-def: $sgpr10
	s_and_saveexec_b64 s[8:9], s[6:7]
	s_xor_b64 s[6:7], exec, s[8:9]
	s_cbranch_execnz .LBB51_3653
; %bb.1605:
	s_or_saveexec_b64 s[6:7], s[6:7]
	v_mov_b32_e32 v11, s10
	s_xor_b64 exec, exec, s[6:7]
	s_cbranch_execnz .LBB51_3656
.LBB51_1606:
	s_or_b64 exec, exec, s[6:7]
	s_and_saveexec_b64 s[6:7], s[4:5]
	s_cbranch_execz .LBB51_1608
.LBB51_1607:
	v_and_b32_e32 v11, 7, v12
	v_ffbh_u32_e32 v15, v11
	v_min_u32_e32 v15, 32, v15
	v_lshrrev_b16_e32 v14, 3, v12
	v_subrev_u32_e32 v20, 28, v15
	v_and_b32_e32 v14, 15, v14
	v_lshlrev_b32_e32 v20, v20, v12
	v_sub_u32_e32 v15, 29, v15
	v_and_b32_e32 v20, 7, v20
	v_cmp_eq_u16_e32 vcc, 0, v14
	v_cndmask_b32_e32 v11, v11, v20, vcc
	v_cndmask_b32_e32 v14, v14, v15, vcc
	v_lshlrev_b32_e32 v15, 24, v12
	v_mov_b32_e32 v20, 0x3b800000
	v_lshlrev_b32_e32 v11, 20, v11
	v_and_b32_e32 v15, 0x80000000, v15
	v_lshl_add_u32 v14, v14, 23, v20
	v_or3_b32 v11, v15, v14, v11
.LBB51_1608:
	s_or_b64 exec, exec, s[6:7]
	s_nop 0
	v_mfma_f32_16x16x4f32 a[0:3], v10, v11, a[0:3]
	v_lshrrev_b32_e32 v11, 8, v16
	s_movk_i32 s4, 0x7f
	v_cmp_gt_i16_sdwa s[6:7], v11, s4 src0_sel:BYTE_0 src1_sel:DWORD
	s_mov_b64 s[4:5], 0
                                        ; implicit-def: $sgpr10
	s_and_saveexec_b64 s[8:9], s[6:7]
	s_xor_b64 s[6:7], exec, s[8:9]
	s_cbranch_execnz .LBB51_3657
; %bb.1609:
	s_or_saveexec_b64 s[6:7], s[6:7]
	v_mov_b32_e32 v10, s10
	s_xor_b64 exec, exec, s[6:7]
	s_cbranch_execnz .LBB51_3660
.LBB51_1610:
	s_or_b64 exec, exec, s[6:7]
	s_and_saveexec_b64 s[6:7], s[4:5]
	s_cbranch_execz .LBB51_1612
.LBB51_1611:
	v_bfe_u32 v10, v16, 8, 3
	v_ffbh_u32_e32 v15, v10
	v_min_u32_e32 v15, 32, v15
	v_lshrrev_b16_e32 v14, 3, v11
	v_subrev_u32_e32 v20, 28, v15
	v_and_b32_e32 v14, 15, v14
	v_lshlrev_b32_e32 v11, v20, v11
	v_sub_u32_e32 v15, 29, v15
	v_and_b32_e32 v11, 7, v11
	v_cmp_eq_u16_e32 vcc, 0, v14
	v_cndmask_b32_e32 v10, v10, v11, vcc
	v_cndmask_b32_e32 v11, v14, v15, vcc
	v_lshlrev_b32_e32 v14, 16, v16
	v_mov_b32_e32 v15, 0x3b800000
	v_lshlrev_b32_e32 v10, 20, v10
	v_and_b32_e32 v14, 0x80000000, v14
	v_lshl_add_u32 v11, v11, 23, v15
	v_or3_b32 v10, v14, v11, v10
.LBB51_1612:
	s_or_b64 exec, exec, s[6:7]
	v_lshrrev_b32_e32 v11, 8, v12
	s_movk_i32 s4, 0x7f
	v_cmp_gt_i16_sdwa s[6:7], v11, s4 src0_sel:BYTE_0 src1_sel:DWORD
	s_mov_b64 s[4:5], 0
                                        ; implicit-def: $sgpr10
	s_and_saveexec_b64 s[8:9], s[6:7]
	s_xor_b64 s[6:7], exec, s[8:9]
	s_cbranch_execnz .LBB51_3661
; %bb.1613:
	s_or_saveexec_b64 s[6:7], s[6:7]
	v_mov_b32_e32 v14, s10
	s_xor_b64 exec, exec, s[6:7]
	s_cbranch_execnz .LBB51_3664
.LBB51_1614:
	s_or_b64 exec, exec, s[6:7]
	s_and_saveexec_b64 s[6:7], s[4:5]
	s_cbranch_execz .LBB51_1616
.LBB51_1615:
	v_bfe_u32 v14, v12, 8, 3
	v_ffbh_u32_e32 v20, v14
	v_min_u32_e32 v20, 32, v20
	v_lshrrev_b16_e32 v15, 3, v11
	v_subrev_u32_e32 v21, 28, v20
	v_and_b32_e32 v15, 15, v15
	v_lshlrev_b32_e32 v11, v21, v11
	v_sub_u32_e32 v20, 29, v20
	v_and_b32_e32 v11, 7, v11
	v_cmp_eq_u16_e32 vcc, 0, v15
	v_cndmask_b32_e32 v11, v14, v11, vcc
	v_cndmask_b32_e32 v14, v15, v20, vcc
	v_lshlrev_b32_e32 v15, 16, v12
	v_mov_b32_e32 v20, 0x3b800000
	v_lshlrev_b32_e32 v11, 20, v11
	v_and_b32_e32 v15, 0x80000000, v15
	v_lshl_add_u32 v14, v14, 23, v20
	v_or3_b32 v14, v15, v14, v11
.LBB51_1616:
	s_or_b64 exec, exec, s[6:7]
	s_nop 0
	v_mfma_f32_16x16x4f32 a[0:3], v10, v14, a[0:3]
	s_movk_i32 s4, 0xff
	v_and_b32_sdwa v11, v16, s4 dst_sel:DWORD dst_unused:UNUSED_PAD src0_sel:WORD_1 src1_sel:DWORD
	s_movk_i32 s4, 0x7f
	v_cmp_lt_i16_e32 vcc, s4, v11
	s_mov_b64 s[4:5], 0
                                        ; implicit-def: $sgpr10
	s_and_saveexec_b64 s[6:7], vcc
	s_xor_b64 s[6:7], exec, s[6:7]
	s_cbranch_execnz .LBB51_3665
; %bb.1617:
	s_or_saveexec_b64 s[6:7], s[6:7]
	v_mov_b32_e32 v10, s10
	s_xor_b64 exec, exec, s[6:7]
	s_cbranch_execnz .LBB51_3668
.LBB51_1618:
	s_or_b64 exec, exec, s[6:7]
	s_and_saveexec_b64 s[6:7], s[4:5]
	s_cbranch_execz .LBB51_1620
.LBB51_1619:
	v_bfe_u32 v10, v16, 16, 3
	v_ffbh_u32_e32 v15, v10
	v_min_u32_e32 v15, 32, v15
	v_lshrrev_b32_e32 v11, 19, v16
	v_subrev_u32_e32 v20, 28, v15
	v_and_b32_e32 v11, 15, v11
	v_lshlrev_b32_sdwa v20, v20, v16 dst_sel:DWORD dst_unused:UNUSED_PAD src0_sel:DWORD src1_sel:WORD_1
	v_bfe_u32 v14, v16, 19, 4
	v_sub_u32_e32 v15, 29, v15
	v_and_b32_e32 v20, 7, v20
	v_cmp_eq_u16_e32 vcc, 0, v11
	v_cndmask_b32_e32 v10, v10, v20, vcc
	v_cndmask_b32_e32 v11, v14, v15, vcc
	v_lshlrev_b32_e32 v14, 8, v16
	v_mov_b32_e32 v15, 0x3b800000
	v_lshlrev_b32_e32 v10, 20, v10
	v_and_b32_e32 v14, 0x80000000, v14
	v_lshl_add_u32 v11, v11, 23, v15
	v_or3_b32 v10, v14, v11, v10
.LBB51_1620:
	s_or_b64 exec, exec, s[6:7]
	s_movk_i32 s4, 0xff
	v_and_b32_sdwa v11, v12, s4 dst_sel:DWORD dst_unused:UNUSED_PAD src0_sel:WORD_1 src1_sel:DWORD
	s_movk_i32 s4, 0x7f
	v_cmp_lt_i16_e32 vcc, s4, v11
	s_mov_b64 s[4:5], 0
                                        ; implicit-def: $sgpr10
	s_and_saveexec_b64 s[6:7], vcc
	s_xor_b64 s[6:7], exec, s[6:7]
	s_cbranch_execnz .LBB51_3669
; %bb.1621:
	s_or_saveexec_b64 s[6:7], s[6:7]
	v_mov_b32_e32 v14, s10
	s_xor_b64 exec, exec, s[6:7]
	s_cbranch_execnz .LBB51_3672
.LBB51_1622:
	s_or_b64 exec, exec, s[6:7]
	s_and_saveexec_b64 s[6:7], s[4:5]
	s_cbranch_execz .LBB51_1624
.LBB51_1623:
	v_bfe_u32 v11, v12, 16, 3
	v_ffbh_u32_e32 v20, v11
	v_min_u32_e32 v20, 32, v20
	v_lshrrev_b32_e32 v14, 19, v12
	v_subrev_u32_e32 v21, 28, v20
	v_and_b32_e32 v14, 15, v14
	v_lshlrev_b32_sdwa v21, v21, v12 dst_sel:DWORD dst_unused:UNUSED_PAD src0_sel:DWORD src1_sel:WORD_1
	v_bfe_u32 v15, v12, 19, 4
	v_sub_u32_e32 v20, 29, v20
	v_and_b32_e32 v21, 7, v21
	v_cmp_eq_u16_e32 vcc, 0, v14
	v_cndmask_b32_e32 v11, v11, v21, vcc
	v_cndmask_b32_e32 v14, v15, v20, vcc
	v_lshlrev_b32_e32 v15, 8, v12
	v_mov_b32_e32 v20, 0x3b800000
	v_lshlrev_b32_e32 v11, 20, v11
	v_and_b32_e32 v15, 0x80000000, v15
	v_lshl_add_u32 v14, v14, 23, v20
	v_or3_b32 v14, v15, v14, v11
.LBB51_1624:
	s_or_b64 exec, exec, s[6:7]
	s_nop 0
	v_mfma_f32_16x16x4f32 a[0:3], v10, v14, a[0:3]
	s_movk_i32 s4, 0x7f
	v_cmp_gt_i16_sdwa s[6:7], v16, s4 src0_sel:BYTE_3 src1_sel:DWORD
	s_mov_b64 s[4:5], 0
                                        ; implicit-def: $sgpr10
	s_and_saveexec_b64 s[8:9], s[6:7]
	s_xor_b64 s[6:7], exec, s[8:9]
	s_cbranch_execnz .LBB51_3673
; %bb.1625:
	s_or_saveexec_b64 s[6:7], s[6:7]
	v_mov_b32_e32 v10, s10
	s_xor_b64 exec, exec, s[6:7]
	s_cbranch_execnz .LBB51_3676
.LBB51_1626:
	s_or_b64 exec, exec, s[6:7]
	s_and_saveexec_b64 s[6:7], s[4:5]
	s_cbranch_execz .LBB51_1628
.LBB51_1627:
	v_bfe_u32 v10, v16, 24, 3
	v_ffbh_u32_e32 v20, v10
	v_min_u32_e32 v20, 32, v20
	v_lshrrev_b32_e32 v14, 27, v16
	v_subrev_u32_e32 v21, 28, v20
	v_and_b32_e32 v11, 0x80000000, v16
	v_and_b32_e32 v14, 15, v14
	v_bfe_u32 v15, v16, 27, 4
	v_lshlrev_b32_sdwa v16, v21, v16 dst_sel:DWORD dst_unused:UNUSED_PAD src0_sel:DWORD src1_sel:BYTE_3
	v_sub_u32_e32 v20, 29, v20
	v_and_b32_e32 v16, 7, v16
	v_cmp_eq_u16_e32 vcc, 0, v14
	v_cndmask_b32_e32 v10, v10, v16, vcc
	v_cndmask_b32_e32 v14, v15, v20, vcc
	v_mov_b32_e32 v15, 0x3b800000
	v_lshlrev_b32_e32 v10, 20, v10
	v_lshl_add_u32 v14, v14, 23, v15
	v_or3_b32 v10, v11, v14, v10
.LBB51_1628:
	s_or_b64 exec, exec, s[6:7]
	s_movk_i32 s4, 0x7f
	v_cmp_gt_i16_sdwa s[6:7], v12, s4 src0_sel:BYTE_3 src1_sel:DWORD
	s_mov_b64 s[4:5], 0
                                        ; implicit-def: $sgpr10
	s_and_saveexec_b64 s[8:9], s[6:7]
	s_xor_b64 s[6:7], exec, s[8:9]
	s_cbranch_execnz .LBB51_3677
; %bb.1629:
	s_or_saveexec_b64 s[6:7], s[6:7]
	v_mov_b32_e32 v11, s10
	s_xor_b64 exec, exec, s[6:7]
	s_cbranch_execnz .LBB51_3680
.LBB51_1630:
	s_or_b64 exec, exec, s[6:7]
	s_and_saveexec_b64 s[6:7], s[4:5]
	s_cbranch_execz .LBB51_1632
.LBB51_1631:
	v_bfe_u32 v11, v12, 24, 3
	v_ffbh_u32_e32 v20, v11
	v_min_u32_e32 v20, 32, v20
	v_lshrrev_b32_e32 v15, 27, v12
	v_subrev_u32_e32 v21, 28, v20
	v_and_b32_e32 v14, 0x80000000, v12
	v_and_b32_e32 v15, 15, v15
	v_bfe_u32 v16, v12, 27, 4
	v_lshlrev_b32_sdwa v12, v21, v12 dst_sel:DWORD dst_unused:UNUSED_PAD src0_sel:DWORD src1_sel:BYTE_3
	v_sub_u32_e32 v20, 29, v20
	v_and_b32_e32 v12, 7, v12
	v_cmp_eq_u16_e32 vcc, 0, v15
	v_cndmask_b32_e32 v11, v11, v12, vcc
	v_cndmask_b32_e32 v12, v16, v20, vcc
	v_mov_b32_e32 v15, 0x3b800000
	v_lshlrev_b32_e32 v11, 20, v11
	v_lshl_add_u32 v12, v12, 23, v15
	v_or3_b32 v11, v14, v12, v11
.LBB51_1632:
	s_or_b64 exec, exec, s[6:7]
	s_nop 0
	v_mfma_f32_16x16x4f32 a[0:3], v10, v11, a[0:3]
	s_movk_i32 s4, 0x7f
	v_cmp_gt_i16_sdwa s[6:7], v17, s4 src0_sel:BYTE_0 src1_sel:DWORD
	s_mov_b64 s[4:5], 0
                                        ; implicit-def: $sgpr10
	s_and_saveexec_b64 s[8:9], s[6:7]
	s_xor_b64 s[6:7], exec, s[8:9]
	s_cbranch_execnz .LBB51_3681
; %bb.1633:
	s_or_saveexec_b64 s[6:7], s[6:7]
	v_mov_b32_e32 v10, s10
	s_xor_b64 exec, exec, s[6:7]
	s_cbranch_execnz .LBB51_3684
.LBB51_1634:
	s_or_b64 exec, exec, s[6:7]
	s_and_saveexec_b64 s[6:7], s[4:5]
	s_cbranch_execz .LBB51_1636
.LBB51_1635:
	v_and_b32_e32 v10, 7, v17
	v_ffbh_u32_e32 v12, v10
	v_min_u32_e32 v12, 32, v12
	v_lshrrev_b16_e32 v11, 3, v17
	v_subrev_u32_e32 v14, 28, v12
	v_and_b32_e32 v11, 15, v11
	v_lshlrev_b32_e32 v14, v14, v17
	v_sub_u32_e32 v12, 29, v12
	v_and_b32_e32 v14, 7, v14
	v_cmp_eq_u16_e32 vcc, 0, v11
	v_cndmask_b32_e32 v10, v10, v14, vcc
	v_cndmask_b32_e32 v11, v11, v12, vcc
	v_lshlrev_b32_e32 v12, 24, v17
	v_mov_b32_e32 v14, 0x3b800000
	v_lshlrev_b32_e32 v10, 20, v10
	v_and_b32_e32 v12, 0x80000000, v12
	v_lshl_add_u32 v11, v11, 23, v14
	v_or3_b32 v10, v12, v11, v10
.LBB51_1636:
	s_or_b64 exec, exec, s[6:7]
	s_movk_i32 s4, 0x7f
	v_cmp_gt_i16_sdwa s[6:7], v13, s4 src0_sel:BYTE_0 src1_sel:DWORD
	s_mov_b64 s[4:5], 0
                                        ; implicit-def: $sgpr10
	s_and_saveexec_b64 s[8:9], s[6:7]
	s_xor_b64 s[6:7], exec, s[8:9]
	s_cbranch_execnz .LBB51_3685
; %bb.1637:
	s_or_saveexec_b64 s[6:7], s[6:7]
	v_mov_b32_e32 v11, s10
	s_xor_b64 exec, exec, s[6:7]
	s_cbranch_execnz .LBB51_3688
.LBB51_1638:
	s_or_b64 exec, exec, s[6:7]
	s_and_saveexec_b64 s[6:7], s[4:5]
	s_cbranch_execz .LBB51_1640
.LBB51_1639:
	v_and_b32_e32 v11, 7, v13
	v_ffbh_u32_e32 v14, v11
	v_min_u32_e32 v14, 32, v14
	v_lshrrev_b16_e32 v12, 3, v13
	v_subrev_u32_e32 v15, 28, v14
	v_and_b32_e32 v12, 15, v12
	v_lshlrev_b32_e32 v15, v15, v13
	v_sub_u32_e32 v14, 29, v14
	v_and_b32_e32 v15, 7, v15
	v_cmp_eq_u16_e32 vcc, 0, v12
	v_cndmask_b32_e32 v11, v11, v15, vcc
	v_cndmask_b32_e32 v12, v12, v14, vcc
	v_lshlrev_b32_e32 v14, 24, v13
	v_mov_b32_e32 v15, 0x3b800000
	v_lshlrev_b32_e32 v11, 20, v11
	v_and_b32_e32 v14, 0x80000000, v14
	v_lshl_add_u32 v12, v12, 23, v15
	v_or3_b32 v11, v14, v12, v11
.LBB51_1640:
	s_or_b64 exec, exec, s[6:7]
	s_nop 0
	v_mfma_f32_16x16x4f32 a[0:3], v10, v11, a[0:3]
	v_lshrrev_b32_e32 v11, 8, v17
	s_movk_i32 s4, 0x7f
	v_cmp_gt_i16_sdwa s[6:7], v11, s4 src0_sel:BYTE_0 src1_sel:DWORD
	s_mov_b64 s[4:5], 0
                                        ; implicit-def: $sgpr10
	s_and_saveexec_b64 s[8:9], s[6:7]
	s_xor_b64 s[6:7], exec, s[8:9]
	s_cbranch_execnz .LBB51_3689
; %bb.1641:
	s_or_saveexec_b64 s[6:7], s[6:7]
	v_mov_b32_e32 v10, s10
	s_xor_b64 exec, exec, s[6:7]
	s_cbranch_execnz .LBB51_3692
.LBB51_1642:
	s_or_b64 exec, exec, s[6:7]
	s_and_saveexec_b64 s[6:7], s[4:5]
	s_cbranch_execz .LBB51_1644
.LBB51_1643:
	v_bfe_u32 v10, v17, 8, 3
	v_ffbh_u32_e32 v14, v10
	v_min_u32_e32 v14, 32, v14
	v_lshrrev_b16_e32 v12, 3, v11
	v_subrev_u32_e32 v15, 28, v14
	v_and_b32_e32 v12, 15, v12
	v_lshlrev_b32_e32 v11, v15, v11
	v_sub_u32_e32 v14, 29, v14
	v_and_b32_e32 v11, 7, v11
	v_cmp_eq_u16_e32 vcc, 0, v12
	v_cndmask_b32_e32 v10, v10, v11, vcc
	v_cndmask_b32_e32 v11, v12, v14, vcc
	v_lshlrev_b32_e32 v12, 16, v17
	v_mov_b32_e32 v14, 0x3b800000
	v_lshlrev_b32_e32 v10, 20, v10
	v_and_b32_e32 v12, 0x80000000, v12
	v_lshl_add_u32 v11, v11, 23, v14
	v_or3_b32 v10, v12, v11, v10
.LBB51_1644:
	s_or_b64 exec, exec, s[6:7]
	v_lshrrev_b32_e32 v11, 8, v13
	s_movk_i32 s4, 0x7f
	v_cmp_gt_i16_sdwa s[6:7], v11, s4 src0_sel:BYTE_0 src1_sel:DWORD
	s_mov_b64 s[4:5], 0
                                        ; implicit-def: $sgpr10
	s_and_saveexec_b64 s[8:9], s[6:7]
	s_xor_b64 s[6:7], exec, s[8:9]
	s_cbranch_execnz .LBB51_3693
; %bb.1645:
	s_or_saveexec_b64 s[6:7], s[6:7]
	v_mov_b32_e32 v12, s10
	s_xor_b64 exec, exec, s[6:7]
	s_cbranch_execnz .LBB51_3696
.LBB51_1646:
	s_or_b64 exec, exec, s[6:7]
	s_and_saveexec_b64 s[6:7], s[4:5]
	s_cbranch_execz .LBB51_1648
.LBB51_1647:
	v_bfe_u32 v12, v13, 8, 3
	v_ffbh_u32_e32 v15, v12
	v_min_u32_e32 v15, 32, v15
	v_lshrrev_b16_e32 v14, 3, v11
	v_subrev_u32_e32 v16, 28, v15
	v_and_b32_e32 v14, 15, v14
	v_lshlrev_b32_e32 v11, v16, v11
	v_sub_u32_e32 v15, 29, v15
	v_and_b32_e32 v11, 7, v11
	v_cmp_eq_u16_e32 vcc, 0, v14
	v_cndmask_b32_e32 v11, v12, v11, vcc
	v_cndmask_b32_e32 v12, v14, v15, vcc
	v_lshlrev_b32_e32 v14, 16, v13
	v_mov_b32_e32 v15, 0x3b800000
	v_lshlrev_b32_e32 v11, 20, v11
	v_and_b32_e32 v14, 0x80000000, v14
	v_lshl_add_u32 v12, v12, 23, v15
	v_or3_b32 v12, v14, v12, v11
.LBB51_1648:
	s_or_b64 exec, exec, s[6:7]
	s_nop 0
	v_mfma_f32_16x16x4f32 a[0:3], v10, v12, a[0:3]
	s_movk_i32 s4, 0xff
	v_and_b32_sdwa v11, v17, s4 dst_sel:DWORD dst_unused:UNUSED_PAD src0_sel:WORD_1 src1_sel:DWORD
	s_movk_i32 s4, 0x7f
	v_cmp_lt_i16_e32 vcc, s4, v11
	s_mov_b64 s[4:5], 0
                                        ; implicit-def: $sgpr10
	s_and_saveexec_b64 s[6:7], vcc
	s_xor_b64 s[6:7], exec, s[6:7]
	s_cbranch_execnz .LBB51_3697
; %bb.1649:
	s_or_saveexec_b64 s[6:7], s[6:7]
	v_mov_b32_e32 v10, s10
	s_xor_b64 exec, exec, s[6:7]
	s_cbranch_execnz .LBB51_3700
.LBB51_1650:
	s_or_b64 exec, exec, s[6:7]
	s_and_saveexec_b64 s[6:7], s[4:5]
	s_cbranch_execz .LBB51_1652
.LBB51_1651:
	v_bfe_u32 v10, v17, 16, 3
	v_ffbh_u32_e32 v14, v10
	v_min_u32_e32 v14, 32, v14
	v_lshrrev_b32_e32 v11, 19, v17
	v_subrev_u32_e32 v15, 28, v14
	v_and_b32_e32 v11, 15, v11
	v_lshlrev_b32_sdwa v15, v15, v17 dst_sel:DWORD dst_unused:UNUSED_PAD src0_sel:DWORD src1_sel:WORD_1
	v_bfe_u32 v12, v17, 19, 4
	v_sub_u32_e32 v14, 29, v14
	v_and_b32_e32 v15, 7, v15
	v_cmp_eq_u16_e32 vcc, 0, v11
	v_cndmask_b32_e32 v10, v10, v15, vcc
	v_cndmask_b32_e32 v11, v12, v14, vcc
	v_lshlrev_b32_e32 v12, 8, v17
	v_mov_b32_e32 v14, 0x3b800000
	v_lshlrev_b32_e32 v10, 20, v10
	v_and_b32_e32 v12, 0x80000000, v12
	v_lshl_add_u32 v11, v11, 23, v14
	v_or3_b32 v10, v12, v11, v10
.LBB51_1652:
	s_or_b64 exec, exec, s[6:7]
	s_movk_i32 s4, 0xff
	v_and_b32_sdwa v11, v13, s4 dst_sel:DWORD dst_unused:UNUSED_PAD src0_sel:WORD_1 src1_sel:DWORD
	s_movk_i32 s4, 0x7f
	v_cmp_lt_i16_e32 vcc, s4, v11
	s_mov_b64 s[4:5], 0
                                        ; implicit-def: $sgpr10
	s_and_saveexec_b64 s[6:7], vcc
	s_xor_b64 s[6:7], exec, s[6:7]
	s_cbranch_execnz .LBB51_3701
; %bb.1653:
	s_or_saveexec_b64 s[6:7], s[6:7]
	v_mov_b32_e32 v12, s10
	s_xor_b64 exec, exec, s[6:7]
	s_cbranch_execnz .LBB51_3704
.LBB51_1654:
	s_or_b64 exec, exec, s[6:7]
	s_and_saveexec_b64 s[6:7], s[4:5]
	s_cbranch_execz .LBB51_1656
.LBB51_1655:
	v_bfe_u32 v11, v13, 16, 3
	v_ffbh_u32_e32 v15, v11
	v_min_u32_e32 v15, 32, v15
	v_lshrrev_b32_e32 v12, 19, v13
	v_subrev_u32_e32 v16, 28, v15
	v_and_b32_e32 v12, 15, v12
	v_lshlrev_b32_sdwa v16, v16, v13 dst_sel:DWORD dst_unused:UNUSED_PAD src0_sel:DWORD src1_sel:WORD_1
	v_bfe_u32 v14, v13, 19, 4
	v_sub_u32_e32 v15, 29, v15
	v_and_b32_e32 v16, 7, v16
	v_cmp_eq_u16_e32 vcc, 0, v12
	v_cndmask_b32_e32 v11, v11, v16, vcc
	v_cndmask_b32_e32 v12, v14, v15, vcc
	v_lshlrev_b32_e32 v14, 8, v13
	v_mov_b32_e32 v15, 0x3b800000
	v_lshlrev_b32_e32 v11, 20, v11
	v_and_b32_e32 v14, 0x80000000, v14
	v_lshl_add_u32 v12, v12, 23, v15
	v_or3_b32 v12, v14, v12, v11
.LBB51_1656:
	s_or_b64 exec, exec, s[6:7]
	s_nop 0
	v_mfma_f32_16x16x4f32 a[0:3], v10, v12, a[0:3]
	s_movk_i32 s4, 0x7f
	v_cmp_gt_i16_sdwa s[6:7], v17, s4 src0_sel:BYTE_3 src1_sel:DWORD
	s_mov_b64 s[4:5], 0
                                        ; implicit-def: $sgpr10
	s_and_saveexec_b64 s[8:9], s[6:7]
	s_xor_b64 s[6:7], exec, s[8:9]
	s_cbranch_execnz .LBB51_3705
; %bb.1657:
	s_or_saveexec_b64 s[6:7], s[6:7]
	v_mov_b32_e32 v10, s10
	s_xor_b64 exec, exec, s[6:7]
	s_cbranch_execnz .LBB51_3708
.LBB51_1658:
	s_or_b64 exec, exec, s[6:7]
	s_and_saveexec_b64 s[6:7], s[4:5]
	s_cbranch_execz .LBB51_1660
.LBB51_1659:
	v_bfe_u32 v10, v17, 24, 3
	v_ffbh_u32_e32 v15, v10
	v_min_u32_e32 v15, 32, v15
	v_lshrrev_b32_e32 v12, 27, v17
	v_subrev_u32_e32 v16, 28, v15
	v_and_b32_e32 v12, 15, v12
	v_lshlrev_b32_sdwa v16, v16, v17 dst_sel:DWORD dst_unused:UNUSED_PAD src0_sel:DWORD src1_sel:BYTE_3
	v_bfe_u32 v14, v17, 27, 4
	v_sub_u32_e32 v15, 29, v15
	v_and_b32_e32 v16, 7, v16
	v_cmp_eq_u16_e32 vcc, 0, v12
	v_cndmask_b32_e32 v10, v10, v16, vcc
	v_cndmask_b32_e32 v12, v14, v15, vcc
	v_mov_b32_e32 v14, 0x3b800000
	v_and_b32_e32 v11, 0x80000000, v17
	v_lshlrev_b32_e32 v10, 20, v10
	v_lshl_add_u32 v12, v12, 23, v14
	v_or3_b32 v10, v11, v12, v10
.LBB51_1660:
	s_or_b64 exec, exec, s[6:7]
	s_movk_i32 s4, 0x7f
	v_cmp_gt_i16_sdwa s[6:7], v13, s4 src0_sel:BYTE_3 src1_sel:DWORD
	s_mov_b64 s[4:5], 0
                                        ; implicit-def: $sgpr10
	s_and_saveexec_b64 s[8:9], s[6:7]
	s_xor_b64 s[6:7], exec, s[8:9]
	s_cbranch_execnz .LBB51_3709
; %bb.1661:
	s_or_saveexec_b64 s[6:7], s[6:7]
	v_mov_b32_e32 v11, s10
	s_xor_b64 exec, exec, s[6:7]
	s_cbranch_execnz .LBB51_3712
.LBB51_1662:
	s_or_b64 exec, exec, s[6:7]
	s_and_saveexec_b64 s[6:7], s[4:5]
	s_cbranch_execz .LBB51_1664
.LBB51_1663:
	v_bfe_u32 v11, v13, 24, 3
	v_ffbh_u32_e32 v16, v11
	v_min_u32_e32 v16, 32, v16
	v_lshrrev_b32_e32 v14, 27, v13
	v_subrev_u32_e32 v17, 28, v16
	v_and_b32_e32 v12, 0x80000000, v13
	v_and_b32_e32 v14, 15, v14
	v_bfe_u32 v15, v13, 27, 4
	v_lshlrev_b32_sdwa v13, v17, v13 dst_sel:DWORD dst_unused:UNUSED_PAD src0_sel:DWORD src1_sel:BYTE_3
	v_sub_u32_e32 v16, 29, v16
	v_and_b32_e32 v13, 7, v13
	v_cmp_eq_u16_e32 vcc, 0, v14
	v_cndmask_b32_e32 v11, v11, v13, vcc
	v_cndmask_b32_e32 v13, v15, v16, vcc
	v_mov_b32_e32 v14, 0x3b800000
	v_lshlrev_b32_e32 v11, 20, v11
	v_lshl_add_u32 v13, v13, 23, v14
	v_or3_b32 v11, v12, v13, v11
.LBB51_1664:
	s_or_b64 exec, exec, s[6:7]
	s_nop 0
	v_mfma_f32_16x16x4f32 a[0:3], v10, v11, a[0:3]
	s_movk_i32 s4, 0x7f
	v_cmp_gt_i16_sdwa s[6:7], v6, s4 src0_sel:BYTE_0 src1_sel:DWORD
	s_mov_b64 s[4:5], 0
                                        ; implicit-def: $sgpr10
	s_and_saveexec_b64 s[8:9], s[6:7]
	s_xor_b64 s[6:7], exec, s[8:9]
	s_cbranch_execnz .LBB51_3713
; %bb.1665:
	s_or_saveexec_b64 s[6:7], s[6:7]
	v_mov_b32_e32 v10, s10
	s_xor_b64 exec, exec, s[6:7]
	s_cbranch_execnz .LBB51_3716
.LBB51_1666:
	s_or_b64 exec, exec, s[6:7]
	s_and_saveexec_b64 s[6:7], s[4:5]
	s_cbranch_execz .LBB51_1668
.LBB51_1667:
	v_and_b32_e32 v10, 7, v6
	v_ffbh_u32_e32 v12, v10
	v_min_u32_e32 v12, 32, v12
	v_lshrrev_b16_e32 v11, 3, v6
	v_subrev_u32_e32 v13, 28, v12
	v_and_b32_e32 v11, 15, v11
	v_lshlrev_b32_e32 v13, v13, v6
	v_sub_u32_e32 v12, 29, v12
	v_and_b32_e32 v13, 7, v13
	v_cmp_eq_u16_e32 vcc, 0, v11
	v_cndmask_b32_e32 v10, v10, v13, vcc
	v_cndmask_b32_e32 v11, v11, v12, vcc
	v_lshlrev_b32_e32 v12, 24, v6
	v_mov_b32_e32 v13, 0x3b800000
	v_lshlrev_b32_e32 v10, 20, v10
	v_and_b32_e32 v12, 0x80000000, v12
	v_lshl_add_u32 v11, v11, 23, v13
	v_or3_b32 v10, v12, v11, v10
.LBB51_1668:
	s_or_b64 exec, exec, s[6:7]
	s_movk_i32 s4, 0x7f
	v_cmp_gt_i16_sdwa s[6:7], v2, s4 src0_sel:BYTE_0 src1_sel:DWORD
	s_mov_b64 s[4:5], 0
                                        ; implicit-def: $sgpr10
	s_and_saveexec_b64 s[8:9], s[6:7]
	s_xor_b64 s[6:7], exec, s[8:9]
	s_cbranch_execnz .LBB51_3717
; %bb.1669:
	s_or_saveexec_b64 s[6:7], s[6:7]
	v_mov_b32_e32 v11, s10
	s_xor_b64 exec, exec, s[6:7]
	s_cbranch_execnz .LBB51_3720
.LBB51_1670:
	s_or_b64 exec, exec, s[6:7]
	s_and_saveexec_b64 s[6:7], s[4:5]
	s_cbranch_execz .LBB51_1672
.LBB51_1671:
	v_and_b32_e32 v11, 7, v2
	v_ffbh_u32_e32 v13, v11
	v_min_u32_e32 v13, 32, v13
	v_lshrrev_b16_e32 v12, 3, v2
	v_subrev_u32_e32 v14, 28, v13
	v_and_b32_e32 v12, 15, v12
	v_lshlrev_b32_e32 v14, v14, v2
	v_sub_u32_e32 v13, 29, v13
	v_and_b32_e32 v14, 7, v14
	v_cmp_eq_u16_e32 vcc, 0, v12
	v_cndmask_b32_e32 v11, v11, v14, vcc
	v_cndmask_b32_e32 v12, v12, v13, vcc
	v_lshlrev_b32_e32 v13, 24, v2
	v_mov_b32_e32 v14, 0x3b800000
	v_lshlrev_b32_e32 v11, 20, v11
	v_and_b32_e32 v13, 0x80000000, v13
	v_lshl_add_u32 v12, v12, 23, v14
	v_or3_b32 v11, v13, v12, v11
.LBB51_1672:
	s_or_b64 exec, exec, s[6:7]
	s_nop 0
	v_mfma_f32_16x16x4f32 a[0:3], v10, v11, a[0:3]
	v_lshrrev_b32_e32 v11, 8, v6
	s_movk_i32 s4, 0x7f
	v_cmp_gt_i16_sdwa s[6:7], v11, s4 src0_sel:BYTE_0 src1_sel:DWORD
	s_mov_b64 s[4:5], 0
                                        ; implicit-def: $sgpr10
	s_and_saveexec_b64 s[8:9], s[6:7]
	s_xor_b64 s[6:7], exec, s[8:9]
	s_cbranch_execnz .LBB51_3721
; %bb.1673:
	s_or_saveexec_b64 s[6:7], s[6:7]
	v_mov_b32_e32 v10, s10
	s_xor_b64 exec, exec, s[6:7]
	s_cbranch_execnz .LBB51_3724
.LBB51_1674:
	s_or_b64 exec, exec, s[6:7]
	s_and_saveexec_b64 s[6:7], s[4:5]
	s_cbranch_execz .LBB51_1676
.LBB51_1675:
	v_bfe_u32 v10, v6, 8, 3
	v_ffbh_u32_e32 v13, v10
	v_min_u32_e32 v13, 32, v13
	v_lshrrev_b16_e32 v12, 3, v11
	v_subrev_u32_e32 v14, 28, v13
	v_and_b32_e32 v12, 15, v12
	v_lshlrev_b32_e32 v11, v14, v11
	v_sub_u32_e32 v13, 29, v13
	v_and_b32_e32 v11, 7, v11
	v_cmp_eq_u16_e32 vcc, 0, v12
	v_cndmask_b32_e32 v10, v10, v11, vcc
	v_cndmask_b32_e32 v11, v12, v13, vcc
	v_lshlrev_b32_e32 v12, 16, v6
	v_mov_b32_e32 v13, 0x3b800000
	v_lshlrev_b32_e32 v10, 20, v10
	v_and_b32_e32 v12, 0x80000000, v12
	v_lshl_add_u32 v11, v11, 23, v13
	v_or3_b32 v10, v12, v11, v10
.LBB51_1676:
	s_or_b64 exec, exec, s[6:7]
	v_lshrrev_b32_e32 v11, 8, v2
	s_movk_i32 s4, 0x7f
	v_cmp_gt_i16_sdwa s[6:7], v11, s4 src0_sel:BYTE_0 src1_sel:DWORD
	s_mov_b64 s[4:5], 0
                                        ; implicit-def: $sgpr10
	s_and_saveexec_b64 s[8:9], s[6:7]
	s_xor_b64 s[6:7], exec, s[8:9]
	s_cbranch_execnz .LBB51_3725
; %bb.1677:
	s_or_saveexec_b64 s[6:7], s[6:7]
	v_mov_b32_e32 v12, s10
	s_xor_b64 exec, exec, s[6:7]
	s_cbranch_execnz .LBB51_3728
.LBB51_1678:
	s_or_b64 exec, exec, s[6:7]
	s_and_saveexec_b64 s[6:7], s[4:5]
	s_cbranch_execz .LBB51_1680
.LBB51_1679:
	v_bfe_u32 v12, v2, 8, 3
	v_ffbh_u32_e32 v14, v12
	v_min_u32_e32 v14, 32, v14
	v_lshrrev_b16_e32 v13, 3, v11
	v_subrev_u32_e32 v15, 28, v14
	v_and_b32_e32 v13, 15, v13
	v_lshlrev_b32_e32 v11, v15, v11
	v_sub_u32_e32 v14, 29, v14
	v_and_b32_e32 v11, 7, v11
	v_cmp_eq_u16_e32 vcc, 0, v13
	v_cndmask_b32_e32 v11, v12, v11, vcc
	v_cndmask_b32_e32 v12, v13, v14, vcc
	v_lshlrev_b32_e32 v13, 16, v2
	v_mov_b32_e32 v14, 0x3b800000
	v_lshlrev_b32_e32 v11, 20, v11
	v_and_b32_e32 v13, 0x80000000, v13
	v_lshl_add_u32 v12, v12, 23, v14
	v_or3_b32 v12, v13, v12, v11
.LBB51_1680:
	s_or_b64 exec, exec, s[6:7]
	s_nop 0
	v_mfma_f32_16x16x4f32 a[0:3], v10, v12, a[0:3]
	s_movk_i32 s4, 0xff
	v_and_b32_sdwa v11, v6, s4 dst_sel:DWORD dst_unused:UNUSED_PAD src0_sel:WORD_1 src1_sel:DWORD
	s_movk_i32 s4, 0x7f
	v_cmp_lt_i16_e32 vcc, s4, v11
	s_mov_b64 s[4:5], 0
                                        ; implicit-def: $sgpr10
	s_and_saveexec_b64 s[6:7], vcc
	s_xor_b64 s[6:7], exec, s[6:7]
	s_cbranch_execnz .LBB51_3729
; %bb.1681:
	s_or_saveexec_b64 s[6:7], s[6:7]
	v_mov_b32_e32 v10, s10
	s_xor_b64 exec, exec, s[6:7]
	s_cbranch_execnz .LBB51_3732
.LBB51_1682:
	s_or_b64 exec, exec, s[6:7]
	s_and_saveexec_b64 s[6:7], s[4:5]
	s_cbranch_execz .LBB51_1684
.LBB51_1683:
	v_bfe_u32 v10, v6, 16, 3
	v_ffbh_u32_e32 v13, v10
	v_min_u32_e32 v13, 32, v13
	v_lshrrev_b32_e32 v11, 19, v6
	v_subrev_u32_e32 v14, 28, v13
	v_and_b32_e32 v11, 15, v11
	v_lshlrev_b32_sdwa v14, v14, v6 dst_sel:DWORD dst_unused:UNUSED_PAD src0_sel:DWORD src1_sel:WORD_1
	v_bfe_u32 v12, v6, 19, 4
	v_sub_u32_e32 v13, 29, v13
	v_and_b32_e32 v14, 7, v14
	v_cmp_eq_u16_e32 vcc, 0, v11
	v_cndmask_b32_e32 v10, v10, v14, vcc
	v_cndmask_b32_e32 v11, v12, v13, vcc
	v_lshlrev_b32_e32 v12, 8, v6
	v_mov_b32_e32 v13, 0x3b800000
	v_lshlrev_b32_e32 v10, 20, v10
	v_and_b32_e32 v12, 0x80000000, v12
	v_lshl_add_u32 v11, v11, 23, v13
	v_or3_b32 v10, v12, v11, v10
.LBB51_1684:
	s_or_b64 exec, exec, s[6:7]
	s_movk_i32 s4, 0xff
	v_and_b32_sdwa v11, v2, s4 dst_sel:DWORD dst_unused:UNUSED_PAD src0_sel:WORD_1 src1_sel:DWORD
	s_movk_i32 s4, 0x7f
	v_cmp_lt_i16_e32 vcc, s4, v11
	s_mov_b64 s[4:5], 0
                                        ; implicit-def: $sgpr10
	s_and_saveexec_b64 s[6:7], vcc
	s_xor_b64 s[6:7], exec, s[6:7]
	s_cbranch_execnz .LBB51_3733
; %bb.1685:
	s_or_saveexec_b64 s[6:7], s[6:7]
	v_mov_b32_e32 v12, s10
	s_xor_b64 exec, exec, s[6:7]
	s_cbranch_execnz .LBB51_3736
.LBB51_1686:
	s_or_b64 exec, exec, s[6:7]
	s_and_saveexec_b64 s[6:7], s[4:5]
	s_cbranch_execz .LBB51_1688
.LBB51_1687:
	v_bfe_u32 v11, v2, 16, 3
	v_ffbh_u32_e32 v14, v11
	v_min_u32_e32 v14, 32, v14
	v_lshrrev_b32_e32 v12, 19, v2
	v_subrev_u32_e32 v15, 28, v14
	v_and_b32_e32 v12, 15, v12
	v_lshlrev_b32_sdwa v15, v15, v2 dst_sel:DWORD dst_unused:UNUSED_PAD src0_sel:DWORD src1_sel:WORD_1
	v_bfe_u32 v13, v2, 19, 4
	v_sub_u32_e32 v14, 29, v14
	v_and_b32_e32 v15, 7, v15
	v_cmp_eq_u16_e32 vcc, 0, v12
	v_cndmask_b32_e32 v11, v11, v15, vcc
	v_cndmask_b32_e32 v12, v13, v14, vcc
	v_lshlrev_b32_e32 v13, 8, v2
	v_mov_b32_e32 v14, 0x3b800000
	v_lshlrev_b32_e32 v11, 20, v11
	v_and_b32_e32 v13, 0x80000000, v13
	v_lshl_add_u32 v12, v12, 23, v14
	v_or3_b32 v12, v13, v12, v11
.LBB51_1688:
	s_or_b64 exec, exec, s[6:7]
	s_nop 0
	v_mfma_f32_16x16x4f32 a[0:3], v10, v12, a[0:3]
	s_movk_i32 s4, 0x7f
	v_cmp_gt_i16_sdwa s[6:7], v6, s4 src0_sel:BYTE_3 src1_sel:DWORD
	s_mov_b64 s[4:5], 0
                                        ; implicit-def: $sgpr10
	s_and_saveexec_b64 s[8:9], s[6:7]
	s_xor_b64 s[6:7], exec, s[8:9]
	s_cbranch_execnz .LBB51_3737
; %bb.1689:
	s_or_saveexec_b64 s[6:7], s[6:7]
	v_mov_b32_e32 v10, s10
	s_xor_b64 exec, exec, s[6:7]
	s_cbranch_execnz .LBB51_3740
.LBB51_1690:
	s_or_b64 exec, exec, s[6:7]
	s_and_saveexec_b64 s[6:7], s[4:5]
	s_cbranch_execz .LBB51_1692
.LBB51_1691:
	v_bfe_u32 v10, v6, 24, 3
	v_ffbh_u32_e32 v14, v10
	v_min_u32_e32 v14, 32, v14
	v_lshrrev_b32_e32 v12, 27, v6
	v_subrev_u32_e32 v15, 28, v14
	v_and_b32_e32 v11, 0x80000000, v6
	v_and_b32_e32 v12, 15, v12
	v_bfe_u32 v13, v6, 27, 4
	v_lshlrev_b32_sdwa v6, v15, v6 dst_sel:DWORD dst_unused:UNUSED_PAD src0_sel:DWORD src1_sel:BYTE_3
	v_sub_u32_e32 v14, 29, v14
	v_and_b32_e32 v6, 7, v6
	v_cmp_eq_u16_e32 vcc, 0, v12
	v_cndmask_b32_e32 v6, v10, v6, vcc
	v_cndmask_b32_e32 v10, v13, v14, vcc
	v_mov_b32_e32 v12, 0x3b800000
	v_lshlrev_b32_e32 v6, 20, v6
	v_lshl_add_u32 v10, v10, 23, v12
	v_or3_b32 v10, v11, v10, v6
.LBB51_1692:
	s_or_b64 exec, exec, s[6:7]
	s_movk_i32 s4, 0x7f
	v_cmp_gt_i16_sdwa s[6:7], v2, s4 src0_sel:BYTE_3 src1_sel:DWORD
	s_mov_b64 s[4:5], 0
                                        ; implicit-def: $sgpr10
	s_and_saveexec_b64 s[8:9], s[6:7]
	s_xor_b64 s[6:7], exec, s[8:9]
	s_cbranch_execnz .LBB51_3741
; %bb.1693:
	s_or_saveexec_b64 s[6:7], s[6:7]
	v_mov_b32_e32 v6, s10
	s_xor_b64 exec, exec, s[6:7]
	s_cbranch_execnz .LBB51_3744
.LBB51_1694:
	s_or_b64 exec, exec, s[6:7]
	s_and_saveexec_b64 s[6:7], s[4:5]
	s_cbranch_execz .LBB51_1696
.LBB51_1695:
	v_bfe_u32 v6, v2, 24, 3
	v_ffbh_u32_e32 v14, v6
	v_min_u32_e32 v14, 32, v14
	v_lshrrev_b32_e32 v12, 27, v2
	v_subrev_u32_e32 v15, 28, v14
	v_and_b32_e32 v11, 0x80000000, v2
	v_and_b32_e32 v12, 15, v12
	v_bfe_u32 v13, v2, 27, 4
	v_lshlrev_b32_sdwa v2, v15, v2 dst_sel:DWORD dst_unused:UNUSED_PAD src0_sel:DWORD src1_sel:BYTE_3
	v_sub_u32_e32 v14, 29, v14
	v_and_b32_e32 v2, 7, v2
	v_cmp_eq_u16_e32 vcc, 0, v12
	v_cndmask_b32_e32 v2, v6, v2, vcc
	v_cndmask_b32_e32 v6, v13, v14, vcc
	v_mov_b32_e32 v12, 0x3b800000
	v_lshlrev_b32_e32 v2, 20, v2
	v_lshl_add_u32 v6, v6, 23, v12
	v_or3_b32 v6, v11, v6, v2
.LBB51_1696:
	s_or_b64 exec, exec, s[6:7]
	s_nop 0
	v_mfma_f32_16x16x4f32 a[0:3], v10, v6, a[0:3]
	s_movk_i32 s4, 0x7f
	v_cmp_gt_i16_sdwa s[6:7], v7, s4 src0_sel:BYTE_0 src1_sel:DWORD
	s_mov_b64 s[4:5], 0
                                        ; implicit-def: $sgpr10
	s_and_saveexec_b64 s[8:9], s[6:7]
	s_xor_b64 s[6:7], exec, s[8:9]
	s_cbranch_execnz .LBB51_3745
; %bb.1697:
	s_or_saveexec_b64 s[6:7], s[6:7]
	v_mov_b32_e32 v2, s10
	s_xor_b64 exec, exec, s[6:7]
	s_cbranch_execnz .LBB51_3748
.LBB51_1698:
	s_or_b64 exec, exec, s[6:7]
	s_and_saveexec_b64 s[6:7], s[4:5]
	s_cbranch_execz .LBB51_1700
.LBB51_1699:
	v_and_b32_e32 v2, 7, v7
	v_ffbh_u32_e32 v10, v2
	v_min_u32_e32 v10, 32, v10
	v_lshrrev_b16_e32 v6, 3, v7
	v_subrev_u32_e32 v11, 28, v10
	v_and_b32_e32 v6, 15, v6
	v_lshlrev_b32_e32 v11, v11, v7
	v_sub_u32_e32 v10, 29, v10
	v_and_b32_e32 v11, 7, v11
	v_cmp_eq_u16_e32 vcc, 0, v6
	v_cndmask_b32_e32 v2, v2, v11, vcc
	v_cndmask_b32_e32 v6, v6, v10, vcc
	v_lshlrev_b32_e32 v10, 24, v7
	v_mov_b32_e32 v11, 0x3b800000
	v_lshlrev_b32_e32 v2, 20, v2
	v_and_b32_e32 v10, 0x80000000, v10
	v_lshl_add_u32 v6, v6, 23, v11
	v_or3_b32 v2, v10, v6, v2
.LBB51_1700:
	s_or_b64 exec, exec, s[6:7]
	s_movk_i32 s4, 0x7f
	v_cmp_gt_i16_sdwa s[6:7], v3, s4 src0_sel:BYTE_0 src1_sel:DWORD
	s_mov_b64 s[4:5], 0
                                        ; implicit-def: $sgpr10
	s_and_saveexec_b64 s[8:9], s[6:7]
	s_xor_b64 s[6:7], exec, s[8:9]
	s_cbranch_execnz .LBB51_3749
; %bb.1701:
	s_or_saveexec_b64 s[6:7], s[6:7]
	v_mov_b32_e32 v6, s10
	s_xor_b64 exec, exec, s[6:7]
	s_cbranch_execnz .LBB51_3752
.LBB51_1702:
	s_or_b64 exec, exec, s[6:7]
	s_and_saveexec_b64 s[6:7], s[4:5]
	s_cbranch_execz .LBB51_1704
.LBB51_1703:
	v_and_b32_e32 v6, 7, v3
	v_ffbh_u32_e32 v11, v6
	v_min_u32_e32 v11, 32, v11
	v_lshrrev_b16_e32 v10, 3, v3
	v_subrev_u32_e32 v12, 28, v11
	v_and_b32_e32 v10, 15, v10
	v_lshlrev_b32_e32 v12, v12, v3
	v_sub_u32_e32 v11, 29, v11
	v_and_b32_e32 v12, 7, v12
	v_cmp_eq_u16_e32 vcc, 0, v10
	v_cndmask_b32_e32 v6, v6, v12, vcc
	v_cndmask_b32_e32 v10, v10, v11, vcc
	v_lshlrev_b32_e32 v11, 24, v3
	v_mov_b32_e32 v12, 0x3b800000
	v_lshlrev_b32_e32 v6, 20, v6
	v_and_b32_e32 v11, 0x80000000, v11
	v_lshl_add_u32 v10, v10, 23, v12
	v_or3_b32 v6, v11, v10, v6
.LBB51_1704:
	s_or_b64 exec, exec, s[6:7]
	s_nop 0
	v_mfma_f32_16x16x4f32 a[0:3], v2, v6, a[0:3]
	v_lshrrev_b32_e32 v6, 8, v7
	s_movk_i32 s4, 0x7f
	v_cmp_gt_i16_sdwa s[6:7], v6, s4 src0_sel:BYTE_0 src1_sel:DWORD
	s_mov_b64 s[4:5], 0
                                        ; implicit-def: $sgpr10
	s_and_saveexec_b64 s[8:9], s[6:7]
	s_xor_b64 s[6:7], exec, s[8:9]
	s_cbranch_execnz .LBB51_3753
; %bb.1705:
	s_or_saveexec_b64 s[6:7], s[6:7]
	v_mov_b32_e32 v2, s10
	s_xor_b64 exec, exec, s[6:7]
	s_cbranch_execnz .LBB51_3756
.LBB51_1706:
	s_or_b64 exec, exec, s[6:7]
	s_and_saveexec_b64 s[6:7], s[4:5]
	s_cbranch_execz .LBB51_1708
.LBB51_1707:
	v_bfe_u32 v2, v7, 8, 3
	v_ffbh_u32_e32 v11, v2
	v_min_u32_e32 v11, 32, v11
	v_lshrrev_b16_e32 v10, 3, v6
	v_subrev_u32_e32 v12, 28, v11
	v_and_b32_e32 v10, 15, v10
	v_lshlrev_b32_e32 v6, v12, v6
	v_sub_u32_e32 v11, 29, v11
	v_and_b32_e32 v6, 7, v6
	v_cmp_eq_u16_e32 vcc, 0, v10
	v_cndmask_b32_e32 v2, v2, v6, vcc
	v_cndmask_b32_e32 v6, v10, v11, vcc
	v_lshlrev_b32_e32 v10, 16, v7
	v_mov_b32_e32 v11, 0x3b800000
	v_lshlrev_b32_e32 v2, 20, v2
	v_and_b32_e32 v10, 0x80000000, v10
	v_lshl_add_u32 v6, v6, 23, v11
	v_or3_b32 v2, v10, v6, v2
.LBB51_1708:
	s_or_b64 exec, exec, s[6:7]
	v_lshrrev_b32_e32 v6, 8, v3
	s_movk_i32 s4, 0x7f
	v_cmp_gt_i16_sdwa s[6:7], v6, s4 src0_sel:BYTE_0 src1_sel:DWORD
	s_mov_b64 s[4:5], 0
                                        ; implicit-def: $sgpr10
	s_and_saveexec_b64 s[8:9], s[6:7]
	s_xor_b64 s[6:7], exec, s[8:9]
	s_cbranch_execnz .LBB51_3757
; %bb.1709:
	s_or_saveexec_b64 s[6:7], s[6:7]
	v_mov_b32_e32 v10, s10
	s_xor_b64 exec, exec, s[6:7]
	s_cbranch_execnz .LBB51_3760
.LBB51_1710:
	s_or_b64 exec, exec, s[6:7]
	s_and_saveexec_b64 s[6:7], s[4:5]
	s_cbranch_execz .LBB51_1712
.LBB51_1711:
	v_bfe_u32 v10, v3, 8, 3
	v_ffbh_u32_e32 v12, v10
	v_min_u32_e32 v12, 32, v12
	v_lshrrev_b16_e32 v11, 3, v6
	v_subrev_u32_e32 v13, 28, v12
	v_and_b32_e32 v11, 15, v11
	v_lshlrev_b32_e32 v6, v13, v6
	v_sub_u32_e32 v12, 29, v12
	v_and_b32_e32 v6, 7, v6
	v_cmp_eq_u16_e32 vcc, 0, v11
	v_cndmask_b32_e32 v6, v10, v6, vcc
	v_cndmask_b32_e32 v10, v11, v12, vcc
	v_lshlrev_b32_e32 v11, 16, v3
	v_mov_b32_e32 v12, 0x3b800000
	v_lshlrev_b32_e32 v6, 20, v6
	v_and_b32_e32 v11, 0x80000000, v11
	v_lshl_add_u32 v10, v10, 23, v12
	v_or3_b32 v10, v11, v10, v6
.LBB51_1712:
	s_or_b64 exec, exec, s[6:7]
	s_nop 0
	v_mfma_f32_16x16x4f32 a[0:3], v2, v10, a[0:3]
	s_movk_i32 s4, 0xff
	v_and_b32_sdwa v6, v7, s4 dst_sel:DWORD dst_unused:UNUSED_PAD src0_sel:WORD_1 src1_sel:DWORD
	s_movk_i32 s4, 0x7f
	v_cmp_lt_i16_e32 vcc, s4, v6
	s_mov_b64 s[4:5], 0
                                        ; implicit-def: $sgpr10
	s_and_saveexec_b64 s[6:7], vcc
	s_xor_b64 s[6:7], exec, s[6:7]
	s_cbranch_execnz .LBB51_3761
; %bb.1713:
	s_or_saveexec_b64 s[6:7], s[6:7]
	v_mov_b32_e32 v2, s10
	s_xor_b64 exec, exec, s[6:7]
	s_cbranch_execnz .LBB51_3764
.LBB51_1714:
	s_or_b64 exec, exec, s[6:7]
	s_and_saveexec_b64 s[6:7], s[4:5]
	s_cbranch_execz .LBB51_1716
.LBB51_1715:
	v_bfe_u32 v2, v7, 16, 3
	v_ffbh_u32_e32 v11, v2
	v_min_u32_e32 v11, 32, v11
	v_lshrrev_b32_e32 v6, 19, v7
	v_subrev_u32_e32 v12, 28, v11
	v_and_b32_e32 v6, 15, v6
	v_lshlrev_b32_sdwa v12, v12, v7 dst_sel:DWORD dst_unused:UNUSED_PAD src0_sel:DWORD src1_sel:WORD_1
	v_bfe_u32 v10, v7, 19, 4
	v_sub_u32_e32 v11, 29, v11
	v_and_b32_e32 v12, 7, v12
	v_cmp_eq_u16_e32 vcc, 0, v6
	v_cndmask_b32_e32 v2, v2, v12, vcc
	v_cndmask_b32_e32 v6, v10, v11, vcc
	v_lshlrev_b32_e32 v10, 8, v7
	v_mov_b32_e32 v11, 0x3b800000
	v_lshlrev_b32_e32 v2, 20, v2
	v_and_b32_e32 v10, 0x80000000, v10
	v_lshl_add_u32 v6, v6, 23, v11
	v_or3_b32 v2, v10, v6, v2
.LBB51_1716:
	s_or_b64 exec, exec, s[6:7]
	s_movk_i32 s4, 0xff
	v_and_b32_sdwa v6, v3, s4 dst_sel:DWORD dst_unused:UNUSED_PAD src0_sel:WORD_1 src1_sel:DWORD
	s_movk_i32 s4, 0x7f
	v_cmp_lt_i16_e32 vcc, s4, v6
	s_mov_b64 s[4:5], 0
                                        ; implicit-def: $sgpr10
	s_and_saveexec_b64 s[6:7], vcc
	s_xor_b64 s[6:7], exec, s[6:7]
	s_cbranch_execnz .LBB51_3765
; %bb.1717:
	s_or_saveexec_b64 s[6:7], s[6:7]
	v_mov_b32_e32 v10, s10
	s_xor_b64 exec, exec, s[6:7]
	s_cbranch_execnz .LBB51_3768
.LBB51_1718:
	s_or_b64 exec, exec, s[6:7]
	s_and_saveexec_b64 s[6:7], s[4:5]
	s_cbranch_execz .LBB51_1720
.LBB51_1719:
	v_bfe_u32 v6, v3, 16, 3
	v_ffbh_u32_e32 v12, v6
	v_min_u32_e32 v12, 32, v12
	v_lshrrev_b32_e32 v10, 19, v3
	v_subrev_u32_e32 v13, 28, v12
	v_and_b32_e32 v10, 15, v10
	v_lshlrev_b32_sdwa v13, v13, v3 dst_sel:DWORD dst_unused:UNUSED_PAD src0_sel:DWORD src1_sel:WORD_1
	v_bfe_u32 v11, v3, 19, 4
	v_sub_u32_e32 v12, 29, v12
	v_and_b32_e32 v13, 7, v13
	v_cmp_eq_u16_e32 vcc, 0, v10
	v_cndmask_b32_e32 v6, v6, v13, vcc
	v_cndmask_b32_e32 v10, v11, v12, vcc
	v_lshlrev_b32_e32 v11, 8, v3
	v_mov_b32_e32 v12, 0x3b800000
	v_lshlrev_b32_e32 v6, 20, v6
	v_and_b32_e32 v11, 0x80000000, v11
	v_lshl_add_u32 v10, v10, 23, v12
	v_or3_b32 v10, v11, v10, v6
.LBB51_1720:
	s_or_b64 exec, exec, s[6:7]
	s_nop 0
	v_mfma_f32_16x16x4f32 a[0:3], v2, v10, a[0:3]
	s_movk_i32 s4, 0x7f
	v_cmp_gt_i16_sdwa s[6:7], v7, s4 src0_sel:BYTE_3 src1_sel:DWORD
	s_mov_b64 s[4:5], 0
                                        ; implicit-def: $sgpr10
	s_and_saveexec_b64 s[8:9], s[6:7]
	s_xor_b64 s[6:7], exec, s[8:9]
	s_cbranch_execnz .LBB51_3769
; %bb.1721:
	s_or_saveexec_b64 s[6:7], s[6:7]
	v_mov_b32_e32 v2, s10
	s_xor_b64 exec, exec, s[6:7]
	s_cbranch_execnz .LBB51_3772
.LBB51_1722:
	s_or_b64 exec, exec, s[6:7]
	s_and_saveexec_b64 s[6:7], s[4:5]
	s_cbranch_execz .LBB51_1724
.LBB51_1723:
	v_bfe_u32 v2, v7, 24, 3
	v_ffbh_u32_e32 v12, v2
	v_min_u32_e32 v12, 32, v12
	v_lshrrev_b32_e32 v10, 27, v7
	v_subrev_u32_e32 v13, 28, v12
	v_and_b32_e32 v6, 0x80000000, v7
	v_and_b32_e32 v10, 15, v10
	v_bfe_u32 v11, v7, 27, 4
	v_lshlrev_b32_sdwa v7, v13, v7 dst_sel:DWORD dst_unused:UNUSED_PAD src0_sel:DWORD src1_sel:BYTE_3
	v_sub_u32_e32 v12, 29, v12
	v_and_b32_e32 v7, 7, v7
	v_cmp_eq_u16_e32 vcc, 0, v10
	v_cndmask_b32_e32 v2, v2, v7, vcc
	v_cndmask_b32_e32 v7, v11, v12, vcc
	v_mov_b32_e32 v10, 0x3b800000
	v_lshlrev_b32_e32 v2, 20, v2
	v_lshl_add_u32 v7, v7, 23, v10
	v_or3_b32 v2, v6, v7, v2
.LBB51_1724:
	s_or_b64 exec, exec, s[6:7]
	s_movk_i32 s4, 0x7f
	v_cmp_gt_i16_sdwa s[6:7], v3, s4 src0_sel:BYTE_3 src1_sel:DWORD
	s_mov_b64 s[4:5], 0
                                        ; implicit-def: $sgpr10
	s_and_saveexec_b64 s[8:9], s[6:7]
	s_xor_b64 s[6:7], exec, s[8:9]
	s_cbranch_execnz .LBB51_3773
; %bb.1725:
	s_or_saveexec_b64 s[6:7], s[6:7]
	v_mov_b32_e32 v6, s10
	s_xor_b64 exec, exec, s[6:7]
	s_cbranch_execnz .LBB51_3776
.LBB51_1726:
	s_or_b64 exec, exec, s[6:7]
	s_and_saveexec_b64 s[6:7], s[4:5]
	s_cbranch_execz .LBB51_1728
.LBB51_1727:
	v_bfe_u32 v6, v3, 24, 3
	v_ffbh_u32_e32 v12, v6
	v_min_u32_e32 v12, 32, v12
	v_lshrrev_b32_e32 v10, 27, v3
	v_subrev_u32_e32 v13, 28, v12
	v_and_b32_e32 v7, 0x80000000, v3
	v_and_b32_e32 v10, 15, v10
	v_bfe_u32 v11, v3, 27, 4
	v_lshlrev_b32_sdwa v3, v13, v3 dst_sel:DWORD dst_unused:UNUSED_PAD src0_sel:DWORD src1_sel:BYTE_3
	v_sub_u32_e32 v12, 29, v12
	v_and_b32_e32 v3, 7, v3
	v_cmp_eq_u16_e32 vcc, 0, v10
	v_cndmask_b32_e32 v3, v6, v3, vcc
	v_cndmask_b32_e32 v6, v11, v12, vcc
	v_mov_b32_e32 v10, 0x3b800000
	v_lshlrev_b32_e32 v3, 20, v3
	v_lshl_add_u32 v6, v6, 23, v10
	v_or3_b32 v6, v7, v6, v3
.LBB51_1728:
	s_or_b64 exec, exec, s[6:7]
	s_nop 0
	v_mfma_f32_16x16x4f32 a[0:3], v2, v6, a[0:3]
	s_movk_i32 s4, 0x7f
	v_cmp_gt_i16_sdwa s[6:7], v8, s4 src0_sel:BYTE_0 src1_sel:DWORD
	s_mov_b64 s[4:5], 0
                                        ; implicit-def: $sgpr10
	s_and_saveexec_b64 s[8:9], s[6:7]
	s_xor_b64 s[6:7], exec, s[8:9]
	s_cbranch_execnz .LBB51_3777
; %bb.1729:
	s_or_saveexec_b64 s[6:7], s[6:7]
	v_mov_b32_e32 v2, s10
	s_xor_b64 exec, exec, s[6:7]
	s_cbranch_execnz .LBB51_3780
.LBB51_1730:
	s_or_b64 exec, exec, s[6:7]
	s_and_saveexec_b64 s[6:7], s[4:5]
	s_cbranch_execz .LBB51_1732
.LBB51_1731:
	v_and_b32_e32 v2, 7, v8
	v_ffbh_u32_e32 v6, v2
	v_min_u32_e32 v6, 32, v6
	v_lshrrev_b16_e32 v3, 3, v8
	v_subrev_u32_e32 v7, 28, v6
	v_and_b32_e32 v3, 15, v3
	v_lshlrev_b32_e32 v7, v7, v8
	v_sub_u32_e32 v6, 29, v6
	v_and_b32_e32 v7, 7, v7
	v_cmp_eq_u16_e32 vcc, 0, v3
	v_cndmask_b32_e32 v2, v2, v7, vcc
	v_cndmask_b32_e32 v3, v3, v6, vcc
	v_lshlrev_b32_e32 v6, 24, v8
	v_mov_b32_e32 v7, 0x3b800000
	v_lshlrev_b32_e32 v2, 20, v2
	v_and_b32_e32 v6, 0x80000000, v6
	v_lshl_add_u32 v3, v3, 23, v7
	v_or3_b32 v2, v6, v3, v2
.LBB51_1732:
	s_or_b64 exec, exec, s[6:7]
	s_movk_i32 s4, 0x7f
	v_cmp_gt_i16_sdwa s[6:7], v4, s4 src0_sel:BYTE_0 src1_sel:DWORD
	s_mov_b64 s[4:5], 0
                                        ; implicit-def: $sgpr10
	s_and_saveexec_b64 s[8:9], s[6:7]
	s_xor_b64 s[6:7], exec, s[8:9]
	s_cbranch_execnz .LBB51_3781
; %bb.1733:
	s_or_saveexec_b64 s[6:7], s[6:7]
	v_mov_b32_e32 v3, s10
	s_xor_b64 exec, exec, s[6:7]
	s_cbranch_execnz .LBB51_3784
.LBB51_1734:
	s_or_b64 exec, exec, s[6:7]
	s_and_saveexec_b64 s[6:7], s[4:5]
	s_cbranch_execz .LBB51_1736
.LBB51_1735:
	v_and_b32_e32 v3, 7, v4
	v_ffbh_u32_e32 v7, v3
	v_min_u32_e32 v7, 32, v7
	v_lshrrev_b16_e32 v6, 3, v4
	v_subrev_u32_e32 v10, 28, v7
	v_and_b32_e32 v6, 15, v6
	v_lshlrev_b32_e32 v10, v10, v4
	v_sub_u32_e32 v7, 29, v7
	v_and_b32_e32 v10, 7, v10
	v_cmp_eq_u16_e32 vcc, 0, v6
	v_cndmask_b32_e32 v3, v3, v10, vcc
	v_cndmask_b32_e32 v6, v6, v7, vcc
	v_lshlrev_b32_e32 v7, 24, v4
	v_mov_b32_e32 v10, 0x3b800000
	v_lshlrev_b32_e32 v3, 20, v3
	v_and_b32_e32 v7, 0x80000000, v7
	v_lshl_add_u32 v6, v6, 23, v10
	v_or3_b32 v3, v7, v6, v3
.LBB51_1736:
	s_or_b64 exec, exec, s[6:7]
	s_nop 0
	v_mfma_f32_16x16x4f32 a[0:3], v2, v3, a[0:3]
	v_lshrrev_b32_e32 v3, 8, v8
	s_movk_i32 s4, 0x7f
	v_cmp_gt_i16_sdwa s[6:7], v3, s4 src0_sel:BYTE_0 src1_sel:DWORD
	s_mov_b64 s[4:5], 0
                                        ; implicit-def: $sgpr10
	s_and_saveexec_b64 s[8:9], s[6:7]
	s_xor_b64 s[6:7], exec, s[8:9]
	s_cbranch_execnz .LBB51_3785
; %bb.1737:
	s_or_saveexec_b64 s[6:7], s[6:7]
	v_mov_b32_e32 v2, s10
	s_xor_b64 exec, exec, s[6:7]
	s_cbranch_execnz .LBB51_3788
.LBB51_1738:
	s_or_b64 exec, exec, s[6:7]
	s_and_saveexec_b64 s[6:7], s[4:5]
	s_cbranch_execz .LBB51_1740
.LBB51_1739:
	v_bfe_u32 v2, v8, 8, 3
	v_ffbh_u32_e32 v7, v2
	v_min_u32_e32 v7, 32, v7
	v_lshrrev_b16_e32 v6, 3, v3
	v_subrev_u32_e32 v10, 28, v7
	v_and_b32_e32 v6, 15, v6
	v_lshlrev_b32_e32 v3, v10, v3
	v_sub_u32_e32 v7, 29, v7
	v_and_b32_e32 v3, 7, v3
	v_cmp_eq_u16_e32 vcc, 0, v6
	v_cndmask_b32_e32 v2, v2, v3, vcc
	v_cndmask_b32_e32 v3, v6, v7, vcc
	v_lshlrev_b32_e32 v6, 16, v8
	v_mov_b32_e32 v7, 0x3b800000
	v_lshlrev_b32_e32 v2, 20, v2
	v_and_b32_e32 v6, 0x80000000, v6
	v_lshl_add_u32 v3, v3, 23, v7
	v_or3_b32 v2, v6, v3, v2
.LBB51_1740:
	s_or_b64 exec, exec, s[6:7]
	v_lshrrev_b32_e32 v3, 8, v4
	s_movk_i32 s4, 0x7f
	v_cmp_gt_i16_sdwa s[6:7], v3, s4 src0_sel:BYTE_0 src1_sel:DWORD
	s_mov_b64 s[4:5], 0
                                        ; implicit-def: $sgpr10
	s_and_saveexec_b64 s[8:9], s[6:7]
	s_xor_b64 s[6:7], exec, s[8:9]
	s_cbranch_execnz .LBB51_3789
; %bb.1741:
	s_or_saveexec_b64 s[6:7], s[6:7]
	v_mov_b32_e32 v6, s10
	s_xor_b64 exec, exec, s[6:7]
	s_cbranch_execnz .LBB51_3792
.LBB51_1742:
	s_or_b64 exec, exec, s[6:7]
	s_and_saveexec_b64 s[6:7], s[4:5]
	s_cbranch_execz .LBB51_1744
.LBB51_1743:
	v_bfe_u32 v6, v4, 8, 3
	v_ffbh_u32_e32 v10, v6
	v_min_u32_e32 v10, 32, v10
	v_lshrrev_b16_e32 v7, 3, v3
	v_subrev_u32_e32 v11, 28, v10
	v_and_b32_e32 v7, 15, v7
	v_lshlrev_b32_e32 v3, v11, v3
	v_sub_u32_e32 v10, 29, v10
	v_and_b32_e32 v3, 7, v3
	v_cmp_eq_u16_e32 vcc, 0, v7
	v_cndmask_b32_e32 v3, v6, v3, vcc
	v_cndmask_b32_e32 v6, v7, v10, vcc
	v_lshlrev_b32_e32 v7, 16, v4
	v_mov_b32_e32 v10, 0x3b800000
	v_lshlrev_b32_e32 v3, 20, v3
	v_and_b32_e32 v7, 0x80000000, v7
	v_lshl_add_u32 v6, v6, 23, v10
	v_or3_b32 v6, v7, v6, v3
.LBB51_1744:
	s_or_b64 exec, exec, s[6:7]
	s_nop 0
	v_mfma_f32_16x16x4f32 a[0:3], v2, v6, a[0:3]
	s_movk_i32 s4, 0xff
	v_and_b32_sdwa v3, v8, s4 dst_sel:DWORD dst_unused:UNUSED_PAD src0_sel:WORD_1 src1_sel:DWORD
	s_movk_i32 s4, 0x7f
	v_cmp_lt_i16_e32 vcc, s4, v3
	s_mov_b64 s[4:5], 0
                                        ; implicit-def: $sgpr10
	s_and_saveexec_b64 s[6:7], vcc
	s_xor_b64 s[6:7], exec, s[6:7]
	s_cbranch_execnz .LBB51_3793
; %bb.1745:
	s_or_saveexec_b64 s[6:7], s[6:7]
	v_mov_b32_e32 v2, s10
	s_xor_b64 exec, exec, s[6:7]
	s_cbranch_execnz .LBB51_3796
.LBB51_1746:
	s_or_b64 exec, exec, s[6:7]
	s_and_saveexec_b64 s[6:7], s[4:5]
	s_cbranch_execz .LBB51_1748
.LBB51_1747:
	v_bfe_u32 v2, v8, 16, 3
	v_ffbh_u32_e32 v7, v2
	v_min_u32_e32 v7, 32, v7
	v_lshrrev_b32_e32 v3, 19, v8
	v_subrev_u32_e32 v10, 28, v7
	v_and_b32_e32 v3, 15, v3
	v_lshlrev_b32_sdwa v10, v10, v8 dst_sel:DWORD dst_unused:UNUSED_PAD src0_sel:DWORD src1_sel:WORD_1
	v_bfe_u32 v6, v8, 19, 4
	v_sub_u32_e32 v7, 29, v7
	v_and_b32_e32 v10, 7, v10
	v_cmp_eq_u16_e32 vcc, 0, v3
	v_cndmask_b32_e32 v2, v2, v10, vcc
	v_cndmask_b32_e32 v3, v6, v7, vcc
	v_lshlrev_b32_e32 v6, 8, v8
	v_mov_b32_e32 v7, 0x3b800000
	v_lshlrev_b32_e32 v2, 20, v2
	v_and_b32_e32 v6, 0x80000000, v6
	v_lshl_add_u32 v3, v3, 23, v7
	v_or3_b32 v2, v6, v3, v2
.LBB51_1748:
	s_or_b64 exec, exec, s[6:7]
	s_movk_i32 s4, 0xff
	v_and_b32_sdwa v3, v4, s4 dst_sel:DWORD dst_unused:UNUSED_PAD src0_sel:WORD_1 src1_sel:DWORD
	s_movk_i32 s4, 0x7f
	v_cmp_lt_i16_e32 vcc, s4, v3
	s_mov_b64 s[4:5], 0
                                        ; implicit-def: $sgpr10
	s_and_saveexec_b64 s[6:7], vcc
	s_xor_b64 s[6:7], exec, s[6:7]
	s_cbranch_execnz .LBB51_3797
; %bb.1749:
	s_or_saveexec_b64 s[6:7], s[6:7]
	v_mov_b32_e32 v6, s10
	s_xor_b64 exec, exec, s[6:7]
	s_cbranch_execnz .LBB51_3800
.LBB51_1750:
	s_or_b64 exec, exec, s[6:7]
	s_and_saveexec_b64 s[6:7], s[4:5]
	s_cbranch_execz .LBB51_1752
.LBB51_1751:
	v_bfe_u32 v3, v4, 16, 3
	v_ffbh_u32_e32 v10, v3
	v_min_u32_e32 v10, 32, v10
	v_lshrrev_b32_e32 v6, 19, v4
	v_subrev_u32_e32 v11, 28, v10
	v_and_b32_e32 v6, 15, v6
	v_lshlrev_b32_sdwa v11, v11, v4 dst_sel:DWORD dst_unused:UNUSED_PAD src0_sel:DWORD src1_sel:WORD_1
	v_bfe_u32 v7, v4, 19, 4
	v_sub_u32_e32 v10, 29, v10
	v_and_b32_e32 v11, 7, v11
	v_cmp_eq_u16_e32 vcc, 0, v6
	v_cndmask_b32_e32 v3, v3, v11, vcc
	v_cndmask_b32_e32 v6, v7, v10, vcc
	v_lshlrev_b32_e32 v7, 8, v4
	v_mov_b32_e32 v10, 0x3b800000
	v_lshlrev_b32_e32 v3, 20, v3
	v_and_b32_e32 v7, 0x80000000, v7
	v_lshl_add_u32 v6, v6, 23, v10
	v_or3_b32 v6, v7, v6, v3
.LBB51_1752:
	s_or_b64 exec, exec, s[6:7]
	s_nop 0
	v_mfma_f32_16x16x4f32 a[0:3], v2, v6, a[0:3]
	s_movk_i32 s4, 0x7f
	v_cmp_gt_i16_sdwa s[6:7], v8, s4 src0_sel:BYTE_3 src1_sel:DWORD
	s_mov_b64 s[4:5], 0
                                        ; implicit-def: $sgpr10
	s_and_saveexec_b64 s[8:9], s[6:7]
	s_xor_b64 s[6:7], exec, s[8:9]
	s_cbranch_execnz .LBB51_3801
; %bb.1753:
	s_or_saveexec_b64 s[6:7], s[6:7]
	v_mov_b32_e32 v2, s10
	s_xor_b64 exec, exec, s[6:7]
	s_cbranch_execnz .LBB51_3804
.LBB51_1754:
	s_or_b64 exec, exec, s[6:7]
	s_and_saveexec_b64 s[6:7], s[4:5]
	s_cbranch_execz .LBB51_1756
.LBB51_1755:
	v_bfe_u32 v2, v8, 24, 3
	v_ffbh_u32_e32 v10, v2
	v_min_u32_e32 v10, 32, v10
	v_lshrrev_b32_e32 v6, 27, v8
	v_subrev_u32_e32 v11, 28, v10
	v_and_b32_e32 v3, 0x80000000, v8
	v_and_b32_e32 v6, 15, v6
	v_bfe_u32 v7, v8, 27, 4
	v_lshlrev_b32_sdwa v8, v11, v8 dst_sel:DWORD dst_unused:UNUSED_PAD src0_sel:DWORD src1_sel:BYTE_3
	v_sub_u32_e32 v10, 29, v10
	v_and_b32_e32 v8, 7, v8
	v_cmp_eq_u16_e32 vcc, 0, v6
	v_cndmask_b32_e32 v2, v2, v8, vcc
	v_cndmask_b32_e32 v6, v7, v10, vcc
	v_mov_b32_e32 v7, 0x3b800000
	v_lshlrev_b32_e32 v2, 20, v2
	v_lshl_add_u32 v6, v6, 23, v7
	v_or3_b32 v2, v3, v6, v2
.LBB51_1756:
	s_or_b64 exec, exec, s[6:7]
	s_movk_i32 s4, 0x7f
	v_cmp_gt_i16_sdwa s[6:7], v4, s4 src0_sel:BYTE_3 src1_sel:DWORD
	s_mov_b64 s[4:5], 0
                                        ; implicit-def: $sgpr10
	s_and_saveexec_b64 s[8:9], s[6:7]
	s_xor_b64 s[6:7], exec, s[8:9]
	s_cbranch_execnz .LBB51_3805
; %bb.1757:
	s_or_saveexec_b64 s[6:7], s[6:7]
	v_mov_b32_e32 v3, s10
	s_xor_b64 exec, exec, s[6:7]
	s_cbranch_execnz .LBB51_3808
.LBB51_1758:
	s_or_b64 exec, exec, s[6:7]
	s_and_saveexec_b64 s[6:7], s[4:5]
	s_cbranch_execz .LBB51_1760
.LBB51_1759:
	v_bfe_u32 v3, v4, 24, 3
	v_ffbh_u32_e32 v10, v3
	v_min_u32_e32 v10, 32, v10
	v_lshrrev_b32_e32 v7, 27, v4
	v_subrev_u32_e32 v11, 28, v10
	v_and_b32_e32 v6, 0x80000000, v4
	v_and_b32_e32 v7, 15, v7
	v_bfe_u32 v8, v4, 27, 4
	v_lshlrev_b32_sdwa v4, v11, v4 dst_sel:DWORD dst_unused:UNUSED_PAD src0_sel:DWORD src1_sel:BYTE_3
	v_sub_u32_e32 v10, 29, v10
	v_and_b32_e32 v4, 7, v4
	v_cmp_eq_u16_e32 vcc, 0, v7
	v_cndmask_b32_e32 v3, v3, v4, vcc
	v_cndmask_b32_e32 v4, v8, v10, vcc
	v_mov_b32_e32 v7, 0x3b800000
	v_lshlrev_b32_e32 v3, 20, v3
	v_lshl_add_u32 v4, v4, 23, v7
	v_or3_b32 v3, v6, v4, v3
.LBB51_1760:
	s_or_b64 exec, exec, s[6:7]
	s_nop 0
	v_mfma_f32_16x16x4f32 a[0:3], v2, v3, a[0:3]
	s_movk_i32 s4, 0x7f
	v_cmp_gt_i16_sdwa s[6:7], v9, s4 src0_sel:BYTE_0 src1_sel:DWORD
	s_mov_b64 s[4:5], 0
                                        ; implicit-def: $sgpr10
	s_and_saveexec_b64 s[8:9], s[6:7]
	s_xor_b64 s[6:7], exec, s[8:9]
	s_cbranch_execnz .LBB51_3809
; %bb.1761:
	s_or_saveexec_b64 s[6:7], s[6:7]
	v_mov_b32_e32 v2, s10
	s_xor_b64 exec, exec, s[6:7]
	s_cbranch_execnz .LBB51_3812
.LBB51_1762:
	s_or_b64 exec, exec, s[6:7]
	s_and_saveexec_b64 s[6:7], s[4:5]
	s_cbranch_execz .LBB51_1764
.LBB51_1763:
	v_mov_b32_e32 v2, 8
	v_and_b32_e32 v3, 7, v9
	v_lshrrev_b32_sdwa v2, v2, v9 dst_sel:BYTE_1 dst_unused:UNUSED_PAD src0_sel:DWORD src1_sel:DWORD
	v_ffbh_u32_e32 v4, v3
	v_or_b32_sdwa v2, v9, v2 dst_sel:DWORD dst_unused:UNUSED_PAD src0_sel:BYTE_0 src1_sel:DWORD
	v_min_u32_e32 v4, 32, v4
	v_lshrrev_b16_e32 v2, 3, v2
	v_subrev_u32_e32 v6, 28, v4
	v_and_b32_e32 v2, 15, v2
	v_lshlrev_b32_e32 v6, v6, v9
	v_sub_u32_e32 v4, 29, v4
	v_and_b32_e32 v6, 7, v6
	v_cmp_eq_u16_e32 vcc, 0, v2
	v_cndmask_b32_e32 v3, v3, v6, vcc
	v_cndmask_b32_e32 v2, v2, v4, vcc
	v_lshlrev_b32_e32 v4, 24, v9
	v_mov_b32_e32 v6, 0x3b800000
	v_lshlrev_b32_e32 v3, 20, v3
	v_and_b32_e32 v4, 0x80000000, v4
	v_lshl_add_u32 v2, v2, 23, v6
	v_or3_b32 v2, v4, v2, v3
.LBB51_1764:
	s_or_b64 exec, exec, s[6:7]
	s_movk_i32 s4, 0x7f
	v_cmp_gt_i16_sdwa s[6:7], v5, s4 src0_sel:BYTE_0 src1_sel:DWORD
	s_mov_b64 s[4:5], 0
                                        ; implicit-def: $sgpr10
	s_and_saveexec_b64 s[8:9], s[6:7]
	s_xor_b64 s[6:7], exec, s[8:9]
	s_cbranch_execnz .LBB51_3813
; %bb.1765:
	s_or_saveexec_b64 s[6:7], s[6:7]
	v_mov_b32_e32 v3, s10
	s_xor_b64 exec, exec, s[6:7]
	s_cbranch_execnz .LBB51_3816
.LBB51_1766:
	s_or_b64 exec, exec, s[6:7]
	s_and_saveexec_b64 s[6:7], s[4:5]
	s_cbranch_execz .LBB51_1768
.LBB51_1767:
	v_mov_b32_e32 v3, 8
	v_and_b32_e32 v4, 7, v5
	v_lshrrev_b32_sdwa v3, v3, v5 dst_sel:BYTE_1 dst_unused:UNUSED_PAD src0_sel:DWORD src1_sel:DWORD
	v_ffbh_u32_e32 v6, v4
	v_or_b32_sdwa v3, v5, v3 dst_sel:DWORD dst_unused:UNUSED_PAD src0_sel:BYTE_0 src1_sel:DWORD
	v_min_u32_e32 v6, 32, v6
	v_lshrrev_b16_e32 v3, 3, v3
	v_subrev_u32_e32 v7, 28, v6
	v_and_b32_e32 v3, 15, v3
	v_lshlrev_b32_e32 v7, v7, v5
	v_sub_u32_e32 v6, 29, v6
	v_and_b32_e32 v7, 7, v7
	v_cmp_eq_u16_e32 vcc, 0, v3
	v_cndmask_b32_e32 v4, v4, v7, vcc
	v_cndmask_b32_e32 v3, v3, v6, vcc
	v_lshlrev_b32_e32 v6, 24, v5
	v_mov_b32_e32 v7, 0x3b800000
	v_lshlrev_b32_e32 v4, 20, v4
	v_and_b32_e32 v6, 0x80000000, v6
	v_lshl_add_u32 v3, v3, 23, v7
	v_or3_b32 v3, v6, v3, v4
.LBB51_1768:
	s_or_b64 exec, exec, s[6:7]
	s_nop 0
	v_mfma_f32_16x16x4f32 a[0:3], v2, v3, a[0:3]
	v_lshrrev_b32_e32 v3, 8, v9
	s_movk_i32 s4, 0x7f
	v_cmp_gt_i16_sdwa s[6:7], v3, s4 src0_sel:BYTE_0 src1_sel:DWORD
	s_mov_b64 s[4:5], 0
                                        ; implicit-def: $sgpr10
	s_and_saveexec_b64 s[8:9], s[6:7]
	s_xor_b64 s[6:7], exec, s[8:9]
	s_cbranch_execnz .LBB51_3817
; %bb.1769:
	s_or_saveexec_b64 s[6:7], s[6:7]
	v_mov_b32_e32 v2, s10
	s_xor_b64 exec, exec, s[6:7]
	s_cbranch_execnz .LBB51_3820
.LBB51_1770:
	s_or_b64 exec, exec, s[6:7]
	s_and_saveexec_b64 s[6:7], s[4:5]
	s_cbranch_execz .LBB51_1772
.LBB51_1771:
	v_bfe_u32 v2, v9, 8, 3
	v_ffbh_u32_e32 v6, v2
	v_min_u32_e32 v6, 32, v6
	v_lshrrev_b16_e32 v4, 3, v3
	v_subrev_u32_e32 v7, 28, v6
	v_and_b32_e32 v4, 15, v4
	v_lshlrev_b32_e32 v3, v7, v3
	v_sub_u32_e32 v6, 29, v6
	v_and_b32_e32 v3, 7, v3
	v_cmp_eq_u16_e32 vcc, 0, v4
	v_cndmask_b32_e32 v2, v2, v3, vcc
	v_cndmask_b32_e32 v3, v4, v6, vcc
	v_lshlrev_b32_e32 v4, 16, v9
	v_mov_b32_e32 v6, 0x3b800000
	v_lshlrev_b32_e32 v2, 20, v2
	v_and_b32_e32 v4, 0x80000000, v4
	v_lshl_add_u32 v3, v3, 23, v6
	v_or3_b32 v2, v4, v3, v2
.LBB51_1772:
	s_or_b64 exec, exec, s[6:7]
	v_lshrrev_b32_e32 v3, 8, v5
	s_movk_i32 s4, 0x7f
	v_cmp_gt_i16_sdwa s[6:7], v3, s4 src0_sel:BYTE_0 src1_sel:DWORD
	s_mov_b64 s[4:5], 0
                                        ; implicit-def: $sgpr10
	s_and_saveexec_b64 s[8:9], s[6:7]
	s_xor_b64 s[6:7], exec, s[8:9]
	s_cbranch_execnz .LBB51_3821
; %bb.1773:
	s_or_saveexec_b64 s[6:7], s[6:7]
	v_mov_b32_e32 v4, s10
	s_xor_b64 exec, exec, s[6:7]
	s_cbranch_execnz .LBB51_3824
.LBB51_1774:
	s_or_b64 exec, exec, s[6:7]
	s_and_saveexec_b64 s[6:7], s[4:5]
	s_cbranch_execz .LBB51_1776
.LBB51_1775:
	v_bfe_u32 v4, v5, 8, 3
	v_ffbh_u32_e32 v7, v4
	v_min_u32_e32 v7, 32, v7
	v_lshrrev_b16_e32 v6, 3, v3
	v_subrev_u32_e32 v8, 28, v7
	v_and_b32_e32 v6, 15, v6
	v_lshlrev_b32_e32 v3, v8, v3
	v_sub_u32_e32 v7, 29, v7
	v_and_b32_e32 v3, 7, v3
	v_cmp_eq_u16_e32 vcc, 0, v6
	v_cndmask_b32_e32 v3, v4, v3, vcc
	v_cndmask_b32_e32 v4, v6, v7, vcc
	v_lshlrev_b32_e32 v6, 16, v5
	v_mov_b32_e32 v7, 0x3b800000
	v_lshlrev_b32_e32 v3, 20, v3
	v_and_b32_e32 v6, 0x80000000, v6
	v_lshl_add_u32 v4, v4, 23, v7
	v_or3_b32 v4, v6, v4, v3
.LBB51_1776:
	s_or_b64 exec, exec, s[6:7]
	s_nop 0
	v_mfma_f32_16x16x4f32 a[0:3], v2, v4, a[0:3]
	s_movk_i32 s4, 0xff
	v_and_b32_sdwa v3, v9, s4 dst_sel:DWORD dst_unused:UNUSED_PAD src0_sel:WORD_1 src1_sel:DWORD
	s_movk_i32 s4, 0x7f
	v_cmp_lt_i16_e32 vcc, s4, v3
	s_mov_b64 s[4:5], 0
                                        ; implicit-def: $sgpr10
	s_and_saveexec_b64 s[6:7], vcc
	s_xor_b64 s[6:7], exec, s[6:7]
	s_cbranch_execnz .LBB51_3825
; %bb.1777:
	s_or_saveexec_b64 s[6:7], s[6:7]
	v_mov_b32_e32 v2, s10
	s_xor_b64 exec, exec, s[6:7]
	s_cbranch_execnz .LBB51_3828
.LBB51_1778:
	s_or_b64 exec, exec, s[6:7]
	s_and_saveexec_b64 s[6:7], s[4:5]
	s_cbranch_execz .LBB51_1780
.LBB51_1779:
	v_bfe_u32 v2, v9, 16, 3
	v_ffbh_u32_e32 v6, v2
	v_min_u32_e32 v6, 32, v6
	v_lshrrev_b32_e32 v3, 19, v9
	v_subrev_u32_e32 v7, 28, v6
	v_and_b32_e32 v3, 15, v3
	v_lshlrev_b32_sdwa v7, v7, v9 dst_sel:DWORD dst_unused:UNUSED_PAD src0_sel:DWORD src1_sel:WORD_1
	v_bfe_u32 v4, v9, 19, 4
	v_sub_u32_e32 v6, 29, v6
	v_and_b32_e32 v7, 7, v7
	v_cmp_eq_u16_e32 vcc, 0, v3
	v_cndmask_b32_e32 v2, v2, v7, vcc
	v_cndmask_b32_e32 v3, v4, v6, vcc
	v_lshlrev_b32_e32 v4, 8, v9
	v_mov_b32_e32 v6, 0x3b800000
	v_lshlrev_b32_e32 v2, 20, v2
	v_and_b32_e32 v4, 0x80000000, v4
	v_lshl_add_u32 v3, v3, 23, v6
	v_or3_b32 v2, v4, v3, v2
.LBB51_1780:
	s_or_b64 exec, exec, s[6:7]
	s_movk_i32 s4, 0xff
	v_and_b32_sdwa v3, v5, s4 dst_sel:DWORD dst_unused:UNUSED_PAD src0_sel:WORD_1 src1_sel:DWORD
	s_movk_i32 s4, 0x7f
	v_cmp_lt_i16_e32 vcc, s4, v3
	s_mov_b64 s[4:5], 0
                                        ; implicit-def: $sgpr10
	s_and_saveexec_b64 s[6:7], vcc
	s_xor_b64 s[6:7], exec, s[6:7]
	s_cbranch_execnz .LBB51_3829
; %bb.1781:
	s_or_saveexec_b64 s[6:7], s[6:7]
	v_mov_b32_e32 v4, s10
	s_xor_b64 exec, exec, s[6:7]
	s_cbranch_execnz .LBB51_3832
.LBB51_1782:
	s_or_b64 exec, exec, s[6:7]
	s_and_saveexec_b64 s[6:7], s[4:5]
	s_cbranch_execz .LBB51_1784
.LBB51_1783:
	v_bfe_u32 v3, v5, 16, 3
	v_ffbh_u32_e32 v7, v3
	v_min_u32_e32 v7, 32, v7
	v_lshrrev_b32_e32 v4, 19, v5
	v_subrev_u32_e32 v8, 28, v7
	v_and_b32_e32 v4, 15, v4
	v_lshlrev_b32_sdwa v8, v8, v5 dst_sel:DWORD dst_unused:UNUSED_PAD src0_sel:DWORD src1_sel:WORD_1
	v_bfe_u32 v6, v5, 19, 4
	v_sub_u32_e32 v7, 29, v7
	v_and_b32_e32 v8, 7, v8
	v_cmp_eq_u16_e32 vcc, 0, v4
	v_cndmask_b32_e32 v3, v3, v8, vcc
	v_cndmask_b32_e32 v4, v6, v7, vcc
	v_lshlrev_b32_e32 v6, 8, v5
	v_mov_b32_e32 v7, 0x3b800000
	v_lshlrev_b32_e32 v3, 20, v3
	v_and_b32_e32 v6, 0x80000000, v6
	v_lshl_add_u32 v4, v4, 23, v7
	v_or3_b32 v4, v6, v4, v3
.LBB51_1784:
	s_or_b64 exec, exec, s[6:7]
	s_nop 0
	v_mfma_f32_16x16x4f32 a[0:3], v2, v4, a[0:3]
	s_movk_i32 s4, 0x7f
	v_cmp_gt_i16_sdwa s[6:7], v9, s4 src0_sel:BYTE_3 src1_sel:DWORD
	s_mov_b64 s[4:5], 0
                                        ; implicit-def: $sgpr10
	s_and_saveexec_b64 s[8:9], s[6:7]
	s_xor_b64 s[6:7], exec, s[8:9]
	s_cbranch_execnz .LBB51_3833
; %bb.1785:
	s_or_saveexec_b64 s[6:7], s[6:7]
	v_mov_b32_e32 v2, s10
	s_xor_b64 exec, exec, s[6:7]
	s_cbranch_execnz .LBB51_3836
.LBB51_1786:
	s_or_b64 exec, exec, s[6:7]
	s_and_saveexec_b64 s[6:7], s[4:5]
	s_cbranch_execz .LBB51_1788
.LBB51_1787:
	v_bfe_u32 v2, v9, 24, 3
	v_ffbh_u32_e32 v7, v2
	v_min_u32_e32 v7, 32, v7
	v_lshrrev_b32_e32 v4, 27, v9
	v_subrev_u32_e32 v8, 28, v7
	v_and_b32_e32 v4, 15, v4
	v_lshlrev_b32_sdwa v8, v8, v9 dst_sel:DWORD dst_unused:UNUSED_PAD src0_sel:DWORD src1_sel:BYTE_3
	v_bfe_u32 v6, v9, 27, 4
	v_sub_u32_e32 v7, 29, v7
	v_and_b32_e32 v8, 7, v8
	v_cmp_eq_u16_e32 vcc, 0, v4
	v_cndmask_b32_e32 v2, v2, v8, vcc
	v_cndmask_b32_e32 v4, v6, v7, vcc
	v_mov_b32_e32 v6, 0x3b800000
	v_and_b32_e32 v3, 0x80000000, v9
	v_lshlrev_b32_e32 v2, 20, v2
	v_lshl_add_u32 v4, v4, 23, v6
	v_or3_b32 v2, v3, v4, v2
.LBB51_1788:
	s_or_b64 exec, exec, s[6:7]
	s_movk_i32 s4, 0x7f
	v_cmp_gt_i16_sdwa s[6:7], v5, s4 src0_sel:BYTE_3 src1_sel:DWORD
	s_mov_b64 s[4:5], 0
                                        ; implicit-def: $sgpr10
	s_and_saveexec_b64 s[8:9], s[6:7]
	s_xor_b64 s[6:7], exec, s[8:9]
	s_cbranch_execnz .LBB51_3837
; %bb.1789:
	s_or_saveexec_b64 s[6:7], s[6:7]
	v_mov_b32_e32 v3, s10
	s_xor_b64 exec, exec, s[6:7]
	s_cbranch_execnz .LBB51_3840
.LBB51_1790:
	s_or_b64 exec, exec, s[6:7]
	s_and_saveexec_b64 s[6:7], s[4:5]
	s_cbranch_execz .LBB51_1792
.LBB51_1791:
	v_bfe_u32 v3, v5, 24, 3
	v_ffbh_u32_e32 v8, v3
	v_min_u32_e32 v8, 32, v8
	v_lshrrev_b32_e32 v6, 27, v5
	v_subrev_u32_e32 v9, 28, v8
	v_and_b32_e32 v4, 0x80000000, v5
	v_and_b32_e32 v6, 15, v6
	v_bfe_u32 v7, v5, 27, 4
	v_lshlrev_b32_sdwa v5, v9, v5 dst_sel:DWORD dst_unused:UNUSED_PAD src0_sel:DWORD src1_sel:BYTE_3
	v_sub_u32_e32 v8, 29, v8
	v_and_b32_e32 v5, 7, v5
	v_cmp_eq_u16_e32 vcc, 0, v6
	v_cndmask_b32_e32 v3, v3, v5, vcc
	v_cndmask_b32_e32 v5, v7, v8, vcc
	v_mov_b32_e32 v6, 0x3b800000
	v_lshlrev_b32_e32 v3, 20, v3
	v_lshl_add_u32 v5, v5, 23, v6
	v_or3_b32 v3, v4, v5, v3
.LBB51_1792:
	s_or_b64 exec, exec, s[6:7]
	s_nop 0
	v_mfma_f32_16x16x4f32 a[0:3], v2, v3, a[0:3]
	s_movk_i32 s4, 0x7f
                                        ; implicit-def: $sgpr10
	s_nop 7
	s_nop 1
	flat_store_dwordx4 v[18:19], a[0:3] offset:992
	flat_load_dwordx4 v[18:21], v[0:1] offset:8
	s_nop 0
	flat_load_dwordx2 v[16:17], v[0:1] offset:24
	s_waitcnt vmcnt(0) lgkmcnt(0)
	flat_load_dwordx4 v[12:15], v[18:19] offset:32
	flat_load_dwordx4 v[4:7], v[18:19] offset:48
	;; [unrolled: 1-line block ×4, first 2 shown]
	s_waitcnt vmcnt(0) lgkmcnt(0)
	v_cmp_gt_i16_sdwa s[6:7], v12, s4 src0_sel:BYTE_0 src1_sel:DWORD
	s_mov_b64 s[4:5], 0
	s_and_saveexec_b64 s[8:9], s[6:7]
	s_xor_b64 s[6:7], exec, s[8:9]
	s_cbranch_execnz .LBB51_3841
; %bb.1793:
	s_or_saveexec_b64 s[6:7], s[6:7]
	v_mov_b32_e32 v18, s10
	s_xor_b64 exec, exec, s[6:7]
	s_cbranch_execnz .LBB51_3844
.LBB51_1794:
	s_or_b64 exec, exec, s[6:7]
	s_and_saveexec_b64 s[6:7], s[4:5]
	s_cbranch_execz .LBB51_1796
.LBB51_1795:
	v_and_b32_e32 v18, 7, v12
	v_ffbh_u32_e32 v20, v18
	v_min_u32_e32 v20, 32, v20
	v_lshrrev_b16_e32 v19, 3, v12
	v_subrev_u32_e32 v21, 28, v20
	v_and_b32_e32 v19, 15, v19
	v_lshlrev_b32_e32 v21, v21, v12
	v_sub_u32_e32 v20, 29, v20
	v_and_b32_e32 v21, 7, v21
	v_cmp_eq_u16_e32 vcc, 0, v19
	v_cndmask_b32_e32 v18, v18, v21, vcc
	v_cndmask_b32_e32 v19, v19, v20, vcc
	v_lshlrev_b32_e32 v20, 24, v12
	v_mov_b32_e32 v21, 0x3b800000
	v_lshlrev_b32_e32 v18, 20, v18
	v_and_b32_e32 v20, 0x80000000, v20
	v_lshl_add_u32 v19, v19, 23, v21
	v_or3_b32 v18, v20, v19, v18
.LBB51_1796:
	s_or_b64 exec, exec, s[6:7]
	s_movk_i32 s4, 0x7f
	v_cmp_gt_i16_sdwa s[6:7], v8, s4 src0_sel:BYTE_0 src1_sel:DWORD
	s_mov_b64 s[4:5], 0
                                        ; implicit-def: $sgpr10
	s_and_saveexec_b64 s[8:9], s[6:7]
	s_xor_b64 s[6:7], exec, s[8:9]
	s_cbranch_execnz .LBB51_3845
; %bb.1797:
	s_or_saveexec_b64 s[6:7], s[6:7]
	v_mov_b32_e32 v19, s10
	s_xor_b64 exec, exec, s[6:7]
	s_cbranch_execnz .LBB51_3848
.LBB51_1798:
	s_or_b64 exec, exec, s[6:7]
	s_and_saveexec_b64 s[6:7], s[4:5]
	s_cbranch_execz .LBB51_1800
.LBB51_1799:
	v_and_b32_e32 v19, 7, v8
	v_ffbh_u32_e32 v21, v19
	v_min_u32_e32 v21, 32, v21
	v_lshrrev_b16_e32 v20, 3, v8
	v_subrev_u32_e32 v22, 28, v21
	v_and_b32_e32 v20, 15, v20
	v_lshlrev_b32_e32 v22, v22, v8
	v_sub_u32_e32 v21, 29, v21
	v_and_b32_e32 v22, 7, v22
	v_cmp_eq_u16_e32 vcc, 0, v20
	v_cndmask_b32_e32 v19, v19, v22, vcc
	v_cndmask_b32_e32 v20, v20, v21, vcc
	v_lshlrev_b32_e32 v21, 24, v8
	v_mov_b32_e32 v22, 0x3b800000
	v_lshlrev_b32_e32 v19, 20, v19
	v_and_b32_e32 v21, 0x80000000, v21
	v_lshl_add_u32 v20, v20, 23, v22
	v_or3_b32 v19, v21, v20, v19
.LBB51_1800:
	s_or_b64 exec, exec, s[6:7]
	flat_load_dwordx4 a[0:3], v[16:17] offset:1008
	s_movk_i32 s4, 0x7f
                                        ; implicit-def: $sgpr10
	s_waitcnt vmcnt(0) lgkmcnt(0)
	v_mfma_f32_16x16x4f32 a[0:3], v18, v19, a[0:3]
	v_lshrrev_b32_e32 v19, 8, v12
	v_cmp_gt_i16_sdwa s[6:7], v19, s4 src0_sel:BYTE_0 src1_sel:DWORD
	s_mov_b64 s[4:5], 0
	s_and_saveexec_b64 s[8:9], s[6:7]
	s_xor_b64 s[6:7], exec, s[8:9]
	s_cbranch_execnz .LBB51_3849
; %bb.1801:
	s_or_saveexec_b64 s[6:7], s[6:7]
	v_mov_b32_e32 v18, s10
	s_xor_b64 exec, exec, s[6:7]
	s_cbranch_execnz .LBB51_3852
.LBB51_1802:
	s_or_b64 exec, exec, s[6:7]
	s_and_saveexec_b64 s[6:7], s[4:5]
	s_cbranch_execz .LBB51_1804
.LBB51_1803:
	v_bfe_u32 v18, v12, 8, 3
	v_ffbh_u32_e32 v21, v18
	v_min_u32_e32 v21, 32, v21
	v_lshrrev_b16_e32 v20, 3, v19
	v_subrev_u32_e32 v22, 28, v21
	v_and_b32_e32 v20, 15, v20
	v_lshlrev_b32_e32 v19, v22, v19
	v_sub_u32_e32 v21, 29, v21
	v_and_b32_e32 v19, 7, v19
	v_cmp_eq_u16_e32 vcc, 0, v20
	v_cndmask_b32_e32 v18, v18, v19, vcc
	v_cndmask_b32_e32 v19, v20, v21, vcc
	v_lshlrev_b32_e32 v20, 16, v12
	v_mov_b32_e32 v21, 0x3b800000
	v_lshlrev_b32_e32 v18, 20, v18
	v_and_b32_e32 v20, 0x80000000, v20
	v_lshl_add_u32 v19, v19, 23, v21
	v_or3_b32 v18, v20, v19, v18
.LBB51_1804:
	s_or_b64 exec, exec, s[6:7]
	v_lshrrev_b32_e32 v19, 8, v8
	s_movk_i32 s4, 0x7f
	v_cmp_gt_i16_sdwa s[6:7], v19, s4 src0_sel:BYTE_0 src1_sel:DWORD
	s_mov_b64 s[4:5], 0
                                        ; implicit-def: $sgpr10
	s_and_saveexec_b64 s[8:9], s[6:7]
	s_xor_b64 s[6:7], exec, s[8:9]
	s_cbranch_execnz .LBB51_3853
; %bb.1805:
	s_or_saveexec_b64 s[6:7], s[6:7]
	v_mov_b32_e32 v20, s10
	s_xor_b64 exec, exec, s[6:7]
	s_cbranch_execnz .LBB51_3856
.LBB51_1806:
	s_or_b64 exec, exec, s[6:7]
	s_and_saveexec_b64 s[6:7], s[4:5]
	s_cbranch_execz .LBB51_1808
.LBB51_1807:
	v_bfe_u32 v20, v8, 8, 3
	v_ffbh_u32_e32 v22, v20
	v_min_u32_e32 v22, 32, v22
	v_lshrrev_b16_e32 v21, 3, v19
	v_subrev_u32_e32 v23, 28, v22
	v_and_b32_e32 v21, 15, v21
	v_lshlrev_b32_e32 v19, v23, v19
	v_sub_u32_e32 v22, 29, v22
	v_and_b32_e32 v19, 7, v19
	v_cmp_eq_u16_e32 vcc, 0, v21
	v_cndmask_b32_e32 v19, v20, v19, vcc
	v_cndmask_b32_e32 v20, v21, v22, vcc
	v_lshlrev_b32_e32 v21, 16, v8
	v_mov_b32_e32 v22, 0x3b800000
	v_lshlrev_b32_e32 v19, 20, v19
	v_and_b32_e32 v21, 0x80000000, v21
	v_lshl_add_u32 v20, v20, 23, v22
	v_or3_b32 v20, v21, v20, v19
.LBB51_1808:
	s_or_b64 exec, exec, s[6:7]
	s_nop 0
	v_mfma_f32_16x16x4f32 a[0:3], v18, v20, a[0:3]
	s_movk_i32 s4, 0xff
	v_and_b32_sdwa v19, v12, s4 dst_sel:DWORD dst_unused:UNUSED_PAD src0_sel:WORD_1 src1_sel:DWORD
	s_movk_i32 s4, 0x7f
	v_cmp_lt_i16_e32 vcc, s4, v19
	s_mov_b64 s[4:5], 0
                                        ; implicit-def: $sgpr10
	s_and_saveexec_b64 s[6:7], vcc
	s_xor_b64 s[6:7], exec, s[6:7]
	s_cbranch_execnz .LBB51_3857
; %bb.1809:
	s_or_saveexec_b64 s[6:7], s[6:7]
	v_mov_b32_e32 v18, s10
	s_xor_b64 exec, exec, s[6:7]
	s_cbranch_execnz .LBB51_3860
.LBB51_1810:
	s_or_b64 exec, exec, s[6:7]
	s_and_saveexec_b64 s[6:7], s[4:5]
	s_cbranch_execz .LBB51_1812
.LBB51_1811:
	v_bfe_u32 v18, v12, 16, 3
	v_ffbh_u32_e32 v21, v18
	v_min_u32_e32 v21, 32, v21
	v_lshrrev_b32_e32 v19, 19, v12
	v_subrev_u32_e32 v22, 28, v21
	v_and_b32_e32 v19, 15, v19
	v_lshlrev_b32_sdwa v22, v22, v12 dst_sel:DWORD dst_unused:UNUSED_PAD src0_sel:DWORD src1_sel:WORD_1
	v_bfe_u32 v20, v12, 19, 4
	v_sub_u32_e32 v21, 29, v21
	v_and_b32_e32 v22, 7, v22
	v_cmp_eq_u16_e32 vcc, 0, v19
	v_cndmask_b32_e32 v18, v18, v22, vcc
	v_cndmask_b32_e32 v19, v20, v21, vcc
	v_lshlrev_b32_e32 v20, 8, v12
	v_mov_b32_e32 v21, 0x3b800000
	v_lshlrev_b32_e32 v18, 20, v18
	v_and_b32_e32 v20, 0x80000000, v20
	v_lshl_add_u32 v19, v19, 23, v21
	v_or3_b32 v18, v20, v19, v18
.LBB51_1812:
	s_or_b64 exec, exec, s[6:7]
	s_movk_i32 s4, 0xff
	v_and_b32_sdwa v19, v8, s4 dst_sel:DWORD dst_unused:UNUSED_PAD src0_sel:WORD_1 src1_sel:DWORD
	s_movk_i32 s4, 0x7f
	v_cmp_lt_i16_e32 vcc, s4, v19
	s_mov_b64 s[4:5], 0
                                        ; implicit-def: $sgpr10
	s_and_saveexec_b64 s[6:7], vcc
	s_xor_b64 s[6:7], exec, s[6:7]
	s_cbranch_execnz .LBB51_3861
; %bb.1813:
	s_or_saveexec_b64 s[6:7], s[6:7]
	v_mov_b32_e32 v20, s10
	s_xor_b64 exec, exec, s[6:7]
	s_cbranch_execnz .LBB51_3864
.LBB51_1814:
	s_or_b64 exec, exec, s[6:7]
	s_and_saveexec_b64 s[6:7], s[4:5]
	s_cbranch_execz .LBB51_1816
.LBB51_1815:
	v_bfe_u32 v19, v8, 16, 3
	v_ffbh_u32_e32 v22, v19
	v_min_u32_e32 v22, 32, v22
	v_lshrrev_b32_e32 v20, 19, v8
	v_subrev_u32_e32 v23, 28, v22
	v_and_b32_e32 v20, 15, v20
	v_lshlrev_b32_sdwa v23, v23, v8 dst_sel:DWORD dst_unused:UNUSED_PAD src0_sel:DWORD src1_sel:WORD_1
	v_bfe_u32 v21, v8, 19, 4
	v_sub_u32_e32 v22, 29, v22
	v_and_b32_e32 v23, 7, v23
	v_cmp_eq_u16_e32 vcc, 0, v20
	v_cndmask_b32_e32 v19, v19, v23, vcc
	v_cndmask_b32_e32 v20, v21, v22, vcc
	v_lshlrev_b32_e32 v21, 8, v8
	v_mov_b32_e32 v22, 0x3b800000
	v_lshlrev_b32_e32 v19, 20, v19
	v_and_b32_e32 v21, 0x80000000, v21
	v_lshl_add_u32 v20, v20, 23, v22
	v_or3_b32 v20, v21, v20, v19
.LBB51_1816:
	s_or_b64 exec, exec, s[6:7]
	s_nop 0
	v_mfma_f32_16x16x4f32 a[0:3], v18, v20, a[0:3]
	s_movk_i32 s4, 0x7f
	v_cmp_gt_i16_sdwa s[6:7], v12, s4 src0_sel:BYTE_3 src1_sel:DWORD
	s_mov_b64 s[4:5], 0
                                        ; implicit-def: $sgpr10
	s_and_saveexec_b64 s[8:9], s[6:7]
	s_xor_b64 s[6:7], exec, s[8:9]
	s_cbranch_execnz .LBB51_3865
; %bb.1817:
	s_or_saveexec_b64 s[6:7], s[6:7]
	v_mov_b32_e32 v18, s10
	s_xor_b64 exec, exec, s[6:7]
	s_cbranch_execnz .LBB51_3868
.LBB51_1818:
	s_or_b64 exec, exec, s[6:7]
	s_and_saveexec_b64 s[6:7], s[4:5]
	s_cbranch_execz .LBB51_1820
.LBB51_1819:
	v_bfe_u32 v18, v12, 24, 3
	v_ffbh_u32_e32 v22, v18
	v_min_u32_e32 v22, 32, v22
	v_lshrrev_b32_e32 v20, 27, v12
	v_subrev_u32_e32 v23, 28, v22
	v_and_b32_e32 v19, 0x80000000, v12
	v_and_b32_e32 v20, 15, v20
	v_bfe_u32 v21, v12, 27, 4
	v_lshlrev_b32_sdwa v12, v23, v12 dst_sel:DWORD dst_unused:UNUSED_PAD src0_sel:DWORD src1_sel:BYTE_3
	v_sub_u32_e32 v22, 29, v22
	v_and_b32_e32 v12, 7, v12
	v_cmp_eq_u16_e32 vcc, 0, v20
	v_cndmask_b32_e32 v12, v18, v12, vcc
	v_cndmask_b32_e32 v18, v21, v22, vcc
	v_mov_b32_e32 v20, 0x3b800000
	v_lshlrev_b32_e32 v12, 20, v12
	v_lshl_add_u32 v18, v18, 23, v20
	v_or3_b32 v18, v19, v18, v12
.LBB51_1820:
	s_or_b64 exec, exec, s[6:7]
	s_movk_i32 s4, 0x7f
	v_cmp_gt_i16_sdwa s[6:7], v8, s4 src0_sel:BYTE_3 src1_sel:DWORD
	s_mov_b64 s[4:5], 0
                                        ; implicit-def: $sgpr10
	s_and_saveexec_b64 s[8:9], s[6:7]
	s_xor_b64 s[6:7], exec, s[8:9]
	s_cbranch_execnz .LBB51_3869
; %bb.1821:
	s_or_saveexec_b64 s[6:7], s[6:7]
	v_mov_b32_e32 v12, s10
	s_xor_b64 exec, exec, s[6:7]
	s_cbranch_execnz .LBB51_3872
.LBB51_1822:
	s_or_b64 exec, exec, s[6:7]
	s_and_saveexec_b64 s[6:7], s[4:5]
	s_cbranch_execz .LBB51_1824
.LBB51_1823:
	v_bfe_u32 v12, v8, 24, 3
	v_ffbh_u32_e32 v22, v12
	v_min_u32_e32 v22, 32, v22
	v_lshrrev_b32_e32 v20, 27, v8
	v_subrev_u32_e32 v23, 28, v22
	v_and_b32_e32 v19, 0x80000000, v8
	v_and_b32_e32 v20, 15, v20
	v_bfe_u32 v21, v8, 27, 4
	v_lshlrev_b32_sdwa v8, v23, v8 dst_sel:DWORD dst_unused:UNUSED_PAD src0_sel:DWORD src1_sel:BYTE_3
	v_sub_u32_e32 v22, 29, v22
	v_and_b32_e32 v8, 7, v8
	v_cmp_eq_u16_e32 vcc, 0, v20
	v_cndmask_b32_e32 v8, v12, v8, vcc
	v_cndmask_b32_e32 v12, v21, v22, vcc
	v_mov_b32_e32 v20, 0x3b800000
	v_lshlrev_b32_e32 v8, 20, v8
	v_lshl_add_u32 v12, v12, 23, v20
	v_or3_b32 v12, v19, v12, v8
.LBB51_1824:
	s_or_b64 exec, exec, s[6:7]
	s_nop 0
	v_mfma_f32_16x16x4f32 a[0:3], v18, v12, a[0:3]
	s_movk_i32 s4, 0x7f
	v_cmp_gt_i16_sdwa s[6:7], v13, s4 src0_sel:BYTE_0 src1_sel:DWORD
	s_mov_b64 s[4:5], 0
                                        ; implicit-def: $sgpr10
	s_and_saveexec_b64 s[8:9], s[6:7]
	s_xor_b64 s[6:7], exec, s[8:9]
	s_cbranch_execnz .LBB51_3873
; %bb.1825:
	s_or_saveexec_b64 s[6:7], s[6:7]
	v_mov_b32_e32 v8, s10
	s_xor_b64 exec, exec, s[6:7]
	s_cbranch_execnz .LBB51_3876
.LBB51_1826:
	s_or_b64 exec, exec, s[6:7]
	s_and_saveexec_b64 s[6:7], s[4:5]
	s_cbranch_execz .LBB51_1828
.LBB51_1827:
	v_and_b32_e32 v8, 7, v13
	v_ffbh_u32_e32 v18, v8
	v_min_u32_e32 v18, 32, v18
	v_lshrrev_b16_e32 v12, 3, v13
	v_subrev_u32_e32 v19, 28, v18
	v_and_b32_e32 v12, 15, v12
	v_lshlrev_b32_e32 v19, v19, v13
	v_sub_u32_e32 v18, 29, v18
	v_and_b32_e32 v19, 7, v19
	v_cmp_eq_u16_e32 vcc, 0, v12
	v_cndmask_b32_e32 v8, v8, v19, vcc
	v_cndmask_b32_e32 v12, v12, v18, vcc
	v_lshlrev_b32_e32 v18, 24, v13
	v_mov_b32_e32 v19, 0x3b800000
	v_lshlrev_b32_e32 v8, 20, v8
	v_and_b32_e32 v18, 0x80000000, v18
	v_lshl_add_u32 v12, v12, 23, v19
	v_or3_b32 v8, v18, v12, v8
.LBB51_1828:
	s_or_b64 exec, exec, s[6:7]
	s_movk_i32 s4, 0x7f
	v_cmp_gt_i16_sdwa s[6:7], v9, s4 src0_sel:BYTE_0 src1_sel:DWORD
	s_mov_b64 s[4:5], 0
                                        ; implicit-def: $sgpr10
	s_and_saveexec_b64 s[8:9], s[6:7]
	s_xor_b64 s[6:7], exec, s[8:9]
	s_cbranch_execnz .LBB51_3877
; %bb.1829:
	s_or_saveexec_b64 s[6:7], s[6:7]
	v_mov_b32_e32 v12, s10
	s_xor_b64 exec, exec, s[6:7]
	s_cbranch_execnz .LBB51_3880
.LBB51_1830:
	s_or_b64 exec, exec, s[6:7]
	s_and_saveexec_b64 s[6:7], s[4:5]
	s_cbranch_execz .LBB51_1832
.LBB51_1831:
	v_and_b32_e32 v12, 7, v9
	v_ffbh_u32_e32 v19, v12
	v_min_u32_e32 v19, 32, v19
	v_lshrrev_b16_e32 v18, 3, v9
	v_subrev_u32_e32 v20, 28, v19
	v_and_b32_e32 v18, 15, v18
	v_lshlrev_b32_e32 v20, v20, v9
	v_sub_u32_e32 v19, 29, v19
	v_and_b32_e32 v20, 7, v20
	v_cmp_eq_u16_e32 vcc, 0, v18
	v_cndmask_b32_e32 v12, v12, v20, vcc
	v_cndmask_b32_e32 v18, v18, v19, vcc
	v_lshlrev_b32_e32 v19, 24, v9
	v_mov_b32_e32 v20, 0x3b800000
	v_lshlrev_b32_e32 v12, 20, v12
	v_and_b32_e32 v19, 0x80000000, v19
	v_lshl_add_u32 v18, v18, 23, v20
	v_or3_b32 v12, v19, v18, v12
.LBB51_1832:
	s_or_b64 exec, exec, s[6:7]
	s_nop 0
	v_mfma_f32_16x16x4f32 a[0:3], v8, v12, a[0:3]
	v_lshrrev_b32_e32 v12, 8, v13
	s_movk_i32 s4, 0x7f
	v_cmp_gt_i16_sdwa s[6:7], v12, s4 src0_sel:BYTE_0 src1_sel:DWORD
	s_mov_b64 s[4:5], 0
                                        ; implicit-def: $sgpr10
	s_and_saveexec_b64 s[8:9], s[6:7]
	s_xor_b64 s[6:7], exec, s[8:9]
	s_cbranch_execnz .LBB51_3881
; %bb.1833:
	s_or_saveexec_b64 s[6:7], s[6:7]
	v_mov_b32_e32 v8, s10
	s_xor_b64 exec, exec, s[6:7]
	s_cbranch_execnz .LBB51_3884
.LBB51_1834:
	s_or_b64 exec, exec, s[6:7]
	s_and_saveexec_b64 s[6:7], s[4:5]
	s_cbranch_execz .LBB51_1836
.LBB51_1835:
	v_bfe_u32 v8, v13, 8, 3
	v_ffbh_u32_e32 v19, v8
	v_min_u32_e32 v19, 32, v19
	v_lshrrev_b16_e32 v18, 3, v12
	v_subrev_u32_e32 v20, 28, v19
	v_and_b32_e32 v18, 15, v18
	v_lshlrev_b32_e32 v12, v20, v12
	v_sub_u32_e32 v19, 29, v19
	v_and_b32_e32 v12, 7, v12
	v_cmp_eq_u16_e32 vcc, 0, v18
	v_cndmask_b32_e32 v8, v8, v12, vcc
	v_cndmask_b32_e32 v12, v18, v19, vcc
	v_lshlrev_b32_e32 v18, 16, v13
	v_mov_b32_e32 v19, 0x3b800000
	v_lshlrev_b32_e32 v8, 20, v8
	v_and_b32_e32 v18, 0x80000000, v18
	v_lshl_add_u32 v12, v12, 23, v19
	v_or3_b32 v8, v18, v12, v8
.LBB51_1836:
	s_or_b64 exec, exec, s[6:7]
	v_lshrrev_b32_e32 v12, 8, v9
	s_movk_i32 s4, 0x7f
	v_cmp_gt_i16_sdwa s[6:7], v12, s4 src0_sel:BYTE_0 src1_sel:DWORD
	s_mov_b64 s[4:5], 0
                                        ; implicit-def: $sgpr10
	s_and_saveexec_b64 s[8:9], s[6:7]
	s_xor_b64 s[6:7], exec, s[8:9]
	s_cbranch_execnz .LBB51_3885
; %bb.1837:
	s_or_saveexec_b64 s[6:7], s[6:7]
	v_mov_b32_e32 v18, s10
	s_xor_b64 exec, exec, s[6:7]
	s_cbranch_execnz .LBB51_3888
.LBB51_1838:
	s_or_b64 exec, exec, s[6:7]
	s_and_saveexec_b64 s[6:7], s[4:5]
	s_cbranch_execz .LBB51_1840
.LBB51_1839:
	v_bfe_u32 v18, v9, 8, 3
	v_ffbh_u32_e32 v20, v18
	v_min_u32_e32 v20, 32, v20
	v_lshrrev_b16_e32 v19, 3, v12
	v_subrev_u32_e32 v21, 28, v20
	v_and_b32_e32 v19, 15, v19
	v_lshlrev_b32_e32 v12, v21, v12
	v_sub_u32_e32 v20, 29, v20
	v_and_b32_e32 v12, 7, v12
	v_cmp_eq_u16_e32 vcc, 0, v19
	v_cndmask_b32_e32 v12, v18, v12, vcc
	v_cndmask_b32_e32 v18, v19, v20, vcc
	v_lshlrev_b32_e32 v19, 16, v9
	v_mov_b32_e32 v20, 0x3b800000
	v_lshlrev_b32_e32 v12, 20, v12
	v_and_b32_e32 v19, 0x80000000, v19
	v_lshl_add_u32 v18, v18, 23, v20
	v_or3_b32 v18, v19, v18, v12
.LBB51_1840:
	s_or_b64 exec, exec, s[6:7]
	s_nop 0
	v_mfma_f32_16x16x4f32 a[0:3], v8, v18, a[0:3]
	s_movk_i32 s4, 0xff
	v_and_b32_sdwa v12, v13, s4 dst_sel:DWORD dst_unused:UNUSED_PAD src0_sel:WORD_1 src1_sel:DWORD
	s_movk_i32 s4, 0x7f
	v_cmp_lt_i16_e32 vcc, s4, v12
	s_mov_b64 s[4:5], 0
                                        ; implicit-def: $sgpr10
	s_and_saveexec_b64 s[6:7], vcc
	s_xor_b64 s[6:7], exec, s[6:7]
	s_cbranch_execnz .LBB51_3889
; %bb.1841:
	s_or_saveexec_b64 s[6:7], s[6:7]
	v_mov_b32_e32 v8, s10
	s_xor_b64 exec, exec, s[6:7]
	s_cbranch_execnz .LBB51_3892
.LBB51_1842:
	s_or_b64 exec, exec, s[6:7]
	s_and_saveexec_b64 s[6:7], s[4:5]
	s_cbranch_execz .LBB51_1844
.LBB51_1843:
	v_bfe_u32 v8, v13, 16, 3
	v_ffbh_u32_e32 v19, v8
	v_min_u32_e32 v19, 32, v19
	v_lshrrev_b32_e32 v12, 19, v13
	v_subrev_u32_e32 v20, 28, v19
	v_and_b32_e32 v12, 15, v12
	v_lshlrev_b32_sdwa v20, v20, v13 dst_sel:DWORD dst_unused:UNUSED_PAD src0_sel:DWORD src1_sel:WORD_1
	v_bfe_u32 v18, v13, 19, 4
	v_sub_u32_e32 v19, 29, v19
	v_and_b32_e32 v20, 7, v20
	v_cmp_eq_u16_e32 vcc, 0, v12
	v_cndmask_b32_e32 v8, v8, v20, vcc
	v_cndmask_b32_e32 v12, v18, v19, vcc
	v_lshlrev_b32_e32 v18, 8, v13
	v_mov_b32_e32 v19, 0x3b800000
	v_lshlrev_b32_e32 v8, 20, v8
	v_and_b32_e32 v18, 0x80000000, v18
	v_lshl_add_u32 v12, v12, 23, v19
	v_or3_b32 v8, v18, v12, v8
.LBB51_1844:
	s_or_b64 exec, exec, s[6:7]
	s_movk_i32 s4, 0xff
	v_and_b32_sdwa v12, v9, s4 dst_sel:DWORD dst_unused:UNUSED_PAD src0_sel:WORD_1 src1_sel:DWORD
	s_movk_i32 s4, 0x7f
	v_cmp_lt_i16_e32 vcc, s4, v12
	s_mov_b64 s[4:5], 0
                                        ; implicit-def: $sgpr10
	s_and_saveexec_b64 s[6:7], vcc
	s_xor_b64 s[6:7], exec, s[6:7]
	s_cbranch_execnz .LBB51_3893
; %bb.1845:
	s_or_saveexec_b64 s[6:7], s[6:7]
	v_mov_b32_e32 v18, s10
	s_xor_b64 exec, exec, s[6:7]
	s_cbranch_execnz .LBB51_3896
.LBB51_1846:
	s_or_b64 exec, exec, s[6:7]
	s_and_saveexec_b64 s[6:7], s[4:5]
	s_cbranch_execz .LBB51_1848
.LBB51_1847:
	v_bfe_u32 v12, v9, 16, 3
	v_ffbh_u32_e32 v20, v12
	v_min_u32_e32 v20, 32, v20
	v_lshrrev_b32_e32 v18, 19, v9
	v_subrev_u32_e32 v21, 28, v20
	v_and_b32_e32 v18, 15, v18
	v_lshlrev_b32_sdwa v21, v21, v9 dst_sel:DWORD dst_unused:UNUSED_PAD src0_sel:DWORD src1_sel:WORD_1
	v_bfe_u32 v19, v9, 19, 4
	v_sub_u32_e32 v20, 29, v20
	v_and_b32_e32 v21, 7, v21
	v_cmp_eq_u16_e32 vcc, 0, v18
	v_cndmask_b32_e32 v12, v12, v21, vcc
	v_cndmask_b32_e32 v18, v19, v20, vcc
	v_lshlrev_b32_e32 v19, 8, v9
	v_mov_b32_e32 v20, 0x3b800000
	v_lshlrev_b32_e32 v12, 20, v12
	v_and_b32_e32 v19, 0x80000000, v19
	v_lshl_add_u32 v18, v18, 23, v20
	v_or3_b32 v18, v19, v18, v12
.LBB51_1848:
	s_or_b64 exec, exec, s[6:7]
	s_nop 0
	v_mfma_f32_16x16x4f32 a[0:3], v8, v18, a[0:3]
	s_movk_i32 s4, 0x7f
	v_cmp_gt_i16_sdwa s[6:7], v13, s4 src0_sel:BYTE_3 src1_sel:DWORD
	s_mov_b64 s[4:5], 0
                                        ; implicit-def: $sgpr10
	s_and_saveexec_b64 s[8:9], s[6:7]
	s_xor_b64 s[6:7], exec, s[8:9]
	s_cbranch_execnz .LBB51_3897
; %bb.1849:
	s_or_saveexec_b64 s[6:7], s[6:7]
	v_mov_b32_e32 v8, s10
	s_xor_b64 exec, exec, s[6:7]
	s_cbranch_execnz .LBB51_3900
.LBB51_1850:
	s_or_b64 exec, exec, s[6:7]
	s_and_saveexec_b64 s[6:7], s[4:5]
	s_cbranch_execz .LBB51_1852
.LBB51_1851:
	v_bfe_u32 v8, v13, 24, 3
	v_ffbh_u32_e32 v20, v8
	v_min_u32_e32 v20, 32, v20
	v_lshrrev_b32_e32 v18, 27, v13
	v_subrev_u32_e32 v21, 28, v20
	v_and_b32_e32 v12, 0x80000000, v13
	v_and_b32_e32 v18, 15, v18
	v_bfe_u32 v19, v13, 27, 4
	v_lshlrev_b32_sdwa v13, v21, v13 dst_sel:DWORD dst_unused:UNUSED_PAD src0_sel:DWORD src1_sel:BYTE_3
	v_sub_u32_e32 v20, 29, v20
	v_and_b32_e32 v13, 7, v13
	v_cmp_eq_u16_e32 vcc, 0, v18
	v_cndmask_b32_e32 v8, v8, v13, vcc
	v_cndmask_b32_e32 v13, v19, v20, vcc
	v_mov_b32_e32 v18, 0x3b800000
	v_lshlrev_b32_e32 v8, 20, v8
	v_lshl_add_u32 v13, v13, 23, v18
	v_or3_b32 v8, v12, v13, v8
.LBB51_1852:
	s_or_b64 exec, exec, s[6:7]
	s_movk_i32 s4, 0x7f
	v_cmp_gt_i16_sdwa s[6:7], v9, s4 src0_sel:BYTE_3 src1_sel:DWORD
	s_mov_b64 s[4:5], 0
                                        ; implicit-def: $sgpr10
	s_and_saveexec_b64 s[8:9], s[6:7]
	s_xor_b64 s[6:7], exec, s[8:9]
	s_cbranch_execnz .LBB51_3901
; %bb.1853:
	s_or_saveexec_b64 s[6:7], s[6:7]
	v_mov_b32_e32 v12, s10
	s_xor_b64 exec, exec, s[6:7]
	s_cbranch_execnz .LBB51_3904
.LBB51_1854:
	s_or_b64 exec, exec, s[6:7]
	s_and_saveexec_b64 s[6:7], s[4:5]
	s_cbranch_execz .LBB51_1856
.LBB51_1855:
	v_bfe_u32 v12, v9, 24, 3
	v_ffbh_u32_e32 v20, v12
	v_min_u32_e32 v20, 32, v20
	v_lshrrev_b32_e32 v18, 27, v9
	v_subrev_u32_e32 v21, 28, v20
	v_and_b32_e32 v13, 0x80000000, v9
	v_and_b32_e32 v18, 15, v18
	v_bfe_u32 v19, v9, 27, 4
	v_lshlrev_b32_sdwa v9, v21, v9 dst_sel:DWORD dst_unused:UNUSED_PAD src0_sel:DWORD src1_sel:BYTE_3
	v_sub_u32_e32 v20, 29, v20
	v_and_b32_e32 v9, 7, v9
	v_cmp_eq_u16_e32 vcc, 0, v18
	v_cndmask_b32_e32 v9, v12, v9, vcc
	v_cndmask_b32_e32 v12, v19, v20, vcc
	v_mov_b32_e32 v18, 0x3b800000
	v_lshlrev_b32_e32 v9, 20, v9
	v_lshl_add_u32 v12, v12, 23, v18
	v_or3_b32 v12, v13, v12, v9
.LBB51_1856:
	s_or_b64 exec, exec, s[6:7]
	s_nop 0
	v_mfma_f32_16x16x4f32 a[0:3], v8, v12, a[0:3]
	s_movk_i32 s4, 0x7f
	v_cmp_gt_i16_sdwa s[6:7], v14, s4 src0_sel:BYTE_0 src1_sel:DWORD
	s_mov_b64 s[4:5], 0
                                        ; implicit-def: $sgpr10
	s_and_saveexec_b64 s[8:9], s[6:7]
	s_xor_b64 s[6:7], exec, s[8:9]
	s_cbranch_execnz .LBB51_3905
; %bb.1857:
	s_or_saveexec_b64 s[6:7], s[6:7]
	v_mov_b32_e32 v8, s10
	s_xor_b64 exec, exec, s[6:7]
	s_cbranch_execnz .LBB51_3908
.LBB51_1858:
	s_or_b64 exec, exec, s[6:7]
	s_and_saveexec_b64 s[6:7], s[4:5]
	s_cbranch_execz .LBB51_1860
.LBB51_1859:
	v_and_b32_e32 v8, 7, v14
	v_ffbh_u32_e32 v12, v8
	v_min_u32_e32 v12, 32, v12
	v_lshrrev_b16_e32 v9, 3, v14
	v_subrev_u32_e32 v13, 28, v12
	v_and_b32_e32 v9, 15, v9
	v_lshlrev_b32_e32 v13, v13, v14
	v_sub_u32_e32 v12, 29, v12
	v_and_b32_e32 v13, 7, v13
	v_cmp_eq_u16_e32 vcc, 0, v9
	v_cndmask_b32_e32 v8, v8, v13, vcc
	v_cndmask_b32_e32 v9, v9, v12, vcc
	v_lshlrev_b32_e32 v12, 24, v14
	v_mov_b32_e32 v13, 0x3b800000
	v_lshlrev_b32_e32 v8, 20, v8
	v_and_b32_e32 v12, 0x80000000, v12
	v_lshl_add_u32 v9, v9, 23, v13
	v_or3_b32 v8, v12, v9, v8
.LBB51_1860:
	s_or_b64 exec, exec, s[6:7]
	s_movk_i32 s4, 0x7f
	v_cmp_gt_i16_sdwa s[6:7], v10, s4 src0_sel:BYTE_0 src1_sel:DWORD
	s_mov_b64 s[4:5], 0
                                        ; implicit-def: $sgpr10
	s_and_saveexec_b64 s[8:9], s[6:7]
	s_xor_b64 s[6:7], exec, s[8:9]
	s_cbranch_execnz .LBB51_3909
; %bb.1861:
	s_or_saveexec_b64 s[6:7], s[6:7]
	v_mov_b32_e32 v9, s10
	s_xor_b64 exec, exec, s[6:7]
	s_cbranch_execnz .LBB51_3912
.LBB51_1862:
	s_or_b64 exec, exec, s[6:7]
	s_and_saveexec_b64 s[6:7], s[4:5]
	s_cbranch_execz .LBB51_1864
.LBB51_1863:
	v_and_b32_e32 v9, 7, v10
	v_ffbh_u32_e32 v13, v9
	v_min_u32_e32 v13, 32, v13
	v_lshrrev_b16_e32 v12, 3, v10
	v_subrev_u32_e32 v18, 28, v13
	v_and_b32_e32 v12, 15, v12
	v_lshlrev_b32_e32 v18, v18, v10
	v_sub_u32_e32 v13, 29, v13
	v_and_b32_e32 v18, 7, v18
	v_cmp_eq_u16_e32 vcc, 0, v12
	v_cndmask_b32_e32 v9, v9, v18, vcc
	v_cndmask_b32_e32 v12, v12, v13, vcc
	v_lshlrev_b32_e32 v13, 24, v10
	v_mov_b32_e32 v18, 0x3b800000
	v_lshlrev_b32_e32 v9, 20, v9
	v_and_b32_e32 v13, 0x80000000, v13
	v_lshl_add_u32 v12, v12, 23, v18
	v_or3_b32 v9, v13, v12, v9
.LBB51_1864:
	s_or_b64 exec, exec, s[6:7]
	s_nop 0
	v_mfma_f32_16x16x4f32 a[0:3], v8, v9, a[0:3]
	v_lshrrev_b32_e32 v9, 8, v14
	s_movk_i32 s4, 0x7f
	v_cmp_gt_i16_sdwa s[6:7], v9, s4 src0_sel:BYTE_0 src1_sel:DWORD
	s_mov_b64 s[4:5], 0
                                        ; implicit-def: $sgpr10
	s_and_saveexec_b64 s[8:9], s[6:7]
	s_xor_b64 s[6:7], exec, s[8:9]
	s_cbranch_execnz .LBB51_3913
; %bb.1865:
	s_or_saveexec_b64 s[6:7], s[6:7]
	v_mov_b32_e32 v8, s10
	s_xor_b64 exec, exec, s[6:7]
	s_cbranch_execnz .LBB51_3916
.LBB51_1866:
	s_or_b64 exec, exec, s[6:7]
	s_and_saveexec_b64 s[6:7], s[4:5]
	s_cbranch_execz .LBB51_1868
.LBB51_1867:
	v_bfe_u32 v8, v14, 8, 3
	v_ffbh_u32_e32 v13, v8
	v_min_u32_e32 v13, 32, v13
	v_lshrrev_b16_e32 v12, 3, v9
	v_subrev_u32_e32 v18, 28, v13
	v_and_b32_e32 v12, 15, v12
	v_lshlrev_b32_e32 v9, v18, v9
	v_sub_u32_e32 v13, 29, v13
	v_and_b32_e32 v9, 7, v9
	v_cmp_eq_u16_e32 vcc, 0, v12
	v_cndmask_b32_e32 v8, v8, v9, vcc
	v_cndmask_b32_e32 v9, v12, v13, vcc
	v_lshlrev_b32_e32 v12, 16, v14
	v_mov_b32_e32 v13, 0x3b800000
	v_lshlrev_b32_e32 v8, 20, v8
	v_and_b32_e32 v12, 0x80000000, v12
	v_lshl_add_u32 v9, v9, 23, v13
	v_or3_b32 v8, v12, v9, v8
.LBB51_1868:
	s_or_b64 exec, exec, s[6:7]
	v_lshrrev_b32_e32 v9, 8, v10
	s_movk_i32 s4, 0x7f
	v_cmp_gt_i16_sdwa s[6:7], v9, s4 src0_sel:BYTE_0 src1_sel:DWORD
	s_mov_b64 s[4:5], 0
                                        ; implicit-def: $sgpr10
	s_and_saveexec_b64 s[8:9], s[6:7]
	s_xor_b64 s[6:7], exec, s[8:9]
	s_cbranch_execnz .LBB51_3917
; %bb.1869:
	s_or_saveexec_b64 s[6:7], s[6:7]
	v_mov_b32_e32 v12, s10
	s_xor_b64 exec, exec, s[6:7]
	s_cbranch_execnz .LBB51_3920
.LBB51_1870:
	s_or_b64 exec, exec, s[6:7]
	s_and_saveexec_b64 s[6:7], s[4:5]
	s_cbranch_execz .LBB51_1872
.LBB51_1871:
	v_bfe_u32 v12, v10, 8, 3
	v_ffbh_u32_e32 v18, v12
	v_min_u32_e32 v18, 32, v18
	v_lshrrev_b16_e32 v13, 3, v9
	v_subrev_u32_e32 v19, 28, v18
	v_and_b32_e32 v13, 15, v13
	v_lshlrev_b32_e32 v9, v19, v9
	v_sub_u32_e32 v18, 29, v18
	v_and_b32_e32 v9, 7, v9
	v_cmp_eq_u16_e32 vcc, 0, v13
	v_cndmask_b32_e32 v9, v12, v9, vcc
	v_cndmask_b32_e32 v12, v13, v18, vcc
	v_lshlrev_b32_e32 v13, 16, v10
	v_mov_b32_e32 v18, 0x3b800000
	v_lshlrev_b32_e32 v9, 20, v9
	v_and_b32_e32 v13, 0x80000000, v13
	v_lshl_add_u32 v12, v12, 23, v18
	v_or3_b32 v12, v13, v12, v9
.LBB51_1872:
	s_or_b64 exec, exec, s[6:7]
	s_nop 0
	v_mfma_f32_16x16x4f32 a[0:3], v8, v12, a[0:3]
	s_movk_i32 s4, 0xff
	v_and_b32_sdwa v9, v14, s4 dst_sel:DWORD dst_unused:UNUSED_PAD src0_sel:WORD_1 src1_sel:DWORD
	s_movk_i32 s4, 0x7f
	v_cmp_lt_i16_e32 vcc, s4, v9
	s_mov_b64 s[4:5], 0
                                        ; implicit-def: $sgpr10
	s_and_saveexec_b64 s[6:7], vcc
	s_xor_b64 s[6:7], exec, s[6:7]
	s_cbranch_execnz .LBB51_3921
; %bb.1873:
	s_or_saveexec_b64 s[6:7], s[6:7]
	v_mov_b32_e32 v8, s10
	s_xor_b64 exec, exec, s[6:7]
	s_cbranch_execnz .LBB51_3924
.LBB51_1874:
	s_or_b64 exec, exec, s[6:7]
	s_and_saveexec_b64 s[6:7], s[4:5]
	s_cbranch_execz .LBB51_1876
.LBB51_1875:
	v_bfe_u32 v8, v14, 16, 3
	v_ffbh_u32_e32 v13, v8
	v_min_u32_e32 v13, 32, v13
	v_lshrrev_b32_e32 v9, 19, v14
	v_subrev_u32_e32 v18, 28, v13
	v_and_b32_e32 v9, 15, v9
	v_lshlrev_b32_sdwa v18, v18, v14 dst_sel:DWORD dst_unused:UNUSED_PAD src0_sel:DWORD src1_sel:WORD_1
	v_bfe_u32 v12, v14, 19, 4
	v_sub_u32_e32 v13, 29, v13
	v_and_b32_e32 v18, 7, v18
	v_cmp_eq_u16_e32 vcc, 0, v9
	v_cndmask_b32_e32 v8, v8, v18, vcc
	v_cndmask_b32_e32 v9, v12, v13, vcc
	v_lshlrev_b32_e32 v12, 8, v14
	v_mov_b32_e32 v13, 0x3b800000
	v_lshlrev_b32_e32 v8, 20, v8
	v_and_b32_e32 v12, 0x80000000, v12
	v_lshl_add_u32 v9, v9, 23, v13
	v_or3_b32 v8, v12, v9, v8
.LBB51_1876:
	s_or_b64 exec, exec, s[6:7]
	s_movk_i32 s4, 0xff
	v_and_b32_sdwa v9, v10, s4 dst_sel:DWORD dst_unused:UNUSED_PAD src0_sel:WORD_1 src1_sel:DWORD
	s_movk_i32 s4, 0x7f
	v_cmp_lt_i16_e32 vcc, s4, v9
	s_mov_b64 s[4:5], 0
                                        ; implicit-def: $sgpr10
	s_and_saveexec_b64 s[6:7], vcc
	s_xor_b64 s[6:7], exec, s[6:7]
	s_cbranch_execnz .LBB51_3925
; %bb.1877:
	s_or_saveexec_b64 s[6:7], s[6:7]
	v_mov_b32_e32 v12, s10
	s_xor_b64 exec, exec, s[6:7]
	s_cbranch_execnz .LBB51_3928
.LBB51_1878:
	s_or_b64 exec, exec, s[6:7]
	s_and_saveexec_b64 s[6:7], s[4:5]
	s_cbranch_execz .LBB51_1880
.LBB51_1879:
	v_bfe_u32 v9, v10, 16, 3
	v_ffbh_u32_e32 v18, v9
	v_min_u32_e32 v18, 32, v18
	v_lshrrev_b32_e32 v12, 19, v10
	v_subrev_u32_e32 v19, 28, v18
	v_and_b32_e32 v12, 15, v12
	v_lshlrev_b32_sdwa v19, v19, v10 dst_sel:DWORD dst_unused:UNUSED_PAD src0_sel:DWORD src1_sel:WORD_1
	v_bfe_u32 v13, v10, 19, 4
	v_sub_u32_e32 v18, 29, v18
	v_and_b32_e32 v19, 7, v19
	v_cmp_eq_u16_e32 vcc, 0, v12
	v_cndmask_b32_e32 v9, v9, v19, vcc
	v_cndmask_b32_e32 v12, v13, v18, vcc
	v_lshlrev_b32_e32 v13, 8, v10
	v_mov_b32_e32 v18, 0x3b800000
	v_lshlrev_b32_e32 v9, 20, v9
	v_and_b32_e32 v13, 0x80000000, v13
	v_lshl_add_u32 v12, v12, 23, v18
	v_or3_b32 v12, v13, v12, v9
.LBB51_1880:
	s_or_b64 exec, exec, s[6:7]
	s_nop 0
	v_mfma_f32_16x16x4f32 a[0:3], v8, v12, a[0:3]
	s_movk_i32 s4, 0x7f
	v_cmp_gt_i16_sdwa s[6:7], v14, s4 src0_sel:BYTE_3 src1_sel:DWORD
	s_mov_b64 s[4:5], 0
                                        ; implicit-def: $sgpr10
	s_and_saveexec_b64 s[8:9], s[6:7]
	s_xor_b64 s[6:7], exec, s[8:9]
	s_cbranch_execnz .LBB51_3929
; %bb.1881:
	s_or_saveexec_b64 s[6:7], s[6:7]
	v_mov_b32_e32 v8, s10
	s_xor_b64 exec, exec, s[6:7]
	s_cbranch_execnz .LBB51_3932
.LBB51_1882:
	s_or_b64 exec, exec, s[6:7]
	s_and_saveexec_b64 s[6:7], s[4:5]
	s_cbranch_execz .LBB51_1884
.LBB51_1883:
	v_bfe_u32 v8, v14, 24, 3
	v_ffbh_u32_e32 v18, v8
	v_min_u32_e32 v18, 32, v18
	v_lshrrev_b32_e32 v12, 27, v14
	v_subrev_u32_e32 v19, 28, v18
	v_and_b32_e32 v9, 0x80000000, v14
	v_and_b32_e32 v12, 15, v12
	v_bfe_u32 v13, v14, 27, 4
	v_lshlrev_b32_sdwa v14, v19, v14 dst_sel:DWORD dst_unused:UNUSED_PAD src0_sel:DWORD src1_sel:BYTE_3
	v_sub_u32_e32 v18, 29, v18
	v_and_b32_e32 v14, 7, v14
	v_cmp_eq_u16_e32 vcc, 0, v12
	v_cndmask_b32_e32 v8, v8, v14, vcc
	v_cndmask_b32_e32 v12, v13, v18, vcc
	v_mov_b32_e32 v13, 0x3b800000
	v_lshlrev_b32_e32 v8, 20, v8
	v_lshl_add_u32 v12, v12, 23, v13
	v_or3_b32 v8, v9, v12, v8
.LBB51_1884:
	s_or_b64 exec, exec, s[6:7]
	s_movk_i32 s4, 0x7f
	v_cmp_gt_i16_sdwa s[6:7], v10, s4 src0_sel:BYTE_3 src1_sel:DWORD
	s_mov_b64 s[4:5], 0
                                        ; implicit-def: $sgpr10
	s_and_saveexec_b64 s[8:9], s[6:7]
	s_xor_b64 s[6:7], exec, s[8:9]
	s_cbranch_execnz .LBB51_3933
; %bb.1885:
	s_or_saveexec_b64 s[6:7], s[6:7]
	v_mov_b32_e32 v9, s10
	s_xor_b64 exec, exec, s[6:7]
	s_cbranch_execnz .LBB51_3936
.LBB51_1886:
	s_or_b64 exec, exec, s[6:7]
	s_and_saveexec_b64 s[6:7], s[4:5]
	s_cbranch_execz .LBB51_1888
.LBB51_1887:
	v_bfe_u32 v9, v10, 24, 3
	v_ffbh_u32_e32 v18, v9
	v_min_u32_e32 v18, 32, v18
	v_lshrrev_b32_e32 v13, 27, v10
	v_subrev_u32_e32 v19, 28, v18
	v_and_b32_e32 v12, 0x80000000, v10
	v_and_b32_e32 v13, 15, v13
	v_bfe_u32 v14, v10, 27, 4
	v_lshlrev_b32_sdwa v10, v19, v10 dst_sel:DWORD dst_unused:UNUSED_PAD src0_sel:DWORD src1_sel:BYTE_3
	v_sub_u32_e32 v18, 29, v18
	v_and_b32_e32 v10, 7, v10
	v_cmp_eq_u16_e32 vcc, 0, v13
	v_cndmask_b32_e32 v9, v9, v10, vcc
	v_cndmask_b32_e32 v10, v14, v18, vcc
	v_mov_b32_e32 v13, 0x3b800000
	v_lshlrev_b32_e32 v9, 20, v9
	v_lshl_add_u32 v10, v10, 23, v13
	v_or3_b32 v9, v12, v10, v9
.LBB51_1888:
	s_or_b64 exec, exec, s[6:7]
	s_nop 0
	v_mfma_f32_16x16x4f32 a[0:3], v8, v9, a[0:3]
	s_movk_i32 s4, 0x7f
	v_cmp_gt_i16_sdwa s[6:7], v15, s4 src0_sel:BYTE_0 src1_sel:DWORD
	s_mov_b64 s[4:5], 0
                                        ; implicit-def: $sgpr10
	s_and_saveexec_b64 s[8:9], s[6:7]
	s_xor_b64 s[6:7], exec, s[8:9]
	s_cbranch_execnz .LBB51_3937
; %bb.1889:
	s_or_saveexec_b64 s[6:7], s[6:7]
	v_mov_b32_e32 v8, s10
	s_xor_b64 exec, exec, s[6:7]
	s_cbranch_execnz .LBB51_3940
.LBB51_1890:
	s_or_b64 exec, exec, s[6:7]
	s_and_saveexec_b64 s[6:7], s[4:5]
	s_cbranch_execz .LBB51_1892
.LBB51_1891:
	v_and_b32_e32 v8, 7, v15
	v_ffbh_u32_e32 v10, v8
	v_min_u32_e32 v10, 32, v10
	v_lshrrev_b16_e32 v9, 3, v15
	v_subrev_u32_e32 v12, 28, v10
	v_and_b32_e32 v9, 15, v9
	v_lshlrev_b32_e32 v12, v12, v15
	v_sub_u32_e32 v10, 29, v10
	v_and_b32_e32 v12, 7, v12
	v_cmp_eq_u16_e32 vcc, 0, v9
	v_cndmask_b32_e32 v8, v8, v12, vcc
	v_cndmask_b32_e32 v9, v9, v10, vcc
	v_lshlrev_b32_e32 v10, 24, v15
	v_mov_b32_e32 v12, 0x3b800000
	v_lshlrev_b32_e32 v8, 20, v8
	v_and_b32_e32 v10, 0x80000000, v10
	v_lshl_add_u32 v9, v9, 23, v12
	v_or3_b32 v8, v10, v9, v8
.LBB51_1892:
	s_or_b64 exec, exec, s[6:7]
	s_movk_i32 s4, 0x7f
	v_cmp_gt_i16_sdwa s[6:7], v11, s4 src0_sel:BYTE_0 src1_sel:DWORD
	s_mov_b64 s[4:5], 0
                                        ; implicit-def: $sgpr10
	s_and_saveexec_b64 s[8:9], s[6:7]
	s_xor_b64 s[6:7], exec, s[8:9]
	s_cbranch_execnz .LBB51_3941
; %bb.1893:
	s_or_saveexec_b64 s[6:7], s[6:7]
	v_mov_b32_e32 v9, s10
	s_xor_b64 exec, exec, s[6:7]
	s_cbranch_execnz .LBB51_3944
.LBB51_1894:
	s_or_b64 exec, exec, s[6:7]
	s_and_saveexec_b64 s[6:7], s[4:5]
	s_cbranch_execz .LBB51_1896
.LBB51_1895:
	v_and_b32_e32 v9, 7, v11
	v_ffbh_u32_e32 v12, v9
	v_min_u32_e32 v12, 32, v12
	v_lshrrev_b16_e32 v10, 3, v11
	v_subrev_u32_e32 v13, 28, v12
	v_and_b32_e32 v10, 15, v10
	v_lshlrev_b32_e32 v13, v13, v11
	v_sub_u32_e32 v12, 29, v12
	v_and_b32_e32 v13, 7, v13
	v_cmp_eq_u16_e32 vcc, 0, v10
	v_cndmask_b32_e32 v9, v9, v13, vcc
	v_cndmask_b32_e32 v10, v10, v12, vcc
	v_lshlrev_b32_e32 v12, 24, v11
	v_mov_b32_e32 v13, 0x3b800000
	v_lshlrev_b32_e32 v9, 20, v9
	v_and_b32_e32 v12, 0x80000000, v12
	v_lshl_add_u32 v10, v10, 23, v13
	v_or3_b32 v9, v12, v10, v9
.LBB51_1896:
	s_or_b64 exec, exec, s[6:7]
	s_nop 0
	v_mfma_f32_16x16x4f32 a[0:3], v8, v9, a[0:3]
	v_lshrrev_b32_e32 v9, 8, v15
	s_movk_i32 s4, 0x7f
	v_cmp_gt_i16_sdwa s[6:7], v9, s4 src0_sel:BYTE_0 src1_sel:DWORD
	s_mov_b64 s[4:5], 0
                                        ; implicit-def: $sgpr10
	s_and_saveexec_b64 s[8:9], s[6:7]
	s_xor_b64 s[6:7], exec, s[8:9]
	s_cbranch_execnz .LBB51_3945
; %bb.1897:
	s_or_saveexec_b64 s[6:7], s[6:7]
	v_mov_b32_e32 v8, s10
	s_xor_b64 exec, exec, s[6:7]
	s_cbranch_execnz .LBB51_3948
.LBB51_1898:
	s_or_b64 exec, exec, s[6:7]
	s_and_saveexec_b64 s[6:7], s[4:5]
	s_cbranch_execz .LBB51_1900
.LBB51_1899:
	v_bfe_u32 v8, v15, 8, 3
	v_ffbh_u32_e32 v12, v8
	v_min_u32_e32 v12, 32, v12
	v_lshrrev_b16_e32 v10, 3, v9
	v_subrev_u32_e32 v13, 28, v12
	v_and_b32_e32 v10, 15, v10
	v_lshlrev_b32_e32 v9, v13, v9
	v_sub_u32_e32 v12, 29, v12
	v_and_b32_e32 v9, 7, v9
	v_cmp_eq_u16_e32 vcc, 0, v10
	v_cndmask_b32_e32 v8, v8, v9, vcc
	v_cndmask_b32_e32 v9, v10, v12, vcc
	v_lshlrev_b32_e32 v10, 16, v15
	v_mov_b32_e32 v12, 0x3b800000
	v_lshlrev_b32_e32 v8, 20, v8
	v_and_b32_e32 v10, 0x80000000, v10
	v_lshl_add_u32 v9, v9, 23, v12
	v_or3_b32 v8, v10, v9, v8
.LBB51_1900:
	s_or_b64 exec, exec, s[6:7]
	v_lshrrev_b32_e32 v9, 8, v11
	s_movk_i32 s4, 0x7f
	v_cmp_gt_i16_sdwa s[6:7], v9, s4 src0_sel:BYTE_0 src1_sel:DWORD
	s_mov_b64 s[4:5], 0
                                        ; implicit-def: $sgpr10
	s_and_saveexec_b64 s[8:9], s[6:7]
	s_xor_b64 s[6:7], exec, s[8:9]
	s_cbranch_execnz .LBB51_3949
; %bb.1901:
	s_or_saveexec_b64 s[6:7], s[6:7]
	v_mov_b32_e32 v10, s10
	s_xor_b64 exec, exec, s[6:7]
	s_cbranch_execnz .LBB51_3952
.LBB51_1902:
	s_or_b64 exec, exec, s[6:7]
	s_and_saveexec_b64 s[6:7], s[4:5]
	s_cbranch_execz .LBB51_1904
.LBB51_1903:
	v_bfe_u32 v10, v11, 8, 3
	v_ffbh_u32_e32 v13, v10
	v_min_u32_e32 v13, 32, v13
	v_lshrrev_b16_e32 v12, 3, v9
	v_subrev_u32_e32 v14, 28, v13
	v_and_b32_e32 v12, 15, v12
	v_lshlrev_b32_e32 v9, v14, v9
	v_sub_u32_e32 v13, 29, v13
	v_and_b32_e32 v9, 7, v9
	v_cmp_eq_u16_e32 vcc, 0, v12
	v_cndmask_b32_e32 v9, v10, v9, vcc
	v_cndmask_b32_e32 v10, v12, v13, vcc
	v_lshlrev_b32_e32 v12, 16, v11
	v_mov_b32_e32 v13, 0x3b800000
	v_lshlrev_b32_e32 v9, 20, v9
	v_and_b32_e32 v12, 0x80000000, v12
	v_lshl_add_u32 v10, v10, 23, v13
	v_or3_b32 v10, v12, v10, v9
.LBB51_1904:
	s_or_b64 exec, exec, s[6:7]
	s_nop 0
	v_mfma_f32_16x16x4f32 a[0:3], v8, v10, a[0:3]
	s_movk_i32 s4, 0xff
	v_and_b32_sdwa v9, v15, s4 dst_sel:DWORD dst_unused:UNUSED_PAD src0_sel:WORD_1 src1_sel:DWORD
	s_movk_i32 s4, 0x7f
	v_cmp_lt_i16_e32 vcc, s4, v9
	s_mov_b64 s[4:5], 0
                                        ; implicit-def: $sgpr10
	s_and_saveexec_b64 s[6:7], vcc
	s_xor_b64 s[6:7], exec, s[6:7]
	s_cbranch_execnz .LBB51_3953
; %bb.1905:
	s_or_saveexec_b64 s[6:7], s[6:7]
	v_mov_b32_e32 v8, s10
	s_xor_b64 exec, exec, s[6:7]
	s_cbranch_execnz .LBB51_3956
.LBB51_1906:
	s_or_b64 exec, exec, s[6:7]
	s_and_saveexec_b64 s[6:7], s[4:5]
	s_cbranch_execz .LBB51_1908
.LBB51_1907:
	v_bfe_u32 v8, v15, 16, 3
	v_ffbh_u32_e32 v12, v8
	v_min_u32_e32 v12, 32, v12
	v_lshrrev_b32_e32 v9, 19, v15
	v_subrev_u32_e32 v13, 28, v12
	v_and_b32_e32 v9, 15, v9
	v_lshlrev_b32_sdwa v13, v13, v15 dst_sel:DWORD dst_unused:UNUSED_PAD src0_sel:DWORD src1_sel:WORD_1
	v_bfe_u32 v10, v15, 19, 4
	v_sub_u32_e32 v12, 29, v12
	v_and_b32_e32 v13, 7, v13
	v_cmp_eq_u16_e32 vcc, 0, v9
	v_cndmask_b32_e32 v8, v8, v13, vcc
	v_cndmask_b32_e32 v9, v10, v12, vcc
	v_lshlrev_b32_e32 v10, 8, v15
	v_mov_b32_e32 v12, 0x3b800000
	v_lshlrev_b32_e32 v8, 20, v8
	v_and_b32_e32 v10, 0x80000000, v10
	v_lshl_add_u32 v9, v9, 23, v12
	v_or3_b32 v8, v10, v9, v8
.LBB51_1908:
	s_or_b64 exec, exec, s[6:7]
	s_movk_i32 s4, 0xff
	v_and_b32_sdwa v9, v11, s4 dst_sel:DWORD dst_unused:UNUSED_PAD src0_sel:WORD_1 src1_sel:DWORD
	s_movk_i32 s4, 0x7f
	v_cmp_lt_i16_e32 vcc, s4, v9
	s_mov_b64 s[4:5], 0
                                        ; implicit-def: $sgpr10
	s_and_saveexec_b64 s[6:7], vcc
	s_xor_b64 s[6:7], exec, s[6:7]
	s_cbranch_execnz .LBB51_3957
; %bb.1909:
	s_or_saveexec_b64 s[6:7], s[6:7]
	v_mov_b32_e32 v10, s10
	s_xor_b64 exec, exec, s[6:7]
	s_cbranch_execnz .LBB51_3960
.LBB51_1910:
	s_or_b64 exec, exec, s[6:7]
	s_and_saveexec_b64 s[6:7], s[4:5]
	s_cbranch_execz .LBB51_1912
.LBB51_1911:
	v_bfe_u32 v9, v11, 16, 3
	v_ffbh_u32_e32 v13, v9
	v_min_u32_e32 v13, 32, v13
	v_lshrrev_b32_e32 v10, 19, v11
	v_subrev_u32_e32 v14, 28, v13
	v_and_b32_e32 v10, 15, v10
	v_lshlrev_b32_sdwa v14, v14, v11 dst_sel:DWORD dst_unused:UNUSED_PAD src0_sel:DWORD src1_sel:WORD_1
	v_bfe_u32 v12, v11, 19, 4
	v_sub_u32_e32 v13, 29, v13
	v_and_b32_e32 v14, 7, v14
	v_cmp_eq_u16_e32 vcc, 0, v10
	v_cndmask_b32_e32 v9, v9, v14, vcc
	v_cndmask_b32_e32 v10, v12, v13, vcc
	v_lshlrev_b32_e32 v12, 8, v11
	v_mov_b32_e32 v13, 0x3b800000
	v_lshlrev_b32_e32 v9, 20, v9
	v_and_b32_e32 v12, 0x80000000, v12
	v_lshl_add_u32 v10, v10, 23, v13
	v_or3_b32 v10, v12, v10, v9
.LBB51_1912:
	s_or_b64 exec, exec, s[6:7]
	s_nop 0
	v_mfma_f32_16x16x4f32 a[0:3], v8, v10, a[0:3]
	s_movk_i32 s4, 0x7f
	v_cmp_gt_i16_sdwa s[6:7], v15, s4 src0_sel:BYTE_3 src1_sel:DWORD
	s_mov_b64 s[4:5], 0
                                        ; implicit-def: $sgpr10
	s_and_saveexec_b64 s[8:9], s[6:7]
	s_xor_b64 s[6:7], exec, s[8:9]
	s_cbranch_execnz .LBB51_3961
; %bb.1913:
	s_or_saveexec_b64 s[6:7], s[6:7]
	v_mov_b32_e32 v8, s10
	s_xor_b64 exec, exec, s[6:7]
	s_cbranch_execnz .LBB51_3964
.LBB51_1914:
	s_or_b64 exec, exec, s[6:7]
	s_and_saveexec_b64 s[6:7], s[4:5]
	s_cbranch_execz .LBB51_1916
.LBB51_1915:
	v_bfe_u32 v8, v15, 24, 3
	v_ffbh_u32_e32 v13, v8
	v_min_u32_e32 v13, 32, v13
	v_lshrrev_b32_e32 v10, 27, v15
	v_subrev_u32_e32 v14, 28, v13
	v_and_b32_e32 v10, 15, v10
	v_lshlrev_b32_sdwa v14, v14, v15 dst_sel:DWORD dst_unused:UNUSED_PAD src0_sel:DWORD src1_sel:BYTE_3
	v_bfe_u32 v12, v15, 27, 4
	v_sub_u32_e32 v13, 29, v13
	v_and_b32_e32 v14, 7, v14
	v_cmp_eq_u16_e32 vcc, 0, v10
	v_cndmask_b32_e32 v8, v8, v14, vcc
	v_cndmask_b32_e32 v10, v12, v13, vcc
	v_mov_b32_e32 v12, 0x3b800000
	v_and_b32_e32 v9, 0x80000000, v15
	v_lshlrev_b32_e32 v8, 20, v8
	v_lshl_add_u32 v10, v10, 23, v12
	v_or3_b32 v8, v9, v10, v8
.LBB51_1916:
	s_or_b64 exec, exec, s[6:7]
	s_movk_i32 s4, 0x7f
	v_cmp_gt_i16_sdwa s[6:7], v11, s4 src0_sel:BYTE_3 src1_sel:DWORD
	s_mov_b64 s[4:5], 0
                                        ; implicit-def: $sgpr10
	s_and_saveexec_b64 s[8:9], s[6:7]
	s_xor_b64 s[6:7], exec, s[8:9]
	s_cbranch_execnz .LBB51_3965
; %bb.1917:
	s_or_saveexec_b64 s[6:7], s[6:7]
	v_mov_b32_e32 v9, s10
	s_xor_b64 exec, exec, s[6:7]
	s_cbranch_execnz .LBB51_3968
.LBB51_1918:
	s_or_b64 exec, exec, s[6:7]
	s_and_saveexec_b64 s[6:7], s[4:5]
	s_cbranch_execz .LBB51_1920
.LBB51_1919:
	v_bfe_u32 v9, v11, 24, 3
	v_ffbh_u32_e32 v14, v9
	v_min_u32_e32 v14, 32, v14
	v_lshrrev_b32_e32 v12, 27, v11
	v_subrev_u32_e32 v15, 28, v14
	v_and_b32_e32 v10, 0x80000000, v11
	v_and_b32_e32 v12, 15, v12
	v_bfe_u32 v13, v11, 27, 4
	v_lshlrev_b32_sdwa v11, v15, v11 dst_sel:DWORD dst_unused:UNUSED_PAD src0_sel:DWORD src1_sel:BYTE_3
	v_sub_u32_e32 v14, 29, v14
	v_and_b32_e32 v11, 7, v11
	v_cmp_eq_u16_e32 vcc, 0, v12
	v_cndmask_b32_e32 v9, v9, v11, vcc
	v_cndmask_b32_e32 v11, v13, v14, vcc
	v_mov_b32_e32 v12, 0x3b800000
	v_lshlrev_b32_e32 v9, 20, v9
	v_lshl_add_u32 v11, v11, 23, v12
	v_or3_b32 v9, v10, v11, v9
.LBB51_1920:
	s_or_b64 exec, exec, s[6:7]
	s_nop 0
	v_mfma_f32_16x16x4f32 a[0:3], v8, v9, a[0:3]
	s_movk_i32 s4, 0x7f
	v_cmp_gt_i16_sdwa s[6:7], v4, s4 src0_sel:BYTE_0 src1_sel:DWORD
	s_mov_b64 s[4:5], 0
                                        ; implicit-def: $sgpr10
	s_and_saveexec_b64 s[8:9], s[6:7]
	s_xor_b64 s[6:7], exec, s[8:9]
	s_cbranch_execnz .LBB51_3969
; %bb.1921:
	s_or_saveexec_b64 s[6:7], s[6:7]
	v_mov_b32_e32 v8, s10
	s_xor_b64 exec, exec, s[6:7]
	s_cbranch_execnz .LBB51_3972
.LBB51_1922:
	s_or_b64 exec, exec, s[6:7]
	s_and_saveexec_b64 s[6:7], s[4:5]
	s_cbranch_execz .LBB51_1924
.LBB51_1923:
	v_and_b32_e32 v8, 7, v4
	v_ffbh_u32_e32 v10, v8
	v_min_u32_e32 v10, 32, v10
	v_lshrrev_b16_e32 v9, 3, v4
	v_subrev_u32_e32 v11, 28, v10
	v_and_b32_e32 v9, 15, v9
	v_lshlrev_b32_e32 v11, v11, v4
	v_sub_u32_e32 v10, 29, v10
	v_and_b32_e32 v11, 7, v11
	v_cmp_eq_u16_e32 vcc, 0, v9
	v_cndmask_b32_e32 v8, v8, v11, vcc
	v_cndmask_b32_e32 v9, v9, v10, vcc
	v_lshlrev_b32_e32 v10, 24, v4
	v_mov_b32_e32 v11, 0x3b800000
	v_lshlrev_b32_e32 v8, 20, v8
	v_and_b32_e32 v10, 0x80000000, v10
	v_lshl_add_u32 v9, v9, 23, v11
	v_or3_b32 v8, v10, v9, v8
.LBB51_1924:
	s_or_b64 exec, exec, s[6:7]
	s_movk_i32 s4, 0x7f
	v_cmp_gt_i16_sdwa s[6:7], v0, s4 src0_sel:BYTE_0 src1_sel:DWORD
	s_mov_b64 s[4:5], 0
                                        ; implicit-def: $sgpr10
	s_and_saveexec_b64 s[8:9], s[6:7]
	s_xor_b64 s[6:7], exec, s[8:9]
	s_cbranch_execnz .LBB51_3973
; %bb.1925:
	s_or_saveexec_b64 s[6:7], s[6:7]
	v_mov_b32_e32 v9, s10
	s_xor_b64 exec, exec, s[6:7]
	s_cbranch_execnz .LBB51_3976
.LBB51_1926:
	s_or_b64 exec, exec, s[6:7]
	s_and_saveexec_b64 s[6:7], s[4:5]
	s_cbranch_execz .LBB51_1928
.LBB51_1927:
	v_and_b32_e32 v9, 7, v0
	v_ffbh_u32_e32 v11, v9
	v_min_u32_e32 v11, 32, v11
	v_lshrrev_b16_e32 v10, 3, v0
	v_subrev_u32_e32 v12, 28, v11
	v_and_b32_e32 v10, 15, v10
	v_lshlrev_b32_e32 v12, v12, v0
	v_sub_u32_e32 v11, 29, v11
	v_and_b32_e32 v12, 7, v12
	v_cmp_eq_u16_e32 vcc, 0, v10
	v_cndmask_b32_e32 v9, v9, v12, vcc
	v_cndmask_b32_e32 v10, v10, v11, vcc
	v_lshlrev_b32_e32 v11, 24, v0
	v_mov_b32_e32 v12, 0x3b800000
	v_lshlrev_b32_e32 v9, 20, v9
	v_and_b32_e32 v11, 0x80000000, v11
	v_lshl_add_u32 v10, v10, 23, v12
	v_or3_b32 v9, v11, v10, v9
.LBB51_1928:
	s_or_b64 exec, exec, s[6:7]
	s_nop 0
	v_mfma_f32_16x16x4f32 a[0:3], v8, v9, a[0:3]
	v_lshrrev_b32_e32 v9, 8, v4
	s_movk_i32 s4, 0x7f
	v_cmp_gt_i16_sdwa s[6:7], v9, s4 src0_sel:BYTE_0 src1_sel:DWORD
	s_mov_b64 s[4:5], 0
                                        ; implicit-def: $sgpr10
	s_and_saveexec_b64 s[8:9], s[6:7]
	s_xor_b64 s[6:7], exec, s[8:9]
	s_cbranch_execnz .LBB51_3977
; %bb.1929:
	s_or_saveexec_b64 s[6:7], s[6:7]
	v_mov_b32_e32 v8, s10
	s_xor_b64 exec, exec, s[6:7]
	s_cbranch_execnz .LBB51_3980
.LBB51_1930:
	s_or_b64 exec, exec, s[6:7]
	s_and_saveexec_b64 s[6:7], s[4:5]
	s_cbranch_execz .LBB51_1932
.LBB51_1931:
	v_bfe_u32 v8, v4, 8, 3
	v_ffbh_u32_e32 v11, v8
	v_min_u32_e32 v11, 32, v11
	v_lshrrev_b16_e32 v10, 3, v9
	v_subrev_u32_e32 v12, 28, v11
	v_and_b32_e32 v10, 15, v10
	v_lshlrev_b32_e32 v9, v12, v9
	v_sub_u32_e32 v11, 29, v11
	v_and_b32_e32 v9, 7, v9
	v_cmp_eq_u16_e32 vcc, 0, v10
	v_cndmask_b32_e32 v8, v8, v9, vcc
	v_cndmask_b32_e32 v9, v10, v11, vcc
	v_lshlrev_b32_e32 v10, 16, v4
	v_mov_b32_e32 v11, 0x3b800000
	v_lshlrev_b32_e32 v8, 20, v8
	v_and_b32_e32 v10, 0x80000000, v10
	v_lshl_add_u32 v9, v9, 23, v11
	v_or3_b32 v8, v10, v9, v8
.LBB51_1932:
	s_or_b64 exec, exec, s[6:7]
	v_lshrrev_b32_e32 v9, 8, v0
	s_movk_i32 s4, 0x7f
	v_cmp_gt_i16_sdwa s[6:7], v9, s4 src0_sel:BYTE_0 src1_sel:DWORD
	s_mov_b64 s[4:5], 0
                                        ; implicit-def: $sgpr10
	s_and_saveexec_b64 s[8:9], s[6:7]
	s_xor_b64 s[6:7], exec, s[8:9]
	s_cbranch_execnz .LBB51_3981
; %bb.1933:
	s_or_saveexec_b64 s[6:7], s[6:7]
	v_mov_b32_e32 v10, s10
	s_xor_b64 exec, exec, s[6:7]
	s_cbranch_execnz .LBB51_3984
.LBB51_1934:
	s_or_b64 exec, exec, s[6:7]
	s_and_saveexec_b64 s[6:7], s[4:5]
	s_cbranch_execz .LBB51_1936
.LBB51_1935:
	v_bfe_u32 v10, v0, 8, 3
	v_ffbh_u32_e32 v12, v10
	v_min_u32_e32 v12, 32, v12
	v_lshrrev_b16_e32 v11, 3, v9
	v_subrev_u32_e32 v13, 28, v12
	v_and_b32_e32 v11, 15, v11
	v_lshlrev_b32_e32 v9, v13, v9
	v_sub_u32_e32 v12, 29, v12
	v_and_b32_e32 v9, 7, v9
	v_cmp_eq_u16_e32 vcc, 0, v11
	v_cndmask_b32_e32 v9, v10, v9, vcc
	v_cndmask_b32_e32 v10, v11, v12, vcc
	v_lshlrev_b32_e32 v11, 16, v0
	v_mov_b32_e32 v12, 0x3b800000
	v_lshlrev_b32_e32 v9, 20, v9
	v_and_b32_e32 v11, 0x80000000, v11
	v_lshl_add_u32 v10, v10, 23, v12
	v_or3_b32 v10, v11, v10, v9
.LBB51_1936:
	s_or_b64 exec, exec, s[6:7]
	s_nop 0
	v_mfma_f32_16x16x4f32 a[0:3], v8, v10, a[0:3]
	s_movk_i32 s4, 0xff
	v_and_b32_sdwa v9, v4, s4 dst_sel:DWORD dst_unused:UNUSED_PAD src0_sel:WORD_1 src1_sel:DWORD
	s_movk_i32 s4, 0x7f
	v_cmp_lt_i16_e32 vcc, s4, v9
	s_mov_b64 s[4:5], 0
                                        ; implicit-def: $sgpr10
	s_and_saveexec_b64 s[6:7], vcc
	s_xor_b64 s[6:7], exec, s[6:7]
	s_cbranch_execnz .LBB51_3985
; %bb.1937:
	s_or_saveexec_b64 s[6:7], s[6:7]
	v_mov_b32_e32 v8, s10
	s_xor_b64 exec, exec, s[6:7]
	s_cbranch_execnz .LBB51_3988
.LBB51_1938:
	s_or_b64 exec, exec, s[6:7]
	s_and_saveexec_b64 s[6:7], s[4:5]
	s_cbranch_execz .LBB51_1940
.LBB51_1939:
	v_bfe_u32 v8, v4, 16, 3
	v_ffbh_u32_e32 v11, v8
	v_min_u32_e32 v11, 32, v11
	v_lshrrev_b32_e32 v9, 19, v4
	v_subrev_u32_e32 v12, 28, v11
	v_and_b32_e32 v9, 15, v9
	v_lshlrev_b32_sdwa v12, v12, v4 dst_sel:DWORD dst_unused:UNUSED_PAD src0_sel:DWORD src1_sel:WORD_1
	v_bfe_u32 v10, v4, 19, 4
	v_sub_u32_e32 v11, 29, v11
	v_and_b32_e32 v12, 7, v12
	v_cmp_eq_u16_e32 vcc, 0, v9
	v_cndmask_b32_e32 v8, v8, v12, vcc
	v_cndmask_b32_e32 v9, v10, v11, vcc
	v_lshlrev_b32_e32 v10, 8, v4
	v_mov_b32_e32 v11, 0x3b800000
	v_lshlrev_b32_e32 v8, 20, v8
	v_and_b32_e32 v10, 0x80000000, v10
	v_lshl_add_u32 v9, v9, 23, v11
	v_or3_b32 v8, v10, v9, v8
.LBB51_1940:
	s_or_b64 exec, exec, s[6:7]
	s_movk_i32 s4, 0xff
	v_and_b32_sdwa v9, v0, s4 dst_sel:DWORD dst_unused:UNUSED_PAD src0_sel:WORD_1 src1_sel:DWORD
	s_movk_i32 s4, 0x7f
	v_cmp_lt_i16_e32 vcc, s4, v9
	s_mov_b64 s[4:5], 0
                                        ; implicit-def: $sgpr10
	s_and_saveexec_b64 s[6:7], vcc
	s_xor_b64 s[6:7], exec, s[6:7]
	s_cbranch_execnz .LBB51_3989
; %bb.1941:
	s_or_saveexec_b64 s[6:7], s[6:7]
	v_mov_b32_e32 v10, s10
	s_xor_b64 exec, exec, s[6:7]
	s_cbranch_execnz .LBB51_3992
.LBB51_1942:
	s_or_b64 exec, exec, s[6:7]
	s_and_saveexec_b64 s[6:7], s[4:5]
	s_cbranch_execz .LBB51_1944
.LBB51_1943:
	v_bfe_u32 v9, v0, 16, 3
	v_ffbh_u32_e32 v12, v9
	v_min_u32_e32 v12, 32, v12
	v_lshrrev_b32_e32 v10, 19, v0
	v_subrev_u32_e32 v13, 28, v12
	v_and_b32_e32 v10, 15, v10
	v_lshlrev_b32_sdwa v13, v13, v0 dst_sel:DWORD dst_unused:UNUSED_PAD src0_sel:DWORD src1_sel:WORD_1
	v_bfe_u32 v11, v0, 19, 4
	v_sub_u32_e32 v12, 29, v12
	v_and_b32_e32 v13, 7, v13
	v_cmp_eq_u16_e32 vcc, 0, v10
	v_cndmask_b32_e32 v9, v9, v13, vcc
	v_cndmask_b32_e32 v10, v11, v12, vcc
	v_lshlrev_b32_e32 v11, 8, v0
	v_mov_b32_e32 v12, 0x3b800000
	v_lshlrev_b32_e32 v9, 20, v9
	v_and_b32_e32 v11, 0x80000000, v11
	v_lshl_add_u32 v10, v10, 23, v12
	v_or3_b32 v10, v11, v10, v9
.LBB51_1944:
	s_or_b64 exec, exec, s[6:7]
	s_nop 0
	v_mfma_f32_16x16x4f32 a[0:3], v8, v10, a[0:3]
	s_movk_i32 s4, 0x7f
	v_cmp_gt_i16_sdwa s[6:7], v4, s4 src0_sel:BYTE_3 src1_sel:DWORD
	s_mov_b64 s[4:5], 0
                                        ; implicit-def: $sgpr10
	s_and_saveexec_b64 s[8:9], s[6:7]
	s_xor_b64 s[6:7], exec, s[8:9]
	s_cbranch_execnz .LBB51_3993
; %bb.1945:
	s_or_saveexec_b64 s[6:7], s[6:7]
	v_mov_b32_e32 v8, s10
	s_xor_b64 exec, exec, s[6:7]
	s_cbranch_execnz .LBB51_3996
.LBB51_1946:
	s_or_b64 exec, exec, s[6:7]
	s_and_saveexec_b64 s[6:7], s[4:5]
	s_cbranch_execz .LBB51_1948
.LBB51_1947:
	v_bfe_u32 v8, v4, 24, 3
	v_ffbh_u32_e32 v12, v8
	v_min_u32_e32 v12, 32, v12
	v_lshrrev_b32_e32 v10, 27, v4
	v_subrev_u32_e32 v13, 28, v12
	v_and_b32_e32 v9, 0x80000000, v4
	v_and_b32_e32 v10, 15, v10
	v_bfe_u32 v11, v4, 27, 4
	v_lshlrev_b32_sdwa v4, v13, v4 dst_sel:DWORD dst_unused:UNUSED_PAD src0_sel:DWORD src1_sel:BYTE_3
	v_sub_u32_e32 v12, 29, v12
	v_and_b32_e32 v4, 7, v4
	v_cmp_eq_u16_e32 vcc, 0, v10
	v_cndmask_b32_e32 v4, v8, v4, vcc
	v_cndmask_b32_e32 v8, v11, v12, vcc
	v_mov_b32_e32 v10, 0x3b800000
	v_lshlrev_b32_e32 v4, 20, v4
	v_lshl_add_u32 v8, v8, 23, v10
	v_or3_b32 v8, v9, v8, v4
.LBB51_1948:
	s_or_b64 exec, exec, s[6:7]
	s_movk_i32 s4, 0x7f
	v_cmp_gt_i16_sdwa s[6:7], v0, s4 src0_sel:BYTE_3 src1_sel:DWORD
	s_mov_b64 s[4:5], 0
                                        ; implicit-def: $sgpr10
	s_and_saveexec_b64 s[8:9], s[6:7]
	s_xor_b64 s[6:7], exec, s[8:9]
	s_cbranch_execnz .LBB51_3997
; %bb.1949:
	s_or_saveexec_b64 s[6:7], s[6:7]
	v_mov_b32_e32 v4, s10
	s_xor_b64 exec, exec, s[6:7]
	s_cbranch_execnz .LBB51_4000
.LBB51_1950:
	s_or_b64 exec, exec, s[6:7]
	s_and_saveexec_b64 s[6:7], s[4:5]
	s_cbranch_execz .LBB51_1952
.LBB51_1951:
	v_bfe_u32 v4, v0, 24, 3
	v_ffbh_u32_e32 v12, v4
	v_min_u32_e32 v12, 32, v12
	v_lshrrev_b32_e32 v10, 27, v0
	v_subrev_u32_e32 v13, 28, v12
	v_and_b32_e32 v9, 0x80000000, v0
	v_and_b32_e32 v10, 15, v10
	v_bfe_u32 v11, v0, 27, 4
	v_lshlrev_b32_sdwa v0, v13, v0 dst_sel:DWORD dst_unused:UNUSED_PAD src0_sel:DWORD src1_sel:BYTE_3
	v_sub_u32_e32 v12, 29, v12
	v_and_b32_e32 v0, 7, v0
	v_cmp_eq_u16_e32 vcc, 0, v10
	v_cndmask_b32_e32 v0, v4, v0, vcc
	v_cndmask_b32_e32 v4, v11, v12, vcc
	v_mov_b32_e32 v10, 0x3b800000
	v_lshlrev_b32_e32 v0, 20, v0
	v_lshl_add_u32 v4, v4, 23, v10
	v_or3_b32 v4, v9, v4, v0
.LBB51_1952:
	s_or_b64 exec, exec, s[6:7]
	s_nop 0
	v_mfma_f32_16x16x4f32 a[0:3], v8, v4, a[0:3]
	s_movk_i32 s4, 0x7f
	v_cmp_gt_i16_sdwa s[6:7], v5, s4 src0_sel:BYTE_0 src1_sel:DWORD
	s_mov_b64 s[4:5], 0
                                        ; implicit-def: $sgpr10
	s_and_saveexec_b64 s[8:9], s[6:7]
	s_xor_b64 s[6:7], exec, s[8:9]
	s_cbranch_execnz .LBB51_4001
; %bb.1953:
	s_or_saveexec_b64 s[6:7], s[6:7]
	v_mov_b32_e32 v0, s10
	s_xor_b64 exec, exec, s[6:7]
	s_cbranch_execnz .LBB51_4004
.LBB51_1954:
	s_or_b64 exec, exec, s[6:7]
	s_and_saveexec_b64 s[6:7], s[4:5]
	s_cbranch_execz .LBB51_1956
.LBB51_1955:
	v_and_b32_e32 v0, 7, v5
	v_ffbh_u32_e32 v8, v0
	v_min_u32_e32 v8, 32, v8
	v_lshrrev_b16_e32 v4, 3, v5
	v_subrev_u32_e32 v9, 28, v8
	v_and_b32_e32 v4, 15, v4
	v_lshlrev_b32_e32 v9, v9, v5
	v_sub_u32_e32 v8, 29, v8
	v_and_b32_e32 v9, 7, v9
	v_cmp_eq_u16_e32 vcc, 0, v4
	v_cndmask_b32_e32 v0, v0, v9, vcc
	v_cndmask_b32_e32 v4, v4, v8, vcc
	v_lshlrev_b32_e32 v8, 24, v5
	v_mov_b32_e32 v9, 0x3b800000
	v_lshlrev_b32_e32 v0, 20, v0
	v_and_b32_e32 v8, 0x80000000, v8
	v_lshl_add_u32 v4, v4, 23, v9
	v_or3_b32 v0, v8, v4, v0
.LBB51_1956:
	s_or_b64 exec, exec, s[6:7]
	s_movk_i32 s4, 0x7f
	v_cmp_gt_i16_sdwa s[6:7], v1, s4 src0_sel:BYTE_0 src1_sel:DWORD
	s_mov_b64 s[4:5], 0
                                        ; implicit-def: $sgpr10
	s_and_saveexec_b64 s[8:9], s[6:7]
	s_xor_b64 s[6:7], exec, s[8:9]
	s_cbranch_execnz .LBB51_4005
; %bb.1957:
	s_or_saveexec_b64 s[6:7], s[6:7]
	v_mov_b32_e32 v4, s10
	s_xor_b64 exec, exec, s[6:7]
	s_cbranch_execnz .LBB51_4008
.LBB51_1958:
	s_or_b64 exec, exec, s[6:7]
	s_and_saveexec_b64 s[6:7], s[4:5]
	s_cbranch_execz .LBB51_1960
.LBB51_1959:
	v_and_b32_e32 v4, 7, v1
	v_ffbh_u32_e32 v9, v4
	v_min_u32_e32 v9, 32, v9
	v_lshrrev_b16_e32 v8, 3, v1
	v_subrev_u32_e32 v10, 28, v9
	v_and_b32_e32 v8, 15, v8
	v_lshlrev_b32_e32 v10, v10, v1
	v_sub_u32_e32 v9, 29, v9
	v_and_b32_e32 v10, 7, v10
	v_cmp_eq_u16_e32 vcc, 0, v8
	v_cndmask_b32_e32 v4, v4, v10, vcc
	v_cndmask_b32_e32 v8, v8, v9, vcc
	v_lshlrev_b32_e32 v9, 24, v1
	v_mov_b32_e32 v10, 0x3b800000
	v_lshlrev_b32_e32 v4, 20, v4
	v_and_b32_e32 v9, 0x80000000, v9
	v_lshl_add_u32 v8, v8, 23, v10
	v_or3_b32 v4, v9, v8, v4
.LBB51_1960:
	s_or_b64 exec, exec, s[6:7]
	s_nop 0
	v_mfma_f32_16x16x4f32 a[0:3], v0, v4, a[0:3]
	v_lshrrev_b32_e32 v4, 8, v5
	s_movk_i32 s4, 0x7f
	v_cmp_gt_i16_sdwa s[6:7], v4, s4 src0_sel:BYTE_0 src1_sel:DWORD
	s_mov_b64 s[4:5], 0
                                        ; implicit-def: $sgpr10
	s_and_saveexec_b64 s[8:9], s[6:7]
	s_xor_b64 s[6:7], exec, s[8:9]
	s_cbranch_execnz .LBB51_4009
; %bb.1961:
	s_or_saveexec_b64 s[6:7], s[6:7]
	v_mov_b32_e32 v0, s10
	s_xor_b64 exec, exec, s[6:7]
	s_cbranch_execnz .LBB51_4012
.LBB51_1962:
	s_or_b64 exec, exec, s[6:7]
	s_and_saveexec_b64 s[6:7], s[4:5]
	s_cbranch_execz .LBB51_1964
.LBB51_1963:
	v_bfe_u32 v0, v5, 8, 3
	v_ffbh_u32_e32 v9, v0
	v_min_u32_e32 v9, 32, v9
	v_lshrrev_b16_e32 v8, 3, v4
	v_subrev_u32_e32 v10, 28, v9
	v_and_b32_e32 v8, 15, v8
	v_lshlrev_b32_e32 v4, v10, v4
	v_sub_u32_e32 v9, 29, v9
	v_and_b32_e32 v4, 7, v4
	v_cmp_eq_u16_e32 vcc, 0, v8
	v_cndmask_b32_e32 v0, v0, v4, vcc
	v_cndmask_b32_e32 v4, v8, v9, vcc
	v_lshlrev_b32_e32 v8, 16, v5
	v_mov_b32_e32 v9, 0x3b800000
	v_lshlrev_b32_e32 v0, 20, v0
	v_and_b32_e32 v8, 0x80000000, v8
	v_lshl_add_u32 v4, v4, 23, v9
	v_or3_b32 v0, v8, v4, v0
.LBB51_1964:
	s_or_b64 exec, exec, s[6:7]
	v_lshrrev_b32_e32 v4, 8, v1
	s_movk_i32 s4, 0x7f
	v_cmp_gt_i16_sdwa s[6:7], v4, s4 src0_sel:BYTE_0 src1_sel:DWORD
	s_mov_b64 s[4:5], 0
                                        ; implicit-def: $sgpr10
	s_and_saveexec_b64 s[8:9], s[6:7]
	s_xor_b64 s[6:7], exec, s[8:9]
	s_cbranch_execnz .LBB51_4013
; %bb.1965:
	s_or_saveexec_b64 s[6:7], s[6:7]
	v_mov_b32_e32 v8, s10
	s_xor_b64 exec, exec, s[6:7]
	s_cbranch_execnz .LBB51_4016
.LBB51_1966:
	s_or_b64 exec, exec, s[6:7]
	s_and_saveexec_b64 s[6:7], s[4:5]
	s_cbranch_execz .LBB51_1968
.LBB51_1967:
	v_bfe_u32 v8, v1, 8, 3
	v_ffbh_u32_e32 v10, v8
	v_min_u32_e32 v10, 32, v10
	v_lshrrev_b16_e32 v9, 3, v4
	v_subrev_u32_e32 v11, 28, v10
	v_and_b32_e32 v9, 15, v9
	v_lshlrev_b32_e32 v4, v11, v4
	v_sub_u32_e32 v10, 29, v10
	v_and_b32_e32 v4, 7, v4
	v_cmp_eq_u16_e32 vcc, 0, v9
	v_cndmask_b32_e32 v4, v8, v4, vcc
	v_cndmask_b32_e32 v8, v9, v10, vcc
	v_lshlrev_b32_e32 v9, 16, v1
	v_mov_b32_e32 v10, 0x3b800000
	v_lshlrev_b32_e32 v4, 20, v4
	v_and_b32_e32 v9, 0x80000000, v9
	v_lshl_add_u32 v8, v8, 23, v10
	v_or3_b32 v8, v9, v8, v4
.LBB51_1968:
	s_or_b64 exec, exec, s[6:7]
	s_nop 0
	v_mfma_f32_16x16x4f32 a[0:3], v0, v8, a[0:3]
	s_movk_i32 s4, 0xff
	v_and_b32_sdwa v4, v5, s4 dst_sel:DWORD dst_unused:UNUSED_PAD src0_sel:WORD_1 src1_sel:DWORD
	s_movk_i32 s4, 0x7f
	v_cmp_lt_i16_e32 vcc, s4, v4
	s_mov_b64 s[4:5], 0
                                        ; implicit-def: $sgpr10
	s_and_saveexec_b64 s[6:7], vcc
	s_xor_b64 s[6:7], exec, s[6:7]
	s_cbranch_execnz .LBB51_4017
; %bb.1969:
	s_or_saveexec_b64 s[6:7], s[6:7]
	v_mov_b32_e32 v0, s10
	s_xor_b64 exec, exec, s[6:7]
	s_cbranch_execnz .LBB51_4020
.LBB51_1970:
	s_or_b64 exec, exec, s[6:7]
	s_and_saveexec_b64 s[6:7], s[4:5]
	s_cbranch_execz .LBB51_1972
.LBB51_1971:
	v_bfe_u32 v0, v5, 16, 3
	v_ffbh_u32_e32 v9, v0
	v_min_u32_e32 v9, 32, v9
	v_lshrrev_b32_e32 v4, 19, v5
	v_subrev_u32_e32 v10, 28, v9
	v_and_b32_e32 v4, 15, v4
	v_lshlrev_b32_sdwa v10, v10, v5 dst_sel:DWORD dst_unused:UNUSED_PAD src0_sel:DWORD src1_sel:WORD_1
	v_bfe_u32 v8, v5, 19, 4
	v_sub_u32_e32 v9, 29, v9
	v_and_b32_e32 v10, 7, v10
	v_cmp_eq_u16_e32 vcc, 0, v4
	v_cndmask_b32_e32 v0, v0, v10, vcc
	v_cndmask_b32_e32 v4, v8, v9, vcc
	v_lshlrev_b32_e32 v8, 8, v5
	v_mov_b32_e32 v9, 0x3b800000
	v_lshlrev_b32_e32 v0, 20, v0
	v_and_b32_e32 v8, 0x80000000, v8
	v_lshl_add_u32 v4, v4, 23, v9
	v_or3_b32 v0, v8, v4, v0
.LBB51_1972:
	s_or_b64 exec, exec, s[6:7]
	s_movk_i32 s4, 0xff
	v_and_b32_sdwa v4, v1, s4 dst_sel:DWORD dst_unused:UNUSED_PAD src0_sel:WORD_1 src1_sel:DWORD
	s_movk_i32 s4, 0x7f
	v_cmp_lt_i16_e32 vcc, s4, v4
	s_mov_b64 s[4:5], 0
                                        ; implicit-def: $sgpr10
	s_and_saveexec_b64 s[6:7], vcc
	s_xor_b64 s[6:7], exec, s[6:7]
	s_cbranch_execnz .LBB51_4021
; %bb.1973:
	s_or_saveexec_b64 s[6:7], s[6:7]
	v_mov_b32_e32 v8, s10
	s_xor_b64 exec, exec, s[6:7]
	s_cbranch_execnz .LBB51_4024
.LBB51_1974:
	s_or_b64 exec, exec, s[6:7]
	s_and_saveexec_b64 s[6:7], s[4:5]
	s_cbranch_execz .LBB51_1976
.LBB51_1975:
	v_bfe_u32 v4, v1, 16, 3
	v_ffbh_u32_e32 v10, v4
	v_min_u32_e32 v10, 32, v10
	v_lshrrev_b32_e32 v8, 19, v1
	v_subrev_u32_e32 v11, 28, v10
	v_and_b32_e32 v8, 15, v8
	v_lshlrev_b32_sdwa v11, v11, v1 dst_sel:DWORD dst_unused:UNUSED_PAD src0_sel:DWORD src1_sel:WORD_1
	v_bfe_u32 v9, v1, 19, 4
	v_sub_u32_e32 v10, 29, v10
	v_and_b32_e32 v11, 7, v11
	v_cmp_eq_u16_e32 vcc, 0, v8
	v_cndmask_b32_e32 v4, v4, v11, vcc
	v_cndmask_b32_e32 v8, v9, v10, vcc
	v_lshlrev_b32_e32 v9, 8, v1
	v_mov_b32_e32 v10, 0x3b800000
	v_lshlrev_b32_e32 v4, 20, v4
	v_and_b32_e32 v9, 0x80000000, v9
	v_lshl_add_u32 v8, v8, 23, v10
	v_or3_b32 v8, v9, v8, v4
.LBB51_1976:
	s_or_b64 exec, exec, s[6:7]
	s_nop 0
	v_mfma_f32_16x16x4f32 a[0:3], v0, v8, a[0:3]
	s_movk_i32 s4, 0x7f
	v_cmp_gt_i16_sdwa s[6:7], v5, s4 src0_sel:BYTE_3 src1_sel:DWORD
	s_mov_b64 s[4:5], 0
                                        ; implicit-def: $sgpr10
	s_and_saveexec_b64 s[8:9], s[6:7]
	s_xor_b64 s[6:7], exec, s[8:9]
	s_cbranch_execnz .LBB51_4025
; %bb.1977:
	s_or_saveexec_b64 s[6:7], s[6:7]
	v_mov_b32_e32 v0, s10
	s_xor_b64 exec, exec, s[6:7]
	s_cbranch_execnz .LBB51_4028
.LBB51_1978:
	s_or_b64 exec, exec, s[6:7]
	s_and_saveexec_b64 s[6:7], s[4:5]
	s_cbranch_execz .LBB51_1980
.LBB51_1979:
	v_bfe_u32 v0, v5, 24, 3
	v_ffbh_u32_e32 v10, v0
	v_min_u32_e32 v10, 32, v10
	v_lshrrev_b32_e32 v8, 27, v5
	v_subrev_u32_e32 v11, 28, v10
	v_and_b32_e32 v4, 0x80000000, v5
	v_and_b32_e32 v8, 15, v8
	v_bfe_u32 v9, v5, 27, 4
	v_lshlrev_b32_sdwa v5, v11, v5 dst_sel:DWORD dst_unused:UNUSED_PAD src0_sel:DWORD src1_sel:BYTE_3
	v_sub_u32_e32 v10, 29, v10
	v_and_b32_e32 v5, 7, v5
	v_cmp_eq_u16_e32 vcc, 0, v8
	v_cndmask_b32_e32 v0, v0, v5, vcc
	v_cndmask_b32_e32 v5, v9, v10, vcc
	v_mov_b32_e32 v8, 0x3b800000
	v_lshlrev_b32_e32 v0, 20, v0
	v_lshl_add_u32 v5, v5, 23, v8
	v_or3_b32 v0, v4, v5, v0
.LBB51_1980:
	s_or_b64 exec, exec, s[6:7]
	s_movk_i32 s4, 0x7f
	v_cmp_gt_i16_sdwa s[6:7], v1, s4 src0_sel:BYTE_3 src1_sel:DWORD
	s_mov_b64 s[4:5], 0
                                        ; implicit-def: $sgpr10
	s_and_saveexec_b64 s[8:9], s[6:7]
	s_xor_b64 s[6:7], exec, s[8:9]
	s_cbranch_execnz .LBB51_4029
; %bb.1981:
	s_or_saveexec_b64 s[6:7], s[6:7]
	v_mov_b32_e32 v4, s10
	s_xor_b64 exec, exec, s[6:7]
	s_cbranch_execnz .LBB51_4032
.LBB51_1982:
	s_or_b64 exec, exec, s[6:7]
	s_and_saveexec_b64 s[6:7], s[4:5]
	s_cbranch_execz .LBB51_1984
.LBB51_1983:
	v_bfe_u32 v4, v1, 24, 3
	v_ffbh_u32_e32 v10, v4
	v_min_u32_e32 v10, 32, v10
	v_lshrrev_b32_e32 v8, 27, v1
	v_subrev_u32_e32 v11, 28, v10
	v_and_b32_e32 v5, 0x80000000, v1
	v_and_b32_e32 v8, 15, v8
	v_bfe_u32 v9, v1, 27, 4
	v_lshlrev_b32_sdwa v1, v11, v1 dst_sel:DWORD dst_unused:UNUSED_PAD src0_sel:DWORD src1_sel:BYTE_3
	v_sub_u32_e32 v10, 29, v10
	v_and_b32_e32 v1, 7, v1
	v_cmp_eq_u16_e32 vcc, 0, v8
	v_cndmask_b32_e32 v1, v4, v1, vcc
	v_cndmask_b32_e32 v4, v9, v10, vcc
	v_mov_b32_e32 v8, 0x3b800000
	v_lshlrev_b32_e32 v1, 20, v1
	v_lshl_add_u32 v4, v4, 23, v8
	v_or3_b32 v4, v5, v4, v1
.LBB51_1984:
	s_or_b64 exec, exec, s[6:7]
	s_nop 0
	v_mfma_f32_16x16x4f32 a[0:3], v0, v4, a[0:3]
	s_movk_i32 s4, 0x7f
	v_cmp_gt_i16_sdwa s[6:7], v6, s4 src0_sel:BYTE_0 src1_sel:DWORD
	s_mov_b64 s[4:5], 0
                                        ; implicit-def: $sgpr10
	s_and_saveexec_b64 s[8:9], s[6:7]
	s_xor_b64 s[6:7], exec, s[8:9]
	s_cbranch_execnz .LBB51_4033
; %bb.1985:
	s_or_saveexec_b64 s[6:7], s[6:7]
	v_mov_b32_e32 v0, s10
	s_xor_b64 exec, exec, s[6:7]
	s_cbranch_execnz .LBB51_4036
.LBB51_1986:
	s_or_b64 exec, exec, s[6:7]
	s_and_saveexec_b64 s[6:7], s[4:5]
	s_cbranch_execz .LBB51_1988
.LBB51_1987:
	v_and_b32_e32 v0, 7, v6
	v_ffbh_u32_e32 v4, v0
	v_min_u32_e32 v4, 32, v4
	v_lshrrev_b16_e32 v1, 3, v6
	v_subrev_u32_e32 v5, 28, v4
	v_and_b32_e32 v1, 15, v1
	v_lshlrev_b32_e32 v5, v5, v6
	v_sub_u32_e32 v4, 29, v4
	v_and_b32_e32 v5, 7, v5
	v_cmp_eq_u16_e32 vcc, 0, v1
	v_cndmask_b32_e32 v0, v0, v5, vcc
	v_cndmask_b32_e32 v1, v1, v4, vcc
	v_lshlrev_b32_e32 v4, 24, v6
	v_mov_b32_e32 v5, 0x3b800000
	v_lshlrev_b32_e32 v0, 20, v0
	v_and_b32_e32 v4, 0x80000000, v4
	v_lshl_add_u32 v1, v1, 23, v5
	v_or3_b32 v0, v4, v1, v0
.LBB51_1988:
	s_or_b64 exec, exec, s[6:7]
	s_movk_i32 s4, 0x7f
	v_cmp_gt_i16_sdwa s[6:7], v2, s4 src0_sel:BYTE_0 src1_sel:DWORD
	s_mov_b64 s[4:5], 0
                                        ; implicit-def: $sgpr10
	s_and_saveexec_b64 s[8:9], s[6:7]
	s_xor_b64 s[6:7], exec, s[8:9]
	s_cbranch_execnz .LBB51_4037
; %bb.1989:
	s_or_saveexec_b64 s[6:7], s[6:7]
	v_mov_b32_e32 v1, s10
	s_xor_b64 exec, exec, s[6:7]
	s_cbranch_execnz .LBB51_4040
.LBB51_1990:
	s_or_b64 exec, exec, s[6:7]
	s_and_saveexec_b64 s[6:7], s[4:5]
	s_cbranch_execz .LBB51_1992
.LBB51_1991:
	v_and_b32_e32 v1, 7, v2
	v_ffbh_u32_e32 v5, v1
	v_min_u32_e32 v5, 32, v5
	v_lshrrev_b16_e32 v4, 3, v2
	v_subrev_u32_e32 v8, 28, v5
	v_and_b32_e32 v4, 15, v4
	v_lshlrev_b32_e32 v8, v8, v2
	v_sub_u32_e32 v5, 29, v5
	v_and_b32_e32 v8, 7, v8
	v_cmp_eq_u16_e32 vcc, 0, v4
	v_cndmask_b32_e32 v1, v1, v8, vcc
	v_cndmask_b32_e32 v4, v4, v5, vcc
	v_lshlrev_b32_e32 v5, 24, v2
	v_mov_b32_e32 v8, 0x3b800000
	v_lshlrev_b32_e32 v1, 20, v1
	v_and_b32_e32 v5, 0x80000000, v5
	v_lshl_add_u32 v4, v4, 23, v8
	v_or3_b32 v1, v5, v4, v1
.LBB51_1992:
	s_or_b64 exec, exec, s[6:7]
	s_nop 0
	v_mfma_f32_16x16x4f32 a[0:3], v0, v1, a[0:3]
	v_lshrrev_b32_e32 v1, 8, v6
	s_movk_i32 s4, 0x7f
	v_cmp_gt_i16_sdwa s[6:7], v1, s4 src0_sel:BYTE_0 src1_sel:DWORD
	s_mov_b64 s[4:5], 0
                                        ; implicit-def: $sgpr10
	s_and_saveexec_b64 s[8:9], s[6:7]
	s_xor_b64 s[6:7], exec, s[8:9]
	s_cbranch_execnz .LBB51_4041
; %bb.1993:
	s_or_saveexec_b64 s[6:7], s[6:7]
	v_mov_b32_e32 v0, s10
	s_xor_b64 exec, exec, s[6:7]
	s_cbranch_execnz .LBB51_4044
.LBB51_1994:
	s_or_b64 exec, exec, s[6:7]
	s_and_saveexec_b64 s[6:7], s[4:5]
	s_cbranch_execz .LBB51_1996
.LBB51_1995:
	v_bfe_u32 v0, v6, 8, 3
	v_ffbh_u32_e32 v5, v0
	v_min_u32_e32 v5, 32, v5
	v_lshrrev_b16_e32 v4, 3, v1
	v_subrev_u32_e32 v8, 28, v5
	v_and_b32_e32 v4, 15, v4
	v_lshlrev_b32_e32 v1, v8, v1
	v_sub_u32_e32 v5, 29, v5
	v_and_b32_e32 v1, 7, v1
	v_cmp_eq_u16_e32 vcc, 0, v4
	v_cndmask_b32_e32 v0, v0, v1, vcc
	v_cndmask_b32_e32 v1, v4, v5, vcc
	v_lshlrev_b32_e32 v4, 16, v6
	v_mov_b32_e32 v5, 0x3b800000
	v_lshlrev_b32_e32 v0, 20, v0
	v_and_b32_e32 v4, 0x80000000, v4
	v_lshl_add_u32 v1, v1, 23, v5
	v_or3_b32 v0, v4, v1, v0
.LBB51_1996:
	s_or_b64 exec, exec, s[6:7]
	v_lshrrev_b32_e32 v1, 8, v2
	s_movk_i32 s4, 0x7f
	v_cmp_gt_i16_sdwa s[6:7], v1, s4 src0_sel:BYTE_0 src1_sel:DWORD
	s_mov_b64 s[4:5], 0
                                        ; implicit-def: $sgpr10
	s_and_saveexec_b64 s[8:9], s[6:7]
	s_xor_b64 s[6:7], exec, s[8:9]
	s_cbranch_execnz .LBB51_4045
; %bb.1997:
	s_or_saveexec_b64 s[6:7], s[6:7]
	v_mov_b32_e32 v4, s10
	s_xor_b64 exec, exec, s[6:7]
	s_cbranch_execnz .LBB51_4048
.LBB51_1998:
	s_or_b64 exec, exec, s[6:7]
	s_and_saveexec_b64 s[6:7], s[4:5]
	s_cbranch_execz .LBB51_2000
.LBB51_1999:
	v_bfe_u32 v4, v2, 8, 3
	v_ffbh_u32_e32 v8, v4
	v_min_u32_e32 v8, 32, v8
	v_lshrrev_b16_e32 v5, 3, v1
	v_subrev_u32_e32 v9, 28, v8
	v_and_b32_e32 v5, 15, v5
	v_lshlrev_b32_e32 v1, v9, v1
	v_sub_u32_e32 v8, 29, v8
	v_and_b32_e32 v1, 7, v1
	v_cmp_eq_u16_e32 vcc, 0, v5
	v_cndmask_b32_e32 v1, v4, v1, vcc
	v_cndmask_b32_e32 v4, v5, v8, vcc
	v_lshlrev_b32_e32 v5, 16, v2
	v_mov_b32_e32 v8, 0x3b800000
	v_lshlrev_b32_e32 v1, 20, v1
	v_and_b32_e32 v5, 0x80000000, v5
	v_lshl_add_u32 v4, v4, 23, v8
	v_or3_b32 v4, v5, v4, v1
.LBB51_2000:
	s_or_b64 exec, exec, s[6:7]
	s_nop 0
	v_mfma_f32_16x16x4f32 a[0:3], v0, v4, a[0:3]
	s_movk_i32 s4, 0xff
	v_and_b32_sdwa v1, v6, s4 dst_sel:DWORD dst_unused:UNUSED_PAD src0_sel:WORD_1 src1_sel:DWORD
	s_movk_i32 s4, 0x7f
	v_cmp_lt_i16_e32 vcc, s4, v1
	s_mov_b64 s[4:5], 0
                                        ; implicit-def: $sgpr10
	s_and_saveexec_b64 s[6:7], vcc
	s_xor_b64 s[6:7], exec, s[6:7]
	s_cbranch_execnz .LBB51_4049
; %bb.2001:
	s_or_saveexec_b64 s[6:7], s[6:7]
	v_mov_b32_e32 v0, s10
	s_xor_b64 exec, exec, s[6:7]
	s_cbranch_execnz .LBB51_4052
.LBB51_2002:
	s_or_b64 exec, exec, s[6:7]
	s_and_saveexec_b64 s[6:7], s[4:5]
	s_cbranch_execz .LBB51_2004
.LBB51_2003:
	v_bfe_u32 v0, v6, 16, 3
	v_ffbh_u32_e32 v5, v0
	v_min_u32_e32 v5, 32, v5
	v_lshrrev_b32_e32 v1, 19, v6
	v_subrev_u32_e32 v8, 28, v5
	v_and_b32_e32 v1, 15, v1
	v_lshlrev_b32_sdwa v8, v8, v6 dst_sel:DWORD dst_unused:UNUSED_PAD src0_sel:DWORD src1_sel:WORD_1
	v_bfe_u32 v4, v6, 19, 4
	v_sub_u32_e32 v5, 29, v5
	v_and_b32_e32 v8, 7, v8
	v_cmp_eq_u16_e32 vcc, 0, v1
	v_cndmask_b32_e32 v0, v0, v8, vcc
	v_cndmask_b32_e32 v1, v4, v5, vcc
	v_lshlrev_b32_e32 v4, 8, v6
	v_mov_b32_e32 v5, 0x3b800000
	v_lshlrev_b32_e32 v0, 20, v0
	v_and_b32_e32 v4, 0x80000000, v4
	v_lshl_add_u32 v1, v1, 23, v5
	v_or3_b32 v0, v4, v1, v0
.LBB51_2004:
	s_or_b64 exec, exec, s[6:7]
	s_movk_i32 s4, 0xff
	v_and_b32_sdwa v1, v2, s4 dst_sel:DWORD dst_unused:UNUSED_PAD src0_sel:WORD_1 src1_sel:DWORD
	s_movk_i32 s4, 0x7f
	v_cmp_lt_i16_e32 vcc, s4, v1
	s_mov_b64 s[4:5], 0
                                        ; implicit-def: $sgpr10
	s_and_saveexec_b64 s[6:7], vcc
	s_xor_b64 s[6:7], exec, s[6:7]
	s_cbranch_execnz .LBB51_4053
; %bb.2005:
	s_or_saveexec_b64 s[6:7], s[6:7]
	v_mov_b32_e32 v4, s10
	s_xor_b64 exec, exec, s[6:7]
	s_cbranch_execnz .LBB51_4056
.LBB51_2006:
	s_or_b64 exec, exec, s[6:7]
	s_and_saveexec_b64 s[6:7], s[4:5]
	s_cbranch_execz .LBB51_2008
.LBB51_2007:
	v_bfe_u32 v1, v2, 16, 3
	v_ffbh_u32_e32 v8, v1
	v_min_u32_e32 v8, 32, v8
	v_lshrrev_b32_e32 v4, 19, v2
	v_subrev_u32_e32 v9, 28, v8
	v_and_b32_e32 v4, 15, v4
	v_lshlrev_b32_sdwa v9, v9, v2 dst_sel:DWORD dst_unused:UNUSED_PAD src0_sel:DWORD src1_sel:WORD_1
	v_bfe_u32 v5, v2, 19, 4
	v_sub_u32_e32 v8, 29, v8
	v_and_b32_e32 v9, 7, v9
	v_cmp_eq_u16_e32 vcc, 0, v4
	v_cndmask_b32_e32 v1, v1, v9, vcc
	v_cndmask_b32_e32 v4, v5, v8, vcc
	v_lshlrev_b32_e32 v5, 8, v2
	v_mov_b32_e32 v8, 0x3b800000
	v_lshlrev_b32_e32 v1, 20, v1
	v_and_b32_e32 v5, 0x80000000, v5
	v_lshl_add_u32 v4, v4, 23, v8
	v_or3_b32 v4, v5, v4, v1
.LBB51_2008:
	s_or_b64 exec, exec, s[6:7]
	s_nop 0
	v_mfma_f32_16x16x4f32 a[0:3], v0, v4, a[0:3]
	s_movk_i32 s4, 0x7f
	v_cmp_gt_i16_sdwa s[6:7], v6, s4 src0_sel:BYTE_3 src1_sel:DWORD
	s_mov_b64 s[4:5], 0
                                        ; implicit-def: $sgpr10
	s_and_saveexec_b64 s[8:9], s[6:7]
	s_xor_b64 s[6:7], exec, s[8:9]
	s_cbranch_execnz .LBB51_4057
; %bb.2009:
	s_or_saveexec_b64 s[6:7], s[6:7]
	v_mov_b32_e32 v0, s10
	s_xor_b64 exec, exec, s[6:7]
	s_cbranch_execnz .LBB51_4060
.LBB51_2010:
	s_or_b64 exec, exec, s[6:7]
	s_and_saveexec_b64 s[6:7], s[4:5]
	s_cbranch_execz .LBB51_2012
.LBB51_2011:
	v_bfe_u32 v0, v6, 24, 3
	v_ffbh_u32_e32 v8, v0
	v_min_u32_e32 v8, 32, v8
	v_lshrrev_b32_e32 v4, 27, v6
	v_subrev_u32_e32 v9, 28, v8
	v_and_b32_e32 v1, 0x80000000, v6
	v_and_b32_e32 v4, 15, v4
	v_bfe_u32 v5, v6, 27, 4
	v_lshlrev_b32_sdwa v6, v9, v6 dst_sel:DWORD dst_unused:UNUSED_PAD src0_sel:DWORD src1_sel:BYTE_3
	v_sub_u32_e32 v8, 29, v8
	v_and_b32_e32 v6, 7, v6
	v_cmp_eq_u16_e32 vcc, 0, v4
	v_cndmask_b32_e32 v0, v0, v6, vcc
	v_cndmask_b32_e32 v4, v5, v8, vcc
	v_mov_b32_e32 v5, 0x3b800000
	v_lshlrev_b32_e32 v0, 20, v0
	v_lshl_add_u32 v4, v4, 23, v5
	v_or3_b32 v0, v1, v4, v0
.LBB51_2012:
	s_or_b64 exec, exec, s[6:7]
	s_movk_i32 s4, 0x7f
	v_cmp_gt_i16_sdwa s[6:7], v2, s4 src0_sel:BYTE_3 src1_sel:DWORD
	s_mov_b64 s[4:5], 0
                                        ; implicit-def: $sgpr10
	s_and_saveexec_b64 s[8:9], s[6:7]
	s_xor_b64 s[6:7], exec, s[8:9]
	s_cbranch_execnz .LBB51_4061
; %bb.2013:
	s_or_saveexec_b64 s[6:7], s[6:7]
	v_mov_b32_e32 v1, s10
	s_xor_b64 exec, exec, s[6:7]
	s_cbranch_execnz .LBB51_4064
.LBB51_2014:
	s_or_b64 exec, exec, s[6:7]
	s_and_saveexec_b64 s[6:7], s[4:5]
	s_cbranch_execz .LBB51_2016
.LBB51_2015:
	v_bfe_u32 v1, v2, 24, 3
	v_ffbh_u32_e32 v8, v1
	v_min_u32_e32 v8, 32, v8
	v_lshrrev_b32_e32 v5, 27, v2
	v_subrev_u32_e32 v9, 28, v8
	v_and_b32_e32 v4, 0x80000000, v2
	v_and_b32_e32 v5, 15, v5
	v_bfe_u32 v6, v2, 27, 4
	v_lshlrev_b32_sdwa v2, v9, v2 dst_sel:DWORD dst_unused:UNUSED_PAD src0_sel:DWORD src1_sel:BYTE_3
	v_sub_u32_e32 v8, 29, v8
	v_and_b32_e32 v2, 7, v2
	v_cmp_eq_u16_e32 vcc, 0, v5
	v_cndmask_b32_e32 v1, v1, v2, vcc
	v_cndmask_b32_e32 v2, v6, v8, vcc
	v_mov_b32_e32 v5, 0x3b800000
	v_lshlrev_b32_e32 v1, 20, v1
	v_lshl_add_u32 v2, v2, 23, v5
	v_or3_b32 v1, v4, v2, v1
.LBB51_2016:
	s_or_b64 exec, exec, s[6:7]
	s_nop 0
	v_mfma_f32_16x16x4f32 a[0:3], v0, v1, a[0:3]
	s_movk_i32 s4, 0x7f
	v_cmp_gt_i16_sdwa s[6:7], v7, s4 src0_sel:BYTE_0 src1_sel:DWORD
	s_mov_b64 s[4:5], 0
                                        ; implicit-def: $sgpr10
	s_and_saveexec_b64 s[8:9], s[6:7]
	s_xor_b64 s[6:7], exec, s[8:9]
	s_cbranch_execnz .LBB51_4065
; %bb.2017:
	s_or_saveexec_b64 s[6:7], s[6:7]
	v_mov_b32_e32 v0, s10
	s_xor_b64 exec, exec, s[6:7]
	s_cbranch_execnz .LBB51_4068
.LBB51_2018:
	s_or_b64 exec, exec, s[6:7]
	s_and_saveexec_b64 s[6:7], s[4:5]
	s_cbranch_execz .LBB51_2020
.LBB51_2019:
	v_mov_b32_e32 v0, 8
	v_and_b32_e32 v1, 7, v7
	v_lshrrev_b32_sdwa v0, v0, v7 dst_sel:BYTE_1 dst_unused:UNUSED_PAD src0_sel:DWORD src1_sel:DWORD
	v_ffbh_u32_e32 v2, v1
	v_or_b32_sdwa v0, v7, v0 dst_sel:DWORD dst_unused:UNUSED_PAD src0_sel:BYTE_0 src1_sel:DWORD
	v_min_u32_e32 v2, 32, v2
	v_lshrrev_b16_e32 v0, 3, v0
	v_subrev_u32_e32 v4, 28, v2
	v_and_b32_e32 v0, 15, v0
	v_lshlrev_b32_e32 v4, v4, v7
	v_sub_u32_e32 v2, 29, v2
	v_and_b32_e32 v4, 7, v4
	v_cmp_eq_u16_e32 vcc, 0, v0
	v_cndmask_b32_e32 v1, v1, v4, vcc
	v_cndmask_b32_e32 v0, v0, v2, vcc
	v_lshlrev_b32_e32 v2, 24, v7
	v_mov_b32_e32 v4, 0x3b800000
	v_lshlrev_b32_e32 v1, 20, v1
	v_and_b32_e32 v2, 0x80000000, v2
	v_lshl_add_u32 v0, v0, 23, v4
	v_or3_b32 v0, v2, v0, v1
.LBB51_2020:
	s_or_b64 exec, exec, s[6:7]
	s_movk_i32 s4, 0x7f
	v_cmp_gt_i16_sdwa s[6:7], v3, s4 src0_sel:BYTE_0 src1_sel:DWORD
	s_mov_b64 s[4:5], 0
                                        ; implicit-def: $sgpr10
	s_and_saveexec_b64 s[8:9], s[6:7]
	s_xor_b64 s[6:7], exec, s[8:9]
	s_cbranch_execnz .LBB51_4069
; %bb.2021:
	s_or_saveexec_b64 s[6:7], s[6:7]
	v_mov_b32_e32 v1, s10
	s_xor_b64 exec, exec, s[6:7]
	s_cbranch_execnz .LBB51_4072
.LBB51_2022:
	s_or_b64 exec, exec, s[6:7]
	s_and_saveexec_b64 s[6:7], s[4:5]
	s_cbranch_execz .LBB51_2024
.LBB51_2023:
	v_mov_b32_e32 v1, 8
	v_and_b32_e32 v2, 7, v3
	v_lshrrev_b32_sdwa v1, v1, v3 dst_sel:BYTE_1 dst_unused:UNUSED_PAD src0_sel:DWORD src1_sel:DWORD
	v_ffbh_u32_e32 v4, v2
	v_or_b32_sdwa v1, v3, v1 dst_sel:DWORD dst_unused:UNUSED_PAD src0_sel:BYTE_0 src1_sel:DWORD
	v_min_u32_e32 v4, 32, v4
	v_lshrrev_b16_e32 v1, 3, v1
	v_subrev_u32_e32 v5, 28, v4
	v_and_b32_e32 v1, 15, v1
	v_lshlrev_b32_e32 v5, v5, v3
	v_sub_u32_e32 v4, 29, v4
	v_and_b32_e32 v5, 7, v5
	v_cmp_eq_u16_e32 vcc, 0, v1
	v_cndmask_b32_e32 v2, v2, v5, vcc
	v_cndmask_b32_e32 v1, v1, v4, vcc
	v_lshlrev_b32_e32 v4, 24, v3
	v_mov_b32_e32 v5, 0x3b800000
	v_lshlrev_b32_e32 v2, 20, v2
	v_and_b32_e32 v4, 0x80000000, v4
	v_lshl_add_u32 v1, v1, 23, v5
	v_or3_b32 v1, v4, v1, v2
.LBB51_2024:
	s_or_b64 exec, exec, s[6:7]
	s_nop 0
	v_mfma_f32_16x16x4f32 a[0:3], v0, v1, a[0:3]
	v_lshrrev_b32_e32 v1, 8, v7
	s_movk_i32 s4, 0x7f
	v_cmp_gt_i16_sdwa s[6:7], v1, s4 src0_sel:BYTE_0 src1_sel:DWORD
	s_mov_b64 s[4:5], 0
                                        ; implicit-def: $sgpr10
	s_and_saveexec_b64 s[8:9], s[6:7]
	s_xor_b64 s[6:7], exec, s[8:9]
	s_cbranch_execnz .LBB51_4073
; %bb.2025:
	s_or_saveexec_b64 s[6:7], s[6:7]
	v_mov_b32_e32 v0, s10
	s_xor_b64 exec, exec, s[6:7]
	s_cbranch_execnz .LBB51_4076
.LBB51_2026:
	s_or_b64 exec, exec, s[6:7]
	s_and_saveexec_b64 s[6:7], s[4:5]
	s_cbranch_execz .LBB51_2028
.LBB51_2027:
	v_bfe_u32 v0, v7, 8, 3
	v_ffbh_u32_e32 v4, v0
	v_min_u32_e32 v4, 32, v4
	v_lshrrev_b16_e32 v2, 3, v1
	v_subrev_u32_e32 v5, 28, v4
	v_and_b32_e32 v2, 15, v2
	v_lshlrev_b32_e32 v1, v5, v1
	v_sub_u32_e32 v4, 29, v4
	v_and_b32_e32 v1, 7, v1
	v_cmp_eq_u16_e32 vcc, 0, v2
	v_cndmask_b32_e32 v0, v0, v1, vcc
	v_cndmask_b32_e32 v1, v2, v4, vcc
	v_lshlrev_b32_e32 v2, 16, v7
	v_mov_b32_e32 v4, 0x3b800000
	v_lshlrev_b32_e32 v0, 20, v0
	v_and_b32_e32 v2, 0x80000000, v2
	v_lshl_add_u32 v1, v1, 23, v4
	v_or3_b32 v0, v2, v1, v0
.LBB51_2028:
	s_or_b64 exec, exec, s[6:7]
	v_lshrrev_b32_e32 v1, 8, v3
	s_movk_i32 s4, 0x7f
	v_cmp_gt_i16_sdwa s[6:7], v1, s4 src0_sel:BYTE_0 src1_sel:DWORD
	s_mov_b64 s[4:5], 0
                                        ; implicit-def: $sgpr10
	s_and_saveexec_b64 s[8:9], s[6:7]
	s_xor_b64 s[6:7], exec, s[8:9]
	s_cbranch_execnz .LBB51_4077
; %bb.2029:
	s_or_saveexec_b64 s[6:7], s[6:7]
	v_mov_b32_e32 v2, s10
	s_xor_b64 exec, exec, s[6:7]
	s_cbranch_execnz .LBB51_4080
.LBB51_2030:
	s_or_b64 exec, exec, s[6:7]
	s_and_saveexec_b64 s[6:7], s[4:5]
	s_cbranch_execz .LBB51_2032
.LBB51_2031:
	v_bfe_u32 v2, v3, 8, 3
	v_ffbh_u32_e32 v5, v2
	v_min_u32_e32 v5, 32, v5
	v_lshrrev_b16_e32 v4, 3, v1
	v_subrev_u32_e32 v6, 28, v5
	v_and_b32_e32 v4, 15, v4
	v_lshlrev_b32_e32 v1, v6, v1
	v_sub_u32_e32 v5, 29, v5
	v_and_b32_e32 v1, 7, v1
	v_cmp_eq_u16_e32 vcc, 0, v4
	v_cndmask_b32_e32 v1, v2, v1, vcc
	v_cndmask_b32_e32 v2, v4, v5, vcc
	v_lshlrev_b32_e32 v4, 16, v3
	v_mov_b32_e32 v5, 0x3b800000
	v_lshlrev_b32_e32 v1, 20, v1
	v_and_b32_e32 v4, 0x80000000, v4
	v_lshl_add_u32 v2, v2, 23, v5
	v_or3_b32 v2, v4, v2, v1
.LBB51_2032:
	s_or_b64 exec, exec, s[6:7]
	s_nop 0
	v_mfma_f32_16x16x4f32 a[0:3], v0, v2, a[0:3]
	s_movk_i32 s4, 0xff
	v_and_b32_sdwa v1, v7, s4 dst_sel:DWORD dst_unused:UNUSED_PAD src0_sel:WORD_1 src1_sel:DWORD
	s_movk_i32 s4, 0x7f
	v_cmp_lt_i16_e32 vcc, s4, v1
	s_mov_b64 s[4:5], 0
                                        ; implicit-def: $sgpr10
	s_and_saveexec_b64 s[6:7], vcc
	s_xor_b64 s[6:7], exec, s[6:7]
	s_cbranch_execnz .LBB51_4081
; %bb.2033:
	s_or_saveexec_b64 s[6:7], s[6:7]
	v_mov_b32_e32 v0, s10
	s_xor_b64 exec, exec, s[6:7]
	s_cbranch_execnz .LBB51_4084
.LBB51_2034:
	s_or_b64 exec, exec, s[6:7]
	s_and_saveexec_b64 s[6:7], s[4:5]
	s_cbranch_execz .LBB51_2036
.LBB51_2035:
	v_bfe_u32 v0, v7, 16, 3
	v_ffbh_u32_e32 v4, v0
	v_min_u32_e32 v4, 32, v4
	v_lshrrev_b32_e32 v1, 19, v7
	v_subrev_u32_e32 v5, 28, v4
	v_and_b32_e32 v1, 15, v1
	v_lshlrev_b32_sdwa v5, v5, v7 dst_sel:DWORD dst_unused:UNUSED_PAD src0_sel:DWORD src1_sel:WORD_1
	v_bfe_u32 v2, v7, 19, 4
	v_sub_u32_e32 v4, 29, v4
	v_and_b32_e32 v5, 7, v5
	v_cmp_eq_u16_e32 vcc, 0, v1
	v_cndmask_b32_e32 v0, v0, v5, vcc
	v_cndmask_b32_e32 v1, v2, v4, vcc
	v_lshlrev_b32_e32 v2, 8, v7
	v_mov_b32_e32 v4, 0x3b800000
	v_lshlrev_b32_e32 v0, 20, v0
	v_and_b32_e32 v2, 0x80000000, v2
	v_lshl_add_u32 v1, v1, 23, v4
	v_or3_b32 v0, v2, v1, v0
.LBB51_2036:
	s_or_b64 exec, exec, s[6:7]
	s_movk_i32 s4, 0xff
	v_and_b32_sdwa v1, v3, s4 dst_sel:DWORD dst_unused:UNUSED_PAD src0_sel:WORD_1 src1_sel:DWORD
	s_movk_i32 s4, 0x7f
	v_cmp_lt_i16_e32 vcc, s4, v1
	s_mov_b64 s[4:5], 0
                                        ; implicit-def: $sgpr10
	s_and_saveexec_b64 s[6:7], vcc
	s_xor_b64 s[6:7], exec, s[6:7]
	s_cbranch_execnz .LBB51_4085
; %bb.2037:
	s_or_saveexec_b64 s[6:7], s[6:7]
	v_mov_b32_e32 v2, s10
	s_xor_b64 exec, exec, s[6:7]
	s_cbranch_execnz .LBB51_4088
.LBB51_2038:
	s_or_b64 exec, exec, s[6:7]
	s_and_saveexec_b64 s[6:7], s[4:5]
	s_cbranch_execz .LBB51_2040
.LBB51_2039:
	v_bfe_u32 v1, v3, 16, 3
	v_ffbh_u32_e32 v5, v1
	v_min_u32_e32 v5, 32, v5
	v_lshrrev_b32_e32 v2, 19, v3
	v_subrev_u32_e32 v6, 28, v5
	v_and_b32_e32 v2, 15, v2
	v_lshlrev_b32_sdwa v6, v6, v3 dst_sel:DWORD dst_unused:UNUSED_PAD src0_sel:DWORD src1_sel:WORD_1
	v_bfe_u32 v4, v3, 19, 4
	v_sub_u32_e32 v5, 29, v5
	v_and_b32_e32 v6, 7, v6
	v_cmp_eq_u16_e32 vcc, 0, v2
	v_cndmask_b32_e32 v1, v1, v6, vcc
	v_cndmask_b32_e32 v2, v4, v5, vcc
	v_lshlrev_b32_e32 v4, 8, v3
	v_mov_b32_e32 v5, 0x3b800000
	v_lshlrev_b32_e32 v1, 20, v1
	v_and_b32_e32 v4, 0x80000000, v4
	v_lshl_add_u32 v2, v2, 23, v5
	v_or3_b32 v2, v4, v2, v1
.LBB51_2040:
	s_or_b64 exec, exec, s[6:7]
	s_nop 0
	v_mfma_f32_16x16x4f32 a[0:3], v0, v2, a[0:3]
	s_movk_i32 s4, 0x7f
	v_cmp_gt_i16_sdwa s[6:7], v7, s4 src0_sel:BYTE_3 src1_sel:DWORD
	s_mov_b64 s[4:5], 0
                                        ; implicit-def: $sgpr10
	s_and_saveexec_b64 s[8:9], s[6:7]
	s_xor_b64 s[6:7], exec, s[8:9]
	s_cbranch_execnz .LBB51_4089
; %bb.2041:
	s_or_saveexec_b64 s[6:7], s[6:7]
	v_mov_b32_e32 v0, s10
	s_xor_b64 exec, exec, s[6:7]
	s_cbranch_execnz .LBB51_4092
.LBB51_2042:
	s_or_b64 exec, exec, s[6:7]
	s_and_saveexec_b64 s[6:7], s[4:5]
	s_cbranch_execz .LBB51_2044
.LBB51_2043:
	v_bfe_u32 v0, v7, 24, 3
	v_ffbh_u32_e32 v5, v0
	v_min_u32_e32 v5, 32, v5
	v_lshrrev_b32_e32 v2, 27, v7
	v_subrev_u32_e32 v6, 28, v5
	v_and_b32_e32 v2, 15, v2
	v_lshlrev_b32_sdwa v6, v6, v7 dst_sel:DWORD dst_unused:UNUSED_PAD src0_sel:DWORD src1_sel:BYTE_3
	v_bfe_u32 v4, v7, 27, 4
	v_sub_u32_e32 v5, 29, v5
	v_and_b32_e32 v6, 7, v6
	v_cmp_eq_u16_e32 vcc, 0, v2
	v_cndmask_b32_e32 v0, v0, v6, vcc
	v_cndmask_b32_e32 v2, v4, v5, vcc
	v_mov_b32_e32 v4, 0x3b800000
	v_and_b32_e32 v1, 0x80000000, v7
	v_lshlrev_b32_e32 v0, 20, v0
	v_lshl_add_u32 v2, v2, 23, v4
	v_or3_b32 v0, v1, v2, v0
.LBB51_2044:
	s_or_b64 exec, exec, s[6:7]
	s_movk_i32 s4, 0x7f
	v_cmp_gt_i16_sdwa s[6:7], v3, s4 src0_sel:BYTE_3 src1_sel:DWORD
	s_mov_b64 s[4:5], 0
                                        ; implicit-def: $sgpr10
	s_and_saveexec_b64 s[8:9], s[6:7]
	s_xor_b64 s[6:7], exec, s[8:9]
	s_cbranch_execnz .LBB51_4093
; %bb.2045:
	s_or_saveexec_b64 s[6:7], s[6:7]
	v_mov_b32_e32 v1, s10
	s_xor_b64 exec, exec, s[6:7]
	s_cbranch_execnz .LBB51_4096
.LBB51_2046:
	s_or_b64 exec, exec, s[6:7]
	s_and_saveexec_b64 s[6:7], s[4:5]
	s_cbranch_execz .LBB51_2048
.LBB51_2047:
	v_bfe_u32 v1, v3, 24, 3
	v_ffbh_u32_e32 v6, v1
	v_min_u32_e32 v6, 32, v6
	v_lshrrev_b32_e32 v4, 27, v3
	v_subrev_u32_e32 v7, 28, v6
	v_and_b32_e32 v2, 0x80000000, v3
	v_and_b32_e32 v4, 15, v4
	v_bfe_u32 v5, v3, 27, 4
	v_lshlrev_b32_sdwa v3, v7, v3 dst_sel:DWORD dst_unused:UNUSED_PAD src0_sel:DWORD src1_sel:BYTE_3
	v_sub_u32_e32 v6, 29, v6
	v_and_b32_e32 v3, 7, v3
	v_cmp_eq_u16_e32 vcc, 0, v4
	v_cndmask_b32_e32 v1, v1, v3, vcc
	v_cndmask_b32_e32 v3, v5, v6, vcc
	v_mov_b32_e32 v4, 0x3b800000
	v_lshlrev_b32_e32 v1, 20, v1
	v_lshl_add_u32 v3, v3, 23, v4
	v_or3_b32 v1, v2, v3, v1
.LBB51_2048:
	s_or_b64 exec, exec, s[6:7]
	s_nop 0
	v_mfma_f32_16x16x4f32 a[0:3], v0, v1, a[0:3]
	s_nop 7
	s_nop 2
	flat_store_dwordx4 v[16:17], a[0:3] offset:1008
	s_waitcnt vmcnt(0) lgkmcnt(0)
	s_setpc_b64 s[30:31]
.LBB51_2049:
	s_movk_i32 s4, 0x80
	v_cmp_eq_u16_sdwa s[12:13], v14, s4 src0_sel:BYTE_0 src1_sel:DWORD
	s_mov_b64 s[4:5], -1
                                        ; implicit-def: $sgpr10
	s_and_saveexec_b64 s[8:9], s[12:13]
; %bb.2050:
	s_mov_b32 s10, 0x7f800001
	s_xor_b64 s[4:5], exec, -1
; %bb.2051:
	s_or_b64 exec, exec, s[8:9]
	s_and_b64 s[4:5], s[4:5], exec
	s_or_saveexec_b64 s[6:7], s[6:7]
	v_mov_b32_e32 v20, s10
	s_xor_b64 exec, exec, s[6:7]
	s_cbranch_execz .LBB51_2
.LBB51_2052:
	v_mov_b32_e32 v20, 0
	v_cmp_ne_u16_sdwa s[8:9], v14, v20 src0_sel:BYTE_0 src1_sel:DWORD
	s_andn2_b64 s[4:5], s[4:5], exec
	s_and_b64 s[8:9], s[8:9], exec
	s_or_b64 s[4:5], s[4:5], s[8:9]
	s_or_b64 exec, exec, s[6:7]
	s_and_saveexec_b64 s[6:7], s[4:5]
	s_cbranch_execnz .LBB51_3
	s_branch .LBB51_4
.LBB51_2053:
	s_movk_i32 s4, 0x80
	v_cmp_eq_u16_sdwa s[12:13], v10, s4 src0_sel:BYTE_0 src1_sel:DWORD
	s_mov_b64 s[4:5], -1
                                        ; implicit-def: $sgpr10
	s_and_saveexec_b64 s[8:9], s[12:13]
; %bb.2054:
	s_mov_b32 s10, 0x7f800001
	s_xor_b64 s[4:5], exec, -1
; %bb.2055:
	s_or_b64 exec, exec, s[8:9]
	s_and_b64 s[4:5], s[4:5], exec
	s_or_saveexec_b64 s[6:7], s[6:7]
	v_mov_b32_e32 v21, s10
	s_xor_b64 exec, exec, s[6:7]
	s_cbranch_execz .LBB51_6
.LBB51_2056:
	v_mov_b32_e32 v21, 0
	v_cmp_ne_u16_sdwa s[8:9], v10, v21 src0_sel:BYTE_0 src1_sel:DWORD
	s_andn2_b64 s[4:5], s[4:5], exec
	s_and_b64 s[8:9], s[8:9], exec
	s_or_b64 s[4:5], s[4:5], s[8:9]
	s_or_b64 exec, exec, s[6:7]
	s_and_saveexec_b64 s[6:7], s[4:5]
	s_cbranch_execnz .LBB51_7
	s_branch .LBB51_8
.LBB51_2057:
	s_movk_i32 s4, 0x80
	v_cmp_eq_u16_sdwa s[12:13], v21, s4 src0_sel:BYTE_0 src1_sel:DWORD
	s_mov_b64 s[4:5], -1
                                        ; implicit-def: $sgpr10
	s_and_saveexec_b64 s[8:9], s[12:13]
; %bb.2058:
	s_mov_b32 s10, 0x7f800001
	s_xor_b64 s[4:5], exec, -1
; %bb.2059:
	s_or_b64 exec, exec, s[8:9]
	s_and_b64 s[4:5], s[4:5], exec
	s_or_saveexec_b64 s[6:7], s[6:7]
	v_mov_b32_e32 v20, s10
	s_xor_b64 exec, exec, s[6:7]
	s_cbranch_execz .LBB51_10
.LBB51_2060:
	v_mov_b32_e32 v20, 0
	v_cmp_ne_u16_sdwa s[8:9], v21, v20 src0_sel:BYTE_0 src1_sel:DWORD
	s_andn2_b64 s[4:5], s[4:5], exec
	s_and_b64 s[8:9], s[8:9], exec
	s_or_b64 s[4:5], s[4:5], s[8:9]
	s_or_b64 exec, exec, s[6:7]
	s_and_saveexec_b64 s[6:7], s[4:5]
	s_cbranch_execnz .LBB51_11
	s_branch .LBB51_12
.LBB51_2061:
	s_movk_i32 s4, 0x80
	v_cmp_eq_u16_sdwa s[12:13], v21, s4 src0_sel:BYTE_0 src1_sel:DWORD
	s_mov_b64 s[4:5], -1
                                        ; implicit-def: $sgpr10
	s_and_saveexec_b64 s[8:9], s[12:13]
; %bb.2062:
	s_mov_b32 s10, 0x7f800001
	s_xor_b64 s[4:5], exec, -1
; %bb.2063:
	s_or_b64 exec, exec, s[8:9]
	s_and_b64 s[4:5], s[4:5], exec
	s_or_saveexec_b64 s[6:7], s[6:7]
	v_mov_b32_e32 v22, s10
	s_xor_b64 exec, exec, s[6:7]
	s_cbranch_execz .LBB51_14
.LBB51_2064:
	v_mov_b32_e32 v22, 0
	v_cmp_ne_u16_sdwa s[8:9], v21, v22 src0_sel:BYTE_0 src1_sel:DWORD
	s_andn2_b64 s[4:5], s[4:5], exec
	s_and_b64 s[8:9], s[8:9], exec
	s_or_b64 s[4:5], s[4:5], s[8:9]
	s_or_b64 exec, exec, s[6:7]
	s_and_saveexec_b64 s[6:7], s[4:5]
	s_cbranch_execnz .LBB51_15
	s_branch .LBB51_16
.LBB51_2065:
	s_movk_i32 s4, 0x80
	v_cmp_eq_u16_e32 vcc, s4, v21
	s_mov_b64 s[4:5], -1
                                        ; implicit-def: $sgpr10
	s_and_saveexec_b64 s[8:9], vcc
; %bb.2066:
	s_mov_b32 s10, 0x7f800001
	s_xor_b64 s[4:5], exec, -1
; %bb.2067:
	s_or_b64 exec, exec, s[8:9]
	s_and_b64 s[4:5], s[4:5], exec
                                        ; implicit-def: $vgpr21
	s_or_saveexec_b64 s[6:7], s[6:7]
	v_mov_b32_e32 v20, s10
	s_xor_b64 exec, exec, s[6:7]
	s_cbranch_execz .LBB51_18
.LBB51_2068:
	v_cmp_ne_u16_e32 vcc, 0, v21
	s_andn2_b64 s[4:5], s[4:5], exec
	s_and_b64 s[8:9], vcc, exec
	v_mov_b32_e32 v20, 0
	s_or_b64 s[4:5], s[4:5], s[8:9]
	s_or_b64 exec, exec, s[6:7]
	s_and_saveexec_b64 s[6:7], s[4:5]
	s_cbranch_execnz .LBB51_19
	s_branch .LBB51_20
.LBB51_2069:
	s_movk_i32 s4, 0x80
	v_cmp_eq_u16_e32 vcc, s4, v21
	s_mov_b64 s[4:5], -1
                                        ; implicit-def: $sgpr10
	s_and_saveexec_b64 s[8:9], vcc
; %bb.2070:
	s_mov_b32 s10, 0x7f800001
	s_xor_b64 s[4:5], exec, -1
; %bb.2071:
	s_or_b64 exec, exec, s[8:9]
	s_and_b64 s[4:5], s[4:5], exec
                                        ; implicit-def: $vgpr21
	s_or_saveexec_b64 s[6:7], s[6:7]
	v_mov_b32_e32 v22, s10
	s_xor_b64 exec, exec, s[6:7]
	s_cbranch_execz .LBB51_22
.LBB51_2072:
	v_cmp_ne_u16_e32 vcc, 0, v21
	s_andn2_b64 s[4:5], s[4:5], exec
	s_and_b64 s[8:9], vcc, exec
	v_mov_b32_e32 v22, 0
	s_or_b64 s[4:5], s[4:5], s[8:9]
	s_or_b64 exec, exec, s[6:7]
	s_and_saveexec_b64 s[6:7], s[4:5]
	s_cbranch_execnz .LBB51_23
	s_branch .LBB51_24
.LBB51_2073:
	s_movk_i32 s4, 0x80
	v_cmp_eq_u16_sdwa s[12:13], v14, s4 src0_sel:BYTE_3 src1_sel:DWORD
	s_mov_b64 s[4:5], -1
                                        ; implicit-def: $sgpr10
	s_and_saveexec_b64 s[8:9], s[12:13]
; %bb.2074:
	s_mov_b32 s10, 0x7f800001
	s_xor_b64 s[4:5], exec, -1
; %bb.2075:
	s_or_b64 exec, exec, s[8:9]
	s_and_b64 s[4:5], s[4:5], exec
	s_or_saveexec_b64 s[6:7], s[6:7]
	v_mov_b32_e32 v20, s10
	s_xor_b64 exec, exec, s[6:7]
	s_cbranch_execz .LBB51_26
.LBB51_2076:
	v_mov_b32_e32 v20, 0
	v_cmp_ne_u16_sdwa s[8:9], v14, v20 src0_sel:BYTE_3 src1_sel:DWORD
	s_andn2_b64 s[4:5], s[4:5], exec
	s_and_b64 s[8:9], s[8:9], exec
	s_or_b64 s[4:5], s[4:5], s[8:9]
	s_or_b64 exec, exec, s[6:7]
	s_and_saveexec_b64 s[6:7], s[4:5]
	s_cbranch_execnz .LBB51_27
	s_branch .LBB51_28
.LBB51_2077:
	s_movk_i32 s4, 0x80
	v_cmp_eq_u16_sdwa s[12:13], v10, s4 src0_sel:BYTE_3 src1_sel:DWORD
	s_mov_b64 s[4:5], -1
                                        ; implicit-def: $sgpr10
	s_and_saveexec_b64 s[8:9], s[12:13]
; %bb.2078:
	s_mov_b32 s10, 0x7f800001
	s_xor_b64 s[4:5], exec, -1
; %bb.2079:
	s_or_b64 exec, exec, s[8:9]
	s_and_b64 s[4:5], s[4:5], exec
	s_or_saveexec_b64 s[6:7], s[6:7]
	v_mov_b32_e32 v14, s10
	s_xor_b64 exec, exec, s[6:7]
	s_cbranch_execz .LBB51_30
.LBB51_2080:
	v_mov_b32_e32 v14, 0
	v_cmp_ne_u16_sdwa s[8:9], v10, v14 src0_sel:BYTE_3 src1_sel:DWORD
	s_andn2_b64 s[4:5], s[4:5], exec
	s_and_b64 s[8:9], s[8:9], exec
	s_or_b64 s[4:5], s[4:5], s[8:9]
	s_or_b64 exec, exec, s[6:7]
	s_and_saveexec_b64 s[6:7], s[4:5]
	s_cbranch_execnz .LBB51_31
	s_branch .LBB51_32
.LBB51_2081:
	s_movk_i32 s4, 0x80
	v_cmp_eq_u16_sdwa s[12:13], v15, s4 src0_sel:BYTE_0 src1_sel:DWORD
	s_mov_b64 s[4:5], -1
                                        ; implicit-def: $sgpr10
	s_and_saveexec_b64 s[8:9], s[12:13]
; %bb.2082:
	s_mov_b32 s10, 0x7f800001
	s_xor_b64 s[4:5], exec, -1
; %bb.2083:
	s_or_b64 exec, exec, s[8:9]
	s_and_b64 s[4:5], s[4:5], exec
	s_or_saveexec_b64 s[6:7], s[6:7]
	v_mov_b32_e32 v10, s10
	s_xor_b64 exec, exec, s[6:7]
	s_cbranch_execz .LBB51_34
.LBB51_2084:
	v_mov_b32_e32 v10, 0
	v_cmp_ne_u16_sdwa s[8:9], v15, v10 src0_sel:BYTE_0 src1_sel:DWORD
	s_andn2_b64 s[4:5], s[4:5], exec
	s_and_b64 s[8:9], s[8:9], exec
	s_or_b64 s[4:5], s[4:5], s[8:9]
	s_or_b64 exec, exec, s[6:7]
	s_and_saveexec_b64 s[6:7], s[4:5]
	s_cbranch_execnz .LBB51_35
	s_branch .LBB51_36
.LBB51_2085:
	s_movk_i32 s4, 0x80
	v_cmp_eq_u16_sdwa s[12:13], v11, s4 src0_sel:BYTE_0 src1_sel:DWORD
	s_mov_b64 s[4:5], -1
                                        ; implicit-def: $sgpr10
	s_and_saveexec_b64 s[8:9], s[12:13]
; %bb.2086:
	s_mov_b32 s10, 0x7f800001
	s_xor_b64 s[4:5], exec, -1
; %bb.2087:
	s_or_b64 exec, exec, s[8:9]
	s_and_b64 s[4:5], s[4:5], exec
	s_or_saveexec_b64 s[6:7], s[6:7]
	v_mov_b32_e32 v14, s10
	s_xor_b64 exec, exec, s[6:7]
	s_cbranch_execz .LBB51_38
.LBB51_2088:
	v_mov_b32_e32 v14, 0
	v_cmp_ne_u16_sdwa s[8:9], v11, v14 src0_sel:BYTE_0 src1_sel:DWORD
	s_andn2_b64 s[4:5], s[4:5], exec
	s_and_b64 s[8:9], s[8:9], exec
	s_or_b64 s[4:5], s[4:5], s[8:9]
	s_or_b64 exec, exec, s[6:7]
	s_and_saveexec_b64 s[6:7], s[4:5]
	s_cbranch_execnz .LBB51_39
	s_branch .LBB51_40
.LBB51_2089:
	s_movk_i32 s4, 0x80
	v_cmp_eq_u16_sdwa s[12:13], v14, s4 src0_sel:BYTE_0 src1_sel:DWORD
	s_mov_b64 s[4:5], -1
                                        ; implicit-def: $sgpr10
	s_and_saveexec_b64 s[8:9], s[12:13]
; %bb.2090:
	s_mov_b32 s10, 0x7f800001
	s_xor_b64 s[4:5], exec, -1
; %bb.2091:
	s_or_b64 exec, exec, s[8:9]
	s_and_b64 s[4:5], s[4:5], exec
	s_or_saveexec_b64 s[6:7], s[6:7]
	v_mov_b32_e32 v10, s10
	s_xor_b64 exec, exec, s[6:7]
	s_cbranch_execz .LBB51_42
.LBB51_2092:
	v_mov_b32_e32 v10, 0
	v_cmp_ne_u16_sdwa s[8:9], v14, v10 src0_sel:BYTE_0 src1_sel:DWORD
	s_andn2_b64 s[4:5], s[4:5], exec
	s_and_b64 s[8:9], s[8:9], exec
	s_or_b64 s[4:5], s[4:5], s[8:9]
	s_or_b64 exec, exec, s[6:7]
	s_and_saveexec_b64 s[6:7], s[4:5]
	s_cbranch_execnz .LBB51_43
	s_branch .LBB51_44
.LBB51_2093:
	s_movk_i32 s4, 0x80
	v_cmp_eq_u16_sdwa s[12:13], v14, s4 src0_sel:BYTE_0 src1_sel:DWORD
	s_mov_b64 s[4:5], -1
                                        ; implicit-def: $sgpr10
	s_and_saveexec_b64 s[8:9], s[12:13]
; %bb.2094:
	s_mov_b32 s10, 0x7f800001
	s_xor_b64 s[4:5], exec, -1
; %bb.2095:
	s_or_b64 exec, exec, s[8:9]
	s_and_b64 s[4:5], s[4:5], exec
	s_or_saveexec_b64 s[6:7], s[6:7]
	v_mov_b32_e32 v20, s10
	s_xor_b64 exec, exec, s[6:7]
	s_cbranch_execz .LBB51_46
.LBB51_2096:
	v_mov_b32_e32 v20, 0
	v_cmp_ne_u16_sdwa s[8:9], v14, v20 src0_sel:BYTE_0 src1_sel:DWORD
	s_andn2_b64 s[4:5], s[4:5], exec
	s_and_b64 s[8:9], s[8:9], exec
	s_or_b64 s[4:5], s[4:5], s[8:9]
	s_or_b64 exec, exec, s[6:7]
	s_and_saveexec_b64 s[6:7], s[4:5]
	s_cbranch_execnz .LBB51_47
	s_branch .LBB51_48
.LBB51_2097:
	s_movk_i32 s4, 0x80
	v_cmp_eq_u16_e32 vcc, s4, v14
	s_mov_b64 s[4:5], -1
                                        ; implicit-def: $sgpr10
	s_and_saveexec_b64 s[8:9], vcc
; %bb.2098:
	s_mov_b32 s10, 0x7f800001
	s_xor_b64 s[4:5], exec, -1
; %bb.2099:
	s_or_b64 exec, exec, s[8:9]
	s_and_b64 s[4:5], s[4:5], exec
                                        ; implicit-def: $vgpr14
	s_or_saveexec_b64 s[6:7], s[6:7]
	v_mov_b32_e32 v10, s10
	s_xor_b64 exec, exec, s[6:7]
	s_cbranch_execz .LBB51_50
.LBB51_2100:
	v_cmp_ne_u16_e32 vcc, 0, v14
	s_andn2_b64 s[4:5], s[4:5], exec
	s_and_b64 s[8:9], vcc, exec
	v_mov_b32_e32 v10, 0
	s_or_b64 s[4:5], s[4:5], s[8:9]
	s_or_b64 exec, exec, s[6:7]
	s_and_saveexec_b64 s[6:7], s[4:5]
	s_cbranch_execnz .LBB51_51
	s_branch .LBB51_52
.LBB51_2101:
	s_movk_i32 s4, 0x80
	v_cmp_eq_u16_e32 vcc, s4, v14
	s_mov_b64 s[4:5], -1
                                        ; implicit-def: $sgpr10
	s_and_saveexec_b64 s[8:9], vcc
; %bb.2102:
	s_mov_b32 s10, 0x7f800001
	s_xor_b64 s[4:5], exec, -1
; %bb.2103:
	s_or_b64 exec, exec, s[8:9]
	s_and_b64 s[4:5], s[4:5], exec
                                        ; implicit-def: $vgpr14
	s_or_saveexec_b64 s[6:7], s[6:7]
	v_mov_b32_e32 v20, s10
	s_xor_b64 exec, exec, s[6:7]
	s_cbranch_execz .LBB51_54
.LBB51_2104:
	v_cmp_ne_u16_e32 vcc, 0, v14
	s_andn2_b64 s[4:5], s[4:5], exec
	s_and_b64 s[8:9], vcc, exec
	v_mov_b32_e32 v20, 0
	s_or_b64 s[4:5], s[4:5], s[8:9]
	s_or_b64 exec, exec, s[6:7]
	s_and_saveexec_b64 s[6:7], s[4:5]
	s_cbranch_execnz .LBB51_55
	s_branch .LBB51_56
.LBB51_2105:
	s_movk_i32 s4, 0x80
	v_cmp_eq_u16_sdwa s[12:13], v15, s4 src0_sel:BYTE_3 src1_sel:DWORD
	s_mov_b64 s[4:5], -1
                                        ; implicit-def: $sgpr10
	s_and_saveexec_b64 s[8:9], s[12:13]
; %bb.2106:
	s_mov_b32 s10, 0x7f800001
	s_xor_b64 s[4:5], exec, -1
; %bb.2107:
	s_or_b64 exec, exec, s[8:9]
	s_and_b64 s[4:5], s[4:5], exec
	s_or_saveexec_b64 s[6:7], s[6:7]
	v_mov_b32_e32 v10, s10
	s_xor_b64 exec, exec, s[6:7]
	s_cbranch_execz .LBB51_58
.LBB51_2108:
	v_mov_b32_e32 v10, 0
	v_cmp_ne_u16_sdwa s[8:9], v15, v10 src0_sel:BYTE_3 src1_sel:DWORD
	s_andn2_b64 s[4:5], s[4:5], exec
	s_and_b64 s[8:9], s[8:9], exec
	s_or_b64 s[4:5], s[4:5], s[8:9]
	s_or_b64 exec, exec, s[6:7]
	s_and_saveexec_b64 s[6:7], s[4:5]
	s_cbranch_execnz .LBB51_59
	s_branch .LBB51_60
.LBB51_2109:
	s_movk_i32 s4, 0x80
	v_cmp_eq_u16_sdwa s[12:13], v11, s4 src0_sel:BYTE_3 src1_sel:DWORD
	s_mov_b64 s[4:5], -1
                                        ; implicit-def: $sgpr10
	s_and_saveexec_b64 s[8:9], s[12:13]
; %bb.2110:
	s_mov_b32 s10, 0x7f800001
	s_xor_b64 s[4:5], exec, -1
; %bb.2111:
	s_or_b64 exec, exec, s[8:9]
	s_and_b64 s[4:5], s[4:5], exec
	s_or_saveexec_b64 s[6:7], s[6:7]
	v_mov_b32_e32 v14, s10
	s_xor_b64 exec, exec, s[6:7]
	s_cbranch_execz .LBB51_62
.LBB51_2112:
	v_mov_b32_e32 v14, 0
	v_cmp_ne_u16_sdwa s[8:9], v11, v14 src0_sel:BYTE_3 src1_sel:DWORD
	s_andn2_b64 s[4:5], s[4:5], exec
	s_and_b64 s[8:9], s[8:9], exec
	s_or_b64 s[4:5], s[4:5], s[8:9]
	s_or_b64 exec, exec, s[6:7]
	s_and_saveexec_b64 s[6:7], s[4:5]
	s_cbranch_execnz .LBB51_63
	s_branch .LBB51_64
.LBB51_2113:
	s_movk_i32 s4, 0x80
	v_cmp_eq_u16_sdwa s[12:13], v16, s4 src0_sel:BYTE_0 src1_sel:DWORD
	s_mov_b64 s[4:5], -1
                                        ; implicit-def: $sgpr10
	s_and_saveexec_b64 s[8:9], s[12:13]
; %bb.2114:
	s_mov_b32 s10, 0x7f800001
	s_xor_b64 s[4:5], exec, -1
; %bb.2115:
	s_or_b64 exec, exec, s[8:9]
	s_and_b64 s[4:5], s[4:5], exec
	s_or_saveexec_b64 s[6:7], s[6:7]
	v_mov_b32_e32 v10, s10
	s_xor_b64 exec, exec, s[6:7]
	s_cbranch_execz .LBB51_66
.LBB51_2116:
	v_mov_b32_e32 v10, 0
	v_cmp_ne_u16_sdwa s[8:9], v16, v10 src0_sel:BYTE_0 src1_sel:DWORD
	s_andn2_b64 s[4:5], s[4:5], exec
	s_and_b64 s[8:9], s[8:9], exec
	s_or_b64 s[4:5], s[4:5], s[8:9]
	s_or_b64 exec, exec, s[6:7]
	s_and_saveexec_b64 s[6:7], s[4:5]
	s_cbranch_execnz .LBB51_67
	s_branch .LBB51_68
.LBB51_2117:
	s_movk_i32 s4, 0x80
	v_cmp_eq_u16_sdwa s[12:13], v12, s4 src0_sel:BYTE_0 src1_sel:DWORD
	s_mov_b64 s[4:5], -1
                                        ; implicit-def: $sgpr10
	s_and_saveexec_b64 s[8:9], s[12:13]
; %bb.2118:
	s_mov_b32 s10, 0x7f800001
	s_xor_b64 s[4:5], exec, -1
; %bb.2119:
	s_or_b64 exec, exec, s[8:9]
	s_and_b64 s[4:5], s[4:5], exec
	s_or_saveexec_b64 s[6:7], s[6:7]
	v_mov_b32_e32 v11, s10
	s_xor_b64 exec, exec, s[6:7]
	s_cbranch_execz .LBB51_70
.LBB51_2120:
	v_mov_b32_e32 v11, 0
	v_cmp_ne_u16_sdwa s[8:9], v12, v11 src0_sel:BYTE_0 src1_sel:DWORD
	s_andn2_b64 s[4:5], s[4:5], exec
	s_and_b64 s[8:9], s[8:9], exec
	s_or_b64 s[4:5], s[4:5], s[8:9]
	s_or_b64 exec, exec, s[6:7]
	s_and_saveexec_b64 s[6:7], s[4:5]
	s_cbranch_execnz .LBB51_71
	s_branch .LBB51_72
.LBB51_2121:
	s_movk_i32 s4, 0x80
	v_cmp_eq_u16_sdwa s[12:13], v11, s4 src0_sel:BYTE_0 src1_sel:DWORD
	s_mov_b64 s[4:5], -1
                                        ; implicit-def: $sgpr10
	s_and_saveexec_b64 s[8:9], s[12:13]
; %bb.2122:
	s_mov_b32 s10, 0x7f800001
	s_xor_b64 s[4:5], exec, -1
; %bb.2123:
	s_or_b64 exec, exec, s[8:9]
	s_and_b64 s[4:5], s[4:5], exec
	s_or_saveexec_b64 s[6:7], s[6:7]
	v_mov_b32_e32 v10, s10
	s_xor_b64 exec, exec, s[6:7]
	s_cbranch_execz .LBB51_74
.LBB51_2124:
	v_mov_b32_e32 v10, 0
	v_cmp_ne_u16_sdwa s[8:9], v11, v10 src0_sel:BYTE_0 src1_sel:DWORD
	s_andn2_b64 s[4:5], s[4:5], exec
	s_and_b64 s[8:9], s[8:9], exec
	s_or_b64 s[4:5], s[4:5], s[8:9]
	s_or_b64 exec, exec, s[6:7]
	s_and_saveexec_b64 s[6:7], s[4:5]
	s_cbranch_execnz .LBB51_75
	s_branch .LBB51_76
.LBB51_2125:
	s_movk_i32 s4, 0x80
	v_cmp_eq_u16_sdwa s[12:13], v11, s4 src0_sel:BYTE_0 src1_sel:DWORD
	s_mov_b64 s[4:5], -1
                                        ; implicit-def: $sgpr10
	s_and_saveexec_b64 s[8:9], s[12:13]
; %bb.2126:
	s_mov_b32 s10, 0x7f800001
	s_xor_b64 s[4:5], exec, -1
; %bb.2127:
	s_or_b64 exec, exec, s[8:9]
	s_and_b64 s[4:5], s[4:5], exec
	s_or_saveexec_b64 s[6:7], s[6:7]
	v_mov_b32_e32 v14, s10
	s_xor_b64 exec, exec, s[6:7]
	s_cbranch_execz .LBB51_78
.LBB51_2128:
	v_mov_b32_e32 v14, 0
	v_cmp_ne_u16_sdwa s[8:9], v11, v14 src0_sel:BYTE_0 src1_sel:DWORD
	s_andn2_b64 s[4:5], s[4:5], exec
	s_and_b64 s[8:9], s[8:9], exec
	s_or_b64 s[4:5], s[4:5], s[8:9]
	s_or_b64 exec, exec, s[6:7]
	s_and_saveexec_b64 s[6:7], s[4:5]
	s_cbranch_execnz .LBB51_79
	s_branch .LBB51_80
.LBB51_2129:
	s_movk_i32 s4, 0x80
	v_cmp_eq_u16_e32 vcc, s4, v11
	s_mov_b64 s[4:5], -1
                                        ; implicit-def: $sgpr10
	s_and_saveexec_b64 s[8:9], vcc
; %bb.2130:
	s_mov_b32 s10, 0x7f800001
	s_xor_b64 s[4:5], exec, -1
; %bb.2131:
	s_or_b64 exec, exec, s[8:9]
	s_and_b64 s[4:5], s[4:5], exec
                                        ; implicit-def: $vgpr11
	s_or_saveexec_b64 s[6:7], s[6:7]
	v_mov_b32_e32 v10, s10
	s_xor_b64 exec, exec, s[6:7]
	s_cbranch_execz .LBB51_82
.LBB51_2132:
	v_cmp_ne_u16_e32 vcc, 0, v11
	s_andn2_b64 s[4:5], s[4:5], exec
	s_and_b64 s[8:9], vcc, exec
	v_mov_b32_e32 v10, 0
	s_or_b64 s[4:5], s[4:5], s[8:9]
	s_or_b64 exec, exec, s[6:7]
	s_and_saveexec_b64 s[6:7], s[4:5]
	s_cbranch_execnz .LBB51_83
	s_branch .LBB51_84
.LBB51_2133:
	s_movk_i32 s4, 0x80
	v_cmp_eq_u16_e32 vcc, s4, v11
	s_mov_b64 s[4:5], -1
                                        ; implicit-def: $sgpr10
	s_and_saveexec_b64 s[8:9], vcc
; %bb.2134:
	s_mov_b32 s10, 0x7f800001
	s_xor_b64 s[4:5], exec, -1
; %bb.2135:
	s_or_b64 exec, exec, s[8:9]
	s_and_b64 s[4:5], s[4:5], exec
                                        ; implicit-def: $vgpr11
	s_or_saveexec_b64 s[6:7], s[6:7]
	v_mov_b32_e32 v14, s10
	s_xor_b64 exec, exec, s[6:7]
	s_cbranch_execz .LBB51_86
.LBB51_2136:
	v_cmp_ne_u16_e32 vcc, 0, v11
	s_andn2_b64 s[4:5], s[4:5], exec
	s_and_b64 s[8:9], vcc, exec
	v_mov_b32_e32 v14, 0
	s_or_b64 s[4:5], s[4:5], s[8:9]
	s_or_b64 exec, exec, s[6:7]
	s_and_saveexec_b64 s[6:7], s[4:5]
	s_cbranch_execnz .LBB51_87
	s_branch .LBB51_88
.LBB51_2137:
	s_movk_i32 s4, 0x80
	v_cmp_eq_u16_sdwa s[12:13], v16, s4 src0_sel:BYTE_3 src1_sel:DWORD
	s_mov_b64 s[4:5], -1
                                        ; implicit-def: $sgpr10
	s_and_saveexec_b64 s[8:9], s[12:13]
; %bb.2138:
	s_mov_b32 s10, 0x7f800001
	s_xor_b64 s[4:5], exec, -1
; %bb.2139:
	s_or_b64 exec, exec, s[8:9]
	s_and_b64 s[4:5], s[4:5], exec
	s_or_saveexec_b64 s[6:7], s[6:7]
	v_mov_b32_e32 v10, s10
	s_xor_b64 exec, exec, s[6:7]
	s_cbranch_execz .LBB51_90
.LBB51_2140:
	v_mov_b32_e32 v10, 0
	v_cmp_ne_u16_sdwa s[8:9], v16, v10 src0_sel:BYTE_3 src1_sel:DWORD
	s_andn2_b64 s[4:5], s[4:5], exec
	s_and_b64 s[8:9], s[8:9], exec
	s_or_b64 s[4:5], s[4:5], s[8:9]
	s_or_b64 exec, exec, s[6:7]
	s_and_saveexec_b64 s[6:7], s[4:5]
	s_cbranch_execnz .LBB51_91
	s_branch .LBB51_92
.LBB51_2141:
	s_movk_i32 s4, 0x80
	v_cmp_eq_u16_sdwa s[12:13], v12, s4 src0_sel:BYTE_3 src1_sel:DWORD
	s_mov_b64 s[4:5], -1
                                        ; implicit-def: $sgpr10
	s_and_saveexec_b64 s[8:9], s[12:13]
; %bb.2142:
	s_mov_b32 s10, 0x7f800001
	s_xor_b64 s[4:5], exec, -1
; %bb.2143:
	s_or_b64 exec, exec, s[8:9]
	s_and_b64 s[4:5], s[4:5], exec
	s_or_saveexec_b64 s[6:7], s[6:7]
	v_mov_b32_e32 v11, s10
	s_xor_b64 exec, exec, s[6:7]
	s_cbranch_execz .LBB51_94
.LBB51_2144:
	v_mov_b32_e32 v11, 0
	v_cmp_ne_u16_sdwa s[8:9], v12, v11 src0_sel:BYTE_3 src1_sel:DWORD
	s_andn2_b64 s[4:5], s[4:5], exec
	s_and_b64 s[8:9], s[8:9], exec
	s_or_b64 s[4:5], s[4:5], s[8:9]
	s_or_b64 exec, exec, s[6:7]
	s_and_saveexec_b64 s[6:7], s[4:5]
	s_cbranch_execnz .LBB51_95
	s_branch .LBB51_96
.LBB51_2145:
	s_movk_i32 s4, 0x80
	v_cmp_eq_u16_sdwa s[12:13], v17, s4 src0_sel:BYTE_0 src1_sel:DWORD
	s_mov_b64 s[4:5], -1
                                        ; implicit-def: $sgpr10
	s_and_saveexec_b64 s[8:9], s[12:13]
; %bb.2146:
	s_mov_b32 s10, 0x7f800001
	s_xor_b64 s[4:5], exec, -1
; %bb.2147:
	s_or_b64 exec, exec, s[8:9]
	s_and_b64 s[4:5], s[4:5], exec
	s_or_saveexec_b64 s[6:7], s[6:7]
	v_mov_b32_e32 v10, s10
	s_xor_b64 exec, exec, s[6:7]
	s_cbranch_execz .LBB51_98
.LBB51_2148:
	v_mov_b32_e32 v10, 0
	v_cmp_ne_u16_sdwa s[8:9], v17, v10 src0_sel:BYTE_0 src1_sel:DWORD
	s_andn2_b64 s[4:5], s[4:5], exec
	s_and_b64 s[8:9], s[8:9], exec
	s_or_b64 s[4:5], s[4:5], s[8:9]
	s_or_b64 exec, exec, s[6:7]
	s_and_saveexec_b64 s[6:7], s[4:5]
	s_cbranch_execnz .LBB51_99
	s_branch .LBB51_100
.LBB51_2149:
	s_movk_i32 s4, 0x80
	v_cmp_eq_u16_sdwa s[12:13], v13, s4 src0_sel:BYTE_0 src1_sel:DWORD
	s_mov_b64 s[4:5], -1
                                        ; implicit-def: $sgpr10
	s_and_saveexec_b64 s[8:9], s[12:13]
; %bb.2150:
	s_mov_b32 s10, 0x7f800001
	s_xor_b64 s[4:5], exec, -1
; %bb.2151:
	s_or_b64 exec, exec, s[8:9]
	s_and_b64 s[4:5], s[4:5], exec
	s_or_saveexec_b64 s[6:7], s[6:7]
	v_mov_b32_e32 v11, s10
	s_xor_b64 exec, exec, s[6:7]
	s_cbranch_execz .LBB51_102
.LBB51_2152:
	v_mov_b32_e32 v11, 0
	v_cmp_ne_u16_sdwa s[8:9], v13, v11 src0_sel:BYTE_0 src1_sel:DWORD
	s_andn2_b64 s[4:5], s[4:5], exec
	s_and_b64 s[8:9], s[8:9], exec
	s_or_b64 s[4:5], s[4:5], s[8:9]
	s_or_b64 exec, exec, s[6:7]
	s_and_saveexec_b64 s[6:7], s[4:5]
	s_cbranch_execnz .LBB51_103
	s_branch .LBB51_104
.LBB51_2153:
	s_movk_i32 s4, 0x80
	v_cmp_eq_u16_sdwa s[12:13], v11, s4 src0_sel:BYTE_0 src1_sel:DWORD
	s_mov_b64 s[4:5], -1
                                        ; implicit-def: $sgpr10
	s_and_saveexec_b64 s[8:9], s[12:13]
; %bb.2154:
	s_mov_b32 s10, 0x7f800001
	s_xor_b64 s[4:5], exec, -1
; %bb.2155:
	s_or_b64 exec, exec, s[8:9]
	s_and_b64 s[4:5], s[4:5], exec
	s_or_saveexec_b64 s[6:7], s[6:7]
	v_mov_b32_e32 v10, s10
	s_xor_b64 exec, exec, s[6:7]
	s_cbranch_execz .LBB51_106
.LBB51_2156:
	v_mov_b32_e32 v10, 0
	v_cmp_ne_u16_sdwa s[8:9], v11, v10 src0_sel:BYTE_0 src1_sel:DWORD
	s_andn2_b64 s[4:5], s[4:5], exec
	s_and_b64 s[8:9], s[8:9], exec
	s_or_b64 s[4:5], s[4:5], s[8:9]
	s_or_b64 exec, exec, s[6:7]
	s_and_saveexec_b64 s[6:7], s[4:5]
	s_cbranch_execnz .LBB51_107
	s_branch .LBB51_108
.LBB51_2157:
	s_movk_i32 s4, 0x80
	v_cmp_eq_u16_sdwa s[12:13], v11, s4 src0_sel:BYTE_0 src1_sel:DWORD
	s_mov_b64 s[4:5], -1
                                        ; implicit-def: $sgpr10
	s_and_saveexec_b64 s[8:9], s[12:13]
; %bb.2158:
	s_mov_b32 s10, 0x7f800001
	s_xor_b64 s[4:5], exec, -1
; %bb.2159:
	s_or_b64 exec, exec, s[8:9]
	s_and_b64 s[4:5], s[4:5], exec
	s_or_saveexec_b64 s[6:7], s[6:7]
	v_mov_b32_e32 v12, s10
	s_xor_b64 exec, exec, s[6:7]
	s_cbranch_execz .LBB51_110
.LBB51_2160:
	v_mov_b32_e32 v12, 0
	v_cmp_ne_u16_sdwa s[8:9], v11, v12 src0_sel:BYTE_0 src1_sel:DWORD
	s_andn2_b64 s[4:5], s[4:5], exec
	s_and_b64 s[8:9], s[8:9], exec
	s_or_b64 s[4:5], s[4:5], s[8:9]
	s_or_b64 exec, exec, s[6:7]
	s_and_saveexec_b64 s[6:7], s[4:5]
	s_cbranch_execnz .LBB51_111
	s_branch .LBB51_112
.LBB51_2161:
	s_movk_i32 s4, 0x80
	v_cmp_eq_u16_e32 vcc, s4, v11
	s_mov_b64 s[4:5], -1
                                        ; implicit-def: $sgpr10
	s_and_saveexec_b64 s[8:9], vcc
; %bb.2162:
	s_mov_b32 s10, 0x7f800001
	s_xor_b64 s[4:5], exec, -1
; %bb.2163:
	s_or_b64 exec, exec, s[8:9]
	s_and_b64 s[4:5], s[4:5], exec
                                        ; implicit-def: $vgpr11
	s_or_saveexec_b64 s[6:7], s[6:7]
	v_mov_b32_e32 v10, s10
	s_xor_b64 exec, exec, s[6:7]
	s_cbranch_execz .LBB51_114
.LBB51_2164:
	v_cmp_ne_u16_e32 vcc, 0, v11
	s_andn2_b64 s[4:5], s[4:5], exec
	s_and_b64 s[8:9], vcc, exec
	v_mov_b32_e32 v10, 0
	s_or_b64 s[4:5], s[4:5], s[8:9]
	s_or_b64 exec, exec, s[6:7]
	s_and_saveexec_b64 s[6:7], s[4:5]
	s_cbranch_execnz .LBB51_115
	s_branch .LBB51_116
.LBB51_2165:
	s_movk_i32 s4, 0x80
	v_cmp_eq_u16_e32 vcc, s4, v11
	s_mov_b64 s[4:5], -1
                                        ; implicit-def: $sgpr10
	s_and_saveexec_b64 s[8:9], vcc
; %bb.2166:
	s_mov_b32 s10, 0x7f800001
	s_xor_b64 s[4:5], exec, -1
; %bb.2167:
	s_or_b64 exec, exec, s[8:9]
	s_and_b64 s[4:5], s[4:5], exec
                                        ; implicit-def: $vgpr11
	s_or_saveexec_b64 s[6:7], s[6:7]
	v_mov_b32_e32 v12, s10
	s_xor_b64 exec, exec, s[6:7]
	s_cbranch_execz .LBB51_118
.LBB51_2168:
	v_cmp_ne_u16_e32 vcc, 0, v11
	s_andn2_b64 s[4:5], s[4:5], exec
	s_and_b64 s[8:9], vcc, exec
	v_mov_b32_e32 v12, 0
	s_or_b64 s[4:5], s[4:5], s[8:9]
	s_or_b64 exec, exec, s[6:7]
	s_and_saveexec_b64 s[6:7], s[4:5]
	s_cbranch_execnz .LBB51_119
	s_branch .LBB51_120
.LBB51_2169:
	s_movk_i32 s4, 0x80
	v_cmp_eq_u16_sdwa s[12:13], v17, s4 src0_sel:BYTE_3 src1_sel:DWORD
	s_mov_b64 s[4:5], -1
                                        ; implicit-def: $sgpr10
	s_and_saveexec_b64 s[8:9], s[12:13]
; %bb.2170:
	s_mov_b32 s10, 0x7f800001
	s_xor_b64 s[4:5], exec, -1
; %bb.2171:
	s_or_b64 exec, exec, s[8:9]
	s_and_b64 s[4:5], s[4:5], exec
	s_or_saveexec_b64 s[6:7], s[6:7]
	v_mov_b32_e32 v10, s10
	s_xor_b64 exec, exec, s[6:7]
	s_cbranch_execz .LBB51_122
.LBB51_2172:
	v_mov_b32_e32 v10, 0
	v_cmp_ne_u16_sdwa s[8:9], v17, v10 src0_sel:BYTE_3 src1_sel:DWORD
	s_andn2_b64 s[4:5], s[4:5], exec
	s_and_b64 s[8:9], s[8:9], exec
	s_or_b64 s[4:5], s[4:5], s[8:9]
	s_or_b64 exec, exec, s[6:7]
	s_and_saveexec_b64 s[6:7], s[4:5]
	s_cbranch_execnz .LBB51_123
	s_branch .LBB51_124
.LBB51_2173:
	s_movk_i32 s4, 0x80
	v_cmp_eq_u16_sdwa s[12:13], v13, s4 src0_sel:BYTE_3 src1_sel:DWORD
	s_mov_b64 s[4:5], -1
                                        ; implicit-def: $sgpr10
	s_and_saveexec_b64 s[8:9], s[12:13]
; %bb.2174:
	s_mov_b32 s10, 0x7f800001
	s_xor_b64 s[4:5], exec, -1
; %bb.2175:
	s_or_b64 exec, exec, s[8:9]
	s_and_b64 s[4:5], s[4:5], exec
	s_or_saveexec_b64 s[6:7], s[6:7]
	v_mov_b32_e32 v11, s10
	s_xor_b64 exec, exec, s[6:7]
	s_cbranch_execz .LBB51_126
.LBB51_2176:
	v_mov_b32_e32 v11, 0
	v_cmp_ne_u16_sdwa s[8:9], v13, v11 src0_sel:BYTE_3 src1_sel:DWORD
	s_andn2_b64 s[4:5], s[4:5], exec
	s_and_b64 s[8:9], s[8:9], exec
	s_or_b64 s[4:5], s[4:5], s[8:9]
	s_or_b64 exec, exec, s[6:7]
	s_and_saveexec_b64 s[6:7], s[4:5]
	s_cbranch_execnz .LBB51_127
	s_branch .LBB51_128
.LBB51_2177:
	s_movk_i32 s4, 0x80
	v_cmp_eq_u16_sdwa s[12:13], v6, s4 src0_sel:BYTE_0 src1_sel:DWORD
	s_mov_b64 s[4:5], -1
                                        ; implicit-def: $sgpr10
	s_and_saveexec_b64 s[8:9], s[12:13]
; %bb.2178:
	s_mov_b32 s10, 0x7f800001
	s_xor_b64 s[4:5], exec, -1
; %bb.2179:
	s_or_b64 exec, exec, s[8:9]
	s_and_b64 s[4:5], s[4:5], exec
	s_or_saveexec_b64 s[6:7], s[6:7]
	v_mov_b32_e32 v10, s10
	s_xor_b64 exec, exec, s[6:7]
	s_cbranch_execz .LBB51_130
.LBB51_2180:
	v_mov_b32_e32 v10, 0
	v_cmp_ne_u16_sdwa s[8:9], v6, v10 src0_sel:BYTE_0 src1_sel:DWORD
	s_andn2_b64 s[4:5], s[4:5], exec
	s_and_b64 s[8:9], s[8:9], exec
	s_or_b64 s[4:5], s[4:5], s[8:9]
	s_or_b64 exec, exec, s[6:7]
	s_and_saveexec_b64 s[6:7], s[4:5]
	s_cbranch_execnz .LBB51_131
	s_branch .LBB51_132
.LBB51_2181:
	s_movk_i32 s4, 0x80
	v_cmp_eq_u16_sdwa s[12:13], v2, s4 src0_sel:BYTE_0 src1_sel:DWORD
	s_mov_b64 s[4:5], -1
                                        ; implicit-def: $sgpr10
	s_and_saveexec_b64 s[8:9], s[12:13]
; %bb.2182:
	s_mov_b32 s10, 0x7f800001
	s_xor_b64 s[4:5], exec, -1
; %bb.2183:
	s_or_b64 exec, exec, s[8:9]
	s_and_b64 s[4:5], s[4:5], exec
	s_or_saveexec_b64 s[6:7], s[6:7]
	v_mov_b32_e32 v11, s10
	s_xor_b64 exec, exec, s[6:7]
	s_cbranch_execz .LBB51_134
.LBB51_2184:
	v_mov_b32_e32 v11, 0
	v_cmp_ne_u16_sdwa s[8:9], v2, v11 src0_sel:BYTE_0 src1_sel:DWORD
	s_andn2_b64 s[4:5], s[4:5], exec
	s_and_b64 s[8:9], s[8:9], exec
	s_or_b64 s[4:5], s[4:5], s[8:9]
	s_or_b64 exec, exec, s[6:7]
	s_and_saveexec_b64 s[6:7], s[4:5]
	s_cbranch_execnz .LBB51_135
	s_branch .LBB51_136
.LBB51_2185:
	s_movk_i32 s4, 0x80
	v_cmp_eq_u16_sdwa s[12:13], v11, s4 src0_sel:BYTE_0 src1_sel:DWORD
	s_mov_b64 s[4:5], -1
                                        ; implicit-def: $sgpr10
	s_and_saveexec_b64 s[8:9], s[12:13]
; %bb.2186:
	s_mov_b32 s10, 0x7f800001
	s_xor_b64 s[4:5], exec, -1
; %bb.2187:
	s_or_b64 exec, exec, s[8:9]
	s_and_b64 s[4:5], s[4:5], exec
	s_or_saveexec_b64 s[6:7], s[6:7]
	v_mov_b32_e32 v10, s10
	s_xor_b64 exec, exec, s[6:7]
	s_cbranch_execz .LBB51_138
.LBB51_2188:
	v_mov_b32_e32 v10, 0
	v_cmp_ne_u16_sdwa s[8:9], v11, v10 src0_sel:BYTE_0 src1_sel:DWORD
	s_andn2_b64 s[4:5], s[4:5], exec
	s_and_b64 s[8:9], s[8:9], exec
	s_or_b64 s[4:5], s[4:5], s[8:9]
	s_or_b64 exec, exec, s[6:7]
	s_and_saveexec_b64 s[6:7], s[4:5]
	s_cbranch_execnz .LBB51_139
	s_branch .LBB51_140
.LBB51_2189:
	s_movk_i32 s4, 0x80
	v_cmp_eq_u16_sdwa s[12:13], v11, s4 src0_sel:BYTE_0 src1_sel:DWORD
	s_mov_b64 s[4:5], -1
                                        ; implicit-def: $sgpr10
	s_and_saveexec_b64 s[8:9], s[12:13]
; %bb.2190:
	s_mov_b32 s10, 0x7f800001
	s_xor_b64 s[4:5], exec, -1
; %bb.2191:
	s_or_b64 exec, exec, s[8:9]
	s_and_b64 s[4:5], s[4:5], exec
	s_or_saveexec_b64 s[6:7], s[6:7]
	v_mov_b32_e32 v12, s10
	s_xor_b64 exec, exec, s[6:7]
	s_cbranch_execz .LBB51_142
.LBB51_2192:
	v_mov_b32_e32 v12, 0
	v_cmp_ne_u16_sdwa s[8:9], v11, v12 src0_sel:BYTE_0 src1_sel:DWORD
	s_andn2_b64 s[4:5], s[4:5], exec
	s_and_b64 s[8:9], s[8:9], exec
	s_or_b64 s[4:5], s[4:5], s[8:9]
	s_or_b64 exec, exec, s[6:7]
	s_and_saveexec_b64 s[6:7], s[4:5]
	s_cbranch_execnz .LBB51_143
	s_branch .LBB51_144
.LBB51_2193:
	s_movk_i32 s4, 0x80
	v_cmp_eq_u16_e32 vcc, s4, v11
	s_mov_b64 s[4:5], -1
                                        ; implicit-def: $sgpr10
	s_and_saveexec_b64 s[8:9], vcc
; %bb.2194:
	s_mov_b32 s10, 0x7f800001
	s_xor_b64 s[4:5], exec, -1
; %bb.2195:
	s_or_b64 exec, exec, s[8:9]
	s_and_b64 s[4:5], s[4:5], exec
                                        ; implicit-def: $vgpr11
	s_or_saveexec_b64 s[6:7], s[6:7]
	v_mov_b32_e32 v10, s10
	s_xor_b64 exec, exec, s[6:7]
	s_cbranch_execz .LBB51_146
.LBB51_2196:
	v_cmp_ne_u16_e32 vcc, 0, v11
	s_andn2_b64 s[4:5], s[4:5], exec
	s_and_b64 s[8:9], vcc, exec
	v_mov_b32_e32 v10, 0
	s_or_b64 s[4:5], s[4:5], s[8:9]
	s_or_b64 exec, exec, s[6:7]
	s_and_saveexec_b64 s[6:7], s[4:5]
	s_cbranch_execnz .LBB51_147
	s_branch .LBB51_148
.LBB51_2197:
	s_movk_i32 s4, 0x80
	v_cmp_eq_u16_e32 vcc, s4, v11
	s_mov_b64 s[4:5], -1
                                        ; implicit-def: $sgpr10
	s_and_saveexec_b64 s[8:9], vcc
; %bb.2198:
	s_mov_b32 s10, 0x7f800001
	s_xor_b64 s[4:5], exec, -1
; %bb.2199:
	s_or_b64 exec, exec, s[8:9]
	s_and_b64 s[4:5], s[4:5], exec
                                        ; implicit-def: $vgpr11
	s_or_saveexec_b64 s[6:7], s[6:7]
	v_mov_b32_e32 v12, s10
	s_xor_b64 exec, exec, s[6:7]
	s_cbranch_execz .LBB51_150
.LBB51_2200:
	v_cmp_ne_u16_e32 vcc, 0, v11
	s_andn2_b64 s[4:5], s[4:5], exec
	s_and_b64 s[8:9], vcc, exec
	v_mov_b32_e32 v12, 0
	s_or_b64 s[4:5], s[4:5], s[8:9]
	s_or_b64 exec, exec, s[6:7]
	s_and_saveexec_b64 s[6:7], s[4:5]
	s_cbranch_execnz .LBB51_151
	s_branch .LBB51_152
.LBB51_2201:
	s_movk_i32 s4, 0x80
	v_cmp_eq_u16_sdwa s[12:13], v6, s4 src0_sel:BYTE_3 src1_sel:DWORD
	s_mov_b64 s[4:5], -1
                                        ; implicit-def: $sgpr10
	s_and_saveexec_b64 s[8:9], s[12:13]
; %bb.2202:
	s_mov_b32 s10, 0x7f800001
	s_xor_b64 s[4:5], exec, -1
; %bb.2203:
	s_or_b64 exec, exec, s[8:9]
	s_and_b64 s[4:5], s[4:5], exec
	s_or_saveexec_b64 s[6:7], s[6:7]
	v_mov_b32_e32 v10, s10
	s_xor_b64 exec, exec, s[6:7]
	s_cbranch_execz .LBB51_154
.LBB51_2204:
	v_mov_b32_e32 v10, 0
	v_cmp_ne_u16_sdwa s[8:9], v6, v10 src0_sel:BYTE_3 src1_sel:DWORD
	s_andn2_b64 s[4:5], s[4:5], exec
	s_and_b64 s[8:9], s[8:9], exec
	s_or_b64 s[4:5], s[4:5], s[8:9]
	s_or_b64 exec, exec, s[6:7]
	s_and_saveexec_b64 s[6:7], s[4:5]
	s_cbranch_execnz .LBB51_155
	s_branch .LBB51_156
.LBB51_2205:
	s_movk_i32 s4, 0x80
	v_cmp_eq_u16_sdwa s[12:13], v2, s4 src0_sel:BYTE_3 src1_sel:DWORD
	s_mov_b64 s[4:5], -1
                                        ; implicit-def: $sgpr10
	s_and_saveexec_b64 s[8:9], s[12:13]
; %bb.2206:
	s_mov_b32 s10, 0x7f800001
	s_xor_b64 s[4:5], exec, -1
; %bb.2207:
	s_or_b64 exec, exec, s[8:9]
	s_and_b64 s[4:5], s[4:5], exec
	s_or_saveexec_b64 s[6:7], s[6:7]
	v_mov_b32_e32 v6, s10
	s_xor_b64 exec, exec, s[6:7]
	s_cbranch_execz .LBB51_158
.LBB51_2208:
	v_mov_b32_e32 v6, 0
	v_cmp_ne_u16_sdwa s[8:9], v2, v6 src0_sel:BYTE_3 src1_sel:DWORD
	s_andn2_b64 s[4:5], s[4:5], exec
	s_and_b64 s[8:9], s[8:9], exec
	s_or_b64 s[4:5], s[4:5], s[8:9]
	s_or_b64 exec, exec, s[6:7]
	s_and_saveexec_b64 s[6:7], s[4:5]
	s_cbranch_execnz .LBB51_159
	s_branch .LBB51_160
.LBB51_2209:
	s_movk_i32 s4, 0x80
	v_cmp_eq_u16_sdwa s[12:13], v7, s4 src0_sel:BYTE_0 src1_sel:DWORD
	s_mov_b64 s[4:5], -1
                                        ; implicit-def: $sgpr10
	s_and_saveexec_b64 s[8:9], s[12:13]
; %bb.2210:
	s_mov_b32 s10, 0x7f800001
	s_xor_b64 s[4:5], exec, -1
; %bb.2211:
	s_or_b64 exec, exec, s[8:9]
	s_and_b64 s[4:5], s[4:5], exec
	s_or_saveexec_b64 s[6:7], s[6:7]
	v_mov_b32_e32 v2, s10
	s_xor_b64 exec, exec, s[6:7]
	s_cbranch_execz .LBB51_162
.LBB51_2212:
	v_mov_b32_e32 v2, 0
	v_cmp_ne_u16_sdwa s[8:9], v7, v2 src0_sel:BYTE_0 src1_sel:DWORD
	s_andn2_b64 s[4:5], s[4:5], exec
	s_and_b64 s[8:9], s[8:9], exec
	s_or_b64 s[4:5], s[4:5], s[8:9]
	s_or_b64 exec, exec, s[6:7]
	s_and_saveexec_b64 s[6:7], s[4:5]
	s_cbranch_execnz .LBB51_163
	s_branch .LBB51_164
.LBB51_2213:
	s_movk_i32 s4, 0x80
	v_cmp_eq_u16_sdwa s[12:13], v3, s4 src0_sel:BYTE_0 src1_sel:DWORD
	s_mov_b64 s[4:5], -1
                                        ; implicit-def: $sgpr10
	s_and_saveexec_b64 s[8:9], s[12:13]
; %bb.2214:
	s_mov_b32 s10, 0x7f800001
	s_xor_b64 s[4:5], exec, -1
; %bb.2215:
	s_or_b64 exec, exec, s[8:9]
	s_and_b64 s[4:5], s[4:5], exec
	s_or_saveexec_b64 s[6:7], s[6:7]
	v_mov_b32_e32 v6, s10
	s_xor_b64 exec, exec, s[6:7]
	s_cbranch_execz .LBB51_166
.LBB51_2216:
	v_mov_b32_e32 v6, 0
	v_cmp_ne_u16_sdwa s[8:9], v3, v6 src0_sel:BYTE_0 src1_sel:DWORD
	s_andn2_b64 s[4:5], s[4:5], exec
	s_and_b64 s[8:9], s[8:9], exec
	s_or_b64 s[4:5], s[4:5], s[8:9]
	s_or_b64 exec, exec, s[6:7]
	s_and_saveexec_b64 s[6:7], s[4:5]
	s_cbranch_execnz .LBB51_167
	s_branch .LBB51_168
.LBB51_2217:
	s_movk_i32 s4, 0x80
	v_cmp_eq_u16_sdwa s[12:13], v6, s4 src0_sel:BYTE_0 src1_sel:DWORD
	s_mov_b64 s[4:5], -1
                                        ; implicit-def: $sgpr10
	s_and_saveexec_b64 s[8:9], s[12:13]
; %bb.2218:
	s_mov_b32 s10, 0x7f800001
	s_xor_b64 s[4:5], exec, -1
; %bb.2219:
	s_or_b64 exec, exec, s[8:9]
	s_and_b64 s[4:5], s[4:5], exec
	s_or_saveexec_b64 s[6:7], s[6:7]
	v_mov_b32_e32 v2, s10
	s_xor_b64 exec, exec, s[6:7]
	s_cbranch_execz .LBB51_170
.LBB51_2220:
	v_mov_b32_e32 v2, 0
	v_cmp_ne_u16_sdwa s[8:9], v6, v2 src0_sel:BYTE_0 src1_sel:DWORD
	s_andn2_b64 s[4:5], s[4:5], exec
	s_and_b64 s[8:9], s[8:9], exec
	s_or_b64 s[4:5], s[4:5], s[8:9]
	s_or_b64 exec, exec, s[6:7]
	s_and_saveexec_b64 s[6:7], s[4:5]
	s_cbranch_execnz .LBB51_171
	s_branch .LBB51_172
.LBB51_2221:
	s_movk_i32 s4, 0x80
	v_cmp_eq_u16_sdwa s[12:13], v6, s4 src0_sel:BYTE_0 src1_sel:DWORD
	s_mov_b64 s[4:5], -1
                                        ; implicit-def: $sgpr10
	s_and_saveexec_b64 s[8:9], s[12:13]
; %bb.2222:
	s_mov_b32 s10, 0x7f800001
	s_xor_b64 s[4:5], exec, -1
; %bb.2223:
	s_or_b64 exec, exec, s[8:9]
	s_and_b64 s[4:5], s[4:5], exec
	s_or_saveexec_b64 s[6:7], s[6:7]
	v_mov_b32_e32 v10, s10
	s_xor_b64 exec, exec, s[6:7]
	s_cbranch_execz .LBB51_174
.LBB51_2224:
	v_mov_b32_e32 v10, 0
	v_cmp_ne_u16_sdwa s[8:9], v6, v10 src0_sel:BYTE_0 src1_sel:DWORD
	s_andn2_b64 s[4:5], s[4:5], exec
	s_and_b64 s[8:9], s[8:9], exec
	s_or_b64 s[4:5], s[4:5], s[8:9]
	s_or_b64 exec, exec, s[6:7]
	s_and_saveexec_b64 s[6:7], s[4:5]
	s_cbranch_execnz .LBB51_175
	s_branch .LBB51_176
.LBB51_2225:
	s_movk_i32 s4, 0x80
	v_cmp_eq_u16_e32 vcc, s4, v6
	s_mov_b64 s[4:5], -1
                                        ; implicit-def: $sgpr10
	s_and_saveexec_b64 s[8:9], vcc
; %bb.2226:
	s_mov_b32 s10, 0x7f800001
	s_xor_b64 s[4:5], exec, -1
; %bb.2227:
	s_or_b64 exec, exec, s[8:9]
	s_and_b64 s[4:5], s[4:5], exec
                                        ; implicit-def: $vgpr6
	s_or_saveexec_b64 s[6:7], s[6:7]
	v_mov_b32_e32 v2, s10
	s_xor_b64 exec, exec, s[6:7]
	s_cbranch_execz .LBB51_178
.LBB51_2228:
	v_cmp_ne_u16_e32 vcc, 0, v6
	s_andn2_b64 s[4:5], s[4:5], exec
	s_and_b64 s[8:9], vcc, exec
	v_mov_b32_e32 v2, 0
	s_or_b64 s[4:5], s[4:5], s[8:9]
	s_or_b64 exec, exec, s[6:7]
	s_and_saveexec_b64 s[6:7], s[4:5]
	s_cbranch_execnz .LBB51_179
	s_branch .LBB51_180
.LBB51_2229:
	s_movk_i32 s4, 0x80
	v_cmp_eq_u16_e32 vcc, s4, v6
	s_mov_b64 s[4:5], -1
                                        ; implicit-def: $sgpr10
	s_and_saveexec_b64 s[8:9], vcc
; %bb.2230:
	s_mov_b32 s10, 0x7f800001
	s_xor_b64 s[4:5], exec, -1
; %bb.2231:
	s_or_b64 exec, exec, s[8:9]
	s_and_b64 s[4:5], s[4:5], exec
                                        ; implicit-def: $vgpr6
	s_or_saveexec_b64 s[6:7], s[6:7]
	v_mov_b32_e32 v10, s10
	s_xor_b64 exec, exec, s[6:7]
	s_cbranch_execz .LBB51_182
.LBB51_2232:
	v_cmp_ne_u16_e32 vcc, 0, v6
	s_andn2_b64 s[4:5], s[4:5], exec
	s_and_b64 s[8:9], vcc, exec
	v_mov_b32_e32 v10, 0
	s_or_b64 s[4:5], s[4:5], s[8:9]
	s_or_b64 exec, exec, s[6:7]
	s_and_saveexec_b64 s[6:7], s[4:5]
	s_cbranch_execnz .LBB51_183
	s_branch .LBB51_184
.LBB51_2233:
	s_movk_i32 s4, 0x80
	v_cmp_eq_u16_sdwa s[12:13], v7, s4 src0_sel:BYTE_3 src1_sel:DWORD
	s_mov_b64 s[4:5], -1
                                        ; implicit-def: $sgpr10
	s_and_saveexec_b64 s[8:9], s[12:13]
; %bb.2234:
	s_mov_b32 s10, 0x7f800001
	s_xor_b64 s[4:5], exec, -1
; %bb.2235:
	s_or_b64 exec, exec, s[8:9]
	s_and_b64 s[4:5], s[4:5], exec
	s_or_saveexec_b64 s[6:7], s[6:7]
	v_mov_b32_e32 v2, s10
	s_xor_b64 exec, exec, s[6:7]
	s_cbranch_execz .LBB51_186
.LBB51_2236:
	v_mov_b32_e32 v2, 0
	v_cmp_ne_u16_sdwa s[8:9], v7, v2 src0_sel:BYTE_3 src1_sel:DWORD
	s_andn2_b64 s[4:5], s[4:5], exec
	s_and_b64 s[8:9], s[8:9], exec
	s_or_b64 s[4:5], s[4:5], s[8:9]
	s_or_b64 exec, exec, s[6:7]
	s_and_saveexec_b64 s[6:7], s[4:5]
	s_cbranch_execnz .LBB51_187
	s_branch .LBB51_188
.LBB51_2237:
	s_movk_i32 s4, 0x80
	v_cmp_eq_u16_sdwa s[12:13], v3, s4 src0_sel:BYTE_3 src1_sel:DWORD
	s_mov_b64 s[4:5], -1
                                        ; implicit-def: $sgpr10
	s_and_saveexec_b64 s[8:9], s[12:13]
; %bb.2238:
	s_mov_b32 s10, 0x7f800001
	s_xor_b64 s[4:5], exec, -1
; %bb.2239:
	s_or_b64 exec, exec, s[8:9]
	s_and_b64 s[4:5], s[4:5], exec
	s_or_saveexec_b64 s[6:7], s[6:7]
	v_mov_b32_e32 v6, s10
	s_xor_b64 exec, exec, s[6:7]
	s_cbranch_execz .LBB51_190
.LBB51_2240:
	v_mov_b32_e32 v6, 0
	v_cmp_ne_u16_sdwa s[8:9], v3, v6 src0_sel:BYTE_3 src1_sel:DWORD
	s_andn2_b64 s[4:5], s[4:5], exec
	s_and_b64 s[8:9], s[8:9], exec
	s_or_b64 s[4:5], s[4:5], s[8:9]
	s_or_b64 exec, exec, s[6:7]
	s_and_saveexec_b64 s[6:7], s[4:5]
	s_cbranch_execnz .LBB51_191
	s_branch .LBB51_192
.LBB51_2241:
	s_movk_i32 s4, 0x80
	v_cmp_eq_u16_sdwa s[12:13], v8, s4 src0_sel:BYTE_0 src1_sel:DWORD
	s_mov_b64 s[4:5], -1
                                        ; implicit-def: $sgpr10
	s_and_saveexec_b64 s[8:9], s[12:13]
; %bb.2242:
	s_mov_b32 s10, 0x7f800001
	s_xor_b64 s[4:5], exec, -1
; %bb.2243:
	s_or_b64 exec, exec, s[8:9]
	s_and_b64 s[4:5], s[4:5], exec
	s_or_saveexec_b64 s[6:7], s[6:7]
	v_mov_b32_e32 v2, s10
	s_xor_b64 exec, exec, s[6:7]
	s_cbranch_execz .LBB51_194
.LBB51_2244:
	v_mov_b32_e32 v2, 0
	v_cmp_ne_u16_sdwa s[8:9], v8, v2 src0_sel:BYTE_0 src1_sel:DWORD
	s_andn2_b64 s[4:5], s[4:5], exec
	s_and_b64 s[8:9], s[8:9], exec
	s_or_b64 s[4:5], s[4:5], s[8:9]
	s_or_b64 exec, exec, s[6:7]
	s_and_saveexec_b64 s[6:7], s[4:5]
	s_cbranch_execnz .LBB51_195
	s_branch .LBB51_196
.LBB51_2245:
	s_movk_i32 s4, 0x80
	v_cmp_eq_u16_sdwa s[12:13], v4, s4 src0_sel:BYTE_0 src1_sel:DWORD
	s_mov_b64 s[4:5], -1
                                        ; implicit-def: $sgpr10
	s_and_saveexec_b64 s[8:9], s[12:13]
; %bb.2246:
	s_mov_b32 s10, 0x7f800001
	s_xor_b64 s[4:5], exec, -1
; %bb.2247:
	s_or_b64 exec, exec, s[8:9]
	s_and_b64 s[4:5], s[4:5], exec
	s_or_saveexec_b64 s[6:7], s[6:7]
	v_mov_b32_e32 v3, s10
	s_xor_b64 exec, exec, s[6:7]
	s_cbranch_execz .LBB51_198
.LBB51_2248:
	v_mov_b32_e32 v3, 0
	v_cmp_ne_u16_sdwa s[8:9], v4, v3 src0_sel:BYTE_0 src1_sel:DWORD
	s_andn2_b64 s[4:5], s[4:5], exec
	s_and_b64 s[8:9], s[8:9], exec
	s_or_b64 s[4:5], s[4:5], s[8:9]
	s_or_b64 exec, exec, s[6:7]
	s_and_saveexec_b64 s[6:7], s[4:5]
	s_cbranch_execnz .LBB51_199
	s_branch .LBB51_200
.LBB51_2249:
	s_movk_i32 s4, 0x80
	v_cmp_eq_u16_sdwa s[12:13], v3, s4 src0_sel:BYTE_0 src1_sel:DWORD
	s_mov_b64 s[4:5], -1
                                        ; implicit-def: $sgpr10
	s_and_saveexec_b64 s[8:9], s[12:13]
; %bb.2250:
	s_mov_b32 s10, 0x7f800001
	s_xor_b64 s[4:5], exec, -1
; %bb.2251:
	s_or_b64 exec, exec, s[8:9]
	s_and_b64 s[4:5], s[4:5], exec
	s_or_saveexec_b64 s[6:7], s[6:7]
	v_mov_b32_e32 v2, s10
	s_xor_b64 exec, exec, s[6:7]
	s_cbranch_execz .LBB51_202
.LBB51_2252:
	v_mov_b32_e32 v2, 0
	v_cmp_ne_u16_sdwa s[8:9], v3, v2 src0_sel:BYTE_0 src1_sel:DWORD
	s_andn2_b64 s[4:5], s[4:5], exec
	s_and_b64 s[8:9], s[8:9], exec
	s_or_b64 s[4:5], s[4:5], s[8:9]
	s_or_b64 exec, exec, s[6:7]
	s_and_saveexec_b64 s[6:7], s[4:5]
	s_cbranch_execnz .LBB51_203
	s_branch .LBB51_204
.LBB51_2253:
	s_movk_i32 s4, 0x80
	v_cmp_eq_u16_sdwa s[12:13], v3, s4 src0_sel:BYTE_0 src1_sel:DWORD
	s_mov_b64 s[4:5], -1
                                        ; implicit-def: $sgpr10
	s_and_saveexec_b64 s[8:9], s[12:13]
; %bb.2254:
	s_mov_b32 s10, 0x7f800001
	s_xor_b64 s[4:5], exec, -1
; %bb.2255:
	s_or_b64 exec, exec, s[8:9]
	s_and_b64 s[4:5], s[4:5], exec
	s_or_saveexec_b64 s[6:7], s[6:7]
	v_mov_b32_e32 v6, s10
	s_xor_b64 exec, exec, s[6:7]
	s_cbranch_execz .LBB51_206
.LBB51_2256:
	v_mov_b32_e32 v6, 0
	v_cmp_ne_u16_sdwa s[8:9], v3, v6 src0_sel:BYTE_0 src1_sel:DWORD
	s_andn2_b64 s[4:5], s[4:5], exec
	s_and_b64 s[8:9], s[8:9], exec
	s_or_b64 s[4:5], s[4:5], s[8:9]
	s_or_b64 exec, exec, s[6:7]
	s_and_saveexec_b64 s[6:7], s[4:5]
	s_cbranch_execnz .LBB51_207
	s_branch .LBB51_208
.LBB51_2257:
	s_movk_i32 s4, 0x80
	v_cmp_eq_u16_e32 vcc, s4, v3
	s_mov_b64 s[4:5], -1
                                        ; implicit-def: $sgpr10
	s_and_saveexec_b64 s[8:9], vcc
; %bb.2258:
	s_mov_b32 s10, 0x7f800001
	s_xor_b64 s[4:5], exec, -1
; %bb.2259:
	s_or_b64 exec, exec, s[8:9]
	s_and_b64 s[4:5], s[4:5], exec
                                        ; implicit-def: $vgpr3
	s_or_saveexec_b64 s[6:7], s[6:7]
	v_mov_b32_e32 v2, s10
	s_xor_b64 exec, exec, s[6:7]
	s_cbranch_execz .LBB51_210
.LBB51_2260:
	v_cmp_ne_u16_e32 vcc, 0, v3
	s_andn2_b64 s[4:5], s[4:5], exec
	s_and_b64 s[8:9], vcc, exec
	v_mov_b32_e32 v2, 0
	s_or_b64 s[4:5], s[4:5], s[8:9]
	s_or_b64 exec, exec, s[6:7]
	s_and_saveexec_b64 s[6:7], s[4:5]
	s_cbranch_execnz .LBB51_211
	s_branch .LBB51_212
.LBB51_2261:
	s_movk_i32 s4, 0x80
	v_cmp_eq_u16_e32 vcc, s4, v3
	s_mov_b64 s[4:5], -1
                                        ; implicit-def: $sgpr10
	s_and_saveexec_b64 s[8:9], vcc
; %bb.2262:
	s_mov_b32 s10, 0x7f800001
	s_xor_b64 s[4:5], exec, -1
; %bb.2263:
	s_or_b64 exec, exec, s[8:9]
	s_and_b64 s[4:5], s[4:5], exec
                                        ; implicit-def: $vgpr3
	s_or_saveexec_b64 s[6:7], s[6:7]
	v_mov_b32_e32 v6, s10
	s_xor_b64 exec, exec, s[6:7]
	s_cbranch_execz .LBB51_214
.LBB51_2264:
	v_cmp_ne_u16_e32 vcc, 0, v3
	s_andn2_b64 s[4:5], s[4:5], exec
	s_and_b64 s[8:9], vcc, exec
	v_mov_b32_e32 v6, 0
	s_or_b64 s[4:5], s[4:5], s[8:9]
	s_or_b64 exec, exec, s[6:7]
	s_and_saveexec_b64 s[6:7], s[4:5]
	s_cbranch_execnz .LBB51_215
	s_branch .LBB51_216
.LBB51_2265:
	s_movk_i32 s4, 0x80
	v_cmp_eq_u16_sdwa s[12:13], v8, s4 src0_sel:BYTE_3 src1_sel:DWORD
	s_mov_b64 s[4:5], -1
                                        ; implicit-def: $sgpr10
	s_and_saveexec_b64 s[8:9], s[12:13]
; %bb.2266:
	s_mov_b32 s10, 0x7f800001
	s_xor_b64 s[4:5], exec, -1
; %bb.2267:
	s_or_b64 exec, exec, s[8:9]
	s_and_b64 s[4:5], s[4:5], exec
	s_or_saveexec_b64 s[6:7], s[6:7]
	v_mov_b32_e32 v2, s10
	s_xor_b64 exec, exec, s[6:7]
	s_cbranch_execz .LBB51_218
.LBB51_2268:
	v_mov_b32_e32 v2, 0
	v_cmp_ne_u16_sdwa s[8:9], v8, v2 src0_sel:BYTE_3 src1_sel:DWORD
	s_andn2_b64 s[4:5], s[4:5], exec
	s_and_b64 s[8:9], s[8:9], exec
	s_or_b64 s[4:5], s[4:5], s[8:9]
	s_or_b64 exec, exec, s[6:7]
	s_and_saveexec_b64 s[6:7], s[4:5]
	s_cbranch_execnz .LBB51_219
	s_branch .LBB51_220
.LBB51_2269:
	s_movk_i32 s4, 0x80
	v_cmp_eq_u16_sdwa s[12:13], v4, s4 src0_sel:BYTE_3 src1_sel:DWORD
	s_mov_b64 s[4:5], -1
                                        ; implicit-def: $sgpr10
	s_and_saveexec_b64 s[8:9], s[12:13]
; %bb.2270:
	s_mov_b32 s10, 0x7f800001
	s_xor_b64 s[4:5], exec, -1
; %bb.2271:
	s_or_b64 exec, exec, s[8:9]
	s_and_b64 s[4:5], s[4:5], exec
	s_or_saveexec_b64 s[6:7], s[6:7]
	v_mov_b32_e32 v3, s10
	s_xor_b64 exec, exec, s[6:7]
	s_cbranch_execz .LBB51_222
.LBB51_2272:
	v_mov_b32_e32 v3, 0
	v_cmp_ne_u16_sdwa s[8:9], v4, v3 src0_sel:BYTE_3 src1_sel:DWORD
	s_andn2_b64 s[4:5], s[4:5], exec
	s_and_b64 s[8:9], s[8:9], exec
	s_or_b64 s[4:5], s[4:5], s[8:9]
	s_or_b64 exec, exec, s[6:7]
	s_and_saveexec_b64 s[6:7], s[4:5]
	s_cbranch_execnz .LBB51_223
	s_branch .LBB51_224
.LBB51_2273:
	s_movk_i32 s4, 0x80
	v_cmp_eq_u16_sdwa s[12:13], v9, s4 src0_sel:BYTE_0 src1_sel:DWORD
	s_mov_b64 s[4:5], -1
                                        ; implicit-def: $sgpr10
	s_and_saveexec_b64 s[8:9], s[12:13]
; %bb.2274:
	s_mov_b32 s10, 0x7f800001
	s_xor_b64 s[4:5], exec, -1
; %bb.2275:
	s_or_b64 exec, exec, s[8:9]
	s_and_b64 s[4:5], s[4:5], exec
	s_or_saveexec_b64 s[6:7], s[6:7]
	v_mov_b32_e32 v2, s10
	s_xor_b64 exec, exec, s[6:7]
	s_cbranch_execz .LBB51_226
.LBB51_2276:
	v_mov_b32_e32 v2, 0
	v_cmp_ne_u16_sdwa s[8:9], v9, v2 src0_sel:BYTE_0 src1_sel:DWORD
	s_andn2_b64 s[4:5], s[4:5], exec
	s_and_b64 s[8:9], s[8:9], exec
	s_or_b64 s[4:5], s[4:5], s[8:9]
	s_or_b64 exec, exec, s[6:7]
	s_and_saveexec_b64 s[6:7], s[4:5]
	s_cbranch_execnz .LBB51_227
	s_branch .LBB51_228
.LBB51_2277:
	s_movk_i32 s4, 0x80
	v_cmp_eq_u16_sdwa s[12:13], v5, s4 src0_sel:BYTE_0 src1_sel:DWORD
	s_mov_b64 s[4:5], -1
                                        ; implicit-def: $sgpr10
	s_and_saveexec_b64 s[8:9], s[12:13]
; %bb.2278:
	s_mov_b32 s10, 0x7f800001
	s_xor_b64 s[4:5], exec, -1
; %bb.2279:
	s_or_b64 exec, exec, s[8:9]
	s_and_b64 s[4:5], s[4:5], exec
	s_or_saveexec_b64 s[6:7], s[6:7]
	v_mov_b32_e32 v3, s10
	s_xor_b64 exec, exec, s[6:7]
	s_cbranch_execz .LBB51_230
.LBB51_2280:
	v_mov_b32_e32 v3, 0
	v_cmp_ne_u16_sdwa s[8:9], v5, v3 src0_sel:BYTE_0 src1_sel:DWORD
	s_andn2_b64 s[4:5], s[4:5], exec
	s_and_b64 s[8:9], s[8:9], exec
	s_or_b64 s[4:5], s[4:5], s[8:9]
	s_or_b64 exec, exec, s[6:7]
	s_and_saveexec_b64 s[6:7], s[4:5]
	s_cbranch_execnz .LBB51_231
	s_branch .LBB51_232
.LBB51_2281:
	s_movk_i32 s4, 0x80
	v_cmp_eq_u16_sdwa s[12:13], v3, s4 src0_sel:BYTE_0 src1_sel:DWORD
	s_mov_b64 s[4:5], -1
                                        ; implicit-def: $sgpr10
	s_and_saveexec_b64 s[8:9], s[12:13]
; %bb.2282:
	s_mov_b32 s10, 0x7f800001
	s_xor_b64 s[4:5], exec, -1
; %bb.2283:
	s_or_b64 exec, exec, s[8:9]
	s_and_b64 s[4:5], s[4:5], exec
	s_or_saveexec_b64 s[6:7], s[6:7]
	v_mov_b32_e32 v2, s10
	s_xor_b64 exec, exec, s[6:7]
	s_cbranch_execz .LBB51_234
.LBB51_2284:
	v_mov_b32_e32 v2, 0
	v_cmp_ne_u16_sdwa s[8:9], v3, v2 src0_sel:BYTE_0 src1_sel:DWORD
	s_andn2_b64 s[4:5], s[4:5], exec
	s_and_b64 s[8:9], s[8:9], exec
	s_or_b64 s[4:5], s[4:5], s[8:9]
	s_or_b64 exec, exec, s[6:7]
	s_and_saveexec_b64 s[6:7], s[4:5]
	s_cbranch_execnz .LBB51_235
	s_branch .LBB51_236
.LBB51_2285:
	s_movk_i32 s4, 0x80
	v_cmp_eq_u16_sdwa s[12:13], v3, s4 src0_sel:BYTE_0 src1_sel:DWORD
	s_mov_b64 s[4:5], -1
                                        ; implicit-def: $sgpr10
	s_and_saveexec_b64 s[8:9], s[12:13]
; %bb.2286:
	s_mov_b32 s10, 0x7f800001
	s_xor_b64 s[4:5], exec, -1
; %bb.2287:
	s_or_b64 exec, exec, s[8:9]
	s_and_b64 s[4:5], s[4:5], exec
	s_or_saveexec_b64 s[6:7], s[6:7]
	v_mov_b32_e32 v4, s10
	s_xor_b64 exec, exec, s[6:7]
	s_cbranch_execz .LBB51_238
.LBB51_2288:
	v_mov_b32_e32 v4, 0
	v_cmp_ne_u16_sdwa s[8:9], v3, v4 src0_sel:BYTE_0 src1_sel:DWORD
	s_andn2_b64 s[4:5], s[4:5], exec
	s_and_b64 s[8:9], s[8:9], exec
	s_or_b64 s[4:5], s[4:5], s[8:9]
	s_or_b64 exec, exec, s[6:7]
	s_and_saveexec_b64 s[6:7], s[4:5]
	s_cbranch_execnz .LBB51_239
	s_branch .LBB51_240
.LBB51_2289:
	s_movk_i32 s4, 0x80
	v_cmp_eq_u16_e32 vcc, s4, v3
	s_mov_b64 s[4:5], -1
                                        ; implicit-def: $sgpr10
	s_and_saveexec_b64 s[8:9], vcc
; %bb.2290:
	s_mov_b32 s10, 0x7f800001
	s_xor_b64 s[4:5], exec, -1
; %bb.2291:
	s_or_b64 exec, exec, s[8:9]
	s_and_b64 s[4:5], s[4:5], exec
                                        ; implicit-def: $vgpr3
	s_or_saveexec_b64 s[6:7], s[6:7]
	v_mov_b32_e32 v2, s10
	s_xor_b64 exec, exec, s[6:7]
	s_cbranch_execz .LBB51_242
.LBB51_2292:
	v_cmp_ne_u16_e32 vcc, 0, v3
	s_andn2_b64 s[4:5], s[4:5], exec
	s_and_b64 s[8:9], vcc, exec
	v_mov_b32_e32 v2, 0
	s_or_b64 s[4:5], s[4:5], s[8:9]
	s_or_b64 exec, exec, s[6:7]
	s_and_saveexec_b64 s[6:7], s[4:5]
	s_cbranch_execnz .LBB51_243
	s_branch .LBB51_244
.LBB51_2293:
	s_movk_i32 s4, 0x80
	v_cmp_eq_u16_e32 vcc, s4, v3
	s_mov_b64 s[4:5], -1
                                        ; implicit-def: $sgpr10
	s_and_saveexec_b64 s[8:9], vcc
; %bb.2294:
	s_mov_b32 s10, 0x7f800001
	s_xor_b64 s[4:5], exec, -1
; %bb.2295:
	s_or_b64 exec, exec, s[8:9]
	s_and_b64 s[4:5], s[4:5], exec
                                        ; implicit-def: $vgpr3
	s_or_saveexec_b64 s[6:7], s[6:7]
	v_mov_b32_e32 v4, s10
	s_xor_b64 exec, exec, s[6:7]
	s_cbranch_execz .LBB51_246
.LBB51_2296:
	v_cmp_ne_u16_e32 vcc, 0, v3
	s_andn2_b64 s[4:5], s[4:5], exec
	s_and_b64 s[8:9], vcc, exec
	v_mov_b32_e32 v4, 0
	s_or_b64 s[4:5], s[4:5], s[8:9]
	s_or_b64 exec, exec, s[6:7]
	s_and_saveexec_b64 s[6:7], s[4:5]
	s_cbranch_execnz .LBB51_247
	s_branch .LBB51_248
.LBB51_2297:
	s_movk_i32 s4, 0x80
	v_cmp_eq_u16_sdwa s[12:13], v9, s4 src0_sel:BYTE_3 src1_sel:DWORD
	s_mov_b64 s[4:5], -1
                                        ; implicit-def: $sgpr10
	s_and_saveexec_b64 s[8:9], s[12:13]
; %bb.2298:
	s_mov_b32 s10, 0x7f800001
	s_xor_b64 s[4:5], exec, -1
; %bb.2299:
	s_or_b64 exec, exec, s[8:9]
	s_and_b64 s[4:5], s[4:5], exec
	s_or_saveexec_b64 s[6:7], s[6:7]
	v_mov_b32_e32 v2, s10
	s_xor_b64 exec, exec, s[6:7]
	s_cbranch_execz .LBB51_250
.LBB51_2300:
	v_mov_b32_e32 v2, 0
	v_cmp_ne_u16_sdwa s[8:9], v9, v2 src0_sel:BYTE_3 src1_sel:DWORD
	s_andn2_b64 s[4:5], s[4:5], exec
	s_and_b64 s[8:9], s[8:9], exec
	s_or_b64 s[4:5], s[4:5], s[8:9]
	s_or_b64 exec, exec, s[6:7]
	s_and_saveexec_b64 s[6:7], s[4:5]
	s_cbranch_execnz .LBB51_251
	s_branch .LBB51_252
.LBB51_2301:
	s_movk_i32 s4, 0x80
	v_cmp_eq_u16_sdwa s[12:13], v5, s4 src0_sel:BYTE_3 src1_sel:DWORD
	s_mov_b64 s[4:5], -1
                                        ; implicit-def: $sgpr10
	s_and_saveexec_b64 s[8:9], s[12:13]
; %bb.2302:
	s_mov_b32 s10, 0x7f800001
	s_xor_b64 s[4:5], exec, -1
; %bb.2303:
	s_or_b64 exec, exec, s[8:9]
	s_and_b64 s[4:5], s[4:5], exec
	s_or_saveexec_b64 s[6:7], s[6:7]
	v_mov_b32_e32 v3, s10
	s_xor_b64 exec, exec, s[6:7]
	s_cbranch_execz .LBB51_254
.LBB51_2304:
	v_mov_b32_e32 v3, 0
	v_cmp_ne_u16_sdwa s[8:9], v5, v3 src0_sel:BYTE_3 src1_sel:DWORD
	s_andn2_b64 s[4:5], s[4:5], exec
	s_and_b64 s[8:9], s[8:9], exec
	s_or_b64 s[4:5], s[4:5], s[8:9]
	s_or_b64 exec, exec, s[6:7]
	s_and_saveexec_b64 s[6:7], s[4:5]
	s_cbranch_execnz .LBB51_255
	s_branch .LBB51_256
.LBB51_2305:
	s_movk_i32 s4, 0x80
	v_cmp_eq_u16_sdwa s[12:13], v14, s4 src0_sel:BYTE_0 src1_sel:DWORD
	s_mov_b64 s[4:5], -1
                                        ; implicit-def: $sgpr10
	s_and_saveexec_b64 s[8:9], s[12:13]
; %bb.2306:
	s_mov_b32 s10, 0x7f800001
	s_xor_b64 s[4:5], exec, -1
; %bb.2307:
	s_or_b64 exec, exec, s[8:9]
	s_and_b64 s[4:5], s[4:5], exec
	s_or_saveexec_b64 s[6:7], s[6:7]
	v_mov_b32_e32 v20, s10
	s_xor_b64 exec, exec, s[6:7]
	s_cbranch_execz .LBB51_258
.LBB51_2308:
	v_mov_b32_e32 v20, 0
	v_cmp_ne_u16_sdwa s[8:9], v14, v20 src0_sel:BYTE_0 src1_sel:DWORD
	s_andn2_b64 s[4:5], s[4:5], exec
	s_and_b64 s[8:9], s[8:9], exec
	s_or_b64 s[4:5], s[4:5], s[8:9]
	s_or_b64 exec, exec, s[6:7]
	s_and_saveexec_b64 s[6:7], s[4:5]
	s_cbranch_execnz .LBB51_259
	s_branch .LBB51_260
.LBB51_2309:
	s_movk_i32 s4, 0x80
	v_cmp_eq_u16_sdwa s[12:13], v10, s4 src0_sel:BYTE_0 src1_sel:DWORD
	s_mov_b64 s[4:5], -1
                                        ; implicit-def: $sgpr10
	s_and_saveexec_b64 s[8:9], s[12:13]
; %bb.2310:
	s_mov_b32 s10, 0x7f800001
	s_xor_b64 s[4:5], exec, -1
; %bb.2311:
	s_or_b64 exec, exec, s[8:9]
	s_and_b64 s[4:5], s[4:5], exec
	s_or_saveexec_b64 s[6:7], s[6:7]
	v_mov_b32_e32 v21, s10
	s_xor_b64 exec, exec, s[6:7]
	s_cbranch_execz .LBB51_262
.LBB51_2312:
	v_mov_b32_e32 v21, 0
	v_cmp_ne_u16_sdwa s[8:9], v10, v21 src0_sel:BYTE_0 src1_sel:DWORD
	s_andn2_b64 s[4:5], s[4:5], exec
	s_and_b64 s[8:9], s[8:9], exec
	s_or_b64 s[4:5], s[4:5], s[8:9]
	s_or_b64 exec, exec, s[6:7]
	s_and_saveexec_b64 s[6:7], s[4:5]
	s_cbranch_execnz .LBB51_263
	s_branch .LBB51_264
.LBB51_2313:
	s_movk_i32 s4, 0x80
	v_cmp_eq_u16_sdwa s[12:13], v21, s4 src0_sel:BYTE_0 src1_sel:DWORD
	s_mov_b64 s[4:5], -1
                                        ; implicit-def: $sgpr10
	s_and_saveexec_b64 s[8:9], s[12:13]
; %bb.2314:
	s_mov_b32 s10, 0x7f800001
	s_xor_b64 s[4:5], exec, -1
; %bb.2315:
	s_or_b64 exec, exec, s[8:9]
	s_and_b64 s[4:5], s[4:5], exec
	s_or_saveexec_b64 s[6:7], s[6:7]
	v_mov_b32_e32 v20, s10
	s_xor_b64 exec, exec, s[6:7]
	s_cbranch_execz .LBB51_266
.LBB51_2316:
	v_mov_b32_e32 v20, 0
	v_cmp_ne_u16_sdwa s[8:9], v21, v20 src0_sel:BYTE_0 src1_sel:DWORD
	s_andn2_b64 s[4:5], s[4:5], exec
	s_and_b64 s[8:9], s[8:9], exec
	s_or_b64 s[4:5], s[4:5], s[8:9]
	s_or_b64 exec, exec, s[6:7]
	s_and_saveexec_b64 s[6:7], s[4:5]
	s_cbranch_execnz .LBB51_267
	s_branch .LBB51_268
.LBB51_2317:
	s_movk_i32 s4, 0x80
	v_cmp_eq_u16_sdwa s[12:13], v21, s4 src0_sel:BYTE_0 src1_sel:DWORD
	s_mov_b64 s[4:5], -1
                                        ; implicit-def: $sgpr10
	s_and_saveexec_b64 s[8:9], s[12:13]
; %bb.2318:
	s_mov_b32 s10, 0x7f800001
	s_xor_b64 s[4:5], exec, -1
; %bb.2319:
	s_or_b64 exec, exec, s[8:9]
	s_and_b64 s[4:5], s[4:5], exec
	s_or_saveexec_b64 s[6:7], s[6:7]
	v_mov_b32_e32 v22, s10
	s_xor_b64 exec, exec, s[6:7]
	s_cbranch_execz .LBB51_270
.LBB51_2320:
	v_mov_b32_e32 v22, 0
	v_cmp_ne_u16_sdwa s[8:9], v21, v22 src0_sel:BYTE_0 src1_sel:DWORD
	s_andn2_b64 s[4:5], s[4:5], exec
	s_and_b64 s[8:9], s[8:9], exec
	s_or_b64 s[4:5], s[4:5], s[8:9]
	s_or_b64 exec, exec, s[6:7]
	s_and_saveexec_b64 s[6:7], s[4:5]
	s_cbranch_execnz .LBB51_271
	s_branch .LBB51_272
.LBB51_2321:
	s_movk_i32 s4, 0x80
	v_cmp_eq_u16_e32 vcc, s4, v21
	s_mov_b64 s[4:5], -1
                                        ; implicit-def: $sgpr10
	s_and_saveexec_b64 s[8:9], vcc
; %bb.2322:
	s_mov_b32 s10, 0x7f800001
	s_xor_b64 s[4:5], exec, -1
; %bb.2323:
	s_or_b64 exec, exec, s[8:9]
	s_and_b64 s[4:5], s[4:5], exec
                                        ; implicit-def: $vgpr21
	s_or_saveexec_b64 s[6:7], s[6:7]
	v_mov_b32_e32 v20, s10
	s_xor_b64 exec, exec, s[6:7]
	s_cbranch_execz .LBB51_274
.LBB51_2324:
	v_cmp_ne_u16_e32 vcc, 0, v21
	s_andn2_b64 s[4:5], s[4:5], exec
	s_and_b64 s[8:9], vcc, exec
	v_mov_b32_e32 v20, 0
	s_or_b64 s[4:5], s[4:5], s[8:9]
	s_or_b64 exec, exec, s[6:7]
	s_and_saveexec_b64 s[6:7], s[4:5]
	s_cbranch_execnz .LBB51_275
	s_branch .LBB51_276
.LBB51_2325:
	s_movk_i32 s4, 0x80
	v_cmp_eq_u16_e32 vcc, s4, v21
	s_mov_b64 s[4:5], -1
                                        ; implicit-def: $sgpr10
	s_and_saveexec_b64 s[8:9], vcc
; %bb.2326:
	s_mov_b32 s10, 0x7f800001
	s_xor_b64 s[4:5], exec, -1
; %bb.2327:
	s_or_b64 exec, exec, s[8:9]
	s_and_b64 s[4:5], s[4:5], exec
                                        ; implicit-def: $vgpr21
	s_or_saveexec_b64 s[6:7], s[6:7]
	v_mov_b32_e32 v22, s10
	s_xor_b64 exec, exec, s[6:7]
	s_cbranch_execz .LBB51_278
.LBB51_2328:
	v_cmp_ne_u16_e32 vcc, 0, v21
	s_andn2_b64 s[4:5], s[4:5], exec
	s_and_b64 s[8:9], vcc, exec
	v_mov_b32_e32 v22, 0
	s_or_b64 s[4:5], s[4:5], s[8:9]
	s_or_b64 exec, exec, s[6:7]
	s_and_saveexec_b64 s[6:7], s[4:5]
	s_cbranch_execnz .LBB51_279
	s_branch .LBB51_280
.LBB51_2329:
	s_movk_i32 s4, 0x80
	v_cmp_eq_u16_sdwa s[12:13], v14, s4 src0_sel:BYTE_3 src1_sel:DWORD
	s_mov_b64 s[4:5], -1
                                        ; implicit-def: $sgpr10
	s_and_saveexec_b64 s[8:9], s[12:13]
; %bb.2330:
	s_mov_b32 s10, 0x7f800001
	s_xor_b64 s[4:5], exec, -1
; %bb.2331:
	s_or_b64 exec, exec, s[8:9]
	s_and_b64 s[4:5], s[4:5], exec
	s_or_saveexec_b64 s[6:7], s[6:7]
	v_mov_b32_e32 v20, s10
	s_xor_b64 exec, exec, s[6:7]
	s_cbranch_execz .LBB51_282
.LBB51_2332:
	v_mov_b32_e32 v20, 0
	v_cmp_ne_u16_sdwa s[8:9], v14, v20 src0_sel:BYTE_3 src1_sel:DWORD
	s_andn2_b64 s[4:5], s[4:5], exec
	s_and_b64 s[8:9], s[8:9], exec
	s_or_b64 s[4:5], s[4:5], s[8:9]
	s_or_b64 exec, exec, s[6:7]
	s_and_saveexec_b64 s[6:7], s[4:5]
	s_cbranch_execnz .LBB51_283
	s_branch .LBB51_284
.LBB51_2333:
	s_movk_i32 s4, 0x80
	v_cmp_eq_u16_sdwa s[12:13], v10, s4 src0_sel:BYTE_3 src1_sel:DWORD
	s_mov_b64 s[4:5], -1
                                        ; implicit-def: $sgpr10
	s_and_saveexec_b64 s[8:9], s[12:13]
; %bb.2334:
	s_mov_b32 s10, 0x7f800001
	s_xor_b64 s[4:5], exec, -1
; %bb.2335:
	s_or_b64 exec, exec, s[8:9]
	s_and_b64 s[4:5], s[4:5], exec
	s_or_saveexec_b64 s[6:7], s[6:7]
	v_mov_b32_e32 v14, s10
	s_xor_b64 exec, exec, s[6:7]
	s_cbranch_execz .LBB51_286
.LBB51_2336:
	v_mov_b32_e32 v14, 0
	v_cmp_ne_u16_sdwa s[8:9], v10, v14 src0_sel:BYTE_3 src1_sel:DWORD
	s_andn2_b64 s[4:5], s[4:5], exec
	s_and_b64 s[8:9], s[8:9], exec
	s_or_b64 s[4:5], s[4:5], s[8:9]
	s_or_b64 exec, exec, s[6:7]
	s_and_saveexec_b64 s[6:7], s[4:5]
	s_cbranch_execnz .LBB51_287
	s_branch .LBB51_288
.LBB51_2337:
	s_movk_i32 s4, 0x80
	v_cmp_eq_u16_sdwa s[12:13], v15, s4 src0_sel:BYTE_0 src1_sel:DWORD
	s_mov_b64 s[4:5], -1
                                        ; implicit-def: $sgpr10
	s_and_saveexec_b64 s[8:9], s[12:13]
; %bb.2338:
	s_mov_b32 s10, 0x7f800001
	s_xor_b64 s[4:5], exec, -1
; %bb.2339:
	s_or_b64 exec, exec, s[8:9]
	s_and_b64 s[4:5], s[4:5], exec
	s_or_saveexec_b64 s[6:7], s[6:7]
	v_mov_b32_e32 v10, s10
	s_xor_b64 exec, exec, s[6:7]
	s_cbranch_execz .LBB51_290
.LBB51_2340:
	v_mov_b32_e32 v10, 0
	v_cmp_ne_u16_sdwa s[8:9], v15, v10 src0_sel:BYTE_0 src1_sel:DWORD
	s_andn2_b64 s[4:5], s[4:5], exec
	s_and_b64 s[8:9], s[8:9], exec
	s_or_b64 s[4:5], s[4:5], s[8:9]
	s_or_b64 exec, exec, s[6:7]
	s_and_saveexec_b64 s[6:7], s[4:5]
	s_cbranch_execnz .LBB51_291
	s_branch .LBB51_292
.LBB51_2341:
	s_movk_i32 s4, 0x80
	v_cmp_eq_u16_sdwa s[12:13], v11, s4 src0_sel:BYTE_0 src1_sel:DWORD
	s_mov_b64 s[4:5], -1
                                        ; implicit-def: $sgpr10
	s_and_saveexec_b64 s[8:9], s[12:13]
; %bb.2342:
	s_mov_b32 s10, 0x7f800001
	s_xor_b64 s[4:5], exec, -1
; %bb.2343:
	s_or_b64 exec, exec, s[8:9]
	s_and_b64 s[4:5], s[4:5], exec
	s_or_saveexec_b64 s[6:7], s[6:7]
	v_mov_b32_e32 v14, s10
	s_xor_b64 exec, exec, s[6:7]
	s_cbranch_execz .LBB51_294
.LBB51_2344:
	v_mov_b32_e32 v14, 0
	v_cmp_ne_u16_sdwa s[8:9], v11, v14 src0_sel:BYTE_0 src1_sel:DWORD
	s_andn2_b64 s[4:5], s[4:5], exec
	s_and_b64 s[8:9], s[8:9], exec
	s_or_b64 s[4:5], s[4:5], s[8:9]
	s_or_b64 exec, exec, s[6:7]
	s_and_saveexec_b64 s[6:7], s[4:5]
	s_cbranch_execnz .LBB51_295
	s_branch .LBB51_296
.LBB51_2345:
	s_movk_i32 s4, 0x80
	v_cmp_eq_u16_sdwa s[12:13], v14, s4 src0_sel:BYTE_0 src1_sel:DWORD
	s_mov_b64 s[4:5], -1
                                        ; implicit-def: $sgpr10
	s_and_saveexec_b64 s[8:9], s[12:13]
; %bb.2346:
	s_mov_b32 s10, 0x7f800001
	s_xor_b64 s[4:5], exec, -1
; %bb.2347:
	s_or_b64 exec, exec, s[8:9]
	s_and_b64 s[4:5], s[4:5], exec
	s_or_saveexec_b64 s[6:7], s[6:7]
	v_mov_b32_e32 v10, s10
	s_xor_b64 exec, exec, s[6:7]
	s_cbranch_execz .LBB51_298
.LBB51_2348:
	v_mov_b32_e32 v10, 0
	v_cmp_ne_u16_sdwa s[8:9], v14, v10 src0_sel:BYTE_0 src1_sel:DWORD
	s_andn2_b64 s[4:5], s[4:5], exec
	s_and_b64 s[8:9], s[8:9], exec
	s_or_b64 s[4:5], s[4:5], s[8:9]
	s_or_b64 exec, exec, s[6:7]
	s_and_saveexec_b64 s[6:7], s[4:5]
	s_cbranch_execnz .LBB51_299
	s_branch .LBB51_300
.LBB51_2349:
	s_movk_i32 s4, 0x80
	v_cmp_eq_u16_sdwa s[12:13], v14, s4 src0_sel:BYTE_0 src1_sel:DWORD
	s_mov_b64 s[4:5], -1
                                        ; implicit-def: $sgpr10
	s_and_saveexec_b64 s[8:9], s[12:13]
; %bb.2350:
	s_mov_b32 s10, 0x7f800001
	s_xor_b64 s[4:5], exec, -1
; %bb.2351:
	s_or_b64 exec, exec, s[8:9]
	s_and_b64 s[4:5], s[4:5], exec
	s_or_saveexec_b64 s[6:7], s[6:7]
	v_mov_b32_e32 v20, s10
	s_xor_b64 exec, exec, s[6:7]
	s_cbranch_execz .LBB51_302
.LBB51_2352:
	v_mov_b32_e32 v20, 0
	v_cmp_ne_u16_sdwa s[8:9], v14, v20 src0_sel:BYTE_0 src1_sel:DWORD
	s_andn2_b64 s[4:5], s[4:5], exec
	s_and_b64 s[8:9], s[8:9], exec
	s_or_b64 s[4:5], s[4:5], s[8:9]
	s_or_b64 exec, exec, s[6:7]
	s_and_saveexec_b64 s[6:7], s[4:5]
	s_cbranch_execnz .LBB51_303
	s_branch .LBB51_304
.LBB51_2353:
	s_movk_i32 s4, 0x80
	v_cmp_eq_u16_e32 vcc, s4, v14
	s_mov_b64 s[4:5], -1
                                        ; implicit-def: $sgpr10
	s_and_saveexec_b64 s[8:9], vcc
; %bb.2354:
	s_mov_b32 s10, 0x7f800001
	s_xor_b64 s[4:5], exec, -1
; %bb.2355:
	s_or_b64 exec, exec, s[8:9]
	s_and_b64 s[4:5], s[4:5], exec
                                        ; implicit-def: $vgpr14
	s_or_saveexec_b64 s[6:7], s[6:7]
	v_mov_b32_e32 v10, s10
	s_xor_b64 exec, exec, s[6:7]
	s_cbranch_execz .LBB51_306
.LBB51_2356:
	v_cmp_ne_u16_e32 vcc, 0, v14
	s_andn2_b64 s[4:5], s[4:5], exec
	s_and_b64 s[8:9], vcc, exec
	v_mov_b32_e32 v10, 0
	s_or_b64 s[4:5], s[4:5], s[8:9]
	s_or_b64 exec, exec, s[6:7]
	s_and_saveexec_b64 s[6:7], s[4:5]
	s_cbranch_execnz .LBB51_307
	s_branch .LBB51_308
.LBB51_2357:
	s_movk_i32 s4, 0x80
	v_cmp_eq_u16_e32 vcc, s4, v14
	s_mov_b64 s[4:5], -1
                                        ; implicit-def: $sgpr10
	s_and_saveexec_b64 s[8:9], vcc
; %bb.2358:
	s_mov_b32 s10, 0x7f800001
	s_xor_b64 s[4:5], exec, -1
; %bb.2359:
	s_or_b64 exec, exec, s[8:9]
	s_and_b64 s[4:5], s[4:5], exec
                                        ; implicit-def: $vgpr14
	s_or_saveexec_b64 s[6:7], s[6:7]
	v_mov_b32_e32 v20, s10
	s_xor_b64 exec, exec, s[6:7]
	s_cbranch_execz .LBB51_310
.LBB51_2360:
	v_cmp_ne_u16_e32 vcc, 0, v14
	s_andn2_b64 s[4:5], s[4:5], exec
	s_and_b64 s[8:9], vcc, exec
	v_mov_b32_e32 v20, 0
	s_or_b64 s[4:5], s[4:5], s[8:9]
	s_or_b64 exec, exec, s[6:7]
	s_and_saveexec_b64 s[6:7], s[4:5]
	s_cbranch_execnz .LBB51_311
	s_branch .LBB51_312
.LBB51_2361:
	s_movk_i32 s4, 0x80
	v_cmp_eq_u16_sdwa s[12:13], v15, s4 src0_sel:BYTE_3 src1_sel:DWORD
	s_mov_b64 s[4:5], -1
                                        ; implicit-def: $sgpr10
	s_and_saveexec_b64 s[8:9], s[12:13]
; %bb.2362:
	s_mov_b32 s10, 0x7f800001
	s_xor_b64 s[4:5], exec, -1
; %bb.2363:
	s_or_b64 exec, exec, s[8:9]
	s_and_b64 s[4:5], s[4:5], exec
	s_or_saveexec_b64 s[6:7], s[6:7]
	v_mov_b32_e32 v10, s10
	s_xor_b64 exec, exec, s[6:7]
	s_cbranch_execz .LBB51_314
.LBB51_2364:
	v_mov_b32_e32 v10, 0
	v_cmp_ne_u16_sdwa s[8:9], v15, v10 src0_sel:BYTE_3 src1_sel:DWORD
	s_andn2_b64 s[4:5], s[4:5], exec
	s_and_b64 s[8:9], s[8:9], exec
	s_or_b64 s[4:5], s[4:5], s[8:9]
	s_or_b64 exec, exec, s[6:7]
	s_and_saveexec_b64 s[6:7], s[4:5]
	s_cbranch_execnz .LBB51_315
	s_branch .LBB51_316
.LBB51_2365:
	s_movk_i32 s4, 0x80
	v_cmp_eq_u16_sdwa s[12:13], v11, s4 src0_sel:BYTE_3 src1_sel:DWORD
	s_mov_b64 s[4:5], -1
                                        ; implicit-def: $sgpr10
	s_and_saveexec_b64 s[8:9], s[12:13]
; %bb.2366:
	s_mov_b32 s10, 0x7f800001
	s_xor_b64 s[4:5], exec, -1
; %bb.2367:
	s_or_b64 exec, exec, s[8:9]
	s_and_b64 s[4:5], s[4:5], exec
	s_or_saveexec_b64 s[6:7], s[6:7]
	v_mov_b32_e32 v14, s10
	s_xor_b64 exec, exec, s[6:7]
	s_cbranch_execz .LBB51_318
.LBB51_2368:
	v_mov_b32_e32 v14, 0
	v_cmp_ne_u16_sdwa s[8:9], v11, v14 src0_sel:BYTE_3 src1_sel:DWORD
	s_andn2_b64 s[4:5], s[4:5], exec
	s_and_b64 s[8:9], s[8:9], exec
	s_or_b64 s[4:5], s[4:5], s[8:9]
	s_or_b64 exec, exec, s[6:7]
	s_and_saveexec_b64 s[6:7], s[4:5]
	s_cbranch_execnz .LBB51_319
	s_branch .LBB51_320
.LBB51_2369:
	s_movk_i32 s4, 0x80
	v_cmp_eq_u16_sdwa s[12:13], v16, s4 src0_sel:BYTE_0 src1_sel:DWORD
	s_mov_b64 s[4:5], -1
                                        ; implicit-def: $sgpr10
	s_and_saveexec_b64 s[8:9], s[12:13]
; %bb.2370:
	s_mov_b32 s10, 0x7f800001
	s_xor_b64 s[4:5], exec, -1
; %bb.2371:
	s_or_b64 exec, exec, s[8:9]
	s_and_b64 s[4:5], s[4:5], exec
	s_or_saveexec_b64 s[6:7], s[6:7]
	v_mov_b32_e32 v10, s10
	s_xor_b64 exec, exec, s[6:7]
	s_cbranch_execz .LBB51_322
.LBB51_2372:
	v_mov_b32_e32 v10, 0
	v_cmp_ne_u16_sdwa s[8:9], v16, v10 src0_sel:BYTE_0 src1_sel:DWORD
	s_andn2_b64 s[4:5], s[4:5], exec
	s_and_b64 s[8:9], s[8:9], exec
	s_or_b64 s[4:5], s[4:5], s[8:9]
	s_or_b64 exec, exec, s[6:7]
	s_and_saveexec_b64 s[6:7], s[4:5]
	s_cbranch_execnz .LBB51_323
	s_branch .LBB51_324
.LBB51_2373:
	s_movk_i32 s4, 0x80
	v_cmp_eq_u16_sdwa s[12:13], v12, s4 src0_sel:BYTE_0 src1_sel:DWORD
	s_mov_b64 s[4:5], -1
                                        ; implicit-def: $sgpr10
	s_and_saveexec_b64 s[8:9], s[12:13]
; %bb.2374:
	s_mov_b32 s10, 0x7f800001
	s_xor_b64 s[4:5], exec, -1
; %bb.2375:
	s_or_b64 exec, exec, s[8:9]
	s_and_b64 s[4:5], s[4:5], exec
	s_or_saveexec_b64 s[6:7], s[6:7]
	v_mov_b32_e32 v11, s10
	s_xor_b64 exec, exec, s[6:7]
	s_cbranch_execz .LBB51_326
.LBB51_2376:
	v_mov_b32_e32 v11, 0
	v_cmp_ne_u16_sdwa s[8:9], v12, v11 src0_sel:BYTE_0 src1_sel:DWORD
	s_andn2_b64 s[4:5], s[4:5], exec
	s_and_b64 s[8:9], s[8:9], exec
	s_or_b64 s[4:5], s[4:5], s[8:9]
	s_or_b64 exec, exec, s[6:7]
	s_and_saveexec_b64 s[6:7], s[4:5]
	s_cbranch_execnz .LBB51_327
	s_branch .LBB51_328
.LBB51_2377:
	s_movk_i32 s4, 0x80
	v_cmp_eq_u16_sdwa s[12:13], v11, s4 src0_sel:BYTE_0 src1_sel:DWORD
	s_mov_b64 s[4:5], -1
                                        ; implicit-def: $sgpr10
	s_and_saveexec_b64 s[8:9], s[12:13]
; %bb.2378:
	s_mov_b32 s10, 0x7f800001
	s_xor_b64 s[4:5], exec, -1
; %bb.2379:
	s_or_b64 exec, exec, s[8:9]
	s_and_b64 s[4:5], s[4:5], exec
	s_or_saveexec_b64 s[6:7], s[6:7]
	v_mov_b32_e32 v10, s10
	s_xor_b64 exec, exec, s[6:7]
	s_cbranch_execz .LBB51_330
.LBB51_2380:
	v_mov_b32_e32 v10, 0
	v_cmp_ne_u16_sdwa s[8:9], v11, v10 src0_sel:BYTE_0 src1_sel:DWORD
	s_andn2_b64 s[4:5], s[4:5], exec
	s_and_b64 s[8:9], s[8:9], exec
	s_or_b64 s[4:5], s[4:5], s[8:9]
	s_or_b64 exec, exec, s[6:7]
	s_and_saveexec_b64 s[6:7], s[4:5]
	s_cbranch_execnz .LBB51_331
	s_branch .LBB51_332
.LBB51_2381:
	s_movk_i32 s4, 0x80
	v_cmp_eq_u16_sdwa s[12:13], v11, s4 src0_sel:BYTE_0 src1_sel:DWORD
	s_mov_b64 s[4:5], -1
                                        ; implicit-def: $sgpr10
	s_and_saveexec_b64 s[8:9], s[12:13]
; %bb.2382:
	s_mov_b32 s10, 0x7f800001
	s_xor_b64 s[4:5], exec, -1
; %bb.2383:
	s_or_b64 exec, exec, s[8:9]
	s_and_b64 s[4:5], s[4:5], exec
	s_or_saveexec_b64 s[6:7], s[6:7]
	v_mov_b32_e32 v14, s10
	s_xor_b64 exec, exec, s[6:7]
	s_cbranch_execz .LBB51_334
.LBB51_2384:
	v_mov_b32_e32 v14, 0
	v_cmp_ne_u16_sdwa s[8:9], v11, v14 src0_sel:BYTE_0 src1_sel:DWORD
	s_andn2_b64 s[4:5], s[4:5], exec
	s_and_b64 s[8:9], s[8:9], exec
	s_or_b64 s[4:5], s[4:5], s[8:9]
	s_or_b64 exec, exec, s[6:7]
	s_and_saveexec_b64 s[6:7], s[4:5]
	s_cbranch_execnz .LBB51_335
	s_branch .LBB51_336
.LBB51_2385:
	s_movk_i32 s4, 0x80
	v_cmp_eq_u16_e32 vcc, s4, v11
	s_mov_b64 s[4:5], -1
                                        ; implicit-def: $sgpr10
	s_and_saveexec_b64 s[8:9], vcc
; %bb.2386:
	s_mov_b32 s10, 0x7f800001
	s_xor_b64 s[4:5], exec, -1
; %bb.2387:
	s_or_b64 exec, exec, s[8:9]
	s_and_b64 s[4:5], s[4:5], exec
                                        ; implicit-def: $vgpr11
	s_or_saveexec_b64 s[6:7], s[6:7]
	v_mov_b32_e32 v10, s10
	s_xor_b64 exec, exec, s[6:7]
	s_cbranch_execz .LBB51_338
.LBB51_2388:
	v_cmp_ne_u16_e32 vcc, 0, v11
	s_andn2_b64 s[4:5], s[4:5], exec
	s_and_b64 s[8:9], vcc, exec
	v_mov_b32_e32 v10, 0
	s_or_b64 s[4:5], s[4:5], s[8:9]
	s_or_b64 exec, exec, s[6:7]
	s_and_saveexec_b64 s[6:7], s[4:5]
	s_cbranch_execnz .LBB51_339
	s_branch .LBB51_340
.LBB51_2389:
	s_movk_i32 s4, 0x80
	v_cmp_eq_u16_e32 vcc, s4, v11
	s_mov_b64 s[4:5], -1
                                        ; implicit-def: $sgpr10
	s_and_saveexec_b64 s[8:9], vcc
; %bb.2390:
	s_mov_b32 s10, 0x7f800001
	s_xor_b64 s[4:5], exec, -1
; %bb.2391:
	s_or_b64 exec, exec, s[8:9]
	s_and_b64 s[4:5], s[4:5], exec
                                        ; implicit-def: $vgpr11
	s_or_saveexec_b64 s[6:7], s[6:7]
	v_mov_b32_e32 v14, s10
	s_xor_b64 exec, exec, s[6:7]
	s_cbranch_execz .LBB51_342
.LBB51_2392:
	v_cmp_ne_u16_e32 vcc, 0, v11
	s_andn2_b64 s[4:5], s[4:5], exec
	s_and_b64 s[8:9], vcc, exec
	v_mov_b32_e32 v14, 0
	s_or_b64 s[4:5], s[4:5], s[8:9]
	s_or_b64 exec, exec, s[6:7]
	s_and_saveexec_b64 s[6:7], s[4:5]
	s_cbranch_execnz .LBB51_343
	s_branch .LBB51_344
.LBB51_2393:
	s_movk_i32 s4, 0x80
	v_cmp_eq_u16_sdwa s[12:13], v16, s4 src0_sel:BYTE_3 src1_sel:DWORD
	s_mov_b64 s[4:5], -1
                                        ; implicit-def: $sgpr10
	s_and_saveexec_b64 s[8:9], s[12:13]
; %bb.2394:
	s_mov_b32 s10, 0x7f800001
	s_xor_b64 s[4:5], exec, -1
; %bb.2395:
	s_or_b64 exec, exec, s[8:9]
	s_and_b64 s[4:5], s[4:5], exec
	s_or_saveexec_b64 s[6:7], s[6:7]
	v_mov_b32_e32 v10, s10
	s_xor_b64 exec, exec, s[6:7]
	s_cbranch_execz .LBB51_346
.LBB51_2396:
	v_mov_b32_e32 v10, 0
	v_cmp_ne_u16_sdwa s[8:9], v16, v10 src0_sel:BYTE_3 src1_sel:DWORD
	s_andn2_b64 s[4:5], s[4:5], exec
	s_and_b64 s[8:9], s[8:9], exec
	s_or_b64 s[4:5], s[4:5], s[8:9]
	s_or_b64 exec, exec, s[6:7]
	s_and_saveexec_b64 s[6:7], s[4:5]
	s_cbranch_execnz .LBB51_347
	s_branch .LBB51_348
.LBB51_2397:
	s_movk_i32 s4, 0x80
	v_cmp_eq_u16_sdwa s[12:13], v12, s4 src0_sel:BYTE_3 src1_sel:DWORD
	s_mov_b64 s[4:5], -1
                                        ; implicit-def: $sgpr10
	s_and_saveexec_b64 s[8:9], s[12:13]
; %bb.2398:
	s_mov_b32 s10, 0x7f800001
	s_xor_b64 s[4:5], exec, -1
; %bb.2399:
	s_or_b64 exec, exec, s[8:9]
	s_and_b64 s[4:5], s[4:5], exec
	s_or_saveexec_b64 s[6:7], s[6:7]
	v_mov_b32_e32 v11, s10
	s_xor_b64 exec, exec, s[6:7]
	s_cbranch_execz .LBB51_350
.LBB51_2400:
	v_mov_b32_e32 v11, 0
	v_cmp_ne_u16_sdwa s[8:9], v12, v11 src0_sel:BYTE_3 src1_sel:DWORD
	s_andn2_b64 s[4:5], s[4:5], exec
	s_and_b64 s[8:9], s[8:9], exec
	s_or_b64 s[4:5], s[4:5], s[8:9]
	s_or_b64 exec, exec, s[6:7]
	s_and_saveexec_b64 s[6:7], s[4:5]
	s_cbranch_execnz .LBB51_351
	s_branch .LBB51_352
.LBB51_2401:
	s_movk_i32 s4, 0x80
	v_cmp_eq_u16_sdwa s[12:13], v17, s4 src0_sel:BYTE_0 src1_sel:DWORD
	s_mov_b64 s[4:5], -1
                                        ; implicit-def: $sgpr10
	s_and_saveexec_b64 s[8:9], s[12:13]
; %bb.2402:
	s_mov_b32 s10, 0x7f800001
	s_xor_b64 s[4:5], exec, -1
; %bb.2403:
	s_or_b64 exec, exec, s[8:9]
	s_and_b64 s[4:5], s[4:5], exec
	s_or_saveexec_b64 s[6:7], s[6:7]
	v_mov_b32_e32 v10, s10
	s_xor_b64 exec, exec, s[6:7]
	s_cbranch_execz .LBB51_354
.LBB51_2404:
	v_mov_b32_e32 v10, 0
	v_cmp_ne_u16_sdwa s[8:9], v17, v10 src0_sel:BYTE_0 src1_sel:DWORD
	s_andn2_b64 s[4:5], s[4:5], exec
	s_and_b64 s[8:9], s[8:9], exec
	s_or_b64 s[4:5], s[4:5], s[8:9]
	s_or_b64 exec, exec, s[6:7]
	s_and_saveexec_b64 s[6:7], s[4:5]
	s_cbranch_execnz .LBB51_355
	s_branch .LBB51_356
.LBB51_2405:
	s_movk_i32 s4, 0x80
	v_cmp_eq_u16_sdwa s[12:13], v13, s4 src0_sel:BYTE_0 src1_sel:DWORD
	s_mov_b64 s[4:5], -1
                                        ; implicit-def: $sgpr10
	s_and_saveexec_b64 s[8:9], s[12:13]
; %bb.2406:
	s_mov_b32 s10, 0x7f800001
	s_xor_b64 s[4:5], exec, -1
; %bb.2407:
	s_or_b64 exec, exec, s[8:9]
	s_and_b64 s[4:5], s[4:5], exec
	s_or_saveexec_b64 s[6:7], s[6:7]
	v_mov_b32_e32 v11, s10
	s_xor_b64 exec, exec, s[6:7]
	s_cbranch_execz .LBB51_358
.LBB51_2408:
	v_mov_b32_e32 v11, 0
	v_cmp_ne_u16_sdwa s[8:9], v13, v11 src0_sel:BYTE_0 src1_sel:DWORD
	s_andn2_b64 s[4:5], s[4:5], exec
	s_and_b64 s[8:9], s[8:9], exec
	s_or_b64 s[4:5], s[4:5], s[8:9]
	s_or_b64 exec, exec, s[6:7]
	s_and_saveexec_b64 s[6:7], s[4:5]
	s_cbranch_execnz .LBB51_359
	s_branch .LBB51_360
.LBB51_2409:
	s_movk_i32 s4, 0x80
	v_cmp_eq_u16_sdwa s[12:13], v11, s4 src0_sel:BYTE_0 src1_sel:DWORD
	s_mov_b64 s[4:5], -1
                                        ; implicit-def: $sgpr10
	s_and_saveexec_b64 s[8:9], s[12:13]
; %bb.2410:
	s_mov_b32 s10, 0x7f800001
	s_xor_b64 s[4:5], exec, -1
; %bb.2411:
	s_or_b64 exec, exec, s[8:9]
	s_and_b64 s[4:5], s[4:5], exec
	s_or_saveexec_b64 s[6:7], s[6:7]
	v_mov_b32_e32 v10, s10
	s_xor_b64 exec, exec, s[6:7]
	s_cbranch_execz .LBB51_362
.LBB51_2412:
	v_mov_b32_e32 v10, 0
	v_cmp_ne_u16_sdwa s[8:9], v11, v10 src0_sel:BYTE_0 src1_sel:DWORD
	s_andn2_b64 s[4:5], s[4:5], exec
	s_and_b64 s[8:9], s[8:9], exec
	s_or_b64 s[4:5], s[4:5], s[8:9]
	s_or_b64 exec, exec, s[6:7]
	s_and_saveexec_b64 s[6:7], s[4:5]
	s_cbranch_execnz .LBB51_363
	s_branch .LBB51_364
.LBB51_2413:
	s_movk_i32 s4, 0x80
	v_cmp_eq_u16_sdwa s[12:13], v11, s4 src0_sel:BYTE_0 src1_sel:DWORD
	s_mov_b64 s[4:5], -1
                                        ; implicit-def: $sgpr10
	s_and_saveexec_b64 s[8:9], s[12:13]
; %bb.2414:
	s_mov_b32 s10, 0x7f800001
	s_xor_b64 s[4:5], exec, -1
; %bb.2415:
	s_or_b64 exec, exec, s[8:9]
	s_and_b64 s[4:5], s[4:5], exec
	s_or_saveexec_b64 s[6:7], s[6:7]
	v_mov_b32_e32 v12, s10
	s_xor_b64 exec, exec, s[6:7]
	s_cbranch_execz .LBB51_366
.LBB51_2416:
	v_mov_b32_e32 v12, 0
	v_cmp_ne_u16_sdwa s[8:9], v11, v12 src0_sel:BYTE_0 src1_sel:DWORD
	s_andn2_b64 s[4:5], s[4:5], exec
	s_and_b64 s[8:9], s[8:9], exec
	s_or_b64 s[4:5], s[4:5], s[8:9]
	s_or_b64 exec, exec, s[6:7]
	s_and_saveexec_b64 s[6:7], s[4:5]
	s_cbranch_execnz .LBB51_367
	s_branch .LBB51_368
.LBB51_2417:
	s_movk_i32 s4, 0x80
	v_cmp_eq_u16_e32 vcc, s4, v11
	s_mov_b64 s[4:5], -1
                                        ; implicit-def: $sgpr10
	s_and_saveexec_b64 s[8:9], vcc
; %bb.2418:
	s_mov_b32 s10, 0x7f800001
	s_xor_b64 s[4:5], exec, -1
; %bb.2419:
	s_or_b64 exec, exec, s[8:9]
	s_and_b64 s[4:5], s[4:5], exec
                                        ; implicit-def: $vgpr11
	s_or_saveexec_b64 s[6:7], s[6:7]
	v_mov_b32_e32 v10, s10
	s_xor_b64 exec, exec, s[6:7]
	s_cbranch_execz .LBB51_370
.LBB51_2420:
	v_cmp_ne_u16_e32 vcc, 0, v11
	s_andn2_b64 s[4:5], s[4:5], exec
	s_and_b64 s[8:9], vcc, exec
	v_mov_b32_e32 v10, 0
	s_or_b64 s[4:5], s[4:5], s[8:9]
	s_or_b64 exec, exec, s[6:7]
	s_and_saveexec_b64 s[6:7], s[4:5]
	s_cbranch_execnz .LBB51_371
	s_branch .LBB51_372
.LBB51_2421:
	s_movk_i32 s4, 0x80
	v_cmp_eq_u16_e32 vcc, s4, v11
	s_mov_b64 s[4:5], -1
                                        ; implicit-def: $sgpr10
	s_and_saveexec_b64 s[8:9], vcc
; %bb.2422:
	s_mov_b32 s10, 0x7f800001
	s_xor_b64 s[4:5], exec, -1
; %bb.2423:
	s_or_b64 exec, exec, s[8:9]
	s_and_b64 s[4:5], s[4:5], exec
                                        ; implicit-def: $vgpr11
	s_or_saveexec_b64 s[6:7], s[6:7]
	v_mov_b32_e32 v12, s10
	s_xor_b64 exec, exec, s[6:7]
	s_cbranch_execz .LBB51_374
.LBB51_2424:
	v_cmp_ne_u16_e32 vcc, 0, v11
	s_andn2_b64 s[4:5], s[4:5], exec
	s_and_b64 s[8:9], vcc, exec
	v_mov_b32_e32 v12, 0
	s_or_b64 s[4:5], s[4:5], s[8:9]
	s_or_b64 exec, exec, s[6:7]
	s_and_saveexec_b64 s[6:7], s[4:5]
	s_cbranch_execnz .LBB51_375
	s_branch .LBB51_376
.LBB51_2425:
	s_movk_i32 s4, 0x80
	v_cmp_eq_u16_sdwa s[12:13], v17, s4 src0_sel:BYTE_3 src1_sel:DWORD
	s_mov_b64 s[4:5], -1
                                        ; implicit-def: $sgpr10
	s_and_saveexec_b64 s[8:9], s[12:13]
; %bb.2426:
	s_mov_b32 s10, 0x7f800001
	s_xor_b64 s[4:5], exec, -1
; %bb.2427:
	s_or_b64 exec, exec, s[8:9]
	s_and_b64 s[4:5], s[4:5], exec
	s_or_saveexec_b64 s[6:7], s[6:7]
	v_mov_b32_e32 v10, s10
	s_xor_b64 exec, exec, s[6:7]
	s_cbranch_execz .LBB51_378
.LBB51_2428:
	v_mov_b32_e32 v10, 0
	v_cmp_ne_u16_sdwa s[8:9], v17, v10 src0_sel:BYTE_3 src1_sel:DWORD
	s_andn2_b64 s[4:5], s[4:5], exec
	s_and_b64 s[8:9], s[8:9], exec
	s_or_b64 s[4:5], s[4:5], s[8:9]
	s_or_b64 exec, exec, s[6:7]
	s_and_saveexec_b64 s[6:7], s[4:5]
	s_cbranch_execnz .LBB51_379
	s_branch .LBB51_380
.LBB51_2429:
	s_movk_i32 s4, 0x80
	v_cmp_eq_u16_sdwa s[12:13], v13, s4 src0_sel:BYTE_3 src1_sel:DWORD
	s_mov_b64 s[4:5], -1
                                        ; implicit-def: $sgpr10
	s_and_saveexec_b64 s[8:9], s[12:13]
; %bb.2430:
	s_mov_b32 s10, 0x7f800001
	s_xor_b64 s[4:5], exec, -1
; %bb.2431:
	s_or_b64 exec, exec, s[8:9]
	s_and_b64 s[4:5], s[4:5], exec
	s_or_saveexec_b64 s[6:7], s[6:7]
	v_mov_b32_e32 v11, s10
	s_xor_b64 exec, exec, s[6:7]
	s_cbranch_execz .LBB51_382
.LBB51_2432:
	v_mov_b32_e32 v11, 0
	v_cmp_ne_u16_sdwa s[8:9], v13, v11 src0_sel:BYTE_3 src1_sel:DWORD
	s_andn2_b64 s[4:5], s[4:5], exec
	s_and_b64 s[8:9], s[8:9], exec
	s_or_b64 s[4:5], s[4:5], s[8:9]
	s_or_b64 exec, exec, s[6:7]
	s_and_saveexec_b64 s[6:7], s[4:5]
	s_cbranch_execnz .LBB51_383
	s_branch .LBB51_384
.LBB51_2433:
	s_movk_i32 s4, 0x80
	v_cmp_eq_u16_sdwa s[12:13], v6, s4 src0_sel:BYTE_0 src1_sel:DWORD
	s_mov_b64 s[4:5], -1
                                        ; implicit-def: $sgpr10
	s_and_saveexec_b64 s[8:9], s[12:13]
; %bb.2434:
	s_mov_b32 s10, 0x7f800001
	s_xor_b64 s[4:5], exec, -1
; %bb.2435:
	s_or_b64 exec, exec, s[8:9]
	s_and_b64 s[4:5], s[4:5], exec
	s_or_saveexec_b64 s[6:7], s[6:7]
	v_mov_b32_e32 v10, s10
	s_xor_b64 exec, exec, s[6:7]
	s_cbranch_execz .LBB51_386
.LBB51_2436:
	v_mov_b32_e32 v10, 0
	v_cmp_ne_u16_sdwa s[8:9], v6, v10 src0_sel:BYTE_0 src1_sel:DWORD
	s_andn2_b64 s[4:5], s[4:5], exec
	s_and_b64 s[8:9], s[8:9], exec
	s_or_b64 s[4:5], s[4:5], s[8:9]
	s_or_b64 exec, exec, s[6:7]
	s_and_saveexec_b64 s[6:7], s[4:5]
	s_cbranch_execnz .LBB51_387
	s_branch .LBB51_388
.LBB51_2437:
	s_movk_i32 s4, 0x80
	v_cmp_eq_u16_sdwa s[12:13], v2, s4 src0_sel:BYTE_0 src1_sel:DWORD
	s_mov_b64 s[4:5], -1
                                        ; implicit-def: $sgpr10
	s_and_saveexec_b64 s[8:9], s[12:13]
; %bb.2438:
	s_mov_b32 s10, 0x7f800001
	s_xor_b64 s[4:5], exec, -1
; %bb.2439:
	s_or_b64 exec, exec, s[8:9]
	s_and_b64 s[4:5], s[4:5], exec
	s_or_saveexec_b64 s[6:7], s[6:7]
	v_mov_b32_e32 v11, s10
	s_xor_b64 exec, exec, s[6:7]
	s_cbranch_execz .LBB51_390
.LBB51_2440:
	v_mov_b32_e32 v11, 0
	v_cmp_ne_u16_sdwa s[8:9], v2, v11 src0_sel:BYTE_0 src1_sel:DWORD
	s_andn2_b64 s[4:5], s[4:5], exec
	s_and_b64 s[8:9], s[8:9], exec
	s_or_b64 s[4:5], s[4:5], s[8:9]
	s_or_b64 exec, exec, s[6:7]
	s_and_saveexec_b64 s[6:7], s[4:5]
	s_cbranch_execnz .LBB51_391
	s_branch .LBB51_392
.LBB51_2441:
	s_movk_i32 s4, 0x80
	v_cmp_eq_u16_sdwa s[12:13], v11, s4 src0_sel:BYTE_0 src1_sel:DWORD
	s_mov_b64 s[4:5], -1
                                        ; implicit-def: $sgpr10
	s_and_saveexec_b64 s[8:9], s[12:13]
; %bb.2442:
	s_mov_b32 s10, 0x7f800001
	s_xor_b64 s[4:5], exec, -1
; %bb.2443:
	s_or_b64 exec, exec, s[8:9]
	s_and_b64 s[4:5], s[4:5], exec
	s_or_saveexec_b64 s[6:7], s[6:7]
	v_mov_b32_e32 v10, s10
	s_xor_b64 exec, exec, s[6:7]
	s_cbranch_execz .LBB51_394
.LBB51_2444:
	v_mov_b32_e32 v10, 0
	v_cmp_ne_u16_sdwa s[8:9], v11, v10 src0_sel:BYTE_0 src1_sel:DWORD
	s_andn2_b64 s[4:5], s[4:5], exec
	s_and_b64 s[8:9], s[8:9], exec
	s_or_b64 s[4:5], s[4:5], s[8:9]
	s_or_b64 exec, exec, s[6:7]
	s_and_saveexec_b64 s[6:7], s[4:5]
	s_cbranch_execnz .LBB51_395
	s_branch .LBB51_396
.LBB51_2445:
	s_movk_i32 s4, 0x80
	v_cmp_eq_u16_sdwa s[12:13], v11, s4 src0_sel:BYTE_0 src1_sel:DWORD
	s_mov_b64 s[4:5], -1
                                        ; implicit-def: $sgpr10
	s_and_saveexec_b64 s[8:9], s[12:13]
; %bb.2446:
	s_mov_b32 s10, 0x7f800001
	s_xor_b64 s[4:5], exec, -1
; %bb.2447:
	s_or_b64 exec, exec, s[8:9]
	s_and_b64 s[4:5], s[4:5], exec
	s_or_saveexec_b64 s[6:7], s[6:7]
	v_mov_b32_e32 v12, s10
	s_xor_b64 exec, exec, s[6:7]
	s_cbranch_execz .LBB51_398
.LBB51_2448:
	v_mov_b32_e32 v12, 0
	v_cmp_ne_u16_sdwa s[8:9], v11, v12 src0_sel:BYTE_0 src1_sel:DWORD
	s_andn2_b64 s[4:5], s[4:5], exec
	s_and_b64 s[8:9], s[8:9], exec
	s_or_b64 s[4:5], s[4:5], s[8:9]
	s_or_b64 exec, exec, s[6:7]
	s_and_saveexec_b64 s[6:7], s[4:5]
	s_cbranch_execnz .LBB51_399
	s_branch .LBB51_400
.LBB51_2449:
	s_movk_i32 s4, 0x80
	v_cmp_eq_u16_e32 vcc, s4, v11
	s_mov_b64 s[4:5], -1
                                        ; implicit-def: $sgpr10
	s_and_saveexec_b64 s[8:9], vcc
; %bb.2450:
	s_mov_b32 s10, 0x7f800001
	s_xor_b64 s[4:5], exec, -1
; %bb.2451:
	s_or_b64 exec, exec, s[8:9]
	s_and_b64 s[4:5], s[4:5], exec
                                        ; implicit-def: $vgpr11
	s_or_saveexec_b64 s[6:7], s[6:7]
	v_mov_b32_e32 v10, s10
	s_xor_b64 exec, exec, s[6:7]
	s_cbranch_execz .LBB51_402
.LBB51_2452:
	v_cmp_ne_u16_e32 vcc, 0, v11
	s_andn2_b64 s[4:5], s[4:5], exec
	s_and_b64 s[8:9], vcc, exec
	v_mov_b32_e32 v10, 0
	s_or_b64 s[4:5], s[4:5], s[8:9]
	s_or_b64 exec, exec, s[6:7]
	s_and_saveexec_b64 s[6:7], s[4:5]
	s_cbranch_execnz .LBB51_403
	s_branch .LBB51_404
.LBB51_2453:
	s_movk_i32 s4, 0x80
	v_cmp_eq_u16_e32 vcc, s4, v11
	s_mov_b64 s[4:5], -1
                                        ; implicit-def: $sgpr10
	s_and_saveexec_b64 s[8:9], vcc
; %bb.2454:
	s_mov_b32 s10, 0x7f800001
	s_xor_b64 s[4:5], exec, -1
; %bb.2455:
	s_or_b64 exec, exec, s[8:9]
	s_and_b64 s[4:5], s[4:5], exec
                                        ; implicit-def: $vgpr11
	s_or_saveexec_b64 s[6:7], s[6:7]
	v_mov_b32_e32 v12, s10
	s_xor_b64 exec, exec, s[6:7]
	s_cbranch_execz .LBB51_406
.LBB51_2456:
	v_cmp_ne_u16_e32 vcc, 0, v11
	s_andn2_b64 s[4:5], s[4:5], exec
	s_and_b64 s[8:9], vcc, exec
	v_mov_b32_e32 v12, 0
	s_or_b64 s[4:5], s[4:5], s[8:9]
	s_or_b64 exec, exec, s[6:7]
	s_and_saveexec_b64 s[6:7], s[4:5]
	s_cbranch_execnz .LBB51_407
	s_branch .LBB51_408
.LBB51_2457:
	s_movk_i32 s4, 0x80
	v_cmp_eq_u16_sdwa s[12:13], v6, s4 src0_sel:BYTE_3 src1_sel:DWORD
	s_mov_b64 s[4:5], -1
                                        ; implicit-def: $sgpr10
	s_and_saveexec_b64 s[8:9], s[12:13]
; %bb.2458:
	s_mov_b32 s10, 0x7f800001
	s_xor_b64 s[4:5], exec, -1
; %bb.2459:
	s_or_b64 exec, exec, s[8:9]
	s_and_b64 s[4:5], s[4:5], exec
	s_or_saveexec_b64 s[6:7], s[6:7]
	v_mov_b32_e32 v10, s10
	s_xor_b64 exec, exec, s[6:7]
	s_cbranch_execz .LBB51_410
.LBB51_2460:
	v_mov_b32_e32 v10, 0
	v_cmp_ne_u16_sdwa s[8:9], v6, v10 src0_sel:BYTE_3 src1_sel:DWORD
	s_andn2_b64 s[4:5], s[4:5], exec
	s_and_b64 s[8:9], s[8:9], exec
	s_or_b64 s[4:5], s[4:5], s[8:9]
	s_or_b64 exec, exec, s[6:7]
	s_and_saveexec_b64 s[6:7], s[4:5]
	s_cbranch_execnz .LBB51_411
	s_branch .LBB51_412
.LBB51_2461:
	s_movk_i32 s4, 0x80
	v_cmp_eq_u16_sdwa s[12:13], v2, s4 src0_sel:BYTE_3 src1_sel:DWORD
	s_mov_b64 s[4:5], -1
                                        ; implicit-def: $sgpr10
	s_and_saveexec_b64 s[8:9], s[12:13]
; %bb.2462:
	s_mov_b32 s10, 0x7f800001
	s_xor_b64 s[4:5], exec, -1
; %bb.2463:
	s_or_b64 exec, exec, s[8:9]
	s_and_b64 s[4:5], s[4:5], exec
	s_or_saveexec_b64 s[6:7], s[6:7]
	v_mov_b32_e32 v6, s10
	s_xor_b64 exec, exec, s[6:7]
	s_cbranch_execz .LBB51_414
.LBB51_2464:
	v_mov_b32_e32 v6, 0
	v_cmp_ne_u16_sdwa s[8:9], v2, v6 src0_sel:BYTE_3 src1_sel:DWORD
	s_andn2_b64 s[4:5], s[4:5], exec
	s_and_b64 s[8:9], s[8:9], exec
	s_or_b64 s[4:5], s[4:5], s[8:9]
	s_or_b64 exec, exec, s[6:7]
	s_and_saveexec_b64 s[6:7], s[4:5]
	s_cbranch_execnz .LBB51_415
	s_branch .LBB51_416
.LBB51_2465:
	s_movk_i32 s4, 0x80
	v_cmp_eq_u16_sdwa s[12:13], v7, s4 src0_sel:BYTE_0 src1_sel:DWORD
	s_mov_b64 s[4:5], -1
                                        ; implicit-def: $sgpr10
	s_and_saveexec_b64 s[8:9], s[12:13]
; %bb.2466:
	s_mov_b32 s10, 0x7f800001
	s_xor_b64 s[4:5], exec, -1
; %bb.2467:
	s_or_b64 exec, exec, s[8:9]
	s_and_b64 s[4:5], s[4:5], exec
	s_or_saveexec_b64 s[6:7], s[6:7]
	v_mov_b32_e32 v2, s10
	s_xor_b64 exec, exec, s[6:7]
	s_cbranch_execz .LBB51_418
.LBB51_2468:
	v_mov_b32_e32 v2, 0
	v_cmp_ne_u16_sdwa s[8:9], v7, v2 src0_sel:BYTE_0 src1_sel:DWORD
	s_andn2_b64 s[4:5], s[4:5], exec
	s_and_b64 s[8:9], s[8:9], exec
	s_or_b64 s[4:5], s[4:5], s[8:9]
	s_or_b64 exec, exec, s[6:7]
	s_and_saveexec_b64 s[6:7], s[4:5]
	s_cbranch_execnz .LBB51_419
	s_branch .LBB51_420
.LBB51_2469:
	s_movk_i32 s4, 0x80
	v_cmp_eq_u16_sdwa s[12:13], v3, s4 src0_sel:BYTE_0 src1_sel:DWORD
	s_mov_b64 s[4:5], -1
                                        ; implicit-def: $sgpr10
	s_and_saveexec_b64 s[8:9], s[12:13]
; %bb.2470:
	s_mov_b32 s10, 0x7f800001
	s_xor_b64 s[4:5], exec, -1
; %bb.2471:
	s_or_b64 exec, exec, s[8:9]
	s_and_b64 s[4:5], s[4:5], exec
	s_or_saveexec_b64 s[6:7], s[6:7]
	v_mov_b32_e32 v6, s10
	s_xor_b64 exec, exec, s[6:7]
	s_cbranch_execz .LBB51_422
.LBB51_2472:
	v_mov_b32_e32 v6, 0
	v_cmp_ne_u16_sdwa s[8:9], v3, v6 src0_sel:BYTE_0 src1_sel:DWORD
	s_andn2_b64 s[4:5], s[4:5], exec
	s_and_b64 s[8:9], s[8:9], exec
	s_or_b64 s[4:5], s[4:5], s[8:9]
	s_or_b64 exec, exec, s[6:7]
	s_and_saveexec_b64 s[6:7], s[4:5]
	s_cbranch_execnz .LBB51_423
	s_branch .LBB51_424
.LBB51_2473:
	s_movk_i32 s4, 0x80
	v_cmp_eq_u16_sdwa s[12:13], v6, s4 src0_sel:BYTE_0 src1_sel:DWORD
	s_mov_b64 s[4:5], -1
                                        ; implicit-def: $sgpr10
	s_and_saveexec_b64 s[8:9], s[12:13]
; %bb.2474:
	s_mov_b32 s10, 0x7f800001
	s_xor_b64 s[4:5], exec, -1
; %bb.2475:
	s_or_b64 exec, exec, s[8:9]
	s_and_b64 s[4:5], s[4:5], exec
	s_or_saveexec_b64 s[6:7], s[6:7]
	v_mov_b32_e32 v2, s10
	s_xor_b64 exec, exec, s[6:7]
	s_cbranch_execz .LBB51_426
.LBB51_2476:
	v_mov_b32_e32 v2, 0
	v_cmp_ne_u16_sdwa s[8:9], v6, v2 src0_sel:BYTE_0 src1_sel:DWORD
	s_andn2_b64 s[4:5], s[4:5], exec
	s_and_b64 s[8:9], s[8:9], exec
	s_or_b64 s[4:5], s[4:5], s[8:9]
	s_or_b64 exec, exec, s[6:7]
	s_and_saveexec_b64 s[6:7], s[4:5]
	s_cbranch_execnz .LBB51_427
	s_branch .LBB51_428
.LBB51_2477:
	s_movk_i32 s4, 0x80
	v_cmp_eq_u16_sdwa s[12:13], v6, s4 src0_sel:BYTE_0 src1_sel:DWORD
	s_mov_b64 s[4:5], -1
                                        ; implicit-def: $sgpr10
	s_and_saveexec_b64 s[8:9], s[12:13]
; %bb.2478:
	s_mov_b32 s10, 0x7f800001
	s_xor_b64 s[4:5], exec, -1
; %bb.2479:
	s_or_b64 exec, exec, s[8:9]
	s_and_b64 s[4:5], s[4:5], exec
	s_or_saveexec_b64 s[6:7], s[6:7]
	v_mov_b32_e32 v10, s10
	s_xor_b64 exec, exec, s[6:7]
	s_cbranch_execz .LBB51_430
.LBB51_2480:
	v_mov_b32_e32 v10, 0
	v_cmp_ne_u16_sdwa s[8:9], v6, v10 src0_sel:BYTE_0 src1_sel:DWORD
	s_andn2_b64 s[4:5], s[4:5], exec
	s_and_b64 s[8:9], s[8:9], exec
	s_or_b64 s[4:5], s[4:5], s[8:9]
	s_or_b64 exec, exec, s[6:7]
	s_and_saveexec_b64 s[6:7], s[4:5]
	s_cbranch_execnz .LBB51_431
	s_branch .LBB51_432
.LBB51_2481:
	s_movk_i32 s4, 0x80
	v_cmp_eq_u16_e32 vcc, s4, v6
	s_mov_b64 s[4:5], -1
                                        ; implicit-def: $sgpr10
	s_and_saveexec_b64 s[8:9], vcc
; %bb.2482:
	s_mov_b32 s10, 0x7f800001
	s_xor_b64 s[4:5], exec, -1
; %bb.2483:
	s_or_b64 exec, exec, s[8:9]
	s_and_b64 s[4:5], s[4:5], exec
                                        ; implicit-def: $vgpr6
	s_or_saveexec_b64 s[6:7], s[6:7]
	v_mov_b32_e32 v2, s10
	s_xor_b64 exec, exec, s[6:7]
	s_cbranch_execz .LBB51_434
.LBB51_2484:
	v_cmp_ne_u16_e32 vcc, 0, v6
	s_andn2_b64 s[4:5], s[4:5], exec
	s_and_b64 s[8:9], vcc, exec
	v_mov_b32_e32 v2, 0
	s_or_b64 s[4:5], s[4:5], s[8:9]
	s_or_b64 exec, exec, s[6:7]
	s_and_saveexec_b64 s[6:7], s[4:5]
	s_cbranch_execnz .LBB51_435
	s_branch .LBB51_436
.LBB51_2485:
	s_movk_i32 s4, 0x80
	v_cmp_eq_u16_e32 vcc, s4, v6
	s_mov_b64 s[4:5], -1
                                        ; implicit-def: $sgpr10
	s_and_saveexec_b64 s[8:9], vcc
; %bb.2486:
	s_mov_b32 s10, 0x7f800001
	s_xor_b64 s[4:5], exec, -1
; %bb.2487:
	s_or_b64 exec, exec, s[8:9]
	s_and_b64 s[4:5], s[4:5], exec
                                        ; implicit-def: $vgpr6
	s_or_saveexec_b64 s[6:7], s[6:7]
	v_mov_b32_e32 v10, s10
	s_xor_b64 exec, exec, s[6:7]
	s_cbranch_execz .LBB51_438
.LBB51_2488:
	v_cmp_ne_u16_e32 vcc, 0, v6
	s_andn2_b64 s[4:5], s[4:5], exec
	s_and_b64 s[8:9], vcc, exec
	v_mov_b32_e32 v10, 0
	s_or_b64 s[4:5], s[4:5], s[8:9]
	s_or_b64 exec, exec, s[6:7]
	s_and_saveexec_b64 s[6:7], s[4:5]
	s_cbranch_execnz .LBB51_439
	s_branch .LBB51_440
.LBB51_2489:
	s_movk_i32 s4, 0x80
	v_cmp_eq_u16_sdwa s[12:13], v7, s4 src0_sel:BYTE_3 src1_sel:DWORD
	s_mov_b64 s[4:5], -1
                                        ; implicit-def: $sgpr10
	s_and_saveexec_b64 s[8:9], s[12:13]
; %bb.2490:
	s_mov_b32 s10, 0x7f800001
	s_xor_b64 s[4:5], exec, -1
; %bb.2491:
	s_or_b64 exec, exec, s[8:9]
	s_and_b64 s[4:5], s[4:5], exec
	s_or_saveexec_b64 s[6:7], s[6:7]
	v_mov_b32_e32 v2, s10
	s_xor_b64 exec, exec, s[6:7]
	s_cbranch_execz .LBB51_442
.LBB51_2492:
	v_mov_b32_e32 v2, 0
	v_cmp_ne_u16_sdwa s[8:9], v7, v2 src0_sel:BYTE_3 src1_sel:DWORD
	s_andn2_b64 s[4:5], s[4:5], exec
	s_and_b64 s[8:9], s[8:9], exec
	s_or_b64 s[4:5], s[4:5], s[8:9]
	s_or_b64 exec, exec, s[6:7]
	s_and_saveexec_b64 s[6:7], s[4:5]
	s_cbranch_execnz .LBB51_443
	s_branch .LBB51_444
.LBB51_2493:
	s_movk_i32 s4, 0x80
	v_cmp_eq_u16_sdwa s[12:13], v3, s4 src0_sel:BYTE_3 src1_sel:DWORD
	s_mov_b64 s[4:5], -1
                                        ; implicit-def: $sgpr10
	s_and_saveexec_b64 s[8:9], s[12:13]
; %bb.2494:
	s_mov_b32 s10, 0x7f800001
	s_xor_b64 s[4:5], exec, -1
; %bb.2495:
	s_or_b64 exec, exec, s[8:9]
	s_and_b64 s[4:5], s[4:5], exec
	s_or_saveexec_b64 s[6:7], s[6:7]
	v_mov_b32_e32 v6, s10
	s_xor_b64 exec, exec, s[6:7]
	s_cbranch_execz .LBB51_446
.LBB51_2496:
	v_mov_b32_e32 v6, 0
	v_cmp_ne_u16_sdwa s[8:9], v3, v6 src0_sel:BYTE_3 src1_sel:DWORD
	s_andn2_b64 s[4:5], s[4:5], exec
	s_and_b64 s[8:9], s[8:9], exec
	s_or_b64 s[4:5], s[4:5], s[8:9]
	s_or_b64 exec, exec, s[6:7]
	s_and_saveexec_b64 s[6:7], s[4:5]
	s_cbranch_execnz .LBB51_447
	s_branch .LBB51_448
.LBB51_2497:
	s_movk_i32 s4, 0x80
	v_cmp_eq_u16_sdwa s[12:13], v8, s4 src0_sel:BYTE_0 src1_sel:DWORD
	s_mov_b64 s[4:5], -1
                                        ; implicit-def: $sgpr10
	s_and_saveexec_b64 s[8:9], s[12:13]
; %bb.2498:
	s_mov_b32 s10, 0x7f800001
	s_xor_b64 s[4:5], exec, -1
; %bb.2499:
	s_or_b64 exec, exec, s[8:9]
	s_and_b64 s[4:5], s[4:5], exec
	s_or_saveexec_b64 s[6:7], s[6:7]
	v_mov_b32_e32 v2, s10
	s_xor_b64 exec, exec, s[6:7]
	s_cbranch_execz .LBB51_450
.LBB51_2500:
	v_mov_b32_e32 v2, 0
	v_cmp_ne_u16_sdwa s[8:9], v8, v2 src0_sel:BYTE_0 src1_sel:DWORD
	s_andn2_b64 s[4:5], s[4:5], exec
	s_and_b64 s[8:9], s[8:9], exec
	s_or_b64 s[4:5], s[4:5], s[8:9]
	s_or_b64 exec, exec, s[6:7]
	s_and_saveexec_b64 s[6:7], s[4:5]
	s_cbranch_execnz .LBB51_451
	s_branch .LBB51_452
.LBB51_2501:
	s_movk_i32 s4, 0x80
	v_cmp_eq_u16_sdwa s[12:13], v4, s4 src0_sel:BYTE_0 src1_sel:DWORD
	s_mov_b64 s[4:5], -1
                                        ; implicit-def: $sgpr10
	s_and_saveexec_b64 s[8:9], s[12:13]
; %bb.2502:
	s_mov_b32 s10, 0x7f800001
	s_xor_b64 s[4:5], exec, -1
; %bb.2503:
	s_or_b64 exec, exec, s[8:9]
	s_and_b64 s[4:5], s[4:5], exec
	s_or_saveexec_b64 s[6:7], s[6:7]
	v_mov_b32_e32 v3, s10
	s_xor_b64 exec, exec, s[6:7]
	s_cbranch_execz .LBB51_454
.LBB51_2504:
	v_mov_b32_e32 v3, 0
	v_cmp_ne_u16_sdwa s[8:9], v4, v3 src0_sel:BYTE_0 src1_sel:DWORD
	s_andn2_b64 s[4:5], s[4:5], exec
	s_and_b64 s[8:9], s[8:9], exec
	s_or_b64 s[4:5], s[4:5], s[8:9]
	s_or_b64 exec, exec, s[6:7]
	s_and_saveexec_b64 s[6:7], s[4:5]
	s_cbranch_execnz .LBB51_455
	s_branch .LBB51_456
.LBB51_2505:
	s_movk_i32 s4, 0x80
	v_cmp_eq_u16_sdwa s[12:13], v3, s4 src0_sel:BYTE_0 src1_sel:DWORD
	s_mov_b64 s[4:5], -1
                                        ; implicit-def: $sgpr10
	s_and_saveexec_b64 s[8:9], s[12:13]
; %bb.2506:
	s_mov_b32 s10, 0x7f800001
	s_xor_b64 s[4:5], exec, -1
; %bb.2507:
	s_or_b64 exec, exec, s[8:9]
	s_and_b64 s[4:5], s[4:5], exec
	s_or_saveexec_b64 s[6:7], s[6:7]
	v_mov_b32_e32 v2, s10
	s_xor_b64 exec, exec, s[6:7]
	s_cbranch_execz .LBB51_458
.LBB51_2508:
	v_mov_b32_e32 v2, 0
	v_cmp_ne_u16_sdwa s[8:9], v3, v2 src0_sel:BYTE_0 src1_sel:DWORD
	s_andn2_b64 s[4:5], s[4:5], exec
	s_and_b64 s[8:9], s[8:9], exec
	s_or_b64 s[4:5], s[4:5], s[8:9]
	s_or_b64 exec, exec, s[6:7]
	s_and_saveexec_b64 s[6:7], s[4:5]
	s_cbranch_execnz .LBB51_459
	s_branch .LBB51_460
.LBB51_2509:
	s_movk_i32 s4, 0x80
	v_cmp_eq_u16_sdwa s[12:13], v3, s4 src0_sel:BYTE_0 src1_sel:DWORD
	s_mov_b64 s[4:5], -1
                                        ; implicit-def: $sgpr10
	s_and_saveexec_b64 s[8:9], s[12:13]
; %bb.2510:
	s_mov_b32 s10, 0x7f800001
	s_xor_b64 s[4:5], exec, -1
; %bb.2511:
	s_or_b64 exec, exec, s[8:9]
	s_and_b64 s[4:5], s[4:5], exec
	s_or_saveexec_b64 s[6:7], s[6:7]
	v_mov_b32_e32 v6, s10
	s_xor_b64 exec, exec, s[6:7]
	s_cbranch_execz .LBB51_462
.LBB51_2512:
	v_mov_b32_e32 v6, 0
	v_cmp_ne_u16_sdwa s[8:9], v3, v6 src0_sel:BYTE_0 src1_sel:DWORD
	s_andn2_b64 s[4:5], s[4:5], exec
	s_and_b64 s[8:9], s[8:9], exec
	s_or_b64 s[4:5], s[4:5], s[8:9]
	s_or_b64 exec, exec, s[6:7]
	s_and_saveexec_b64 s[6:7], s[4:5]
	s_cbranch_execnz .LBB51_463
	s_branch .LBB51_464
.LBB51_2513:
	s_movk_i32 s4, 0x80
	v_cmp_eq_u16_e32 vcc, s4, v3
	s_mov_b64 s[4:5], -1
                                        ; implicit-def: $sgpr10
	s_and_saveexec_b64 s[8:9], vcc
; %bb.2514:
	s_mov_b32 s10, 0x7f800001
	s_xor_b64 s[4:5], exec, -1
; %bb.2515:
	s_or_b64 exec, exec, s[8:9]
	s_and_b64 s[4:5], s[4:5], exec
                                        ; implicit-def: $vgpr3
	s_or_saveexec_b64 s[6:7], s[6:7]
	v_mov_b32_e32 v2, s10
	s_xor_b64 exec, exec, s[6:7]
	s_cbranch_execz .LBB51_466
.LBB51_2516:
	v_cmp_ne_u16_e32 vcc, 0, v3
	s_andn2_b64 s[4:5], s[4:5], exec
	s_and_b64 s[8:9], vcc, exec
	v_mov_b32_e32 v2, 0
	s_or_b64 s[4:5], s[4:5], s[8:9]
	s_or_b64 exec, exec, s[6:7]
	s_and_saveexec_b64 s[6:7], s[4:5]
	s_cbranch_execnz .LBB51_467
	s_branch .LBB51_468
.LBB51_2517:
	s_movk_i32 s4, 0x80
	v_cmp_eq_u16_e32 vcc, s4, v3
	s_mov_b64 s[4:5], -1
                                        ; implicit-def: $sgpr10
	s_and_saveexec_b64 s[8:9], vcc
; %bb.2518:
	s_mov_b32 s10, 0x7f800001
	s_xor_b64 s[4:5], exec, -1
; %bb.2519:
	s_or_b64 exec, exec, s[8:9]
	s_and_b64 s[4:5], s[4:5], exec
                                        ; implicit-def: $vgpr3
	s_or_saveexec_b64 s[6:7], s[6:7]
	v_mov_b32_e32 v6, s10
	s_xor_b64 exec, exec, s[6:7]
	s_cbranch_execz .LBB51_470
.LBB51_2520:
	v_cmp_ne_u16_e32 vcc, 0, v3
	s_andn2_b64 s[4:5], s[4:5], exec
	s_and_b64 s[8:9], vcc, exec
	v_mov_b32_e32 v6, 0
	s_or_b64 s[4:5], s[4:5], s[8:9]
	s_or_b64 exec, exec, s[6:7]
	s_and_saveexec_b64 s[6:7], s[4:5]
	s_cbranch_execnz .LBB51_471
	s_branch .LBB51_472
.LBB51_2521:
	s_movk_i32 s4, 0x80
	v_cmp_eq_u16_sdwa s[12:13], v8, s4 src0_sel:BYTE_3 src1_sel:DWORD
	s_mov_b64 s[4:5], -1
                                        ; implicit-def: $sgpr10
	s_and_saveexec_b64 s[8:9], s[12:13]
; %bb.2522:
	s_mov_b32 s10, 0x7f800001
	s_xor_b64 s[4:5], exec, -1
; %bb.2523:
	s_or_b64 exec, exec, s[8:9]
	s_and_b64 s[4:5], s[4:5], exec
	s_or_saveexec_b64 s[6:7], s[6:7]
	v_mov_b32_e32 v2, s10
	s_xor_b64 exec, exec, s[6:7]
	s_cbranch_execz .LBB51_474
.LBB51_2524:
	v_mov_b32_e32 v2, 0
	v_cmp_ne_u16_sdwa s[8:9], v8, v2 src0_sel:BYTE_3 src1_sel:DWORD
	s_andn2_b64 s[4:5], s[4:5], exec
	s_and_b64 s[8:9], s[8:9], exec
	s_or_b64 s[4:5], s[4:5], s[8:9]
	s_or_b64 exec, exec, s[6:7]
	s_and_saveexec_b64 s[6:7], s[4:5]
	s_cbranch_execnz .LBB51_475
	s_branch .LBB51_476
.LBB51_2525:
	s_movk_i32 s4, 0x80
	v_cmp_eq_u16_sdwa s[12:13], v4, s4 src0_sel:BYTE_3 src1_sel:DWORD
	s_mov_b64 s[4:5], -1
                                        ; implicit-def: $sgpr10
	s_and_saveexec_b64 s[8:9], s[12:13]
; %bb.2526:
	s_mov_b32 s10, 0x7f800001
	s_xor_b64 s[4:5], exec, -1
; %bb.2527:
	s_or_b64 exec, exec, s[8:9]
	s_and_b64 s[4:5], s[4:5], exec
	s_or_saveexec_b64 s[6:7], s[6:7]
	v_mov_b32_e32 v3, s10
	s_xor_b64 exec, exec, s[6:7]
	s_cbranch_execz .LBB51_478
.LBB51_2528:
	v_mov_b32_e32 v3, 0
	v_cmp_ne_u16_sdwa s[8:9], v4, v3 src0_sel:BYTE_3 src1_sel:DWORD
	s_andn2_b64 s[4:5], s[4:5], exec
	s_and_b64 s[8:9], s[8:9], exec
	s_or_b64 s[4:5], s[4:5], s[8:9]
	s_or_b64 exec, exec, s[6:7]
	s_and_saveexec_b64 s[6:7], s[4:5]
	s_cbranch_execnz .LBB51_479
	s_branch .LBB51_480
.LBB51_2529:
	s_movk_i32 s4, 0x80
	v_cmp_eq_u16_sdwa s[12:13], v9, s4 src0_sel:BYTE_0 src1_sel:DWORD
	s_mov_b64 s[4:5], -1
                                        ; implicit-def: $sgpr10
	s_and_saveexec_b64 s[8:9], s[12:13]
; %bb.2530:
	s_mov_b32 s10, 0x7f800001
	s_xor_b64 s[4:5], exec, -1
; %bb.2531:
	s_or_b64 exec, exec, s[8:9]
	s_and_b64 s[4:5], s[4:5], exec
	s_or_saveexec_b64 s[6:7], s[6:7]
	v_mov_b32_e32 v2, s10
	s_xor_b64 exec, exec, s[6:7]
	s_cbranch_execz .LBB51_482
.LBB51_2532:
	v_mov_b32_e32 v2, 0
	v_cmp_ne_u16_sdwa s[8:9], v9, v2 src0_sel:BYTE_0 src1_sel:DWORD
	s_andn2_b64 s[4:5], s[4:5], exec
	s_and_b64 s[8:9], s[8:9], exec
	s_or_b64 s[4:5], s[4:5], s[8:9]
	s_or_b64 exec, exec, s[6:7]
	s_and_saveexec_b64 s[6:7], s[4:5]
	s_cbranch_execnz .LBB51_483
	s_branch .LBB51_484
.LBB51_2533:
	s_movk_i32 s4, 0x80
	v_cmp_eq_u16_sdwa s[12:13], v5, s4 src0_sel:BYTE_0 src1_sel:DWORD
	s_mov_b64 s[4:5], -1
                                        ; implicit-def: $sgpr10
	s_and_saveexec_b64 s[8:9], s[12:13]
; %bb.2534:
	s_mov_b32 s10, 0x7f800001
	s_xor_b64 s[4:5], exec, -1
; %bb.2535:
	s_or_b64 exec, exec, s[8:9]
	s_and_b64 s[4:5], s[4:5], exec
	s_or_saveexec_b64 s[6:7], s[6:7]
	v_mov_b32_e32 v3, s10
	s_xor_b64 exec, exec, s[6:7]
	s_cbranch_execz .LBB51_486
.LBB51_2536:
	v_mov_b32_e32 v3, 0
	v_cmp_ne_u16_sdwa s[8:9], v5, v3 src0_sel:BYTE_0 src1_sel:DWORD
	s_andn2_b64 s[4:5], s[4:5], exec
	s_and_b64 s[8:9], s[8:9], exec
	s_or_b64 s[4:5], s[4:5], s[8:9]
	s_or_b64 exec, exec, s[6:7]
	s_and_saveexec_b64 s[6:7], s[4:5]
	s_cbranch_execnz .LBB51_487
	s_branch .LBB51_488
.LBB51_2537:
	s_movk_i32 s4, 0x80
	v_cmp_eq_u16_sdwa s[12:13], v3, s4 src0_sel:BYTE_0 src1_sel:DWORD
	s_mov_b64 s[4:5], -1
                                        ; implicit-def: $sgpr10
	s_and_saveexec_b64 s[8:9], s[12:13]
; %bb.2538:
	s_mov_b32 s10, 0x7f800001
	s_xor_b64 s[4:5], exec, -1
; %bb.2539:
	s_or_b64 exec, exec, s[8:9]
	s_and_b64 s[4:5], s[4:5], exec
	s_or_saveexec_b64 s[6:7], s[6:7]
	v_mov_b32_e32 v2, s10
	s_xor_b64 exec, exec, s[6:7]
	s_cbranch_execz .LBB51_490
.LBB51_2540:
	v_mov_b32_e32 v2, 0
	v_cmp_ne_u16_sdwa s[8:9], v3, v2 src0_sel:BYTE_0 src1_sel:DWORD
	s_andn2_b64 s[4:5], s[4:5], exec
	s_and_b64 s[8:9], s[8:9], exec
	s_or_b64 s[4:5], s[4:5], s[8:9]
	s_or_b64 exec, exec, s[6:7]
	s_and_saveexec_b64 s[6:7], s[4:5]
	s_cbranch_execnz .LBB51_491
	s_branch .LBB51_492
.LBB51_2541:
	s_movk_i32 s4, 0x80
	v_cmp_eq_u16_sdwa s[12:13], v3, s4 src0_sel:BYTE_0 src1_sel:DWORD
	s_mov_b64 s[4:5], -1
                                        ; implicit-def: $sgpr10
	s_and_saveexec_b64 s[8:9], s[12:13]
; %bb.2542:
	s_mov_b32 s10, 0x7f800001
	s_xor_b64 s[4:5], exec, -1
; %bb.2543:
	s_or_b64 exec, exec, s[8:9]
	s_and_b64 s[4:5], s[4:5], exec
	s_or_saveexec_b64 s[6:7], s[6:7]
	v_mov_b32_e32 v4, s10
	s_xor_b64 exec, exec, s[6:7]
	s_cbranch_execz .LBB51_494
.LBB51_2544:
	v_mov_b32_e32 v4, 0
	v_cmp_ne_u16_sdwa s[8:9], v3, v4 src0_sel:BYTE_0 src1_sel:DWORD
	s_andn2_b64 s[4:5], s[4:5], exec
	s_and_b64 s[8:9], s[8:9], exec
	s_or_b64 s[4:5], s[4:5], s[8:9]
	s_or_b64 exec, exec, s[6:7]
	s_and_saveexec_b64 s[6:7], s[4:5]
	s_cbranch_execnz .LBB51_495
	s_branch .LBB51_496
.LBB51_2545:
	s_movk_i32 s4, 0x80
	v_cmp_eq_u16_e32 vcc, s4, v3
	s_mov_b64 s[4:5], -1
                                        ; implicit-def: $sgpr10
	s_and_saveexec_b64 s[8:9], vcc
; %bb.2546:
	s_mov_b32 s10, 0x7f800001
	s_xor_b64 s[4:5], exec, -1
; %bb.2547:
	s_or_b64 exec, exec, s[8:9]
	s_and_b64 s[4:5], s[4:5], exec
                                        ; implicit-def: $vgpr3
	s_or_saveexec_b64 s[6:7], s[6:7]
	v_mov_b32_e32 v2, s10
	s_xor_b64 exec, exec, s[6:7]
	s_cbranch_execz .LBB51_498
.LBB51_2548:
	v_cmp_ne_u16_e32 vcc, 0, v3
	s_andn2_b64 s[4:5], s[4:5], exec
	s_and_b64 s[8:9], vcc, exec
	v_mov_b32_e32 v2, 0
	s_or_b64 s[4:5], s[4:5], s[8:9]
	s_or_b64 exec, exec, s[6:7]
	s_and_saveexec_b64 s[6:7], s[4:5]
	s_cbranch_execnz .LBB51_499
	s_branch .LBB51_500
.LBB51_2549:
	s_movk_i32 s4, 0x80
	v_cmp_eq_u16_e32 vcc, s4, v3
	s_mov_b64 s[4:5], -1
                                        ; implicit-def: $sgpr10
	s_and_saveexec_b64 s[8:9], vcc
; %bb.2550:
	s_mov_b32 s10, 0x7f800001
	s_xor_b64 s[4:5], exec, -1
; %bb.2551:
	s_or_b64 exec, exec, s[8:9]
	s_and_b64 s[4:5], s[4:5], exec
                                        ; implicit-def: $vgpr3
	s_or_saveexec_b64 s[6:7], s[6:7]
	v_mov_b32_e32 v4, s10
	s_xor_b64 exec, exec, s[6:7]
	s_cbranch_execz .LBB51_502
.LBB51_2552:
	v_cmp_ne_u16_e32 vcc, 0, v3
	s_andn2_b64 s[4:5], s[4:5], exec
	s_and_b64 s[8:9], vcc, exec
	v_mov_b32_e32 v4, 0
	s_or_b64 s[4:5], s[4:5], s[8:9]
	s_or_b64 exec, exec, s[6:7]
	s_and_saveexec_b64 s[6:7], s[4:5]
	s_cbranch_execnz .LBB51_503
	s_branch .LBB51_504
.LBB51_2553:
	s_movk_i32 s4, 0x80
	v_cmp_eq_u16_sdwa s[12:13], v9, s4 src0_sel:BYTE_3 src1_sel:DWORD
	s_mov_b64 s[4:5], -1
                                        ; implicit-def: $sgpr10
	s_and_saveexec_b64 s[8:9], s[12:13]
; %bb.2554:
	s_mov_b32 s10, 0x7f800001
	s_xor_b64 s[4:5], exec, -1
; %bb.2555:
	s_or_b64 exec, exec, s[8:9]
	s_and_b64 s[4:5], s[4:5], exec
	s_or_saveexec_b64 s[6:7], s[6:7]
	v_mov_b32_e32 v2, s10
	s_xor_b64 exec, exec, s[6:7]
	s_cbranch_execz .LBB51_506
.LBB51_2556:
	v_mov_b32_e32 v2, 0
	v_cmp_ne_u16_sdwa s[8:9], v9, v2 src0_sel:BYTE_3 src1_sel:DWORD
	s_andn2_b64 s[4:5], s[4:5], exec
	s_and_b64 s[8:9], s[8:9], exec
	s_or_b64 s[4:5], s[4:5], s[8:9]
	s_or_b64 exec, exec, s[6:7]
	s_and_saveexec_b64 s[6:7], s[4:5]
	s_cbranch_execnz .LBB51_507
	s_branch .LBB51_508
.LBB51_2557:
	s_movk_i32 s4, 0x80
	v_cmp_eq_u16_sdwa s[12:13], v5, s4 src0_sel:BYTE_3 src1_sel:DWORD
	s_mov_b64 s[4:5], -1
                                        ; implicit-def: $sgpr10
	s_and_saveexec_b64 s[8:9], s[12:13]
; %bb.2558:
	s_mov_b32 s10, 0x7f800001
	s_xor_b64 s[4:5], exec, -1
; %bb.2559:
	s_or_b64 exec, exec, s[8:9]
	s_and_b64 s[4:5], s[4:5], exec
	s_or_saveexec_b64 s[6:7], s[6:7]
	v_mov_b32_e32 v3, s10
	s_xor_b64 exec, exec, s[6:7]
	s_cbranch_execz .LBB51_510
.LBB51_2560:
	v_mov_b32_e32 v3, 0
	v_cmp_ne_u16_sdwa s[8:9], v5, v3 src0_sel:BYTE_3 src1_sel:DWORD
	s_andn2_b64 s[4:5], s[4:5], exec
	s_and_b64 s[8:9], s[8:9], exec
	s_or_b64 s[4:5], s[4:5], s[8:9]
	s_or_b64 exec, exec, s[6:7]
	s_and_saveexec_b64 s[6:7], s[4:5]
	s_cbranch_execnz .LBB51_511
	s_branch .LBB51_512
.LBB51_2561:
	s_movk_i32 s4, 0x80
	v_cmp_eq_u16_sdwa s[12:13], v14, s4 src0_sel:BYTE_0 src1_sel:DWORD
	s_mov_b64 s[4:5], -1
                                        ; implicit-def: $sgpr10
	s_and_saveexec_b64 s[8:9], s[12:13]
; %bb.2562:
	s_mov_b32 s10, 0x7f800001
	s_xor_b64 s[4:5], exec, -1
; %bb.2563:
	s_or_b64 exec, exec, s[8:9]
	s_and_b64 s[4:5], s[4:5], exec
	s_or_saveexec_b64 s[6:7], s[6:7]
	v_mov_b32_e32 v20, s10
	s_xor_b64 exec, exec, s[6:7]
	s_cbranch_execz .LBB51_514
.LBB51_2564:
	v_mov_b32_e32 v20, 0
	v_cmp_ne_u16_sdwa s[8:9], v14, v20 src0_sel:BYTE_0 src1_sel:DWORD
	s_andn2_b64 s[4:5], s[4:5], exec
	s_and_b64 s[8:9], s[8:9], exec
	s_or_b64 s[4:5], s[4:5], s[8:9]
	s_or_b64 exec, exec, s[6:7]
	s_and_saveexec_b64 s[6:7], s[4:5]
	s_cbranch_execnz .LBB51_515
	s_branch .LBB51_516
.LBB51_2565:
	s_movk_i32 s4, 0x80
	v_cmp_eq_u16_sdwa s[12:13], v10, s4 src0_sel:BYTE_0 src1_sel:DWORD
	s_mov_b64 s[4:5], -1
                                        ; implicit-def: $sgpr10
	s_and_saveexec_b64 s[8:9], s[12:13]
; %bb.2566:
	s_mov_b32 s10, 0x7f800001
	s_xor_b64 s[4:5], exec, -1
; %bb.2567:
	s_or_b64 exec, exec, s[8:9]
	s_and_b64 s[4:5], s[4:5], exec
	s_or_saveexec_b64 s[6:7], s[6:7]
	v_mov_b32_e32 v21, s10
	s_xor_b64 exec, exec, s[6:7]
	s_cbranch_execz .LBB51_518
.LBB51_2568:
	v_mov_b32_e32 v21, 0
	v_cmp_ne_u16_sdwa s[8:9], v10, v21 src0_sel:BYTE_0 src1_sel:DWORD
	s_andn2_b64 s[4:5], s[4:5], exec
	s_and_b64 s[8:9], s[8:9], exec
	s_or_b64 s[4:5], s[4:5], s[8:9]
	s_or_b64 exec, exec, s[6:7]
	s_and_saveexec_b64 s[6:7], s[4:5]
	s_cbranch_execnz .LBB51_519
	s_branch .LBB51_520
.LBB51_2569:
	s_movk_i32 s4, 0x80
	v_cmp_eq_u16_sdwa s[12:13], v21, s4 src0_sel:BYTE_0 src1_sel:DWORD
	s_mov_b64 s[4:5], -1
                                        ; implicit-def: $sgpr10
	s_and_saveexec_b64 s[8:9], s[12:13]
; %bb.2570:
	s_mov_b32 s10, 0x7f800001
	s_xor_b64 s[4:5], exec, -1
; %bb.2571:
	s_or_b64 exec, exec, s[8:9]
	s_and_b64 s[4:5], s[4:5], exec
	s_or_saveexec_b64 s[6:7], s[6:7]
	v_mov_b32_e32 v20, s10
	s_xor_b64 exec, exec, s[6:7]
	s_cbranch_execz .LBB51_522
.LBB51_2572:
	v_mov_b32_e32 v20, 0
	v_cmp_ne_u16_sdwa s[8:9], v21, v20 src0_sel:BYTE_0 src1_sel:DWORD
	s_andn2_b64 s[4:5], s[4:5], exec
	s_and_b64 s[8:9], s[8:9], exec
	s_or_b64 s[4:5], s[4:5], s[8:9]
	s_or_b64 exec, exec, s[6:7]
	s_and_saveexec_b64 s[6:7], s[4:5]
	s_cbranch_execnz .LBB51_523
	s_branch .LBB51_524
.LBB51_2573:
	s_movk_i32 s4, 0x80
	v_cmp_eq_u16_sdwa s[12:13], v21, s4 src0_sel:BYTE_0 src1_sel:DWORD
	s_mov_b64 s[4:5], -1
                                        ; implicit-def: $sgpr10
	s_and_saveexec_b64 s[8:9], s[12:13]
; %bb.2574:
	s_mov_b32 s10, 0x7f800001
	s_xor_b64 s[4:5], exec, -1
; %bb.2575:
	s_or_b64 exec, exec, s[8:9]
	s_and_b64 s[4:5], s[4:5], exec
	s_or_saveexec_b64 s[6:7], s[6:7]
	v_mov_b32_e32 v22, s10
	s_xor_b64 exec, exec, s[6:7]
	s_cbranch_execz .LBB51_526
.LBB51_2576:
	v_mov_b32_e32 v22, 0
	v_cmp_ne_u16_sdwa s[8:9], v21, v22 src0_sel:BYTE_0 src1_sel:DWORD
	s_andn2_b64 s[4:5], s[4:5], exec
	s_and_b64 s[8:9], s[8:9], exec
	s_or_b64 s[4:5], s[4:5], s[8:9]
	s_or_b64 exec, exec, s[6:7]
	s_and_saveexec_b64 s[6:7], s[4:5]
	s_cbranch_execnz .LBB51_527
	s_branch .LBB51_528
.LBB51_2577:
	s_movk_i32 s4, 0x80
	v_cmp_eq_u16_e32 vcc, s4, v21
	s_mov_b64 s[4:5], -1
                                        ; implicit-def: $sgpr10
	s_and_saveexec_b64 s[8:9], vcc
; %bb.2578:
	s_mov_b32 s10, 0x7f800001
	s_xor_b64 s[4:5], exec, -1
; %bb.2579:
	s_or_b64 exec, exec, s[8:9]
	s_and_b64 s[4:5], s[4:5], exec
                                        ; implicit-def: $vgpr21
	s_or_saveexec_b64 s[6:7], s[6:7]
	v_mov_b32_e32 v20, s10
	s_xor_b64 exec, exec, s[6:7]
	s_cbranch_execz .LBB51_530
.LBB51_2580:
	v_cmp_ne_u16_e32 vcc, 0, v21
	s_andn2_b64 s[4:5], s[4:5], exec
	s_and_b64 s[8:9], vcc, exec
	v_mov_b32_e32 v20, 0
	s_or_b64 s[4:5], s[4:5], s[8:9]
	s_or_b64 exec, exec, s[6:7]
	s_and_saveexec_b64 s[6:7], s[4:5]
	s_cbranch_execnz .LBB51_531
	s_branch .LBB51_532
.LBB51_2581:
	s_movk_i32 s4, 0x80
	v_cmp_eq_u16_e32 vcc, s4, v21
	s_mov_b64 s[4:5], -1
                                        ; implicit-def: $sgpr10
	s_and_saveexec_b64 s[8:9], vcc
; %bb.2582:
	s_mov_b32 s10, 0x7f800001
	s_xor_b64 s[4:5], exec, -1
; %bb.2583:
	s_or_b64 exec, exec, s[8:9]
	s_and_b64 s[4:5], s[4:5], exec
                                        ; implicit-def: $vgpr21
	s_or_saveexec_b64 s[6:7], s[6:7]
	v_mov_b32_e32 v22, s10
	s_xor_b64 exec, exec, s[6:7]
	s_cbranch_execz .LBB51_534
.LBB51_2584:
	v_cmp_ne_u16_e32 vcc, 0, v21
	s_andn2_b64 s[4:5], s[4:5], exec
	s_and_b64 s[8:9], vcc, exec
	v_mov_b32_e32 v22, 0
	s_or_b64 s[4:5], s[4:5], s[8:9]
	s_or_b64 exec, exec, s[6:7]
	s_and_saveexec_b64 s[6:7], s[4:5]
	s_cbranch_execnz .LBB51_535
	s_branch .LBB51_536
.LBB51_2585:
	s_movk_i32 s4, 0x80
	v_cmp_eq_u16_sdwa s[12:13], v14, s4 src0_sel:BYTE_3 src1_sel:DWORD
	s_mov_b64 s[4:5], -1
                                        ; implicit-def: $sgpr10
	s_and_saveexec_b64 s[8:9], s[12:13]
; %bb.2586:
	s_mov_b32 s10, 0x7f800001
	s_xor_b64 s[4:5], exec, -1
; %bb.2587:
	s_or_b64 exec, exec, s[8:9]
	s_and_b64 s[4:5], s[4:5], exec
	s_or_saveexec_b64 s[6:7], s[6:7]
	v_mov_b32_e32 v20, s10
	s_xor_b64 exec, exec, s[6:7]
	s_cbranch_execz .LBB51_538
.LBB51_2588:
	v_mov_b32_e32 v20, 0
	v_cmp_ne_u16_sdwa s[8:9], v14, v20 src0_sel:BYTE_3 src1_sel:DWORD
	s_andn2_b64 s[4:5], s[4:5], exec
	s_and_b64 s[8:9], s[8:9], exec
	s_or_b64 s[4:5], s[4:5], s[8:9]
	s_or_b64 exec, exec, s[6:7]
	s_and_saveexec_b64 s[6:7], s[4:5]
	s_cbranch_execnz .LBB51_539
	s_branch .LBB51_540
.LBB51_2589:
	s_movk_i32 s4, 0x80
	v_cmp_eq_u16_sdwa s[12:13], v10, s4 src0_sel:BYTE_3 src1_sel:DWORD
	s_mov_b64 s[4:5], -1
                                        ; implicit-def: $sgpr10
	s_and_saveexec_b64 s[8:9], s[12:13]
; %bb.2590:
	s_mov_b32 s10, 0x7f800001
	s_xor_b64 s[4:5], exec, -1
; %bb.2591:
	s_or_b64 exec, exec, s[8:9]
	s_and_b64 s[4:5], s[4:5], exec
	s_or_saveexec_b64 s[6:7], s[6:7]
	v_mov_b32_e32 v14, s10
	s_xor_b64 exec, exec, s[6:7]
	s_cbranch_execz .LBB51_542
.LBB51_2592:
	v_mov_b32_e32 v14, 0
	v_cmp_ne_u16_sdwa s[8:9], v10, v14 src0_sel:BYTE_3 src1_sel:DWORD
	s_andn2_b64 s[4:5], s[4:5], exec
	s_and_b64 s[8:9], s[8:9], exec
	s_or_b64 s[4:5], s[4:5], s[8:9]
	s_or_b64 exec, exec, s[6:7]
	s_and_saveexec_b64 s[6:7], s[4:5]
	s_cbranch_execnz .LBB51_543
	s_branch .LBB51_544
.LBB51_2593:
	s_movk_i32 s4, 0x80
	v_cmp_eq_u16_sdwa s[12:13], v15, s4 src0_sel:BYTE_0 src1_sel:DWORD
	s_mov_b64 s[4:5], -1
                                        ; implicit-def: $sgpr10
	s_and_saveexec_b64 s[8:9], s[12:13]
; %bb.2594:
	s_mov_b32 s10, 0x7f800001
	s_xor_b64 s[4:5], exec, -1
; %bb.2595:
	s_or_b64 exec, exec, s[8:9]
	s_and_b64 s[4:5], s[4:5], exec
	s_or_saveexec_b64 s[6:7], s[6:7]
	v_mov_b32_e32 v10, s10
	s_xor_b64 exec, exec, s[6:7]
	s_cbranch_execz .LBB51_546
.LBB51_2596:
	v_mov_b32_e32 v10, 0
	v_cmp_ne_u16_sdwa s[8:9], v15, v10 src0_sel:BYTE_0 src1_sel:DWORD
	s_andn2_b64 s[4:5], s[4:5], exec
	s_and_b64 s[8:9], s[8:9], exec
	s_or_b64 s[4:5], s[4:5], s[8:9]
	s_or_b64 exec, exec, s[6:7]
	s_and_saveexec_b64 s[6:7], s[4:5]
	s_cbranch_execnz .LBB51_547
	s_branch .LBB51_548
.LBB51_2597:
	s_movk_i32 s4, 0x80
	v_cmp_eq_u16_sdwa s[12:13], v11, s4 src0_sel:BYTE_0 src1_sel:DWORD
	s_mov_b64 s[4:5], -1
                                        ; implicit-def: $sgpr10
	s_and_saveexec_b64 s[8:9], s[12:13]
; %bb.2598:
	s_mov_b32 s10, 0x7f800001
	s_xor_b64 s[4:5], exec, -1
; %bb.2599:
	s_or_b64 exec, exec, s[8:9]
	s_and_b64 s[4:5], s[4:5], exec
	s_or_saveexec_b64 s[6:7], s[6:7]
	v_mov_b32_e32 v14, s10
	s_xor_b64 exec, exec, s[6:7]
	s_cbranch_execz .LBB51_550
.LBB51_2600:
	v_mov_b32_e32 v14, 0
	v_cmp_ne_u16_sdwa s[8:9], v11, v14 src0_sel:BYTE_0 src1_sel:DWORD
	s_andn2_b64 s[4:5], s[4:5], exec
	s_and_b64 s[8:9], s[8:9], exec
	s_or_b64 s[4:5], s[4:5], s[8:9]
	s_or_b64 exec, exec, s[6:7]
	s_and_saveexec_b64 s[6:7], s[4:5]
	s_cbranch_execnz .LBB51_551
	s_branch .LBB51_552
.LBB51_2601:
	s_movk_i32 s4, 0x80
	v_cmp_eq_u16_sdwa s[12:13], v14, s4 src0_sel:BYTE_0 src1_sel:DWORD
	s_mov_b64 s[4:5], -1
                                        ; implicit-def: $sgpr10
	s_and_saveexec_b64 s[8:9], s[12:13]
; %bb.2602:
	s_mov_b32 s10, 0x7f800001
	s_xor_b64 s[4:5], exec, -1
; %bb.2603:
	s_or_b64 exec, exec, s[8:9]
	s_and_b64 s[4:5], s[4:5], exec
	s_or_saveexec_b64 s[6:7], s[6:7]
	v_mov_b32_e32 v10, s10
	s_xor_b64 exec, exec, s[6:7]
	s_cbranch_execz .LBB51_554
.LBB51_2604:
	v_mov_b32_e32 v10, 0
	v_cmp_ne_u16_sdwa s[8:9], v14, v10 src0_sel:BYTE_0 src1_sel:DWORD
	s_andn2_b64 s[4:5], s[4:5], exec
	s_and_b64 s[8:9], s[8:9], exec
	s_or_b64 s[4:5], s[4:5], s[8:9]
	s_or_b64 exec, exec, s[6:7]
	s_and_saveexec_b64 s[6:7], s[4:5]
	s_cbranch_execnz .LBB51_555
	s_branch .LBB51_556
.LBB51_2605:
	s_movk_i32 s4, 0x80
	v_cmp_eq_u16_sdwa s[12:13], v14, s4 src0_sel:BYTE_0 src1_sel:DWORD
	s_mov_b64 s[4:5], -1
                                        ; implicit-def: $sgpr10
	s_and_saveexec_b64 s[8:9], s[12:13]
; %bb.2606:
	s_mov_b32 s10, 0x7f800001
	s_xor_b64 s[4:5], exec, -1
; %bb.2607:
	s_or_b64 exec, exec, s[8:9]
	s_and_b64 s[4:5], s[4:5], exec
	s_or_saveexec_b64 s[6:7], s[6:7]
	v_mov_b32_e32 v20, s10
	s_xor_b64 exec, exec, s[6:7]
	s_cbranch_execz .LBB51_558
.LBB51_2608:
	v_mov_b32_e32 v20, 0
	v_cmp_ne_u16_sdwa s[8:9], v14, v20 src0_sel:BYTE_0 src1_sel:DWORD
	s_andn2_b64 s[4:5], s[4:5], exec
	s_and_b64 s[8:9], s[8:9], exec
	s_or_b64 s[4:5], s[4:5], s[8:9]
	s_or_b64 exec, exec, s[6:7]
	s_and_saveexec_b64 s[6:7], s[4:5]
	s_cbranch_execnz .LBB51_559
	s_branch .LBB51_560
.LBB51_2609:
	s_movk_i32 s4, 0x80
	v_cmp_eq_u16_e32 vcc, s4, v14
	s_mov_b64 s[4:5], -1
                                        ; implicit-def: $sgpr10
	s_and_saveexec_b64 s[8:9], vcc
; %bb.2610:
	s_mov_b32 s10, 0x7f800001
	s_xor_b64 s[4:5], exec, -1
; %bb.2611:
	s_or_b64 exec, exec, s[8:9]
	s_and_b64 s[4:5], s[4:5], exec
                                        ; implicit-def: $vgpr14
	s_or_saveexec_b64 s[6:7], s[6:7]
	v_mov_b32_e32 v10, s10
	s_xor_b64 exec, exec, s[6:7]
	s_cbranch_execz .LBB51_562
.LBB51_2612:
	v_cmp_ne_u16_e32 vcc, 0, v14
	s_andn2_b64 s[4:5], s[4:5], exec
	s_and_b64 s[8:9], vcc, exec
	v_mov_b32_e32 v10, 0
	s_or_b64 s[4:5], s[4:5], s[8:9]
	s_or_b64 exec, exec, s[6:7]
	s_and_saveexec_b64 s[6:7], s[4:5]
	s_cbranch_execnz .LBB51_563
	s_branch .LBB51_564
.LBB51_2613:
	s_movk_i32 s4, 0x80
	v_cmp_eq_u16_e32 vcc, s4, v14
	s_mov_b64 s[4:5], -1
                                        ; implicit-def: $sgpr10
	s_and_saveexec_b64 s[8:9], vcc
; %bb.2614:
	s_mov_b32 s10, 0x7f800001
	s_xor_b64 s[4:5], exec, -1
; %bb.2615:
	s_or_b64 exec, exec, s[8:9]
	s_and_b64 s[4:5], s[4:5], exec
                                        ; implicit-def: $vgpr14
	s_or_saveexec_b64 s[6:7], s[6:7]
	v_mov_b32_e32 v20, s10
	s_xor_b64 exec, exec, s[6:7]
	s_cbranch_execz .LBB51_566
.LBB51_2616:
	v_cmp_ne_u16_e32 vcc, 0, v14
	s_andn2_b64 s[4:5], s[4:5], exec
	s_and_b64 s[8:9], vcc, exec
	v_mov_b32_e32 v20, 0
	s_or_b64 s[4:5], s[4:5], s[8:9]
	s_or_b64 exec, exec, s[6:7]
	s_and_saveexec_b64 s[6:7], s[4:5]
	s_cbranch_execnz .LBB51_567
	s_branch .LBB51_568
.LBB51_2617:
	s_movk_i32 s4, 0x80
	v_cmp_eq_u16_sdwa s[12:13], v15, s4 src0_sel:BYTE_3 src1_sel:DWORD
	s_mov_b64 s[4:5], -1
                                        ; implicit-def: $sgpr10
	s_and_saveexec_b64 s[8:9], s[12:13]
; %bb.2618:
	s_mov_b32 s10, 0x7f800001
	s_xor_b64 s[4:5], exec, -1
; %bb.2619:
	s_or_b64 exec, exec, s[8:9]
	s_and_b64 s[4:5], s[4:5], exec
	s_or_saveexec_b64 s[6:7], s[6:7]
	v_mov_b32_e32 v10, s10
	s_xor_b64 exec, exec, s[6:7]
	s_cbranch_execz .LBB51_570
.LBB51_2620:
	v_mov_b32_e32 v10, 0
	v_cmp_ne_u16_sdwa s[8:9], v15, v10 src0_sel:BYTE_3 src1_sel:DWORD
	s_andn2_b64 s[4:5], s[4:5], exec
	s_and_b64 s[8:9], s[8:9], exec
	s_or_b64 s[4:5], s[4:5], s[8:9]
	s_or_b64 exec, exec, s[6:7]
	s_and_saveexec_b64 s[6:7], s[4:5]
	s_cbranch_execnz .LBB51_571
	s_branch .LBB51_572
.LBB51_2621:
	s_movk_i32 s4, 0x80
	v_cmp_eq_u16_sdwa s[12:13], v11, s4 src0_sel:BYTE_3 src1_sel:DWORD
	s_mov_b64 s[4:5], -1
                                        ; implicit-def: $sgpr10
	s_and_saveexec_b64 s[8:9], s[12:13]
; %bb.2622:
	s_mov_b32 s10, 0x7f800001
	s_xor_b64 s[4:5], exec, -1
; %bb.2623:
	s_or_b64 exec, exec, s[8:9]
	s_and_b64 s[4:5], s[4:5], exec
	s_or_saveexec_b64 s[6:7], s[6:7]
	v_mov_b32_e32 v14, s10
	s_xor_b64 exec, exec, s[6:7]
	s_cbranch_execz .LBB51_574
.LBB51_2624:
	v_mov_b32_e32 v14, 0
	v_cmp_ne_u16_sdwa s[8:9], v11, v14 src0_sel:BYTE_3 src1_sel:DWORD
	s_andn2_b64 s[4:5], s[4:5], exec
	s_and_b64 s[8:9], s[8:9], exec
	s_or_b64 s[4:5], s[4:5], s[8:9]
	s_or_b64 exec, exec, s[6:7]
	s_and_saveexec_b64 s[6:7], s[4:5]
	s_cbranch_execnz .LBB51_575
	s_branch .LBB51_576
.LBB51_2625:
	s_movk_i32 s4, 0x80
	v_cmp_eq_u16_sdwa s[12:13], v16, s4 src0_sel:BYTE_0 src1_sel:DWORD
	s_mov_b64 s[4:5], -1
                                        ; implicit-def: $sgpr10
	s_and_saveexec_b64 s[8:9], s[12:13]
; %bb.2626:
	s_mov_b32 s10, 0x7f800001
	s_xor_b64 s[4:5], exec, -1
; %bb.2627:
	s_or_b64 exec, exec, s[8:9]
	s_and_b64 s[4:5], s[4:5], exec
	s_or_saveexec_b64 s[6:7], s[6:7]
	v_mov_b32_e32 v10, s10
	s_xor_b64 exec, exec, s[6:7]
	s_cbranch_execz .LBB51_578
.LBB51_2628:
	v_mov_b32_e32 v10, 0
	v_cmp_ne_u16_sdwa s[8:9], v16, v10 src0_sel:BYTE_0 src1_sel:DWORD
	s_andn2_b64 s[4:5], s[4:5], exec
	s_and_b64 s[8:9], s[8:9], exec
	s_or_b64 s[4:5], s[4:5], s[8:9]
	s_or_b64 exec, exec, s[6:7]
	s_and_saveexec_b64 s[6:7], s[4:5]
	s_cbranch_execnz .LBB51_579
	s_branch .LBB51_580
.LBB51_2629:
	s_movk_i32 s4, 0x80
	v_cmp_eq_u16_sdwa s[12:13], v12, s4 src0_sel:BYTE_0 src1_sel:DWORD
	s_mov_b64 s[4:5], -1
                                        ; implicit-def: $sgpr10
	s_and_saveexec_b64 s[8:9], s[12:13]
; %bb.2630:
	s_mov_b32 s10, 0x7f800001
	s_xor_b64 s[4:5], exec, -1
; %bb.2631:
	s_or_b64 exec, exec, s[8:9]
	s_and_b64 s[4:5], s[4:5], exec
	s_or_saveexec_b64 s[6:7], s[6:7]
	v_mov_b32_e32 v11, s10
	s_xor_b64 exec, exec, s[6:7]
	s_cbranch_execz .LBB51_582
.LBB51_2632:
	v_mov_b32_e32 v11, 0
	v_cmp_ne_u16_sdwa s[8:9], v12, v11 src0_sel:BYTE_0 src1_sel:DWORD
	s_andn2_b64 s[4:5], s[4:5], exec
	s_and_b64 s[8:9], s[8:9], exec
	s_or_b64 s[4:5], s[4:5], s[8:9]
	s_or_b64 exec, exec, s[6:7]
	s_and_saveexec_b64 s[6:7], s[4:5]
	s_cbranch_execnz .LBB51_583
	s_branch .LBB51_584
.LBB51_2633:
	s_movk_i32 s4, 0x80
	v_cmp_eq_u16_sdwa s[12:13], v11, s4 src0_sel:BYTE_0 src1_sel:DWORD
	s_mov_b64 s[4:5], -1
                                        ; implicit-def: $sgpr10
	s_and_saveexec_b64 s[8:9], s[12:13]
; %bb.2634:
	s_mov_b32 s10, 0x7f800001
	s_xor_b64 s[4:5], exec, -1
; %bb.2635:
	s_or_b64 exec, exec, s[8:9]
	s_and_b64 s[4:5], s[4:5], exec
	s_or_saveexec_b64 s[6:7], s[6:7]
	v_mov_b32_e32 v10, s10
	s_xor_b64 exec, exec, s[6:7]
	s_cbranch_execz .LBB51_586
.LBB51_2636:
	v_mov_b32_e32 v10, 0
	v_cmp_ne_u16_sdwa s[8:9], v11, v10 src0_sel:BYTE_0 src1_sel:DWORD
	s_andn2_b64 s[4:5], s[4:5], exec
	s_and_b64 s[8:9], s[8:9], exec
	s_or_b64 s[4:5], s[4:5], s[8:9]
	s_or_b64 exec, exec, s[6:7]
	s_and_saveexec_b64 s[6:7], s[4:5]
	s_cbranch_execnz .LBB51_587
	s_branch .LBB51_588
.LBB51_2637:
	s_movk_i32 s4, 0x80
	v_cmp_eq_u16_sdwa s[12:13], v11, s4 src0_sel:BYTE_0 src1_sel:DWORD
	s_mov_b64 s[4:5], -1
                                        ; implicit-def: $sgpr10
	s_and_saveexec_b64 s[8:9], s[12:13]
; %bb.2638:
	s_mov_b32 s10, 0x7f800001
	s_xor_b64 s[4:5], exec, -1
; %bb.2639:
	s_or_b64 exec, exec, s[8:9]
	s_and_b64 s[4:5], s[4:5], exec
	s_or_saveexec_b64 s[6:7], s[6:7]
	v_mov_b32_e32 v14, s10
	s_xor_b64 exec, exec, s[6:7]
	s_cbranch_execz .LBB51_590
.LBB51_2640:
	v_mov_b32_e32 v14, 0
	v_cmp_ne_u16_sdwa s[8:9], v11, v14 src0_sel:BYTE_0 src1_sel:DWORD
	s_andn2_b64 s[4:5], s[4:5], exec
	s_and_b64 s[8:9], s[8:9], exec
	s_or_b64 s[4:5], s[4:5], s[8:9]
	s_or_b64 exec, exec, s[6:7]
	s_and_saveexec_b64 s[6:7], s[4:5]
	s_cbranch_execnz .LBB51_591
	s_branch .LBB51_592
.LBB51_2641:
	s_movk_i32 s4, 0x80
	v_cmp_eq_u16_e32 vcc, s4, v11
	s_mov_b64 s[4:5], -1
                                        ; implicit-def: $sgpr10
	s_and_saveexec_b64 s[8:9], vcc
; %bb.2642:
	s_mov_b32 s10, 0x7f800001
	s_xor_b64 s[4:5], exec, -1
; %bb.2643:
	s_or_b64 exec, exec, s[8:9]
	s_and_b64 s[4:5], s[4:5], exec
                                        ; implicit-def: $vgpr11
	s_or_saveexec_b64 s[6:7], s[6:7]
	v_mov_b32_e32 v10, s10
	s_xor_b64 exec, exec, s[6:7]
	s_cbranch_execz .LBB51_594
.LBB51_2644:
	v_cmp_ne_u16_e32 vcc, 0, v11
	s_andn2_b64 s[4:5], s[4:5], exec
	s_and_b64 s[8:9], vcc, exec
	v_mov_b32_e32 v10, 0
	s_or_b64 s[4:5], s[4:5], s[8:9]
	s_or_b64 exec, exec, s[6:7]
	s_and_saveexec_b64 s[6:7], s[4:5]
	s_cbranch_execnz .LBB51_595
	s_branch .LBB51_596
.LBB51_2645:
	s_movk_i32 s4, 0x80
	v_cmp_eq_u16_e32 vcc, s4, v11
	s_mov_b64 s[4:5], -1
                                        ; implicit-def: $sgpr10
	s_and_saveexec_b64 s[8:9], vcc
; %bb.2646:
	s_mov_b32 s10, 0x7f800001
	s_xor_b64 s[4:5], exec, -1
; %bb.2647:
	s_or_b64 exec, exec, s[8:9]
	s_and_b64 s[4:5], s[4:5], exec
                                        ; implicit-def: $vgpr11
	s_or_saveexec_b64 s[6:7], s[6:7]
	v_mov_b32_e32 v14, s10
	s_xor_b64 exec, exec, s[6:7]
	s_cbranch_execz .LBB51_598
.LBB51_2648:
	v_cmp_ne_u16_e32 vcc, 0, v11
	s_andn2_b64 s[4:5], s[4:5], exec
	s_and_b64 s[8:9], vcc, exec
	v_mov_b32_e32 v14, 0
	s_or_b64 s[4:5], s[4:5], s[8:9]
	s_or_b64 exec, exec, s[6:7]
	s_and_saveexec_b64 s[6:7], s[4:5]
	s_cbranch_execnz .LBB51_599
	s_branch .LBB51_600
.LBB51_2649:
	s_movk_i32 s4, 0x80
	v_cmp_eq_u16_sdwa s[12:13], v16, s4 src0_sel:BYTE_3 src1_sel:DWORD
	s_mov_b64 s[4:5], -1
                                        ; implicit-def: $sgpr10
	s_and_saveexec_b64 s[8:9], s[12:13]
; %bb.2650:
	s_mov_b32 s10, 0x7f800001
	s_xor_b64 s[4:5], exec, -1
; %bb.2651:
	s_or_b64 exec, exec, s[8:9]
	s_and_b64 s[4:5], s[4:5], exec
	s_or_saveexec_b64 s[6:7], s[6:7]
	v_mov_b32_e32 v10, s10
	s_xor_b64 exec, exec, s[6:7]
	s_cbranch_execz .LBB51_602
.LBB51_2652:
	v_mov_b32_e32 v10, 0
	v_cmp_ne_u16_sdwa s[8:9], v16, v10 src0_sel:BYTE_3 src1_sel:DWORD
	s_andn2_b64 s[4:5], s[4:5], exec
	s_and_b64 s[8:9], s[8:9], exec
	s_or_b64 s[4:5], s[4:5], s[8:9]
	s_or_b64 exec, exec, s[6:7]
	s_and_saveexec_b64 s[6:7], s[4:5]
	s_cbranch_execnz .LBB51_603
	s_branch .LBB51_604
.LBB51_2653:
	s_movk_i32 s4, 0x80
	v_cmp_eq_u16_sdwa s[12:13], v12, s4 src0_sel:BYTE_3 src1_sel:DWORD
	s_mov_b64 s[4:5], -1
                                        ; implicit-def: $sgpr10
	s_and_saveexec_b64 s[8:9], s[12:13]
; %bb.2654:
	s_mov_b32 s10, 0x7f800001
	s_xor_b64 s[4:5], exec, -1
; %bb.2655:
	s_or_b64 exec, exec, s[8:9]
	s_and_b64 s[4:5], s[4:5], exec
	s_or_saveexec_b64 s[6:7], s[6:7]
	v_mov_b32_e32 v11, s10
	s_xor_b64 exec, exec, s[6:7]
	s_cbranch_execz .LBB51_606
.LBB51_2656:
	v_mov_b32_e32 v11, 0
	v_cmp_ne_u16_sdwa s[8:9], v12, v11 src0_sel:BYTE_3 src1_sel:DWORD
	s_andn2_b64 s[4:5], s[4:5], exec
	s_and_b64 s[8:9], s[8:9], exec
	s_or_b64 s[4:5], s[4:5], s[8:9]
	s_or_b64 exec, exec, s[6:7]
	s_and_saveexec_b64 s[6:7], s[4:5]
	s_cbranch_execnz .LBB51_607
	s_branch .LBB51_608
.LBB51_2657:
	s_movk_i32 s4, 0x80
	v_cmp_eq_u16_sdwa s[12:13], v17, s4 src0_sel:BYTE_0 src1_sel:DWORD
	s_mov_b64 s[4:5], -1
                                        ; implicit-def: $sgpr10
	s_and_saveexec_b64 s[8:9], s[12:13]
; %bb.2658:
	s_mov_b32 s10, 0x7f800001
	s_xor_b64 s[4:5], exec, -1
; %bb.2659:
	s_or_b64 exec, exec, s[8:9]
	s_and_b64 s[4:5], s[4:5], exec
	s_or_saveexec_b64 s[6:7], s[6:7]
	v_mov_b32_e32 v10, s10
	s_xor_b64 exec, exec, s[6:7]
	s_cbranch_execz .LBB51_610
.LBB51_2660:
	v_mov_b32_e32 v10, 0
	v_cmp_ne_u16_sdwa s[8:9], v17, v10 src0_sel:BYTE_0 src1_sel:DWORD
	s_andn2_b64 s[4:5], s[4:5], exec
	s_and_b64 s[8:9], s[8:9], exec
	s_or_b64 s[4:5], s[4:5], s[8:9]
	s_or_b64 exec, exec, s[6:7]
	s_and_saveexec_b64 s[6:7], s[4:5]
	s_cbranch_execnz .LBB51_611
	s_branch .LBB51_612
.LBB51_2661:
	s_movk_i32 s4, 0x80
	v_cmp_eq_u16_sdwa s[12:13], v13, s4 src0_sel:BYTE_0 src1_sel:DWORD
	s_mov_b64 s[4:5], -1
                                        ; implicit-def: $sgpr10
	s_and_saveexec_b64 s[8:9], s[12:13]
; %bb.2662:
	s_mov_b32 s10, 0x7f800001
	s_xor_b64 s[4:5], exec, -1
; %bb.2663:
	s_or_b64 exec, exec, s[8:9]
	s_and_b64 s[4:5], s[4:5], exec
	s_or_saveexec_b64 s[6:7], s[6:7]
	v_mov_b32_e32 v11, s10
	s_xor_b64 exec, exec, s[6:7]
	s_cbranch_execz .LBB51_614
.LBB51_2664:
	v_mov_b32_e32 v11, 0
	v_cmp_ne_u16_sdwa s[8:9], v13, v11 src0_sel:BYTE_0 src1_sel:DWORD
	s_andn2_b64 s[4:5], s[4:5], exec
	s_and_b64 s[8:9], s[8:9], exec
	s_or_b64 s[4:5], s[4:5], s[8:9]
	s_or_b64 exec, exec, s[6:7]
	s_and_saveexec_b64 s[6:7], s[4:5]
	s_cbranch_execnz .LBB51_615
	s_branch .LBB51_616
.LBB51_2665:
	s_movk_i32 s4, 0x80
	v_cmp_eq_u16_sdwa s[12:13], v11, s4 src0_sel:BYTE_0 src1_sel:DWORD
	s_mov_b64 s[4:5], -1
                                        ; implicit-def: $sgpr10
	s_and_saveexec_b64 s[8:9], s[12:13]
; %bb.2666:
	s_mov_b32 s10, 0x7f800001
	s_xor_b64 s[4:5], exec, -1
; %bb.2667:
	s_or_b64 exec, exec, s[8:9]
	s_and_b64 s[4:5], s[4:5], exec
	s_or_saveexec_b64 s[6:7], s[6:7]
	v_mov_b32_e32 v10, s10
	s_xor_b64 exec, exec, s[6:7]
	s_cbranch_execz .LBB51_618
.LBB51_2668:
	v_mov_b32_e32 v10, 0
	v_cmp_ne_u16_sdwa s[8:9], v11, v10 src0_sel:BYTE_0 src1_sel:DWORD
	s_andn2_b64 s[4:5], s[4:5], exec
	s_and_b64 s[8:9], s[8:9], exec
	s_or_b64 s[4:5], s[4:5], s[8:9]
	s_or_b64 exec, exec, s[6:7]
	s_and_saveexec_b64 s[6:7], s[4:5]
	s_cbranch_execnz .LBB51_619
	s_branch .LBB51_620
.LBB51_2669:
	s_movk_i32 s4, 0x80
	v_cmp_eq_u16_sdwa s[12:13], v11, s4 src0_sel:BYTE_0 src1_sel:DWORD
	s_mov_b64 s[4:5], -1
                                        ; implicit-def: $sgpr10
	s_and_saveexec_b64 s[8:9], s[12:13]
; %bb.2670:
	s_mov_b32 s10, 0x7f800001
	s_xor_b64 s[4:5], exec, -1
; %bb.2671:
	s_or_b64 exec, exec, s[8:9]
	s_and_b64 s[4:5], s[4:5], exec
	s_or_saveexec_b64 s[6:7], s[6:7]
	v_mov_b32_e32 v12, s10
	s_xor_b64 exec, exec, s[6:7]
	s_cbranch_execz .LBB51_622
.LBB51_2672:
	v_mov_b32_e32 v12, 0
	v_cmp_ne_u16_sdwa s[8:9], v11, v12 src0_sel:BYTE_0 src1_sel:DWORD
	s_andn2_b64 s[4:5], s[4:5], exec
	s_and_b64 s[8:9], s[8:9], exec
	s_or_b64 s[4:5], s[4:5], s[8:9]
	s_or_b64 exec, exec, s[6:7]
	s_and_saveexec_b64 s[6:7], s[4:5]
	s_cbranch_execnz .LBB51_623
	s_branch .LBB51_624
.LBB51_2673:
	s_movk_i32 s4, 0x80
	v_cmp_eq_u16_e32 vcc, s4, v11
	s_mov_b64 s[4:5], -1
                                        ; implicit-def: $sgpr10
	s_and_saveexec_b64 s[8:9], vcc
; %bb.2674:
	s_mov_b32 s10, 0x7f800001
	s_xor_b64 s[4:5], exec, -1
; %bb.2675:
	s_or_b64 exec, exec, s[8:9]
	s_and_b64 s[4:5], s[4:5], exec
                                        ; implicit-def: $vgpr11
	s_or_saveexec_b64 s[6:7], s[6:7]
	v_mov_b32_e32 v10, s10
	s_xor_b64 exec, exec, s[6:7]
	s_cbranch_execz .LBB51_626
.LBB51_2676:
	v_cmp_ne_u16_e32 vcc, 0, v11
	s_andn2_b64 s[4:5], s[4:5], exec
	s_and_b64 s[8:9], vcc, exec
	v_mov_b32_e32 v10, 0
	s_or_b64 s[4:5], s[4:5], s[8:9]
	s_or_b64 exec, exec, s[6:7]
	s_and_saveexec_b64 s[6:7], s[4:5]
	s_cbranch_execnz .LBB51_627
	s_branch .LBB51_628
.LBB51_2677:
	s_movk_i32 s4, 0x80
	v_cmp_eq_u16_e32 vcc, s4, v11
	s_mov_b64 s[4:5], -1
                                        ; implicit-def: $sgpr10
	s_and_saveexec_b64 s[8:9], vcc
; %bb.2678:
	s_mov_b32 s10, 0x7f800001
	s_xor_b64 s[4:5], exec, -1
; %bb.2679:
	s_or_b64 exec, exec, s[8:9]
	s_and_b64 s[4:5], s[4:5], exec
                                        ; implicit-def: $vgpr11
	s_or_saveexec_b64 s[6:7], s[6:7]
	v_mov_b32_e32 v12, s10
	s_xor_b64 exec, exec, s[6:7]
	s_cbranch_execz .LBB51_630
.LBB51_2680:
	v_cmp_ne_u16_e32 vcc, 0, v11
	s_andn2_b64 s[4:5], s[4:5], exec
	s_and_b64 s[8:9], vcc, exec
	v_mov_b32_e32 v12, 0
	s_or_b64 s[4:5], s[4:5], s[8:9]
	s_or_b64 exec, exec, s[6:7]
	s_and_saveexec_b64 s[6:7], s[4:5]
	s_cbranch_execnz .LBB51_631
	s_branch .LBB51_632
.LBB51_2681:
	s_movk_i32 s4, 0x80
	v_cmp_eq_u16_sdwa s[12:13], v17, s4 src0_sel:BYTE_3 src1_sel:DWORD
	s_mov_b64 s[4:5], -1
                                        ; implicit-def: $sgpr10
	s_and_saveexec_b64 s[8:9], s[12:13]
; %bb.2682:
	s_mov_b32 s10, 0x7f800001
	s_xor_b64 s[4:5], exec, -1
; %bb.2683:
	s_or_b64 exec, exec, s[8:9]
	s_and_b64 s[4:5], s[4:5], exec
	s_or_saveexec_b64 s[6:7], s[6:7]
	v_mov_b32_e32 v10, s10
	s_xor_b64 exec, exec, s[6:7]
	s_cbranch_execz .LBB51_634
.LBB51_2684:
	v_mov_b32_e32 v10, 0
	v_cmp_ne_u16_sdwa s[8:9], v17, v10 src0_sel:BYTE_3 src1_sel:DWORD
	s_andn2_b64 s[4:5], s[4:5], exec
	s_and_b64 s[8:9], s[8:9], exec
	s_or_b64 s[4:5], s[4:5], s[8:9]
	s_or_b64 exec, exec, s[6:7]
	s_and_saveexec_b64 s[6:7], s[4:5]
	s_cbranch_execnz .LBB51_635
	s_branch .LBB51_636
.LBB51_2685:
	s_movk_i32 s4, 0x80
	v_cmp_eq_u16_sdwa s[12:13], v13, s4 src0_sel:BYTE_3 src1_sel:DWORD
	s_mov_b64 s[4:5], -1
                                        ; implicit-def: $sgpr10
	s_and_saveexec_b64 s[8:9], s[12:13]
; %bb.2686:
	s_mov_b32 s10, 0x7f800001
	s_xor_b64 s[4:5], exec, -1
; %bb.2687:
	s_or_b64 exec, exec, s[8:9]
	s_and_b64 s[4:5], s[4:5], exec
	s_or_saveexec_b64 s[6:7], s[6:7]
	v_mov_b32_e32 v11, s10
	s_xor_b64 exec, exec, s[6:7]
	s_cbranch_execz .LBB51_638
.LBB51_2688:
	v_mov_b32_e32 v11, 0
	v_cmp_ne_u16_sdwa s[8:9], v13, v11 src0_sel:BYTE_3 src1_sel:DWORD
	s_andn2_b64 s[4:5], s[4:5], exec
	s_and_b64 s[8:9], s[8:9], exec
	s_or_b64 s[4:5], s[4:5], s[8:9]
	s_or_b64 exec, exec, s[6:7]
	s_and_saveexec_b64 s[6:7], s[4:5]
	s_cbranch_execnz .LBB51_639
	s_branch .LBB51_640
.LBB51_2689:
	s_movk_i32 s4, 0x80
	v_cmp_eq_u16_sdwa s[12:13], v6, s4 src0_sel:BYTE_0 src1_sel:DWORD
	s_mov_b64 s[4:5], -1
                                        ; implicit-def: $sgpr10
	s_and_saveexec_b64 s[8:9], s[12:13]
; %bb.2690:
	s_mov_b32 s10, 0x7f800001
	s_xor_b64 s[4:5], exec, -1
; %bb.2691:
	s_or_b64 exec, exec, s[8:9]
	s_and_b64 s[4:5], s[4:5], exec
	s_or_saveexec_b64 s[6:7], s[6:7]
	v_mov_b32_e32 v10, s10
	s_xor_b64 exec, exec, s[6:7]
	s_cbranch_execz .LBB51_642
.LBB51_2692:
	v_mov_b32_e32 v10, 0
	v_cmp_ne_u16_sdwa s[8:9], v6, v10 src0_sel:BYTE_0 src1_sel:DWORD
	s_andn2_b64 s[4:5], s[4:5], exec
	s_and_b64 s[8:9], s[8:9], exec
	s_or_b64 s[4:5], s[4:5], s[8:9]
	s_or_b64 exec, exec, s[6:7]
	s_and_saveexec_b64 s[6:7], s[4:5]
	s_cbranch_execnz .LBB51_643
	s_branch .LBB51_644
.LBB51_2693:
	s_movk_i32 s4, 0x80
	v_cmp_eq_u16_sdwa s[12:13], v2, s4 src0_sel:BYTE_0 src1_sel:DWORD
	s_mov_b64 s[4:5], -1
                                        ; implicit-def: $sgpr10
	s_and_saveexec_b64 s[8:9], s[12:13]
; %bb.2694:
	s_mov_b32 s10, 0x7f800001
	s_xor_b64 s[4:5], exec, -1
; %bb.2695:
	s_or_b64 exec, exec, s[8:9]
	s_and_b64 s[4:5], s[4:5], exec
	s_or_saveexec_b64 s[6:7], s[6:7]
	v_mov_b32_e32 v11, s10
	s_xor_b64 exec, exec, s[6:7]
	s_cbranch_execz .LBB51_646
.LBB51_2696:
	v_mov_b32_e32 v11, 0
	v_cmp_ne_u16_sdwa s[8:9], v2, v11 src0_sel:BYTE_0 src1_sel:DWORD
	s_andn2_b64 s[4:5], s[4:5], exec
	s_and_b64 s[8:9], s[8:9], exec
	s_or_b64 s[4:5], s[4:5], s[8:9]
	s_or_b64 exec, exec, s[6:7]
	s_and_saveexec_b64 s[6:7], s[4:5]
	s_cbranch_execnz .LBB51_647
	s_branch .LBB51_648
.LBB51_2697:
	s_movk_i32 s4, 0x80
	v_cmp_eq_u16_sdwa s[12:13], v11, s4 src0_sel:BYTE_0 src1_sel:DWORD
	s_mov_b64 s[4:5], -1
                                        ; implicit-def: $sgpr10
	s_and_saveexec_b64 s[8:9], s[12:13]
; %bb.2698:
	s_mov_b32 s10, 0x7f800001
	s_xor_b64 s[4:5], exec, -1
; %bb.2699:
	s_or_b64 exec, exec, s[8:9]
	s_and_b64 s[4:5], s[4:5], exec
	s_or_saveexec_b64 s[6:7], s[6:7]
	v_mov_b32_e32 v10, s10
	s_xor_b64 exec, exec, s[6:7]
	s_cbranch_execz .LBB51_650
.LBB51_2700:
	v_mov_b32_e32 v10, 0
	v_cmp_ne_u16_sdwa s[8:9], v11, v10 src0_sel:BYTE_0 src1_sel:DWORD
	s_andn2_b64 s[4:5], s[4:5], exec
	s_and_b64 s[8:9], s[8:9], exec
	s_or_b64 s[4:5], s[4:5], s[8:9]
	s_or_b64 exec, exec, s[6:7]
	s_and_saveexec_b64 s[6:7], s[4:5]
	s_cbranch_execnz .LBB51_651
	s_branch .LBB51_652
.LBB51_2701:
	s_movk_i32 s4, 0x80
	v_cmp_eq_u16_sdwa s[12:13], v11, s4 src0_sel:BYTE_0 src1_sel:DWORD
	s_mov_b64 s[4:5], -1
                                        ; implicit-def: $sgpr10
	s_and_saveexec_b64 s[8:9], s[12:13]
; %bb.2702:
	s_mov_b32 s10, 0x7f800001
	s_xor_b64 s[4:5], exec, -1
; %bb.2703:
	s_or_b64 exec, exec, s[8:9]
	s_and_b64 s[4:5], s[4:5], exec
	s_or_saveexec_b64 s[6:7], s[6:7]
	v_mov_b32_e32 v12, s10
	s_xor_b64 exec, exec, s[6:7]
	s_cbranch_execz .LBB51_654
.LBB51_2704:
	v_mov_b32_e32 v12, 0
	v_cmp_ne_u16_sdwa s[8:9], v11, v12 src0_sel:BYTE_0 src1_sel:DWORD
	s_andn2_b64 s[4:5], s[4:5], exec
	s_and_b64 s[8:9], s[8:9], exec
	s_or_b64 s[4:5], s[4:5], s[8:9]
	s_or_b64 exec, exec, s[6:7]
	s_and_saveexec_b64 s[6:7], s[4:5]
	s_cbranch_execnz .LBB51_655
	s_branch .LBB51_656
.LBB51_2705:
	s_movk_i32 s4, 0x80
	v_cmp_eq_u16_e32 vcc, s4, v11
	s_mov_b64 s[4:5], -1
                                        ; implicit-def: $sgpr10
	s_and_saveexec_b64 s[8:9], vcc
; %bb.2706:
	s_mov_b32 s10, 0x7f800001
	s_xor_b64 s[4:5], exec, -1
; %bb.2707:
	s_or_b64 exec, exec, s[8:9]
	s_and_b64 s[4:5], s[4:5], exec
                                        ; implicit-def: $vgpr11
	s_or_saveexec_b64 s[6:7], s[6:7]
	v_mov_b32_e32 v10, s10
	s_xor_b64 exec, exec, s[6:7]
	s_cbranch_execz .LBB51_658
.LBB51_2708:
	v_cmp_ne_u16_e32 vcc, 0, v11
	s_andn2_b64 s[4:5], s[4:5], exec
	s_and_b64 s[8:9], vcc, exec
	v_mov_b32_e32 v10, 0
	s_or_b64 s[4:5], s[4:5], s[8:9]
	s_or_b64 exec, exec, s[6:7]
	s_and_saveexec_b64 s[6:7], s[4:5]
	s_cbranch_execnz .LBB51_659
	s_branch .LBB51_660
.LBB51_2709:
	s_movk_i32 s4, 0x80
	v_cmp_eq_u16_e32 vcc, s4, v11
	s_mov_b64 s[4:5], -1
                                        ; implicit-def: $sgpr10
	s_and_saveexec_b64 s[8:9], vcc
; %bb.2710:
	s_mov_b32 s10, 0x7f800001
	s_xor_b64 s[4:5], exec, -1
; %bb.2711:
	s_or_b64 exec, exec, s[8:9]
	s_and_b64 s[4:5], s[4:5], exec
                                        ; implicit-def: $vgpr11
	s_or_saveexec_b64 s[6:7], s[6:7]
	v_mov_b32_e32 v12, s10
	s_xor_b64 exec, exec, s[6:7]
	s_cbranch_execz .LBB51_662
.LBB51_2712:
	v_cmp_ne_u16_e32 vcc, 0, v11
	s_andn2_b64 s[4:5], s[4:5], exec
	s_and_b64 s[8:9], vcc, exec
	v_mov_b32_e32 v12, 0
	s_or_b64 s[4:5], s[4:5], s[8:9]
	s_or_b64 exec, exec, s[6:7]
	s_and_saveexec_b64 s[6:7], s[4:5]
	s_cbranch_execnz .LBB51_663
	s_branch .LBB51_664
.LBB51_2713:
	s_movk_i32 s4, 0x80
	v_cmp_eq_u16_sdwa s[12:13], v6, s4 src0_sel:BYTE_3 src1_sel:DWORD
	s_mov_b64 s[4:5], -1
                                        ; implicit-def: $sgpr10
	s_and_saveexec_b64 s[8:9], s[12:13]
; %bb.2714:
	s_mov_b32 s10, 0x7f800001
	s_xor_b64 s[4:5], exec, -1
; %bb.2715:
	s_or_b64 exec, exec, s[8:9]
	s_and_b64 s[4:5], s[4:5], exec
	s_or_saveexec_b64 s[6:7], s[6:7]
	v_mov_b32_e32 v10, s10
	s_xor_b64 exec, exec, s[6:7]
	s_cbranch_execz .LBB51_666
.LBB51_2716:
	v_mov_b32_e32 v10, 0
	v_cmp_ne_u16_sdwa s[8:9], v6, v10 src0_sel:BYTE_3 src1_sel:DWORD
	s_andn2_b64 s[4:5], s[4:5], exec
	s_and_b64 s[8:9], s[8:9], exec
	s_or_b64 s[4:5], s[4:5], s[8:9]
	s_or_b64 exec, exec, s[6:7]
	s_and_saveexec_b64 s[6:7], s[4:5]
	s_cbranch_execnz .LBB51_667
	s_branch .LBB51_668
.LBB51_2717:
	s_movk_i32 s4, 0x80
	v_cmp_eq_u16_sdwa s[12:13], v2, s4 src0_sel:BYTE_3 src1_sel:DWORD
	s_mov_b64 s[4:5], -1
                                        ; implicit-def: $sgpr10
	s_and_saveexec_b64 s[8:9], s[12:13]
; %bb.2718:
	s_mov_b32 s10, 0x7f800001
	s_xor_b64 s[4:5], exec, -1
; %bb.2719:
	s_or_b64 exec, exec, s[8:9]
	s_and_b64 s[4:5], s[4:5], exec
	s_or_saveexec_b64 s[6:7], s[6:7]
	v_mov_b32_e32 v6, s10
	s_xor_b64 exec, exec, s[6:7]
	s_cbranch_execz .LBB51_670
.LBB51_2720:
	v_mov_b32_e32 v6, 0
	v_cmp_ne_u16_sdwa s[8:9], v2, v6 src0_sel:BYTE_3 src1_sel:DWORD
	s_andn2_b64 s[4:5], s[4:5], exec
	s_and_b64 s[8:9], s[8:9], exec
	s_or_b64 s[4:5], s[4:5], s[8:9]
	s_or_b64 exec, exec, s[6:7]
	s_and_saveexec_b64 s[6:7], s[4:5]
	s_cbranch_execnz .LBB51_671
	s_branch .LBB51_672
.LBB51_2721:
	s_movk_i32 s4, 0x80
	v_cmp_eq_u16_sdwa s[12:13], v7, s4 src0_sel:BYTE_0 src1_sel:DWORD
	s_mov_b64 s[4:5], -1
                                        ; implicit-def: $sgpr10
	s_and_saveexec_b64 s[8:9], s[12:13]
; %bb.2722:
	s_mov_b32 s10, 0x7f800001
	s_xor_b64 s[4:5], exec, -1
; %bb.2723:
	s_or_b64 exec, exec, s[8:9]
	s_and_b64 s[4:5], s[4:5], exec
	s_or_saveexec_b64 s[6:7], s[6:7]
	v_mov_b32_e32 v2, s10
	s_xor_b64 exec, exec, s[6:7]
	s_cbranch_execz .LBB51_674
.LBB51_2724:
	v_mov_b32_e32 v2, 0
	v_cmp_ne_u16_sdwa s[8:9], v7, v2 src0_sel:BYTE_0 src1_sel:DWORD
	s_andn2_b64 s[4:5], s[4:5], exec
	s_and_b64 s[8:9], s[8:9], exec
	s_or_b64 s[4:5], s[4:5], s[8:9]
	s_or_b64 exec, exec, s[6:7]
	s_and_saveexec_b64 s[6:7], s[4:5]
	s_cbranch_execnz .LBB51_675
	s_branch .LBB51_676
.LBB51_2725:
	s_movk_i32 s4, 0x80
	v_cmp_eq_u16_sdwa s[12:13], v3, s4 src0_sel:BYTE_0 src1_sel:DWORD
	s_mov_b64 s[4:5], -1
                                        ; implicit-def: $sgpr10
	s_and_saveexec_b64 s[8:9], s[12:13]
; %bb.2726:
	s_mov_b32 s10, 0x7f800001
	s_xor_b64 s[4:5], exec, -1
; %bb.2727:
	s_or_b64 exec, exec, s[8:9]
	s_and_b64 s[4:5], s[4:5], exec
	s_or_saveexec_b64 s[6:7], s[6:7]
	v_mov_b32_e32 v6, s10
	s_xor_b64 exec, exec, s[6:7]
	s_cbranch_execz .LBB51_678
.LBB51_2728:
	v_mov_b32_e32 v6, 0
	v_cmp_ne_u16_sdwa s[8:9], v3, v6 src0_sel:BYTE_0 src1_sel:DWORD
	s_andn2_b64 s[4:5], s[4:5], exec
	s_and_b64 s[8:9], s[8:9], exec
	s_or_b64 s[4:5], s[4:5], s[8:9]
	s_or_b64 exec, exec, s[6:7]
	s_and_saveexec_b64 s[6:7], s[4:5]
	s_cbranch_execnz .LBB51_679
	s_branch .LBB51_680
.LBB51_2729:
	s_movk_i32 s4, 0x80
	v_cmp_eq_u16_sdwa s[12:13], v6, s4 src0_sel:BYTE_0 src1_sel:DWORD
	s_mov_b64 s[4:5], -1
                                        ; implicit-def: $sgpr10
	s_and_saveexec_b64 s[8:9], s[12:13]
; %bb.2730:
	s_mov_b32 s10, 0x7f800001
	s_xor_b64 s[4:5], exec, -1
; %bb.2731:
	s_or_b64 exec, exec, s[8:9]
	s_and_b64 s[4:5], s[4:5], exec
	s_or_saveexec_b64 s[6:7], s[6:7]
	v_mov_b32_e32 v2, s10
	s_xor_b64 exec, exec, s[6:7]
	s_cbranch_execz .LBB51_682
.LBB51_2732:
	v_mov_b32_e32 v2, 0
	v_cmp_ne_u16_sdwa s[8:9], v6, v2 src0_sel:BYTE_0 src1_sel:DWORD
	s_andn2_b64 s[4:5], s[4:5], exec
	s_and_b64 s[8:9], s[8:9], exec
	s_or_b64 s[4:5], s[4:5], s[8:9]
	s_or_b64 exec, exec, s[6:7]
	s_and_saveexec_b64 s[6:7], s[4:5]
	s_cbranch_execnz .LBB51_683
	s_branch .LBB51_684
.LBB51_2733:
	s_movk_i32 s4, 0x80
	v_cmp_eq_u16_sdwa s[12:13], v6, s4 src0_sel:BYTE_0 src1_sel:DWORD
	s_mov_b64 s[4:5], -1
                                        ; implicit-def: $sgpr10
	s_and_saveexec_b64 s[8:9], s[12:13]
; %bb.2734:
	s_mov_b32 s10, 0x7f800001
	s_xor_b64 s[4:5], exec, -1
; %bb.2735:
	s_or_b64 exec, exec, s[8:9]
	s_and_b64 s[4:5], s[4:5], exec
	s_or_saveexec_b64 s[6:7], s[6:7]
	v_mov_b32_e32 v10, s10
	s_xor_b64 exec, exec, s[6:7]
	s_cbranch_execz .LBB51_686
.LBB51_2736:
	v_mov_b32_e32 v10, 0
	v_cmp_ne_u16_sdwa s[8:9], v6, v10 src0_sel:BYTE_0 src1_sel:DWORD
	s_andn2_b64 s[4:5], s[4:5], exec
	s_and_b64 s[8:9], s[8:9], exec
	s_or_b64 s[4:5], s[4:5], s[8:9]
	s_or_b64 exec, exec, s[6:7]
	s_and_saveexec_b64 s[6:7], s[4:5]
	s_cbranch_execnz .LBB51_687
	s_branch .LBB51_688
.LBB51_2737:
	s_movk_i32 s4, 0x80
	v_cmp_eq_u16_e32 vcc, s4, v6
	s_mov_b64 s[4:5], -1
                                        ; implicit-def: $sgpr10
	s_and_saveexec_b64 s[8:9], vcc
; %bb.2738:
	s_mov_b32 s10, 0x7f800001
	s_xor_b64 s[4:5], exec, -1
; %bb.2739:
	s_or_b64 exec, exec, s[8:9]
	s_and_b64 s[4:5], s[4:5], exec
                                        ; implicit-def: $vgpr6
	s_or_saveexec_b64 s[6:7], s[6:7]
	v_mov_b32_e32 v2, s10
	s_xor_b64 exec, exec, s[6:7]
	s_cbranch_execz .LBB51_690
.LBB51_2740:
	v_cmp_ne_u16_e32 vcc, 0, v6
	s_andn2_b64 s[4:5], s[4:5], exec
	s_and_b64 s[8:9], vcc, exec
	v_mov_b32_e32 v2, 0
	s_or_b64 s[4:5], s[4:5], s[8:9]
	s_or_b64 exec, exec, s[6:7]
	s_and_saveexec_b64 s[6:7], s[4:5]
	s_cbranch_execnz .LBB51_691
	s_branch .LBB51_692
.LBB51_2741:
	s_movk_i32 s4, 0x80
	v_cmp_eq_u16_e32 vcc, s4, v6
	s_mov_b64 s[4:5], -1
                                        ; implicit-def: $sgpr10
	s_and_saveexec_b64 s[8:9], vcc
; %bb.2742:
	s_mov_b32 s10, 0x7f800001
	s_xor_b64 s[4:5], exec, -1
; %bb.2743:
	s_or_b64 exec, exec, s[8:9]
	s_and_b64 s[4:5], s[4:5], exec
                                        ; implicit-def: $vgpr6
	s_or_saveexec_b64 s[6:7], s[6:7]
	v_mov_b32_e32 v10, s10
	s_xor_b64 exec, exec, s[6:7]
	s_cbranch_execz .LBB51_694
.LBB51_2744:
	v_cmp_ne_u16_e32 vcc, 0, v6
	s_andn2_b64 s[4:5], s[4:5], exec
	s_and_b64 s[8:9], vcc, exec
	v_mov_b32_e32 v10, 0
	s_or_b64 s[4:5], s[4:5], s[8:9]
	s_or_b64 exec, exec, s[6:7]
	s_and_saveexec_b64 s[6:7], s[4:5]
	s_cbranch_execnz .LBB51_695
	s_branch .LBB51_696
.LBB51_2745:
	s_movk_i32 s4, 0x80
	v_cmp_eq_u16_sdwa s[12:13], v7, s4 src0_sel:BYTE_3 src1_sel:DWORD
	s_mov_b64 s[4:5], -1
                                        ; implicit-def: $sgpr10
	s_and_saveexec_b64 s[8:9], s[12:13]
; %bb.2746:
	s_mov_b32 s10, 0x7f800001
	s_xor_b64 s[4:5], exec, -1
; %bb.2747:
	s_or_b64 exec, exec, s[8:9]
	s_and_b64 s[4:5], s[4:5], exec
	s_or_saveexec_b64 s[6:7], s[6:7]
	v_mov_b32_e32 v2, s10
	s_xor_b64 exec, exec, s[6:7]
	s_cbranch_execz .LBB51_698
.LBB51_2748:
	v_mov_b32_e32 v2, 0
	v_cmp_ne_u16_sdwa s[8:9], v7, v2 src0_sel:BYTE_3 src1_sel:DWORD
	s_andn2_b64 s[4:5], s[4:5], exec
	s_and_b64 s[8:9], s[8:9], exec
	s_or_b64 s[4:5], s[4:5], s[8:9]
	s_or_b64 exec, exec, s[6:7]
	s_and_saveexec_b64 s[6:7], s[4:5]
	s_cbranch_execnz .LBB51_699
	s_branch .LBB51_700
.LBB51_2749:
	s_movk_i32 s4, 0x80
	v_cmp_eq_u16_sdwa s[12:13], v3, s4 src0_sel:BYTE_3 src1_sel:DWORD
	s_mov_b64 s[4:5], -1
                                        ; implicit-def: $sgpr10
	s_and_saveexec_b64 s[8:9], s[12:13]
; %bb.2750:
	s_mov_b32 s10, 0x7f800001
	s_xor_b64 s[4:5], exec, -1
; %bb.2751:
	s_or_b64 exec, exec, s[8:9]
	s_and_b64 s[4:5], s[4:5], exec
	s_or_saveexec_b64 s[6:7], s[6:7]
	v_mov_b32_e32 v6, s10
	s_xor_b64 exec, exec, s[6:7]
	s_cbranch_execz .LBB51_702
.LBB51_2752:
	v_mov_b32_e32 v6, 0
	v_cmp_ne_u16_sdwa s[8:9], v3, v6 src0_sel:BYTE_3 src1_sel:DWORD
	s_andn2_b64 s[4:5], s[4:5], exec
	s_and_b64 s[8:9], s[8:9], exec
	s_or_b64 s[4:5], s[4:5], s[8:9]
	s_or_b64 exec, exec, s[6:7]
	s_and_saveexec_b64 s[6:7], s[4:5]
	s_cbranch_execnz .LBB51_703
	s_branch .LBB51_704
.LBB51_2753:
	s_movk_i32 s4, 0x80
	v_cmp_eq_u16_sdwa s[12:13], v8, s4 src0_sel:BYTE_0 src1_sel:DWORD
	s_mov_b64 s[4:5], -1
                                        ; implicit-def: $sgpr10
	s_and_saveexec_b64 s[8:9], s[12:13]
; %bb.2754:
	s_mov_b32 s10, 0x7f800001
	s_xor_b64 s[4:5], exec, -1
; %bb.2755:
	s_or_b64 exec, exec, s[8:9]
	s_and_b64 s[4:5], s[4:5], exec
	s_or_saveexec_b64 s[6:7], s[6:7]
	v_mov_b32_e32 v2, s10
	s_xor_b64 exec, exec, s[6:7]
	s_cbranch_execz .LBB51_706
.LBB51_2756:
	v_mov_b32_e32 v2, 0
	v_cmp_ne_u16_sdwa s[8:9], v8, v2 src0_sel:BYTE_0 src1_sel:DWORD
	s_andn2_b64 s[4:5], s[4:5], exec
	s_and_b64 s[8:9], s[8:9], exec
	s_or_b64 s[4:5], s[4:5], s[8:9]
	s_or_b64 exec, exec, s[6:7]
	s_and_saveexec_b64 s[6:7], s[4:5]
	s_cbranch_execnz .LBB51_707
	s_branch .LBB51_708
.LBB51_2757:
	s_movk_i32 s4, 0x80
	v_cmp_eq_u16_sdwa s[12:13], v4, s4 src0_sel:BYTE_0 src1_sel:DWORD
	s_mov_b64 s[4:5], -1
                                        ; implicit-def: $sgpr10
	s_and_saveexec_b64 s[8:9], s[12:13]
; %bb.2758:
	s_mov_b32 s10, 0x7f800001
	s_xor_b64 s[4:5], exec, -1
; %bb.2759:
	s_or_b64 exec, exec, s[8:9]
	s_and_b64 s[4:5], s[4:5], exec
	s_or_saveexec_b64 s[6:7], s[6:7]
	v_mov_b32_e32 v3, s10
	s_xor_b64 exec, exec, s[6:7]
	s_cbranch_execz .LBB51_710
.LBB51_2760:
	v_mov_b32_e32 v3, 0
	v_cmp_ne_u16_sdwa s[8:9], v4, v3 src0_sel:BYTE_0 src1_sel:DWORD
	s_andn2_b64 s[4:5], s[4:5], exec
	s_and_b64 s[8:9], s[8:9], exec
	s_or_b64 s[4:5], s[4:5], s[8:9]
	s_or_b64 exec, exec, s[6:7]
	s_and_saveexec_b64 s[6:7], s[4:5]
	s_cbranch_execnz .LBB51_711
	s_branch .LBB51_712
.LBB51_2761:
	s_movk_i32 s4, 0x80
	v_cmp_eq_u16_sdwa s[12:13], v3, s4 src0_sel:BYTE_0 src1_sel:DWORD
	s_mov_b64 s[4:5], -1
                                        ; implicit-def: $sgpr10
	s_and_saveexec_b64 s[8:9], s[12:13]
; %bb.2762:
	s_mov_b32 s10, 0x7f800001
	s_xor_b64 s[4:5], exec, -1
; %bb.2763:
	s_or_b64 exec, exec, s[8:9]
	s_and_b64 s[4:5], s[4:5], exec
	s_or_saveexec_b64 s[6:7], s[6:7]
	v_mov_b32_e32 v2, s10
	s_xor_b64 exec, exec, s[6:7]
	s_cbranch_execz .LBB51_714
.LBB51_2764:
	v_mov_b32_e32 v2, 0
	v_cmp_ne_u16_sdwa s[8:9], v3, v2 src0_sel:BYTE_0 src1_sel:DWORD
	s_andn2_b64 s[4:5], s[4:5], exec
	s_and_b64 s[8:9], s[8:9], exec
	s_or_b64 s[4:5], s[4:5], s[8:9]
	s_or_b64 exec, exec, s[6:7]
	s_and_saveexec_b64 s[6:7], s[4:5]
	s_cbranch_execnz .LBB51_715
	s_branch .LBB51_716
.LBB51_2765:
	s_movk_i32 s4, 0x80
	v_cmp_eq_u16_sdwa s[12:13], v3, s4 src0_sel:BYTE_0 src1_sel:DWORD
	s_mov_b64 s[4:5], -1
                                        ; implicit-def: $sgpr10
	s_and_saveexec_b64 s[8:9], s[12:13]
; %bb.2766:
	s_mov_b32 s10, 0x7f800001
	s_xor_b64 s[4:5], exec, -1
; %bb.2767:
	s_or_b64 exec, exec, s[8:9]
	s_and_b64 s[4:5], s[4:5], exec
	s_or_saveexec_b64 s[6:7], s[6:7]
	v_mov_b32_e32 v6, s10
	s_xor_b64 exec, exec, s[6:7]
	s_cbranch_execz .LBB51_718
.LBB51_2768:
	v_mov_b32_e32 v6, 0
	v_cmp_ne_u16_sdwa s[8:9], v3, v6 src0_sel:BYTE_0 src1_sel:DWORD
	s_andn2_b64 s[4:5], s[4:5], exec
	s_and_b64 s[8:9], s[8:9], exec
	s_or_b64 s[4:5], s[4:5], s[8:9]
	s_or_b64 exec, exec, s[6:7]
	s_and_saveexec_b64 s[6:7], s[4:5]
	s_cbranch_execnz .LBB51_719
	s_branch .LBB51_720
.LBB51_2769:
	s_movk_i32 s4, 0x80
	v_cmp_eq_u16_e32 vcc, s4, v3
	s_mov_b64 s[4:5], -1
                                        ; implicit-def: $sgpr10
	s_and_saveexec_b64 s[8:9], vcc
; %bb.2770:
	s_mov_b32 s10, 0x7f800001
	s_xor_b64 s[4:5], exec, -1
; %bb.2771:
	s_or_b64 exec, exec, s[8:9]
	s_and_b64 s[4:5], s[4:5], exec
                                        ; implicit-def: $vgpr3
	s_or_saveexec_b64 s[6:7], s[6:7]
	v_mov_b32_e32 v2, s10
	s_xor_b64 exec, exec, s[6:7]
	s_cbranch_execz .LBB51_722
.LBB51_2772:
	v_cmp_ne_u16_e32 vcc, 0, v3
	s_andn2_b64 s[4:5], s[4:5], exec
	s_and_b64 s[8:9], vcc, exec
	v_mov_b32_e32 v2, 0
	s_or_b64 s[4:5], s[4:5], s[8:9]
	s_or_b64 exec, exec, s[6:7]
	s_and_saveexec_b64 s[6:7], s[4:5]
	s_cbranch_execnz .LBB51_723
	s_branch .LBB51_724
.LBB51_2773:
	s_movk_i32 s4, 0x80
	v_cmp_eq_u16_e32 vcc, s4, v3
	s_mov_b64 s[4:5], -1
                                        ; implicit-def: $sgpr10
	s_and_saveexec_b64 s[8:9], vcc
; %bb.2774:
	s_mov_b32 s10, 0x7f800001
	s_xor_b64 s[4:5], exec, -1
; %bb.2775:
	s_or_b64 exec, exec, s[8:9]
	s_and_b64 s[4:5], s[4:5], exec
                                        ; implicit-def: $vgpr3
	s_or_saveexec_b64 s[6:7], s[6:7]
	v_mov_b32_e32 v6, s10
	s_xor_b64 exec, exec, s[6:7]
	s_cbranch_execz .LBB51_726
.LBB51_2776:
	v_cmp_ne_u16_e32 vcc, 0, v3
	s_andn2_b64 s[4:5], s[4:5], exec
	s_and_b64 s[8:9], vcc, exec
	v_mov_b32_e32 v6, 0
	s_or_b64 s[4:5], s[4:5], s[8:9]
	s_or_b64 exec, exec, s[6:7]
	s_and_saveexec_b64 s[6:7], s[4:5]
	s_cbranch_execnz .LBB51_727
	s_branch .LBB51_728
.LBB51_2777:
	s_movk_i32 s4, 0x80
	v_cmp_eq_u16_sdwa s[12:13], v8, s4 src0_sel:BYTE_3 src1_sel:DWORD
	s_mov_b64 s[4:5], -1
                                        ; implicit-def: $sgpr10
	s_and_saveexec_b64 s[8:9], s[12:13]
; %bb.2778:
	s_mov_b32 s10, 0x7f800001
	s_xor_b64 s[4:5], exec, -1
; %bb.2779:
	s_or_b64 exec, exec, s[8:9]
	s_and_b64 s[4:5], s[4:5], exec
	s_or_saveexec_b64 s[6:7], s[6:7]
	v_mov_b32_e32 v2, s10
	s_xor_b64 exec, exec, s[6:7]
	s_cbranch_execz .LBB51_730
.LBB51_2780:
	v_mov_b32_e32 v2, 0
	v_cmp_ne_u16_sdwa s[8:9], v8, v2 src0_sel:BYTE_3 src1_sel:DWORD
	s_andn2_b64 s[4:5], s[4:5], exec
	s_and_b64 s[8:9], s[8:9], exec
	s_or_b64 s[4:5], s[4:5], s[8:9]
	s_or_b64 exec, exec, s[6:7]
	s_and_saveexec_b64 s[6:7], s[4:5]
	s_cbranch_execnz .LBB51_731
	s_branch .LBB51_732
.LBB51_2781:
	s_movk_i32 s4, 0x80
	v_cmp_eq_u16_sdwa s[12:13], v4, s4 src0_sel:BYTE_3 src1_sel:DWORD
	s_mov_b64 s[4:5], -1
                                        ; implicit-def: $sgpr10
	s_and_saveexec_b64 s[8:9], s[12:13]
; %bb.2782:
	s_mov_b32 s10, 0x7f800001
	s_xor_b64 s[4:5], exec, -1
; %bb.2783:
	s_or_b64 exec, exec, s[8:9]
	s_and_b64 s[4:5], s[4:5], exec
	s_or_saveexec_b64 s[6:7], s[6:7]
	v_mov_b32_e32 v3, s10
	s_xor_b64 exec, exec, s[6:7]
	s_cbranch_execz .LBB51_734
.LBB51_2784:
	v_mov_b32_e32 v3, 0
	v_cmp_ne_u16_sdwa s[8:9], v4, v3 src0_sel:BYTE_3 src1_sel:DWORD
	s_andn2_b64 s[4:5], s[4:5], exec
	s_and_b64 s[8:9], s[8:9], exec
	s_or_b64 s[4:5], s[4:5], s[8:9]
	s_or_b64 exec, exec, s[6:7]
	s_and_saveexec_b64 s[6:7], s[4:5]
	s_cbranch_execnz .LBB51_735
	s_branch .LBB51_736
.LBB51_2785:
	s_movk_i32 s4, 0x80
	v_cmp_eq_u16_sdwa s[12:13], v9, s4 src0_sel:BYTE_0 src1_sel:DWORD
	s_mov_b64 s[4:5], -1
                                        ; implicit-def: $sgpr10
	s_and_saveexec_b64 s[8:9], s[12:13]
; %bb.2786:
	s_mov_b32 s10, 0x7f800001
	s_xor_b64 s[4:5], exec, -1
; %bb.2787:
	s_or_b64 exec, exec, s[8:9]
	s_and_b64 s[4:5], s[4:5], exec
	s_or_saveexec_b64 s[6:7], s[6:7]
	v_mov_b32_e32 v2, s10
	s_xor_b64 exec, exec, s[6:7]
	s_cbranch_execz .LBB51_738
.LBB51_2788:
	v_mov_b32_e32 v2, 0
	v_cmp_ne_u16_sdwa s[8:9], v9, v2 src0_sel:BYTE_0 src1_sel:DWORD
	s_andn2_b64 s[4:5], s[4:5], exec
	s_and_b64 s[8:9], s[8:9], exec
	s_or_b64 s[4:5], s[4:5], s[8:9]
	s_or_b64 exec, exec, s[6:7]
	s_and_saveexec_b64 s[6:7], s[4:5]
	s_cbranch_execnz .LBB51_739
	s_branch .LBB51_740
.LBB51_2789:
	s_movk_i32 s4, 0x80
	v_cmp_eq_u16_sdwa s[12:13], v5, s4 src0_sel:BYTE_0 src1_sel:DWORD
	s_mov_b64 s[4:5], -1
                                        ; implicit-def: $sgpr10
	s_and_saveexec_b64 s[8:9], s[12:13]
; %bb.2790:
	s_mov_b32 s10, 0x7f800001
	s_xor_b64 s[4:5], exec, -1
; %bb.2791:
	s_or_b64 exec, exec, s[8:9]
	s_and_b64 s[4:5], s[4:5], exec
	s_or_saveexec_b64 s[6:7], s[6:7]
	v_mov_b32_e32 v3, s10
	s_xor_b64 exec, exec, s[6:7]
	s_cbranch_execz .LBB51_742
.LBB51_2792:
	v_mov_b32_e32 v3, 0
	v_cmp_ne_u16_sdwa s[8:9], v5, v3 src0_sel:BYTE_0 src1_sel:DWORD
	s_andn2_b64 s[4:5], s[4:5], exec
	s_and_b64 s[8:9], s[8:9], exec
	s_or_b64 s[4:5], s[4:5], s[8:9]
	s_or_b64 exec, exec, s[6:7]
	s_and_saveexec_b64 s[6:7], s[4:5]
	s_cbranch_execnz .LBB51_743
	s_branch .LBB51_744
.LBB51_2793:
	s_movk_i32 s4, 0x80
	v_cmp_eq_u16_sdwa s[12:13], v3, s4 src0_sel:BYTE_0 src1_sel:DWORD
	s_mov_b64 s[4:5], -1
                                        ; implicit-def: $sgpr10
	s_and_saveexec_b64 s[8:9], s[12:13]
; %bb.2794:
	s_mov_b32 s10, 0x7f800001
	s_xor_b64 s[4:5], exec, -1
; %bb.2795:
	s_or_b64 exec, exec, s[8:9]
	s_and_b64 s[4:5], s[4:5], exec
	s_or_saveexec_b64 s[6:7], s[6:7]
	v_mov_b32_e32 v2, s10
	s_xor_b64 exec, exec, s[6:7]
	s_cbranch_execz .LBB51_746
.LBB51_2796:
	v_mov_b32_e32 v2, 0
	v_cmp_ne_u16_sdwa s[8:9], v3, v2 src0_sel:BYTE_0 src1_sel:DWORD
	s_andn2_b64 s[4:5], s[4:5], exec
	s_and_b64 s[8:9], s[8:9], exec
	s_or_b64 s[4:5], s[4:5], s[8:9]
	s_or_b64 exec, exec, s[6:7]
	s_and_saveexec_b64 s[6:7], s[4:5]
	s_cbranch_execnz .LBB51_747
	s_branch .LBB51_748
.LBB51_2797:
	s_movk_i32 s4, 0x80
	v_cmp_eq_u16_sdwa s[12:13], v3, s4 src0_sel:BYTE_0 src1_sel:DWORD
	s_mov_b64 s[4:5], -1
                                        ; implicit-def: $sgpr10
	s_and_saveexec_b64 s[8:9], s[12:13]
; %bb.2798:
	s_mov_b32 s10, 0x7f800001
	s_xor_b64 s[4:5], exec, -1
; %bb.2799:
	s_or_b64 exec, exec, s[8:9]
	s_and_b64 s[4:5], s[4:5], exec
	s_or_saveexec_b64 s[6:7], s[6:7]
	v_mov_b32_e32 v4, s10
	s_xor_b64 exec, exec, s[6:7]
	s_cbranch_execz .LBB51_750
.LBB51_2800:
	v_mov_b32_e32 v4, 0
	v_cmp_ne_u16_sdwa s[8:9], v3, v4 src0_sel:BYTE_0 src1_sel:DWORD
	s_andn2_b64 s[4:5], s[4:5], exec
	s_and_b64 s[8:9], s[8:9], exec
	s_or_b64 s[4:5], s[4:5], s[8:9]
	s_or_b64 exec, exec, s[6:7]
	s_and_saveexec_b64 s[6:7], s[4:5]
	s_cbranch_execnz .LBB51_751
	s_branch .LBB51_752
.LBB51_2801:
	s_movk_i32 s4, 0x80
	v_cmp_eq_u16_e32 vcc, s4, v3
	s_mov_b64 s[4:5], -1
                                        ; implicit-def: $sgpr10
	s_and_saveexec_b64 s[8:9], vcc
; %bb.2802:
	s_mov_b32 s10, 0x7f800001
	s_xor_b64 s[4:5], exec, -1
; %bb.2803:
	s_or_b64 exec, exec, s[8:9]
	s_and_b64 s[4:5], s[4:5], exec
                                        ; implicit-def: $vgpr3
	s_or_saveexec_b64 s[6:7], s[6:7]
	v_mov_b32_e32 v2, s10
	s_xor_b64 exec, exec, s[6:7]
	s_cbranch_execz .LBB51_754
.LBB51_2804:
	v_cmp_ne_u16_e32 vcc, 0, v3
	s_andn2_b64 s[4:5], s[4:5], exec
	s_and_b64 s[8:9], vcc, exec
	v_mov_b32_e32 v2, 0
	s_or_b64 s[4:5], s[4:5], s[8:9]
	s_or_b64 exec, exec, s[6:7]
	s_and_saveexec_b64 s[6:7], s[4:5]
	s_cbranch_execnz .LBB51_755
	s_branch .LBB51_756
.LBB51_2805:
	s_movk_i32 s4, 0x80
	v_cmp_eq_u16_e32 vcc, s4, v3
	s_mov_b64 s[4:5], -1
                                        ; implicit-def: $sgpr10
	s_and_saveexec_b64 s[8:9], vcc
; %bb.2806:
	s_mov_b32 s10, 0x7f800001
	s_xor_b64 s[4:5], exec, -1
; %bb.2807:
	s_or_b64 exec, exec, s[8:9]
	s_and_b64 s[4:5], s[4:5], exec
                                        ; implicit-def: $vgpr3
	s_or_saveexec_b64 s[6:7], s[6:7]
	v_mov_b32_e32 v4, s10
	s_xor_b64 exec, exec, s[6:7]
	s_cbranch_execz .LBB51_758
.LBB51_2808:
	v_cmp_ne_u16_e32 vcc, 0, v3
	s_andn2_b64 s[4:5], s[4:5], exec
	s_and_b64 s[8:9], vcc, exec
	v_mov_b32_e32 v4, 0
	s_or_b64 s[4:5], s[4:5], s[8:9]
	s_or_b64 exec, exec, s[6:7]
	s_and_saveexec_b64 s[6:7], s[4:5]
	s_cbranch_execnz .LBB51_759
	s_branch .LBB51_760
.LBB51_2809:
	s_movk_i32 s4, 0x80
	v_cmp_eq_u16_sdwa s[12:13], v9, s4 src0_sel:BYTE_3 src1_sel:DWORD
	s_mov_b64 s[4:5], -1
                                        ; implicit-def: $sgpr10
	s_and_saveexec_b64 s[8:9], s[12:13]
; %bb.2810:
	s_mov_b32 s10, 0x7f800001
	s_xor_b64 s[4:5], exec, -1
; %bb.2811:
	s_or_b64 exec, exec, s[8:9]
	s_and_b64 s[4:5], s[4:5], exec
	s_or_saveexec_b64 s[6:7], s[6:7]
	v_mov_b32_e32 v2, s10
	s_xor_b64 exec, exec, s[6:7]
	s_cbranch_execz .LBB51_762
.LBB51_2812:
	v_mov_b32_e32 v2, 0
	v_cmp_ne_u16_sdwa s[8:9], v9, v2 src0_sel:BYTE_3 src1_sel:DWORD
	s_andn2_b64 s[4:5], s[4:5], exec
	s_and_b64 s[8:9], s[8:9], exec
	s_or_b64 s[4:5], s[4:5], s[8:9]
	s_or_b64 exec, exec, s[6:7]
	s_and_saveexec_b64 s[6:7], s[4:5]
	s_cbranch_execnz .LBB51_763
	s_branch .LBB51_764
.LBB51_2813:
	s_movk_i32 s4, 0x80
	v_cmp_eq_u16_sdwa s[12:13], v5, s4 src0_sel:BYTE_3 src1_sel:DWORD
	s_mov_b64 s[4:5], -1
                                        ; implicit-def: $sgpr10
	s_and_saveexec_b64 s[8:9], s[12:13]
; %bb.2814:
	s_mov_b32 s10, 0x7f800001
	s_xor_b64 s[4:5], exec, -1
; %bb.2815:
	s_or_b64 exec, exec, s[8:9]
	s_and_b64 s[4:5], s[4:5], exec
	s_or_saveexec_b64 s[6:7], s[6:7]
	v_mov_b32_e32 v3, s10
	s_xor_b64 exec, exec, s[6:7]
	s_cbranch_execz .LBB51_766
.LBB51_2816:
	v_mov_b32_e32 v3, 0
	v_cmp_ne_u16_sdwa s[8:9], v5, v3 src0_sel:BYTE_3 src1_sel:DWORD
	s_andn2_b64 s[4:5], s[4:5], exec
	s_and_b64 s[8:9], s[8:9], exec
	s_or_b64 s[4:5], s[4:5], s[8:9]
	s_or_b64 exec, exec, s[6:7]
	s_and_saveexec_b64 s[6:7], s[4:5]
	s_cbranch_execnz .LBB51_767
	s_branch .LBB51_768
.LBB51_2817:
	s_movk_i32 s4, 0x80
	v_cmp_eq_u16_sdwa s[12:13], v14, s4 src0_sel:BYTE_0 src1_sel:DWORD
	s_mov_b64 s[4:5], -1
                                        ; implicit-def: $sgpr10
	s_and_saveexec_b64 s[8:9], s[12:13]
; %bb.2818:
	s_mov_b32 s10, 0x7f800001
	s_xor_b64 s[4:5], exec, -1
; %bb.2819:
	s_or_b64 exec, exec, s[8:9]
	s_and_b64 s[4:5], s[4:5], exec
	s_or_saveexec_b64 s[6:7], s[6:7]
	v_mov_b32_e32 v20, s10
	s_xor_b64 exec, exec, s[6:7]
	s_cbranch_execz .LBB51_770
.LBB51_2820:
	v_mov_b32_e32 v20, 0
	v_cmp_ne_u16_sdwa s[8:9], v14, v20 src0_sel:BYTE_0 src1_sel:DWORD
	s_andn2_b64 s[4:5], s[4:5], exec
	s_and_b64 s[8:9], s[8:9], exec
	s_or_b64 s[4:5], s[4:5], s[8:9]
	s_or_b64 exec, exec, s[6:7]
	s_and_saveexec_b64 s[6:7], s[4:5]
	s_cbranch_execnz .LBB51_771
	s_branch .LBB51_772
.LBB51_2821:
	s_movk_i32 s4, 0x80
	v_cmp_eq_u16_sdwa s[12:13], v10, s4 src0_sel:BYTE_0 src1_sel:DWORD
	s_mov_b64 s[4:5], -1
                                        ; implicit-def: $sgpr10
	s_and_saveexec_b64 s[8:9], s[12:13]
; %bb.2822:
	s_mov_b32 s10, 0x7f800001
	s_xor_b64 s[4:5], exec, -1
; %bb.2823:
	s_or_b64 exec, exec, s[8:9]
	s_and_b64 s[4:5], s[4:5], exec
	s_or_saveexec_b64 s[6:7], s[6:7]
	v_mov_b32_e32 v21, s10
	s_xor_b64 exec, exec, s[6:7]
	s_cbranch_execz .LBB51_774
.LBB51_2824:
	v_mov_b32_e32 v21, 0
	v_cmp_ne_u16_sdwa s[8:9], v10, v21 src0_sel:BYTE_0 src1_sel:DWORD
	s_andn2_b64 s[4:5], s[4:5], exec
	s_and_b64 s[8:9], s[8:9], exec
	s_or_b64 s[4:5], s[4:5], s[8:9]
	s_or_b64 exec, exec, s[6:7]
	s_and_saveexec_b64 s[6:7], s[4:5]
	s_cbranch_execnz .LBB51_775
	s_branch .LBB51_776
.LBB51_2825:
	s_movk_i32 s4, 0x80
	v_cmp_eq_u16_sdwa s[12:13], v21, s4 src0_sel:BYTE_0 src1_sel:DWORD
	s_mov_b64 s[4:5], -1
                                        ; implicit-def: $sgpr10
	s_and_saveexec_b64 s[8:9], s[12:13]
; %bb.2826:
	s_mov_b32 s10, 0x7f800001
	s_xor_b64 s[4:5], exec, -1
; %bb.2827:
	s_or_b64 exec, exec, s[8:9]
	s_and_b64 s[4:5], s[4:5], exec
	s_or_saveexec_b64 s[6:7], s[6:7]
	v_mov_b32_e32 v20, s10
	s_xor_b64 exec, exec, s[6:7]
	s_cbranch_execz .LBB51_778
.LBB51_2828:
	v_mov_b32_e32 v20, 0
	v_cmp_ne_u16_sdwa s[8:9], v21, v20 src0_sel:BYTE_0 src1_sel:DWORD
	s_andn2_b64 s[4:5], s[4:5], exec
	s_and_b64 s[8:9], s[8:9], exec
	s_or_b64 s[4:5], s[4:5], s[8:9]
	s_or_b64 exec, exec, s[6:7]
	s_and_saveexec_b64 s[6:7], s[4:5]
	s_cbranch_execnz .LBB51_779
	s_branch .LBB51_780
.LBB51_2829:
	s_movk_i32 s4, 0x80
	v_cmp_eq_u16_sdwa s[12:13], v21, s4 src0_sel:BYTE_0 src1_sel:DWORD
	s_mov_b64 s[4:5], -1
                                        ; implicit-def: $sgpr10
	s_and_saveexec_b64 s[8:9], s[12:13]
; %bb.2830:
	s_mov_b32 s10, 0x7f800001
	s_xor_b64 s[4:5], exec, -1
; %bb.2831:
	s_or_b64 exec, exec, s[8:9]
	s_and_b64 s[4:5], s[4:5], exec
	s_or_saveexec_b64 s[6:7], s[6:7]
	v_mov_b32_e32 v22, s10
	s_xor_b64 exec, exec, s[6:7]
	s_cbranch_execz .LBB51_782
.LBB51_2832:
	v_mov_b32_e32 v22, 0
	v_cmp_ne_u16_sdwa s[8:9], v21, v22 src0_sel:BYTE_0 src1_sel:DWORD
	s_andn2_b64 s[4:5], s[4:5], exec
	s_and_b64 s[8:9], s[8:9], exec
	s_or_b64 s[4:5], s[4:5], s[8:9]
	s_or_b64 exec, exec, s[6:7]
	s_and_saveexec_b64 s[6:7], s[4:5]
	s_cbranch_execnz .LBB51_783
	s_branch .LBB51_784
.LBB51_2833:
	s_movk_i32 s4, 0x80
	v_cmp_eq_u16_e32 vcc, s4, v21
	s_mov_b64 s[4:5], -1
                                        ; implicit-def: $sgpr10
	s_and_saveexec_b64 s[8:9], vcc
; %bb.2834:
	s_mov_b32 s10, 0x7f800001
	s_xor_b64 s[4:5], exec, -1
; %bb.2835:
	s_or_b64 exec, exec, s[8:9]
	s_and_b64 s[4:5], s[4:5], exec
                                        ; implicit-def: $vgpr21
	s_or_saveexec_b64 s[6:7], s[6:7]
	v_mov_b32_e32 v20, s10
	s_xor_b64 exec, exec, s[6:7]
	s_cbranch_execz .LBB51_786
.LBB51_2836:
	v_cmp_ne_u16_e32 vcc, 0, v21
	s_andn2_b64 s[4:5], s[4:5], exec
	s_and_b64 s[8:9], vcc, exec
	v_mov_b32_e32 v20, 0
	s_or_b64 s[4:5], s[4:5], s[8:9]
	s_or_b64 exec, exec, s[6:7]
	s_and_saveexec_b64 s[6:7], s[4:5]
	s_cbranch_execnz .LBB51_787
	s_branch .LBB51_788
.LBB51_2837:
	s_movk_i32 s4, 0x80
	v_cmp_eq_u16_e32 vcc, s4, v21
	s_mov_b64 s[4:5], -1
                                        ; implicit-def: $sgpr10
	s_and_saveexec_b64 s[8:9], vcc
; %bb.2838:
	s_mov_b32 s10, 0x7f800001
	s_xor_b64 s[4:5], exec, -1
; %bb.2839:
	s_or_b64 exec, exec, s[8:9]
	s_and_b64 s[4:5], s[4:5], exec
                                        ; implicit-def: $vgpr21
	s_or_saveexec_b64 s[6:7], s[6:7]
	v_mov_b32_e32 v22, s10
	s_xor_b64 exec, exec, s[6:7]
	s_cbranch_execz .LBB51_790
.LBB51_2840:
	v_cmp_ne_u16_e32 vcc, 0, v21
	s_andn2_b64 s[4:5], s[4:5], exec
	s_and_b64 s[8:9], vcc, exec
	v_mov_b32_e32 v22, 0
	s_or_b64 s[4:5], s[4:5], s[8:9]
	s_or_b64 exec, exec, s[6:7]
	s_and_saveexec_b64 s[6:7], s[4:5]
	s_cbranch_execnz .LBB51_791
	s_branch .LBB51_792
.LBB51_2841:
	s_movk_i32 s4, 0x80
	v_cmp_eq_u16_sdwa s[12:13], v14, s4 src0_sel:BYTE_3 src1_sel:DWORD
	s_mov_b64 s[4:5], -1
                                        ; implicit-def: $sgpr10
	s_and_saveexec_b64 s[8:9], s[12:13]
; %bb.2842:
	s_mov_b32 s10, 0x7f800001
	s_xor_b64 s[4:5], exec, -1
; %bb.2843:
	s_or_b64 exec, exec, s[8:9]
	s_and_b64 s[4:5], s[4:5], exec
	s_or_saveexec_b64 s[6:7], s[6:7]
	v_mov_b32_e32 v20, s10
	s_xor_b64 exec, exec, s[6:7]
	s_cbranch_execz .LBB51_794
.LBB51_2844:
	v_mov_b32_e32 v20, 0
	v_cmp_ne_u16_sdwa s[8:9], v14, v20 src0_sel:BYTE_3 src1_sel:DWORD
	s_andn2_b64 s[4:5], s[4:5], exec
	s_and_b64 s[8:9], s[8:9], exec
	s_or_b64 s[4:5], s[4:5], s[8:9]
	s_or_b64 exec, exec, s[6:7]
	s_and_saveexec_b64 s[6:7], s[4:5]
	s_cbranch_execnz .LBB51_795
	s_branch .LBB51_796
.LBB51_2845:
	s_movk_i32 s4, 0x80
	v_cmp_eq_u16_sdwa s[12:13], v10, s4 src0_sel:BYTE_3 src1_sel:DWORD
	s_mov_b64 s[4:5], -1
                                        ; implicit-def: $sgpr10
	s_and_saveexec_b64 s[8:9], s[12:13]
; %bb.2846:
	s_mov_b32 s10, 0x7f800001
	s_xor_b64 s[4:5], exec, -1
; %bb.2847:
	s_or_b64 exec, exec, s[8:9]
	s_and_b64 s[4:5], s[4:5], exec
	s_or_saveexec_b64 s[6:7], s[6:7]
	v_mov_b32_e32 v14, s10
	s_xor_b64 exec, exec, s[6:7]
	s_cbranch_execz .LBB51_798
.LBB51_2848:
	v_mov_b32_e32 v14, 0
	v_cmp_ne_u16_sdwa s[8:9], v10, v14 src0_sel:BYTE_3 src1_sel:DWORD
	s_andn2_b64 s[4:5], s[4:5], exec
	s_and_b64 s[8:9], s[8:9], exec
	s_or_b64 s[4:5], s[4:5], s[8:9]
	s_or_b64 exec, exec, s[6:7]
	s_and_saveexec_b64 s[6:7], s[4:5]
	s_cbranch_execnz .LBB51_799
	s_branch .LBB51_800
.LBB51_2849:
	s_movk_i32 s4, 0x80
	v_cmp_eq_u16_sdwa s[12:13], v15, s4 src0_sel:BYTE_0 src1_sel:DWORD
	s_mov_b64 s[4:5], -1
                                        ; implicit-def: $sgpr10
	s_and_saveexec_b64 s[8:9], s[12:13]
; %bb.2850:
	s_mov_b32 s10, 0x7f800001
	s_xor_b64 s[4:5], exec, -1
; %bb.2851:
	s_or_b64 exec, exec, s[8:9]
	s_and_b64 s[4:5], s[4:5], exec
	s_or_saveexec_b64 s[6:7], s[6:7]
	v_mov_b32_e32 v10, s10
	s_xor_b64 exec, exec, s[6:7]
	s_cbranch_execz .LBB51_802
.LBB51_2852:
	v_mov_b32_e32 v10, 0
	v_cmp_ne_u16_sdwa s[8:9], v15, v10 src0_sel:BYTE_0 src1_sel:DWORD
	s_andn2_b64 s[4:5], s[4:5], exec
	s_and_b64 s[8:9], s[8:9], exec
	s_or_b64 s[4:5], s[4:5], s[8:9]
	s_or_b64 exec, exec, s[6:7]
	s_and_saveexec_b64 s[6:7], s[4:5]
	s_cbranch_execnz .LBB51_803
	s_branch .LBB51_804
.LBB51_2853:
	s_movk_i32 s4, 0x80
	v_cmp_eq_u16_sdwa s[12:13], v11, s4 src0_sel:BYTE_0 src1_sel:DWORD
	s_mov_b64 s[4:5], -1
                                        ; implicit-def: $sgpr10
	s_and_saveexec_b64 s[8:9], s[12:13]
; %bb.2854:
	s_mov_b32 s10, 0x7f800001
	s_xor_b64 s[4:5], exec, -1
; %bb.2855:
	s_or_b64 exec, exec, s[8:9]
	s_and_b64 s[4:5], s[4:5], exec
	s_or_saveexec_b64 s[6:7], s[6:7]
	v_mov_b32_e32 v14, s10
	s_xor_b64 exec, exec, s[6:7]
	s_cbranch_execz .LBB51_806
.LBB51_2856:
	v_mov_b32_e32 v14, 0
	v_cmp_ne_u16_sdwa s[8:9], v11, v14 src0_sel:BYTE_0 src1_sel:DWORD
	s_andn2_b64 s[4:5], s[4:5], exec
	s_and_b64 s[8:9], s[8:9], exec
	s_or_b64 s[4:5], s[4:5], s[8:9]
	s_or_b64 exec, exec, s[6:7]
	s_and_saveexec_b64 s[6:7], s[4:5]
	s_cbranch_execnz .LBB51_807
	s_branch .LBB51_808
.LBB51_2857:
	s_movk_i32 s4, 0x80
	v_cmp_eq_u16_sdwa s[12:13], v14, s4 src0_sel:BYTE_0 src1_sel:DWORD
	s_mov_b64 s[4:5], -1
                                        ; implicit-def: $sgpr10
	s_and_saveexec_b64 s[8:9], s[12:13]
; %bb.2858:
	s_mov_b32 s10, 0x7f800001
	s_xor_b64 s[4:5], exec, -1
; %bb.2859:
	s_or_b64 exec, exec, s[8:9]
	s_and_b64 s[4:5], s[4:5], exec
	s_or_saveexec_b64 s[6:7], s[6:7]
	v_mov_b32_e32 v10, s10
	s_xor_b64 exec, exec, s[6:7]
	s_cbranch_execz .LBB51_810
.LBB51_2860:
	v_mov_b32_e32 v10, 0
	v_cmp_ne_u16_sdwa s[8:9], v14, v10 src0_sel:BYTE_0 src1_sel:DWORD
	s_andn2_b64 s[4:5], s[4:5], exec
	s_and_b64 s[8:9], s[8:9], exec
	s_or_b64 s[4:5], s[4:5], s[8:9]
	s_or_b64 exec, exec, s[6:7]
	s_and_saveexec_b64 s[6:7], s[4:5]
	s_cbranch_execnz .LBB51_811
	s_branch .LBB51_812
.LBB51_2861:
	s_movk_i32 s4, 0x80
	v_cmp_eq_u16_sdwa s[12:13], v14, s4 src0_sel:BYTE_0 src1_sel:DWORD
	s_mov_b64 s[4:5], -1
                                        ; implicit-def: $sgpr10
	s_and_saveexec_b64 s[8:9], s[12:13]
; %bb.2862:
	s_mov_b32 s10, 0x7f800001
	s_xor_b64 s[4:5], exec, -1
; %bb.2863:
	s_or_b64 exec, exec, s[8:9]
	s_and_b64 s[4:5], s[4:5], exec
	s_or_saveexec_b64 s[6:7], s[6:7]
	v_mov_b32_e32 v20, s10
	s_xor_b64 exec, exec, s[6:7]
	s_cbranch_execz .LBB51_814
.LBB51_2864:
	v_mov_b32_e32 v20, 0
	v_cmp_ne_u16_sdwa s[8:9], v14, v20 src0_sel:BYTE_0 src1_sel:DWORD
	s_andn2_b64 s[4:5], s[4:5], exec
	s_and_b64 s[8:9], s[8:9], exec
	s_or_b64 s[4:5], s[4:5], s[8:9]
	s_or_b64 exec, exec, s[6:7]
	s_and_saveexec_b64 s[6:7], s[4:5]
	s_cbranch_execnz .LBB51_815
	s_branch .LBB51_816
.LBB51_2865:
	s_movk_i32 s4, 0x80
	v_cmp_eq_u16_e32 vcc, s4, v14
	s_mov_b64 s[4:5], -1
                                        ; implicit-def: $sgpr10
	s_and_saveexec_b64 s[8:9], vcc
; %bb.2866:
	s_mov_b32 s10, 0x7f800001
	s_xor_b64 s[4:5], exec, -1
; %bb.2867:
	s_or_b64 exec, exec, s[8:9]
	s_and_b64 s[4:5], s[4:5], exec
                                        ; implicit-def: $vgpr14
	s_or_saveexec_b64 s[6:7], s[6:7]
	v_mov_b32_e32 v10, s10
	s_xor_b64 exec, exec, s[6:7]
	s_cbranch_execz .LBB51_818
.LBB51_2868:
	v_cmp_ne_u16_e32 vcc, 0, v14
	s_andn2_b64 s[4:5], s[4:5], exec
	s_and_b64 s[8:9], vcc, exec
	v_mov_b32_e32 v10, 0
	s_or_b64 s[4:5], s[4:5], s[8:9]
	s_or_b64 exec, exec, s[6:7]
	s_and_saveexec_b64 s[6:7], s[4:5]
	s_cbranch_execnz .LBB51_819
	s_branch .LBB51_820
.LBB51_2869:
	s_movk_i32 s4, 0x80
	v_cmp_eq_u16_e32 vcc, s4, v14
	s_mov_b64 s[4:5], -1
                                        ; implicit-def: $sgpr10
	s_and_saveexec_b64 s[8:9], vcc
; %bb.2870:
	s_mov_b32 s10, 0x7f800001
	s_xor_b64 s[4:5], exec, -1
; %bb.2871:
	s_or_b64 exec, exec, s[8:9]
	s_and_b64 s[4:5], s[4:5], exec
                                        ; implicit-def: $vgpr14
	s_or_saveexec_b64 s[6:7], s[6:7]
	v_mov_b32_e32 v20, s10
	s_xor_b64 exec, exec, s[6:7]
	s_cbranch_execz .LBB51_822
.LBB51_2872:
	v_cmp_ne_u16_e32 vcc, 0, v14
	s_andn2_b64 s[4:5], s[4:5], exec
	s_and_b64 s[8:9], vcc, exec
	v_mov_b32_e32 v20, 0
	s_or_b64 s[4:5], s[4:5], s[8:9]
	s_or_b64 exec, exec, s[6:7]
	s_and_saveexec_b64 s[6:7], s[4:5]
	s_cbranch_execnz .LBB51_823
	s_branch .LBB51_824
.LBB51_2873:
	s_movk_i32 s4, 0x80
	v_cmp_eq_u16_sdwa s[12:13], v15, s4 src0_sel:BYTE_3 src1_sel:DWORD
	s_mov_b64 s[4:5], -1
                                        ; implicit-def: $sgpr10
	s_and_saveexec_b64 s[8:9], s[12:13]
; %bb.2874:
	s_mov_b32 s10, 0x7f800001
	s_xor_b64 s[4:5], exec, -1
; %bb.2875:
	s_or_b64 exec, exec, s[8:9]
	s_and_b64 s[4:5], s[4:5], exec
	s_or_saveexec_b64 s[6:7], s[6:7]
	v_mov_b32_e32 v10, s10
	s_xor_b64 exec, exec, s[6:7]
	s_cbranch_execz .LBB51_826
.LBB51_2876:
	v_mov_b32_e32 v10, 0
	v_cmp_ne_u16_sdwa s[8:9], v15, v10 src0_sel:BYTE_3 src1_sel:DWORD
	s_andn2_b64 s[4:5], s[4:5], exec
	s_and_b64 s[8:9], s[8:9], exec
	s_or_b64 s[4:5], s[4:5], s[8:9]
	s_or_b64 exec, exec, s[6:7]
	s_and_saveexec_b64 s[6:7], s[4:5]
	s_cbranch_execnz .LBB51_827
	s_branch .LBB51_828
.LBB51_2877:
	s_movk_i32 s4, 0x80
	v_cmp_eq_u16_sdwa s[12:13], v11, s4 src0_sel:BYTE_3 src1_sel:DWORD
	s_mov_b64 s[4:5], -1
                                        ; implicit-def: $sgpr10
	s_and_saveexec_b64 s[8:9], s[12:13]
; %bb.2878:
	s_mov_b32 s10, 0x7f800001
	s_xor_b64 s[4:5], exec, -1
; %bb.2879:
	s_or_b64 exec, exec, s[8:9]
	s_and_b64 s[4:5], s[4:5], exec
	s_or_saveexec_b64 s[6:7], s[6:7]
	v_mov_b32_e32 v14, s10
	s_xor_b64 exec, exec, s[6:7]
	s_cbranch_execz .LBB51_830
.LBB51_2880:
	v_mov_b32_e32 v14, 0
	v_cmp_ne_u16_sdwa s[8:9], v11, v14 src0_sel:BYTE_3 src1_sel:DWORD
	s_andn2_b64 s[4:5], s[4:5], exec
	s_and_b64 s[8:9], s[8:9], exec
	s_or_b64 s[4:5], s[4:5], s[8:9]
	s_or_b64 exec, exec, s[6:7]
	s_and_saveexec_b64 s[6:7], s[4:5]
	s_cbranch_execnz .LBB51_831
	s_branch .LBB51_832
.LBB51_2881:
	s_movk_i32 s4, 0x80
	v_cmp_eq_u16_sdwa s[12:13], v16, s4 src0_sel:BYTE_0 src1_sel:DWORD
	s_mov_b64 s[4:5], -1
                                        ; implicit-def: $sgpr10
	s_and_saveexec_b64 s[8:9], s[12:13]
; %bb.2882:
	s_mov_b32 s10, 0x7f800001
	s_xor_b64 s[4:5], exec, -1
; %bb.2883:
	s_or_b64 exec, exec, s[8:9]
	s_and_b64 s[4:5], s[4:5], exec
	s_or_saveexec_b64 s[6:7], s[6:7]
	v_mov_b32_e32 v10, s10
	s_xor_b64 exec, exec, s[6:7]
	s_cbranch_execz .LBB51_834
.LBB51_2884:
	v_mov_b32_e32 v10, 0
	v_cmp_ne_u16_sdwa s[8:9], v16, v10 src0_sel:BYTE_0 src1_sel:DWORD
	s_andn2_b64 s[4:5], s[4:5], exec
	s_and_b64 s[8:9], s[8:9], exec
	s_or_b64 s[4:5], s[4:5], s[8:9]
	s_or_b64 exec, exec, s[6:7]
	s_and_saveexec_b64 s[6:7], s[4:5]
	s_cbranch_execnz .LBB51_835
	s_branch .LBB51_836
.LBB51_2885:
	s_movk_i32 s4, 0x80
	v_cmp_eq_u16_sdwa s[12:13], v12, s4 src0_sel:BYTE_0 src1_sel:DWORD
	s_mov_b64 s[4:5], -1
                                        ; implicit-def: $sgpr10
	s_and_saveexec_b64 s[8:9], s[12:13]
; %bb.2886:
	s_mov_b32 s10, 0x7f800001
	s_xor_b64 s[4:5], exec, -1
; %bb.2887:
	s_or_b64 exec, exec, s[8:9]
	s_and_b64 s[4:5], s[4:5], exec
	s_or_saveexec_b64 s[6:7], s[6:7]
	v_mov_b32_e32 v11, s10
	s_xor_b64 exec, exec, s[6:7]
	s_cbranch_execz .LBB51_838
.LBB51_2888:
	v_mov_b32_e32 v11, 0
	v_cmp_ne_u16_sdwa s[8:9], v12, v11 src0_sel:BYTE_0 src1_sel:DWORD
	s_andn2_b64 s[4:5], s[4:5], exec
	s_and_b64 s[8:9], s[8:9], exec
	s_or_b64 s[4:5], s[4:5], s[8:9]
	s_or_b64 exec, exec, s[6:7]
	s_and_saveexec_b64 s[6:7], s[4:5]
	s_cbranch_execnz .LBB51_839
	s_branch .LBB51_840
.LBB51_2889:
	s_movk_i32 s4, 0x80
	v_cmp_eq_u16_sdwa s[12:13], v11, s4 src0_sel:BYTE_0 src1_sel:DWORD
	s_mov_b64 s[4:5], -1
                                        ; implicit-def: $sgpr10
	s_and_saveexec_b64 s[8:9], s[12:13]
; %bb.2890:
	s_mov_b32 s10, 0x7f800001
	s_xor_b64 s[4:5], exec, -1
; %bb.2891:
	s_or_b64 exec, exec, s[8:9]
	s_and_b64 s[4:5], s[4:5], exec
	s_or_saveexec_b64 s[6:7], s[6:7]
	v_mov_b32_e32 v10, s10
	s_xor_b64 exec, exec, s[6:7]
	s_cbranch_execz .LBB51_842
.LBB51_2892:
	v_mov_b32_e32 v10, 0
	v_cmp_ne_u16_sdwa s[8:9], v11, v10 src0_sel:BYTE_0 src1_sel:DWORD
	s_andn2_b64 s[4:5], s[4:5], exec
	s_and_b64 s[8:9], s[8:9], exec
	s_or_b64 s[4:5], s[4:5], s[8:9]
	s_or_b64 exec, exec, s[6:7]
	s_and_saveexec_b64 s[6:7], s[4:5]
	s_cbranch_execnz .LBB51_843
	s_branch .LBB51_844
.LBB51_2893:
	s_movk_i32 s4, 0x80
	v_cmp_eq_u16_sdwa s[12:13], v11, s4 src0_sel:BYTE_0 src1_sel:DWORD
	s_mov_b64 s[4:5], -1
                                        ; implicit-def: $sgpr10
	s_and_saveexec_b64 s[8:9], s[12:13]
; %bb.2894:
	s_mov_b32 s10, 0x7f800001
	s_xor_b64 s[4:5], exec, -1
; %bb.2895:
	s_or_b64 exec, exec, s[8:9]
	s_and_b64 s[4:5], s[4:5], exec
	s_or_saveexec_b64 s[6:7], s[6:7]
	v_mov_b32_e32 v14, s10
	s_xor_b64 exec, exec, s[6:7]
	s_cbranch_execz .LBB51_846
.LBB51_2896:
	v_mov_b32_e32 v14, 0
	v_cmp_ne_u16_sdwa s[8:9], v11, v14 src0_sel:BYTE_0 src1_sel:DWORD
	s_andn2_b64 s[4:5], s[4:5], exec
	s_and_b64 s[8:9], s[8:9], exec
	s_or_b64 s[4:5], s[4:5], s[8:9]
	s_or_b64 exec, exec, s[6:7]
	s_and_saveexec_b64 s[6:7], s[4:5]
	s_cbranch_execnz .LBB51_847
	s_branch .LBB51_848
.LBB51_2897:
	s_movk_i32 s4, 0x80
	v_cmp_eq_u16_e32 vcc, s4, v11
	s_mov_b64 s[4:5], -1
                                        ; implicit-def: $sgpr10
	s_and_saveexec_b64 s[8:9], vcc
; %bb.2898:
	s_mov_b32 s10, 0x7f800001
	s_xor_b64 s[4:5], exec, -1
; %bb.2899:
	s_or_b64 exec, exec, s[8:9]
	s_and_b64 s[4:5], s[4:5], exec
                                        ; implicit-def: $vgpr11
	s_or_saveexec_b64 s[6:7], s[6:7]
	v_mov_b32_e32 v10, s10
	s_xor_b64 exec, exec, s[6:7]
	s_cbranch_execz .LBB51_850
.LBB51_2900:
	v_cmp_ne_u16_e32 vcc, 0, v11
	s_andn2_b64 s[4:5], s[4:5], exec
	s_and_b64 s[8:9], vcc, exec
	v_mov_b32_e32 v10, 0
	s_or_b64 s[4:5], s[4:5], s[8:9]
	s_or_b64 exec, exec, s[6:7]
	s_and_saveexec_b64 s[6:7], s[4:5]
	s_cbranch_execnz .LBB51_851
	s_branch .LBB51_852
.LBB51_2901:
	s_movk_i32 s4, 0x80
	v_cmp_eq_u16_e32 vcc, s4, v11
	s_mov_b64 s[4:5], -1
                                        ; implicit-def: $sgpr10
	s_and_saveexec_b64 s[8:9], vcc
; %bb.2902:
	s_mov_b32 s10, 0x7f800001
	s_xor_b64 s[4:5], exec, -1
; %bb.2903:
	s_or_b64 exec, exec, s[8:9]
	s_and_b64 s[4:5], s[4:5], exec
                                        ; implicit-def: $vgpr11
	s_or_saveexec_b64 s[6:7], s[6:7]
	v_mov_b32_e32 v14, s10
	s_xor_b64 exec, exec, s[6:7]
	s_cbranch_execz .LBB51_854
.LBB51_2904:
	v_cmp_ne_u16_e32 vcc, 0, v11
	s_andn2_b64 s[4:5], s[4:5], exec
	s_and_b64 s[8:9], vcc, exec
	v_mov_b32_e32 v14, 0
	s_or_b64 s[4:5], s[4:5], s[8:9]
	s_or_b64 exec, exec, s[6:7]
	s_and_saveexec_b64 s[6:7], s[4:5]
	s_cbranch_execnz .LBB51_855
	s_branch .LBB51_856
.LBB51_2905:
	s_movk_i32 s4, 0x80
	v_cmp_eq_u16_sdwa s[12:13], v16, s4 src0_sel:BYTE_3 src1_sel:DWORD
	s_mov_b64 s[4:5], -1
                                        ; implicit-def: $sgpr10
	s_and_saveexec_b64 s[8:9], s[12:13]
; %bb.2906:
	s_mov_b32 s10, 0x7f800001
	s_xor_b64 s[4:5], exec, -1
; %bb.2907:
	s_or_b64 exec, exec, s[8:9]
	s_and_b64 s[4:5], s[4:5], exec
	s_or_saveexec_b64 s[6:7], s[6:7]
	v_mov_b32_e32 v10, s10
	s_xor_b64 exec, exec, s[6:7]
	s_cbranch_execz .LBB51_858
.LBB51_2908:
	v_mov_b32_e32 v10, 0
	v_cmp_ne_u16_sdwa s[8:9], v16, v10 src0_sel:BYTE_3 src1_sel:DWORD
	s_andn2_b64 s[4:5], s[4:5], exec
	s_and_b64 s[8:9], s[8:9], exec
	s_or_b64 s[4:5], s[4:5], s[8:9]
	s_or_b64 exec, exec, s[6:7]
	s_and_saveexec_b64 s[6:7], s[4:5]
	s_cbranch_execnz .LBB51_859
	s_branch .LBB51_860
.LBB51_2909:
	s_movk_i32 s4, 0x80
	v_cmp_eq_u16_sdwa s[12:13], v12, s4 src0_sel:BYTE_3 src1_sel:DWORD
	s_mov_b64 s[4:5], -1
                                        ; implicit-def: $sgpr10
	s_and_saveexec_b64 s[8:9], s[12:13]
; %bb.2910:
	s_mov_b32 s10, 0x7f800001
	s_xor_b64 s[4:5], exec, -1
; %bb.2911:
	s_or_b64 exec, exec, s[8:9]
	s_and_b64 s[4:5], s[4:5], exec
	s_or_saveexec_b64 s[6:7], s[6:7]
	v_mov_b32_e32 v11, s10
	s_xor_b64 exec, exec, s[6:7]
	s_cbranch_execz .LBB51_862
.LBB51_2912:
	v_mov_b32_e32 v11, 0
	v_cmp_ne_u16_sdwa s[8:9], v12, v11 src0_sel:BYTE_3 src1_sel:DWORD
	s_andn2_b64 s[4:5], s[4:5], exec
	s_and_b64 s[8:9], s[8:9], exec
	s_or_b64 s[4:5], s[4:5], s[8:9]
	s_or_b64 exec, exec, s[6:7]
	s_and_saveexec_b64 s[6:7], s[4:5]
	s_cbranch_execnz .LBB51_863
	s_branch .LBB51_864
.LBB51_2913:
	s_movk_i32 s4, 0x80
	v_cmp_eq_u16_sdwa s[12:13], v17, s4 src0_sel:BYTE_0 src1_sel:DWORD
	s_mov_b64 s[4:5], -1
                                        ; implicit-def: $sgpr10
	s_and_saveexec_b64 s[8:9], s[12:13]
; %bb.2914:
	s_mov_b32 s10, 0x7f800001
	s_xor_b64 s[4:5], exec, -1
; %bb.2915:
	s_or_b64 exec, exec, s[8:9]
	s_and_b64 s[4:5], s[4:5], exec
	s_or_saveexec_b64 s[6:7], s[6:7]
	v_mov_b32_e32 v10, s10
	s_xor_b64 exec, exec, s[6:7]
	s_cbranch_execz .LBB51_866
.LBB51_2916:
	v_mov_b32_e32 v10, 0
	v_cmp_ne_u16_sdwa s[8:9], v17, v10 src0_sel:BYTE_0 src1_sel:DWORD
	s_andn2_b64 s[4:5], s[4:5], exec
	s_and_b64 s[8:9], s[8:9], exec
	s_or_b64 s[4:5], s[4:5], s[8:9]
	s_or_b64 exec, exec, s[6:7]
	s_and_saveexec_b64 s[6:7], s[4:5]
	s_cbranch_execnz .LBB51_867
	s_branch .LBB51_868
.LBB51_2917:
	s_movk_i32 s4, 0x80
	v_cmp_eq_u16_sdwa s[12:13], v13, s4 src0_sel:BYTE_0 src1_sel:DWORD
	s_mov_b64 s[4:5], -1
                                        ; implicit-def: $sgpr10
	s_and_saveexec_b64 s[8:9], s[12:13]
; %bb.2918:
	s_mov_b32 s10, 0x7f800001
	s_xor_b64 s[4:5], exec, -1
; %bb.2919:
	s_or_b64 exec, exec, s[8:9]
	s_and_b64 s[4:5], s[4:5], exec
	s_or_saveexec_b64 s[6:7], s[6:7]
	v_mov_b32_e32 v11, s10
	s_xor_b64 exec, exec, s[6:7]
	s_cbranch_execz .LBB51_870
.LBB51_2920:
	v_mov_b32_e32 v11, 0
	v_cmp_ne_u16_sdwa s[8:9], v13, v11 src0_sel:BYTE_0 src1_sel:DWORD
	s_andn2_b64 s[4:5], s[4:5], exec
	s_and_b64 s[8:9], s[8:9], exec
	s_or_b64 s[4:5], s[4:5], s[8:9]
	s_or_b64 exec, exec, s[6:7]
	s_and_saveexec_b64 s[6:7], s[4:5]
	s_cbranch_execnz .LBB51_871
	s_branch .LBB51_872
.LBB51_2921:
	s_movk_i32 s4, 0x80
	v_cmp_eq_u16_sdwa s[12:13], v11, s4 src0_sel:BYTE_0 src1_sel:DWORD
	s_mov_b64 s[4:5], -1
                                        ; implicit-def: $sgpr10
	s_and_saveexec_b64 s[8:9], s[12:13]
; %bb.2922:
	s_mov_b32 s10, 0x7f800001
	s_xor_b64 s[4:5], exec, -1
; %bb.2923:
	s_or_b64 exec, exec, s[8:9]
	s_and_b64 s[4:5], s[4:5], exec
	s_or_saveexec_b64 s[6:7], s[6:7]
	v_mov_b32_e32 v10, s10
	s_xor_b64 exec, exec, s[6:7]
	s_cbranch_execz .LBB51_874
.LBB51_2924:
	v_mov_b32_e32 v10, 0
	v_cmp_ne_u16_sdwa s[8:9], v11, v10 src0_sel:BYTE_0 src1_sel:DWORD
	s_andn2_b64 s[4:5], s[4:5], exec
	s_and_b64 s[8:9], s[8:9], exec
	s_or_b64 s[4:5], s[4:5], s[8:9]
	s_or_b64 exec, exec, s[6:7]
	s_and_saveexec_b64 s[6:7], s[4:5]
	s_cbranch_execnz .LBB51_875
	s_branch .LBB51_876
.LBB51_2925:
	s_movk_i32 s4, 0x80
	v_cmp_eq_u16_sdwa s[12:13], v11, s4 src0_sel:BYTE_0 src1_sel:DWORD
	s_mov_b64 s[4:5], -1
                                        ; implicit-def: $sgpr10
	s_and_saveexec_b64 s[8:9], s[12:13]
; %bb.2926:
	s_mov_b32 s10, 0x7f800001
	s_xor_b64 s[4:5], exec, -1
; %bb.2927:
	s_or_b64 exec, exec, s[8:9]
	s_and_b64 s[4:5], s[4:5], exec
	s_or_saveexec_b64 s[6:7], s[6:7]
	v_mov_b32_e32 v12, s10
	s_xor_b64 exec, exec, s[6:7]
	s_cbranch_execz .LBB51_878
.LBB51_2928:
	v_mov_b32_e32 v12, 0
	v_cmp_ne_u16_sdwa s[8:9], v11, v12 src0_sel:BYTE_0 src1_sel:DWORD
	s_andn2_b64 s[4:5], s[4:5], exec
	s_and_b64 s[8:9], s[8:9], exec
	s_or_b64 s[4:5], s[4:5], s[8:9]
	s_or_b64 exec, exec, s[6:7]
	s_and_saveexec_b64 s[6:7], s[4:5]
	s_cbranch_execnz .LBB51_879
	s_branch .LBB51_880
.LBB51_2929:
	s_movk_i32 s4, 0x80
	v_cmp_eq_u16_e32 vcc, s4, v11
	s_mov_b64 s[4:5], -1
                                        ; implicit-def: $sgpr10
	s_and_saveexec_b64 s[8:9], vcc
; %bb.2930:
	s_mov_b32 s10, 0x7f800001
	s_xor_b64 s[4:5], exec, -1
; %bb.2931:
	s_or_b64 exec, exec, s[8:9]
	s_and_b64 s[4:5], s[4:5], exec
                                        ; implicit-def: $vgpr11
	s_or_saveexec_b64 s[6:7], s[6:7]
	v_mov_b32_e32 v10, s10
	s_xor_b64 exec, exec, s[6:7]
	s_cbranch_execz .LBB51_882
.LBB51_2932:
	v_cmp_ne_u16_e32 vcc, 0, v11
	s_andn2_b64 s[4:5], s[4:5], exec
	s_and_b64 s[8:9], vcc, exec
	v_mov_b32_e32 v10, 0
	s_or_b64 s[4:5], s[4:5], s[8:9]
	s_or_b64 exec, exec, s[6:7]
	s_and_saveexec_b64 s[6:7], s[4:5]
	s_cbranch_execnz .LBB51_883
	s_branch .LBB51_884
.LBB51_2933:
	s_movk_i32 s4, 0x80
	v_cmp_eq_u16_e32 vcc, s4, v11
	s_mov_b64 s[4:5], -1
                                        ; implicit-def: $sgpr10
	s_and_saveexec_b64 s[8:9], vcc
; %bb.2934:
	s_mov_b32 s10, 0x7f800001
	s_xor_b64 s[4:5], exec, -1
; %bb.2935:
	s_or_b64 exec, exec, s[8:9]
	s_and_b64 s[4:5], s[4:5], exec
                                        ; implicit-def: $vgpr11
	s_or_saveexec_b64 s[6:7], s[6:7]
	v_mov_b32_e32 v12, s10
	s_xor_b64 exec, exec, s[6:7]
	s_cbranch_execz .LBB51_886
.LBB51_2936:
	v_cmp_ne_u16_e32 vcc, 0, v11
	s_andn2_b64 s[4:5], s[4:5], exec
	s_and_b64 s[8:9], vcc, exec
	v_mov_b32_e32 v12, 0
	s_or_b64 s[4:5], s[4:5], s[8:9]
	s_or_b64 exec, exec, s[6:7]
	s_and_saveexec_b64 s[6:7], s[4:5]
	s_cbranch_execnz .LBB51_887
	s_branch .LBB51_888
.LBB51_2937:
	s_movk_i32 s4, 0x80
	v_cmp_eq_u16_sdwa s[12:13], v17, s4 src0_sel:BYTE_3 src1_sel:DWORD
	s_mov_b64 s[4:5], -1
                                        ; implicit-def: $sgpr10
	s_and_saveexec_b64 s[8:9], s[12:13]
; %bb.2938:
	s_mov_b32 s10, 0x7f800001
	s_xor_b64 s[4:5], exec, -1
; %bb.2939:
	s_or_b64 exec, exec, s[8:9]
	s_and_b64 s[4:5], s[4:5], exec
	s_or_saveexec_b64 s[6:7], s[6:7]
	v_mov_b32_e32 v10, s10
	s_xor_b64 exec, exec, s[6:7]
	s_cbranch_execz .LBB51_890
.LBB51_2940:
	v_mov_b32_e32 v10, 0
	v_cmp_ne_u16_sdwa s[8:9], v17, v10 src0_sel:BYTE_3 src1_sel:DWORD
	s_andn2_b64 s[4:5], s[4:5], exec
	s_and_b64 s[8:9], s[8:9], exec
	s_or_b64 s[4:5], s[4:5], s[8:9]
	s_or_b64 exec, exec, s[6:7]
	s_and_saveexec_b64 s[6:7], s[4:5]
	s_cbranch_execnz .LBB51_891
	s_branch .LBB51_892
.LBB51_2941:
	s_movk_i32 s4, 0x80
	v_cmp_eq_u16_sdwa s[12:13], v13, s4 src0_sel:BYTE_3 src1_sel:DWORD
	s_mov_b64 s[4:5], -1
                                        ; implicit-def: $sgpr10
	s_and_saveexec_b64 s[8:9], s[12:13]
; %bb.2942:
	s_mov_b32 s10, 0x7f800001
	s_xor_b64 s[4:5], exec, -1
; %bb.2943:
	s_or_b64 exec, exec, s[8:9]
	s_and_b64 s[4:5], s[4:5], exec
	s_or_saveexec_b64 s[6:7], s[6:7]
	v_mov_b32_e32 v11, s10
	s_xor_b64 exec, exec, s[6:7]
	s_cbranch_execz .LBB51_894
.LBB51_2944:
	v_mov_b32_e32 v11, 0
	v_cmp_ne_u16_sdwa s[8:9], v13, v11 src0_sel:BYTE_3 src1_sel:DWORD
	s_andn2_b64 s[4:5], s[4:5], exec
	s_and_b64 s[8:9], s[8:9], exec
	s_or_b64 s[4:5], s[4:5], s[8:9]
	s_or_b64 exec, exec, s[6:7]
	s_and_saveexec_b64 s[6:7], s[4:5]
	s_cbranch_execnz .LBB51_895
	s_branch .LBB51_896
.LBB51_2945:
	s_movk_i32 s4, 0x80
	v_cmp_eq_u16_sdwa s[12:13], v6, s4 src0_sel:BYTE_0 src1_sel:DWORD
	s_mov_b64 s[4:5], -1
                                        ; implicit-def: $sgpr10
	s_and_saveexec_b64 s[8:9], s[12:13]
; %bb.2946:
	s_mov_b32 s10, 0x7f800001
	s_xor_b64 s[4:5], exec, -1
; %bb.2947:
	s_or_b64 exec, exec, s[8:9]
	s_and_b64 s[4:5], s[4:5], exec
	s_or_saveexec_b64 s[6:7], s[6:7]
	v_mov_b32_e32 v10, s10
	s_xor_b64 exec, exec, s[6:7]
	s_cbranch_execz .LBB51_898
.LBB51_2948:
	v_mov_b32_e32 v10, 0
	v_cmp_ne_u16_sdwa s[8:9], v6, v10 src0_sel:BYTE_0 src1_sel:DWORD
	s_andn2_b64 s[4:5], s[4:5], exec
	s_and_b64 s[8:9], s[8:9], exec
	s_or_b64 s[4:5], s[4:5], s[8:9]
	s_or_b64 exec, exec, s[6:7]
	s_and_saveexec_b64 s[6:7], s[4:5]
	s_cbranch_execnz .LBB51_899
	s_branch .LBB51_900
.LBB51_2949:
	s_movk_i32 s4, 0x80
	v_cmp_eq_u16_sdwa s[12:13], v2, s4 src0_sel:BYTE_0 src1_sel:DWORD
	s_mov_b64 s[4:5], -1
                                        ; implicit-def: $sgpr10
	s_and_saveexec_b64 s[8:9], s[12:13]
; %bb.2950:
	s_mov_b32 s10, 0x7f800001
	s_xor_b64 s[4:5], exec, -1
; %bb.2951:
	s_or_b64 exec, exec, s[8:9]
	s_and_b64 s[4:5], s[4:5], exec
	s_or_saveexec_b64 s[6:7], s[6:7]
	v_mov_b32_e32 v11, s10
	s_xor_b64 exec, exec, s[6:7]
	s_cbranch_execz .LBB51_902
.LBB51_2952:
	v_mov_b32_e32 v11, 0
	v_cmp_ne_u16_sdwa s[8:9], v2, v11 src0_sel:BYTE_0 src1_sel:DWORD
	s_andn2_b64 s[4:5], s[4:5], exec
	s_and_b64 s[8:9], s[8:9], exec
	s_or_b64 s[4:5], s[4:5], s[8:9]
	s_or_b64 exec, exec, s[6:7]
	s_and_saveexec_b64 s[6:7], s[4:5]
	s_cbranch_execnz .LBB51_903
	s_branch .LBB51_904
.LBB51_2953:
	s_movk_i32 s4, 0x80
	v_cmp_eq_u16_sdwa s[12:13], v11, s4 src0_sel:BYTE_0 src1_sel:DWORD
	s_mov_b64 s[4:5], -1
                                        ; implicit-def: $sgpr10
	s_and_saveexec_b64 s[8:9], s[12:13]
; %bb.2954:
	s_mov_b32 s10, 0x7f800001
	s_xor_b64 s[4:5], exec, -1
; %bb.2955:
	s_or_b64 exec, exec, s[8:9]
	s_and_b64 s[4:5], s[4:5], exec
	s_or_saveexec_b64 s[6:7], s[6:7]
	v_mov_b32_e32 v10, s10
	s_xor_b64 exec, exec, s[6:7]
	s_cbranch_execz .LBB51_906
.LBB51_2956:
	v_mov_b32_e32 v10, 0
	v_cmp_ne_u16_sdwa s[8:9], v11, v10 src0_sel:BYTE_0 src1_sel:DWORD
	s_andn2_b64 s[4:5], s[4:5], exec
	s_and_b64 s[8:9], s[8:9], exec
	s_or_b64 s[4:5], s[4:5], s[8:9]
	s_or_b64 exec, exec, s[6:7]
	s_and_saveexec_b64 s[6:7], s[4:5]
	s_cbranch_execnz .LBB51_907
	s_branch .LBB51_908
.LBB51_2957:
	s_movk_i32 s4, 0x80
	v_cmp_eq_u16_sdwa s[12:13], v11, s4 src0_sel:BYTE_0 src1_sel:DWORD
	s_mov_b64 s[4:5], -1
                                        ; implicit-def: $sgpr10
	s_and_saveexec_b64 s[8:9], s[12:13]
; %bb.2958:
	s_mov_b32 s10, 0x7f800001
	s_xor_b64 s[4:5], exec, -1
; %bb.2959:
	s_or_b64 exec, exec, s[8:9]
	s_and_b64 s[4:5], s[4:5], exec
	s_or_saveexec_b64 s[6:7], s[6:7]
	v_mov_b32_e32 v12, s10
	s_xor_b64 exec, exec, s[6:7]
	s_cbranch_execz .LBB51_910
.LBB51_2960:
	v_mov_b32_e32 v12, 0
	v_cmp_ne_u16_sdwa s[8:9], v11, v12 src0_sel:BYTE_0 src1_sel:DWORD
	s_andn2_b64 s[4:5], s[4:5], exec
	s_and_b64 s[8:9], s[8:9], exec
	s_or_b64 s[4:5], s[4:5], s[8:9]
	s_or_b64 exec, exec, s[6:7]
	s_and_saveexec_b64 s[6:7], s[4:5]
	s_cbranch_execnz .LBB51_911
	s_branch .LBB51_912
.LBB51_2961:
	s_movk_i32 s4, 0x80
	v_cmp_eq_u16_e32 vcc, s4, v11
	s_mov_b64 s[4:5], -1
                                        ; implicit-def: $sgpr10
	s_and_saveexec_b64 s[8:9], vcc
; %bb.2962:
	s_mov_b32 s10, 0x7f800001
	s_xor_b64 s[4:5], exec, -1
; %bb.2963:
	s_or_b64 exec, exec, s[8:9]
	s_and_b64 s[4:5], s[4:5], exec
                                        ; implicit-def: $vgpr11
	s_or_saveexec_b64 s[6:7], s[6:7]
	v_mov_b32_e32 v10, s10
	s_xor_b64 exec, exec, s[6:7]
	s_cbranch_execz .LBB51_914
.LBB51_2964:
	v_cmp_ne_u16_e32 vcc, 0, v11
	s_andn2_b64 s[4:5], s[4:5], exec
	s_and_b64 s[8:9], vcc, exec
	v_mov_b32_e32 v10, 0
	s_or_b64 s[4:5], s[4:5], s[8:9]
	s_or_b64 exec, exec, s[6:7]
	s_and_saveexec_b64 s[6:7], s[4:5]
	s_cbranch_execnz .LBB51_915
	s_branch .LBB51_916
.LBB51_2965:
	s_movk_i32 s4, 0x80
	v_cmp_eq_u16_e32 vcc, s4, v11
	s_mov_b64 s[4:5], -1
                                        ; implicit-def: $sgpr10
	s_and_saveexec_b64 s[8:9], vcc
; %bb.2966:
	s_mov_b32 s10, 0x7f800001
	s_xor_b64 s[4:5], exec, -1
; %bb.2967:
	s_or_b64 exec, exec, s[8:9]
	s_and_b64 s[4:5], s[4:5], exec
                                        ; implicit-def: $vgpr11
	s_or_saveexec_b64 s[6:7], s[6:7]
	v_mov_b32_e32 v12, s10
	s_xor_b64 exec, exec, s[6:7]
	s_cbranch_execz .LBB51_918
.LBB51_2968:
	v_cmp_ne_u16_e32 vcc, 0, v11
	s_andn2_b64 s[4:5], s[4:5], exec
	s_and_b64 s[8:9], vcc, exec
	v_mov_b32_e32 v12, 0
	s_or_b64 s[4:5], s[4:5], s[8:9]
	s_or_b64 exec, exec, s[6:7]
	s_and_saveexec_b64 s[6:7], s[4:5]
	s_cbranch_execnz .LBB51_919
	s_branch .LBB51_920
.LBB51_2969:
	s_movk_i32 s4, 0x80
	v_cmp_eq_u16_sdwa s[12:13], v6, s4 src0_sel:BYTE_3 src1_sel:DWORD
	s_mov_b64 s[4:5], -1
                                        ; implicit-def: $sgpr10
	s_and_saveexec_b64 s[8:9], s[12:13]
; %bb.2970:
	s_mov_b32 s10, 0x7f800001
	s_xor_b64 s[4:5], exec, -1
; %bb.2971:
	s_or_b64 exec, exec, s[8:9]
	s_and_b64 s[4:5], s[4:5], exec
	s_or_saveexec_b64 s[6:7], s[6:7]
	v_mov_b32_e32 v10, s10
	s_xor_b64 exec, exec, s[6:7]
	s_cbranch_execz .LBB51_922
.LBB51_2972:
	v_mov_b32_e32 v10, 0
	v_cmp_ne_u16_sdwa s[8:9], v6, v10 src0_sel:BYTE_3 src1_sel:DWORD
	s_andn2_b64 s[4:5], s[4:5], exec
	s_and_b64 s[8:9], s[8:9], exec
	s_or_b64 s[4:5], s[4:5], s[8:9]
	s_or_b64 exec, exec, s[6:7]
	s_and_saveexec_b64 s[6:7], s[4:5]
	s_cbranch_execnz .LBB51_923
	s_branch .LBB51_924
.LBB51_2973:
	s_movk_i32 s4, 0x80
	v_cmp_eq_u16_sdwa s[12:13], v2, s4 src0_sel:BYTE_3 src1_sel:DWORD
	s_mov_b64 s[4:5], -1
                                        ; implicit-def: $sgpr10
	s_and_saveexec_b64 s[8:9], s[12:13]
; %bb.2974:
	s_mov_b32 s10, 0x7f800001
	s_xor_b64 s[4:5], exec, -1
; %bb.2975:
	s_or_b64 exec, exec, s[8:9]
	s_and_b64 s[4:5], s[4:5], exec
	s_or_saveexec_b64 s[6:7], s[6:7]
	v_mov_b32_e32 v6, s10
	s_xor_b64 exec, exec, s[6:7]
	s_cbranch_execz .LBB51_926
.LBB51_2976:
	v_mov_b32_e32 v6, 0
	v_cmp_ne_u16_sdwa s[8:9], v2, v6 src0_sel:BYTE_3 src1_sel:DWORD
	s_andn2_b64 s[4:5], s[4:5], exec
	s_and_b64 s[8:9], s[8:9], exec
	s_or_b64 s[4:5], s[4:5], s[8:9]
	s_or_b64 exec, exec, s[6:7]
	s_and_saveexec_b64 s[6:7], s[4:5]
	s_cbranch_execnz .LBB51_927
	s_branch .LBB51_928
.LBB51_2977:
	s_movk_i32 s4, 0x80
	v_cmp_eq_u16_sdwa s[12:13], v7, s4 src0_sel:BYTE_0 src1_sel:DWORD
	s_mov_b64 s[4:5], -1
                                        ; implicit-def: $sgpr10
	s_and_saveexec_b64 s[8:9], s[12:13]
; %bb.2978:
	s_mov_b32 s10, 0x7f800001
	s_xor_b64 s[4:5], exec, -1
; %bb.2979:
	s_or_b64 exec, exec, s[8:9]
	s_and_b64 s[4:5], s[4:5], exec
	s_or_saveexec_b64 s[6:7], s[6:7]
	v_mov_b32_e32 v2, s10
	s_xor_b64 exec, exec, s[6:7]
	s_cbranch_execz .LBB51_930
.LBB51_2980:
	v_mov_b32_e32 v2, 0
	v_cmp_ne_u16_sdwa s[8:9], v7, v2 src0_sel:BYTE_0 src1_sel:DWORD
	s_andn2_b64 s[4:5], s[4:5], exec
	s_and_b64 s[8:9], s[8:9], exec
	s_or_b64 s[4:5], s[4:5], s[8:9]
	s_or_b64 exec, exec, s[6:7]
	s_and_saveexec_b64 s[6:7], s[4:5]
	s_cbranch_execnz .LBB51_931
	s_branch .LBB51_932
.LBB51_2981:
	s_movk_i32 s4, 0x80
	v_cmp_eq_u16_sdwa s[12:13], v3, s4 src0_sel:BYTE_0 src1_sel:DWORD
	s_mov_b64 s[4:5], -1
                                        ; implicit-def: $sgpr10
	s_and_saveexec_b64 s[8:9], s[12:13]
; %bb.2982:
	s_mov_b32 s10, 0x7f800001
	s_xor_b64 s[4:5], exec, -1
; %bb.2983:
	s_or_b64 exec, exec, s[8:9]
	s_and_b64 s[4:5], s[4:5], exec
	s_or_saveexec_b64 s[6:7], s[6:7]
	v_mov_b32_e32 v6, s10
	s_xor_b64 exec, exec, s[6:7]
	s_cbranch_execz .LBB51_934
.LBB51_2984:
	v_mov_b32_e32 v6, 0
	v_cmp_ne_u16_sdwa s[8:9], v3, v6 src0_sel:BYTE_0 src1_sel:DWORD
	s_andn2_b64 s[4:5], s[4:5], exec
	s_and_b64 s[8:9], s[8:9], exec
	s_or_b64 s[4:5], s[4:5], s[8:9]
	s_or_b64 exec, exec, s[6:7]
	s_and_saveexec_b64 s[6:7], s[4:5]
	s_cbranch_execnz .LBB51_935
	s_branch .LBB51_936
.LBB51_2985:
	s_movk_i32 s4, 0x80
	v_cmp_eq_u16_sdwa s[12:13], v6, s4 src0_sel:BYTE_0 src1_sel:DWORD
	s_mov_b64 s[4:5], -1
                                        ; implicit-def: $sgpr10
	s_and_saveexec_b64 s[8:9], s[12:13]
; %bb.2986:
	s_mov_b32 s10, 0x7f800001
	s_xor_b64 s[4:5], exec, -1
; %bb.2987:
	s_or_b64 exec, exec, s[8:9]
	s_and_b64 s[4:5], s[4:5], exec
	s_or_saveexec_b64 s[6:7], s[6:7]
	v_mov_b32_e32 v2, s10
	s_xor_b64 exec, exec, s[6:7]
	s_cbranch_execz .LBB51_938
.LBB51_2988:
	v_mov_b32_e32 v2, 0
	v_cmp_ne_u16_sdwa s[8:9], v6, v2 src0_sel:BYTE_0 src1_sel:DWORD
	s_andn2_b64 s[4:5], s[4:5], exec
	s_and_b64 s[8:9], s[8:9], exec
	s_or_b64 s[4:5], s[4:5], s[8:9]
	s_or_b64 exec, exec, s[6:7]
	s_and_saveexec_b64 s[6:7], s[4:5]
	s_cbranch_execnz .LBB51_939
	s_branch .LBB51_940
.LBB51_2989:
	s_movk_i32 s4, 0x80
	v_cmp_eq_u16_sdwa s[12:13], v6, s4 src0_sel:BYTE_0 src1_sel:DWORD
	s_mov_b64 s[4:5], -1
                                        ; implicit-def: $sgpr10
	s_and_saveexec_b64 s[8:9], s[12:13]
; %bb.2990:
	s_mov_b32 s10, 0x7f800001
	s_xor_b64 s[4:5], exec, -1
; %bb.2991:
	s_or_b64 exec, exec, s[8:9]
	s_and_b64 s[4:5], s[4:5], exec
	s_or_saveexec_b64 s[6:7], s[6:7]
	v_mov_b32_e32 v10, s10
	s_xor_b64 exec, exec, s[6:7]
	s_cbranch_execz .LBB51_942
.LBB51_2992:
	v_mov_b32_e32 v10, 0
	v_cmp_ne_u16_sdwa s[8:9], v6, v10 src0_sel:BYTE_0 src1_sel:DWORD
	s_andn2_b64 s[4:5], s[4:5], exec
	s_and_b64 s[8:9], s[8:9], exec
	s_or_b64 s[4:5], s[4:5], s[8:9]
	s_or_b64 exec, exec, s[6:7]
	s_and_saveexec_b64 s[6:7], s[4:5]
	s_cbranch_execnz .LBB51_943
	s_branch .LBB51_944
.LBB51_2993:
	s_movk_i32 s4, 0x80
	v_cmp_eq_u16_e32 vcc, s4, v6
	s_mov_b64 s[4:5], -1
                                        ; implicit-def: $sgpr10
	s_and_saveexec_b64 s[8:9], vcc
; %bb.2994:
	s_mov_b32 s10, 0x7f800001
	s_xor_b64 s[4:5], exec, -1
; %bb.2995:
	s_or_b64 exec, exec, s[8:9]
	s_and_b64 s[4:5], s[4:5], exec
                                        ; implicit-def: $vgpr6
	s_or_saveexec_b64 s[6:7], s[6:7]
	v_mov_b32_e32 v2, s10
	s_xor_b64 exec, exec, s[6:7]
	s_cbranch_execz .LBB51_946
.LBB51_2996:
	v_cmp_ne_u16_e32 vcc, 0, v6
	s_andn2_b64 s[4:5], s[4:5], exec
	s_and_b64 s[8:9], vcc, exec
	v_mov_b32_e32 v2, 0
	s_or_b64 s[4:5], s[4:5], s[8:9]
	s_or_b64 exec, exec, s[6:7]
	s_and_saveexec_b64 s[6:7], s[4:5]
	s_cbranch_execnz .LBB51_947
	s_branch .LBB51_948
.LBB51_2997:
	s_movk_i32 s4, 0x80
	v_cmp_eq_u16_e32 vcc, s4, v6
	s_mov_b64 s[4:5], -1
                                        ; implicit-def: $sgpr10
	s_and_saveexec_b64 s[8:9], vcc
; %bb.2998:
	s_mov_b32 s10, 0x7f800001
	s_xor_b64 s[4:5], exec, -1
; %bb.2999:
	s_or_b64 exec, exec, s[8:9]
	s_and_b64 s[4:5], s[4:5], exec
                                        ; implicit-def: $vgpr6
	s_or_saveexec_b64 s[6:7], s[6:7]
	v_mov_b32_e32 v10, s10
	s_xor_b64 exec, exec, s[6:7]
	s_cbranch_execz .LBB51_950
.LBB51_3000:
	v_cmp_ne_u16_e32 vcc, 0, v6
	s_andn2_b64 s[4:5], s[4:5], exec
	s_and_b64 s[8:9], vcc, exec
	v_mov_b32_e32 v10, 0
	s_or_b64 s[4:5], s[4:5], s[8:9]
	s_or_b64 exec, exec, s[6:7]
	s_and_saveexec_b64 s[6:7], s[4:5]
	s_cbranch_execnz .LBB51_951
	s_branch .LBB51_952
.LBB51_3001:
	s_movk_i32 s4, 0x80
	v_cmp_eq_u16_sdwa s[12:13], v7, s4 src0_sel:BYTE_3 src1_sel:DWORD
	s_mov_b64 s[4:5], -1
                                        ; implicit-def: $sgpr10
	s_and_saveexec_b64 s[8:9], s[12:13]
; %bb.3002:
	s_mov_b32 s10, 0x7f800001
	s_xor_b64 s[4:5], exec, -1
; %bb.3003:
	s_or_b64 exec, exec, s[8:9]
	s_and_b64 s[4:5], s[4:5], exec
	s_or_saveexec_b64 s[6:7], s[6:7]
	v_mov_b32_e32 v2, s10
	s_xor_b64 exec, exec, s[6:7]
	s_cbranch_execz .LBB51_954
.LBB51_3004:
	v_mov_b32_e32 v2, 0
	v_cmp_ne_u16_sdwa s[8:9], v7, v2 src0_sel:BYTE_3 src1_sel:DWORD
	s_andn2_b64 s[4:5], s[4:5], exec
	s_and_b64 s[8:9], s[8:9], exec
	s_or_b64 s[4:5], s[4:5], s[8:9]
	s_or_b64 exec, exec, s[6:7]
	s_and_saveexec_b64 s[6:7], s[4:5]
	s_cbranch_execnz .LBB51_955
	s_branch .LBB51_956
.LBB51_3005:
	s_movk_i32 s4, 0x80
	v_cmp_eq_u16_sdwa s[12:13], v3, s4 src0_sel:BYTE_3 src1_sel:DWORD
	s_mov_b64 s[4:5], -1
                                        ; implicit-def: $sgpr10
	s_and_saveexec_b64 s[8:9], s[12:13]
; %bb.3006:
	s_mov_b32 s10, 0x7f800001
	s_xor_b64 s[4:5], exec, -1
; %bb.3007:
	s_or_b64 exec, exec, s[8:9]
	s_and_b64 s[4:5], s[4:5], exec
	s_or_saveexec_b64 s[6:7], s[6:7]
	v_mov_b32_e32 v6, s10
	s_xor_b64 exec, exec, s[6:7]
	s_cbranch_execz .LBB51_958
.LBB51_3008:
	v_mov_b32_e32 v6, 0
	v_cmp_ne_u16_sdwa s[8:9], v3, v6 src0_sel:BYTE_3 src1_sel:DWORD
	s_andn2_b64 s[4:5], s[4:5], exec
	s_and_b64 s[8:9], s[8:9], exec
	s_or_b64 s[4:5], s[4:5], s[8:9]
	s_or_b64 exec, exec, s[6:7]
	s_and_saveexec_b64 s[6:7], s[4:5]
	s_cbranch_execnz .LBB51_959
	s_branch .LBB51_960
.LBB51_3009:
	s_movk_i32 s4, 0x80
	v_cmp_eq_u16_sdwa s[12:13], v8, s4 src0_sel:BYTE_0 src1_sel:DWORD
	s_mov_b64 s[4:5], -1
                                        ; implicit-def: $sgpr10
	s_and_saveexec_b64 s[8:9], s[12:13]
; %bb.3010:
	s_mov_b32 s10, 0x7f800001
	s_xor_b64 s[4:5], exec, -1
; %bb.3011:
	s_or_b64 exec, exec, s[8:9]
	s_and_b64 s[4:5], s[4:5], exec
	s_or_saveexec_b64 s[6:7], s[6:7]
	v_mov_b32_e32 v2, s10
	s_xor_b64 exec, exec, s[6:7]
	s_cbranch_execz .LBB51_962
.LBB51_3012:
	v_mov_b32_e32 v2, 0
	v_cmp_ne_u16_sdwa s[8:9], v8, v2 src0_sel:BYTE_0 src1_sel:DWORD
	s_andn2_b64 s[4:5], s[4:5], exec
	s_and_b64 s[8:9], s[8:9], exec
	s_or_b64 s[4:5], s[4:5], s[8:9]
	s_or_b64 exec, exec, s[6:7]
	s_and_saveexec_b64 s[6:7], s[4:5]
	s_cbranch_execnz .LBB51_963
	s_branch .LBB51_964
.LBB51_3013:
	s_movk_i32 s4, 0x80
	v_cmp_eq_u16_sdwa s[12:13], v4, s4 src0_sel:BYTE_0 src1_sel:DWORD
	s_mov_b64 s[4:5], -1
                                        ; implicit-def: $sgpr10
	s_and_saveexec_b64 s[8:9], s[12:13]
; %bb.3014:
	s_mov_b32 s10, 0x7f800001
	s_xor_b64 s[4:5], exec, -1
; %bb.3015:
	s_or_b64 exec, exec, s[8:9]
	s_and_b64 s[4:5], s[4:5], exec
	s_or_saveexec_b64 s[6:7], s[6:7]
	v_mov_b32_e32 v3, s10
	s_xor_b64 exec, exec, s[6:7]
	s_cbranch_execz .LBB51_966
.LBB51_3016:
	v_mov_b32_e32 v3, 0
	v_cmp_ne_u16_sdwa s[8:9], v4, v3 src0_sel:BYTE_0 src1_sel:DWORD
	s_andn2_b64 s[4:5], s[4:5], exec
	s_and_b64 s[8:9], s[8:9], exec
	s_or_b64 s[4:5], s[4:5], s[8:9]
	s_or_b64 exec, exec, s[6:7]
	s_and_saveexec_b64 s[6:7], s[4:5]
	s_cbranch_execnz .LBB51_967
	s_branch .LBB51_968
.LBB51_3017:
	s_movk_i32 s4, 0x80
	v_cmp_eq_u16_sdwa s[12:13], v3, s4 src0_sel:BYTE_0 src1_sel:DWORD
	s_mov_b64 s[4:5], -1
                                        ; implicit-def: $sgpr10
	s_and_saveexec_b64 s[8:9], s[12:13]
; %bb.3018:
	s_mov_b32 s10, 0x7f800001
	s_xor_b64 s[4:5], exec, -1
; %bb.3019:
	s_or_b64 exec, exec, s[8:9]
	s_and_b64 s[4:5], s[4:5], exec
	s_or_saveexec_b64 s[6:7], s[6:7]
	v_mov_b32_e32 v2, s10
	s_xor_b64 exec, exec, s[6:7]
	s_cbranch_execz .LBB51_970
.LBB51_3020:
	v_mov_b32_e32 v2, 0
	v_cmp_ne_u16_sdwa s[8:9], v3, v2 src0_sel:BYTE_0 src1_sel:DWORD
	s_andn2_b64 s[4:5], s[4:5], exec
	s_and_b64 s[8:9], s[8:9], exec
	s_or_b64 s[4:5], s[4:5], s[8:9]
	s_or_b64 exec, exec, s[6:7]
	s_and_saveexec_b64 s[6:7], s[4:5]
	s_cbranch_execnz .LBB51_971
	s_branch .LBB51_972
.LBB51_3021:
	s_movk_i32 s4, 0x80
	v_cmp_eq_u16_sdwa s[12:13], v3, s4 src0_sel:BYTE_0 src1_sel:DWORD
	s_mov_b64 s[4:5], -1
                                        ; implicit-def: $sgpr10
	s_and_saveexec_b64 s[8:9], s[12:13]
; %bb.3022:
	s_mov_b32 s10, 0x7f800001
	s_xor_b64 s[4:5], exec, -1
; %bb.3023:
	s_or_b64 exec, exec, s[8:9]
	s_and_b64 s[4:5], s[4:5], exec
	s_or_saveexec_b64 s[6:7], s[6:7]
	v_mov_b32_e32 v6, s10
	s_xor_b64 exec, exec, s[6:7]
	s_cbranch_execz .LBB51_974
.LBB51_3024:
	v_mov_b32_e32 v6, 0
	v_cmp_ne_u16_sdwa s[8:9], v3, v6 src0_sel:BYTE_0 src1_sel:DWORD
	s_andn2_b64 s[4:5], s[4:5], exec
	s_and_b64 s[8:9], s[8:9], exec
	s_or_b64 s[4:5], s[4:5], s[8:9]
	s_or_b64 exec, exec, s[6:7]
	s_and_saveexec_b64 s[6:7], s[4:5]
	s_cbranch_execnz .LBB51_975
	s_branch .LBB51_976
.LBB51_3025:
	s_movk_i32 s4, 0x80
	v_cmp_eq_u16_e32 vcc, s4, v3
	s_mov_b64 s[4:5], -1
                                        ; implicit-def: $sgpr10
	s_and_saveexec_b64 s[8:9], vcc
; %bb.3026:
	s_mov_b32 s10, 0x7f800001
	s_xor_b64 s[4:5], exec, -1
; %bb.3027:
	s_or_b64 exec, exec, s[8:9]
	s_and_b64 s[4:5], s[4:5], exec
                                        ; implicit-def: $vgpr3
	s_or_saveexec_b64 s[6:7], s[6:7]
	v_mov_b32_e32 v2, s10
	s_xor_b64 exec, exec, s[6:7]
	s_cbranch_execz .LBB51_978
.LBB51_3028:
	v_cmp_ne_u16_e32 vcc, 0, v3
	s_andn2_b64 s[4:5], s[4:5], exec
	s_and_b64 s[8:9], vcc, exec
	v_mov_b32_e32 v2, 0
	s_or_b64 s[4:5], s[4:5], s[8:9]
	s_or_b64 exec, exec, s[6:7]
	s_and_saveexec_b64 s[6:7], s[4:5]
	s_cbranch_execnz .LBB51_979
	s_branch .LBB51_980
.LBB51_3029:
	s_movk_i32 s4, 0x80
	v_cmp_eq_u16_e32 vcc, s4, v3
	s_mov_b64 s[4:5], -1
                                        ; implicit-def: $sgpr10
	s_and_saveexec_b64 s[8:9], vcc
; %bb.3030:
	s_mov_b32 s10, 0x7f800001
	s_xor_b64 s[4:5], exec, -1
; %bb.3031:
	s_or_b64 exec, exec, s[8:9]
	s_and_b64 s[4:5], s[4:5], exec
                                        ; implicit-def: $vgpr3
	s_or_saveexec_b64 s[6:7], s[6:7]
	v_mov_b32_e32 v6, s10
	s_xor_b64 exec, exec, s[6:7]
	s_cbranch_execz .LBB51_982
.LBB51_3032:
	v_cmp_ne_u16_e32 vcc, 0, v3
	s_andn2_b64 s[4:5], s[4:5], exec
	s_and_b64 s[8:9], vcc, exec
	v_mov_b32_e32 v6, 0
	s_or_b64 s[4:5], s[4:5], s[8:9]
	s_or_b64 exec, exec, s[6:7]
	s_and_saveexec_b64 s[6:7], s[4:5]
	s_cbranch_execnz .LBB51_983
	s_branch .LBB51_984
.LBB51_3033:
	s_movk_i32 s4, 0x80
	v_cmp_eq_u16_sdwa s[12:13], v8, s4 src0_sel:BYTE_3 src1_sel:DWORD
	s_mov_b64 s[4:5], -1
                                        ; implicit-def: $sgpr10
	s_and_saveexec_b64 s[8:9], s[12:13]
; %bb.3034:
	s_mov_b32 s10, 0x7f800001
	s_xor_b64 s[4:5], exec, -1
; %bb.3035:
	s_or_b64 exec, exec, s[8:9]
	s_and_b64 s[4:5], s[4:5], exec
	s_or_saveexec_b64 s[6:7], s[6:7]
	v_mov_b32_e32 v2, s10
	s_xor_b64 exec, exec, s[6:7]
	s_cbranch_execz .LBB51_986
.LBB51_3036:
	v_mov_b32_e32 v2, 0
	v_cmp_ne_u16_sdwa s[8:9], v8, v2 src0_sel:BYTE_3 src1_sel:DWORD
	s_andn2_b64 s[4:5], s[4:5], exec
	s_and_b64 s[8:9], s[8:9], exec
	s_or_b64 s[4:5], s[4:5], s[8:9]
	s_or_b64 exec, exec, s[6:7]
	s_and_saveexec_b64 s[6:7], s[4:5]
	s_cbranch_execnz .LBB51_987
	s_branch .LBB51_988
.LBB51_3037:
	s_movk_i32 s4, 0x80
	v_cmp_eq_u16_sdwa s[12:13], v4, s4 src0_sel:BYTE_3 src1_sel:DWORD
	s_mov_b64 s[4:5], -1
                                        ; implicit-def: $sgpr10
	s_and_saveexec_b64 s[8:9], s[12:13]
; %bb.3038:
	s_mov_b32 s10, 0x7f800001
	s_xor_b64 s[4:5], exec, -1
; %bb.3039:
	s_or_b64 exec, exec, s[8:9]
	s_and_b64 s[4:5], s[4:5], exec
	s_or_saveexec_b64 s[6:7], s[6:7]
	v_mov_b32_e32 v3, s10
	s_xor_b64 exec, exec, s[6:7]
	s_cbranch_execz .LBB51_990
.LBB51_3040:
	v_mov_b32_e32 v3, 0
	v_cmp_ne_u16_sdwa s[8:9], v4, v3 src0_sel:BYTE_3 src1_sel:DWORD
	s_andn2_b64 s[4:5], s[4:5], exec
	s_and_b64 s[8:9], s[8:9], exec
	s_or_b64 s[4:5], s[4:5], s[8:9]
	s_or_b64 exec, exec, s[6:7]
	s_and_saveexec_b64 s[6:7], s[4:5]
	s_cbranch_execnz .LBB51_991
	s_branch .LBB51_992
.LBB51_3041:
	s_movk_i32 s4, 0x80
	v_cmp_eq_u16_sdwa s[12:13], v9, s4 src0_sel:BYTE_0 src1_sel:DWORD
	s_mov_b64 s[4:5], -1
                                        ; implicit-def: $sgpr10
	s_and_saveexec_b64 s[8:9], s[12:13]
; %bb.3042:
	s_mov_b32 s10, 0x7f800001
	s_xor_b64 s[4:5], exec, -1
; %bb.3043:
	s_or_b64 exec, exec, s[8:9]
	s_and_b64 s[4:5], s[4:5], exec
	s_or_saveexec_b64 s[6:7], s[6:7]
	v_mov_b32_e32 v2, s10
	s_xor_b64 exec, exec, s[6:7]
	s_cbranch_execz .LBB51_994
.LBB51_3044:
	v_mov_b32_e32 v2, 0
	v_cmp_ne_u16_sdwa s[8:9], v9, v2 src0_sel:BYTE_0 src1_sel:DWORD
	s_andn2_b64 s[4:5], s[4:5], exec
	s_and_b64 s[8:9], s[8:9], exec
	s_or_b64 s[4:5], s[4:5], s[8:9]
	s_or_b64 exec, exec, s[6:7]
	s_and_saveexec_b64 s[6:7], s[4:5]
	s_cbranch_execnz .LBB51_995
	s_branch .LBB51_996
.LBB51_3045:
	s_movk_i32 s4, 0x80
	v_cmp_eq_u16_sdwa s[12:13], v5, s4 src0_sel:BYTE_0 src1_sel:DWORD
	s_mov_b64 s[4:5], -1
                                        ; implicit-def: $sgpr10
	s_and_saveexec_b64 s[8:9], s[12:13]
; %bb.3046:
	s_mov_b32 s10, 0x7f800001
	s_xor_b64 s[4:5], exec, -1
; %bb.3047:
	s_or_b64 exec, exec, s[8:9]
	s_and_b64 s[4:5], s[4:5], exec
	s_or_saveexec_b64 s[6:7], s[6:7]
	v_mov_b32_e32 v3, s10
	s_xor_b64 exec, exec, s[6:7]
	s_cbranch_execz .LBB51_998
.LBB51_3048:
	v_mov_b32_e32 v3, 0
	v_cmp_ne_u16_sdwa s[8:9], v5, v3 src0_sel:BYTE_0 src1_sel:DWORD
	s_andn2_b64 s[4:5], s[4:5], exec
	s_and_b64 s[8:9], s[8:9], exec
	s_or_b64 s[4:5], s[4:5], s[8:9]
	s_or_b64 exec, exec, s[6:7]
	s_and_saveexec_b64 s[6:7], s[4:5]
	s_cbranch_execnz .LBB51_999
	s_branch .LBB51_1000
.LBB51_3049:
	s_movk_i32 s4, 0x80
	v_cmp_eq_u16_sdwa s[12:13], v3, s4 src0_sel:BYTE_0 src1_sel:DWORD
	s_mov_b64 s[4:5], -1
                                        ; implicit-def: $sgpr10
	s_and_saveexec_b64 s[8:9], s[12:13]
; %bb.3050:
	s_mov_b32 s10, 0x7f800001
	s_xor_b64 s[4:5], exec, -1
; %bb.3051:
	s_or_b64 exec, exec, s[8:9]
	s_and_b64 s[4:5], s[4:5], exec
	s_or_saveexec_b64 s[6:7], s[6:7]
	v_mov_b32_e32 v2, s10
	s_xor_b64 exec, exec, s[6:7]
	s_cbranch_execz .LBB51_1002
.LBB51_3052:
	v_mov_b32_e32 v2, 0
	v_cmp_ne_u16_sdwa s[8:9], v3, v2 src0_sel:BYTE_0 src1_sel:DWORD
	s_andn2_b64 s[4:5], s[4:5], exec
	s_and_b64 s[8:9], s[8:9], exec
	s_or_b64 s[4:5], s[4:5], s[8:9]
	s_or_b64 exec, exec, s[6:7]
	s_and_saveexec_b64 s[6:7], s[4:5]
	s_cbranch_execnz .LBB51_1003
	s_branch .LBB51_1004
.LBB51_3053:
	s_movk_i32 s4, 0x80
	v_cmp_eq_u16_sdwa s[12:13], v3, s4 src0_sel:BYTE_0 src1_sel:DWORD
	s_mov_b64 s[4:5], -1
                                        ; implicit-def: $sgpr10
	s_and_saveexec_b64 s[8:9], s[12:13]
; %bb.3054:
	s_mov_b32 s10, 0x7f800001
	s_xor_b64 s[4:5], exec, -1
; %bb.3055:
	s_or_b64 exec, exec, s[8:9]
	s_and_b64 s[4:5], s[4:5], exec
	s_or_saveexec_b64 s[6:7], s[6:7]
	v_mov_b32_e32 v4, s10
	s_xor_b64 exec, exec, s[6:7]
	s_cbranch_execz .LBB51_1006
.LBB51_3056:
	v_mov_b32_e32 v4, 0
	v_cmp_ne_u16_sdwa s[8:9], v3, v4 src0_sel:BYTE_0 src1_sel:DWORD
	s_andn2_b64 s[4:5], s[4:5], exec
	s_and_b64 s[8:9], s[8:9], exec
	s_or_b64 s[4:5], s[4:5], s[8:9]
	s_or_b64 exec, exec, s[6:7]
	s_and_saveexec_b64 s[6:7], s[4:5]
	s_cbranch_execnz .LBB51_1007
	s_branch .LBB51_1008
.LBB51_3057:
	s_movk_i32 s4, 0x80
	v_cmp_eq_u16_e32 vcc, s4, v3
	s_mov_b64 s[4:5], -1
                                        ; implicit-def: $sgpr10
	s_and_saveexec_b64 s[8:9], vcc
; %bb.3058:
	s_mov_b32 s10, 0x7f800001
	s_xor_b64 s[4:5], exec, -1
; %bb.3059:
	s_or_b64 exec, exec, s[8:9]
	s_and_b64 s[4:5], s[4:5], exec
                                        ; implicit-def: $vgpr3
	s_or_saveexec_b64 s[6:7], s[6:7]
	v_mov_b32_e32 v2, s10
	s_xor_b64 exec, exec, s[6:7]
	s_cbranch_execz .LBB51_1010
.LBB51_3060:
	v_cmp_ne_u16_e32 vcc, 0, v3
	s_andn2_b64 s[4:5], s[4:5], exec
	s_and_b64 s[8:9], vcc, exec
	v_mov_b32_e32 v2, 0
	s_or_b64 s[4:5], s[4:5], s[8:9]
	s_or_b64 exec, exec, s[6:7]
	s_and_saveexec_b64 s[6:7], s[4:5]
	s_cbranch_execnz .LBB51_1011
	s_branch .LBB51_1012
.LBB51_3061:
	s_movk_i32 s4, 0x80
	v_cmp_eq_u16_e32 vcc, s4, v3
	s_mov_b64 s[4:5], -1
                                        ; implicit-def: $sgpr10
	s_and_saveexec_b64 s[8:9], vcc
; %bb.3062:
	s_mov_b32 s10, 0x7f800001
	s_xor_b64 s[4:5], exec, -1
; %bb.3063:
	s_or_b64 exec, exec, s[8:9]
	s_and_b64 s[4:5], s[4:5], exec
                                        ; implicit-def: $vgpr3
	s_or_saveexec_b64 s[6:7], s[6:7]
	v_mov_b32_e32 v4, s10
	s_xor_b64 exec, exec, s[6:7]
	s_cbranch_execz .LBB51_1014
.LBB51_3064:
	v_cmp_ne_u16_e32 vcc, 0, v3
	s_andn2_b64 s[4:5], s[4:5], exec
	s_and_b64 s[8:9], vcc, exec
	v_mov_b32_e32 v4, 0
	s_or_b64 s[4:5], s[4:5], s[8:9]
	s_or_b64 exec, exec, s[6:7]
	s_and_saveexec_b64 s[6:7], s[4:5]
	s_cbranch_execnz .LBB51_1015
	s_branch .LBB51_1016
.LBB51_3065:
	s_movk_i32 s4, 0x80
	v_cmp_eq_u16_sdwa s[12:13], v9, s4 src0_sel:BYTE_3 src1_sel:DWORD
	s_mov_b64 s[4:5], -1
                                        ; implicit-def: $sgpr10
	s_and_saveexec_b64 s[8:9], s[12:13]
; %bb.3066:
	s_mov_b32 s10, 0x7f800001
	s_xor_b64 s[4:5], exec, -1
; %bb.3067:
	s_or_b64 exec, exec, s[8:9]
	s_and_b64 s[4:5], s[4:5], exec
	s_or_saveexec_b64 s[6:7], s[6:7]
	v_mov_b32_e32 v2, s10
	s_xor_b64 exec, exec, s[6:7]
	s_cbranch_execz .LBB51_1018
.LBB51_3068:
	v_mov_b32_e32 v2, 0
	v_cmp_ne_u16_sdwa s[8:9], v9, v2 src0_sel:BYTE_3 src1_sel:DWORD
	s_andn2_b64 s[4:5], s[4:5], exec
	s_and_b64 s[8:9], s[8:9], exec
	s_or_b64 s[4:5], s[4:5], s[8:9]
	s_or_b64 exec, exec, s[6:7]
	s_and_saveexec_b64 s[6:7], s[4:5]
	s_cbranch_execnz .LBB51_1019
	s_branch .LBB51_1020
.LBB51_3069:
	s_movk_i32 s4, 0x80
	v_cmp_eq_u16_sdwa s[12:13], v5, s4 src0_sel:BYTE_3 src1_sel:DWORD
	s_mov_b64 s[4:5], -1
                                        ; implicit-def: $sgpr10
	s_and_saveexec_b64 s[8:9], s[12:13]
; %bb.3070:
	s_mov_b32 s10, 0x7f800001
	s_xor_b64 s[4:5], exec, -1
; %bb.3071:
	s_or_b64 exec, exec, s[8:9]
	s_and_b64 s[4:5], s[4:5], exec
	s_or_saveexec_b64 s[6:7], s[6:7]
	v_mov_b32_e32 v3, s10
	s_xor_b64 exec, exec, s[6:7]
	s_cbranch_execz .LBB51_1022
.LBB51_3072:
	v_mov_b32_e32 v3, 0
	v_cmp_ne_u16_sdwa s[8:9], v5, v3 src0_sel:BYTE_3 src1_sel:DWORD
	s_andn2_b64 s[4:5], s[4:5], exec
	s_and_b64 s[8:9], s[8:9], exec
	s_or_b64 s[4:5], s[4:5], s[8:9]
	s_or_b64 exec, exec, s[6:7]
	s_and_saveexec_b64 s[6:7], s[4:5]
	s_cbranch_execnz .LBB51_1023
	s_branch .LBB51_1024
.LBB51_3073:
	s_movk_i32 s4, 0x80
	v_cmp_eq_u16_sdwa s[12:13], v14, s4 src0_sel:BYTE_0 src1_sel:DWORD
	s_mov_b64 s[4:5], -1
                                        ; implicit-def: $sgpr10
	s_and_saveexec_b64 s[8:9], s[12:13]
; %bb.3074:
	s_mov_b32 s10, 0x7f800001
	s_xor_b64 s[4:5], exec, -1
; %bb.3075:
	s_or_b64 exec, exec, s[8:9]
	s_and_b64 s[4:5], s[4:5], exec
	s_or_saveexec_b64 s[6:7], s[6:7]
	v_mov_b32_e32 v20, s10
	s_xor_b64 exec, exec, s[6:7]
	s_cbranch_execz .LBB51_1026
.LBB51_3076:
	v_mov_b32_e32 v20, 0
	v_cmp_ne_u16_sdwa s[8:9], v14, v20 src0_sel:BYTE_0 src1_sel:DWORD
	s_andn2_b64 s[4:5], s[4:5], exec
	s_and_b64 s[8:9], s[8:9], exec
	s_or_b64 s[4:5], s[4:5], s[8:9]
	s_or_b64 exec, exec, s[6:7]
	s_and_saveexec_b64 s[6:7], s[4:5]
	s_cbranch_execnz .LBB51_1027
	s_branch .LBB51_1028
.LBB51_3077:
	s_movk_i32 s4, 0x80
	v_cmp_eq_u16_sdwa s[12:13], v10, s4 src0_sel:BYTE_0 src1_sel:DWORD
	s_mov_b64 s[4:5], -1
                                        ; implicit-def: $sgpr10
	s_and_saveexec_b64 s[8:9], s[12:13]
; %bb.3078:
	s_mov_b32 s10, 0x7f800001
	s_xor_b64 s[4:5], exec, -1
; %bb.3079:
	s_or_b64 exec, exec, s[8:9]
	s_and_b64 s[4:5], s[4:5], exec
	s_or_saveexec_b64 s[6:7], s[6:7]
	v_mov_b32_e32 v21, s10
	s_xor_b64 exec, exec, s[6:7]
	s_cbranch_execz .LBB51_1030
.LBB51_3080:
	v_mov_b32_e32 v21, 0
	v_cmp_ne_u16_sdwa s[8:9], v10, v21 src0_sel:BYTE_0 src1_sel:DWORD
	s_andn2_b64 s[4:5], s[4:5], exec
	s_and_b64 s[8:9], s[8:9], exec
	s_or_b64 s[4:5], s[4:5], s[8:9]
	s_or_b64 exec, exec, s[6:7]
	s_and_saveexec_b64 s[6:7], s[4:5]
	s_cbranch_execnz .LBB51_1031
	s_branch .LBB51_1032
.LBB51_3081:
	s_movk_i32 s4, 0x80
	v_cmp_eq_u16_sdwa s[12:13], v21, s4 src0_sel:BYTE_0 src1_sel:DWORD
	s_mov_b64 s[4:5], -1
                                        ; implicit-def: $sgpr10
	s_and_saveexec_b64 s[8:9], s[12:13]
; %bb.3082:
	s_mov_b32 s10, 0x7f800001
	s_xor_b64 s[4:5], exec, -1
; %bb.3083:
	s_or_b64 exec, exec, s[8:9]
	s_and_b64 s[4:5], s[4:5], exec
	s_or_saveexec_b64 s[6:7], s[6:7]
	v_mov_b32_e32 v20, s10
	s_xor_b64 exec, exec, s[6:7]
	s_cbranch_execz .LBB51_1034
.LBB51_3084:
	v_mov_b32_e32 v20, 0
	v_cmp_ne_u16_sdwa s[8:9], v21, v20 src0_sel:BYTE_0 src1_sel:DWORD
	s_andn2_b64 s[4:5], s[4:5], exec
	s_and_b64 s[8:9], s[8:9], exec
	s_or_b64 s[4:5], s[4:5], s[8:9]
	s_or_b64 exec, exec, s[6:7]
	s_and_saveexec_b64 s[6:7], s[4:5]
	s_cbranch_execnz .LBB51_1035
	s_branch .LBB51_1036
.LBB51_3085:
	s_movk_i32 s4, 0x80
	v_cmp_eq_u16_sdwa s[12:13], v21, s4 src0_sel:BYTE_0 src1_sel:DWORD
	s_mov_b64 s[4:5], -1
                                        ; implicit-def: $sgpr10
	s_and_saveexec_b64 s[8:9], s[12:13]
; %bb.3086:
	s_mov_b32 s10, 0x7f800001
	s_xor_b64 s[4:5], exec, -1
; %bb.3087:
	s_or_b64 exec, exec, s[8:9]
	s_and_b64 s[4:5], s[4:5], exec
	s_or_saveexec_b64 s[6:7], s[6:7]
	v_mov_b32_e32 v22, s10
	s_xor_b64 exec, exec, s[6:7]
	s_cbranch_execz .LBB51_1038
.LBB51_3088:
	v_mov_b32_e32 v22, 0
	v_cmp_ne_u16_sdwa s[8:9], v21, v22 src0_sel:BYTE_0 src1_sel:DWORD
	s_andn2_b64 s[4:5], s[4:5], exec
	s_and_b64 s[8:9], s[8:9], exec
	s_or_b64 s[4:5], s[4:5], s[8:9]
	s_or_b64 exec, exec, s[6:7]
	s_and_saveexec_b64 s[6:7], s[4:5]
	s_cbranch_execnz .LBB51_1039
	s_branch .LBB51_1040
.LBB51_3089:
	s_movk_i32 s4, 0x80
	v_cmp_eq_u16_e32 vcc, s4, v21
	s_mov_b64 s[4:5], -1
                                        ; implicit-def: $sgpr10
	s_and_saveexec_b64 s[8:9], vcc
; %bb.3090:
	s_mov_b32 s10, 0x7f800001
	s_xor_b64 s[4:5], exec, -1
; %bb.3091:
	s_or_b64 exec, exec, s[8:9]
	s_and_b64 s[4:5], s[4:5], exec
                                        ; implicit-def: $vgpr21
	s_or_saveexec_b64 s[6:7], s[6:7]
	v_mov_b32_e32 v20, s10
	s_xor_b64 exec, exec, s[6:7]
	s_cbranch_execz .LBB51_1042
.LBB51_3092:
	v_cmp_ne_u16_e32 vcc, 0, v21
	s_andn2_b64 s[4:5], s[4:5], exec
	s_and_b64 s[8:9], vcc, exec
	v_mov_b32_e32 v20, 0
	s_or_b64 s[4:5], s[4:5], s[8:9]
	s_or_b64 exec, exec, s[6:7]
	s_and_saveexec_b64 s[6:7], s[4:5]
	s_cbranch_execnz .LBB51_1043
	s_branch .LBB51_1044
.LBB51_3093:
	s_movk_i32 s4, 0x80
	v_cmp_eq_u16_e32 vcc, s4, v21
	s_mov_b64 s[4:5], -1
                                        ; implicit-def: $sgpr10
	s_and_saveexec_b64 s[8:9], vcc
; %bb.3094:
	s_mov_b32 s10, 0x7f800001
	s_xor_b64 s[4:5], exec, -1
; %bb.3095:
	s_or_b64 exec, exec, s[8:9]
	s_and_b64 s[4:5], s[4:5], exec
                                        ; implicit-def: $vgpr21
	s_or_saveexec_b64 s[6:7], s[6:7]
	v_mov_b32_e32 v22, s10
	s_xor_b64 exec, exec, s[6:7]
	s_cbranch_execz .LBB51_1046
.LBB51_3096:
	v_cmp_ne_u16_e32 vcc, 0, v21
	s_andn2_b64 s[4:5], s[4:5], exec
	s_and_b64 s[8:9], vcc, exec
	v_mov_b32_e32 v22, 0
	s_or_b64 s[4:5], s[4:5], s[8:9]
	s_or_b64 exec, exec, s[6:7]
	s_and_saveexec_b64 s[6:7], s[4:5]
	s_cbranch_execnz .LBB51_1047
	s_branch .LBB51_1048
.LBB51_3097:
	s_movk_i32 s4, 0x80
	v_cmp_eq_u16_sdwa s[12:13], v14, s4 src0_sel:BYTE_3 src1_sel:DWORD
	s_mov_b64 s[4:5], -1
                                        ; implicit-def: $sgpr10
	s_and_saveexec_b64 s[8:9], s[12:13]
; %bb.3098:
	s_mov_b32 s10, 0x7f800001
	s_xor_b64 s[4:5], exec, -1
; %bb.3099:
	s_or_b64 exec, exec, s[8:9]
	s_and_b64 s[4:5], s[4:5], exec
	s_or_saveexec_b64 s[6:7], s[6:7]
	v_mov_b32_e32 v20, s10
	s_xor_b64 exec, exec, s[6:7]
	s_cbranch_execz .LBB51_1050
.LBB51_3100:
	v_mov_b32_e32 v20, 0
	v_cmp_ne_u16_sdwa s[8:9], v14, v20 src0_sel:BYTE_3 src1_sel:DWORD
	s_andn2_b64 s[4:5], s[4:5], exec
	s_and_b64 s[8:9], s[8:9], exec
	s_or_b64 s[4:5], s[4:5], s[8:9]
	s_or_b64 exec, exec, s[6:7]
	s_and_saveexec_b64 s[6:7], s[4:5]
	s_cbranch_execnz .LBB51_1051
	s_branch .LBB51_1052
.LBB51_3101:
	s_movk_i32 s4, 0x80
	v_cmp_eq_u16_sdwa s[12:13], v10, s4 src0_sel:BYTE_3 src1_sel:DWORD
	s_mov_b64 s[4:5], -1
                                        ; implicit-def: $sgpr10
	s_and_saveexec_b64 s[8:9], s[12:13]
; %bb.3102:
	s_mov_b32 s10, 0x7f800001
	s_xor_b64 s[4:5], exec, -1
; %bb.3103:
	s_or_b64 exec, exec, s[8:9]
	s_and_b64 s[4:5], s[4:5], exec
	s_or_saveexec_b64 s[6:7], s[6:7]
	v_mov_b32_e32 v14, s10
	s_xor_b64 exec, exec, s[6:7]
	s_cbranch_execz .LBB51_1054
.LBB51_3104:
	v_mov_b32_e32 v14, 0
	v_cmp_ne_u16_sdwa s[8:9], v10, v14 src0_sel:BYTE_3 src1_sel:DWORD
	s_andn2_b64 s[4:5], s[4:5], exec
	s_and_b64 s[8:9], s[8:9], exec
	s_or_b64 s[4:5], s[4:5], s[8:9]
	s_or_b64 exec, exec, s[6:7]
	s_and_saveexec_b64 s[6:7], s[4:5]
	s_cbranch_execnz .LBB51_1055
	s_branch .LBB51_1056
.LBB51_3105:
	s_movk_i32 s4, 0x80
	v_cmp_eq_u16_sdwa s[12:13], v15, s4 src0_sel:BYTE_0 src1_sel:DWORD
	s_mov_b64 s[4:5], -1
                                        ; implicit-def: $sgpr10
	s_and_saveexec_b64 s[8:9], s[12:13]
; %bb.3106:
	s_mov_b32 s10, 0x7f800001
	s_xor_b64 s[4:5], exec, -1
; %bb.3107:
	s_or_b64 exec, exec, s[8:9]
	s_and_b64 s[4:5], s[4:5], exec
	s_or_saveexec_b64 s[6:7], s[6:7]
	v_mov_b32_e32 v10, s10
	s_xor_b64 exec, exec, s[6:7]
	s_cbranch_execz .LBB51_1058
.LBB51_3108:
	v_mov_b32_e32 v10, 0
	v_cmp_ne_u16_sdwa s[8:9], v15, v10 src0_sel:BYTE_0 src1_sel:DWORD
	s_andn2_b64 s[4:5], s[4:5], exec
	s_and_b64 s[8:9], s[8:9], exec
	s_or_b64 s[4:5], s[4:5], s[8:9]
	s_or_b64 exec, exec, s[6:7]
	s_and_saveexec_b64 s[6:7], s[4:5]
	s_cbranch_execnz .LBB51_1059
	s_branch .LBB51_1060
.LBB51_3109:
	s_movk_i32 s4, 0x80
	v_cmp_eq_u16_sdwa s[12:13], v11, s4 src0_sel:BYTE_0 src1_sel:DWORD
	s_mov_b64 s[4:5], -1
                                        ; implicit-def: $sgpr10
	s_and_saveexec_b64 s[8:9], s[12:13]
; %bb.3110:
	s_mov_b32 s10, 0x7f800001
	s_xor_b64 s[4:5], exec, -1
; %bb.3111:
	s_or_b64 exec, exec, s[8:9]
	s_and_b64 s[4:5], s[4:5], exec
	s_or_saveexec_b64 s[6:7], s[6:7]
	v_mov_b32_e32 v14, s10
	s_xor_b64 exec, exec, s[6:7]
	s_cbranch_execz .LBB51_1062
.LBB51_3112:
	v_mov_b32_e32 v14, 0
	v_cmp_ne_u16_sdwa s[8:9], v11, v14 src0_sel:BYTE_0 src1_sel:DWORD
	s_andn2_b64 s[4:5], s[4:5], exec
	s_and_b64 s[8:9], s[8:9], exec
	s_or_b64 s[4:5], s[4:5], s[8:9]
	s_or_b64 exec, exec, s[6:7]
	s_and_saveexec_b64 s[6:7], s[4:5]
	s_cbranch_execnz .LBB51_1063
	s_branch .LBB51_1064
.LBB51_3113:
	s_movk_i32 s4, 0x80
	v_cmp_eq_u16_sdwa s[12:13], v14, s4 src0_sel:BYTE_0 src1_sel:DWORD
	s_mov_b64 s[4:5], -1
                                        ; implicit-def: $sgpr10
	s_and_saveexec_b64 s[8:9], s[12:13]
; %bb.3114:
	s_mov_b32 s10, 0x7f800001
	s_xor_b64 s[4:5], exec, -1
; %bb.3115:
	s_or_b64 exec, exec, s[8:9]
	s_and_b64 s[4:5], s[4:5], exec
	s_or_saveexec_b64 s[6:7], s[6:7]
	v_mov_b32_e32 v10, s10
	s_xor_b64 exec, exec, s[6:7]
	s_cbranch_execz .LBB51_1066
.LBB51_3116:
	v_mov_b32_e32 v10, 0
	v_cmp_ne_u16_sdwa s[8:9], v14, v10 src0_sel:BYTE_0 src1_sel:DWORD
	s_andn2_b64 s[4:5], s[4:5], exec
	s_and_b64 s[8:9], s[8:9], exec
	s_or_b64 s[4:5], s[4:5], s[8:9]
	s_or_b64 exec, exec, s[6:7]
	s_and_saveexec_b64 s[6:7], s[4:5]
	s_cbranch_execnz .LBB51_1067
	s_branch .LBB51_1068
.LBB51_3117:
	s_movk_i32 s4, 0x80
	v_cmp_eq_u16_sdwa s[12:13], v14, s4 src0_sel:BYTE_0 src1_sel:DWORD
	s_mov_b64 s[4:5], -1
                                        ; implicit-def: $sgpr10
	s_and_saveexec_b64 s[8:9], s[12:13]
; %bb.3118:
	s_mov_b32 s10, 0x7f800001
	s_xor_b64 s[4:5], exec, -1
; %bb.3119:
	s_or_b64 exec, exec, s[8:9]
	s_and_b64 s[4:5], s[4:5], exec
	s_or_saveexec_b64 s[6:7], s[6:7]
	v_mov_b32_e32 v20, s10
	s_xor_b64 exec, exec, s[6:7]
	s_cbranch_execz .LBB51_1070
.LBB51_3120:
	v_mov_b32_e32 v20, 0
	v_cmp_ne_u16_sdwa s[8:9], v14, v20 src0_sel:BYTE_0 src1_sel:DWORD
	s_andn2_b64 s[4:5], s[4:5], exec
	s_and_b64 s[8:9], s[8:9], exec
	s_or_b64 s[4:5], s[4:5], s[8:9]
	s_or_b64 exec, exec, s[6:7]
	s_and_saveexec_b64 s[6:7], s[4:5]
	s_cbranch_execnz .LBB51_1071
	s_branch .LBB51_1072
.LBB51_3121:
	s_movk_i32 s4, 0x80
	v_cmp_eq_u16_e32 vcc, s4, v14
	s_mov_b64 s[4:5], -1
                                        ; implicit-def: $sgpr10
	s_and_saveexec_b64 s[8:9], vcc
; %bb.3122:
	s_mov_b32 s10, 0x7f800001
	s_xor_b64 s[4:5], exec, -1
; %bb.3123:
	s_or_b64 exec, exec, s[8:9]
	s_and_b64 s[4:5], s[4:5], exec
                                        ; implicit-def: $vgpr14
	s_or_saveexec_b64 s[6:7], s[6:7]
	v_mov_b32_e32 v10, s10
	s_xor_b64 exec, exec, s[6:7]
	s_cbranch_execz .LBB51_1074
.LBB51_3124:
	v_cmp_ne_u16_e32 vcc, 0, v14
	s_andn2_b64 s[4:5], s[4:5], exec
	s_and_b64 s[8:9], vcc, exec
	v_mov_b32_e32 v10, 0
	s_or_b64 s[4:5], s[4:5], s[8:9]
	s_or_b64 exec, exec, s[6:7]
	s_and_saveexec_b64 s[6:7], s[4:5]
	s_cbranch_execnz .LBB51_1075
	s_branch .LBB51_1076
.LBB51_3125:
	s_movk_i32 s4, 0x80
	v_cmp_eq_u16_e32 vcc, s4, v14
	s_mov_b64 s[4:5], -1
                                        ; implicit-def: $sgpr10
	s_and_saveexec_b64 s[8:9], vcc
; %bb.3126:
	s_mov_b32 s10, 0x7f800001
	s_xor_b64 s[4:5], exec, -1
; %bb.3127:
	s_or_b64 exec, exec, s[8:9]
	s_and_b64 s[4:5], s[4:5], exec
                                        ; implicit-def: $vgpr14
	s_or_saveexec_b64 s[6:7], s[6:7]
	v_mov_b32_e32 v20, s10
	s_xor_b64 exec, exec, s[6:7]
	s_cbranch_execz .LBB51_1078
.LBB51_3128:
	v_cmp_ne_u16_e32 vcc, 0, v14
	s_andn2_b64 s[4:5], s[4:5], exec
	s_and_b64 s[8:9], vcc, exec
	v_mov_b32_e32 v20, 0
	s_or_b64 s[4:5], s[4:5], s[8:9]
	s_or_b64 exec, exec, s[6:7]
	s_and_saveexec_b64 s[6:7], s[4:5]
	s_cbranch_execnz .LBB51_1079
	s_branch .LBB51_1080
.LBB51_3129:
	s_movk_i32 s4, 0x80
	v_cmp_eq_u16_sdwa s[12:13], v15, s4 src0_sel:BYTE_3 src1_sel:DWORD
	s_mov_b64 s[4:5], -1
                                        ; implicit-def: $sgpr10
	s_and_saveexec_b64 s[8:9], s[12:13]
; %bb.3130:
	s_mov_b32 s10, 0x7f800001
	s_xor_b64 s[4:5], exec, -1
; %bb.3131:
	s_or_b64 exec, exec, s[8:9]
	s_and_b64 s[4:5], s[4:5], exec
	s_or_saveexec_b64 s[6:7], s[6:7]
	v_mov_b32_e32 v10, s10
	s_xor_b64 exec, exec, s[6:7]
	s_cbranch_execz .LBB51_1082
.LBB51_3132:
	v_mov_b32_e32 v10, 0
	v_cmp_ne_u16_sdwa s[8:9], v15, v10 src0_sel:BYTE_3 src1_sel:DWORD
	s_andn2_b64 s[4:5], s[4:5], exec
	s_and_b64 s[8:9], s[8:9], exec
	s_or_b64 s[4:5], s[4:5], s[8:9]
	s_or_b64 exec, exec, s[6:7]
	s_and_saveexec_b64 s[6:7], s[4:5]
	s_cbranch_execnz .LBB51_1083
	s_branch .LBB51_1084
.LBB51_3133:
	s_movk_i32 s4, 0x80
	v_cmp_eq_u16_sdwa s[12:13], v11, s4 src0_sel:BYTE_3 src1_sel:DWORD
	s_mov_b64 s[4:5], -1
                                        ; implicit-def: $sgpr10
	s_and_saveexec_b64 s[8:9], s[12:13]
; %bb.3134:
	s_mov_b32 s10, 0x7f800001
	s_xor_b64 s[4:5], exec, -1
; %bb.3135:
	s_or_b64 exec, exec, s[8:9]
	s_and_b64 s[4:5], s[4:5], exec
	s_or_saveexec_b64 s[6:7], s[6:7]
	v_mov_b32_e32 v14, s10
	s_xor_b64 exec, exec, s[6:7]
	s_cbranch_execz .LBB51_1086
.LBB51_3136:
	v_mov_b32_e32 v14, 0
	v_cmp_ne_u16_sdwa s[8:9], v11, v14 src0_sel:BYTE_3 src1_sel:DWORD
	s_andn2_b64 s[4:5], s[4:5], exec
	s_and_b64 s[8:9], s[8:9], exec
	s_or_b64 s[4:5], s[4:5], s[8:9]
	s_or_b64 exec, exec, s[6:7]
	s_and_saveexec_b64 s[6:7], s[4:5]
	s_cbranch_execnz .LBB51_1087
	s_branch .LBB51_1088
.LBB51_3137:
	s_movk_i32 s4, 0x80
	v_cmp_eq_u16_sdwa s[12:13], v16, s4 src0_sel:BYTE_0 src1_sel:DWORD
	s_mov_b64 s[4:5], -1
                                        ; implicit-def: $sgpr10
	s_and_saveexec_b64 s[8:9], s[12:13]
; %bb.3138:
	s_mov_b32 s10, 0x7f800001
	s_xor_b64 s[4:5], exec, -1
; %bb.3139:
	s_or_b64 exec, exec, s[8:9]
	s_and_b64 s[4:5], s[4:5], exec
	s_or_saveexec_b64 s[6:7], s[6:7]
	v_mov_b32_e32 v10, s10
	s_xor_b64 exec, exec, s[6:7]
	s_cbranch_execz .LBB51_1090
.LBB51_3140:
	v_mov_b32_e32 v10, 0
	v_cmp_ne_u16_sdwa s[8:9], v16, v10 src0_sel:BYTE_0 src1_sel:DWORD
	s_andn2_b64 s[4:5], s[4:5], exec
	s_and_b64 s[8:9], s[8:9], exec
	s_or_b64 s[4:5], s[4:5], s[8:9]
	s_or_b64 exec, exec, s[6:7]
	s_and_saveexec_b64 s[6:7], s[4:5]
	s_cbranch_execnz .LBB51_1091
	s_branch .LBB51_1092
.LBB51_3141:
	s_movk_i32 s4, 0x80
	v_cmp_eq_u16_sdwa s[12:13], v12, s4 src0_sel:BYTE_0 src1_sel:DWORD
	s_mov_b64 s[4:5], -1
                                        ; implicit-def: $sgpr10
	s_and_saveexec_b64 s[8:9], s[12:13]
; %bb.3142:
	s_mov_b32 s10, 0x7f800001
	s_xor_b64 s[4:5], exec, -1
; %bb.3143:
	s_or_b64 exec, exec, s[8:9]
	s_and_b64 s[4:5], s[4:5], exec
	s_or_saveexec_b64 s[6:7], s[6:7]
	v_mov_b32_e32 v11, s10
	s_xor_b64 exec, exec, s[6:7]
	s_cbranch_execz .LBB51_1094
.LBB51_3144:
	v_mov_b32_e32 v11, 0
	v_cmp_ne_u16_sdwa s[8:9], v12, v11 src0_sel:BYTE_0 src1_sel:DWORD
	s_andn2_b64 s[4:5], s[4:5], exec
	s_and_b64 s[8:9], s[8:9], exec
	s_or_b64 s[4:5], s[4:5], s[8:9]
	s_or_b64 exec, exec, s[6:7]
	s_and_saveexec_b64 s[6:7], s[4:5]
	s_cbranch_execnz .LBB51_1095
	s_branch .LBB51_1096
.LBB51_3145:
	s_movk_i32 s4, 0x80
	v_cmp_eq_u16_sdwa s[12:13], v11, s4 src0_sel:BYTE_0 src1_sel:DWORD
	s_mov_b64 s[4:5], -1
                                        ; implicit-def: $sgpr10
	s_and_saveexec_b64 s[8:9], s[12:13]
; %bb.3146:
	s_mov_b32 s10, 0x7f800001
	s_xor_b64 s[4:5], exec, -1
; %bb.3147:
	s_or_b64 exec, exec, s[8:9]
	s_and_b64 s[4:5], s[4:5], exec
	s_or_saveexec_b64 s[6:7], s[6:7]
	v_mov_b32_e32 v10, s10
	s_xor_b64 exec, exec, s[6:7]
	s_cbranch_execz .LBB51_1098
.LBB51_3148:
	v_mov_b32_e32 v10, 0
	v_cmp_ne_u16_sdwa s[8:9], v11, v10 src0_sel:BYTE_0 src1_sel:DWORD
	s_andn2_b64 s[4:5], s[4:5], exec
	s_and_b64 s[8:9], s[8:9], exec
	s_or_b64 s[4:5], s[4:5], s[8:9]
	s_or_b64 exec, exec, s[6:7]
	s_and_saveexec_b64 s[6:7], s[4:5]
	s_cbranch_execnz .LBB51_1099
	s_branch .LBB51_1100
.LBB51_3149:
	s_movk_i32 s4, 0x80
	v_cmp_eq_u16_sdwa s[12:13], v11, s4 src0_sel:BYTE_0 src1_sel:DWORD
	s_mov_b64 s[4:5], -1
                                        ; implicit-def: $sgpr10
	s_and_saveexec_b64 s[8:9], s[12:13]
; %bb.3150:
	s_mov_b32 s10, 0x7f800001
	s_xor_b64 s[4:5], exec, -1
; %bb.3151:
	s_or_b64 exec, exec, s[8:9]
	s_and_b64 s[4:5], s[4:5], exec
	s_or_saveexec_b64 s[6:7], s[6:7]
	v_mov_b32_e32 v14, s10
	s_xor_b64 exec, exec, s[6:7]
	s_cbranch_execz .LBB51_1102
.LBB51_3152:
	v_mov_b32_e32 v14, 0
	v_cmp_ne_u16_sdwa s[8:9], v11, v14 src0_sel:BYTE_0 src1_sel:DWORD
	s_andn2_b64 s[4:5], s[4:5], exec
	s_and_b64 s[8:9], s[8:9], exec
	s_or_b64 s[4:5], s[4:5], s[8:9]
	s_or_b64 exec, exec, s[6:7]
	s_and_saveexec_b64 s[6:7], s[4:5]
	s_cbranch_execnz .LBB51_1103
	s_branch .LBB51_1104
.LBB51_3153:
	s_movk_i32 s4, 0x80
	v_cmp_eq_u16_e32 vcc, s4, v11
	s_mov_b64 s[4:5], -1
                                        ; implicit-def: $sgpr10
	s_and_saveexec_b64 s[8:9], vcc
; %bb.3154:
	s_mov_b32 s10, 0x7f800001
	s_xor_b64 s[4:5], exec, -1
; %bb.3155:
	s_or_b64 exec, exec, s[8:9]
	s_and_b64 s[4:5], s[4:5], exec
                                        ; implicit-def: $vgpr11
	s_or_saveexec_b64 s[6:7], s[6:7]
	v_mov_b32_e32 v10, s10
	s_xor_b64 exec, exec, s[6:7]
	s_cbranch_execz .LBB51_1106
.LBB51_3156:
	v_cmp_ne_u16_e32 vcc, 0, v11
	s_andn2_b64 s[4:5], s[4:5], exec
	s_and_b64 s[8:9], vcc, exec
	v_mov_b32_e32 v10, 0
	s_or_b64 s[4:5], s[4:5], s[8:9]
	s_or_b64 exec, exec, s[6:7]
	s_and_saveexec_b64 s[6:7], s[4:5]
	s_cbranch_execnz .LBB51_1107
	s_branch .LBB51_1108
.LBB51_3157:
	s_movk_i32 s4, 0x80
	v_cmp_eq_u16_e32 vcc, s4, v11
	s_mov_b64 s[4:5], -1
                                        ; implicit-def: $sgpr10
	s_and_saveexec_b64 s[8:9], vcc
; %bb.3158:
	s_mov_b32 s10, 0x7f800001
	s_xor_b64 s[4:5], exec, -1
; %bb.3159:
	s_or_b64 exec, exec, s[8:9]
	s_and_b64 s[4:5], s[4:5], exec
                                        ; implicit-def: $vgpr11
	s_or_saveexec_b64 s[6:7], s[6:7]
	v_mov_b32_e32 v14, s10
	s_xor_b64 exec, exec, s[6:7]
	s_cbranch_execz .LBB51_1110
.LBB51_3160:
	v_cmp_ne_u16_e32 vcc, 0, v11
	s_andn2_b64 s[4:5], s[4:5], exec
	s_and_b64 s[8:9], vcc, exec
	v_mov_b32_e32 v14, 0
	s_or_b64 s[4:5], s[4:5], s[8:9]
	s_or_b64 exec, exec, s[6:7]
	s_and_saveexec_b64 s[6:7], s[4:5]
	s_cbranch_execnz .LBB51_1111
	s_branch .LBB51_1112
.LBB51_3161:
	s_movk_i32 s4, 0x80
	v_cmp_eq_u16_sdwa s[12:13], v16, s4 src0_sel:BYTE_3 src1_sel:DWORD
	s_mov_b64 s[4:5], -1
                                        ; implicit-def: $sgpr10
	s_and_saveexec_b64 s[8:9], s[12:13]
; %bb.3162:
	s_mov_b32 s10, 0x7f800001
	s_xor_b64 s[4:5], exec, -1
; %bb.3163:
	s_or_b64 exec, exec, s[8:9]
	s_and_b64 s[4:5], s[4:5], exec
	s_or_saveexec_b64 s[6:7], s[6:7]
	v_mov_b32_e32 v10, s10
	s_xor_b64 exec, exec, s[6:7]
	s_cbranch_execz .LBB51_1114
.LBB51_3164:
	v_mov_b32_e32 v10, 0
	v_cmp_ne_u16_sdwa s[8:9], v16, v10 src0_sel:BYTE_3 src1_sel:DWORD
	s_andn2_b64 s[4:5], s[4:5], exec
	s_and_b64 s[8:9], s[8:9], exec
	s_or_b64 s[4:5], s[4:5], s[8:9]
	s_or_b64 exec, exec, s[6:7]
	s_and_saveexec_b64 s[6:7], s[4:5]
	s_cbranch_execnz .LBB51_1115
	s_branch .LBB51_1116
.LBB51_3165:
	s_movk_i32 s4, 0x80
	v_cmp_eq_u16_sdwa s[12:13], v12, s4 src0_sel:BYTE_3 src1_sel:DWORD
	s_mov_b64 s[4:5], -1
                                        ; implicit-def: $sgpr10
	s_and_saveexec_b64 s[8:9], s[12:13]
; %bb.3166:
	s_mov_b32 s10, 0x7f800001
	s_xor_b64 s[4:5], exec, -1
; %bb.3167:
	s_or_b64 exec, exec, s[8:9]
	s_and_b64 s[4:5], s[4:5], exec
	s_or_saveexec_b64 s[6:7], s[6:7]
	v_mov_b32_e32 v11, s10
	s_xor_b64 exec, exec, s[6:7]
	s_cbranch_execz .LBB51_1118
.LBB51_3168:
	v_mov_b32_e32 v11, 0
	v_cmp_ne_u16_sdwa s[8:9], v12, v11 src0_sel:BYTE_3 src1_sel:DWORD
	s_andn2_b64 s[4:5], s[4:5], exec
	s_and_b64 s[8:9], s[8:9], exec
	s_or_b64 s[4:5], s[4:5], s[8:9]
	s_or_b64 exec, exec, s[6:7]
	s_and_saveexec_b64 s[6:7], s[4:5]
	s_cbranch_execnz .LBB51_1119
	s_branch .LBB51_1120
.LBB51_3169:
	s_movk_i32 s4, 0x80
	v_cmp_eq_u16_sdwa s[12:13], v17, s4 src0_sel:BYTE_0 src1_sel:DWORD
	s_mov_b64 s[4:5], -1
                                        ; implicit-def: $sgpr10
	s_and_saveexec_b64 s[8:9], s[12:13]
; %bb.3170:
	s_mov_b32 s10, 0x7f800001
	s_xor_b64 s[4:5], exec, -1
; %bb.3171:
	s_or_b64 exec, exec, s[8:9]
	s_and_b64 s[4:5], s[4:5], exec
	s_or_saveexec_b64 s[6:7], s[6:7]
	v_mov_b32_e32 v10, s10
	s_xor_b64 exec, exec, s[6:7]
	s_cbranch_execz .LBB51_1122
.LBB51_3172:
	v_mov_b32_e32 v10, 0
	v_cmp_ne_u16_sdwa s[8:9], v17, v10 src0_sel:BYTE_0 src1_sel:DWORD
	s_andn2_b64 s[4:5], s[4:5], exec
	s_and_b64 s[8:9], s[8:9], exec
	s_or_b64 s[4:5], s[4:5], s[8:9]
	s_or_b64 exec, exec, s[6:7]
	s_and_saveexec_b64 s[6:7], s[4:5]
	s_cbranch_execnz .LBB51_1123
	s_branch .LBB51_1124
.LBB51_3173:
	s_movk_i32 s4, 0x80
	v_cmp_eq_u16_sdwa s[12:13], v13, s4 src0_sel:BYTE_0 src1_sel:DWORD
	s_mov_b64 s[4:5], -1
                                        ; implicit-def: $sgpr10
	s_and_saveexec_b64 s[8:9], s[12:13]
; %bb.3174:
	s_mov_b32 s10, 0x7f800001
	s_xor_b64 s[4:5], exec, -1
; %bb.3175:
	s_or_b64 exec, exec, s[8:9]
	s_and_b64 s[4:5], s[4:5], exec
	s_or_saveexec_b64 s[6:7], s[6:7]
	v_mov_b32_e32 v11, s10
	s_xor_b64 exec, exec, s[6:7]
	s_cbranch_execz .LBB51_1126
.LBB51_3176:
	v_mov_b32_e32 v11, 0
	v_cmp_ne_u16_sdwa s[8:9], v13, v11 src0_sel:BYTE_0 src1_sel:DWORD
	s_andn2_b64 s[4:5], s[4:5], exec
	s_and_b64 s[8:9], s[8:9], exec
	s_or_b64 s[4:5], s[4:5], s[8:9]
	s_or_b64 exec, exec, s[6:7]
	s_and_saveexec_b64 s[6:7], s[4:5]
	s_cbranch_execnz .LBB51_1127
	s_branch .LBB51_1128
.LBB51_3177:
	s_movk_i32 s4, 0x80
	v_cmp_eq_u16_sdwa s[12:13], v11, s4 src0_sel:BYTE_0 src1_sel:DWORD
	s_mov_b64 s[4:5], -1
                                        ; implicit-def: $sgpr10
	s_and_saveexec_b64 s[8:9], s[12:13]
; %bb.3178:
	s_mov_b32 s10, 0x7f800001
	s_xor_b64 s[4:5], exec, -1
; %bb.3179:
	s_or_b64 exec, exec, s[8:9]
	s_and_b64 s[4:5], s[4:5], exec
	s_or_saveexec_b64 s[6:7], s[6:7]
	v_mov_b32_e32 v10, s10
	s_xor_b64 exec, exec, s[6:7]
	s_cbranch_execz .LBB51_1130
.LBB51_3180:
	v_mov_b32_e32 v10, 0
	v_cmp_ne_u16_sdwa s[8:9], v11, v10 src0_sel:BYTE_0 src1_sel:DWORD
	s_andn2_b64 s[4:5], s[4:5], exec
	s_and_b64 s[8:9], s[8:9], exec
	s_or_b64 s[4:5], s[4:5], s[8:9]
	s_or_b64 exec, exec, s[6:7]
	s_and_saveexec_b64 s[6:7], s[4:5]
	s_cbranch_execnz .LBB51_1131
	s_branch .LBB51_1132
.LBB51_3181:
	s_movk_i32 s4, 0x80
	v_cmp_eq_u16_sdwa s[12:13], v11, s4 src0_sel:BYTE_0 src1_sel:DWORD
	s_mov_b64 s[4:5], -1
                                        ; implicit-def: $sgpr10
	s_and_saveexec_b64 s[8:9], s[12:13]
; %bb.3182:
	s_mov_b32 s10, 0x7f800001
	s_xor_b64 s[4:5], exec, -1
; %bb.3183:
	s_or_b64 exec, exec, s[8:9]
	s_and_b64 s[4:5], s[4:5], exec
	s_or_saveexec_b64 s[6:7], s[6:7]
	v_mov_b32_e32 v12, s10
	s_xor_b64 exec, exec, s[6:7]
	s_cbranch_execz .LBB51_1134
.LBB51_3184:
	v_mov_b32_e32 v12, 0
	v_cmp_ne_u16_sdwa s[8:9], v11, v12 src0_sel:BYTE_0 src1_sel:DWORD
	s_andn2_b64 s[4:5], s[4:5], exec
	s_and_b64 s[8:9], s[8:9], exec
	s_or_b64 s[4:5], s[4:5], s[8:9]
	s_or_b64 exec, exec, s[6:7]
	s_and_saveexec_b64 s[6:7], s[4:5]
	s_cbranch_execnz .LBB51_1135
	s_branch .LBB51_1136
.LBB51_3185:
	s_movk_i32 s4, 0x80
	v_cmp_eq_u16_e32 vcc, s4, v11
	s_mov_b64 s[4:5], -1
                                        ; implicit-def: $sgpr10
	s_and_saveexec_b64 s[8:9], vcc
; %bb.3186:
	s_mov_b32 s10, 0x7f800001
	s_xor_b64 s[4:5], exec, -1
; %bb.3187:
	s_or_b64 exec, exec, s[8:9]
	s_and_b64 s[4:5], s[4:5], exec
                                        ; implicit-def: $vgpr11
	s_or_saveexec_b64 s[6:7], s[6:7]
	v_mov_b32_e32 v10, s10
	s_xor_b64 exec, exec, s[6:7]
	s_cbranch_execz .LBB51_1138
.LBB51_3188:
	v_cmp_ne_u16_e32 vcc, 0, v11
	s_andn2_b64 s[4:5], s[4:5], exec
	s_and_b64 s[8:9], vcc, exec
	v_mov_b32_e32 v10, 0
	s_or_b64 s[4:5], s[4:5], s[8:9]
	s_or_b64 exec, exec, s[6:7]
	s_and_saveexec_b64 s[6:7], s[4:5]
	s_cbranch_execnz .LBB51_1139
	s_branch .LBB51_1140
.LBB51_3189:
	s_movk_i32 s4, 0x80
	v_cmp_eq_u16_e32 vcc, s4, v11
	s_mov_b64 s[4:5], -1
                                        ; implicit-def: $sgpr10
	s_and_saveexec_b64 s[8:9], vcc
; %bb.3190:
	s_mov_b32 s10, 0x7f800001
	s_xor_b64 s[4:5], exec, -1
; %bb.3191:
	s_or_b64 exec, exec, s[8:9]
	s_and_b64 s[4:5], s[4:5], exec
                                        ; implicit-def: $vgpr11
	s_or_saveexec_b64 s[6:7], s[6:7]
	v_mov_b32_e32 v12, s10
	s_xor_b64 exec, exec, s[6:7]
	s_cbranch_execz .LBB51_1142
.LBB51_3192:
	v_cmp_ne_u16_e32 vcc, 0, v11
	s_andn2_b64 s[4:5], s[4:5], exec
	s_and_b64 s[8:9], vcc, exec
	v_mov_b32_e32 v12, 0
	s_or_b64 s[4:5], s[4:5], s[8:9]
	s_or_b64 exec, exec, s[6:7]
	s_and_saveexec_b64 s[6:7], s[4:5]
	s_cbranch_execnz .LBB51_1143
	s_branch .LBB51_1144
.LBB51_3193:
	s_movk_i32 s4, 0x80
	v_cmp_eq_u16_sdwa s[12:13], v17, s4 src0_sel:BYTE_3 src1_sel:DWORD
	s_mov_b64 s[4:5], -1
                                        ; implicit-def: $sgpr10
	s_and_saveexec_b64 s[8:9], s[12:13]
; %bb.3194:
	s_mov_b32 s10, 0x7f800001
	s_xor_b64 s[4:5], exec, -1
; %bb.3195:
	s_or_b64 exec, exec, s[8:9]
	s_and_b64 s[4:5], s[4:5], exec
	s_or_saveexec_b64 s[6:7], s[6:7]
	v_mov_b32_e32 v10, s10
	s_xor_b64 exec, exec, s[6:7]
	s_cbranch_execz .LBB51_1146
.LBB51_3196:
	v_mov_b32_e32 v10, 0
	v_cmp_ne_u16_sdwa s[8:9], v17, v10 src0_sel:BYTE_3 src1_sel:DWORD
	s_andn2_b64 s[4:5], s[4:5], exec
	s_and_b64 s[8:9], s[8:9], exec
	s_or_b64 s[4:5], s[4:5], s[8:9]
	s_or_b64 exec, exec, s[6:7]
	s_and_saveexec_b64 s[6:7], s[4:5]
	s_cbranch_execnz .LBB51_1147
	s_branch .LBB51_1148
.LBB51_3197:
	s_movk_i32 s4, 0x80
	v_cmp_eq_u16_sdwa s[12:13], v13, s4 src0_sel:BYTE_3 src1_sel:DWORD
	s_mov_b64 s[4:5], -1
                                        ; implicit-def: $sgpr10
	s_and_saveexec_b64 s[8:9], s[12:13]
; %bb.3198:
	s_mov_b32 s10, 0x7f800001
	s_xor_b64 s[4:5], exec, -1
; %bb.3199:
	s_or_b64 exec, exec, s[8:9]
	s_and_b64 s[4:5], s[4:5], exec
	s_or_saveexec_b64 s[6:7], s[6:7]
	v_mov_b32_e32 v11, s10
	s_xor_b64 exec, exec, s[6:7]
	s_cbranch_execz .LBB51_1150
.LBB51_3200:
	v_mov_b32_e32 v11, 0
	v_cmp_ne_u16_sdwa s[8:9], v13, v11 src0_sel:BYTE_3 src1_sel:DWORD
	s_andn2_b64 s[4:5], s[4:5], exec
	s_and_b64 s[8:9], s[8:9], exec
	s_or_b64 s[4:5], s[4:5], s[8:9]
	s_or_b64 exec, exec, s[6:7]
	s_and_saveexec_b64 s[6:7], s[4:5]
	s_cbranch_execnz .LBB51_1151
	s_branch .LBB51_1152
.LBB51_3201:
	s_movk_i32 s4, 0x80
	v_cmp_eq_u16_sdwa s[12:13], v6, s4 src0_sel:BYTE_0 src1_sel:DWORD
	s_mov_b64 s[4:5], -1
                                        ; implicit-def: $sgpr10
	s_and_saveexec_b64 s[8:9], s[12:13]
; %bb.3202:
	s_mov_b32 s10, 0x7f800001
	s_xor_b64 s[4:5], exec, -1
; %bb.3203:
	s_or_b64 exec, exec, s[8:9]
	s_and_b64 s[4:5], s[4:5], exec
	s_or_saveexec_b64 s[6:7], s[6:7]
	v_mov_b32_e32 v10, s10
	s_xor_b64 exec, exec, s[6:7]
	s_cbranch_execz .LBB51_1154
.LBB51_3204:
	v_mov_b32_e32 v10, 0
	v_cmp_ne_u16_sdwa s[8:9], v6, v10 src0_sel:BYTE_0 src1_sel:DWORD
	s_andn2_b64 s[4:5], s[4:5], exec
	s_and_b64 s[8:9], s[8:9], exec
	s_or_b64 s[4:5], s[4:5], s[8:9]
	s_or_b64 exec, exec, s[6:7]
	s_and_saveexec_b64 s[6:7], s[4:5]
	s_cbranch_execnz .LBB51_1155
	s_branch .LBB51_1156
.LBB51_3205:
	s_movk_i32 s4, 0x80
	v_cmp_eq_u16_sdwa s[12:13], v2, s4 src0_sel:BYTE_0 src1_sel:DWORD
	s_mov_b64 s[4:5], -1
                                        ; implicit-def: $sgpr10
	s_and_saveexec_b64 s[8:9], s[12:13]
; %bb.3206:
	s_mov_b32 s10, 0x7f800001
	s_xor_b64 s[4:5], exec, -1
; %bb.3207:
	s_or_b64 exec, exec, s[8:9]
	s_and_b64 s[4:5], s[4:5], exec
	s_or_saveexec_b64 s[6:7], s[6:7]
	v_mov_b32_e32 v11, s10
	s_xor_b64 exec, exec, s[6:7]
	s_cbranch_execz .LBB51_1158
.LBB51_3208:
	v_mov_b32_e32 v11, 0
	v_cmp_ne_u16_sdwa s[8:9], v2, v11 src0_sel:BYTE_0 src1_sel:DWORD
	s_andn2_b64 s[4:5], s[4:5], exec
	s_and_b64 s[8:9], s[8:9], exec
	s_or_b64 s[4:5], s[4:5], s[8:9]
	s_or_b64 exec, exec, s[6:7]
	s_and_saveexec_b64 s[6:7], s[4:5]
	s_cbranch_execnz .LBB51_1159
	s_branch .LBB51_1160
.LBB51_3209:
	s_movk_i32 s4, 0x80
	v_cmp_eq_u16_sdwa s[12:13], v11, s4 src0_sel:BYTE_0 src1_sel:DWORD
	s_mov_b64 s[4:5], -1
                                        ; implicit-def: $sgpr10
	s_and_saveexec_b64 s[8:9], s[12:13]
; %bb.3210:
	s_mov_b32 s10, 0x7f800001
	s_xor_b64 s[4:5], exec, -1
; %bb.3211:
	s_or_b64 exec, exec, s[8:9]
	s_and_b64 s[4:5], s[4:5], exec
	s_or_saveexec_b64 s[6:7], s[6:7]
	v_mov_b32_e32 v10, s10
	s_xor_b64 exec, exec, s[6:7]
	s_cbranch_execz .LBB51_1162
.LBB51_3212:
	v_mov_b32_e32 v10, 0
	v_cmp_ne_u16_sdwa s[8:9], v11, v10 src0_sel:BYTE_0 src1_sel:DWORD
	s_andn2_b64 s[4:5], s[4:5], exec
	s_and_b64 s[8:9], s[8:9], exec
	s_or_b64 s[4:5], s[4:5], s[8:9]
	s_or_b64 exec, exec, s[6:7]
	s_and_saveexec_b64 s[6:7], s[4:5]
	s_cbranch_execnz .LBB51_1163
	s_branch .LBB51_1164
.LBB51_3213:
	s_movk_i32 s4, 0x80
	v_cmp_eq_u16_sdwa s[12:13], v11, s4 src0_sel:BYTE_0 src1_sel:DWORD
	s_mov_b64 s[4:5], -1
                                        ; implicit-def: $sgpr10
	s_and_saveexec_b64 s[8:9], s[12:13]
; %bb.3214:
	s_mov_b32 s10, 0x7f800001
	s_xor_b64 s[4:5], exec, -1
; %bb.3215:
	s_or_b64 exec, exec, s[8:9]
	s_and_b64 s[4:5], s[4:5], exec
	s_or_saveexec_b64 s[6:7], s[6:7]
	v_mov_b32_e32 v12, s10
	s_xor_b64 exec, exec, s[6:7]
	s_cbranch_execz .LBB51_1166
.LBB51_3216:
	v_mov_b32_e32 v12, 0
	v_cmp_ne_u16_sdwa s[8:9], v11, v12 src0_sel:BYTE_0 src1_sel:DWORD
	s_andn2_b64 s[4:5], s[4:5], exec
	s_and_b64 s[8:9], s[8:9], exec
	s_or_b64 s[4:5], s[4:5], s[8:9]
	s_or_b64 exec, exec, s[6:7]
	s_and_saveexec_b64 s[6:7], s[4:5]
	s_cbranch_execnz .LBB51_1167
	s_branch .LBB51_1168
.LBB51_3217:
	s_movk_i32 s4, 0x80
	v_cmp_eq_u16_e32 vcc, s4, v11
	s_mov_b64 s[4:5], -1
                                        ; implicit-def: $sgpr10
	s_and_saveexec_b64 s[8:9], vcc
; %bb.3218:
	s_mov_b32 s10, 0x7f800001
	s_xor_b64 s[4:5], exec, -1
; %bb.3219:
	s_or_b64 exec, exec, s[8:9]
	s_and_b64 s[4:5], s[4:5], exec
                                        ; implicit-def: $vgpr11
	s_or_saveexec_b64 s[6:7], s[6:7]
	v_mov_b32_e32 v10, s10
	s_xor_b64 exec, exec, s[6:7]
	s_cbranch_execz .LBB51_1170
.LBB51_3220:
	v_cmp_ne_u16_e32 vcc, 0, v11
	s_andn2_b64 s[4:5], s[4:5], exec
	s_and_b64 s[8:9], vcc, exec
	v_mov_b32_e32 v10, 0
	s_or_b64 s[4:5], s[4:5], s[8:9]
	s_or_b64 exec, exec, s[6:7]
	s_and_saveexec_b64 s[6:7], s[4:5]
	s_cbranch_execnz .LBB51_1171
	s_branch .LBB51_1172
.LBB51_3221:
	s_movk_i32 s4, 0x80
	v_cmp_eq_u16_e32 vcc, s4, v11
	s_mov_b64 s[4:5], -1
                                        ; implicit-def: $sgpr10
	s_and_saveexec_b64 s[8:9], vcc
; %bb.3222:
	s_mov_b32 s10, 0x7f800001
	s_xor_b64 s[4:5], exec, -1
; %bb.3223:
	s_or_b64 exec, exec, s[8:9]
	s_and_b64 s[4:5], s[4:5], exec
                                        ; implicit-def: $vgpr11
	s_or_saveexec_b64 s[6:7], s[6:7]
	v_mov_b32_e32 v12, s10
	s_xor_b64 exec, exec, s[6:7]
	s_cbranch_execz .LBB51_1174
.LBB51_3224:
	v_cmp_ne_u16_e32 vcc, 0, v11
	s_andn2_b64 s[4:5], s[4:5], exec
	s_and_b64 s[8:9], vcc, exec
	v_mov_b32_e32 v12, 0
	s_or_b64 s[4:5], s[4:5], s[8:9]
	s_or_b64 exec, exec, s[6:7]
	s_and_saveexec_b64 s[6:7], s[4:5]
	s_cbranch_execnz .LBB51_1175
	s_branch .LBB51_1176
.LBB51_3225:
	s_movk_i32 s4, 0x80
	v_cmp_eq_u16_sdwa s[12:13], v6, s4 src0_sel:BYTE_3 src1_sel:DWORD
	s_mov_b64 s[4:5], -1
                                        ; implicit-def: $sgpr10
	s_and_saveexec_b64 s[8:9], s[12:13]
; %bb.3226:
	s_mov_b32 s10, 0x7f800001
	s_xor_b64 s[4:5], exec, -1
; %bb.3227:
	s_or_b64 exec, exec, s[8:9]
	s_and_b64 s[4:5], s[4:5], exec
	s_or_saveexec_b64 s[6:7], s[6:7]
	v_mov_b32_e32 v10, s10
	s_xor_b64 exec, exec, s[6:7]
	s_cbranch_execz .LBB51_1178
.LBB51_3228:
	v_mov_b32_e32 v10, 0
	v_cmp_ne_u16_sdwa s[8:9], v6, v10 src0_sel:BYTE_3 src1_sel:DWORD
	s_andn2_b64 s[4:5], s[4:5], exec
	s_and_b64 s[8:9], s[8:9], exec
	s_or_b64 s[4:5], s[4:5], s[8:9]
	s_or_b64 exec, exec, s[6:7]
	s_and_saveexec_b64 s[6:7], s[4:5]
	s_cbranch_execnz .LBB51_1179
	s_branch .LBB51_1180
.LBB51_3229:
	s_movk_i32 s4, 0x80
	v_cmp_eq_u16_sdwa s[12:13], v2, s4 src0_sel:BYTE_3 src1_sel:DWORD
	s_mov_b64 s[4:5], -1
                                        ; implicit-def: $sgpr10
	s_and_saveexec_b64 s[8:9], s[12:13]
; %bb.3230:
	s_mov_b32 s10, 0x7f800001
	s_xor_b64 s[4:5], exec, -1
; %bb.3231:
	s_or_b64 exec, exec, s[8:9]
	s_and_b64 s[4:5], s[4:5], exec
	s_or_saveexec_b64 s[6:7], s[6:7]
	v_mov_b32_e32 v6, s10
	s_xor_b64 exec, exec, s[6:7]
	s_cbranch_execz .LBB51_1182
.LBB51_3232:
	v_mov_b32_e32 v6, 0
	v_cmp_ne_u16_sdwa s[8:9], v2, v6 src0_sel:BYTE_3 src1_sel:DWORD
	s_andn2_b64 s[4:5], s[4:5], exec
	s_and_b64 s[8:9], s[8:9], exec
	s_or_b64 s[4:5], s[4:5], s[8:9]
	s_or_b64 exec, exec, s[6:7]
	s_and_saveexec_b64 s[6:7], s[4:5]
	s_cbranch_execnz .LBB51_1183
	s_branch .LBB51_1184
.LBB51_3233:
	s_movk_i32 s4, 0x80
	v_cmp_eq_u16_sdwa s[12:13], v7, s4 src0_sel:BYTE_0 src1_sel:DWORD
	s_mov_b64 s[4:5], -1
                                        ; implicit-def: $sgpr10
	s_and_saveexec_b64 s[8:9], s[12:13]
; %bb.3234:
	s_mov_b32 s10, 0x7f800001
	s_xor_b64 s[4:5], exec, -1
; %bb.3235:
	s_or_b64 exec, exec, s[8:9]
	s_and_b64 s[4:5], s[4:5], exec
	s_or_saveexec_b64 s[6:7], s[6:7]
	v_mov_b32_e32 v2, s10
	s_xor_b64 exec, exec, s[6:7]
	s_cbranch_execz .LBB51_1186
.LBB51_3236:
	v_mov_b32_e32 v2, 0
	v_cmp_ne_u16_sdwa s[8:9], v7, v2 src0_sel:BYTE_0 src1_sel:DWORD
	s_andn2_b64 s[4:5], s[4:5], exec
	s_and_b64 s[8:9], s[8:9], exec
	s_or_b64 s[4:5], s[4:5], s[8:9]
	s_or_b64 exec, exec, s[6:7]
	s_and_saveexec_b64 s[6:7], s[4:5]
	s_cbranch_execnz .LBB51_1187
	s_branch .LBB51_1188
.LBB51_3237:
	s_movk_i32 s4, 0x80
	v_cmp_eq_u16_sdwa s[12:13], v3, s4 src0_sel:BYTE_0 src1_sel:DWORD
	s_mov_b64 s[4:5], -1
                                        ; implicit-def: $sgpr10
	s_and_saveexec_b64 s[8:9], s[12:13]
; %bb.3238:
	s_mov_b32 s10, 0x7f800001
	s_xor_b64 s[4:5], exec, -1
; %bb.3239:
	s_or_b64 exec, exec, s[8:9]
	s_and_b64 s[4:5], s[4:5], exec
	s_or_saveexec_b64 s[6:7], s[6:7]
	v_mov_b32_e32 v6, s10
	s_xor_b64 exec, exec, s[6:7]
	s_cbranch_execz .LBB51_1190
.LBB51_3240:
	v_mov_b32_e32 v6, 0
	v_cmp_ne_u16_sdwa s[8:9], v3, v6 src0_sel:BYTE_0 src1_sel:DWORD
	s_andn2_b64 s[4:5], s[4:5], exec
	s_and_b64 s[8:9], s[8:9], exec
	s_or_b64 s[4:5], s[4:5], s[8:9]
	s_or_b64 exec, exec, s[6:7]
	s_and_saveexec_b64 s[6:7], s[4:5]
	s_cbranch_execnz .LBB51_1191
	s_branch .LBB51_1192
.LBB51_3241:
	s_movk_i32 s4, 0x80
	v_cmp_eq_u16_sdwa s[12:13], v6, s4 src0_sel:BYTE_0 src1_sel:DWORD
	s_mov_b64 s[4:5], -1
                                        ; implicit-def: $sgpr10
	s_and_saveexec_b64 s[8:9], s[12:13]
; %bb.3242:
	s_mov_b32 s10, 0x7f800001
	s_xor_b64 s[4:5], exec, -1
; %bb.3243:
	s_or_b64 exec, exec, s[8:9]
	s_and_b64 s[4:5], s[4:5], exec
	s_or_saveexec_b64 s[6:7], s[6:7]
	v_mov_b32_e32 v2, s10
	s_xor_b64 exec, exec, s[6:7]
	s_cbranch_execz .LBB51_1194
.LBB51_3244:
	v_mov_b32_e32 v2, 0
	v_cmp_ne_u16_sdwa s[8:9], v6, v2 src0_sel:BYTE_0 src1_sel:DWORD
	s_andn2_b64 s[4:5], s[4:5], exec
	s_and_b64 s[8:9], s[8:9], exec
	s_or_b64 s[4:5], s[4:5], s[8:9]
	s_or_b64 exec, exec, s[6:7]
	s_and_saveexec_b64 s[6:7], s[4:5]
	s_cbranch_execnz .LBB51_1195
	s_branch .LBB51_1196
.LBB51_3245:
	s_movk_i32 s4, 0x80
	v_cmp_eq_u16_sdwa s[12:13], v6, s4 src0_sel:BYTE_0 src1_sel:DWORD
	s_mov_b64 s[4:5], -1
                                        ; implicit-def: $sgpr10
	s_and_saveexec_b64 s[8:9], s[12:13]
; %bb.3246:
	s_mov_b32 s10, 0x7f800001
	s_xor_b64 s[4:5], exec, -1
; %bb.3247:
	s_or_b64 exec, exec, s[8:9]
	s_and_b64 s[4:5], s[4:5], exec
	s_or_saveexec_b64 s[6:7], s[6:7]
	v_mov_b32_e32 v10, s10
	s_xor_b64 exec, exec, s[6:7]
	s_cbranch_execz .LBB51_1198
.LBB51_3248:
	v_mov_b32_e32 v10, 0
	v_cmp_ne_u16_sdwa s[8:9], v6, v10 src0_sel:BYTE_0 src1_sel:DWORD
	s_andn2_b64 s[4:5], s[4:5], exec
	s_and_b64 s[8:9], s[8:9], exec
	s_or_b64 s[4:5], s[4:5], s[8:9]
	s_or_b64 exec, exec, s[6:7]
	s_and_saveexec_b64 s[6:7], s[4:5]
	s_cbranch_execnz .LBB51_1199
	s_branch .LBB51_1200
.LBB51_3249:
	s_movk_i32 s4, 0x80
	v_cmp_eq_u16_e32 vcc, s4, v6
	s_mov_b64 s[4:5], -1
                                        ; implicit-def: $sgpr10
	s_and_saveexec_b64 s[8:9], vcc
; %bb.3250:
	s_mov_b32 s10, 0x7f800001
	s_xor_b64 s[4:5], exec, -1
; %bb.3251:
	s_or_b64 exec, exec, s[8:9]
	s_and_b64 s[4:5], s[4:5], exec
                                        ; implicit-def: $vgpr6
	s_or_saveexec_b64 s[6:7], s[6:7]
	v_mov_b32_e32 v2, s10
	s_xor_b64 exec, exec, s[6:7]
	s_cbranch_execz .LBB51_1202
.LBB51_3252:
	v_cmp_ne_u16_e32 vcc, 0, v6
	s_andn2_b64 s[4:5], s[4:5], exec
	s_and_b64 s[8:9], vcc, exec
	v_mov_b32_e32 v2, 0
	s_or_b64 s[4:5], s[4:5], s[8:9]
	s_or_b64 exec, exec, s[6:7]
	s_and_saveexec_b64 s[6:7], s[4:5]
	s_cbranch_execnz .LBB51_1203
	s_branch .LBB51_1204
.LBB51_3253:
	s_movk_i32 s4, 0x80
	v_cmp_eq_u16_e32 vcc, s4, v6
	s_mov_b64 s[4:5], -1
                                        ; implicit-def: $sgpr10
	s_and_saveexec_b64 s[8:9], vcc
; %bb.3254:
	s_mov_b32 s10, 0x7f800001
	s_xor_b64 s[4:5], exec, -1
; %bb.3255:
	s_or_b64 exec, exec, s[8:9]
	s_and_b64 s[4:5], s[4:5], exec
                                        ; implicit-def: $vgpr6
	s_or_saveexec_b64 s[6:7], s[6:7]
	v_mov_b32_e32 v10, s10
	s_xor_b64 exec, exec, s[6:7]
	s_cbranch_execz .LBB51_1206
.LBB51_3256:
	v_cmp_ne_u16_e32 vcc, 0, v6
	s_andn2_b64 s[4:5], s[4:5], exec
	s_and_b64 s[8:9], vcc, exec
	v_mov_b32_e32 v10, 0
	s_or_b64 s[4:5], s[4:5], s[8:9]
	s_or_b64 exec, exec, s[6:7]
	s_and_saveexec_b64 s[6:7], s[4:5]
	s_cbranch_execnz .LBB51_1207
	s_branch .LBB51_1208
.LBB51_3257:
	s_movk_i32 s4, 0x80
	v_cmp_eq_u16_sdwa s[12:13], v7, s4 src0_sel:BYTE_3 src1_sel:DWORD
	s_mov_b64 s[4:5], -1
                                        ; implicit-def: $sgpr10
	s_and_saveexec_b64 s[8:9], s[12:13]
; %bb.3258:
	s_mov_b32 s10, 0x7f800001
	s_xor_b64 s[4:5], exec, -1
; %bb.3259:
	s_or_b64 exec, exec, s[8:9]
	s_and_b64 s[4:5], s[4:5], exec
	s_or_saveexec_b64 s[6:7], s[6:7]
	v_mov_b32_e32 v2, s10
	s_xor_b64 exec, exec, s[6:7]
	s_cbranch_execz .LBB51_1210
.LBB51_3260:
	v_mov_b32_e32 v2, 0
	v_cmp_ne_u16_sdwa s[8:9], v7, v2 src0_sel:BYTE_3 src1_sel:DWORD
	s_andn2_b64 s[4:5], s[4:5], exec
	s_and_b64 s[8:9], s[8:9], exec
	s_or_b64 s[4:5], s[4:5], s[8:9]
	s_or_b64 exec, exec, s[6:7]
	s_and_saveexec_b64 s[6:7], s[4:5]
	s_cbranch_execnz .LBB51_1211
	s_branch .LBB51_1212
.LBB51_3261:
	s_movk_i32 s4, 0x80
	v_cmp_eq_u16_sdwa s[12:13], v3, s4 src0_sel:BYTE_3 src1_sel:DWORD
	s_mov_b64 s[4:5], -1
                                        ; implicit-def: $sgpr10
	s_and_saveexec_b64 s[8:9], s[12:13]
; %bb.3262:
	s_mov_b32 s10, 0x7f800001
	s_xor_b64 s[4:5], exec, -1
; %bb.3263:
	s_or_b64 exec, exec, s[8:9]
	s_and_b64 s[4:5], s[4:5], exec
	s_or_saveexec_b64 s[6:7], s[6:7]
	v_mov_b32_e32 v6, s10
	s_xor_b64 exec, exec, s[6:7]
	s_cbranch_execz .LBB51_1214
.LBB51_3264:
	v_mov_b32_e32 v6, 0
	v_cmp_ne_u16_sdwa s[8:9], v3, v6 src0_sel:BYTE_3 src1_sel:DWORD
	s_andn2_b64 s[4:5], s[4:5], exec
	s_and_b64 s[8:9], s[8:9], exec
	s_or_b64 s[4:5], s[4:5], s[8:9]
	s_or_b64 exec, exec, s[6:7]
	s_and_saveexec_b64 s[6:7], s[4:5]
	s_cbranch_execnz .LBB51_1215
	s_branch .LBB51_1216
.LBB51_3265:
	s_movk_i32 s4, 0x80
	v_cmp_eq_u16_sdwa s[12:13], v8, s4 src0_sel:BYTE_0 src1_sel:DWORD
	s_mov_b64 s[4:5], -1
                                        ; implicit-def: $sgpr10
	s_and_saveexec_b64 s[8:9], s[12:13]
; %bb.3266:
	s_mov_b32 s10, 0x7f800001
	s_xor_b64 s[4:5], exec, -1
; %bb.3267:
	s_or_b64 exec, exec, s[8:9]
	s_and_b64 s[4:5], s[4:5], exec
	s_or_saveexec_b64 s[6:7], s[6:7]
	v_mov_b32_e32 v2, s10
	s_xor_b64 exec, exec, s[6:7]
	s_cbranch_execz .LBB51_1218
.LBB51_3268:
	v_mov_b32_e32 v2, 0
	v_cmp_ne_u16_sdwa s[8:9], v8, v2 src0_sel:BYTE_0 src1_sel:DWORD
	s_andn2_b64 s[4:5], s[4:5], exec
	s_and_b64 s[8:9], s[8:9], exec
	s_or_b64 s[4:5], s[4:5], s[8:9]
	s_or_b64 exec, exec, s[6:7]
	s_and_saveexec_b64 s[6:7], s[4:5]
	s_cbranch_execnz .LBB51_1219
	s_branch .LBB51_1220
.LBB51_3269:
	s_movk_i32 s4, 0x80
	v_cmp_eq_u16_sdwa s[12:13], v4, s4 src0_sel:BYTE_0 src1_sel:DWORD
	s_mov_b64 s[4:5], -1
                                        ; implicit-def: $sgpr10
	s_and_saveexec_b64 s[8:9], s[12:13]
; %bb.3270:
	s_mov_b32 s10, 0x7f800001
	s_xor_b64 s[4:5], exec, -1
; %bb.3271:
	s_or_b64 exec, exec, s[8:9]
	s_and_b64 s[4:5], s[4:5], exec
	s_or_saveexec_b64 s[6:7], s[6:7]
	v_mov_b32_e32 v3, s10
	s_xor_b64 exec, exec, s[6:7]
	s_cbranch_execz .LBB51_1222
.LBB51_3272:
	v_mov_b32_e32 v3, 0
	v_cmp_ne_u16_sdwa s[8:9], v4, v3 src0_sel:BYTE_0 src1_sel:DWORD
	s_andn2_b64 s[4:5], s[4:5], exec
	s_and_b64 s[8:9], s[8:9], exec
	s_or_b64 s[4:5], s[4:5], s[8:9]
	s_or_b64 exec, exec, s[6:7]
	s_and_saveexec_b64 s[6:7], s[4:5]
	s_cbranch_execnz .LBB51_1223
	s_branch .LBB51_1224
.LBB51_3273:
	s_movk_i32 s4, 0x80
	v_cmp_eq_u16_sdwa s[12:13], v3, s4 src0_sel:BYTE_0 src1_sel:DWORD
	s_mov_b64 s[4:5], -1
                                        ; implicit-def: $sgpr10
	s_and_saveexec_b64 s[8:9], s[12:13]
; %bb.3274:
	s_mov_b32 s10, 0x7f800001
	s_xor_b64 s[4:5], exec, -1
; %bb.3275:
	s_or_b64 exec, exec, s[8:9]
	s_and_b64 s[4:5], s[4:5], exec
	s_or_saveexec_b64 s[6:7], s[6:7]
	v_mov_b32_e32 v2, s10
	s_xor_b64 exec, exec, s[6:7]
	s_cbranch_execz .LBB51_1226
.LBB51_3276:
	v_mov_b32_e32 v2, 0
	v_cmp_ne_u16_sdwa s[8:9], v3, v2 src0_sel:BYTE_0 src1_sel:DWORD
	s_andn2_b64 s[4:5], s[4:5], exec
	s_and_b64 s[8:9], s[8:9], exec
	s_or_b64 s[4:5], s[4:5], s[8:9]
	s_or_b64 exec, exec, s[6:7]
	s_and_saveexec_b64 s[6:7], s[4:5]
	s_cbranch_execnz .LBB51_1227
	s_branch .LBB51_1228
.LBB51_3277:
	s_movk_i32 s4, 0x80
	v_cmp_eq_u16_sdwa s[12:13], v3, s4 src0_sel:BYTE_0 src1_sel:DWORD
	s_mov_b64 s[4:5], -1
                                        ; implicit-def: $sgpr10
	s_and_saveexec_b64 s[8:9], s[12:13]
; %bb.3278:
	s_mov_b32 s10, 0x7f800001
	s_xor_b64 s[4:5], exec, -1
; %bb.3279:
	s_or_b64 exec, exec, s[8:9]
	s_and_b64 s[4:5], s[4:5], exec
	s_or_saveexec_b64 s[6:7], s[6:7]
	v_mov_b32_e32 v6, s10
	s_xor_b64 exec, exec, s[6:7]
	s_cbranch_execz .LBB51_1230
.LBB51_3280:
	v_mov_b32_e32 v6, 0
	v_cmp_ne_u16_sdwa s[8:9], v3, v6 src0_sel:BYTE_0 src1_sel:DWORD
	s_andn2_b64 s[4:5], s[4:5], exec
	s_and_b64 s[8:9], s[8:9], exec
	s_or_b64 s[4:5], s[4:5], s[8:9]
	s_or_b64 exec, exec, s[6:7]
	s_and_saveexec_b64 s[6:7], s[4:5]
	s_cbranch_execnz .LBB51_1231
	s_branch .LBB51_1232
.LBB51_3281:
	s_movk_i32 s4, 0x80
	v_cmp_eq_u16_e32 vcc, s4, v3
	s_mov_b64 s[4:5], -1
                                        ; implicit-def: $sgpr10
	s_and_saveexec_b64 s[8:9], vcc
; %bb.3282:
	s_mov_b32 s10, 0x7f800001
	s_xor_b64 s[4:5], exec, -1
; %bb.3283:
	s_or_b64 exec, exec, s[8:9]
	s_and_b64 s[4:5], s[4:5], exec
                                        ; implicit-def: $vgpr3
	s_or_saveexec_b64 s[6:7], s[6:7]
	v_mov_b32_e32 v2, s10
	s_xor_b64 exec, exec, s[6:7]
	s_cbranch_execz .LBB51_1234
.LBB51_3284:
	v_cmp_ne_u16_e32 vcc, 0, v3
	s_andn2_b64 s[4:5], s[4:5], exec
	s_and_b64 s[8:9], vcc, exec
	v_mov_b32_e32 v2, 0
	s_or_b64 s[4:5], s[4:5], s[8:9]
	s_or_b64 exec, exec, s[6:7]
	s_and_saveexec_b64 s[6:7], s[4:5]
	s_cbranch_execnz .LBB51_1235
	s_branch .LBB51_1236
.LBB51_3285:
	s_movk_i32 s4, 0x80
	v_cmp_eq_u16_e32 vcc, s4, v3
	s_mov_b64 s[4:5], -1
                                        ; implicit-def: $sgpr10
	s_and_saveexec_b64 s[8:9], vcc
; %bb.3286:
	s_mov_b32 s10, 0x7f800001
	s_xor_b64 s[4:5], exec, -1
; %bb.3287:
	s_or_b64 exec, exec, s[8:9]
	s_and_b64 s[4:5], s[4:5], exec
                                        ; implicit-def: $vgpr3
	s_or_saveexec_b64 s[6:7], s[6:7]
	v_mov_b32_e32 v6, s10
	s_xor_b64 exec, exec, s[6:7]
	s_cbranch_execz .LBB51_1238
.LBB51_3288:
	v_cmp_ne_u16_e32 vcc, 0, v3
	s_andn2_b64 s[4:5], s[4:5], exec
	s_and_b64 s[8:9], vcc, exec
	v_mov_b32_e32 v6, 0
	s_or_b64 s[4:5], s[4:5], s[8:9]
	s_or_b64 exec, exec, s[6:7]
	s_and_saveexec_b64 s[6:7], s[4:5]
	s_cbranch_execnz .LBB51_1239
	s_branch .LBB51_1240
.LBB51_3289:
	s_movk_i32 s4, 0x80
	v_cmp_eq_u16_sdwa s[12:13], v8, s4 src0_sel:BYTE_3 src1_sel:DWORD
	s_mov_b64 s[4:5], -1
                                        ; implicit-def: $sgpr10
	s_and_saveexec_b64 s[8:9], s[12:13]
; %bb.3290:
	s_mov_b32 s10, 0x7f800001
	s_xor_b64 s[4:5], exec, -1
; %bb.3291:
	s_or_b64 exec, exec, s[8:9]
	s_and_b64 s[4:5], s[4:5], exec
	s_or_saveexec_b64 s[6:7], s[6:7]
	v_mov_b32_e32 v2, s10
	s_xor_b64 exec, exec, s[6:7]
	s_cbranch_execz .LBB51_1242
.LBB51_3292:
	v_mov_b32_e32 v2, 0
	v_cmp_ne_u16_sdwa s[8:9], v8, v2 src0_sel:BYTE_3 src1_sel:DWORD
	s_andn2_b64 s[4:5], s[4:5], exec
	s_and_b64 s[8:9], s[8:9], exec
	s_or_b64 s[4:5], s[4:5], s[8:9]
	s_or_b64 exec, exec, s[6:7]
	s_and_saveexec_b64 s[6:7], s[4:5]
	s_cbranch_execnz .LBB51_1243
	s_branch .LBB51_1244
.LBB51_3293:
	s_movk_i32 s4, 0x80
	v_cmp_eq_u16_sdwa s[12:13], v4, s4 src0_sel:BYTE_3 src1_sel:DWORD
	s_mov_b64 s[4:5], -1
                                        ; implicit-def: $sgpr10
	s_and_saveexec_b64 s[8:9], s[12:13]
; %bb.3294:
	s_mov_b32 s10, 0x7f800001
	s_xor_b64 s[4:5], exec, -1
; %bb.3295:
	s_or_b64 exec, exec, s[8:9]
	s_and_b64 s[4:5], s[4:5], exec
	s_or_saveexec_b64 s[6:7], s[6:7]
	v_mov_b32_e32 v3, s10
	s_xor_b64 exec, exec, s[6:7]
	s_cbranch_execz .LBB51_1246
.LBB51_3296:
	v_mov_b32_e32 v3, 0
	v_cmp_ne_u16_sdwa s[8:9], v4, v3 src0_sel:BYTE_3 src1_sel:DWORD
	s_andn2_b64 s[4:5], s[4:5], exec
	s_and_b64 s[8:9], s[8:9], exec
	s_or_b64 s[4:5], s[4:5], s[8:9]
	s_or_b64 exec, exec, s[6:7]
	s_and_saveexec_b64 s[6:7], s[4:5]
	s_cbranch_execnz .LBB51_1247
	s_branch .LBB51_1248
.LBB51_3297:
	s_movk_i32 s4, 0x80
	v_cmp_eq_u16_sdwa s[12:13], v9, s4 src0_sel:BYTE_0 src1_sel:DWORD
	s_mov_b64 s[4:5], -1
                                        ; implicit-def: $sgpr10
	s_and_saveexec_b64 s[8:9], s[12:13]
; %bb.3298:
	s_mov_b32 s10, 0x7f800001
	s_xor_b64 s[4:5], exec, -1
; %bb.3299:
	s_or_b64 exec, exec, s[8:9]
	s_and_b64 s[4:5], s[4:5], exec
	s_or_saveexec_b64 s[6:7], s[6:7]
	v_mov_b32_e32 v2, s10
	s_xor_b64 exec, exec, s[6:7]
	s_cbranch_execz .LBB51_1250
.LBB51_3300:
	v_mov_b32_e32 v2, 0
	v_cmp_ne_u16_sdwa s[8:9], v9, v2 src0_sel:BYTE_0 src1_sel:DWORD
	s_andn2_b64 s[4:5], s[4:5], exec
	s_and_b64 s[8:9], s[8:9], exec
	s_or_b64 s[4:5], s[4:5], s[8:9]
	s_or_b64 exec, exec, s[6:7]
	s_and_saveexec_b64 s[6:7], s[4:5]
	s_cbranch_execnz .LBB51_1251
	s_branch .LBB51_1252
.LBB51_3301:
	s_movk_i32 s4, 0x80
	v_cmp_eq_u16_sdwa s[12:13], v5, s4 src0_sel:BYTE_0 src1_sel:DWORD
	s_mov_b64 s[4:5], -1
                                        ; implicit-def: $sgpr10
	s_and_saveexec_b64 s[8:9], s[12:13]
; %bb.3302:
	s_mov_b32 s10, 0x7f800001
	s_xor_b64 s[4:5], exec, -1
; %bb.3303:
	s_or_b64 exec, exec, s[8:9]
	s_and_b64 s[4:5], s[4:5], exec
	s_or_saveexec_b64 s[6:7], s[6:7]
	v_mov_b32_e32 v3, s10
	s_xor_b64 exec, exec, s[6:7]
	s_cbranch_execz .LBB51_1254
.LBB51_3304:
	v_mov_b32_e32 v3, 0
	v_cmp_ne_u16_sdwa s[8:9], v5, v3 src0_sel:BYTE_0 src1_sel:DWORD
	s_andn2_b64 s[4:5], s[4:5], exec
	s_and_b64 s[8:9], s[8:9], exec
	s_or_b64 s[4:5], s[4:5], s[8:9]
	s_or_b64 exec, exec, s[6:7]
	s_and_saveexec_b64 s[6:7], s[4:5]
	s_cbranch_execnz .LBB51_1255
	s_branch .LBB51_1256
.LBB51_3305:
	s_movk_i32 s4, 0x80
	v_cmp_eq_u16_sdwa s[12:13], v3, s4 src0_sel:BYTE_0 src1_sel:DWORD
	s_mov_b64 s[4:5], -1
                                        ; implicit-def: $sgpr10
	s_and_saveexec_b64 s[8:9], s[12:13]
; %bb.3306:
	s_mov_b32 s10, 0x7f800001
	s_xor_b64 s[4:5], exec, -1
; %bb.3307:
	s_or_b64 exec, exec, s[8:9]
	s_and_b64 s[4:5], s[4:5], exec
	s_or_saveexec_b64 s[6:7], s[6:7]
	v_mov_b32_e32 v2, s10
	s_xor_b64 exec, exec, s[6:7]
	s_cbranch_execz .LBB51_1258
.LBB51_3308:
	v_mov_b32_e32 v2, 0
	v_cmp_ne_u16_sdwa s[8:9], v3, v2 src0_sel:BYTE_0 src1_sel:DWORD
	s_andn2_b64 s[4:5], s[4:5], exec
	s_and_b64 s[8:9], s[8:9], exec
	s_or_b64 s[4:5], s[4:5], s[8:9]
	s_or_b64 exec, exec, s[6:7]
	s_and_saveexec_b64 s[6:7], s[4:5]
	s_cbranch_execnz .LBB51_1259
	s_branch .LBB51_1260
.LBB51_3309:
	s_movk_i32 s4, 0x80
	v_cmp_eq_u16_sdwa s[12:13], v3, s4 src0_sel:BYTE_0 src1_sel:DWORD
	s_mov_b64 s[4:5], -1
                                        ; implicit-def: $sgpr10
	s_and_saveexec_b64 s[8:9], s[12:13]
; %bb.3310:
	s_mov_b32 s10, 0x7f800001
	s_xor_b64 s[4:5], exec, -1
; %bb.3311:
	s_or_b64 exec, exec, s[8:9]
	s_and_b64 s[4:5], s[4:5], exec
	s_or_saveexec_b64 s[6:7], s[6:7]
	v_mov_b32_e32 v4, s10
	s_xor_b64 exec, exec, s[6:7]
	s_cbranch_execz .LBB51_1262
.LBB51_3312:
	v_mov_b32_e32 v4, 0
	v_cmp_ne_u16_sdwa s[8:9], v3, v4 src0_sel:BYTE_0 src1_sel:DWORD
	s_andn2_b64 s[4:5], s[4:5], exec
	s_and_b64 s[8:9], s[8:9], exec
	s_or_b64 s[4:5], s[4:5], s[8:9]
	s_or_b64 exec, exec, s[6:7]
	s_and_saveexec_b64 s[6:7], s[4:5]
	s_cbranch_execnz .LBB51_1263
	s_branch .LBB51_1264
.LBB51_3313:
	s_movk_i32 s4, 0x80
	v_cmp_eq_u16_e32 vcc, s4, v3
	s_mov_b64 s[4:5], -1
                                        ; implicit-def: $sgpr10
	s_and_saveexec_b64 s[8:9], vcc
; %bb.3314:
	s_mov_b32 s10, 0x7f800001
	s_xor_b64 s[4:5], exec, -1
; %bb.3315:
	s_or_b64 exec, exec, s[8:9]
	s_and_b64 s[4:5], s[4:5], exec
                                        ; implicit-def: $vgpr3
	s_or_saveexec_b64 s[6:7], s[6:7]
	v_mov_b32_e32 v2, s10
	s_xor_b64 exec, exec, s[6:7]
	s_cbranch_execz .LBB51_1266
.LBB51_3316:
	v_cmp_ne_u16_e32 vcc, 0, v3
	s_andn2_b64 s[4:5], s[4:5], exec
	s_and_b64 s[8:9], vcc, exec
	v_mov_b32_e32 v2, 0
	s_or_b64 s[4:5], s[4:5], s[8:9]
	s_or_b64 exec, exec, s[6:7]
	s_and_saveexec_b64 s[6:7], s[4:5]
	s_cbranch_execnz .LBB51_1267
	s_branch .LBB51_1268
.LBB51_3317:
	s_movk_i32 s4, 0x80
	v_cmp_eq_u16_e32 vcc, s4, v3
	s_mov_b64 s[4:5], -1
                                        ; implicit-def: $sgpr10
	s_and_saveexec_b64 s[8:9], vcc
; %bb.3318:
	s_mov_b32 s10, 0x7f800001
	s_xor_b64 s[4:5], exec, -1
; %bb.3319:
	s_or_b64 exec, exec, s[8:9]
	s_and_b64 s[4:5], s[4:5], exec
                                        ; implicit-def: $vgpr3
	s_or_saveexec_b64 s[6:7], s[6:7]
	v_mov_b32_e32 v4, s10
	s_xor_b64 exec, exec, s[6:7]
	s_cbranch_execz .LBB51_1270
.LBB51_3320:
	v_cmp_ne_u16_e32 vcc, 0, v3
	s_andn2_b64 s[4:5], s[4:5], exec
	s_and_b64 s[8:9], vcc, exec
	v_mov_b32_e32 v4, 0
	s_or_b64 s[4:5], s[4:5], s[8:9]
	s_or_b64 exec, exec, s[6:7]
	s_and_saveexec_b64 s[6:7], s[4:5]
	s_cbranch_execnz .LBB51_1271
	s_branch .LBB51_1272
.LBB51_3321:
	s_movk_i32 s4, 0x80
	v_cmp_eq_u16_sdwa s[12:13], v9, s4 src0_sel:BYTE_3 src1_sel:DWORD
	s_mov_b64 s[4:5], -1
                                        ; implicit-def: $sgpr10
	s_and_saveexec_b64 s[8:9], s[12:13]
; %bb.3322:
	s_mov_b32 s10, 0x7f800001
	s_xor_b64 s[4:5], exec, -1
; %bb.3323:
	s_or_b64 exec, exec, s[8:9]
	s_and_b64 s[4:5], s[4:5], exec
	s_or_saveexec_b64 s[6:7], s[6:7]
	v_mov_b32_e32 v2, s10
	s_xor_b64 exec, exec, s[6:7]
	s_cbranch_execz .LBB51_1274
.LBB51_3324:
	v_mov_b32_e32 v2, 0
	v_cmp_ne_u16_sdwa s[8:9], v9, v2 src0_sel:BYTE_3 src1_sel:DWORD
	s_andn2_b64 s[4:5], s[4:5], exec
	s_and_b64 s[8:9], s[8:9], exec
	s_or_b64 s[4:5], s[4:5], s[8:9]
	s_or_b64 exec, exec, s[6:7]
	s_and_saveexec_b64 s[6:7], s[4:5]
	s_cbranch_execnz .LBB51_1275
	s_branch .LBB51_1276
.LBB51_3325:
	s_movk_i32 s4, 0x80
	v_cmp_eq_u16_sdwa s[12:13], v5, s4 src0_sel:BYTE_3 src1_sel:DWORD
	s_mov_b64 s[4:5], -1
                                        ; implicit-def: $sgpr10
	s_and_saveexec_b64 s[8:9], s[12:13]
; %bb.3326:
	s_mov_b32 s10, 0x7f800001
	s_xor_b64 s[4:5], exec, -1
; %bb.3327:
	s_or_b64 exec, exec, s[8:9]
	s_and_b64 s[4:5], s[4:5], exec
	s_or_saveexec_b64 s[6:7], s[6:7]
	v_mov_b32_e32 v3, s10
	s_xor_b64 exec, exec, s[6:7]
	s_cbranch_execz .LBB51_1278
.LBB51_3328:
	v_mov_b32_e32 v3, 0
	v_cmp_ne_u16_sdwa s[8:9], v5, v3 src0_sel:BYTE_3 src1_sel:DWORD
	s_andn2_b64 s[4:5], s[4:5], exec
	s_and_b64 s[8:9], s[8:9], exec
	s_or_b64 s[4:5], s[4:5], s[8:9]
	s_or_b64 exec, exec, s[6:7]
	s_and_saveexec_b64 s[6:7], s[4:5]
	s_cbranch_execnz .LBB51_1279
	s_branch .LBB51_1280
.LBB51_3329:
	s_movk_i32 s4, 0x80
	v_cmp_eq_u16_sdwa s[12:13], v14, s4 src0_sel:BYTE_0 src1_sel:DWORD
	s_mov_b64 s[4:5], -1
                                        ; implicit-def: $sgpr10
	s_and_saveexec_b64 s[8:9], s[12:13]
; %bb.3330:
	s_mov_b32 s10, 0x7f800001
	s_xor_b64 s[4:5], exec, -1
; %bb.3331:
	s_or_b64 exec, exec, s[8:9]
	s_and_b64 s[4:5], s[4:5], exec
	s_or_saveexec_b64 s[6:7], s[6:7]
	v_mov_b32_e32 v20, s10
	s_xor_b64 exec, exec, s[6:7]
	s_cbranch_execz .LBB51_1282
.LBB51_3332:
	v_mov_b32_e32 v20, 0
	v_cmp_ne_u16_sdwa s[8:9], v14, v20 src0_sel:BYTE_0 src1_sel:DWORD
	s_andn2_b64 s[4:5], s[4:5], exec
	s_and_b64 s[8:9], s[8:9], exec
	s_or_b64 s[4:5], s[4:5], s[8:9]
	s_or_b64 exec, exec, s[6:7]
	s_and_saveexec_b64 s[6:7], s[4:5]
	s_cbranch_execnz .LBB51_1283
	s_branch .LBB51_1284
.LBB51_3333:
	s_movk_i32 s4, 0x80
	v_cmp_eq_u16_sdwa s[12:13], v10, s4 src0_sel:BYTE_0 src1_sel:DWORD
	s_mov_b64 s[4:5], -1
                                        ; implicit-def: $sgpr10
	s_and_saveexec_b64 s[8:9], s[12:13]
; %bb.3334:
	s_mov_b32 s10, 0x7f800001
	s_xor_b64 s[4:5], exec, -1
; %bb.3335:
	s_or_b64 exec, exec, s[8:9]
	s_and_b64 s[4:5], s[4:5], exec
	s_or_saveexec_b64 s[6:7], s[6:7]
	v_mov_b32_e32 v21, s10
	s_xor_b64 exec, exec, s[6:7]
	s_cbranch_execz .LBB51_1286
.LBB51_3336:
	v_mov_b32_e32 v21, 0
	v_cmp_ne_u16_sdwa s[8:9], v10, v21 src0_sel:BYTE_0 src1_sel:DWORD
	s_andn2_b64 s[4:5], s[4:5], exec
	s_and_b64 s[8:9], s[8:9], exec
	s_or_b64 s[4:5], s[4:5], s[8:9]
	s_or_b64 exec, exec, s[6:7]
	s_and_saveexec_b64 s[6:7], s[4:5]
	s_cbranch_execnz .LBB51_1287
	s_branch .LBB51_1288
.LBB51_3337:
	s_movk_i32 s4, 0x80
	v_cmp_eq_u16_sdwa s[12:13], v21, s4 src0_sel:BYTE_0 src1_sel:DWORD
	s_mov_b64 s[4:5], -1
                                        ; implicit-def: $sgpr10
	s_and_saveexec_b64 s[8:9], s[12:13]
; %bb.3338:
	s_mov_b32 s10, 0x7f800001
	s_xor_b64 s[4:5], exec, -1
; %bb.3339:
	s_or_b64 exec, exec, s[8:9]
	s_and_b64 s[4:5], s[4:5], exec
	s_or_saveexec_b64 s[6:7], s[6:7]
	v_mov_b32_e32 v20, s10
	s_xor_b64 exec, exec, s[6:7]
	s_cbranch_execz .LBB51_1290
.LBB51_3340:
	v_mov_b32_e32 v20, 0
	v_cmp_ne_u16_sdwa s[8:9], v21, v20 src0_sel:BYTE_0 src1_sel:DWORD
	s_andn2_b64 s[4:5], s[4:5], exec
	s_and_b64 s[8:9], s[8:9], exec
	s_or_b64 s[4:5], s[4:5], s[8:9]
	s_or_b64 exec, exec, s[6:7]
	s_and_saveexec_b64 s[6:7], s[4:5]
	s_cbranch_execnz .LBB51_1291
	s_branch .LBB51_1292
.LBB51_3341:
	s_movk_i32 s4, 0x80
	v_cmp_eq_u16_sdwa s[12:13], v21, s4 src0_sel:BYTE_0 src1_sel:DWORD
	s_mov_b64 s[4:5], -1
                                        ; implicit-def: $sgpr10
	s_and_saveexec_b64 s[8:9], s[12:13]
; %bb.3342:
	s_mov_b32 s10, 0x7f800001
	s_xor_b64 s[4:5], exec, -1
; %bb.3343:
	s_or_b64 exec, exec, s[8:9]
	s_and_b64 s[4:5], s[4:5], exec
	s_or_saveexec_b64 s[6:7], s[6:7]
	v_mov_b32_e32 v22, s10
	s_xor_b64 exec, exec, s[6:7]
	s_cbranch_execz .LBB51_1294
.LBB51_3344:
	v_mov_b32_e32 v22, 0
	v_cmp_ne_u16_sdwa s[8:9], v21, v22 src0_sel:BYTE_0 src1_sel:DWORD
	s_andn2_b64 s[4:5], s[4:5], exec
	s_and_b64 s[8:9], s[8:9], exec
	s_or_b64 s[4:5], s[4:5], s[8:9]
	s_or_b64 exec, exec, s[6:7]
	s_and_saveexec_b64 s[6:7], s[4:5]
	s_cbranch_execnz .LBB51_1295
	s_branch .LBB51_1296
.LBB51_3345:
	s_movk_i32 s4, 0x80
	v_cmp_eq_u16_e32 vcc, s4, v21
	s_mov_b64 s[4:5], -1
                                        ; implicit-def: $sgpr10
	s_and_saveexec_b64 s[8:9], vcc
; %bb.3346:
	s_mov_b32 s10, 0x7f800001
	s_xor_b64 s[4:5], exec, -1
; %bb.3347:
	s_or_b64 exec, exec, s[8:9]
	s_and_b64 s[4:5], s[4:5], exec
                                        ; implicit-def: $vgpr21
	s_or_saveexec_b64 s[6:7], s[6:7]
	v_mov_b32_e32 v20, s10
	s_xor_b64 exec, exec, s[6:7]
	s_cbranch_execz .LBB51_1298
.LBB51_3348:
	v_cmp_ne_u16_e32 vcc, 0, v21
	s_andn2_b64 s[4:5], s[4:5], exec
	s_and_b64 s[8:9], vcc, exec
	v_mov_b32_e32 v20, 0
	s_or_b64 s[4:5], s[4:5], s[8:9]
	s_or_b64 exec, exec, s[6:7]
	s_and_saveexec_b64 s[6:7], s[4:5]
	s_cbranch_execnz .LBB51_1299
	s_branch .LBB51_1300
.LBB51_3349:
	s_movk_i32 s4, 0x80
	v_cmp_eq_u16_e32 vcc, s4, v21
	s_mov_b64 s[4:5], -1
                                        ; implicit-def: $sgpr10
	s_and_saveexec_b64 s[8:9], vcc
; %bb.3350:
	s_mov_b32 s10, 0x7f800001
	s_xor_b64 s[4:5], exec, -1
; %bb.3351:
	s_or_b64 exec, exec, s[8:9]
	s_and_b64 s[4:5], s[4:5], exec
                                        ; implicit-def: $vgpr21
	s_or_saveexec_b64 s[6:7], s[6:7]
	v_mov_b32_e32 v22, s10
	s_xor_b64 exec, exec, s[6:7]
	s_cbranch_execz .LBB51_1302
.LBB51_3352:
	v_cmp_ne_u16_e32 vcc, 0, v21
	s_andn2_b64 s[4:5], s[4:5], exec
	s_and_b64 s[8:9], vcc, exec
	v_mov_b32_e32 v22, 0
	s_or_b64 s[4:5], s[4:5], s[8:9]
	s_or_b64 exec, exec, s[6:7]
	s_and_saveexec_b64 s[6:7], s[4:5]
	s_cbranch_execnz .LBB51_1303
	s_branch .LBB51_1304
.LBB51_3353:
	s_movk_i32 s4, 0x80
	v_cmp_eq_u16_sdwa s[12:13], v14, s4 src0_sel:BYTE_3 src1_sel:DWORD
	s_mov_b64 s[4:5], -1
                                        ; implicit-def: $sgpr10
	s_and_saveexec_b64 s[8:9], s[12:13]
; %bb.3354:
	s_mov_b32 s10, 0x7f800001
	s_xor_b64 s[4:5], exec, -1
; %bb.3355:
	s_or_b64 exec, exec, s[8:9]
	s_and_b64 s[4:5], s[4:5], exec
	s_or_saveexec_b64 s[6:7], s[6:7]
	v_mov_b32_e32 v20, s10
	s_xor_b64 exec, exec, s[6:7]
	s_cbranch_execz .LBB51_1306
.LBB51_3356:
	v_mov_b32_e32 v20, 0
	v_cmp_ne_u16_sdwa s[8:9], v14, v20 src0_sel:BYTE_3 src1_sel:DWORD
	s_andn2_b64 s[4:5], s[4:5], exec
	s_and_b64 s[8:9], s[8:9], exec
	s_or_b64 s[4:5], s[4:5], s[8:9]
	s_or_b64 exec, exec, s[6:7]
	s_and_saveexec_b64 s[6:7], s[4:5]
	s_cbranch_execnz .LBB51_1307
	s_branch .LBB51_1308
.LBB51_3357:
	s_movk_i32 s4, 0x80
	v_cmp_eq_u16_sdwa s[12:13], v10, s4 src0_sel:BYTE_3 src1_sel:DWORD
	s_mov_b64 s[4:5], -1
                                        ; implicit-def: $sgpr10
	s_and_saveexec_b64 s[8:9], s[12:13]
; %bb.3358:
	s_mov_b32 s10, 0x7f800001
	s_xor_b64 s[4:5], exec, -1
; %bb.3359:
	s_or_b64 exec, exec, s[8:9]
	s_and_b64 s[4:5], s[4:5], exec
	s_or_saveexec_b64 s[6:7], s[6:7]
	v_mov_b32_e32 v14, s10
	s_xor_b64 exec, exec, s[6:7]
	s_cbranch_execz .LBB51_1310
.LBB51_3360:
	v_mov_b32_e32 v14, 0
	v_cmp_ne_u16_sdwa s[8:9], v10, v14 src0_sel:BYTE_3 src1_sel:DWORD
	s_andn2_b64 s[4:5], s[4:5], exec
	s_and_b64 s[8:9], s[8:9], exec
	s_or_b64 s[4:5], s[4:5], s[8:9]
	s_or_b64 exec, exec, s[6:7]
	s_and_saveexec_b64 s[6:7], s[4:5]
	s_cbranch_execnz .LBB51_1311
	s_branch .LBB51_1312
.LBB51_3361:
	s_movk_i32 s4, 0x80
	v_cmp_eq_u16_sdwa s[12:13], v15, s4 src0_sel:BYTE_0 src1_sel:DWORD
	s_mov_b64 s[4:5], -1
                                        ; implicit-def: $sgpr10
	s_and_saveexec_b64 s[8:9], s[12:13]
; %bb.3362:
	s_mov_b32 s10, 0x7f800001
	s_xor_b64 s[4:5], exec, -1
; %bb.3363:
	s_or_b64 exec, exec, s[8:9]
	s_and_b64 s[4:5], s[4:5], exec
	s_or_saveexec_b64 s[6:7], s[6:7]
	v_mov_b32_e32 v10, s10
	s_xor_b64 exec, exec, s[6:7]
	s_cbranch_execz .LBB51_1314
.LBB51_3364:
	v_mov_b32_e32 v10, 0
	v_cmp_ne_u16_sdwa s[8:9], v15, v10 src0_sel:BYTE_0 src1_sel:DWORD
	s_andn2_b64 s[4:5], s[4:5], exec
	s_and_b64 s[8:9], s[8:9], exec
	s_or_b64 s[4:5], s[4:5], s[8:9]
	s_or_b64 exec, exec, s[6:7]
	s_and_saveexec_b64 s[6:7], s[4:5]
	s_cbranch_execnz .LBB51_1315
	s_branch .LBB51_1316
.LBB51_3365:
	s_movk_i32 s4, 0x80
	v_cmp_eq_u16_sdwa s[12:13], v11, s4 src0_sel:BYTE_0 src1_sel:DWORD
	s_mov_b64 s[4:5], -1
                                        ; implicit-def: $sgpr10
	s_and_saveexec_b64 s[8:9], s[12:13]
; %bb.3366:
	s_mov_b32 s10, 0x7f800001
	s_xor_b64 s[4:5], exec, -1
; %bb.3367:
	s_or_b64 exec, exec, s[8:9]
	s_and_b64 s[4:5], s[4:5], exec
	s_or_saveexec_b64 s[6:7], s[6:7]
	v_mov_b32_e32 v14, s10
	s_xor_b64 exec, exec, s[6:7]
	s_cbranch_execz .LBB51_1318
.LBB51_3368:
	v_mov_b32_e32 v14, 0
	v_cmp_ne_u16_sdwa s[8:9], v11, v14 src0_sel:BYTE_0 src1_sel:DWORD
	s_andn2_b64 s[4:5], s[4:5], exec
	s_and_b64 s[8:9], s[8:9], exec
	s_or_b64 s[4:5], s[4:5], s[8:9]
	s_or_b64 exec, exec, s[6:7]
	s_and_saveexec_b64 s[6:7], s[4:5]
	s_cbranch_execnz .LBB51_1319
	s_branch .LBB51_1320
.LBB51_3369:
	s_movk_i32 s4, 0x80
	v_cmp_eq_u16_sdwa s[12:13], v14, s4 src0_sel:BYTE_0 src1_sel:DWORD
	s_mov_b64 s[4:5], -1
                                        ; implicit-def: $sgpr10
	s_and_saveexec_b64 s[8:9], s[12:13]
; %bb.3370:
	s_mov_b32 s10, 0x7f800001
	s_xor_b64 s[4:5], exec, -1
; %bb.3371:
	s_or_b64 exec, exec, s[8:9]
	s_and_b64 s[4:5], s[4:5], exec
	s_or_saveexec_b64 s[6:7], s[6:7]
	v_mov_b32_e32 v10, s10
	s_xor_b64 exec, exec, s[6:7]
	s_cbranch_execz .LBB51_1322
.LBB51_3372:
	v_mov_b32_e32 v10, 0
	v_cmp_ne_u16_sdwa s[8:9], v14, v10 src0_sel:BYTE_0 src1_sel:DWORD
	s_andn2_b64 s[4:5], s[4:5], exec
	s_and_b64 s[8:9], s[8:9], exec
	s_or_b64 s[4:5], s[4:5], s[8:9]
	s_or_b64 exec, exec, s[6:7]
	s_and_saveexec_b64 s[6:7], s[4:5]
	s_cbranch_execnz .LBB51_1323
	s_branch .LBB51_1324
.LBB51_3373:
	s_movk_i32 s4, 0x80
	v_cmp_eq_u16_sdwa s[12:13], v14, s4 src0_sel:BYTE_0 src1_sel:DWORD
	s_mov_b64 s[4:5], -1
                                        ; implicit-def: $sgpr10
	s_and_saveexec_b64 s[8:9], s[12:13]
; %bb.3374:
	s_mov_b32 s10, 0x7f800001
	s_xor_b64 s[4:5], exec, -1
; %bb.3375:
	s_or_b64 exec, exec, s[8:9]
	s_and_b64 s[4:5], s[4:5], exec
	s_or_saveexec_b64 s[6:7], s[6:7]
	v_mov_b32_e32 v20, s10
	s_xor_b64 exec, exec, s[6:7]
	s_cbranch_execz .LBB51_1326
.LBB51_3376:
	v_mov_b32_e32 v20, 0
	v_cmp_ne_u16_sdwa s[8:9], v14, v20 src0_sel:BYTE_0 src1_sel:DWORD
	s_andn2_b64 s[4:5], s[4:5], exec
	s_and_b64 s[8:9], s[8:9], exec
	s_or_b64 s[4:5], s[4:5], s[8:9]
	s_or_b64 exec, exec, s[6:7]
	s_and_saveexec_b64 s[6:7], s[4:5]
	s_cbranch_execnz .LBB51_1327
	s_branch .LBB51_1328
.LBB51_3377:
	s_movk_i32 s4, 0x80
	v_cmp_eq_u16_e32 vcc, s4, v14
	s_mov_b64 s[4:5], -1
                                        ; implicit-def: $sgpr10
	s_and_saveexec_b64 s[8:9], vcc
; %bb.3378:
	s_mov_b32 s10, 0x7f800001
	s_xor_b64 s[4:5], exec, -1
; %bb.3379:
	s_or_b64 exec, exec, s[8:9]
	s_and_b64 s[4:5], s[4:5], exec
                                        ; implicit-def: $vgpr14
	s_or_saveexec_b64 s[6:7], s[6:7]
	v_mov_b32_e32 v10, s10
	s_xor_b64 exec, exec, s[6:7]
	s_cbranch_execz .LBB51_1330
.LBB51_3380:
	v_cmp_ne_u16_e32 vcc, 0, v14
	s_andn2_b64 s[4:5], s[4:5], exec
	s_and_b64 s[8:9], vcc, exec
	v_mov_b32_e32 v10, 0
	s_or_b64 s[4:5], s[4:5], s[8:9]
	s_or_b64 exec, exec, s[6:7]
	s_and_saveexec_b64 s[6:7], s[4:5]
	s_cbranch_execnz .LBB51_1331
	s_branch .LBB51_1332
.LBB51_3381:
	s_movk_i32 s4, 0x80
	v_cmp_eq_u16_e32 vcc, s4, v14
	s_mov_b64 s[4:5], -1
                                        ; implicit-def: $sgpr10
	s_and_saveexec_b64 s[8:9], vcc
; %bb.3382:
	s_mov_b32 s10, 0x7f800001
	s_xor_b64 s[4:5], exec, -1
; %bb.3383:
	s_or_b64 exec, exec, s[8:9]
	s_and_b64 s[4:5], s[4:5], exec
                                        ; implicit-def: $vgpr14
	s_or_saveexec_b64 s[6:7], s[6:7]
	v_mov_b32_e32 v20, s10
	s_xor_b64 exec, exec, s[6:7]
	s_cbranch_execz .LBB51_1334
.LBB51_3384:
	v_cmp_ne_u16_e32 vcc, 0, v14
	s_andn2_b64 s[4:5], s[4:5], exec
	s_and_b64 s[8:9], vcc, exec
	v_mov_b32_e32 v20, 0
	s_or_b64 s[4:5], s[4:5], s[8:9]
	s_or_b64 exec, exec, s[6:7]
	s_and_saveexec_b64 s[6:7], s[4:5]
	s_cbranch_execnz .LBB51_1335
	s_branch .LBB51_1336
.LBB51_3385:
	s_movk_i32 s4, 0x80
	v_cmp_eq_u16_sdwa s[12:13], v15, s4 src0_sel:BYTE_3 src1_sel:DWORD
	s_mov_b64 s[4:5], -1
                                        ; implicit-def: $sgpr10
	s_and_saveexec_b64 s[8:9], s[12:13]
; %bb.3386:
	s_mov_b32 s10, 0x7f800001
	s_xor_b64 s[4:5], exec, -1
; %bb.3387:
	s_or_b64 exec, exec, s[8:9]
	s_and_b64 s[4:5], s[4:5], exec
	s_or_saveexec_b64 s[6:7], s[6:7]
	v_mov_b32_e32 v10, s10
	s_xor_b64 exec, exec, s[6:7]
	s_cbranch_execz .LBB51_1338
.LBB51_3388:
	v_mov_b32_e32 v10, 0
	v_cmp_ne_u16_sdwa s[8:9], v15, v10 src0_sel:BYTE_3 src1_sel:DWORD
	s_andn2_b64 s[4:5], s[4:5], exec
	s_and_b64 s[8:9], s[8:9], exec
	s_or_b64 s[4:5], s[4:5], s[8:9]
	s_or_b64 exec, exec, s[6:7]
	s_and_saveexec_b64 s[6:7], s[4:5]
	s_cbranch_execnz .LBB51_1339
	s_branch .LBB51_1340
.LBB51_3389:
	s_movk_i32 s4, 0x80
	v_cmp_eq_u16_sdwa s[12:13], v11, s4 src0_sel:BYTE_3 src1_sel:DWORD
	s_mov_b64 s[4:5], -1
                                        ; implicit-def: $sgpr10
	s_and_saveexec_b64 s[8:9], s[12:13]
; %bb.3390:
	s_mov_b32 s10, 0x7f800001
	s_xor_b64 s[4:5], exec, -1
; %bb.3391:
	s_or_b64 exec, exec, s[8:9]
	s_and_b64 s[4:5], s[4:5], exec
	s_or_saveexec_b64 s[6:7], s[6:7]
	v_mov_b32_e32 v14, s10
	s_xor_b64 exec, exec, s[6:7]
	s_cbranch_execz .LBB51_1342
.LBB51_3392:
	v_mov_b32_e32 v14, 0
	v_cmp_ne_u16_sdwa s[8:9], v11, v14 src0_sel:BYTE_3 src1_sel:DWORD
	s_andn2_b64 s[4:5], s[4:5], exec
	s_and_b64 s[8:9], s[8:9], exec
	s_or_b64 s[4:5], s[4:5], s[8:9]
	s_or_b64 exec, exec, s[6:7]
	s_and_saveexec_b64 s[6:7], s[4:5]
	s_cbranch_execnz .LBB51_1343
	s_branch .LBB51_1344
.LBB51_3393:
	s_movk_i32 s4, 0x80
	v_cmp_eq_u16_sdwa s[12:13], v16, s4 src0_sel:BYTE_0 src1_sel:DWORD
	s_mov_b64 s[4:5], -1
                                        ; implicit-def: $sgpr10
	s_and_saveexec_b64 s[8:9], s[12:13]
; %bb.3394:
	s_mov_b32 s10, 0x7f800001
	s_xor_b64 s[4:5], exec, -1
; %bb.3395:
	s_or_b64 exec, exec, s[8:9]
	s_and_b64 s[4:5], s[4:5], exec
	s_or_saveexec_b64 s[6:7], s[6:7]
	v_mov_b32_e32 v10, s10
	s_xor_b64 exec, exec, s[6:7]
	s_cbranch_execz .LBB51_1346
.LBB51_3396:
	v_mov_b32_e32 v10, 0
	v_cmp_ne_u16_sdwa s[8:9], v16, v10 src0_sel:BYTE_0 src1_sel:DWORD
	s_andn2_b64 s[4:5], s[4:5], exec
	s_and_b64 s[8:9], s[8:9], exec
	s_or_b64 s[4:5], s[4:5], s[8:9]
	s_or_b64 exec, exec, s[6:7]
	s_and_saveexec_b64 s[6:7], s[4:5]
	s_cbranch_execnz .LBB51_1347
	s_branch .LBB51_1348
.LBB51_3397:
	s_movk_i32 s4, 0x80
	v_cmp_eq_u16_sdwa s[12:13], v12, s4 src0_sel:BYTE_0 src1_sel:DWORD
	s_mov_b64 s[4:5], -1
                                        ; implicit-def: $sgpr10
	s_and_saveexec_b64 s[8:9], s[12:13]
; %bb.3398:
	s_mov_b32 s10, 0x7f800001
	s_xor_b64 s[4:5], exec, -1
; %bb.3399:
	s_or_b64 exec, exec, s[8:9]
	s_and_b64 s[4:5], s[4:5], exec
	s_or_saveexec_b64 s[6:7], s[6:7]
	v_mov_b32_e32 v11, s10
	s_xor_b64 exec, exec, s[6:7]
	s_cbranch_execz .LBB51_1350
.LBB51_3400:
	v_mov_b32_e32 v11, 0
	v_cmp_ne_u16_sdwa s[8:9], v12, v11 src0_sel:BYTE_0 src1_sel:DWORD
	s_andn2_b64 s[4:5], s[4:5], exec
	s_and_b64 s[8:9], s[8:9], exec
	s_or_b64 s[4:5], s[4:5], s[8:9]
	s_or_b64 exec, exec, s[6:7]
	s_and_saveexec_b64 s[6:7], s[4:5]
	s_cbranch_execnz .LBB51_1351
	s_branch .LBB51_1352
.LBB51_3401:
	s_movk_i32 s4, 0x80
	v_cmp_eq_u16_sdwa s[12:13], v11, s4 src0_sel:BYTE_0 src1_sel:DWORD
	s_mov_b64 s[4:5], -1
                                        ; implicit-def: $sgpr10
	s_and_saveexec_b64 s[8:9], s[12:13]
; %bb.3402:
	s_mov_b32 s10, 0x7f800001
	s_xor_b64 s[4:5], exec, -1
; %bb.3403:
	s_or_b64 exec, exec, s[8:9]
	s_and_b64 s[4:5], s[4:5], exec
	s_or_saveexec_b64 s[6:7], s[6:7]
	v_mov_b32_e32 v10, s10
	s_xor_b64 exec, exec, s[6:7]
	s_cbranch_execz .LBB51_1354
.LBB51_3404:
	v_mov_b32_e32 v10, 0
	v_cmp_ne_u16_sdwa s[8:9], v11, v10 src0_sel:BYTE_0 src1_sel:DWORD
	s_andn2_b64 s[4:5], s[4:5], exec
	s_and_b64 s[8:9], s[8:9], exec
	s_or_b64 s[4:5], s[4:5], s[8:9]
	s_or_b64 exec, exec, s[6:7]
	s_and_saveexec_b64 s[6:7], s[4:5]
	s_cbranch_execnz .LBB51_1355
	s_branch .LBB51_1356
.LBB51_3405:
	s_movk_i32 s4, 0x80
	v_cmp_eq_u16_sdwa s[12:13], v11, s4 src0_sel:BYTE_0 src1_sel:DWORD
	s_mov_b64 s[4:5], -1
                                        ; implicit-def: $sgpr10
	s_and_saveexec_b64 s[8:9], s[12:13]
; %bb.3406:
	s_mov_b32 s10, 0x7f800001
	s_xor_b64 s[4:5], exec, -1
; %bb.3407:
	s_or_b64 exec, exec, s[8:9]
	s_and_b64 s[4:5], s[4:5], exec
	s_or_saveexec_b64 s[6:7], s[6:7]
	v_mov_b32_e32 v14, s10
	s_xor_b64 exec, exec, s[6:7]
	s_cbranch_execz .LBB51_1358
.LBB51_3408:
	v_mov_b32_e32 v14, 0
	v_cmp_ne_u16_sdwa s[8:9], v11, v14 src0_sel:BYTE_0 src1_sel:DWORD
	s_andn2_b64 s[4:5], s[4:5], exec
	s_and_b64 s[8:9], s[8:9], exec
	s_or_b64 s[4:5], s[4:5], s[8:9]
	s_or_b64 exec, exec, s[6:7]
	s_and_saveexec_b64 s[6:7], s[4:5]
	s_cbranch_execnz .LBB51_1359
	s_branch .LBB51_1360
.LBB51_3409:
	s_movk_i32 s4, 0x80
	v_cmp_eq_u16_e32 vcc, s4, v11
	s_mov_b64 s[4:5], -1
                                        ; implicit-def: $sgpr10
	s_and_saveexec_b64 s[8:9], vcc
; %bb.3410:
	s_mov_b32 s10, 0x7f800001
	s_xor_b64 s[4:5], exec, -1
; %bb.3411:
	s_or_b64 exec, exec, s[8:9]
	s_and_b64 s[4:5], s[4:5], exec
                                        ; implicit-def: $vgpr11
	s_or_saveexec_b64 s[6:7], s[6:7]
	v_mov_b32_e32 v10, s10
	s_xor_b64 exec, exec, s[6:7]
	s_cbranch_execz .LBB51_1362
.LBB51_3412:
	v_cmp_ne_u16_e32 vcc, 0, v11
	s_andn2_b64 s[4:5], s[4:5], exec
	s_and_b64 s[8:9], vcc, exec
	v_mov_b32_e32 v10, 0
	s_or_b64 s[4:5], s[4:5], s[8:9]
	s_or_b64 exec, exec, s[6:7]
	s_and_saveexec_b64 s[6:7], s[4:5]
	s_cbranch_execnz .LBB51_1363
	s_branch .LBB51_1364
.LBB51_3413:
	s_movk_i32 s4, 0x80
	v_cmp_eq_u16_e32 vcc, s4, v11
	s_mov_b64 s[4:5], -1
                                        ; implicit-def: $sgpr10
	s_and_saveexec_b64 s[8:9], vcc
; %bb.3414:
	s_mov_b32 s10, 0x7f800001
	s_xor_b64 s[4:5], exec, -1
; %bb.3415:
	s_or_b64 exec, exec, s[8:9]
	s_and_b64 s[4:5], s[4:5], exec
                                        ; implicit-def: $vgpr11
	s_or_saveexec_b64 s[6:7], s[6:7]
	v_mov_b32_e32 v14, s10
	s_xor_b64 exec, exec, s[6:7]
	s_cbranch_execz .LBB51_1366
.LBB51_3416:
	v_cmp_ne_u16_e32 vcc, 0, v11
	s_andn2_b64 s[4:5], s[4:5], exec
	s_and_b64 s[8:9], vcc, exec
	v_mov_b32_e32 v14, 0
	s_or_b64 s[4:5], s[4:5], s[8:9]
	s_or_b64 exec, exec, s[6:7]
	s_and_saveexec_b64 s[6:7], s[4:5]
	s_cbranch_execnz .LBB51_1367
	s_branch .LBB51_1368
.LBB51_3417:
	s_movk_i32 s4, 0x80
	v_cmp_eq_u16_sdwa s[12:13], v16, s4 src0_sel:BYTE_3 src1_sel:DWORD
	s_mov_b64 s[4:5], -1
                                        ; implicit-def: $sgpr10
	s_and_saveexec_b64 s[8:9], s[12:13]
; %bb.3418:
	s_mov_b32 s10, 0x7f800001
	s_xor_b64 s[4:5], exec, -1
; %bb.3419:
	s_or_b64 exec, exec, s[8:9]
	s_and_b64 s[4:5], s[4:5], exec
	s_or_saveexec_b64 s[6:7], s[6:7]
	v_mov_b32_e32 v10, s10
	s_xor_b64 exec, exec, s[6:7]
	s_cbranch_execz .LBB51_1370
.LBB51_3420:
	v_mov_b32_e32 v10, 0
	v_cmp_ne_u16_sdwa s[8:9], v16, v10 src0_sel:BYTE_3 src1_sel:DWORD
	s_andn2_b64 s[4:5], s[4:5], exec
	s_and_b64 s[8:9], s[8:9], exec
	s_or_b64 s[4:5], s[4:5], s[8:9]
	s_or_b64 exec, exec, s[6:7]
	s_and_saveexec_b64 s[6:7], s[4:5]
	s_cbranch_execnz .LBB51_1371
	s_branch .LBB51_1372
.LBB51_3421:
	s_movk_i32 s4, 0x80
	v_cmp_eq_u16_sdwa s[12:13], v12, s4 src0_sel:BYTE_3 src1_sel:DWORD
	s_mov_b64 s[4:5], -1
                                        ; implicit-def: $sgpr10
	s_and_saveexec_b64 s[8:9], s[12:13]
; %bb.3422:
	s_mov_b32 s10, 0x7f800001
	s_xor_b64 s[4:5], exec, -1
; %bb.3423:
	s_or_b64 exec, exec, s[8:9]
	s_and_b64 s[4:5], s[4:5], exec
	s_or_saveexec_b64 s[6:7], s[6:7]
	v_mov_b32_e32 v11, s10
	s_xor_b64 exec, exec, s[6:7]
	s_cbranch_execz .LBB51_1374
.LBB51_3424:
	v_mov_b32_e32 v11, 0
	v_cmp_ne_u16_sdwa s[8:9], v12, v11 src0_sel:BYTE_3 src1_sel:DWORD
	s_andn2_b64 s[4:5], s[4:5], exec
	s_and_b64 s[8:9], s[8:9], exec
	s_or_b64 s[4:5], s[4:5], s[8:9]
	s_or_b64 exec, exec, s[6:7]
	s_and_saveexec_b64 s[6:7], s[4:5]
	s_cbranch_execnz .LBB51_1375
	s_branch .LBB51_1376
.LBB51_3425:
	s_movk_i32 s4, 0x80
	v_cmp_eq_u16_sdwa s[12:13], v17, s4 src0_sel:BYTE_0 src1_sel:DWORD
	s_mov_b64 s[4:5], -1
                                        ; implicit-def: $sgpr10
	s_and_saveexec_b64 s[8:9], s[12:13]
; %bb.3426:
	s_mov_b32 s10, 0x7f800001
	s_xor_b64 s[4:5], exec, -1
; %bb.3427:
	s_or_b64 exec, exec, s[8:9]
	s_and_b64 s[4:5], s[4:5], exec
	s_or_saveexec_b64 s[6:7], s[6:7]
	v_mov_b32_e32 v10, s10
	s_xor_b64 exec, exec, s[6:7]
	s_cbranch_execz .LBB51_1378
.LBB51_3428:
	v_mov_b32_e32 v10, 0
	v_cmp_ne_u16_sdwa s[8:9], v17, v10 src0_sel:BYTE_0 src1_sel:DWORD
	s_andn2_b64 s[4:5], s[4:5], exec
	s_and_b64 s[8:9], s[8:9], exec
	s_or_b64 s[4:5], s[4:5], s[8:9]
	s_or_b64 exec, exec, s[6:7]
	s_and_saveexec_b64 s[6:7], s[4:5]
	s_cbranch_execnz .LBB51_1379
	s_branch .LBB51_1380
.LBB51_3429:
	s_movk_i32 s4, 0x80
	v_cmp_eq_u16_sdwa s[12:13], v13, s4 src0_sel:BYTE_0 src1_sel:DWORD
	s_mov_b64 s[4:5], -1
                                        ; implicit-def: $sgpr10
	s_and_saveexec_b64 s[8:9], s[12:13]
; %bb.3430:
	s_mov_b32 s10, 0x7f800001
	s_xor_b64 s[4:5], exec, -1
; %bb.3431:
	s_or_b64 exec, exec, s[8:9]
	s_and_b64 s[4:5], s[4:5], exec
	s_or_saveexec_b64 s[6:7], s[6:7]
	v_mov_b32_e32 v11, s10
	s_xor_b64 exec, exec, s[6:7]
	s_cbranch_execz .LBB51_1382
.LBB51_3432:
	v_mov_b32_e32 v11, 0
	v_cmp_ne_u16_sdwa s[8:9], v13, v11 src0_sel:BYTE_0 src1_sel:DWORD
	s_andn2_b64 s[4:5], s[4:5], exec
	s_and_b64 s[8:9], s[8:9], exec
	s_or_b64 s[4:5], s[4:5], s[8:9]
	s_or_b64 exec, exec, s[6:7]
	s_and_saveexec_b64 s[6:7], s[4:5]
	s_cbranch_execnz .LBB51_1383
	s_branch .LBB51_1384
.LBB51_3433:
	s_movk_i32 s4, 0x80
	v_cmp_eq_u16_sdwa s[12:13], v11, s4 src0_sel:BYTE_0 src1_sel:DWORD
	s_mov_b64 s[4:5], -1
                                        ; implicit-def: $sgpr10
	s_and_saveexec_b64 s[8:9], s[12:13]
; %bb.3434:
	s_mov_b32 s10, 0x7f800001
	s_xor_b64 s[4:5], exec, -1
; %bb.3435:
	s_or_b64 exec, exec, s[8:9]
	s_and_b64 s[4:5], s[4:5], exec
	s_or_saveexec_b64 s[6:7], s[6:7]
	v_mov_b32_e32 v10, s10
	s_xor_b64 exec, exec, s[6:7]
	s_cbranch_execz .LBB51_1386
.LBB51_3436:
	v_mov_b32_e32 v10, 0
	v_cmp_ne_u16_sdwa s[8:9], v11, v10 src0_sel:BYTE_0 src1_sel:DWORD
	s_andn2_b64 s[4:5], s[4:5], exec
	s_and_b64 s[8:9], s[8:9], exec
	s_or_b64 s[4:5], s[4:5], s[8:9]
	s_or_b64 exec, exec, s[6:7]
	s_and_saveexec_b64 s[6:7], s[4:5]
	s_cbranch_execnz .LBB51_1387
	s_branch .LBB51_1388
.LBB51_3437:
	s_movk_i32 s4, 0x80
	v_cmp_eq_u16_sdwa s[12:13], v11, s4 src0_sel:BYTE_0 src1_sel:DWORD
	s_mov_b64 s[4:5], -1
                                        ; implicit-def: $sgpr10
	s_and_saveexec_b64 s[8:9], s[12:13]
; %bb.3438:
	s_mov_b32 s10, 0x7f800001
	s_xor_b64 s[4:5], exec, -1
; %bb.3439:
	s_or_b64 exec, exec, s[8:9]
	s_and_b64 s[4:5], s[4:5], exec
	s_or_saveexec_b64 s[6:7], s[6:7]
	v_mov_b32_e32 v12, s10
	s_xor_b64 exec, exec, s[6:7]
	s_cbranch_execz .LBB51_1390
.LBB51_3440:
	v_mov_b32_e32 v12, 0
	v_cmp_ne_u16_sdwa s[8:9], v11, v12 src0_sel:BYTE_0 src1_sel:DWORD
	s_andn2_b64 s[4:5], s[4:5], exec
	s_and_b64 s[8:9], s[8:9], exec
	s_or_b64 s[4:5], s[4:5], s[8:9]
	s_or_b64 exec, exec, s[6:7]
	s_and_saveexec_b64 s[6:7], s[4:5]
	s_cbranch_execnz .LBB51_1391
	s_branch .LBB51_1392
.LBB51_3441:
	s_movk_i32 s4, 0x80
	v_cmp_eq_u16_e32 vcc, s4, v11
	s_mov_b64 s[4:5], -1
                                        ; implicit-def: $sgpr10
	s_and_saveexec_b64 s[8:9], vcc
; %bb.3442:
	s_mov_b32 s10, 0x7f800001
	s_xor_b64 s[4:5], exec, -1
; %bb.3443:
	s_or_b64 exec, exec, s[8:9]
	s_and_b64 s[4:5], s[4:5], exec
                                        ; implicit-def: $vgpr11
	s_or_saveexec_b64 s[6:7], s[6:7]
	v_mov_b32_e32 v10, s10
	s_xor_b64 exec, exec, s[6:7]
	s_cbranch_execz .LBB51_1394
.LBB51_3444:
	v_cmp_ne_u16_e32 vcc, 0, v11
	s_andn2_b64 s[4:5], s[4:5], exec
	s_and_b64 s[8:9], vcc, exec
	v_mov_b32_e32 v10, 0
	s_or_b64 s[4:5], s[4:5], s[8:9]
	s_or_b64 exec, exec, s[6:7]
	s_and_saveexec_b64 s[6:7], s[4:5]
	s_cbranch_execnz .LBB51_1395
	s_branch .LBB51_1396
.LBB51_3445:
	s_movk_i32 s4, 0x80
	v_cmp_eq_u16_e32 vcc, s4, v11
	s_mov_b64 s[4:5], -1
                                        ; implicit-def: $sgpr10
	s_and_saveexec_b64 s[8:9], vcc
; %bb.3446:
	s_mov_b32 s10, 0x7f800001
	s_xor_b64 s[4:5], exec, -1
; %bb.3447:
	s_or_b64 exec, exec, s[8:9]
	s_and_b64 s[4:5], s[4:5], exec
                                        ; implicit-def: $vgpr11
	s_or_saveexec_b64 s[6:7], s[6:7]
	v_mov_b32_e32 v12, s10
	s_xor_b64 exec, exec, s[6:7]
	s_cbranch_execz .LBB51_1398
.LBB51_3448:
	v_cmp_ne_u16_e32 vcc, 0, v11
	s_andn2_b64 s[4:5], s[4:5], exec
	s_and_b64 s[8:9], vcc, exec
	v_mov_b32_e32 v12, 0
	s_or_b64 s[4:5], s[4:5], s[8:9]
	s_or_b64 exec, exec, s[6:7]
	s_and_saveexec_b64 s[6:7], s[4:5]
	s_cbranch_execnz .LBB51_1399
	s_branch .LBB51_1400
.LBB51_3449:
	s_movk_i32 s4, 0x80
	v_cmp_eq_u16_sdwa s[12:13], v17, s4 src0_sel:BYTE_3 src1_sel:DWORD
	s_mov_b64 s[4:5], -1
                                        ; implicit-def: $sgpr10
	s_and_saveexec_b64 s[8:9], s[12:13]
; %bb.3450:
	s_mov_b32 s10, 0x7f800001
	s_xor_b64 s[4:5], exec, -1
; %bb.3451:
	s_or_b64 exec, exec, s[8:9]
	s_and_b64 s[4:5], s[4:5], exec
	s_or_saveexec_b64 s[6:7], s[6:7]
	v_mov_b32_e32 v10, s10
	s_xor_b64 exec, exec, s[6:7]
	s_cbranch_execz .LBB51_1402
.LBB51_3452:
	v_mov_b32_e32 v10, 0
	v_cmp_ne_u16_sdwa s[8:9], v17, v10 src0_sel:BYTE_3 src1_sel:DWORD
	s_andn2_b64 s[4:5], s[4:5], exec
	s_and_b64 s[8:9], s[8:9], exec
	s_or_b64 s[4:5], s[4:5], s[8:9]
	s_or_b64 exec, exec, s[6:7]
	s_and_saveexec_b64 s[6:7], s[4:5]
	s_cbranch_execnz .LBB51_1403
	s_branch .LBB51_1404
.LBB51_3453:
	s_movk_i32 s4, 0x80
	v_cmp_eq_u16_sdwa s[12:13], v13, s4 src0_sel:BYTE_3 src1_sel:DWORD
	s_mov_b64 s[4:5], -1
                                        ; implicit-def: $sgpr10
	s_and_saveexec_b64 s[8:9], s[12:13]
; %bb.3454:
	s_mov_b32 s10, 0x7f800001
	s_xor_b64 s[4:5], exec, -1
; %bb.3455:
	s_or_b64 exec, exec, s[8:9]
	s_and_b64 s[4:5], s[4:5], exec
	s_or_saveexec_b64 s[6:7], s[6:7]
	v_mov_b32_e32 v11, s10
	s_xor_b64 exec, exec, s[6:7]
	s_cbranch_execz .LBB51_1406
.LBB51_3456:
	v_mov_b32_e32 v11, 0
	v_cmp_ne_u16_sdwa s[8:9], v13, v11 src0_sel:BYTE_3 src1_sel:DWORD
	s_andn2_b64 s[4:5], s[4:5], exec
	s_and_b64 s[8:9], s[8:9], exec
	s_or_b64 s[4:5], s[4:5], s[8:9]
	s_or_b64 exec, exec, s[6:7]
	s_and_saveexec_b64 s[6:7], s[4:5]
	s_cbranch_execnz .LBB51_1407
	s_branch .LBB51_1408
.LBB51_3457:
	s_movk_i32 s4, 0x80
	v_cmp_eq_u16_sdwa s[12:13], v6, s4 src0_sel:BYTE_0 src1_sel:DWORD
	s_mov_b64 s[4:5], -1
                                        ; implicit-def: $sgpr10
	s_and_saveexec_b64 s[8:9], s[12:13]
; %bb.3458:
	s_mov_b32 s10, 0x7f800001
	s_xor_b64 s[4:5], exec, -1
; %bb.3459:
	s_or_b64 exec, exec, s[8:9]
	s_and_b64 s[4:5], s[4:5], exec
	s_or_saveexec_b64 s[6:7], s[6:7]
	v_mov_b32_e32 v10, s10
	s_xor_b64 exec, exec, s[6:7]
	s_cbranch_execz .LBB51_1410
.LBB51_3460:
	v_mov_b32_e32 v10, 0
	v_cmp_ne_u16_sdwa s[8:9], v6, v10 src0_sel:BYTE_0 src1_sel:DWORD
	s_andn2_b64 s[4:5], s[4:5], exec
	s_and_b64 s[8:9], s[8:9], exec
	s_or_b64 s[4:5], s[4:5], s[8:9]
	s_or_b64 exec, exec, s[6:7]
	s_and_saveexec_b64 s[6:7], s[4:5]
	s_cbranch_execnz .LBB51_1411
	s_branch .LBB51_1412
.LBB51_3461:
	s_movk_i32 s4, 0x80
	v_cmp_eq_u16_sdwa s[12:13], v2, s4 src0_sel:BYTE_0 src1_sel:DWORD
	s_mov_b64 s[4:5], -1
                                        ; implicit-def: $sgpr10
	s_and_saveexec_b64 s[8:9], s[12:13]
; %bb.3462:
	s_mov_b32 s10, 0x7f800001
	s_xor_b64 s[4:5], exec, -1
; %bb.3463:
	s_or_b64 exec, exec, s[8:9]
	s_and_b64 s[4:5], s[4:5], exec
	s_or_saveexec_b64 s[6:7], s[6:7]
	v_mov_b32_e32 v11, s10
	s_xor_b64 exec, exec, s[6:7]
	s_cbranch_execz .LBB51_1414
.LBB51_3464:
	v_mov_b32_e32 v11, 0
	v_cmp_ne_u16_sdwa s[8:9], v2, v11 src0_sel:BYTE_0 src1_sel:DWORD
	s_andn2_b64 s[4:5], s[4:5], exec
	s_and_b64 s[8:9], s[8:9], exec
	s_or_b64 s[4:5], s[4:5], s[8:9]
	s_or_b64 exec, exec, s[6:7]
	s_and_saveexec_b64 s[6:7], s[4:5]
	s_cbranch_execnz .LBB51_1415
	s_branch .LBB51_1416
.LBB51_3465:
	s_movk_i32 s4, 0x80
	v_cmp_eq_u16_sdwa s[12:13], v11, s4 src0_sel:BYTE_0 src1_sel:DWORD
	s_mov_b64 s[4:5], -1
                                        ; implicit-def: $sgpr10
	s_and_saveexec_b64 s[8:9], s[12:13]
; %bb.3466:
	s_mov_b32 s10, 0x7f800001
	s_xor_b64 s[4:5], exec, -1
; %bb.3467:
	s_or_b64 exec, exec, s[8:9]
	s_and_b64 s[4:5], s[4:5], exec
	s_or_saveexec_b64 s[6:7], s[6:7]
	v_mov_b32_e32 v10, s10
	s_xor_b64 exec, exec, s[6:7]
	s_cbranch_execz .LBB51_1418
.LBB51_3468:
	v_mov_b32_e32 v10, 0
	v_cmp_ne_u16_sdwa s[8:9], v11, v10 src0_sel:BYTE_0 src1_sel:DWORD
	s_andn2_b64 s[4:5], s[4:5], exec
	s_and_b64 s[8:9], s[8:9], exec
	s_or_b64 s[4:5], s[4:5], s[8:9]
	s_or_b64 exec, exec, s[6:7]
	s_and_saveexec_b64 s[6:7], s[4:5]
	s_cbranch_execnz .LBB51_1419
	s_branch .LBB51_1420
.LBB51_3469:
	s_movk_i32 s4, 0x80
	v_cmp_eq_u16_sdwa s[12:13], v11, s4 src0_sel:BYTE_0 src1_sel:DWORD
	s_mov_b64 s[4:5], -1
                                        ; implicit-def: $sgpr10
	s_and_saveexec_b64 s[8:9], s[12:13]
; %bb.3470:
	s_mov_b32 s10, 0x7f800001
	s_xor_b64 s[4:5], exec, -1
; %bb.3471:
	s_or_b64 exec, exec, s[8:9]
	s_and_b64 s[4:5], s[4:5], exec
	s_or_saveexec_b64 s[6:7], s[6:7]
	v_mov_b32_e32 v12, s10
	s_xor_b64 exec, exec, s[6:7]
	s_cbranch_execz .LBB51_1422
.LBB51_3472:
	v_mov_b32_e32 v12, 0
	v_cmp_ne_u16_sdwa s[8:9], v11, v12 src0_sel:BYTE_0 src1_sel:DWORD
	s_andn2_b64 s[4:5], s[4:5], exec
	s_and_b64 s[8:9], s[8:9], exec
	s_or_b64 s[4:5], s[4:5], s[8:9]
	s_or_b64 exec, exec, s[6:7]
	s_and_saveexec_b64 s[6:7], s[4:5]
	s_cbranch_execnz .LBB51_1423
	s_branch .LBB51_1424
.LBB51_3473:
	s_movk_i32 s4, 0x80
	v_cmp_eq_u16_e32 vcc, s4, v11
	s_mov_b64 s[4:5], -1
                                        ; implicit-def: $sgpr10
	s_and_saveexec_b64 s[8:9], vcc
; %bb.3474:
	s_mov_b32 s10, 0x7f800001
	s_xor_b64 s[4:5], exec, -1
; %bb.3475:
	s_or_b64 exec, exec, s[8:9]
	s_and_b64 s[4:5], s[4:5], exec
                                        ; implicit-def: $vgpr11
	s_or_saveexec_b64 s[6:7], s[6:7]
	v_mov_b32_e32 v10, s10
	s_xor_b64 exec, exec, s[6:7]
	s_cbranch_execz .LBB51_1426
.LBB51_3476:
	v_cmp_ne_u16_e32 vcc, 0, v11
	s_andn2_b64 s[4:5], s[4:5], exec
	s_and_b64 s[8:9], vcc, exec
	v_mov_b32_e32 v10, 0
	s_or_b64 s[4:5], s[4:5], s[8:9]
	s_or_b64 exec, exec, s[6:7]
	s_and_saveexec_b64 s[6:7], s[4:5]
	s_cbranch_execnz .LBB51_1427
	s_branch .LBB51_1428
.LBB51_3477:
	s_movk_i32 s4, 0x80
	v_cmp_eq_u16_e32 vcc, s4, v11
	s_mov_b64 s[4:5], -1
                                        ; implicit-def: $sgpr10
	s_and_saveexec_b64 s[8:9], vcc
; %bb.3478:
	s_mov_b32 s10, 0x7f800001
	s_xor_b64 s[4:5], exec, -1
; %bb.3479:
	s_or_b64 exec, exec, s[8:9]
	s_and_b64 s[4:5], s[4:5], exec
                                        ; implicit-def: $vgpr11
	s_or_saveexec_b64 s[6:7], s[6:7]
	v_mov_b32_e32 v12, s10
	s_xor_b64 exec, exec, s[6:7]
	s_cbranch_execz .LBB51_1430
.LBB51_3480:
	v_cmp_ne_u16_e32 vcc, 0, v11
	s_andn2_b64 s[4:5], s[4:5], exec
	s_and_b64 s[8:9], vcc, exec
	v_mov_b32_e32 v12, 0
	s_or_b64 s[4:5], s[4:5], s[8:9]
	s_or_b64 exec, exec, s[6:7]
	s_and_saveexec_b64 s[6:7], s[4:5]
	s_cbranch_execnz .LBB51_1431
	s_branch .LBB51_1432
.LBB51_3481:
	s_movk_i32 s4, 0x80
	v_cmp_eq_u16_sdwa s[12:13], v6, s4 src0_sel:BYTE_3 src1_sel:DWORD
	s_mov_b64 s[4:5], -1
                                        ; implicit-def: $sgpr10
	s_and_saveexec_b64 s[8:9], s[12:13]
; %bb.3482:
	s_mov_b32 s10, 0x7f800001
	s_xor_b64 s[4:5], exec, -1
; %bb.3483:
	s_or_b64 exec, exec, s[8:9]
	s_and_b64 s[4:5], s[4:5], exec
	s_or_saveexec_b64 s[6:7], s[6:7]
	v_mov_b32_e32 v10, s10
	s_xor_b64 exec, exec, s[6:7]
	s_cbranch_execz .LBB51_1434
.LBB51_3484:
	v_mov_b32_e32 v10, 0
	v_cmp_ne_u16_sdwa s[8:9], v6, v10 src0_sel:BYTE_3 src1_sel:DWORD
	s_andn2_b64 s[4:5], s[4:5], exec
	s_and_b64 s[8:9], s[8:9], exec
	s_or_b64 s[4:5], s[4:5], s[8:9]
	s_or_b64 exec, exec, s[6:7]
	s_and_saveexec_b64 s[6:7], s[4:5]
	s_cbranch_execnz .LBB51_1435
	s_branch .LBB51_1436
.LBB51_3485:
	s_movk_i32 s4, 0x80
	v_cmp_eq_u16_sdwa s[12:13], v2, s4 src0_sel:BYTE_3 src1_sel:DWORD
	s_mov_b64 s[4:5], -1
                                        ; implicit-def: $sgpr10
	s_and_saveexec_b64 s[8:9], s[12:13]
; %bb.3486:
	s_mov_b32 s10, 0x7f800001
	s_xor_b64 s[4:5], exec, -1
; %bb.3487:
	s_or_b64 exec, exec, s[8:9]
	s_and_b64 s[4:5], s[4:5], exec
	s_or_saveexec_b64 s[6:7], s[6:7]
	v_mov_b32_e32 v6, s10
	s_xor_b64 exec, exec, s[6:7]
	s_cbranch_execz .LBB51_1438
.LBB51_3488:
	v_mov_b32_e32 v6, 0
	v_cmp_ne_u16_sdwa s[8:9], v2, v6 src0_sel:BYTE_3 src1_sel:DWORD
	s_andn2_b64 s[4:5], s[4:5], exec
	s_and_b64 s[8:9], s[8:9], exec
	s_or_b64 s[4:5], s[4:5], s[8:9]
	s_or_b64 exec, exec, s[6:7]
	s_and_saveexec_b64 s[6:7], s[4:5]
	s_cbranch_execnz .LBB51_1439
	s_branch .LBB51_1440
.LBB51_3489:
	s_movk_i32 s4, 0x80
	v_cmp_eq_u16_sdwa s[12:13], v7, s4 src0_sel:BYTE_0 src1_sel:DWORD
	s_mov_b64 s[4:5], -1
                                        ; implicit-def: $sgpr10
	s_and_saveexec_b64 s[8:9], s[12:13]
; %bb.3490:
	s_mov_b32 s10, 0x7f800001
	s_xor_b64 s[4:5], exec, -1
; %bb.3491:
	s_or_b64 exec, exec, s[8:9]
	s_and_b64 s[4:5], s[4:5], exec
	s_or_saveexec_b64 s[6:7], s[6:7]
	v_mov_b32_e32 v2, s10
	s_xor_b64 exec, exec, s[6:7]
	s_cbranch_execz .LBB51_1442
.LBB51_3492:
	v_mov_b32_e32 v2, 0
	v_cmp_ne_u16_sdwa s[8:9], v7, v2 src0_sel:BYTE_0 src1_sel:DWORD
	s_andn2_b64 s[4:5], s[4:5], exec
	s_and_b64 s[8:9], s[8:9], exec
	s_or_b64 s[4:5], s[4:5], s[8:9]
	s_or_b64 exec, exec, s[6:7]
	s_and_saveexec_b64 s[6:7], s[4:5]
	s_cbranch_execnz .LBB51_1443
	s_branch .LBB51_1444
.LBB51_3493:
	s_movk_i32 s4, 0x80
	v_cmp_eq_u16_sdwa s[12:13], v3, s4 src0_sel:BYTE_0 src1_sel:DWORD
	s_mov_b64 s[4:5], -1
                                        ; implicit-def: $sgpr10
	s_and_saveexec_b64 s[8:9], s[12:13]
; %bb.3494:
	s_mov_b32 s10, 0x7f800001
	s_xor_b64 s[4:5], exec, -1
; %bb.3495:
	s_or_b64 exec, exec, s[8:9]
	s_and_b64 s[4:5], s[4:5], exec
	s_or_saveexec_b64 s[6:7], s[6:7]
	v_mov_b32_e32 v6, s10
	s_xor_b64 exec, exec, s[6:7]
	s_cbranch_execz .LBB51_1446
.LBB51_3496:
	v_mov_b32_e32 v6, 0
	v_cmp_ne_u16_sdwa s[8:9], v3, v6 src0_sel:BYTE_0 src1_sel:DWORD
	s_andn2_b64 s[4:5], s[4:5], exec
	s_and_b64 s[8:9], s[8:9], exec
	s_or_b64 s[4:5], s[4:5], s[8:9]
	s_or_b64 exec, exec, s[6:7]
	s_and_saveexec_b64 s[6:7], s[4:5]
	s_cbranch_execnz .LBB51_1447
	s_branch .LBB51_1448
.LBB51_3497:
	s_movk_i32 s4, 0x80
	v_cmp_eq_u16_sdwa s[12:13], v6, s4 src0_sel:BYTE_0 src1_sel:DWORD
	s_mov_b64 s[4:5], -1
                                        ; implicit-def: $sgpr10
	s_and_saveexec_b64 s[8:9], s[12:13]
; %bb.3498:
	s_mov_b32 s10, 0x7f800001
	s_xor_b64 s[4:5], exec, -1
; %bb.3499:
	s_or_b64 exec, exec, s[8:9]
	s_and_b64 s[4:5], s[4:5], exec
	s_or_saveexec_b64 s[6:7], s[6:7]
	v_mov_b32_e32 v2, s10
	s_xor_b64 exec, exec, s[6:7]
	s_cbranch_execz .LBB51_1450
.LBB51_3500:
	v_mov_b32_e32 v2, 0
	v_cmp_ne_u16_sdwa s[8:9], v6, v2 src0_sel:BYTE_0 src1_sel:DWORD
	s_andn2_b64 s[4:5], s[4:5], exec
	s_and_b64 s[8:9], s[8:9], exec
	s_or_b64 s[4:5], s[4:5], s[8:9]
	s_or_b64 exec, exec, s[6:7]
	s_and_saveexec_b64 s[6:7], s[4:5]
	s_cbranch_execnz .LBB51_1451
	s_branch .LBB51_1452
.LBB51_3501:
	s_movk_i32 s4, 0x80
	v_cmp_eq_u16_sdwa s[12:13], v6, s4 src0_sel:BYTE_0 src1_sel:DWORD
	s_mov_b64 s[4:5], -1
                                        ; implicit-def: $sgpr10
	s_and_saveexec_b64 s[8:9], s[12:13]
; %bb.3502:
	s_mov_b32 s10, 0x7f800001
	s_xor_b64 s[4:5], exec, -1
; %bb.3503:
	s_or_b64 exec, exec, s[8:9]
	s_and_b64 s[4:5], s[4:5], exec
	s_or_saveexec_b64 s[6:7], s[6:7]
	v_mov_b32_e32 v10, s10
	s_xor_b64 exec, exec, s[6:7]
	s_cbranch_execz .LBB51_1454
.LBB51_3504:
	v_mov_b32_e32 v10, 0
	v_cmp_ne_u16_sdwa s[8:9], v6, v10 src0_sel:BYTE_0 src1_sel:DWORD
	s_andn2_b64 s[4:5], s[4:5], exec
	s_and_b64 s[8:9], s[8:9], exec
	s_or_b64 s[4:5], s[4:5], s[8:9]
	s_or_b64 exec, exec, s[6:7]
	s_and_saveexec_b64 s[6:7], s[4:5]
	s_cbranch_execnz .LBB51_1455
	s_branch .LBB51_1456
.LBB51_3505:
	s_movk_i32 s4, 0x80
	v_cmp_eq_u16_e32 vcc, s4, v6
	s_mov_b64 s[4:5], -1
                                        ; implicit-def: $sgpr10
	s_and_saveexec_b64 s[8:9], vcc
; %bb.3506:
	s_mov_b32 s10, 0x7f800001
	s_xor_b64 s[4:5], exec, -1
; %bb.3507:
	s_or_b64 exec, exec, s[8:9]
	s_and_b64 s[4:5], s[4:5], exec
                                        ; implicit-def: $vgpr6
	s_or_saveexec_b64 s[6:7], s[6:7]
	v_mov_b32_e32 v2, s10
	s_xor_b64 exec, exec, s[6:7]
	s_cbranch_execz .LBB51_1458
.LBB51_3508:
	v_cmp_ne_u16_e32 vcc, 0, v6
	s_andn2_b64 s[4:5], s[4:5], exec
	s_and_b64 s[8:9], vcc, exec
	v_mov_b32_e32 v2, 0
	s_or_b64 s[4:5], s[4:5], s[8:9]
	s_or_b64 exec, exec, s[6:7]
	s_and_saveexec_b64 s[6:7], s[4:5]
	s_cbranch_execnz .LBB51_1459
	s_branch .LBB51_1460
.LBB51_3509:
	s_movk_i32 s4, 0x80
	v_cmp_eq_u16_e32 vcc, s4, v6
	s_mov_b64 s[4:5], -1
                                        ; implicit-def: $sgpr10
	s_and_saveexec_b64 s[8:9], vcc
; %bb.3510:
	s_mov_b32 s10, 0x7f800001
	s_xor_b64 s[4:5], exec, -1
; %bb.3511:
	s_or_b64 exec, exec, s[8:9]
	s_and_b64 s[4:5], s[4:5], exec
                                        ; implicit-def: $vgpr6
	s_or_saveexec_b64 s[6:7], s[6:7]
	v_mov_b32_e32 v10, s10
	s_xor_b64 exec, exec, s[6:7]
	s_cbranch_execz .LBB51_1462
.LBB51_3512:
	v_cmp_ne_u16_e32 vcc, 0, v6
	s_andn2_b64 s[4:5], s[4:5], exec
	s_and_b64 s[8:9], vcc, exec
	v_mov_b32_e32 v10, 0
	s_or_b64 s[4:5], s[4:5], s[8:9]
	s_or_b64 exec, exec, s[6:7]
	s_and_saveexec_b64 s[6:7], s[4:5]
	s_cbranch_execnz .LBB51_1463
	s_branch .LBB51_1464
.LBB51_3513:
	s_movk_i32 s4, 0x80
	v_cmp_eq_u16_sdwa s[12:13], v7, s4 src0_sel:BYTE_3 src1_sel:DWORD
	s_mov_b64 s[4:5], -1
                                        ; implicit-def: $sgpr10
	s_and_saveexec_b64 s[8:9], s[12:13]
; %bb.3514:
	s_mov_b32 s10, 0x7f800001
	s_xor_b64 s[4:5], exec, -1
; %bb.3515:
	s_or_b64 exec, exec, s[8:9]
	s_and_b64 s[4:5], s[4:5], exec
	s_or_saveexec_b64 s[6:7], s[6:7]
	v_mov_b32_e32 v2, s10
	s_xor_b64 exec, exec, s[6:7]
	s_cbranch_execz .LBB51_1466
.LBB51_3516:
	v_mov_b32_e32 v2, 0
	v_cmp_ne_u16_sdwa s[8:9], v7, v2 src0_sel:BYTE_3 src1_sel:DWORD
	s_andn2_b64 s[4:5], s[4:5], exec
	s_and_b64 s[8:9], s[8:9], exec
	s_or_b64 s[4:5], s[4:5], s[8:9]
	s_or_b64 exec, exec, s[6:7]
	s_and_saveexec_b64 s[6:7], s[4:5]
	s_cbranch_execnz .LBB51_1467
	s_branch .LBB51_1468
.LBB51_3517:
	s_movk_i32 s4, 0x80
	v_cmp_eq_u16_sdwa s[12:13], v3, s4 src0_sel:BYTE_3 src1_sel:DWORD
	s_mov_b64 s[4:5], -1
                                        ; implicit-def: $sgpr10
	s_and_saveexec_b64 s[8:9], s[12:13]
; %bb.3518:
	s_mov_b32 s10, 0x7f800001
	s_xor_b64 s[4:5], exec, -1
; %bb.3519:
	s_or_b64 exec, exec, s[8:9]
	s_and_b64 s[4:5], s[4:5], exec
	s_or_saveexec_b64 s[6:7], s[6:7]
	v_mov_b32_e32 v6, s10
	s_xor_b64 exec, exec, s[6:7]
	s_cbranch_execz .LBB51_1470
.LBB51_3520:
	v_mov_b32_e32 v6, 0
	v_cmp_ne_u16_sdwa s[8:9], v3, v6 src0_sel:BYTE_3 src1_sel:DWORD
	s_andn2_b64 s[4:5], s[4:5], exec
	s_and_b64 s[8:9], s[8:9], exec
	s_or_b64 s[4:5], s[4:5], s[8:9]
	s_or_b64 exec, exec, s[6:7]
	s_and_saveexec_b64 s[6:7], s[4:5]
	s_cbranch_execnz .LBB51_1471
	s_branch .LBB51_1472
.LBB51_3521:
	s_movk_i32 s4, 0x80
	v_cmp_eq_u16_sdwa s[12:13], v8, s4 src0_sel:BYTE_0 src1_sel:DWORD
	s_mov_b64 s[4:5], -1
                                        ; implicit-def: $sgpr10
	s_and_saveexec_b64 s[8:9], s[12:13]
; %bb.3522:
	s_mov_b32 s10, 0x7f800001
	s_xor_b64 s[4:5], exec, -1
; %bb.3523:
	s_or_b64 exec, exec, s[8:9]
	s_and_b64 s[4:5], s[4:5], exec
	s_or_saveexec_b64 s[6:7], s[6:7]
	v_mov_b32_e32 v2, s10
	s_xor_b64 exec, exec, s[6:7]
	s_cbranch_execz .LBB51_1474
.LBB51_3524:
	v_mov_b32_e32 v2, 0
	v_cmp_ne_u16_sdwa s[8:9], v8, v2 src0_sel:BYTE_0 src1_sel:DWORD
	s_andn2_b64 s[4:5], s[4:5], exec
	s_and_b64 s[8:9], s[8:9], exec
	s_or_b64 s[4:5], s[4:5], s[8:9]
	s_or_b64 exec, exec, s[6:7]
	s_and_saveexec_b64 s[6:7], s[4:5]
	s_cbranch_execnz .LBB51_1475
	s_branch .LBB51_1476
.LBB51_3525:
	s_movk_i32 s4, 0x80
	v_cmp_eq_u16_sdwa s[12:13], v4, s4 src0_sel:BYTE_0 src1_sel:DWORD
	s_mov_b64 s[4:5], -1
                                        ; implicit-def: $sgpr10
	s_and_saveexec_b64 s[8:9], s[12:13]
; %bb.3526:
	s_mov_b32 s10, 0x7f800001
	s_xor_b64 s[4:5], exec, -1
; %bb.3527:
	s_or_b64 exec, exec, s[8:9]
	s_and_b64 s[4:5], s[4:5], exec
	s_or_saveexec_b64 s[6:7], s[6:7]
	v_mov_b32_e32 v3, s10
	s_xor_b64 exec, exec, s[6:7]
	s_cbranch_execz .LBB51_1478
.LBB51_3528:
	v_mov_b32_e32 v3, 0
	v_cmp_ne_u16_sdwa s[8:9], v4, v3 src0_sel:BYTE_0 src1_sel:DWORD
	s_andn2_b64 s[4:5], s[4:5], exec
	s_and_b64 s[8:9], s[8:9], exec
	s_or_b64 s[4:5], s[4:5], s[8:9]
	s_or_b64 exec, exec, s[6:7]
	s_and_saveexec_b64 s[6:7], s[4:5]
	s_cbranch_execnz .LBB51_1479
	s_branch .LBB51_1480
.LBB51_3529:
	s_movk_i32 s4, 0x80
	v_cmp_eq_u16_sdwa s[12:13], v3, s4 src0_sel:BYTE_0 src1_sel:DWORD
	s_mov_b64 s[4:5], -1
                                        ; implicit-def: $sgpr10
	s_and_saveexec_b64 s[8:9], s[12:13]
; %bb.3530:
	s_mov_b32 s10, 0x7f800001
	s_xor_b64 s[4:5], exec, -1
; %bb.3531:
	s_or_b64 exec, exec, s[8:9]
	s_and_b64 s[4:5], s[4:5], exec
	s_or_saveexec_b64 s[6:7], s[6:7]
	v_mov_b32_e32 v2, s10
	s_xor_b64 exec, exec, s[6:7]
	s_cbranch_execz .LBB51_1482
.LBB51_3532:
	v_mov_b32_e32 v2, 0
	v_cmp_ne_u16_sdwa s[8:9], v3, v2 src0_sel:BYTE_0 src1_sel:DWORD
	s_andn2_b64 s[4:5], s[4:5], exec
	s_and_b64 s[8:9], s[8:9], exec
	s_or_b64 s[4:5], s[4:5], s[8:9]
	s_or_b64 exec, exec, s[6:7]
	s_and_saveexec_b64 s[6:7], s[4:5]
	s_cbranch_execnz .LBB51_1483
	s_branch .LBB51_1484
.LBB51_3533:
	s_movk_i32 s4, 0x80
	v_cmp_eq_u16_sdwa s[12:13], v3, s4 src0_sel:BYTE_0 src1_sel:DWORD
	s_mov_b64 s[4:5], -1
                                        ; implicit-def: $sgpr10
	s_and_saveexec_b64 s[8:9], s[12:13]
; %bb.3534:
	s_mov_b32 s10, 0x7f800001
	s_xor_b64 s[4:5], exec, -1
; %bb.3535:
	s_or_b64 exec, exec, s[8:9]
	s_and_b64 s[4:5], s[4:5], exec
	s_or_saveexec_b64 s[6:7], s[6:7]
	v_mov_b32_e32 v6, s10
	s_xor_b64 exec, exec, s[6:7]
	s_cbranch_execz .LBB51_1486
.LBB51_3536:
	v_mov_b32_e32 v6, 0
	v_cmp_ne_u16_sdwa s[8:9], v3, v6 src0_sel:BYTE_0 src1_sel:DWORD
	s_andn2_b64 s[4:5], s[4:5], exec
	s_and_b64 s[8:9], s[8:9], exec
	s_or_b64 s[4:5], s[4:5], s[8:9]
	s_or_b64 exec, exec, s[6:7]
	s_and_saveexec_b64 s[6:7], s[4:5]
	s_cbranch_execnz .LBB51_1487
	s_branch .LBB51_1488
.LBB51_3537:
	s_movk_i32 s4, 0x80
	v_cmp_eq_u16_e32 vcc, s4, v3
	s_mov_b64 s[4:5], -1
                                        ; implicit-def: $sgpr10
	s_and_saveexec_b64 s[8:9], vcc
; %bb.3538:
	s_mov_b32 s10, 0x7f800001
	s_xor_b64 s[4:5], exec, -1
; %bb.3539:
	s_or_b64 exec, exec, s[8:9]
	s_and_b64 s[4:5], s[4:5], exec
                                        ; implicit-def: $vgpr3
	s_or_saveexec_b64 s[6:7], s[6:7]
	v_mov_b32_e32 v2, s10
	s_xor_b64 exec, exec, s[6:7]
	s_cbranch_execz .LBB51_1490
.LBB51_3540:
	v_cmp_ne_u16_e32 vcc, 0, v3
	s_andn2_b64 s[4:5], s[4:5], exec
	s_and_b64 s[8:9], vcc, exec
	v_mov_b32_e32 v2, 0
	s_or_b64 s[4:5], s[4:5], s[8:9]
	s_or_b64 exec, exec, s[6:7]
	s_and_saveexec_b64 s[6:7], s[4:5]
	s_cbranch_execnz .LBB51_1491
	s_branch .LBB51_1492
.LBB51_3541:
	s_movk_i32 s4, 0x80
	v_cmp_eq_u16_e32 vcc, s4, v3
	s_mov_b64 s[4:5], -1
                                        ; implicit-def: $sgpr10
	s_and_saveexec_b64 s[8:9], vcc
; %bb.3542:
	s_mov_b32 s10, 0x7f800001
	s_xor_b64 s[4:5], exec, -1
; %bb.3543:
	s_or_b64 exec, exec, s[8:9]
	s_and_b64 s[4:5], s[4:5], exec
                                        ; implicit-def: $vgpr3
	s_or_saveexec_b64 s[6:7], s[6:7]
	v_mov_b32_e32 v6, s10
	s_xor_b64 exec, exec, s[6:7]
	s_cbranch_execz .LBB51_1494
.LBB51_3544:
	v_cmp_ne_u16_e32 vcc, 0, v3
	s_andn2_b64 s[4:5], s[4:5], exec
	s_and_b64 s[8:9], vcc, exec
	v_mov_b32_e32 v6, 0
	s_or_b64 s[4:5], s[4:5], s[8:9]
	s_or_b64 exec, exec, s[6:7]
	s_and_saveexec_b64 s[6:7], s[4:5]
	s_cbranch_execnz .LBB51_1495
	s_branch .LBB51_1496
.LBB51_3545:
	s_movk_i32 s4, 0x80
	v_cmp_eq_u16_sdwa s[12:13], v8, s4 src0_sel:BYTE_3 src1_sel:DWORD
	s_mov_b64 s[4:5], -1
                                        ; implicit-def: $sgpr10
	s_and_saveexec_b64 s[8:9], s[12:13]
; %bb.3546:
	s_mov_b32 s10, 0x7f800001
	s_xor_b64 s[4:5], exec, -1
; %bb.3547:
	s_or_b64 exec, exec, s[8:9]
	s_and_b64 s[4:5], s[4:5], exec
	s_or_saveexec_b64 s[6:7], s[6:7]
	v_mov_b32_e32 v2, s10
	s_xor_b64 exec, exec, s[6:7]
	s_cbranch_execz .LBB51_1498
.LBB51_3548:
	v_mov_b32_e32 v2, 0
	v_cmp_ne_u16_sdwa s[8:9], v8, v2 src0_sel:BYTE_3 src1_sel:DWORD
	s_andn2_b64 s[4:5], s[4:5], exec
	s_and_b64 s[8:9], s[8:9], exec
	s_or_b64 s[4:5], s[4:5], s[8:9]
	s_or_b64 exec, exec, s[6:7]
	s_and_saveexec_b64 s[6:7], s[4:5]
	s_cbranch_execnz .LBB51_1499
	s_branch .LBB51_1500
.LBB51_3549:
	s_movk_i32 s4, 0x80
	v_cmp_eq_u16_sdwa s[12:13], v4, s4 src0_sel:BYTE_3 src1_sel:DWORD
	s_mov_b64 s[4:5], -1
                                        ; implicit-def: $sgpr10
	s_and_saveexec_b64 s[8:9], s[12:13]
; %bb.3550:
	s_mov_b32 s10, 0x7f800001
	s_xor_b64 s[4:5], exec, -1
; %bb.3551:
	s_or_b64 exec, exec, s[8:9]
	s_and_b64 s[4:5], s[4:5], exec
	s_or_saveexec_b64 s[6:7], s[6:7]
	v_mov_b32_e32 v3, s10
	s_xor_b64 exec, exec, s[6:7]
	s_cbranch_execz .LBB51_1502
.LBB51_3552:
	v_mov_b32_e32 v3, 0
	v_cmp_ne_u16_sdwa s[8:9], v4, v3 src0_sel:BYTE_3 src1_sel:DWORD
	s_andn2_b64 s[4:5], s[4:5], exec
	s_and_b64 s[8:9], s[8:9], exec
	s_or_b64 s[4:5], s[4:5], s[8:9]
	s_or_b64 exec, exec, s[6:7]
	s_and_saveexec_b64 s[6:7], s[4:5]
	s_cbranch_execnz .LBB51_1503
	s_branch .LBB51_1504
.LBB51_3553:
	s_movk_i32 s4, 0x80
	v_cmp_eq_u16_sdwa s[12:13], v9, s4 src0_sel:BYTE_0 src1_sel:DWORD
	s_mov_b64 s[4:5], -1
                                        ; implicit-def: $sgpr10
	s_and_saveexec_b64 s[8:9], s[12:13]
; %bb.3554:
	s_mov_b32 s10, 0x7f800001
	s_xor_b64 s[4:5], exec, -1
; %bb.3555:
	s_or_b64 exec, exec, s[8:9]
	s_and_b64 s[4:5], s[4:5], exec
	s_or_saveexec_b64 s[6:7], s[6:7]
	v_mov_b32_e32 v2, s10
	s_xor_b64 exec, exec, s[6:7]
	s_cbranch_execz .LBB51_1506
.LBB51_3556:
	v_mov_b32_e32 v2, 0
	v_cmp_ne_u16_sdwa s[8:9], v9, v2 src0_sel:BYTE_0 src1_sel:DWORD
	s_andn2_b64 s[4:5], s[4:5], exec
	s_and_b64 s[8:9], s[8:9], exec
	s_or_b64 s[4:5], s[4:5], s[8:9]
	s_or_b64 exec, exec, s[6:7]
	s_and_saveexec_b64 s[6:7], s[4:5]
	s_cbranch_execnz .LBB51_1507
	s_branch .LBB51_1508
.LBB51_3557:
	s_movk_i32 s4, 0x80
	v_cmp_eq_u16_sdwa s[12:13], v5, s4 src0_sel:BYTE_0 src1_sel:DWORD
	s_mov_b64 s[4:5], -1
                                        ; implicit-def: $sgpr10
	s_and_saveexec_b64 s[8:9], s[12:13]
; %bb.3558:
	s_mov_b32 s10, 0x7f800001
	s_xor_b64 s[4:5], exec, -1
; %bb.3559:
	s_or_b64 exec, exec, s[8:9]
	s_and_b64 s[4:5], s[4:5], exec
	s_or_saveexec_b64 s[6:7], s[6:7]
	v_mov_b32_e32 v3, s10
	s_xor_b64 exec, exec, s[6:7]
	s_cbranch_execz .LBB51_1510
.LBB51_3560:
	v_mov_b32_e32 v3, 0
	v_cmp_ne_u16_sdwa s[8:9], v5, v3 src0_sel:BYTE_0 src1_sel:DWORD
	s_andn2_b64 s[4:5], s[4:5], exec
	s_and_b64 s[8:9], s[8:9], exec
	s_or_b64 s[4:5], s[4:5], s[8:9]
	s_or_b64 exec, exec, s[6:7]
	s_and_saveexec_b64 s[6:7], s[4:5]
	s_cbranch_execnz .LBB51_1511
	s_branch .LBB51_1512
.LBB51_3561:
	s_movk_i32 s4, 0x80
	v_cmp_eq_u16_sdwa s[12:13], v3, s4 src0_sel:BYTE_0 src1_sel:DWORD
	s_mov_b64 s[4:5], -1
                                        ; implicit-def: $sgpr10
	s_and_saveexec_b64 s[8:9], s[12:13]
; %bb.3562:
	s_mov_b32 s10, 0x7f800001
	s_xor_b64 s[4:5], exec, -1
; %bb.3563:
	s_or_b64 exec, exec, s[8:9]
	s_and_b64 s[4:5], s[4:5], exec
	s_or_saveexec_b64 s[6:7], s[6:7]
	v_mov_b32_e32 v2, s10
	s_xor_b64 exec, exec, s[6:7]
	s_cbranch_execz .LBB51_1514
.LBB51_3564:
	v_mov_b32_e32 v2, 0
	v_cmp_ne_u16_sdwa s[8:9], v3, v2 src0_sel:BYTE_0 src1_sel:DWORD
	s_andn2_b64 s[4:5], s[4:5], exec
	s_and_b64 s[8:9], s[8:9], exec
	s_or_b64 s[4:5], s[4:5], s[8:9]
	s_or_b64 exec, exec, s[6:7]
	s_and_saveexec_b64 s[6:7], s[4:5]
	s_cbranch_execnz .LBB51_1515
	s_branch .LBB51_1516
.LBB51_3565:
	s_movk_i32 s4, 0x80
	v_cmp_eq_u16_sdwa s[12:13], v3, s4 src0_sel:BYTE_0 src1_sel:DWORD
	s_mov_b64 s[4:5], -1
                                        ; implicit-def: $sgpr10
	s_and_saveexec_b64 s[8:9], s[12:13]
; %bb.3566:
	s_mov_b32 s10, 0x7f800001
	s_xor_b64 s[4:5], exec, -1
; %bb.3567:
	s_or_b64 exec, exec, s[8:9]
	s_and_b64 s[4:5], s[4:5], exec
	s_or_saveexec_b64 s[6:7], s[6:7]
	v_mov_b32_e32 v4, s10
	s_xor_b64 exec, exec, s[6:7]
	s_cbranch_execz .LBB51_1518
.LBB51_3568:
	v_mov_b32_e32 v4, 0
	v_cmp_ne_u16_sdwa s[8:9], v3, v4 src0_sel:BYTE_0 src1_sel:DWORD
	s_andn2_b64 s[4:5], s[4:5], exec
	s_and_b64 s[8:9], s[8:9], exec
	s_or_b64 s[4:5], s[4:5], s[8:9]
	s_or_b64 exec, exec, s[6:7]
	s_and_saveexec_b64 s[6:7], s[4:5]
	s_cbranch_execnz .LBB51_1519
	s_branch .LBB51_1520
.LBB51_3569:
	s_movk_i32 s4, 0x80
	v_cmp_eq_u16_e32 vcc, s4, v3
	s_mov_b64 s[4:5], -1
                                        ; implicit-def: $sgpr10
	s_and_saveexec_b64 s[8:9], vcc
; %bb.3570:
	s_mov_b32 s10, 0x7f800001
	s_xor_b64 s[4:5], exec, -1
; %bb.3571:
	s_or_b64 exec, exec, s[8:9]
	s_and_b64 s[4:5], s[4:5], exec
                                        ; implicit-def: $vgpr3
	s_or_saveexec_b64 s[6:7], s[6:7]
	v_mov_b32_e32 v2, s10
	s_xor_b64 exec, exec, s[6:7]
	s_cbranch_execz .LBB51_1522
.LBB51_3572:
	v_cmp_ne_u16_e32 vcc, 0, v3
	s_andn2_b64 s[4:5], s[4:5], exec
	s_and_b64 s[8:9], vcc, exec
	v_mov_b32_e32 v2, 0
	s_or_b64 s[4:5], s[4:5], s[8:9]
	s_or_b64 exec, exec, s[6:7]
	s_and_saveexec_b64 s[6:7], s[4:5]
	s_cbranch_execnz .LBB51_1523
	s_branch .LBB51_1524
.LBB51_3573:
	s_movk_i32 s4, 0x80
	v_cmp_eq_u16_e32 vcc, s4, v3
	s_mov_b64 s[4:5], -1
                                        ; implicit-def: $sgpr10
	s_and_saveexec_b64 s[8:9], vcc
; %bb.3574:
	s_mov_b32 s10, 0x7f800001
	s_xor_b64 s[4:5], exec, -1
; %bb.3575:
	s_or_b64 exec, exec, s[8:9]
	s_and_b64 s[4:5], s[4:5], exec
                                        ; implicit-def: $vgpr3
	s_or_saveexec_b64 s[6:7], s[6:7]
	v_mov_b32_e32 v4, s10
	s_xor_b64 exec, exec, s[6:7]
	s_cbranch_execz .LBB51_1526
.LBB51_3576:
	v_cmp_ne_u16_e32 vcc, 0, v3
	s_andn2_b64 s[4:5], s[4:5], exec
	s_and_b64 s[8:9], vcc, exec
	v_mov_b32_e32 v4, 0
	s_or_b64 s[4:5], s[4:5], s[8:9]
	s_or_b64 exec, exec, s[6:7]
	s_and_saveexec_b64 s[6:7], s[4:5]
	s_cbranch_execnz .LBB51_1527
	s_branch .LBB51_1528
.LBB51_3577:
	s_movk_i32 s4, 0x80
	v_cmp_eq_u16_sdwa s[12:13], v9, s4 src0_sel:BYTE_3 src1_sel:DWORD
	s_mov_b64 s[4:5], -1
                                        ; implicit-def: $sgpr10
	s_and_saveexec_b64 s[8:9], s[12:13]
; %bb.3578:
	s_mov_b32 s10, 0x7f800001
	s_xor_b64 s[4:5], exec, -1
; %bb.3579:
	s_or_b64 exec, exec, s[8:9]
	s_and_b64 s[4:5], s[4:5], exec
	s_or_saveexec_b64 s[6:7], s[6:7]
	v_mov_b32_e32 v2, s10
	s_xor_b64 exec, exec, s[6:7]
	s_cbranch_execz .LBB51_1530
.LBB51_3580:
	v_mov_b32_e32 v2, 0
	v_cmp_ne_u16_sdwa s[8:9], v9, v2 src0_sel:BYTE_3 src1_sel:DWORD
	s_andn2_b64 s[4:5], s[4:5], exec
	s_and_b64 s[8:9], s[8:9], exec
	s_or_b64 s[4:5], s[4:5], s[8:9]
	s_or_b64 exec, exec, s[6:7]
	s_and_saveexec_b64 s[6:7], s[4:5]
	s_cbranch_execnz .LBB51_1531
	s_branch .LBB51_1532
.LBB51_3581:
	s_movk_i32 s4, 0x80
	v_cmp_eq_u16_sdwa s[12:13], v5, s4 src0_sel:BYTE_3 src1_sel:DWORD
	s_mov_b64 s[4:5], -1
                                        ; implicit-def: $sgpr10
	s_and_saveexec_b64 s[8:9], s[12:13]
; %bb.3582:
	s_mov_b32 s10, 0x7f800001
	s_xor_b64 s[4:5], exec, -1
; %bb.3583:
	s_or_b64 exec, exec, s[8:9]
	s_and_b64 s[4:5], s[4:5], exec
	s_or_saveexec_b64 s[6:7], s[6:7]
	v_mov_b32_e32 v3, s10
	s_xor_b64 exec, exec, s[6:7]
	s_cbranch_execz .LBB51_1534
.LBB51_3584:
	v_mov_b32_e32 v3, 0
	v_cmp_ne_u16_sdwa s[8:9], v5, v3 src0_sel:BYTE_3 src1_sel:DWORD
	s_andn2_b64 s[4:5], s[4:5], exec
	s_and_b64 s[8:9], s[8:9], exec
	s_or_b64 s[4:5], s[4:5], s[8:9]
	s_or_b64 exec, exec, s[6:7]
	s_and_saveexec_b64 s[6:7], s[4:5]
	s_cbranch_execnz .LBB51_1535
	s_branch .LBB51_1536
.LBB51_3585:
	s_movk_i32 s4, 0x80
	v_cmp_eq_u16_sdwa s[12:13], v14, s4 src0_sel:BYTE_0 src1_sel:DWORD
	s_mov_b64 s[4:5], -1
                                        ; implicit-def: $sgpr10
	s_and_saveexec_b64 s[8:9], s[12:13]
; %bb.3586:
	s_mov_b32 s10, 0x7f800001
	s_xor_b64 s[4:5], exec, -1
; %bb.3587:
	s_or_b64 exec, exec, s[8:9]
	s_and_b64 s[4:5], s[4:5], exec
	s_or_saveexec_b64 s[6:7], s[6:7]
	v_mov_b32_e32 v20, s10
	s_xor_b64 exec, exec, s[6:7]
	s_cbranch_execz .LBB51_1538
.LBB51_3588:
	v_mov_b32_e32 v20, 0
	v_cmp_ne_u16_sdwa s[8:9], v14, v20 src0_sel:BYTE_0 src1_sel:DWORD
	s_andn2_b64 s[4:5], s[4:5], exec
	s_and_b64 s[8:9], s[8:9], exec
	s_or_b64 s[4:5], s[4:5], s[8:9]
	s_or_b64 exec, exec, s[6:7]
	s_and_saveexec_b64 s[6:7], s[4:5]
	s_cbranch_execnz .LBB51_1539
	s_branch .LBB51_1540
.LBB51_3589:
	s_movk_i32 s4, 0x80
	v_cmp_eq_u16_sdwa s[12:13], v10, s4 src0_sel:BYTE_0 src1_sel:DWORD
	s_mov_b64 s[4:5], -1
                                        ; implicit-def: $sgpr10
	s_and_saveexec_b64 s[8:9], s[12:13]
; %bb.3590:
	s_mov_b32 s10, 0x7f800001
	s_xor_b64 s[4:5], exec, -1
; %bb.3591:
	s_or_b64 exec, exec, s[8:9]
	s_and_b64 s[4:5], s[4:5], exec
	s_or_saveexec_b64 s[6:7], s[6:7]
	v_mov_b32_e32 v21, s10
	s_xor_b64 exec, exec, s[6:7]
	s_cbranch_execz .LBB51_1542
.LBB51_3592:
	v_mov_b32_e32 v21, 0
	v_cmp_ne_u16_sdwa s[8:9], v10, v21 src0_sel:BYTE_0 src1_sel:DWORD
	s_andn2_b64 s[4:5], s[4:5], exec
	s_and_b64 s[8:9], s[8:9], exec
	s_or_b64 s[4:5], s[4:5], s[8:9]
	s_or_b64 exec, exec, s[6:7]
	s_and_saveexec_b64 s[6:7], s[4:5]
	s_cbranch_execnz .LBB51_1543
	s_branch .LBB51_1544
.LBB51_3593:
	s_movk_i32 s4, 0x80
	v_cmp_eq_u16_sdwa s[12:13], v21, s4 src0_sel:BYTE_0 src1_sel:DWORD
	s_mov_b64 s[4:5], -1
                                        ; implicit-def: $sgpr10
	s_and_saveexec_b64 s[8:9], s[12:13]
; %bb.3594:
	s_mov_b32 s10, 0x7f800001
	s_xor_b64 s[4:5], exec, -1
; %bb.3595:
	s_or_b64 exec, exec, s[8:9]
	s_and_b64 s[4:5], s[4:5], exec
	s_or_saveexec_b64 s[6:7], s[6:7]
	v_mov_b32_e32 v20, s10
	s_xor_b64 exec, exec, s[6:7]
	s_cbranch_execz .LBB51_1546
.LBB51_3596:
	v_mov_b32_e32 v20, 0
	v_cmp_ne_u16_sdwa s[8:9], v21, v20 src0_sel:BYTE_0 src1_sel:DWORD
	s_andn2_b64 s[4:5], s[4:5], exec
	s_and_b64 s[8:9], s[8:9], exec
	s_or_b64 s[4:5], s[4:5], s[8:9]
	s_or_b64 exec, exec, s[6:7]
	s_and_saveexec_b64 s[6:7], s[4:5]
	s_cbranch_execnz .LBB51_1547
	s_branch .LBB51_1548
.LBB51_3597:
	s_movk_i32 s4, 0x80
	v_cmp_eq_u16_sdwa s[12:13], v21, s4 src0_sel:BYTE_0 src1_sel:DWORD
	s_mov_b64 s[4:5], -1
                                        ; implicit-def: $sgpr10
	s_and_saveexec_b64 s[8:9], s[12:13]
; %bb.3598:
	s_mov_b32 s10, 0x7f800001
	s_xor_b64 s[4:5], exec, -1
; %bb.3599:
	s_or_b64 exec, exec, s[8:9]
	s_and_b64 s[4:5], s[4:5], exec
	s_or_saveexec_b64 s[6:7], s[6:7]
	v_mov_b32_e32 v22, s10
	s_xor_b64 exec, exec, s[6:7]
	s_cbranch_execz .LBB51_1550
.LBB51_3600:
	v_mov_b32_e32 v22, 0
	v_cmp_ne_u16_sdwa s[8:9], v21, v22 src0_sel:BYTE_0 src1_sel:DWORD
	s_andn2_b64 s[4:5], s[4:5], exec
	s_and_b64 s[8:9], s[8:9], exec
	s_or_b64 s[4:5], s[4:5], s[8:9]
	s_or_b64 exec, exec, s[6:7]
	s_and_saveexec_b64 s[6:7], s[4:5]
	s_cbranch_execnz .LBB51_1551
	s_branch .LBB51_1552
.LBB51_3601:
	s_movk_i32 s4, 0x80
	v_cmp_eq_u16_e32 vcc, s4, v21
	s_mov_b64 s[4:5], -1
                                        ; implicit-def: $sgpr10
	s_and_saveexec_b64 s[8:9], vcc
; %bb.3602:
	s_mov_b32 s10, 0x7f800001
	s_xor_b64 s[4:5], exec, -1
; %bb.3603:
	s_or_b64 exec, exec, s[8:9]
	s_and_b64 s[4:5], s[4:5], exec
                                        ; implicit-def: $vgpr21
	s_or_saveexec_b64 s[6:7], s[6:7]
	v_mov_b32_e32 v20, s10
	s_xor_b64 exec, exec, s[6:7]
	s_cbranch_execz .LBB51_1554
.LBB51_3604:
	v_cmp_ne_u16_e32 vcc, 0, v21
	s_andn2_b64 s[4:5], s[4:5], exec
	s_and_b64 s[8:9], vcc, exec
	v_mov_b32_e32 v20, 0
	s_or_b64 s[4:5], s[4:5], s[8:9]
	s_or_b64 exec, exec, s[6:7]
	s_and_saveexec_b64 s[6:7], s[4:5]
	s_cbranch_execnz .LBB51_1555
	s_branch .LBB51_1556
.LBB51_3605:
	s_movk_i32 s4, 0x80
	v_cmp_eq_u16_e32 vcc, s4, v21
	s_mov_b64 s[4:5], -1
                                        ; implicit-def: $sgpr10
	s_and_saveexec_b64 s[8:9], vcc
; %bb.3606:
	s_mov_b32 s10, 0x7f800001
	s_xor_b64 s[4:5], exec, -1
; %bb.3607:
	s_or_b64 exec, exec, s[8:9]
	s_and_b64 s[4:5], s[4:5], exec
                                        ; implicit-def: $vgpr21
	s_or_saveexec_b64 s[6:7], s[6:7]
	v_mov_b32_e32 v22, s10
	s_xor_b64 exec, exec, s[6:7]
	s_cbranch_execz .LBB51_1558
.LBB51_3608:
	v_cmp_ne_u16_e32 vcc, 0, v21
	s_andn2_b64 s[4:5], s[4:5], exec
	s_and_b64 s[8:9], vcc, exec
	v_mov_b32_e32 v22, 0
	s_or_b64 s[4:5], s[4:5], s[8:9]
	s_or_b64 exec, exec, s[6:7]
	s_and_saveexec_b64 s[6:7], s[4:5]
	s_cbranch_execnz .LBB51_1559
	s_branch .LBB51_1560
.LBB51_3609:
	s_movk_i32 s4, 0x80
	v_cmp_eq_u16_sdwa s[12:13], v14, s4 src0_sel:BYTE_3 src1_sel:DWORD
	s_mov_b64 s[4:5], -1
                                        ; implicit-def: $sgpr10
	s_and_saveexec_b64 s[8:9], s[12:13]
; %bb.3610:
	s_mov_b32 s10, 0x7f800001
	s_xor_b64 s[4:5], exec, -1
; %bb.3611:
	s_or_b64 exec, exec, s[8:9]
	s_and_b64 s[4:5], s[4:5], exec
	s_or_saveexec_b64 s[6:7], s[6:7]
	v_mov_b32_e32 v20, s10
	s_xor_b64 exec, exec, s[6:7]
	s_cbranch_execz .LBB51_1562
.LBB51_3612:
	v_mov_b32_e32 v20, 0
	v_cmp_ne_u16_sdwa s[8:9], v14, v20 src0_sel:BYTE_3 src1_sel:DWORD
	s_andn2_b64 s[4:5], s[4:5], exec
	s_and_b64 s[8:9], s[8:9], exec
	s_or_b64 s[4:5], s[4:5], s[8:9]
	s_or_b64 exec, exec, s[6:7]
	s_and_saveexec_b64 s[6:7], s[4:5]
	s_cbranch_execnz .LBB51_1563
	s_branch .LBB51_1564
.LBB51_3613:
	s_movk_i32 s4, 0x80
	v_cmp_eq_u16_sdwa s[12:13], v10, s4 src0_sel:BYTE_3 src1_sel:DWORD
	s_mov_b64 s[4:5], -1
                                        ; implicit-def: $sgpr10
	s_and_saveexec_b64 s[8:9], s[12:13]
; %bb.3614:
	s_mov_b32 s10, 0x7f800001
	s_xor_b64 s[4:5], exec, -1
; %bb.3615:
	s_or_b64 exec, exec, s[8:9]
	s_and_b64 s[4:5], s[4:5], exec
	s_or_saveexec_b64 s[6:7], s[6:7]
	v_mov_b32_e32 v14, s10
	s_xor_b64 exec, exec, s[6:7]
	s_cbranch_execz .LBB51_1566
.LBB51_3616:
	v_mov_b32_e32 v14, 0
	v_cmp_ne_u16_sdwa s[8:9], v10, v14 src0_sel:BYTE_3 src1_sel:DWORD
	s_andn2_b64 s[4:5], s[4:5], exec
	s_and_b64 s[8:9], s[8:9], exec
	s_or_b64 s[4:5], s[4:5], s[8:9]
	s_or_b64 exec, exec, s[6:7]
	s_and_saveexec_b64 s[6:7], s[4:5]
	s_cbranch_execnz .LBB51_1567
	s_branch .LBB51_1568
.LBB51_3617:
	s_movk_i32 s4, 0x80
	v_cmp_eq_u16_sdwa s[12:13], v15, s4 src0_sel:BYTE_0 src1_sel:DWORD
	s_mov_b64 s[4:5], -1
                                        ; implicit-def: $sgpr10
	s_and_saveexec_b64 s[8:9], s[12:13]
; %bb.3618:
	s_mov_b32 s10, 0x7f800001
	s_xor_b64 s[4:5], exec, -1
; %bb.3619:
	s_or_b64 exec, exec, s[8:9]
	s_and_b64 s[4:5], s[4:5], exec
	s_or_saveexec_b64 s[6:7], s[6:7]
	v_mov_b32_e32 v10, s10
	s_xor_b64 exec, exec, s[6:7]
	s_cbranch_execz .LBB51_1570
.LBB51_3620:
	v_mov_b32_e32 v10, 0
	v_cmp_ne_u16_sdwa s[8:9], v15, v10 src0_sel:BYTE_0 src1_sel:DWORD
	s_andn2_b64 s[4:5], s[4:5], exec
	s_and_b64 s[8:9], s[8:9], exec
	s_or_b64 s[4:5], s[4:5], s[8:9]
	s_or_b64 exec, exec, s[6:7]
	s_and_saveexec_b64 s[6:7], s[4:5]
	s_cbranch_execnz .LBB51_1571
	s_branch .LBB51_1572
.LBB51_3621:
	s_movk_i32 s4, 0x80
	v_cmp_eq_u16_sdwa s[12:13], v11, s4 src0_sel:BYTE_0 src1_sel:DWORD
	s_mov_b64 s[4:5], -1
                                        ; implicit-def: $sgpr10
	s_and_saveexec_b64 s[8:9], s[12:13]
; %bb.3622:
	s_mov_b32 s10, 0x7f800001
	s_xor_b64 s[4:5], exec, -1
; %bb.3623:
	s_or_b64 exec, exec, s[8:9]
	s_and_b64 s[4:5], s[4:5], exec
	s_or_saveexec_b64 s[6:7], s[6:7]
	v_mov_b32_e32 v14, s10
	s_xor_b64 exec, exec, s[6:7]
	s_cbranch_execz .LBB51_1574
.LBB51_3624:
	v_mov_b32_e32 v14, 0
	v_cmp_ne_u16_sdwa s[8:9], v11, v14 src0_sel:BYTE_0 src1_sel:DWORD
	s_andn2_b64 s[4:5], s[4:5], exec
	s_and_b64 s[8:9], s[8:9], exec
	s_or_b64 s[4:5], s[4:5], s[8:9]
	s_or_b64 exec, exec, s[6:7]
	s_and_saveexec_b64 s[6:7], s[4:5]
	s_cbranch_execnz .LBB51_1575
	s_branch .LBB51_1576
.LBB51_3625:
	s_movk_i32 s4, 0x80
	v_cmp_eq_u16_sdwa s[12:13], v14, s4 src0_sel:BYTE_0 src1_sel:DWORD
	s_mov_b64 s[4:5], -1
                                        ; implicit-def: $sgpr10
	s_and_saveexec_b64 s[8:9], s[12:13]
; %bb.3626:
	s_mov_b32 s10, 0x7f800001
	s_xor_b64 s[4:5], exec, -1
; %bb.3627:
	s_or_b64 exec, exec, s[8:9]
	s_and_b64 s[4:5], s[4:5], exec
	s_or_saveexec_b64 s[6:7], s[6:7]
	v_mov_b32_e32 v10, s10
	s_xor_b64 exec, exec, s[6:7]
	s_cbranch_execz .LBB51_1578
.LBB51_3628:
	v_mov_b32_e32 v10, 0
	v_cmp_ne_u16_sdwa s[8:9], v14, v10 src0_sel:BYTE_0 src1_sel:DWORD
	s_andn2_b64 s[4:5], s[4:5], exec
	s_and_b64 s[8:9], s[8:9], exec
	s_or_b64 s[4:5], s[4:5], s[8:9]
	s_or_b64 exec, exec, s[6:7]
	s_and_saveexec_b64 s[6:7], s[4:5]
	s_cbranch_execnz .LBB51_1579
	s_branch .LBB51_1580
.LBB51_3629:
	s_movk_i32 s4, 0x80
	v_cmp_eq_u16_sdwa s[12:13], v14, s4 src0_sel:BYTE_0 src1_sel:DWORD
	s_mov_b64 s[4:5], -1
                                        ; implicit-def: $sgpr10
	s_and_saveexec_b64 s[8:9], s[12:13]
; %bb.3630:
	s_mov_b32 s10, 0x7f800001
	s_xor_b64 s[4:5], exec, -1
; %bb.3631:
	s_or_b64 exec, exec, s[8:9]
	s_and_b64 s[4:5], s[4:5], exec
	s_or_saveexec_b64 s[6:7], s[6:7]
	v_mov_b32_e32 v20, s10
	s_xor_b64 exec, exec, s[6:7]
	s_cbranch_execz .LBB51_1582
.LBB51_3632:
	v_mov_b32_e32 v20, 0
	v_cmp_ne_u16_sdwa s[8:9], v14, v20 src0_sel:BYTE_0 src1_sel:DWORD
	s_andn2_b64 s[4:5], s[4:5], exec
	s_and_b64 s[8:9], s[8:9], exec
	s_or_b64 s[4:5], s[4:5], s[8:9]
	s_or_b64 exec, exec, s[6:7]
	s_and_saveexec_b64 s[6:7], s[4:5]
	s_cbranch_execnz .LBB51_1583
	s_branch .LBB51_1584
.LBB51_3633:
	s_movk_i32 s4, 0x80
	v_cmp_eq_u16_e32 vcc, s4, v14
	s_mov_b64 s[4:5], -1
                                        ; implicit-def: $sgpr10
	s_and_saveexec_b64 s[8:9], vcc
; %bb.3634:
	s_mov_b32 s10, 0x7f800001
	s_xor_b64 s[4:5], exec, -1
; %bb.3635:
	s_or_b64 exec, exec, s[8:9]
	s_and_b64 s[4:5], s[4:5], exec
                                        ; implicit-def: $vgpr14
	s_or_saveexec_b64 s[6:7], s[6:7]
	v_mov_b32_e32 v10, s10
	s_xor_b64 exec, exec, s[6:7]
	s_cbranch_execz .LBB51_1586
.LBB51_3636:
	v_cmp_ne_u16_e32 vcc, 0, v14
	s_andn2_b64 s[4:5], s[4:5], exec
	s_and_b64 s[8:9], vcc, exec
	v_mov_b32_e32 v10, 0
	s_or_b64 s[4:5], s[4:5], s[8:9]
	s_or_b64 exec, exec, s[6:7]
	s_and_saveexec_b64 s[6:7], s[4:5]
	s_cbranch_execnz .LBB51_1587
	s_branch .LBB51_1588
.LBB51_3637:
	s_movk_i32 s4, 0x80
	v_cmp_eq_u16_e32 vcc, s4, v14
	s_mov_b64 s[4:5], -1
                                        ; implicit-def: $sgpr10
	s_and_saveexec_b64 s[8:9], vcc
; %bb.3638:
	s_mov_b32 s10, 0x7f800001
	s_xor_b64 s[4:5], exec, -1
; %bb.3639:
	s_or_b64 exec, exec, s[8:9]
	s_and_b64 s[4:5], s[4:5], exec
                                        ; implicit-def: $vgpr14
	s_or_saveexec_b64 s[6:7], s[6:7]
	v_mov_b32_e32 v20, s10
	s_xor_b64 exec, exec, s[6:7]
	s_cbranch_execz .LBB51_1590
.LBB51_3640:
	v_cmp_ne_u16_e32 vcc, 0, v14
	s_andn2_b64 s[4:5], s[4:5], exec
	s_and_b64 s[8:9], vcc, exec
	v_mov_b32_e32 v20, 0
	s_or_b64 s[4:5], s[4:5], s[8:9]
	s_or_b64 exec, exec, s[6:7]
	s_and_saveexec_b64 s[6:7], s[4:5]
	s_cbranch_execnz .LBB51_1591
	s_branch .LBB51_1592
.LBB51_3641:
	s_movk_i32 s4, 0x80
	v_cmp_eq_u16_sdwa s[12:13], v15, s4 src0_sel:BYTE_3 src1_sel:DWORD
	s_mov_b64 s[4:5], -1
                                        ; implicit-def: $sgpr10
	s_and_saveexec_b64 s[8:9], s[12:13]
; %bb.3642:
	s_mov_b32 s10, 0x7f800001
	s_xor_b64 s[4:5], exec, -1
; %bb.3643:
	s_or_b64 exec, exec, s[8:9]
	s_and_b64 s[4:5], s[4:5], exec
	s_or_saveexec_b64 s[6:7], s[6:7]
	v_mov_b32_e32 v10, s10
	s_xor_b64 exec, exec, s[6:7]
	s_cbranch_execz .LBB51_1594
.LBB51_3644:
	v_mov_b32_e32 v10, 0
	v_cmp_ne_u16_sdwa s[8:9], v15, v10 src0_sel:BYTE_3 src1_sel:DWORD
	s_andn2_b64 s[4:5], s[4:5], exec
	s_and_b64 s[8:9], s[8:9], exec
	s_or_b64 s[4:5], s[4:5], s[8:9]
	s_or_b64 exec, exec, s[6:7]
	s_and_saveexec_b64 s[6:7], s[4:5]
	s_cbranch_execnz .LBB51_1595
	s_branch .LBB51_1596
.LBB51_3645:
	s_movk_i32 s4, 0x80
	v_cmp_eq_u16_sdwa s[12:13], v11, s4 src0_sel:BYTE_3 src1_sel:DWORD
	s_mov_b64 s[4:5], -1
                                        ; implicit-def: $sgpr10
	s_and_saveexec_b64 s[8:9], s[12:13]
; %bb.3646:
	s_mov_b32 s10, 0x7f800001
	s_xor_b64 s[4:5], exec, -1
; %bb.3647:
	s_or_b64 exec, exec, s[8:9]
	s_and_b64 s[4:5], s[4:5], exec
	s_or_saveexec_b64 s[6:7], s[6:7]
	v_mov_b32_e32 v14, s10
	s_xor_b64 exec, exec, s[6:7]
	s_cbranch_execz .LBB51_1598
.LBB51_3648:
	v_mov_b32_e32 v14, 0
	v_cmp_ne_u16_sdwa s[8:9], v11, v14 src0_sel:BYTE_3 src1_sel:DWORD
	s_andn2_b64 s[4:5], s[4:5], exec
	s_and_b64 s[8:9], s[8:9], exec
	s_or_b64 s[4:5], s[4:5], s[8:9]
	s_or_b64 exec, exec, s[6:7]
	s_and_saveexec_b64 s[6:7], s[4:5]
	s_cbranch_execnz .LBB51_1599
	s_branch .LBB51_1600
.LBB51_3649:
	s_movk_i32 s4, 0x80
	v_cmp_eq_u16_sdwa s[12:13], v16, s4 src0_sel:BYTE_0 src1_sel:DWORD
	s_mov_b64 s[4:5], -1
                                        ; implicit-def: $sgpr10
	s_and_saveexec_b64 s[8:9], s[12:13]
; %bb.3650:
	s_mov_b32 s10, 0x7f800001
	s_xor_b64 s[4:5], exec, -1
; %bb.3651:
	s_or_b64 exec, exec, s[8:9]
	s_and_b64 s[4:5], s[4:5], exec
	s_or_saveexec_b64 s[6:7], s[6:7]
	v_mov_b32_e32 v10, s10
	s_xor_b64 exec, exec, s[6:7]
	s_cbranch_execz .LBB51_1602
.LBB51_3652:
	v_mov_b32_e32 v10, 0
	v_cmp_ne_u16_sdwa s[8:9], v16, v10 src0_sel:BYTE_0 src1_sel:DWORD
	s_andn2_b64 s[4:5], s[4:5], exec
	s_and_b64 s[8:9], s[8:9], exec
	s_or_b64 s[4:5], s[4:5], s[8:9]
	s_or_b64 exec, exec, s[6:7]
	s_and_saveexec_b64 s[6:7], s[4:5]
	s_cbranch_execnz .LBB51_1603
	s_branch .LBB51_1604
.LBB51_3653:
	s_movk_i32 s4, 0x80
	v_cmp_eq_u16_sdwa s[12:13], v12, s4 src0_sel:BYTE_0 src1_sel:DWORD
	s_mov_b64 s[4:5], -1
                                        ; implicit-def: $sgpr10
	s_and_saveexec_b64 s[8:9], s[12:13]
; %bb.3654:
	s_mov_b32 s10, 0x7f800001
	s_xor_b64 s[4:5], exec, -1
; %bb.3655:
	s_or_b64 exec, exec, s[8:9]
	s_and_b64 s[4:5], s[4:5], exec
	s_or_saveexec_b64 s[6:7], s[6:7]
	v_mov_b32_e32 v11, s10
	s_xor_b64 exec, exec, s[6:7]
	s_cbranch_execz .LBB51_1606
.LBB51_3656:
	v_mov_b32_e32 v11, 0
	v_cmp_ne_u16_sdwa s[8:9], v12, v11 src0_sel:BYTE_0 src1_sel:DWORD
	s_andn2_b64 s[4:5], s[4:5], exec
	s_and_b64 s[8:9], s[8:9], exec
	s_or_b64 s[4:5], s[4:5], s[8:9]
	s_or_b64 exec, exec, s[6:7]
	s_and_saveexec_b64 s[6:7], s[4:5]
	s_cbranch_execnz .LBB51_1607
	s_branch .LBB51_1608
.LBB51_3657:
	s_movk_i32 s4, 0x80
	v_cmp_eq_u16_sdwa s[12:13], v11, s4 src0_sel:BYTE_0 src1_sel:DWORD
	s_mov_b64 s[4:5], -1
                                        ; implicit-def: $sgpr10
	s_and_saveexec_b64 s[8:9], s[12:13]
; %bb.3658:
	s_mov_b32 s10, 0x7f800001
	s_xor_b64 s[4:5], exec, -1
; %bb.3659:
	s_or_b64 exec, exec, s[8:9]
	s_and_b64 s[4:5], s[4:5], exec
	s_or_saveexec_b64 s[6:7], s[6:7]
	v_mov_b32_e32 v10, s10
	s_xor_b64 exec, exec, s[6:7]
	s_cbranch_execz .LBB51_1610
.LBB51_3660:
	v_mov_b32_e32 v10, 0
	v_cmp_ne_u16_sdwa s[8:9], v11, v10 src0_sel:BYTE_0 src1_sel:DWORD
	s_andn2_b64 s[4:5], s[4:5], exec
	s_and_b64 s[8:9], s[8:9], exec
	s_or_b64 s[4:5], s[4:5], s[8:9]
	s_or_b64 exec, exec, s[6:7]
	s_and_saveexec_b64 s[6:7], s[4:5]
	s_cbranch_execnz .LBB51_1611
	s_branch .LBB51_1612
.LBB51_3661:
	s_movk_i32 s4, 0x80
	v_cmp_eq_u16_sdwa s[12:13], v11, s4 src0_sel:BYTE_0 src1_sel:DWORD
	s_mov_b64 s[4:5], -1
                                        ; implicit-def: $sgpr10
	s_and_saveexec_b64 s[8:9], s[12:13]
; %bb.3662:
	s_mov_b32 s10, 0x7f800001
	s_xor_b64 s[4:5], exec, -1
; %bb.3663:
	s_or_b64 exec, exec, s[8:9]
	s_and_b64 s[4:5], s[4:5], exec
	s_or_saveexec_b64 s[6:7], s[6:7]
	v_mov_b32_e32 v14, s10
	s_xor_b64 exec, exec, s[6:7]
	s_cbranch_execz .LBB51_1614
.LBB51_3664:
	v_mov_b32_e32 v14, 0
	v_cmp_ne_u16_sdwa s[8:9], v11, v14 src0_sel:BYTE_0 src1_sel:DWORD
	s_andn2_b64 s[4:5], s[4:5], exec
	s_and_b64 s[8:9], s[8:9], exec
	s_or_b64 s[4:5], s[4:5], s[8:9]
	s_or_b64 exec, exec, s[6:7]
	s_and_saveexec_b64 s[6:7], s[4:5]
	s_cbranch_execnz .LBB51_1615
	s_branch .LBB51_1616
.LBB51_3665:
	s_movk_i32 s4, 0x80
	v_cmp_eq_u16_e32 vcc, s4, v11
	s_mov_b64 s[4:5], -1
                                        ; implicit-def: $sgpr10
	s_and_saveexec_b64 s[8:9], vcc
; %bb.3666:
	s_mov_b32 s10, 0x7f800001
	s_xor_b64 s[4:5], exec, -1
; %bb.3667:
	s_or_b64 exec, exec, s[8:9]
	s_and_b64 s[4:5], s[4:5], exec
                                        ; implicit-def: $vgpr11
	s_or_saveexec_b64 s[6:7], s[6:7]
	v_mov_b32_e32 v10, s10
	s_xor_b64 exec, exec, s[6:7]
	s_cbranch_execz .LBB51_1618
.LBB51_3668:
	v_cmp_ne_u16_e32 vcc, 0, v11
	s_andn2_b64 s[4:5], s[4:5], exec
	s_and_b64 s[8:9], vcc, exec
	v_mov_b32_e32 v10, 0
	s_or_b64 s[4:5], s[4:5], s[8:9]
	s_or_b64 exec, exec, s[6:7]
	s_and_saveexec_b64 s[6:7], s[4:5]
	s_cbranch_execnz .LBB51_1619
	s_branch .LBB51_1620
.LBB51_3669:
	s_movk_i32 s4, 0x80
	v_cmp_eq_u16_e32 vcc, s4, v11
	s_mov_b64 s[4:5], -1
                                        ; implicit-def: $sgpr10
	s_and_saveexec_b64 s[8:9], vcc
; %bb.3670:
	s_mov_b32 s10, 0x7f800001
	s_xor_b64 s[4:5], exec, -1
; %bb.3671:
	s_or_b64 exec, exec, s[8:9]
	s_and_b64 s[4:5], s[4:5], exec
                                        ; implicit-def: $vgpr11
	s_or_saveexec_b64 s[6:7], s[6:7]
	v_mov_b32_e32 v14, s10
	s_xor_b64 exec, exec, s[6:7]
	s_cbranch_execz .LBB51_1622
.LBB51_3672:
	v_cmp_ne_u16_e32 vcc, 0, v11
	s_andn2_b64 s[4:5], s[4:5], exec
	s_and_b64 s[8:9], vcc, exec
	v_mov_b32_e32 v14, 0
	s_or_b64 s[4:5], s[4:5], s[8:9]
	s_or_b64 exec, exec, s[6:7]
	s_and_saveexec_b64 s[6:7], s[4:5]
	s_cbranch_execnz .LBB51_1623
	s_branch .LBB51_1624
.LBB51_3673:
	s_movk_i32 s4, 0x80
	v_cmp_eq_u16_sdwa s[12:13], v16, s4 src0_sel:BYTE_3 src1_sel:DWORD
	s_mov_b64 s[4:5], -1
                                        ; implicit-def: $sgpr10
	s_and_saveexec_b64 s[8:9], s[12:13]
; %bb.3674:
	s_mov_b32 s10, 0x7f800001
	s_xor_b64 s[4:5], exec, -1
; %bb.3675:
	s_or_b64 exec, exec, s[8:9]
	s_and_b64 s[4:5], s[4:5], exec
	s_or_saveexec_b64 s[6:7], s[6:7]
	v_mov_b32_e32 v10, s10
	s_xor_b64 exec, exec, s[6:7]
	s_cbranch_execz .LBB51_1626
.LBB51_3676:
	v_mov_b32_e32 v10, 0
	v_cmp_ne_u16_sdwa s[8:9], v16, v10 src0_sel:BYTE_3 src1_sel:DWORD
	s_andn2_b64 s[4:5], s[4:5], exec
	s_and_b64 s[8:9], s[8:9], exec
	s_or_b64 s[4:5], s[4:5], s[8:9]
	s_or_b64 exec, exec, s[6:7]
	s_and_saveexec_b64 s[6:7], s[4:5]
	s_cbranch_execnz .LBB51_1627
	s_branch .LBB51_1628
.LBB51_3677:
	s_movk_i32 s4, 0x80
	v_cmp_eq_u16_sdwa s[12:13], v12, s4 src0_sel:BYTE_3 src1_sel:DWORD
	s_mov_b64 s[4:5], -1
                                        ; implicit-def: $sgpr10
	s_and_saveexec_b64 s[8:9], s[12:13]
; %bb.3678:
	s_mov_b32 s10, 0x7f800001
	s_xor_b64 s[4:5], exec, -1
; %bb.3679:
	s_or_b64 exec, exec, s[8:9]
	s_and_b64 s[4:5], s[4:5], exec
	s_or_saveexec_b64 s[6:7], s[6:7]
	v_mov_b32_e32 v11, s10
	s_xor_b64 exec, exec, s[6:7]
	s_cbranch_execz .LBB51_1630
.LBB51_3680:
	v_mov_b32_e32 v11, 0
	v_cmp_ne_u16_sdwa s[8:9], v12, v11 src0_sel:BYTE_3 src1_sel:DWORD
	s_andn2_b64 s[4:5], s[4:5], exec
	s_and_b64 s[8:9], s[8:9], exec
	s_or_b64 s[4:5], s[4:5], s[8:9]
	s_or_b64 exec, exec, s[6:7]
	s_and_saveexec_b64 s[6:7], s[4:5]
	s_cbranch_execnz .LBB51_1631
	s_branch .LBB51_1632
.LBB51_3681:
	s_movk_i32 s4, 0x80
	v_cmp_eq_u16_sdwa s[12:13], v17, s4 src0_sel:BYTE_0 src1_sel:DWORD
	s_mov_b64 s[4:5], -1
                                        ; implicit-def: $sgpr10
	s_and_saveexec_b64 s[8:9], s[12:13]
; %bb.3682:
	s_mov_b32 s10, 0x7f800001
	s_xor_b64 s[4:5], exec, -1
; %bb.3683:
	s_or_b64 exec, exec, s[8:9]
	s_and_b64 s[4:5], s[4:5], exec
	s_or_saveexec_b64 s[6:7], s[6:7]
	v_mov_b32_e32 v10, s10
	s_xor_b64 exec, exec, s[6:7]
	s_cbranch_execz .LBB51_1634
.LBB51_3684:
	v_mov_b32_e32 v10, 0
	v_cmp_ne_u16_sdwa s[8:9], v17, v10 src0_sel:BYTE_0 src1_sel:DWORD
	s_andn2_b64 s[4:5], s[4:5], exec
	s_and_b64 s[8:9], s[8:9], exec
	s_or_b64 s[4:5], s[4:5], s[8:9]
	s_or_b64 exec, exec, s[6:7]
	s_and_saveexec_b64 s[6:7], s[4:5]
	s_cbranch_execnz .LBB51_1635
	s_branch .LBB51_1636
.LBB51_3685:
	s_movk_i32 s4, 0x80
	v_cmp_eq_u16_sdwa s[12:13], v13, s4 src0_sel:BYTE_0 src1_sel:DWORD
	s_mov_b64 s[4:5], -1
                                        ; implicit-def: $sgpr10
	s_and_saveexec_b64 s[8:9], s[12:13]
; %bb.3686:
	s_mov_b32 s10, 0x7f800001
	s_xor_b64 s[4:5], exec, -1
; %bb.3687:
	s_or_b64 exec, exec, s[8:9]
	s_and_b64 s[4:5], s[4:5], exec
	s_or_saveexec_b64 s[6:7], s[6:7]
	v_mov_b32_e32 v11, s10
	s_xor_b64 exec, exec, s[6:7]
	s_cbranch_execz .LBB51_1638
.LBB51_3688:
	v_mov_b32_e32 v11, 0
	v_cmp_ne_u16_sdwa s[8:9], v13, v11 src0_sel:BYTE_0 src1_sel:DWORD
	s_andn2_b64 s[4:5], s[4:5], exec
	s_and_b64 s[8:9], s[8:9], exec
	s_or_b64 s[4:5], s[4:5], s[8:9]
	s_or_b64 exec, exec, s[6:7]
	s_and_saveexec_b64 s[6:7], s[4:5]
	s_cbranch_execnz .LBB51_1639
	s_branch .LBB51_1640
.LBB51_3689:
	s_movk_i32 s4, 0x80
	v_cmp_eq_u16_sdwa s[12:13], v11, s4 src0_sel:BYTE_0 src1_sel:DWORD
	s_mov_b64 s[4:5], -1
                                        ; implicit-def: $sgpr10
	s_and_saveexec_b64 s[8:9], s[12:13]
; %bb.3690:
	s_mov_b32 s10, 0x7f800001
	s_xor_b64 s[4:5], exec, -1
; %bb.3691:
	s_or_b64 exec, exec, s[8:9]
	s_and_b64 s[4:5], s[4:5], exec
	s_or_saveexec_b64 s[6:7], s[6:7]
	v_mov_b32_e32 v10, s10
	s_xor_b64 exec, exec, s[6:7]
	s_cbranch_execz .LBB51_1642
.LBB51_3692:
	v_mov_b32_e32 v10, 0
	v_cmp_ne_u16_sdwa s[8:9], v11, v10 src0_sel:BYTE_0 src1_sel:DWORD
	s_andn2_b64 s[4:5], s[4:5], exec
	s_and_b64 s[8:9], s[8:9], exec
	s_or_b64 s[4:5], s[4:5], s[8:9]
	s_or_b64 exec, exec, s[6:7]
	s_and_saveexec_b64 s[6:7], s[4:5]
	s_cbranch_execnz .LBB51_1643
	s_branch .LBB51_1644
.LBB51_3693:
	s_movk_i32 s4, 0x80
	v_cmp_eq_u16_sdwa s[12:13], v11, s4 src0_sel:BYTE_0 src1_sel:DWORD
	s_mov_b64 s[4:5], -1
                                        ; implicit-def: $sgpr10
	s_and_saveexec_b64 s[8:9], s[12:13]
; %bb.3694:
	s_mov_b32 s10, 0x7f800001
	s_xor_b64 s[4:5], exec, -1
; %bb.3695:
	s_or_b64 exec, exec, s[8:9]
	s_and_b64 s[4:5], s[4:5], exec
	s_or_saveexec_b64 s[6:7], s[6:7]
	v_mov_b32_e32 v12, s10
	s_xor_b64 exec, exec, s[6:7]
	s_cbranch_execz .LBB51_1646
.LBB51_3696:
	v_mov_b32_e32 v12, 0
	v_cmp_ne_u16_sdwa s[8:9], v11, v12 src0_sel:BYTE_0 src1_sel:DWORD
	s_andn2_b64 s[4:5], s[4:5], exec
	s_and_b64 s[8:9], s[8:9], exec
	s_or_b64 s[4:5], s[4:5], s[8:9]
	s_or_b64 exec, exec, s[6:7]
	s_and_saveexec_b64 s[6:7], s[4:5]
	s_cbranch_execnz .LBB51_1647
	s_branch .LBB51_1648
.LBB51_3697:
	s_movk_i32 s4, 0x80
	v_cmp_eq_u16_e32 vcc, s4, v11
	s_mov_b64 s[4:5], -1
                                        ; implicit-def: $sgpr10
	s_and_saveexec_b64 s[8:9], vcc
; %bb.3698:
	s_mov_b32 s10, 0x7f800001
	s_xor_b64 s[4:5], exec, -1
; %bb.3699:
	s_or_b64 exec, exec, s[8:9]
	s_and_b64 s[4:5], s[4:5], exec
                                        ; implicit-def: $vgpr11
	s_or_saveexec_b64 s[6:7], s[6:7]
	v_mov_b32_e32 v10, s10
	s_xor_b64 exec, exec, s[6:7]
	s_cbranch_execz .LBB51_1650
.LBB51_3700:
	v_cmp_ne_u16_e32 vcc, 0, v11
	s_andn2_b64 s[4:5], s[4:5], exec
	s_and_b64 s[8:9], vcc, exec
	v_mov_b32_e32 v10, 0
	s_or_b64 s[4:5], s[4:5], s[8:9]
	s_or_b64 exec, exec, s[6:7]
	s_and_saveexec_b64 s[6:7], s[4:5]
	s_cbranch_execnz .LBB51_1651
	s_branch .LBB51_1652
.LBB51_3701:
	s_movk_i32 s4, 0x80
	v_cmp_eq_u16_e32 vcc, s4, v11
	s_mov_b64 s[4:5], -1
                                        ; implicit-def: $sgpr10
	s_and_saveexec_b64 s[8:9], vcc
; %bb.3702:
	s_mov_b32 s10, 0x7f800001
	s_xor_b64 s[4:5], exec, -1
; %bb.3703:
	s_or_b64 exec, exec, s[8:9]
	s_and_b64 s[4:5], s[4:5], exec
                                        ; implicit-def: $vgpr11
	s_or_saveexec_b64 s[6:7], s[6:7]
	v_mov_b32_e32 v12, s10
	s_xor_b64 exec, exec, s[6:7]
	s_cbranch_execz .LBB51_1654
.LBB51_3704:
	v_cmp_ne_u16_e32 vcc, 0, v11
	s_andn2_b64 s[4:5], s[4:5], exec
	s_and_b64 s[8:9], vcc, exec
	v_mov_b32_e32 v12, 0
	s_or_b64 s[4:5], s[4:5], s[8:9]
	s_or_b64 exec, exec, s[6:7]
	s_and_saveexec_b64 s[6:7], s[4:5]
	s_cbranch_execnz .LBB51_1655
	s_branch .LBB51_1656
.LBB51_3705:
	s_movk_i32 s4, 0x80
	v_cmp_eq_u16_sdwa s[12:13], v17, s4 src0_sel:BYTE_3 src1_sel:DWORD
	s_mov_b64 s[4:5], -1
                                        ; implicit-def: $sgpr10
	s_and_saveexec_b64 s[8:9], s[12:13]
; %bb.3706:
	s_mov_b32 s10, 0x7f800001
	s_xor_b64 s[4:5], exec, -1
; %bb.3707:
	s_or_b64 exec, exec, s[8:9]
	s_and_b64 s[4:5], s[4:5], exec
	s_or_saveexec_b64 s[6:7], s[6:7]
	v_mov_b32_e32 v10, s10
	s_xor_b64 exec, exec, s[6:7]
	s_cbranch_execz .LBB51_1658
.LBB51_3708:
	v_mov_b32_e32 v10, 0
	v_cmp_ne_u16_sdwa s[8:9], v17, v10 src0_sel:BYTE_3 src1_sel:DWORD
	s_andn2_b64 s[4:5], s[4:5], exec
	s_and_b64 s[8:9], s[8:9], exec
	s_or_b64 s[4:5], s[4:5], s[8:9]
	s_or_b64 exec, exec, s[6:7]
	s_and_saveexec_b64 s[6:7], s[4:5]
	s_cbranch_execnz .LBB51_1659
	s_branch .LBB51_1660
.LBB51_3709:
	s_movk_i32 s4, 0x80
	v_cmp_eq_u16_sdwa s[12:13], v13, s4 src0_sel:BYTE_3 src1_sel:DWORD
	s_mov_b64 s[4:5], -1
                                        ; implicit-def: $sgpr10
	s_and_saveexec_b64 s[8:9], s[12:13]
; %bb.3710:
	s_mov_b32 s10, 0x7f800001
	s_xor_b64 s[4:5], exec, -1
; %bb.3711:
	s_or_b64 exec, exec, s[8:9]
	s_and_b64 s[4:5], s[4:5], exec
	s_or_saveexec_b64 s[6:7], s[6:7]
	v_mov_b32_e32 v11, s10
	s_xor_b64 exec, exec, s[6:7]
	s_cbranch_execz .LBB51_1662
.LBB51_3712:
	v_mov_b32_e32 v11, 0
	v_cmp_ne_u16_sdwa s[8:9], v13, v11 src0_sel:BYTE_3 src1_sel:DWORD
	s_andn2_b64 s[4:5], s[4:5], exec
	s_and_b64 s[8:9], s[8:9], exec
	s_or_b64 s[4:5], s[4:5], s[8:9]
	s_or_b64 exec, exec, s[6:7]
	s_and_saveexec_b64 s[6:7], s[4:5]
	s_cbranch_execnz .LBB51_1663
	s_branch .LBB51_1664
.LBB51_3713:
	s_movk_i32 s4, 0x80
	v_cmp_eq_u16_sdwa s[12:13], v6, s4 src0_sel:BYTE_0 src1_sel:DWORD
	s_mov_b64 s[4:5], -1
                                        ; implicit-def: $sgpr10
	s_and_saveexec_b64 s[8:9], s[12:13]
; %bb.3714:
	s_mov_b32 s10, 0x7f800001
	s_xor_b64 s[4:5], exec, -1
; %bb.3715:
	s_or_b64 exec, exec, s[8:9]
	s_and_b64 s[4:5], s[4:5], exec
	s_or_saveexec_b64 s[6:7], s[6:7]
	v_mov_b32_e32 v10, s10
	s_xor_b64 exec, exec, s[6:7]
	s_cbranch_execz .LBB51_1666
.LBB51_3716:
	v_mov_b32_e32 v10, 0
	v_cmp_ne_u16_sdwa s[8:9], v6, v10 src0_sel:BYTE_0 src1_sel:DWORD
	s_andn2_b64 s[4:5], s[4:5], exec
	s_and_b64 s[8:9], s[8:9], exec
	s_or_b64 s[4:5], s[4:5], s[8:9]
	s_or_b64 exec, exec, s[6:7]
	s_and_saveexec_b64 s[6:7], s[4:5]
	s_cbranch_execnz .LBB51_1667
	s_branch .LBB51_1668
.LBB51_3717:
	s_movk_i32 s4, 0x80
	v_cmp_eq_u16_sdwa s[12:13], v2, s4 src0_sel:BYTE_0 src1_sel:DWORD
	s_mov_b64 s[4:5], -1
                                        ; implicit-def: $sgpr10
	s_and_saveexec_b64 s[8:9], s[12:13]
; %bb.3718:
	s_mov_b32 s10, 0x7f800001
	s_xor_b64 s[4:5], exec, -1
; %bb.3719:
	s_or_b64 exec, exec, s[8:9]
	s_and_b64 s[4:5], s[4:5], exec
	s_or_saveexec_b64 s[6:7], s[6:7]
	v_mov_b32_e32 v11, s10
	s_xor_b64 exec, exec, s[6:7]
	s_cbranch_execz .LBB51_1670
.LBB51_3720:
	v_mov_b32_e32 v11, 0
	v_cmp_ne_u16_sdwa s[8:9], v2, v11 src0_sel:BYTE_0 src1_sel:DWORD
	s_andn2_b64 s[4:5], s[4:5], exec
	s_and_b64 s[8:9], s[8:9], exec
	s_or_b64 s[4:5], s[4:5], s[8:9]
	s_or_b64 exec, exec, s[6:7]
	s_and_saveexec_b64 s[6:7], s[4:5]
	s_cbranch_execnz .LBB51_1671
	s_branch .LBB51_1672
.LBB51_3721:
	s_movk_i32 s4, 0x80
	v_cmp_eq_u16_sdwa s[12:13], v11, s4 src0_sel:BYTE_0 src1_sel:DWORD
	s_mov_b64 s[4:5], -1
                                        ; implicit-def: $sgpr10
	s_and_saveexec_b64 s[8:9], s[12:13]
; %bb.3722:
	s_mov_b32 s10, 0x7f800001
	s_xor_b64 s[4:5], exec, -1
; %bb.3723:
	s_or_b64 exec, exec, s[8:9]
	s_and_b64 s[4:5], s[4:5], exec
	s_or_saveexec_b64 s[6:7], s[6:7]
	v_mov_b32_e32 v10, s10
	s_xor_b64 exec, exec, s[6:7]
	s_cbranch_execz .LBB51_1674
.LBB51_3724:
	v_mov_b32_e32 v10, 0
	v_cmp_ne_u16_sdwa s[8:9], v11, v10 src0_sel:BYTE_0 src1_sel:DWORD
	s_andn2_b64 s[4:5], s[4:5], exec
	s_and_b64 s[8:9], s[8:9], exec
	s_or_b64 s[4:5], s[4:5], s[8:9]
	s_or_b64 exec, exec, s[6:7]
	s_and_saveexec_b64 s[6:7], s[4:5]
	s_cbranch_execnz .LBB51_1675
	s_branch .LBB51_1676
.LBB51_3725:
	s_movk_i32 s4, 0x80
	v_cmp_eq_u16_sdwa s[12:13], v11, s4 src0_sel:BYTE_0 src1_sel:DWORD
	s_mov_b64 s[4:5], -1
                                        ; implicit-def: $sgpr10
	s_and_saveexec_b64 s[8:9], s[12:13]
; %bb.3726:
	s_mov_b32 s10, 0x7f800001
	s_xor_b64 s[4:5], exec, -1
; %bb.3727:
	s_or_b64 exec, exec, s[8:9]
	s_and_b64 s[4:5], s[4:5], exec
	s_or_saveexec_b64 s[6:7], s[6:7]
	v_mov_b32_e32 v12, s10
	s_xor_b64 exec, exec, s[6:7]
	s_cbranch_execz .LBB51_1678
.LBB51_3728:
	v_mov_b32_e32 v12, 0
	v_cmp_ne_u16_sdwa s[8:9], v11, v12 src0_sel:BYTE_0 src1_sel:DWORD
	s_andn2_b64 s[4:5], s[4:5], exec
	s_and_b64 s[8:9], s[8:9], exec
	s_or_b64 s[4:5], s[4:5], s[8:9]
	s_or_b64 exec, exec, s[6:7]
	s_and_saveexec_b64 s[6:7], s[4:5]
	s_cbranch_execnz .LBB51_1679
	s_branch .LBB51_1680
.LBB51_3729:
	s_movk_i32 s4, 0x80
	v_cmp_eq_u16_e32 vcc, s4, v11
	s_mov_b64 s[4:5], -1
                                        ; implicit-def: $sgpr10
	s_and_saveexec_b64 s[8:9], vcc
; %bb.3730:
	s_mov_b32 s10, 0x7f800001
	s_xor_b64 s[4:5], exec, -1
; %bb.3731:
	s_or_b64 exec, exec, s[8:9]
	s_and_b64 s[4:5], s[4:5], exec
                                        ; implicit-def: $vgpr11
	s_or_saveexec_b64 s[6:7], s[6:7]
	v_mov_b32_e32 v10, s10
	s_xor_b64 exec, exec, s[6:7]
	s_cbranch_execz .LBB51_1682
.LBB51_3732:
	v_cmp_ne_u16_e32 vcc, 0, v11
	s_andn2_b64 s[4:5], s[4:5], exec
	s_and_b64 s[8:9], vcc, exec
	v_mov_b32_e32 v10, 0
	s_or_b64 s[4:5], s[4:5], s[8:9]
	s_or_b64 exec, exec, s[6:7]
	s_and_saveexec_b64 s[6:7], s[4:5]
	s_cbranch_execnz .LBB51_1683
	s_branch .LBB51_1684
.LBB51_3733:
	s_movk_i32 s4, 0x80
	v_cmp_eq_u16_e32 vcc, s4, v11
	s_mov_b64 s[4:5], -1
                                        ; implicit-def: $sgpr10
	s_and_saveexec_b64 s[8:9], vcc
; %bb.3734:
	s_mov_b32 s10, 0x7f800001
	s_xor_b64 s[4:5], exec, -1
; %bb.3735:
	s_or_b64 exec, exec, s[8:9]
	s_and_b64 s[4:5], s[4:5], exec
                                        ; implicit-def: $vgpr11
	s_or_saveexec_b64 s[6:7], s[6:7]
	v_mov_b32_e32 v12, s10
	s_xor_b64 exec, exec, s[6:7]
	s_cbranch_execz .LBB51_1686
.LBB51_3736:
	v_cmp_ne_u16_e32 vcc, 0, v11
	s_andn2_b64 s[4:5], s[4:5], exec
	s_and_b64 s[8:9], vcc, exec
	v_mov_b32_e32 v12, 0
	s_or_b64 s[4:5], s[4:5], s[8:9]
	s_or_b64 exec, exec, s[6:7]
	s_and_saveexec_b64 s[6:7], s[4:5]
	s_cbranch_execnz .LBB51_1687
	s_branch .LBB51_1688
.LBB51_3737:
	s_movk_i32 s4, 0x80
	v_cmp_eq_u16_sdwa s[12:13], v6, s4 src0_sel:BYTE_3 src1_sel:DWORD
	s_mov_b64 s[4:5], -1
                                        ; implicit-def: $sgpr10
	s_and_saveexec_b64 s[8:9], s[12:13]
; %bb.3738:
	s_mov_b32 s10, 0x7f800001
	s_xor_b64 s[4:5], exec, -1
; %bb.3739:
	s_or_b64 exec, exec, s[8:9]
	s_and_b64 s[4:5], s[4:5], exec
	s_or_saveexec_b64 s[6:7], s[6:7]
	v_mov_b32_e32 v10, s10
	s_xor_b64 exec, exec, s[6:7]
	s_cbranch_execz .LBB51_1690
.LBB51_3740:
	v_mov_b32_e32 v10, 0
	v_cmp_ne_u16_sdwa s[8:9], v6, v10 src0_sel:BYTE_3 src1_sel:DWORD
	s_andn2_b64 s[4:5], s[4:5], exec
	s_and_b64 s[8:9], s[8:9], exec
	s_or_b64 s[4:5], s[4:5], s[8:9]
	s_or_b64 exec, exec, s[6:7]
	s_and_saveexec_b64 s[6:7], s[4:5]
	s_cbranch_execnz .LBB51_1691
	s_branch .LBB51_1692
.LBB51_3741:
	s_movk_i32 s4, 0x80
	v_cmp_eq_u16_sdwa s[12:13], v2, s4 src0_sel:BYTE_3 src1_sel:DWORD
	s_mov_b64 s[4:5], -1
                                        ; implicit-def: $sgpr10
	s_and_saveexec_b64 s[8:9], s[12:13]
; %bb.3742:
	s_mov_b32 s10, 0x7f800001
	s_xor_b64 s[4:5], exec, -1
; %bb.3743:
	s_or_b64 exec, exec, s[8:9]
	s_and_b64 s[4:5], s[4:5], exec
	s_or_saveexec_b64 s[6:7], s[6:7]
	v_mov_b32_e32 v6, s10
	s_xor_b64 exec, exec, s[6:7]
	s_cbranch_execz .LBB51_1694
.LBB51_3744:
	v_mov_b32_e32 v6, 0
	v_cmp_ne_u16_sdwa s[8:9], v2, v6 src0_sel:BYTE_3 src1_sel:DWORD
	s_andn2_b64 s[4:5], s[4:5], exec
	s_and_b64 s[8:9], s[8:9], exec
	s_or_b64 s[4:5], s[4:5], s[8:9]
	s_or_b64 exec, exec, s[6:7]
	s_and_saveexec_b64 s[6:7], s[4:5]
	s_cbranch_execnz .LBB51_1695
	s_branch .LBB51_1696
.LBB51_3745:
	s_movk_i32 s4, 0x80
	v_cmp_eq_u16_sdwa s[12:13], v7, s4 src0_sel:BYTE_0 src1_sel:DWORD
	s_mov_b64 s[4:5], -1
                                        ; implicit-def: $sgpr10
	s_and_saveexec_b64 s[8:9], s[12:13]
; %bb.3746:
	s_mov_b32 s10, 0x7f800001
	s_xor_b64 s[4:5], exec, -1
; %bb.3747:
	s_or_b64 exec, exec, s[8:9]
	s_and_b64 s[4:5], s[4:5], exec
	s_or_saveexec_b64 s[6:7], s[6:7]
	v_mov_b32_e32 v2, s10
	s_xor_b64 exec, exec, s[6:7]
	s_cbranch_execz .LBB51_1698
.LBB51_3748:
	v_mov_b32_e32 v2, 0
	v_cmp_ne_u16_sdwa s[8:9], v7, v2 src0_sel:BYTE_0 src1_sel:DWORD
	s_andn2_b64 s[4:5], s[4:5], exec
	s_and_b64 s[8:9], s[8:9], exec
	s_or_b64 s[4:5], s[4:5], s[8:9]
	s_or_b64 exec, exec, s[6:7]
	s_and_saveexec_b64 s[6:7], s[4:5]
	s_cbranch_execnz .LBB51_1699
	s_branch .LBB51_1700
.LBB51_3749:
	s_movk_i32 s4, 0x80
	v_cmp_eq_u16_sdwa s[12:13], v3, s4 src0_sel:BYTE_0 src1_sel:DWORD
	s_mov_b64 s[4:5], -1
                                        ; implicit-def: $sgpr10
	s_and_saveexec_b64 s[8:9], s[12:13]
; %bb.3750:
	s_mov_b32 s10, 0x7f800001
	s_xor_b64 s[4:5], exec, -1
; %bb.3751:
	s_or_b64 exec, exec, s[8:9]
	s_and_b64 s[4:5], s[4:5], exec
	s_or_saveexec_b64 s[6:7], s[6:7]
	v_mov_b32_e32 v6, s10
	s_xor_b64 exec, exec, s[6:7]
	s_cbranch_execz .LBB51_1702
.LBB51_3752:
	v_mov_b32_e32 v6, 0
	v_cmp_ne_u16_sdwa s[8:9], v3, v6 src0_sel:BYTE_0 src1_sel:DWORD
	s_andn2_b64 s[4:5], s[4:5], exec
	s_and_b64 s[8:9], s[8:9], exec
	s_or_b64 s[4:5], s[4:5], s[8:9]
	s_or_b64 exec, exec, s[6:7]
	s_and_saveexec_b64 s[6:7], s[4:5]
	s_cbranch_execnz .LBB51_1703
	s_branch .LBB51_1704
.LBB51_3753:
	s_movk_i32 s4, 0x80
	v_cmp_eq_u16_sdwa s[12:13], v6, s4 src0_sel:BYTE_0 src1_sel:DWORD
	s_mov_b64 s[4:5], -1
                                        ; implicit-def: $sgpr10
	s_and_saveexec_b64 s[8:9], s[12:13]
; %bb.3754:
	s_mov_b32 s10, 0x7f800001
	s_xor_b64 s[4:5], exec, -1
; %bb.3755:
	s_or_b64 exec, exec, s[8:9]
	s_and_b64 s[4:5], s[4:5], exec
	s_or_saveexec_b64 s[6:7], s[6:7]
	v_mov_b32_e32 v2, s10
	s_xor_b64 exec, exec, s[6:7]
	s_cbranch_execz .LBB51_1706
.LBB51_3756:
	v_mov_b32_e32 v2, 0
	v_cmp_ne_u16_sdwa s[8:9], v6, v2 src0_sel:BYTE_0 src1_sel:DWORD
	s_andn2_b64 s[4:5], s[4:5], exec
	s_and_b64 s[8:9], s[8:9], exec
	s_or_b64 s[4:5], s[4:5], s[8:9]
	s_or_b64 exec, exec, s[6:7]
	s_and_saveexec_b64 s[6:7], s[4:5]
	s_cbranch_execnz .LBB51_1707
	s_branch .LBB51_1708
.LBB51_3757:
	s_movk_i32 s4, 0x80
	v_cmp_eq_u16_sdwa s[12:13], v6, s4 src0_sel:BYTE_0 src1_sel:DWORD
	s_mov_b64 s[4:5], -1
                                        ; implicit-def: $sgpr10
	s_and_saveexec_b64 s[8:9], s[12:13]
; %bb.3758:
	s_mov_b32 s10, 0x7f800001
	s_xor_b64 s[4:5], exec, -1
; %bb.3759:
	s_or_b64 exec, exec, s[8:9]
	s_and_b64 s[4:5], s[4:5], exec
	s_or_saveexec_b64 s[6:7], s[6:7]
	v_mov_b32_e32 v10, s10
	s_xor_b64 exec, exec, s[6:7]
	s_cbranch_execz .LBB51_1710
.LBB51_3760:
	v_mov_b32_e32 v10, 0
	v_cmp_ne_u16_sdwa s[8:9], v6, v10 src0_sel:BYTE_0 src1_sel:DWORD
	s_andn2_b64 s[4:5], s[4:5], exec
	s_and_b64 s[8:9], s[8:9], exec
	s_or_b64 s[4:5], s[4:5], s[8:9]
	s_or_b64 exec, exec, s[6:7]
	s_and_saveexec_b64 s[6:7], s[4:5]
	s_cbranch_execnz .LBB51_1711
	s_branch .LBB51_1712
.LBB51_3761:
	s_movk_i32 s4, 0x80
	v_cmp_eq_u16_e32 vcc, s4, v6
	s_mov_b64 s[4:5], -1
                                        ; implicit-def: $sgpr10
	s_and_saveexec_b64 s[8:9], vcc
; %bb.3762:
	s_mov_b32 s10, 0x7f800001
	s_xor_b64 s[4:5], exec, -1
; %bb.3763:
	s_or_b64 exec, exec, s[8:9]
	s_and_b64 s[4:5], s[4:5], exec
                                        ; implicit-def: $vgpr6
	s_or_saveexec_b64 s[6:7], s[6:7]
	v_mov_b32_e32 v2, s10
	s_xor_b64 exec, exec, s[6:7]
	s_cbranch_execz .LBB51_1714
.LBB51_3764:
	v_cmp_ne_u16_e32 vcc, 0, v6
	s_andn2_b64 s[4:5], s[4:5], exec
	s_and_b64 s[8:9], vcc, exec
	v_mov_b32_e32 v2, 0
	s_or_b64 s[4:5], s[4:5], s[8:9]
	s_or_b64 exec, exec, s[6:7]
	s_and_saveexec_b64 s[6:7], s[4:5]
	s_cbranch_execnz .LBB51_1715
	s_branch .LBB51_1716
.LBB51_3765:
	s_movk_i32 s4, 0x80
	v_cmp_eq_u16_e32 vcc, s4, v6
	s_mov_b64 s[4:5], -1
                                        ; implicit-def: $sgpr10
	s_and_saveexec_b64 s[8:9], vcc
; %bb.3766:
	s_mov_b32 s10, 0x7f800001
	s_xor_b64 s[4:5], exec, -1
; %bb.3767:
	s_or_b64 exec, exec, s[8:9]
	s_and_b64 s[4:5], s[4:5], exec
                                        ; implicit-def: $vgpr6
	s_or_saveexec_b64 s[6:7], s[6:7]
	v_mov_b32_e32 v10, s10
	s_xor_b64 exec, exec, s[6:7]
	s_cbranch_execz .LBB51_1718
.LBB51_3768:
	v_cmp_ne_u16_e32 vcc, 0, v6
	s_andn2_b64 s[4:5], s[4:5], exec
	s_and_b64 s[8:9], vcc, exec
	v_mov_b32_e32 v10, 0
	s_or_b64 s[4:5], s[4:5], s[8:9]
	s_or_b64 exec, exec, s[6:7]
	s_and_saveexec_b64 s[6:7], s[4:5]
	s_cbranch_execnz .LBB51_1719
	s_branch .LBB51_1720
.LBB51_3769:
	s_movk_i32 s4, 0x80
	v_cmp_eq_u16_sdwa s[12:13], v7, s4 src0_sel:BYTE_3 src1_sel:DWORD
	s_mov_b64 s[4:5], -1
                                        ; implicit-def: $sgpr10
	s_and_saveexec_b64 s[8:9], s[12:13]
; %bb.3770:
	s_mov_b32 s10, 0x7f800001
	s_xor_b64 s[4:5], exec, -1
; %bb.3771:
	s_or_b64 exec, exec, s[8:9]
	s_and_b64 s[4:5], s[4:5], exec
	s_or_saveexec_b64 s[6:7], s[6:7]
	v_mov_b32_e32 v2, s10
	s_xor_b64 exec, exec, s[6:7]
	s_cbranch_execz .LBB51_1722
.LBB51_3772:
	v_mov_b32_e32 v2, 0
	v_cmp_ne_u16_sdwa s[8:9], v7, v2 src0_sel:BYTE_3 src1_sel:DWORD
	s_andn2_b64 s[4:5], s[4:5], exec
	s_and_b64 s[8:9], s[8:9], exec
	s_or_b64 s[4:5], s[4:5], s[8:9]
	s_or_b64 exec, exec, s[6:7]
	s_and_saveexec_b64 s[6:7], s[4:5]
	s_cbranch_execnz .LBB51_1723
	s_branch .LBB51_1724
.LBB51_3773:
	s_movk_i32 s4, 0x80
	v_cmp_eq_u16_sdwa s[12:13], v3, s4 src0_sel:BYTE_3 src1_sel:DWORD
	s_mov_b64 s[4:5], -1
                                        ; implicit-def: $sgpr10
	s_and_saveexec_b64 s[8:9], s[12:13]
; %bb.3774:
	s_mov_b32 s10, 0x7f800001
	s_xor_b64 s[4:5], exec, -1
; %bb.3775:
	s_or_b64 exec, exec, s[8:9]
	s_and_b64 s[4:5], s[4:5], exec
	s_or_saveexec_b64 s[6:7], s[6:7]
	v_mov_b32_e32 v6, s10
	s_xor_b64 exec, exec, s[6:7]
	s_cbranch_execz .LBB51_1726
.LBB51_3776:
	v_mov_b32_e32 v6, 0
	v_cmp_ne_u16_sdwa s[8:9], v3, v6 src0_sel:BYTE_3 src1_sel:DWORD
	s_andn2_b64 s[4:5], s[4:5], exec
	s_and_b64 s[8:9], s[8:9], exec
	s_or_b64 s[4:5], s[4:5], s[8:9]
	s_or_b64 exec, exec, s[6:7]
	s_and_saveexec_b64 s[6:7], s[4:5]
	s_cbranch_execnz .LBB51_1727
	s_branch .LBB51_1728
.LBB51_3777:
	s_movk_i32 s4, 0x80
	v_cmp_eq_u16_sdwa s[12:13], v8, s4 src0_sel:BYTE_0 src1_sel:DWORD
	s_mov_b64 s[4:5], -1
                                        ; implicit-def: $sgpr10
	s_and_saveexec_b64 s[8:9], s[12:13]
; %bb.3778:
	s_mov_b32 s10, 0x7f800001
	s_xor_b64 s[4:5], exec, -1
; %bb.3779:
	s_or_b64 exec, exec, s[8:9]
	s_and_b64 s[4:5], s[4:5], exec
	s_or_saveexec_b64 s[6:7], s[6:7]
	v_mov_b32_e32 v2, s10
	s_xor_b64 exec, exec, s[6:7]
	s_cbranch_execz .LBB51_1730
.LBB51_3780:
	v_mov_b32_e32 v2, 0
	v_cmp_ne_u16_sdwa s[8:9], v8, v2 src0_sel:BYTE_0 src1_sel:DWORD
	s_andn2_b64 s[4:5], s[4:5], exec
	s_and_b64 s[8:9], s[8:9], exec
	s_or_b64 s[4:5], s[4:5], s[8:9]
	s_or_b64 exec, exec, s[6:7]
	s_and_saveexec_b64 s[6:7], s[4:5]
	s_cbranch_execnz .LBB51_1731
	s_branch .LBB51_1732
.LBB51_3781:
	s_movk_i32 s4, 0x80
	v_cmp_eq_u16_sdwa s[12:13], v4, s4 src0_sel:BYTE_0 src1_sel:DWORD
	s_mov_b64 s[4:5], -1
                                        ; implicit-def: $sgpr10
	s_and_saveexec_b64 s[8:9], s[12:13]
; %bb.3782:
	s_mov_b32 s10, 0x7f800001
	s_xor_b64 s[4:5], exec, -1
; %bb.3783:
	s_or_b64 exec, exec, s[8:9]
	s_and_b64 s[4:5], s[4:5], exec
	s_or_saveexec_b64 s[6:7], s[6:7]
	v_mov_b32_e32 v3, s10
	s_xor_b64 exec, exec, s[6:7]
	s_cbranch_execz .LBB51_1734
.LBB51_3784:
	v_mov_b32_e32 v3, 0
	v_cmp_ne_u16_sdwa s[8:9], v4, v3 src0_sel:BYTE_0 src1_sel:DWORD
	s_andn2_b64 s[4:5], s[4:5], exec
	s_and_b64 s[8:9], s[8:9], exec
	s_or_b64 s[4:5], s[4:5], s[8:9]
	s_or_b64 exec, exec, s[6:7]
	s_and_saveexec_b64 s[6:7], s[4:5]
	s_cbranch_execnz .LBB51_1735
	s_branch .LBB51_1736
.LBB51_3785:
	s_movk_i32 s4, 0x80
	v_cmp_eq_u16_sdwa s[12:13], v3, s4 src0_sel:BYTE_0 src1_sel:DWORD
	s_mov_b64 s[4:5], -1
                                        ; implicit-def: $sgpr10
	s_and_saveexec_b64 s[8:9], s[12:13]
; %bb.3786:
	s_mov_b32 s10, 0x7f800001
	s_xor_b64 s[4:5], exec, -1
; %bb.3787:
	s_or_b64 exec, exec, s[8:9]
	s_and_b64 s[4:5], s[4:5], exec
	s_or_saveexec_b64 s[6:7], s[6:7]
	v_mov_b32_e32 v2, s10
	s_xor_b64 exec, exec, s[6:7]
	s_cbranch_execz .LBB51_1738
.LBB51_3788:
	v_mov_b32_e32 v2, 0
	v_cmp_ne_u16_sdwa s[8:9], v3, v2 src0_sel:BYTE_0 src1_sel:DWORD
	s_andn2_b64 s[4:5], s[4:5], exec
	s_and_b64 s[8:9], s[8:9], exec
	s_or_b64 s[4:5], s[4:5], s[8:9]
	s_or_b64 exec, exec, s[6:7]
	s_and_saveexec_b64 s[6:7], s[4:5]
	s_cbranch_execnz .LBB51_1739
	s_branch .LBB51_1740
.LBB51_3789:
	s_movk_i32 s4, 0x80
	v_cmp_eq_u16_sdwa s[12:13], v3, s4 src0_sel:BYTE_0 src1_sel:DWORD
	s_mov_b64 s[4:5], -1
                                        ; implicit-def: $sgpr10
	s_and_saveexec_b64 s[8:9], s[12:13]
; %bb.3790:
	s_mov_b32 s10, 0x7f800001
	s_xor_b64 s[4:5], exec, -1
; %bb.3791:
	s_or_b64 exec, exec, s[8:9]
	s_and_b64 s[4:5], s[4:5], exec
	s_or_saveexec_b64 s[6:7], s[6:7]
	v_mov_b32_e32 v6, s10
	s_xor_b64 exec, exec, s[6:7]
	s_cbranch_execz .LBB51_1742
.LBB51_3792:
	v_mov_b32_e32 v6, 0
	v_cmp_ne_u16_sdwa s[8:9], v3, v6 src0_sel:BYTE_0 src1_sel:DWORD
	s_andn2_b64 s[4:5], s[4:5], exec
	s_and_b64 s[8:9], s[8:9], exec
	s_or_b64 s[4:5], s[4:5], s[8:9]
	s_or_b64 exec, exec, s[6:7]
	s_and_saveexec_b64 s[6:7], s[4:5]
	s_cbranch_execnz .LBB51_1743
	s_branch .LBB51_1744
.LBB51_3793:
	s_movk_i32 s4, 0x80
	v_cmp_eq_u16_e32 vcc, s4, v3
	s_mov_b64 s[4:5], -1
                                        ; implicit-def: $sgpr10
	s_and_saveexec_b64 s[8:9], vcc
; %bb.3794:
	s_mov_b32 s10, 0x7f800001
	s_xor_b64 s[4:5], exec, -1
; %bb.3795:
	s_or_b64 exec, exec, s[8:9]
	s_and_b64 s[4:5], s[4:5], exec
                                        ; implicit-def: $vgpr3
	s_or_saveexec_b64 s[6:7], s[6:7]
	v_mov_b32_e32 v2, s10
	s_xor_b64 exec, exec, s[6:7]
	s_cbranch_execz .LBB51_1746
.LBB51_3796:
	v_cmp_ne_u16_e32 vcc, 0, v3
	s_andn2_b64 s[4:5], s[4:5], exec
	s_and_b64 s[8:9], vcc, exec
	v_mov_b32_e32 v2, 0
	s_or_b64 s[4:5], s[4:5], s[8:9]
	s_or_b64 exec, exec, s[6:7]
	s_and_saveexec_b64 s[6:7], s[4:5]
	s_cbranch_execnz .LBB51_1747
	s_branch .LBB51_1748
.LBB51_3797:
	s_movk_i32 s4, 0x80
	v_cmp_eq_u16_e32 vcc, s4, v3
	s_mov_b64 s[4:5], -1
                                        ; implicit-def: $sgpr10
	s_and_saveexec_b64 s[8:9], vcc
; %bb.3798:
	s_mov_b32 s10, 0x7f800001
	s_xor_b64 s[4:5], exec, -1
; %bb.3799:
	s_or_b64 exec, exec, s[8:9]
	s_and_b64 s[4:5], s[4:5], exec
                                        ; implicit-def: $vgpr3
	s_or_saveexec_b64 s[6:7], s[6:7]
	v_mov_b32_e32 v6, s10
	s_xor_b64 exec, exec, s[6:7]
	s_cbranch_execz .LBB51_1750
.LBB51_3800:
	v_cmp_ne_u16_e32 vcc, 0, v3
	s_andn2_b64 s[4:5], s[4:5], exec
	s_and_b64 s[8:9], vcc, exec
	v_mov_b32_e32 v6, 0
	s_or_b64 s[4:5], s[4:5], s[8:9]
	s_or_b64 exec, exec, s[6:7]
	s_and_saveexec_b64 s[6:7], s[4:5]
	s_cbranch_execnz .LBB51_1751
	s_branch .LBB51_1752
.LBB51_3801:
	s_movk_i32 s4, 0x80
	v_cmp_eq_u16_sdwa s[12:13], v8, s4 src0_sel:BYTE_3 src1_sel:DWORD
	s_mov_b64 s[4:5], -1
                                        ; implicit-def: $sgpr10
	s_and_saveexec_b64 s[8:9], s[12:13]
; %bb.3802:
	s_mov_b32 s10, 0x7f800001
	s_xor_b64 s[4:5], exec, -1
; %bb.3803:
	s_or_b64 exec, exec, s[8:9]
	s_and_b64 s[4:5], s[4:5], exec
	s_or_saveexec_b64 s[6:7], s[6:7]
	v_mov_b32_e32 v2, s10
	s_xor_b64 exec, exec, s[6:7]
	s_cbranch_execz .LBB51_1754
.LBB51_3804:
	v_mov_b32_e32 v2, 0
	v_cmp_ne_u16_sdwa s[8:9], v8, v2 src0_sel:BYTE_3 src1_sel:DWORD
	s_andn2_b64 s[4:5], s[4:5], exec
	s_and_b64 s[8:9], s[8:9], exec
	s_or_b64 s[4:5], s[4:5], s[8:9]
	s_or_b64 exec, exec, s[6:7]
	s_and_saveexec_b64 s[6:7], s[4:5]
	s_cbranch_execnz .LBB51_1755
	s_branch .LBB51_1756
.LBB51_3805:
	s_movk_i32 s4, 0x80
	v_cmp_eq_u16_sdwa s[12:13], v4, s4 src0_sel:BYTE_3 src1_sel:DWORD
	s_mov_b64 s[4:5], -1
                                        ; implicit-def: $sgpr10
	s_and_saveexec_b64 s[8:9], s[12:13]
; %bb.3806:
	s_mov_b32 s10, 0x7f800001
	s_xor_b64 s[4:5], exec, -1
; %bb.3807:
	s_or_b64 exec, exec, s[8:9]
	s_and_b64 s[4:5], s[4:5], exec
	s_or_saveexec_b64 s[6:7], s[6:7]
	v_mov_b32_e32 v3, s10
	s_xor_b64 exec, exec, s[6:7]
	s_cbranch_execz .LBB51_1758
.LBB51_3808:
	v_mov_b32_e32 v3, 0
	v_cmp_ne_u16_sdwa s[8:9], v4, v3 src0_sel:BYTE_3 src1_sel:DWORD
	s_andn2_b64 s[4:5], s[4:5], exec
	s_and_b64 s[8:9], s[8:9], exec
	s_or_b64 s[4:5], s[4:5], s[8:9]
	s_or_b64 exec, exec, s[6:7]
	s_and_saveexec_b64 s[6:7], s[4:5]
	s_cbranch_execnz .LBB51_1759
	s_branch .LBB51_1760
.LBB51_3809:
	s_movk_i32 s4, 0x80
	v_cmp_eq_u16_sdwa s[12:13], v9, s4 src0_sel:BYTE_0 src1_sel:DWORD
	s_mov_b64 s[4:5], -1
                                        ; implicit-def: $sgpr10
	s_and_saveexec_b64 s[8:9], s[12:13]
; %bb.3810:
	s_mov_b32 s10, 0x7f800001
	s_xor_b64 s[4:5], exec, -1
; %bb.3811:
	s_or_b64 exec, exec, s[8:9]
	s_and_b64 s[4:5], s[4:5], exec
	s_or_saveexec_b64 s[6:7], s[6:7]
	v_mov_b32_e32 v2, s10
	s_xor_b64 exec, exec, s[6:7]
	s_cbranch_execz .LBB51_1762
.LBB51_3812:
	v_mov_b32_e32 v2, 0
	v_cmp_ne_u16_sdwa s[8:9], v9, v2 src0_sel:BYTE_0 src1_sel:DWORD
	s_andn2_b64 s[4:5], s[4:5], exec
	s_and_b64 s[8:9], s[8:9], exec
	s_or_b64 s[4:5], s[4:5], s[8:9]
	s_or_b64 exec, exec, s[6:7]
	s_and_saveexec_b64 s[6:7], s[4:5]
	s_cbranch_execnz .LBB51_1763
	s_branch .LBB51_1764
.LBB51_3813:
	s_movk_i32 s4, 0x80
	v_cmp_eq_u16_sdwa s[12:13], v5, s4 src0_sel:BYTE_0 src1_sel:DWORD
	s_mov_b64 s[4:5], -1
                                        ; implicit-def: $sgpr10
	s_and_saveexec_b64 s[8:9], s[12:13]
; %bb.3814:
	s_mov_b32 s10, 0x7f800001
	s_xor_b64 s[4:5], exec, -1
; %bb.3815:
	s_or_b64 exec, exec, s[8:9]
	s_and_b64 s[4:5], s[4:5], exec
	s_or_saveexec_b64 s[6:7], s[6:7]
	v_mov_b32_e32 v3, s10
	s_xor_b64 exec, exec, s[6:7]
	s_cbranch_execz .LBB51_1766
.LBB51_3816:
	v_mov_b32_e32 v3, 0
	v_cmp_ne_u16_sdwa s[8:9], v5, v3 src0_sel:BYTE_0 src1_sel:DWORD
	s_andn2_b64 s[4:5], s[4:5], exec
	s_and_b64 s[8:9], s[8:9], exec
	s_or_b64 s[4:5], s[4:5], s[8:9]
	s_or_b64 exec, exec, s[6:7]
	s_and_saveexec_b64 s[6:7], s[4:5]
	s_cbranch_execnz .LBB51_1767
	s_branch .LBB51_1768
.LBB51_3817:
	s_movk_i32 s4, 0x80
	v_cmp_eq_u16_sdwa s[12:13], v3, s4 src0_sel:BYTE_0 src1_sel:DWORD
	s_mov_b64 s[4:5], -1
                                        ; implicit-def: $sgpr10
	s_and_saveexec_b64 s[8:9], s[12:13]
; %bb.3818:
	s_mov_b32 s10, 0x7f800001
	s_xor_b64 s[4:5], exec, -1
; %bb.3819:
	s_or_b64 exec, exec, s[8:9]
	s_and_b64 s[4:5], s[4:5], exec
	s_or_saveexec_b64 s[6:7], s[6:7]
	v_mov_b32_e32 v2, s10
	s_xor_b64 exec, exec, s[6:7]
	s_cbranch_execz .LBB51_1770
.LBB51_3820:
	v_mov_b32_e32 v2, 0
	v_cmp_ne_u16_sdwa s[8:9], v3, v2 src0_sel:BYTE_0 src1_sel:DWORD
	s_andn2_b64 s[4:5], s[4:5], exec
	s_and_b64 s[8:9], s[8:9], exec
	s_or_b64 s[4:5], s[4:5], s[8:9]
	s_or_b64 exec, exec, s[6:7]
	s_and_saveexec_b64 s[6:7], s[4:5]
	s_cbranch_execnz .LBB51_1771
	s_branch .LBB51_1772
.LBB51_3821:
	s_movk_i32 s4, 0x80
	v_cmp_eq_u16_sdwa s[12:13], v3, s4 src0_sel:BYTE_0 src1_sel:DWORD
	s_mov_b64 s[4:5], -1
                                        ; implicit-def: $sgpr10
	s_and_saveexec_b64 s[8:9], s[12:13]
; %bb.3822:
	s_mov_b32 s10, 0x7f800001
	s_xor_b64 s[4:5], exec, -1
; %bb.3823:
	s_or_b64 exec, exec, s[8:9]
	s_and_b64 s[4:5], s[4:5], exec
	s_or_saveexec_b64 s[6:7], s[6:7]
	v_mov_b32_e32 v4, s10
	s_xor_b64 exec, exec, s[6:7]
	s_cbranch_execz .LBB51_1774
.LBB51_3824:
	v_mov_b32_e32 v4, 0
	v_cmp_ne_u16_sdwa s[8:9], v3, v4 src0_sel:BYTE_0 src1_sel:DWORD
	s_andn2_b64 s[4:5], s[4:5], exec
	s_and_b64 s[8:9], s[8:9], exec
	s_or_b64 s[4:5], s[4:5], s[8:9]
	s_or_b64 exec, exec, s[6:7]
	s_and_saveexec_b64 s[6:7], s[4:5]
	s_cbranch_execnz .LBB51_1775
	s_branch .LBB51_1776
.LBB51_3825:
	s_movk_i32 s4, 0x80
	v_cmp_eq_u16_e32 vcc, s4, v3
	s_mov_b64 s[4:5], -1
                                        ; implicit-def: $sgpr10
	s_and_saveexec_b64 s[8:9], vcc
; %bb.3826:
	s_mov_b32 s10, 0x7f800001
	s_xor_b64 s[4:5], exec, -1
; %bb.3827:
	s_or_b64 exec, exec, s[8:9]
	s_and_b64 s[4:5], s[4:5], exec
                                        ; implicit-def: $vgpr3
	s_or_saveexec_b64 s[6:7], s[6:7]
	v_mov_b32_e32 v2, s10
	s_xor_b64 exec, exec, s[6:7]
	s_cbranch_execz .LBB51_1778
.LBB51_3828:
	v_cmp_ne_u16_e32 vcc, 0, v3
	s_andn2_b64 s[4:5], s[4:5], exec
	s_and_b64 s[8:9], vcc, exec
	v_mov_b32_e32 v2, 0
	s_or_b64 s[4:5], s[4:5], s[8:9]
	s_or_b64 exec, exec, s[6:7]
	s_and_saveexec_b64 s[6:7], s[4:5]
	s_cbranch_execnz .LBB51_1779
	s_branch .LBB51_1780
.LBB51_3829:
	s_movk_i32 s4, 0x80
	v_cmp_eq_u16_e32 vcc, s4, v3
	s_mov_b64 s[4:5], -1
                                        ; implicit-def: $sgpr10
	s_and_saveexec_b64 s[8:9], vcc
; %bb.3830:
	s_mov_b32 s10, 0x7f800001
	s_xor_b64 s[4:5], exec, -1
; %bb.3831:
	s_or_b64 exec, exec, s[8:9]
	s_and_b64 s[4:5], s[4:5], exec
                                        ; implicit-def: $vgpr3
	s_or_saveexec_b64 s[6:7], s[6:7]
	v_mov_b32_e32 v4, s10
	s_xor_b64 exec, exec, s[6:7]
	s_cbranch_execz .LBB51_1782
.LBB51_3832:
	v_cmp_ne_u16_e32 vcc, 0, v3
	s_andn2_b64 s[4:5], s[4:5], exec
	s_and_b64 s[8:9], vcc, exec
	v_mov_b32_e32 v4, 0
	s_or_b64 s[4:5], s[4:5], s[8:9]
	s_or_b64 exec, exec, s[6:7]
	s_and_saveexec_b64 s[6:7], s[4:5]
	s_cbranch_execnz .LBB51_1783
	s_branch .LBB51_1784
.LBB51_3833:
	s_movk_i32 s4, 0x80
	v_cmp_eq_u16_sdwa s[12:13], v9, s4 src0_sel:BYTE_3 src1_sel:DWORD
	s_mov_b64 s[4:5], -1
                                        ; implicit-def: $sgpr10
	s_and_saveexec_b64 s[8:9], s[12:13]
; %bb.3834:
	s_mov_b32 s10, 0x7f800001
	s_xor_b64 s[4:5], exec, -1
; %bb.3835:
	s_or_b64 exec, exec, s[8:9]
	s_and_b64 s[4:5], s[4:5], exec
	s_or_saveexec_b64 s[6:7], s[6:7]
	v_mov_b32_e32 v2, s10
	s_xor_b64 exec, exec, s[6:7]
	s_cbranch_execz .LBB51_1786
.LBB51_3836:
	v_mov_b32_e32 v2, 0
	v_cmp_ne_u16_sdwa s[8:9], v9, v2 src0_sel:BYTE_3 src1_sel:DWORD
	s_andn2_b64 s[4:5], s[4:5], exec
	s_and_b64 s[8:9], s[8:9], exec
	s_or_b64 s[4:5], s[4:5], s[8:9]
	s_or_b64 exec, exec, s[6:7]
	s_and_saveexec_b64 s[6:7], s[4:5]
	s_cbranch_execnz .LBB51_1787
	s_branch .LBB51_1788
.LBB51_3837:
	s_movk_i32 s4, 0x80
	v_cmp_eq_u16_sdwa s[12:13], v5, s4 src0_sel:BYTE_3 src1_sel:DWORD
	s_mov_b64 s[4:5], -1
                                        ; implicit-def: $sgpr10
	s_and_saveexec_b64 s[8:9], s[12:13]
; %bb.3838:
	s_mov_b32 s10, 0x7f800001
	s_xor_b64 s[4:5], exec, -1
; %bb.3839:
	s_or_b64 exec, exec, s[8:9]
	s_and_b64 s[4:5], s[4:5], exec
	s_or_saveexec_b64 s[6:7], s[6:7]
	v_mov_b32_e32 v3, s10
	s_xor_b64 exec, exec, s[6:7]
	s_cbranch_execz .LBB51_1790
.LBB51_3840:
	v_mov_b32_e32 v3, 0
	v_cmp_ne_u16_sdwa s[8:9], v5, v3 src0_sel:BYTE_3 src1_sel:DWORD
	s_andn2_b64 s[4:5], s[4:5], exec
	s_and_b64 s[8:9], s[8:9], exec
	s_or_b64 s[4:5], s[4:5], s[8:9]
	s_or_b64 exec, exec, s[6:7]
	s_and_saveexec_b64 s[6:7], s[4:5]
	s_cbranch_execnz .LBB51_1791
	s_branch .LBB51_1792
.LBB51_3841:
	s_movk_i32 s4, 0x80
	v_cmp_eq_u16_sdwa s[12:13], v12, s4 src0_sel:BYTE_0 src1_sel:DWORD
	s_mov_b64 s[4:5], -1
                                        ; implicit-def: $sgpr10
	s_and_saveexec_b64 s[8:9], s[12:13]
; %bb.3842:
	s_mov_b32 s10, 0x7f800001
	s_xor_b64 s[4:5], exec, -1
; %bb.3843:
	s_or_b64 exec, exec, s[8:9]
	s_and_b64 s[4:5], s[4:5], exec
	s_or_saveexec_b64 s[6:7], s[6:7]
	v_mov_b32_e32 v18, s10
	s_xor_b64 exec, exec, s[6:7]
	s_cbranch_execz .LBB51_1794
.LBB51_3844:
	v_mov_b32_e32 v18, 0
	v_cmp_ne_u16_sdwa s[8:9], v12, v18 src0_sel:BYTE_0 src1_sel:DWORD
	s_andn2_b64 s[4:5], s[4:5], exec
	s_and_b64 s[8:9], s[8:9], exec
	s_or_b64 s[4:5], s[4:5], s[8:9]
	s_or_b64 exec, exec, s[6:7]
	s_and_saveexec_b64 s[6:7], s[4:5]
	s_cbranch_execnz .LBB51_1795
	s_branch .LBB51_1796
.LBB51_3845:
	s_movk_i32 s4, 0x80
	v_cmp_eq_u16_sdwa s[12:13], v8, s4 src0_sel:BYTE_0 src1_sel:DWORD
	s_mov_b64 s[4:5], -1
                                        ; implicit-def: $sgpr10
	s_and_saveexec_b64 s[8:9], s[12:13]
; %bb.3846:
	s_mov_b32 s10, 0x7f800001
	s_xor_b64 s[4:5], exec, -1
; %bb.3847:
	s_or_b64 exec, exec, s[8:9]
	s_and_b64 s[4:5], s[4:5], exec
	s_or_saveexec_b64 s[6:7], s[6:7]
	v_mov_b32_e32 v19, s10
	s_xor_b64 exec, exec, s[6:7]
	s_cbranch_execz .LBB51_1798
.LBB51_3848:
	v_mov_b32_e32 v19, 0
	v_cmp_ne_u16_sdwa s[8:9], v8, v19 src0_sel:BYTE_0 src1_sel:DWORD
	s_andn2_b64 s[4:5], s[4:5], exec
	s_and_b64 s[8:9], s[8:9], exec
	s_or_b64 s[4:5], s[4:5], s[8:9]
	s_or_b64 exec, exec, s[6:7]
	s_and_saveexec_b64 s[6:7], s[4:5]
	s_cbranch_execnz .LBB51_1799
	s_branch .LBB51_1800
.LBB51_3849:
	s_movk_i32 s4, 0x80
	v_cmp_eq_u16_sdwa s[12:13], v19, s4 src0_sel:BYTE_0 src1_sel:DWORD
	s_mov_b64 s[4:5], -1
                                        ; implicit-def: $sgpr10
	s_and_saveexec_b64 s[8:9], s[12:13]
; %bb.3850:
	s_mov_b32 s10, 0x7f800001
	s_xor_b64 s[4:5], exec, -1
; %bb.3851:
	s_or_b64 exec, exec, s[8:9]
	s_and_b64 s[4:5], s[4:5], exec
	s_or_saveexec_b64 s[6:7], s[6:7]
	v_mov_b32_e32 v18, s10
	s_xor_b64 exec, exec, s[6:7]
	s_cbranch_execz .LBB51_1802
.LBB51_3852:
	v_mov_b32_e32 v18, 0
	v_cmp_ne_u16_sdwa s[8:9], v19, v18 src0_sel:BYTE_0 src1_sel:DWORD
	s_andn2_b64 s[4:5], s[4:5], exec
	s_and_b64 s[8:9], s[8:9], exec
	s_or_b64 s[4:5], s[4:5], s[8:9]
	s_or_b64 exec, exec, s[6:7]
	s_and_saveexec_b64 s[6:7], s[4:5]
	s_cbranch_execnz .LBB51_1803
	s_branch .LBB51_1804
.LBB51_3853:
	s_movk_i32 s4, 0x80
	v_cmp_eq_u16_sdwa s[12:13], v19, s4 src0_sel:BYTE_0 src1_sel:DWORD
	s_mov_b64 s[4:5], -1
                                        ; implicit-def: $sgpr10
	s_and_saveexec_b64 s[8:9], s[12:13]
; %bb.3854:
	s_mov_b32 s10, 0x7f800001
	s_xor_b64 s[4:5], exec, -1
; %bb.3855:
	s_or_b64 exec, exec, s[8:9]
	s_and_b64 s[4:5], s[4:5], exec
	s_or_saveexec_b64 s[6:7], s[6:7]
	v_mov_b32_e32 v20, s10
	s_xor_b64 exec, exec, s[6:7]
	s_cbranch_execz .LBB51_1806
.LBB51_3856:
	v_mov_b32_e32 v20, 0
	v_cmp_ne_u16_sdwa s[8:9], v19, v20 src0_sel:BYTE_0 src1_sel:DWORD
	s_andn2_b64 s[4:5], s[4:5], exec
	s_and_b64 s[8:9], s[8:9], exec
	s_or_b64 s[4:5], s[4:5], s[8:9]
	s_or_b64 exec, exec, s[6:7]
	s_and_saveexec_b64 s[6:7], s[4:5]
	s_cbranch_execnz .LBB51_1807
	s_branch .LBB51_1808
.LBB51_3857:
	s_movk_i32 s4, 0x80
	v_cmp_eq_u16_e32 vcc, s4, v19
	s_mov_b64 s[4:5], -1
                                        ; implicit-def: $sgpr10
	s_and_saveexec_b64 s[8:9], vcc
; %bb.3858:
	s_mov_b32 s10, 0x7f800001
	s_xor_b64 s[4:5], exec, -1
; %bb.3859:
	s_or_b64 exec, exec, s[8:9]
	s_and_b64 s[4:5], s[4:5], exec
                                        ; implicit-def: $vgpr19
	s_or_saveexec_b64 s[6:7], s[6:7]
	v_mov_b32_e32 v18, s10
	s_xor_b64 exec, exec, s[6:7]
	s_cbranch_execz .LBB51_1810
.LBB51_3860:
	v_cmp_ne_u16_e32 vcc, 0, v19
	s_andn2_b64 s[4:5], s[4:5], exec
	s_and_b64 s[8:9], vcc, exec
	v_mov_b32_e32 v18, 0
	s_or_b64 s[4:5], s[4:5], s[8:9]
	s_or_b64 exec, exec, s[6:7]
	s_and_saveexec_b64 s[6:7], s[4:5]
	s_cbranch_execnz .LBB51_1811
	s_branch .LBB51_1812
.LBB51_3861:
	s_movk_i32 s4, 0x80
	v_cmp_eq_u16_e32 vcc, s4, v19
	s_mov_b64 s[4:5], -1
                                        ; implicit-def: $sgpr10
	s_and_saveexec_b64 s[8:9], vcc
; %bb.3862:
	s_mov_b32 s10, 0x7f800001
	s_xor_b64 s[4:5], exec, -1
; %bb.3863:
	s_or_b64 exec, exec, s[8:9]
	s_and_b64 s[4:5], s[4:5], exec
                                        ; implicit-def: $vgpr19
	s_or_saveexec_b64 s[6:7], s[6:7]
	v_mov_b32_e32 v20, s10
	s_xor_b64 exec, exec, s[6:7]
	s_cbranch_execz .LBB51_1814
.LBB51_3864:
	v_cmp_ne_u16_e32 vcc, 0, v19
	s_andn2_b64 s[4:5], s[4:5], exec
	s_and_b64 s[8:9], vcc, exec
	v_mov_b32_e32 v20, 0
	s_or_b64 s[4:5], s[4:5], s[8:9]
	s_or_b64 exec, exec, s[6:7]
	s_and_saveexec_b64 s[6:7], s[4:5]
	s_cbranch_execnz .LBB51_1815
	s_branch .LBB51_1816
.LBB51_3865:
	s_movk_i32 s4, 0x80
	v_cmp_eq_u16_sdwa s[12:13], v12, s4 src0_sel:BYTE_3 src1_sel:DWORD
	s_mov_b64 s[4:5], -1
                                        ; implicit-def: $sgpr10
	s_and_saveexec_b64 s[8:9], s[12:13]
; %bb.3866:
	s_mov_b32 s10, 0x7f800001
	s_xor_b64 s[4:5], exec, -1
; %bb.3867:
	s_or_b64 exec, exec, s[8:9]
	s_and_b64 s[4:5], s[4:5], exec
	s_or_saveexec_b64 s[6:7], s[6:7]
	v_mov_b32_e32 v18, s10
	s_xor_b64 exec, exec, s[6:7]
	s_cbranch_execz .LBB51_1818
.LBB51_3868:
	v_mov_b32_e32 v18, 0
	v_cmp_ne_u16_sdwa s[8:9], v12, v18 src0_sel:BYTE_3 src1_sel:DWORD
	s_andn2_b64 s[4:5], s[4:5], exec
	s_and_b64 s[8:9], s[8:9], exec
	s_or_b64 s[4:5], s[4:5], s[8:9]
	s_or_b64 exec, exec, s[6:7]
	s_and_saveexec_b64 s[6:7], s[4:5]
	s_cbranch_execnz .LBB51_1819
	s_branch .LBB51_1820
.LBB51_3869:
	s_movk_i32 s4, 0x80
	v_cmp_eq_u16_sdwa s[12:13], v8, s4 src0_sel:BYTE_3 src1_sel:DWORD
	s_mov_b64 s[4:5], -1
                                        ; implicit-def: $sgpr10
	s_and_saveexec_b64 s[8:9], s[12:13]
; %bb.3870:
	s_mov_b32 s10, 0x7f800001
	s_xor_b64 s[4:5], exec, -1
; %bb.3871:
	s_or_b64 exec, exec, s[8:9]
	s_and_b64 s[4:5], s[4:5], exec
	s_or_saveexec_b64 s[6:7], s[6:7]
	v_mov_b32_e32 v12, s10
	s_xor_b64 exec, exec, s[6:7]
	s_cbranch_execz .LBB51_1822
.LBB51_3872:
	v_mov_b32_e32 v12, 0
	v_cmp_ne_u16_sdwa s[8:9], v8, v12 src0_sel:BYTE_3 src1_sel:DWORD
	s_andn2_b64 s[4:5], s[4:5], exec
	s_and_b64 s[8:9], s[8:9], exec
	s_or_b64 s[4:5], s[4:5], s[8:9]
	s_or_b64 exec, exec, s[6:7]
	s_and_saveexec_b64 s[6:7], s[4:5]
	s_cbranch_execnz .LBB51_1823
	s_branch .LBB51_1824
.LBB51_3873:
	s_movk_i32 s4, 0x80
	v_cmp_eq_u16_sdwa s[12:13], v13, s4 src0_sel:BYTE_0 src1_sel:DWORD
	s_mov_b64 s[4:5], -1
                                        ; implicit-def: $sgpr10
	s_and_saveexec_b64 s[8:9], s[12:13]
; %bb.3874:
	s_mov_b32 s10, 0x7f800001
	s_xor_b64 s[4:5], exec, -1
; %bb.3875:
	s_or_b64 exec, exec, s[8:9]
	s_and_b64 s[4:5], s[4:5], exec
	s_or_saveexec_b64 s[6:7], s[6:7]
	v_mov_b32_e32 v8, s10
	s_xor_b64 exec, exec, s[6:7]
	s_cbranch_execz .LBB51_1826
.LBB51_3876:
	v_mov_b32_e32 v8, 0
	v_cmp_ne_u16_sdwa s[8:9], v13, v8 src0_sel:BYTE_0 src1_sel:DWORD
	s_andn2_b64 s[4:5], s[4:5], exec
	s_and_b64 s[8:9], s[8:9], exec
	s_or_b64 s[4:5], s[4:5], s[8:9]
	s_or_b64 exec, exec, s[6:7]
	s_and_saveexec_b64 s[6:7], s[4:5]
	s_cbranch_execnz .LBB51_1827
	s_branch .LBB51_1828
.LBB51_3877:
	s_movk_i32 s4, 0x80
	v_cmp_eq_u16_sdwa s[12:13], v9, s4 src0_sel:BYTE_0 src1_sel:DWORD
	s_mov_b64 s[4:5], -1
                                        ; implicit-def: $sgpr10
	s_and_saveexec_b64 s[8:9], s[12:13]
; %bb.3878:
	s_mov_b32 s10, 0x7f800001
	s_xor_b64 s[4:5], exec, -1
; %bb.3879:
	s_or_b64 exec, exec, s[8:9]
	s_and_b64 s[4:5], s[4:5], exec
	s_or_saveexec_b64 s[6:7], s[6:7]
	v_mov_b32_e32 v12, s10
	s_xor_b64 exec, exec, s[6:7]
	s_cbranch_execz .LBB51_1830
.LBB51_3880:
	v_mov_b32_e32 v12, 0
	v_cmp_ne_u16_sdwa s[8:9], v9, v12 src0_sel:BYTE_0 src1_sel:DWORD
	s_andn2_b64 s[4:5], s[4:5], exec
	s_and_b64 s[8:9], s[8:9], exec
	s_or_b64 s[4:5], s[4:5], s[8:9]
	s_or_b64 exec, exec, s[6:7]
	s_and_saveexec_b64 s[6:7], s[4:5]
	s_cbranch_execnz .LBB51_1831
	s_branch .LBB51_1832
.LBB51_3881:
	s_movk_i32 s4, 0x80
	v_cmp_eq_u16_sdwa s[12:13], v12, s4 src0_sel:BYTE_0 src1_sel:DWORD
	s_mov_b64 s[4:5], -1
                                        ; implicit-def: $sgpr10
	s_and_saveexec_b64 s[8:9], s[12:13]
; %bb.3882:
	s_mov_b32 s10, 0x7f800001
	s_xor_b64 s[4:5], exec, -1
; %bb.3883:
	s_or_b64 exec, exec, s[8:9]
	s_and_b64 s[4:5], s[4:5], exec
	s_or_saveexec_b64 s[6:7], s[6:7]
	v_mov_b32_e32 v8, s10
	s_xor_b64 exec, exec, s[6:7]
	s_cbranch_execz .LBB51_1834
.LBB51_3884:
	v_mov_b32_e32 v8, 0
	v_cmp_ne_u16_sdwa s[8:9], v12, v8 src0_sel:BYTE_0 src1_sel:DWORD
	s_andn2_b64 s[4:5], s[4:5], exec
	s_and_b64 s[8:9], s[8:9], exec
	s_or_b64 s[4:5], s[4:5], s[8:9]
	s_or_b64 exec, exec, s[6:7]
	s_and_saveexec_b64 s[6:7], s[4:5]
	s_cbranch_execnz .LBB51_1835
	s_branch .LBB51_1836
.LBB51_3885:
	s_movk_i32 s4, 0x80
	v_cmp_eq_u16_sdwa s[12:13], v12, s4 src0_sel:BYTE_0 src1_sel:DWORD
	s_mov_b64 s[4:5], -1
                                        ; implicit-def: $sgpr10
	s_and_saveexec_b64 s[8:9], s[12:13]
; %bb.3886:
	s_mov_b32 s10, 0x7f800001
	s_xor_b64 s[4:5], exec, -1
; %bb.3887:
	s_or_b64 exec, exec, s[8:9]
	s_and_b64 s[4:5], s[4:5], exec
	s_or_saveexec_b64 s[6:7], s[6:7]
	v_mov_b32_e32 v18, s10
	s_xor_b64 exec, exec, s[6:7]
	s_cbranch_execz .LBB51_1838
.LBB51_3888:
	v_mov_b32_e32 v18, 0
	v_cmp_ne_u16_sdwa s[8:9], v12, v18 src0_sel:BYTE_0 src1_sel:DWORD
	s_andn2_b64 s[4:5], s[4:5], exec
	s_and_b64 s[8:9], s[8:9], exec
	s_or_b64 s[4:5], s[4:5], s[8:9]
	s_or_b64 exec, exec, s[6:7]
	s_and_saveexec_b64 s[6:7], s[4:5]
	s_cbranch_execnz .LBB51_1839
	s_branch .LBB51_1840
.LBB51_3889:
	s_movk_i32 s4, 0x80
	v_cmp_eq_u16_e32 vcc, s4, v12
	s_mov_b64 s[4:5], -1
                                        ; implicit-def: $sgpr10
	s_and_saveexec_b64 s[8:9], vcc
; %bb.3890:
	s_mov_b32 s10, 0x7f800001
	s_xor_b64 s[4:5], exec, -1
; %bb.3891:
	s_or_b64 exec, exec, s[8:9]
	s_and_b64 s[4:5], s[4:5], exec
                                        ; implicit-def: $vgpr12
	s_or_saveexec_b64 s[6:7], s[6:7]
	v_mov_b32_e32 v8, s10
	s_xor_b64 exec, exec, s[6:7]
	s_cbranch_execz .LBB51_1842
.LBB51_3892:
	v_cmp_ne_u16_e32 vcc, 0, v12
	s_andn2_b64 s[4:5], s[4:5], exec
	s_and_b64 s[8:9], vcc, exec
	v_mov_b32_e32 v8, 0
	s_or_b64 s[4:5], s[4:5], s[8:9]
	s_or_b64 exec, exec, s[6:7]
	s_and_saveexec_b64 s[6:7], s[4:5]
	s_cbranch_execnz .LBB51_1843
	s_branch .LBB51_1844
.LBB51_3893:
	s_movk_i32 s4, 0x80
	v_cmp_eq_u16_e32 vcc, s4, v12
	s_mov_b64 s[4:5], -1
                                        ; implicit-def: $sgpr10
	s_and_saveexec_b64 s[8:9], vcc
; %bb.3894:
	s_mov_b32 s10, 0x7f800001
	s_xor_b64 s[4:5], exec, -1
; %bb.3895:
	s_or_b64 exec, exec, s[8:9]
	s_and_b64 s[4:5], s[4:5], exec
                                        ; implicit-def: $vgpr12
	s_or_saveexec_b64 s[6:7], s[6:7]
	v_mov_b32_e32 v18, s10
	s_xor_b64 exec, exec, s[6:7]
	s_cbranch_execz .LBB51_1846
.LBB51_3896:
	v_cmp_ne_u16_e32 vcc, 0, v12
	s_andn2_b64 s[4:5], s[4:5], exec
	s_and_b64 s[8:9], vcc, exec
	v_mov_b32_e32 v18, 0
	s_or_b64 s[4:5], s[4:5], s[8:9]
	s_or_b64 exec, exec, s[6:7]
	s_and_saveexec_b64 s[6:7], s[4:5]
	s_cbranch_execnz .LBB51_1847
	s_branch .LBB51_1848
.LBB51_3897:
	s_movk_i32 s4, 0x80
	v_cmp_eq_u16_sdwa s[12:13], v13, s4 src0_sel:BYTE_3 src1_sel:DWORD
	s_mov_b64 s[4:5], -1
                                        ; implicit-def: $sgpr10
	s_and_saveexec_b64 s[8:9], s[12:13]
; %bb.3898:
	s_mov_b32 s10, 0x7f800001
	s_xor_b64 s[4:5], exec, -1
; %bb.3899:
	s_or_b64 exec, exec, s[8:9]
	s_and_b64 s[4:5], s[4:5], exec
	s_or_saveexec_b64 s[6:7], s[6:7]
	v_mov_b32_e32 v8, s10
	s_xor_b64 exec, exec, s[6:7]
	s_cbranch_execz .LBB51_1850
.LBB51_3900:
	v_mov_b32_e32 v8, 0
	v_cmp_ne_u16_sdwa s[8:9], v13, v8 src0_sel:BYTE_3 src1_sel:DWORD
	s_andn2_b64 s[4:5], s[4:5], exec
	s_and_b64 s[8:9], s[8:9], exec
	s_or_b64 s[4:5], s[4:5], s[8:9]
	s_or_b64 exec, exec, s[6:7]
	s_and_saveexec_b64 s[6:7], s[4:5]
	s_cbranch_execnz .LBB51_1851
	s_branch .LBB51_1852
.LBB51_3901:
	s_movk_i32 s4, 0x80
	v_cmp_eq_u16_sdwa s[12:13], v9, s4 src0_sel:BYTE_3 src1_sel:DWORD
	s_mov_b64 s[4:5], -1
                                        ; implicit-def: $sgpr10
	s_and_saveexec_b64 s[8:9], s[12:13]
; %bb.3902:
	s_mov_b32 s10, 0x7f800001
	s_xor_b64 s[4:5], exec, -1
; %bb.3903:
	s_or_b64 exec, exec, s[8:9]
	s_and_b64 s[4:5], s[4:5], exec
	s_or_saveexec_b64 s[6:7], s[6:7]
	v_mov_b32_e32 v12, s10
	s_xor_b64 exec, exec, s[6:7]
	s_cbranch_execz .LBB51_1854
.LBB51_3904:
	v_mov_b32_e32 v12, 0
	v_cmp_ne_u16_sdwa s[8:9], v9, v12 src0_sel:BYTE_3 src1_sel:DWORD
	s_andn2_b64 s[4:5], s[4:5], exec
	s_and_b64 s[8:9], s[8:9], exec
	s_or_b64 s[4:5], s[4:5], s[8:9]
	s_or_b64 exec, exec, s[6:7]
	s_and_saveexec_b64 s[6:7], s[4:5]
	s_cbranch_execnz .LBB51_1855
	s_branch .LBB51_1856
.LBB51_3905:
	s_movk_i32 s4, 0x80
	v_cmp_eq_u16_sdwa s[12:13], v14, s4 src0_sel:BYTE_0 src1_sel:DWORD
	s_mov_b64 s[4:5], -1
                                        ; implicit-def: $sgpr10
	s_and_saveexec_b64 s[8:9], s[12:13]
; %bb.3906:
	s_mov_b32 s10, 0x7f800001
	s_xor_b64 s[4:5], exec, -1
; %bb.3907:
	s_or_b64 exec, exec, s[8:9]
	s_and_b64 s[4:5], s[4:5], exec
	s_or_saveexec_b64 s[6:7], s[6:7]
	v_mov_b32_e32 v8, s10
	s_xor_b64 exec, exec, s[6:7]
	s_cbranch_execz .LBB51_1858
.LBB51_3908:
	v_mov_b32_e32 v8, 0
	v_cmp_ne_u16_sdwa s[8:9], v14, v8 src0_sel:BYTE_0 src1_sel:DWORD
	s_andn2_b64 s[4:5], s[4:5], exec
	s_and_b64 s[8:9], s[8:9], exec
	s_or_b64 s[4:5], s[4:5], s[8:9]
	s_or_b64 exec, exec, s[6:7]
	s_and_saveexec_b64 s[6:7], s[4:5]
	s_cbranch_execnz .LBB51_1859
	s_branch .LBB51_1860
.LBB51_3909:
	s_movk_i32 s4, 0x80
	v_cmp_eq_u16_sdwa s[12:13], v10, s4 src0_sel:BYTE_0 src1_sel:DWORD
	s_mov_b64 s[4:5], -1
                                        ; implicit-def: $sgpr10
	s_and_saveexec_b64 s[8:9], s[12:13]
; %bb.3910:
	s_mov_b32 s10, 0x7f800001
	s_xor_b64 s[4:5], exec, -1
; %bb.3911:
	s_or_b64 exec, exec, s[8:9]
	s_and_b64 s[4:5], s[4:5], exec
	s_or_saveexec_b64 s[6:7], s[6:7]
	v_mov_b32_e32 v9, s10
	s_xor_b64 exec, exec, s[6:7]
	s_cbranch_execz .LBB51_1862
.LBB51_3912:
	v_mov_b32_e32 v9, 0
	v_cmp_ne_u16_sdwa s[8:9], v10, v9 src0_sel:BYTE_0 src1_sel:DWORD
	s_andn2_b64 s[4:5], s[4:5], exec
	s_and_b64 s[8:9], s[8:9], exec
	s_or_b64 s[4:5], s[4:5], s[8:9]
	s_or_b64 exec, exec, s[6:7]
	s_and_saveexec_b64 s[6:7], s[4:5]
	s_cbranch_execnz .LBB51_1863
	s_branch .LBB51_1864
.LBB51_3913:
	s_movk_i32 s4, 0x80
	v_cmp_eq_u16_sdwa s[12:13], v9, s4 src0_sel:BYTE_0 src1_sel:DWORD
	s_mov_b64 s[4:5], -1
                                        ; implicit-def: $sgpr10
	s_and_saveexec_b64 s[8:9], s[12:13]
; %bb.3914:
	s_mov_b32 s10, 0x7f800001
	s_xor_b64 s[4:5], exec, -1
; %bb.3915:
	s_or_b64 exec, exec, s[8:9]
	s_and_b64 s[4:5], s[4:5], exec
	s_or_saveexec_b64 s[6:7], s[6:7]
	v_mov_b32_e32 v8, s10
	s_xor_b64 exec, exec, s[6:7]
	s_cbranch_execz .LBB51_1866
.LBB51_3916:
	v_mov_b32_e32 v8, 0
	v_cmp_ne_u16_sdwa s[8:9], v9, v8 src0_sel:BYTE_0 src1_sel:DWORD
	s_andn2_b64 s[4:5], s[4:5], exec
	s_and_b64 s[8:9], s[8:9], exec
	s_or_b64 s[4:5], s[4:5], s[8:9]
	s_or_b64 exec, exec, s[6:7]
	s_and_saveexec_b64 s[6:7], s[4:5]
	s_cbranch_execnz .LBB51_1867
	s_branch .LBB51_1868
.LBB51_3917:
	s_movk_i32 s4, 0x80
	v_cmp_eq_u16_sdwa s[12:13], v9, s4 src0_sel:BYTE_0 src1_sel:DWORD
	s_mov_b64 s[4:5], -1
                                        ; implicit-def: $sgpr10
	s_and_saveexec_b64 s[8:9], s[12:13]
; %bb.3918:
	s_mov_b32 s10, 0x7f800001
	s_xor_b64 s[4:5], exec, -1
; %bb.3919:
	s_or_b64 exec, exec, s[8:9]
	s_and_b64 s[4:5], s[4:5], exec
	s_or_saveexec_b64 s[6:7], s[6:7]
	v_mov_b32_e32 v12, s10
	s_xor_b64 exec, exec, s[6:7]
	s_cbranch_execz .LBB51_1870
.LBB51_3920:
	v_mov_b32_e32 v12, 0
	v_cmp_ne_u16_sdwa s[8:9], v9, v12 src0_sel:BYTE_0 src1_sel:DWORD
	s_andn2_b64 s[4:5], s[4:5], exec
	s_and_b64 s[8:9], s[8:9], exec
	s_or_b64 s[4:5], s[4:5], s[8:9]
	s_or_b64 exec, exec, s[6:7]
	s_and_saveexec_b64 s[6:7], s[4:5]
	s_cbranch_execnz .LBB51_1871
	s_branch .LBB51_1872
.LBB51_3921:
	s_movk_i32 s4, 0x80
	v_cmp_eq_u16_e32 vcc, s4, v9
	s_mov_b64 s[4:5], -1
                                        ; implicit-def: $sgpr10
	s_and_saveexec_b64 s[8:9], vcc
; %bb.3922:
	s_mov_b32 s10, 0x7f800001
	s_xor_b64 s[4:5], exec, -1
; %bb.3923:
	s_or_b64 exec, exec, s[8:9]
	s_and_b64 s[4:5], s[4:5], exec
                                        ; implicit-def: $vgpr9
	s_or_saveexec_b64 s[6:7], s[6:7]
	v_mov_b32_e32 v8, s10
	s_xor_b64 exec, exec, s[6:7]
	s_cbranch_execz .LBB51_1874
.LBB51_3924:
	v_cmp_ne_u16_e32 vcc, 0, v9
	s_andn2_b64 s[4:5], s[4:5], exec
	s_and_b64 s[8:9], vcc, exec
	v_mov_b32_e32 v8, 0
	s_or_b64 s[4:5], s[4:5], s[8:9]
	s_or_b64 exec, exec, s[6:7]
	s_and_saveexec_b64 s[6:7], s[4:5]
	s_cbranch_execnz .LBB51_1875
	s_branch .LBB51_1876
.LBB51_3925:
	s_movk_i32 s4, 0x80
	v_cmp_eq_u16_e32 vcc, s4, v9
	s_mov_b64 s[4:5], -1
                                        ; implicit-def: $sgpr10
	s_and_saveexec_b64 s[8:9], vcc
; %bb.3926:
	s_mov_b32 s10, 0x7f800001
	s_xor_b64 s[4:5], exec, -1
; %bb.3927:
	s_or_b64 exec, exec, s[8:9]
	s_and_b64 s[4:5], s[4:5], exec
                                        ; implicit-def: $vgpr9
	s_or_saveexec_b64 s[6:7], s[6:7]
	v_mov_b32_e32 v12, s10
	s_xor_b64 exec, exec, s[6:7]
	s_cbranch_execz .LBB51_1878
.LBB51_3928:
	v_cmp_ne_u16_e32 vcc, 0, v9
	s_andn2_b64 s[4:5], s[4:5], exec
	s_and_b64 s[8:9], vcc, exec
	v_mov_b32_e32 v12, 0
	s_or_b64 s[4:5], s[4:5], s[8:9]
	s_or_b64 exec, exec, s[6:7]
	s_and_saveexec_b64 s[6:7], s[4:5]
	s_cbranch_execnz .LBB51_1879
	s_branch .LBB51_1880
.LBB51_3929:
	s_movk_i32 s4, 0x80
	v_cmp_eq_u16_sdwa s[12:13], v14, s4 src0_sel:BYTE_3 src1_sel:DWORD
	s_mov_b64 s[4:5], -1
                                        ; implicit-def: $sgpr10
	s_and_saveexec_b64 s[8:9], s[12:13]
; %bb.3930:
	s_mov_b32 s10, 0x7f800001
	s_xor_b64 s[4:5], exec, -1
; %bb.3931:
	s_or_b64 exec, exec, s[8:9]
	s_and_b64 s[4:5], s[4:5], exec
	s_or_saveexec_b64 s[6:7], s[6:7]
	v_mov_b32_e32 v8, s10
	s_xor_b64 exec, exec, s[6:7]
	s_cbranch_execz .LBB51_1882
.LBB51_3932:
	v_mov_b32_e32 v8, 0
	v_cmp_ne_u16_sdwa s[8:9], v14, v8 src0_sel:BYTE_3 src1_sel:DWORD
	s_andn2_b64 s[4:5], s[4:5], exec
	s_and_b64 s[8:9], s[8:9], exec
	s_or_b64 s[4:5], s[4:5], s[8:9]
	s_or_b64 exec, exec, s[6:7]
	s_and_saveexec_b64 s[6:7], s[4:5]
	s_cbranch_execnz .LBB51_1883
	s_branch .LBB51_1884
.LBB51_3933:
	s_movk_i32 s4, 0x80
	v_cmp_eq_u16_sdwa s[12:13], v10, s4 src0_sel:BYTE_3 src1_sel:DWORD
	s_mov_b64 s[4:5], -1
                                        ; implicit-def: $sgpr10
	s_and_saveexec_b64 s[8:9], s[12:13]
; %bb.3934:
	s_mov_b32 s10, 0x7f800001
	s_xor_b64 s[4:5], exec, -1
; %bb.3935:
	s_or_b64 exec, exec, s[8:9]
	s_and_b64 s[4:5], s[4:5], exec
	s_or_saveexec_b64 s[6:7], s[6:7]
	v_mov_b32_e32 v9, s10
	s_xor_b64 exec, exec, s[6:7]
	s_cbranch_execz .LBB51_1886
.LBB51_3936:
	v_mov_b32_e32 v9, 0
	v_cmp_ne_u16_sdwa s[8:9], v10, v9 src0_sel:BYTE_3 src1_sel:DWORD
	s_andn2_b64 s[4:5], s[4:5], exec
	s_and_b64 s[8:9], s[8:9], exec
	s_or_b64 s[4:5], s[4:5], s[8:9]
	s_or_b64 exec, exec, s[6:7]
	s_and_saveexec_b64 s[6:7], s[4:5]
	s_cbranch_execnz .LBB51_1887
	s_branch .LBB51_1888
.LBB51_3937:
	s_movk_i32 s4, 0x80
	v_cmp_eq_u16_sdwa s[12:13], v15, s4 src0_sel:BYTE_0 src1_sel:DWORD
	s_mov_b64 s[4:5], -1
                                        ; implicit-def: $sgpr10
	s_and_saveexec_b64 s[8:9], s[12:13]
; %bb.3938:
	s_mov_b32 s10, 0x7f800001
	s_xor_b64 s[4:5], exec, -1
; %bb.3939:
	s_or_b64 exec, exec, s[8:9]
	s_and_b64 s[4:5], s[4:5], exec
	s_or_saveexec_b64 s[6:7], s[6:7]
	v_mov_b32_e32 v8, s10
	s_xor_b64 exec, exec, s[6:7]
	s_cbranch_execz .LBB51_1890
.LBB51_3940:
	v_mov_b32_e32 v8, 0
	v_cmp_ne_u16_sdwa s[8:9], v15, v8 src0_sel:BYTE_0 src1_sel:DWORD
	s_andn2_b64 s[4:5], s[4:5], exec
	s_and_b64 s[8:9], s[8:9], exec
	s_or_b64 s[4:5], s[4:5], s[8:9]
	s_or_b64 exec, exec, s[6:7]
	s_and_saveexec_b64 s[6:7], s[4:5]
	s_cbranch_execnz .LBB51_1891
	s_branch .LBB51_1892
.LBB51_3941:
	s_movk_i32 s4, 0x80
	v_cmp_eq_u16_sdwa s[12:13], v11, s4 src0_sel:BYTE_0 src1_sel:DWORD
	s_mov_b64 s[4:5], -1
                                        ; implicit-def: $sgpr10
	s_and_saveexec_b64 s[8:9], s[12:13]
; %bb.3942:
	s_mov_b32 s10, 0x7f800001
	s_xor_b64 s[4:5], exec, -1
; %bb.3943:
	s_or_b64 exec, exec, s[8:9]
	s_and_b64 s[4:5], s[4:5], exec
	s_or_saveexec_b64 s[6:7], s[6:7]
	v_mov_b32_e32 v9, s10
	s_xor_b64 exec, exec, s[6:7]
	s_cbranch_execz .LBB51_1894
.LBB51_3944:
	v_mov_b32_e32 v9, 0
	v_cmp_ne_u16_sdwa s[8:9], v11, v9 src0_sel:BYTE_0 src1_sel:DWORD
	s_andn2_b64 s[4:5], s[4:5], exec
	s_and_b64 s[8:9], s[8:9], exec
	s_or_b64 s[4:5], s[4:5], s[8:9]
	s_or_b64 exec, exec, s[6:7]
	s_and_saveexec_b64 s[6:7], s[4:5]
	s_cbranch_execnz .LBB51_1895
	s_branch .LBB51_1896
.LBB51_3945:
	s_movk_i32 s4, 0x80
	v_cmp_eq_u16_sdwa s[12:13], v9, s4 src0_sel:BYTE_0 src1_sel:DWORD
	s_mov_b64 s[4:5], -1
                                        ; implicit-def: $sgpr10
	s_and_saveexec_b64 s[8:9], s[12:13]
; %bb.3946:
	s_mov_b32 s10, 0x7f800001
	s_xor_b64 s[4:5], exec, -1
; %bb.3947:
	s_or_b64 exec, exec, s[8:9]
	s_and_b64 s[4:5], s[4:5], exec
	s_or_saveexec_b64 s[6:7], s[6:7]
	v_mov_b32_e32 v8, s10
	s_xor_b64 exec, exec, s[6:7]
	s_cbranch_execz .LBB51_1898
.LBB51_3948:
	v_mov_b32_e32 v8, 0
	v_cmp_ne_u16_sdwa s[8:9], v9, v8 src0_sel:BYTE_0 src1_sel:DWORD
	s_andn2_b64 s[4:5], s[4:5], exec
	s_and_b64 s[8:9], s[8:9], exec
	s_or_b64 s[4:5], s[4:5], s[8:9]
	s_or_b64 exec, exec, s[6:7]
	s_and_saveexec_b64 s[6:7], s[4:5]
	s_cbranch_execnz .LBB51_1899
	s_branch .LBB51_1900
.LBB51_3949:
	s_movk_i32 s4, 0x80
	v_cmp_eq_u16_sdwa s[12:13], v9, s4 src0_sel:BYTE_0 src1_sel:DWORD
	s_mov_b64 s[4:5], -1
                                        ; implicit-def: $sgpr10
	s_and_saveexec_b64 s[8:9], s[12:13]
; %bb.3950:
	s_mov_b32 s10, 0x7f800001
	s_xor_b64 s[4:5], exec, -1
; %bb.3951:
	s_or_b64 exec, exec, s[8:9]
	s_and_b64 s[4:5], s[4:5], exec
	s_or_saveexec_b64 s[6:7], s[6:7]
	v_mov_b32_e32 v10, s10
	s_xor_b64 exec, exec, s[6:7]
	s_cbranch_execz .LBB51_1902
.LBB51_3952:
	v_mov_b32_e32 v10, 0
	v_cmp_ne_u16_sdwa s[8:9], v9, v10 src0_sel:BYTE_0 src1_sel:DWORD
	s_andn2_b64 s[4:5], s[4:5], exec
	s_and_b64 s[8:9], s[8:9], exec
	s_or_b64 s[4:5], s[4:5], s[8:9]
	s_or_b64 exec, exec, s[6:7]
	s_and_saveexec_b64 s[6:7], s[4:5]
	s_cbranch_execnz .LBB51_1903
	s_branch .LBB51_1904
.LBB51_3953:
	s_movk_i32 s4, 0x80
	v_cmp_eq_u16_e32 vcc, s4, v9
	s_mov_b64 s[4:5], -1
                                        ; implicit-def: $sgpr10
	s_and_saveexec_b64 s[8:9], vcc
; %bb.3954:
	s_mov_b32 s10, 0x7f800001
	s_xor_b64 s[4:5], exec, -1
; %bb.3955:
	s_or_b64 exec, exec, s[8:9]
	s_and_b64 s[4:5], s[4:5], exec
                                        ; implicit-def: $vgpr9
	s_or_saveexec_b64 s[6:7], s[6:7]
	v_mov_b32_e32 v8, s10
	s_xor_b64 exec, exec, s[6:7]
	s_cbranch_execz .LBB51_1906
.LBB51_3956:
	v_cmp_ne_u16_e32 vcc, 0, v9
	s_andn2_b64 s[4:5], s[4:5], exec
	s_and_b64 s[8:9], vcc, exec
	v_mov_b32_e32 v8, 0
	s_or_b64 s[4:5], s[4:5], s[8:9]
	s_or_b64 exec, exec, s[6:7]
	s_and_saveexec_b64 s[6:7], s[4:5]
	s_cbranch_execnz .LBB51_1907
	s_branch .LBB51_1908
.LBB51_3957:
	s_movk_i32 s4, 0x80
	v_cmp_eq_u16_e32 vcc, s4, v9
	s_mov_b64 s[4:5], -1
                                        ; implicit-def: $sgpr10
	s_and_saveexec_b64 s[8:9], vcc
; %bb.3958:
	s_mov_b32 s10, 0x7f800001
	s_xor_b64 s[4:5], exec, -1
; %bb.3959:
	s_or_b64 exec, exec, s[8:9]
	s_and_b64 s[4:5], s[4:5], exec
                                        ; implicit-def: $vgpr9
	s_or_saveexec_b64 s[6:7], s[6:7]
	v_mov_b32_e32 v10, s10
	s_xor_b64 exec, exec, s[6:7]
	s_cbranch_execz .LBB51_1910
.LBB51_3960:
	v_cmp_ne_u16_e32 vcc, 0, v9
	s_andn2_b64 s[4:5], s[4:5], exec
	s_and_b64 s[8:9], vcc, exec
	v_mov_b32_e32 v10, 0
	s_or_b64 s[4:5], s[4:5], s[8:9]
	s_or_b64 exec, exec, s[6:7]
	s_and_saveexec_b64 s[6:7], s[4:5]
	s_cbranch_execnz .LBB51_1911
	s_branch .LBB51_1912
.LBB51_3961:
	s_movk_i32 s4, 0x80
	v_cmp_eq_u16_sdwa s[12:13], v15, s4 src0_sel:BYTE_3 src1_sel:DWORD
	s_mov_b64 s[4:5], -1
                                        ; implicit-def: $sgpr10
	s_and_saveexec_b64 s[8:9], s[12:13]
; %bb.3962:
	s_mov_b32 s10, 0x7f800001
	s_xor_b64 s[4:5], exec, -1
; %bb.3963:
	s_or_b64 exec, exec, s[8:9]
	s_and_b64 s[4:5], s[4:5], exec
	s_or_saveexec_b64 s[6:7], s[6:7]
	v_mov_b32_e32 v8, s10
	s_xor_b64 exec, exec, s[6:7]
	s_cbranch_execz .LBB51_1914
.LBB51_3964:
	v_mov_b32_e32 v8, 0
	v_cmp_ne_u16_sdwa s[8:9], v15, v8 src0_sel:BYTE_3 src1_sel:DWORD
	s_andn2_b64 s[4:5], s[4:5], exec
	s_and_b64 s[8:9], s[8:9], exec
	s_or_b64 s[4:5], s[4:5], s[8:9]
	s_or_b64 exec, exec, s[6:7]
	s_and_saveexec_b64 s[6:7], s[4:5]
	s_cbranch_execnz .LBB51_1915
	s_branch .LBB51_1916
.LBB51_3965:
	s_movk_i32 s4, 0x80
	v_cmp_eq_u16_sdwa s[12:13], v11, s4 src0_sel:BYTE_3 src1_sel:DWORD
	s_mov_b64 s[4:5], -1
                                        ; implicit-def: $sgpr10
	s_and_saveexec_b64 s[8:9], s[12:13]
; %bb.3966:
	s_mov_b32 s10, 0x7f800001
	s_xor_b64 s[4:5], exec, -1
; %bb.3967:
	s_or_b64 exec, exec, s[8:9]
	s_and_b64 s[4:5], s[4:5], exec
	s_or_saveexec_b64 s[6:7], s[6:7]
	v_mov_b32_e32 v9, s10
	s_xor_b64 exec, exec, s[6:7]
	s_cbranch_execz .LBB51_1918
.LBB51_3968:
	v_mov_b32_e32 v9, 0
	v_cmp_ne_u16_sdwa s[8:9], v11, v9 src0_sel:BYTE_3 src1_sel:DWORD
	s_andn2_b64 s[4:5], s[4:5], exec
	s_and_b64 s[8:9], s[8:9], exec
	s_or_b64 s[4:5], s[4:5], s[8:9]
	s_or_b64 exec, exec, s[6:7]
	s_and_saveexec_b64 s[6:7], s[4:5]
	s_cbranch_execnz .LBB51_1919
	s_branch .LBB51_1920
.LBB51_3969:
	s_movk_i32 s4, 0x80
	v_cmp_eq_u16_sdwa s[12:13], v4, s4 src0_sel:BYTE_0 src1_sel:DWORD
	s_mov_b64 s[4:5], -1
                                        ; implicit-def: $sgpr10
	s_and_saveexec_b64 s[8:9], s[12:13]
; %bb.3970:
	s_mov_b32 s10, 0x7f800001
	s_xor_b64 s[4:5], exec, -1
; %bb.3971:
	s_or_b64 exec, exec, s[8:9]
	s_and_b64 s[4:5], s[4:5], exec
	s_or_saveexec_b64 s[6:7], s[6:7]
	v_mov_b32_e32 v8, s10
	s_xor_b64 exec, exec, s[6:7]
	s_cbranch_execz .LBB51_1922
.LBB51_3972:
	v_mov_b32_e32 v8, 0
	v_cmp_ne_u16_sdwa s[8:9], v4, v8 src0_sel:BYTE_0 src1_sel:DWORD
	s_andn2_b64 s[4:5], s[4:5], exec
	s_and_b64 s[8:9], s[8:9], exec
	s_or_b64 s[4:5], s[4:5], s[8:9]
	s_or_b64 exec, exec, s[6:7]
	s_and_saveexec_b64 s[6:7], s[4:5]
	s_cbranch_execnz .LBB51_1923
	s_branch .LBB51_1924
.LBB51_3973:
	s_movk_i32 s4, 0x80
	v_cmp_eq_u16_sdwa s[12:13], v0, s4 src0_sel:BYTE_0 src1_sel:DWORD
	s_mov_b64 s[4:5], -1
                                        ; implicit-def: $sgpr10
	s_and_saveexec_b64 s[8:9], s[12:13]
; %bb.3974:
	s_mov_b32 s10, 0x7f800001
	s_xor_b64 s[4:5], exec, -1
; %bb.3975:
	s_or_b64 exec, exec, s[8:9]
	s_and_b64 s[4:5], s[4:5], exec
	s_or_saveexec_b64 s[6:7], s[6:7]
	v_mov_b32_e32 v9, s10
	s_xor_b64 exec, exec, s[6:7]
	s_cbranch_execz .LBB51_1926
.LBB51_3976:
	v_mov_b32_e32 v9, 0
	v_cmp_ne_u16_sdwa s[8:9], v0, v9 src0_sel:BYTE_0 src1_sel:DWORD
	s_andn2_b64 s[4:5], s[4:5], exec
	s_and_b64 s[8:9], s[8:9], exec
	s_or_b64 s[4:5], s[4:5], s[8:9]
	s_or_b64 exec, exec, s[6:7]
	s_and_saveexec_b64 s[6:7], s[4:5]
	s_cbranch_execnz .LBB51_1927
	s_branch .LBB51_1928
.LBB51_3977:
	s_movk_i32 s4, 0x80
	v_cmp_eq_u16_sdwa s[12:13], v9, s4 src0_sel:BYTE_0 src1_sel:DWORD
	s_mov_b64 s[4:5], -1
                                        ; implicit-def: $sgpr10
	s_and_saveexec_b64 s[8:9], s[12:13]
; %bb.3978:
	s_mov_b32 s10, 0x7f800001
	s_xor_b64 s[4:5], exec, -1
; %bb.3979:
	s_or_b64 exec, exec, s[8:9]
	s_and_b64 s[4:5], s[4:5], exec
	s_or_saveexec_b64 s[6:7], s[6:7]
	v_mov_b32_e32 v8, s10
	s_xor_b64 exec, exec, s[6:7]
	s_cbranch_execz .LBB51_1930
.LBB51_3980:
	v_mov_b32_e32 v8, 0
	v_cmp_ne_u16_sdwa s[8:9], v9, v8 src0_sel:BYTE_0 src1_sel:DWORD
	s_andn2_b64 s[4:5], s[4:5], exec
	s_and_b64 s[8:9], s[8:9], exec
	s_or_b64 s[4:5], s[4:5], s[8:9]
	s_or_b64 exec, exec, s[6:7]
	s_and_saveexec_b64 s[6:7], s[4:5]
	s_cbranch_execnz .LBB51_1931
	s_branch .LBB51_1932
.LBB51_3981:
	s_movk_i32 s4, 0x80
	v_cmp_eq_u16_sdwa s[12:13], v9, s4 src0_sel:BYTE_0 src1_sel:DWORD
	s_mov_b64 s[4:5], -1
                                        ; implicit-def: $sgpr10
	s_and_saveexec_b64 s[8:9], s[12:13]
; %bb.3982:
	s_mov_b32 s10, 0x7f800001
	s_xor_b64 s[4:5], exec, -1
; %bb.3983:
	s_or_b64 exec, exec, s[8:9]
	s_and_b64 s[4:5], s[4:5], exec
	s_or_saveexec_b64 s[6:7], s[6:7]
	v_mov_b32_e32 v10, s10
	s_xor_b64 exec, exec, s[6:7]
	s_cbranch_execz .LBB51_1934
.LBB51_3984:
	v_mov_b32_e32 v10, 0
	v_cmp_ne_u16_sdwa s[8:9], v9, v10 src0_sel:BYTE_0 src1_sel:DWORD
	s_andn2_b64 s[4:5], s[4:5], exec
	s_and_b64 s[8:9], s[8:9], exec
	s_or_b64 s[4:5], s[4:5], s[8:9]
	s_or_b64 exec, exec, s[6:7]
	s_and_saveexec_b64 s[6:7], s[4:5]
	s_cbranch_execnz .LBB51_1935
	s_branch .LBB51_1936
.LBB51_3985:
	s_movk_i32 s4, 0x80
	v_cmp_eq_u16_e32 vcc, s4, v9
	s_mov_b64 s[4:5], -1
                                        ; implicit-def: $sgpr10
	s_and_saveexec_b64 s[8:9], vcc
; %bb.3986:
	s_mov_b32 s10, 0x7f800001
	s_xor_b64 s[4:5], exec, -1
; %bb.3987:
	s_or_b64 exec, exec, s[8:9]
	s_and_b64 s[4:5], s[4:5], exec
                                        ; implicit-def: $vgpr9
	s_or_saveexec_b64 s[6:7], s[6:7]
	v_mov_b32_e32 v8, s10
	s_xor_b64 exec, exec, s[6:7]
	s_cbranch_execz .LBB51_1938
.LBB51_3988:
	v_cmp_ne_u16_e32 vcc, 0, v9
	s_andn2_b64 s[4:5], s[4:5], exec
	s_and_b64 s[8:9], vcc, exec
	v_mov_b32_e32 v8, 0
	s_or_b64 s[4:5], s[4:5], s[8:9]
	s_or_b64 exec, exec, s[6:7]
	s_and_saveexec_b64 s[6:7], s[4:5]
	s_cbranch_execnz .LBB51_1939
	s_branch .LBB51_1940
.LBB51_3989:
	s_movk_i32 s4, 0x80
	v_cmp_eq_u16_e32 vcc, s4, v9
	s_mov_b64 s[4:5], -1
                                        ; implicit-def: $sgpr10
	s_and_saveexec_b64 s[8:9], vcc
; %bb.3990:
	s_mov_b32 s10, 0x7f800001
	s_xor_b64 s[4:5], exec, -1
; %bb.3991:
	s_or_b64 exec, exec, s[8:9]
	s_and_b64 s[4:5], s[4:5], exec
                                        ; implicit-def: $vgpr9
	s_or_saveexec_b64 s[6:7], s[6:7]
	v_mov_b32_e32 v10, s10
	s_xor_b64 exec, exec, s[6:7]
	s_cbranch_execz .LBB51_1942
.LBB51_3992:
	v_cmp_ne_u16_e32 vcc, 0, v9
	s_andn2_b64 s[4:5], s[4:5], exec
	s_and_b64 s[8:9], vcc, exec
	v_mov_b32_e32 v10, 0
	s_or_b64 s[4:5], s[4:5], s[8:9]
	s_or_b64 exec, exec, s[6:7]
	s_and_saveexec_b64 s[6:7], s[4:5]
	s_cbranch_execnz .LBB51_1943
	s_branch .LBB51_1944
.LBB51_3993:
	s_movk_i32 s4, 0x80
	v_cmp_eq_u16_sdwa s[12:13], v4, s4 src0_sel:BYTE_3 src1_sel:DWORD
	s_mov_b64 s[4:5], -1
                                        ; implicit-def: $sgpr10
	s_and_saveexec_b64 s[8:9], s[12:13]
; %bb.3994:
	s_mov_b32 s10, 0x7f800001
	s_xor_b64 s[4:5], exec, -1
; %bb.3995:
	s_or_b64 exec, exec, s[8:9]
	s_and_b64 s[4:5], s[4:5], exec
	s_or_saveexec_b64 s[6:7], s[6:7]
	v_mov_b32_e32 v8, s10
	s_xor_b64 exec, exec, s[6:7]
	s_cbranch_execz .LBB51_1946
.LBB51_3996:
	v_mov_b32_e32 v8, 0
	v_cmp_ne_u16_sdwa s[8:9], v4, v8 src0_sel:BYTE_3 src1_sel:DWORD
	s_andn2_b64 s[4:5], s[4:5], exec
	s_and_b64 s[8:9], s[8:9], exec
	s_or_b64 s[4:5], s[4:5], s[8:9]
	s_or_b64 exec, exec, s[6:7]
	s_and_saveexec_b64 s[6:7], s[4:5]
	s_cbranch_execnz .LBB51_1947
	s_branch .LBB51_1948
.LBB51_3997:
	s_movk_i32 s4, 0x80
	v_cmp_eq_u16_sdwa s[12:13], v0, s4 src0_sel:BYTE_3 src1_sel:DWORD
	s_mov_b64 s[4:5], -1
                                        ; implicit-def: $sgpr10
	s_and_saveexec_b64 s[8:9], s[12:13]
; %bb.3998:
	s_mov_b32 s10, 0x7f800001
	s_xor_b64 s[4:5], exec, -1
; %bb.3999:
	s_or_b64 exec, exec, s[8:9]
	s_and_b64 s[4:5], s[4:5], exec
	s_or_saveexec_b64 s[6:7], s[6:7]
	v_mov_b32_e32 v4, s10
	s_xor_b64 exec, exec, s[6:7]
	s_cbranch_execz .LBB51_1950
.LBB51_4000:
	v_mov_b32_e32 v4, 0
	v_cmp_ne_u16_sdwa s[8:9], v0, v4 src0_sel:BYTE_3 src1_sel:DWORD
	s_andn2_b64 s[4:5], s[4:5], exec
	s_and_b64 s[8:9], s[8:9], exec
	s_or_b64 s[4:5], s[4:5], s[8:9]
	s_or_b64 exec, exec, s[6:7]
	s_and_saveexec_b64 s[6:7], s[4:5]
	s_cbranch_execnz .LBB51_1951
	s_branch .LBB51_1952
.LBB51_4001:
	s_movk_i32 s4, 0x80
	v_cmp_eq_u16_sdwa s[12:13], v5, s4 src0_sel:BYTE_0 src1_sel:DWORD
	s_mov_b64 s[4:5], -1
                                        ; implicit-def: $sgpr10
	s_and_saveexec_b64 s[8:9], s[12:13]
; %bb.4002:
	s_mov_b32 s10, 0x7f800001
	s_xor_b64 s[4:5], exec, -1
; %bb.4003:
	s_or_b64 exec, exec, s[8:9]
	s_and_b64 s[4:5], s[4:5], exec
	s_or_saveexec_b64 s[6:7], s[6:7]
	v_mov_b32_e32 v0, s10
	s_xor_b64 exec, exec, s[6:7]
	s_cbranch_execz .LBB51_1954
.LBB51_4004:
	v_mov_b32_e32 v0, 0
	v_cmp_ne_u16_sdwa s[8:9], v5, v0 src0_sel:BYTE_0 src1_sel:DWORD
	s_andn2_b64 s[4:5], s[4:5], exec
	s_and_b64 s[8:9], s[8:9], exec
	s_or_b64 s[4:5], s[4:5], s[8:9]
	s_or_b64 exec, exec, s[6:7]
	s_and_saveexec_b64 s[6:7], s[4:5]
	s_cbranch_execnz .LBB51_1955
	s_branch .LBB51_1956
.LBB51_4005:
	s_movk_i32 s4, 0x80
	v_cmp_eq_u16_sdwa s[12:13], v1, s4 src0_sel:BYTE_0 src1_sel:DWORD
	s_mov_b64 s[4:5], -1
                                        ; implicit-def: $sgpr10
	s_and_saveexec_b64 s[8:9], s[12:13]
; %bb.4006:
	s_mov_b32 s10, 0x7f800001
	s_xor_b64 s[4:5], exec, -1
; %bb.4007:
	s_or_b64 exec, exec, s[8:9]
	s_and_b64 s[4:5], s[4:5], exec
	s_or_saveexec_b64 s[6:7], s[6:7]
	v_mov_b32_e32 v4, s10
	s_xor_b64 exec, exec, s[6:7]
	s_cbranch_execz .LBB51_1958
.LBB51_4008:
	v_mov_b32_e32 v4, 0
	v_cmp_ne_u16_sdwa s[8:9], v1, v4 src0_sel:BYTE_0 src1_sel:DWORD
	s_andn2_b64 s[4:5], s[4:5], exec
	s_and_b64 s[8:9], s[8:9], exec
	s_or_b64 s[4:5], s[4:5], s[8:9]
	s_or_b64 exec, exec, s[6:7]
	s_and_saveexec_b64 s[6:7], s[4:5]
	s_cbranch_execnz .LBB51_1959
	s_branch .LBB51_1960
.LBB51_4009:
	s_movk_i32 s4, 0x80
	v_cmp_eq_u16_sdwa s[12:13], v4, s4 src0_sel:BYTE_0 src1_sel:DWORD
	s_mov_b64 s[4:5], -1
                                        ; implicit-def: $sgpr10
	s_and_saveexec_b64 s[8:9], s[12:13]
; %bb.4010:
	s_mov_b32 s10, 0x7f800001
	s_xor_b64 s[4:5], exec, -1
; %bb.4011:
	s_or_b64 exec, exec, s[8:9]
	s_and_b64 s[4:5], s[4:5], exec
	s_or_saveexec_b64 s[6:7], s[6:7]
	v_mov_b32_e32 v0, s10
	s_xor_b64 exec, exec, s[6:7]
	s_cbranch_execz .LBB51_1962
.LBB51_4012:
	v_mov_b32_e32 v0, 0
	v_cmp_ne_u16_sdwa s[8:9], v4, v0 src0_sel:BYTE_0 src1_sel:DWORD
	s_andn2_b64 s[4:5], s[4:5], exec
	s_and_b64 s[8:9], s[8:9], exec
	s_or_b64 s[4:5], s[4:5], s[8:9]
	s_or_b64 exec, exec, s[6:7]
	s_and_saveexec_b64 s[6:7], s[4:5]
	s_cbranch_execnz .LBB51_1963
	s_branch .LBB51_1964
.LBB51_4013:
	s_movk_i32 s4, 0x80
	v_cmp_eq_u16_sdwa s[12:13], v4, s4 src0_sel:BYTE_0 src1_sel:DWORD
	s_mov_b64 s[4:5], -1
                                        ; implicit-def: $sgpr10
	s_and_saveexec_b64 s[8:9], s[12:13]
; %bb.4014:
	s_mov_b32 s10, 0x7f800001
	s_xor_b64 s[4:5], exec, -1
; %bb.4015:
	s_or_b64 exec, exec, s[8:9]
	s_and_b64 s[4:5], s[4:5], exec
	s_or_saveexec_b64 s[6:7], s[6:7]
	v_mov_b32_e32 v8, s10
	s_xor_b64 exec, exec, s[6:7]
	s_cbranch_execz .LBB51_1966
.LBB51_4016:
	v_mov_b32_e32 v8, 0
	v_cmp_ne_u16_sdwa s[8:9], v4, v8 src0_sel:BYTE_0 src1_sel:DWORD
	s_andn2_b64 s[4:5], s[4:5], exec
	s_and_b64 s[8:9], s[8:9], exec
	s_or_b64 s[4:5], s[4:5], s[8:9]
	s_or_b64 exec, exec, s[6:7]
	s_and_saveexec_b64 s[6:7], s[4:5]
	s_cbranch_execnz .LBB51_1967
	s_branch .LBB51_1968
.LBB51_4017:
	s_movk_i32 s4, 0x80
	v_cmp_eq_u16_e32 vcc, s4, v4
	s_mov_b64 s[4:5], -1
                                        ; implicit-def: $sgpr10
	s_and_saveexec_b64 s[8:9], vcc
; %bb.4018:
	s_mov_b32 s10, 0x7f800001
	s_xor_b64 s[4:5], exec, -1
; %bb.4019:
	s_or_b64 exec, exec, s[8:9]
	s_and_b64 s[4:5], s[4:5], exec
                                        ; implicit-def: $vgpr4
	s_or_saveexec_b64 s[6:7], s[6:7]
	v_mov_b32_e32 v0, s10
	s_xor_b64 exec, exec, s[6:7]
	s_cbranch_execz .LBB51_1970
.LBB51_4020:
	v_cmp_ne_u16_e32 vcc, 0, v4
	s_andn2_b64 s[4:5], s[4:5], exec
	s_and_b64 s[8:9], vcc, exec
	v_mov_b32_e32 v0, 0
	s_or_b64 s[4:5], s[4:5], s[8:9]
	s_or_b64 exec, exec, s[6:7]
	s_and_saveexec_b64 s[6:7], s[4:5]
	s_cbranch_execnz .LBB51_1971
	s_branch .LBB51_1972
.LBB51_4021:
	s_movk_i32 s4, 0x80
	v_cmp_eq_u16_e32 vcc, s4, v4
	s_mov_b64 s[4:5], -1
                                        ; implicit-def: $sgpr10
	s_and_saveexec_b64 s[8:9], vcc
; %bb.4022:
	s_mov_b32 s10, 0x7f800001
	s_xor_b64 s[4:5], exec, -1
; %bb.4023:
	s_or_b64 exec, exec, s[8:9]
	s_and_b64 s[4:5], s[4:5], exec
                                        ; implicit-def: $vgpr4
	s_or_saveexec_b64 s[6:7], s[6:7]
	v_mov_b32_e32 v8, s10
	s_xor_b64 exec, exec, s[6:7]
	s_cbranch_execz .LBB51_1974
.LBB51_4024:
	v_cmp_ne_u16_e32 vcc, 0, v4
	s_andn2_b64 s[4:5], s[4:5], exec
	s_and_b64 s[8:9], vcc, exec
	v_mov_b32_e32 v8, 0
	s_or_b64 s[4:5], s[4:5], s[8:9]
	s_or_b64 exec, exec, s[6:7]
	s_and_saveexec_b64 s[6:7], s[4:5]
	s_cbranch_execnz .LBB51_1975
	s_branch .LBB51_1976
.LBB51_4025:
	s_movk_i32 s4, 0x80
	v_cmp_eq_u16_sdwa s[12:13], v5, s4 src0_sel:BYTE_3 src1_sel:DWORD
	s_mov_b64 s[4:5], -1
                                        ; implicit-def: $sgpr10
	s_and_saveexec_b64 s[8:9], s[12:13]
; %bb.4026:
	s_mov_b32 s10, 0x7f800001
	s_xor_b64 s[4:5], exec, -1
; %bb.4027:
	s_or_b64 exec, exec, s[8:9]
	s_and_b64 s[4:5], s[4:5], exec
	s_or_saveexec_b64 s[6:7], s[6:7]
	v_mov_b32_e32 v0, s10
	s_xor_b64 exec, exec, s[6:7]
	s_cbranch_execz .LBB51_1978
.LBB51_4028:
	v_mov_b32_e32 v0, 0
	v_cmp_ne_u16_sdwa s[8:9], v5, v0 src0_sel:BYTE_3 src1_sel:DWORD
	s_andn2_b64 s[4:5], s[4:5], exec
	s_and_b64 s[8:9], s[8:9], exec
	s_or_b64 s[4:5], s[4:5], s[8:9]
	s_or_b64 exec, exec, s[6:7]
	s_and_saveexec_b64 s[6:7], s[4:5]
	s_cbranch_execnz .LBB51_1979
	s_branch .LBB51_1980
.LBB51_4029:
	s_movk_i32 s4, 0x80
	v_cmp_eq_u16_sdwa s[12:13], v1, s4 src0_sel:BYTE_3 src1_sel:DWORD
	s_mov_b64 s[4:5], -1
                                        ; implicit-def: $sgpr10
	s_and_saveexec_b64 s[8:9], s[12:13]
; %bb.4030:
	s_mov_b32 s10, 0x7f800001
	s_xor_b64 s[4:5], exec, -1
; %bb.4031:
	s_or_b64 exec, exec, s[8:9]
	s_and_b64 s[4:5], s[4:5], exec
	s_or_saveexec_b64 s[6:7], s[6:7]
	v_mov_b32_e32 v4, s10
	s_xor_b64 exec, exec, s[6:7]
	s_cbranch_execz .LBB51_1982
.LBB51_4032:
	v_mov_b32_e32 v4, 0
	v_cmp_ne_u16_sdwa s[8:9], v1, v4 src0_sel:BYTE_3 src1_sel:DWORD
	s_andn2_b64 s[4:5], s[4:5], exec
	s_and_b64 s[8:9], s[8:9], exec
	s_or_b64 s[4:5], s[4:5], s[8:9]
	s_or_b64 exec, exec, s[6:7]
	s_and_saveexec_b64 s[6:7], s[4:5]
	s_cbranch_execnz .LBB51_1983
	s_branch .LBB51_1984
.LBB51_4033:
	s_movk_i32 s4, 0x80
	v_cmp_eq_u16_sdwa s[12:13], v6, s4 src0_sel:BYTE_0 src1_sel:DWORD
	s_mov_b64 s[4:5], -1
                                        ; implicit-def: $sgpr10
	s_and_saveexec_b64 s[8:9], s[12:13]
; %bb.4034:
	s_mov_b32 s10, 0x7f800001
	s_xor_b64 s[4:5], exec, -1
; %bb.4035:
	s_or_b64 exec, exec, s[8:9]
	s_and_b64 s[4:5], s[4:5], exec
	s_or_saveexec_b64 s[6:7], s[6:7]
	v_mov_b32_e32 v0, s10
	s_xor_b64 exec, exec, s[6:7]
	s_cbranch_execz .LBB51_1986
.LBB51_4036:
	v_mov_b32_e32 v0, 0
	v_cmp_ne_u16_sdwa s[8:9], v6, v0 src0_sel:BYTE_0 src1_sel:DWORD
	s_andn2_b64 s[4:5], s[4:5], exec
	s_and_b64 s[8:9], s[8:9], exec
	s_or_b64 s[4:5], s[4:5], s[8:9]
	s_or_b64 exec, exec, s[6:7]
	s_and_saveexec_b64 s[6:7], s[4:5]
	s_cbranch_execnz .LBB51_1987
	s_branch .LBB51_1988
.LBB51_4037:
	s_movk_i32 s4, 0x80
	v_cmp_eq_u16_sdwa s[12:13], v2, s4 src0_sel:BYTE_0 src1_sel:DWORD
	s_mov_b64 s[4:5], -1
                                        ; implicit-def: $sgpr10
	s_and_saveexec_b64 s[8:9], s[12:13]
; %bb.4038:
	s_mov_b32 s10, 0x7f800001
	s_xor_b64 s[4:5], exec, -1
; %bb.4039:
	s_or_b64 exec, exec, s[8:9]
	s_and_b64 s[4:5], s[4:5], exec
	s_or_saveexec_b64 s[6:7], s[6:7]
	v_mov_b32_e32 v1, s10
	s_xor_b64 exec, exec, s[6:7]
	s_cbranch_execz .LBB51_1990
.LBB51_4040:
	v_mov_b32_e32 v1, 0
	v_cmp_ne_u16_sdwa s[8:9], v2, v1 src0_sel:BYTE_0 src1_sel:DWORD
	s_andn2_b64 s[4:5], s[4:5], exec
	s_and_b64 s[8:9], s[8:9], exec
	s_or_b64 s[4:5], s[4:5], s[8:9]
	s_or_b64 exec, exec, s[6:7]
	s_and_saveexec_b64 s[6:7], s[4:5]
	s_cbranch_execnz .LBB51_1991
	s_branch .LBB51_1992
.LBB51_4041:
	s_movk_i32 s4, 0x80
	v_cmp_eq_u16_sdwa s[12:13], v1, s4 src0_sel:BYTE_0 src1_sel:DWORD
	s_mov_b64 s[4:5], -1
                                        ; implicit-def: $sgpr10
	s_and_saveexec_b64 s[8:9], s[12:13]
; %bb.4042:
	s_mov_b32 s10, 0x7f800001
	s_xor_b64 s[4:5], exec, -1
; %bb.4043:
	s_or_b64 exec, exec, s[8:9]
	s_and_b64 s[4:5], s[4:5], exec
	s_or_saveexec_b64 s[6:7], s[6:7]
	v_mov_b32_e32 v0, s10
	s_xor_b64 exec, exec, s[6:7]
	s_cbranch_execz .LBB51_1994
.LBB51_4044:
	v_mov_b32_e32 v0, 0
	v_cmp_ne_u16_sdwa s[8:9], v1, v0 src0_sel:BYTE_0 src1_sel:DWORD
	s_andn2_b64 s[4:5], s[4:5], exec
	s_and_b64 s[8:9], s[8:9], exec
	s_or_b64 s[4:5], s[4:5], s[8:9]
	s_or_b64 exec, exec, s[6:7]
	s_and_saveexec_b64 s[6:7], s[4:5]
	s_cbranch_execnz .LBB51_1995
	s_branch .LBB51_1996
.LBB51_4045:
	s_movk_i32 s4, 0x80
	v_cmp_eq_u16_sdwa s[12:13], v1, s4 src0_sel:BYTE_0 src1_sel:DWORD
	s_mov_b64 s[4:5], -1
                                        ; implicit-def: $sgpr10
	s_and_saveexec_b64 s[8:9], s[12:13]
; %bb.4046:
	s_mov_b32 s10, 0x7f800001
	s_xor_b64 s[4:5], exec, -1
; %bb.4047:
	s_or_b64 exec, exec, s[8:9]
	s_and_b64 s[4:5], s[4:5], exec
	s_or_saveexec_b64 s[6:7], s[6:7]
	v_mov_b32_e32 v4, s10
	s_xor_b64 exec, exec, s[6:7]
	s_cbranch_execz .LBB51_1998
.LBB51_4048:
	v_mov_b32_e32 v4, 0
	v_cmp_ne_u16_sdwa s[8:9], v1, v4 src0_sel:BYTE_0 src1_sel:DWORD
	s_andn2_b64 s[4:5], s[4:5], exec
	s_and_b64 s[8:9], s[8:9], exec
	s_or_b64 s[4:5], s[4:5], s[8:9]
	s_or_b64 exec, exec, s[6:7]
	s_and_saveexec_b64 s[6:7], s[4:5]
	s_cbranch_execnz .LBB51_1999
	s_branch .LBB51_2000
.LBB51_4049:
	s_movk_i32 s4, 0x80
	v_cmp_eq_u16_e32 vcc, s4, v1
	s_mov_b64 s[4:5], -1
                                        ; implicit-def: $sgpr10
	s_and_saveexec_b64 s[8:9], vcc
; %bb.4050:
	s_mov_b32 s10, 0x7f800001
	s_xor_b64 s[4:5], exec, -1
; %bb.4051:
	s_or_b64 exec, exec, s[8:9]
	s_and_b64 s[4:5], s[4:5], exec
                                        ; implicit-def: $vgpr1
	s_or_saveexec_b64 s[6:7], s[6:7]
	v_mov_b32_e32 v0, s10
	s_xor_b64 exec, exec, s[6:7]
	s_cbranch_execz .LBB51_2002
.LBB51_4052:
	v_cmp_ne_u16_e32 vcc, 0, v1
	s_andn2_b64 s[4:5], s[4:5], exec
	s_and_b64 s[8:9], vcc, exec
	v_mov_b32_e32 v0, 0
	s_or_b64 s[4:5], s[4:5], s[8:9]
	s_or_b64 exec, exec, s[6:7]
	s_and_saveexec_b64 s[6:7], s[4:5]
	s_cbranch_execnz .LBB51_2003
	s_branch .LBB51_2004
.LBB51_4053:
	s_movk_i32 s4, 0x80
	v_cmp_eq_u16_e32 vcc, s4, v1
	s_mov_b64 s[4:5], -1
                                        ; implicit-def: $sgpr10
	s_and_saveexec_b64 s[8:9], vcc
; %bb.4054:
	s_mov_b32 s10, 0x7f800001
	s_xor_b64 s[4:5], exec, -1
; %bb.4055:
	s_or_b64 exec, exec, s[8:9]
	s_and_b64 s[4:5], s[4:5], exec
                                        ; implicit-def: $vgpr1
	s_or_saveexec_b64 s[6:7], s[6:7]
	v_mov_b32_e32 v4, s10
	s_xor_b64 exec, exec, s[6:7]
	s_cbranch_execz .LBB51_2006
.LBB51_4056:
	v_cmp_ne_u16_e32 vcc, 0, v1
	s_andn2_b64 s[4:5], s[4:5], exec
	s_and_b64 s[8:9], vcc, exec
	v_mov_b32_e32 v4, 0
	s_or_b64 s[4:5], s[4:5], s[8:9]
	s_or_b64 exec, exec, s[6:7]
	s_and_saveexec_b64 s[6:7], s[4:5]
	s_cbranch_execnz .LBB51_2007
	s_branch .LBB51_2008
.LBB51_4057:
	s_movk_i32 s4, 0x80
	v_cmp_eq_u16_sdwa s[12:13], v6, s4 src0_sel:BYTE_3 src1_sel:DWORD
	s_mov_b64 s[4:5], -1
                                        ; implicit-def: $sgpr10
	s_and_saveexec_b64 s[8:9], s[12:13]
; %bb.4058:
	s_mov_b32 s10, 0x7f800001
	s_xor_b64 s[4:5], exec, -1
; %bb.4059:
	s_or_b64 exec, exec, s[8:9]
	s_and_b64 s[4:5], s[4:5], exec
	s_or_saveexec_b64 s[6:7], s[6:7]
	v_mov_b32_e32 v0, s10
	s_xor_b64 exec, exec, s[6:7]
	s_cbranch_execz .LBB51_2010
.LBB51_4060:
	v_mov_b32_e32 v0, 0
	v_cmp_ne_u16_sdwa s[8:9], v6, v0 src0_sel:BYTE_3 src1_sel:DWORD
	s_andn2_b64 s[4:5], s[4:5], exec
	s_and_b64 s[8:9], s[8:9], exec
	s_or_b64 s[4:5], s[4:5], s[8:9]
	s_or_b64 exec, exec, s[6:7]
	s_and_saveexec_b64 s[6:7], s[4:5]
	s_cbranch_execnz .LBB51_2011
	s_branch .LBB51_2012
.LBB51_4061:
	s_movk_i32 s4, 0x80
	v_cmp_eq_u16_sdwa s[12:13], v2, s4 src0_sel:BYTE_3 src1_sel:DWORD
	s_mov_b64 s[4:5], -1
                                        ; implicit-def: $sgpr10
	s_and_saveexec_b64 s[8:9], s[12:13]
; %bb.4062:
	s_mov_b32 s10, 0x7f800001
	s_xor_b64 s[4:5], exec, -1
; %bb.4063:
	s_or_b64 exec, exec, s[8:9]
	s_and_b64 s[4:5], s[4:5], exec
	s_or_saveexec_b64 s[6:7], s[6:7]
	v_mov_b32_e32 v1, s10
	s_xor_b64 exec, exec, s[6:7]
	s_cbranch_execz .LBB51_2014
.LBB51_4064:
	v_mov_b32_e32 v1, 0
	v_cmp_ne_u16_sdwa s[8:9], v2, v1 src0_sel:BYTE_3 src1_sel:DWORD
	s_andn2_b64 s[4:5], s[4:5], exec
	s_and_b64 s[8:9], s[8:9], exec
	s_or_b64 s[4:5], s[4:5], s[8:9]
	s_or_b64 exec, exec, s[6:7]
	s_and_saveexec_b64 s[6:7], s[4:5]
	s_cbranch_execnz .LBB51_2015
	s_branch .LBB51_2016
.LBB51_4065:
	s_movk_i32 s4, 0x80
	v_cmp_eq_u16_sdwa s[12:13], v7, s4 src0_sel:BYTE_0 src1_sel:DWORD
	s_mov_b64 s[4:5], -1
                                        ; implicit-def: $sgpr10
	s_and_saveexec_b64 s[8:9], s[12:13]
; %bb.4066:
	s_mov_b32 s10, 0x7f800001
	s_xor_b64 s[4:5], exec, -1
; %bb.4067:
	s_or_b64 exec, exec, s[8:9]
	s_and_b64 s[4:5], s[4:5], exec
	s_or_saveexec_b64 s[6:7], s[6:7]
	v_mov_b32_e32 v0, s10
	s_xor_b64 exec, exec, s[6:7]
	s_cbranch_execz .LBB51_2018
.LBB51_4068:
	v_mov_b32_e32 v0, 0
	v_cmp_ne_u16_sdwa s[8:9], v7, v0 src0_sel:BYTE_0 src1_sel:DWORD
	s_andn2_b64 s[4:5], s[4:5], exec
	s_and_b64 s[8:9], s[8:9], exec
	s_or_b64 s[4:5], s[4:5], s[8:9]
	s_or_b64 exec, exec, s[6:7]
	s_and_saveexec_b64 s[6:7], s[4:5]
	s_cbranch_execnz .LBB51_2019
	s_branch .LBB51_2020
.LBB51_4069:
	s_movk_i32 s4, 0x80
	v_cmp_eq_u16_sdwa s[12:13], v3, s4 src0_sel:BYTE_0 src1_sel:DWORD
	s_mov_b64 s[4:5], -1
                                        ; implicit-def: $sgpr10
	s_and_saveexec_b64 s[8:9], s[12:13]
; %bb.4070:
	s_mov_b32 s10, 0x7f800001
	s_xor_b64 s[4:5], exec, -1
; %bb.4071:
	s_or_b64 exec, exec, s[8:9]
	s_and_b64 s[4:5], s[4:5], exec
	s_or_saveexec_b64 s[6:7], s[6:7]
	v_mov_b32_e32 v1, s10
	s_xor_b64 exec, exec, s[6:7]
	s_cbranch_execz .LBB51_2022
.LBB51_4072:
	v_mov_b32_e32 v1, 0
	v_cmp_ne_u16_sdwa s[8:9], v3, v1 src0_sel:BYTE_0 src1_sel:DWORD
	s_andn2_b64 s[4:5], s[4:5], exec
	s_and_b64 s[8:9], s[8:9], exec
	s_or_b64 s[4:5], s[4:5], s[8:9]
	s_or_b64 exec, exec, s[6:7]
	s_and_saveexec_b64 s[6:7], s[4:5]
	s_cbranch_execnz .LBB51_2023
	s_branch .LBB51_2024
.LBB51_4073:
	s_movk_i32 s4, 0x80
	v_cmp_eq_u16_sdwa s[12:13], v1, s4 src0_sel:BYTE_0 src1_sel:DWORD
	s_mov_b64 s[4:5], -1
                                        ; implicit-def: $sgpr10
	s_and_saveexec_b64 s[8:9], s[12:13]
; %bb.4074:
	s_mov_b32 s10, 0x7f800001
	s_xor_b64 s[4:5], exec, -1
; %bb.4075:
	s_or_b64 exec, exec, s[8:9]
	s_and_b64 s[4:5], s[4:5], exec
	s_or_saveexec_b64 s[6:7], s[6:7]
	v_mov_b32_e32 v0, s10
	s_xor_b64 exec, exec, s[6:7]
	s_cbranch_execz .LBB51_2026
.LBB51_4076:
	v_mov_b32_e32 v0, 0
	v_cmp_ne_u16_sdwa s[8:9], v1, v0 src0_sel:BYTE_0 src1_sel:DWORD
	s_andn2_b64 s[4:5], s[4:5], exec
	s_and_b64 s[8:9], s[8:9], exec
	s_or_b64 s[4:5], s[4:5], s[8:9]
	s_or_b64 exec, exec, s[6:7]
	s_and_saveexec_b64 s[6:7], s[4:5]
	s_cbranch_execnz .LBB51_2027
	s_branch .LBB51_2028
.LBB51_4077:
	s_movk_i32 s4, 0x80
	v_cmp_eq_u16_sdwa s[12:13], v1, s4 src0_sel:BYTE_0 src1_sel:DWORD
	s_mov_b64 s[4:5], -1
                                        ; implicit-def: $sgpr10
	s_and_saveexec_b64 s[8:9], s[12:13]
; %bb.4078:
	s_mov_b32 s10, 0x7f800001
	s_xor_b64 s[4:5], exec, -1
; %bb.4079:
	s_or_b64 exec, exec, s[8:9]
	s_and_b64 s[4:5], s[4:5], exec
	s_or_saveexec_b64 s[6:7], s[6:7]
	v_mov_b32_e32 v2, s10
	s_xor_b64 exec, exec, s[6:7]
	s_cbranch_execz .LBB51_2030
.LBB51_4080:
	v_mov_b32_e32 v2, 0
	v_cmp_ne_u16_sdwa s[8:9], v1, v2 src0_sel:BYTE_0 src1_sel:DWORD
	s_andn2_b64 s[4:5], s[4:5], exec
	s_and_b64 s[8:9], s[8:9], exec
	s_or_b64 s[4:5], s[4:5], s[8:9]
	s_or_b64 exec, exec, s[6:7]
	s_and_saveexec_b64 s[6:7], s[4:5]
	s_cbranch_execnz .LBB51_2031
	s_branch .LBB51_2032
.LBB51_4081:
	s_movk_i32 s4, 0x80
	v_cmp_eq_u16_e32 vcc, s4, v1
	s_mov_b64 s[4:5], -1
                                        ; implicit-def: $sgpr10
	s_and_saveexec_b64 s[8:9], vcc
; %bb.4082:
	s_mov_b32 s10, 0x7f800001
	s_xor_b64 s[4:5], exec, -1
; %bb.4083:
	s_or_b64 exec, exec, s[8:9]
	s_and_b64 s[4:5], s[4:5], exec
                                        ; implicit-def: $vgpr1
	s_or_saveexec_b64 s[6:7], s[6:7]
	v_mov_b32_e32 v0, s10
	s_xor_b64 exec, exec, s[6:7]
	s_cbranch_execz .LBB51_2034
.LBB51_4084:
	v_cmp_ne_u16_e32 vcc, 0, v1
	s_andn2_b64 s[4:5], s[4:5], exec
	s_and_b64 s[8:9], vcc, exec
	v_mov_b32_e32 v0, 0
	s_or_b64 s[4:5], s[4:5], s[8:9]
	s_or_b64 exec, exec, s[6:7]
	s_and_saveexec_b64 s[6:7], s[4:5]
	s_cbranch_execnz .LBB51_2035
	s_branch .LBB51_2036
.LBB51_4085:
	s_movk_i32 s4, 0x80
	v_cmp_eq_u16_e32 vcc, s4, v1
	s_mov_b64 s[4:5], -1
                                        ; implicit-def: $sgpr10
	s_and_saveexec_b64 s[8:9], vcc
; %bb.4086:
	s_mov_b32 s10, 0x7f800001
	s_xor_b64 s[4:5], exec, -1
; %bb.4087:
	s_or_b64 exec, exec, s[8:9]
	s_and_b64 s[4:5], s[4:5], exec
                                        ; implicit-def: $vgpr1
	s_or_saveexec_b64 s[6:7], s[6:7]
	v_mov_b32_e32 v2, s10
	s_xor_b64 exec, exec, s[6:7]
	s_cbranch_execz .LBB51_2038
.LBB51_4088:
	v_cmp_ne_u16_e32 vcc, 0, v1
	s_andn2_b64 s[4:5], s[4:5], exec
	s_and_b64 s[8:9], vcc, exec
	v_mov_b32_e32 v2, 0
	s_or_b64 s[4:5], s[4:5], s[8:9]
	s_or_b64 exec, exec, s[6:7]
	s_and_saveexec_b64 s[6:7], s[4:5]
	s_cbranch_execnz .LBB51_2039
	s_branch .LBB51_2040
.LBB51_4089:
	s_movk_i32 s4, 0x80
	v_cmp_eq_u16_sdwa s[12:13], v7, s4 src0_sel:BYTE_3 src1_sel:DWORD
	s_mov_b64 s[4:5], -1
                                        ; implicit-def: $sgpr10
	s_and_saveexec_b64 s[8:9], s[12:13]
; %bb.4090:
	s_mov_b32 s10, 0x7f800001
	s_xor_b64 s[4:5], exec, -1
; %bb.4091:
	s_or_b64 exec, exec, s[8:9]
	s_and_b64 s[4:5], s[4:5], exec
	s_or_saveexec_b64 s[6:7], s[6:7]
	v_mov_b32_e32 v0, s10
	s_xor_b64 exec, exec, s[6:7]
	s_cbranch_execz .LBB51_2042
.LBB51_4092:
	v_mov_b32_e32 v0, 0
	v_cmp_ne_u16_sdwa s[8:9], v7, v0 src0_sel:BYTE_3 src1_sel:DWORD
	s_andn2_b64 s[4:5], s[4:5], exec
	s_and_b64 s[8:9], s[8:9], exec
	s_or_b64 s[4:5], s[4:5], s[8:9]
	s_or_b64 exec, exec, s[6:7]
	s_and_saveexec_b64 s[6:7], s[4:5]
	s_cbranch_execnz .LBB51_2043
	s_branch .LBB51_2044
.LBB51_4093:
	s_movk_i32 s4, 0x80
	v_cmp_eq_u16_sdwa s[12:13], v3, s4 src0_sel:BYTE_3 src1_sel:DWORD
	s_mov_b64 s[4:5], -1
                                        ; implicit-def: $sgpr10
	s_and_saveexec_b64 s[8:9], s[12:13]
; %bb.4094:
	s_mov_b32 s10, 0x7f800001
	s_xor_b64 s[4:5], exec, -1
; %bb.4095:
	s_or_b64 exec, exec, s[8:9]
	s_and_b64 s[4:5], s[4:5], exec
	s_or_saveexec_b64 s[6:7], s[6:7]
	v_mov_b32_e32 v1, s10
	s_xor_b64 exec, exec, s[6:7]
	s_cbranch_execz .LBB51_2046
.LBB51_4096:
	v_mov_b32_e32 v1, 0
	v_cmp_ne_u16_sdwa s[8:9], v3, v1 src0_sel:BYTE_3 src1_sel:DWORD
	s_andn2_b64 s[4:5], s[4:5], exec
	s_and_b64 s[8:9], s[8:9], exec
	s_or_b64 s[4:5], s[4:5], s[8:9]
	s_or_b64 exec, exec, s[6:7]
	s_and_saveexec_b64 s[6:7], s[4:5]
	s_cbranch_execnz .LBB51_2047
	s_branch .LBB51_2048
.Lfunc_end51:
	.size	_ZNK2ck6detail7applierIiJLi0ELi1ELi2ELi3ELi4ELi5ELi6ELi7EEEclIZNKS_11static_fordINS_8SequenceIJLi1ELi8EEEENS5_IJLi0ELi1EEEEEclIZZNKS_52BlockwiseGemmXdlops_pipeline_bpreshuffle_bdequant_v3ILNS_26BlockGemmPipelineSchedulerE0ELi256ENS_9f8_fnuz_tENS_7pk_i4_tESC_fNS_16TensorDescriptorINS_5TupleIJNS_5EmbedINSF_IJNS_17integral_constantIiLi8EEENSH_IiLi256EEENSH_IiLi16EEEEEENSF_IJSK_NSH_IiLi128EEENSH_IiLi1EEEEEELb0EEENS_3XorINSF_IJSJ_SI_EEELb1EEENS_11PassThroughISK_EENS_7UnMergeINSF_IJSI_SN_EEELb0EEENST_ISJ_EESU_NST_ISI_EENS_21Merge_v3_division_modINSF_IJSJ_SN_EEEEESU_EEENSF_IJNS5_IJLi0EEEENS5_IJLi2ELi1EEEENS5_IJLi3EEEENS5_IJLi5EEEENS5_IJLi4EEEENS5_IJLi6EEEENS5_IJLi7EEEENS5_IJLi9ELi8EEEENS5_IJLi10EEEEEEENSF_IJNS5_IJLi1ELi2ELi3EEEENS5_IJLi4ELi5EEEES19_NS5_IJLi7ELi8EEEENS5_IJLi9EEEES1C_NS5_IJLi11EEEENS5_IJLi12EEEENS5_IJLi13EEEEEEENS5_IJLi11ELi12ELi13EEEENSH_IlLl32768EEEEENSE_INSF_IJNSV_INSF_IJSI_SN_SN_NSH_IiLi32EEEEEELb0EEEEEENSF_IJS14_EEENSF_IJNS5_IJLi1ELi2ELi3ELi4EEEEEEES1U_NSH_IlLl256EEEEENSE_INSF_IJSP_SS_SU_SX_SY_SU_SZ_S12_SU_NS10_INSF_IJSI_SK_EEEEENSV_INSF_IJSI_NSH_IiLi2EEESK_EEELb0EEEEEENSF_IJS14_S15_S16_S17_S18_S19_S1A_S1B_S1C_NS5_IJLi11ELi13EEEES1J_EEENSF_IJS1E_S1F_S19_S1G_S1H_S1C_S1I_S1J_S1K_NS5_IJLi14EEEENS5_IJLi15ELi16ELi17EEEEEEENS5_IJLi15ELi16ELi17ELi14EEEES1N_EENSE_INSF_IJS1R_NS10_ISW_EES22_EEENSF_IJS14_NS5_IJLi1ELi3EEEENS5_IJLi2EEEEEEENSF_IJS1U_S17_NS5_IJLi6ELi7ELi8EEEEEEENS5_IJLi6ELi7ELi8ELi5EEEES1W_EELi16ELi32ELi256ELi256ELi128ELi16ELi16ELi8ELi8ELi32ELb0EE3RunILb1ELNS_10TailNumberE1ENSE_INSF_IJNSG_INSF_IJiiEEENSF_IJiSN_EEELb0EEENSV_IS2N_Lb0EEENST_IiEEEEENSF_IJS14_S2E_NS5_IJLi1EEEEEEENSF_IJNS5_IJLi1ELi2EEEENS5_IJLi3ELi4EEEES17_EEENS5_IJLi3ELi5ELi4EEEElEES1O_NS_35ThreadGroupTensorSliceTransfer_v4r1INS_15ThisThreadBlockILi256EEENS_16tensor_operation12element_wise11PassThroughES35_LNS_25InMemoryDataOperationEnumE0ENS5_IJLi8ELi256ELi16EEEENS5_IJLi8ELi32ELi1EEEENS5_IJLi1ELi0ELi2EEEESC_SC_RKS2Z_KS1O_S39_NS5_IJLi0ELi1ELi2EEEELi2ELi2ELi16ELi16ELi1ELi1ELb0ELb1ELi2EiEENS_13DynamicBufferILNS_16AddressSpaceEnumE1EKSC_lLb1ELNS_22AmdBufferCoherenceEnumE0EiEENSF_IJNS3F_ILS3G_2ESC_S1N_Lb1ELS3I_0EiEES3K_EEENSF_IJiiiEEENSE_INSF_IJNSG_INSF_IJiiiiEEENSF_IJiiiSN_EEELb0EEEEEES1T_S1V_S1U_lEENS_32ThreadwiseTensorSliceTransfer_v2ISD_SD_RKS3R_KS1X_NS5_IJLi8ELi1ELi1ELi32EEEENS5_IJLi1ELi2ELi0ELi3EEEELi3ELi32ELi0ELb1ELb0ELb0EEENS3F_ILS3G_1EKSD_lLb1ELS3I_0EiEENSF_IJNS_12StaticBufferILS3G_4ESD_Li256ELb1EEES42_EEES3N_NS_25StaticBufferTupleOfVectorILS3G_4EfLi64ELi4ELb1ELb0EEEEEvRKT1_RKT2_RT3_RKT4_RT5_RKT6_RKT7_RT8_RKT9_RT10_RKT11_RT12_iENKUlT_E0_clINSH_IiLi7EEEEEDaS51_EUlS51_E_EEvS51_EUlS51_E_EEvS51_, .Lfunc_end51-_ZNK2ck6detail7applierIiJLi0ELi1ELi2ELi3ELi4ELi5ELi6ELi7EEEclIZNKS_11static_fordINS_8SequenceIJLi1ELi8EEEENS5_IJLi0ELi1EEEEEclIZZNKS_52BlockwiseGemmXdlops_pipeline_bpreshuffle_bdequant_v3ILNS_26BlockGemmPipelineSchedulerE0ELi256ENS_9f8_fnuz_tENS_7pk_i4_tESC_fNS_16TensorDescriptorINS_5TupleIJNS_5EmbedINSF_IJNS_17integral_constantIiLi8EEENSH_IiLi256EEENSH_IiLi16EEEEEENSF_IJSK_NSH_IiLi128EEENSH_IiLi1EEEEEELb0EEENS_3XorINSF_IJSJ_SI_EEELb1EEENS_11PassThroughISK_EENS_7UnMergeINSF_IJSI_SN_EEELb0EEENST_ISJ_EESU_NST_ISI_EENS_21Merge_v3_division_modINSF_IJSJ_SN_EEEEESU_EEENSF_IJNS5_IJLi0EEEENS5_IJLi2ELi1EEEENS5_IJLi3EEEENS5_IJLi5EEEENS5_IJLi4EEEENS5_IJLi6EEEENS5_IJLi7EEEENS5_IJLi9ELi8EEEENS5_IJLi10EEEEEEENSF_IJNS5_IJLi1ELi2ELi3EEEENS5_IJLi4ELi5EEEES19_NS5_IJLi7ELi8EEEENS5_IJLi9EEEES1C_NS5_IJLi11EEEENS5_IJLi12EEEENS5_IJLi13EEEEEEENS5_IJLi11ELi12ELi13EEEENSH_IlLl32768EEEEENSE_INSF_IJNSV_INSF_IJSI_SN_SN_NSH_IiLi32EEEEEELb0EEEEEENSF_IJS14_EEENSF_IJNS5_IJLi1ELi2ELi3ELi4EEEEEEES1U_NSH_IlLl256EEEEENSE_INSF_IJSP_SS_SU_SX_SY_SU_SZ_S12_SU_NS10_INSF_IJSI_SK_EEEEENSV_INSF_IJSI_NSH_IiLi2EEESK_EEELb0EEEEEENSF_IJS14_S15_S16_S17_S18_S19_S1A_S1B_S1C_NS5_IJLi11ELi13EEEES1J_EEENSF_IJS1E_S1F_S19_S1G_S1H_S1C_S1I_S1J_S1K_NS5_IJLi14EEEENS5_IJLi15ELi16ELi17EEEEEEENS5_IJLi15ELi16ELi17ELi14EEEES1N_EENSE_INSF_IJS1R_NS10_ISW_EES22_EEENSF_IJS14_NS5_IJLi1ELi3EEEENS5_IJLi2EEEEEEENSF_IJS1U_S17_NS5_IJLi6ELi7ELi8EEEEEEENS5_IJLi6ELi7ELi8ELi5EEEES1W_EELi16ELi32ELi256ELi256ELi128ELi16ELi16ELi8ELi8ELi32ELb0EE3RunILb1ELNS_10TailNumberE1ENSE_INSF_IJNSG_INSF_IJiiEEENSF_IJiSN_EEELb0EEENSV_IS2N_Lb0EEENST_IiEEEEENSF_IJS14_S2E_NS5_IJLi1EEEEEEENSF_IJNS5_IJLi1ELi2EEEENS5_IJLi3ELi4EEEES17_EEENS5_IJLi3ELi5ELi4EEEElEES1O_NS_35ThreadGroupTensorSliceTransfer_v4r1INS_15ThisThreadBlockILi256EEENS_16tensor_operation12element_wise11PassThroughES35_LNS_25InMemoryDataOperationEnumE0ENS5_IJLi8ELi256ELi16EEEENS5_IJLi8ELi32ELi1EEEENS5_IJLi1ELi0ELi2EEEESC_SC_RKS2Z_KS1O_S39_NS5_IJLi0ELi1ELi2EEEELi2ELi2ELi16ELi16ELi1ELi1ELb0ELb1ELi2EiEENS_13DynamicBufferILNS_16AddressSpaceEnumE1EKSC_lLb1ELNS_22AmdBufferCoherenceEnumE0EiEENSF_IJNS3F_ILS3G_2ESC_S1N_Lb1ELS3I_0EiEES3K_EEENSF_IJiiiEEENSE_INSF_IJNSG_INSF_IJiiiiEEENSF_IJiiiSN_EEELb0EEEEEES1T_S1V_S1U_lEENS_32ThreadwiseTensorSliceTransfer_v2ISD_SD_RKS3R_KS1X_NS5_IJLi8ELi1ELi1ELi32EEEENS5_IJLi1ELi2ELi0ELi3EEEELi3ELi32ELi0ELb1ELb0ELb0EEENS3F_ILS3G_1EKSD_lLb1ELS3I_0EiEENSF_IJNS_12StaticBufferILS3G_4ESD_Li256ELb1EEES42_EEES3N_NS_25StaticBufferTupleOfVectorILS3G_4EfLi64ELi4ELb1ELb0EEEEEvRKT1_RKT2_RT3_RKT4_RT5_RKT6_RKT7_RT8_RKT9_RT10_RKT11_RT12_iENKUlT_E0_clINSH_IiLi7EEEEEDaS51_EUlS51_E_EEvS51_EUlS51_E_EEvS51_
                                        ; -- End function
	.section	.AMDGPU.csdata,"",@progbits
; Function info:
; codeLenInByte = 133608
; NumSgprs: 36
; NumVgprs: 26
; NumAgprs: 4
; TotalNumVgprs: 32
; ScratchSize: 0
; MemoryBound: 1
	.text
	.p2align	2                               ; -- Begin function _ZNK2ck6detail7applierIiJLi0ELi1ELi2ELi3ELi4ELi5ELi6ELi7EEEclIZNKS_11static_fordINS_8SequenceIJLi1ELi8EEEENS5_IJLi0ELi1EEEEEclIZZNKS_52BlockwiseGemmXdlops_pipeline_bpreshuffle_bdequant_v3ILNS_26BlockGemmPipelineSchedulerE0ELi256ENS_9f8_fnuz_tENS_7pk_i4_tESC_fNS_16TensorDescriptorINS_5TupleIJNS_5EmbedINSF_IJNS_17integral_constantIiLi8EEENSH_IiLi256EEENSH_IiLi16EEEEEENSF_IJSK_NSH_IiLi128EEENSH_IiLi1EEEEEELb0EEENS_3XorINSF_IJSJ_SI_EEELb1EEENS_11PassThroughISK_EENS_7UnMergeINSF_IJSI_SN_EEELb0EEENST_ISJ_EESU_NST_ISI_EENS_21Merge_v3_division_modINSF_IJSJ_SN_EEEEESU_EEENSF_IJNS5_IJLi0EEEENS5_IJLi2ELi1EEEENS5_IJLi3EEEENS5_IJLi5EEEENS5_IJLi4EEEENS5_IJLi6EEEENS5_IJLi7EEEENS5_IJLi9ELi8EEEENS5_IJLi10EEEEEEENSF_IJNS5_IJLi1ELi2ELi3EEEENS5_IJLi4ELi5EEEES19_NS5_IJLi7ELi8EEEENS5_IJLi9EEEES1C_NS5_IJLi11EEEENS5_IJLi12EEEENS5_IJLi13EEEEEEENS5_IJLi11ELi12ELi13EEEENSH_IlLl32768EEEEENSE_INSF_IJNSV_INSF_IJSI_SN_SN_NSH_IiLi32EEEEEELb0EEEEEENSF_IJS14_EEENSF_IJNS5_IJLi1ELi2ELi3ELi4EEEEEEES1U_NSH_IlLl256EEEEENSE_INSF_IJSP_SS_SU_SX_SY_SU_SZ_S12_SU_NS10_INSF_IJSI_SK_EEEEENSV_INSF_IJSI_NSH_IiLi2EEESK_EEELb0EEEEEENSF_IJS14_S15_S16_S17_S18_S19_S1A_S1B_S1C_NS5_IJLi11ELi13EEEES1J_EEENSF_IJS1E_S1F_S19_S1G_S1H_S1C_S1I_S1J_S1K_NS5_IJLi14EEEENS5_IJLi15ELi16ELi17EEEEEEENS5_IJLi15ELi16ELi17ELi14EEEES1N_EENSE_INSF_IJS1R_NS10_ISW_EES22_EEENSF_IJS14_NS5_IJLi1ELi3EEEENS5_IJLi2EEEEEEENSF_IJS1U_S17_NS5_IJLi6ELi7ELi8EEEEEEENS5_IJLi6ELi7ELi8ELi5EEEES1W_EELi16ELi32ELi256ELi256ELi128ELi16ELi16ELi8ELi8ELi32ELb0EE3RunILb1ELNS_10TailNumberE1ENSE_INSF_IJNSG_INSF_IJiiEEENSF_IJiSN_EEELb0EEENSV_IS2N_Lb0EEENST_IiEEEEENSF_IJS14_S2E_NS5_IJLi1EEEEEEENSF_IJNS5_IJLi1ELi2EEEENS5_IJLi3ELi4EEEES17_EEENS5_IJLi3ELi5ELi4EEEElEES1O_NS_35ThreadGroupTensorSliceTransfer_v4r1INS_15ThisThreadBlockILi256EEENS_16tensor_operation12element_wise11PassThroughES35_LNS_25InMemoryDataOperationEnumE0ENS5_IJLi8ELi256ELi16EEEENS5_IJLi8ELi32ELi1EEEENS5_IJLi1ELi0ELi2EEEESC_SC_RKS2Z_KS1O_S39_NS5_IJLi0ELi1ELi2EEEELi2ELi2ELi16ELi16ELi1ELi1ELb0ELb1ELi2EiEENS_13DynamicBufferILNS_16AddressSpaceEnumE1EKSC_lLb1ELNS_22AmdBufferCoherenceEnumE0EiEENSF_IJNS3F_ILS3G_2ESC_S1N_Lb1ELS3I_0EiEES3K_EEENSF_IJiiiEEENSE_INSF_IJNSG_INSF_IJiiiiEEENSF_IJiiiSN_EEELb0EEEEEES1T_S1V_S1U_lEENS_32ThreadwiseTensorSliceTransfer_v2ISD_SD_RKS3R_KS1X_NS5_IJLi8ELi1ELi1ELi32EEEENS5_IJLi1ELi2ELi0ELi3EEEELi3ELi32ELi0ELb1ELb0ELb0EEENS3F_ILS3G_1EKSD_lLb1ELS3I_0EiEENSF_IJNS_12StaticBufferILS3G_4ESD_Li256ELb1EEES42_EEES3N_NS_25StaticBufferTupleOfVectorILS3G_4EfLi64ELi4ELb1ELb0EEEEEvRKT1_RKT2_RT3_RKT4_RT5_RKT6_RKT7_RT8_RKT9_RT10_RKT11_RT12_iENKUlT_E1_clINSH_IiLi0EEEEEDaS51_EUlS51_E_EEvS51_EUlS51_E_EEvS51_
	.type	_ZNK2ck6detail7applierIiJLi0ELi1ELi2ELi3ELi4ELi5ELi6ELi7EEEclIZNKS_11static_fordINS_8SequenceIJLi1ELi8EEEENS5_IJLi0ELi1EEEEEclIZZNKS_52BlockwiseGemmXdlops_pipeline_bpreshuffle_bdequant_v3ILNS_26BlockGemmPipelineSchedulerE0ELi256ENS_9f8_fnuz_tENS_7pk_i4_tESC_fNS_16TensorDescriptorINS_5TupleIJNS_5EmbedINSF_IJNS_17integral_constantIiLi8EEENSH_IiLi256EEENSH_IiLi16EEEEEENSF_IJSK_NSH_IiLi128EEENSH_IiLi1EEEEEELb0EEENS_3XorINSF_IJSJ_SI_EEELb1EEENS_11PassThroughISK_EENS_7UnMergeINSF_IJSI_SN_EEELb0EEENST_ISJ_EESU_NST_ISI_EENS_21Merge_v3_division_modINSF_IJSJ_SN_EEEEESU_EEENSF_IJNS5_IJLi0EEEENS5_IJLi2ELi1EEEENS5_IJLi3EEEENS5_IJLi5EEEENS5_IJLi4EEEENS5_IJLi6EEEENS5_IJLi7EEEENS5_IJLi9ELi8EEEENS5_IJLi10EEEEEEENSF_IJNS5_IJLi1ELi2ELi3EEEENS5_IJLi4ELi5EEEES19_NS5_IJLi7ELi8EEEENS5_IJLi9EEEES1C_NS5_IJLi11EEEENS5_IJLi12EEEENS5_IJLi13EEEEEEENS5_IJLi11ELi12ELi13EEEENSH_IlLl32768EEEEENSE_INSF_IJNSV_INSF_IJSI_SN_SN_NSH_IiLi32EEEEEELb0EEEEEENSF_IJS14_EEENSF_IJNS5_IJLi1ELi2ELi3ELi4EEEEEEES1U_NSH_IlLl256EEEEENSE_INSF_IJSP_SS_SU_SX_SY_SU_SZ_S12_SU_NS10_INSF_IJSI_SK_EEEEENSV_INSF_IJSI_NSH_IiLi2EEESK_EEELb0EEEEEENSF_IJS14_S15_S16_S17_S18_S19_S1A_S1B_S1C_NS5_IJLi11ELi13EEEES1J_EEENSF_IJS1E_S1F_S19_S1G_S1H_S1C_S1I_S1J_S1K_NS5_IJLi14EEEENS5_IJLi15ELi16ELi17EEEEEEENS5_IJLi15ELi16ELi17ELi14EEEES1N_EENSE_INSF_IJS1R_NS10_ISW_EES22_EEENSF_IJS14_NS5_IJLi1ELi3EEEENS5_IJLi2EEEEEEENSF_IJS1U_S17_NS5_IJLi6ELi7ELi8EEEEEEENS5_IJLi6ELi7ELi8ELi5EEEES1W_EELi16ELi32ELi256ELi256ELi128ELi16ELi16ELi8ELi8ELi32ELb0EE3RunILb1ELNS_10TailNumberE1ENSE_INSF_IJNSG_INSF_IJiiEEENSF_IJiSN_EEELb0EEENSV_IS2N_Lb0EEENST_IiEEEEENSF_IJS14_S2E_NS5_IJLi1EEEEEEENSF_IJNS5_IJLi1ELi2EEEENS5_IJLi3ELi4EEEES17_EEENS5_IJLi3ELi5ELi4EEEElEES1O_NS_35ThreadGroupTensorSliceTransfer_v4r1INS_15ThisThreadBlockILi256EEENS_16tensor_operation12element_wise11PassThroughES35_LNS_25InMemoryDataOperationEnumE0ENS5_IJLi8ELi256ELi16EEEENS5_IJLi8ELi32ELi1EEEENS5_IJLi1ELi0ELi2EEEESC_SC_RKS2Z_KS1O_S39_NS5_IJLi0ELi1ELi2EEEELi2ELi2ELi16ELi16ELi1ELi1ELb0ELb1ELi2EiEENS_13DynamicBufferILNS_16AddressSpaceEnumE1EKSC_lLb1ELNS_22AmdBufferCoherenceEnumE0EiEENSF_IJNS3F_ILS3G_2ESC_S1N_Lb1ELS3I_0EiEES3K_EEENSF_IJiiiEEENSE_INSF_IJNSG_INSF_IJiiiiEEENSF_IJiiiSN_EEELb0EEEEEES1T_S1V_S1U_lEENS_32ThreadwiseTensorSliceTransfer_v2ISD_SD_RKS3R_KS1X_NS5_IJLi8ELi1ELi1ELi32EEEENS5_IJLi1ELi2ELi0ELi3EEEELi3ELi32ELi0ELb1ELb0ELb0EEENS3F_ILS3G_1EKSD_lLb1ELS3I_0EiEENSF_IJNS_12StaticBufferILS3G_4ESD_Li256ELb1EEES42_EEES3N_NS_25StaticBufferTupleOfVectorILS3G_4EfLi64ELi4ELb1ELb0EEEEEvRKT1_RKT2_RT3_RKT4_RT5_RKT6_RKT7_RT8_RKT9_RT10_RKT11_RT12_iENKUlT_E1_clINSH_IiLi0EEEEEDaS51_EUlS51_E_EEvS51_EUlS51_E_EEvS51_,@function
_ZNK2ck6detail7applierIiJLi0ELi1ELi2ELi3ELi4ELi5ELi6ELi7EEEclIZNKS_11static_fordINS_8SequenceIJLi1ELi8EEEENS5_IJLi0ELi1EEEEEclIZZNKS_52BlockwiseGemmXdlops_pipeline_bpreshuffle_bdequant_v3ILNS_26BlockGemmPipelineSchedulerE0ELi256ENS_9f8_fnuz_tENS_7pk_i4_tESC_fNS_16TensorDescriptorINS_5TupleIJNS_5EmbedINSF_IJNS_17integral_constantIiLi8EEENSH_IiLi256EEENSH_IiLi16EEEEEENSF_IJSK_NSH_IiLi128EEENSH_IiLi1EEEEEELb0EEENS_3XorINSF_IJSJ_SI_EEELb1EEENS_11PassThroughISK_EENS_7UnMergeINSF_IJSI_SN_EEELb0EEENST_ISJ_EESU_NST_ISI_EENS_21Merge_v3_division_modINSF_IJSJ_SN_EEEEESU_EEENSF_IJNS5_IJLi0EEEENS5_IJLi2ELi1EEEENS5_IJLi3EEEENS5_IJLi5EEEENS5_IJLi4EEEENS5_IJLi6EEEENS5_IJLi7EEEENS5_IJLi9ELi8EEEENS5_IJLi10EEEEEEENSF_IJNS5_IJLi1ELi2ELi3EEEENS5_IJLi4ELi5EEEES19_NS5_IJLi7ELi8EEEENS5_IJLi9EEEES1C_NS5_IJLi11EEEENS5_IJLi12EEEENS5_IJLi13EEEEEEENS5_IJLi11ELi12ELi13EEEENSH_IlLl32768EEEEENSE_INSF_IJNSV_INSF_IJSI_SN_SN_NSH_IiLi32EEEEEELb0EEEEEENSF_IJS14_EEENSF_IJNS5_IJLi1ELi2ELi3ELi4EEEEEEES1U_NSH_IlLl256EEEEENSE_INSF_IJSP_SS_SU_SX_SY_SU_SZ_S12_SU_NS10_INSF_IJSI_SK_EEEEENSV_INSF_IJSI_NSH_IiLi2EEESK_EEELb0EEEEEENSF_IJS14_S15_S16_S17_S18_S19_S1A_S1B_S1C_NS5_IJLi11ELi13EEEES1J_EEENSF_IJS1E_S1F_S19_S1G_S1H_S1C_S1I_S1J_S1K_NS5_IJLi14EEEENS5_IJLi15ELi16ELi17EEEEEEENS5_IJLi15ELi16ELi17ELi14EEEES1N_EENSE_INSF_IJS1R_NS10_ISW_EES22_EEENSF_IJS14_NS5_IJLi1ELi3EEEENS5_IJLi2EEEEEEENSF_IJS1U_S17_NS5_IJLi6ELi7ELi8EEEEEEENS5_IJLi6ELi7ELi8ELi5EEEES1W_EELi16ELi32ELi256ELi256ELi128ELi16ELi16ELi8ELi8ELi32ELb0EE3RunILb1ELNS_10TailNumberE1ENSE_INSF_IJNSG_INSF_IJiiEEENSF_IJiSN_EEELb0EEENSV_IS2N_Lb0EEENST_IiEEEEENSF_IJS14_S2E_NS5_IJLi1EEEEEEENSF_IJNS5_IJLi1ELi2EEEENS5_IJLi3ELi4EEEES17_EEENS5_IJLi3ELi5ELi4EEEElEES1O_NS_35ThreadGroupTensorSliceTransfer_v4r1INS_15ThisThreadBlockILi256EEENS_16tensor_operation12element_wise11PassThroughES35_LNS_25InMemoryDataOperationEnumE0ENS5_IJLi8ELi256ELi16EEEENS5_IJLi8ELi32ELi1EEEENS5_IJLi1ELi0ELi2EEEESC_SC_RKS2Z_KS1O_S39_NS5_IJLi0ELi1ELi2EEEELi2ELi2ELi16ELi16ELi1ELi1ELb0ELb1ELi2EiEENS_13DynamicBufferILNS_16AddressSpaceEnumE1EKSC_lLb1ELNS_22AmdBufferCoherenceEnumE0EiEENSF_IJNS3F_ILS3G_2ESC_S1N_Lb1ELS3I_0EiEES3K_EEENSF_IJiiiEEENSE_INSF_IJNSG_INSF_IJiiiiEEENSF_IJiiiSN_EEELb0EEEEEES1T_S1V_S1U_lEENS_32ThreadwiseTensorSliceTransfer_v2ISD_SD_RKS3R_KS1X_NS5_IJLi8ELi1ELi1ELi32EEEENS5_IJLi1ELi2ELi0ELi3EEEELi3ELi32ELi0ELb1ELb0ELb0EEENS3F_ILS3G_1EKSD_lLb1ELS3I_0EiEENSF_IJNS_12StaticBufferILS3G_4ESD_Li256ELb1EEES42_EEES3N_NS_25StaticBufferTupleOfVectorILS3G_4EfLi64ELi4ELb1ELb0EEEEEvRKT1_RKT2_RT3_RKT4_RT5_RKT6_RKT7_RT8_RKT9_RT10_RKT11_RT12_iENKUlT_E1_clINSH_IiLi0EEEEEDaS51_EUlS51_E_EEvS51_EUlS51_E_EEvS51_: ; @_ZNK2ck6detail7applierIiJLi0ELi1ELi2ELi3ELi4ELi5ELi6ELi7EEEclIZNKS_11static_fordINS_8SequenceIJLi1ELi8EEEENS5_IJLi0ELi1EEEEEclIZZNKS_52BlockwiseGemmXdlops_pipeline_bpreshuffle_bdequant_v3ILNS_26BlockGemmPipelineSchedulerE0ELi256ENS_9f8_fnuz_tENS_7pk_i4_tESC_fNS_16TensorDescriptorINS_5TupleIJNS_5EmbedINSF_IJNS_17integral_constantIiLi8EEENSH_IiLi256EEENSH_IiLi16EEEEEENSF_IJSK_NSH_IiLi128EEENSH_IiLi1EEEEEELb0EEENS_3XorINSF_IJSJ_SI_EEELb1EEENS_11PassThroughISK_EENS_7UnMergeINSF_IJSI_SN_EEELb0EEENST_ISJ_EESU_NST_ISI_EENS_21Merge_v3_division_modINSF_IJSJ_SN_EEEEESU_EEENSF_IJNS5_IJLi0EEEENS5_IJLi2ELi1EEEENS5_IJLi3EEEENS5_IJLi5EEEENS5_IJLi4EEEENS5_IJLi6EEEENS5_IJLi7EEEENS5_IJLi9ELi8EEEENS5_IJLi10EEEEEEENSF_IJNS5_IJLi1ELi2ELi3EEEENS5_IJLi4ELi5EEEES19_NS5_IJLi7ELi8EEEENS5_IJLi9EEEES1C_NS5_IJLi11EEEENS5_IJLi12EEEENS5_IJLi13EEEEEEENS5_IJLi11ELi12ELi13EEEENSH_IlLl32768EEEEENSE_INSF_IJNSV_INSF_IJSI_SN_SN_NSH_IiLi32EEEEEELb0EEEEEENSF_IJS14_EEENSF_IJNS5_IJLi1ELi2ELi3ELi4EEEEEEES1U_NSH_IlLl256EEEEENSE_INSF_IJSP_SS_SU_SX_SY_SU_SZ_S12_SU_NS10_INSF_IJSI_SK_EEEEENSV_INSF_IJSI_NSH_IiLi2EEESK_EEELb0EEEEEENSF_IJS14_S15_S16_S17_S18_S19_S1A_S1B_S1C_NS5_IJLi11ELi13EEEES1J_EEENSF_IJS1E_S1F_S19_S1G_S1H_S1C_S1I_S1J_S1K_NS5_IJLi14EEEENS5_IJLi15ELi16ELi17EEEEEEENS5_IJLi15ELi16ELi17ELi14EEEES1N_EENSE_INSF_IJS1R_NS10_ISW_EES22_EEENSF_IJS14_NS5_IJLi1ELi3EEEENS5_IJLi2EEEEEEENSF_IJS1U_S17_NS5_IJLi6ELi7ELi8EEEEEEENS5_IJLi6ELi7ELi8ELi5EEEES1W_EELi16ELi32ELi256ELi256ELi128ELi16ELi16ELi8ELi8ELi32ELb0EE3RunILb1ELNS_10TailNumberE1ENSE_INSF_IJNSG_INSF_IJiiEEENSF_IJiSN_EEELb0EEENSV_IS2N_Lb0EEENST_IiEEEEENSF_IJS14_S2E_NS5_IJLi1EEEEEEENSF_IJNS5_IJLi1ELi2EEEENS5_IJLi3ELi4EEEES17_EEENS5_IJLi3ELi5ELi4EEEElEES1O_NS_35ThreadGroupTensorSliceTransfer_v4r1INS_15ThisThreadBlockILi256EEENS_16tensor_operation12element_wise11PassThroughES35_LNS_25InMemoryDataOperationEnumE0ENS5_IJLi8ELi256ELi16EEEENS5_IJLi8ELi32ELi1EEEENS5_IJLi1ELi0ELi2EEEESC_SC_RKS2Z_KS1O_S39_NS5_IJLi0ELi1ELi2EEEELi2ELi2ELi16ELi16ELi1ELi1ELb0ELb1ELi2EiEENS_13DynamicBufferILNS_16AddressSpaceEnumE1EKSC_lLb1ELNS_22AmdBufferCoherenceEnumE0EiEENSF_IJNS3F_ILS3G_2ESC_S1N_Lb1ELS3I_0EiEES3K_EEENSF_IJiiiEEENSE_INSF_IJNSG_INSF_IJiiiiEEENSF_IJiiiSN_EEELb0EEEEEES1T_S1V_S1U_lEENS_32ThreadwiseTensorSliceTransfer_v2ISD_SD_RKS3R_KS1X_NS5_IJLi8ELi1ELi1ELi32EEEENS5_IJLi1ELi2ELi0ELi3EEEELi3ELi32ELi0ELb1ELb0ELb0EEENS3F_ILS3G_1EKSD_lLb1ELS3I_0EiEENSF_IJNS_12StaticBufferILS3G_4ESD_Li256ELb1EEES42_EEES3N_NS_25StaticBufferTupleOfVectorILS3G_4EfLi64ELi4ELb1ELb0EEEEEvRKT1_RKT2_RT3_RKT4_RT5_RKT6_RKT7_RT8_RKT9_RT10_RKT11_RT12_iENKUlT_E1_clINSH_IiLi0EEEEEDaS51_EUlS51_E_EEvS51_EUlS51_E_EEvS51_
; %bb.0:
	s_waitcnt vmcnt(0) expcnt(0) lgkmcnt(0)
	flat_load_dwordx4 v[20:23], v[0:1] offset:8
	flat_load_dwordx2 v[18:19], v[0:1] offset:24
	s_movk_i32 s4, 0x7f
                                        ; implicit-def: $sgpr10
	s_waitcnt vmcnt(0) lgkmcnt(0)
	flat_load_dwordx4 v[14:17], v[20:21]
	flat_load_dwordx4 v[6:9], v[20:21] offset:16
	flat_load_dwordx4 v[10:13], v[22:23] offset:256
	;; [unrolled: 1-line block ×3, first 2 shown]
	s_waitcnt vmcnt(0) lgkmcnt(0)
	v_cmp_gt_i16_sdwa s[6:7], v14, s4 src0_sel:BYTE_0 src1_sel:DWORD
	s_mov_b64 s[4:5], 0
	s_and_saveexec_b64 s[8:9], s[6:7]
	s_xor_b64 s[6:7], exec, s[8:9]
	s_cbranch_execnz .LBB52_2049
; %bb.1:
	s_or_saveexec_b64 s[6:7], s[6:7]
	v_mov_b32_e32 v20, s10
	s_xor_b64 exec, exec, s[6:7]
	s_cbranch_execnz .LBB52_2052
.LBB52_2:
	s_or_b64 exec, exec, s[6:7]
	s_and_saveexec_b64 s[6:7], s[4:5]
	s_cbranch_execz .LBB52_4
.LBB52_3:
	v_and_b32_e32 v20, 7, v14
	v_ffbh_u32_e32 v22, v20
	v_min_u32_e32 v22, 32, v22
	v_lshrrev_b16_e32 v21, 3, v14
	v_subrev_u32_e32 v23, 28, v22
	v_and_b32_e32 v21, 15, v21
	v_lshlrev_b32_e32 v23, v23, v14
	v_sub_u32_e32 v22, 29, v22
	v_and_b32_e32 v23, 7, v23
	v_cmp_eq_u16_e32 vcc, 0, v21
	v_cndmask_b32_e32 v20, v20, v23, vcc
	v_cndmask_b32_e32 v21, v21, v22, vcc
	v_lshlrev_b32_e32 v22, 24, v14
	v_mov_b32_e32 v23, 0x3b800000
	v_lshlrev_b32_e32 v20, 20, v20
	v_and_b32_e32 v22, 0x80000000, v22
	v_lshl_add_u32 v21, v21, 23, v23
	v_or3_b32 v20, v22, v21, v20
.LBB52_4:
	s_or_b64 exec, exec, s[6:7]
	s_movk_i32 s4, 0x7f
	v_cmp_gt_i16_sdwa s[6:7], v10, s4 src0_sel:BYTE_0 src1_sel:DWORD
	s_mov_b64 s[4:5], 0
                                        ; implicit-def: $sgpr10
	s_and_saveexec_b64 s[8:9], s[6:7]
	s_xor_b64 s[6:7], exec, s[8:9]
	s_cbranch_execnz .LBB52_2053
; %bb.5:
	s_or_saveexec_b64 s[6:7], s[6:7]
	v_mov_b32_e32 v21, s10
	s_xor_b64 exec, exec, s[6:7]
	s_cbranch_execnz .LBB52_2056
.LBB52_6:
	s_or_b64 exec, exec, s[6:7]
	s_and_saveexec_b64 s[6:7], s[4:5]
	s_cbranch_execz .LBB52_8
.LBB52_7:
	v_and_b32_e32 v21, 7, v10
	v_ffbh_u32_e32 v23, v21
	v_min_u32_e32 v23, 32, v23
	v_lshrrev_b16_e32 v22, 3, v10
	v_subrev_u32_e32 v24, 28, v23
	v_and_b32_e32 v22, 15, v22
	v_lshlrev_b32_e32 v24, v24, v10
	v_sub_u32_e32 v23, 29, v23
	v_and_b32_e32 v24, 7, v24
	v_cmp_eq_u16_e32 vcc, 0, v22
	v_cndmask_b32_e32 v21, v21, v24, vcc
	v_cndmask_b32_e32 v22, v22, v23, vcc
	v_lshlrev_b32_e32 v23, 24, v10
	v_mov_b32_e32 v24, 0x3b800000
	v_lshlrev_b32_e32 v21, 20, v21
	v_and_b32_e32 v23, 0x80000000, v23
	v_lshl_add_u32 v22, v22, 23, v24
	v_or3_b32 v21, v23, v22, v21
.LBB52_8:
	s_or_b64 exec, exec, s[6:7]
	flat_load_dwordx4 a[0:3], v[18:19]
	s_movk_i32 s4, 0x7f
                                        ; implicit-def: $sgpr10
	s_waitcnt vmcnt(0) lgkmcnt(0)
	v_mfma_f32_16x16x4f32 a[0:3], v20, v21, a[0:3]
	v_lshrrev_b32_e32 v21, 8, v14
	v_cmp_gt_i16_sdwa s[6:7], v21, s4 src0_sel:BYTE_0 src1_sel:DWORD
	s_mov_b64 s[4:5], 0
	s_and_saveexec_b64 s[8:9], s[6:7]
	s_xor_b64 s[6:7], exec, s[8:9]
	s_cbranch_execnz .LBB52_2057
; %bb.9:
	s_or_saveexec_b64 s[6:7], s[6:7]
	v_mov_b32_e32 v20, s10
	s_xor_b64 exec, exec, s[6:7]
	s_cbranch_execnz .LBB52_2060
.LBB52_10:
	s_or_b64 exec, exec, s[6:7]
	s_and_saveexec_b64 s[6:7], s[4:5]
	s_cbranch_execz .LBB52_12
.LBB52_11:
	v_bfe_u32 v20, v14, 8, 3
	v_ffbh_u32_e32 v23, v20
	v_min_u32_e32 v23, 32, v23
	v_lshrrev_b16_e32 v22, 3, v21
	v_subrev_u32_e32 v24, 28, v23
	v_and_b32_e32 v22, 15, v22
	v_lshlrev_b32_e32 v21, v24, v21
	v_sub_u32_e32 v23, 29, v23
	v_and_b32_e32 v21, 7, v21
	v_cmp_eq_u16_e32 vcc, 0, v22
	v_cndmask_b32_e32 v20, v20, v21, vcc
	v_cndmask_b32_e32 v21, v22, v23, vcc
	v_lshlrev_b32_e32 v22, 16, v14
	v_mov_b32_e32 v23, 0x3b800000
	v_lshlrev_b32_e32 v20, 20, v20
	v_and_b32_e32 v22, 0x80000000, v22
	v_lshl_add_u32 v21, v21, 23, v23
	v_or3_b32 v20, v22, v21, v20
.LBB52_12:
	s_or_b64 exec, exec, s[6:7]
	v_lshrrev_b32_e32 v21, 8, v10
	s_movk_i32 s4, 0x7f
	v_cmp_gt_i16_sdwa s[6:7], v21, s4 src0_sel:BYTE_0 src1_sel:DWORD
	s_mov_b64 s[4:5], 0
                                        ; implicit-def: $sgpr10
	s_and_saveexec_b64 s[8:9], s[6:7]
	s_xor_b64 s[6:7], exec, s[8:9]
	s_cbranch_execnz .LBB52_2061
; %bb.13:
	s_or_saveexec_b64 s[6:7], s[6:7]
	v_mov_b32_e32 v22, s10
	s_xor_b64 exec, exec, s[6:7]
	s_cbranch_execnz .LBB52_2064
.LBB52_14:
	s_or_b64 exec, exec, s[6:7]
	s_and_saveexec_b64 s[6:7], s[4:5]
	s_cbranch_execz .LBB52_16
.LBB52_15:
	v_bfe_u32 v22, v10, 8, 3
	v_ffbh_u32_e32 v24, v22
	v_min_u32_e32 v24, 32, v24
	v_lshrrev_b16_e32 v23, 3, v21
	v_subrev_u32_e32 v25, 28, v24
	v_and_b32_e32 v23, 15, v23
	v_lshlrev_b32_e32 v21, v25, v21
	v_sub_u32_e32 v24, 29, v24
	v_and_b32_e32 v21, 7, v21
	v_cmp_eq_u16_e32 vcc, 0, v23
	v_cndmask_b32_e32 v21, v22, v21, vcc
	v_cndmask_b32_e32 v22, v23, v24, vcc
	v_lshlrev_b32_e32 v23, 16, v10
	v_mov_b32_e32 v24, 0x3b800000
	v_lshlrev_b32_e32 v21, 20, v21
	v_and_b32_e32 v23, 0x80000000, v23
	v_lshl_add_u32 v22, v22, 23, v24
	v_or3_b32 v22, v23, v22, v21
.LBB52_16:
	s_or_b64 exec, exec, s[6:7]
	s_nop 0
	v_mfma_f32_16x16x4f32 a[0:3], v20, v22, a[0:3]
	s_movk_i32 s4, 0xff
	v_and_b32_sdwa v21, v14, s4 dst_sel:DWORD dst_unused:UNUSED_PAD src0_sel:WORD_1 src1_sel:DWORD
	s_movk_i32 s4, 0x7f
	v_cmp_lt_i16_e32 vcc, s4, v21
	s_mov_b64 s[4:5], 0
                                        ; implicit-def: $sgpr10
	s_and_saveexec_b64 s[6:7], vcc
	s_xor_b64 s[6:7], exec, s[6:7]
	s_cbranch_execnz .LBB52_2065
; %bb.17:
	s_or_saveexec_b64 s[6:7], s[6:7]
	v_mov_b32_e32 v20, s10
	s_xor_b64 exec, exec, s[6:7]
	s_cbranch_execnz .LBB52_2068
.LBB52_18:
	s_or_b64 exec, exec, s[6:7]
	s_and_saveexec_b64 s[6:7], s[4:5]
	s_cbranch_execz .LBB52_20
.LBB52_19:
	v_bfe_u32 v20, v14, 16, 3
	v_ffbh_u32_e32 v23, v20
	v_min_u32_e32 v23, 32, v23
	v_lshrrev_b32_e32 v21, 19, v14
	v_subrev_u32_e32 v24, 28, v23
	v_and_b32_e32 v21, 15, v21
	v_lshlrev_b32_sdwa v24, v24, v14 dst_sel:DWORD dst_unused:UNUSED_PAD src0_sel:DWORD src1_sel:WORD_1
	v_bfe_u32 v22, v14, 19, 4
	v_sub_u32_e32 v23, 29, v23
	v_and_b32_e32 v24, 7, v24
	v_cmp_eq_u16_e32 vcc, 0, v21
	v_cndmask_b32_e32 v20, v20, v24, vcc
	v_cndmask_b32_e32 v21, v22, v23, vcc
	v_lshlrev_b32_e32 v22, 8, v14
	v_mov_b32_e32 v23, 0x3b800000
	v_lshlrev_b32_e32 v20, 20, v20
	v_and_b32_e32 v22, 0x80000000, v22
	v_lshl_add_u32 v21, v21, 23, v23
	v_or3_b32 v20, v22, v21, v20
.LBB52_20:
	s_or_b64 exec, exec, s[6:7]
	s_movk_i32 s4, 0xff
	v_and_b32_sdwa v21, v10, s4 dst_sel:DWORD dst_unused:UNUSED_PAD src0_sel:WORD_1 src1_sel:DWORD
	s_movk_i32 s4, 0x7f
	v_cmp_lt_i16_e32 vcc, s4, v21
	s_mov_b64 s[4:5], 0
                                        ; implicit-def: $sgpr10
	s_and_saveexec_b64 s[6:7], vcc
	s_xor_b64 s[6:7], exec, s[6:7]
	s_cbranch_execnz .LBB52_2069
; %bb.21:
	s_or_saveexec_b64 s[6:7], s[6:7]
	v_mov_b32_e32 v22, s10
	s_xor_b64 exec, exec, s[6:7]
	s_cbranch_execnz .LBB52_2072
.LBB52_22:
	s_or_b64 exec, exec, s[6:7]
	s_and_saveexec_b64 s[6:7], s[4:5]
	s_cbranch_execz .LBB52_24
.LBB52_23:
	v_bfe_u32 v21, v10, 16, 3
	v_ffbh_u32_e32 v24, v21
	v_min_u32_e32 v24, 32, v24
	v_lshrrev_b32_e32 v22, 19, v10
	v_subrev_u32_e32 v25, 28, v24
	v_and_b32_e32 v22, 15, v22
	v_lshlrev_b32_sdwa v25, v25, v10 dst_sel:DWORD dst_unused:UNUSED_PAD src0_sel:DWORD src1_sel:WORD_1
	v_bfe_u32 v23, v10, 19, 4
	v_sub_u32_e32 v24, 29, v24
	v_and_b32_e32 v25, 7, v25
	v_cmp_eq_u16_e32 vcc, 0, v22
	v_cndmask_b32_e32 v21, v21, v25, vcc
	v_cndmask_b32_e32 v22, v23, v24, vcc
	v_lshlrev_b32_e32 v23, 8, v10
	v_mov_b32_e32 v24, 0x3b800000
	v_lshlrev_b32_e32 v21, 20, v21
	v_and_b32_e32 v23, 0x80000000, v23
	v_lshl_add_u32 v22, v22, 23, v24
	v_or3_b32 v22, v23, v22, v21
.LBB52_24:
	s_or_b64 exec, exec, s[6:7]
	s_nop 0
	v_mfma_f32_16x16x4f32 a[0:3], v20, v22, a[0:3]
	s_movk_i32 s4, 0x7f
	v_cmp_gt_i16_sdwa s[6:7], v14, s4 src0_sel:BYTE_3 src1_sel:DWORD
	s_mov_b64 s[4:5], 0
                                        ; implicit-def: $sgpr10
	s_and_saveexec_b64 s[8:9], s[6:7]
	s_xor_b64 s[6:7], exec, s[8:9]
	s_cbranch_execnz .LBB52_2073
; %bb.25:
	s_or_saveexec_b64 s[6:7], s[6:7]
	v_mov_b32_e32 v20, s10
	s_xor_b64 exec, exec, s[6:7]
	s_cbranch_execnz .LBB52_2076
.LBB52_26:
	s_or_b64 exec, exec, s[6:7]
	s_and_saveexec_b64 s[6:7], s[4:5]
	s_cbranch_execz .LBB52_28
.LBB52_27:
	v_bfe_u32 v20, v14, 24, 3
	v_ffbh_u32_e32 v24, v20
	v_min_u32_e32 v24, 32, v24
	v_lshrrev_b32_e32 v22, 27, v14
	v_subrev_u32_e32 v25, 28, v24
	v_and_b32_e32 v21, 0x80000000, v14
	v_and_b32_e32 v22, 15, v22
	v_bfe_u32 v23, v14, 27, 4
	v_lshlrev_b32_sdwa v14, v25, v14 dst_sel:DWORD dst_unused:UNUSED_PAD src0_sel:DWORD src1_sel:BYTE_3
	v_sub_u32_e32 v24, 29, v24
	v_and_b32_e32 v14, 7, v14
	v_cmp_eq_u16_e32 vcc, 0, v22
	v_cndmask_b32_e32 v14, v20, v14, vcc
	v_cndmask_b32_e32 v20, v23, v24, vcc
	v_mov_b32_e32 v22, 0x3b800000
	v_lshlrev_b32_e32 v14, 20, v14
	v_lshl_add_u32 v20, v20, 23, v22
	v_or3_b32 v20, v21, v20, v14
.LBB52_28:
	s_or_b64 exec, exec, s[6:7]
	s_movk_i32 s4, 0x7f
	v_cmp_gt_i16_sdwa s[6:7], v10, s4 src0_sel:BYTE_3 src1_sel:DWORD
	s_mov_b64 s[4:5], 0
                                        ; implicit-def: $sgpr10
	s_and_saveexec_b64 s[8:9], s[6:7]
	s_xor_b64 s[6:7], exec, s[8:9]
	s_cbranch_execnz .LBB52_2077
; %bb.29:
	s_or_saveexec_b64 s[6:7], s[6:7]
	v_mov_b32_e32 v14, s10
	s_xor_b64 exec, exec, s[6:7]
	s_cbranch_execnz .LBB52_2080
.LBB52_30:
	s_or_b64 exec, exec, s[6:7]
	s_and_saveexec_b64 s[6:7], s[4:5]
	s_cbranch_execz .LBB52_32
.LBB52_31:
	v_bfe_u32 v14, v10, 24, 3
	v_ffbh_u32_e32 v24, v14
	v_min_u32_e32 v24, 32, v24
	v_lshrrev_b32_e32 v22, 27, v10
	v_subrev_u32_e32 v25, 28, v24
	v_and_b32_e32 v21, 0x80000000, v10
	v_and_b32_e32 v22, 15, v22
	v_bfe_u32 v23, v10, 27, 4
	v_lshlrev_b32_sdwa v10, v25, v10 dst_sel:DWORD dst_unused:UNUSED_PAD src0_sel:DWORD src1_sel:BYTE_3
	v_sub_u32_e32 v24, 29, v24
	v_and_b32_e32 v10, 7, v10
	v_cmp_eq_u16_e32 vcc, 0, v22
	v_cndmask_b32_e32 v10, v14, v10, vcc
	v_cndmask_b32_e32 v14, v23, v24, vcc
	v_mov_b32_e32 v22, 0x3b800000
	v_lshlrev_b32_e32 v10, 20, v10
	v_lshl_add_u32 v14, v14, 23, v22
	v_or3_b32 v14, v21, v14, v10
.LBB52_32:
	s_or_b64 exec, exec, s[6:7]
	s_nop 0
	v_mfma_f32_16x16x4f32 a[0:3], v20, v14, a[0:3]
	s_movk_i32 s4, 0x7f
	v_cmp_gt_i16_sdwa s[6:7], v15, s4 src0_sel:BYTE_0 src1_sel:DWORD
	s_mov_b64 s[4:5], 0
                                        ; implicit-def: $sgpr10
	s_and_saveexec_b64 s[8:9], s[6:7]
	s_xor_b64 s[6:7], exec, s[8:9]
	s_cbranch_execnz .LBB52_2081
; %bb.33:
	s_or_saveexec_b64 s[6:7], s[6:7]
	v_mov_b32_e32 v10, s10
	s_xor_b64 exec, exec, s[6:7]
	s_cbranch_execnz .LBB52_2084
.LBB52_34:
	s_or_b64 exec, exec, s[6:7]
	s_and_saveexec_b64 s[6:7], s[4:5]
	s_cbranch_execz .LBB52_36
.LBB52_35:
	v_and_b32_e32 v10, 7, v15
	v_ffbh_u32_e32 v20, v10
	v_min_u32_e32 v20, 32, v20
	v_lshrrev_b16_e32 v14, 3, v15
	v_subrev_u32_e32 v21, 28, v20
	v_and_b32_e32 v14, 15, v14
	v_lshlrev_b32_e32 v21, v21, v15
	v_sub_u32_e32 v20, 29, v20
	v_and_b32_e32 v21, 7, v21
	v_cmp_eq_u16_e32 vcc, 0, v14
	v_cndmask_b32_e32 v10, v10, v21, vcc
	v_cndmask_b32_e32 v14, v14, v20, vcc
	v_lshlrev_b32_e32 v20, 24, v15
	v_mov_b32_e32 v21, 0x3b800000
	v_lshlrev_b32_e32 v10, 20, v10
	v_and_b32_e32 v20, 0x80000000, v20
	v_lshl_add_u32 v14, v14, 23, v21
	v_or3_b32 v10, v20, v14, v10
.LBB52_36:
	s_or_b64 exec, exec, s[6:7]
	s_movk_i32 s4, 0x7f
	v_cmp_gt_i16_sdwa s[6:7], v11, s4 src0_sel:BYTE_0 src1_sel:DWORD
	s_mov_b64 s[4:5], 0
                                        ; implicit-def: $sgpr10
	s_and_saveexec_b64 s[8:9], s[6:7]
	s_xor_b64 s[6:7], exec, s[8:9]
	s_cbranch_execnz .LBB52_2085
; %bb.37:
	s_or_saveexec_b64 s[6:7], s[6:7]
	v_mov_b32_e32 v14, s10
	s_xor_b64 exec, exec, s[6:7]
	s_cbranch_execnz .LBB52_2088
.LBB52_38:
	s_or_b64 exec, exec, s[6:7]
	s_and_saveexec_b64 s[6:7], s[4:5]
	s_cbranch_execz .LBB52_40
.LBB52_39:
	v_and_b32_e32 v14, 7, v11
	v_ffbh_u32_e32 v21, v14
	v_min_u32_e32 v21, 32, v21
	v_lshrrev_b16_e32 v20, 3, v11
	v_subrev_u32_e32 v22, 28, v21
	v_and_b32_e32 v20, 15, v20
	v_lshlrev_b32_e32 v22, v22, v11
	v_sub_u32_e32 v21, 29, v21
	v_and_b32_e32 v22, 7, v22
	v_cmp_eq_u16_e32 vcc, 0, v20
	v_cndmask_b32_e32 v14, v14, v22, vcc
	v_cndmask_b32_e32 v20, v20, v21, vcc
	v_lshlrev_b32_e32 v21, 24, v11
	v_mov_b32_e32 v22, 0x3b800000
	v_lshlrev_b32_e32 v14, 20, v14
	v_and_b32_e32 v21, 0x80000000, v21
	v_lshl_add_u32 v20, v20, 23, v22
	v_or3_b32 v14, v21, v20, v14
.LBB52_40:
	s_or_b64 exec, exec, s[6:7]
	s_nop 0
	v_mfma_f32_16x16x4f32 a[0:3], v10, v14, a[0:3]
	v_lshrrev_b32_e32 v14, 8, v15
	s_movk_i32 s4, 0x7f
	v_cmp_gt_i16_sdwa s[6:7], v14, s4 src0_sel:BYTE_0 src1_sel:DWORD
	s_mov_b64 s[4:5], 0
                                        ; implicit-def: $sgpr10
	s_and_saveexec_b64 s[8:9], s[6:7]
	s_xor_b64 s[6:7], exec, s[8:9]
	s_cbranch_execnz .LBB52_2089
; %bb.41:
	s_or_saveexec_b64 s[6:7], s[6:7]
	v_mov_b32_e32 v10, s10
	s_xor_b64 exec, exec, s[6:7]
	s_cbranch_execnz .LBB52_2092
.LBB52_42:
	s_or_b64 exec, exec, s[6:7]
	s_and_saveexec_b64 s[6:7], s[4:5]
	s_cbranch_execz .LBB52_44
.LBB52_43:
	v_bfe_u32 v10, v15, 8, 3
	v_ffbh_u32_e32 v21, v10
	v_min_u32_e32 v21, 32, v21
	v_lshrrev_b16_e32 v20, 3, v14
	v_subrev_u32_e32 v22, 28, v21
	v_and_b32_e32 v20, 15, v20
	v_lshlrev_b32_e32 v14, v22, v14
	v_sub_u32_e32 v21, 29, v21
	v_and_b32_e32 v14, 7, v14
	v_cmp_eq_u16_e32 vcc, 0, v20
	v_cndmask_b32_e32 v10, v10, v14, vcc
	v_cndmask_b32_e32 v14, v20, v21, vcc
	v_lshlrev_b32_e32 v20, 16, v15
	v_mov_b32_e32 v21, 0x3b800000
	v_lshlrev_b32_e32 v10, 20, v10
	v_and_b32_e32 v20, 0x80000000, v20
	v_lshl_add_u32 v14, v14, 23, v21
	v_or3_b32 v10, v20, v14, v10
.LBB52_44:
	s_or_b64 exec, exec, s[6:7]
	v_lshrrev_b32_e32 v14, 8, v11
	s_movk_i32 s4, 0x7f
	v_cmp_gt_i16_sdwa s[6:7], v14, s4 src0_sel:BYTE_0 src1_sel:DWORD
	s_mov_b64 s[4:5], 0
                                        ; implicit-def: $sgpr10
	s_and_saveexec_b64 s[8:9], s[6:7]
	s_xor_b64 s[6:7], exec, s[8:9]
	s_cbranch_execnz .LBB52_2093
; %bb.45:
	s_or_saveexec_b64 s[6:7], s[6:7]
	v_mov_b32_e32 v20, s10
	s_xor_b64 exec, exec, s[6:7]
	s_cbranch_execnz .LBB52_2096
.LBB52_46:
	s_or_b64 exec, exec, s[6:7]
	s_and_saveexec_b64 s[6:7], s[4:5]
	s_cbranch_execz .LBB52_48
.LBB52_47:
	v_bfe_u32 v20, v11, 8, 3
	v_ffbh_u32_e32 v22, v20
	v_min_u32_e32 v22, 32, v22
	v_lshrrev_b16_e32 v21, 3, v14
	v_subrev_u32_e32 v23, 28, v22
	v_and_b32_e32 v21, 15, v21
	v_lshlrev_b32_e32 v14, v23, v14
	v_sub_u32_e32 v22, 29, v22
	v_and_b32_e32 v14, 7, v14
	v_cmp_eq_u16_e32 vcc, 0, v21
	v_cndmask_b32_e32 v14, v20, v14, vcc
	v_cndmask_b32_e32 v20, v21, v22, vcc
	v_lshlrev_b32_e32 v21, 16, v11
	v_mov_b32_e32 v22, 0x3b800000
	v_lshlrev_b32_e32 v14, 20, v14
	v_and_b32_e32 v21, 0x80000000, v21
	v_lshl_add_u32 v20, v20, 23, v22
	v_or3_b32 v20, v21, v20, v14
.LBB52_48:
	s_or_b64 exec, exec, s[6:7]
	s_nop 0
	v_mfma_f32_16x16x4f32 a[0:3], v10, v20, a[0:3]
	s_movk_i32 s4, 0xff
	v_and_b32_sdwa v14, v15, s4 dst_sel:DWORD dst_unused:UNUSED_PAD src0_sel:WORD_1 src1_sel:DWORD
	s_movk_i32 s4, 0x7f
	v_cmp_lt_i16_e32 vcc, s4, v14
	s_mov_b64 s[4:5], 0
                                        ; implicit-def: $sgpr10
	s_and_saveexec_b64 s[6:7], vcc
	s_xor_b64 s[6:7], exec, s[6:7]
	s_cbranch_execnz .LBB52_2097
; %bb.49:
	s_or_saveexec_b64 s[6:7], s[6:7]
	v_mov_b32_e32 v10, s10
	s_xor_b64 exec, exec, s[6:7]
	s_cbranch_execnz .LBB52_2100
.LBB52_50:
	s_or_b64 exec, exec, s[6:7]
	s_and_saveexec_b64 s[6:7], s[4:5]
	s_cbranch_execz .LBB52_52
.LBB52_51:
	v_bfe_u32 v10, v15, 16, 3
	v_ffbh_u32_e32 v21, v10
	v_min_u32_e32 v21, 32, v21
	v_lshrrev_b32_e32 v14, 19, v15
	v_subrev_u32_e32 v22, 28, v21
	v_and_b32_e32 v14, 15, v14
	v_lshlrev_b32_sdwa v22, v22, v15 dst_sel:DWORD dst_unused:UNUSED_PAD src0_sel:DWORD src1_sel:WORD_1
	v_bfe_u32 v20, v15, 19, 4
	v_sub_u32_e32 v21, 29, v21
	v_and_b32_e32 v22, 7, v22
	v_cmp_eq_u16_e32 vcc, 0, v14
	v_cndmask_b32_e32 v10, v10, v22, vcc
	v_cndmask_b32_e32 v14, v20, v21, vcc
	v_lshlrev_b32_e32 v20, 8, v15
	v_mov_b32_e32 v21, 0x3b800000
	v_lshlrev_b32_e32 v10, 20, v10
	v_and_b32_e32 v20, 0x80000000, v20
	v_lshl_add_u32 v14, v14, 23, v21
	v_or3_b32 v10, v20, v14, v10
.LBB52_52:
	s_or_b64 exec, exec, s[6:7]
	s_movk_i32 s4, 0xff
	v_and_b32_sdwa v14, v11, s4 dst_sel:DWORD dst_unused:UNUSED_PAD src0_sel:WORD_1 src1_sel:DWORD
	s_movk_i32 s4, 0x7f
	v_cmp_lt_i16_e32 vcc, s4, v14
	s_mov_b64 s[4:5], 0
                                        ; implicit-def: $sgpr10
	s_and_saveexec_b64 s[6:7], vcc
	s_xor_b64 s[6:7], exec, s[6:7]
	s_cbranch_execnz .LBB52_2101
; %bb.53:
	s_or_saveexec_b64 s[6:7], s[6:7]
	v_mov_b32_e32 v20, s10
	s_xor_b64 exec, exec, s[6:7]
	s_cbranch_execnz .LBB52_2104
.LBB52_54:
	s_or_b64 exec, exec, s[6:7]
	s_and_saveexec_b64 s[6:7], s[4:5]
	s_cbranch_execz .LBB52_56
.LBB52_55:
	v_bfe_u32 v14, v11, 16, 3
	v_ffbh_u32_e32 v22, v14
	v_min_u32_e32 v22, 32, v22
	v_lshrrev_b32_e32 v20, 19, v11
	v_subrev_u32_e32 v23, 28, v22
	v_and_b32_e32 v20, 15, v20
	v_lshlrev_b32_sdwa v23, v23, v11 dst_sel:DWORD dst_unused:UNUSED_PAD src0_sel:DWORD src1_sel:WORD_1
	v_bfe_u32 v21, v11, 19, 4
	v_sub_u32_e32 v22, 29, v22
	v_and_b32_e32 v23, 7, v23
	v_cmp_eq_u16_e32 vcc, 0, v20
	v_cndmask_b32_e32 v14, v14, v23, vcc
	v_cndmask_b32_e32 v20, v21, v22, vcc
	v_lshlrev_b32_e32 v21, 8, v11
	v_mov_b32_e32 v22, 0x3b800000
	v_lshlrev_b32_e32 v14, 20, v14
	v_and_b32_e32 v21, 0x80000000, v21
	v_lshl_add_u32 v20, v20, 23, v22
	v_or3_b32 v20, v21, v20, v14
.LBB52_56:
	s_or_b64 exec, exec, s[6:7]
	s_nop 0
	v_mfma_f32_16x16x4f32 a[0:3], v10, v20, a[0:3]
	s_movk_i32 s4, 0x7f
	v_cmp_gt_i16_sdwa s[6:7], v15, s4 src0_sel:BYTE_3 src1_sel:DWORD
	s_mov_b64 s[4:5], 0
                                        ; implicit-def: $sgpr10
	s_and_saveexec_b64 s[8:9], s[6:7]
	s_xor_b64 s[6:7], exec, s[8:9]
	s_cbranch_execnz .LBB52_2105
; %bb.57:
	s_or_saveexec_b64 s[6:7], s[6:7]
	v_mov_b32_e32 v10, s10
	s_xor_b64 exec, exec, s[6:7]
	s_cbranch_execnz .LBB52_2108
.LBB52_58:
	s_or_b64 exec, exec, s[6:7]
	s_and_saveexec_b64 s[6:7], s[4:5]
	s_cbranch_execz .LBB52_60
.LBB52_59:
	v_bfe_u32 v10, v15, 24, 3
	v_ffbh_u32_e32 v22, v10
	v_min_u32_e32 v22, 32, v22
	v_lshrrev_b32_e32 v20, 27, v15
	v_subrev_u32_e32 v23, 28, v22
	v_and_b32_e32 v14, 0x80000000, v15
	v_and_b32_e32 v20, 15, v20
	v_bfe_u32 v21, v15, 27, 4
	v_lshlrev_b32_sdwa v15, v23, v15 dst_sel:DWORD dst_unused:UNUSED_PAD src0_sel:DWORD src1_sel:BYTE_3
	v_sub_u32_e32 v22, 29, v22
	v_and_b32_e32 v15, 7, v15
	v_cmp_eq_u16_e32 vcc, 0, v20
	v_cndmask_b32_e32 v10, v10, v15, vcc
	v_cndmask_b32_e32 v15, v21, v22, vcc
	v_mov_b32_e32 v20, 0x3b800000
	v_lshlrev_b32_e32 v10, 20, v10
	v_lshl_add_u32 v15, v15, 23, v20
	v_or3_b32 v10, v14, v15, v10
.LBB52_60:
	s_or_b64 exec, exec, s[6:7]
	s_movk_i32 s4, 0x7f
	v_cmp_gt_i16_sdwa s[6:7], v11, s4 src0_sel:BYTE_3 src1_sel:DWORD
	s_mov_b64 s[4:5], 0
                                        ; implicit-def: $sgpr10
	s_and_saveexec_b64 s[8:9], s[6:7]
	s_xor_b64 s[6:7], exec, s[8:9]
	s_cbranch_execnz .LBB52_2109
; %bb.61:
	s_or_saveexec_b64 s[6:7], s[6:7]
	v_mov_b32_e32 v14, s10
	s_xor_b64 exec, exec, s[6:7]
	s_cbranch_execnz .LBB52_2112
.LBB52_62:
	s_or_b64 exec, exec, s[6:7]
	s_and_saveexec_b64 s[6:7], s[4:5]
	s_cbranch_execz .LBB52_64
.LBB52_63:
	v_bfe_u32 v14, v11, 24, 3
	v_ffbh_u32_e32 v22, v14
	v_min_u32_e32 v22, 32, v22
	v_lshrrev_b32_e32 v20, 27, v11
	v_subrev_u32_e32 v23, 28, v22
	v_and_b32_e32 v15, 0x80000000, v11
	v_and_b32_e32 v20, 15, v20
	v_bfe_u32 v21, v11, 27, 4
	v_lshlrev_b32_sdwa v11, v23, v11 dst_sel:DWORD dst_unused:UNUSED_PAD src0_sel:DWORD src1_sel:BYTE_3
	v_sub_u32_e32 v22, 29, v22
	v_and_b32_e32 v11, 7, v11
	v_cmp_eq_u16_e32 vcc, 0, v20
	v_cndmask_b32_e32 v11, v14, v11, vcc
	v_cndmask_b32_e32 v14, v21, v22, vcc
	v_mov_b32_e32 v20, 0x3b800000
	v_lshlrev_b32_e32 v11, 20, v11
	v_lshl_add_u32 v14, v14, 23, v20
	v_or3_b32 v14, v15, v14, v11
.LBB52_64:
	s_or_b64 exec, exec, s[6:7]
	s_nop 0
	v_mfma_f32_16x16x4f32 a[0:3], v10, v14, a[0:3]
	s_movk_i32 s4, 0x7f
	v_cmp_gt_i16_sdwa s[6:7], v16, s4 src0_sel:BYTE_0 src1_sel:DWORD
	s_mov_b64 s[4:5], 0
                                        ; implicit-def: $sgpr10
	s_and_saveexec_b64 s[8:9], s[6:7]
	s_xor_b64 s[6:7], exec, s[8:9]
	s_cbranch_execnz .LBB52_2113
; %bb.65:
	s_or_saveexec_b64 s[6:7], s[6:7]
	v_mov_b32_e32 v10, s10
	s_xor_b64 exec, exec, s[6:7]
	s_cbranch_execnz .LBB52_2116
.LBB52_66:
	s_or_b64 exec, exec, s[6:7]
	s_and_saveexec_b64 s[6:7], s[4:5]
	s_cbranch_execz .LBB52_68
.LBB52_67:
	v_and_b32_e32 v10, 7, v16
	v_ffbh_u32_e32 v14, v10
	v_min_u32_e32 v14, 32, v14
	v_lshrrev_b16_e32 v11, 3, v16
	v_subrev_u32_e32 v15, 28, v14
	v_and_b32_e32 v11, 15, v11
	v_lshlrev_b32_e32 v15, v15, v16
	v_sub_u32_e32 v14, 29, v14
	v_and_b32_e32 v15, 7, v15
	v_cmp_eq_u16_e32 vcc, 0, v11
	v_cndmask_b32_e32 v10, v10, v15, vcc
	v_cndmask_b32_e32 v11, v11, v14, vcc
	v_lshlrev_b32_e32 v14, 24, v16
	v_mov_b32_e32 v15, 0x3b800000
	v_lshlrev_b32_e32 v10, 20, v10
	v_and_b32_e32 v14, 0x80000000, v14
	v_lshl_add_u32 v11, v11, 23, v15
	v_or3_b32 v10, v14, v11, v10
.LBB52_68:
	s_or_b64 exec, exec, s[6:7]
	s_movk_i32 s4, 0x7f
	v_cmp_gt_i16_sdwa s[6:7], v12, s4 src0_sel:BYTE_0 src1_sel:DWORD
	s_mov_b64 s[4:5], 0
                                        ; implicit-def: $sgpr10
	s_and_saveexec_b64 s[8:9], s[6:7]
	s_xor_b64 s[6:7], exec, s[8:9]
	s_cbranch_execnz .LBB52_2117
; %bb.69:
	s_or_saveexec_b64 s[6:7], s[6:7]
	v_mov_b32_e32 v11, s10
	s_xor_b64 exec, exec, s[6:7]
	s_cbranch_execnz .LBB52_2120
.LBB52_70:
	s_or_b64 exec, exec, s[6:7]
	s_and_saveexec_b64 s[6:7], s[4:5]
	s_cbranch_execz .LBB52_72
.LBB52_71:
	v_and_b32_e32 v11, 7, v12
	v_ffbh_u32_e32 v15, v11
	v_min_u32_e32 v15, 32, v15
	v_lshrrev_b16_e32 v14, 3, v12
	v_subrev_u32_e32 v20, 28, v15
	v_and_b32_e32 v14, 15, v14
	v_lshlrev_b32_e32 v20, v20, v12
	v_sub_u32_e32 v15, 29, v15
	v_and_b32_e32 v20, 7, v20
	v_cmp_eq_u16_e32 vcc, 0, v14
	v_cndmask_b32_e32 v11, v11, v20, vcc
	v_cndmask_b32_e32 v14, v14, v15, vcc
	v_lshlrev_b32_e32 v15, 24, v12
	v_mov_b32_e32 v20, 0x3b800000
	v_lshlrev_b32_e32 v11, 20, v11
	v_and_b32_e32 v15, 0x80000000, v15
	v_lshl_add_u32 v14, v14, 23, v20
	v_or3_b32 v11, v15, v14, v11
.LBB52_72:
	s_or_b64 exec, exec, s[6:7]
	s_nop 0
	v_mfma_f32_16x16x4f32 a[0:3], v10, v11, a[0:3]
	v_lshrrev_b32_e32 v11, 8, v16
	s_movk_i32 s4, 0x7f
	v_cmp_gt_i16_sdwa s[6:7], v11, s4 src0_sel:BYTE_0 src1_sel:DWORD
	s_mov_b64 s[4:5], 0
                                        ; implicit-def: $sgpr10
	s_and_saveexec_b64 s[8:9], s[6:7]
	s_xor_b64 s[6:7], exec, s[8:9]
	s_cbranch_execnz .LBB52_2121
; %bb.73:
	s_or_saveexec_b64 s[6:7], s[6:7]
	v_mov_b32_e32 v10, s10
	s_xor_b64 exec, exec, s[6:7]
	s_cbranch_execnz .LBB52_2124
.LBB52_74:
	s_or_b64 exec, exec, s[6:7]
	s_and_saveexec_b64 s[6:7], s[4:5]
	s_cbranch_execz .LBB52_76
.LBB52_75:
	v_bfe_u32 v10, v16, 8, 3
	v_ffbh_u32_e32 v15, v10
	v_min_u32_e32 v15, 32, v15
	v_lshrrev_b16_e32 v14, 3, v11
	v_subrev_u32_e32 v20, 28, v15
	v_and_b32_e32 v14, 15, v14
	v_lshlrev_b32_e32 v11, v20, v11
	v_sub_u32_e32 v15, 29, v15
	v_and_b32_e32 v11, 7, v11
	v_cmp_eq_u16_e32 vcc, 0, v14
	v_cndmask_b32_e32 v10, v10, v11, vcc
	v_cndmask_b32_e32 v11, v14, v15, vcc
	v_lshlrev_b32_e32 v14, 16, v16
	v_mov_b32_e32 v15, 0x3b800000
	v_lshlrev_b32_e32 v10, 20, v10
	v_and_b32_e32 v14, 0x80000000, v14
	v_lshl_add_u32 v11, v11, 23, v15
	v_or3_b32 v10, v14, v11, v10
.LBB52_76:
	s_or_b64 exec, exec, s[6:7]
	v_lshrrev_b32_e32 v11, 8, v12
	s_movk_i32 s4, 0x7f
	v_cmp_gt_i16_sdwa s[6:7], v11, s4 src0_sel:BYTE_0 src1_sel:DWORD
	s_mov_b64 s[4:5], 0
                                        ; implicit-def: $sgpr10
	s_and_saveexec_b64 s[8:9], s[6:7]
	s_xor_b64 s[6:7], exec, s[8:9]
	s_cbranch_execnz .LBB52_2125
; %bb.77:
	s_or_saveexec_b64 s[6:7], s[6:7]
	v_mov_b32_e32 v14, s10
	s_xor_b64 exec, exec, s[6:7]
	s_cbranch_execnz .LBB52_2128
.LBB52_78:
	s_or_b64 exec, exec, s[6:7]
	s_and_saveexec_b64 s[6:7], s[4:5]
	s_cbranch_execz .LBB52_80
.LBB52_79:
	v_bfe_u32 v14, v12, 8, 3
	v_ffbh_u32_e32 v20, v14
	v_min_u32_e32 v20, 32, v20
	v_lshrrev_b16_e32 v15, 3, v11
	v_subrev_u32_e32 v21, 28, v20
	v_and_b32_e32 v15, 15, v15
	v_lshlrev_b32_e32 v11, v21, v11
	v_sub_u32_e32 v20, 29, v20
	v_and_b32_e32 v11, 7, v11
	v_cmp_eq_u16_e32 vcc, 0, v15
	v_cndmask_b32_e32 v11, v14, v11, vcc
	v_cndmask_b32_e32 v14, v15, v20, vcc
	v_lshlrev_b32_e32 v15, 16, v12
	v_mov_b32_e32 v20, 0x3b800000
	v_lshlrev_b32_e32 v11, 20, v11
	v_and_b32_e32 v15, 0x80000000, v15
	v_lshl_add_u32 v14, v14, 23, v20
	v_or3_b32 v14, v15, v14, v11
.LBB52_80:
	s_or_b64 exec, exec, s[6:7]
	s_nop 0
	v_mfma_f32_16x16x4f32 a[0:3], v10, v14, a[0:3]
	s_movk_i32 s4, 0xff
	v_and_b32_sdwa v11, v16, s4 dst_sel:DWORD dst_unused:UNUSED_PAD src0_sel:WORD_1 src1_sel:DWORD
	s_movk_i32 s4, 0x7f
	v_cmp_lt_i16_e32 vcc, s4, v11
	s_mov_b64 s[4:5], 0
                                        ; implicit-def: $sgpr10
	s_and_saveexec_b64 s[6:7], vcc
	s_xor_b64 s[6:7], exec, s[6:7]
	s_cbranch_execnz .LBB52_2129
; %bb.81:
	s_or_saveexec_b64 s[6:7], s[6:7]
	v_mov_b32_e32 v10, s10
	s_xor_b64 exec, exec, s[6:7]
	s_cbranch_execnz .LBB52_2132
.LBB52_82:
	s_or_b64 exec, exec, s[6:7]
	s_and_saveexec_b64 s[6:7], s[4:5]
	s_cbranch_execz .LBB52_84
.LBB52_83:
	v_bfe_u32 v10, v16, 16, 3
	v_ffbh_u32_e32 v15, v10
	v_min_u32_e32 v15, 32, v15
	v_lshrrev_b32_e32 v11, 19, v16
	v_subrev_u32_e32 v20, 28, v15
	v_and_b32_e32 v11, 15, v11
	v_lshlrev_b32_sdwa v20, v20, v16 dst_sel:DWORD dst_unused:UNUSED_PAD src0_sel:DWORD src1_sel:WORD_1
	v_bfe_u32 v14, v16, 19, 4
	v_sub_u32_e32 v15, 29, v15
	v_and_b32_e32 v20, 7, v20
	v_cmp_eq_u16_e32 vcc, 0, v11
	v_cndmask_b32_e32 v10, v10, v20, vcc
	v_cndmask_b32_e32 v11, v14, v15, vcc
	v_lshlrev_b32_e32 v14, 8, v16
	v_mov_b32_e32 v15, 0x3b800000
	v_lshlrev_b32_e32 v10, 20, v10
	v_and_b32_e32 v14, 0x80000000, v14
	v_lshl_add_u32 v11, v11, 23, v15
	v_or3_b32 v10, v14, v11, v10
.LBB52_84:
	s_or_b64 exec, exec, s[6:7]
	s_movk_i32 s4, 0xff
	v_and_b32_sdwa v11, v12, s4 dst_sel:DWORD dst_unused:UNUSED_PAD src0_sel:WORD_1 src1_sel:DWORD
	s_movk_i32 s4, 0x7f
	v_cmp_lt_i16_e32 vcc, s4, v11
	s_mov_b64 s[4:5], 0
                                        ; implicit-def: $sgpr10
	s_and_saveexec_b64 s[6:7], vcc
	s_xor_b64 s[6:7], exec, s[6:7]
	s_cbranch_execnz .LBB52_2133
; %bb.85:
	s_or_saveexec_b64 s[6:7], s[6:7]
	v_mov_b32_e32 v14, s10
	s_xor_b64 exec, exec, s[6:7]
	s_cbranch_execnz .LBB52_2136
.LBB52_86:
	s_or_b64 exec, exec, s[6:7]
	s_and_saveexec_b64 s[6:7], s[4:5]
	s_cbranch_execz .LBB52_88
.LBB52_87:
	v_bfe_u32 v11, v12, 16, 3
	v_ffbh_u32_e32 v20, v11
	v_min_u32_e32 v20, 32, v20
	v_lshrrev_b32_e32 v14, 19, v12
	v_subrev_u32_e32 v21, 28, v20
	v_and_b32_e32 v14, 15, v14
	v_lshlrev_b32_sdwa v21, v21, v12 dst_sel:DWORD dst_unused:UNUSED_PAD src0_sel:DWORD src1_sel:WORD_1
	v_bfe_u32 v15, v12, 19, 4
	v_sub_u32_e32 v20, 29, v20
	v_and_b32_e32 v21, 7, v21
	v_cmp_eq_u16_e32 vcc, 0, v14
	v_cndmask_b32_e32 v11, v11, v21, vcc
	v_cndmask_b32_e32 v14, v15, v20, vcc
	v_lshlrev_b32_e32 v15, 8, v12
	v_mov_b32_e32 v20, 0x3b800000
	v_lshlrev_b32_e32 v11, 20, v11
	v_and_b32_e32 v15, 0x80000000, v15
	v_lshl_add_u32 v14, v14, 23, v20
	v_or3_b32 v14, v15, v14, v11
.LBB52_88:
	s_or_b64 exec, exec, s[6:7]
	s_nop 0
	v_mfma_f32_16x16x4f32 a[0:3], v10, v14, a[0:3]
	s_movk_i32 s4, 0x7f
	v_cmp_gt_i16_sdwa s[6:7], v16, s4 src0_sel:BYTE_3 src1_sel:DWORD
	s_mov_b64 s[4:5], 0
                                        ; implicit-def: $sgpr10
	s_and_saveexec_b64 s[8:9], s[6:7]
	s_xor_b64 s[6:7], exec, s[8:9]
	s_cbranch_execnz .LBB52_2137
; %bb.89:
	s_or_saveexec_b64 s[6:7], s[6:7]
	v_mov_b32_e32 v10, s10
	s_xor_b64 exec, exec, s[6:7]
	s_cbranch_execnz .LBB52_2140
.LBB52_90:
	s_or_b64 exec, exec, s[6:7]
	s_and_saveexec_b64 s[6:7], s[4:5]
	s_cbranch_execz .LBB52_92
.LBB52_91:
	v_bfe_u32 v10, v16, 24, 3
	v_ffbh_u32_e32 v20, v10
	v_min_u32_e32 v20, 32, v20
	v_lshrrev_b32_e32 v14, 27, v16
	v_subrev_u32_e32 v21, 28, v20
	v_and_b32_e32 v11, 0x80000000, v16
	v_and_b32_e32 v14, 15, v14
	v_bfe_u32 v15, v16, 27, 4
	v_lshlrev_b32_sdwa v16, v21, v16 dst_sel:DWORD dst_unused:UNUSED_PAD src0_sel:DWORD src1_sel:BYTE_3
	v_sub_u32_e32 v20, 29, v20
	v_and_b32_e32 v16, 7, v16
	v_cmp_eq_u16_e32 vcc, 0, v14
	v_cndmask_b32_e32 v10, v10, v16, vcc
	v_cndmask_b32_e32 v14, v15, v20, vcc
	v_mov_b32_e32 v15, 0x3b800000
	v_lshlrev_b32_e32 v10, 20, v10
	v_lshl_add_u32 v14, v14, 23, v15
	v_or3_b32 v10, v11, v14, v10
.LBB52_92:
	s_or_b64 exec, exec, s[6:7]
	s_movk_i32 s4, 0x7f
	v_cmp_gt_i16_sdwa s[6:7], v12, s4 src0_sel:BYTE_3 src1_sel:DWORD
	s_mov_b64 s[4:5], 0
                                        ; implicit-def: $sgpr10
	s_and_saveexec_b64 s[8:9], s[6:7]
	s_xor_b64 s[6:7], exec, s[8:9]
	s_cbranch_execnz .LBB52_2141
; %bb.93:
	s_or_saveexec_b64 s[6:7], s[6:7]
	v_mov_b32_e32 v11, s10
	s_xor_b64 exec, exec, s[6:7]
	s_cbranch_execnz .LBB52_2144
.LBB52_94:
	s_or_b64 exec, exec, s[6:7]
	s_and_saveexec_b64 s[6:7], s[4:5]
	s_cbranch_execz .LBB52_96
.LBB52_95:
	v_bfe_u32 v11, v12, 24, 3
	v_ffbh_u32_e32 v20, v11
	v_min_u32_e32 v20, 32, v20
	v_lshrrev_b32_e32 v15, 27, v12
	v_subrev_u32_e32 v21, 28, v20
	v_and_b32_e32 v14, 0x80000000, v12
	v_and_b32_e32 v15, 15, v15
	v_bfe_u32 v16, v12, 27, 4
	v_lshlrev_b32_sdwa v12, v21, v12 dst_sel:DWORD dst_unused:UNUSED_PAD src0_sel:DWORD src1_sel:BYTE_3
	v_sub_u32_e32 v20, 29, v20
	v_and_b32_e32 v12, 7, v12
	v_cmp_eq_u16_e32 vcc, 0, v15
	v_cndmask_b32_e32 v11, v11, v12, vcc
	v_cndmask_b32_e32 v12, v16, v20, vcc
	v_mov_b32_e32 v15, 0x3b800000
	v_lshlrev_b32_e32 v11, 20, v11
	v_lshl_add_u32 v12, v12, 23, v15
	v_or3_b32 v11, v14, v12, v11
.LBB52_96:
	s_or_b64 exec, exec, s[6:7]
	s_nop 0
	v_mfma_f32_16x16x4f32 a[0:3], v10, v11, a[0:3]
	s_movk_i32 s4, 0x7f
	v_cmp_gt_i16_sdwa s[6:7], v17, s4 src0_sel:BYTE_0 src1_sel:DWORD
	s_mov_b64 s[4:5], 0
                                        ; implicit-def: $sgpr10
	s_and_saveexec_b64 s[8:9], s[6:7]
	s_xor_b64 s[6:7], exec, s[8:9]
	s_cbranch_execnz .LBB52_2145
; %bb.97:
	s_or_saveexec_b64 s[6:7], s[6:7]
	v_mov_b32_e32 v10, s10
	s_xor_b64 exec, exec, s[6:7]
	s_cbranch_execnz .LBB52_2148
.LBB52_98:
	s_or_b64 exec, exec, s[6:7]
	s_and_saveexec_b64 s[6:7], s[4:5]
	s_cbranch_execz .LBB52_100
.LBB52_99:
	v_and_b32_e32 v10, 7, v17
	v_ffbh_u32_e32 v12, v10
	v_min_u32_e32 v12, 32, v12
	v_lshrrev_b16_e32 v11, 3, v17
	v_subrev_u32_e32 v14, 28, v12
	v_and_b32_e32 v11, 15, v11
	v_lshlrev_b32_e32 v14, v14, v17
	v_sub_u32_e32 v12, 29, v12
	v_and_b32_e32 v14, 7, v14
	v_cmp_eq_u16_e32 vcc, 0, v11
	v_cndmask_b32_e32 v10, v10, v14, vcc
	v_cndmask_b32_e32 v11, v11, v12, vcc
	v_lshlrev_b32_e32 v12, 24, v17
	v_mov_b32_e32 v14, 0x3b800000
	v_lshlrev_b32_e32 v10, 20, v10
	v_and_b32_e32 v12, 0x80000000, v12
	v_lshl_add_u32 v11, v11, 23, v14
	v_or3_b32 v10, v12, v11, v10
.LBB52_100:
	s_or_b64 exec, exec, s[6:7]
	s_movk_i32 s4, 0x7f
	v_cmp_gt_i16_sdwa s[6:7], v13, s4 src0_sel:BYTE_0 src1_sel:DWORD
	s_mov_b64 s[4:5], 0
                                        ; implicit-def: $sgpr10
	s_and_saveexec_b64 s[8:9], s[6:7]
	s_xor_b64 s[6:7], exec, s[8:9]
	s_cbranch_execnz .LBB52_2149
; %bb.101:
	s_or_saveexec_b64 s[6:7], s[6:7]
	v_mov_b32_e32 v11, s10
	s_xor_b64 exec, exec, s[6:7]
	s_cbranch_execnz .LBB52_2152
.LBB52_102:
	s_or_b64 exec, exec, s[6:7]
	s_and_saveexec_b64 s[6:7], s[4:5]
	s_cbranch_execz .LBB52_104
.LBB52_103:
	v_and_b32_e32 v11, 7, v13
	v_ffbh_u32_e32 v14, v11
	v_min_u32_e32 v14, 32, v14
	v_lshrrev_b16_e32 v12, 3, v13
	v_subrev_u32_e32 v15, 28, v14
	v_and_b32_e32 v12, 15, v12
	v_lshlrev_b32_e32 v15, v15, v13
	v_sub_u32_e32 v14, 29, v14
	v_and_b32_e32 v15, 7, v15
	v_cmp_eq_u16_e32 vcc, 0, v12
	v_cndmask_b32_e32 v11, v11, v15, vcc
	v_cndmask_b32_e32 v12, v12, v14, vcc
	v_lshlrev_b32_e32 v14, 24, v13
	v_mov_b32_e32 v15, 0x3b800000
	v_lshlrev_b32_e32 v11, 20, v11
	v_and_b32_e32 v14, 0x80000000, v14
	v_lshl_add_u32 v12, v12, 23, v15
	v_or3_b32 v11, v14, v12, v11
.LBB52_104:
	s_or_b64 exec, exec, s[6:7]
	s_nop 0
	v_mfma_f32_16x16x4f32 a[0:3], v10, v11, a[0:3]
	v_lshrrev_b32_e32 v11, 8, v17
	s_movk_i32 s4, 0x7f
	v_cmp_gt_i16_sdwa s[6:7], v11, s4 src0_sel:BYTE_0 src1_sel:DWORD
	s_mov_b64 s[4:5], 0
                                        ; implicit-def: $sgpr10
	s_and_saveexec_b64 s[8:9], s[6:7]
	s_xor_b64 s[6:7], exec, s[8:9]
	s_cbranch_execnz .LBB52_2153
; %bb.105:
	s_or_saveexec_b64 s[6:7], s[6:7]
	v_mov_b32_e32 v10, s10
	s_xor_b64 exec, exec, s[6:7]
	s_cbranch_execnz .LBB52_2156
.LBB52_106:
	s_or_b64 exec, exec, s[6:7]
	s_and_saveexec_b64 s[6:7], s[4:5]
	s_cbranch_execz .LBB52_108
.LBB52_107:
	v_bfe_u32 v10, v17, 8, 3
	v_ffbh_u32_e32 v14, v10
	v_min_u32_e32 v14, 32, v14
	v_lshrrev_b16_e32 v12, 3, v11
	v_subrev_u32_e32 v15, 28, v14
	v_and_b32_e32 v12, 15, v12
	v_lshlrev_b32_e32 v11, v15, v11
	v_sub_u32_e32 v14, 29, v14
	v_and_b32_e32 v11, 7, v11
	v_cmp_eq_u16_e32 vcc, 0, v12
	v_cndmask_b32_e32 v10, v10, v11, vcc
	v_cndmask_b32_e32 v11, v12, v14, vcc
	v_lshlrev_b32_e32 v12, 16, v17
	v_mov_b32_e32 v14, 0x3b800000
	v_lshlrev_b32_e32 v10, 20, v10
	v_and_b32_e32 v12, 0x80000000, v12
	v_lshl_add_u32 v11, v11, 23, v14
	v_or3_b32 v10, v12, v11, v10
.LBB52_108:
	s_or_b64 exec, exec, s[6:7]
	v_lshrrev_b32_e32 v11, 8, v13
	s_movk_i32 s4, 0x7f
	v_cmp_gt_i16_sdwa s[6:7], v11, s4 src0_sel:BYTE_0 src1_sel:DWORD
	s_mov_b64 s[4:5], 0
                                        ; implicit-def: $sgpr10
	s_and_saveexec_b64 s[8:9], s[6:7]
	s_xor_b64 s[6:7], exec, s[8:9]
	s_cbranch_execnz .LBB52_2157
; %bb.109:
	s_or_saveexec_b64 s[6:7], s[6:7]
	v_mov_b32_e32 v12, s10
	s_xor_b64 exec, exec, s[6:7]
	s_cbranch_execnz .LBB52_2160
.LBB52_110:
	s_or_b64 exec, exec, s[6:7]
	s_and_saveexec_b64 s[6:7], s[4:5]
	s_cbranch_execz .LBB52_112
.LBB52_111:
	v_bfe_u32 v12, v13, 8, 3
	v_ffbh_u32_e32 v15, v12
	v_min_u32_e32 v15, 32, v15
	v_lshrrev_b16_e32 v14, 3, v11
	v_subrev_u32_e32 v16, 28, v15
	v_and_b32_e32 v14, 15, v14
	v_lshlrev_b32_e32 v11, v16, v11
	v_sub_u32_e32 v15, 29, v15
	v_and_b32_e32 v11, 7, v11
	v_cmp_eq_u16_e32 vcc, 0, v14
	v_cndmask_b32_e32 v11, v12, v11, vcc
	v_cndmask_b32_e32 v12, v14, v15, vcc
	v_lshlrev_b32_e32 v14, 16, v13
	v_mov_b32_e32 v15, 0x3b800000
	v_lshlrev_b32_e32 v11, 20, v11
	v_and_b32_e32 v14, 0x80000000, v14
	v_lshl_add_u32 v12, v12, 23, v15
	v_or3_b32 v12, v14, v12, v11
.LBB52_112:
	s_or_b64 exec, exec, s[6:7]
	s_nop 0
	v_mfma_f32_16x16x4f32 a[0:3], v10, v12, a[0:3]
	s_movk_i32 s4, 0xff
	v_and_b32_sdwa v11, v17, s4 dst_sel:DWORD dst_unused:UNUSED_PAD src0_sel:WORD_1 src1_sel:DWORD
	s_movk_i32 s4, 0x7f
	v_cmp_lt_i16_e32 vcc, s4, v11
	s_mov_b64 s[4:5], 0
                                        ; implicit-def: $sgpr10
	s_and_saveexec_b64 s[6:7], vcc
	s_xor_b64 s[6:7], exec, s[6:7]
	s_cbranch_execnz .LBB52_2161
; %bb.113:
	s_or_saveexec_b64 s[6:7], s[6:7]
	v_mov_b32_e32 v10, s10
	s_xor_b64 exec, exec, s[6:7]
	s_cbranch_execnz .LBB52_2164
.LBB52_114:
	s_or_b64 exec, exec, s[6:7]
	s_and_saveexec_b64 s[6:7], s[4:5]
	s_cbranch_execz .LBB52_116
.LBB52_115:
	v_bfe_u32 v10, v17, 16, 3
	v_ffbh_u32_e32 v14, v10
	v_min_u32_e32 v14, 32, v14
	v_lshrrev_b32_e32 v11, 19, v17
	v_subrev_u32_e32 v15, 28, v14
	v_and_b32_e32 v11, 15, v11
	v_lshlrev_b32_sdwa v15, v15, v17 dst_sel:DWORD dst_unused:UNUSED_PAD src0_sel:DWORD src1_sel:WORD_1
	v_bfe_u32 v12, v17, 19, 4
	v_sub_u32_e32 v14, 29, v14
	v_and_b32_e32 v15, 7, v15
	v_cmp_eq_u16_e32 vcc, 0, v11
	v_cndmask_b32_e32 v10, v10, v15, vcc
	v_cndmask_b32_e32 v11, v12, v14, vcc
	v_lshlrev_b32_e32 v12, 8, v17
	v_mov_b32_e32 v14, 0x3b800000
	v_lshlrev_b32_e32 v10, 20, v10
	v_and_b32_e32 v12, 0x80000000, v12
	v_lshl_add_u32 v11, v11, 23, v14
	v_or3_b32 v10, v12, v11, v10
.LBB52_116:
	s_or_b64 exec, exec, s[6:7]
	s_movk_i32 s4, 0xff
	v_and_b32_sdwa v11, v13, s4 dst_sel:DWORD dst_unused:UNUSED_PAD src0_sel:WORD_1 src1_sel:DWORD
	s_movk_i32 s4, 0x7f
	v_cmp_lt_i16_e32 vcc, s4, v11
	s_mov_b64 s[4:5], 0
                                        ; implicit-def: $sgpr10
	s_and_saveexec_b64 s[6:7], vcc
	s_xor_b64 s[6:7], exec, s[6:7]
	s_cbranch_execnz .LBB52_2165
; %bb.117:
	s_or_saveexec_b64 s[6:7], s[6:7]
	v_mov_b32_e32 v12, s10
	s_xor_b64 exec, exec, s[6:7]
	s_cbranch_execnz .LBB52_2168
.LBB52_118:
	s_or_b64 exec, exec, s[6:7]
	s_and_saveexec_b64 s[6:7], s[4:5]
	s_cbranch_execz .LBB52_120
.LBB52_119:
	v_bfe_u32 v11, v13, 16, 3
	v_ffbh_u32_e32 v15, v11
	v_min_u32_e32 v15, 32, v15
	v_lshrrev_b32_e32 v12, 19, v13
	v_subrev_u32_e32 v16, 28, v15
	v_and_b32_e32 v12, 15, v12
	v_lshlrev_b32_sdwa v16, v16, v13 dst_sel:DWORD dst_unused:UNUSED_PAD src0_sel:DWORD src1_sel:WORD_1
	v_bfe_u32 v14, v13, 19, 4
	v_sub_u32_e32 v15, 29, v15
	v_and_b32_e32 v16, 7, v16
	v_cmp_eq_u16_e32 vcc, 0, v12
	v_cndmask_b32_e32 v11, v11, v16, vcc
	v_cndmask_b32_e32 v12, v14, v15, vcc
	v_lshlrev_b32_e32 v14, 8, v13
	v_mov_b32_e32 v15, 0x3b800000
	v_lshlrev_b32_e32 v11, 20, v11
	v_and_b32_e32 v14, 0x80000000, v14
	v_lshl_add_u32 v12, v12, 23, v15
	v_or3_b32 v12, v14, v12, v11
.LBB52_120:
	s_or_b64 exec, exec, s[6:7]
	s_nop 0
	v_mfma_f32_16x16x4f32 a[0:3], v10, v12, a[0:3]
	s_movk_i32 s4, 0x7f
	v_cmp_gt_i16_sdwa s[6:7], v17, s4 src0_sel:BYTE_3 src1_sel:DWORD
	s_mov_b64 s[4:5], 0
                                        ; implicit-def: $sgpr10
	s_and_saveexec_b64 s[8:9], s[6:7]
	s_xor_b64 s[6:7], exec, s[8:9]
	s_cbranch_execnz .LBB52_2169
; %bb.121:
	s_or_saveexec_b64 s[6:7], s[6:7]
	v_mov_b32_e32 v10, s10
	s_xor_b64 exec, exec, s[6:7]
	s_cbranch_execnz .LBB52_2172
.LBB52_122:
	s_or_b64 exec, exec, s[6:7]
	s_and_saveexec_b64 s[6:7], s[4:5]
	s_cbranch_execz .LBB52_124
.LBB52_123:
	v_bfe_u32 v10, v17, 24, 3
	v_ffbh_u32_e32 v15, v10
	v_min_u32_e32 v15, 32, v15
	v_lshrrev_b32_e32 v12, 27, v17
	v_subrev_u32_e32 v16, 28, v15
	v_and_b32_e32 v12, 15, v12
	v_lshlrev_b32_sdwa v16, v16, v17 dst_sel:DWORD dst_unused:UNUSED_PAD src0_sel:DWORD src1_sel:BYTE_3
	v_bfe_u32 v14, v17, 27, 4
	v_sub_u32_e32 v15, 29, v15
	v_and_b32_e32 v16, 7, v16
	v_cmp_eq_u16_e32 vcc, 0, v12
	v_cndmask_b32_e32 v10, v10, v16, vcc
	v_cndmask_b32_e32 v12, v14, v15, vcc
	v_mov_b32_e32 v14, 0x3b800000
	v_and_b32_e32 v11, 0x80000000, v17
	v_lshlrev_b32_e32 v10, 20, v10
	v_lshl_add_u32 v12, v12, 23, v14
	v_or3_b32 v10, v11, v12, v10
.LBB52_124:
	s_or_b64 exec, exec, s[6:7]
	s_movk_i32 s4, 0x7f
	v_cmp_gt_i16_sdwa s[6:7], v13, s4 src0_sel:BYTE_3 src1_sel:DWORD
	s_mov_b64 s[4:5], 0
                                        ; implicit-def: $sgpr10
	s_and_saveexec_b64 s[8:9], s[6:7]
	s_xor_b64 s[6:7], exec, s[8:9]
	s_cbranch_execnz .LBB52_2173
; %bb.125:
	s_or_saveexec_b64 s[6:7], s[6:7]
	v_mov_b32_e32 v11, s10
	s_xor_b64 exec, exec, s[6:7]
	s_cbranch_execnz .LBB52_2176
.LBB52_126:
	s_or_b64 exec, exec, s[6:7]
	s_and_saveexec_b64 s[6:7], s[4:5]
	s_cbranch_execz .LBB52_128
.LBB52_127:
	v_bfe_u32 v11, v13, 24, 3
	v_ffbh_u32_e32 v16, v11
	v_min_u32_e32 v16, 32, v16
	v_lshrrev_b32_e32 v14, 27, v13
	v_subrev_u32_e32 v17, 28, v16
	v_and_b32_e32 v12, 0x80000000, v13
	v_and_b32_e32 v14, 15, v14
	v_bfe_u32 v15, v13, 27, 4
	v_lshlrev_b32_sdwa v13, v17, v13 dst_sel:DWORD dst_unused:UNUSED_PAD src0_sel:DWORD src1_sel:BYTE_3
	v_sub_u32_e32 v16, 29, v16
	v_and_b32_e32 v13, 7, v13
	v_cmp_eq_u16_e32 vcc, 0, v14
	v_cndmask_b32_e32 v11, v11, v13, vcc
	v_cndmask_b32_e32 v13, v15, v16, vcc
	v_mov_b32_e32 v14, 0x3b800000
	v_lshlrev_b32_e32 v11, 20, v11
	v_lshl_add_u32 v13, v13, 23, v14
	v_or3_b32 v11, v12, v13, v11
.LBB52_128:
	s_or_b64 exec, exec, s[6:7]
	s_nop 0
	v_mfma_f32_16x16x4f32 a[0:3], v10, v11, a[0:3]
	s_movk_i32 s4, 0x7f
	v_cmp_gt_i16_sdwa s[6:7], v6, s4 src0_sel:BYTE_0 src1_sel:DWORD
	s_mov_b64 s[4:5], 0
                                        ; implicit-def: $sgpr10
	s_and_saveexec_b64 s[8:9], s[6:7]
	s_xor_b64 s[6:7], exec, s[8:9]
	s_cbranch_execnz .LBB52_2177
; %bb.129:
	s_or_saveexec_b64 s[6:7], s[6:7]
	v_mov_b32_e32 v10, s10
	s_xor_b64 exec, exec, s[6:7]
	s_cbranch_execnz .LBB52_2180
.LBB52_130:
	s_or_b64 exec, exec, s[6:7]
	s_and_saveexec_b64 s[6:7], s[4:5]
	s_cbranch_execz .LBB52_132
.LBB52_131:
	v_and_b32_e32 v10, 7, v6
	v_ffbh_u32_e32 v12, v10
	v_min_u32_e32 v12, 32, v12
	v_lshrrev_b16_e32 v11, 3, v6
	v_subrev_u32_e32 v13, 28, v12
	v_and_b32_e32 v11, 15, v11
	v_lshlrev_b32_e32 v13, v13, v6
	v_sub_u32_e32 v12, 29, v12
	v_and_b32_e32 v13, 7, v13
	v_cmp_eq_u16_e32 vcc, 0, v11
	v_cndmask_b32_e32 v10, v10, v13, vcc
	v_cndmask_b32_e32 v11, v11, v12, vcc
	v_lshlrev_b32_e32 v12, 24, v6
	v_mov_b32_e32 v13, 0x3b800000
	v_lshlrev_b32_e32 v10, 20, v10
	v_and_b32_e32 v12, 0x80000000, v12
	v_lshl_add_u32 v11, v11, 23, v13
	v_or3_b32 v10, v12, v11, v10
.LBB52_132:
	s_or_b64 exec, exec, s[6:7]
	s_movk_i32 s4, 0x7f
	v_cmp_gt_i16_sdwa s[6:7], v2, s4 src0_sel:BYTE_0 src1_sel:DWORD
	s_mov_b64 s[4:5], 0
                                        ; implicit-def: $sgpr10
	s_and_saveexec_b64 s[8:9], s[6:7]
	s_xor_b64 s[6:7], exec, s[8:9]
	s_cbranch_execnz .LBB52_2181
; %bb.133:
	s_or_saveexec_b64 s[6:7], s[6:7]
	v_mov_b32_e32 v11, s10
	s_xor_b64 exec, exec, s[6:7]
	s_cbranch_execnz .LBB52_2184
.LBB52_134:
	s_or_b64 exec, exec, s[6:7]
	s_and_saveexec_b64 s[6:7], s[4:5]
	s_cbranch_execz .LBB52_136
.LBB52_135:
	v_and_b32_e32 v11, 7, v2
	v_ffbh_u32_e32 v13, v11
	v_min_u32_e32 v13, 32, v13
	v_lshrrev_b16_e32 v12, 3, v2
	v_subrev_u32_e32 v14, 28, v13
	v_and_b32_e32 v12, 15, v12
	v_lshlrev_b32_e32 v14, v14, v2
	v_sub_u32_e32 v13, 29, v13
	v_and_b32_e32 v14, 7, v14
	v_cmp_eq_u16_e32 vcc, 0, v12
	v_cndmask_b32_e32 v11, v11, v14, vcc
	v_cndmask_b32_e32 v12, v12, v13, vcc
	v_lshlrev_b32_e32 v13, 24, v2
	v_mov_b32_e32 v14, 0x3b800000
	v_lshlrev_b32_e32 v11, 20, v11
	v_and_b32_e32 v13, 0x80000000, v13
	v_lshl_add_u32 v12, v12, 23, v14
	v_or3_b32 v11, v13, v12, v11
.LBB52_136:
	s_or_b64 exec, exec, s[6:7]
	s_nop 0
	v_mfma_f32_16x16x4f32 a[0:3], v10, v11, a[0:3]
	v_lshrrev_b32_e32 v11, 8, v6
	s_movk_i32 s4, 0x7f
	v_cmp_gt_i16_sdwa s[6:7], v11, s4 src0_sel:BYTE_0 src1_sel:DWORD
	s_mov_b64 s[4:5], 0
                                        ; implicit-def: $sgpr10
	s_and_saveexec_b64 s[8:9], s[6:7]
	s_xor_b64 s[6:7], exec, s[8:9]
	s_cbranch_execnz .LBB52_2185
; %bb.137:
	s_or_saveexec_b64 s[6:7], s[6:7]
	v_mov_b32_e32 v10, s10
	s_xor_b64 exec, exec, s[6:7]
	s_cbranch_execnz .LBB52_2188
.LBB52_138:
	s_or_b64 exec, exec, s[6:7]
	s_and_saveexec_b64 s[6:7], s[4:5]
	s_cbranch_execz .LBB52_140
.LBB52_139:
	v_bfe_u32 v10, v6, 8, 3
	v_ffbh_u32_e32 v13, v10
	v_min_u32_e32 v13, 32, v13
	v_lshrrev_b16_e32 v12, 3, v11
	v_subrev_u32_e32 v14, 28, v13
	v_and_b32_e32 v12, 15, v12
	v_lshlrev_b32_e32 v11, v14, v11
	v_sub_u32_e32 v13, 29, v13
	v_and_b32_e32 v11, 7, v11
	v_cmp_eq_u16_e32 vcc, 0, v12
	v_cndmask_b32_e32 v10, v10, v11, vcc
	v_cndmask_b32_e32 v11, v12, v13, vcc
	v_lshlrev_b32_e32 v12, 16, v6
	v_mov_b32_e32 v13, 0x3b800000
	v_lshlrev_b32_e32 v10, 20, v10
	v_and_b32_e32 v12, 0x80000000, v12
	v_lshl_add_u32 v11, v11, 23, v13
	v_or3_b32 v10, v12, v11, v10
.LBB52_140:
	s_or_b64 exec, exec, s[6:7]
	v_lshrrev_b32_e32 v11, 8, v2
	s_movk_i32 s4, 0x7f
	v_cmp_gt_i16_sdwa s[6:7], v11, s4 src0_sel:BYTE_0 src1_sel:DWORD
	s_mov_b64 s[4:5], 0
                                        ; implicit-def: $sgpr10
	s_and_saveexec_b64 s[8:9], s[6:7]
	s_xor_b64 s[6:7], exec, s[8:9]
	s_cbranch_execnz .LBB52_2189
; %bb.141:
	s_or_saveexec_b64 s[6:7], s[6:7]
	v_mov_b32_e32 v12, s10
	s_xor_b64 exec, exec, s[6:7]
	s_cbranch_execnz .LBB52_2192
.LBB52_142:
	s_or_b64 exec, exec, s[6:7]
	s_and_saveexec_b64 s[6:7], s[4:5]
	s_cbranch_execz .LBB52_144
.LBB52_143:
	v_bfe_u32 v12, v2, 8, 3
	v_ffbh_u32_e32 v14, v12
	v_min_u32_e32 v14, 32, v14
	v_lshrrev_b16_e32 v13, 3, v11
	v_subrev_u32_e32 v15, 28, v14
	v_and_b32_e32 v13, 15, v13
	v_lshlrev_b32_e32 v11, v15, v11
	v_sub_u32_e32 v14, 29, v14
	v_and_b32_e32 v11, 7, v11
	v_cmp_eq_u16_e32 vcc, 0, v13
	v_cndmask_b32_e32 v11, v12, v11, vcc
	v_cndmask_b32_e32 v12, v13, v14, vcc
	v_lshlrev_b32_e32 v13, 16, v2
	v_mov_b32_e32 v14, 0x3b800000
	v_lshlrev_b32_e32 v11, 20, v11
	v_and_b32_e32 v13, 0x80000000, v13
	v_lshl_add_u32 v12, v12, 23, v14
	v_or3_b32 v12, v13, v12, v11
.LBB52_144:
	s_or_b64 exec, exec, s[6:7]
	s_nop 0
	v_mfma_f32_16x16x4f32 a[0:3], v10, v12, a[0:3]
	s_movk_i32 s4, 0xff
	v_and_b32_sdwa v11, v6, s4 dst_sel:DWORD dst_unused:UNUSED_PAD src0_sel:WORD_1 src1_sel:DWORD
	s_movk_i32 s4, 0x7f
	v_cmp_lt_i16_e32 vcc, s4, v11
	s_mov_b64 s[4:5], 0
                                        ; implicit-def: $sgpr10
	s_and_saveexec_b64 s[6:7], vcc
	s_xor_b64 s[6:7], exec, s[6:7]
	s_cbranch_execnz .LBB52_2193
; %bb.145:
	s_or_saveexec_b64 s[6:7], s[6:7]
	v_mov_b32_e32 v10, s10
	s_xor_b64 exec, exec, s[6:7]
	s_cbranch_execnz .LBB52_2196
.LBB52_146:
	s_or_b64 exec, exec, s[6:7]
	s_and_saveexec_b64 s[6:7], s[4:5]
	s_cbranch_execz .LBB52_148
.LBB52_147:
	v_bfe_u32 v10, v6, 16, 3
	v_ffbh_u32_e32 v13, v10
	v_min_u32_e32 v13, 32, v13
	v_lshrrev_b32_e32 v11, 19, v6
	v_subrev_u32_e32 v14, 28, v13
	v_and_b32_e32 v11, 15, v11
	v_lshlrev_b32_sdwa v14, v14, v6 dst_sel:DWORD dst_unused:UNUSED_PAD src0_sel:DWORD src1_sel:WORD_1
	v_bfe_u32 v12, v6, 19, 4
	v_sub_u32_e32 v13, 29, v13
	v_and_b32_e32 v14, 7, v14
	v_cmp_eq_u16_e32 vcc, 0, v11
	v_cndmask_b32_e32 v10, v10, v14, vcc
	v_cndmask_b32_e32 v11, v12, v13, vcc
	v_lshlrev_b32_e32 v12, 8, v6
	v_mov_b32_e32 v13, 0x3b800000
	v_lshlrev_b32_e32 v10, 20, v10
	v_and_b32_e32 v12, 0x80000000, v12
	v_lshl_add_u32 v11, v11, 23, v13
	v_or3_b32 v10, v12, v11, v10
.LBB52_148:
	s_or_b64 exec, exec, s[6:7]
	s_movk_i32 s4, 0xff
	v_and_b32_sdwa v11, v2, s4 dst_sel:DWORD dst_unused:UNUSED_PAD src0_sel:WORD_1 src1_sel:DWORD
	s_movk_i32 s4, 0x7f
	v_cmp_lt_i16_e32 vcc, s4, v11
	s_mov_b64 s[4:5], 0
                                        ; implicit-def: $sgpr10
	s_and_saveexec_b64 s[6:7], vcc
	s_xor_b64 s[6:7], exec, s[6:7]
	s_cbranch_execnz .LBB52_2197
; %bb.149:
	s_or_saveexec_b64 s[6:7], s[6:7]
	v_mov_b32_e32 v12, s10
	s_xor_b64 exec, exec, s[6:7]
	s_cbranch_execnz .LBB52_2200
.LBB52_150:
	s_or_b64 exec, exec, s[6:7]
	s_and_saveexec_b64 s[6:7], s[4:5]
	s_cbranch_execz .LBB52_152
.LBB52_151:
	v_bfe_u32 v11, v2, 16, 3
	v_ffbh_u32_e32 v14, v11
	v_min_u32_e32 v14, 32, v14
	v_lshrrev_b32_e32 v12, 19, v2
	v_subrev_u32_e32 v15, 28, v14
	v_and_b32_e32 v12, 15, v12
	v_lshlrev_b32_sdwa v15, v15, v2 dst_sel:DWORD dst_unused:UNUSED_PAD src0_sel:DWORD src1_sel:WORD_1
	v_bfe_u32 v13, v2, 19, 4
	v_sub_u32_e32 v14, 29, v14
	v_and_b32_e32 v15, 7, v15
	v_cmp_eq_u16_e32 vcc, 0, v12
	v_cndmask_b32_e32 v11, v11, v15, vcc
	v_cndmask_b32_e32 v12, v13, v14, vcc
	v_lshlrev_b32_e32 v13, 8, v2
	v_mov_b32_e32 v14, 0x3b800000
	v_lshlrev_b32_e32 v11, 20, v11
	v_and_b32_e32 v13, 0x80000000, v13
	v_lshl_add_u32 v12, v12, 23, v14
	v_or3_b32 v12, v13, v12, v11
.LBB52_152:
	s_or_b64 exec, exec, s[6:7]
	s_nop 0
	v_mfma_f32_16x16x4f32 a[0:3], v10, v12, a[0:3]
	s_movk_i32 s4, 0x7f
	v_cmp_gt_i16_sdwa s[6:7], v6, s4 src0_sel:BYTE_3 src1_sel:DWORD
	s_mov_b64 s[4:5], 0
                                        ; implicit-def: $sgpr10
	s_and_saveexec_b64 s[8:9], s[6:7]
	s_xor_b64 s[6:7], exec, s[8:9]
	s_cbranch_execnz .LBB52_2201
; %bb.153:
	s_or_saveexec_b64 s[6:7], s[6:7]
	v_mov_b32_e32 v10, s10
	s_xor_b64 exec, exec, s[6:7]
	s_cbranch_execnz .LBB52_2204
.LBB52_154:
	s_or_b64 exec, exec, s[6:7]
	s_and_saveexec_b64 s[6:7], s[4:5]
	s_cbranch_execz .LBB52_156
.LBB52_155:
	v_bfe_u32 v10, v6, 24, 3
	v_ffbh_u32_e32 v14, v10
	v_min_u32_e32 v14, 32, v14
	v_lshrrev_b32_e32 v12, 27, v6
	v_subrev_u32_e32 v15, 28, v14
	v_and_b32_e32 v11, 0x80000000, v6
	v_and_b32_e32 v12, 15, v12
	v_bfe_u32 v13, v6, 27, 4
	v_lshlrev_b32_sdwa v6, v15, v6 dst_sel:DWORD dst_unused:UNUSED_PAD src0_sel:DWORD src1_sel:BYTE_3
	v_sub_u32_e32 v14, 29, v14
	v_and_b32_e32 v6, 7, v6
	v_cmp_eq_u16_e32 vcc, 0, v12
	v_cndmask_b32_e32 v6, v10, v6, vcc
	v_cndmask_b32_e32 v10, v13, v14, vcc
	v_mov_b32_e32 v12, 0x3b800000
	v_lshlrev_b32_e32 v6, 20, v6
	v_lshl_add_u32 v10, v10, 23, v12
	v_or3_b32 v10, v11, v10, v6
.LBB52_156:
	s_or_b64 exec, exec, s[6:7]
	s_movk_i32 s4, 0x7f
	v_cmp_gt_i16_sdwa s[6:7], v2, s4 src0_sel:BYTE_3 src1_sel:DWORD
	s_mov_b64 s[4:5], 0
                                        ; implicit-def: $sgpr10
	s_and_saveexec_b64 s[8:9], s[6:7]
	s_xor_b64 s[6:7], exec, s[8:9]
	s_cbranch_execnz .LBB52_2205
; %bb.157:
	s_or_saveexec_b64 s[6:7], s[6:7]
	v_mov_b32_e32 v6, s10
	s_xor_b64 exec, exec, s[6:7]
	s_cbranch_execnz .LBB52_2208
.LBB52_158:
	s_or_b64 exec, exec, s[6:7]
	s_and_saveexec_b64 s[6:7], s[4:5]
	s_cbranch_execz .LBB52_160
.LBB52_159:
	v_bfe_u32 v6, v2, 24, 3
	v_ffbh_u32_e32 v14, v6
	v_min_u32_e32 v14, 32, v14
	v_lshrrev_b32_e32 v12, 27, v2
	v_subrev_u32_e32 v15, 28, v14
	v_and_b32_e32 v11, 0x80000000, v2
	v_and_b32_e32 v12, 15, v12
	v_bfe_u32 v13, v2, 27, 4
	v_lshlrev_b32_sdwa v2, v15, v2 dst_sel:DWORD dst_unused:UNUSED_PAD src0_sel:DWORD src1_sel:BYTE_3
	v_sub_u32_e32 v14, 29, v14
	v_and_b32_e32 v2, 7, v2
	v_cmp_eq_u16_e32 vcc, 0, v12
	v_cndmask_b32_e32 v2, v6, v2, vcc
	v_cndmask_b32_e32 v6, v13, v14, vcc
	v_mov_b32_e32 v12, 0x3b800000
	v_lshlrev_b32_e32 v2, 20, v2
	v_lshl_add_u32 v6, v6, 23, v12
	v_or3_b32 v6, v11, v6, v2
.LBB52_160:
	s_or_b64 exec, exec, s[6:7]
	s_nop 0
	v_mfma_f32_16x16x4f32 a[0:3], v10, v6, a[0:3]
	s_movk_i32 s4, 0x7f
	v_cmp_gt_i16_sdwa s[6:7], v7, s4 src0_sel:BYTE_0 src1_sel:DWORD
	s_mov_b64 s[4:5], 0
                                        ; implicit-def: $sgpr10
	s_and_saveexec_b64 s[8:9], s[6:7]
	s_xor_b64 s[6:7], exec, s[8:9]
	s_cbranch_execnz .LBB52_2209
; %bb.161:
	s_or_saveexec_b64 s[6:7], s[6:7]
	v_mov_b32_e32 v2, s10
	s_xor_b64 exec, exec, s[6:7]
	s_cbranch_execnz .LBB52_2212
.LBB52_162:
	s_or_b64 exec, exec, s[6:7]
	s_and_saveexec_b64 s[6:7], s[4:5]
	s_cbranch_execz .LBB52_164
.LBB52_163:
	v_and_b32_e32 v2, 7, v7
	v_ffbh_u32_e32 v10, v2
	v_min_u32_e32 v10, 32, v10
	v_lshrrev_b16_e32 v6, 3, v7
	v_subrev_u32_e32 v11, 28, v10
	v_and_b32_e32 v6, 15, v6
	v_lshlrev_b32_e32 v11, v11, v7
	v_sub_u32_e32 v10, 29, v10
	v_and_b32_e32 v11, 7, v11
	v_cmp_eq_u16_e32 vcc, 0, v6
	v_cndmask_b32_e32 v2, v2, v11, vcc
	v_cndmask_b32_e32 v6, v6, v10, vcc
	v_lshlrev_b32_e32 v10, 24, v7
	v_mov_b32_e32 v11, 0x3b800000
	v_lshlrev_b32_e32 v2, 20, v2
	v_and_b32_e32 v10, 0x80000000, v10
	v_lshl_add_u32 v6, v6, 23, v11
	v_or3_b32 v2, v10, v6, v2
.LBB52_164:
	s_or_b64 exec, exec, s[6:7]
	s_movk_i32 s4, 0x7f
	v_cmp_gt_i16_sdwa s[6:7], v3, s4 src0_sel:BYTE_0 src1_sel:DWORD
	s_mov_b64 s[4:5], 0
                                        ; implicit-def: $sgpr10
	s_and_saveexec_b64 s[8:9], s[6:7]
	s_xor_b64 s[6:7], exec, s[8:9]
	s_cbranch_execnz .LBB52_2213
; %bb.165:
	s_or_saveexec_b64 s[6:7], s[6:7]
	v_mov_b32_e32 v6, s10
	s_xor_b64 exec, exec, s[6:7]
	s_cbranch_execnz .LBB52_2216
.LBB52_166:
	s_or_b64 exec, exec, s[6:7]
	s_and_saveexec_b64 s[6:7], s[4:5]
	s_cbranch_execz .LBB52_168
.LBB52_167:
	v_and_b32_e32 v6, 7, v3
	v_ffbh_u32_e32 v11, v6
	v_min_u32_e32 v11, 32, v11
	v_lshrrev_b16_e32 v10, 3, v3
	v_subrev_u32_e32 v12, 28, v11
	v_and_b32_e32 v10, 15, v10
	v_lshlrev_b32_e32 v12, v12, v3
	v_sub_u32_e32 v11, 29, v11
	v_and_b32_e32 v12, 7, v12
	v_cmp_eq_u16_e32 vcc, 0, v10
	v_cndmask_b32_e32 v6, v6, v12, vcc
	v_cndmask_b32_e32 v10, v10, v11, vcc
	v_lshlrev_b32_e32 v11, 24, v3
	v_mov_b32_e32 v12, 0x3b800000
	v_lshlrev_b32_e32 v6, 20, v6
	v_and_b32_e32 v11, 0x80000000, v11
	v_lshl_add_u32 v10, v10, 23, v12
	v_or3_b32 v6, v11, v10, v6
.LBB52_168:
	s_or_b64 exec, exec, s[6:7]
	s_nop 0
	v_mfma_f32_16x16x4f32 a[0:3], v2, v6, a[0:3]
	v_lshrrev_b32_e32 v6, 8, v7
	s_movk_i32 s4, 0x7f
	v_cmp_gt_i16_sdwa s[6:7], v6, s4 src0_sel:BYTE_0 src1_sel:DWORD
	s_mov_b64 s[4:5], 0
                                        ; implicit-def: $sgpr10
	s_and_saveexec_b64 s[8:9], s[6:7]
	s_xor_b64 s[6:7], exec, s[8:9]
	s_cbranch_execnz .LBB52_2217
; %bb.169:
	s_or_saveexec_b64 s[6:7], s[6:7]
	v_mov_b32_e32 v2, s10
	s_xor_b64 exec, exec, s[6:7]
	s_cbranch_execnz .LBB52_2220
.LBB52_170:
	s_or_b64 exec, exec, s[6:7]
	s_and_saveexec_b64 s[6:7], s[4:5]
	s_cbranch_execz .LBB52_172
.LBB52_171:
	v_bfe_u32 v2, v7, 8, 3
	v_ffbh_u32_e32 v11, v2
	v_min_u32_e32 v11, 32, v11
	v_lshrrev_b16_e32 v10, 3, v6
	v_subrev_u32_e32 v12, 28, v11
	v_and_b32_e32 v10, 15, v10
	v_lshlrev_b32_e32 v6, v12, v6
	v_sub_u32_e32 v11, 29, v11
	v_and_b32_e32 v6, 7, v6
	v_cmp_eq_u16_e32 vcc, 0, v10
	v_cndmask_b32_e32 v2, v2, v6, vcc
	v_cndmask_b32_e32 v6, v10, v11, vcc
	v_lshlrev_b32_e32 v10, 16, v7
	v_mov_b32_e32 v11, 0x3b800000
	v_lshlrev_b32_e32 v2, 20, v2
	v_and_b32_e32 v10, 0x80000000, v10
	v_lshl_add_u32 v6, v6, 23, v11
	v_or3_b32 v2, v10, v6, v2
.LBB52_172:
	s_or_b64 exec, exec, s[6:7]
	v_lshrrev_b32_e32 v6, 8, v3
	s_movk_i32 s4, 0x7f
	v_cmp_gt_i16_sdwa s[6:7], v6, s4 src0_sel:BYTE_0 src1_sel:DWORD
	s_mov_b64 s[4:5], 0
                                        ; implicit-def: $sgpr10
	s_and_saveexec_b64 s[8:9], s[6:7]
	s_xor_b64 s[6:7], exec, s[8:9]
	s_cbranch_execnz .LBB52_2221
; %bb.173:
	s_or_saveexec_b64 s[6:7], s[6:7]
	v_mov_b32_e32 v10, s10
	s_xor_b64 exec, exec, s[6:7]
	s_cbranch_execnz .LBB52_2224
.LBB52_174:
	s_or_b64 exec, exec, s[6:7]
	s_and_saveexec_b64 s[6:7], s[4:5]
	s_cbranch_execz .LBB52_176
.LBB52_175:
	v_bfe_u32 v10, v3, 8, 3
	v_ffbh_u32_e32 v12, v10
	v_min_u32_e32 v12, 32, v12
	v_lshrrev_b16_e32 v11, 3, v6
	v_subrev_u32_e32 v13, 28, v12
	v_and_b32_e32 v11, 15, v11
	v_lshlrev_b32_e32 v6, v13, v6
	v_sub_u32_e32 v12, 29, v12
	v_and_b32_e32 v6, 7, v6
	v_cmp_eq_u16_e32 vcc, 0, v11
	v_cndmask_b32_e32 v6, v10, v6, vcc
	v_cndmask_b32_e32 v10, v11, v12, vcc
	v_lshlrev_b32_e32 v11, 16, v3
	v_mov_b32_e32 v12, 0x3b800000
	v_lshlrev_b32_e32 v6, 20, v6
	v_and_b32_e32 v11, 0x80000000, v11
	v_lshl_add_u32 v10, v10, 23, v12
	v_or3_b32 v10, v11, v10, v6
.LBB52_176:
	s_or_b64 exec, exec, s[6:7]
	s_nop 0
	v_mfma_f32_16x16x4f32 a[0:3], v2, v10, a[0:3]
	s_movk_i32 s4, 0xff
	v_and_b32_sdwa v6, v7, s4 dst_sel:DWORD dst_unused:UNUSED_PAD src0_sel:WORD_1 src1_sel:DWORD
	s_movk_i32 s4, 0x7f
	v_cmp_lt_i16_e32 vcc, s4, v6
	s_mov_b64 s[4:5], 0
                                        ; implicit-def: $sgpr10
	s_and_saveexec_b64 s[6:7], vcc
	s_xor_b64 s[6:7], exec, s[6:7]
	s_cbranch_execnz .LBB52_2225
; %bb.177:
	s_or_saveexec_b64 s[6:7], s[6:7]
	v_mov_b32_e32 v2, s10
	s_xor_b64 exec, exec, s[6:7]
	s_cbranch_execnz .LBB52_2228
.LBB52_178:
	s_or_b64 exec, exec, s[6:7]
	s_and_saveexec_b64 s[6:7], s[4:5]
	s_cbranch_execz .LBB52_180
.LBB52_179:
	v_bfe_u32 v2, v7, 16, 3
	v_ffbh_u32_e32 v11, v2
	v_min_u32_e32 v11, 32, v11
	v_lshrrev_b32_e32 v6, 19, v7
	v_subrev_u32_e32 v12, 28, v11
	v_and_b32_e32 v6, 15, v6
	v_lshlrev_b32_sdwa v12, v12, v7 dst_sel:DWORD dst_unused:UNUSED_PAD src0_sel:DWORD src1_sel:WORD_1
	v_bfe_u32 v10, v7, 19, 4
	v_sub_u32_e32 v11, 29, v11
	v_and_b32_e32 v12, 7, v12
	v_cmp_eq_u16_e32 vcc, 0, v6
	v_cndmask_b32_e32 v2, v2, v12, vcc
	v_cndmask_b32_e32 v6, v10, v11, vcc
	v_lshlrev_b32_e32 v10, 8, v7
	v_mov_b32_e32 v11, 0x3b800000
	v_lshlrev_b32_e32 v2, 20, v2
	v_and_b32_e32 v10, 0x80000000, v10
	v_lshl_add_u32 v6, v6, 23, v11
	v_or3_b32 v2, v10, v6, v2
.LBB52_180:
	s_or_b64 exec, exec, s[6:7]
	s_movk_i32 s4, 0xff
	v_and_b32_sdwa v6, v3, s4 dst_sel:DWORD dst_unused:UNUSED_PAD src0_sel:WORD_1 src1_sel:DWORD
	s_movk_i32 s4, 0x7f
	v_cmp_lt_i16_e32 vcc, s4, v6
	s_mov_b64 s[4:5], 0
                                        ; implicit-def: $sgpr10
	s_and_saveexec_b64 s[6:7], vcc
	s_xor_b64 s[6:7], exec, s[6:7]
	s_cbranch_execnz .LBB52_2229
; %bb.181:
	s_or_saveexec_b64 s[6:7], s[6:7]
	v_mov_b32_e32 v10, s10
	s_xor_b64 exec, exec, s[6:7]
	s_cbranch_execnz .LBB52_2232
.LBB52_182:
	s_or_b64 exec, exec, s[6:7]
	s_and_saveexec_b64 s[6:7], s[4:5]
	s_cbranch_execz .LBB52_184
.LBB52_183:
	v_bfe_u32 v6, v3, 16, 3
	v_ffbh_u32_e32 v12, v6
	v_min_u32_e32 v12, 32, v12
	v_lshrrev_b32_e32 v10, 19, v3
	v_subrev_u32_e32 v13, 28, v12
	v_and_b32_e32 v10, 15, v10
	v_lshlrev_b32_sdwa v13, v13, v3 dst_sel:DWORD dst_unused:UNUSED_PAD src0_sel:DWORD src1_sel:WORD_1
	v_bfe_u32 v11, v3, 19, 4
	v_sub_u32_e32 v12, 29, v12
	v_and_b32_e32 v13, 7, v13
	v_cmp_eq_u16_e32 vcc, 0, v10
	v_cndmask_b32_e32 v6, v6, v13, vcc
	v_cndmask_b32_e32 v10, v11, v12, vcc
	v_lshlrev_b32_e32 v11, 8, v3
	v_mov_b32_e32 v12, 0x3b800000
	v_lshlrev_b32_e32 v6, 20, v6
	v_and_b32_e32 v11, 0x80000000, v11
	v_lshl_add_u32 v10, v10, 23, v12
	v_or3_b32 v10, v11, v10, v6
.LBB52_184:
	s_or_b64 exec, exec, s[6:7]
	s_nop 0
	v_mfma_f32_16x16x4f32 a[0:3], v2, v10, a[0:3]
	s_movk_i32 s4, 0x7f
	v_cmp_gt_i16_sdwa s[6:7], v7, s4 src0_sel:BYTE_3 src1_sel:DWORD
	s_mov_b64 s[4:5], 0
                                        ; implicit-def: $sgpr10
	s_and_saveexec_b64 s[8:9], s[6:7]
	s_xor_b64 s[6:7], exec, s[8:9]
	s_cbranch_execnz .LBB52_2233
; %bb.185:
	s_or_saveexec_b64 s[6:7], s[6:7]
	v_mov_b32_e32 v2, s10
	s_xor_b64 exec, exec, s[6:7]
	s_cbranch_execnz .LBB52_2236
.LBB52_186:
	s_or_b64 exec, exec, s[6:7]
	s_and_saveexec_b64 s[6:7], s[4:5]
	s_cbranch_execz .LBB52_188
.LBB52_187:
	v_bfe_u32 v2, v7, 24, 3
	v_ffbh_u32_e32 v12, v2
	v_min_u32_e32 v12, 32, v12
	v_lshrrev_b32_e32 v10, 27, v7
	v_subrev_u32_e32 v13, 28, v12
	v_and_b32_e32 v6, 0x80000000, v7
	v_and_b32_e32 v10, 15, v10
	v_bfe_u32 v11, v7, 27, 4
	v_lshlrev_b32_sdwa v7, v13, v7 dst_sel:DWORD dst_unused:UNUSED_PAD src0_sel:DWORD src1_sel:BYTE_3
	v_sub_u32_e32 v12, 29, v12
	v_and_b32_e32 v7, 7, v7
	v_cmp_eq_u16_e32 vcc, 0, v10
	v_cndmask_b32_e32 v2, v2, v7, vcc
	v_cndmask_b32_e32 v7, v11, v12, vcc
	v_mov_b32_e32 v10, 0x3b800000
	v_lshlrev_b32_e32 v2, 20, v2
	v_lshl_add_u32 v7, v7, 23, v10
	v_or3_b32 v2, v6, v7, v2
.LBB52_188:
	s_or_b64 exec, exec, s[6:7]
	s_movk_i32 s4, 0x7f
	v_cmp_gt_i16_sdwa s[6:7], v3, s4 src0_sel:BYTE_3 src1_sel:DWORD
	s_mov_b64 s[4:5], 0
                                        ; implicit-def: $sgpr10
	s_and_saveexec_b64 s[8:9], s[6:7]
	s_xor_b64 s[6:7], exec, s[8:9]
	s_cbranch_execnz .LBB52_2237
; %bb.189:
	s_or_saveexec_b64 s[6:7], s[6:7]
	v_mov_b32_e32 v6, s10
	s_xor_b64 exec, exec, s[6:7]
	s_cbranch_execnz .LBB52_2240
.LBB52_190:
	s_or_b64 exec, exec, s[6:7]
	s_and_saveexec_b64 s[6:7], s[4:5]
	s_cbranch_execz .LBB52_192
.LBB52_191:
	v_bfe_u32 v6, v3, 24, 3
	v_ffbh_u32_e32 v12, v6
	v_min_u32_e32 v12, 32, v12
	v_lshrrev_b32_e32 v10, 27, v3
	v_subrev_u32_e32 v13, 28, v12
	v_and_b32_e32 v7, 0x80000000, v3
	v_and_b32_e32 v10, 15, v10
	v_bfe_u32 v11, v3, 27, 4
	v_lshlrev_b32_sdwa v3, v13, v3 dst_sel:DWORD dst_unused:UNUSED_PAD src0_sel:DWORD src1_sel:BYTE_3
	v_sub_u32_e32 v12, 29, v12
	v_and_b32_e32 v3, 7, v3
	v_cmp_eq_u16_e32 vcc, 0, v10
	v_cndmask_b32_e32 v3, v6, v3, vcc
	v_cndmask_b32_e32 v6, v11, v12, vcc
	v_mov_b32_e32 v10, 0x3b800000
	v_lshlrev_b32_e32 v3, 20, v3
	v_lshl_add_u32 v6, v6, 23, v10
	v_or3_b32 v6, v7, v6, v3
.LBB52_192:
	s_or_b64 exec, exec, s[6:7]
	s_nop 0
	v_mfma_f32_16x16x4f32 a[0:3], v2, v6, a[0:3]
	s_movk_i32 s4, 0x7f
	v_cmp_gt_i16_sdwa s[6:7], v8, s4 src0_sel:BYTE_0 src1_sel:DWORD
	s_mov_b64 s[4:5], 0
                                        ; implicit-def: $sgpr10
	s_and_saveexec_b64 s[8:9], s[6:7]
	s_xor_b64 s[6:7], exec, s[8:9]
	s_cbranch_execnz .LBB52_2241
; %bb.193:
	s_or_saveexec_b64 s[6:7], s[6:7]
	v_mov_b32_e32 v2, s10
	s_xor_b64 exec, exec, s[6:7]
	s_cbranch_execnz .LBB52_2244
.LBB52_194:
	s_or_b64 exec, exec, s[6:7]
	s_and_saveexec_b64 s[6:7], s[4:5]
	s_cbranch_execz .LBB52_196
.LBB52_195:
	v_and_b32_e32 v2, 7, v8
	v_ffbh_u32_e32 v6, v2
	v_min_u32_e32 v6, 32, v6
	v_lshrrev_b16_e32 v3, 3, v8
	v_subrev_u32_e32 v7, 28, v6
	v_and_b32_e32 v3, 15, v3
	v_lshlrev_b32_e32 v7, v7, v8
	v_sub_u32_e32 v6, 29, v6
	v_and_b32_e32 v7, 7, v7
	v_cmp_eq_u16_e32 vcc, 0, v3
	v_cndmask_b32_e32 v2, v2, v7, vcc
	v_cndmask_b32_e32 v3, v3, v6, vcc
	v_lshlrev_b32_e32 v6, 24, v8
	v_mov_b32_e32 v7, 0x3b800000
	v_lshlrev_b32_e32 v2, 20, v2
	v_and_b32_e32 v6, 0x80000000, v6
	v_lshl_add_u32 v3, v3, 23, v7
	v_or3_b32 v2, v6, v3, v2
.LBB52_196:
	s_or_b64 exec, exec, s[6:7]
	s_movk_i32 s4, 0x7f
	v_cmp_gt_i16_sdwa s[6:7], v4, s4 src0_sel:BYTE_0 src1_sel:DWORD
	s_mov_b64 s[4:5], 0
                                        ; implicit-def: $sgpr10
	s_and_saveexec_b64 s[8:9], s[6:7]
	s_xor_b64 s[6:7], exec, s[8:9]
	s_cbranch_execnz .LBB52_2245
; %bb.197:
	s_or_saveexec_b64 s[6:7], s[6:7]
	v_mov_b32_e32 v3, s10
	s_xor_b64 exec, exec, s[6:7]
	s_cbranch_execnz .LBB52_2248
.LBB52_198:
	s_or_b64 exec, exec, s[6:7]
	s_and_saveexec_b64 s[6:7], s[4:5]
	s_cbranch_execz .LBB52_200
.LBB52_199:
	v_and_b32_e32 v3, 7, v4
	v_ffbh_u32_e32 v7, v3
	v_min_u32_e32 v7, 32, v7
	v_lshrrev_b16_e32 v6, 3, v4
	v_subrev_u32_e32 v10, 28, v7
	v_and_b32_e32 v6, 15, v6
	v_lshlrev_b32_e32 v10, v10, v4
	v_sub_u32_e32 v7, 29, v7
	v_and_b32_e32 v10, 7, v10
	v_cmp_eq_u16_e32 vcc, 0, v6
	v_cndmask_b32_e32 v3, v3, v10, vcc
	v_cndmask_b32_e32 v6, v6, v7, vcc
	v_lshlrev_b32_e32 v7, 24, v4
	v_mov_b32_e32 v10, 0x3b800000
	v_lshlrev_b32_e32 v3, 20, v3
	v_and_b32_e32 v7, 0x80000000, v7
	v_lshl_add_u32 v6, v6, 23, v10
	v_or3_b32 v3, v7, v6, v3
.LBB52_200:
	s_or_b64 exec, exec, s[6:7]
	s_nop 0
	v_mfma_f32_16x16x4f32 a[0:3], v2, v3, a[0:3]
	v_lshrrev_b32_e32 v3, 8, v8
	s_movk_i32 s4, 0x7f
	v_cmp_gt_i16_sdwa s[6:7], v3, s4 src0_sel:BYTE_0 src1_sel:DWORD
	s_mov_b64 s[4:5], 0
                                        ; implicit-def: $sgpr10
	s_and_saveexec_b64 s[8:9], s[6:7]
	s_xor_b64 s[6:7], exec, s[8:9]
	s_cbranch_execnz .LBB52_2249
; %bb.201:
	s_or_saveexec_b64 s[6:7], s[6:7]
	v_mov_b32_e32 v2, s10
	s_xor_b64 exec, exec, s[6:7]
	s_cbranch_execnz .LBB52_2252
.LBB52_202:
	s_or_b64 exec, exec, s[6:7]
	s_and_saveexec_b64 s[6:7], s[4:5]
	s_cbranch_execz .LBB52_204
.LBB52_203:
	v_bfe_u32 v2, v8, 8, 3
	v_ffbh_u32_e32 v7, v2
	v_min_u32_e32 v7, 32, v7
	v_lshrrev_b16_e32 v6, 3, v3
	v_subrev_u32_e32 v10, 28, v7
	v_and_b32_e32 v6, 15, v6
	v_lshlrev_b32_e32 v3, v10, v3
	v_sub_u32_e32 v7, 29, v7
	v_and_b32_e32 v3, 7, v3
	v_cmp_eq_u16_e32 vcc, 0, v6
	v_cndmask_b32_e32 v2, v2, v3, vcc
	v_cndmask_b32_e32 v3, v6, v7, vcc
	v_lshlrev_b32_e32 v6, 16, v8
	v_mov_b32_e32 v7, 0x3b800000
	v_lshlrev_b32_e32 v2, 20, v2
	v_and_b32_e32 v6, 0x80000000, v6
	v_lshl_add_u32 v3, v3, 23, v7
	v_or3_b32 v2, v6, v3, v2
.LBB52_204:
	s_or_b64 exec, exec, s[6:7]
	v_lshrrev_b32_e32 v3, 8, v4
	s_movk_i32 s4, 0x7f
	v_cmp_gt_i16_sdwa s[6:7], v3, s4 src0_sel:BYTE_0 src1_sel:DWORD
	s_mov_b64 s[4:5], 0
                                        ; implicit-def: $sgpr10
	s_and_saveexec_b64 s[8:9], s[6:7]
	s_xor_b64 s[6:7], exec, s[8:9]
	s_cbranch_execnz .LBB52_2253
; %bb.205:
	s_or_saveexec_b64 s[6:7], s[6:7]
	v_mov_b32_e32 v6, s10
	s_xor_b64 exec, exec, s[6:7]
	s_cbranch_execnz .LBB52_2256
.LBB52_206:
	s_or_b64 exec, exec, s[6:7]
	s_and_saveexec_b64 s[6:7], s[4:5]
	s_cbranch_execz .LBB52_208
.LBB52_207:
	v_bfe_u32 v6, v4, 8, 3
	v_ffbh_u32_e32 v10, v6
	v_min_u32_e32 v10, 32, v10
	v_lshrrev_b16_e32 v7, 3, v3
	v_subrev_u32_e32 v11, 28, v10
	v_and_b32_e32 v7, 15, v7
	v_lshlrev_b32_e32 v3, v11, v3
	v_sub_u32_e32 v10, 29, v10
	v_and_b32_e32 v3, 7, v3
	v_cmp_eq_u16_e32 vcc, 0, v7
	v_cndmask_b32_e32 v3, v6, v3, vcc
	v_cndmask_b32_e32 v6, v7, v10, vcc
	v_lshlrev_b32_e32 v7, 16, v4
	v_mov_b32_e32 v10, 0x3b800000
	v_lshlrev_b32_e32 v3, 20, v3
	v_and_b32_e32 v7, 0x80000000, v7
	v_lshl_add_u32 v6, v6, 23, v10
	v_or3_b32 v6, v7, v6, v3
.LBB52_208:
	s_or_b64 exec, exec, s[6:7]
	s_nop 0
	v_mfma_f32_16x16x4f32 a[0:3], v2, v6, a[0:3]
	s_movk_i32 s4, 0xff
	v_and_b32_sdwa v3, v8, s4 dst_sel:DWORD dst_unused:UNUSED_PAD src0_sel:WORD_1 src1_sel:DWORD
	s_movk_i32 s4, 0x7f
	v_cmp_lt_i16_e32 vcc, s4, v3
	s_mov_b64 s[4:5], 0
                                        ; implicit-def: $sgpr10
	s_and_saveexec_b64 s[6:7], vcc
	s_xor_b64 s[6:7], exec, s[6:7]
	s_cbranch_execnz .LBB52_2257
; %bb.209:
	s_or_saveexec_b64 s[6:7], s[6:7]
	v_mov_b32_e32 v2, s10
	s_xor_b64 exec, exec, s[6:7]
	s_cbranch_execnz .LBB52_2260
.LBB52_210:
	s_or_b64 exec, exec, s[6:7]
	s_and_saveexec_b64 s[6:7], s[4:5]
	s_cbranch_execz .LBB52_212
.LBB52_211:
	v_bfe_u32 v2, v8, 16, 3
	v_ffbh_u32_e32 v7, v2
	v_min_u32_e32 v7, 32, v7
	v_lshrrev_b32_e32 v3, 19, v8
	v_subrev_u32_e32 v10, 28, v7
	v_and_b32_e32 v3, 15, v3
	v_lshlrev_b32_sdwa v10, v10, v8 dst_sel:DWORD dst_unused:UNUSED_PAD src0_sel:DWORD src1_sel:WORD_1
	v_bfe_u32 v6, v8, 19, 4
	v_sub_u32_e32 v7, 29, v7
	v_and_b32_e32 v10, 7, v10
	v_cmp_eq_u16_e32 vcc, 0, v3
	v_cndmask_b32_e32 v2, v2, v10, vcc
	v_cndmask_b32_e32 v3, v6, v7, vcc
	v_lshlrev_b32_e32 v6, 8, v8
	v_mov_b32_e32 v7, 0x3b800000
	v_lshlrev_b32_e32 v2, 20, v2
	v_and_b32_e32 v6, 0x80000000, v6
	v_lshl_add_u32 v3, v3, 23, v7
	v_or3_b32 v2, v6, v3, v2
.LBB52_212:
	s_or_b64 exec, exec, s[6:7]
	s_movk_i32 s4, 0xff
	v_and_b32_sdwa v3, v4, s4 dst_sel:DWORD dst_unused:UNUSED_PAD src0_sel:WORD_1 src1_sel:DWORD
	s_movk_i32 s4, 0x7f
	v_cmp_lt_i16_e32 vcc, s4, v3
	s_mov_b64 s[4:5], 0
                                        ; implicit-def: $sgpr10
	s_and_saveexec_b64 s[6:7], vcc
	s_xor_b64 s[6:7], exec, s[6:7]
	s_cbranch_execnz .LBB52_2261
; %bb.213:
	s_or_saveexec_b64 s[6:7], s[6:7]
	v_mov_b32_e32 v6, s10
	s_xor_b64 exec, exec, s[6:7]
	s_cbranch_execnz .LBB52_2264
.LBB52_214:
	s_or_b64 exec, exec, s[6:7]
	s_and_saveexec_b64 s[6:7], s[4:5]
	s_cbranch_execz .LBB52_216
.LBB52_215:
	v_bfe_u32 v3, v4, 16, 3
	v_ffbh_u32_e32 v10, v3
	v_min_u32_e32 v10, 32, v10
	v_lshrrev_b32_e32 v6, 19, v4
	v_subrev_u32_e32 v11, 28, v10
	v_and_b32_e32 v6, 15, v6
	v_lshlrev_b32_sdwa v11, v11, v4 dst_sel:DWORD dst_unused:UNUSED_PAD src0_sel:DWORD src1_sel:WORD_1
	v_bfe_u32 v7, v4, 19, 4
	v_sub_u32_e32 v10, 29, v10
	v_and_b32_e32 v11, 7, v11
	v_cmp_eq_u16_e32 vcc, 0, v6
	v_cndmask_b32_e32 v3, v3, v11, vcc
	v_cndmask_b32_e32 v6, v7, v10, vcc
	v_lshlrev_b32_e32 v7, 8, v4
	v_mov_b32_e32 v10, 0x3b800000
	v_lshlrev_b32_e32 v3, 20, v3
	v_and_b32_e32 v7, 0x80000000, v7
	v_lshl_add_u32 v6, v6, 23, v10
	v_or3_b32 v6, v7, v6, v3
.LBB52_216:
	s_or_b64 exec, exec, s[6:7]
	s_nop 0
	v_mfma_f32_16x16x4f32 a[0:3], v2, v6, a[0:3]
	s_movk_i32 s4, 0x7f
	v_cmp_gt_i16_sdwa s[6:7], v8, s4 src0_sel:BYTE_3 src1_sel:DWORD
	s_mov_b64 s[4:5], 0
                                        ; implicit-def: $sgpr10
	s_and_saveexec_b64 s[8:9], s[6:7]
	s_xor_b64 s[6:7], exec, s[8:9]
	s_cbranch_execnz .LBB52_2265
; %bb.217:
	s_or_saveexec_b64 s[6:7], s[6:7]
	v_mov_b32_e32 v2, s10
	s_xor_b64 exec, exec, s[6:7]
	s_cbranch_execnz .LBB52_2268
.LBB52_218:
	s_or_b64 exec, exec, s[6:7]
	s_and_saveexec_b64 s[6:7], s[4:5]
	s_cbranch_execz .LBB52_220
.LBB52_219:
	v_bfe_u32 v2, v8, 24, 3
	v_ffbh_u32_e32 v10, v2
	v_min_u32_e32 v10, 32, v10
	v_lshrrev_b32_e32 v6, 27, v8
	v_subrev_u32_e32 v11, 28, v10
	v_and_b32_e32 v3, 0x80000000, v8
	v_and_b32_e32 v6, 15, v6
	v_bfe_u32 v7, v8, 27, 4
	v_lshlrev_b32_sdwa v8, v11, v8 dst_sel:DWORD dst_unused:UNUSED_PAD src0_sel:DWORD src1_sel:BYTE_3
	v_sub_u32_e32 v10, 29, v10
	v_and_b32_e32 v8, 7, v8
	v_cmp_eq_u16_e32 vcc, 0, v6
	v_cndmask_b32_e32 v2, v2, v8, vcc
	v_cndmask_b32_e32 v6, v7, v10, vcc
	v_mov_b32_e32 v7, 0x3b800000
	v_lshlrev_b32_e32 v2, 20, v2
	v_lshl_add_u32 v6, v6, 23, v7
	v_or3_b32 v2, v3, v6, v2
.LBB52_220:
	s_or_b64 exec, exec, s[6:7]
	s_movk_i32 s4, 0x7f
	v_cmp_gt_i16_sdwa s[6:7], v4, s4 src0_sel:BYTE_3 src1_sel:DWORD
	s_mov_b64 s[4:5], 0
                                        ; implicit-def: $sgpr10
	s_and_saveexec_b64 s[8:9], s[6:7]
	s_xor_b64 s[6:7], exec, s[8:9]
	s_cbranch_execnz .LBB52_2269
; %bb.221:
	s_or_saveexec_b64 s[6:7], s[6:7]
	v_mov_b32_e32 v3, s10
	s_xor_b64 exec, exec, s[6:7]
	s_cbranch_execnz .LBB52_2272
.LBB52_222:
	s_or_b64 exec, exec, s[6:7]
	s_and_saveexec_b64 s[6:7], s[4:5]
	s_cbranch_execz .LBB52_224
.LBB52_223:
	v_bfe_u32 v3, v4, 24, 3
	v_ffbh_u32_e32 v10, v3
	v_min_u32_e32 v10, 32, v10
	v_lshrrev_b32_e32 v7, 27, v4
	v_subrev_u32_e32 v11, 28, v10
	v_and_b32_e32 v6, 0x80000000, v4
	v_and_b32_e32 v7, 15, v7
	v_bfe_u32 v8, v4, 27, 4
	v_lshlrev_b32_sdwa v4, v11, v4 dst_sel:DWORD dst_unused:UNUSED_PAD src0_sel:DWORD src1_sel:BYTE_3
	v_sub_u32_e32 v10, 29, v10
	v_and_b32_e32 v4, 7, v4
	v_cmp_eq_u16_e32 vcc, 0, v7
	v_cndmask_b32_e32 v3, v3, v4, vcc
	v_cndmask_b32_e32 v4, v8, v10, vcc
	v_mov_b32_e32 v7, 0x3b800000
	v_lshlrev_b32_e32 v3, 20, v3
	v_lshl_add_u32 v4, v4, 23, v7
	v_or3_b32 v3, v6, v4, v3
.LBB52_224:
	s_or_b64 exec, exec, s[6:7]
	s_nop 0
	v_mfma_f32_16x16x4f32 a[0:3], v2, v3, a[0:3]
	s_movk_i32 s4, 0x7f
	v_cmp_gt_i16_sdwa s[6:7], v9, s4 src0_sel:BYTE_0 src1_sel:DWORD
	s_mov_b64 s[4:5], 0
                                        ; implicit-def: $sgpr10
	s_and_saveexec_b64 s[8:9], s[6:7]
	s_xor_b64 s[6:7], exec, s[8:9]
	s_cbranch_execnz .LBB52_2273
; %bb.225:
	s_or_saveexec_b64 s[6:7], s[6:7]
	v_mov_b32_e32 v2, s10
	s_xor_b64 exec, exec, s[6:7]
	s_cbranch_execnz .LBB52_2276
.LBB52_226:
	s_or_b64 exec, exec, s[6:7]
	s_and_saveexec_b64 s[6:7], s[4:5]
	s_cbranch_execz .LBB52_228
.LBB52_227:
	v_mov_b32_e32 v2, 8
	v_and_b32_e32 v3, 7, v9
	v_lshrrev_b32_sdwa v2, v2, v9 dst_sel:BYTE_1 dst_unused:UNUSED_PAD src0_sel:DWORD src1_sel:DWORD
	v_ffbh_u32_e32 v4, v3
	v_or_b32_sdwa v2, v9, v2 dst_sel:DWORD dst_unused:UNUSED_PAD src0_sel:BYTE_0 src1_sel:DWORD
	v_min_u32_e32 v4, 32, v4
	v_lshrrev_b16_e32 v2, 3, v2
	v_subrev_u32_e32 v6, 28, v4
	v_and_b32_e32 v2, 15, v2
	v_lshlrev_b32_e32 v6, v6, v9
	v_sub_u32_e32 v4, 29, v4
	v_and_b32_e32 v6, 7, v6
	v_cmp_eq_u16_e32 vcc, 0, v2
	v_cndmask_b32_e32 v3, v3, v6, vcc
	v_cndmask_b32_e32 v2, v2, v4, vcc
	v_lshlrev_b32_e32 v4, 24, v9
	v_mov_b32_e32 v6, 0x3b800000
	v_lshlrev_b32_e32 v3, 20, v3
	v_and_b32_e32 v4, 0x80000000, v4
	v_lshl_add_u32 v2, v2, 23, v6
	v_or3_b32 v2, v4, v2, v3
.LBB52_228:
	s_or_b64 exec, exec, s[6:7]
	s_movk_i32 s4, 0x7f
	v_cmp_gt_i16_sdwa s[6:7], v5, s4 src0_sel:BYTE_0 src1_sel:DWORD
	s_mov_b64 s[4:5], 0
                                        ; implicit-def: $sgpr10
	s_and_saveexec_b64 s[8:9], s[6:7]
	s_xor_b64 s[6:7], exec, s[8:9]
	s_cbranch_execnz .LBB52_2277
; %bb.229:
	s_or_saveexec_b64 s[6:7], s[6:7]
	v_mov_b32_e32 v3, s10
	s_xor_b64 exec, exec, s[6:7]
	s_cbranch_execnz .LBB52_2280
.LBB52_230:
	s_or_b64 exec, exec, s[6:7]
	s_and_saveexec_b64 s[6:7], s[4:5]
	s_cbranch_execz .LBB52_232
.LBB52_231:
	v_mov_b32_e32 v3, 8
	v_and_b32_e32 v4, 7, v5
	v_lshrrev_b32_sdwa v3, v3, v5 dst_sel:BYTE_1 dst_unused:UNUSED_PAD src0_sel:DWORD src1_sel:DWORD
	v_ffbh_u32_e32 v6, v4
	v_or_b32_sdwa v3, v5, v3 dst_sel:DWORD dst_unused:UNUSED_PAD src0_sel:BYTE_0 src1_sel:DWORD
	v_min_u32_e32 v6, 32, v6
	v_lshrrev_b16_e32 v3, 3, v3
	v_subrev_u32_e32 v7, 28, v6
	v_and_b32_e32 v3, 15, v3
	v_lshlrev_b32_e32 v7, v7, v5
	v_sub_u32_e32 v6, 29, v6
	v_and_b32_e32 v7, 7, v7
	v_cmp_eq_u16_e32 vcc, 0, v3
	v_cndmask_b32_e32 v4, v4, v7, vcc
	v_cndmask_b32_e32 v3, v3, v6, vcc
	v_lshlrev_b32_e32 v6, 24, v5
	v_mov_b32_e32 v7, 0x3b800000
	v_lshlrev_b32_e32 v4, 20, v4
	v_and_b32_e32 v6, 0x80000000, v6
	v_lshl_add_u32 v3, v3, 23, v7
	v_or3_b32 v3, v6, v3, v4
.LBB52_232:
	s_or_b64 exec, exec, s[6:7]
	s_nop 0
	v_mfma_f32_16x16x4f32 a[0:3], v2, v3, a[0:3]
	v_lshrrev_b32_e32 v3, 8, v9
	s_movk_i32 s4, 0x7f
	v_cmp_gt_i16_sdwa s[6:7], v3, s4 src0_sel:BYTE_0 src1_sel:DWORD
	s_mov_b64 s[4:5], 0
                                        ; implicit-def: $sgpr10
	s_and_saveexec_b64 s[8:9], s[6:7]
	s_xor_b64 s[6:7], exec, s[8:9]
	s_cbranch_execnz .LBB52_2281
; %bb.233:
	s_or_saveexec_b64 s[6:7], s[6:7]
	v_mov_b32_e32 v2, s10
	s_xor_b64 exec, exec, s[6:7]
	s_cbranch_execnz .LBB52_2284
.LBB52_234:
	s_or_b64 exec, exec, s[6:7]
	s_and_saveexec_b64 s[6:7], s[4:5]
	s_cbranch_execz .LBB52_236
.LBB52_235:
	v_bfe_u32 v2, v9, 8, 3
	v_ffbh_u32_e32 v6, v2
	v_min_u32_e32 v6, 32, v6
	v_lshrrev_b16_e32 v4, 3, v3
	v_subrev_u32_e32 v7, 28, v6
	v_and_b32_e32 v4, 15, v4
	v_lshlrev_b32_e32 v3, v7, v3
	v_sub_u32_e32 v6, 29, v6
	v_and_b32_e32 v3, 7, v3
	v_cmp_eq_u16_e32 vcc, 0, v4
	v_cndmask_b32_e32 v2, v2, v3, vcc
	v_cndmask_b32_e32 v3, v4, v6, vcc
	v_lshlrev_b32_e32 v4, 16, v9
	v_mov_b32_e32 v6, 0x3b800000
	v_lshlrev_b32_e32 v2, 20, v2
	v_and_b32_e32 v4, 0x80000000, v4
	v_lshl_add_u32 v3, v3, 23, v6
	v_or3_b32 v2, v4, v3, v2
.LBB52_236:
	s_or_b64 exec, exec, s[6:7]
	v_lshrrev_b32_e32 v3, 8, v5
	s_movk_i32 s4, 0x7f
	v_cmp_gt_i16_sdwa s[6:7], v3, s4 src0_sel:BYTE_0 src1_sel:DWORD
	s_mov_b64 s[4:5], 0
                                        ; implicit-def: $sgpr10
	s_and_saveexec_b64 s[8:9], s[6:7]
	s_xor_b64 s[6:7], exec, s[8:9]
	s_cbranch_execnz .LBB52_2285
; %bb.237:
	s_or_saveexec_b64 s[6:7], s[6:7]
	v_mov_b32_e32 v4, s10
	s_xor_b64 exec, exec, s[6:7]
	s_cbranch_execnz .LBB52_2288
.LBB52_238:
	s_or_b64 exec, exec, s[6:7]
	s_and_saveexec_b64 s[6:7], s[4:5]
	s_cbranch_execz .LBB52_240
.LBB52_239:
	v_bfe_u32 v4, v5, 8, 3
	v_ffbh_u32_e32 v7, v4
	v_min_u32_e32 v7, 32, v7
	v_lshrrev_b16_e32 v6, 3, v3
	v_subrev_u32_e32 v8, 28, v7
	v_and_b32_e32 v6, 15, v6
	v_lshlrev_b32_e32 v3, v8, v3
	v_sub_u32_e32 v7, 29, v7
	v_and_b32_e32 v3, 7, v3
	v_cmp_eq_u16_e32 vcc, 0, v6
	v_cndmask_b32_e32 v3, v4, v3, vcc
	v_cndmask_b32_e32 v4, v6, v7, vcc
	v_lshlrev_b32_e32 v6, 16, v5
	v_mov_b32_e32 v7, 0x3b800000
	v_lshlrev_b32_e32 v3, 20, v3
	v_and_b32_e32 v6, 0x80000000, v6
	v_lshl_add_u32 v4, v4, 23, v7
	v_or3_b32 v4, v6, v4, v3
.LBB52_240:
	s_or_b64 exec, exec, s[6:7]
	s_nop 0
	v_mfma_f32_16x16x4f32 a[0:3], v2, v4, a[0:3]
	s_movk_i32 s4, 0xff
	v_and_b32_sdwa v3, v9, s4 dst_sel:DWORD dst_unused:UNUSED_PAD src0_sel:WORD_1 src1_sel:DWORD
	s_movk_i32 s4, 0x7f
	v_cmp_lt_i16_e32 vcc, s4, v3
	s_mov_b64 s[4:5], 0
                                        ; implicit-def: $sgpr10
	s_and_saveexec_b64 s[6:7], vcc
	s_xor_b64 s[6:7], exec, s[6:7]
	s_cbranch_execnz .LBB52_2289
; %bb.241:
	s_or_saveexec_b64 s[6:7], s[6:7]
	v_mov_b32_e32 v2, s10
	s_xor_b64 exec, exec, s[6:7]
	s_cbranch_execnz .LBB52_2292
.LBB52_242:
	s_or_b64 exec, exec, s[6:7]
	s_and_saveexec_b64 s[6:7], s[4:5]
	s_cbranch_execz .LBB52_244
.LBB52_243:
	v_bfe_u32 v2, v9, 16, 3
	v_ffbh_u32_e32 v6, v2
	v_min_u32_e32 v6, 32, v6
	v_lshrrev_b32_e32 v3, 19, v9
	v_subrev_u32_e32 v7, 28, v6
	v_and_b32_e32 v3, 15, v3
	v_lshlrev_b32_sdwa v7, v7, v9 dst_sel:DWORD dst_unused:UNUSED_PAD src0_sel:DWORD src1_sel:WORD_1
	v_bfe_u32 v4, v9, 19, 4
	v_sub_u32_e32 v6, 29, v6
	v_and_b32_e32 v7, 7, v7
	v_cmp_eq_u16_e32 vcc, 0, v3
	v_cndmask_b32_e32 v2, v2, v7, vcc
	v_cndmask_b32_e32 v3, v4, v6, vcc
	v_lshlrev_b32_e32 v4, 8, v9
	v_mov_b32_e32 v6, 0x3b800000
	v_lshlrev_b32_e32 v2, 20, v2
	v_and_b32_e32 v4, 0x80000000, v4
	v_lshl_add_u32 v3, v3, 23, v6
	v_or3_b32 v2, v4, v3, v2
.LBB52_244:
	s_or_b64 exec, exec, s[6:7]
	s_movk_i32 s4, 0xff
	v_and_b32_sdwa v3, v5, s4 dst_sel:DWORD dst_unused:UNUSED_PAD src0_sel:WORD_1 src1_sel:DWORD
	s_movk_i32 s4, 0x7f
	v_cmp_lt_i16_e32 vcc, s4, v3
	s_mov_b64 s[4:5], 0
                                        ; implicit-def: $sgpr10
	s_and_saveexec_b64 s[6:7], vcc
	s_xor_b64 s[6:7], exec, s[6:7]
	s_cbranch_execnz .LBB52_2293
; %bb.245:
	s_or_saveexec_b64 s[6:7], s[6:7]
	v_mov_b32_e32 v4, s10
	s_xor_b64 exec, exec, s[6:7]
	s_cbranch_execnz .LBB52_2296
.LBB52_246:
	s_or_b64 exec, exec, s[6:7]
	s_and_saveexec_b64 s[6:7], s[4:5]
	s_cbranch_execz .LBB52_248
.LBB52_247:
	v_bfe_u32 v3, v5, 16, 3
	v_ffbh_u32_e32 v7, v3
	v_min_u32_e32 v7, 32, v7
	v_lshrrev_b32_e32 v4, 19, v5
	v_subrev_u32_e32 v8, 28, v7
	v_and_b32_e32 v4, 15, v4
	v_lshlrev_b32_sdwa v8, v8, v5 dst_sel:DWORD dst_unused:UNUSED_PAD src0_sel:DWORD src1_sel:WORD_1
	v_bfe_u32 v6, v5, 19, 4
	v_sub_u32_e32 v7, 29, v7
	v_and_b32_e32 v8, 7, v8
	v_cmp_eq_u16_e32 vcc, 0, v4
	v_cndmask_b32_e32 v3, v3, v8, vcc
	v_cndmask_b32_e32 v4, v6, v7, vcc
	v_lshlrev_b32_e32 v6, 8, v5
	v_mov_b32_e32 v7, 0x3b800000
	v_lshlrev_b32_e32 v3, 20, v3
	v_and_b32_e32 v6, 0x80000000, v6
	v_lshl_add_u32 v4, v4, 23, v7
	v_or3_b32 v4, v6, v4, v3
.LBB52_248:
	s_or_b64 exec, exec, s[6:7]
	s_nop 0
	v_mfma_f32_16x16x4f32 a[0:3], v2, v4, a[0:3]
	s_movk_i32 s4, 0x7f
	v_cmp_gt_i16_sdwa s[6:7], v9, s4 src0_sel:BYTE_3 src1_sel:DWORD
	s_mov_b64 s[4:5], 0
                                        ; implicit-def: $sgpr10
	s_and_saveexec_b64 s[8:9], s[6:7]
	s_xor_b64 s[6:7], exec, s[8:9]
	s_cbranch_execnz .LBB52_2297
; %bb.249:
	s_or_saveexec_b64 s[6:7], s[6:7]
	v_mov_b32_e32 v2, s10
	s_xor_b64 exec, exec, s[6:7]
	s_cbranch_execnz .LBB52_2300
.LBB52_250:
	s_or_b64 exec, exec, s[6:7]
	s_and_saveexec_b64 s[6:7], s[4:5]
	s_cbranch_execz .LBB52_252
.LBB52_251:
	v_bfe_u32 v2, v9, 24, 3
	v_ffbh_u32_e32 v7, v2
	v_min_u32_e32 v7, 32, v7
	v_lshrrev_b32_e32 v4, 27, v9
	v_subrev_u32_e32 v8, 28, v7
	v_and_b32_e32 v4, 15, v4
	v_lshlrev_b32_sdwa v8, v8, v9 dst_sel:DWORD dst_unused:UNUSED_PAD src0_sel:DWORD src1_sel:BYTE_3
	v_bfe_u32 v6, v9, 27, 4
	v_sub_u32_e32 v7, 29, v7
	v_and_b32_e32 v8, 7, v8
	v_cmp_eq_u16_e32 vcc, 0, v4
	v_cndmask_b32_e32 v2, v2, v8, vcc
	v_cndmask_b32_e32 v4, v6, v7, vcc
	v_mov_b32_e32 v6, 0x3b800000
	v_and_b32_e32 v3, 0x80000000, v9
	v_lshlrev_b32_e32 v2, 20, v2
	v_lshl_add_u32 v4, v4, 23, v6
	v_or3_b32 v2, v3, v4, v2
.LBB52_252:
	s_or_b64 exec, exec, s[6:7]
	s_movk_i32 s4, 0x7f
	v_cmp_gt_i16_sdwa s[6:7], v5, s4 src0_sel:BYTE_3 src1_sel:DWORD
	s_mov_b64 s[4:5], 0
                                        ; implicit-def: $sgpr10
	s_and_saveexec_b64 s[8:9], s[6:7]
	s_xor_b64 s[6:7], exec, s[8:9]
	s_cbranch_execnz .LBB52_2301
; %bb.253:
	s_or_saveexec_b64 s[6:7], s[6:7]
	v_mov_b32_e32 v3, s10
	s_xor_b64 exec, exec, s[6:7]
	s_cbranch_execnz .LBB52_2304
.LBB52_254:
	s_or_b64 exec, exec, s[6:7]
	s_and_saveexec_b64 s[6:7], s[4:5]
	s_cbranch_execz .LBB52_256
.LBB52_255:
	v_bfe_u32 v3, v5, 24, 3
	v_ffbh_u32_e32 v8, v3
	v_min_u32_e32 v8, 32, v8
	v_lshrrev_b32_e32 v6, 27, v5
	v_subrev_u32_e32 v9, 28, v8
	v_and_b32_e32 v4, 0x80000000, v5
	v_and_b32_e32 v6, 15, v6
	v_bfe_u32 v7, v5, 27, 4
	v_lshlrev_b32_sdwa v5, v9, v5 dst_sel:DWORD dst_unused:UNUSED_PAD src0_sel:DWORD src1_sel:BYTE_3
	v_sub_u32_e32 v8, 29, v8
	v_and_b32_e32 v5, 7, v5
	v_cmp_eq_u16_e32 vcc, 0, v6
	v_cndmask_b32_e32 v3, v3, v5, vcc
	v_cndmask_b32_e32 v5, v7, v8, vcc
	v_mov_b32_e32 v6, 0x3b800000
	v_lshlrev_b32_e32 v3, 20, v3
	v_lshl_add_u32 v5, v5, 23, v6
	v_or3_b32 v3, v4, v5, v3
.LBB52_256:
	s_or_b64 exec, exec, s[6:7]
	s_nop 0
	v_mfma_f32_16x16x4f32 a[0:3], v2, v3, a[0:3]
	s_movk_i32 s4, 0x7f
                                        ; implicit-def: $sgpr10
	s_nop 7
	s_nop 1
	flat_store_dwordx4 v[18:19], a[0:3]
	flat_load_dwordx4 v[20:23], v[0:1] offset:8
	s_nop 0
	flat_load_dwordx2 v[18:19], v[0:1] offset:24
	s_waitcnt vmcnt(0) lgkmcnt(0)
	flat_load_dwordx4 v[14:17], v[20:21]
	flat_load_dwordx4 v[6:9], v[20:21] offset:16
	flat_load_dwordx4 v[10:13], v[22:23] offset:288
	;; [unrolled: 1-line block ×3, first 2 shown]
	s_waitcnt vmcnt(0) lgkmcnt(0)
	v_cmp_gt_i16_sdwa s[6:7], v14, s4 src0_sel:BYTE_0 src1_sel:DWORD
	s_mov_b64 s[4:5], 0
	s_and_saveexec_b64 s[8:9], s[6:7]
	s_xor_b64 s[6:7], exec, s[8:9]
	s_cbranch_execnz .LBB52_2305
; %bb.257:
	s_or_saveexec_b64 s[6:7], s[6:7]
	v_mov_b32_e32 v20, s10
	s_xor_b64 exec, exec, s[6:7]
	s_cbranch_execnz .LBB52_2308
.LBB52_258:
	s_or_b64 exec, exec, s[6:7]
	s_and_saveexec_b64 s[6:7], s[4:5]
	s_cbranch_execz .LBB52_260
.LBB52_259:
	v_and_b32_e32 v20, 7, v14
	v_ffbh_u32_e32 v22, v20
	v_min_u32_e32 v22, 32, v22
	v_lshrrev_b16_e32 v21, 3, v14
	v_subrev_u32_e32 v23, 28, v22
	v_and_b32_e32 v21, 15, v21
	v_lshlrev_b32_e32 v23, v23, v14
	v_sub_u32_e32 v22, 29, v22
	v_and_b32_e32 v23, 7, v23
	v_cmp_eq_u16_e32 vcc, 0, v21
	v_cndmask_b32_e32 v20, v20, v23, vcc
	v_cndmask_b32_e32 v21, v21, v22, vcc
	v_lshlrev_b32_e32 v22, 24, v14
	v_mov_b32_e32 v23, 0x3b800000
	v_lshlrev_b32_e32 v20, 20, v20
	v_and_b32_e32 v22, 0x80000000, v22
	v_lshl_add_u32 v21, v21, 23, v23
	v_or3_b32 v20, v22, v21, v20
.LBB52_260:
	s_or_b64 exec, exec, s[6:7]
	s_movk_i32 s4, 0x7f
	v_cmp_gt_i16_sdwa s[6:7], v10, s4 src0_sel:BYTE_0 src1_sel:DWORD
	s_mov_b64 s[4:5], 0
                                        ; implicit-def: $sgpr10
	s_and_saveexec_b64 s[8:9], s[6:7]
	s_xor_b64 s[6:7], exec, s[8:9]
	s_cbranch_execnz .LBB52_2309
; %bb.261:
	s_or_saveexec_b64 s[6:7], s[6:7]
	v_mov_b32_e32 v21, s10
	s_xor_b64 exec, exec, s[6:7]
	s_cbranch_execnz .LBB52_2312
.LBB52_262:
	s_or_b64 exec, exec, s[6:7]
	s_and_saveexec_b64 s[6:7], s[4:5]
	s_cbranch_execz .LBB52_264
.LBB52_263:
	v_and_b32_e32 v21, 7, v10
	v_ffbh_u32_e32 v23, v21
	v_min_u32_e32 v23, 32, v23
	v_lshrrev_b16_e32 v22, 3, v10
	v_subrev_u32_e32 v24, 28, v23
	v_and_b32_e32 v22, 15, v22
	v_lshlrev_b32_e32 v24, v24, v10
	v_sub_u32_e32 v23, 29, v23
	v_and_b32_e32 v24, 7, v24
	v_cmp_eq_u16_e32 vcc, 0, v22
	v_cndmask_b32_e32 v21, v21, v24, vcc
	v_cndmask_b32_e32 v22, v22, v23, vcc
	v_lshlrev_b32_e32 v23, 24, v10
	v_mov_b32_e32 v24, 0x3b800000
	v_lshlrev_b32_e32 v21, 20, v21
	v_and_b32_e32 v23, 0x80000000, v23
	v_lshl_add_u32 v22, v22, 23, v24
	v_or3_b32 v21, v23, v22, v21
.LBB52_264:
	s_or_b64 exec, exec, s[6:7]
	flat_load_dwordx4 a[0:3], v[18:19] offset:16
	s_movk_i32 s4, 0x7f
                                        ; implicit-def: $sgpr10
	s_waitcnt vmcnt(0) lgkmcnt(0)
	v_mfma_f32_16x16x4f32 a[0:3], v20, v21, a[0:3]
	v_lshrrev_b32_e32 v21, 8, v14
	v_cmp_gt_i16_sdwa s[6:7], v21, s4 src0_sel:BYTE_0 src1_sel:DWORD
	s_mov_b64 s[4:5], 0
	s_and_saveexec_b64 s[8:9], s[6:7]
	s_xor_b64 s[6:7], exec, s[8:9]
	s_cbranch_execnz .LBB52_2313
; %bb.265:
	s_or_saveexec_b64 s[6:7], s[6:7]
	v_mov_b32_e32 v20, s10
	s_xor_b64 exec, exec, s[6:7]
	s_cbranch_execnz .LBB52_2316
.LBB52_266:
	s_or_b64 exec, exec, s[6:7]
	s_and_saveexec_b64 s[6:7], s[4:5]
	s_cbranch_execz .LBB52_268
.LBB52_267:
	v_bfe_u32 v20, v14, 8, 3
	v_ffbh_u32_e32 v23, v20
	v_min_u32_e32 v23, 32, v23
	v_lshrrev_b16_e32 v22, 3, v21
	v_subrev_u32_e32 v24, 28, v23
	v_and_b32_e32 v22, 15, v22
	v_lshlrev_b32_e32 v21, v24, v21
	v_sub_u32_e32 v23, 29, v23
	v_and_b32_e32 v21, 7, v21
	v_cmp_eq_u16_e32 vcc, 0, v22
	v_cndmask_b32_e32 v20, v20, v21, vcc
	v_cndmask_b32_e32 v21, v22, v23, vcc
	v_lshlrev_b32_e32 v22, 16, v14
	v_mov_b32_e32 v23, 0x3b800000
	v_lshlrev_b32_e32 v20, 20, v20
	v_and_b32_e32 v22, 0x80000000, v22
	v_lshl_add_u32 v21, v21, 23, v23
	v_or3_b32 v20, v22, v21, v20
.LBB52_268:
	s_or_b64 exec, exec, s[6:7]
	v_lshrrev_b32_e32 v21, 8, v10
	s_movk_i32 s4, 0x7f
	v_cmp_gt_i16_sdwa s[6:7], v21, s4 src0_sel:BYTE_0 src1_sel:DWORD
	s_mov_b64 s[4:5], 0
                                        ; implicit-def: $sgpr10
	s_and_saveexec_b64 s[8:9], s[6:7]
	s_xor_b64 s[6:7], exec, s[8:9]
	s_cbranch_execnz .LBB52_2317
; %bb.269:
	s_or_saveexec_b64 s[6:7], s[6:7]
	v_mov_b32_e32 v22, s10
	s_xor_b64 exec, exec, s[6:7]
	s_cbranch_execnz .LBB52_2320
.LBB52_270:
	s_or_b64 exec, exec, s[6:7]
	s_and_saveexec_b64 s[6:7], s[4:5]
	s_cbranch_execz .LBB52_272
.LBB52_271:
	v_bfe_u32 v22, v10, 8, 3
	v_ffbh_u32_e32 v24, v22
	v_min_u32_e32 v24, 32, v24
	v_lshrrev_b16_e32 v23, 3, v21
	v_subrev_u32_e32 v25, 28, v24
	v_and_b32_e32 v23, 15, v23
	v_lshlrev_b32_e32 v21, v25, v21
	v_sub_u32_e32 v24, 29, v24
	v_and_b32_e32 v21, 7, v21
	v_cmp_eq_u16_e32 vcc, 0, v23
	v_cndmask_b32_e32 v21, v22, v21, vcc
	v_cndmask_b32_e32 v22, v23, v24, vcc
	v_lshlrev_b32_e32 v23, 16, v10
	v_mov_b32_e32 v24, 0x3b800000
	v_lshlrev_b32_e32 v21, 20, v21
	v_and_b32_e32 v23, 0x80000000, v23
	v_lshl_add_u32 v22, v22, 23, v24
	v_or3_b32 v22, v23, v22, v21
.LBB52_272:
	s_or_b64 exec, exec, s[6:7]
	s_nop 0
	v_mfma_f32_16x16x4f32 a[0:3], v20, v22, a[0:3]
	s_movk_i32 s4, 0xff
	v_and_b32_sdwa v21, v14, s4 dst_sel:DWORD dst_unused:UNUSED_PAD src0_sel:WORD_1 src1_sel:DWORD
	s_movk_i32 s4, 0x7f
	v_cmp_lt_i16_e32 vcc, s4, v21
	s_mov_b64 s[4:5], 0
                                        ; implicit-def: $sgpr10
	s_and_saveexec_b64 s[6:7], vcc
	s_xor_b64 s[6:7], exec, s[6:7]
	s_cbranch_execnz .LBB52_2321
; %bb.273:
	s_or_saveexec_b64 s[6:7], s[6:7]
	v_mov_b32_e32 v20, s10
	s_xor_b64 exec, exec, s[6:7]
	s_cbranch_execnz .LBB52_2324
.LBB52_274:
	s_or_b64 exec, exec, s[6:7]
	s_and_saveexec_b64 s[6:7], s[4:5]
	s_cbranch_execz .LBB52_276
.LBB52_275:
	v_bfe_u32 v20, v14, 16, 3
	v_ffbh_u32_e32 v23, v20
	v_min_u32_e32 v23, 32, v23
	v_lshrrev_b32_e32 v21, 19, v14
	v_subrev_u32_e32 v24, 28, v23
	v_and_b32_e32 v21, 15, v21
	v_lshlrev_b32_sdwa v24, v24, v14 dst_sel:DWORD dst_unused:UNUSED_PAD src0_sel:DWORD src1_sel:WORD_1
	v_bfe_u32 v22, v14, 19, 4
	v_sub_u32_e32 v23, 29, v23
	v_and_b32_e32 v24, 7, v24
	v_cmp_eq_u16_e32 vcc, 0, v21
	v_cndmask_b32_e32 v20, v20, v24, vcc
	v_cndmask_b32_e32 v21, v22, v23, vcc
	v_lshlrev_b32_e32 v22, 8, v14
	v_mov_b32_e32 v23, 0x3b800000
	v_lshlrev_b32_e32 v20, 20, v20
	v_and_b32_e32 v22, 0x80000000, v22
	v_lshl_add_u32 v21, v21, 23, v23
	v_or3_b32 v20, v22, v21, v20
.LBB52_276:
	s_or_b64 exec, exec, s[6:7]
	s_movk_i32 s4, 0xff
	v_and_b32_sdwa v21, v10, s4 dst_sel:DWORD dst_unused:UNUSED_PAD src0_sel:WORD_1 src1_sel:DWORD
	s_movk_i32 s4, 0x7f
	v_cmp_lt_i16_e32 vcc, s4, v21
	s_mov_b64 s[4:5], 0
                                        ; implicit-def: $sgpr10
	s_and_saveexec_b64 s[6:7], vcc
	s_xor_b64 s[6:7], exec, s[6:7]
	s_cbranch_execnz .LBB52_2325
; %bb.277:
	s_or_saveexec_b64 s[6:7], s[6:7]
	v_mov_b32_e32 v22, s10
	s_xor_b64 exec, exec, s[6:7]
	s_cbranch_execnz .LBB52_2328
.LBB52_278:
	s_or_b64 exec, exec, s[6:7]
	s_and_saveexec_b64 s[6:7], s[4:5]
	s_cbranch_execz .LBB52_280
.LBB52_279:
	v_bfe_u32 v21, v10, 16, 3
	v_ffbh_u32_e32 v24, v21
	v_min_u32_e32 v24, 32, v24
	v_lshrrev_b32_e32 v22, 19, v10
	v_subrev_u32_e32 v25, 28, v24
	v_and_b32_e32 v22, 15, v22
	v_lshlrev_b32_sdwa v25, v25, v10 dst_sel:DWORD dst_unused:UNUSED_PAD src0_sel:DWORD src1_sel:WORD_1
	v_bfe_u32 v23, v10, 19, 4
	v_sub_u32_e32 v24, 29, v24
	v_and_b32_e32 v25, 7, v25
	v_cmp_eq_u16_e32 vcc, 0, v22
	v_cndmask_b32_e32 v21, v21, v25, vcc
	v_cndmask_b32_e32 v22, v23, v24, vcc
	v_lshlrev_b32_e32 v23, 8, v10
	v_mov_b32_e32 v24, 0x3b800000
	v_lshlrev_b32_e32 v21, 20, v21
	v_and_b32_e32 v23, 0x80000000, v23
	v_lshl_add_u32 v22, v22, 23, v24
	v_or3_b32 v22, v23, v22, v21
.LBB52_280:
	s_or_b64 exec, exec, s[6:7]
	s_nop 0
	v_mfma_f32_16x16x4f32 a[0:3], v20, v22, a[0:3]
	s_movk_i32 s4, 0x7f
	v_cmp_gt_i16_sdwa s[6:7], v14, s4 src0_sel:BYTE_3 src1_sel:DWORD
	s_mov_b64 s[4:5], 0
                                        ; implicit-def: $sgpr10
	s_and_saveexec_b64 s[8:9], s[6:7]
	s_xor_b64 s[6:7], exec, s[8:9]
	s_cbranch_execnz .LBB52_2329
; %bb.281:
	s_or_saveexec_b64 s[6:7], s[6:7]
	v_mov_b32_e32 v20, s10
	s_xor_b64 exec, exec, s[6:7]
	s_cbranch_execnz .LBB52_2332
.LBB52_282:
	s_or_b64 exec, exec, s[6:7]
	s_and_saveexec_b64 s[6:7], s[4:5]
	s_cbranch_execz .LBB52_284
.LBB52_283:
	v_bfe_u32 v20, v14, 24, 3
	v_ffbh_u32_e32 v24, v20
	v_min_u32_e32 v24, 32, v24
	v_lshrrev_b32_e32 v22, 27, v14
	v_subrev_u32_e32 v25, 28, v24
	v_and_b32_e32 v21, 0x80000000, v14
	v_and_b32_e32 v22, 15, v22
	v_bfe_u32 v23, v14, 27, 4
	v_lshlrev_b32_sdwa v14, v25, v14 dst_sel:DWORD dst_unused:UNUSED_PAD src0_sel:DWORD src1_sel:BYTE_3
	v_sub_u32_e32 v24, 29, v24
	v_and_b32_e32 v14, 7, v14
	v_cmp_eq_u16_e32 vcc, 0, v22
	v_cndmask_b32_e32 v14, v20, v14, vcc
	v_cndmask_b32_e32 v20, v23, v24, vcc
	v_mov_b32_e32 v22, 0x3b800000
	v_lshlrev_b32_e32 v14, 20, v14
	v_lshl_add_u32 v20, v20, 23, v22
	v_or3_b32 v20, v21, v20, v14
.LBB52_284:
	s_or_b64 exec, exec, s[6:7]
	s_movk_i32 s4, 0x7f
	v_cmp_gt_i16_sdwa s[6:7], v10, s4 src0_sel:BYTE_3 src1_sel:DWORD
	s_mov_b64 s[4:5], 0
                                        ; implicit-def: $sgpr10
	s_and_saveexec_b64 s[8:9], s[6:7]
	s_xor_b64 s[6:7], exec, s[8:9]
	s_cbranch_execnz .LBB52_2333
; %bb.285:
	s_or_saveexec_b64 s[6:7], s[6:7]
	v_mov_b32_e32 v14, s10
	s_xor_b64 exec, exec, s[6:7]
	s_cbranch_execnz .LBB52_2336
.LBB52_286:
	s_or_b64 exec, exec, s[6:7]
	s_and_saveexec_b64 s[6:7], s[4:5]
	s_cbranch_execz .LBB52_288
.LBB52_287:
	v_bfe_u32 v14, v10, 24, 3
	v_ffbh_u32_e32 v24, v14
	v_min_u32_e32 v24, 32, v24
	v_lshrrev_b32_e32 v22, 27, v10
	v_subrev_u32_e32 v25, 28, v24
	v_and_b32_e32 v21, 0x80000000, v10
	v_and_b32_e32 v22, 15, v22
	v_bfe_u32 v23, v10, 27, 4
	v_lshlrev_b32_sdwa v10, v25, v10 dst_sel:DWORD dst_unused:UNUSED_PAD src0_sel:DWORD src1_sel:BYTE_3
	v_sub_u32_e32 v24, 29, v24
	v_and_b32_e32 v10, 7, v10
	v_cmp_eq_u16_e32 vcc, 0, v22
	v_cndmask_b32_e32 v10, v14, v10, vcc
	v_cndmask_b32_e32 v14, v23, v24, vcc
	v_mov_b32_e32 v22, 0x3b800000
	v_lshlrev_b32_e32 v10, 20, v10
	v_lshl_add_u32 v14, v14, 23, v22
	v_or3_b32 v14, v21, v14, v10
.LBB52_288:
	s_or_b64 exec, exec, s[6:7]
	s_nop 0
	v_mfma_f32_16x16x4f32 a[0:3], v20, v14, a[0:3]
	s_movk_i32 s4, 0x7f
	v_cmp_gt_i16_sdwa s[6:7], v15, s4 src0_sel:BYTE_0 src1_sel:DWORD
	s_mov_b64 s[4:5], 0
                                        ; implicit-def: $sgpr10
	s_and_saveexec_b64 s[8:9], s[6:7]
	s_xor_b64 s[6:7], exec, s[8:9]
	s_cbranch_execnz .LBB52_2337
; %bb.289:
	s_or_saveexec_b64 s[6:7], s[6:7]
	v_mov_b32_e32 v10, s10
	s_xor_b64 exec, exec, s[6:7]
	s_cbranch_execnz .LBB52_2340
.LBB52_290:
	s_or_b64 exec, exec, s[6:7]
	s_and_saveexec_b64 s[6:7], s[4:5]
	s_cbranch_execz .LBB52_292
.LBB52_291:
	v_and_b32_e32 v10, 7, v15
	v_ffbh_u32_e32 v20, v10
	v_min_u32_e32 v20, 32, v20
	v_lshrrev_b16_e32 v14, 3, v15
	v_subrev_u32_e32 v21, 28, v20
	v_and_b32_e32 v14, 15, v14
	v_lshlrev_b32_e32 v21, v21, v15
	v_sub_u32_e32 v20, 29, v20
	v_and_b32_e32 v21, 7, v21
	v_cmp_eq_u16_e32 vcc, 0, v14
	v_cndmask_b32_e32 v10, v10, v21, vcc
	v_cndmask_b32_e32 v14, v14, v20, vcc
	v_lshlrev_b32_e32 v20, 24, v15
	v_mov_b32_e32 v21, 0x3b800000
	v_lshlrev_b32_e32 v10, 20, v10
	v_and_b32_e32 v20, 0x80000000, v20
	v_lshl_add_u32 v14, v14, 23, v21
	v_or3_b32 v10, v20, v14, v10
.LBB52_292:
	s_or_b64 exec, exec, s[6:7]
	s_movk_i32 s4, 0x7f
	v_cmp_gt_i16_sdwa s[6:7], v11, s4 src0_sel:BYTE_0 src1_sel:DWORD
	s_mov_b64 s[4:5], 0
                                        ; implicit-def: $sgpr10
	s_and_saveexec_b64 s[8:9], s[6:7]
	s_xor_b64 s[6:7], exec, s[8:9]
	s_cbranch_execnz .LBB52_2341
; %bb.293:
	s_or_saveexec_b64 s[6:7], s[6:7]
	v_mov_b32_e32 v14, s10
	s_xor_b64 exec, exec, s[6:7]
	s_cbranch_execnz .LBB52_2344
.LBB52_294:
	s_or_b64 exec, exec, s[6:7]
	s_and_saveexec_b64 s[6:7], s[4:5]
	s_cbranch_execz .LBB52_296
.LBB52_295:
	v_and_b32_e32 v14, 7, v11
	v_ffbh_u32_e32 v21, v14
	v_min_u32_e32 v21, 32, v21
	v_lshrrev_b16_e32 v20, 3, v11
	v_subrev_u32_e32 v22, 28, v21
	v_and_b32_e32 v20, 15, v20
	v_lshlrev_b32_e32 v22, v22, v11
	v_sub_u32_e32 v21, 29, v21
	v_and_b32_e32 v22, 7, v22
	v_cmp_eq_u16_e32 vcc, 0, v20
	v_cndmask_b32_e32 v14, v14, v22, vcc
	v_cndmask_b32_e32 v20, v20, v21, vcc
	v_lshlrev_b32_e32 v21, 24, v11
	v_mov_b32_e32 v22, 0x3b800000
	v_lshlrev_b32_e32 v14, 20, v14
	v_and_b32_e32 v21, 0x80000000, v21
	v_lshl_add_u32 v20, v20, 23, v22
	v_or3_b32 v14, v21, v20, v14
.LBB52_296:
	s_or_b64 exec, exec, s[6:7]
	s_nop 0
	v_mfma_f32_16x16x4f32 a[0:3], v10, v14, a[0:3]
	v_lshrrev_b32_e32 v14, 8, v15
	s_movk_i32 s4, 0x7f
	v_cmp_gt_i16_sdwa s[6:7], v14, s4 src0_sel:BYTE_0 src1_sel:DWORD
	s_mov_b64 s[4:5], 0
                                        ; implicit-def: $sgpr10
	s_and_saveexec_b64 s[8:9], s[6:7]
	s_xor_b64 s[6:7], exec, s[8:9]
	s_cbranch_execnz .LBB52_2345
; %bb.297:
	s_or_saveexec_b64 s[6:7], s[6:7]
	v_mov_b32_e32 v10, s10
	s_xor_b64 exec, exec, s[6:7]
	s_cbranch_execnz .LBB52_2348
.LBB52_298:
	s_or_b64 exec, exec, s[6:7]
	s_and_saveexec_b64 s[6:7], s[4:5]
	s_cbranch_execz .LBB52_300
.LBB52_299:
	v_bfe_u32 v10, v15, 8, 3
	v_ffbh_u32_e32 v21, v10
	v_min_u32_e32 v21, 32, v21
	v_lshrrev_b16_e32 v20, 3, v14
	v_subrev_u32_e32 v22, 28, v21
	v_and_b32_e32 v20, 15, v20
	v_lshlrev_b32_e32 v14, v22, v14
	v_sub_u32_e32 v21, 29, v21
	v_and_b32_e32 v14, 7, v14
	v_cmp_eq_u16_e32 vcc, 0, v20
	v_cndmask_b32_e32 v10, v10, v14, vcc
	v_cndmask_b32_e32 v14, v20, v21, vcc
	v_lshlrev_b32_e32 v20, 16, v15
	v_mov_b32_e32 v21, 0x3b800000
	v_lshlrev_b32_e32 v10, 20, v10
	v_and_b32_e32 v20, 0x80000000, v20
	v_lshl_add_u32 v14, v14, 23, v21
	v_or3_b32 v10, v20, v14, v10
.LBB52_300:
	s_or_b64 exec, exec, s[6:7]
	v_lshrrev_b32_e32 v14, 8, v11
	s_movk_i32 s4, 0x7f
	v_cmp_gt_i16_sdwa s[6:7], v14, s4 src0_sel:BYTE_0 src1_sel:DWORD
	s_mov_b64 s[4:5], 0
                                        ; implicit-def: $sgpr10
	s_and_saveexec_b64 s[8:9], s[6:7]
	s_xor_b64 s[6:7], exec, s[8:9]
	s_cbranch_execnz .LBB52_2349
; %bb.301:
	s_or_saveexec_b64 s[6:7], s[6:7]
	v_mov_b32_e32 v20, s10
	s_xor_b64 exec, exec, s[6:7]
	s_cbranch_execnz .LBB52_2352
.LBB52_302:
	s_or_b64 exec, exec, s[6:7]
	s_and_saveexec_b64 s[6:7], s[4:5]
	s_cbranch_execz .LBB52_304
.LBB52_303:
	v_bfe_u32 v20, v11, 8, 3
	v_ffbh_u32_e32 v22, v20
	v_min_u32_e32 v22, 32, v22
	v_lshrrev_b16_e32 v21, 3, v14
	v_subrev_u32_e32 v23, 28, v22
	v_and_b32_e32 v21, 15, v21
	v_lshlrev_b32_e32 v14, v23, v14
	v_sub_u32_e32 v22, 29, v22
	v_and_b32_e32 v14, 7, v14
	v_cmp_eq_u16_e32 vcc, 0, v21
	v_cndmask_b32_e32 v14, v20, v14, vcc
	v_cndmask_b32_e32 v20, v21, v22, vcc
	v_lshlrev_b32_e32 v21, 16, v11
	v_mov_b32_e32 v22, 0x3b800000
	v_lshlrev_b32_e32 v14, 20, v14
	v_and_b32_e32 v21, 0x80000000, v21
	v_lshl_add_u32 v20, v20, 23, v22
	v_or3_b32 v20, v21, v20, v14
.LBB52_304:
	s_or_b64 exec, exec, s[6:7]
	s_nop 0
	v_mfma_f32_16x16x4f32 a[0:3], v10, v20, a[0:3]
	s_movk_i32 s4, 0xff
	v_and_b32_sdwa v14, v15, s4 dst_sel:DWORD dst_unused:UNUSED_PAD src0_sel:WORD_1 src1_sel:DWORD
	s_movk_i32 s4, 0x7f
	v_cmp_lt_i16_e32 vcc, s4, v14
	s_mov_b64 s[4:5], 0
                                        ; implicit-def: $sgpr10
	s_and_saveexec_b64 s[6:7], vcc
	s_xor_b64 s[6:7], exec, s[6:7]
	s_cbranch_execnz .LBB52_2353
; %bb.305:
	s_or_saveexec_b64 s[6:7], s[6:7]
	v_mov_b32_e32 v10, s10
	s_xor_b64 exec, exec, s[6:7]
	s_cbranch_execnz .LBB52_2356
.LBB52_306:
	s_or_b64 exec, exec, s[6:7]
	s_and_saveexec_b64 s[6:7], s[4:5]
	s_cbranch_execz .LBB52_308
.LBB52_307:
	v_bfe_u32 v10, v15, 16, 3
	v_ffbh_u32_e32 v21, v10
	v_min_u32_e32 v21, 32, v21
	v_lshrrev_b32_e32 v14, 19, v15
	v_subrev_u32_e32 v22, 28, v21
	v_and_b32_e32 v14, 15, v14
	v_lshlrev_b32_sdwa v22, v22, v15 dst_sel:DWORD dst_unused:UNUSED_PAD src0_sel:DWORD src1_sel:WORD_1
	v_bfe_u32 v20, v15, 19, 4
	v_sub_u32_e32 v21, 29, v21
	v_and_b32_e32 v22, 7, v22
	v_cmp_eq_u16_e32 vcc, 0, v14
	v_cndmask_b32_e32 v10, v10, v22, vcc
	v_cndmask_b32_e32 v14, v20, v21, vcc
	v_lshlrev_b32_e32 v20, 8, v15
	v_mov_b32_e32 v21, 0x3b800000
	v_lshlrev_b32_e32 v10, 20, v10
	v_and_b32_e32 v20, 0x80000000, v20
	v_lshl_add_u32 v14, v14, 23, v21
	v_or3_b32 v10, v20, v14, v10
.LBB52_308:
	s_or_b64 exec, exec, s[6:7]
	s_movk_i32 s4, 0xff
	v_and_b32_sdwa v14, v11, s4 dst_sel:DWORD dst_unused:UNUSED_PAD src0_sel:WORD_1 src1_sel:DWORD
	s_movk_i32 s4, 0x7f
	v_cmp_lt_i16_e32 vcc, s4, v14
	s_mov_b64 s[4:5], 0
                                        ; implicit-def: $sgpr10
	s_and_saveexec_b64 s[6:7], vcc
	s_xor_b64 s[6:7], exec, s[6:7]
	s_cbranch_execnz .LBB52_2357
; %bb.309:
	s_or_saveexec_b64 s[6:7], s[6:7]
	v_mov_b32_e32 v20, s10
	s_xor_b64 exec, exec, s[6:7]
	s_cbranch_execnz .LBB52_2360
.LBB52_310:
	s_or_b64 exec, exec, s[6:7]
	s_and_saveexec_b64 s[6:7], s[4:5]
	s_cbranch_execz .LBB52_312
.LBB52_311:
	v_bfe_u32 v14, v11, 16, 3
	v_ffbh_u32_e32 v22, v14
	v_min_u32_e32 v22, 32, v22
	v_lshrrev_b32_e32 v20, 19, v11
	v_subrev_u32_e32 v23, 28, v22
	v_and_b32_e32 v20, 15, v20
	v_lshlrev_b32_sdwa v23, v23, v11 dst_sel:DWORD dst_unused:UNUSED_PAD src0_sel:DWORD src1_sel:WORD_1
	v_bfe_u32 v21, v11, 19, 4
	v_sub_u32_e32 v22, 29, v22
	v_and_b32_e32 v23, 7, v23
	v_cmp_eq_u16_e32 vcc, 0, v20
	v_cndmask_b32_e32 v14, v14, v23, vcc
	v_cndmask_b32_e32 v20, v21, v22, vcc
	v_lshlrev_b32_e32 v21, 8, v11
	v_mov_b32_e32 v22, 0x3b800000
	v_lshlrev_b32_e32 v14, 20, v14
	v_and_b32_e32 v21, 0x80000000, v21
	v_lshl_add_u32 v20, v20, 23, v22
	v_or3_b32 v20, v21, v20, v14
.LBB52_312:
	s_or_b64 exec, exec, s[6:7]
	s_nop 0
	v_mfma_f32_16x16x4f32 a[0:3], v10, v20, a[0:3]
	s_movk_i32 s4, 0x7f
	v_cmp_gt_i16_sdwa s[6:7], v15, s4 src0_sel:BYTE_3 src1_sel:DWORD
	s_mov_b64 s[4:5], 0
                                        ; implicit-def: $sgpr10
	s_and_saveexec_b64 s[8:9], s[6:7]
	s_xor_b64 s[6:7], exec, s[8:9]
	s_cbranch_execnz .LBB52_2361
; %bb.313:
	s_or_saveexec_b64 s[6:7], s[6:7]
	v_mov_b32_e32 v10, s10
	s_xor_b64 exec, exec, s[6:7]
	s_cbranch_execnz .LBB52_2364
.LBB52_314:
	s_or_b64 exec, exec, s[6:7]
	s_and_saveexec_b64 s[6:7], s[4:5]
	s_cbranch_execz .LBB52_316
.LBB52_315:
	v_bfe_u32 v10, v15, 24, 3
	v_ffbh_u32_e32 v22, v10
	v_min_u32_e32 v22, 32, v22
	v_lshrrev_b32_e32 v20, 27, v15
	v_subrev_u32_e32 v23, 28, v22
	v_and_b32_e32 v14, 0x80000000, v15
	v_and_b32_e32 v20, 15, v20
	v_bfe_u32 v21, v15, 27, 4
	v_lshlrev_b32_sdwa v15, v23, v15 dst_sel:DWORD dst_unused:UNUSED_PAD src0_sel:DWORD src1_sel:BYTE_3
	v_sub_u32_e32 v22, 29, v22
	v_and_b32_e32 v15, 7, v15
	v_cmp_eq_u16_e32 vcc, 0, v20
	v_cndmask_b32_e32 v10, v10, v15, vcc
	v_cndmask_b32_e32 v15, v21, v22, vcc
	v_mov_b32_e32 v20, 0x3b800000
	v_lshlrev_b32_e32 v10, 20, v10
	v_lshl_add_u32 v15, v15, 23, v20
	v_or3_b32 v10, v14, v15, v10
.LBB52_316:
	s_or_b64 exec, exec, s[6:7]
	s_movk_i32 s4, 0x7f
	v_cmp_gt_i16_sdwa s[6:7], v11, s4 src0_sel:BYTE_3 src1_sel:DWORD
	s_mov_b64 s[4:5], 0
                                        ; implicit-def: $sgpr10
	s_and_saveexec_b64 s[8:9], s[6:7]
	s_xor_b64 s[6:7], exec, s[8:9]
	s_cbranch_execnz .LBB52_2365
; %bb.317:
	s_or_saveexec_b64 s[6:7], s[6:7]
	v_mov_b32_e32 v14, s10
	s_xor_b64 exec, exec, s[6:7]
	s_cbranch_execnz .LBB52_2368
.LBB52_318:
	s_or_b64 exec, exec, s[6:7]
	s_and_saveexec_b64 s[6:7], s[4:5]
	s_cbranch_execz .LBB52_320
.LBB52_319:
	v_bfe_u32 v14, v11, 24, 3
	v_ffbh_u32_e32 v22, v14
	v_min_u32_e32 v22, 32, v22
	v_lshrrev_b32_e32 v20, 27, v11
	v_subrev_u32_e32 v23, 28, v22
	v_and_b32_e32 v15, 0x80000000, v11
	v_and_b32_e32 v20, 15, v20
	v_bfe_u32 v21, v11, 27, 4
	v_lshlrev_b32_sdwa v11, v23, v11 dst_sel:DWORD dst_unused:UNUSED_PAD src0_sel:DWORD src1_sel:BYTE_3
	v_sub_u32_e32 v22, 29, v22
	v_and_b32_e32 v11, 7, v11
	v_cmp_eq_u16_e32 vcc, 0, v20
	v_cndmask_b32_e32 v11, v14, v11, vcc
	v_cndmask_b32_e32 v14, v21, v22, vcc
	v_mov_b32_e32 v20, 0x3b800000
	v_lshlrev_b32_e32 v11, 20, v11
	v_lshl_add_u32 v14, v14, 23, v20
	v_or3_b32 v14, v15, v14, v11
.LBB52_320:
	s_or_b64 exec, exec, s[6:7]
	s_nop 0
	v_mfma_f32_16x16x4f32 a[0:3], v10, v14, a[0:3]
	s_movk_i32 s4, 0x7f
	v_cmp_gt_i16_sdwa s[6:7], v16, s4 src0_sel:BYTE_0 src1_sel:DWORD
	s_mov_b64 s[4:5], 0
                                        ; implicit-def: $sgpr10
	s_and_saveexec_b64 s[8:9], s[6:7]
	s_xor_b64 s[6:7], exec, s[8:9]
	s_cbranch_execnz .LBB52_2369
; %bb.321:
	s_or_saveexec_b64 s[6:7], s[6:7]
	v_mov_b32_e32 v10, s10
	s_xor_b64 exec, exec, s[6:7]
	s_cbranch_execnz .LBB52_2372
.LBB52_322:
	s_or_b64 exec, exec, s[6:7]
	s_and_saveexec_b64 s[6:7], s[4:5]
	s_cbranch_execz .LBB52_324
.LBB52_323:
	v_and_b32_e32 v10, 7, v16
	v_ffbh_u32_e32 v14, v10
	v_min_u32_e32 v14, 32, v14
	v_lshrrev_b16_e32 v11, 3, v16
	v_subrev_u32_e32 v15, 28, v14
	v_and_b32_e32 v11, 15, v11
	v_lshlrev_b32_e32 v15, v15, v16
	v_sub_u32_e32 v14, 29, v14
	v_and_b32_e32 v15, 7, v15
	v_cmp_eq_u16_e32 vcc, 0, v11
	v_cndmask_b32_e32 v10, v10, v15, vcc
	v_cndmask_b32_e32 v11, v11, v14, vcc
	v_lshlrev_b32_e32 v14, 24, v16
	v_mov_b32_e32 v15, 0x3b800000
	v_lshlrev_b32_e32 v10, 20, v10
	v_and_b32_e32 v14, 0x80000000, v14
	v_lshl_add_u32 v11, v11, 23, v15
	v_or3_b32 v10, v14, v11, v10
.LBB52_324:
	s_or_b64 exec, exec, s[6:7]
	s_movk_i32 s4, 0x7f
	v_cmp_gt_i16_sdwa s[6:7], v12, s4 src0_sel:BYTE_0 src1_sel:DWORD
	s_mov_b64 s[4:5], 0
                                        ; implicit-def: $sgpr10
	s_and_saveexec_b64 s[8:9], s[6:7]
	s_xor_b64 s[6:7], exec, s[8:9]
	s_cbranch_execnz .LBB52_2373
; %bb.325:
	s_or_saveexec_b64 s[6:7], s[6:7]
	v_mov_b32_e32 v11, s10
	s_xor_b64 exec, exec, s[6:7]
	s_cbranch_execnz .LBB52_2376
.LBB52_326:
	s_or_b64 exec, exec, s[6:7]
	s_and_saveexec_b64 s[6:7], s[4:5]
	s_cbranch_execz .LBB52_328
.LBB52_327:
	v_and_b32_e32 v11, 7, v12
	v_ffbh_u32_e32 v15, v11
	v_min_u32_e32 v15, 32, v15
	v_lshrrev_b16_e32 v14, 3, v12
	v_subrev_u32_e32 v20, 28, v15
	v_and_b32_e32 v14, 15, v14
	v_lshlrev_b32_e32 v20, v20, v12
	v_sub_u32_e32 v15, 29, v15
	v_and_b32_e32 v20, 7, v20
	v_cmp_eq_u16_e32 vcc, 0, v14
	v_cndmask_b32_e32 v11, v11, v20, vcc
	v_cndmask_b32_e32 v14, v14, v15, vcc
	v_lshlrev_b32_e32 v15, 24, v12
	v_mov_b32_e32 v20, 0x3b800000
	v_lshlrev_b32_e32 v11, 20, v11
	v_and_b32_e32 v15, 0x80000000, v15
	v_lshl_add_u32 v14, v14, 23, v20
	v_or3_b32 v11, v15, v14, v11
.LBB52_328:
	s_or_b64 exec, exec, s[6:7]
	s_nop 0
	v_mfma_f32_16x16x4f32 a[0:3], v10, v11, a[0:3]
	v_lshrrev_b32_e32 v11, 8, v16
	s_movk_i32 s4, 0x7f
	v_cmp_gt_i16_sdwa s[6:7], v11, s4 src0_sel:BYTE_0 src1_sel:DWORD
	s_mov_b64 s[4:5], 0
                                        ; implicit-def: $sgpr10
	s_and_saveexec_b64 s[8:9], s[6:7]
	s_xor_b64 s[6:7], exec, s[8:9]
	s_cbranch_execnz .LBB52_2377
; %bb.329:
	s_or_saveexec_b64 s[6:7], s[6:7]
	v_mov_b32_e32 v10, s10
	s_xor_b64 exec, exec, s[6:7]
	s_cbranch_execnz .LBB52_2380
.LBB52_330:
	s_or_b64 exec, exec, s[6:7]
	s_and_saveexec_b64 s[6:7], s[4:5]
	s_cbranch_execz .LBB52_332
.LBB52_331:
	v_bfe_u32 v10, v16, 8, 3
	v_ffbh_u32_e32 v15, v10
	v_min_u32_e32 v15, 32, v15
	v_lshrrev_b16_e32 v14, 3, v11
	v_subrev_u32_e32 v20, 28, v15
	v_and_b32_e32 v14, 15, v14
	v_lshlrev_b32_e32 v11, v20, v11
	v_sub_u32_e32 v15, 29, v15
	v_and_b32_e32 v11, 7, v11
	v_cmp_eq_u16_e32 vcc, 0, v14
	v_cndmask_b32_e32 v10, v10, v11, vcc
	v_cndmask_b32_e32 v11, v14, v15, vcc
	v_lshlrev_b32_e32 v14, 16, v16
	v_mov_b32_e32 v15, 0x3b800000
	v_lshlrev_b32_e32 v10, 20, v10
	v_and_b32_e32 v14, 0x80000000, v14
	v_lshl_add_u32 v11, v11, 23, v15
	v_or3_b32 v10, v14, v11, v10
.LBB52_332:
	s_or_b64 exec, exec, s[6:7]
	v_lshrrev_b32_e32 v11, 8, v12
	s_movk_i32 s4, 0x7f
	v_cmp_gt_i16_sdwa s[6:7], v11, s4 src0_sel:BYTE_0 src1_sel:DWORD
	s_mov_b64 s[4:5], 0
                                        ; implicit-def: $sgpr10
	s_and_saveexec_b64 s[8:9], s[6:7]
	s_xor_b64 s[6:7], exec, s[8:9]
	s_cbranch_execnz .LBB52_2381
; %bb.333:
	s_or_saveexec_b64 s[6:7], s[6:7]
	v_mov_b32_e32 v14, s10
	s_xor_b64 exec, exec, s[6:7]
	s_cbranch_execnz .LBB52_2384
.LBB52_334:
	s_or_b64 exec, exec, s[6:7]
	s_and_saveexec_b64 s[6:7], s[4:5]
	s_cbranch_execz .LBB52_336
.LBB52_335:
	v_bfe_u32 v14, v12, 8, 3
	v_ffbh_u32_e32 v20, v14
	v_min_u32_e32 v20, 32, v20
	v_lshrrev_b16_e32 v15, 3, v11
	v_subrev_u32_e32 v21, 28, v20
	v_and_b32_e32 v15, 15, v15
	v_lshlrev_b32_e32 v11, v21, v11
	v_sub_u32_e32 v20, 29, v20
	v_and_b32_e32 v11, 7, v11
	v_cmp_eq_u16_e32 vcc, 0, v15
	v_cndmask_b32_e32 v11, v14, v11, vcc
	v_cndmask_b32_e32 v14, v15, v20, vcc
	v_lshlrev_b32_e32 v15, 16, v12
	v_mov_b32_e32 v20, 0x3b800000
	v_lshlrev_b32_e32 v11, 20, v11
	v_and_b32_e32 v15, 0x80000000, v15
	v_lshl_add_u32 v14, v14, 23, v20
	v_or3_b32 v14, v15, v14, v11
.LBB52_336:
	s_or_b64 exec, exec, s[6:7]
	s_nop 0
	v_mfma_f32_16x16x4f32 a[0:3], v10, v14, a[0:3]
	s_movk_i32 s4, 0xff
	v_and_b32_sdwa v11, v16, s4 dst_sel:DWORD dst_unused:UNUSED_PAD src0_sel:WORD_1 src1_sel:DWORD
	s_movk_i32 s4, 0x7f
	v_cmp_lt_i16_e32 vcc, s4, v11
	s_mov_b64 s[4:5], 0
                                        ; implicit-def: $sgpr10
	s_and_saveexec_b64 s[6:7], vcc
	s_xor_b64 s[6:7], exec, s[6:7]
	s_cbranch_execnz .LBB52_2385
; %bb.337:
	s_or_saveexec_b64 s[6:7], s[6:7]
	v_mov_b32_e32 v10, s10
	s_xor_b64 exec, exec, s[6:7]
	s_cbranch_execnz .LBB52_2388
.LBB52_338:
	s_or_b64 exec, exec, s[6:7]
	s_and_saveexec_b64 s[6:7], s[4:5]
	s_cbranch_execz .LBB52_340
.LBB52_339:
	v_bfe_u32 v10, v16, 16, 3
	v_ffbh_u32_e32 v15, v10
	v_min_u32_e32 v15, 32, v15
	v_lshrrev_b32_e32 v11, 19, v16
	v_subrev_u32_e32 v20, 28, v15
	v_and_b32_e32 v11, 15, v11
	v_lshlrev_b32_sdwa v20, v20, v16 dst_sel:DWORD dst_unused:UNUSED_PAD src0_sel:DWORD src1_sel:WORD_1
	v_bfe_u32 v14, v16, 19, 4
	v_sub_u32_e32 v15, 29, v15
	v_and_b32_e32 v20, 7, v20
	v_cmp_eq_u16_e32 vcc, 0, v11
	v_cndmask_b32_e32 v10, v10, v20, vcc
	v_cndmask_b32_e32 v11, v14, v15, vcc
	v_lshlrev_b32_e32 v14, 8, v16
	v_mov_b32_e32 v15, 0x3b800000
	v_lshlrev_b32_e32 v10, 20, v10
	v_and_b32_e32 v14, 0x80000000, v14
	v_lshl_add_u32 v11, v11, 23, v15
	v_or3_b32 v10, v14, v11, v10
.LBB52_340:
	s_or_b64 exec, exec, s[6:7]
	s_movk_i32 s4, 0xff
	v_and_b32_sdwa v11, v12, s4 dst_sel:DWORD dst_unused:UNUSED_PAD src0_sel:WORD_1 src1_sel:DWORD
	s_movk_i32 s4, 0x7f
	v_cmp_lt_i16_e32 vcc, s4, v11
	s_mov_b64 s[4:5], 0
                                        ; implicit-def: $sgpr10
	s_and_saveexec_b64 s[6:7], vcc
	s_xor_b64 s[6:7], exec, s[6:7]
	s_cbranch_execnz .LBB52_2389
; %bb.341:
	s_or_saveexec_b64 s[6:7], s[6:7]
	v_mov_b32_e32 v14, s10
	s_xor_b64 exec, exec, s[6:7]
	s_cbranch_execnz .LBB52_2392
.LBB52_342:
	s_or_b64 exec, exec, s[6:7]
	s_and_saveexec_b64 s[6:7], s[4:5]
	s_cbranch_execz .LBB52_344
.LBB52_343:
	v_bfe_u32 v11, v12, 16, 3
	v_ffbh_u32_e32 v20, v11
	v_min_u32_e32 v20, 32, v20
	v_lshrrev_b32_e32 v14, 19, v12
	v_subrev_u32_e32 v21, 28, v20
	v_and_b32_e32 v14, 15, v14
	v_lshlrev_b32_sdwa v21, v21, v12 dst_sel:DWORD dst_unused:UNUSED_PAD src0_sel:DWORD src1_sel:WORD_1
	v_bfe_u32 v15, v12, 19, 4
	v_sub_u32_e32 v20, 29, v20
	v_and_b32_e32 v21, 7, v21
	v_cmp_eq_u16_e32 vcc, 0, v14
	v_cndmask_b32_e32 v11, v11, v21, vcc
	v_cndmask_b32_e32 v14, v15, v20, vcc
	v_lshlrev_b32_e32 v15, 8, v12
	v_mov_b32_e32 v20, 0x3b800000
	v_lshlrev_b32_e32 v11, 20, v11
	v_and_b32_e32 v15, 0x80000000, v15
	v_lshl_add_u32 v14, v14, 23, v20
	v_or3_b32 v14, v15, v14, v11
.LBB52_344:
	s_or_b64 exec, exec, s[6:7]
	s_nop 0
	v_mfma_f32_16x16x4f32 a[0:3], v10, v14, a[0:3]
	s_movk_i32 s4, 0x7f
	v_cmp_gt_i16_sdwa s[6:7], v16, s4 src0_sel:BYTE_3 src1_sel:DWORD
	s_mov_b64 s[4:5], 0
                                        ; implicit-def: $sgpr10
	s_and_saveexec_b64 s[8:9], s[6:7]
	s_xor_b64 s[6:7], exec, s[8:9]
	s_cbranch_execnz .LBB52_2393
; %bb.345:
	s_or_saveexec_b64 s[6:7], s[6:7]
	v_mov_b32_e32 v10, s10
	s_xor_b64 exec, exec, s[6:7]
	s_cbranch_execnz .LBB52_2396
.LBB52_346:
	s_or_b64 exec, exec, s[6:7]
	s_and_saveexec_b64 s[6:7], s[4:5]
	s_cbranch_execz .LBB52_348
.LBB52_347:
	v_bfe_u32 v10, v16, 24, 3
	v_ffbh_u32_e32 v20, v10
	v_min_u32_e32 v20, 32, v20
	v_lshrrev_b32_e32 v14, 27, v16
	v_subrev_u32_e32 v21, 28, v20
	v_and_b32_e32 v11, 0x80000000, v16
	v_and_b32_e32 v14, 15, v14
	v_bfe_u32 v15, v16, 27, 4
	v_lshlrev_b32_sdwa v16, v21, v16 dst_sel:DWORD dst_unused:UNUSED_PAD src0_sel:DWORD src1_sel:BYTE_3
	v_sub_u32_e32 v20, 29, v20
	v_and_b32_e32 v16, 7, v16
	v_cmp_eq_u16_e32 vcc, 0, v14
	v_cndmask_b32_e32 v10, v10, v16, vcc
	v_cndmask_b32_e32 v14, v15, v20, vcc
	v_mov_b32_e32 v15, 0x3b800000
	v_lshlrev_b32_e32 v10, 20, v10
	v_lshl_add_u32 v14, v14, 23, v15
	v_or3_b32 v10, v11, v14, v10
.LBB52_348:
	s_or_b64 exec, exec, s[6:7]
	s_movk_i32 s4, 0x7f
	v_cmp_gt_i16_sdwa s[6:7], v12, s4 src0_sel:BYTE_3 src1_sel:DWORD
	s_mov_b64 s[4:5], 0
                                        ; implicit-def: $sgpr10
	s_and_saveexec_b64 s[8:9], s[6:7]
	s_xor_b64 s[6:7], exec, s[8:9]
	s_cbranch_execnz .LBB52_2397
; %bb.349:
	s_or_saveexec_b64 s[6:7], s[6:7]
	v_mov_b32_e32 v11, s10
	s_xor_b64 exec, exec, s[6:7]
	s_cbranch_execnz .LBB52_2400
.LBB52_350:
	s_or_b64 exec, exec, s[6:7]
	s_and_saveexec_b64 s[6:7], s[4:5]
	s_cbranch_execz .LBB52_352
.LBB52_351:
	v_bfe_u32 v11, v12, 24, 3
	v_ffbh_u32_e32 v20, v11
	v_min_u32_e32 v20, 32, v20
	v_lshrrev_b32_e32 v15, 27, v12
	v_subrev_u32_e32 v21, 28, v20
	v_and_b32_e32 v14, 0x80000000, v12
	v_and_b32_e32 v15, 15, v15
	v_bfe_u32 v16, v12, 27, 4
	v_lshlrev_b32_sdwa v12, v21, v12 dst_sel:DWORD dst_unused:UNUSED_PAD src0_sel:DWORD src1_sel:BYTE_3
	v_sub_u32_e32 v20, 29, v20
	v_and_b32_e32 v12, 7, v12
	v_cmp_eq_u16_e32 vcc, 0, v15
	v_cndmask_b32_e32 v11, v11, v12, vcc
	v_cndmask_b32_e32 v12, v16, v20, vcc
	v_mov_b32_e32 v15, 0x3b800000
	v_lshlrev_b32_e32 v11, 20, v11
	v_lshl_add_u32 v12, v12, 23, v15
	v_or3_b32 v11, v14, v12, v11
.LBB52_352:
	s_or_b64 exec, exec, s[6:7]
	s_nop 0
	v_mfma_f32_16x16x4f32 a[0:3], v10, v11, a[0:3]
	s_movk_i32 s4, 0x7f
	v_cmp_gt_i16_sdwa s[6:7], v17, s4 src0_sel:BYTE_0 src1_sel:DWORD
	s_mov_b64 s[4:5], 0
                                        ; implicit-def: $sgpr10
	s_and_saveexec_b64 s[8:9], s[6:7]
	s_xor_b64 s[6:7], exec, s[8:9]
	s_cbranch_execnz .LBB52_2401
; %bb.353:
	s_or_saveexec_b64 s[6:7], s[6:7]
	v_mov_b32_e32 v10, s10
	s_xor_b64 exec, exec, s[6:7]
	s_cbranch_execnz .LBB52_2404
.LBB52_354:
	s_or_b64 exec, exec, s[6:7]
	s_and_saveexec_b64 s[6:7], s[4:5]
	s_cbranch_execz .LBB52_356
.LBB52_355:
	v_and_b32_e32 v10, 7, v17
	v_ffbh_u32_e32 v12, v10
	v_min_u32_e32 v12, 32, v12
	v_lshrrev_b16_e32 v11, 3, v17
	v_subrev_u32_e32 v14, 28, v12
	v_and_b32_e32 v11, 15, v11
	v_lshlrev_b32_e32 v14, v14, v17
	v_sub_u32_e32 v12, 29, v12
	v_and_b32_e32 v14, 7, v14
	v_cmp_eq_u16_e32 vcc, 0, v11
	v_cndmask_b32_e32 v10, v10, v14, vcc
	v_cndmask_b32_e32 v11, v11, v12, vcc
	v_lshlrev_b32_e32 v12, 24, v17
	v_mov_b32_e32 v14, 0x3b800000
	v_lshlrev_b32_e32 v10, 20, v10
	v_and_b32_e32 v12, 0x80000000, v12
	v_lshl_add_u32 v11, v11, 23, v14
	v_or3_b32 v10, v12, v11, v10
.LBB52_356:
	s_or_b64 exec, exec, s[6:7]
	s_movk_i32 s4, 0x7f
	v_cmp_gt_i16_sdwa s[6:7], v13, s4 src0_sel:BYTE_0 src1_sel:DWORD
	s_mov_b64 s[4:5], 0
                                        ; implicit-def: $sgpr10
	s_and_saveexec_b64 s[8:9], s[6:7]
	s_xor_b64 s[6:7], exec, s[8:9]
	s_cbranch_execnz .LBB52_2405
; %bb.357:
	s_or_saveexec_b64 s[6:7], s[6:7]
	v_mov_b32_e32 v11, s10
	s_xor_b64 exec, exec, s[6:7]
	s_cbranch_execnz .LBB52_2408
.LBB52_358:
	s_or_b64 exec, exec, s[6:7]
	s_and_saveexec_b64 s[6:7], s[4:5]
	s_cbranch_execz .LBB52_360
.LBB52_359:
	v_and_b32_e32 v11, 7, v13
	v_ffbh_u32_e32 v14, v11
	v_min_u32_e32 v14, 32, v14
	v_lshrrev_b16_e32 v12, 3, v13
	v_subrev_u32_e32 v15, 28, v14
	v_and_b32_e32 v12, 15, v12
	v_lshlrev_b32_e32 v15, v15, v13
	v_sub_u32_e32 v14, 29, v14
	v_and_b32_e32 v15, 7, v15
	v_cmp_eq_u16_e32 vcc, 0, v12
	v_cndmask_b32_e32 v11, v11, v15, vcc
	v_cndmask_b32_e32 v12, v12, v14, vcc
	v_lshlrev_b32_e32 v14, 24, v13
	v_mov_b32_e32 v15, 0x3b800000
	v_lshlrev_b32_e32 v11, 20, v11
	v_and_b32_e32 v14, 0x80000000, v14
	v_lshl_add_u32 v12, v12, 23, v15
	v_or3_b32 v11, v14, v12, v11
.LBB52_360:
	s_or_b64 exec, exec, s[6:7]
	s_nop 0
	v_mfma_f32_16x16x4f32 a[0:3], v10, v11, a[0:3]
	v_lshrrev_b32_e32 v11, 8, v17
	s_movk_i32 s4, 0x7f
	v_cmp_gt_i16_sdwa s[6:7], v11, s4 src0_sel:BYTE_0 src1_sel:DWORD
	s_mov_b64 s[4:5], 0
                                        ; implicit-def: $sgpr10
	s_and_saveexec_b64 s[8:9], s[6:7]
	s_xor_b64 s[6:7], exec, s[8:9]
	s_cbranch_execnz .LBB52_2409
; %bb.361:
	s_or_saveexec_b64 s[6:7], s[6:7]
	v_mov_b32_e32 v10, s10
	s_xor_b64 exec, exec, s[6:7]
	s_cbranch_execnz .LBB52_2412
.LBB52_362:
	s_or_b64 exec, exec, s[6:7]
	s_and_saveexec_b64 s[6:7], s[4:5]
	s_cbranch_execz .LBB52_364
.LBB52_363:
	v_bfe_u32 v10, v17, 8, 3
	v_ffbh_u32_e32 v14, v10
	v_min_u32_e32 v14, 32, v14
	v_lshrrev_b16_e32 v12, 3, v11
	v_subrev_u32_e32 v15, 28, v14
	v_and_b32_e32 v12, 15, v12
	v_lshlrev_b32_e32 v11, v15, v11
	v_sub_u32_e32 v14, 29, v14
	v_and_b32_e32 v11, 7, v11
	v_cmp_eq_u16_e32 vcc, 0, v12
	v_cndmask_b32_e32 v10, v10, v11, vcc
	v_cndmask_b32_e32 v11, v12, v14, vcc
	v_lshlrev_b32_e32 v12, 16, v17
	v_mov_b32_e32 v14, 0x3b800000
	v_lshlrev_b32_e32 v10, 20, v10
	v_and_b32_e32 v12, 0x80000000, v12
	v_lshl_add_u32 v11, v11, 23, v14
	v_or3_b32 v10, v12, v11, v10
.LBB52_364:
	s_or_b64 exec, exec, s[6:7]
	v_lshrrev_b32_e32 v11, 8, v13
	s_movk_i32 s4, 0x7f
	v_cmp_gt_i16_sdwa s[6:7], v11, s4 src0_sel:BYTE_0 src1_sel:DWORD
	s_mov_b64 s[4:5], 0
                                        ; implicit-def: $sgpr10
	s_and_saveexec_b64 s[8:9], s[6:7]
	s_xor_b64 s[6:7], exec, s[8:9]
	s_cbranch_execnz .LBB52_2413
; %bb.365:
	s_or_saveexec_b64 s[6:7], s[6:7]
	v_mov_b32_e32 v12, s10
	s_xor_b64 exec, exec, s[6:7]
	s_cbranch_execnz .LBB52_2416
.LBB52_366:
	s_or_b64 exec, exec, s[6:7]
	s_and_saveexec_b64 s[6:7], s[4:5]
	s_cbranch_execz .LBB52_368
.LBB52_367:
	v_bfe_u32 v12, v13, 8, 3
	v_ffbh_u32_e32 v15, v12
	v_min_u32_e32 v15, 32, v15
	v_lshrrev_b16_e32 v14, 3, v11
	v_subrev_u32_e32 v16, 28, v15
	v_and_b32_e32 v14, 15, v14
	v_lshlrev_b32_e32 v11, v16, v11
	v_sub_u32_e32 v15, 29, v15
	v_and_b32_e32 v11, 7, v11
	v_cmp_eq_u16_e32 vcc, 0, v14
	v_cndmask_b32_e32 v11, v12, v11, vcc
	v_cndmask_b32_e32 v12, v14, v15, vcc
	v_lshlrev_b32_e32 v14, 16, v13
	v_mov_b32_e32 v15, 0x3b800000
	v_lshlrev_b32_e32 v11, 20, v11
	v_and_b32_e32 v14, 0x80000000, v14
	v_lshl_add_u32 v12, v12, 23, v15
	v_or3_b32 v12, v14, v12, v11
.LBB52_368:
	s_or_b64 exec, exec, s[6:7]
	s_nop 0
	v_mfma_f32_16x16x4f32 a[0:3], v10, v12, a[0:3]
	s_movk_i32 s4, 0xff
	v_and_b32_sdwa v11, v17, s4 dst_sel:DWORD dst_unused:UNUSED_PAD src0_sel:WORD_1 src1_sel:DWORD
	s_movk_i32 s4, 0x7f
	v_cmp_lt_i16_e32 vcc, s4, v11
	s_mov_b64 s[4:5], 0
                                        ; implicit-def: $sgpr10
	s_and_saveexec_b64 s[6:7], vcc
	s_xor_b64 s[6:7], exec, s[6:7]
	s_cbranch_execnz .LBB52_2417
; %bb.369:
	s_or_saveexec_b64 s[6:7], s[6:7]
	v_mov_b32_e32 v10, s10
	s_xor_b64 exec, exec, s[6:7]
	s_cbranch_execnz .LBB52_2420
.LBB52_370:
	s_or_b64 exec, exec, s[6:7]
	s_and_saveexec_b64 s[6:7], s[4:5]
	s_cbranch_execz .LBB52_372
.LBB52_371:
	v_bfe_u32 v10, v17, 16, 3
	v_ffbh_u32_e32 v14, v10
	v_min_u32_e32 v14, 32, v14
	v_lshrrev_b32_e32 v11, 19, v17
	v_subrev_u32_e32 v15, 28, v14
	v_and_b32_e32 v11, 15, v11
	v_lshlrev_b32_sdwa v15, v15, v17 dst_sel:DWORD dst_unused:UNUSED_PAD src0_sel:DWORD src1_sel:WORD_1
	v_bfe_u32 v12, v17, 19, 4
	v_sub_u32_e32 v14, 29, v14
	v_and_b32_e32 v15, 7, v15
	v_cmp_eq_u16_e32 vcc, 0, v11
	v_cndmask_b32_e32 v10, v10, v15, vcc
	v_cndmask_b32_e32 v11, v12, v14, vcc
	v_lshlrev_b32_e32 v12, 8, v17
	v_mov_b32_e32 v14, 0x3b800000
	v_lshlrev_b32_e32 v10, 20, v10
	v_and_b32_e32 v12, 0x80000000, v12
	v_lshl_add_u32 v11, v11, 23, v14
	v_or3_b32 v10, v12, v11, v10
.LBB52_372:
	s_or_b64 exec, exec, s[6:7]
	s_movk_i32 s4, 0xff
	v_and_b32_sdwa v11, v13, s4 dst_sel:DWORD dst_unused:UNUSED_PAD src0_sel:WORD_1 src1_sel:DWORD
	s_movk_i32 s4, 0x7f
	v_cmp_lt_i16_e32 vcc, s4, v11
	s_mov_b64 s[4:5], 0
                                        ; implicit-def: $sgpr10
	s_and_saveexec_b64 s[6:7], vcc
	s_xor_b64 s[6:7], exec, s[6:7]
	s_cbranch_execnz .LBB52_2421
; %bb.373:
	s_or_saveexec_b64 s[6:7], s[6:7]
	v_mov_b32_e32 v12, s10
	s_xor_b64 exec, exec, s[6:7]
	s_cbranch_execnz .LBB52_2424
.LBB52_374:
	s_or_b64 exec, exec, s[6:7]
	s_and_saveexec_b64 s[6:7], s[4:5]
	s_cbranch_execz .LBB52_376
.LBB52_375:
	v_bfe_u32 v11, v13, 16, 3
	v_ffbh_u32_e32 v15, v11
	v_min_u32_e32 v15, 32, v15
	v_lshrrev_b32_e32 v12, 19, v13
	v_subrev_u32_e32 v16, 28, v15
	v_and_b32_e32 v12, 15, v12
	v_lshlrev_b32_sdwa v16, v16, v13 dst_sel:DWORD dst_unused:UNUSED_PAD src0_sel:DWORD src1_sel:WORD_1
	v_bfe_u32 v14, v13, 19, 4
	v_sub_u32_e32 v15, 29, v15
	v_and_b32_e32 v16, 7, v16
	v_cmp_eq_u16_e32 vcc, 0, v12
	v_cndmask_b32_e32 v11, v11, v16, vcc
	v_cndmask_b32_e32 v12, v14, v15, vcc
	v_lshlrev_b32_e32 v14, 8, v13
	v_mov_b32_e32 v15, 0x3b800000
	v_lshlrev_b32_e32 v11, 20, v11
	v_and_b32_e32 v14, 0x80000000, v14
	v_lshl_add_u32 v12, v12, 23, v15
	v_or3_b32 v12, v14, v12, v11
.LBB52_376:
	s_or_b64 exec, exec, s[6:7]
	s_nop 0
	v_mfma_f32_16x16x4f32 a[0:3], v10, v12, a[0:3]
	s_movk_i32 s4, 0x7f
	v_cmp_gt_i16_sdwa s[6:7], v17, s4 src0_sel:BYTE_3 src1_sel:DWORD
	s_mov_b64 s[4:5], 0
                                        ; implicit-def: $sgpr10
	s_and_saveexec_b64 s[8:9], s[6:7]
	s_xor_b64 s[6:7], exec, s[8:9]
	s_cbranch_execnz .LBB52_2425
; %bb.377:
	s_or_saveexec_b64 s[6:7], s[6:7]
	v_mov_b32_e32 v10, s10
	s_xor_b64 exec, exec, s[6:7]
	s_cbranch_execnz .LBB52_2428
.LBB52_378:
	s_or_b64 exec, exec, s[6:7]
	s_and_saveexec_b64 s[6:7], s[4:5]
	s_cbranch_execz .LBB52_380
.LBB52_379:
	v_bfe_u32 v10, v17, 24, 3
	v_ffbh_u32_e32 v15, v10
	v_min_u32_e32 v15, 32, v15
	v_lshrrev_b32_e32 v12, 27, v17
	v_subrev_u32_e32 v16, 28, v15
	v_and_b32_e32 v12, 15, v12
	v_lshlrev_b32_sdwa v16, v16, v17 dst_sel:DWORD dst_unused:UNUSED_PAD src0_sel:DWORD src1_sel:BYTE_3
	v_bfe_u32 v14, v17, 27, 4
	v_sub_u32_e32 v15, 29, v15
	v_and_b32_e32 v16, 7, v16
	v_cmp_eq_u16_e32 vcc, 0, v12
	v_cndmask_b32_e32 v10, v10, v16, vcc
	v_cndmask_b32_e32 v12, v14, v15, vcc
	v_mov_b32_e32 v14, 0x3b800000
	v_and_b32_e32 v11, 0x80000000, v17
	v_lshlrev_b32_e32 v10, 20, v10
	v_lshl_add_u32 v12, v12, 23, v14
	v_or3_b32 v10, v11, v12, v10
.LBB52_380:
	s_or_b64 exec, exec, s[6:7]
	s_movk_i32 s4, 0x7f
	v_cmp_gt_i16_sdwa s[6:7], v13, s4 src0_sel:BYTE_3 src1_sel:DWORD
	s_mov_b64 s[4:5], 0
                                        ; implicit-def: $sgpr10
	s_and_saveexec_b64 s[8:9], s[6:7]
	s_xor_b64 s[6:7], exec, s[8:9]
	s_cbranch_execnz .LBB52_2429
; %bb.381:
	s_or_saveexec_b64 s[6:7], s[6:7]
	v_mov_b32_e32 v11, s10
	s_xor_b64 exec, exec, s[6:7]
	s_cbranch_execnz .LBB52_2432
.LBB52_382:
	s_or_b64 exec, exec, s[6:7]
	s_and_saveexec_b64 s[6:7], s[4:5]
	s_cbranch_execz .LBB52_384
.LBB52_383:
	v_bfe_u32 v11, v13, 24, 3
	v_ffbh_u32_e32 v16, v11
	v_min_u32_e32 v16, 32, v16
	v_lshrrev_b32_e32 v14, 27, v13
	v_subrev_u32_e32 v17, 28, v16
	v_and_b32_e32 v12, 0x80000000, v13
	v_and_b32_e32 v14, 15, v14
	v_bfe_u32 v15, v13, 27, 4
	v_lshlrev_b32_sdwa v13, v17, v13 dst_sel:DWORD dst_unused:UNUSED_PAD src0_sel:DWORD src1_sel:BYTE_3
	v_sub_u32_e32 v16, 29, v16
	v_and_b32_e32 v13, 7, v13
	v_cmp_eq_u16_e32 vcc, 0, v14
	v_cndmask_b32_e32 v11, v11, v13, vcc
	v_cndmask_b32_e32 v13, v15, v16, vcc
	v_mov_b32_e32 v14, 0x3b800000
	v_lshlrev_b32_e32 v11, 20, v11
	v_lshl_add_u32 v13, v13, 23, v14
	v_or3_b32 v11, v12, v13, v11
.LBB52_384:
	s_or_b64 exec, exec, s[6:7]
	s_nop 0
	v_mfma_f32_16x16x4f32 a[0:3], v10, v11, a[0:3]
	s_movk_i32 s4, 0x7f
	v_cmp_gt_i16_sdwa s[6:7], v6, s4 src0_sel:BYTE_0 src1_sel:DWORD
	s_mov_b64 s[4:5], 0
                                        ; implicit-def: $sgpr10
	s_and_saveexec_b64 s[8:9], s[6:7]
	s_xor_b64 s[6:7], exec, s[8:9]
	s_cbranch_execnz .LBB52_2433
; %bb.385:
	s_or_saveexec_b64 s[6:7], s[6:7]
	v_mov_b32_e32 v10, s10
	s_xor_b64 exec, exec, s[6:7]
	s_cbranch_execnz .LBB52_2436
.LBB52_386:
	s_or_b64 exec, exec, s[6:7]
	s_and_saveexec_b64 s[6:7], s[4:5]
	s_cbranch_execz .LBB52_388
.LBB52_387:
	v_and_b32_e32 v10, 7, v6
	v_ffbh_u32_e32 v12, v10
	v_min_u32_e32 v12, 32, v12
	v_lshrrev_b16_e32 v11, 3, v6
	v_subrev_u32_e32 v13, 28, v12
	v_and_b32_e32 v11, 15, v11
	v_lshlrev_b32_e32 v13, v13, v6
	v_sub_u32_e32 v12, 29, v12
	v_and_b32_e32 v13, 7, v13
	v_cmp_eq_u16_e32 vcc, 0, v11
	v_cndmask_b32_e32 v10, v10, v13, vcc
	v_cndmask_b32_e32 v11, v11, v12, vcc
	v_lshlrev_b32_e32 v12, 24, v6
	v_mov_b32_e32 v13, 0x3b800000
	v_lshlrev_b32_e32 v10, 20, v10
	v_and_b32_e32 v12, 0x80000000, v12
	v_lshl_add_u32 v11, v11, 23, v13
	v_or3_b32 v10, v12, v11, v10
.LBB52_388:
	s_or_b64 exec, exec, s[6:7]
	s_movk_i32 s4, 0x7f
	v_cmp_gt_i16_sdwa s[6:7], v2, s4 src0_sel:BYTE_0 src1_sel:DWORD
	s_mov_b64 s[4:5], 0
                                        ; implicit-def: $sgpr10
	s_and_saveexec_b64 s[8:9], s[6:7]
	s_xor_b64 s[6:7], exec, s[8:9]
	s_cbranch_execnz .LBB52_2437
; %bb.389:
	s_or_saveexec_b64 s[6:7], s[6:7]
	v_mov_b32_e32 v11, s10
	s_xor_b64 exec, exec, s[6:7]
	s_cbranch_execnz .LBB52_2440
.LBB52_390:
	s_or_b64 exec, exec, s[6:7]
	s_and_saveexec_b64 s[6:7], s[4:5]
	s_cbranch_execz .LBB52_392
.LBB52_391:
	v_and_b32_e32 v11, 7, v2
	v_ffbh_u32_e32 v13, v11
	v_min_u32_e32 v13, 32, v13
	v_lshrrev_b16_e32 v12, 3, v2
	v_subrev_u32_e32 v14, 28, v13
	v_and_b32_e32 v12, 15, v12
	v_lshlrev_b32_e32 v14, v14, v2
	v_sub_u32_e32 v13, 29, v13
	v_and_b32_e32 v14, 7, v14
	v_cmp_eq_u16_e32 vcc, 0, v12
	v_cndmask_b32_e32 v11, v11, v14, vcc
	v_cndmask_b32_e32 v12, v12, v13, vcc
	v_lshlrev_b32_e32 v13, 24, v2
	v_mov_b32_e32 v14, 0x3b800000
	v_lshlrev_b32_e32 v11, 20, v11
	v_and_b32_e32 v13, 0x80000000, v13
	v_lshl_add_u32 v12, v12, 23, v14
	v_or3_b32 v11, v13, v12, v11
.LBB52_392:
	s_or_b64 exec, exec, s[6:7]
	s_nop 0
	v_mfma_f32_16x16x4f32 a[0:3], v10, v11, a[0:3]
	v_lshrrev_b32_e32 v11, 8, v6
	s_movk_i32 s4, 0x7f
	v_cmp_gt_i16_sdwa s[6:7], v11, s4 src0_sel:BYTE_0 src1_sel:DWORD
	s_mov_b64 s[4:5], 0
                                        ; implicit-def: $sgpr10
	s_and_saveexec_b64 s[8:9], s[6:7]
	s_xor_b64 s[6:7], exec, s[8:9]
	s_cbranch_execnz .LBB52_2441
; %bb.393:
	s_or_saveexec_b64 s[6:7], s[6:7]
	v_mov_b32_e32 v10, s10
	s_xor_b64 exec, exec, s[6:7]
	s_cbranch_execnz .LBB52_2444
.LBB52_394:
	s_or_b64 exec, exec, s[6:7]
	s_and_saveexec_b64 s[6:7], s[4:5]
	s_cbranch_execz .LBB52_396
.LBB52_395:
	v_bfe_u32 v10, v6, 8, 3
	v_ffbh_u32_e32 v13, v10
	v_min_u32_e32 v13, 32, v13
	v_lshrrev_b16_e32 v12, 3, v11
	v_subrev_u32_e32 v14, 28, v13
	v_and_b32_e32 v12, 15, v12
	v_lshlrev_b32_e32 v11, v14, v11
	v_sub_u32_e32 v13, 29, v13
	v_and_b32_e32 v11, 7, v11
	v_cmp_eq_u16_e32 vcc, 0, v12
	v_cndmask_b32_e32 v10, v10, v11, vcc
	v_cndmask_b32_e32 v11, v12, v13, vcc
	v_lshlrev_b32_e32 v12, 16, v6
	v_mov_b32_e32 v13, 0x3b800000
	v_lshlrev_b32_e32 v10, 20, v10
	v_and_b32_e32 v12, 0x80000000, v12
	v_lshl_add_u32 v11, v11, 23, v13
	v_or3_b32 v10, v12, v11, v10
.LBB52_396:
	s_or_b64 exec, exec, s[6:7]
	v_lshrrev_b32_e32 v11, 8, v2
	s_movk_i32 s4, 0x7f
	v_cmp_gt_i16_sdwa s[6:7], v11, s4 src0_sel:BYTE_0 src1_sel:DWORD
	s_mov_b64 s[4:5], 0
                                        ; implicit-def: $sgpr10
	s_and_saveexec_b64 s[8:9], s[6:7]
	s_xor_b64 s[6:7], exec, s[8:9]
	s_cbranch_execnz .LBB52_2445
; %bb.397:
	s_or_saveexec_b64 s[6:7], s[6:7]
	v_mov_b32_e32 v12, s10
	s_xor_b64 exec, exec, s[6:7]
	s_cbranch_execnz .LBB52_2448
.LBB52_398:
	s_or_b64 exec, exec, s[6:7]
	s_and_saveexec_b64 s[6:7], s[4:5]
	s_cbranch_execz .LBB52_400
.LBB52_399:
	v_bfe_u32 v12, v2, 8, 3
	v_ffbh_u32_e32 v14, v12
	v_min_u32_e32 v14, 32, v14
	v_lshrrev_b16_e32 v13, 3, v11
	v_subrev_u32_e32 v15, 28, v14
	v_and_b32_e32 v13, 15, v13
	v_lshlrev_b32_e32 v11, v15, v11
	v_sub_u32_e32 v14, 29, v14
	v_and_b32_e32 v11, 7, v11
	v_cmp_eq_u16_e32 vcc, 0, v13
	v_cndmask_b32_e32 v11, v12, v11, vcc
	v_cndmask_b32_e32 v12, v13, v14, vcc
	v_lshlrev_b32_e32 v13, 16, v2
	v_mov_b32_e32 v14, 0x3b800000
	v_lshlrev_b32_e32 v11, 20, v11
	v_and_b32_e32 v13, 0x80000000, v13
	v_lshl_add_u32 v12, v12, 23, v14
	v_or3_b32 v12, v13, v12, v11
.LBB52_400:
	s_or_b64 exec, exec, s[6:7]
	s_nop 0
	v_mfma_f32_16x16x4f32 a[0:3], v10, v12, a[0:3]
	s_movk_i32 s4, 0xff
	v_and_b32_sdwa v11, v6, s4 dst_sel:DWORD dst_unused:UNUSED_PAD src0_sel:WORD_1 src1_sel:DWORD
	s_movk_i32 s4, 0x7f
	v_cmp_lt_i16_e32 vcc, s4, v11
	s_mov_b64 s[4:5], 0
                                        ; implicit-def: $sgpr10
	s_and_saveexec_b64 s[6:7], vcc
	s_xor_b64 s[6:7], exec, s[6:7]
	s_cbranch_execnz .LBB52_2449
; %bb.401:
	s_or_saveexec_b64 s[6:7], s[6:7]
	v_mov_b32_e32 v10, s10
	s_xor_b64 exec, exec, s[6:7]
	s_cbranch_execnz .LBB52_2452
.LBB52_402:
	s_or_b64 exec, exec, s[6:7]
	s_and_saveexec_b64 s[6:7], s[4:5]
	s_cbranch_execz .LBB52_404
.LBB52_403:
	v_bfe_u32 v10, v6, 16, 3
	v_ffbh_u32_e32 v13, v10
	v_min_u32_e32 v13, 32, v13
	v_lshrrev_b32_e32 v11, 19, v6
	v_subrev_u32_e32 v14, 28, v13
	v_and_b32_e32 v11, 15, v11
	v_lshlrev_b32_sdwa v14, v14, v6 dst_sel:DWORD dst_unused:UNUSED_PAD src0_sel:DWORD src1_sel:WORD_1
	v_bfe_u32 v12, v6, 19, 4
	v_sub_u32_e32 v13, 29, v13
	v_and_b32_e32 v14, 7, v14
	v_cmp_eq_u16_e32 vcc, 0, v11
	v_cndmask_b32_e32 v10, v10, v14, vcc
	v_cndmask_b32_e32 v11, v12, v13, vcc
	v_lshlrev_b32_e32 v12, 8, v6
	v_mov_b32_e32 v13, 0x3b800000
	v_lshlrev_b32_e32 v10, 20, v10
	v_and_b32_e32 v12, 0x80000000, v12
	v_lshl_add_u32 v11, v11, 23, v13
	v_or3_b32 v10, v12, v11, v10
.LBB52_404:
	s_or_b64 exec, exec, s[6:7]
	s_movk_i32 s4, 0xff
	v_and_b32_sdwa v11, v2, s4 dst_sel:DWORD dst_unused:UNUSED_PAD src0_sel:WORD_1 src1_sel:DWORD
	s_movk_i32 s4, 0x7f
	v_cmp_lt_i16_e32 vcc, s4, v11
	s_mov_b64 s[4:5], 0
                                        ; implicit-def: $sgpr10
	s_and_saveexec_b64 s[6:7], vcc
	s_xor_b64 s[6:7], exec, s[6:7]
	s_cbranch_execnz .LBB52_2453
; %bb.405:
	s_or_saveexec_b64 s[6:7], s[6:7]
	v_mov_b32_e32 v12, s10
	s_xor_b64 exec, exec, s[6:7]
	s_cbranch_execnz .LBB52_2456
.LBB52_406:
	s_or_b64 exec, exec, s[6:7]
	s_and_saveexec_b64 s[6:7], s[4:5]
	s_cbranch_execz .LBB52_408
.LBB52_407:
	v_bfe_u32 v11, v2, 16, 3
	v_ffbh_u32_e32 v14, v11
	v_min_u32_e32 v14, 32, v14
	v_lshrrev_b32_e32 v12, 19, v2
	v_subrev_u32_e32 v15, 28, v14
	v_and_b32_e32 v12, 15, v12
	v_lshlrev_b32_sdwa v15, v15, v2 dst_sel:DWORD dst_unused:UNUSED_PAD src0_sel:DWORD src1_sel:WORD_1
	v_bfe_u32 v13, v2, 19, 4
	v_sub_u32_e32 v14, 29, v14
	v_and_b32_e32 v15, 7, v15
	v_cmp_eq_u16_e32 vcc, 0, v12
	v_cndmask_b32_e32 v11, v11, v15, vcc
	v_cndmask_b32_e32 v12, v13, v14, vcc
	v_lshlrev_b32_e32 v13, 8, v2
	v_mov_b32_e32 v14, 0x3b800000
	v_lshlrev_b32_e32 v11, 20, v11
	v_and_b32_e32 v13, 0x80000000, v13
	v_lshl_add_u32 v12, v12, 23, v14
	v_or3_b32 v12, v13, v12, v11
.LBB52_408:
	s_or_b64 exec, exec, s[6:7]
	s_nop 0
	v_mfma_f32_16x16x4f32 a[0:3], v10, v12, a[0:3]
	s_movk_i32 s4, 0x7f
	v_cmp_gt_i16_sdwa s[6:7], v6, s4 src0_sel:BYTE_3 src1_sel:DWORD
	s_mov_b64 s[4:5], 0
                                        ; implicit-def: $sgpr10
	s_and_saveexec_b64 s[8:9], s[6:7]
	s_xor_b64 s[6:7], exec, s[8:9]
	s_cbranch_execnz .LBB52_2457
; %bb.409:
	s_or_saveexec_b64 s[6:7], s[6:7]
	v_mov_b32_e32 v10, s10
	s_xor_b64 exec, exec, s[6:7]
	s_cbranch_execnz .LBB52_2460
.LBB52_410:
	s_or_b64 exec, exec, s[6:7]
	s_and_saveexec_b64 s[6:7], s[4:5]
	s_cbranch_execz .LBB52_412
.LBB52_411:
	v_bfe_u32 v10, v6, 24, 3
	v_ffbh_u32_e32 v14, v10
	v_min_u32_e32 v14, 32, v14
	v_lshrrev_b32_e32 v12, 27, v6
	v_subrev_u32_e32 v15, 28, v14
	v_and_b32_e32 v11, 0x80000000, v6
	v_and_b32_e32 v12, 15, v12
	v_bfe_u32 v13, v6, 27, 4
	v_lshlrev_b32_sdwa v6, v15, v6 dst_sel:DWORD dst_unused:UNUSED_PAD src0_sel:DWORD src1_sel:BYTE_3
	v_sub_u32_e32 v14, 29, v14
	v_and_b32_e32 v6, 7, v6
	v_cmp_eq_u16_e32 vcc, 0, v12
	v_cndmask_b32_e32 v6, v10, v6, vcc
	v_cndmask_b32_e32 v10, v13, v14, vcc
	v_mov_b32_e32 v12, 0x3b800000
	v_lshlrev_b32_e32 v6, 20, v6
	v_lshl_add_u32 v10, v10, 23, v12
	v_or3_b32 v10, v11, v10, v6
.LBB52_412:
	s_or_b64 exec, exec, s[6:7]
	s_movk_i32 s4, 0x7f
	v_cmp_gt_i16_sdwa s[6:7], v2, s4 src0_sel:BYTE_3 src1_sel:DWORD
	s_mov_b64 s[4:5], 0
                                        ; implicit-def: $sgpr10
	s_and_saveexec_b64 s[8:9], s[6:7]
	s_xor_b64 s[6:7], exec, s[8:9]
	s_cbranch_execnz .LBB52_2461
; %bb.413:
	s_or_saveexec_b64 s[6:7], s[6:7]
	v_mov_b32_e32 v6, s10
	s_xor_b64 exec, exec, s[6:7]
	s_cbranch_execnz .LBB52_2464
.LBB52_414:
	s_or_b64 exec, exec, s[6:7]
	s_and_saveexec_b64 s[6:7], s[4:5]
	s_cbranch_execz .LBB52_416
.LBB52_415:
	v_bfe_u32 v6, v2, 24, 3
	v_ffbh_u32_e32 v14, v6
	v_min_u32_e32 v14, 32, v14
	v_lshrrev_b32_e32 v12, 27, v2
	v_subrev_u32_e32 v15, 28, v14
	v_and_b32_e32 v11, 0x80000000, v2
	v_and_b32_e32 v12, 15, v12
	v_bfe_u32 v13, v2, 27, 4
	v_lshlrev_b32_sdwa v2, v15, v2 dst_sel:DWORD dst_unused:UNUSED_PAD src0_sel:DWORD src1_sel:BYTE_3
	v_sub_u32_e32 v14, 29, v14
	v_and_b32_e32 v2, 7, v2
	v_cmp_eq_u16_e32 vcc, 0, v12
	v_cndmask_b32_e32 v2, v6, v2, vcc
	v_cndmask_b32_e32 v6, v13, v14, vcc
	v_mov_b32_e32 v12, 0x3b800000
	v_lshlrev_b32_e32 v2, 20, v2
	v_lshl_add_u32 v6, v6, 23, v12
	v_or3_b32 v6, v11, v6, v2
.LBB52_416:
	s_or_b64 exec, exec, s[6:7]
	s_nop 0
	v_mfma_f32_16x16x4f32 a[0:3], v10, v6, a[0:3]
	s_movk_i32 s4, 0x7f
	v_cmp_gt_i16_sdwa s[6:7], v7, s4 src0_sel:BYTE_0 src1_sel:DWORD
	s_mov_b64 s[4:5], 0
                                        ; implicit-def: $sgpr10
	s_and_saveexec_b64 s[8:9], s[6:7]
	s_xor_b64 s[6:7], exec, s[8:9]
	s_cbranch_execnz .LBB52_2465
; %bb.417:
	s_or_saveexec_b64 s[6:7], s[6:7]
	v_mov_b32_e32 v2, s10
	s_xor_b64 exec, exec, s[6:7]
	s_cbranch_execnz .LBB52_2468
.LBB52_418:
	s_or_b64 exec, exec, s[6:7]
	s_and_saveexec_b64 s[6:7], s[4:5]
	s_cbranch_execz .LBB52_420
.LBB52_419:
	v_and_b32_e32 v2, 7, v7
	v_ffbh_u32_e32 v10, v2
	v_min_u32_e32 v10, 32, v10
	v_lshrrev_b16_e32 v6, 3, v7
	v_subrev_u32_e32 v11, 28, v10
	v_and_b32_e32 v6, 15, v6
	v_lshlrev_b32_e32 v11, v11, v7
	v_sub_u32_e32 v10, 29, v10
	v_and_b32_e32 v11, 7, v11
	v_cmp_eq_u16_e32 vcc, 0, v6
	v_cndmask_b32_e32 v2, v2, v11, vcc
	v_cndmask_b32_e32 v6, v6, v10, vcc
	v_lshlrev_b32_e32 v10, 24, v7
	v_mov_b32_e32 v11, 0x3b800000
	v_lshlrev_b32_e32 v2, 20, v2
	v_and_b32_e32 v10, 0x80000000, v10
	v_lshl_add_u32 v6, v6, 23, v11
	v_or3_b32 v2, v10, v6, v2
.LBB52_420:
	s_or_b64 exec, exec, s[6:7]
	s_movk_i32 s4, 0x7f
	v_cmp_gt_i16_sdwa s[6:7], v3, s4 src0_sel:BYTE_0 src1_sel:DWORD
	s_mov_b64 s[4:5], 0
                                        ; implicit-def: $sgpr10
	s_and_saveexec_b64 s[8:9], s[6:7]
	s_xor_b64 s[6:7], exec, s[8:9]
	s_cbranch_execnz .LBB52_2469
; %bb.421:
	s_or_saveexec_b64 s[6:7], s[6:7]
	v_mov_b32_e32 v6, s10
	s_xor_b64 exec, exec, s[6:7]
	s_cbranch_execnz .LBB52_2472
.LBB52_422:
	s_or_b64 exec, exec, s[6:7]
	s_and_saveexec_b64 s[6:7], s[4:5]
	s_cbranch_execz .LBB52_424
.LBB52_423:
	v_and_b32_e32 v6, 7, v3
	v_ffbh_u32_e32 v11, v6
	v_min_u32_e32 v11, 32, v11
	v_lshrrev_b16_e32 v10, 3, v3
	v_subrev_u32_e32 v12, 28, v11
	v_and_b32_e32 v10, 15, v10
	v_lshlrev_b32_e32 v12, v12, v3
	v_sub_u32_e32 v11, 29, v11
	v_and_b32_e32 v12, 7, v12
	v_cmp_eq_u16_e32 vcc, 0, v10
	v_cndmask_b32_e32 v6, v6, v12, vcc
	v_cndmask_b32_e32 v10, v10, v11, vcc
	v_lshlrev_b32_e32 v11, 24, v3
	v_mov_b32_e32 v12, 0x3b800000
	v_lshlrev_b32_e32 v6, 20, v6
	v_and_b32_e32 v11, 0x80000000, v11
	v_lshl_add_u32 v10, v10, 23, v12
	v_or3_b32 v6, v11, v10, v6
.LBB52_424:
	s_or_b64 exec, exec, s[6:7]
	s_nop 0
	v_mfma_f32_16x16x4f32 a[0:3], v2, v6, a[0:3]
	v_lshrrev_b32_e32 v6, 8, v7
	s_movk_i32 s4, 0x7f
	v_cmp_gt_i16_sdwa s[6:7], v6, s4 src0_sel:BYTE_0 src1_sel:DWORD
	s_mov_b64 s[4:5], 0
                                        ; implicit-def: $sgpr10
	s_and_saveexec_b64 s[8:9], s[6:7]
	s_xor_b64 s[6:7], exec, s[8:9]
	s_cbranch_execnz .LBB52_2473
; %bb.425:
	s_or_saveexec_b64 s[6:7], s[6:7]
	v_mov_b32_e32 v2, s10
	s_xor_b64 exec, exec, s[6:7]
	s_cbranch_execnz .LBB52_2476
.LBB52_426:
	s_or_b64 exec, exec, s[6:7]
	s_and_saveexec_b64 s[6:7], s[4:5]
	s_cbranch_execz .LBB52_428
.LBB52_427:
	v_bfe_u32 v2, v7, 8, 3
	v_ffbh_u32_e32 v11, v2
	v_min_u32_e32 v11, 32, v11
	v_lshrrev_b16_e32 v10, 3, v6
	v_subrev_u32_e32 v12, 28, v11
	v_and_b32_e32 v10, 15, v10
	v_lshlrev_b32_e32 v6, v12, v6
	v_sub_u32_e32 v11, 29, v11
	v_and_b32_e32 v6, 7, v6
	v_cmp_eq_u16_e32 vcc, 0, v10
	v_cndmask_b32_e32 v2, v2, v6, vcc
	v_cndmask_b32_e32 v6, v10, v11, vcc
	v_lshlrev_b32_e32 v10, 16, v7
	v_mov_b32_e32 v11, 0x3b800000
	v_lshlrev_b32_e32 v2, 20, v2
	v_and_b32_e32 v10, 0x80000000, v10
	v_lshl_add_u32 v6, v6, 23, v11
	v_or3_b32 v2, v10, v6, v2
.LBB52_428:
	s_or_b64 exec, exec, s[6:7]
	v_lshrrev_b32_e32 v6, 8, v3
	s_movk_i32 s4, 0x7f
	v_cmp_gt_i16_sdwa s[6:7], v6, s4 src0_sel:BYTE_0 src1_sel:DWORD
	s_mov_b64 s[4:5], 0
                                        ; implicit-def: $sgpr10
	s_and_saveexec_b64 s[8:9], s[6:7]
	s_xor_b64 s[6:7], exec, s[8:9]
	s_cbranch_execnz .LBB52_2477
; %bb.429:
	s_or_saveexec_b64 s[6:7], s[6:7]
	v_mov_b32_e32 v10, s10
	s_xor_b64 exec, exec, s[6:7]
	s_cbranch_execnz .LBB52_2480
.LBB52_430:
	s_or_b64 exec, exec, s[6:7]
	s_and_saveexec_b64 s[6:7], s[4:5]
	s_cbranch_execz .LBB52_432
.LBB52_431:
	v_bfe_u32 v10, v3, 8, 3
	v_ffbh_u32_e32 v12, v10
	v_min_u32_e32 v12, 32, v12
	v_lshrrev_b16_e32 v11, 3, v6
	v_subrev_u32_e32 v13, 28, v12
	v_and_b32_e32 v11, 15, v11
	v_lshlrev_b32_e32 v6, v13, v6
	v_sub_u32_e32 v12, 29, v12
	v_and_b32_e32 v6, 7, v6
	v_cmp_eq_u16_e32 vcc, 0, v11
	v_cndmask_b32_e32 v6, v10, v6, vcc
	v_cndmask_b32_e32 v10, v11, v12, vcc
	v_lshlrev_b32_e32 v11, 16, v3
	v_mov_b32_e32 v12, 0x3b800000
	v_lshlrev_b32_e32 v6, 20, v6
	v_and_b32_e32 v11, 0x80000000, v11
	v_lshl_add_u32 v10, v10, 23, v12
	v_or3_b32 v10, v11, v10, v6
.LBB52_432:
	s_or_b64 exec, exec, s[6:7]
	s_nop 0
	v_mfma_f32_16x16x4f32 a[0:3], v2, v10, a[0:3]
	s_movk_i32 s4, 0xff
	v_and_b32_sdwa v6, v7, s4 dst_sel:DWORD dst_unused:UNUSED_PAD src0_sel:WORD_1 src1_sel:DWORD
	s_movk_i32 s4, 0x7f
	v_cmp_lt_i16_e32 vcc, s4, v6
	s_mov_b64 s[4:5], 0
                                        ; implicit-def: $sgpr10
	s_and_saveexec_b64 s[6:7], vcc
	s_xor_b64 s[6:7], exec, s[6:7]
	s_cbranch_execnz .LBB52_2481
; %bb.433:
	s_or_saveexec_b64 s[6:7], s[6:7]
	v_mov_b32_e32 v2, s10
	s_xor_b64 exec, exec, s[6:7]
	s_cbranch_execnz .LBB52_2484
.LBB52_434:
	s_or_b64 exec, exec, s[6:7]
	s_and_saveexec_b64 s[6:7], s[4:5]
	s_cbranch_execz .LBB52_436
.LBB52_435:
	v_bfe_u32 v2, v7, 16, 3
	v_ffbh_u32_e32 v11, v2
	v_min_u32_e32 v11, 32, v11
	v_lshrrev_b32_e32 v6, 19, v7
	v_subrev_u32_e32 v12, 28, v11
	v_and_b32_e32 v6, 15, v6
	v_lshlrev_b32_sdwa v12, v12, v7 dst_sel:DWORD dst_unused:UNUSED_PAD src0_sel:DWORD src1_sel:WORD_1
	v_bfe_u32 v10, v7, 19, 4
	v_sub_u32_e32 v11, 29, v11
	v_and_b32_e32 v12, 7, v12
	v_cmp_eq_u16_e32 vcc, 0, v6
	v_cndmask_b32_e32 v2, v2, v12, vcc
	v_cndmask_b32_e32 v6, v10, v11, vcc
	v_lshlrev_b32_e32 v10, 8, v7
	v_mov_b32_e32 v11, 0x3b800000
	v_lshlrev_b32_e32 v2, 20, v2
	v_and_b32_e32 v10, 0x80000000, v10
	v_lshl_add_u32 v6, v6, 23, v11
	v_or3_b32 v2, v10, v6, v2
.LBB52_436:
	s_or_b64 exec, exec, s[6:7]
	s_movk_i32 s4, 0xff
	v_and_b32_sdwa v6, v3, s4 dst_sel:DWORD dst_unused:UNUSED_PAD src0_sel:WORD_1 src1_sel:DWORD
	s_movk_i32 s4, 0x7f
	v_cmp_lt_i16_e32 vcc, s4, v6
	s_mov_b64 s[4:5], 0
                                        ; implicit-def: $sgpr10
	s_and_saveexec_b64 s[6:7], vcc
	s_xor_b64 s[6:7], exec, s[6:7]
	s_cbranch_execnz .LBB52_2485
; %bb.437:
	s_or_saveexec_b64 s[6:7], s[6:7]
	v_mov_b32_e32 v10, s10
	s_xor_b64 exec, exec, s[6:7]
	s_cbranch_execnz .LBB52_2488
.LBB52_438:
	s_or_b64 exec, exec, s[6:7]
	s_and_saveexec_b64 s[6:7], s[4:5]
	s_cbranch_execz .LBB52_440
.LBB52_439:
	v_bfe_u32 v6, v3, 16, 3
	v_ffbh_u32_e32 v12, v6
	v_min_u32_e32 v12, 32, v12
	v_lshrrev_b32_e32 v10, 19, v3
	v_subrev_u32_e32 v13, 28, v12
	v_and_b32_e32 v10, 15, v10
	v_lshlrev_b32_sdwa v13, v13, v3 dst_sel:DWORD dst_unused:UNUSED_PAD src0_sel:DWORD src1_sel:WORD_1
	v_bfe_u32 v11, v3, 19, 4
	v_sub_u32_e32 v12, 29, v12
	v_and_b32_e32 v13, 7, v13
	v_cmp_eq_u16_e32 vcc, 0, v10
	v_cndmask_b32_e32 v6, v6, v13, vcc
	v_cndmask_b32_e32 v10, v11, v12, vcc
	v_lshlrev_b32_e32 v11, 8, v3
	v_mov_b32_e32 v12, 0x3b800000
	v_lshlrev_b32_e32 v6, 20, v6
	v_and_b32_e32 v11, 0x80000000, v11
	v_lshl_add_u32 v10, v10, 23, v12
	v_or3_b32 v10, v11, v10, v6
.LBB52_440:
	s_or_b64 exec, exec, s[6:7]
	s_nop 0
	v_mfma_f32_16x16x4f32 a[0:3], v2, v10, a[0:3]
	s_movk_i32 s4, 0x7f
	v_cmp_gt_i16_sdwa s[6:7], v7, s4 src0_sel:BYTE_3 src1_sel:DWORD
	s_mov_b64 s[4:5], 0
                                        ; implicit-def: $sgpr10
	s_and_saveexec_b64 s[8:9], s[6:7]
	s_xor_b64 s[6:7], exec, s[8:9]
	s_cbranch_execnz .LBB52_2489
; %bb.441:
	s_or_saveexec_b64 s[6:7], s[6:7]
	v_mov_b32_e32 v2, s10
	s_xor_b64 exec, exec, s[6:7]
	s_cbranch_execnz .LBB52_2492
.LBB52_442:
	s_or_b64 exec, exec, s[6:7]
	s_and_saveexec_b64 s[6:7], s[4:5]
	s_cbranch_execz .LBB52_444
.LBB52_443:
	v_bfe_u32 v2, v7, 24, 3
	v_ffbh_u32_e32 v12, v2
	v_min_u32_e32 v12, 32, v12
	v_lshrrev_b32_e32 v10, 27, v7
	v_subrev_u32_e32 v13, 28, v12
	v_and_b32_e32 v6, 0x80000000, v7
	v_and_b32_e32 v10, 15, v10
	v_bfe_u32 v11, v7, 27, 4
	v_lshlrev_b32_sdwa v7, v13, v7 dst_sel:DWORD dst_unused:UNUSED_PAD src0_sel:DWORD src1_sel:BYTE_3
	v_sub_u32_e32 v12, 29, v12
	v_and_b32_e32 v7, 7, v7
	v_cmp_eq_u16_e32 vcc, 0, v10
	v_cndmask_b32_e32 v2, v2, v7, vcc
	v_cndmask_b32_e32 v7, v11, v12, vcc
	v_mov_b32_e32 v10, 0x3b800000
	v_lshlrev_b32_e32 v2, 20, v2
	v_lshl_add_u32 v7, v7, 23, v10
	v_or3_b32 v2, v6, v7, v2
.LBB52_444:
	s_or_b64 exec, exec, s[6:7]
	s_movk_i32 s4, 0x7f
	v_cmp_gt_i16_sdwa s[6:7], v3, s4 src0_sel:BYTE_3 src1_sel:DWORD
	s_mov_b64 s[4:5], 0
                                        ; implicit-def: $sgpr10
	s_and_saveexec_b64 s[8:9], s[6:7]
	s_xor_b64 s[6:7], exec, s[8:9]
	s_cbranch_execnz .LBB52_2493
; %bb.445:
	s_or_saveexec_b64 s[6:7], s[6:7]
	v_mov_b32_e32 v6, s10
	s_xor_b64 exec, exec, s[6:7]
	s_cbranch_execnz .LBB52_2496
.LBB52_446:
	s_or_b64 exec, exec, s[6:7]
	s_and_saveexec_b64 s[6:7], s[4:5]
	s_cbranch_execz .LBB52_448
.LBB52_447:
	v_bfe_u32 v6, v3, 24, 3
	v_ffbh_u32_e32 v12, v6
	v_min_u32_e32 v12, 32, v12
	v_lshrrev_b32_e32 v10, 27, v3
	v_subrev_u32_e32 v13, 28, v12
	v_and_b32_e32 v7, 0x80000000, v3
	v_and_b32_e32 v10, 15, v10
	v_bfe_u32 v11, v3, 27, 4
	v_lshlrev_b32_sdwa v3, v13, v3 dst_sel:DWORD dst_unused:UNUSED_PAD src0_sel:DWORD src1_sel:BYTE_3
	v_sub_u32_e32 v12, 29, v12
	v_and_b32_e32 v3, 7, v3
	v_cmp_eq_u16_e32 vcc, 0, v10
	v_cndmask_b32_e32 v3, v6, v3, vcc
	v_cndmask_b32_e32 v6, v11, v12, vcc
	v_mov_b32_e32 v10, 0x3b800000
	v_lshlrev_b32_e32 v3, 20, v3
	v_lshl_add_u32 v6, v6, 23, v10
	v_or3_b32 v6, v7, v6, v3
.LBB52_448:
	s_or_b64 exec, exec, s[6:7]
	s_nop 0
	v_mfma_f32_16x16x4f32 a[0:3], v2, v6, a[0:3]
	s_movk_i32 s4, 0x7f
	v_cmp_gt_i16_sdwa s[6:7], v8, s4 src0_sel:BYTE_0 src1_sel:DWORD
	s_mov_b64 s[4:5], 0
                                        ; implicit-def: $sgpr10
	s_and_saveexec_b64 s[8:9], s[6:7]
	s_xor_b64 s[6:7], exec, s[8:9]
	s_cbranch_execnz .LBB52_2497
; %bb.449:
	s_or_saveexec_b64 s[6:7], s[6:7]
	v_mov_b32_e32 v2, s10
	s_xor_b64 exec, exec, s[6:7]
	s_cbranch_execnz .LBB52_2500
.LBB52_450:
	s_or_b64 exec, exec, s[6:7]
	s_and_saveexec_b64 s[6:7], s[4:5]
	s_cbranch_execz .LBB52_452
.LBB52_451:
	v_and_b32_e32 v2, 7, v8
	v_ffbh_u32_e32 v6, v2
	v_min_u32_e32 v6, 32, v6
	v_lshrrev_b16_e32 v3, 3, v8
	v_subrev_u32_e32 v7, 28, v6
	v_and_b32_e32 v3, 15, v3
	v_lshlrev_b32_e32 v7, v7, v8
	v_sub_u32_e32 v6, 29, v6
	v_and_b32_e32 v7, 7, v7
	v_cmp_eq_u16_e32 vcc, 0, v3
	v_cndmask_b32_e32 v2, v2, v7, vcc
	v_cndmask_b32_e32 v3, v3, v6, vcc
	v_lshlrev_b32_e32 v6, 24, v8
	v_mov_b32_e32 v7, 0x3b800000
	v_lshlrev_b32_e32 v2, 20, v2
	v_and_b32_e32 v6, 0x80000000, v6
	v_lshl_add_u32 v3, v3, 23, v7
	v_or3_b32 v2, v6, v3, v2
.LBB52_452:
	s_or_b64 exec, exec, s[6:7]
	s_movk_i32 s4, 0x7f
	v_cmp_gt_i16_sdwa s[6:7], v4, s4 src0_sel:BYTE_0 src1_sel:DWORD
	s_mov_b64 s[4:5], 0
                                        ; implicit-def: $sgpr10
	s_and_saveexec_b64 s[8:9], s[6:7]
	s_xor_b64 s[6:7], exec, s[8:9]
	s_cbranch_execnz .LBB52_2501
; %bb.453:
	s_or_saveexec_b64 s[6:7], s[6:7]
	v_mov_b32_e32 v3, s10
	s_xor_b64 exec, exec, s[6:7]
	s_cbranch_execnz .LBB52_2504
.LBB52_454:
	s_or_b64 exec, exec, s[6:7]
	s_and_saveexec_b64 s[6:7], s[4:5]
	s_cbranch_execz .LBB52_456
.LBB52_455:
	v_and_b32_e32 v3, 7, v4
	v_ffbh_u32_e32 v7, v3
	v_min_u32_e32 v7, 32, v7
	v_lshrrev_b16_e32 v6, 3, v4
	v_subrev_u32_e32 v10, 28, v7
	v_and_b32_e32 v6, 15, v6
	v_lshlrev_b32_e32 v10, v10, v4
	v_sub_u32_e32 v7, 29, v7
	v_and_b32_e32 v10, 7, v10
	v_cmp_eq_u16_e32 vcc, 0, v6
	v_cndmask_b32_e32 v3, v3, v10, vcc
	v_cndmask_b32_e32 v6, v6, v7, vcc
	v_lshlrev_b32_e32 v7, 24, v4
	v_mov_b32_e32 v10, 0x3b800000
	v_lshlrev_b32_e32 v3, 20, v3
	v_and_b32_e32 v7, 0x80000000, v7
	v_lshl_add_u32 v6, v6, 23, v10
	v_or3_b32 v3, v7, v6, v3
.LBB52_456:
	s_or_b64 exec, exec, s[6:7]
	s_nop 0
	v_mfma_f32_16x16x4f32 a[0:3], v2, v3, a[0:3]
	v_lshrrev_b32_e32 v3, 8, v8
	s_movk_i32 s4, 0x7f
	v_cmp_gt_i16_sdwa s[6:7], v3, s4 src0_sel:BYTE_0 src1_sel:DWORD
	s_mov_b64 s[4:5], 0
                                        ; implicit-def: $sgpr10
	s_and_saveexec_b64 s[8:9], s[6:7]
	s_xor_b64 s[6:7], exec, s[8:9]
	s_cbranch_execnz .LBB52_2505
; %bb.457:
	s_or_saveexec_b64 s[6:7], s[6:7]
	v_mov_b32_e32 v2, s10
	s_xor_b64 exec, exec, s[6:7]
	s_cbranch_execnz .LBB52_2508
.LBB52_458:
	s_or_b64 exec, exec, s[6:7]
	s_and_saveexec_b64 s[6:7], s[4:5]
	s_cbranch_execz .LBB52_460
.LBB52_459:
	v_bfe_u32 v2, v8, 8, 3
	v_ffbh_u32_e32 v7, v2
	v_min_u32_e32 v7, 32, v7
	v_lshrrev_b16_e32 v6, 3, v3
	v_subrev_u32_e32 v10, 28, v7
	v_and_b32_e32 v6, 15, v6
	v_lshlrev_b32_e32 v3, v10, v3
	v_sub_u32_e32 v7, 29, v7
	v_and_b32_e32 v3, 7, v3
	v_cmp_eq_u16_e32 vcc, 0, v6
	v_cndmask_b32_e32 v2, v2, v3, vcc
	v_cndmask_b32_e32 v3, v6, v7, vcc
	v_lshlrev_b32_e32 v6, 16, v8
	v_mov_b32_e32 v7, 0x3b800000
	v_lshlrev_b32_e32 v2, 20, v2
	v_and_b32_e32 v6, 0x80000000, v6
	v_lshl_add_u32 v3, v3, 23, v7
	v_or3_b32 v2, v6, v3, v2
.LBB52_460:
	s_or_b64 exec, exec, s[6:7]
	v_lshrrev_b32_e32 v3, 8, v4
	s_movk_i32 s4, 0x7f
	v_cmp_gt_i16_sdwa s[6:7], v3, s4 src0_sel:BYTE_0 src1_sel:DWORD
	s_mov_b64 s[4:5], 0
                                        ; implicit-def: $sgpr10
	s_and_saveexec_b64 s[8:9], s[6:7]
	s_xor_b64 s[6:7], exec, s[8:9]
	s_cbranch_execnz .LBB52_2509
; %bb.461:
	s_or_saveexec_b64 s[6:7], s[6:7]
	v_mov_b32_e32 v6, s10
	s_xor_b64 exec, exec, s[6:7]
	s_cbranch_execnz .LBB52_2512
.LBB52_462:
	s_or_b64 exec, exec, s[6:7]
	s_and_saveexec_b64 s[6:7], s[4:5]
	s_cbranch_execz .LBB52_464
.LBB52_463:
	v_bfe_u32 v6, v4, 8, 3
	v_ffbh_u32_e32 v10, v6
	v_min_u32_e32 v10, 32, v10
	v_lshrrev_b16_e32 v7, 3, v3
	v_subrev_u32_e32 v11, 28, v10
	v_and_b32_e32 v7, 15, v7
	v_lshlrev_b32_e32 v3, v11, v3
	v_sub_u32_e32 v10, 29, v10
	v_and_b32_e32 v3, 7, v3
	v_cmp_eq_u16_e32 vcc, 0, v7
	v_cndmask_b32_e32 v3, v6, v3, vcc
	v_cndmask_b32_e32 v6, v7, v10, vcc
	v_lshlrev_b32_e32 v7, 16, v4
	v_mov_b32_e32 v10, 0x3b800000
	v_lshlrev_b32_e32 v3, 20, v3
	v_and_b32_e32 v7, 0x80000000, v7
	v_lshl_add_u32 v6, v6, 23, v10
	v_or3_b32 v6, v7, v6, v3
.LBB52_464:
	s_or_b64 exec, exec, s[6:7]
	s_nop 0
	v_mfma_f32_16x16x4f32 a[0:3], v2, v6, a[0:3]
	s_movk_i32 s4, 0xff
	v_and_b32_sdwa v3, v8, s4 dst_sel:DWORD dst_unused:UNUSED_PAD src0_sel:WORD_1 src1_sel:DWORD
	s_movk_i32 s4, 0x7f
	v_cmp_lt_i16_e32 vcc, s4, v3
	s_mov_b64 s[4:5], 0
                                        ; implicit-def: $sgpr10
	s_and_saveexec_b64 s[6:7], vcc
	s_xor_b64 s[6:7], exec, s[6:7]
	s_cbranch_execnz .LBB52_2513
; %bb.465:
	s_or_saveexec_b64 s[6:7], s[6:7]
	v_mov_b32_e32 v2, s10
	s_xor_b64 exec, exec, s[6:7]
	s_cbranch_execnz .LBB52_2516
.LBB52_466:
	s_or_b64 exec, exec, s[6:7]
	s_and_saveexec_b64 s[6:7], s[4:5]
	s_cbranch_execz .LBB52_468
.LBB52_467:
	v_bfe_u32 v2, v8, 16, 3
	v_ffbh_u32_e32 v7, v2
	v_min_u32_e32 v7, 32, v7
	v_lshrrev_b32_e32 v3, 19, v8
	v_subrev_u32_e32 v10, 28, v7
	v_and_b32_e32 v3, 15, v3
	v_lshlrev_b32_sdwa v10, v10, v8 dst_sel:DWORD dst_unused:UNUSED_PAD src0_sel:DWORD src1_sel:WORD_1
	v_bfe_u32 v6, v8, 19, 4
	v_sub_u32_e32 v7, 29, v7
	v_and_b32_e32 v10, 7, v10
	v_cmp_eq_u16_e32 vcc, 0, v3
	v_cndmask_b32_e32 v2, v2, v10, vcc
	v_cndmask_b32_e32 v3, v6, v7, vcc
	v_lshlrev_b32_e32 v6, 8, v8
	v_mov_b32_e32 v7, 0x3b800000
	v_lshlrev_b32_e32 v2, 20, v2
	v_and_b32_e32 v6, 0x80000000, v6
	v_lshl_add_u32 v3, v3, 23, v7
	v_or3_b32 v2, v6, v3, v2
.LBB52_468:
	s_or_b64 exec, exec, s[6:7]
	s_movk_i32 s4, 0xff
	v_and_b32_sdwa v3, v4, s4 dst_sel:DWORD dst_unused:UNUSED_PAD src0_sel:WORD_1 src1_sel:DWORD
	s_movk_i32 s4, 0x7f
	v_cmp_lt_i16_e32 vcc, s4, v3
	s_mov_b64 s[4:5], 0
                                        ; implicit-def: $sgpr10
	s_and_saveexec_b64 s[6:7], vcc
	s_xor_b64 s[6:7], exec, s[6:7]
	s_cbranch_execnz .LBB52_2517
; %bb.469:
	s_or_saveexec_b64 s[6:7], s[6:7]
	v_mov_b32_e32 v6, s10
	s_xor_b64 exec, exec, s[6:7]
	s_cbranch_execnz .LBB52_2520
.LBB52_470:
	s_or_b64 exec, exec, s[6:7]
	s_and_saveexec_b64 s[6:7], s[4:5]
	s_cbranch_execz .LBB52_472
.LBB52_471:
	v_bfe_u32 v3, v4, 16, 3
	v_ffbh_u32_e32 v10, v3
	v_min_u32_e32 v10, 32, v10
	v_lshrrev_b32_e32 v6, 19, v4
	v_subrev_u32_e32 v11, 28, v10
	v_and_b32_e32 v6, 15, v6
	v_lshlrev_b32_sdwa v11, v11, v4 dst_sel:DWORD dst_unused:UNUSED_PAD src0_sel:DWORD src1_sel:WORD_1
	v_bfe_u32 v7, v4, 19, 4
	v_sub_u32_e32 v10, 29, v10
	v_and_b32_e32 v11, 7, v11
	v_cmp_eq_u16_e32 vcc, 0, v6
	v_cndmask_b32_e32 v3, v3, v11, vcc
	v_cndmask_b32_e32 v6, v7, v10, vcc
	v_lshlrev_b32_e32 v7, 8, v4
	v_mov_b32_e32 v10, 0x3b800000
	v_lshlrev_b32_e32 v3, 20, v3
	v_and_b32_e32 v7, 0x80000000, v7
	v_lshl_add_u32 v6, v6, 23, v10
	v_or3_b32 v6, v7, v6, v3
.LBB52_472:
	s_or_b64 exec, exec, s[6:7]
	s_nop 0
	v_mfma_f32_16x16x4f32 a[0:3], v2, v6, a[0:3]
	s_movk_i32 s4, 0x7f
	v_cmp_gt_i16_sdwa s[6:7], v8, s4 src0_sel:BYTE_3 src1_sel:DWORD
	s_mov_b64 s[4:5], 0
                                        ; implicit-def: $sgpr10
	s_and_saveexec_b64 s[8:9], s[6:7]
	s_xor_b64 s[6:7], exec, s[8:9]
	s_cbranch_execnz .LBB52_2521
; %bb.473:
	s_or_saveexec_b64 s[6:7], s[6:7]
	v_mov_b32_e32 v2, s10
	s_xor_b64 exec, exec, s[6:7]
	s_cbranch_execnz .LBB52_2524
.LBB52_474:
	s_or_b64 exec, exec, s[6:7]
	s_and_saveexec_b64 s[6:7], s[4:5]
	s_cbranch_execz .LBB52_476
.LBB52_475:
	v_bfe_u32 v2, v8, 24, 3
	v_ffbh_u32_e32 v10, v2
	v_min_u32_e32 v10, 32, v10
	v_lshrrev_b32_e32 v6, 27, v8
	v_subrev_u32_e32 v11, 28, v10
	v_and_b32_e32 v3, 0x80000000, v8
	v_and_b32_e32 v6, 15, v6
	v_bfe_u32 v7, v8, 27, 4
	v_lshlrev_b32_sdwa v8, v11, v8 dst_sel:DWORD dst_unused:UNUSED_PAD src0_sel:DWORD src1_sel:BYTE_3
	v_sub_u32_e32 v10, 29, v10
	v_and_b32_e32 v8, 7, v8
	v_cmp_eq_u16_e32 vcc, 0, v6
	v_cndmask_b32_e32 v2, v2, v8, vcc
	v_cndmask_b32_e32 v6, v7, v10, vcc
	v_mov_b32_e32 v7, 0x3b800000
	v_lshlrev_b32_e32 v2, 20, v2
	v_lshl_add_u32 v6, v6, 23, v7
	v_or3_b32 v2, v3, v6, v2
.LBB52_476:
	s_or_b64 exec, exec, s[6:7]
	s_movk_i32 s4, 0x7f
	v_cmp_gt_i16_sdwa s[6:7], v4, s4 src0_sel:BYTE_3 src1_sel:DWORD
	s_mov_b64 s[4:5], 0
                                        ; implicit-def: $sgpr10
	s_and_saveexec_b64 s[8:9], s[6:7]
	s_xor_b64 s[6:7], exec, s[8:9]
	s_cbranch_execnz .LBB52_2525
; %bb.477:
	s_or_saveexec_b64 s[6:7], s[6:7]
	v_mov_b32_e32 v3, s10
	s_xor_b64 exec, exec, s[6:7]
	s_cbranch_execnz .LBB52_2528
.LBB52_478:
	s_or_b64 exec, exec, s[6:7]
	s_and_saveexec_b64 s[6:7], s[4:5]
	s_cbranch_execz .LBB52_480
.LBB52_479:
	v_bfe_u32 v3, v4, 24, 3
	v_ffbh_u32_e32 v10, v3
	v_min_u32_e32 v10, 32, v10
	v_lshrrev_b32_e32 v7, 27, v4
	v_subrev_u32_e32 v11, 28, v10
	v_and_b32_e32 v6, 0x80000000, v4
	v_and_b32_e32 v7, 15, v7
	v_bfe_u32 v8, v4, 27, 4
	v_lshlrev_b32_sdwa v4, v11, v4 dst_sel:DWORD dst_unused:UNUSED_PAD src0_sel:DWORD src1_sel:BYTE_3
	v_sub_u32_e32 v10, 29, v10
	v_and_b32_e32 v4, 7, v4
	v_cmp_eq_u16_e32 vcc, 0, v7
	v_cndmask_b32_e32 v3, v3, v4, vcc
	v_cndmask_b32_e32 v4, v8, v10, vcc
	v_mov_b32_e32 v7, 0x3b800000
	v_lshlrev_b32_e32 v3, 20, v3
	v_lshl_add_u32 v4, v4, 23, v7
	v_or3_b32 v3, v6, v4, v3
.LBB52_480:
	s_or_b64 exec, exec, s[6:7]
	s_nop 0
	v_mfma_f32_16x16x4f32 a[0:3], v2, v3, a[0:3]
	s_movk_i32 s4, 0x7f
	v_cmp_gt_i16_sdwa s[6:7], v9, s4 src0_sel:BYTE_0 src1_sel:DWORD
	s_mov_b64 s[4:5], 0
                                        ; implicit-def: $sgpr10
	s_and_saveexec_b64 s[8:9], s[6:7]
	s_xor_b64 s[6:7], exec, s[8:9]
	s_cbranch_execnz .LBB52_2529
; %bb.481:
	s_or_saveexec_b64 s[6:7], s[6:7]
	v_mov_b32_e32 v2, s10
	s_xor_b64 exec, exec, s[6:7]
	s_cbranch_execnz .LBB52_2532
.LBB52_482:
	s_or_b64 exec, exec, s[6:7]
	s_and_saveexec_b64 s[6:7], s[4:5]
	s_cbranch_execz .LBB52_484
.LBB52_483:
	v_mov_b32_e32 v2, 8
	v_and_b32_e32 v3, 7, v9
	v_lshrrev_b32_sdwa v2, v2, v9 dst_sel:BYTE_1 dst_unused:UNUSED_PAD src0_sel:DWORD src1_sel:DWORD
	v_ffbh_u32_e32 v4, v3
	v_or_b32_sdwa v2, v9, v2 dst_sel:DWORD dst_unused:UNUSED_PAD src0_sel:BYTE_0 src1_sel:DWORD
	v_min_u32_e32 v4, 32, v4
	v_lshrrev_b16_e32 v2, 3, v2
	v_subrev_u32_e32 v6, 28, v4
	v_and_b32_e32 v2, 15, v2
	v_lshlrev_b32_e32 v6, v6, v9
	v_sub_u32_e32 v4, 29, v4
	v_and_b32_e32 v6, 7, v6
	v_cmp_eq_u16_e32 vcc, 0, v2
	v_cndmask_b32_e32 v3, v3, v6, vcc
	v_cndmask_b32_e32 v2, v2, v4, vcc
	v_lshlrev_b32_e32 v4, 24, v9
	v_mov_b32_e32 v6, 0x3b800000
	v_lshlrev_b32_e32 v3, 20, v3
	v_and_b32_e32 v4, 0x80000000, v4
	v_lshl_add_u32 v2, v2, 23, v6
	v_or3_b32 v2, v4, v2, v3
.LBB52_484:
	s_or_b64 exec, exec, s[6:7]
	s_movk_i32 s4, 0x7f
	v_cmp_gt_i16_sdwa s[6:7], v5, s4 src0_sel:BYTE_0 src1_sel:DWORD
	s_mov_b64 s[4:5], 0
                                        ; implicit-def: $sgpr10
	s_and_saveexec_b64 s[8:9], s[6:7]
	s_xor_b64 s[6:7], exec, s[8:9]
	s_cbranch_execnz .LBB52_2533
; %bb.485:
	s_or_saveexec_b64 s[6:7], s[6:7]
	v_mov_b32_e32 v3, s10
	s_xor_b64 exec, exec, s[6:7]
	s_cbranch_execnz .LBB52_2536
.LBB52_486:
	s_or_b64 exec, exec, s[6:7]
	s_and_saveexec_b64 s[6:7], s[4:5]
	s_cbranch_execz .LBB52_488
.LBB52_487:
	v_mov_b32_e32 v3, 8
	v_and_b32_e32 v4, 7, v5
	v_lshrrev_b32_sdwa v3, v3, v5 dst_sel:BYTE_1 dst_unused:UNUSED_PAD src0_sel:DWORD src1_sel:DWORD
	v_ffbh_u32_e32 v6, v4
	v_or_b32_sdwa v3, v5, v3 dst_sel:DWORD dst_unused:UNUSED_PAD src0_sel:BYTE_0 src1_sel:DWORD
	v_min_u32_e32 v6, 32, v6
	v_lshrrev_b16_e32 v3, 3, v3
	v_subrev_u32_e32 v7, 28, v6
	v_and_b32_e32 v3, 15, v3
	v_lshlrev_b32_e32 v7, v7, v5
	v_sub_u32_e32 v6, 29, v6
	v_and_b32_e32 v7, 7, v7
	v_cmp_eq_u16_e32 vcc, 0, v3
	v_cndmask_b32_e32 v4, v4, v7, vcc
	v_cndmask_b32_e32 v3, v3, v6, vcc
	v_lshlrev_b32_e32 v6, 24, v5
	v_mov_b32_e32 v7, 0x3b800000
	v_lshlrev_b32_e32 v4, 20, v4
	v_and_b32_e32 v6, 0x80000000, v6
	v_lshl_add_u32 v3, v3, 23, v7
	v_or3_b32 v3, v6, v3, v4
.LBB52_488:
	s_or_b64 exec, exec, s[6:7]
	s_nop 0
	v_mfma_f32_16x16x4f32 a[0:3], v2, v3, a[0:3]
	v_lshrrev_b32_e32 v3, 8, v9
	s_movk_i32 s4, 0x7f
	v_cmp_gt_i16_sdwa s[6:7], v3, s4 src0_sel:BYTE_0 src1_sel:DWORD
	s_mov_b64 s[4:5], 0
                                        ; implicit-def: $sgpr10
	s_and_saveexec_b64 s[8:9], s[6:7]
	s_xor_b64 s[6:7], exec, s[8:9]
	s_cbranch_execnz .LBB52_2537
; %bb.489:
	s_or_saveexec_b64 s[6:7], s[6:7]
	v_mov_b32_e32 v2, s10
	s_xor_b64 exec, exec, s[6:7]
	s_cbranch_execnz .LBB52_2540
.LBB52_490:
	s_or_b64 exec, exec, s[6:7]
	s_and_saveexec_b64 s[6:7], s[4:5]
	s_cbranch_execz .LBB52_492
.LBB52_491:
	v_bfe_u32 v2, v9, 8, 3
	v_ffbh_u32_e32 v6, v2
	v_min_u32_e32 v6, 32, v6
	v_lshrrev_b16_e32 v4, 3, v3
	v_subrev_u32_e32 v7, 28, v6
	v_and_b32_e32 v4, 15, v4
	v_lshlrev_b32_e32 v3, v7, v3
	v_sub_u32_e32 v6, 29, v6
	v_and_b32_e32 v3, 7, v3
	v_cmp_eq_u16_e32 vcc, 0, v4
	v_cndmask_b32_e32 v2, v2, v3, vcc
	v_cndmask_b32_e32 v3, v4, v6, vcc
	v_lshlrev_b32_e32 v4, 16, v9
	v_mov_b32_e32 v6, 0x3b800000
	v_lshlrev_b32_e32 v2, 20, v2
	v_and_b32_e32 v4, 0x80000000, v4
	v_lshl_add_u32 v3, v3, 23, v6
	v_or3_b32 v2, v4, v3, v2
.LBB52_492:
	s_or_b64 exec, exec, s[6:7]
	v_lshrrev_b32_e32 v3, 8, v5
	s_movk_i32 s4, 0x7f
	v_cmp_gt_i16_sdwa s[6:7], v3, s4 src0_sel:BYTE_0 src1_sel:DWORD
	s_mov_b64 s[4:5], 0
                                        ; implicit-def: $sgpr10
	s_and_saveexec_b64 s[8:9], s[6:7]
	s_xor_b64 s[6:7], exec, s[8:9]
	s_cbranch_execnz .LBB52_2541
; %bb.493:
	s_or_saveexec_b64 s[6:7], s[6:7]
	v_mov_b32_e32 v4, s10
	s_xor_b64 exec, exec, s[6:7]
	s_cbranch_execnz .LBB52_2544
.LBB52_494:
	s_or_b64 exec, exec, s[6:7]
	s_and_saveexec_b64 s[6:7], s[4:5]
	s_cbranch_execz .LBB52_496
.LBB52_495:
	v_bfe_u32 v4, v5, 8, 3
	v_ffbh_u32_e32 v7, v4
	v_min_u32_e32 v7, 32, v7
	v_lshrrev_b16_e32 v6, 3, v3
	v_subrev_u32_e32 v8, 28, v7
	v_and_b32_e32 v6, 15, v6
	v_lshlrev_b32_e32 v3, v8, v3
	v_sub_u32_e32 v7, 29, v7
	v_and_b32_e32 v3, 7, v3
	v_cmp_eq_u16_e32 vcc, 0, v6
	v_cndmask_b32_e32 v3, v4, v3, vcc
	v_cndmask_b32_e32 v4, v6, v7, vcc
	v_lshlrev_b32_e32 v6, 16, v5
	v_mov_b32_e32 v7, 0x3b800000
	v_lshlrev_b32_e32 v3, 20, v3
	v_and_b32_e32 v6, 0x80000000, v6
	v_lshl_add_u32 v4, v4, 23, v7
	v_or3_b32 v4, v6, v4, v3
.LBB52_496:
	s_or_b64 exec, exec, s[6:7]
	s_nop 0
	v_mfma_f32_16x16x4f32 a[0:3], v2, v4, a[0:3]
	s_movk_i32 s4, 0xff
	v_and_b32_sdwa v3, v9, s4 dst_sel:DWORD dst_unused:UNUSED_PAD src0_sel:WORD_1 src1_sel:DWORD
	s_movk_i32 s4, 0x7f
	v_cmp_lt_i16_e32 vcc, s4, v3
	s_mov_b64 s[4:5], 0
                                        ; implicit-def: $sgpr10
	s_and_saveexec_b64 s[6:7], vcc
	s_xor_b64 s[6:7], exec, s[6:7]
	s_cbranch_execnz .LBB52_2545
; %bb.497:
	s_or_saveexec_b64 s[6:7], s[6:7]
	v_mov_b32_e32 v2, s10
	s_xor_b64 exec, exec, s[6:7]
	s_cbranch_execnz .LBB52_2548
.LBB52_498:
	s_or_b64 exec, exec, s[6:7]
	s_and_saveexec_b64 s[6:7], s[4:5]
	s_cbranch_execz .LBB52_500
.LBB52_499:
	v_bfe_u32 v2, v9, 16, 3
	v_ffbh_u32_e32 v6, v2
	v_min_u32_e32 v6, 32, v6
	v_lshrrev_b32_e32 v3, 19, v9
	v_subrev_u32_e32 v7, 28, v6
	v_and_b32_e32 v3, 15, v3
	v_lshlrev_b32_sdwa v7, v7, v9 dst_sel:DWORD dst_unused:UNUSED_PAD src0_sel:DWORD src1_sel:WORD_1
	v_bfe_u32 v4, v9, 19, 4
	v_sub_u32_e32 v6, 29, v6
	v_and_b32_e32 v7, 7, v7
	v_cmp_eq_u16_e32 vcc, 0, v3
	v_cndmask_b32_e32 v2, v2, v7, vcc
	v_cndmask_b32_e32 v3, v4, v6, vcc
	v_lshlrev_b32_e32 v4, 8, v9
	v_mov_b32_e32 v6, 0x3b800000
	v_lshlrev_b32_e32 v2, 20, v2
	v_and_b32_e32 v4, 0x80000000, v4
	v_lshl_add_u32 v3, v3, 23, v6
	v_or3_b32 v2, v4, v3, v2
.LBB52_500:
	s_or_b64 exec, exec, s[6:7]
	s_movk_i32 s4, 0xff
	v_and_b32_sdwa v3, v5, s4 dst_sel:DWORD dst_unused:UNUSED_PAD src0_sel:WORD_1 src1_sel:DWORD
	s_movk_i32 s4, 0x7f
	v_cmp_lt_i16_e32 vcc, s4, v3
	s_mov_b64 s[4:5], 0
                                        ; implicit-def: $sgpr10
	s_and_saveexec_b64 s[6:7], vcc
	s_xor_b64 s[6:7], exec, s[6:7]
	s_cbranch_execnz .LBB52_2549
; %bb.501:
	s_or_saveexec_b64 s[6:7], s[6:7]
	v_mov_b32_e32 v4, s10
	s_xor_b64 exec, exec, s[6:7]
	s_cbranch_execnz .LBB52_2552
.LBB52_502:
	s_or_b64 exec, exec, s[6:7]
	s_and_saveexec_b64 s[6:7], s[4:5]
	s_cbranch_execz .LBB52_504
.LBB52_503:
	v_bfe_u32 v3, v5, 16, 3
	v_ffbh_u32_e32 v7, v3
	v_min_u32_e32 v7, 32, v7
	v_lshrrev_b32_e32 v4, 19, v5
	v_subrev_u32_e32 v8, 28, v7
	v_and_b32_e32 v4, 15, v4
	v_lshlrev_b32_sdwa v8, v8, v5 dst_sel:DWORD dst_unused:UNUSED_PAD src0_sel:DWORD src1_sel:WORD_1
	v_bfe_u32 v6, v5, 19, 4
	v_sub_u32_e32 v7, 29, v7
	v_and_b32_e32 v8, 7, v8
	v_cmp_eq_u16_e32 vcc, 0, v4
	v_cndmask_b32_e32 v3, v3, v8, vcc
	v_cndmask_b32_e32 v4, v6, v7, vcc
	v_lshlrev_b32_e32 v6, 8, v5
	v_mov_b32_e32 v7, 0x3b800000
	v_lshlrev_b32_e32 v3, 20, v3
	v_and_b32_e32 v6, 0x80000000, v6
	v_lshl_add_u32 v4, v4, 23, v7
	v_or3_b32 v4, v6, v4, v3
.LBB52_504:
	s_or_b64 exec, exec, s[6:7]
	s_nop 0
	v_mfma_f32_16x16x4f32 a[0:3], v2, v4, a[0:3]
	s_movk_i32 s4, 0x7f
	v_cmp_gt_i16_sdwa s[6:7], v9, s4 src0_sel:BYTE_3 src1_sel:DWORD
	s_mov_b64 s[4:5], 0
                                        ; implicit-def: $sgpr10
	s_and_saveexec_b64 s[8:9], s[6:7]
	s_xor_b64 s[6:7], exec, s[8:9]
	s_cbranch_execnz .LBB52_2553
; %bb.505:
	s_or_saveexec_b64 s[6:7], s[6:7]
	v_mov_b32_e32 v2, s10
	s_xor_b64 exec, exec, s[6:7]
	s_cbranch_execnz .LBB52_2556
.LBB52_506:
	s_or_b64 exec, exec, s[6:7]
	s_and_saveexec_b64 s[6:7], s[4:5]
	s_cbranch_execz .LBB52_508
.LBB52_507:
	v_bfe_u32 v2, v9, 24, 3
	v_ffbh_u32_e32 v7, v2
	v_min_u32_e32 v7, 32, v7
	v_lshrrev_b32_e32 v4, 27, v9
	v_subrev_u32_e32 v8, 28, v7
	v_and_b32_e32 v4, 15, v4
	v_lshlrev_b32_sdwa v8, v8, v9 dst_sel:DWORD dst_unused:UNUSED_PAD src0_sel:DWORD src1_sel:BYTE_3
	v_bfe_u32 v6, v9, 27, 4
	v_sub_u32_e32 v7, 29, v7
	v_and_b32_e32 v8, 7, v8
	v_cmp_eq_u16_e32 vcc, 0, v4
	v_cndmask_b32_e32 v2, v2, v8, vcc
	v_cndmask_b32_e32 v4, v6, v7, vcc
	v_mov_b32_e32 v6, 0x3b800000
	v_and_b32_e32 v3, 0x80000000, v9
	v_lshlrev_b32_e32 v2, 20, v2
	v_lshl_add_u32 v4, v4, 23, v6
	v_or3_b32 v2, v3, v4, v2
.LBB52_508:
	s_or_b64 exec, exec, s[6:7]
	s_movk_i32 s4, 0x7f
	v_cmp_gt_i16_sdwa s[6:7], v5, s4 src0_sel:BYTE_3 src1_sel:DWORD
	s_mov_b64 s[4:5], 0
                                        ; implicit-def: $sgpr10
	s_and_saveexec_b64 s[8:9], s[6:7]
	s_xor_b64 s[6:7], exec, s[8:9]
	s_cbranch_execnz .LBB52_2557
; %bb.509:
	s_or_saveexec_b64 s[6:7], s[6:7]
	v_mov_b32_e32 v3, s10
	s_xor_b64 exec, exec, s[6:7]
	s_cbranch_execnz .LBB52_2560
.LBB52_510:
	s_or_b64 exec, exec, s[6:7]
	s_and_saveexec_b64 s[6:7], s[4:5]
	s_cbranch_execz .LBB52_512
.LBB52_511:
	v_bfe_u32 v3, v5, 24, 3
	v_ffbh_u32_e32 v8, v3
	v_min_u32_e32 v8, 32, v8
	v_lshrrev_b32_e32 v6, 27, v5
	v_subrev_u32_e32 v9, 28, v8
	v_and_b32_e32 v4, 0x80000000, v5
	v_and_b32_e32 v6, 15, v6
	v_bfe_u32 v7, v5, 27, 4
	v_lshlrev_b32_sdwa v5, v9, v5 dst_sel:DWORD dst_unused:UNUSED_PAD src0_sel:DWORD src1_sel:BYTE_3
	v_sub_u32_e32 v8, 29, v8
	v_and_b32_e32 v5, 7, v5
	v_cmp_eq_u16_e32 vcc, 0, v6
	v_cndmask_b32_e32 v3, v3, v5, vcc
	v_cndmask_b32_e32 v5, v7, v8, vcc
	v_mov_b32_e32 v6, 0x3b800000
	v_lshlrev_b32_e32 v3, 20, v3
	v_lshl_add_u32 v5, v5, 23, v6
	v_or3_b32 v3, v4, v5, v3
.LBB52_512:
	s_or_b64 exec, exec, s[6:7]
	s_nop 0
	v_mfma_f32_16x16x4f32 a[0:3], v2, v3, a[0:3]
	s_movk_i32 s4, 0x7f
                                        ; implicit-def: $sgpr10
	s_nop 7
	s_nop 1
	flat_store_dwordx4 v[18:19], a[0:3] offset:16
	flat_load_dwordx4 v[20:23], v[0:1] offset:8
	s_nop 0
	flat_load_dwordx2 v[18:19], v[0:1] offset:24
	s_waitcnt vmcnt(0) lgkmcnt(0)
	flat_load_dwordx4 v[14:17], v[20:21]
	flat_load_dwordx4 v[6:9], v[20:21] offset:16
	flat_load_dwordx4 v[10:13], v[22:23] offset:320
	;; [unrolled: 1-line block ×3, first 2 shown]
	s_waitcnt vmcnt(0) lgkmcnt(0)
	v_cmp_gt_i16_sdwa s[6:7], v14, s4 src0_sel:BYTE_0 src1_sel:DWORD
	s_mov_b64 s[4:5], 0
	s_and_saveexec_b64 s[8:9], s[6:7]
	s_xor_b64 s[6:7], exec, s[8:9]
	s_cbranch_execnz .LBB52_2561
; %bb.513:
	s_or_saveexec_b64 s[6:7], s[6:7]
	v_mov_b32_e32 v20, s10
	s_xor_b64 exec, exec, s[6:7]
	s_cbranch_execnz .LBB52_2564
.LBB52_514:
	s_or_b64 exec, exec, s[6:7]
	s_and_saveexec_b64 s[6:7], s[4:5]
	s_cbranch_execz .LBB52_516
.LBB52_515:
	v_and_b32_e32 v20, 7, v14
	v_ffbh_u32_e32 v22, v20
	v_min_u32_e32 v22, 32, v22
	v_lshrrev_b16_e32 v21, 3, v14
	v_subrev_u32_e32 v23, 28, v22
	v_and_b32_e32 v21, 15, v21
	v_lshlrev_b32_e32 v23, v23, v14
	v_sub_u32_e32 v22, 29, v22
	v_and_b32_e32 v23, 7, v23
	v_cmp_eq_u16_e32 vcc, 0, v21
	v_cndmask_b32_e32 v20, v20, v23, vcc
	v_cndmask_b32_e32 v21, v21, v22, vcc
	v_lshlrev_b32_e32 v22, 24, v14
	v_mov_b32_e32 v23, 0x3b800000
	v_lshlrev_b32_e32 v20, 20, v20
	v_and_b32_e32 v22, 0x80000000, v22
	v_lshl_add_u32 v21, v21, 23, v23
	v_or3_b32 v20, v22, v21, v20
.LBB52_516:
	s_or_b64 exec, exec, s[6:7]
	s_movk_i32 s4, 0x7f
	v_cmp_gt_i16_sdwa s[6:7], v10, s4 src0_sel:BYTE_0 src1_sel:DWORD
	s_mov_b64 s[4:5], 0
                                        ; implicit-def: $sgpr10
	s_and_saveexec_b64 s[8:9], s[6:7]
	s_xor_b64 s[6:7], exec, s[8:9]
	s_cbranch_execnz .LBB52_2565
; %bb.517:
	s_or_saveexec_b64 s[6:7], s[6:7]
	v_mov_b32_e32 v21, s10
	s_xor_b64 exec, exec, s[6:7]
	s_cbranch_execnz .LBB52_2568
.LBB52_518:
	s_or_b64 exec, exec, s[6:7]
	s_and_saveexec_b64 s[6:7], s[4:5]
	s_cbranch_execz .LBB52_520
.LBB52_519:
	v_and_b32_e32 v21, 7, v10
	v_ffbh_u32_e32 v23, v21
	v_min_u32_e32 v23, 32, v23
	v_lshrrev_b16_e32 v22, 3, v10
	v_subrev_u32_e32 v24, 28, v23
	v_and_b32_e32 v22, 15, v22
	v_lshlrev_b32_e32 v24, v24, v10
	v_sub_u32_e32 v23, 29, v23
	v_and_b32_e32 v24, 7, v24
	v_cmp_eq_u16_e32 vcc, 0, v22
	v_cndmask_b32_e32 v21, v21, v24, vcc
	v_cndmask_b32_e32 v22, v22, v23, vcc
	v_lshlrev_b32_e32 v23, 24, v10
	v_mov_b32_e32 v24, 0x3b800000
	v_lshlrev_b32_e32 v21, 20, v21
	v_and_b32_e32 v23, 0x80000000, v23
	v_lshl_add_u32 v22, v22, 23, v24
	v_or3_b32 v21, v23, v22, v21
.LBB52_520:
	s_or_b64 exec, exec, s[6:7]
	flat_load_dwordx4 a[0:3], v[18:19] offset:32
	s_movk_i32 s4, 0x7f
                                        ; implicit-def: $sgpr10
	s_waitcnt vmcnt(0) lgkmcnt(0)
	v_mfma_f32_16x16x4f32 a[0:3], v20, v21, a[0:3]
	v_lshrrev_b32_e32 v21, 8, v14
	v_cmp_gt_i16_sdwa s[6:7], v21, s4 src0_sel:BYTE_0 src1_sel:DWORD
	s_mov_b64 s[4:5], 0
	s_and_saveexec_b64 s[8:9], s[6:7]
	s_xor_b64 s[6:7], exec, s[8:9]
	s_cbranch_execnz .LBB52_2569
; %bb.521:
	s_or_saveexec_b64 s[6:7], s[6:7]
	v_mov_b32_e32 v20, s10
	s_xor_b64 exec, exec, s[6:7]
	s_cbranch_execnz .LBB52_2572
.LBB52_522:
	s_or_b64 exec, exec, s[6:7]
	s_and_saveexec_b64 s[6:7], s[4:5]
	s_cbranch_execz .LBB52_524
.LBB52_523:
	v_bfe_u32 v20, v14, 8, 3
	v_ffbh_u32_e32 v23, v20
	v_min_u32_e32 v23, 32, v23
	v_lshrrev_b16_e32 v22, 3, v21
	v_subrev_u32_e32 v24, 28, v23
	v_and_b32_e32 v22, 15, v22
	v_lshlrev_b32_e32 v21, v24, v21
	v_sub_u32_e32 v23, 29, v23
	v_and_b32_e32 v21, 7, v21
	v_cmp_eq_u16_e32 vcc, 0, v22
	v_cndmask_b32_e32 v20, v20, v21, vcc
	v_cndmask_b32_e32 v21, v22, v23, vcc
	v_lshlrev_b32_e32 v22, 16, v14
	v_mov_b32_e32 v23, 0x3b800000
	v_lshlrev_b32_e32 v20, 20, v20
	v_and_b32_e32 v22, 0x80000000, v22
	v_lshl_add_u32 v21, v21, 23, v23
	v_or3_b32 v20, v22, v21, v20
.LBB52_524:
	s_or_b64 exec, exec, s[6:7]
	v_lshrrev_b32_e32 v21, 8, v10
	s_movk_i32 s4, 0x7f
	v_cmp_gt_i16_sdwa s[6:7], v21, s4 src0_sel:BYTE_0 src1_sel:DWORD
	s_mov_b64 s[4:5], 0
                                        ; implicit-def: $sgpr10
	s_and_saveexec_b64 s[8:9], s[6:7]
	s_xor_b64 s[6:7], exec, s[8:9]
	s_cbranch_execnz .LBB52_2573
; %bb.525:
	s_or_saveexec_b64 s[6:7], s[6:7]
	v_mov_b32_e32 v22, s10
	s_xor_b64 exec, exec, s[6:7]
	s_cbranch_execnz .LBB52_2576
.LBB52_526:
	s_or_b64 exec, exec, s[6:7]
	s_and_saveexec_b64 s[6:7], s[4:5]
	s_cbranch_execz .LBB52_528
.LBB52_527:
	v_bfe_u32 v22, v10, 8, 3
	v_ffbh_u32_e32 v24, v22
	v_min_u32_e32 v24, 32, v24
	v_lshrrev_b16_e32 v23, 3, v21
	v_subrev_u32_e32 v25, 28, v24
	v_and_b32_e32 v23, 15, v23
	v_lshlrev_b32_e32 v21, v25, v21
	v_sub_u32_e32 v24, 29, v24
	v_and_b32_e32 v21, 7, v21
	v_cmp_eq_u16_e32 vcc, 0, v23
	v_cndmask_b32_e32 v21, v22, v21, vcc
	v_cndmask_b32_e32 v22, v23, v24, vcc
	v_lshlrev_b32_e32 v23, 16, v10
	v_mov_b32_e32 v24, 0x3b800000
	v_lshlrev_b32_e32 v21, 20, v21
	v_and_b32_e32 v23, 0x80000000, v23
	v_lshl_add_u32 v22, v22, 23, v24
	v_or3_b32 v22, v23, v22, v21
.LBB52_528:
	s_or_b64 exec, exec, s[6:7]
	s_nop 0
	v_mfma_f32_16x16x4f32 a[0:3], v20, v22, a[0:3]
	s_movk_i32 s4, 0xff
	v_and_b32_sdwa v21, v14, s4 dst_sel:DWORD dst_unused:UNUSED_PAD src0_sel:WORD_1 src1_sel:DWORD
	s_movk_i32 s4, 0x7f
	v_cmp_lt_i16_e32 vcc, s4, v21
	s_mov_b64 s[4:5], 0
                                        ; implicit-def: $sgpr10
	s_and_saveexec_b64 s[6:7], vcc
	s_xor_b64 s[6:7], exec, s[6:7]
	s_cbranch_execnz .LBB52_2577
; %bb.529:
	s_or_saveexec_b64 s[6:7], s[6:7]
	v_mov_b32_e32 v20, s10
	s_xor_b64 exec, exec, s[6:7]
	s_cbranch_execnz .LBB52_2580
.LBB52_530:
	s_or_b64 exec, exec, s[6:7]
	s_and_saveexec_b64 s[6:7], s[4:5]
	s_cbranch_execz .LBB52_532
.LBB52_531:
	v_bfe_u32 v20, v14, 16, 3
	v_ffbh_u32_e32 v23, v20
	v_min_u32_e32 v23, 32, v23
	v_lshrrev_b32_e32 v21, 19, v14
	v_subrev_u32_e32 v24, 28, v23
	v_and_b32_e32 v21, 15, v21
	v_lshlrev_b32_sdwa v24, v24, v14 dst_sel:DWORD dst_unused:UNUSED_PAD src0_sel:DWORD src1_sel:WORD_1
	v_bfe_u32 v22, v14, 19, 4
	v_sub_u32_e32 v23, 29, v23
	v_and_b32_e32 v24, 7, v24
	v_cmp_eq_u16_e32 vcc, 0, v21
	v_cndmask_b32_e32 v20, v20, v24, vcc
	v_cndmask_b32_e32 v21, v22, v23, vcc
	v_lshlrev_b32_e32 v22, 8, v14
	v_mov_b32_e32 v23, 0x3b800000
	v_lshlrev_b32_e32 v20, 20, v20
	v_and_b32_e32 v22, 0x80000000, v22
	v_lshl_add_u32 v21, v21, 23, v23
	v_or3_b32 v20, v22, v21, v20
.LBB52_532:
	s_or_b64 exec, exec, s[6:7]
	s_movk_i32 s4, 0xff
	v_and_b32_sdwa v21, v10, s4 dst_sel:DWORD dst_unused:UNUSED_PAD src0_sel:WORD_1 src1_sel:DWORD
	s_movk_i32 s4, 0x7f
	v_cmp_lt_i16_e32 vcc, s4, v21
	s_mov_b64 s[4:5], 0
                                        ; implicit-def: $sgpr10
	s_and_saveexec_b64 s[6:7], vcc
	s_xor_b64 s[6:7], exec, s[6:7]
	s_cbranch_execnz .LBB52_2581
; %bb.533:
	s_or_saveexec_b64 s[6:7], s[6:7]
	v_mov_b32_e32 v22, s10
	s_xor_b64 exec, exec, s[6:7]
	s_cbranch_execnz .LBB52_2584
.LBB52_534:
	s_or_b64 exec, exec, s[6:7]
	s_and_saveexec_b64 s[6:7], s[4:5]
	s_cbranch_execz .LBB52_536
.LBB52_535:
	v_bfe_u32 v21, v10, 16, 3
	v_ffbh_u32_e32 v24, v21
	v_min_u32_e32 v24, 32, v24
	v_lshrrev_b32_e32 v22, 19, v10
	v_subrev_u32_e32 v25, 28, v24
	v_and_b32_e32 v22, 15, v22
	v_lshlrev_b32_sdwa v25, v25, v10 dst_sel:DWORD dst_unused:UNUSED_PAD src0_sel:DWORD src1_sel:WORD_1
	v_bfe_u32 v23, v10, 19, 4
	v_sub_u32_e32 v24, 29, v24
	v_and_b32_e32 v25, 7, v25
	v_cmp_eq_u16_e32 vcc, 0, v22
	v_cndmask_b32_e32 v21, v21, v25, vcc
	v_cndmask_b32_e32 v22, v23, v24, vcc
	v_lshlrev_b32_e32 v23, 8, v10
	v_mov_b32_e32 v24, 0x3b800000
	v_lshlrev_b32_e32 v21, 20, v21
	v_and_b32_e32 v23, 0x80000000, v23
	v_lshl_add_u32 v22, v22, 23, v24
	v_or3_b32 v22, v23, v22, v21
.LBB52_536:
	s_or_b64 exec, exec, s[6:7]
	s_nop 0
	v_mfma_f32_16x16x4f32 a[0:3], v20, v22, a[0:3]
	s_movk_i32 s4, 0x7f
	v_cmp_gt_i16_sdwa s[6:7], v14, s4 src0_sel:BYTE_3 src1_sel:DWORD
	s_mov_b64 s[4:5], 0
                                        ; implicit-def: $sgpr10
	s_and_saveexec_b64 s[8:9], s[6:7]
	s_xor_b64 s[6:7], exec, s[8:9]
	s_cbranch_execnz .LBB52_2585
; %bb.537:
	s_or_saveexec_b64 s[6:7], s[6:7]
	v_mov_b32_e32 v20, s10
	s_xor_b64 exec, exec, s[6:7]
	s_cbranch_execnz .LBB52_2588
.LBB52_538:
	s_or_b64 exec, exec, s[6:7]
	s_and_saveexec_b64 s[6:7], s[4:5]
	s_cbranch_execz .LBB52_540
.LBB52_539:
	v_bfe_u32 v20, v14, 24, 3
	v_ffbh_u32_e32 v24, v20
	v_min_u32_e32 v24, 32, v24
	v_lshrrev_b32_e32 v22, 27, v14
	v_subrev_u32_e32 v25, 28, v24
	v_and_b32_e32 v21, 0x80000000, v14
	v_and_b32_e32 v22, 15, v22
	v_bfe_u32 v23, v14, 27, 4
	v_lshlrev_b32_sdwa v14, v25, v14 dst_sel:DWORD dst_unused:UNUSED_PAD src0_sel:DWORD src1_sel:BYTE_3
	v_sub_u32_e32 v24, 29, v24
	v_and_b32_e32 v14, 7, v14
	v_cmp_eq_u16_e32 vcc, 0, v22
	v_cndmask_b32_e32 v14, v20, v14, vcc
	v_cndmask_b32_e32 v20, v23, v24, vcc
	v_mov_b32_e32 v22, 0x3b800000
	v_lshlrev_b32_e32 v14, 20, v14
	v_lshl_add_u32 v20, v20, 23, v22
	v_or3_b32 v20, v21, v20, v14
.LBB52_540:
	s_or_b64 exec, exec, s[6:7]
	s_movk_i32 s4, 0x7f
	v_cmp_gt_i16_sdwa s[6:7], v10, s4 src0_sel:BYTE_3 src1_sel:DWORD
	s_mov_b64 s[4:5], 0
                                        ; implicit-def: $sgpr10
	s_and_saveexec_b64 s[8:9], s[6:7]
	s_xor_b64 s[6:7], exec, s[8:9]
	s_cbranch_execnz .LBB52_2589
; %bb.541:
	s_or_saveexec_b64 s[6:7], s[6:7]
	v_mov_b32_e32 v14, s10
	s_xor_b64 exec, exec, s[6:7]
	s_cbranch_execnz .LBB52_2592
.LBB52_542:
	s_or_b64 exec, exec, s[6:7]
	s_and_saveexec_b64 s[6:7], s[4:5]
	s_cbranch_execz .LBB52_544
.LBB52_543:
	v_bfe_u32 v14, v10, 24, 3
	v_ffbh_u32_e32 v24, v14
	v_min_u32_e32 v24, 32, v24
	v_lshrrev_b32_e32 v22, 27, v10
	v_subrev_u32_e32 v25, 28, v24
	v_and_b32_e32 v21, 0x80000000, v10
	v_and_b32_e32 v22, 15, v22
	v_bfe_u32 v23, v10, 27, 4
	v_lshlrev_b32_sdwa v10, v25, v10 dst_sel:DWORD dst_unused:UNUSED_PAD src0_sel:DWORD src1_sel:BYTE_3
	v_sub_u32_e32 v24, 29, v24
	v_and_b32_e32 v10, 7, v10
	v_cmp_eq_u16_e32 vcc, 0, v22
	v_cndmask_b32_e32 v10, v14, v10, vcc
	v_cndmask_b32_e32 v14, v23, v24, vcc
	v_mov_b32_e32 v22, 0x3b800000
	v_lshlrev_b32_e32 v10, 20, v10
	v_lshl_add_u32 v14, v14, 23, v22
	v_or3_b32 v14, v21, v14, v10
.LBB52_544:
	s_or_b64 exec, exec, s[6:7]
	s_nop 0
	v_mfma_f32_16x16x4f32 a[0:3], v20, v14, a[0:3]
	s_movk_i32 s4, 0x7f
	v_cmp_gt_i16_sdwa s[6:7], v15, s4 src0_sel:BYTE_0 src1_sel:DWORD
	s_mov_b64 s[4:5], 0
                                        ; implicit-def: $sgpr10
	s_and_saveexec_b64 s[8:9], s[6:7]
	s_xor_b64 s[6:7], exec, s[8:9]
	s_cbranch_execnz .LBB52_2593
; %bb.545:
	s_or_saveexec_b64 s[6:7], s[6:7]
	v_mov_b32_e32 v10, s10
	s_xor_b64 exec, exec, s[6:7]
	s_cbranch_execnz .LBB52_2596
.LBB52_546:
	s_or_b64 exec, exec, s[6:7]
	s_and_saveexec_b64 s[6:7], s[4:5]
	s_cbranch_execz .LBB52_548
.LBB52_547:
	v_and_b32_e32 v10, 7, v15
	v_ffbh_u32_e32 v20, v10
	v_min_u32_e32 v20, 32, v20
	v_lshrrev_b16_e32 v14, 3, v15
	v_subrev_u32_e32 v21, 28, v20
	v_and_b32_e32 v14, 15, v14
	v_lshlrev_b32_e32 v21, v21, v15
	v_sub_u32_e32 v20, 29, v20
	v_and_b32_e32 v21, 7, v21
	v_cmp_eq_u16_e32 vcc, 0, v14
	v_cndmask_b32_e32 v10, v10, v21, vcc
	v_cndmask_b32_e32 v14, v14, v20, vcc
	v_lshlrev_b32_e32 v20, 24, v15
	v_mov_b32_e32 v21, 0x3b800000
	v_lshlrev_b32_e32 v10, 20, v10
	v_and_b32_e32 v20, 0x80000000, v20
	v_lshl_add_u32 v14, v14, 23, v21
	v_or3_b32 v10, v20, v14, v10
.LBB52_548:
	s_or_b64 exec, exec, s[6:7]
	s_movk_i32 s4, 0x7f
	v_cmp_gt_i16_sdwa s[6:7], v11, s4 src0_sel:BYTE_0 src1_sel:DWORD
	s_mov_b64 s[4:5], 0
                                        ; implicit-def: $sgpr10
	s_and_saveexec_b64 s[8:9], s[6:7]
	s_xor_b64 s[6:7], exec, s[8:9]
	s_cbranch_execnz .LBB52_2597
; %bb.549:
	s_or_saveexec_b64 s[6:7], s[6:7]
	v_mov_b32_e32 v14, s10
	s_xor_b64 exec, exec, s[6:7]
	s_cbranch_execnz .LBB52_2600
.LBB52_550:
	s_or_b64 exec, exec, s[6:7]
	s_and_saveexec_b64 s[6:7], s[4:5]
	s_cbranch_execz .LBB52_552
.LBB52_551:
	v_and_b32_e32 v14, 7, v11
	v_ffbh_u32_e32 v21, v14
	v_min_u32_e32 v21, 32, v21
	v_lshrrev_b16_e32 v20, 3, v11
	v_subrev_u32_e32 v22, 28, v21
	v_and_b32_e32 v20, 15, v20
	v_lshlrev_b32_e32 v22, v22, v11
	v_sub_u32_e32 v21, 29, v21
	v_and_b32_e32 v22, 7, v22
	v_cmp_eq_u16_e32 vcc, 0, v20
	v_cndmask_b32_e32 v14, v14, v22, vcc
	v_cndmask_b32_e32 v20, v20, v21, vcc
	v_lshlrev_b32_e32 v21, 24, v11
	v_mov_b32_e32 v22, 0x3b800000
	v_lshlrev_b32_e32 v14, 20, v14
	v_and_b32_e32 v21, 0x80000000, v21
	v_lshl_add_u32 v20, v20, 23, v22
	v_or3_b32 v14, v21, v20, v14
.LBB52_552:
	s_or_b64 exec, exec, s[6:7]
	s_nop 0
	v_mfma_f32_16x16x4f32 a[0:3], v10, v14, a[0:3]
	v_lshrrev_b32_e32 v14, 8, v15
	s_movk_i32 s4, 0x7f
	v_cmp_gt_i16_sdwa s[6:7], v14, s4 src0_sel:BYTE_0 src1_sel:DWORD
	s_mov_b64 s[4:5], 0
                                        ; implicit-def: $sgpr10
	s_and_saveexec_b64 s[8:9], s[6:7]
	s_xor_b64 s[6:7], exec, s[8:9]
	s_cbranch_execnz .LBB52_2601
; %bb.553:
	s_or_saveexec_b64 s[6:7], s[6:7]
	v_mov_b32_e32 v10, s10
	s_xor_b64 exec, exec, s[6:7]
	s_cbranch_execnz .LBB52_2604
.LBB52_554:
	s_or_b64 exec, exec, s[6:7]
	s_and_saveexec_b64 s[6:7], s[4:5]
	s_cbranch_execz .LBB52_556
.LBB52_555:
	v_bfe_u32 v10, v15, 8, 3
	v_ffbh_u32_e32 v21, v10
	v_min_u32_e32 v21, 32, v21
	v_lshrrev_b16_e32 v20, 3, v14
	v_subrev_u32_e32 v22, 28, v21
	v_and_b32_e32 v20, 15, v20
	v_lshlrev_b32_e32 v14, v22, v14
	v_sub_u32_e32 v21, 29, v21
	v_and_b32_e32 v14, 7, v14
	v_cmp_eq_u16_e32 vcc, 0, v20
	v_cndmask_b32_e32 v10, v10, v14, vcc
	v_cndmask_b32_e32 v14, v20, v21, vcc
	v_lshlrev_b32_e32 v20, 16, v15
	v_mov_b32_e32 v21, 0x3b800000
	v_lshlrev_b32_e32 v10, 20, v10
	v_and_b32_e32 v20, 0x80000000, v20
	v_lshl_add_u32 v14, v14, 23, v21
	v_or3_b32 v10, v20, v14, v10
.LBB52_556:
	s_or_b64 exec, exec, s[6:7]
	v_lshrrev_b32_e32 v14, 8, v11
	s_movk_i32 s4, 0x7f
	v_cmp_gt_i16_sdwa s[6:7], v14, s4 src0_sel:BYTE_0 src1_sel:DWORD
	s_mov_b64 s[4:5], 0
                                        ; implicit-def: $sgpr10
	s_and_saveexec_b64 s[8:9], s[6:7]
	s_xor_b64 s[6:7], exec, s[8:9]
	s_cbranch_execnz .LBB52_2605
; %bb.557:
	s_or_saveexec_b64 s[6:7], s[6:7]
	v_mov_b32_e32 v20, s10
	s_xor_b64 exec, exec, s[6:7]
	s_cbranch_execnz .LBB52_2608
.LBB52_558:
	s_or_b64 exec, exec, s[6:7]
	s_and_saveexec_b64 s[6:7], s[4:5]
	s_cbranch_execz .LBB52_560
.LBB52_559:
	v_bfe_u32 v20, v11, 8, 3
	v_ffbh_u32_e32 v22, v20
	v_min_u32_e32 v22, 32, v22
	v_lshrrev_b16_e32 v21, 3, v14
	v_subrev_u32_e32 v23, 28, v22
	v_and_b32_e32 v21, 15, v21
	v_lshlrev_b32_e32 v14, v23, v14
	v_sub_u32_e32 v22, 29, v22
	v_and_b32_e32 v14, 7, v14
	v_cmp_eq_u16_e32 vcc, 0, v21
	v_cndmask_b32_e32 v14, v20, v14, vcc
	v_cndmask_b32_e32 v20, v21, v22, vcc
	v_lshlrev_b32_e32 v21, 16, v11
	v_mov_b32_e32 v22, 0x3b800000
	v_lshlrev_b32_e32 v14, 20, v14
	v_and_b32_e32 v21, 0x80000000, v21
	v_lshl_add_u32 v20, v20, 23, v22
	v_or3_b32 v20, v21, v20, v14
.LBB52_560:
	s_or_b64 exec, exec, s[6:7]
	s_nop 0
	v_mfma_f32_16x16x4f32 a[0:3], v10, v20, a[0:3]
	s_movk_i32 s4, 0xff
	v_and_b32_sdwa v14, v15, s4 dst_sel:DWORD dst_unused:UNUSED_PAD src0_sel:WORD_1 src1_sel:DWORD
	s_movk_i32 s4, 0x7f
	v_cmp_lt_i16_e32 vcc, s4, v14
	s_mov_b64 s[4:5], 0
                                        ; implicit-def: $sgpr10
	s_and_saveexec_b64 s[6:7], vcc
	s_xor_b64 s[6:7], exec, s[6:7]
	s_cbranch_execnz .LBB52_2609
; %bb.561:
	s_or_saveexec_b64 s[6:7], s[6:7]
	v_mov_b32_e32 v10, s10
	s_xor_b64 exec, exec, s[6:7]
	s_cbranch_execnz .LBB52_2612
.LBB52_562:
	s_or_b64 exec, exec, s[6:7]
	s_and_saveexec_b64 s[6:7], s[4:5]
	s_cbranch_execz .LBB52_564
.LBB52_563:
	v_bfe_u32 v10, v15, 16, 3
	v_ffbh_u32_e32 v21, v10
	v_min_u32_e32 v21, 32, v21
	v_lshrrev_b32_e32 v14, 19, v15
	v_subrev_u32_e32 v22, 28, v21
	v_and_b32_e32 v14, 15, v14
	v_lshlrev_b32_sdwa v22, v22, v15 dst_sel:DWORD dst_unused:UNUSED_PAD src0_sel:DWORD src1_sel:WORD_1
	v_bfe_u32 v20, v15, 19, 4
	v_sub_u32_e32 v21, 29, v21
	v_and_b32_e32 v22, 7, v22
	v_cmp_eq_u16_e32 vcc, 0, v14
	v_cndmask_b32_e32 v10, v10, v22, vcc
	v_cndmask_b32_e32 v14, v20, v21, vcc
	v_lshlrev_b32_e32 v20, 8, v15
	v_mov_b32_e32 v21, 0x3b800000
	v_lshlrev_b32_e32 v10, 20, v10
	v_and_b32_e32 v20, 0x80000000, v20
	v_lshl_add_u32 v14, v14, 23, v21
	v_or3_b32 v10, v20, v14, v10
.LBB52_564:
	s_or_b64 exec, exec, s[6:7]
	s_movk_i32 s4, 0xff
	v_and_b32_sdwa v14, v11, s4 dst_sel:DWORD dst_unused:UNUSED_PAD src0_sel:WORD_1 src1_sel:DWORD
	s_movk_i32 s4, 0x7f
	v_cmp_lt_i16_e32 vcc, s4, v14
	s_mov_b64 s[4:5], 0
                                        ; implicit-def: $sgpr10
	s_and_saveexec_b64 s[6:7], vcc
	s_xor_b64 s[6:7], exec, s[6:7]
	s_cbranch_execnz .LBB52_2613
; %bb.565:
	s_or_saveexec_b64 s[6:7], s[6:7]
	v_mov_b32_e32 v20, s10
	s_xor_b64 exec, exec, s[6:7]
	s_cbranch_execnz .LBB52_2616
.LBB52_566:
	s_or_b64 exec, exec, s[6:7]
	s_and_saveexec_b64 s[6:7], s[4:5]
	s_cbranch_execz .LBB52_568
.LBB52_567:
	v_bfe_u32 v14, v11, 16, 3
	v_ffbh_u32_e32 v22, v14
	v_min_u32_e32 v22, 32, v22
	v_lshrrev_b32_e32 v20, 19, v11
	v_subrev_u32_e32 v23, 28, v22
	v_and_b32_e32 v20, 15, v20
	v_lshlrev_b32_sdwa v23, v23, v11 dst_sel:DWORD dst_unused:UNUSED_PAD src0_sel:DWORD src1_sel:WORD_1
	v_bfe_u32 v21, v11, 19, 4
	v_sub_u32_e32 v22, 29, v22
	v_and_b32_e32 v23, 7, v23
	v_cmp_eq_u16_e32 vcc, 0, v20
	v_cndmask_b32_e32 v14, v14, v23, vcc
	v_cndmask_b32_e32 v20, v21, v22, vcc
	v_lshlrev_b32_e32 v21, 8, v11
	v_mov_b32_e32 v22, 0x3b800000
	v_lshlrev_b32_e32 v14, 20, v14
	v_and_b32_e32 v21, 0x80000000, v21
	v_lshl_add_u32 v20, v20, 23, v22
	v_or3_b32 v20, v21, v20, v14
.LBB52_568:
	s_or_b64 exec, exec, s[6:7]
	s_nop 0
	v_mfma_f32_16x16x4f32 a[0:3], v10, v20, a[0:3]
	s_movk_i32 s4, 0x7f
	v_cmp_gt_i16_sdwa s[6:7], v15, s4 src0_sel:BYTE_3 src1_sel:DWORD
	s_mov_b64 s[4:5], 0
                                        ; implicit-def: $sgpr10
	s_and_saveexec_b64 s[8:9], s[6:7]
	s_xor_b64 s[6:7], exec, s[8:9]
	s_cbranch_execnz .LBB52_2617
; %bb.569:
	s_or_saveexec_b64 s[6:7], s[6:7]
	v_mov_b32_e32 v10, s10
	s_xor_b64 exec, exec, s[6:7]
	s_cbranch_execnz .LBB52_2620
.LBB52_570:
	s_or_b64 exec, exec, s[6:7]
	s_and_saveexec_b64 s[6:7], s[4:5]
	s_cbranch_execz .LBB52_572
.LBB52_571:
	v_bfe_u32 v10, v15, 24, 3
	v_ffbh_u32_e32 v22, v10
	v_min_u32_e32 v22, 32, v22
	v_lshrrev_b32_e32 v20, 27, v15
	v_subrev_u32_e32 v23, 28, v22
	v_and_b32_e32 v14, 0x80000000, v15
	v_and_b32_e32 v20, 15, v20
	v_bfe_u32 v21, v15, 27, 4
	v_lshlrev_b32_sdwa v15, v23, v15 dst_sel:DWORD dst_unused:UNUSED_PAD src0_sel:DWORD src1_sel:BYTE_3
	v_sub_u32_e32 v22, 29, v22
	v_and_b32_e32 v15, 7, v15
	v_cmp_eq_u16_e32 vcc, 0, v20
	v_cndmask_b32_e32 v10, v10, v15, vcc
	v_cndmask_b32_e32 v15, v21, v22, vcc
	v_mov_b32_e32 v20, 0x3b800000
	v_lshlrev_b32_e32 v10, 20, v10
	v_lshl_add_u32 v15, v15, 23, v20
	v_or3_b32 v10, v14, v15, v10
.LBB52_572:
	s_or_b64 exec, exec, s[6:7]
	s_movk_i32 s4, 0x7f
	v_cmp_gt_i16_sdwa s[6:7], v11, s4 src0_sel:BYTE_3 src1_sel:DWORD
	s_mov_b64 s[4:5], 0
                                        ; implicit-def: $sgpr10
	s_and_saveexec_b64 s[8:9], s[6:7]
	s_xor_b64 s[6:7], exec, s[8:9]
	s_cbranch_execnz .LBB52_2621
; %bb.573:
	s_or_saveexec_b64 s[6:7], s[6:7]
	v_mov_b32_e32 v14, s10
	s_xor_b64 exec, exec, s[6:7]
	s_cbranch_execnz .LBB52_2624
.LBB52_574:
	s_or_b64 exec, exec, s[6:7]
	s_and_saveexec_b64 s[6:7], s[4:5]
	s_cbranch_execz .LBB52_576
.LBB52_575:
	v_bfe_u32 v14, v11, 24, 3
	v_ffbh_u32_e32 v22, v14
	v_min_u32_e32 v22, 32, v22
	v_lshrrev_b32_e32 v20, 27, v11
	v_subrev_u32_e32 v23, 28, v22
	v_and_b32_e32 v15, 0x80000000, v11
	v_and_b32_e32 v20, 15, v20
	v_bfe_u32 v21, v11, 27, 4
	v_lshlrev_b32_sdwa v11, v23, v11 dst_sel:DWORD dst_unused:UNUSED_PAD src0_sel:DWORD src1_sel:BYTE_3
	v_sub_u32_e32 v22, 29, v22
	v_and_b32_e32 v11, 7, v11
	v_cmp_eq_u16_e32 vcc, 0, v20
	v_cndmask_b32_e32 v11, v14, v11, vcc
	v_cndmask_b32_e32 v14, v21, v22, vcc
	v_mov_b32_e32 v20, 0x3b800000
	v_lshlrev_b32_e32 v11, 20, v11
	v_lshl_add_u32 v14, v14, 23, v20
	v_or3_b32 v14, v15, v14, v11
.LBB52_576:
	s_or_b64 exec, exec, s[6:7]
	s_nop 0
	v_mfma_f32_16x16x4f32 a[0:3], v10, v14, a[0:3]
	s_movk_i32 s4, 0x7f
	v_cmp_gt_i16_sdwa s[6:7], v16, s4 src0_sel:BYTE_0 src1_sel:DWORD
	s_mov_b64 s[4:5], 0
                                        ; implicit-def: $sgpr10
	s_and_saveexec_b64 s[8:9], s[6:7]
	s_xor_b64 s[6:7], exec, s[8:9]
	s_cbranch_execnz .LBB52_2625
; %bb.577:
	s_or_saveexec_b64 s[6:7], s[6:7]
	v_mov_b32_e32 v10, s10
	s_xor_b64 exec, exec, s[6:7]
	s_cbranch_execnz .LBB52_2628
.LBB52_578:
	s_or_b64 exec, exec, s[6:7]
	s_and_saveexec_b64 s[6:7], s[4:5]
	s_cbranch_execz .LBB52_580
.LBB52_579:
	v_and_b32_e32 v10, 7, v16
	v_ffbh_u32_e32 v14, v10
	v_min_u32_e32 v14, 32, v14
	v_lshrrev_b16_e32 v11, 3, v16
	v_subrev_u32_e32 v15, 28, v14
	v_and_b32_e32 v11, 15, v11
	v_lshlrev_b32_e32 v15, v15, v16
	v_sub_u32_e32 v14, 29, v14
	v_and_b32_e32 v15, 7, v15
	v_cmp_eq_u16_e32 vcc, 0, v11
	v_cndmask_b32_e32 v10, v10, v15, vcc
	v_cndmask_b32_e32 v11, v11, v14, vcc
	v_lshlrev_b32_e32 v14, 24, v16
	v_mov_b32_e32 v15, 0x3b800000
	v_lshlrev_b32_e32 v10, 20, v10
	v_and_b32_e32 v14, 0x80000000, v14
	v_lshl_add_u32 v11, v11, 23, v15
	v_or3_b32 v10, v14, v11, v10
.LBB52_580:
	s_or_b64 exec, exec, s[6:7]
	s_movk_i32 s4, 0x7f
	v_cmp_gt_i16_sdwa s[6:7], v12, s4 src0_sel:BYTE_0 src1_sel:DWORD
	s_mov_b64 s[4:5], 0
                                        ; implicit-def: $sgpr10
	s_and_saveexec_b64 s[8:9], s[6:7]
	s_xor_b64 s[6:7], exec, s[8:9]
	s_cbranch_execnz .LBB52_2629
; %bb.581:
	s_or_saveexec_b64 s[6:7], s[6:7]
	v_mov_b32_e32 v11, s10
	s_xor_b64 exec, exec, s[6:7]
	s_cbranch_execnz .LBB52_2632
.LBB52_582:
	s_or_b64 exec, exec, s[6:7]
	s_and_saveexec_b64 s[6:7], s[4:5]
	s_cbranch_execz .LBB52_584
.LBB52_583:
	v_and_b32_e32 v11, 7, v12
	v_ffbh_u32_e32 v15, v11
	v_min_u32_e32 v15, 32, v15
	v_lshrrev_b16_e32 v14, 3, v12
	v_subrev_u32_e32 v20, 28, v15
	v_and_b32_e32 v14, 15, v14
	v_lshlrev_b32_e32 v20, v20, v12
	v_sub_u32_e32 v15, 29, v15
	v_and_b32_e32 v20, 7, v20
	v_cmp_eq_u16_e32 vcc, 0, v14
	v_cndmask_b32_e32 v11, v11, v20, vcc
	v_cndmask_b32_e32 v14, v14, v15, vcc
	v_lshlrev_b32_e32 v15, 24, v12
	v_mov_b32_e32 v20, 0x3b800000
	v_lshlrev_b32_e32 v11, 20, v11
	v_and_b32_e32 v15, 0x80000000, v15
	v_lshl_add_u32 v14, v14, 23, v20
	v_or3_b32 v11, v15, v14, v11
.LBB52_584:
	s_or_b64 exec, exec, s[6:7]
	s_nop 0
	v_mfma_f32_16x16x4f32 a[0:3], v10, v11, a[0:3]
	v_lshrrev_b32_e32 v11, 8, v16
	s_movk_i32 s4, 0x7f
	v_cmp_gt_i16_sdwa s[6:7], v11, s4 src0_sel:BYTE_0 src1_sel:DWORD
	s_mov_b64 s[4:5], 0
                                        ; implicit-def: $sgpr10
	s_and_saveexec_b64 s[8:9], s[6:7]
	s_xor_b64 s[6:7], exec, s[8:9]
	s_cbranch_execnz .LBB52_2633
; %bb.585:
	s_or_saveexec_b64 s[6:7], s[6:7]
	v_mov_b32_e32 v10, s10
	s_xor_b64 exec, exec, s[6:7]
	s_cbranch_execnz .LBB52_2636
.LBB52_586:
	s_or_b64 exec, exec, s[6:7]
	s_and_saveexec_b64 s[6:7], s[4:5]
	s_cbranch_execz .LBB52_588
.LBB52_587:
	v_bfe_u32 v10, v16, 8, 3
	v_ffbh_u32_e32 v15, v10
	v_min_u32_e32 v15, 32, v15
	v_lshrrev_b16_e32 v14, 3, v11
	v_subrev_u32_e32 v20, 28, v15
	v_and_b32_e32 v14, 15, v14
	v_lshlrev_b32_e32 v11, v20, v11
	v_sub_u32_e32 v15, 29, v15
	v_and_b32_e32 v11, 7, v11
	v_cmp_eq_u16_e32 vcc, 0, v14
	v_cndmask_b32_e32 v10, v10, v11, vcc
	v_cndmask_b32_e32 v11, v14, v15, vcc
	v_lshlrev_b32_e32 v14, 16, v16
	v_mov_b32_e32 v15, 0x3b800000
	v_lshlrev_b32_e32 v10, 20, v10
	v_and_b32_e32 v14, 0x80000000, v14
	v_lshl_add_u32 v11, v11, 23, v15
	v_or3_b32 v10, v14, v11, v10
.LBB52_588:
	s_or_b64 exec, exec, s[6:7]
	v_lshrrev_b32_e32 v11, 8, v12
	s_movk_i32 s4, 0x7f
	v_cmp_gt_i16_sdwa s[6:7], v11, s4 src0_sel:BYTE_0 src1_sel:DWORD
	s_mov_b64 s[4:5], 0
                                        ; implicit-def: $sgpr10
	s_and_saveexec_b64 s[8:9], s[6:7]
	s_xor_b64 s[6:7], exec, s[8:9]
	s_cbranch_execnz .LBB52_2637
; %bb.589:
	s_or_saveexec_b64 s[6:7], s[6:7]
	v_mov_b32_e32 v14, s10
	s_xor_b64 exec, exec, s[6:7]
	s_cbranch_execnz .LBB52_2640
.LBB52_590:
	s_or_b64 exec, exec, s[6:7]
	s_and_saveexec_b64 s[6:7], s[4:5]
	s_cbranch_execz .LBB52_592
.LBB52_591:
	v_bfe_u32 v14, v12, 8, 3
	v_ffbh_u32_e32 v20, v14
	v_min_u32_e32 v20, 32, v20
	v_lshrrev_b16_e32 v15, 3, v11
	v_subrev_u32_e32 v21, 28, v20
	v_and_b32_e32 v15, 15, v15
	v_lshlrev_b32_e32 v11, v21, v11
	v_sub_u32_e32 v20, 29, v20
	v_and_b32_e32 v11, 7, v11
	v_cmp_eq_u16_e32 vcc, 0, v15
	v_cndmask_b32_e32 v11, v14, v11, vcc
	v_cndmask_b32_e32 v14, v15, v20, vcc
	v_lshlrev_b32_e32 v15, 16, v12
	v_mov_b32_e32 v20, 0x3b800000
	v_lshlrev_b32_e32 v11, 20, v11
	v_and_b32_e32 v15, 0x80000000, v15
	v_lshl_add_u32 v14, v14, 23, v20
	v_or3_b32 v14, v15, v14, v11
.LBB52_592:
	s_or_b64 exec, exec, s[6:7]
	s_nop 0
	v_mfma_f32_16x16x4f32 a[0:3], v10, v14, a[0:3]
	s_movk_i32 s4, 0xff
	v_and_b32_sdwa v11, v16, s4 dst_sel:DWORD dst_unused:UNUSED_PAD src0_sel:WORD_1 src1_sel:DWORD
	s_movk_i32 s4, 0x7f
	v_cmp_lt_i16_e32 vcc, s4, v11
	s_mov_b64 s[4:5], 0
                                        ; implicit-def: $sgpr10
	s_and_saveexec_b64 s[6:7], vcc
	s_xor_b64 s[6:7], exec, s[6:7]
	s_cbranch_execnz .LBB52_2641
; %bb.593:
	s_or_saveexec_b64 s[6:7], s[6:7]
	v_mov_b32_e32 v10, s10
	s_xor_b64 exec, exec, s[6:7]
	s_cbranch_execnz .LBB52_2644
.LBB52_594:
	s_or_b64 exec, exec, s[6:7]
	s_and_saveexec_b64 s[6:7], s[4:5]
	s_cbranch_execz .LBB52_596
.LBB52_595:
	v_bfe_u32 v10, v16, 16, 3
	v_ffbh_u32_e32 v15, v10
	v_min_u32_e32 v15, 32, v15
	v_lshrrev_b32_e32 v11, 19, v16
	v_subrev_u32_e32 v20, 28, v15
	v_and_b32_e32 v11, 15, v11
	v_lshlrev_b32_sdwa v20, v20, v16 dst_sel:DWORD dst_unused:UNUSED_PAD src0_sel:DWORD src1_sel:WORD_1
	v_bfe_u32 v14, v16, 19, 4
	v_sub_u32_e32 v15, 29, v15
	v_and_b32_e32 v20, 7, v20
	v_cmp_eq_u16_e32 vcc, 0, v11
	v_cndmask_b32_e32 v10, v10, v20, vcc
	v_cndmask_b32_e32 v11, v14, v15, vcc
	v_lshlrev_b32_e32 v14, 8, v16
	v_mov_b32_e32 v15, 0x3b800000
	v_lshlrev_b32_e32 v10, 20, v10
	v_and_b32_e32 v14, 0x80000000, v14
	v_lshl_add_u32 v11, v11, 23, v15
	v_or3_b32 v10, v14, v11, v10
.LBB52_596:
	s_or_b64 exec, exec, s[6:7]
	s_movk_i32 s4, 0xff
	v_and_b32_sdwa v11, v12, s4 dst_sel:DWORD dst_unused:UNUSED_PAD src0_sel:WORD_1 src1_sel:DWORD
	s_movk_i32 s4, 0x7f
	v_cmp_lt_i16_e32 vcc, s4, v11
	s_mov_b64 s[4:5], 0
                                        ; implicit-def: $sgpr10
	s_and_saveexec_b64 s[6:7], vcc
	s_xor_b64 s[6:7], exec, s[6:7]
	s_cbranch_execnz .LBB52_2645
; %bb.597:
	s_or_saveexec_b64 s[6:7], s[6:7]
	v_mov_b32_e32 v14, s10
	s_xor_b64 exec, exec, s[6:7]
	s_cbranch_execnz .LBB52_2648
.LBB52_598:
	s_or_b64 exec, exec, s[6:7]
	s_and_saveexec_b64 s[6:7], s[4:5]
	s_cbranch_execz .LBB52_600
.LBB52_599:
	v_bfe_u32 v11, v12, 16, 3
	v_ffbh_u32_e32 v20, v11
	v_min_u32_e32 v20, 32, v20
	v_lshrrev_b32_e32 v14, 19, v12
	v_subrev_u32_e32 v21, 28, v20
	v_and_b32_e32 v14, 15, v14
	v_lshlrev_b32_sdwa v21, v21, v12 dst_sel:DWORD dst_unused:UNUSED_PAD src0_sel:DWORD src1_sel:WORD_1
	v_bfe_u32 v15, v12, 19, 4
	v_sub_u32_e32 v20, 29, v20
	v_and_b32_e32 v21, 7, v21
	v_cmp_eq_u16_e32 vcc, 0, v14
	v_cndmask_b32_e32 v11, v11, v21, vcc
	v_cndmask_b32_e32 v14, v15, v20, vcc
	v_lshlrev_b32_e32 v15, 8, v12
	v_mov_b32_e32 v20, 0x3b800000
	v_lshlrev_b32_e32 v11, 20, v11
	v_and_b32_e32 v15, 0x80000000, v15
	v_lshl_add_u32 v14, v14, 23, v20
	v_or3_b32 v14, v15, v14, v11
.LBB52_600:
	s_or_b64 exec, exec, s[6:7]
	s_nop 0
	v_mfma_f32_16x16x4f32 a[0:3], v10, v14, a[0:3]
	s_movk_i32 s4, 0x7f
	v_cmp_gt_i16_sdwa s[6:7], v16, s4 src0_sel:BYTE_3 src1_sel:DWORD
	s_mov_b64 s[4:5], 0
                                        ; implicit-def: $sgpr10
	s_and_saveexec_b64 s[8:9], s[6:7]
	s_xor_b64 s[6:7], exec, s[8:9]
	s_cbranch_execnz .LBB52_2649
; %bb.601:
	s_or_saveexec_b64 s[6:7], s[6:7]
	v_mov_b32_e32 v10, s10
	s_xor_b64 exec, exec, s[6:7]
	s_cbranch_execnz .LBB52_2652
.LBB52_602:
	s_or_b64 exec, exec, s[6:7]
	s_and_saveexec_b64 s[6:7], s[4:5]
	s_cbranch_execz .LBB52_604
.LBB52_603:
	v_bfe_u32 v10, v16, 24, 3
	v_ffbh_u32_e32 v20, v10
	v_min_u32_e32 v20, 32, v20
	v_lshrrev_b32_e32 v14, 27, v16
	v_subrev_u32_e32 v21, 28, v20
	v_and_b32_e32 v11, 0x80000000, v16
	v_and_b32_e32 v14, 15, v14
	v_bfe_u32 v15, v16, 27, 4
	v_lshlrev_b32_sdwa v16, v21, v16 dst_sel:DWORD dst_unused:UNUSED_PAD src0_sel:DWORD src1_sel:BYTE_3
	v_sub_u32_e32 v20, 29, v20
	v_and_b32_e32 v16, 7, v16
	v_cmp_eq_u16_e32 vcc, 0, v14
	v_cndmask_b32_e32 v10, v10, v16, vcc
	v_cndmask_b32_e32 v14, v15, v20, vcc
	v_mov_b32_e32 v15, 0x3b800000
	v_lshlrev_b32_e32 v10, 20, v10
	v_lshl_add_u32 v14, v14, 23, v15
	v_or3_b32 v10, v11, v14, v10
.LBB52_604:
	s_or_b64 exec, exec, s[6:7]
	s_movk_i32 s4, 0x7f
	v_cmp_gt_i16_sdwa s[6:7], v12, s4 src0_sel:BYTE_3 src1_sel:DWORD
	s_mov_b64 s[4:5], 0
                                        ; implicit-def: $sgpr10
	s_and_saveexec_b64 s[8:9], s[6:7]
	s_xor_b64 s[6:7], exec, s[8:9]
	s_cbranch_execnz .LBB52_2653
; %bb.605:
	s_or_saveexec_b64 s[6:7], s[6:7]
	v_mov_b32_e32 v11, s10
	s_xor_b64 exec, exec, s[6:7]
	s_cbranch_execnz .LBB52_2656
.LBB52_606:
	s_or_b64 exec, exec, s[6:7]
	s_and_saveexec_b64 s[6:7], s[4:5]
	s_cbranch_execz .LBB52_608
.LBB52_607:
	v_bfe_u32 v11, v12, 24, 3
	v_ffbh_u32_e32 v20, v11
	v_min_u32_e32 v20, 32, v20
	v_lshrrev_b32_e32 v15, 27, v12
	v_subrev_u32_e32 v21, 28, v20
	v_and_b32_e32 v14, 0x80000000, v12
	v_and_b32_e32 v15, 15, v15
	v_bfe_u32 v16, v12, 27, 4
	v_lshlrev_b32_sdwa v12, v21, v12 dst_sel:DWORD dst_unused:UNUSED_PAD src0_sel:DWORD src1_sel:BYTE_3
	v_sub_u32_e32 v20, 29, v20
	v_and_b32_e32 v12, 7, v12
	v_cmp_eq_u16_e32 vcc, 0, v15
	v_cndmask_b32_e32 v11, v11, v12, vcc
	v_cndmask_b32_e32 v12, v16, v20, vcc
	v_mov_b32_e32 v15, 0x3b800000
	v_lshlrev_b32_e32 v11, 20, v11
	v_lshl_add_u32 v12, v12, 23, v15
	v_or3_b32 v11, v14, v12, v11
.LBB52_608:
	s_or_b64 exec, exec, s[6:7]
	s_nop 0
	v_mfma_f32_16x16x4f32 a[0:3], v10, v11, a[0:3]
	s_movk_i32 s4, 0x7f
	v_cmp_gt_i16_sdwa s[6:7], v17, s4 src0_sel:BYTE_0 src1_sel:DWORD
	s_mov_b64 s[4:5], 0
                                        ; implicit-def: $sgpr10
	s_and_saveexec_b64 s[8:9], s[6:7]
	s_xor_b64 s[6:7], exec, s[8:9]
	s_cbranch_execnz .LBB52_2657
; %bb.609:
	s_or_saveexec_b64 s[6:7], s[6:7]
	v_mov_b32_e32 v10, s10
	s_xor_b64 exec, exec, s[6:7]
	s_cbranch_execnz .LBB52_2660
.LBB52_610:
	s_or_b64 exec, exec, s[6:7]
	s_and_saveexec_b64 s[6:7], s[4:5]
	s_cbranch_execz .LBB52_612
.LBB52_611:
	v_and_b32_e32 v10, 7, v17
	v_ffbh_u32_e32 v12, v10
	v_min_u32_e32 v12, 32, v12
	v_lshrrev_b16_e32 v11, 3, v17
	v_subrev_u32_e32 v14, 28, v12
	v_and_b32_e32 v11, 15, v11
	v_lshlrev_b32_e32 v14, v14, v17
	v_sub_u32_e32 v12, 29, v12
	v_and_b32_e32 v14, 7, v14
	v_cmp_eq_u16_e32 vcc, 0, v11
	v_cndmask_b32_e32 v10, v10, v14, vcc
	v_cndmask_b32_e32 v11, v11, v12, vcc
	v_lshlrev_b32_e32 v12, 24, v17
	v_mov_b32_e32 v14, 0x3b800000
	v_lshlrev_b32_e32 v10, 20, v10
	v_and_b32_e32 v12, 0x80000000, v12
	v_lshl_add_u32 v11, v11, 23, v14
	v_or3_b32 v10, v12, v11, v10
.LBB52_612:
	s_or_b64 exec, exec, s[6:7]
	s_movk_i32 s4, 0x7f
	v_cmp_gt_i16_sdwa s[6:7], v13, s4 src0_sel:BYTE_0 src1_sel:DWORD
	s_mov_b64 s[4:5], 0
                                        ; implicit-def: $sgpr10
	s_and_saveexec_b64 s[8:9], s[6:7]
	s_xor_b64 s[6:7], exec, s[8:9]
	s_cbranch_execnz .LBB52_2661
; %bb.613:
	s_or_saveexec_b64 s[6:7], s[6:7]
	v_mov_b32_e32 v11, s10
	s_xor_b64 exec, exec, s[6:7]
	s_cbranch_execnz .LBB52_2664
.LBB52_614:
	s_or_b64 exec, exec, s[6:7]
	s_and_saveexec_b64 s[6:7], s[4:5]
	s_cbranch_execz .LBB52_616
.LBB52_615:
	v_and_b32_e32 v11, 7, v13
	v_ffbh_u32_e32 v14, v11
	v_min_u32_e32 v14, 32, v14
	v_lshrrev_b16_e32 v12, 3, v13
	v_subrev_u32_e32 v15, 28, v14
	v_and_b32_e32 v12, 15, v12
	v_lshlrev_b32_e32 v15, v15, v13
	v_sub_u32_e32 v14, 29, v14
	v_and_b32_e32 v15, 7, v15
	v_cmp_eq_u16_e32 vcc, 0, v12
	v_cndmask_b32_e32 v11, v11, v15, vcc
	v_cndmask_b32_e32 v12, v12, v14, vcc
	v_lshlrev_b32_e32 v14, 24, v13
	v_mov_b32_e32 v15, 0x3b800000
	v_lshlrev_b32_e32 v11, 20, v11
	v_and_b32_e32 v14, 0x80000000, v14
	v_lshl_add_u32 v12, v12, 23, v15
	v_or3_b32 v11, v14, v12, v11
.LBB52_616:
	s_or_b64 exec, exec, s[6:7]
	s_nop 0
	v_mfma_f32_16x16x4f32 a[0:3], v10, v11, a[0:3]
	v_lshrrev_b32_e32 v11, 8, v17
	s_movk_i32 s4, 0x7f
	v_cmp_gt_i16_sdwa s[6:7], v11, s4 src0_sel:BYTE_0 src1_sel:DWORD
	s_mov_b64 s[4:5], 0
                                        ; implicit-def: $sgpr10
	s_and_saveexec_b64 s[8:9], s[6:7]
	s_xor_b64 s[6:7], exec, s[8:9]
	s_cbranch_execnz .LBB52_2665
; %bb.617:
	s_or_saveexec_b64 s[6:7], s[6:7]
	v_mov_b32_e32 v10, s10
	s_xor_b64 exec, exec, s[6:7]
	s_cbranch_execnz .LBB52_2668
.LBB52_618:
	s_or_b64 exec, exec, s[6:7]
	s_and_saveexec_b64 s[6:7], s[4:5]
	s_cbranch_execz .LBB52_620
.LBB52_619:
	v_bfe_u32 v10, v17, 8, 3
	v_ffbh_u32_e32 v14, v10
	v_min_u32_e32 v14, 32, v14
	v_lshrrev_b16_e32 v12, 3, v11
	v_subrev_u32_e32 v15, 28, v14
	v_and_b32_e32 v12, 15, v12
	v_lshlrev_b32_e32 v11, v15, v11
	v_sub_u32_e32 v14, 29, v14
	v_and_b32_e32 v11, 7, v11
	v_cmp_eq_u16_e32 vcc, 0, v12
	v_cndmask_b32_e32 v10, v10, v11, vcc
	v_cndmask_b32_e32 v11, v12, v14, vcc
	v_lshlrev_b32_e32 v12, 16, v17
	v_mov_b32_e32 v14, 0x3b800000
	v_lshlrev_b32_e32 v10, 20, v10
	v_and_b32_e32 v12, 0x80000000, v12
	v_lshl_add_u32 v11, v11, 23, v14
	v_or3_b32 v10, v12, v11, v10
.LBB52_620:
	s_or_b64 exec, exec, s[6:7]
	v_lshrrev_b32_e32 v11, 8, v13
	s_movk_i32 s4, 0x7f
	v_cmp_gt_i16_sdwa s[6:7], v11, s4 src0_sel:BYTE_0 src1_sel:DWORD
	s_mov_b64 s[4:5], 0
                                        ; implicit-def: $sgpr10
	s_and_saveexec_b64 s[8:9], s[6:7]
	s_xor_b64 s[6:7], exec, s[8:9]
	s_cbranch_execnz .LBB52_2669
; %bb.621:
	s_or_saveexec_b64 s[6:7], s[6:7]
	v_mov_b32_e32 v12, s10
	s_xor_b64 exec, exec, s[6:7]
	s_cbranch_execnz .LBB52_2672
.LBB52_622:
	s_or_b64 exec, exec, s[6:7]
	s_and_saveexec_b64 s[6:7], s[4:5]
	s_cbranch_execz .LBB52_624
.LBB52_623:
	v_bfe_u32 v12, v13, 8, 3
	v_ffbh_u32_e32 v15, v12
	v_min_u32_e32 v15, 32, v15
	v_lshrrev_b16_e32 v14, 3, v11
	v_subrev_u32_e32 v16, 28, v15
	v_and_b32_e32 v14, 15, v14
	v_lshlrev_b32_e32 v11, v16, v11
	v_sub_u32_e32 v15, 29, v15
	v_and_b32_e32 v11, 7, v11
	v_cmp_eq_u16_e32 vcc, 0, v14
	v_cndmask_b32_e32 v11, v12, v11, vcc
	v_cndmask_b32_e32 v12, v14, v15, vcc
	v_lshlrev_b32_e32 v14, 16, v13
	v_mov_b32_e32 v15, 0x3b800000
	v_lshlrev_b32_e32 v11, 20, v11
	v_and_b32_e32 v14, 0x80000000, v14
	v_lshl_add_u32 v12, v12, 23, v15
	v_or3_b32 v12, v14, v12, v11
.LBB52_624:
	s_or_b64 exec, exec, s[6:7]
	s_nop 0
	v_mfma_f32_16x16x4f32 a[0:3], v10, v12, a[0:3]
	s_movk_i32 s4, 0xff
	v_and_b32_sdwa v11, v17, s4 dst_sel:DWORD dst_unused:UNUSED_PAD src0_sel:WORD_1 src1_sel:DWORD
	s_movk_i32 s4, 0x7f
	v_cmp_lt_i16_e32 vcc, s4, v11
	s_mov_b64 s[4:5], 0
                                        ; implicit-def: $sgpr10
	s_and_saveexec_b64 s[6:7], vcc
	s_xor_b64 s[6:7], exec, s[6:7]
	s_cbranch_execnz .LBB52_2673
; %bb.625:
	s_or_saveexec_b64 s[6:7], s[6:7]
	v_mov_b32_e32 v10, s10
	s_xor_b64 exec, exec, s[6:7]
	s_cbranch_execnz .LBB52_2676
.LBB52_626:
	s_or_b64 exec, exec, s[6:7]
	s_and_saveexec_b64 s[6:7], s[4:5]
	s_cbranch_execz .LBB52_628
.LBB52_627:
	v_bfe_u32 v10, v17, 16, 3
	v_ffbh_u32_e32 v14, v10
	v_min_u32_e32 v14, 32, v14
	v_lshrrev_b32_e32 v11, 19, v17
	v_subrev_u32_e32 v15, 28, v14
	v_and_b32_e32 v11, 15, v11
	v_lshlrev_b32_sdwa v15, v15, v17 dst_sel:DWORD dst_unused:UNUSED_PAD src0_sel:DWORD src1_sel:WORD_1
	v_bfe_u32 v12, v17, 19, 4
	v_sub_u32_e32 v14, 29, v14
	v_and_b32_e32 v15, 7, v15
	v_cmp_eq_u16_e32 vcc, 0, v11
	v_cndmask_b32_e32 v10, v10, v15, vcc
	v_cndmask_b32_e32 v11, v12, v14, vcc
	v_lshlrev_b32_e32 v12, 8, v17
	v_mov_b32_e32 v14, 0x3b800000
	v_lshlrev_b32_e32 v10, 20, v10
	v_and_b32_e32 v12, 0x80000000, v12
	v_lshl_add_u32 v11, v11, 23, v14
	v_or3_b32 v10, v12, v11, v10
.LBB52_628:
	s_or_b64 exec, exec, s[6:7]
	s_movk_i32 s4, 0xff
	v_and_b32_sdwa v11, v13, s4 dst_sel:DWORD dst_unused:UNUSED_PAD src0_sel:WORD_1 src1_sel:DWORD
	s_movk_i32 s4, 0x7f
	v_cmp_lt_i16_e32 vcc, s4, v11
	s_mov_b64 s[4:5], 0
                                        ; implicit-def: $sgpr10
	s_and_saveexec_b64 s[6:7], vcc
	s_xor_b64 s[6:7], exec, s[6:7]
	s_cbranch_execnz .LBB52_2677
; %bb.629:
	s_or_saveexec_b64 s[6:7], s[6:7]
	v_mov_b32_e32 v12, s10
	s_xor_b64 exec, exec, s[6:7]
	s_cbranch_execnz .LBB52_2680
.LBB52_630:
	s_or_b64 exec, exec, s[6:7]
	s_and_saveexec_b64 s[6:7], s[4:5]
	s_cbranch_execz .LBB52_632
.LBB52_631:
	v_bfe_u32 v11, v13, 16, 3
	v_ffbh_u32_e32 v15, v11
	v_min_u32_e32 v15, 32, v15
	v_lshrrev_b32_e32 v12, 19, v13
	v_subrev_u32_e32 v16, 28, v15
	v_and_b32_e32 v12, 15, v12
	v_lshlrev_b32_sdwa v16, v16, v13 dst_sel:DWORD dst_unused:UNUSED_PAD src0_sel:DWORD src1_sel:WORD_1
	v_bfe_u32 v14, v13, 19, 4
	v_sub_u32_e32 v15, 29, v15
	v_and_b32_e32 v16, 7, v16
	v_cmp_eq_u16_e32 vcc, 0, v12
	v_cndmask_b32_e32 v11, v11, v16, vcc
	v_cndmask_b32_e32 v12, v14, v15, vcc
	v_lshlrev_b32_e32 v14, 8, v13
	v_mov_b32_e32 v15, 0x3b800000
	v_lshlrev_b32_e32 v11, 20, v11
	v_and_b32_e32 v14, 0x80000000, v14
	v_lshl_add_u32 v12, v12, 23, v15
	v_or3_b32 v12, v14, v12, v11
.LBB52_632:
	s_or_b64 exec, exec, s[6:7]
	s_nop 0
	v_mfma_f32_16x16x4f32 a[0:3], v10, v12, a[0:3]
	s_movk_i32 s4, 0x7f
	v_cmp_gt_i16_sdwa s[6:7], v17, s4 src0_sel:BYTE_3 src1_sel:DWORD
	s_mov_b64 s[4:5], 0
                                        ; implicit-def: $sgpr10
	s_and_saveexec_b64 s[8:9], s[6:7]
	s_xor_b64 s[6:7], exec, s[8:9]
	s_cbranch_execnz .LBB52_2681
; %bb.633:
	s_or_saveexec_b64 s[6:7], s[6:7]
	v_mov_b32_e32 v10, s10
	s_xor_b64 exec, exec, s[6:7]
	s_cbranch_execnz .LBB52_2684
.LBB52_634:
	s_or_b64 exec, exec, s[6:7]
	s_and_saveexec_b64 s[6:7], s[4:5]
	s_cbranch_execz .LBB52_636
.LBB52_635:
	v_bfe_u32 v10, v17, 24, 3
	v_ffbh_u32_e32 v15, v10
	v_min_u32_e32 v15, 32, v15
	v_lshrrev_b32_e32 v12, 27, v17
	v_subrev_u32_e32 v16, 28, v15
	v_and_b32_e32 v12, 15, v12
	v_lshlrev_b32_sdwa v16, v16, v17 dst_sel:DWORD dst_unused:UNUSED_PAD src0_sel:DWORD src1_sel:BYTE_3
	v_bfe_u32 v14, v17, 27, 4
	v_sub_u32_e32 v15, 29, v15
	v_and_b32_e32 v16, 7, v16
	v_cmp_eq_u16_e32 vcc, 0, v12
	v_cndmask_b32_e32 v10, v10, v16, vcc
	v_cndmask_b32_e32 v12, v14, v15, vcc
	v_mov_b32_e32 v14, 0x3b800000
	v_and_b32_e32 v11, 0x80000000, v17
	v_lshlrev_b32_e32 v10, 20, v10
	v_lshl_add_u32 v12, v12, 23, v14
	v_or3_b32 v10, v11, v12, v10
.LBB52_636:
	s_or_b64 exec, exec, s[6:7]
	s_movk_i32 s4, 0x7f
	v_cmp_gt_i16_sdwa s[6:7], v13, s4 src0_sel:BYTE_3 src1_sel:DWORD
	s_mov_b64 s[4:5], 0
                                        ; implicit-def: $sgpr10
	s_and_saveexec_b64 s[8:9], s[6:7]
	s_xor_b64 s[6:7], exec, s[8:9]
	s_cbranch_execnz .LBB52_2685
; %bb.637:
	s_or_saveexec_b64 s[6:7], s[6:7]
	v_mov_b32_e32 v11, s10
	s_xor_b64 exec, exec, s[6:7]
	s_cbranch_execnz .LBB52_2688
.LBB52_638:
	s_or_b64 exec, exec, s[6:7]
	s_and_saveexec_b64 s[6:7], s[4:5]
	s_cbranch_execz .LBB52_640
.LBB52_639:
	v_bfe_u32 v11, v13, 24, 3
	v_ffbh_u32_e32 v16, v11
	v_min_u32_e32 v16, 32, v16
	v_lshrrev_b32_e32 v14, 27, v13
	v_subrev_u32_e32 v17, 28, v16
	v_and_b32_e32 v12, 0x80000000, v13
	v_and_b32_e32 v14, 15, v14
	v_bfe_u32 v15, v13, 27, 4
	v_lshlrev_b32_sdwa v13, v17, v13 dst_sel:DWORD dst_unused:UNUSED_PAD src0_sel:DWORD src1_sel:BYTE_3
	v_sub_u32_e32 v16, 29, v16
	v_and_b32_e32 v13, 7, v13
	v_cmp_eq_u16_e32 vcc, 0, v14
	v_cndmask_b32_e32 v11, v11, v13, vcc
	v_cndmask_b32_e32 v13, v15, v16, vcc
	v_mov_b32_e32 v14, 0x3b800000
	v_lshlrev_b32_e32 v11, 20, v11
	v_lshl_add_u32 v13, v13, 23, v14
	v_or3_b32 v11, v12, v13, v11
.LBB52_640:
	s_or_b64 exec, exec, s[6:7]
	s_nop 0
	v_mfma_f32_16x16x4f32 a[0:3], v10, v11, a[0:3]
	s_movk_i32 s4, 0x7f
	v_cmp_gt_i16_sdwa s[6:7], v6, s4 src0_sel:BYTE_0 src1_sel:DWORD
	s_mov_b64 s[4:5], 0
                                        ; implicit-def: $sgpr10
	s_and_saveexec_b64 s[8:9], s[6:7]
	s_xor_b64 s[6:7], exec, s[8:9]
	s_cbranch_execnz .LBB52_2689
; %bb.641:
	s_or_saveexec_b64 s[6:7], s[6:7]
	v_mov_b32_e32 v10, s10
	s_xor_b64 exec, exec, s[6:7]
	s_cbranch_execnz .LBB52_2692
.LBB52_642:
	s_or_b64 exec, exec, s[6:7]
	s_and_saveexec_b64 s[6:7], s[4:5]
	s_cbranch_execz .LBB52_644
.LBB52_643:
	v_and_b32_e32 v10, 7, v6
	v_ffbh_u32_e32 v12, v10
	v_min_u32_e32 v12, 32, v12
	v_lshrrev_b16_e32 v11, 3, v6
	v_subrev_u32_e32 v13, 28, v12
	v_and_b32_e32 v11, 15, v11
	v_lshlrev_b32_e32 v13, v13, v6
	v_sub_u32_e32 v12, 29, v12
	v_and_b32_e32 v13, 7, v13
	v_cmp_eq_u16_e32 vcc, 0, v11
	v_cndmask_b32_e32 v10, v10, v13, vcc
	v_cndmask_b32_e32 v11, v11, v12, vcc
	v_lshlrev_b32_e32 v12, 24, v6
	v_mov_b32_e32 v13, 0x3b800000
	v_lshlrev_b32_e32 v10, 20, v10
	v_and_b32_e32 v12, 0x80000000, v12
	v_lshl_add_u32 v11, v11, 23, v13
	v_or3_b32 v10, v12, v11, v10
.LBB52_644:
	s_or_b64 exec, exec, s[6:7]
	s_movk_i32 s4, 0x7f
	v_cmp_gt_i16_sdwa s[6:7], v2, s4 src0_sel:BYTE_0 src1_sel:DWORD
	s_mov_b64 s[4:5], 0
                                        ; implicit-def: $sgpr10
	s_and_saveexec_b64 s[8:9], s[6:7]
	s_xor_b64 s[6:7], exec, s[8:9]
	s_cbranch_execnz .LBB52_2693
; %bb.645:
	s_or_saveexec_b64 s[6:7], s[6:7]
	v_mov_b32_e32 v11, s10
	s_xor_b64 exec, exec, s[6:7]
	s_cbranch_execnz .LBB52_2696
.LBB52_646:
	s_or_b64 exec, exec, s[6:7]
	s_and_saveexec_b64 s[6:7], s[4:5]
	s_cbranch_execz .LBB52_648
.LBB52_647:
	v_and_b32_e32 v11, 7, v2
	v_ffbh_u32_e32 v13, v11
	v_min_u32_e32 v13, 32, v13
	v_lshrrev_b16_e32 v12, 3, v2
	v_subrev_u32_e32 v14, 28, v13
	v_and_b32_e32 v12, 15, v12
	v_lshlrev_b32_e32 v14, v14, v2
	v_sub_u32_e32 v13, 29, v13
	v_and_b32_e32 v14, 7, v14
	v_cmp_eq_u16_e32 vcc, 0, v12
	v_cndmask_b32_e32 v11, v11, v14, vcc
	v_cndmask_b32_e32 v12, v12, v13, vcc
	v_lshlrev_b32_e32 v13, 24, v2
	v_mov_b32_e32 v14, 0x3b800000
	v_lshlrev_b32_e32 v11, 20, v11
	v_and_b32_e32 v13, 0x80000000, v13
	v_lshl_add_u32 v12, v12, 23, v14
	v_or3_b32 v11, v13, v12, v11
.LBB52_648:
	s_or_b64 exec, exec, s[6:7]
	s_nop 0
	v_mfma_f32_16x16x4f32 a[0:3], v10, v11, a[0:3]
	v_lshrrev_b32_e32 v11, 8, v6
	s_movk_i32 s4, 0x7f
	v_cmp_gt_i16_sdwa s[6:7], v11, s4 src0_sel:BYTE_0 src1_sel:DWORD
	s_mov_b64 s[4:5], 0
                                        ; implicit-def: $sgpr10
	s_and_saveexec_b64 s[8:9], s[6:7]
	s_xor_b64 s[6:7], exec, s[8:9]
	s_cbranch_execnz .LBB52_2697
; %bb.649:
	s_or_saveexec_b64 s[6:7], s[6:7]
	v_mov_b32_e32 v10, s10
	s_xor_b64 exec, exec, s[6:7]
	s_cbranch_execnz .LBB52_2700
.LBB52_650:
	s_or_b64 exec, exec, s[6:7]
	s_and_saveexec_b64 s[6:7], s[4:5]
	s_cbranch_execz .LBB52_652
.LBB52_651:
	v_bfe_u32 v10, v6, 8, 3
	v_ffbh_u32_e32 v13, v10
	v_min_u32_e32 v13, 32, v13
	v_lshrrev_b16_e32 v12, 3, v11
	v_subrev_u32_e32 v14, 28, v13
	v_and_b32_e32 v12, 15, v12
	v_lshlrev_b32_e32 v11, v14, v11
	v_sub_u32_e32 v13, 29, v13
	v_and_b32_e32 v11, 7, v11
	v_cmp_eq_u16_e32 vcc, 0, v12
	v_cndmask_b32_e32 v10, v10, v11, vcc
	v_cndmask_b32_e32 v11, v12, v13, vcc
	v_lshlrev_b32_e32 v12, 16, v6
	v_mov_b32_e32 v13, 0x3b800000
	v_lshlrev_b32_e32 v10, 20, v10
	v_and_b32_e32 v12, 0x80000000, v12
	v_lshl_add_u32 v11, v11, 23, v13
	v_or3_b32 v10, v12, v11, v10
.LBB52_652:
	s_or_b64 exec, exec, s[6:7]
	v_lshrrev_b32_e32 v11, 8, v2
	s_movk_i32 s4, 0x7f
	v_cmp_gt_i16_sdwa s[6:7], v11, s4 src0_sel:BYTE_0 src1_sel:DWORD
	s_mov_b64 s[4:5], 0
                                        ; implicit-def: $sgpr10
	s_and_saveexec_b64 s[8:9], s[6:7]
	s_xor_b64 s[6:7], exec, s[8:9]
	s_cbranch_execnz .LBB52_2701
; %bb.653:
	s_or_saveexec_b64 s[6:7], s[6:7]
	v_mov_b32_e32 v12, s10
	s_xor_b64 exec, exec, s[6:7]
	s_cbranch_execnz .LBB52_2704
.LBB52_654:
	s_or_b64 exec, exec, s[6:7]
	s_and_saveexec_b64 s[6:7], s[4:5]
	s_cbranch_execz .LBB52_656
.LBB52_655:
	v_bfe_u32 v12, v2, 8, 3
	v_ffbh_u32_e32 v14, v12
	v_min_u32_e32 v14, 32, v14
	v_lshrrev_b16_e32 v13, 3, v11
	v_subrev_u32_e32 v15, 28, v14
	v_and_b32_e32 v13, 15, v13
	v_lshlrev_b32_e32 v11, v15, v11
	v_sub_u32_e32 v14, 29, v14
	v_and_b32_e32 v11, 7, v11
	v_cmp_eq_u16_e32 vcc, 0, v13
	v_cndmask_b32_e32 v11, v12, v11, vcc
	v_cndmask_b32_e32 v12, v13, v14, vcc
	v_lshlrev_b32_e32 v13, 16, v2
	v_mov_b32_e32 v14, 0x3b800000
	v_lshlrev_b32_e32 v11, 20, v11
	v_and_b32_e32 v13, 0x80000000, v13
	v_lshl_add_u32 v12, v12, 23, v14
	v_or3_b32 v12, v13, v12, v11
.LBB52_656:
	s_or_b64 exec, exec, s[6:7]
	s_nop 0
	v_mfma_f32_16x16x4f32 a[0:3], v10, v12, a[0:3]
	s_movk_i32 s4, 0xff
	v_and_b32_sdwa v11, v6, s4 dst_sel:DWORD dst_unused:UNUSED_PAD src0_sel:WORD_1 src1_sel:DWORD
	s_movk_i32 s4, 0x7f
	v_cmp_lt_i16_e32 vcc, s4, v11
	s_mov_b64 s[4:5], 0
                                        ; implicit-def: $sgpr10
	s_and_saveexec_b64 s[6:7], vcc
	s_xor_b64 s[6:7], exec, s[6:7]
	s_cbranch_execnz .LBB52_2705
; %bb.657:
	s_or_saveexec_b64 s[6:7], s[6:7]
	v_mov_b32_e32 v10, s10
	s_xor_b64 exec, exec, s[6:7]
	s_cbranch_execnz .LBB52_2708
.LBB52_658:
	s_or_b64 exec, exec, s[6:7]
	s_and_saveexec_b64 s[6:7], s[4:5]
	s_cbranch_execz .LBB52_660
.LBB52_659:
	v_bfe_u32 v10, v6, 16, 3
	v_ffbh_u32_e32 v13, v10
	v_min_u32_e32 v13, 32, v13
	v_lshrrev_b32_e32 v11, 19, v6
	v_subrev_u32_e32 v14, 28, v13
	v_and_b32_e32 v11, 15, v11
	v_lshlrev_b32_sdwa v14, v14, v6 dst_sel:DWORD dst_unused:UNUSED_PAD src0_sel:DWORD src1_sel:WORD_1
	v_bfe_u32 v12, v6, 19, 4
	v_sub_u32_e32 v13, 29, v13
	v_and_b32_e32 v14, 7, v14
	v_cmp_eq_u16_e32 vcc, 0, v11
	v_cndmask_b32_e32 v10, v10, v14, vcc
	v_cndmask_b32_e32 v11, v12, v13, vcc
	v_lshlrev_b32_e32 v12, 8, v6
	v_mov_b32_e32 v13, 0x3b800000
	v_lshlrev_b32_e32 v10, 20, v10
	v_and_b32_e32 v12, 0x80000000, v12
	v_lshl_add_u32 v11, v11, 23, v13
	v_or3_b32 v10, v12, v11, v10
.LBB52_660:
	s_or_b64 exec, exec, s[6:7]
	s_movk_i32 s4, 0xff
	v_and_b32_sdwa v11, v2, s4 dst_sel:DWORD dst_unused:UNUSED_PAD src0_sel:WORD_1 src1_sel:DWORD
	s_movk_i32 s4, 0x7f
	v_cmp_lt_i16_e32 vcc, s4, v11
	s_mov_b64 s[4:5], 0
                                        ; implicit-def: $sgpr10
	s_and_saveexec_b64 s[6:7], vcc
	s_xor_b64 s[6:7], exec, s[6:7]
	s_cbranch_execnz .LBB52_2709
; %bb.661:
	s_or_saveexec_b64 s[6:7], s[6:7]
	v_mov_b32_e32 v12, s10
	s_xor_b64 exec, exec, s[6:7]
	s_cbranch_execnz .LBB52_2712
.LBB52_662:
	s_or_b64 exec, exec, s[6:7]
	s_and_saveexec_b64 s[6:7], s[4:5]
	s_cbranch_execz .LBB52_664
.LBB52_663:
	v_bfe_u32 v11, v2, 16, 3
	v_ffbh_u32_e32 v14, v11
	v_min_u32_e32 v14, 32, v14
	v_lshrrev_b32_e32 v12, 19, v2
	v_subrev_u32_e32 v15, 28, v14
	v_and_b32_e32 v12, 15, v12
	v_lshlrev_b32_sdwa v15, v15, v2 dst_sel:DWORD dst_unused:UNUSED_PAD src0_sel:DWORD src1_sel:WORD_1
	v_bfe_u32 v13, v2, 19, 4
	v_sub_u32_e32 v14, 29, v14
	v_and_b32_e32 v15, 7, v15
	v_cmp_eq_u16_e32 vcc, 0, v12
	v_cndmask_b32_e32 v11, v11, v15, vcc
	v_cndmask_b32_e32 v12, v13, v14, vcc
	v_lshlrev_b32_e32 v13, 8, v2
	v_mov_b32_e32 v14, 0x3b800000
	v_lshlrev_b32_e32 v11, 20, v11
	v_and_b32_e32 v13, 0x80000000, v13
	v_lshl_add_u32 v12, v12, 23, v14
	v_or3_b32 v12, v13, v12, v11
.LBB52_664:
	s_or_b64 exec, exec, s[6:7]
	s_nop 0
	v_mfma_f32_16x16x4f32 a[0:3], v10, v12, a[0:3]
	s_movk_i32 s4, 0x7f
	v_cmp_gt_i16_sdwa s[6:7], v6, s4 src0_sel:BYTE_3 src1_sel:DWORD
	s_mov_b64 s[4:5], 0
                                        ; implicit-def: $sgpr10
	s_and_saveexec_b64 s[8:9], s[6:7]
	s_xor_b64 s[6:7], exec, s[8:9]
	s_cbranch_execnz .LBB52_2713
; %bb.665:
	s_or_saveexec_b64 s[6:7], s[6:7]
	v_mov_b32_e32 v10, s10
	s_xor_b64 exec, exec, s[6:7]
	s_cbranch_execnz .LBB52_2716
.LBB52_666:
	s_or_b64 exec, exec, s[6:7]
	s_and_saveexec_b64 s[6:7], s[4:5]
	s_cbranch_execz .LBB52_668
.LBB52_667:
	v_bfe_u32 v10, v6, 24, 3
	v_ffbh_u32_e32 v14, v10
	v_min_u32_e32 v14, 32, v14
	v_lshrrev_b32_e32 v12, 27, v6
	v_subrev_u32_e32 v15, 28, v14
	v_and_b32_e32 v11, 0x80000000, v6
	v_and_b32_e32 v12, 15, v12
	v_bfe_u32 v13, v6, 27, 4
	v_lshlrev_b32_sdwa v6, v15, v6 dst_sel:DWORD dst_unused:UNUSED_PAD src0_sel:DWORD src1_sel:BYTE_3
	v_sub_u32_e32 v14, 29, v14
	v_and_b32_e32 v6, 7, v6
	v_cmp_eq_u16_e32 vcc, 0, v12
	v_cndmask_b32_e32 v6, v10, v6, vcc
	v_cndmask_b32_e32 v10, v13, v14, vcc
	v_mov_b32_e32 v12, 0x3b800000
	v_lshlrev_b32_e32 v6, 20, v6
	v_lshl_add_u32 v10, v10, 23, v12
	v_or3_b32 v10, v11, v10, v6
.LBB52_668:
	s_or_b64 exec, exec, s[6:7]
	s_movk_i32 s4, 0x7f
	v_cmp_gt_i16_sdwa s[6:7], v2, s4 src0_sel:BYTE_3 src1_sel:DWORD
	s_mov_b64 s[4:5], 0
                                        ; implicit-def: $sgpr10
	s_and_saveexec_b64 s[8:9], s[6:7]
	s_xor_b64 s[6:7], exec, s[8:9]
	s_cbranch_execnz .LBB52_2717
; %bb.669:
	s_or_saveexec_b64 s[6:7], s[6:7]
	v_mov_b32_e32 v6, s10
	s_xor_b64 exec, exec, s[6:7]
	s_cbranch_execnz .LBB52_2720
.LBB52_670:
	s_or_b64 exec, exec, s[6:7]
	s_and_saveexec_b64 s[6:7], s[4:5]
	s_cbranch_execz .LBB52_672
.LBB52_671:
	v_bfe_u32 v6, v2, 24, 3
	v_ffbh_u32_e32 v14, v6
	v_min_u32_e32 v14, 32, v14
	v_lshrrev_b32_e32 v12, 27, v2
	v_subrev_u32_e32 v15, 28, v14
	v_and_b32_e32 v11, 0x80000000, v2
	v_and_b32_e32 v12, 15, v12
	v_bfe_u32 v13, v2, 27, 4
	v_lshlrev_b32_sdwa v2, v15, v2 dst_sel:DWORD dst_unused:UNUSED_PAD src0_sel:DWORD src1_sel:BYTE_3
	v_sub_u32_e32 v14, 29, v14
	v_and_b32_e32 v2, 7, v2
	v_cmp_eq_u16_e32 vcc, 0, v12
	v_cndmask_b32_e32 v2, v6, v2, vcc
	v_cndmask_b32_e32 v6, v13, v14, vcc
	v_mov_b32_e32 v12, 0x3b800000
	v_lshlrev_b32_e32 v2, 20, v2
	v_lshl_add_u32 v6, v6, 23, v12
	v_or3_b32 v6, v11, v6, v2
.LBB52_672:
	s_or_b64 exec, exec, s[6:7]
	s_nop 0
	v_mfma_f32_16x16x4f32 a[0:3], v10, v6, a[0:3]
	s_movk_i32 s4, 0x7f
	v_cmp_gt_i16_sdwa s[6:7], v7, s4 src0_sel:BYTE_0 src1_sel:DWORD
	s_mov_b64 s[4:5], 0
                                        ; implicit-def: $sgpr10
	s_and_saveexec_b64 s[8:9], s[6:7]
	s_xor_b64 s[6:7], exec, s[8:9]
	s_cbranch_execnz .LBB52_2721
; %bb.673:
	s_or_saveexec_b64 s[6:7], s[6:7]
	v_mov_b32_e32 v2, s10
	s_xor_b64 exec, exec, s[6:7]
	s_cbranch_execnz .LBB52_2724
.LBB52_674:
	s_or_b64 exec, exec, s[6:7]
	s_and_saveexec_b64 s[6:7], s[4:5]
	s_cbranch_execz .LBB52_676
.LBB52_675:
	v_and_b32_e32 v2, 7, v7
	v_ffbh_u32_e32 v10, v2
	v_min_u32_e32 v10, 32, v10
	v_lshrrev_b16_e32 v6, 3, v7
	v_subrev_u32_e32 v11, 28, v10
	v_and_b32_e32 v6, 15, v6
	v_lshlrev_b32_e32 v11, v11, v7
	v_sub_u32_e32 v10, 29, v10
	v_and_b32_e32 v11, 7, v11
	v_cmp_eq_u16_e32 vcc, 0, v6
	v_cndmask_b32_e32 v2, v2, v11, vcc
	v_cndmask_b32_e32 v6, v6, v10, vcc
	v_lshlrev_b32_e32 v10, 24, v7
	v_mov_b32_e32 v11, 0x3b800000
	v_lshlrev_b32_e32 v2, 20, v2
	v_and_b32_e32 v10, 0x80000000, v10
	v_lshl_add_u32 v6, v6, 23, v11
	v_or3_b32 v2, v10, v6, v2
.LBB52_676:
	s_or_b64 exec, exec, s[6:7]
	s_movk_i32 s4, 0x7f
	v_cmp_gt_i16_sdwa s[6:7], v3, s4 src0_sel:BYTE_0 src1_sel:DWORD
	s_mov_b64 s[4:5], 0
                                        ; implicit-def: $sgpr10
	s_and_saveexec_b64 s[8:9], s[6:7]
	s_xor_b64 s[6:7], exec, s[8:9]
	s_cbranch_execnz .LBB52_2725
; %bb.677:
	s_or_saveexec_b64 s[6:7], s[6:7]
	v_mov_b32_e32 v6, s10
	s_xor_b64 exec, exec, s[6:7]
	s_cbranch_execnz .LBB52_2728
.LBB52_678:
	s_or_b64 exec, exec, s[6:7]
	s_and_saveexec_b64 s[6:7], s[4:5]
	s_cbranch_execz .LBB52_680
.LBB52_679:
	v_and_b32_e32 v6, 7, v3
	v_ffbh_u32_e32 v11, v6
	v_min_u32_e32 v11, 32, v11
	v_lshrrev_b16_e32 v10, 3, v3
	v_subrev_u32_e32 v12, 28, v11
	v_and_b32_e32 v10, 15, v10
	v_lshlrev_b32_e32 v12, v12, v3
	v_sub_u32_e32 v11, 29, v11
	v_and_b32_e32 v12, 7, v12
	v_cmp_eq_u16_e32 vcc, 0, v10
	v_cndmask_b32_e32 v6, v6, v12, vcc
	v_cndmask_b32_e32 v10, v10, v11, vcc
	v_lshlrev_b32_e32 v11, 24, v3
	v_mov_b32_e32 v12, 0x3b800000
	v_lshlrev_b32_e32 v6, 20, v6
	v_and_b32_e32 v11, 0x80000000, v11
	v_lshl_add_u32 v10, v10, 23, v12
	v_or3_b32 v6, v11, v10, v6
.LBB52_680:
	s_or_b64 exec, exec, s[6:7]
	s_nop 0
	v_mfma_f32_16x16x4f32 a[0:3], v2, v6, a[0:3]
	v_lshrrev_b32_e32 v6, 8, v7
	s_movk_i32 s4, 0x7f
	v_cmp_gt_i16_sdwa s[6:7], v6, s4 src0_sel:BYTE_0 src1_sel:DWORD
	s_mov_b64 s[4:5], 0
                                        ; implicit-def: $sgpr10
	s_and_saveexec_b64 s[8:9], s[6:7]
	s_xor_b64 s[6:7], exec, s[8:9]
	s_cbranch_execnz .LBB52_2729
; %bb.681:
	s_or_saveexec_b64 s[6:7], s[6:7]
	v_mov_b32_e32 v2, s10
	s_xor_b64 exec, exec, s[6:7]
	s_cbranch_execnz .LBB52_2732
.LBB52_682:
	s_or_b64 exec, exec, s[6:7]
	s_and_saveexec_b64 s[6:7], s[4:5]
	s_cbranch_execz .LBB52_684
.LBB52_683:
	v_bfe_u32 v2, v7, 8, 3
	v_ffbh_u32_e32 v11, v2
	v_min_u32_e32 v11, 32, v11
	v_lshrrev_b16_e32 v10, 3, v6
	v_subrev_u32_e32 v12, 28, v11
	v_and_b32_e32 v10, 15, v10
	v_lshlrev_b32_e32 v6, v12, v6
	v_sub_u32_e32 v11, 29, v11
	v_and_b32_e32 v6, 7, v6
	v_cmp_eq_u16_e32 vcc, 0, v10
	v_cndmask_b32_e32 v2, v2, v6, vcc
	v_cndmask_b32_e32 v6, v10, v11, vcc
	v_lshlrev_b32_e32 v10, 16, v7
	v_mov_b32_e32 v11, 0x3b800000
	v_lshlrev_b32_e32 v2, 20, v2
	v_and_b32_e32 v10, 0x80000000, v10
	v_lshl_add_u32 v6, v6, 23, v11
	v_or3_b32 v2, v10, v6, v2
.LBB52_684:
	s_or_b64 exec, exec, s[6:7]
	v_lshrrev_b32_e32 v6, 8, v3
	s_movk_i32 s4, 0x7f
	v_cmp_gt_i16_sdwa s[6:7], v6, s4 src0_sel:BYTE_0 src1_sel:DWORD
	s_mov_b64 s[4:5], 0
                                        ; implicit-def: $sgpr10
	s_and_saveexec_b64 s[8:9], s[6:7]
	s_xor_b64 s[6:7], exec, s[8:9]
	s_cbranch_execnz .LBB52_2733
; %bb.685:
	s_or_saveexec_b64 s[6:7], s[6:7]
	v_mov_b32_e32 v10, s10
	s_xor_b64 exec, exec, s[6:7]
	s_cbranch_execnz .LBB52_2736
.LBB52_686:
	s_or_b64 exec, exec, s[6:7]
	s_and_saveexec_b64 s[6:7], s[4:5]
	s_cbranch_execz .LBB52_688
.LBB52_687:
	v_bfe_u32 v10, v3, 8, 3
	v_ffbh_u32_e32 v12, v10
	v_min_u32_e32 v12, 32, v12
	v_lshrrev_b16_e32 v11, 3, v6
	v_subrev_u32_e32 v13, 28, v12
	v_and_b32_e32 v11, 15, v11
	v_lshlrev_b32_e32 v6, v13, v6
	v_sub_u32_e32 v12, 29, v12
	v_and_b32_e32 v6, 7, v6
	v_cmp_eq_u16_e32 vcc, 0, v11
	v_cndmask_b32_e32 v6, v10, v6, vcc
	v_cndmask_b32_e32 v10, v11, v12, vcc
	v_lshlrev_b32_e32 v11, 16, v3
	v_mov_b32_e32 v12, 0x3b800000
	v_lshlrev_b32_e32 v6, 20, v6
	v_and_b32_e32 v11, 0x80000000, v11
	v_lshl_add_u32 v10, v10, 23, v12
	v_or3_b32 v10, v11, v10, v6
.LBB52_688:
	s_or_b64 exec, exec, s[6:7]
	s_nop 0
	v_mfma_f32_16x16x4f32 a[0:3], v2, v10, a[0:3]
	s_movk_i32 s4, 0xff
	v_and_b32_sdwa v6, v7, s4 dst_sel:DWORD dst_unused:UNUSED_PAD src0_sel:WORD_1 src1_sel:DWORD
	s_movk_i32 s4, 0x7f
	v_cmp_lt_i16_e32 vcc, s4, v6
	s_mov_b64 s[4:5], 0
                                        ; implicit-def: $sgpr10
	s_and_saveexec_b64 s[6:7], vcc
	s_xor_b64 s[6:7], exec, s[6:7]
	s_cbranch_execnz .LBB52_2737
; %bb.689:
	s_or_saveexec_b64 s[6:7], s[6:7]
	v_mov_b32_e32 v2, s10
	s_xor_b64 exec, exec, s[6:7]
	s_cbranch_execnz .LBB52_2740
.LBB52_690:
	s_or_b64 exec, exec, s[6:7]
	s_and_saveexec_b64 s[6:7], s[4:5]
	s_cbranch_execz .LBB52_692
.LBB52_691:
	v_bfe_u32 v2, v7, 16, 3
	v_ffbh_u32_e32 v11, v2
	v_min_u32_e32 v11, 32, v11
	v_lshrrev_b32_e32 v6, 19, v7
	v_subrev_u32_e32 v12, 28, v11
	v_and_b32_e32 v6, 15, v6
	v_lshlrev_b32_sdwa v12, v12, v7 dst_sel:DWORD dst_unused:UNUSED_PAD src0_sel:DWORD src1_sel:WORD_1
	v_bfe_u32 v10, v7, 19, 4
	v_sub_u32_e32 v11, 29, v11
	v_and_b32_e32 v12, 7, v12
	v_cmp_eq_u16_e32 vcc, 0, v6
	v_cndmask_b32_e32 v2, v2, v12, vcc
	v_cndmask_b32_e32 v6, v10, v11, vcc
	v_lshlrev_b32_e32 v10, 8, v7
	v_mov_b32_e32 v11, 0x3b800000
	v_lshlrev_b32_e32 v2, 20, v2
	v_and_b32_e32 v10, 0x80000000, v10
	v_lshl_add_u32 v6, v6, 23, v11
	v_or3_b32 v2, v10, v6, v2
.LBB52_692:
	s_or_b64 exec, exec, s[6:7]
	s_movk_i32 s4, 0xff
	v_and_b32_sdwa v6, v3, s4 dst_sel:DWORD dst_unused:UNUSED_PAD src0_sel:WORD_1 src1_sel:DWORD
	s_movk_i32 s4, 0x7f
	v_cmp_lt_i16_e32 vcc, s4, v6
	s_mov_b64 s[4:5], 0
                                        ; implicit-def: $sgpr10
	s_and_saveexec_b64 s[6:7], vcc
	s_xor_b64 s[6:7], exec, s[6:7]
	s_cbranch_execnz .LBB52_2741
; %bb.693:
	s_or_saveexec_b64 s[6:7], s[6:7]
	v_mov_b32_e32 v10, s10
	s_xor_b64 exec, exec, s[6:7]
	s_cbranch_execnz .LBB52_2744
.LBB52_694:
	s_or_b64 exec, exec, s[6:7]
	s_and_saveexec_b64 s[6:7], s[4:5]
	s_cbranch_execz .LBB52_696
.LBB52_695:
	v_bfe_u32 v6, v3, 16, 3
	v_ffbh_u32_e32 v12, v6
	v_min_u32_e32 v12, 32, v12
	v_lshrrev_b32_e32 v10, 19, v3
	v_subrev_u32_e32 v13, 28, v12
	v_and_b32_e32 v10, 15, v10
	v_lshlrev_b32_sdwa v13, v13, v3 dst_sel:DWORD dst_unused:UNUSED_PAD src0_sel:DWORD src1_sel:WORD_1
	v_bfe_u32 v11, v3, 19, 4
	v_sub_u32_e32 v12, 29, v12
	v_and_b32_e32 v13, 7, v13
	v_cmp_eq_u16_e32 vcc, 0, v10
	v_cndmask_b32_e32 v6, v6, v13, vcc
	v_cndmask_b32_e32 v10, v11, v12, vcc
	v_lshlrev_b32_e32 v11, 8, v3
	v_mov_b32_e32 v12, 0x3b800000
	v_lshlrev_b32_e32 v6, 20, v6
	v_and_b32_e32 v11, 0x80000000, v11
	v_lshl_add_u32 v10, v10, 23, v12
	v_or3_b32 v10, v11, v10, v6
.LBB52_696:
	s_or_b64 exec, exec, s[6:7]
	s_nop 0
	v_mfma_f32_16x16x4f32 a[0:3], v2, v10, a[0:3]
	s_movk_i32 s4, 0x7f
	v_cmp_gt_i16_sdwa s[6:7], v7, s4 src0_sel:BYTE_3 src1_sel:DWORD
	s_mov_b64 s[4:5], 0
                                        ; implicit-def: $sgpr10
	s_and_saveexec_b64 s[8:9], s[6:7]
	s_xor_b64 s[6:7], exec, s[8:9]
	s_cbranch_execnz .LBB52_2745
; %bb.697:
	s_or_saveexec_b64 s[6:7], s[6:7]
	v_mov_b32_e32 v2, s10
	s_xor_b64 exec, exec, s[6:7]
	s_cbranch_execnz .LBB52_2748
.LBB52_698:
	s_or_b64 exec, exec, s[6:7]
	s_and_saveexec_b64 s[6:7], s[4:5]
	s_cbranch_execz .LBB52_700
.LBB52_699:
	v_bfe_u32 v2, v7, 24, 3
	v_ffbh_u32_e32 v12, v2
	v_min_u32_e32 v12, 32, v12
	v_lshrrev_b32_e32 v10, 27, v7
	v_subrev_u32_e32 v13, 28, v12
	v_and_b32_e32 v6, 0x80000000, v7
	v_and_b32_e32 v10, 15, v10
	v_bfe_u32 v11, v7, 27, 4
	v_lshlrev_b32_sdwa v7, v13, v7 dst_sel:DWORD dst_unused:UNUSED_PAD src0_sel:DWORD src1_sel:BYTE_3
	v_sub_u32_e32 v12, 29, v12
	v_and_b32_e32 v7, 7, v7
	v_cmp_eq_u16_e32 vcc, 0, v10
	v_cndmask_b32_e32 v2, v2, v7, vcc
	v_cndmask_b32_e32 v7, v11, v12, vcc
	v_mov_b32_e32 v10, 0x3b800000
	v_lshlrev_b32_e32 v2, 20, v2
	v_lshl_add_u32 v7, v7, 23, v10
	v_or3_b32 v2, v6, v7, v2
.LBB52_700:
	s_or_b64 exec, exec, s[6:7]
	s_movk_i32 s4, 0x7f
	v_cmp_gt_i16_sdwa s[6:7], v3, s4 src0_sel:BYTE_3 src1_sel:DWORD
	s_mov_b64 s[4:5], 0
                                        ; implicit-def: $sgpr10
	s_and_saveexec_b64 s[8:9], s[6:7]
	s_xor_b64 s[6:7], exec, s[8:9]
	s_cbranch_execnz .LBB52_2749
; %bb.701:
	s_or_saveexec_b64 s[6:7], s[6:7]
	v_mov_b32_e32 v6, s10
	s_xor_b64 exec, exec, s[6:7]
	s_cbranch_execnz .LBB52_2752
.LBB52_702:
	s_or_b64 exec, exec, s[6:7]
	s_and_saveexec_b64 s[6:7], s[4:5]
	s_cbranch_execz .LBB52_704
.LBB52_703:
	v_bfe_u32 v6, v3, 24, 3
	v_ffbh_u32_e32 v12, v6
	v_min_u32_e32 v12, 32, v12
	v_lshrrev_b32_e32 v10, 27, v3
	v_subrev_u32_e32 v13, 28, v12
	v_and_b32_e32 v7, 0x80000000, v3
	v_and_b32_e32 v10, 15, v10
	v_bfe_u32 v11, v3, 27, 4
	v_lshlrev_b32_sdwa v3, v13, v3 dst_sel:DWORD dst_unused:UNUSED_PAD src0_sel:DWORD src1_sel:BYTE_3
	v_sub_u32_e32 v12, 29, v12
	v_and_b32_e32 v3, 7, v3
	v_cmp_eq_u16_e32 vcc, 0, v10
	v_cndmask_b32_e32 v3, v6, v3, vcc
	v_cndmask_b32_e32 v6, v11, v12, vcc
	v_mov_b32_e32 v10, 0x3b800000
	v_lshlrev_b32_e32 v3, 20, v3
	v_lshl_add_u32 v6, v6, 23, v10
	v_or3_b32 v6, v7, v6, v3
.LBB52_704:
	s_or_b64 exec, exec, s[6:7]
	s_nop 0
	v_mfma_f32_16x16x4f32 a[0:3], v2, v6, a[0:3]
	s_movk_i32 s4, 0x7f
	v_cmp_gt_i16_sdwa s[6:7], v8, s4 src0_sel:BYTE_0 src1_sel:DWORD
	s_mov_b64 s[4:5], 0
                                        ; implicit-def: $sgpr10
	s_and_saveexec_b64 s[8:9], s[6:7]
	s_xor_b64 s[6:7], exec, s[8:9]
	s_cbranch_execnz .LBB52_2753
; %bb.705:
	s_or_saveexec_b64 s[6:7], s[6:7]
	v_mov_b32_e32 v2, s10
	s_xor_b64 exec, exec, s[6:7]
	s_cbranch_execnz .LBB52_2756
.LBB52_706:
	s_or_b64 exec, exec, s[6:7]
	s_and_saveexec_b64 s[6:7], s[4:5]
	s_cbranch_execz .LBB52_708
.LBB52_707:
	v_and_b32_e32 v2, 7, v8
	v_ffbh_u32_e32 v6, v2
	v_min_u32_e32 v6, 32, v6
	v_lshrrev_b16_e32 v3, 3, v8
	v_subrev_u32_e32 v7, 28, v6
	v_and_b32_e32 v3, 15, v3
	v_lshlrev_b32_e32 v7, v7, v8
	v_sub_u32_e32 v6, 29, v6
	v_and_b32_e32 v7, 7, v7
	v_cmp_eq_u16_e32 vcc, 0, v3
	v_cndmask_b32_e32 v2, v2, v7, vcc
	v_cndmask_b32_e32 v3, v3, v6, vcc
	v_lshlrev_b32_e32 v6, 24, v8
	v_mov_b32_e32 v7, 0x3b800000
	v_lshlrev_b32_e32 v2, 20, v2
	v_and_b32_e32 v6, 0x80000000, v6
	v_lshl_add_u32 v3, v3, 23, v7
	v_or3_b32 v2, v6, v3, v2
.LBB52_708:
	s_or_b64 exec, exec, s[6:7]
	s_movk_i32 s4, 0x7f
	v_cmp_gt_i16_sdwa s[6:7], v4, s4 src0_sel:BYTE_0 src1_sel:DWORD
	s_mov_b64 s[4:5], 0
                                        ; implicit-def: $sgpr10
	s_and_saveexec_b64 s[8:9], s[6:7]
	s_xor_b64 s[6:7], exec, s[8:9]
	s_cbranch_execnz .LBB52_2757
; %bb.709:
	s_or_saveexec_b64 s[6:7], s[6:7]
	v_mov_b32_e32 v3, s10
	s_xor_b64 exec, exec, s[6:7]
	s_cbranch_execnz .LBB52_2760
.LBB52_710:
	s_or_b64 exec, exec, s[6:7]
	s_and_saveexec_b64 s[6:7], s[4:5]
	s_cbranch_execz .LBB52_712
.LBB52_711:
	v_and_b32_e32 v3, 7, v4
	v_ffbh_u32_e32 v7, v3
	v_min_u32_e32 v7, 32, v7
	v_lshrrev_b16_e32 v6, 3, v4
	v_subrev_u32_e32 v10, 28, v7
	v_and_b32_e32 v6, 15, v6
	v_lshlrev_b32_e32 v10, v10, v4
	v_sub_u32_e32 v7, 29, v7
	v_and_b32_e32 v10, 7, v10
	v_cmp_eq_u16_e32 vcc, 0, v6
	v_cndmask_b32_e32 v3, v3, v10, vcc
	v_cndmask_b32_e32 v6, v6, v7, vcc
	v_lshlrev_b32_e32 v7, 24, v4
	v_mov_b32_e32 v10, 0x3b800000
	v_lshlrev_b32_e32 v3, 20, v3
	v_and_b32_e32 v7, 0x80000000, v7
	v_lshl_add_u32 v6, v6, 23, v10
	v_or3_b32 v3, v7, v6, v3
.LBB52_712:
	s_or_b64 exec, exec, s[6:7]
	s_nop 0
	v_mfma_f32_16x16x4f32 a[0:3], v2, v3, a[0:3]
	v_lshrrev_b32_e32 v3, 8, v8
	s_movk_i32 s4, 0x7f
	v_cmp_gt_i16_sdwa s[6:7], v3, s4 src0_sel:BYTE_0 src1_sel:DWORD
	s_mov_b64 s[4:5], 0
                                        ; implicit-def: $sgpr10
	s_and_saveexec_b64 s[8:9], s[6:7]
	s_xor_b64 s[6:7], exec, s[8:9]
	s_cbranch_execnz .LBB52_2761
; %bb.713:
	s_or_saveexec_b64 s[6:7], s[6:7]
	v_mov_b32_e32 v2, s10
	s_xor_b64 exec, exec, s[6:7]
	s_cbranch_execnz .LBB52_2764
.LBB52_714:
	s_or_b64 exec, exec, s[6:7]
	s_and_saveexec_b64 s[6:7], s[4:5]
	s_cbranch_execz .LBB52_716
.LBB52_715:
	v_bfe_u32 v2, v8, 8, 3
	v_ffbh_u32_e32 v7, v2
	v_min_u32_e32 v7, 32, v7
	v_lshrrev_b16_e32 v6, 3, v3
	v_subrev_u32_e32 v10, 28, v7
	v_and_b32_e32 v6, 15, v6
	v_lshlrev_b32_e32 v3, v10, v3
	v_sub_u32_e32 v7, 29, v7
	v_and_b32_e32 v3, 7, v3
	v_cmp_eq_u16_e32 vcc, 0, v6
	v_cndmask_b32_e32 v2, v2, v3, vcc
	v_cndmask_b32_e32 v3, v6, v7, vcc
	v_lshlrev_b32_e32 v6, 16, v8
	v_mov_b32_e32 v7, 0x3b800000
	v_lshlrev_b32_e32 v2, 20, v2
	v_and_b32_e32 v6, 0x80000000, v6
	v_lshl_add_u32 v3, v3, 23, v7
	v_or3_b32 v2, v6, v3, v2
.LBB52_716:
	s_or_b64 exec, exec, s[6:7]
	v_lshrrev_b32_e32 v3, 8, v4
	s_movk_i32 s4, 0x7f
	v_cmp_gt_i16_sdwa s[6:7], v3, s4 src0_sel:BYTE_0 src1_sel:DWORD
	s_mov_b64 s[4:5], 0
                                        ; implicit-def: $sgpr10
	s_and_saveexec_b64 s[8:9], s[6:7]
	s_xor_b64 s[6:7], exec, s[8:9]
	s_cbranch_execnz .LBB52_2765
; %bb.717:
	s_or_saveexec_b64 s[6:7], s[6:7]
	v_mov_b32_e32 v6, s10
	s_xor_b64 exec, exec, s[6:7]
	s_cbranch_execnz .LBB52_2768
.LBB52_718:
	s_or_b64 exec, exec, s[6:7]
	s_and_saveexec_b64 s[6:7], s[4:5]
	s_cbranch_execz .LBB52_720
.LBB52_719:
	v_bfe_u32 v6, v4, 8, 3
	v_ffbh_u32_e32 v10, v6
	v_min_u32_e32 v10, 32, v10
	v_lshrrev_b16_e32 v7, 3, v3
	v_subrev_u32_e32 v11, 28, v10
	v_and_b32_e32 v7, 15, v7
	v_lshlrev_b32_e32 v3, v11, v3
	v_sub_u32_e32 v10, 29, v10
	v_and_b32_e32 v3, 7, v3
	v_cmp_eq_u16_e32 vcc, 0, v7
	v_cndmask_b32_e32 v3, v6, v3, vcc
	v_cndmask_b32_e32 v6, v7, v10, vcc
	v_lshlrev_b32_e32 v7, 16, v4
	v_mov_b32_e32 v10, 0x3b800000
	v_lshlrev_b32_e32 v3, 20, v3
	v_and_b32_e32 v7, 0x80000000, v7
	v_lshl_add_u32 v6, v6, 23, v10
	v_or3_b32 v6, v7, v6, v3
.LBB52_720:
	s_or_b64 exec, exec, s[6:7]
	s_nop 0
	v_mfma_f32_16x16x4f32 a[0:3], v2, v6, a[0:3]
	s_movk_i32 s4, 0xff
	v_and_b32_sdwa v3, v8, s4 dst_sel:DWORD dst_unused:UNUSED_PAD src0_sel:WORD_1 src1_sel:DWORD
	s_movk_i32 s4, 0x7f
	v_cmp_lt_i16_e32 vcc, s4, v3
	s_mov_b64 s[4:5], 0
                                        ; implicit-def: $sgpr10
	s_and_saveexec_b64 s[6:7], vcc
	s_xor_b64 s[6:7], exec, s[6:7]
	s_cbranch_execnz .LBB52_2769
; %bb.721:
	s_or_saveexec_b64 s[6:7], s[6:7]
	v_mov_b32_e32 v2, s10
	s_xor_b64 exec, exec, s[6:7]
	s_cbranch_execnz .LBB52_2772
.LBB52_722:
	s_or_b64 exec, exec, s[6:7]
	s_and_saveexec_b64 s[6:7], s[4:5]
	s_cbranch_execz .LBB52_724
.LBB52_723:
	v_bfe_u32 v2, v8, 16, 3
	v_ffbh_u32_e32 v7, v2
	v_min_u32_e32 v7, 32, v7
	v_lshrrev_b32_e32 v3, 19, v8
	v_subrev_u32_e32 v10, 28, v7
	v_and_b32_e32 v3, 15, v3
	v_lshlrev_b32_sdwa v10, v10, v8 dst_sel:DWORD dst_unused:UNUSED_PAD src0_sel:DWORD src1_sel:WORD_1
	v_bfe_u32 v6, v8, 19, 4
	v_sub_u32_e32 v7, 29, v7
	v_and_b32_e32 v10, 7, v10
	v_cmp_eq_u16_e32 vcc, 0, v3
	v_cndmask_b32_e32 v2, v2, v10, vcc
	v_cndmask_b32_e32 v3, v6, v7, vcc
	v_lshlrev_b32_e32 v6, 8, v8
	v_mov_b32_e32 v7, 0x3b800000
	v_lshlrev_b32_e32 v2, 20, v2
	v_and_b32_e32 v6, 0x80000000, v6
	v_lshl_add_u32 v3, v3, 23, v7
	v_or3_b32 v2, v6, v3, v2
.LBB52_724:
	s_or_b64 exec, exec, s[6:7]
	s_movk_i32 s4, 0xff
	v_and_b32_sdwa v3, v4, s4 dst_sel:DWORD dst_unused:UNUSED_PAD src0_sel:WORD_1 src1_sel:DWORD
	s_movk_i32 s4, 0x7f
	v_cmp_lt_i16_e32 vcc, s4, v3
	s_mov_b64 s[4:5], 0
                                        ; implicit-def: $sgpr10
	s_and_saveexec_b64 s[6:7], vcc
	s_xor_b64 s[6:7], exec, s[6:7]
	s_cbranch_execnz .LBB52_2773
; %bb.725:
	s_or_saveexec_b64 s[6:7], s[6:7]
	v_mov_b32_e32 v6, s10
	s_xor_b64 exec, exec, s[6:7]
	s_cbranch_execnz .LBB52_2776
.LBB52_726:
	s_or_b64 exec, exec, s[6:7]
	s_and_saveexec_b64 s[6:7], s[4:5]
	s_cbranch_execz .LBB52_728
.LBB52_727:
	v_bfe_u32 v3, v4, 16, 3
	v_ffbh_u32_e32 v10, v3
	v_min_u32_e32 v10, 32, v10
	v_lshrrev_b32_e32 v6, 19, v4
	v_subrev_u32_e32 v11, 28, v10
	v_and_b32_e32 v6, 15, v6
	v_lshlrev_b32_sdwa v11, v11, v4 dst_sel:DWORD dst_unused:UNUSED_PAD src0_sel:DWORD src1_sel:WORD_1
	v_bfe_u32 v7, v4, 19, 4
	v_sub_u32_e32 v10, 29, v10
	v_and_b32_e32 v11, 7, v11
	v_cmp_eq_u16_e32 vcc, 0, v6
	v_cndmask_b32_e32 v3, v3, v11, vcc
	v_cndmask_b32_e32 v6, v7, v10, vcc
	v_lshlrev_b32_e32 v7, 8, v4
	v_mov_b32_e32 v10, 0x3b800000
	v_lshlrev_b32_e32 v3, 20, v3
	v_and_b32_e32 v7, 0x80000000, v7
	v_lshl_add_u32 v6, v6, 23, v10
	v_or3_b32 v6, v7, v6, v3
.LBB52_728:
	s_or_b64 exec, exec, s[6:7]
	s_nop 0
	v_mfma_f32_16x16x4f32 a[0:3], v2, v6, a[0:3]
	s_movk_i32 s4, 0x7f
	v_cmp_gt_i16_sdwa s[6:7], v8, s4 src0_sel:BYTE_3 src1_sel:DWORD
	s_mov_b64 s[4:5], 0
                                        ; implicit-def: $sgpr10
	s_and_saveexec_b64 s[8:9], s[6:7]
	s_xor_b64 s[6:7], exec, s[8:9]
	s_cbranch_execnz .LBB52_2777
; %bb.729:
	s_or_saveexec_b64 s[6:7], s[6:7]
	v_mov_b32_e32 v2, s10
	s_xor_b64 exec, exec, s[6:7]
	s_cbranch_execnz .LBB52_2780
.LBB52_730:
	s_or_b64 exec, exec, s[6:7]
	s_and_saveexec_b64 s[6:7], s[4:5]
	s_cbranch_execz .LBB52_732
.LBB52_731:
	v_bfe_u32 v2, v8, 24, 3
	v_ffbh_u32_e32 v10, v2
	v_min_u32_e32 v10, 32, v10
	v_lshrrev_b32_e32 v6, 27, v8
	v_subrev_u32_e32 v11, 28, v10
	v_and_b32_e32 v3, 0x80000000, v8
	v_and_b32_e32 v6, 15, v6
	v_bfe_u32 v7, v8, 27, 4
	v_lshlrev_b32_sdwa v8, v11, v8 dst_sel:DWORD dst_unused:UNUSED_PAD src0_sel:DWORD src1_sel:BYTE_3
	v_sub_u32_e32 v10, 29, v10
	v_and_b32_e32 v8, 7, v8
	v_cmp_eq_u16_e32 vcc, 0, v6
	v_cndmask_b32_e32 v2, v2, v8, vcc
	v_cndmask_b32_e32 v6, v7, v10, vcc
	v_mov_b32_e32 v7, 0x3b800000
	v_lshlrev_b32_e32 v2, 20, v2
	v_lshl_add_u32 v6, v6, 23, v7
	v_or3_b32 v2, v3, v6, v2
.LBB52_732:
	s_or_b64 exec, exec, s[6:7]
	s_movk_i32 s4, 0x7f
	v_cmp_gt_i16_sdwa s[6:7], v4, s4 src0_sel:BYTE_3 src1_sel:DWORD
	s_mov_b64 s[4:5], 0
                                        ; implicit-def: $sgpr10
	s_and_saveexec_b64 s[8:9], s[6:7]
	s_xor_b64 s[6:7], exec, s[8:9]
	s_cbranch_execnz .LBB52_2781
; %bb.733:
	s_or_saveexec_b64 s[6:7], s[6:7]
	v_mov_b32_e32 v3, s10
	s_xor_b64 exec, exec, s[6:7]
	s_cbranch_execnz .LBB52_2784
.LBB52_734:
	s_or_b64 exec, exec, s[6:7]
	s_and_saveexec_b64 s[6:7], s[4:5]
	s_cbranch_execz .LBB52_736
.LBB52_735:
	v_bfe_u32 v3, v4, 24, 3
	v_ffbh_u32_e32 v10, v3
	v_min_u32_e32 v10, 32, v10
	v_lshrrev_b32_e32 v7, 27, v4
	v_subrev_u32_e32 v11, 28, v10
	v_and_b32_e32 v6, 0x80000000, v4
	v_and_b32_e32 v7, 15, v7
	v_bfe_u32 v8, v4, 27, 4
	v_lshlrev_b32_sdwa v4, v11, v4 dst_sel:DWORD dst_unused:UNUSED_PAD src0_sel:DWORD src1_sel:BYTE_3
	v_sub_u32_e32 v10, 29, v10
	v_and_b32_e32 v4, 7, v4
	v_cmp_eq_u16_e32 vcc, 0, v7
	v_cndmask_b32_e32 v3, v3, v4, vcc
	v_cndmask_b32_e32 v4, v8, v10, vcc
	v_mov_b32_e32 v7, 0x3b800000
	v_lshlrev_b32_e32 v3, 20, v3
	v_lshl_add_u32 v4, v4, 23, v7
	v_or3_b32 v3, v6, v4, v3
.LBB52_736:
	s_or_b64 exec, exec, s[6:7]
	s_nop 0
	v_mfma_f32_16x16x4f32 a[0:3], v2, v3, a[0:3]
	s_movk_i32 s4, 0x7f
	v_cmp_gt_i16_sdwa s[6:7], v9, s4 src0_sel:BYTE_0 src1_sel:DWORD
	s_mov_b64 s[4:5], 0
                                        ; implicit-def: $sgpr10
	s_and_saveexec_b64 s[8:9], s[6:7]
	s_xor_b64 s[6:7], exec, s[8:9]
	s_cbranch_execnz .LBB52_2785
; %bb.737:
	s_or_saveexec_b64 s[6:7], s[6:7]
	v_mov_b32_e32 v2, s10
	s_xor_b64 exec, exec, s[6:7]
	s_cbranch_execnz .LBB52_2788
.LBB52_738:
	s_or_b64 exec, exec, s[6:7]
	s_and_saveexec_b64 s[6:7], s[4:5]
	s_cbranch_execz .LBB52_740
.LBB52_739:
	v_mov_b32_e32 v2, 8
	v_and_b32_e32 v3, 7, v9
	v_lshrrev_b32_sdwa v2, v2, v9 dst_sel:BYTE_1 dst_unused:UNUSED_PAD src0_sel:DWORD src1_sel:DWORD
	v_ffbh_u32_e32 v4, v3
	v_or_b32_sdwa v2, v9, v2 dst_sel:DWORD dst_unused:UNUSED_PAD src0_sel:BYTE_0 src1_sel:DWORD
	v_min_u32_e32 v4, 32, v4
	v_lshrrev_b16_e32 v2, 3, v2
	v_subrev_u32_e32 v6, 28, v4
	v_and_b32_e32 v2, 15, v2
	v_lshlrev_b32_e32 v6, v6, v9
	v_sub_u32_e32 v4, 29, v4
	v_and_b32_e32 v6, 7, v6
	v_cmp_eq_u16_e32 vcc, 0, v2
	v_cndmask_b32_e32 v3, v3, v6, vcc
	v_cndmask_b32_e32 v2, v2, v4, vcc
	v_lshlrev_b32_e32 v4, 24, v9
	v_mov_b32_e32 v6, 0x3b800000
	v_lshlrev_b32_e32 v3, 20, v3
	v_and_b32_e32 v4, 0x80000000, v4
	v_lshl_add_u32 v2, v2, 23, v6
	v_or3_b32 v2, v4, v2, v3
.LBB52_740:
	s_or_b64 exec, exec, s[6:7]
	s_movk_i32 s4, 0x7f
	v_cmp_gt_i16_sdwa s[6:7], v5, s4 src0_sel:BYTE_0 src1_sel:DWORD
	s_mov_b64 s[4:5], 0
                                        ; implicit-def: $sgpr10
	s_and_saveexec_b64 s[8:9], s[6:7]
	s_xor_b64 s[6:7], exec, s[8:9]
	s_cbranch_execnz .LBB52_2789
; %bb.741:
	s_or_saveexec_b64 s[6:7], s[6:7]
	v_mov_b32_e32 v3, s10
	s_xor_b64 exec, exec, s[6:7]
	s_cbranch_execnz .LBB52_2792
.LBB52_742:
	s_or_b64 exec, exec, s[6:7]
	s_and_saveexec_b64 s[6:7], s[4:5]
	s_cbranch_execz .LBB52_744
.LBB52_743:
	v_mov_b32_e32 v3, 8
	v_and_b32_e32 v4, 7, v5
	v_lshrrev_b32_sdwa v3, v3, v5 dst_sel:BYTE_1 dst_unused:UNUSED_PAD src0_sel:DWORD src1_sel:DWORD
	v_ffbh_u32_e32 v6, v4
	v_or_b32_sdwa v3, v5, v3 dst_sel:DWORD dst_unused:UNUSED_PAD src0_sel:BYTE_0 src1_sel:DWORD
	v_min_u32_e32 v6, 32, v6
	v_lshrrev_b16_e32 v3, 3, v3
	v_subrev_u32_e32 v7, 28, v6
	v_and_b32_e32 v3, 15, v3
	v_lshlrev_b32_e32 v7, v7, v5
	v_sub_u32_e32 v6, 29, v6
	v_and_b32_e32 v7, 7, v7
	v_cmp_eq_u16_e32 vcc, 0, v3
	v_cndmask_b32_e32 v4, v4, v7, vcc
	v_cndmask_b32_e32 v3, v3, v6, vcc
	v_lshlrev_b32_e32 v6, 24, v5
	v_mov_b32_e32 v7, 0x3b800000
	v_lshlrev_b32_e32 v4, 20, v4
	v_and_b32_e32 v6, 0x80000000, v6
	v_lshl_add_u32 v3, v3, 23, v7
	v_or3_b32 v3, v6, v3, v4
.LBB52_744:
	s_or_b64 exec, exec, s[6:7]
	s_nop 0
	v_mfma_f32_16x16x4f32 a[0:3], v2, v3, a[0:3]
	v_lshrrev_b32_e32 v3, 8, v9
	s_movk_i32 s4, 0x7f
	v_cmp_gt_i16_sdwa s[6:7], v3, s4 src0_sel:BYTE_0 src1_sel:DWORD
	s_mov_b64 s[4:5], 0
                                        ; implicit-def: $sgpr10
	s_and_saveexec_b64 s[8:9], s[6:7]
	s_xor_b64 s[6:7], exec, s[8:9]
	s_cbranch_execnz .LBB52_2793
; %bb.745:
	s_or_saveexec_b64 s[6:7], s[6:7]
	v_mov_b32_e32 v2, s10
	s_xor_b64 exec, exec, s[6:7]
	s_cbranch_execnz .LBB52_2796
.LBB52_746:
	s_or_b64 exec, exec, s[6:7]
	s_and_saveexec_b64 s[6:7], s[4:5]
	s_cbranch_execz .LBB52_748
.LBB52_747:
	v_bfe_u32 v2, v9, 8, 3
	v_ffbh_u32_e32 v6, v2
	v_min_u32_e32 v6, 32, v6
	v_lshrrev_b16_e32 v4, 3, v3
	v_subrev_u32_e32 v7, 28, v6
	v_and_b32_e32 v4, 15, v4
	v_lshlrev_b32_e32 v3, v7, v3
	v_sub_u32_e32 v6, 29, v6
	v_and_b32_e32 v3, 7, v3
	v_cmp_eq_u16_e32 vcc, 0, v4
	v_cndmask_b32_e32 v2, v2, v3, vcc
	v_cndmask_b32_e32 v3, v4, v6, vcc
	v_lshlrev_b32_e32 v4, 16, v9
	v_mov_b32_e32 v6, 0x3b800000
	v_lshlrev_b32_e32 v2, 20, v2
	v_and_b32_e32 v4, 0x80000000, v4
	v_lshl_add_u32 v3, v3, 23, v6
	v_or3_b32 v2, v4, v3, v2
.LBB52_748:
	s_or_b64 exec, exec, s[6:7]
	v_lshrrev_b32_e32 v3, 8, v5
	s_movk_i32 s4, 0x7f
	v_cmp_gt_i16_sdwa s[6:7], v3, s4 src0_sel:BYTE_0 src1_sel:DWORD
	s_mov_b64 s[4:5], 0
                                        ; implicit-def: $sgpr10
	s_and_saveexec_b64 s[8:9], s[6:7]
	s_xor_b64 s[6:7], exec, s[8:9]
	s_cbranch_execnz .LBB52_2797
; %bb.749:
	s_or_saveexec_b64 s[6:7], s[6:7]
	v_mov_b32_e32 v4, s10
	s_xor_b64 exec, exec, s[6:7]
	s_cbranch_execnz .LBB52_2800
.LBB52_750:
	s_or_b64 exec, exec, s[6:7]
	s_and_saveexec_b64 s[6:7], s[4:5]
	s_cbranch_execz .LBB52_752
.LBB52_751:
	v_bfe_u32 v4, v5, 8, 3
	v_ffbh_u32_e32 v7, v4
	v_min_u32_e32 v7, 32, v7
	v_lshrrev_b16_e32 v6, 3, v3
	v_subrev_u32_e32 v8, 28, v7
	v_and_b32_e32 v6, 15, v6
	v_lshlrev_b32_e32 v3, v8, v3
	v_sub_u32_e32 v7, 29, v7
	v_and_b32_e32 v3, 7, v3
	v_cmp_eq_u16_e32 vcc, 0, v6
	v_cndmask_b32_e32 v3, v4, v3, vcc
	v_cndmask_b32_e32 v4, v6, v7, vcc
	v_lshlrev_b32_e32 v6, 16, v5
	v_mov_b32_e32 v7, 0x3b800000
	v_lshlrev_b32_e32 v3, 20, v3
	v_and_b32_e32 v6, 0x80000000, v6
	v_lshl_add_u32 v4, v4, 23, v7
	v_or3_b32 v4, v6, v4, v3
.LBB52_752:
	s_or_b64 exec, exec, s[6:7]
	s_nop 0
	v_mfma_f32_16x16x4f32 a[0:3], v2, v4, a[0:3]
	s_movk_i32 s4, 0xff
	v_and_b32_sdwa v3, v9, s4 dst_sel:DWORD dst_unused:UNUSED_PAD src0_sel:WORD_1 src1_sel:DWORD
	s_movk_i32 s4, 0x7f
	v_cmp_lt_i16_e32 vcc, s4, v3
	s_mov_b64 s[4:5], 0
                                        ; implicit-def: $sgpr10
	s_and_saveexec_b64 s[6:7], vcc
	s_xor_b64 s[6:7], exec, s[6:7]
	s_cbranch_execnz .LBB52_2801
; %bb.753:
	s_or_saveexec_b64 s[6:7], s[6:7]
	v_mov_b32_e32 v2, s10
	s_xor_b64 exec, exec, s[6:7]
	s_cbranch_execnz .LBB52_2804
.LBB52_754:
	s_or_b64 exec, exec, s[6:7]
	s_and_saveexec_b64 s[6:7], s[4:5]
	s_cbranch_execz .LBB52_756
.LBB52_755:
	v_bfe_u32 v2, v9, 16, 3
	v_ffbh_u32_e32 v6, v2
	v_min_u32_e32 v6, 32, v6
	v_lshrrev_b32_e32 v3, 19, v9
	v_subrev_u32_e32 v7, 28, v6
	v_and_b32_e32 v3, 15, v3
	v_lshlrev_b32_sdwa v7, v7, v9 dst_sel:DWORD dst_unused:UNUSED_PAD src0_sel:DWORD src1_sel:WORD_1
	v_bfe_u32 v4, v9, 19, 4
	v_sub_u32_e32 v6, 29, v6
	v_and_b32_e32 v7, 7, v7
	v_cmp_eq_u16_e32 vcc, 0, v3
	v_cndmask_b32_e32 v2, v2, v7, vcc
	v_cndmask_b32_e32 v3, v4, v6, vcc
	v_lshlrev_b32_e32 v4, 8, v9
	v_mov_b32_e32 v6, 0x3b800000
	v_lshlrev_b32_e32 v2, 20, v2
	v_and_b32_e32 v4, 0x80000000, v4
	v_lshl_add_u32 v3, v3, 23, v6
	v_or3_b32 v2, v4, v3, v2
.LBB52_756:
	s_or_b64 exec, exec, s[6:7]
	s_movk_i32 s4, 0xff
	v_and_b32_sdwa v3, v5, s4 dst_sel:DWORD dst_unused:UNUSED_PAD src0_sel:WORD_1 src1_sel:DWORD
	s_movk_i32 s4, 0x7f
	v_cmp_lt_i16_e32 vcc, s4, v3
	s_mov_b64 s[4:5], 0
                                        ; implicit-def: $sgpr10
	s_and_saveexec_b64 s[6:7], vcc
	s_xor_b64 s[6:7], exec, s[6:7]
	s_cbranch_execnz .LBB52_2805
; %bb.757:
	s_or_saveexec_b64 s[6:7], s[6:7]
	v_mov_b32_e32 v4, s10
	s_xor_b64 exec, exec, s[6:7]
	s_cbranch_execnz .LBB52_2808
.LBB52_758:
	s_or_b64 exec, exec, s[6:7]
	s_and_saveexec_b64 s[6:7], s[4:5]
	s_cbranch_execz .LBB52_760
.LBB52_759:
	v_bfe_u32 v3, v5, 16, 3
	v_ffbh_u32_e32 v7, v3
	v_min_u32_e32 v7, 32, v7
	v_lshrrev_b32_e32 v4, 19, v5
	v_subrev_u32_e32 v8, 28, v7
	v_and_b32_e32 v4, 15, v4
	v_lshlrev_b32_sdwa v8, v8, v5 dst_sel:DWORD dst_unused:UNUSED_PAD src0_sel:DWORD src1_sel:WORD_1
	v_bfe_u32 v6, v5, 19, 4
	v_sub_u32_e32 v7, 29, v7
	v_and_b32_e32 v8, 7, v8
	v_cmp_eq_u16_e32 vcc, 0, v4
	v_cndmask_b32_e32 v3, v3, v8, vcc
	v_cndmask_b32_e32 v4, v6, v7, vcc
	v_lshlrev_b32_e32 v6, 8, v5
	v_mov_b32_e32 v7, 0x3b800000
	v_lshlrev_b32_e32 v3, 20, v3
	v_and_b32_e32 v6, 0x80000000, v6
	v_lshl_add_u32 v4, v4, 23, v7
	v_or3_b32 v4, v6, v4, v3
.LBB52_760:
	s_or_b64 exec, exec, s[6:7]
	s_nop 0
	v_mfma_f32_16x16x4f32 a[0:3], v2, v4, a[0:3]
	s_movk_i32 s4, 0x7f
	v_cmp_gt_i16_sdwa s[6:7], v9, s4 src0_sel:BYTE_3 src1_sel:DWORD
	s_mov_b64 s[4:5], 0
                                        ; implicit-def: $sgpr10
	s_and_saveexec_b64 s[8:9], s[6:7]
	s_xor_b64 s[6:7], exec, s[8:9]
	s_cbranch_execnz .LBB52_2809
; %bb.761:
	s_or_saveexec_b64 s[6:7], s[6:7]
	v_mov_b32_e32 v2, s10
	s_xor_b64 exec, exec, s[6:7]
	s_cbranch_execnz .LBB52_2812
.LBB52_762:
	s_or_b64 exec, exec, s[6:7]
	s_and_saveexec_b64 s[6:7], s[4:5]
	s_cbranch_execz .LBB52_764
.LBB52_763:
	v_bfe_u32 v2, v9, 24, 3
	v_ffbh_u32_e32 v7, v2
	v_min_u32_e32 v7, 32, v7
	v_lshrrev_b32_e32 v4, 27, v9
	v_subrev_u32_e32 v8, 28, v7
	v_and_b32_e32 v4, 15, v4
	v_lshlrev_b32_sdwa v8, v8, v9 dst_sel:DWORD dst_unused:UNUSED_PAD src0_sel:DWORD src1_sel:BYTE_3
	v_bfe_u32 v6, v9, 27, 4
	v_sub_u32_e32 v7, 29, v7
	v_and_b32_e32 v8, 7, v8
	v_cmp_eq_u16_e32 vcc, 0, v4
	v_cndmask_b32_e32 v2, v2, v8, vcc
	v_cndmask_b32_e32 v4, v6, v7, vcc
	v_mov_b32_e32 v6, 0x3b800000
	v_and_b32_e32 v3, 0x80000000, v9
	v_lshlrev_b32_e32 v2, 20, v2
	v_lshl_add_u32 v4, v4, 23, v6
	v_or3_b32 v2, v3, v4, v2
.LBB52_764:
	s_or_b64 exec, exec, s[6:7]
	s_movk_i32 s4, 0x7f
	v_cmp_gt_i16_sdwa s[6:7], v5, s4 src0_sel:BYTE_3 src1_sel:DWORD
	s_mov_b64 s[4:5], 0
                                        ; implicit-def: $sgpr10
	s_and_saveexec_b64 s[8:9], s[6:7]
	s_xor_b64 s[6:7], exec, s[8:9]
	s_cbranch_execnz .LBB52_2813
; %bb.765:
	s_or_saveexec_b64 s[6:7], s[6:7]
	v_mov_b32_e32 v3, s10
	s_xor_b64 exec, exec, s[6:7]
	s_cbranch_execnz .LBB52_2816
.LBB52_766:
	s_or_b64 exec, exec, s[6:7]
	s_and_saveexec_b64 s[6:7], s[4:5]
	s_cbranch_execz .LBB52_768
.LBB52_767:
	v_bfe_u32 v3, v5, 24, 3
	v_ffbh_u32_e32 v8, v3
	v_min_u32_e32 v8, 32, v8
	v_lshrrev_b32_e32 v6, 27, v5
	v_subrev_u32_e32 v9, 28, v8
	v_and_b32_e32 v4, 0x80000000, v5
	v_and_b32_e32 v6, 15, v6
	v_bfe_u32 v7, v5, 27, 4
	v_lshlrev_b32_sdwa v5, v9, v5 dst_sel:DWORD dst_unused:UNUSED_PAD src0_sel:DWORD src1_sel:BYTE_3
	v_sub_u32_e32 v8, 29, v8
	v_and_b32_e32 v5, 7, v5
	v_cmp_eq_u16_e32 vcc, 0, v6
	v_cndmask_b32_e32 v3, v3, v5, vcc
	v_cndmask_b32_e32 v5, v7, v8, vcc
	v_mov_b32_e32 v6, 0x3b800000
	v_lshlrev_b32_e32 v3, 20, v3
	v_lshl_add_u32 v5, v5, 23, v6
	v_or3_b32 v3, v4, v5, v3
.LBB52_768:
	s_or_b64 exec, exec, s[6:7]
	s_nop 0
	v_mfma_f32_16x16x4f32 a[0:3], v2, v3, a[0:3]
	s_movk_i32 s4, 0x7f
                                        ; implicit-def: $sgpr10
	s_nop 7
	s_nop 1
	flat_store_dwordx4 v[18:19], a[0:3] offset:32
	flat_load_dwordx4 v[20:23], v[0:1] offset:8
	s_nop 0
	flat_load_dwordx2 v[18:19], v[0:1] offset:24
	s_waitcnt vmcnt(0) lgkmcnt(0)
	flat_load_dwordx4 v[14:17], v[20:21]
	flat_load_dwordx4 v[6:9], v[20:21] offset:16
	flat_load_dwordx4 v[10:13], v[22:23] offset:352
	;; [unrolled: 1-line block ×3, first 2 shown]
	s_waitcnt vmcnt(0) lgkmcnt(0)
	v_cmp_gt_i16_sdwa s[6:7], v14, s4 src0_sel:BYTE_0 src1_sel:DWORD
	s_mov_b64 s[4:5], 0
	s_and_saveexec_b64 s[8:9], s[6:7]
	s_xor_b64 s[6:7], exec, s[8:9]
	s_cbranch_execnz .LBB52_2817
; %bb.769:
	s_or_saveexec_b64 s[6:7], s[6:7]
	v_mov_b32_e32 v20, s10
	s_xor_b64 exec, exec, s[6:7]
	s_cbranch_execnz .LBB52_2820
.LBB52_770:
	s_or_b64 exec, exec, s[6:7]
	s_and_saveexec_b64 s[6:7], s[4:5]
	s_cbranch_execz .LBB52_772
.LBB52_771:
	v_and_b32_e32 v20, 7, v14
	v_ffbh_u32_e32 v22, v20
	v_min_u32_e32 v22, 32, v22
	v_lshrrev_b16_e32 v21, 3, v14
	v_subrev_u32_e32 v23, 28, v22
	v_and_b32_e32 v21, 15, v21
	v_lshlrev_b32_e32 v23, v23, v14
	v_sub_u32_e32 v22, 29, v22
	v_and_b32_e32 v23, 7, v23
	v_cmp_eq_u16_e32 vcc, 0, v21
	v_cndmask_b32_e32 v20, v20, v23, vcc
	v_cndmask_b32_e32 v21, v21, v22, vcc
	v_lshlrev_b32_e32 v22, 24, v14
	v_mov_b32_e32 v23, 0x3b800000
	v_lshlrev_b32_e32 v20, 20, v20
	v_and_b32_e32 v22, 0x80000000, v22
	v_lshl_add_u32 v21, v21, 23, v23
	v_or3_b32 v20, v22, v21, v20
.LBB52_772:
	s_or_b64 exec, exec, s[6:7]
	s_movk_i32 s4, 0x7f
	v_cmp_gt_i16_sdwa s[6:7], v10, s4 src0_sel:BYTE_0 src1_sel:DWORD
	s_mov_b64 s[4:5], 0
                                        ; implicit-def: $sgpr10
	s_and_saveexec_b64 s[8:9], s[6:7]
	s_xor_b64 s[6:7], exec, s[8:9]
	s_cbranch_execnz .LBB52_2821
; %bb.773:
	s_or_saveexec_b64 s[6:7], s[6:7]
	v_mov_b32_e32 v21, s10
	s_xor_b64 exec, exec, s[6:7]
	s_cbranch_execnz .LBB52_2824
.LBB52_774:
	s_or_b64 exec, exec, s[6:7]
	s_and_saveexec_b64 s[6:7], s[4:5]
	s_cbranch_execz .LBB52_776
.LBB52_775:
	v_and_b32_e32 v21, 7, v10
	v_ffbh_u32_e32 v23, v21
	v_min_u32_e32 v23, 32, v23
	v_lshrrev_b16_e32 v22, 3, v10
	v_subrev_u32_e32 v24, 28, v23
	v_and_b32_e32 v22, 15, v22
	v_lshlrev_b32_e32 v24, v24, v10
	v_sub_u32_e32 v23, 29, v23
	v_and_b32_e32 v24, 7, v24
	v_cmp_eq_u16_e32 vcc, 0, v22
	v_cndmask_b32_e32 v21, v21, v24, vcc
	v_cndmask_b32_e32 v22, v22, v23, vcc
	v_lshlrev_b32_e32 v23, 24, v10
	v_mov_b32_e32 v24, 0x3b800000
	v_lshlrev_b32_e32 v21, 20, v21
	v_and_b32_e32 v23, 0x80000000, v23
	v_lshl_add_u32 v22, v22, 23, v24
	v_or3_b32 v21, v23, v22, v21
.LBB52_776:
	s_or_b64 exec, exec, s[6:7]
	flat_load_dwordx4 a[0:3], v[18:19] offset:48
	s_movk_i32 s4, 0x7f
                                        ; implicit-def: $sgpr10
	s_waitcnt vmcnt(0) lgkmcnt(0)
	v_mfma_f32_16x16x4f32 a[0:3], v20, v21, a[0:3]
	v_lshrrev_b32_e32 v21, 8, v14
	v_cmp_gt_i16_sdwa s[6:7], v21, s4 src0_sel:BYTE_0 src1_sel:DWORD
	s_mov_b64 s[4:5], 0
	s_and_saveexec_b64 s[8:9], s[6:7]
	s_xor_b64 s[6:7], exec, s[8:9]
	s_cbranch_execnz .LBB52_2825
; %bb.777:
	s_or_saveexec_b64 s[6:7], s[6:7]
	v_mov_b32_e32 v20, s10
	s_xor_b64 exec, exec, s[6:7]
	s_cbranch_execnz .LBB52_2828
.LBB52_778:
	s_or_b64 exec, exec, s[6:7]
	s_and_saveexec_b64 s[6:7], s[4:5]
	s_cbranch_execz .LBB52_780
.LBB52_779:
	v_bfe_u32 v20, v14, 8, 3
	v_ffbh_u32_e32 v23, v20
	v_min_u32_e32 v23, 32, v23
	v_lshrrev_b16_e32 v22, 3, v21
	v_subrev_u32_e32 v24, 28, v23
	v_and_b32_e32 v22, 15, v22
	v_lshlrev_b32_e32 v21, v24, v21
	v_sub_u32_e32 v23, 29, v23
	v_and_b32_e32 v21, 7, v21
	v_cmp_eq_u16_e32 vcc, 0, v22
	v_cndmask_b32_e32 v20, v20, v21, vcc
	v_cndmask_b32_e32 v21, v22, v23, vcc
	v_lshlrev_b32_e32 v22, 16, v14
	v_mov_b32_e32 v23, 0x3b800000
	v_lshlrev_b32_e32 v20, 20, v20
	v_and_b32_e32 v22, 0x80000000, v22
	v_lshl_add_u32 v21, v21, 23, v23
	v_or3_b32 v20, v22, v21, v20
.LBB52_780:
	s_or_b64 exec, exec, s[6:7]
	v_lshrrev_b32_e32 v21, 8, v10
	s_movk_i32 s4, 0x7f
	v_cmp_gt_i16_sdwa s[6:7], v21, s4 src0_sel:BYTE_0 src1_sel:DWORD
	s_mov_b64 s[4:5], 0
                                        ; implicit-def: $sgpr10
	s_and_saveexec_b64 s[8:9], s[6:7]
	s_xor_b64 s[6:7], exec, s[8:9]
	s_cbranch_execnz .LBB52_2829
; %bb.781:
	s_or_saveexec_b64 s[6:7], s[6:7]
	v_mov_b32_e32 v22, s10
	s_xor_b64 exec, exec, s[6:7]
	s_cbranch_execnz .LBB52_2832
.LBB52_782:
	s_or_b64 exec, exec, s[6:7]
	s_and_saveexec_b64 s[6:7], s[4:5]
	s_cbranch_execz .LBB52_784
.LBB52_783:
	v_bfe_u32 v22, v10, 8, 3
	v_ffbh_u32_e32 v24, v22
	v_min_u32_e32 v24, 32, v24
	v_lshrrev_b16_e32 v23, 3, v21
	v_subrev_u32_e32 v25, 28, v24
	v_and_b32_e32 v23, 15, v23
	v_lshlrev_b32_e32 v21, v25, v21
	v_sub_u32_e32 v24, 29, v24
	v_and_b32_e32 v21, 7, v21
	v_cmp_eq_u16_e32 vcc, 0, v23
	v_cndmask_b32_e32 v21, v22, v21, vcc
	v_cndmask_b32_e32 v22, v23, v24, vcc
	v_lshlrev_b32_e32 v23, 16, v10
	v_mov_b32_e32 v24, 0x3b800000
	v_lshlrev_b32_e32 v21, 20, v21
	v_and_b32_e32 v23, 0x80000000, v23
	v_lshl_add_u32 v22, v22, 23, v24
	v_or3_b32 v22, v23, v22, v21
.LBB52_784:
	s_or_b64 exec, exec, s[6:7]
	s_nop 0
	v_mfma_f32_16x16x4f32 a[0:3], v20, v22, a[0:3]
	s_movk_i32 s4, 0xff
	v_and_b32_sdwa v21, v14, s4 dst_sel:DWORD dst_unused:UNUSED_PAD src0_sel:WORD_1 src1_sel:DWORD
	s_movk_i32 s4, 0x7f
	v_cmp_lt_i16_e32 vcc, s4, v21
	s_mov_b64 s[4:5], 0
                                        ; implicit-def: $sgpr10
	s_and_saveexec_b64 s[6:7], vcc
	s_xor_b64 s[6:7], exec, s[6:7]
	s_cbranch_execnz .LBB52_2833
; %bb.785:
	s_or_saveexec_b64 s[6:7], s[6:7]
	v_mov_b32_e32 v20, s10
	s_xor_b64 exec, exec, s[6:7]
	s_cbranch_execnz .LBB52_2836
.LBB52_786:
	s_or_b64 exec, exec, s[6:7]
	s_and_saveexec_b64 s[6:7], s[4:5]
	s_cbranch_execz .LBB52_788
.LBB52_787:
	v_bfe_u32 v20, v14, 16, 3
	v_ffbh_u32_e32 v23, v20
	v_min_u32_e32 v23, 32, v23
	v_lshrrev_b32_e32 v21, 19, v14
	v_subrev_u32_e32 v24, 28, v23
	v_and_b32_e32 v21, 15, v21
	v_lshlrev_b32_sdwa v24, v24, v14 dst_sel:DWORD dst_unused:UNUSED_PAD src0_sel:DWORD src1_sel:WORD_1
	v_bfe_u32 v22, v14, 19, 4
	v_sub_u32_e32 v23, 29, v23
	v_and_b32_e32 v24, 7, v24
	v_cmp_eq_u16_e32 vcc, 0, v21
	v_cndmask_b32_e32 v20, v20, v24, vcc
	v_cndmask_b32_e32 v21, v22, v23, vcc
	v_lshlrev_b32_e32 v22, 8, v14
	v_mov_b32_e32 v23, 0x3b800000
	v_lshlrev_b32_e32 v20, 20, v20
	v_and_b32_e32 v22, 0x80000000, v22
	v_lshl_add_u32 v21, v21, 23, v23
	v_or3_b32 v20, v22, v21, v20
.LBB52_788:
	s_or_b64 exec, exec, s[6:7]
	s_movk_i32 s4, 0xff
	v_and_b32_sdwa v21, v10, s4 dst_sel:DWORD dst_unused:UNUSED_PAD src0_sel:WORD_1 src1_sel:DWORD
	s_movk_i32 s4, 0x7f
	v_cmp_lt_i16_e32 vcc, s4, v21
	s_mov_b64 s[4:5], 0
                                        ; implicit-def: $sgpr10
	s_and_saveexec_b64 s[6:7], vcc
	s_xor_b64 s[6:7], exec, s[6:7]
	s_cbranch_execnz .LBB52_2837
; %bb.789:
	s_or_saveexec_b64 s[6:7], s[6:7]
	v_mov_b32_e32 v22, s10
	s_xor_b64 exec, exec, s[6:7]
	s_cbranch_execnz .LBB52_2840
.LBB52_790:
	s_or_b64 exec, exec, s[6:7]
	s_and_saveexec_b64 s[6:7], s[4:5]
	s_cbranch_execz .LBB52_792
.LBB52_791:
	v_bfe_u32 v21, v10, 16, 3
	v_ffbh_u32_e32 v24, v21
	v_min_u32_e32 v24, 32, v24
	v_lshrrev_b32_e32 v22, 19, v10
	v_subrev_u32_e32 v25, 28, v24
	v_and_b32_e32 v22, 15, v22
	v_lshlrev_b32_sdwa v25, v25, v10 dst_sel:DWORD dst_unused:UNUSED_PAD src0_sel:DWORD src1_sel:WORD_1
	v_bfe_u32 v23, v10, 19, 4
	v_sub_u32_e32 v24, 29, v24
	v_and_b32_e32 v25, 7, v25
	v_cmp_eq_u16_e32 vcc, 0, v22
	v_cndmask_b32_e32 v21, v21, v25, vcc
	v_cndmask_b32_e32 v22, v23, v24, vcc
	v_lshlrev_b32_e32 v23, 8, v10
	v_mov_b32_e32 v24, 0x3b800000
	v_lshlrev_b32_e32 v21, 20, v21
	v_and_b32_e32 v23, 0x80000000, v23
	v_lshl_add_u32 v22, v22, 23, v24
	v_or3_b32 v22, v23, v22, v21
.LBB52_792:
	s_or_b64 exec, exec, s[6:7]
	s_nop 0
	v_mfma_f32_16x16x4f32 a[0:3], v20, v22, a[0:3]
	s_movk_i32 s4, 0x7f
	v_cmp_gt_i16_sdwa s[6:7], v14, s4 src0_sel:BYTE_3 src1_sel:DWORD
	s_mov_b64 s[4:5], 0
                                        ; implicit-def: $sgpr10
	s_and_saveexec_b64 s[8:9], s[6:7]
	s_xor_b64 s[6:7], exec, s[8:9]
	s_cbranch_execnz .LBB52_2841
; %bb.793:
	s_or_saveexec_b64 s[6:7], s[6:7]
	v_mov_b32_e32 v20, s10
	s_xor_b64 exec, exec, s[6:7]
	s_cbranch_execnz .LBB52_2844
.LBB52_794:
	s_or_b64 exec, exec, s[6:7]
	s_and_saveexec_b64 s[6:7], s[4:5]
	s_cbranch_execz .LBB52_796
.LBB52_795:
	v_bfe_u32 v20, v14, 24, 3
	v_ffbh_u32_e32 v24, v20
	v_min_u32_e32 v24, 32, v24
	v_lshrrev_b32_e32 v22, 27, v14
	v_subrev_u32_e32 v25, 28, v24
	v_and_b32_e32 v21, 0x80000000, v14
	v_and_b32_e32 v22, 15, v22
	v_bfe_u32 v23, v14, 27, 4
	v_lshlrev_b32_sdwa v14, v25, v14 dst_sel:DWORD dst_unused:UNUSED_PAD src0_sel:DWORD src1_sel:BYTE_3
	v_sub_u32_e32 v24, 29, v24
	v_and_b32_e32 v14, 7, v14
	v_cmp_eq_u16_e32 vcc, 0, v22
	v_cndmask_b32_e32 v14, v20, v14, vcc
	v_cndmask_b32_e32 v20, v23, v24, vcc
	v_mov_b32_e32 v22, 0x3b800000
	v_lshlrev_b32_e32 v14, 20, v14
	v_lshl_add_u32 v20, v20, 23, v22
	v_or3_b32 v20, v21, v20, v14
.LBB52_796:
	s_or_b64 exec, exec, s[6:7]
	s_movk_i32 s4, 0x7f
	v_cmp_gt_i16_sdwa s[6:7], v10, s4 src0_sel:BYTE_3 src1_sel:DWORD
	s_mov_b64 s[4:5], 0
                                        ; implicit-def: $sgpr10
	s_and_saveexec_b64 s[8:9], s[6:7]
	s_xor_b64 s[6:7], exec, s[8:9]
	s_cbranch_execnz .LBB52_2845
; %bb.797:
	s_or_saveexec_b64 s[6:7], s[6:7]
	v_mov_b32_e32 v14, s10
	s_xor_b64 exec, exec, s[6:7]
	s_cbranch_execnz .LBB52_2848
.LBB52_798:
	s_or_b64 exec, exec, s[6:7]
	s_and_saveexec_b64 s[6:7], s[4:5]
	s_cbranch_execz .LBB52_800
.LBB52_799:
	v_bfe_u32 v14, v10, 24, 3
	v_ffbh_u32_e32 v24, v14
	v_min_u32_e32 v24, 32, v24
	v_lshrrev_b32_e32 v22, 27, v10
	v_subrev_u32_e32 v25, 28, v24
	v_and_b32_e32 v21, 0x80000000, v10
	v_and_b32_e32 v22, 15, v22
	v_bfe_u32 v23, v10, 27, 4
	v_lshlrev_b32_sdwa v10, v25, v10 dst_sel:DWORD dst_unused:UNUSED_PAD src0_sel:DWORD src1_sel:BYTE_3
	v_sub_u32_e32 v24, 29, v24
	v_and_b32_e32 v10, 7, v10
	v_cmp_eq_u16_e32 vcc, 0, v22
	v_cndmask_b32_e32 v10, v14, v10, vcc
	v_cndmask_b32_e32 v14, v23, v24, vcc
	v_mov_b32_e32 v22, 0x3b800000
	v_lshlrev_b32_e32 v10, 20, v10
	v_lshl_add_u32 v14, v14, 23, v22
	v_or3_b32 v14, v21, v14, v10
.LBB52_800:
	s_or_b64 exec, exec, s[6:7]
	s_nop 0
	v_mfma_f32_16x16x4f32 a[0:3], v20, v14, a[0:3]
	s_movk_i32 s4, 0x7f
	v_cmp_gt_i16_sdwa s[6:7], v15, s4 src0_sel:BYTE_0 src1_sel:DWORD
	s_mov_b64 s[4:5], 0
                                        ; implicit-def: $sgpr10
	s_and_saveexec_b64 s[8:9], s[6:7]
	s_xor_b64 s[6:7], exec, s[8:9]
	s_cbranch_execnz .LBB52_2849
; %bb.801:
	s_or_saveexec_b64 s[6:7], s[6:7]
	v_mov_b32_e32 v10, s10
	s_xor_b64 exec, exec, s[6:7]
	s_cbranch_execnz .LBB52_2852
.LBB52_802:
	s_or_b64 exec, exec, s[6:7]
	s_and_saveexec_b64 s[6:7], s[4:5]
	s_cbranch_execz .LBB52_804
.LBB52_803:
	v_and_b32_e32 v10, 7, v15
	v_ffbh_u32_e32 v20, v10
	v_min_u32_e32 v20, 32, v20
	v_lshrrev_b16_e32 v14, 3, v15
	v_subrev_u32_e32 v21, 28, v20
	v_and_b32_e32 v14, 15, v14
	v_lshlrev_b32_e32 v21, v21, v15
	v_sub_u32_e32 v20, 29, v20
	v_and_b32_e32 v21, 7, v21
	v_cmp_eq_u16_e32 vcc, 0, v14
	v_cndmask_b32_e32 v10, v10, v21, vcc
	v_cndmask_b32_e32 v14, v14, v20, vcc
	v_lshlrev_b32_e32 v20, 24, v15
	v_mov_b32_e32 v21, 0x3b800000
	v_lshlrev_b32_e32 v10, 20, v10
	v_and_b32_e32 v20, 0x80000000, v20
	v_lshl_add_u32 v14, v14, 23, v21
	v_or3_b32 v10, v20, v14, v10
.LBB52_804:
	s_or_b64 exec, exec, s[6:7]
	s_movk_i32 s4, 0x7f
	v_cmp_gt_i16_sdwa s[6:7], v11, s4 src0_sel:BYTE_0 src1_sel:DWORD
	s_mov_b64 s[4:5], 0
                                        ; implicit-def: $sgpr10
	s_and_saveexec_b64 s[8:9], s[6:7]
	s_xor_b64 s[6:7], exec, s[8:9]
	s_cbranch_execnz .LBB52_2853
; %bb.805:
	s_or_saveexec_b64 s[6:7], s[6:7]
	v_mov_b32_e32 v14, s10
	s_xor_b64 exec, exec, s[6:7]
	s_cbranch_execnz .LBB52_2856
.LBB52_806:
	s_or_b64 exec, exec, s[6:7]
	s_and_saveexec_b64 s[6:7], s[4:5]
	s_cbranch_execz .LBB52_808
.LBB52_807:
	v_and_b32_e32 v14, 7, v11
	v_ffbh_u32_e32 v21, v14
	v_min_u32_e32 v21, 32, v21
	v_lshrrev_b16_e32 v20, 3, v11
	v_subrev_u32_e32 v22, 28, v21
	v_and_b32_e32 v20, 15, v20
	v_lshlrev_b32_e32 v22, v22, v11
	v_sub_u32_e32 v21, 29, v21
	v_and_b32_e32 v22, 7, v22
	v_cmp_eq_u16_e32 vcc, 0, v20
	v_cndmask_b32_e32 v14, v14, v22, vcc
	v_cndmask_b32_e32 v20, v20, v21, vcc
	v_lshlrev_b32_e32 v21, 24, v11
	v_mov_b32_e32 v22, 0x3b800000
	v_lshlrev_b32_e32 v14, 20, v14
	v_and_b32_e32 v21, 0x80000000, v21
	v_lshl_add_u32 v20, v20, 23, v22
	v_or3_b32 v14, v21, v20, v14
.LBB52_808:
	s_or_b64 exec, exec, s[6:7]
	s_nop 0
	v_mfma_f32_16x16x4f32 a[0:3], v10, v14, a[0:3]
	v_lshrrev_b32_e32 v14, 8, v15
	s_movk_i32 s4, 0x7f
	v_cmp_gt_i16_sdwa s[6:7], v14, s4 src0_sel:BYTE_0 src1_sel:DWORD
	s_mov_b64 s[4:5], 0
                                        ; implicit-def: $sgpr10
	s_and_saveexec_b64 s[8:9], s[6:7]
	s_xor_b64 s[6:7], exec, s[8:9]
	s_cbranch_execnz .LBB52_2857
; %bb.809:
	s_or_saveexec_b64 s[6:7], s[6:7]
	v_mov_b32_e32 v10, s10
	s_xor_b64 exec, exec, s[6:7]
	s_cbranch_execnz .LBB52_2860
.LBB52_810:
	s_or_b64 exec, exec, s[6:7]
	s_and_saveexec_b64 s[6:7], s[4:5]
	s_cbranch_execz .LBB52_812
.LBB52_811:
	v_bfe_u32 v10, v15, 8, 3
	v_ffbh_u32_e32 v21, v10
	v_min_u32_e32 v21, 32, v21
	v_lshrrev_b16_e32 v20, 3, v14
	v_subrev_u32_e32 v22, 28, v21
	v_and_b32_e32 v20, 15, v20
	v_lshlrev_b32_e32 v14, v22, v14
	v_sub_u32_e32 v21, 29, v21
	v_and_b32_e32 v14, 7, v14
	v_cmp_eq_u16_e32 vcc, 0, v20
	v_cndmask_b32_e32 v10, v10, v14, vcc
	v_cndmask_b32_e32 v14, v20, v21, vcc
	v_lshlrev_b32_e32 v20, 16, v15
	v_mov_b32_e32 v21, 0x3b800000
	v_lshlrev_b32_e32 v10, 20, v10
	v_and_b32_e32 v20, 0x80000000, v20
	v_lshl_add_u32 v14, v14, 23, v21
	v_or3_b32 v10, v20, v14, v10
.LBB52_812:
	s_or_b64 exec, exec, s[6:7]
	v_lshrrev_b32_e32 v14, 8, v11
	s_movk_i32 s4, 0x7f
	v_cmp_gt_i16_sdwa s[6:7], v14, s4 src0_sel:BYTE_0 src1_sel:DWORD
	s_mov_b64 s[4:5], 0
                                        ; implicit-def: $sgpr10
	s_and_saveexec_b64 s[8:9], s[6:7]
	s_xor_b64 s[6:7], exec, s[8:9]
	s_cbranch_execnz .LBB52_2861
; %bb.813:
	s_or_saveexec_b64 s[6:7], s[6:7]
	v_mov_b32_e32 v20, s10
	s_xor_b64 exec, exec, s[6:7]
	s_cbranch_execnz .LBB52_2864
.LBB52_814:
	s_or_b64 exec, exec, s[6:7]
	s_and_saveexec_b64 s[6:7], s[4:5]
	s_cbranch_execz .LBB52_816
.LBB52_815:
	v_bfe_u32 v20, v11, 8, 3
	v_ffbh_u32_e32 v22, v20
	v_min_u32_e32 v22, 32, v22
	v_lshrrev_b16_e32 v21, 3, v14
	v_subrev_u32_e32 v23, 28, v22
	v_and_b32_e32 v21, 15, v21
	v_lshlrev_b32_e32 v14, v23, v14
	v_sub_u32_e32 v22, 29, v22
	v_and_b32_e32 v14, 7, v14
	v_cmp_eq_u16_e32 vcc, 0, v21
	v_cndmask_b32_e32 v14, v20, v14, vcc
	v_cndmask_b32_e32 v20, v21, v22, vcc
	v_lshlrev_b32_e32 v21, 16, v11
	v_mov_b32_e32 v22, 0x3b800000
	v_lshlrev_b32_e32 v14, 20, v14
	v_and_b32_e32 v21, 0x80000000, v21
	v_lshl_add_u32 v20, v20, 23, v22
	v_or3_b32 v20, v21, v20, v14
.LBB52_816:
	s_or_b64 exec, exec, s[6:7]
	s_nop 0
	v_mfma_f32_16x16x4f32 a[0:3], v10, v20, a[0:3]
	s_movk_i32 s4, 0xff
	v_and_b32_sdwa v14, v15, s4 dst_sel:DWORD dst_unused:UNUSED_PAD src0_sel:WORD_1 src1_sel:DWORD
	s_movk_i32 s4, 0x7f
	v_cmp_lt_i16_e32 vcc, s4, v14
	s_mov_b64 s[4:5], 0
                                        ; implicit-def: $sgpr10
	s_and_saveexec_b64 s[6:7], vcc
	s_xor_b64 s[6:7], exec, s[6:7]
	s_cbranch_execnz .LBB52_2865
; %bb.817:
	s_or_saveexec_b64 s[6:7], s[6:7]
	v_mov_b32_e32 v10, s10
	s_xor_b64 exec, exec, s[6:7]
	s_cbranch_execnz .LBB52_2868
.LBB52_818:
	s_or_b64 exec, exec, s[6:7]
	s_and_saveexec_b64 s[6:7], s[4:5]
	s_cbranch_execz .LBB52_820
.LBB52_819:
	v_bfe_u32 v10, v15, 16, 3
	v_ffbh_u32_e32 v21, v10
	v_min_u32_e32 v21, 32, v21
	v_lshrrev_b32_e32 v14, 19, v15
	v_subrev_u32_e32 v22, 28, v21
	v_and_b32_e32 v14, 15, v14
	v_lshlrev_b32_sdwa v22, v22, v15 dst_sel:DWORD dst_unused:UNUSED_PAD src0_sel:DWORD src1_sel:WORD_1
	v_bfe_u32 v20, v15, 19, 4
	v_sub_u32_e32 v21, 29, v21
	v_and_b32_e32 v22, 7, v22
	v_cmp_eq_u16_e32 vcc, 0, v14
	v_cndmask_b32_e32 v10, v10, v22, vcc
	v_cndmask_b32_e32 v14, v20, v21, vcc
	v_lshlrev_b32_e32 v20, 8, v15
	v_mov_b32_e32 v21, 0x3b800000
	v_lshlrev_b32_e32 v10, 20, v10
	v_and_b32_e32 v20, 0x80000000, v20
	v_lshl_add_u32 v14, v14, 23, v21
	v_or3_b32 v10, v20, v14, v10
.LBB52_820:
	s_or_b64 exec, exec, s[6:7]
	s_movk_i32 s4, 0xff
	v_and_b32_sdwa v14, v11, s4 dst_sel:DWORD dst_unused:UNUSED_PAD src0_sel:WORD_1 src1_sel:DWORD
	s_movk_i32 s4, 0x7f
	v_cmp_lt_i16_e32 vcc, s4, v14
	s_mov_b64 s[4:5], 0
                                        ; implicit-def: $sgpr10
	s_and_saveexec_b64 s[6:7], vcc
	s_xor_b64 s[6:7], exec, s[6:7]
	s_cbranch_execnz .LBB52_2869
; %bb.821:
	s_or_saveexec_b64 s[6:7], s[6:7]
	v_mov_b32_e32 v20, s10
	s_xor_b64 exec, exec, s[6:7]
	s_cbranch_execnz .LBB52_2872
.LBB52_822:
	s_or_b64 exec, exec, s[6:7]
	s_and_saveexec_b64 s[6:7], s[4:5]
	s_cbranch_execz .LBB52_824
.LBB52_823:
	v_bfe_u32 v14, v11, 16, 3
	v_ffbh_u32_e32 v22, v14
	v_min_u32_e32 v22, 32, v22
	v_lshrrev_b32_e32 v20, 19, v11
	v_subrev_u32_e32 v23, 28, v22
	v_and_b32_e32 v20, 15, v20
	v_lshlrev_b32_sdwa v23, v23, v11 dst_sel:DWORD dst_unused:UNUSED_PAD src0_sel:DWORD src1_sel:WORD_1
	v_bfe_u32 v21, v11, 19, 4
	v_sub_u32_e32 v22, 29, v22
	v_and_b32_e32 v23, 7, v23
	v_cmp_eq_u16_e32 vcc, 0, v20
	v_cndmask_b32_e32 v14, v14, v23, vcc
	v_cndmask_b32_e32 v20, v21, v22, vcc
	v_lshlrev_b32_e32 v21, 8, v11
	v_mov_b32_e32 v22, 0x3b800000
	v_lshlrev_b32_e32 v14, 20, v14
	v_and_b32_e32 v21, 0x80000000, v21
	v_lshl_add_u32 v20, v20, 23, v22
	v_or3_b32 v20, v21, v20, v14
.LBB52_824:
	s_or_b64 exec, exec, s[6:7]
	s_nop 0
	v_mfma_f32_16x16x4f32 a[0:3], v10, v20, a[0:3]
	s_movk_i32 s4, 0x7f
	v_cmp_gt_i16_sdwa s[6:7], v15, s4 src0_sel:BYTE_3 src1_sel:DWORD
	s_mov_b64 s[4:5], 0
                                        ; implicit-def: $sgpr10
	s_and_saveexec_b64 s[8:9], s[6:7]
	s_xor_b64 s[6:7], exec, s[8:9]
	s_cbranch_execnz .LBB52_2873
; %bb.825:
	s_or_saveexec_b64 s[6:7], s[6:7]
	v_mov_b32_e32 v10, s10
	s_xor_b64 exec, exec, s[6:7]
	s_cbranch_execnz .LBB52_2876
.LBB52_826:
	s_or_b64 exec, exec, s[6:7]
	s_and_saveexec_b64 s[6:7], s[4:5]
	s_cbranch_execz .LBB52_828
.LBB52_827:
	v_bfe_u32 v10, v15, 24, 3
	v_ffbh_u32_e32 v22, v10
	v_min_u32_e32 v22, 32, v22
	v_lshrrev_b32_e32 v20, 27, v15
	v_subrev_u32_e32 v23, 28, v22
	v_and_b32_e32 v14, 0x80000000, v15
	v_and_b32_e32 v20, 15, v20
	v_bfe_u32 v21, v15, 27, 4
	v_lshlrev_b32_sdwa v15, v23, v15 dst_sel:DWORD dst_unused:UNUSED_PAD src0_sel:DWORD src1_sel:BYTE_3
	v_sub_u32_e32 v22, 29, v22
	v_and_b32_e32 v15, 7, v15
	v_cmp_eq_u16_e32 vcc, 0, v20
	v_cndmask_b32_e32 v10, v10, v15, vcc
	v_cndmask_b32_e32 v15, v21, v22, vcc
	v_mov_b32_e32 v20, 0x3b800000
	v_lshlrev_b32_e32 v10, 20, v10
	v_lshl_add_u32 v15, v15, 23, v20
	v_or3_b32 v10, v14, v15, v10
.LBB52_828:
	s_or_b64 exec, exec, s[6:7]
	s_movk_i32 s4, 0x7f
	v_cmp_gt_i16_sdwa s[6:7], v11, s4 src0_sel:BYTE_3 src1_sel:DWORD
	s_mov_b64 s[4:5], 0
                                        ; implicit-def: $sgpr10
	s_and_saveexec_b64 s[8:9], s[6:7]
	s_xor_b64 s[6:7], exec, s[8:9]
	s_cbranch_execnz .LBB52_2877
; %bb.829:
	s_or_saveexec_b64 s[6:7], s[6:7]
	v_mov_b32_e32 v14, s10
	s_xor_b64 exec, exec, s[6:7]
	s_cbranch_execnz .LBB52_2880
.LBB52_830:
	s_or_b64 exec, exec, s[6:7]
	s_and_saveexec_b64 s[6:7], s[4:5]
	s_cbranch_execz .LBB52_832
.LBB52_831:
	v_bfe_u32 v14, v11, 24, 3
	v_ffbh_u32_e32 v22, v14
	v_min_u32_e32 v22, 32, v22
	v_lshrrev_b32_e32 v20, 27, v11
	v_subrev_u32_e32 v23, 28, v22
	v_and_b32_e32 v15, 0x80000000, v11
	v_and_b32_e32 v20, 15, v20
	v_bfe_u32 v21, v11, 27, 4
	v_lshlrev_b32_sdwa v11, v23, v11 dst_sel:DWORD dst_unused:UNUSED_PAD src0_sel:DWORD src1_sel:BYTE_3
	v_sub_u32_e32 v22, 29, v22
	v_and_b32_e32 v11, 7, v11
	v_cmp_eq_u16_e32 vcc, 0, v20
	v_cndmask_b32_e32 v11, v14, v11, vcc
	v_cndmask_b32_e32 v14, v21, v22, vcc
	v_mov_b32_e32 v20, 0x3b800000
	v_lshlrev_b32_e32 v11, 20, v11
	v_lshl_add_u32 v14, v14, 23, v20
	v_or3_b32 v14, v15, v14, v11
.LBB52_832:
	s_or_b64 exec, exec, s[6:7]
	s_nop 0
	v_mfma_f32_16x16x4f32 a[0:3], v10, v14, a[0:3]
	s_movk_i32 s4, 0x7f
	v_cmp_gt_i16_sdwa s[6:7], v16, s4 src0_sel:BYTE_0 src1_sel:DWORD
	s_mov_b64 s[4:5], 0
                                        ; implicit-def: $sgpr10
	s_and_saveexec_b64 s[8:9], s[6:7]
	s_xor_b64 s[6:7], exec, s[8:9]
	s_cbranch_execnz .LBB52_2881
; %bb.833:
	s_or_saveexec_b64 s[6:7], s[6:7]
	v_mov_b32_e32 v10, s10
	s_xor_b64 exec, exec, s[6:7]
	s_cbranch_execnz .LBB52_2884
.LBB52_834:
	s_or_b64 exec, exec, s[6:7]
	s_and_saveexec_b64 s[6:7], s[4:5]
	s_cbranch_execz .LBB52_836
.LBB52_835:
	v_and_b32_e32 v10, 7, v16
	v_ffbh_u32_e32 v14, v10
	v_min_u32_e32 v14, 32, v14
	v_lshrrev_b16_e32 v11, 3, v16
	v_subrev_u32_e32 v15, 28, v14
	v_and_b32_e32 v11, 15, v11
	v_lshlrev_b32_e32 v15, v15, v16
	v_sub_u32_e32 v14, 29, v14
	v_and_b32_e32 v15, 7, v15
	v_cmp_eq_u16_e32 vcc, 0, v11
	v_cndmask_b32_e32 v10, v10, v15, vcc
	v_cndmask_b32_e32 v11, v11, v14, vcc
	v_lshlrev_b32_e32 v14, 24, v16
	v_mov_b32_e32 v15, 0x3b800000
	v_lshlrev_b32_e32 v10, 20, v10
	v_and_b32_e32 v14, 0x80000000, v14
	v_lshl_add_u32 v11, v11, 23, v15
	v_or3_b32 v10, v14, v11, v10
.LBB52_836:
	s_or_b64 exec, exec, s[6:7]
	s_movk_i32 s4, 0x7f
	v_cmp_gt_i16_sdwa s[6:7], v12, s4 src0_sel:BYTE_0 src1_sel:DWORD
	s_mov_b64 s[4:5], 0
                                        ; implicit-def: $sgpr10
	s_and_saveexec_b64 s[8:9], s[6:7]
	s_xor_b64 s[6:7], exec, s[8:9]
	s_cbranch_execnz .LBB52_2885
; %bb.837:
	s_or_saveexec_b64 s[6:7], s[6:7]
	v_mov_b32_e32 v11, s10
	s_xor_b64 exec, exec, s[6:7]
	s_cbranch_execnz .LBB52_2888
.LBB52_838:
	s_or_b64 exec, exec, s[6:7]
	s_and_saveexec_b64 s[6:7], s[4:5]
	s_cbranch_execz .LBB52_840
.LBB52_839:
	v_and_b32_e32 v11, 7, v12
	v_ffbh_u32_e32 v15, v11
	v_min_u32_e32 v15, 32, v15
	v_lshrrev_b16_e32 v14, 3, v12
	v_subrev_u32_e32 v20, 28, v15
	v_and_b32_e32 v14, 15, v14
	v_lshlrev_b32_e32 v20, v20, v12
	v_sub_u32_e32 v15, 29, v15
	v_and_b32_e32 v20, 7, v20
	v_cmp_eq_u16_e32 vcc, 0, v14
	v_cndmask_b32_e32 v11, v11, v20, vcc
	v_cndmask_b32_e32 v14, v14, v15, vcc
	v_lshlrev_b32_e32 v15, 24, v12
	v_mov_b32_e32 v20, 0x3b800000
	v_lshlrev_b32_e32 v11, 20, v11
	v_and_b32_e32 v15, 0x80000000, v15
	v_lshl_add_u32 v14, v14, 23, v20
	v_or3_b32 v11, v15, v14, v11
.LBB52_840:
	s_or_b64 exec, exec, s[6:7]
	s_nop 0
	v_mfma_f32_16x16x4f32 a[0:3], v10, v11, a[0:3]
	v_lshrrev_b32_e32 v11, 8, v16
	s_movk_i32 s4, 0x7f
	v_cmp_gt_i16_sdwa s[6:7], v11, s4 src0_sel:BYTE_0 src1_sel:DWORD
	s_mov_b64 s[4:5], 0
                                        ; implicit-def: $sgpr10
	s_and_saveexec_b64 s[8:9], s[6:7]
	s_xor_b64 s[6:7], exec, s[8:9]
	s_cbranch_execnz .LBB52_2889
; %bb.841:
	s_or_saveexec_b64 s[6:7], s[6:7]
	v_mov_b32_e32 v10, s10
	s_xor_b64 exec, exec, s[6:7]
	s_cbranch_execnz .LBB52_2892
.LBB52_842:
	s_or_b64 exec, exec, s[6:7]
	s_and_saveexec_b64 s[6:7], s[4:5]
	s_cbranch_execz .LBB52_844
.LBB52_843:
	v_bfe_u32 v10, v16, 8, 3
	v_ffbh_u32_e32 v15, v10
	v_min_u32_e32 v15, 32, v15
	v_lshrrev_b16_e32 v14, 3, v11
	v_subrev_u32_e32 v20, 28, v15
	v_and_b32_e32 v14, 15, v14
	v_lshlrev_b32_e32 v11, v20, v11
	v_sub_u32_e32 v15, 29, v15
	v_and_b32_e32 v11, 7, v11
	v_cmp_eq_u16_e32 vcc, 0, v14
	v_cndmask_b32_e32 v10, v10, v11, vcc
	v_cndmask_b32_e32 v11, v14, v15, vcc
	v_lshlrev_b32_e32 v14, 16, v16
	v_mov_b32_e32 v15, 0x3b800000
	v_lshlrev_b32_e32 v10, 20, v10
	v_and_b32_e32 v14, 0x80000000, v14
	v_lshl_add_u32 v11, v11, 23, v15
	v_or3_b32 v10, v14, v11, v10
.LBB52_844:
	s_or_b64 exec, exec, s[6:7]
	v_lshrrev_b32_e32 v11, 8, v12
	s_movk_i32 s4, 0x7f
	v_cmp_gt_i16_sdwa s[6:7], v11, s4 src0_sel:BYTE_0 src1_sel:DWORD
	s_mov_b64 s[4:5], 0
                                        ; implicit-def: $sgpr10
	s_and_saveexec_b64 s[8:9], s[6:7]
	s_xor_b64 s[6:7], exec, s[8:9]
	s_cbranch_execnz .LBB52_2893
; %bb.845:
	s_or_saveexec_b64 s[6:7], s[6:7]
	v_mov_b32_e32 v14, s10
	s_xor_b64 exec, exec, s[6:7]
	s_cbranch_execnz .LBB52_2896
.LBB52_846:
	s_or_b64 exec, exec, s[6:7]
	s_and_saveexec_b64 s[6:7], s[4:5]
	s_cbranch_execz .LBB52_848
.LBB52_847:
	v_bfe_u32 v14, v12, 8, 3
	v_ffbh_u32_e32 v20, v14
	v_min_u32_e32 v20, 32, v20
	v_lshrrev_b16_e32 v15, 3, v11
	v_subrev_u32_e32 v21, 28, v20
	v_and_b32_e32 v15, 15, v15
	v_lshlrev_b32_e32 v11, v21, v11
	v_sub_u32_e32 v20, 29, v20
	v_and_b32_e32 v11, 7, v11
	v_cmp_eq_u16_e32 vcc, 0, v15
	v_cndmask_b32_e32 v11, v14, v11, vcc
	v_cndmask_b32_e32 v14, v15, v20, vcc
	v_lshlrev_b32_e32 v15, 16, v12
	v_mov_b32_e32 v20, 0x3b800000
	v_lshlrev_b32_e32 v11, 20, v11
	v_and_b32_e32 v15, 0x80000000, v15
	v_lshl_add_u32 v14, v14, 23, v20
	v_or3_b32 v14, v15, v14, v11
.LBB52_848:
	s_or_b64 exec, exec, s[6:7]
	s_nop 0
	v_mfma_f32_16x16x4f32 a[0:3], v10, v14, a[0:3]
	s_movk_i32 s4, 0xff
	v_and_b32_sdwa v11, v16, s4 dst_sel:DWORD dst_unused:UNUSED_PAD src0_sel:WORD_1 src1_sel:DWORD
	s_movk_i32 s4, 0x7f
	v_cmp_lt_i16_e32 vcc, s4, v11
	s_mov_b64 s[4:5], 0
                                        ; implicit-def: $sgpr10
	s_and_saveexec_b64 s[6:7], vcc
	s_xor_b64 s[6:7], exec, s[6:7]
	s_cbranch_execnz .LBB52_2897
; %bb.849:
	s_or_saveexec_b64 s[6:7], s[6:7]
	v_mov_b32_e32 v10, s10
	s_xor_b64 exec, exec, s[6:7]
	s_cbranch_execnz .LBB52_2900
.LBB52_850:
	s_or_b64 exec, exec, s[6:7]
	s_and_saveexec_b64 s[6:7], s[4:5]
	s_cbranch_execz .LBB52_852
.LBB52_851:
	v_bfe_u32 v10, v16, 16, 3
	v_ffbh_u32_e32 v15, v10
	v_min_u32_e32 v15, 32, v15
	v_lshrrev_b32_e32 v11, 19, v16
	v_subrev_u32_e32 v20, 28, v15
	v_and_b32_e32 v11, 15, v11
	v_lshlrev_b32_sdwa v20, v20, v16 dst_sel:DWORD dst_unused:UNUSED_PAD src0_sel:DWORD src1_sel:WORD_1
	v_bfe_u32 v14, v16, 19, 4
	v_sub_u32_e32 v15, 29, v15
	v_and_b32_e32 v20, 7, v20
	v_cmp_eq_u16_e32 vcc, 0, v11
	v_cndmask_b32_e32 v10, v10, v20, vcc
	v_cndmask_b32_e32 v11, v14, v15, vcc
	v_lshlrev_b32_e32 v14, 8, v16
	v_mov_b32_e32 v15, 0x3b800000
	v_lshlrev_b32_e32 v10, 20, v10
	v_and_b32_e32 v14, 0x80000000, v14
	v_lshl_add_u32 v11, v11, 23, v15
	v_or3_b32 v10, v14, v11, v10
.LBB52_852:
	s_or_b64 exec, exec, s[6:7]
	s_movk_i32 s4, 0xff
	v_and_b32_sdwa v11, v12, s4 dst_sel:DWORD dst_unused:UNUSED_PAD src0_sel:WORD_1 src1_sel:DWORD
	s_movk_i32 s4, 0x7f
	v_cmp_lt_i16_e32 vcc, s4, v11
	s_mov_b64 s[4:5], 0
                                        ; implicit-def: $sgpr10
	s_and_saveexec_b64 s[6:7], vcc
	s_xor_b64 s[6:7], exec, s[6:7]
	s_cbranch_execnz .LBB52_2901
; %bb.853:
	s_or_saveexec_b64 s[6:7], s[6:7]
	v_mov_b32_e32 v14, s10
	s_xor_b64 exec, exec, s[6:7]
	s_cbranch_execnz .LBB52_2904
.LBB52_854:
	s_or_b64 exec, exec, s[6:7]
	s_and_saveexec_b64 s[6:7], s[4:5]
	s_cbranch_execz .LBB52_856
.LBB52_855:
	v_bfe_u32 v11, v12, 16, 3
	v_ffbh_u32_e32 v20, v11
	v_min_u32_e32 v20, 32, v20
	v_lshrrev_b32_e32 v14, 19, v12
	v_subrev_u32_e32 v21, 28, v20
	v_and_b32_e32 v14, 15, v14
	v_lshlrev_b32_sdwa v21, v21, v12 dst_sel:DWORD dst_unused:UNUSED_PAD src0_sel:DWORD src1_sel:WORD_1
	v_bfe_u32 v15, v12, 19, 4
	v_sub_u32_e32 v20, 29, v20
	v_and_b32_e32 v21, 7, v21
	v_cmp_eq_u16_e32 vcc, 0, v14
	v_cndmask_b32_e32 v11, v11, v21, vcc
	v_cndmask_b32_e32 v14, v15, v20, vcc
	v_lshlrev_b32_e32 v15, 8, v12
	v_mov_b32_e32 v20, 0x3b800000
	v_lshlrev_b32_e32 v11, 20, v11
	v_and_b32_e32 v15, 0x80000000, v15
	v_lshl_add_u32 v14, v14, 23, v20
	v_or3_b32 v14, v15, v14, v11
.LBB52_856:
	s_or_b64 exec, exec, s[6:7]
	s_nop 0
	v_mfma_f32_16x16x4f32 a[0:3], v10, v14, a[0:3]
	s_movk_i32 s4, 0x7f
	v_cmp_gt_i16_sdwa s[6:7], v16, s4 src0_sel:BYTE_3 src1_sel:DWORD
	s_mov_b64 s[4:5], 0
                                        ; implicit-def: $sgpr10
	s_and_saveexec_b64 s[8:9], s[6:7]
	s_xor_b64 s[6:7], exec, s[8:9]
	s_cbranch_execnz .LBB52_2905
; %bb.857:
	s_or_saveexec_b64 s[6:7], s[6:7]
	v_mov_b32_e32 v10, s10
	s_xor_b64 exec, exec, s[6:7]
	s_cbranch_execnz .LBB52_2908
.LBB52_858:
	s_or_b64 exec, exec, s[6:7]
	s_and_saveexec_b64 s[6:7], s[4:5]
	s_cbranch_execz .LBB52_860
.LBB52_859:
	v_bfe_u32 v10, v16, 24, 3
	v_ffbh_u32_e32 v20, v10
	v_min_u32_e32 v20, 32, v20
	v_lshrrev_b32_e32 v14, 27, v16
	v_subrev_u32_e32 v21, 28, v20
	v_and_b32_e32 v11, 0x80000000, v16
	v_and_b32_e32 v14, 15, v14
	v_bfe_u32 v15, v16, 27, 4
	v_lshlrev_b32_sdwa v16, v21, v16 dst_sel:DWORD dst_unused:UNUSED_PAD src0_sel:DWORD src1_sel:BYTE_3
	v_sub_u32_e32 v20, 29, v20
	v_and_b32_e32 v16, 7, v16
	v_cmp_eq_u16_e32 vcc, 0, v14
	v_cndmask_b32_e32 v10, v10, v16, vcc
	v_cndmask_b32_e32 v14, v15, v20, vcc
	v_mov_b32_e32 v15, 0x3b800000
	v_lshlrev_b32_e32 v10, 20, v10
	v_lshl_add_u32 v14, v14, 23, v15
	v_or3_b32 v10, v11, v14, v10
.LBB52_860:
	s_or_b64 exec, exec, s[6:7]
	s_movk_i32 s4, 0x7f
	v_cmp_gt_i16_sdwa s[6:7], v12, s4 src0_sel:BYTE_3 src1_sel:DWORD
	s_mov_b64 s[4:5], 0
                                        ; implicit-def: $sgpr10
	s_and_saveexec_b64 s[8:9], s[6:7]
	s_xor_b64 s[6:7], exec, s[8:9]
	s_cbranch_execnz .LBB52_2909
; %bb.861:
	s_or_saveexec_b64 s[6:7], s[6:7]
	v_mov_b32_e32 v11, s10
	s_xor_b64 exec, exec, s[6:7]
	s_cbranch_execnz .LBB52_2912
.LBB52_862:
	s_or_b64 exec, exec, s[6:7]
	s_and_saveexec_b64 s[6:7], s[4:5]
	s_cbranch_execz .LBB52_864
.LBB52_863:
	v_bfe_u32 v11, v12, 24, 3
	v_ffbh_u32_e32 v20, v11
	v_min_u32_e32 v20, 32, v20
	v_lshrrev_b32_e32 v15, 27, v12
	v_subrev_u32_e32 v21, 28, v20
	v_and_b32_e32 v14, 0x80000000, v12
	v_and_b32_e32 v15, 15, v15
	v_bfe_u32 v16, v12, 27, 4
	v_lshlrev_b32_sdwa v12, v21, v12 dst_sel:DWORD dst_unused:UNUSED_PAD src0_sel:DWORD src1_sel:BYTE_3
	v_sub_u32_e32 v20, 29, v20
	v_and_b32_e32 v12, 7, v12
	v_cmp_eq_u16_e32 vcc, 0, v15
	v_cndmask_b32_e32 v11, v11, v12, vcc
	v_cndmask_b32_e32 v12, v16, v20, vcc
	v_mov_b32_e32 v15, 0x3b800000
	v_lshlrev_b32_e32 v11, 20, v11
	v_lshl_add_u32 v12, v12, 23, v15
	v_or3_b32 v11, v14, v12, v11
.LBB52_864:
	s_or_b64 exec, exec, s[6:7]
	s_nop 0
	v_mfma_f32_16x16x4f32 a[0:3], v10, v11, a[0:3]
	s_movk_i32 s4, 0x7f
	v_cmp_gt_i16_sdwa s[6:7], v17, s4 src0_sel:BYTE_0 src1_sel:DWORD
	s_mov_b64 s[4:5], 0
                                        ; implicit-def: $sgpr10
	s_and_saveexec_b64 s[8:9], s[6:7]
	s_xor_b64 s[6:7], exec, s[8:9]
	s_cbranch_execnz .LBB52_2913
; %bb.865:
	s_or_saveexec_b64 s[6:7], s[6:7]
	v_mov_b32_e32 v10, s10
	s_xor_b64 exec, exec, s[6:7]
	s_cbranch_execnz .LBB52_2916
.LBB52_866:
	s_or_b64 exec, exec, s[6:7]
	s_and_saveexec_b64 s[6:7], s[4:5]
	s_cbranch_execz .LBB52_868
.LBB52_867:
	v_and_b32_e32 v10, 7, v17
	v_ffbh_u32_e32 v12, v10
	v_min_u32_e32 v12, 32, v12
	v_lshrrev_b16_e32 v11, 3, v17
	v_subrev_u32_e32 v14, 28, v12
	v_and_b32_e32 v11, 15, v11
	v_lshlrev_b32_e32 v14, v14, v17
	v_sub_u32_e32 v12, 29, v12
	v_and_b32_e32 v14, 7, v14
	v_cmp_eq_u16_e32 vcc, 0, v11
	v_cndmask_b32_e32 v10, v10, v14, vcc
	v_cndmask_b32_e32 v11, v11, v12, vcc
	v_lshlrev_b32_e32 v12, 24, v17
	v_mov_b32_e32 v14, 0x3b800000
	v_lshlrev_b32_e32 v10, 20, v10
	v_and_b32_e32 v12, 0x80000000, v12
	v_lshl_add_u32 v11, v11, 23, v14
	v_or3_b32 v10, v12, v11, v10
.LBB52_868:
	s_or_b64 exec, exec, s[6:7]
	s_movk_i32 s4, 0x7f
	v_cmp_gt_i16_sdwa s[6:7], v13, s4 src0_sel:BYTE_0 src1_sel:DWORD
	s_mov_b64 s[4:5], 0
                                        ; implicit-def: $sgpr10
	s_and_saveexec_b64 s[8:9], s[6:7]
	s_xor_b64 s[6:7], exec, s[8:9]
	s_cbranch_execnz .LBB52_2917
; %bb.869:
	s_or_saveexec_b64 s[6:7], s[6:7]
	v_mov_b32_e32 v11, s10
	s_xor_b64 exec, exec, s[6:7]
	s_cbranch_execnz .LBB52_2920
.LBB52_870:
	s_or_b64 exec, exec, s[6:7]
	s_and_saveexec_b64 s[6:7], s[4:5]
	s_cbranch_execz .LBB52_872
.LBB52_871:
	v_and_b32_e32 v11, 7, v13
	v_ffbh_u32_e32 v14, v11
	v_min_u32_e32 v14, 32, v14
	v_lshrrev_b16_e32 v12, 3, v13
	v_subrev_u32_e32 v15, 28, v14
	v_and_b32_e32 v12, 15, v12
	v_lshlrev_b32_e32 v15, v15, v13
	v_sub_u32_e32 v14, 29, v14
	v_and_b32_e32 v15, 7, v15
	v_cmp_eq_u16_e32 vcc, 0, v12
	v_cndmask_b32_e32 v11, v11, v15, vcc
	v_cndmask_b32_e32 v12, v12, v14, vcc
	v_lshlrev_b32_e32 v14, 24, v13
	v_mov_b32_e32 v15, 0x3b800000
	v_lshlrev_b32_e32 v11, 20, v11
	v_and_b32_e32 v14, 0x80000000, v14
	v_lshl_add_u32 v12, v12, 23, v15
	v_or3_b32 v11, v14, v12, v11
.LBB52_872:
	s_or_b64 exec, exec, s[6:7]
	s_nop 0
	v_mfma_f32_16x16x4f32 a[0:3], v10, v11, a[0:3]
	v_lshrrev_b32_e32 v11, 8, v17
	s_movk_i32 s4, 0x7f
	v_cmp_gt_i16_sdwa s[6:7], v11, s4 src0_sel:BYTE_0 src1_sel:DWORD
	s_mov_b64 s[4:5], 0
                                        ; implicit-def: $sgpr10
	s_and_saveexec_b64 s[8:9], s[6:7]
	s_xor_b64 s[6:7], exec, s[8:9]
	s_cbranch_execnz .LBB52_2921
; %bb.873:
	s_or_saveexec_b64 s[6:7], s[6:7]
	v_mov_b32_e32 v10, s10
	s_xor_b64 exec, exec, s[6:7]
	s_cbranch_execnz .LBB52_2924
.LBB52_874:
	s_or_b64 exec, exec, s[6:7]
	s_and_saveexec_b64 s[6:7], s[4:5]
	s_cbranch_execz .LBB52_876
.LBB52_875:
	v_bfe_u32 v10, v17, 8, 3
	v_ffbh_u32_e32 v14, v10
	v_min_u32_e32 v14, 32, v14
	v_lshrrev_b16_e32 v12, 3, v11
	v_subrev_u32_e32 v15, 28, v14
	v_and_b32_e32 v12, 15, v12
	v_lshlrev_b32_e32 v11, v15, v11
	v_sub_u32_e32 v14, 29, v14
	v_and_b32_e32 v11, 7, v11
	v_cmp_eq_u16_e32 vcc, 0, v12
	v_cndmask_b32_e32 v10, v10, v11, vcc
	v_cndmask_b32_e32 v11, v12, v14, vcc
	v_lshlrev_b32_e32 v12, 16, v17
	v_mov_b32_e32 v14, 0x3b800000
	v_lshlrev_b32_e32 v10, 20, v10
	v_and_b32_e32 v12, 0x80000000, v12
	v_lshl_add_u32 v11, v11, 23, v14
	v_or3_b32 v10, v12, v11, v10
.LBB52_876:
	s_or_b64 exec, exec, s[6:7]
	v_lshrrev_b32_e32 v11, 8, v13
	s_movk_i32 s4, 0x7f
	v_cmp_gt_i16_sdwa s[6:7], v11, s4 src0_sel:BYTE_0 src1_sel:DWORD
	s_mov_b64 s[4:5], 0
                                        ; implicit-def: $sgpr10
	s_and_saveexec_b64 s[8:9], s[6:7]
	s_xor_b64 s[6:7], exec, s[8:9]
	s_cbranch_execnz .LBB52_2925
; %bb.877:
	s_or_saveexec_b64 s[6:7], s[6:7]
	v_mov_b32_e32 v12, s10
	s_xor_b64 exec, exec, s[6:7]
	s_cbranch_execnz .LBB52_2928
.LBB52_878:
	s_or_b64 exec, exec, s[6:7]
	s_and_saveexec_b64 s[6:7], s[4:5]
	s_cbranch_execz .LBB52_880
.LBB52_879:
	v_bfe_u32 v12, v13, 8, 3
	v_ffbh_u32_e32 v15, v12
	v_min_u32_e32 v15, 32, v15
	v_lshrrev_b16_e32 v14, 3, v11
	v_subrev_u32_e32 v16, 28, v15
	v_and_b32_e32 v14, 15, v14
	v_lshlrev_b32_e32 v11, v16, v11
	v_sub_u32_e32 v15, 29, v15
	v_and_b32_e32 v11, 7, v11
	v_cmp_eq_u16_e32 vcc, 0, v14
	v_cndmask_b32_e32 v11, v12, v11, vcc
	v_cndmask_b32_e32 v12, v14, v15, vcc
	v_lshlrev_b32_e32 v14, 16, v13
	v_mov_b32_e32 v15, 0x3b800000
	v_lshlrev_b32_e32 v11, 20, v11
	v_and_b32_e32 v14, 0x80000000, v14
	v_lshl_add_u32 v12, v12, 23, v15
	v_or3_b32 v12, v14, v12, v11
.LBB52_880:
	s_or_b64 exec, exec, s[6:7]
	s_nop 0
	v_mfma_f32_16x16x4f32 a[0:3], v10, v12, a[0:3]
	s_movk_i32 s4, 0xff
	v_and_b32_sdwa v11, v17, s4 dst_sel:DWORD dst_unused:UNUSED_PAD src0_sel:WORD_1 src1_sel:DWORD
	s_movk_i32 s4, 0x7f
	v_cmp_lt_i16_e32 vcc, s4, v11
	s_mov_b64 s[4:5], 0
                                        ; implicit-def: $sgpr10
	s_and_saveexec_b64 s[6:7], vcc
	s_xor_b64 s[6:7], exec, s[6:7]
	s_cbranch_execnz .LBB52_2929
; %bb.881:
	s_or_saveexec_b64 s[6:7], s[6:7]
	v_mov_b32_e32 v10, s10
	s_xor_b64 exec, exec, s[6:7]
	s_cbranch_execnz .LBB52_2932
.LBB52_882:
	s_or_b64 exec, exec, s[6:7]
	s_and_saveexec_b64 s[6:7], s[4:5]
	s_cbranch_execz .LBB52_884
.LBB52_883:
	v_bfe_u32 v10, v17, 16, 3
	v_ffbh_u32_e32 v14, v10
	v_min_u32_e32 v14, 32, v14
	v_lshrrev_b32_e32 v11, 19, v17
	v_subrev_u32_e32 v15, 28, v14
	v_and_b32_e32 v11, 15, v11
	v_lshlrev_b32_sdwa v15, v15, v17 dst_sel:DWORD dst_unused:UNUSED_PAD src0_sel:DWORD src1_sel:WORD_1
	v_bfe_u32 v12, v17, 19, 4
	v_sub_u32_e32 v14, 29, v14
	v_and_b32_e32 v15, 7, v15
	v_cmp_eq_u16_e32 vcc, 0, v11
	v_cndmask_b32_e32 v10, v10, v15, vcc
	v_cndmask_b32_e32 v11, v12, v14, vcc
	v_lshlrev_b32_e32 v12, 8, v17
	v_mov_b32_e32 v14, 0x3b800000
	v_lshlrev_b32_e32 v10, 20, v10
	v_and_b32_e32 v12, 0x80000000, v12
	v_lshl_add_u32 v11, v11, 23, v14
	v_or3_b32 v10, v12, v11, v10
.LBB52_884:
	s_or_b64 exec, exec, s[6:7]
	s_movk_i32 s4, 0xff
	v_and_b32_sdwa v11, v13, s4 dst_sel:DWORD dst_unused:UNUSED_PAD src0_sel:WORD_1 src1_sel:DWORD
	s_movk_i32 s4, 0x7f
	v_cmp_lt_i16_e32 vcc, s4, v11
	s_mov_b64 s[4:5], 0
                                        ; implicit-def: $sgpr10
	s_and_saveexec_b64 s[6:7], vcc
	s_xor_b64 s[6:7], exec, s[6:7]
	s_cbranch_execnz .LBB52_2933
; %bb.885:
	s_or_saveexec_b64 s[6:7], s[6:7]
	v_mov_b32_e32 v12, s10
	s_xor_b64 exec, exec, s[6:7]
	s_cbranch_execnz .LBB52_2936
.LBB52_886:
	s_or_b64 exec, exec, s[6:7]
	s_and_saveexec_b64 s[6:7], s[4:5]
	s_cbranch_execz .LBB52_888
.LBB52_887:
	v_bfe_u32 v11, v13, 16, 3
	v_ffbh_u32_e32 v15, v11
	v_min_u32_e32 v15, 32, v15
	v_lshrrev_b32_e32 v12, 19, v13
	v_subrev_u32_e32 v16, 28, v15
	v_and_b32_e32 v12, 15, v12
	v_lshlrev_b32_sdwa v16, v16, v13 dst_sel:DWORD dst_unused:UNUSED_PAD src0_sel:DWORD src1_sel:WORD_1
	v_bfe_u32 v14, v13, 19, 4
	v_sub_u32_e32 v15, 29, v15
	v_and_b32_e32 v16, 7, v16
	v_cmp_eq_u16_e32 vcc, 0, v12
	v_cndmask_b32_e32 v11, v11, v16, vcc
	v_cndmask_b32_e32 v12, v14, v15, vcc
	v_lshlrev_b32_e32 v14, 8, v13
	v_mov_b32_e32 v15, 0x3b800000
	v_lshlrev_b32_e32 v11, 20, v11
	v_and_b32_e32 v14, 0x80000000, v14
	v_lshl_add_u32 v12, v12, 23, v15
	v_or3_b32 v12, v14, v12, v11
.LBB52_888:
	s_or_b64 exec, exec, s[6:7]
	s_nop 0
	v_mfma_f32_16x16x4f32 a[0:3], v10, v12, a[0:3]
	s_movk_i32 s4, 0x7f
	v_cmp_gt_i16_sdwa s[6:7], v17, s4 src0_sel:BYTE_3 src1_sel:DWORD
	s_mov_b64 s[4:5], 0
                                        ; implicit-def: $sgpr10
	s_and_saveexec_b64 s[8:9], s[6:7]
	s_xor_b64 s[6:7], exec, s[8:9]
	s_cbranch_execnz .LBB52_2937
; %bb.889:
	s_or_saveexec_b64 s[6:7], s[6:7]
	v_mov_b32_e32 v10, s10
	s_xor_b64 exec, exec, s[6:7]
	s_cbranch_execnz .LBB52_2940
.LBB52_890:
	s_or_b64 exec, exec, s[6:7]
	s_and_saveexec_b64 s[6:7], s[4:5]
	s_cbranch_execz .LBB52_892
.LBB52_891:
	v_bfe_u32 v10, v17, 24, 3
	v_ffbh_u32_e32 v15, v10
	v_min_u32_e32 v15, 32, v15
	v_lshrrev_b32_e32 v12, 27, v17
	v_subrev_u32_e32 v16, 28, v15
	v_and_b32_e32 v12, 15, v12
	v_lshlrev_b32_sdwa v16, v16, v17 dst_sel:DWORD dst_unused:UNUSED_PAD src0_sel:DWORD src1_sel:BYTE_3
	v_bfe_u32 v14, v17, 27, 4
	v_sub_u32_e32 v15, 29, v15
	v_and_b32_e32 v16, 7, v16
	v_cmp_eq_u16_e32 vcc, 0, v12
	v_cndmask_b32_e32 v10, v10, v16, vcc
	v_cndmask_b32_e32 v12, v14, v15, vcc
	v_mov_b32_e32 v14, 0x3b800000
	v_and_b32_e32 v11, 0x80000000, v17
	v_lshlrev_b32_e32 v10, 20, v10
	v_lshl_add_u32 v12, v12, 23, v14
	v_or3_b32 v10, v11, v12, v10
.LBB52_892:
	s_or_b64 exec, exec, s[6:7]
	s_movk_i32 s4, 0x7f
	v_cmp_gt_i16_sdwa s[6:7], v13, s4 src0_sel:BYTE_3 src1_sel:DWORD
	s_mov_b64 s[4:5], 0
                                        ; implicit-def: $sgpr10
	s_and_saveexec_b64 s[8:9], s[6:7]
	s_xor_b64 s[6:7], exec, s[8:9]
	s_cbranch_execnz .LBB52_2941
; %bb.893:
	s_or_saveexec_b64 s[6:7], s[6:7]
	v_mov_b32_e32 v11, s10
	s_xor_b64 exec, exec, s[6:7]
	s_cbranch_execnz .LBB52_2944
.LBB52_894:
	s_or_b64 exec, exec, s[6:7]
	s_and_saveexec_b64 s[6:7], s[4:5]
	s_cbranch_execz .LBB52_896
.LBB52_895:
	v_bfe_u32 v11, v13, 24, 3
	v_ffbh_u32_e32 v16, v11
	v_min_u32_e32 v16, 32, v16
	v_lshrrev_b32_e32 v14, 27, v13
	v_subrev_u32_e32 v17, 28, v16
	v_and_b32_e32 v12, 0x80000000, v13
	v_and_b32_e32 v14, 15, v14
	v_bfe_u32 v15, v13, 27, 4
	v_lshlrev_b32_sdwa v13, v17, v13 dst_sel:DWORD dst_unused:UNUSED_PAD src0_sel:DWORD src1_sel:BYTE_3
	v_sub_u32_e32 v16, 29, v16
	v_and_b32_e32 v13, 7, v13
	v_cmp_eq_u16_e32 vcc, 0, v14
	v_cndmask_b32_e32 v11, v11, v13, vcc
	v_cndmask_b32_e32 v13, v15, v16, vcc
	v_mov_b32_e32 v14, 0x3b800000
	v_lshlrev_b32_e32 v11, 20, v11
	v_lshl_add_u32 v13, v13, 23, v14
	v_or3_b32 v11, v12, v13, v11
.LBB52_896:
	s_or_b64 exec, exec, s[6:7]
	s_nop 0
	v_mfma_f32_16x16x4f32 a[0:3], v10, v11, a[0:3]
	s_movk_i32 s4, 0x7f
	v_cmp_gt_i16_sdwa s[6:7], v6, s4 src0_sel:BYTE_0 src1_sel:DWORD
	s_mov_b64 s[4:5], 0
                                        ; implicit-def: $sgpr10
	s_and_saveexec_b64 s[8:9], s[6:7]
	s_xor_b64 s[6:7], exec, s[8:9]
	s_cbranch_execnz .LBB52_2945
; %bb.897:
	s_or_saveexec_b64 s[6:7], s[6:7]
	v_mov_b32_e32 v10, s10
	s_xor_b64 exec, exec, s[6:7]
	s_cbranch_execnz .LBB52_2948
.LBB52_898:
	s_or_b64 exec, exec, s[6:7]
	s_and_saveexec_b64 s[6:7], s[4:5]
	s_cbranch_execz .LBB52_900
.LBB52_899:
	v_and_b32_e32 v10, 7, v6
	v_ffbh_u32_e32 v12, v10
	v_min_u32_e32 v12, 32, v12
	v_lshrrev_b16_e32 v11, 3, v6
	v_subrev_u32_e32 v13, 28, v12
	v_and_b32_e32 v11, 15, v11
	v_lshlrev_b32_e32 v13, v13, v6
	v_sub_u32_e32 v12, 29, v12
	v_and_b32_e32 v13, 7, v13
	v_cmp_eq_u16_e32 vcc, 0, v11
	v_cndmask_b32_e32 v10, v10, v13, vcc
	v_cndmask_b32_e32 v11, v11, v12, vcc
	v_lshlrev_b32_e32 v12, 24, v6
	v_mov_b32_e32 v13, 0x3b800000
	v_lshlrev_b32_e32 v10, 20, v10
	v_and_b32_e32 v12, 0x80000000, v12
	v_lshl_add_u32 v11, v11, 23, v13
	v_or3_b32 v10, v12, v11, v10
.LBB52_900:
	s_or_b64 exec, exec, s[6:7]
	s_movk_i32 s4, 0x7f
	v_cmp_gt_i16_sdwa s[6:7], v2, s4 src0_sel:BYTE_0 src1_sel:DWORD
	s_mov_b64 s[4:5], 0
                                        ; implicit-def: $sgpr10
	s_and_saveexec_b64 s[8:9], s[6:7]
	s_xor_b64 s[6:7], exec, s[8:9]
	s_cbranch_execnz .LBB52_2949
; %bb.901:
	s_or_saveexec_b64 s[6:7], s[6:7]
	v_mov_b32_e32 v11, s10
	s_xor_b64 exec, exec, s[6:7]
	s_cbranch_execnz .LBB52_2952
.LBB52_902:
	s_or_b64 exec, exec, s[6:7]
	s_and_saveexec_b64 s[6:7], s[4:5]
	s_cbranch_execz .LBB52_904
.LBB52_903:
	v_and_b32_e32 v11, 7, v2
	v_ffbh_u32_e32 v13, v11
	v_min_u32_e32 v13, 32, v13
	v_lshrrev_b16_e32 v12, 3, v2
	v_subrev_u32_e32 v14, 28, v13
	v_and_b32_e32 v12, 15, v12
	v_lshlrev_b32_e32 v14, v14, v2
	v_sub_u32_e32 v13, 29, v13
	v_and_b32_e32 v14, 7, v14
	v_cmp_eq_u16_e32 vcc, 0, v12
	v_cndmask_b32_e32 v11, v11, v14, vcc
	v_cndmask_b32_e32 v12, v12, v13, vcc
	v_lshlrev_b32_e32 v13, 24, v2
	v_mov_b32_e32 v14, 0x3b800000
	v_lshlrev_b32_e32 v11, 20, v11
	v_and_b32_e32 v13, 0x80000000, v13
	v_lshl_add_u32 v12, v12, 23, v14
	v_or3_b32 v11, v13, v12, v11
.LBB52_904:
	s_or_b64 exec, exec, s[6:7]
	s_nop 0
	v_mfma_f32_16x16x4f32 a[0:3], v10, v11, a[0:3]
	v_lshrrev_b32_e32 v11, 8, v6
	s_movk_i32 s4, 0x7f
	v_cmp_gt_i16_sdwa s[6:7], v11, s4 src0_sel:BYTE_0 src1_sel:DWORD
	s_mov_b64 s[4:5], 0
                                        ; implicit-def: $sgpr10
	s_and_saveexec_b64 s[8:9], s[6:7]
	s_xor_b64 s[6:7], exec, s[8:9]
	s_cbranch_execnz .LBB52_2953
; %bb.905:
	s_or_saveexec_b64 s[6:7], s[6:7]
	v_mov_b32_e32 v10, s10
	s_xor_b64 exec, exec, s[6:7]
	s_cbranch_execnz .LBB52_2956
.LBB52_906:
	s_or_b64 exec, exec, s[6:7]
	s_and_saveexec_b64 s[6:7], s[4:5]
	s_cbranch_execz .LBB52_908
.LBB52_907:
	v_bfe_u32 v10, v6, 8, 3
	v_ffbh_u32_e32 v13, v10
	v_min_u32_e32 v13, 32, v13
	v_lshrrev_b16_e32 v12, 3, v11
	v_subrev_u32_e32 v14, 28, v13
	v_and_b32_e32 v12, 15, v12
	v_lshlrev_b32_e32 v11, v14, v11
	v_sub_u32_e32 v13, 29, v13
	v_and_b32_e32 v11, 7, v11
	v_cmp_eq_u16_e32 vcc, 0, v12
	v_cndmask_b32_e32 v10, v10, v11, vcc
	v_cndmask_b32_e32 v11, v12, v13, vcc
	v_lshlrev_b32_e32 v12, 16, v6
	v_mov_b32_e32 v13, 0x3b800000
	v_lshlrev_b32_e32 v10, 20, v10
	v_and_b32_e32 v12, 0x80000000, v12
	v_lshl_add_u32 v11, v11, 23, v13
	v_or3_b32 v10, v12, v11, v10
.LBB52_908:
	s_or_b64 exec, exec, s[6:7]
	v_lshrrev_b32_e32 v11, 8, v2
	s_movk_i32 s4, 0x7f
	v_cmp_gt_i16_sdwa s[6:7], v11, s4 src0_sel:BYTE_0 src1_sel:DWORD
	s_mov_b64 s[4:5], 0
                                        ; implicit-def: $sgpr10
	s_and_saveexec_b64 s[8:9], s[6:7]
	s_xor_b64 s[6:7], exec, s[8:9]
	s_cbranch_execnz .LBB52_2957
; %bb.909:
	s_or_saveexec_b64 s[6:7], s[6:7]
	v_mov_b32_e32 v12, s10
	s_xor_b64 exec, exec, s[6:7]
	s_cbranch_execnz .LBB52_2960
.LBB52_910:
	s_or_b64 exec, exec, s[6:7]
	s_and_saveexec_b64 s[6:7], s[4:5]
	s_cbranch_execz .LBB52_912
.LBB52_911:
	v_bfe_u32 v12, v2, 8, 3
	v_ffbh_u32_e32 v14, v12
	v_min_u32_e32 v14, 32, v14
	v_lshrrev_b16_e32 v13, 3, v11
	v_subrev_u32_e32 v15, 28, v14
	v_and_b32_e32 v13, 15, v13
	v_lshlrev_b32_e32 v11, v15, v11
	v_sub_u32_e32 v14, 29, v14
	v_and_b32_e32 v11, 7, v11
	v_cmp_eq_u16_e32 vcc, 0, v13
	v_cndmask_b32_e32 v11, v12, v11, vcc
	v_cndmask_b32_e32 v12, v13, v14, vcc
	v_lshlrev_b32_e32 v13, 16, v2
	v_mov_b32_e32 v14, 0x3b800000
	v_lshlrev_b32_e32 v11, 20, v11
	v_and_b32_e32 v13, 0x80000000, v13
	v_lshl_add_u32 v12, v12, 23, v14
	v_or3_b32 v12, v13, v12, v11
.LBB52_912:
	s_or_b64 exec, exec, s[6:7]
	s_nop 0
	v_mfma_f32_16x16x4f32 a[0:3], v10, v12, a[0:3]
	s_movk_i32 s4, 0xff
	v_and_b32_sdwa v11, v6, s4 dst_sel:DWORD dst_unused:UNUSED_PAD src0_sel:WORD_1 src1_sel:DWORD
	s_movk_i32 s4, 0x7f
	v_cmp_lt_i16_e32 vcc, s4, v11
	s_mov_b64 s[4:5], 0
                                        ; implicit-def: $sgpr10
	s_and_saveexec_b64 s[6:7], vcc
	s_xor_b64 s[6:7], exec, s[6:7]
	s_cbranch_execnz .LBB52_2961
; %bb.913:
	s_or_saveexec_b64 s[6:7], s[6:7]
	v_mov_b32_e32 v10, s10
	s_xor_b64 exec, exec, s[6:7]
	s_cbranch_execnz .LBB52_2964
.LBB52_914:
	s_or_b64 exec, exec, s[6:7]
	s_and_saveexec_b64 s[6:7], s[4:5]
	s_cbranch_execz .LBB52_916
.LBB52_915:
	v_bfe_u32 v10, v6, 16, 3
	v_ffbh_u32_e32 v13, v10
	v_min_u32_e32 v13, 32, v13
	v_lshrrev_b32_e32 v11, 19, v6
	v_subrev_u32_e32 v14, 28, v13
	v_and_b32_e32 v11, 15, v11
	v_lshlrev_b32_sdwa v14, v14, v6 dst_sel:DWORD dst_unused:UNUSED_PAD src0_sel:DWORD src1_sel:WORD_1
	v_bfe_u32 v12, v6, 19, 4
	v_sub_u32_e32 v13, 29, v13
	v_and_b32_e32 v14, 7, v14
	v_cmp_eq_u16_e32 vcc, 0, v11
	v_cndmask_b32_e32 v10, v10, v14, vcc
	v_cndmask_b32_e32 v11, v12, v13, vcc
	v_lshlrev_b32_e32 v12, 8, v6
	v_mov_b32_e32 v13, 0x3b800000
	v_lshlrev_b32_e32 v10, 20, v10
	v_and_b32_e32 v12, 0x80000000, v12
	v_lshl_add_u32 v11, v11, 23, v13
	v_or3_b32 v10, v12, v11, v10
.LBB52_916:
	s_or_b64 exec, exec, s[6:7]
	s_movk_i32 s4, 0xff
	v_and_b32_sdwa v11, v2, s4 dst_sel:DWORD dst_unused:UNUSED_PAD src0_sel:WORD_1 src1_sel:DWORD
	s_movk_i32 s4, 0x7f
	v_cmp_lt_i16_e32 vcc, s4, v11
	s_mov_b64 s[4:5], 0
                                        ; implicit-def: $sgpr10
	s_and_saveexec_b64 s[6:7], vcc
	s_xor_b64 s[6:7], exec, s[6:7]
	s_cbranch_execnz .LBB52_2965
; %bb.917:
	s_or_saveexec_b64 s[6:7], s[6:7]
	v_mov_b32_e32 v12, s10
	s_xor_b64 exec, exec, s[6:7]
	s_cbranch_execnz .LBB52_2968
.LBB52_918:
	s_or_b64 exec, exec, s[6:7]
	s_and_saveexec_b64 s[6:7], s[4:5]
	s_cbranch_execz .LBB52_920
.LBB52_919:
	v_bfe_u32 v11, v2, 16, 3
	v_ffbh_u32_e32 v14, v11
	v_min_u32_e32 v14, 32, v14
	v_lshrrev_b32_e32 v12, 19, v2
	v_subrev_u32_e32 v15, 28, v14
	v_and_b32_e32 v12, 15, v12
	v_lshlrev_b32_sdwa v15, v15, v2 dst_sel:DWORD dst_unused:UNUSED_PAD src0_sel:DWORD src1_sel:WORD_1
	v_bfe_u32 v13, v2, 19, 4
	v_sub_u32_e32 v14, 29, v14
	v_and_b32_e32 v15, 7, v15
	v_cmp_eq_u16_e32 vcc, 0, v12
	v_cndmask_b32_e32 v11, v11, v15, vcc
	v_cndmask_b32_e32 v12, v13, v14, vcc
	v_lshlrev_b32_e32 v13, 8, v2
	v_mov_b32_e32 v14, 0x3b800000
	v_lshlrev_b32_e32 v11, 20, v11
	v_and_b32_e32 v13, 0x80000000, v13
	v_lshl_add_u32 v12, v12, 23, v14
	v_or3_b32 v12, v13, v12, v11
.LBB52_920:
	s_or_b64 exec, exec, s[6:7]
	s_nop 0
	v_mfma_f32_16x16x4f32 a[0:3], v10, v12, a[0:3]
	s_movk_i32 s4, 0x7f
	v_cmp_gt_i16_sdwa s[6:7], v6, s4 src0_sel:BYTE_3 src1_sel:DWORD
	s_mov_b64 s[4:5], 0
                                        ; implicit-def: $sgpr10
	s_and_saveexec_b64 s[8:9], s[6:7]
	s_xor_b64 s[6:7], exec, s[8:9]
	s_cbranch_execnz .LBB52_2969
; %bb.921:
	s_or_saveexec_b64 s[6:7], s[6:7]
	v_mov_b32_e32 v10, s10
	s_xor_b64 exec, exec, s[6:7]
	s_cbranch_execnz .LBB52_2972
.LBB52_922:
	s_or_b64 exec, exec, s[6:7]
	s_and_saveexec_b64 s[6:7], s[4:5]
	s_cbranch_execz .LBB52_924
.LBB52_923:
	v_bfe_u32 v10, v6, 24, 3
	v_ffbh_u32_e32 v14, v10
	v_min_u32_e32 v14, 32, v14
	v_lshrrev_b32_e32 v12, 27, v6
	v_subrev_u32_e32 v15, 28, v14
	v_and_b32_e32 v11, 0x80000000, v6
	v_and_b32_e32 v12, 15, v12
	v_bfe_u32 v13, v6, 27, 4
	v_lshlrev_b32_sdwa v6, v15, v6 dst_sel:DWORD dst_unused:UNUSED_PAD src0_sel:DWORD src1_sel:BYTE_3
	v_sub_u32_e32 v14, 29, v14
	v_and_b32_e32 v6, 7, v6
	v_cmp_eq_u16_e32 vcc, 0, v12
	v_cndmask_b32_e32 v6, v10, v6, vcc
	v_cndmask_b32_e32 v10, v13, v14, vcc
	v_mov_b32_e32 v12, 0x3b800000
	v_lshlrev_b32_e32 v6, 20, v6
	v_lshl_add_u32 v10, v10, 23, v12
	v_or3_b32 v10, v11, v10, v6
.LBB52_924:
	s_or_b64 exec, exec, s[6:7]
	s_movk_i32 s4, 0x7f
	v_cmp_gt_i16_sdwa s[6:7], v2, s4 src0_sel:BYTE_3 src1_sel:DWORD
	s_mov_b64 s[4:5], 0
                                        ; implicit-def: $sgpr10
	s_and_saveexec_b64 s[8:9], s[6:7]
	s_xor_b64 s[6:7], exec, s[8:9]
	s_cbranch_execnz .LBB52_2973
; %bb.925:
	s_or_saveexec_b64 s[6:7], s[6:7]
	v_mov_b32_e32 v6, s10
	s_xor_b64 exec, exec, s[6:7]
	s_cbranch_execnz .LBB52_2976
.LBB52_926:
	s_or_b64 exec, exec, s[6:7]
	s_and_saveexec_b64 s[6:7], s[4:5]
	s_cbranch_execz .LBB52_928
.LBB52_927:
	v_bfe_u32 v6, v2, 24, 3
	v_ffbh_u32_e32 v14, v6
	v_min_u32_e32 v14, 32, v14
	v_lshrrev_b32_e32 v12, 27, v2
	v_subrev_u32_e32 v15, 28, v14
	v_and_b32_e32 v11, 0x80000000, v2
	v_and_b32_e32 v12, 15, v12
	v_bfe_u32 v13, v2, 27, 4
	v_lshlrev_b32_sdwa v2, v15, v2 dst_sel:DWORD dst_unused:UNUSED_PAD src0_sel:DWORD src1_sel:BYTE_3
	v_sub_u32_e32 v14, 29, v14
	v_and_b32_e32 v2, 7, v2
	v_cmp_eq_u16_e32 vcc, 0, v12
	v_cndmask_b32_e32 v2, v6, v2, vcc
	v_cndmask_b32_e32 v6, v13, v14, vcc
	v_mov_b32_e32 v12, 0x3b800000
	v_lshlrev_b32_e32 v2, 20, v2
	v_lshl_add_u32 v6, v6, 23, v12
	v_or3_b32 v6, v11, v6, v2
.LBB52_928:
	s_or_b64 exec, exec, s[6:7]
	s_nop 0
	v_mfma_f32_16x16x4f32 a[0:3], v10, v6, a[0:3]
	s_movk_i32 s4, 0x7f
	v_cmp_gt_i16_sdwa s[6:7], v7, s4 src0_sel:BYTE_0 src1_sel:DWORD
	s_mov_b64 s[4:5], 0
                                        ; implicit-def: $sgpr10
	s_and_saveexec_b64 s[8:9], s[6:7]
	s_xor_b64 s[6:7], exec, s[8:9]
	s_cbranch_execnz .LBB52_2977
; %bb.929:
	s_or_saveexec_b64 s[6:7], s[6:7]
	v_mov_b32_e32 v2, s10
	s_xor_b64 exec, exec, s[6:7]
	s_cbranch_execnz .LBB52_2980
.LBB52_930:
	s_or_b64 exec, exec, s[6:7]
	s_and_saveexec_b64 s[6:7], s[4:5]
	s_cbranch_execz .LBB52_932
.LBB52_931:
	v_and_b32_e32 v2, 7, v7
	v_ffbh_u32_e32 v10, v2
	v_min_u32_e32 v10, 32, v10
	v_lshrrev_b16_e32 v6, 3, v7
	v_subrev_u32_e32 v11, 28, v10
	v_and_b32_e32 v6, 15, v6
	v_lshlrev_b32_e32 v11, v11, v7
	v_sub_u32_e32 v10, 29, v10
	v_and_b32_e32 v11, 7, v11
	v_cmp_eq_u16_e32 vcc, 0, v6
	v_cndmask_b32_e32 v2, v2, v11, vcc
	v_cndmask_b32_e32 v6, v6, v10, vcc
	v_lshlrev_b32_e32 v10, 24, v7
	v_mov_b32_e32 v11, 0x3b800000
	v_lshlrev_b32_e32 v2, 20, v2
	v_and_b32_e32 v10, 0x80000000, v10
	v_lshl_add_u32 v6, v6, 23, v11
	v_or3_b32 v2, v10, v6, v2
.LBB52_932:
	s_or_b64 exec, exec, s[6:7]
	s_movk_i32 s4, 0x7f
	v_cmp_gt_i16_sdwa s[6:7], v3, s4 src0_sel:BYTE_0 src1_sel:DWORD
	s_mov_b64 s[4:5], 0
                                        ; implicit-def: $sgpr10
	s_and_saveexec_b64 s[8:9], s[6:7]
	s_xor_b64 s[6:7], exec, s[8:9]
	s_cbranch_execnz .LBB52_2981
; %bb.933:
	s_or_saveexec_b64 s[6:7], s[6:7]
	v_mov_b32_e32 v6, s10
	s_xor_b64 exec, exec, s[6:7]
	s_cbranch_execnz .LBB52_2984
.LBB52_934:
	s_or_b64 exec, exec, s[6:7]
	s_and_saveexec_b64 s[6:7], s[4:5]
	s_cbranch_execz .LBB52_936
.LBB52_935:
	v_and_b32_e32 v6, 7, v3
	v_ffbh_u32_e32 v11, v6
	v_min_u32_e32 v11, 32, v11
	v_lshrrev_b16_e32 v10, 3, v3
	v_subrev_u32_e32 v12, 28, v11
	v_and_b32_e32 v10, 15, v10
	v_lshlrev_b32_e32 v12, v12, v3
	v_sub_u32_e32 v11, 29, v11
	v_and_b32_e32 v12, 7, v12
	v_cmp_eq_u16_e32 vcc, 0, v10
	v_cndmask_b32_e32 v6, v6, v12, vcc
	v_cndmask_b32_e32 v10, v10, v11, vcc
	v_lshlrev_b32_e32 v11, 24, v3
	v_mov_b32_e32 v12, 0x3b800000
	v_lshlrev_b32_e32 v6, 20, v6
	v_and_b32_e32 v11, 0x80000000, v11
	v_lshl_add_u32 v10, v10, 23, v12
	v_or3_b32 v6, v11, v10, v6
.LBB52_936:
	s_or_b64 exec, exec, s[6:7]
	s_nop 0
	v_mfma_f32_16x16x4f32 a[0:3], v2, v6, a[0:3]
	v_lshrrev_b32_e32 v6, 8, v7
	s_movk_i32 s4, 0x7f
	v_cmp_gt_i16_sdwa s[6:7], v6, s4 src0_sel:BYTE_0 src1_sel:DWORD
	s_mov_b64 s[4:5], 0
                                        ; implicit-def: $sgpr10
	s_and_saveexec_b64 s[8:9], s[6:7]
	s_xor_b64 s[6:7], exec, s[8:9]
	s_cbranch_execnz .LBB52_2985
; %bb.937:
	s_or_saveexec_b64 s[6:7], s[6:7]
	v_mov_b32_e32 v2, s10
	s_xor_b64 exec, exec, s[6:7]
	s_cbranch_execnz .LBB52_2988
.LBB52_938:
	s_or_b64 exec, exec, s[6:7]
	s_and_saveexec_b64 s[6:7], s[4:5]
	s_cbranch_execz .LBB52_940
.LBB52_939:
	v_bfe_u32 v2, v7, 8, 3
	v_ffbh_u32_e32 v11, v2
	v_min_u32_e32 v11, 32, v11
	v_lshrrev_b16_e32 v10, 3, v6
	v_subrev_u32_e32 v12, 28, v11
	v_and_b32_e32 v10, 15, v10
	v_lshlrev_b32_e32 v6, v12, v6
	v_sub_u32_e32 v11, 29, v11
	v_and_b32_e32 v6, 7, v6
	v_cmp_eq_u16_e32 vcc, 0, v10
	v_cndmask_b32_e32 v2, v2, v6, vcc
	v_cndmask_b32_e32 v6, v10, v11, vcc
	v_lshlrev_b32_e32 v10, 16, v7
	v_mov_b32_e32 v11, 0x3b800000
	v_lshlrev_b32_e32 v2, 20, v2
	v_and_b32_e32 v10, 0x80000000, v10
	v_lshl_add_u32 v6, v6, 23, v11
	v_or3_b32 v2, v10, v6, v2
.LBB52_940:
	s_or_b64 exec, exec, s[6:7]
	v_lshrrev_b32_e32 v6, 8, v3
	s_movk_i32 s4, 0x7f
	v_cmp_gt_i16_sdwa s[6:7], v6, s4 src0_sel:BYTE_0 src1_sel:DWORD
	s_mov_b64 s[4:5], 0
                                        ; implicit-def: $sgpr10
	s_and_saveexec_b64 s[8:9], s[6:7]
	s_xor_b64 s[6:7], exec, s[8:9]
	s_cbranch_execnz .LBB52_2989
; %bb.941:
	s_or_saveexec_b64 s[6:7], s[6:7]
	v_mov_b32_e32 v10, s10
	s_xor_b64 exec, exec, s[6:7]
	s_cbranch_execnz .LBB52_2992
.LBB52_942:
	s_or_b64 exec, exec, s[6:7]
	s_and_saveexec_b64 s[6:7], s[4:5]
	s_cbranch_execz .LBB52_944
.LBB52_943:
	v_bfe_u32 v10, v3, 8, 3
	v_ffbh_u32_e32 v12, v10
	v_min_u32_e32 v12, 32, v12
	v_lshrrev_b16_e32 v11, 3, v6
	v_subrev_u32_e32 v13, 28, v12
	v_and_b32_e32 v11, 15, v11
	v_lshlrev_b32_e32 v6, v13, v6
	v_sub_u32_e32 v12, 29, v12
	v_and_b32_e32 v6, 7, v6
	v_cmp_eq_u16_e32 vcc, 0, v11
	v_cndmask_b32_e32 v6, v10, v6, vcc
	v_cndmask_b32_e32 v10, v11, v12, vcc
	v_lshlrev_b32_e32 v11, 16, v3
	v_mov_b32_e32 v12, 0x3b800000
	v_lshlrev_b32_e32 v6, 20, v6
	v_and_b32_e32 v11, 0x80000000, v11
	v_lshl_add_u32 v10, v10, 23, v12
	v_or3_b32 v10, v11, v10, v6
.LBB52_944:
	s_or_b64 exec, exec, s[6:7]
	s_nop 0
	v_mfma_f32_16x16x4f32 a[0:3], v2, v10, a[0:3]
	s_movk_i32 s4, 0xff
	v_and_b32_sdwa v6, v7, s4 dst_sel:DWORD dst_unused:UNUSED_PAD src0_sel:WORD_1 src1_sel:DWORD
	s_movk_i32 s4, 0x7f
	v_cmp_lt_i16_e32 vcc, s4, v6
	s_mov_b64 s[4:5], 0
                                        ; implicit-def: $sgpr10
	s_and_saveexec_b64 s[6:7], vcc
	s_xor_b64 s[6:7], exec, s[6:7]
	s_cbranch_execnz .LBB52_2993
; %bb.945:
	s_or_saveexec_b64 s[6:7], s[6:7]
	v_mov_b32_e32 v2, s10
	s_xor_b64 exec, exec, s[6:7]
	s_cbranch_execnz .LBB52_2996
.LBB52_946:
	s_or_b64 exec, exec, s[6:7]
	s_and_saveexec_b64 s[6:7], s[4:5]
	s_cbranch_execz .LBB52_948
.LBB52_947:
	v_bfe_u32 v2, v7, 16, 3
	v_ffbh_u32_e32 v11, v2
	v_min_u32_e32 v11, 32, v11
	v_lshrrev_b32_e32 v6, 19, v7
	v_subrev_u32_e32 v12, 28, v11
	v_and_b32_e32 v6, 15, v6
	v_lshlrev_b32_sdwa v12, v12, v7 dst_sel:DWORD dst_unused:UNUSED_PAD src0_sel:DWORD src1_sel:WORD_1
	v_bfe_u32 v10, v7, 19, 4
	v_sub_u32_e32 v11, 29, v11
	v_and_b32_e32 v12, 7, v12
	v_cmp_eq_u16_e32 vcc, 0, v6
	v_cndmask_b32_e32 v2, v2, v12, vcc
	v_cndmask_b32_e32 v6, v10, v11, vcc
	v_lshlrev_b32_e32 v10, 8, v7
	v_mov_b32_e32 v11, 0x3b800000
	v_lshlrev_b32_e32 v2, 20, v2
	v_and_b32_e32 v10, 0x80000000, v10
	v_lshl_add_u32 v6, v6, 23, v11
	v_or3_b32 v2, v10, v6, v2
.LBB52_948:
	s_or_b64 exec, exec, s[6:7]
	s_movk_i32 s4, 0xff
	v_and_b32_sdwa v6, v3, s4 dst_sel:DWORD dst_unused:UNUSED_PAD src0_sel:WORD_1 src1_sel:DWORD
	s_movk_i32 s4, 0x7f
	v_cmp_lt_i16_e32 vcc, s4, v6
	s_mov_b64 s[4:5], 0
                                        ; implicit-def: $sgpr10
	s_and_saveexec_b64 s[6:7], vcc
	s_xor_b64 s[6:7], exec, s[6:7]
	s_cbranch_execnz .LBB52_2997
; %bb.949:
	s_or_saveexec_b64 s[6:7], s[6:7]
	v_mov_b32_e32 v10, s10
	s_xor_b64 exec, exec, s[6:7]
	s_cbranch_execnz .LBB52_3000
.LBB52_950:
	s_or_b64 exec, exec, s[6:7]
	s_and_saveexec_b64 s[6:7], s[4:5]
	s_cbranch_execz .LBB52_952
.LBB52_951:
	v_bfe_u32 v6, v3, 16, 3
	v_ffbh_u32_e32 v12, v6
	v_min_u32_e32 v12, 32, v12
	v_lshrrev_b32_e32 v10, 19, v3
	v_subrev_u32_e32 v13, 28, v12
	v_and_b32_e32 v10, 15, v10
	v_lshlrev_b32_sdwa v13, v13, v3 dst_sel:DWORD dst_unused:UNUSED_PAD src0_sel:DWORD src1_sel:WORD_1
	v_bfe_u32 v11, v3, 19, 4
	v_sub_u32_e32 v12, 29, v12
	v_and_b32_e32 v13, 7, v13
	v_cmp_eq_u16_e32 vcc, 0, v10
	v_cndmask_b32_e32 v6, v6, v13, vcc
	v_cndmask_b32_e32 v10, v11, v12, vcc
	v_lshlrev_b32_e32 v11, 8, v3
	v_mov_b32_e32 v12, 0x3b800000
	v_lshlrev_b32_e32 v6, 20, v6
	v_and_b32_e32 v11, 0x80000000, v11
	v_lshl_add_u32 v10, v10, 23, v12
	v_or3_b32 v10, v11, v10, v6
.LBB52_952:
	s_or_b64 exec, exec, s[6:7]
	s_nop 0
	v_mfma_f32_16x16x4f32 a[0:3], v2, v10, a[0:3]
	s_movk_i32 s4, 0x7f
	v_cmp_gt_i16_sdwa s[6:7], v7, s4 src0_sel:BYTE_3 src1_sel:DWORD
	s_mov_b64 s[4:5], 0
                                        ; implicit-def: $sgpr10
	s_and_saveexec_b64 s[8:9], s[6:7]
	s_xor_b64 s[6:7], exec, s[8:9]
	s_cbranch_execnz .LBB52_3001
; %bb.953:
	s_or_saveexec_b64 s[6:7], s[6:7]
	v_mov_b32_e32 v2, s10
	s_xor_b64 exec, exec, s[6:7]
	s_cbranch_execnz .LBB52_3004
.LBB52_954:
	s_or_b64 exec, exec, s[6:7]
	s_and_saveexec_b64 s[6:7], s[4:5]
	s_cbranch_execz .LBB52_956
.LBB52_955:
	v_bfe_u32 v2, v7, 24, 3
	v_ffbh_u32_e32 v12, v2
	v_min_u32_e32 v12, 32, v12
	v_lshrrev_b32_e32 v10, 27, v7
	v_subrev_u32_e32 v13, 28, v12
	v_and_b32_e32 v6, 0x80000000, v7
	v_and_b32_e32 v10, 15, v10
	v_bfe_u32 v11, v7, 27, 4
	v_lshlrev_b32_sdwa v7, v13, v7 dst_sel:DWORD dst_unused:UNUSED_PAD src0_sel:DWORD src1_sel:BYTE_3
	v_sub_u32_e32 v12, 29, v12
	v_and_b32_e32 v7, 7, v7
	v_cmp_eq_u16_e32 vcc, 0, v10
	v_cndmask_b32_e32 v2, v2, v7, vcc
	v_cndmask_b32_e32 v7, v11, v12, vcc
	v_mov_b32_e32 v10, 0x3b800000
	v_lshlrev_b32_e32 v2, 20, v2
	v_lshl_add_u32 v7, v7, 23, v10
	v_or3_b32 v2, v6, v7, v2
.LBB52_956:
	s_or_b64 exec, exec, s[6:7]
	s_movk_i32 s4, 0x7f
	v_cmp_gt_i16_sdwa s[6:7], v3, s4 src0_sel:BYTE_3 src1_sel:DWORD
	s_mov_b64 s[4:5], 0
                                        ; implicit-def: $sgpr10
	s_and_saveexec_b64 s[8:9], s[6:7]
	s_xor_b64 s[6:7], exec, s[8:9]
	s_cbranch_execnz .LBB52_3005
; %bb.957:
	s_or_saveexec_b64 s[6:7], s[6:7]
	v_mov_b32_e32 v6, s10
	s_xor_b64 exec, exec, s[6:7]
	s_cbranch_execnz .LBB52_3008
.LBB52_958:
	s_or_b64 exec, exec, s[6:7]
	s_and_saveexec_b64 s[6:7], s[4:5]
	s_cbranch_execz .LBB52_960
.LBB52_959:
	v_bfe_u32 v6, v3, 24, 3
	v_ffbh_u32_e32 v12, v6
	v_min_u32_e32 v12, 32, v12
	v_lshrrev_b32_e32 v10, 27, v3
	v_subrev_u32_e32 v13, 28, v12
	v_and_b32_e32 v7, 0x80000000, v3
	v_and_b32_e32 v10, 15, v10
	v_bfe_u32 v11, v3, 27, 4
	v_lshlrev_b32_sdwa v3, v13, v3 dst_sel:DWORD dst_unused:UNUSED_PAD src0_sel:DWORD src1_sel:BYTE_3
	v_sub_u32_e32 v12, 29, v12
	v_and_b32_e32 v3, 7, v3
	v_cmp_eq_u16_e32 vcc, 0, v10
	v_cndmask_b32_e32 v3, v6, v3, vcc
	v_cndmask_b32_e32 v6, v11, v12, vcc
	v_mov_b32_e32 v10, 0x3b800000
	v_lshlrev_b32_e32 v3, 20, v3
	v_lshl_add_u32 v6, v6, 23, v10
	v_or3_b32 v6, v7, v6, v3
.LBB52_960:
	s_or_b64 exec, exec, s[6:7]
	s_nop 0
	v_mfma_f32_16x16x4f32 a[0:3], v2, v6, a[0:3]
	s_movk_i32 s4, 0x7f
	v_cmp_gt_i16_sdwa s[6:7], v8, s4 src0_sel:BYTE_0 src1_sel:DWORD
	s_mov_b64 s[4:5], 0
                                        ; implicit-def: $sgpr10
	s_and_saveexec_b64 s[8:9], s[6:7]
	s_xor_b64 s[6:7], exec, s[8:9]
	s_cbranch_execnz .LBB52_3009
; %bb.961:
	s_or_saveexec_b64 s[6:7], s[6:7]
	v_mov_b32_e32 v2, s10
	s_xor_b64 exec, exec, s[6:7]
	s_cbranch_execnz .LBB52_3012
.LBB52_962:
	s_or_b64 exec, exec, s[6:7]
	s_and_saveexec_b64 s[6:7], s[4:5]
	s_cbranch_execz .LBB52_964
.LBB52_963:
	v_and_b32_e32 v2, 7, v8
	v_ffbh_u32_e32 v6, v2
	v_min_u32_e32 v6, 32, v6
	v_lshrrev_b16_e32 v3, 3, v8
	v_subrev_u32_e32 v7, 28, v6
	v_and_b32_e32 v3, 15, v3
	v_lshlrev_b32_e32 v7, v7, v8
	v_sub_u32_e32 v6, 29, v6
	v_and_b32_e32 v7, 7, v7
	v_cmp_eq_u16_e32 vcc, 0, v3
	v_cndmask_b32_e32 v2, v2, v7, vcc
	v_cndmask_b32_e32 v3, v3, v6, vcc
	v_lshlrev_b32_e32 v6, 24, v8
	v_mov_b32_e32 v7, 0x3b800000
	v_lshlrev_b32_e32 v2, 20, v2
	v_and_b32_e32 v6, 0x80000000, v6
	v_lshl_add_u32 v3, v3, 23, v7
	v_or3_b32 v2, v6, v3, v2
.LBB52_964:
	s_or_b64 exec, exec, s[6:7]
	s_movk_i32 s4, 0x7f
	v_cmp_gt_i16_sdwa s[6:7], v4, s4 src0_sel:BYTE_0 src1_sel:DWORD
	s_mov_b64 s[4:5], 0
                                        ; implicit-def: $sgpr10
	s_and_saveexec_b64 s[8:9], s[6:7]
	s_xor_b64 s[6:7], exec, s[8:9]
	s_cbranch_execnz .LBB52_3013
; %bb.965:
	s_or_saveexec_b64 s[6:7], s[6:7]
	v_mov_b32_e32 v3, s10
	s_xor_b64 exec, exec, s[6:7]
	s_cbranch_execnz .LBB52_3016
.LBB52_966:
	s_or_b64 exec, exec, s[6:7]
	s_and_saveexec_b64 s[6:7], s[4:5]
	s_cbranch_execz .LBB52_968
.LBB52_967:
	v_and_b32_e32 v3, 7, v4
	v_ffbh_u32_e32 v7, v3
	v_min_u32_e32 v7, 32, v7
	v_lshrrev_b16_e32 v6, 3, v4
	v_subrev_u32_e32 v10, 28, v7
	v_and_b32_e32 v6, 15, v6
	v_lshlrev_b32_e32 v10, v10, v4
	v_sub_u32_e32 v7, 29, v7
	v_and_b32_e32 v10, 7, v10
	v_cmp_eq_u16_e32 vcc, 0, v6
	v_cndmask_b32_e32 v3, v3, v10, vcc
	v_cndmask_b32_e32 v6, v6, v7, vcc
	v_lshlrev_b32_e32 v7, 24, v4
	v_mov_b32_e32 v10, 0x3b800000
	v_lshlrev_b32_e32 v3, 20, v3
	v_and_b32_e32 v7, 0x80000000, v7
	v_lshl_add_u32 v6, v6, 23, v10
	v_or3_b32 v3, v7, v6, v3
.LBB52_968:
	s_or_b64 exec, exec, s[6:7]
	s_nop 0
	v_mfma_f32_16x16x4f32 a[0:3], v2, v3, a[0:3]
	v_lshrrev_b32_e32 v3, 8, v8
	s_movk_i32 s4, 0x7f
	v_cmp_gt_i16_sdwa s[6:7], v3, s4 src0_sel:BYTE_0 src1_sel:DWORD
	s_mov_b64 s[4:5], 0
                                        ; implicit-def: $sgpr10
	s_and_saveexec_b64 s[8:9], s[6:7]
	s_xor_b64 s[6:7], exec, s[8:9]
	s_cbranch_execnz .LBB52_3017
; %bb.969:
	s_or_saveexec_b64 s[6:7], s[6:7]
	v_mov_b32_e32 v2, s10
	s_xor_b64 exec, exec, s[6:7]
	s_cbranch_execnz .LBB52_3020
.LBB52_970:
	s_or_b64 exec, exec, s[6:7]
	s_and_saveexec_b64 s[6:7], s[4:5]
	s_cbranch_execz .LBB52_972
.LBB52_971:
	v_bfe_u32 v2, v8, 8, 3
	v_ffbh_u32_e32 v7, v2
	v_min_u32_e32 v7, 32, v7
	v_lshrrev_b16_e32 v6, 3, v3
	v_subrev_u32_e32 v10, 28, v7
	v_and_b32_e32 v6, 15, v6
	v_lshlrev_b32_e32 v3, v10, v3
	v_sub_u32_e32 v7, 29, v7
	v_and_b32_e32 v3, 7, v3
	v_cmp_eq_u16_e32 vcc, 0, v6
	v_cndmask_b32_e32 v2, v2, v3, vcc
	v_cndmask_b32_e32 v3, v6, v7, vcc
	v_lshlrev_b32_e32 v6, 16, v8
	v_mov_b32_e32 v7, 0x3b800000
	v_lshlrev_b32_e32 v2, 20, v2
	v_and_b32_e32 v6, 0x80000000, v6
	v_lshl_add_u32 v3, v3, 23, v7
	v_or3_b32 v2, v6, v3, v2
.LBB52_972:
	s_or_b64 exec, exec, s[6:7]
	v_lshrrev_b32_e32 v3, 8, v4
	s_movk_i32 s4, 0x7f
	v_cmp_gt_i16_sdwa s[6:7], v3, s4 src0_sel:BYTE_0 src1_sel:DWORD
	s_mov_b64 s[4:5], 0
                                        ; implicit-def: $sgpr10
	s_and_saveexec_b64 s[8:9], s[6:7]
	s_xor_b64 s[6:7], exec, s[8:9]
	s_cbranch_execnz .LBB52_3021
; %bb.973:
	s_or_saveexec_b64 s[6:7], s[6:7]
	v_mov_b32_e32 v6, s10
	s_xor_b64 exec, exec, s[6:7]
	s_cbranch_execnz .LBB52_3024
.LBB52_974:
	s_or_b64 exec, exec, s[6:7]
	s_and_saveexec_b64 s[6:7], s[4:5]
	s_cbranch_execz .LBB52_976
.LBB52_975:
	v_bfe_u32 v6, v4, 8, 3
	v_ffbh_u32_e32 v10, v6
	v_min_u32_e32 v10, 32, v10
	v_lshrrev_b16_e32 v7, 3, v3
	v_subrev_u32_e32 v11, 28, v10
	v_and_b32_e32 v7, 15, v7
	v_lshlrev_b32_e32 v3, v11, v3
	v_sub_u32_e32 v10, 29, v10
	v_and_b32_e32 v3, 7, v3
	v_cmp_eq_u16_e32 vcc, 0, v7
	v_cndmask_b32_e32 v3, v6, v3, vcc
	v_cndmask_b32_e32 v6, v7, v10, vcc
	v_lshlrev_b32_e32 v7, 16, v4
	v_mov_b32_e32 v10, 0x3b800000
	v_lshlrev_b32_e32 v3, 20, v3
	v_and_b32_e32 v7, 0x80000000, v7
	v_lshl_add_u32 v6, v6, 23, v10
	v_or3_b32 v6, v7, v6, v3
.LBB52_976:
	s_or_b64 exec, exec, s[6:7]
	s_nop 0
	v_mfma_f32_16x16x4f32 a[0:3], v2, v6, a[0:3]
	s_movk_i32 s4, 0xff
	v_and_b32_sdwa v3, v8, s4 dst_sel:DWORD dst_unused:UNUSED_PAD src0_sel:WORD_1 src1_sel:DWORD
	s_movk_i32 s4, 0x7f
	v_cmp_lt_i16_e32 vcc, s4, v3
	s_mov_b64 s[4:5], 0
                                        ; implicit-def: $sgpr10
	s_and_saveexec_b64 s[6:7], vcc
	s_xor_b64 s[6:7], exec, s[6:7]
	s_cbranch_execnz .LBB52_3025
; %bb.977:
	s_or_saveexec_b64 s[6:7], s[6:7]
	v_mov_b32_e32 v2, s10
	s_xor_b64 exec, exec, s[6:7]
	s_cbranch_execnz .LBB52_3028
.LBB52_978:
	s_or_b64 exec, exec, s[6:7]
	s_and_saveexec_b64 s[6:7], s[4:5]
	s_cbranch_execz .LBB52_980
.LBB52_979:
	v_bfe_u32 v2, v8, 16, 3
	v_ffbh_u32_e32 v7, v2
	v_min_u32_e32 v7, 32, v7
	v_lshrrev_b32_e32 v3, 19, v8
	v_subrev_u32_e32 v10, 28, v7
	v_and_b32_e32 v3, 15, v3
	v_lshlrev_b32_sdwa v10, v10, v8 dst_sel:DWORD dst_unused:UNUSED_PAD src0_sel:DWORD src1_sel:WORD_1
	v_bfe_u32 v6, v8, 19, 4
	v_sub_u32_e32 v7, 29, v7
	v_and_b32_e32 v10, 7, v10
	v_cmp_eq_u16_e32 vcc, 0, v3
	v_cndmask_b32_e32 v2, v2, v10, vcc
	v_cndmask_b32_e32 v3, v6, v7, vcc
	v_lshlrev_b32_e32 v6, 8, v8
	v_mov_b32_e32 v7, 0x3b800000
	v_lshlrev_b32_e32 v2, 20, v2
	v_and_b32_e32 v6, 0x80000000, v6
	v_lshl_add_u32 v3, v3, 23, v7
	v_or3_b32 v2, v6, v3, v2
.LBB52_980:
	s_or_b64 exec, exec, s[6:7]
	s_movk_i32 s4, 0xff
	v_and_b32_sdwa v3, v4, s4 dst_sel:DWORD dst_unused:UNUSED_PAD src0_sel:WORD_1 src1_sel:DWORD
	s_movk_i32 s4, 0x7f
	v_cmp_lt_i16_e32 vcc, s4, v3
	s_mov_b64 s[4:5], 0
                                        ; implicit-def: $sgpr10
	s_and_saveexec_b64 s[6:7], vcc
	s_xor_b64 s[6:7], exec, s[6:7]
	s_cbranch_execnz .LBB52_3029
; %bb.981:
	s_or_saveexec_b64 s[6:7], s[6:7]
	v_mov_b32_e32 v6, s10
	s_xor_b64 exec, exec, s[6:7]
	s_cbranch_execnz .LBB52_3032
.LBB52_982:
	s_or_b64 exec, exec, s[6:7]
	s_and_saveexec_b64 s[6:7], s[4:5]
	s_cbranch_execz .LBB52_984
.LBB52_983:
	v_bfe_u32 v3, v4, 16, 3
	v_ffbh_u32_e32 v10, v3
	v_min_u32_e32 v10, 32, v10
	v_lshrrev_b32_e32 v6, 19, v4
	v_subrev_u32_e32 v11, 28, v10
	v_and_b32_e32 v6, 15, v6
	v_lshlrev_b32_sdwa v11, v11, v4 dst_sel:DWORD dst_unused:UNUSED_PAD src0_sel:DWORD src1_sel:WORD_1
	v_bfe_u32 v7, v4, 19, 4
	v_sub_u32_e32 v10, 29, v10
	v_and_b32_e32 v11, 7, v11
	v_cmp_eq_u16_e32 vcc, 0, v6
	v_cndmask_b32_e32 v3, v3, v11, vcc
	v_cndmask_b32_e32 v6, v7, v10, vcc
	v_lshlrev_b32_e32 v7, 8, v4
	v_mov_b32_e32 v10, 0x3b800000
	v_lshlrev_b32_e32 v3, 20, v3
	v_and_b32_e32 v7, 0x80000000, v7
	v_lshl_add_u32 v6, v6, 23, v10
	v_or3_b32 v6, v7, v6, v3
.LBB52_984:
	s_or_b64 exec, exec, s[6:7]
	s_nop 0
	v_mfma_f32_16x16x4f32 a[0:3], v2, v6, a[0:3]
	s_movk_i32 s4, 0x7f
	v_cmp_gt_i16_sdwa s[6:7], v8, s4 src0_sel:BYTE_3 src1_sel:DWORD
	s_mov_b64 s[4:5], 0
                                        ; implicit-def: $sgpr10
	s_and_saveexec_b64 s[8:9], s[6:7]
	s_xor_b64 s[6:7], exec, s[8:9]
	s_cbranch_execnz .LBB52_3033
; %bb.985:
	s_or_saveexec_b64 s[6:7], s[6:7]
	v_mov_b32_e32 v2, s10
	s_xor_b64 exec, exec, s[6:7]
	s_cbranch_execnz .LBB52_3036
.LBB52_986:
	s_or_b64 exec, exec, s[6:7]
	s_and_saveexec_b64 s[6:7], s[4:5]
	s_cbranch_execz .LBB52_988
.LBB52_987:
	v_bfe_u32 v2, v8, 24, 3
	v_ffbh_u32_e32 v10, v2
	v_min_u32_e32 v10, 32, v10
	v_lshrrev_b32_e32 v6, 27, v8
	v_subrev_u32_e32 v11, 28, v10
	v_and_b32_e32 v3, 0x80000000, v8
	v_and_b32_e32 v6, 15, v6
	v_bfe_u32 v7, v8, 27, 4
	v_lshlrev_b32_sdwa v8, v11, v8 dst_sel:DWORD dst_unused:UNUSED_PAD src0_sel:DWORD src1_sel:BYTE_3
	v_sub_u32_e32 v10, 29, v10
	v_and_b32_e32 v8, 7, v8
	v_cmp_eq_u16_e32 vcc, 0, v6
	v_cndmask_b32_e32 v2, v2, v8, vcc
	v_cndmask_b32_e32 v6, v7, v10, vcc
	v_mov_b32_e32 v7, 0x3b800000
	v_lshlrev_b32_e32 v2, 20, v2
	v_lshl_add_u32 v6, v6, 23, v7
	v_or3_b32 v2, v3, v6, v2
.LBB52_988:
	s_or_b64 exec, exec, s[6:7]
	s_movk_i32 s4, 0x7f
	v_cmp_gt_i16_sdwa s[6:7], v4, s4 src0_sel:BYTE_3 src1_sel:DWORD
	s_mov_b64 s[4:5], 0
                                        ; implicit-def: $sgpr10
	s_and_saveexec_b64 s[8:9], s[6:7]
	s_xor_b64 s[6:7], exec, s[8:9]
	s_cbranch_execnz .LBB52_3037
; %bb.989:
	s_or_saveexec_b64 s[6:7], s[6:7]
	v_mov_b32_e32 v3, s10
	s_xor_b64 exec, exec, s[6:7]
	s_cbranch_execnz .LBB52_3040
.LBB52_990:
	s_or_b64 exec, exec, s[6:7]
	s_and_saveexec_b64 s[6:7], s[4:5]
	s_cbranch_execz .LBB52_992
.LBB52_991:
	v_bfe_u32 v3, v4, 24, 3
	v_ffbh_u32_e32 v10, v3
	v_min_u32_e32 v10, 32, v10
	v_lshrrev_b32_e32 v7, 27, v4
	v_subrev_u32_e32 v11, 28, v10
	v_and_b32_e32 v6, 0x80000000, v4
	v_and_b32_e32 v7, 15, v7
	v_bfe_u32 v8, v4, 27, 4
	v_lshlrev_b32_sdwa v4, v11, v4 dst_sel:DWORD dst_unused:UNUSED_PAD src0_sel:DWORD src1_sel:BYTE_3
	v_sub_u32_e32 v10, 29, v10
	v_and_b32_e32 v4, 7, v4
	v_cmp_eq_u16_e32 vcc, 0, v7
	v_cndmask_b32_e32 v3, v3, v4, vcc
	v_cndmask_b32_e32 v4, v8, v10, vcc
	v_mov_b32_e32 v7, 0x3b800000
	v_lshlrev_b32_e32 v3, 20, v3
	v_lshl_add_u32 v4, v4, 23, v7
	v_or3_b32 v3, v6, v4, v3
.LBB52_992:
	s_or_b64 exec, exec, s[6:7]
	s_nop 0
	v_mfma_f32_16x16x4f32 a[0:3], v2, v3, a[0:3]
	s_movk_i32 s4, 0x7f
	v_cmp_gt_i16_sdwa s[6:7], v9, s4 src0_sel:BYTE_0 src1_sel:DWORD
	s_mov_b64 s[4:5], 0
                                        ; implicit-def: $sgpr10
	s_and_saveexec_b64 s[8:9], s[6:7]
	s_xor_b64 s[6:7], exec, s[8:9]
	s_cbranch_execnz .LBB52_3041
; %bb.993:
	s_or_saveexec_b64 s[6:7], s[6:7]
	v_mov_b32_e32 v2, s10
	s_xor_b64 exec, exec, s[6:7]
	s_cbranch_execnz .LBB52_3044
.LBB52_994:
	s_or_b64 exec, exec, s[6:7]
	s_and_saveexec_b64 s[6:7], s[4:5]
	s_cbranch_execz .LBB52_996
.LBB52_995:
	v_mov_b32_e32 v2, 8
	v_and_b32_e32 v3, 7, v9
	v_lshrrev_b32_sdwa v2, v2, v9 dst_sel:BYTE_1 dst_unused:UNUSED_PAD src0_sel:DWORD src1_sel:DWORD
	v_ffbh_u32_e32 v4, v3
	v_or_b32_sdwa v2, v9, v2 dst_sel:DWORD dst_unused:UNUSED_PAD src0_sel:BYTE_0 src1_sel:DWORD
	v_min_u32_e32 v4, 32, v4
	v_lshrrev_b16_e32 v2, 3, v2
	v_subrev_u32_e32 v6, 28, v4
	v_and_b32_e32 v2, 15, v2
	v_lshlrev_b32_e32 v6, v6, v9
	v_sub_u32_e32 v4, 29, v4
	v_and_b32_e32 v6, 7, v6
	v_cmp_eq_u16_e32 vcc, 0, v2
	v_cndmask_b32_e32 v3, v3, v6, vcc
	v_cndmask_b32_e32 v2, v2, v4, vcc
	v_lshlrev_b32_e32 v4, 24, v9
	v_mov_b32_e32 v6, 0x3b800000
	v_lshlrev_b32_e32 v3, 20, v3
	v_and_b32_e32 v4, 0x80000000, v4
	v_lshl_add_u32 v2, v2, 23, v6
	v_or3_b32 v2, v4, v2, v3
.LBB52_996:
	s_or_b64 exec, exec, s[6:7]
	s_movk_i32 s4, 0x7f
	v_cmp_gt_i16_sdwa s[6:7], v5, s4 src0_sel:BYTE_0 src1_sel:DWORD
	s_mov_b64 s[4:5], 0
                                        ; implicit-def: $sgpr10
	s_and_saveexec_b64 s[8:9], s[6:7]
	s_xor_b64 s[6:7], exec, s[8:9]
	s_cbranch_execnz .LBB52_3045
; %bb.997:
	s_or_saveexec_b64 s[6:7], s[6:7]
	v_mov_b32_e32 v3, s10
	s_xor_b64 exec, exec, s[6:7]
	s_cbranch_execnz .LBB52_3048
.LBB52_998:
	s_or_b64 exec, exec, s[6:7]
	s_and_saveexec_b64 s[6:7], s[4:5]
	s_cbranch_execz .LBB52_1000
.LBB52_999:
	v_mov_b32_e32 v3, 8
	v_and_b32_e32 v4, 7, v5
	v_lshrrev_b32_sdwa v3, v3, v5 dst_sel:BYTE_1 dst_unused:UNUSED_PAD src0_sel:DWORD src1_sel:DWORD
	v_ffbh_u32_e32 v6, v4
	v_or_b32_sdwa v3, v5, v3 dst_sel:DWORD dst_unused:UNUSED_PAD src0_sel:BYTE_0 src1_sel:DWORD
	v_min_u32_e32 v6, 32, v6
	v_lshrrev_b16_e32 v3, 3, v3
	v_subrev_u32_e32 v7, 28, v6
	v_and_b32_e32 v3, 15, v3
	v_lshlrev_b32_e32 v7, v7, v5
	v_sub_u32_e32 v6, 29, v6
	v_and_b32_e32 v7, 7, v7
	v_cmp_eq_u16_e32 vcc, 0, v3
	v_cndmask_b32_e32 v4, v4, v7, vcc
	v_cndmask_b32_e32 v3, v3, v6, vcc
	v_lshlrev_b32_e32 v6, 24, v5
	v_mov_b32_e32 v7, 0x3b800000
	v_lshlrev_b32_e32 v4, 20, v4
	v_and_b32_e32 v6, 0x80000000, v6
	v_lshl_add_u32 v3, v3, 23, v7
	v_or3_b32 v3, v6, v3, v4
.LBB52_1000:
	s_or_b64 exec, exec, s[6:7]
	s_nop 0
	v_mfma_f32_16x16x4f32 a[0:3], v2, v3, a[0:3]
	v_lshrrev_b32_e32 v3, 8, v9
	s_movk_i32 s4, 0x7f
	v_cmp_gt_i16_sdwa s[6:7], v3, s4 src0_sel:BYTE_0 src1_sel:DWORD
	s_mov_b64 s[4:5], 0
                                        ; implicit-def: $sgpr10
	s_and_saveexec_b64 s[8:9], s[6:7]
	s_xor_b64 s[6:7], exec, s[8:9]
	s_cbranch_execnz .LBB52_3049
; %bb.1001:
	s_or_saveexec_b64 s[6:7], s[6:7]
	v_mov_b32_e32 v2, s10
	s_xor_b64 exec, exec, s[6:7]
	s_cbranch_execnz .LBB52_3052
.LBB52_1002:
	s_or_b64 exec, exec, s[6:7]
	s_and_saveexec_b64 s[6:7], s[4:5]
	s_cbranch_execz .LBB52_1004
.LBB52_1003:
	v_bfe_u32 v2, v9, 8, 3
	v_ffbh_u32_e32 v6, v2
	v_min_u32_e32 v6, 32, v6
	v_lshrrev_b16_e32 v4, 3, v3
	v_subrev_u32_e32 v7, 28, v6
	v_and_b32_e32 v4, 15, v4
	v_lshlrev_b32_e32 v3, v7, v3
	v_sub_u32_e32 v6, 29, v6
	v_and_b32_e32 v3, 7, v3
	v_cmp_eq_u16_e32 vcc, 0, v4
	v_cndmask_b32_e32 v2, v2, v3, vcc
	v_cndmask_b32_e32 v3, v4, v6, vcc
	v_lshlrev_b32_e32 v4, 16, v9
	v_mov_b32_e32 v6, 0x3b800000
	v_lshlrev_b32_e32 v2, 20, v2
	v_and_b32_e32 v4, 0x80000000, v4
	v_lshl_add_u32 v3, v3, 23, v6
	v_or3_b32 v2, v4, v3, v2
.LBB52_1004:
	s_or_b64 exec, exec, s[6:7]
	v_lshrrev_b32_e32 v3, 8, v5
	s_movk_i32 s4, 0x7f
	v_cmp_gt_i16_sdwa s[6:7], v3, s4 src0_sel:BYTE_0 src1_sel:DWORD
	s_mov_b64 s[4:5], 0
                                        ; implicit-def: $sgpr10
	s_and_saveexec_b64 s[8:9], s[6:7]
	s_xor_b64 s[6:7], exec, s[8:9]
	s_cbranch_execnz .LBB52_3053
; %bb.1005:
	s_or_saveexec_b64 s[6:7], s[6:7]
	v_mov_b32_e32 v4, s10
	s_xor_b64 exec, exec, s[6:7]
	s_cbranch_execnz .LBB52_3056
.LBB52_1006:
	s_or_b64 exec, exec, s[6:7]
	s_and_saveexec_b64 s[6:7], s[4:5]
	s_cbranch_execz .LBB52_1008
.LBB52_1007:
	v_bfe_u32 v4, v5, 8, 3
	v_ffbh_u32_e32 v7, v4
	v_min_u32_e32 v7, 32, v7
	v_lshrrev_b16_e32 v6, 3, v3
	v_subrev_u32_e32 v8, 28, v7
	v_and_b32_e32 v6, 15, v6
	v_lshlrev_b32_e32 v3, v8, v3
	v_sub_u32_e32 v7, 29, v7
	v_and_b32_e32 v3, 7, v3
	v_cmp_eq_u16_e32 vcc, 0, v6
	v_cndmask_b32_e32 v3, v4, v3, vcc
	v_cndmask_b32_e32 v4, v6, v7, vcc
	v_lshlrev_b32_e32 v6, 16, v5
	v_mov_b32_e32 v7, 0x3b800000
	v_lshlrev_b32_e32 v3, 20, v3
	v_and_b32_e32 v6, 0x80000000, v6
	v_lshl_add_u32 v4, v4, 23, v7
	v_or3_b32 v4, v6, v4, v3
.LBB52_1008:
	s_or_b64 exec, exec, s[6:7]
	s_nop 0
	v_mfma_f32_16x16x4f32 a[0:3], v2, v4, a[0:3]
	s_movk_i32 s4, 0xff
	v_and_b32_sdwa v3, v9, s4 dst_sel:DWORD dst_unused:UNUSED_PAD src0_sel:WORD_1 src1_sel:DWORD
	s_movk_i32 s4, 0x7f
	v_cmp_lt_i16_e32 vcc, s4, v3
	s_mov_b64 s[4:5], 0
                                        ; implicit-def: $sgpr10
	s_and_saveexec_b64 s[6:7], vcc
	s_xor_b64 s[6:7], exec, s[6:7]
	s_cbranch_execnz .LBB52_3057
; %bb.1009:
	s_or_saveexec_b64 s[6:7], s[6:7]
	v_mov_b32_e32 v2, s10
	s_xor_b64 exec, exec, s[6:7]
	s_cbranch_execnz .LBB52_3060
.LBB52_1010:
	s_or_b64 exec, exec, s[6:7]
	s_and_saveexec_b64 s[6:7], s[4:5]
	s_cbranch_execz .LBB52_1012
.LBB52_1011:
	v_bfe_u32 v2, v9, 16, 3
	v_ffbh_u32_e32 v6, v2
	v_min_u32_e32 v6, 32, v6
	v_lshrrev_b32_e32 v3, 19, v9
	v_subrev_u32_e32 v7, 28, v6
	v_and_b32_e32 v3, 15, v3
	v_lshlrev_b32_sdwa v7, v7, v9 dst_sel:DWORD dst_unused:UNUSED_PAD src0_sel:DWORD src1_sel:WORD_1
	v_bfe_u32 v4, v9, 19, 4
	v_sub_u32_e32 v6, 29, v6
	v_and_b32_e32 v7, 7, v7
	v_cmp_eq_u16_e32 vcc, 0, v3
	v_cndmask_b32_e32 v2, v2, v7, vcc
	v_cndmask_b32_e32 v3, v4, v6, vcc
	v_lshlrev_b32_e32 v4, 8, v9
	v_mov_b32_e32 v6, 0x3b800000
	v_lshlrev_b32_e32 v2, 20, v2
	v_and_b32_e32 v4, 0x80000000, v4
	v_lshl_add_u32 v3, v3, 23, v6
	v_or3_b32 v2, v4, v3, v2
.LBB52_1012:
	s_or_b64 exec, exec, s[6:7]
	s_movk_i32 s4, 0xff
	v_and_b32_sdwa v3, v5, s4 dst_sel:DWORD dst_unused:UNUSED_PAD src0_sel:WORD_1 src1_sel:DWORD
	s_movk_i32 s4, 0x7f
	v_cmp_lt_i16_e32 vcc, s4, v3
	s_mov_b64 s[4:5], 0
                                        ; implicit-def: $sgpr10
	s_and_saveexec_b64 s[6:7], vcc
	s_xor_b64 s[6:7], exec, s[6:7]
	s_cbranch_execnz .LBB52_3061
; %bb.1013:
	s_or_saveexec_b64 s[6:7], s[6:7]
	v_mov_b32_e32 v4, s10
	s_xor_b64 exec, exec, s[6:7]
	s_cbranch_execnz .LBB52_3064
.LBB52_1014:
	s_or_b64 exec, exec, s[6:7]
	s_and_saveexec_b64 s[6:7], s[4:5]
	s_cbranch_execz .LBB52_1016
.LBB52_1015:
	v_bfe_u32 v3, v5, 16, 3
	v_ffbh_u32_e32 v7, v3
	v_min_u32_e32 v7, 32, v7
	v_lshrrev_b32_e32 v4, 19, v5
	v_subrev_u32_e32 v8, 28, v7
	v_and_b32_e32 v4, 15, v4
	v_lshlrev_b32_sdwa v8, v8, v5 dst_sel:DWORD dst_unused:UNUSED_PAD src0_sel:DWORD src1_sel:WORD_1
	v_bfe_u32 v6, v5, 19, 4
	v_sub_u32_e32 v7, 29, v7
	v_and_b32_e32 v8, 7, v8
	v_cmp_eq_u16_e32 vcc, 0, v4
	v_cndmask_b32_e32 v3, v3, v8, vcc
	v_cndmask_b32_e32 v4, v6, v7, vcc
	v_lshlrev_b32_e32 v6, 8, v5
	v_mov_b32_e32 v7, 0x3b800000
	v_lshlrev_b32_e32 v3, 20, v3
	v_and_b32_e32 v6, 0x80000000, v6
	v_lshl_add_u32 v4, v4, 23, v7
	v_or3_b32 v4, v6, v4, v3
.LBB52_1016:
	s_or_b64 exec, exec, s[6:7]
	s_nop 0
	v_mfma_f32_16x16x4f32 a[0:3], v2, v4, a[0:3]
	s_movk_i32 s4, 0x7f
	v_cmp_gt_i16_sdwa s[6:7], v9, s4 src0_sel:BYTE_3 src1_sel:DWORD
	s_mov_b64 s[4:5], 0
                                        ; implicit-def: $sgpr10
	s_and_saveexec_b64 s[8:9], s[6:7]
	s_xor_b64 s[6:7], exec, s[8:9]
	s_cbranch_execnz .LBB52_3065
; %bb.1017:
	s_or_saveexec_b64 s[6:7], s[6:7]
	v_mov_b32_e32 v2, s10
	s_xor_b64 exec, exec, s[6:7]
	s_cbranch_execnz .LBB52_3068
.LBB52_1018:
	s_or_b64 exec, exec, s[6:7]
	s_and_saveexec_b64 s[6:7], s[4:5]
	s_cbranch_execz .LBB52_1020
.LBB52_1019:
	v_bfe_u32 v2, v9, 24, 3
	v_ffbh_u32_e32 v7, v2
	v_min_u32_e32 v7, 32, v7
	v_lshrrev_b32_e32 v4, 27, v9
	v_subrev_u32_e32 v8, 28, v7
	v_and_b32_e32 v4, 15, v4
	v_lshlrev_b32_sdwa v8, v8, v9 dst_sel:DWORD dst_unused:UNUSED_PAD src0_sel:DWORD src1_sel:BYTE_3
	v_bfe_u32 v6, v9, 27, 4
	v_sub_u32_e32 v7, 29, v7
	v_and_b32_e32 v8, 7, v8
	v_cmp_eq_u16_e32 vcc, 0, v4
	v_cndmask_b32_e32 v2, v2, v8, vcc
	v_cndmask_b32_e32 v4, v6, v7, vcc
	v_mov_b32_e32 v6, 0x3b800000
	v_and_b32_e32 v3, 0x80000000, v9
	v_lshlrev_b32_e32 v2, 20, v2
	v_lshl_add_u32 v4, v4, 23, v6
	v_or3_b32 v2, v3, v4, v2
.LBB52_1020:
	s_or_b64 exec, exec, s[6:7]
	s_movk_i32 s4, 0x7f
	v_cmp_gt_i16_sdwa s[6:7], v5, s4 src0_sel:BYTE_3 src1_sel:DWORD
	s_mov_b64 s[4:5], 0
                                        ; implicit-def: $sgpr10
	s_and_saveexec_b64 s[8:9], s[6:7]
	s_xor_b64 s[6:7], exec, s[8:9]
	s_cbranch_execnz .LBB52_3069
; %bb.1021:
	s_or_saveexec_b64 s[6:7], s[6:7]
	v_mov_b32_e32 v3, s10
	s_xor_b64 exec, exec, s[6:7]
	s_cbranch_execnz .LBB52_3072
.LBB52_1022:
	s_or_b64 exec, exec, s[6:7]
	s_and_saveexec_b64 s[6:7], s[4:5]
	s_cbranch_execz .LBB52_1024
.LBB52_1023:
	v_bfe_u32 v3, v5, 24, 3
	v_ffbh_u32_e32 v8, v3
	v_min_u32_e32 v8, 32, v8
	v_lshrrev_b32_e32 v6, 27, v5
	v_subrev_u32_e32 v9, 28, v8
	v_and_b32_e32 v4, 0x80000000, v5
	v_and_b32_e32 v6, 15, v6
	v_bfe_u32 v7, v5, 27, 4
	v_lshlrev_b32_sdwa v5, v9, v5 dst_sel:DWORD dst_unused:UNUSED_PAD src0_sel:DWORD src1_sel:BYTE_3
	v_sub_u32_e32 v8, 29, v8
	v_and_b32_e32 v5, 7, v5
	v_cmp_eq_u16_e32 vcc, 0, v6
	v_cndmask_b32_e32 v3, v3, v5, vcc
	v_cndmask_b32_e32 v5, v7, v8, vcc
	v_mov_b32_e32 v6, 0x3b800000
	v_lshlrev_b32_e32 v3, 20, v3
	v_lshl_add_u32 v5, v5, 23, v6
	v_or3_b32 v3, v4, v5, v3
.LBB52_1024:
	s_or_b64 exec, exec, s[6:7]
	s_nop 0
	v_mfma_f32_16x16x4f32 a[0:3], v2, v3, a[0:3]
	s_movk_i32 s4, 0x7f
                                        ; implicit-def: $sgpr10
	s_nop 7
	s_nop 1
	flat_store_dwordx4 v[18:19], a[0:3] offset:48
	flat_load_dwordx4 v[20:23], v[0:1] offset:8
	s_nop 0
	flat_load_dwordx2 v[18:19], v[0:1] offset:24
	s_waitcnt vmcnt(0) lgkmcnt(0)
	flat_load_dwordx4 v[14:17], v[20:21]
	flat_load_dwordx4 v[6:9], v[20:21] offset:16
	flat_load_dwordx4 v[10:13], v[22:23] offset:384
	;; [unrolled: 1-line block ×3, first 2 shown]
	s_waitcnt vmcnt(0) lgkmcnt(0)
	v_cmp_gt_i16_sdwa s[6:7], v14, s4 src0_sel:BYTE_0 src1_sel:DWORD
	s_mov_b64 s[4:5], 0
	s_and_saveexec_b64 s[8:9], s[6:7]
	s_xor_b64 s[6:7], exec, s[8:9]
	s_cbranch_execnz .LBB52_3073
; %bb.1025:
	s_or_saveexec_b64 s[6:7], s[6:7]
	v_mov_b32_e32 v20, s10
	s_xor_b64 exec, exec, s[6:7]
	s_cbranch_execnz .LBB52_3076
.LBB52_1026:
	s_or_b64 exec, exec, s[6:7]
	s_and_saveexec_b64 s[6:7], s[4:5]
	s_cbranch_execz .LBB52_1028
.LBB52_1027:
	v_and_b32_e32 v20, 7, v14
	v_ffbh_u32_e32 v22, v20
	v_min_u32_e32 v22, 32, v22
	v_lshrrev_b16_e32 v21, 3, v14
	v_subrev_u32_e32 v23, 28, v22
	v_and_b32_e32 v21, 15, v21
	v_lshlrev_b32_e32 v23, v23, v14
	v_sub_u32_e32 v22, 29, v22
	v_and_b32_e32 v23, 7, v23
	v_cmp_eq_u16_e32 vcc, 0, v21
	v_cndmask_b32_e32 v20, v20, v23, vcc
	v_cndmask_b32_e32 v21, v21, v22, vcc
	v_lshlrev_b32_e32 v22, 24, v14
	v_mov_b32_e32 v23, 0x3b800000
	v_lshlrev_b32_e32 v20, 20, v20
	v_and_b32_e32 v22, 0x80000000, v22
	v_lshl_add_u32 v21, v21, 23, v23
	v_or3_b32 v20, v22, v21, v20
.LBB52_1028:
	s_or_b64 exec, exec, s[6:7]
	s_movk_i32 s4, 0x7f
	v_cmp_gt_i16_sdwa s[6:7], v10, s4 src0_sel:BYTE_0 src1_sel:DWORD
	s_mov_b64 s[4:5], 0
                                        ; implicit-def: $sgpr10
	s_and_saveexec_b64 s[8:9], s[6:7]
	s_xor_b64 s[6:7], exec, s[8:9]
	s_cbranch_execnz .LBB52_3077
; %bb.1029:
	s_or_saveexec_b64 s[6:7], s[6:7]
	v_mov_b32_e32 v21, s10
	s_xor_b64 exec, exec, s[6:7]
	s_cbranch_execnz .LBB52_3080
.LBB52_1030:
	s_or_b64 exec, exec, s[6:7]
	s_and_saveexec_b64 s[6:7], s[4:5]
	s_cbranch_execz .LBB52_1032
.LBB52_1031:
	v_and_b32_e32 v21, 7, v10
	v_ffbh_u32_e32 v23, v21
	v_min_u32_e32 v23, 32, v23
	v_lshrrev_b16_e32 v22, 3, v10
	v_subrev_u32_e32 v24, 28, v23
	v_and_b32_e32 v22, 15, v22
	v_lshlrev_b32_e32 v24, v24, v10
	v_sub_u32_e32 v23, 29, v23
	v_and_b32_e32 v24, 7, v24
	v_cmp_eq_u16_e32 vcc, 0, v22
	v_cndmask_b32_e32 v21, v21, v24, vcc
	v_cndmask_b32_e32 v22, v22, v23, vcc
	v_lshlrev_b32_e32 v23, 24, v10
	v_mov_b32_e32 v24, 0x3b800000
	v_lshlrev_b32_e32 v21, 20, v21
	v_and_b32_e32 v23, 0x80000000, v23
	v_lshl_add_u32 v22, v22, 23, v24
	v_or3_b32 v21, v23, v22, v21
.LBB52_1032:
	s_or_b64 exec, exec, s[6:7]
	flat_load_dwordx4 a[0:3], v[18:19] offset:64
	s_movk_i32 s4, 0x7f
                                        ; implicit-def: $sgpr10
	s_waitcnt vmcnt(0) lgkmcnt(0)
	v_mfma_f32_16x16x4f32 a[0:3], v20, v21, a[0:3]
	v_lshrrev_b32_e32 v21, 8, v14
	v_cmp_gt_i16_sdwa s[6:7], v21, s4 src0_sel:BYTE_0 src1_sel:DWORD
	s_mov_b64 s[4:5], 0
	s_and_saveexec_b64 s[8:9], s[6:7]
	s_xor_b64 s[6:7], exec, s[8:9]
	s_cbranch_execnz .LBB52_3081
; %bb.1033:
	s_or_saveexec_b64 s[6:7], s[6:7]
	v_mov_b32_e32 v20, s10
	s_xor_b64 exec, exec, s[6:7]
	s_cbranch_execnz .LBB52_3084
.LBB52_1034:
	s_or_b64 exec, exec, s[6:7]
	s_and_saveexec_b64 s[6:7], s[4:5]
	s_cbranch_execz .LBB52_1036
.LBB52_1035:
	v_bfe_u32 v20, v14, 8, 3
	v_ffbh_u32_e32 v23, v20
	v_min_u32_e32 v23, 32, v23
	v_lshrrev_b16_e32 v22, 3, v21
	v_subrev_u32_e32 v24, 28, v23
	v_and_b32_e32 v22, 15, v22
	v_lshlrev_b32_e32 v21, v24, v21
	v_sub_u32_e32 v23, 29, v23
	v_and_b32_e32 v21, 7, v21
	v_cmp_eq_u16_e32 vcc, 0, v22
	v_cndmask_b32_e32 v20, v20, v21, vcc
	v_cndmask_b32_e32 v21, v22, v23, vcc
	v_lshlrev_b32_e32 v22, 16, v14
	v_mov_b32_e32 v23, 0x3b800000
	v_lshlrev_b32_e32 v20, 20, v20
	v_and_b32_e32 v22, 0x80000000, v22
	v_lshl_add_u32 v21, v21, 23, v23
	v_or3_b32 v20, v22, v21, v20
.LBB52_1036:
	s_or_b64 exec, exec, s[6:7]
	v_lshrrev_b32_e32 v21, 8, v10
	s_movk_i32 s4, 0x7f
	v_cmp_gt_i16_sdwa s[6:7], v21, s4 src0_sel:BYTE_0 src1_sel:DWORD
	s_mov_b64 s[4:5], 0
                                        ; implicit-def: $sgpr10
	s_and_saveexec_b64 s[8:9], s[6:7]
	s_xor_b64 s[6:7], exec, s[8:9]
	s_cbranch_execnz .LBB52_3085
; %bb.1037:
	s_or_saveexec_b64 s[6:7], s[6:7]
	v_mov_b32_e32 v22, s10
	s_xor_b64 exec, exec, s[6:7]
	s_cbranch_execnz .LBB52_3088
.LBB52_1038:
	s_or_b64 exec, exec, s[6:7]
	s_and_saveexec_b64 s[6:7], s[4:5]
	s_cbranch_execz .LBB52_1040
.LBB52_1039:
	v_bfe_u32 v22, v10, 8, 3
	v_ffbh_u32_e32 v24, v22
	v_min_u32_e32 v24, 32, v24
	v_lshrrev_b16_e32 v23, 3, v21
	v_subrev_u32_e32 v25, 28, v24
	v_and_b32_e32 v23, 15, v23
	v_lshlrev_b32_e32 v21, v25, v21
	v_sub_u32_e32 v24, 29, v24
	v_and_b32_e32 v21, 7, v21
	v_cmp_eq_u16_e32 vcc, 0, v23
	v_cndmask_b32_e32 v21, v22, v21, vcc
	v_cndmask_b32_e32 v22, v23, v24, vcc
	v_lshlrev_b32_e32 v23, 16, v10
	v_mov_b32_e32 v24, 0x3b800000
	v_lshlrev_b32_e32 v21, 20, v21
	v_and_b32_e32 v23, 0x80000000, v23
	v_lshl_add_u32 v22, v22, 23, v24
	v_or3_b32 v22, v23, v22, v21
.LBB52_1040:
	s_or_b64 exec, exec, s[6:7]
	s_nop 0
	v_mfma_f32_16x16x4f32 a[0:3], v20, v22, a[0:3]
	s_movk_i32 s4, 0xff
	v_and_b32_sdwa v21, v14, s4 dst_sel:DWORD dst_unused:UNUSED_PAD src0_sel:WORD_1 src1_sel:DWORD
	s_movk_i32 s4, 0x7f
	v_cmp_lt_i16_e32 vcc, s4, v21
	s_mov_b64 s[4:5], 0
                                        ; implicit-def: $sgpr10
	s_and_saveexec_b64 s[6:7], vcc
	s_xor_b64 s[6:7], exec, s[6:7]
	s_cbranch_execnz .LBB52_3089
; %bb.1041:
	s_or_saveexec_b64 s[6:7], s[6:7]
	v_mov_b32_e32 v20, s10
	s_xor_b64 exec, exec, s[6:7]
	s_cbranch_execnz .LBB52_3092
.LBB52_1042:
	s_or_b64 exec, exec, s[6:7]
	s_and_saveexec_b64 s[6:7], s[4:5]
	s_cbranch_execz .LBB52_1044
.LBB52_1043:
	v_bfe_u32 v20, v14, 16, 3
	v_ffbh_u32_e32 v23, v20
	v_min_u32_e32 v23, 32, v23
	v_lshrrev_b32_e32 v21, 19, v14
	v_subrev_u32_e32 v24, 28, v23
	v_and_b32_e32 v21, 15, v21
	v_lshlrev_b32_sdwa v24, v24, v14 dst_sel:DWORD dst_unused:UNUSED_PAD src0_sel:DWORD src1_sel:WORD_1
	v_bfe_u32 v22, v14, 19, 4
	v_sub_u32_e32 v23, 29, v23
	v_and_b32_e32 v24, 7, v24
	v_cmp_eq_u16_e32 vcc, 0, v21
	v_cndmask_b32_e32 v20, v20, v24, vcc
	v_cndmask_b32_e32 v21, v22, v23, vcc
	v_lshlrev_b32_e32 v22, 8, v14
	v_mov_b32_e32 v23, 0x3b800000
	v_lshlrev_b32_e32 v20, 20, v20
	v_and_b32_e32 v22, 0x80000000, v22
	v_lshl_add_u32 v21, v21, 23, v23
	v_or3_b32 v20, v22, v21, v20
.LBB52_1044:
	s_or_b64 exec, exec, s[6:7]
	s_movk_i32 s4, 0xff
	v_and_b32_sdwa v21, v10, s4 dst_sel:DWORD dst_unused:UNUSED_PAD src0_sel:WORD_1 src1_sel:DWORD
	s_movk_i32 s4, 0x7f
	v_cmp_lt_i16_e32 vcc, s4, v21
	s_mov_b64 s[4:5], 0
                                        ; implicit-def: $sgpr10
	s_and_saveexec_b64 s[6:7], vcc
	s_xor_b64 s[6:7], exec, s[6:7]
	s_cbranch_execnz .LBB52_3093
; %bb.1045:
	s_or_saveexec_b64 s[6:7], s[6:7]
	v_mov_b32_e32 v22, s10
	s_xor_b64 exec, exec, s[6:7]
	s_cbranch_execnz .LBB52_3096
.LBB52_1046:
	s_or_b64 exec, exec, s[6:7]
	s_and_saveexec_b64 s[6:7], s[4:5]
	s_cbranch_execz .LBB52_1048
.LBB52_1047:
	v_bfe_u32 v21, v10, 16, 3
	v_ffbh_u32_e32 v24, v21
	v_min_u32_e32 v24, 32, v24
	v_lshrrev_b32_e32 v22, 19, v10
	v_subrev_u32_e32 v25, 28, v24
	v_and_b32_e32 v22, 15, v22
	v_lshlrev_b32_sdwa v25, v25, v10 dst_sel:DWORD dst_unused:UNUSED_PAD src0_sel:DWORD src1_sel:WORD_1
	v_bfe_u32 v23, v10, 19, 4
	v_sub_u32_e32 v24, 29, v24
	v_and_b32_e32 v25, 7, v25
	v_cmp_eq_u16_e32 vcc, 0, v22
	v_cndmask_b32_e32 v21, v21, v25, vcc
	v_cndmask_b32_e32 v22, v23, v24, vcc
	v_lshlrev_b32_e32 v23, 8, v10
	v_mov_b32_e32 v24, 0x3b800000
	v_lshlrev_b32_e32 v21, 20, v21
	v_and_b32_e32 v23, 0x80000000, v23
	v_lshl_add_u32 v22, v22, 23, v24
	v_or3_b32 v22, v23, v22, v21
.LBB52_1048:
	s_or_b64 exec, exec, s[6:7]
	s_nop 0
	v_mfma_f32_16x16x4f32 a[0:3], v20, v22, a[0:3]
	s_movk_i32 s4, 0x7f
	v_cmp_gt_i16_sdwa s[6:7], v14, s4 src0_sel:BYTE_3 src1_sel:DWORD
	s_mov_b64 s[4:5], 0
                                        ; implicit-def: $sgpr10
	s_and_saveexec_b64 s[8:9], s[6:7]
	s_xor_b64 s[6:7], exec, s[8:9]
	s_cbranch_execnz .LBB52_3097
; %bb.1049:
	s_or_saveexec_b64 s[6:7], s[6:7]
	v_mov_b32_e32 v20, s10
	s_xor_b64 exec, exec, s[6:7]
	s_cbranch_execnz .LBB52_3100
.LBB52_1050:
	s_or_b64 exec, exec, s[6:7]
	s_and_saveexec_b64 s[6:7], s[4:5]
	s_cbranch_execz .LBB52_1052
.LBB52_1051:
	v_bfe_u32 v20, v14, 24, 3
	v_ffbh_u32_e32 v24, v20
	v_min_u32_e32 v24, 32, v24
	v_lshrrev_b32_e32 v22, 27, v14
	v_subrev_u32_e32 v25, 28, v24
	v_and_b32_e32 v21, 0x80000000, v14
	v_and_b32_e32 v22, 15, v22
	v_bfe_u32 v23, v14, 27, 4
	v_lshlrev_b32_sdwa v14, v25, v14 dst_sel:DWORD dst_unused:UNUSED_PAD src0_sel:DWORD src1_sel:BYTE_3
	v_sub_u32_e32 v24, 29, v24
	v_and_b32_e32 v14, 7, v14
	v_cmp_eq_u16_e32 vcc, 0, v22
	v_cndmask_b32_e32 v14, v20, v14, vcc
	v_cndmask_b32_e32 v20, v23, v24, vcc
	v_mov_b32_e32 v22, 0x3b800000
	v_lshlrev_b32_e32 v14, 20, v14
	v_lshl_add_u32 v20, v20, 23, v22
	v_or3_b32 v20, v21, v20, v14
.LBB52_1052:
	s_or_b64 exec, exec, s[6:7]
	s_movk_i32 s4, 0x7f
	v_cmp_gt_i16_sdwa s[6:7], v10, s4 src0_sel:BYTE_3 src1_sel:DWORD
	s_mov_b64 s[4:5], 0
                                        ; implicit-def: $sgpr10
	s_and_saveexec_b64 s[8:9], s[6:7]
	s_xor_b64 s[6:7], exec, s[8:9]
	s_cbranch_execnz .LBB52_3101
; %bb.1053:
	s_or_saveexec_b64 s[6:7], s[6:7]
	v_mov_b32_e32 v14, s10
	s_xor_b64 exec, exec, s[6:7]
	s_cbranch_execnz .LBB52_3104
.LBB52_1054:
	s_or_b64 exec, exec, s[6:7]
	s_and_saveexec_b64 s[6:7], s[4:5]
	s_cbranch_execz .LBB52_1056
.LBB52_1055:
	v_bfe_u32 v14, v10, 24, 3
	v_ffbh_u32_e32 v24, v14
	v_min_u32_e32 v24, 32, v24
	v_lshrrev_b32_e32 v22, 27, v10
	v_subrev_u32_e32 v25, 28, v24
	v_and_b32_e32 v21, 0x80000000, v10
	v_and_b32_e32 v22, 15, v22
	v_bfe_u32 v23, v10, 27, 4
	v_lshlrev_b32_sdwa v10, v25, v10 dst_sel:DWORD dst_unused:UNUSED_PAD src0_sel:DWORD src1_sel:BYTE_3
	v_sub_u32_e32 v24, 29, v24
	v_and_b32_e32 v10, 7, v10
	v_cmp_eq_u16_e32 vcc, 0, v22
	v_cndmask_b32_e32 v10, v14, v10, vcc
	v_cndmask_b32_e32 v14, v23, v24, vcc
	v_mov_b32_e32 v22, 0x3b800000
	v_lshlrev_b32_e32 v10, 20, v10
	v_lshl_add_u32 v14, v14, 23, v22
	v_or3_b32 v14, v21, v14, v10
.LBB52_1056:
	s_or_b64 exec, exec, s[6:7]
	s_nop 0
	v_mfma_f32_16x16x4f32 a[0:3], v20, v14, a[0:3]
	s_movk_i32 s4, 0x7f
	v_cmp_gt_i16_sdwa s[6:7], v15, s4 src0_sel:BYTE_0 src1_sel:DWORD
	s_mov_b64 s[4:5], 0
                                        ; implicit-def: $sgpr10
	s_and_saveexec_b64 s[8:9], s[6:7]
	s_xor_b64 s[6:7], exec, s[8:9]
	s_cbranch_execnz .LBB52_3105
; %bb.1057:
	s_or_saveexec_b64 s[6:7], s[6:7]
	v_mov_b32_e32 v10, s10
	s_xor_b64 exec, exec, s[6:7]
	s_cbranch_execnz .LBB52_3108
.LBB52_1058:
	s_or_b64 exec, exec, s[6:7]
	s_and_saveexec_b64 s[6:7], s[4:5]
	s_cbranch_execz .LBB52_1060
.LBB52_1059:
	v_and_b32_e32 v10, 7, v15
	v_ffbh_u32_e32 v20, v10
	v_min_u32_e32 v20, 32, v20
	v_lshrrev_b16_e32 v14, 3, v15
	v_subrev_u32_e32 v21, 28, v20
	v_and_b32_e32 v14, 15, v14
	v_lshlrev_b32_e32 v21, v21, v15
	v_sub_u32_e32 v20, 29, v20
	v_and_b32_e32 v21, 7, v21
	v_cmp_eq_u16_e32 vcc, 0, v14
	v_cndmask_b32_e32 v10, v10, v21, vcc
	v_cndmask_b32_e32 v14, v14, v20, vcc
	v_lshlrev_b32_e32 v20, 24, v15
	v_mov_b32_e32 v21, 0x3b800000
	v_lshlrev_b32_e32 v10, 20, v10
	v_and_b32_e32 v20, 0x80000000, v20
	v_lshl_add_u32 v14, v14, 23, v21
	v_or3_b32 v10, v20, v14, v10
.LBB52_1060:
	s_or_b64 exec, exec, s[6:7]
	s_movk_i32 s4, 0x7f
	v_cmp_gt_i16_sdwa s[6:7], v11, s4 src0_sel:BYTE_0 src1_sel:DWORD
	s_mov_b64 s[4:5], 0
                                        ; implicit-def: $sgpr10
	s_and_saveexec_b64 s[8:9], s[6:7]
	s_xor_b64 s[6:7], exec, s[8:9]
	s_cbranch_execnz .LBB52_3109
; %bb.1061:
	s_or_saveexec_b64 s[6:7], s[6:7]
	v_mov_b32_e32 v14, s10
	s_xor_b64 exec, exec, s[6:7]
	s_cbranch_execnz .LBB52_3112
.LBB52_1062:
	s_or_b64 exec, exec, s[6:7]
	s_and_saveexec_b64 s[6:7], s[4:5]
	s_cbranch_execz .LBB52_1064
.LBB52_1063:
	v_and_b32_e32 v14, 7, v11
	v_ffbh_u32_e32 v21, v14
	v_min_u32_e32 v21, 32, v21
	v_lshrrev_b16_e32 v20, 3, v11
	v_subrev_u32_e32 v22, 28, v21
	v_and_b32_e32 v20, 15, v20
	v_lshlrev_b32_e32 v22, v22, v11
	v_sub_u32_e32 v21, 29, v21
	v_and_b32_e32 v22, 7, v22
	v_cmp_eq_u16_e32 vcc, 0, v20
	v_cndmask_b32_e32 v14, v14, v22, vcc
	v_cndmask_b32_e32 v20, v20, v21, vcc
	v_lshlrev_b32_e32 v21, 24, v11
	v_mov_b32_e32 v22, 0x3b800000
	v_lshlrev_b32_e32 v14, 20, v14
	v_and_b32_e32 v21, 0x80000000, v21
	v_lshl_add_u32 v20, v20, 23, v22
	v_or3_b32 v14, v21, v20, v14
.LBB52_1064:
	s_or_b64 exec, exec, s[6:7]
	s_nop 0
	v_mfma_f32_16x16x4f32 a[0:3], v10, v14, a[0:3]
	v_lshrrev_b32_e32 v14, 8, v15
	s_movk_i32 s4, 0x7f
	v_cmp_gt_i16_sdwa s[6:7], v14, s4 src0_sel:BYTE_0 src1_sel:DWORD
	s_mov_b64 s[4:5], 0
                                        ; implicit-def: $sgpr10
	s_and_saveexec_b64 s[8:9], s[6:7]
	s_xor_b64 s[6:7], exec, s[8:9]
	s_cbranch_execnz .LBB52_3113
; %bb.1065:
	s_or_saveexec_b64 s[6:7], s[6:7]
	v_mov_b32_e32 v10, s10
	s_xor_b64 exec, exec, s[6:7]
	s_cbranch_execnz .LBB52_3116
.LBB52_1066:
	s_or_b64 exec, exec, s[6:7]
	s_and_saveexec_b64 s[6:7], s[4:5]
	s_cbranch_execz .LBB52_1068
.LBB52_1067:
	v_bfe_u32 v10, v15, 8, 3
	v_ffbh_u32_e32 v21, v10
	v_min_u32_e32 v21, 32, v21
	v_lshrrev_b16_e32 v20, 3, v14
	v_subrev_u32_e32 v22, 28, v21
	v_and_b32_e32 v20, 15, v20
	v_lshlrev_b32_e32 v14, v22, v14
	v_sub_u32_e32 v21, 29, v21
	v_and_b32_e32 v14, 7, v14
	v_cmp_eq_u16_e32 vcc, 0, v20
	v_cndmask_b32_e32 v10, v10, v14, vcc
	v_cndmask_b32_e32 v14, v20, v21, vcc
	v_lshlrev_b32_e32 v20, 16, v15
	v_mov_b32_e32 v21, 0x3b800000
	v_lshlrev_b32_e32 v10, 20, v10
	v_and_b32_e32 v20, 0x80000000, v20
	v_lshl_add_u32 v14, v14, 23, v21
	v_or3_b32 v10, v20, v14, v10
.LBB52_1068:
	s_or_b64 exec, exec, s[6:7]
	v_lshrrev_b32_e32 v14, 8, v11
	s_movk_i32 s4, 0x7f
	v_cmp_gt_i16_sdwa s[6:7], v14, s4 src0_sel:BYTE_0 src1_sel:DWORD
	s_mov_b64 s[4:5], 0
                                        ; implicit-def: $sgpr10
	s_and_saveexec_b64 s[8:9], s[6:7]
	s_xor_b64 s[6:7], exec, s[8:9]
	s_cbranch_execnz .LBB52_3117
; %bb.1069:
	s_or_saveexec_b64 s[6:7], s[6:7]
	v_mov_b32_e32 v20, s10
	s_xor_b64 exec, exec, s[6:7]
	s_cbranch_execnz .LBB52_3120
.LBB52_1070:
	s_or_b64 exec, exec, s[6:7]
	s_and_saveexec_b64 s[6:7], s[4:5]
	s_cbranch_execz .LBB52_1072
.LBB52_1071:
	v_bfe_u32 v20, v11, 8, 3
	v_ffbh_u32_e32 v22, v20
	v_min_u32_e32 v22, 32, v22
	v_lshrrev_b16_e32 v21, 3, v14
	v_subrev_u32_e32 v23, 28, v22
	v_and_b32_e32 v21, 15, v21
	v_lshlrev_b32_e32 v14, v23, v14
	v_sub_u32_e32 v22, 29, v22
	v_and_b32_e32 v14, 7, v14
	v_cmp_eq_u16_e32 vcc, 0, v21
	v_cndmask_b32_e32 v14, v20, v14, vcc
	v_cndmask_b32_e32 v20, v21, v22, vcc
	v_lshlrev_b32_e32 v21, 16, v11
	v_mov_b32_e32 v22, 0x3b800000
	v_lshlrev_b32_e32 v14, 20, v14
	v_and_b32_e32 v21, 0x80000000, v21
	v_lshl_add_u32 v20, v20, 23, v22
	v_or3_b32 v20, v21, v20, v14
.LBB52_1072:
	s_or_b64 exec, exec, s[6:7]
	s_nop 0
	v_mfma_f32_16x16x4f32 a[0:3], v10, v20, a[0:3]
	s_movk_i32 s4, 0xff
	v_and_b32_sdwa v14, v15, s4 dst_sel:DWORD dst_unused:UNUSED_PAD src0_sel:WORD_1 src1_sel:DWORD
	s_movk_i32 s4, 0x7f
	v_cmp_lt_i16_e32 vcc, s4, v14
	s_mov_b64 s[4:5], 0
                                        ; implicit-def: $sgpr10
	s_and_saveexec_b64 s[6:7], vcc
	s_xor_b64 s[6:7], exec, s[6:7]
	s_cbranch_execnz .LBB52_3121
; %bb.1073:
	s_or_saveexec_b64 s[6:7], s[6:7]
	v_mov_b32_e32 v10, s10
	s_xor_b64 exec, exec, s[6:7]
	s_cbranch_execnz .LBB52_3124
.LBB52_1074:
	s_or_b64 exec, exec, s[6:7]
	s_and_saveexec_b64 s[6:7], s[4:5]
	s_cbranch_execz .LBB52_1076
.LBB52_1075:
	v_bfe_u32 v10, v15, 16, 3
	v_ffbh_u32_e32 v21, v10
	v_min_u32_e32 v21, 32, v21
	v_lshrrev_b32_e32 v14, 19, v15
	v_subrev_u32_e32 v22, 28, v21
	v_and_b32_e32 v14, 15, v14
	v_lshlrev_b32_sdwa v22, v22, v15 dst_sel:DWORD dst_unused:UNUSED_PAD src0_sel:DWORD src1_sel:WORD_1
	v_bfe_u32 v20, v15, 19, 4
	v_sub_u32_e32 v21, 29, v21
	v_and_b32_e32 v22, 7, v22
	v_cmp_eq_u16_e32 vcc, 0, v14
	v_cndmask_b32_e32 v10, v10, v22, vcc
	v_cndmask_b32_e32 v14, v20, v21, vcc
	v_lshlrev_b32_e32 v20, 8, v15
	v_mov_b32_e32 v21, 0x3b800000
	v_lshlrev_b32_e32 v10, 20, v10
	v_and_b32_e32 v20, 0x80000000, v20
	v_lshl_add_u32 v14, v14, 23, v21
	v_or3_b32 v10, v20, v14, v10
.LBB52_1076:
	s_or_b64 exec, exec, s[6:7]
	s_movk_i32 s4, 0xff
	v_and_b32_sdwa v14, v11, s4 dst_sel:DWORD dst_unused:UNUSED_PAD src0_sel:WORD_1 src1_sel:DWORD
	s_movk_i32 s4, 0x7f
	v_cmp_lt_i16_e32 vcc, s4, v14
	s_mov_b64 s[4:5], 0
                                        ; implicit-def: $sgpr10
	s_and_saveexec_b64 s[6:7], vcc
	s_xor_b64 s[6:7], exec, s[6:7]
	s_cbranch_execnz .LBB52_3125
; %bb.1077:
	s_or_saveexec_b64 s[6:7], s[6:7]
	v_mov_b32_e32 v20, s10
	s_xor_b64 exec, exec, s[6:7]
	s_cbranch_execnz .LBB52_3128
.LBB52_1078:
	s_or_b64 exec, exec, s[6:7]
	s_and_saveexec_b64 s[6:7], s[4:5]
	s_cbranch_execz .LBB52_1080
.LBB52_1079:
	v_bfe_u32 v14, v11, 16, 3
	v_ffbh_u32_e32 v22, v14
	v_min_u32_e32 v22, 32, v22
	v_lshrrev_b32_e32 v20, 19, v11
	v_subrev_u32_e32 v23, 28, v22
	v_and_b32_e32 v20, 15, v20
	v_lshlrev_b32_sdwa v23, v23, v11 dst_sel:DWORD dst_unused:UNUSED_PAD src0_sel:DWORD src1_sel:WORD_1
	v_bfe_u32 v21, v11, 19, 4
	v_sub_u32_e32 v22, 29, v22
	v_and_b32_e32 v23, 7, v23
	v_cmp_eq_u16_e32 vcc, 0, v20
	v_cndmask_b32_e32 v14, v14, v23, vcc
	v_cndmask_b32_e32 v20, v21, v22, vcc
	v_lshlrev_b32_e32 v21, 8, v11
	v_mov_b32_e32 v22, 0x3b800000
	v_lshlrev_b32_e32 v14, 20, v14
	v_and_b32_e32 v21, 0x80000000, v21
	v_lshl_add_u32 v20, v20, 23, v22
	v_or3_b32 v20, v21, v20, v14
.LBB52_1080:
	s_or_b64 exec, exec, s[6:7]
	s_nop 0
	v_mfma_f32_16x16x4f32 a[0:3], v10, v20, a[0:3]
	s_movk_i32 s4, 0x7f
	v_cmp_gt_i16_sdwa s[6:7], v15, s4 src0_sel:BYTE_3 src1_sel:DWORD
	s_mov_b64 s[4:5], 0
                                        ; implicit-def: $sgpr10
	s_and_saveexec_b64 s[8:9], s[6:7]
	s_xor_b64 s[6:7], exec, s[8:9]
	s_cbranch_execnz .LBB52_3129
; %bb.1081:
	s_or_saveexec_b64 s[6:7], s[6:7]
	v_mov_b32_e32 v10, s10
	s_xor_b64 exec, exec, s[6:7]
	s_cbranch_execnz .LBB52_3132
.LBB52_1082:
	s_or_b64 exec, exec, s[6:7]
	s_and_saveexec_b64 s[6:7], s[4:5]
	s_cbranch_execz .LBB52_1084
.LBB52_1083:
	v_bfe_u32 v10, v15, 24, 3
	v_ffbh_u32_e32 v22, v10
	v_min_u32_e32 v22, 32, v22
	v_lshrrev_b32_e32 v20, 27, v15
	v_subrev_u32_e32 v23, 28, v22
	v_and_b32_e32 v14, 0x80000000, v15
	v_and_b32_e32 v20, 15, v20
	v_bfe_u32 v21, v15, 27, 4
	v_lshlrev_b32_sdwa v15, v23, v15 dst_sel:DWORD dst_unused:UNUSED_PAD src0_sel:DWORD src1_sel:BYTE_3
	v_sub_u32_e32 v22, 29, v22
	v_and_b32_e32 v15, 7, v15
	v_cmp_eq_u16_e32 vcc, 0, v20
	v_cndmask_b32_e32 v10, v10, v15, vcc
	v_cndmask_b32_e32 v15, v21, v22, vcc
	v_mov_b32_e32 v20, 0x3b800000
	v_lshlrev_b32_e32 v10, 20, v10
	v_lshl_add_u32 v15, v15, 23, v20
	v_or3_b32 v10, v14, v15, v10
.LBB52_1084:
	s_or_b64 exec, exec, s[6:7]
	s_movk_i32 s4, 0x7f
	v_cmp_gt_i16_sdwa s[6:7], v11, s4 src0_sel:BYTE_3 src1_sel:DWORD
	s_mov_b64 s[4:5], 0
                                        ; implicit-def: $sgpr10
	s_and_saveexec_b64 s[8:9], s[6:7]
	s_xor_b64 s[6:7], exec, s[8:9]
	s_cbranch_execnz .LBB52_3133
; %bb.1085:
	s_or_saveexec_b64 s[6:7], s[6:7]
	v_mov_b32_e32 v14, s10
	s_xor_b64 exec, exec, s[6:7]
	s_cbranch_execnz .LBB52_3136
.LBB52_1086:
	s_or_b64 exec, exec, s[6:7]
	s_and_saveexec_b64 s[6:7], s[4:5]
	s_cbranch_execz .LBB52_1088
.LBB52_1087:
	v_bfe_u32 v14, v11, 24, 3
	v_ffbh_u32_e32 v22, v14
	v_min_u32_e32 v22, 32, v22
	v_lshrrev_b32_e32 v20, 27, v11
	v_subrev_u32_e32 v23, 28, v22
	v_and_b32_e32 v15, 0x80000000, v11
	v_and_b32_e32 v20, 15, v20
	v_bfe_u32 v21, v11, 27, 4
	v_lshlrev_b32_sdwa v11, v23, v11 dst_sel:DWORD dst_unused:UNUSED_PAD src0_sel:DWORD src1_sel:BYTE_3
	v_sub_u32_e32 v22, 29, v22
	v_and_b32_e32 v11, 7, v11
	v_cmp_eq_u16_e32 vcc, 0, v20
	v_cndmask_b32_e32 v11, v14, v11, vcc
	v_cndmask_b32_e32 v14, v21, v22, vcc
	v_mov_b32_e32 v20, 0x3b800000
	v_lshlrev_b32_e32 v11, 20, v11
	v_lshl_add_u32 v14, v14, 23, v20
	v_or3_b32 v14, v15, v14, v11
.LBB52_1088:
	s_or_b64 exec, exec, s[6:7]
	s_nop 0
	v_mfma_f32_16x16x4f32 a[0:3], v10, v14, a[0:3]
	s_movk_i32 s4, 0x7f
	v_cmp_gt_i16_sdwa s[6:7], v16, s4 src0_sel:BYTE_0 src1_sel:DWORD
	s_mov_b64 s[4:5], 0
                                        ; implicit-def: $sgpr10
	s_and_saveexec_b64 s[8:9], s[6:7]
	s_xor_b64 s[6:7], exec, s[8:9]
	s_cbranch_execnz .LBB52_3137
; %bb.1089:
	s_or_saveexec_b64 s[6:7], s[6:7]
	v_mov_b32_e32 v10, s10
	s_xor_b64 exec, exec, s[6:7]
	s_cbranch_execnz .LBB52_3140
.LBB52_1090:
	s_or_b64 exec, exec, s[6:7]
	s_and_saveexec_b64 s[6:7], s[4:5]
	s_cbranch_execz .LBB52_1092
.LBB52_1091:
	v_and_b32_e32 v10, 7, v16
	v_ffbh_u32_e32 v14, v10
	v_min_u32_e32 v14, 32, v14
	v_lshrrev_b16_e32 v11, 3, v16
	v_subrev_u32_e32 v15, 28, v14
	v_and_b32_e32 v11, 15, v11
	v_lshlrev_b32_e32 v15, v15, v16
	v_sub_u32_e32 v14, 29, v14
	v_and_b32_e32 v15, 7, v15
	v_cmp_eq_u16_e32 vcc, 0, v11
	v_cndmask_b32_e32 v10, v10, v15, vcc
	v_cndmask_b32_e32 v11, v11, v14, vcc
	v_lshlrev_b32_e32 v14, 24, v16
	v_mov_b32_e32 v15, 0x3b800000
	v_lshlrev_b32_e32 v10, 20, v10
	v_and_b32_e32 v14, 0x80000000, v14
	v_lshl_add_u32 v11, v11, 23, v15
	v_or3_b32 v10, v14, v11, v10
.LBB52_1092:
	s_or_b64 exec, exec, s[6:7]
	s_movk_i32 s4, 0x7f
	v_cmp_gt_i16_sdwa s[6:7], v12, s4 src0_sel:BYTE_0 src1_sel:DWORD
	s_mov_b64 s[4:5], 0
                                        ; implicit-def: $sgpr10
	s_and_saveexec_b64 s[8:9], s[6:7]
	s_xor_b64 s[6:7], exec, s[8:9]
	s_cbranch_execnz .LBB52_3141
; %bb.1093:
	s_or_saveexec_b64 s[6:7], s[6:7]
	v_mov_b32_e32 v11, s10
	s_xor_b64 exec, exec, s[6:7]
	s_cbranch_execnz .LBB52_3144
.LBB52_1094:
	s_or_b64 exec, exec, s[6:7]
	s_and_saveexec_b64 s[6:7], s[4:5]
	s_cbranch_execz .LBB52_1096
.LBB52_1095:
	v_and_b32_e32 v11, 7, v12
	v_ffbh_u32_e32 v15, v11
	v_min_u32_e32 v15, 32, v15
	v_lshrrev_b16_e32 v14, 3, v12
	v_subrev_u32_e32 v20, 28, v15
	v_and_b32_e32 v14, 15, v14
	v_lshlrev_b32_e32 v20, v20, v12
	v_sub_u32_e32 v15, 29, v15
	v_and_b32_e32 v20, 7, v20
	v_cmp_eq_u16_e32 vcc, 0, v14
	v_cndmask_b32_e32 v11, v11, v20, vcc
	v_cndmask_b32_e32 v14, v14, v15, vcc
	v_lshlrev_b32_e32 v15, 24, v12
	v_mov_b32_e32 v20, 0x3b800000
	v_lshlrev_b32_e32 v11, 20, v11
	v_and_b32_e32 v15, 0x80000000, v15
	v_lshl_add_u32 v14, v14, 23, v20
	v_or3_b32 v11, v15, v14, v11
.LBB52_1096:
	s_or_b64 exec, exec, s[6:7]
	s_nop 0
	v_mfma_f32_16x16x4f32 a[0:3], v10, v11, a[0:3]
	v_lshrrev_b32_e32 v11, 8, v16
	s_movk_i32 s4, 0x7f
	v_cmp_gt_i16_sdwa s[6:7], v11, s4 src0_sel:BYTE_0 src1_sel:DWORD
	s_mov_b64 s[4:5], 0
                                        ; implicit-def: $sgpr10
	s_and_saveexec_b64 s[8:9], s[6:7]
	s_xor_b64 s[6:7], exec, s[8:9]
	s_cbranch_execnz .LBB52_3145
; %bb.1097:
	s_or_saveexec_b64 s[6:7], s[6:7]
	v_mov_b32_e32 v10, s10
	s_xor_b64 exec, exec, s[6:7]
	s_cbranch_execnz .LBB52_3148
.LBB52_1098:
	s_or_b64 exec, exec, s[6:7]
	s_and_saveexec_b64 s[6:7], s[4:5]
	s_cbranch_execz .LBB52_1100
.LBB52_1099:
	v_bfe_u32 v10, v16, 8, 3
	v_ffbh_u32_e32 v15, v10
	v_min_u32_e32 v15, 32, v15
	v_lshrrev_b16_e32 v14, 3, v11
	v_subrev_u32_e32 v20, 28, v15
	v_and_b32_e32 v14, 15, v14
	v_lshlrev_b32_e32 v11, v20, v11
	v_sub_u32_e32 v15, 29, v15
	v_and_b32_e32 v11, 7, v11
	v_cmp_eq_u16_e32 vcc, 0, v14
	v_cndmask_b32_e32 v10, v10, v11, vcc
	v_cndmask_b32_e32 v11, v14, v15, vcc
	v_lshlrev_b32_e32 v14, 16, v16
	v_mov_b32_e32 v15, 0x3b800000
	v_lshlrev_b32_e32 v10, 20, v10
	v_and_b32_e32 v14, 0x80000000, v14
	v_lshl_add_u32 v11, v11, 23, v15
	v_or3_b32 v10, v14, v11, v10
.LBB52_1100:
	s_or_b64 exec, exec, s[6:7]
	v_lshrrev_b32_e32 v11, 8, v12
	s_movk_i32 s4, 0x7f
	v_cmp_gt_i16_sdwa s[6:7], v11, s4 src0_sel:BYTE_0 src1_sel:DWORD
	s_mov_b64 s[4:5], 0
                                        ; implicit-def: $sgpr10
	s_and_saveexec_b64 s[8:9], s[6:7]
	s_xor_b64 s[6:7], exec, s[8:9]
	s_cbranch_execnz .LBB52_3149
; %bb.1101:
	s_or_saveexec_b64 s[6:7], s[6:7]
	v_mov_b32_e32 v14, s10
	s_xor_b64 exec, exec, s[6:7]
	s_cbranch_execnz .LBB52_3152
.LBB52_1102:
	s_or_b64 exec, exec, s[6:7]
	s_and_saveexec_b64 s[6:7], s[4:5]
	s_cbranch_execz .LBB52_1104
.LBB52_1103:
	v_bfe_u32 v14, v12, 8, 3
	v_ffbh_u32_e32 v20, v14
	v_min_u32_e32 v20, 32, v20
	v_lshrrev_b16_e32 v15, 3, v11
	v_subrev_u32_e32 v21, 28, v20
	v_and_b32_e32 v15, 15, v15
	v_lshlrev_b32_e32 v11, v21, v11
	v_sub_u32_e32 v20, 29, v20
	v_and_b32_e32 v11, 7, v11
	v_cmp_eq_u16_e32 vcc, 0, v15
	v_cndmask_b32_e32 v11, v14, v11, vcc
	v_cndmask_b32_e32 v14, v15, v20, vcc
	v_lshlrev_b32_e32 v15, 16, v12
	v_mov_b32_e32 v20, 0x3b800000
	v_lshlrev_b32_e32 v11, 20, v11
	v_and_b32_e32 v15, 0x80000000, v15
	v_lshl_add_u32 v14, v14, 23, v20
	v_or3_b32 v14, v15, v14, v11
.LBB52_1104:
	s_or_b64 exec, exec, s[6:7]
	s_nop 0
	v_mfma_f32_16x16x4f32 a[0:3], v10, v14, a[0:3]
	s_movk_i32 s4, 0xff
	v_and_b32_sdwa v11, v16, s4 dst_sel:DWORD dst_unused:UNUSED_PAD src0_sel:WORD_1 src1_sel:DWORD
	s_movk_i32 s4, 0x7f
	v_cmp_lt_i16_e32 vcc, s4, v11
	s_mov_b64 s[4:5], 0
                                        ; implicit-def: $sgpr10
	s_and_saveexec_b64 s[6:7], vcc
	s_xor_b64 s[6:7], exec, s[6:7]
	s_cbranch_execnz .LBB52_3153
; %bb.1105:
	s_or_saveexec_b64 s[6:7], s[6:7]
	v_mov_b32_e32 v10, s10
	s_xor_b64 exec, exec, s[6:7]
	s_cbranch_execnz .LBB52_3156
.LBB52_1106:
	s_or_b64 exec, exec, s[6:7]
	s_and_saveexec_b64 s[6:7], s[4:5]
	s_cbranch_execz .LBB52_1108
.LBB52_1107:
	v_bfe_u32 v10, v16, 16, 3
	v_ffbh_u32_e32 v15, v10
	v_min_u32_e32 v15, 32, v15
	v_lshrrev_b32_e32 v11, 19, v16
	v_subrev_u32_e32 v20, 28, v15
	v_and_b32_e32 v11, 15, v11
	v_lshlrev_b32_sdwa v20, v20, v16 dst_sel:DWORD dst_unused:UNUSED_PAD src0_sel:DWORD src1_sel:WORD_1
	v_bfe_u32 v14, v16, 19, 4
	v_sub_u32_e32 v15, 29, v15
	v_and_b32_e32 v20, 7, v20
	v_cmp_eq_u16_e32 vcc, 0, v11
	v_cndmask_b32_e32 v10, v10, v20, vcc
	v_cndmask_b32_e32 v11, v14, v15, vcc
	v_lshlrev_b32_e32 v14, 8, v16
	v_mov_b32_e32 v15, 0x3b800000
	v_lshlrev_b32_e32 v10, 20, v10
	v_and_b32_e32 v14, 0x80000000, v14
	v_lshl_add_u32 v11, v11, 23, v15
	v_or3_b32 v10, v14, v11, v10
.LBB52_1108:
	s_or_b64 exec, exec, s[6:7]
	s_movk_i32 s4, 0xff
	v_and_b32_sdwa v11, v12, s4 dst_sel:DWORD dst_unused:UNUSED_PAD src0_sel:WORD_1 src1_sel:DWORD
	s_movk_i32 s4, 0x7f
	v_cmp_lt_i16_e32 vcc, s4, v11
	s_mov_b64 s[4:5], 0
                                        ; implicit-def: $sgpr10
	s_and_saveexec_b64 s[6:7], vcc
	s_xor_b64 s[6:7], exec, s[6:7]
	s_cbranch_execnz .LBB52_3157
; %bb.1109:
	s_or_saveexec_b64 s[6:7], s[6:7]
	v_mov_b32_e32 v14, s10
	s_xor_b64 exec, exec, s[6:7]
	s_cbranch_execnz .LBB52_3160
.LBB52_1110:
	s_or_b64 exec, exec, s[6:7]
	s_and_saveexec_b64 s[6:7], s[4:5]
	s_cbranch_execz .LBB52_1112
.LBB52_1111:
	v_bfe_u32 v11, v12, 16, 3
	v_ffbh_u32_e32 v20, v11
	v_min_u32_e32 v20, 32, v20
	v_lshrrev_b32_e32 v14, 19, v12
	v_subrev_u32_e32 v21, 28, v20
	v_and_b32_e32 v14, 15, v14
	v_lshlrev_b32_sdwa v21, v21, v12 dst_sel:DWORD dst_unused:UNUSED_PAD src0_sel:DWORD src1_sel:WORD_1
	v_bfe_u32 v15, v12, 19, 4
	v_sub_u32_e32 v20, 29, v20
	v_and_b32_e32 v21, 7, v21
	v_cmp_eq_u16_e32 vcc, 0, v14
	v_cndmask_b32_e32 v11, v11, v21, vcc
	v_cndmask_b32_e32 v14, v15, v20, vcc
	v_lshlrev_b32_e32 v15, 8, v12
	v_mov_b32_e32 v20, 0x3b800000
	v_lshlrev_b32_e32 v11, 20, v11
	v_and_b32_e32 v15, 0x80000000, v15
	v_lshl_add_u32 v14, v14, 23, v20
	v_or3_b32 v14, v15, v14, v11
.LBB52_1112:
	s_or_b64 exec, exec, s[6:7]
	s_nop 0
	v_mfma_f32_16x16x4f32 a[0:3], v10, v14, a[0:3]
	s_movk_i32 s4, 0x7f
	v_cmp_gt_i16_sdwa s[6:7], v16, s4 src0_sel:BYTE_3 src1_sel:DWORD
	s_mov_b64 s[4:5], 0
                                        ; implicit-def: $sgpr10
	s_and_saveexec_b64 s[8:9], s[6:7]
	s_xor_b64 s[6:7], exec, s[8:9]
	s_cbranch_execnz .LBB52_3161
; %bb.1113:
	s_or_saveexec_b64 s[6:7], s[6:7]
	v_mov_b32_e32 v10, s10
	s_xor_b64 exec, exec, s[6:7]
	s_cbranch_execnz .LBB52_3164
.LBB52_1114:
	s_or_b64 exec, exec, s[6:7]
	s_and_saveexec_b64 s[6:7], s[4:5]
	s_cbranch_execz .LBB52_1116
.LBB52_1115:
	v_bfe_u32 v10, v16, 24, 3
	v_ffbh_u32_e32 v20, v10
	v_min_u32_e32 v20, 32, v20
	v_lshrrev_b32_e32 v14, 27, v16
	v_subrev_u32_e32 v21, 28, v20
	v_and_b32_e32 v11, 0x80000000, v16
	v_and_b32_e32 v14, 15, v14
	v_bfe_u32 v15, v16, 27, 4
	v_lshlrev_b32_sdwa v16, v21, v16 dst_sel:DWORD dst_unused:UNUSED_PAD src0_sel:DWORD src1_sel:BYTE_3
	v_sub_u32_e32 v20, 29, v20
	v_and_b32_e32 v16, 7, v16
	v_cmp_eq_u16_e32 vcc, 0, v14
	v_cndmask_b32_e32 v10, v10, v16, vcc
	v_cndmask_b32_e32 v14, v15, v20, vcc
	v_mov_b32_e32 v15, 0x3b800000
	v_lshlrev_b32_e32 v10, 20, v10
	v_lshl_add_u32 v14, v14, 23, v15
	v_or3_b32 v10, v11, v14, v10
.LBB52_1116:
	s_or_b64 exec, exec, s[6:7]
	s_movk_i32 s4, 0x7f
	v_cmp_gt_i16_sdwa s[6:7], v12, s4 src0_sel:BYTE_3 src1_sel:DWORD
	s_mov_b64 s[4:5], 0
                                        ; implicit-def: $sgpr10
	s_and_saveexec_b64 s[8:9], s[6:7]
	s_xor_b64 s[6:7], exec, s[8:9]
	s_cbranch_execnz .LBB52_3165
; %bb.1117:
	s_or_saveexec_b64 s[6:7], s[6:7]
	v_mov_b32_e32 v11, s10
	s_xor_b64 exec, exec, s[6:7]
	s_cbranch_execnz .LBB52_3168
.LBB52_1118:
	s_or_b64 exec, exec, s[6:7]
	s_and_saveexec_b64 s[6:7], s[4:5]
	s_cbranch_execz .LBB52_1120
.LBB52_1119:
	v_bfe_u32 v11, v12, 24, 3
	v_ffbh_u32_e32 v20, v11
	v_min_u32_e32 v20, 32, v20
	v_lshrrev_b32_e32 v15, 27, v12
	v_subrev_u32_e32 v21, 28, v20
	v_and_b32_e32 v14, 0x80000000, v12
	v_and_b32_e32 v15, 15, v15
	v_bfe_u32 v16, v12, 27, 4
	v_lshlrev_b32_sdwa v12, v21, v12 dst_sel:DWORD dst_unused:UNUSED_PAD src0_sel:DWORD src1_sel:BYTE_3
	v_sub_u32_e32 v20, 29, v20
	v_and_b32_e32 v12, 7, v12
	v_cmp_eq_u16_e32 vcc, 0, v15
	v_cndmask_b32_e32 v11, v11, v12, vcc
	v_cndmask_b32_e32 v12, v16, v20, vcc
	v_mov_b32_e32 v15, 0x3b800000
	v_lshlrev_b32_e32 v11, 20, v11
	v_lshl_add_u32 v12, v12, 23, v15
	v_or3_b32 v11, v14, v12, v11
.LBB52_1120:
	s_or_b64 exec, exec, s[6:7]
	s_nop 0
	v_mfma_f32_16x16x4f32 a[0:3], v10, v11, a[0:3]
	s_movk_i32 s4, 0x7f
	v_cmp_gt_i16_sdwa s[6:7], v17, s4 src0_sel:BYTE_0 src1_sel:DWORD
	s_mov_b64 s[4:5], 0
                                        ; implicit-def: $sgpr10
	s_and_saveexec_b64 s[8:9], s[6:7]
	s_xor_b64 s[6:7], exec, s[8:9]
	s_cbranch_execnz .LBB52_3169
; %bb.1121:
	s_or_saveexec_b64 s[6:7], s[6:7]
	v_mov_b32_e32 v10, s10
	s_xor_b64 exec, exec, s[6:7]
	s_cbranch_execnz .LBB52_3172
.LBB52_1122:
	s_or_b64 exec, exec, s[6:7]
	s_and_saveexec_b64 s[6:7], s[4:5]
	s_cbranch_execz .LBB52_1124
.LBB52_1123:
	v_and_b32_e32 v10, 7, v17
	v_ffbh_u32_e32 v12, v10
	v_min_u32_e32 v12, 32, v12
	v_lshrrev_b16_e32 v11, 3, v17
	v_subrev_u32_e32 v14, 28, v12
	v_and_b32_e32 v11, 15, v11
	v_lshlrev_b32_e32 v14, v14, v17
	v_sub_u32_e32 v12, 29, v12
	v_and_b32_e32 v14, 7, v14
	v_cmp_eq_u16_e32 vcc, 0, v11
	v_cndmask_b32_e32 v10, v10, v14, vcc
	v_cndmask_b32_e32 v11, v11, v12, vcc
	v_lshlrev_b32_e32 v12, 24, v17
	v_mov_b32_e32 v14, 0x3b800000
	v_lshlrev_b32_e32 v10, 20, v10
	v_and_b32_e32 v12, 0x80000000, v12
	v_lshl_add_u32 v11, v11, 23, v14
	v_or3_b32 v10, v12, v11, v10
.LBB52_1124:
	s_or_b64 exec, exec, s[6:7]
	s_movk_i32 s4, 0x7f
	v_cmp_gt_i16_sdwa s[6:7], v13, s4 src0_sel:BYTE_0 src1_sel:DWORD
	s_mov_b64 s[4:5], 0
                                        ; implicit-def: $sgpr10
	s_and_saveexec_b64 s[8:9], s[6:7]
	s_xor_b64 s[6:7], exec, s[8:9]
	s_cbranch_execnz .LBB52_3173
; %bb.1125:
	s_or_saveexec_b64 s[6:7], s[6:7]
	v_mov_b32_e32 v11, s10
	s_xor_b64 exec, exec, s[6:7]
	s_cbranch_execnz .LBB52_3176
.LBB52_1126:
	s_or_b64 exec, exec, s[6:7]
	s_and_saveexec_b64 s[6:7], s[4:5]
	s_cbranch_execz .LBB52_1128
.LBB52_1127:
	v_and_b32_e32 v11, 7, v13
	v_ffbh_u32_e32 v14, v11
	v_min_u32_e32 v14, 32, v14
	v_lshrrev_b16_e32 v12, 3, v13
	v_subrev_u32_e32 v15, 28, v14
	v_and_b32_e32 v12, 15, v12
	v_lshlrev_b32_e32 v15, v15, v13
	v_sub_u32_e32 v14, 29, v14
	v_and_b32_e32 v15, 7, v15
	v_cmp_eq_u16_e32 vcc, 0, v12
	v_cndmask_b32_e32 v11, v11, v15, vcc
	v_cndmask_b32_e32 v12, v12, v14, vcc
	v_lshlrev_b32_e32 v14, 24, v13
	v_mov_b32_e32 v15, 0x3b800000
	v_lshlrev_b32_e32 v11, 20, v11
	v_and_b32_e32 v14, 0x80000000, v14
	v_lshl_add_u32 v12, v12, 23, v15
	v_or3_b32 v11, v14, v12, v11
.LBB52_1128:
	s_or_b64 exec, exec, s[6:7]
	s_nop 0
	v_mfma_f32_16x16x4f32 a[0:3], v10, v11, a[0:3]
	v_lshrrev_b32_e32 v11, 8, v17
	s_movk_i32 s4, 0x7f
	v_cmp_gt_i16_sdwa s[6:7], v11, s4 src0_sel:BYTE_0 src1_sel:DWORD
	s_mov_b64 s[4:5], 0
                                        ; implicit-def: $sgpr10
	s_and_saveexec_b64 s[8:9], s[6:7]
	s_xor_b64 s[6:7], exec, s[8:9]
	s_cbranch_execnz .LBB52_3177
; %bb.1129:
	s_or_saveexec_b64 s[6:7], s[6:7]
	v_mov_b32_e32 v10, s10
	s_xor_b64 exec, exec, s[6:7]
	s_cbranch_execnz .LBB52_3180
.LBB52_1130:
	s_or_b64 exec, exec, s[6:7]
	s_and_saveexec_b64 s[6:7], s[4:5]
	s_cbranch_execz .LBB52_1132
.LBB52_1131:
	v_bfe_u32 v10, v17, 8, 3
	v_ffbh_u32_e32 v14, v10
	v_min_u32_e32 v14, 32, v14
	v_lshrrev_b16_e32 v12, 3, v11
	v_subrev_u32_e32 v15, 28, v14
	v_and_b32_e32 v12, 15, v12
	v_lshlrev_b32_e32 v11, v15, v11
	v_sub_u32_e32 v14, 29, v14
	v_and_b32_e32 v11, 7, v11
	v_cmp_eq_u16_e32 vcc, 0, v12
	v_cndmask_b32_e32 v10, v10, v11, vcc
	v_cndmask_b32_e32 v11, v12, v14, vcc
	v_lshlrev_b32_e32 v12, 16, v17
	v_mov_b32_e32 v14, 0x3b800000
	v_lshlrev_b32_e32 v10, 20, v10
	v_and_b32_e32 v12, 0x80000000, v12
	v_lshl_add_u32 v11, v11, 23, v14
	v_or3_b32 v10, v12, v11, v10
.LBB52_1132:
	s_or_b64 exec, exec, s[6:7]
	v_lshrrev_b32_e32 v11, 8, v13
	s_movk_i32 s4, 0x7f
	v_cmp_gt_i16_sdwa s[6:7], v11, s4 src0_sel:BYTE_0 src1_sel:DWORD
	s_mov_b64 s[4:5], 0
                                        ; implicit-def: $sgpr10
	s_and_saveexec_b64 s[8:9], s[6:7]
	s_xor_b64 s[6:7], exec, s[8:9]
	s_cbranch_execnz .LBB52_3181
; %bb.1133:
	s_or_saveexec_b64 s[6:7], s[6:7]
	v_mov_b32_e32 v12, s10
	s_xor_b64 exec, exec, s[6:7]
	s_cbranch_execnz .LBB52_3184
.LBB52_1134:
	s_or_b64 exec, exec, s[6:7]
	s_and_saveexec_b64 s[6:7], s[4:5]
	s_cbranch_execz .LBB52_1136
.LBB52_1135:
	v_bfe_u32 v12, v13, 8, 3
	v_ffbh_u32_e32 v15, v12
	v_min_u32_e32 v15, 32, v15
	v_lshrrev_b16_e32 v14, 3, v11
	v_subrev_u32_e32 v16, 28, v15
	v_and_b32_e32 v14, 15, v14
	v_lshlrev_b32_e32 v11, v16, v11
	v_sub_u32_e32 v15, 29, v15
	v_and_b32_e32 v11, 7, v11
	v_cmp_eq_u16_e32 vcc, 0, v14
	v_cndmask_b32_e32 v11, v12, v11, vcc
	v_cndmask_b32_e32 v12, v14, v15, vcc
	v_lshlrev_b32_e32 v14, 16, v13
	v_mov_b32_e32 v15, 0x3b800000
	v_lshlrev_b32_e32 v11, 20, v11
	v_and_b32_e32 v14, 0x80000000, v14
	v_lshl_add_u32 v12, v12, 23, v15
	v_or3_b32 v12, v14, v12, v11
.LBB52_1136:
	s_or_b64 exec, exec, s[6:7]
	s_nop 0
	v_mfma_f32_16x16x4f32 a[0:3], v10, v12, a[0:3]
	s_movk_i32 s4, 0xff
	v_and_b32_sdwa v11, v17, s4 dst_sel:DWORD dst_unused:UNUSED_PAD src0_sel:WORD_1 src1_sel:DWORD
	s_movk_i32 s4, 0x7f
	v_cmp_lt_i16_e32 vcc, s4, v11
	s_mov_b64 s[4:5], 0
                                        ; implicit-def: $sgpr10
	s_and_saveexec_b64 s[6:7], vcc
	s_xor_b64 s[6:7], exec, s[6:7]
	s_cbranch_execnz .LBB52_3185
; %bb.1137:
	s_or_saveexec_b64 s[6:7], s[6:7]
	v_mov_b32_e32 v10, s10
	s_xor_b64 exec, exec, s[6:7]
	s_cbranch_execnz .LBB52_3188
.LBB52_1138:
	s_or_b64 exec, exec, s[6:7]
	s_and_saveexec_b64 s[6:7], s[4:5]
	s_cbranch_execz .LBB52_1140
.LBB52_1139:
	v_bfe_u32 v10, v17, 16, 3
	v_ffbh_u32_e32 v14, v10
	v_min_u32_e32 v14, 32, v14
	v_lshrrev_b32_e32 v11, 19, v17
	v_subrev_u32_e32 v15, 28, v14
	v_and_b32_e32 v11, 15, v11
	v_lshlrev_b32_sdwa v15, v15, v17 dst_sel:DWORD dst_unused:UNUSED_PAD src0_sel:DWORD src1_sel:WORD_1
	v_bfe_u32 v12, v17, 19, 4
	v_sub_u32_e32 v14, 29, v14
	v_and_b32_e32 v15, 7, v15
	v_cmp_eq_u16_e32 vcc, 0, v11
	v_cndmask_b32_e32 v10, v10, v15, vcc
	v_cndmask_b32_e32 v11, v12, v14, vcc
	v_lshlrev_b32_e32 v12, 8, v17
	v_mov_b32_e32 v14, 0x3b800000
	v_lshlrev_b32_e32 v10, 20, v10
	v_and_b32_e32 v12, 0x80000000, v12
	v_lshl_add_u32 v11, v11, 23, v14
	v_or3_b32 v10, v12, v11, v10
.LBB52_1140:
	s_or_b64 exec, exec, s[6:7]
	s_movk_i32 s4, 0xff
	v_and_b32_sdwa v11, v13, s4 dst_sel:DWORD dst_unused:UNUSED_PAD src0_sel:WORD_1 src1_sel:DWORD
	s_movk_i32 s4, 0x7f
	v_cmp_lt_i16_e32 vcc, s4, v11
	s_mov_b64 s[4:5], 0
                                        ; implicit-def: $sgpr10
	s_and_saveexec_b64 s[6:7], vcc
	s_xor_b64 s[6:7], exec, s[6:7]
	s_cbranch_execnz .LBB52_3189
; %bb.1141:
	s_or_saveexec_b64 s[6:7], s[6:7]
	v_mov_b32_e32 v12, s10
	s_xor_b64 exec, exec, s[6:7]
	s_cbranch_execnz .LBB52_3192
.LBB52_1142:
	s_or_b64 exec, exec, s[6:7]
	s_and_saveexec_b64 s[6:7], s[4:5]
	s_cbranch_execz .LBB52_1144
.LBB52_1143:
	v_bfe_u32 v11, v13, 16, 3
	v_ffbh_u32_e32 v15, v11
	v_min_u32_e32 v15, 32, v15
	v_lshrrev_b32_e32 v12, 19, v13
	v_subrev_u32_e32 v16, 28, v15
	v_and_b32_e32 v12, 15, v12
	v_lshlrev_b32_sdwa v16, v16, v13 dst_sel:DWORD dst_unused:UNUSED_PAD src0_sel:DWORD src1_sel:WORD_1
	v_bfe_u32 v14, v13, 19, 4
	v_sub_u32_e32 v15, 29, v15
	v_and_b32_e32 v16, 7, v16
	v_cmp_eq_u16_e32 vcc, 0, v12
	v_cndmask_b32_e32 v11, v11, v16, vcc
	v_cndmask_b32_e32 v12, v14, v15, vcc
	v_lshlrev_b32_e32 v14, 8, v13
	v_mov_b32_e32 v15, 0x3b800000
	v_lshlrev_b32_e32 v11, 20, v11
	v_and_b32_e32 v14, 0x80000000, v14
	v_lshl_add_u32 v12, v12, 23, v15
	v_or3_b32 v12, v14, v12, v11
.LBB52_1144:
	s_or_b64 exec, exec, s[6:7]
	s_nop 0
	v_mfma_f32_16x16x4f32 a[0:3], v10, v12, a[0:3]
	s_movk_i32 s4, 0x7f
	v_cmp_gt_i16_sdwa s[6:7], v17, s4 src0_sel:BYTE_3 src1_sel:DWORD
	s_mov_b64 s[4:5], 0
                                        ; implicit-def: $sgpr10
	s_and_saveexec_b64 s[8:9], s[6:7]
	s_xor_b64 s[6:7], exec, s[8:9]
	s_cbranch_execnz .LBB52_3193
; %bb.1145:
	s_or_saveexec_b64 s[6:7], s[6:7]
	v_mov_b32_e32 v10, s10
	s_xor_b64 exec, exec, s[6:7]
	s_cbranch_execnz .LBB52_3196
.LBB52_1146:
	s_or_b64 exec, exec, s[6:7]
	s_and_saveexec_b64 s[6:7], s[4:5]
	s_cbranch_execz .LBB52_1148
.LBB52_1147:
	v_bfe_u32 v10, v17, 24, 3
	v_ffbh_u32_e32 v15, v10
	v_min_u32_e32 v15, 32, v15
	v_lshrrev_b32_e32 v12, 27, v17
	v_subrev_u32_e32 v16, 28, v15
	v_and_b32_e32 v12, 15, v12
	v_lshlrev_b32_sdwa v16, v16, v17 dst_sel:DWORD dst_unused:UNUSED_PAD src0_sel:DWORD src1_sel:BYTE_3
	v_bfe_u32 v14, v17, 27, 4
	v_sub_u32_e32 v15, 29, v15
	v_and_b32_e32 v16, 7, v16
	v_cmp_eq_u16_e32 vcc, 0, v12
	v_cndmask_b32_e32 v10, v10, v16, vcc
	v_cndmask_b32_e32 v12, v14, v15, vcc
	v_mov_b32_e32 v14, 0x3b800000
	v_and_b32_e32 v11, 0x80000000, v17
	v_lshlrev_b32_e32 v10, 20, v10
	v_lshl_add_u32 v12, v12, 23, v14
	v_or3_b32 v10, v11, v12, v10
.LBB52_1148:
	s_or_b64 exec, exec, s[6:7]
	s_movk_i32 s4, 0x7f
	v_cmp_gt_i16_sdwa s[6:7], v13, s4 src0_sel:BYTE_3 src1_sel:DWORD
	s_mov_b64 s[4:5], 0
                                        ; implicit-def: $sgpr10
	s_and_saveexec_b64 s[8:9], s[6:7]
	s_xor_b64 s[6:7], exec, s[8:9]
	s_cbranch_execnz .LBB52_3197
; %bb.1149:
	s_or_saveexec_b64 s[6:7], s[6:7]
	v_mov_b32_e32 v11, s10
	s_xor_b64 exec, exec, s[6:7]
	s_cbranch_execnz .LBB52_3200
.LBB52_1150:
	s_or_b64 exec, exec, s[6:7]
	s_and_saveexec_b64 s[6:7], s[4:5]
	s_cbranch_execz .LBB52_1152
.LBB52_1151:
	v_bfe_u32 v11, v13, 24, 3
	v_ffbh_u32_e32 v16, v11
	v_min_u32_e32 v16, 32, v16
	v_lshrrev_b32_e32 v14, 27, v13
	v_subrev_u32_e32 v17, 28, v16
	v_and_b32_e32 v12, 0x80000000, v13
	v_and_b32_e32 v14, 15, v14
	v_bfe_u32 v15, v13, 27, 4
	v_lshlrev_b32_sdwa v13, v17, v13 dst_sel:DWORD dst_unused:UNUSED_PAD src0_sel:DWORD src1_sel:BYTE_3
	v_sub_u32_e32 v16, 29, v16
	v_and_b32_e32 v13, 7, v13
	v_cmp_eq_u16_e32 vcc, 0, v14
	v_cndmask_b32_e32 v11, v11, v13, vcc
	v_cndmask_b32_e32 v13, v15, v16, vcc
	v_mov_b32_e32 v14, 0x3b800000
	v_lshlrev_b32_e32 v11, 20, v11
	v_lshl_add_u32 v13, v13, 23, v14
	v_or3_b32 v11, v12, v13, v11
.LBB52_1152:
	s_or_b64 exec, exec, s[6:7]
	s_nop 0
	v_mfma_f32_16x16x4f32 a[0:3], v10, v11, a[0:3]
	s_movk_i32 s4, 0x7f
	v_cmp_gt_i16_sdwa s[6:7], v6, s4 src0_sel:BYTE_0 src1_sel:DWORD
	s_mov_b64 s[4:5], 0
                                        ; implicit-def: $sgpr10
	s_and_saveexec_b64 s[8:9], s[6:7]
	s_xor_b64 s[6:7], exec, s[8:9]
	s_cbranch_execnz .LBB52_3201
; %bb.1153:
	s_or_saveexec_b64 s[6:7], s[6:7]
	v_mov_b32_e32 v10, s10
	s_xor_b64 exec, exec, s[6:7]
	s_cbranch_execnz .LBB52_3204
.LBB52_1154:
	s_or_b64 exec, exec, s[6:7]
	s_and_saveexec_b64 s[6:7], s[4:5]
	s_cbranch_execz .LBB52_1156
.LBB52_1155:
	v_and_b32_e32 v10, 7, v6
	v_ffbh_u32_e32 v12, v10
	v_min_u32_e32 v12, 32, v12
	v_lshrrev_b16_e32 v11, 3, v6
	v_subrev_u32_e32 v13, 28, v12
	v_and_b32_e32 v11, 15, v11
	v_lshlrev_b32_e32 v13, v13, v6
	v_sub_u32_e32 v12, 29, v12
	v_and_b32_e32 v13, 7, v13
	v_cmp_eq_u16_e32 vcc, 0, v11
	v_cndmask_b32_e32 v10, v10, v13, vcc
	v_cndmask_b32_e32 v11, v11, v12, vcc
	v_lshlrev_b32_e32 v12, 24, v6
	v_mov_b32_e32 v13, 0x3b800000
	v_lshlrev_b32_e32 v10, 20, v10
	v_and_b32_e32 v12, 0x80000000, v12
	v_lshl_add_u32 v11, v11, 23, v13
	v_or3_b32 v10, v12, v11, v10
.LBB52_1156:
	s_or_b64 exec, exec, s[6:7]
	s_movk_i32 s4, 0x7f
	v_cmp_gt_i16_sdwa s[6:7], v2, s4 src0_sel:BYTE_0 src1_sel:DWORD
	s_mov_b64 s[4:5], 0
                                        ; implicit-def: $sgpr10
	s_and_saveexec_b64 s[8:9], s[6:7]
	s_xor_b64 s[6:7], exec, s[8:9]
	s_cbranch_execnz .LBB52_3205
; %bb.1157:
	s_or_saveexec_b64 s[6:7], s[6:7]
	v_mov_b32_e32 v11, s10
	s_xor_b64 exec, exec, s[6:7]
	s_cbranch_execnz .LBB52_3208
.LBB52_1158:
	s_or_b64 exec, exec, s[6:7]
	s_and_saveexec_b64 s[6:7], s[4:5]
	s_cbranch_execz .LBB52_1160
.LBB52_1159:
	v_and_b32_e32 v11, 7, v2
	v_ffbh_u32_e32 v13, v11
	v_min_u32_e32 v13, 32, v13
	v_lshrrev_b16_e32 v12, 3, v2
	v_subrev_u32_e32 v14, 28, v13
	v_and_b32_e32 v12, 15, v12
	v_lshlrev_b32_e32 v14, v14, v2
	v_sub_u32_e32 v13, 29, v13
	v_and_b32_e32 v14, 7, v14
	v_cmp_eq_u16_e32 vcc, 0, v12
	v_cndmask_b32_e32 v11, v11, v14, vcc
	v_cndmask_b32_e32 v12, v12, v13, vcc
	v_lshlrev_b32_e32 v13, 24, v2
	v_mov_b32_e32 v14, 0x3b800000
	v_lshlrev_b32_e32 v11, 20, v11
	v_and_b32_e32 v13, 0x80000000, v13
	v_lshl_add_u32 v12, v12, 23, v14
	v_or3_b32 v11, v13, v12, v11
.LBB52_1160:
	s_or_b64 exec, exec, s[6:7]
	s_nop 0
	v_mfma_f32_16x16x4f32 a[0:3], v10, v11, a[0:3]
	v_lshrrev_b32_e32 v11, 8, v6
	s_movk_i32 s4, 0x7f
	v_cmp_gt_i16_sdwa s[6:7], v11, s4 src0_sel:BYTE_0 src1_sel:DWORD
	s_mov_b64 s[4:5], 0
                                        ; implicit-def: $sgpr10
	s_and_saveexec_b64 s[8:9], s[6:7]
	s_xor_b64 s[6:7], exec, s[8:9]
	s_cbranch_execnz .LBB52_3209
; %bb.1161:
	s_or_saveexec_b64 s[6:7], s[6:7]
	v_mov_b32_e32 v10, s10
	s_xor_b64 exec, exec, s[6:7]
	s_cbranch_execnz .LBB52_3212
.LBB52_1162:
	s_or_b64 exec, exec, s[6:7]
	s_and_saveexec_b64 s[6:7], s[4:5]
	s_cbranch_execz .LBB52_1164
.LBB52_1163:
	v_bfe_u32 v10, v6, 8, 3
	v_ffbh_u32_e32 v13, v10
	v_min_u32_e32 v13, 32, v13
	v_lshrrev_b16_e32 v12, 3, v11
	v_subrev_u32_e32 v14, 28, v13
	v_and_b32_e32 v12, 15, v12
	v_lshlrev_b32_e32 v11, v14, v11
	v_sub_u32_e32 v13, 29, v13
	v_and_b32_e32 v11, 7, v11
	v_cmp_eq_u16_e32 vcc, 0, v12
	v_cndmask_b32_e32 v10, v10, v11, vcc
	v_cndmask_b32_e32 v11, v12, v13, vcc
	v_lshlrev_b32_e32 v12, 16, v6
	v_mov_b32_e32 v13, 0x3b800000
	v_lshlrev_b32_e32 v10, 20, v10
	v_and_b32_e32 v12, 0x80000000, v12
	v_lshl_add_u32 v11, v11, 23, v13
	v_or3_b32 v10, v12, v11, v10
.LBB52_1164:
	s_or_b64 exec, exec, s[6:7]
	v_lshrrev_b32_e32 v11, 8, v2
	s_movk_i32 s4, 0x7f
	v_cmp_gt_i16_sdwa s[6:7], v11, s4 src0_sel:BYTE_0 src1_sel:DWORD
	s_mov_b64 s[4:5], 0
                                        ; implicit-def: $sgpr10
	s_and_saveexec_b64 s[8:9], s[6:7]
	s_xor_b64 s[6:7], exec, s[8:9]
	s_cbranch_execnz .LBB52_3213
; %bb.1165:
	s_or_saveexec_b64 s[6:7], s[6:7]
	v_mov_b32_e32 v12, s10
	s_xor_b64 exec, exec, s[6:7]
	s_cbranch_execnz .LBB52_3216
.LBB52_1166:
	s_or_b64 exec, exec, s[6:7]
	s_and_saveexec_b64 s[6:7], s[4:5]
	s_cbranch_execz .LBB52_1168
.LBB52_1167:
	v_bfe_u32 v12, v2, 8, 3
	v_ffbh_u32_e32 v14, v12
	v_min_u32_e32 v14, 32, v14
	v_lshrrev_b16_e32 v13, 3, v11
	v_subrev_u32_e32 v15, 28, v14
	v_and_b32_e32 v13, 15, v13
	v_lshlrev_b32_e32 v11, v15, v11
	v_sub_u32_e32 v14, 29, v14
	v_and_b32_e32 v11, 7, v11
	v_cmp_eq_u16_e32 vcc, 0, v13
	v_cndmask_b32_e32 v11, v12, v11, vcc
	v_cndmask_b32_e32 v12, v13, v14, vcc
	v_lshlrev_b32_e32 v13, 16, v2
	v_mov_b32_e32 v14, 0x3b800000
	v_lshlrev_b32_e32 v11, 20, v11
	v_and_b32_e32 v13, 0x80000000, v13
	v_lshl_add_u32 v12, v12, 23, v14
	v_or3_b32 v12, v13, v12, v11
.LBB52_1168:
	s_or_b64 exec, exec, s[6:7]
	s_nop 0
	v_mfma_f32_16x16x4f32 a[0:3], v10, v12, a[0:3]
	s_movk_i32 s4, 0xff
	v_and_b32_sdwa v11, v6, s4 dst_sel:DWORD dst_unused:UNUSED_PAD src0_sel:WORD_1 src1_sel:DWORD
	s_movk_i32 s4, 0x7f
	v_cmp_lt_i16_e32 vcc, s4, v11
	s_mov_b64 s[4:5], 0
                                        ; implicit-def: $sgpr10
	s_and_saveexec_b64 s[6:7], vcc
	s_xor_b64 s[6:7], exec, s[6:7]
	s_cbranch_execnz .LBB52_3217
; %bb.1169:
	s_or_saveexec_b64 s[6:7], s[6:7]
	v_mov_b32_e32 v10, s10
	s_xor_b64 exec, exec, s[6:7]
	s_cbranch_execnz .LBB52_3220
.LBB52_1170:
	s_or_b64 exec, exec, s[6:7]
	s_and_saveexec_b64 s[6:7], s[4:5]
	s_cbranch_execz .LBB52_1172
.LBB52_1171:
	v_bfe_u32 v10, v6, 16, 3
	v_ffbh_u32_e32 v13, v10
	v_min_u32_e32 v13, 32, v13
	v_lshrrev_b32_e32 v11, 19, v6
	v_subrev_u32_e32 v14, 28, v13
	v_and_b32_e32 v11, 15, v11
	v_lshlrev_b32_sdwa v14, v14, v6 dst_sel:DWORD dst_unused:UNUSED_PAD src0_sel:DWORD src1_sel:WORD_1
	v_bfe_u32 v12, v6, 19, 4
	v_sub_u32_e32 v13, 29, v13
	v_and_b32_e32 v14, 7, v14
	v_cmp_eq_u16_e32 vcc, 0, v11
	v_cndmask_b32_e32 v10, v10, v14, vcc
	v_cndmask_b32_e32 v11, v12, v13, vcc
	v_lshlrev_b32_e32 v12, 8, v6
	v_mov_b32_e32 v13, 0x3b800000
	v_lshlrev_b32_e32 v10, 20, v10
	v_and_b32_e32 v12, 0x80000000, v12
	v_lshl_add_u32 v11, v11, 23, v13
	v_or3_b32 v10, v12, v11, v10
.LBB52_1172:
	s_or_b64 exec, exec, s[6:7]
	s_movk_i32 s4, 0xff
	v_and_b32_sdwa v11, v2, s4 dst_sel:DWORD dst_unused:UNUSED_PAD src0_sel:WORD_1 src1_sel:DWORD
	s_movk_i32 s4, 0x7f
	v_cmp_lt_i16_e32 vcc, s4, v11
	s_mov_b64 s[4:5], 0
                                        ; implicit-def: $sgpr10
	s_and_saveexec_b64 s[6:7], vcc
	s_xor_b64 s[6:7], exec, s[6:7]
	s_cbranch_execnz .LBB52_3221
; %bb.1173:
	s_or_saveexec_b64 s[6:7], s[6:7]
	v_mov_b32_e32 v12, s10
	s_xor_b64 exec, exec, s[6:7]
	s_cbranch_execnz .LBB52_3224
.LBB52_1174:
	s_or_b64 exec, exec, s[6:7]
	s_and_saveexec_b64 s[6:7], s[4:5]
	s_cbranch_execz .LBB52_1176
.LBB52_1175:
	v_bfe_u32 v11, v2, 16, 3
	v_ffbh_u32_e32 v14, v11
	v_min_u32_e32 v14, 32, v14
	v_lshrrev_b32_e32 v12, 19, v2
	v_subrev_u32_e32 v15, 28, v14
	v_and_b32_e32 v12, 15, v12
	v_lshlrev_b32_sdwa v15, v15, v2 dst_sel:DWORD dst_unused:UNUSED_PAD src0_sel:DWORD src1_sel:WORD_1
	v_bfe_u32 v13, v2, 19, 4
	v_sub_u32_e32 v14, 29, v14
	v_and_b32_e32 v15, 7, v15
	v_cmp_eq_u16_e32 vcc, 0, v12
	v_cndmask_b32_e32 v11, v11, v15, vcc
	v_cndmask_b32_e32 v12, v13, v14, vcc
	v_lshlrev_b32_e32 v13, 8, v2
	v_mov_b32_e32 v14, 0x3b800000
	v_lshlrev_b32_e32 v11, 20, v11
	v_and_b32_e32 v13, 0x80000000, v13
	v_lshl_add_u32 v12, v12, 23, v14
	v_or3_b32 v12, v13, v12, v11
.LBB52_1176:
	s_or_b64 exec, exec, s[6:7]
	s_nop 0
	v_mfma_f32_16x16x4f32 a[0:3], v10, v12, a[0:3]
	s_movk_i32 s4, 0x7f
	v_cmp_gt_i16_sdwa s[6:7], v6, s4 src0_sel:BYTE_3 src1_sel:DWORD
	s_mov_b64 s[4:5], 0
                                        ; implicit-def: $sgpr10
	s_and_saveexec_b64 s[8:9], s[6:7]
	s_xor_b64 s[6:7], exec, s[8:9]
	s_cbranch_execnz .LBB52_3225
; %bb.1177:
	s_or_saveexec_b64 s[6:7], s[6:7]
	v_mov_b32_e32 v10, s10
	s_xor_b64 exec, exec, s[6:7]
	s_cbranch_execnz .LBB52_3228
.LBB52_1178:
	s_or_b64 exec, exec, s[6:7]
	s_and_saveexec_b64 s[6:7], s[4:5]
	s_cbranch_execz .LBB52_1180
.LBB52_1179:
	v_bfe_u32 v10, v6, 24, 3
	v_ffbh_u32_e32 v14, v10
	v_min_u32_e32 v14, 32, v14
	v_lshrrev_b32_e32 v12, 27, v6
	v_subrev_u32_e32 v15, 28, v14
	v_and_b32_e32 v11, 0x80000000, v6
	v_and_b32_e32 v12, 15, v12
	v_bfe_u32 v13, v6, 27, 4
	v_lshlrev_b32_sdwa v6, v15, v6 dst_sel:DWORD dst_unused:UNUSED_PAD src0_sel:DWORD src1_sel:BYTE_3
	v_sub_u32_e32 v14, 29, v14
	v_and_b32_e32 v6, 7, v6
	v_cmp_eq_u16_e32 vcc, 0, v12
	v_cndmask_b32_e32 v6, v10, v6, vcc
	v_cndmask_b32_e32 v10, v13, v14, vcc
	v_mov_b32_e32 v12, 0x3b800000
	v_lshlrev_b32_e32 v6, 20, v6
	v_lshl_add_u32 v10, v10, 23, v12
	v_or3_b32 v10, v11, v10, v6
.LBB52_1180:
	s_or_b64 exec, exec, s[6:7]
	s_movk_i32 s4, 0x7f
	v_cmp_gt_i16_sdwa s[6:7], v2, s4 src0_sel:BYTE_3 src1_sel:DWORD
	s_mov_b64 s[4:5], 0
                                        ; implicit-def: $sgpr10
	s_and_saveexec_b64 s[8:9], s[6:7]
	s_xor_b64 s[6:7], exec, s[8:9]
	s_cbranch_execnz .LBB52_3229
; %bb.1181:
	s_or_saveexec_b64 s[6:7], s[6:7]
	v_mov_b32_e32 v6, s10
	s_xor_b64 exec, exec, s[6:7]
	s_cbranch_execnz .LBB52_3232
.LBB52_1182:
	s_or_b64 exec, exec, s[6:7]
	s_and_saveexec_b64 s[6:7], s[4:5]
	s_cbranch_execz .LBB52_1184
.LBB52_1183:
	v_bfe_u32 v6, v2, 24, 3
	v_ffbh_u32_e32 v14, v6
	v_min_u32_e32 v14, 32, v14
	v_lshrrev_b32_e32 v12, 27, v2
	v_subrev_u32_e32 v15, 28, v14
	v_and_b32_e32 v11, 0x80000000, v2
	v_and_b32_e32 v12, 15, v12
	v_bfe_u32 v13, v2, 27, 4
	v_lshlrev_b32_sdwa v2, v15, v2 dst_sel:DWORD dst_unused:UNUSED_PAD src0_sel:DWORD src1_sel:BYTE_3
	v_sub_u32_e32 v14, 29, v14
	v_and_b32_e32 v2, 7, v2
	v_cmp_eq_u16_e32 vcc, 0, v12
	v_cndmask_b32_e32 v2, v6, v2, vcc
	v_cndmask_b32_e32 v6, v13, v14, vcc
	v_mov_b32_e32 v12, 0x3b800000
	v_lshlrev_b32_e32 v2, 20, v2
	v_lshl_add_u32 v6, v6, 23, v12
	v_or3_b32 v6, v11, v6, v2
.LBB52_1184:
	s_or_b64 exec, exec, s[6:7]
	s_nop 0
	v_mfma_f32_16x16x4f32 a[0:3], v10, v6, a[0:3]
	s_movk_i32 s4, 0x7f
	v_cmp_gt_i16_sdwa s[6:7], v7, s4 src0_sel:BYTE_0 src1_sel:DWORD
	s_mov_b64 s[4:5], 0
                                        ; implicit-def: $sgpr10
	s_and_saveexec_b64 s[8:9], s[6:7]
	s_xor_b64 s[6:7], exec, s[8:9]
	s_cbranch_execnz .LBB52_3233
; %bb.1185:
	s_or_saveexec_b64 s[6:7], s[6:7]
	v_mov_b32_e32 v2, s10
	s_xor_b64 exec, exec, s[6:7]
	s_cbranch_execnz .LBB52_3236
.LBB52_1186:
	s_or_b64 exec, exec, s[6:7]
	s_and_saveexec_b64 s[6:7], s[4:5]
	s_cbranch_execz .LBB52_1188
.LBB52_1187:
	v_and_b32_e32 v2, 7, v7
	v_ffbh_u32_e32 v10, v2
	v_min_u32_e32 v10, 32, v10
	v_lshrrev_b16_e32 v6, 3, v7
	v_subrev_u32_e32 v11, 28, v10
	v_and_b32_e32 v6, 15, v6
	v_lshlrev_b32_e32 v11, v11, v7
	v_sub_u32_e32 v10, 29, v10
	v_and_b32_e32 v11, 7, v11
	v_cmp_eq_u16_e32 vcc, 0, v6
	v_cndmask_b32_e32 v2, v2, v11, vcc
	v_cndmask_b32_e32 v6, v6, v10, vcc
	v_lshlrev_b32_e32 v10, 24, v7
	v_mov_b32_e32 v11, 0x3b800000
	v_lshlrev_b32_e32 v2, 20, v2
	v_and_b32_e32 v10, 0x80000000, v10
	v_lshl_add_u32 v6, v6, 23, v11
	v_or3_b32 v2, v10, v6, v2
.LBB52_1188:
	s_or_b64 exec, exec, s[6:7]
	s_movk_i32 s4, 0x7f
	v_cmp_gt_i16_sdwa s[6:7], v3, s4 src0_sel:BYTE_0 src1_sel:DWORD
	s_mov_b64 s[4:5], 0
                                        ; implicit-def: $sgpr10
	s_and_saveexec_b64 s[8:9], s[6:7]
	s_xor_b64 s[6:7], exec, s[8:9]
	s_cbranch_execnz .LBB52_3237
; %bb.1189:
	s_or_saveexec_b64 s[6:7], s[6:7]
	v_mov_b32_e32 v6, s10
	s_xor_b64 exec, exec, s[6:7]
	s_cbranch_execnz .LBB52_3240
.LBB52_1190:
	s_or_b64 exec, exec, s[6:7]
	s_and_saveexec_b64 s[6:7], s[4:5]
	s_cbranch_execz .LBB52_1192
.LBB52_1191:
	v_and_b32_e32 v6, 7, v3
	v_ffbh_u32_e32 v11, v6
	v_min_u32_e32 v11, 32, v11
	v_lshrrev_b16_e32 v10, 3, v3
	v_subrev_u32_e32 v12, 28, v11
	v_and_b32_e32 v10, 15, v10
	v_lshlrev_b32_e32 v12, v12, v3
	v_sub_u32_e32 v11, 29, v11
	v_and_b32_e32 v12, 7, v12
	v_cmp_eq_u16_e32 vcc, 0, v10
	v_cndmask_b32_e32 v6, v6, v12, vcc
	v_cndmask_b32_e32 v10, v10, v11, vcc
	v_lshlrev_b32_e32 v11, 24, v3
	v_mov_b32_e32 v12, 0x3b800000
	v_lshlrev_b32_e32 v6, 20, v6
	v_and_b32_e32 v11, 0x80000000, v11
	v_lshl_add_u32 v10, v10, 23, v12
	v_or3_b32 v6, v11, v10, v6
.LBB52_1192:
	s_or_b64 exec, exec, s[6:7]
	s_nop 0
	v_mfma_f32_16x16x4f32 a[0:3], v2, v6, a[0:3]
	v_lshrrev_b32_e32 v6, 8, v7
	s_movk_i32 s4, 0x7f
	v_cmp_gt_i16_sdwa s[6:7], v6, s4 src0_sel:BYTE_0 src1_sel:DWORD
	s_mov_b64 s[4:5], 0
                                        ; implicit-def: $sgpr10
	s_and_saveexec_b64 s[8:9], s[6:7]
	s_xor_b64 s[6:7], exec, s[8:9]
	s_cbranch_execnz .LBB52_3241
; %bb.1193:
	s_or_saveexec_b64 s[6:7], s[6:7]
	v_mov_b32_e32 v2, s10
	s_xor_b64 exec, exec, s[6:7]
	s_cbranch_execnz .LBB52_3244
.LBB52_1194:
	s_or_b64 exec, exec, s[6:7]
	s_and_saveexec_b64 s[6:7], s[4:5]
	s_cbranch_execz .LBB52_1196
.LBB52_1195:
	v_bfe_u32 v2, v7, 8, 3
	v_ffbh_u32_e32 v11, v2
	v_min_u32_e32 v11, 32, v11
	v_lshrrev_b16_e32 v10, 3, v6
	v_subrev_u32_e32 v12, 28, v11
	v_and_b32_e32 v10, 15, v10
	v_lshlrev_b32_e32 v6, v12, v6
	v_sub_u32_e32 v11, 29, v11
	v_and_b32_e32 v6, 7, v6
	v_cmp_eq_u16_e32 vcc, 0, v10
	v_cndmask_b32_e32 v2, v2, v6, vcc
	v_cndmask_b32_e32 v6, v10, v11, vcc
	v_lshlrev_b32_e32 v10, 16, v7
	v_mov_b32_e32 v11, 0x3b800000
	v_lshlrev_b32_e32 v2, 20, v2
	v_and_b32_e32 v10, 0x80000000, v10
	v_lshl_add_u32 v6, v6, 23, v11
	v_or3_b32 v2, v10, v6, v2
.LBB52_1196:
	s_or_b64 exec, exec, s[6:7]
	v_lshrrev_b32_e32 v6, 8, v3
	s_movk_i32 s4, 0x7f
	v_cmp_gt_i16_sdwa s[6:7], v6, s4 src0_sel:BYTE_0 src1_sel:DWORD
	s_mov_b64 s[4:5], 0
                                        ; implicit-def: $sgpr10
	s_and_saveexec_b64 s[8:9], s[6:7]
	s_xor_b64 s[6:7], exec, s[8:9]
	s_cbranch_execnz .LBB52_3245
; %bb.1197:
	s_or_saveexec_b64 s[6:7], s[6:7]
	v_mov_b32_e32 v10, s10
	s_xor_b64 exec, exec, s[6:7]
	s_cbranch_execnz .LBB52_3248
.LBB52_1198:
	s_or_b64 exec, exec, s[6:7]
	s_and_saveexec_b64 s[6:7], s[4:5]
	s_cbranch_execz .LBB52_1200
.LBB52_1199:
	v_bfe_u32 v10, v3, 8, 3
	v_ffbh_u32_e32 v12, v10
	v_min_u32_e32 v12, 32, v12
	v_lshrrev_b16_e32 v11, 3, v6
	v_subrev_u32_e32 v13, 28, v12
	v_and_b32_e32 v11, 15, v11
	v_lshlrev_b32_e32 v6, v13, v6
	v_sub_u32_e32 v12, 29, v12
	v_and_b32_e32 v6, 7, v6
	v_cmp_eq_u16_e32 vcc, 0, v11
	v_cndmask_b32_e32 v6, v10, v6, vcc
	v_cndmask_b32_e32 v10, v11, v12, vcc
	v_lshlrev_b32_e32 v11, 16, v3
	v_mov_b32_e32 v12, 0x3b800000
	v_lshlrev_b32_e32 v6, 20, v6
	v_and_b32_e32 v11, 0x80000000, v11
	v_lshl_add_u32 v10, v10, 23, v12
	v_or3_b32 v10, v11, v10, v6
.LBB52_1200:
	s_or_b64 exec, exec, s[6:7]
	s_nop 0
	v_mfma_f32_16x16x4f32 a[0:3], v2, v10, a[0:3]
	s_movk_i32 s4, 0xff
	v_and_b32_sdwa v6, v7, s4 dst_sel:DWORD dst_unused:UNUSED_PAD src0_sel:WORD_1 src1_sel:DWORD
	s_movk_i32 s4, 0x7f
	v_cmp_lt_i16_e32 vcc, s4, v6
	s_mov_b64 s[4:5], 0
                                        ; implicit-def: $sgpr10
	s_and_saveexec_b64 s[6:7], vcc
	s_xor_b64 s[6:7], exec, s[6:7]
	s_cbranch_execnz .LBB52_3249
; %bb.1201:
	s_or_saveexec_b64 s[6:7], s[6:7]
	v_mov_b32_e32 v2, s10
	s_xor_b64 exec, exec, s[6:7]
	s_cbranch_execnz .LBB52_3252
.LBB52_1202:
	s_or_b64 exec, exec, s[6:7]
	s_and_saveexec_b64 s[6:7], s[4:5]
	s_cbranch_execz .LBB52_1204
.LBB52_1203:
	v_bfe_u32 v2, v7, 16, 3
	v_ffbh_u32_e32 v11, v2
	v_min_u32_e32 v11, 32, v11
	v_lshrrev_b32_e32 v6, 19, v7
	v_subrev_u32_e32 v12, 28, v11
	v_and_b32_e32 v6, 15, v6
	v_lshlrev_b32_sdwa v12, v12, v7 dst_sel:DWORD dst_unused:UNUSED_PAD src0_sel:DWORD src1_sel:WORD_1
	v_bfe_u32 v10, v7, 19, 4
	v_sub_u32_e32 v11, 29, v11
	v_and_b32_e32 v12, 7, v12
	v_cmp_eq_u16_e32 vcc, 0, v6
	v_cndmask_b32_e32 v2, v2, v12, vcc
	v_cndmask_b32_e32 v6, v10, v11, vcc
	v_lshlrev_b32_e32 v10, 8, v7
	v_mov_b32_e32 v11, 0x3b800000
	v_lshlrev_b32_e32 v2, 20, v2
	v_and_b32_e32 v10, 0x80000000, v10
	v_lshl_add_u32 v6, v6, 23, v11
	v_or3_b32 v2, v10, v6, v2
.LBB52_1204:
	s_or_b64 exec, exec, s[6:7]
	s_movk_i32 s4, 0xff
	v_and_b32_sdwa v6, v3, s4 dst_sel:DWORD dst_unused:UNUSED_PAD src0_sel:WORD_1 src1_sel:DWORD
	s_movk_i32 s4, 0x7f
	v_cmp_lt_i16_e32 vcc, s4, v6
	s_mov_b64 s[4:5], 0
                                        ; implicit-def: $sgpr10
	s_and_saveexec_b64 s[6:7], vcc
	s_xor_b64 s[6:7], exec, s[6:7]
	s_cbranch_execnz .LBB52_3253
; %bb.1205:
	s_or_saveexec_b64 s[6:7], s[6:7]
	v_mov_b32_e32 v10, s10
	s_xor_b64 exec, exec, s[6:7]
	s_cbranch_execnz .LBB52_3256
.LBB52_1206:
	s_or_b64 exec, exec, s[6:7]
	s_and_saveexec_b64 s[6:7], s[4:5]
	s_cbranch_execz .LBB52_1208
.LBB52_1207:
	v_bfe_u32 v6, v3, 16, 3
	v_ffbh_u32_e32 v12, v6
	v_min_u32_e32 v12, 32, v12
	v_lshrrev_b32_e32 v10, 19, v3
	v_subrev_u32_e32 v13, 28, v12
	v_and_b32_e32 v10, 15, v10
	v_lshlrev_b32_sdwa v13, v13, v3 dst_sel:DWORD dst_unused:UNUSED_PAD src0_sel:DWORD src1_sel:WORD_1
	v_bfe_u32 v11, v3, 19, 4
	v_sub_u32_e32 v12, 29, v12
	v_and_b32_e32 v13, 7, v13
	v_cmp_eq_u16_e32 vcc, 0, v10
	v_cndmask_b32_e32 v6, v6, v13, vcc
	v_cndmask_b32_e32 v10, v11, v12, vcc
	v_lshlrev_b32_e32 v11, 8, v3
	v_mov_b32_e32 v12, 0x3b800000
	v_lshlrev_b32_e32 v6, 20, v6
	v_and_b32_e32 v11, 0x80000000, v11
	v_lshl_add_u32 v10, v10, 23, v12
	v_or3_b32 v10, v11, v10, v6
.LBB52_1208:
	s_or_b64 exec, exec, s[6:7]
	s_nop 0
	v_mfma_f32_16x16x4f32 a[0:3], v2, v10, a[0:3]
	s_movk_i32 s4, 0x7f
	v_cmp_gt_i16_sdwa s[6:7], v7, s4 src0_sel:BYTE_3 src1_sel:DWORD
	s_mov_b64 s[4:5], 0
                                        ; implicit-def: $sgpr10
	s_and_saveexec_b64 s[8:9], s[6:7]
	s_xor_b64 s[6:7], exec, s[8:9]
	s_cbranch_execnz .LBB52_3257
; %bb.1209:
	s_or_saveexec_b64 s[6:7], s[6:7]
	v_mov_b32_e32 v2, s10
	s_xor_b64 exec, exec, s[6:7]
	s_cbranch_execnz .LBB52_3260
.LBB52_1210:
	s_or_b64 exec, exec, s[6:7]
	s_and_saveexec_b64 s[6:7], s[4:5]
	s_cbranch_execz .LBB52_1212
.LBB52_1211:
	v_bfe_u32 v2, v7, 24, 3
	v_ffbh_u32_e32 v12, v2
	v_min_u32_e32 v12, 32, v12
	v_lshrrev_b32_e32 v10, 27, v7
	v_subrev_u32_e32 v13, 28, v12
	v_and_b32_e32 v6, 0x80000000, v7
	v_and_b32_e32 v10, 15, v10
	v_bfe_u32 v11, v7, 27, 4
	v_lshlrev_b32_sdwa v7, v13, v7 dst_sel:DWORD dst_unused:UNUSED_PAD src0_sel:DWORD src1_sel:BYTE_3
	v_sub_u32_e32 v12, 29, v12
	v_and_b32_e32 v7, 7, v7
	v_cmp_eq_u16_e32 vcc, 0, v10
	v_cndmask_b32_e32 v2, v2, v7, vcc
	v_cndmask_b32_e32 v7, v11, v12, vcc
	v_mov_b32_e32 v10, 0x3b800000
	v_lshlrev_b32_e32 v2, 20, v2
	v_lshl_add_u32 v7, v7, 23, v10
	v_or3_b32 v2, v6, v7, v2
.LBB52_1212:
	s_or_b64 exec, exec, s[6:7]
	s_movk_i32 s4, 0x7f
	v_cmp_gt_i16_sdwa s[6:7], v3, s4 src0_sel:BYTE_3 src1_sel:DWORD
	s_mov_b64 s[4:5], 0
                                        ; implicit-def: $sgpr10
	s_and_saveexec_b64 s[8:9], s[6:7]
	s_xor_b64 s[6:7], exec, s[8:9]
	s_cbranch_execnz .LBB52_3261
; %bb.1213:
	s_or_saveexec_b64 s[6:7], s[6:7]
	v_mov_b32_e32 v6, s10
	s_xor_b64 exec, exec, s[6:7]
	s_cbranch_execnz .LBB52_3264
.LBB52_1214:
	s_or_b64 exec, exec, s[6:7]
	s_and_saveexec_b64 s[6:7], s[4:5]
	s_cbranch_execz .LBB52_1216
.LBB52_1215:
	v_bfe_u32 v6, v3, 24, 3
	v_ffbh_u32_e32 v12, v6
	v_min_u32_e32 v12, 32, v12
	v_lshrrev_b32_e32 v10, 27, v3
	v_subrev_u32_e32 v13, 28, v12
	v_and_b32_e32 v7, 0x80000000, v3
	v_and_b32_e32 v10, 15, v10
	v_bfe_u32 v11, v3, 27, 4
	v_lshlrev_b32_sdwa v3, v13, v3 dst_sel:DWORD dst_unused:UNUSED_PAD src0_sel:DWORD src1_sel:BYTE_3
	v_sub_u32_e32 v12, 29, v12
	v_and_b32_e32 v3, 7, v3
	v_cmp_eq_u16_e32 vcc, 0, v10
	v_cndmask_b32_e32 v3, v6, v3, vcc
	v_cndmask_b32_e32 v6, v11, v12, vcc
	v_mov_b32_e32 v10, 0x3b800000
	v_lshlrev_b32_e32 v3, 20, v3
	v_lshl_add_u32 v6, v6, 23, v10
	v_or3_b32 v6, v7, v6, v3
.LBB52_1216:
	s_or_b64 exec, exec, s[6:7]
	s_nop 0
	v_mfma_f32_16x16x4f32 a[0:3], v2, v6, a[0:3]
	s_movk_i32 s4, 0x7f
	v_cmp_gt_i16_sdwa s[6:7], v8, s4 src0_sel:BYTE_0 src1_sel:DWORD
	s_mov_b64 s[4:5], 0
                                        ; implicit-def: $sgpr10
	s_and_saveexec_b64 s[8:9], s[6:7]
	s_xor_b64 s[6:7], exec, s[8:9]
	s_cbranch_execnz .LBB52_3265
; %bb.1217:
	s_or_saveexec_b64 s[6:7], s[6:7]
	v_mov_b32_e32 v2, s10
	s_xor_b64 exec, exec, s[6:7]
	s_cbranch_execnz .LBB52_3268
.LBB52_1218:
	s_or_b64 exec, exec, s[6:7]
	s_and_saveexec_b64 s[6:7], s[4:5]
	s_cbranch_execz .LBB52_1220
.LBB52_1219:
	v_and_b32_e32 v2, 7, v8
	v_ffbh_u32_e32 v6, v2
	v_min_u32_e32 v6, 32, v6
	v_lshrrev_b16_e32 v3, 3, v8
	v_subrev_u32_e32 v7, 28, v6
	v_and_b32_e32 v3, 15, v3
	v_lshlrev_b32_e32 v7, v7, v8
	v_sub_u32_e32 v6, 29, v6
	v_and_b32_e32 v7, 7, v7
	v_cmp_eq_u16_e32 vcc, 0, v3
	v_cndmask_b32_e32 v2, v2, v7, vcc
	v_cndmask_b32_e32 v3, v3, v6, vcc
	v_lshlrev_b32_e32 v6, 24, v8
	v_mov_b32_e32 v7, 0x3b800000
	v_lshlrev_b32_e32 v2, 20, v2
	v_and_b32_e32 v6, 0x80000000, v6
	v_lshl_add_u32 v3, v3, 23, v7
	v_or3_b32 v2, v6, v3, v2
.LBB52_1220:
	s_or_b64 exec, exec, s[6:7]
	s_movk_i32 s4, 0x7f
	v_cmp_gt_i16_sdwa s[6:7], v4, s4 src0_sel:BYTE_0 src1_sel:DWORD
	s_mov_b64 s[4:5], 0
                                        ; implicit-def: $sgpr10
	s_and_saveexec_b64 s[8:9], s[6:7]
	s_xor_b64 s[6:7], exec, s[8:9]
	s_cbranch_execnz .LBB52_3269
; %bb.1221:
	s_or_saveexec_b64 s[6:7], s[6:7]
	v_mov_b32_e32 v3, s10
	s_xor_b64 exec, exec, s[6:7]
	s_cbranch_execnz .LBB52_3272
.LBB52_1222:
	s_or_b64 exec, exec, s[6:7]
	s_and_saveexec_b64 s[6:7], s[4:5]
	s_cbranch_execz .LBB52_1224
.LBB52_1223:
	v_and_b32_e32 v3, 7, v4
	v_ffbh_u32_e32 v7, v3
	v_min_u32_e32 v7, 32, v7
	v_lshrrev_b16_e32 v6, 3, v4
	v_subrev_u32_e32 v10, 28, v7
	v_and_b32_e32 v6, 15, v6
	v_lshlrev_b32_e32 v10, v10, v4
	v_sub_u32_e32 v7, 29, v7
	v_and_b32_e32 v10, 7, v10
	v_cmp_eq_u16_e32 vcc, 0, v6
	v_cndmask_b32_e32 v3, v3, v10, vcc
	v_cndmask_b32_e32 v6, v6, v7, vcc
	v_lshlrev_b32_e32 v7, 24, v4
	v_mov_b32_e32 v10, 0x3b800000
	v_lshlrev_b32_e32 v3, 20, v3
	v_and_b32_e32 v7, 0x80000000, v7
	v_lshl_add_u32 v6, v6, 23, v10
	v_or3_b32 v3, v7, v6, v3
.LBB52_1224:
	s_or_b64 exec, exec, s[6:7]
	s_nop 0
	v_mfma_f32_16x16x4f32 a[0:3], v2, v3, a[0:3]
	v_lshrrev_b32_e32 v3, 8, v8
	s_movk_i32 s4, 0x7f
	v_cmp_gt_i16_sdwa s[6:7], v3, s4 src0_sel:BYTE_0 src1_sel:DWORD
	s_mov_b64 s[4:5], 0
                                        ; implicit-def: $sgpr10
	s_and_saveexec_b64 s[8:9], s[6:7]
	s_xor_b64 s[6:7], exec, s[8:9]
	s_cbranch_execnz .LBB52_3273
; %bb.1225:
	s_or_saveexec_b64 s[6:7], s[6:7]
	v_mov_b32_e32 v2, s10
	s_xor_b64 exec, exec, s[6:7]
	s_cbranch_execnz .LBB52_3276
.LBB52_1226:
	s_or_b64 exec, exec, s[6:7]
	s_and_saveexec_b64 s[6:7], s[4:5]
	s_cbranch_execz .LBB52_1228
.LBB52_1227:
	v_bfe_u32 v2, v8, 8, 3
	v_ffbh_u32_e32 v7, v2
	v_min_u32_e32 v7, 32, v7
	v_lshrrev_b16_e32 v6, 3, v3
	v_subrev_u32_e32 v10, 28, v7
	v_and_b32_e32 v6, 15, v6
	v_lshlrev_b32_e32 v3, v10, v3
	v_sub_u32_e32 v7, 29, v7
	v_and_b32_e32 v3, 7, v3
	v_cmp_eq_u16_e32 vcc, 0, v6
	v_cndmask_b32_e32 v2, v2, v3, vcc
	v_cndmask_b32_e32 v3, v6, v7, vcc
	v_lshlrev_b32_e32 v6, 16, v8
	v_mov_b32_e32 v7, 0x3b800000
	v_lshlrev_b32_e32 v2, 20, v2
	v_and_b32_e32 v6, 0x80000000, v6
	v_lshl_add_u32 v3, v3, 23, v7
	v_or3_b32 v2, v6, v3, v2
.LBB52_1228:
	s_or_b64 exec, exec, s[6:7]
	v_lshrrev_b32_e32 v3, 8, v4
	s_movk_i32 s4, 0x7f
	v_cmp_gt_i16_sdwa s[6:7], v3, s4 src0_sel:BYTE_0 src1_sel:DWORD
	s_mov_b64 s[4:5], 0
                                        ; implicit-def: $sgpr10
	s_and_saveexec_b64 s[8:9], s[6:7]
	s_xor_b64 s[6:7], exec, s[8:9]
	s_cbranch_execnz .LBB52_3277
; %bb.1229:
	s_or_saveexec_b64 s[6:7], s[6:7]
	v_mov_b32_e32 v6, s10
	s_xor_b64 exec, exec, s[6:7]
	s_cbranch_execnz .LBB52_3280
.LBB52_1230:
	s_or_b64 exec, exec, s[6:7]
	s_and_saveexec_b64 s[6:7], s[4:5]
	s_cbranch_execz .LBB52_1232
.LBB52_1231:
	v_bfe_u32 v6, v4, 8, 3
	v_ffbh_u32_e32 v10, v6
	v_min_u32_e32 v10, 32, v10
	v_lshrrev_b16_e32 v7, 3, v3
	v_subrev_u32_e32 v11, 28, v10
	v_and_b32_e32 v7, 15, v7
	v_lshlrev_b32_e32 v3, v11, v3
	v_sub_u32_e32 v10, 29, v10
	v_and_b32_e32 v3, 7, v3
	v_cmp_eq_u16_e32 vcc, 0, v7
	v_cndmask_b32_e32 v3, v6, v3, vcc
	v_cndmask_b32_e32 v6, v7, v10, vcc
	v_lshlrev_b32_e32 v7, 16, v4
	v_mov_b32_e32 v10, 0x3b800000
	v_lshlrev_b32_e32 v3, 20, v3
	v_and_b32_e32 v7, 0x80000000, v7
	v_lshl_add_u32 v6, v6, 23, v10
	v_or3_b32 v6, v7, v6, v3
.LBB52_1232:
	s_or_b64 exec, exec, s[6:7]
	s_nop 0
	v_mfma_f32_16x16x4f32 a[0:3], v2, v6, a[0:3]
	s_movk_i32 s4, 0xff
	v_and_b32_sdwa v3, v8, s4 dst_sel:DWORD dst_unused:UNUSED_PAD src0_sel:WORD_1 src1_sel:DWORD
	s_movk_i32 s4, 0x7f
	v_cmp_lt_i16_e32 vcc, s4, v3
	s_mov_b64 s[4:5], 0
                                        ; implicit-def: $sgpr10
	s_and_saveexec_b64 s[6:7], vcc
	s_xor_b64 s[6:7], exec, s[6:7]
	s_cbranch_execnz .LBB52_3281
; %bb.1233:
	s_or_saveexec_b64 s[6:7], s[6:7]
	v_mov_b32_e32 v2, s10
	s_xor_b64 exec, exec, s[6:7]
	s_cbranch_execnz .LBB52_3284
.LBB52_1234:
	s_or_b64 exec, exec, s[6:7]
	s_and_saveexec_b64 s[6:7], s[4:5]
	s_cbranch_execz .LBB52_1236
.LBB52_1235:
	v_bfe_u32 v2, v8, 16, 3
	v_ffbh_u32_e32 v7, v2
	v_min_u32_e32 v7, 32, v7
	v_lshrrev_b32_e32 v3, 19, v8
	v_subrev_u32_e32 v10, 28, v7
	v_and_b32_e32 v3, 15, v3
	v_lshlrev_b32_sdwa v10, v10, v8 dst_sel:DWORD dst_unused:UNUSED_PAD src0_sel:DWORD src1_sel:WORD_1
	v_bfe_u32 v6, v8, 19, 4
	v_sub_u32_e32 v7, 29, v7
	v_and_b32_e32 v10, 7, v10
	v_cmp_eq_u16_e32 vcc, 0, v3
	v_cndmask_b32_e32 v2, v2, v10, vcc
	v_cndmask_b32_e32 v3, v6, v7, vcc
	v_lshlrev_b32_e32 v6, 8, v8
	v_mov_b32_e32 v7, 0x3b800000
	v_lshlrev_b32_e32 v2, 20, v2
	v_and_b32_e32 v6, 0x80000000, v6
	v_lshl_add_u32 v3, v3, 23, v7
	v_or3_b32 v2, v6, v3, v2
.LBB52_1236:
	s_or_b64 exec, exec, s[6:7]
	s_movk_i32 s4, 0xff
	v_and_b32_sdwa v3, v4, s4 dst_sel:DWORD dst_unused:UNUSED_PAD src0_sel:WORD_1 src1_sel:DWORD
	s_movk_i32 s4, 0x7f
	v_cmp_lt_i16_e32 vcc, s4, v3
	s_mov_b64 s[4:5], 0
                                        ; implicit-def: $sgpr10
	s_and_saveexec_b64 s[6:7], vcc
	s_xor_b64 s[6:7], exec, s[6:7]
	s_cbranch_execnz .LBB52_3285
; %bb.1237:
	s_or_saveexec_b64 s[6:7], s[6:7]
	v_mov_b32_e32 v6, s10
	s_xor_b64 exec, exec, s[6:7]
	s_cbranch_execnz .LBB52_3288
.LBB52_1238:
	s_or_b64 exec, exec, s[6:7]
	s_and_saveexec_b64 s[6:7], s[4:5]
	s_cbranch_execz .LBB52_1240
.LBB52_1239:
	v_bfe_u32 v3, v4, 16, 3
	v_ffbh_u32_e32 v10, v3
	v_min_u32_e32 v10, 32, v10
	v_lshrrev_b32_e32 v6, 19, v4
	v_subrev_u32_e32 v11, 28, v10
	v_and_b32_e32 v6, 15, v6
	v_lshlrev_b32_sdwa v11, v11, v4 dst_sel:DWORD dst_unused:UNUSED_PAD src0_sel:DWORD src1_sel:WORD_1
	v_bfe_u32 v7, v4, 19, 4
	v_sub_u32_e32 v10, 29, v10
	v_and_b32_e32 v11, 7, v11
	v_cmp_eq_u16_e32 vcc, 0, v6
	v_cndmask_b32_e32 v3, v3, v11, vcc
	v_cndmask_b32_e32 v6, v7, v10, vcc
	v_lshlrev_b32_e32 v7, 8, v4
	v_mov_b32_e32 v10, 0x3b800000
	v_lshlrev_b32_e32 v3, 20, v3
	v_and_b32_e32 v7, 0x80000000, v7
	v_lshl_add_u32 v6, v6, 23, v10
	v_or3_b32 v6, v7, v6, v3
.LBB52_1240:
	s_or_b64 exec, exec, s[6:7]
	s_nop 0
	v_mfma_f32_16x16x4f32 a[0:3], v2, v6, a[0:3]
	s_movk_i32 s4, 0x7f
	v_cmp_gt_i16_sdwa s[6:7], v8, s4 src0_sel:BYTE_3 src1_sel:DWORD
	s_mov_b64 s[4:5], 0
                                        ; implicit-def: $sgpr10
	s_and_saveexec_b64 s[8:9], s[6:7]
	s_xor_b64 s[6:7], exec, s[8:9]
	s_cbranch_execnz .LBB52_3289
; %bb.1241:
	s_or_saveexec_b64 s[6:7], s[6:7]
	v_mov_b32_e32 v2, s10
	s_xor_b64 exec, exec, s[6:7]
	s_cbranch_execnz .LBB52_3292
.LBB52_1242:
	s_or_b64 exec, exec, s[6:7]
	s_and_saveexec_b64 s[6:7], s[4:5]
	s_cbranch_execz .LBB52_1244
.LBB52_1243:
	v_bfe_u32 v2, v8, 24, 3
	v_ffbh_u32_e32 v10, v2
	v_min_u32_e32 v10, 32, v10
	v_lshrrev_b32_e32 v6, 27, v8
	v_subrev_u32_e32 v11, 28, v10
	v_and_b32_e32 v3, 0x80000000, v8
	v_and_b32_e32 v6, 15, v6
	v_bfe_u32 v7, v8, 27, 4
	v_lshlrev_b32_sdwa v8, v11, v8 dst_sel:DWORD dst_unused:UNUSED_PAD src0_sel:DWORD src1_sel:BYTE_3
	v_sub_u32_e32 v10, 29, v10
	v_and_b32_e32 v8, 7, v8
	v_cmp_eq_u16_e32 vcc, 0, v6
	v_cndmask_b32_e32 v2, v2, v8, vcc
	v_cndmask_b32_e32 v6, v7, v10, vcc
	v_mov_b32_e32 v7, 0x3b800000
	v_lshlrev_b32_e32 v2, 20, v2
	v_lshl_add_u32 v6, v6, 23, v7
	v_or3_b32 v2, v3, v6, v2
.LBB52_1244:
	s_or_b64 exec, exec, s[6:7]
	s_movk_i32 s4, 0x7f
	v_cmp_gt_i16_sdwa s[6:7], v4, s4 src0_sel:BYTE_3 src1_sel:DWORD
	s_mov_b64 s[4:5], 0
                                        ; implicit-def: $sgpr10
	s_and_saveexec_b64 s[8:9], s[6:7]
	s_xor_b64 s[6:7], exec, s[8:9]
	s_cbranch_execnz .LBB52_3293
; %bb.1245:
	s_or_saveexec_b64 s[6:7], s[6:7]
	v_mov_b32_e32 v3, s10
	s_xor_b64 exec, exec, s[6:7]
	s_cbranch_execnz .LBB52_3296
.LBB52_1246:
	s_or_b64 exec, exec, s[6:7]
	s_and_saveexec_b64 s[6:7], s[4:5]
	s_cbranch_execz .LBB52_1248
.LBB52_1247:
	v_bfe_u32 v3, v4, 24, 3
	v_ffbh_u32_e32 v10, v3
	v_min_u32_e32 v10, 32, v10
	v_lshrrev_b32_e32 v7, 27, v4
	v_subrev_u32_e32 v11, 28, v10
	v_and_b32_e32 v6, 0x80000000, v4
	v_and_b32_e32 v7, 15, v7
	v_bfe_u32 v8, v4, 27, 4
	v_lshlrev_b32_sdwa v4, v11, v4 dst_sel:DWORD dst_unused:UNUSED_PAD src0_sel:DWORD src1_sel:BYTE_3
	v_sub_u32_e32 v10, 29, v10
	v_and_b32_e32 v4, 7, v4
	v_cmp_eq_u16_e32 vcc, 0, v7
	v_cndmask_b32_e32 v3, v3, v4, vcc
	v_cndmask_b32_e32 v4, v8, v10, vcc
	v_mov_b32_e32 v7, 0x3b800000
	v_lshlrev_b32_e32 v3, 20, v3
	v_lshl_add_u32 v4, v4, 23, v7
	v_or3_b32 v3, v6, v4, v3
.LBB52_1248:
	s_or_b64 exec, exec, s[6:7]
	s_nop 0
	v_mfma_f32_16x16x4f32 a[0:3], v2, v3, a[0:3]
	s_movk_i32 s4, 0x7f
	v_cmp_gt_i16_sdwa s[6:7], v9, s4 src0_sel:BYTE_0 src1_sel:DWORD
	s_mov_b64 s[4:5], 0
                                        ; implicit-def: $sgpr10
	s_and_saveexec_b64 s[8:9], s[6:7]
	s_xor_b64 s[6:7], exec, s[8:9]
	s_cbranch_execnz .LBB52_3297
; %bb.1249:
	s_or_saveexec_b64 s[6:7], s[6:7]
	v_mov_b32_e32 v2, s10
	s_xor_b64 exec, exec, s[6:7]
	s_cbranch_execnz .LBB52_3300
.LBB52_1250:
	s_or_b64 exec, exec, s[6:7]
	s_and_saveexec_b64 s[6:7], s[4:5]
	s_cbranch_execz .LBB52_1252
.LBB52_1251:
	v_mov_b32_e32 v2, 8
	v_and_b32_e32 v3, 7, v9
	v_lshrrev_b32_sdwa v2, v2, v9 dst_sel:BYTE_1 dst_unused:UNUSED_PAD src0_sel:DWORD src1_sel:DWORD
	v_ffbh_u32_e32 v4, v3
	v_or_b32_sdwa v2, v9, v2 dst_sel:DWORD dst_unused:UNUSED_PAD src0_sel:BYTE_0 src1_sel:DWORD
	v_min_u32_e32 v4, 32, v4
	v_lshrrev_b16_e32 v2, 3, v2
	v_subrev_u32_e32 v6, 28, v4
	v_and_b32_e32 v2, 15, v2
	v_lshlrev_b32_e32 v6, v6, v9
	v_sub_u32_e32 v4, 29, v4
	v_and_b32_e32 v6, 7, v6
	v_cmp_eq_u16_e32 vcc, 0, v2
	v_cndmask_b32_e32 v3, v3, v6, vcc
	v_cndmask_b32_e32 v2, v2, v4, vcc
	v_lshlrev_b32_e32 v4, 24, v9
	v_mov_b32_e32 v6, 0x3b800000
	v_lshlrev_b32_e32 v3, 20, v3
	v_and_b32_e32 v4, 0x80000000, v4
	v_lshl_add_u32 v2, v2, 23, v6
	v_or3_b32 v2, v4, v2, v3
.LBB52_1252:
	s_or_b64 exec, exec, s[6:7]
	s_movk_i32 s4, 0x7f
	v_cmp_gt_i16_sdwa s[6:7], v5, s4 src0_sel:BYTE_0 src1_sel:DWORD
	s_mov_b64 s[4:5], 0
                                        ; implicit-def: $sgpr10
	s_and_saveexec_b64 s[8:9], s[6:7]
	s_xor_b64 s[6:7], exec, s[8:9]
	s_cbranch_execnz .LBB52_3301
; %bb.1253:
	s_or_saveexec_b64 s[6:7], s[6:7]
	v_mov_b32_e32 v3, s10
	s_xor_b64 exec, exec, s[6:7]
	s_cbranch_execnz .LBB52_3304
.LBB52_1254:
	s_or_b64 exec, exec, s[6:7]
	s_and_saveexec_b64 s[6:7], s[4:5]
	s_cbranch_execz .LBB52_1256
.LBB52_1255:
	v_mov_b32_e32 v3, 8
	v_and_b32_e32 v4, 7, v5
	v_lshrrev_b32_sdwa v3, v3, v5 dst_sel:BYTE_1 dst_unused:UNUSED_PAD src0_sel:DWORD src1_sel:DWORD
	v_ffbh_u32_e32 v6, v4
	v_or_b32_sdwa v3, v5, v3 dst_sel:DWORD dst_unused:UNUSED_PAD src0_sel:BYTE_0 src1_sel:DWORD
	v_min_u32_e32 v6, 32, v6
	v_lshrrev_b16_e32 v3, 3, v3
	v_subrev_u32_e32 v7, 28, v6
	v_and_b32_e32 v3, 15, v3
	v_lshlrev_b32_e32 v7, v7, v5
	v_sub_u32_e32 v6, 29, v6
	v_and_b32_e32 v7, 7, v7
	v_cmp_eq_u16_e32 vcc, 0, v3
	v_cndmask_b32_e32 v4, v4, v7, vcc
	v_cndmask_b32_e32 v3, v3, v6, vcc
	v_lshlrev_b32_e32 v6, 24, v5
	v_mov_b32_e32 v7, 0x3b800000
	v_lshlrev_b32_e32 v4, 20, v4
	v_and_b32_e32 v6, 0x80000000, v6
	v_lshl_add_u32 v3, v3, 23, v7
	v_or3_b32 v3, v6, v3, v4
.LBB52_1256:
	s_or_b64 exec, exec, s[6:7]
	s_nop 0
	v_mfma_f32_16x16x4f32 a[0:3], v2, v3, a[0:3]
	v_lshrrev_b32_e32 v3, 8, v9
	s_movk_i32 s4, 0x7f
	v_cmp_gt_i16_sdwa s[6:7], v3, s4 src0_sel:BYTE_0 src1_sel:DWORD
	s_mov_b64 s[4:5], 0
                                        ; implicit-def: $sgpr10
	s_and_saveexec_b64 s[8:9], s[6:7]
	s_xor_b64 s[6:7], exec, s[8:9]
	s_cbranch_execnz .LBB52_3305
; %bb.1257:
	s_or_saveexec_b64 s[6:7], s[6:7]
	v_mov_b32_e32 v2, s10
	s_xor_b64 exec, exec, s[6:7]
	s_cbranch_execnz .LBB52_3308
.LBB52_1258:
	s_or_b64 exec, exec, s[6:7]
	s_and_saveexec_b64 s[6:7], s[4:5]
	s_cbranch_execz .LBB52_1260
.LBB52_1259:
	v_bfe_u32 v2, v9, 8, 3
	v_ffbh_u32_e32 v6, v2
	v_min_u32_e32 v6, 32, v6
	v_lshrrev_b16_e32 v4, 3, v3
	v_subrev_u32_e32 v7, 28, v6
	v_and_b32_e32 v4, 15, v4
	v_lshlrev_b32_e32 v3, v7, v3
	v_sub_u32_e32 v6, 29, v6
	v_and_b32_e32 v3, 7, v3
	v_cmp_eq_u16_e32 vcc, 0, v4
	v_cndmask_b32_e32 v2, v2, v3, vcc
	v_cndmask_b32_e32 v3, v4, v6, vcc
	v_lshlrev_b32_e32 v4, 16, v9
	v_mov_b32_e32 v6, 0x3b800000
	v_lshlrev_b32_e32 v2, 20, v2
	v_and_b32_e32 v4, 0x80000000, v4
	v_lshl_add_u32 v3, v3, 23, v6
	v_or3_b32 v2, v4, v3, v2
.LBB52_1260:
	s_or_b64 exec, exec, s[6:7]
	v_lshrrev_b32_e32 v3, 8, v5
	s_movk_i32 s4, 0x7f
	v_cmp_gt_i16_sdwa s[6:7], v3, s4 src0_sel:BYTE_0 src1_sel:DWORD
	s_mov_b64 s[4:5], 0
                                        ; implicit-def: $sgpr10
	s_and_saveexec_b64 s[8:9], s[6:7]
	s_xor_b64 s[6:7], exec, s[8:9]
	s_cbranch_execnz .LBB52_3309
; %bb.1261:
	s_or_saveexec_b64 s[6:7], s[6:7]
	v_mov_b32_e32 v4, s10
	s_xor_b64 exec, exec, s[6:7]
	s_cbranch_execnz .LBB52_3312
.LBB52_1262:
	s_or_b64 exec, exec, s[6:7]
	s_and_saveexec_b64 s[6:7], s[4:5]
	s_cbranch_execz .LBB52_1264
.LBB52_1263:
	v_bfe_u32 v4, v5, 8, 3
	v_ffbh_u32_e32 v7, v4
	v_min_u32_e32 v7, 32, v7
	v_lshrrev_b16_e32 v6, 3, v3
	v_subrev_u32_e32 v8, 28, v7
	v_and_b32_e32 v6, 15, v6
	v_lshlrev_b32_e32 v3, v8, v3
	v_sub_u32_e32 v7, 29, v7
	v_and_b32_e32 v3, 7, v3
	v_cmp_eq_u16_e32 vcc, 0, v6
	v_cndmask_b32_e32 v3, v4, v3, vcc
	v_cndmask_b32_e32 v4, v6, v7, vcc
	v_lshlrev_b32_e32 v6, 16, v5
	v_mov_b32_e32 v7, 0x3b800000
	v_lshlrev_b32_e32 v3, 20, v3
	v_and_b32_e32 v6, 0x80000000, v6
	v_lshl_add_u32 v4, v4, 23, v7
	v_or3_b32 v4, v6, v4, v3
.LBB52_1264:
	s_or_b64 exec, exec, s[6:7]
	s_nop 0
	v_mfma_f32_16x16x4f32 a[0:3], v2, v4, a[0:3]
	s_movk_i32 s4, 0xff
	v_and_b32_sdwa v3, v9, s4 dst_sel:DWORD dst_unused:UNUSED_PAD src0_sel:WORD_1 src1_sel:DWORD
	s_movk_i32 s4, 0x7f
	v_cmp_lt_i16_e32 vcc, s4, v3
	s_mov_b64 s[4:5], 0
                                        ; implicit-def: $sgpr10
	s_and_saveexec_b64 s[6:7], vcc
	s_xor_b64 s[6:7], exec, s[6:7]
	s_cbranch_execnz .LBB52_3313
; %bb.1265:
	s_or_saveexec_b64 s[6:7], s[6:7]
	v_mov_b32_e32 v2, s10
	s_xor_b64 exec, exec, s[6:7]
	s_cbranch_execnz .LBB52_3316
.LBB52_1266:
	s_or_b64 exec, exec, s[6:7]
	s_and_saveexec_b64 s[6:7], s[4:5]
	s_cbranch_execz .LBB52_1268
.LBB52_1267:
	v_bfe_u32 v2, v9, 16, 3
	v_ffbh_u32_e32 v6, v2
	v_min_u32_e32 v6, 32, v6
	v_lshrrev_b32_e32 v3, 19, v9
	v_subrev_u32_e32 v7, 28, v6
	v_and_b32_e32 v3, 15, v3
	v_lshlrev_b32_sdwa v7, v7, v9 dst_sel:DWORD dst_unused:UNUSED_PAD src0_sel:DWORD src1_sel:WORD_1
	v_bfe_u32 v4, v9, 19, 4
	v_sub_u32_e32 v6, 29, v6
	v_and_b32_e32 v7, 7, v7
	v_cmp_eq_u16_e32 vcc, 0, v3
	v_cndmask_b32_e32 v2, v2, v7, vcc
	v_cndmask_b32_e32 v3, v4, v6, vcc
	v_lshlrev_b32_e32 v4, 8, v9
	v_mov_b32_e32 v6, 0x3b800000
	v_lshlrev_b32_e32 v2, 20, v2
	v_and_b32_e32 v4, 0x80000000, v4
	v_lshl_add_u32 v3, v3, 23, v6
	v_or3_b32 v2, v4, v3, v2
.LBB52_1268:
	s_or_b64 exec, exec, s[6:7]
	s_movk_i32 s4, 0xff
	v_and_b32_sdwa v3, v5, s4 dst_sel:DWORD dst_unused:UNUSED_PAD src0_sel:WORD_1 src1_sel:DWORD
	s_movk_i32 s4, 0x7f
	v_cmp_lt_i16_e32 vcc, s4, v3
	s_mov_b64 s[4:5], 0
                                        ; implicit-def: $sgpr10
	s_and_saveexec_b64 s[6:7], vcc
	s_xor_b64 s[6:7], exec, s[6:7]
	s_cbranch_execnz .LBB52_3317
; %bb.1269:
	s_or_saveexec_b64 s[6:7], s[6:7]
	v_mov_b32_e32 v4, s10
	s_xor_b64 exec, exec, s[6:7]
	s_cbranch_execnz .LBB52_3320
.LBB52_1270:
	s_or_b64 exec, exec, s[6:7]
	s_and_saveexec_b64 s[6:7], s[4:5]
	s_cbranch_execz .LBB52_1272
.LBB52_1271:
	v_bfe_u32 v3, v5, 16, 3
	v_ffbh_u32_e32 v7, v3
	v_min_u32_e32 v7, 32, v7
	v_lshrrev_b32_e32 v4, 19, v5
	v_subrev_u32_e32 v8, 28, v7
	v_and_b32_e32 v4, 15, v4
	v_lshlrev_b32_sdwa v8, v8, v5 dst_sel:DWORD dst_unused:UNUSED_PAD src0_sel:DWORD src1_sel:WORD_1
	v_bfe_u32 v6, v5, 19, 4
	v_sub_u32_e32 v7, 29, v7
	v_and_b32_e32 v8, 7, v8
	v_cmp_eq_u16_e32 vcc, 0, v4
	v_cndmask_b32_e32 v3, v3, v8, vcc
	v_cndmask_b32_e32 v4, v6, v7, vcc
	v_lshlrev_b32_e32 v6, 8, v5
	v_mov_b32_e32 v7, 0x3b800000
	v_lshlrev_b32_e32 v3, 20, v3
	v_and_b32_e32 v6, 0x80000000, v6
	v_lshl_add_u32 v4, v4, 23, v7
	v_or3_b32 v4, v6, v4, v3
.LBB52_1272:
	s_or_b64 exec, exec, s[6:7]
	s_nop 0
	v_mfma_f32_16x16x4f32 a[0:3], v2, v4, a[0:3]
	s_movk_i32 s4, 0x7f
	v_cmp_gt_i16_sdwa s[6:7], v9, s4 src0_sel:BYTE_3 src1_sel:DWORD
	s_mov_b64 s[4:5], 0
                                        ; implicit-def: $sgpr10
	s_and_saveexec_b64 s[8:9], s[6:7]
	s_xor_b64 s[6:7], exec, s[8:9]
	s_cbranch_execnz .LBB52_3321
; %bb.1273:
	s_or_saveexec_b64 s[6:7], s[6:7]
	v_mov_b32_e32 v2, s10
	s_xor_b64 exec, exec, s[6:7]
	s_cbranch_execnz .LBB52_3324
.LBB52_1274:
	s_or_b64 exec, exec, s[6:7]
	s_and_saveexec_b64 s[6:7], s[4:5]
	s_cbranch_execz .LBB52_1276
.LBB52_1275:
	v_bfe_u32 v2, v9, 24, 3
	v_ffbh_u32_e32 v7, v2
	v_min_u32_e32 v7, 32, v7
	v_lshrrev_b32_e32 v4, 27, v9
	v_subrev_u32_e32 v8, 28, v7
	v_and_b32_e32 v4, 15, v4
	v_lshlrev_b32_sdwa v8, v8, v9 dst_sel:DWORD dst_unused:UNUSED_PAD src0_sel:DWORD src1_sel:BYTE_3
	v_bfe_u32 v6, v9, 27, 4
	v_sub_u32_e32 v7, 29, v7
	v_and_b32_e32 v8, 7, v8
	v_cmp_eq_u16_e32 vcc, 0, v4
	v_cndmask_b32_e32 v2, v2, v8, vcc
	v_cndmask_b32_e32 v4, v6, v7, vcc
	v_mov_b32_e32 v6, 0x3b800000
	v_and_b32_e32 v3, 0x80000000, v9
	v_lshlrev_b32_e32 v2, 20, v2
	v_lshl_add_u32 v4, v4, 23, v6
	v_or3_b32 v2, v3, v4, v2
.LBB52_1276:
	s_or_b64 exec, exec, s[6:7]
	s_movk_i32 s4, 0x7f
	v_cmp_gt_i16_sdwa s[6:7], v5, s4 src0_sel:BYTE_3 src1_sel:DWORD
	s_mov_b64 s[4:5], 0
                                        ; implicit-def: $sgpr10
	s_and_saveexec_b64 s[8:9], s[6:7]
	s_xor_b64 s[6:7], exec, s[8:9]
	s_cbranch_execnz .LBB52_3325
; %bb.1277:
	s_or_saveexec_b64 s[6:7], s[6:7]
	v_mov_b32_e32 v3, s10
	s_xor_b64 exec, exec, s[6:7]
	s_cbranch_execnz .LBB52_3328
.LBB52_1278:
	s_or_b64 exec, exec, s[6:7]
	s_and_saveexec_b64 s[6:7], s[4:5]
	s_cbranch_execz .LBB52_1280
.LBB52_1279:
	v_bfe_u32 v3, v5, 24, 3
	v_ffbh_u32_e32 v8, v3
	v_min_u32_e32 v8, 32, v8
	v_lshrrev_b32_e32 v6, 27, v5
	v_subrev_u32_e32 v9, 28, v8
	v_and_b32_e32 v4, 0x80000000, v5
	v_and_b32_e32 v6, 15, v6
	v_bfe_u32 v7, v5, 27, 4
	v_lshlrev_b32_sdwa v5, v9, v5 dst_sel:DWORD dst_unused:UNUSED_PAD src0_sel:DWORD src1_sel:BYTE_3
	v_sub_u32_e32 v8, 29, v8
	v_and_b32_e32 v5, 7, v5
	v_cmp_eq_u16_e32 vcc, 0, v6
	v_cndmask_b32_e32 v3, v3, v5, vcc
	v_cndmask_b32_e32 v5, v7, v8, vcc
	v_mov_b32_e32 v6, 0x3b800000
	v_lshlrev_b32_e32 v3, 20, v3
	v_lshl_add_u32 v5, v5, 23, v6
	v_or3_b32 v3, v4, v5, v3
.LBB52_1280:
	s_or_b64 exec, exec, s[6:7]
	s_nop 0
	v_mfma_f32_16x16x4f32 a[0:3], v2, v3, a[0:3]
	s_movk_i32 s4, 0x7f
                                        ; implicit-def: $sgpr10
	s_nop 7
	s_nop 1
	flat_store_dwordx4 v[18:19], a[0:3] offset:64
	flat_load_dwordx4 v[20:23], v[0:1] offset:8
	s_nop 0
	flat_load_dwordx2 v[18:19], v[0:1] offset:24
	s_waitcnt vmcnt(0) lgkmcnt(0)
	flat_load_dwordx4 v[14:17], v[20:21]
	flat_load_dwordx4 v[6:9], v[20:21] offset:16
	flat_load_dwordx4 v[10:13], v[22:23] offset:416
	;; [unrolled: 1-line block ×3, first 2 shown]
	s_waitcnt vmcnt(0) lgkmcnt(0)
	v_cmp_gt_i16_sdwa s[6:7], v14, s4 src0_sel:BYTE_0 src1_sel:DWORD
	s_mov_b64 s[4:5], 0
	s_and_saveexec_b64 s[8:9], s[6:7]
	s_xor_b64 s[6:7], exec, s[8:9]
	s_cbranch_execnz .LBB52_3329
; %bb.1281:
	s_or_saveexec_b64 s[6:7], s[6:7]
	v_mov_b32_e32 v20, s10
	s_xor_b64 exec, exec, s[6:7]
	s_cbranch_execnz .LBB52_3332
.LBB52_1282:
	s_or_b64 exec, exec, s[6:7]
	s_and_saveexec_b64 s[6:7], s[4:5]
	s_cbranch_execz .LBB52_1284
.LBB52_1283:
	v_and_b32_e32 v20, 7, v14
	v_ffbh_u32_e32 v22, v20
	v_min_u32_e32 v22, 32, v22
	v_lshrrev_b16_e32 v21, 3, v14
	v_subrev_u32_e32 v23, 28, v22
	v_and_b32_e32 v21, 15, v21
	v_lshlrev_b32_e32 v23, v23, v14
	v_sub_u32_e32 v22, 29, v22
	v_and_b32_e32 v23, 7, v23
	v_cmp_eq_u16_e32 vcc, 0, v21
	v_cndmask_b32_e32 v20, v20, v23, vcc
	v_cndmask_b32_e32 v21, v21, v22, vcc
	v_lshlrev_b32_e32 v22, 24, v14
	v_mov_b32_e32 v23, 0x3b800000
	v_lshlrev_b32_e32 v20, 20, v20
	v_and_b32_e32 v22, 0x80000000, v22
	v_lshl_add_u32 v21, v21, 23, v23
	v_or3_b32 v20, v22, v21, v20
.LBB52_1284:
	s_or_b64 exec, exec, s[6:7]
	s_movk_i32 s4, 0x7f
	v_cmp_gt_i16_sdwa s[6:7], v10, s4 src0_sel:BYTE_0 src1_sel:DWORD
	s_mov_b64 s[4:5], 0
                                        ; implicit-def: $sgpr10
	s_and_saveexec_b64 s[8:9], s[6:7]
	s_xor_b64 s[6:7], exec, s[8:9]
	s_cbranch_execnz .LBB52_3333
; %bb.1285:
	s_or_saveexec_b64 s[6:7], s[6:7]
	v_mov_b32_e32 v21, s10
	s_xor_b64 exec, exec, s[6:7]
	s_cbranch_execnz .LBB52_3336
.LBB52_1286:
	s_or_b64 exec, exec, s[6:7]
	s_and_saveexec_b64 s[6:7], s[4:5]
	s_cbranch_execz .LBB52_1288
.LBB52_1287:
	v_and_b32_e32 v21, 7, v10
	v_ffbh_u32_e32 v23, v21
	v_min_u32_e32 v23, 32, v23
	v_lshrrev_b16_e32 v22, 3, v10
	v_subrev_u32_e32 v24, 28, v23
	v_and_b32_e32 v22, 15, v22
	v_lshlrev_b32_e32 v24, v24, v10
	v_sub_u32_e32 v23, 29, v23
	v_and_b32_e32 v24, 7, v24
	v_cmp_eq_u16_e32 vcc, 0, v22
	v_cndmask_b32_e32 v21, v21, v24, vcc
	v_cndmask_b32_e32 v22, v22, v23, vcc
	v_lshlrev_b32_e32 v23, 24, v10
	v_mov_b32_e32 v24, 0x3b800000
	v_lshlrev_b32_e32 v21, 20, v21
	v_and_b32_e32 v23, 0x80000000, v23
	v_lshl_add_u32 v22, v22, 23, v24
	v_or3_b32 v21, v23, v22, v21
.LBB52_1288:
	s_or_b64 exec, exec, s[6:7]
	flat_load_dwordx4 a[0:3], v[18:19] offset:80
	s_movk_i32 s4, 0x7f
                                        ; implicit-def: $sgpr10
	s_waitcnt vmcnt(0) lgkmcnt(0)
	v_mfma_f32_16x16x4f32 a[0:3], v20, v21, a[0:3]
	v_lshrrev_b32_e32 v21, 8, v14
	v_cmp_gt_i16_sdwa s[6:7], v21, s4 src0_sel:BYTE_0 src1_sel:DWORD
	s_mov_b64 s[4:5], 0
	s_and_saveexec_b64 s[8:9], s[6:7]
	s_xor_b64 s[6:7], exec, s[8:9]
	s_cbranch_execnz .LBB52_3337
; %bb.1289:
	s_or_saveexec_b64 s[6:7], s[6:7]
	v_mov_b32_e32 v20, s10
	s_xor_b64 exec, exec, s[6:7]
	s_cbranch_execnz .LBB52_3340
.LBB52_1290:
	s_or_b64 exec, exec, s[6:7]
	s_and_saveexec_b64 s[6:7], s[4:5]
	s_cbranch_execz .LBB52_1292
.LBB52_1291:
	v_bfe_u32 v20, v14, 8, 3
	v_ffbh_u32_e32 v23, v20
	v_min_u32_e32 v23, 32, v23
	v_lshrrev_b16_e32 v22, 3, v21
	v_subrev_u32_e32 v24, 28, v23
	v_and_b32_e32 v22, 15, v22
	v_lshlrev_b32_e32 v21, v24, v21
	v_sub_u32_e32 v23, 29, v23
	v_and_b32_e32 v21, 7, v21
	v_cmp_eq_u16_e32 vcc, 0, v22
	v_cndmask_b32_e32 v20, v20, v21, vcc
	v_cndmask_b32_e32 v21, v22, v23, vcc
	v_lshlrev_b32_e32 v22, 16, v14
	v_mov_b32_e32 v23, 0x3b800000
	v_lshlrev_b32_e32 v20, 20, v20
	v_and_b32_e32 v22, 0x80000000, v22
	v_lshl_add_u32 v21, v21, 23, v23
	v_or3_b32 v20, v22, v21, v20
.LBB52_1292:
	s_or_b64 exec, exec, s[6:7]
	v_lshrrev_b32_e32 v21, 8, v10
	s_movk_i32 s4, 0x7f
	v_cmp_gt_i16_sdwa s[6:7], v21, s4 src0_sel:BYTE_0 src1_sel:DWORD
	s_mov_b64 s[4:5], 0
                                        ; implicit-def: $sgpr10
	s_and_saveexec_b64 s[8:9], s[6:7]
	s_xor_b64 s[6:7], exec, s[8:9]
	s_cbranch_execnz .LBB52_3341
; %bb.1293:
	s_or_saveexec_b64 s[6:7], s[6:7]
	v_mov_b32_e32 v22, s10
	s_xor_b64 exec, exec, s[6:7]
	s_cbranch_execnz .LBB52_3344
.LBB52_1294:
	s_or_b64 exec, exec, s[6:7]
	s_and_saveexec_b64 s[6:7], s[4:5]
	s_cbranch_execz .LBB52_1296
.LBB52_1295:
	v_bfe_u32 v22, v10, 8, 3
	v_ffbh_u32_e32 v24, v22
	v_min_u32_e32 v24, 32, v24
	v_lshrrev_b16_e32 v23, 3, v21
	v_subrev_u32_e32 v25, 28, v24
	v_and_b32_e32 v23, 15, v23
	v_lshlrev_b32_e32 v21, v25, v21
	v_sub_u32_e32 v24, 29, v24
	v_and_b32_e32 v21, 7, v21
	v_cmp_eq_u16_e32 vcc, 0, v23
	v_cndmask_b32_e32 v21, v22, v21, vcc
	v_cndmask_b32_e32 v22, v23, v24, vcc
	v_lshlrev_b32_e32 v23, 16, v10
	v_mov_b32_e32 v24, 0x3b800000
	v_lshlrev_b32_e32 v21, 20, v21
	v_and_b32_e32 v23, 0x80000000, v23
	v_lshl_add_u32 v22, v22, 23, v24
	v_or3_b32 v22, v23, v22, v21
.LBB52_1296:
	s_or_b64 exec, exec, s[6:7]
	s_nop 0
	v_mfma_f32_16x16x4f32 a[0:3], v20, v22, a[0:3]
	s_movk_i32 s4, 0xff
	v_and_b32_sdwa v21, v14, s4 dst_sel:DWORD dst_unused:UNUSED_PAD src0_sel:WORD_1 src1_sel:DWORD
	s_movk_i32 s4, 0x7f
	v_cmp_lt_i16_e32 vcc, s4, v21
	s_mov_b64 s[4:5], 0
                                        ; implicit-def: $sgpr10
	s_and_saveexec_b64 s[6:7], vcc
	s_xor_b64 s[6:7], exec, s[6:7]
	s_cbranch_execnz .LBB52_3345
; %bb.1297:
	s_or_saveexec_b64 s[6:7], s[6:7]
	v_mov_b32_e32 v20, s10
	s_xor_b64 exec, exec, s[6:7]
	s_cbranch_execnz .LBB52_3348
.LBB52_1298:
	s_or_b64 exec, exec, s[6:7]
	s_and_saveexec_b64 s[6:7], s[4:5]
	s_cbranch_execz .LBB52_1300
.LBB52_1299:
	v_bfe_u32 v20, v14, 16, 3
	v_ffbh_u32_e32 v23, v20
	v_min_u32_e32 v23, 32, v23
	v_lshrrev_b32_e32 v21, 19, v14
	v_subrev_u32_e32 v24, 28, v23
	v_and_b32_e32 v21, 15, v21
	v_lshlrev_b32_sdwa v24, v24, v14 dst_sel:DWORD dst_unused:UNUSED_PAD src0_sel:DWORD src1_sel:WORD_1
	v_bfe_u32 v22, v14, 19, 4
	v_sub_u32_e32 v23, 29, v23
	v_and_b32_e32 v24, 7, v24
	v_cmp_eq_u16_e32 vcc, 0, v21
	v_cndmask_b32_e32 v20, v20, v24, vcc
	v_cndmask_b32_e32 v21, v22, v23, vcc
	v_lshlrev_b32_e32 v22, 8, v14
	v_mov_b32_e32 v23, 0x3b800000
	v_lshlrev_b32_e32 v20, 20, v20
	v_and_b32_e32 v22, 0x80000000, v22
	v_lshl_add_u32 v21, v21, 23, v23
	v_or3_b32 v20, v22, v21, v20
.LBB52_1300:
	s_or_b64 exec, exec, s[6:7]
	s_movk_i32 s4, 0xff
	v_and_b32_sdwa v21, v10, s4 dst_sel:DWORD dst_unused:UNUSED_PAD src0_sel:WORD_1 src1_sel:DWORD
	s_movk_i32 s4, 0x7f
	v_cmp_lt_i16_e32 vcc, s4, v21
	s_mov_b64 s[4:5], 0
                                        ; implicit-def: $sgpr10
	s_and_saveexec_b64 s[6:7], vcc
	s_xor_b64 s[6:7], exec, s[6:7]
	s_cbranch_execnz .LBB52_3349
; %bb.1301:
	s_or_saveexec_b64 s[6:7], s[6:7]
	v_mov_b32_e32 v22, s10
	s_xor_b64 exec, exec, s[6:7]
	s_cbranch_execnz .LBB52_3352
.LBB52_1302:
	s_or_b64 exec, exec, s[6:7]
	s_and_saveexec_b64 s[6:7], s[4:5]
	s_cbranch_execz .LBB52_1304
.LBB52_1303:
	v_bfe_u32 v21, v10, 16, 3
	v_ffbh_u32_e32 v24, v21
	v_min_u32_e32 v24, 32, v24
	v_lshrrev_b32_e32 v22, 19, v10
	v_subrev_u32_e32 v25, 28, v24
	v_and_b32_e32 v22, 15, v22
	v_lshlrev_b32_sdwa v25, v25, v10 dst_sel:DWORD dst_unused:UNUSED_PAD src0_sel:DWORD src1_sel:WORD_1
	v_bfe_u32 v23, v10, 19, 4
	v_sub_u32_e32 v24, 29, v24
	v_and_b32_e32 v25, 7, v25
	v_cmp_eq_u16_e32 vcc, 0, v22
	v_cndmask_b32_e32 v21, v21, v25, vcc
	v_cndmask_b32_e32 v22, v23, v24, vcc
	v_lshlrev_b32_e32 v23, 8, v10
	v_mov_b32_e32 v24, 0x3b800000
	v_lshlrev_b32_e32 v21, 20, v21
	v_and_b32_e32 v23, 0x80000000, v23
	v_lshl_add_u32 v22, v22, 23, v24
	v_or3_b32 v22, v23, v22, v21
.LBB52_1304:
	s_or_b64 exec, exec, s[6:7]
	s_nop 0
	v_mfma_f32_16x16x4f32 a[0:3], v20, v22, a[0:3]
	s_movk_i32 s4, 0x7f
	v_cmp_gt_i16_sdwa s[6:7], v14, s4 src0_sel:BYTE_3 src1_sel:DWORD
	s_mov_b64 s[4:5], 0
                                        ; implicit-def: $sgpr10
	s_and_saveexec_b64 s[8:9], s[6:7]
	s_xor_b64 s[6:7], exec, s[8:9]
	s_cbranch_execnz .LBB52_3353
; %bb.1305:
	s_or_saveexec_b64 s[6:7], s[6:7]
	v_mov_b32_e32 v20, s10
	s_xor_b64 exec, exec, s[6:7]
	s_cbranch_execnz .LBB52_3356
.LBB52_1306:
	s_or_b64 exec, exec, s[6:7]
	s_and_saveexec_b64 s[6:7], s[4:5]
	s_cbranch_execz .LBB52_1308
.LBB52_1307:
	v_bfe_u32 v20, v14, 24, 3
	v_ffbh_u32_e32 v24, v20
	v_min_u32_e32 v24, 32, v24
	v_lshrrev_b32_e32 v22, 27, v14
	v_subrev_u32_e32 v25, 28, v24
	v_and_b32_e32 v21, 0x80000000, v14
	v_and_b32_e32 v22, 15, v22
	v_bfe_u32 v23, v14, 27, 4
	v_lshlrev_b32_sdwa v14, v25, v14 dst_sel:DWORD dst_unused:UNUSED_PAD src0_sel:DWORD src1_sel:BYTE_3
	v_sub_u32_e32 v24, 29, v24
	v_and_b32_e32 v14, 7, v14
	v_cmp_eq_u16_e32 vcc, 0, v22
	v_cndmask_b32_e32 v14, v20, v14, vcc
	v_cndmask_b32_e32 v20, v23, v24, vcc
	v_mov_b32_e32 v22, 0x3b800000
	v_lshlrev_b32_e32 v14, 20, v14
	v_lshl_add_u32 v20, v20, 23, v22
	v_or3_b32 v20, v21, v20, v14
.LBB52_1308:
	s_or_b64 exec, exec, s[6:7]
	s_movk_i32 s4, 0x7f
	v_cmp_gt_i16_sdwa s[6:7], v10, s4 src0_sel:BYTE_3 src1_sel:DWORD
	s_mov_b64 s[4:5], 0
                                        ; implicit-def: $sgpr10
	s_and_saveexec_b64 s[8:9], s[6:7]
	s_xor_b64 s[6:7], exec, s[8:9]
	s_cbranch_execnz .LBB52_3357
; %bb.1309:
	s_or_saveexec_b64 s[6:7], s[6:7]
	v_mov_b32_e32 v14, s10
	s_xor_b64 exec, exec, s[6:7]
	s_cbranch_execnz .LBB52_3360
.LBB52_1310:
	s_or_b64 exec, exec, s[6:7]
	s_and_saveexec_b64 s[6:7], s[4:5]
	s_cbranch_execz .LBB52_1312
.LBB52_1311:
	v_bfe_u32 v14, v10, 24, 3
	v_ffbh_u32_e32 v24, v14
	v_min_u32_e32 v24, 32, v24
	v_lshrrev_b32_e32 v22, 27, v10
	v_subrev_u32_e32 v25, 28, v24
	v_and_b32_e32 v21, 0x80000000, v10
	v_and_b32_e32 v22, 15, v22
	v_bfe_u32 v23, v10, 27, 4
	v_lshlrev_b32_sdwa v10, v25, v10 dst_sel:DWORD dst_unused:UNUSED_PAD src0_sel:DWORD src1_sel:BYTE_3
	v_sub_u32_e32 v24, 29, v24
	v_and_b32_e32 v10, 7, v10
	v_cmp_eq_u16_e32 vcc, 0, v22
	v_cndmask_b32_e32 v10, v14, v10, vcc
	v_cndmask_b32_e32 v14, v23, v24, vcc
	v_mov_b32_e32 v22, 0x3b800000
	v_lshlrev_b32_e32 v10, 20, v10
	v_lshl_add_u32 v14, v14, 23, v22
	v_or3_b32 v14, v21, v14, v10
.LBB52_1312:
	s_or_b64 exec, exec, s[6:7]
	s_nop 0
	v_mfma_f32_16x16x4f32 a[0:3], v20, v14, a[0:3]
	s_movk_i32 s4, 0x7f
	v_cmp_gt_i16_sdwa s[6:7], v15, s4 src0_sel:BYTE_0 src1_sel:DWORD
	s_mov_b64 s[4:5], 0
                                        ; implicit-def: $sgpr10
	s_and_saveexec_b64 s[8:9], s[6:7]
	s_xor_b64 s[6:7], exec, s[8:9]
	s_cbranch_execnz .LBB52_3361
; %bb.1313:
	s_or_saveexec_b64 s[6:7], s[6:7]
	v_mov_b32_e32 v10, s10
	s_xor_b64 exec, exec, s[6:7]
	s_cbranch_execnz .LBB52_3364
.LBB52_1314:
	s_or_b64 exec, exec, s[6:7]
	s_and_saveexec_b64 s[6:7], s[4:5]
	s_cbranch_execz .LBB52_1316
.LBB52_1315:
	v_and_b32_e32 v10, 7, v15
	v_ffbh_u32_e32 v20, v10
	v_min_u32_e32 v20, 32, v20
	v_lshrrev_b16_e32 v14, 3, v15
	v_subrev_u32_e32 v21, 28, v20
	v_and_b32_e32 v14, 15, v14
	v_lshlrev_b32_e32 v21, v21, v15
	v_sub_u32_e32 v20, 29, v20
	v_and_b32_e32 v21, 7, v21
	v_cmp_eq_u16_e32 vcc, 0, v14
	v_cndmask_b32_e32 v10, v10, v21, vcc
	v_cndmask_b32_e32 v14, v14, v20, vcc
	v_lshlrev_b32_e32 v20, 24, v15
	v_mov_b32_e32 v21, 0x3b800000
	v_lshlrev_b32_e32 v10, 20, v10
	v_and_b32_e32 v20, 0x80000000, v20
	v_lshl_add_u32 v14, v14, 23, v21
	v_or3_b32 v10, v20, v14, v10
.LBB52_1316:
	s_or_b64 exec, exec, s[6:7]
	s_movk_i32 s4, 0x7f
	v_cmp_gt_i16_sdwa s[6:7], v11, s4 src0_sel:BYTE_0 src1_sel:DWORD
	s_mov_b64 s[4:5], 0
                                        ; implicit-def: $sgpr10
	s_and_saveexec_b64 s[8:9], s[6:7]
	s_xor_b64 s[6:7], exec, s[8:9]
	s_cbranch_execnz .LBB52_3365
; %bb.1317:
	s_or_saveexec_b64 s[6:7], s[6:7]
	v_mov_b32_e32 v14, s10
	s_xor_b64 exec, exec, s[6:7]
	s_cbranch_execnz .LBB52_3368
.LBB52_1318:
	s_or_b64 exec, exec, s[6:7]
	s_and_saveexec_b64 s[6:7], s[4:5]
	s_cbranch_execz .LBB52_1320
.LBB52_1319:
	v_and_b32_e32 v14, 7, v11
	v_ffbh_u32_e32 v21, v14
	v_min_u32_e32 v21, 32, v21
	v_lshrrev_b16_e32 v20, 3, v11
	v_subrev_u32_e32 v22, 28, v21
	v_and_b32_e32 v20, 15, v20
	v_lshlrev_b32_e32 v22, v22, v11
	v_sub_u32_e32 v21, 29, v21
	v_and_b32_e32 v22, 7, v22
	v_cmp_eq_u16_e32 vcc, 0, v20
	v_cndmask_b32_e32 v14, v14, v22, vcc
	v_cndmask_b32_e32 v20, v20, v21, vcc
	v_lshlrev_b32_e32 v21, 24, v11
	v_mov_b32_e32 v22, 0x3b800000
	v_lshlrev_b32_e32 v14, 20, v14
	v_and_b32_e32 v21, 0x80000000, v21
	v_lshl_add_u32 v20, v20, 23, v22
	v_or3_b32 v14, v21, v20, v14
.LBB52_1320:
	s_or_b64 exec, exec, s[6:7]
	s_nop 0
	v_mfma_f32_16x16x4f32 a[0:3], v10, v14, a[0:3]
	v_lshrrev_b32_e32 v14, 8, v15
	s_movk_i32 s4, 0x7f
	v_cmp_gt_i16_sdwa s[6:7], v14, s4 src0_sel:BYTE_0 src1_sel:DWORD
	s_mov_b64 s[4:5], 0
                                        ; implicit-def: $sgpr10
	s_and_saveexec_b64 s[8:9], s[6:7]
	s_xor_b64 s[6:7], exec, s[8:9]
	s_cbranch_execnz .LBB52_3369
; %bb.1321:
	s_or_saveexec_b64 s[6:7], s[6:7]
	v_mov_b32_e32 v10, s10
	s_xor_b64 exec, exec, s[6:7]
	s_cbranch_execnz .LBB52_3372
.LBB52_1322:
	s_or_b64 exec, exec, s[6:7]
	s_and_saveexec_b64 s[6:7], s[4:5]
	s_cbranch_execz .LBB52_1324
.LBB52_1323:
	v_bfe_u32 v10, v15, 8, 3
	v_ffbh_u32_e32 v21, v10
	v_min_u32_e32 v21, 32, v21
	v_lshrrev_b16_e32 v20, 3, v14
	v_subrev_u32_e32 v22, 28, v21
	v_and_b32_e32 v20, 15, v20
	v_lshlrev_b32_e32 v14, v22, v14
	v_sub_u32_e32 v21, 29, v21
	v_and_b32_e32 v14, 7, v14
	v_cmp_eq_u16_e32 vcc, 0, v20
	v_cndmask_b32_e32 v10, v10, v14, vcc
	v_cndmask_b32_e32 v14, v20, v21, vcc
	v_lshlrev_b32_e32 v20, 16, v15
	v_mov_b32_e32 v21, 0x3b800000
	v_lshlrev_b32_e32 v10, 20, v10
	v_and_b32_e32 v20, 0x80000000, v20
	v_lshl_add_u32 v14, v14, 23, v21
	v_or3_b32 v10, v20, v14, v10
.LBB52_1324:
	s_or_b64 exec, exec, s[6:7]
	v_lshrrev_b32_e32 v14, 8, v11
	s_movk_i32 s4, 0x7f
	v_cmp_gt_i16_sdwa s[6:7], v14, s4 src0_sel:BYTE_0 src1_sel:DWORD
	s_mov_b64 s[4:5], 0
                                        ; implicit-def: $sgpr10
	s_and_saveexec_b64 s[8:9], s[6:7]
	s_xor_b64 s[6:7], exec, s[8:9]
	s_cbranch_execnz .LBB52_3373
; %bb.1325:
	s_or_saveexec_b64 s[6:7], s[6:7]
	v_mov_b32_e32 v20, s10
	s_xor_b64 exec, exec, s[6:7]
	s_cbranch_execnz .LBB52_3376
.LBB52_1326:
	s_or_b64 exec, exec, s[6:7]
	s_and_saveexec_b64 s[6:7], s[4:5]
	s_cbranch_execz .LBB52_1328
.LBB52_1327:
	v_bfe_u32 v20, v11, 8, 3
	v_ffbh_u32_e32 v22, v20
	v_min_u32_e32 v22, 32, v22
	v_lshrrev_b16_e32 v21, 3, v14
	v_subrev_u32_e32 v23, 28, v22
	v_and_b32_e32 v21, 15, v21
	v_lshlrev_b32_e32 v14, v23, v14
	v_sub_u32_e32 v22, 29, v22
	v_and_b32_e32 v14, 7, v14
	v_cmp_eq_u16_e32 vcc, 0, v21
	v_cndmask_b32_e32 v14, v20, v14, vcc
	v_cndmask_b32_e32 v20, v21, v22, vcc
	v_lshlrev_b32_e32 v21, 16, v11
	v_mov_b32_e32 v22, 0x3b800000
	v_lshlrev_b32_e32 v14, 20, v14
	v_and_b32_e32 v21, 0x80000000, v21
	v_lshl_add_u32 v20, v20, 23, v22
	v_or3_b32 v20, v21, v20, v14
.LBB52_1328:
	s_or_b64 exec, exec, s[6:7]
	s_nop 0
	v_mfma_f32_16x16x4f32 a[0:3], v10, v20, a[0:3]
	s_movk_i32 s4, 0xff
	v_and_b32_sdwa v14, v15, s4 dst_sel:DWORD dst_unused:UNUSED_PAD src0_sel:WORD_1 src1_sel:DWORD
	s_movk_i32 s4, 0x7f
	v_cmp_lt_i16_e32 vcc, s4, v14
	s_mov_b64 s[4:5], 0
                                        ; implicit-def: $sgpr10
	s_and_saveexec_b64 s[6:7], vcc
	s_xor_b64 s[6:7], exec, s[6:7]
	s_cbranch_execnz .LBB52_3377
; %bb.1329:
	s_or_saveexec_b64 s[6:7], s[6:7]
	v_mov_b32_e32 v10, s10
	s_xor_b64 exec, exec, s[6:7]
	s_cbranch_execnz .LBB52_3380
.LBB52_1330:
	s_or_b64 exec, exec, s[6:7]
	s_and_saveexec_b64 s[6:7], s[4:5]
	s_cbranch_execz .LBB52_1332
.LBB52_1331:
	v_bfe_u32 v10, v15, 16, 3
	v_ffbh_u32_e32 v21, v10
	v_min_u32_e32 v21, 32, v21
	v_lshrrev_b32_e32 v14, 19, v15
	v_subrev_u32_e32 v22, 28, v21
	v_and_b32_e32 v14, 15, v14
	v_lshlrev_b32_sdwa v22, v22, v15 dst_sel:DWORD dst_unused:UNUSED_PAD src0_sel:DWORD src1_sel:WORD_1
	v_bfe_u32 v20, v15, 19, 4
	v_sub_u32_e32 v21, 29, v21
	v_and_b32_e32 v22, 7, v22
	v_cmp_eq_u16_e32 vcc, 0, v14
	v_cndmask_b32_e32 v10, v10, v22, vcc
	v_cndmask_b32_e32 v14, v20, v21, vcc
	v_lshlrev_b32_e32 v20, 8, v15
	v_mov_b32_e32 v21, 0x3b800000
	v_lshlrev_b32_e32 v10, 20, v10
	v_and_b32_e32 v20, 0x80000000, v20
	v_lshl_add_u32 v14, v14, 23, v21
	v_or3_b32 v10, v20, v14, v10
.LBB52_1332:
	s_or_b64 exec, exec, s[6:7]
	s_movk_i32 s4, 0xff
	v_and_b32_sdwa v14, v11, s4 dst_sel:DWORD dst_unused:UNUSED_PAD src0_sel:WORD_1 src1_sel:DWORD
	s_movk_i32 s4, 0x7f
	v_cmp_lt_i16_e32 vcc, s4, v14
	s_mov_b64 s[4:5], 0
                                        ; implicit-def: $sgpr10
	s_and_saveexec_b64 s[6:7], vcc
	s_xor_b64 s[6:7], exec, s[6:7]
	s_cbranch_execnz .LBB52_3381
; %bb.1333:
	s_or_saveexec_b64 s[6:7], s[6:7]
	v_mov_b32_e32 v20, s10
	s_xor_b64 exec, exec, s[6:7]
	s_cbranch_execnz .LBB52_3384
.LBB52_1334:
	s_or_b64 exec, exec, s[6:7]
	s_and_saveexec_b64 s[6:7], s[4:5]
	s_cbranch_execz .LBB52_1336
.LBB52_1335:
	v_bfe_u32 v14, v11, 16, 3
	v_ffbh_u32_e32 v22, v14
	v_min_u32_e32 v22, 32, v22
	v_lshrrev_b32_e32 v20, 19, v11
	v_subrev_u32_e32 v23, 28, v22
	v_and_b32_e32 v20, 15, v20
	v_lshlrev_b32_sdwa v23, v23, v11 dst_sel:DWORD dst_unused:UNUSED_PAD src0_sel:DWORD src1_sel:WORD_1
	v_bfe_u32 v21, v11, 19, 4
	v_sub_u32_e32 v22, 29, v22
	v_and_b32_e32 v23, 7, v23
	v_cmp_eq_u16_e32 vcc, 0, v20
	v_cndmask_b32_e32 v14, v14, v23, vcc
	v_cndmask_b32_e32 v20, v21, v22, vcc
	v_lshlrev_b32_e32 v21, 8, v11
	v_mov_b32_e32 v22, 0x3b800000
	v_lshlrev_b32_e32 v14, 20, v14
	v_and_b32_e32 v21, 0x80000000, v21
	v_lshl_add_u32 v20, v20, 23, v22
	v_or3_b32 v20, v21, v20, v14
.LBB52_1336:
	s_or_b64 exec, exec, s[6:7]
	s_nop 0
	v_mfma_f32_16x16x4f32 a[0:3], v10, v20, a[0:3]
	s_movk_i32 s4, 0x7f
	v_cmp_gt_i16_sdwa s[6:7], v15, s4 src0_sel:BYTE_3 src1_sel:DWORD
	s_mov_b64 s[4:5], 0
                                        ; implicit-def: $sgpr10
	s_and_saveexec_b64 s[8:9], s[6:7]
	s_xor_b64 s[6:7], exec, s[8:9]
	s_cbranch_execnz .LBB52_3385
; %bb.1337:
	s_or_saveexec_b64 s[6:7], s[6:7]
	v_mov_b32_e32 v10, s10
	s_xor_b64 exec, exec, s[6:7]
	s_cbranch_execnz .LBB52_3388
.LBB52_1338:
	s_or_b64 exec, exec, s[6:7]
	s_and_saveexec_b64 s[6:7], s[4:5]
	s_cbranch_execz .LBB52_1340
.LBB52_1339:
	v_bfe_u32 v10, v15, 24, 3
	v_ffbh_u32_e32 v22, v10
	v_min_u32_e32 v22, 32, v22
	v_lshrrev_b32_e32 v20, 27, v15
	v_subrev_u32_e32 v23, 28, v22
	v_and_b32_e32 v14, 0x80000000, v15
	v_and_b32_e32 v20, 15, v20
	v_bfe_u32 v21, v15, 27, 4
	v_lshlrev_b32_sdwa v15, v23, v15 dst_sel:DWORD dst_unused:UNUSED_PAD src0_sel:DWORD src1_sel:BYTE_3
	v_sub_u32_e32 v22, 29, v22
	v_and_b32_e32 v15, 7, v15
	v_cmp_eq_u16_e32 vcc, 0, v20
	v_cndmask_b32_e32 v10, v10, v15, vcc
	v_cndmask_b32_e32 v15, v21, v22, vcc
	v_mov_b32_e32 v20, 0x3b800000
	v_lshlrev_b32_e32 v10, 20, v10
	v_lshl_add_u32 v15, v15, 23, v20
	v_or3_b32 v10, v14, v15, v10
.LBB52_1340:
	s_or_b64 exec, exec, s[6:7]
	s_movk_i32 s4, 0x7f
	v_cmp_gt_i16_sdwa s[6:7], v11, s4 src0_sel:BYTE_3 src1_sel:DWORD
	s_mov_b64 s[4:5], 0
                                        ; implicit-def: $sgpr10
	s_and_saveexec_b64 s[8:9], s[6:7]
	s_xor_b64 s[6:7], exec, s[8:9]
	s_cbranch_execnz .LBB52_3389
; %bb.1341:
	s_or_saveexec_b64 s[6:7], s[6:7]
	v_mov_b32_e32 v14, s10
	s_xor_b64 exec, exec, s[6:7]
	s_cbranch_execnz .LBB52_3392
.LBB52_1342:
	s_or_b64 exec, exec, s[6:7]
	s_and_saveexec_b64 s[6:7], s[4:5]
	s_cbranch_execz .LBB52_1344
.LBB52_1343:
	v_bfe_u32 v14, v11, 24, 3
	v_ffbh_u32_e32 v22, v14
	v_min_u32_e32 v22, 32, v22
	v_lshrrev_b32_e32 v20, 27, v11
	v_subrev_u32_e32 v23, 28, v22
	v_and_b32_e32 v15, 0x80000000, v11
	v_and_b32_e32 v20, 15, v20
	v_bfe_u32 v21, v11, 27, 4
	v_lshlrev_b32_sdwa v11, v23, v11 dst_sel:DWORD dst_unused:UNUSED_PAD src0_sel:DWORD src1_sel:BYTE_3
	v_sub_u32_e32 v22, 29, v22
	v_and_b32_e32 v11, 7, v11
	v_cmp_eq_u16_e32 vcc, 0, v20
	v_cndmask_b32_e32 v11, v14, v11, vcc
	v_cndmask_b32_e32 v14, v21, v22, vcc
	v_mov_b32_e32 v20, 0x3b800000
	v_lshlrev_b32_e32 v11, 20, v11
	v_lshl_add_u32 v14, v14, 23, v20
	v_or3_b32 v14, v15, v14, v11
.LBB52_1344:
	s_or_b64 exec, exec, s[6:7]
	s_nop 0
	v_mfma_f32_16x16x4f32 a[0:3], v10, v14, a[0:3]
	s_movk_i32 s4, 0x7f
	v_cmp_gt_i16_sdwa s[6:7], v16, s4 src0_sel:BYTE_0 src1_sel:DWORD
	s_mov_b64 s[4:5], 0
                                        ; implicit-def: $sgpr10
	s_and_saveexec_b64 s[8:9], s[6:7]
	s_xor_b64 s[6:7], exec, s[8:9]
	s_cbranch_execnz .LBB52_3393
; %bb.1345:
	s_or_saveexec_b64 s[6:7], s[6:7]
	v_mov_b32_e32 v10, s10
	s_xor_b64 exec, exec, s[6:7]
	s_cbranch_execnz .LBB52_3396
.LBB52_1346:
	s_or_b64 exec, exec, s[6:7]
	s_and_saveexec_b64 s[6:7], s[4:5]
	s_cbranch_execz .LBB52_1348
.LBB52_1347:
	v_and_b32_e32 v10, 7, v16
	v_ffbh_u32_e32 v14, v10
	v_min_u32_e32 v14, 32, v14
	v_lshrrev_b16_e32 v11, 3, v16
	v_subrev_u32_e32 v15, 28, v14
	v_and_b32_e32 v11, 15, v11
	v_lshlrev_b32_e32 v15, v15, v16
	v_sub_u32_e32 v14, 29, v14
	v_and_b32_e32 v15, 7, v15
	v_cmp_eq_u16_e32 vcc, 0, v11
	v_cndmask_b32_e32 v10, v10, v15, vcc
	v_cndmask_b32_e32 v11, v11, v14, vcc
	v_lshlrev_b32_e32 v14, 24, v16
	v_mov_b32_e32 v15, 0x3b800000
	v_lshlrev_b32_e32 v10, 20, v10
	v_and_b32_e32 v14, 0x80000000, v14
	v_lshl_add_u32 v11, v11, 23, v15
	v_or3_b32 v10, v14, v11, v10
.LBB52_1348:
	s_or_b64 exec, exec, s[6:7]
	s_movk_i32 s4, 0x7f
	v_cmp_gt_i16_sdwa s[6:7], v12, s4 src0_sel:BYTE_0 src1_sel:DWORD
	s_mov_b64 s[4:5], 0
                                        ; implicit-def: $sgpr10
	s_and_saveexec_b64 s[8:9], s[6:7]
	s_xor_b64 s[6:7], exec, s[8:9]
	s_cbranch_execnz .LBB52_3397
; %bb.1349:
	s_or_saveexec_b64 s[6:7], s[6:7]
	v_mov_b32_e32 v11, s10
	s_xor_b64 exec, exec, s[6:7]
	s_cbranch_execnz .LBB52_3400
.LBB52_1350:
	s_or_b64 exec, exec, s[6:7]
	s_and_saveexec_b64 s[6:7], s[4:5]
	s_cbranch_execz .LBB52_1352
.LBB52_1351:
	v_and_b32_e32 v11, 7, v12
	v_ffbh_u32_e32 v15, v11
	v_min_u32_e32 v15, 32, v15
	v_lshrrev_b16_e32 v14, 3, v12
	v_subrev_u32_e32 v20, 28, v15
	v_and_b32_e32 v14, 15, v14
	v_lshlrev_b32_e32 v20, v20, v12
	v_sub_u32_e32 v15, 29, v15
	v_and_b32_e32 v20, 7, v20
	v_cmp_eq_u16_e32 vcc, 0, v14
	v_cndmask_b32_e32 v11, v11, v20, vcc
	v_cndmask_b32_e32 v14, v14, v15, vcc
	v_lshlrev_b32_e32 v15, 24, v12
	v_mov_b32_e32 v20, 0x3b800000
	v_lshlrev_b32_e32 v11, 20, v11
	v_and_b32_e32 v15, 0x80000000, v15
	v_lshl_add_u32 v14, v14, 23, v20
	v_or3_b32 v11, v15, v14, v11
.LBB52_1352:
	s_or_b64 exec, exec, s[6:7]
	s_nop 0
	v_mfma_f32_16x16x4f32 a[0:3], v10, v11, a[0:3]
	v_lshrrev_b32_e32 v11, 8, v16
	s_movk_i32 s4, 0x7f
	v_cmp_gt_i16_sdwa s[6:7], v11, s4 src0_sel:BYTE_0 src1_sel:DWORD
	s_mov_b64 s[4:5], 0
                                        ; implicit-def: $sgpr10
	s_and_saveexec_b64 s[8:9], s[6:7]
	s_xor_b64 s[6:7], exec, s[8:9]
	s_cbranch_execnz .LBB52_3401
; %bb.1353:
	s_or_saveexec_b64 s[6:7], s[6:7]
	v_mov_b32_e32 v10, s10
	s_xor_b64 exec, exec, s[6:7]
	s_cbranch_execnz .LBB52_3404
.LBB52_1354:
	s_or_b64 exec, exec, s[6:7]
	s_and_saveexec_b64 s[6:7], s[4:5]
	s_cbranch_execz .LBB52_1356
.LBB52_1355:
	v_bfe_u32 v10, v16, 8, 3
	v_ffbh_u32_e32 v15, v10
	v_min_u32_e32 v15, 32, v15
	v_lshrrev_b16_e32 v14, 3, v11
	v_subrev_u32_e32 v20, 28, v15
	v_and_b32_e32 v14, 15, v14
	v_lshlrev_b32_e32 v11, v20, v11
	v_sub_u32_e32 v15, 29, v15
	v_and_b32_e32 v11, 7, v11
	v_cmp_eq_u16_e32 vcc, 0, v14
	v_cndmask_b32_e32 v10, v10, v11, vcc
	v_cndmask_b32_e32 v11, v14, v15, vcc
	v_lshlrev_b32_e32 v14, 16, v16
	v_mov_b32_e32 v15, 0x3b800000
	v_lshlrev_b32_e32 v10, 20, v10
	v_and_b32_e32 v14, 0x80000000, v14
	v_lshl_add_u32 v11, v11, 23, v15
	v_or3_b32 v10, v14, v11, v10
.LBB52_1356:
	s_or_b64 exec, exec, s[6:7]
	v_lshrrev_b32_e32 v11, 8, v12
	s_movk_i32 s4, 0x7f
	v_cmp_gt_i16_sdwa s[6:7], v11, s4 src0_sel:BYTE_0 src1_sel:DWORD
	s_mov_b64 s[4:5], 0
                                        ; implicit-def: $sgpr10
	s_and_saveexec_b64 s[8:9], s[6:7]
	s_xor_b64 s[6:7], exec, s[8:9]
	s_cbranch_execnz .LBB52_3405
; %bb.1357:
	s_or_saveexec_b64 s[6:7], s[6:7]
	v_mov_b32_e32 v14, s10
	s_xor_b64 exec, exec, s[6:7]
	s_cbranch_execnz .LBB52_3408
.LBB52_1358:
	s_or_b64 exec, exec, s[6:7]
	s_and_saveexec_b64 s[6:7], s[4:5]
	s_cbranch_execz .LBB52_1360
.LBB52_1359:
	v_bfe_u32 v14, v12, 8, 3
	v_ffbh_u32_e32 v20, v14
	v_min_u32_e32 v20, 32, v20
	v_lshrrev_b16_e32 v15, 3, v11
	v_subrev_u32_e32 v21, 28, v20
	v_and_b32_e32 v15, 15, v15
	v_lshlrev_b32_e32 v11, v21, v11
	v_sub_u32_e32 v20, 29, v20
	v_and_b32_e32 v11, 7, v11
	v_cmp_eq_u16_e32 vcc, 0, v15
	v_cndmask_b32_e32 v11, v14, v11, vcc
	v_cndmask_b32_e32 v14, v15, v20, vcc
	v_lshlrev_b32_e32 v15, 16, v12
	v_mov_b32_e32 v20, 0x3b800000
	v_lshlrev_b32_e32 v11, 20, v11
	v_and_b32_e32 v15, 0x80000000, v15
	v_lshl_add_u32 v14, v14, 23, v20
	v_or3_b32 v14, v15, v14, v11
.LBB52_1360:
	s_or_b64 exec, exec, s[6:7]
	s_nop 0
	v_mfma_f32_16x16x4f32 a[0:3], v10, v14, a[0:3]
	s_movk_i32 s4, 0xff
	v_and_b32_sdwa v11, v16, s4 dst_sel:DWORD dst_unused:UNUSED_PAD src0_sel:WORD_1 src1_sel:DWORD
	s_movk_i32 s4, 0x7f
	v_cmp_lt_i16_e32 vcc, s4, v11
	s_mov_b64 s[4:5], 0
                                        ; implicit-def: $sgpr10
	s_and_saveexec_b64 s[6:7], vcc
	s_xor_b64 s[6:7], exec, s[6:7]
	s_cbranch_execnz .LBB52_3409
; %bb.1361:
	s_or_saveexec_b64 s[6:7], s[6:7]
	v_mov_b32_e32 v10, s10
	s_xor_b64 exec, exec, s[6:7]
	s_cbranch_execnz .LBB52_3412
.LBB52_1362:
	s_or_b64 exec, exec, s[6:7]
	s_and_saveexec_b64 s[6:7], s[4:5]
	s_cbranch_execz .LBB52_1364
.LBB52_1363:
	v_bfe_u32 v10, v16, 16, 3
	v_ffbh_u32_e32 v15, v10
	v_min_u32_e32 v15, 32, v15
	v_lshrrev_b32_e32 v11, 19, v16
	v_subrev_u32_e32 v20, 28, v15
	v_and_b32_e32 v11, 15, v11
	v_lshlrev_b32_sdwa v20, v20, v16 dst_sel:DWORD dst_unused:UNUSED_PAD src0_sel:DWORD src1_sel:WORD_1
	v_bfe_u32 v14, v16, 19, 4
	v_sub_u32_e32 v15, 29, v15
	v_and_b32_e32 v20, 7, v20
	v_cmp_eq_u16_e32 vcc, 0, v11
	v_cndmask_b32_e32 v10, v10, v20, vcc
	v_cndmask_b32_e32 v11, v14, v15, vcc
	v_lshlrev_b32_e32 v14, 8, v16
	v_mov_b32_e32 v15, 0x3b800000
	v_lshlrev_b32_e32 v10, 20, v10
	v_and_b32_e32 v14, 0x80000000, v14
	v_lshl_add_u32 v11, v11, 23, v15
	v_or3_b32 v10, v14, v11, v10
.LBB52_1364:
	s_or_b64 exec, exec, s[6:7]
	s_movk_i32 s4, 0xff
	v_and_b32_sdwa v11, v12, s4 dst_sel:DWORD dst_unused:UNUSED_PAD src0_sel:WORD_1 src1_sel:DWORD
	s_movk_i32 s4, 0x7f
	v_cmp_lt_i16_e32 vcc, s4, v11
	s_mov_b64 s[4:5], 0
                                        ; implicit-def: $sgpr10
	s_and_saveexec_b64 s[6:7], vcc
	s_xor_b64 s[6:7], exec, s[6:7]
	s_cbranch_execnz .LBB52_3413
; %bb.1365:
	s_or_saveexec_b64 s[6:7], s[6:7]
	v_mov_b32_e32 v14, s10
	s_xor_b64 exec, exec, s[6:7]
	s_cbranch_execnz .LBB52_3416
.LBB52_1366:
	s_or_b64 exec, exec, s[6:7]
	s_and_saveexec_b64 s[6:7], s[4:5]
	s_cbranch_execz .LBB52_1368
.LBB52_1367:
	v_bfe_u32 v11, v12, 16, 3
	v_ffbh_u32_e32 v20, v11
	v_min_u32_e32 v20, 32, v20
	v_lshrrev_b32_e32 v14, 19, v12
	v_subrev_u32_e32 v21, 28, v20
	v_and_b32_e32 v14, 15, v14
	v_lshlrev_b32_sdwa v21, v21, v12 dst_sel:DWORD dst_unused:UNUSED_PAD src0_sel:DWORD src1_sel:WORD_1
	v_bfe_u32 v15, v12, 19, 4
	v_sub_u32_e32 v20, 29, v20
	v_and_b32_e32 v21, 7, v21
	v_cmp_eq_u16_e32 vcc, 0, v14
	v_cndmask_b32_e32 v11, v11, v21, vcc
	v_cndmask_b32_e32 v14, v15, v20, vcc
	v_lshlrev_b32_e32 v15, 8, v12
	v_mov_b32_e32 v20, 0x3b800000
	v_lshlrev_b32_e32 v11, 20, v11
	v_and_b32_e32 v15, 0x80000000, v15
	v_lshl_add_u32 v14, v14, 23, v20
	v_or3_b32 v14, v15, v14, v11
.LBB52_1368:
	s_or_b64 exec, exec, s[6:7]
	s_nop 0
	v_mfma_f32_16x16x4f32 a[0:3], v10, v14, a[0:3]
	s_movk_i32 s4, 0x7f
	v_cmp_gt_i16_sdwa s[6:7], v16, s4 src0_sel:BYTE_3 src1_sel:DWORD
	s_mov_b64 s[4:5], 0
                                        ; implicit-def: $sgpr10
	s_and_saveexec_b64 s[8:9], s[6:7]
	s_xor_b64 s[6:7], exec, s[8:9]
	s_cbranch_execnz .LBB52_3417
; %bb.1369:
	s_or_saveexec_b64 s[6:7], s[6:7]
	v_mov_b32_e32 v10, s10
	s_xor_b64 exec, exec, s[6:7]
	s_cbranch_execnz .LBB52_3420
.LBB52_1370:
	s_or_b64 exec, exec, s[6:7]
	s_and_saveexec_b64 s[6:7], s[4:5]
	s_cbranch_execz .LBB52_1372
.LBB52_1371:
	v_bfe_u32 v10, v16, 24, 3
	v_ffbh_u32_e32 v20, v10
	v_min_u32_e32 v20, 32, v20
	v_lshrrev_b32_e32 v14, 27, v16
	v_subrev_u32_e32 v21, 28, v20
	v_and_b32_e32 v11, 0x80000000, v16
	v_and_b32_e32 v14, 15, v14
	v_bfe_u32 v15, v16, 27, 4
	v_lshlrev_b32_sdwa v16, v21, v16 dst_sel:DWORD dst_unused:UNUSED_PAD src0_sel:DWORD src1_sel:BYTE_3
	v_sub_u32_e32 v20, 29, v20
	v_and_b32_e32 v16, 7, v16
	v_cmp_eq_u16_e32 vcc, 0, v14
	v_cndmask_b32_e32 v10, v10, v16, vcc
	v_cndmask_b32_e32 v14, v15, v20, vcc
	v_mov_b32_e32 v15, 0x3b800000
	v_lshlrev_b32_e32 v10, 20, v10
	v_lshl_add_u32 v14, v14, 23, v15
	v_or3_b32 v10, v11, v14, v10
.LBB52_1372:
	s_or_b64 exec, exec, s[6:7]
	s_movk_i32 s4, 0x7f
	v_cmp_gt_i16_sdwa s[6:7], v12, s4 src0_sel:BYTE_3 src1_sel:DWORD
	s_mov_b64 s[4:5], 0
                                        ; implicit-def: $sgpr10
	s_and_saveexec_b64 s[8:9], s[6:7]
	s_xor_b64 s[6:7], exec, s[8:9]
	s_cbranch_execnz .LBB52_3421
; %bb.1373:
	s_or_saveexec_b64 s[6:7], s[6:7]
	v_mov_b32_e32 v11, s10
	s_xor_b64 exec, exec, s[6:7]
	s_cbranch_execnz .LBB52_3424
.LBB52_1374:
	s_or_b64 exec, exec, s[6:7]
	s_and_saveexec_b64 s[6:7], s[4:5]
	s_cbranch_execz .LBB52_1376
.LBB52_1375:
	v_bfe_u32 v11, v12, 24, 3
	v_ffbh_u32_e32 v20, v11
	v_min_u32_e32 v20, 32, v20
	v_lshrrev_b32_e32 v15, 27, v12
	v_subrev_u32_e32 v21, 28, v20
	v_and_b32_e32 v14, 0x80000000, v12
	v_and_b32_e32 v15, 15, v15
	v_bfe_u32 v16, v12, 27, 4
	v_lshlrev_b32_sdwa v12, v21, v12 dst_sel:DWORD dst_unused:UNUSED_PAD src0_sel:DWORD src1_sel:BYTE_3
	v_sub_u32_e32 v20, 29, v20
	v_and_b32_e32 v12, 7, v12
	v_cmp_eq_u16_e32 vcc, 0, v15
	v_cndmask_b32_e32 v11, v11, v12, vcc
	v_cndmask_b32_e32 v12, v16, v20, vcc
	v_mov_b32_e32 v15, 0x3b800000
	v_lshlrev_b32_e32 v11, 20, v11
	v_lshl_add_u32 v12, v12, 23, v15
	v_or3_b32 v11, v14, v12, v11
.LBB52_1376:
	s_or_b64 exec, exec, s[6:7]
	s_nop 0
	v_mfma_f32_16x16x4f32 a[0:3], v10, v11, a[0:3]
	s_movk_i32 s4, 0x7f
	v_cmp_gt_i16_sdwa s[6:7], v17, s4 src0_sel:BYTE_0 src1_sel:DWORD
	s_mov_b64 s[4:5], 0
                                        ; implicit-def: $sgpr10
	s_and_saveexec_b64 s[8:9], s[6:7]
	s_xor_b64 s[6:7], exec, s[8:9]
	s_cbranch_execnz .LBB52_3425
; %bb.1377:
	s_or_saveexec_b64 s[6:7], s[6:7]
	v_mov_b32_e32 v10, s10
	s_xor_b64 exec, exec, s[6:7]
	s_cbranch_execnz .LBB52_3428
.LBB52_1378:
	s_or_b64 exec, exec, s[6:7]
	s_and_saveexec_b64 s[6:7], s[4:5]
	s_cbranch_execz .LBB52_1380
.LBB52_1379:
	v_and_b32_e32 v10, 7, v17
	v_ffbh_u32_e32 v12, v10
	v_min_u32_e32 v12, 32, v12
	v_lshrrev_b16_e32 v11, 3, v17
	v_subrev_u32_e32 v14, 28, v12
	v_and_b32_e32 v11, 15, v11
	v_lshlrev_b32_e32 v14, v14, v17
	v_sub_u32_e32 v12, 29, v12
	v_and_b32_e32 v14, 7, v14
	v_cmp_eq_u16_e32 vcc, 0, v11
	v_cndmask_b32_e32 v10, v10, v14, vcc
	v_cndmask_b32_e32 v11, v11, v12, vcc
	v_lshlrev_b32_e32 v12, 24, v17
	v_mov_b32_e32 v14, 0x3b800000
	v_lshlrev_b32_e32 v10, 20, v10
	v_and_b32_e32 v12, 0x80000000, v12
	v_lshl_add_u32 v11, v11, 23, v14
	v_or3_b32 v10, v12, v11, v10
.LBB52_1380:
	s_or_b64 exec, exec, s[6:7]
	s_movk_i32 s4, 0x7f
	v_cmp_gt_i16_sdwa s[6:7], v13, s4 src0_sel:BYTE_0 src1_sel:DWORD
	s_mov_b64 s[4:5], 0
                                        ; implicit-def: $sgpr10
	s_and_saveexec_b64 s[8:9], s[6:7]
	s_xor_b64 s[6:7], exec, s[8:9]
	s_cbranch_execnz .LBB52_3429
; %bb.1381:
	s_or_saveexec_b64 s[6:7], s[6:7]
	v_mov_b32_e32 v11, s10
	s_xor_b64 exec, exec, s[6:7]
	s_cbranch_execnz .LBB52_3432
.LBB52_1382:
	s_or_b64 exec, exec, s[6:7]
	s_and_saveexec_b64 s[6:7], s[4:5]
	s_cbranch_execz .LBB52_1384
.LBB52_1383:
	v_and_b32_e32 v11, 7, v13
	v_ffbh_u32_e32 v14, v11
	v_min_u32_e32 v14, 32, v14
	v_lshrrev_b16_e32 v12, 3, v13
	v_subrev_u32_e32 v15, 28, v14
	v_and_b32_e32 v12, 15, v12
	v_lshlrev_b32_e32 v15, v15, v13
	v_sub_u32_e32 v14, 29, v14
	v_and_b32_e32 v15, 7, v15
	v_cmp_eq_u16_e32 vcc, 0, v12
	v_cndmask_b32_e32 v11, v11, v15, vcc
	v_cndmask_b32_e32 v12, v12, v14, vcc
	v_lshlrev_b32_e32 v14, 24, v13
	v_mov_b32_e32 v15, 0x3b800000
	v_lshlrev_b32_e32 v11, 20, v11
	v_and_b32_e32 v14, 0x80000000, v14
	v_lshl_add_u32 v12, v12, 23, v15
	v_or3_b32 v11, v14, v12, v11
.LBB52_1384:
	s_or_b64 exec, exec, s[6:7]
	s_nop 0
	v_mfma_f32_16x16x4f32 a[0:3], v10, v11, a[0:3]
	v_lshrrev_b32_e32 v11, 8, v17
	s_movk_i32 s4, 0x7f
	v_cmp_gt_i16_sdwa s[6:7], v11, s4 src0_sel:BYTE_0 src1_sel:DWORD
	s_mov_b64 s[4:5], 0
                                        ; implicit-def: $sgpr10
	s_and_saveexec_b64 s[8:9], s[6:7]
	s_xor_b64 s[6:7], exec, s[8:9]
	s_cbranch_execnz .LBB52_3433
; %bb.1385:
	s_or_saveexec_b64 s[6:7], s[6:7]
	v_mov_b32_e32 v10, s10
	s_xor_b64 exec, exec, s[6:7]
	s_cbranch_execnz .LBB52_3436
.LBB52_1386:
	s_or_b64 exec, exec, s[6:7]
	s_and_saveexec_b64 s[6:7], s[4:5]
	s_cbranch_execz .LBB52_1388
.LBB52_1387:
	v_bfe_u32 v10, v17, 8, 3
	v_ffbh_u32_e32 v14, v10
	v_min_u32_e32 v14, 32, v14
	v_lshrrev_b16_e32 v12, 3, v11
	v_subrev_u32_e32 v15, 28, v14
	v_and_b32_e32 v12, 15, v12
	v_lshlrev_b32_e32 v11, v15, v11
	v_sub_u32_e32 v14, 29, v14
	v_and_b32_e32 v11, 7, v11
	v_cmp_eq_u16_e32 vcc, 0, v12
	v_cndmask_b32_e32 v10, v10, v11, vcc
	v_cndmask_b32_e32 v11, v12, v14, vcc
	v_lshlrev_b32_e32 v12, 16, v17
	v_mov_b32_e32 v14, 0x3b800000
	v_lshlrev_b32_e32 v10, 20, v10
	v_and_b32_e32 v12, 0x80000000, v12
	v_lshl_add_u32 v11, v11, 23, v14
	v_or3_b32 v10, v12, v11, v10
.LBB52_1388:
	s_or_b64 exec, exec, s[6:7]
	v_lshrrev_b32_e32 v11, 8, v13
	s_movk_i32 s4, 0x7f
	v_cmp_gt_i16_sdwa s[6:7], v11, s4 src0_sel:BYTE_0 src1_sel:DWORD
	s_mov_b64 s[4:5], 0
                                        ; implicit-def: $sgpr10
	s_and_saveexec_b64 s[8:9], s[6:7]
	s_xor_b64 s[6:7], exec, s[8:9]
	s_cbranch_execnz .LBB52_3437
; %bb.1389:
	s_or_saveexec_b64 s[6:7], s[6:7]
	v_mov_b32_e32 v12, s10
	s_xor_b64 exec, exec, s[6:7]
	s_cbranch_execnz .LBB52_3440
.LBB52_1390:
	s_or_b64 exec, exec, s[6:7]
	s_and_saveexec_b64 s[6:7], s[4:5]
	s_cbranch_execz .LBB52_1392
.LBB52_1391:
	v_bfe_u32 v12, v13, 8, 3
	v_ffbh_u32_e32 v15, v12
	v_min_u32_e32 v15, 32, v15
	v_lshrrev_b16_e32 v14, 3, v11
	v_subrev_u32_e32 v16, 28, v15
	v_and_b32_e32 v14, 15, v14
	v_lshlrev_b32_e32 v11, v16, v11
	v_sub_u32_e32 v15, 29, v15
	v_and_b32_e32 v11, 7, v11
	v_cmp_eq_u16_e32 vcc, 0, v14
	v_cndmask_b32_e32 v11, v12, v11, vcc
	v_cndmask_b32_e32 v12, v14, v15, vcc
	v_lshlrev_b32_e32 v14, 16, v13
	v_mov_b32_e32 v15, 0x3b800000
	v_lshlrev_b32_e32 v11, 20, v11
	v_and_b32_e32 v14, 0x80000000, v14
	v_lshl_add_u32 v12, v12, 23, v15
	v_or3_b32 v12, v14, v12, v11
.LBB52_1392:
	s_or_b64 exec, exec, s[6:7]
	s_nop 0
	v_mfma_f32_16x16x4f32 a[0:3], v10, v12, a[0:3]
	s_movk_i32 s4, 0xff
	v_and_b32_sdwa v11, v17, s4 dst_sel:DWORD dst_unused:UNUSED_PAD src0_sel:WORD_1 src1_sel:DWORD
	s_movk_i32 s4, 0x7f
	v_cmp_lt_i16_e32 vcc, s4, v11
	s_mov_b64 s[4:5], 0
                                        ; implicit-def: $sgpr10
	s_and_saveexec_b64 s[6:7], vcc
	s_xor_b64 s[6:7], exec, s[6:7]
	s_cbranch_execnz .LBB52_3441
; %bb.1393:
	s_or_saveexec_b64 s[6:7], s[6:7]
	v_mov_b32_e32 v10, s10
	s_xor_b64 exec, exec, s[6:7]
	s_cbranch_execnz .LBB52_3444
.LBB52_1394:
	s_or_b64 exec, exec, s[6:7]
	s_and_saveexec_b64 s[6:7], s[4:5]
	s_cbranch_execz .LBB52_1396
.LBB52_1395:
	v_bfe_u32 v10, v17, 16, 3
	v_ffbh_u32_e32 v14, v10
	v_min_u32_e32 v14, 32, v14
	v_lshrrev_b32_e32 v11, 19, v17
	v_subrev_u32_e32 v15, 28, v14
	v_and_b32_e32 v11, 15, v11
	v_lshlrev_b32_sdwa v15, v15, v17 dst_sel:DWORD dst_unused:UNUSED_PAD src0_sel:DWORD src1_sel:WORD_1
	v_bfe_u32 v12, v17, 19, 4
	v_sub_u32_e32 v14, 29, v14
	v_and_b32_e32 v15, 7, v15
	v_cmp_eq_u16_e32 vcc, 0, v11
	v_cndmask_b32_e32 v10, v10, v15, vcc
	v_cndmask_b32_e32 v11, v12, v14, vcc
	v_lshlrev_b32_e32 v12, 8, v17
	v_mov_b32_e32 v14, 0x3b800000
	v_lshlrev_b32_e32 v10, 20, v10
	v_and_b32_e32 v12, 0x80000000, v12
	v_lshl_add_u32 v11, v11, 23, v14
	v_or3_b32 v10, v12, v11, v10
.LBB52_1396:
	s_or_b64 exec, exec, s[6:7]
	s_movk_i32 s4, 0xff
	v_and_b32_sdwa v11, v13, s4 dst_sel:DWORD dst_unused:UNUSED_PAD src0_sel:WORD_1 src1_sel:DWORD
	s_movk_i32 s4, 0x7f
	v_cmp_lt_i16_e32 vcc, s4, v11
	s_mov_b64 s[4:5], 0
                                        ; implicit-def: $sgpr10
	s_and_saveexec_b64 s[6:7], vcc
	s_xor_b64 s[6:7], exec, s[6:7]
	s_cbranch_execnz .LBB52_3445
; %bb.1397:
	s_or_saveexec_b64 s[6:7], s[6:7]
	v_mov_b32_e32 v12, s10
	s_xor_b64 exec, exec, s[6:7]
	s_cbranch_execnz .LBB52_3448
.LBB52_1398:
	s_or_b64 exec, exec, s[6:7]
	s_and_saveexec_b64 s[6:7], s[4:5]
	s_cbranch_execz .LBB52_1400
.LBB52_1399:
	v_bfe_u32 v11, v13, 16, 3
	v_ffbh_u32_e32 v15, v11
	v_min_u32_e32 v15, 32, v15
	v_lshrrev_b32_e32 v12, 19, v13
	v_subrev_u32_e32 v16, 28, v15
	v_and_b32_e32 v12, 15, v12
	v_lshlrev_b32_sdwa v16, v16, v13 dst_sel:DWORD dst_unused:UNUSED_PAD src0_sel:DWORD src1_sel:WORD_1
	v_bfe_u32 v14, v13, 19, 4
	v_sub_u32_e32 v15, 29, v15
	v_and_b32_e32 v16, 7, v16
	v_cmp_eq_u16_e32 vcc, 0, v12
	v_cndmask_b32_e32 v11, v11, v16, vcc
	v_cndmask_b32_e32 v12, v14, v15, vcc
	v_lshlrev_b32_e32 v14, 8, v13
	v_mov_b32_e32 v15, 0x3b800000
	v_lshlrev_b32_e32 v11, 20, v11
	v_and_b32_e32 v14, 0x80000000, v14
	v_lshl_add_u32 v12, v12, 23, v15
	v_or3_b32 v12, v14, v12, v11
.LBB52_1400:
	s_or_b64 exec, exec, s[6:7]
	s_nop 0
	v_mfma_f32_16x16x4f32 a[0:3], v10, v12, a[0:3]
	s_movk_i32 s4, 0x7f
	v_cmp_gt_i16_sdwa s[6:7], v17, s4 src0_sel:BYTE_3 src1_sel:DWORD
	s_mov_b64 s[4:5], 0
                                        ; implicit-def: $sgpr10
	s_and_saveexec_b64 s[8:9], s[6:7]
	s_xor_b64 s[6:7], exec, s[8:9]
	s_cbranch_execnz .LBB52_3449
; %bb.1401:
	s_or_saveexec_b64 s[6:7], s[6:7]
	v_mov_b32_e32 v10, s10
	s_xor_b64 exec, exec, s[6:7]
	s_cbranch_execnz .LBB52_3452
.LBB52_1402:
	s_or_b64 exec, exec, s[6:7]
	s_and_saveexec_b64 s[6:7], s[4:5]
	s_cbranch_execz .LBB52_1404
.LBB52_1403:
	v_bfe_u32 v10, v17, 24, 3
	v_ffbh_u32_e32 v15, v10
	v_min_u32_e32 v15, 32, v15
	v_lshrrev_b32_e32 v12, 27, v17
	v_subrev_u32_e32 v16, 28, v15
	v_and_b32_e32 v12, 15, v12
	v_lshlrev_b32_sdwa v16, v16, v17 dst_sel:DWORD dst_unused:UNUSED_PAD src0_sel:DWORD src1_sel:BYTE_3
	v_bfe_u32 v14, v17, 27, 4
	v_sub_u32_e32 v15, 29, v15
	v_and_b32_e32 v16, 7, v16
	v_cmp_eq_u16_e32 vcc, 0, v12
	v_cndmask_b32_e32 v10, v10, v16, vcc
	v_cndmask_b32_e32 v12, v14, v15, vcc
	v_mov_b32_e32 v14, 0x3b800000
	v_and_b32_e32 v11, 0x80000000, v17
	v_lshlrev_b32_e32 v10, 20, v10
	v_lshl_add_u32 v12, v12, 23, v14
	v_or3_b32 v10, v11, v12, v10
.LBB52_1404:
	s_or_b64 exec, exec, s[6:7]
	s_movk_i32 s4, 0x7f
	v_cmp_gt_i16_sdwa s[6:7], v13, s4 src0_sel:BYTE_3 src1_sel:DWORD
	s_mov_b64 s[4:5], 0
                                        ; implicit-def: $sgpr10
	s_and_saveexec_b64 s[8:9], s[6:7]
	s_xor_b64 s[6:7], exec, s[8:9]
	s_cbranch_execnz .LBB52_3453
; %bb.1405:
	s_or_saveexec_b64 s[6:7], s[6:7]
	v_mov_b32_e32 v11, s10
	s_xor_b64 exec, exec, s[6:7]
	s_cbranch_execnz .LBB52_3456
.LBB52_1406:
	s_or_b64 exec, exec, s[6:7]
	s_and_saveexec_b64 s[6:7], s[4:5]
	s_cbranch_execz .LBB52_1408
.LBB52_1407:
	v_bfe_u32 v11, v13, 24, 3
	v_ffbh_u32_e32 v16, v11
	v_min_u32_e32 v16, 32, v16
	v_lshrrev_b32_e32 v14, 27, v13
	v_subrev_u32_e32 v17, 28, v16
	v_and_b32_e32 v12, 0x80000000, v13
	v_and_b32_e32 v14, 15, v14
	v_bfe_u32 v15, v13, 27, 4
	v_lshlrev_b32_sdwa v13, v17, v13 dst_sel:DWORD dst_unused:UNUSED_PAD src0_sel:DWORD src1_sel:BYTE_3
	v_sub_u32_e32 v16, 29, v16
	v_and_b32_e32 v13, 7, v13
	v_cmp_eq_u16_e32 vcc, 0, v14
	v_cndmask_b32_e32 v11, v11, v13, vcc
	v_cndmask_b32_e32 v13, v15, v16, vcc
	v_mov_b32_e32 v14, 0x3b800000
	v_lshlrev_b32_e32 v11, 20, v11
	v_lshl_add_u32 v13, v13, 23, v14
	v_or3_b32 v11, v12, v13, v11
.LBB52_1408:
	s_or_b64 exec, exec, s[6:7]
	s_nop 0
	v_mfma_f32_16x16x4f32 a[0:3], v10, v11, a[0:3]
	s_movk_i32 s4, 0x7f
	v_cmp_gt_i16_sdwa s[6:7], v6, s4 src0_sel:BYTE_0 src1_sel:DWORD
	s_mov_b64 s[4:5], 0
                                        ; implicit-def: $sgpr10
	s_and_saveexec_b64 s[8:9], s[6:7]
	s_xor_b64 s[6:7], exec, s[8:9]
	s_cbranch_execnz .LBB52_3457
; %bb.1409:
	s_or_saveexec_b64 s[6:7], s[6:7]
	v_mov_b32_e32 v10, s10
	s_xor_b64 exec, exec, s[6:7]
	s_cbranch_execnz .LBB52_3460
.LBB52_1410:
	s_or_b64 exec, exec, s[6:7]
	s_and_saveexec_b64 s[6:7], s[4:5]
	s_cbranch_execz .LBB52_1412
.LBB52_1411:
	v_and_b32_e32 v10, 7, v6
	v_ffbh_u32_e32 v12, v10
	v_min_u32_e32 v12, 32, v12
	v_lshrrev_b16_e32 v11, 3, v6
	v_subrev_u32_e32 v13, 28, v12
	v_and_b32_e32 v11, 15, v11
	v_lshlrev_b32_e32 v13, v13, v6
	v_sub_u32_e32 v12, 29, v12
	v_and_b32_e32 v13, 7, v13
	v_cmp_eq_u16_e32 vcc, 0, v11
	v_cndmask_b32_e32 v10, v10, v13, vcc
	v_cndmask_b32_e32 v11, v11, v12, vcc
	v_lshlrev_b32_e32 v12, 24, v6
	v_mov_b32_e32 v13, 0x3b800000
	v_lshlrev_b32_e32 v10, 20, v10
	v_and_b32_e32 v12, 0x80000000, v12
	v_lshl_add_u32 v11, v11, 23, v13
	v_or3_b32 v10, v12, v11, v10
.LBB52_1412:
	s_or_b64 exec, exec, s[6:7]
	s_movk_i32 s4, 0x7f
	v_cmp_gt_i16_sdwa s[6:7], v2, s4 src0_sel:BYTE_0 src1_sel:DWORD
	s_mov_b64 s[4:5], 0
                                        ; implicit-def: $sgpr10
	s_and_saveexec_b64 s[8:9], s[6:7]
	s_xor_b64 s[6:7], exec, s[8:9]
	s_cbranch_execnz .LBB52_3461
; %bb.1413:
	s_or_saveexec_b64 s[6:7], s[6:7]
	v_mov_b32_e32 v11, s10
	s_xor_b64 exec, exec, s[6:7]
	s_cbranch_execnz .LBB52_3464
.LBB52_1414:
	s_or_b64 exec, exec, s[6:7]
	s_and_saveexec_b64 s[6:7], s[4:5]
	s_cbranch_execz .LBB52_1416
.LBB52_1415:
	v_and_b32_e32 v11, 7, v2
	v_ffbh_u32_e32 v13, v11
	v_min_u32_e32 v13, 32, v13
	v_lshrrev_b16_e32 v12, 3, v2
	v_subrev_u32_e32 v14, 28, v13
	v_and_b32_e32 v12, 15, v12
	v_lshlrev_b32_e32 v14, v14, v2
	v_sub_u32_e32 v13, 29, v13
	v_and_b32_e32 v14, 7, v14
	v_cmp_eq_u16_e32 vcc, 0, v12
	v_cndmask_b32_e32 v11, v11, v14, vcc
	v_cndmask_b32_e32 v12, v12, v13, vcc
	v_lshlrev_b32_e32 v13, 24, v2
	v_mov_b32_e32 v14, 0x3b800000
	v_lshlrev_b32_e32 v11, 20, v11
	v_and_b32_e32 v13, 0x80000000, v13
	v_lshl_add_u32 v12, v12, 23, v14
	v_or3_b32 v11, v13, v12, v11
.LBB52_1416:
	s_or_b64 exec, exec, s[6:7]
	s_nop 0
	v_mfma_f32_16x16x4f32 a[0:3], v10, v11, a[0:3]
	v_lshrrev_b32_e32 v11, 8, v6
	s_movk_i32 s4, 0x7f
	v_cmp_gt_i16_sdwa s[6:7], v11, s4 src0_sel:BYTE_0 src1_sel:DWORD
	s_mov_b64 s[4:5], 0
                                        ; implicit-def: $sgpr10
	s_and_saveexec_b64 s[8:9], s[6:7]
	s_xor_b64 s[6:7], exec, s[8:9]
	s_cbranch_execnz .LBB52_3465
; %bb.1417:
	s_or_saveexec_b64 s[6:7], s[6:7]
	v_mov_b32_e32 v10, s10
	s_xor_b64 exec, exec, s[6:7]
	s_cbranch_execnz .LBB52_3468
.LBB52_1418:
	s_or_b64 exec, exec, s[6:7]
	s_and_saveexec_b64 s[6:7], s[4:5]
	s_cbranch_execz .LBB52_1420
.LBB52_1419:
	v_bfe_u32 v10, v6, 8, 3
	v_ffbh_u32_e32 v13, v10
	v_min_u32_e32 v13, 32, v13
	v_lshrrev_b16_e32 v12, 3, v11
	v_subrev_u32_e32 v14, 28, v13
	v_and_b32_e32 v12, 15, v12
	v_lshlrev_b32_e32 v11, v14, v11
	v_sub_u32_e32 v13, 29, v13
	v_and_b32_e32 v11, 7, v11
	v_cmp_eq_u16_e32 vcc, 0, v12
	v_cndmask_b32_e32 v10, v10, v11, vcc
	v_cndmask_b32_e32 v11, v12, v13, vcc
	v_lshlrev_b32_e32 v12, 16, v6
	v_mov_b32_e32 v13, 0x3b800000
	v_lshlrev_b32_e32 v10, 20, v10
	v_and_b32_e32 v12, 0x80000000, v12
	v_lshl_add_u32 v11, v11, 23, v13
	v_or3_b32 v10, v12, v11, v10
.LBB52_1420:
	s_or_b64 exec, exec, s[6:7]
	v_lshrrev_b32_e32 v11, 8, v2
	s_movk_i32 s4, 0x7f
	v_cmp_gt_i16_sdwa s[6:7], v11, s4 src0_sel:BYTE_0 src1_sel:DWORD
	s_mov_b64 s[4:5], 0
                                        ; implicit-def: $sgpr10
	s_and_saveexec_b64 s[8:9], s[6:7]
	s_xor_b64 s[6:7], exec, s[8:9]
	s_cbranch_execnz .LBB52_3469
; %bb.1421:
	s_or_saveexec_b64 s[6:7], s[6:7]
	v_mov_b32_e32 v12, s10
	s_xor_b64 exec, exec, s[6:7]
	s_cbranch_execnz .LBB52_3472
.LBB52_1422:
	s_or_b64 exec, exec, s[6:7]
	s_and_saveexec_b64 s[6:7], s[4:5]
	s_cbranch_execz .LBB52_1424
.LBB52_1423:
	v_bfe_u32 v12, v2, 8, 3
	v_ffbh_u32_e32 v14, v12
	v_min_u32_e32 v14, 32, v14
	v_lshrrev_b16_e32 v13, 3, v11
	v_subrev_u32_e32 v15, 28, v14
	v_and_b32_e32 v13, 15, v13
	v_lshlrev_b32_e32 v11, v15, v11
	v_sub_u32_e32 v14, 29, v14
	v_and_b32_e32 v11, 7, v11
	v_cmp_eq_u16_e32 vcc, 0, v13
	v_cndmask_b32_e32 v11, v12, v11, vcc
	v_cndmask_b32_e32 v12, v13, v14, vcc
	v_lshlrev_b32_e32 v13, 16, v2
	v_mov_b32_e32 v14, 0x3b800000
	v_lshlrev_b32_e32 v11, 20, v11
	v_and_b32_e32 v13, 0x80000000, v13
	v_lshl_add_u32 v12, v12, 23, v14
	v_or3_b32 v12, v13, v12, v11
.LBB52_1424:
	s_or_b64 exec, exec, s[6:7]
	s_nop 0
	v_mfma_f32_16x16x4f32 a[0:3], v10, v12, a[0:3]
	s_movk_i32 s4, 0xff
	v_and_b32_sdwa v11, v6, s4 dst_sel:DWORD dst_unused:UNUSED_PAD src0_sel:WORD_1 src1_sel:DWORD
	s_movk_i32 s4, 0x7f
	v_cmp_lt_i16_e32 vcc, s4, v11
	s_mov_b64 s[4:5], 0
                                        ; implicit-def: $sgpr10
	s_and_saveexec_b64 s[6:7], vcc
	s_xor_b64 s[6:7], exec, s[6:7]
	s_cbranch_execnz .LBB52_3473
; %bb.1425:
	s_or_saveexec_b64 s[6:7], s[6:7]
	v_mov_b32_e32 v10, s10
	s_xor_b64 exec, exec, s[6:7]
	s_cbranch_execnz .LBB52_3476
.LBB52_1426:
	s_or_b64 exec, exec, s[6:7]
	s_and_saveexec_b64 s[6:7], s[4:5]
	s_cbranch_execz .LBB52_1428
.LBB52_1427:
	v_bfe_u32 v10, v6, 16, 3
	v_ffbh_u32_e32 v13, v10
	v_min_u32_e32 v13, 32, v13
	v_lshrrev_b32_e32 v11, 19, v6
	v_subrev_u32_e32 v14, 28, v13
	v_and_b32_e32 v11, 15, v11
	v_lshlrev_b32_sdwa v14, v14, v6 dst_sel:DWORD dst_unused:UNUSED_PAD src0_sel:DWORD src1_sel:WORD_1
	v_bfe_u32 v12, v6, 19, 4
	v_sub_u32_e32 v13, 29, v13
	v_and_b32_e32 v14, 7, v14
	v_cmp_eq_u16_e32 vcc, 0, v11
	v_cndmask_b32_e32 v10, v10, v14, vcc
	v_cndmask_b32_e32 v11, v12, v13, vcc
	v_lshlrev_b32_e32 v12, 8, v6
	v_mov_b32_e32 v13, 0x3b800000
	v_lshlrev_b32_e32 v10, 20, v10
	v_and_b32_e32 v12, 0x80000000, v12
	v_lshl_add_u32 v11, v11, 23, v13
	v_or3_b32 v10, v12, v11, v10
.LBB52_1428:
	s_or_b64 exec, exec, s[6:7]
	s_movk_i32 s4, 0xff
	v_and_b32_sdwa v11, v2, s4 dst_sel:DWORD dst_unused:UNUSED_PAD src0_sel:WORD_1 src1_sel:DWORD
	s_movk_i32 s4, 0x7f
	v_cmp_lt_i16_e32 vcc, s4, v11
	s_mov_b64 s[4:5], 0
                                        ; implicit-def: $sgpr10
	s_and_saveexec_b64 s[6:7], vcc
	s_xor_b64 s[6:7], exec, s[6:7]
	s_cbranch_execnz .LBB52_3477
; %bb.1429:
	s_or_saveexec_b64 s[6:7], s[6:7]
	v_mov_b32_e32 v12, s10
	s_xor_b64 exec, exec, s[6:7]
	s_cbranch_execnz .LBB52_3480
.LBB52_1430:
	s_or_b64 exec, exec, s[6:7]
	s_and_saveexec_b64 s[6:7], s[4:5]
	s_cbranch_execz .LBB52_1432
.LBB52_1431:
	v_bfe_u32 v11, v2, 16, 3
	v_ffbh_u32_e32 v14, v11
	v_min_u32_e32 v14, 32, v14
	v_lshrrev_b32_e32 v12, 19, v2
	v_subrev_u32_e32 v15, 28, v14
	v_and_b32_e32 v12, 15, v12
	v_lshlrev_b32_sdwa v15, v15, v2 dst_sel:DWORD dst_unused:UNUSED_PAD src0_sel:DWORD src1_sel:WORD_1
	v_bfe_u32 v13, v2, 19, 4
	v_sub_u32_e32 v14, 29, v14
	v_and_b32_e32 v15, 7, v15
	v_cmp_eq_u16_e32 vcc, 0, v12
	v_cndmask_b32_e32 v11, v11, v15, vcc
	v_cndmask_b32_e32 v12, v13, v14, vcc
	v_lshlrev_b32_e32 v13, 8, v2
	v_mov_b32_e32 v14, 0x3b800000
	v_lshlrev_b32_e32 v11, 20, v11
	v_and_b32_e32 v13, 0x80000000, v13
	v_lshl_add_u32 v12, v12, 23, v14
	v_or3_b32 v12, v13, v12, v11
.LBB52_1432:
	s_or_b64 exec, exec, s[6:7]
	s_nop 0
	v_mfma_f32_16x16x4f32 a[0:3], v10, v12, a[0:3]
	s_movk_i32 s4, 0x7f
	v_cmp_gt_i16_sdwa s[6:7], v6, s4 src0_sel:BYTE_3 src1_sel:DWORD
	s_mov_b64 s[4:5], 0
                                        ; implicit-def: $sgpr10
	s_and_saveexec_b64 s[8:9], s[6:7]
	s_xor_b64 s[6:7], exec, s[8:9]
	s_cbranch_execnz .LBB52_3481
; %bb.1433:
	s_or_saveexec_b64 s[6:7], s[6:7]
	v_mov_b32_e32 v10, s10
	s_xor_b64 exec, exec, s[6:7]
	s_cbranch_execnz .LBB52_3484
.LBB52_1434:
	s_or_b64 exec, exec, s[6:7]
	s_and_saveexec_b64 s[6:7], s[4:5]
	s_cbranch_execz .LBB52_1436
.LBB52_1435:
	v_bfe_u32 v10, v6, 24, 3
	v_ffbh_u32_e32 v14, v10
	v_min_u32_e32 v14, 32, v14
	v_lshrrev_b32_e32 v12, 27, v6
	v_subrev_u32_e32 v15, 28, v14
	v_and_b32_e32 v11, 0x80000000, v6
	v_and_b32_e32 v12, 15, v12
	v_bfe_u32 v13, v6, 27, 4
	v_lshlrev_b32_sdwa v6, v15, v6 dst_sel:DWORD dst_unused:UNUSED_PAD src0_sel:DWORD src1_sel:BYTE_3
	v_sub_u32_e32 v14, 29, v14
	v_and_b32_e32 v6, 7, v6
	v_cmp_eq_u16_e32 vcc, 0, v12
	v_cndmask_b32_e32 v6, v10, v6, vcc
	v_cndmask_b32_e32 v10, v13, v14, vcc
	v_mov_b32_e32 v12, 0x3b800000
	v_lshlrev_b32_e32 v6, 20, v6
	v_lshl_add_u32 v10, v10, 23, v12
	v_or3_b32 v10, v11, v10, v6
.LBB52_1436:
	s_or_b64 exec, exec, s[6:7]
	s_movk_i32 s4, 0x7f
	v_cmp_gt_i16_sdwa s[6:7], v2, s4 src0_sel:BYTE_3 src1_sel:DWORD
	s_mov_b64 s[4:5], 0
                                        ; implicit-def: $sgpr10
	s_and_saveexec_b64 s[8:9], s[6:7]
	s_xor_b64 s[6:7], exec, s[8:9]
	s_cbranch_execnz .LBB52_3485
; %bb.1437:
	s_or_saveexec_b64 s[6:7], s[6:7]
	v_mov_b32_e32 v6, s10
	s_xor_b64 exec, exec, s[6:7]
	s_cbranch_execnz .LBB52_3488
.LBB52_1438:
	s_or_b64 exec, exec, s[6:7]
	s_and_saveexec_b64 s[6:7], s[4:5]
	s_cbranch_execz .LBB52_1440
.LBB52_1439:
	v_bfe_u32 v6, v2, 24, 3
	v_ffbh_u32_e32 v14, v6
	v_min_u32_e32 v14, 32, v14
	v_lshrrev_b32_e32 v12, 27, v2
	v_subrev_u32_e32 v15, 28, v14
	v_and_b32_e32 v11, 0x80000000, v2
	v_and_b32_e32 v12, 15, v12
	v_bfe_u32 v13, v2, 27, 4
	v_lshlrev_b32_sdwa v2, v15, v2 dst_sel:DWORD dst_unused:UNUSED_PAD src0_sel:DWORD src1_sel:BYTE_3
	v_sub_u32_e32 v14, 29, v14
	v_and_b32_e32 v2, 7, v2
	v_cmp_eq_u16_e32 vcc, 0, v12
	v_cndmask_b32_e32 v2, v6, v2, vcc
	v_cndmask_b32_e32 v6, v13, v14, vcc
	v_mov_b32_e32 v12, 0x3b800000
	v_lshlrev_b32_e32 v2, 20, v2
	v_lshl_add_u32 v6, v6, 23, v12
	v_or3_b32 v6, v11, v6, v2
.LBB52_1440:
	s_or_b64 exec, exec, s[6:7]
	s_nop 0
	v_mfma_f32_16x16x4f32 a[0:3], v10, v6, a[0:3]
	s_movk_i32 s4, 0x7f
	v_cmp_gt_i16_sdwa s[6:7], v7, s4 src0_sel:BYTE_0 src1_sel:DWORD
	s_mov_b64 s[4:5], 0
                                        ; implicit-def: $sgpr10
	s_and_saveexec_b64 s[8:9], s[6:7]
	s_xor_b64 s[6:7], exec, s[8:9]
	s_cbranch_execnz .LBB52_3489
; %bb.1441:
	s_or_saveexec_b64 s[6:7], s[6:7]
	v_mov_b32_e32 v2, s10
	s_xor_b64 exec, exec, s[6:7]
	s_cbranch_execnz .LBB52_3492
.LBB52_1442:
	s_or_b64 exec, exec, s[6:7]
	s_and_saveexec_b64 s[6:7], s[4:5]
	s_cbranch_execz .LBB52_1444
.LBB52_1443:
	v_and_b32_e32 v2, 7, v7
	v_ffbh_u32_e32 v10, v2
	v_min_u32_e32 v10, 32, v10
	v_lshrrev_b16_e32 v6, 3, v7
	v_subrev_u32_e32 v11, 28, v10
	v_and_b32_e32 v6, 15, v6
	v_lshlrev_b32_e32 v11, v11, v7
	v_sub_u32_e32 v10, 29, v10
	v_and_b32_e32 v11, 7, v11
	v_cmp_eq_u16_e32 vcc, 0, v6
	v_cndmask_b32_e32 v2, v2, v11, vcc
	v_cndmask_b32_e32 v6, v6, v10, vcc
	v_lshlrev_b32_e32 v10, 24, v7
	v_mov_b32_e32 v11, 0x3b800000
	v_lshlrev_b32_e32 v2, 20, v2
	v_and_b32_e32 v10, 0x80000000, v10
	v_lshl_add_u32 v6, v6, 23, v11
	v_or3_b32 v2, v10, v6, v2
.LBB52_1444:
	s_or_b64 exec, exec, s[6:7]
	s_movk_i32 s4, 0x7f
	v_cmp_gt_i16_sdwa s[6:7], v3, s4 src0_sel:BYTE_0 src1_sel:DWORD
	s_mov_b64 s[4:5], 0
                                        ; implicit-def: $sgpr10
	s_and_saveexec_b64 s[8:9], s[6:7]
	s_xor_b64 s[6:7], exec, s[8:9]
	s_cbranch_execnz .LBB52_3493
; %bb.1445:
	s_or_saveexec_b64 s[6:7], s[6:7]
	v_mov_b32_e32 v6, s10
	s_xor_b64 exec, exec, s[6:7]
	s_cbranch_execnz .LBB52_3496
.LBB52_1446:
	s_or_b64 exec, exec, s[6:7]
	s_and_saveexec_b64 s[6:7], s[4:5]
	s_cbranch_execz .LBB52_1448
.LBB52_1447:
	v_and_b32_e32 v6, 7, v3
	v_ffbh_u32_e32 v11, v6
	v_min_u32_e32 v11, 32, v11
	v_lshrrev_b16_e32 v10, 3, v3
	v_subrev_u32_e32 v12, 28, v11
	v_and_b32_e32 v10, 15, v10
	v_lshlrev_b32_e32 v12, v12, v3
	v_sub_u32_e32 v11, 29, v11
	v_and_b32_e32 v12, 7, v12
	v_cmp_eq_u16_e32 vcc, 0, v10
	v_cndmask_b32_e32 v6, v6, v12, vcc
	v_cndmask_b32_e32 v10, v10, v11, vcc
	v_lshlrev_b32_e32 v11, 24, v3
	v_mov_b32_e32 v12, 0x3b800000
	v_lshlrev_b32_e32 v6, 20, v6
	v_and_b32_e32 v11, 0x80000000, v11
	v_lshl_add_u32 v10, v10, 23, v12
	v_or3_b32 v6, v11, v10, v6
.LBB52_1448:
	s_or_b64 exec, exec, s[6:7]
	s_nop 0
	v_mfma_f32_16x16x4f32 a[0:3], v2, v6, a[0:3]
	v_lshrrev_b32_e32 v6, 8, v7
	s_movk_i32 s4, 0x7f
	v_cmp_gt_i16_sdwa s[6:7], v6, s4 src0_sel:BYTE_0 src1_sel:DWORD
	s_mov_b64 s[4:5], 0
                                        ; implicit-def: $sgpr10
	s_and_saveexec_b64 s[8:9], s[6:7]
	s_xor_b64 s[6:7], exec, s[8:9]
	s_cbranch_execnz .LBB52_3497
; %bb.1449:
	s_or_saveexec_b64 s[6:7], s[6:7]
	v_mov_b32_e32 v2, s10
	s_xor_b64 exec, exec, s[6:7]
	s_cbranch_execnz .LBB52_3500
.LBB52_1450:
	s_or_b64 exec, exec, s[6:7]
	s_and_saveexec_b64 s[6:7], s[4:5]
	s_cbranch_execz .LBB52_1452
.LBB52_1451:
	v_bfe_u32 v2, v7, 8, 3
	v_ffbh_u32_e32 v11, v2
	v_min_u32_e32 v11, 32, v11
	v_lshrrev_b16_e32 v10, 3, v6
	v_subrev_u32_e32 v12, 28, v11
	v_and_b32_e32 v10, 15, v10
	v_lshlrev_b32_e32 v6, v12, v6
	v_sub_u32_e32 v11, 29, v11
	v_and_b32_e32 v6, 7, v6
	v_cmp_eq_u16_e32 vcc, 0, v10
	v_cndmask_b32_e32 v2, v2, v6, vcc
	v_cndmask_b32_e32 v6, v10, v11, vcc
	v_lshlrev_b32_e32 v10, 16, v7
	v_mov_b32_e32 v11, 0x3b800000
	v_lshlrev_b32_e32 v2, 20, v2
	v_and_b32_e32 v10, 0x80000000, v10
	v_lshl_add_u32 v6, v6, 23, v11
	v_or3_b32 v2, v10, v6, v2
.LBB52_1452:
	s_or_b64 exec, exec, s[6:7]
	v_lshrrev_b32_e32 v6, 8, v3
	s_movk_i32 s4, 0x7f
	v_cmp_gt_i16_sdwa s[6:7], v6, s4 src0_sel:BYTE_0 src1_sel:DWORD
	s_mov_b64 s[4:5], 0
                                        ; implicit-def: $sgpr10
	s_and_saveexec_b64 s[8:9], s[6:7]
	s_xor_b64 s[6:7], exec, s[8:9]
	s_cbranch_execnz .LBB52_3501
; %bb.1453:
	s_or_saveexec_b64 s[6:7], s[6:7]
	v_mov_b32_e32 v10, s10
	s_xor_b64 exec, exec, s[6:7]
	s_cbranch_execnz .LBB52_3504
.LBB52_1454:
	s_or_b64 exec, exec, s[6:7]
	s_and_saveexec_b64 s[6:7], s[4:5]
	s_cbranch_execz .LBB52_1456
.LBB52_1455:
	v_bfe_u32 v10, v3, 8, 3
	v_ffbh_u32_e32 v12, v10
	v_min_u32_e32 v12, 32, v12
	v_lshrrev_b16_e32 v11, 3, v6
	v_subrev_u32_e32 v13, 28, v12
	v_and_b32_e32 v11, 15, v11
	v_lshlrev_b32_e32 v6, v13, v6
	v_sub_u32_e32 v12, 29, v12
	v_and_b32_e32 v6, 7, v6
	v_cmp_eq_u16_e32 vcc, 0, v11
	v_cndmask_b32_e32 v6, v10, v6, vcc
	v_cndmask_b32_e32 v10, v11, v12, vcc
	v_lshlrev_b32_e32 v11, 16, v3
	v_mov_b32_e32 v12, 0x3b800000
	v_lshlrev_b32_e32 v6, 20, v6
	v_and_b32_e32 v11, 0x80000000, v11
	v_lshl_add_u32 v10, v10, 23, v12
	v_or3_b32 v10, v11, v10, v6
.LBB52_1456:
	s_or_b64 exec, exec, s[6:7]
	s_nop 0
	v_mfma_f32_16x16x4f32 a[0:3], v2, v10, a[0:3]
	s_movk_i32 s4, 0xff
	v_and_b32_sdwa v6, v7, s4 dst_sel:DWORD dst_unused:UNUSED_PAD src0_sel:WORD_1 src1_sel:DWORD
	s_movk_i32 s4, 0x7f
	v_cmp_lt_i16_e32 vcc, s4, v6
	s_mov_b64 s[4:5], 0
                                        ; implicit-def: $sgpr10
	s_and_saveexec_b64 s[6:7], vcc
	s_xor_b64 s[6:7], exec, s[6:7]
	s_cbranch_execnz .LBB52_3505
; %bb.1457:
	s_or_saveexec_b64 s[6:7], s[6:7]
	v_mov_b32_e32 v2, s10
	s_xor_b64 exec, exec, s[6:7]
	s_cbranch_execnz .LBB52_3508
.LBB52_1458:
	s_or_b64 exec, exec, s[6:7]
	s_and_saveexec_b64 s[6:7], s[4:5]
	s_cbranch_execz .LBB52_1460
.LBB52_1459:
	v_bfe_u32 v2, v7, 16, 3
	v_ffbh_u32_e32 v11, v2
	v_min_u32_e32 v11, 32, v11
	v_lshrrev_b32_e32 v6, 19, v7
	v_subrev_u32_e32 v12, 28, v11
	v_and_b32_e32 v6, 15, v6
	v_lshlrev_b32_sdwa v12, v12, v7 dst_sel:DWORD dst_unused:UNUSED_PAD src0_sel:DWORD src1_sel:WORD_1
	v_bfe_u32 v10, v7, 19, 4
	v_sub_u32_e32 v11, 29, v11
	v_and_b32_e32 v12, 7, v12
	v_cmp_eq_u16_e32 vcc, 0, v6
	v_cndmask_b32_e32 v2, v2, v12, vcc
	v_cndmask_b32_e32 v6, v10, v11, vcc
	v_lshlrev_b32_e32 v10, 8, v7
	v_mov_b32_e32 v11, 0x3b800000
	v_lshlrev_b32_e32 v2, 20, v2
	v_and_b32_e32 v10, 0x80000000, v10
	v_lshl_add_u32 v6, v6, 23, v11
	v_or3_b32 v2, v10, v6, v2
.LBB52_1460:
	s_or_b64 exec, exec, s[6:7]
	s_movk_i32 s4, 0xff
	v_and_b32_sdwa v6, v3, s4 dst_sel:DWORD dst_unused:UNUSED_PAD src0_sel:WORD_1 src1_sel:DWORD
	s_movk_i32 s4, 0x7f
	v_cmp_lt_i16_e32 vcc, s4, v6
	s_mov_b64 s[4:5], 0
                                        ; implicit-def: $sgpr10
	s_and_saveexec_b64 s[6:7], vcc
	s_xor_b64 s[6:7], exec, s[6:7]
	s_cbranch_execnz .LBB52_3509
; %bb.1461:
	s_or_saveexec_b64 s[6:7], s[6:7]
	v_mov_b32_e32 v10, s10
	s_xor_b64 exec, exec, s[6:7]
	s_cbranch_execnz .LBB52_3512
.LBB52_1462:
	s_or_b64 exec, exec, s[6:7]
	s_and_saveexec_b64 s[6:7], s[4:5]
	s_cbranch_execz .LBB52_1464
.LBB52_1463:
	v_bfe_u32 v6, v3, 16, 3
	v_ffbh_u32_e32 v12, v6
	v_min_u32_e32 v12, 32, v12
	v_lshrrev_b32_e32 v10, 19, v3
	v_subrev_u32_e32 v13, 28, v12
	v_and_b32_e32 v10, 15, v10
	v_lshlrev_b32_sdwa v13, v13, v3 dst_sel:DWORD dst_unused:UNUSED_PAD src0_sel:DWORD src1_sel:WORD_1
	v_bfe_u32 v11, v3, 19, 4
	v_sub_u32_e32 v12, 29, v12
	v_and_b32_e32 v13, 7, v13
	v_cmp_eq_u16_e32 vcc, 0, v10
	v_cndmask_b32_e32 v6, v6, v13, vcc
	v_cndmask_b32_e32 v10, v11, v12, vcc
	v_lshlrev_b32_e32 v11, 8, v3
	v_mov_b32_e32 v12, 0x3b800000
	v_lshlrev_b32_e32 v6, 20, v6
	v_and_b32_e32 v11, 0x80000000, v11
	v_lshl_add_u32 v10, v10, 23, v12
	v_or3_b32 v10, v11, v10, v6
.LBB52_1464:
	s_or_b64 exec, exec, s[6:7]
	s_nop 0
	v_mfma_f32_16x16x4f32 a[0:3], v2, v10, a[0:3]
	s_movk_i32 s4, 0x7f
	v_cmp_gt_i16_sdwa s[6:7], v7, s4 src0_sel:BYTE_3 src1_sel:DWORD
	s_mov_b64 s[4:5], 0
                                        ; implicit-def: $sgpr10
	s_and_saveexec_b64 s[8:9], s[6:7]
	s_xor_b64 s[6:7], exec, s[8:9]
	s_cbranch_execnz .LBB52_3513
; %bb.1465:
	s_or_saveexec_b64 s[6:7], s[6:7]
	v_mov_b32_e32 v2, s10
	s_xor_b64 exec, exec, s[6:7]
	s_cbranch_execnz .LBB52_3516
.LBB52_1466:
	s_or_b64 exec, exec, s[6:7]
	s_and_saveexec_b64 s[6:7], s[4:5]
	s_cbranch_execz .LBB52_1468
.LBB52_1467:
	v_bfe_u32 v2, v7, 24, 3
	v_ffbh_u32_e32 v12, v2
	v_min_u32_e32 v12, 32, v12
	v_lshrrev_b32_e32 v10, 27, v7
	v_subrev_u32_e32 v13, 28, v12
	v_and_b32_e32 v6, 0x80000000, v7
	v_and_b32_e32 v10, 15, v10
	v_bfe_u32 v11, v7, 27, 4
	v_lshlrev_b32_sdwa v7, v13, v7 dst_sel:DWORD dst_unused:UNUSED_PAD src0_sel:DWORD src1_sel:BYTE_3
	v_sub_u32_e32 v12, 29, v12
	v_and_b32_e32 v7, 7, v7
	v_cmp_eq_u16_e32 vcc, 0, v10
	v_cndmask_b32_e32 v2, v2, v7, vcc
	v_cndmask_b32_e32 v7, v11, v12, vcc
	v_mov_b32_e32 v10, 0x3b800000
	v_lshlrev_b32_e32 v2, 20, v2
	v_lshl_add_u32 v7, v7, 23, v10
	v_or3_b32 v2, v6, v7, v2
.LBB52_1468:
	s_or_b64 exec, exec, s[6:7]
	s_movk_i32 s4, 0x7f
	v_cmp_gt_i16_sdwa s[6:7], v3, s4 src0_sel:BYTE_3 src1_sel:DWORD
	s_mov_b64 s[4:5], 0
                                        ; implicit-def: $sgpr10
	s_and_saveexec_b64 s[8:9], s[6:7]
	s_xor_b64 s[6:7], exec, s[8:9]
	s_cbranch_execnz .LBB52_3517
; %bb.1469:
	s_or_saveexec_b64 s[6:7], s[6:7]
	v_mov_b32_e32 v6, s10
	s_xor_b64 exec, exec, s[6:7]
	s_cbranch_execnz .LBB52_3520
.LBB52_1470:
	s_or_b64 exec, exec, s[6:7]
	s_and_saveexec_b64 s[6:7], s[4:5]
	s_cbranch_execz .LBB52_1472
.LBB52_1471:
	v_bfe_u32 v6, v3, 24, 3
	v_ffbh_u32_e32 v12, v6
	v_min_u32_e32 v12, 32, v12
	v_lshrrev_b32_e32 v10, 27, v3
	v_subrev_u32_e32 v13, 28, v12
	v_and_b32_e32 v7, 0x80000000, v3
	v_and_b32_e32 v10, 15, v10
	v_bfe_u32 v11, v3, 27, 4
	v_lshlrev_b32_sdwa v3, v13, v3 dst_sel:DWORD dst_unused:UNUSED_PAD src0_sel:DWORD src1_sel:BYTE_3
	v_sub_u32_e32 v12, 29, v12
	v_and_b32_e32 v3, 7, v3
	v_cmp_eq_u16_e32 vcc, 0, v10
	v_cndmask_b32_e32 v3, v6, v3, vcc
	v_cndmask_b32_e32 v6, v11, v12, vcc
	v_mov_b32_e32 v10, 0x3b800000
	v_lshlrev_b32_e32 v3, 20, v3
	v_lshl_add_u32 v6, v6, 23, v10
	v_or3_b32 v6, v7, v6, v3
.LBB52_1472:
	s_or_b64 exec, exec, s[6:7]
	s_nop 0
	v_mfma_f32_16x16x4f32 a[0:3], v2, v6, a[0:3]
	s_movk_i32 s4, 0x7f
	v_cmp_gt_i16_sdwa s[6:7], v8, s4 src0_sel:BYTE_0 src1_sel:DWORD
	s_mov_b64 s[4:5], 0
                                        ; implicit-def: $sgpr10
	s_and_saveexec_b64 s[8:9], s[6:7]
	s_xor_b64 s[6:7], exec, s[8:9]
	s_cbranch_execnz .LBB52_3521
; %bb.1473:
	s_or_saveexec_b64 s[6:7], s[6:7]
	v_mov_b32_e32 v2, s10
	s_xor_b64 exec, exec, s[6:7]
	s_cbranch_execnz .LBB52_3524
.LBB52_1474:
	s_or_b64 exec, exec, s[6:7]
	s_and_saveexec_b64 s[6:7], s[4:5]
	s_cbranch_execz .LBB52_1476
.LBB52_1475:
	v_and_b32_e32 v2, 7, v8
	v_ffbh_u32_e32 v6, v2
	v_min_u32_e32 v6, 32, v6
	v_lshrrev_b16_e32 v3, 3, v8
	v_subrev_u32_e32 v7, 28, v6
	v_and_b32_e32 v3, 15, v3
	v_lshlrev_b32_e32 v7, v7, v8
	v_sub_u32_e32 v6, 29, v6
	v_and_b32_e32 v7, 7, v7
	v_cmp_eq_u16_e32 vcc, 0, v3
	v_cndmask_b32_e32 v2, v2, v7, vcc
	v_cndmask_b32_e32 v3, v3, v6, vcc
	v_lshlrev_b32_e32 v6, 24, v8
	v_mov_b32_e32 v7, 0x3b800000
	v_lshlrev_b32_e32 v2, 20, v2
	v_and_b32_e32 v6, 0x80000000, v6
	v_lshl_add_u32 v3, v3, 23, v7
	v_or3_b32 v2, v6, v3, v2
.LBB52_1476:
	s_or_b64 exec, exec, s[6:7]
	s_movk_i32 s4, 0x7f
	v_cmp_gt_i16_sdwa s[6:7], v4, s4 src0_sel:BYTE_0 src1_sel:DWORD
	s_mov_b64 s[4:5], 0
                                        ; implicit-def: $sgpr10
	s_and_saveexec_b64 s[8:9], s[6:7]
	s_xor_b64 s[6:7], exec, s[8:9]
	s_cbranch_execnz .LBB52_3525
; %bb.1477:
	s_or_saveexec_b64 s[6:7], s[6:7]
	v_mov_b32_e32 v3, s10
	s_xor_b64 exec, exec, s[6:7]
	s_cbranch_execnz .LBB52_3528
.LBB52_1478:
	s_or_b64 exec, exec, s[6:7]
	s_and_saveexec_b64 s[6:7], s[4:5]
	s_cbranch_execz .LBB52_1480
.LBB52_1479:
	v_and_b32_e32 v3, 7, v4
	v_ffbh_u32_e32 v7, v3
	v_min_u32_e32 v7, 32, v7
	v_lshrrev_b16_e32 v6, 3, v4
	v_subrev_u32_e32 v10, 28, v7
	v_and_b32_e32 v6, 15, v6
	v_lshlrev_b32_e32 v10, v10, v4
	v_sub_u32_e32 v7, 29, v7
	v_and_b32_e32 v10, 7, v10
	v_cmp_eq_u16_e32 vcc, 0, v6
	v_cndmask_b32_e32 v3, v3, v10, vcc
	v_cndmask_b32_e32 v6, v6, v7, vcc
	v_lshlrev_b32_e32 v7, 24, v4
	v_mov_b32_e32 v10, 0x3b800000
	v_lshlrev_b32_e32 v3, 20, v3
	v_and_b32_e32 v7, 0x80000000, v7
	v_lshl_add_u32 v6, v6, 23, v10
	v_or3_b32 v3, v7, v6, v3
.LBB52_1480:
	s_or_b64 exec, exec, s[6:7]
	s_nop 0
	v_mfma_f32_16x16x4f32 a[0:3], v2, v3, a[0:3]
	v_lshrrev_b32_e32 v3, 8, v8
	s_movk_i32 s4, 0x7f
	v_cmp_gt_i16_sdwa s[6:7], v3, s4 src0_sel:BYTE_0 src1_sel:DWORD
	s_mov_b64 s[4:5], 0
                                        ; implicit-def: $sgpr10
	s_and_saveexec_b64 s[8:9], s[6:7]
	s_xor_b64 s[6:7], exec, s[8:9]
	s_cbranch_execnz .LBB52_3529
; %bb.1481:
	s_or_saveexec_b64 s[6:7], s[6:7]
	v_mov_b32_e32 v2, s10
	s_xor_b64 exec, exec, s[6:7]
	s_cbranch_execnz .LBB52_3532
.LBB52_1482:
	s_or_b64 exec, exec, s[6:7]
	s_and_saveexec_b64 s[6:7], s[4:5]
	s_cbranch_execz .LBB52_1484
.LBB52_1483:
	v_bfe_u32 v2, v8, 8, 3
	v_ffbh_u32_e32 v7, v2
	v_min_u32_e32 v7, 32, v7
	v_lshrrev_b16_e32 v6, 3, v3
	v_subrev_u32_e32 v10, 28, v7
	v_and_b32_e32 v6, 15, v6
	v_lshlrev_b32_e32 v3, v10, v3
	v_sub_u32_e32 v7, 29, v7
	v_and_b32_e32 v3, 7, v3
	v_cmp_eq_u16_e32 vcc, 0, v6
	v_cndmask_b32_e32 v2, v2, v3, vcc
	v_cndmask_b32_e32 v3, v6, v7, vcc
	v_lshlrev_b32_e32 v6, 16, v8
	v_mov_b32_e32 v7, 0x3b800000
	v_lshlrev_b32_e32 v2, 20, v2
	v_and_b32_e32 v6, 0x80000000, v6
	v_lshl_add_u32 v3, v3, 23, v7
	v_or3_b32 v2, v6, v3, v2
.LBB52_1484:
	s_or_b64 exec, exec, s[6:7]
	v_lshrrev_b32_e32 v3, 8, v4
	s_movk_i32 s4, 0x7f
	v_cmp_gt_i16_sdwa s[6:7], v3, s4 src0_sel:BYTE_0 src1_sel:DWORD
	s_mov_b64 s[4:5], 0
                                        ; implicit-def: $sgpr10
	s_and_saveexec_b64 s[8:9], s[6:7]
	s_xor_b64 s[6:7], exec, s[8:9]
	s_cbranch_execnz .LBB52_3533
; %bb.1485:
	s_or_saveexec_b64 s[6:7], s[6:7]
	v_mov_b32_e32 v6, s10
	s_xor_b64 exec, exec, s[6:7]
	s_cbranch_execnz .LBB52_3536
.LBB52_1486:
	s_or_b64 exec, exec, s[6:7]
	s_and_saveexec_b64 s[6:7], s[4:5]
	s_cbranch_execz .LBB52_1488
.LBB52_1487:
	v_bfe_u32 v6, v4, 8, 3
	v_ffbh_u32_e32 v10, v6
	v_min_u32_e32 v10, 32, v10
	v_lshrrev_b16_e32 v7, 3, v3
	v_subrev_u32_e32 v11, 28, v10
	v_and_b32_e32 v7, 15, v7
	v_lshlrev_b32_e32 v3, v11, v3
	v_sub_u32_e32 v10, 29, v10
	v_and_b32_e32 v3, 7, v3
	v_cmp_eq_u16_e32 vcc, 0, v7
	v_cndmask_b32_e32 v3, v6, v3, vcc
	v_cndmask_b32_e32 v6, v7, v10, vcc
	v_lshlrev_b32_e32 v7, 16, v4
	v_mov_b32_e32 v10, 0x3b800000
	v_lshlrev_b32_e32 v3, 20, v3
	v_and_b32_e32 v7, 0x80000000, v7
	v_lshl_add_u32 v6, v6, 23, v10
	v_or3_b32 v6, v7, v6, v3
.LBB52_1488:
	s_or_b64 exec, exec, s[6:7]
	s_nop 0
	v_mfma_f32_16x16x4f32 a[0:3], v2, v6, a[0:3]
	s_movk_i32 s4, 0xff
	v_and_b32_sdwa v3, v8, s4 dst_sel:DWORD dst_unused:UNUSED_PAD src0_sel:WORD_1 src1_sel:DWORD
	s_movk_i32 s4, 0x7f
	v_cmp_lt_i16_e32 vcc, s4, v3
	s_mov_b64 s[4:5], 0
                                        ; implicit-def: $sgpr10
	s_and_saveexec_b64 s[6:7], vcc
	s_xor_b64 s[6:7], exec, s[6:7]
	s_cbranch_execnz .LBB52_3537
; %bb.1489:
	s_or_saveexec_b64 s[6:7], s[6:7]
	v_mov_b32_e32 v2, s10
	s_xor_b64 exec, exec, s[6:7]
	s_cbranch_execnz .LBB52_3540
.LBB52_1490:
	s_or_b64 exec, exec, s[6:7]
	s_and_saveexec_b64 s[6:7], s[4:5]
	s_cbranch_execz .LBB52_1492
.LBB52_1491:
	v_bfe_u32 v2, v8, 16, 3
	v_ffbh_u32_e32 v7, v2
	v_min_u32_e32 v7, 32, v7
	v_lshrrev_b32_e32 v3, 19, v8
	v_subrev_u32_e32 v10, 28, v7
	v_and_b32_e32 v3, 15, v3
	v_lshlrev_b32_sdwa v10, v10, v8 dst_sel:DWORD dst_unused:UNUSED_PAD src0_sel:DWORD src1_sel:WORD_1
	v_bfe_u32 v6, v8, 19, 4
	v_sub_u32_e32 v7, 29, v7
	v_and_b32_e32 v10, 7, v10
	v_cmp_eq_u16_e32 vcc, 0, v3
	v_cndmask_b32_e32 v2, v2, v10, vcc
	v_cndmask_b32_e32 v3, v6, v7, vcc
	v_lshlrev_b32_e32 v6, 8, v8
	v_mov_b32_e32 v7, 0x3b800000
	v_lshlrev_b32_e32 v2, 20, v2
	v_and_b32_e32 v6, 0x80000000, v6
	v_lshl_add_u32 v3, v3, 23, v7
	v_or3_b32 v2, v6, v3, v2
.LBB52_1492:
	s_or_b64 exec, exec, s[6:7]
	s_movk_i32 s4, 0xff
	v_and_b32_sdwa v3, v4, s4 dst_sel:DWORD dst_unused:UNUSED_PAD src0_sel:WORD_1 src1_sel:DWORD
	s_movk_i32 s4, 0x7f
	v_cmp_lt_i16_e32 vcc, s4, v3
	s_mov_b64 s[4:5], 0
                                        ; implicit-def: $sgpr10
	s_and_saveexec_b64 s[6:7], vcc
	s_xor_b64 s[6:7], exec, s[6:7]
	s_cbranch_execnz .LBB52_3541
; %bb.1493:
	s_or_saveexec_b64 s[6:7], s[6:7]
	v_mov_b32_e32 v6, s10
	s_xor_b64 exec, exec, s[6:7]
	s_cbranch_execnz .LBB52_3544
.LBB52_1494:
	s_or_b64 exec, exec, s[6:7]
	s_and_saveexec_b64 s[6:7], s[4:5]
	s_cbranch_execz .LBB52_1496
.LBB52_1495:
	v_bfe_u32 v3, v4, 16, 3
	v_ffbh_u32_e32 v10, v3
	v_min_u32_e32 v10, 32, v10
	v_lshrrev_b32_e32 v6, 19, v4
	v_subrev_u32_e32 v11, 28, v10
	v_and_b32_e32 v6, 15, v6
	v_lshlrev_b32_sdwa v11, v11, v4 dst_sel:DWORD dst_unused:UNUSED_PAD src0_sel:DWORD src1_sel:WORD_1
	v_bfe_u32 v7, v4, 19, 4
	v_sub_u32_e32 v10, 29, v10
	v_and_b32_e32 v11, 7, v11
	v_cmp_eq_u16_e32 vcc, 0, v6
	v_cndmask_b32_e32 v3, v3, v11, vcc
	v_cndmask_b32_e32 v6, v7, v10, vcc
	v_lshlrev_b32_e32 v7, 8, v4
	v_mov_b32_e32 v10, 0x3b800000
	v_lshlrev_b32_e32 v3, 20, v3
	v_and_b32_e32 v7, 0x80000000, v7
	v_lshl_add_u32 v6, v6, 23, v10
	v_or3_b32 v6, v7, v6, v3
.LBB52_1496:
	s_or_b64 exec, exec, s[6:7]
	s_nop 0
	v_mfma_f32_16x16x4f32 a[0:3], v2, v6, a[0:3]
	s_movk_i32 s4, 0x7f
	v_cmp_gt_i16_sdwa s[6:7], v8, s4 src0_sel:BYTE_3 src1_sel:DWORD
	s_mov_b64 s[4:5], 0
                                        ; implicit-def: $sgpr10
	s_and_saveexec_b64 s[8:9], s[6:7]
	s_xor_b64 s[6:7], exec, s[8:9]
	s_cbranch_execnz .LBB52_3545
; %bb.1497:
	s_or_saveexec_b64 s[6:7], s[6:7]
	v_mov_b32_e32 v2, s10
	s_xor_b64 exec, exec, s[6:7]
	s_cbranch_execnz .LBB52_3548
.LBB52_1498:
	s_or_b64 exec, exec, s[6:7]
	s_and_saveexec_b64 s[6:7], s[4:5]
	s_cbranch_execz .LBB52_1500
.LBB52_1499:
	v_bfe_u32 v2, v8, 24, 3
	v_ffbh_u32_e32 v10, v2
	v_min_u32_e32 v10, 32, v10
	v_lshrrev_b32_e32 v6, 27, v8
	v_subrev_u32_e32 v11, 28, v10
	v_and_b32_e32 v3, 0x80000000, v8
	v_and_b32_e32 v6, 15, v6
	v_bfe_u32 v7, v8, 27, 4
	v_lshlrev_b32_sdwa v8, v11, v8 dst_sel:DWORD dst_unused:UNUSED_PAD src0_sel:DWORD src1_sel:BYTE_3
	v_sub_u32_e32 v10, 29, v10
	v_and_b32_e32 v8, 7, v8
	v_cmp_eq_u16_e32 vcc, 0, v6
	v_cndmask_b32_e32 v2, v2, v8, vcc
	v_cndmask_b32_e32 v6, v7, v10, vcc
	v_mov_b32_e32 v7, 0x3b800000
	v_lshlrev_b32_e32 v2, 20, v2
	v_lshl_add_u32 v6, v6, 23, v7
	v_or3_b32 v2, v3, v6, v2
.LBB52_1500:
	s_or_b64 exec, exec, s[6:7]
	s_movk_i32 s4, 0x7f
	v_cmp_gt_i16_sdwa s[6:7], v4, s4 src0_sel:BYTE_3 src1_sel:DWORD
	s_mov_b64 s[4:5], 0
                                        ; implicit-def: $sgpr10
	s_and_saveexec_b64 s[8:9], s[6:7]
	s_xor_b64 s[6:7], exec, s[8:9]
	s_cbranch_execnz .LBB52_3549
; %bb.1501:
	s_or_saveexec_b64 s[6:7], s[6:7]
	v_mov_b32_e32 v3, s10
	s_xor_b64 exec, exec, s[6:7]
	s_cbranch_execnz .LBB52_3552
.LBB52_1502:
	s_or_b64 exec, exec, s[6:7]
	s_and_saveexec_b64 s[6:7], s[4:5]
	s_cbranch_execz .LBB52_1504
.LBB52_1503:
	v_bfe_u32 v3, v4, 24, 3
	v_ffbh_u32_e32 v10, v3
	v_min_u32_e32 v10, 32, v10
	v_lshrrev_b32_e32 v7, 27, v4
	v_subrev_u32_e32 v11, 28, v10
	v_and_b32_e32 v6, 0x80000000, v4
	v_and_b32_e32 v7, 15, v7
	v_bfe_u32 v8, v4, 27, 4
	v_lshlrev_b32_sdwa v4, v11, v4 dst_sel:DWORD dst_unused:UNUSED_PAD src0_sel:DWORD src1_sel:BYTE_3
	v_sub_u32_e32 v10, 29, v10
	v_and_b32_e32 v4, 7, v4
	v_cmp_eq_u16_e32 vcc, 0, v7
	v_cndmask_b32_e32 v3, v3, v4, vcc
	v_cndmask_b32_e32 v4, v8, v10, vcc
	v_mov_b32_e32 v7, 0x3b800000
	v_lshlrev_b32_e32 v3, 20, v3
	v_lshl_add_u32 v4, v4, 23, v7
	v_or3_b32 v3, v6, v4, v3
.LBB52_1504:
	s_or_b64 exec, exec, s[6:7]
	s_nop 0
	v_mfma_f32_16x16x4f32 a[0:3], v2, v3, a[0:3]
	s_movk_i32 s4, 0x7f
	v_cmp_gt_i16_sdwa s[6:7], v9, s4 src0_sel:BYTE_0 src1_sel:DWORD
	s_mov_b64 s[4:5], 0
                                        ; implicit-def: $sgpr10
	s_and_saveexec_b64 s[8:9], s[6:7]
	s_xor_b64 s[6:7], exec, s[8:9]
	s_cbranch_execnz .LBB52_3553
; %bb.1505:
	s_or_saveexec_b64 s[6:7], s[6:7]
	v_mov_b32_e32 v2, s10
	s_xor_b64 exec, exec, s[6:7]
	s_cbranch_execnz .LBB52_3556
.LBB52_1506:
	s_or_b64 exec, exec, s[6:7]
	s_and_saveexec_b64 s[6:7], s[4:5]
	s_cbranch_execz .LBB52_1508
.LBB52_1507:
	v_mov_b32_e32 v2, 8
	v_and_b32_e32 v3, 7, v9
	v_lshrrev_b32_sdwa v2, v2, v9 dst_sel:BYTE_1 dst_unused:UNUSED_PAD src0_sel:DWORD src1_sel:DWORD
	v_ffbh_u32_e32 v4, v3
	v_or_b32_sdwa v2, v9, v2 dst_sel:DWORD dst_unused:UNUSED_PAD src0_sel:BYTE_0 src1_sel:DWORD
	v_min_u32_e32 v4, 32, v4
	v_lshrrev_b16_e32 v2, 3, v2
	v_subrev_u32_e32 v6, 28, v4
	v_and_b32_e32 v2, 15, v2
	v_lshlrev_b32_e32 v6, v6, v9
	v_sub_u32_e32 v4, 29, v4
	v_and_b32_e32 v6, 7, v6
	v_cmp_eq_u16_e32 vcc, 0, v2
	v_cndmask_b32_e32 v3, v3, v6, vcc
	v_cndmask_b32_e32 v2, v2, v4, vcc
	v_lshlrev_b32_e32 v4, 24, v9
	v_mov_b32_e32 v6, 0x3b800000
	v_lshlrev_b32_e32 v3, 20, v3
	v_and_b32_e32 v4, 0x80000000, v4
	v_lshl_add_u32 v2, v2, 23, v6
	v_or3_b32 v2, v4, v2, v3
.LBB52_1508:
	s_or_b64 exec, exec, s[6:7]
	s_movk_i32 s4, 0x7f
	v_cmp_gt_i16_sdwa s[6:7], v5, s4 src0_sel:BYTE_0 src1_sel:DWORD
	s_mov_b64 s[4:5], 0
                                        ; implicit-def: $sgpr10
	s_and_saveexec_b64 s[8:9], s[6:7]
	s_xor_b64 s[6:7], exec, s[8:9]
	s_cbranch_execnz .LBB52_3557
; %bb.1509:
	s_or_saveexec_b64 s[6:7], s[6:7]
	v_mov_b32_e32 v3, s10
	s_xor_b64 exec, exec, s[6:7]
	s_cbranch_execnz .LBB52_3560
.LBB52_1510:
	s_or_b64 exec, exec, s[6:7]
	s_and_saveexec_b64 s[6:7], s[4:5]
	s_cbranch_execz .LBB52_1512
.LBB52_1511:
	v_mov_b32_e32 v3, 8
	v_and_b32_e32 v4, 7, v5
	v_lshrrev_b32_sdwa v3, v3, v5 dst_sel:BYTE_1 dst_unused:UNUSED_PAD src0_sel:DWORD src1_sel:DWORD
	v_ffbh_u32_e32 v6, v4
	v_or_b32_sdwa v3, v5, v3 dst_sel:DWORD dst_unused:UNUSED_PAD src0_sel:BYTE_0 src1_sel:DWORD
	v_min_u32_e32 v6, 32, v6
	v_lshrrev_b16_e32 v3, 3, v3
	v_subrev_u32_e32 v7, 28, v6
	v_and_b32_e32 v3, 15, v3
	v_lshlrev_b32_e32 v7, v7, v5
	v_sub_u32_e32 v6, 29, v6
	v_and_b32_e32 v7, 7, v7
	v_cmp_eq_u16_e32 vcc, 0, v3
	v_cndmask_b32_e32 v4, v4, v7, vcc
	v_cndmask_b32_e32 v3, v3, v6, vcc
	v_lshlrev_b32_e32 v6, 24, v5
	v_mov_b32_e32 v7, 0x3b800000
	v_lshlrev_b32_e32 v4, 20, v4
	v_and_b32_e32 v6, 0x80000000, v6
	v_lshl_add_u32 v3, v3, 23, v7
	v_or3_b32 v3, v6, v3, v4
.LBB52_1512:
	s_or_b64 exec, exec, s[6:7]
	s_nop 0
	v_mfma_f32_16x16x4f32 a[0:3], v2, v3, a[0:3]
	v_lshrrev_b32_e32 v3, 8, v9
	s_movk_i32 s4, 0x7f
	v_cmp_gt_i16_sdwa s[6:7], v3, s4 src0_sel:BYTE_0 src1_sel:DWORD
	s_mov_b64 s[4:5], 0
                                        ; implicit-def: $sgpr10
	s_and_saveexec_b64 s[8:9], s[6:7]
	s_xor_b64 s[6:7], exec, s[8:9]
	s_cbranch_execnz .LBB52_3561
; %bb.1513:
	s_or_saveexec_b64 s[6:7], s[6:7]
	v_mov_b32_e32 v2, s10
	s_xor_b64 exec, exec, s[6:7]
	s_cbranch_execnz .LBB52_3564
.LBB52_1514:
	s_or_b64 exec, exec, s[6:7]
	s_and_saveexec_b64 s[6:7], s[4:5]
	s_cbranch_execz .LBB52_1516
.LBB52_1515:
	v_bfe_u32 v2, v9, 8, 3
	v_ffbh_u32_e32 v6, v2
	v_min_u32_e32 v6, 32, v6
	v_lshrrev_b16_e32 v4, 3, v3
	v_subrev_u32_e32 v7, 28, v6
	v_and_b32_e32 v4, 15, v4
	v_lshlrev_b32_e32 v3, v7, v3
	v_sub_u32_e32 v6, 29, v6
	v_and_b32_e32 v3, 7, v3
	v_cmp_eq_u16_e32 vcc, 0, v4
	v_cndmask_b32_e32 v2, v2, v3, vcc
	v_cndmask_b32_e32 v3, v4, v6, vcc
	v_lshlrev_b32_e32 v4, 16, v9
	v_mov_b32_e32 v6, 0x3b800000
	v_lshlrev_b32_e32 v2, 20, v2
	v_and_b32_e32 v4, 0x80000000, v4
	v_lshl_add_u32 v3, v3, 23, v6
	v_or3_b32 v2, v4, v3, v2
.LBB52_1516:
	s_or_b64 exec, exec, s[6:7]
	v_lshrrev_b32_e32 v3, 8, v5
	s_movk_i32 s4, 0x7f
	v_cmp_gt_i16_sdwa s[6:7], v3, s4 src0_sel:BYTE_0 src1_sel:DWORD
	s_mov_b64 s[4:5], 0
                                        ; implicit-def: $sgpr10
	s_and_saveexec_b64 s[8:9], s[6:7]
	s_xor_b64 s[6:7], exec, s[8:9]
	s_cbranch_execnz .LBB52_3565
; %bb.1517:
	s_or_saveexec_b64 s[6:7], s[6:7]
	v_mov_b32_e32 v4, s10
	s_xor_b64 exec, exec, s[6:7]
	s_cbranch_execnz .LBB52_3568
.LBB52_1518:
	s_or_b64 exec, exec, s[6:7]
	s_and_saveexec_b64 s[6:7], s[4:5]
	s_cbranch_execz .LBB52_1520
.LBB52_1519:
	v_bfe_u32 v4, v5, 8, 3
	v_ffbh_u32_e32 v7, v4
	v_min_u32_e32 v7, 32, v7
	v_lshrrev_b16_e32 v6, 3, v3
	v_subrev_u32_e32 v8, 28, v7
	v_and_b32_e32 v6, 15, v6
	v_lshlrev_b32_e32 v3, v8, v3
	v_sub_u32_e32 v7, 29, v7
	v_and_b32_e32 v3, 7, v3
	v_cmp_eq_u16_e32 vcc, 0, v6
	v_cndmask_b32_e32 v3, v4, v3, vcc
	v_cndmask_b32_e32 v4, v6, v7, vcc
	v_lshlrev_b32_e32 v6, 16, v5
	v_mov_b32_e32 v7, 0x3b800000
	v_lshlrev_b32_e32 v3, 20, v3
	v_and_b32_e32 v6, 0x80000000, v6
	v_lshl_add_u32 v4, v4, 23, v7
	v_or3_b32 v4, v6, v4, v3
.LBB52_1520:
	s_or_b64 exec, exec, s[6:7]
	s_nop 0
	v_mfma_f32_16x16x4f32 a[0:3], v2, v4, a[0:3]
	s_movk_i32 s4, 0xff
	v_and_b32_sdwa v3, v9, s4 dst_sel:DWORD dst_unused:UNUSED_PAD src0_sel:WORD_1 src1_sel:DWORD
	s_movk_i32 s4, 0x7f
	v_cmp_lt_i16_e32 vcc, s4, v3
	s_mov_b64 s[4:5], 0
                                        ; implicit-def: $sgpr10
	s_and_saveexec_b64 s[6:7], vcc
	s_xor_b64 s[6:7], exec, s[6:7]
	s_cbranch_execnz .LBB52_3569
; %bb.1521:
	s_or_saveexec_b64 s[6:7], s[6:7]
	v_mov_b32_e32 v2, s10
	s_xor_b64 exec, exec, s[6:7]
	s_cbranch_execnz .LBB52_3572
.LBB52_1522:
	s_or_b64 exec, exec, s[6:7]
	s_and_saveexec_b64 s[6:7], s[4:5]
	s_cbranch_execz .LBB52_1524
.LBB52_1523:
	v_bfe_u32 v2, v9, 16, 3
	v_ffbh_u32_e32 v6, v2
	v_min_u32_e32 v6, 32, v6
	v_lshrrev_b32_e32 v3, 19, v9
	v_subrev_u32_e32 v7, 28, v6
	v_and_b32_e32 v3, 15, v3
	v_lshlrev_b32_sdwa v7, v7, v9 dst_sel:DWORD dst_unused:UNUSED_PAD src0_sel:DWORD src1_sel:WORD_1
	v_bfe_u32 v4, v9, 19, 4
	v_sub_u32_e32 v6, 29, v6
	v_and_b32_e32 v7, 7, v7
	v_cmp_eq_u16_e32 vcc, 0, v3
	v_cndmask_b32_e32 v2, v2, v7, vcc
	v_cndmask_b32_e32 v3, v4, v6, vcc
	v_lshlrev_b32_e32 v4, 8, v9
	v_mov_b32_e32 v6, 0x3b800000
	v_lshlrev_b32_e32 v2, 20, v2
	v_and_b32_e32 v4, 0x80000000, v4
	v_lshl_add_u32 v3, v3, 23, v6
	v_or3_b32 v2, v4, v3, v2
.LBB52_1524:
	s_or_b64 exec, exec, s[6:7]
	s_movk_i32 s4, 0xff
	v_and_b32_sdwa v3, v5, s4 dst_sel:DWORD dst_unused:UNUSED_PAD src0_sel:WORD_1 src1_sel:DWORD
	s_movk_i32 s4, 0x7f
	v_cmp_lt_i16_e32 vcc, s4, v3
	s_mov_b64 s[4:5], 0
                                        ; implicit-def: $sgpr10
	s_and_saveexec_b64 s[6:7], vcc
	s_xor_b64 s[6:7], exec, s[6:7]
	s_cbranch_execnz .LBB52_3573
; %bb.1525:
	s_or_saveexec_b64 s[6:7], s[6:7]
	v_mov_b32_e32 v4, s10
	s_xor_b64 exec, exec, s[6:7]
	s_cbranch_execnz .LBB52_3576
.LBB52_1526:
	s_or_b64 exec, exec, s[6:7]
	s_and_saveexec_b64 s[6:7], s[4:5]
	s_cbranch_execz .LBB52_1528
.LBB52_1527:
	v_bfe_u32 v3, v5, 16, 3
	v_ffbh_u32_e32 v7, v3
	v_min_u32_e32 v7, 32, v7
	v_lshrrev_b32_e32 v4, 19, v5
	v_subrev_u32_e32 v8, 28, v7
	v_and_b32_e32 v4, 15, v4
	v_lshlrev_b32_sdwa v8, v8, v5 dst_sel:DWORD dst_unused:UNUSED_PAD src0_sel:DWORD src1_sel:WORD_1
	v_bfe_u32 v6, v5, 19, 4
	v_sub_u32_e32 v7, 29, v7
	v_and_b32_e32 v8, 7, v8
	v_cmp_eq_u16_e32 vcc, 0, v4
	v_cndmask_b32_e32 v3, v3, v8, vcc
	v_cndmask_b32_e32 v4, v6, v7, vcc
	v_lshlrev_b32_e32 v6, 8, v5
	v_mov_b32_e32 v7, 0x3b800000
	v_lshlrev_b32_e32 v3, 20, v3
	v_and_b32_e32 v6, 0x80000000, v6
	v_lshl_add_u32 v4, v4, 23, v7
	v_or3_b32 v4, v6, v4, v3
.LBB52_1528:
	s_or_b64 exec, exec, s[6:7]
	s_nop 0
	v_mfma_f32_16x16x4f32 a[0:3], v2, v4, a[0:3]
	s_movk_i32 s4, 0x7f
	v_cmp_gt_i16_sdwa s[6:7], v9, s4 src0_sel:BYTE_3 src1_sel:DWORD
	s_mov_b64 s[4:5], 0
                                        ; implicit-def: $sgpr10
	s_and_saveexec_b64 s[8:9], s[6:7]
	s_xor_b64 s[6:7], exec, s[8:9]
	s_cbranch_execnz .LBB52_3577
; %bb.1529:
	s_or_saveexec_b64 s[6:7], s[6:7]
	v_mov_b32_e32 v2, s10
	s_xor_b64 exec, exec, s[6:7]
	s_cbranch_execnz .LBB52_3580
.LBB52_1530:
	s_or_b64 exec, exec, s[6:7]
	s_and_saveexec_b64 s[6:7], s[4:5]
	s_cbranch_execz .LBB52_1532
.LBB52_1531:
	v_bfe_u32 v2, v9, 24, 3
	v_ffbh_u32_e32 v7, v2
	v_min_u32_e32 v7, 32, v7
	v_lshrrev_b32_e32 v4, 27, v9
	v_subrev_u32_e32 v8, 28, v7
	v_and_b32_e32 v4, 15, v4
	v_lshlrev_b32_sdwa v8, v8, v9 dst_sel:DWORD dst_unused:UNUSED_PAD src0_sel:DWORD src1_sel:BYTE_3
	v_bfe_u32 v6, v9, 27, 4
	v_sub_u32_e32 v7, 29, v7
	v_and_b32_e32 v8, 7, v8
	v_cmp_eq_u16_e32 vcc, 0, v4
	v_cndmask_b32_e32 v2, v2, v8, vcc
	v_cndmask_b32_e32 v4, v6, v7, vcc
	v_mov_b32_e32 v6, 0x3b800000
	v_and_b32_e32 v3, 0x80000000, v9
	v_lshlrev_b32_e32 v2, 20, v2
	v_lshl_add_u32 v4, v4, 23, v6
	v_or3_b32 v2, v3, v4, v2
.LBB52_1532:
	s_or_b64 exec, exec, s[6:7]
	s_movk_i32 s4, 0x7f
	v_cmp_gt_i16_sdwa s[6:7], v5, s4 src0_sel:BYTE_3 src1_sel:DWORD
	s_mov_b64 s[4:5], 0
                                        ; implicit-def: $sgpr10
	s_and_saveexec_b64 s[8:9], s[6:7]
	s_xor_b64 s[6:7], exec, s[8:9]
	s_cbranch_execnz .LBB52_3581
; %bb.1533:
	s_or_saveexec_b64 s[6:7], s[6:7]
	v_mov_b32_e32 v3, s10
	s_xor_b64 exec, exec, s[6:7]
	s_cbranch_execnz .LBB52_3584
.LBB52_1534:
	s_or_b64 exec, exec, s[6:7]
	s_and_saveexec_b64 s[6:7], s[4:5]
	s_cbranch_execz .LBB52_1536
.LBB52_1535:
	v_bfe_u32 v3, v5, 24, 3
	v_ffbh_u32_e32 v8, v3
	v_min_u32_e32 v8, 32, v8
	v_lshrrev_b32_e32 v6, 27, v5
	v_subrev_u32_e32 v9, 28, v8
	v_and_b32_e32 v4, 0x80000000, v5
	v_and_b32_e32 v6, 15, v6
	v_bfe_u32 v7, v5, 27, 4
	v_lshlrev_b32_sdwa v5, v9, v5 dst_sel:DWORD dst_unused:UNUSED_PAD src0_sel:DWORD src1_sel:BYTE_3
	v_sub_u32_e32 v8, 29, v8
	v_and_b32_e32 v5, 7, v5
	v_cmp_eq_u16_e32 vcc, 0, v6
	v_cndmask_b32_e32 v3, v3, v5, vcc
	v_cndmask_b32_e32 v5, v7, v8, vcc
	v_mov_b32_e32 v6, 0x3b800000
	v_lshlrev_b32_e32 v3, 20, v3
	v_lshl_add_u32 v5, v5, 23, v6
	v_or3_b32 v3, v4, v5, v3
.LBB52_1536:
	s_or_b64 exec, exec, s[6:7]
	s_nop 0
	v_mfma_f32_16x16x4f32 a[0:3], v2, v3, a[0:3]
	s_movk_i32 s4, 0x7f
                                        ; implicit-def: $sgpr10
	s_nop 7
	s_nop 1
	flat_store_dwordx4 v[18:19], a[0:3] offset:80
	flat_load_dwordx4 v[20:23], v[0:1] offset:8
	s_nop 0
	flat_load_dwordx2 v[18:19], v[0:1] offset:24
	s_waitcnt vmcnt(0) lgkmcnt(0)
	flat_load_dwordx4 v[14:17], v[20:21]
	flat_load_dwordx4 v[6:9], v[20:21] offset:16
	flat_load_dwordx4 v[10:13], v[22:23] offset:448
	;; [unrolled: 1-line block ×3, first 2 shown]
	s_waitcnt vmcnt(0) lgkmcnt(0)
	v_cmp_gt_i16_sdwa s[6:7], v14, s4 src0_sel:BYTE_0 src1_sel:DWORD
	s_mov_b64 s[4:5], 0
	s_and_saveexec_b64 s[8:9], s[6:7]
	s_xor_b64 s[6:7], exec, s[8:9]
	s_cbranch_execnz .LBB52_3585
; %bb.1537:
	s_or_saveexec_b64 s[6:7], s[6:7]
	v_mov_b32_e32 v20, s10
	s_xor_b64 exec, exec, s[6:7]
	s_cbranch_execnz .LBB52_3588
.LBB52_1538:
	s_or_b64 exec, exec, s[6:7]
	s_and_saveexec_b64 s[6:7], s[4:5]
	s_cbranch_execz .LBB52_1540
.LBB52_1539:
	v_and_b32_e32 v20, 7, v14
	v_ffbh_u32_e32 v22, v20
	v_min_u32_e32 v22, 32, v22
	v_lshrrev_b16_e32 v21, 3, v14
	v_subrev_u32_e32 v23, 28, v22
	v_and_b32_e32 v21, 15, v21
	v_lshlrev_b32_e32 v23, v23, v14
	v_sub_u32_e32 v22, 29, v22
	v_and_b32_e32 v23, 7, v23
	v_cmp_eq_u16_e32 vcc, 0, v21
	v_cndmask_b32_e32 v20, v20, v23, vcc
	v_cndmask_b32_e32 v21, v21, v22, vcc
	v_lshlrev_b32_e32 v22, 24, v14
	v_mov_b32_e32 v23, 0x3b800000
	v_lshlrev_b32_e32 v20, 20, v20
	v_and_b32_e32 v22, 0x80000000, v22
	v_lshl_add_u32 v21, v21, 23, v23
	v_or3_b32 v20, v22, v21, v20
.LBB52_1540:
	s_or_b64 exec, exec, s[6:7]
	s_movk_i32 s4, 0x7f
	v_cmp_gt_i16_sdwa s[6:7], v10, s4 src0_sel:BYTE_0 src1_sel:DWORD
	s_mov_b64 s[4:5], 0
                                        ; implicit-def: $sgpr10
	s_and_saveexec_b64 s[8:9], s[6:7]
	s_xor_b64 s[6:7], exec, s[8:9]
	s_cbranch_execnz .LBB52_3589
; %bb.1541:
	s_or_saveexec_b64 s[6:7], s[6:7]
	v_mov_b32_e32 v21, s10
	s_xor_b64 exec, exec, s[6:7]
	s_cbranch_execnz .LBB52_3592
.LBB52_1542:
	s_or_b64 exec, exec, s[6:7]
	s_and_saveexec_b64 s[6:7], s[4:5]
	s_cbranch_execz .LBB52_1544
.LBB52_1543:
	v_and_b32_e32 v21, 7, v10
	v_ffbh_u32_e32 v23, v21
	v_min_u32_e32 v23, 32, v23
	v_lshrrev_b16_e32 v22, 3, v10
	v_subrev_u32_e32 v24, 28, v23
	v_and_b32_e32 v22, 15, v22
	v_lshlrev_b32_e32 v24, v24, v10
	v_sub_u32_e32 v23, 29, v23
	v_and_b32_e32 v24, 7, v24
	v_cmp_eq_u16_e32 vcc, 0, v22
	v_cndmask_b32_e32 v21, v21, v24, vcc
	v_cndmask_b32_e32 v22, v22, v23, vcc
	v_lshlrev_b32_e32 v23, 24, v10
	v_mov_b32_e32 v24, 0x3b800000
	v_lshlrev_b32_e32 v21, 20, v21
	v_and_b32_e32 v23, 0x80000000, v23
	v_lshl_add_u32 v22, v22, 23, v24
	v_or3_b32 v21, v23, v22, v21
.LBB52_1544:
	s_or_b64 exec, exec, s[6:7]
	flat_load_dwordx4 a[0:3], v[18:19] offset:96
	s_movk_i32 s4, 0x7f
                                        ; implicit-def: $sgpr10
	s_waitcnt vmcnt(0) lgkmcnt(0)
	v_mfma_f32_16x16x4f32 a[0:3], v20, v21, a[0:3]
	v_lshrrev_b32_e32 v21, 8, v14
	v_cmp_gt_i16_sdwa s[6:7], v21, s4 src0_sel:BYTE_0 src1_sel:DWORD
	s_mov_b64 s[4:5], 0
	s_and_saveexec_b64 s[8:9], s[6:7]
	s_xor_b64 s[6:7], exec, s[8:9]
	s_cbranch_execnz .LBB52_3593
; %bb.1545:
	s_or_saveexec_b64 s[6:7], s[6:7]
	v_mov_b32_e32 v20, s10
	s_xor_b64 exec, exec, s[6:7]
	s_cbranch_execnz .LBB52_3596
.LBB52_1546:
	s_or_b64 exec, exec, s[6:7]
	s_and_saveexec_b64 s[6:7], s[4:5]
	s_cbranch_execz .LBB52_1548
.LBB52_1547:
	v_bfe_u32 v20, v14, 8, 3
	v_ffbh_u32_e32 v23, v20
	v_min_u32_e32 v23, 32, v23
	v_lshrrev_b16_e32 v22, 3, v21
	v_subrev_u32_e32 v24, 28, v23
	v_and_b32_e32 v22, 15, v22
	v_lshlrev_b32_e32 v21, v24, v21
	v_sub_u32_e32 v23, 29, v23
	v_and_b32_e32 v21, 7, v21
	v_cmp_eq_u16_e32 vcc, 0, v22
	v_cndmask_b32_e32 v20, v20, v21, vcc
	v_cndmask_b32_e32 v21, v22, v23, vcc
	v_lshlrev_b32_e32 v22, 16, v14
	v_mov_b32_e32 v23, 0x3b800000
	v_lshlrev_b32_e32 v20, 20, v20
	v_and_b32_e32 v22, 0x80000000, v22
	v_lshl_add_u32 v21, v21, 23, v23
	v_or3_b32 v20, v22, v21, v20
.LBB52_1548:
	s_or_b64 exec, exec, s[6:7]
	v_lshrrev_b32_e32 v21, 8, v10
	s_movk_i32 s4, 0x7f
	v_cmp_gt_i16_sdwa s[6:7], v21, s4 src0_sel:BYTE_0 src1_sel:DWORD
	s_mov_b64 s[4:5], 0
                                        ; implicit-def: $sgpr10
	s_and_saveexec_b64 s[8:9], s[6:7]
	s_xor_b64 s[6:7], exec, s[8:9]
	s_cbranch_execnz .LBB52_3597
; %bb.1549:
	s_or_saveexec_b64 s[6:7], s[6:7]
	v_mov_b32_e32 v22, s10
	s_xor_b64 exec, exec, s[6:7]
	s_cbranch_execnz .LBB52_3600
.LBB52_1550:
	s_or_b64 exec, exec, s[6:7]
	s_and_saveexec_b64 s[6:7], s[4:5]
	s_cbranch_execz .LBB52_1552
.LBB52_1551:
	v_bfe_u32 v22, v10, 8, 3
	v_ffbh_u32_e32 v24, v22
	v_min_u32_e32 v24, 32, v24
	v_lshrrev_b16_e32 v23, 3, v21
	v_subrev_u32_e32 v25, 28, v24
	v_and_b32_e32 v23, 15, v23
	v_lshlrev_b32_e32 v21, v25, v21
	v_sub_u32_e32 v24, 29, v24
	v_and_b32_e32 v21, 7, v21
	v_cmp_eq_u16_e32 vcc, 0, v23
	v_cndmask_b32_e32 v21, v22, v21, vcc
	v_cndmask_b32_e32 v22, v23, v24, vcc
	v_lshlrev_b32_e32 v23, 16, v10
	v_mov_b32_e32 v24, 0x3b800000
	v_lshlrev_b32_e32 v21, 20, v21
	v_and_b32_e32 v23, 0x80000000, v23
	v_lshl_add_u32 v22, v22, 23, v24
	v_or3_b32 v22, v23, v22, v21
.LBB52_1552:
	s_or_b64 exec, exec, s[6:7]
	s_nop 0
	v_mfma_f32_16x16x4f32 a[0:3], v20, v22, a[0:3]
	s_movk_i32 s4, 0xff
	v_and_b32_sdwa v21, v14, s4 dst_sel:DWORD dst_unused:UNUSED_PAD src0_sel:WORD_1 src1_sel:DWORD
	s_movk_i32 s4, 0x7f
	v_cmp_lt_i16_e32 vcc, s4, v21
	s_mov_b64 s[4:5], 0
                                        ; implicit-def: $sgpr10
	s_and_saveexec_b64 s[6:7], vcc
	s_xor_b64 s[6:7], exec, s[6:7]
	s_cbranch_execnz .LBB52_3601
; %bb.1553:
	s_or_saveexec_b64 s[6:7], s[6:7]
	v_mov_b32_e32 v20, s10
	s_xor_b64 exec, exec, s[6:7]
	s_cbranch_execnz .LBB52_3604
.LBB52_1554:
	s_or_b64 exec, exec, s[6:7]
	s_and_saveexec_b64 s[6:7], s[4:5]
	s_cbranch_execz .LBB52_1556
.LBB52_1555:
	v_bfe_u32 v20, v14, 16, 3
	v_ffbh_u32_e32 v23, v20
	v_min_u32_e32 v23, 32, v23
	v_lshrrev_b32_e32 v21, 19, v14
	v_subrev_u32_e32 v24, 28, v23
	v_and_b32_e32 v21, 15, v21
	v_lshlrev_b32_sdwa v24, v24, v14 dst_sel:DWORD dst_unused:UNUSED_PAD src0_sel:DWORD src1_sel:WORD_1
	v_bfe_u32 v22, v14, 19, 4
	v_sub_u32_e32 v23, 29, v23
	v_and_b32_e32 v24, 7, v24
	v_cmp_eq_u16_e32 vcc, 0, v21
	v_cndmask_b32_e32 v20, v20, v24, vcc
	v_cndmask_b32_e32 v21, v22, v23, vcc
	v_lshlrev_b32_e32 v22, 8, v14
	v_mov_b32_e32 v23, 0x3b800000
	v_lshlrev_b32_e32 v20, 20, v20
	v_and_b32_e32 v22, 0x80000000, v22
	v_lshl_add_u32 v21, v21, 23, v23
	v_or3_b32 v20, v22, v21, v20
.LBB52_1556:
	s_or_b64 exec, exec, s[6:7]
	s_movk_i32 s4, 0xff
	v_and_b32_sdwa v21, v10, s4 dst_sel:DWORD dst_unused:UNUSED_PAD src0_sel:WORD_1 src1_sel:DWORD
	s_movk_i32 s4, 0x7f
	v_cmp_lt_i16_e32 vcc, s4, v21
	s_mov_b64 s[4:5], 0
                                        ; implicit-def: $sgpr10
	s_and_saveexec_b64 s[6:7], vcc
	s_xor_b64 s[6:7], exec, s[6:7]
	s_cbranch_execnz .LBB52_3605
; %bb.1557:
	s_or_saveexec_b64 s[6:7], s[6:7]
	v_mov_b32_e32 v22, s10
	s_xor_b64 exec, exec, s[6:7]
	s_cbranch_execnz .LBB52_3608
.LBB52_1558:
	s_or_b64 exec, exec, s[6:7]
	s_and_saveexec_b64 s[6:7], s[4:5]
	s_cbranch_execz .LBB52_1560
.LBB52_1559:
	v_bfe_u32 v21, v10, 16, 3
	v_ffbh_u32_e32 v24, v21
	v_min_u32_e32 v24, 32, v24
	v_lshrrev_b32_e32 v22, 19, v10
	v_subrev_u32_e32 v25, 28, v24
	v_and_b32_e32 v22, 15, v22
	v_lshlrev_b32_sdwa v25, v25, v10 dst_sel:DWORD dst_unused:UNUSED_PAD src0_sel:DWORD src1_sel:WORD_1
	v_bfe_u32 v23, v10, 19, 4
	v_sub_u32_e32 v24, 29, v24
	v_and_b32_e32 v25, 7, v25
	v_cmp_eq_u16_e32 vcc, 0, v22
	v_cndmask_b32_e32 v21, v21, v25, vcc
	v_cndmask_b32_e32 v22, v23, v24, vcc
	v_lshlrev_b32_e32 v23, 8, v10
	v_mov_b32_e32 v24, 0x3b800000
	v_lshlrev_b32_e32 v21, 20, v21
	v_and_b32_e32 v23, 0x80000000, v23
	v_lshl_add_u32 v22, v22, 23, v24
	v_or3_b32 v22, v23, v22, v21
.LBB52_1560:
	s_or_b64 exec, exec, s[6:7]
	s_nop 0
	v_mfma_f32_16x16x4f32 a[0:3], v20, v22, a[0:3]
	s_movk_i32 s4, 0x7f
	v_cmp_gt_i16_sdwa s[6:7], v14, s4 src0_sel:BYTE_3 src1_sel:DWORD
	s_mov_b64 s[4:5], 0
                                        ; implicit-def: $sgpr10
	s_and_saveexec_b64 s[8:9], s[6:7]
	s_xor_b64 s[6:7], exec, s[8:9]
	s_cbranch_execnz .LBB52_3609
; %bb.1561:
	s_or_saveexec_b64 s[6:7], s[6:7]
	v_mov_b32_e32 v20, s10
	s_xor_b64 exec, exec, s[6:7]
	s_cbranch_execnz .LBB52_3612
.LBB52_1562:
	s_or_b64 exec, exec, s[6:7]
	s_and_saveexec_b64 s[6:7], s[4:5]
	s_cbranch_execz .LBB52_1564
.LBB52_1563:
	v_bfe_u32 v20, v14, 24, 3
	v_ffbh_u32_e32 v24, v20
	v_min_u32_e32 v24, 32, v24
	v_lshrrev_b32_e32 v22, 27, v14
	v_subrev_u32_e32 v25, 28, v24
	v_and_b32_e32 v21, 0x80000000, v14
	v_and_b32_e32 v22, 15, v22
	v_bfe_u32 v23, v14, 27, 4
	v_lshlrev_b32_sdwa v14, v25, v14 dst_sel:DWORD dst_unused:UNUSED_PAD src0_sel:DWORD src1_sel:BYTE_3
	v_sub_u32_e32 v24, 29, v24
	v_and_b32_e32 v14, 7, v14
	v_cmp_eq_u16_e32 vcc, 0, v22
	v_cndmask_b32_e32 v14, v20, v14, vcc
	v_cndmask_b32_e32 v20, v23, v24, vcc
	v_mov_b32_e32 v22, 0x3b800000
	v_lshlrev_b32_e32 v14, 20, v14
	v_lshl_add_u32 v20, v20, 23, v22
	v_or3_b32 v20, v21, v20, v14
.LBB52_1564:
	s_or_b64 exec, exec, s[6:7]
	s_movk_i32 s4, 0x7f
	v_cmp_gt_i16_sdwa s[6:7], v10, s4 src0_sel:BYTE_3 src1_sel:DWORD
	s_mov_b64 s[4:5], 0
                                        ; implicit-def: $sgpr10
	s_and_saveexec_b64 s[8:9], s[6:7]
	s_xor_b64 s[6:7], exec, s[8:9]
	s_cbranch_execnz .LBB52_3613
; %bb.1565:
	s_or_saveexec_b64 s[6:7], s[6:7]
	v_mov_b32_e32 v14, s10
	s_xor_b64 exec, exec, s[6:7]
	s_cbranch_execnz .LBB52_3616
.LBB52_1566:
	s_or_b64 exec, exec, s[6:7]
	s_and_saveexec_b64 s[6:7], s[4:5]
	s_cbranch_execz .LBB52_1568
.LBB52_1567:
	v_bfe_u32 v14, v10, 24, 3
	v_ffbh_u32_e32 v24, v14
	v_min_u32_e32 v24, 32, v24
	v_lshrrev_b32_e32 v22, 27, v10
	v_subrev_u32_e32 v25, 28, v24
	v_and_b32_e32 v21, 0x80000000, v10
	v_and_b32_e32 v22, 15, v22
	v_bfe_u32 v23, v10, 27, 4
	v_lshlrev_b32_sdwa v10, v25, v10 dst_sel:DWORD dst_unused:UNUSED_PAD src0_sel:DWORD src1_sel:BYTE_3
	v_sub_u32_e32 v24, 29, v24
	v_and_b32_e32 v10, 7, v10
	v_cmp_eq_u16_e32 vcc, 0, v22
	v_cndmask_b32_e32 v10, v14, v10, vcc
	v_cndmask_b32_e32 v14, v23, v24, vcc
	v_mov_b32_e32 v22, 0x3b800000
	v_lshlrev_b32_e32 v10, 20, v10
	v_lshl_add_u32 v14, v14, 23, v22
	v_or3_b32 v14, v21, v14, v10
.LBB52_1568:
	s_or_b64 exec, exec, s[6:7]
	s_nop 0
	v_mfma_f32_16x16x4f32 a[0:3], v20, v14, a[0:3]
	s_movk_i32 s4, 0x7f
	v_cmp_gt_i16_sdwa s[6:7], v15, s4 src0_sel:BYTE_0 src1_sel:DWORD
	s_mov_b64 s[4:5], 0
                                        ; implicit-def: $sgpr10
	s_and_saveexec_b64 s[8:9], s[6:7]
	s_xor_b64 s[6:7], exec, s[8:9]
	s_cbranch_execnz .LBB52_3617
; %bb.1569:
	s_or_saveexec_b64 s[6:7], s[6:7]
	v_mov_b32_e32 v10, s10
	s_xor_b64 exec, exec, s[6:7]
	s_cbranch_execnz .LBB52_3620
.LBB52_1570:
	s_or_b64 exec, exec, s[6:7]
	s_and_saveexec_b64 s[6:7], s[4:5]
	s_cbranch_execz .LBB52_1572
.LBB52_1571:
	v_and_b32_e32 v10, 7, v15
	v_ffbh_u32_e32 v20, v10
	v_min_u32_e32 v20, 32, v20
	v_lshrrev_b16_e32 v14, 3, v15
	v_subrev_u32_e32 v21, 28, v20
	v_and_b32_e32 v14, 15, v14
	v_lshlrev_b32_e32 v21, v21, v15
	v_sub_u32_e32 v20, 29, v20
	v_and_b32_e32 v21, 7, v21
	v_cmp_eq_u16_e32 vcc, 0, v14
	v_cndmask_b32_e32 v10, v10, v21, vcc
	v_cndmask_b32_e32 v14, v14, v20, vcc
	v_lshlrev_b32_e32 v20, 24, v15
	v_mov_b32_e32 v21, 0x3b800000
	v_lshlrev_b32_e32 v10, 20, v10
	v_and_b32_e32 v20, 0x80000000, v20
	v_lshl_add_u32 v14, v14, 23, v21
	v_or3_b32 v10, v20, v14, v10
.LBB52_1572:
	s_or_b64 exec, exec, s[6:7]
	s_movk_i32 s4, 0x7f
	v_cmp_gt_i16_sdwa s[6:7], v11, s4 src0_sel:BYTE_0 src1_sel:DWORD
	s_mov_b64 s[4:5], 0
                                        ; implicit-def: $sgpr10
	s_and_saveexec_b64 s[8:9], s[6:7]
	s_xor_b64 s[6:7], exec, s[8:9]
	s_cbranch_execnz .LBB52_3621
; %bb.1573:
	s_or_saveexec_b64 s[6:7], s[6:7]
	v_mov_b32_e32 v14, s10
	s_xor_b64 exec, exec, s[6:7]
	s_cbranch_execnz .LBB52_3624
.LBB52_1574:
	s_or_b64 exec, exec, s[6:7]
	s_and_saveexec_b64 s[6:7], s[4:5]
	s_cbranch_execz .LBB52_1576
.LBB52_1575:
	v_and_b32_e32 v14, 7, v11
	v_ffbh_u32_e32 v21, v14
	v_min_u32_e32 v21, 32, v21
	v_lshrrev_b16_e32 v20, 3, v11
	v_subrev_u32_e32 v22, 28, v21
	v_and_b32_e32 v20, 15, v20
	v_lshlrev_b32_e32 v22, v22, v11
	v_sub_u32_e32 v21, 29, v21
	v_and_b32_e32 v22, 7, v22
	v_cmp_eq_u16_e32 vcc, 0, v20
	v_cndmask_b32_e32 v14, v14, v22, vcc
	v_cndmask_b32_e32 v20, v20, v21, vcc
	v_lshlrev_b32_e32 v21, 24, v11
	v_mov_b32_e32 v22, 0x3b800000
	v_lshlrev_b32_e32 v14, 20, v14
	v_and_b32_e32 v21, 0x80000000, v21
	v_lshl_add_u32 v20, v20, 23, v22
	v_or3_b32 v14, v21, v20, v14
.LBB52_1576:
	s_or_b64 exec, exec, s[6:7]
	s_nop 0
	v_mfma_f32_16x16x4f32 a[0:3], v10, v14, a[0:3]
	v_lshrrev_b32_e32 v14, 8, v15
	s_movk_i32 s4, 0x7f
	v_cmp_gt_i16_sdwa s[6:7], v14, s4 src0_sel:BYTE_0 src1_sel:DWORD
	s_mov_b64 s[4:5], 0
                                        ; implicit-def: $sgpr10
	s_and_saveexec_b64 s[8:9], s[6:7]
	s_xor_b64 s[6:7], exec, s[8:9]
	s_cbranch_execnz .LBB52_3625
; %bb.1577:
	s_or_saveexec_b64 s[6:7], s[6:7]
	v_mov_b32_e32 v10, s10
	s_xor_b64 exec, exec, s[6:7]
	s_cbranch_execnz .LBB52_3628
.LBB52_1578:
	s_or_b64 exec, exec, s[6:7]
	s_and_saveexec_b64 s[6:7], s[4:5]
	s_cbranch_execz .LBB52_1580
.LBB52_1579:
	v_bfe_u32 v10, v15, 8, 3
	v_ffbh_u32_e32 v21, v10
	v_min_u32_e32 v21, 32, v21
	v_lshrrev_b16_e32 v20, 3, v14
	v_subrev_u32_e32 v22, 28, v21
	v_and_b32_e32 v20, 15, v20
	v_lshlrev_b32_e32 v14, v22, v14
	v_sub_u32_e32 v21, 29, v21
	v_and_b32_e32 v14, 7, v14
	v_cmp_eq_u16_e32 vcc, 0, v20
	v_cndmask_b32_e32 v10, v10, v14, vcc
	v_cndmask_b32_e32 v14, v20, v21, vcc
	v_lshlrev_b32_e32 v20, 16, v15
	v_mov_b32_e32 v21, 0x3b800000
	v_lshlrev_b32_e32 v10, 20, v10
	v_and_b32_e32 v20, 0x80000000, v20
	v_lshl_add_u32 v14, v14, 23, v21
	v_or3_b32 v10, v20, v14, v10
.LBB52_1580:
	s_or_b64 exec, exec, s[6:7]
	v_lshrrev_b32_e32 v14, 8, v11
	s_movk_i32 s4, 0x7f
	v_cmp_gt_i16_sdwa s[6:7], v14, s4 src0_sel:BYTE_0 src1_sel:DWORD
	s_mov_b64 s[4:5], 0
                                        ; implicit-def: $sgpr10
	s_and_saveexec_b64 s[8:9], s[6:7]
	s_xor_b64 s[6:7], exec, s[8:9]
	s_cbranch_execnz .LBB52_3629
; %bb.1581:
	s_or_saveexec_b64 s[6:7], s[6:7]
	v_mov_b32_e32 v20, s10
	s_xor_b64 exec, exec, s[6:7]
	s_cbranch_execnz .LBB52_3632
.LBB52_1582:
	s_or_b64 exec, exec, s[6:7]
	s_and_saveexec_b64 s[6:7], s[4:5]
	s_cbranch_execz .LBB52_1584
.LBB52_1583:
	v_bfe_u32 v20, v11, 8, 3
	v_ffbh_u32_e32 v22, v20
	v_min_u32_e32 v22, 32, v22
	v_lshrrev_b16_e32 v21, 3, v14
	v_subrev_u32_e32 v23, 28, v22
	v_and_b32_e32 v21, 15, v21
	v_lshlrev_b32_e32 v14, v23, v14
	v_sub_u32_e32 v22, 29, v22
	v_and_b32_e32 v14, 7, v14
	v_cmp_eq_u16_e32 vcc, 0, v21
	v_cndmask_b32_e32 v14, v20, v14, vcc
	v_cndmask_b32_e32 v20, v21, v22, vcc
	v_lshlrev_b32_e32 v21, 16, v11
	v_mov_b32_e32 v22, 0x3b800000
	v_lshlrev_b32_e32 v14, 20, v14
	v_and_b32_e32 v21, 0x80000000, v21
	v_lshl_add_u32 v20, v20, 23, v22
	v_or3_b32 v20, v21, v20, v14
.LBB52_1584:
	s_or_b64 exec, exec, s[6:7]
	s_nop 0
	v_mfma_f32_16x16x4f32 a[0:3], v10, v20, a[0:3]
	s_movk_i32 s4, 0xff
	v_and_b32_sdwa v14, v15, s4 dst_sel:DWORD dst_unused:UNUSED_PAD src0_sel:WORD_1 src1_sel:DWORD
	s_movk_i32 s4, 0x7f
	v_cmp_lt_i16_e32 vcc, s4, v14
	s_mov_b64 s[4:5], 0
                                        ; implicit-def: $sgpr10
	s_and_saveexec_b64 s[6:7], vcc
	s_xor_b64 s[6:7], exec, s[6:7]
	s_cbranch_execnz .LBB52_3633
; %bb.1585:
	s_or_saveexec_b64 s[6:7], s[6:7]
	v_mov_b32_e32 v10, s10
	s_xor_b64 exec, exec, s[6:7]
	s_cbranch_execnz .LBB52_3636
.LBB52_1586:
	s_or_b64 exec, exec, s[6:7]
	s_and_saveexec_b64 s[6:7], s[4:5]
	s_cbranch_execz .LBB52_1588
.LBB52_1587:
	v_bfe_u32 v10, v15, 16, 3
	v_ffbh_u32_e32 v21, v10
	v_min_u32_e32 v21, 32, v21
	v_lshrrev_b32_e32 v14, 19, v15
	v_subrev_u32_e32 v22, 28, v21
	v_and_b32_e32 v14, 15, v14
	v_lshlrev_b32_sdwa v22, v22, v15 dst_sel:DWORD dst_unused:UNUSED_PAD src0_sel:DWORD src1_sel:WORD_1
	v_bfe_u32 v20, v15, 19, 4
	v_sub_u32_e32 v21, 29, v21
	v_and_b32_e32 v22, 7, v22
	v_cmp_eq_u16_e32 vcc, 0, v14
	v_cndmask_b32_e32 v10, v10, v22, vcc
	v_cndmask_b32_e32 v14, v20, v21, vcc
	v_lshlrev_b32_e32 v20, 8, v15
	v_mov_b32_e32 v21, 0x3b800000
	v_lshlrev_b32_e32 v10, 20, v10
	v_and_b32_e32 v20, 0x80000000, v20
	v_lshl_add_u32 v14, v14, 23, v21
	v_or3_b32 v10, v20, v14, v10
.LBB52_1588:
	s_or_b64 exec, exec, s[6:7]
	s_movk_i32 s4, 0xff
	v_and_b32_sdwa v14, v11, s4 dst_sel:DWORD dst_unused:UNUSED_PAD src0_sel:WORD_1 src1_sel:DWORD
	s_movk_i32 s4, 0x7f
	v_cmp_lt_i16_e32 vcc, s4, v14
	s_mov_b64 s[4:5], 0
                                        ; implicit-def: $sgpr10
	s_and_saveexec_b64 s[6:7], vcc
	s_xor_b64 s[6:7], exec, s[6:7]
	s_cbranch_execnz .LBB52_3637
; %bb.1589:
	s_or_saveexec_b64 s[6:7], s[6:7]
	v_mov_b32_e32 v20, s10
	s_xor_b64 exec, exec, s[6:7]
	s_cbranch_execnz .LBB52_3640
.LBB52_1590:
	s_or_b64 exec, exec, s[6:7]
	s_and_saveexec_b64 s[6:7], s[4:5]
	s_cbranch_execz .LBB52_1592
.LBB52_1591:
	v_bfe_u32 v14, v11, 16, 3
	v_ffbh_u32_e32 v22, v14
	v_min_u32_e32 v22, 32, v22
	v_lshrrev_b32_e32 v20, 19, v11
	v_subrev_u32_e32 v23, 28, v22
	v_and_b32_e32 v20, 15, v20
	v_lshlrev_b32_sdwa v23, v23, v11 dst_sel:DWORD dst_unused:UNUSED_PAD src0_sel:DWORD src1_sel:WORD_1
	v_bfe_u32 v21, v11, 19, 4
	v_sub_u32_e32 v22, 29, v22
	v_and_b32_e32 v23, 7, v23
	v_cmp_eq_u16_e32 vcc, 0, v20
	v_cndmask_b32_e32 v14, v14, v23, vcc
	v_cndmask_b32_e32 v20, v21, v22, vcc
	v_lshlrev_b32_e32 v21, 8, v11
	v_mov_b32_e32 v22, 0x3b800000
	v_lshlrev_b32_e32 v14, 20, v14
	v_and_b32_e32 v21, 0x80000000, v21
	v_lshl_add_u32 v20, v20, 23, v22
	v_or3_b32 v20, v21, v20, v14
.LBB52_1592:
	s_or_b64 exec, exec, s[6:7]
	s_nop 0
	v_mfma_f32_16x16x4f32 a[0:3], v10, v20, a[0:3]
	s_movk_i32 s4, 0x7f
	v_cmp_gt_i16_sdwa s[6:7], v15, s4 src0_sel:BYTE_3 src1_sel:DWORD
	s_mov_b64 s[4:5], 0
                                        ; implicit-def: $sgpr10
	s_and_saveexec_b64 s[8:9], s[6:7]
	s_xor_b64 s[6:7], exec, s[8:9]
	s_cbranch_execnz .LBB52_3641
; %bb.1593:
	s_or_saveexec_b64 s[6:7], s[6:7]
	v_mov_b32_e32 v10, s10
	s_xor_b64 exec, exec, s[6:7]
	s_cbranch_execnz .LBB52_3644
.LBB52_1594:
	s_or_b64 exec, exec, s[6:7]
	s_and_saveexec_b64 s[6:7], s[4:5]
	s_cbranch_execz .LBB52_1596
.LBB52_1595:
	v_bfe_u32 v10, v15, 24, 3
	v_ffbh_u32_e32 v22, v10
	v_min_u32_e32 v22, 32, v22
	v_lshrrev_b32_e32 v20, 27, v15
	v_subrev_u32_e32 v23, 28, v22
	v_and_b32_e32 v14, 0x80000000, v15
	v_and_b32_e32 v20, 15, v20
	v_bfe_u32 v21, v15, 27, 4
	v_lshlrev_b32_sdwa v15, v23, v15 dst_sel:DWORD dst_unused:UNUSED_PAD src0_sel:DWORD src1_sel:BYTE_3
	v_sub_u32_e32 v22, 29, v22
	v_and_b32_e32 v15, 7, v15
	v_cmp_eq_u16_e32 vcc, 0, v20
	v_cndmask_b32_e32 v10, v10, v15, vcc
	v_cndmask_b32_e32 v15, v21, v22, vcc
	v_mov_b32_e32 v20, 0x3b800000
	v_lshlrev_b32_e32 v10, 20, v10
	v_lshl_add_u32 v15, v15, 23, v20
	v_or3_b32 v10, v14, v15, v10
.LBB52_1596:
	s_or_b64 exec, exec, s[6:7]
	s_movk_i32 s4, 0x7f
	v_cmp_gt_i16_sdwa s[6:7], v11, s4 src0_sel:BYTE_3 src1_sel:DWORD
	s_mov_b64 s[4:5], 0
                                        ; implicit-def: $sgpr10
	s_and_saveexec_b64 s[8:9], s[6:7]
	s_xor_b64 s[6:7], exec, s[8:9]
	s_cbranch_execnz .LBB52_3645
; %bb.1597:
	s_or_saveexec_b64 s[6:7], s[6:7]
	v_mov_b32_e32 v14, s10
	s_xor_b64 exec, exec, s[6:7]
	s_cbranch_execnz .LBB52_3648
.LBB52_1598:
	s_or_b64 exec, exec, s[6:7]
	s_and_saveexec_b64 s[6:7], s[4:5]
	s_cbranch_execz .LBB52_1600
.LBB52_1599:
	v_bfe_u32 v14, v11, 24, 3
	v_ffbh_u32_e32 v22, v14
	v_min_u32_e32 v22, 32, v22
	v_lshrrev_b32_e32 v20, 27, v11
	v_subrev_u32_e32 v23, 28, v22
	v_and_b32_e32 v15, 0x80000000, v11
	v_and_b32_e32 v20, 15, v20
	v_bfe_u32 v21, v11, 27, 4
	v_lshlrev_b32_sdwa v11, v23, v11 dst_sel:DWORD dst_unused:UNUSED_PAD src0_sel:DWORD src1_sel:BYTE_3
	v_sub_u32_e32 v22, 29, v22
	v_and_b32_e32 v11, 7, v11
	v_cmp_eq_u16_e32 vcc, 0, v20
	v_cndmask_b32_e32 v11, v14, v11, vcc
	v_cndmask_b32_e32 v14, v21, v22, vcc
	v_mov_b32_e32 v20, 0x3b800000
	v_lshlrev_b32_e32 v11, 20, v11
	v_lshl_add_u32 v14, v14, 23, v20
	v_or3_b32 v14, v15, v14, v11
.LBB52_1600:
	s_or_b64 exec, exec, s[6:7]
	s_nop 0
	v_mfma_f32_16x16x4f32 a[0:3], v10, v14, a[0:3]
	s_movk_i32 s4, 0x7f
	v_cmp_gt_i16_sdwa s[6:7], v16, s4 src0_sel:BYTE_0 src1_sel:DWORD
	s_mov_b64 s[4:5], 0
                                        ; implicit-def: $sgpr10
	s_and_saveexec_b64 s[8:9], s[6:7]
	s_xor_b64 s[6:7], exec, s[8:9]
	s_cbranch_execnz .LBB52_3649
; %bb.1601:
	s_or_saveexec_b64 s[6:7], s[6:7]
	v_mov_b32_e32 v10, s10
	s_xor_b64 exec, exec, s[6:7]
	s_cbranch_execnz .LBB52_3652
.LBB52_1602:
	s_or_b64 exec, exec, s[6:7]
	s_and_saveexec_b64 s[6:7], s[4:5]
	s_cbranch_execz .LBB52_1604
.LBB52_1603:
	v_and_b32_e32 v10, 7, v16
	v_ffbh_u32_e32 v14, v10
	v_min_u32_e32 v14, 32, v14
	v_lshrrev_b16_e32 v11, 3, v16
	v_subrev_u32_e32 v15, 28, v14
	v_and_b32_e32 v11, 15, v11
	v_lshlrev_b32_e32 v15, v15, v16
	v_sub_u32_e32 v14, 29, v14
	v_and_b32_e32 v15, 7, v15
	v_cmp_eq_u16_e32 vcc, 0, v11
	v_cndmask_b32_e32 v10, v10, v15, vcc
	v_cndmask_b32_e32 v11, v11, v14, vcc
	v_lshlrev_b32_e32 v14, 24, v16
	v_mov_b32_e32 v15, 0x3b800000
	v_lshlrev_b32_e32 v10, 20, v10
	v_and_b32_e32 v14, 0x80000000, v14
	v_lshl_add_u32 v11, v11, 23, v15
	v_or3_b32 v10, v14, v11, v10
.LBB52_1604:
	s_or_b64 exec, exec, s[6:7]
	s_movk_i32 s4, 0x7f
	v_cmp_gt_i16_sdwa s[6:7], v12, s4 src0_sel:BYTE_0 src1_sel:DWORD
	s_mov_b64 s[4:5], 0
                                        ; implicit-def: $sgpr10
	s_and_saveexec_b64 s[8:9], s[6:7]
	s_xor_b64 s[6:7], exec, s[8:9]
	s_cbranch_execnz .LBB52_3653
; %bb.1605:
	s_or_saveexec_b64 s[6:7], s[6:7]
	v_mov_b32_e32 v11, s10
	s_xor_b64 exec, exec, s[6:7]
	s_cbranch_execnz .LBB52_3656
.LBB52_1606:
	s_or_b64 exec, exec, s[6:7]
	s_and_saveexec_b64 s[6:7], s[4:5]
	s_cbranch_execz .LBB52_1608
.LBB52_1607:
	v_and_b32_e32 v11, 7, v12
	v_ffbh_u32_e32 v15, v11
	v_min_u32_e32 v15, 32, v15
	v_lshrrev_b16_e32 v14, 3, v12
	v_subrev_u32_e32 v20, 28, v15
	v_and_b32_e32 v14, 15, v14
	v_lshlrev_b32_e32 v20, v20, v12
	v_sub_u32_e32 v15, 29, v15
	v_and_b32_e32 v20, 7, v20
	v_cmp_eq_u16_e32 vcc, 0, v14
	v_cndmask_b32_e32 v11, v11, v20, vcc
	v_cndmask_b32_e32 v14, v14, v15, vcc
	v_lshlrev_b32_e32 v15, 24, v12
	v_mov_b32_e32 v20, 0x3b800000
	v_lshlrev_b32_e32 v11, 20, v11
	v_and_b32_e32 v15, 0x80000000, v15
	v_lshl_add_u32 v14, v14, 23, v20
	v_or3_b32 v11, v15, v14, v11
.LBB52_1608:
	s_or_b64 exec, exec, s[6:7]
	s_nop 0
	v_mfma_f32_16x16x4f32 a[0:3], v10, v11, a[0:3]
	v_lshrrev_b32_e32 v11, 8, v16
	s_movk_i32 s4, 0x7f
	v_cmp_gt_i16_sdwa s[6:7], v11, s4 src0_sel:BYTE_0 src1_sel:DWORD
	s_mov_b64 s[4:5], 0
                                        ; implicit-def: $sgpr10
	s_and_saveexec_b64 s[8:9], s[6:7]
	s_xor_b64 s[6:7], exec, s[8:9]
	s_cbranch_execnz .LBB52_3657
; %bb.1609:
	s_or_saveexec_b64 s[6:7], s[6:7]
	v_mov_b32_e32 v10, s10
	s_xor_b64 exec, exec, s[6:7]
	s_cbranch_execnz .LBB52_3660
.LBB52_1610:
	s_or_b64 exec, exec, s[6:7]
	s_and_saveexec_b64 s[6:7], s[4:5]
	s_cbranch_execz .LBB52_1612
.LBB52_1611:
	v_bfe_u32 v10, v16, 8, 3
	v_ffbh_u32_e32 v15, v10
	v_min_u32_e32 v15, 32, v15
	v_lshrrev_b16_e32 v14, 3, v11
	v_subrev_u32_e32 v20, 28, v15
	v_and_b32_e32 v14, 15, v14
	v_lshlrev_b32_e32 v11, v20, v11
	v_sub_u32_e32 v15, 29, v15
	v_and_b32_e32 v11, 7, v11
	v_cmp_eq_u16_e32 vcc, 0, v14
	v_cndmask_b32_e32 v10, v10, v11, vcc
	v_cndmask_b32_e32 v11, v14, v15, vcc
	v_lshlrev_b32_e32 v14, 16, v16
	v_mov_b32_e32 v15, 0x3b800000
	v_lshlrev_b32_e32 v10, 20, v10
	v_and_b32_e32 v14, 0x80000000, v14
	v_lshl_add_u32 v11, v11, 23, v15
	v_or3_b32 v10, v14, v11, v10
.LBB52_1612:
	s_or_b64 exec, exec, s[6:7]
	v_lshrrev_b32_e32 v11, 8, v12
	s_movk_i32 s4, 0x7f
	v_cmp_gt_i16_sdwa s[6:7], v11, s4 src0_sel:BYTE_0 src1_sel:DWORD
	s_mov_b64 s[4:5], 0
                                        ; implicit-def: $sgpr10
	s_and_saveexec_b64 s[8:9], s[6:7]
	s_xor_b64 s[6:7], exec, s[8:9]
	s_cbranch_execnz .LBB52_3661
; %bb.1613:
	s_or_saveexec_b64 s[6:7], s[6:7]
	v_mov_b32_e32 v14, s10
	s_xor_b64 exec, exec, s[6:7]
	s_cbranch_execnz .LBB52_3664
.LBB52_1614:
	s_or_b64 exec, exec, s[6:7]
	s_and_saveexec_b64 s[6:7], s[4:5]
	s_cbranch_execz .LBB52_1616
.LBB52_1615:
	v_bfe_u32 v14, v12, 8, 3
	v_ffbh_u32_e32 v20, v14
	v_min_u32_e32 v20, 32, v20
	v_lshrrev_b16_e32 v15, 3, v11
	v_subrev_u32_e32 v21, 28, v20
	v_and_b32_e32 v15, 15, v15
	v_lshlrev_b32_e32 v11, v21, v11
	v_sub_u32_e32 v20, 29, v20
	v_and_b32_e32 v11, 7, v11
	v_cmp_eq_u16_e32 vcc, 0, v15
	v_cndmask_b32_e32 v11, v14, v11, vcc
	v_cndmask_b32_e32 v14, v15, v20, vcc
	v_lshlrev_b32_e32 v15, 16, v12
	v_mov_b32_e32 v20, 0x3b800000
	v_lshlrev_b32_e32 v11, 20, v11
	v_and_b32_e32 v15, 0x80000000, v15
	v_lshl_add_u32 v14, v14, 23, v20
	v_or3_b32 v14, v15, v14, v11
.LBB52_1616:
	s_or_b64 exec, exec, s[6:7]
	s_nop 0
	v_mfma_f32_16x16x4f32 a[0:3], v10, v14, a[0:3]
	s_movk_i32 s4, 0xff
	v_and_b32_sdwa v11, v16, s4 dst_sel:DWORD dst_unused:UNUSED_PAD src0_sel:WORD_1 src1_sel:DWORD
	s_movk_i32 s4, 0x7f
	v_cmp_lt_i16_e32 vcc, s4, v11
	s_mov_b64 s[4:5], 0
                                        ; implicit-def: $sgpr10
	s_and_saveexec_b64 s[6:7], vcc
	s_xor_b64 s[6:7], exec, s[6:7]
	s_cbranch_execnz .LBB52_3665
; %bb.1617:
	s_or_saveexec_b64 s[6:7], s[6:7]
	v_mov_b32_e32 v10, s10
	s_xor_b64 exec, exec, s[6:7]
	s_cbranch_execnz .LBB52_3668
.LBB52_1618:
	s_or_b64 exec, exec, s[6:7]
	s_and_saveexec_b64 s[6:7], s[4:5]
	s_cbranch_execz .LBB52_1620
.LBB52_1619:
	v_bfe_u32 v10, v16, 16, 3
	v_ffbh_u32_e32 v15, v10
	v_min_u32_e32 v15, 32, v15
	v_lshrrev_b32_e32 v11, 19, v16
	v_subrev_u32_e32 v20, 28, v15
	v_and_b32_e32 v11, 15, v11
	v_lshlrev_b32_sdwa v20, v20, v16 dst_sel:DWORD dst_unused:UNUSED_PAD src0_sel:DWORD src1_sel:WORD_1
	v_bfe_u32 v14, v16, 19, 4
	v_sub_u32_e32 v15, 29, v15
	v_and_b32_e32 v20, 7, v20
	v_cmp_eq_u16_e32 vcc, 0, v11
	v_cndmask_b32_e32 v10, v10, v20, vcc
	v_cndmask_b32_e32 v11, v14, v15, vcc
	v_lshlrev_b32_e32 v14, 8, v16
	v_mov_b32_e32 v15, 0x3b800000
	v_lshlrev_b32_e32 v10, 20, v10
	v_and_b32_e32 v14, 0x80000000, v14
	v_lshl_add_u32 v11, v11, 23, v15
	v_or3_b32 v10, v14, v11, v10
.LBB52_1620:
	s_or_b64 exec, exec, s[6:7]
	s_movk_i32 s4, 0xff
	v_and_b32_sdwa v11, v12, s4 dst_sel:DWORD dst_unused:UNUSED_PAD src0_sel:WORD_1 src1_sel:DWORD
	s_movk_i32 s4, 0x7f
	v_cmp_lt_i16_e32 vcc, s4, v11
	s_mov_b64 s[4:5], 0
                                        ; implicit-def: $sgpr10
	s_and_saveexec_b64 s[6:7], vcc
	s_xor_b64 s[6:7], exec, s[6:7]
	s_cbranch_execnz .LBB52_3669
; %bb.1621:
	s_or_saveexec_b64 s[6:7], s[6:7]
	v_mov_b32_e32 v14, s10
	s_xor_b64 exec, exec, s[6:7]
	s_cbranch_execnz .LBB52_3672
.LBB52_1622:
	s_or_b64 exec, exec, s[6:7]
	s_and_saveexec_b64 s[6:7], s[4:5]
	s_cbranch_execz .LBB52_1624
.LBB52_1623:
	v_bfe_u32 v11, v12, 16, 3
	v_ffbh_u32_e32 v20, v11
	v_min_u32_e32 v20, 32, v20
	v_lshrrev_b32_e32 v14, 19, v12
	v_subrev_u32_e32 v21, 28, v20
	v_and_b32_e32 v14, 15, v14
	v_lshlrev_b32_sdwa v21, v21, v12 dst_sel:DWORD dst_unused:UNUSED_PAD src0_sel:DWORD src1_sel:WORD_1
	v_bfe_u32 v15, v12, 19, 4
	v_sub_u32_e32 v20, 29, v20
	v_and_b32_e32 v21, 7, v21
	v_cmp_eq_u16_e32 vcc, 0, v14
	v_cndmask_b32_e32 v11, v11, v21, vcc
	v_cndmask_b32_e32 v14, v15, v20, vcc
	v_lshlrev_b32_e32 v15, 8, v12
	v_mov_b32_e32 v20, 0x3b800000
	v_lshlrev_b32_e32 v11, 20, v11
	v_and_b32_e32 v15, 0x80000000, v15
	v_lshl_add_u32 v14, v14, 23, v20
	v_or3_b32 v14, v15, v14, v11
.LBB52_1624:
	s_or_b64 exec, exec, s[6:7]
	s_nop 0
	v_mfma_f32_16x16x4f32 a[0:3], v10, v14, a[0:3]
	s_movk_i32 s4, 0x7f
	v_cmp_gt_i16_sdwa s[6:7], v16, s4 src0_sel:BYTE_3 src1_sel:DWORD
	s_mov_b64 s[4:5], 0
                                        ; implicit-def: $sgpr10
	s_and_saveexec_b64 s[8:9], s[6:7]
	s_xor_b64 s[6:7], exec, s[8:9]
	s_cbranch_execnz .LBB52_3673
; %bb.1625:
	s_or_saveexec_b64 s[6:7], s[6:7]
	v_mov_b32_e32 v10, s10
	s_xor_b64 exec, exec, s[6:7]
	s_cbranch_execnz .LBB52_3676
.LBB52_1626:
	s_or_b64 exec, exec, s[6:7]
	s_and_saveexec_b64 s[6:7], s[4:5]
	s_cbranch_execz .LBB52_1628
.LBB52_1627:
	v_bfe_u32 v10, v16, 24, 3
	v_ffbh_u32_e32 v20, v10
	v_min_u32_e32 v20, 32, v20
	v_lshrrev_b32_e32 v14, 27, v16
	v_subrev_u32_e32 v21, 28, v20
	v_and_b32_e32 v11, 0x80000000, v16
	v_and_b32_e32 v14, 15, v14
	v_bfe_u32 v15, v16, 27, 4
	v_lshlrev_b32_sdwa v16, v21, v16 dst_sel:DWORD dst_unused:UNUSED_PAD src0_sel:DWORD src1_sel:BYTE_3
	v_sub_u32_e32 v20, 29, v20
	v_and_b32_e32 v16, 7, v16
	v_cmp_eq_u16_e32 vcc, 0, v14
	v_cndmask_b32_e32 v10, v10, v16, vcc
	v_cndmask_b32_e32 v14, v15, v20, vcc
	v_mov_b32_e32 v15, 0x3b800000
	v_lshlrev_b32_e32 v10, 20, v10
	v_lshl_add_u32 v14, v14, 23, v15
	v_or3_b32 v10, v11, v14, v10
.LBB52_1628:
	s_or_b64 exec, exec, s[6:7]
	s_movk_i32 s4, 0x7f
	v_cmp_gt_i16_sdwa s[6:7], v12, s4 src0_sel:BYTE_3 src1_sel:DWORD
	s_mov_b64 s[4:5], 0
                                        ; implicit-def: $sgpr10
	s_and_saveexec_b64 s[8:9], s[6:7]
	s_xor_b64 s[6:7], exec, s[8:9]
	s_cbranch_execnz .LBB52_3677
; %bb.1629:
	s_or_saveexec_b64 s[6:7], s[6:7]
	v_mov_b32_e32 v11, s10
	s_xor_b64 exec, exec, s[6:7]
	s_cbranch_execnz .LBB52_3680
.LBB52_1630:
	s_or_b64 exec, exec, s[6:7]
	s_and_saveexec_b64 s[6:7], s[4:5]
	s_cbranch_execz .LBB52_1632
.LBB52_1631:
	v_bfe_u32 v11, v12, 24, 3
	v_ffbh_u32_e32 v20, v11
	v_min_u32_e32 v20, 32, v20
	v_lshrrev_b32_e32 v15, 27, v12
	v_subrev_u32_e32 v21, 28, v20
	v_and_b32_e32 v14, 0x80000000, v12
	v_and_b32_e32 v15, 15, v15
	v_bfe_u32 v16, v12, 27, 4
	v_lshlrev_b32_sdwa v12, v21, v12 dst_sel:DWORD dst_unused:UNUSED_PAD src0_sel:DWORD src1_sel:BYTE_3
	v_sub_u32_e32 v20, 29, v20
	v_and_b32_e32 v12, 7, v12
	v_cmp_eq_u16_e32 vcc, 0, v15
	v_cndmask_b32_e32 v11, v11, v12, vcc
	v_cndmask_b32_e32 v12, v16, v20, vcc
	v_mov_b32_e32 v15, 0x3b800000
	v_lshlrev_b32_e32 v11, 20, v11
	v_lshl_add_u32 v12, v12, 23, v15
	v_or3_b32 v11, v14, v12, v11
.LBB52_1632:
	s_or_b64 exec, exec, s[6:7]
	s_nop 0
	v_mfma_f32_16x16x4f32 a[0:3], v10, v11, a[0:3]
	s_movk_i32 s4, 0x7f
	v_cmp_gt_i16_sdwa s[6:7], v17, s4 src0_sel:BYTE_0 src1_sel:DWORD
	s_mov_b64 s[4:5], 0
                                        ; implicit-def: $sgpr10
	s_and_saveexec_b64 s[8:9], s[6:7]
	s_xor_b64 s[6:7], exec, s[8:9]
	s_cbranch_execnz .LBB52_3681
; %bb.1633:
	s_or_saveexec_b64 s[6:7], s[6:7]
	v_mov_b32_e32 v10, s10
	s_xor_b64 exec, exec, s[6:7]
	s_cbranch_execnz .LBB52_3684
.LBB52_1634:
	s_or_b64 exec, exec, s[6:7]
	s_and_saveexec_b64 s[6:7], s[4:5]
	s_cbranch_execz .LBB52_1636
.LBB52_1635:
	v_and_b32_e32 v10, 7, v17
	v_ffbh_u32_e32 v12, v10
	v_min_u32_e32 v12, 32, v12
	v_lshrrev_b16_e32 v11, 3, v17
	v_subrev_u32_e32 v14, 28, v12
	v_and_b32_e32 v11, 15, v11
	v_lshlrev_b32_e32 v14, v14, v17
	v_sub_u32_e32 v12, 29, v12
	v_and_b32_e32 v14, 7, v14
	v_cmp_eq_u16_e32 vcc, 0, v11
	v_cndmask_b32_e32 v10, v10, v14, vcc
	v_cndmask_b32_e32 v11, v11, v12, vcc
	v_lshlrev_b32_e32 v12, 24, v17
	v_mov_b32_e32 v14, 0x3b800000
	v_lshlrev_b32_e32 v10, 20, v10
	v_and_b32_e32 v12, 0x80000000, v12
	v_lshl_add_u32 v11, v11, 23, v14
	v_or3_b32 v10, v12, v11, v10
.LBB52_1636:
	s_or_b64 exec, exec, s[6:7]
	s_movk_i32 s4, 0x7f
	v_cmp_gt_i16_sdwa s[6:7], v13, s4 src0_sel:BYTE_0 src1_sel:DWORD
	s_mov_b64 s[4:5], 0
                                        ; implicit-def: $sgpr10
	s_and_saveexec_b64 s[8:9], s[6:7]
	s_xor_b64 s[6:7], exec, s[8:9]
	s_cbranch_execnz .LBB52_3685
; %bb.1637:
	s_or_saveexec_b64 s[6:7], s[6:7]
	v_mov_b32_e32 v11, s10
	s_xor_b64 exec, exec, s[6:7]
	s_cbranch_execnz .LBB52_3688
.LBB52_1638:
	s_or_b64 exec, exec, s[6:7]
	s_and_saveexec_b64 s[6:7], s[4:5]
	s_cbranch_execz .LBB52_1640
.LBB52_1639:
	v_and_b32_e32 v11, 7, v13
	v_ffbh_u32_e32 v14, v11
	v_min_u32_e32 v14, 32, v14
	v_lshrrev_b16_e32 v12, 3, v13
	v_subrev_u32_e32 v15, 28, v14
	v_and_b32_e32 v12, 15, v12
	v_lshlrev_b32_e32 v15, v15, v13
	v_sub_u32_e32 v14, 29, v14
	v_and_b32_e32 v15, 7, v15
	v_cmp_eq_u16_e32 vcc, 0, v12
	v_cndmask_b32_e32 v11, v11, v15, vcc
	v_cndmask_b32_e32 v12, v12, v14, vcc
	v_lshlrev_b32_e32 v14, 24, v13
	v_mov_b32_e32 v15, 0x3b800000
	v_lshlrev_b32_e32 v11, 20, v11
	v_and_b32_e32 v14, 0x80000000, v14
	v_lshl_add_u32 v12, v12, 23, v15
	v_or3_b32 v11, v14, v12, v11
.LBB52_1640:
	s_or_b64 exec, exec, s[6:7]
	s_nop 0
	v_mfma_f32_16x16x4f32 a[0:3], v10, v11, a[0:3]
	v_lshrrev_b32_e32 v11, 8, v17
	s_movk_i32 s4, 0x7f
	v_cmp_gt_i16_sdwa s[6:7], v11, s4 src0_sel:BYTE_0 src1_sel:DWORD
	s_mov_b64 s[4:5], 0
                                        ; implicit-def: $sgpr10
	s_and_saveexec_b64 s[8:9], s[6:7]
	s_xor_b64 s[6:7], exec, s[8:9]
	s_cbranch_execnz .LBB52_3689
; %bb.1641:
	s_or_saveexec_b64 s[6:7], s[6:7]
	v_mov_b32_e32 v10, s10
	s_xor_b64 exec, exec, s[6:7]
	s_cbranch_execnz .LBB52_3692
.LBB52_1642:
	s_or_b64 exec, exec, s[6:7]
	s_and_saveexec_b64 s[6:7], s[4:5]
	s_cbranch_execz .LBB52_1644
.LBB52_1643:
	v_bfe_u32 v10, v17, 8, 3
	v_ffbh_u32_e32 v14, v10
	v_min_u32_e32 v14, 32, v14
	v_lshrrev_b16_e32 v12, 3, v11
	v_subrev_u32_e32 v15, 28, v14
	v_and_b32_e32 v12, 15, v12
	v_lshlrev_b32_e32 v11, v15, v11
	v_sub_u32_e32 v14, 29, v14
	v_and_b32_e32 v11, 7, v11
	v_cmp_eq_u16_e32 vcc, 0, v12
	v_cndmask_b32_e32 v10, v10, v11, vcc
	v_cndmask_b32_e32 v11, v12, v14, vcc
	v_lshlrev_b32_e32 v12, 16, v17
	v_mov_b32_e32 v14, 0x3b800000
	v_lshlrev_b32_e32 v10, 20, v10
	v_and_b32_e32 v12, 0x80000000, v12
	v_lshl_add_u32 v11, v11, 23, v14
	v_or3_b32 v10, v12, v11, v10
.LBB52_1644:
	s_or_b64 exec, exec, s[6:7]
	v_lshrrev_b32_e32 v11, 8, v13
	s_movk_i32 s4, 0x7f
	v_cmp_gt_i16_sdwa s[6:7], v11, s4 src0_sel:BYTE_0 src1_sel:DWORD
	s_mov_b64 s[4:5], 0
                                        ; implicit-def: $sgpr10
	s_and_saveexec_b64 s[8:9], s[6:7]
	s_xor_b64 s[6:7], exec, s[8:9]
	s_cbranch_execnz .LBB52_3693
; %bb.1645:
	s_or_saveexec_b64 s[6:7], s[6:7]
	v_mov_b32_e32 v12, s10
	s_xor_b64 exec, exec, s[6:7]
	s_cbranch_execnz .LBB52_3696
.LBB52_1646:
	s_or_b64 exec, exec, s[6:7]
	s_and_saveexec_b64 s[6:7], s[4:5]
	s_cbranch_execz .LBB52_1648
.LBB52_1647:
	v_bfe_u32 v12, v13, 8, 3
	v_ffbh_u32_e32 v15, v12
	v_min_u32_e32 v15, 32, v15
	v_lshrrev_b16_e32 v14, 3, v11
	v_subrev_u32_e32 v16, 28, v15
	v_and_b32_e32 v14, 15, v14
	v_lshlrev_b32_e32 v11, v16, v11
	v_sub_u32_e32 v15, 29, v15
	v_and_b32_e32 v11, 7, v11
	v_cmp_eq_u16_e32 vcc, 0, v14
	v_cndmask_b32_e32 v11, v12, v11, vcc
	v_cndmask_b32_e32 v12, v14, v15, vcc
	v_lshlrev_b32_e32 v14, 16, v13
	v_mov_b32_e32 v15, 0x3b800000
	v_lshlrev_b32_e32 v11, 20, v11
	v_and_b32_e32 v14, 0x80000000, v14
	v_lshl_add_u32 v12, v12, 23, v15
	v_or3_b32 v12, v14, v12, v11
.LBB52_1648:
	s_or_b64 exec, exec, s[6:7]
	s_nop 0
	v_mfma_f32_16x16x4f32 a[0:3], v10, v12, a[0:3]
	s_movk_i32 s4, 0xff
	v_and_b32_sdwa v11, v17, s4 dst_sel:DWORD dst_unused:UNUSED_PAD src0_sel:WORD_1 src1_sel:DWORD
	s_movk_i32 s4, 0x7f
	v_cmp_lt_i16_e32 vcc, s4, v11
	s_mov_b64 s[4:5], 0
                                        ; implicit-def: $sgpr10
	s_and_saveexec_b64 s[6:7], vcc
	s_xor_b64 s[6:7], exec, s[6:7]
	s_cbranch_execnz .LBB52_3697
; %bb.1649:
	s_or_saveexec_b64 s[6:7], s[6:7]
	v_mov_b32_e32 v10, s10
	s_xor_b64 exec, exec, s[6:7]
	s_cbranch_execnz .LBB52_3700
.LBB52_1650:
	s_or_b64 exec, exec, s[6:7]
	s_and_saveexec_b64 s[6:7], s[4:5]
	s_cbranch_execz .LBB52_1652
.LBB52_1651:
	v_bfe_u32 v10, v17, 16, 3
	v_ffbh_u32_e32 v14, v10
	v_min_u32_e32 v14, 32, v14
	v_lshrrev_b32_e32 v11, 19, v17
	v_subrev_u32_e32 v15, 28, v14
	v_and_b32_e32 v11, 15, v11
	v_lshlrev_b32_sdwa v15, v15, v17 dst_sel:DWORD dst_unused:UNUSED_PAD src0_sel:DWORD src1_sel:WORD_1
	v_bfe_u32 v12, v17, 19, 4
	v_sub_u32_e32 v14, 29, v14
	v_and_b32_e32 v15, 7, v15
	v_cmp_eq_u16_e32 vcc, 0, v11
	v_cndmask_b32_e32 v10, v10, v15, vcc
	v_cndmask_b32_e32 v11, v12, v14, vcc
	v_lshlrev_b32_e32 v12, 8, v17
	v_mov_b32_e32 v14, 0x3b800000
	v_lshlrev_b32_e32 v10, 20, v10
	v_and_b32_e32 v12, 0x80000000, v12
	v_lshl_add_u32 v11, v11, 23, v14
	v_or3_b32 v10, v12, v11, v10
.LBB52_1652:
	s_or_b64 exec, exec, s[6:7]
	s_movk_i32 s4, 0xff
	v_and_b32_sdwa v11, v13, s4 dst_sel:DWORD dst_unused:UNUSED_PAD src0_sel:WORD_1 src1_sel:DWORD
	s_movk_i32 s4, 0x7f
	v_cmp_lt_i16_e32 vcc, s4, v11
	s_mov_b64 s[4:5], 0
                                        ; implicit-def: $sgpr10
	s_and_saveexec_b64 s[6:7], vcc
	s_xor_b64 s[6:7], exec, s[6:7]
	s_cbranch_execnz .LBB52_3701
; %bb.1653:
	s_or_saveexec_b64 s[6:7], s[6:7]
	v_mov_b32_e32 v12, s10
	s_xor_b64 exec, exec, s[6:7]
	s_cbranch_execnz .LBB52_3704
.LBB52_1654:
	s_or_b64 exec, exec, s[6:7]
	s_and_saveexec_b64 s[6:7], s[4:5]
	s_cbranch_execz .LBB52_1656
.LBB52_1655:
	v_bfe_u32 v11, v13, 16, 3
	v_ffbh_u32_e32 v15, v11
	v_min_u32_e32 v15, 32, v15
	v_lshrrev_b32_e32 v12, 19, v13
	v_subrev_u32_e32 v16, 28, v15
	v_and_b32_e32 v12, 15, v12
	v_lshlrev_b32_sdwa v16, v16, v13 dst_sel:DWORD dst_unused:UNUSED_PAD src0_sel:DWORD src1_sel:WORD_1
	v_bfe_u32 v14, v13, 19, 4
	v_sub_u32_e32 v15, 29, v15
	v_and_b32_e32 v16, 7, v16
	v_cmp_eq_u16_e32 vcc, 0, v12
	v_cndmask_b32_e32 v11, v11, v16, vcc
	v_cndmask_b32_e32 v12, v14, v15, vcc
	v_lshlrev_b32_e32 v14, 8, v13
	v_mov_b32_e32 v15, 0x3b800000
	v_lshlrev_b32_e32 v11, 20, v11
	v_and_b32_e32 v14, 0x80000000, v14
	v_lshl_add_u32 v12, v12, 23, v15
	v_or3_b32 v12, v14, v12, v11
.LBB52_1656:
	s_or_b64 exec, exec, s[6:7]
	s_nop 0
	v_mfma_f32_16x16x4f32 a[0:3], v10, v12, a[0:3]
	s_movk_i32 s4, 0x7f
	v_cmp_gt_i16_sdwa s[6:7], v17, s4 src0_sel:BYTE_3 src1_sel:DWORD
	s_mov_b64 s[4:5], 0
                                        ; implicit-def: $sgpr10
	s_and_saveexec_b64 s[8:9], s[6:7]
	s_xor_b64 s[6:7], exec, s[8:9]
	s_cbranch_execnz .LBB52_3705
; %bb.1657:
	s_or_saveexec_b64 s[6:7], s[6:7]
	v_mov_b32_e32 v10, s10
	s_xor_b64 exec, exec, s[6:7]
	s_cbranch_execnz .LBB52_3708
.LBB52_1658:
	s_or_b64 exec, exec, s[6:7]
	s_and_saveexec_b64 s[6:7], s[4:5]
	s_cbranch_execz .LBB52_1660
.LBB52_1659:
	v_bfe_u32 v10, v17, 24, 3
	v_ffbh_u32_e32 v15, v10
	v_min_u32_e32 v15, 32, v15
	v_lshrrev_b32_e32 v12, 27, v17
	v_subrev_u32_e32 v16, 28, v15
	v_and_b32_e32 v12, 15, v12
	v_lshlrev_b32_sdwa v16, v16, v17 dst_sel:DWORD dst_unused:UNUSED_PAD src0_sel:DWORD src1_sel:BYTE_3
	v_bfe_u32 v14, v17, 27, 4
	v_sub_u32_e32 v15, 29, v15
	v_and_b32_e32 v16, 7, v16
	v_cmp_eq_u16_e32 vcc, 0, v12
	v_cndmask_b32_e32 v10, v10, v16, vcc
	v_cndmask_b32_e32 v12, v14, v15, vcc
	v_mov_b32_e32 v14, 0x3b800000
	v_and_b32_e32 v11, 0x80000000, v17
	v_lshlrev_b32_e32 v10, 20, v10
	v_lshl_add_u32 v12, v12, 23, v14
	v_or3_b32 v10, v11, v12, v10
.LBB52_1660:
	s_or_b64 exec, exec, s[6:7]
	s_movk_i32 s4, 0x7f
	v_cmp_gt_i16_sdwa s[6:7], v13, s4 src0_sel:BYTE_3 src1_sel:DWORD
	s_mov_b64 s[4:5], 0
                                        ; implicit-def: $sgpr10
	s_and_saveexec_b64 s[8:9], s[6:7]
	s_xor_b64 s[6:7], exec, s[8:9]
	s_cbranch_execnz .LBB52_3709
; %bb.1661:
	s_or_saveexec_b64 s[6:7], s[6:7]
	v_mov_b32_e32 v11, s10
	s_xor_b64 exec, exec, s[6:7]
	s_cbranch_execnz .LBB52_3712
.LBB52_1662:
	s_or_b64 exec, exec, s[6:7]
	s_and_saveexec_b64 s[6:7], s[4:5]
	s_cbranch_execz .LBB52_1664
.LBB52_1663:
	v_bfe_u32 v11, v13, 24, 3
	v_ffbh_u32_e32 v16, v11
	v_min_u32_e32 v16, 32, v16
	v_lshrrev_b32_e32 v14, 27, v13
	v_subrev_u32_e32 v17, 28, v16
	v_and_b32_e32 v12, 0x80000000, v13
	v_and_b32_e32 v14, 15, v14
	v_bfe_u32 v15, v13, 27, 4
	v_lshlrev_b32_sdwa v13, v17, v13 dst_sel:DWORD dst_unused:UNUSED_PAD src0_sel:DWORD src1_sel:BYTE_3
	v_sub_u32_e32 v16, 29, v16
	v_and_b32_e32 v13, 7, v13
	v_cmp_eq_u16_e32 vcc, 0, v14
	v_cndmask_b32_e32 v11, v11, v13, vcc
	v_cndmask_b32_e32 v13, v15, v16, vcc
	v_mov_b32_e32 v14, 0x3b800000
	v_lshlrev_b32_e32 v11, 20, v11
	v_lshl_add_u32 v13, v13, 23, v14
	v_or3_b32 v11, v12, v13, v11
.LBB52_1664:
	s_or_b64 exec, exec, s[6:7]
	s_nop 0
	v_mfma_f32_16x16x4f32 a[0:3], v10, v11, a[0:3]
	s_movk_i32 s4, 0x7f
	v_cmp_gt_i16_sdwa s[6:7], v6, s4 src0_sel:BYTE_0 src1_sel:DWORD
	s_mov_b64 s[4:5], 0
                                        ; implicit-def: $sgpr10
	s_and_saveexec_b64 s[8:9], s[6:7]
	s_xor_b64 s[6:7], exec, s[8:9]
	s_cbranch_execnz .LBB52_3713
; %bb.1665:
	s_or_saveexec_b64 s[6:7], s[6:7]
	v_mov_b32_e32 v10, s10
	s_xor_b64 exec, exec, s[6:7]
	s_cbranch_execnz .LBB52_3716
.LBB52_1666:
	s_or_b64 exec, exec, s[6:7]
	s_and_saveexec_b64 s[6:7], s[4:5]
	s_cbranch_execz .LBB52_1668
.LBB52_1667:
	v_and_b32_e32 v10, 7, v6
	v_ffbh_u32_e32 v12, v10
	v_min_u32_e32 v12, 32, v12
	v_lshrrev_b16_e32 v11, 3, v6
	v_subrev_u32_e32 v13, 28, v12
	v_and_b32_e32 v11, 15, v11
	v_lshlrev_b32_e32 v13, v13, v6
	v_sub_u32_e32 v12, 29, v12
	v_and_b32_e32 v13, 7, v13
	v_cmp_eq_u16_e32 vcc, 0, v11
	v_cndmask_b32_e32 v10, v10, v13, vcc
	v_cndmask_b32_e32 v11, v11, v12, vcc
	v_lshlrev_b32_e32 v12, 24, v6
	v_mov_b32_e32 v13, 0x3b800000
	v_lshlrev_b32_e32 v10, 20, v10
	v_and_b32_e32 v12, 0x80000000, v12
	v_lshl_add_u32 v11, v11, 23, v13
	v_or3_b32 v10, v12, v11, v10
.LBB52_1668:
	s_or_b64 exec, exec, s[6:7]
	s_movk_i32 s4, 0x7f
	v_cmp_gt_i16_sdwa s[6:7], v2, s4 src0_sel:BYTE_0 src1_sel:DWORD
	s_mov_b64 s[4:5], 0
                                        ; implicit-def: $sgpr10
	s_and_saveexec_b64 s[8:9], s[6:7]
	s_xor_b64 s[6:7], exec, s[8:9]
	s_cbranch_execnz .LBB52_3717
; %bb.1669:
	s_or_saveexec_b64 s[6:7], s[6:7]
	v_mov_b32_e32 v11, s10
	s_xor_b64 exec, exec, s[6:7]
	s_cbranch_execnz .LBB52_3720
.LBB52_1670:
	s_or_b64 exec, exec, s[6:7]
	s_and_saveexec_b64 s[6:7], s[4:5]
	s_cbranch_execz .LBB52_1672
.LBB52_1671:
	v_and_b32_e32 v11, 7, v2
	v_ffbh_u32_e32 v13, v11
	v_min_u32_e32 v13, 32, v13
	v_lshrrev_b16_e32 v12, 3, v2
	v_subrev_u32_e32 v14, 28, v13
	v_and_b32_e32 v12, 15, v12
	v_lshlrev_b32_e32 v14, v14, v2
	v_sub_u32_e32 v13, 29, v13
	v_and_b32_e32 v14, 7, v14
	v_cmp_eq_u16_e32 vcc, 0, v12
	v_cndmask_b32_e32 v11, v11, v14, vcc
	v_cndmask_b32_e32 v12, v12, v13, vcc
	v_lshlrev_b32_e32 v13, 24, v2
	v_mov_b32_e32 v14, 0x3b800000
	v_lshlrev_b32_e32 v11, 20, v11
	v_and_b32_e32 v13, 0x80000000, v13
	v_lshl_add_u32 v12, v12, 23, v14
	v_or3_b32 v11, v13, v12, v11
.LBB52_1672:
	s_or_b64 exec, exec, s[6:7]
	s_nop 0
	v_mfma_f32_16x16x4f32 a[0:3], v10, v11, a[0:3]
	v_lshrrev_b32_e32 v11, 8, v6
	s_movk_i32 s4, 0x7f
	v_cmp_gt_i16_sdwa s[6:7], v11, s4 src0_sel:BYTE_0 src1_sel:DWORD
	s_mov_b64 s[4:5], 0
                                        ; implicit-def: $sgpr10
	s_and_saveexec_b64 s[8:9], s[6:7]
	s_xor_b64 s[6:7], exec, s[8:9]
	s_cbranch_execnz .LBB52_3721
; %bb.1673:
	s_or_saveexec_b64 s[6:7], s[6:7]
	v_mov_b32_e32 v10, s10
	s_xor_b64 exec, exec, s[6:7]
	s_cbranch_execnz .LBB52_3724
.LBB52_1674:
	s_or_b64 exec, exec, s[6:7]
	s_and_saveexec_b64 s[6:7], s[4:5]
	s_cbranch_execz .LBB52_1676
.LBB52_1675:
	v_bfe_u32 v10, v6, 8, 3
	v_ffbh_u32_e32 v13, v10
	v_min_u32_e32 v13, 32, v13
	v_lshrrev_b16_e32 v12, 3, v11
	v_subrev_u32_e32 v14, 28, v13
	v_and_b32_e32 v12, 15, v12
	v_lshlrev_b32_e32 v11, v14, v11
	v_sub_u32_e32 v13, 29, v13
	v_and_b32_e32 v11, 7, v11
	v_cmp_eq_u16_e32 vcc, 0, v12
	v_cndmask_b32_e32 v10, v10, v11, vcc
	v_cndmask_b32_e32 v11, v12, v13, vcc
	v_lshlrev_b32_e32 v12, 16, v6
	v_mov_b32_e32 v13, 0x3b800000
	v_lshlrev_b32_e32 v10, 20, v10
	v_and_b32_e32 v12, 0x80000000, v12
	v_lshl_add_u32 v11, v11, 23, v13
	v_or3_b32 v10, v12, v11, v10
.LBB52_1676:
	s_or_b64 exec, exec, s[6:7]
	v_lshrrev_b32_e32 v11, 8, v2
	s_movk_i32 s4, 0x7f
	v_cmp_gt_i16_sdwa s[6:7], v11, s4 src0_sel:BYTE_0 src1_sel:DWORD
	s_mov_b64 s[4:5], 0
                                        ; implicit-def: $sgpr10
	s_and_saveexec_b64 s[8:9], s[6:7]
	s_xor_b64 s[6:7], exec, s[8:9]
	s_cbranch_execnz .LBB52_3725
; %bb.1677:
	s_or_saveexec_b64 s[6:7], s[6:7]
	v_mov_b32_e32 v12, s10
	s_xor_b64 exec, exec, s[6:7]
	s_cbranch_execnz .LBB52_3728
.LBB52_1678:
	s_or_b64 exec, exec, s[6:7]
	s_and_saveexec_b64 s[6:7], s[4:5]
	s_cbranch_execz .LBB52_1680
.LBB52_1679:
	v_bfe_u32 v12, v2, 8, 3
	v_ffbh_u32_e32 v14, v12
	v_min_u32_e32 v14, 32, v14
	v_lshrrev_b16_e32 v13, 3, v11
	v_subrev_u32_e32 v15, 28, v14
	v_and_b32_e32 v13, 15, v13
	v_lshlrev_b32_e32 v11, v15, v11
	v_sub_u32_e32 v14, 29, v14
	v_and_b32_e32 v11, 7, v11
	v_cmp_eq_u16_e32 vcc, 0, v13
	v_cndmask_b32_e32 v11, v12, v11, vcc
	v_cndmask_b32_e32 v12, v13, v14, vcc
	v_lshlrev_b32_e32 v13, 16, v2
	v_mov_b32_e32 v14, 0x3b800000
	v_lshlrev_b32_e32 v11, 20, v11
	v_and_b32_e32 v13, 0x80000000, v13
	v_lshl_add_u32 v12, v12, 23, v14
	v_or3_b32 v12, v13, v12, v11
.LBB52_1680:
	s_or_b64 exec, exec, s[6:7]
	s_nop 0
	v_mfma_f32_16x16x4f32 a[0:3], v10, v12, a[0:3]
	s_movk_i32 s4, 0xff
	v_and_b32_sdwa v11, v6, s4 dst_sel:DWORD dst_unused:UNUSED_PAD src0_sel:WORD_1 src1_sel:DWORD
	s_movk_i32 s4, 0x7f
	v_cmp_lt_i16_e32 vcc, s4, v11
	s_mov_b64 s[4:5], 0
                                        ; implicit-def: $sgpr10
	s_and_saveexec_b64 s[6:7], vcc
	s_xor_b64 s[6:7], exec, s[6:7]
	s_cbranch_execnz .LBB52_3729
; %bb.1681:
	s_or_saveexec_b64 s[6:7], s[6:7]
	v_mov_b32_e32 v10, s10
	s_xor_b64 exec, exec, s[6:7]
	s_cbranch_execnz .LBB52_3732
.LBB52_1682:
	s_or_b64 exec, exec, s[6:7]
	s_and_saveexec_b64 s[6:7], s[4:5]
	s_cbranch_execz .LBB52_1684
.LBB52_1683:
	v_bfe_u32 v10, v6, 16, 3
	v_ffbh_u32_e32 v13, v10
	v_min_u32_e32 v13, 32, v13
	v_lshrrev_b32_e32 v11, 19, v6
	v_subrev_u32_e32 v14, 28, v13
	v_and_b32_e32 v11, 15, v11
	v_lshlrev_b32_sdwa v14, v14, v6 dst_sel:DWORD dst_unused:UNUSED_PAD src0_sel:DWORD src1_sel:WORD_1
	v_bfe_u32 v12, v6, 19, 4
	v_sub_u32_e32 v13, 29, v13
	v_and_b32_e32 v14, 7, v14
	v_cmp_eq_u16_e32 vcc, 0, v11
	v_cndmask_b32_e32 v10, v10, v14, vcc
	v_cndmask_b32_e32 v11, v12, v13, vcc
	v_lshlrev_b32_e32 v12, 8, v6
	v_mov_b32_e32 v13, 0x3b800000
	v_lshlrev_b32_e32 v10, 20, v10
	v_and_b32_e32 v12, 0x80000000, v12
	v_lshl_add_u32 v11, v11, 23, v13
	v_or3_b32 v10, v12, v11, v10
.LBB52_1684:
	s_or_b64 exec, exec, s[6:7]
	s_movk_i32 s4, 0xff
	v_and_b32_sdwa v11, v2, s4 dst_sel:DWORD dst_unused:UNUSED_PAD src0_sel:WORD_1 src1_sel:DWORD
	s_movk_i32 s4, 0x7f
	v_cmp_lt_i16_e32 vcc, s4, v11
	s_mov_b64 s[4:5], 0
                                        ; implicit-def: $sgpr10
	s_and_saveexec_b64 s[6:7], vcc
	s_xor_b64 s[6:7], exec, s[6:7]
	s_cbranch_execnz .LBB52_3733
; %bb.1685:
	s_or_saveexec_b64 s[6:7], s[6:7]
	v_mov_b32_e32 v12, s10
	s_xor_b64 exec, exec, s[6:7]
	s_cbranch_execnz .LBB52_3736
.LBB52_1686:
	s_or_b64 exec, exec, s[6:7]
	s_and_saveexec_b64 s[6:7], s[4:5]
	s_cbranch_execz .LBB52_1688
.LBB52_1687:
	v_bfe_u32 v11, v2, 16, 3
	v_ffbh_u32_e32 v14, v11
	v_min_u32_e32 v14, 32, v14
	v_lshrrev_b32_e32 v12, 19, v2
	v_subrev_u32_e32 v15, 28, v14
	v_and_b32_e32 v12, 15, v12
	v_lshlrev_b32_sdwa v15, v15, v2 dst_sel:DWORD dst_unused:UNUSED_PAD src0_sel:DWORD src1_sel:WORD_1
	v_bfe_u32 v13, v2, 19, 4
	v_sub_u32_e32 v14, 29, v14
	v_and_b32_e32 v15, 7, v15
	v_cmp_eq_u16_e32 vcc, 0, v12
	v_cndmask_b32_e32 v11, v11, v15, vcc
	v_cndmask_b32_e32 v12, v13, v14, vcc
	v_lshlrev_b32_e32 v13, 8, v2
	v_mov_b32_e32 v14, 0x3b800000
	v_lshlrev_b32_e32 v11, 20, v11
	v_and_b32_e32 v13, 0x80000000, v13
	v_lshl_add_u32 v12, v12, 23, v14
	v_or3_b32 v12, v13, v12, v11
.LBB52_1688:
	s_or_b64 exec, exec, s[6:7]
	s_nop 0
	v_mfma_f32_16x16x4f32 a[0:3], v10, v12, a[0:3]
	s_movk_i32 s4, 0x7f
	v_cmp_gt_i16_sdwa s[6:7], v6, s4 src0_sel:BYTE_3 src1_sel:DWORD
	s_mov_b64 s[4:5], 0
                                        ; implicit-def: $sgpr10
	s_and_saveexec_b64 s[8:9], s[6:7]
	s_xor_b64 s[6:7], exec, s[8:9]
	s_cbranch_execnz .LBB52_3737
; %bb.1689:
	s_or_saveexec_b64 s[6:7], s[6:7]
	v_mov_b32_e32 v10, s10
	s_xor_b64 exec, exec, s[6:7]
	s_cbranch_execnz .LBB52_3740
.LBB52_1690:
	s_or_b64 exec, exec, s[6:7]
	s_and_saveexec_b64 s[6:7], s[4:5]
	s_cbranch_execz .LBB52_1692
.LBB52_1691:
	v_bfe_u32 v10, v6, 24, 3
	v_ffbh_u32_e32 v14, v10
	v_min_u32_e32 v14, 32, v14
	v_lshrrev_b32_e32 v12, 27, v6
	v_subrev_u32_e32 v15, 28, v14
	v_and_b32_e32 v11, 0x80000000, v6
	v_and_b32_e32 v12, 15, v12
	v_bfe_u32 v13, v6, 27, 4
	v_lshlrev_b32_sdwa v6, v15, v6 dst_sel:DWORD dst_unused:UNUSED_PAD src0_sel:DWORD src1_sel:BYTE_3
	v_sub_u32_e32 v14, 29, v14
	v_and_b32_e32 v6, 7, v6
	v_cmp_eq_u16_e32 vcc, 0, v12
	v_cndmask_b32_e32 v6, v10, v6, vcc
	v_cndmask_b32_e32 v10, v13, v14, vcc
	v_mov_b32_e32 v12, 0x3b800000
	v_lshlrev_b32_e32 v6, 20, v6
	v_lshl_add_u32 v10, v10, 23, v12
	v_or3_b32 v10, v11, v10, v6
.LBB52_1692:
	s_or_b64 exec, exec, s[6:7]
	s_movk_i32 s4, 0x7f
	v_cmp_gt_i16_sdwa s[6:7], v2, s4 src0_sel:BYTE_3 src1_sel:DWORD
	s_mov_b64 s[4:5], 0
                                        ; implicit-def: $sgpr10
	s_and_saveexec_b64 s[8:9], s[6:7]
	s_xor_b64 s[6:7], exec, s[8:9]
	s_cbranch_execnz .LBB52_3741
; %bb.1693:
	s_or_saveexec_b64 s[6:7], s[6:7]
	v_mov_b32_e32 v6, s10
	s_xor_b64 exec, exec, s[6:7]
	s_cbranch_execnz .LBB52_3744
.LBB52_1694:
	s_or_b64 exec, exec, s[6:7]
	s_and_saveexec_b64 s[6:7], s[4:5]
	s_cbranch_execz .LBB52_1696
.LBB52_1695:
	v_bfe_u32 v6, v2, 24, 3
	v_ffbh_u32_e32 v14, v6
	v_min_u32_e32 v14, 32, v14
	v_lshrrev_b32_e32 v12, 27, v2
	v_subrev_u32_e32 v15, 28, v14
	v_and_b32_e32 v11, 0x80000000, v2
	v_and_b32_e32 v12, 15, v12
	v_bfe_u32 v13, v2, 27, 4
	v_lshlrev_b32_sdwa v2, v15, v2 dst_sel:DWORD dst_unused:UNUSED_PAD src0_sel:DWORD src1_sel:BYTE_3
	v_sub_u32_e32 v14, 29, v14
	v_and_b32_e32 v2, 7, v2
	v_cmp_eq_u16_e32 vcc, 0, v12
	v_cndmask_b32_e32 v2, v6, v2, vcc
	v_cndmask_b32_e32 v6, v13, v14, vcc
	v_mov_b32_e32 v12, 0x3b800000
	v_lshlrev_b32_e32 v2, 20, v2
	v_lshl_add_u32 v6, v6, 23, v12
	v_or3_b32 v6, v11, v6, v2
.LBB52_1696:
	s_or_b64 exec, exec, s[6:7]
	s_nop 0
	v_mfma_f32_16x16x4f32 a[0:3], v10, v6, a[0:3]
	s_movk_i32 s4, 0x7f
	v_cmp_gt_i16_sdwa s[6:7], v7, s4 src0_sel:BYTE_0 src1_sel:DWORD
	s_mov_b64 s[4:5], 0
                                        ; implicit-def: $sgpr10
	s_and_saveexec_b64 s[8:9], s[6:7]
	s_xor_b64 s[6:7], exec, s[8:9]
	s_cbranch_execnz .LBB52_3745
; %bb.1697:
	s_or_saveexec_b64 s[6:7], s[6:7]
	v_mov_b32_e32 v2, s10
	s_xor_b64 exec, exec, s[6:7]
	s_cbranch_execnz .LBB52_3748
.LBB52_1698:
	s_or_b64 exec, exec, s[6:7]
	s_and_saveexec_b64 s[6:7], s[4:5]
	s_cbranch_execz .LBB52_1700
.LBB52_1699:
	v_and_b32_e32 v2, 7, v7
	v_ffbh_u32_e32 v10, v2
	v_min_u32_e32 v10, 32, v10
	v_lshrrev_b16_e32 v6, 3, v7
	v_subrev_u32_e32 v11, 28, v10
	v_and_b32_e32 v6, 15, v6
	v_lshlrev_b32_e32 v11, v11, v7
	v_sub_u32_e32 v10, 29, v10
	v_and_b32_e32 v11, 7, v11
	v_cmp_eq_u16_e32 vcc, 0, v6
	v_cndmask_b32_e32 v2, v2, v11, vcc
	v_cndmask_b32_e32 v6, v6, v10, vcc
	v_lshlrev_b32_e32 v10, 24, v7
	v_mov_b32_e32 v11, 0x3b800000
	v_lshlrev_b32_e32 v2, 20, v2
	v_and_b32_e32 v10, 0x80000000, v10
	v_lshl_add_u32 v6, v6, 23, v11
	v_or3_b32 v2, v10, v6, v2
.LBB52_1700:
	s_or_b64 exec, exec, s[6:7]
	s_movk_i32 s4, 0x7f
	v_cmp_gt_i16_sdwa s[6:7], v3, s4 src0_sel:BYTE_0 src1_sel:DWORD
	s_mov_b64 s[4:5], 0
                                        ; implicit-def: $sgpr10
	s_and_saveexec_b64 s[8:9], s[6:7]
	s_xor_b64 s[6:7], exec, s[8:9]
	s_cbranch_execnz .LBB52_3749
; %bb.1701:
	s_or_saveexec_b64 s[6:7], s[6:7]
	v_mov_b32_e32 v6, s10
	s_xor_b64 exec, exec, s[6:7]
	s_cbranch_execnz .LBB52_3752
.LBB52_1702:
	s_or_b64 exec, exec, s[6:7]
	s_and_saveexec_b64 s[6:7], s[4:5]
	s_cbranch_execz .LBB52_1704
.LBB52_1703:
	v_and_b32_e32 v6, 7, v3
	v_ffbh_u32_e32 v11, v6
	v_min_u32_e32 v11, 32, v11
	v_lshrrev_b16_e32 v10, 3, v3
	v_subrev_u32_e32 v12, 28, v11
	v_and_b32_e32 v10, 15, v10
	v_lshlrev_b32_e32 v12, v12, v3
	v_sub_u32_e32 v11, 29, v11
	v_and_b32_e32 v12, 7, v12
	v_cmp_eq_u16_e32 vcc, 0, v10
	v_cndmask_b32_e32 v6, v6, v12, vcc
	v_cndmask_b32_e32 v10, v10, v11, vcc
	v_lshlrev_b32_e32 v11, 24, v3
	v_mov_b32_e32 v12, 0x3b800000
	v_lshlrev_b32_e32 v6, 20, v6
	v_and_b32_e32 v11, 0x80000000, v11
	v_lshl_add_u32 v10, v10, 23, v12
	v_or3_b32 v6, v11, v10, v6
.LBB52_1704:
	s_or_b64 exec, exec, s[6:7]
	s_nop 0
	v_mfma_f32_16x16x4f32 a[0:3], v2, v6, a[0:3]
	v_lshrrev_b32_e32 v6, 8, v7
	s_movk_i32 s4, 0x7f
	v_cmp_gt_i16_sdwa s[6:7], v6, s4 src0_sel:BYTE_0 src1_sel:DWORD
	s_mov_b64 s[4:5], 0
                                        ; implicit-def: $sgpr10
	s_and_saveexec_b64 s[8:9], s[6:7]
	s_xor_b64 s[6:7], exec, s[8:9]
	s_cbranch_execnz .LBB52_3753
; %bb.1705:
	s_or_saveexec_b64 s[6:7], s[6:7]
	v_mov_b32_e32 v2, s10
	s_xor_b64 exec, exec, s[6:7]
	s_cbranch_execnz .LBB52_3756
.LBB52_1706:
	s_or_b64 exec, exec, s[6:7]
	s_and_saveexec_b64 s[6:7], s[4:5]
	s_cbranch_execz .LBB52_1708
.LBB52_1707:
	v_bfe_u32 v2, v7, 8, 3
	v_ffbh_u32_e32 v11, v2
	v_min_u32_e32 v11, 32, v11
	v_lshrrev_b16_e32 v10, 3, v6
	v_subrev_u32_e32 v12, 28, v11
	v_and_b32_e32 v10, 15, v10
	v_lshlrev_b32_e32 v6, v12, v6
	v_sub_u32_e32 v11, 29, v11
	v_and_b32_e32 v6, 7, v6
	v_cmp_eq_u16_e32 vcc, 0, v10
	v_cndmask_b32_e32 v2, v2, v6, vcc
	v_cndmask_b32_e32 v6, v10, v11, vcc
	v_lshlrev_b32_e32 v10, 16, v7
	v_mov_b32_e32 v11, 0x3b800000
	v_lshlrev_b32_e32 v2, 20, v2
	v_and_b32_e32 v10, 0x80000000, v10
	v_lshl_add_u32 v6, v6, 23, v11
	v_or3_b32 v2, v10, v6, v2
.LBB52_1708:
	s_or_b64 exec, exec, s[6:7]
	v_lshrrev_b32_e32 v6, 8, v3
	s_movk_i32 s4, 0x7f
	v_cmp_gt_i16_sdwa s[6:7], v6, s4 src0_sel:BYTE_0 src1_sel:DWORD
	s_mov_b64 s[4:5], 0
                                        ; implicit-def: $sgpr10
	s_and_saveexec_b64 s[8:9], s[6:7]
	s_xor_b64 s[6:7], exec, s[8:9]
	s_cbranch_execnz .LBB52_3757
; %bb.1709:
	s_or_saveexec_b64 s[6:7], s[6:7]
	v_mov_b32_e32 v10, s10
	s_xor_b64 exec, exec, s[6:7]
	s_cbranch_execnz .LBB52_3760
.LBB52_1710:
	s_or_b64 exec, exec, s[6:7]
	s_and_saveexec_b64 s[6:7], s[4:5]
	s_cbranch_execz .LBB52_1712
.LBB52_1711:
	v_bfe_u32 v10, v3, 8, 3
	v_ffbh_u32_e32 v12, v10
	v_min_u32_e32 v12, 32, v12
	v_lshrrev_b16_e32 v11, 3, v6
	v_subrev_u32_e32 v13, 28, v12
	v_and_b32_e32 v11, 15, v11
	v_lshlrev_b32_e32 v6, v13, v6
	v_sub_u32_e32 v12, 29, v12
	v_and_b32_e32 v6, 7, v6
	v_cmp_eq_u16_e32 vcc, 0, v11
	v_cndmask_b32_e32 v6, v10, v6, vcc
	v_cndmask_b32_e32 v10, v11, v12, vcc
	v_lshlrev_b32_e32 v11, 16, v3
	v_mov_b32_e32 v12, 0x3b800000
	v_lshlrev_b32_e32 v6, 20, v6
	v_and_b32_e32 v11, 0x80000000, v11
	v_lshl_add_u32 v10, v10, 23, v12
	v_or3_b32 v10, v11, v10, v6
.LBB52_1712:
	s_or_b64 exec, exec, s[6:7]
	s_nop 0
	v_mfma_f32_16x16x4f32 a[0:3], v2, v10, a[0:3]
	s_movk_i32 s4, 0xff
	v_and_b32_sdwa v6, v7, s4 dst_sel:DWORD dst_unused:UNUSED_PAD src0_sel:WORD_1 src1_sel:DWORD
	s_movk_i32 s4, 0x7f
	v_cmp_lt_i16_e32 vcc, s4, v6
	s_mov_b64 s[4:5], 0
                                        ; implicit-def: $sgpr10
	s_and_saveexec_b64 s[6:7], vcc
	s_xor_b64 s[6:7], exec, s[6:7]
	s_cbranch_execnz .LBB52_3761
; %bb.1713:
	s_or_saveexec_b64 s[6:7], s[6:7]
	v_mov_b32_e32 v2, s10
	s_xor_b64 exec, exec, s[6:7]
	s_cbranch_execnz .LBB52_3764
.LBB52_1714:
	s_or_b64 exec, exec, s[6:7]
	s_and_saveexec_b64 s[6:7], s[4:5]
	s_cbranch_execz .LBB52_1716
.LBB52_1715:
	v_bfe_u32 v2, v7, 16, 3
	v_ffbh_u32_e32 v11, v2
	v_min_u32_e32 v11, 32, v11
	v_lshrrev_b32_e32 v6, 19, v7
	v_subrev_u32_e32 v12, 28, v11
	v_and_b32_e32 v6, 15, v6
	v_lshlrev_b32_sdwa v12, v12, v7 dst_sel:DWORD dst_unused:UNUSED_PAD src0_sel:DWORD src1_sel:WORD_1
	v_bfe_u32 v10, v7, 19, 4
	v_sub_u32_e32 v11, 29, v11
	v_and_b32_e32 v12, 7, v12
	v_cmp_eq_u16_e32 vcc, 0, v6
	v_cndmask_b32_e32 v2, v2, v12, vcc
	v_cndmask_b32_e32 v6, v10, v11, vcc
	v_lshlrev_b32_e32 v10, 8, v7
	v_mov_b32_e32 v11, 0x3b800000
	v_lshlrev_b32_e32 v2, 20, v2
	v_and_b32_e32 v10, 0x80000000, v10
	v_lshl_add_u32 v6, v6, 23, v11
	v_or3_b32 v2, v10, v6, v2
.LBB52_1716:
	s_or_b64 exec, exec, s[6:7]
	s_movk_i32 s4, 0xff
	v_and_b32_sdwa v6, v3, s4 dst_sel:DWORD dst_unused:UNUSED_PAD src0_sel:WORD_1 src1_sel:DWORD
	s_movk_i32 s4, 0x7f
	v_cmp_lt_i16_e32 vcc, s4, v6
	s_mov_b64 s[4:5], 0
                                        ; implicit-def: $sgpr10
	s_and_saveexec_b64 s[6:7], vcc
	s_xor_b64 s[6:7], exec, s[6:7]
	s_cbranch_execnz .LBB52_3765
; %bb.1717:
	s_or_saveexec_b64 s[6:7], s[6:7]
	v_mov_b32_e32 v10, s10
	s_xor_b64 exec, exec, s[6:7]
	s_cbranch_execnz .LBB52_3768
.LBB52_1718:
	s_or_b64 exec, exec, s[6:7]
	s_and_saveexec_b64 s[6:7], s[4:5]
	s_cbranch_execz .LBB52_1720
.LBB52_1719:
	v_bfe_u32 v6, v3, 16, 3
	v_ffbh_u32_e32 v12, v6
	v_min_u32_e32 v12, 32, v12
	v_lshrrev_b32_e32 v10, 19, v3
	v_subrev_u32_e32 v13, 28, v12
	v_and_b32_e32 v10, 15, v10
	v_lshlrev_b32_sdwa v13, v13, v3 dst_sel:DWORD dst_unused:UNUSED_PAD src0_sel:DWORD src1_sel:WORD_1
	v_bfe_u32 v11, v3, 19, 4
	v_sub_u32_e32 v12, 29, v12
	v_and_b32_e32 v13, 7, v13
	v_cmp_eq_u16_e32 vcc, 0, v10
	v_cndmask_b32_e32 v6, v6, v13, vcc
	v_cndmask_b32_e32 v10, v11, v12, vcc
	v_lshlrev_b32_e32 v11, 8, v3
	v_mov_b32_e32 v12, 0x3b800000
	v_lshlrev_b32_e32 v6, 20, v6
	v_and_b32_e32 v11, 0x80000000, v11
	v_lshl_add_u32 v10, v10, 23, v12
	v_or3_b32 v10, v11, v10, v6
.LBB52_1720:
	s_or_b64 exec, exec, s[6:7]
	s_nop 0
	v_mfma_f32_16x16x4f32 a[0:3], v2, v10, a[0:3]
	s_movk_i32 s4, 0x7f
	v_cmp_gt_i16_sdwa s[6:7], v7, s4 src0_sel:BYTE_3 src1_sel:DWORD
	s_mov_b64 s[4:5], 0
                                        ; implicit-def: $sgpr10
	s_and_saveexec_b64 s[8:9], s[6:7]
	s_xor_b64 s[6:7], exec, s[8:9]
	s_cbranch_execnz .LBB52_3769
; %bb.1721:
	s_or_saveexec_b64 s[6:7], s[6:7]
	v_mov_b32_e32 v2, s10
	s_xor_b64 exec, exec, s[6:7]
	s_cbranch_execnz .LBB52_3772
.LBB52_1722:
	s_or_b64 exec, exec, s[6:7]
	s_and_saveexec_b64 s[6:7], s[4:5]
	s_cbranch_execz .LBB52_1724
.LBB52_1723:
	v_bfe_u32 v2, v7, 24, 3
	v_ffbh_u32_e32 v12, v2
	v_min_u32_e32 v12, 32, v12
	v_lshrrev_b32_e32 v10, 27, v7
	v_subrev_u32_e32 v13, 28, v12
	v_and_b32_e32 v6, 0x80000000, v7
	v_and_b32_e32 v10, 15, v10
	v_bfe_u32 v11, v7, 27, 4
	v_lshlrev_b32_sdwa v7, v13, v7 dst_sel:DWORD dst_unused:UNUSED_PAD src0_sel:DWORD src1_sel:BYTE_3
	v_sub_u32_e32 v12, 29, v12
	v_and_b32_e32 v7, 7, v7
	v_cmp_eq_u16_e32 vcc, 0, v10
	v_cndmask_b32_e32 v2, v2, v7, vcc
	v_cndmask_b32_e32 v7, v11, v12, vcc
	v_mov_b32_e32 v10, 0x3b800000
	v_lshlrev_b32_e32 v2, 20, v2
	v_lshl_add_u32 v7, v7, 23, v10
	v_or3_b32 v2, v6, v7, v2
.LBB52_1724:
	s_or_b64 exec, exec, s[6:7]
	s_movk_i32 s4, 0x7f
	v_cmp_gt_i16_sdwa s[6:7], v3, s4 src0_sel:BYTE_3 src1_sel:DWORD
	s_mov_b64 s[4:5], 0
                                        ; implicit-def: $sgpr10
	s_and_saveexec_b64 s[8:9], s[6:7]
	s_xor_b64 s[6:7], exec, s[8:9]
	s_cbranch_execnz .LBB52_3773
; %bb.1725:
	s_or_saveexec_b64 s[6:7], s[6:7]
	v_mov_b32_e32 v6, s10
	s_xor_b64 exec, exec, s[6:7]
	s_cbranch_execnz .LBB52_3776
.LBB52_1726:
	s_or_b64 exec, exec, s[6:7]
	s_and_saveexec_b64 s[6:7], s[4:5]
	s_cbranch_execz .LBB52_1728
.LBB52_1727:
	v_bfe_u32 v6, v3, 24, 3
	v_ffbh_u32_e32 v12, v6
	v_min_u32_e32 v12, 32, v12
	v_lshrrev_b32_e32 v10, 27, v3
	v_subrev_u32_e32 v13, 28, v12
	v_and_b32_e32 v7, 0x80000000, v3
	v_and_b32_e32 v10, 15, v10
	v_bfe_u32 v11, v3, 27, 4
	v_lshlrev_b32_sdwa v3, v13, v3 dst_sel:DWORD dst_unused:UNUSED_PAD src0_sel:DWORD src1_sel:BYTE_3
	v_sub_u32_e32 v12, 29, v12
	v_and_b32_e32 v3, 7, v3
	v_cmp_eq_u16_e32 vcc, 0, v10
	v_cndmask_b32_e32 v3, v6, v3, vcc
	v_cndmask_b32_e32 v6, v11, v12, vcc
	v_mov_b32_e32 v10, 0x3b800000
	v_lshlrev_b32_e32 v3, 20, v3
	v_lshl_add_u32 v6, v6, 23, v10
	v_or3_b32 v6, v7, v6, v3
.LBB52_1728:
	s_or_b64 exec, exec, s[6:7]
	s_nop 0
	v_mfma_f32_16x16x4f32 a[0:3], v2, v6, a[0:3]
	s_movk_i32 s4, 0x7f
	v_cmp_gt_i16_sdwa s[6:7], v8, s4 src0_sel:BYTE_0 src1_sel:DWORD
	s_mov_b64 s[4:5], 0
                                        ; implicit-def: $sgpr10
	s_and_saveexec_b64 s[8:9], s[6:7]
	s_xor_b64 s[6:7], exec, s[8:9]
	s_cbranch_execnz .LBB52_3777
; %bb.1729:
	s_or_saveexec_b64 s[6:7], s[6:7]
	v_mov_b32_e32 v2, s10
	s_xor_b64 exec, exec, s[6:7]
	s_cbranch_execnz .LBB52_3780
.LBB52_1730:
	s_or_b64 exec, exec, s[6:7]
	s_and_saveexec_b64 s[6:7], s[4:5]
	s_cbranch_execz .LBB52_1732
.LBB52_1731:
	v_and_b32_e32 v2, 7, v8
	v_ffbh_u32_e32 v6, v2
	v_min_u32_e32 v6, 32, v6
	v_lshrrev_b16_e32 v3, 3, v8
	v_subrev_u32_e32 v7, 28, v6
	v_and_b32_e32 v3, 15, v3
	v_lshlrev_b32_e32 v7, v7, v8
	v_sub_u32_e32 v6, 29, v6
	v_and_b32_e32 v7, 7, v7
	v_cmp_eq_u16_e32 vcc, 0, v3
	v_cndmask_b32_e32 v2, v2, v7, vcc
	v_cndmask_b32_e32 v3, v3, v6, vcc
	v_lshlrev_b32_e32 v6, 24, v8
	v_mov_b32_e32 v7, 0x3b800000
	v_lshlrev_b32_e32 v2, 20, v2
	v_and_b32_e32 v6, 0x80000000, v6
	v_lshl_add_u32 v3, v3, 23, v7
	v_or3_b32 v2, v6, v3, v2
.LBB52_1732:
	s_or_b64 exec, exec, s[6:7]
	s_movk_i32 s4, 0x7f
	v_cmp_gt_i16_sdwa s[6:7], v4, s4 src0_sel:BYTE_0 src1_sel:DWORD
	s_mov_b64 s[4:5], 0
                                        ; implicit-def: $sgpr10
	s_and_saveexec_b64 s[8:9], s[6:7]
	s_xor_b64 s[6:7], exec, s[8:9]
	s_cbranch_execnz .LBB52_3781
; %bb.1733:
	s_or_saveexec_b64 s[6:7], s[6:7]
	v_mov_b32_e32 v3, s10
	s_xor_b64 exec, exec, s[6:7]
	s_cbranch_execnz .LBB52_3784
.LBB52_1734:
	s_or_b64 exec, exec, s[6:7]
	s_and_saveexec_b64 s[6:7], s[4:5]
	s_cbranch_execz .LBB52_1736
.LBB52_1735:
	v_and_b32_e32 v3, 7, v4
	v_ffbh_u32_e32 v7, v3
	v_min_u32_e32 v7, 32, v7
	v_lshrrev_b16_e32 v6, 3, v4
	v_subrev_u32_e32 v10, 28, v7
	v_and_b32_e32 v6, 15, v6
	v_lshlrev_b32_e32 v10, v10, v4
	v_sub_u32_e32 v7, 29, v7
	v_and_b32_e32 v10, 7, v10
	v_cmp_eq_u16_e32 vcc, 0, v6
	v_cndmask_b32_e32 v3, v3, v10, vcc
	v_cndmask_b32_e32 v6, v6, v7, vcc
	v_lshlrev_b32_e32 v7, 24, v4
	v_mov_b32_e32 v10, 0x3b800000
	v_lshlrev_b32_e32 v3, 20, v3
	v_and_b32_e32 v7, 0x80000000, v7
	v_lshl_add_u32 v6, v6, 23, v10
	v_or3_b32 v3, v7, v6, v3
.LBB52_1736:
	s_or_b64 exec, exec, s[6:7]
	s_nop 0
	v_mfma_f32_16x16x4f32 a[0:3], v2, v3, a[0:3]
	v_lshrrev_b32_e32 v3, 8, v8
	s_movk_i32 s4, 0x7f
	v_cmp_gt_i16_sdwa s[6:7], v3, s4 src0_sel:BYTE_0 src1_sel:DWORD
	s_mov_b64 s[4:5], 0
                                        ; implicit-def: $sgpr10
	s_and_saveexec_b64 s[8:9], s[6:7]
	s_xor_b64 s[6:7], exec, s[8:9]
	s_cbranch_execnz .LBB52_3785
; %bb.1737:
	s_or_saveexec_b64 s[6:7], s[6:7]
	v_mov_b32_e32 v2, s10
	s_xor_b64 exec, exec, s[6:7]
	s_cbranch_execnz .LBB52_3788
.LBB52_1738:
	s_or_b64 exec, exec, s[6:7]
	s_and_saveexec_b64 s[6:7], s[4:5]
	s_cbranch_execz .LBB52_1740
.LBB52_1739:
	v_bfe_u32 v2, v8, 8, 3
	v_ffbh_u32_e32 v7, v2
	v_min_u32_e32 v7, 32, v7
	v_lshrrev_b16_e32 v6, 3, v3
	v_subrev_u32_e32 v10, 28, v7
	v_and_b32_e32 v6, 15, v6
	v_lshlrev_b32_e32 v3, v10, v3
	v_sub_u32_e32 v7, 29, v7
	v_and_b32_e32 v3, 7, v3
	v_cmp_eq_u16_e32 vcc, 0, v6
	v_cndmask_b32_e32 v2, v2, v3, vcc
	v_cndmask_b32_e32 v3, v6, v7, vcc
	v_lshlrev_b32_e32 v6, 16, v8
	v_mov_b32_e32 v7, 0x3b800000
	v_lshlrev_b32_e32 v2, 20, v2
	v_and_b32_e32 v6, 0x80000000, v6
	v_lshl_add_u32 v3, v3, 23, v7
	v_or3_b32 v2, v6, v3, v2
.LBB52_1740:
	s_or_b64 exec, exec, s[6:7]
	v_lshrrev_b32_e32 v3, 8, v4
	s_movk_i32 s4, 0x7f
	v_cmp_gt_i16_sdwa s[6:7], v3, s4 src0_sel:BYTE_0 src1_sel:DWORD
	s_mov_b64 s[4:5], 0
                                        ; implicit-def: $sgpr10
	s_and_saveexec_b64 s[8:9], s[6:7]
	s_xor_b64 s[6:7], exec, s[8:9]
	s_cbranch_execnz .LBB52_3789
; %bb.1741:
	s_or_saveexec_b64 s[6:7], s[6:7]
	v_mov_b32_e32 v6, s10
	s_xor_b64 exec, exec, s[6:7]
	s_cbranch_execnz .LBB52_3792
.LBB52_1742:
	s_or_b64 exec, exec, s[6:7]
	s_and_saveexec_b64 s[6:7], s[4:5]
	s_cbranch_execz .LBB52_1744
.LBB52_1743:
	v_bfe_u32 v6, v4, 8, 3
	v_ffbh_u32_e32 v10, v6
	v_min_u32_e32 v10, 32, v10
	v_lshrrev_b16_e32 v7, 3, v3
	v_subrev_u32_e32 v11, 28, v10
	v_and_b32_e32 v7, 15, v7
	v_lshlrev_b32_e32 v3, v11, v3
	v_sub_u32_e32 v10, 29, v10
	v_and_b32_e32 v3, 7, v3
	v_cmp_eq_u16_e32 vcc, 0, v7
	v_cndmask_b32_e32 v3, v6, v3, vcc
	v_cndmask_b32_e32 v6, v7, v10, vcc
	v_lshlrev_b32_e32 v7, 16, v4
	v_mov_b32_e32 v10, 0x3b800000
	v_lshlrev_b32_e32 v3, 20, v3
	v_and_b32_e32 v7, 0x80000000, v7
	v_lshl_add_u32 v6, v6, 23, v10
	v_or3_b32 v6, v7, v6, v3
.LBB52_1744:
	s_or_b64 exec, exec, s[6:7]
	s_nop 0
	v_mfma_f32_16x16x4f32 a[0:3], v2, v6, a[0:3]
	s_movk_i32 s4, 0xff
	v_and_b32_sdwa v3, v8, s4 dst_sel:DWORD dst_unused:UNUSED_PAD src0_sel:WORD_1 src1_sel:DWORD
	s_movk_i32 s4, 0x7f
	v_cmp_lt_i16_e32 vcc, s4, v3
	s_mov_b64 s[4:5], 0
                                        ; implicit-def: $sgpr10
	s_and_saveexec_b64 s[6:7], vcc
	s_xor_b64 s[6:7], exec, s[6:7]
	s_cbranch_execnz .LBB52_3793
; %bb.1745:
	s_or_saveexec_b64 s[6:7], s[6:7]
	v_mov_b32_e32 v2, s10
	s_xor_b64 exec, exec, s[6:7]
	s_cbranch_execnz .LBB52_3796
.LBB52_1746:
	s_or_b64 exec, exec, s[6:7]
	s_and_saveexec_b64 s[6:7], s[4:5]
	s_cbranch_execz .LBB52_1748
.LBB52_1747:
	v_bfe_u32 v2, v8, 16, 3
	v_ffbh_u32_e32 v7, v2
	v_min_u32_e32 v7, 32, v7
	v_lshrrev_b32_e32 v3, 19, v8
	v_subrev_u32_e32 v10, 28, v7
	v_and_b32_e32 v3, 15, v3
	v_lshlrev_b32_sdwa v10, v10, v8 dst_sel:DWORD dst_unused:UNUSED_PAD src0_sel:DWORD src1_sel:WORD_1
	v_bfe_u32 v6, v8, 19, 4
	v_sub_u32_e32 v7, 29, v7
	v_and_b32_e32 v10, 7, v10
	v_cmp_eq_u16_e32 vcc, 0, v3
	v_cndmask_b32_e32 v2, v2, v10, vcc
	v_cndmask_b32_e32 v3, v6, v7, vcc
	v_lshlrev_b32_e32 v6, 8, v8
	v_mov_b32_e32 v7, 0x3b800000
	v_lshlrev_b32_e32 v2, 20, v2
	v_and_b32_e32 v6, 0x80000000, v6
	v_lshl_add_u32 v3, v3, 23, v7
	v_or3_b32 v2, v6, v3, v2
.LBB52_1748:
	s_or_b64 exec, exec, s[6:7]
	s_movk_i32 s4, 0xff
	v_and_b32_sdwa v3, v4, s4 dst_sel:DWORD dst_unused:UNUSED_PAD src0_sel:WORD_1 src1_sel:DWORD
	s_movk_i32 s4, 0x7f
	v_cmp_lt_i16_e32 vcc, s4, v3
	s_mov_b64 s[4:5], 0
                                        ; implicit-def: $sgpr10
	s_and_saveexec_b64 s[6:7], vcc
	s_xor_b64 s[6:7], exec, s[6:7]
	s_cbranch_execnz .LBB52_3797
; %bb.1749:
	s_or_saveexec_b64 s[6:7], s[6:7]
	v_mov_b32_e32 v6, s10
	s_xor_b64 exec, exec, s[6:7]
	s_cbranch_execnz .LBB52_3800
.LBB52_1750:
	s_or_b64 exec, exec, s[6:7]
	s_and_saveexec_b64 s[6:7], s[4:5]
	s_cbranch_execz .LBB52_1752
.LBB52_1751:
	v_bfe_u32 v3, v4, 16, 3
	v_ffbh_u32_e32 v10, v3
	v_min_u32_e32 v10, 32, v10
	v_lshrrev_b32_e32 v6, 19, v4
	v_subrev_u32_e32 v11, 28, v10
	v_and_b32_e32 v6, 15, v6
	v_lshlrev_b32_sdwa v11, v11, v4 dst_sel:DWORD dst_unused:UNUSED_PAD src0_sel:DWORD src1_sel:WORD_1
	v_bfe_u32 v7, v4, 19, 4
	v_sub_u32_e32 v10, 29, v10
	v_and_b32_e32 v11, 7, v11
	v_cmp_eq_u16_e32 vcc, 0, v6
	v_cndmask_b32_e32 v3, v3, v11, vcc
	v_cndmask_b32_e32 v6, v7, v10, vcc
	v_lshlrev_b32_e32 v7, 8, v4
	v_mov_b32_e32 v10, 0x3b800000
	v_lshlrev_b32_e32 v3, 20, v3
	v_and_b32_e32 v7, 0x80000000, v7
	v_lshl_add_u32 v6, v6, 23, v10
	v_or3_b32 v6, v7, v6, v3
.LBB52_1752:
	s_or_b64 exec, exec, s[6:7]
	s_nop 0
	v_mfma_f32_16x16x4f32 a[0:3], v2, v6, a[0:3]
	s_movk_i32 s4, 0x7f
	v_cmp_gt_i16_sdwa s[6:7], v8, s4 src0_sel:BYTE_3 src1_sel:DWORD
	s_mov_b64 s[4:5], 0
                                        ; implicit-def: $sgpr10
	s_and_saveexec_b64 s[8:9], s[6:7]
	s_xor_b64 s[6:7], exec, s[8:9]
	s_cbranch_execnz .LBB52_3801
; %bb.1753:
	s_or_saveexec_b64 s[6:7], s[6:7]
	v_mov_b32_e32 v2, s10
	s_xor_b64 exec, exec, s[6:7]
	s_cbranch_execnz .LBB52_3804
.LBB52_1754:
	s_or_b64 exec, exec, s[6:7]
	s_and_saveexec_b64 s[6:7], s[4:5]
	s_cbranch_execz .LBB52_1756
.LBB52_1755:
	v_bfe_u32 v2, v8, 24, 3
	v_ffbh_u32_e32 v10, v2
	v_min_u32_e32 v10, 32, v10
	v_lshrrev_b32_e32 v6, 27, v8
	v_subrev_u32_e32 v11, 28, v10
	v_and_b32_e32 v3, 0x80000000, v8
	v_and_b32_e32 v6, 15, v6
	v_bfe_u32 v7, v8, 27, 4
	v_lshlrev_b32_sdwa v8, v11, v8 dst_sel:DWORD dst_unused:UNUSED_PAD src0_sel:DWORD src1_sel:BYTE_3
	v_sub_u32_e32 v10, 29, v10
	v_and_b32_e32 v8, 7, v8
	v_cmp_eq_u16_e32 vcc, 0, v6
	v_cndmask_b32_e32 v2, v2, v8, vcc
	v_cndmask_b32_e32 v6, v7, v10, vcc
	v_mov_b32_e32 v7, 0x3b800000
	v_lshlrev_b32_e32 v2, 20, v2
	v_lshl_add_u32 v6, v6, 23, v7
	v_or3_b32 v2, v3, v6, v2
.LBB52_1756:
	s_or_b64 exec, exec, s[6:7]
	s_movk_i32 s4, 0x7f
	v_cmp_gt_i16_sdwa s[6:7], v4, s4 src0_sel:BYTE_3 src1_sel:DWORD
	s_mov_b64 s[4:5], 0
                                        ; implicit-def: $sgpr10
	s_and_saveexec_b64 s[8:9], s[6:7]
	s_xor_b64 s[6:7], exec, s[8:9]
	s_cbranch_execnz .LBB52_3805
; %bb.1757:
	s_or_saveexec_b64 s[6:7], s[6:7]
	v_mov_b32_e32 v3, s10
	s_xor_b64 exec, exec, s[6:7]
	s_cbranch_execnz .LBB52_3808
.LBB52_1758:
	s_or_b64 exec, exec, s[6:7]
	s_and_saveexec_b64 s[6:7], s[4:5]
	s_cbranch_execz .LBB52_1760
.LBB52_1759:
	v_bfe_u32 v3, v4, 24, 3
	v_ffbh_u32_e32 v10, v3
	v_min_u32_e32 v10, 32, v10
	v_lshrrev_b32_e32 v7, 27, v4
	v_subrev_u32_e32 v11, 28, v10
	v_and_b32_e32 v6, 0x80000000, v4
	v_and_b32_e32 v7, 15, v7
	v_bfe_u32 v8, v4, 27, 4
	v_lshlrev_b32_sdwa v4, v11, v4 dst_sel:DWORD dst_unused:UNUSED_PAD src0_sel:DWORD src1_sel:BYTE_3
	v_sub_u32_e32 v10, 29, v10
	v_and_b32_e32 v4, 7, v4
	v_cmp_eq_u16_e32 vcc, 0, v7
	v_cndmask_b32_e32 v3, v3, v4, vcc
	v_cndmask_b32_e32 v4, v8, v10, vcc
	v_mov_b32_e32 v7, 0x3b800000
	v_lshlrev_b32_e32 v3, 20, v3
	v_lshl_add_u32 v4, v4, 23, v7
	v_or3_b32 v3, v6, v4, v3
.LBB52_1760:
	s_or_b64 exec, exec, s[6:7]
	s_nop 0
	v_mfma_f32_16x16x4f32 a[0:3], v2, v3, a[0:3]
	s_movk_i32 s4, 0x7f
	v_cmp_gt_i16_sdwa s[6:7], v9, s4 src0_sel:BYTE_0 src1_sel:DWORD
	s_mov_b64 s[4:5], 0
                                        ; implicit-def: $sgpr10
	s_and_saveexec_b64 s[8:9], s[6:7]
	s_xor_b64 s[6:7], exec, s[8:9]
	s_cbranch_execnz .LBB52_3809
; %bb.1761:
	s_or_saveexec_b64 s[6:7], s[6:7]
	v_mov_b32_e32 v2, s10
	s_xor_b64 exec, exec, s[6:7]
	s_cbranch_execnz .LBB52_3812
.LBB52_1762:
	s_or_b64 exec, exec, s[6:7]
	s_and_saveexec_b64 s[6:7], s[4:5]
	s_cbranch_execz .LBB52_1764
.LBB52_1763:
	v_mov_b32_e32 v2, 8
	v_and_b32_e32 v3, 7, v9
	v_lshrrev_b32_sdwa v2, v2, v9 dst_sel:BYTE_1 dst_unused:UNUSED_PAD src0_sel:DWORD src1_sel:DWORD
	v_ffbh_u32_e32 v4, v3
	v_or_b32_sdwa v2, v9, v2 dst_sel:DWORD dst_unused:UNUSED_PAD src0_sel:BYTE_0 src1_sel:DWORD
	v_min_u32_e32 v4, 32, v4
	v_lshrrev_b16_e32 v2, 3, v2
	v_subrev_u32_e32 v6, 28, v4
	v_and_b32_e32 v2, 15, v2
	v_lshlrev_b32_e32 v6, v6, v9
	v_sub_u32_e32 v4, 29, v4
	v_and_b32_e32 v6, 7, v6
	v_cmp_eq_u16_e32 vcc, 0, v2
	v_cndmask_b32_e32 v3, v3, v6, vcc
	v_cndmask_b32_e32 v2, v2, v4, vcc
	v_lshlrev_b32_e32 v4, 24, v9
	v_mov_b32_e32 v6, 0x3b800000
	v_lshlrev_b32_e32 v3, 20, v3
	v_and_b32_e32 v4, 0x80000000, v4
	v_lshl_add_u32 v2, v2, 23, v6
	v_or3_b32 v2, v4, v2, v3
.LBB52_1764:
	s_or_b64 exec, exec, s[6:7]
	s_movk_i32 s4, 0x7f
	v_cmp_gt_i16_sdwa s[6:7], v5, s4 src0_sel:BYTE_0 src1_sel:DWORD
	s_mov_b64 s[4:5], 0
                                        ; implicit-def: $sgpr10
	s_and_saveexec_b64 s[8:9], s[6:7]
	s_xor_b64 s[6:7], exec, s[8:9]
	s_cbranch_execnz .LBB52_3813
; %bb.1765:
	s_or_saveexec_b64 s[6:7], s[6:7]
	v_mov_b32_e32 v3, s10
	s_xor_b64 exec, exec, s[6:7]
	s_cbranch_execnz .LBB52_3816
.LBB52_1766:
	s_or_b64 exec, exec, s[6:7]
	s_and_saveexec_b64 s[6:7], s[4:5]
	s_cbranch_execz .LBB52_1768
.LBB52_1767:
	v_mov_b32_e32 v3, 8
	v_and_b32_e32 v4, 7, v5
	v_lshrrev_b32_sdwa v3, v3, v5 dst_sel:BYTE_1 dst_unused:UNUSED_PAD src0_sel:DWORD src1_sel:DWORD
	v_ffbh_u32_e32 v6, v4
	v_or_b32_sdwa v3, v5, v3 dst_sel:DWORD dst_unused:UNUSED_PAD src0_sel:BYTE_0 src1_sel:DWORD
	v_min_u32_e32 v6, 32, v6
	v_lshrrev_b16_e32 v3, 3, v3
	v_subrev_u32_e32 v7, 28, v6
	v_and_b32_e32 v3, 15, v3
	v_lshlrev_b32_e32 v7, v7, v5
	v_sub_u32_e32 v6, 29, v6
	v_and_b32_e32 v7, 7, v7
	v_cmp_eq_u16_e32 vcc, 0, v3
	v_cndmask_b32_e32 v4, v4, v7, vcc
	v_cndmask_b32_e32 v3, v3, v6, vcc
	v_lshlrev_b32_e32 v6, 24, v5
	v_mov_b32_e32 v7, 0x3b800000
	v_lshlrev_b32_e32 v4, 20, v4
	v_and_b32_e32 v6, 0x80000000, v6
	v_lshl_add_u32 v3, v3, 23, v7
	v_or3_b32 v3, v6, v3, v4
.LBB52_1768:
	s_or_b64 exec, exec, s[6:7]
	s_nop 0
	v_mfma_f32_16x16x4f32 a[0:3], v2, v3, a[0:3]
	v_lshrrev_b32_e32 v3, 8, v9
	s_movk_i32 s4, 0x7f
	v_cmp_gt_i16_sdwa s[6:7], v3, s4 src0_sel:BYTE_0 src1_sel:DWORD
	s_mov_b64 s[4:5], 0
                                        ; implicit-def: $sgpr10
	s_and_saveexec_b64 s[8:9], s[6:7]
	s_xor_b64 s[6:7], exec, s[8:9]
	s_cbranch_execnz .LBB52_3817
; %bb.1769:
	s_or_saveexec_b64 s[6:7], s[6:7]
	v_mov_b32_e32 v2, s10
	s_xor_b64 exec, exec, s[6:7]
	s_cbranch_execnz .LBB52_3820
.LBB52_1770:
	s_or_b64 exec, exec, s[6:7]
	s_and_saveexec_b64 s[6:7], s[4:5]
	s_cbranch_execz .LBB52_1772
.LBB52_1771:
	v_bfe_u32 v2, v9, 8, 3
	v_ffbh_u32_e32 v6, v2
	v_min_u32_e32 v6, 32, v6
	v_lshrrev_b16_e32 v4, 3, v3
	v_subrev_u32_e32 v7, 28, v6
	v_and_b32_e32 v4, 15, v4
	v_lshlrev_b32_e32 v3, v7, v3
	v_sub_u32_e32 v6, 29, v6
	v_and_b32_e32 v3, 7, v3
	v_cmp_eq_u16_e32 vcc, 0, v4
	v_cndmask_b32_e32 v2, v2, v3, vcc
	v_cndmask_b32_e32 v3, v4, v6, vcc
	v_lshlrev_b32_e32 v4, 16, v9
	v_mov_b32_e32 v6, 0x3b800000
	v_lshlrev_b32_e32 v2, 20, v2
	v_and_b32_e32 v4, 0x80000000, v4
	v_lshl_add_u32 v3, v3, 23, v6
	v_or3_b32 v2, v4, v3, v2
.LBB52_1772:
	s_or_b64 exec, exec, s[6:7]
	v_lshrrev_b32_e32 v3, 8, v5
	s_movk_i32 s4, 0x7f
	v_cmp_gt_i16_sdwa s[6:7], v3, s4 src0_sel:BYTE_0 src1_sel:DWORD
	s_mov_b64 s[4:5], 0
                                        ; implicit-def: $sgpr10
	s_and_saveexec_b64 s[8:9], s[6:7]
	s_xor_b64 s[6:7], exec, s[8:9]
	s_cbranch_execnz .LBB52_3821
; %bb.1773:
	s_or_saveexec_b64 s[6:7], s[6:7]
	v_mov_b32_e32 v4, s10
	s_xor_b64 exec, exec, s[6:7]
	s_cbranch_execnz .LBB52_3824
.LBB52_1774:
	s_or_b64 exec, exec, s[6:7]
	s_and_saveexec_b64 s[6:7], s[4:5]
	s_cbranch_execz .LBB52_1776
.LBB52_1775:
	v_bfe_u32 v4, v5, 8, 3
	v_ffbh_u32_e32 v7, v4
	v_min_u32_e32 v7, 32, v7
	v_lshrrev_b16_e32 v6, 3, v3
	v_subrev_u32_e32 v8, 28, v7
	v_and_b32_e32 v6, 15, v6
	v_lshlrev_b32_e32 v3, v8, v3
	v_sub_u32_e32 v7, 29, v7
	v_and_b32_e32 v3, 7, v3
	v_cmp_eq_u16_e32 vcc, 0, v6
	v_cndmask_b32_e32 v3, v4, v3, vcc
	v_cndmask_b32_e32 v4, v6, v7, vcc
	v_lshlrev_b32_e32 v6, 16, v5
	v_mov_b32_e32 v7, 0x3b800000
	v_lshlrev_b32_e32 v3, 20, v3
	v_and_b32_e32 v6, 0x80000000, v6
	v_lshl_add_u32 v4, v4, 23, v7
	v_or3_b32 v4, v6, v4, v3
.LBB52_1776:
	s_or_b64 exec, exec, s[6:7]
	s_nop 0
	v_mfma_f32_16x16x4f32 a[0:3], v2, v4, a[0:3]
	s_movk_i32 s4, 0xff
	v_and_b32_sdwa v3, v9, s4 dst_sel:DWORD dst_unused:UNUSED_PAD src0_sel:WORD_1 src1_sel:DWORD
	s_movk_i32 s4, 0x7f
	v_cmp_lt_i16_e32 vcc, s4, v3
	s_mov_b64 s[4:5], 0
                                        ; implicit-def: $sgpr10
	s_and_saveexec_b64 s[6:7], vcc
	s_xor_b64 s[6:7], exec, s[6:7]
	s_cbranch_execnz .LBB52_3825
; %bb.1777:
	s_or_saveexec_b64 s[6:7], s[6:7]
	v_mov_b32_e32 v2, s10
	s_xor_b64 exec, exec, s[6:7]
	s_cbranch_execnz .LBB52_3828
.LBB52_1778:
	s_or_b64 exec, exec, s[6:7]
	s_and_saveexec_b64 s[6:7], s[4:5]
	s_cbranch_execz .LBB52_1780
.LBB52_1779:
	v_bfe_u32 v2, v9, 16, 3
	v_ffbh_u32_e32 v6, v2
	v_min_u32_e32 v6, 32, v6
	v_lshrrev_b32_e32 v3, 19, v9
	v_subrev_u32_e32 v7, 28, v6
	v_and_b32_e32 v3, 15, v3
	v_lshlrev_b32_sdwa v7, v7, v9 dst_sel:DWORD dst_unused:UNUSED_PAD src0_sel:DWORD src1_sel:WORD_1
	v_bfe_u32 v4, v9, 19, 4
	v_sub_u32_e32 v6, 29, v6
	v_and_b32_e32 v7, 7, v7
	v_cmp_eq_u16_e32 vcc, 0, v3
	v_cndmask_b32_e32 v2, v2, v7, vcc
	v_cndmask_b32_e32 v3, v4, v6, vcc
	v_lshlrev_b32_e32 v4, 8, v9
	v_mov_b32_e32 v6, 0x3b800000
	v_lshlrev_b32_e32 v2, 20, v2
	v_and_b32_e32 v4, 0x80000000, v4
	v_lshl_add_u32 v3, v3, 23, v6
	v_or3_b32 v2, v4, v3, v2
.LBB52_1780:
	s_or_b64 exec, exec, s[6:7]
	s_movk_i32 s4, 0xff
	v_and_b32_sdwa v3, v5, s4 dst_sel:DWORD dst_unused:UNUSED_PAD src0_sel:WORD_1 src1_sel:DWORD
	s_movk_i32 s4, 0x7f
	v_cmp_lt_i16_e32 vcc, s4, v3
	s_mov_b64 s[4:5], 0
                                        ; implicit-def: $sgpr10
	s_and_saveexec_b64 s[6:7], vcc
	s_xor_b64 s[6:7], exec, s[6:7]
	s_cbranch_execnz .LBB52_3829
; %bb.1781:
	s_or_saveexec_b64 s[6:7], s[6:7]
	v_mov_b32_e32 v4, s10
	s_xor_b64 exec, exec, s[6:7]
	s_cbranch_execnz .LBB52_3832
.LBB52_1782:
	s_or_b64 exec, exec, s[6:7]
	s_and_saveexec_b64 s[6:7], s[4:5]
	s_cbranch_execz .LBB52_1784
.LBB52_1783:
	v_bfe_u32 v3, v5, 16, 3
	v_ffbh_u32_e32 v7, v3
	v_min_u32_e32 v7, 32, v7
	v_lshrrev_b32_e32 v4, 19, v5
	v_subrev_u32_e32 v8, 28, v7
	v_and_b32_e32 v4, 15, v4
	v_lshlrev_b32_sdwa v8, v8, v5 dst_sel:DWORD dst_unused:UNUSED_PAD src0_sel:DWORD src1_sel:WORD_1
	v_bfe_u32 v6, v5, 19, 4
	v_sub_u32_e32 v7, 29, v7
	v_and_b32_e32 v8, 7, v8
	v_cmp_eq_u16_e32 vcc, 0, v4
	v_cndmask_b32_e32 v3, v3, v8, vcc
	v_cndmask_b32_e32 v4, v6, v7, vcc
	v_lshlrev_b32_e32 v6, 8, v5
	v_mov_b32_e32 v7, 0x3b800000
	v_lshlrev_b32_e32 v3, 20, v3
	v_and_b32_e32 v6, 0x80000000, v6
	v_lshl_add_u32 v4, v4, 23, v7
	v_or3_b32 v4, v6, v4, v3
.LBB52_1784:
	s_or_b64 exec, exec, s[6:7]
	s_nop 0
	v_mfma_f32_16x16x4f32 a[0:3], v2, v4, a[0:3]
	s_movk_i32 s4, 0x7f
	v_cmp_gt_i16_sdwa s[6:7], v9, s4 src0_sel:BYTE_3 src1_sel:DWORD
	s_mov_b64 s[4:5], 0
                                        ; implicit-def: $sgpr10
	s_and_saveexec_b64 s[8:9], s[6:7]
	s_xor_b64 s[6:7], exec, s[8:9]
	s_cbranch_execnz .LBB52_3833
; %bb.1785:
	s_or_saveexec_b64 s[6:7], s[6:7]
	v_mov_b32_e32 v2, s10
	s_xor_b64 exec, exec, s[6:7]
	s_cbranch_execnz .LBB52_3836
.LBB52_1786:
	s_or_b64 exec, exec, s[6:7]
	s_and_saveexec_b64 s[6:7], s[4:5]
	s_cbranch_execz .LBB52_1788
.LBB52_1787:
	v_bfe_u32 v2, v9, 24, 3
	v_ffbh_u32_e32 v7, v2
	v_min_u32_e32 v7, 32, v7
	v_lshrrev_b32_e32 v4, 27, v9
	v_subrev_u32_e32 v8, 28, v7
	v_and_b32_e32 v4, 15, v4
	v_lshlrev_b32_sdwa v8, v8, v9 dst_sel:DWORD dst_unused:UNUSED_PAD src0_sel:DWORD src1_sel:BYTE_3
	v_bfe_u32 v6, v9, 27, 4
	v_sub_u32_e32 v7, 29, v7
	v_and_b32_e32 v8, 7, v8
	v_cmp_eq_u16_e32 vcc, 0, v4
	v_cndmask_b32_e32 v2, v2, v8, vcc
	v_cndmask_b32_e32 v4, v6, v7, vcc
	v_mov_b32_e32 v6, 0x3b800000
	v_and_b32_e32 v3, 0x80000000, v9
	v_lshlrev_b32_e32 v2, 20, v2
	v_lshl_add_u32 v4, v4, 23, v6
	v_or3_b32 v2, v3, v4, v2
.LBB52_1788:
	s_or_b64 exec, exec, s[6:7]
	s_movk_i32 s4, 0x7f
	v_cmp_gt_i16_sdwa s[6:7], v5, s4 src0_sel:BYTE_3 src1_sel:DWORD
	s_mov_b64 s[4:5], 0
                                        ; implicit-def: $sgpr10
	s_and_saveexec_b64 s[8:9], s[6:7]
	s_xor_b64 s[6:7], exec, s[8:9]
	s_cbranch_execnz .LBB52_3837
; %bb.1789:
	s_or_saveexec_b64 s[6:7], s[6:7]
	v_mov_b32_e32 v3, s10
	s_xor_b64 exec, exec, s[6:7]
	s_cbranch_execnz .LBB52_3840
.LBB52_1790:
	s_or_b64 exec, exec, s[6:7]
	s_and_saveexec_b64 s[6:7], s[4:5]
	s_cbranch_execz .LBB52_1792
.LBB52_1791:
	v_bfe_u32 v3, v5, 24, 3
	v_ffbh_u32_e32 v8, v3
	v_min_u32_e32 v8, 32, v8
	v_lshrrev_b32_e32 v6, 27, v5
	v_subrev_u32_e32 v9, 28, v8
	v_and_b32_e32 v4, 0x80000000, v5
	v_and_b32_e32 v6, 15, v6
	v_bfe_u32 v7, v5, 27, 4
	v_lshlrev_b32_sdwa v5, v9, v5 dst_sel:DWORD dst_unused:UNUSED_PAD src0_sel:DWORD src1_sel:BYTE_3
	v_sub_u32_e32 v8, 29, v8
	v_and_b32_e32 v5, 7, v5
	v_cmp_eq_u16_e32 vcc, 0, v6
	v_cndmask_b32_e32 v3, v3, v5, vcc
	v_cndmask_b32_e32 v5, v7, v8, vcc
	v_mov_b32_e32 v6, 0x3b800000
	v_lshlrev_b32_e32 v3, 20, v3
	v_lshl_add_u32 v5, v5, 23, v6
	v_or3_b32 v3, v4, v5, v3
.LBB52_1792:
	s_or_b64 exec, exec, s[6:7]
	s_nop 0
	v_mfma_f32_16x16x4f32 a[0:3], v2, v3, a[0:3]
	s_movk_i32 s4, 0x7f
                                        ; implicit-def: $sgpr10
	s_nop 7
	s_nop 1
	flat_store_dwordx4 v[18:19], a[0:3] offset:96
	flat_load_dwordx4 v[18:21], v[0:1] offset:8
	s_nop 0
	flat_load_dwordx2 v[16:17], v[0:1] offset:24
	s_waitcnt vmcnt(0) lgkmcnt(0)
	flat_load_dwordx4 v[12:15], v[18:19]
	flat_load_dwordx4 v[4:7], v[18:19] offset:16
	flat_load_dwordx4 v[8:11], v[20:21] offset:480
	;; [unrolled: 1-line block ×3, first 2 shown]
	s_waitcnt vmcnt(0) lgkmcnt(0)
	v_cmp_gt_i16_sdwa s[6:7], v12, s4 src0_sel:BYTE_0 src1_sel:DWORD
	s_mov_b64 s[4:5], 0
	s_and_saveexec_b64 s[8:9], s[6:7]
	s_xor_b64 s[6:7], exec, s[8:9]
	s_cbranch_execnz .LBB52_3841
; %bb.1793:
	s_or_saveexec_b64 s[6:7], s[6:7]
	v_mov_b32_e32 v18, s10
	s_xor_b64 exec, exec, s[6:7]
	s_cbranch_execnz .LBB52_3844
.LBB52_1794:
	s_or_b64 exec, exec, s[6:7]
	s_and_saveexec_b64 s[6:7], s[4:5]
	s_cbranch_execz .LBB52_1796
.LBB52_1795:
	v_and_b32_e32 v18, 7, v12
	v_ffbh_u32_e32 v20, v18
	v_min_u32_e32 v20, 32, v20
	v_lshrrev_b16_e32 v19, 3, v12
	v_subrev_u32_e32 v21, 28, v20
	v_and_b32_e32 v19, 15, v19
	v_lshlrev_b32_e32 v21, v21, v12
	v_sub_u32_e32 v20, 29, v20
	v_and_b32_e32 v21, 7, v21
	v_cmp_eq_u16_e32 vcc, 0, v19
	v_cndmask_b32_e32 v18, v18, v21, vcc
	v_cndmask_b32_e32 v19, v19, v20, vcc
	v_lshlrev_b32_e32 v20, 24, v12
	v_mov_b32_e32 v21, 0x3b800000
	v_lshlrev_b32_e32 v18, 20, v18
	v_and_b32_e32 v20, 0x80000000, v20
	v_lshl_add_u32 v19, v19, 23, v21
	v_or3_b32 v18, v20, v19, v18
.LBB52_1796:
	s_or_b64 exec, exec, s[6:7]
	s_movk_i32 s4, 0x7f
	v_cmp_gt_i16_sdwa s[6:7], v8, s4 src0_sel:BYTE_0 src1_sel:DWORD
	s_mov_b64 s[4:5], 0
                                        ; implicit-def: $sgpr10
	s_and_saveexec_b64 s[8:9], s[6:7]
	s_xor_b64 s[6:7], exec, s[8:9]
	s_cbranch_execnz .LBB52_3845
; %bb.1797:
	s_or_saveexec_b64 s[6:7], s[6:7]
	v_mov_b32_e32 v19, s10
	s_xor_b64 exec, exec, s[6:7]
	s_cbranch_execnz .LBB52_3848
.LBB52_1798:
	s_or_b64 exec, exec, s[6:7]
	s_and_saveexec_b64 s[6:7], s[4:5]
	s_cbranch_execz .LBB52_1800
.LBB52_1799:
	v_and_b32_e32 v19, 7, v8
	v_ffbh_u32_e32 v21, v19
	v_min_u32_e32 v21, 32, v21
	v_lshrrev_b16_e32 v20, 3, v8
	v_subrev_u32_e32 v22, 28, v21
	v_and_b32_e32 v20, 15, v20
	v_lshlrev_b32_e32 v22, v22, v8
	v_sub_u32_e32 v21, 29, v21
	v_and_b32_e32 v22, 7, v22
	v_cmp_eq_u16_e32 vcc, 0, v20
	v_cndmask_b32_e32 v19, v19, v22, vcc
	v_cndmask_b32_e32 v20, v20, v21, vcc
	v_lshlrev_b32_e32 v21, 24, v8
	v_mov_b32_e32 v22, 0x3b800000
	v_lshlrev_b32_e32 v19, 20, v19
	v_and_b32_e32 v21, 0x80000000, v21
	v_lshl_add_u32 v20, v20, 23, v22
	v_or3_b32 v19, v21, v20, v19
.LBB52_1800:
	s_or_b64 exec, exec, s[6:7]
	flat_load_dwordx4 a[0:3], v[16:17] offset:112
	s_movk_i32 s4, 0x7f
                                        ; implicit-def: $sgpr10
	s_waitcnt vmcnt(0) lgkmcnt(0)
	v_mfma_f32_16x16x4f32 a[0:3], v18, v19, a[0:3]
	v_lshrrev_b32_e32 v19, 8, v12
	v_cmp_gt_i16_sdwa s[6:7], v19, s4 src0_sel:BYTE_0 src1_sel:DWORD
	s_mov_b64 s[4:5], 0
	s_and_saveexec_b64 s[8:9], s[6:7]
	s_xor_b64 s[6:7], exec, s[8:9]
	s_cbranch_execnz .LBB52_3849
; %bb.1801:
	s_or_saveexec_b64 s[6:7], s[6:7]
	v_mov_b32_e32 v18, s10
	s_xor_b64 exec, exec, s[6:7]
	s_cbranch_execnz .LBB52_3852
.LBB52_1802:
	s_or_b64 exec, exec, s[6:7]
	s_and_saveexec_b64 s[6:7], s[4:5]
	s_cbranch_execz .LBB52_1804
.LBB52_1803:
	v_bfe_u32 v18, v12, 8, 3
	v_ffbh_u32_e32 v21, v18
	v_min_u32_e32 v21, 32, v21
	v_lshrrev_b16_e32 v20, 3, v19
	v_subrev_u32_e32 v22, 28, v21
	v_and_b32_e32 v20, 15, v20
	v_lshlrev_b32_e32 v19, v22, v19
	v_sub_u32_e32 v21, 29, v21
	v_and_b32_e32 v19, 7, v19
	v_cmp_eq_u16_e32 vcc, 0, v20
	v_cndmask_b32_e32 v18, v18, v19, vcc
	v_cndmask_b32_e32 v19, v20, v21, vcc
	v_lshlrev_b32_e32 v20, 16, v12
	v_mov_b32_e32 v21, 0x3b800000
	v_lshlrev_b32_e32 v18, 20, v18
	v_and_b32_e32 v20, 0x80000000, v20
	v_lshl_add_u32 v19, v19, 23, v21
	v_or3_b32 v18, v20, v19, v18
.LBB52_1804:
	s_or_b64 exec, exec, s[6:7]
	v_lshrrev_b32_e32 v19, 8, v8
	s_movk_i32 s4, 0x7f
	v_cmp_gt_i16_sdwa s[6:7], v19, s4 src0_sel:BYTE_0 src1_sel:DWORD
	s_mov_b64 s[4:5], 0
                                        ; implicit-def: $sgpr10
	s_and_saveexec_b64 s[8:9], s[6:7]
	s_xor_b64 s[6:7], exec, s[8:9]
	s_cbranch_execnz .LBB52_3853
; %bb.1805:
	s_or_saveexec_b64 s[6:7], s[6:7]
	v_mov_b32_e32 v20, s10
	s_xor_b64 exec, exec, s[6:7]
	s_cbranch_execnz .LBB52_3856
.LBB52_1806:
	s_or_b64 exec, exec, s[6:7]
	s_and_saveexec_b64 s[6:7], s[4:5]
	s_cbranch_execz .LBB52_1808
.LBB52_1807:
	v_bfe_u32 v20, v8, 8, 3
	v_ffbh_u32_e32 v22, v20
	v_min_u32_e32 v22, 32, v22
	v_lshrrev_b16_e32 v21, 3, v19
	v_subrev_u32_e32 v23, 28, v22
	v_and_b32_e32 v21, 15, v21
	v_lshlrev_b32_e32 v19, v23, v19
	v_sub_u32_e32 v22, 29, v22
	v_and_b32_e32 v19, 7, v19
	v_cmp_eq_u16_e32 vcc, 0, v21
	v_cndmask_b32_e32 v19, v20, v19, vcc
	v_cndmask_b32_e32 v20, v21, v22, vcc
	v_lshlrev_b32_e32 v21, 16, v8
	v_mov_b32_e32 v22, 0x3b800000
	v_lshlrev_b32_e32 v19, 20, v19
	v_and_b32_e32 v21, 0x80000000, v21
	v_lshl_add_u32 v20, v20, 23, v22
	v_or3_b32 v20, v21, v20, v19
.LBB52_1808:
	s_or_b64 exec, exec, s[6:7]
	s_nop 0
	v_mfma_f32_16x16x4f32 a[0:3], v18, v20, a[0:3]
	s_movk_i32 s4, 0xff
	v_and_b32_sdwa v19, v12, s4 dst_sel:DWORD dst_unused:UNUSED_PAD src0_sel:WORD_1 src1_sel:DWORD
	s_movk_i32 s4, 0x7f
	v_cmp_lt_i16_e32 vcc, s4, v19
	s_mov_b64 s[4:5], 0
                                        ; implicit-def: $sgpr10
	s_and_saveexec_b64 s[6:7], vcc
	s_xor_b64 s[6:7], exec, s[6:7]
	s_cbranch_execnz .LBB52_3857
; %bb.1809:
	s_or_saveexec_b64 s[6:7], s[6:7]
	v_mov_b32_e32 v18, s10
	s_xor_b64 exec, exec, s[6:7]
	s_cbranch_execnz .LBB52_3860
.LBB52_1810:
	s_or_b64 exec, exec, s[6:7]
	s_and_saveexec_b64 s[6:7], s[4:5]
	s_cbranch_execz .LBB52_1812
.LBB52_1811:
	v_bfe_u32 v18, v12, 16, 3
	v_ffbh_u32_e32 v21, v18
	v_min_u32_e32 v21, 32, v21
	v_lshrrev_b32_e32 v19, 19, v12
	v_subrev_u32_e32 v22, 28, v21
	v_and_b32_e32 v19, 15, v19
	v_lshlrev_b32_sdwa v22, v22, v12 dst_sel:DWORD dst_unused:UNUSED_PAD src0_sel:DWORD src1_sel:WORD_1
	v_bfe_u32 v20, v12, 19, 4
	v_sub_u32_e32 v21, 29, v21
	v_and_b32_e32 v22, 7, v22
	v_cmp_eq_u16_e32 vcc, 0, v19
	v_cndmask_b32_e32 v18, v18, v22, vcc
	v_cndmask_b32_e32 v19, v20, v21, vcc
	v_lshlrev_b32_e32 v20, 8, v12
	v_mov_b32_e32 v21, 0x3b800000
	v_lshlrev_b32_e32 v18, 20, v18
	v_and_b32_e32 v20, 0x80000000, v20
	v_lshl_add_u32 v19, v19, 23, v21
	v_or3_b32 v18, v20, v19, v18
.LBB52_1812:
	s_or_b64 exec, exec, s[6:7]
	s_movk_i32 s4, 0xff
	v_and_b32_sdwa v19, v8, s4 dst_sel:DWORD dst_unused:UNUSED_PAD src0_sel:WORD_1 src1_sel:DWORD
	s_movk_i32 s4, 0x7f
	v_cmp_lt_i16_e32 vcc, s4, v19
	s_mov_b64 s[4:5], 0
                                        ; implicit-def: $sgpr10
	s_and_saveexec_b64 s[6:7], vcc
	s_xor_b64 s[6:7], exec, s[6:7]
	s_cbranch_execnz .LBB52_3861
; %bb.1813:
	s_or_saveexec_b64 s[6:7], s[6:7]
	v_mov_b32_e32 v20, s10
	s_xor_b64 exec, exec, s[6:7]
	s_cbranch_execnz .LBB52_3864
.LBB52_1814:
	s_or_b64 exec, exec, s[6:7]
	s_and_saveexec_b64 s[6:7], s[4:5]
	s_cbranch_execz .LBB52_1816
.LBB52_1815:
	v_bfe_u32 v19, v8, 16, 3
	v_ffbh_u32_e32 v22, v19
	v_min_u32_e32 v22, 32, v22
	v_lshrrev_b32_e32 v20, 19, v8
	v_subrev_u32_e32 v23, 28, v22
	v_and_b32_e32 v20, 15, v20
	v_lshlrev_b32_sdwa v23, v23, v8 dst_sel:DWORD dst_unused:UNUSED_PAD src0_sel:DWORD src1_sel:WORD_1
	v_bfe_u32 v21, v8, 19, 4
	v_sub_u32_e32 v22, 29, v22
	v_and_b32_e32 v23, 7, v23
	v_cmp_eq_u16_e32 vcc, 0, v20
	v_cndmask_b32_e32 v19, v19, v23, vcc
	v_cndmask_b32_e32 v20, v21, v22, vcc
	v_lshlrev_b32_e32 v21, 8, v8
	v_mov_b32_e32 v22, 0x3b800000
	v_lshlrev_b32_e32 v19, 20, v19
	v_and_b32_e32 v21, 0x80000000, v21
	v_lshl_add_u32 v20, v20, 23, v22
	v_or3_b32 v20, v21, v20, v19
.LBB52_1816:
	s_or_b64 exec, exec, s[6:7]
	s_nop 0
	v_mfma_f32_16x16x4f32 a[0:3], v18, v20, a[0:3]
	s_movk_i32 s4, 0x7f
	v_cmp_gt_i16_sdwa s[6:7], v12, s4 src0_sel:BYTE_3 src1_sel:DWORD
	s_mov_b64 s[4:5], 0
                                        ; implicit-def: $sgpr10
	s_and_saveexec_b64 s[8:9], s[6:7]
	s_xor_b64 s[6:7], exec, s[8:9]
	s_cbranch_execnz .LBB52_3865
; %bb.1817:
	s_or_saveexec_b64 s[6:7], s[6:7]
	v_mov_b32_e32 v18, s10
	s_xor_b64 exec, exec, s[6:7]
	s_cbranch_execnz .LBB52_3868
.LBB52_1818:
	s_or_b64 exec, exec, s[6:7]
	s_and_saveexec_b64 s[6:7], s[4:5]
	s_cbranch_execz .LBB52_1820
.LBB52_1819:
	v_bfe_u32 v18, v12, 24, 3
	v_ffbh_u32_e32 v22, v18
	v_min_u32_e32 v22, 32, v22
	v_lshrrev_b32_e32 v20, 27, v12
	v_subrev_u32_e32 v23, 28, v22
	v_and_b32_e32 v19, 0x80000000, v12
	v_and_b32_e32 v20, 15, v20
	v_bfe_u32 v21, v12, 27, 4
	v_lshlrev_b32_sdwa v12, v23, v12 dst_sel:DWORD dst_unused:UNUSED_PAD src0_sel:DWORD src1_sel:BYTE_3
	v_sub_u32_e32 v22, 29, v22
	v_and_b32_e32 v12, 7, v12
	v_cmp_eq_u16_e32 vcc, 0, v20
	v_cndmask_b32_e32 v12, v18, v12, vcc
	v_cndmask_b32_e32 v18, v21, v22, vcc
	v_mov_b32_e32 v20, 0x3b800000
	v_lshlrev_b32_e32 v12, 20, v12
	v_lshl_add_u32 v18, v18, 23, v20
	v_or3_b32 v18, v19, v18, v12
.LBB52_1820:
	s_or_b64 exec, exec, s[6:7]
	s_movk_i32 s4, 0x7f
	v_cmp_gt_i16_sdwa s[6:7], v8, s4 src0_sel:BYTE_3 src1_sel:DWORD
	s_mov_b64 s[4:5], 0
                                        ; implicit-def: $sgpr10
	s_and_saveexec_b64 s[8:9], s[6:7]
	s_xor_b64 s[6:7], exec, s[8:9]
	s_cbranch_execnz .LBB52_3869
; %bb.1821:
	s_or_saveexec_b64 s[6:7], s[6:7]
	v_mov_b32_e32 v12, s10
	s_xor_b64 exec, exec, s[6:7]
	s_cbranch_execnz .LBB52_3872
.LBB52_1822:
	s_or_b64 exec, exec, s[6:7]
	s_and_saveexec_b64 s[6:7], s[4:5]
	s_cbranch_execz .LBB52_1824
.LBB52_1823:
	v_bfe_u32 v12, v8, 24, 3
	v_ffbh_u32_e32 v22, v12
	v_min_u32_e32 v22, 32, v22
	v_lshrrev_b32_e32 v20, 27, v8
	v_subrev_u32_e32 v23, 28, v22
	v_and_b32_e32 v19, 0x80000000, v8
	v_and_b32_e32 v20, 15, v20
	v_bfe_u32 v21, v8, 27, 4
	v_lshlrev_b32_sdwa v8, v23, v8 dst_sel:DWORD dst_unused:UNUSED_PAD src0_sel:DWORD src1_sel:BYTE_3
	v_sub_u32_e32 v22, 29, v22
	v_and_b32_e32 v8, 7, v8
	v_cmp_eq_u16_e32 vcc, 0, v20
	v_cndmask_b32_e32 v8, v12, v8, vcc
	v_cndmask_b32_e32 v12, v21, v22, vcc
	v_mov_b32_e32 v20, 0x3b800000
	v_lshlrev_b32_e32 v8, 20, v8
	v_lshl_add_u32 v12, v12, 23, v20
	v_or3_b32 v12, v19, v12, v8
.LBB52_1824:
	s_or_b64 exec, exec, s[6:7]
	s_nop 0
	v_mfma_f32_16x16x4f32 a[0:3], v18, v12, a[0:3]
	s_movk_i32 s4, 0x7f
	v_cmp_gt_i16_sdwa s[6:7], v13, s4 src0_sel:BYTE_0 src1_sel:DWORD
	s_mov_b64 s[4:5], 0
                                        ; implicit-def: $sgpr10
	s_and_saveexec_b64 s[8:9], s[6:7]
	s_xor_b64 s[6:7], exec, s[8:9]
	s_cbranch_execnz .LBB52_3873
; %bb.1825:
	s_or_saveexec_b64 s[6:7], s[6:7]
	v_mov_b32_e32 v8, s10
	s_xor_b64 exec, exec, s[6:7]
	s_cbranch_execnz .LBB52_3876
.LBB52_1826:
	s_or_b64 exec, exec, s[6:7]
	s_and_saveexec_b64 s[6:7], s[4:5]
	s_cbranch_execz .LBB52_1828
.LBB52_1827:
	v_and_b32_e32 v8, 7, v13
	v_ffbh_u32_e32 v18, v8
	v_min_u32_e32 v18, 32, v18
	v_lshrrev_b16_e32 v12, 3, v13
	v_subrev_u32_e32 v19, 28, v18
	v_and_b32_e32 v12, 15, v12
	v_lshlrev_b32_e32 v19, v19, v13
	v_sub_u32_e32 v18, 29, v18
	v_and_b32_e32 v19, 7, v19
	v_cmp_eq_u16_e32 vcc, 0, v12
	v_cndmask_b32_e32 v8, v8, v19, vcc
	v_cndmask_b32_e32 v12, v12, v18, vcc
	v_lshlrev_b32_e32 v18, 24, v13
	v_mov_b32_e32 v19, 0x3b800000
	v_lshlrev_b32_e32 v8, 20, v8
	v_and_b32_e32 v18, 0x80000000, v18
	v_lshl_add_u32 v12, v12, 23, v19
	v_or3_b32 v8, v18, v12, v8
.LBB52_1828:
	s_or_b64 exec, exec, s[6:7]
	s_movk_i32 s4, 0x7f
	v_cmp_gt_i16_sdwa s[6:7], v9, s4 src0_sel:BYTE_0 src1_sel:DWORD
	s_mov_b64 s[4:5], 0
                                        ; implicit-def: $sgpr10
	s_and_saveexec_b64 s[8:9], s[6:7]
	s_xor_b64 s[6:7], exec, s[8:9]
	s_cbranch_execnz .LBB52_3877
; %bb.1829:
	s_or_saveexec_b64 s[6:7], s[6:7]
	v_mov_b32_e32 v12, s10
	s_xor_b64 exec, exec, s[6:7]
	s_cbranch_execnz .LBB52_3880
.LBB52_1830:
	s_or_b64 exec, exec, s[6:7]
	s_and_saveexec_b64 s[6:7], s[4:5]
	s_cbranch_execz .LBB52_1832
.LBB52_1831:
	v_and_b32_e32 v12, 7, v9
	v_ffbh_u32_e32 v19, v12
	v_min_u32_e32 v19, 32, v19
	v_lshrrev_b16_e32 v18, 3, v9
	v_subrev_u32_e32 v20, 28, v19
	v_and_b32_e32 v18, 15, v18
	v_lshlrev_b32_e32 v20, v20, v9
	v_sub_u32_e32 v19, 29, v19
	v_and_b32_e32 v20, 7, v20
	v_cmp_eq_u16_e32 vcc, 0, v18
	v_cndmask_b32_e32 v12, v12, v20, vcc
	v_cndmask_b32_e32 v18, v18, v19, vcc
	v_lshlrev_b32_e32 v19, 24, v9
	v_mov_b32_e32 v20, 0x3b800000
	v_lshlrev_b32_e32 v12, 20, v12
	v_and_b32_e32 v19, 0x80000000, v19
	v_lshl_add_u32 v18, v18, 23, v20
	v_or3_b32 v12, v19, v18, v12
.LBB52_1832:
	s_or_b64 exec, exec, s[6:7]
	s_nop 0
	v_mfma_f32_16x16x4f32 a[0:3], v8, v12, a[0:3]
	v_lshrrev_b32_e32 v12, 8, v13
	s_movk_i32 s4, 0x7f
	v_cmp_gt_i16_sdwa s[6:7], v12, s4 src0_sel:BYTE_0 src1_sel:DWORD
	s_mov_b64 s[4:5], 0
                                        ; implicit-def: $sgpr10
	s_and_saveexec_b64 s[8:9], s[6:7]
	s_xor_b64 s[6:7], exec, s[8:9]
	s_cbranch_execnz .LBB52_3881
; %bb.1833:
	s_or_saveexec_b64 s[6:7], s[6:7]
	v_mov_b32_e32 v8, s10
	s_xor_b64 exec, exec, s[6:7]
	s_cbranch_execnz .LBB52_3884
.LBB52_1834:
	s_or_b64 exec, exec, s[6:7]
	s_and_saveexec_b64 s[6:7], s[4:5]
	s_cbranch_execz .LBB52_1836
.LBB52_1835:
	v_bfe_u32 v8, v13, 8, 3
	v_ffbh_u32_e32 v19, v8
	v_min_u32_e32 v19, 32, v19
	v_lshrrev_b16_e32 v18, 3, v12
	v_subrev_u32_e32 v20, 28, v19
	v_and_b32_e32 v18, 15, v18
	v_lshlrev_b32_e32 v12, v20, v12
	v_sub_u32_e32 v19, 29, v19
	v_and_b32_e32 v12, 7, v12
	v_cmp_eq_u16_e32 vcc, 0, v18
	v_cndmask_b32_e32 v8, v8, v12, vcc
	v_cndmask_b32_e32 v12, v18, v19, vcc
	v_lshlrev_b32_e32 v18, 16, v13
	v_mov_b32_e32 v19, 0x3b800000
	v_lshlrev_b32_e32 v8, 20, v8
	v_and_b32_e32 v18, 0x80000000, v18
	v_lshl_add_u32 v12, v12, 23, v19
	v_or3_b32 v8, v18, v12, v8
.LBB52_1836:
	s_or_b64 exec, exec, s[6:7]
	v_lshrrev_b32_e32 v12, 8, v9
	s_movk_i32 s4, 0x7f
	v_cmp_gt_i16_sdwa s[6:7], v12, s4 src0_sel:BYTE_0 src1_sel:DWORD
	s_mov_b64 s[4:5], 0
                                        ; implicit-def: $sgpr10
	s_and_saveexec_b64 s[8:9], s[6:7]
	s_xor_b64 s[6:7], exec, s[8:9]
	s_cbranch_execnz .LBB52_3885
; %bb.1837:
	s_or_saveexec_b64 s[6:7], s[6:7]
	v_mov_b32_e32 v18, s10
	s_xor_b64 exec, exec, s[6:7]
	s_cbranch_execnz .LBB52_3888
.LBB52_1838:
	s_or_b64 exec, exec, s[6:7]
	s_and_saveexec_b64 s[6:7], s[4:5]
	s_cbranch_execz .LBB52_1840
.LBB52_1839:
	v_bfe_u32 v18, v9, 8, 3
	v_ffbh_u32_e32 v20, v18
	v_min_u32_e32 v20, 32, v20
	v_lshrrev_b16_e32 v19, 3, v12
	v_subrev_u32_e32 v21, 28, v20
	v_and_b32_e32 v19, 15, v19
	v_lshlrev_b32_e32 v12, v21, v12
	v_sub_u32_e32 v20, 29, v20
	v_and_b32_e32 v12, 7, v12
	v_cmp_eq_u16_e32 vcc, 0, v19
	v_cndmask_b32_e32 v12, v18, v12, vcc
	v_cndmask_b32_e32 v18, v19, v20, vcc
	v_lshlrev_b32_e32 v19, 16, v9
	v_mov_b32_e32 v20, 0x3b800000
	v_lshlrev_b32_e32 v12, 20, v12
	v_and_b32_e32 v19, 0x80000000, v19
	v_lshl_add_u32 v18, v18, 23, v20
	v_or3_b32 v18, v19, v18, v12
.LBB52_1840:
	s_or_b64 exec, exec, s[6:7]
	s_nop 0
	v_mfma_f32_16x16x4f32 a[0:3], v8, v18, a[0:3]
	s_movk_i32 s4, 0xff
	v_and_b32_sdwa v12, v13, s4 dst_sel:DWORD dst_unused:UNUSED_PAD src0_sel:WORD_1 src1_sel:DWORD
	s_movk_i32 s4, 0x7f
	v_cmp_lt_i16_e32 vcc, s4, v12
	s_mov_b64 s[4:5], 0
                                        ; implicit-def: $sgpr10
	s_and_saveexec_b64 s[6:7], vcc
	s_xor_b64 s[6:7], exec, s[6:7]
	s_cbranch_execnz .LBB52_3889
; %bb.1841:
	s_or_saveexec_b64 s[6:7], s[6:7]
	v_mov_b32_e32 v8, s10
	s_xor_b64 exec, exec, s[6:7]
	s_cbranch_execnz .LBB52_3892
.LBB52_1842:
	s_or_b64 exec, exec, s[6:7]
	s_and_saveexec_b64 s[6:7], s[4:5]
	s_cbranch_execz .LBB52_1844
.LBB52_1843:
	v_bfe_u32 v8, v13, 16, 3
	v_ffbh_u32_e32 v19, v8
	v_min_u32_e32 v19, 32, v19
	v_lshrrev_b32_e32 v12, 19, v13
	v_subrev_u32_e32 v20, 28, v19
	v_and_b32_e32 v12, 15, v12
	v_lshlrev_b32_sdwa v20, v20, v13 dst_sel:DWORD dst_unused:UNUSED_PAD src0_sel:DWORD src1_sel:WORD_1
	v_bfe_u32 v18, v13, 19, 4
	v_sub_u32_e32 v19, 29, v19
	v_and_b32_e32 v20, 7, v20
	v_cmp_eq_u16_e32 vcc, 0, v12
	v_cndmask_b32_e32 v8, v8, v20, vcc
	v_cndmask_b32_e32 v12, v18, v19, vcc
	v_lshlrev_b32_e32 v18, 8, v13
	v_mov_b32_e32 v19, 0x3b800000
	v_lshlrev_b32_e32 v8, 20, v8
	v_and_b32_e32 v18, 0x80000000, v18
	v_lshl_add_u32 v12, v12, 23, v19
	v_or3_b32 v8, v18, v12, v8
.LBB52_1844:
	s_or_b64 exec, exec, s[6:7]
	s_movk_i32 s4, 0xff
	v_and_b32_sdwa v12, v9, s4 dst_sel:DWORD dst_unused:UNUSED_PAD src0_sel:WORD_1 src1_sel:DWORD
	s_movk_i32 s4, 0x7f
	v_cmp_lt_i16_e32 vcc, s4, v12
	s_mov_b64 s[4:5], 0
                                        ; implicit-def: $sgpr10
	s_and_saveexec_b64 s[6:7], vcc
	s_xor_b64 s[6:7], exec, s[6:7]
	s_cbranch_execnz .LBB52_3893
; %bb.1845:
	s_or_saveexec_b64 s[6:7], s[6:7]
	v_mov_b32_e32 v18, s10
	s_xor_b64 exec, exec, s[6:7]
	s_cbranch_execnz .LBB52_3896
.LBB52_1846:
	s_or_b64 exec, exec, s[6:7]
	s_and_saveexec_b64 s[6:7], s[4:5]
	s_cbranch_execz .LBB52_1848
.LBB52_1847:
	v_bfe_u32 v12, v9, 16, 3
	v_ffbh_u32_e32 v20, v12
	v_min_u32_e32 v20, 32, v20
	v_lshrrev_b32_e32 v18, 19, v9
	v_subrev_u32_e32 v21, 28, v20
	v_and_b32_e32 v18, 15, v18
	v_lshlrev_b32_sdwa v21, v21, v9 dst_sel:DWORD dst_unused:UNUSED_PAD src0_sel:DWORD src1_sel:WORD_1
	v_bfe_u32 v19, v9, 19, 4
	v_sub_u32_e32 v20, 29, v20
	v_and_b32_e32 v21, 7, v21
	v_cmp_eq_u16_e32 vcc, 0, v18
	v_cndmask_b32_e32 v12, v12, v21, vcc
	v_cndmask_b32_e32 v18, v19, v20, vcc
	v_lshlrev_b32_e32 v19, 8, v9
	v_mov_b32_e32 v20, 0x3b800000
	v_lshlrev_b32_e32 v12, 20, v12
	v_and_b32_e32 v19, 0x80000000, v19
	v_lshl_add_u32 v18, v18, 23, v20
	v_or3_b32 v18, v19, v18, v12
.LBB52_1848:
	s_or_b64 exec, exec, s[6:7]
	s_nop 0
	v_mfma_f32_16x16x4f32 a[0:3], v8, v18, a[0:3]
	s_movk_i32 s4, 0x7f
	v_cmp_gt_i16_sdwa s[6:7], v13, s4 src0_sel:BYTE_3 src1_sel:DWORD
	s_mov_b64 s[4:5], 0
                                        ; implicit-def: $sgpr10
	s_and_saveexec_b64 s[8:9], s[6:7]
	s_xor_b64 s[6:7], exec, s[8:9]
	s_cbranch_execnz .LBB52_3897
; %bb.1849:
	s_or_saveexec_b64 s[6:7], s[6:7]
	v_mov_b32_e32 v8, s10
	s_xor_b64 exec, exec, s[6:7]
	s_cbranch_execnz .LBB52_3900
.LBB52_1850:
	s_or_b64 exec, exec, s[6:7]
	s_and_saveexec_b64 s[6:7], s[4:5]
	s_cbranch_execz .LBB52_1852
.LBB52_1851:
	v_bfe_u32 v8, v13, 24, 3
	v_ffbh_u32_e32 v20, v8
	v_min_u32_e32 v20, 32, v20
	v_lshrrev_b32_e32 v18, 27, v13
	v_subrev_u32_e32 v21, 28, v20
	v_and_b32_e32 v12, 0x80000000, v13
	v_and_b32_e32 v18, 15, v18
	v_bfe_u32 v19, v13, 27, 4
	v_lshlrev_b32_sdwa v13, v21, v13 dst_sel:DWORD dst_unused:UNUSED_PAD src0_sel:DWORD src1_sel:BYTE_3
	v_sub_u32_e32 v20, 29, v20
	v_and_b32_e32 v13, 7, v13
	v_cmp_eq_u16_e32 vcc, 0, v18
	v_cndmask_b32_e32 v8, v8, v13, vcc
	v_cndmask_b32_e32 v13, v19, v20, vcc
	v_mov_b32_e32 v18, 0x3b800000
	v_lshlrev_b32_e32 v8, 20, v8
	v_lshl_add_u32 v13, v13, 23, v18
	v_or3_b32 v8, v12, v13, v8
.LBB52_1852:
	s_or_b64 exec, exec, s[6:7]
	s_movk_i32 s4, 0x7f
	v_cmp_gt_i16_sdwa s[6:7], v9, s4 src0_sel:BYTE_3 src1_sel:DWORD
	s_mov_b64 s[4:5], 0
                                        ; implicit-def: $sgpr10
	s_and_saveexec_b64 s[8:9], s[6:7]
	s_xor_b64 s[6:7], exec, s[8:9]
	s_cbranch_execnz .LBB52_3901
; %bb.1853:
	s_or_saveexec_b64 s[6:7], s[6:7]
	v_mov_b32_e32 v12, s10
	s_xor_b64 exec, exec, s[6:7]
	s_cbranch_execnz .LBB52_3904
.LBB52_1854:
	s_or_b64 exec, exec, s[6:7]
	s_and_saveexec_b64 s[6:7], s[4:5]
	s_cbranch_execz .LBB52_1856
.LBB52_1855:
	v_bfe_u32 v12, v9, 24, 3
	v_ffbh_u32_e32 v20, v12
	v_min_u32_e32 v20, 32, v20
	v_lshrrev_b32_e32 v18, 27, v9
	v_subrev_u32_e32 v21, 28, v20
	v_and_b32_e32 v13, 0x80000000, v9
	v_and_b32_e32 v18, 15, v18
	v_bfe_u32 v19, v9, 27, 4
	v_lshlrev_b32_sdwa v9, v21, v9 dst_sel:DWORD dst_unused:UNUSED_PAD src0_sel:DWORD src1_sel:BYTE_3
	v_sub_u32_e32 v20, 29, v20
	v_and_b32_e32 v9, 7, v9
	v_cmp_eq_u16_e32 vcc, 0, v18
	v_cndmask_b32_e32 v9, v12, v9, vcc
	v_cndmask_b32_e32 v12, v19, v20, vcc
	v_mov_b32_e32 v18, 0x3b800000
	v_lshlrev_b32_e32 v9, 20, v9
	v_lshl_add_u32 v12, v12, 23, v18
	v_or3_b32 v12, v13, v12, v9
.LBB52_1856:
	s_or_b64 exec, exec, s[6:7]
	s_nop 0
	v_mfma_f32_16x16x4f32 a[0:3], v8, v12, a[0:3]
	s_movk_i32 s4, 0x7f
	v_cmp_gt_i16_sdwa s[6:7], v14, s4 src0_sel:BYTE_0 src1_sel:DWORD
	s_mov_b64 s[4:5], 0
                                        ; implicit-def: $sgpr10
	s_and_saveexec_b64 s[8:9], s[6:7]
	s_xor_b64 s[6:7], exec, s[8:9]
	s_cbranch_execnz .LBB52_3905
; %bb.1857:
	s_or_saveexec_b64 s[6:7], s[6:7]
	v_mov_b32_e32 v8, s10
	s_xor_b64 exec, exec, s[6:7]
	s_cbranch_execnz .LBB52_3908
.LBB52_1858:
	s_or_b64 exec, exec, s[6:7]
	s_and_saveexec_b64 s[6:7], s[4:5]
	s_cbranch_execz .LBB52_1860
.LBB52_1859:
	v_and_b32_e32 v8, 7, v14
	v_ffbh_u32_e32 v12, v8
	v_min_u32_e32 v12, 32, v12
	v_lshrrev_b16_e32 v9, 3, v14
	v_subrev_u32_e32 v13, 28, v12
	v_and_b32_e32 v9, 15, v9
	v_lshlrev_b32_e32 v13, v13, v14
	v_sub_u32_e32 v12, 29, v12
	v_and_b32_e32 v13, 7, v13
	v_cmp_eq_u16_e32 vcc, 0, v9
	v_cndmask_b32_e32 v8, v8, v13, vcc
	v_cndmask_b32_e32 v9, v9, v12, vcc
	v_lshlrev_b32_e32 v12, 24, v14
	v_mov_b32_e32 v13, 0x3b800000
	v_lshlrev_b32_e32 v8, 20, v8
	v_and_b32_e32 v12, 0x80000000, v12
	v_lshl_add_u32 v9, v9, 23, v13
	v_or3_b32 v8, v12, v9, v8
.LBB52_1860:
	s_or_b64 exec, exec, s[6:7]
	s_movk_i32 s4, 0x7f
	v_cmp_gt_i16_sdwa s[6:7], v10, s4 src0_sel:BYTE_0 src1_sel:DWORD
	s_mov_b64 s[4:5], 0
                                        ; implicit-def: $sgpr10
	s_and_saveexec_b64 s[8:9], s[6:7]
	s_xor_b64 s[6:7], exec, s[8:9]
	s_cbranch_execnz .LBB52_3909
; %bb.1861:
	s_or_saveexec_b64 s[6:7], s[6:7]
	v_mov_b32_e32 v9, s10
	s_xor_b64 exec, exec, s[6:7]
	s_cbranch_execnz .LBB52_3912
.LBB52_1862:
	s_or_b64 exec, exec, s[6:7]
	s_and_saveexec_b64 s[6:7], s[4:5]
	s_cbranch_execz .LBB52_1864
.LBB52_1863:
	v_and_b32_e32 v9, 7, v10
	v_ffbh_u32_e32 v13, v9
	v_min_u32_e32 v13, 32, v13
	v_lshrrev_b16_e32 v12, 3, v10
	v_subrev_u32_e32 v18, 28, v13
	v_and_b32_e32 v12, 15, v12
	v_lshlrev_b32_e32 v18, v18, v10
	v_sub_u32_e32 v13, 29, v13
	v_and_b32_e32 v18, 7, v18
	v_cmp_eq_u16_e32 vcc, 0, v12
	v_cndmask_b32_e32 v9, v9, v18, vcc
	v_cndmask_b32_e32 v12, v12, v13, vcc
	v_lshlrev_b32_e32 v13, 24, v10
	v_mov_b32_e32 v18, 0x3b800000
	v_lshlrev_b32_e32 v9, 20, v9
	v_and_b32_e32 v13, 0x80000000, v13
	v_lshl_add_u32 v12, v12, 23, v18
	v_or3_b32 v9, v13, v12, v9
.LBB52_1864:
	s_or_b64 exec, exec, s[6:7]
	s_nop 0
	v_mfma_f32_16x16x4f32 a[0:3], v8, v9, a[0:3]
	v_lshrrev_b32_e32 v9, 8, v14
	s_movk_i32 s4, 0x7f
	v_cmp_gt_i16_sdwa s[6:7], v9, s4 src0_sel:BYTE_0 src1_sel:DWORD
	s_mov_b64 s[4:5], 0
                                        ; implicit-def: $sgpr10
	s_and_saveexec_b64 s[8:9], s[6:7]
	s_xor_b64 s[6:7], exec, s[8:9]
	s_cbranch_execnz .LBB52_3913
; %bb.1865:
	s_or_saveexec_b64 s[6:7], s[6:7]
	v_mov_b32_e32 v8, s10
	s_xor_b64 exec, exec, s[6:7]
	s_cbranch_execnz .LBB52_3916
.LBB52_1866:
	s_or_b64 exec, exec, s[6:7]
	s_and_saveexec_b64 s[6:7], s[4:5]
	s_cbranch_execz .LBB52_1868
.LBB52_1867:
	v_bfe_u32 v8, v14, 8, 3
	v_ffbh_u32_e32 v13, v8
	v_min_u32_e32 v13, 32, v13
	v_lshrrev_b16_e32 v12, 3, v9
	v_subrev_u32_e32 v18, 28, v13
	v_and_b32_e32 v12, 15, v12
	v_lshlrev_b32_e32 v9, v18, v9
	v_sub_u32_e32 v13, 29, v13
	v_and_b32_e32 v9, 7, v9
	v_cmp_eq_u16_e32 vcc, 0, v12
	v_cndmask_b32_e32 v8, v8, v9, vcc
	v_cndmask_b32_e32 v9, v12, v13, vcc
	v_lshlrev_b32_e32 v12, 16, v14
	v_mov_b32_e32 v13, 0x3b800000
	v_lshlrev_b32_e32 v8, 20, v8
	v_and_b32_e32 v12, 0x80000000, v12
	v_lshl_add_u32 v9, v9, 23, v13
	v_or3_b32 v8, v12, v9, v8
.LBB52_1868:
	s_or_b64 exec, exec, s[6:7]
	v_lshrrev_b32_e32 v9, 8, v10
	s_movk_i32 s4, 0x7f
	v_cmp_gt_i16_sdwa s[6:7], v9, s4 src0_sel:BYTE_0 src1_sel:DWORD
	s_mov_b64 s[4:5], 0
                                        ; implicit-def: $sgpr10
	s_and_saveexec_b64 s[8:9], s[6:7]
	s_xor_b64 s[6:7], exec, s[8:9]
	s_cbranch_execnz .LBB52_3917
; %bb.1869:
	s_or_saveexec_b64 s[6:7], s[6:7]
	v_mov_b32_e32 v12, s10
	s_xor_b64 exec, exec, s[6:7]
	s_cbranch_execnz .LBB52_3920
.LBB52_1870:
	s_or_b64 exec, exec, s[6:7]
	s_and_saveexec_b64 s[6:7], s[4:5]
	s_cbranch_execz .LBB52_1872
.LBB52_1871:
	v_bfe_u32 v12, v10, 8, 3
	v_ffbh_u32_e32 v18, v12
	v_min_u32_e32 v18, 32, v18
	v_lshrrev_b16_e32 v13, 3, v9
	v_subrev_u32_e32 v19, 28, v18
	v_and_b32_e32 v13, 15, v13
	v_lshlrev_b32_e32 v9, v19, v9
	v_sub_u32_e32 v18, 29, v18
	v_and_b32_e32 v9, 7, v9
	v_cmp_eq_u16_e32 vcc, 0, v13
	v_cndmask_b32_e32 v9, v12, v9, vcc
	v_cndmask_b32_e32 v12, v13, v18, vcc
	v_lshlrev_b32_e32 v13, 16, v10
	v_mov_b32_e32 v18, 0x3b800000
	v_lshlrev_b32_e32 v9, 20, v9
	v_and_b32_e32 v13, 0x80000000, v13
	v_lshl_add_u32 v12, v12, 23, v18
	v_or3_b32 v12, v13, v12, v9
.LBB52_1872:
	s_or_b64 exec, exec, s[6:7]
	s_nop 0
	v_mfma_f32_16x16x4f32 a[0:3], v8, v12, a[0:3]
	s_movk_i32 s4, 0xff
	v_and_b32_sdwa v9, v14, s4 dst_sel:DWORD dst_unused:UNUSED_PAD src0_sel:WORD_1 src1_sel:DWORD
	s_movk_i32 s4, 0x7f
	v_cmp_lt_i16_e32 vcc, s4, v9
	s_mov_b64 s[4:5], 0
                                        ; implicit-def: $sgpr10
	s_and_saveexec_b64 s[6:7], vcc
	s_xor_b64 s[6:7], exec, s[6:7]
	s_cbranch_execnz .LBB52_3921
; %bb.1873:
	s_or_saveexec_b64 s[6:7], s[6:7]
	v_mov_b32_e32 v8, s10
	s_xor_b64 exec, exec, s[6:7]
	s_cbranch_execnz .LBB52_3924
.LBB52_1874:
	s_or_b64 exec, exec, s[6:7]
	s_and_saveexec_b64 s[6:7], s[4:5]
	s_cbranch_execz .LBB52_1876
.LBB52_1875:
	v_bfe_u32 v8, v14, 16, 3
	v_ffbh_u32_e32 v13, v8
	v_min_u32_e32 v13, 32, v13
	v_lshrrev_b32_e32 v9, 19, v14
	v_subrev_u32_e32 v18, 28, v13
	v_and_b32_e32 v9, 15, v9
	v_lshlrev_b32_sdwa v18, v18, v14 dst_sel:DWORD dst_unused:UNUSED_PAD src0_sel:DWORD src1_sel:WORD_1
	v_bfe_u32 v12, v14, 19, 4
	v_sub_u32_e32 v13, 29, v13
	v_and_b32_e32 v18, 7, v18
	v_cmp_eq_u16_e32 vcc, 0, v9
	v_cndmask_b32_e32 v8, v8, v18, vcc
	v_cndmask_b32_e32 v9, v12, v13, vcc
	v_lshlrev_b32_e32 v12, 8, v14
	v_mov_b32_e32 v13, 0x3b800000
	v_lshlrev_b32_e32 v8, 20, v8
	v_and_b32_e32 v12, 0x80000000, v12
	v_lshl_add_u32 v9, v9, 23, v13
	v_or3_b32 v8, v12, v9, v8
.LBB52_1876:
	s_or_b64 exec, exec, s[6:7]
	s_movk_i32 s4, 0xff
	v_and_b32_sdwa v9, v10, s4 dst_sel:DWORD dst_unused:UNUSED_PAD src0_sel:WORD_1 src1_sel:DWORD
	s_movk_i32 s4, 0x7f
	v_cmp_lt_i16_e32 vcc, s4, v9
	s_mov_b64 s[4:5], 0
                                        ; implicit-def: $sgpr10
	s_and_saveexec_b64 s[6:7], vcc
	s_xor_b64 s[6:7], exec, s[6:7]
	s_cbranch_execnz .LBB52_3925
; %bb.1877:
	s_or_saveexec_b64 s[6:7], s[6:7]
	v_mov_b32_e32 v12, s10
	s_xor_b64 exec, exec, s[6:7]
	s_cbranch_execnz .LBB52_3928
.LBB52_1878:
	s_or_b64 exec, exec, s[6:7]
	s_and_saveexec_b64 s[6:7], s[4:5]
	s_cbranch_execz .LBB52_1880
.LBB52_1879:
	v_bfe_u32 v9, v10, 16, 3
	v_ffbh_u32_e32 v18, v9
	v_min_u32_e32 v18, 32, v18
	v_lshrrev_b32_e32 v12, 19, v10
	v_subrev_u32_e32 v19, 28, v18
	v_and_b32_e32 v12, 15, v12
	v_lshlrev_b32_sdwa v19, v19, v10 dst_sel:DWORD dst_unused:UNUSED_PAD src0_sel:DWORD src1_sel:WORD_1
	v_bfe_u32 v13, v10, 19, 4
	v_sub_u32_e32 v18, 29, v18
	v_and_b32_e32 v19, 7, v19
	v_cmp_eq_u16_e32 vcc, 0, v12
	v_cndmask_b32_e32 v9, v9, v19, vcc
	v_cndmask_b32_e32 v12, v13, v18, vcc
	v_lshlrev_b32_e32 v13, 8, v10
	v_mov_b32_e32 v18, 0x3b800000
	v_lshlrev_b32_e32 v9, 20, v9
	v_and_b32_e32 v13, 0x80000000, v13
	v_lshl_add_u32 v12, v12, 23, v18
	v_or3_b32 v12, v13, v12, v9
.LBB52_1880:
	s_or_b64 exec, exec, s[6:7]
	s_nop 0
	v_mfma_f32_16x16x4f32 a[0:3], v8, v12, a[0:3]
	s_movk_i32 s4, 0x7f
	v_cmp_gt_i16_sdwa s[6:7], v14, s4 src0_sel:BYTE_3 src1_sel:DWORD
	s_mov_b64 s[4:5], 0
                                        ; implicit-def: $sgpr10
	s_and_saveexec_b64 s[8:9], s[6:7]
	s_xor_b64 s[6:7], exec, s[8:9]
	s_cbranch_execnz .LBB52_3929
; %bb.1881:
	s_or_saveexec_b64 s[6:7], s[6:7]
	v_mov_b32_e32 v8, s10
	s_xor_b64 exec, exec, s[6:7]
	s_cbranch_execnz .LBB52_3932
.LBB52_1882:
	s_or_b64 exec, exec, s[6:7]
	s_and_saveexec_b64 s[6:7], s[4:5]
	s_cbranch_execz .LBB52_1884
.LBB52_1883:
	v_bfe_u32 v8, v14, 24, 3
	v_ffbh_u32_e32 v18, v8
	v_min_u32_e32 v18, 32, v18
	v_lshrrev_b32_e32 v12, 27, v14
	v_subrev_u32_e32 v19, 28, v18
	v_and_b32_e32 v9, 0x80000000, v14
	v_and_b32_e32 v12, 15, v12
	v_bfe_u32 v13, v14, 27, 4
	v_lshlrev_b32_sdwa v14, v19, v14 dst_sel:DWORD dst_unused:UNUSED_PAD src0_sel:DWORD src1_sel:BYTE_3
	v_sub_u32_e32 v18, 29, v18
	v_and_b32_e32 v14, 7, v14
	v_cmp_eq_u16_e32 vcc, 0, v12
	v_cndmask_b32_e32 v8, v8, v14, vcc
	v_cndmask_b32_e32 v12, v13, v18, vcc
	v_mov_b32_e32 v13, 0x3b800000
	v_lshlrev_b32_e32 v8, 20, v8
	v_lshl_add_u32 v12, v12, 23, v13
	v_or3_b32 v8, v9, v12, v8
.LBB52_1884:
	s_or_b64 exec, exec, s[6:7]
	s_movk_i32 s4, 0x7f
	v_cmp_gt_i16_sdwa s[6:7], v10, s4 src0_sel:BYTE_3 src1_sel:DWORD
	s_mov_b64 s[4:5], 0
                                        ; implicit-def: $sgpr10
	s_and_saveexec_b64 s[8:9], s[6:7]
	s_xor_b64 s[6:7], exec, s[8:9]
	s_cbranch_execnz .LBB52_3933
; %bb.1885:
	s_or_saveexec_b64 s[6:7], s[6:7]
	v_mov_b32_e32 v9, s10
	s_xor_b64 exec, exec, s[6:7]
	s_cbranch_execnz .LBB52_3936
.LBB52_1886:
	s_or_b64 exec, exec, s[6:7]
	s_and_saveexec_b64 s[6:7], s[4:5]
	s_cbranch_execz .LBB52_1888
.LBB52_1887:
	v_bfe_u32 v9, v10, 24, 3
	v_ffbh_u32_e32 v18, v9
	v_min_u32_e32 v18, 32, v18
	v_lshrrev_b32_e32 v13, 27, v10
	v_subrev_u32_e32 v19, 28, v18
	v_and_b32_e32 v12, 0x80000000, v10
	v_and_b32_e32 v13, 15, v13
	v_bfe_u32 v14, v10, 27, 4
	v_lshlrev_b32_sdwa v10, v19, v10 dst_sel:DWORD dst_unused:UNUSED_PAD src0_sel:DWORD src1_sel:BYTE_3
	v_sub_u32_e32 v18, 29, v18
	v_and_b32_e32 v10, 7, v10
	v_cmp_eq_u16_e32 vcc, 0, v13
	v_cndmask_b32_e32 v9, v9, v10, vcc
	v_cndmask_b32_e32 v10, v14, v18, vcc
	v_mov_b32_e32 v13, 0x3b800000
	v_lshlrev_b32_e32 v9, 20, v9
	v_lshl_add_u32 v10, v10, 23, v13
	v_or3_b32 v9, v12, v10, v9
.LBB52_1888:
	s_or_b64 exec, exec, s[6:7]
	s_nop 0
	v_mfma_f32_16x16x4f32 a[0:3], v8, v9, a[0:3]
	s_movk_i32 s4, 0x7f
	v_cmp_gt_i16_sdwa s[6:7], v15, s4 src0_sel:BYTE_0 src1_sel:DWORD
	s_mov_b64 s[4:5], 0
                                        ; implicit-def: $sgpr10
	s_and_saveexec_b64 s[8:9], s[6:7]
	s_xor_b64 s[6:7], exec, s[8:9]
	s_cbranch_execnz .LBB52_3937
; %bb.1889:
	s_or_saveexec_b64 s[6:7], s[6:7]
	v_mov_b32_e32 v8, s10
	s_xor_b64 exec, exec, s[6:7]
	s_cbranch_execnz .LBB52_3940
.LBB52_1890:
	s_or_b64 exec, exec, s[6:7]
	s_and_saveexec_b64 s[6:7], s[4:5]
	s_cbranch_execz .LBB52_1892
.LBB52_1891:
	v_and_b32_e32 v8, 7, v15
	v_ffbh_u32_e32 v10, v8
	v_min_u32_e32 v10, 32, v10
	v_lshrrev_b16_e32 v9, 3, v15
	v_subrev_u32_e32 v12, 28, v10
	v_and_b32_e32 v9, 15, v9
	v_lshlrev_b32_e32 v12, v12, v15
	v_sub_u32_e32 v10, 29, v10
	v_and_b32_e32 v12, 7, v12
	v_cmp_eq_u16_e32 vcc, 0, v9
	v_cndmask_b32_e32 v8, v8, v12, vcc
	v_cndmask_b32_e32 v9, v9, v10, vcc
	v_lshlrev_b32_e32 v10, 24, v15
	v_mov_b32_e32 v12, 0x3b800000
	v_lshlrev_b32_e32 v8, 20, v8
	v_and_b32_e32 v10, 0x80000000, v10
	v_lshl_add_u32 v9, v9, 23, v12
	v_or3_b32 v8, v10, v9, v8
.LBB52_1892:
	s_or_b64 exec, exec, s[6:7]
	s_movk_i32 s4, 0x7f
	v_cmp_gt_i16_sdwa s[6:7], v11, s4 src0_sel:BYTE_0 src1_sel:DWORD
	s_mov_b64 s[4:5], 0
                                        ; implicit-def: $sgpr10
	s_and_saveexec_b64 s[8:9], s[6:7]
	s_xor_b64 s[6:7], exec, s[8:9]
	s_cbranch_execnz .LBB52_3941
; %bb.1893:
	s_or_saveexec_b64 s[6:7], s[6:7]
	v_mov_b32_e32 v9, s10
	s_xor_b64 exec, exec, s[6:7]
	s_cbranch_execnz .LBB52_3944
.LBB52_1894:
	s_or_b64 exec, exec, s[6:7]
	s_and_saveexec_b64 s[6:7], s[4:5]
	s_cbranch_execz .LBB52_1896
.LBB52_1895:
	v_and_b32_e32 v9, 7, v11
	v_ffbh_u32_e32 v12, v9
	v_min_u32_e32 v12, 32, v12
	v_lshrrev_b16_e32 v10, 3, v11
	v_subrev_u32_e32 v13, 28, v12
	v_and_b32_e32 v10, 15, v10
	v_lshlrev_b32_e32 v13, v13, v11
	v_sub_u32_e32 v12, 29, v12
	v_and_b32_e32 v13, 7, v13
	v_cmp_eq_u16_e32 vcc, 0, v10
	v_cndmask_b32_e32 v9, v9, v13, vcc
	v_cndmask_b32_e32 v10, v10, v12, vcc
	v_lshlrev_b32_e32 v12, 24, v11
	v_mov_b32_e32 v13, 0x3b800000
	v_lshlrev_b32_e32 v9, 20, v9
	v_and_b32_e32 v12, 0x80000000, v12
	v_lshl_add_u32 v10, v10, 23, v13
	v_or3_b32 v9, v12, v10, v9
.LBB52_1896:
	s_or_b64 exec, exec, s[6:7]
	s_nop 0
	v_mfma_f32_16x16x4f32 a[0:3], v8, v9, a[0:3]
	v_lshrrev_b32_e32 v9, 8, v15
	s_movk_i32 s4, 0x7f
	v_cmp_gt_i16_sdwa s[6:7], v9, s4 src0_sel:BYTE_0 src1_sel:DWORD
	s_mov_b64 s[4:5], 0
                                        ; implicit-def: $sgpr10
	s_and_saveexec_b64 s[8:9], s[6:7]
	s_xor_b64 s[6:7], exec, s[8:9]
	s_cbranch_execnz .LBB52_3945
; %bb.1897:
	s_or_saveexec_b64 s[6:7], s[6:7]
	v_mov_b32_e32 v8, s10
	s_xor_b64 exec, exec, s[6:7]
	s_cbranch_execnz .LBB52_3948
.LBB52_1898:
	s_or_b64 exec, exec, s[6:7]
	s_and_saveexec_b64 s[6:7], s[4:5]
	s_cbranch_execz .LBB52_1900
.LBB52_1899:
	v_bfe_u32 v8, v15, 8, 3
	v_ffbh_u32_e32 v12, v8
	v_min_u32_e32 v12, 32, v12
	v_lshrrev_b16_e32 v10, 3, v9
	v_subrev_u32_e32 v13, 28, v12
	v_and_b32_e32 v10, 15, v10
	v_lshlrev_b32_e32 v9, v13, v9
	v_sub_u32_e32 v12, 29, v12
	v_and_b32_e32 v9, 7, v9
	v_cmp_eq_u16_e32 vcc, 0, v10
	v_cndmask_b32_e32 v8, v8, v9, vcc
	v_cndmask_b32_e32 v9, v10, v12, vcc
	v_lshlrev_b32_e32 v10, 16, v15
	v_mov_b32_e32 v12, 0x3b800000
	v_lshlrev_b32_e32 v8, 20, v8
	v_and_b32_e32 v10, 0x80000000, v10
	v_lshl_add_u32 v9, v9, 23, v12
	v_or3_b32 v8, v10, v9, v8
.LBB52_1900:
	s_or_b64 exec, exec, s[6:7]
	v_lshrrev_b32_e32 v9, 8, v11
	s_movk_i32 s4, 0x7f
	v_cmp_gt_i16_sdwa s[6:7], v9, s4 src0_sel:BYTE_0 src1_sel:DWORD
	s_mov_b64 s[4:5], 0
                                        ; implicit-def: $sgpr10
	s_and_saveexec_b64 s[8:9], s[6:7]
	s_xor_b64 s[6:7], exec, s[8:9]
	s_cbranch_execnz .LBB52_3949
; %bb.1901:
	s_or_saveexec_b64 s[6:7], s[6:7]
	v_mov_b32_e32 v10, s10
	s_xor_b64 exec, exec, s[6:7]
	s_cbranch_execnz .LBB52_3952
.LBB52_1902:
	s_or_b64 exec, exec, s[6:7]
	s_and_saveexec_b64 s[6:7], s[4:5]
	s_cbranch_execz .LBB52_1904
.LBB52_1903:
	v_bfe_u32 v10, v11, 8, 3
	v_ffbh_u32_e32 v13, v10
	v_min_u32_e32 v13, 32, v13
	v_lshrrev_b16_e32 v12, 3, v9
	v_subrev_u32_e32 v14, 28, v13
	v_and_b32_e32 v12, 15, v12
	v_lshlrev_b32_e32 v9, v14, v9
	v_sub_u32_e32 v13, 29, v13
	v_and_b32_e32 v9, 7, v9
	v_cmp_eq_u16_e32 vcc, 0, v12
	v_cndmask_b32_e32 v9, v10, v9, vcc
	v_cndmask_b32_e32 v10, v12, v13, vcc
	v_lshlrev_b32_e32 v12, 16, v11
	v_mov_b32_e32 v13, 0x3b800000
	v_lshlrev_b32_e32 v9, 20, v9
	v_and_b32_e32 v12, 0x80000000, v12
	v_lshl_add_u32 v10, v10, 23, v13
	v_or3_b32 v10, v12, v10, v9
.LBB52_1904:
	s_or_b64 exec, exec, s[6:7]
	s_nop 0
	v_mfma_f32_16x16x4f32 a[0:3], v8, v10, a[0:3]
	s_movk_i32 s4, 0xff
	v_and_b32_sdwa v9, v15, s4 dst_sel:DWORD dst_unused:UNUSED_PAD src0_sel:WORD_1 src1_sel:DWORD
	s_movk_i32 s4, 0x7f
	v_cmp_lt_i16_e32 vcc, s4, v9
	s_mov_b64 s[4:5], 0
                                        ; implicit-def: $sgpr10
	s_and_saveexec_b64 s[6:7], vcc
	s_xor_b64 s[6:7], exec, s[6:7]
	s_cbranch_execnz .LBB52_3953
; %bb.1905:
	s_or_saveexec_b64 s[6:7], s[6:7]
	v_mov_b32_e32 v8, s10
	s_xor_b64 exec, exec, s[6:7]
	s_cbranch_execnz .LBB52_3956
.LBB52_1906:
	s_or_b64 exec, exec, s[6:7]
	s_and_saveexec_b64 s[6:7], s[4:5]
	s_cbranch_execz .LBB52_1908
.LBB52_1907:
	v_bfe_u32 v8, v15, 16, 3
	v_ffbh_u32_e32 v12, v8
	v_min_u32_e32 v12, 32, v12
	v_lshrrev_b32_e32 v9, 19, v15
	v_subrev_u32_e32 v13, 28, v12
	v_and_b32_e32 v9, 15, v9
	v_lshlrev_b32_sdwa v13, v13, v15 dst_sel:DWORD dst_unused:UNUSED_PAD src0_sel:DWORD src1_sel:WORD_1
	v_bfe_u32 v10, v15, 19, 4
	v_sub_u32_e32 v12, 29, v12
	v_and_b32_e32 v13, 7, v13
	v_cmp_eq_u16_e32 vcc, 0, v9
	v_cndmask_b32_e32 v8, v8, v13, vcc
	v_cndmask_b32_e32 v9, v10, v12, vcc
	v_lshlrev_b32_e32 v10, 8, v15
	v_mov_b32_e32 v12, 0x3b800000
	v_lshlrev_b32_e32 v8, 20, v8
	v_and_b32_e32 v10, 0x80000000, v10
	v_lshl_add_u32 v9, v9, 23, v12
	v_or3_b32 v8, v10, v9, v8
.LBB52_1908:
	s_or_b64 exec, exec, s[6:7]
	s_movk_i32 s4, 0xff
	v_and_b32_sdwa v9, v11, s4 dst_sel:DWORD dst_unused:UNUSED_PAD src0_sel:WORD_1 src1_sel:DWORD
	s_movk_i32 s4, 0x7f
	v_cmp_lt_i16_e32 vcc, s4, v9
	s_mov_b64 s[4:5], 0
                                        ; implicit-def: $sgpr10
	s_and_saveexec_b64 s[6:7], vcc
	s_xor_b64 s[6:7], exec, s[6:7]
	s_cbranch_execnz .LBB52_3957
; %bb.1909:
	s_or_saveexec_b64 s[6:7], s[6:7]
	v_mov_b32_e32 v10, s10
	s_xor_b64 exec, exec, s[6:7]
	s_cbranch_execnz .LBB52_3960
.LBB52_1910:
	s_or_b64 exec, exec, s[6:7]
	s_and_saveexec_b64 s[6:7], s[4:5]
	s_cbranch_execz .LBB52_1912
.LBB52_1911:
	v_bfe_u32 v9, v11, 16, 3
	v_ffbh_u32_e32 v13, v9
	v_min_u32_e32 v13, 32, v13
	v_lshrrev_b32_e32 v10, 19, v11
	v_subrev_u32_e32 v14, 28, v13
	v_and_b32_e32 v10, 15, v10
	v_lshlrev_b32_sdwa v14, v14, v11 dst_sel:DWORD dst_unused:UNUSED_PAD src0_sel:DWORD src1_sel:WORD_1
	v_bfe_u32 v12, v11, 19, 4
	v_sub_u32_e32 v13, 29, v13
	v_and_b32_e32 v14, 7, v14
	v_cmp_eq_u16_e32 vcc, 0, v10
	v_cndmask_b32_e32 v9, v9, v14, vcc
	v_cndmask_b32_e32 v10, v12, v13, vcc
	v_lshlrev_b32_e32 v12, 8, v11
	v_mov_b32_e32 v13, 0x3b800000
	v_lshlrev_b32_e32 v9, 20, v9
	v_and_b32_e32 v12, 0x80000000, v12
	v_lshl_add_u32 v10, v10, 23, v13
	v_or3_b32 v10, v12, v10, v9
.LBB52_1912:
	s_or_b64 exec, exec, s[6:7]
	s_nop 0
	v_mfma_f32_16x16x4f32 a[0:3], v8, v10, a[0:3]
	s_movk_i32 s4, 0x7f
	v_cmp_gt_i16_sdwa s[6:7], v15, s4 src0_sel:BYTE_3 src1_sel:DWORD
	s_mov_b64 s[4:5], 0
                                        ; implicit-def: $sgpr10
	s_and_saveexec_b64 s[8:9], s[6:7]
	s_xor_b64 s[6:7], exec, s[8:9]
	s_cbranch_execnz .LBB52_3961
; %bb.1913:
	s_or_saveexec_b64 s[6:7], s[6:7]
	v_mov_b32_e32 v8, s10
	s_xor_b64 exec, exec, s[6:7]
	s_cbranch_execnz .LBB52_3964
.LBB52_1914:
	s_or_b64 exec, exec, s[6:7]
	s_and_saveexec_b64 s[6:7], s[4:5]
	s_cbranch_execz .LBB52_1916
.LBB52_1915:
	v_bfe_u32 v8, v15, 24, 3
	v_ffbh_u32_e32 v13, v8
	v_min_u32_e32 v13, 32, v13
	v_lshrrev_b32_e32 v10, 27, v15
	v_subrev_u32_e32 v14, 28, v13
	v_and_b32_e32 v10, 15, v10
	v_lshlrev_b32_sdwa v14, v14, v15 dst_sel:DWORD dst_unused:UNUSED_PAD src0_sel:DWORD src1_sel:BYTE_3
	v_bfe_u32 v12, v15, 27, 4
	v_sub_u32_e32 v13, 29, v13
	v_and_b32_e32 v14, 7, v14
	v_cmp_eq_u16_e32 vcc, 0, v10
	v_cndmask_b32_e32 v8, v8, v14, vcc
	v_cndmask_b32_e32 v10, v12, v13, vcc
	v_mov_b32_e32 v12, 0x3b800000
	v_and_b32_e32 v9, 0x80000000, v15
	v_lshlrev_b32_e32 v8, 20, v8
	v_lshl_add_u32 v10, v10, 23, v12
	v_or3_b32 v8, v9, v10, v8
.LBB52_1916:
	s_or_b64 exec, exec, s[6:7]
	s_movk_i32 s4, 0x7f
	v_cmp_gt_i16_sdwa s[6:7], v11, s4 src0_sel:BYTE_3 src1_sel:DWORD
	s_mov_b64 s[4:5], 0
                                        ; implicit-def: $sgpr10
	s_and_saveexec_b64 s[8:9], s[6:7]
	s_xor_b64 s[6:7], exec, s[8:9]
	s_cbranch_execnz .LBB52_3965
; %bb.1917:
	s_or_saveexec_b64 s[6:7], s[6:7]
	v_mov_b32_e32 v9, s10
	s_xor_b64 exec, exec, s[6:7]
	s_cbranch_execnz .LBB52_3968
.LBB52_1918:
	s_or_b64 exec, exec, s[6:7]
	s_and_saveexec_b64 s[6:7], s[4:5]
	s_cbranch_execz .LBB52_1920
.LBB52_1919:
	v_bfe_u32 v9, v11, 24, 3
	v_ffbh_u32_e32 v14, v9
	v_min_u32_e32 v14, 32, v14
	v_lshrrev_b32_e32 v12, 27, v11
	v_subrev_u32_e32 v15, 28, v14
	v_and_b32_e32 v10, 0x80000000, v11
	v_and_b32_e32 v12, 15, v12
	v_bfe_u32 v13, v11, 27, 4
	v_lshlrev_b32_sdwa v11, v15, v11 dst_sel:DWORD dst_unused:UNUSED_PAD src0_sel:DWORD src1_sel:BYTE_3
	v_sub_u32_e32 v14, 29, v14
	v_and_b32_e32 v11, 7, v11
	v_cmp_eq_u16_e32 vcc, 0, v12
	v_cndmask_b32_e32 v9, v9, v11, vcc
	v_cndmask_b32_e32 v11, v13, v14, vcc
	v_mov_b32_e32 v12, 0x3b800000
	v_lshlrev_b32_e32 v9, 20, v9
	v_lshl_add_u32 v11, v11, 23, v12
	v_or3_b32 v9, v10, v11, v9
.LBB52_1920:
	s_or_b64 exec, exec, s[6:7]
	s_nop 0
	v_mfma_f32_16x16x4f32 a[0:3], v8, v9, a[0:3]
	s_movk_i32 s4, 0x7f
	v_cmp_gt_i16_sdwa s[6:7], v4, s4 src0_sel:BYTE_0 src1_sel:DWORD
	s_mov_b64 s[4:5], 0
                                        ; implicit-def: $sgpr10
	s_and_saveexec_b64 s[8:9], s[6:7]
	s_xor_b64 s[6:7], exec, s[8:9]
	s_cbranch_execnz .LBB52_3969
; %bb.1921:
	s_or_saveexec_b64 s[6:7], s[6:7]
	v_mov_b32_e32 v8, s10
	s_xor_b64 exec, exec, s[6:7]
	s_cbranch_execnz .LBB52_3972
.LBB52_1922:
	s_or_b64 exec, exec, s[6:7]
	s_and_saveexec_b64 s[6:7], s[4:5]
	s_cbranch_execz .LBB52_1924
.LBB52_1923:
	v_and_b32_e32 v8, 7, v4
	v_ffbh_u32_e32 v10, v8
	v_min_u32_e32 v10, 32, v10
	v_lshrrev_b16_e32 v9, 3, v4
	v_subrev_u32_e32 v11, 28, v10
	v_and_b32_e32 v9, 15, v9
	v_lshlrev_b32_e32 v11, v11, v4
	v_sub_u32_e32 v10, 29, v10
	v_and_b32_e32 v11, 7, v11
	v_cmp_eq_u16_e32 vcc, 0, v9
	v_cndmask_b32_e32 v8, v8, v11, vcc
	v_cndmask_b32_e32 v9, v9, v10, vcc
	v_lshlrev_b32_e32 v10, 24, v4
	v_mov_b32_e32 v11, 0x3b800000
	v_lshlrev_b32_e32 v8, 20, v8
	v_and_b32_e32 v10, 0x80000000, v10
	v_lshl_add_u32 v9, v9, 23, v11
	v_or3_b32 v8, v10, v9, v8
.LBB52_1924:
	s_or_b64 exec, exec, s[6:7]
	s_movk_i32 s4, 0x7f
	v_cmp_gt_i16_sdwa s[6:7], v0, s4 src0_sel:BYTE_0 src1_sel:DWORD
	s_mov_b64 s[4:5], 0
                                        ; implicit-def: $sgpr10
	s_and_saveexec_b64 s[8:9], s[6:7]
	s_xor_b64 s[6:7], exec, s[8:9]
	s_cbranch_execnz .LBB52_3973
; %bb.1925:
	s_or_saveexec_b64 s[6:7], s[6:7]
	v_mov_b32_e32 v9, s10
	s_xor_b64 exec, exec, s[6:7]
	s_cbranch_execnz .LBB52_3976
.LBB52_1926:
	s_or_b64 exec, exec, s[6:7]
	s_and_saveexec_b64 s[6:7], s[4:5]
	s_cbranch_execz .LBB52_1928
.LBB52_1927:
	v_and_b32_e32 v9, 7, v0
	v_ffbh_u32_e32 v11, v9
	v_min_u32_e32 v11, 32, v11
	v_lshrrev_b16_e32 v10, 3, v0
	v_subrev_u32_e32 v12, 28, v11
	v_and_b32_e32 v10, 15, v10
	v_lshlrev_b32_e32 v12, v12, v0
	v_sub_u32_e32 v11, 29, v11
	v_and_b32_e32 v12, 7, v12
	v_cmp_eq_u16_e32 vcc, 0, v10
	v_cndmask_b32_e32 v9, v9, v12, vcc
	v_cndmask_b32_e32 v10, v10, v11, vcc
	v_lshlrev_b32_e32 v11, 24, v0
	v_mov_b32_e32 v12, 0x3b800000
	v_lshlrev_b32_e32 v9, 20, v9
	v_and_b32_e32 v11, 0x80000000, v11
	v_lshl_add_u32 v10, v10, 23, v12
	v_or3_b32 v9, v11, v10, v9
.LBB52_1928:
	s_or_b64 exec, exec, s[6:7]
	s_nop 0
	v_mfma_f32_16x16x4f32 a[0:3], v8, v9, a[0:3]
	v_lshrrev_b32_e32 v9, 8, v4
	s_movk_i32 s4, 0x7f
	v_cmp_gt_i16_sdwa s[6:7], v9, s4 src0_sel:BYTE_0 src1_sel:DWORD
	s_mov_b64 s[4:5], 0
                                        ; implicit-def: $sgpr10
	s_and_saveexec_b64 s[8:9], s[6:7]
	s_xor_b64 s[6:7], exec, s[8:9]
	s_cbranch_execnz .LBB52_3977
; %bb.1929:
	s_or_saveexec_b64 s[6:7], s[6:7]
	v_mov_b32_e32 v8, s10
	s_xor_b64 exec, exec, s[6:7]
	s_cbranch_execnz .LBB52_3980
.LBB52_1930:
	s_or_b64 exec, exec, s[6:7]
	s_and_saveexec_b64 s[6:7], s[4:5]
	s_cbranch_execz .LBB52_1932
.LBB52_1931:
	v_bfe_u32 v8, v4, 8, 3
	v_ffbh_u32_e32 v11, v8
	v_min_u32_e32 v11, 32, v11
	v_lshrrev_b16_e32 v10, 3, v9
	v_subrev_u32_e32 v12, 28, v11
	v_and_b32_e32 v10, 15, v10
	v_lshlrev_b32_e32 v9, v12, v9
	v_sub_u32_e32 v11, 29, v11
	v_and_b32_e32 v9, 7, v9
	v_cmp_eq_u16_e32 vcc, 0, v10
	v_cndmask_b32_e32 v8, v8, v9, vcc
	v_cndmask_b32_e32 v9, v10, v11, vcc
	v_lshlrev_b32_e32 v10, 16, v4
	v_mov_b32_e32 v11, 0x3b800000
	v_lshlrev_b32_e32 v8, 20, v8
	v_and_b32_e32 v10, 0x80000000, v10
	v_lshl_add_u32 v9, v9, 23, v11
	v_or3_b32 v8, v10, v9, v8
.LBB52_1932:
	s_or_b64 exec, exec, s[6:7]
	v_lshrrev_b32_e32 v9, 8, v0
	s_movk_i32 s4, 0x7f
	v_cmp_gt_i16_sdwa s[6:7], v9, s4 src0_sel:BYTE_0 src1_sel:DWORD
	s_mov_b64 s[4:5], 0
                                        ; implicit-def: $sgpr10
	s_and_saveexec_b64 s[8:9], s[6:7]
	s_xor_b64 s[6:7], exec, s[8:9]
	s_cbranch_execnz .LBB52_3981
; %bb.1933:
	s_or_saveexec_b64 s[6:7], s[6:7]
	v_mov_b32_e32 v10, s10
	s_xor_b64 exec, exec, s[6:7]
	s_cbranch_execnz .LBB52_3984
.LBB52_1934:
	s_or_b64 exec, exec, s[6:7]
	s_and_saveexec_b64 s[6:7], s[4:5]
	s_cbranch_execz .LBB52_1936
.LBB52_1935:
	v_bfe_u32 v10, v0, 8, 3
	v_ffbh_u32_e32 v12, v10
	v_min_u32_e32 v12, 32, v12
	v_lshrrev_b16_e32 v11, 3, v9
	v_subrev_u32_e32 v13, 28, v12
	v_and_b32_e32 v11, 15, v11
	v_lshlrev_b32_e32 v9, v13, v9
	v_sub_u32_e32 v12, 29, v12
	v_and_b32_e32 v9, 7, v9
	v_cmp_eq_u16_e32 vcc, 0, v11
	v_cndmask_b32_e32 v9, v10, v9, vcc
	v_cndmask_b32_e32 v10, v11, v12, vcc
	v_lshlrev_b32_e32 v11, 16, v0
	v_mov_b32_e32 v12, 0x3b800000
	v_lshlrev_b32_e32 v9, 20, v9
	v_and_b32_e32 v11, 0x80000000, v11
	v_lshl_add_u32 v10, v10, 23, v12
	v_or3_b32 v10, v11, v10, v9
.LBB52_1936:
	s_or_b64 exec, exec, s[6:7]
	s_nop 0
	v_mfma_f32_16x16x4f32 a[0:3], v8, v10, a[0:3]
	s_movk_i32 s4, 0xff
	v_and_b32_sdwa v9, v4, s4 dst_sel:DWORD dst_unused:UNUSED_PAD src0_sel:WORD_1 src1_sel:DWORD
	s_movk_i32 s4, 0x7f
	v_cmp_lt_i16_e32 vcc, s4, v9
	s_mov_b64 s[4:5], 0
                                        ; implicit-def: $sgpr10
	s_and_saveexec_b64 s[6:7], vcc
	s_xor_b64 s[6:7], exec, s[6:7]
	s_cbranch_execnz .LBB52_3985
; %bb.1937:
	s_or_saveexec_b64 s[6:7], s[6:7]
	v_mov_b32_e32 v8, s10
	s_xor_b64 exec, exec, s[6:7]
	s_cbranch_execnz .LBB52_3988
.LBB52_1938:
	s_or_b64 exec, exec, s[6:7]
	s_and_saveexec_b64 s[6:7], s[4:5]
	s_cbranch_execz .LBB52_1940
.LBB52_1939:
	v_bfe_u32 v8, v4, 16, 3
	v_ffbh_u32_e32 v11, v8
	v_min_u32_e32 v11, 32, v11
	v_lshrrev_b32_e32 v9, 19, v4
	v_subrev_u32_e32 v12, 28, v11
	v_and_b32_e32 v9, 15, v9
	v_lshlrev_b32_sdwa v12, v12, v4 dst_sel:DWORD dst_unused:UNUSED_PAD src0_sel:DWORD src1_sel:WORD_1
	v_bfe_u32 v10, v4, 19, 4
	v_sub_u32_e32 v11, 29, v11
	v_and_b32_e32 v12, 7, v12
	v_cmp_eq_u16_e32 vcc, 0, v9
	v_cndmask_b32_e32 v8, v8, v12, vcc
	v_cndmask_b32_e32 v9, v10, v11, vcc
	v_lshlrev_b32_e32 v10, 8, v4
	v_mov_b32_e32 v11, 0x3b800000
	v_lshlrev_b32_e32 v8, 20, v8
	v_and_b32_e32 v10, 0x80000000, v10
	v_lshl_add_u32 v9, v9, 23, v11
	v_or3_b32 v8, v10, v9, v8
.LBB52_1940:
	s_or_b64 exec, exec, s[6:7]
	s_movk_i32 s4, 0xff
	v_and_b32_sdwa v9, v0, s4 dst_sel:DWORD dst_unused:UNUSED_PAD src0_sel:WORD_1 src1_sel:DWORD
	s_movk_i32 s4, 0x7f
	v_cmp_lt_i16_e32 vcc, s4, v9
	s_mov_b64 s[4:5], 0
                                        ; implicit-def: $sgpr10
	s_and_saveexec_b64 s[6:7], vcc
	s_xor_b64 s[6:7], exec, s[6:7]
	s_cbranch_execnz .LBB52_3989
; %bb.1941:
	s_or_saveexec_b64 s[6:7], s[6:7]
	v_mov_b32_e32 v10, s10
	s_xor_b64 exec, exec, s[6:7]
	s_cbranch_execnz .LBB52_3992
.LBB52_1942:
	s_or_b64 exec, exec, s[6:7]
	s_and_saveexec_b64 s[6:7], s[4:5]
	s_cbranch_execz .LBB52_1944
.LBB52_1943:
	v_bfe_u32 v9, v0, 16, 3
	v_ffbh_u32_e32 v12, v9
	v_min_u32_e32 v12, 32, v12
	v_lshrrev_b32_e32 v10, 19, v0
	v_subrev_u32_e32 v13, 28, v12
	v_and_b32_e32 v10, 15, v10
	v_lshlrev_b32_sdwa v13, v13, v0 dst_sel:DWORD dst_unused:UNUSED_PAD src0_sel:DWORD src1_sel:WORD_1
	v_bfe_u32 v11, v0, 19, 4
	v_sub_u32_e32 v12, 29, v12
	v_and_b32_e32 v13, 7, v13
	v_cmp_eq_u16_e32 vcc, 0, v10
	v_cndmask_b32_e32 v9, v9, v13, vcc
	v_cndmask_b32_e32 v10, v11, v12, vcc
	v_lshlrev_b32_e32 v11, 8, v0
	v_mov_b32_e32 v12, 0x3b800000
	v_lshlrev_b32_e32 v9, 20, v9
	v_and_b32_e32 v11, 0x80000000, v11
	v_lshl_add_u32 v10, v10, 23, v12
	v_or3_b32 v10, v11, v10, v9
.LBB52_1944:
	s_or_b64 exec, exec, s[6:7]
	s_nop 0
	v_mfma_f32_16x16x4f32 a[0:3], v8, v10, a[0:3]
	s_movk_i32 s4, 0x7f
	v_cmp_gt_i16_sdwa s[6:7], v4, s4 src0_sel:BYTE_3 src1_sel:DWORD
	s_mov_b64 s[4:5], 0
                                        ; implicit-def: $sgpr10
	s_and_saveexec_b64 s[8:9], s[6:7]
	s_xor_b64 s[6:7], exec, s[8:9]
	s_cbranch_execnz .LBB52_3993
; %bb.1945:
	s_or_saveexec_b64 s[6:7], s[6:7]
	v_mov_b32_e32 v8, s10
	s_xor_b64 exec, exec, s[6:7]
	s_cbranch_execnz .LBB52_3996
.LBB52_1946:
	s_or_b64 exec, exec, s[6:7]
	s_and_saveexec_b64 s[6:7], s[4:5]
	s_cbranch_execz .LBB52_1948
.LBB52_1947:
	v_bfe_u32 v8, v4, 24, 3
	v_ffbh_u32_e32 v12, v8
	v_min_u32_e32 v12, 32, v12
	v_lshrrev_b32_e32 v10, 27, v4
	v_subrev_u32_e32 v13, 28, v12
	v_and_b32_e32 v9, 0x80000000, v4
	v_and_b32_e32 v10, 15, v10
	v_bfe_u32 v11, v4, 27, 4
	v_lshlrev_b32_sdwa v4, v13, v4 dst_sel:DWORD dst_unused:UNUSED_PAD src0_sel:DWORD src1_sel:BYTE_3
	v_sub_u32_e32 v12, 29, v12
	v_and_b32_e32 v4, 7, v4
	v_cmp_eq_u16_e32 vcc, 0, v10
	v_cndmask_b32_e32 v4, v8, v4, vcc
	v_cndmask_b32_e32 v8, v11, v12, vcc
	v_mov_b32_e32 v10, 0x3b800000
	v_lshlrev_b32_e32 v4, 20, v4
	v_lshl_add_u32 v8, v8, 23, v10
	v_or3_b32 v8, v9, v8, v4
.LBB52_1948:
	s_or_b64 exec, exec, s[6:7]
	s_movk_i32 s4, 0x7f
	v_cmp_gt_i16_sdwa s[6:7], v0, s4 src0_sel:BYTE_3 src1_sel:DWORD
	s_mov_b64 s[4:5], 0
                                        ; implicit-def: $sgpr10
	s_and_saveexec_b64 s[8:9], s[6:7]
	s_xor_b64 s[6:7], exec, s[8:9]
	s_cbranch_execnz .LBB52_3997
; %bb.1949:
	s_or_saveexec_b64 s[6:7], s[6:7]
	v_mov_b32_e32 v4, s10
	s_xor_b64 exec, exec, s[6:7]
	s_cbranch_execnz .LBB52_4000
.LBB52_1950:
	s_or_b64 exec, exec, s[6:7]
	s_and_saveexec_b64 s[6:7], s[4:5]
	s_cbranch_execz .LBB52_1952
.LBB52_1951:
	v_bfe_u32 v4, v0, 24, 3
	v_ffbh_u32_e32 v12, v4
	v_min_u32_e32 v12, 32, v12
	v_lshrrev_b32_e32 v10, 27, v0
	v_subrev_u32_e32 v13, 28, v12
	v_and_b32_e32 v9, 0x80000000, v0
	v_and_b32_e32 v10, 15, v10
	v_bfe_u32 v11, v0, 27, 4
	v_lshlrev_b32_sdwa v0, v13, v0 dst_sel:DWORD dst_unused:UNUSED_PAD src0_sel:DWORD src1_sel:BYTE_3
	v_sub_u32_e32 v12, 29, v12
	v_and_b32_e32 v0, 7, v0
	v_cmp_eq_u16_e32 vcc, 0, v10
	v_cndmask_b32_e32 v0, v4, v0, vcc
	v_cndmask_b32_e32 v4, v11, v12, vcc
	v_mov_b32_e32 v10, 0x3b800000
	v_lshlrev_b32_e32 v0, 20, v0
	v_lshl_add_u32 v4, v4, 23, v10
	v_or3_b32 v4, v9, v4, v0
.LBB52_1952:
	s_or_b64 exec, exec, s[6:7]
	s_nop 0
	v_mfma_f32_16x16x4f32 a[0:3], v8, v4, a[0:3]
	s_movk_i32 s4, 0x7f
	v_cmp_gt_i16_sdwa s[6:7], v5, s4 src0_sel:BYTE_0 src1_sel:DWORD
	s_mov_b64 s[4:5], 0
                                        ; implicit-def: $sgpr10
	s_and_saveexec_b64 s[8:9], s[6:7]
	s_xor_b64 s[6:7], exec, s[8:9]
	s_cbranch_execnz .LBB52_4001
; %bb.1953:
	s_or_saveexec_b64 s[6:7], s[6:7]
	v_mov_b32_e32 v0, s10
	s_xor_b64 exec, exec, s[6:7]
	s_cbranch_execnz .LBB52_4004
.LBB52_1954:
	s_or_b64 exec, exec, s[6:7]
	s_and_saveexec_b64 s[6:7], s[4:5]
	s_cbranch_execz .LBB52_1956
.LBB52_1955:
	v_and_b32_e32 v0, 7, v5
	v_ffbh_u32_e32 v8, v0
	v_min_u32_e32 v8, 32, v8
	v_lshrrev_b16_e32 v4, 3, v5
	v_subrev_u32_e32 v9, 28, v8
	v_and_b32_e32 v4, 15, v4
	v_lshlrev_b32_e32 v9, v9, v5
	v_sub_u32_e32 v8, 29, v8
	v_and_b32_e32 v9, 7, v9
	v_cmp_eq_u16_e32 vcc, 0, v4
	v_cndmask_b32_e32 v0, v0, v9, vcc
	v_cndmask_b32_e32 v4, v4, v8, vcc
	v_lshlrev_b32_e32 v8, 24, v5
	v_mov_b32_e32 v9, 0x3b800000
	v_lshlrev_b32_e32 v0, 20, v0
	v_and_b32_e32 v8, 0x80000000, v8
	v_lshl_add_u32 v4, v4, 23, v9
	v_or3_b32 v0, v8, v4, v0
.LBB52_1956:
	s_or_b64 exec, exec, s[6:7]
	s_movk_i32 s4, 0x7f
	v_cmp_gt_i16_sdwa s[6:7], v1, s4 src0_sel:BYTE_0 src1_sel:DWORD
	s_mov_b64 s[4:5], 0
                                        ; implicit-def: $sgpr10
	s_and_saveexec_b64 s[8:9], s[6:7]
	s_xor_b64 s[6:7], exec, s[8:9]
	s_cbranch_execnz .LBB52_4005
; %bb.1957:
	s_or_saveexec_b64 s[6:7], s[6:7]
	v_mov_b32_e32 v4, s10
	s_xor_b64 exec, exec, s[6:7]
	s_cbranch_execnz .LBB52_4008
.LBB52_1958:
	s_or_b64 exec, exec, s[6:7]
	s_and_saveexec_b64 s[6:7], s[4:5]
	s_cbranch_execz .LBB52_1960
.LBB52_1959:
	v_and_b32_e32 v4, 7, v1
	v_ffbh_u32_e32 v9, v4
	v_min_u32_e32 v9, 32, v9
	v_lshrrev_b16_e32 v8, 3, v1
	v_subrev_u32_e32 v10, 28, v9
	v_and_b32_e32 v8, 15, v8
	v_lshlrev_b32_e32 v10, v10, v1
	v_sub_u32_e32 v9, 29, v9
	v_and_b32_e32 v10, 7, v10
	v_cmp_eq_u16_e32 vcc, 0, v8
	v_cndmask_b32_e32 v4, v4, v10, vcc
	v_cndmask_b32_e32 v8, v8, v9, vcc
	v_lshlrev_b32_e32 v9, 24, v1
	v_mov_b32_e32 v10, 0x3b800000
	v_lshlrev_b32_e32 v4, 20, v4
	v_and_b32_e32 v9, 0x80000000, v9
	v_lshl_add_u32 v8, v8, 23, v10
	v_or3_b32 v4, v9, v8, v4
.LBB52_1960:
	s_or_b64 exec, exec, s[6:7]
	s_nop 0
	v_mfma_f32_16x16x4f32 a[0:3], v0, v4, a[0:3]
	v_lshrrev_b32_e32 v4, 8, v5
	s_movk_i32 s4, 0x7f
	v_cmp_gt_i16_sdwa s[6:7], v4, s4 src0_sel:BYTE_0 src1_sel:DWORD
	s_mov_b64 s[4:5], 0
                                        ; implicit-def: $sgpr10
	s_and_saveexec_b64 s[8:9], s[6:7]
	s_xor_b64 s[6:7], exec, s[8:9]
	s_cbranch_execnz .LBB52_4009
; %bb.1961:
	s_or_saveexec_b64 s[6:7], s[6:7]
	v_mov_b32_e32 v0, s10
	s_xor_b64 exec, exec, s[6:7]
	s_cbranch_execnz .LBB52_4012
.LBB52_1962:
	s_or_b64 exec, exec, s[6:7]
	s_and_saveexec_b64 s[6:7], s[4:5]
	s_cbranch_execz .LBB52_1964
.LBB52_1963:
	v_bfe_u32 v0, v5, 8, 3
	v_ffbh_u32_e32 v9, v0
	v_min_u32_e32 v9, 32, v9
	v_lshrrev_b16_e32 v8, 3, v4
	v_subrev_u32_e32 v10, 28, v9
	v_and_b32_e32 v8, 15, v8
	v_lshlrev_b32_e32 v4, v10, v4
	v_sub_u32_e32 v9, 29, v9
	v_and_b32_e32 v4, 7, v4
	v_cmp_eq_u16_e32 vcc, 0, v8
	v_cndmask_b32_e32 v0, v0, v4, vcc
	v_cndmask_b32_e32 v4, v8, v9, vcc
	v_lshlrev_b32_e32 v8, 16, v5
	v_mov_b32_e32 v9, 0x3b800000
	v_lshlrev_b32_e32 v0, 20, v0
	v_and_b32_e32 v8, 0x80000000, v8
	v_lshl_add_u32 v4, v4, 23, v9
	v_or3_b32 v0, v8, v4, v0
.LBB52_1964:
	s_or_b64 exec, exec, s[6:7]
	v_lshrrev_b32_e32 v4, 8, v1
	s_movk_i32 s4, 0x7f
	v_cmp_gt_i16_sdwa s[6:7], v4, s4 src0_sel:BYTE_0 src1_sel:DWORD
	s_mov_b64 s[4:5], 0
                                        ; implicit-def: $sgpr10
	s_and_saveexec_b64 s[8:9], s[6:7]
	s_xor_b64 s[6:7], exec, s[8:9]
	s_cbranch_execnz .LBB52_4013
; %bb.1965:
	s_or_saveexec_b64 s[6:7], s[6:7]
	v_mov_b32_e32 v8, s10
	s_xor_b64 exec, exec, s[6:7]
	s_cbranch_execnz .LBB52_4016
.LBB52_1966:
	s_or_b64 exec, exec, s[6:7]
	s_and_saveexec_b64 s[6:7], s[4:5]
	s_cbranch_execz .LBB52_1968
.LBB52_1967:
	v_bfe_u32 v8, v1, 8, 3
	v_ffbh_u32_e32 v10, v8
	v_min_u32_e32 v10, 32, v10
	v_lshrrev_b16_e32 v9, 3, v4
	v_subrev_u32_e32 v11, 28, v10
	v_and_b32_e32 v9, 15, v9
	v_lshlrev_b32_e32 v4, v11, v4
	v_sub_u32_e32 v10, 29, v10
	v_and_b32_e32 v4, 7, v4
	v_cmp_eq_u16_e32 vcc, 0, v9
	v_cndmask_b32_e32 v4, v8, v4, vcc
	v_cndmask_b32_e32 v8, v9, v10, vcc
	v_lshlrev_b32_e32 v9, 16, v1
	v_mov_b32_e32 v10, 0x3b800000
	v_lshlrev_b32_e32 v4, 20, v4
	v_and_b32_e32 v9, 0x80000000, v9
	v_lshl_add_u32 v8, v8, 23, v10
	v_or3_b32 v8, v9, v8, v4
.LBB52_1968:
	s_or_b64 exec, exec, s[6:7]
	s_nop 0
	v_mfma_f32_16x16x4f32 a[0:3], v0, v8, a[0:3]
	s_movk_i32 s4, 0xff
	v_and_b32_sdwa v4, v5, s4 dst_sel:DWORD dst_unused:UNUSED_PAD src0_sel:WORD_1 src1_sel:DWORD
	s_movk_i32 s4, 0x7f
	v_cmp_lt_i16_e32 vcc, s4, v4
	s_mov_b64 s[4:5], 0
                                        ; implicit-def: $sgpr10
	s_and_saveexec_b64 s[6:7], vcc
	s_xor_b64 s[6:7], exec, s[6:7]
	s_cbranch_execnz .LBB52_4017
; %bb.1969:
	s_or_saveexec_b64 s[6:7], s[6:7]
	v_mov_b32_e32 v0, s10
	s_xor_b64 exec, exec, s[6:7]
	s_cbranch_execnz .LBB52_4020
.LBB52_1970:
	s_or_b64 exec, exec, s[6:7]
	s_and_saveexec_b64 s[6:7], s[4:5]
	s_cbranch_execz .LBB52_1972
.LBB52_1971:
	v_bfe_u32 v0, v5, 16, 3
	v_ffbh_u32_e32 v9, v0
	v_min_u32_e32 v9, 32, v9
	v_lshrrev_b32_e32 v4, 19, v5
	v_subrev_u32_e32 v10, 28, v9
	v_and_b32_e32 v4, 15, v4
	v_lshlrev_b32_sdwa v10, v10, v5 dst_sel:DWORD dst_unused:UNUSED_PAD src0_sel:DWORD src1_sel:WORD_1
	v_bfe_u32 v8, v5, 19, 4
	v_sub_u32_e32 v9, 29, v9
	v_and_b32_e32 v10, 7, v10
	v_cmp_eq_u16_e32 vcc, 0, v4
	v_cndmask_b32_e32 v0, v0, v10, vcc
	v_cndmask_b32_e32 v4, v8, v9, vcc
	v_lshlrev_b32_e32 v8, 8, v5
	v_mov_b32_e32 v9, 0x3b800000
	v_lshlrev_b32_e32 v0, 20, v0
	v_and_b32_e32 v8, 0x80000000, v8
	v_lshl_add_u32 v4, v4, 23, v9
	v_or3_b32 v0, v8, v4, v0
.LBB52_1972:
	s_or_b64 exec, exec, s[6:7]
	s_movk_i32 s4, 0xff
	v_and_b32_sdwa v4, v1, s4 dst_sel:DWORD dst_unused:UNUSED_PAD src0_sel:WORD_1 src1_sel:DWORD
	s_movk_i32 s4, 0x7f
	v_cmp_lt_i16_e32 vcc, s4, v4
	s_mov_b64 s[4:5], 0
                                        ; implicit-def: $sgpr10
	s_and_saveexec_b64 s[6:7], vcc
	s_xor_b64 s[6:7], exec, s[6:7]
	s_cbranch_execnz .LBB52_4021
; %bb.1973:
	s_or_saveexec_b64 s[6:7], s[6:7]
	v_mov_b32_e32 v8, s10
	s_xor_b64 exec, exec, s[6:7]
	s_cbranch_execnz .LBB52_4024
.LBB52_1974:
	s_or_b64 exec, exec, s[6:7]
	s_and_saveexec_b64 s[6:7], s[4:5]
	s_cbranch_execz .LBB52_1976
.LBB52_1975:
	v_bfe_u32 v4, v1, 16, 3
	v_ffbh_u32_e32 v10, v4
	v_min_u32_e32 v10, 32, v10
	v_lshrrev_b32_e32 v8, 19, v1
	v_subrev_u32_e32 v11, 28, v10
	v_and_b32_e32 v8, 15, v8
	v_lshlrev_b32_sdwa v11, v11, v1 dst_sel:DWORD dst_unused:UNUSED_PAD src0_sel:DWORD src1_sel:WORD_1
	v_bfe_u32 v9, v1, 19, 4
	v_sub_u32_e32 v10, 29, v10
	v_and_b32_e32 v11, 7, v11
	v_cmp_eq_u16_e32 vcc, 0, v8
	v_cndmask_b32_e32 v4, v4, v11, vcc
	v_cndmask_b32_e32 v8, v9, v10, vcc
	v_lshlrev_b32_e32 v9, 8, v1
	v_mov_b32_e32 v10, 0x3b800000
	v_lshlrev_b32_e32 v4, 20, v4
	v_and_b32_e32 v9, 0x80000000, v9
	v_lshl_add_u32 v8, v8, 23, v10
	v_or3_b32 v8, v9, v8, v4
.LBB52_1976:
	s_or_b64 exec, exec, s[6:7]
	s_nop 0
	v_mfma_f32_16x16x4f32 a[0:3], v0, v8, a[0:3]
	s_movk_i32 s4, 0x7f
	v_cmp_gt_i16_sdwa s[6:7], v5, s4 src0_sel:BYTE_3 src1_sel:DWORD
	s_mov_b64 s[4:5], 0
                                        ; implicit-def: $sgpr10
	s_and_saveexec_b64 s[8:9], s[6:7]
	s_xor_b64 s[6:7], exec, s[8:9]
	s_cbranch_execnz .LBB52_4025
; %bb.1977:
	s_or_saveexec_b64 s[6:7], s[6:7]
	v_mov_b32_e32 v0, s10
	s_xor_b64 exec, exec, s[6:7]
	s_cbranch_execnz .LBB52_4028
.LBB52_1978:
	s_or_b64 exec, exec, s[6:7]
	s_and_saveexec_b64 s[6:7], s[4:5]
	s_cbranch_execz .LBB52_1980
.LBB52_1979:
	v_bfe_u32 v0, v5, 24, 3
	v_ffbh_u32_e32 v10, v0
	v_min_u32_e32 v10, 32, v10
	v_lshrrev_b32_e32 v8, 27, v5
	v_subrev_u32_e32 v11, 28, v10
	v_and_b32_e32 v4, 0x80000000, v5
	v_and_b32_e32 v8, 15, v8
	v_bfe_u32 v9, v5, 27, 4
	v_lshlrev_b32_sdwa v5, v11, v5 dst_sel:DWORD dst_unused:UNUSED_PAD src0_sel:DWORD src1_sel:BYTE_3
	v_sub_u32_e32 v10, 29, v10
	v_and_b32_e32 v5, 7, v5
	v_cmp_eq_u16_e32 vcc, 0, v8
	v_cndmask_b32_e32 v0, v0, v5, vcc
	v_cndmask_b32_e32 v5, v9, v10, vcc
	v_mov_b32_e32 v8, 0x3b800000
	v_lshlrev_b32_e32 v0, 20, v0
	v_lshl_add_u32 v5, v5, 23, v8
	v_or3_b32 v0, v4, v5, v0
.LBB52_1980:
	s_or_b64 exec, exec, s[6:7]
	s_movk_i32 s4, 0x7f
	v_cmp_gt_i16_sdwa s[6:7], v1, s4 src0_sel:BYTE_3 src1_sel:DWORD
	s_mov_b64 s[4:5], 0
                                        ; implicit-def: $sgpr10
	s_and_saveexec_b64 s[8:9], s[6:7]
	s_xor_b64 s[6:7], exec, s[8:9]
	s_cbranch_execnz .LBB52_4029
; %bb.1981:
	s_or_saveexec_b64 s[6:7], s[6:7]
	v_mov_b32_e32 v4, s10
	s_xor_b64 exec, exec, s[6:7]
	s_cbranch_execnz .LBB52_4032
.LBB52_1982:
	s_or_b64 exec, exec, s[6:7]
	s_and_saveexec_b64 s[6:7], s[4:5]
	s_cbranch_execz .LBB52_1984
.LBB52_1983:
	v_bfe_u32 v4, v1, 24, 3
	v_ffbh_u32_e32 v10, v4
	v_min_u32_e32 v10, 32, v10
	v_lshrrev_b32_e32 v8, 27, v1
	v_subrev_u32_e32 v11, 28, v10
	v_and_b32_e32 v5, 0x80000000, v1
	v_and_b32_e32 v8, 15, v8
	v_bfe_u32 v9, v1, 27, 4
	v_lshlrev_b32_sdwa v1, v11, v1 dst_sel:DWORD dst_unused:UNUSED_PAD src0_sel:DWORD src1_sel:BYTE_3
	v_sub_u32_e32 v10, 29, v10
	v_and_b32_e32 v1, 7, v1
	v_cmp_eq_u16_e32 vcc, 0, v8
	v_cndmask_b32_e32 v1, v4, v1, vcc
	v_cndmask_b32_e32 v4, v9, v10, vcc
	v_mov_b32_e32 v8, 0x3b800000
	v_lshlrev_b32_e32 v1, 20, v1
	v_lshl_add_u32 v4, v4, 23, v8
	v_or3_b32 v4, v5, v4, v1
.LBB52_1984:
	s_or_b64 exec, exec, s[6:7]
	s_nop 0
	v_mfma_f32_16x16x4f32 a[0:3], v0, v4, a[0:3]
	s_movk_i32 s4, 0x7f
	v_cmp_gt_i16_sdwa s[6:7], v6, s4 src0_sel:BYTE_0 src1_sel:DWORD
	s_mov_b64 s[4:5], 0
                                        ; implicit-def: $sgpr10
	s_and_saveexec_b64 s[8:9], s[6:7]
	s_xor_b64 s[6:7], exec, s[8:9]
	s_cbranch_execnz .LBB52_4033
; %bb.1985:
	s_or_saveexec_b64 s[6:7], s[6:7]
	v_mov_b32_e32 v0, s10
	s_xor_b64 exec, exec, s[6:7]
	s_cbranch_execnz .LBB52_4036
.LBB52_1986:
	s_or_b64 exec, exec, s[6:7]
	s_and_saveexec_b64 s[6:7], s[4:5]
	s_cbranch_execz .LBB52_1988
.LBB52_1987:
	v_and_b32_e32 v0, 7, v6
	v_ffbh_u32_e32 v4, v0
	v_min_u32_e32 v4, 32, v4
	v_lshrrev_b16_e32 v1, 3, v6
	v_subrev_u32_e32 v5, 28, v4
	v_and_b32_e32 v1, 15, v1
	v_lshlrev_b32_e32 v5, v5, v6
	v_sub_u32_e32 v4, 29, v4
	v_and_b32_e32 v5, 7, v5
	v_cmp_eq_u16_e32 vcc, 0, v1
	v_cndmask_b32_e32 v0, v0, v5, vcc
	v_cndmask_b32_e32 v1, v1, v4, vcc
	v_lshlrev_b32_e32 v4, 24, v6
	v_mov_b32_e32 v5, 0x3b800000
	v_lshlrev_b32_e32 v0, 20, v0
	v_and_b32_e32 v4, 0x80000000, v4
	v_lshl_add_u32 v1, v1, 23, v5
	v_or3_b32 v0, v4, v1, v0
.LBB52_1988:
	s_or_b64 exec, exec, s[6:7]
	s_movk_i32 s4, 0x7f
	v_cmp_gt_i16_sdwa s[6:7], v2, s4 src0_sel:BYTE_0 src1_sel:DWORD
	s_mov_b64 s[4:5], 0
                                        ; implicit-def: $sgpr10
	s_and_saveexec_b64 s[8:9], s[6:7]
	s_xor_b64 s[6:7], exec, s[8:9]
	s_cbranch_execnz .LBB52_4037
; %bb.1989:
	s_or_saveexec_b64 s[6:7], s[6:7]
	v_mov_b32_e32 v1, s10
	s_xor_b64 exec, exec, s[6:7]
	s_cbranch_execnz .LBB52_4040
.LBB52_1990:
	s_or_b64 exec, exec, s[6:7]
	s_and_saveexec_b64 s[6:7], s[4:5]
	s_cbranch_execz .LBB52_1992
.LBB52_1991:
	v_and_b32_e32 v1, 7, v2
	v_ffbh_u32_e32 v5, v1
	v_min_u32_e32 v5, 32, v5
	v_lshrrev_b16_e32 v4, 3, v2
	v_subrev_u32_e32 v8, 28, v5
	v_and_b32_e32 v4, 15, v4
	v_lshlrev_b32_e32 v8, v8, v2
	v_sub_u32_e32 v5, 29, v5
	v_and_b32_e32 v8, 7, v8
	v_cmp_eq_u16_e32 vcc, 0, v4
	v_cndmask_b32_e32 v1, v1, v8, vcc
	v_cndmask_b32_e32 v4, v4, v5, vcc
	v_lshlrev_b32_e32 v5, 24, v2
	v_mov_b32_e32 v8, 0x3b800000
	v_lshlrev_b32_e32 v1, 20, v1
	v_and_b32_e32 v5, 0x80000000, v5
	v_lshl_add_u32 v4, v4, 23, v8
	v_or3_b32 v1, v5, v4, v1
.LBB52_1992:
	s_or_b64 exec, exec, s[6:7]
	s_nop 0
	v_mfma_f32_16x16x4f32 a[0:3], v0, v1, a[0:3]
	v_lshrrev_b32_e32 v1, 8, v6
	s_movk_i32 s4, 0x7f
	v_cmp_gt_i16_sdwa s[6:7], v1, s4 src0_sel:BYTE_0 src1_sel:DWORD
	s_mov_b64 s[4:5], 0
                                        ; implicit-def: $sgpr10
	s_and_saveexec_b64 s[8:9], s[6:7]
	s_xor_b64 s[6:7], exec, s[8:9]
	s_cbranch_execnz .LBB52_4041
; %bb.1993:
	s_or_saveexec_b64 s[6:7], s[6:7]
	v_mov_b32_e32 v0, s10
	s_xor_b64 exec, exec, s[6:7]
	s_cbranch_execnz .LBB52_4044
.LBB52_1994:
	s_or_b64 exec, exec, s[6:7]
	s_and_saveexec_b64 s[6:7], s[4:5]
	s_cbranch_execz .LBB52_1996
.LBB52_1995:
	v_bfe_u32 v0, v6, 8, 3
	v_ffbh_u32_e32 v5, v0
	v_min_u32_e32 v5, 32, v5
	v_lshrrev_b16_e32 v4, 3, v1
	v_subrev_u32_e32 v8, 28, v5
	v_and_b32_e32 v4, 15, v4
	v_lshlrev_b32_e32 v1, v8, v1
	v_sub_u32_e32 v5, 29, v5
	v_and_b32_e32 v1, 7, v1
	v_cmp_eq_u16_e32 vcc, 0, v4
	v_cndmask_b32_e32 v0, v0, v1, vcc
	v_cndmask_b32_e32 v1, v4, v5, vcc
	v_lshlrev_b32_e32 v4, 16, v6
	v_mov_b32_e32 v5, 0x3b800000
	v_lshlrev_b32_e32 v0, 20, v0
	v_and_b32_e32 v4, 0x80000000, v4
	v_lshl_add_u32 v1, v1, 23, v5
	v_or3_b32 v0, v4, v1, v0
.LBB52_1996:
	s_or_b64 exec, exec, s[6:7]
	v_lshrrev_b32_e32 v1, 8, v2
	s_movk_i32 s4, 0x7f
	v_cmp_gt_i16_sdwa s[6:7], v1, s4 src0_sel:BYTE_0 src1_sel:DWORD
	s_mov_b64 s[4:5], 0
                                        ; implicit-def: $sgpr10
	s_and_saveexec_b64 s[8:9], s[6:7]
	s_xor_b64 s[6:7], exec, s[8:9]
	s_cbranch_execnz .LBB52_4045
; %bb.1997:
	s_or_saveexec_b64 s[6:7], s[6:7]
	v_mov_b32_e32 v4, s10
	s_xor_b64 exec, exec, s[6:7]
	s_cbranch_execnz .LBB52_4048
.LBB52_1998:
	s_or_b64 exec, exec, s[6:7]
	s_and_saveexec_b64 s[6:7], s[4:5]
	s_cbranch_execz .LBB52_2000
.LBB52_1999:
	v_bfe_u32 v4, v2, 8, 3
	v_ffbh_u32_e32 v8, v4
	v_min_u32_e32 v8, 32, v8
	v_lshrrev_b16_e32 v5, 3, v1
	v_subrev_u32_e32 v9, 28, v8
	v_and_b32_e32 v5, 15, v5
	v_lshlrev_b32_e32 v1, v9, v1
	v_sub_u32_e32 v8, 29, v8
	v_and_b32_e32 v1, 7, v1
	v_cmp_eq_u16_e32 vcc, 0, v5
	v_cndmask_b32_e32 v1, v4, v1, vcc
	v_cndmask_b32_e32 v4, v5, v8, vcc
	v_lshlrev_b32_e32 v5, 16, v2
	v_mov_b32_e32 v8, 0x3b800000
	v_lshlrev_b32_e32 v1, 20, v1
	v_and_b32_e32 v5, 0x80000000, v5
	v_lshl_add_u32 v4, v4, 23, v8
	v_or3_b32 v4, v5, v4, v1
.LBB52_2000:
	s_or_b64 exec, exec, s[6:7]
	s_nop 0
	v_mfma_f32_16x16x4f32 a[0:3], v0, v4, a[0:3]
	s_movk_i32 s4, 0xff
	v_and_b32_sdwa v1, v6, s4 dst_sel:DWORD dst_unused:UNUSED_PAD src0_sel:WORD_1 src1_sel:DWORD
	s_movk_i32 s4, 0x7f
	v_cmp_lt_i16_e32 vcc, s4, v1
	s_mov_b64 s[4:5], 0
                                        ; implicit-def: $sgpr10
	s_and_saveexec_b64 s[6:7], vcc
	s_xor_b64 s[6:7], exec, s[6:7]
	s_cbranch_execnz .LBB52_4049
; %bb.2001:
	s_or_saveexec_b64 s[6:7], s[6:7]
	v_mov_b32_e32 v0, s10
	s_xor_b64 exec, exec, s[6:7]
	s_cbranch_execnz .LBB52_4052
.LBB52_2002:
	s_or_b64 exec, exec, s[6:7]
	s_and_saveexec_b64 s[6:7], s[4:5]
	s_cbranch_execz .LBB52_2004
.LBB52_2003:
	v_bfe_u32 v0, v6, 16, 3
	v_ffbh_u32_e32 v5, v0
	v_min_u32_e32 v5, 32, v5
	v_lshrrev_b32_e32 v1, 19, v6
	v_subrev_u32_e32 v8, 28, v5
	v_and_b32_e32 v1, 15, v1
	v_lshlrev_b32_sdwa v8, v8, v6 dst_sel:DWORD dst_unused:UNUSED_PAD src0_sel:DWORD src1_sel:WORD_1
	v_bfe_u32 v4, v6, 19, 4
	v_sub_u32_e32 v5, 29, v5
	v_and_b32_e32 v8, 7, v8
	v_cmp_eq_u16_e32 vcc, 0, v1
	v_cndmask_b32_e32 v0, v0, v8, vcc
	v_cndmask_b32_e32 v1, v4, v5, vcc
	v_lshlrev_b32_e32 v4, 8, v6
	v_mov_b32_e32 v5, 0x3b800000
	v_lshlrev_b32_e32 v0, 20, v0
	v_and_b32_e32 v4, 0x80000000, v4
	v_lshl_add_u32 v1, v1, 23, v5
	v_or3_b32 v0, v4, v1, v0
.LBB52_2004:
	s_or_b64 exec, exec, s[6:7]
	s_movk_i32 s4, 0xff
	v_and_b32_sdwa v1, v2, s4 dst_sel:DWORD dst_unused:UNUSED_PAD src0_sel:WORD_1 src1_sel:DWORD
	s_movk_i32 s4, 0x7f
	v_cmp_lt_i16_e32 vcc, s4, v1
	s_mov_b64 s[4:5], 0
                                        ; implicit-def: $sgpr10
	s_and_saveexec_b64 s[6:7], vcc
	s_xor_b64 s[6:7], exec, s[6:7]
	s_cbranch_execnz .LBB52_4053
; %bb.2005:
	s_or_saveexec_b64 s[6:7], s[6:7]
	v_mov_b32_e32 v4, s10
	s_xor_b64 exec, exec, s[6:7]
	s_cbranch_execnz .LBB52_4056
.LBB52_2006:
	s_or_b64 exec, exec, s[6:7]
	s_and_saveexec_b64 s[6:7], s[4:5]
	s_cbranch_execz .LBB52_2008
.LBB52_2007:
	v_bfe_u32 v1, v2, 16, 3
	v_ffbh_u32_e32 v8, v1
	v_min_u32_e32 v8, 32, v8
	v_lshrrev_b32_e32 v4, 19, v2
	v_subrev_u32_e32 v9, 28, v8
	v_and_b32_e32 v4, 15, v4
	v_lshlrev_b32_sdwa v9, v9, v2 dst_sel:DWORD dst_unused:UNUSED_PAD src0_sel:DWORD src1_sel:WORD_1
	v_bfe_u32 v5, v2, 19, 4
	v_sub_u32_e32 v8, 29, v8
	v_and_b32_e32 v9, 7, v9
	v_cmp_eq_u16_e32 vcc, 0, v4
	v_cndmask_b32_e32 v1, v1, v9, vcc
	v_cndmask_b32_e32 v4, v5, v8, vcc
	v_lshlrev_b32_e32 v5, 8, v2
	v_mov_b32_e32 v8, 0x3b800000
	v_lshlrev_b32_e32 v1, 20, v1
	v_and_b32_e32 v5, 0x80000000, v5
	v_lshl_add_u32 v4, v4, 23, v8
	v_or3_b32 v4, v5, v4, v1
.LBB52_2008:
	s_or_b64 exec, exec, s[6:7]
	s_nop 0
	v_mfma_f32_16x16x4f32 a[0:3], v0, v4, a[0:3]
	s_movk_i32 s4, 0x7f
	v_cmp_gt_i16_sdwa s[6:7], v6, s4 src0_sel:BYTE_3 src1_sel:DWORD
	s_mov_b64 s[4:5], 0
                                        ; implicit-def: $sgpr10
	s_and_saveexec_b64 s[8:9], s[6:7]
	s_xor_b64 s[6:7], exec, s[8:9]
	s_cbranch_execnz .LBB52_4057
; %bb.2009:
	s_or_saveexec_b64 s[6:7], s[6:7]
	v_mov_b32_e32 v0, s10
	s_xor_b64 exec, exec, s[6:7]
	s_cbranch_execnz .LBB52_4060
.LBB52_2010:
	s_or_b64 exec, exec, s[6:7]
	s_and_saveexec_b64 s[6:7], s[4:5]
	s_cbranch_execz .LBB52_2012
.LBB52_2011:
	v_bfe_u32 v0, v6, 24, 3
	v_ffbh_u32_e32 v8, v0
	v_min_u32_e32 v8, 32, v8
	v_lshrrev_b32_e32 v4, 27, v6
	v_subrev_u32_e32 v9, 28, v8
	v_and_b32_e32 v1, 0x80000000, v6
	v_and_b32_e32 v4, 15, v4
	v_bfe_u32 v5, v6, 27, 4
	v_lshlrev_b32_sdwa v6, v9, v6 dst_sel:DWORD dst_unused:UNUSED_PAD src0_sel:DWORD src1_sel:BYTE_3
	v_sub_u32_e32 v8, 29, v8
	v_and_b32_e32 v6, 7, v6
	v_cmp_eq_u16_e32 vcc, 0, v4
	v_cndmask_b32_e32 v0, v0, v6, vcc
	v_cndmask_b32_e32 v4, v5, v8, vcc
	v_mov_b32_e32 v5, 0x3b800000
	v_lshlrev_b32_e32 v0, 20, v0
	v_lshl_add_u32 v4, v4, 23, v5
	v_or3_b32 v0, v1, v4, v0
.LBB52_2012:
	s_or_b64 exec, exec, s[6:7]
	s_movk_i32 s4, 0x7f
	v_cmp_gt_i16_sdwa s[6:7], v2, s4 src0_sel:BYTE_3 src1_sel:DWORD
	s_mov_b64 s[4:5], 0
                                        ; implicit-def: $sgpr10
	s_and_saveexec_b64 s[8:9], s[6:7]
	s_xor_b64 s[6:7], exec, s[8:9]
	s_cbranch_execnz .LBB52_4061
; %bb.2013:
	s_or_saveexec_b64 s[6:7], s[6:7]
	v_mov_b32_e32 v1, s10
	s_xor_b64 exec, exec, s[6:7]
	s_cbranch_execnz .LBB52_4064
.LBB52_2014:
	s_or_b64 exec, exec, s[6:7]
	s_and_saveexec_b64 s[6:7], s[4:5]
	s_cbranch_execz .LBB52_2016
.LBB52_2015:
	v_bfe_u32 v1, v2, 24, 3
	v_ffbh_u32_e32 v8, v1
	v_min_u32_e32 v8, 32, v8
	v_lshrrev_b32_e32 v5, 27, v2
	v_subrev_u32_e32 v9, 28, v8
	v_and_b32_e32 v4, 0x80000000, v2
	v_and_b32_e32 v5, 15, v5
	v_bfe_u32 v6, v2, 27, 4
	v_lshlrev_b32_sdwa v2, v9, v2 dst_sel:DWORD dst_unused:UNUSED_PAD src0_sel:DWORD src1_sel:BYTE_3
	v_sub_u32_e32 v8, 29, v8
	v_and_b32_e32 v2, 7, v2
	v_cmp_eq_u16_e32 vcc, 0, v5
	v_cndmask_b32_e32 v1, v1, v2, vcc
	v_cndmask_b32_e32 v2, v6, v8, vcc
	v_mov_b32_e32 v5, 0x3b800000
	v_lshlrev_b32_e32 v1, 20, v1
	v_lshl_add_u32 v2, v2, 23, v5
	v_or3_b32 v1, v4, v2, v1
.LBB52_2016:
	s_or_b64 exec, exec, s[6:7]
	s_nop 0
	v_mfma_f32_16x16x4f32 a[0:3], v0, v1, a[0:3]
	s_movk_i32 s4, 0x7f
	v_cmp_gt_i16_sdwa s[6:7], v7, s4 src0_sel:BYTE_0 src1_sel:DWORD
	s_mov_b64 s[4:5], 0
                                        ; implicit-def: $sgpr10
	s_and_saveexec_b64 s[8:9], s[6:7]
	s_xor_b64 s[6:7], exec, s[8:9]
	s_cbranch_execnz .LBB52_4065
; %bb.2017:
	s_or_saveexec_b64 s[6:7], s[6:7]
	v_mov_b32_e32 v0, s10
	s_xor_b64 exec, exec, s[6:7]
	s_cbranch_execnz .LBB52_4068
.LBB52_2018:
	s_or_b64 exec, exec, s[6:7]
	s_and_saveexec_b64 s[6:7], s[4:5]
	s_cbranch_execz .LBB52_2020
.LBB52_2019:
	v_mov_b32_e32 v0, 8
	v_and_b32_e32 v1, 7, v7
	v_lshrrev_b32_sdwa v0, v0, v7 dst_sel:BYTE_1 dst_unused:UNUSED_PAD src0_sel:DWORD src1_sel:DWORD
	v_ffbh_u32_e32 v2, v1
	v_or_b32_sdwa v0, v7, v0 dst_sel:DWORD dst_unused:UNUSED_PAD src0_sel:BYTE_0 src1_sel:DWORD
	v_min_u32_e32 v2, 32, v2
	v_lshrrev_b16_e32 v0, 3, v0
	v_subrev_u32_e32 v4, 28, v2
	v_and_b32_e32 v0, 15, v0
	v_lshlrev_b32_e32 v4, v4, v7
	v_sub_u32_e32 v2, 29, v2
	v_and_b32_e32 v4, 7, v4
	v_cmp_eq_u16_e32 vcc, 0, v0
	v_cndmask_b32_e32 v1, v1, v4, vcc
	v_cndmask_b32_e32 v0, v0, v2, vcc
	v_lshlrev_b32_e32 v2, 24, v7
	v_mov_b32_e32 v4, 0x3b800000
	v_lshlrev_b32_e32 v1, 20, v1
	v_and_b32_e32 v2, 0x80000000, v2
	v_lshl_add_u32 v0, v0, 23, v4
	v_or3_b32 v0, v2, v0, v1
.LBB52_2020:
	s_or_b64 exec, exec, s[6:7]
	s_movk_i32 s4, 0x7f
	v_cmp_gt_i16_sdwa s[6:7], v3, s4 src0_sel:BYTE_0 src1_sel:DWORD
	s_mov_b64 s[4:5], 0
                                        ; implicit-def: $sgpr10
	s_and_saveexec_b64 s[8:9], s[6:7]
	s_xor_b64 s[6:7], exec, s[8:9]
	s_cbranch_execnz .LBB52_4069
; %bb.2021:
	s_or_saveexec_b64 s[6:7], s[6:7]
	v_mov_b32_e32 v1, s10
	s_xor_b64 exec, exec, s[6:7]
	s_cbranch_execnz .LBB52_4072
.LBB52_2022:
	s_or_b64 exec, exec, s[6:7]
	s_and_saveexec_b64 s[6:7], s[4:5]
	s_cbranch_execz .LBB52_2024
.LBB52_2023:
	v_mov_b32_e32 v1, 8
	v_and_b32_e32 v2, 7, v3
	v_lshrrev_b32_sdwa v1, v1, v3 dst_sel:BYTE_1 dst_unused:UNUSED_PAD src0_sel:DWORD src1_sel:DWORD
	v_ffbh_u32_e32 v4, v2
	v_or_b32_sdwa v1, v3, v1 dst_sel:DWORD dst_unused:UNUSED_PAD src0_sel:BYTE_0 src1_sel:DWORD
	v_min_u32_e32 v4, 32, v4
	v_lshrrev_b16_e32 v1, 3, v1
	v_subrev_u32_e32 v5, 28, v4
	v_and_b32_e32 v1, 15, v1
	v_lshlrev_b32_e32 v5, v5, v3
	v_sub_u32_e32 v4, 29, v4
	v_and_b32_e32 v5, 7, v5
	v_cmp_eq_u16_e32 vcc, 0, v1
	v_cndmask_b32_e32 v2, v2, v5, vcc
	v_cndmask_b32_e32 v1, v1, v4, vcc
	v_lshlrev_b32_e32 v4, 24, v3
	v_mov_b32_e32 v5, 0x3b800000
	v_lshlrev_b32_e32 v2, 20, v2
	v_and_b32_e32 v4, 0x80000000, v4
	v_lshl_add_u32 v1, v1, 23, v5
	v_or3_b32 v1, v4, v1, v2
.LBB52_2024:
	s_or_b64 exec, exec, s[6:7]
	s_nop 0
	v_mfma_f32_16x16x4f32 a[0:3], v0, v1, a[0:3]
	v_lshrrev_b32_e32 v1, 8, v7
	s_movk_i32 s4, 0x7f
	v_cmp_gt_i16_sdwa s[6:7], v1, s4 src0_sel:BYTE_0 src1_sel:DWORD
	s_mov_b64 s[4:5], 0
                                        ; implicit-def: $sgpr10
	s_and_saveexec_b64 s[8:9], s[6:7]
	s_xor_b64 s[6:7], exec, s[8:9]
	s_cbranch_execnz .LBB52_4073
; %bb.2025:
	s_or_saveexec_b64 s[6:7], s[6:7]
	v_mov_b32_e32 v0, s10
	s_xor_b64 exec, exec, s[6:7]
	s_cbranch_execnz .LBB52_4076
.LBB52_2026:
	s_or_b64 exec, exec, s[6:7]
	s_and_saveexec_b64 s[6:7], s[4:5]
	s_cbranch_execz .LBB52_2028
.LBB52_2027:
	v_bfe_u32 v0, v7, 8, 3
	v_ffbh_u32_e32 v4, v0
	v_min_u32_e32 v4, 32, v4
	v_lshrrev_b16_e32 v2, 3, v1
	v_subrev_u32_e32 v5, 28, v4
	v_and_b32_e32 v2, 15, v2
	v_lshlrev_b32_e32 v1, v5, v1
	v_sub_u32_e32 v4, 29, v4
	v_and_b32_e32 v1, 7, v1
	v_cmp_eq_u16_e32 vcc, 0, v2
	v_cndmask_b32_e32 v0, v0, v1, vcc
	v_cndmask_b32_e32 v1, v2, v4, vcc
	v_lshlrev_b32_e32 v2, 16, v7
	v_mov_b32_e32 v4, 0x3b800000
	v_lshlrev_b32_e32 v0, 20, v0
	v_and_b32_e32 v2, 0x80000000, v2
	v_lshl_add_u32 v1, v1, 23, v4
	v_or3_b32 v0, v2, v1, v0
.LBB52_2028:
	s_or_b64 exec, exec, s[6:7]
	v_lshrrev_b32_e32 v1, 8, v3
	s_movk_i32 s4, 0x7f
	v_cmp_gt_i16_sdwa s[6:7], v1, s4 src0_sel:BYTE_0 src1_sel:DWORD
	s_mov_b64 s[4:5], 0
                                        ; implicit-def: $sgpr10
	s_and_saveexec_b64 s[8:9], s[6:7]
	s_xor_b64 s[6:7], exec, s[8:9]
	s_cbranch_execnz .LBB52_4077
; %bb.2029:
	s_or_saveexec_b64 s[6:7], s[6:7]
	v_mov_b32_e32 v2, s10
	s_xor_b64 exec, exec, s[6:7]
	s_cbranch_execnz .LBB52_4080
.LBB52_2030:
	s_or_b64 exec, exec, s[6:7]
	s_and_saveexec_b64 s[6:7], s[4:5]
	s_cbranch_execz .LBB52_2032
.LBB52_2031:
	v_bfe_u32 v2, v3, 8, 3
	v_ffbh_u32_e32 v5, v2
	v_min_u32_e32 v5, 32, v5
	v_lshrrev_b16_e32 v4, 3, v1
	v_subrev_u32_e32 v6, 28, v5
	v_and_b32_e32 v4, 15, v4
	v_lshlrev_b32_e32 v1, v6, v1
	v_sub_u32_e32 v5, 29, v5
	v_and_b32_e32 v1, 7, v1
	v_cmp_eq_u16_e32 vcc, 0, v4
	v_cndmask_b32_e32 v1, v2, v1, vcc
	v_cndmask_b32_e32 v2, v4, v5, vcc
	v_lshlrev_b32_e32 v4, 16, v3
	v_mov_b32_e32 v5, 0x3b800000
	v_lshlrev_b32_e32 v1, 20, v1
	v_and_b32_e32 v4, 0x80000000, v4
	v_lshl_add_u32 v2, v2, 23, v5
	v_or3_b32 v2, v4, v2, v1
.LBB52_2032:
	s_or_b64 exec, exec, s[6:7]
	s_nop 0
	v_mfma_f32_16x16x4f32 a[0:3], v0, v2, a[0:3]
	s_movk_i32 s4, 0xff
	v_and_b32_sdwa v1, v7, s4 dst_sel:DWORD dst_unused:UNUSED_PAD src0_sel:WORD_1 src1_sel:DWORD
	s_movk_i32 s4, 0x7f
	v_cmp_lt_i16_e32 vcc, s4, v1
	s_mov_b64 s[4:5], 0
                                        ; implicit-def: $sgpr10
	s_and_saveexec_b64 s[6:7], vcc
	s_xor_b64 s[6:7], exec, s[6:7]
	s_cbranch_execnz .LBB52_4081
; %bb.2033:
	s_or_saveexec_b64 s[6:7], s[6:7]
	v_mov_b32_e32 v0, s10
	s_xor_b64 exec, exec, s[6:7]
	s_cbranch_execnz .LBB52_4084
.LBB52_2034:
	s_or_b64 exec, exec, s[6:7]
	s_and_saveexec_b64 s[6:7], s[4:5]
	s_cbranch_execz .LBB52_2036
.LBB52_2035:
	v_bfe_u32 v0, v7, 16, 3
	v_ffbh_u32_e32 v4, v0
	v_min_u32_e32 v4, 32, v4
	v_lshrrev_b32_e32 v1, 19, v7
	v_subrev_u32_e32 v5, 28, v4
	v_and_b32_e32 v1, 15, v1
	v_lshlrev_b32_sdwa v5, v5, v7 dst_sel:DWORD dst_unused:UNUSED_PAD src0_sel:DWORD src1_sel:WORD_1
	v_bfe_u32 v2, v7, 19, 4
	v_sub_u32_e32 v4, 29, v4
	v_and_b32_e32 v5, 7, v5
	v_cmp_eq_u16_e32 vcc, 0, v1
	v_cndmask_b32_e32 v0, v0, v5, vcc
	v_cndmask_b32_e32 v1, v2, v4, vcc
	v_lshlrev_b32_e32 v2, 8, v7
	v_mov_b32_e32 v4, 0x3b800000
	v_lshlrev_b32_e32 v0, 20, v0
	v_and_b32_e32 v2, 0x80000000, v2
	v_lshl_add_u32 v1, v1, 23, v4
	v_or3_b32 v0, v2, v1, v0
.LBB52_2036:
	s_or_b64 exec, exec, s[6:7]
	s_movk_i32 s4, 0xff
	v_and_b32_sdwa v1, v3, s4 dst_sel:DWORD dst_unused:UNUSED_PAD src0_sel:WORD_1 src1_sel:DWORD
	s_movk_i32 s4, 0x7f
	v_cmp_lt_i16_e32 vcc, s4, v1
	s_mov_b64 s[4:5], 0
                                        ; implicit-def: $sgpr10
	s_and_saveexec_b64 s[6:7], vcc
	s_xor_b64 s[6:7], exec, s[6:7]
	s_cbranch_execnz .LBB52_4085
; %bb.2037:
	s_or_saveexec_b64 s[6:7], s[6:7]
	v_mov_b32_e32 v2, s10
	s_xor_b64 exec, exec, s[6:7]
	s_cbranch_execnz .LBB52_4088
.LBB52_2038:
	s_or_b64 exec, exec, s[6:7]
	s_and_saveexec_b64 s[6:7], s[4:5]
	s_cbranch_execz .LBB52_2040
.LBB52_2039:
	v_bfe_u32 v1, v3, 16, 3
	v_ffbh_u32_e32 v5, v1
	v_min_u32_e32 v5, 32, v5
	v_lshrrev_b32_e32 v2, 19, v3
	v_subrev_u32_e32 v6, 28, v5
	v_and_b32_e32 v2, 15, v2
	v_lshlrev_b32_sdwa v6, v6, v3 dst_sel:DWORD dst_unused:UNUSED_PAD src0_sel:DWORD src1_sel:WORD_1
	v_bfe_u32 v4, v3, 19, 4
	v_sub_u32_e32 v5, 29, v5
	v_and_b32_e32 v6, 7, v6
	v_cmp_eq_u16_e32 vcc, 0, v2
	v_cndmask_b32_e32 v1, v1, v6, vcc
	v_cndmask_b32_e32 v2, v4, v5, vcc
	v_lshlrev_b32_e32 v4, 8, v3
	v_mov_b32_e32 v5, 0x3b800000
	v_lshlrev_b32_e32 v1, 20, v1
	v_and_b32_e32 v4, 0x80000000, v4
	v_lshl_add_u32 v2, v2, 23, v5
	v_or3_b32 v2, v4, v2, v1
.LBB52_2040:
	s_or_b64 exec, exec, s[6:7]
	s_nop 0
	v_mfma_f32_16x16x4f32 a[0:3], v0, v2, a[0:3]
	s_movk_i32 s4, 0x7f
	v_cmp_gt_i16_sdwa s[6:7], v7, s4 src0_sel:BYTE_3 src1_sel:DWORD
	s_mov_b64 s[4:5], 0
                                        ; implicit-def: $sgpr10
	s_and_saveexec_b64 s[8:9], s[6:7]
	s_xor_b64 s[6:7], exec, s[8:9]
	s_cbranch_execnz .LBB52_4089
; %bb.2041:
	s_or_saveexec_b64 s[6:7], s[6:7]
	v_mov_b32_e32 v0, s10
	s_xor_b64 exec, exec, s[6:7]
	s_cbranch_execnz .LBB52_4092
.LBB52_2042:
	s_or_b64 exec, exec, s[6:7]
	s_and_saveexec_b64 s[6:7], s[4:5]
	s_cbranch_execz .LBB52_2044
.LBB52_2043:
	v_bfe_u32 v0, v7, 24, 3
	v_ffbh_u32_e32 v5, v0
	v_min_u32_e32 v5, 32, v5
	v_lshrrev_b32_e32 v2, 27, v7
	v_subrev_u32_e32 v6, 28, v5
	v_and_b32_e32 v2, 15, v2
	v_lshlrev_b32_sdwa v6, v6, v7 dst_sel:DWORD dst_unused:UNUSED_PAD src0_sel:DWORD src1_sel:BYTE_3
	v_bfe_u32 v4, v7, 27, 4
	v_sub_u32_e32 v5, 29, v5
	v_and_b32_e32 v6, 7, v6
	v_cmp_eq_u16_e32 vcc, 0, v2
	v_cndmask_b32_e32 v0, v0, v6, vcc
	v_cndmask_b32_e32 v2, v4, v5, vcc
	v_mov_b32_e32 v4, 0x3b800000
	v_and_b32_e32 v1, 0x80000000, v7
	v_lshlrev_b32_e32 v0, 20, v0
	v_lshl_add_u32 v2, v2, 23, v4
	v_or3_b32 v0, v1, v2, v0
.LBB52_2044:
	s_or_b64 exec, exec, s[6:7]
	s_movk_i32 s4, 0x7f
	v_cmp_gt_i16_sdwa s[6:7], v3, s4 src0_sel:BYTE_3 src1_sel:DWORD
	s_mov_b64 s[4:5], 0
                                        ; implicit-def: $sgpr10
	s_and_saveexec_b64 s[8:9], s[6:7]
	s_xor_b64 s[6:7], exec, s[8:9]
	s_cbranch_execnz .LBB52_4093
; %bb.2045:
	s_or_saveexec_b64 s[6:7], s[6:7]
	v_mov_b32_e32 v1, s10
	s_xor_b64 exec, exec, s[6:7]
	s_cbranch_execnz .LBB52_4096
.LBB52_2046:
	s_or_b64 exec, exec, s[6:7]
	s_and_saveexec_b64 s[6:7], s[4:5]
	s_cbranch_execz .LBB52_2048
.LBB52_2047:
	v_bfe_u32 v1, v3, 24, 3
	v_ffbh_u32_e32 v6, v1
	v_min_u32_e32 v6, 32, v6
	v_lshrrev_b32_e32 v4, 27, v3
	v_subrev_u32_e32 v7, 28, v6
	v_and_b32_e32 v2, 0x80000000, v3
	v_and_b32_e32 v4, 15, v4
	v_bfe_u32 v5, v3, 27, 4
	v_lshlrev_b32_sdwa v3, v7, v3 dst_sel:DWORD dst_unused:UNUSED_PAD src0_sel:DWORD src1_sel:BYTE_3
	v_sub_u32_e32 v6, 29, v6
	v_and_b32_e32 v3, 7, v3
	v_cmp_eq_u16_e32 vcc, 0, v4
	v_cndmask_b32_e32 v1, v1, v3, vcc
	v_cndmask_b32_e32 v3, v5, v6, vcc
	v_mov_b32_e32 v4, 0x3b800000
	v_lshlrev_b32_e32 v1, 20, v1
	v_lshl_add_u32 v3, v3, 23, v4
	v_or3_b32 v1, v2, v3, v1
.LBB52_2048:
	s_or_b64 exec, exec, s[6:7]
	s_nop 0
	v_mfma_f32_16x16x4f32 a[0:3], v0, v1, a[0:3]
	s_nop 7
	s_nop 2
	flat_store_dwordx4 v[16:17], a[0:3] offset:112
	s_waitcnt vmcnt(0) lgkmcnt(0)
	s_setpc_b64 s[30:31]
.LBB52_2049:
	s_movk_i32 s4, 0x80
	v_cmp_eq_u16_sdwa s[12:13], v14, s4 src0_sel:BYTE_0 src1_sel:DWORD
	s_mov_b64 s[4:5], -1
                                        ; implicit-def: $sgpr10
	s_and_saveexec_b64 s[8:9], s[12:13]
; %bb.2050:
	s_mov_b32 s10, 0x7f800001
	s_xor_b64 s[4:5], exec, -1
; %bb.2051:
	s_or_b64 exec, exec, s[8:9]
	s_and_b64 s[4:5], s[4:5], exec
	s_or_saveexec_b64 s[6:7], s[6:7]
	v_mov_b32_e32 v20, s10
	s_xor_b64 exec, exec, s[6:7]
	s_cbranch_execz .LBB52_2
.LBB52_2052:
	v_mov_b32_e32 v20, 0
	v_cmp_ne_u16_sdwa s[8:9], v14, v20 src0_sel:BYTE_0 src1_sel:DWORD
	s_andn2_b64 s[4:5], s[4:5], exec
	s_and_b64 s[8:9], s[8:9], exec
	s_or_b64 s[4:5], s[4:5], s[8:9]
	s_or_b64 exec, exec, s[6:7]
	s_and_saveexec_b64 s[6:7], s[4:5]
	s_cbranch_execnz .LBB52_3
	s_branch .LBB52_4
.LBB52_2053:
	s_movk_i32 s4, 0x80
	v_cmp_eq_u16_sdwa s[12:13], v10, s4 src0_sel:BYTE_0 src1_sel:DWORD
	s_mov_b64 s[4:5], -1
                                        ; implicit-def: $sgpr10
	s_and_saveexec_b64 s[8:9], s[12:13]
; %bb.2054:
	s_mov_b32 s10, 0x7f800001
	s_xor_b64 s[4:5], exec, -1
; %bb.2055:
	s_or_b64 exec, exec, s[8:9]
	s_and_b64 s[4:5], s[4:5], exec
	s_or_saveexec_b64 s[6:7], s[6:7]
	v_mov_b32_e32 v21, s10
	s_xor_b64 exec, exec, s[6:7]
	s_cbranch_execz .LBB52_6
.LBB52_2056:
	v_mov_b32_e32 v21, 0
	v_cmp_ne_u16_sdwa s[8:9], v10, v21 src0_sel:BYTE_0 src1_sel:DWORD
	s_andn2_b64 s[4:5], s[4:5], exec
	s_and_b64 s[8:9], s[8:9], exec
	s_or_b64 s[4:5], s[4:5], s[8:9]
	s_or_b64 exec, exec, s[6:7]
	s_and_saveexec_b64 s[6:7], s[4:5]
	s_cbranch_execnz .LBB52_7
	s_branch .LBB52_8
.LBB52_2057:
	s_movk_i32 s4, 0x80
	v_cmp_eq_u16_sdwa s[12:13], v21, s4 src0_sel:BYTE_0 src1_sel:DWORD
	s_mov_b64 s[4:5], -1
                                        ; implicit-def: $sgpr10
	s_and_saveexec_b64 s[8:9], s[12:13]
; %bb.2058:
	s_mov_b32 s10, 0x7f800001
	s_xor_b64 s[4:5], exec, -1
; %bb.2059:
	s_or_b64 exec, exec, s[8:9]
	s_and_b64 s[4:5], s[4:5], exec
	s_or_saveexec_b64 s[6:7], s[6:7]
	v_mov_b32_e32 v20, s10
	s_xor_b64 exec, exec, s[6:7]
	s_cbranch_execz .LBB52_10
.LBB52_2060:
	v_mov_b32_e32 v20, 0
	v_cmp_ne_u16_sdwa s[8:9], v21, v20 src0_sel:BYTE_0 src1_sel:DWORD
	s_andn2_b64 s[4:5], s[4:5], exec
	s_and_b64 s[8:9], s[8:9], exec
	s_or_b64 s[4:5], s[4:5], s[8:9]
	s_or_b64 exec, exec, s[6:7]
	s_and_saveexec_b64 s[6:7], s[4:5]
	s_cbranch_execnz .LBB52_11
	s_branch .LBB52_12
.LBB52_2061:
	s_movk_i32 s4, 0x80
	v_cmp_eq_u16_sdwa s[12:13], v21, s4 src0_sel:BYTE_0 src1_sel:DWORD
	s_mov_b64 s[4:5], -1
                                        ; implicit-def: $sgpr10
	s_and_saveexec_b64 s[8:9], s[12:13]
; %bb.2062:
	s_mov_b32 s10, 0x7f800001
	s_xor_b64 s[4:5], exec, -1
; %bb.2063:
	s_or_b64 exec, exec, s[8:9]
	s_and_b64 s[4:5], s[4:5], exec
	s_or_saveexec_b64 s[6:7], s[6:7]
	v_mov_b32_e32 v22, s10
	s_xor_b64 exec, exec, s[6:7]
	s_cbranch_execz .LBB52_14
.LBB52_2064:
	v_mov_b32_e32 v22, 0
	v_cmp_ne_u16_sdwa s[8:9], v21, v22 src0_sel:BYTE_0 src1_sel:DWORD
	s_andn2_b64 s[4:5], s[4:5], exec
	s_and_b64 s[8:9], s[8:9], exec
	s_or_b64 s[4:5], s[4:5], s[8:9]
	s_or_b64 exec, exec, s[6:7]
	s_and_saveexec_b64 s[6:7], s[4:5]
	s_cbranch_execnz .LBB52_15
	s_branch .LBB52_16
.LBB52_2065:
	s_movk_i32 s4, 0x80
	v_cmp_eq_u16_e32 vcc, s4, v21
	s_mov_b64 s[4:5], -1
                                        ; implicit-def: $sgpr10
	s_and_saveexec_b64 s[8:9], vcc
; %bb.2066:
	s_mov_b32 s10, 0x7f800001
	s_xor_b64 s[4:5], exec, -1
; %bb.2067:
	s_or_b64 exec, exec, s[8:9]
	s_and_b64 s[4:5], s[4:5], exec
                                        ; implicit-def: $vgpr21
	s_or_saveexec_b64 s[6:7], s[6:7]
	v_mov_b32_e32 v20, s10
	s_xor_b64 exec, exec, s[6:7]
	s_cbranch_execz .LBB52_18
.LBB52_2068:
	v_cmp_ne_u16_e32 vcc, 0, v21
	s_andn2_b64 s[4:5], s[4:5], exec
	s_and_b64 s[8:9], vcc, exec
	v_mov_b32_e32 v20, 0
	s_or_b64 s[4:5], s[4:5], s[8:9]
	s_or_b64 exec, exec, s[6:7]
	s_and_saveexec_b64 s[6:7], s[4:5]
	s_cbranch_execnz .LBB52_19
	s_branch .LBB52_20
.LBB52_2069:
	s_movk_i32 s4, 0x80
	v_cmp_eq_u16_e32 vcc, s4, v21
	s_mov_b64 s[4:5], -1
                                        ; implicit-def: $sgpr10
	s_and_saveexec_b64 s[8:9], vcc
; %bb.2070:
	s_mov_b32 s10, 0x7f800001
	s_xor_b64 s[4:5], exec, -1
; %bb.2071:
	s_or_b64 exec, exec, s[8:9]
	s_and_b64 s[4:5], s[4:5], exec
                                        ; implicit-def: $vgpr21
	s_or_saveexec_b64 s[6:7], s[6:7]
	v_mov_b32_e32 v22, s10
	s_xor_b64 exec, exec, s[6:7]
	s_cbranch_execz .LBB52_22
.LBB52_2072:
	v_cmp_ne_u16_e32 vcc, 0, v21
	s_andn2_b64 s[4:5], s[4:5], exec
	s_and_b64 s[8:9], vcc, exec
	v_mov_b32_e32 v22, 0
	s_or_b64 s[4:5], s[4:5], s[8:9]
	s_or_b64 exec, exec, s[6:7]
	s_and_saveexec_b64 s[6:7], s[4:5]
	s_cbranch_execnz .LBB52_23
	s_branch .LBB52_24
.LBB52_2073:
	s_movk_i32 s4, 0x80
	v_cmp_eq_u16_sdwa s[12:13], v14, s4 src0_sel:BYTE_3 src1_sel:DWORD
	s_mov_b64 s[4:5], -1
                                        ; implicit-def: $sgpr10
	s_and_saveexec_b64 s[8:9], s[12:13]
; %bb.2074:
	s_mov_b32 s10, 0x7f800001
	s_xor_b64 s[4:5], exec, -1
; %bb.2075:
	s_or_b64 exec, exec, s[8:9]
	s_and_b64 s[4:5], s[4:5], exec
	s_or_saveexec_b64 s[6:7], s[6:7]
	v_mov_b32_e32 v20, s10
	s_xor_b64 exec, exec, s[6:7]
	s_cbranch_execz .LBB52_26
.LBB52_2076:
	v_mov_b32_e32 v20, 0
	v_cmp_ne_u16_sdwa s[8:9], v14, v20 src0_sel:BYTE_3 src1_sel:DWORD
	s_andn2_b64 s[4:5], s[4:5], exec
	s_and_b64 s[8:9], s[8:9], exec
	s_or_b64 s[4:5], s[4:5], s[8:9]
	s_or_b64 exec, exec, s[6:7]
	s_and_saveexec_b64 s[6:7], s[4:5]
	s_cbranch_execnz .LBB52_27
	s_branch .LBB52_28
.LBB52_2077:
	s_movk_i32 s4, 0x80
	v_cmp_eq_u16_sdwa s[12:13], v10, s4 src0_sel:BYTE_3 src1_sel:DWORD
	s_mov_b64 s[4:5], -1
                                        ; implicit-def: $sgpr10
	s_and_saveexec_b64 s[8:9], s[12:13]
; %bb.2078:
	s_mov_b32 s10, 0x7f800001
	s_xor_b64 s[4:5], exec, -1
; %bb.2079:
	s_or_b64 exec, exec, s[8:9]
	s_and_b64 s[4:5], s[4:5], exec
	s_or_saveexec_b64 s[6:7], s[6:7]
	v_mov_b32_e32 v14, s10
	s_xor_b64 exec, exec, s[6:7]
	s_cbranch_execz .LBB52_30
.LBB52_2080:
	v_mov_b32_e32 v14, 0
	v_cmp_ne_u16_sdwa s[8:9], v10, v14 src0_sel:BYTE_3 src1_sel:DWORD
	s_andn2_b64 s[4:5], s[4:5], exec
	s_and_b64 s[8:9], s[8:9], exec
	s_or_b64 s[4:5], s[4:5], s[8:9]
	s_or_b64 exec, exec, s[6:7]
	s_and_saveexec_b64 s[6:7], s[4:5]
	s_cbranch_execnz .LBB52_31
	s_branch .LBB52_32
.LBB52_2081:
	s_movk_i32 s4, 0x80
	v_cmp_eq_u16_sdwa s[12:13], v15, s4 src0_sel:BYTE_0 src1_sel:DWORD
	s_mov_b64 s[4:5], -1
                                        ; implicit-def: $sgpr10
	s_and_saveexec_b64 s[8:9], s[12:13]
; %bb.2082:
	s_mov_b32 s10, 0x7f800001
	s_xor_b64 s[4:5], exec, -1
; %bb.2083:
	s_or_b64 exec, exec, s[8:9]
	s_and_b64 s[4:5], s[4:5], exec
	s_or_saveexec_b64 s[6:7], s[6:7]
	v_mov_b32_e32 v10, s10
	s_xor_b64 exec, exec, s[6:7]
	s_cbranch_execz .LBB52_34
.LBB52_2084:
	v_mov_b32_e32 v10, 0
	v_cmp_ne_u16_sdwa s[8:9], v15, v10 src0_sel:BYTE_0 src1_sel:DWORD
	s_andn2_b64 s[4:5], s[4:5], exec
	s_and_b64 s[8:9], s[8:9], exec
	s_or_b64 s[4:5], s[4:5], s[8:9]
	s_or_b64 exec, exec, s[6:7]
	s_and_saveexec_b64 s[6:7], s[4:5]
	s_cbranch_execnz .LBB52_35
	s_branch .LBB52_36
.LBB52_2085:
	s_movk_i32 s4, 0x80
	v_cmp_eq_u16_sdwa s[12:13], v11, s4 src0_sel:BYTE_0 src1_sel:DWORD
	s_mov_b64 s[4:5], -1
                                        ; implicit-def: $sgpr10
	s_and_saveexec_b64 s[8:9], s[12:13]
; %bb.2086:
	s_mov_b32 s10, 0x7f800001
	s_xor_b64 s[4:5], exec, -1
; %bb.2087:
	s_or_b64 exec, exec, s[8:9]
	s_and_b64 s[4:5], s[4:5], exec
	s_or_saveexec_b64 s[6:7], s[6:7]
	v_mov_b32_e32 v14, s10
	s_xor_b64 exec, exec, s[6:7]
	s_cbranch_execz .LBB52_38
.LBB52_2088:
	v_mov_b32_e32 v14, 0
	v_cmp_ne_u16_sdwa s[8:9], v11, v14 src0_sel:BYTE_0 src1_sel:DWORD
	s_andn2_b64 s[4:5], s[4:5], exec
	s_and_b64 s[8:9], s[8:9], exec
	s_or_b64 s[4:5], s[4:5], s[8:9]
	s_or_b64 exec, exec, s[6:7]
	s_and_saveexec_b64 s[6:7], s[4:5]
	s_cbranch_execnz .LBB52_39
	s_branch .LBB52_40
.LBB52_2089:
	s_movk_i32 s4, 0x80
	v_cmp_eq_u16_sdwa s[12:13], v14, s4 src0_sel:BYTE_0 src1_sel:DWORD
	s_mov_b64 s[4:5], -1
                                        ; implicit-def: $sgpr10
	s_and_saveexec_b64 s[8:9], s[12:13]
; %bb.2090:
	s_mov_b32 s10, 0x7f800001
	s_xor_b64 s[4:5], exec, -1
; %bb.2091:
	s_or_b64 exec, exec, s[8:9]
	s_and_b64 s[4:5], s[4:5], exec
	s_or_saveexec_b64 s[6:7], s[6:7]
	v_mov_b32_e32 v10, s10
	s_xor_b64 exec, exec, s[6:7]
	s_cbranch_execz .LBB52_42
.LBB52_2092:
	v_mov_b32_e32 v10, 0
	v_cmp_ne_u16_sdwa s[8:9], v14, v10 src0_sel:BYTE_0 src1_sel:DWORD
	s_andn2_b64 s[4:5], s[4:5], exec
	s_and_b64 s[8:9], s[8:9], exec
	s_or_b64 s[4:5], s[4:5], s[8:9]
	s_or_b64 exec, exec, s[6:7]
	s_and_saveexec_b64 s[6:7], s[4:5]
	s_cbranch_execnz .LBB52_43
	s_branch .LBB52_44
.LBB52_2093:
	s_movk_i32 s4, 0x80
	v_cmp_eq_u16_sdwa s[12:13], v14, s4 src0_sel:BYTE_0 src1_sel:DWORD
	s_mov_b64 s[4:5], -1
                                        ; implicit-def: $sgpr10
	s_and_saveexec_b64 s[8:9], s[12:13]
; %bb.2094:
	s_mov_b32 s10, 0x7f800001
	s_xor_b64 s[4:5], exec, -1
; %bb.2095:
	s_or_b64 exec, exec, s[8:9]
	s_and_b64 s[4:5], s[4:5], exec
	s_or_saveexec_b64 s[6:7], s[6:7]
	v_mov_b32_e32 v20, s10
	s_xor_b64 exec, exec, s[6:7]
	s_cbranch_execz .LBB52_46
.LBB52_2096:
	v_mov_b32_e32 v20, 0
	v_cmp_ne_u16_sdwa s[8:9], v14, v20 src0_sel:BYTE_0 src1_sel:DWORD
	s_andn2_b64 s[4:5], s[4:5], exec
	s_and_b64 s[8:9], s[8:9], exec
	s_or_b64 s[4:5], s[4:5], s[8:9]
	s_or_b64 exec, exec, s[6:7]
	s_and_saveexec_b64 s[6:7], s[4:5]
	s_cbranch_execnz .LBB52_47
	s_branch .LBB52_48
.LBB52_2097:
	s_movk_i32 s4, 0x80
	v_cmp_eq_u16_e32 vcc, s4, v14
	s_mov_b64 s[4:5], -1
                                        ; implicit-def: $sgpr10
	s_and_saveexec_b64 s[8:9], vcc
; %bb.2098:
	s_mov_b32 s10, 0x7f800001
	s_xor_b64 s[4:5], exec, -1
; %bb.2099:
	s_or_b64 exec, exec, s[8:9]
	s_and_b64 s[4:5], s[4:5], exec
                                        ; implicit-def: $vgpr14
	s_or_saveexec_b64 s[6:7], s[6:7]
	v_mov_b32_e32 v10, s10
	s_xor_b64 exec, exec, s[6:7]
	s_cbranch_execz .LBB52_50
.LBB52_2100:
	v_cmp_ne_u16_e32 vcc, 0, v14
	s_andn2_b64 s[4:5], s[4:5], exec
	s_and_b64 s[8:9], vcc, exec
	v_mov_b32_e32 v10, 0
	s_or_b64 s[4:5], s[4:5], s[8:9]
	s_or_b64 exec, exec, s[6:7]
	s_and_saveexec_b64 s[6:7], s[4:5]
	s_cbranch_execnz .LBB52_51
	s_branch .LBB52_52
.LBB52_2101:
	s_movk_i32 s4, 0x80
	v_cmp_eq_u16_e32 vcc, s4, v14
	s_mov_b64 s[4:5], -1
                                        ; implicit-def: $sgpr10
	s_and_saveexec_b64 s[8:9], vcc
; %bb.2102:
	s_mov_b32 s10, 0x7f800001
	s_xor_b64 s[4:5], exec, -1
; %bb.2103:
	s_or_b64 exec, exec, s[8:9]
	s_and_b64 s[4:5], s[4:5], exec
                                        ; implicit-def: $vgpr14
	s_or_saveexec_b64 s[6:7], s[6:7]
	v_mov_b32_e32 v20, s10
	s_xor_b64 exec, exec, s[6:7]
	s_cbranch_execz .LBB52_54
.LBB52_2104:
	v_cmp_ne_u16_e32 vcc, 0, v14
	s_andn2_b64 s[4:5], s[4:5], exec
	s_and_b64 s[8:9], vcc, exec
	v_mov_b32_e32 v20, 0
	s_or_b64 s[4:5], s[4:5], s[8:9]
	s_or_b64 exec, exec, s[6:7]
	s_and_saveexec_b64 s[6:7], s[4:5]
	s_cbranch_execnz .LBB52_55
	s_branch .LBB52_56
.LBB52_2105:
	s_movk_i32 s4, 0x80
	v_cmp_eq_u16_sdwa s[12:13], v15, s4 src0_sel:BYTE_3 src1_sel:DWORD
	s_mov_b64 s[4:5], -1
                                        ; implicit-def: $sgpr10
	s_and_saveexec_b64 s[8:9], s[12:13]
; %bb.2106:
	s_mov_b32 s10, 0x7f800001
	s_xor_b64 s[4:5], exec, -1
; %bb.2107:
	s_or_b64 exec, exec, s[8:9]
	s_and_b64 s[4:5], s[4:5], exec
	s_or_saveexec_b64 s[6:7], s[6:7]
	v_mov_b32_e32 v10, s10
	s_xor_b64 exec, exec, s[6:7]
	s_cbranch_execz .LBB52_58
.LBB52_2108:
	v_mov_b32_e32 v10, 0
	v_cmp_ne_u16_sdwa s[8:9], v15, v10 src0_sel:BYTE_3 src1_sel:DWORD
	s_andn2_b64 s[4:5], s[4:5], exec
	s_and_b64 s[8:9], s[8:9], exec
	s_or_b64 s[4:5], s[4:5], s[8:9]
	s_or_b64 exec, exec, s[6:7]
	s_and_saveexec_b64 s[6:7], s[4:5]
	s_cbranch_execnz .LBB52_59
	s_branch .LBB52_60
.LBB52_2109:
	s_movk_i32 s4, 0x80
	v_cmp_eq_u16_sdwa s[12:13], v11, s4 src0_sel:BYTE_3 src1_sel:DWORD
	s_mov_b64 s[4:5], -1
                                        ; implicit-def: $sgpr10
	s_and_saveexec_b64 s[8:9], s[12:13]
; %bb.2110:
	s_mov_b32 s10, 0x7f800001
	s_xor_b64 s[4:5], exec, -1
; %bb.2111:
	s_or_b64 exec, exec, s[8:9]
	s_and_b64 s[4:5], s[4:5], exec
	s_or_saveexec_b64 s[6:7], s[6:7]
	v_mov_b32_e32 v14, s10
	s_xor_b64 exec, exec, s[6:7]
	s_cbranch_execz .LBB52_62
.LBB52_2112:
	v_mov_b32_e32 v14, 0
	v_cmp_ne_u16_sdwa s[8:9], v11, v14 src0_sel:BYTE_3 src1_sel:DWORD
	s_andn2_b64 s[4:5], s[4:5], exec
	s_and_b64 s[8:9], s[8:9], exec
	s_or_b64 s[4:5], s[4:5], s[8:9]
	s_or_b64 exec, exec, s[6:7]
	s_and_saveexec_b64 s[6:7], s[4:5]
	s_cbranch_execnz .LBB52_63
	s_branch .LBB52_64
.LBB52_2113:
	s_movk_i32 s4, 0x80
	v_cmp_eq_u16_sdwa s[12:13], v16, s4 src0_sel:BYTE_0 src1_sel:DWORD
	s_mov_b64 s[4:5], -1
                                        ; implicit-def: $sgpr10
	s_and_saveexec_b64 s[8:9], s[12:13]
; %bb.2114:
	s_mov_b32 s10, 0x7f800001
	s_xor_b64 s[4:5], exec, -1
; %bb.2115:
	s_or_b64 exec, exec, s[8:9]
	s_and_b64 s[4:5], s[4:5], exec
	s_or_saveexec_b64 s[6:7], s[6:7]
	v_mov_b32_e32 v10, s10
	s_xor_b64 exec, exec, s[6:7]
	s_cbranch_execz .LBB52_66
.LBB52_2116:
	v_mov_b32_e32 v10, 0
	v_cmp_ne_u16_sdwa s[8:9], v16, v10 src0_sel:BYTE_0 src1_sel:DWORD
	s_andn2_b64 s[4:5], s[4:5], exec
	s_and_b64 s[8:9], s[8:9], exec
	s_or_b64 s[4:5], s[4:5], s[8:9]
	s_or_b64 exec, exec, s[6:7]
	s_and_saveexec_b64 s[6:7], s[4:5]
	s_cbranch_execnz .LBB52_67
	s_branch .LBB52_68
.LBB52_2117:
	s_movk_i32 s4, 0x80
	v_cmp_eq_u16_sdwa s[12:13], v12, s4 src0_sel:BYTE_0 src1_sel:DWORD
	s_mov_b64 s[4:5], -1
                                        ; implicit-def: $sgpr10
	s_and_saveexec_b64 s[8:9], s[12:13]
; %bb.2118:
	s_mov_b32 s10, 0x7f800001
	s_xor_b64 s[4:5], exec, -1
; %bb.2119:
	s_or_b64 exec, exec, s[8:9]
	s_and_b64 s[4:5], s[4:5], exec
	s_or_saveexec_b64 s[6:7], s[6:7]
	v_mov_b32_e32 v11, s10
	s_xor_b64 exec, exec, s[6:7]
	s_cbranch_execz .LBB52_70
.LBB52_2120:
	v_mov_b32_e32 v11, 0
	v_cmp_ne_u16_sdwa s[8:9], v12, v11 src0_sel:BYTE_0 src1_sel:DWORD
	s_andn2_b64 s[4:5], s[4:5], exec
	s_and_b64 s[8:9], s[8:9], exec
	s_or_b64 s[4:5], s[4:5], s[8:9]
	s_or_b64 exec, exec, s[6:7]
	s_and_saveexec_b64 s[6:7], s[4:5]
	s_cbranch_execnz .LBB52_71
	s_branch .LBB52_72
.LBB52_2121:
	s_movk_i32 s4, 0x80
	v_cmp_eq_u16_sdwa s[12:13], v11, s4 src0_sel:BYTE_0 src1_sel:DWORD
	s_mov_b64 s[4:5], -1
                                        ; implicit-def: $sgpr10
	s_and_saveexec_b64 s[8:9], s[12:13]
; %bb.2122:
	s_mov_b32 s10, 0x7f800001
	s_xor_b64 s[4:5], exec, -1
; %bb.2123:
	s_or_b64 exec, exec, s[8:9]
	s_and_b64 s[4:5], s[4:5], exec
	s_or_saveexec_b64 s[6:7], s[6:7]
	v_mov_b32_e32 v10, s10
	s_xor_b64 exec, exec, s[6:7]
	s_cbranch_execz .LBB52_74
.LBB52_2124:
	v_mov_b32_e32 v10, 0
	v_cmp_ne_u16_sdwa s[8:9], v11, v10 src0_sel:BYTE_0 src1_sel:DWORD
	s_andn2_b64 s[4:5], s[4:5], exec
	s_and_b64 s[8:9], s[8:9], exec
	s_or_b64 s[4:5], s[4:5], s[8:9]
	s_or_b64 exec, exec, s[6:7]
	s_and_saveexec_b64 s[6:7], s[4:5]
	s_cbranch_execnz .LBB52_75
	s_branch .LBB52_76
.LBB52_2125:
	s_movk_i32 s4, 0x80
	v_cmp_eq_u16_sdwa s[12:13], v11, s4 src0_sel:BYTE_0 src1_sel:DWORD
	s_mov_b64 s[4:5], -1
                                        ; implicit-def: $sgpr10
	s_and_saveexec_b64 s[8:9], s[12:13]
; %bb.2126:
	s_mov_b32 s10, 0x7f800001
	s_xor_b64 s[4:5], exec, -1
; %bb.2127:
	s_or_b64 exec, exec, s[8:9]
	s_and_b64 s[4:5], s[4:5], exec
	s_or_saveexec_b64 s[6:7], s[6:7]
	v_mov_b32_e32 v14, s10
	s_xor_b64 exec, exec, s[6:7]
	s_cbranch_execz .LBB52_78
.LBB52_2128:
	v_mov_b32_e32 v14, 0
	v_cmp_ne_u16_sdwa s[8:9], v11, v14 src0_sel:BYTE_0 src1_sel:DWORD
	s_andn2_b64 s[4:5], s[4:5], exec
	s_and_b64 s[8:9], s[8:9], exec
	s_or_b64 s[4:5], s[4:5], s[8:9]
	s_or_b64 exec, exec, s[6:7]
	s_and_saveexec_b64 s[6:7], s[4:5]
	s_cbranch_execnz .LBB52_79
	s_branch .LBB52_80
.LBB52_2129:
	s_movk_i32 s4, 0x80
	v_cmp_eq_u16_e32 vcc, s4, v11
	s_mov_b64 s[4:5], -1
                                        ; implicit-def: $sgpr10
	s_and_saveexec_b64 s[8:9], vcc
; %bb.2130:
	s_mov_b32 s10, 0x7f800001
	s_xor_b64 s[4:5], exec, -1
; %bb.2131:
	s_or_b64 exec, exec, s[8:9]
	s_and_b64 s[4:5], s[4:5], exec
                                        ; implicit-def: $vgpr11
	s_or_saveexec_b64 s[6:7], s[6:7]
	v_mov_b32_e32 v10, s10
	s_xor_b64 exec, exec, s[6:7]
	s_cbranch_execz .LBB52_82
.LBB52_2132:
	v_cmp_ne_u16_e32 vcc, 0, v11
	s_andn2_b64 s[4:5], s[4:5], exec
	s_and_b64 s[8:9], vcc, exec
	v_mov_b32_e32 v10, 0
	s_or_b64 s[4:5], s[4:5], s[8:9]
	s_or_b64 exec, exec, s[6:7]
	s_and_saveexec_b64 s[6:7], s[4:5]
	s_cbranch_execnz .LBB52_83
	s_branch .LBB52_84
.LBB52_2133:
	s_movk_i32 s4, 0x80
	v_cmp_eq_u16_e32 vcc, s4, v11
	s_mov_b64 s[4:5], -1
                                        ; implicit-def: $sgpr10
	s_and_saveexec_b64 s[8:9], vcc
; %bb.2134:
	s_mov_b32 s10, 0x7f800001
	s_xor_b64 s[4:5], exec, -1
; %bb.2135:
	s_or_b64 exec, exec, s[8:9]
	s_and_b64 s[4:5], s[4:5], exec
                                        ; implicit-def: $vgpr11
	s_or_saveexec_b64 s[6:7], s[6:7]
	v_mov_b32_e32 v14, s10
	s_xor_b64 exec, exec, s[6:7]
	s_cbranch_execz .LBB52_86
.LBB52_2136:
	v_cmp_ne_u16_e32 vcc, 0, v11
	s_andn2_b64 s[4:5], s[4:5], exec
	s_and_b64 s[8:9], vcc, exec
	v_mov_b32_e32 v14, 0
	s_or_b64 s[4:5], s[4:5], s[8:9]
	s_or_b64 exec, exec, s[6:7]
	s_and_saveexec_b64 s[6:7], s[4:5]
	s_cbranch_execnz .LBB52_87
	s_branch .LBB52_88
.LBB52_2137:
	s_movk_i32 s4, 0x80
	v_cmp_eq_u16_sdwa s[12:13], v16, s4 src0_sel:BYTE_3 src1_sel:DWORD
	s_mov_b64 s[4:5], -1
                                        ; implicit-def: $sgpr10
	s_and_saveexec_b64 s[8:9], s[12:13]
; %bb.2138:
	s_mov_b32 s10, 0x7f800001
	s_xor_b64 s[4:5], exec, -1
; %bb.2139:
	s_or_b64 exec, exec, s[8:9]
	s_and_b64 s[4:5], s[4:5], exec
	s_or_saveexec_b64 s[6:7], s[6:7]
	v_mov_b32_e32 v10, s10
	s_xor_b64 exec, exec, s[6:7]
	s_cbranch_execz .LBB52_90
.LBB52_2140:
	v_mov_b32_e32 v10, 0
	v_cmp_ne_u16_sdwa s[8:9], v16, v10 src0_sel:BYTE_3 src1_sel:DWORD
	s_andn2_b64 s[4:5], s[4:5], exec
	s_and_b64 s[8:9], s[8:9], exec
	s_or_b64 s[4:5], s[4:5], s[8:9]
	s_or_b64 exec, exec, s[6:7]
	s_and_saveexec_b64 s[6:7], s[4:5]
	s_cbranch_execnz .LBB52_91
	s_branch .LBB52_92
.LBB52_2141:
	s_movk_i32 s4, 0x80
	v_cmp_eq_u16_sdwa s[12:13], v12, s4 src0_sel:BYTE_3 src1_sel:DWORD
	s_mov_b64 s[4:5], -1
                                        ; implicit-def: $sgpr10
	s_and_saveexec_b64 s[8:9], s[12:13]
; %bb.2142:
	s_mov_b32 s10, 0x7f800001
	s_xor_b64 s[4:5], exec, -1
; %bb.2143:
	s_or_b64 exec, exec, s[8:9]
	s_and_b64 s[4:5], s[4:5], exec
	s_or_saveexec_b64 s[6:7], s[6:7]
	v_mov_b32_e32 v11, s10
	s_xor_b64 exec, exec, s[6:7]
	s_cbranch_execz .LBB52_94
.LBB52_2144:
	v_mov_b32_e32 v11, 0
	v_cmp_ne_u16_sdwa s[8:9], v12, v11 src0_sel:BYTE_3 src1_sel:DWORD
	s_andn2_b64 s[4:5], s[4:5], exec
	s_and_b64 s[8:9], s[8:9], exec
	s_or_b64 s[4:5], s[4:5], s[8:9]
	s_or_b64 exec, exec, s[6:7]
	s_and_saveexec_b64 s[6:7], s[4:5]
	s_cbranch_execnz .LBB52_95
	s_branch .LBB52_96
.LBB52_2145:
	s_movk_i32 s4, 0x80
	v_cmp_eq_u16_sdwa s[12:13], v17, s4 src0_sel:BYTE_0 src1_sel:DWORD
	s_mov_b64 s[4:5], -1
                                        ; implicit-def: $sgpr10
	s_and_saveexec_b64 s[8:9], s[12:13]
; %bb.2146:
	s_mov_b32 s10, 0x7f800001
	s_xor_b64 s[4:5], exec, -1
; %bb.2147:
	s_or_b64 exec, exec, s[8:9]
	s_and_b64 s[4:5], s[4:5], exec
	s_or_saveexec_b64 s[6:7], s[6:7]
	v_mov_b32_e32 v10, s10
	s_xor_b64 exec, exec, s[6:7]
	s_cbranch_execz .LBB52_98
.LBB52_2148:
	v_mov_b32_e32 v10, 0
	v_cmp_ne_u16_sdwa s[8:9], v17, v10 src0_sel:BYTE_0 src1_sel:DWORD
	s_andn2_b64 s[4:5], s[4:5], exec
	s_and_b64 s[8:9], s[8:9], exec
	s_or_b64 s[4:5], s[4:5], s[8:9]
	s_or_b64 exec, exec, s[6:7]
	s_and_saveexec_b64 s[6:7], s[4:5]
	s_cbranch_execnz .LBB52_99
	s_branch .LBB52_100
.LBB52_2149:
	s_movk_i32 s4, 0x80
	v_cmp_eq_u16_sdwa s[12:13], v13, s4 src0_sel:BYTE_0 src1_sel:DWORD
	s_mov_b64 s[4:5], -1
                                        ; implicit-def: $sgpr10
	s_and_saveexec_b64 s[8:9], s[12:13]
; %bb.2150:
	s_mov_b32 s10, 0x7f800001
	s_xor_b64 s[4:5], exec, -1
; %bb.2151:
	s_or_b64 exec, exec, s[8:9]
	s_and_b64 s[4:5], s[4:5], exec
	s_or_saveexec_b64 s[6:7], s[6:7]
	v_mov_b32_e32 v11, s10
	s_xor_b64 exec, exec, s[6:7]
	s_cbranch_execz .LBB52_102
.LBB52_2152:
	v_mov_b32_e32 v11, 0
	v_cmp_ne_u16_sdwa s[8:9], v13, v11 src0_sel:BYTE_0 src1_sel:DWORD
	s_andn2_b64 s[4:5], s[4:5], exec
	s_and_b64 s[8:9], s[8:9], exec
	s_or_b64 s[4:5], s[4:5], s[8:9]
	s_or_b64 exec, exec, s[6:7]
	s_and_saveexec_b64 s[6:7], s[4:5]
	s_cbranch_execnz .LBB52_103
	s_branch .LBB52_104
.LBB52_2153:
	s_movk_i32 s4, 0x80
	v_cmp_eq_u16_sdwa s[12:13], v11, s4 src0_sel:BYTE_0 src1_sel:DWORD
	s_mov_b64 s[4:5], -1
                                        ; implicit-def: $sgpr10
	s_and_saveexec_b64 s[8:9], s[12:13]
; %bb.2154:
	s_mov_b32 s10, 0x7f800001
	s_xor_b64 s[4:5], exec, -1
; %bb.2155:
	s_or_b64 exec, exec, s[8:9]
	s_and_b64 s[4:5], s[4:5], exec
	s_or_saveexec_b64 s[6:7], s[6:7]
	v_mov_b32_e32 v10, s10
	s_xor_b64 exec, exec, s[6:7]
	s_cbranch_execz .LBB52_106
.LBB52_2156:
	v_mov_b32_e32 v10, 0
	v_cmp_ne_u16_sdwa s[8:9], v11, v10 src0_sel:BYTE_0 src1_sel:DWORD
	s_andn2_b64 s[4:5], s[4:5], exec
	s_and_b64 s[8:9], s[8:9], exec
	s_or_b64 s[4:5], s[4:5], s[8:9]
	s_or_b64 exec, exec, s[6:7]
	s_and_saveexec_b64 s[6:7], s[4:5]
	s_cbranch_execnz .LBB52_107
	s_branch .LBB52_108
.LBB52_2157:
	s_movk_i32 s4, 0x80
	v_cmp_eq_u16_sdwa s[12:13], v11, s4 src0_sel:BYTE_0 src1_sel:DWORD
	s_mov_b64 s[4:5], -1
                                        ; implicit-def: $sgpr10
	s_and_saveexec_b64 s[8:9], s[12:13]
; %bb.2158:
	s_mov_b32 s10, 0x7f800001
	s_xor_b64 s[4:5], exec, -1
; %bb.2159:
	s_or_b64 exec, exec, s[8:9]
	s_and_b64 s[4:5], s[4:5], exec
	s_or_saveexec_b64 s[6:7], s[6:7]
	v_mov_b32_e32 v12, s10
	s_xor_b64 exec, exec, s[6:7]
	s_cbranch_execz .LBB52_110
.LBB52_2160:
	v_mov_b32_e32 v12, 0
	v_cmp_ne_u16_sdwa s[8:9], v11, v12 src0_sel:BYTE_0 src1_sel:DWORD
	s_andn2_b64 s[4:5], s[4:5], exec
	s_and_b64 s[8:9], s[8:9], exec
	s_or_b64 s[4:5], s[4:5], s[8:9]
	s_or_b64 exec, exec, s[6:7]
	s_and_saveexec_b64 s[6:7], s[4:5]
	s_cbranch_execnz .LBB52_111
	s_branch .LBB52_112
.LBB52_2161:
	s_movk_i32 s4, 0x80
	v_cmp_eq_u16_e32 vcc, s4, v11
	s_mov_b64 s[4:5], -1
                                        ; implicit-def: $sgpr10
	s_and_saveexec_b64 s[8:9], vcc
; %bb.2162:
	s_mov_b32 s10, 0x7f800001
	s_xor_b64 s[4:5], exec, -1
; %bb.2163:
	s_or_b64 exec, exec, s[8:9]
	s_and_b64 s[4:5], s[4:5], exec
                                        ; implicit-def: $vgpr11
	s_or_saveexec_b64 s[6:7], s[6:7]
	v_mov_b32_e32 v10, s10
	s_xor_b64 exec, exec, s[6:7]
	s_cbranch_execz .LBB52_114
.LBB52_2164:
	v_cmp_ne_u16_e32 vcc, 0, v11
	s_andn2_b64 s[4:5], s[4:5], exec
	s_and_b64 s[8:9], vcc, exec
	v_mov_b32_e32 v10, 0
	s_or_b64 s[4:5], s[4:5], s[8:9]
	s_or_b64 exec, exec, s[6:7]
	s_and_saveexec_b64 s[6:7], s[4:5]
	s_cbranch_execnz .LBB52_115
	s_branch .LBB52_116
.LBB52_2165:
	s_movk_i32 s4, 0x80
	v_cmp_eq_u16_e32 vcc, s4, v11
	s_mov_b64 s[4:5], -1
                                        ; implicit-def: $sgpr10
	s_and_saveexec_b64 s[8:9], vcc
; %bb.2166:
	s_mov_b32 s10, 0x7f800001
	s_xor_b64 s[4:5], exec, -1
; %bb.2167:
	s_or_b64 exec, exec, s[8:9]
	s_and_b64 s[4:5], s[4:5], exec
                                        ; implicit-def: $vgpr11
	s_or_saveexec_b64 s[6:7], s[6:7]
	v_mov_b32_e32 v12, s10
	s_xor_b64 exec, exec, s[6:7]
	s_cbranch_execz .LBB52_118
.LBB52_2168:
	v_cmp_ne_u16_e32 vcc, 0, v11
	s_andn2_b64 s[4:5], s[4:5], exec
	s_and_b64 s[8:9], vcc, exec
	v_mov_b32_e32 v12, 0
	s_or_b64 s[4:5], s[4:5], s[8:9]
	s_or_b64 exec, exec, s[6:7]
	s_and_saveexec_b64 s[6:7], s[4:5]
	s_cbranch_execnz .LBB52_119
	s_branch .LBB52_120
.LBB52_2169:
	s_movk_i32 s4, 0x80
	v_cmp_eq_u16_sdwa s[12:13], v17, s4 src0_sel:BYTE_3 src1_sel:DWORD
	s_mov_b64 s[4:5], -1
                                        ; implicit-def: $sgpr10
	s_and_saveexec_b64 s[8:9], s[12:13]
; %bb.2170:
	s_mov_b32 s10, 0x7f800001
	s_xor_b64 s[4:5], exec, -1
; %bb.2171:
	s_or_b64 exec, exec, s[8:9]
	s_and_b64 s[4:5], s[4:5], exec
	s_or_saveexec_b64 s[6:7], s[6:7]
	v_mov_b32_e32 v10, s10
	s_xor_b64 exec, exec, s[6:7]
	s_cbranch_execz .LBB52_122
.LBB52_2172:
	v_mov_b32_e32 v10, 0
	v_cmp_ne_u16_sdwa s[8:9], v17, v10 src0_sel:BYTE_3 src1_sel:DWORD
	s_andn2_b64 s[4:5], s[4:5], exec
	s_and_b64 s[8:9], s[8:9], exec
	s_or_b64 s[4:5], s[4:5], s[8:9]
	s_or_b64 exec, exec, s[6:7]
	s_and_saveexec_b64 s[6:7], s[4:5]
	s_cbranch_execnz .LBB52_123
	s_branch .LBB52_124
.LBB52_2173:
	s_movk_i32 s4, 0x80
	v_cmp_eq_u16_sdwa s[12:13], v13, s4 src0_sel:BYTE_3 src1_sel:DWORD
	s_mov_b64 s[4:5], -1
                                        ; implicit-def: $sgpr10
	s_and_saveexec_b64 s[8:9], s[12:13]
; %bb.2174:
	s_mov_b32 s10, 0x7f800001
	s_xor_b64 s[4:5], exec, -1
; %bb.2175:
	s_or_b64 exec, exec, s[8:9]
	s_and_b64 s[4:5], s[4:5], exec
	s_or_saveexec_b64 s[6:7], s[6:7]
	v_mov_b32_e32 v11, s10
	s_xor_b64 exec, exec, s[6:7]
	s_cbranch_execz .LBB52_126
.LBB52_2176:
	v_mov_b32_e32 v11, 0
	v_cmp_ne_u16_sdwa s[8:9], v13, v11 src0_sel:BYTE_3 src1_sel:DWORD
	s_andn2_b64 s[4:5], s[4:5], exec
	s_and_b64 s[8:9], s[8:9], exec
	s_or_b64 s[4:5], s[4:5], s[8:9]
	s_or_b64 exec, exec, s[6:7]
	s_and_saveexec_b64 s[6:7], s[4:5]
	s_cbranch_execnz .LBB52_127
	s_branch .LBB52_128
.LBB52_2177:
	s_movk_i32 s4, 0x80
	v_cmp_eq_u16_sdwa s[12:13], v6, s4 src0_sel:BYTE_0 src1_sel:DWORD
	s_mov_b64 s[4:5], -1
                                        ; implicit-def: $sgpr10
	s_and_saveexec_b64 s[8:9], s[12:13]
; %bb.2178:
	s_mov_b32 s10, 0x7f800001
	s_xor_b64 s[4:5], exec, -1
; %bb.2179:
	s_or_b64 exec, exec, s[8:9]
	s_and_b64 s[4:5], s[4:5], exec
	s_or_saveexec_b64 s[6:7], s[6:7]
	v_mov_b32_e32 v10, s10
	s_xor_b64 exec, exec, s[6:7]
	s_cbranch_execz .LBB52_130
.LBB52_2180:
	v_mov_b32_e32 v10, 0
	v_cmp_ne_u16_sdwa s[8:9], v6, v10 src0_sel:BYTE_0 src1_sel:DWORD
	s_andn2_b64 s[4:5], s[4:5], exec
	s_and_b64 s[8:9], s[8:9], exec
	s_or_b64 s[4:5], s[4:5], s[8:9]
	s_or_b64 exec, exec, s[6:7]
	s_and_saveexec_b64 s[6:7], s[4:5]
	s_cbranch_execnz .LBB52_131
	s_branch .LBB52_132
.LBB52_2181:
	s_movk_i32 s4, 0x80
	v_cmp_eq_u16_sdwa s[12:13], v2, s4 src0_sel:BYTE_0 src1_sel:DWORD
	s_mov_b64 s[4:5], -1
                                        ; implicit-def: $sgpr10
	s_and_saveexec_b64 s[8:9], s[12:13]
; %bb.2182:
	s_mov_b32 s10, 0x7f800001
	s_xor_b64 s[4:5], exec, -1
; %bb.2183:
	s_or_b64 exec, exec, s[8:9]
	s_and_b64 s[4:5], s[4:5], exec
	s_or_saveexec_b64 s[6:7], s[6:7]
	v_mov_b32_e32 v11, s10
	s_xor_b64 exec, exec, s[6:7]
	s_cbranch_execz .LBB52_134
.LBB52_2184:
	v_mov_b32_e32 v11, 0
	v_cmp_ne_u16_sdwa s[8:9], v2, v11 src0_sel:BYTE_0 src1_sel:DWORD
	s_andn2_b64 s[4:5], s[4:5], exec
	s_and_b64 s[8:9], s[8:9], exec
	s_or_b64 s[4:5], s[4:5], s[8:9]
	s_or_b64 exec, exec, s[6:7]
	s_and_saveexec_b64 s[6:7], s[4:5]
	s_cbranch_execnz .LBB52_135
	s_branch .LBB52_136
.LBB52_2185:
	s_movk_i32 s4, 0x80
	v_cmp_eq_u16_sdwa s[12:13], v11, s4 src0_sel:BYTE_0 src1_sel:DWORD
	s_mov_b64 s[4:5], -1
                                        ; implicit-def: $sgpr10
	s_and_saveexec_b64 s[8:9], s[12:13]
; %bb.2186:
	s_mov_b32 s10, 0x7f800001
	s_xor_b64 s[4:5], exec, -1
; %bb.2187:
	s_or_b64 exec, exec, s[8:9]
	s_and_b64 s[4:5], s[4:5], exec
	s_or_saveexec_b64 s[6:7], s[6:7]
	v_mov_b32_e32 v10, s10
	s_xor_b64 exec, exec, s[6:7]
	s_cbranch_execz .LBB52_138
.LBB52_2188:
	v_mov_b32_e32 v10, 0
	v_cmp_ne_u16_sdwa s[8:9], v11, v10 src0_sel:BYTE_0 src1_sel:DWORD
	s_andn2_b64 s[4:5], s[4:5], exec
	s_and_b64 s[8:9], s[8:9], exec
	s_or_b64 s[4:5], s[4:5], s[8:9]
	s_or_b64 exec, exec, s[6:7]
	s_and_saveexec_b64 s[6:7], s[4:5]
	s_cbranch_execnz .LBB52_139
	s_branch .LBB52_140
.LBB52_2189:
	s_movk_i32 s4, 0x80
	v_cmp_eq_u16_sdwa s[12:13], v11, s4 src0_sel:BYTE_0 src1_sel:DWORD
	s_mov_b64 s[4:5], -1
                                        ; implicit-def: $sgpr10
	s_and_saveexec_b64 s[8:9], s[12:13]
; %bb.2190:
	s_mov_b32 s10, 0x7f800001
	s_xor_b64 s[4:5], exec, -1
; %bb.2191:
	s_or_b64 exec, exec, s[8:9]
	s_and_b64 s[4:5], s[4:5], exec
	s_or_saveexec_b64 s[6:7], s[6:7]
	v_mov_b32_e32 v12, s10
	s_xor_b64 exec, exec, s[6:7]
	s_cbranch_execz .LBB52_142
.LBB52_2192:
	v_mov_b32_e32 v12, 0
	v_cmp_ne_u16_sdwa s[8:9], v11, v12 src0_sel:BYTE_0 src1_sel:DWORD
	s_andn2_b64 s[4:5], s[4:5], exec
	s_and_b64 s[8:9], s[8:9], exec
	s_or_b64 s[4:5], s[4:5], s[8:9]
	s_or_b64 exec, exec, s[6:7]
	s_and_saveexec_b64 s[6:7], s[4:5]
	s_cbranch_execnz .LBB52_143
	s_branch .LBB52_144
.LBB52_2193:
	s_movk_i32 s4, 0x80
	v_cmp_eq_u16_e32 vcc, s4, v11
	s_mov_b64 s[4:5], -1
                                        ; implicit-def: $sgpr10
	s_and_saveexec_b64 s[8:9], vcc
; %bb.2194:
	s_mov_b32 s10, 0x7f800001
	s_xor_b64 s[4:5], exec, -1
; %bb.2195:
	s_or_b64 exec, exec, s[8:9]
	s_and_b64 s[4:5], s[4:5], exec
                                        ; implicit-def: $vgpr11
	s_or_saveexec_b64 s[6:7], s[6:7]
	v_mov_b32_e32 v10, s10
	s_xor_b64 exec, exec, s[6:7]
	s_cbranch_execz .LBB52_146
.LBB52_2196:
	v_cmp_ne_u16_e32 vcc, 0, v11
	s_andn2_b64 s[4:5], s[4:5], exec
	s_and_b64 s[8:9], vcc, exec
	v_mov_b32_e32 v10, 0
	s_or_b64 s[4:5], s[4:5], s[8:9]
	s_or_b64 exec, exec, s[6:7]
	s_and_saveexec_b64 s[6:7], s[4:5]
	s_cbranch_execnz .LBB52_147
	s_branch .LBB52_148
.LBB52_2197:
	s_movk_i32 s4, 0x80
	v_cmp_eq_u16_e32 vcc, s4, v11
	s_mov_b64 s[4:5], -1
                                        ; implicit-def: $sgpr10
	s_and_saveexec_b64 s[8:9], vcc
; %bb.2198:
	s_mov_b32 s10, 0x7f800001
	s_xor_b64 s[4:5], exec, -1
; %bb.2199:
	s_or_b64 exec, exec, s[8:9]
	s_and_b64 s[4:5], s[4:5], exec
                                        ; implicit-def: $vgpr11
	s_or_saveexec_b64 s[6:7], s[6:7]
	v_mov_b32_e32 v12, s10
	s_xor_b64 exec, exec, s[6:7]
	s_cbranch_execz .LBB52_150
.LBB52_2200:
	v_cmp_ne_u16_e32 vcc, 0, v11
	s_andn2_b64 s[4:5], s[4:5], exec
	s_and_b64 s[8:9], vcc, exec
	v_mov_b32_e32 v12, 0
	s_or_b64 s[4:5], s[4:5], s[8:9]
	s_or_b64 exec, exec, s[6:7]
	s_and_saveexec_b64 s[6:7], s[4:5]
	s_cbranch_execnz .LBB52_151
	s_branch .LBB52_152
.LBB52_2201:
	s_movk_i32 s4, 0x80
	v_cmp_eq_u16_sdwa s[12:13], v6, s4 src0_sel:BYTE_3 src1_sel:DWORD
	s_mov_b64 s[4:5], -1
                                        ; implicit-def: $sgpr10
	s_and_saveexec_b64 s[8:9], s[12:13]
; %bb.2202:
	s_mov_b32 s10, 0x7f800001
	s_xor_b64 s[4:5], exec, -1
; %bb.2203:
	s_or_b64 exec, exec, s[8:9]
	s_and_b64 s[4:5], s[4:5], exec
	s_or_saveexec_b64 s[6:7], s[6:7]
	v_mov_b32_e32 v10, s10
	s_xor_b64 exec, exec, s[6:7]
	s_cbranch_execz .LBB52_154
.LBB52_2204:
	v_mov_b32_e32 v10, 0
	v_cmp_ne_u16_sdwa s[8:9], v6, v10 src0_sel:BYTE_3 src1_sel:DWORD
	s_andn2_b64 s[4:5], s[4:5], exec
	s_and_b64 s[8:9], s[8:9], exec
	s_or_b64 s[4:5], s[4:5], s[8:9]
	s_or_b64 exec, exec, s[6:7]
	s_and_saveexec_b64 s[6:7], s[4:5]
	s_cbranch_execnz .LBB52_155
	s_branch .LBB52_156
.LBB52_2205:
	s_movk_i32 s4, 0x80
	v_cmp_eq_u16_sdwa s[12:13], v2, s4 src0_sel:BYTE_3 src1_sel:DWORD
	s_mov_b64 s[4:5], -1
                                        ; implicit-def: $sgpr10
	s_and_saveexec_b64 s[8:9], s[12:13]
; %bb.2206:
	s_mov_b32 s10, 0x7f800001
	s_xor_b64 s[4:5], exec, -1
; %bb.2207:
	s_or_b64 exec, exec, s[8:9]
	s_and_b64 s[4:5], s[4:5], exec
	s_or_saveexec_b64 s[6:7], s[6:7]
	v_mov_b32_e32 v6, s10
	s_xor_b64 exec, exec, s[6:7]
	s_cbranch_execz .LBB52_158
.LBB52_2208:
	v_mov_b32_e32 v6, 0
	v_cmp_ne_u16_sdwa s[8:9], v2, v6 src0_sel:BYTE_3 src1_sel:DWORD
	s_andn2_b64 s[4:5], s[4:5], exec
	s_and_b64 s[8:9], s[8:9], exec
	s_or_b64 s[4:5], s[4:5], s[8:9]
	s_or_b64 exec, exec, s[6:7]
	s_and_saveexec_b64 s[6:7], s[4:5]
	s_cbranch_execnz .LBB52_159
	s_branch .LBB52_160
.LBB52_2209:
	s_movk_i32 s4, 0x80
	v_cmp_eq_u16_sdwa s[12:13], v7, s4 src0_sel:BYTE_0 src1_sel:DWORD
	s_mov_b64 s[4:5], -1
                                        ; implicit-def: $sgpr10
	s_and_saveexec_b64 s[8:9], s[12:13]
; %bb.2210:
	s_mov_b32 s10, 0x7f800001
	s_xor_b64 s[4:5], exec, -1
; %bb.2211:
	s_or_b64 exec, exec, s[8:9]
	s_and_b64 s[4:5], s[4:5], exec
	s_or_saveexec_b64 s[6:7], s[6:7]
	v_mov_b32_e32 v2, s10
	s_xor_b64 exec, exec, s[6:7]
	s_cbranch_execz .LBB52_162
.LBB52_2212:
	v_mov_b32_e32 v2, 0
	v_cmp_ne_u16_sdwa s[8:9], v7, v2 src0_sel:BYTE_0 src1_sel:DWORD
	s_andn2_b64 s[4:5], s[4:5], exec
	s_and_b64 s[8:9], s[8:9], exec
	s_or_b64 s[4:5], s[4:5], s[8:9]
	s_or_b64 exec, exec, s[6:7]
	s_and_saveexec_b64 s[6:7], s[4:5]
	s_cbranch_execnz .LBB52_163
	s_branch .LBB52_164
.LBB52_2213:
	s_movk_i32 s4, 0x80
	v_cmp_eq_u16_sdwa s[12:13], v3, s4 src0_sel:BYTE_0 src1_sel:DWORD
	s_mov_b64 s[4:5], -1
                                        ; implicit-def: $sgpr10
	s_and_saveexec_b64 s[8:9], s[12:13]
; %bb.2214:
	s_mov_b32 s10, 0x7f800001
	s_xor_b64 s[4:5], exec, -1
; %bb.2215:
	s_or_b64 exec, exec, s[8:9]
	s_and_b64 s[4:5], s[4:5], exec
	s_or_saveexec_b64 s[6:7], s[6:7]
	v_mov_b32_e32 v6, s10
	s_xor_b64 exec, exec, s[6:7]
	s_cbranch_execz .LBB52_166
.LBB52_2216:
	v_mov_b32_e32 v6, 0
	v_cmp_ne_u16_sdwa s[8:9], v3, v6 src0_sel:BYTE_0 src1_sel:DWORD
	s_andn2_b64 s[4:5], s[4:5], exec
	s_and_b64 s[8:9], s[8:9], exec
	s_or_b64 s[4:5], s[4:5], s[8:9]
	s_or_b64 exec, exec, s[6:7]
	s_and_saveexec_b64 s[6:7], s[4:5]
	s_cbranch_execnz .LBB52_167
	s_branch .LBB52_168
.LBB52_2217:
	s_movk_i32 s4, 0x80
	v_cmp_eq_u16_sdwa s[12:13], v6, s4 src0_sel:BYTE_0 src1_sel:DWORD
	s_mov_b64 s[4:5], -1
                                        ; implicit-def: $sgpr10
	s_and_saveexec_b64 s[8:9], s[12:13]
; %bb.2218:
	s_mov_b32 s10, 0x7f800001
	s_xor_b64 s[4:5], exec, -1
; %bb.2219:
	s_or_b64 exec, exec, s[8:9]
	s_and_b64 s[4:5], s[4:5], exec
	s_or_saveexec_b64 s[6:7], s[6:7]
	v_mov_b32_e32 v2, s10
	s_xor_b64 exec, exec, s[6:7]
	s_cbranch_execz .LBB52_170
.LBB52_2220:
	v_mov_b32_e32 v2, 0
	v_cmp_ne_u16_sdwa s[8:9], v6, v2 src0_sel:BYTE_0 src1_sel:DWORD
	s_andn2_b64 s[4:5], s[4:5], exec
	s_and_b64 s[8:9], s[8:9], exec
	s_or_b64 s[4:5], s[4:5], s[8:9]
	s_or_b64 exec, exec, s[6:7]
	s_and_saveexec_b64 s[6:7], s[4:5]
	s_cbranch_execnz .LBB52_171
	s_branch .LBB52_172
.LBB52_2221:
	s_movk_i32 s4, 0x80
	v_cmp_eq_u16_sdwa s[12:13], v6, s4 src0_sel:BYTE_0 src1_sel:DWORD
	s_mov_b64 s[4:5], -1
                                        ; implicit-def: $sgpr10
	s_and_saveexec_b64 s[8:9], s[12:13]
; %bb.2222:
	s_mov_b32 s10, 0x7f800001
	s_xor_b64 s[4:5], exec, -1
; %bb.2223:
	s_or_b64 exec, exec, s[8:9]
	s_and_b64 s[4:5], s[4:5], exec
	s_or_saveexec_b64 s[6:7], s[6:7]
	v_mov_b32_e32 v10, s10
	s_xor_b64 exec, exec, s[6:7]
	s_cbranch_execz .LBB52_174
.LBB52_2224:
	v_mov_b32_e32 v10, 0
	v_cmp_ne_u16_sdwa s[8:9], v6, v10 src0_sel:BYTE_0 src1_sel:DWORD
	s_andn2_b64 s[4:5], s[4:5], exec
	s_and_b64 s[8:9], s[8:9], exec
	s_or_b64 s[4:5], s[4:5], s[8:9]
	s_or_b64 exec, exec, s[6:7]
	s_and_saveexec_b64 s[6:7], s[4:5]
	s_cbranch_execnz .LBB52_175
	s_branch .LBB52_176
.LBB52_2225:
	s_movk_i32 s4, 0x80
	v_cmp_eq_u16_e32 vcc, s4, v6
	s_mov_b64 s[4:5], -1
                                        ; implicit-def: $sgpr10
	s_and_saveexec_b64 s[8:9], vcc
; %bb.2226:
	s_mov_b32 s10, 0x7f800001
	s_xor_b64 s[4:5], exec, -1
; %bb.2227:
	s_or_b64 exec, exec, s[8:9]
	s_and_b64 s[4:5], s[4:5], exec
                                        ; implicit-def: $vgpr6
	s_or_saveexec_b64 s[6:7], s[6:7]
	v_mov_b32_e32 v2, s10
	s_xor_b64 exec, exec, s[6:7]
	s_cbranch_execz .LBB52_178
.LBB52_2228:
	v_cmp_ne_u16_e32 vcc, 0, v6
	s_andn2_b64 s[4:5], s[4:5], exec
	s_and_b64 s[8:9], vcc, exec
	v_mov_b32_e32 v2, 0
	s_or_b64 s[4:5], s[4:5], s[8:9]
	s_or_b64 exec, exec, s[6:7]
	s_and_saveexec_b64 s[6:7], s[4:5]
	s_cbranch_execnz .LBB52_179
	s_branch .LBB52_180
.LBB52_2229:
	s_movk_i32 s4, 0x80
	v_cmp_eq_u16_e32 vcc, s4, v6
	s_mov_b64 s[4:5], -1
                                        ; implicit-def: $sgpr10
	s_and_saveexec_b64 s[8:9], vcc
; %bb.2230:
	s_mov_b32 s10, 0x7f800001
	s_xor_b64 s[4:5], exec, -1
; %bb.2231:
	s_or_b64 exec, exec, s[8:9]
	s_and_b64 s[4:5], s[4:5], exec
                                        ; implicit-def: $vgpr6
	s_or_saveexec_b64 s[6:7], s[6:7]
	v_mov_b32_e32 v10, s10
	s_xor_b64 exec, exec, s[6:7]
	s_cbranch_execz .LBB52_182
.LBB52_2232:
	v_cmp_ne_u16_e32 vcc, 0, v6
	s_andn2_b64 s[4:5], s[4:5], exec
	s_and_b64 s[8:9], vcc, exec
	v_mov_b32_e32 v10, 0
	s_or_b64 s[4:5], s[4:5], s[8:9]
	s_or_b64 exec, exec, s[6:7]
	s_and_saveexec_b64 s[6:7], s[4:5]
	s_cbranch_execnz .LBB52_183
	s_branch .LBB52_184
.LBB52_2233:
	s_movk_i32 s4, 0x80
	v_cmp_eq_u16_sdwa s[12:13], v7, s4 src0_sel:BYTE_3 src1_sel:DWORD
	s_mov_b64 s[4:5], -1
                                        ; implicit-def: $sgpr10
	s_and_saveexec_b64 s[8:9], s[12:13]
; %bb.2234:
	s_mov_b32 s10, 0x7f800001
	s_xor_b64 s[4:5], exec, -1
; %bb.2235:
	s_or_b64 exec, exec, s[8:9]
	s_and_b64 s[4:5], s[4:5], exec
	s_or_saveexec_b64 s[6:7], s[6:7]
	v_mov_b32_e32 v2, s10
	s_xor_b64 exec, exec, s[6:7]
	s_cbranch_execz .LBB52_186
.LBB52_2236:
	v_mov_b32_e32 v2, 0
	v_cmp_ne_u16_sdwa s[8:9], v7, v2 src0_sel:BYTE_3 src1_sel:DWORD
	s_andn2_b64 s[4:5], s[4:5], exec
	s_and_b64 s[8:9], s[8:9], exec
	s_or_b64 s[4:5], s[4:5], s[8:9]
	s_or_b64 exec, exec, s[6:7]
	s_and_saveexec_b64 s[6:7], s[4:5]
	s_cbranch_execnz .LBB52_187
	s_branch .LBB52_188
.LBB52_2237:
	s_movk_i32 s4, 0x80
	v_cmp_eq_u16_sdwa s[12:13], v3, s4 src0_sel:BYTE_3 src1_sel:DWORD
	s_mov_b64 s[4:5], -1
                                        ; implicit-def: $sgpr10
	s_and_saveexec_b64 s[8:9], s[12:13]
; %bb.2238:
	s_mov_b32 s10, 0x7f800001
	s_xor_b64 s[4:5], exec, -1
; %bb.2239:
	s_or_b64 exec, exec, s[8:9]
	s_and_b64 s[4:5], s[4:5], exec
	s_or_saveexec_b64 s[6:7], s[6:7]
	v_mov_b32_e32 v6, s10
	s_xor_b64 exec, exec, s[6:7]
	s_cbranch_execz .LBB52_190
.LBB52_2240:
	v_mov_b32_e32 v6, 0
	v_cmp_ne_u16_sdwa s[8:9], v3, v6 src0_sel:BYTE_3 src1_sel:DWORD
	s_andn2_b64 s[4:5], s[4:5], exec
	s_and_b64 s[8:9], s[8:9], exec
	s_or_b64 s[4:5], s[4:5], s[8:9]
	s_or_b64 exec, exec, s[6:7]
	s_and_saveexec_b64 s[6:7], s[4:5]
	s_cbranch_execnz .LBB52_191
	s_branch .LBB52_192
.LBB52_2241:
	s_movk_i32 s4, 0x80
	v_cmp_eq_u16_sdwa s[12:13], v8, s4 src0_sel:BYTE_0 src1_sel:DWORD
	s_mov_b64 s[4:5], -1
                                        ; implicit-def: $sgpr10
	s_and_saveexec_b64 s[8:9], s[12:13]
; %bb.2242:
	s_mov_b32 s10, 0x7f800001
	s_xor_b64 s[4:5], exec, -1
; %bb.2243:
	s_or_b64 exec, exec, s[8:9]
	s_and_b64 s[4:5], s[4:5], exec
	s_or_saveexec_b64 s[6:7], s[6:7]
	v_mov_b32_e32 v2, s10
	s_xor_b64 exec, exec, s[6:7]
	s_cbranch_execz .LBB52_194
.LBB52_2244:
	v_mov_b32_e32 v2, 0
	v_cmp_ne_u16_sdwa s[8:9], v8, v2 src0_sel:BYTE_0 src1_sel:DWORD
	s_andn2_b64 s[4:5], s[4:5], exec
	s_and_b64 s[8:9], s[8:9], exec
	s_or_b64 s[4:5], s[4:5], s[8:9]
	s_or_b64 exec, exec, s[6:7]
	s_and_saveexec_b64 s[6:7], s[4:5]
	s_cbranch_execnz .LBB52_195
	s_branch .LBB52_196
.LBB52_2245:
	s_movk_i32 s4, 0x80
	v_cmp_eq_u16_sdwa s[12:13], v4, s4 src0_sel:BYTE_0 src1_sel:DWORD
	s_mov_b64 s[4:5], -1
                                        ; implicit-def: $sgpr10
	s_and_saveexec_b64 s[8:9], s[12:13]
; %bb.2246:
	s_mov_b32 s10, 0x7f800001
	s_xor_b64 s[4:5], exec, -1
; %bb.2247:
	s_or_b64 exec, exec, s[8:9]
	s_and_b64 s[4:5], s[4:5], exec
	s_or_saveexec_b64 s[6:7], s[6:7]
	v_mov_b32_e32 v3, s10
	s_xor_b64 exec, exec, s[6:7]
	s_cbranch_execz .LBB52_198
.LBB52_2248:
	v_mov_b32_e32 v3, 0
	v_cmp_ne_u16_sdwa s[8:9], v4, v3 src0_sel:BYTE_0 src1_sel:DWORD
	s_andn2_b64 s[4:5], s[4:5], exec
	s_and_b64 s[8:9], s[8:9], exec
	s_or_b64 s[4:5], s[4:5], s[8:9]
	s_or_b64 exec, exec, s[6:7]
	s_and_saveexec_b64 s[6:7], s[4:5]
	s_cbranch_execnz .LBB52_199
	s_branch .LBB52_200
.LBB52_2249:
	s_movk_i32 s4, 0x80
	v_cmp_eq_u16_sdwa s[12:13], v3, s4 src0_sel:BYTE_0 src1_sel:DWORD
	s_mov_b64 s[4:5], -1
                                        ; implicit-def: $sgpr10
	s_and_saveexec_b64 s[8:9], s[12:13]
; %bb.2250:
	s_mov_b32 s10, 0x7f800001
	s_xor_b64 s[4:5], exec, -1
; %bb.2251:
	s_or_b64 exec, exec, s[8:9]
	s_and_b64 s[4:5], s[4:5], exec
	s_or_saveexec_b64 s[6:7], s[6:7]
	v_mov_b32_e32 v2, s10
	s_xor_b64 exec, exec, s[6:7]
	s_cbranch_execz .LBB52_202
.LBB52_2252:
	v_mov_b32_e32 v2, 0
	v_cmp_ne_u16_sdwa s[8:9], v3, v2 src0_sel:BYTE_0 src1_sel:DWORD
	s_andn2_b64 s[4:5], s[4:5], exec
	s_and_b64 s[8:9], s[8:9], exec
	s_or_b64 s[4:5], s[4:5], s[8:9]
	s_or_b64 exec, exec, s[6:7]
	s_and_saveexec_b64 s[6:7], s[4:5]
	s_cbranch_execnz .LBB52_203
	s_branch .LBB52_204
.LBB52_2253:
	s_movk_i32 s4, 0x80
	v_cmp_eq_u16_sdwa s[12:13], v3, s4 src0_sel:BYTE_0 src1_sel:DWORD
	s_mov_b64 s[4:5], -1
                                        ; implicit-def: $sgpr10
	s_and_saveexec_b64 s[8:9], s[12:13]
; %bb.2254:
	s_mov_b32 s10, 0x7f800001
	s_xor_b64 s[4:5], exec, -1
; %bb.2255:
	s_or_b64 exec, exec, s[8:9]
	s_and_b64 s[4:5], s[4:5], exec
	s_or_saveexec_b64 s[6:7], s[6:7]
	v_mov_b32_e32 v6, s10
	s_xor_b64 exec, exec, s[6:7]
	s_cbranch_execz .LBB52_206
.LBB52_2256:
	v_mov_b32_e32 v6, 0
	v_cmp_ne_u16_sdwa s[8:9], v3, v6 src0_sel:BYTE_0 src1_sel:DWORD
	s_andn2_b64 s[4:5], s[4:5], exec
	s_and_b64 s[8:9], s[8:9], exec
	s_or_b64 s[4:5], s[4:5], s[8:9]
	s_or_b64 exec, exec, s[6:7]
	s_and_saveexec_b64 s[6:7], s[4:5]
	s_cbranch_execnz .LBB52_207
	s_branch .LBB52_208
.LBB52_2257:
	s_movk_i32 s4, 0x80
	v_cmp_eq_u16_e32 vcc, s4, v3
	s_mov_b64 s[4:5], -1
                                        ; implicit-def: $sgpr10
	s_and_saveexec_b64 s[8:9], vcc
; %bb.2258:
	s_mov_b32 s10, 0x7f800001
	s_xor_b64 s[4:5], exec, -1
; %bb.2259:
	s_or_b64 exec, exec, s[8:9]
	s_and_b64 s[4:5], s[4:5], exec
                                        ; implicit-def: $vgpr3
	s_or_saveexec_b64 s[6:7], s[6:7]
	v_mov_b32_e32 v2, s10
	s_xor_b64 exec, exec, s[6:7]
	s_cbranch_execz .LBB52_210
.LBB52_2260:
	v_cmp_ne_u16_e32 vcc, 0, v3
	s_andn2_b64 s[4:5], s[4:5], exec
	s_and_b64 s[8:9], vcc, exec
	v_mov_b32_e32 v2, 0
	s_or_b64 s[4:5], s[4:5], s[8:9]
	s_or_b64 exec, exec, s[6:7]
	s_and_saveexec_b64 s[6:7], s[4:5]
	s_cbranch_execnz .LBB52_211
	s_branch .LBB52_212
.LBB52_2261:
	s_movk_i32 s4, 0x80
	v_cmp_eq_u16_e32 vcc, s4, v3
	s_mov_b64 s[4:5], -1
                                        ; implicit-def: $sgpr10
	s_and_saveexec_b64 s[8:9], vcc
; %bb.2262:
	s_mov_b32 s10, 0x7f800001
	s_xor_b64 s[4:5], exec, -1
; %bb.2263:
	s_or_b64 exec, exec, s[8:9]
	s_and_b64 s[4:5], s[4:5], exec
                                        ; implicit-def: $vgpr3
	s_or_saveexec_b64 s[6:7], s[6:7]
	v_mov_b32_e32 v6, s10
	s_xor_b64 exec, exec, s[6:7]
	s_cbranch_execz .LBB52_214
.LBB52_2264:
	v_cmp_ne_u16_e32 vcc, 0, v3
	s_andn2_b64 s[4:5], s[4:5], exec
	s_and_b64 s[8:9], vcc, exec
	v_mov_b32_e32 v6, 0
	s_or_b64 s[4:5], s[4:5], s[8:9]
	s_or_b64 exec, exec, s[6:7]
	s_and_saveexec_b64 s[6:7], s[4:5]
	s_cbranch_execnz .LBB52_215
	s_branch .LBB52_216
.LBB52_2265:
	s_movk_i32 s4, 0x80
	v_cmp_eq_u16_sdwa s[12:13], v8, s4 src0_sel:BYTE_3 src1_sel:DWORD
	s_mov_b64 s[4:5], -1
                                        ; implicit-def: $sgpr10
	s_and_saveexec_b64 s[8:9], s[12:13]
; %bb.2266:
	s_mov_b32 s10, 0x7f800001
	s_xor_b64 s[4:5], exec, -1
; %bb.2267:
	s_or_b64 exec, exec, s[8:9]
	s_and_b64 s[4:5], s[4:5], exec
	s_or_saveexec_b64 s[6:7], s[6:7]
	v_mov_b32_e32 v2, s10
	s_xor_b64 exec, exec, s[6:7]
	s_cbranch_execz .LBB52_218
.LBB52_2268:
	v_mov_b32_e32 v2, 0
	v_cmp_ne_u16_sdwa s[8:9], v8, v2 src0_sel:BYTE_3 src1_sel:DWORD
	s_andn2_b64 s[4:5], s[4:5], exec
	s_and_b64 s[8:9], s[8:9], exec
	s_or_b64 s[4:5], s[4:5], s[8:9]
	s_or_b64 exec, exec, s[6:7]
	s_and_saveexec_b64 s[6:7], s[4:5]
	s_cbranch_execnz .LBB52_219
	s_branch .LBB52_220
.LBB52_2269:
	s_movk_i32 s4, 0x80
	v_cmp_eq_u16_sdwa s[12:13], v4, s4 src0_sel:BYTE_3 src1_sel:DWORD
	s_mov_b64 s[4:5], -1
                                        ; implicit-def: $sgpr10
	s_and_saveexec_b64 s[8:9], s[12:13]
; %bb.2270:
	s_mov_b32 s10, 0x7f800001
	s_xor_b64 s[4:5], exec, -1
; %bb.2271:
	s_or_b64 exec, exec, s[8:9]
	s_and_b64 s[4:5], s[4:5], exec
	s_or_saveexec_b64 s[6:7], s[6:7]
	v_mov_b32_e32 v3, s10
	s_xor_b64 exec, exec, s[6:7]
	s_cbranch_execz .LBB52_222
.LBB52_2272:
	v_mov_b32_e32 v3, 0
	v_cmp_ne_u16_sdwa s[8:9], v4, v3 src0_sel:BYTE_3 src1_sel:DWORD
	s_andn2_b64 s[4:5], s[4:5], exec
	s_and_b64 s[8:9], s[8:9], exec
	s_or_b64 s[4:5], s[4:5], s[8:9]
	s_or_b64 exec, exec, s[6:7]
	s_and_saveexec_b64 s[6:7], s[4:5]
	s_cbranch_execnz .LBB52_223
	s_branch .LBB52_224
.LBB52_2273:
	s_movk_i32 s4, 0x80
	v_cmp_eq_u16_sdwa s[12:13], v9, s4 src0_sel:BYTE_0 src1_sel:DWORD
	s_mov_b64 s[4:5], -1
                                        ; implicit-def: $sgpr10
	s_and_saveexec_b64 s[8:9], s[12:13]
; %bb.2274:
	s_mov_b32 s10, 0x7f800001
	s_xor_b64 s[4:5], exec, -1
; %bb.2275:
	s_or_b64 exec, exec, s[8:9]
	s_and_b64 s[4:5], s[4:5], exec
	s_or_saveexec_b64 s[6:7], s[6:7]
	v_mov_b32_e32 v2, s10
	s_xor_b64 exec, exec, s[6:7]
	s_cbranch_execz .LBB52_226
.LBB52_2276:
	v_mov_b32_e32 v2, 0
	v_cmp_ne_u16_sdwa s[8:9], v9, v2 src0_sel:BYTE_0 src1_sel:DWORD
	s_andn2_b64 s[4:5], s[4:5], exec
	s_and_b64 s[8:9], s[8:9], exec
	s_or_b64 s[4:5], s[4:5], s[8:9]
	s_or_b64 exec, exec, s[6:7]
	s_and_saveexec_b64 s[6:7], s[4:5]
	s_cbranch_execnz .LBB52_227
	s_branch .LBB52_228
.LBB52_2277:
	s_movk_i32 s4, 0x80
	v_cmp_eq_u16_sdwa s[12:13], v5, s4 src0_sel:BYTE_0 src1_sel:DWORD
	s_mov_b64 s[4:5], -1
                                        ; implicit-def: $sgpr10
	s_and_saveexec_b64 s[8:9], s[12:13]
; %bb.2278:
	s_mov_b32 s10, 0x7f800001
	s_xor_b64 s[4:5], exec, -1
; %bb.2279:
	s_or_b64 exec, exec, s[8:9]
	s_and_b64 s[4:5], s[4:5], exec
	s_or_saveexec_b64 s[6:7], s[6:7]
	v_mov_b32_e32 v3, s10
	s_xor_b64 exec, exec, s[6:7]
	s_cbranch_execz .LBB52_230
.LBB52_2280:
	v_mov_b32_e32 v3, 0
	v_cmp_ne_u16_sdwa s[8:9], v5, v3 src0_sel:BYTE_0 src1_sel:DWORD
	s_andn2_b64 s[4:5], s[4:5], exec
	s_and_b64 s[8:9], s[8:9], exec
	s_or_b64 s[4:5], s[4:5], s[8:9]
	s_or_b64 exec, exec, s[6:7]
	s_and_saveexec_b64 s[6:7], s[4:5]
	s_cbranch_execnz .LBB52_231
	s_branch .LBB52_232
.LBB52_2281:
	s_movk_i32 s4, 0x80
	v_cmp_eq_u16_sdwa s[12:13], v3, s4 src0_sel:BYTE_0 src1_sel:DWORD
	s_mov_b64 s[4:5], -1
                                        ; implicit-def: $sgpr10
	s_and_saveexec_b64 s[8:9], s[12:13]
; %bb.2282:
	s_mov_b32 s10, 0x7f800001
	s_xor_b64 s[4:5], exec, -1
; %bb.2283:
	s_or_b64 exec, exec, s[8:9]
	s_and_b64 s[4:5], s[4:5], exec
	s_or_saveexec_b64 s[6:7], s[6:7]
	v_mov_b32_e32 v2, s10
	s_xor_b64 exec, exec, s[6:7]
	s_cbranch_execz .LBB52_234
.LBB52_2284:
	v_mov_b32_e32 v2, 0
	v_cmp_ne_u16_sdwa s[8:9], v3, v2 src0_sel:BYTE_0 src1_sel:DWORD
	s_andn2_b64 s[4:5], s[4:5], exec
	s_and_b64 s[8:9], s[8:9], exec
	s_or_b64 s[4:5], s[4:5], s[8:9]
	s_or_b64 exec, exec, s[6:7]
	s_and_saveexec_b64 s[6:7], s[4:5]
	s_cbranch_execnz .LBB52_235
	s_branch .LBB52_236
.LBB52_2285:
	s_movk_i32 s4, 0x80
	v_cmp_eq_u16_sdwa s[12:13], v3, s4 src0_sel:BYTE_0 src1_sel:DWORD
	s_mov_b64 s[4:5], -1
                                        ; implicit-def: $sgpr10
	s_and_saveexec_b64 s[8:9], s[12:13]
; %bb.2286:
	s_mov_b32 s10, 0x7f800001
	s_xor_b64 s[4:5], exec, -1
; %bb.2287:
	s_or_b64 exec, exec, s[8:9]
	s_and_b64 s[4:5], s[4:5], exec
	s_or_saveexec_b64 s[6:7], s[6:7]
	v_mov_b32_e32 v4, s10
	s_xor_b64 exec, exec, s[6:7]
	s_cbranch_execz .LBB52_238
.LBB52_2288:
	v_mov_b32_e32 v4, 0
	v_cmp_ne_u16_sdwa s[8:9], v3, v4 src0_sel:BYTE_0 src1_sel:DWORD
	s_andn2_b64 s[4:5], s[4:5], exec
	s_and_b64 s[8:9], s[8:9], exec
	s_or_b64 s[4:5], s[4:5], s[8:9]
	s_or_b64 exec, exec, s[6:7]
	s_and_saveexec_b64 s[6:7], s[4:5]
	s_cbranch_execnz .LBB52_239
	s_branch .LBB52_240
.LBB52_2289:
	s_movk_i32 s4, 0x80
	v_cmp_eq_u16_e32 vcc, s4, v3
	s_mov_b64 s[4:5], -1
                                        ; implicit-def: $sgpr10
	s_and_saveexec_b64 s[8:9], vcc
; %bb.2290:
	s_mov_b32 s10, 0x7f800001
	s_xor_b64 s[4:5], exec, -1
; %bb.2291:
	s_or_b64 exec, exec, s[8:9]
	s_and_b64 s[4:5], s[4:5], exec
                                        ; implicit-def: $vgpr3
	s_or_saveexec_b64 s[6:7], s[6:7]
	v_mov_b32_e32 v2, s10
	s_xor_b64 exec, exec, s[6:7]
	s_cbranch_execz .LBB52_242
.LBB52_2292:
	v_cmp_ne_u16_e32 vcc, 0, v3
	s_andn2_b64 s[4:5], s[4:5], exec
	s_and_b64 s[8:9], vcc, exec
	v_mov_b32_e32 v2, 0
	s_or_b64 s[4:5], s[4:5], s[8:9]
	s_or_b64 exec, exec, s[6:7]
	s_and_saveexec_b64 s[6:7], s[4:5]
	s_cbranch_execnz .LBB52_243
	s_branch .LBB52_244
.LBB52_2293:
	s_movk_i32 s4, 0x80
	v_cmp_eq_u16_e32 vcc, s4, v3
	s_mov_b64 s[4:5], -1
                                        ; implicit-def: $sgpr10
	s_and_saveexec_b64 s[8:9], vcc
; %bb.2294:
	s_mov_b32 s10, 0x7f800001
	s_xor_b64 s[4:5], exec, -1
; %bb.2295:
	s_or_b64 exec, exec, s[8:9]
	s_and_b64 s[4:5], s[4:5], exec
                                        ; implicit-def: $vgpr3
	s_or_saveexec_b64 s[6:7], s[6:7]
	v_mov_b32_e32 v4, s10
	s_xor_b64 exec, exec, s[6:7]
	s_cbranch_execz .LBB52_246
.LBB52_2296:
	v_cmp_ne_u16_e32 vcc, 0, v3
	s_andn2_b64 s[4:5], s[4:5], exec
	s_and_b64 s[8:9], vcc, exec
	v_mov_b32_e32 v4, 0
	s_or_b64 s[4:5], s[4:5], s[8:9]
	s_or_b64 exec, exec, s[6:7]
	s_and_saveexec_b64 s[6:7], s[4:5]
	s_cbranch_execnz .LBB52_247
	s_branch .LBB52_248
.LBB52_2297:
	s_movk_i32 s4, 0x80
	v_cmp_eq_u16_sdwa s[12:13], v9, s4 src0_sel:BYTE_3 src1_sel:DWORD
	s_mov_b64 s[4:5], -1
                                        ; implicit-def: $sgpr10
	s_and_saveexec_b64 s[8:9], s[12:13]
; %bb.2298:
	s_mov_b32 s10, 0x7f800001
	s_xor_b64 s[4:5], exec, -1
; %bb.2299:
	s_or_b64 exec, exec, s[8:9]
	s_and_b64 s[4:5], s[4:5], exec
	s_or_saveexec_b64 s[6:7], s[6:7]
	v_mov_b32_e32 v2, s10
	s_xor_b64 exec, exec, s[6:7]
	s_cbranch_execz .LBB52_250
.LBB52_2300:
	v_mov_b32_e32 v2, 0
	v_cmp_ne_u16_sdwa s[8:9], v9, v2 src0_sel:BYTE_3 src1_sel:DWORD
	s_andn2_b64 s[4:5], s[4:5], exec
	s_and_b64 s[8:9], s[8:9], exec
	s_or_b64 s[4:5], s[4:5], s[8:9]
	s_or_b64 exec, exec, s[6:7]
	s_and_saveexec_b64 s[6:7], s[4:5]
	s_cbranch_execnz .LBB52_251
	s_branch .LBB52_252
.LBB52_2301:
	s_movk_i32 s4, 0x80
	v_cmp_eq_u16_sdwa s[12:13], v5, s4 src0_sel:BYTE_3 src1_sel:DWORD
	s_mov_b64 s[4:5], -1
                                        ; implicit-def: $sgpr10
	s_and_saveexec_b64 s[8:9], s[12:13]
; %bb.2302:
	s_mov_b32 s10, 0x7f800001
	s_xor_b64 s[4:5], exec, -1
; %bb.2303:
	s_or_b64 exec, exec, s[8:9]
	s_and_b64 s[4:5], s[4:5], exec
	s_or_saveexec_b64 s[6:7], s[6:7]
	v_mov_b32_e32 v3, s10
	s_xor_b64 exec, exec, s[6:7]
	s_cbranch_execz .LBB52_254
.LBB52_2304:
	v_mov_b32_e32 v3, 0
	v_cmp_ne_u16_sdwa s[8:9], v5, v3 src0_sel:BYTE_3 src1_sel:DWORD
	s_andn2_b64 s[4:5], s[4:5], exec
	s_and_b64 s[8:9], s[8:9], exec
	s_or_b64 s[4:5], s[4:5], s[8:9]
	s_or_b64 exec, exec, s[6:7]
	s_and_saveexec_b64 s[6:7], s[4:5]
	s_cbranch_execnz .LBB52_255
	s_branch .LBB52_256
.LBB52_2305:
	s_movk_i32 s4, 0x80
	v_cmp_eq_u16_sdwa s[12:13], v14, s4 src0_sel:BYTE_0 src1_sel:DWORD
	s_mov_b64 s[4:5], -1
                                        ; implicit-def: $sgpr10
	s_and_saveexec_b64 s[8:9], s[12:13]
; %bb.2306:
	s_mov_b32 s10, 0x7f800001
	s_xor_b64 s[4:5], exec, -1
; %bb.2307:
	s_or_b64 exec, exec, s[8:9]
	s_and_b64 s[4:5], s[4:5], exec
	s_or_saveexec_b64 s[6:7], s[6:7]
	v_mov_b32_e32 v20, s10
	s_xor_b64 exec, exec, s[6:7]
	s_cbranch_execz .LBB52_258
.LBB52_2308:
	v_mov_b32_e32 v20, 0
	v_cmp_ne_u16_sdwa s[8:9], v14, v20 src0_sel:BYTE_0 src1_sel:DWORD
	s_andn2_b64 s[4:5], s[4:5], exec
	s_and_b64 s[8:9], s[8:9], exec
	s_or_b64 s[4:5], s[4:5], s[8:9]
	s_or_b64 exec, exec, s[6:7]
	s_and_saveexec_b64 s[6:7], s[4:5]
	s_cbranch_execnz .LBB52_259
	s_branch .LBB52_260
.LBB52_2309:
	s_movk_i32 s4, 0x80
	v_cmp_eq_u16_sdwa s[12:13], v10, s4 src0_sel:BYTE_0 src1_sel:DWORD
	s_mov_b64 s[4:5], -1
                                        ; implicit-def: $sgpr10
	s_and_saveexec_b64 s[8:9], s[12:13]
; %bb.2310:
	s_mov_b32 s10, 0x7f800001
	s_xor_b64 s[4:5], exec, -1
; %bb.2311:
	s_or_b64 exec, exec, s[8:9]
	s_and_b64 s[4:5], s[4:5], exec
	s_or_saveexec_b64 s[6:7], s[6:7]
	v_mov_b32_e32 v21, s10
	s_xor_b64 exec, exec, s[6:7]
	s_cbranch_execz .LBB52_262
.LBB52_2312:
	v_mov_b32_e32 v21, 0
	v_cmp_ne_u16_sdwa s[8:9], v10, v21 src0_sel:BYTE_0 src1_sel:DWORD
	s_andn2_b64 s[4:5], s[4:5], exec
	s_and_b64 s[8:9], s[8:9], exec
	s_or_b64 s[4:5], s[4:5], s[8:9]
	s_or_b64 exec, exec, s[6:7]
	s_and_saveexec_b64 s[6:7], s[4:5]
	s_cbranch_execnz .LBB52_263
	s_branch .LBB52_264
.LBB52_2313:
	s_movk_i32 s4, 0x80
	v_cmp_eq_u16_sdwa s[12:13], v21, s4 src0_sel:BYTE_0 src1_sel:DWORD
	s_mov_b64 s[4:5], -1
                                        ; implicit-def: $sgpr10
	s_and_saveexec_b64 s[8:9], s[12:13]
; %bb.2314:
	s_mov_b32 s10, 0x7f800001
	s_xor_b64 s[4:5], exec, -1
; %bb.2315:
	s_or_b64 exec, exec, s[8:9]
	s_and_b64 s[4:5], s[4:5], exec
	s_or_saveexec_b64 s[6:7], s[6:7]
	v_mov_b32_e32 v20, s10
	s_xor_b64 exec, exec, s[6:7]
	s_cbranch_execz .LBB52_266
.LBB52_2316:
	v_mov_b32_e32 v20, 0
	v_cmp_ne_u16_sdwa s[8:9], v21, v20 src0_sel:BYTE_0 src1_sel:DWORD
	s_andn2_b64 s[4:5], s[4:5], exec
	s_and_b64 s[8:9], s[8:9], exec
	s_or_b64 s[4:5], s[4:5], s[8:9]
	s_or_b64 exec, exec, s[6:7]
	s_and_saveexec_b64 s[6:7], s[4:5]
	s_cbranch_execnz .LBB52_267
	s_branch .LBB52_268
.LBB52_2317:
	s_movk_i32 s4, 0x80
	v_cmp_eq_u16_sdwa s[12:13], v21, s4 src0_sel:BYTE_0 src1_sel:DWORD
	s_mov_b64 s[4:5], -1
                                        ; implicit-def: $sgpr10
	s_and_saveexec_b64 s[8:9], s[12:13]
; %bb.2318:
	s_mov_b32 s10, 0x7f800001
	s_xor_b64 s[4:5], exec, -1
; %bb.2319:
	s_or_b64 exec, exec, s[8:9]
	s_and_b64 s[4:5], s[4:5], exec
	s_or_saveexec_b64 s[6:7], s[6:7]
	v_mov_b32_e32 v22, s10
	s_xor_b64 exec, exec, s[6:7]
	s_cbranch_execz .LBB52_270
.LBB52_2320:
	v_mov_b32_e32 v22, 0
	v_cmp_ne_u16_sdwa s[8:9], v21, v22 src0_sel:BYTE_0 src1_sel:DWORD
	s_andn2_b64 s[4:5], s[4:5], exec
	s_and_b64 s[8:9], s[8:9], exec
	s_or_b64 s[4:5], s[4:5], s[8:9]
	s_or_b64 exec, exec, s[6:7]
	s_and_saveexec_b64 s[6:7], s[4:5]
	s_cbranch_execnz .LBB52_271
	s_branch .LBB52_272
.LBB52_2321:
	s_movk_i32 s4, 0x80
	v_cmp_eq_u16_e32 vcc, s4, v21
	s_mov_b64 s[4:5], -1
                                        ; implicit-def: $sgpr10
	s_and_saveexec_b64 s[8:9], vcc
; %bb.2322:
	s_mov_b32 s10, 0x7f800001
	s_xor_b64 s[4:5], exec, -1
; %bb.2323:
	s_or_b64 exec, exec, s[8:9]
	s_and_b64 s[4:5], s[4:5], exec
                                        ; implicit-def: $vgpr21
	s_or_saveexec_b64 s[6:7], s[6:7]
	v_mov_b32_e32 v20, s10
	s_xor_b64 exec, exec, s[6:7]
	s_cbranch_execz .LBB52_274
.LBB52_2324:
	v_cmp_ne_u16_e32 vcc, 0, v21
	s_andn2_b64 s[4:5], s[4:5], exec
	s_and_b64 s[8:9], vcc, exec
	v_mov_b32_e32 v20, 0
	s_or_b64 s[4:5], s[4:5], s[8:9]
	s_or_b64 exec, exec, s[6:7]
	s_and_saveexec_b64 s[6:7], s[4:5]
	s_cbranch_execnz .LBB52_275
	s_branch .LBB52_276
.LBB52_2325:
	s_movk_i32 s4, 0x80
	v_cmp_eq_u16_e32 vcc, s4, v21
	s_mov_b64 s[4:5], -1
                                        ; implicit-def: $sgpr10
	s_and_saveexec_b64 s[8:9], vcc
; %bb.2326:
	s_mov_b32 s10, 0x7f800001
	s_xor_b64 s[4:5], exec, -1
; %bb.2327:
	s_or_b64 exec, exec, s[8:9]
	s_and_b64 s[4:5], s[4:5], exec
                                        ; implicit-def: $vgpr21
	s_or_saveexec_b64 s[6:7], s[6:7]
	v_mov_b32_e32 v22, s10
	s_xor_b64 exec, exec, s[6:7]
	s_cbranch_execz .LBB52_278
.LBB52_2328:
	v_cmp_ne_u16_e32 vcc, 0, v21
	s_andn2_b64 s[4:5], s[4:5], exec
	s_and_b64 s[8:9], vcc, exec
	v_mov_b32_e32 v22, 0
	s_or_b64 s[4:5], s[4:5], s[8:9]
	s_or_b64 exec, exec, s[6:7]
	s_and_saveexec_b64 s[6:7], s[4:5]
	s_cbranch_execnz .LBB52_279
	s_branch .LBB52_280
.LBB52_2329:
	s_movk_i32 s4, 0x80
	v_cmp_eq_u16_sdwa s[12:13], v14, s4 src0_sel:BYTE_3 src1_sel:DWORD
	s_mov_b64 s[4:5], -1
                                        ; implicit-def: $sgpr10
	s_and_saveexec_b64 s[8:9], s[12:13]
; %bb.2330:
	s_mov_b32 s10, 0x7f800001
	s_xor_b64 s[4:5], exec, -1
; %bb.2331:
	s_or_b64 exec, exec, s[8:9]
	s_and_b64 s[4:5], s[4:5], exec
	s_or_saveexec_b64 s[6:7], s[6:7]
	v_mov_b32_e32 v20, s10
	s_xor_b64 exec, exec, s[6:7]
	s_cbranch_execz .LBB52_282
.LBB52_2332:
	v_mov_b32_e32 v20, 0
	v_cmp_ne_u16_sdwa s[8:9], v14, v20 src0_sel:BYTE_3 src1_sel:DWORD
	s_andn2_b64 s[4:5], s[4:5], exec
	s_and_b64 s[8:9], s[8:9], exec
	s_or_b64 s[4:5], s[4:5], s[8:9]
	s_or_b64 exec, exec, s[6:7]
	s_and_saveexec_b64 s[6:7], s[4:5]
	s_cbranch_execnz .LBB52_283
	s_branch .LBB52_284
.LBB52_2333:
	s_movk_i32 s4, 0x80
	v_cmp_eq_u16_sdwa s[12:13], v10, s4 src0_sel:BYTE_3 src1_sel:DWORD
	s_mov_b64 s[4:5], -1
                                        ; implicit-def: $sgpr10
	s_and_saveexec_b64 s[8:9], s[12:13]
; %bb.2334:
	s_mov_b32 s10, 0x7f800001
	s_xor_b64 s[4:5], exec, -1
; %bb.2335:
	s_or_b64 exec, exec, s[8:9]
	s_and_b64 s[4:5], s[4:5], exec
	s_or_saveexec_b64 s[6:7], s[6:7]
	v_mov_b32_e32 v14, s10
	s_xor_b64 exec, exec, s[6:7]
	s_cbranch_execz .LBB52_286
.LBB52_2336:
	v_mov_b32_e32 v14, 0
	v_cmp_ne_u16_sdwa s[8:9], v10, v14 src0_sel:BYTE_3 src1_sel:DWORD
	s_andn2_b64 s[4:5], s[4:5], exec
	s_and_b64 s[8:9], s[8:9], exec
	s_or_b64 s[4:5], s[4:5], s[8:9]
	s_or_b64 exec, exec, s[6:7]
	s_and_saveexec_b64 s[6:7], s[4:5]
	s_cbranch_execnz .LBB52_287
	s_branch .LBB52_288
.LBB52_2337:
	s_movk_i32 s4, 0x80
	v_cmp_eq_u16_sdwa s[12:13], v15, s4 src0_sel:BYTE_0 src1_sel:DWORD
	s_mov_b64 s[4:5], -1
                                        ; implicit-def: $sgpr10
	s_and_saveexec_b64 s[8:9], s[12:13]
; %bb.2338:
	s_mov_b32 s10, 0x7f800001
	s_xor_b64 s[4:5], exec, -1
; %bb.2339:
	s_or_b64 exec, exec, s[8:9]
	s_and_b64 s[4:5], s[4:5], exec
	s_or_saveexec_b64 s[6:7], s[6:7]
	v_mov_b32_e32 v10, s10
	s_xor_b64 exec, exec, s[6:7]
	s_cbranch_execz .LBB52_290
.LBB52_2340:
	v_mov_b32_e32 v10, 0
	v_cmp_ne_u16_sdwa s[8:9], v15, v10 src0_sel:BYTE_0 src1_sel:DWORD
	s_andn2_b64 s[4:5], s[4:5], exec
	s_and_b64 s[8:9], s[8:9], exec
	s_or_b64 s[4:5], s[4:5], s[8:9]
	s_or_b64 exec, exec, s[6:7]
	s_and_saveexec_b64 s[6:7], s[4:5]
	s_cbranch_execnz .LBB52_291
	s_branch .LBB52_292
.LBB52_2341:
	s_movk_i32 s4, 0x80
	v_cmp_eq_u16_sdwa s[12:13], v11, s4 src0_sel:BYTE_0 src1_sel:DWORD
	s_mov_b64 s[4:5], -1
                                        ; implicit-def: $sgpr10
	s_and_saveexec_b64 s[8:9], s[12:13]
; %bb.2342:
	s_mov_b32 s10, 0x7f800001
	s_xor_b64 s[4:5], exec, -1
; %bb.2343:
	s_or_b64 exec, exec, s[8:9]
	s_and_b64 s[4:5], s[4:5], exec
	s_or_saveexec_b64 s[6:7], s[6:7]
	v_mov_b32_e32 v14, s10
	s_xor_b64 exec, exec, s[6:7]
	s_cbranch_execz .LBB52_294
.LBB52_2344:
	v_mov_b32_e32 v14, 0
	v_cmp_ne_u16_sdwa s[8:9], v11, v14 src0_sel:BYTE_0 src1_sel:DWORD
	s_andn2_b64 s[4:5], s[4:5], exec
	s_and_b64 s[8:9], s[8:9], exec
	s_or_b64 s[4:5], s[4:5], s[8:9]
	s_or_b64 exec, exec, s[6:7]
	s_and_saveexec_b64 s[6:7], s[4:5]
	s_cbranch_execnz .LBB52_295
	s_branch .LBB52_296
.LBB52_2345:
	s_movk_i32 s4, 0x80
	v_cmp_eq_u16_sdwa s[12:13], v14, s4 src0_sel:BYTE_0 src1_sel:DWORD
	s_mov_b64 s[4:5], -1
                                        ; implicit-def: $sgpr10
	s_and_saveexec_b64 s[8:9], s[12:13]
; %bb.2346:
	s_mov_b32 s10, 0x7f800001
	s_xor_b64 s[4:5], exec, -1
; %bb.2347:
	s_or_b64 exec, exec, s[8:9]
	s_and_b64 s[4:5], s[4:5], exec
	s_or_saveexec_b64 s[6:7], s[6:7]
	v_mov_b32_e32 v10, s10
	s_xor_b64 exec, exec, s[6:7]
	s_cbranch_execz .LBB52_298
.LBB52_2348:
	v_mov_b32_e32 v10, 0
	v_cmp_ne_u16_sdwa s[8:9], v14, v10 src0_sel:BYTE_0 src1_sel:DWORD
	s_andn2_b64 s[4:5], s[4:5], exec
	s_and_b64 s[8:9], s[8:9], exec
	s_or_b64 s[4:5], s[4:5], s[8:9]
	s_or_b64 exec, exec, s[6:7]
	s_and_saveexec_b64 s[6:7], s[4:5]
	s_cbranch_execnz .LBB52_299
	s_branch .LBB52_300
.LBB52_2349:
	s_movk_i32 s4, 0x80
	v_cmp_eq_u16_sdwa s[12:13], v14, s4 src0_sel:BYTE_0 src1_sel:DWORD
	s_mov_b64 s[4:5], -1
                                        ; implicit-def: $sgpr10
	s_and_saveexec_b64 s[8:9], s[12:13]
; %bb.2350:
	s_mov_b32 s10, 0x7f800001
	s_xor_b64 s[4:5], exec, -1
; %bb.2351:
	s_or_b64 exec, exec, s[8:9]
	s_and_b64 s[4:5], s[4:5], exec
	s_or_saveexec_b64 s[6:7], s[6:7]
	v_mov_b32_e32 v20, s10
	s_xor_b64 exec, exec, s[6:7]
	s_cbranch_execz .LBB52_302
.LBB52_2352:
	v_mov_b32_e32 v20, 0
	v_cmp_ne_u16_sdwa s[8:9], v14, v20 src0_sel:BYTE_0 src1_sel:DWORD
	s_andn2_b64 s[4:5], s[4:5], exec
	s_and_b64 s[8:9], s[8:9], exec
	s_or_b64 s[4:5], s[4:5], s[8:9]
	s_or_b64 exec, exec, s[6:7]
	s_and_saveexec_b64 s[6:7], s[4:5]
	s_cbranch_execnz .LBB52_303
	s_branch .LBB52_304
.LBB52_2353:
	s_movk_i32 s4, 0x80
	v_cmp_eq_u16_e32 vcc, s4, v14
	s_mov_b64 s[4:5], -1
                                        ; implicit-def: $sgpr10
	s_and_saveexec_b64 s[8:9], vcc
; %bb.2354:
	s_mov_b32 s10, 0x7f800001
	s_xor_b64 s[4:5], exec, -1
; %bb.2355:
	s_or_b64 exec, exec, s[8:9]
	s_and_b64 s[4:5], s[4:5], exec
                                        ; implicit-def: $vgpr14
	s_or_saveexec_b64 s[6:7], s[6:7]
	v_mov_b32_e32 v10, s10
	s_xor_b64 exec, exec, s[6:7]
	s_cbranch_execz .LBB52_306
.LBB52_2356:
	v_cmp_ne_u16_e32 vcc, 0, v14
	s_andn2_b64 s[4:5], s[4:5], exec
	s_and_b64 s[8:9], vcc, exec
	v_mov_b32_e32 v10, 0
	s_or_b64 s[4:5], s[4:5], s[8:9]
	s_or_b64 exec, exec, s[6:7]
	s_and_saveexec_b64 s[6:7], s[4:5]
	s_cbranch_execnz .LBB52_307
	s_branch .LBB52_308
.LBB52_2357:
	s_movk_i32 s4, 0x80
	v_cmp_eq_u16_e32 vcc, s4, v14
	s_mov_b64 s[4:5], -1
                                        ; implicit-def: $sgpr10
	s_and_saveexec_b64 s[8:9], vcc
; %bb.2358:
	s_mov_b32 s10, 0x7f800001
	s_xor_b64 s[4:5], exec, -1
; %bb.2359:
	s_or_b64 exec, exec, s[8:9]
	s_and_b64 s[4:5], s[4:5], exec
                                        ; implicit-def: $vgpr14
	s_or_saveexec_b64 s[6:7], s[6:7]
	v_mov_b32_e32 v20, s10
	s_xor_b64 exec, exec, s[6:7]
	s_cbranch_execz .LBB52_310
.LBB52_2360:
	v_cmp_ne_u16_e32 vcc, 0, v14
	s_andn2_b64 s[4:5], s[4:5], exec
	s_and_b64 s[8:9], vcc, exec
	v_mov_b32_e32 v20, 0
	s_or_b64 s[4:5], s[4:5], s[8:9]
	s_or_b64 exec, exec, s[6:7]
	s_and_saveexec_b64 s[6:7], s[4:5]
	s_cbranch_execnz .LBB52_311
	s_branch .LBB52_312
.LBB52_2361:
	s_movk_i32 s4, 0x80
	v_cmp_eq_u16_sdwa s[12:13], v15, s4 src0_sel:BYTE_3 src1_sel:DWORD
	s_mov_b64 s[4:5], -1
                                        ; implicit-def: $sgpr10
	s_and_saveexec_b64 s[8:9], s[12:13]
; %bb.2362:
	s_mov_b32 s10, 0x7f800001
	s_xor_b64 s[4:5], exec, -1
; %bb.2363:
	s_or_b64 exec, exec, s[8:9]
	s_and_b64 s[4:5], s[4:5], exec
	s_or_saveexec_b64 s[6:7], s[6:7]
	v_mov_b32_e32 v10, s10
	s_xor_b64 exec, exec, s[6:7]
	s_cbranch_execz .LBB52_314
.LBB52_2364:
	v_mov_b32_e32 v10, 0
	v_cmp_ne_u16_sdwa s[8:9], v15, v10 src0_sel:BYTE_3 src1_sel:DWORD
	s_andn2_b64 s[4:5], s[4:5], exec
	s_and_b64 s[8:9], s[8:9], exec
	s_or_b64 s[4:5], s[4:5], s[8:9]
	s_or_b64 exec, exec, s[6:7]
	s_and_saveexec_b64 s[6:7], s[4:5]
	s_cbranch_execnz .LBB52_315
	s_branch .LBB52_316
.LBB52_2365:
	s_movk_i32 s4, 0x80
	v_cmp_eq_u16_sdwa s[12:13], v11, s4 src0_sel:BYTE_3 src1_sel:DWORD
	s_mov_b64 s[4:5], -1
                                        ; implicit-def: $sgpr10
	s_and_saveexec_b64 s[8:9], s[12:13]
; %bb.2366:
	s_mov_b32 s10, 0x7f800001
	s_xor_b64 s[4:5], exec, -1
; %bb.2367:
	s_or_b64 exec, exec, s[8:9]
	s_and_b64 s[4:5], s[4:5], exec
	s_or_saveexec_b64 s[6:7], s[6:7]
	v_mov_b32_e32 v14, s10
	s_xor_b64 exec, exec, s[6:7]
	s_cbranch_execz .LBB52_318
.LBB52_2368:
	v_mov_b32_e32 v14, 0
	v_cmp_ne_u16_sdwa s[8:9], v11, v14 src0_sel:BYTE_3 src1_sel:DWORD
	s_andn2_b64 s[4:5], s[4:5], exec
	s_and_b64 s[8:9], s[8:9], exec
	s_or_b64 s[4:5], s[4:5], s[8:9]
	s_or_b64 exec, exec, s[6:7]
	s_and_saveexec_b64 s[6:7], s[4:5]
	s_cbranch_execnz .LBB52_319
	s_branch .LBB52_320
.LBB52_2369:
	s_movk_i32 s4, 0x80
	v_cmp_eq_u16_sdwa s[12:13], v16, s4 src0_sel:BYTE_0 src1_sel:DWORD
	s_mov_b64 s[4:5], -1
                                        ; implicit-def: $sgpr10
	s_and_saveexec_b64 s[8:9], s[12:13]
; %bb.2370:
	s_mov_b32 s10, 0x7f800001
	s_xor_b64 s[4:5], exec, -1
; %bb.2371:
	s_or_b64 exec, exec, s[8:9]
	s_and_b64 s[4:5], s[4:5], exec
	s_or_saveexec_b64 s[6:7], s[6:7]
	v_mov_b32_e32 v10, s10
	s_xor_b64 exec, exec, s[6:7]
	s_cbranch_execz .LBB52_322
.LBB52_2372:
	v_mov_b32_e32 v10, 0
	v_cmp_ne_u16_sdwa s[8:9], v16, v10 src0_sel:BYTE_0 src1_sel:DWORD
	s_andn2_b64 s[4:5], s[4:5], exec
	s_and_b64 s[8:9], s[8:9], exec
	s_or_b64 s[4:5], s[4:5], s[8:9]
	s_or_b64 exec, exec, s[6:7]
	s_and_saveexec_b64 s[6:7], s[4:5]
	s_cbranch_execnz .LBB52_323
	s_branch .LBB52_324
.LBB52_2373:
	s_movk_i32 s4, 0x80
	v_cmp_eq_u16_sdwa s[12:13], v12, s4 src0_sel:BYTE_0 src1_sel:DWORD
	s_mov_b64 s[4:5], -1
                                        ; implicit-def: $sgpr10
	s_and_saveexec_b64 s[8:9], s[12:13]
; %bb.2374:
	s_mov_b32 s10, 0x7f800001
	s_xor_b64 s[4:5], exec, -1
; %bb.2375:
	s_or_b64 exec, exec, s[8:9]
	s_and_b64 s[4:5], s[4:5], exec
	s_or_saveexec_b64 s[6:7], s[6:7]
	v_mov_b32_e32 v11, s10
	s_xor_b64 exec, exec, s[6:7]
	s_cbranch_execz .LBB52_326
.LBB52_2376:
	v_mov_b32_e32 v11, 0
	v_cmp_ne_u16_sdwa s[8:9], v12, v11 src0_sel:BYTE_0 src1_sel:DWORD
	s_andn2_b64 s[4:5], s[4:5], exec
	s_and_b64 s[8:9], s[8:9], exec
	s_or_b64 s[4:5], s[4:5], s[8:9]
	s_or_b64 exec, exec, s[6:7]
	s_and_saveexec_b64 s[6:7], s[4:5]
	s_cbranch_execnz .LBB52_327
	s_branch .LBB52_328
.LBB52_2377:
	s_movk_i32 s4, 0x80
	v_cmp_eq_u16_sdwa s[12:13], v11, s4 src0_sel:BYTE_0 src1_sel:DWORD
	s_mov_b64 s[4:5], -1
                                        ; implicit-def: $sgpr10
	s_and_saveexec_b64 s[8:9], s[12:13]
; %bb.2378:
	s_mov_b32 s10, 0x7f800001
	s_xor_b64 s[4:5], exec, -1
; %bb.2379:
	s_or_b64 exec, exec, s[8:9]
	s_and_b64 s[4:5], s[4:5], exec
	s_or_saveexec_b64 s[6:7], s[6:7]
	v_mov_b32_e32 v10, s10
	s_xor_b64 exec, exec, s[6:7]
	s_cbranch_execz .LBB52_330
.LBB52_2380:
	v_mov_b32_e32 v10, 0
	v_cmp_ne_u16_sdwa s[8:9], v11, v10 src0_sel:BYTE_0 src1_sel:DWORD
	s_andn2_b64 s[4:5], s[4:5], exec
	s_and_b64 s[8:9], s[8:9], exec
	s_or_b64 s[4:5], s[4:5], s[8:9]
	s_or_b64 exec, exec, s[6:7]
	s_and_saveexec_b64 s[6:7], s[4:5]
	s_cbranch_execnz .LBB52_331
	s_branch .LBB52_332
.LBB52_2381:
	s_movk_i32 s4, 0x80
	v_cmp_eq_u16_sdwa s[12:13], v11, s4 src0_sel:BYTE_0 src1_sel:DWORD
	s_mov_b64 s[4:5], -1
                                        ; implicit-def: $sgpr10
	s_and_saveexec_b64 s[8:9], s[12:13]
; %bb.2382:
	s_mov_b32 s10, 0x7f800001
	s_xor_b64 s[4:5], exec, -1
; %bb.2383:
	s_or_b64 exec, exec, s[8:9]
	s_and_b64 s[4:5], s[4:5], exec
	s_or_saveexec_b64 s[6:7], s[6:7]
	v_mov_b32_e32 v14, s10
	s_xor_b64 exec, exec, s[6:7]
	s_cbranch_execz .LBB52_334
.LBB52_2384:
	v_mov_b32_e32 v14, 0
	v_cmp_ne_u16_sdwa s[8:9], v11, v14 src0_sel:BYTE_0 src1_sel:DWORD
	s_andn2_b64 s[4:5], s[4:5], exec
	s_and_b64 s[8:9], s[8:9], exec
	s_or_b64 s[4:5], s[4:5], s[8:9]
	s_or_b64 exec, exec, s[6:7]
	s_and_saveexec_b64 s[6:7], s[4:5]
	s_cbranch_execnz .LBB52_335
	s_branch .LBB52_336
.LBB52_2385:
	s_movk_i32 s4, 0x80
	v_cmp_eq_u16_e32 vcc, s4, v11
	s_mov_b64 s[4:5], -1
                                        ; implicit-def: $sgpr10
	s_and_saveexec_b64 s[8:9], vcc
; %bb.2386:
	s_mov_b32 s10, 0x7f800001
	s_xor_b64 s[4:5], exec, -1
; %bb.2387:
	s_or_b64 exec, exec, s[8:9]
	s_and_b64 s[4:5], s[4:5], exec
                                        ; implicit-def: $vgpr11
	s_or_saveexec_b64 s[6:7], s[6:7]
	v_mov_b32_e32 v10, s10
	s_xor_b64 exec, exec, s[6:7]
	s_cbranch_execz .LBB52_338
.LBB52_2388:
	v_cmp_ne_u16_e32 vcc, 0, v11
	s_andn2_b64 s[4:5], s[4:5], exec
	s_and_b64 s[8:9], vcc, exec
	v_mov_b32_e32 v10, 0
	s_or_b64 s[4:5], s[4:5], s[8:9]
	s_or_b64 exec, exec, s[6:7]
	s_and_saveexec_b64 s[6:7], s[4:5]
	s_cbranch_execnz .LBB52_339
	s_branch .LBB52_340
.LBB52_2389:
	s_movk_i32 s4, 0x80
	v_cmp_eq_u16_e32 vcc, s4, v11
	s_mov_b64 s[4:5], -1
                                        ; implicit-def: $sgpr10
	s_and_saveexec_b64 s[8:9], vcc
; %bb.2390:
	s_mov_b32 s10, 0x7f800001
	s_xor_b64 s[4:5], exec, -1
; %bb.2391:
	s_or_b64 exec, exec, s[8:9]
	s_and_b64 s[4:5], s[4:5], exec
                                        ; implicit-def: $vgpr11
	s_or_saveexec_b64 s[6:7], s[6:7]
	v_mov_b32_e32 v14, s10
	s_xor_b64 exec, exec, s[6:7]
	s_cbranch_execz .LBB52_342
.LBB52_2392:
	v_cmp_ne_u16_e32 vcc, 0, v11
	s_andn2_b64 s[4:5], s[4:5], exec
	s_and_b64 s[8:9], vcc, exec
	v_mov_b32_e32 v14, 0
	s_or_b64 s[4:5], s[4:5], s[8:9]
	s_or_b64 exec, exec, s[6:7]
	s_and_saveexec_b64 s[6:7], s[4:5]
	s_cbranch_execnz .LBB52_343
	s_branch .LBB52_344
.LBB52_2393:
	s_movk_i32 s4, 0x80
	v_cmp_eq_u16_sdwa s[12:13], v16, s4 src0_sel:BYTE_3 src1_sel:DWORD
	s_mov_b64 s[4:5], -1
                                        ; implicit-def: $sgpr10
	s_and_saveexec_b64 s[8:9], s[12:13]
; %bb.2394:
	s_mov_b32 s10, 0x7f800001
	s_xor_b64 s[4:5], exec, -1
; %bb.2395:
	s_or_b64 exec, exec, s[8:9]
	s_and_b64 s[4:5], s[4:5], exec
	s_or_saveexec_b64 s[6:7], s[6:7]
	v_mov_b32_e32 v10, s10
	s_xor_b64 exec, exec, s[6:7]
	s_cbranch_execz .LBB52_346
.LBB52_2396:
	v_mov_b32_e32 v10, 0
	v_cmp_ne_u16_sdwa s[8:9], v16, v10 src0_sel:BYTE_3 src1_sel:DWORD
	s_andn2_b64 s[4:5], s[4:5], exec
	s_and_b64 s[8:9], s[8:9], exec
	s_or_b64 s[4:5], s[4:5], s[8:9]
	s_or_b64 exec, exec, s[6:7]
	s_and_saveexec_b64 s[6:7], s[4:5]
	s_cbranch_execnz .LBB52_347
	s_branch .LBB52_348
.LBB52_2397:
	s_movk_i32 s4, 0x80
	v_cmp_eq_u16_sdwa s[12:13], v12, s4 src0_sel:BYTE_3 src1_sel:DWORD
	s_mov_b64 s[4:5], -1
                                        ; implicit-def: $sgpr10
	s_and_saveexec_b64 s[8:9], s[12:13]
; %bb.2398:
	s_mov_b32 s10, 0x7f800001
	s_xor_b64 s[4:5], exec, -1
; %bb.2399:
	s_or_b64 exec, exec, s[8:9]
	s_and_b64 s[4:5], s[4:5], exec
	s_or_saveexec_b64 s[6:7], s[6:7]
	v_mov_b32_e32 v11, s10
	s_xor_b64 exec, exec, s[6:7]
	s_cbranch_execz .LBB52_350
.LBB52_2400:
	v_mov_b32_e32 v11, 0
	v_cmp_ne_u16_sdwa s[8:9], v12, v11 src0_sel:BYTE_3 src1_sel:DWORD
	s_andn2_b64 s[4:5], s[4:5], exec
	s_and_b64 s[8:9], s[8:9], exec
	s_or_b64 s[4:5], s[4:5], s[8:9]
	s_or_b64 exec, exec, s[6:7]
	s_and_saveexec_b64 s[6:7], s[4:5]
	s_cbranch_execnz .LBB52_351
	s_branch .LBB52_352
.LBB52_2401:
	s_movk_i32 s4, 0x80
	v_cmp_eq_u16_sdwa s[12:13], v17, s4 src0_sel:BYTE_0 src1_sel:DWORD
	s_mov_b64 s[4:5], -1
                                        ; implicit-def: $sgpr10
	s_and_saveexec_b64 s[8:9], s[12:13]
; %bb.2402:
	s_mov_b32 s10, 0x7f800001
	s_xor_b64 s[4:5], exec, -1
; %bb.2403:
	s_or_b64 exec, exec, s[8:9]
	s_and_b64 s[4:5], s[4:5], exec
	s_or_saveexec_b64 s[6:7], s[6:7]
	v_mov_b32_e32 v10, s10
	s_xor_b64 exec, exec, s[6:7]
	s_cbranch_execz .LBB52_354
.LBB52_2404:
	v_mov_b32_e32 v10, 0
	v_cmp_ne_u16_sdwa s[8:9], v17, v10 src0_sel:BYTE_0 src1_sel:DWORD
	s_andn2_b64 s[4:5], s[4:5], exec
	s_and_b64 s[8:9], s[8:9], exec
	s_or_b64 s[4:5], s[4:5], s[8:9]
	s_or_b64 exec, exec, s[6:7]
	s_and_saveexec_b64 s[6:7], s[4:5]
	s_cbranch_execnz .LBB52_355
	s_branch .LBB52_356
.LBB52_2405:
	s_movk_i32 s4, 0x80
	v_cmp_eq_u16_sdwa s[12:13], v13, s4 src0_sel:BYTE_0 src1_sel:DWORD
	s_mov_b64 s[4:5], -1
                                        ; implicit-def: $sgpr10
	s_and_saveexec_b64 s[8:9], s[12:13]
; %bb.2406:
	s_mov_b32 s10, 0x7f800001
	s_xor_b64 s[4:5], exec, -1
; %bb.2407:
	s_or_b64 exec, exec, s[8:9]
	s_and_b64 s[4:5], s[4:5], exec
	s_or_saveexec_b64 s[6:7], s[6:7]
	v_mov_b32_e32 v11, s10
	s_xor_b64 exec, exec, s[6:7]
	s_cbranch_execz .LBB52_358
.LBB52_2408:
	v_mov_b32_e32 v11, 0
	v_cmp_ne_u16_sdwa s[8:9], v13, v11 src0_sel:BYTE_0 src1_sel:DWORD
	s_andn2_b64 s[4:5], s[4:5], exec
	s_and_b64 s[8:9], s[8:9], exec
	s_or_b64 s[4:5], s[4:5], s[8:9]
	s_or_b64 exec, exec, s[6:7]
	s_and_saveexec_b64 s[6:7], s[4:5]
	s_cbranch_execnz .LBB52_359
	s_branch .LBB52_360
.LBB52_2409:
	s_movk_i32 s4, 0x80
	v_cmp_eq_u16_sdwa s[12:13], v11, s4 src0_sel:BYTE_0 src1_sel:DWORD
	s_mov_b64 s[4:5], -1
                                        ; implicit-def: $sgpr10
	s_and_saveexec_b64 s[8:9], s[12:13]
; %bb.2410:
	s_mov_b32 s10, 0x7f800001
	s_xor_b64 s[4:5], exec, -1
; %bb.2411:
	s_or_b64 exec, exec, s[8:9]
	s_and_b64 s[4:5], s[4:5], exec
	s_or_saveexec_b64 s[6:7], s[6:7]
	v_mov_b32_e32 v10, s10
	s_xor_b64 exec, exec, s[6:7]
	s_cbranch_execz .LBB52_362
.LBB52_2412:
	v_mov_b32_e32 v10, 0
	v_cmp_ne_u16_sdwa s[8:9], v11, v10 src0_sel:BYTE_0 src1_sel:DWORD
	s_andn2_b64 s[4:5], s[4:5], exec
	s_and_b64 s[8:9], s[8:9], exec
	s_or_b64 s[4:5], s[4:5], s[8:9]
	s_or_b64 exec, exec, s[6:7]
	s_and_saveexec_b64 s[6:7], s[4:5]
	s_cbranch_execnz .LBB52_363
	s_branch .LBB52_364
.LBB52_2413:
	s_movk_i32 s4, 0x80
	v_cmp_eq_u16_sdwa s[12:13], v11, s4 src0_sel:BYTE_0 src1_sel:DWORD
	s_mov_b64 s[4:5], -1
                                        ; implicit-def: $sgpr10
	s_and_saveexec_b64 s[8:9], s[12:13]
; %bb.2414:
	s_mov_b32 s10, 0x7f800001
	s_xor_b64 s[4:5], exec, -1
; %bb.2415:
	s_or_b64 exec, exec, s[8:9]
	s_and_b64 s[4:5], s[4:5], exec
	s_or_saveexec_b64 s[6:7], s[6:7]
	v_mov_b32_e32 v12, s10
	s_xor_b64 exec, exec, s[6:7]
	s_cbranch_execz .LBB52_366
.LBB52_2416:
	v_mov_b32_e32 v12, 0
	v_cmp_ne_u16_sdwa s[8:9], v11, v12 src0_sel:BYTE_0 src1_sel:DWORD
	s_andn2_b64 s[4:5], s[4:5], exec
	s_and_b64 s[8:9], s[8:9], exec
	s_or_b64 s[4:5], s[4:5], s[8:9]
	s_or_b64 exec, exec, s[6:7]
	s_and_saveexec_b64 s[6:7], s[4:5]
	s_cbranch_execnz .LBB52_367
	s_branch .LBB52_368
.LBB52_2417:
	s_movk_i32 s4, 0x80
	v_cmp_eq_u16_e32 vcc, s4, v11
	s_mov_b64 s[4:5], -1
                                        ; implicit-def: $sgpr10
	s_and_saveexec_b64 s[8:9], vcc
; %bb.2418:
	s_mov_b32 s10, 0x7f800001
	s_xor_b64 s[4:5], exec, -1
; %bb.2419:
	s_or_b64 exec, exec, s[8:9]
	s_and_b64 s[4:5], s[4:5], exec
                                        ; implicit-def: $vgpr11
	s_or_saveexec_b64 s[6:7], s[6:7]
	v_mov_b32_e32 v10, s10
	s_xor_b64 exec, exec, s[6:7]
	s_cbranch_execz .LBB52_370
.LBB52_2420:
	v_cmp_ne_u16_e32 vcc, 0, v11
	s_andn2_b64 s[4:5], s[4:5], exec
	s_and_b64 s[8:9], vcc, exec
	v_mov_b32_e32 v10, 0
	s_or_b64 s[4:5], s[4:5], s[8:9]
	s_or_b64 exec, exec, s[6:7]
	s_and_saveexec_b64 s[6:7], s[4:5]
	s_cbranch_execnz .LBB52_371
	s_branch .LBB52_372
.LBB52_2421:
	s_movk_i32 s4, 0x80
	v_cmp_eq_u16_e32 vcc, s4, v11
	s_mov_b64 s[4:5], -1
                                        ; implicit-def: $sgpr10
	s_and_saveexec_b64 s[8:9], vcc
; %bb.2422:
	s_mov_b32 s10, 0x7f800001
	s_xor_b64 s[4:5], exec, -1
; %bb.2423:
	s_or_b64 exec, exec, s[8:9]
	s_and_b64 s[4:5], s[4:5], exec
                                        ; implicit-def: $vgpr11
	s_or_saveexec_b64 s[6:7], s[6:7]
	v_mov_b32_e32 v12, s10
	s_xor_b64 exec, exec, s[6:7]
	s_cbranch_execz .LBB52_374
.LBB52_2424:
	v_cmp_ne_u16_e32 vcc, 0, v11
	s_andn2_b64 s[4:5], s[4:5], exec
	s_and_b64 s[8:9], vcc, exec
	v_mov_b32_e32 v12, 0
	s_or_b64 s[4:5], s[4:5], s[8:9]
	s_or_b64 exec, exec, s[6:7]
	s_and_saveexec_b64 s[6:7], s[4:5]
	s_cbranch_execnz .LBB52_375
	s_branch .LBB52_376
.LBB52_2425:
	s_movk_i32 s4, 0x80
	v_cmp_eq_u16_sdwa s[12:13], v17, s4 src0_sel:BYTE_3 src1_sel:DWORD
	s_mov_b64 s[4:5], -1
                                        ; implicit-def: $sgpr10
	s_and_saveexec_b64 s[8:9], s[12:13]
; %bb.2426:
	s_mov_b32 s10, 0x7f800001
	s_xor_b64 s[4:5], exec, -1
; %bb.2427:
	s_or_b64 exec, exec, s[8:9]
	s_and_b64 s[4:5], s[4:5], exec
	s_or_saveexec_b64 s[6:7], s[6:7]
	v_mov_b32_e32 v10, s10
	s_xor_b64 exec, exec, s[6:7]
	s_cbranch_execz .LBB52_378
.LBB52_2428:
	v_mov_b32_e32 v10, 0
	v_cmp_ne_u16_sdwa s[8:9], v17, v10 src0_sel:BYTE_3 src1_sel:DWORD
	s_andn2_b64 s[4:5], s[4:5], exec
	s_and_b64 s[8:9], s[8:9], exec
	s_or_b64 s[4:5], s[4:5], s[8:9]
	s_or_b64 exec, exec, s[6:7]
	s_and_saveexec_b64 s[6:7], s[4:5]
	s_cbranch_execnz .LBB52_379
	s_branch .LBB52_380
.LBB52_2429:
	s_movk_i32 s4, 0x80
	v_cmp_eq_u16_sdwa s[12:13], v13, s4 src0_sel:BYTE_3 src1_sel:DWORD
	s_mov_b64 s[4:5], -1
                                        ; implicit-def: $sgpr10
	s_and_saveexec_b64 s[8:9], s[12:13]
; %bb.2430:
	s_mov_b32 s10, 0x7f800001
	s_xor_b64 s[4:5], exec, -1
; %bb.2431:
	s_or_b64 exec, exec, s[8:9]
	s_and_b64 s[4:5], s[4:5], exec
	s_or_saveexec_b64 s[6:7], s[6:7]
	v_mov_b32_e32 v11, s10
	s_xor_b64 exec, exec, s[6:7]
	s_cbranch_execz .LBB52_382
.LBB52_2432:
	v_mov_b32_e32 v11, 0
	v_cmp_ne_u16_sdwa s[8:9], v13, v11 src0_sel:BYTE_3 src1_sel:DWORD
	s_andn2_b64 s[4:5], s[4:5], exec
	s_and_b64 s[8:9], s[8:9], exec
	s_or_b64 s[4:5], s[4:5], s[8:9]
	s_or_b64 exec, exec, s[6:7]
	s_and_saveexec_b64 s[6:7], s[4:5]
	s_cbranch_execnz .LBB52_383
	s_branch .LBB52_384
.LBB52_2433:
	s_movk_i32 s4, 0x80
	v_cmp_eq_u16_sdwa s[12:13], v6, s4 src0_sel:BYTE_0 src1_sel:DWORD
	s_mov_b64 s[4:5], -1
                                        ; implicit-def: $sgpr10
	s_and_saveexec_b64 s[8:9], s[12:13]
; %bb.2434:
	s_mov_b32 s10, 0x7f800001
	s_xor_b64 s[4:5], exec, -1
; %bb.2435:
	s_or_b64 exec, exec, s[8:9]
	s_and_b64 s[4:5], s[4:5], exec
	s_or_saveexec_b64 s[6:7], s[6:7]
	v_mov_b32_e32 v10, s10
	s_xor_b64 exec, exec, s[6:7]
	s_cbranch_execz .LBB52_386
.LBB52_2436:
	v_mov_b32_e32 v10, 0
	v_cmp_ne_u16_sdwa s[8:9], v6, v10 src0_sel:BYTE_0 src1_sel:DWORD
	s_andn2_b64 s[4:5], s[4:5], exec
	s_and_b64 s[8:9], s[8:9], exec
	s_or_b64 s[4:5], s[4:5], s[8:9]
	s_or_b64 exec, exec, s[6:7]
	s_and_saveexec_b64 s[6:7], s[4:5]
	s_cbranch_execnz .LBB52_387
	s_branch .LBB52_388
.LBB52_2437:
	s_movk_i32 s4, 0x80
	v_cmp_eq_u16_sdwa s[12:13], v2, s4 src0_sel:BYTE_0 src1_sel:DWORD
	s_mov_b64 s[4:5], -1
                                        ; implicit-def: $sgpr10
	s_and_saveexec_b64 s[8:9], s[12:13]
; %bb.2438:
	s_mov_b32 s10, 0x7f800001
	s_xor_b64 s[4:5], exec, -1
; %bb.2439:
	s_or_b64 exec, exec, s[8:9]
	s_and_b64 s[4:5], s[4:5], exec
	s_or_saveexec_b64 s[6:7], s[6:7]
	v_mov_b32_e32 v11, s10
	s_xor_b64 exec, exec, s[6:7]
	s_cbranch_execz .LBB52_390
.LBB52_2440:
	v_mov_b32_e32 v11, 0
	v_cmp_ne_u16_sdwa s[8:9], v2, v11 src0_sel:BYTE_0 src1_sel:DWORD
	s_andn2_b64 s[4:5], s[4:5], exec
	s_and_b64 s[8:9], s[8:9], exec
	s_or_b64 s[4:5], s[4:5], s[8:9]
	s_or_b64 exec, exec, s[6:7]
	s_and_saveexec_b64 s[6:7], s[4:5]
	s_cbranch_execnz .LBB52_391
	s_branch .LBB52_392
.LBB52_2441:
	s_movk_i32 s4, 0x80
	v_cmp_eq_u16_sdwa s[12:13], v11, s4 src0_sel:BYTE_0 src1_sel:DWORD
	s_mov_b64 s[4:5], -1
                                        ; implicit-def: $sgpr10
	s_and_saveexec_b64 s[8:9], s[12:13]
; %bb.2442:
	s_mov_b32 s10, 0x7f800001
	s_xor_b64 s[4:5], exec, -1
; %bb.2443:
	s_or_b64 exec, exec, s[8:9]
	s_and_b64 s[4:5], s[4:5], exec
	s_or_saveexec_b64 s[6:7], s[6:7]
	v_mov_b32_e32 v10, s10
	s_xor_b64 exec, exec, s[6:7]
	s_cbranch_execz .LBB52_394
.LBB52_2444:
	v_mov_b32_e32 v10, 0
	v_cmp_ne_u16_sdwa s[8:9], v11, v10 src0_sel:BYTE_0 src1_sel:DWORD
	s_andn2_b64 s[4:5], s[4:5], exec
	s_and_b64 s[8:9], s[8:9], exec
	s_or_b64 s[4:5], s[4:5], s[8:9]
	s_or_b64 exec, exec, s[6:7]
	s_and_saveexec_b64 s[6:7], s[4:5]
	s_cbranch_execnz .LBB52_395
	s_branch .LBB52_396
.LBB52_2445:
	s_movk_i32 s4, 0x80
	v_cmp_eq_u16_sdwa s[12:13], v11, s4 src0_sel:BYTE_0 src1_sel:DWORD
	s_mov_b64 s[4:5], -1
                                        ; implicit-def: $sgpr10
	s_and_saveexec_b64 s[8:9], s[12:13]
; %bb.2446:
	s_mov_b32 s10, 0x7f800001
	s_xor_b64 s[4:5], exec, -1
; %bb.2447:
	s_or_b64 exec, exec, s[8:9]
	s_and_b64 s[4:5], s[4:5], exec
	s_or_saveexec_b64 s[6:7], s[6:7]
	v_mov_b32_e32 v12, s10
	s_xor_b64 exec, exec, s[6:7]
	s_cbranch_execz .LBB52_398
.LBB52_2448:
	v_mov_b32_e32 v12, 0
	v_cmp_ne_u16_sdwa s[8:9], v11, v12 src0_sel:BYTE_0 src1_sel:DWORD
	s_andn2_b64 s[4:5], s[4:5], exec
	s_and_b64 s[8:9], s[8:9], exec
	s_or_b64 s[4:5], s[4:5], s[8:9]
	s_or_b64 exec, exec, s[6:7]
	s_and_saveexec_b64 s[6:7], s[4:5]
	s_cbranch_execnz .LBB52_399
	s_branch .LBB52_400
.LBB52_2449:
	s_movk_i32 s4, 0x80
	v_cmp_eq_u16_e32 vcc, s4, v11
	s_mov_b64 s[4:5], -1
                                        ; implicit-def: $sgpr10
	s_and_saveexec_b64 s[8:9], vcc
; %bb.2450:
	s_mov_b32 s10, 0x7f800001
	s_xor_b64 s[4:5], exec, -1
; %bb.2451:
	s_or_b64 exec, exec, s[8:9]
	s_and_b64 s[4:5], s[4:5], exec
                                        ; implicit-def: $vgpr11
	s_or_saveexec_b64 s[6:7], s[6:7]
	v_mov_b32_e32 v10, s10
	s_xor_b64 exec, exec, s[6:7]
	s_cbranch_execz .LBB52_402
.LBB52_2452:
	v_cmp_ne_u16_e32 vcc, 0, v11
	s_andn2_b64 s[4:5], s[4:5], exec
	s_and_b64 s[8:9], vcc, exec
	v_mov_b32_e32 v10, 0
	s_or_b64 s[4:5], s[4:5], s[8:9]
	s_or_b64 exec, exec, s[6:7]
	s_and_saveexec_b64 s[6:7], s[4:5]
	s_cbranch_execnz .LBB52_403
	s_branch .LBB52_404
.LBB52_2453:
	s_movk_i32 s4, 0x80
	v_cmp_eq_u16_e32 vcc, s4, v11
	s_mov_b64 s[4:5], -1
                                        ; implicit-def: $sgpr10
	s_and_saveexec_b64 s[8:9], vcc
; %bb.2454:
	s_mov_b32 s10, 0x7f800001
	s_xor_b64 s[4:5], exec, -1
; %bb.2455:
	s_or_b64 exec, exec, s[8:9]
	s_and_b64 s[4:5], s[4:5], exec
                                        ; implicit-def: $vgpr11
	s_or_saveexec_b64 s[6:7], s[6:7]
	v_mov_b32_e32 v12, s10
	s_xor_b64 exec, exec, s[6:7]
	s_cbranch_execz .LBB52_406
.LBB52_2456:
	v_cmp_ne_u16_e32 vcc, 0, v11
	s_andn2_b64 s[4:5], s[4:5], exec
	s_and_b64 s[8:9], vcc, exec
	v_mov_b32_e32 v12, 0
	s_or_b64 s[4:5], s[4:5], s[8:9]
	s_or_b64 exec, exec, s[6:7]
	s_and_saveexec_b64 s[6:7], s[4:5]
	s_cbranch_execnz .LBB52_407
	s_branch .LBB52_408
.LBB52_2457:
	s_movk_i32 s4, 0x80
	v_cmp_eq_u16_sdwa s[12:13], v6, s4 src0_sel:BYTE_3 src1_sel:DWORD
	s_mov_b64 s[4:5], -1
                                        ; implicit-def: $sgpr10
	s_and_saveexec_b64 s[8:9], s[12:13]
; %bb.2458:
	s_mov_b32 s10, 0x7f800001
	s_xor_b64 s[4:5], exec, -1
; %bb.2459:
	s_or_b64 exec, exec, s[8:9]
	s_and_b64 s[4:5], s[4:5], exec
	s_or_saveexec_b64 s[6:7], s[6:7]
	v_mov_b32_e32 v10, s10
	s_xor_b64 exec, exec, s[6:7]
	s_cbranch_execz .LBB52_410
.LBB52_2460:
	v_mov_b32_e32 v10, 0
	v_cmp_ne_u16_sdwa s[8:9], v6, v10 src0_sel:BYTE_3 src1_sel:DWORD
	s_andn2_b64 s[4:5], s[4:5], exec
	s_and_b64 s[8:9], s[8:9], exec
	s_or_b64 s[4:5], s[4:5], s[8:9]
	s_or_b64 exec, exec, s[6:7]
	s_and_saveexec_b64 s[6:7], s[4:5]
	s_cbranch_execnz .LBB52_411
	s_branch .LBB52_412
.LBB52_2461:
	s_movk_i32 s4, 0x80
	v_cmp_eq_u16_sdwa s[12:13], v2, s4 src0_sel:BYTE_3 src1_sel:DWORD
	s_mov_b64 s[4:5], -1
                                        ; implicit-def: $sgpr10
	s_and_saveexec_b64 s[8:9], s[12:13]
; %bb.2462:
	s_mov_b32 s10, 0x7f800001
	s_xor_b64 s[4:5], exec, -1
; %bb.2463:
	s_or_b64 exec, exec, s[8:9]
	s_and_b64 s[4:5], s[4:5], exec
	s_or_saveexec_b64 s[6:7], s[6:7]
	v_mov_b32_e32 v6, s10
	s_xor_b64 exec, exec, s[6:7]
	s_cbranch_execz .LBB52_414
.LBB52_2464:
	v_mov_b32_e32 v6, 0
	v_cmp_ne_u16_sdwa s[8:9], v2, v6 src0_sel:BYTE_3 src1_sel:DWORD
	s_andn2_b64 s[4:5], s[4:5], exec
	s_and_b64 s[8:9], s[8:9], exec
	s_or_b64 s[4:5], s[4:5], s[8:9]
	s_or_b64 exec, exec, s[6:7]
	s_and_saveexec_b64 s[6:7], s[4:5]
	s_cbranch_execnz .LBB52_415
	s_branch .LBB52_416
.LBB52_2465:
	s_movk_i32 s4, 0x80
	v_cmp_eq_u16_sdwa s[12:13], v7, s4 src0_sel:BYTE_0 src1_sel:DWORD
	s_mov_b64 s[4:5], -1
                                        ; implicit-def: $sgpr10
	s_and_saveexec_b64 s[8:9], s[12:13]
; %bb.2466:
	s_mov_b32 s10, 0x7f800001
	s_xor_b64 s[4:5], exec, -1
; %bb.2467:
	s_or_b64 exec, exec, s[8:9]
	s_and_b64 s[4:5], s[4:5], exec
	s_or_saveexec_b64 s[6:7], s[6:7]
	v_mov_b32_e32 v2, s10
	s_xor_b64 exec, exec, s[6:7]
	s_cbranch_execz .LBB52_418
.LBB52_2468:
	v_mov_b32_e32 v2, 0
	v_cmp_ne_u16_sdwa s[8:9], v7, v2 src0_sel:BYTE_0 src1_sel:DWORD
	s_andn2_b64 s[4:5], s[4:5], exec
	s_and_b64 s[8:9], s[8:9], exec
	s_or_b64 s[4:5], s[4:5], s[8:9]
	s_or_b64 exec, exec, s[6:7]
	s_and_saveexec_b64 s[6:7], s[4:5]
	s_cbranch_execnz .LBB52_419
	s_branch .LBB52_420
.LBB52_2469:
	s_movk_i32 s4, 0x80
	v_cmp_eq_u16_sdwa s[12:13], v3, s4 src0_sel:BYTE_0 src1_sel:DWORD
	s_mov_b64 s[4:5], -1
                                        ; implicit-def: $sgpr10
	s_and_saveexec_b64 s[8:9], s[12:13]
; %bb.2470:
	s_mov_b32 s10, 0x7f800001
	s_xor_b64 s[4:5], exec, -1
; %bb.2471:
	s_or_b64 exec, exec, s[8:9]
	s_and_b64 s[4:5], s[4:5], exec
	s_or_saveexec_b64 s[6:7], s[6:7]
	v_mov_b32_e32 v6, s10
	s_xor_b64 exec, exec, s[6:7]
	s_cbranch_execz .LBB52_422
.LBB52_2472:
	v_mov_b32_e32 v6, 0
	v_cmp_ne_u16_sdwa s[8:9], v3, v6 src0_sel:BYTE_0 src1_sel:DWORD
	s_andn2_b64 s[4:5], s[4:5], exec
	s_and_b64 s[8:9], s[8:9], exec
	s_or_b64 s[4:5], s[4:5], s[8:9]
	s_or_b64 exec, exec, s[6:7]
	s_and_saveexec_b64 s[6:7], s[4:5]
	s_cbranch_execnz .LBB52_423
	s_branch .LBB52_424
.LBB52_2473:
	s_movk_i32 s4, 0x80
	v_cmp_eq_u16_sdwa s[12:13], v6, s4 src0_sel:BYTE_0 src1_sel:DWORD
	s_mov_b64 s[4:5], -1
                                        ; implicit-def: $sgpr10
	s_and_saveexec_b64 s[8:9], s[12:13]
; %bb.2474:
	s_mov_b32 s10, 0x7f800001
	s_xor_b64 s[4:5], exec, -1
; %bb.2475:
	s_or_b64 exec, exec, s[8:9]
	s_and_b64 s[4:5], s[4:5], exec
	s_or_saveexec_b64 s[6:7], s[6:7]
	v_mov_b32_e32 v2, s10
	s_xor_b64 exec, exec, s[6:7]
	s_cbranch_execz .LBB52_426
.LBB52_2476:
	v_mov_b32_e32 v2, 0
	v_cmp_ne_u16_sdwa s[8:9], v6, v2 src0_sel:BYTE_0 src1_sel:DWORD
	s_andn2_b64 s[4:5], s[4:5], exec
	s_and_b64 s[8:9], s[8:9], exec
	s_or_b64 s[4:5], s[4:5], s[8:9]
	s_or_b64 exec, exec, s[6:7]
	s_and_saveexec_b64 s[6:7], s[4:5]
	s_cbranch_execnz .LBB52_427
	s_branch .LBB52_428
.LBB52_2477:
	s_movk_i32 s4, 0x80
	v_cmp_eq_u16_sdwa s[12:13], v6, s4 src0_sel:BYTE_0 src1_sel:DWORD
	s_mov_b64 s[4:5], -1
                                        ; implicit-def: $sgpr10
	s_and_saveexec_b64 s[8:9], s[12:13]
; %bb.2478:
	s_mov_b32 s10, 0x7f800001
	s_xor_b64 s[4:5], exec, -1
; %bb.2479:
	s_or_b64 exec, exec, s[8:9]
	s_and_b64 s[4:5], s[4:5], exec
	s_or_saveexec_b64 s[6:7], s[6:7]
	v_mov_b32_e32 v10, s10
	s_xor_b64 exec, exec, s[6:7]
	s_cbranch_execz .LBB52_430
.LBB52_2480:
	v_mov_b32_e32 v10, 0
	v_cmp_ne_u16_sdwa s[8:9], v6, v10 src0_sel:BYTE_0 src1_sel:DWORD
	s_andn2_b64 s[4:5], s[4:5], exec
	s_and_b64 s[8:9], s[8:9], exec
	s_or_b64 s[4:5], s[4:5], s[8:9]
	s_or_b64 exec, exec, s[6:7]
	s_and_saveexec_b64 s[6:7], s[4:5]
	s_cbranch_execnz .LBB52_431
	s_branch .LBB52_432
.LBB52_2481:
	s_movk_i32 s4, 0x80
	v_cmp_eq_u16_e32 vcc, s4, v6
	s_mov_b64 s[4:5], -1
                                        ; implicit-def: $sgpr10
	s_and_saveexec_b64 s[8:9], vcc
; %bb.2482:
	s_mov_b32 s10, 0x7f800001
	s_xor_b64 s[4:5], exec, -1
; %bb.2483:
	s_or_b64 exec, exec, s[8:9]
	s_and_b64 s[4:5], s[4:5], exec
                                        ; implicit-def: $vgpr6
	s_or_saveexec_b64 s[6:7], s[6:7]
	v_mov_b32_e32 v2, s10
	s_xor_b64 exec, exec, s[6:7]
	s_cbranch_execz .LBB52_434
.LBB52_2484:
	v_cmp_ne_u16_e32 vcc, 0, v6
	s_andn2_b64 s[4:5], s[4:5], exec
	s_and_b64 s[8:9], vcc, exec
	v_mov_b32_e32 v2, 0
	s_or_b64 s[4:5], s[4:5], s[8:9]
	s_or_b64 exec, exec, s[6:7]
	s_and_saveexec_b64 s[6:7], s[4:5]
	s_cbranch_execnz .LBB52_435
	s_branch .LBB52_436
.LBB52_2485:
	s_movk_i32 s4, 0x80
	v_cmp_eq_u16_e32 vcc, s4, v6
	s_mov_b64 s[4:5], -1
                                        ; implicit-def: $sgpr10
	s_and_saveexec_b64 s[8:9], vcc
; %bb.2486:
	s_mov_b32 s10, 0x7f800001
	s_xor_b64 s[4:5], exec, -1
; %bb.2487:
	s_or_b64 exec, exec, s[8:9]
	s_and_b64 s[4:5], s[4:5], exec
                                        ; implicit-def: $vgpr6
	s_or_saveexec_b64 s[6:7], s[6:7]
	v_mov_b32_e32 v10, s10
	s_xor_b64 exec, exec, s[6:7]
	s_cbranch_execz .LBB52_438
.LBB52_2488:
	v_cmp_ne_u16_e32 vcc, 0, v6
	s_andn2_b64 s[4:5], s[4:5], exec
	s_and_b64 s[8:9], vcc, exec
	v_mov_b32_e32 v10, 0
	s_or_b64 s[4:5], s[4:5], s[8:9]
	s_or_b64 exec, exec, s[6:7]
	s_and_saveexec_b64 s[6:7], s[4:5]
	s_cbranch_execnz .LBB52_439
	s_branch .LBB52_440
.LBB52_2489:
	s_movk_i32 s4, 0x80
	v_cmp_eq_u16_sdwa s[12:13], v7, s4 src0_sel:BYTE_3 src1_sel:DWORD
	s_mov_b64 s[4:5], -1
                                        ; implicit-def: $sgpr10
	s_and_saveexec_b64 s[8:9], s[12:13]
; %bb.2490:
	s_mov_b32 s10, 0x7f800001
	s_xor_b64 s[4:5], exec, -1
; %bb.2491:
	s_or_b64 exec, exec, s[8:9]
	s_and_b64 s[4:5], s[4:5], exec
	s_or_saveexec_b64 s[6:7], s[6:7]
	v_mov_b32_e32 v2, s10
	s_xor_b64 exec, exec, s[6:7]
	s_cbranch_execz .LBB52_442
.LBB52_2492:
	v_mov_b32_e32 v2, 0
	v_cmp_ne_u16_sdwa s[8:9], v7, v2 src0_sel:BYTE_3 src1_sel:DWORD
	s_andn2_b64 s[4:5], s[4:5], exec
	s_and_b64 s[8:9], s[8:9], exec
	s_or_b64 s[4:5], s[4:5], s[8:9]
	s_or_b64 exec, exec, s[6:7]
	s_and_saveexec_b64 s[6:7], s[4:5]
	s_cbranch_execnz .LBB52_443
	s_branch .LBB52_444
.LBB52_2493:
	s_movk_i32 s4, 0x80
	v_cmp_eq_u16_sdwa s[12:13], v3, s4 src0_sel:BYTE_3 src1_sel:DWORD
	s_mov_b64 s[4:5], -1
                                        ; implicit-def: $sgpr10
	s_and_saveexec_b64 s[8:9], s[12:13]
; %bb.2494:
	s_mov_b32 s10, 0x7f800001
	s_xor_b64 s[4:5], exec, -1
; %bb.2495:
	s_or_b64 exec, exec, s[8:9]
	s_and_b64 s[4:5], s[4:5], exec
	s_or_saveexec_b64 s[6:7], s[6:7]
	v_mov_b32_e32 v6, s10
	s_xor_b64 exec, exec, s[6:7]
	s_cbranch_execz .LBB52_446
.LBB52_2496:
	v_mov_b32_e32 v6, 0
	v_cmp_ne_u16_sdwa s[8:9], v3, v6 src0_sel:BYTE_3 src1_sel:DWORD
	s_andn2_b64 s[4:5], s[4:5], exec
	s_and_b64 s[8:9], s[8:9], exec
	s_or_b64 s[4:5], s[4:5], s[8:9]
	s_or_b64 exec, exec, s[6:7]
	s_and_saveexec_b64 s[6:7], s[4:5]
	s_cbranch_execnz .LBB52_447
	s_branch .LBB52_448
.LBB52_2497:
	s_movk_i32 s4, 0x80
	v_cmp_eq_u16_sdwa s[12:13], v8, s4 src0_sel:BYTE_0 src1_sel:DWORD
	s_mov_b64 s[4:5], -1
                                        ; implicit-def: $sgpr10
	s_and_saveexec_b64 s[8:9], s[12:13]
; %bb.2498:
	s_mov_b32 s10, 0x7f800001
	s_xor_b64 s[4:5], exec, -1
; %bb.2499:
	s_or_b64 exec, exec, s[8:9]
	s_and_b64 s[4:5], s[4:5], exec
	s_or_saveexec_b64 s[6:7], s[6:7]
	v_mov_b32_e32 v2, s10
	s_xor_b64 exec, exec, s[6:7]
	s_cbranch_execz .LBB52_450
.LBB52_2500:
	v_mov_b32_e32 v2, 0
	v_cmp_ne_u16_sdwa s[8:9], v8, v2 src0_sel:BYTE_0 src1_sel:DWORD
	s_andn2_b64 s[4:5], s[4:5], exec
	s_and_b64 s[8:9], s[8:9], exec
	s_or_b64 s[4:5], s[4:5], s[8:9]
	s_or_b64 exec, exec, s[6:7]
	s_and_saveexec_b64 s[6:7], s[4:5]
	s_cbranch_execnz .LBB52_451
	s_branch .LBB52_452
.LBB52_2501:
	s_movk_i32 s4, 0x80
	v_cmp_eq_u16_sdwa s[12:13], v4, s4 src0_sel:BYTE_0 src1_sel:DWORD
	s_mov_b64 s[4:5], -1
                                        ; implicit-def: $sgpr10
	s_and_saveexec_b64 s[8:9], s[12:13]
; %bb.2502:
	s_mov_b32 s10, 0x7f800001
	s_xor_b64 s[4:5], exec, -1
; %bb.2503:
	s_or_b64 exec, exec, s[8:9]
	s_and_b64 s[4:5], s[4:5], exec
	s_or_saveexec_b64 s[6:7], s[6:7]
	v_mov_b32_e32 v3, s10
	s_xor_b64 exec, exec, s[6:7]
	s_cbranch_execz .LBB52_454
.LBB52_2504:
	v_mov_b32_e32 v3, 0
	v_cmp_ne_u16_sdwa s[8:9], v4, v3 src0_sel:BYTE_0 src1_sel:DWORD
	s_andn2_b64 s[4:5], s[4:5], exec
	s_and_b64 s[8:9], s[8:9], exec
	s_or_b64 s[4:5], s[4:5], s[8:9]
	s_or_b64 exec, exec, s[6:7]
	s_and_saveexec_b64 s[6:7], s[4:5]
	s_cbranch_execnz .LBB52_455
	s_branch .LBB52_456
.LBB52_2505:
	s_movk_i32 s4, 0x80
	v_cmp_eq_u16_sdwa s[12:13], v3, s4 src0_sel:BYTE_0 src1_sel:DWORD
	s_mov_b64 s[4:5], -1
                                        ; implicit-def: $sgpr10
	s_and_saveexec_b64 s[8:9], s[12:13]
; %bb.2506:
	s_mov_b32 s10, 0x7f800001
	s_xor_b64 s[4:5], exec, -1
; %bb.2507:
	s_or_b64 exec, exec, s[8:9]
	s_and_b64 s[4:5], s[4:5], exec
	s_or_saveexec_b64 s[6:7], s[6:7]
	v_mov_b32_e32 v2, s10
	s_xor_b64 exec, exec, s[6:7]
	s_cbranch_execz .LBB52_458
.LBB52_2508:
	v_mov_b32_e32 v2, 0
	v_cmp_ne_u16_sdwa s[8:9], v3, v2 src0_sel:BYTE_0 src1_sel:DWORD
	s_andn2_b64 s[4:5], s[4:5], exec
	s_and_b64 s[8:9], s[8:9], exec
	s_or_b64 s[4:5], s[4:5], s[8:9]
	s_or_b64 exec, exec, s[6:7]
	s_and_saveexec_b64 s[6:7], s[4:5]
	s_cbranch_execnz .LBB52_459
	s_branch .LBB52_460
.LBB52_2509:
	s_movk_i32 s4, 0x80
	v_cmp_eq_u16_sdwa s[12:13], v3, s4 src0_sel:BYTE_0 src1_sel:DWORD
	s_mov_b64 s[4:5], -1
                                        ; implicit-def: $sgpr10
	s_and_saveexec_b64 s[8:9], s[12:13]
; %bb.2510:
	s_mov_b32 s10, 0x7f800001
	s_xor_b64 s[4:5], exec, -1
; %bb.2511:
	s_or_b64 exec, exec, s[8:9]
	s_and_b64 s[4:5], s[4:5], exec
	s_or_saveexec_b64 s[6:7], s[6:7]
	v_mov_b32_e32 v6, s10
	s_xor_b64 exec, exec, s[6:7]
	s_cbranch_execz .LBB52_462
.LBB52_2512:
	v_mov_b32_e32 v6, 0
	v_cmp_ne_u16_sdwa s[8:9], v3, v6 src0_sel:BYTE_0 src1_sel:DWORD
	s_andn2_b64 s[4:5], s[4:5], exec
	s_and_b64 s[8:9], s[8:9], exec
	s_or_b64 s[4:5], s[4:5], s[8:9]
	s_or_b64 exec, exec, s[6:7]
	s_and_saveexec_b64 s[6:7], s[4:5]
	s_cbranch_execnz .LBB52_463
	s_branch .LBB52_464
.LBB52_2513:
	s_movk_i32 s4, 0x80
	v_cmp_eq_u16_e32 vcc, s4, v3
	s_mov_b64 s[4:5], -1
                                        ; implicit-def: $sgpr10
	s_and_saveexec_b64 s[8:9], vcc
; %bb.2514:
	s_mov_b32 s10, 0x7f800001
	s_xor_b64 s[4:5], exec, -1
; %bb.2515:
	s_or_b64 exec, exec, s[8:9]
	s_and_b64 s[4:5], s[4:5], exec
                                        ; implicit-def: $vgpr3
	s_or_saveexec_b64 s[6:7], s[6:7]
	v_mov_b32_e32 v2, s10
	s_xor_b64 exec, exec, s[6:7]
	s_cbranch_execz .LBB52_466
.LBB52_2516:
	v_cmp_ne_u16_e32 vcc, 0, v3
	s_andn2_b64 s[4:5], s[4:5], exec
	s_and_b64 s[8:9], vcc, exec
	v_mov_b32_e32 v2, 0
	s_or_b64 s[4:5], s[4:5], s[8:9]
	s_or_b64 exec, exec, s[6:7]
	s_and_saveexec_b64 s[6:7], s[4:5]
	s_cbranch_execnz .LBB52_467
	s_branch .LBB52_468
.LBB52_2517:
	s_movk_i32 s4, 0x80
	v_cmp_eq_u16_e32 vcc, s4, v3
	s_mov_b64 s[4:5], -1
                                        ; implicit-def: $sgpr10
	s_and_saveexec_b64 s[8:9], vcc
; %bb.2518:
	s_mov_b32 s10, 0x7f800001
	s_xor_b64 s[4:5], exec, -1
; %bb.2519:
	s_or_b64 exec, exec, s[8:9]
	s_and_b64 s[4:5], s[4:5], exec
                                        ; implicit-def: $vgpr3
	s_or_saveexec_b64 s[6:7], s[6:7]
	v_mov_b32_e32 v6, s10
	s_xor_b64 exec, exec, s[6:7]
	s_cbranch_execz .LBB52_470
.LBB52_2520:
	v_cmp_ne_u16_e32 vcc, 0, v3
	s_andn2_b64 s[4:5], s[4:5], exec
	s_and_b64 s[8:9], vcc, exec
	v_mov_b32_e32 v6, 0
	s_or_b64 s[4:5], s[4:5], s[8:9]
	s_or_b64 exec, exec, s[6:7]
	s_and_saveexec_b64 s[6:7], s[4:5]
	s_cbranch_execnz .LBB52_471
	s_branch .LBB52_472
.LBB52_2521:
	s_movk_i32 s4, 0x80
	v_cmp_eq_u16_sdwa s[12:13], v8, s4 src0_sel:BYTE_3 src1_sel:DWORD
	s_mov_b64 s[4:5], -1
                                        ; implicit-def: $sgpr10
	s_and_saveexec_b64 s[8:9], s[12:13]
; %bb.2522:
	s_mov_b32 s10, 0x7f800001
	s_xor_b64 s[4:5], exec, -1
; %bb.2523:
	s_or_b64 exec, exec, s[8:9]
	s_and_b64 s[4:5], s[4:5], exec
	s_or_saveexec_b64 s[6:7], s[6:7]
	v_mov_b32_e32 v2, s10
	s_xor_b64 exec, exec, s[6:7]
	s_cbranch_execz .LBB52_474
.LBB52_2524:
	v_mov_b32_e32 v2, 0
	v_cmp_ne_u16_sdwa s[8:9], v8, v2 src0_sel:BYTE_3 src1_sel:DWORD
	s_andn2_b64 s[4:5], s[4:5], exec
	s_and_b64 s[8:9], s[8:9], exec
	s_or_b64 s[4:5], s[4:5], s[8:9]
	s_or_b64 exec, exec, s[6:7]
	s_and_saveexec_b64 s[6:7], s[4:5]
	s_cbranch_execnz .LBB52_475
	s_branch .LBB52_476
.LBB52_2525:
	s_movk_i32 s4, 0x80
	v_cmp_eq_u16_sdwa s[12:13], v4, s4 src0_sel:BYTE_3 src1_sel:DWORD
	s_mov_b64 s[4:5], -1
                                        ; implicit-def: $sgpr10
	s_and_saveexec_b64 s[8:9], s[12:13]
; %bb.2526:
	s_mov_b32 s10, 0x7f800001
	s_xor_b64 s[4:5], exec, -1
; %bb.2527:
	s_or_b64 exec, exec, s[8:9]
	s_and_b64 s[4:5], s[4:5], exec
	s_or_saveexec_b64 s[6:7], s[6:7]
	v_mov_b32_e32 v3, s10
	s_xor_b64 exec, exec, s[6:7]
	s_cbranch_execz .LBB52_478
.LBB52_2528:
	v_mov_b32_e32 v3, 0
	v_cmp_ne_u16_sdwa s[8:9], v4, v3 src0_sel:BYTE_3 src1_sel:DWORD
	s_andn2_b64 s[4:5], s[4:5], exec
	s_and_b64 s[8:9], s[8:9], exec
	s_or_b64 s[4:5], s[4:5], s[8:9]
	s_or_b64 exec, exec, s[6:7]
	s_and_saveexec_b64 s[6:7], s[4:5]
	s_cbranch_execnz .LBB52_479
	s_branch .LBB52_480
.LBB52_2529:
	s_movk_i32 s4, 0x80
	v_cmp_eq_u16_sdwa s[12:13], v9, s4 src0_sel:BYTE_0 src1_sel:DWORD
	s_mov_b64 s[4:5], -1
                                        ; implicit-def: $sgpr10
	s_and_saveexec_b64 s[8:9], s[12:13]
; %bb.2530:
	s_mov_b32 s10, 0x7f800001
	s_xor_b64 s[4:5], exec, -1
; %bb.2531:
	s_or_b64 exec, exec, s[8:9]
	s_and_b64 s[4:5], s[4:5], exec
	s_or_saveexec_b64 s[6:7], s[6:7]
	v_mov_b32_e32 v2, s10
	s_xor_b64 exec, exec, s[6:7]
	s_cbranch_execz .LBB52_482
.LBB52_2532:
	v_mov_b32_e32 v2, 0
	v_cmp_ne_u16_sdwa s[8:9], v9, v2 src0_sel:BYTE_0 src1_sel:DWORD
	s_andn2_b64 s[4:5], s[4:5], exec
	s_and_b64 s[8:9], s[8:9], exec
	s_or_b64 s[4:5], s[4:5], s[8:9]
	s_or_b64 exec, exec, s[6:7]
	s_and_saveexec_b64 s[6:7], s[4:5]
	s_cbranch_execnz .LBB52_483
	s_branch .LBB52_484
.LBB52_2533:
	s_movk_i32 s4, 0x80
	v_cmp_eq_u16_sdwa s[12:13], v5, s4 src0_sel:BYTE_0 src1_sel:DWORD
	s_mov_b64 s[4:5], -1
                                        ; implicit-def: $sgpr10
	s_and_saveexec_b64 s[8:9], s[12:13]
; %bb.2534:
	s_mov_b32 s10, 0x7f800001
	s_xor_b64 s[4:5], exec, -1
; %bb.2535:
	s_or_b64 exec, exec, s[8:9]
	s_and_b64 s[4:5], s[4:5], exec
	s_or_saveexec_b64 s[6:7], s[6:7]
	v_mov_b32_e32 v3, s10
	s_xor_b64 exec, exec, s[6:7]
	s_cbranch_execz .LBB52_486
.LBB52_2536:
	v_mov_b32_e32 v3, 0
	v_cmp_ne_u16_sdwa s[8:9], v5, v3 src0_sel:BYTE_0 src1_sel:DWORD
	s_andn2_b64 s[4:5], s[4:5], exec
	s_and_b64 s[8:9], s[8:9], exec
	s_or_b64 s[4:5], s[4:5], s[8:9]
	s_or_b64 exec, exec, s[6:7]
	s_and_saveexec_b64 s[6:7], s[4:5]
	s_cbranch_execnz .LBB52_487
	s_branch .LBB52_488
.LBB52_2537:
	s_movk_i32 s4, 0x80
	v_cmp_eq_u16_sdwa s[12:13], v3, s4 src0_sel:BYTE_0 src1_sel:DWORD
	s_mov_b64 s[4:5], -1
                                        ; implicit-def: $sgpr10
	s_and_saveexec_b64 s[8:9], s[12:13]
; %bb.2538:
	s_mov_b32 s10, 0x7f800001
	s_xor_b64 s[4:5], exec, -1
; %bb.2539:
	s_or_b64 exec, exec, s[8:9]
	s_and_b64 s[4:5], s[4:5], exec
	s_or_saveexec_b64 s[6:7], s[6:7]
	v_mov_b32_e32 v2, s10
	s_xor_b64 exec, exec, s[6:7]
	s_cbranch_execz .LBB52_490
.LBB52_2540:
	v_mov_b32_e32 v2, 0
	v_cmp_ne_u16_sdwa s[8:9], v3, v2 src0_sel:BYTE_0 src1_sel:DWORD
	s_andn2_b64 s[4:5], s[4:5], exec
	s_and_b64 s[8:9], s[8:9], exec
	s_or_b64 s[4:5], s[4:5], s[8:9]
	s_or_b64 exec, exec, s[6:7]
	s_and_saveexec_b64 s[6:7], s[4:5]
	s_cbranch_execnz .LBB52_491
	s_branch .LBB52_492
.LBB52_2541:
	s_movk_i32 s4, 0x80
	v_cmp_eq_u16_sdwa s[12:13], v3, s4 src0_sel:BYTE_0 src1_sel:DWORD
	s_mov_b64 s[4:5], -1
                                        ; implicit-def: $sgpr10
	s_and_saveexec_b64 s[8:9], s[12:13]
; %bb.2542:
	s_mov_b32 s10, 0x7f800001
	s_xor_b64 s[4:5], exec, -1
; %bb.2543:
	s_or_b64 exec, exec, s[8:9]
	s_and_b64 s[4:5], s[4:5], exec
	s_or_saveexec_b64 s[6:7], s[6:7]
	v_mov_b32_e32 v4, s10
	s_xor_b64 exec, exec, s[6:7]
	s_cbranch_execz .LBB52_494
.LBB52_2544:
	v_mov_b32_e32 v4, 0
	v_cmp_ne_u16_sdwa s[8:9], v3, v4 src0_sel:BYTE_0 src1_sel:DWORD
	s_andn2_b64 s[4:5], s[4:5], exec
	s_and_b64 s[8:9], s[8:9], exec
	s_or_b64 s[4:5], s[4:5], s[8:9]
	s_or_b64 exec, exec, s[6:7]
	s_and_saveexec_b64 s[6:7], s[4:5]
	s_cbranch_execnz .LBB52_495
	s_branch .LBB52_496
.LBB52_2545:
	s_movk_i32 s4, 0x80
	v_cmp_eq_u16_e32 vcc, s4, v3
	s_mov_b64 s[4:5], -1
                                        ; implicit-def: $sgpr10
	s_and_saveexec_b64 s[8:9], vcc
; %bb.2546:
	s_mov_b32 s10, 0x7f800001
	s_xor_b64 s[4:5], exec, -1
; %bb.2547:
	s_or_b64 exec, exec, s[8:9]
	s_and_b64 s[4:5], s[4:5], exec
                                        ; implicit-def: $vgpr3
	s_or_saveexec_b64 s[6:7], s[6:7]
	v_mov_b32_e32 v2, s10
	s_xor_b64 exec, exec, s[6:7]
	s_cbranch_execz .LBB52_498
.LBB52_2548:
	v_cmp_ne_u16_e32 vcc, 0, v3
	s_andn2_b64 s[4:5], s[4:5], exec
	s_and_b64 s[8:9], vcc, exec
	v_mov_b32_e32 v2, 0
	s_or_b64 s[4:5], s[4:5], s[8:9]
	s_or_b64 exec, exec, s[6:7]
	s_and_saveexec_b64 s[6:7], s[4:5]
	s_cbranch_execnz .LBB52_499
	s_branch .LBB52_500
.LBB52_2549:
	s_movk_i32 s4, 0x80
	v_cmp_eq_u16_e32 vcc, s4, v3
	s_mov_b64 s[4:5], -1
                                        ; implicit-def: $sgpr10
	s_and_saveexec_b64 s[8:9], vcc
; %bb.2550:
	s_mov_b32 s10, 0x7f800001
	s_xor_b64 s[4:5], exec, -1
; %bb.2551:
	s_or_b64 exec, exec, s[8:9]
	s_and_b64 s[4:5], s[4:5], exec
                                        ; implicit-def: $vgpr3
	s_or_saveexec_b64 s[6:7], s[6:7]
	v_mov_b32_e32 v4, s10
	s_xor_b64 exec, exec, s[6:7]
	s_cbranch_execz .LBB52_502
.LBB52_2552:
	v_cmp_ne_u16_e32 vcc, 0, v3
	s_andn2_b64 s[4:5], s[4:5], exec
	s_and_b64 s[8:9], vcc, exec
	v_mov_b32_e32 v4, 0
	s_or_b64 s[4:5], s[4:5], s[8:9]
	s_or_b64 exec, exec, s[6:7]
	s_and_saveexec_b64 s[6:7], s[4:5]
	s_cbranch_execnz .LBB52_503
	s_branch .LBB52_504
.LBB52_2553:
	s_movk_i32 s4, 0x80
	v_cmp_eq_u16_sdwa s[12:13], v9, s4 src0_sel:BYTE_3 src1_sel:DWORD
	s_mov_b64 s[4:5], -1
                                        ; implicit-def: $sgpr10
	s_and_saveexec_b64 s[8:9], s[12:13]
; %bb.2554:
	s_mov_b32 s10, 0x7f800001
	s_xor_b64 s[4:5], exec, -1
; %bb.2555:
	s_or_b64 exec, exec, s[8:9]
	s_and_b64 s[4:5], s[4:5], exec
	s_or_saveexec_b64 s[6:7], s[6:7]
	v_mov_b32_e32 v2, s10
	s_xor_b64 exec, exec, s[6:7]
	s_cbranch_execz .LBB52_506
.LBB52_2556:
	v_mov_b32_e32 v2, 0
	v_cmp_ne_u16_sdwa s[8:9], v9, v2 src0_sel:BYTE_3 src1_sel:DWORD
	s_andn2_b64 s[4:5], s[4:5], exec
	s_and_b64 s[8:9], s[8:9], exec
	s_or_b64 s[4:5], s[4:5], s[8:9]
	s_or_b64 exec, exec, s[6:7]
	s_and_saveexec_b64 s[6:7], s[4:5]
	s_cbranch_execnz .LBB52_507
	s_branch .LBB52_508
.LBB52_2557:
	s_movk_i32 s4, 0x80
	v_cmp_eq_u16_sdwa s[12:13], v5, s4 src0_sel:BYTE_3 src1_sel:DWORD
	s_mov_b64 s[4:5], -1
                                        ; implicit-def: $sgpr10
	s_and_saveexec_b64 s[8:9], s[12:13]
; %bb.2558:
	s_mov_b32 s10, 0x7f800001
	s_xor_b64 s[4:5], exec, -1
; %bb.2559:
	s_or_b64 exec, exec, s[8:9]
	s_and_b64 s[4:5], s[4:5], exec
	s_or_saveexec_b64 s[6:7], s[6:7]
	v_mov_b32_e32 v3, s10
	s_xor_b64 exec, exec, s[6:7]
	s_cbranch_execz .LBB52_510
.LBB52_2560:
	v_mov_b32_e32 v3, 0
	v_cmp_ne_u16_sdwa s[8:9], v5, v3 src0_sel:BYTE_3 src1_sel:DWORD
	s_andn2_b64 s[4:5], s[4:5], exec
	s_and_b64 s[8:9], s[8:9], exec
	s_or_b64 s[4:5], s[4:5], s[8:9]
	s_or_b64 exec, exec, s[6:7]
	s_and_saveexec_b64 s[6:7], s[4:5]
	s_cbranch_execnz .LBB52_511
	s_branch .LBB52_512
.LBB52_2561:
	s_movk_i32 s4, 0x80
	v_cmp_eq_u16_sdwa s[12:13], v14, s4 src0_sel:BYTE_0 src1_sel:DWORD
	s_mov_b64 s[4:5], -1
                                        ; implicit-def: $sgpr10
	s_and_saveexec_b64 s[8:9], s[12:13]
; %bb.2562:
	s_mov_b32 s10, 0x7f800001
	s_xor_b64 s[4:5], exec, -1
; %bb.2563:
	s_or_b64 exec, exec, s[8:9]
	s_and_b64 s[4:5], s[4:5], exec
	s_or_saveexec_b64 s[6:7], s[6:7]
	v_mov_b32_e32 v20, s10
	s_xor_b64 exec, exec, s[6:7]
	s_cbranch_execz .LBB52_514
.LBB52_2564:
	v_mov_b32_e32 v20, 0
	v_cmp_ne_u16_sdwa s[8:9], v14, v20 src0_sel:BYTE_0 src1_sel:DWORD
	s_andn2_b64 s[4:5], s[4:5], exec
	s_and_b64 s[8:9], s[8:9], exec
	s_or_b64 s[4:5], s[4:5], s[8:9]
	s_or_b64 exec, exec, s[6:7]
	s_and_saveexec_b64 s[6:7], s[4:5]
	s_cbranch_execnz .LBB52_515
	s_branch .LBB52_516
.LBB52_2565:
	s_movk_i32 s4, 0x80
	v_cmp_eq_u16_sdwa s[12:13], v10, s4 src0_sel:BYTE_0 src1_sel:DWORD
	s_mov_b64 s[4:5], -1
                                        ; implicit-def: $sgpr10
	s_and_saveexec_b64 s[8:9], s[12:13]
; %bb.2566:
	s_mov_b32 s10, 0x7f800001
	s_xor_b64 s[4:5], exec, -1
; %bb.2567:
	s_or_b64 exec, exec, s[8:9]
	s_and_b64 s[4:5], s[4:5], exec
	s_or_saveexec_b64 s[6:7], s[6:7]
	v_mov_b32_e32 v21, s10
	s_xor_b64 exec, exec, s[6:7]
	s_cbranch_execz .LBB52_518
.LBB52_2568:
	v_mov_b32_e32 v21, 0
	v_cmp_ne_u16_sdwa s[8:9], v10, v21 src0_sel:BYTE_0 src1_sel:DWORD
	s_andn2_b64 s[4:5], s[4:5], exec
	s_and_b64 s[8:9], s[8:9], exec
	s_or_b64 s[4:5], s[4:5], s[8:9]
	s_or_b64 exec, exec, s[6:7]
	s_and_saveexec_b64 s[6:7], s[4:5]
	s_cbranch_execnz .LBB52_519
	s_branch .LBB52_520
.LBB52_2569:
	s_movk_i32 s4, 0x80
	v_cmp_eq_u16_sdwa s[12:13], v21, s4 src0_sel:BYTE_0 src1_sel:DWORD
	s_mov_b64 s[4:5], -1
                                        ; implicit-def: $sgpr10
	s_and_saveexec_b64 s[8:9], s[12:13]
; %bb.2570:
	s_mov_b32 s10, 0x7f800001
	s_xor_b64 s[4:5], exec, -1
; %bb.2571:
	s_or_b64 exec, exec, s[8:9]
	s_and_b64 s[4:5], s[4:5], exec
	s_or_saveexec_b64 s[6:7], s[6:7]
	v_mov_b32_e32 v20, s10
	s_xor_b64 exec, exec, s[6:7]
	s_cbranch_execz .LBB52_522
.LBB52_2572:
	v_mov_b32_e32 v20, 0
	v_cmp_ne_u16_sdwa s[8:9], v21, v20 src0_sel:BYTE_0 src1_sel:DWORD
	s_andn2_b64 s[4:5], s[4:5], exec
	s_and_b64 s[8:9], s[8:9], exec
	s_or_b64 s[4:5], s[4:5], s[8:9]
	s_or_b64 exec, exec, s[6:7]
	s_and_saveexec_b64 s[6:7], s[4:5]
	s_cbranch_execnz .LBB52_523
	s_branch .LBB52_524
.LBB52_2573:
	s_movk_i32 s4, 0x80
	v_cmp_eq_u16_sdwa s[12:13], v21, s4 src0_sel:BYTE_0 src1_sel:DWORD
	s_mov_b64 s[4:5], -1
                                        ; implicit-def: $sgpr10
	s_and_saveexec_b64 s[8:9], s[12:13]
; %bb.2574:
	s_mov_b32 s10, 0x7f800001
	s_xor_b64 s[4:5], exec, -1
; %bb.2575:
	s_or_b64 exec, exec, s[8:9]
	s_and_b64 s[4:5], s[4:5], exec
	s_or_saveexec_b64 s[6:7], s[6:7]
	v_mov_b32_e32 v22, s10
	s_xor_b64 exec, exec, s[6:7]
	s_cbranch_execz .LBB52_526
.LBB52_2576:
	v_mov_b32_e32 v22, 0
	v_cmp_ne_u16_sdwa s[8:9], v21, v22 src0_sel:BYTE_0 src1_sel:DWORD
	s_andn2_b64 s[4:5], s[4:5], exec
	s_and_b64 s[8:9], s[8:9], exec
	s_or_b64 s[4:5], s[4:5], s[8:9]
	s_or_b64 exec, exec, s[6:7]
	s_and_saveexec_b64 s[6:7], s[4:5]
	s_cbranch_execnz .LBB52_527
	s_branch .LBB52_528
.LBB52_2577:
	s_movk_i32 s4, 0x80
	v_cmp_eq_u16_e32 vcc, s4, v21
	s_mov_b64 s[4:5], -1
                                        ; implicit-def: $sgpr10
	s_and_saveexec_b64 s[8:9], vcc
; %bb.2578:
	s_mov_b32 s10, 0x7f800001
	s_xor_b64 s[4:5], exec, -1
; %bb.2579:
	s_or_b64 exec, exec, s[8:9]
	s_and_b64 s[4:5], s[4:5], exec
                                        ; implicit-def: $vgpr21
	s_or_saveexec_b64 s[6:7], s[6:7]
	v_mov_b32_e32 v20, s10
	s_xor_b64 exec, exec, s[6:7]
	s_cbranch_execz .LBB52_530
.LBB52_2580:
	v_cmp_ne_u16_e32 vcc, 0, v21
	s_andn2_b64 s[4:5], s[4:5], exec
	s_and_b64 s[8:9], vcc, exec
	v_mov_b32_e32 v20, 0
	s_or_b64 s[4:5], s[4:5], s[8:9]
	s_or_b64 exec, exec, s[6:7]
	s_and_saveexec_b64 s[6:7], s[4:5]
	s_cbranch_execnz .LBB52_531
	s_branch .LBB52_532
.LBB52_2581:
	s_movk_i32 s4, 0x80
	v_cmp_eq_u16_e32 vcc, s4, v21
	s_mov_b64 s[4:5], -1
                                        ; implicit-def: $sgpr10
	s_and_saveexec_b64 s[8:9], vcc
; %bb.2582:
	s_mov_b32 s10, 0x7f800001
	s_xor_b64 s[4:5], exec, -1
; %bb.2583:
	s_or_b64 exec, exec, s[8:9]
	s_and_b64 s[4:5], s[4:5], exec
                                        ; implicit-def: $vgpr21
	s_or_saveexec_b64 s[6:7], s[6:7]
	v_mov_b32_e32 v22, s10
	s_xor_b64 exec, exec, s[6:7]
	s_cbranch_execz .LBB52_534
.LBB52_2584:
	v_cmp_ne_u16_e32 vcc, 0, v21
	s_andn2_b64 s[4:5], s[4:5], exec
	s_and_b64 s[8:9], vcc, exec
	v_mov_b32_e32 v22, 0
	s_or_b64 s[4:5], s[4:5], s[8:9]
	s_or_b64 exec, exec, s[6:7]
	s_and_saveexec_b64 s[6:7], s[4:5]
	s_cbranch_execnz .LBB52_535
	s_branch .LBB52_536
.LBB52_2585:
	s_movk_i32 s4, 0x80
	v_cmp_eq_u16_sdwa s[12:13], v14, s4 src0_sel:BYTE_3 src1_sel:DWORD
	s_mov_b64 s[4:5], -1
                                        ; implicit-def: $sgpr10
	s_and_saveexec_b64 s[8:9], s[12:13]
; %bb.2586:
	s_mov_b32 s10, 0x7f800001
	s_xor_b64 s[4:5], exec, -1
; %bb.2587:
	s_or_b64 exec, exec, s[8:9]
	s_and_b64 s[4:5], s[4:5], exec
	s_or_saveexec_b64 s[6:7], s[6:7]
	v_mov_b32_e32 v20, s10
	s_xor_b64 exec, exec, s[6:7]
	s_cbranch_execz .LBB52_538
.LBB52_2588:
	v_mov_b32_e32 v20, 0
	v_cmp_ne_u16_sdwa s[8:9], v14, v20 src0_sel:BYTE_3 src1_sel:DWORD
	s_andn2_b64 s[4:5], s[4:5], exec
	s_and_b64 s[8:9], s[8:9], exec
	s_or_b64 s[4:5], s[4:5], s[8:9]
	s_or_b64 exec, exec, s[6:7]
	s_and_saveexec_b64 s[6:7], s[4:5]
	s_cbranch_execnz .LBB52_539
	s_branch .LBB52_540
.LBB52_2589:
	s_movk_i32 s4, 0x80
	v_cmp_eq_u16_sdwa s[12:13], v10, s4 src0_sel:BYTE_3 src1_sel:DWORD
	s_mov_b64 s[4:5], -1
                                        ; implicit-def: $sgpr10
	s_and_saveexec_b64 s[8:9], s[12:13]
; %bb.2590:
	s_mov_b32 s10, 0x7f800001
	s_xor_b64 s[4:5], exec, -1
; %bb.2591:
	s_or_b64 exec, exec, s[8:9]
	s_and_b64 s[4:5], s[4:5], exec
	s_or_saveexec_b64 s[6:7], s[6:7]
	v_mov_b32_e32 v14, s10
	s_xor_b64 exec, exec, s[6:7]
	s_cbranch_execz .LBB52_542
.LBB52_2592:
	v_mov_b32_e32 v14, 0
	v_cmp_ne_u16_sdwa s[8:9], v10, v14 src0_sel:BYTE_3 src1_sel:DWORD
	s_andn2_b64 s[4:5], s[4:5], exec
	s_and_b64 s[8:9], s[8:9], exec
	s_or_b64 s[4:5], s[4:5], s[8:9]
	s_or_b64 exec, exec, s[6:7]
	s_and_saveexec_b64 s[6:7], s[4:5]
	s_cbranch_execnz .LBB52_543
	s_branch .LBB52_544
.LBB52_2593:
	s_movk_i32 s4, 0x80
	v_cmp_eq_u16_sdwa s[12:13], v15, s4 src0_sel:BYTE_0 src1_sel:DWORD
	s_mov_b64 s[4:5], -1
                                        ; implicit-def: $sgpr10
	s_and_saveexec_b64 s[8:9], s[12:13]
; %bb.2594:
	s_mov_b32 s10, 0x7f800001
	s_xor_b64 s[4:5], exec, -1
; %bb.2595:
	s_or_b64 exec, exec, s[8:9]
	s_and_b64 s[4:5], s[4:5], exec
	s_or_saveexec_b64 s[6:7], s[6:7]
	v_mov_b32_e32 v10, s10
	s_xor_b64 exec, exec, s[6:7]
	s_cbranch_execz .LBB52_546
.LBB52_2596:
	v_mov_b32_e32 v10, 0
	v_cmp_ne_u16_sdwa s[8:9], v15, v10 src0_sel:BYTE_0 src1_sel:DWORD
	s_andn2_b64 s[4:5], s[4:5], exec
	s_and_b64 s[8:9], s[8:9], exec
	s_or_b64 s[4:5], s[4:5], s[8:9]
	s_or_b64 exec, exec, s[6:7]
	s_and_saveexec_b64 s[6:7], s[4:5]
	s_cbranch_execnz .LBB52_547
	s_branch .LBB52_548
.LBB52_2597:
	s_movk_i32 s4, 0x80
	v_cmp_eq_u16_sdwa s[12:13], v11, s4 src0_sel:BYTE_0 src1_sel:DWORD
	s_mov_b64 s[4:5], -1
                                        ; implicit-def: $sgpr10
	s_and_saveexec_b64 s[8:9], s[12:13]
; %bb.2598:
	s_mov_b32 s10, 0x7f800001
	s_xor_b64 s[4:5], exec, -1
; %bb.2599:
	s_or_b64 exec, exec, s[8:9]
	s_and_b64 s[4:5], s[4:5], exec
	s_or_saveexec_b64 s[6:7], s[6:7]
	v_mov_b32_e32 v14, s10
	s_xor_b64 exec, exec, s[6:7]
	s_cbranch_execz .LBB52_550
.LBB52_2600:
	v_mov_b32_e32 v14, 0
	v_cmp_ne_u16_sdwa s[8:9], v11, v14 src0_sel:BYTE_0 src1_sel:DWORD
	s_andn2_b64 s[4:5], s[4:5], exec
	s_and_b64 s[8:9], s[8:9], exec
	s_or_b64 s[4:5], s[4:5], s[8:9]
	s_or_b64 exec, exec, s[6:7]
	s_and_saveexec_b64 s[6:7], s[4:5]
	s_cbranch_execnz .LBB52_551
	s_branch .LBB52_552
.LBB52_2601:
	s_movk_i32 s4, 0x80
	v_cmp_eq_u16_sdwa s[12:13], v14, s4 src0_sel:BYTE_0 src1_sel:DWORD
	s_mov_b64 s[4:5], -1
                                        ; implicit-def: $sgpr10
	s_and_saveexec_b64 s[8:9], s[12:13]
; %bb.2602:
	s_mov_b32 s10, 0x7f800001
	s_xor_b64 s[4:5], exec, -1
; %bb.2603:
	s_or_b64 exec, exec, s[8:9]
	s_and_b64 s[4:5], s[4:5], exec
	s_or_saveexec_b64 s[6:7], s[6:7]
	v_mov_b32_e32 v10, s10
	s_xor_b64 exec, exec, s[6:7]
	s_cbranch_execz .LBB52_554
.LBB52_2604:
	v_mov_b32_e32 v10, 0
	v_cmp_ne_u16_sdwa s[8:9], v14, v10 src0_sel:BYTE_0 src1_sel:DWORD
	s_andn2_b64 s[4:5], s[4:5], exec
	s_and_b64 s[8:9], s[8:9], exec
	s_or_b64 s[4:5], s[4:5], s[8:9]
	s_or_b64 exec, exec, s[6:7]
	s_and_saveexec_b64 s[6:7], s[4:5]
	s_cbranch_execnz .LBB52_555
	s_branch .LBB52_556
.LBB52_2605:
	s_movk_i32 s4, 0x80
	v_cmp_eq_u16_sdwa s[12:13], v14, s4 src0_sel:BYTE_0 src1_sel:DWORD
	s_mov_b64 s[4:5], -1
                                        ; implicit-def: $sgpr10
	s_and_saveexec_b64 s[8:9], s[12:13]
; %bb.2606:
	s_mov_b32 s10, 0x7f800001
	s_xor_b64 s[4:5], exec, -1
; %bb.2607:
	s_or_b64 exec, exec, s[8:9]
	s_and_b64 s[4:5], s[4:5], exec
	s_or_saveexec_b64 s[6:7], s[6:7]
	v_mov_b32_e32 v20, s10
	s_xor_b64 exec, exec, s[6:7]
	s_cbranch_execz .LBB52_558
.LBB52_2608:
	v_mov_b32_e32 v20, 0
	v_cmp_ne_u16_sdwa s[8:9], v14, v20 src0_sel:BYTE_0 src1_sel:DWORD
	s_andn2_b64 s[4:5], s[4:5], exec
	s_and_b64 s[8:9], s[8:9], exec
	s_or_b64 s[4:5], s[4:5], s[8:9]
	s_or_b64 exec, exec, s[6:7]
	s_and_saveexec_b64 s[6:7], s[4:5]
	s_cbranch_execnz .LBB52_559
	s_branch .LBB52_560
.LBB52_2609:
	s_movk_i32 s4, 0x80
	v_cmp_eq_u16_e32 vcc, s4, v14
	s_mov_b64 s[4:5], -1
                                        ; implicit-def: $sgpr10
	s_and_saveexec_b64 s[8:9], vcc
; %bb.2610:
	s_mov_b32 s10, 0x7f800001
	s_xor_b64 s[4:5], exec, -1
; %bb.2611:
	s_or_b64 exec, exec, s[8:9]
	s_and_b64 s[4:5], s[4:5], exec
                                        ; implicit-def: $vgpr14
	s_or_saveexec_b64 s[6:7], s[6:7]
	v_mov_b32_e32 v10, s10
	s_xor_b64 exec, exec, s[6:7]
	s_cbranch_execz .LBB52_562
.LBB52_2612:
	v_cmp_ne_u16_e32 vcc, 0, v14
	s_andn2_b64 s[4:5], s[4:5], exec
	s_and_b64 s[8:9], vcc, exec
	v_mov_b32_e32 v10, 0
	s_or_b64 s[4:5], s[4:5], s[8:9]
	s_or_b64 exec, exec, s[6:7]
	s_and_saveexec_b64 s[6:7], s[4:5]
	s_cbranch_execnz .LBB52_563
	s_branch .LBB52_564
.LBB52_2613:
	s_movk_i32 s4, 0x80
	v_cmp_eq_u16_e32 vcc, s4, v14
	s_mov_b64 s[4:5], -1
                                        ; implicit-def: $sgpr10
	s_and_saveexec_b64 s[8:9], vcc
; %bb.2614:
	s_mov_b32 s10, 0x7f800001
	s_xor_b64 s[4:5], exec, -1
; %bb.2615:
	s_or_b64 exec, exec, s[8:9]
	s_and_b64 s[4:5], s[4:5], exec
                                        ; implicit-def: $vgpr14
	s_or_saveexec_b64 s[6:7], s[6:7]
	v_mov_b32_e32 v20, s10
	s_xor_b64 exec, exec, s[6:7]
	s_cbranch_execz .LBB52_566
.LBB52_2616:
	v_cmp_ne_u16_e32 vcc, 0, v14
	s_andn2_b64 s[4:5], s[4:5], exec
	s_and_b64 s[8:9], vcc, exec
	v_mov_b32_e32 v20, 0
	s_or_b64 s[4:5], s[4:5], s[8:9]
	s_or_b64 exec, exec, s[6:7]
	s_and_saveexec_b64 s[6:7], s[4:5]
	s_cbranch_execnz .LBB52_567
	s_branch .LBB52_568
.LBB52_2617:
	s_movk_i32 s4, 0x80
	v_cmp_eq_u16_sdwa s[12:13], v15, s4 src0_sel:BYTE_3 src1_sel:DWORD
	s_mov_b64 s[4:5], -1
                                        ; implicit-def: $sgpr10
	s_and_saveexec_b64 s[8:9], s[12:13]
; %bb.2618:
	s_mov_b32 s10, 0x7f800001
	s_xor_b64 s[4:5], exec, -1
; %bb.2619:
	s_or_b64 exec, exec, s[8:9]
	s_and_b64 s[4:5], s[4:5], exec
	s_or_saveexec_b64 s[6:7], s[6:7]
	v_mov_b32_e32 v10, s10
	s_xor_b64 exec, exec, s[6:7]
	s_cbranch_execz .LBB52_570
.LBB52_2620:
	v_mov_b32_e32 v10, 0
	v_cmp_ne_u16_sdwa s[8:9], v15, v10 src0_sel:BYTE_3 src1_sel:DWORD
	s_andn2_b64 s[4:5], s[4:5], exec
	s_and_b64 s[8:9], s[8:9], exec
	s_or_b64 s[4:5], s[4:5], s[8:9]
	s_or_b64 exec, exec, s[6:7]
	s_and_saveexec_b64 s[6:7], s[4:5]
	s_cbranch_execnz .LBB52_571
	s_branch .LBB52_572
.LBB52_2621:
	s_movk_i32 s4, 0x80
	v_cmp_eq_u16_sdwa s[12:13], v11, s4 src0_sel:BYTE_3 src1_sel:DWORD
	s_mov_b64 s[4:5], -1
                                        ; implicit-def: $sgpr10
	s_and_saveexec_b64 s[8:9], s[12:13]
; %bb.2622:
	s_mov_b32 s10, 0x7f800001
	s_xor_b64 s[4:5], exec, -1
; %bb.2623:
	s_or_b64 exec, exec, s[8:9]
	s_and_b64 s[4:5], s[4:5], exec
	s_or_saveexec_b64 s[6:7], s[6:7]
	v_mov_b32_e32 v14, s10
	s_xor_b64 exec, exec, s[6:7]
	s_cbranch_execz .LBB52_574
.LBB52_2624:
	v_mov_b32_e32 v14, 0
	v_cmp_ne_u16_sdwa s[8:9], v11, v14 src0_sel:BYTE_3 src1_sel:DWORD
	s_andn2_b64 s[4:5], s[4:5], exec
	s_and_b64 s[8:9], s[8:9], exec
	s_or_b64 s[4:5], s[4:5], s[8:9]
	s_or_b64 exec, exec, s[6:7]
	s_and_saveexec_b64 s[6:7], s[4:5]
	s_cbranch_execnz .LBB52_575
	s_branch .LBB52_576
.LBB52_2625:
	s_movk_i32 s4, 0x80
	v_cmp_eq_u16_sdwa s[12:13], v16, s4 src0_sel:BYTE_0 src1_sel:DWORD
	s_mov_b64 s[4:5], -1
                                        ; implicit-def: $sgpr10
	s_and_saveexec_b64 s[8:9], s[12:13]
; %bb.2626:
	s_mov_b32 s10, 0x7f800001
	s_xor_b64 s[4:5], exec, -1
; %bb.2627:
	s_or_b64 exec, exec, s[8:9]
	s_and_b64 s[4:5], s[4:5], exec
	s_or_saveexec_b64 s[6:7], s[6:7]
	v_mov_b32_e32 v10, s10
	s_xor_b64 exec, exec, s[6:7]
	s_cbranch_execz .LBB52_578
.LBB52_2628:
	v_mov_b32_e32 v10, 0
	v_cmp_ne_u16_sdwa s[8:9], v16, v10 src0_sel:BYTE_0 src1_sel:DWORD
	s_andn2_b64 s[4:5], s[4:5], exec
	s_and_b64 s[8:9], s[8:9], exec
	s_or_b64 s[4:5], s[4:5], s[8:9]
	s_or_b64 exec, exec, s[6:7]
	s_and_saveexec_b64 s[6:7], s[4:5]
	s_cbranch_execnz .LBB52_579
	s_branch .LBB52_580
.LBB52_2629:
	s_movk_i32 s4, 0x80
	v_cmp_eq_u16_sdwa s[12:13], v12, s4 src0_sel:BYTE_0 src1_sel:DWORD
	s_mov_b64 s[4:5], -1
                                        ; implicit-def: $sgpr10
	s_and_saveexec_b64 s[8:9], s[12:13]
; %bb.2630:
	s_mov_b32 s10, 0x7f800001
	s_xor_b64 s[4:5], exec, -1
; %bb.2631:
	s_or_b64 exec, exec, s[8:9]
	s_and_b64 s[4:5], s[4:5], exec
	s_or_saveexec_b64 s[6:7], s[6:7]
	v_mov_b32_e32 v11, s10
	s_xor_b64 exec, exec, s[6:7]
	s_cbranch_execz .LBB52_582
.LBB52_2632:
	v_mov_b32_e32 v11, 0
	v_cmp_ne_u16_sdwa s[8:9], v12, v11 src0_sel:BYTE_0 src1_sel:DWORD
	s_andn2_b64 s[4:5], s[4:5], exec
	s_and_b64 s[8:9], s[8:9], exec
	s_or_b64 s[4:5], s[4:5], s[8:9]
	s_or_b64 exec, exec, s[6:7]
	s_and_saveexec_b64 s[6:7], s[4:5]
	s_cbranch_execnz .LBB52_583
	s_branch .LBB52_584
.LBB52_2633:
	s_movk_i32 s4, 0x80
	v_cmp_eq_u16_sdwa s[12:13], v11, s4 src0_sel:BYTE_0 src1_sel:DWORD
	s_mov_b64 s[4:5], -1
                                        ; implicit-def: $sgpr10
	s_and_saveexec_b64 s[8:9], s[12:13]
; %bb.2634:
	s_mov_b32 s10, 0x7f800001
	s_xor_b64 s[4:5], exec, -1
; %bb.2635:
	s_or_b64 exec, exec, s[8:9]
	s_and_b64 s[4:5], s[4:5], exec
	s_or_saveexec_b64 s[6:7], s[6:7]
	v_mov_b32_e32 v10, s10
	s_xor_b64 exec, exec, s[6:7]
	s_cbranch_execz .LBB52_586
.LBB52_2636:
	v_mov_b32_e32 v10, 0
	v_cmp_ne_u16_sdwa s[8:9], v11, v10 src0_sel:BYTE_0 src1_sel:DWORD
	s_andn2_b64 s[4:5], s[4:5], exec
	s_and_b64 s[8:9], s[8:9], exec
	s_or_b64 s[4:5], s[4:5], s[8:9]
	s_or_b64 exec, exec, s[6:7]
	s_and_saveexec_b64 s[6:7], s[4:5]
	s_cbranch_execnz .LBB52_587
	s_branch .LBB52_588
.LBB52_2637:
	s_movk_i32 s4, 0x80
	v_cmp_eq_u16_sdwa s[12:13], v11, s4 src0_sel:BYTE_0 src1_sel:DWORD
	s_mov_b64 s[4:5], -1
                                        ; implicit-def: $sgpr10
	s_and_saveexec_b64 s[8:9], s[12:13]
; %bb.2638:
	s_mov_b32 s10, 0x7f800001
	s_xor_b64 s[4:5], exec, -1
; %bb.2639:
	s_or_b64 exec, exec, s[8:9]
	s_and_b64 s[4:5], s[4:5], exec
	s_or_saveexec_b64 s[6:7], s[6:7]
	v_mov_b32_e32 v14, s10
	s_xor_b64 exec, exec, s[6:7]
	s_cbranch_execz .LBB52_590
.LBB52_2640:
	v_mov_b32_e32 v14, 0
	v_cmp_ne_u16_sdwa s[8:9], v11, v14 src0_sel:BYTE_0 src1_sel:DWORD
	s_andn2_b64 s[4:5], s[4:5], exec
	s_and_b64 s[8:9], s[8:9], exec
	s_or_b64 s[4:5], s[4:5], s[8:9]
	s_or_b64 exec, exec, s[6:7]
	s_and_saveexec_b64 s[6:7], s[4:5]
	s_cbranch_execnz .LBB52_591
	s_branch .LBB52_592
.LBB52_2641:
	s_movk_i32 s4, 0x80
	v_cmp_eq_u16_e32 vcc, s4, v11
	s_mov_b64 s[4:5], -1
                                        ; implicit-def: $sgpr10
	s_and_saveexec_b64 s[8:9], vcc
; %bb.2642:
	s_mov_b32 s10, 0x7f800001
	s_xor_b64 s[4:5], exec, -1
; %bb.2643:
	s_or_b64 exec, exec, s[8:9]
	s_and_b64 s[4:5], s[4:5], exec
                                        ; implicit-def: $vgpr11
	s_or_saveexec_b64 s[6:7], s[6:7]
	v_mov_b32_e32 v10, s10
	s_xor_b64 exec, exec, s[6:7]
	s_cbranch_execz .LBB52_594
.LBB52_2644:
	v_cmp_ne_u16_e32 vcc, 0, v11
	s_andn2_b64 s[4:5], s[4:5], exec
	s_and_b64 s[8:9], vcc, exec
	v_mov_b32_e32 v10, 0
	s_or_b64 s[4:5], s[4:5], s[8:9]
	s_or_b64 exec, exec, s[6:7]
	s_and_saveexec_b64 s[6:7], s[4:5]
	s_cbranch_execnz .LBB52_595
	s_branch .LBB52_596
.LBB52_2645:
	s_movk_i32 s4, 0x80
	v_cmp_eq_u16_e32 vcc, s4, v11
	s_mov_b64 s[4:5], -1
                                        ; implicit-def: $sgpr10
	s_and_saveexec_b64 s[8:9], vcc
; %bb.2646:
	s_mov_b32 s10, 0x7f800001
	s_xor_b64 s[4:5], exec, -1
; %bb.2647:
	s_or_b64 exec, exec, s[8:9]
	s_and_b64 s[4:5], s[4:5], exec
                                        ; implicit-def: $vgpr11
	s_or_saveexec_b64 s[6:7], s[6:7]
	v_mov_b32_e32 v14, s10
	s_xor_b64 exec, exec, s[6:7]
	s_cbranch_execz .LBB52_598
.LBB52_2648:
	v_cmp_ne_u16_e32 vcc, 0, v11
	s_andn2_b64 s[4:5], s[4:5], exec
	s_and_b64 s[8:9], vcc, exec
	v_mov_b32_e32 v14, 0
	s_or_b64 s[4:5], s[4:5], s[8:9]
	s_or_b64 exec, exec, s[6:7]
	s_and_saveexec_b64 s[6:7], s[4:5]
	s_cbranch_execnz .LBB52_599
	s_branch .LBB52_600
.LBB52_2649:
	s_movk_i32 s4, 0x80
	v_cmp_eq_u16_sdwa s[12:13], v16, s4 src0_sel:BYTE_3 src1_sel:DWORD
	s_mov_b64 s[4:5], -1
                                        ; implicit-def: $sgpr10
	s_and_saveexec_b64 s[8:9], s[12:13]
; %bb.2650:
	s_mov_b32 s10, 0x7f800001
	s_xor_b64 s[4:5], exec, -1
; %bb.2651:
	s_or_b64 exec, exec, s[8:9]
	s_and_b64 s[4:5], s[4:5], exec
	s_or_saveexec_b64 s[6:7], s[6:7]
	v_mov_b32_e32 v10, s10
	s_xor_b64 exec, exec, s[6:7]
	s_cbranch_execz .LBB52_602
.LBB52_2652:
	v_mov_b32_e32 v10, 0
	v_cmp_ne_u16_sdwa s[8:9], v16, v10 src0_sel:BYTE_3 src1_sel:DWORD
	s_andn2_b64 s[4:5], s[4:5], exec
	s_and_b64 s[8:9], s[8:9], exec
	s_or_b64 s[4:5], s[4:5], s[8:9]
	s_or_b64 exec, exec, s[6:7]
	s_and_saveexec_b64 s[6:7], s[4:5]
	s_cbranch_execnz .LBB52_603
	s_branch .LBB52_604
.LBB52_2653:
	s_movk_i32 s4, 0x80
	v_cmp_eq_u16_sdwa s[12:13], v12, s4 src0_sel:BYTE_3 src1_sel:DWORD
	s_mov_b64 s[4:5], -1
                                        ; implicit-def: $sgpr10
	s_and_saveexec_b64 s[8:9], s[12:13]
; %bb.2654:
	s_mov_b32 s10, 0x7f800001
	s_xor_b64 s[4:5], exec, -1
; %bb.2655:
	s_or_b64 exec, exec, s[8:9]
	s_and_b64 s[4:5], s[4:5], exec
	s_or_saveexec_b64 s[6:7], s[6:7]
	v_mov_b32_e32 v11, s10
	s_xor_b64 exec, exec, s[6:7]
	s_cbranch_execz .LBB52_606
.LBB52_2656:
	v_mov_b32_e32 v11, 0
	v_cmp_ne_u16_sdwa s[8:9], v12, v11 src0_sel:BYTE_3 src1_sel:DWORD
	s_andn2_b64 s[4:5], s[4:5], exec
	s_and_b64 s[8:9], s[8:9], exec
	s_or_b64 s[4:5], s[4:5], s[8:9]
	s_or_b64 exec, exec, s[6:7]
	s_and_saveexec_b64 s[6:7], s[4:5]
	s_cbranch_execnz .LBB52_607
	s_branch .LBB52_608
.LBB52_2657:
	s_movk_i32 s4, 0x80
	v_cmp_eq_u16_sdwa s[12:13], v17, s4 src0_sel:BYTE_0 src1_sel:DWORD
	s_mov_b64 s[4:5], -1
                                        ; implicit-def: $sgpr10
	s_and_saveexec_b64 s[8:9], s[12:13]
; %bb.2658:
	s_mov_b32 s10, 0x7f800001
	s_xor_b64 s[4:5], exec, -1
; %bb.2659:
	s_or_b64 exec, exec, s[8:9]
	s_and_b64 s[4:5], s[4:5], exec
	s_or_saveexec_b64 s[6:7], s[6:7]
	v_mov_b32_e32 v10, s10
	s_xor_b64 exec, exec, s[6:7]
	s_cbranch_execz .LBB52_610
.LBB52_2660:
	v_mov_b32_e32 v10, 0
	v_cmp_ne_u16_sdwa s[8:9], v17, v10 src0_sel:BYTE_0 src1_sel:DWORD
	s_andn2_b64 s[4:5], s[4:5], exec
	s_and_b64 s[8:9], s[8:9], exec
	s_or_b64 s[4:5], s[4:5], s[8:9]
	s_or_b64 exec, exec, s[6:7]
	s_and_saveexec_b64 s[6:7], s[4:5]
	s_cbranch_execnz .LBB52_611
	s_branch .LBB52_612
.LBB52_2661:
	s_movk_i32 s4, 0x80
	v_cmp_eq_u16_sdwa s[12:13], v13, s4 src0_sel:BYTE_0 src1_sel:DWORD
	s_mov_b64 s[4:5], -1
                                        ; implicit-def: $sgpr10
	s_and_saveexec_b64 s[8:9], s[12:13]
; %bb.2662:
	s_mov_b32 s10, 0x7f800001
	s_xor_b64 s[4:5], exec, -1
; %bb.2663:
	s_or_b64 exec, exec, s[8:9]
	s_and_b64 s[4:5], s[4:5], exec
	s_or_saveexec_b64 s[6:7], s[6:7]
	v_mov_b32_e32 v11, s10
	s_xor_b64 exec, exec, s[6:7]
	s_cbranch_execz .LBB52_614
.LBB52_2664:
	v_mov_b32_e32 v11, 0
	v_cmp_ne_u16_sdwa s[8:9], v13, v11 src0_sel:BYTE_0 src1_sel:DWORD
	s_andn2_b64 s[4:5], s[4:5], exec
	s_and_b64 s[8:9], s[8:9], exec
	s_or_b64 s[4:5], s[4:5], s[8:9]
	s_or_b64 exec, exec, s[6:7]
	s_and_saveexec_b64 s[6:7], s[4:5]
	s_cbranch_execnz .LBB52_615
	s_branch .LBB52_616
.LBB52_2665:
	s_movk_i32 s4, 0x80
	v_cmp_eq_u16_sdwa s[12:13], v11, s4 src0_sel:BYTE_0 src1_sel:DWORD
	s_mov_b64 s[4:5], -1
                                        ; implicit-def: $sgpr10
	s_and_saveexec_b64 s[8:9], s[12:13]
; %bb.2666:
	s_mov_b32 s10, 0x7f800001
	s_xor_b64 s[4:5], exec, -1
; %bb.2667:
	s_or_b64 exec, exec, s[8:9]
	s_and_b64 s[4:5], s[4:5], exec
	s_or_saveexec_b64 s[6:7], s[6:7]
	v_mov_b32_e32 v10, s10
	s_xor_b64 exec, exec, s[6:7]
	s_cbranch_execz .LBB52_618
.LBB52_2668:
	v_mov_b32_e32 v10, 0
	v_cmp_ne_u16_sdwa s[8:9], v11, v10 src0_sel:BYTE_0 src1_sel:DWORD
	s_andn2_b64 s[4:5], s[4:5], exec
	s_and_b64 s[8:9], s[8:9], exec
	s_or_b64 s[4:5], s[4:5], s[8:9]
	s_or_b64 exec, exec, s[6:7]
	s_and_saveexec_b64 s[6:7], s[4:5]
	s_cbranch_execnz .LBB52_619
	s_branch .LBB52_620
.LBB52_2669:
	s_movk_i32 s4, 0x80
	v_cmp_eq_u16_sdwa s[12:13], v11, s4 src0_sel:BYTE_0 src1_sel:DWORD
	s_mov_b64 s[4:5], -1
                                        ; implicit-def: $sgpr10
	s_and_saveexec_b64 s[8:9], s[12:13]
; %bb.2670:
	s_mov_b32 s10, 0x7f800001
	s_xor_b64 s[4:5], exec, -1
; %bb.2671:
	s_or_b64 exec, exec, s[8:9]
	s_and_b64 s[4:5], s[4:5], exec
	s_or_saveexec_b64 s[6:7], s[6:7]
	v_mov_b32_e32 v12, s10
	s_xor_b64 exec, exec, s[6:7]
	s_cbranch_execz .LBB52_622
.LBB52_2672:
	v_mov_b32_e32 v12, 0
	v_cmp_ne_u16_sdwa s[8:9], v11, v12 src0_sel:BYTE_0 src1_sel:DWORD
	s_andn2_b64 s[4:5], s[4:5], exec
	s_and_b64 s[8:9], s[8:9], exec
	s_or_b64 s[4:5], s[4:5], s[8:9]
	s_or_b64 exec, exec, s[6:7]
	s_and_saveexec_b64 s[6:7], s[4:5]
	s_cbranch_execnz .LBB52_623
	s_branch .LBB52_624
.LBB52_2673:
	s_movk_i32 s4, 0x80
	v_cmp_eq_u16_e32 vcc, s4, v11
	s_mov_b64 s[4:5], -1
                                        ; implicit-def: $sgpr10
	s_and_saveexec_b64 s[8:9], vcc
; %bb.2674:
	s_mov_b32 s10, 0x7f800001
	s_xor_b64 s[4:5], exec, -1
; %bb.2675:
	s_or_b64 exec, exec, s[8:9]
	s_and_b64 s[4:5], s[4:5], exec
                                        ; implicit-def: $vgpr11
	s_or_saveexec_b64 s[6:7], s[6:7]
	v_mov_b32_e32 v10, s10
	s_xor_b64 exec, exec, s[6:7]
	s_cbranch_execz .LBB52_626
.LBB52_2676:
	v_cmp_ne_u16_e32 vcc, 0, v11
	s_andn2_b64 s[4:5], s[4:5], exec
	s_and_b64 s[8:9], vcc, exec
	v_mov_b32_e32 v10, 0
	s_or_b64 s[4:5], s[4:5], s[8:9]
	s_or_b64 exec, exec, s[6:7]
	s_and_saveexec_b64 s[6:7], s[4:5]
	s_cbranch_execnz .LBB52_627
	s_branch .LBB52_628
.LBB52_2677:
	s_movk_i32 s4, 0x80
	v_cmp_eq_u16_e32 vcc, s4, v11
	s_mov_b64 s[4:5], -1
                                        ; implicit-def: $sgpr10
	s_and_saveexec_b64 s[8:9], vcc
; %bb.2678:
	s_mov_b32 s10, 0x7f800001
	s_xor_b64 s[4:5], exec, -1
; %bb.2679:
	s_or_b64 exec, exec, s[8:9]
	s_and_b64 s[4:5], s[4:5], exec
                                        ; implicit-def: $vgpr11
	s_or_saveexec_b64 s[6:7], s[6:7]
	v_mov_b32_e32 v12, s10
	s_xor_b64 exec, exec, s[6:7]
	s_cbranch_execz .LBB52_630
.LBB52_2680:
	v_cmp_ne_u16_e32 vcc, 0, v11
	s_andn2_b64 s[4:5], s[4:5], exec
	s_and_b64 s[8:9], vcc, exec
	v_mov_b32_e32 v12, 0
	s_or_b64 s[4:5], s[4:5], s[8:9]
	s_or_b64 exec, exec, s[6:7]
	s_and_saveexec_b64 s[6:7], s[4:5]
	s_cbranch_execnz .LBB52_631
	s_branch .LBB52_632
.LBB52_2681:
	s_movk_i32 s4, 0x80
	v_cmp_eq_u16_sdwa s[12:13], v17, s4 src0_sel:BYTE_3 src1_sel:DWORD
	s_mov_b64 s[4:5], -1
                                        ; implicit-def: $sgpr10
	s_and_saveexec_b64 s[8:9], s[12:13]
; %bb.2682:
	s_mov_b32 s10, 0x7f800001
	s_xor_b64 s[4:5], exec, -1
; %bb.2683:
	s_or_b64 exec, exec, s[8:9]
	s_and_b64 s[4:5], s[4:5], exec
	s_or_saveexec_b64 s[6:7], s[6:7]
	v_mov_b32_e32 v10, s10
	s_xor_b64 exec, exec, s[6:7]
	s_cbranch_execz .LBB52_634
.LBB52_2684:
	v_mov_b32_e32 v10, 0
	v_cmp_ne_u16_sdwa s[8:9], v17, v10 src0_sel:BYTE_3 src1_sel:DWORD
	s_andn2_b64 s[4:5], s[4:5], exec
	s_and_b64 s[8:9], s[8:9], exec
	s_or_b64 s[4:5], s[4:5], s[8:9]
	s_or_b64 exec, exec, s[6:7]
	s_and_saveexec_b64 s[6:7], s[4:5]
	s_cbranch_execnz .LBB52_635
	s_branch .LBB52_636
.LBB52_2685:
	s_movk_i32 s4, 0x80
	v_cmp_eq_u16_sdwa s[12:13], v13, s4 src0_sel:BYTE_3 src1_sel:DWORD
	s_mov_b64 s[4:5], -1
                                        ; implicit-def: $sgpr10
	s_and_saveexec_b64 s[8:9], s[12:13]
; %bb.2686:
	s_mov_b32 s10, 0x7f800001
	s_xor_b64 s[4:5], exec, -1
; %bb.2687:
	s_or_b64 exec, exec, s[8:9]
	s_and_b64 s[4:5], s[4:5], exec
	s_or_saveexec_b64 s[6:7], s[6:7]
	v_mov_b32_e32 v11, s10
	s_xor_b64 exec, exec, s[6:7]
	s_cbranch_execz .LBB52_638
.LBB52_2688:
	v_mov_b32_e32 v11, 0
	v_cmp_ne_u16_sdwa s[8:9], v13, v11 src0_sel:BYTE_3 src1_sel:DWORD
	s_andn2_b64 s[4:5], s[4:5], exec
	s_and_b64 s[8:9], s[8:9], exec
	s_or_b64 s[4:5], s[4:5], s[8:9]
	s_or_b64 exec, exec, s[6:7]
	s_and_saveexec_b64 s[6:7], s[4:5]
	s_cbranch_execnz .LBB52_639
	s_branch .LBB52_640
.LBB52_2689:
	s_movk_i32 s4, 0x80
	v_cmp_eq_u16_sdwa s[12:13], v6, s4 src0_sel:BYTE_0 src1_sel:DWORD
	s_mov_b64 s[4:5], -1
                                        ; implicit-def: $sgpr10
	s_and_saveexec_b64 s[8:9], s[12:13]
; %bb.2690:
	s_mov_b32 s10, 0x7f800001
	s_xor_b64 s[4:5], exec, -1
; %bb.2691:
	s_or_b64 exec, exec, s[8:9]
	s_and_b64 s[4:5], s[4:5], exec
	s_or_saveexec_b64 s[6:7], s[6:7]
	v_mov_b32_e32 v10, s10
	s_xor_b64 exec, exec, s[6:7]
	s_cbranch_execz .LBB52_642
.LBB52_2692:
	v_mov_b32_e32 v10, 0
	v_cmp_ne_u16_sdwa s[8:9], v6, v10 src0_sel:BYTE_0 src1_sel:DWORD
	s_andn2_b64 s[4:5], s[4:5], exec
	s_and_b64 s[8:9], s[8:9], exec
	s_or_b64 s[4:5], s[4:5], s[8:9]
	s_or_b64 exec, exec, s[6:7]
	s_and_saveexec_b64 s[6:7], s[4:5]
	s_cbranch_execnz .LBB52_643
	s_branch .LBB52_644
.LBB52_2693:
	s_movk_i32 s4, 0x80
	v_cmp_eq_u16_sdwa s[12:13], v2, s4 src0_sel:BYTE_0 src1_sel:DWORD
	s_mov_b64 s[4:5], -1
                                        ; implicit-def: $sgpr10
	s_and_saveexec_b64 s[8:9], s[12:13]
; %bb.2694:
	s_mov_b32 s10, 0x7f800001
	s_xor_b64 s[4:5], exec, -1
; %bb.2695:
	s_or_b64 exec, exec, s[8:9]
	s_and_b64 s[4:5], s[4:5], exec
	s_or_saveexec_b64 s[6:7], s[6:7]
	v_mov_b32_e32 v11, s10
	s_xor_b64 exec, exec, s[6:7]
	s_cbranch_execz .LBB52_646
.LBB52_2696:
	v_mov_b32_e32 v11, 0
	v_cmp_ne_u16_sdwa s[8:9], v2, v11 src0_sel:BYTE_0 src1_sel:DWORD
	s_andn2_b64 s[4:5], s[4:5], exec
	s_and_b64 s[8:9], s[8:9], exec
	s_or_b64 s[4:5], s[4:5], s[8:9]
	s_or_b64 exec, exec, s[6:7]
	s_and_saveexec_b64 s[6:7], s[4:5]
	s_cbranch_execnz .LBB52_647
	s_branch .LBB52_648
.LBB52_2697:
	s_movk_i32 s4, 0x80
	v_cmp_eq_u16_sdwa s[12:13], v11, s4 src0_sel:BYTE_0 src1_sel:DWORD
	s_mov_b64 s[4:5], -1
                                        ; implicit-def: $sgpr10
	s_and_saveexec_b64 s[8:9], s[12:13]
; %bb.2698:
	s_mov_b32 s10, 0x7f800001
	s_xor_b64 s[4:5], exec, -1
; %bb.2699:
	s_or_b64 exec, exec, s[8:9]
	s_and_b64 s[4:5], s[4:5], exec
	s_or_saveexec_b64 s[6:7], s[6:7]
	v_mov_b32_e32 v10, s10
	s_xor_b64 exec, exec, s[6:7]
	s_cbranch_execz .LBB52_650
.LBB52_2700:
	v_mov_b32_e32 v10, 0
	v_cmp_ne_u16_sdwa s[8:9], v11, v10 src0_sel:BYTE_0 src1_sel:DWORD
	s_andn2_b64 s[4:5], s[4:5], exec
	s_and_b64 s[8:9], s[8:9], exec
	s_or_b64 s[4:5], s[4:5], s[8:9]
	s_or_b64 exec, exec, s[6:7]
	s_and_saveexec_b64 s[6:7], s[4:5]
	s_cbranch_execnz .LBB52_651
	s_branch .LBB52_652
.LBB52_2701:
	s_movk_i32 s4, 0x80
	v_cmp_eq_u16_sdwa s[12:13], v11, s4 src0_sel:BYTE_0 src1_sel:DWORD
	s_mov_b64 s[4:5], -1
                                        ; implicit-def: $sgpr10
	s_and_saveexec_b64 s[8:9], s[12:13]
; %bb.2702:
	s_mov_b32 s10, 0x7f800001
	s_xor_b64 s[4:5], exec, -1
; %bb.2703:
	s_or_b64 exec, exec, s[8:9]
	s_and_b64 s[4:5], s[4:5], exec
	s_or_saveexec_b64 s[6:7], s[6:7]
	v_mov_b32_e32 v12, s10
	s_xor_b64 exec, exec, s[6:7]
	s_cbranch_execz .LBB52_654
.LBB52_2704:
	v_mov_b32_e32 v12, 0
	v_cmp_ne_u16_sdwa s[8:9], v11, v12 src0_sel:BYTE_0 src1_sel:DWORD
	s_andn2_b64 s[4:5], s[4:5], exec
	s_and_b64 s[8:9], s[8:9], exec
	s_or_b64 s[4:5], s[4:5], s[8:9]
	s_or_b64 exec, exec, s[6:7]
	s_and_saveexec_b64 s[6:7], s[4:5]
	s_cbranch_execnz .LBB52_655
	s_branch .LBB52_656
.LBB52_2705:
	s_movk_i32 s4, 0x80
	v_cmp_eq_u16_e32 vcc, s4, v11
	s_mov_b64 s[4:5], -1
                                        ; implicit-def: $sgpr10
	s_and_saveexec_b64 s[8:9], vcc
; %bb.2706:
	s_mov_b32 s10, 0x7f800001
	s_xor_b64 s[4:5], exec, -1
; %bb.2707:
	s_or_b64 exec, exec, s[8:9]
	s_and_b64 s[4:5], s[4:5], exec
                                        ; implicit-def: $vgpr11
	s_or_saveexec_b64 s[6:7], s[6:7]
	v_mov_b32_e32 v10, s10
	s_xor_b64 exec, exec, s[6:7]
	s_cbranch_execz .LBB52_658
.LBB52_2708:
	v_cmp_ne_u16_e32 vcc, 0, v11
	s_andn2_b64 s[4:5], s[4:5], exec
	s_and_b64 s[8:9], vcc, exec
	v_mov_b32_e32 v10, 0
	s_or_b64 s[4:5], s[4:5], s[8:9]
	s_or_b64 exec, exec, s[6:7]
	s_and_saveexec_b64 s[6:7], s[4:5]
	s_cbranch_execnz .LBB52_659
	s_branch .LBB52_660
.LBB52_2709:
	s_movk_i32 s4, 0x80
	v_cmp_eq_u16_e32 vcc, s4, v11
	s_mov_b64 s[4:5], -1
                                        ; implicit-def: $sgpr10
	s_and_saveexec_b64 s[8:9], vcc
; %bb.2710:
	s_mov_b32 s10, 0x7f800001
	s_xor_b64 s[4:5], exec, -1
; %bb.2711:
	s_or_b64 exec, exec, s[8:9]
	s_and_b64 s[4:5], s[4:5], exec
                                        ; implicit-def: $vgpr11
	s_or_saveexec_b64 s[6:7], s[6:7]
	v_mov_b32_e32 v12, s10
	s_xor_b64 exec, exec, s[6:7]
	s_cbranch_execz .LBB52_662
.LBB52_2712:
	v_cmp_ne_u16_e32 vcc, 0, v11
	s_andn2_b64 s[4:5], s[4:5], exec
	s_and_b64 s[8:9], vcc, exec
	v_mov_b32_e32 v12, 0
	s_or_b64 s[4:5], s[4:5], s[8:9]
	s_or_b64 exec, exec, s[6:7]
	s_and_saveexec_b64 s[6:7], s[4:5]
	s_cbranch_execnz .LBB52_663
	s_branch .LBB52_664
.LBB52_2713:
	s_movk_i32 s4, 0x80
	v_cmp_eq_u16_sdwa s[12:13], v6, s4 src0_sel:BYTE_3 src1_sel:DWORD
	s_mov_b64 s[4:5], -1
                                        ; implicit-def: $sgpr10
	s_and_saveexec_b64 s[8:9], s[12:13]
; %bb.2714:
	s_mov_b32 s10, 0x7f800001
	s_xor_b64 s[4:5], exec, -1
; %bb.2715:
	s_or_b64 exec, exec, s[8:9]
	s_and_b64 s[4:5], s[4:5], exec
	s_or_saveexec_b64 s[6:7], s[6:7]
	v_mov_b32_e32 v10, s10
	s_xor_b64 exec, exec, s[6:7]
	s_cbranch_execz .LBB52_666
.LBB52_2716:
	v_mov_b32_e32 v10, 0
	v_cmp_ne_u16_sdwa s[8:9], v6, v10 src0_sel:BYTE_3 src1_sel:DWORD
	s_andn2_b64 s[4:5], s[4:5], exec
	s_and_b64 s[8:9], s[8:9], exec
	s_or_b64 s[4:5], s[4:5], s[8:9]
	s_or_b64 exec, exec, s[6:7]
	s_and_saveexec_b64 s[6:7], s[4:5]
	s_cbranch_execnz .LBB52_667
	s_branch .LBB52_668
.LBB52_2717:
	s_movk_i32 s4, 0x80
	v_cmp_eq_u16_sdwa s[12:13], v2, s4 src0_sel:BYTE_3 src1_sel:DWORD
	s_mov_b64 s[4:5], -1
                                        ; implicit-def: $sgpr10
	s_and_saveexec_b64 s[8:9], s[12:13]
; %bb.2718:
	s_mov_b32 s10, 0x7f800001
	s_xor_b64 s[4:5], exec, -1
; %bb.2719:
	s_or_b64 exec, exec, s[8:9]
	s_and_b64 s[4:5], s[4:5], exec
	s_or_saveexec_b64 s[6:7], s[6:7]
	v_mov_b32_e32 v6, s10
	s_xor_b64 exec, exec, s[6:7]
	s_cbranch_execz .LBB52_670
.LBB52_2720:
	v_mov_b32_e32 v6, 0
	v_cmp_ne_u16_sdwa s[8:9], v2, v6 src0_sel:BYTE_3 src1_sel:DWORD
	s_andn2_b64 s[4:5], s[4:5], exec
	s_and_b64 s[8:9], s[8:9], exec
	s_or_b64 s[4:5], s[4:5], s[8:9]
	s_or_b64 exec, exec, s[6:7]
	s_and_saveexec_b64 s[6:7], s[4:5]
	s_cbranch_execnz .LBB52_671
	s_branch .LBB52_672
.LBB52_2721:
	s_movk_i32 s4, 0x80
	v_cmp_eq_u16_sdwa s[12:13], v7, s4 src0_sel:BYTE_0 src1_sel:DWORD
	s_mov_b64 s[4:5], -1
                                        ; implicit-def: $sgpr10
	s_and_saveexec_b64 s[8:9], s[12:13]
; %bb.2722:
	s_mov_b32 s10, 0x7f800001
	s_xor_b64 s[4:5], exec, -1
; %bb.2723:
	s_or_b64 exec, exec, s[8:9]
	s_and_b64 s[4:5], s[4:5], exec
	s_or_saveexec_b64 s[6:7], s[6:7]
	v_mov_b32_e32 v2, s10
	s_xor_b64 exec, exec, s[6:7]
	s_cbranch_execz .LBB52_674
.LBB52_2724:
	v_mov_b32_e32 v2, 0
	v_cmp_ne_u16_sdwa s[8:9], v7, v2 src0_sel:BYTE_0 src1_sel:DWORD
	s_andn2_b64 s[4:5], s[4:5], exec
	s_and_b64 s[8:9], s[8:9], exec
	s_or_b64 s[4:5], s[4:5], s[8:9]
	s_or_b64 exec, exec, s[6:7]
	s_and_saveexec_b64 s[6:7], s[4:5]
	s_cbranch_execnz .LBB52_675
	s_branch .LBB52_676
.LBB52_2725:
	s_movk_i32 s4, 0x80
	v_cmp_eq_u16_sdwa s[12:13], v3, s4 src0_sel:BYTE_0 src1_sel:DWORD
	s_mov_b64 s[4:5], -1
                                        ; implicit-def: $sgpr10
	s_and_saveexec_b64 s[8:9], s[12:13]
; %bb.2726:
	s_mov_b32 s10, 0x7f800001
	s_xor_b64 s[4:5], exec, -1
; %bb.2727:
	s_or_b64 exec, exec, s[8:9]
	s_and_b64 s[4:5], s[4:5], exec
	s_or_saveexec_b64 s[6:7], s[6:7]
	v_mov_b32_e32 v6, s10
	s_xor_b64 exec, exec, s[6:7]
	s_cbranch_execz .LBB52_678
.LBB52_2728:
	v_mov_b32_e32 v6, 0
	v_cmp_ne_u16_sdwa s[8:9], v3, v6 src0_sel:BYTE_0 src1_sel:DWORD
	s_andn2_b64 s[4:5], s[4:5], exec
	s_and_b64 s[8:9], s[8:9], exec
	s_or_b64 s[4:5], s[4:5], s[8:9]
	s_or_b64 exec, exec, s[6:7]
	s_and_saveexec_b64 s[6:7], s[4:5]
	s_cbranch_execnz .LBB52_679
	s_branch .LBB52_680
.LBB52_2729:
	s_movk_i32 s4, 0x80
	v_cmp_eq_u16_sdwa s[12:13], v6, s4 src0_sel:BYTE_0 src1_sel:DWORD
	s_mov_b64 s[4:5], -1
                                        ; implicit-def: $sgpr10
	s_and_saveexec_b64 s[8:9], s[12:13]
; %bb.2730:
	s_mov_b32 s10, 0x7f800001
	s_xor_b64 s[4:5], exec, -1
; %bb.2731:
	s_or_b64 exec, exec, s[8:9]
	s_and_b64 s[4:5], s[4:5], exec
	s_or_saveexec_b64 s[6:7], s[6:7]
	v_mov_b32_e32 v2, s10
	s_xor_b64 exec, exec, s[6:7]
	s_cbranch_execz .LBB52_682
.LBB52_2732:
	v_mov_b32_e32 v2, 0
	v_cmp_ne_u16_sdwa s[8:9], v6, v2 src0_sel:BYTE_0 src1_sel:DWORD
	s_andn2_b64 s[4:5], s[4:5], exec
	s_and_b64 s[8:9], s[8:9], exec
	s_or_b64 s[4:5], s[4:5], s[8:9]
	s_or_b64 exec, exec, s[6:7]
	s_and_saveexec_b64 s[6:7], s[4:5]
	s_cbranch_execnz .LBB52_683
	s_branch .LBB52_684
.LBB52_2733:
	s_movk_i32 s4, 0x80
	v_cmp_eq_u16_sdwa s[12:13], v6, s4 src0_sel:BYTE_0 src1_sel:DWORD
	s_mov_b64 s[4:5], -1
                                        ; implicit-def: $sgpr10
	s_and_saveexec_b64 s[8:9], s[12:13]
; %bb.2734:
	s_mov_b32 s10, 0x7f800001
	s_xor_b64 s[4:5], exec, -1
; %bb.2735:
	s_or_b64 exec, exec, s[8:9]
	s_and_b64 s[4:5], s[4:5], exec
	s_or_saveexec_b64 s[6:7], s[6:7]
	v_mov_b32_e32 v10, s10
	s_xor_b64 exec, exec, s[6:7]
	s_cbranch_execz .LBB52_686
.LBB52_2736:
	v_mov_b32_e32 v10, 0
	v_cmp_ne_u16_sdwa s[8:9], v6, v10 src0_sel:BYTE_0 src1_sel:DWORD
	s_andn2_b64 s[4:5], s[4:5], exec
	s_and_b64 s[8:9], s[8:9], exec
	s_or_b64 s[4:5], s[4:5], s[8:9]
	s_or_b64 exec, exec, s[6:7]
	s_and_saveexec_b64 s[6:7], s[4:5]
	s_cbranch_execnz .LBB52_687
	s_branch .LBB52_688
.LBB52_2737:
	s_movk_i32 s4, 0x80
	v_cmp_eq_u16_e32 vcc, s4, v6
	s_mov_b64 s[4:5], -1
                                        ; implicit-def: $sgpr10
	s_and_saveexec_b64 s[8:9], vcc
; %bb.2738:
	s_mov_b32 s10, 0x7f800001
	s_xor_b64 s[4:5], exec, -1
; %bb.2739:
	s_or_b64 exec, exec, s[8:9]
	s_and_b64 s[4:5], s[4:5], exec
                                        ; implicit-def: $vgpr6
	s_or_saveexec_b64 s[6:7], s[6:7]
	v_mov_b32_e32 v2, s10
	s_xor_b64 exec, exec, s[6:7]
	s_cbranch_execz .LBB52_690
.LBB52_2740:
	v_cmp_ne_u16_e32 vcc, 0, v6
	s_andn2_b64 s[4:5], s[4:5], exec
	s_and_b64 s[8:9], vcc, exec
	v_mov_b32_e32 v2, 0
	s_or_b64 s[4:5], s[4:5], s[8:9]
	s_or_b64 exec, exec, s[6:7]
	s_and_saveexec_b64 s[6:7], s[4:5]
	s_cbranch_execnz .LBB52_691
	s_branch .LBB52_692
.LBB52_2741:
	s_movk_i32 s4, 0x80
	v_cmp_eq_u16_e32 vcc, s4, v6
	s_mov_b64 s[4:5], -1
                                        ; implicit-def: $sgpr10
	s_and_saveexec_b64 s[8:9], vcc
; %bb.2742:
	s_mov_b32 s10, 0x7f800001
	s_xor_b64 s[4:5], exec, -1
; %bb.2743:
	s_or_b64 exec, exec, s[8:9]
	s_and_b64 s[4:5], s[4:5], exec
                                        ; implicit-def: $vgpr6
	s_or_saveexec_b64 s[6:7], s[6:7]
	v_mov_b32_e32 v10, s10
	s_xor_b64 exec, exec, s[6:7]
	s_cbranch_execz .LBB52_694
.LBB52_2744:
	v_cmp_ne_u16_e32 vcc, 0, v6
	s_andn2_b64 s[4:5], s[4:5], exec
	s_and_b64 s[8:9], vcc, exec
	v_mov_b32_e32 v10, 0
	s_or_b64 s[4:5], s[4:5], s[8:9]
	s_or_b64 exec, exec, s[6:7]
	s_and_saveexec_b64 s[6:7], s[4:5]
	s_cbranch_execnz .LBB52_695
	s_branch .LBB52_696
.LBB52_2745:
	s_movk_i32 s4, 0x80
	v_cmp_eq_u16_sdwa s[12:13], v7, s4 src0_sel:BYTE_3 src1_sel:DWORD
	s_mov_b64 s[4:5], -1
                                        ; implicit-def: $sgpr10
	s_and_saveexec_b64 s[8:9], s[12:13]
; %bb.2746:
	s_mov_b32 s10, 0x7f800001
	s_xor_b64 s[4:5], exec, -1
; %bb.2747:
	s_or_b64 exec, exec, s[8:9]
	s_and_b64 s[4:5], s[4:5], exec
	s_or_saveexec_b64 s[6:7], s[6:7]
	v_mov_b32_e32 v2, s10
	s_xor_b64 exec, exec, s[6:7]
	s_cbranch_execz .LBB52_698
.LBB52_2748:
	v_mov_b32_e32 v2, 0
	v_cmp_ne_u16_sdwa s[8:9], v7, v2 src0_sel:BYTE_3 src1_sel:DWORD
	s_andn2_b64 s[4:5], s[4:5], exec
	s_and_b64 s[8:9], s[8:9], exec
	s_or_b64 s[4:5], s[4:5], s[8:9]
	s_or_b64 exec, exec, s[6:7]
	s_and_saveexec_b64 s[6:7], s[4:5]
	s_cbranch_execnz .LBB52_699
	s_branch .LBB52_700
.LBB52_2749:
	s_movk_i32 s4, 0x80
	v_cmp_eq_u16_sdwa s[12:13], v3, s4 src0_sel:BYTE_3 src1_sel:DWORD
	s_mov_b64 s[4:5], -1
                                        ; implicit-def: $sgpr10
	s_and_saveexec_b64 s[8:9], s[12:13]
; %bb.2750:
	s_mov_b32 s10, 0x7f800001
	s_xor_b64 s[4:5], exec, -1
; %bb.2751:
	s_or_b64 exec, exec, s[8:9]
	s_and_b64 s[4:5], s[4:5], exec
	s_or_saveexec_b64 s[6:7], s[6:7]
	v_mov_b32_e32 v6, s10
	s_xor_b64 exec, exec, s[6:7]
	s_cbranch_execz .LBB52_702
.LBB52_2752:
	v_mov_b32_e32 v6, 0
	v_cmp_ne_u16_sdwa s[8:9], v3, v6 src0_sel:BYTE_3 src1_sel:DWORD
	s_andn2_b64 s[4:5], s[4:5], exec
	s_and_b64 s[8:9], s[8:9], exec
	s_or_b64 s[4:5], s[4:5], s[8:9]
	s_or_b64 exec, exec, s[6:7]
	s_and_saveexec_b64 s[6:7], s[4:5]
	s_cbranch_execnz .LBB52_703
	s_branch .LBB52_704
.LBB52_2753:
	s_movk_i32 s4, 0x80
	v_cmp_eq_u16_sdwa s[12:13], v8, s4 src0_sel:BYTE_0 src1_sel:DWORD
	s_mov_b64 s[4:5], -1
                                        ; implicit-def: $sgpr10
	s_and_saveexec_b64 s[8:9], s[12:13]
; %bb.2754:
	s_mov_b32 s10, 0x7f800001
	s_xor_b64 s[4:5], exec, -1
; %bb.2755:
	s_or_b64 exec, exec, s[8:9]
	s_and_b64 s[4:5], s[4:5], exec
	s_or_saveexec_b64 s[6:7], s[6:7]
	v_mov_b32_e32 v2, s10
	s_xor_b64 exec, exec, s[6:7]
	s_cbranch_execz .LBB52_706
.LBB52_2756:
	v_mov_b32_e32 v2, 0
	v_cmp_ne_u16_sdwa s[8:9], v8, v2 src0_sel:BYTE_0 src1_sel:DWORD
	s_andn2_b64 s[4:5], s[4:5], exec
	s_and_b64 s[8:9], s[8:9], exec
	s_or_b64 s[4:5], s[4:5], s[8:9]
	s_or_b64 exec, exec, s[6:7]
	s_and_saveexec_b64 s[6:7], s[4:5]
	s_cbranch_execnz .LBB52_707
	s_branch .LBB52_708
.LBB52_2757:
	s_movk_i32 s4, 0x80
	v_cmp_eq_u16_sdwa s[12:13], v4, s4 src0_sel:BYTE_0 src1_sel:DWORD
	s_mov_b64 s[4:5], -1
                                        ; implicit-def: $sgpr10
	s_and_saveexec_b64 s[8:9], s[12:13]
; %bb.2758:
	s_mov_b32 s10, 0x7f800001
	s_xor_b64 s[4:5], exec, -1
; %bb.2759:
	s_or_b64 exec, exec, s[8:9]
	s_and_b64 s[4:5], s[4:5], exec
	s_or_saveexec_b64 s[6:7], s[6:7]
	v_mov_b32_e32 v3, s10
	s_xor_b64 exec, exec, s[6:7]
	s_cbranch_execz .LBB52_710
.LBB52_2760:
	v_mov_b32_e32 v3, 0
	v_cmp_ne_u16_sdwa s[8:9], v4, v3 src0_sel:BYTE_0 src1_sel:DWORD
	s_andn2_b64 s[4:5], s[4:5], exec
	s_and_b64 s[8:9], s[8:9], exec
	s_or_b64 s[4:5], s[4:5], s[8:9]
	s_or_b64 exec, exec, s[6:7]
	s_and_saveexec_b64 s[6:7], s[4:5]
	s_cbranch_execnz .LBB52_711
	s_branch .LBB52_712
.LBB52_2761:
	s_movk_i32 s4, 0x80
	v_cmp_eq_u16_sdwa s[12:13], v3, s4 src0_sel:BYTE_0 src1_sel:DWORD
	s_mov_b64 s[4:5], -1
                                        ; implicit-def: $sgpr10
	s_and_saveexec_b64 s[8:9], s[12:13]
; %bb.2762:
	s_mov_b32 s10, 0x7f800001
	s_xor_b64 s[4:5], exec, -1
; %bb.2763:
	s_or_b64 exec, exec, s[8:9]
	s_and_b64 s[4:5], s[4:5], exec
	s_or_saveexec_b64 s[6:7], s[6:7]
	v_mov_b32_e32 v2, s10
	s_xor_b64 exec, exec, s[6:7]
	s_cbranch_execz .LBB52_714
.LBB52_2764:
	v_mov_b32_e32 v2, 0
	v_cmp_ne_u16_sdwa s[8:9], v3, v2 src0_sel:BYTE_0 src1_sel:DWORD
	s_andn2_b64 s[4:5], s[4:5], exec
	s_and_b64 s[8:9], s[8:9], exec
	s_or_b64 s[4:5], s[4:5], s[8:9]
	s_or_b64 exec, exec, s[6:7]
	s_and_saveexec_b64 s[6:7], s[4:5]
	s_cbranch_execnz .LBB52_715
	s_branch .LBB52_716
.LBB52_2765:
	s_movk_i32 s4, 0x80
	v_cmp_eq_u16_sdwa s[12:13], v3, s4 src0_sel:BYTE_0 src1_sel:DWORD
	s_mov_b64 s[4:5], -1
                                        ; implicit-def: $sgpr10
	s_and_saveexec_b64 s[8:9], s[12:13]
; %bb.2766:
	s_mov_b32 s10, 0x7f800001
	s_xor_b64 s[4:5], exec, -1
; %bb.2767:
	s_or_b64 exec, exec, s[8:9]
	s_and_b64 s[4:5], s[4:5], exec
	s_or_saveexec_b64 s[6:7], s[6:7]
	v_mov_b32_e32 v6, s10
	s_xor_b64 exec, exec, s[6:7]
	s_cbranch_execz .LBB52_718
.LBB52_2768:
	v_mov_b32_e32 v6, 0
	v_cmp_ne_u16_sdwa s[8:9], v3, v6 src0_sel:BYTE_0 src1_sel:DWORD
	s_andn2_b64 s[4:5], s[4:5], exec
	s_and_b64 s[8:9], s[8:9], exec
	s_or_b64 s[4:5], s[4:5], s[8:9]
	s_or_b64 exec, exec, s[6:7]
	s_and_saveexec_b64 s[6:7], s[4:5]
	s_cbranch_execnz .LBB52_719
	s_branch .LBB52_720
.LBB52_2769:
	s_movk_i32 s4, 0x80
	v_cmp_eq_u16_e32 vcc, s4, v3
	s_mov_b64 s[4:5], -1
                                        ; implicit-def: $sgpr10
	s_and_saveexec_b64 s[8:9], vcc
; %bb.2770:
	s_mov_b32 s10, 0x7f800001
	s_xor_b64 s[4:5], exec, -1
; %bb.2771:
	s_or_b64 exec, exec, s[8:9]
	s_and_b64 s[4:5], s[4:5], exec
                                        ; implicit-def: $vgpr3
	s_or_saveexec_b64 s[6:7], s[6:7]
	v_mov_b32_e32 v2, s10
	s_xor_b64 exec, exec, s[6:7]
	s_cbranch_execz .LBB52_722
.LBB52_2772:
	v_cmp_ne_u16_e32 vcc, 0, v3
	s_andn2_b64 s[4:5], s[4:5], exec
	s_and_b64 s[8:9], vcc, exec
	v_mov_b32_e32 v2, 0
	s_or_b64 s[4:5], s[4:5], s[8:9]
	s_or_b64 exec, exec, s[6:7]
	s_and_saveexec_b64 s[6:7], s[4:5]
	s_cbranch_execnz .LBB52_723
	s_branch .LBB52_724
.LBB52_2773:
	s_movk_i32 s4, 0x80
	v_cmp_eq_u16_e32 vcc, s4, v3
	s_mov_b64 s[4:5], -1
                                        ; implicit-def: $sgpr10
	s_and_saveexec_b64 s[8:9], vcc
; %bb.2774:
	s_mov_b32 s10, 0x7f800001
	s_xor_b64 s[4:5], exec, -1
; %bb.2775:
	s_or_b64 exec, exec, s[8:9]
	s_and_b64 s[4:5], s[4:5], exec
                                        ; implicit-def: $vgpr3
	s_or_saveexec_b64 s[6:7], s[6:7]
	v_mov_b32_e32 v6, s10
	s_xor_b64 exec, exec, s[6:7]
	s_cbranch_execz .LBB52_726
.LBB52_2776:
	v_cmp_ne_u16_e32 vcc, 0, v3
	s_andn2_b64 s[4:5], s[4:5], exec
	s_and_b64 s[8:9], vcc, exec
	v_mov_b32_e32 v6, 0
	s_or_b64 s[4:5], s[4:5], s[8:9]
	s_or_b64 exec, exec, s[6:7]
	s_and_saveexec_b64 s[6:7], s[4:5]
	s_cbranch_execnz .LBB52_727
	s_branch .LBB52_728
.LBB52_2777:
	s_movk_i32 s4, 0x80
	v_cmp_eq_u16_sdwa s[12:13], v8, s4 src0_sel:BYTE_3 src1_sel:DWORD
	s_mov_b64 s[4:5], -1
                                        ; implicit-def: $sgpr10
	s_and_saveexec_b64 s[8:9], s[12:13]
; %bb.2778:
	s_mov_b32 s10, 0x7f800001
	s_xor_b64 s[4:5], exec, -1
; %bb.2779:
	s_or_b64 exec, exec, s[8:9]
	s_and_b64 s[4:5], s[4:5], exec
	s_or_saveexec_b64 s[6:7], s[6:7]
	v_mov_b32_e32 v2, s10
	s_xor_b64 exec, exec, s[6:7]
	s_cbranch_execz .LBB52_730
.LBB52_2780:
	v_mov_b32_e32 v2, 0
	v_cmp_ne_u16_sdwa s[8:9], v8, v2 src0_sel:BYTE_3 src1_sel:DWORD
	s_andn2_b64 s[4:5], s[4:5], exec
	s_and_b64 s[8:9], s[8:9], exec
	s_or_b64 s[4:5], s[4:5], s[8:9]
	s_or_b64 exec, exec, s[6:7]
	s_and_saveexec_b64 s[6:7], s[4:5]
	s_cbranch_execnz .LBB52_731
	s_branch .LBB52_732
.LBB52_2781:
	s_movk_i32 s4, 0x80
	v_cmp_eq_u16_sdwa s[12:13], v4, s4 src0_sel:BYTE_3 src1_sel:DWORD
	s_mov_b64 s[4:5], -1
                                        ; implicit-def: $sgpr10
	s_and_saveexec_b64 s[8:9], s[12:13]
; %bb.2782:
	s_mov_b32 s10, 0x7f800001
	s_xor_b64 s[4:5], exec, -1
; %bb.2783:
	s_or_b64 exec, exec, s[8:9]
	s_and_b64 s[4:5], s[4:5], exec
	s_or_saveexec_b64 s[6:7], s[6:7]
	v_mov_b32_e32 v3, s10
	s_xor_b64 exec, exec, s[6:7]
	s_cbranch_execz .LBB52_734
.LBB52_2784:
	v_mov_b32_e32 v3, 0
	v_cmp_ne_u16_sdwa s[8:9], v4, v3 src0_sel:BYTE_3 src1_sel:DWORD
	s_andn2_b64 s[4:5], s[4:5], exec
	s_and_b64 s[8:9], s[8:9], exec
	s_or_b64 s[4:5], s[4:5], s[8:9]
	s_or_b64 exec, exec, s[6:7]
	s_and_saveexec_b64 s[6:7], s[4:5]
	s_cbranch_execnz .LBB52_735
	s_branch .LBB52_736
.LBB52_2785:
	s_movk_i32 s4, 0x80
	v_cmp_eq_u16_sdwa s[12:13], v9, s4 src0_sel:BYTE_0 src1_sel:DWORD
	s_mov_b64 s[4:5], -1
                                        ; implicit-def: $sgpr10
	s_and_saveexec_b64 s[8:9], s[12:13]
; %bb.2786:
	s_mov_b32 s10, 0x7f800001
	s_xor_b64 s[4:5], exec, -1
; %bb.2787:
	s_or_b64 exec, exec, s[8:9]
	s_and_b64 s[4:5], s[4:5], exec
	s_or_saveexec_b64 s[6:7], s[6:7]
	v_mov_b32_e32 v2, s10
	s_xor_b64 exec, exec, s[6:7]
	s_cbranch_execz .LBB52_738
.LBB52_2788:
	v_mov_b32_e32 v2, 0
	v_cmp_ne_u16_sdwa s[8:9], v9, v2 src0_sel:BYTE_0 src1_sel:DWORD
	s_andn2_b64 s[4:5], s[4:5], exec
	s_and_b64 s[8:9], s[8:9], exec
	s_or_b64 s[4:5], s[4:5], s[8:9]
	s_or_b64 exec, exec, s[6:7]
	s_and_saveexec_b64 s[6:7], s[4:5]
	s_cbranch_execnz .LBB52_739
	s_branch .LBB52_740
.LBB52_2789:
	s_movk_i32 s4, 0x80
	v_cmp_eq_u16_sdwa s[12:13], v5, s4 src0_sel:BYTE_0 src1_sel:DWORD
	s_mov_b64 s[4:5], -1
                                        ; implicit-def: $sgpr10
	s_and_saveexec_b64 s[8:9], s[12:13]
; %bb.2790:
	s_mov_b32 s10, 0x7f800001
	s_xor_b64 s[4:5], exec, -1
; %bb.2791:
	s_or_b64 exec, exec, s[8:9]
	s_and_b64 s[4:5], s[4:5], exec
	s_or_saveexec_b64 s[6:7], s[6:7]
	v_mov_b32_e32 v3, s10
	s_xor_b64 exec, exec, s[6:7]
	s_cbranch_execz .LBB52_742
.LBB52_2792:
	v_mov_b32_e32 v3, 0
	v_cmp_ne_u16_sdwa s[8:9], v5, v3 src0_sel:BYTE_0 src1_sel:DWORD
	s_andn2_b64 s[4:5], s[4:5], exec
	s_and_b64 s[8:9], s[8:9], exec
	s_or_b64 s[4:5], s[4:5], s[8:9]
	s_or_b64 exec, exec, s[6:7]
	s_and_saveexec_b64 s[6:7], s[4:5]
	s_cbranch_execnz .LBB52_743
	s_branch .LBB52_744
.LBB52_2793:
	s_movk_i32 s4, 0x80
	v_cmp_eq_u16_sdwa s[12:13], v3, s4 src0_sel:BYTE_0 src1_sel:DWORD
	s_mov_b64 s[4:5], -1
                                        ; implicit-def: $sgpr10
	s_and_saveexec_b64 s[8:9], s[12:13]
; %bb.2794:
	s_mov_b32 s10, 0x7f800001
	s_xor_b64 s[4:5], exec, -1
; %bb.2795:
	s_or_b64 exec, exec, s[8:9]
	s_and_b64 s[4:5], s[4:5], exec
	s_or_saveexec_b64 s[6:7], s[6:7]
	v_mov_b32_e32 v2, s10
	s_xor_b64 exec, exec, s[6:7]
	s_cbranch_execz .LBB52_746
.LBB52_2796:
	v_mov_b32_e32 v2, 0
	v_cmp_ne_u16_sdwa s[8:9], v3, v2 src0_sel:BYTE_0 src1_sel:DWORD
	s_andn2_b64 s[4:5], s[4:5], exec
	s_and_b64 s[8:9], s[8:9], exec
	s_or_b64 s[4:5], s[4:5], s[8:9]
	s_or_b64 exec, exec, s[6:7]
	s_and_saveexec_b64 s[6:7], s[4:5]
	s_cbranch_execnz .LBB52_747
	s_branch .LBB52_748
.LBB52_2797:
	s_movk_i32 s4, 0x80
	v_cmp_eq_u16_sdwa s[12:13], v3, s4 src0_sel:BYTE_0 src1_sel:DWORD
	s_mov_b64 s[4:5], -1
                                        ; implicit-def: $sgpr10
	s_and_saveexec_b64 s[8:9], s[12:13]
; %bb.2798:
	s_mov_b32 s10, 0x7f800001
	s_xor_b64 s[4:5], exec, -1
; %bb.2799:
	s_or_b64 exec, exec, s[8:9]
	s_and_b64 s[4:5], s[4:5], exec
	s_or_saveexec_b64 s[6:7], s[6:7]
	v_mov_b32_e32 v4, s10
	s_xor_b64 exec, exec, s[6:7]
	s_cbranch_execz .LBB52_750
.LBB52_2800:
	v_mov_b32_e32 v4, 0
	v_cmp_ne_u16_sdwa s[8:9], v3, v4 src0_sel:BYTE_0 src1_sel:DWORD
	s_andn2_b64 s[4:5], s[4:5], exec
	s_and_b64 s[8:9], s[8:9], exec
	s_or_b64 s[4:5], s[4:5], s[8:9]
	s_or_b64 exec, exec, s[6:7]
	s_and_saveexec_b64 s[6:7], s[4:5]
	s_cbranch_execnz .LBB52_751
	s_branch .LBB52_752
.LBB52_2801:
	s_movk_i32 s4, 0x80
	v_cmp_eq_u16_e32 vcc, s4, v3
	s_mov_b64 s[4:5], -1
                                        ; implicit-def: $sgpr10
	s_and_saveexec_b64 s[8:9], vcc
; %bb.2802:
	s_mov_b32 s10, 0x7f800001
	s_xor_b64 s[4:5], exec, -1
; %bb.2803:
	s_or_b64 exec, exec, s[8:9]
	s_and_b64 s[4:5], s[4:5], exec
                                        ; implicit-def: $vgpr3
	s_or_saveexec_b64 s[6:7], s[6:7]
	v_mov_b32_e32 v2, s10
	s_xor_b64 exec, exec, s[6:7]
	s_cbranch_execz .LBB52_754
.LBB52_2804:
	v_cmp_ne_u16_e32 vcc, 0, v3
	s_andn2_b64 s[4:5], s[4:5], exec
	s_and_b64 s[8:9], vcc, exec
	v_mov_b32_e32 v2, 0
	s_or_b64 s[4:5], s[4:5], s[8:9]
	s_or_b64 exec, exec, s[6:7]
	s_and_saveexec_b64 s[6:7], s[4:5]
	s_cbranch_execnz .LBB52_755
	s_branch .LBB52_756
.LBB52_2805:
	s_movk_i32 s4, 0x80
	v_cmp_eq_u16_e32 vcc, s4, v3
	s_mov_b64 s[4:5], -1
                                        ; implicit-def: $sgpr10
	s_and_saveexec_b64 s[8:9], vcc
; %bb.2806:
	s_mov_b32 s10, 0x7f800001
	s_xor_b64 s[4:5], exec, -1
; %bb.2807:
	s_or_b64 exec, exec, s[8:9]
	s_and_b64 s[4:5], s[4:5], exec
                                        ; implicit-def: $vgpr3
	s_or_saveexec_b64 s[6:7], s[6:7]
	v_mov_b32_e32 v4, s10
	s_xor_b64 exec, exec, s[6:7]
	s_cbranch_execz .LBB52_758
.LBB52_2808:
	v_cmp_ne_u16_e32 vcc, 0, v3
	s_andn2_b64 s[4:5], s[4:5], exec
	s_and_b64 s[8:9], vcc, exec
	v_mov_b32_e32 v4, 0
	s_or_b64 s[4:5], s[4:5], s[8:9]
	s_or_b64 exec, exec, s[6:7]
	s_and_saveexec_b64 s[6:7], s[4:5]
	s_cbranch_execnz .LBB52_759
	s_branch .LBB52_760
.LBB52_2809:
	s_movk_i32 s4, 0x80
	v_cmp_eq_u16_sdwa s[12:13], v9, s4 src0_sel:BYTE_3 src1_sel:DWORD
	s_mov_b64 s[4:5], -1
                                        ; implicit-def: $sgpr10
	s_and_saveexec_b64 s[8:9], s[12:13]
; %bb.2810:
	s_mov_b32 s10, 0x7f800001
	s_xor_b64 s[4:5], exec, -1
; %bb.2811:
	s_or_b64 exec, exec, s[8:9]
	s_and_b64 s[4:5], s[4:5], exec
	s_or_saveexec_b64 s[6:7], s[6:7]
	v_mov_b32_e32 v2, s10
	s_xor_b64 exec, exec, s[6:7]
	s_cbranch_execz .LBB52_762
.LBB52_2812:
	v_mov_b32_e32 v2, 0
	v_cmp_ne_u16_sdwa s[8:9], v9, v2 src0_sel:BYTE_3 src1_sel:DWORD
	s_andn2_b64 s[4:5], s[4:5], exec
	s_and_b64 s[8:9], s[8:9], exec
	s_or_b64 s[4:5], s[4:5], s[8:9]
	s_or_b64 exec, exec, s[6:7]
	s_and_saveexec_b64 s[6:7], s[4:5]
	s_cbranch_execnz .LBB52_763
	s_branch .LBB52_764
.LBB52_2813:
	s_movk_i32 s4, 0x80
	v_cmp_eq_u16_sdwa s[12:13], v5, s4 src0_sel:BYTE_3 src1_sel:DWORD
	s_mov_b64 s[4:5], -1
                                        ; implicit-def: $sgpr10
	s_and_saveexec_b64 s[8:9], s[12:13]
; %bb.2814:
	s_mov_b32 s10, 0x7f800001
	s_xor_b64 s[4:5], exec, -1
; %bb.2815:
	s_or_b64 exec, exec, s[8:9]
	s_and_b64 s[4:5], s[4:5], exec
	s_or_saveexec_b64 s[6:7], s[6:7]
	v_mov_b32_e32 v3, s10
	s_xor_b64 exec, exec, s[6:7]
	s_cbranch_execz .LBB52_766
.LBB52_2816:
	v_mov_b32_e32 v3, 0
	v_cmp_ne_u16_sdwa s[8:9], v5, v3 src0_sel:BYTE_3 src1_sel:DWORD
	s_andn2_b64 s[4:5], s[4:5], exec
	s_and_b64 s[8:9], s[8:9], exec
	s_or_b64 s[4:5], s[4:5], s[8:9]
	s_or_b64 exec, exec, s[6:7]
	s_and_saveexec_b64 s[6:7], s[4:5]
	s_cbranch_execnz .LBB52_767
	s_branch .LBB52_768
.LBB52_2817:
	s_movk_i32 s4, 0x80
	v_cmp_eq_u16_sdwa s[12:13], v14, s4 src0_sel:BYTE_0 src1_sel:DWORD
	s_mov_b64 s[4:5], -1
                                        ; implicit-def: $sgpr10
	s_and_saveexec_b64 s[8:9], s[12:13]
; %bb.2818:
	s_mov_b32 s10, 0x7f800001
	s_xor_b64 s[4:5], exec, -1
; %bb.2819:
	s_or_b64 exec, exec, s[8:9]
	s_and_b64 s[4:5], s[4:5], exec
	s_or_saveexec_b64 s[6:7], s[6:7]
	v_mov_b32_e32 v20, s10
	s_xor_b64 exec, exec, s[6:7]
	s_cbranch_execz .LBB52_770
.LBB52_2820:
	v_mov_b32_e32 v20, 0
	v_cmp_ne_u16_sdwa s[8:9], v14, v20 src0_sel:BYTE_0 src1_sel:DWORD
	s_andn2_b64 s[4:5], s[4:5], exec
	s_and_b64 s[8:9], s[8:9], exec
	s_or_b64 s[4:5], s[4:5], s[8:9]
	s_or_b64 exec, exec, s[6:7]
	s_and_saveexec_b64 s[6:7], s[4:5]
	s_cbranch_execnz .LBB52_771
	s_branch .LBB52_772
.LBB52_2821:
	s_movk_i32 s4, 0x80
	v_cmp_eq_u16_sdwa s[12:13], v10, s4 src0_sel:BYTE_0 src1_sel:DWORD
	s_mov_b64 s[4:5], -1
                                        ; implicit-def: $sgpr10
	s_and_saveexec_b64 s[8:9], s[12:13]
; %bb.2822:
	s_mov_b32 s10, 0x7f800001
	s_xor_b64 s[4:5], exec, -1
; %bb.2823:
	s_or_b64 exec, exec, s[8:9]
	s_and_b64 s[4:5], s[4:5], exec
	s_or_saveexec_b64 s[6:7], s[6:7]
	v_mov_b32_e32 v21, s10
	s_xor_b64 exec, exec, s[6:7]
	s_cbranch_execz .LBB52_774
.LBB52_2824:
	v_mov_b32_e32 v21, 0
	v_cmp_ne_u16_sdwa s[8:9], v10, v21 src0_sel:BYTE_0 src1_sel:DWORD
	s_andn2_b64 s[4:5], s[4:5], exec
	s_and_b64 s[8:9], s[8:9], exec
	s_or_b64 s[4:5], s[4:5], s[8:9]
	s_or_b64 exec, exec, s[6:7]
	s_and_saveexec_b64 s[6:7], s[4:5]
	s_cbranch_execnz .LBB52_775
	s_branch .LBB52_776
.LBB52_2825:
	s_movk_i32 s4, 0x80
	v_cmp_eq_u16_sdwa s[12:13], v21, s4 src0_sel:BYTE_0 src1_sel:DWORD
	s_mov_b64 s[4:5], -1
                                        ; implicit-def: $sgpr10
	s_and_saveexec_b64 s[8:9], s[12:13]
; %bb.2826:
	s_mov_b32 s10, 0x7f800001
	s_xor_b64 s[4:5], exec, -1
; %bb.2827:
	s_or_b64 exec, exec, s[8:9]
	s_and_b64 s[4:5], s[4:5], exec
	s_or_saveexec_b64 s[6:7], s[6:7]
	v_mov_b32_e32 v20, s10
	s_xor_b64 exec, exec, s[6:7]
	s_cbranch_execz .LBB52_778
.LBB52_2828:
	v_mov_b32_e32 v20, 0
	v_cmp_ne_u16_sdwa s[8:9], v21, v20 src0_sel:BYTE_0 src1_sel:DWORD
	s_andn2_b64 s[4:5], s[4:5], exec
	s_and_b64 s[8:9], s[8:9], exec
	s_or_b64 s[4:5], s[4:5], s[8:9]
	s_or_b64 exec, exec, s[6:7]
	s_and_saveexec_b64 s[6:7], s[4:5]
	s_cbranch_execnz .LBB52_779
	s_branch .LBB52_780
.LBB52_2829:
	s_movk_i32 s4, 0x80
	v_cmp_eq_u16_sdwa s[12:13], v21, s4 src0_sel:BYTE_0 src1_sel:DWORD
	s_mov_b64 s[4:5], -1
                                        ; implicit-def: $sgpr10
	s_and_saveexec_b64 s[8:9], s[12:13]
; %bb.2830:
	s_mov_b32 s10, 0x7f800001
	s_xor_b64 s[4:5], exec, -1
; %bb.2831:
	s_or_b64 exec, exec, s[8:9]
	s_and_b64 s[4:5], s[4:5], exec
	s_or_saveexec_b64 s[6:7], s[6:7]
	v_mov_b32_e32 v22, s10
	s_xor_b64 exec, exec, s[6:7]
	s_cbranch_execz .LBB52_782
.LBB52_2832:
	v_mov_b32_e32 v22, 0
	v_cmp_ne_u16_sdwa s[8:9], v21, v22 src0_sel:BYTE_0 src1_sel:DWORD
	s_andn2_b64 s[4:5], s[4:5], exec
	s_and_b64 s[8:9], s[8:9], exec
	s_or_b64 s[4:5], s[4:5], s[8:9]
	s_or_b64 exec, exec, s[6:7]
	s_and_saveexec_b64 s[6:7], s[4:5]
	s_cbranch_execnz .LBB52_783
	s_branch .LBB52_784
.LBB52_2833:
	s_movk_i32 s4, 0x80
	v_cmp_eq_u16_e32 vcc, s4, v21
	s_mov_b64 s[4:5], -1
                                        ; implicit-def: $sgpr10
	s_and_saveexec_b64 s[8:9], vcc
; %bb.2834:
	s_mov_b32 s10, 0x7f800001
	s_xor_b64 s[4:5], exec, -1
; %bb.2835:
	s_or_b64 exec, exec, s[8:9]
	s_and_b64 s[4:5], s[4:5], exec
                                        ; implicit-def: $vgpr21
	s_or_saveexec_b64 s[6:7], s[6:7]
	v_mov_b32_e32 v20, s10
	s_xor_b64 exec, exec, s[6:7]
	s_cbranch_execz .LBB52_786
.LBB52_2836:
	v_cmp_ne_u16_e32 vcc, 0, v21
	s_andn2_b64 s[4:5], s[4:5], exec
	s_and_b64 s[8:9], vcc, exec
	v_mov_b32_e32 v20, 0
	s_or_b64 s[4:5], s[4:5], s[8:9]
	s_or_b64 exec, exec, s[6:7]
	s_and_saveexec_b64 s[6:7], s[4:5]
	s_cbranch_execnz .LBB52_787
	s_branch .LBB52_788
.LBB52_2837:
	s_movk_i32 s4, 0x80
	v_cmp_eq_u16_e32 vcc, s4, v21
	s_mov_b64 s[4:5], -1
                                        ; implicit-def: $sgpr10
	s_and_saveexec_b64 s[8:9], vcc
; %bb.2838:
	s_mov_b32 s10, 0x7f800001
	s_xor_b64 s[4:5], exec, -1
; %bb.2839:
	s_or_b64 exec, exec, s[8:9]
	s_and_b64 s[4:5], s[4:5], exec
                                        ; implicit-def: $vgpr21
	s_or_saveexec_b64 s[6:7], s[6:7]
	v_mov_b32_e32 v22, s10
	s_xor_b64 exec, exec, s[6:7]
	s_cbranch_execz .LBB52_790
.LBB52_2840:
	v_cmp_ne_u16_e32 vcc, 0, v21
	s_andn2_b64 s[4:5], s[4:5], exec
	s_and_b64 s[8:9], vcc, exec
	v_mov_b32_e32 v22, 0
	s_or_b64 s[4:5], s[4:5], s[8:9]
	s_or_b64 exec, exec, s[6:7]
	s_and_saveexec_b64 s[6:7], s[4:5]
	s_cbranch_execnz .LBB52_791
	s_branch .LBB52_792
.LBB52_2841:
	s_movk_i32 s4, 0x80
	v_cmp_eq_u16_sdwa s[12:13], v14, s4 src0_sel:BYTE_3 src1_sel:DWORD
	s_mov_b64 s[4:5], -1
                                        ; implicit-def: $sgpr10
	s_and_saveexec_b64 s[8:9], s[12:13]
; %bb.2842:
	s_mov_b32 s10, 0x7f800001
	s_xor_b64 s[4:5], exec, -1
; %bb.2843:
	s_or_b64 exec, exec, s[8:9]
	s_and_b64 s[4:5], s[4:5], exec
	s_or_saveexec_b64 s[6:7], s[6:7]
	v_mov_b32_e32 v20, s10
	s_xor_b64 exec, exec, s[6:7]
	s_cbranch_execz .LBB52_794
.LBB52_2844:
	v_mov_b32_e32 v20, 0
	v_cmp_ne_u16_sdwa s[8:9], v14, v20 src0_sel:BYTE_3 src1_sel:DWORD
	s_andn2_b64 s[4:5], s[4:5], exec
	s_and_b64 s[8:9], s[8:9], exec
	s_or_b64 s[4:5], s[4:5], s[8:9]
	s_or_b64 exec, exec, s[6:7]
	s_and_saveexec_b64 s[6:7], s[4:5]
	s_cbranch_execnz .LBB52_795
	s_branch .LBB52_796
.LBB52_2845:
	s_movk_i32 s4, 0x80
	v_cmp_eq_u16_sdwa s[12:13], v10, s4 src0_sel:BYTE_3 src1_sel:DWORD
	s_mov_b64 s[4:5], -1
                                        ; implicit-def: $sgpr10
	s_and_saveexec_b64 s[8:9], s[12:13]
; %bb.2846:
	s_mov_b32 s10, 0x7f800001
	s_xor_b64 s[4:5], exec, -1
; %bb.2847:
	s_or_b64 exec, exec, s[8:9]
	s_and_b64 s[4:5], s[4:5], exec
	s_or_saveexec_b64 s[6:7], s[6:7]
	v_mov_b32_e32 v14, s10
	s_xor_b64 exec, exec, s[6:7]
	s_cbranch_execz .LBB52_798
.LBB52_2848:
	v_mov_b32_e32 v14, 0
	v_cmp_ne_u16_sdwa s[8:9], v10, v14 src0_sel:BYTE_3 src1_sel:DWORD
	s_andn2_b64 s[4:5], s[4:5], exec
	s_and_b64 s[8:9], s[8:9], exec
	s_or_b64 s[4:5], s[4:5], s[8:9]
	s_or_b64 exec, exec, s[6:7]
	s_and_saveexec_b64 s[6:7], s[4:5]
	s_cbranch_execnz .LBB52_799
	s_branch .LBB52_800
.LBB52_2849:
	s_movk_i32 s4, 0x80
	v_cmp_eq_u16_sdwa s[12:13], v15, s4 src0_sel:BYTE_0 src1_sel:DWORD
	s_mov_b64 s[4:5], -1
                                        ; implicit-def: $sgpr10
	s_and_saveexec_b64 s[8:9], s[12:13]
; %bb.2850:
	s_mov_b32 s10, 0x7f800001
	s_xor_b64 s[4:5], exec, -1
; %bb.2851:
	s_or_b64 exec, exec, s[8:9]
	s_and_b64 s[4:5], s[4:5], exec
	s_or_saveexec_b64 s[6:7], s[6:7]
	v_mov_b32_e32 v10, s10
	s_xor_b64 exec, exec, s[6:7]
	s_cbranch_execz .LBB52_802
.LBB52_2852:
	v_mov_b32_e32 v10, 0
	v_cmp_ne_u16_sdwa s[8:9], v15, v10 src0_sel:BYTE_0 src1_sel:DWORD
	s_andn2_b64 s[4:5], s[4:5], exec
	s_and_b64 s[8:9], s[8:9], exec
	s_or_b64 s[4:5], s[4:5], s[8:9]
	s_or_b64 exec, exec, s[6:7]
	s_and_saveexec_b64 s[6:7], s[4:5]
	s_cbranch_execnz .LBB52_803
	s_branch .LBB52_804
.LBB52_2853:
	s_movk_i32 s4, 0x80
	v_cmp_eq_u16_sdwa s[12:13], v11, s4 src0_sel:BYTE_0 src1_sel:DWORD
	s_mov_b64 s[4:5], -1
                                        ; implicit-def: $sgpr10
	s_and_saveexec_b64 s[8:9], s[12:13]
; %bb.2854:
	s_mov_b32 s10, 0x7f800001
	s_xor_b64 s[4:5], exec, -1
; %bb.2855:
	s_or_b64 exec, exec, s[8:9]
	s_and_b64 s[4:5], s[4:5], exec
	s_or_saveexec_b64 s[6:7], s[6:7]
	v_mov_b32_e32 v14, s10
	s_xor_b64 exec, exec, s[6:7]
	s_cbranch_execz .LBB52_806
.LBB52_2856:
	v_mov_b32_e32 v14, 0
	v_cmp_ne_u16_sdwa s[8:9], v11, v14 src0_sel:BYTE_0 src1_sel:DWORD
	s_andn2_b64 s[4:5], s[4:5], exec
	s_and_b64 s[8:9], s[8:9], exec
	s_or_b64 s[4:5], s[4:5], s[8:9]
	s_or_b64 exec, exec, s[6:7]
	s_and_saveexec_b64 s[6:7], s[4:5]
	s_cbranch_execnz .LBB52_807
	s_branch .LBB52_808
.LBB52_2857:
	s_movk_i32 s4, 0x80
	v_cmp_eq_u16_sdwa s[12:13], v14, s4 src0_sel:BYTE_0 src1_sel:DWORD
	s_mov_b64 s[4:5], -1
                                        ; implicit-def: $sgpr10
	s_and_saveexec_b64 s[8:9], s[12:13]
; %bb.2858:
	s_mov_b32 s10, 0x7f800001
	s_xor_b64 s[4:5], exec, -1
; %bb.2859:
	s_or_b64 exec, exec, s[8:9]
	s_and_b64 s[4:5], s[4:5], exec
	s_or_saveexec_b64 s[6:7], s[6:7]
	v_mov_b32_e32 v10, s10
	s_xor_b64 exec, exec, s[6:7]
	s_cbranch_execz .LBB52_810
.LBB52_2860:
	v_mov_b32_e32 v10, 0
	v_cmp_ne_u16_sdwa s[8:9], v14, v10 src0_sel:BYTE_0 src1_sel:DWORD
	s_andn2_b64 s[4:5], s[4:5], exec
	s_and_b64 s[8:9], s[8:9], exec
	s_or_b64 s[4:5], s[4:5], s[8:9]
	s_or_b64 exec, exec, s[6:7]
	s_and_saveexec_b64 s[6:7], s[4:5]
	s_cbranch_execnz .LBB52_811
	s_branch .LBB52_812
.LBB52_2861:
	s_movk_i32 s4, 0x80
	v_cmp_eq_u16_sdwa s[12:13], v14, s4 src0_sel:BYTE_0 src1_sel:DWORD
	s_mov_b64 s[4:5], -1
                                        ; implicit-def: $sgpr10
	s_and_saveexec_b64 s[8:9], s[12:13]
; %bb.2862:
	s_mov_b32 s10, 0x7f800001
	s_xor_b64 s[4:5], exec, -1
; %bb.2863:
	s_or_b64 exec, exec, s[8:9]
	s_and_b64 s[4:5], s[4:5], exec
	s_or_saveexec_b64 s[6:7], s[6:7]
	v_mov_b32_e32 v20, s10
	s_xor_b64 exec, exec, s[6:7]
	s_cbranch_execz .LBB52_814
.LBB52_2864:
	v_mov_b32_e32 v20, 0
	v_cmp_ne_u16_sdwa s[8:9], v14, v20 src0_sel:BYTE_0 src1_sel:DWORD
	s_andn2_b64 s[4:5], s[4:5], exec
	s_and_b64 s[8:9], s[8:9], exec
	s_or_b64 s[4:5], s[4:5], s[8:9]
	s_or_b64 exec, exec, s[6:7]
	s_and_saveexec_b64 s[6:7], s[4:5]
	s_cbranch_execnz .LBB52_815
	s_branch .LBB52_816
.LBB52_2865:
	s_movk_i32 s4, 0x80
	v_cmp_eq_u16_e32 vcc, s4, v14
	s_mov_b64 s[4:5], -1
                                        ; implicit-def: $sgpr10
	s_and_saveexec_b64 s[8:9], vcc
; %bb.2866:
	s_mov_b32 s10, 0x7f800001
	s_xor_b64 s[4:5], exec, -1
; %bb.2867:
	s_or_b64 exec, exec, s[8:9]
	s_and_b64 s[4:5], s[4:5], exec
                                        ; implicit-def: $vgpr14
	s_or_saveexec_b64 s[6:7], s[6:7]
	v_mov_b32_e32 v10, s10
	s_xor_b64 exec, exec, s[6:7]
	s_cbranch_execz .LBB52_818
.LBB52_2868:
	v_cmp_ne_u16_e32 vcc, 0, v14
	s_andn2_b64 s[4:5], s[4:5], exec
	s_and_b64 s[8:9], vcc, exec
	v_mov_b32_e32 v10, 0
	s_or_b64 s[4:5], s[4:5], s[8:9]
	s_or_b64 exec, exec, s[6:7]
	s_and_saveexec_b64 s[6:7], s[4:5]
	s_cbranch_execnz .LBB52_819
	s_branch .LBB52_820
.LBB52_2869:
	s_movk_i32 s4, 0x80
	v_cmp_eq_u16_e32 vcc, s4, v14
	s_mov_b64 s[4:5], -1
                                        ; implicit-def: $sgpr10
	s_and_saveexec_b64 s[8:9], vcc
; %bb.2870:
	s_mov_b32 s10, 0x7f800001
	s_xor_b64 s[4:5], exec, -1
; %bb.2871:
	s_or_b64 exec, exec, s[8:9]
	s_and_b64 s[4:5], s[4:5], exec
                                        ; implicit-def: $vgpr14
	s_or_saveexec_b64 s[6:7], s[6:7]
	v_mov_b32_e32 v20, s10
	s_xor_b64 exec, exec, s[6:7]
	s_cbranch_execz .LBB52_822
.LBB52_2872:
	v_cmp_ne_u16_e32 vcc, 0, v14
	s_andn2_b64 s[4:5], s[4:5], exec
	s_and_b64 s[8:9], vcc, exec
	v_mov_b32_e32 v20, 0
	s_or_b64 s[4:5], s[4:5], s[8:9]
	s_or_b64 exec, exec, s[6:7]
	s_and_saveexec_b64 s[6:7], s[4:5]
	s_cbranch_execnz .LBB52_823
	s_branch .LBB52_824
.LBB52_2873:
	s_movk_i32 s4, 0x80
	v_cmp_eq_u16_sdwa s[12:13], v15, s4 src0_sel:BYTE_3 src1_sel:DWORD
	s_mov_b64 s[4:5], -1
                                        ; implicit-def: $sgpr10
	s_and_saveexec_b64 s[8:9], s[12:13]
; %bb.2874:
	s_mov_b32 s10, 0x7f800001
	s_xor_b64 s[4:5], exec, -1
; %bb.2875:
	s_or_b64 exec, exec, s[8:9]
	s_and_b64 s[4:5], s[4:5], exec
	s_or_saveexec_b64 s[6:7], s[6:7]
	v_mov_b32_e32 v10, s10
	s_xor_b64 exec, exec, s[6:7]
	s_cbranch_execz .LBB52_826
.LBB52_2876:
	v_mov_b32_e32 v10, 0
	v_cmp_ne_u16_sdwa s[8:9], v15, v10 src0_sel:BYTE_3 src1_sel:DWORD
	s_andn2_b64 s[4:5], s[4:5], exec
	s_and_b64 s[8:9], s[8:9], exec
	s_or_b64 s[4:5], s[4:5], s[8:9]
	s_or_b64 exec, exec, s[6:7]
	s_and_saveexec_b64 s[6:7], s[4:5]
	s_cbranch_execnz .LBB52_827
	s_branch .LBB52_828
.LBB52_2877:
	s_movk_i32 s4, 0x80
	v_cmp_eq_u16_sdwa s[12:13], v11, s4 src0_sel:BYTE_3 src1_sel:DWORD
	s_mov_b64 s[4:5], -1
                                        ; implicit-def: $sgpr10
	s_and_saveexec_b64 s[8:9], s[12:13]
; %bb.2878:
	s_mov_b32 s10, 0x7f800001
	s_xor_b64 s[4:5], exec, -1
; %bb.2879:
	s_or_b64 exec, exec, s[8:9]
	s_and_b64 s[4:5], s[4:5], exec
	s_or_saveexec_b64 s[6:7], s[6:7]
	v_mov_b32_e32 v14, s10
	s_xor_b64 exec, exec, s[6:7]
	s_cbranch_execz .LBB52_830
.LBB52_2880:
	v_mov_b32_e32 v14, 0
	v_cmp_ne_u16_sdwa s[8:9], v11, v14 src0_sel:BYTE_3 src1_sel:DWORD
	s_andn2_b64 s[4:5], s[4:5], exec
	s_and_b64 s[8:9], s[8:9], exec
	s_or_b64 s[4:5], s[4:5], s[8:9]
	s_or_b64 exec, exec, s[6:7]
	s_and_saveexec_b64 s[6:7], s[4:5]
	s_cbranch_execnz .LBB52_831
	s_branch .LBB52_832
.LBB52_2881:
	s_movk_i32 s4, 0x80
	v_cmp_eq_u16_sdwa s[12:13], v16, s4 src0_sel:BYTE_0 src1_sel:DWORD
	s_mov_b64 s[4:5], -1
                                        ; implicit-def: $sgpr10
	s_and_saveexec_b64 s[8:9], s[12:13]
; %bb.2882:
	s_mov_b32 s10, 0x7f800001
	s_xor_b64 s[4:5], exec, -1
; %bb.2883:
	s_or_b64 exec, exec, s[8:9]
	s_and_b64 s[4:5], s[4:5], exec
	s_or_saveexec_b64 s[6:7], s[6:7]
	v_mov_b32_e32 v10, s10
	s_xor_b64 exec, exec, s[6:7]
	s_cbranch_execz .LBB52_834
.LBB52_2884:
	v_mov_b32_e32 v10, 0
	v_cmp_ne_u16_sdwa s[8:9], v16, v10 src0_sel:BYTE_0 src1_sel:DWORD
	s_andn2_b64 s[4:5], s[4:5], exec
	s_and_b64 s[8:9], s[8:9], exec
	s_or_b64 s[4:5], s[4:5], s[8:9]
	s_or_b64 exec, exec, s[6:7]
	s_and_saveexec_b64 s[6:7], s[4:5]
	s_cbranch_execnz .LBB52_835
	s_branch .LBB52_836
.LBB52_2885:
	s_movk_i32 s4, 0x80
	v_cmp_eq_u16_sdwa s[12:13], v12, s4 src0_sel:BYTE_0 src1_sel:DWORD
	s_mov_b64 s[4:5], -1
                                        ; implicit-def: $sgpr10
	s_and_saveexec_b64 s[8:9], s[12:13]
; %bb.2886:
	s_mov_b32 s10, 0x7f800001
	s_xor_b64 s[4:5], exec, -1
; %bb.2887:
	s_or_b64 exec, exec, s[8:9]
	s_and_b64 s[4:5], s[4:5], exec
	s_or_saveexec_b64 s[6:7], s[6:7]
	v_mov_b32_e32 v11, s10
	s_xor_b64 exec, exec, s[6:7]
	s_cbranch_execz .LBB52_838
.LBB52_2888:
	v_mov_b32_e32 v11, 0
	v_cmp_ne_u16_sdwa s[8:9], v12, v11 src0_sel:BYTE_0 src1_sel:DWORD
	s_andn2_b64 s[4:5], s[4:5], exec
	s_and_b64 s[8:9], s[8:9], exec
	s_or_b64 s[4:5], s[4:5], s[8:9]
	s_or_b64 exec, exec, s[6:7]
	s_and_saveexec_b64 s[6:7], s[4:5]
	s_cbranch_execnz .LBB52_839
	s_branch .LBB52_840
.LBB52_2889:
	s_movk_i32 s4, 0x80
	v_cmp_eq_u16_sdwa s[12:13], v11, s4 src0_sel:BYTE_0 src1_sel:DWORD
	s_mov_b64 s[4:5], -1
                                        ; implicit-def: $sgpr10
	s_and_saveexec_b64 s[8:9], s[12:13]
; %bb.2890:
	s_mov_b32 s10, 0x7f800001
	s_xor_b64 s[4:5], exec, -1
; %bb.2891:
	s_or_b64 exec, exec, s[8:9]
	s_and_b64 s[4:5], s[4:5], exec
	s_or_saveexec_b64 s[6:7], s[6:7]
	v_mov_b32_e32 v10, s10
	s_xor_b64 exec, exec, s[6:7]
	s_cbranch_execz .LBB52_842
.LBB52_2892:
	v_mov_b32_e32 v10, 0
	v_cmp_ne_u16_sdwa s[8:9], v11, v10 src0_sel:BYTE_0 src1_sel:DWORD
	s_andn2_b64 s[4:5], s[4:5], exec
	s_and_b64 s[8:9], s[8:9], exec
	s_or_b64 s[4:5], s[4:5], s[8:9]
	s_or_b64 exec, exec, s[6:7]
	s_and_saveexec_b64 s[6:7], s[4:5]
	s_cbranch_execnz .LBB52_843
	s_branch .LBB52_844
.LBB52_2893:
	s_movk_i32 s4, 0x80
	v_cmp_eq_u16_sdwa s[12:13], v11, s4 src0_sel:BYTE_0 src1_sel:DWORD
	s_mov_b64 s[4:5], -1
                                        ; implicit-def: $sgpr10
	s_and_saveexec_b64 s[8:9], s[12:13]
; %bb.2894:
	s_mov_b32 s10, 0x7f800001
	s_xor_b64 s[4:5], exec, -1
; %bb.2895:
	s_or_b64 exec, exec, s[8:9]
	s_and_b64 s[4:5], s[4:5], exec
	s_or_saveexec_b64 s[6:7], s[6:7]
	v_mov_b32_e32 v14, s10
	s_xor_b64 exec, exec, s[6:7]
	s_cbranch_execz .LBB52_846
.LBB52_2896:
	v_mov_b32_e32 v14, 0
	v_cmp_ne_u16_sdwa s[8:9], v11, v14 src0_sel:BYTE_0 src1_sel:DWORD
	s_andn2_b64 s[4:5], s[4:5], exec
	s_and_b64 s[8:9], s[8:9], exec
	s_or_b64 s[4:5], s[4:5], s[8:9]
	s_or_b64 exec, exec, s[6:7]
	s_and_saveexec_b64 s[6:7], s[4:5]
	s_cbranch_execnz .LBB52_847
	s_branch .LBB52_848
.LBB52_2897:
	s_movk_i32 s4, 0x80
	v_cmp_eq_u16_e32 vcc, s4, v11
	s_mov_b64 s[4:5], -1
                                        ; implicit-def: $sgpr10
	s_and_saveexec_b64 s[8:9], vcc
; %bb.2898:
	s_mov_b32 s10, 0x7f800001
	s_xor_b64 s[4:5], exec, -1
; %bb.2899:
	s_or_b64 exec, exec, s[8:9]
	s_and_b64 s[4:5], s[4:5], exec
                                        ; implicit-def: $vgpr11
	s_or_saveexec_b64 s[6:7], s[6:7]
	v_mov_b32_e32 v10, s10
	s_xor_b64 exec, exec, s[6:7]
	s_cbranch_execz .LBB52_850
.LBB52_2900:
	v_cmp_ne_u16_e32 vcc, 0, v11
	s_andn2_b64 s[4:5], s[4:5], exec
	s_and_b64 s[8:9], vcc, exec
	v_mov_b32_e32 v10, 0
	s_or_b64 s[4:5], s[4:5], s[8:9]
	s_or_b64 exec, exec, s[6:7]
	s_and_saveexec_b64 s[6:7], s[4:5]
	s_cbranch_execnz .LBB52_851
	s_branch .LBB52_852
.LBB52_2901:
	s_movk_i32 s4, 0x80
	v_cmp_eq_u16_e32 vcc, s4, v11
	s_mov_b64 s[4:5], -1
                                        ; implicit-def: $sgpr10
	s_and_saveexec_b64 s[8:9], vcc
; %bb.2902:
	s_mov_b32 s10, 0x7f800001
	s_xor_b64 s[4:5], exec, -1
; %bb.2903:
	s_or_b64 exec, exec, s[8:9]
	s_and_b64 s[4:5], s[4:5], exec
                                        ; implicit-def: $vgpr11
	s_or_saveexec_b64 s[6:7], s[6:7]
	v_mov_b32_e32 v14, s10
	s_xor_b64 exec, exec, s[6:7]
	s_cbranch_execz .LBB52_854
.LBB52_2904:
	v_cmp_ne_u16_e32 vcc, 0, v11
	s_andn2_b64 s[4:5], s[4:5], exec
	s_and_b64 s[8:9], vcc, exec
	v_mov_b32_e32 v14, 0
	s_or_b64 s[4:5], s[4:5], s[8:9]
	s_or_b64 exec, exec, s[6:7]
	s_and_saveexec_b64 s[6:7], s[4:5]
	s_cbranch_execnz .LBB52_855
	s_branch .LBB52_856
.LBB52_2905:
	s_movk_i32 s4, 0x80
	v_cmp_eq_u16_sdwa s[12:13], v16, s4 src0_sel:BYTE_3 src1_sel:DWORD
	s_mov_b64 s[4:5], -1
                                        ; implicit-def: $sgpr10
	s_and_saveexec_b64 s[8:9], s[12:13]
; %bb.2906:
	s_mov_b32 s10, 0x7f800001
	s_xor_b64 s[4:5], exec, -1
; %bb.2907:
	s_or_b64 exec, exec, s[8:9]
	s_and_b64 s[4:5], s[4:5], exec
	s_or_saveexec_b64 s[6:7], s[6:7]
	v_mov_b32_e32 v10, s10
	s_xor_b64 exec, exec, s[6:7]
	s_cbranch_execz .LBB52_858
.LBB52_2908:
	v_mov_b32_e32 v10, 0
	v_cmp_ne_u16_sdwa s[8:9], v16, v10 src0_sel:BYTE_3 src1_sel:DWORD
	s_andn2_b64 s[4:5], s[4:5], exec
	s_and_b64 s[8:9], s[8:9], exec
	s_or_b64 s[4:5], s[4:5], s[8:9]
	s_or_b64 exec, exec, s[6:7]
	s_and_saveexec_b64 s[6:7], s[4:5]
	s_cbranch_execnz .LBB52_859
	s_branch .LBB52_860
.LBB52_2909:
	s_movk_i32 s4, 0x80
	v_cmp_eq_u16_sdwa s[12:13], v12, s4 src0_sel:BYTE_3 src1_sel:DWORD
	s_mov_b64 s[4:5], -1
                                        ; implicit-def: $sgpr10
	s_and_saveexec_b64 s[8:9], s[12:13]
; %bb.2910:
	s_mov_b32 s10, 0x7f800001
	s_xor_b64 s[4:5], exec, -1
; %bb.2911:
	s_or_b64 exec, exec, s[8:9]
	s_and_b64 s[4:5], s[4:5], exec
	s_or_saveexec_b64 s[6:7], s[6:7]
	v_mov_b32_e32 v11, s10
	s_xor_b64 exec, exec, s[6:7]
	s_cbranch_execz .LBB52_862
.LBB52_2912:
	v_mov_b32_e32 v11, 0
	v_cmp_ne_u16_sdwa s[8:9], v12, v11 src0_sel:BYTE_3 src1_sel:DWORD
	s_andn2_b64 s[4:5], s[4:5], exec
	s_and_b64 s[8:9], s[8:9], exec
	s_or_b64 s[4:5], s[4:5], s[8:9]
	s_or_b64 exec, exec, s[6:7]
	s_and_saveexec_b64 s[6:7], s[4:5]
	s_cbranch_execnz .LBB52_863
	s_branch .LBB52_864
.LBB52_2913:
	s_movk_i32 s4, 0x80
	v_cmp_eq_u16_sdwa s[12:13], v17, s4 src0_sel:BYTE_0 src1_sel:DWORD
	s_mov_b64 s[4:5], -1
                                        ; implicit-def: $sgpr10
	s_and_saveexec_b64 s[8:9], s[12:13]
; %bb.2914:
	s_mov_b32 s10, 0x7f800001
	s_xor_b64 s[4:5], exec, -1
; %bb.2915:
	s_or_b64 exec, exec, s[8:9]
	s_and_b64 s[4:5], s[4:5], exec
	s_or_saveexec_b64 s[6:7], s[6:7]
	v_mov_b32_e32 v10, s10
	s_xor_b64 exec, exec, s[6:7]
	s_cbranch_execz .LBB52_866
.LBB52_2916:
	v_mov_b32_e32 v10, 0
	v_cmp_ne_u16_sdwa s[8:9], v17, v10 src0_sel:BYTE_0 src1_sel:DWORD
	s_andn2_b64 s[4:5], s[4:5], exec
	s_and_b64 s[8:9], s[8:9], exec
	s_or_b64 s[4:5], s[4:5], s[8:9]
	s_or_b64 exec, exec, s[6:7]
	s_and_saveexec_b64 s[6:7], s[4:5]
	s_cbranch_execnz .LBB52_867
	s_branch .LBB52_868
.LBB52_2917:
	s_movk_i32 s4, 0x80
	v_cmp_eq_u16_sdwa s[12:13], v13, s4 src0_sel:BYTE_0 src1_sel:DWORD
	s_mov_b64 s[4:5], -1
                                        ; implicit-def: $sgpr10
	s_and_saveexec_b64 s[8:9], s[12:13]
; %bb.2918:
	s_mov_b32 s10, 0x7f800001
	s_xor_b64 s[4:5], exec, -1
; %bb.2919:
	s_or_b64 exec, exec, s[8:9]
	s_and_b64 s[4:5], s[4:5], exec
	s_or_saveexec_b64 s[6:7], s[6:7]
	v_mov_b32_e32 v11, s10
	s_xor_b64 exec, exec, s[6:7]
	s_cbranch_execz .LBB52_870
.LBB52_2920:
	v_mov_b32_e32 v11, 0
	v_cmp_ne_u16_sdwa s[8:9], v13, v11 src0_sel:BYTE_0 src1_sel:DWORD
	s_andn2_b64 s[4:5], s[4:5], exec
	s_and_b64 s[8:9], s[8:9], exec
	s_or_b64 s[4:5], s[4:5], s[8:9]
	s_or_b64 exec, exec, s[6:7]
	s_and_saveexec_b64 s[6:7], s[4:5]
	s_cbranch_execnz .LBB52_871
	s_branch .LBB52_872
.LBB52_2921:
	s_movk_i32 s4, 0x80
	v_cmp_eq_u16_sdwa s[12:13], v11, s4 src0_sel:BYTE_0 src1_sel:DWORD
	s_mov_b64 s[4:5], -1
                                        ; implicit-def: $sgpr10
	s_and_saveexec_b64 s[8:9], s[12:13]
; %bb.2922:
	s_mov_b32 s10, 0x7f800001
	s_xor_b64 s[4:5], exec, -1
; %bb.2923:
	s_or_b64 exec, exec, s[8:9]
	s_and_b64 s[4:5], s[4:5], exec
	s_or_saveexec_b64 s[6:7], s[6:7]
	v_mov_b32_e32 v10, s10
	s_xor_b64 exec, exec, s[6:7]
	s_cbranch_execz .LBB52_874
.LBB52_2924:
	v_mov_b32_e32 v10, 0
	v_cmp_ne_u16_sdwa s[8:9], v11, v10 src0_sel:BYTE_0 src1_sel:DWORD
	s_andn2_b64 s[4:5], s[4:5], exec
	s_and_b64 s[8:9], s[8:9], exec
	s_or_b64 s[4:5], s[4:5], s[8:9]
	s_or_b64 exec, exec, s[6:7]
	s_and_saveexec_b64 s[6:7], s[4:5]
	s_cbranch_execnz .LBB52_875
	s_branch .LBB52_876
.LBB52_2925:
	s_movk_i32 s4, 0x80
	v_cmp_eq_u16_sdwa s[12:13], v11, s4 src0_sel:BYTE_0 src1_sel:DWORD
	s_mov_b64 s[4:5], -1
                                        ; implicit-def: $sgpr10
	s_and_saveexec_b64 s[8:9], s[12:13]
; %bb.2926:
	s_mov_b32 s10, 0x7f800001
	s_xor_b64 s[4:5], exec, -1
; %bb.2927:
	s_or_b64 exec, exec, s[8:9]
	s_and_b64 s[4:5], s[4:5], exec
	s_or_saveexec_b64 s[6:7], s[6:7]
	v_mov_b32_e32 v12, s10
	s_xor_b64 exec, exec, s[6:7]
	s_cbranch_execz .LBB52_878
.LBB52_2928:
	v_mov_b32_e32 v12, 0
	v_cmp_ne_u16_sdwa s[8:9], v11, v12 src0_sel:BYTE_0 src1_sel:DWORD
	s_andn2_b64 s[4:5], s[4:5], exec
	s_and_b64 s[8:9], s[8:9], exec
	s_or_b64 s[4:5], s[4:5], s[8:9]
	s_or_b64 exec, exec, s[6:7]
	s_and_saveexec_b64 s[6:7], s[4:5]
	s_cbranch_execnz .LBB52_879
	s_branch .LBB52_880
.LBB52_2929:
	s_movk_i32 s4, 0x80
	v_cmp_eq_u16_e32 vcc, s4, v11
	s_mov_b64 s[4:5], -1
                                        ; implicit-def: $sgpr10
	s_and_saveexec_b64 s[8:9], vcc
; %bb.2930:
	s_mov_b32 s10, 0x7f800001
	s_xor_b64 s[4:5], exec, -1
; %bb.2931:
	s_or_b64 exec, exec, s[8:9]
	s_and_b64 s[4:5], s[4:5], exec
                                        ; implicit-def: $vgpr11
	s_or_saveexec_b64 s[6:7], s[6:7]
	v_mov_b32_e32 v10, s10
	s_xor_b64 exec, exec, s[6:7]
	s_cbranch_execz .LBB52_882
.LBB52_2932:
	v_cmp_ne_u16_e32 vcc, 0, v11
	s_andn2_b64 s[4:5], s[4:5], exec
	s_and_b64 s[8:9], vcc, exec
	v_mov_b32_e32 v10, 0
	s_or_b64 s[4:5], s[4:5], s[8:9]
	s_or_b64 exec, exec, s[6:7]
	s_and_saveexec_b64 s[6:7], s[4:5]
	s_cbranch_execnz .LBB52_883
	s_branch .LBB52_884
.LBB52_2933:
	s_movk_i32 s4, 0x80
	v_cmp_eq_u16_e32 vcc, s4, v11
	s_mov_b64 s[4:5], -1
                                        ; implicit-def: $sgpr10
	s_and_saveexec_b64 s[8:9], vcc
; %bb.2934:
	s_mov_b32 s10, 0x7f800001
	s_xor_b64 s[4:5], exec, -1
; %bb.2935:
	s_or_b64 exec, exec, s[8:9]
	s_and_b64 s[4:5], s[4:5], exec
                                        ; implicit-def: $vgpr11
	s_or_saveexec_b64 s[6:7], s[6:7]
	v_mov_b32_e32 v12, s10
	s_xor_b64 exec, exec, s[6:7]
	s_cbranch_execz .LBB52_886
.LBB52_2936:
	v_cmp_ne_u16_e32 vcc, 0, v11
	s_andn2_b64 s[4:5], s[4:5], exec
	s_and_b64 s[8:9], vcc, exec
	v_mov_b32_e32 v12, 0
	s_or_b64 s[4:5], s[4:5], s[8:9]
	s_or_b64 exec, exec, s[6:7]
	s_and_saveexec_b64 s[6:7], s[4:5]
	s_cbranch_execnz .LBB52_887
	s_branch .LBB52_888
.LBB52_2937:
	s_movk_i32 s4, 0x80
	v_cmp_eq_u16_sdwa s[12:13], v17, s4 src0_sel:BYTE_3 src1_sel:DWORD
	s_mov_b64 s[4:5], -1
                                        ; implicit-def: $sgpr10
	s_and_saveexec_b64 s[8:9], s[12:13]
; %bb.2938:
	s_mov_b32 s10, 0x7f800001
	s_xor_b64 s[4:5], exec, -1
; %bb.2939:
	s_or_b64 exec, exec, s[8:9]
	s_and_b64 s[4:5], s[4:5], exec
	s_or_saveexec_b64 s[6:7], s[6:7]
	v_mov_b32_e32 v10, s10
	s_xor_b64 exec, exec, s[6:7]
	s_cbranch_execz .LBB52_890
.LBB52_2940:
	v_mov_b32_e32 v10, 0
	v_cmp_ne_u16_sdwa s[8:9], v17, v10 src0_sel:BYTE_3 src1_sel:DWORD
	s_andn2_b64 s[4:5], s[4:5], exec
	s_and_b64 s[8:9], s[8:9], exec
	s_or_b64 s[4:5], s[4:5], s[8:9]
	s_or_b64 exec, exec, s[6:7]
	s_and_saveexec_b64 s[6:7], s[4:5]
	s_cbranch_execnz .LBB52_891
	s_branch .LBB52_892
.LBB52_2941:
	s_movk_i32 s4, 0x80
	v_cmp_eq_u16_sdwa s[12:13], v13, s4 src0_sel:BYTE_3 src1_sel:DWORD
	s_mov_b64 s[4:5], -1
                                        ; implicit-def: $sgpr10
	s_and_saveexec_b64 s[8:9], s[12:13]
; %bb.2942:
	s_mov_b32 s10, 0x7f800001
	s_xor_b64 s[4:5], exec, -1
; %bb.2943:
	s_or_b64 exec, exec, s[8:9]
	s_and_b64 s[4:5], s[4:5], exec
	s_or_saveexec_b64 s[6:7], s[6:7]
	v_mov_b32_e32 v11, s10
	s_xor_b64 exec, exec, s[6:7]
	s_cbranch_execz .LBB52_894
.LBB52_2944:
	v_mov_b32_e32 v11, 0
	v_cmp_ne_u16_sdwa s[8:9], v13, v11 src0_sel:BYTE_3 src1_sel:DWORD
	s_andn2_b64 s[4:5], s[4:5], exec
	s_and_b64 s[8:9], s[8:9], exec
	s_or_b64 s[4:5], s[4:5], s[8:9]
	s_or_b64 exec, exec, s[6:7]
	s_and_saveexec_b64 s[6:7], s[4:5]
	s_cbranch_execnz .LBB52_895
	s_branch .LBB52_896
.LBB52_2945:
	s_movk_i32 s4, 0x80
	v_cmp_eq_u16_sdwa s[12:13], v6, s4 src0_sel:BYTE_0 src1_sel:DWORD
	s_mov_b64 s[4:5], -1
                                        ; implicit-def: $sgpr10
	s_and_saveexec_b64 s[8:9], s[12:13]
; %bb.2946:
	s_mov_b32 s10, 0x7f800001
	s_xor_b64 s[4:5], exec, -1
; %bb.2947:
	s_or_b64 exec, exec, s[8:9]
	s_and_b64 s[4:5], s[4:5], exec
	s_or_saveexec_b64 s[6:7], s[6:7]
	v_mov_b32_e32 v10, s10
	s_xor_b64 exec, exec, s[6:7]
	s_cbranch_execz .LBB52_898
.LBB52_2948:
	v_mov_b32_e32 v10, 0
	v_cmp_ne_u16_sdwa s[8:9], v6, v10 src0_sel:BYTE_0 src1_sel:DWORD
	s_andn2_b64 s[4:5], s[4:5], exec
	s_and_b64 s[8:9], s[8:9], exec
	s_or_b64 s[4:5], s[4:5], s[8:9]
	s_or_b64 exec, exec, s[6:7]
	s_and_saveexec_b64 s[6:7], s[4:5]
	s_cbranch_execnz .LBB52_899
	s_branch .LBB52_900
.LBB52_2949:
	s_movk_i32 s4, 0x80
	v_cmp_eq_u16_sdwa s[12:13], v2, s4 src0_sel:BYTE_0 src1_sel:DWORD
	s_mov_b64 s[4:5], -1
                                        ; implicit-def: $sgpr10
	s_and_saveexec_b64 s[8:9], s[12:13]
; %bb.2950:
	s_mov_b32 s10, 0x7f800001
	s_xor_b64 s[4:5], exec, -1
; %bb.2951:
	s_or_b64 exec, exec, s[8:9]
	s_and_b64 s[4:5], s[4:5], exec
	s_or_saveexec_b64 s[6:7], s[6:7]
	v_mov_b32_e32 v11, s10
	s_xor_b64 exec, exec, s[6:7]
	s_cbranch_execz .LBB52_902
.LBB52_2952:
	v_mov_b32_e32 v11, 0
	v_cmp_ne_u16_sdwa s[8:9], v2, v11 src0_sel:BYTE_0 src1_sel:DWORD
	s_andn2_b64 s[4:5], s[4:5], exec
	s_and_b64 s[8:9], s[8:9], exec
	s_or_b64 s[4:5], s[4:5], s[8:9]
	s_or_b64 exec, exec, s[6:7]
	s_and_saveexec_b64 s[6:7], s[4:5]
	s_cbranch_execnz .LBB52_903
	s_branch .LBB52_904
.LBB52_2953:
	s_movk_i32 s4, 0x80
	v_cmp_eq_u16_sdwa s[12:13], v11, s4 src0_sel:BYTE_0 src1_sel:DWORD
	s_mov_b64 s[4:5], -1
                                        ; implicit-def: $sgpr10
	s_and_saveexec_b64 s[8:9], s[12:13]
; %bb.2954:
	s_mov_b32 s10, 0x7f800001
	s_xor_b64 s[4:5], exec, -1
; %bb.2955:
	s_or_b64 exec, exec, s[8:9]
	s_and_b64 s[4:5], s[4:5], exec
	s_or_saveexec_b64 s[6:7], s[6:7]
	v_mov_b32_e32 v10, s10
	s_xor_b64 exec, exec, s[6:7]
	s_cbranch_execz .LBB52_906
.LBB52_2956:
	v_mov_b32_e32 v10, 0
	v_cmp_ne_u16_sdwa s[8:9], v11, v10 src0_sel:BYTE_0 src1_sel:DWORD
	s_andn2_b64 s[4:5], s[4:5], exec
	s_and_b64 s[8:9], s[8:9], exec
	s_or_b64 s[4:5], s[4:5], s[8:9]
	s_or_b64 exec, exec, s[6:7]
	s_and_saveexec_b64 s[6:7], s[4:5]
	s_cbranch_execnz .LBB52_907
	s_branch .LBB52_908
.LBB52_2957:
	s_movk_i32 s4, 0x80
	v_cmp_eq_u16_sdwa s[12:13], v11, s4 src0_sel:BYTE_0 src1_sel:DWORD
	s_mov_b64 s[4:5], -1
                                        ; implicit-def: $sgpr10
	s_and_saveexec_b64 s[8:9], s[12:13]
; %bb.2958:
	s_mov_b32 s10, 0x7f800001
	s_xor_b64 s[4:5], exec, -1
; %bb.2959:
	s_or_b64 exec, exec, s[8:9]
	s_and_b64 s[4:5], s[4:5], exec
	s_or_saveexec_b64 s[6:7], s[6:7]
	v_mov_b32_e32 v12, s10
	s_xor_b64 exec, exec, s[6:7]
	s_cbranch_execz .LBB52_910
.LBB52_2960:
	v_mov_b32_e32 v12, 0
	v_cmp_ne_u16_sdwa s[8:9], v11, v12 src0_sel:BYTE_0 src1_sel:DWORD
	s_andn2_b64 s[4:5], s[4:5], exec
	s_and_b64 s[8:9], s[8:9], exec
	s_or_b64 s[4:5], s[4:5], s[8:9]
	s_or_b64 exec, exec, s[6:7]
	s_and_saveexec_b64 s[6:7], s[4:5]
	s_cbranch_execnz .LBB52_911
	s_branch .LBB52_912
.LBB52_2961:
	s_movk_i32 s4, 0x80
	v_cmp_eq_u16_e32 vcc, s4, v11
	s_mov_b64 s[4:5], -1
                                        ; implicit-def: $sgpr10
	s_and_saveexec_b64 s[8:9], vcc
; %bb.2962:
	s_mov_b32 s10, 0x7f800001
	s_xor_b64 s[4:5], exec, -1
; %bb.2963:
	s_or_b64 exec, exec, s[8:9]
	s_and_b64 s[4:5], s[4:5], exec
                                        ; implicit-def: $vgpr11
	s_or_saveexec_b64 s[6:7], s[6:7]
	v_mov_b32_e32 v10, s10
	s_xor_b64 exec, exec, s[6:7]
	s_cbranch_execz .LBB52_914
.LBB52_2964:
	v_cmp_ne_u16_e32 vcc, 0, v11
	s_andn2_b64 s[4:5], s[4:5], exec
	s_and_b64 s[8:9], vcc, exec
	v_mov_b32_e32 v10, 0
	s_or_b64 s[4:5], s[4:5], s[8:9]
	s_or_b64 exec, exec, s[6:7]
	s_and_saveexec_b64 s[6:7], s[4:5]
	s_cbranch_execnz .LBB52_915
	s_branch .LBB52_916
.LBB52_2965:
	s_movk_i32 s4, 0x80
	v_cmp_eq_u16_e32 vcc, s4, v11
	s_mov_b64 s[4:5], -1
                                        ; implicit-def: $sgpr10
	s_and_saveexec_b64 s[8:9], vcc
; %bb.2966:
	s_mov_b32 s10, 0x7f800001
	s_xor_b64 s[4:5], exec, -1
; %bb.2967:
	s_or_b64 exec, exec, s[8:9]
	s_and_b64 s[4:5], s[4:5], exec
                                        ; implicit-def: $vgpr11
	s_or_saveexec_b64 s[6:7], s[6:7]
	v_mov_b32_e32 v12, s10
	s_xor_b64 exec, exec, s[6:7]
	s_cbranch_execz .LBB52_918
.LBB52_2968:
	v_cmp_ne_u16_e32 vcc, 0, v11
	s_andn2_b64 s[4:5], s[4:5], exec
	s_and_b64 s[8:9], vcc, exec
	v_mov_b32_e32 v12, 0
	s_or_b64 s[4:5], s[4:5], s[8:9]
	s_or_b64 exec, exec, s[6:7]
	s_and_saveexec_b64 s[6:7], s[4:5]
	s_cbranch_execnz .LBB52_919
	s_branch .LBB52_920
.LBB52_2969:
	s_movk_i32 s4, 0x80
	v_cmp_eq_u16_sdwa s[12:13], v6, s4 src0_sel:BYTE_3 src1_sel:DWORD
	s_mov_b64 s[4:5], -1
                                        ; implicit-def: $sgpr10
	s_and_saveexec_b64 s[8:9], s[12:13]
; %bb.2970:
	s_mov_b32 s10, 0x7f800001
	s_xor_b64 s[4:5], exec, -1
; %bb.2971:
	s_or_b64 exec, exec, s[8:9]
	s_and_b64 s[4:5], s[4:5], exec
	s_or_saveexec_b64 s[6:7], s[6:7]
	v_mov_b32_e32 v10, s10
	s_xor_b64 exec, exec, s[6:7]
	s_cbranch_execz .LBB52_922
.LBB52_2972:
	v_mov_b32_e32 v10, 0
	v_cmp_ne_u16_sdwa s[8:9], v6, v10 src0_sel:BYTE_3 src1_sel:DWORD
	s_andn2_b64 s[4:5], s[4:5], exec
	s_and_b64 s[8:9], s[8:9], exec
	s_or_b64 s[4:5], s[4:5], s[8:9]
	s_or_b64 exec, exec, s[6:7]
	s_and_saveexec_b64 s[6:7], s[4:5]
	s_cbranch_execnz .LBB52_923
	s_branch .LBB52_924
.LBB52_2973:
	s_movk_i32 s4, 0x80
	v_cmp_eq_u16_sdwa s[12:13], v2, s4 src0_sel:BYTE_3 src1_sel:DWORD
	s_mov_b64 s[4:5], -1
                                        ; implicit-def: $sgpr10
	s_and_saveexec_b64 s[8:9], s[12:13]
; %bb.2974:
	s_mov_b32 s10, 0x7f800001
	s_xor_b64 s[4:5], exec, -1
; %bb.2975:
	s_or_b64 exec, exec, s[8:9]
	s_and_b64 s[4:5], s[4:5], exec
	s_or_saveexec_b64 s[6:7], s[6:7]
	v_mov_b32_e32 v6, s10
	s_xor_b64 exec, exec, s[6:7]
	s_cbranch_execz .LBB52_926
.LBB52_2976:
	v_mov_b32_e32 v6, 0
	v_cmp_ne_u16_sdwa s[8:9], v2, v6 src0_sel:BYTE_3 src1_sel:DWORD
	s_andn2_b64 s[4:5], s[4:5], exec
	s_and_b64 s[8:9], s[8:9], exec
	s_or_b64 s[4:5], s[4:5], s[8:9]
	s_or_b64 exec, exec, s[6:7]
	s_and_saveexec_b64 s[6:7], s[4:5]
	s_cbranch_execnz .LBB52_927
	s_branch .LBB52_928
.LBB52_2977:
	s_movk_i32 s4, 0x80
	v_cmp_eq_u16_sdwa s[12:13], v7, s4 src0_sel:BYTE_0 src1_sel:DWORD
	s_mov_b64 s[4:5], -1
                                        ; implicit-def: $sgpr10
	s_and_saveexec_b64 s[8:9], s[12:13]
; %bb.2978:
	s_mov_b32 s10, 0x7f800001
	s_xor_b64 s[4:5], exec, -1
; %bb.2979:
	s_or_b64 exec, exec, s[8:9]
	s_and_b64 s[4:5], s[4:5], exec
	s_or_saveexec_b64 s[6:7], s[6:7]
	v_mov_b32_e32 v2, s10
	s_xor_b64 exec, exec, s[6:7]
	s_cbranch_execz .LBB52_930
.LBB52_2980:
	v_mov_b32_e32 v2, 0
	v_cmp_ne_u16_sdwa s[8:9], v7, v2 src0_sel:BYTE_0 src1_sel:DWORD
	s_andn2_b64 s[4:5], s[4:5], exec
	s_and_b64 s[8:9], s[8:9], exec
	s_or_b64 s[4:5], s[4:5], s[8:9]
	s_or_b64 exec, exec, s[6:7]
	s_and_saveexec_b64 s[6:7], s[4:5]
	s_cbranch_execnz .LBB52_931
	s_branch .LBB52_932
.LBB52_2981:
	s_movk_i32 s4, 0x80
	v_cmp_eq_u16_sdwa s[12:13], v3, s4 src0_sel:BYTE_0 src1_sel:DWORD
	s_mov_b64 s[4:5], -1
                                        ; implicit-def: $sgpr10
	s_and_saveexec_b64 s[8:9], s[12:13]
; %bb.2982:
	s_mov_b32 s10, 0x7f800001
	s_xor_b64 s[4:5], exec, -1
; %bb.2983:
	s_or_b64 exec, exec, s[8:9]
	s_and_b64 s[4:5], s[4:5], exec
	s_or_saveexec_b64 s[6:7], s[6:7]
	v_mov_b32_e32 v6, s10
	s_xor_b64 exec, exec, s[6:7]
	s_cbranch_execz .LBB52_934
.LBB52_2984:
	v_mov_b32_e32 v6, 0
	v_cmp_ne_u16_sdwa s[8:9], v3, v6 src0_sel:BYTE_0 src1_sel:DWORD
	s_andn2_b64 s[4:5], s[4:5], exec
	s_and_b64 s[8:9], s[8:9], exec
	s_or_b64 s[4:5], s[4:5], s[8:9]
	s_or_b64 exec, exec, s[6:7]
	s_and_saveexec_b64 s[6:7], s[4:5]
	s_cbranch_execnz .LBB52_935
	s_branch .LBB52_936
.LBB52_2985:
	s_movk_i32 s4, 0x80
	v_cmp_eq_u16_sdwa s[12:13], v6, s4 src0_sel:BYTE_0 src1_sel:DWORD
	s_mov_b64 s[4:5], -1
                                        ; implicit-def: $sgpr10
	s_and_saveexec_b64 s[8:9], s[12:13]
; %bb.2986:
	s_mov_b32 s10, 0x7f800001
	s_xor_b64 s[4:5], exec, -1
; %bb.2987:
	s_or_b64 exec, exec, s[8:9]
	s_and_b64 s[4:5], s[4:5], exec
	s_or_saveexec_b64 s[6:7], s[6:7]
	v_mov_b32_e32 v2, s10
	s_xor_b64 exec, exec, s[6:7]
	s_cbranch_execz .LBB52_938
.LBB52_2988:
	v_mov_b32_e32 v2, 0
	v_cmp_ne_u16_sdwa s[8:9], v6, v2 src0_sel:BYTE_0 src1_sel:DWORD
	s_andn2_b64 s[4:5], s[4:5], exec
	s_and_b64 s[8:9], s[8:9], exec
	s_or_b64 s[4:5], s[4:5], s[8:9]
	s_or_b64 exec, exec, s[6:7]
	s_and_saveexec_b64 s[6:7], s[4:5]
	s_cbranch_execnz .LBB52_939
	s_branch .LBB52_940
.LBB52_2989:
	s_movk_i32 s4, 0x80
	v_cmp_eq_u16_sdwa s[12:13], v6, s4 src0_sel:BYTE_0 src1_sel:DWORD
	s_mov_b64 s[4:5], -1
                                        ; implicit-def: $sgpr10
	s_and_saveexec_b64 s[8:9], s[12:13]
; %bb.2990:
	s_mov_b32 s10, 0x7f800001
	s_xor_b64 s[4:5], exec, -1
; %bb.2991:
	s_or_b64 exec, exec, s[8:9]
	s_and_b64 s[4:5], s[4:5], exec
	s_or_saveexec_b64 s[6:7], s[6:7]
	v_mov_b32_e32 v10, s10
	s_xor_b64 exec, exec, s[6:7]
	s_cbranch_execz .LBB52_942
.LBB52_2992:
	v_mov_b32_e32 v10, 0
	v_cmp_ne_u16_sdwa s[8:9], v6, v10 src0_sel:BYTE_0 src1_sel:DWORD
	s_andn2_b64 s[4:5], s[4:5], exec
	s_and_b64 s[8:9], s[8:9], exec
	s_or_b64 s[4:5], s[4:5], s[8:9]
	s_or_b64 exec, exec, s[6:7]
	s_and_saveexec_b64 s[6:7], s[4:5]
	s_cbranch_execnz .LBB52_943
	s_branch .LBB52_944
.LBB52_2993:
	s_movk_i32 s4, 0x80
	v_cmp_eq_u16_e32 vcc, s4, v6
	s_mov_b64 s[4:5], -1
                                        ; implicit-def: $sgpr10
	s_and_saveexec_b64 s[8:9], vcc
; %bb.2994:
	s_mov_b32 s10, 0x7f800001
	s_xor_b64 s[4:5], exec, -1
; %bb.2995:
	s_or_b64 exec, exec, s[8:9]
	s_and_b64 s[4:5], s[4:5], exec
                                        ; implicit-def: $vgpr6
	s_or_saveexec_b64 s[6:7], s[6:7]
	v_mov_b32_e32 v2, s10
	s_xor_b64 exec, exec, s[6:7]
	s_cbranch_execz .LBB52_946
.LBB52_2996:
	v_cmp_ne_u16_e32 vcc, 0, v6
	s_andn2_b64 s[4:5], s[4:5], exec
	s_and_b64 s[8:9], vcc, exec
	v_mov_b32_e32 v2, 0
	s_or_b64 s[4:5], s[4:5], s[8:9]
	s_or_b64 exec, exec, s[6:7]
	s_and_saveexec_b64 s[6:7], s[4:5]
	s_cbranch_execnz .LBB52_947
	s_branch .LBB52_948
.LBB52_2997:
	s_movk_i32 s4, 0x80
	v_cmp_eq_u16_e32 vcc, s4, v6
	s_mov_b64 s[4:5], -1
                                        ; implicit-def: $sgpr10
	s_and_saveexec_b64 s[8:9], vcc
; %bb.2998:
	s_mov_b32 s10, 0x7f800001
	s_xor_b64 s[4:5], exec, -1
; %bb.2999:
	s_or_b64 exec, exec, s[8:9]
	s_and_b64 s[4:5], s[4:5], exec
                                        ; implicit-def: $vgpr6
	s_or_saveexec_b64 s[6:7], s[6:7]
	v_mov_b32_e32 v10, s10
	s_xor_b64 exec, exec, s[6:7]
	s_cbranch_execz .LBB52_950
.LBB52_3000:
	v_cmp_ne_u16_e32 vcc, 0, v6
	s_andn2_b64 s[4:5], s[4:5], exec
	s_and_b64 s[8:9], vcc, exec
	v_mov_b32_e32 v10, 0
	s_or_b64 s[4:5], s[4:5], s[8:9]
	s_or_b64 exec, exec, s[6:7]
	s_and_saveexec_b64 s[6:7], s[4:5]
	s_cbranch_execnz .LBB52_951
	s_branch .LBB52_952
.LBB52_3001:
	s_movk_i32 s4, 0x80
	v_cmp_eq_u16_sdwa s[12:13], v7, s4 src0_sel:BYTE_3 src1_sel:DWORD
	s_mov_b64 s[4:5], -1
                                        ; implicit-def: $sgpr10
	s_and_saveexec_b64 s[8:9], s[12:13]
; %bb.3002:
	s_mov_b32 s10, 0x7f800001
	s_xor_b64 s[4:5], exec, -1
; %bb.3003:
	s_or_b64 exec, exec, s[8:9]
	s_and_b64 s[4:5], s[4:5], exec
	s_or_saveexec_b64 s[6:7], s[6:7]
	v_mov_b32_e32 v2, s10
	s_xor_b64 exec, exec, s[6:7]
	s_cbranch_execz .LBB52_954
.LBB52_3004:
	v_mov_b32_e32 v2, 0
	v_cmp_ne_u16_sdwa s[8:9], v7, v2 src0_sel:BYTE_3 src1_sel:DWORD
	s_andn2_b64 s[4:5], s[4:5], exec
	s_and_b64 s[8:9], s[8:9], exec
	s_or_b64 s[4:5], s[4:5], s[8:9]
	s_or_b64 exec, exec, s[6:7]
	s_and_saveexec_b64 s[6:7], s[4:5]
	s_cbranch_execnz .LBB52_955
	s_branch .LBB52_956
.LBB52_3005:
	s_movk_i32 s4, 0x80
	v_cmp_eq_u16_sdwa s[12:13], v3, s4 src0_sel:BYTE_3 src1_sel:DWORD
	s_mov_b64 s[4:5], -1
                                        ; implicit-def: $sgpr10
	s_and_saveexec_b64 s[8:9], s[12:13]
; %bb.3006:
	s_mov_b32 s10, 0x7f800001
	s_xor_b64 s[4:5], exec, -1
; %bb.3007:
	s_or_b64 exec, exec, s[8:9]
	s_and_b64 s[4:5], s[4:5], exec
	s_or_saveexec_b64 s[6:7], s[6:7]
	v_mov_b32_e32 v6, s10
	s_xor_b64 exec, exec, s[6:7]
	s_cbranch_execz .LBB52_958
.LBB52_3008:
	v_mov_b32_e32 v6, 0
	v_cmp_ne_u16_sdwa s[8:9], v3, v6 src0_sel:BYTE_3 src1_sel:DWORD
	s_andn2_b64 s[4:5], s[4:5], exec
	s_and_b64 s[8:9], s[8:9], exec
	s_or_b64 s[4:5], s[4:5], s[8:9]
	s_or_b64 exec, exec, s[6:7]
	s_and_saveexec_b64 s[6:7], s[4:5]
	s_cbranch_execnz .LBB52_959
	s_branch .LBB52_960
.LBB52_3009:
	s_movk_i32 s4, 0x80
	v_cmp_eq_u16_sdwa s[12:13], v8, s4 src0_sel:BYTE_0 src1_sel:DWORD
	s_mov_b64 s[4:5], -1
                                        ; implicit-def: $sgpr10
	s_and_saveexec_b64 s[8:9], s[12:13]
; %bb.3010:
	s_mov_b32 s10, 0x7f800001
	s_xor_b64 s[4:5], exec, -1
; %bb.3011:
	s_or_b64 exec, exec, s[8:9]
	s_and_b64 s[4:5], s[4:5], exec
	s_or_saveexec_b64 s[6:7], s[6:7]
	v_mov_b32_e32 v2, s10
	s_xor_b64 exec, exec, s[6:7]
	s_cbranch_execz .LBB52_962
.LBB52_3012:
	v_mov_b32_e32 v2, 0
	v_cmp_ne_u16_sdwa s[8:9], v8, v2 src0_sel:BYTE_0 src1_sel:DWORD
	s_andn2_b64 s[4:5], s[4:5], exec
	s_and_b64 s[8:9], s[8:9], exec
	s_or_b64 s[4:5], s[4:5], s[8:9]
	s_or_b64 exec, exec, s[6:7]
	s_and_saveexec_b64 s[6:7], s[4:5]
	s_cbranch_execnz .LBB52_963
	s_branch .LBB52_964
.LBB52_3013:
	s_movk_i32 s4, 0x80
	v_cmp_eq_u16_sdwa s[12:13], v4, s4 src0_sel:BYTE_0 src1_sel:DWORD
	s_mov_b64 s[4:5], -1
                                        ; implicit-def: $sgpr10
	s_and_saveexec_b64 s[8:9], s[12:13]
; %bb.3014:
	s_mov_b32 s10, 0x7f800001
	s_xor_b64 s[4:5], exec, -1
; %bb.3015:
	s_or_b64 exec, exec, s[8:9]
	s_and_b64 s[4:5], s[4:5], exec
	s_or_saveexec_b64 s[6:7], s[6:7]
	v_mov_b32_e32 v3, s10
	s_xor_b64 exec, exec, s[6:7]
	s_cbranch_execz .LBB52_966
.LBB52_3016:
	v_mov_b32_e32 v3, 0
	v_cmp_ne_u16_sdwa s[8:9], v4, v3 src0_sel:BYTE_0 src1_sel:DWORD
	s_andn2_b64 s[4:5], s[4:5], exec
	s_and_b64 s[8:9], s[8:9], exec
	s_or_b64 s[4:5], s[4:5], s[8:9]
	s_or_b64 exec, exec, s[6:7]
	s_and_saveexec_b64 s[6:7], s[4:5]
	s_cbranch_execnz .LBB52_967
	s_branch .LBB52_968
.LBB52_3017:
	s_movk_i32 s4, 0x80
	v_cmp_eq_u16_sdwa s[12:13], v3, s4 src0_sel:BYTE_0 src1_sel:DWORD
	s_mov_b64 s[4:5], -1
                                        ; implicit-def: $sgpr10
	s_and_saveexec_b64 s[8:9], s[12:13]
; %bb.3018:
	s_mov_b32 s10, 0x7f800001
	s_xor_b64 s[4:5], exec, -1
; %bb.3019:
	s_or_b64 exec, exec, s[8:9]
	s_and_b64 s[4:5], s[4:5], exec
	s_or_saveexec_b64 s[6:7], s[6:7]
	v_mov_b32_e32 v2, s10
	s_xor_b64 exec, exec, s[6:7]
	s_cbranch_execz .LBB52_970
.LBB52_3020:
	v_mov_b32_e32 v2, 0
	v_cmp_ne_u16_sdwa s[8:9], v3, v2 src0_sel:BYTE_0 src1_sel:DWORD
	s_andn2_b64 s[4:5], s[4:5], exec
	s_and_b64 s[8:9], s[8:9], exec
	s_or_b64 s[4:5], s[4:5], s[8:9]
	s_or_b64 exec, exec, s[6:7]
	s_and_saveexec_b64 s[6:7], s[4:5]
	s_cbranch_execnz .LBB52_971
	s_branch .LBB52_972
.LBB52_3021:
	s_movk_i32 s4, 0x80
	v_cmp_eq_u16_sdwa s[12:13], v3, s4 src0_sel:BYTE_0 src1_sel:DWORD
	s_mov_b64 s[4:5], -1
                                        ; implicit-def: $sgpr10
	s_and_saveexec_b64 s[8:9], s[12:13]
; %bb.3022:
	s_mov_b32 s10, 0x7f800001
	s_xor_b64 s[4:5], exec, -1
; %bb.3023:
	s_or_b64 exec, exec, s[8:9]
	s_and_b64 s[4:5], s[4:5], exec
	s_or_saveexec_b64 s[6:7], s[6:7]
	v_mov_b32_e32 v6, s10
	s_xor_b64 exec, exec, s[6:7]
	s_cbranch_execz .LBB52_974
.LBB52_3024:
	v_mov_b32_e32 v6, 0
	v_cmp_ne_u16_sdwa s[8:9], v3, v6 src0_sel:BYTE_0 src1_sel:DWORD
	s_andn2_b64 s[4:5], s[4:5], exec
	s_and_b64 s[8:9], s[8:9], exec
	s_or_b64 s[4:5], s[4:5], s[8:9]
	s_or_b64 exec, exec, s[6:7]
	s_and_saveexec_b64 s[6:7], s[4:5]
	s_cbranch_execnz .LBB52_975
	s_branch .LBB52_976
.LBB52_3025:
	s_movk_i32 s4, 0x80
	v_cmp_eq_u16_e32 vcc, s4, v3
	s_mov_b64 s[4:5], -1
                                        ; implicit-def: $sgpr10
	s_and_saveexec_b64 s[8:9], vcc
; %bb.3026:
	s_mov_b32 s10, 0x7f800001
	s_xor_b64 s[4:5], exec, -1
; %bb.3027:
	s_or_b64 exec, exec, s[8:9]
	s_and_b64 s[4:5], s[4:5], exec
                                        ; implicit-def: $vgpr3
	s_or_saveexec_b64 s[6:7], s[6:7]
	v_mov_b32_e32 v2, s10
	s_xor_b64 exec, exec, s[6:7]
	s_cbranch_execz .LBB52_978
.LBB52_3028:
	v_cmp_ne_u16_e32 vcc, 0, v3
	s_andn2_b64 s[4:5], s[4:5], exec
	s_and_b64 s[8:9], vcc, exec
	v_mov_b32_e32 v2, 0
	s_or_b64 s[4:5], s[4:5], s[8:9]
	s_or_b64 exec, exec, s[6:7]
	s_and_saveexec_b64 s[6:7], s[4:5]
	s_cbranch_execnz .LBB52_979
	s_branch .LBB52_980
.LBB52_3029:
	s_movk_i32 s4, 0x80
	v_cmp_eq_u16_e32 vcc, s4, v3
	s_mov_b64 s[4:5], -1
                                        ; implicit-def: $sgpr10
	s_and_saveexec_b64 s[8:9], vcc
; %bb.3030:
	s_mov_b32 s10, 0x7f800001
	s_xor_b64 s[4:5], exec, -1
; %bb.3031:
	s_or_b64 exec, exec, s[8:9]
	s_and_b64 s[4:5], s[4:5], exec
                                        ; implicit-def: $vgpr3
	s_or_saveexec_b64 s[6:7], s[6:7]
	v_mov_b32_e32 v6, s10
	s_xor_b64 exec, exec, s[6:7]
	s_cbranch_execz .LBB52_982
.LBB52_3032:
	v_cmp_ne_u16_e32 vcc, 0, v3
	s_andn2_b64 s[4:5], s[4:5], exec
	s_and_b64 s[8:9], vcc, exec
	v_mov_b32_e32 v6, 0
	s_or_b64 s[4:5], s[4:5], s[8:9]
	s_or_b64 exec, exec, s[6:7]
	s_and_saveexec_b64 s[6:7], s[4:5]
	s_cbranch_execnz .LBB52_983
	s_branch .LBB52_984
.LBB52_3033:
	s_movk_i32 s4, 0x80
	v_cmp_eq_u16_sdwa s[12:13], v8, s4 src0_sel:BYTE_3 src1_sel:DWORD
	s_mov_b64 s[4:5], -1
                                        ; implicit-def: $sgpr10
	s_and_saveexec_b64 s[8:9], s[12:13]
; %bb.3034:
	s_mov_b32 s10, 0x7f800001
	s_xor_b64 s[4:5], exec, -1
; %bb.3035:
	s_or_b64 exec, exec, s[8:9]
	s_and_b64 s[4:5], s[4:5], exec
	s_or_saveexec_b64 s[6:7], s[6:7]
	v_mov_b32_e32 v2, s10
	s_xor_b64 exec, exec, s[6:7]
	s_cbranch_execz .LBB52_986
.LBB52_3036:
	v_mov_b32_e32 v2, 0
	v_cmp_ne_u16_sdwa s[8:9], v8, v2 src0_sel:BYTE_3 src1_sel:DWORD
	s_andn2_b64 s[4:5], s[4:5], exec
	s_and_b64 s[8:9], s[8:9], exec
	s_or_b64 s[4:5], s[4:5], s[8:9]
	s_or_b64 exec, exec, s[6:7]
	s_and_saveexec_b64 s[6:7], s[4:5]
	s_cbranch_execnz .LBB52_987
	s_branch .LBB52_988
.LBB52_3037:
	s_movk_i32 s4, 0x80
	v_cmp_eq_u16_sdwa s[12:13], v4, s4 src0_sel:BYTE_3 src1_sel:DWORD
	s_mov_b64 s[4:5], -1
                                        ; implicit-def: $sgpr10
	s_and_saveexec_b64 s[8:9], s[12:13]
; %bb.3038:
	s_mov_b32 s10, 0x7f800001
	s_xor_b64 s[4:5], exec, -1
; %bb.3039:
	s_or_b64 exec, exec, s[8:9]
	s_and_b64 s[4:5], s[4:5], exec
	s_or_saveexec_b64 s[6:7], s[6:7]
	v_mov_b32_e32 v3, s10
	s_xor_b64 exec, exec, s[6:7]
	s_cbranch_execz .LBB52_990
.LBB52_3040:
	v_mov_b32_e32 v3, 0
	v_cmp_ne_u16_sdwa s[8:9], v4, v3 src0_sel:BYTE_3 src1_sel:DWORD
	s_andn2_b64 s[4:5], s[4:5], exec
	s_and_b64 s[8:9], s[8:9], exec
	s_or_b64 s[4:5], s[4:5], s[8:9]
	s_or_b64 exec, exec, s[6:7]
	s_and_saveexec_b64 s[6:7], s[4:5]
	s_cbranch_execnz .LBB52_991
	s_branch .LBB52_992
.LBB52_3041:
	s_movk_i32 s4, 0x80
	v_cmp_eq_u16_sdwa s[12:13], v9, s4 src0_sel:BYTE_0 src1_sel:DWORD
	s_mov_b64 s[4:5], -1
                                        ; implicit-def: $sgpr10
	s_and_saveexec_b64 s[8:9], s[12:13]
; %bb.3042:
	s_mov_b32 s10, 0x7f800001
	s_xor_b64 s[4:5], exec, -1
; %bb.3043:
	s_or_b64 exec, exec, s[8:9]
	s_and_b64 s[4:5], s[4:5], exec
	s_or_saveexec_b64 s[6:7], s[6:7]
	v_mov_b32_e32 v2, s10
	s_xor_b64 exec, exec, s[6:7]
	s_cbranch_execz .LBB52_994
.LBB52_3044:
	v_mov_b32_e32 v2, 0
	v_cmp_ne_u16_sdwa s[8:9], v9, v2 src0_sel:BYTE_0 src1_sel:DWORD
	s_andn2_b64 s[4:5], s[4:5], exec
	s_and_b64 s[8:9], s[8:9], exec
	s_or_b64 s[4:5], s[4:5], s[8:9]
	s_or_b64 exec, exec, s[6:7]
	s_and_saveexec_b64 s[6:7], s[4:5]
	s_cbranch_execnz .LBB52_995
	s_branch .LBB52_996
.LBB52_3045:
	s_movk_i32 s4, 0x80
	v_cmp_eq_u16_sdwa s[12:13], v5, s4 src0_sel:BYTE_0 src1_sel:DWORD
	s_mov_b64 s[4:5], -1
                                        ; implicit-def: $sgpr10
	s_and_saveexec_b64 s[8:9], s[12:13]
; %bb.3046:
	s_mov_b32 s10, 0x7f800001
	s_xor_b64 s[4:5], exec, -1
; %bb.3047:
	s_or_b64 exec, exec, s[8:9]
	s_and_b64 s[4:5], s[4:5], exec
	s_or_saveexec_b64 s[6:7], s[6:7]
	v_mov_b32_e32 v3, s10
	s_xor_b64 exec, exec, s[6:7]
	s_cbranch_execz .LBB52_998
.LBB52_3048:
	v_mov_b32_e32 v3, 0
	v_cmp_ne_u16_sdwa s[8:9], v5, v3 src0_sel:BYTE_0 src1_sel:DWORD
	s_andn2_b64 s[4:5], s[4:5], exec
	s_and_b64 s[8:9], s[8:9], exec
	s_or_b64 s[4:5], s[4:5], s[8:9]
	s_or_b64 exec, exec, s[6:7]
	s_and_saveexec_b64 s[6:7], s[4:5]
	s_cbranch_execnz .LBB52_999
	s_branch .LBB52_1000
.LBB52_3049:
	s_movk_i32 s4, 0x80
	v_cmp_eq_u16_sdwa s[12:13], v3, s4 src0_sel:BYTE_0 src1_sel:DWORD
	s_mov_b64 s[4:5], -1
                                        ; implicit-def: $sgpr10
	s_and_saveexec_b64 s[8:9], s[12:13]
; %bb.3050:
	s_mov_b32 s10, 0x7f800001
	s_xor_b64 s[4:5], exec, -1
; %bb.3051:
	s_or_b64 exec, exec, s[8:9]
	s_and_b64 s[4:5], s[4:5], exec
	s_or_saveexec_b64 s[6:7], s[6:7]
	v_mov_b32_e32 v2, s10
	s_xor_b64 exec, exec, s[6:7]
	s_cbranch_execz .LBB52_1002
.LBB52_3052:
	v_mov_b32_e32 v2, 0
	v_cmp_ne_u16_sdwa s[8:9], v3, v2 src0_sel:BYTE_0 src1_sel:DWORD
	s_andn2_b64 s[4:5], s[4:5], exec
	s_and_b64 s[8:9], s[8:9], exec
	s_or_b64 s[4:5], s[4:5], s[8:9]
	s_or_b64 exec, exec, s[6:7]
	s_and_saveexec_b64 s[6:7], s[4:5]
	s_cbranch_execnz .LBB52_1003
	s_branch .LBB52_1004
.LBB52_3053:
	s_movk_i32 s4, 0x80
	v_cmp_eq_u16_sdwa s[12:13], v3, s4 src0_sel:BYTE_0 src1_sel:DWORD
	s_mov_b64 s[4:5], -1
                                        ; implicit-def: $sgpr10
	s_and_saveexec_b64 s[8:9], s[12:13]
; %bb.3054:
	s_mov_b32 s10, 0x7f800001
	s_xor_b64 s[4:5], exec, -1
; %bb.3055:
	s_or_b64 exec, exec, s[8:9]
	s_and_b64 s[4:5], s[4:5], exec
	s_or_saveexec_b64 s[6:7], s[6:7]
	v_mov_b32_e32 v4, s10
	s_xor_b64 exec, exec, s[6:7]
	s_cbranch_execz .LBB52_1006
.LBB52_3056:
	v_mov_b32_e32 v4, 0
	v_cmp_ne_u16_sdwa s[8:9], v3, v4 src0_sel:BYTE_0 src1_sel:DWORD
	s_andn2_b64 s[4:5], s[4:5], exec
	s_and_b64 s[8:9], s[8:9], exec
	s_or_b64 s[4:5], s[4:5], s[8:9]
	s_or_b64 exec, exec, s[6:7]
	s_and_saveexec_b64 s[6:7], s[4:5]
	s_cbranch_execnz .LBB52_1007
	s_branch .LBB52_1008
.LBB52_3057:
	s_movk_i32 s4, 0x80
	v_cmp_eq_u16_e32 vcc, s4, v3
	s_mov_b64 s[4:5], -1
                                        ; implicit-def: $sgpr10
	s_and_saveexec_b64 s[8:9], vcc
; %bb.3058:
	s_mov_b32 s10, 0x7f800001
	s_xor_b64 s[4:5], exec, -1
; %bb.3059:
	s_or_b64 exec, exec, s[8:9]
	s_and_b64 s[4:5], s[4:5], exec
                                        ; implicit-def: $vgpr3
	s_or_saveexec_b64 s[6:7], s[6:7]
	v_mov_b32_e32 v2, s10
	s_xor_b64 exec, exec, s[6:7]
	s_cbranch_execz .LBB52_1010
.LBB52_3060:
	v_cmp_ne_u16_e32 vcc, 0, v3
	s_andn2_b64 s[4:5], s[4:5], exec
	s_and_b64 s[8:9], vcc, exec
	v_mov_b32_e32 v2, 0
	s_or_b64 s[4:5], s[4:5], s[8:9]
	s_or_b64 exec, exec, s[6:7]
	s_and_saveexec_b64 s[6:7], s[4:5]
	s_cbranch_execnz .LBB52_1011
	s_branch .LBB52_1012
.LBB52_3061:
	s_movk_i32 s4, 0x80
	v_cmp_eq_u16_e32 vcc, s4, v3
	s_mov_b64 s[4:5], -1
                                        ; implicit-def: $sgpr10
	s_and_saveexec_b64 s[8:9], vcc
; %bb.3062:
	s_mov_b32 s10, 0x7f800001
	s_xor_b64 s[4:5], exec, -1
; %bb.3063:
	s_or_b64 exec, exec, s[8:9]
	s_and_b64 s[4:5], s[4:5], exec
                                        ; implicit-def: $vgpr3
	s_or_saveexec_b64 s[6:7], s[6:7]
	v_mov_b32_e32 v4, s10
	s_xor_b64 exec, exec, s[6:7]
	s_cbranch_execz .LBB52_1014
.LBB52_3064:
	v_cmp_ne_u16_e32 vcc, 0, v3
	s_andn2_b64 s[4:5], s[4:5], exec
	s_and_b64 s[8:9], vcc, exec
	v_mov_b32_e32 v4, 0
	s_or_b64 s[4:5], s[4:5], s[8:9]
	s_or_b64 exec, exec, s[6:7]
	s_and_saveexec_b64 s[6:7], s[4:5]
	s_cbranch_execnz .LBB52_1015
	s_branch .LBB52_1016
.LBB52_3065:
	s_movk_i32 s4, 0x80
	v_cmp_eq_u16_sdwa s[12:13], v9, s4 src0_sel:BYTE_3 src1_sel:DWORD
	s_mov_b64 s[4:5], -1
                                        ; implicit-def: $sgpr10
	s_and_saveexec_b64 s[8:9], s[12:13]
; %bb.3066:
	s_mov_b32 s10, 0x7f800001
	s_xor_b64 s[4:5], exec, -1
; %bb.3067:
	s_or_b64 exec, exec, s[8:9]
	s_and_b64 s[4:5], s[4:5], exec
	s_or_saveexec_b64 s[6:7], s[6:7]
	v_mov_b32_e32 v2, s10
	s_xor_b64 exec, exec, s[6:7]
	s_cbranch_execz .LBB52_1018
.LBB52_3068:
	v_mov_b32_e32 v2, 0
	v_cmp_ne_u16_sdwa s[8:9], v9, v2 src0_sel:BYTE_3 src1_sel:DWORD
	s_andn2_b64 s[4:5], s[4:5], exec
	s_and_b64 s[8:9], s[8:9], exec
	s_or_b64 s[4:5], s[4:5], s[8:9]
	s_or_b64 exec, exec, s[6:7]
	s_and_saveexec_b64 s[6:7], s[4:5]
	s_cbranch_execnz .LBB52_1019
	s_branch .LBB52_1020
.LBB52_3069:
	s_movk_i32 s4, 0x80
	v_cmp_eq_u16_sdwa s[12:13], v5, s4 src0_sel:BYTE_3 src1_sel:DWORD
	s_mov_b64 s[4:5], -1
                                        ; implicit-def: $sgpr10
	s_and_saveexec_b64 s[8:9], s[12:13]
; %bb.3070:
	s_mov_b32 s10, 0x7f800001
	s_xor_b64 s[4:5], exec, -1
; %bb.3071:
	s_or_b64 exec, exec, s[8:9]
	s_and_b64 s[4:5], s[4:5], exec
	s_or_saveexec_b64 s[6:7], s[6:7]
	v_mov_b32_e32 v3, s10
	s_xor_b64 exec, exec, s[6:7]
	s_cbranch_execz .LBB52_1022
.LBB52_3072:
	v_mov_b32_e32 v3, 0
	v_cmp_ne_u16_sdwa s[8:9], v5, v3 src0_sel:BYTE_3 src1_sel:DWORD
	s_andn2_b64 s[4:5], s[4:5], exec
	s_and_b64 s[8:9], s[8:9], exec
	s_or_b64 s[4:5], s[4:5], s[8:9]
	s_or_b64 exec, exec, s[6:7]
	s_and_saveexec_b64 s[6:7], s[4:5]
	s_cbranch_execnz .LBB52_1023
	s_branch .LBB52_1024
.LBB52_3073:
	s_movk_i32 s4, 0x80
	v_cmp_eq_u16_sdwa s[12:13], v14, s4 src0_sel:BYTE_0 src1_sel:DWORD
	s_mov_b64 s[4:5], -1
                                        ; implicit-def: $sgpr10
	s_and_saveexec_b64 s[8:9], s[12:13]
; %bb.3074:
	s_mov_b32 s10, 0x7f800001
	s_xor_b64 s[4:5], exec, -1
; %bb.3075:
	s_or_b64 exec, exec, s[8:9]
	s_and_b64 s[4:5], s[4:5], exec
	s_or_saveexec_b64 s[6:7], s[6:7]
	v_mov_b32_e32 v20, s10
	s_xor_b64 exec, exec, s[6:7]
	s_cbranch_execz .LBB52_1026
.LBB52_3076:
	v_mov_b32_e32 v20, 0
	v_cmp_ne_u16_sdwa s[8:9], v14, v20 src0_sel:BYTE_0 src1_sel:DWORD
	s_andn2_b64 s[4:5], s[4:5], exec
	s_and_b64 s[8:9], s[8:9], exec
	s_or_b64 s[4:5], s[4:5], s[8:9]
	s_or_b64 exec, exec, s[6:7]
	s_and_saveexec_b64 s[6:7], s[4:5]
	s_cbranch_execnz .LBB52_1027
	s_branch .LBB52_1028
.LBB52_3077:
	s_movk_i32 s4, 0x80
	v_cmp_eq_u16_sdwa s[12:13], v10, s4 src0_sel:BYTE_0 src1_sel:DWORD
	s_mov_b64 s[4:5], -1
                                        ; implicit-def: $sgpr10
	s_and_saveexec_b64 s[8:9], s[12:13]
; %bb.3078:
	s_mov_b32 s10, 0x7f800001
	s_xor_b64 s[4:5], exec, -1
; %bb.3079:
	s_or_b64 exec, exec, s[8:9]
	s_and_b64 s[4:5], s[4:5], exec
	s_or_saveexec_b64 s[6:7], s[6:7]
	v_mov_b32_e32 v21, s10
	s_xor_b64 exec, exec, s[6:7]
	s_cbranch_execz .LBB52_1030
.LBB52_3080:
	v_mov_b32_e32 v21, 0
	v_cmp_ne_u16_sdwa s[8:9], v10, v21 src0_sel:BYTE_0 src1_sel:DWORD
	s_andn2_b64 s[4:5], s[4:5], exec
	s_and_b64 s[8:9], s[8:9], exec
	s_or_b64 s[4:5], s[4:5], s[8:9]
	s_or_b64 exec, exec, s[6:7]
	s_and_saveexec_b64 s[6:7], s[4:5]
	s_cbranch_execnz .LBB52_1031
	s_branch .LBB52_1032
.LBB52_3081:
	s_movk_i32 s4, 0x80
	v_cmp_eq_u16_sdwa s[12:13], v21, s4 src0_sel:BYTE_0 src1_sel:DWORD
	s_mov_b64 s[4:5], -1
                                        ; implicit-def: $sgpr10
	s_and_saveexec_b64 s[8:9], s[12:13]
; %bb.3082:
	s_mov_b32 s10, 0x7f800001
	s_xor_b64 s[4:5], exec, -1
; %bb.3083:
	s_or_b64 exec, exec, s[8:9]
	s_and_b64 s[4:5], s[4:5], exec
	s_or_saveexec_b64 s[6:7], s[6:7]
	v_mov_b32_e32 v20, s10
	s_xor_b64 exec, exec, s[6:7]
	s_cbranch_execz .LBB52_1034
.LBB52_3084:
	v_mov_b32_e32 v20, 0
	v_cmp_ne_u16_sdwa s[8:9], v21, v20 src0_sel:BYTE_0 src1_sel:DWORD
	s_andn2_b64 s[4:5], s[4:5], exec
	s_and_b64 s[8:9], s[8:9], exec
	s_or_b64 s[4:5], s[4:5], s[8:9]
	s_or_b64 exec, exec, s[6:7]
	s_and_saveexec_b64 s[6:7], s[4:5]
	s_cbranch_execnz .LBB52_1035
	s_branch .LBB52_1036
.LBB52_3085:
	s_movk_i32 s4, 0x80
	v_cmp_eq_u16_sdwa s[12:13], v21, s4 src0_sel:BYTE_0 src1_sel:DWORD
	s_mov_b64 s[4:5], -1
                                        ; implicit-def: $sgpr10
	s_and_saveexec_b64 s[8:9], s[12:13]
; %bb.3086:
	s_mov_b32 s10, 0x7f800001
	s_xor_b64 s[4:5], exec, -1
; %bb.3087:
	s_or_b64 exec, exec, s[8:9]
	s_and_b64 s[4:5], s[4:5], exec
	s_or_saveexec_b64 s[6:7], s[6:7]
	v_mov_b32_e32 v22, s10
	s_xor_b64 exec, exec, s[6:7]
	s_cbranch_execz .LBB52_1038
.LBB52_3088:
	v_mov_b32_e32 v22, 0
	v_cmp_ne_u16_sdwa s[8:9], v21, v22 src0_sel:BYTE_0 src1_sel:DWORD
	s_andn2_b64 s[4:5], s[4:5], exec
	s_and_b64 s[8:9], s[8:9], exec
	s_or_b64 s[4:5], s[4:5], s[8:9]
	s_or_b64 exec, exec, s[6:7]
	s_and_saveexec_b64 s[6:7], s[4:5]
	s_cbranch_execnz .LBB52_1039
	s_branch .LBB52_1040
.LBB52_3089:
	s_movk_i32 s4, 0x80
	v_cmp_eq_u16_e32 vcc, s4, v21
	s_mov_b64 s[4:5], -1
                                        ; implicit-def: $sgpr10
	s_and_saveexec_b64 s[8:9], vcc
; %bb.3090:
	s_mov_b32 s10, 0x7f800001
	s_xor_b64 s[4:5], exec, -1
; %bb.3091:
	s_or_b64 exec, exec, s[8:9]
	s_and_b64 s[4:5], s[4:5], exec
                                        ; implicit-def: $vgpr21
	s_or_saveexec_b64 s[6:7], s[6:7]
	v_mov_b32_e32 v20, s10
	s_xor_b64 exec, exec, s[6:7]
	s_cbranch_execz .LBB52_1042
.LBB52_3092:
	v_cmp_ne_u16_e32 vcc, 0, v21
	s_andn2_b64 s[4:5], s[4:5], exec
	s_and_b64 s[8:9], vcc, exec
	v_mov_b32_e32 v20, 0
	s_or_b64 s[4:5], s[4:5], s[8:9]
	s_or_b64 exec, exec, s[6:7]
	s_and_saveexec_b64 s[6:7], s[4:5]
	s_cbranch_execnz .LBB52_1043
	s_branch .LBB52_1044
.LBB52_3093:
	s_movk_i32 s4, 0x80
	v_cmp_eq_u16_e32 vcc, s4, v21
	s_mov_b64 s[4:5], -1
                                        ; implicit-def: $sgpr10
	s_and_saveexec_b64 s[8:9], vcc
; %bb.3094:
	s_mov_b32 s10, 0x7f800001
	s_xor_b64 s[4:5], exec, -1
; %bb.3095:
	s_or_b64 exec, exec, s[8:9]
	s_and_b64 s[4:5], s[4:5], exec
                                        ; implicit-def: $vgpr21
	s_or_saveexec_b64 s[6:7], s[6:7]
	v_mov_b32_e32 v22, s10
	s_xor_b64 exec, exec, s[6:7]
	s_cbranch_execz .LBB52_1046
.LBB52_3096:
	v_cmp_ne_u16_e32 vcc, 0, v21
	s_andn2_b64 s[4:5], s[4:5], exec
	s_and_b64 s[8:9], vcc, exec
	v_mov_b32_e32 v22, 0
	s_or_b64 s[4:5], s[4:5], s[8:9]
	s_or_b64 exec, exec, s[6:7]
	s_and_saveexec_b64 s[6:7], s[4:5]
	s_cbranch_execnz .LBB52_1047
	s_branch .LBB52_1048
.LBB52_3097:
	s_movk_i32 s4, 0x80
	v_cmp_eq_u16_sdwa s[12:13], v14, s4 src0_sel:BYTE_3 src1_sel:DWORD
	s_mov_b64 s[4:5], -1
                                        ; implicit-def: $sgpr10
	s_and_saveexec_b64 s[8:9], s[12:13]
; %bb.3098:
	s_mov_b32 s10, 0x7f800001
	s_xor_b64 s[4:5], exec, -1
; %bb.3099:
	s_or_b64 exec, exec, s[8:9]
	s_and_b64 s[4:5], s[4:5], exec
	s_or_saveexec_b64 s[6:7], s[6:7]
	v_mov_b32_e32 v20, s10
	s_xor_b64 exec, exec, s[6:7]
	s_cbranch_execz .LBB52_1050
.LBB52_3100:
	v_mov_b32_e32 v20, 0
	v_cmp_ne_u16_sdwa s[8:9], v14, v20 src0_sel:BYTE_3 src1_sel:DWORD
	s_andn2_b64 s[4:5], s[4:5], exec
	s_and_b64 s[8:9], s[8:9], exec
	s_or_b64 s[4:5], s[4:5], s[8:9]
	s_or_b64 exec, exec, s[6:7]
	s_and_saveexec_b64 s[6:7], s[4:5]
	s_cbranch_execnz .LBB52_1051
	s_branch .LBB52_1052
.LBB52_3101:
	s_movk_i32 s4, 0x80
	v_cmp_eq_u16_sdwa s[12:13], v10, s4 src0_sel:BYTE_3 src1_sel:DWORD
	s_mov_b64 s[4:5], -1
                                        ; implicit-def: $sgpr10
	s_and_saveexec_b64 s[8:9], s[12:13]
; %bb.3102:
	s_mov_b32 s10, 0x7f800001
	s_xor_b64 s[4:5], exec, -1
; %bb.3103:
	s_or_b64 exec, exec, s[8:9]
	s_and_b64 s[4:5], s[4:5], exec
	s_or_saveexec_b64 s[6:7], s[6:7]
	v_mov_b32_e32 v14, s10
	s_xor_b64 exec, exec, s[6:7]
	s_cbranch_execz .LBB52_1054
.LBB52_3104:
	v_mov_b32_e32 v14, 0
	v_cmp_ne_u16_sdwa s[8:9], v10, v14 src0_sel:BYTE_3 src1_sel:DWORD
	s_andn2_b64 s[4:5], s[4:5], exec
	s_and_b64 s[8:9], s[8:9], exec
	s_or_b64 s[4:5], s[4:5], s[8:9]
	s_or_b64 exec, exec, s[6:7]
	s_and_saveexec_b64 s[6:7], s[4:5]
	s_cbranch_execnz .LBB52_1055
	s_branch .LBB52_1056
.LBB52_3105:
	s_movk_i32 s4, 0x80
	v_cmp_eq_u16_sdwa s[12:13], v15, s4 src0_sel:BYTE_0 src1_sel:DWORD
	s_mov_b64 s[4:5], -1
                                        ; implicit-def: $sgpr10
	s_and_saveexec_b64 s[8:9], s[12:13]
; %bb.3106:
	s_mov_b32 s10, 0x7f800001
	s_xor_b64 s[4:5], exec, -1
; %bb.3107:
	s_or_b64 exec, exec, s[8:9]
	s_and_b64 s[4:5], s[4:5], exec
	s_or_saveexec_b64 s[6:7], s[6:7]
	v_mov_b32_e32 v10, s10
	s_xor_b64 exec, exec, s[6:7]
	s_cbranch_execz .LBB52_1058
.LBB52_3108:
	v_mov_b32_e32 v10, 0
	v_cmp_ne_u16_sdwa s[8:9], v15, v10 src0_sel:BYTE_0 src1_sel:DWORD
	s_andn2_b64 s[4:5], s[4:5], exec
	s_and_b64 s[8:9], s[8:9], exec
	s_or_b64 s[4:5], s[4:5], s[8:9]
	s_or_b64 exec, exec, s[6:7]
	s_and_saveexec_b64 s[6:7], s[4:5]
	s_cbranch_execnz .LBB52_1059
	s_branch .LBB52_1060
.LBB52_3109:
	s_movk_i32 s4, 0x80
	v_cmp_eq_u16_sdwa s[12:13], v11, s4 src0_sel:BYTE_0 src1_sel:DWORD
	s_mov_b64 s[4:5], -1
                                        ; implicit-def: $sgpr10
	s_and_saveexec_b64 s[8:9], s[12:13]
; %bb.3110:
	s_mov_b32 s10, 0x7f800001
	s_xor_b64 s[4:5], exec, -1
; %bb.3111:
	s_or_b64 exec, exec, s[8:9]
	s_and_b64 s[4:5], s[4:5], exec
	s_or_saveexec_b64 s[6:7], s[6:7]
	v_mov_b32_e32 v14, s10
	s_xor_b64 exec, exec, s[6:7]
	s_cbranch_execz .LBB52_1062
.LBB52_3112:
	v_mov_b32_e32 v14, 0
	v_cmp_ne_u16_sdwa s[8:9], v11, v14 src0_sel:BYTE_0 src1_sel:DWORD
	s_andn2_b64 s[4:5], s[4:5], exec
	s_and_b64 s[8:9], s[8:9], exec
	s_or_b64 s[4:5], s[4:5], s[8:9]
	s_or_b64 exec, exec, s[6:7]
	s_and_saveexec_b64 s[6:7], s[4:5]
	s_cbranch_execnz .LBB52_1063
	s_branch .LBB52_1064
.LBB52_3113:
	s_movk_i32 s4, 0x80
	v_cmp_eq_u16_sdwa s[12:13], v14, s4 src0_sel:BYTE_0 src1_sel:DWORD
	s_mov_b64 s[4:5], -1
                                        ; implicit-def: $sgpr10
	s_and_saveexec_b64 s[8:9], s[12:13]
; %bb.3114:
	s_mov_b32 s10, 0x7f800001
	s_xor_b64 s[4:5], exec, -1
; %bb.3115:
	s_or_b64 exec, exec, s[8:9]
	s_and_b64 s[4:5], s[4:5], exec
	s_or_saveexec_b64 s[6:7], s[6:7]
	v_mov_b32_e32 v10, s10
	s_xor_b64 exec, exec, s[6:7]
	s_cbranch_execz .LBB52_1066
.LBB52_3116:
	v_mov_b32_e32 v10, 0
	v_cmp_ne_u16_sdwa s[8:9], v14, v10 src0_sel:BYTE_0 src1_sel:DWORD
	s_andn2_b64 s[4:5], s[4:5], exec
	s_and_b64 s[8:9], s[8:9], exec
	s_or_b64 s[4:5], s[4:5], s[8:9]
	s_or_b64 exec, exec, s[6:7]
	s_and_saveexec_b64 s[6:7], s[4:5]
	s_cbranch_execnz .LBB52_1067
	s_branch .LBB52_1068
.LBB52_3117:
	s_movk_i32 s4, 0x80
	v_cmp_eq_u16_sdwa s[12:13], v14, s4 src0_sel:BYTE_0 src1_sel:DWORD
	s_mov_b64 s[4:5], -1
                                        ; implicit-def: $sgpr10
	s_and_saveexec_b64 s[8:9], s[12:13]
; %bb.3118:
	s_mov_b32 s10, 0x7f800001
	s_xor_b64 s[4:5], exec, -1
; %bb.3119:
	s_or_b64 exec, exec, s[8:9]
	s_and_b64 s[4:5], s[4:5], exec
	s_or_saveexec_b64 s[6:7], s[6:7]
	v_mov_b32_e32 v20, s10
	s_xor_b64 exec, exec, s[6:7]
	s_cbranch_execz .LBB52_1070
.LBB52_3120:
	v_mov_b32_e32 v20, 0
	v_cmp_ne_u16_sdwa s[8:9], v14, v20 src0_sel:BYTE_0 src1_sel:DWORD
	s_andn2_b64 s[4:5], s[4:5], exec
	s_and_b64 s[8:9], s[8:9], exec
	s_or_b64 s[4:5], s[4:5], s[8:9]
	s_or_b64 exec, exec, s[6:7]
	s_and_saveexec_b64 s[6:7], s[4:5]
	s_cbranch_execnz .LBB52_1071
	s_branch .LBB52_1072
.LBB52_3121:
	s_movk_i32 s4, 0x80
	v_cmp_eq_u16_e32 vcc, s4, v14
	s_mov_b64 s[4:5], -1
                                        ; implicit-def: $sgpr10
	s_and_saveexec_b64 s[8:9], vcc
; %bb.3122:
	s_mov_b32 s10, 0x7f800001
	s_xor_b64 s[4:5], exec, -1
; %bb.3123:
	s_or_b64 exec, exec, s[8:9]
	s_and_b64 s[4:5], s[4:5], exec
                                        ; implicit-def: $vgpr14
	s_or_saveexec_b64 s[6:7], s[6:7]
	v_mov_b32_e32 v10, s10
	s_xor_b64 exec, exec, s[6:7]
	s_cbranch_execz .LBB52_1074
.LBB52_3124:
	v_cmp_ne_u16_e32 vcc, 0, v14
	s_andn2_b64 s[4:5], s[4:5], exec
	s_and_b64 s[8:9], vcc, exec
	v_mov_b32_e32 v10, 0
	s_or_b64 s[4:5], s[4:5], s[8:9]
	s_or_b64 exec, exec, s[6:7]
	s_and_saveexec_b64 s[6:7], s[4:5]
	s_cbranch_execnz .LBB52_1075
	s_branch .LBB52_1076
.LBB52_3125:
	s_movk_i32 s4, 0x80
	v_cmp_eq_u16_e32 vcc, s4, v14
	s_mov_b64 s[4:5], -1
                                        ; implicit-def: $sgpr10
	s_and_saveexec_b64 s[8:9], vcc
; %bb.3126:
	s_mov_b32 s10, 0x7f800001
	s_xor_b64 s[4:5], exec, -1
; %bb.3127:
	s_or_b64 exec, exec, s[8:9]
	s_and_b64 s[4:5], s[4:5], exec
                                        ; implicit-def: $vgpr14
	s_or_saveexec_b64 s[6:7], s[6:7]
	v_mov_b32_e32 v20, s10
	s_xor_b64 exec, exec, s[6:7]
	s_cbranch_execz .LBB52_1078
.LBB52_3128:
	v_cmp_ne_u16_e32 vcc, 0, v14
	s_andn2_b64 s[4:5], s[4:5], exec
	s_and_b64 s[8:9], vcc, exec
	v_mov_b32_e32 v20, 0
	s_or_b64 s[4:5], s[4:5], s[8:9]
	s_or_b64 exec, exec, s[6:7]
	s_and_saveexec_b64 s[6:7], s[4:5]
	s_cbranch_execnz .LBB52_1079
	s_branch .LBB52_1080
.LBB52_3129:
	s_movk_i32 s4, 0x80
	v_cmp_eq_u16_sdwa s[12:13], v15, s4 src0_sel:BYTE_3 src1_sel:DWORD
	s_mov_b64 s[4:5], -1
                                        ; implicit-def: $sgpr10
	s_and_saveexec_b64 s[8:9], s[12:13]
; %bb.3130:
	s_mov_b32 s10, 0x7f800001
	s_xor_b64 s[4:5], exec, -1
; %bb.3131:
	s_or_b64 exec, exec, s[8:9]
	s_and_b64 s[4:5], s[4:5], exec
	s_or_saveexec_b64 s[6:7], s[6:7]
	v_mov_b32_e32 v10, s10
	s_xor_b64 exec, exec, s[6:7]
	s_cbranch_execz .LBB52_1082
.LBB52_3132:
	v_mov_b32_e32 v10, 0
	v_cmp_ne_u16_sdwa s[8:9], v15, v10 src0_sel:BYTE_3 src1_sel:DWORD
	s_andn2_b64 s[4:5], s[4:5], exec
	s_and_b64 s[8:9], s[8:9], exec
	s_or_b64 s[4:5], s[4:5], s[8:9]
	s_or_b64 exec, exec, s[6:7]
	s_and_saveexec_b64 s[6:7], s[4:5]
	s_cbranch_execnz .LBB52_1083
	s_branch .LBB52_1084
.LBB52_3133:
	s_movk_i32 s4, 0x80
	v_cmp_eq_u16_sdwa s[12:13], v11, s4 src0_sel:BYTE_3 src1_sel:DWORD
	s_mov_b64 s[4:5], -1
                                        ; implicit-def: $sgpr10
	s_and_saveexec_b64 s[8:9], s[12:13]
; %bb.3134:
	s_mov_b32 s10, 0x7f800001
	s_xor_b64 s[4:5], exec, -1
; %bb.3135:
	s_or_b64 exec, exec, s[8:9]
	s_and_b64 s[4:5], s[4:5], exec
	s_or_saveexec_b64 s[6:7], s[6:7]
	v_mov_b32_e32 v14, s10
	s_xor_b64 exec, exec, s[6:7]
	s_cbranch_execz .LBB52_1086
.LBB52_3136:
	v_mov_b32_e32 v14, 0
	v_cmp_ne_u16_sdwa s[8:9], v11, v14 src0_sel:BYTE_3 src1_sel:DWORD
	s_andn2_b64 s[4:5], s[4:5], exec
	s_and_b64 s[8:9], s[8:9], exec
	s_or_b64 s[4:5], s[4:5], s[8:9]
	s_or_b64 exec, exec, s[6:7]
	s_and_saveexec_b64 s[6:7], s[4:5]
	s_cbranch_execnz .LBB52_1087
	s_branch .LBB52_1088
.LBB52_3137:
	s_movk_i32 s4, 0x80
	v_cmp_eq_u16_sdwa s[12:13], v16, s4 src0_sel:BYTE_0 src1_sel:DWORD
	s_mov_b64 s[4:5], -1
                                        ; implicit-def: $sgpr10
	s_and_saveexec_b64 s[8:9], s[12:13]
; %bb.3138:
	s_mov_b32 s10, 0x7f800001
	s_xor_b64 s[4:5], exec, -1
; %bb.3139:
	s_or_b64 exec, exec, s[8:9]
	s_and_b64 s[4:5], s[4:5], exec
	s_or_saveexec_b64 s[6:7], s[6:7]
	v_mov_b32_e32 v10, s10
	s_xor_b64 exec, exec, s[6:7]
	s_cbranch_execz .LBB52_1090
.LBB52_3140:
	v_mov_b32_e32 v10, 0
	v_cmp_ne_u16_sdwa s[8:9], v16, v10 src0_sel:BYTE_0 src1_sel:DWORD
	s_andn2_b64 s[4:5], s[4:5], exec
	s_and_b64 s[8:9], s[8:9], exec
	s_or_b64 s[4:5], s[4:5], s[8:9]
	s_or_b64 exec, exec, s[6:7]
	s_and_saveexec_b64 s[6:7], s[4:5]
	s_cbranch_execnz .LBB52_1091
	s_branch .LBB52_1092
.LBB52_3141:
	s_movk_i32 s4, 0x80
	v_cmp_eq_u16_sdwa s[12:13], v12, s4 src0_sel:BYTE_0 src1_sel:DWORD
	s_mov_b64 s[4:5], -1
                                        ; implicit-def: $sgpr10
	s_and_saveexec_b64 s[8:9], s[12:13]
; %bb.3142:
	s_mov_b32 s10, 0x7f800001
	s_xor_b64 s[4:5], exec, -1
; %bb.3143:
	s_or_b64 exec, exec, s[8:9]
	s_and_b64 s[4:5], s[4:5], exec
	s_or_saveexec_b64 s[6:7], s[6:7]
	v_mov_b32_e32 v11, s10
	s_xor_b64 exec, exec, s[6:7]
	s_cbranch_execz .LBB52_1094
.LBB52_3144:
	v_mov_b32_e32 v11, 0
	v_cmp_ne_u16_sdwa s[8:9], v12, v11 src0_sel:BYTE_0 src1_sel:DWORD
	s_andn2_b64 s[4:5], s[4:5], exec
	s_and_b64 s[8:9], s[8:9], exec
	s_or_b64 s[4:5], s[4:5], s[8:9]
	s_or_b64 exec, exec, s[6:7]
	s_and_saveexec_b64 s[6:7], s[4:5]
	s_cbranch_execnz .LBB52_1095
	s_branch .LBB52_1096
.LBB52_3145:
	s_movk_i32 s4, 0x80
	v_cmp_eq_u16_sdwa s[12:13], v11, s4 src0_sel:BYTE_0 src1_sel:DWORD
	s_mov_b64 s[4:5], -1
                                        ; implicit-def: $sgpr10
	s_and_saveexec_b64 s[8:9], s[12:13]
; %bb.3146:
	s_mov_b32 s10, 0x7f800001
	s_xor_b64 s[4:5], exec, -1
; %bb.3147:
	s_or_b64 exec, exec, s[8:9]
	s_and_b64 s[4:5], s[4:5], exec
	s_or_saveexec_b64 s[6:7], s[6:7]
	v_mov_b32_e32 v10, s10
	s_xor_b64 exec, exec, s[6:7]
	s_cbranch_execz .LBB52_1098
.LBB52_3148:
	v_mov_b32_e32 v10, 0
	v_cmp_ne_u16_sdwa s[8:9], v11, v10 src0_sel:BYTE_0 src1_sel:DWORD
	s_andn2_b64 s[4:5], s[4:5], exec
	s_and_b64 s[8:9], s[8:9], exec
	s_or_b64 s[4:5], s[4:5], s[8:9]
	s_or_b64 exec, exec, s[6:7]
	s_and_saveexec_b64 s[6:7], s[4:5]
	s_cbranch_execnz .LBB52_1099
	s_branch .LBB52_1100
.LBB52_3149:
	s_movk_i32 s4, 0x80
	v_cmp_eq_u16_sdwa s[12:13], v11, s4 src0_sel:BYTE_0 src1_sel:DWORD
	s_mov_b64 s[4:5], -1
                                        ; implicit-def: $sgpr10
	s_and_saveexec_b64 s[8:9], s[12:13]
; %bb.3150:
	s_mov_b32 s10, 0x7f800001
	s_xor_b64 s[4:5], exec, -1
; %bb.3151:
	s_or_b64 exec, exec, s[8:9]
	s_and_b64 s[4:5], s[4:5], exec
	s_or_saveexec_b64 s[6:7], s[6:7]
	v_mov_b32_e32 v14, s10
	s_xor_b64 exec, exec, s[6:7]
	s_cbranch_execz .LBB52_1102
.LBB52_3152:
	v_mov_b32_e32 v14, 0
	v_cmp_ne_u16_sdwa s[8:9], v11, v14 src0_sel:BYTE_0 src1_sel:DWORD
	s_andn2_b64 s[4:5], s[4:5], exec
	s_and_b64 s[8:9], s[8:9], exec
	s_or_b64 s[4:5], s[4:5], s[8:9]
	s_or_b64 exec, exec, s[6:7]
	s_and_saveexec_b64 s[6:7], s[4:5]
	s_cbranch_execnz .LBB52_1103
	s_branch .LBB52_1104
.LBB52_3153:
	s_movk_i32 s4, 0x80
	v_cmp_eq_u16_e32 vcc, s4, v11
	s_mov_b64 s[4:5], -1
                                        ; implicit-def: $sgpr10
	s_and_saveexec_b64 s[8:9], vcc
; %bb.3154:
	s_mov_b32 s10, 0x7f800001
	s_xor_b64 s[4:5], exec, -1
; %bb.3155:
	s_or_b64 exec, exec, s[8:9]
	s_and_b64 s[4:5], s[4:5], exec
                                        ; implicit-def: $vgpr11
	s_or_saveexec_b64 s[6:7], s[6:7]
	v_mov_b32_e32 v10, s10
	s_xor_b64 exec, exec, s[6:7]
	s_cbranch_execz .LBB52_1106
.LBB52_3156:
	v_cmp_ne_u16_e32 vcc, 0, v11
	s_andn2_b64 s[4:5], s[4:5], exec
	s_and_b64 s[8:9], vcc, exec
	v_mov_b32_e32 v10, 0
	s_or_b64 s[4:5], s[4:5], s[8:9]
	s_or_b64 exec, exec, s[6:7]
	s_and_saveexec_b64 s[6:7], s[4:5]
	s_cbranch_execnz .LBB52_1107
	s_branch .LBB52_1108
.LBB52_3157:
	s_movk_i32 s4, 0x80
	v_cmp_eq_u16_e32 vcc, s4, v11
	s_mov_b64 s[4:5], -1
                                        ; implicit-def: $sgpr10
	s_and_saveexec_b64 s[8:9], vcc
; %bb.3158:
	s_mov_b32 s10, 0x7f800001
	s_xor_b64 s[4:5], exec, -1
; %bb.3159:
	s_or_b64 exec, exec, s[8:9]
	s_and_b64 s[4:5], s[4:5], exec
                                        ; implicit-def: $vgpr11
	s_or_saveexec_b64 s[6:7], s[6:7]
	v_mov_b32_e32 v14, s10
	s_xor_b64 exec, exec, s[6:7]
	s_cbranch_execz .LBB52_1110
.LBB52_3160:
	v_cmp_ne_u16_e32 vcc, 0, v11
	s_andn2_b64 s[4:5], s[4:5], exec
	s_and_b64 s[8:9], vcc, exec
	v_mov_b32_e32 v14, 0
	s_or_b64 s[4:5], s[4:5], s[8:9]
	s_or_b64 exec, exec, s[6:7]
	s_and_saveexec_b64 s[6:7], s[4:5]
	s_cbranch_execnz .LBB52_1111
	s_branch .LBB52_1112
.LBB52_3161:
	s_movk_i32 s4, 0x80
	v_cmp_eq_u16_sdwa s[12:13], v16, s4 src0_sel:BYTE_3 src1_sel:DWORD
	s_mov_b64 s[4:5], -1
                                        ; implicit-def: $sgpr10
	s_and_saveexec_b64 s[8:9], s[12:13]
; %bb.3162:
	s_mov_b32 s10, 0x7f800001
	s_xor_b64 s[4:5], exec, -1
; %bb.3163:
	s_or_b64 exec, exec, s[8:9]
	s_and_b64 s[4:5], s[4:5], exec
	s_or_saveexec_b64 s[6:7], s[6:7]
	v_mov_b32_e32 v10, s10
	s_xor_b64 exec, exec, s[6:7]
	s_cbranch_execz .LBB52_1114
.LBB52_3164:
	v_mov_b32_e32 v10, 0
	v_cmp_ne_u16_sdwa s[8:9], v16, v10 src0_sel:BYTE_3 src1_sel:DWORD
	s_andn2_b64 s[4:5], s[4:5], exec
	s_and_b64 s[8:9], s[8:9], exec
	s_or_b64 s[4:5], s[4:5], s[8:9]
	s_or_b64 exec, exec, s[6:7]
	s_and_saveexec_b64 s[6:7], s[4:5]
	s_cbranch_execnz .LBB52_1115
	s_branch .LBB52_1116
.LBB52_3165:
	s_movk_i32 s4, 0x80
	v_cmp_eq_u16_sdwa s[12:13], v12, s4 src0_sel:BYTE_3 src1_sel:DWORD
	s_mov_b64 s[4:5], -1
                                        ; implicit-def: $sgpr10
	s_and_saveexec_b64 s[8:9], s[12:13]
; %bb.3166:
	s_mov_b32 s10, 0x7f800001
	s_xor_b64 s[4:5], exec, -1
; %bb.3167:
	s_or_b64 exec, exec, s[8:9]
	s_and_b64 s[4:5], s[4:5], exec
	s_or_saveexec_b64 s[6:7], s[6:7]
	v_mov_b32_e32 v11, s10
	s_xor_b64 exec, exec, s[6:7]
	s_cbranch_execz .LBB52_1118
.LBB52_3168:
	v_mov_b32_e32 v11, 0
	v_cmp_ne_u16_sdwa s[8:9], v12, v11 src0_sel:BYTE_3 src1_sel:DWORD
	s_andn2_b64 s[4:5], s[4:5], exec
	s_and_b64 s[8:9], s[8:9], exec
	s_or_b64 s[4:5], s[4:5], s[8:9]
	s_or_b64 exec, exec, s[6:7]
	s_and_saveexec_b64 s[6:7], s[4:5]
	s_cbranch_execnz .LBB52_1119
	s_branch .LBB52_1120
.LBB52_3169:
	s_movk_i32 s4, 0x80
	v_cmp_eq_u16_sdwa s[12:13], v17, s4 src0_sel:BYTE_0 src1_sel:DWORD
	s_mov_b64 s[4:5], -1
                                        ; implicit-def: $sgpr10
	s_and_saveexec_b64 s[8:9], s[12:13]
; %bb.3170:
	s_mov_b32 s10, 0x7f800001
	s_xor_b64 s[4:5], exec, -1
; %bb.3171:
	s_or_b64 exec, exec, s[8:9]
	s_and_b64 s[4:5], s[4:5], exec
	s_or_saveexec_b64 s[6:7], s[6:7]
	v_mov_b32_e32 v10, s10
	s_xor_b64 exec, exec, s[6:7]
	s_cbranch_execz .LBB52_1122
.LBB52_3172:
	v_mov_b32_e32 v10, 0
	v_cmp_ne_u16_sdwa s[8:9], v17, v10 src0_sel:BYTE_0 src1_sel:DWORD
	s_andn2_b64 s[4:5], s[4:5], exec
	s_and_b64 s[8:9], s[8:9], exec
	s_or_b64 s[4:5], s[4:5], s[8:9]
	s_or_b64 exec, exec, s[6:7]
	s_and_saveexec_b64 s[6:7], s[4:5]
	s_cbranch_execnz .LBB52_1123
	s_branch .LBB52_1124
.LBB52_3173:
	s_movk_i32 s4, 0x80
	v_cmp_eq_u16_sdwa s[12:13], v13, s4 src0_sel:BYTE_0 src1_sel:DWORD
	s_mov_b64 s[4:5], -1
                                        ; implicit-def: $sgpr10
	s_and_saveexec_b64 s[8:9], s[12:13]
; %bb.3174:
	s_mov_b32 s10, 0x7f800001
	s_xor_b64 s[4:5], exec, -1
; %bb.3175:
	s_or_b64 exec, exec, s[8:9]
	s_and_b64 s[4:5], s[4:5], exec
	s_or_saveexec_b64 s[6:7], s[6:7]
	v_mov_b32_e32 v11, s10
	s_xor_b64 exec, exec, s[6:7]
	s_cbranch_execz .LBB52_1126
.LBB52_3176:
	v_mov_b32_e32 v11, 0
	v_cmp_ne_u16_sdwa s[8:9], v13, v11 src0_sel:BYTE_0 src1_sel:DWORD
	s_andn2_b64 s[4:5], s[4:5], exec
	s_and_b64 s[8:9], s[8:9], exec
	s_or_b64 s[4:5], s[4:5], s[8:9]
	s_or_b64 exec, exec, s[6:7]
	s_and_saveexec_b64 s[6:7], s[4:5]
	s_cbranch_execnz .LBB52_1127
	s_branch .LBB52_1128
.LBB52_3177:
	s_movk_i32 s4, 0x80
	v_cmp_eq_u16_sdwa s[12:13], v11, s4 src0_sel:BYTE_0 src1_sel:DWORD
	s_mov_b64 s[4:5], -1
                                        ; implicit-def: $sgpr10
	s_and_saveexec_b64 s[8:9], s[12:13]
; %bb.3178:
	s_mov_b32 s10, 0x7f800001
	s_xor_b64 s[4:5], exec, -1
; %bb.3179:
	s_or_b64 exec, exec, s[8:9]
	s_and_b64 s[4:5], s[4:5], exec
	s_or_saveexec_b64 s[6:7], s[6:7]
	v_mov_b32_e32 v10, s10
	s_xor_b64 exec, exec, s[6:7]
	s_cbranch_execz .LBB52_1130
.LBB52_3180:
	v_mov_b32_e32 v10, 0
	v_cmp_ne_u16_sdwa s[8:9], v11, v10 src0_sel:BYTE_0 src1_sel:DWORD
	s_andn2_b64 s[4:5], s[4:5], exec
	s_and_b64 s[8:9], s[8:9], exec
	s_or_b64 s[4:5], s[4:5], s[8:9]
	s_or_b64 exec, exec, s[6:7]
	s_and_saveexec_b64 s[6:7], s[4:5]
	s_cbranch_execnz .LBB52_1131
	s_branch .LBB52_1132
.LBB52_3181:
	s_movk_i32 s4, 0x80
	v_cmp_eq_u16_sdwa s[12:13], v11, s4 src0_sel:BYTE_0 src1_sel:DWORD
	s_mov_b64 s[4:5], -1
                                        ; implicit-def: $sgpr10
	s_and_saveexec_b64 s[8:9], s[12:13]
; %bb.3182:
	s_mov_b32 s10, 0x7f800001
	s_xor_b64 s[4:5], exec, -1
; %bb.3183:
	s_or_b64 exec, exec, s[8:9]
	s_and_b64 s[4:5], s[4:5], exec
	s_or_saveexec_b64 s[6:7], s[6:7]
	v_mov_b32_e32 v12, s10
	s_xor_b64 exec, exec, s[6:7]
	s_cbranch_execz .LBB52_1134
.LBB52_3184:
	v_mov_b32_e32 v12, 0
	v_cmp_ne_u16_sdwa s[8:9], v11, v12 src0_sel:BYTE_0 src1_sel:DWORD
	s_andn2_b64 s[4:5], s[4:5], exec
	s_and_b64 s[8:9], s[8:9], exec
	s_or_b64 s[4:5], s[4:5], s[8:9]
	s_or_b64 exec, exec, s[6:7]
	s_and_saveexec_b64 s[6:7], s[4:5]
	s_cbranch_execnz .LBB52_1135
	s_branch .LBB52_1136
.LBB52_3185:
	s_movk_i32 s4, 0x80
	v_cmp_eq_u16_e32 vcc, s4, v11
	s_mov_b64 s[4:5], -1
                                        ; implicit-def: $sgpr10
	s_and_saveexec_b64 s[8:9], vcc
; %bb.3186:
	s_mov_b32 s10, 0x7f800001
	s_xor_b64 s[4:5], exec, -1
; %bb.3187:
	s_or_b64 exec, exec, s[8:9]
	s_and_b64 s[4:5], s[4:5], exec
                                        ; implicit-def: $vgpr11
	s_or_saveexec_b64 s[6:7], s[6:7]
	v_mov_b32_e32 v10, s10
	s_xor_b64 exec, exec, s[6:7]
	s_cbranch_execz .LBB52_1138
.LBB52_3188:
	v_cmp_ne_u16_e32 vcc, 0, v11
	s_andn2_b64 s[4:5], s[4:5], exec
	s_and_b64 s[8:9], vcc, exec
	v_mov_b32_e32 v10, 0
	s_or_b64 s[4:5], s[4:5], s[8:9]
	s_or_b64 exec, exec, s[6:7]
	s_and_saveexec_b64 s[6:7], s[4:5]
	s_cbranch_execnz .LBB52_1139
	s_branch .LBB52_1140
.LBB52_3189:
	s_movk_i32 s4, 0x80
	v_cmp_eq_u16_e32 vcc, s4, v11
	s_mov_b64 s[4:5], -1
                                        ; implicit-def: $sgpr10
	s_and_saveexec_b64 s[8:9], vcc
; %bb.3190:
	s_mov_b32 s10, 0x7f800001
	s_xor_b64 s[4:5], exec, -1
; %bb.3191:
	s_or_b64 exec, exec, s[8:9]
	s_and_b64 s[4:5], s[4:5], exec
                                        ; implicit-def: $vgpr11
	s_or_saveexec_b64 s[6:7], s[6:7]
	v_mov_b32_e32 v12, s10
	s_xor_b64 exec, exec, s[6:7]
	s_cbranch_execz .LBB52_1142
.LBB52_3192:
	v_cmp_ne_u16_e32 vcc, 0, v11
	s_andn2_b64 s[4:5], s[4:5], exec
	s_and_b64 s[8:9], vcc, exec
	v_mov_b32_e32 v12, 0
	s_or_b64 s[4:5], s[4:5], s[8:9]
	s_or_b64 exec, exec, s[6:7]
	s_and_saveexec_b64 s[6:7], s[4:5]
	s_cbranch_execnz .LBB52_1143
	s_branch .LBB52_1144
.LBB52_3193:
	s_movk_i32 s4, 0x80
	v_cmp_eq_u16_sdwa s[12:13], v17, s4 src0_sel:BYTE_3 src1_sel:DWORD
	s_mov_b64 s[4:5], -1
                                        ; implicit-def: $sgpr10
	s_and_saveexec_b64 s[8:9], s[12:13]
; %bb.3194:
	s_mov_b32 s10, 0x7f800001
	s_xor_b64 s[4:5], exec, -1
; %bb.3195:
	s_or_b64 exec, exec, s[8:9]
	s_and_b64 s[4:5], s[4:5], exec
	s_or_saveexec_b64 s[6:7], s[6:7]
	v_mov_b32_e32 v10, s10
	s_xor_b64 exec, exec, s[6:7]
	s_cbranch_execz .LBB52_1146
.LBB52_3196:
	v_mov_b32_e32 v10, 0
	v_cmp_ne_u16_sdwa s[8:9], v17, v10 src0_sel:BYTE_3 src1_sel:DWORD
	s_andn2_b64 s[4:5], s[4:5], exec
	s_and_b64 s[8:9], s[8:9], exec
	s_or_b64 s[4:5], s[4:5], s[8:9]
	s_or_b64 exec, exec, s[6:7]
	s_and_saveexec_b64 s[6:7], s[4:5]
	s_cbranch_execnz .LBB52_1147
	s_branch .LBB52_1148
.LBB52_3197:
	s_movk_i32 s4, 0x80
	v_cmp_eq_u16_sdwa s[12:13], v13, s4 src0_sel:BYTE_3 src1_sel:DWORD
	s_mov_b64 s[4:5], -1
                                        ; implicit-def: $sgpr10
	s_and_saveexec_b64 s[8:9], s[12:13]
; %bb.3198:
	s_mov_b32 s10, 0x7f800001
	s_xor_b64 s[4:5], exec, -1
; %bb.3199:
	s_or_b64 exec, exec, s[8:9]
	s_and_b64 s[4:5], s[4:5], exec
	s_or_saveexec_b64 s[6:7], s[6:7]
	v_mov_b32_e32 v11, s10
	s_xor_b64 exec, exec, s[6:7]
	s_cbranch_execz .LBB52_1150
.LBB52_3200:
	v_mov_b32_e32 v11, 0
	v_cmp_ne_u16_sdwa s[8:9], v13, v11 src0_sel:BYTE_3 src1_sel:DWORD
	s_andn2_b64 s[4:5], s[4:5], exec
	s_and_b64 s[8:9], s[8:9], exec
	s_or_b64 s[4:5], s[4:5], s[8:9]
	s_or_b64 exec, exec, s[6:7]
	s_and_saveexec_b64 s[6:7], s[4:5]
	s_cbranch_execnz .LBB52_1151
	s_branch .LBB52_1152
.LBB52_3201:
	s_movk_i32 s4, 0x80
	v_cmp_eq_u16_sdwa s[12:13], v6, s4 src0_sel:BYTE_0 src1_sel:DWORD
	s_mov_b64 s[4:5], -1
                                        ; implicit-def: $sgpr10
	s_and_saveexec_b64 s[8:9], s[12:13]
; %bb.3202:
	s_mov_b32 s10, 0x7f800001
	s_xor_b64 s[4:5], exec, -1
; %bb.3203:
	s_or_b64 exec, exec, s[8:9]
	s_and_b64 s[4:5], s[4:5], exec
	s_or_saveexec_b64 s[6:7], s[6:7]
	v_mov_b32_e32 v10, s10
	s_xor_b64 exec, exec, s[6:7]
	s_cbranch_execz .LBB52_1154
.LBB52_3204:
	v_mov_b32_e32 v10, 0
	v_cmp_ne_u16_sdwa s[8:9], v6, v10 src0_sel:BYTE_0 src1_sel:DWORD
	s_andn2_b64 s[4:5], s[4:5], exec
	s_and_b64 s[8:9], s[8:9], exec
	s_or_b64 s[4:5], s[4:5], s[8:9]
	s_or_b64 exec, exec, s[6:7]
	s_and_saveexec_b64 s[6:7], s[4:5]
	s_cbranch_execnz .LBB52_1155
	s_branch .LBB52_1156
.LBB52_3205:
	s_movk_i32 s4, 0x80
	v_cmp_eq_u16_sdwa s[12:13], v2, s4 src0_sel:BYTE_0 src1_sel:DWORD
	s_mov_b64 s[4:5], -1
                                        ; implicit-def: $sgpr10
	s_and_saveexec_b64 s[8:9], s[12:13]
; %bb.3206:
	s_mov_b32 s10, 0x7f800001
	s_xor_b64 s[4:5], exec, -1
; %bb.3207:
	s_or_b64 exec, exec, s[8:9]
	s_and_b64 s[4:5], s[4:5], exec
	s_or_saveexec_b64 s[6:7], s[6:7]
	v_mov_b32_e32 v11, s10
	s_xor_b64 exec, exec, s[6:7]
	s_cbranch_execz .LBB52_1158
.LBB52_3208:
	v_mov_b32_e32 v11, 0
	v_cmp_ne_u16_sdwa s[8:9], v2, v11 src0_sel:BYTE_0 src1_sel:DWORD
	s_andn2_b64 s[4:5], s[4:5], exec
	s_and_b64 s[8:9], s[8:9], exec
	s_or_b64 s[4:5], s[4:5], s[8:9]
	s_or_b64 exec, exec, s[6:7]
	s_and_saveexec_b64 s[6:7], s[4:5]
	s_cbranch_execnz .LBB52_1159
	s_branch .LBB52_1160
.LBB52_3209:
	s_movk_i32 s4, 0x80
	v_cmp_eq_u16_sdwa s[12:13], v11, s4 src0_sel:BYTE_0 src1_sel:DWORD
	s_mov_b64 s[4:5], -1
                                        ; implicit-def: $sgpr10
	s_and_saveexec_b64 s[8:9], s[12:13]
; %bb.3210:
	s_mov_b32 s10, 0x7f800001
	s_xor_b64 s[4:5], exec, -1
; %bb.3211:
	s_or_b64 exec, exec, s[8:9]
	s_and_b64 s[4:5], s[4:5], exec
	s_or_saveexec_b64 s[6:7], s[6:7]
	v_mov_b32_e32 v10, s10
	s_xor_b64 exec, exec, s[6:7]
	s_cbranch_execz .LBB52_1162
.LBB52_3212:
	v_mov_b32_e32 v10, 0
	v_cmp_ne_u16_sdwa s[8:9], v11, v10 src0_sel:BYTE_0 src1_sel:DWORD
	s_andn2_b64 s[4:5], s[4:5], exec
	s_and_b64 s[8:9], s[8:9], exec
	s_or_b64 s[4:5], s[4:5], s[8:9]
	s_or_b64 exec, exec, s[6:7]
	s_and_saveexec_b64 s[6:7], s[4:5]
	s_cbranch_execnz .LBB52_1163
	s_branch .LBB52_1164
.LBB52_3213:
	s_movk_i32 s4, 0x80
	v_cmp_eq_u16_sdwa s[12:13], v11, s4 src0_sel:BYTE_0 src1_sel:DWORD
	s_mov_b64 s[4:5], -1
                                        ; implicit-def: $sgpr10
	s_and_saveexec_b64 s[8:9], s[12:13]
; %bb.3214:
	s_mov_b32 s10, 0x7f800001
	s_xor_b64 s[4:5], exec, -1
; %bb.3215:
	s_or_b64 exec, exec, s[8:9]
	s_and_b64 s[4:5], s[4:5], exec
	s_or_saveexec_b64 s[6:7], s[6:7]
	v_mov_b32_e32 v12, s10
	s_xor_b64 exec, exec, s[6:7]
	s_cbranch_execz .LBB52_1166
.LBB52_3216:
	v_mov_b32_e32 v12, 0
	v_cmp_ne_u16_sdwa s[8:9], v11, v12 src0_sel:BYTE_0 src1_sel:DWORD
	s_andn2_b64 s[4:5], s[4:5], exec
	s_and_b64 s[8:9], s[8:9], exec
	s_or_b64 s[4:5], s[4:5], s[8:9]
	s_or_b64 exec, exec, s[6:7]
	s_and_saveexec_b64 s[6:7], s[4:5]
	s_cbranch_execnz .LBB52_1167
	s_branch .LBB52_1168
.LBB52_3217:
	s_movk_i32 s4, 0x80
	v_cmp_eq_u16_e32 vcc, s4, v11
	s_mov_b64 s[4:5], -1
                                        ; implicit-def: $sgpr10
	s_and_saveexec_b64 s[8:9], vcc
; %bb.3218:
	s_mov_b32 s10, 0x7f800001
	s_xor_b64 s[4:5], exec, -1
; %bb.3219:
	s_or_b64 exec, exec, s[8:9]
	s_and_b64 s[4:5], s[4:5], exec
                                        ; implicit-def: $vgpr11
	s_or_saveexec_b64 s[6:7], s[6:7]
	v_mov_b32_e32 v10, s10
	s_xor_b64 exec, exec, s[6:7]
	s_cbranch_execz .LBB52_1170
.LBB52_3220:
	v_cmp_ne_u16_e32 vcc, 0, v11
	s_andn2_b64 s[4:5], s[4:5], exec
	s_and_b64 s[8:9], vcc, exec
	v_mov_b32_e32 v10, 0
	s_or_b64 s[4:5], s[4:5], s[8:9]
	s_or_b64 exec, exec, s[6:7]
	s_and_saveexec_b64 s[6:7], s[4:5]
	s_cbranch_execnz .LBB52_1171
	s_branch .LBB52_1172
.LBB52_3221:
	s_movk_i32 s4, 0x80
	v_cmp_eq_u16_e32 vcc, s4, v11
	s_mov_b64 s[4:5], -1
                                        ; implicit-def: $sgpr10
	s_and_saveexec_b64 s[8:9], vcc
; %bb.3222:
	s_mov_b32 s10, 0x7f800001
	s_xor_b64 s[4:5], exec, -1
; %bb.3223:
	s_or_b64 exec, exec, s[8:9]
	s_and_b64 s[4:5], s[4:5], exec
                                        ; implicit-def: $vgpr11
	s_or_saveexec_b64 s[6:7], s[6:7]
	v_mov_b32_e32 v12, s10
	s_xor_b64 exec, exec, s[6:7]
	s_cbranch_execz .LBB52_1174
.LBB52_3224:
	v_cmp_ne_u16_e32 vcc, 0, v11
	s_andn2_b64 s[4:5], s[4:5], exec
	s_and_b64 s[8:9], vcc, exec
	v_mov_b32_e32 v12, 0
	s_or_b64 s[4:5], s[4:5], s[8:9]
	s_or_b64 exec, exec, s[6:7]
	s_and_saveexec_b64 s[6:7], s[4:5]
	s_cbranch_execnz .LBB52_1175
	s_branch .LBB52_1176
.LBB52_3225:
	s_movk_i32 s4, 0x80
	v_cmp_eq_u16_sdwa s[12:13], v6, s4 src0_sel:BYTE_3 src1_sel:DWORD
	s_mov_b64 s[4:5], -1
                                        ; implicit-def: $sgpr10
	s_and_saveexec_b64 s[8:9], s[12:13]
; %bb.3226:
	s_mov_b32 s10, 0x7f800001
	s_xor_b64 s[4:5], exec, -1
; %bb.3227:
	s_or_b64 exec, exec, s[8:9]
	s_and_b64 s[4:5], s[4:5], exec
	s_or_saveexec_b64 s[6:7], s[6:7]
	v_mov_b32_e32 v10, s10
	s_xor_b64 exec, exec, s[6:7]
	s_cbranch_execz .LBB52_1178
.LBB52_3228:
	v_mov_b32_e32 v10, 0
	v_cmp_ne_u16_sdwa s[8:9], v6, v10 src0_sel:BYTE_3 src1_sel:DWORD
	s_andn2_b64 s[4:5], s[4:5], exec
	s_and_b64 s[8:9], s[8:9], exec
	s_or_b64 s[4:5], s[4:5], s[8:9]
	s_or_b64 exec, exec, s[6:7]
	s_and_saveexec_b64 s[6:7], s[4:5]
	s_cbranch_execnz .LBB52_1179
	s_branch .LBB52_1180
.LBB52_3229:
	s_movk_i32 s4, 0x80
	v_cmp_eq_u16_sdwa s[12:13], v2, s4 src0_sel:BYTE_3 src1_sel:DWORD
	s_mov_b64 s[4:5], -1
                                        ; implicit-def: $sgpr10
	s_and_saveexec_b64 s[8:9], s[12:13]
; %bb.3230:
	s_mov_b32 s10, 0x7f800001
	s_xor_b64 s[4:5], exec, -1
; %bb.3231:
	s_or_b64 exec, exec, s[8:9]
	s_and_b64 s[4:5], s[4:5], exec
	s_or_saveexec_b64 s[6:7], s[6:7]
	v_mov_b32_e32 v6, s10
	s_xor_b64 exec, exec, s[6:7]
	s_cbranch_execz .LBB52_1182
.LBB52_3232:
	v_mov_b32_e32 v6, 0
	v_cmp_ne_u16_sdwa s[8:9], v2, v6 src0_sel:BYTE_3 src1_sel:DWORD
	s_andn2_b64 s[4:5], s[4:5], exec
	s_and_b64 s[8:9], s[8:9], exec
	s_or_b64 s[4:5], s[4:5], s[8:9]
	s_or_b64 exec, exec, s[6:7]
	s_and_saveexec_b64 s[6:7], s[4:5]
	s_cbranch_execnz .LBB52_1183
	s_branch .LBB52_1184
.LBB52_3233:
	s_movk_i32 s4, 0x80
	v_cmp_eq_u16_sdwa s[12:13], v7, s4 src0_sel:BYTE_0 src1_sel:DWORD
	s_mov_b64 s[4:5], -1
                                        ; implicit-def: $sgpr10
	s_and_saveexec_b64 s[8:9], s[12:13]
; %bb.3234:
	s_mov_b32 s10, 0x7f800001
	s_xor_b64 s[4:5], exec, -1
; %bb.3235:
	s_or_b64 exec, exec, s[8:9]
	s_and_b64 s[4:5], s[4:5], exec
	s_or_saveexec_b64 s[6:7], s[6:7]
	v_mov_b32_e32 v2, s10
	s_xor_b64 exec, exec, s[6:7]
	s_cbranch_execz .LBB52_1186
.LBB52_3236:
	v_mov_b32_e32 v2, 0
	v_cmp_ne_u16_sdwa s[8:9], v7, v2 src0_sel:BYTE_0 src1_sel:DWORD
	s_andn2_b64 s[4:5], s[4:5], exec
	s_and_b64 s[8:9], s[8:9], exec
	s_or_b64 s[4:5], s[4:5], s[8:9]
	s_or_b64 exec, exec, s[6:7]
	s_and_saveexec_b64 s[6:7], s[4:5]
	s_cbranch_execnz .LBB52_1187
	s_branch .LBB52_1188
.LBB52_3237:
	s_movk_i32 s4, 0x80
	v_cmp_eq_u16_sdwa s[12:13], v3, s4 src0_sel:BYTE_0 src1_sel:DWORD
	s_mov_b64 s[4:5], -1
                                        ; implicit-def: $sgpr10
	s_and_saveexec_b64 s[8:9], s[12:13]
; %bb.3238:
	s_mov_b32 s10, 0x7f800001
	s_xor_b64 s[4:5], exec, -1
; %bb.3239:
	s_or_b64 exec, exec, s[8:9]
	s_and_b64 s[4:5], s[4:5], exec
	s_or_saveexec_b64 s[6:7], s[6:7]
	v_mov_b32_e32 v6, s10
	s_xor_b64 exec, exec, s[6:7]
	s_cbranch_execz .LBB52_1190
.LBB52_3240:
	v_mov_b32_e32 v6, 0
	v_cmp_ne_u16_sdwa s[8:9], v3, v6 src0_sel:BYTE_0 src1_sel:DWORD
	s_andn2_b64 s[4:5], s[4:5], exec
	s_and_b64 s[8:9], s[8:9], exec
	s_or_b64 s[4:5], s[4:5], s[8:9]
	s_or_b64 exec, exec, s[6:7]
	s_and_saveexec_b64 s[6:7], s[4:5]
	s_cbranch_execnz .LBB52_1191
	s_branch .LBB52_1192
.LBB52_3241:
	s_movk_i32 s4, 0x80
	v_cmp_eq_u16_sdwa s[12:13], v6, s4 src0_sel:BYTE_0 src1_sel:DWORD
	s_mov_b64 s[4:5], -1
                                        ; implicit-def: $sgpr10
	s_and_saveexec_b64 s[8:9], s[12:13]
; %bb.3242:
	s_mov_b32 s10, 0x7f800001
	s_xor_b64 s[4:5], exec, -1
; %bb.3243:
	s_or_b64 exec, exec, s[8:9]
	s_and_b64 s[4:5], s[4:5], exec
	s_or_saveexec_b64 s[6:7], s[6:7]
	v_mov_b32_e32 v2, s10
	s_xor_b64 exec, exec, s[6:7]
	s_cbranch_execz .LBB52_1194
.LBB52_3244:
	v_mov_b32_e32 v2, 0
	v_cmp_ne_u16_sdwa s[8:9], v6, v2 src0_sel:BYTE_0 src1_sel:DWORD
	s_andn2_b64 s[4:5], s[4:5], exec
	s_and_b64 s[8:9], s[8:9], exec
	s_or_b64 s[4:5], s[4:5], s[8:9]
	s_or_b64 exec, exec, s[6:7]
	s_and_saveexec_b64 s[6:7], s[4:5]
	s_cbranch_execnz .LBB52_1195
	s_branch .LBB52_1196
.LBB52_3245:
	s_movk_i32 s4, 0x80
	v_cmp_eq_u16_sdwa s[12:13], v6, s4 src0_sel:BYTE_0 src1_sel:DWORD
	s_mov_b64 s[4:5], -1
                                        ; implicit-def: $sgpr10
	s_and_saveexec_b64 s[8:9], s[12:13]
; %bb.3246:
	s_mov_b32 s10, 0x7f800001
	s_xor_b64 s[4:5], exec, -1
; %bb.3247:
	s_or_b64 exec, exec, s[8:9]
	s_and_b64 s[4:5], s[4:5], exec
	s_or_saveexec_b64 s[6:7], s[6:7]
	v_mov_b32_e32 v10, s10
	s_xor_b64 exec, exec, s[6:7]
	s_cbranch_execz .LBB52_1198
.LBB52_3248:
	v_mov_b32_e32 v10, 0
	v_cmp_ne_u16_sdwa s[8:9], v6, v10 src0_sel:BYTE_0 src1_sel:DWORD
	s_andn2_b64 s[4:5], s[4:5], exec
	s_and_b64 s[8:9], s[8:9], exec
	s_or_b64 s[4:5], s[4:5], s[8:9]
	s_or_b64 exec, exec, s[6:7]
	s_and_saveexec_b64 s[6:7], s[4:5]
	s_cbranch_execnz .LBB52_1199
	s_branch .LBB52_1200
.LBB52_3249:
	s_movk_i32 s4, 0x80
	v_cmp_eq_u16_e32 vcc, s4, v6
	s_mov_b64 s[4:5], -1
                                        ; implicit-def: $sgpr10
	s_and_saveexec_b64 s[8:9], vcc
; %bb.3250:
	s_mov_b32 s10, 0x7f800001
	s_xor_b64 s[4:5], exec, -1
; %bb.3251:
	s_or_b64 exec, exec, s[8:9]
	s_and_b64 s[4:5], s[4:5], exec
                                        ; implicit-def: $vgpr6
	s_or_saveexec_b64 s[6:7], s[6:7]
	v_mov_b32_e32 v2, s10
	s_xor_b64 exec, exec, s[6:7]
	s_cbranch_execz .LBB52_1202
.LBB52_3252:
	v_cmp_ne_u16_e32 vcc, 0, v6
	s_andn2_b64 s[4:5], s[4:5], exec
	s_and_b64 s[8:9], vcc, exec
	v_mov_b32_e32 v2, 0
	s_or_b64 s[4:5], s[4:5], s[8:9]
	s_or_b64 exec, exec, s[6:7]
	s_and_saveexec_b64 s[6:7], s[4:5]
	s_cbranch_execnz .LBB52_1203
	s_branch .LBB52_1204
.LBB52_3253:
	s_movk_i32 s4, 0x80
	v_cmp_eq_u16_e32 vcc, s4, v6
	s_mov_b64 s[4:5], -1
                                        ; implicit-def: $sgpr10
	s_and_saveexec_b64 s[8:9], vcc
; %bb.3254:
	s_mov_b32 s10, 0x7f800001
	s_xor_b64 s[4:5], exec, -1
; %bb.3255:
	s_or_b64 exec, exec, s[8:9]
	s_and_b64 s[4:5], s[4:5], exec
                                        ; implicit-def: $vgpr6
	s_or_saveexec_b64 s[6:7], s[6:7]
	v_mov_b32_e32 v10, s10
	s_xor_b64 exec, exec, s[6:7]
	s_cbranch_execz .LBB52_1206
.LBB52_3256:
	v_cmp_ne_u16_e32 vcc, 0, v6
	s_andn2_b64 s[4:5], s[4:5], exec
	s_and_b64 s[8:9], vcc, exec
	v_mov_b32_e32 v10, 0
	s_or_b64 s[4:5], s[4:5], s[8:9]
	s_or_b64 exec, exec, s[6:7]
	s_and_saveexec_b64 s[6:7], s[4:5]
	s_cbranch_execnz .LBB52_1207
	s_branch .LBB52_1208
.LBB52_3257:
	s_movk_i32 s4, 0x80
	v_cmp_eq_u16_sdwa s[12:13], v7, s4 src0_sel:BYTE_3 src1_sel:DWORD
	s_mov_b64 s[4:5], -1
                                        ; implicit-def: $sgpr10
	s_and_saveexec_b64 s[8:9], s[12:13]
; %bb.3258:
	s_mov_b32 s10, 0x7f800001
	s_xor_b64 s[4:5], exec, -1
; %bb.3259:
	s_or_b64 exec, exec, s[8:9]
	s_and_b64 s[4:5], s[4:5], exec
	s_or_saveexec_b64 s[6:7], s[6:7]
	v_mov_b32_e32 v2, s10
	s_xor_b64 exec, exec, s[6:7]
	s_cbranch_execz .LBB52_1210
.LBB52_3260:
	v_mov_b32_e32 v2, 0
	v_cmp_ne_u16_sdwa s[8:9], v7, v2 src0_sel:BYTE_3 src1_sel:DWORD
	s_andn2_b64 s[4:5], s[4:5], exec
	s_and_b64 s[8:9], s[8:9], exec
	s_or_b64 s[4:5], s[4:5], s[8:9]
	s_or_b64 exec, exec, s[6:7]
	s_and_saveexec_b64 s[6:7], s[4:5]
	s_cbranch_execnz .LBB52_1211
	s_branch .LBB52_1212
.LBB52_3261:
	s_movk_i32 s4, 0x80
	v_cmp_eq_u16_sdwa s[12:13], v3, s4 src0_sel:BYTE_3 src1_sel:DWORD
	s_mov_b64 s[4:5], -1
                                        ; implicit-def: $sgpr10
	s_and_saveexec_b64 s[8:9], s[12:13]
; %bb.3262:
	s_mov_b32 s10, 0x7f800001
	s_xor_b64 s[4:5], exec, -1
; %bb.3263:
	s_or_b64 exec, exec, s[8:9]
	s_and_b64 s[4:5], s[4:5], exec
	s_or_saveexec_b64 s[6:7], s[6:7]
	v_mov_b32_e32 v6, s10
	s_xor_b64 exec, exec, s[6:7]
	s_cbranch_execz .LBB52_1214
.LBB52_3264:
	v_mov_b32_e32 v6, 0
	v_cmp_ne_u16_sdwa s[8:9], v3, v6 src0_sel:BYTE_3 src1_sel:DWORD
	s_andn2_b64 s[4:5], s[4:5], exec
	s_and_b64 s[8:9], s[8:9], exec
	s_or_b64 s[4:5], s[4:5], s[8:9]
	s_or_b64 exec, exec, s[6:7]
	s_and_saveexec_b64 s[6:7], s[4:5]
	s_cbranch_execnz .LBB52_1215
	s_branch .LBB52_1216
.LBB52_3265:
	s_movk_i32 s4, 0x80
	v_cmp_eq_u16_sdwa s[12:13], v8, s4 src0_sel:BYTE_0 src1_sel:DWORD
	s_mov_b64 s[4:5], -1
                                        ; implicit-def: $sgpr10
	s_and_saveexec_b64 s[8:9], s[12:13]
; %bb.3266:
	s_mov_b32 s10, 0x7f800001
	s_xor_b64 s[4:5], exec, -1
; %bb.3267:
	s_or_b64 exec, exec, s[8:9]
	s_and_b64 s[4:5], s[4:5], exec
	s_or_saveexec_b64 s[6:7], s[6:7]
	v_mov_b32_e32 v2, s10
	s_xor_b64 exec, exec, s[6:7]
	s_cbranch_execz .LBB52_1218
.LBB52_3268:
	v_mov_b32_e32 v2, 0
	v_cmp_ne_u16_sdwa s[8:9], v8, v2 src0_sel:BYTE_0 src1_sel:DWORD
	s_andn2_b64 s[4:5], s[4:5], exec
	s_and_b64 s[8:9], s[8:9], exec
	s_or_b64 s[4:5], s[4:5], s[8:9]
	s_or_b64 exec, exec, s[6:7]
	s_and_saveexec_b64 s[6:7], s[4:5]
	s_cbranch_execnz .LBB52_1219
	s_branch .LBB52_1220
.LBB52_3269:
	s_movk_i32 s4, 0x80
	v_cmp_eq_u16_sdwa s[12:13], v4, s4 src0_sel:BYTE_0 src1_sel:DWORD
	s_mov_b64 s[4:5], -1
                                        ; implicit-def: $sgpr10
	s_and_saveexec_b64 s[8:9], s[12:13]
; %bb.3270:
	s_mov_b32 s10, 0x7f800001
	s_xor_b64 s[4:5], exec, -1
; %bb.3271:
	s_or_b64 exec, exec, s[8:9]
	s_and_b64 s[4:5], s[4:5], exec
	s_or_saveexec_b64 s[6:7], s[6:7]
	v_mov_b32_e32 v3, s10
	s_xor_b64 exec, exec, s[6:7]
	s_cbranch_execz .LBB52_1222
.LBB52_3272:
	v_mov_b32_e32 v3, 0
	v_cmp_ne_u16_sdwa s[8:9], v4, v3 src0_sel:BYTE_0 src1_sel:DWORD
	s_andn2_b64 s[4:5], s[4:5], exec
	s_and_b64 s[8:9], s[8:9], exec
	s_or_b64 s[4:5], s[4:5], s[8:9]
	s_or_b64 exec, exec, s[6:7]
	s_and_saveexec_b64 s[6:7], s[4:5]
	s_cbranch_execnz .LBB52_1223
	s_branch .LBB52_1224
.LBB52_3273:
	s_movk_i32 s4, 0x80
	v_cmp_eq_u16_sdwa s[12:13], v3, s4 src0_sel:BYTE_0 src1_sel:DWORD
	s_mov_b64 s[4:5], -1
                                        ; implicit-def: $sgpr10
	s_and_saveexec_b64 s[8:9], s[12:13]
; %bb.3274:
	s_mov_b32 s10, 0x7f800001
	s_xor_b64 s[4:5], exec, -1
; %bb.3275:
	s_or_b64 exec, exec, s[8:9]
	s_and_b64 s[4:5], s[4:5], exec
	s_or_saveexec_b64 s[6:7], s[6:7]
	v_mov_b32_e32 v2, s10
	s_xor_b64 exec, exec, s[6:7]
	s_cbranch_execz .LBB52_1226
.LBB52_3276:
	v_mov_b32_e32 v2, 0
	v_cmp_ne_u16_sdwa s[8:9], v3, v2 src0_sel:BYTE_0 src1_sel:DWORD
	s_andn2_b64 s[4:5], s[4:5], exec
	s_and_b64 s[8:9], s[8:9], exec
	s_or_b64 s[4:5], s[4:5], s[8:9]
	s_or_b64 exec, exec, s[6:7]
	s_and_saveexec_b64 s[6:7], s[4:5]
	s_cbranch_execnz .LBB52_1227
	s_branch .LBB52_1228
.LBB52_3277:
	s_movk_i32 s4, 0x80
	v_cmp_eq_u16_sdwa s[12:13], v3, s4 src0_sel:BYTE_0 src1_sel:DWORD
	s_mov_b64 s[4:5], -1
                                        ; implicit-def: $sgpr10
	s_and_saveexec_b64 s[8:9], s[12:13]
; %bb.3278:
	s_mov_b32 s10, 0x7f800001
	s_xor_b64 s[4:5], exec, -1
; %bb.3279:
	s_or_b64 exec, exec, s[8:9]
	s_and_b64 s[4:5], s[4:5], exec
	s_or_saveexec_b64 s[6:7], s[6:7]
	v_mov_b32_e32 v6, s10
	s_xor_b64 exec, exec, s[6:7]
	s_cbranch_execz .LBB52_1230
.LBB52_3280:
	v_mov_b32_e32 v6, 0
	v_cmp_ne_u16_sdwa s[8:9], v3, v6 src0_sel:BYTE_0 src1_sel:DWORD
	s_andn2_b64 s[4:5], s[4:5], exec
	s_and_b64 s[8:9], s[8:9], exec
	s_or_b64 s[4:5], s[4:5], s[8:9]
	s_or_b64 exec, exec, s[6:7]
	s_and_saveexec_b64 s[6:7], s[4:5]
	s_cbranch_execnz .LBB52_1231
	s_branch .LBB52_1232
.LBB52_3281:
	s_movk_i32 s4, 0x80
	v_cmp_eq_u16_e32 vcc, s4, v3
	s_mov_b64 s[4:5], -1
                                        ; implicit-def: $sgpr10
	s_and_saveexec_b64 s[8:9], vcc
; %bb.3282:
	s_mov_b32 s10, 0x7f800001
	s_xor_b64 s[4:5], exec, -1
; %bb.3283:
	s_or_b64 exec, exec, s[8:9]
	s_and_b64 s[4:5], s[4:5], exec
                                        ; implicit-def: $vgpr3
	s_or_saveexec_b64 s[6:7], s[6:7]
	v_mov_b32_e32 v2, s10
	s_xor_b64 exec, exec, s[6:7]
	s_cbranch_execz .LBB52_1234
.LBB52_3284:
	v_cmp_ne_u16_e32 vcc, 0, v3
	s_andn2_b64 s[4:5], s[4:5], exec
	s_and_b64 s[8:9], vcc, exec
	v_mov_b32_e32 v2, 0
	s_or_b64 s[4:5], s[4:5], s[8:9]
	s_or_b64 exec, exec, s[6:7]
	s_and_saveexec_b64 s[6:7], s[4:5]
	s_cbranch_execnz .LBB52_1235
	s_branch .LBB52_1236
.LBB52_3285:
	s_movk_i32 s4, 0x80
	v_cmp_eq_u16_e32 vcc, s4, v3
	s_mov_b64 s[4:5], -1
                                        ; implicit-def: $sgpr10
	s_and_saveexec_b64 s[8:9], vcc
; %bb.3286:
	s_mov_b32 s10, 0x7f800001
	s_xor_b64 s[4:5], exec, -1
; %bb.3287:
	s_or_b64 exec, exec, s[8:9]
	s_and_b64 s[4:5], s[4:5], exec
                                        ; implicit-def: $vgpr3
	s_or_saveexec_b64 s[6:7], s[6:7]
	v_mov_b32_e32 v6, s10
	s_xor_b64 exec, exec, s[6:7]
	s_cbranch_execz .LBB52_1238
.LBB52_3288:
	v_cmp_ne_u16_e32 vcc, 0, v3
	s_andn2_b64 s[4:5], s[4:5], exec
	s_and_b64 s[8:9], vcc, exec
	v_mov_b32_e32 v6, 0
	s_or_b64 s[4:5], s[4:5], s[8:9]
	s_or_b64 exec, exec, s[6:7]
	s_and_saveexec_b64 s[6:7], s[4:5]
	s_cbranch_execnz .LBB52_1239
	s_branch .LBB52_1240
.LBB52_3289:
	s_movk_i32 s4, 0x80
	v_cmp_eq_u16_sdwa s[12:13], v8, s4 src0_sel:BYTE_3 src1_sel:DWORD
	s_mov_b64 s[4:5], -1
                                        ; implicit-def: $sgpr10
	s_and_saveexec_b64 s[8:9], s[12:13]
; %bb.3290:
	s_mov_b32 s10, 0x7f800001
	s_xor_b64 s[4:5], exec, -1
; %bb.3291:
	s_or_b64 exec, exec, s[8:9]
	s_and_b64 s[4:5], s[4:5], exec
	s_or_saveexec_b64 s[6:7], s[6:7]
	v_mov_b32_e32 v2, s10
	s_xor_b64 exec, exec, s[6:7]
	s_cbranch_execz .LBB52_1242
.LBB52_3292:
	v_mov_b32_e32 v2, 0
	v_cmp_ne_u16_sdwa s[8:9], v8, v2 src0_sel:BYTE_3 src1_sel:DWORD
	s_andn2_b64 s[4:5], s[4:5], exec
	s_and_b64 s[8:9], s[8:9], exec
	s_or_b64 s[4:5], s[4:5], s[8:9]
	s_or_b64 exec, exec, s[6:7]
	s_and_saveexec_b64 s[6:7], s[4:5]
	s_cbranch_execnz .LBB52_1243
	s_branch .LBB52_1244
.LBB52_3293:
	s_movk_i32 s4, 0x80
	v_cmp_eq_u16_sdwa s[12:13], v4, s4 src0_sel:BYTE_3 src1_sel:DWORD
	s_mov_b64 s[4:5], -1
                                        ; implicit-def: $sgpr10
	s_and_saveexec_b64 s[8:9], s[12:13]
; %bb.3294:
	s_mov_b32 s10, 0x7f800001
	s_xor_b64 s[4:5], exec, -1
; %bb.3295:
	s_or_b64 exec, exec, s[8:9]
	s_and_b64 s[4:5], s[4:5], exec
	s_or_saveexec_b64 s[6:7], s[6:7]
	v_mov_b32_e32 v3, s10
	s_xor_b64 exec, exec, s[6:7]
	s_cbranch_execz .LBB52_1246
.LBB52_3296:
	v_mov_b32_e32 v3, 0
	v_cmp_ne_u16_sdwa s[8:9], v4, v3 src0_sel:BYTE_3 src1_sel:DWORD
	s_andn2_b64 s[4:5], s[4:5], exec
	s_and_b64 s[8:9], s[8:9], exec
	s_or_b64 s[4:5], s[4:5], s[8:9]
	s_or_b64 exec, exec, s[6:7]
	s_and_saveexec_b64 s[6:7], s[4:5]
	s_cbranch_execnz .LBB52_1247
	s_branch .LBB52_1248
.LBB52_3297:
	s_movk_i32 s4, 0x80
	v_cmp_eq_u16_sdwa s[12:13], v9, s4 src0_sel:BYTE_0 src1_sel:DWORD
	s_mov_b64 s[4:5], -1
                                        ; implicit-def: $sgpr10
	s_and_saveexec_b64 s[8:9], s[12:13]
; %bb.3298:
	s_mov_b32 s10, 0x7f800001
	s_xor_b64 s[4:5], exec, -1
; %bb.3299:
	s_or_b64 exec, exec, s[8:9]
	s_and_b64 s[4:5], s[4:5], exec
	s_or_saveexec_b64 s[6:7], s[6:7]
	v_mov_b32_e32 v2, s10
	s_xor_b64 exec, exec, s[6:7]
	s_cbranch_execz .LBB52_1250
.LBB52_3300:
	v_mov_b32_e32 v2, 0
	v_cmp_ne_u16_sdwa s[8:9], v9, v2 src0_sel:BYTE_0 src1_sel:DWORD
	s_andn2_b64 s[4:5], s[4:5], exec
	s_and_b64 s[8:9], s[8:9], exec
	s_or_b64 s[4:5], s[4:5], s[8:9]
	s_or_b64 exec, exec, s[6:7]
	s_and_saveexec_b64 s[6:7], s[4:5]
	s_cbranch_execnz .LBB52_1251
	s_branch .LBB52_1252
.LBB52_3301:
	s_movk_i32 s4, 0x80
	v_cmp_eq_u16_sdwa s[12:13], v5, s4 src0_sel:BYTE_0 src1_sel:DWORD
	s_mov_b64 s[4:5], -1
                                        ; implicit-def: $sgpr10
	s_and_saveexec_b64 s[8:9], s[12:13]
; %bb.3302:
	s_mov_b32 s10, 0x7f800001
	s_xor_b64 s[4:5], exec, -1
; %bb.3303:
	s_or_b64 exec, exec, s[8:9]
	s_and_b64 s[4:5], s[4:5], exec
	s_or_saveexec_b64 s[6:7], s[6:7]
	v_mov_b32_e32 v3, s10
	s_xor_b64 exec, exec, s[6:7]
	s_cbranch_execz .LBB52_1254
.LBB52_3304:
	v_mov_b32_e32 v3, 0
	v_cmp_ne_u16_sdwa s[8:9], v5, v3 src0_sel:BYTE_0 src1_sel:DWORD
	s_andn2_b64 s[4:5], s[4:5], exec
	s_and_b64 s[8:9], s[8:9], exec
	s_or_b64 s[4:5], s[4:5], s[8:9]
	s_or_b64 exec, exec, s[6:7]
	s_and_saveexec_b64 s[6:7], s[4:5]
	s_cbranch_execnz .LBB52_1255
	s_branch .LBB52_1256
.LBB52_3305:
	s_movk_i32 s4, 0x80
	v_cmp_eq_u16_sdwa s[12:13], v3, s4 src0_sel:BYTE_0 src1_sel:DWORD
	s_mov_b64 s[4:5], -1
                                        ; implicit-def: $sgpr10
	s_and_saveexec_b64 s[8:9], s[12:13]
; %bb.3306:
	s_mov_b32 s10, 0x7f800001
	s_xor_b64 s[4:5], exec, -1
; %bb.3307:
	s_or_b64 exec, exec, s[8:9]
	s_and_b64 s[4:5], s[4:5], exec
	s_or_saveexec_b64 s[6:7], s[6:7]
	v_mov_b32_e32 v2, s10
	s_xor_b64 exec, exec, s[6:7]
	s_cbranch_execz .LBB52_1258
.LBB52_3308:
	v_mov_b32_e32 v2, 0
	v_cmp_ne_u16_sdwa s[8:9], v3, v2 src0_sel:BYTE_0 src1_sel:DWORD
	s_andn2_b64 s[4:5], s[4:5], exec
	s_and_b64 s[8:9], s[8:9], exec
	s_or_b64 s[4:5], s[4:5], s[8:9]
	s_or_b64 exec, exec, s[6:7]
	s_and_saveexec_b64 s[6:7], s[4:5]
	s_cbranch_execnz .LBB52_1259
	s_branch .LBB52_1260
.LBB52_3309:
	s_movk_i32 s4, 0x80
	v_cmp_eq_u16_sdwa s[12:13], v3, s4 src0_sel:BYTE_0 src1_sel:DWORD
	s_mov_b64 s[4:5], -1
                                        ; implicit-def: $sgpr10
	s_and_saveexec_b64 s[8:9], s[12:13]
; %bb.3310:
	s_mov_b32 s10, 0x7f800001
	s_xor_b64 s[4:5], exec, -1
; %bb.3311:
	s_or_b64 exec, exec, s[8:9]
	s_and_b64 s[4:5], s[4:5], exec
	s_or_saveexec_b64 s[6:7], s[6:7]
	v_mov_b32_e32 v4, s10
	s_xor_b64 exec, exec, s[6:7]
	s_cbranch_execz .LBB52_1262
.LBB52_3312:
	v_mov_b32_e32 v4, 0
	v_cmp_ne_u16_sdwa s[8:9], v3, v4 src0_sel:BYTE_0 src1_sel:DWORD
	s_andn2_b64 s[4:5], s[4:5], exec
	s_and_b64 s[8:9], s[8:9], exec
	s_or_b64 s[4:5], s[4:5], s[8:9]
	s_or_b64 exec, exec, s[6:7]
	s_and_saveexec_b64 s[6:7], s[4:5]
	s_cbranch_execnz .LBB52_1263
	s_branch .LBB52_1264
.LBB52_3313:
	s_movk_i32 s4, 0x80
	v_cmp_eq_u16_e32 vcc, s4, v3
	s_mov_b64 s[4:5], -1
                                        ; implicit-def: $sgpr10
	s_and_saveexec_b64 s[8:9], vcc
; %bb.3314:
	s_mov_b32 s10, 0x7f800001
	s_xor_b64 s[4:5], exec, -1
; %bb.3315:
	s_or_b64 exec, exec, s[8:9]
	s_and_b64 s[4:5], s[4:5], exec
                                        ; implicit-def: $vgpr3
	s_or_saveexec_b64 s[6:7], s[6:7]
	v_mov_b32_e32 v2, s10
	s_xor_b64 exec, exec, s[6:7]
	s_cbranch_execz .LBB52_1266
.LBB52_3316:
	v_cmp_ne_u16_e32 vcc, 0, v3
	s_andn2_b64 s[4:5], s[4:5], exec
	s_and_b64 s[8:9], vcc, exec
	v_mov_b32_e32 v2, 0
	s_or_b64 s[4:5], s[4:5], s[8:9]
	s_or_b64 exec, exec, s[6:7]
	s_and_saveexec_b64 s[6:7], s[4:5]
	s_cbranch_execnz .LBB52_1267
	s_branch .LBB52_1268
.LBB52_3317:
	s_movk_i32 s4, 0x80
	v_cmp_eq_u16_e32 vcc, s4, v3
	s_mov_b64 s[4:5], -1
                                        ; implicit-def: $sgpr10
	s_and_saveexec_b64 s[8:9], vcc
; %bb.3318:
	s_mov_b32 s10, 0x7f800001
	s_xor_b64 s[4:5], exec, -1
; %bb.3319:
	s_or_b64 exec, exec, s[8:9]
	s_and_b64 s[4:5], s[4:5], exec
                                        ; implicit-def: $vgpr3
	s_or_saveexec_b64 s[6:7], s[6:7]
	v_mov_b32_e32 v4, s10
	s_xor_b64 exec, exec, s[6:7]
	s_cbranch_execz .LBB52_1270
.LBB52_3320:
	v_cmp_ne_u16_e32 vcc, 0, v3
	s_andn2_b64 s[4:5], s[4:5], exec
	s_and_b64 s[8:9], vcc, exec
	v_mov_b32_e32 v4, 0
	s_or_b64 s[4:5], s[4:5], s[8:9]
	s_or_b64 exec, exec, s[6:7]
	s_and_saveexec_b64 s[6:7], s[4:5]
	s_cbranch_execnz .LBB52_1271
	s_branch .LBB52_1272
.LBB52_3321:
	s_movk_i32 s4, 0x80
	v_cmp_eq_u16_sdwa s[12:13], v9, s4 src0_sel:BYTE_3 src1_sel:DWORD
	s_mov_b64 s[4:5], -1
                                        ; implicit-def: $sgpr10
	s_and_saveexec_b64 s[8:9], s[12:13]
; %bb.3322:
	s_mov_b32 s10, 0x7f800001
	s_xor_b64 s[4:5], exec, -1
; %bb.3323:
	s_or_b64 exec, exec, s[8:9]
	s_and_b64 s[4:5], s[4:5], exec
	s_or_saveexec_b64 s[6:7], s[6:7]
	v_mov_b32_e32 v2, s10
	s_xor_b64 exec, exec, s[6:7]
	s_cbranch_execz .LBB52_1274
.LBB52_3324:
	v_mov_b32_e32 v2, 0
	v_cmp_ne_u16_sdwa s[8:9], v9, v2 src0_sel:BYTE_3 src1_sel:DWORD
	s_andn2_b64 s[4:5], s[4:5], exec
	s_and_b64 s[8:9], s[8:9], exec
	s_or_b64 s[4:5], s[4:5], s[8:9]
	s_or_b64 exec, exec, s[6:7]
	s_and_saveexec_b64 s[6:7], s[4:5]
	s_cbranch_execnz .LBB52_1275
	s_branch .LBB52_1276
.LBB52_3325:
	s_movk_i32 s4, 0x80
	v_cmp_eq_u16_sdwa s[12:13], v5, s4 src0_sel:BYTE_3 src1_sel:DWORD
	s_mov_b64 s[4:5], -1
                                        ; implicit-def: $sgpr10
	s_and_saveexec_b64 s[8:9], s[12:13]
; %bb.3326:
	s_mov_b32 s10, 0x7f800001
	s_xor_b64 s[4:5], exec, -1
; %bb.3327:
	s_or_b64 exec, exec, s[8:9]
	s_and_b64 s[4:5], s[4:5], exec
	s_or_saveexec_b64 s[6:7], s[6:7]
	v_mov_b32_e32 v3, s10
	s_xor_b64 exec, exec, s[6:7]
	s_cbranch_execz .LBB52_1278
.LBB52_3328:
	v_mov_b32_e32 v3, 0
	v_cmp_ne_u16_sdwa s[8:9], v5, v3 src0_sel:BYTE_3 src1_sel:DWORD
	s_andn2_b64 s[4:5], s[4:5], exec
	s_and_b64 s[8:9], s[8:9], exec
	s_or_b64 s[4:5], s[4:5], s[8:9]
	s_or_b64 exec, exec, s[6:7]
	s_and_saveexec_b64 s[6:7], s[4:5]
	s_cbranch_execnz .LBB52_1279
	s_branch .LBB52_1280
.LBB52_3329:
	s_movk_i32 s4, 0x80
	v_cmp_eq_u16_sdwa s[12:13], v14, s4 src0_sel:BYTE_0 src1_sel:DWORD
	s_mov_b64 s[4:5], -1
                                        ; implicit-def: $sgpr10
	s_and_saveexec_b64 s[8:9], s[12:13]
; %bb.3330:
	s_mov_b32 s10, 0x7f800001
	s_xor_b64 s[4:5], exec, -1
; %bb.3331:
	s_or_b64 exec, exec, s[8:9]
	s_and_b64 s[4:5], s[4:5], exec
	s_or_saveexec_b64 s[6:7], s[6:7]
	v_mov_b32_e32 v20, s10
	s_xor_b64 exec, exec, s[6:7]
	s_cbranch_execz .LBB52_1282
.LBB52_3332:
	v_mov_b32_e32 v20, 0
	v_cmp_ne_u16_sdwa s[8:9], v14, v20 src0_sel:BYTE_0 src1_sel:DWORD
	s_andn2_b64 s[4:5], s[4:5], exec
	s_and_b64 s[8:9], s[8:9], exec
	s_or_b64 s[4:5], s[4:5], s[8:9]
	s_or_b64 exec, exec, s[6:7]
	s_and_saveexec_b64 s[6:7], s[4:5]
	s_cbranch_execnz .LBB52_1283
	s_branch .LBB52_1284
.LBB52_3333:
	s_movk_i32 s4, 0x80
	v_cmp_eq_u16_sdwa s[12:13], v10, s4 src0_sel:BYTE_0 src1_sel:DWORD
	s_mov_b64 s[4:5], -1
                                        ; implicit-def: $sgpr10
	s_and_saveexec_b64 s[8:9], s[12:13]
; %bb.3334:
	s_mov_b32 s10, 0x7f800001
	s_xor_b64 s[4:5], exec, -1
; %bb.3335:
	s_or_b64 exec, exec, s[8:9]
	s_and_b64 s[4:5], s[4:5], exec
	s_or_saveexec_b64 s[6:7], s[6:7]
	v_mov_b32_e32 v21, s10
	s_xor_b64 exec, exec, s[6:7]
	s_cbranch_execz .LBB52_1286
.LBB52_3336:
	v_mov_b32_e32 v21, 0
	v_cmp_ne_u16_sdwa s[8:9], v10, v21 src0_sel:BYTE_0 src1_sel:DWORD
	s_andn2_b64 s[4:5], s[4:5], exec
	s_and_b64 s[8:9], s[8:9], exec
	s_or_b64 s[4:5], s[4:5], s[8:9]
	s_or_b64 exec, exec, s[6:7]
	s_and_saveexec_b64 s[6:7], s[4:5]
	s_cbranch_execnz .LBB52_1287
	s_branch .LBB52_1288
.LBB52_3337:
	s_movk_i32 s4, 0x80
	v_cmp_eq_u16_sdwa s[12:13], v21, s4 src0_sel:BYTE_0 src1_sel:DWORD
	s_mov_b64 s[4:5], -1
                                        ; implicit-def: $sgpr10
	s_and_saveexec_b64 s[8:9], s[12:13]
; %bb.3338:
	s_mov_b32 s10, 0x7f800001
	s_xor_b64 s[4:5], exec, -1
; %bb.3339:
	s_or_b64 exec, exec, s[8:9]
	s_and_b64 s[4:5], s[4:5], exec
	s_or_saveexec_b64 s[6:7], s[6:7]
	v_mov_b32_e32 v20, s10
	s_xor_b64 exec, exec, s[6:7]
	s_cbranch_execz .LBB52_1290
.LBB52_3340:
	v_mov_b32_e32 v20, 0
	v_cmp_ne_u16_sdwa s[8:9], v21, v20 src0_sel:BYTE_0 src1_sel:DWORD
	s_andn2_b64 s[4:5], s[4:5], exec
	s_and_b64 s[8:9], s[8:9], exec
	s_or_b64 s[4:5], s[4:5], s[8:9]
	s_or_b64 exec, exec, s[6:7]
	s_and_saveexec_b64 s[6:7], s[4:5]
	s_cbranch_execnz .LBB52_1291
	s_branch .LBB52_1292
.LBB52_3341:
	s_movk_i32 s4, 0x80
	v_cmp_eq_u16_sdwa s[12:13], v21, s4 src0_sel:BYTE_0 src1_sel:DWORD
	s_mov_b64 s[4:5], -1
                                        ; implicit-def: $sgpr10
	s_and_saveexec_b64 s[8:9], s[12:13]
; %bb.3342:
	s_mov_b32 s10, 0x7f800001
	s_xor_b64 s[4:5], exec, -1
; %bb.3343:
	s_or_b64 exec, exec, s[8:9]
	s_and_b64 s[4:5], s[4:5], exec
	s_or_saveexec_b64 s[6:7], s[6:7]
	v_mov_b32_e32 v22, s10
	s_xor_b64 exec, exec, s[6:7]
	s_cbranch_execz .LBB52_1294
.LBB52_3344:
	v_mov_b32_e32 v22, 0
	v_cmp_ne_u16_sdwa s[8:9], v21, v22 src0_sel:BYTE_0 src1_sel:DWORD
	s_andn2_b64 s[4:5], s[4:5], exec
	s_and_b64 s[8:9], s[8:9], exec
	s_or_b64 s[4:5], s[4:5], s[8:9]
	s_or_b64 exec, exec, s[6:7]
	s_and_saveexec_b64 s[6:7], s[4:5]
	s_cbranch_execnz .LBB52_1295
	s_branch .LBB52_1296
.LBB52_3345:
	s_movk_i32 s4, 0x80
	v_cmp_eq_u16_e32 vcc, s4, v21
	s_mov_b64 s[4:5], -1
                                        ; implicit-def: $sgpr10
	s_and_saveexec_b64 s[8:9], vcc
; %bb.3346:
	s_mov_b32 s10, 0x7f800001
	s_xor_b64 s[4:5], exec, -1
; %bb.3347:
	s_or_b64 exec, exec, s[8:9]
	s_and_b64 s[4:5], s[4:5], exec
                                        ; implicit-def: $vgpr21
	s_or_saveexec_b64 s[6:7], s[6:7]
	v_mov_b32_e32 v20, s10
	s_xor_b64 exec, exec, s[6:7]
	s_cbranch_execz .LBB52_1298
.LBB52_3348:
	v_cmp_ne_u16_e32 vcc, 0, v21
	s_andn2_b64 s[4:5], s[4:5], exec
	s_and_b64 s[8:9], vcc, exec
	v_mov_b32_e32 v20, 0
	s_or_b64 s[4:5], s[4:5], s[8:9]
	s_or_b64 exec, exec, s[6:7]
	s_and_saveexec_b64 s[6:7], s[4:5]
	s_cbranch_execnz .LBB52_1299
	s_branch .LBB52_1300
.LBB52_3349:
	s_movk_i32 s4, 0x80
	v_cmp_eq_u16_e32 vcc, s4, v21
	s_mov_b64 s[4:5], -1
                                        ; implicit-def: $sgpr10
	s_and_saveexec_b64 s[8:9], vcc
; %bb.3350:
	s_mov_b32 s10, 0x7f800001
	s_xor_b64 s[4:5], exec, -1
; %bb.3351:
	s_or_b64 exec, exec, s[8:9]
	s_and_b64 s[4:5], s[4:5], exec
                                        ; implicit-def: $vgpr21
	s_or_saveexec_b64 s[6:7], s[6:7]
	v_mov_b32_e32 v22, s10
	s_xor_b64 exec, exec, s[6:7]
	s_cbranch_execz .LBB52_1302
.LBB52_3352:
	v_cmp_ne_u16_e32 vcc, 0, v21
	s_andn2_b64 s[4:5], s[4:5], exec
	s_and_b64 s[8:9], vcc, exec
	v_mov_b32_e32 v22, 0
	s_or_b64 s[4:5], s[4:5], s[8:9]
	s_or_b64 exec, exec, s[6:7]
	s_and_saveexec_b64 s[6:7], s[4:5]
	s_cbranch_execnz .LBB52_1303
	s_branch .LBB52_1304
.LBB52_3353:
	s_movk_i32 s4, 0x80
	v_cmp_eq_u16_sdwa s[12:13], v14, s4 src0_sel:BYTE_3 src1_sel:DWORD
	s_mov_b64 s[4:5], -1
                                        ; implicit-def: $sgpr10
	s_and_saveexec_b64 s[8:9], s[12:13]
; %bb.3354:
	s_mov_b32 s10, 0x7f800001
	s_xor_b64 s[4:5], exec, -1
; %bb.3355:
	s_or_b64 exec, exec, s[8:9]
	s_and_b64 s[4:5], s[4:5], exec
	s_or_saveexec_b64 s[6:7], s[6:7]
	v_mov_b32_e32 v20, s10
	s_xor_b64 exec, exec, s[6:7]
	s_cbranch_execz .LBB52_1306
.LBB52_3356:
	v_mov_b32_e32 v20, 0
	v_cmp_ne_u16_sdwa s[8:9], v14, v20 src0_sel:BYTE_3 src1_sel:DWORD
	s_andn2_b64 s[4:5], s[4:5], exec
	s_and_b64 s[8:9], s[8:9], exec
	s_or_b64 s[4:5], s[4:5], s[8:9]
	s_or_b64 exec, exec, s[6:7]
	s_and_saveexec_b64 s[6:7], s[4:5]
	s_cbranch_execnz .LBB52_1307
	s_branch .LBB52_1308
.LBB52_3357:
	s_movk_i32 s4, 0x80
	v_cmp_eq_u16_sdwa s[12:13], v10, s4 src0_sel:BYTE_3 src1_sel:DWORD
	s_mov_b64 s[4:5], -1
                                        ; implicit-def: $sgpr10
	s_and_saveexec_b64 s[8:9], s[12:13]
; %bb.3358:
	s_mov_b32 s10, 0x7f800001
	s_xor_b64 s[4:5], exec, -1
; %bb.3359:
	s_or_b64 exec, exec, s[8:9]
	s_and_b64 s[4:5], s[4:5], exec
	s_or_saveexec_b64 s[6:7], s[6:7]
	v_mov_b32_e32 v14, s10
	s_xor_b64 exec, exec, s[6:7]
	s_cbranch_execz .LBB52_1310
.LBB52_3360:
	v_mov_b32_e32 v14, 0
	v_cmp_ne_u16_sdwa s[8:9], v10, v14 src0_sel:BYTE_3 src1_sel:DWORD
	s_andn2_b64 s[4:5], s[4:5], exec
	s_and_b64 s[8:9], s[8:9], exec
	s_or_b64 s[4:5], s[4:5], s[8:9]
	s_or_b64 exec, exec, s[6:7]
	s_and_saveexec_b64 s[6:7], s[4:5]
	s_cbranch_execnz .LBB52_1311
	s_branch .LBB52_1312
.LBB52_3361:
	s_movk_i32 s4, 0x80
	v_cmp_eq_u16_sdwa s[12:13], v15, s4 src0_sel:BYTE_0 src1_sel:DWORD
	s_mov_b64 s[4:5], -1
                                        ; implicit-def: $sgpr10
	s_and_saveexec_b64 s[8:9], s[12:13]
; %bb.3362:
	s_mov_b32 s10, 0x7f800001
	s_xor_b64 s[4:5], exec, -1
; %bb.3363:
	s_or_b64 exec, exec, s[8:9]
	s_and_b64 s[4:5], s[4:5], exec
	s_or_saveexec_b64 s[6:7], s[6:7]
	v_mov_b32_e32 v10, s10
	s_xor_b64 exec, exec, s[6:7]
	s_cbranch_execz .LBB52_1314
.LBB52_3364:
	v_mov_b32_e32 v10, 0
	v_cmp_ne_u16_sdwa s[8:9], v15, v10 src0_sel:BYTE_0 src1_sel:DWORD
	s_andn2_b64 s[4:5], s[4:5], exec
	s_and_b64 s[8:9], s[8:9], exec
	s_or_b64 s[4:5], s[4:5], s[8:9]
	s_or_b64 exec, exec, s[6:7]
	s_and_saveexec_b64 s[6:7], s[4:5]
	s_cbranch_execnz .LBB52_1315
	s_branch .LBB52_1316
.LBB52_3365:
	s_movk_i32 s4, 0x80
	v_cmp_eq_u16_sdwa s[12:13], v11, s4 src0_sel:BYTE_0 src1_sel:DWORD
	s_mov_b64 s[4:5], -1
                                        ; implicit-def: $sgpr10
	s_and_saveexec_b64 s[8:9], s[12:13]
; %bb.3366:
	s_mov_b32 s10, 0x7f800001
	s_xor_b64 s[4:5], exec, -1
; %bb.3367:
	s_or_b64 exec, exec, s[8:9]
	s_and_b64 s[4:5], s[4:5], exec
	s_or_saveexec_b64 s[6:7], s[6:7]
	v_mov_b32_e32 v14, s10
	s_xor_b64 exec, exec, s[6:7]
	s_cbranch_execz .LBB52_1318
.LBB52_3368:
	v_mov_b32_e32 v14, 0
	v_cmp_ne_u16_sdwa s[8:9], v11, v14 src0_sel:BYTE_0 src1_sel:DWORD
	s_andn2_b64 s[4:5], s[4:5], exec
	s_and_b64 s[8:9], s[8:9], exec
	s_or_b64 s[4:5], s[4:5], s[8:9]
	s_or_b64 exec, exec, s[6:7]
	s_and_saveexec_b64 s[6:7], s[4:5]
	s_cbranch_execnz .LBB52_1319
	s_branch .LBB52_1320
.LBB52_3369:
	s_movk_i32 s4, 0x80
	v_cmp_eq_u16_sdwa s[12:13], v14, s4 src0_sel:BYTE_0 src1_sel:DWORD
	s_mov_b64 s[4:5], -1
                                        ; implicit-def: $sgpr10
	s_and_saveexec_b64 s[8:9], s[12:13]
; %bb.3370:
	s_mov_b32 s10, 0x7f800001
	s_xor_b64 s[4:5], exec, -1
; %bb.3371:
	s_or_b64 exec, exec, s[8:9]
	s_and_b64 s[4:5], s[4:5], exec
	s_or_saveexec_b64 s[6:7], s[6:7]
	v_mov_b32_e32 v10, s10
	s_xor_b64 exec, exec, s[6:7]
	s_cbranch_execz .LBB52_1322
.LBB52_3372:
	v_mov_b32_e32 v10, 0
	v_cmp_ne_u16_sdwa s[8:9], v14, v10 src0_sel:BYTE_0 src1_sel:DWORD
	s_andn2_b64 s[4:5], s[4:5], exec
	s_and_b64 s[8:9], s[8:9], exec
	s_or_b64 s[4:5], s[4:5], s[8:9]
	s_or_b64 exec, exec, s[6:7]
	s_and_saveexec_b64 s[6:7], s[4:5]
	s_cbranch_execnz .LBB52_1323
	s_branch .LBB52_1324
.LBB52_3373:
	s_movk_i32 s4, 0x80
	v_cmp_eq_u16_sdwa s[12:13], v14, s4 src0_sel:BYTE_0 src1_sel:DWORD
	s_mov_b64 s[4:5], -1
                                        ; implicit-def: $sgpr10
	s_and_saveexec_b64 s[8:9], s[12:13]
; %bb.3374:
	s_mov_b32 s10, 0x7f800001
	s_xor_b64 s[4:5], exec, -1
; %bb.3375:
	s_or_b64 exec, exec, s[8:9]
	s_and_b64 s[4:5], s[4:5], exec
	s_or_saveexec_b64 s[6:7], s[6:7]
	v_mov_b32_e32 v20, s10
	s_xor_b64 exec, exec, s[6:7]
	s_cbranch_execz .LBB52_1326
.LBB52_3376:
	v_mov_b32_e32 v20, 0
	v_cmp_ne_u16_sdwa s[8:9], v14, v20 src0_sel:BYTE_0 src1_sel:DWORD
	s_andn2_b64 s[4:5], s[4:5], exec
	s_and_b64 s[8:9], s[8:9], exec
	s_or_b64 s[4:5], s[4:5], s[8:9]
	s_or_b64 exec, exec, s[6:7]
	s_and_saveexec_b64 s[6:7], s[4:5]
	s_cbranch_execnz .LBB52_1327
	s_branch .LBB52_1328
.LBB52_3377:
	s_movk_i32 s4, 0x80
	v_cmp_eq_u16_e32 vcc, s4, v14
	s_mov_b64 s[4:5], -1
                                        ; implicit-def: $sgpr10
	s_and_saveexec_b64 s[8:9], vcc
; %bb.3378:
	s_mov_b32 s10, 0x7f800001
	s_xor_b64 s[4:5], exec, -1
; %bb.3379:
	s_or_b64 exec, exec, s[8:9]
	s_and_b64 s[4:5], s[4:5], exec
                                        ; implicit-def: $vgpr14
	s_or_saveexec_b64 s[6:7], s[6:7]
	v_mov_b32_e32 v10, s10
	s_xor_b64 exec, exec, s[6:7]
	s_cbranch_execz .LBB52_1330
.LBB52_3380:
	v_cmp_ne_u16_e32 vcc, 0, v14
	s_andn2_b64 s[4:5], s[4:5], exec
	s_and_b64 s[8:9], vcc, exec
	v_mov_b32_e32 v10, 0
	s_or_b64 s[4:5], s[4:5], s[8:9]
	s_or_b64 exec, exec, s[6:7]
	s_and_saveexec_b64 s[6:7], s[4:5]
	s_cbranch_execnz .LBB52_1331
	s_branch .LBB52_1332
.LBB52_3381:
	s_movk_i32 s4, 0x80
	v_cmp_eq_u16_e32 vcc, s4, v14
	s_mov_b64 s[4:5], -1
                                        ; implicit-def: $sgpr10
	s_and_saveexec_b64 s[8:9], vcc
; %bb.3382:
	s_mov_b32 s10, 0x7f800001
	s_xor_b64 s[4:5], exec, -1
; %bb.3383:
	s_or_b64 exec, exec, s[8:9]
	s_and_b64 s[4:5], s[4:5], exec
                                        ; implicit-def: $vgpr14
	s_or_saveexec_b64 s[6:7], s[6:7]
	v_mov_b32_e32 v20, s10
	s_xor_b64 exec, exec, s[6:7]
	s_cbranch_execz .LBB52_1334
.LBB52_3384:
	v_cmp_ne_u16_e32 vcc, 0, v14
	s_andn2_b64 s[4:5], s[4:5], exec
	s_and_b64 s[8:9], vcc, exec
	v_mov_b32_e32 v20, 0
	s_or_b64 s[4:5], s[4:5], s[8:9]
	s_or_b64 exec, exec, s[6:7]
	s_and_saveexec_b64 s[6:7], s[4:5]
	s_cbranch_execnz .LBB52_1335
	s_branch .LBB52_1336
.LBB52_3385:
	s_movk_i32 s4, 0x80
	v_cmp_eq_u16_sdwa s[12:13], v15, s4 src0_sel:BYTE_3 src1_sel:DWORD
	s_mov_b64 s[4:5], -1
                                        ; implicit-def: $sgpr10
	s_and_saveexec_b64 s[8:9], s[12:13]
; %bb.3386:
	s_mov_b32 s10, 0x7f800001
	s_xor_b64 s[4:5], exec, -1
; %bb.3387:
	s_or_b64 exec, exec, s[8:9]
	s_and_b64 s[4:5], s[4:5], exec
	s_or_saveexec_b64 s[6:7], s[6:7]
	v_mov_b32_e32 v10, s10
	s_xor_b64 exec, exec, s[6:7]
	s_cbranch_execz .LBB52_1338
.LBB52_3388:
	v_mov_b32_e32 v10, 0
	v_cmp_ne_u16_sdwa s[8:9], v15, v10 src0_sel:BYTE_3 src1_sel:DWORD
	s_andn2_b64 s[4:5], s[4:5], exec
	s_and_b64 s[8:9], s[8:9], exec
	s_or_b64 s[4:5], s[4:5], s[8:9]
	s_or_b64 exec, exec, s[6:7]
	s_and_saveexec_b64 s[6:7], s[4:5]
	s_cbranch_execnz .LBB52_1339
	s_branch .LBB52_1340
.LBB52_3389:
	s_movk_i32 s4, 0x80
	v_cmp_eq_u16_sdwa s[12:13], v11, s4 src0_sel:BYTE_3 src1_sel:DWORD
	s_mov_b64 s[4:5], -1
                                        ; implicit-def: $sgpr10
	s_and_saveexec_b64 s[8:9], s[12:13]
; %bb.3390:
	s_mov_b32 s10, 0x7f800001
	s_xor_b64 s[4:5], exec, -1
; %bb.3391:
	s_or_b64 exec, exec, s[8:9]
	s_and_b64 s[4:5], s[4:5], exec
	s_or_saveexec_b64 s[6:7], s[6:7]
	v_mov_b32_e32 v14, s10
	s_xor_b64 exec, exec, s[6:7]
	s_cbranch_execz .LBB52_1342
.LBB52_3392:
	v_mov_b32_e32 v14, 0
	v_cmp_ne_u16_sdwa s[8:9], v11, v14 src0_sel:BYTE_3 src1_sel:DWORD
	s_andn2_b64 s[4:5], s[4:5], exec
	s_and_b64 s[8:9], s[8:9], exec
	s_or_b64 s[4:5], s[4:5], s[8:9]
	s_or_b64 exec, exec, s[6:7]
	s_and_saveexec_b64 s[6:7], s[4:5]
	s_cbranch_execnz .LBB52_1343
	s_branch .LBB52_1344
.LBB52_3393:
	s_movk_i32 s4, 0x80
	v_cmp_eq_u16_sdwa s[12:13], v16, s4 src0_sel:BYTE_0 src1_sel:DWORD
	s_mov_b64 s[4:5], -1
                                        ; implicit-def: $sgpr10
	s_and_saveexec_b64 s[8:9], s[12:13]
; %bb.3394:
	s_mov_b32 s10, 0x7f800001
	s_xor_b64 s[4:5], exec, -1
; %bb.3395:
	s_or_b64 exec, exec, s[8:9]
	s_and_b64 s[4:5], s[4:5], exec
	s_or_saveexec_b64 s[6:7], s[6:7]
	v_mov_b32_e32 v10, s10
	s_xor_b64 exec, exec, s[6:7]
	s_cbranch_execz .LBB52_1346
.LBB52_3396:
	v_mov_b32_e32 v10, 0
	v_cmp_ne_u16_sdwa s[8:9], v16, v10 src0_sel:BYTE_0 src1_sel:DWORD
	s_andn2_b64 s[4:5], s[4:5], exec
	s_and_b64 s[8:9], s[8:9], exec
	s_or_b64 s[4:5], s[4:5], s[8:9]
	s_or_b64 exec, exec, s[6:7]
	s_and_saveexec_b64 s[6:7], s[4:5]
	s_cbranch_execnz .LBB52_1347
	s_branch .LBB52_1348
.LBB52_3397:
	s_movk_i32 s4, 0x80
	v_cmp_eq_u16_sdwa s[12:13], v12, s4 src0_sel:BYTE_0 src1_sel:DWORD
	s_mov_b64 s[4:5], -1
                                        ; implicit-def: $sgpr10
	s_and_saveexec_b64 s[8:9], s[12:13]
; %bb.3398:
	s_mov_b32 s10, 0x7f800001
	s_xor_b64 s[4:5], exec, -1
; %bb.3399:
	s_or_b64 exec, exec, s[8:9]
	s_and_b64 s[4:5], s[4:5], exec
	s_or_saveexec_b64 s[6:7], s[6:7]
	v_mov_b32_e32 v11, s10
	s_xor_b64 exec, exec, s[6:7]
	s_cbranch_execz .LBB52_1350
.LBB52_3400:
	v_mov_b32_e32 v11, 0
	v_cmp_ne_u16_sdwa s[8:9], v12, v11 src0_sel:BYTE_0 src1_sel:DWORD
	s_andn2_b64 s[4:5], s[4:5], exec
	s_and_b64 s[8:9], s[8:9], exec
	s_or_b64 s[4:5], s[4:5], s[8:9]
	s_or_b64 exec, exec, s[6:7]
	s_and_saveexec_b64 s[6:7], s[4:5]
	s_cbranch_execnz .LBB52_1351
	s_branch .LBB52_1352
.LBB52_3401:
	s_movk_i32 s4, 0x80
	v_cmp_eq_u16_sdwa s[12:13], v11, s4 src0_sel:BYTE_0 src1_sel:DWORD
	s_mov_b64 s[4:5], -1
                                        ; implicit-def: $sgpr10
	s_and_saveexec_b64 s[8:9], s[12:13]
; %bb.3402:
	s_mov_b32 s10, 0x7f800001
	s_xor_b64 s[4:5], exec, -1
; %bb.3403:
	s_or_b64 exec, exec, s[8:9]
	s_and_b64 s[4:5], s[4:5], exec
	s_or_saveexec_b64 s[6:7], s[6:7]
	v_mov_b32_e32 v10, s10
	s_xor_b64 exec, exec, s[6:7]
	s_cbranch_execz .LBB52_1354
.LBB52_3404:
	v_mov_b32_e32 v10, 0
	v_cmp_ne_u16_sdwa s[8:9], v11, v10 src0_sel:BYTE_0 src1_sel:DWORD
	s_andn2_b64 s[4:5], s[4:5], exec
	s_and_b64 s[8:9], s[8:9], exec
	s_or_b64 s[4:5], s[4:5], s[8:9]
	s_or_b64 exec, exec, s[6:7]
	s_and_saveexec_b64 s[6:7], s[4:5]
	s_cbranch_execnz .LBB52_1355
	s_branch .LBB52_1356
.LBB52_3405:
	s_movk_i32 s4, 0x80
	v_cmp_eq_u16_sdwa s[12:13], v11, s4 src0_sel:BYTE_0 src1_sel:DWORD
	s_mov_b64 s[4:5], -1
                                        ; implicit-def: $sgpr10
	s_and_saveexec_b64 s[8:9], s[12:13]
; %bb.3406:
	s_mov_b32 s10, 0x7f800001
	s_xor_b64 s[4:5], exec, -1
; %bb.3407:
	s_or_b64 exec, exec, s[8:9]
	s_and_b64 s[4:5], s[4:5], exec
	s_or_saveexec_b64 s[6:7], s[6:7]
	v_mov_b32_e32 v14, s10
	s_xor_b64 exec, exec, s[6:7]
	s_cbranch_execz .LBB52_1358
.LBB52_3408:
	v_mov_b32_e32 v14, 0
	v_cmp_ne_u16_sdwa s[8:9], v11, v14 src0_sel:BYTE_0 src1_sel:DWORD
	s_andn2_b64 s[4:5], s[4:5], exec
	s_and_b64 s[8:9], s[8:9], exec
	s_or_b64 s[4:5], s[4:5], s[8:9]
	s_or_b64 exec, exec, s[6:7]
	s_and_saveexec_b64 s[6:7], s[4:5]
	s_cbranch_execnz .LBB52_1359
	s_branch .LBB52_1360
.LBB52_3409:
	s_movk_i32 s4, 0x80
	v_cmp_eq_u16_e32 vcc, s4, v11
	s_mov_b64 s[4:5], -1
                                        ; implicit-def: $sgpr10
	s_and_saveexec_b64 s[8:9], vcc
; %bb.3410:
	s_mov_b32 s10, 0x7f800001
	s_xor_b64 s[4:5], exec, -1
; %bb.3411:
	s_or_b64 exec, exec, s[8:9]
	s_and_b64 s[4:5], s[4:5], exec
                                        ; implicit-def: $vgpr11
	s_or_saveexec_b64 s[6:7], s[6:7]
	v_mov_b32_e32 v10, s10
	s_xor_b64 exec, exec, s[6:7]
	s_cbranch_execz .LBB52_1362
.LBB52_3412:
	v_cmp_ne_u16_e32 vcc, 0, v11
	s_andn2_b64 s[4:5], s[4:5], exec
	s_and_b64 s[8:9], vcc, exec
	v_mov_b32_e32 v10, 0
	s_or_b64 s[4:5], s[4:5], s[8:9]
	s_or_b64 exec, exec, s[6:7]
	s_and_saveexec_b64 s[6:7], s[4:5]
	s_cbranch_execnz .LBB52_1363
	s_branch .LBB52_1364
.LBB52_3413:
	s_movk_i32 s4, 0x80
	v_cmp_eq_u16_e32 vcc, s4, v11
	s_mov_b64 s[4:5], -1
                                        ; implicit-def: $sgpr10
	s_and_saveexec_b64 s[8:9], vcc
; %bb.3414:
	s_mov_b32 s10, 0x7f800001
	s_xor_b64 s[4:5], exec, -1
; %bb.3415:
	s_or_b64 exec, exec, s[8:9]
	s_and_b64 s[4:5], s[4:5], exec
                                        ; implicit-def: $vgpr11
	s_or_saveexec_b64 s[6:7], s[6:7]
	v_mov_b32_e32 v14, s10
	s_xor_b64 exec, exec, s[6:7]
	s_cbranch_execz .LBB52_1366
.LBB52_3416:
	v_cmp_ne_u16_e32 vcc, 0, v11
	s_andn2_b64 s[4:5], s[4:5], exec
	s_and_b64 s[8:9], vcc, exec
	v_mov_b32_e32 v14, 0
	s_or_b64 s[4:5], s[4:5], s[8:9]
	s_or_b64 exec, exec, s[6:7]
	s_and_saveexec_b64 s[6:7], s[4:5]
	s_cbranch_execnz .LBB52_1367
	s_branch .LBB52_1368
.LBB52_3417:
	s_movk_i32 s4, 0x80
	v_cmp_eq_u16_sdwa s[12:13], v16, s4 src0_sel:BYTE_3 src1_sel:DWORD
	s_mov_b64 s[4:5], -1
                                        ; implicit-def: $sgpr10
	s_and_saveexec_b64 s[8:9], s[12:13]
; %bb.3418:
	s_mov_b32 s10, 0x7f800001
	s_xor_b64 s[4:5], exec, -1
; %bb.3419:
	s_or_b64 exec, exec, s[8:9]
	s_and_b64 s[4:5], s[4:5], exec
	s_or_saveexec_b64 s[6:7], s[6:7]
	v_mov_b32_e32 v10, s10
	s_xor_b64 exec, exec, s[6:7]
	s_cbranch_execz .LBB52_1370
.LBB52_3420:
	v_mov_b32_e32 v10, 0
	v_cmp_ne_u16_sdwa s[8:9], v16, v10 src0_sel:BYTE_3 src1_sel:DWORD
	s_andn2_b64 s[4:5], s[4:5], exec
	s_and_b64 s[8:9], s[8:9], exec
	s_or_b64 s[4:5], s[4:5], s[8:9]
	s_or_b64 exec, exec, s[6:7]
	s_and_saveexec_b64 s[6:7], s[4:5]
	s_cbranch_execnz .LBB52_1371
	s_branch .LBB52_1372
.LBB52_3421:
	s_movk_i32 s4, 0x80
	v_cmp_eq_u16_sdwa s[12:13], v12, s4 src0_sel:BYTE_3 src1_sel:DWORD
	s_mov_b64 s[4:5], -1
                                        ; implicit-def: $sgpr10
	s_and_saveexec_b64 s[8:9], s[12:13]
; %bb.3422:
	s_mov_b32 s10, 0x7f800001
	s_xor_b64 s[4:5], exec, -1
; %bb.3423:
	s_or_b64 exec, exec, s[8:9]
	s_and_b64 s[4:5], s[4:5], exec
	s_or_saveexec_b64 s[6:7], s[6:7]
	v_mov_b32_e32 v11, s10
	s_xor_b64 exec, exec, s[6:7]
	s_cbranch_execz .LBB52_1374
.LBB52_3424:
	v_mov_b32_e32 v11, 0
	v_cmp_ne_u16_sdwa s[8:9], v12, v11 src0_sel:BYTE_3 src1_sel:DWORD
	s_andn2_b64 s[4:5], s[4:5], exec
	s_and_b64 s[8:9], s[8:9], exec
	s_or_b64 s[4:5], s[4:5], s[8:9]
	s_or_b64 exec, exec, s[6:7]
	s_and_saveexec_b64 s[6:7], s[4:5]
	s_cbranch_execnz .LBB52_1375
	s_branch .LBB52_1376
.LBB52_3425:
	s_movk_i32 s4, 0x80
	v_cmp_eq_u16_sdwa s[12:13], v17, s4 src0_sel:BYTE_0 src1_sel:DWORD
	s_mov_b64 s[4:5], -1
                                        ; implicit-def: $sgpr10
	s_and_saveexec_b64 s[8:9], s[12:13]
; %bb.3426:
	s_mov_b32 s10, 0x7f800001
	s_xor_b64 s[4:5], exec, -1
; %bb.3427:
	s_or_b64 exec, exec, s[8:9]
	s_and_b64 s[4:5], s[4:5], exec
	s_or_saveexec_b64 s[6:7], s[6:7]
	v_mov_b32_e32 v10, s10
	s_xor_b64 exec, exec, s[6:7]
	s_cbranch_execz .LBB52_1378
.LBB52_3428:
	v_mov_b32_e32 v10, 0
	v_cmp_ne_u16_sdwa s[8:9], v17, v10 src0_sel:BYTE_0 src1_sel:DWORD
	s_andn2_b64 s[4:5], s[4:5], exec
	s_and_b64 s[8:9], s[8:9], exec
	s_or_b64 s[4:5], s[4:5], s[8:9]
	s_or_b64 exec, exec, s[6:7]
	s_and_saveexec_b64 s[6:7], s[4:5]
	s_cbranch_execnz .LBB52_1379
	s_branch .LBB52_1380
.LBB52_3429:
	s_movk_i32 s4, 0x80
	v_cmp_eq_u16_sdwa s[12:13], v13, s4 src0_sel:BYTE_0 src1_sel:DWORD
	s_mov_b64 s[4:5], -1
                                        ; implicit-def: $sgpr10
	s_and_saveexec_b64 s[8:9], s[12:13]
; %bb.3430:
	s_mov_b32 s10, 0x7f800001
	s_xor_b64 s[4:5], exec, -1
; %bb.3431:
	s_or_b64 exec, exec, s[8:9]
	s_and_b64 s[4:5], s[4:5], exec
	s_or_saveexec_b64 s[6:7], s[6:7]
	v_mov_b32_e32 v11, s10
	s_xor_b64 exec, exec, s[6:7]
	s_cbranch_execz .LBB52_1382
.LBB52_3432:
	v_mov_b32_e32 v11, 0
	v_cmp_ne_u16_sdwa s[8:9], v13, v11 src0_sel:BYTE_0 src1_sel:DWORD
	s_andn2_b64 s[4:5], s[4:5], exec
	s_and_b64 s[8:9], s[8:9], exec
	s_or_b64 s[4:5], s[4:5], s[8:9]
	s_or_b64 exec, exec, s[6:7]
	s_and_saveexec_b64 s[6:7], s[4:5]
	s_cbranch_execnz .LBB52_1383
	s_branch .LBB52_1384
.LBB52_3433:
	s_movk_i32 s4, 0x80
	v_cmp_eq_u16_sdwa s[12:13], v11, s4 src0_sel:BYTE_0 src1_sel:DWORD
	s_mov_b64 s[4:5], -1
                                        ; implicit-def: $sgpr10
	s_and_saveexec_b64 s[8:9], s[12:13]
; %bb.3434:
	s_mov_b32 s10, 0x7f800001
	s_xor_b64 s[4:5], exec, -1
; %bb.3435:
	s_or_b64 exec, exec, s[8:9]
	s_and_b64 s[4:5], s[4:5], exec
	s_or_saveexec_b64 s[6:7], s[6:7]
	v_mov_b32_e32 v10, s10
	s_xor_b64 exec, exec, s[6:7]
	s_cbranch_execz .LBB52_1386
.LBB52_3436:
	v_mov_b32_e32 v10, 0
	v_cmp_ne_u16_sdwa s[8:9], v11, v10 src0_sel:BYTE_0 src1_sel:DWORD
	s_andn2_b64 s[4:5], s[4:5], exec
	s_and_b64 s[8:9], s[8:9], exec
	s_or_b64 s[4:5], s[4:5], s[8:9]
	s_or_b64 exec, exec, s[6:7]
	s_and_saveexec_b64 s[6:7], s[4:5]
	s_cbranch_execnz .LBB52_1387
	s_branch .LBB52_1388
.LBB52_3437:
	s_movk_i32 s4, 0x80
	v_cmp_eq_u16_sdwa s[12:13], v11, s4 src0_sel:BYTE_0 src1_sel:DWORD
	s_mov_b64 s[4:5], -1
                                        ; implicit-def: $sgpr10
	s_and_saveexec_b64 s[8:9], s[12:13]
; %bb.3438:
	s_mov_b32 s10, 0x7f800001
	s_xor_b64 s[4:5], exec, -1
; %bb.3439:
	s_or_b64 exec, exec, s[8:9]
	s_and_b64 s[4:5], s[4:5], exec
	s_or_saveexec_b64 s[6:7], s[6:7]
	v_mov_b32_e32 v12, s10
	s_xor_b64 exec, exec, s[6:7]
	s_cbranch_execz .LBB52_1390
.LBB52_3440:
	v_mov_b32_e32 v12, 0
	v_cmp_ne_u16_sdwa s[8:9], v11, v12 src0_sel:BYTE_0 src1_sel:DWORD
	s_andn2_b64 s[4:5], s[4:5], exec
	s_and_b64 s[8:9], s[8:9], exec
	s_or_b64 s[4:5], s[4:5], s[8:9]
	s_or_b64 exec, exec, s[6:7]
	s_and_saveexec_b64 s[6:7], s[4:5]
	s_cbranch_execnz .LBB52_1391
	s_branch .LBB52_1392
.LBB52_3441:
	s_movk_i32 s4, 0x80
	v_cmp_eq_u16_e32 vcc, s4, v11
	s_mov_b64 s[4:5], -1
                                        ; implicit-def: $sgpr10
	s_and_saveexec_b64 s[8:9], vcc
; %bb.3442:
	s_mov_b32 s10, 0x7f800001
	s_xor_b64 s[4:5], exec, -1
; %bb.3443:
	s_or_b64 exec, exec, s[8:9]
	s_and_b64 s[4:5], s[4:5], exec
                                        ; implicit-def: $vgpr11
	s_or_saveexec_b64 s[6:7], s[6:7]
	v_mov_b32_e32 v10, s10
	s_xor_b64 exec, exec, s[6:7]
	s_cbranch_execz .LBB52_1394
.LBB52_3444:
	v_cmp_ne_u16_e32 vcc, 0, v11
	s_andn2_b64 s[4:5], s[4:5], exec
	s_and_b64 s[8:9], vcc, exec
	v_mov_b32_e32 v10, 0
	s_or_b64 s[4:5], s[4:5], s[8:9]
	s_or_b64 exec, exec, s[6:7]
	s_and_saveexec_b64 s[6:7], s[4:5]
	s_cbranch_execnz .LBB52_1395
	s_branch .LBB52_1396
.LBB52_3445:
	s_movk_i32 s4, 0x80
	v_cmp_eq_u16_e32 vcc, s4, v11
	s_mov_b64 s[4:5], -1
                                        ; implicit-def: $sgpr10
	s_and_saveexec_b64 s[8:9], vcc
; %bb.3446:
	s_mov_b32 s10, 0x7f800001
	s_xor_b64 s[4:5], exec, -1
; %bb.3447:
	s_or_b64 exec, exec, s[8:9]
	s_and_b64 s[4:5], s[4:5], exec
                                        ; implicit-def: $vgpr11
	s_or_saveexec_b64 s[6:7], s[6:7]
	v_mov_b32_e32 v12, s10
	s_xor_b64 exec, exec, s[6:7]
	s_cbranch_execz .LBB52_1398
.LBB52_3448:
	v_cmp_ne_u16_e32 vcc, 0, v11
	s_andn2_b64 s[4:5], s[4:5], exec
	s_and_b64 s[8:9], vcc, exec
	v_mov_b32_e32 v12, 0
	s_or_b64 s[4:5], s[4:5], s[8:9]
	s_or_b64 exec, exec, s[6:7]
	s_and_saveexec_b64 s[6:7], s[4:5]
	s_cbranch_execnz .LBB52_1399
	s_branch .LBB52_1400
.LBB52_3449:
	s_movk_i32 s4, 0x80
	v_cmp_eq_u16_sdwa s[12:13], v17, s4 src0_sel:BYTE_3 src1_sel:DWORD
	s_mov_b64 s[4:5], -1
                                        ; implicit-def: $sgpr10
	s_and_saveexec_b64 s[8:9], s[12:13]
; %bb.3450:
	s_mov_b32 s10, 0x7f800001
	s_xor_b64 s[4:5], exec, -1
; %bb.3451:
	s_or_b64 exec, exec, s[8:9]
	s_and_b64 s[4:5], s[4:5], exec
	s_or_saveexec_b64 s[6:7], s[6:7]
	v_mov_b32_e32 v10, s10
	s_xor_b64 exec, exec, s[6:7]
	s_cbranch_execz .LBB52_1402
.LBB52_3452:
	v_mov_b32_e32 v10, 0
	v_cmp_ne_u16_sdwa s[8:9], v17, v10 src0_sel:BYTE_3 src1_sel:DWORD
	s_andn2_b64 s[4:5], s[4:5], exec
	s_and_b64 s[8:9], s[8:9], exec
	s_or_b64 s[4:5], s[4:5], s[8:9]
	s_or_b64 exec, exec, s[6:7]
	s_and_saveexec_b64 s[6:7], s[4:5]
	s_cbranch_execnz .LBB52_1403
	s_branch .LBB52_1404
.LBB52_3453:
	s_movk_i32 s4, 0x80
	v_cmp_eq_u16_sdwa s[12:13], v13, s4 src0_sel:BYTE_3 src1_sel:DWORD
	s_mov_b64 s[4:5], -1
                                        ; implicit-def: $sgpr10
	s_and_saveexec_b64 s[8:9], s[12:13]
; %bb.3454:
	s_mov_b32 s10, 0x7f800001
	s_xor_b64 s[4:5], exec, -1
; %bb.3455:
	s_or_b64 exec, exec, s[8:9]
	s_and_b64 s[4:5], s[4:5], exec
	s_or_saveexec_b64 s[6:7], s[6:7]
	v_mov_b32_e32 v11, s10
	s_xor_b64 exec, exec, s[6:7]
	s_cbranch_execz .LBB52_1406
.LBB52_3456:
	v_mov_b32_e32 v11, 0
	v_cmp_ne_u16_sdwa s[8:9], v13, v11 src0_sel:BYTE_3 src1_sel:DWORD
	s_andn2_b64 s[4:5], s[4:5], exec
	s_and_b64 s[8:9], s[8:9], exec
	s_or_b64 s[4:5], s[4:5], s[8:9]
	s_or_b64 exec, exec, s[6:7]
	s_and_saveexec_b64 s[6:7], s[4:5]
	s_cbranch_execnz .LBB52_1407
	s_branch .LBB52_1408
.LBB52_3457:
	s_movk_i32 s4, 0x80
	v_cmp_eq_u16_sdwa s[12:13], v6, s4 src0_sel:BYTE_0 src1_sel:DWORD
	s_mov_b64 s[4:5], -1
                                        ; implicit-def: $sgpr10
	s_and_saveexec_b64 s[8:9], s[12:13]
; %bb.3458:
	s_mov_b32 s10, 0x7f800001
	s_xor_b64 s[4:5], exec, -1
; %bb.3459:
	s_or_b64 exec, exec, s[8:9]
	s_and_b64 s[4:5], s[4:5], exec
	s_or_saveexec_b64 s[6:7], s[6:7]
	v_mov_b32_e32 v10, s10
	s_xor_b64 exec, exec, s[6:7]
	s_cbranch_execz .LBB52_1410
.LBB52_3460:
	v_mov_b32_e32 v10, 0
	v_cmp_ne_u16_sdwa s[8:9], v6, v10 src0_sel:BYTE_0 src1_sel:DWORD
	s_andn2_b64 s[4:5], s[4:5], exec
	s_and_b64 s[8:9], s[8:9], exec
	s_or_b64 s[4:5], s[4:5], s[8:9]
	s_or_b64 exec, exec, s[6:7]
	s_and_saveexec_b64 s[6:7], s[4:5]
	s_cbranch_execnz .LBB52_1411
	s_branch .LBB52_1412
.LBB52_3461:
	s_movk_i32 s4, 0x80
	v_cmp_eq_u16_sdwa s[12:13], v2, s4 src0_sel:BYTE_0 src1_sel:DWORD
	s_mov_b64 s[4:5], -1
                                        ; implicit-def: $sgpr10
	s_and_saveexec_b64 s[8:9], s[12:13]
; %bb.3462:
	s_mov_b32 s10, 0x7f800001
	s_xor_b64 s[4:5], exec, -1
; %bb.3463:
	s_or_b64 exec, exec, s[8:9]
	s_and_b64 s[4:5], s[4:5], exec
	s_or_saveexec_b64 s[6:7], s[6:7]
	v_mov_b32_e32 v11, s10
	s_xor_b64 exec, exec, s[6:7]
	s_cbranch_execz .LBB52_1414
.LBB52_3464:
	v_mov_b32_e32 v11, 0
	v_cmp_ne_u16_sdwa s[8:9], v2, v11 src0_sel:BYTE_0 src1_sel:DWORD
	s_andn2_b64 s[4:5], s[4:5], exec
	s_and_b64 s[8:9], s[8:9], exec
	s_or_b64 s[4:5], s[4:5], s[8:9]
	s_or_b64 exec, exec, s[6:7]
	s_and_saveexec_b64 s[6:7], s[4:5]
	s_cbranch_execnz .LBB52_1415
	s_branch .LBB52_1416
.LBB52_3465:
	s_movk_i32 s4, 0x80
	v_cmp_eq_u16_sdwa s[12:13], v11, s4 src0_sel:BYTE_0 src1_sel:DWORD
	s_mov_b64 s[4:5], -1
                                        ; implicit-def: $sgpr10
	s_and_saveexec_b64 s[8:9], s[12:13]
; %bb.3466:
	s_mov_b32 s10, 0x7f800001
	s_xor_b64 s[4:5], exec, -1
; %bb.3467:
	s_or_b64 exec, exec, s[8:9]
	s_and_b64 s[4:5], s[4:5], exec
	s_or_saveexec_b64 s[6:7], s[6:7]
	v_mov_b32_e32 v10, s10
	s_xor_b64 exec, exec, s[6:7]
	s_cbranch_execz .LBB52_1418
.LBB52_3468:
	v_mov_b32_e32 v10, 0
	v_cmp_ne_u16_sdwa s[8:9], v11, v10 src0_sel:BYTE_0 src1_sel:DWORD
	s_andn2_b64 s[4:5], s[4:5], exec
	s_and_b64 s[8:9], s[8:9], exec
	s_or_b64 s[4:5], s[4:5], s[8:9]
	s_or_b64 exec, exec, s[6:7]
	s_and_saveexec_b64 s[6:7], s[4:5]
	s_cbranch_execnz .LBB52_1419
	s_branch .LBB52_1420
.LBB52_3469:
	s_movk_i32 s4, 0x80
	v_cmp_eq_u16_sdwa s[12:13], v11, s4 src0_sel:BYTE_0 src1_sel:DWORD
	s_mov_b64 s[4:5], -1
                                        ; implicit-def: $sgpr10
	s_and_saveexec_b64 s[8:9], s[12:13]
; %bb.3470:
	s_mov_b32 s10, 0x7f800001
	s_xor_b64 s[4:5], exec, -1
; %bb.3471:
	s_or_b64 exec, exec, s[8:9]
	s_and_b64 s[4:5], s[4:5], exec
	s_or_saveexec_b64 s[6:7], s[6:7]
	v_mov_b32_e32 v12, s10
	s_xor_b64 exec, exec, s[6:7]
	s_cbranch_execz .LBB52_1422
.LBB52_3472:
	v_mov_b32_e32 v12, 0
	v_cmp_ne_u16_sdwa s[8:9], v11, v12 src0_sel:BYTE_0 src1_sel:DWORD
	s_andn2_b64 s[4:5], s[4:5], exec
	s_and_b64 s[8:9], s[8:9], exec
	s_or_b64 s[4:5], s[4:5], s[8:9]
	s_or_b64 exec, exec, s[6:7]
	s_and_saveexec_b64 s[6:7], s[4:5]
	s_cbranch_execnz .LBB52_1423
	s_branch .LBB52_1424
.LBB52_3473:
	s_movk_i32 s4, 0x80
	v_cmp_eq_u16_e32 vcc, s4, v11
	s_mov_b64 s[4:5], -1
                                        ; implicit-def: $sgpr10
	s_and_saveexec_b64 s[8:9], vcc
; %bb.3474:
	s_mov_b32 s10, 0x7f800001
	s_xor_b64 s[4:5], exec, -1
; %bb.3475:
	s_or_b64 exec, exec, s[8:9]
	s_and_b64 s[4:5], s[4:5], exec
                                        ; implicit-def: $vgpr11
	s_or_saveexec_b64 s[6:7], s[6:7]
	v_mov_b32_e32 v10, s10
	s_xor_b64 exec, exec, s[6:7]
	s_cbranch_execz .LBB52_1426
.LBB52_3476:
	v_cmp_ne_u16_e32 vcc, 0, v11
	s_andn2_b64 s[4:5], s[4:5], exec
	s_and_b64 s[8:9], vcc, exec
	v_mov_b32_e32 v10, 0
	s_or_b64 s[4:5], s[4:5], s[8:9]
	s_or_b64 exec, exec, s[6:7]
	s_and_saveexec_b64 s[6:7], s[4:5]
	s_cbranch_execnz .LBB52_1427
	s_branch .LBB52_1428
.LBB52_3477:
	s_movk_i32 s4, 0x80
	v_cmp_eq_u16_e32 vcc, s4, v11
	s_mov_b64 s[4:5], -1
                                        ; implicit-def: $sgpr10
	s_and_saveexec_b64 s[8:9], vcc
; %bb.3478:
	s_mov_b32 s10, 0x7f800001
	s_xor_b64 s[4:5], exec, -1
; %bb.3479:
	s_or_b64 exec, exec, s[8:9]
	s_and_b64 s[4:5], s[4:5], exec
                                        ; implicit-def: $vgpr11
	s_or_saveexec_b64 s[6:7], s[6:7]
	v_mov_b32_e32 v12, s10
	s_xor_b64 exec, exec, s[6:7]
	s_cbranch_execz .LBB52_1430
.LBB52_3480:
	v_cmp_ne_u16_e32 vcc, 0, v11
	s_andn2_b64 s[4:5], s[4:5], exec
	s_and_b64 s[8:9], vcc, exec
	v_mov_b32_e32 v12, 0
	s_or_b64 s[4:5], s[4:5], s[8:9]
	s_or_b64 exec, exec, s[6:7]
	s_and_saveexec_b64 s[6:7], s[4:5]
	s_cbranch_execnz .LBB52_1431
	s_branch .LBB52_1432
.LBB52_3481:
	s_movk_i32 s4, 0x80
	v_cmp_eq_u16_sdwa s[12:13], v6, s4 src0_sel:BYTE_3 src1_sel:DWORD
	s_mov_b64 s[4:5], -1
                                        ; implicit-def: $sgpr10
	s_and_saveexec_b64 s[8:9], s[12:13]
; %bb.3482:
	s_mov_b32 s10, 0x7f800001
	s_xor_b64 s[4:5], exec, -1
; %bb.3483:
	s_or_b64 exec, exec, s[8:9]
	s_and_b64 s[4:5], s[4:5], exec
	s_or_saveexec_b64 s[6:7], s[6:7]
	v_mov_b32_e32 v10, s10
	s_xor_b64 exec, exec, s[6:7]
	s_cbranch_execz .LBB52_1434
.LBB52_3484:
	v_mov_b32_e32 v10, 0
	v_cmp_ne_u16_sdwa s[8:9], v6, v10 src0_sel:BYTE_3 src1_sel:DWORD
	s_andn2_b64 s[4:5], s[4:5], exec
	s_and_b64 s[8:9], s[8:9], exec
	s_or_b64 s[4:5], s[4:5], s[8:9]
	s_or_b64 exec, exec, s[6:7]
	s_and_saveexec_b64 s[6:7], s[4:5]
	s_cbranch_execnz .LBB52_1435
	s_branch .LBB52_1436
.LBB52_3485:
	s_movk_i32 s4, 0x80
	v_cmp_eq_u16_sdwa s[12:13], v2, s4 src0_sel:BYTE_3 src1_sel:DWORD
	s_mov_b64 s[4:5], -1
                                        ; implicit-def: $sgpr10
	s_and_saveexec_b64 s[8:9], s[12:13]
; %bb.3486:
	s_mov_b32 s10, 0x7f800001
	s_xor_b64 s[4:5], exec, -1
; %bb.3487:
	s_or_b64 exec, exec, s[8:9]
	s_and_b64 s[4:5], s[4:5], exec
	s_or_saveexec_b64 s[6:7], s[6:7]
	v_mov_b32_e32 v6, s10
	s_xor_b64 exec, exec, s[6:7]
	s_cbranch_execz .LBB52_1438
.LBB52_3488:
	v_mov_b32_e32 v6, 0
	v_cmp_ne_u16_sdwa s[8:9], v2, v6 src0_sel:BYTE_3 src1_sel:DWORD
	s_andn2_b64 s[4:5], s[4:5], exec
	s_and_b64 s[8:9], s[8:9], exec
	s_or_b64 s[4:5], s[4:5], s[8:9]
	s_or_b64 exec, exec, s[6:7]
	s_and_saveexec_b64 s[6:7], s[4:5]
	s_cbranch_execnz .LBB52_1439
	s_branch .LBB52_1440
.LBB52_3489:
	s_movk_i32 s4, 0x80
	v_cmp_eq_u16_sdwa s[12:13], v7, s4 src0_sel:BYTE_0 src1_sel:DWORD
	s_mov_b64 s[4:5], -1
                                        ; implicit-def: $sgpr10
	s_and_saveexec_b64 s[8:9], s[12:13]
; %bb.3490:
	s_mov_b32 s10, 0x7f800001
	s_xor_b64 s[4:5], exec, -1
; %bb.3491:
	s_or_b64 exec, exec, s[8:9]
	s_and_b64 s[4:5], s[4:5], exec
	s_or_saveexec_b64 s[6:7], s[6:7]
	v_mov_b32_e32 v2, s10
	s_xor_b64 exec, exec, s[6:7]
	s_cbranch_execz .LBB52_1442
.LBB52_3492:
	v_mov_b32_e32 v2, 0
	v_cmp_ne_u16_sdwa s[8:9], v7, v2 src0_sel:BYTE_0 src1_sel:DWORD
	s_andn2_b64 s[4:5], s[4:5], exec
	s_and_b64 s[8:9], s[8:9], exec
	s_or_b64 s[4:5], s[4:5], s[8:9]
	s_or_b64 exec, exec, s[6:7]
	s_and_saveexec_b64 s[6:7], s[4:5]
	s_cbranch_execnz .LBB52_1443
	s_branch .LBB52_1444
.LBB52_3493:
	s_movk_i32 s4, 0x80
	v_cmp_eq_u16_sdwa s[12:13], v3, s4 src0_sel:BYTE_0 src1_sel:DWORD
	s_mov_b64 s[4:5], -1
                                        ; implicit-def: $sgpr10
	s_and_saveexec_b64 s[8:9], s[12:13]
; %bb.3494:
	s_mov_b32 s10, 0x7f800001
	s_xor_b64 s[4:5], exec, -1
; %bb.3495:
	s_or_b64 exec, exec, s[8:9]
	s_and_b64 s[4:5], s[4:5], exec
	s_or_saveexec_b64 s[6:7], s[6:7]
	v_mov_b32_e32 v6, s10
	s_xor_b64 exec, exec, s[6:7]
	s_cbranch_execz .LBB52_1446
.LBB52_3496:
	v_mov_b32_e32 v6, 0
	v_cmp_ne_u16_sdwa s[8:9], v3, v6 src0_sel:BYTE_0 src1_sel:DWORD
	s_andn2_b64 s[4:5], s[4:5], exec
	s_and_b64 s[8:9], s[8:9], exec
	s_or_b64 s[4:5], s[4:5], s[8:9]
	s_or_b64 exec, exec, s[6:7]
	s_and_saveexec_b64 s[6:7], s[4:5]
	s_cbranch_execnz .LBB52_1447
	s_branch .LBB52_1448
.LBB52_3497:
	s_movk_i32 s4, 0x80
	v_cmp_eq_u16_sdwa s[12:13], v6, s4 src0_sel:BYTE_0 src1_sel:DWORD
	s_mov_b64 s[4:5], -1
                                        ; implicit-def: $sgpr10
	s_and_saveexec_b64 s[8:9], s[12:13]
; %bb.3498:
	s_mov_b32 s10, 0x7f800001
	s_xor_b64 s[4:5], exec, -1
; %bb.3499:
	s_or_b64 exec, exec, s[8:9]
	s_and_b64 s[4:5], s[4:5], exec
	s_or_saveexec_b64 s[6:7], s[6:7]
	v_mov_b32_e32 v2, s10
	s_xor_b64 exec, exec, s[6:7]
	s_cbranch_execz .LBB52_1450
.LBB52_3500:
	v_mov_b32_e32 v2, 0
	v_cmp_ne_u16_sdwa s[8:9], v6, v2 src0_sel:BYTE_0 src1_sel:DWORD
	s_andn2_b64 s[4:5], s[4:5], exec
	s_and_b64 s[8:9], s[8:9], exec
	s_or_b64 s[4:5], s[4:5], s[8:9]
	s_or_b64 exec, exec, s[6:7]
	s_and_saveexec_b64 s[6:7], s[4:5]
	s_cbranch_execnz .LBB52_1451
	s_branch .LBB52_1452
.LBB52_3501:
	s_movk_i32 s4, 0x80
	v_cmp_eq_u16_sdwa s[12:13], v6, s4 src0_sel:BYTE_0 src1_sel:DWORD
	s_mov_b64 s[4:5], -1
                                        ; implicit-def: $sgpr10
	s_and_saveexec_b64 s[8:9], s[12:13]
; %bb.3502:
	s_mov_b32 s10, 0x7f800001
	s_xor_b64 s[4:5], exec, -1
; %bb.3503:
	s_or_b64 exec, exec, s[8:9]
	s_and_b64 s[4:5], s[4:5], exec
	s_or_saveexec_b64 s[6:7], s[6:7]
	v_mov_b32_e32 v10, s10
	s_xor_b64 exec, exec, s[6:7]
	s_cbranch_execz .LBB52_1454
.LBB52_3504:
	v_mov_b32_e32 v10, 0
	v_cmp_ne_u16_sdwa s[8:9], v6, v10 src0_sel:BYTE_0 src1_sel:DWORD
	s_andn2_b64 s[4:5], s[4:5], exec
	s_and_b64 s[8:9], s[8:9], exec
	s_or_b64 s[4:5], s[4:5], s[8:9]
	s_or_b64 exec, exec, s[6:7]
	s_and_saveexec_b64 s[6:7], s[4:5]
	s_cbranch_execnz .LBB52_1455
	s_branch .LBB52_1456
.LBB52_3505:
	s_movk_i32 s4, 0x80
	v_cmp_eq_u16_e32 vcc, s4, v6
	s_mov_b64 s[4:5], -1
                                        ; implicit-def: $sgpr10
	s_and_saveexec_b64 s[8:9], vcc
; %bb.3506:
	s_mov_b32 s10, 0x7f800001
	s_xor_b64 s[4:5], exec, -1
; %bb.3507:
	s_or_b64 exec, exec, s[8:9]
	s_and_b64 s[4:5], s[4:5], exec
                                        ; implicit-def: $vgpr6
	s_or_saveexec_b64 s[6:7], s[6:7]
	v_mov_b32_e32 v2, s10
	s_xor_b64 exec, exec, s[6:7]
	s_cbranch_execz .LBB52_1458
.LBB52_3508:
	v_cmp_ne_u16_e32 vcc, 0, v6
	s_andn2_b64 s[4:5], s[4:5], exec
	s_and_b64 s[8:9], vcc, exec
	v_mov_b32_e32 v2, 0
	s_or_b64 s[4:5], s[4:5], s[8:9]
	s_or_b64 exec, exec, s[6:7]
	s_and_saveexec_b64 s[6:7], s[4:5]
	s_cbranch_execnz .LBB52_1459
	s_branch .LBB52_1460
.LBB52_3509:
	s_movk_i32 s4, 0x80
	v_cmp_eq_u16_e32 vcc, s4, v6
	s_mov_b64 s[4:5], -1
                                        ; implicit-def: $sgpr10
	s_and_saveexec_b64 s[8:9], vcc
; %bb.3510:
	s_mov_b32 s10, 0x7f800001
	s_xor_b64 s[4:5], exec, -1
; %bb.3511:
	s_or_b64 exec, exec, s[8:9]
	s_and_b64 s[4:5], s[4:5], exec
                                        ; implicit-def: $vgpr6
	s_or_saveexec_b64 s[6:7], s[6:7]
	v_mov_b32_e32 v10, s10
	s_xor_b64 exec, exec, s[6:7]
	s_cbranch_execz .LBB52_1462
.LBB52_3512:
	v_cmp_ne_u16_e32 vcc, 0, v6
	s_andn2_b64 s[4:5], s[4:5], exec
	s_and_b64 s[8:9], vcc, exec
	v_mov_b32_e32 v10, 0
	s_or_b64 s[4:5], s[4:5], s[8:9]
	s_or_b64 exec, exec, s[6:7]
	s_and_saveexec_b64 s[6:7], s[4:5]
	s_cbranch_execnz .LBB52_1463
	s_branch .LBB52_1464
.LBB52_3513:
	s_movk_i32 s4, 0x80
	v_cmp_eq_u16_sdwa s[12:13], v7, s4 src0_sel:BYTE_3 src1_sel:DWORD
	s_mov_b64 s[4:5], -1
                                        ; implicit-def: $sgpr10
	s_and_saveexec_b64 s[8:9], s[12:13]
; %bb.3514:
	s_mov_b32 s10, 0x7f800001
	s_xor_b64 s[4:5], exec, -1
; %bb.3515:
	s_or_b64 exec, exec, s[8:9]
	s_and_b64 s[4:5], s[4:5], exec
	s_or_saveexec_b64 s[6:7], s[6:7]
	v_mov_b32_e32 v2, s10
	s_xor_b64 exec, exec, s[6:7]
	s_cbranch_execz .LBB52_1466
.LBB52_3516:
	v_mov_b32_e32 v2, 0
	v_cmp_ne_u16_sdwa s[8:9], v7, v2 src0_sel:BYTE_3 src1_sel:DWORD
	s_andn2_b64 s[4:5], s[4:5], exec
	s_and_b64 s[8:9], s[8:9], exec
	s_or_b64 s[4:5], s[4:5], s[8:9]
	s_or_b64 exec, exec, s[6:7]
	s_and_saveexec_b64 s[6:7], s[4:5]
	s_cbranch_execnz .LBB52_1467
	s_branch .LBB52_1468
.LBB52_3517:
	s_movk_i32 s4, 0x80
	v_cmp_eq_u16_sdwa s[12:13], v3, s4 src0_sel:BYTE_3 src1_sel:DWORD
	s_mov_b64 s[4:5], -1
                                        ; implicit-def: $sgpr10
	s_and_saveexec_b64 s[8:9], s[12:13]
; %bb.3518:
	s_mov_b32 s10, 0x7f800001
	s_xor_b64 s[4:5], exec, -1
; %bb.3519:
	s_or_b64 exec, exec, s[8:9]
	s_and_b64 s[4:5], s[4:5], exec
	s_or_saveexec_b64 s[6:7], s[6:7]
	v_mov_b32_e32 v6, s10
	s_xor_b64 exec, exec, s[6:7]
	s_cbranch_execz .LBB52_1470
.LBB52_3520:
	v_mov_b32_e32 v6, 0
	v_cmp_ne_u16_sdwa s[8:9], v3, v6 src0_sel:BYTE_3 src1_sel:DWORD
	s_andn2_b64 s[4:5], s[4:5], exec
	s_and_b64 s[8:9], s[8:9], exec
	s_or_b64 s[4:5], s[4:5], s[8:9]
	s_or_b64 exec, exec, s[6:7]
	s_and_saveexec_b64 s[6:7], s[4:5]
	s_cbranch_execnz .LBB52_1471
	s_branch .LBB52_1472
.LBB52_3521:
	s_movk_i32 s4, 0x80
	v_cmp_eq_u16_sdwa s[12:13], v8, s4 src0_sel:BYTE_0 src1_sel:DWORD
	s_mov_b64 s[4:5], -1
                                        ; implicit-def: $sgpr10
	s_and_saveexec_b64 s[8:9], s[12:13]
; %bb.3522:
	s_mov_b32 s10, 0x7f800001
	s_xor_b64 s[4:5], exec, -1
; %bb.3523:
	s_or_b64 exec, exec, s[8:9]
	s_and_b64 s[4:5], s[4:5], exec
	s_or_saveexec_b64 s[6:7], s[6:7]
	v_mov_b32_e32 v2, s10
	s_xor_b64 exec, exec, s[6:7]
	s_cbranch_execz .LBB52_1474
.LBB52_3524:
	v_mov_b32_e32 v2, 0
	v_cmp_ne_u16_sdwa s[8:9], v8, v2 src0_sel:BYTE_0 src1_sel:DWORD
	s_andn2_b64 s[4:5], s[4:5], exec
	s_and_b64 s[8:9], s[8:9], exec
	s_or_b64 s[4:5], s[4:5], s[8:9]
	s_or_b64 exec, exec, s[6:7]
	s_and_saveexec_b64 s[6:7], s[4:5]
	s_cbranch_execnz .LBB52_1475
	s_branch .LBB52_1476
.LBB52_3525:
	s_movk_i32 s4, 0x80
	v_cmp_eq_u16_sdwa s[12:13], v4, s4 src0_sel:BYTE_0 src1_sel:DWORD
	s_mov_b64 s[4:5], -1
                                        ; implicit-def: $sgpr10
	s_and_saveexec_b64 s[8:9], s[12:13]
; %bb.3526:
	s_mov_b32 s10, 0x7f800001
	s_xor_b64 s[4:5], exec, -1
; %bb.3527:
	s_or_b64 exec, exec, s[8:9]
	s_and_b64 s[4:5], s[4:5], exec
	s_or_saveexec_b64 s[6:7], s[6:7]
	v_mov_b32_e32 v3, s10
	s_xor_b64 exec, exec, s[6:7]
	s_cbranch_execz .LBB52_1478
.LBB52_3528:
	v_mov_b32_e32 v3, 0
	v_cmp_ne_u16_sdwa s[8:9], v4, v3 src0_sel:BYTE_0 src1_sel:DWORD
	s_andn2_b64 s[4:5], s[4:5], exec
	s_and_b64 s[8:9], s[8:9], exec
	s_or_b64 s[4:5], s[4:5], s[8:9]
	s_or_b64 exec, exec, s[6:7]
	s_and_saveexec_b64 s[6:7], s[4:5]
	s_cbranch_execnz .LBB52_1479
	s_branch .LBB52_1480
.LBB52_3529:
	s_movk_i32 s4, 0x80
	v_cmp_eq_u16_sdwa s[12:13], v3, s4 src0_sel:BYTE_0 src1_sel:DWORD
	s_mov_b64 s[4:5], -1
                                        ; implicit-def: $sgpr10
	s_and_saveexec_b64 s[8:9], s[12:13]
; %bb.3530:
	s_mov_b32 s10, 0x7f800001
	s_xor_b64 s[4:5], exec, -1
; %bb.3531:
	s_or_b64 exec, exec, s[8:9]
	s_and_b64 s[4:5], s[4:5], exec
	s_or_saveexec_b64 s[6:7], s[6:7]
	v_mov_b32_e32 v2, s10
	s_xor_b64 exec, exec, s[6:7]
	s_cbranch_execz .LBB52_1482
.LBB52_3532:
	v_mov_b32_e32 v2, 0
	v_cmp_ne_u16_sdwa s[8:9], v3, v2 src0_sel:BYTE_0 src1_sel:DWORD
	s_andn2_b64 s[4:5], s[4:5], exec
	s_and_b64 s[8:9], s[8:9], exec
	s_or_b64 s[4:5], s[4:5], s[8:9]
	s_or_b64 exec, exec, s[6:7]
	s_and_saveexec_b64 s[6:7], s[4:5]
	s_cbranch_execnz .LBB52_1483
	s_branch .LBB52_1484
.LBB52_3533:
	s_movk_i32 s4, 0x80
	v_cmp_eq_u16_sdwa s[12:13], v3, s4 src0_sel:BYTE_0 src1_sel:DWORD
	s_mov_b64 s[4:5], -1
                                        ; implicit-def: $sgpr10
	s_and_saveexec_b64 s[8:9], s[12:13]
; %bb.3534:
	s_mov_b32 s10, 0x7f800001
	s_xor_b64 s[4:5], exec, -1
; %bb.3535:
	s_or_b64 exec, exec, s[8:9]
	s_and_b64 s[4:5], s[4:5], exec
	s_or_saveexec_b64 s[6:7], s[6:7]
	v_mov_b32_e32 v6, s10
	s_xor_b64 exec, exec, s[6:7]
	s_cbranch_execz .LBB52_1486
.LBB52_3536:
	v_mov_b32_e32 v6, 0
	v_cmp_ne_u16_sdwa s[8:9], v3, v6 src0_sel:BYTE_0 src1_sel:DWORD
	s_andn2_b64 s[4:5], s[4:5], exec
	s_and_b64 s[8:9], s[8:9], exec
	s_or_b64 s[4:5], s[4:5], s[8:9]
	s_or_b64 exec, exec, s[6:7]
	s_and_saveexec_b64 s[6:7], s[4:5]
	s_cbranch_execnz .LBB52_1487
	s_branch .LBB52_1488
.LBB52_3537:
	s_movk_i32 s4, 0x80
	v_cmp_eq_u16_e32 vcc, s4, v3
	s_mov_b64 s[4:5], -1
                                        ; implicit-def: $sgpr10
	s_and_saveexec_b64 s[8:9], vcc
; %bb.3538:
	s_mov_b32 s10, 0x7f800001
	s_xor_b64 s[4:5], exec, -1
; %bb.3539:
	s_or_b64 exec, exec, s[8:9]
	s_and_b64 s[4:5], s[4:5], exec
                                        ; implicit-def: $vgpr3
	s_or_saveexec_b64 s[6:7], s[6:7]
	v_mov_b32_e32 v2, s10
	s_xor_b64 exec, exec, s[6:7]
	s_cbranch_execz .LBB52_1490
.LBB52_3540:
	v_cmp_ne_u16_e32 vcc, 0, v3
	s_andn2_b64 s[4:5], s[4:5], exec
	s_and_b64 s[8:9], vcc, exec
	v_mov_b32_e32 v2, 0
	s_or_b64 s[4:5], s[4:5], s[8:9]
	s_or_b64 exec, exec, s[6:7]
	s_and_saveexec_b64 s[6:7], s[4:5]
	s_cbranch_execnz .LBB52_1491
	s_branch .LBB52_1492
.LBB52_3541:
	s_movk_i32 s4, 0x80
	v_cmp_eq_u16_e32 vcc, s4, v3
	s_mov_b64 s[4:5], -1
                                        ; implicit-def: $sgpr10
	s_and_saveexec_b64 s[8:9], vcc
; %bb.3542:
	s_mov_b32 s10, 0x7f800001
	s_xor_b64 s[4:5], exec, -1
; %bb.3543:
	s_or_b64 exec, exec, s[8:9]
	s_and_b64 s[4:5], s[4:5], exec
                                        ; implicit-def: $vgpr3
	s_or_saveexec_b64 s[6:7], s[6:7]
	v_mov_b32_e32 v6, s10
	s_xor_b64 exec, exec, s[6:7]
	s_cbranch_execz .LBB52_1494
.LBB52_3544:
	v_cmp_ne_u16_e32 vcc, 0, v3
	s_andn2_b64 s[4:5], s[4:5], exec
	s_and_b64 s[8:9], vcc, exec
	v_mov_b32_e32 v6, 0
	s_or_b64 s[4:5], s[4:5], s[8:9]
	s_or_b64 exec, exec, s[6:7]
	s_and_saveexec_b64 s[6:7], s[4:5]
	s_cbranch_execnz .LBB52_1495
	s_branch .LBB52_1496
.LBB52_3545:
	s_movk_i32 s4, 0x80
	v_cmp_eq_u16_sdwa s[12:13], v8, s4 src0_sel:BYTE_3 src1_sel:DWORD
	s_mov_b64 s[4:5], -1
                                        ; implicit-def: $sgpr10
	s_and_saveexec_b64 s[8:9], s[12:13]
; %bb.3546:
	s_mov_b32 s10, 0x7f800001
	s_xor_b64 s[4:5], exec, -1
; %bb.3547:
	s_or_b64 exec, exec, s[8:9]
	s_and_b64 s[4:5], s[4:5], exec
	s_or_saveexec_b64 s[6:7], s[6:7]
	v_mov_b32_e32 v2, s10
	s_xor_b64 exec, exec, s[6:7]
	s_cbranch_execz .LBB52_1498
.LBB52_3548:
	v_mov_b32_e32 v2, 0
	v_cmp_ne_u16_sdwa s[8:9], v8, v2 src0_sel:BYTE_3 src1_sel:DWORD
	s_andn2_b64 s[4:5], s[4:5], exec
	s_and_b64 s[8:9], s[8:9], exec
	s_or_b64 s[4:5], s[4:5], s[8:9]
	s_or_b64 exec, exec, s[6:7]
	s_and_saveexec_b64 s[6:7], s[4:5]
	s_cbranch_execnz .LBB52_1499
	s_branch .LBB52_1500
.LBB52_3549:
	s_movk_i32 s4, 0x80
	v_cmp_eq_u16_sdwa s[12:13], v4, s4 src0_sel:BYTE_3 src1_sel:DWORD
	s_mov_b64 s[4:5], -1
                                        ; implicit-def: $sgpr10
	s_and_saveexec_b64 s[8:9], s[12:13]
; %bb.3550:
	s_mov_b32 s10, 0x7f800001
	s_xor_b64 s[4:5], exec, -1
; %bb.3551:
	s_or_b64 exec, exec, s[8:9]
	s_and_b64 s[4:5], s[4:5], exec
	s_or_saveexec_b64 s[6:7], s[6:7]
	v_mov_b32_e32 v3, s10
	s_xor_b64 exec, exec, s[6:7]
	s_cbranch_execz .LBB52_1502
.LBB52_3552:
	v_mov_b32_e32 v3, 0
	v_cmp_ne_u16_sdwa s[8:9], v4, v3 src0_sel:BYTE_3 src1_sel:DWORD
	s_andn2_b64 s[4:5], s[4:5], exec
	s_and_b64 s[8:9], s[8:9], exec
	s_or_b64 s[4:5], s[4:5], s[8:9]
	s_or_b64 exec, exec, s[6:7]
	s_and_saveexec_b64 s[6:7], s[4:5]
	s_cbranch_execnz .LBB52_1503
	s_branch .LBB52_1504
.LBB52_3553:
	s_movk_i32 s4, 0x80
	v_cmp_eq_u16_sdwa s[12:13], v9, s4 src0_sel:BYTE_0 src1_sel:DWORD
	s_mov_b64 s[4:5], -1
                                        ; implicit-def: $sgpr10
	s_and_saveexec_b64 s[8:9], s[12:13]
; %bb.3554:
	s_mov_b32 s10, 0x7f800001
	s_xor_b64 s[4:5], exec, -1
; %bb.3555:
	s_or_b64 exec, exec, s[8:9]
	s_and_b64 s[4:5], s[4:5], exec
	s_or_saveexec_b64 s[6:7], s[6:7]
	v_mov_b32_e32 v2, s10
	s_xor_b64 exec, exec, s[6:7]
	s_cbranch_execz .LBB52_1506
.LBB52_3556:
	v_mov_b32_e32 v2, 0
	v_cmp_ne_u16_sdwa s[8:9], v9, v2 src0_sel:BYTE_0 src1_sel:DWORD
	s_andn2_b64 s[4:5], s[4:5], exec
	s_and_b64 s[8:9], s[8:9], exec
	s_or_b64 s[4:5], s[4:5], s[8:9]
	s_or_b64 exec, exec, s[6:7]
	s_and_saveexec_b64 s[6:7], s[4:5]
	s_cbranch_execnz .LBB52_1507
	s_branch .LBB52_1508
.LBB52_3557:
	s_movk_i32 s4, 0x80
	v_cmp_eq_u16_sdwa s[12:13], v5, s4 src0_sel:BYTE_0 src1_sel:DWORD
	s_mov_b64 s[4:5], -1
                                        ; implicit-def: $sgpr10
	s_and_saveexec_b64 s[8:9], s[12:13]
; %bb.3558:
	s_mov_b32 s10, 0x7f800001
	s_xor_b64 s[4:5], exec, -1
; %bb.3559:
	s_or_b64 exec, exec, s[8:9]
	s_and_b64 s[4:5], s[4:5], exec
	s_or_saveexec_b64 s[6:7], s[6:7]
	v_mov_b32_e32 v3, s10
	s_xor_b64 exec, exec, s[6:7]
	s_cbranch_execz .LBB52_1510
.LBB52_3560:
	v_mov_b32_e32 v3, 0
	v_cmp_ne_u16_sdwa s[8:9], v5, v3 src0_sel:BYTE_0 src1_sel:DWORD
	s_andn2_b64 s[4:5], s[4:5], exec
	s_and_b64 s[8:9], s[8:9], exec
	s_or_b64 s[4:5], s[4:5], s[8:9]
	s_or_b64 exec, exec, s[6:7]
	s_and_saveexec_b64 s[6:7], s[4:5]
	s_cbranch_execnz .LBB52_1511
	s_branch .LBB52_1512
.LBB52_3561:
	s_movk_i32 s4, 0x80
	v_cmp_eq_u16_sdwa s[12:13], v3, s4 src0_sel:BYTE_0 src1_sel:DWORD
	s_mov_b64 s[4:5], -1
                                        ; implicit-def: $sgpr10
	s_and_saveexec_b64 s[8:9], s[12:13]
; %bb.3562:
	s_mov_b32 s10, 0x7f800001
	s_xor_b64 s[4:5], exec, -1
; %bb.3563:
	s_or_b64 exec, exec, s[8:9]
	s_and_b64 s[4:5], s[4:5], exec
	s_or_saveexec_b64 s[6:7], s[6:7]
	v_mov_b32_e32 v2, s10
	s_xor_b64 exec, exec, s[6:7]
	s_cbranch_execz .LBB52_1514
.LBB52_3564:
	v_mov_b32_e32 v2, 0
	v_cmp_ne_u16_sdwa s[8:9], v3, v2 src0_sel:BYTE_0 src1_sel:DWORD
	s_andn2_b64 s[4:5], s[4:5], exec
	s_and_b64 s[8:9], s[8:9], exec
	s_or_b64 s[4:5], s[4:5], s[8:9]
	s_or_b64 exec, exec, s[6:7]
	s_and_saveexec_b64 s[6:7], s[4:5]
	s_cbranch_execnz .LBB52_1515
	s_branch .LBB52_1516
.LBB52_3565:
	s_movk_i32 s4, 0x80
	v_cmp_eq_u16_sdwa s[12:13], v3, s4 src0_sel:BYTE_0 src1_sel:DWORD
	s_mov_b64 s[4:5], -1
                                        ; implicit-def: $sgpr10
	s_and_saveexec_b64 s[8:9], s[12:13]
; %bb.3566:
	s_mov_b32 s10, 0x7f800001
	s_xor_b64 s[4:5], exec, -1
; %bb.3567:
	s_or_b64 exec, exec, s[8:9]
	s_and_b64 s[4:5], s[4:5], exec
	s_or_saveexec_b64 s[6:7], s[6:7]
	v_mov_b32_e32 v4, s10
	s_xor_b64 exec, exec, s[6:7]
	s_cbranch_execz .LBB52_1518
.LBB52_3568:
	v_mov_b32_e32 v4, 0
	v_cmp_ne_u16_sdwa s[8:9], v3, v4 src0_sel:BYTE_0 src1_sel:DWORD
	s_andn2_b64 s[4:5], s[4:5], exec
	s_and_b64 s[8:9], s[8:9], exec
	s_or_b64 s[4:5], s[4:5], s[8:9]
	s_or_b64 exec, exec, s[6:7]
	s_and_saveexec_b64 s[6:7], s[4:5]
	s_cbranch_execnz .LBB52_1519
	s_branch .LBB52_1520
.LBB52_3569:
	s_movk_i32 s4, 0x80
	v_cmp_eq_u16_e32 vcc, s4, v3
	s_mov_b64 s[4:5], -1
                                        ; implicit-def: $sgpr10
	s_and_saveexec_b64 s[8:9], vcc
; %bb.3570:
	s_mov_b32 s10, 0x7f800001
	s_xor_b64 s[4:5], exec, -1
; %bb.3571:
	s_or_b64 exec, exec, s[8:9]
	s_and_b64 s[4:5], s[4:5], exec
                                        ; implicit-def: $vgpr3
	s_or_saveexec_b64 s[6:7], s[6:7]
	v_mov_b32_e32 v2, s10
	s_xor_b64 exec, exec, s[6:7]
	s_cbranch_execz .LBB52_1522
.LBB52_3572:
	v_cmp_ne_u16_e32 vcc, 0, v3
	s_andn2_b64 s[4:5], s[4:5], exec
	s_and_b64 s[8:9], vcc, exec
	v_mov_b32_e32 v2, 0
	s_or_b64 s[4:5], s[4:5], s[8:9]
	s_or_b64 exec, exec, s[6:7]
	s_and_saveexec_b64 s[6:7], s[4:5]
	s_cbranch_execnz .LBB52_1523
	s_branch .LBB52_1524
.LBB52_3573:
	s_movk_i32 s4, 0x80
	v_cmp_eq_u16_e32 vcc, s4, v3
	s_mov_b64 s[4:5], -1
                                        ; implicit-def: $sgpr10
	s_and_saveexec_b64 s[8:9], vcc
; %bb.3574:
	s_mov_b32 s10, 0x7f800001
	s_xor_b64 s[4:5], exec, -1
; %bb.3575:
	s_or_b64 exec, exec, s[8:9]
	s_and_b64 s[4:5], s[4:5], exec
                                        ; implicit-def: $vgpr3
	s_or_saveexec_b64 s[6:7], s[6:7]
	v_mov_b32_e32 v4, s10
	s_xor_b64 exec, exec, s[6:7]
	s_cbranch_execz .LBB52_1526
.LBB52_3576:
	v_cmp_ne_u16_e32 vcc, 0, v3
	s_andn2_b64 s[4:5], s[4:5], exec
	s_and_b64 s[8:9], vcc, exec
	v_mov_b32_e32 v4, 0
	s_or_b64 s[4:5], s[4:5], s[8:9]
	s_or_b64 exec, exec, s[6:7]
	s_and_saveexec_b64 s[6:7], s[4:5]
	s_cbranch_execnz .LBB52_1527
	s_branch .LBB52_1528
.LBB52_3577:
	s_movk_i32 s4, 0x80
	v_cmp_eq_u16_sdwa s[12:13], v9, s4 src0_sel:BYTE_3 src1_sel:DWORD
	s_mov_b64 s[4:5], -1
                                        ; implicit-def: $sgpr10
	s_and_saveexec_b64 s[8:9], s[12:13]
; %bb.3578:
	s_mov_b32 s10, 0x7f800001
	s_xor_b64 s[4:5], exec, -1
; %bb.3579:
	s_or_b64 exec, exec, s[8:9]
	s_and_b64 s[4:5], s[4:5], exec
	s_or_saveexec_b64 s[6:7], s[6:7]
	v_mov_b32_e32 v2, s10
	s_xor_b64 exec, exec, s[6:7]
	s_cbranch_execz .LBB52_1530
.LBB52_3580:
	v_mov_b32_e32 v2, 0
	v_cmp_ne_u16_sdwa s[8:9], v9, v2 src0_sel:BYTE_3 src1_sel:DWORD
	s_andn2_b64 s[4:5], s[4:5], exec
	s_and_b64 s[8:9], s[8:9], exec
	s_or_b64 s[4:5], s[4:5], s[8:9]
	s_or_b64 exec, exec, s[6:7]
	s_and_saveexec_b64 s[6:7], s[4:5]
	s_cbranch_execnz .LBB52_1531
	s_branch .LBB52_1532
.LBB52_3581:
	s_movk_i32 s4, 0x80
	v_cmp_eq_u16_sdwa s[12:13], v5, s4 src0_sel:BYTE_3 src1_sel:DWORD
	s_mov_b64 s[4:5], -1
                                        ; implicit-def: $sgpr10
	s_and_saveexec_b64 s[8:9], s[12:13]
; %bb.3582:
	s_mov_b32 s10, 0x7f800001
	s_xor_b64 s[4:5], exec, -1
; %bb.3583:
	s_or_b64 exec, exec, s[8:9]
	s_and_b64 s[4:5], s[4:5], exec
	s_or_saveexec_b64 s[6:7], s[6:7]
	v_mov_b32_e32 v3, s10
	s_xor_b64 exec, exec, s[6:7]
	s_cbranch_execz .LBB52_1534
.LBB52_3584:
	v_mov_b32_e32 v3, 0
	v_cmp_ne_u16_sdwa s[8:9], v5, v3 src0_sel:BYTE_3 src1_sel:DWORD
	s_andn2_b64 s[4:5], s[4:5], exec
	s_and_b64 s[8:9], s[8:9], exec
	s_or_b64 s[4:5], s[4:5], s[8:9]
	s_or_b64 exec, exec, s[6:7]
	s_and_saveexec_b64 s[6:7], s[4:5]
	s_cbranch_execnz .LBB52_1535
	s_branch .LBB52_1536
.LBB52_3585:
	s_movk_i32 s4, 0x80
	v_cmp_eq_u16_sdwa s[12:13], v14, s4 src0_sel:BYTE_0 src1_sel:DWORD
	s_mov_b64 s[4:5], -1
                                        ; implicit-def: $sgpr10
	s_and_saveexec_b64 s[8:9], s[12:13]
; %bb.3586:
	s_mov_b32 s10, 0x7f800001
	s_xor_b64 s[4:5], exec, -1
; %bb.3587:
	s_or_b64 exec, exec, s[8:9]
	s_and_b64 s[4:5], s[4:5], exec
	s_or_saveexec_b64 s[6:7], s[6:7]
	v_mov_b32_e32 v20, s10
	s_xor_b64 exec, exec, s[6:7]
	s_cbranch_execz .LBB52_1538
.LBB52_3588:
	v_mov_b32_e32 v20, 0
	v_cmp_ne_u16_sdwa s[8:9], v14, v20 src0_sel:BYTE_0 src1_sel:DWORD
	s_andn2_b64 s[4:5], s[4:5], exec
	s_and_b64 s[8:9], s[8:9], exec
	s_or_b64 s[4:5], s[4:5], s[8:9]
	s_or_b64 exec, exec, s[6:7]
	s_and_saveexec_b64 s[6:7], s[4:5]
	s_cbranch_execnz .LBB52_1539
	s_branch .LBB52_1540
.LBB52_3589:
	s_movk_i32 s4, 0x80
	v_cmp_eq_u16_sdwa s[12:13], v10, s4 src0_sel:BYTE_0 src1_sel:DWORD
	s_mov_b64 s[4:5], -1
                                        ; implicit-def: $sgpr10
	s_and_saveexec_b64 s[8:9], s[12:13]
; %bb.3590:
	s_mov_b32 s10, 0x7f800001
	s_xor_b64 s[4:5], exec, -1
; %bb.3591:
	s_or_b64 exec, exec, s[8:9]
	s_and_b64 s[4:5], s[4:5], exec
	s_or_saveexec_b64 s[6:7], s[6:7]
	v_mov_b32_e32 v21, s10
	s_xor_b64 exec, exec, s[6:7]
	s_cbranch_execz .LBB52_1542
.LBB52_3592:
	v_mov_b32_e32 v21, 0
	v_cmp_ne_u16_sdwa s[8:9], v10, v21 src0_sel:BYTE_0 src1_sel:DWORD
	s_andn2_b64 s[4:5], s[4:5], exec
	s_and_b64 s[8:9], s[8:9], exec
	s_or_b64 s[4:5], s[4:5], s[8:9]
	s_or_b64 exec, exec, s[6:7]
	s_and_saveexec_b64 s[6:7], s[4:5]
	s_cbranch_execnz .LBB52_1543
	s_branch .LBB52_1544
.LBB52_3593:
	s_movk_i32 s4, 0x80
	v_cmp_eq_u16_sdwa s[12:13], v21, s4 src0_sel:BYTE_0 src1_sel:DWORD
	s_mov_b64 s[4:5], -1
                                        ; implicit-def: $sgpr10
	s_and_saveexec_b64 s[8:9], s[12:13]
; %bb.3594:
	s_mov_b32 s10, 0x7f800001
	s_xor_b64 s[4:5], exec, -1
; %bb.3595:
	s_or_b64 exec, exec, s[8:9]
	s_and_b64 s[4:5], s[4:5], exec
	s_or_saveexec_b64 s[6:7], s[6:7]
	v_mov_b32_e32 v20, s10
	s_xor_b64 exec, exec, s[6:7]
	s_cbranch_execz .LBB52_1546
.LBB52_3596:
	v_mov_b32_e32 v20, 0
	v_cmp_ne_u16_sdwa s[8:9], v21, v20 src0_sel:BYTE_0 src1_sel:DWORD
	s_andn2_b64 s[4:5], s[4:5], exec
	s_and_b64 s[8:9], s[8:9], exec
	s_or_b64 s[4:5], s[4:5], s[8:9]
	s_or_b64 exec, exec, s[6:7]
	s_and_saveexec_b64 s[6:7], s[4:5]
	s_cbranch_execnz .LBB52_1547
	s_branch .LBB52_1548
.LBB52_3597:
	s_movk_i32 s4, 0x80
	v_cmp_eq_u16_sdwa s[12:13], v21, s4 src0_sel:BYTE_0 src1_sel:DWORD
	s_mov_b64 s[4:5], -1
                                        ; implicit-def: $sgpr10
	s_and_saveexec_b64 s[8:9], s[12:13]
; %bb.3598:
	s_mov_b32 s10, 0x7f800001
	s_xor_b64 s[4:5], exec, -1
; %bb.3599:
	s_or_b64 exec, exec, s[8:9]
	s_and_b64 s[4:5], s[4:5], exec
	s_or_saveexec_b64 s[6:7], s[6:7]
	v_mov_b32_e32 v22, s10
	s_xor_b64 exec, exec, s[6:7]
	s_cbranch_execz .LBB52_1550
.LBB52_3600:
	v_mov_b32_e32 v22, 0
	v_cmp_ne_u16_sdwa s[8:9], v21, v22 src0_sel:BYTE_0 src1_sel:DWORD
	s_andn2_b64 s[4:5], s[4:5], exec
	s_and_b64 s[8:9], s[8:9], exec
	s_or_b64 s[4:5], s[4:5], s[8:9]
	s_or_b64 exec, exec, s[6:7]
	s_and_saveexec_b64 s[6:7], s[4:5]
	s_cbranch_execnz .LBB52_1551
	s_branch .LBB52_1552
.LBB52_3601:
	s_movk_i32 s4, 0x80
	v_cmp_eq_u16_e32 vcc, s4, v21
	s_mov_b64 s[4:5], -1
                                        ; implicit-def: $sgpr10
	s_and_saveexec_b64 s[8:9], vcc
; %bb.3602:
	s_mov_b32 s10, 0x7f800001
	s_xor_b64 s[4:5], exec, -1
; %bb.3603:
	s_or_b64 exec, exec, s[8:9]
	s_and_b64 s[4:5], s[4:5], exec
                                        ; implicit-def: $vgpr21
	s_or_saveexec_b64 s[6:7], s[6:7]
	v_mov_b32_e32 v20, s10
	s_xor_b64 exec, exec, s[6:7]
	s_cbranch_execz .LBB52_1554
.LBB52_3604:
	v_cmp_ne_u16_e32 vcc, 0, v21
	s_andn2_b64 s[4:5], s[4:5], exec
	s_and_b64 s[8:9], vcc, exec
	v_mov_b32_e32 v20, 0
	s_or_b64 s[4:5], s[4:5], s[8:9]
	s_or_b64 exec, exec, s[6:7]
	s_and_saveexec_b64 s[6:7], s[4:5]
	s_cbranch_execnz .LBB52_1555
	s_branch .LBB52_1556
.LBB52_3605:
	s_movk_i32 s4, 0x80
	v_cmp_eq_u16_e32 vcc, s4, v21
	s_mov_b64 s[4:5], -1
                                        ; implicit-def: $sgpr10
	s_and_saveexec_b64 s[8:9], vcc
; %bb.3606:
	s_mov_b32 s10, 0x7f800001
	s_xor_b64 s[4:5], exec, -1
; %bb.3607:
	s_or_b64 exec, exec, s[8:9]
	s_and_b64 s[4:5], s[4:5], exec
                                        ; implicit-def: $vgpr21
	s_or_saveexec_b64 s[6:7], s[6:7]
	v_mov_b32_e32 v22, s10
	s_xor_b64 exec, exec, s[6:7]
	s_cbranch_execz .LBB52_1558
.LBB52_3608:
	v_cmp_ne_u16_e32 vcc, 0, v21
	s_andn2_b64 s[4:5], s[4:5], exec
	s_and_b64 s[8:9], vcc, exec
	v_mov_b32_e32 v22, 0
	s_or_b64 s[4:5], s[4:5], s[8:9]
	s_or_b64 exec, exec, s[6:7]
	s_and_saveexec_b64 s[6:7], s[4:5]
	s_cbranch_execnz .LBB52_1559
	s_branch .LBB52_1560
.LBB52_3609:
	s_movk_i32 s4, 0x80
	v_cmp_eq_u16_sdwa s[12:13], v14, s4 src0_sel:BYTE_3 src1_sel:DWORD
	s_mov_b64 s[4:5], -1
                                        ; implicit-def: $sgpr10
	s_and_saveexec_b64 s[8:9], s[12:13]
; %bb.3610:
	s_mov_b32 s10, 0x7f800001
	s_xor_b64 s[4:5], exec, -1
; %bb.3611:
	s_or_b64 exec, exec, s[8:9]
	s_and_b64 s[4:5], s[4:5], exec
	s_or_saveexec_b64 s[6:7], s[6:7]
	v_mov_b32_e32 v20, s10
	s_xor_b64 exec, exec, s[6:7]
	s_cbranch_execz .LBB52_1562
.LBB52_3612:
	v_mov_b32_e32 v20, 0
	v_cmp_ne_u16_sdwa s[8:9], v14, v20 src0_sel:BYTE_3 src1_sel:DWORD
	s_andn2_b64 s[4:5], s[4:5], exec
	s_and_b64 s[8:9], s[8:9], exec
	s_or_b64 s[4:5], s[4:5], s[8:9]
	s_or_b64 exec, exec, s[6:7]
	s_and_saveexec_b64 s[6:7], s[4:5]
	s_cbranch_execnz .LBB52_1563
	s_branch .LBB52_1564
.LBB52_3613:
	s_movk_i32 s4, 0x80
	v_cmp_eq_u16_sdwa s[12:13], v10, s4 src0_sel:BYTE_3 src1_sel:DWORD
	s_mov_b64 s[4:5], -1
                                        ; implicit-def: $sgpr10
	s_and_saveexec_b64 s[8:9], s[12:13]
; %bb.3614:
	s_mov_b32 s10, 0x7f800001
	s_xor_b64 s[4:5], exec, -1
; %bb.3615:
	s_or_b64 exec, exec, s[8:9]
	s_and_b64 s[4:5], s[4:5], exec
	s_or_saveexec_b64 s[6:7], s[6:7]
	v_mov_b32_e32 v14, s10
	s_xor_b64 exec, exec, s[6:7]
	s_cbranch_execz .LBB52_1566
.LBB52_3616:
	v_mov_b32_e32 v14, 0
	v_cmp_ne_u16_sdwa s[8:9], v10, v14 src0_sel:BYTE_3 src1_sel:DWORD
	s_andn2_b64 s[4:5], s[4:5], exec
	s_and_b64 s[8:9], s[8:9], exec
	s_or_b64 s[4:5], s[4:5], s[8:9]
	s_or_b64 exec, exec, s[6:7]
	s_and_saveexec_b64 s[6:7], s[4:5]
	s_cbranch_execnz .LBB52_1567
	s_branch .LBB52_1568
.LBB52_3617:
	s_movk_i32 s4, 0x80
	v_cmp_eq_u16_sdwa s[12:13], v15, s4 src0_sel:BYTE_0 src1_sel:DWORD
	s_mov_b64 s[4:5], -1
                                        ; implicit-def: $sgpr10
	s_and_saveexec_b64 s[8:9], s[12:13]
; %bb.3618:
	s_mov_b32 s10, 0x7f800001
	s_xor_b64 s[4:5], exec, -1
; %bb.3619:
	s_or_b64 exec, exec, s[8:9]
	s_and_b64 s[4:5], s[4:5], exec
	s_or_saveexec_b64 s[6:7], s[6:7]
	v_mov_b32_e32 v10, s10
	s_xor_b64 exec, exec, s[6:7]
	s_cbranch_execz .LBB52_1570
.LBB52_3620:
	v_mov_b32_e32 v10, 0
	v_cmp_ne_u16_sdwa s[8:9], v15, v10 src0_sel:BYTE_0 src1_sel:DWORD
	s_andn2_b64 s[4:5], s[4:5], exec
	s_and_b64 s[8:9], s[8:9], exec
	s_or_b64 s[4:5], s[4:5], s[8:9]
	s_or_b64 exec, exec, s[6:7]
	s_and_saveexec_b64 s[6:7], s[4:5]
	s_cbranch_execnz .LBB52_1571
	s_branch .LBB52_1572
.LBB52_3621:
	s_movk_i32 s4, 0x80
	v_cmp_eq_u16_sdwa s[12:13], v11, s4 src0_sel:BYTE_0 src1_sel:DWORD
	s_mov_b64 s[4:5], -1
                                        ; implicit-def: $sgpr10
	s_and_saveexec_b64 s[8:9], s[12:13]
; %bb.3622:
	s_mov_b32 s10, 0x7f800001
	s_xor_b64 s[4:5], exec, -1
; %bb.3623:
	s_or_b64 exec, exec, s[8:9]
	s_and_b64 s[4:5], s[4:5], exec
	s_or_saveexec_b64 s[6:7], s[6:7]
	v_mov_b32_e32 v14, s10
	s_xor_b64 exec, exec, s[6:7]
	s_cbranch_execz .LBB52_1574
.LBB52_3624:
	v_mov_b32_e32 v14, 0
	v_cmp_ne_u16_sdwa s[8:9], v11, v14 src0_sel:BYTE_0 src1_sel:DWORD
	s_andn2_b64 s[4:5], s[4:5], exec
	s_and_b64 s[8:9], s[8:9], exec
	s_or_b64 s[4:5], s[4:5], s[8:9]
	s_or_b64 exec, exec, s[6:7]
	s_and_saveexec_b64 s[6:7], s[4:5]
	s_cbranch_execnz .LBB52_1575
	s_branch .LBB52_1576
.LBB52_3625:
	s_movk_i32 s4, 0x80
	v_cmp_eq_u16_sdwa s[12:13], v14, s4 src0_sel:BYTE_0 src1_sel:DWORD
	s_mov_b64 s[4:5], -1
                                        ; implicit-def: $sgpr10
	s_and_saveexec_b64 s[8:9], s[12:13]
; %bb.3626:
	s_mov_b32 s10, 0x7f800001
	s_xor_b64 s[4:5], exec, -1
; %bb.3627:
	s_or_b64 exec, exec, s[8:9]
	s_and_b64 s[4:5], s[4:5], exec
	s_or_saveexec_b64 s[6:7], s[6:7]
	v_mov_b32_e32 v10, s10
	s_xor_b64 exec, exec, s[6:7]
	s_cbranch_execz .LBB52_1578
.LBB52_3628:
	v_mov_b32_e32 v10, 0
	v_cmp_ne_u16_sdwa s[8:9], v14, v10 src0_sel:BYTE_0 src1_sel:DWORD
	s_andn2_b64 s[4:5], s[4:5], exec
	s_and_b64 s[8:9], s[8:9], exec
	s_or_b64 s[4:5], s[4:5], s[8:9]
	s_or_b64 exec, exec, s[6:7]
	s_and_saveexec_b64 s[6:7], s[4:5]
	s_cbranch_execnz .LBB52_1579
	s_branch .LBB52_1580
.LBB52_3629:
	s_movk_i32 s4, 0x80
	v_cmp_eq_u16_sdwa s[12:13], v14, s4 src0_sel:BYTE_0 src1_sel:DWORD
	s_mov_b64 s[4:5], -1
                                        ; implicit-def: $sgpr10
	s_and_saveexec_b64 s[8:9], s[12:13]
; %bb.3630:
	s_mov_b32 s10, 0x7f800001
	s_xor_b64 s[4:5], exec, -1
; %bb.3631:
	s_or_b64 exec, exec, s[8:9]
	s_and_b64 s[4:5], s[4:5], exec
	s_or_saveexec_b64 s[6:7], s[6:7]
	v_mov_b32_e32 v20, s10
	s_xor_b64 exec, exec, s[6:7]
	s_cbranch_execz .LBB52_1582
.LBB52_3632:
	v_mov_b32_e32 v20, 0
	v_cmp_ne_u16_sdwa s[8:9], v14, v20 src0_sel:BYTE_0 src1_sel:DWORD
	s_andn2_b64 s[4:5], s[4:5], exec
	s_and_b64 s[8:9], s[8:9], exec
	s_or_b64 s[4:5], s[4:5], s[8:9]
	s_or_b64 exec, exec, s[6:7]
	s_and_saveexec_b64 s[6:7], s[4:5]
	s_cbranch_execnz .LBB52_1583
	s_branch .LBB52_1584
.LBB52_3633:
	s_movk_i32 s4, 0x80
	v_cmp_eq_u16_e32 vcc, s4, v14
	s_mov_b64 s[4:5], -1
                                        ; implicit-def: $sgpr10
	s_and_saveexec_b64 s[8:9], vcc
; %bb.3634:
	s_mov_b32 s10, 0x7f800001
	s_xor_b64 s[4:5], exec, -1
; %bb.3635:
	s_or_b64 exec, exec, s[8:9]
	s_and_b64 s[4:5], s[4:5], exec
                                        ; implicit-def: $vgpr14
	s_or_saveexec_b64 s[6:7], s[6:7]
	v_mov_b32_e32 v10, s10
	s_xor_b64 exec, exec, s[6:7]
	s_cbranch_execz .LBB52_1586
.LBB52_3636:
	v_cmp_ne_u16_e32 vcc, 0, v14
	s_andn2_b64 s[4:5], s[4:5], exec
	s_and_b64 s[8:9], vcc, exec
	v_mov_b32_e32 v10, 0
	s_or_b64 s[4:5], s[4:5], s[8:9]
	s_or_b64 exec, exec, s[6:7]
	s_and_saveexec_b64 s[6:7], s[4:5]
	s_cbranch_execnz .LBB52_1587
	s_branch .LBB52_1588
.LBB52_3637:
	s_movk_i32 s4, 0x80
	v_cmp_eq_u16_e32 vcc, s4, v14
	s_mov_b64 s[4:5], -1
                                        ; implicit-def: $sgpr10
	s_and_saveexec_b64 s[8:9], vcc
; %bb.3638:
	s_mov_b32 s10, 0x7f800001
	s_xor_b64 s[4:5], exec, -1
; %bb.3639:
	s_or_b64 exec, exec, s[8:9]
	s_and_b64 s[4:5], s[4:5], exec
                                        ; implicit-def: $vgpr14
	s_or_saveexec_b64 s[6:7], s[6:7]
	v_mov_b32_e32 v20, s10
	s_xor_b64 exec, exec, s[6:7]
	s_cbranch_execz .LBB52_1590
.LBB52_3640:
	v_cmp_ne_u16_e32 vcc, 0, v14
	s_andn2_b64 s[4:5], s[4:5], exec
	s_and_b64 s[8:9], vcc, exec
	v_mov_b32_e32 v20, 0
	s_or_b64 s[4:5], s[4:5], s[8:9]
	s_or_b64 exec, exec, s[6:7]
	s_and_saveexec_b64 s[6:7], s[4:5]
	s_cbranch_execnz .LBB52_1591
	s_branch .LBB52_1592
.LBB52_3641:
	s_movk_i32 s4, 0x80
	v_cmp_eq_u16_sdwa s[12:13], v15, s4 src0_sel:BYTE_3 src1_sel:DWORD
	s_mov_b64 s[4:5], -1
                                        ; implicit-def: $sgpr10
	s_and_saveexec_b64 s[8:9], s[12:13]
; %bb.3642:
	s_mov_b32 s10, 0x7f800001
	s_xor_b64 s[4:5], exec, -1
; %bb.3643:
	s_or_b64 exec, exec, s[8:9]
	s_and_b64 s[4:5], s[4:5], exec
	s_or_saveexec_b64 s[6:7], s[6:7]
	v_mov_b32_e32 v10, s10
	s_xor_b64 exec, exec, s[6:7]
	s_cbranch_execz .LBB52_1594
.LBB52_3644:
	v_mov_b32_e32 v10, 0
	v_cmp_ne_u16_sdwa s[8:9], v15, v10 src0_sel:BYTE_3 src1_sel:DWORD
	s_andn2_b64 s[4:5], s[4:5], exec
	s_and_b64 s[8:9], s[8:9], exec
	s_or_b64 s[4:5], s[4:5], s[8:9]
	s_or_b64 exec, exec, s[6:7]
	s_and_saveexec_b64 s[6:7], s[4:5]
	s_cbranch_execnz .LBB52_1595
	s_branch .LBB52_1596
.LBB52_3645:
	s_movk_i32 s4, 0x80
	v_cmp_eq_u16_sdwa s[12:13], v11, s4 src0_sel:BYTE_3 src1_sel:DWORD
	s_mov_b64 s[4:5], -1
                                        ; implicit-def: $sgpr10
	s_and_saveexec_b64 s[8:9], s[12:13]
; %bb.3646:
	s_mov_b32 s10, 0x7f800001
	s_xor_b64 s[4:5], exec, -1
; %bb.3647:
	s_or_b64 exec, exec, s[8:9]
	s_and_b64 s[4:5], s[4:5], exec
	s_or_saveexec_b64 s[6:7], s[6:7]
	v_mov_b32_e32 v14, s10
	s_xor_b64 exec, exec, s[6:7]
	s_cbranch_execz .LBB52_1598
.LBB52_3648:
	v_mov_b32_e32 v14, 0
	v_cmp_ne_u16_sdwa s[8:9], v11, v14 src0_sel:BYTE_3 src1_sel:DWORD
	s_andn2_b64 s[4:5], s[4:5], exec
	s_and_b64 s[8:9], s[8:9], exec
	s_or_b64 s[4:5], s[4:5], s[8:9]
	s_or_b64 exec, exec, s[6:7]
	s_and_saveexec_b64 s[6:7], s[4:5]
	s_cbranch_execnz .LBB52_1599
	s_branch .LBB52_1600
.LBB52_3649:
	s_movk_i32 s4, 0x80
	v_cmp_eq_u16_sdwa s[12:13], v16, s4 src0_sel:BYTE_0 src1_sel:DWORD
	s_mov_b64 s[4:5], -1
                                        ; implicit-def: $sgpr10
	s_and_saveexec_b64 s[8:9], s[12:13]
; %bb.3650:
	s_mov_b32 s10, 0x7f800001
	s_xor_b64 s[4:5], exec, -1
; %bb.3651:
	s_or_b64 exec, exec, s[8:9]
	s_and_b64 s[4:5], s[4:5], exec
	s_or_saveexec_b64 s[6:7], s[6:7]
	v_mov_b32_e32 v10, s10
	s_xor_b64 exec, exec, s[6:7]
	s_cbranch_execz .LBB52_1602
.LBB52_3652:
	v_mov_b32_e32 v10, 0
	v_cmp_ne_u16_sdwa s[8:9], v16, v10 src0_sel:BYTE_0 src1_sel:DWORD
	s_andn2_b64 s[4:5], s[4:5], exec
	s_and_b64 s[8:9], s[8:9], exec
	s_or_b64 s[4:5], s[4:5], s[8:9]
	s_or_b64 exec, exec, s[6:7]
	s_and_saveexec_b64 s[6:7], s[4:5]
	s_cbranch_execnz .LBB52_1603
	s_branch .LBB52_1604
.LBB52_3653:
	s_movk_i32 s4, 0x80
	v_cmp_eq_u16_sdwa s[12:13], v12, s4 src0_sel:BYTE_0 src1_sel:DWORD
	s_mov_b64 s[4:5], -1
                                        ; implicit-def: $sgpr10
	s_and_saveexec_b64 s[8:9], s[12:13]
; %bb.3654:
	s_mov_b32 s10, 0x7f800001
	s_xor_b64 s[4:5], exec, -1
; %bb.3655:
	s_or_b64 exec, exec, s[8:9]
	s_and_b64 s[4:5], s[4:5], exec
	s_or_saveexec_b64 s[6:7], s[6:7]
	v_mov_b32_e32 v11, s10
	s_xor_b64 exec, exec, s[6:7]
	s_cbranch_execz .LBB52_1606
.LBB52_3656:
	v_mov_b32_e32 v11, 0
	v_cmp_ne_u16_sdwa s[8:9], v12, v11 src0_sel:BYTE_0 src1_sel:DWORD
	s_andn2_b64 s[4:5], s[4:5], exec
	s_and_b64 s[8:9], s[8:9], exec
	s_or_b64 s[4:5], s[4:5], s[8:9]
	s_or_b64 exec, exec, s[6:7]
	s_and_saveexec_b64 s[6:7], s[4:5]
	s_cbranch_execnz .LBB52_1607
	s_branch .LBB52_1608
.LBB52_3657:
	s_movk_i32 s4, 0x80
	v_cmp_eq_u16_sdwa s[12:13], v11, s4 src0_sel:BYTE_0 src1_sel:DWORD
	s_mov_b64 s[4:5], -1
                                        ; implicit-def: $sgpr10
	s_and_saveexec_b64 s[8:9], s[12:13]
; %bb.3658:
	s_mov_b32 s10, 0x7f800001
	s_xor_b64 s[4:5], exec, -1
; %bb.3659:
	s_or_b64 exec, exec, s[8:9]
	s_and_b64 s[4:5], s[4:5], exec
	s_or_saveexec_b64 s[6:7], s[6:7]
	v_mov_b32_e32 v10, s10
	s_xor_b64 exec, exec, s[6:7]
	s_cbranch_execz .LBB52_1610
.LBB52_3660:
	v_mov_b32_e32 v10, 0
	v_cmp_ne_u16_sdwa s[8:9], v11, v10 src0_sel:BYTE_0 src1_sel:DWORD
	s_andn2_b64 s[4:5], s[4:5], exec
	s_and_b64 s[8:9], s[8:9], exec
	s_or_b64 s[4:5], s[4:5], s[8:9]
	s_or_b64 exec, exec, s[6:7]
	s_and_saveexec_b64 s[6:7], s[4:5]
	s_cbranch_execnz .LBB52_1611
	s_branch .LBB52_1612
.LBB52_3661:
	s_movk_i32 s4, 0x80
	v_cmp_eq_u16_sdwa s[12:13], v11, s4 src0_sel:BYTE_0 src1_sel:DWORD
	s_mov_b64 s[4:5], -1
                                        ; implicit-def: $sgpr10
	s_and_saveexec_b64 s[8:9], s[12:13]
; %bb.3662:
	s_mov_b32 s10, 0x7f800001
	s_xor_b64 s[4:5], exec, -1
; %bb.3663:
	s_or_b64 exec, exec, s[8:9]
	s_and_b64 s[4:5], s[4:5], exec
	s_or_saveexec_b64 s[6:7], s[6:7]
	v_mov_b32_e32 v14, s10
	s_xor_b64 exec, exec, s[6:7]
	s_cbranch_execz .LBB52_1614
.LBB52_3664:
	v_mov_b32_e32 v14, 0
	v_cmp_ne_u16_sdwa s[8:9], v11, v14 src0_sel:BYTE_0 src1_sel:DWORD
	s_andn2_b64 s[4:5], s[4:5], exec
	s_and_b64 s[8:9], s[8:9], exec
	s_or_b64 s[4:5], s[4:5], s[8:9]
	s_or_b64 exec, exec, s[6:7]
	s_and_saveexec_b64 s[6:7], s[4:5]
	s_cbranch_execnz .LBB52_1615
	s_branch .LBB52_1616
.LBB52_3665:
	s_movk_i32 s4, 0x80
	v_cmp_eq_u16_e32 vcc, s4, v11
	s_mov_b64 s[4:5], -1
                                        ; implicit-def: $sgpr10
	s_and_saveexec_b64 s[8:9], vcc
; %bb.3666:
	s_mov_b32 s10, 0x7f800001
	s_xor_b64 s[4:5], exec, -1
; %bb.3667:
	s_or_b64 exec, exec, s[8:9]
	s_and_b64 s[4:5], s[4:5], exec
                                        ; implicit-def: $vgpr11
	s_or_saveexec_b64 s[6:7], s[6:7]
	v_mov_b32_e32 v10, s10
	s_xor_b64 exec, exec, s[6:7]
	s_cbranch_execz .LBB52_1618
.LBB52_3668:
	v_cmp_ne_u16_e32 vcc, 0, v11
	s_andn2_b64 s[4:5], s[4:5], exec
	s_and_b64 s[8:9], vcc, exec
	v_mov_b32_e32 v10, 0
	s_or_b64 s[4:5], s[4:5], s[8:9]
	s_or_b64 exec, exec, s[6:7]
	s_and_saveexec_b64 s[6:7], s[4:5]
	s_cbranch_execnz .LBB52_1619
	s_branch .LBB52_1620
.LBB52_3669:
	s_movk_i32 s4, 0x80
	v_cmp_eq_u16_e32 vcc, s4, v11
	s_mov_b64 s[4:5], -1
                                        ; implicit-def: $sgpr10
	s_and_saveexec_b64 s[8:9], vcc
; %bb.3670:
	s_mov_b32 s10, 0x7f800001
	s_xor_b64 s[4:5], exec, -1
; %bb.3671:
	s_or_b64 exec, exec, s[8:9]
	s_and_b64 s[4:5], s[4:5], exec
                                        ; implicit-def: $vgpr11
	s_or_saveexec_b64 s[6:7], s[6:7]
	v_mov_b32_e32 v14, s10
	s_xor_b64 exec, exec, s[6:7]
	s_cbranch_execz .LBB52_1622
.LBB52_3672:
	v_cmp_ne_u16_e32 vcc, 0, v11
	s_andn2_b64 s[4:5], s[4:5], exec
	s_and_b64 s[8:9], vcc, exec
	v_mov_b32_e32 v14, 0
	s_or_b64 s[4:5], s[4:5], s[8:9]
	s_or_b64 exec, exec, s[6:7]
	s_and_saveexec_b64 s[6:7], s[4:5]
	s_cbranch_execnz .LBB52_1623
	s_branch .LBB52_1624
.LBB52_3673:
	s_movk_i32 s4, 0x80
	v_cmp_eq_u16_sdwa s[12:13], v16, s4 src0_sel:BYTE_3 src1_sel:DWORD
	s_mov_b64 s[4:5], -1
                                        ; implicit-def: $sgpr10
	s_and_saveexec_b64 s[8:9], s[12:13]
; %bb.3674:
	s_mov_b32 s10, 0x7f800001
	s_xor_b64 s[4:5], exec, -1
; %bb.3675:
	s_or_b64 exec, exec, s[8:9]
	s_and_b64 s[4:5], s[4:5], exec
	s_or_saveexec_b64 s[6:7], s[6:7]
	v_mov_b32_e32 v10, s10
	s_xor_b64 exec, exec, s[6:7]
	s_cbranch_execz .LBB52_1626
.LBB52_3676:
	v_mov_b32_e32 v10, 0
	v_cmp_ne_u16_sdwa s[8:9], v16, v10 src0_sel:BYTE_3 src1_sel:DWORD
	s_andn2_b64 s[4:5], s[4:5], exec
	s_and_b64 s[8:9], s[8:9], exec
	s_or_b64 s[4:5], s[4:5], s[8:9]
	s_or_b64 exec, exec, s[6:7]
	s_and_saveexec_b64 s[6:7], s[4:5]
	s_cbranch_execnz .LBB52_1627
	s_branch .LBB52_1628
.LBB52_3677:
	s_movk_i32 s4, 0x80
	v_cmp_eq_u16_sdwa s[12:13], v12, s4 src0_sel:BYTE_3 src1_sel:DWORD
	s_mov_b64 s[4:5], -1
                                        ; implicit-def: $sgpr10
	s_and_saveexec_b64 s[8:9], s[12:13]
; %bb.3678:
	s_mov_b32 s10, 0x7f800001
	s_xor_b64 s[4:5], exec, -1
; %bb.3679:
	s_or_b64 exec, exec, s[8:9]
	s_and_b64 s[4:5], s[4:5], exec
	s_or_saveexec_b64 s[6:7], s[6:7]
	v_mov_b32_e32 v11, s10
	s_xor_b64 exec, exec, s[6:7]
	s_cbranch_execz .LBB52_1630
.LBB52_3680:
	v_mov_b32_e32 v11, 0
	v_cmp_ne_u16_sdwa s[8:9], v12, v11 src0_sel:BYTE_3 src1_sel:DWORD
	s_andn2_b64 s[4:5], s[4:5], exec
	s_and_b64 s[8:9], s[8:9], exec
	s_or_b64 s[4:5], s[4:5], s[8:9]
	s_or_b64 exec, exec, s[6:7]
	s_and_saveexec_b64 s[6:7], s[4:5]
	s_cbranch_execnz .LBB52_1631
	s_branch .LBB52_1632
.LBB52_3681:
	s_movk_i32 s4, 0x80
	v_cmp_eq_u16_sdwa s[12:13], v17, s4 src0_sel:BYTE_0 src1_sel:DWORD
	s_mov_b64 s[4:5], -1
                                        ; implicit-def: $sgpr10
	s_and_saveexec_b64 s[8:9], s[12:13]
; %bb.3682:
	s_mov_b32 s10, 0x7f800001
	s_xor_b64 s[4:5], exec, -1
; %bb.3683:
	s_or_b64 exec, exec, s[8:9]
	s_and_b64 s[4:5], s[4:5], exec
	s_or_saveexec_b64 s[6:7], s[6:7]
	v_mov_b32_e32 v10, s10
	s_xor_b64 exec, exec, s[6:7]
	s_cbranch_execz .LBB52_1634
.LBB52_3684:
	v_mov_b32_e32 v10, 0
	v_cmp_ne_u16_sdwa s[8:9], v17, v10 src0_sel:BYTE_0 src1_sel:DWORD
	s_andn2_b64 s[4:5], s[4:5], exec
	s_and_b64 s[8:9], s[8:9], exec
	s_or_b64 s[4:5], s[4:5], s[8:9]
	s_or_b64 exec, exec, s[6:7]
	s_and_saveexec_b64 s[6:7], s[4:5]
	s_cbranch_execnz .LBB52_1635
	s_branch .LBB52_1636
.LBB52_3685:
	s_movk_i32 s4, 0x80
	v_cmp_eq_u16_sdwa s[12:13], v13, s4 src0_sel:BYTE_0 src1_sel:DWORD
	s_mov_b64 s[4:5], -1
                                        ; implicit-def: $sgpr10
	s_and_saveexec_b64 s[8:9], s[12:13]
; %bb.3686:
	s_mov_b32 s10, 0x7f800001
	s_xor_b64 s[4:5], exec, -1
; %bb.3687:
	s_or_b64 exec, exec, s[8:9]
	s_and_b64 s[4:5], s[4:5], exec
	s_or_saveexec_b64 s[6:7], s[6:7]
	v_mov_b32_e32 v11, s10
	s_xor_b64 exec, exec, s[6:7]
	s_cbranch_execz .LBB52_1638
.LBB52_3688:
	v_mov_b32_e32 v11, 0
	v_cmp_ne_u16_sdwa s[8:9], v13, v11 src0_sel:BYTE_0 src1_sel:DWORD
	s_andn2_b64 s[4:5], s[4:5], exec
	s_and_b64 s[8:9], s[8:9], exec
	s_or_b64 s[4:5], s[4:5], s[8:9]
	s_or_b64 exec, exec, s[6:7]
	s_and_saveexec_b64 s[6:7], s[4:5]
	s_cbranch_execnz .LBB52_1639
	s_branch .LBB52_1640
.LBB52_3689:
	s_movk_i32 s4, 0x80
	v_cmp_eq_u16_sdwa s[12:13], v11, s4 src0_sel:BYTE_0 src1_sel:DWORD
	s_mov_b64 s[4:5], -1
                                        ; implicit-def: $sgpr10
	s_and_saveexec_b64 s[8:9], s[12:13]
; %bb.3690:
	s_mov_b32 s10, 0x7f800001
	s_xor_b64 s[4:5], exec, -1
; %bb.3691:
	s_or_b64 exec, exec, s[8:9]
	s_and_b64 s[4:5], s[4:5], exec
	s_or_saveexec_b64 s[6:7], s[6:7]
	v_mov_b32_e32 v10, s10
	s_xor_b64 exec, exec, s[6:7]
	s_cbranch_execz .LBB52_1642
.LBB52_3692:
	v_mov_b32_e32 v10, 0
	v_cmp_ne_u16_sdwa s[8:9], v11, v10 src0_sel:BYTE_0 src1_sel:DWORD
	s_andn2_b64 s[4:5], s[4:5], exec
	s_and_b64 s[8:9], s[8:9], exec
	s_or_b64 s[4:5], s[4:5], s[8:9]
	s_or_b64 exec, exec, s[6:7]
	s_and_saveexec_b64 s[6:7], s[4:5]
	s_cbranch_execnz .LBB52_1643
	s_branch .LBB52_1644
.LBB52_3693:
	s_movk_i32 s4, 0x80
	v_cmp_eq_u16_sdwa s[12:13], v11, s4 src0_sel:BYTE_0 src1_sel:DWORD
	s_mov_b64 s[4:5], -1
                                        ; implicit-def: $sgpr10
	s_and_saveexec_b64 s[8:9], s[12:13]
; %bb.3694:
	s_mov_b32 s10, 0x7f800001
	s_xor_b64 s[4:5], exec, -1
; %bb.3695:
	s_or_b64 exec, exec, s[8:9]
	s_and_b64 s[4:5], s[4:5], exec
	s_or_saveexec_b64 s[6:7], s[6:7]
	v_mov_b32_e32 v12, s10
	s_xor_b64 exec, exec, s[6:7]
	s_cbranch_execz .LBB52_1646
.LBB52_3696:
	v_mov_b32_e32 v12, 0
	v_cmp_ne_u16_sdwa s[8:9], v11, v12 src0_sel:BYTE_0 src1_sel:DWORD
	s_andn2_b64 s[4:5], s[4:5], exec
	s_and_b64 s[8:9], s[8:9], exec
	s_or_b64 s[4:5], s[4:5], s[8:9]
	s_or_b64 exec, exec, s[6:7]
	s_and_saveexec_b64 s[6:7], s[4:5]
	s_cbranch_execnz .LBB52_1647
	s_branch .LBB52_1648
.LBB52_3697:
	s_movk_i32 s4, 0x80
	v_cmp_eq_u16_e32 vcc, s4, v11
	s_mov_b64 s[4:5], -1
                                        ; implicit-def: $sgpr10
	s_and_saveexec_b64 s[8:9], vcc
; %bb.3698:
	s_mov_b32 s10, 0x7f800001
	s_xor_b64 s[4:5], exec, -1
; %bb.3699:
	s_or_b64 exec, exec, s[8:9]
	s_and_b64 s[4:5], s[4:5], exec
                                        ; implicit-def: $vgpr11
	s_or_saveexec_b64 s[6:7], s[6:7]
	v_mov_b32_e32 v10, s10
	s_xor_b64 exec, exec, s[6:7]
	s_cbranch_execz .LBB52_1650
.LBB52_3700:
	v_cmp_ne_u16_e32 vcc, 0, v11
	s_andn2_b64 s[4:5], s[4:5], exec
	s_and_b64 s[8:9], vcc, exec
	v_mov_b32_e32 v10, 0
	s_or_b64 s[4:5], s[4:5], s[8:9]
	s_or_b64 exec, exec, s[6:7]
	s_and_saveexec_b64 s[6:7], s[4:5]
	s_cbranch_execnz .LBB52_1651
	s_branch .LBB52_1652
.LBB52_3701:
	s_movk_i32 s4, 0x80
	v_cmp_eq_u16_e32 vcc, s4, v11
	s_mov_b64 s[4:5], -1
                                        ; implicit-def: $sgpr10
	s_and_saveexec_b64 s[8:9], vcc
; %bb.3702:
	s_mov_b32 s10, 0x7f800001
	s_xor_b64 s[4:5], exec, -1
; %bb.3703:
	s_or_b64 exec, exec, s[8:9]
	s_and_b64 s[4:5], s[4:5], exec
                                        ; implicit-def: $vgpr11
	s_or_saveexec_b64 s[6:7], s[6:7]
	v_mov_b32_e32 v12, s10
	s_xor_b64 exec, exec, s[6:7]
	s_cbranch_execz .LBB52_1654
.LBB52_3704:
	v_cmp_ne_u16_e32 vcc, 0, v11
	s_andn2_b64 s[4:5], s[4:5], exec
	s_and_b64 s[8:9], vcc, exec
	v_mov_b32_e32 v12, 0
	s_or_b64 s[4:5], s[4:5], s[8:9]
	s_or_b64 exec, exec, s[6:7]
	s_and_saveexec_b64 s[6:7], s[4:5]
	s_cbranch_execnz .LBB52_1655
	s_branch .LBB52_1656
.LBB52_3705:
	s_movk_i32 s4, 0x80
	v_cmp_eq_u16_sdwa s[12:13], v17, s4 src0_sel:BYTE_3 src1_sel:DWORD
	s_mov_b64 s[4:5], -1
                                        ; implicit-def: $sgpr10
	s_and_saveexec_b64 s[8:9], s[12:13]
; %bb.3706:
	s_mov_b32 s10, 0x7f800001
	s_xor_b64 s[4:5], exec, -1
; %bb.3707:
	s_or_b64 exec, exec, s[8:9]
	s_and_b64 s[4:5], s[4:5], exec
	s_or_saveexec_b64 s[6:7], s[6:7]
	v_mov_b32_e32 v10, s10
	s_xor_b64 exec, exec, s[6:7]
	s_cbranch_execz .LBB52_1658
.LBB52_3708:
	v_mov_b32_e32 v10, 0
	v_cmp_ne_u16_sdwa s[8:9], v17, v10 src0_sel:BYTE_3 src1_sel:DWORD
	s_andn2_b64 s[4:5], s[4:5], exec
	s_and_b64 s[8:9], s[8:9], exec
	s_or_b64 s[4:5], s[4:5], s[8:9]
	s_or_b64 exec, exec, s[6:7]
	s_and_saveexec_b64 s[6:7], s[4:5]
	s_cbranch_execnz .LBB52_1659
	s_branch .LBB52_1660
.LBB52_3709:
	s_movk_i32 s4, 0x80
	v_cmp_eq_u16_sdwa s[12:13], v13, s4 src0_sel:BYTE_3 src1_sel:DWORD
	s_mov_b64 s[4:5], -1
                                        ; implicit-def: $sgpr10
	s_and_saveexec_b64 s[8:9], s[12:13]
; %bb.3710:
	s_mov_b32 s10, 0x7f800001
	s_xor_b64 s[4:5], exec, -1
; %bb.3711:
	s_or_b64 exec, exec, s[8:9]
	s_and_b64 s[4:5], s[4:5], exec
	s_or_saveexec_b64 s[6:7], s[6:7]
	v_mov_b32_e32 v11, s10
	s_xor_b64 exec, exec, s[6:7]
	s_cbranch_execz .LBB52_1662
.LBB52_3712:
	v_mov_b32_e32 v11, 0
	v_cmp_ne_u16_sdwa s[8:9], v13, v11 src0_sel:BYTE_3 src1_sel:DWORD
	s_andn2_b64 s[4:5], s[4:5], exec
	s_and_b64 s[8:9], s[8:9], exec
	s_or_b64 s[4:5], s[4:5], s[8:9]
	s_or_b64 exec, exec, s[6:7]
	s_and_saveexec_b64 s[6:7], s[4:5]
	s_cbranch_execnz .LBB52_1663
	s_branch .LBB52_1664
.LBB52_3713:
	s_movk_i32 s4, 0x80
	v_cmp_eq_u16_sdwa s[12:13], v6, s4 src0_sel:BYTE_0 src1_sel:DWORD
	s_mov_b64 s[4:5], -1
                                        ; implicit-def: $sgpr10
	s_and_saveexec_b64 s[8:9], s[12:13]
; %bb.3714:
	s_mov_b32 s10, 0x7f800001
	s_xor_b64 s[4:5], exec, -1
; %bb.3715:
	s_or_b64 exec, exec, s[8:9]
	s_and_b64 s[4:5], s[4:5], exec
	s_or_saveexec_b64 s[6:7], s[6:7]
	v_mov_b32_e32 v10, s10
	s_xor_b64 exec, exec, s[6:7]
	s_cbranch_execz .LBB52_1666
.LBB52_3716:
	v_mov_b32_e32 v10, 0
	v_cmp_ne_u16_sdwa s[8:9], v6, v10 src0_sel:BYTE_0 src1_sel:DWORD
	s_andn2_b64 s[4:5], s[4:5], exec
	s_and_b64 s[8:9], s[8:9], exec
	s_or_b64 s[4:5], s[4:5], s[8:9]
	s_or_b64 exec, exec, s[6:7]
	s_and_saveexec_b64 s[6:7], s[4:5]
	s_cbranch_execnz .LBB52_1667
	s_branch .LBB52_1668
.LBB52_3717:
	s_movk_i32 s4, 0x80
	v_cmp_eq_u16_sdwa s[12:13], v2, s4 src0_sel:BYTE_0 src1_sel:DWORD
	s_mov_b64 s[4:5], -1
                                        ; implicit-def: $sgpr10
	s_and_saveexec_b64 s[8:9], s[12:13]
; %bb.3718:
	s_mov_b32 s10, 0x7f800001
	s_xor_b64 s[4:5], exec, -1
; %bb.3719:
	s_or_b64 exec, exec, s[8:9]
	s_and_b64 s[4:5], s[4:5], exec
	s_or_saveexec_b64 s[6:7], s[6:7]
	v_mov_b32_e32 v11, s10
	s_xor_b64 exec, exec, s[6:7]
	s_cbranch_execz .LBB52_1670
.LBB52_3720:
	v_mov_b32_e32 v11, 0
	v_cmp_ne_u16_sdwa s[8:9], v2, v11 src0_sel:BYTE_0 src1_sel:DWORD
	s_andn2_b64 s[4:5], s[4:5], exec
	s_and_b64 s[8:9], s[8:9], exec
	s_or_b64 s[4:5], s[4:5], s[8:9]
	s_or_b64 exec, exec, s[6:7]
	s_and_saveexec_b64 s[6:7], s[4:5]
	s_cbranch_execnz .LBB52_1671
	s_branch .LBB52_1672
.LBB52_3721:
	s_movk_i32 s4, 0x80
	v_cmp_eq_u16_sdwa s[12:13], v11, s4 src0_sel:BYTE_0 src1_sel:DWORD
	s_mov_b64 s[4:5], -1
                                        ; implicit-def: $sgpr10
	s_and_saveexec_b64 s[8:9], s[12:13]
; %bb.3722:
	s_mov_b32 s10, 0x7f800001
	s_xor_b64 s[4:5], exec, -1
; %bb.3723:
	s_or_b64 exec, exec, s[8:9]
	s_and_b64 s[4:5], s[4:5], exec
	s_or_saveexec_b64 s[6:7], s[6:7]
	v_mov_b32_e32 v10, s10
	s_xor_b64 exec, exec, s[6:7]
	s_cbranch_execz .LBB52_1674
.LBB52_3724:
	v_mov_b32_e32 v10, 0
	v_cmp_ne_u16_sdwa s[8:9], v11, v10 src0_sel:BYTE_0 src1_sel:DWORD
	s_andn2_b64 s[4:5], s[4:5], exec
	s_and_b64 s[8:9], s[8:9], exec
	s_or_b64 s[4:5], s[4:5], s[8:9]
	s_or_b64 exec, exec, s[6:7]
	s_and_saveexec_b64 s[6:7], s[4:5]
	s_cbranch_execnz .LBB52_1675
	s_branch .LBB52_1676
.LBB52_3725:
	s_movk_i32 s4, 0x80
	v_cmp_eq_u16_sdwa s[12:13], v11, s4 src0_sel:BYTE_0 src1_sel:DWORD
	s_mov_b64 s[4:5], -1
                                        ; implicit-def: $sgpr10
	s_and_saveexec_b64 s[8:9], s[12:13]
; %bb.3726:
	s_mov_b32 s10, 0x7f800001
	s_xor_b64 s[4:5], exec, -1
; %bb.3727:
	s_or_b64 exec, exec, s[8:9]
	s_and_b64 s[4:5], s[4:5], exec
	s_or_saveexec_b64 s[6:7], s[6:7]
	v_mov_b32_e32 v12, s10
	s_xor_b64 exec, exec, s[6:7]
	s_cbranch_execz .LBB52_1678
.LBB52_3728:
	v_mov_b32_e32 v12, 0
	v_cmp_ne_u16_sdwa s[8:9], v11, v12 src0_sel:BYTE_0 src1_sel:DWORD
	s_andn2_b64 s[4:5], s[4:5], exec
	s_and_b64 s[8:9], s[8:9], exec
	s_or_b64 s[4:5], s[4:5], s[8:9]
	s_or_b64 exec, exec, s[6:7]
	s_and_saveexec_b64 s[6:7], s[4:5]
	s_cbranch_execnz .LBB52_1679
	s_branch .LBB52_1680
.LBB52_3729:
	s_movk_i32 s4, 0x80
	v_cmp_eq_u16_e32 vcc, s4, v11
	s_mov_b64 s[4:5], -1
                                        ; implicit-def: $sgpr10
	s_and_saveexec_b64 s[8:9], vcc
; %bb.3730:
	s_mov_b32 s10, 0x7f800001
	s_xor_b64 s[4:5], exec, -1
; %bb.3731:
	s_or_b64 exec, exec, s[8:9]
	s_and_b64 s[4:5], s[4:5], exec
                                        ; implicit-def: $vgpr11
	s_or_saveexec_b64 s[6:7], s[6:7]
	v_mov_b32_e32 v10, s10
	s_xor_b64 exec, exec, s[6:7]
	s_cbranch_execz .LBB52_1682
.LBB52_3732:
	v_cmp_ne_u16_e32 vcc, 0, v11
	s_andn2_b64 s[4:5], s[4:5], exec
	s_and_b64 s[8:9], vcc, exec
	v_mov_b32_e32 v10, 0
	s_or_b64 s[4:5], s[4:5], s[8:9]
	s_or_b64 exec, exec, s[6:7]
	s_and_saveexec_b64 s[6:7], s[4:5]
	s_cbranch_execnz .LBB52_1683
	s_branch .LBB52_1684
.LBB52_3733:
	s_movk_i32 s4, 0x80
	v_cmp_eq_u16_e32 vcc, s4, v11
	s_mov_b64 s[4:5], -1
                                        ; implicit-def: $sgpr10
	s_and_saveexec_b64 s[8:9], vcc
; %bb.3734:
	s_mov_b32 s10, 0x7f800001
	s_xor_b64 s[4:5], exec, -1
; %bb.3735:
	s_or_b64 exec, exec, s[8:9]
	s_and_b64 s[4:5], s[4:5], exec
                                        ; implicit-def: $vgpr11
	s_or_saveexec_b64 s[6:7], s[6:7]
	v_mov_b32_e32 v12, s10
	s_xor_b64 exec, exec, s[6:7]
	s_cbranch_execz .LBB52_1686
.LBB52_3736:
	v_cmp_ne_u16_e32 vcc, 0, v11
	s_andn2_b64 s[4:5], s[4:5], exec
	s_and_b64 s[8:9], vcc, exec
	v_mov_b32_e32 v12, 0
	s_or_b64 s[4:5], s[4:5], s[8:9]
	s_or_b64 exec, exec, s[6:7]
	s_and_saveexec_b64 s[6:7], s[4:5]
	s_cbranch_execnz .LBB52_1687
	s_branch .LBB52_1688
.LBB52_3737:
	s_movk_i32 s4, 0x80
	v_cmp_eq_u16_sdwa s[12:13], v6, s4 src0_sel:BYTE_3 src1_sel:DWORD
	s_mov_b64 s[4:5], -1
                                        ; implicit-def: $sgpr10
	s_and_saveexec_b64 s[8:9], s[12:13]
; %bb.3738:
	s_mov_b32 s10, 0x7f800001
	s_xor_b64 s[4:5], exec, -1
; %bb.3739:
	s_or_b64 exec, exec, s[8:9]
	s_and_b64 s[4:5], s[4:5], exec
	s_or_saveexec_b64 s[6:7], s[6:7]
	v_mov_b32_e32 v10, s10
	s_xor_b64 exec, exec, s[6:7]
	s_cbranch_execz .LBB52_1690
.LBB52_3740:
	v_mov_b32_e32 v10, 0
	v_cmp_ne_u16_sdwa s[8:9], v6, v10 src0_sel:BYTE_3 src1_sel:DWORD
	s_andn2_b64 s[4:5], s[4:5], exec
	s_and_b64 s[8:9], s[8:9], exec
	s_or_b64 s[4:5], s[4:5], s[8:9]
	s_or_b64 exec, exec, s[6:7]
	s_and_saveexec_b64 s[6:7], s[4:5]
	s_cbranch_execnz .LBB52_1691
	s_branch .LBB52_1692
.LBB52_3741:
	s_movk_i32 s4, 0x80
	v_cmp_eq_u16_sdwa s[12:13], v2, s4 src0_sel:BYTE_3 src1_sel:DWORD
	s_mov_b64 s[4:5], -1
                                        ; implicit-def: $sgpr10
	s_and_saveexec_b64 s[8:9], s[12:13]
; %bb.3742:
	s_mov_b32 s10, 0x7f800001
	s_xor_b64 s[4:5], exec, -1
; %bb.3743:
	s_or_b64 exec, exec, s[8:9]
	s_and_b64 s[4:5], s[4:5], exec
	s_or_saveexec_b64 s[6:7], s[6:7]
	v_mov_b32_e32 v6, s10
	s_xor_b64 exec, exec, s[6:7]
	s_cbranch_execz .LBB52_1694
.LBB52_3744:
	v_mov_b32_e32 v6, 0
	v_cmp_ne_u16_sdwa s[8:9], v2, v6 src0_sel:BYTE_3 src1_sel:DWORD
	s_andn2_b64 s[4:5], s[4:5], exec
	s_and_b64 s[8:9], s[8:9], exec
	s_or_b64 s[4:5], s[4:5], s[8:9]
	s_or_b64 exec, exec, s[6:7]
	s_and_saveexec_b64 s[6:7], s[4:5]
	s_cbranch_execnz .LBB52_1695
	s_branch .LBB52_1696
.LBB52_3745:
	s_movk_i32 s4, 0x80
	v_cmp_eq_u16_sdwa s[12:13], v7, s4 src0_sel:BYTE_0 src1_sel:DWORD
	s_mov_b64 s[4:5], -1
                                        ; implicit-def: $sgpr10
	s_and_saveexec_b64 s[8:9], s[12:13]
; %bb.3746:
	s_mov_b32 s10, 0x7f800001
	s_xor_b64 s[4:5], exec, -1
; %bb.3747:
	s_or_b64 exec, exec, s[8:9]
	s_and_b64 s[4:5], s[4:5], exec
	s_or_saveexec_b64 s[6:7], s[6:7]
	v_mov_b32_e32 v2, s10
	s_xor_b64 exec, exec, s[6:7]
	s_cbranch_execz .LBB52_1698
.LBB52_3748:
	v_mov_b32_e32 v2, 0
	v_cmp_ne_u16_sdwa s[8:9], v7, v2 src0_sel:BYTE_0 src1_sel:DWORD
	s_andn2_b64 s[4:5], s[4:5], exec
	s_and_b64 s[8:9], s[8:9], exec
	s_or_b64 s[4:5], s[4:5], s[8:9]
	s_or_b64 exec, exec, s[6:7]
	s_and_saveexec_b64 s[6:7], s[4:5]
	s_cbranch_execnz .LBB52_1699
	s_branch .LBB52_1700
.LBB52_3749:
	s_movk_i32 s4, 0x80
	v_cmp_eq_u16_sdwa s[12:13], v3, s4 src0_sel:BYTE_0 src1_sel:DWORD
	s_mov_b64 s[4:5], -1
                                        ; implicit-def: $sgpr10
	s_and_saveexec_b64 s[8:9], s[12:13]
; %bb.3750:
	s_mov_b32 s10, 0x7f800001
	s_xor_b64 s[4:5], exec, -1
; %bb.3751:
	s_or_b64 exec, exec, s[8:9]
	s_and_b64 s[4:5], s[4:5], exec
	s_or_saveexec_b64 s[6:7], s[6:7]
	v_mov_b32_e32 v6, s10
	s_xor_b64 exec, exec, s[6:7]
	s_cbranch_execz .LBB52_1702
.LBB52_3752:
	v_mov_b32_e32 v6, 0
	v_cmp_ne_u16_sdwa s[8:9], v3, v6 src0_sel:BYTE_0 src1_sel:DWORD
	s_andn2_b64 s[4:5], s[4:5], exec
	s_and_b64 s[8:9], s[8:9], exec
	s_or_b64 s[4:5], s[4:5], s[8:9]
	s_or_b64 exec, exec, s[6:7]
	s_and_saveexec_b64 s[6:7], s[4:5]
	s_cbranch_execnz .LBB52_1703
	s_branch .LBB52_1704
.LBB52_3753:
	s_movk_i32 s4, 0x80
	v_cmp_eq_u16_sdwa s[12:13], v6, s4 src0_sel:BYTE_0 src1_sel:DWORD
	s_mov_b64 s[4:5], -1
                                        ; implicit-def: $sgpr10
	s_and_saveexec_b64 s[8:9], s[12:13]
; %bb.3754:
	s_mov_b32 s10, 0x7f800001
	s_xor_b64 s[4:5], exec, -1
; %bb.3755:
	s_or_b64 exec, exec, s[8:9]
	s_and_b64 s[4:5], s[4:5], exec
	s_or_saveexec_b64 s[6:7], s[6:7]
	v_mov_b32_e32 v2, s10
	s_xor_b64 exec, exec, s[6:7]
	s_cbranch_execz .LBB52_1706
.LBB52_3756:
	v_mov_b32_e32 v2, 0
	v_cmp_ne_u16_sdwa s[8:9], v6, v2 src0_sel:BYTE_0 src1_sel:DWORD
	s_andn2_b64 s[4:5], s[4:5], exec
	s_and_b64 s[8:9], s[8:9], exec
	s_or_b64 s[4:5], s[4:5], s[8:9]
	s_or_b64 exec, exec, s[6:7]
	s_and_saveexec_b64 s[6:7], s[4:5]
	s_cbranch_execnz .LBB52_1707
	s_branch .LBB52_1708
.LBB52_3757:
	s_movk_i32 s4, 0x80
	v_cmp_eq_u16_sdwa s[12:13], v6, s4 src0_sel:BYTE_0 src1_sel:DWORD
	s_mov_b64 s[4:5], -1
                                        ; implicit-def: $sgpr10
	s_and_saveexec_b64 s[8:9], s[12:13]
; %bb.3758:
	s_mov_b32 s10, 0x7f800001
	s_xor_b64 s[4:5], exec, -1
; %bb.3759:
	s_or_b64 exec, exec, s[8:9]
	s_and_b64 s[4:5], s[4:5], exec
	s_or_saveexec_b64 s[6:7], s[6:7]
	v_mov_b32_e32 v10, s10
	s_xor_b64 exec, exec, s[6:7]
	s_cbranch_execz .LBB52_1710
.LBB52_3760:
	v_mov_b32_e32 v10, 0
	v_cmp_ne_u16_sdwa s[8:9], v6, v10 src0_sel:BYTE_0 src1_sel:DWORD
	s_andn2_b64 s[4:5], s[4:5], exec
	s_and_b64 s[8:9], s[8:9], exec
	s_or_b64 s[4:5], s[4:5], s[8:9]
	s_or_b64 exec, exec, s[6:7]
	s_and_saveexec_b64 s[6:7], s[4:5]
	s_cbranch_execnz .LBB52_1711
	s_branch .LBB52_1712
.LBB52_3761:
	s_movk_i32 s4, 0x80
	v_cmp_eq_u16_e32 vcc, s4, v6
	s_mov_b64 s[4:5], -1
                                        ; implicit-def: $sgpr10
	s_and_saveexec_b64 s[8:9], vcc
; %bb.3762:
	s_mov_b32 s10, 0x7f800001
	s_xor_b64 s[4:5], exec, -1
; %bb.3763:
	s_or_b64 exec, exec, s[8:9]
	s_and_b64 s[4:5], s[4:5], exec
                                        ; implicit-def: $vgpr6
	s_or_saveexec_b64 s[6:7], s[6:7]
	v_mov_b32_e32 v2, s10
	s_xor_b64 exec, exec, s[6:7]
	s_cbranch_execz .LBB52_1714
.LBB52_3764:
	v_cmp_ne_u16_e32 vcc, 0, v6
	s_andn2_b64 s[4:5], s[4:5], exec
	s_and_b64 s[8:9], vcc, exec
	v_mov_b32_e32 v2, 0
	s_or_b64 s[4:5], s[4:5], s[8:9]
	s_or_b64 exec, exec, s[6:7]
	s_and_saveexec_b64 s[6:7], s[4:5]
	s_cbranch_execnz .LBB52_1715
	s_branch .LBB52_1716
.LBB52_3765:
	s_movk_i32 s4, 0x80
	v_cmp_eq_u16_e32 vcc, s4, v6
	s_mov_b64 s[4:5], -1
                                        ; implicit-def: $sgpr10
	s_and_saveexec_b64 s[8:9], vcc
; %bb.3766:
	s_mov_b32 s10, 0x7f800001
	s_xor_b64 s[4:5], exec, -1
; %bb.3767:
	s_or_b64 exec, exec, s[8:9]
	s_and_b64 s[4:5], s[4:5], exec
                                        ; implicit-def: $vgpr6
	s_or_saveexec_b64 s[6:7], s[6:7]
	v_mov_b32_e32 v10, s10
	s_xor_b64 exec, exec, s[6:7]
	s_cbranch_execz .LBB52_1718
.LBB52_3768:
	v_cmp_ne_u16_e32 vcc, 0, v6
	s_andn2_b64 s[4:5], s[4:5], exec
	s_and_b64 s[8:9], vcc, exec
	v_mov_b32_e32 v10, 0
	s_or_b64 s[4:5], s[4:5], s[8:9]
	s_or_b64 exec, exec, s[6:7]
	s_and_saveexec_b64 s[6:7], s[4:5]
	s_cbranch_execnz .LBB52_1719
	s_branch .LBB52_1720
.LBB52_3769:
	s_movk_i32 s4, 0x80
	v_cmp_eq_u16_sdwa s[12:13], v7, s4 src0_sel:BYTE_3 src1_sel:DWORD
	s_mov_b64 s[4:5], -1
                                        ; implicit-def: $sgpr10
	s_and_saveexec_b64 s[8:9], s[12:13]
; %bb.3770:
	s_mov_b32 s10, 0x7f800001
	s_xor_b64 s[4:5], exec, -1
; %bb.3771:
	s_or_b64 exec, exec, s[8:9]
	s_and_b64 s[4:5], s[4:5], exec
	s_or_saveexec_b64 s[6:7], s[6:7]
	v_mov_b32_e32 v2, s10
	s_xor_b64 exec, exec, s[6:7]
	s_cbranch_execz .LBB52_1722
.LBB52_3772:
	v_mov_b32_e32 v2, 0
	v_cmp_ne_u16_sdwa s[8:9], v7, v2 src0_sel:BYTE_3 src1_sel:DWORD
	s_andn2_b64 s[4:5], s[4:5], exec
	s_and_b64 s[8:9], s[8:9], exec
	s_or_b64 s[4:5], s[4:5], s[8:9]
	s_or_b64 exec, exec, s[6:7]
	s_and_saveexec_b64 s[6:7], s[4:5]
	s_cbranch_execnz .LBB52_1723
	s_branch .LBB52_1724
.LBB52_3773:
	s_movk_i32 s4, 0x80
	v_cmp_eq_u16_sdwa s[12:13], v3, s4 src0_sel:BYTE_3 src1_sel:DWORD
	s_mov_b64 s[4:5], -1
                                        ; implicit-def: $sgpr10
	s_and_saveexec_b64 s[8:9], s[12:13]
; %bb.3774:
	s_mov_b32 s10, 0x7f800001
	s_xor_b64 s[4:5], exec, -1
; %bb.3775:
	s_or_b64 exec, exec, s[8:9]
	s_and_b64 s[4:5], s[4:5], exec
	s_or_saveexec_b64 s[6:7], s[6:7]
	v_mov_b32_e32 v6, s10
	s_xor_b64 exec, exec, s[6:7]
	s_cbranch_execz .LBB52_1726
.LBB52_3776:
	v_mov_b32_e32 v6, 0
	v_cmp_ne_u16_sdwa s[8:9], v3, v6 src0_sel:BYTE_3 src1_sel:DWORD
	s_andn2_b64 s[4:5], s[4:5], exec
	s_and_b64 s[8:9], s[8:9], exec
	s_or_b64 s[4:5], s[4:5], s[8:9]
	s_or_b64 exec, exec, s[6:7]
	s_and_saveexec_b64 s[6:7], s[4:5]
	s_cbranch_execnz .LBB52_1727
	s_branch .LBB52_1728
.LBB52_3777:
	s_movk_i32 s4, 0x80
	v_cmp_eq_u16_sdwa s[12:13], v8, s4 src0_sel:BYTE_0 src1_sel:DWORD
	s_mov_b64 s[4:5], -1
                                        ; implicit-def: $sgpr10
	s_and_saveexec_b64 s[8:9], s[12:13]
; %bb.3778:
	s_mov_b32 s10, 0x7f800001
	s_xor_b64 s[4:5], exec, -1
; %bb.3779:
	s_or_b64 exec, exec, s[8:9]
	s_and_b64 s[4:5], s[4:5], exec
	s_or_saveexec_b64 s[6:7], s[6:7]
	v_mov_b32_e32 v2, s10
	s_xor_b64 exec, exec, s[6:7]
	s_cbranch_execz .LBB52_1730
.LBB52_3780:
	v_mov_b32_e32 v2, 0
	v_cmp_ne_u16_sdwa s[8:9], v8, v2 src0_sel:BYTE_0 src1_sel:DWORD
	s_andn2_b64 s[4:5], s[4:5], exec
	s_and_b64 s[8:9], s[8:9], exec
	s_or_b64 s[4:5], s[4:5], s[8:9]
	s_or_b64 exec, exec, s[6:7]
	s_and_saveexec_b64 s[6:7], s[4:5]
	s_cbranch_execnz .LBB52_1731
	s_branch .LBB52_1732
.LBB52_3781:
	s_movk_i32 s4, 0x80
	v_cmp_eq_u16_sdwa s[12:13], v4, s4 src0_sel:BYTE_0 src1_sel:DWORD
	s_mov_b64 s[4:5], -1
                                        ; implicit-def: $sgpr10
	s_and_saveexec_b64 s[8:9], s[12:13]
; %bb.3782:
	s_mov_b32 s10, 0x7f800001
	s_xor_b64 s[4:5], exec, -1
; %bb.3783:
	s_or_b64 exec, exec, s[8:9]
	s_and_b64 s[4:5], s[4:5], exec
	s_or_saveexec_b64 s[6:7], s[6:7]
	v_mov_b32_e32 v3, s10
	s_xor_b64 exec, exec, s[6:7]
	s_cbranch_execz .LBB52_1734
.LBB52_3784:
	v_mov_b32_e32 v3, 0
	v_cmp_ne_u16_sdwa s[8:9], v4, v3 src0_sel:BYTE_0 src1_sel:DWORD
	s_andn2_b64 s[4:5], s[4:5], exec
	s_and_b64 s[8:9], s[8:9], exec
	s_or_b64 s[4:5], s[4:5], s[8:9]
	s_or_b64 exec, exec, s[6:7]
	s_and_saveexec_b64 s[6:7], s[4:5]
	s_cbranch_execnz .LBB52_1735
	s_branch .LBB52_1736
.LBB52_3785:
	s_movk_i32 s4, 0x80
	v_cmp_eq_u16_sdwa s[12:13], v3, s4 src0_sel:BYTE_0 src1_sel:DWORD
	s_mov_b64 s[4:5], -1
                                        ; implicit-def: $sgpr10
	s_and_saveexec_b64 s[8:9], s[12:13]
; %bb.3786:
	s_mov_b32 s10, 0x7f800001
	s_xor_b64 s[4:5], exec, -1
; %bb.3787:
	s_or_b64 exec, exec, s[8:9]
	s_and_b64 s[4:5], s[4:5], exec
	s_or_saveexec_b64 s[6:7], s[6:7]
	v_mov_b32_e32 v2, s10
	s_xor_b64 exec, exec, s[6:7]
	s_cbranch_execz .LBB52_1738
.LBB52_3788:
	v_mov_b32_e32 v2, 0
	v_cmp_ne_u16_sdwa s[8:9], v3, v2 src0_sel:BYTE_0 src1_sel:DWORD
	s_andn2_b64 s[4:5], s[4:5], exec
	s_and_b64 s[8:9], s[8:9], exec
	s_or_b64 s[4:5], s[4:5], s[8:9]
	s_or_b64 exec, exec, s[6:7]
	s_and_saveexec_b64 s[6:7], s[4:5]
	s_cbranch_execnz .LBB52_1739
	s_branch .LBB52_1740
.LBB52_3789:
	s_movk_i32 s4, 0x80
	v_cmp_eq_u16_sdwa s[12:13], v3, s4 src0_sel:BYTE_0 src1_sel:DWORD
	s_mov_b64 s[4:5], -1
                                        ; implicit-def: $sgpr10
	s_and_saveexec_b64 s[8:9], s[12:13]
; %bb.3790:
	s_mov_b32 s10, 0x7f800001
	s_xor_b64 s[4:5], exec, -1
; %bb.3791:
	s_or_b64 exec, exec, s[8:9]
	s_and_b64 s[4:5], s[4:5], exec
	s_or_saveexec_b64 s[6:7], s[6:7]
	v_mov_b32_e32 v6, s10
	s_xor_b64 exec, exec, s[6:7]
	s_cbranch_execz .LBB52_1742
.LBB52_3792:
	v_mov_b32_e32 v6, 0
	v_cmp_ne_u16_sdwa s[8:9], v3, v6 src0_sel:BYTE_0 src1_sel:DWORD
	s_andn2_b64 s[4:5], s[4:5], exec
	s_and_b64 s[8:9], s[8:9], exec
	s_or_b64 s[4:5], s[4:5], s[8:9]
	s_or_b64 exec, exec, s[6:7]
	s_and_saveexec_b64 s[6:7], s[4:5]
	s_cbranch_execnz .LBB52_1743
	s_branch .LBB52_1744
.LBB52_3793:
	s_movk_i32 s4, 0x80
	v_cmp_eq_u16_e32 vcc, s4, v3
	s_mov_b64 s[4:5], -1
                                        ; implicit-def: $sgpr10
	s_and_saveexec_b64 s[8:9], vcc
; %bb.3794:
	s_mov_b32 s10, 0x7f800001
	s_xor_b64 s[4:5], exec, -1
; %bb.3795:
	s_or_b64 exec, exec, s[8:9]
	s_and_b64 s[4:5], s[4:5], exec
                                        ; implicit-def: $vgpr3
	s_or_saveexec_b64 s[6:7], s[6:7]
	v_mov_b32_e32 v2, s10
	s_xor_b64 exec, exec, s[6:7]
	s_cbranch_execz .LBB52_1746
.LBB52_3796:
	v_cmp_ne_u16_e32 vcc, 0, v3
	s_andn2_b64 s[4:5], s[4:5], exec
	s_and_b64 s[8:9], vcc, exec
	v_mov_b32_e32 v2, 0
	s_or_b64 s[4:5], s[4:5], s[8:9]
	s_or_b64 exec, exec, s[6:7]
	s_and_saveexec_b64 s[6:7], s[4:5]
	s_cbranch_execnz .LBB52_1747
	s_branch .LBB52_1748
.LBB52_3797:
	s_movk_i32 s4, 0x80
	v_cmp_eq_u16_e32 vcc, s4, v3
	s_mov_b64 s[4:5], -1
                                        ; implicit-def: $sgpr10
	s_and_saveexec_b64 s[8:9], vcc
; %bb.3798:
	s_mov_b32 s10, 0x7f800001
	s_xor_b64 s[4:5], exec, -1
; %bb.3799:
	s_or_b64 exec, exec, s[8:9]
	s_and_b64 s[4:5], s[4:5], exec
                                        ; implicit-def: $vgpr3
	s_or_saveexec_b64 s[6:7], s[6:7]
	v_mov_b32_e32 v6, s10
	s_xor_b64 exec, exec, s[6:7]
	s_cbranch_execz .LBB52_1750
.LBB52_3800:
	v_cmp_ne_u16_e32 vcc, 0, v3
	s_andn2_b64 s[4:5], s[4:5], exec
	s_and_b64 s[8:9], vcc, exec
	v_mov_b32_e32 v6, 0
	s_or_b64 s[4:5], s[4:5], s[8:9]
	s_or_b64 exec, exec, s[6:7]
	s_and_saveexec_b64 s[6:7], s[4:5]
	s_cbranch_execnz .LBB52_1751
	s_branch .LBB52_1752
.LBB52_3801:
	s_movk_i32 s4, 0x80
	v_cmp_eq_u16_sdwa s[12:13], v8, s4 src0_sel:BYTE_3 src1_sel:DWORD
	s_mov_b64 s[4:5], -1
                                        ; implicit-def: $sgpr10
	s_and_saveexec_b64 s[8:9], s[12:13]
; %bb.3802:
	s_mov_b32 s10, 0x7f800001
	s_xor_b64 s[4:5], exec, -1
; %bb.3803:
	s_or_b64 exec, exec, s[8:9]
	s_and_b64 s[4:5], s[4:5], exec
	s_or_saveexec_b64 s[6:7], s[6:7]
	v_mov_b32_e32 v2, s10
	s_xor_b64 exec, exec, s[6:7]
	s_cbranch_execz .LBB52_1754
.LBB52_3804:
	v_mov_b32_e32 v2, 0
	v_cmp_ne_u16_sdwa s[8:9], v8, v2 src0_sel:BYTE_3 src1_sel:DWORD
	s_andn2_b64 s[4:5], s[4:5], exec
	s_and_b64 s[8:9], s[8:9], exec
	s_or_b64 s[4:5], s[4:5], s[8:9]
	s_or_b64 exec, exec, s[6:7]
	s_and_saveexec_b64 s[6:7], s[4:5]
	s_cbranch_execnz .LBB52_1755
	s_branch .LBB52_1756
.LBB52_3805:
	s_movk_i32 s4, 0x80
	v_cmp_eq_u16_sdwa s[12:13], v4, s4 src0_sel:BYTE_3 src1_sel:DWORD
	s_mov_b64 s[4:5], -1
                                        ; implicit-def: $sgpr10
	s_and_saveexec_b64 s[8:9], s[12:13]
; %bb.3806:
	s_mov_b32 s10, 0x7f800001
	s_xor_b64 s[4:5], exec, -1
; %bb.3807:
	s_or_b64 exec, exec, s[8:9]
	s_and_b64 s[4:5], s[4:5], exec
	s_or_saveexec_b64 s[6:7], s[6:7]
	v_mov_b32_e32 v3, s10
	s_xor_b64 exec, exec, s[6:7]
	s_cbranch_execz .LBB52_1758
.LBB52_3808:
	v_mov_b32_e32 v3, 0
	v_cmp_ne_u16_sdwa s[8:9], v4, v3 src0_sel:BYTE_3 src1_sel:DWORD
	s_andn2_b64 s[4:5], s[4:5], exec
	s_and_b64 s[8:9], s[8:9], exec
	s_or_b64 s[4:5], s[4:5], s[8:9]
	s_or_b64 exec, exec, s[6:7]
	s_and_saveexec_b64 s[6:7], s[4:5]
	s_cbranch_execnz .LBB52_1759
	s_branch .LBB52_1760
.LBB52_3809:
	s_movk_i32 s4, 0x80
	v_cmp_eq_u16_sdwa s[12:13], v9, s4 src0_sel:BYTE_0 src1_sel:DWORD
	s_mov_b64 s[4:5], -1
                                        ; implicit-def: $sgpr10
	s_and_saveexec_b64 s[8:9], s[12:13]
; %bb.3810:
	s_mov_b32 s10, 0x7f800001
	s_xor_b64 s[4:5], exec, -1
; %bb.3811:
	s_or_b64 exec, exec, s[8:9]
	s_and_b64 s[4:5], s[4:5], exec
	s_or_saveexec_b64 s[6:7], s[6:7]
	v_mov_b32_e32 v2, s10
	s_xor_b64 exec, exec, s[6:7]
	s_cbranch_execz .LBB52_1762
.LBB52_3812:
	v_mov_b32_e32 v2, 0
	v_cmp_ne_u16_sdwa s[8:9], v9, v2 src0_sel:BYTE_0 src1_sel:DWORD
	s_andn2_b64 s[4:5], s[4:5], exec
	s_and_b64 s[8:9], s[8:9], exec
	s_or_b64 s[4:5], s[4:5], s[8:9]
	s_or_b64 exec, exec, s[6:7]
	s_and_saveexec_b64 s[6:7], s[4:5]
	s_cbranch_execnz .LBB52_1763
	s_branch .LBB52_1764
.LBB52_3813:
	s_movk_i32 s4, 0x80
	v_cmp_eq_u16_sdwa s[12:13], v5, s4 src0_sel:BYTE_0 src1_sel:DWORD
	s_mov_b64 s[4:5], -1
                                        ; implicit-def: $sgpr10
	s_and_saveexec_b64 s[8:9], s[12:13]
; %bb.3814:
	s_mov_b32 s10, 0x7f800001
	s_xor_b64 s[4:5], exec, -1
; %bb.3815:
	s_or_b64 exec, exec, s[8:9]
	s_and_b64 s[4:5], s[4:5], exec
	s_or_saveexec_b64 s[6:7], s[6:7]
	v_mov_b32_e32 v3, s10
	s_xor_b64 exec, exec, s[6:7]
	s_cbranch_execz .LBB52_1766
.LBB52_3816:
	v_mov_b32_e32 v3, 0
	v_cmp_ne_u16_sdwa s[8:9], v5, v3 src0_sel:BYTE_0 src1_sel:DWORD
	s_andn2_b64 s[4:5], s[4:5], exec
	s_and_b64 s[8:9], s[8:9], exec
	s_or_b64 s[4:5], s[4:5], s[8:9]
	s_or_b64 exec, exec, s[6:7]
	s_and_saveexec_b64 s[6:7], s[4:5]
	s_cbranch_execnz .LBB52_1767
	s_branch .LBB52_1768
.LBB52_3817:
	s_movk_i32 s4, 0x80
	v_cmp_eq_u16_sdwa s[12:13], v3, s4 src0_sel:BYTE_0 src1_sel:DWORD
	s_mov_b64 s[4:5], -1
                                        ; implicit-def: $sgpr10
	s_and_saveexec_b64 s[8:9], s[12:13]
; %bb.3818:
	s_mov_b32 s10, 0x7f800001
	s_xor_b64 s[4:5], exec, -1
; %bb.3819:
	s_or_b64 exec, exec, s[8:9]
	s_and_b64 s[4:5], s[4:5], exec
	s_or_saveexec_b64 s[6:7], s[6:7]
	v_mov_b32_e32 v2, s10
	s_xor_b64 exec, exec, s[6:7]
	s_cbranch_execz .LBB52_1770
.LBB52_3820:
	v_mov_b32_e32 v2, 0
	v_cmp_ne_u16_sdwa s[8:9], v3, v2 src0_sel:BYTE_0 src1_sel:DWORD
	s_andn2_b64 s[4:5], s[4:5], exec
	s_and_b64 s[8:9], s[8:9], exec
	s_or_b64 s[4:5], s[4:5], s[8:9]
	s_or_b64 exec, exec, s[6:7]
	s_and_saveexec_b64 s[6:7], s[4:5]
	s_cbranch_execnz .LBB52_1771
	s_branch .LBB52_1772
.LBB52_3821:
	s_movk_i32 s4, 0x80
	v_cmp_eq_u16_sdwa s[12:13], v3, s4 src0_sel:BYTE_0 src1_sel:DWORD
	s_mov_b64 s[4:5], -1
                                        ; implicit-def: $sgpr10
	s_and_saveexec_b64 s[8:9], s[12:13]
; %bb.3822:
	s_mov_b32 s10, 0x7f800001
	s_xor_b64 s[4:5], exec, -1
; %bb.3823:
	s_or_b64 exec, exec, s[8:9]
	s_and_b64 s[4:5], s[4:5], exec
	s_or_saveexec_b64 s[6:7], s[6:7]
	v_mov_b32_e32 v4, s10
	s_xor_b64 exec, exec, s[6:7]
	s_cbranch_execz .LBB52_1774
.LBB52_3824:
	v_mov_b32_e32 v4, 0
	v_cmp_ne_u16_sdwa s[8:9], v3, v4 src0_sel:BYTE_0 src1_sel:DWORD
	s_andn2_b64 s[4:5], s[4:5], exec
	s_and_b64 s[8:9], s[8:9], exec
	s_or_b64 s[4:5], s[4:5], s[8:9]
	s_or_b64 exec, exec, s[6:7]
	s_and_saveexec_b64 s[6:7], s[4:5]
	s_cbranch_execnz .LBB52_1775
	s_branch .LBB52_1776
.LBB52_3825:
	s_movk_i32 s4, 0x80
	v_cmp_eq_u16_e32 vcc, s4, v3
	s_mov_b64 s[4:5], -1
                                        ; implicit-def: $sgpr10
	s_and_saveexec_b64 s[8:9], vcc
; %bb.3826:
	s_mov_b32 s10, 0x7f800001
	s_xor_b64 s[4:5], exec, -1
; %bb.3827:
	s_or_b64 exec, exec, s[8:9]
	s_and_b64 s[4:5], s[4:5], exec
                                        ; implicit-def: $vgpr3
	s_or_saveexec_b64 s[6:7], s[6:7]
	v_mov_b32_e32 v2, s10
	s_xor_b64 exec, exec, s[6:7]
	s_cbranch_execz .LBB52_1778
.LBB52_3828:
	v_cmp_ne_u16_e32 vcc, 0, v3
	s_andn2_b64 s[4:5], s[4:5], exec
	s_and_b64 s[8:9], vcc, exec
	v_mov_b32_e32 v2, 0
	s_or_b64 s[4:5], s[4:5], s[8:9]
	s_or_b64 exec, exec, s[6:7]
	s_and_saveexec_b64 s[6:7], s[4:5]
	s_cbranch_execnz .LBB52_1779
	s_branch .LBB52_1780
.LBB52_3829:
	s_movk_i32 s4, 0x80
	v_cmp_eq_u16_e32 vcc, s4, v3
	s_mov_b64 s[4:5], -1
                                        ; implicit-def: $sgpr10
	s_and_saveexec_b64 s[8:9], vcc
; %bb.3830:
	s_mov_b32 s10, 0x7f800001
	s_xor_b64 s[4:5], exec, -1
; %bb.3831:
	s_or_b64 exec, exec, s[8:9]
	s_and_b64 s[4:5], s[4:5], exec
                                        ; implicit-def: $vgpr3
	s_or_saveexec_b64 s[6:7], s[6:7]
	v_mov_b32_e32 v4, s10
	s_xor_b64 exec, exec, s[6:7]
	s_cbranch_execz .LBB52_1782
.LBB52_3832:
	v_cmp_ne_u16_e32 vcc, 0, v3
	s_andn2_b64 s[4:5], s[4:5], exec
	s_and_b64 s[8:9], vcc, exec
	v_mov_b32_e32 v4, 0
	s_or_b64 s[4:5], s[4:5], s[8:9]
	s_or_b64 exec, exec, s[6:7]
	s_and_saveexec_b64 s[6:7], s[4:5]
	s_cbranch_execnz .LBB52_1783
	s_branch .LBB52_1784
.LBB52_3833:
	s_movk_i32 s4, 0x80
	v_cmp_eq_u16_sdwa s[12:13], v9, s4 src0_sel:BYTE_3 src1_sel:DWORD
	s_mov_b64 s[4:5], -1
                                        ; implicit-def: $sgpr10
	s_and_saveexec_b64 s[8:9], s[12:13]
; %bb.3834:
	s_mov_b32 s10, 0x7f800001
	s_xor_b64 s[4:5], exec, -1
; %bb.3835:
	s_or_b64 exec, exec, s[8:9]
	s_and_b64 s[4:5], s[4:5], exec
	s_or_saveexec_b64 s[6:7], s[6:7]
	v_mov_b32_e32 v2, s10
	s_xor_b64 exec, exec, s[6:7]
	s_cbranch_execz .LBB52_1786
.LBB52_3836:
	v_mov_b32_e32 v2, 0
	v_cmp_ne_u16_sdwa s[8:9], v9, v2 src0_sel:BYTE_3 src1_sel:DWORD
	s_andn2_b64 s[4:5], s[4:5], exec
	s_and_b64 s[8:9], s[8:9], exec
	s_or_b64 s[4:5], s[4:5], s[8:9]
	s_or_b64 exec, exec, s[6:7]
	s_and_saveexec_b64 s[6:7], s[4:5]
	s_cbranch_execnz .LBB52_1787
	s_branch .LBB52_1788
.LBB52_3837:
	s_movk_i32 s4, 0x80
	v_cmp_eq_u16_sdwa s[12:13], v5, s4 src0_sel:BYTE_3 src1_sel:DWORD
	s_mov_b64 s[4:5], -1
                                        ; implicit-def: $sgpr10
	s_and_saveexec_b64 s[8:9], s[12:13]
; %bb.3838:
	s_mov_b32 s10, 0x7f800001
	s_xor_b64 s[4:5], exec, -1
; %bb.3839:
	s_or_b64 exec, exec, s[8:9]
	s_and_b64 s[4:5], s[4:5], exec
	s_or_saveexec_b64 s[6:7], s[6:7]
	v_mov_b32_e32 v3, s10
	s_xor_b64 exec, exec, s[6:7]
	s_cbranch_execz .LBB52_1790
.LBB52_3840:
	v_mov_b32_e32 v3, 0
	v_cmp_ne_u16_sdwa s[8:9], v5, v3 src0_sel:BYTE_3 src1_sel:DWORD
	s_andn2_b64 s[4:5], s[4:5], exec
	s_and_b64 s[8:9], s[8:9], exec
	s_or_b64 s[4:5], s[4:5], s[8:9]
	s_or_b64 exec, exec, s[6:7]
	s_and_saveexec_b64 s[6:7], s[4:5]
	s_cbranch_execnz .LBB52_1791
	s_branch .LBB52_1792
.LBB52_3841:
	s_movk_i32 s4, 0x80
	v_cmp_eq_u16_sdwa s[12:13], v12, s4 src0_sel:BYTE_0 src1_sel:DWORD
	s_mov_b64 s[4:5], -1
                                        ; implicit-def: $sgpr10
	s_and_saveexec_b64 s[8:9], s[12:13]
; %bb.3842:
	s_mov_b32 s10, 0x7f800001
	s_xor_b64 s[4:5], exec, -1
; %bb.3843:
	s_or_b64 exec, exec, s[8:9]
	s_and_b64 s[4:5], s[4:5], exec
	s_or_saveexec_b64 s[6:7], s[6:7]
	v_mov_b32_e32 v18, s10
	s_xor_b64 exec, exec, s[6:7]
	s_cbranch_execz .LBB52_1794
.LBB52_3844:
	v_mov_b32_e32 v18, 0
	v_cmp_ne_u16_sdwa s[8:9], v12, v18 src0_sel:BYTE_0 src1_sel:DWORD
	s_andn2_b64 s[4:5], s[4:5], exec
	s_and_b64 s[8:9], s[8:9], exec
	s_or_b64 s[4:5], s[4:5], s[8:9]
	s_or_b64 exec, exec, s[6:7]
	s_and_saveexec_b64 s[6:7], s[4:5]
	s_cbranch_execnz .LBB52_1795
	s_branch .LBB52_1796
.LBB52_3845:
	s_movk_i32 s4, 0x80
	v_cmp_eq_u16_sdwa s[12:13], v8, s4 src0_sel:BYTE_0 src1_sel:DWORD
	s_mov_b64 s[4:5], -1
                                        ; implicit-def: $sgpr10
	s_and_saveexec_b64 s[8:9], s[12:13]
; %bb.3846:
	s_mov_b32 s10, 0x7f800001
	s_xor_b64 s[4:5], exec, -1
; %bb.3847:
	s_or_b64 exec, exec, s[8:9]
	s_and_b64 s[4:5], s[4:5], exec
	s_or_saveexec_b64 s[6:7], s[6:7]
	v_mov_b32_e32 v19, s10
	s_xor_b64 exec, exec, s[6:7]
	s_cbranch_execz .LBB52_1798
.LBB52_3848:
	v_mov_b32_e32 v19, 0
	v_cmp_ne_u16_sdwa s[8:9], v8, v19 src0_sel:BYTE_0 src1_sel:DWORD
	s_andn2_b64 s[4:5], s[4:5], exec
	s_and_b64 s[8:9], s[8:9], exec
	s_or_b64 s[4:5], s[4:5], s[8:9]
	s_or_b64 exec, exec, s[6:7]
	s_and_saveexec_b64 s[6:7], s[4:5]
	s_cbranch_execnz .LBB52_1799
	s_branch .LBB52_1800
.LBB52_3849:
	s_movk_i32 s4, 0x80
	v_cmp_eq_u16_sdwa s[12:13], v19, s4 src0_sel:BYTE_0 src1_sel:DWORD
	s_mov_b64 s[4:5], -1
                                        ; implicit-def: $sgpr10
	s_and_saveexec_b64 s[8:9], s[12:13]
; %bb.3850:
	s_mov_b32 s10, 0x7f800001
	s_xor_b64 s[4:5], exec, -1
; %bb.3851:
	s_or_b64 exec, exec, s[8:9]
	s_and_b64 s[4:5], s[4:5], exec
	s_or_saveexec_b64 s[6:7], s[6:7]
	v_mov_b32_e32 v18, s10
	s_xor_b64 exec, exec, s[6:7]
	s_cbranch_execz .LBB52_1802
.LBB52_3852:
	v_mov_b32_e32 v18, 0
	v_cmp_ne_u16_sdwa s[8:9], v19, v18 src0_sel:BYTE_0 src1_sel:DWORD
	s_andn2_b64 s[4:5], s[4:5], exec
	s_and_b64 s[8:9], s[8:9], exec
	s_or_b64 s[4:5], s[4:5], s[8:9]
	s_or_b64 exec, exec, s[6:7]
	s_and_saveexec_b64 s[6:7], s[4:5]
	s_cbranch_execnz .LBB52_1803
	s_branch .LBB52_1804
.LBB52_3853:
	s_movk_i32 s4, 0x80
	v_cmp_eq_u16_sdwa s[12:13], v19, s4 src0_sel:BYTE_0 src1_sel:DWORD
	s_mov_b64 s[4:5], -1
                                        ; implicit-def: $sgpr10
	s_and_saveexec_b64 s[8:9], s[12:13]
; %bb.3854:
	s_mov_b32 s10, 0x7f800001
	s_xor_b64 s[4:5], exec, -1
; %bb.3855:
	s_or_b64 exec, exec, s[8:9]
	s_and_b64 s[4:5], s[4:5], exec
	s_or_saveexec_b64 s[6:7], s[6:7]
	v_mov_b32_e32 v20, s10
	s_xor_b64 exec, exec, s[6:7]
	s_cbranch_execz .LBB52_1806
.LBB52_3856:
	v_mov_b32_e32 v20, 0
	v_cmp_ne_u16_sdwa s[8:9], v19, v20 src0_sel:BYTE_0 src1_sel:DWORD
	s_andn2_b64 s[4:5], s[4:5], exec
	s_and_b64 s[8:9], s[8:9], exec
	s_or_b64 s[4:5], s[4:5], s[8:9]
	s_or_b64 exec, exec, s[6:7]
	s_and_saveexec_b64 s[6:7], s[4:5]
	s_cbranch_execnz .LBB52_1807
	s_branch .LBB52_1808
.LBB52_3857:
	s_movk_i32 s4, 0x80
	v_cmp_eq_u16_e32 vcc, s4, v19
	s_mov_b64 s[4:5], -1
                                        ; implicit-def: $sgpr10
	s_and_saveexec_b64 s[8:9], vcc
; %bb.3858:
	s_mov_b32 s10, 0x7f800001
	s_xor_b64 s[4:5], exec, -1
; %bb.3859:
	s_or_b64 exec, exec, s[8:9]
	s_and_b64 s[4:5], s[4:5], exec
                                        ; implicit-def: $vgpr19
	s_or_saveexec_b64 s[6:7], s[6:7]
	v_mov_b32_e32 v18, s10
	s_xor_b64 exec, exec, s[6:7]
	s_cbranch_execz .LBB52_1810
.LBB52_3860:
	v_cmp_ne_u16_e32 vcc, 0, v19
	s_andn2_b64 s[4:5], s[4:5], exec
	s_and_b64 s[8:9], vcc, exec
	v_mov_b32_e32 v18, 0
	s_or_b64 s[4:5], s[4:5], s[8:9]
	s_or_b64 exec, exec, s[6:7]
	s_and_saveexec_b64 s[6:7], s[4:5]
	s_cbranch_execnz .LBB52_1811
	s_branch .LBB52_1812
.LBB52_3861:
	s_movk_i32 s4, 0x80
	v_cmp_eq_u16_e32 vcc, s4, v19
	s_mov_b64 s[4:5], -1
                                        ; implicit-def: $sgpr10
	s_and_saveexec_b64 s[8:9], vcc
; %bb.3862:
	s_mov_b32 s10, 0x7f800001
	s_xor_b64 s[4:5], exec, -1
; %bb.3863:
	s_or_b64 exec, exec, s[8:9]
	s_and_b64 s[4:5], s[4:5], exec
                                        ; implicit-def: $vgpr19
	s_or_saveexec_b64 s[6:7], s[6:7]
	v_mov_b32_e32 v20, s10
	s_xor_b64 exec, exec, s[6:7]
	s_cbranch_execz .LBB52_1814
.LBB52_3864:
	v_cmp_ne_u16_e32 vcc, 0, v19
	s_andn2_b64 s[4:5], s[4:5], exec
	s_and_b64 s[8:9], vcc, exec
	v_mov_b32_e32 v20, 0
	s_or_b64 s[4:5], s[4:5], s[8:9]
	s_or_b64 exec, exec, s[6:7]
	s_and_saveexec_b64 s[6:7], s[4:5]
	s_cbranch_execnz .LBB52_1815
	s_branch .LBB52_1816
.LBB52_3865:
	s_movk_i32 s4, 0x80
	v_cmp_eq_u16_sdwa s[12:13], v12, s4 src0_sel:BYTE_3 src1_sel:DWORD
	s_mov_b64 s[4:5], -1
                                        ; implicit-def: $sgpr10
	s_and_saveexec_b64 s[8:9], s[12:13]
; %bb.3866:
	s_mov_b32 s10, 0x7f800001
	s_xor_b64 s[4:5], exec, -1
; %bb.3867:
	s_or_b64 exec, exec, s[8:9]
	s_and_b64 s[4:5], s[4:5], exec
	s_or_saveexec_b64 s[6:7], s[6:7]
	v_mov_b32_e32 v18, s10
	s_xor_b64 exec, exec, s[6:7]
	s_cbranch_execz .LBB52_1818
.LBB52_3868:
	v_mov_b32_e32 v18, 0
	v_cmp_ne_u16_sdwa s[8:9], v12, v18 src0_sel:BYTE_3 src1_sel:DWORD
	s_andn2_b64 s[4:5], s[4:5], exec
	s_and_b64 s[8:9], s[8:9], exec
	s_or_b64 s[4:5], s[4:5], s[8:9]
	s_or_b64 exec, exec, s[6:7]
	s_and_saveexec_b64 s[6:7], s[4:5]
	s_cbranch_execnz .LBB52_1819
	s_branch .LBB52_1820
.LBB52_3869:
	s_movk_i32 s4, 0x80
	v_cmp_eq_u16_sdwa s[12:13], v8, s4 src0_sel:BYTE_3 src1_sel:DWORD
	s_mov_b64 s[4:5], -1
                                        ; implicit-def: $sgpr10
	s_and_saveexec_b64 s[8:9], s[12:13]
; %bb.3870:
	s_mov_b32 s10, 0x7f800001
	s_xor_b64 s[4:5], exec, -1
; %bb.3871:
	s_or_b64 exec, exec, s[8:9]
	s_and_b64 s[4:5], s[4:5], exec
	s_or_saveexec_b64 s[6:7], s[6:7]
	v_mov_b32_e32 v12, s10
	s_xor_b64 exec, exec, s[6:7]
	s_cbranch_execz .LBB52_1822
.LBB52_3872:
	v_mov_b32_e32 v12, 0
	v_cmp_ne_u16_sdwa s[8:9], v8, v12 src0_sel:BYTE_3 src1_sel:DWORD
	s_andn2_b64 s[4:5], s[4:5], exec
	s_and_b64 s[8:9], s[8:9], exec
	s_or_b64 s[4:5], s[4:5], s[8:9]
	s_or_b64 exec, exec, s[6:7]
	s_and_saveexec_b64 s[6:7], s[4:5]
	s_cbranch_execnz .LBB52_1823
	s_branch .LBB52_1824
.LBB52_3873:
	s_movk_i32 s4, 0x80
	v_cmp_eq_u16_sdwa s[12:13], v13, s4 src0_sel:BYTE_0 src1_sel:DWORD
	s_mov_b64 s[4:5], -1
                                        ; implicit-def: $sgpr10
	s_and_saveexec_b64 s[8:9], s[12:13]
; %bb.3874:
	s_mov_b32 s10, 0x7f800001
	s_xor_b64 s[4:5], exec, -1
; %bb.3875:
	s_or_b64 exec, exec, s[8:9]
	s_and_b64 s[4:5], s[4:5], exec
	s_or_saveexec_b64 s[6:7], s[6:7]
	v_mov_b32_e32 v8, s10
	s_xor_b64 exec, exec, s[6:7]
	s_cbranch_execz .LBB52_1826
.LBB52_3876:
	v_mov_b32_e32 v8, 0
	v_cmp_ne_u16_sdwa s[8:9], v13, v8 src0_sel:BYTE_0 src1_sel:DWORD
	s_andn2_b64 s[4:5], s[4:5], exec
	s_and_b64 s[8:9], s[8:9], exec
	s_or_b64 s[4:5], s[4:5], s[8:9]
	s_or_b64 exec, exec, s[6:7]
	s_and_saveexec_b64 s[6:7], s[4:5]
	s_cbranch_execnz .LBB52_1827
	s_branch .LBB52_1828
.LBB52_3877:
	s_movk_i32 s4, 0x80
	v_cmp_eq_u16_sdwa s[12:13], v9, s4 src0_sel:BYTE_0 src1_sel:DWORD
	s_mov_b64 s[4:5], -1
                                        ; implicit-def: $sgpr10
	s_and_saveexec_b64 s[8:9], s[12:13]
; %bb.3878:
	s_mov_b32 s10, 0x7f800001
	s_xor_b64 s[4:5], exec, -1
; %bb.3879:
	s_or_b64 exec, exec, s[8:9]
	s_and_b64 s[4:5], s[4:5], exec
	s_or_saveexec_b64 s[6:7], s[6:7]
	v_mov_b32_e32 v12, s10
	s_xor_b64 exec, exec, s[6:7]
	s_cbranch_execz .LBB52_1830
.LBB52_3880:
	v_mov_b32_e32 v12, 0
	v_cmp_ne_u16_sdwa s[8:9], v9, v12 src0_sel:BYTE_0 src1_sel:DWORD
	s_andn2_b64 s[4:5], s[4:5], exec
	s_and_b64 s[8:9], s[8:9], exec
	s_or_b64 s[4:5], s[4:5], s[8:9]
	s_or_b64 exec, exec, s[6:7]
	s_and_saveexec_b64 s[6:7], s[4:5]
	s_cbranch_execnz .LBB52_1831
	s_branch .LBB52_1832
.LBB52_3881:
	s_movk_i32 s4, 0x80
	v_cmp_eq_u16_sdwa s[12:13], v12, s4 src0_sel:BYTE_0 src1_sel:DWORD
	s_mov_b64 s[4:5], -1
                                        ; implicit-def: $sgpr10
	s_and_saveexec_b64 s[8:9], s[12:13]
; %bb.3882:
	s_mov_b32 s10, 0x7f800001
	s_xor_b64 s[4:5], exec, -1
; %bb.3883:
	s_or_b64 exec, exec, s[8:9]
	s_and_b64 s[4:5], s[4:5], exec
	s_or_saveexec_b64 s[6:7], s[6:7]
	v_mov_b32_e32 v8, s10
	s_xor_b64 exec, exec, s[6:7]
	s_cbranch_execz .LBB52_1834
.LBB52_3884:
	v_mov_b32_e32 v8, 0
	v_cmp_ne_u16_sdwa s[8:9], v12, v8 src0_sel:BYTE_0 src1_sel:DWORD
	s_andn2_b64 s[4:5], s[4:5], exec
	s_and_b64 s[8:9], s[8:9], exec
	s_or_b64 s[4:5], s[4:5], s[8:9]
	s_or_b64 exec, exec, s[6:7]
	s_and_saveexec_b64 s[6:7], s[4:5]
	s_cbranch_execnz .LBB52_1835
	s_branch .LBB52_1836
.LBB52_3885:
	s_movk_i32 s4, 0x80
	v_cmp_eq_u16_sdwa s[12:13], v12, s4 src0_sel:BYTE_0 src1_sel:DWORD
	s_mov_b64 s[4:5], -1
                                        ; implicit-def: $sgpr10
	s_and_saveexec_b64 s[8:9], s[12:13]
; %bb.3886:
	s_mov_b32 s10, 0x7f800001
	s_xor_b64 s[4:5], exec, -1
; %bb.3887:
	s_or_b64 exec, exec, s[8:9]
	s_and_b64 s[4:5], s[4:5], exec
	s_or_saveexec_b64 s[6:7], s[6:7]
	v_mov_b32_e32 v18, s10
	s_xor_b64 exec, exec, s[6:7]
	s_cbranch_execz .LBB52_1838
.LBB52_3888:
	v_mov_b32_e32 v18, 0
	v_cmp_ne_u16_sdwa s[8:9], v12, v18 src0_sel:BYTE_0 src1_sel:DWORD
	s_andn2_b64 s[4:5], s[4:5], exec
	s_and_b64 s[8:9], s[8:9], exec
	s_or_b64 s[4:5], s[4:5], s[8:9]
	s_or_b64 exec, exec, s[6:7]
	s_and_saveexec_b64 s[6:7], s[4:5]
	s_cbranch_execnz .LBB52_1839
	s_branch .LBB52_1840
.LBB52_3889:
	s_movk_i32 s4, 0x80
	v_cmp_eq_u16_e32 vcc, s4, v12
	s_mov_b64 s[4:5], -1
                                        ; implicit-def: $sgpr10
	s_and_saveexec_b64 s[8:9], vcc
; %bb.3890:
	s_mov_b32 s10, 0x7f800001
	s_xor_b64 s[4:5], exec, -1
; %bb.3891:
	s_or_b64 exec, exec, s[8:9]
	s_and_b64 s[4:5], s[4:5], exec
                                        ; implicit-def: $vgpr12
	s_or_saveexec_b64 s[6:7], s[6:7]
	v_mov_b32_e32 v8, s10
	s_xor_b64 exec, exec, s[6:7]
	s_cbranch_execz .LBB52_1842
.LBB52_3892:
	v_cmp_ne_u16_e32 vcc, 0, v12
	s_andn2_b64 s[4:5], s[4:5], exec
	s_and_b64 s[8:9], vcc, exec
	v_mov_b32_e32 v8, 0
	s_or_b64 s[4:5], s[4:5], s[8:9]
	s_or_b64 exec, exec, s[6:7]
	s_and_saveexec_b64 s[6:7], s[4:5]
	s_cbranch_execnz .LBB52_1843
	s_branch .LBB52_1844
.LBB52_3893:
	s_movk_i32 s4, 0x80
	v_cmp_eq_u16_e32 vcc, s4, v12
	s_mov_b64 s[4:5], -1
                                        ; implicit-def: $sgpr10
	s_and_saveexec_b64 s[8:9], vcc
; %bb.3894:
	s_mov_b32 s10, 0x7f800001
	s_xor_b64 s[4:5], exec, -1
; %bb.3895:
	s_or_b64 exec, exec, s[8:9]
	s_and_b64 s[4:5], s[4:5], exec
                                        ; implicit-def: $vgpr12
	s_or_saveexec_b64 s[6:7], s[6:7]
	v_mov_b32_e32 v18, s10
	s_xor_b64 exec, exec, s[6:7]
	s_cbranch_execz .LBB52_1846
.LBB52_3896:
	v_cmp_ne_u16_e32 vcc, 0, v12
	s_andn2_b64 s[4:5], s[4:5], exec
	s_and_b64 s[8:9], vcc, exec
	v_mov_b32_e32 v18, 0
	s_or_b64 s[4:5], s[4:5], s[8:9]
	s_or_b64 exec, exec, s[6:7]
	s_and_saveexec_b64 s[6:7], s[4:5]
	s_cbranch_execnz .LBB52_1847
	s_branch .LBB52_1848
.LBB52_3897:
	s_movk_i32 s4, 0x80
	v_cmp_eq_u16_sdwa s[12:13], v13, s4 src0_sel:BYTE_3 src1_sel:DWORD
	s_mov_b64 s[4:5], -1
                                        ; implicit-def: $sgpr10
	s_and_saveexec_b64 s[8:9], s[12:13]
; %bb.3898:
	s_mov_b32 s10, 0x7f800001
	s_xor_b64 s[4:5], exec, -1
; %bb.3899:
	s_or_b64 exec, exec, s[8:9]
	s_and_b64 s[4:5], s[4:5], exec
	s_or_saveexec_b64 s[6:7], s[6:7]
	v_mov_b32_e32 v8, s10
	s_xor_b64 exec, exec, s[6:7]
	s_cbranch_execz .LBB52_1850
.LBB52_3900:
	v_mov_b32_e32 v8, 0
	v_cmp_ne_u16_sdwa s[8:9], v13, v8 src0_sel:BYTE_3 src1_sel:DWORD
	s_andn2_b64 s[4:5], s[4:5], exec
	s_and_b64 s[8:9], s[8:9], exec
	s_or_b64 s[4:5], s[4:5], s[8:9]
	s_or_b64 exec, exec, s[6:7]
	s_and_saveexec_b64 s[6:7], s[4:5]
	s_cbranch_execnz .LBB52_1851
	s_branch .LBB52_1852
.LBB52_3901:
	s_movk_i32 s4, 0x80
	v_cmp_eq_u16_sdwa s[12:13], v9, s4 src0_sel:BYTE_3 src1_sel:DWORD
	s_mov_b64 s[4:5], -1
                                        ; implicit-def: $sgpr10
	s_and_saveexec_b64 s[8:9], s[12:13]
; %bb.3902:
	s_mov_b32 s10, 0x7f800001
	s_xor_b64 s[4:5], exec, -1
; %bb.3903:
	s_or_b64 exec, exec, s[8:9]
	s_and_b64 s[4:5], s[4:5], exec
	s_or_saveexec_b64 s[6:7], s[6:7]
	v_mov_b32_e32 v12, s10
	s_xor_b64 exec, exec, s[6:7]
	s_cbranch_execz .LBB52_1854
.LBB52_3904:
	v_mov_b32_e32 v12, 0
	v_cmp_ne_u16_sdwa s[8:9], v9, v12 src0_sel:BYTE_3 src1_sel:DWORD
	s_andn2_b64 s[4:5], s[4:5], exec
	s_and_b64 s[8:9], s[8:9], exec
	s_or_b64 s[4:5], s[4:5], s[8:9]
	s_or_b64 exec, exec, s[6:7]
	s_and_saveexec_b64 s[6:7], s[4:5]
	s_cbranch_execnz .LBB52_1855
	s_branch .LBB52_1856
.LBB52_3905:
	s_movk_i32 s4, 0x80
	v_cmp_eq_u16_sdwa s[12:13], v14, s4 src0_sel:BYTE_0 src1_sel:DWORD
	s_mov_b64 s[4:5], -1
                                        ; implicit-def: $sgpr10
	s_and_saveexec_b64 s[8:9], s[12:13]
; %bb.3906:
	s_mov_b32 s10, 0x7f800001
	s_xor_b64 s[4:5], exec, -1
; %bb.3907:
	s_or_b64 exec, exec, s[8:9]
	s_and_b64 s[4:5], s[4:5], exec
	s_or_saveexec_b64 s[6:7], s[6:7]
	v_mov_b32_e32 v8, s10
	s_xor_b64 exec, exec, s[6:7]
	s_cbranch_execz .LBB52_1858
.LBB52_3908:
	v_mov_b32_e32 v8, 0
	v_cmp_ne_u16_sdwa s[8:9], v14, v8 src0_sel:BYTE_0 src1_sel:DWORD
	s_andn2_b64 s[4:5], s[4:5], exec
	s_and_b64 s[8:9], s[8:9], exec
	s_or_b64 s[4:5], s[4:5], s[8:9]
	s_or_b64 exec, exec, s[6:7]
	s_and_saveexec_b64 s[6:7], s[4:5]
	s_cbranch_execnz .LBB52_1859
	s_branch .LBB52_1860
.LBB52_3909:
	s_movk_i32 s4, 0x80
	v_cmp_eq_u16_sdwa s[12:13], v10, s4 src0_sel:BYTE_0 src1_sel:DWORD
	s_mov_b64 s[4:5], -1
                                        ; implicit-def: $sgpr10
	s_and_saveexec_b64 s[8:9], s[12:13]
; %bb.3910:
	s_mov_b32 s10, 0x7f800001
	s_xor_b64 s[4:5], exec, -1
; %bb.3911:
	s_or_b64 exec, exec, s[8:9]
	s_and_b64 s[4:5], s[4:5], exec
	s_or_saveexec_b64 s[6:7], s[6:7]
	v_mov_b32_e32 v9, s10
	s_xor_b64 exec, exec, s[6:7]
	s_cbranch_execz .LBB52_1862
.LBB52_3912:
	v_mov_b32_e32 v9, 0
	v_cmp_ne_u16_sdwa s[8:9], v10, v9 src0_sel:BYTE_0 src1_sel:DWORD
	s_andn2_b64 s[4:5], s[4:5], exec
	s_and_b64 s[8:9], s[8:9], exec
	s_or_b64 s[4:5], s[4:5], s[8:9]
	s_or_b64 exec, exec, s[6:7]
	s_and_saveexec_b64 s[6:7], s[4:5]
	s_cbranch_execnz .LBB52_1863
	s_branch .LBB52_1864
.LBB52_3913:
	s_movk_i32 s4, 0x80
	v_cmp_eq_u16_sdwa s[12:13], v9, s4 src0_sel:BYTE_0 src1_sel:DWORD
	s_mov_b64 s[4:5], -1
                                        ; implicit-def: $sgpr10
	s_and_saveexec_b64 s[8:9], s[12:13]
; %bb.3914:
	s_mov_b32 s10, 0x7f800001
	s_xor_b64 s[4:5], exec, -1
; %bb.3915:
	s_or_b64 exec, exec, s[8:9]
	s_and_b64 s[4:5], s[4:5], exec
	s_or_saveexec_b64 s[6:7], s[6:7]
	v_mov_b32_e32 v8, s10
	s_xor_b64 exec, exec, s[6:7]
	s_cbranch_execz .LBB52_1866
.LBB52_3916:
	v_mov_b32_e32 v8, 0
	v_cmp_ne_u16_sdwa s[8:9], v9, v8 src0_sel:BYTE_0 src1_sel:DWORD
	s_andn2_b64 s[4:5], s[4:5], exec
	s_and_b64 s[8:9], s[8:9], exec
	s_or_b64 s[4:5], s[4:5], s[8:9]
	s_or_b64 exec, exec, s[6:7]
	s_and_saveexec_b64 s[6:7], s[4:5]
	s_cbranch_execnz .LBB52_1867
	s_branch .LBB52_1868
.LBB52_3917:
	s_movk_i32 s4, 0x80
	v_cmp_eq_u16_sdwa s[12:13], v9, s4 src0_sel:BYTE_0 src1_sel:DWORD
	s_mov_b64 s[4:5], -1
                                        ; implicit-def: $sgpr10
	s_and_saveexec_b64 s[8:9], s[12:13]
; %bb.3918:
	s_mov_b32 s10, 0x7f800001
	s_xor_b64 s[4:5], exec, -1
; %bb.3919:
	s_or_b64 exec, exec, s[8:9]
	s_and_b64 s[4:5], s[4:5], exec
	s_or_saveexec_b64 s[6:7], s[6:7]
	v_mov_b32_e32 v12, s10
	s_xor_b64 exec, exec, s[6:7]
	s_cbranch_execz .LBB52_1870
.LBB52_3920:
	v_mov_b32_e32 v12, 0
	v_cmp_ne_u16_sdwa s[8:9], v9, v12 src0_sel:BYTE_0 src1_sel:DWORD
	s_andn2_b64 s[4:5], s[4:5], exec
	s_and_b64 s[8:9], s[8:9], exec
	s_or_b64 s[4:5], s[4:5], s[8:9]
	s_or_b64 exec, exec, s[6:7]
	s_and_saveexec_b64 s[6:7], s[4:5]
	s_cbranch_execnz .LBB52_1871
	s_branch .LBB52_1872
.LBB52_3921:
	s_movk_i32 s4, 0x80
	v_cmp_eq_u16_e32 vcc, s4, v9
	s_mov_b64 s[4:5], -1
                                        ; implicit-def: $sgpr10
	s_and_saveexec_b64 s[8:9], vcc
; %bb.3922:
	s_mov_b32 s10, 0x7f800001
	s_xor_b64 s[4:5], exec, -1
; %bb.3923:
	s_or_b64 exec, exec, s[8:9]
	s_and_b64 s[4:5], s[4:5], exec
                                        ; implicit-def: $vgpr9
	s_or_saveexec_b64 s[6:7], s[6:7]
	v_mov_b32_e32 v8, s10
	s_xor_b64 exec, exec, s[6:7]
	s_cbranch_execz .LBB52_1874
.LBB52_3924:
	v_cmp_ne_u16_e32 vcc, 0, v9
	s_andn2_b64 s[4:5], s[4:5], exec
	s_and_b64 s[8:9], vcc, exec
	v_mov_b32_e32 v8, 0
	s_or_b64 s[4:5], s[4:5], s[8:9]
	s_or_b64 exec, exec, s[6:7]
	s_and_saveexec_b64 s[6:7], s[4:5]
	s_cbranch_execnz .LBB52_1875
	s_branch .LBB52_1876
.LBB52_3925:
	s_movk_i32 s4, 0x80
	v_cmp_eq_u16_e32 vcc, s4, v9
	s_mov_b64 s[4:5], -1
                                        ; implicit-def: $sgpr10
	s_and_saveexec_b64 s[8:9], vcc
; %bb.3926:
	s_mov_b32 s10, 0x7f800001
	s_xor_b64 s[4:5], exec, -1
; %bb.3927:
	s_or_b64 exec, exec, s[8:9]
	s_and_b64 s[4:5], s[4:5], exec
                                        ; implicit-def: $vgpr9
	s_or_saveexec_b64 s[6:7], s[6:7]
	v_mov_b32_e32 v12, s10
	s_xor_b64 exec, exec, s[6:7]
	s_cbranch_execz .LBB52_1878
.LBB52_3928:
	v_cmp_ne_u16_e32 vcc, 0, v9
	s_andn2_b64 s[4:5], s[4:5], exec
	s_and_b64 s[8:9], vcc, exec
	v_mov_b32_e32 v12, 0
	s_or_b64 s[4:5], s[4:5], s[8:9]
	s_or_b64 exec, exec, s[6:7]
	s_and_saveexec_b64 s[6:7], s[4:5]
	s_cbranch_execnz .LBB52_1879
	s_branch .LBB52_1880
.LBB52_3929:
	s_movk_i32 s4, 0x80
	v_cmp_eq_u16_sdwa s[12:13], v14, s4 src0_sel:BYTE_3 src1_sel:DWORD
	s_mov_b64 s[4:5], -1
                                        ; implicit-def: $sgpr10
	s_and_saveexec_b64 s[8:9], s[12:13]
; %bb.3930:
	s_mov_b32 s10, 0x7f800001
	s_xor_b64 s[4:5], exec, -1
; %bb.3931:
	s_or_b64 exec, exec, s[8:9]
	s_and_b64 s[4:5], s[4:5], exec
	s_or_saveexec_b64 s[6:7], s[6:7]
	v_mov_b32_e32 v8, s10
	s_xor_b64 exec, exec, s[6:7]
	s_cbranch_execz .LBB52_1882
.LBB52_3932:
	v_mov_b32_e32 v8, 0
	v_cmp_ne_u16_sdwa s[8:9], v14, v8 src0_sel:BYTE_3 src1_sel:DWORD
	s_andn2_b64 s[4:5], s[4:5], exec
	s_and_b64 s[8:9], s[8:9], exec
	s_or_b64 s[4:5], s[4:5], s[8:9]
	s_or_b64 exec, exec, s[6:7]
	s_and_saveexec_b64 s[6:7], s[4:5]
	s_cbranch_execnz .LBB52_1883
	s_branch .LBB52_1884
.LBB52_3933:
	s_movk_i32 s4, 0x80
	v_cmp_eq_u16_sdwa s[12:13], v10, s4 src0_sel:BYTE_3 src1_sel:DWORD
	s_mov_b64 s[4:5], -1
                                        ; implicit-def: $sgpr10
	s_and_saveexec_b64 s[8:9], s[12:13]
; %bb.3934:
	s_mov_b32 s10, 0x7f800001
	s_xor_b64 s[4:5], exec, -1
; %bb.3935:
	s_or_b64 exec, exec, s[8:9]
	s_and_b64 s[4:5], s[4:5], exec
	s_or_saveexec_b64 s[6:7], s[6:7]
	v_mov_b32_e32 v9, s10
	s_xor_b64 exec, exec, s[6:7]
	s_cbranch_execz .LBB52_1886
.LBB52_3936:
	v_mov_b32_e32 v9, 0
	v_cmp_ne_u16_sdwa s[8:9], v10, v9 src0_sel:BYTE_3 src1_sel:DWORD
	s_andn2_b64 s[4:5], s[4:5], exec
	s_and_b64 s[8:9], s[8:9], exec
	s_or_b64 s[4:5], s[4:5], s[8:9]
	s_or_b64 exec, exec, s[6:7]
	s_and_saveexec_b64 s[6:7], s[4:5]
	s_cbranch_execnz .LBB52_1887
	s_branch .LBB52_1888
.LBB52_3937:
	s_movk_i32 s4, 0x80
	v_cmp_eq_u16_sdwa s[12:13], v15, s4 src0_sel:BYTE_0 src1_sel:DWORD
	s_mov_b64 s[4:5], -1
                                        ; implicit-def: $sgpr10
	s_and_saveexec_b64 s[8:9], s[12:13]
; %bb.3938:
	s_mov_b32 s10, 0x7f800001
	s_xor_b64 s[4:5], exec, -1
; %bb.3939:
	s_or_b64 exec, exec, s[8:9]
	s_and_b64 s[4:5], s[4:5], exec
	s_or_saveexec_b64 s[6:7], s[6:7]
	v_mov_b32_e32 v8, s10
	s_xor_b64 exec, exec, s[6:7]
	s_cbranch_execz .LBB52_1890
.LBB52_3940:
	v_mov_b32_e32 v8, 0
	v_cmp_ne_u16_sdwa s[8:9], v15, v8 src0_sel:BYTE_0 src1_sel:DWORD
	s_andn2_b64 s[4:5], s[4:5], exec
	s_and_b64 s[8:9], s[8:9], exec
	s_or_b64 s[4:5], s[4:5], s[8:9]
	s_or_b64 exec, exec, s[6:7]
	s_and_saveexec_b64 s[6:7], s[4:5]
	s_cbranch_execnz .LBB52_1891
	s_branch .LBB52_1892
.LBB52_3941:
	s_movk_i32 s4, 0x80
	v_cmp_eq_u16_sdwa s[12:13], v11, s4 src0_sel:BYTE_0 src1_sel:DWORD
	s_mov_b64 s[4:5], -1
                                        ; implicit-def: $sgpr10
	s_and_saveexec_b64 s[8:9], s[12:13]
; %bb.3942:
	s_mov_b32 s10, 0x7f800001
	s_xor_b64 s[4:5], exec, -1
; %bb.3943:
	s_or_b64 exec, exec, s[8:9]
	s_and_b64 s[4:5], s[4:5], exec
	s_or_saveexec_b64 s[6:7], s[6:7]
	v_mov_b32_e32 v9, s10
	s_xor_b64 exec, exec, s[6:7]
	s_cbranch_execz .LBB52_1894
.LBB52_3944:
	v_mov_b32_e32 v9, 0
	v_cmp_ne_u16_sdwa s[8:9], v11, v9 src0_sel:BYTE_0 src1_sel:DWORD
	s_andn2_b64 s[4:5], s[4:5], exec
	s_and_b64 s[8:9], s[8:9], exec
	s_or_b64 s[4:5], s[4:5], s[8:9]
	s_or_b64 exec, exec, s[6:7]
	s_and_saveexec_b64 s[6:7], s[4:5]
	s_cbranch_execnz .LBB52_1895
	s_branch .LBB52_1896
.LBB52_3945:
	s_movk_i32 s4, 0x80
	v_cmp_eq_u16_sdwa s[12:13], v9, s4 src0_sel:BYTE_0 src1_sel:DWORD
	s_mov_b64 s[4:5], -1
                                        ; implicit-def: $sgpr10
	s_and_saveexec_b64 s[8:9], s[12:13]
; %bb.3946:
	s_mov_b32 s10, 0x7f800001
	s_xor_b64 s[4:5], exec, -1
; %bb.3947:
	s_or_b64 exec, exec, s[8:9]
	s_and_b64 s[4:5], s[4:5], exec
	s_or_saveexec_b64 s[6:7], s[6:7]
	v_mov_b32_e32 v8, s10
	s_xor_b64 exec, exec, s[6:7]
	s_cbranch_execz .LBB52_1898
.LBB52_3948:
	v_mov_b32_e32 v8, 0
	v_cmp_ne_u16_sdwa s[8:9], v9, v8 src0_sel:BYTE_0 src1_sel:DWORD
	s_andn2_b64 s[4:5], s[4:5], exec
	s_and_b64 s[8:9], s[8:9], exec
	s_or_b64 s[4:5], s[4:5], s[8:9]
	s_or_b64 exec, exec, s[6:7]
	s_and_saveexec_b64 s[6:7], s[4:5]
	s_cbranch_execnz .LBB52_1899
	s_branch .LBB52_1900
.LBB52_3949:
	s_movk_i32 s4, 0x80
	v_cmp_eq_u16_sdwa s[12:13], v9, s4 src0_sel:BYTE_0 src1_sel:DWORD
	s_mov_b64 s[4:5], -1
                                        ; implicit-def: $sgpr10
	s_and_saveexec_b64 s[8:9], s[12:13]
; %bb.3950:
	s_mov_b32 s10, 0x7f800001
	s_xor_b64 s[4:5], exec, -1
; %bb.3951:
	s_or_b64 exec, exec, s[8:9]
	s_and_b64 s[4:5], s[4:5], exec
	s_or_saveexec_b64 s[6:7], s[6:7]
	v_mov_b32_e32 v10, s10
	s_xor_b64 exec, exec, s[6:7]
	s_cbranch_execz .LBB52_1902
.LBB52_3952:
	v_mov_b32_e32 v10, 0
	v_cmp_ne_u16_sdwa s[8:9], v9, v10 src0_sel:BYTE_0 src1_sel:DWORD
	s_andn2_b64 s[4:5], s[4:5], exec
	s_and_b64 s[8:9], s[8:9], exec
	s_or_b64 s[4:5], s[4:5], s[8:9]
	s_or_b64 exec, exec, s[6:7]
	s_and_saveexec_b64 s[6:7], s[4:5]
	s_cbranch_execnz .LBB52_1903
	s_branch .LBB52_1904
.LBB52_3953:
	s_movk_i32 s4, 0x80
	v_cmp_eq_u16_e32 vcc, s4, v9
	s_mov_b64 s[4:5], -1
                                        ; implicit-def: $sgpr10
	s_and_saveexec_b64 s[8:9], vcc
; %bb.3954:
	s_mov_b32 s10, 0x7f800001
	s_xor_b64 s[4:5], exec, -1
; %bb.3955:
	s_or_b64 exec, exec, s[8:9]
	s_and_b64 s[4:5], s[4:5], exec
                                        ; implicit-def: $vgpr9
	s_or_saveexec_b64 s[6:7], s[6:7]
	v_mov_b32_e32 v8, s10
	s_xor_b64 exec, exec, s[6:7]
	s_cbranch_execz .LBB52_1906
.LBB52_3956:
	v_cmp_ne_u16_e32 vcc, 0, v9
	s_andn2_b64 s[4:5], s[4:5], exec
	s_and_b64 s[8:9], vcc, exec
	v_mov_b32_e32 v8, 0
	s_or_b64 s[4:5], s[4:5], s[8:9]
	s_or_b64 exec, exec, s[6:7]
	s_and_saveexec_b64 s[6:7], s[4:5]
	s_cbranch_execnz .LBB52_1907
	s_branch .LBB52_1908
.LBB52_3957:
	s_movk_i32 s4, 0x80
	v_cmp_eq_u16_e32 vcc, s4, v9
	s_mov_b64 s[4:5], -1
                                        ; implicit-def: $sgpr10
	s_and_saveexec_b64 s[8:9], vcc
; %bb.3958:
	s_mov_b32 s10, 0x7f800001
	s_xor_b64 s[4:5], exec, -1
; %bb.3959:
	s_or_b64 exec, exec, s[8:9]
	s_and_b64 s[4:5], s[4:5], exec
                                        ; implicit-def: $vgpr9
	s_or_saveexec_b64 s[6:7], s[6:7]
	v_mov_b32_e32 v10, s10
	s_xor_b64 exec, exec, s[6:7]
	s_cbranch_execz .LBB52_1910
.LBB52_3960:
	v_cmp_ne_u16_e32 vcc, 0, v9
	s_andn2_b64 s[4:5], s[4:5], exec
	s_and_b64 s[8:9], vcc, exec
	v_mov_b32_e32 v10, 0
	s_or_b64 s[4:5], s[4:5], s[8:9]
	s_or_b64 exec, exec, s[6:7]
	s_and_saveexec_b64 s[6:7], s[4:5]
	s_cbranch_execnz .LBB52_1911
	s_branch .LBB52_1912
.LBB52_3961:
	s_movk_i32 s4, 0x80
	v_cmp_eq_u16_sdwa s[12:13], v15, s4 src0_sel:BYTE_3 src1_sel:DWORD
	s_mov_b64 s[4:5], -1
                                        ; implicit-def: $sgpr10
	s_and_saveexec_b64 s[8:9], s[12:13]
; %bb.3962:
	s_mov_b32 s10, 0x7f800001
	s_xor_b64 s[4:5], exec, -1
; %bb.3963:
	s_or_b64 exec, exec, s[8:9]
	s_and_b64 s[4:5], s[4:5], exec
	s_or_saveexec_b64 s[6:7], s[6:7]
	v_mov_b32_e32 v8, s10
	s_xor_b64 exec, exec, s[6:7]
	s_cbranch_execz .LBB52_1914
.LBB52_3964:
	v_mov_b32_e32 v8, 0
	v_cmp_ne_u16_sdwa s[8:9], v15, v8 src0_sel:BYTE_3 src1_sel:DWORD
	s_andn2_b64 s[4:5], s[4:5], exec
	s_and_b64 s[8:9], s[8:9], exec
	s_or_b64 s[4:5], s[4:5], s[8:9]
	s_or_b64 exec, exec, s[6:7]
	s_and_saveexec_b64 s[6:7], s[4:5]
	s_cbranch_execnz .LBB52_1915
	s_branch .LBB52_1916
.LBB52_3965:
	s_movk_i32 s4, 0x80
	v_cmp_eq_u16_sdwa s[12:13], v11, s4 src0_sel:BYTE_3 src1_sel:DWORD
	s_mov_b64 s[4:5], -1
                                        ; implicit-def: $sgpr10
	s_and_saveexec_b64 s[8:9], s[12:13]
; %bb.3966:
	s_mov_b32 s10, 0x7f800001
	s_xor_b64 s[4:5], exec, -1
; %bb.3967:
	s_or_b64 exec, exec, s[8:9]
	s_and_b64 s[4:5], s[4:5], exec
	s_or_saveexec_b64 s[6:7], s[6:7]
	v_mov_b32_e32 v9, s10
	s_xor_b64 exec, exec, s[6:7]
	s_cbranch_execz .LBB52_1918
.LBB52_3968:
	v_mov_b32_e32 v9, 0
	v_cmp_ne_u16_sdwa s[8:9], v11, v9 src0_sel:BYTE_3 src1_sel:DWORD
	s_andn2_b64 s[4:5], s[4:5], exec
	s_and_b64 s[8:9], s[8:9], exec
	s_or_b64 s[4:5], s[4:5], s[8:9]
	s_or_b64 exec, exec, s[6:7]
	s_and_saveexec_b64 s[6:7], s[4:5]
	s_cbranch_execnz .LBB52_1919
	s_branch .LBB52_1920
.LBB52_3969:
	s_movk_i32 s4, 0x80
	v_cmp_eq_u16_sdwa s[12:13], v4, s4 src0_sel:BYTE_0 src1_sel:DWORD
	s_mov_b64 s[4:5], -1
                                        ; implicit-def: $sgpr10
	s_and_saveexec_b64 s[8:9], s[12:13]
; %bb.3970:
	s_mov_b32 s10, 0x7f800001
	s_xor_b64 s[4:5], exec, -1
; %bb.3971:
	s_or_b64 exec, exec, s[8:9]
	s_and_b64 s[4:5], s[4:5], exec
	s_or_saveexec_b64 s[6:7], s[6:7]
	v_mov_b32_e32 v8, s10
	s_xor_b64 exec, exec, s[6:7]
	s_cbranch_execz .LBB52_1922
.LBB52_3972:
	v_mov_b32_e32 v8, 0
	v_cmp_ne_u16_sdwa s[8:9], v4, v8 src0_sel:BYTE_0 src1_sel:DWORD
	s_andn2_b64 s[4:5], s[4:5], exec
	s_and_b64 s[8:9], s[8:9], exec
	s_or_b64 s[4:5], s[4:5], s[8:9]
	s_or_b64 exec, exec, s[6:7]
	s_and_saveexec_b64 s[6:7], s[4:5]
	s_cbranch_execnz .LBB52_1923
	s_branch .LBB52_1924
.LBB52_3973:
	s_movk_i32 s4, 0x80
	v_cmp_eq_u16_sdwa s[12:13], v0, s4 src0_sel:BYTE_0 src1_sel:DWORD
	s_mov_b64 s[4:5], -1
                                        ; implicit-def: $sgpr10
	s_and_saveexec_b64 s[8:9], s[12:13]
; %bb.3974:
	s_mov_b32 s10, 0x7f800001
	s_xor_b64 s[4:5], exec, -1
; %bb.3975:
	s_or_b64 exec, exec, s[8:9]
	s_and_b64 s[4:5], s[4:5], exec
	s_or_saveexec_b64 s[6:7], s[6:7]
	v_mov_b32_e32 v9, s10
	s_xor_b64 exec, exec, s[6:7]
	s_cbranch_execz .LBB52_1926
.LBB52_3976:
	v_mov_b32_e32 v9, 0
	v_cmp_ne_u16_sdwa s[8:9], v0, v9 src0_sel:BYTE_0 src1_sel:DWORD
	s_andn2_b64 s[4:5], s[4:5], exec
	s_and_b64 s[8:9], s[8:9], exec
	s_or_b64 s[4:5], s[4:5], s[8:9]
	s_or_b64 exec, exec, s[6:7]
	s_and_saveexec_b64 s[6:7], s[4:5]
	s_cbranch_execnz .LBB52_1927
	s_branch .LBB52_1928
.LBB52_3977:
	s_movk_i32 s4, 0x80
	v_cmp_eq_u16_sdwa s[12:13], v9, s4 src0_sel:BYTE_0 src1_sel:DWORD
	s_mov_b64 s[4:5], -1
                                        ; implicit-def: $sgpr10
	s_and_saveexec_b64 s[8:9], s[12:13]
; %bb.3978:
	s_mov_b32 s10, 0x7f800001
	s_xor_b64 s[4:5], exec, -1
; %bb.3979:
	s_or_b64 exec, exec, s[8:9]
	s_and_b64 s[4:5], s[4:5], exec
	s_or_saveexec_b64 s[6:7], s[6:7]
	v_mov_b32_e32 v8, s10
	s_xor_b64 exec, exec, s[6:7]
	s_cbranch_execz .LBB52_1930
.LBB52_3980:
	v_mov_b32_e32 v8, 0
	v_cmp_ne_u16_sdwa s[8:9], v9, v8 src0_sel:BYTE_0 src1_sel:DWORD
	s_andn2_b64 s[4:5], s[4:5], exec
	s_and_b64 s[8:9], s[8:9], exec
	s_or_b64 s[4:5], s[4:5], s[8:9]
	s_or_b64 exec, exec, s[6:7]
	s_and_saveexec_b64 s[6:7], s[4:5]
	s_cbranch_execnz .LBB52_1931
	s_branch .LBB52_1932
.LBB52_3981:
	s_movk_i32 s4, 0x80
	v_cmp_eq_u16_sdwa s[12:13], v9, s4 src0_sel:BYTE_0 src1_sel:DWORD
	s_mov_b64 s[4:5], -1
                                        ; implicit-def: $sgpr10
	s_and_saveexec_b64 s[8:9], s[12:13]
; %bb.3982:
	s_mov_b32 s10, 0x7f800001
	s_xor_b64 s[4:5], exec, -1
; %bb.3983:
	s_or_b64 exec, exec, s[8:9]
	s_and_b64 s[4:5], s[4:5], exec
	s_or_saveexec_b64 s[6:7], s[6:7]
	v_mov_b32_e32 v10, s10
	s_xor_b64 exec, exec, s[6:7]
	s_cbranch_execz .LBB52_1934
.LBB52_3984:
	v_mov_b32_e32 v10, 0
	v_cmp_ne_u16_sdwa s[8:9], v9, v10 src0_sel:BYTE_0 src1_sel:DWORD
	s_andn2_b64 s[4:5], s[4:5], exec
	s_and_b64 s[8:9], s[8:9], exec
	s_or_b64 s[4:5], s[4:5], s[8:9]
	s_or_b64 exec, exec, s[6:7]
	s_and_saveexec_b64 s[6:7], s[4:5]
	s_cbranch_execnz .LBB52_1935
	s_branch .LBB52_1936
.LBB52_3985:
	s_movk_i32 s4, 0x80
	v_cmp_eq_u16_e32 vcc, s4, v9
	s_mov_b64 s[4:5], -1
                                        ; implicit-def: $sgpr10
	s_and_saveexec_b64 s[8:9], vcc
; %bb.3986:
	s_mov_b32 s10, 0x7f800001
	s_xor_b64 s[4:5], exec, -1
; %bb.3987:
	s_or_b64 exec, exec, s[8:9]
	s_and_b64 s[4:5], s[4:5], exec
                                        ; implicit-def: $vgpr9
	s_or_saveexec_b64 s[6:7], s[6:7]
	v_mov_b32_e32 v8, s10
	s_xor_b64 exec, exec, s[6:7]
	s_cbranch_execz .LBB52_1938
.LBB52_3988:
	v_cmp_ne_u16_e32 vcc, 0, v9
	s_andn2_b64 s[4:5], s[4:5], exec
	s_and_b64 s[8:9], vcc, exec
	v_mov_b32_e32 v8, 0
	s_or_b64 s[4:5], s[4:5], s[8:9]
	s_or_b64 exec, exec, s[6:7]
	s_and_saveexec_b64 s[6:7], s[4:5]
	s_cbranch_execnz .LBB52_1939
	s_branch .LBB52_1940
.LBB52_3989:
	s_movk_i32 s4, 0x80
	v_cmp_eq_u16_e32 vcc, s4, v9
	s_mov_b64 s[4:5], -1
                                        ; implicit-def: $sgpr10
	s_and_saveexec_b64 s[8:9], vcc
; %bb.3990:
	s_mov_b32 s10, 0x7f800001
	s_xor_b64 s[4:5], exec, -1
; %bb.3991:
	s_or_b64 exec, exec, s[8:9]
	s_and_b64 s[4:5], s[4:5], exec
                                        ; implicit-def: $vgpr9
	s_or_saveexec_b64 s[6:7], s[6:7]
	v_mov_b32_e32 v10, s10
	s_xor_b64 exec, exec, s[6:7]
	s_cbranch_execz .LBB52_1942
.LBB52_3992:
	v_cmp_ne_u16_e32 vcc, 0, v9
	s_andn2_b64 s[4:5], s[4:5], exec
	s_and_b64 s[8:9], vcc, exec
	v_mov_b32_e32 v10, 0
	s_or_b64 s[4:5], s[4:5], s[8:9]
	s_or_b64 exec, exec, s[6:7]
	s_and_saveexec_b64 s[6:7], s[4:5]
	s_cbranch_execnz .LBB52_1943
	s_branch .LBB52_1944
.LBB52_3993:
	s_movk_i32 s4, 0x80
	v_cmp_eq_u16_sdwa s[12:13], v4, s4 src0_sel:BYTE_3 src1_sel:DWORD
	s_mov_b64 s[4:5], -1
                                        ; implicit-def: $sgpr10
	s_and_saveexec_b64 s[8:9], s[12:13]
; %bb.3994:
	s_mov_b32 s10, 0x7f800001
	s_xor_b64 s[4:5], exec, -1
; %bb.3995:
	s_or_b64 exec, exec, s[8:9]
	s_and_b64 s[4:5], s[4:5], exec
	s_or_saveexec_b64 s[6:7], s[6:7]
	v_mov_b32_e32 v8, s10
	s_xor_b64 exec, exec, s[6:7]
	s_cbranch_execz .LBB52_1946
.LBB52_3996:
	v_mov_b32_e32 v8, 0
	v_cmp_ne_u16_sdwa s[8:9], v4, v8 src0_sel:BYTE_3 src1_sel:DWORD
	s_andn2_b64 s[4:5], s[4:5], exec
	s_and_b64 s[8:9], s[8:9], exec
	s_or_b64 s[4:5], s[4:5], s[8:9]
	s_or_b64 exec, exec, s[6:7]
	s_and_saveexec_b64 s[6:7], s[4:5]
	s_cbranch_execnz .LBB52_1947
	s_branch .LBB52_1948
.LBB52_3997:
	s_movk_i32 s4, 0x80
	v_cmp_eq_u16_sdwa s[12:13], v0, s4 src0_sel:BYTE_3 src1_sel:DWORD
	s_mov_b64 s[4:5], -1
                                        ; implicit-def: $sgpr10
	s_and_saveexec_b64 s[8:9], s[12:13]
; %bb.3998:
	s_mov_b32 s10, 0x7f800001
	s_xor_b64 s[4:5], exec, -1
; %bb.3999:
	s_or_b64 exec, exec, s[8:9]
	s_and_b64 s[4:5], s[4:5], exec
	s_or_saveexec_b64 s[6:7], s[6:7]
	v_mov_b32_e32 v4, s10
	s_xor_b64 exec, exec, s[6:7]
	s_cbranch_execz .LBB52_1950
.LBB52_4000:
	v_mov_b32_e32 v4, 0
	v_cmp_ne_u16_sdwa s[8:9], v0, v4 src0_sel:BYTE_3 src1_sel:DWORD
	s_andn2_b64 s[4:5], s[4:5], exec
	s_and_b64 s[8:9], s[8:9], exec
	s_or_b64 s[4:5], s[4:5], s[8:9]
	s_or_b64 exec, exec, s[6:7]
	s_and_saveexec_b64 s[6:7], s[4:5]
	s_cbranch_execnz .LBB52_1951
	s_branch .LBB52_1952
.LBB52_4001:
	s_movk_i32 s4, 0x80
	v_cmp_eq_u16_sdwa s[12:13], v5, s4 src0_sel:BYTE_0 src1_sel:DWORD
	s_mov_b64 s[4:5], -1
                                        ; implicit-def: $sgpr10
	s_and_saveexec_b64 s[8:9], s[12:13]
; %bb.4002:
	s_mov_b32 s10, 0x7f800001
	s_xor_b64 s[4:5], exec, -1
; %bb.4003:
	s_or_b64 exec, exec, s[8:9]
	s_and_b64 s[4:5], s[4:5], exec
	s_or_saveexec_b64 s[6:7], s[6:7]
	v_mov_b32_e32 v0, s10
	s_xor_b64 exec, exec, s[6:7]
	s_cbranch_execz .LBB52_1954
.LBB52_4004:
	v_mov_b32_e32 v0, 0
	v_cmp_ne_u16_sdwa s[8:9], v5, v0 src0_sel:BYTE_0 src1_sel:DWORD
	s_andn2_b64 s[4:5], s[4:5], exec
	s_and_b64 s[8:9], s[8:9], exec
	s_or_b64 s[4:5], s[4:5], s[8:9]
	s_or_b64 exec, exec, s[6:7]
	s_and_saveexec_b64 s[6:7], s[4:5]
	s_cbranch_execnz .LBB52_1955
	s_branch .LBB52_1956
.LBB52_4005:
	s_movk_i32 s4, 0x80
	v_cmp_eq_u16_sdwa s[12:13], v1, s4 src0_sel:BYTE_0 src1_sel:DWORD
	s_mov_b64 s[4:5], -1
                                        ; implicit-def: $sgpr10
	s_and_saveexec_b64 s[8:9], s[12:13]
; %bb.4006:
	s_mov_b32 s10, 0x7f800001
	s_xor_b64 s[4:5], exec, -1
; %bb.4007:
	s_or_b64 exec, exec, s[8:9]
	s_and_b64 s[4:5], s[4:5], exec
	s_or_saveexec_b64 s[6:7], s[6:7]
	v_mov_b32_e32 v4, s10
	s_xor_b64 exec, exec, s[6:7]
	s_cbranch_execz .LBB52_1958
.LBB52_4008:
	v_mov_b32_e32 v4, 0
	v_cmp_ne_u16_sdwa s[8:9], v1, v4 src0_sel:BYTE_0 src1_sel:DWORD
	s_andn2_b64 s[4:5], s[4:5], exec
	s_and_b64 s[8:9], s[8:9], exec
	s_or_b64 s[4:5], s[4:5], s[8:9]
	s_or_b64 exec, exec, s[6:7]
	s_and_saveexec_b64 s[6:7], s[4:5]
	s_cbranch_execnz .LBB52_1959
	s_branch .LBB52_1960
.LBB52_4009:
	s_movk_i32 s4, 0x80
	v_cmp_eq_u16_sdwa s[12:13], v4, s4 src0_sel:BYTE_0 src1_sel:DWORD
	s_mov_b64 s[4:5], -1
                                        ; implicit-def: $sgpr10
	s_and_saveexec_b64 s[8:9], s[12:13]
; %bb.4010:
	s_mov_b32 s10, 0x7f800001
	s_xor_b64 s[4:5], exec, -1
; %bb.4011:
	s_or_b64 exec, exec, s[8:9]
	s_and_b64 s[4:5], s[4:5], exec
	s_or_saveexec_b64 s[6:7], s[6:7]
	v_mov_b32_e32 v0, s10
	s_xor_b64 exec, exec, s[6:7]
	s_cbranch_execz .LBB52_1962
.LBB52_4012:
	v_mov_b32_e32 v0, 0
	v_cmp_ne_u16_sdwa s[8:9], v4, v0 src0_sel:BYTE_0 src1_sel:DWORD
	s_andn2_b64 s[4:5], s[4:5], exec
	s_and_b64 s[8:9], s[8:9], exec
	s_or_b64 s[4:5], s[4:5], s[8:9]
	s_or_b64 exec, exec, s[6:7]
	s_and_saveexec_b64 s[6:7], s[4:5]
	s_cbranch_execnz .LBB52_1963
	s_branch .LBB52_1964
.LBB52_4013:
	s_movk_i32 s4, 0x80
	v_cmp_eq_u16_sdwa s[12:13], v4, s4 src0_sel:BYTE_0 src1_sel:DWORD
	s_mov_b64 s[4:5], -1
                                        ; implicit-def: $sgpr10
	s_and_saveexec_b64 s[8:9], s[12:13]
; %bb.4014:
	s_mov_b32 s10, 0x7f800001
	s_xor_b64 s[4:5], exec, -1
; %bb.4015:
	s_or_b64 exec, exec, s[8:9]
	s_and_b64 s[4:5], s[4:5], exec
	s_or_saveexec_b64 s[6:7], s[6:7]
	v_mov_b32_e32 v8, s10
	s_xor_b64 exec, exec, s[6:7]
	s_cbranch_execz .LBB52_1966
.LBB52_4016:
	v_mov_b32_e32 v8, 0
	v_cmp_ne_u16_sdwa s[8:9], v4, v8 src0_sel:BYTE_0 src1_sel:DWORD
	s_andn2_b64 s[4:5], s[4:5], exec
	s_and_b64 s[8:9], s[8:9], exec
	s_or_b64 s[4:5], s[4:5], s[8:9]
	s_or_b64 exec, exec, s[6:7]
	s_and_saveexec_b64 s[6:7], s[4:5]
	s_cbranch_execnz .LBB52_1967
	s_branch .LBB52_1968
.LBB52_4017:
	s_movk_i32 s4, 0x80
	v_cmp_eq_u16_e32 vcc, s4, v4
	s_mov_b64 s[4:5], -1
                                        ; implicit-def: $sgpr10
	s_and_saveexec_b64 s[8:9], vcc
; %bb.4018:
	s_mov_b32 s10, 0x7f800001
	s_xor_b64 s[4:5], exec, -1
; %bb.4019:
	s_or_b64 exec, exec, s[8:9]
	s_and_b64 s[4:5], s[4:5], exec
                                        ; implicit-def: $vgpr4
	s_or_saveexec_b64 s[6:7], s[6:7]
	v_mov_b32_e32 v0, s10
	s_xor_b64 exec, exec, s[6:7]
	s_cbranch_execz .LBB52_1970
.LBB52_4020:
	v_cmp_ne_u16_e32 vcc, 0, v4
	s_andn2_b64 s[4:5], s[4:5], exec
	s_and_b64 s[8:9], vcc, exec
	v_mov_b32_e32 v0, 0
	s_or_b64 s[4:5], s[4:5], s[8:9]
	s_or_b64 exec, exec, s[6:7]
	s_and_saveexec_b64 s[6:7], s[4:5]
	s_cbranch_execnz .LBB52_1971
	s_branch .LBB52_1972
.LBB52_4021:
	s_movk_i32 s4, 0x80
	v_cmp_eq_u16_e32 vcc, s4, v4
	s_mov_b64 s[4:5], -1
                                        ; implicit-def: $sgpr10
	s_and_saveexec_b64 s[8:9], vcc
; %bb.4022:
	s_mov_b32 s10, 0x7f800001
	s_xor_b64 s[4:5], exec, -1
; %bb.4023:
	s_or_b64 exec, exec, s[8:9]
	s_and_b64 s[4:5], s[4:5], exec
                                        ; implicit-def: $vgpr4
	s_or_saveexec_b64 s[6:7], s[6:7]
	v_mov_b32_e32 v8, s10
	s_xor_b64 exec, exec, s[6:7]
	s_cbranch_execz .LBB52_1974
.LBB52_4024:
	v_cmp_ne_u16_e32 vcc, 0, v4
	s_andn2_b64 s[4:5], s[4:5], exec
	s_and_b64 s[8:9], vcc, exec
	v_mov_b32_e32 v8, 0
	s_or_b64 s[4:5], s[4:5], s[8:9]
	s_or_b64 exec, exec, s[6:7]
	s_and_saveexec_b64 s[6:7], s[4:5]
	s_cbranch_execnz .LBB52_1975
	s_branch .LBB52_1976
.LBB52_4025:
	s_movk_i32 s4, 0x80
	v_cmp_eq_u16_sdwa s[12:13], v5, s4 src0_sel:BYTE_3 src1_sel:DWORD
	s_mov_b64 s[4:5], -1
                                        ; implicit-def: $sgpr10
	s_and_saveexec_b64 s[8:9], s[12:13]
; %bb.4026:
	s_mov_b32 s10, 0x7f800001
	s_xor_b64 s[4:5], exec, -1
; %bb.4027:
	s_or_b64 exec, exec, s[8:9]
	s_and_b64 s[4:5], s[4:5], exec
	s_or_saveexec_b64 s[6:7], s[6:7]
	v_mov_b32_e32 v0, s10
	s_xor_b64 exec, exec, s[6:7]
	s_cbranch_execz .LBB52_1978
.LBB52_4028:
	v_mov_b32_e32 v0, 0
	v_cmp_ne_u16_sdwa s[8:9], v5, v0 src0_sel:BYTE_3 src1_sel:DWORD
	s_andn2_b64 s[4:5], s[4:5], exec
	s_and_b64 s[8:9], s[8:9], exec
	s_or_b64 s[4:5], s[4:5], s[8:9]
	s_or_b64 exec, exec, s[6:7]
	s_and_saveexec_b64 s[6:7], s[4:5]
	s_cbranch_execnz .LBB52_1979
	s_branch .LBB52_1980
.LBB52_4029:
	s_movk_i32 s4, 0x80
	v_cmp_eq_u16_sdwa s[12:13], v1, s4 src0_sel:BYTE_3 src1_sel:DWORD
	s_mov_b64 s[4:5], -1
                                        ; implicit-def: $sgpr10
	s_and_saveexec_b64 s[8:9], s[12:13]
; %bb.4030:
	s_mov_b32 s10, 0x7f800001
	s_xor_b64 s[4:5], exec, -1
; %bb.4031:
	s_or_b64 exec, exec, s[8:9]
	s_and_b64 s[4:5], s[4:5], exec
	s_or_saveexec_b64 s[6:7], s[6:7]
	v_mov_b32_e32 v4, s10
	s_xor_b64 exec, exec, s[6:7]
	s_cbranch_execz .LBB52_1982
.LBB52_4032:
	v_mov_b32_e32 v4, 0
	v_cmp_ne_u16_sdwa s[8:9], v1, v4 src0_sel:BYTE_3 src1_sel:DWORD
	s_andn2_b64 s[4:5], s[4:5], exec
	s_and_b64 s[8:9], s[8:9], exec
	s_or_b64 s[4:5], s[4:5], s[8:9]
	s_or_b64 exec, exec, s[6:7]
	s_and_saveexec_b64 s[6:7], s[4:5]
	s_cbranch_execnz .LBB52_1983
	s_branch .LBB52_1984
.LBB52_4033:
	s_movk_i32 s4, 0x80
	v_cmp_eq_u16_sdwa s[12:13], v6, s4 src0_sel:BYTE_0 src1_sel:DWORD
	s_mov_b64 s[4:5], -1
                                        ; implicit-def: $sgpr10
	s_and_saveexec_b64 s[8:9], s[12:13]
; %bb.4034:
	s_mov_b32 s10, 0x7f800001
	s_xor_b64 s[4:5], exec, -1
; %bb.4035:
	s_or_b64 exec, exec, s[8:9]
	s_and_b64 s[4:5], s[4:5], exec
	s_or_saveexec_b64 s[6:7], s[6:7]
	v_mov_b32_e32 v0, s10
	s_xor_b64 exec, exec, s[6:7]
	s_cbranch_execz .LBB52_1986
.LBB52_4036:
	v_mov_b32_e32 v0, 0
	v_cmp_ne_u16_sdwa s[8:9], v6, v0 src0_sel:BYTE_0 src1_sel:DWORD
	s_andn2_b64 s[4:5], s[4:5], exec
	s_and_b64 s[8:9], s[8:9], exec
	s_or_b64 s[4:5], s[4:5], s[8:9]
	s_or_b64 exec, exec, s[6:7]
	s_and_saveexec_b64 s[6:7], s[4:5]
	s_cbranch_execnz .LBB52_1987
	s_branch .LBB52_1988
.LBB52_4037:
	s_movk_i32 s4, 0x80
	v_cmp_eq_u16_sdwa s[12:13], v2, s4 src0_sel:BYTE_0 src1_sel:DWORD
	s_mov_b64 s[4:5], -1
                                        ; implicit-def: $sgpr10
	s_and_saveexec_b64 s[8:9], s[12:13]
; %bb.4038:
	s_mov_b32 s10, 0x7f800001
	s_xor_b64 s[4:5], exec, -1
; %bb.4039:
	s_or_b64 exec, exec, s[8:9]
	s_and_b64 s[4:5], s[4:5], exec
	s_or_saveexec_b64 s[6:7], s[6:7]
	v_mov_b32_e32 v1, s10
	s_xor_b64 exec, exec, s[6:7]
	s_cbranch_execz .LBB52_1990
.LBB52_4040:
	v_mov_b32_e32 v1, 0
	v_cmp_ne_u16_sdwa s[8:9], v2, v1 src0_sel:BYTE_0 src1_sel:DWORD
	s_andn2_b64 s[4:5], s[4:5], exec
	s_and_b64 s[8:9], s[8:9], exec
	s_or_b64 s[4:5], s[4:5], s[8:9]
	s_or_b64 exec, exec, s[6:7]
	s_and_saveexec_b64 s[6:7], s[4:5]
	s_cbranch_execnz .LBB52_1991
	s_branch .LBB52_1992
.LBB52_4041:
	s_movk_i32 s4, 0x80
	v_cmp_eq_u16_sdwa s[12:13], v1, s4 src0_sel:BYTE_0 src1_sel:DWORD
	s_mov_b64 s[4:5], -1
                                        ; implicit-def: $sgpr10
	s_and_saveexec_b64 s[8:9], s[12:13]
; %bb.4042:
	s_mov_b32 s10, 0x7f800001
	s_xor_b64 s[4:5], exec, -1
; %bb.4043:
	s_or_b64 exec, exec, s[8:9]
	s_and_b64 s[4:5], s[4:5], exec
	s_or_saveexec_b64 s[6:7], s[6:7]
	v_mov_b32_e32 v0, s10
	s_xor_b64 exec, exec, s[6:7]
	s_cbranch_execz .LBB52_1994
.LBB52_4044:
	v_mov_b32_e32 v0, 0
	v_cmp_ne_u16_sdwa s[8:9], v1, v0 src0_sel:BYTE_0 src1_sel:DWORD
	s_andn2_b64 s[4:5], s[4:5], exec
	s_and_b64 s[8:9], s[8:9], exec
	s_or_b64 s[4:5], s[4:5], s[8:9]
	s_or_b64 exec, exec, s[6:7]
	s_and_saveexec_b64 s[6:7], s[4:5]
	s_cbranch_execnz .LBB52_1995
	s_branch .LBB52_1996
.LBB52_4045:
	s_movk_i32 s4, 0x80
	v_cmp_eq_u16_sdwa s[12:13], v1, s4 src0_sel:BYTE_0 src1_sel:DWORD
	s_mov_b64 s[4:5], -1
                                        ; implicit-def: $sgpr10
	s_and_saveexec_b64 s[8:9], s[12:13]
; %bb.4046:
	s_mov_b32 s10, 0x7f800001
	s_xor_b64 s[4:5], exec, -1
; %bb.4047:
	s_or_b64 exec, exec, s[8:9]
	s_and_b64 s[4:5], s[4:5], exec
	s_or_saveexec_b64 s[6:7], s[6:7]
	v_mov_b32_e32 v4, s10
	s_xor_b64 exec, exec, s[6:7]
	s_cbranch_execz .LBB52_1998
.LBB52_4048:
	v_mov_b32_e32 v4, 0
	v_cmp_ne_u16_sdwa s[8:9], v1, v4 src0_sel:BYTE_0 src1_sel:DWORD
	s_andn2_b64 s[4:5], s[4:5], exec
	s_and_b64 s[8:9], s[8:9], exec
	s_or_b64 s[4:5], s[4:5], s[8:9]
	s_or_b64 exec, exec, s[6:7]
	s_and_saveexec_b64 s[6:7], s[4:5]
	s_cbranch_execnz .LBB52_1999
	s_branch .LBB52_2000
.LBB52_4049:
	s_movk_i32 s4, 0x80
	v_cmp_eq_u16_e32 vcc, s4, v1
	s_mov_b64 s[4:5], -1
                                        ; implicit-def: $sgpr10
	s_and_saveexec_b64 s[8:9], vcc
; %bb.4050:
	s_mov_b32 s10, 0x7f800001
	s_xor_b64 s[4:5], exec, -1
; %bb.4051:
	s_or_b64 exec, exec, s[8:9]
	s_and_b64 s[4:5], s[4:5], exec
                                        ; implicit-def: $vgpr1
	s_or_saveexec_b64 s[6:7], s[6:7]
	v_mov_b32_e32 v0, s10
	s_xor_b64 exec, exec, s[6:7]
	s_cbranch_execz .LBB52_2002
.LBB52_4052:
	v_cmp_ne_u16_e32 vcc, 0, v1
	s_andn2_b64 s[4:5], s[4:5], exec
	s_and_b64 s[8:9], vcc, exec
	v_mov_b32_e32 v0, 0
	s_or_b64 s[4:5], s[4:5], s[8:9]
	s_or_b64 exec, exec, s[6:7]
	s_and_saveexec_b64 s[6:7], s[4:5]
	s_cbranch_execnz .LBB52_2003
	s_branch .LBB52_2004
.LBB52_4053:
	s_movk_i32 s4, 0x80
	v_cmp_eq_u16_e32 vcc, s4, v1
	s_mov_b64 s[4:5], -1
                                        ; implicit-def: $sgpr10
	s_and_saveexec_b64 s[8:9], vcc
; %bb.4054:
	s_mov_b32 s10, 0x7f800001
	s_xor_b64 s[4:5], exec, -1
; %bb.4055:
	s_or_b64 exec, exec, s[8:9]
	s_and_b64 s[4:5], s[4:5], exec
                                        ; implicit-def: $vgpr1
	s_or_saveexec_b64 s[6:7], s[6:7]
	v_mov_b32_e32 v4, s10
	s_xor_b64 exec, exec, s[6:7]
	s_cbranch_execz .LBB52_2006
.LBB52_4056:
	v_cmp_ne_u16_e32 vcc, 0, v1
	s_andn2_b64 s[4:5], s[4:5], exec
	s_and_b64 s[8:9], vcc, exec
	v_mov_b32_e32 v4, 0
	s_or_b64 s[4:5], s[4:5], s[8:9]
	s_or_b64 exec, exec, s[6:7]
	s_and_saveexec_b64 s[6:7], s[4:5]
	s_cbranch_execnz .LBB52_2007
	s_branch .LBB52_2008
.LBB52_4057:
	s_movk_i32 s4, 0x80
	v_cmp_eq_u16_sdwa s[12:13], v6, s4 src0_sel:BYTE_3 src1_sel:DWORD
	s_mov_b64 s[4:5], -1
                                        ; implicit-def: $sgpr10
	s_and_saveexec_b64 s[8:9], s[12:13]
; %bb.4058:
	s_mov_b32 s10, 0x7f800001
	s_xor_b64 s[4:5], exec, -1
; %bb.4059:
	s_or_b64 exec, exec, s[8:9]
	s_and_b64 s[4:5], s[4:5], exec
	s_or_saveexec_b64 s[6:7], s[6:7]
	v_mov_b32_e32 v0, s10
	s_xor_b64 exec, exec, s[6:7]
	s_cbranch_execz .LBB52_2010
.LBB52_4060:
	v_mov_b32_e32 v0, 0
	v_cmp_ne_u16_sdwa s[8:9], v6, v0 src0_sel:BYTE_3 src1_sel:DWORD
	s_andn2_b64 s[4:5], s[4:5], exec
	s_and_b64 s[8:9], s[8:9], exec
	s_or_b64 s[4:5], s[4:5], s[8:9]
	s_or_b64 exec, exec, s[6:7]
	s_and_saveexec_b64 s[6:7], s[4:5]
	s_cbranch_execnz .LBB52_2011
	s_branch .LBB52_2012
.LBB52_4061:
	s_movk_i32 s4, 0x80
	v_cmp_eq_u16_sdwa s[12:13], v2, s4 src0_sel:BYTE_3 src1_sel:DWORD
	s_mov_b64 s[4:5], -1
                                        ; implicit-def: $sgpr10
	s_and_saveexec_b64 s[8:9], s[12:13]
; %bb.4062:
	s_mov_b32 s10, 0x7f800001
	s_xor_b64 s[4:5], exec, -1
; %bb.4063:
	s_or_b64 exec, exec, s[8:9]
	s_and_b64 s[4:5], s[4:5], exec
	s_or_saveexec_b64 s[6:7], s[6:7]
	v_mov_b32_e32 v1, s10
	s_xor_b64 exec, exec, s[6:7]
	s_cbranch_execz .LBB52_2014
.LBB52_4064:
	v_mov_b32_e32 v1, 0
	v_cmp_ne_u16_sdwa s[8:9], v2, v1 src0_sel:BYTE_3 src1_sel:DWORD
	s_andn2_b64 s[4:5], s[4:5], exec
	s_and_b64 s[8:9], s[8:9], exec
	s_or_b64 s[4:5], s[4:5], s[8:9]
	s_or_b64 exec, exec, s[6:7]
	s_and_saveexec_b64 s[6:7], s[4:5]
	s_cbranch_execnz .LBB52_2015
	s_branch .LBB52_2016
.LBB52_4065:
	s_movk_i32 s4, 0x80
	v_cmp_eq_u16_sdwa s[12:13], v7, s4 src0_sel:BYTE_0 src1_sel:DWORD
	s_mov_b64 s[4:5], -1
                                        ; implicit-def: $sgpr10
	s_and_saveexec_b64 s[8:9], s[12:13]
; %bb.4066:
	s_mov_b32 s10, 0x7f800001
	s_xor_b64 s[4:5], exec, -1
; %bb.4067:
	s_or_b64 exec, exec, s[8:9]
	s_and_b64 s[4:5], s[4:5], exec
	s_or_saveexec_b64 s[6:7], s[6:7]
	v_mov_b32_e32 v0, s10
	s_xor_b64 exec, exec, s[6:7]
	s_cbranch_execz .LBB52_2018
.LBB52_4068:
	v_mov_b32_e32 v0, 0
	v_cmp_ne_u16_sdwa s[8:9], v7, v0 src0_sel:BYTE_0 src1_sel:DWORD
	s_andn2_b64 s[4:5], s[4:5], exec
	s_and_b64 s[8:9], s[8:9], exec
	s_or_b64 s[4:5], s[4:5], s[8:9]
	s_or_b64 exec, exec, s[6:7]
	s_and_saveexec_b64 s[6:7], s[4:5]
	s_cbranch_execnz .LBB52_2019
	s_branch .LBB52_2020
.LBB52_4069:
	s_movk_i32 s4, 0x80
	v_cmp_eq_u16_sdwa s[12:13], v3, s4 src0_sel:BYTE_0 src1_sel:DWORD
	s_mov_b64 s[4:5], -1
                                        ; implicit-def: $sgpr10
	s_and_saveexec_b64 s[8:9], s[12:13]
; %bb.4070:
	s_mov_b32 s10, 0x7f800001
	s_xor_b64 s[4:5], exec, -1
; %bb.4071:
	s_or_b64 exec, exec, s[8:9]
	s_and_b64 s[4:5], s[4:5], exec
	s_or_saveexec_b64 s[6:7], s[6:7]
	v_mov_b32_e32 v1, s10
	s_xor_b64 exec, exec, s[6:7]
	s_cbranch_execz .LBB52_2022
.LBB52_4072:
	v_mov_b32_e32 v1, 0
	v_cmp_ne_u16_sdwa s[8:9], v3, v1 src0_sel:BYTE_0 src1_sel:DWORD
	s_andn2_b64 s[4:5], s[4:5], exec
	s_and_b64 s[8:9], s[8:9], exec
	s_or_b64 s[4:5], s[4:5], s[8:9]
	s_or_b64 exec, exec, s[6:7]
	s_and_saveexec_b64 s[6:7], s[4:5]
	s_cbranch_execnz .LBB52_2023
	s_branch .LBB52_2024
.LBB52_4073:
	s_movk_i32 s4, 0x80
	v_cmp_eq_u16_sdwa s[12:13], v1, s4 src0_sel:BYTE_0 src1_sel:DWORD
	s_mov_b64 s[4:5], -1
                                        ; implicit-def: $sgpr10
	s_and_saveexec_b64 s[8:9], s[12:13]
; %bb.4074:
	s_mov_b32 s10, 0x7f800001
	s_xor_b64 s[4:5], exec, -1
; %bb.4075:
	s_or_b64 exec, exec, s[8:9]
	s_and_b64 s[4:5], s[4:5], exec
	s_or_saveexec_b64 s[6:7], s[6:7]
	v_mov_b32_e32 v0, s10
	s_xor_b64 exec, exec, s[6:7]
	s_cbranch_execz .LBB52_2026
.LBB52_4076:
	v_mov_b32_e32 v0, 0
	v_cmp_ne_u16_sdwa s[8:9], v1, v0 src0_sel:BYTE_0 src1_sel:DWORD
	s_andn2_b64 s[4:5], s[4:5], exec
	s_and_b64 s[8:9], s[8:9], exec
	s_or_b64 s[4:5], s[4:5], s[8:9]
	s_or_b64 exec, exec, s[6:7]
	s_and_saveexec_b64 s[6:7], s[4:5]
	s_cbranch_execnz .LBB52_2027
	s_branch .LBB52_2028
.LBB52_4077:
	s_movk_i32 s4, 0x80
	v_cmp_eq_u16_sdwa s[12:13], v1, s4 src0_sel:BYTE_0 src1_sel:DWORD
	s_mov_b64 s[4:5], -1
                                        ; implicit-def: $sgpr10
	s_and_saveexec_b64 s[8:9], s[12:13]
; %bb.4078:
	s_mov_b32 s10, 0x7f800001
	s_xor_b64 s[4:5], exec, -1
; %bb.4079:
	s_or_b64 exec, exec, s[8:9]
	s_and_b64 s[4:5], s[4:5], exec
	s_or_saveexec_b64 s[6:7], s[6:7]
	v_mov_b32_e32 v2, s10
	s_xor_b64 exec, exec, s[6:7]
	s_cbranch_execz .LBB52_2030
.LBB52_4080:
	v_mov_b32_e32 v2, 0
	v_cmp_ne_u16_sdwa s[8:9], v1, v2 src0_sel:BYTE_0 src1_sel:DWORD
	s_andn2_b64 s[4:5], s[4:5], exec
	s_and_b64 s[8:9], s[8:9], exec
	s_or_b64 s[4:5], s[4:5], s[8:9]
	s_or_b64 exec, exec, s[6:7]
	s_and_saveexec_b64 s[6:7], s[4:5]
	s_cbranch_execnz .LBB52_2031
	s_branch .LBB52_2032
.LBB52_4081:
	s_movk_i32 s4, 0x80
	v_cmp_eq_u16_e32 vcc, s4, v1
	s_mov_b64 s[4:5], -1
                                        ; implicit-def: $sgpr10
	s_and_saveexec_b64 s[8:9], vcc
; %bb.4082:
	s_mov_b32 s10, 0x7f800001
	s_xor_b64 s[4:5], exec, -1
; %bb.4083:
	s_or_b64 exec, exec, s[8:9]
	s_and_b64 s[4:5], s[4:5], exec
                                        ; implicit-def: $vgpr1
	s_or_saveexec_b64 s[6:7], s[6:7]
	v_mov_b32_e32 v0, s10
	s_xor_b64 exec, exec, s[6:7]
	s_cbranch_execz .LBB52_2034
.LBB52_4084:
	v_cmp_ne_u16_e32 vcc, 0, v1
	s_andn2_b64 s[4:5], s[4:5], exec
	s_and_b64 s[8:9], vcc, exec
	v_mov_b32_e32 v0, 0
	s_or_b64 s[4:5], s[4:5], s[8:9]
	s_or_b64 exec, exec, s[6:7]
	s_and_saveexec_b64 s[6:7], s[4:5]
	s_cbranch_execnz .LBB52_2035
	s_branch .LBB52_2036
.LBB52_4085:
	s_movk_i32 s4, 0x80
	v_cmp_eq_u16_e32 vcc, s4, v1
	s_mov_b64 s[4:5], -1
                                        ; implicit-def: $sgpr10
	s_and_saveexec_b64 s[8:9], vcc
; %bb.4086:
	s_mov_b32 s10, 0x7f800001
	s_xor_b64 s[4:5], exec, -1
; %bb.4087:
	s_or_b64 exec, exec, s[8:9]
	s_and_b64 s[4:5], s[4:5], exec
                                        ; implicit-def: $vgpr1
	s_or_saveexec_b64 s[6:7], s[6:7]
	v_mov_b32_e32 v2, s10
	s_xor_b64 exec, exec, s[6:7]
	s_cbranch_execz .LBB52_2038
.LBB52_4088:
	v_cmp_ne_u16_e32 vcc, 0, v1
	s_andn2_b64 s[4:5], s[4:5], exec
	s_and_b64 s[8:9], vcc, exec
	v_mov_b32_e32 v2, 0
	s_or_b64 s[4:5], s[4:5], s[8:9]
	s_or_b64 exec, exec, s[6:7]
	s_and_saveexec_b64 s[6:7], s[4:5]
	s_cbranch_execnz .LBB52_2039
	s_branch .LBB52_2040
.LBB52_4089:
	s_movk_i32 s4, 0x80
	v_cmp_eq_u16_sdwa s[12:13], v7, s4 src0_sel:BYTE_3 src1_sel:DWORD
	s_mov_b64 s[4:5], -1
                                        ; implicit-def: $sgpr10
	s_and_saveexec_b64 s[8:9], s[12:13]
; %bb.4090:
	s_mov_b32 s10, 0x7f800001
	s_xor_b64 s[4:5], exec, -1
; %bb.4091:
	s_or_b64 exec, exec, s[8:9]
	s_and_b64 s[4:5], s[4:5], exec
	s_or_saveexec_b64 s[6:7], s[6:7]
	v_mov_b32_e32 v0, s10
	s_xor_b64 exec, exec, s[6:7]
	s_cbranch_execz .LBB52_2042
.LBB52_4092:
	v_mov_b32_e32 v0, 0
	v_cmp_ne_u16_sdwa s[8:9], v7, v0 src0_sel:BYTE_3 src1_sel:DWORD
	s_andn2_b64 s[4:5], s[4:5], exec
	s_and_b64 s[8:9], s[8:9], exec
	s_or_b64 s[4:5], s[4:5], s[8:9]
	s_or_b64 exec, exec, s[6:7]
	s_and_saveexec_b64 s[6:7], s[4:5]
	s_cbranch_execnz .LBB52_2043
	s_branch .LBB52_2044
.LBB52_4093:
	s_movk_i32 s4, 0x80
	v_cmp_eq_u16_sdwa s[12:13], v3, s4 src0_sel:BYTE_3 src1_sel:DWORD
	s_mov_b64 s[4:5], -1
                                        ; implicit-def: $sgpr10
	s_and_saveexec_b64 s[8:9], s[12:13]
; %bb.4094:
	s_mov_b32 s10, 0x7f800001
	s_xor_b64 s[4:5], exec, -1
; %bb.4095:
	s_or_b64 exec, exec, s[8:9]
	s_and_b64 s[4:5], s[4:5], exec
	s_or_saveexec_b64 s[6:7], s[6:7]
	v_mov_b32_e32 v1, s10
	s_xor_b64 exec, exec, s[6:7]
	s_cbranch_execz .LBB52_2046
.LBB52_4096:
	v_mov_b32_e32 v1, 0
	v_cmp_ne_u16_sdwa s[8:9], v3, v1 src0_sel:BYTE_3 src1_sel:DWORD
	s_andn2_b64 s[4:5], s[4:5], exec
	s_and_b64 s[8:9], s[8:9], exec
	s_or_b64 s[4:5], s[4:5], s[8:9]
	s_or_b64 exec, exec, s[6:7]
	s_and_saveexec_b64 s[6:7], s[4:5]
	s_cbranch_execnz .LBB52_2047
	s_branch .LBB52_2048
.Lfunc_end52:
	.size	_ZNK2ck6detail7applierIiJLi0ELi1ELi2ELi3ELi4ELi5ELi6ELi7EEEclIZNKS_11static_fordINS_8SequenceIJLi1ELi8EEEENS5_IJLi0ELi1EEEEEclIZZNKS_52BlockwiseGemmXdlops_pipeline_bpreshuffle_bdequant_v3ILNS_26BlockGemmPipelineSchedulerE0ELi256ENS_9f8_fnuz_tENS_7pk_i4_tESC_fNS_16TensorDescriptorINS_5TupleIJNS_5EmbedINSF_IJNS_17integral_constantIiLi8EEENSH_IiLi256EEENSH_IiLi16EEEEEENSF_IJSK_NSH_IiLi128EEENSH_IiLi1EEEEEELb0EEENS_3XorINSF_IJSJ_SI_EEELb1EEENS_11PassThroughISK_EENS_7UnMergeINSF_IJSI_SN_EEELb0EEENST_ISJ_EESU_NST_ISI_EENS_21Merge_v3_division_modINSF_IJSJ_SN_EEEEESU_EEENSF_IJNS5_IJLi0EEEENS5_IJLi2ELi1EEEENS5_IJLi3EEEENS5_IJLi5EEEENS5_IJLi4EEEENS5_IJLi6EEEENS5_IJLi7EEEENS5_IJLi9ELi8EEEENS5_IJLi10EEEEEEENSF_IJNS5_IJLi1ELi2ELi3EEEENS5_IJLi4ELi5EEEES19_NS5_IJLi7ELi8EEEENS5_IJLi9EEEES1C_NS5_IJLi11EEEENS5_IJLi12EEEENS5_IJLi13EEEEEEENS5_IJLi11ELi12ELi13EEEENSH_IlLl32768EEEEENSE_INSF_IJNSV_INSF_IJSI_SN_SN_NSH_IiLi32EEEEEELb0EEEEEENSF_IJS14_EEENSF_IJNS5_IJLi1ELi2ELi3ELi4EEEEEEES1U_NSH_IlLl256EEEEENSE_INSF_IJSP_SS_SU_SX_SY_SU_SZ_S12_SU_NS10_INSF_IJSI_SK_EEEEENSV_INSF_IJSI_NSH_IiLi2EEESK_EEELb0EEEEEENSF_IJS14_S15_S16_S17_S18_S19_S1A_S1B_S1C_NS5_IJLi11ELi13EEEES1J_EEENSF_IJS1E_S1F_S19_S1G_S1H_S1C_S1I_S1J_S1K_NS5_IJLi14EEEENS5_IJLi15ELi16ELi17EEEEEEENS5_IJLi15ELi16ELi17ELi14EEEES1N_EENSE_INSF_IJS1R_NS10_ISW_EES22_EEENSF_IJS14_NS5_IJLi1ELi3EEEENS5_IJLi2EEEEEEENSF_IJS1U_S17_NS5_IJLi6ELi7ELi8EEEEEEENS5_IJLi6ELi7ELi8ELi5EEEES1W_EELi16ELi32ELi256ELi256ELi128ELi16ELi16ELi8ELi8ELi32ELb0EE3RunILb1ELNS_10TailNumberE1ENSE_INSF_IJNSG_INSF_IJiiEEENSF_IJiSN_EEELb0EEENSV_IS2N_Lb0EEENST_IiEEEEENSF_IJS14_S2E_NS5_IJLi1EEEEEEENSF_IJNS5_IJLi1ELi2EEEENS5_IJLi3ELi4EEEES17_EEENS5_IJLi3ELi5ELi4EEEElEES1O_NS_35ThreadGroupTensorSliceTransfer_v4r1INS_15ThisThreadBlockILi256EEENS_16tensor_operation12element_wise11PassThroughES35_LNS_25InMemoryDataOperationEnumE0ENS5_IJLi8ELi256ELi16EEEENS5_IJLi8ELi32ELi1EEEENS5_IJLi1ELi0ELi2EEEESC_SC_RKS2Z_KS1O_S39_NS5_IJLi0ELi1ELi2EEEELi2ELi2ELi16ELi16ELi1ELi1ELb0ELb1ELi2EiEENS_13DynamicBufferILNS_16AddressSpaceEnumE1EKSC_lLb1ELNS_22AmdBufferCoherenceEnumE0EiEENSF_IJNS3F_ILS3G_2ESC_S1N_Lb1ELS3I_0EiEES3K_EEENSF_IJiiiEEENSE_INSF_IJNSG_INSF_IJiiiiEEENSF_IJiiiSN_EEELb0EEEEEES1T_S1V_S1U_lEENS_32ThreadwiseTensorSliceTransfer_v2ISD_SD_RKS3R_KS1X_NS5_IJLi8ELi1ELi1ELi32EEEENS5_IJLi1ELi2ELi0ELi3EEEELi3ELi32ELi0ELb1ELb0ELb0EEENS3F_ILS3G_1EKSD_lLb1ELS3I_0EiEENSF_IJNS_12StaticBufferILS3G_4ESD_Li256ELb1EEES42_EEES3N_NS_25StaticBufferTupleOfVectorILS3G_4EfLi64ELi4ELb1ELb0EEEEEvRKT1_RKT2_RT3_RKT4_RT5_RKT6_RKT7_RT8_RKT9_RT10_RKT11_RT12_iENKUlT_E1_clINSH_IiLi0EEEEEDaS51_EUlS51_E_EEvS51_EUlS51_E_EEvS51_, .Lfunc_end52-_ZNK2ck6detail7applierIiJLi0ELi1ELi2ELi3ELi4ELi5ELi6ELi7EEEclIZNKS_11static_fordINS_8SequenceIJLi1ELi8EEEENS5_IJLi0ELi1EEEEEclIZZNKS_52BlockwiseGemmXdlops_pipeline_bpreshuffle_bdequant_v3ILNS_26BlockGemmPipelineSchedulerE0ELi256ENS_9f8_fnuz_tENS_7pk_i4_tESC_fNS_16TensorDescriptorINS_5TupleIJNS_5EmbedINSF_IJNS_17integral_constantIiLi8EEENSH_IiLi256EEENSH_IiLi16EEEEEENSF_IJSK_NSH_IiLi128EEENSH_IiLi1EEEEEELb0EEENS_3XorINSF_IJSJ_SI_EEELb1EEENS_11PassThroughISK_EENS_7UnMergeINSF_IJSI_SN_EEELb0EEENST_ISJ_EESU_NST_ISI_EENS_21Merge_v3_division_modINSF_IJSJ_SN_EEEEESU_EEENSF_IJNS5_IJLi0EEEENS5_IJLi2ELi1EEEENS5_IJLi3EEEENS5_IJLi5EEEENS5_IJLi4EEEENS5_IJLi6EEEENS5_IJLi7EEEENS5_IJLi9ELi8EEEENS5_IJLi10EEEEEEENSF_IJNS5_IJLi1ELi2ELi3EEEENS5_IJLi4ELi5EEEES19_NS5_IJLi7ELi8EEEENS5_IJLi9EEEES1C_NS5_IJLi11EEEENS5_IJLi12EEEENS5_IJLi13EEEEEEENS5_IJLi11ELi12ELi13EEEENSH_IlLl32768EEEEENSE_INSF_IJNSV_INSF_IJSI_SN_SN_NSH_IiLi32EEEEEELb0EEEEEENSF_IJS14_EEENSF_IJNS5_IJLi1ELi2ELi3ELi4EEEEEEES1U_NSH_IlLl256EEEEENSE_INSF_IJSP_SS_SU_SX_SY_SU_SZ_S12_SU_NS10_INSF_IJSI_SK_EEEEENSV_INSF_IJSI_NSH_IiLi2EEESK_EEELb0EEEEEENSF_IJS14_S15_S16_S17_S18_S19_S1A_S1B_S1C_NS5_IJLi11ELi13EEEES1J_EEENSF_IJS1E_S1F_S19_S1G_S1H_S1C_S1I_S1J_S1K_NS5_IJLi14EEEENS5_IJLi15ELi16ELi17EEEEEEENS5_IJLi15ELi16ELi17ELi14EEEES1N_EENSE_INSF_IJS1R_NS10_ISW_EES22_EEENSF_IJS14_NS5_IJLi1ELi3EEEENS5_IJLi2EEEEEEENSF_IJS1U_S17_NS5_IJLi6ELi7ELi8EEEEEEENS5_IJLi6ELi7ELi8ELi5EEEES1W_EELi16ELi32ELi256ELi256ELi128ELi16ELi16ELi8ELi8ELi32ELb0EE3RunILb1ELNS_10TailNumberE1ENSE_INSF_IJNSG_INSF_IJiiEEENSF_IJiSN_EEELb0EEENSV_IS2N_Lb0EEENST_IiEEEEENSF_IJS14_S2E_NS5_IJLi1EEEEEEENSF_IJNS5_IJLi1ELi2EEEENS5_IJLi3ELi4EEEES17_EEENS5_IJLi3ELi5ELi4EEEElEES1O_NS_35ThreadGroupTensorSliceTransfer_v4r1INS_15ThisThreadBlockILi256EEENS_16tensor_operation12element_wise11PassThroughES35_LNS_25InMemoryDataOperationEnumE0ENS5_IJLi8ELi256ELi16EEEENS5_IJLi8ELi32ELi1EEEENS5_IJLi1ELi0ELi2EEEESC_SC_RKS2Z_KS1O_S39_NS5_IJLi0ELi1ELi2EEEELi2ELi2ELi16ELi16ELi1ELi1ELb0ELb1ELi2EiEENS_13DynamicBufferILNS_16AddressSpaceEnumE1EKSC_lLb1ELNS_22AmdBufferCoherenceEnumE0EiEENSF_IJNS3F_ILS3G_2ESC_S1N_Lb1ELS3I_0EiEES3K_EEENSF_IJiiiEEENSE_INSF_IJNSG_INSF_IJiiiiEEENSF_IJiiiSN_EEELb0EEEEEES1T_S1V_S1U_lEENS_32ThreadwiseTensorSliceTransfer_v2ISD_SD_RKS3R_KS1X_NS5_IJLi8ELi1ELi1ELi32EEEENS5_IJLi1ELi2ELi0ELi3EEEELi3ELi32ELi0ELb1ELb0ELb0EEENS3F_ILS3G_1EKSD_lLb1ELS3I_0EiEENSF_IJNS_12StaticBufferILS3G_4ESD_Li256ELb1EEES42_EEES3N_NS_25StaticBufferTupleOfVectorILS3G_4EfLi64ELi4ELb1ELb0EEEEEvRKT1_RKT2_RT3_RKT4_RT5_RKT6_RKT7_RT8_RKT9_RT10_RKT11_RT12_iENKUlT_E1_clINSH_IiLi0EEEEEDaS51_EUlS51_E_EEvS51_EUlS51_E_EEvS51_
                                        ; -- End function
	.section	.AMDGPU.csdata,"",@progbits
; Function info:
; codeLenInByte = 133608
; NumSgprs: 36
; NumVgprs: 26
; NumAgprs: 4
; TotalNumVgprs: 32
; ScratchSize: 0
; MemoryBound: 1
	.text
	.p2align	2                               ; -- Begin function _ZNK2ck6detail7applierIiJLi0ELi1ELi2ELi3ELi4ELi5ELi6ELi7EEEclIZNKS_11static_fordINS_8SequenceIJLi1ELi8EEEENS5_IJLi0ELi1EEEEEclIZZNKS_52BlockwiseGemmXdlops_pipeline_bpreshuffle_bdequant_v3ILNS_26BlockGemmPipelineSchedulerE0ELi256ENS_9f8_fnuz_tENS_7pk_i4_tESC_fNS_16TensorDescriptorINS_5TupleIJNS_5EmbedINSF_IJNS_17integral_constantIiLi8EEENSH_IiLi256EEENSH_IiLi16EEEEEENSF_IJSK_NSH_IiLi128EEENSH_IiLi1EEEEEELb0EEENS_3XorINSF_IJSJ_SI_EEELb1EEENS_11PassThroughISK_EENS_7UnMergeINSF_IJSI_SN_EEELb0EEENST_ISJ_EESU_NST_ISI_EENS_21Merge_v3_division_modINSF_IJSJ_SN_EEEEESU_EEENSF_IJNS5_IJLi0EEEENS5_IJLi2ELi1EEEENS5_IJLi3EEEENS5_IJLi5EEEENS5_IJLi4EEEENS5_IJLi6EEEENS5_IJLi7EEEENS5_IJLi9ELi8EEEENS5_IJLi10EEEEEEENSF_IJNS5_IJLi1ELi2ELi3EEEENS5_IJLi4ELi5EEEES19_NS5_IJLi7ELi8EEEENS5_IJLi9EEEES1C_NS5_IJLi11EEEENS5_IJLi12EEEENS5_IJLi13EEEEEEENS5_IJLi11ELi12ELi13EEEENSH_IlLl32768EEEEENSE_INSF_IJNSV_INSF_IJSI_SN_SN_NSH_IiLi32EEEEEELb0EEEEEENSF_IJS14_EEENSF_IJNS5_IJLi1ELi2ELi3ELi4EEEEEEES1U_NSH_IlLl256EEEEENSE_INSF_IJSP_SS_SU_SX_SY_SU_SZ_S12_SU_NS10_INSF_IJSI_SK_EEEEENSV_INSF_IJSI_NSH_IiLi2EEESK_EEELb0EEEEEENSF_IJS14_S15_S16_S17_S18_S19_S1A_S1B_S1C_NS5_IJLi11ELi13EEEES1J_EEENSF_IJS1E_S1F_S19_S1G_S1H_S1C_S1I_S1J_S1K_NS5_IJLi14EEEENS5_IJLi15ELi16ELi17EEEEEEENS5_IJLi15ELi16ELi17ELi14EEEES1N_EENSE_INSF_IJS1R_NS10_ISW_EES22_EEENSF_IJS14_NS5_IJLi1ELi3EEEENS5_IJLi2EEEEEEENSF_IJS1U_S17_NS5_IJLi6ELi7ELi8EEEEEEENS5_IJLi6ELi7ELi8ELi5EEEES1W_EELi16ELi32ELi256ELi256ELi128ELi16ELi16ELi8ELi8ELi32ELb0EE3RunILb1ELNS_10TailNumberE1ENSE_INSF_IJNSG_INSF_IJiiEEENSF_IJiSN_EEELb0EEENSV_IS2N_Lb0EEENST_IiEEEEENSF_IJS14_S2E_NS5_IJLi1EEEEEEENSF_IJNS5_IJLi1ELi2EEEENS5_IJLi3ELi4EEEES17_EEENS5_IJLi3ELi5ELi4EEEElEES1O_NS_35ThreadGroupTensorSliceTransfer_v4r1INS_15ThisThreadBlockILi256EEENS_16tensor_operation12element_wise11PassThroughES35_LNS_25InMemoryDataOperationEnumE0ENS5_IJLi8ELi256ELi16EEEENS5_IJLi8ELi32ELi1EEEENS5_IJLi1ELi0ELi2EEEESC_SC_RKS2Z_KS1O_S39_NS5_IJLi0ELi1ELi2EEEELi2ELi2ELi16ELi16ELi1ELi1ELb0ELb1ELi2EiEENS_13DynamicBufferILNS_16AddressSpaceEnumE1EKSC_lLb1ELNS_22AmdBufferCoherenceEnumE0EiEENSF_IJNS3F_ILS3G_2ESC_S1N_Lb1ELS3I_0EiEES3K_EEENSF_IJiiiEEENSE_INSF_IJNSG_INSF_IJiiiiEEENSF_IJiiiSN_EEELb0EEEEEES1T_S1V_S1U_lEENS_32ThreadwiseTensorSliceTransfer_v2ISD_SD_RKS3R_KS1X_NS5_IJLi8ELi1ELi1ELi32EEEENS5_IJLi1ELi2ELi0ELi3EEEELi3ELi32ELi0ELb1ELb0ELb0EEENS3F_ILS3G_1EKSD_lLb1ELS3I_0EiEENSF_IJNS_12StaticBufferILS3G_4ESD_Li256ELb1EEES42_EEES3N_NS_25StaticBufferTupleOfVectorILS3G_4EfLi64ELi4ELb1ELb0EEEEEvRKT1_RKT2_RT3_RKT4_RT5_RKT6_RKT7_RT8_RKT9_RT10_RKT11_RT12_iENKUlT_E1_clISN_EEDaS51_EUlS51_E_EEvS51_EUlS51_E_EEvS51_
	.type	_ZNK2ck6detail7applierIiJLi0ELi1ELi2ELi3ELi4ELi5ELi6ELi7EEEclIZNKS_11static_fordINS_8SequenceIJLi1ELi8EEEENS5_IJLi0ELi1EEEEEclIZZNKS_52BlockwiseGemmXdlops_pipeline_bpreshuffle_bdequant_v3ILNS_26BlockGemmPipelineSchedulerE0ELi256ENS_9f8_fnuz_tENS_7pk_i4_tESC_fNS_16TensorDescriptorINS_5TupleIJNS_5EmbedINSF_IJNS_17integral_constantIiLi8EEENSH_IiLi256EEENSH_IiLi16EEEEEENSF_IJSK_NSH_IiLi128EEENSH_IiLi1EEEEEELb0EEENS_3XorINSF_IJSJ_SI_EEELb1EEENS_11PassThroughISK_EENS_7UnMergeINSF_IJSI_SN_EEELb0EEENST_ISJ_EESU_NST_ISI_EENS_21Merge_v3_division_modINSF_IJSJ_SN_EEEEESU_EEENSF_IJNS5_IJLi0EEEENS5_IJLi2ELi1EEEENS5_IJLi3EEEENS5_IJLi5EEEENS5_IJLi4EEEENS5_IJLi6EEEENS5_IJLi7EEEENS5_IJLi9ELi8EEEENS5_IJLi10EEEEEEENSF_IJNS5_IJLi1ELi2ELi3EEEENS5_IJLi4ELi5EEEES19_NS5_IJLi7ELi8EEEENS5_IJLi9EEEES1C_NS5_IJLi11EEEENS5_IJLi12EEEENS5_IJLi13EEEEEEENS5_IJLi11ELi12ELi13EEEENSH_IlLl32768EEEEENSE_INSF_IJNSV_INSF_IJSI_SN_SN_NSH_IiLi32EEEEEELb0EEEEEENSF_IJS14_EEENSF_IJNS5_IJLi1ELi2ELi3ELi4EEEEEEES1U_NSH_IlLl256EEEEENSE_INSF_IJSP_SS_SU_SX_SY_SU_SZ_S12_SU_NS10_INSF_IJSI_SK_EEEEENSV_INSF_IJSI_NSH_IiLi2EEESK_EEELb0EEEEEENSF_IJS14_S15_S16_S17_S18_S19_S1A_S1B_S1C_NS5_IJLi11ELi13EEEES1J_EEENSF_IJS1E_S1F_S19_S1G_S1H_S1C_S1I_S1J_S1K_NS5_IJLi14EEEENS5_IJLi15ELi16ELi17EEEEEEENS5_IJLi15ELi16ELi17ELi14EEEES1N_EENSE_INSF_IJS1R_NS10_ISW_EES22_EEENSF_IJS14_NS5_IJLi1ELi3EEEENS5_IJLi2EEEEEEENSF_IJS1U_S17_NS5_IJLi6ELi7ELi8EEEEEEENS5_IJLi6ELi7ELi8ELi5EEEES1W_EELi16ELi32ELi256ELi256ELi128ELi16ELi16ELi8ELi8ELi32ELb0EE3RunILb1ELNS_10TailNumberE1ENSE_INSF_IJNSG_INSF_IJiiEEENSF_IJiSN_EEELb0EEENSV_IS2N_Lb0EEENST_IiEEEEENSF_IJS14_S2E_NS5_IJLi1EEEEEEENSF_IJNS5_IJLi1ELi2EEEENS5_IJLi3ELi4EEEES17_EEENS5_IJLi3ELi5ELi4EEEElEES1O_NS_35ThreadGroupTensorSliceTransfer_v4r1INS_15ThisThreadBlockILi256EEENS_16tensor_operation12element_wise11PassThroughES35_LNS_25InMemoryDataOperationEnumE0ENS5_IJLi8ELi256ELi16EEEENS5_IJLi8ELi32ELi1EEEENS5_IJLi1ELi0ELi2EEEESC_SC_RKS2Z_KS1O_S39_NS5_IJLi0ELi1ELi2EEEELi2ELi2ELi16ELi16ELi1ELi1ELb0ELb1ELi2EiEENS_13DynamicBufferILNS_16AddressSpaceEnumE1EKSC_lLb1ELNS_22AmdBufferCoherenceEnumE0EiEENSF_IJNS3F_ILS3G_2ESC_S1N_Lb1ELS3I_0EiEES3K_EEENSF_IJiiiEEENSE_INSF_IJNSG_INSF_IJiiiiEEENSF_IJiiiSN_EEELb0EEEEEES1T_S1V_S1U_lEENS_32ThreadwiseTensorSliceTransfer_v2ISD_SD_RKS3R_KS1X_NS5_IJLi8ELi1ELi1ELi32EEEENS5_IJLi1ELi2ELi0ELi3EEEELi3ELi32ELi0ELb1ELb0ELb0EEENS3F_ILS3G_1EKSD_lLb1ELS3I_0EiEENSF_IJNS_12StaticBufferILS3G_4ESD_Li256ELb1EEES42_EEES3N_NS_25StaticBufferTupleOfVectorILS3G_4EfLi64ELi4ELb1ELb0EEEEEvRKT1_RKT2_RT3_RKT4_RT5_RKT6_RKT7_RT8_RKT9_RT10_RKT11_RT12_iENKUlT_E1_clISN_EEDaS51_EUlS51_E_EEvS51_EUlS51_E_EEvS51_,@function
_ZNK2ck6detail7applierIiJLi0ELi1ELi2ELi3ELi4ELi5ELi6ELi7EEEclIZNKS_11static_fordINS_8SequenceIJLi1ELi8EEEENS5_IJLi0ELi1EEEEEclIZZNKS_52BlockwiseGemmXdlops_pipeline_bpreshuffle_bdequant_v3ILNS_26BlockGemmPipelineSchedulerE0ELi256ENS_9f8_fnuz_tENS_7pk_i4_tESC_fNS_16TensorDescriptorINS_5TupleIJNS_5EmbedINSF_IJNS_17integral_constantIiLi8EEENSH_IiLi256EEENSH_IiLi16EEEEEENSF_IJSK_NSH_IiLi128EEENSH_IiLi1EEEEEELb0EEENS_3XorINSF_IJSJ_SI_EEELb1EEENS_11PassThroughISK_EENS_7UnMergeINSF_IJSI_SN_EEELb0EEENST_ISJ_EESU_NST_ISI_EENS_21Merge_v3_division_modINSF_IJSJ_SN_EEEEESU_EEENSF_IJNS5_IJLi0EEEENS5_IJLi2ELi1EEEENS5_IJLi3EEEENS5_IJLi5EEEENS5_IJLi4EEEENS5_IJLi6EEEENS5_IJLi7EEEENS5_IJLi9ELi8EEEENS5_IJLi10EEEEEEENSF_IJNS5_IJLi1ELi2ELi3EEEENS5_IJLi4ELi5EEEES19_NS5_IJLi7ELi8EEEENS5_IJLi9EEEES1C_NS5_IJLi11EEEENS5_IJLi12EEEENS5_IJLi13EEEEEEENS5_IJLi11ELi12ELi13EEEENSH_IlLl32768EEEEENSE_INSF_IJNSV_INSF_IJSI_SN_SN_NSH_IiLi32EEEEEELb0EEEEEENSF_IJS14_EEENSF_IJNS5_IJLi1ELi2ELi3ELi4EEEEEEES1U_NSH_IlLl256EEEEENSE_INSF_IJSP_SS_SU_SX_SY_SU_SZ_S12_SU_NS10_INSF_IJSI_SK_EEEEENSV_INSF_IJSI_NSH_IiLi2EEESK_EEELb0EEEEEENSF_IJS14_S15_S16_S17_S18_S19_S1A_S1B_S1C_NS5_IJLi11ELi13EEEES1J_EEENSF_IJS1E_S1F_S19_S1G_S1H_S1C_S1I_S1J_S1K_NS5_IJLi14EEEENS5_IJLi15ELi16ELi17EEEEEEENS5_IJLi15ELi16ELi17ELi14EEEES1N_EENSE_INSF_IJS1R_NS10_ISW_EES22_EEENSF_IJS14_NS5_IJLi1ELi3EEEENS5_IJLi2EEEEEEENSF_IJS1U_S17_NS5_IJLi6ELi7ELi8EEEEEEENS5_IJLi6ELi7ELi8ELi5EEEES1W_EELi16ELi32ELi256ELi256ELi128ELi16ELi16ELi8ELi8ELi32ELb0EE3RunILb1ELNS_10TailNumberE1ENSE_INSF_IJNSG_INSF_IJiiEEENSF_IJiSN_EEELb0EEENSV_IS2N_Lb0EEENST_IiEEEEENSF_IJS14_S2E_NS5_IJLi1EEEEEEENSF_IJNS5_IJLi1ELi2EEEENS5_IJLi3ELi4EEEES17_EEENS5_IJLi3ELi5ELi4EEEElEES1O_NS_35ThreadGroupTensorSliceTransfer_v4r1INS_15ThisThreadBlockILi256EEENS_16tensor_operation12element_wise11PassThroughES35_LNS_25InMemoryDataOperationEnumE0ENS5_IJLi8ELi256ELi16EEEENS5_IJLi8ELi32ELi1EEEENS5_IJLi1ELi0ELi2EEEESC_SC_RKS2Z_KS1O_S39_NS5_IJLi0ELi1ELi2EEEELi2ELi2ELi16ELi16ELi1ELi1ELb0ELb1ELi2EiEENS_13DynamicBufferILNS_16AddressSpaceEnumE1EKSC_lLb1ELNS_22AmdBufferCoherenceEnumE0EiEENSF_IJNS3F_ILS3G_2ESC_S1N_Lb1ELS3I_0EiEES3K_EEENSF_IJiiiEEENSE_INSF_IJNSG_INSF_IJiiiiEEENSF_IJiiiSN_EEELb0EEEEEES1T_S1V_S1U_lEENS_32ThreadwiseTensorSliceTransfer_v2ISD_SD_RKS3R_KS1X_NS5_IJLi8ELi1ELi1ELi32EEEENS5_IJLi1ELi2ELi0ELi3EEEELi3ELi32ELi0ELb1ELb0ELb0EEENS3F_ILS3G_1EKSD_lLb1ELS3I_0EiEENSF_IJNS_12StaticBufferILS3G_4ESD_Li256ELb1EEES42_EEES3N_NS_25StaticBufferTupleOfVectorILS3G_4EfLi64ELi4ELb1ELb0EEEEEvRKT1_RKT2_RT3_RKT4_RT5_RKT6_RKT7_RT8_RKT9_RT10_RKT11_RT12_iENKUlT_E1_clISN_EEDaS51_EUlS51_E_EEvS51_EUlS51_E_EEvS51_: ; @_ZNK2ck6detail7applierIiJLi0ELi1ELi2ELi3ELi4ELi5ELi6ELi7EEEclIZNKS_11static_fordINS_8SequenceIJLi1ELi8EEEENS5_IJLi0ELi1EEEEEclIZZNKS_52BlockwiseGemmXdlops_pipeline_bpreshuffle_bdequant_v3ILNS_26BlockGemmPipelineSchedulerE0ELi256ENS_9f8_fnuz_tENS_7pk_i4_tESC_fNS_16TensorDescriptorINS_5TupleIJNS_5EmbedINSF_IJNS_17integral_constantIiLi8EEENSH_IiLi256EEENSH_IiLi16EEEEEENSF_IJSK_NSH_IiLi128EEENSH_IiLi1EEEEEELb0EEENS_3XorINSF_IJSJ_SI_EEELb1EEENS_11PassThroughISK_EENS_7UnMergeINSF_IJSI_SN_EEELb0EEENST_ISJ_EESU_NST_ISI_EENS_21Merge_v3_division_modINSF_IJSJ_SN_EEEEESU_EEENSF_IJNS5_IJLi0EEEENS5_IJLi2ELi1EEEENS5_IJLi3EEEENS5_IJLi5EEEENS5_IJLi4EEEENS5_IJLi6EEEENS5_IJLi7EEEENS5_IJLi9ELi8EEEENS5_IJLi10EEEEEEENSF_IJNS5_IJLi1ELi2ELi3EEEENS5_IJLi4ELi5EEEES19_NS5_IJLi7ELi8EEEENS5_IJLi9EEEES1C_NS5_IJLi11EEEENS5_IJLi12EEEENS5_IJLi13EEEEEEENS5_IJLi11ELi12ELi13EEEENSH_IlLl32768EEEEENSE_INSF_IJNSV_INSF_IJSI_SN_SN_NSH_IiLi32EEEEEELb0EEEEEENSF_IJS14_EEENSF_IJNS5_IJLi1ELi2ELi3ELi4EEEEEEES1U_NSH_IlLl256EEEEENSE_INSF_IJSP_SS_SU_SX_SY_SU_SZ_S12_SU_NS10_INSF_IJSI_SK_EEEEENSV_INSF_IJSI_NSH_IiLi2EEESK_EEELb0EEEEEENSF_IJS14_S15_S16_S17_S18_S19_S1A_S1B_S1C_NS5_IJLi11ELi13EEEES1J_EEENSF_IJS1E_S1F_S19_S1G_S1H_S1C_S1I_S1J_S1K_NS5_IJLi14EEEENS5_IJLi15ELi16ELi17EEEEEEENS5_IJLi15ELi16ELi17ELi14EEEES1N_EENSE_INSF_IJS1R_NS10_ISW_EES22_EEENSF_IJS14_NS5_IJLi1ELi3EEEENS5_IJLi2EEEEEEENSF_IJS1U_S17_NS5_IJLi6ELi7ELi8EEEEEEENS5_IJLi6ELi7ELi8ELi5EEEES1W_EELi16ELi32ELi256ELi256ELi128ELi16ELi16ELi8ELi8ELi32ELb0EE3RunILb1ELNS_10TailNumberE1ENSE_INSF_IJNSG_INSF_IJiiEEENSF_IJiSN_EEELb0EEENSV_IS2N_Lb0EEENST_IiEEEEENSF_IJS14_S2E_NS5_IJLi1EEEEEEENSF_IJNS5_IJLi1ELi2EEEENS5_IJLi3ELi4EEEES17_EEENS5_IJLi3ELi5ELi4EEEElEES1O_NS_35ThreadGroupTensorSliceTransfer_v4r1INS_15ThisThreadBlockILi256EEENS_16tensor_operation12element_wise11PassThroughES35_LNS_25InMemoryDataOperationEnumE0ENS5_IJLi8ELi256ELi16EEEENS5_IJLi8ELi32ELi1EEEENS5_IJLi1ELi0ELi2EEEESC_SC_RKS2Z_KS1O_S39_NS5_IJLi0ELi1ELi2EEEELi2ELi2ELi16ELi16ELi1ELi1ELb0ELb1ELi2EiEENS_13DynamicBufferILNS_16AddressSpaceEnumE1EKSC_lLb1ELNS_22AmdBufferCoherenceEnumE0EiEENSF_IJNS3F_ILS3G_2ESC_S1N_Lb1ELS3I_0EiEES3K_EEENSF_IJiiiEEENSE_INSF_IJNSG_INSF_IJiiiiEEENSF_IJiiiSN_EEELb0EEEEEES1T_S1V_S1U_lEENS_32ThreadwiseTensorSliceTransfer_v2ISD_SD_RKS3R_KS1X_NS5_IJLi8ELi1ELi1ELi32EEEENS5_IJLi1ELi2ELi0ELi3EEEELi3ELi32ELi0ELb1ELb0ELb0EEENS3F_ILS3G_1EKSD_lLb1ELS3I_0EiEENSF_IJNS_12StaticBufferILS3G_4ESD_Li256ELb1EEES42_EEES3N_NS_25StaticBufferTupleOfVectorILS3G_4EfLi64ELi4ELb1ELb0EEEEEvRKT1_RKT2_RT3_RKT4_RT5_RKT6_RKT7_RT8_RKT9_RT10_RKT11_RT12_iENKUlT_E1_clISN_EEDaS51_EUlS51_E_EEvS51_EUlS51_E_EEvS51_
; %bb.0:
	s_waitcnt vmcnt(0) expcnt(0) lgkmcnt(0)
	flat_load_dwordx4 v[20:23], v[0:1] offset:8
	flat_load_dwordx2 v[18:19], v[0:1] offset:24
	s_movk_i32 s4, 0x7f
                                        ; implicit-def: $sgpr10
	s_waitcnt vmcnt(0) lgkmcnt(0)
	flat_load_dwordx4 v[14:17], v[20:21] offset:32
	flat_load_dwordx4 v[6:9], v[20:21] offset:48
	;; [unrolled: 1-line block ×4, first 2 shown]
	s_waitcnt vmcnt(0) lgkmcnt(0)
	v_cmp_gt_i16_sdwa s[6:7], v14, s4 src0_sel:BYTE_0 src1_sel:DWORD
	s_mov_b64 s[4:5], 0
	s_and_saveexec_b64 s[8:9], s[6:7]
	s_xor_b64 s[6:7], exec, s[8:9]
	s_cbranch_execnz .LBB53_2049
; %bb.1:
	s_or_saveexec_b64 s[6:7], s[6:7]
	v_mov_b32_e32 v20, s10
	s_xor_b64 exec, exec, s[6:7]
	s_cbranch_execnz .LBB53_2052
.LBB53_2:
	s_or_b64 exec, exec, s[6:7]
	s_and_saveexec_b64 s[6:7], s[4:5]
	s_cbranch_execz .LBB53_4
.LBB53_3:
	v_and_b32_e32 v20, 7, v14
	v_ffbh_u32_e32 v22, v20
	v_min_u32_e32 v22, 32, v22
	v_lshrrev_b16_e32 v21, 3, v14
	v_subrev_u32_e32 v23, 28, v22
	v_and_b32_e32 v21, 15, v21
	v_lshlrev_b32_e32 v23, v23, v14
	v_sub_u32_e32 v22, 29, v22
	v_and_b32_e32 v23, 7, v23
	v_cmp_eq_u16_e32 vcc, 0, v21
	v_cndmask_b32_e32 v20, v20, v23, vcc
	v_cndmask_b32_e32 v21, v21, v22, vcc
	v_lshlrev_b32_e32 v22, 24, v14
	v_mov_b32_e32 v23, 0x3b800000
	v_lshlrev_b32_e32 v20, 20, v20
	v_and_b32_e32 v22, 0x80000000, v22
	v_lshl_add_u32 v21, v21, 23, v23
	v_or3_b32 v20, v22, v21, v20
.LBB53_4:
	s_or_b64 exec, exec, s[6:7]
	s_movk_i32 s4, 0x7f
	v_cmp_gt_i16_sdwa s[6:7], v10, s4 src0_sel:BYTE_0 src1_sel:DWORD
	s_mov_b64 s[4:5], 0
                                        ; implicit-def: $sgpr10
	s_and_saveexec_b64 s[8:9], s[6:7]
	s_xor_b64 s[6:7], exec, s[8:9]
	s_cbranch_execnz .LBB53_2053
; %bb.5:
	s_or_saveexec_b64 s[6:7], s[6:7]
	v_mov_b32_e32 v21, s10
	s_xor_b64 exec, exec, s[6:7]
	s_cbranch_execnz .LBB53_2056
.LBB53_6:
	s_or_b64 exec, exec, s[6:7]
	s_and_saveexec_b64 s[6:7], s[4:5]
	s_cbranch_execz .LBB53_8
.LBB53_7:
	v_and_b32_e32 v21, 7, v10
	v_ffbh_u32_e32 v23, v21
	v_min_u32_e32 v23, 32, v23
	v_lshrrev_b16_e32 v22, 3, v10
	v_subrev_u32_e32 v24, 28, v23
	v_and_b32_e32 v22, 15, v22
	v_lshlrev_b32_e32 v24, v24, v10
	v_sub_u32_e32 v23, 29, v23
	v_and_b32_e32 v24, 7, v24
	v_cmp_eq_u16_e32 vcc, 0, v22
	v_cndmask_b32_e32 v21, v21, v24, vcc
	v_cndmask_b32_e32 v22, v22, v23, vcc
	v_lshlrev_b32_e32 v23, 24, v10
	v_mov_b32_e32 v24, 0x3b800000
	v_lshlrev_b32_e32 v21, 20, v21
	v_and_b32_e32 v23, 0x80000000, v23
	v_lshl_add_u32 v22, v22, 23, v24
	v_or3_b32 v21, v23, v22, v21
.LBB53_8:
	s_or_b64 exec, exec, s[6:7]
	flat_load_dwordx4 a[0:3], v[18:19] offset:128
	s_movk_i32 s4, 0x7f
                                        ; implicit-def: $sgpr10
	s_waitcnt vmcnt(0) lgkmcnt(0)
	v_mfma_f32_16x16x4f32 a[0:3], v20, v21, a[0:3]
	v_lshrrev_b32_e32 v21, 8, v14
	v_cmp_gt_i16_sdwa s[6:7], v21, s4 src0_sel:BYTE_0 src1_sel:DWORD
	s_mov_b64 s[4:5], 0
	s_and_saveexec_b64 s[8:9], s[6:7]
	s_xor_b64 s[6:7], exec, s[8:9]
	s_cbranch_execnz .LBB53_2057
; %bb.9:
	s_or_saveexec_b64 s[6:7], s[6:7]
	v_mov_b32_e32 v20, s10
	s_xor_b64 exec, exec, s[6:7]
	s_cbranch_execnz .LBB53_2060
.LBB53_10:
	s_or_b64 exec, exec, s[6:7]
	s_and_saveexec_b64 s[6:7], s[4:5]
	s_cbranch_execz .LBB53_12
.LBB53_11:
	v_bfe_u32 v20, v14, 8, 3
	v_ffbh_u32_e32 v23, v20
	v_min_u32_e32 v23, 32, v23
	v_lshrrev_b16_e32 v22, 3, v21
	v_subrev_u32_e32 v24, 28, v23
	v_and_b32_e32 v22, 15, v22
	v_lshlrev_b32_e32 v21, v24, v21
	v_sub_u32_e32 v23, 29, v23
	v_and_b32_e32 v21, 7, v21
	v_cmp_eq_u16_e32 vcc, 0, v22
	v_cndmask_b32_e32 v20, v20, v21, vcc
	v_cndmask_b32_e32 v21, v22, v23, vcc
	v_lshlrev_b32_e32 v22, 16, v14
	v_mov_b32_e32 v23, 0x3b800000
	v_lshlrev_b32_e32 v20, 20, v20
	v_and_b32_e32 v22, 0x80000000, v22
	v_lshl_add_u32 v21, v21, 23, v23
	v_or3_b32 v20, v22, v21, v20
.LBB53_12:
	s_or_b64 exec, exec, s[6:7]
	v_lshrrev_b32_e32 v21, 8, v10
	s_movk_i32 s4, 0x7f
	v_cmp_gt_i16_sdwa s[6:7], v21, s4 src0_sel:BYTE_0 src1_sel:DWORD
	s_mov_b64 s[4:5], 0
                                        ; implicit-def: $sgpr10
	s_and_saveexec_b64 s[8:9], s[6:7]
	s_xor_b64 s[6:7], exec, s[8:9]
	s_cbranch_execnz .LBB53_2061
; %bb.13:
	s_or_saveexec_b64 s[6:7], s[6:7]
	v_mov_b32_e32 v22, s10
	s_xor_b64 exec, exec, s[6:7]
	s_cbranch_execnz .LBB53_2064
.LBB53_14:
	s_or_b64 exec, exec, s[6:7]
	s_and_saveexec_b64 s[6:7], s[4:5]
	s_cbranch_execz .LBB53_16
.LBB53_15:
	v_bfe_u32 v22, v10, 8, 3
	v_ffbh_u32_e32 v24, v22
	v_min_u32_e32 v24, 32, v24
	v_lshrrev_b16_e32 v23, 3, v21
	v_subrev_u32_e32 v25, 28, v24
	v_and_b32_e32 v23, 15, v23
	v_lshlrev_b32_e32 v21, v25, v21
	v_sub_u32_e32 v24, 29, v24
	v_and_b32_e32 v21, 7, v21
	v_cmp_eq_u16_e32 vcc, 0, v23
	v_cndmask_b32_e32 v21, v22, v21, vcc
	v_cndmask_b32_e32 v22, v23, v24, vcc
	v_lshlrev_b32_e32 v23, 16, v10
	v_mov_b32_e32 v24, 0x3b800000
	v_lshlrev_b32_e32 v21, 20, v21
	v_and_b32_e32 v23, 0x80000000, v23
	v_lshl_add_u32 v22, v22, 23, v24
	v_or3_b32 v22, v23, v22, v21
.LBB53_16:
	s_or_b64 exec, exec, s[6:7]
	s_nop 0
	v_mfma_f32_16x16x4f32 a[0:3], v20, v22, a[0:3]
	s_movk_i32 s4, 0xff
	v_and_b32_sdwa v21, v14, s4 dst_sel:DWORD dst_unused:UNUSED_PAD src0_sel:WORD_1 src1_sel:DWORD
	s_movk_i32 s4, 0x7f
	v_cmp_lt_i16_e32 vcc, s4, v21
	s_mov_b64 s[4:5], 0
                                        ; implicit-def: $sgpr10
	s_and_saveexec_b64 s[6:7], vcc
	s_xor_b64 s[6:7], exec, s[6:7]
	s_cbranch_execnz .LBB53_2065
; %bb.17:
	s_or_saveexec_b64 s[6:7], s[6:7]
	v_mov_b32_e32 v20, s10
	s_xor_b64 exec, exec, s[6:7]
	s_cbranch_execnz .LBB53_2068
.LBB53_18:
	s_or_b64 exec, exec, s[6:7]
	s_and_saveexec_b64 s[6:7], s[4:5]
	s_cbranch_execz .LBB53_20
.LBB53_19:
	v_bfe_u32 v20, v14, 16, 3
	v_ffbh_u32_e32 v23, v20
	v_min_u32_e32 v23, 32, v23
	v_lshrrev_b32_e32 v21, 19, v14
	v_subrev_u32_e32 v24, 28, v23
	v_and_b32_e32 v21, 15, v21
	v_lshlrev_b32_sdwa v24, v24, v14 dst_sel:DWORD dst_unused:UNUSED_PAD src0_sel:DWORD src1_sel:WORD_1
	v_bfe_u32 v22, v14, 19, 4
	v_sub_u32_e32 v23, 29, v23
	v_and_b32_e32 v24, 7, v24
	v_cmp_eq_u16_e32 vcc, 0, v21
	v_cndmask_b32_e32 v20, v20, v24, vcc
	v_cndmask_b32_e32 v21, v22, v23, vcc
	v_lshlrev_b32_e32 v22, 8, v14
	v_mov_b32_e32 v23, 0x3b800000
	v_lshlrev_b32_e32 v20, 20, v20
	v_and_b32_e32 v22, 0x80000000, v22
	v_lshl_add_u32 v21, v21, 23, v23
	v_or3_b32 v20, v22, v21, v20
.LBB53_20:
	s_or_b64 exec, exec, s[6:7]
	s_movk_i32 s4, 0xff
	v_and_b32_sdwa v21, v10, s4 dst_sel:DWORD dst_unused:UNUSED_PAD src0_sel:WORD_1 src1_sel:DWORD
	s_movk_i32 s4, 0x7f
	v_cmp_lt_i16_e32 vcc, s4, v21
	s_mov_b64 s[4:5], 0
                                        ; implicit-def: $sgpr10
	s_and_saveexec_b64 s[6:7], vcc
	s_xor_b64 s[6:7], exec, s[6:7]
	s_cbranch_execnz .LBB53_2069
; %bb.21:
	s_or_saveexec_b64 s[6:7], s[6:7]
	v_mov_b32_e32 v22, s10
	s_xor_b64 exec, exec, s[6:7]
	s_cbranch_execnz .LBB53_2072
.LBB53_22:
	s_or_b64 exec, exec, s[6:7]
	s_and_saveexec_b64 s[6:7], s[4:5]
	s_cbranch_execz .LBB53_24
.LBB53_23:
	v_bfe_u32 v21, v10, 16, 3
	v_ffbh_u32_e32 v24, v21
	v_min_u32_e32 v24, 32, v24
	v_lshrrev_b32_e32 v22, 19, v10
	v_subrev_u32_e32 v25, 28, v24
	v_and_b32_e32 v22, 15, v22
	v_lshlrev_b32_sdwa v25, v25, v10 dst_sel:DWORD dst_unused:UNUSED_PAD src0_sel:DWORD src1_sel:WORD_1
	v_bfe_u32 v23, v10, 19, 4
	v_sub_u32_e32 v24, 29, v24
	v_and_b32_e32 v25, 7, v25
	v_cmp_eq_u16_e32 vcc, 0, v22
	v_cndmask_b32_e32 v21, v21, v25, vcc
	v_cndmask_b32_e32 v22, v23, v24, vcc
	v_lshlrev_b32_e32 v23, 8, v10
	v_mov_b32_e32 v24, 0x3b800000
	v_lshlrev_b32_e32 v21, 20, v21
	v_and_b32_e32 v23, 0x80000000, v23
	v_lshl_add_u32 v22, v22, 23, v24
	v_or3_b32 v22, v23, v22, v21
.LBB53_24:
	s_or_b64 exec, exec, s[6:7]
	s_nop 0
	v_mfma_f32_16x16x4f32 a[0:3], v20, v22, a[0:3]
	s_movk_i32 s4, 0x7f
	v_cmp_gt_i16_sdwa s[6:7], v14, s4 src0_sel:BYTE_3 src1_sel:DWORD
	s_mov_b64 s[4:5], 0
                                        ; implicit-def: $sgpr10
	s_and_saveexec_b64 s[8:9], s[6:7]
	s_xor_b64 s[6:7], exec, s[8:9]
	s_cbranch_execnz .LBB53_2073
; %bb.25:
	s_or_saveexec_b64 s[6:7], s[6:7]
	v_mov_b32_e32 v20, s10
	s_xor_b64 exec, exec, s[6:7]
	s_cbranch_execnz .LBB53_2076
.LBB53_26:
	s_or_b64 exec, exec, s[6:7]
	s_and_saveexec_b64 s[6:7], s[4:5]
	s_cbranch_execz .LBB53_28
.LBB53_27:
	v_bfe_u32 v20, v14, 24, 3
	v_ffbh_u32_e32 v24, v20
	v_min_u32_e32 v24, 32, v24
	v_lshrrev_b32_e32 v22, 27, v14
	v_subrev_u32_e32 v25, 28, v24
	v_and_b32_e32 v21, 0x80000000, v14
	v_and_b32_e32 v22, 15, v22
	v_bfe_u32 v23, v14, 27, 4
	v_lshlrev_b32_sdwa v14, v25, v14 dst_sel:DWORD dst_unused:UNUSED_PAD src0_sel:DWORD src1_sel:BYTE_3
	v_sub_u32_e32 v24, 29, v24
	v_and_b32_e32 v14, 7, v14
	v_cmp_eq_u16_e32 vcc, 0, v22
	v_cndmask_b32_e32 v14, v20, v14, vcc
	v_cndmask_b32_e32 v20, v23, v24, vcc
	v_mov_b32_e32 v22, 0x3b800000
	v_lshlrev_b32_e32 v14, 20, v14
	v_lshl_add_u32 v20, v20, 23, v22
	v_or3_b32 v20, v21, v20, v14
.LBB53_28:
	s_or_b64 exec, exec, s[6:7]
	s_movk_i32 s4, 0x7f
	v_cmp_gt_i16_sdwa s[6:7], v10, s4 src0_sel:BYTE_3 src1_sel:DWORD
	s_mov_b64 s[4:5], 0
                                        ; implicit-def: $sgpr10
	s_and_saveexec_b64 s[8:9], s[6:7]
	s_xor_b64 s[6:7], exec, s[8:9]
	s_cbranch_execnz .LBB53_2077
; %bb.29:
	s_or_saveexec_b64 s[6:7], s[6:7]
	v_mov_b32_e32 v14, s10
	s_xor_b64 exec, exec, s[6:7]
	s_cbranch_execnz .LBB53_2080
.LBB53_30:
	s_or_b64 exec, exec, s[6:7]
	s_and_saveexec_b64 s[6:7], s[4:5]
	s_cbranch_execz .LBB53_32
.LBB53_31:
	v_bfe_u32 v14, v10, 24, 3
	v_ffbh_u32_e32 v24, v14
	v_min_u32_e32 v24, 32, v24
	v_lshrrev_b32_e32 v22, 27, v10
	v_subrev_u32_e32 v25, 28, v24
	v_and_b32_e32 v21, 0x80000000, v10
	v_and_b32_e32 v22, 15, v22
	v_bfe_u32 v23, v10, 27, 4
	v_lshlrev_b32_sdwa v10, v25, v10 dst_sel:DWORD dst_unused:UNUSED_PAD src0_sel:DWORD src1_sel:BYTE_3
	v_sub_u32_e32 v24, 29, v24
	v_and_b32_e32 v10, 7, v10
	v_cmp_eq_u16_e32 vcc, 0, v22
	v_cndmask_b32_e32 v10, v14, v10, vcc
	v_cndmask_b32_e32 v14, v23, v24, vcc
	v_mov_b32_e32 v22, 0x3b800000
	v_lshlrev_b32_e32 v10, 20, v10
	v_lshl_add_u32 v14, v14, 23, v22
	v_or3_b32 v14, v21, v14, v10
.LBB53_32:
	s_or_b64 exec, exec, s[6:7]
	s_nop 0
	v_mfma_f32_16x16x4f32 a[0:3], v20, v14, a[0:3]
	s_movk_i32 s4, 0x7f
	v_cmp_gt_i16_sdwa s[6:7], v15, s4 src0_sel:BYTE_0 src1_sel:DWORD
	s_mov_b64 s[4:5], 0
                                        ; implicit-def: $sgpr10
	s_and_saveexec_b64 s[8:9], s[6:7]
	s_xor_b64 s[6:7], exec, s[8:9]
	s_cbranch_execnz .LBB53_2081
; %bb.33:
	s_or_saveexec_b64 s[6:7], s[6:7]
	v_mov_b32_e32 v10, s10
	s_xor_b64 exec, exec, s[6:7]
	s_cbranch_execnz .LBB53_2084
.LBB53_34:
	s_or_b64 exec, exec, s[6:7]
	s_and_saveexec_b64 s[6:7], s[4:5]
	s_cbranch_execz .LBB53_36
.LBB53_35:
	v_and_b32_e32 v10, 7, v15
	v_ffbh_u32_e32 v20, v10
	v_min_u32_e32 v20, 32, v20
	v_lshrrev_b16_e32 v14, 3, v15
	v_subrev_u32_e32 v21, 28, v20
	v_and_b32_e32 v14, 15, v14
	v_lshlrev_b32_e32 v21, v21, v15
	v_sub_u32_e32 v20, 29, v20
	v_and_b32_e32 v21, 7, v21
	v_cmp_eq_u16_e32 vcc, 0, v14
	v_cndmask_b32_e32 v10, v10, v21, vcc
	v_cndmask_b32_e32 v14, v14, v20, vcc
	v_lshlrev_b32_e32 v20, 24, v15
	v_mov_b32_e32 v21, 0x3b800000
	v_lshlrev_b32_e32 v10, 20, v10
	v_and_b32_e32 v20, 0x80000000, v20
	v_lshl_add_u32 v14, v14, 23, v21
	v_or3_b32 v10, v20, v14, v10
.LBB53_36:
	s_or_b64 exec, exec, s[6:7]
	s_movk_i32 s4, 0x7f
	v_cmp_gt_i16_sdwa s[6:7], v11, s4 src0_sel:BYTE_0 src1_sel:DWORD
	s_mov_b64 s[4:5], 0
                                        ; implicit-def: $sgpr10
	s_and_saveexec_b64 s[8:9], s[6:7]
	s_xor_b64 s[6:7], exec, s[8:9]
	s_cbranch_execnz .LBB53_2085
; %bb.37:
	s_or_saveexec_b64 s[6:7], s[6:7]
	v_mov_b32_e32 v14, s10
	s_xor_b64 exec, exec, s[6:7]
	s_cbranch_execnz .LBB53_2088
.LBB53_38:
	s_or_b64 exec, exec, s[6:7]
	s_and_saveexec_b64 s[6:7], s[4:5]
	s_cbranch_execz .LBB53_40
.LBB53_39:
	v_and_b32_e32 v14, 7, v11
	v_ffbh_u32_e32 v21, v14
	v_min_u32_e32 v21, 32, v21
	v_lshrrev_b16_e32 v20, 3, v11
	v_subrev_u32_e32 v22, 28, v21
	v_and_b32_e32 v20, 15, v20
	v_lshlrev_b32_e32 v22, v22, v11
	v_sub_u32_e32 v21, 29, v21
	v_and_b32_e32 v22, 7, v22
	v_cmp_eq_u16_e32 vcc, 0, v20
	v_cndmask_b32_e32 v14, v14, v22, vcc
	v_cndmask_b32_e32 v20, v20, v21, vcc
	v_lshlrev_b32_e32 v21, 24, v11
	v_mov_b32_e32 v22, 0x3b800000
	v_lshlrev_b32_e32 v14, 20, v14
	v_and_b32_e32 v21, 0x80000000, v21
	v_lshl_add_u32 v20, v20, 23, v22
	v_or3_b32 v14, v21, v20, v14
.LBB53_40:
	s_or_b64 exec, exec, s[6:7]
	s_nop 0
	v_mfma_f32_16x16x4f32 a[0:3], v10, v14, a[0:3]
	v_lshrrev_b32_e32 v14, 8, v15
	s_movk_i32 s4, 0x7f
	v_cmp_gt_i16_sdwa s[6:7], v14, s4 src0_sel:BYTE_0 src1_sel:DWORD
	s_mov_b64 s[4:5], 0
                                        ; implicit-def: $sgpr10
	s_and_saveexec_b64 s[8:9], s[6:7]
	s_xor_b64 s[6:7], exec, s[8:9]
	s_cbranch_execnz .LBB53_2089
; %bb.41:
	s_or_saveexec_b64 s[6:7], s[6:7]
	v_mov_b32_e32 v10, s10
	s_xor_b64 exec, exec, s[6:7]
	s_cbranch_execnz .LBB53_2092
.LBB53_42:
	s_or_b64 exec, exec, s[6:7]
	s_and_saveexec_b64 s[6:7], s[4:5]
	s_cbranch_execz .LBB53_44
.LBB53_43:
	v_bfe_u32 v10, v15, 8, 3
	v_ffbh_u32_e32 v21, v10
	v_min_u32_e32 v21, 32, v21
	v_lshrrev_b16_e32 v20, 3, v14
	v_subrev_u32_e32 v22, 28, v21
	v_and_b32_e32 v20, 15, v20
	v_lshlrev_b32_e32 v14, v22, v14
	v_sub_u32_e32 v21, 29, v21
	v_and_b32_e32 v14, 7, v14
	v_cmp_eq_u16_e32 vcc, 0, v20
	v_cndmask_b32_e32 v10, v10, v14, vcc
	v_cndmask_b32_e32 v14, v20, v21, vcc
	v_lshlrev_b32_e32 v20, 16, v15
	v_mov_b32_e32 v21, 0x3b800000
	v_lshlrev_b32_e32 v10, 20, v10
	v_and_b32_e32 v20, 0x80000000, v20
	v_lshl_add_u32 v14, v14, 23, v21
	v_or3_b32 v10, v20, v14, v10
.LBB53_44:
	s_or_b64 exec, exec, s[6:7]
	v_lshrrev_b32_e32 v14, 8, v11
	s_movk_i32 s4, 0x7f
	v_cmp_gt_i16_sdwa s[6:7], v14, s4 src0_sel:BYTE_0 src1_sel:DWORD
	s_mov_b64 s[4:5], 0
                                        ; implicit-def: $sgpr10
	s_and_saveexec_b64 s[8:9], s[6:7]
	s_xor_b64 s[6:7], exec, s[8:9]
	s_cbranch_execnz .LBB53_2093
; %bb.45:
	s_or_saveexec_b64 s[6:7], s[6:7]
	v_mov_b32_e32 v20, s10
	s_xor_b64 exec, exec, s[6:7]
	s_cbranch_execnz .LBB53_2096
.LBB53_46:
	s_or_b64 exec, exec, s[6:7]
	s_and_saveexec_b64 s[6:7], s[4:5]
	s_cbranch_execz .LBB53_48
.LBB53_47:
	v_bfe_u32 v20, v11, 8, 3
	v_ffbh_u32_e32 v22, v20
	v_min_u32_e32 v22, 32, v22
	v_lshrrev_b16_e32 v21, 3, v14
	v_subrev_u32_e32 v23, 28, v22
	v_and_b32_e32 v21, 15, v21
	v_lshlrev_b32_e32 v14, v23, v14
	v_sub_u32_e32 v22, 29, v22
	v_and_b32_e32 v14, 7, v14
	v_cmp_eq_u16_e32 vcc, 0, v21
	v_cndmask_b32_e32 v14, v20, v14, vcc
	v_cndmask_b32_e32 v20, v21, v22, vcc
	v_lshlrev_b32_e32 v21, 16, v11
	v_mov_b32_e32 v22, 0x3b800000
	v_lshlrev_b32_e32 v14, 20, v14
	v_and_b32_e32 v21, 0x80000000, v21
	v_lshl_add_u32 v20, v20, 23, v22
	v_or3_b32 v20, v21, v20, v14
.LBB53_48:
	s_or_b64 exec, exec, s[6:7]
	s_nop 0
	v_mfma_f32_16x16x4f32 a[0:3], v10, v20, a[0:3]
	s_movk_i32 s4, 0xff
	v_and_b32_sdwa v14, v15, s4 dst_sel:DWORD dst_unused:UNUSED_PAD src0_sel:WORD_1 src1_sel:DWORD
	s_movk_i32 s4, 0x7f
	v_cmp_lt_i16_e32 vcc, s4, v14
	s_mov_b64 s[4:5], 0
                                        ; implicit-def: $sgpr10
	s_and_saveexec_b64 s[6:7], vcc
	s_xor_b64 s[6:7], exec, s[6:7]
	s_cbranch_execnz .LBB53_2097
; %bb.49:
	s_or_saveexec_b64 s[6:7], s[6:7]
	v_mov_b32_e32 v10, s10
	s_xor_b64 exec, exec, s[6:7]
	s_cbranch_execnz .LBB53_2100
.LBB53_50:
	s_or_b64 exec, exec, s[6:7]
	s_and_saveexec_b64 s[6:7], s[4:5]
	s_cbranch_execz .LBB53_52
.LBB53_51:
	v_bfe_u32 v10, v15, 16, 3
	v_ffbh_u32_e32 v21, v10
	v_min_u32_e32 v21, 32, v21
	v_lshrrev_b32_e32 v14, 19, v15
	v_subrev_u32_e32 v22, 28, v21
	v_and_b32_e32 v14, 15, v14
	v_lshlrev_b32_sdwa v22, v22, v15 dst_sel:DWORD dst_unused:UNUSED_PAD src0_sel:DWORD src1_sel:WORD_1
	v_bfe_u32 v20, v15, 19, 4
	v_sub_u32_e32 v21, 29, v21
	v_and_b32_e32 v22, 7, v22
	v_cmp_eq_u16_e32 vcc, 0, v14
	v_cndmask_b32_e32 v10, v10, v22, vcc
	v_cndmask_b32_e32 v14, v20, v21, vcc
	v_lshlrev_b32_e32 v20, 8, v15
	v_mov_b32_e32 v21, 0x3b800000
	v_lshlrev_b32_e32 v10, 20, v10
	v_and_b32_e32 v20, 0x80000000, v20
	v_lshl_add_u32 v14, v14, 23, v21
	v_or3_b32 v10, v20, v14, v10
.LBB53_52:
	s_or_b64 exec, exec, s[6:7]
	s_movk_i32 s4, 0xff
	v_and_b32_sdwa v14, v11, s4 dst_sel:DWORD dst_unused:UNUSED_PAD src0_sel:WORD_1 src1_sel:DWORD
	s_movk_i32 s4, 0x7f
	v_cmp_lt_i16_e32 vcc, s4, v14
	s_mov_b64 s[4:5], 0
                                        ; implicit-def: $sgpr10
	s_and_saveexec_b64 s[6:7], vcc
	s_xor_b64 s[6:7], exec, s[6:7]
	s_cbranch_execnz .LBB53_2101
; %bb.53:
	s_or_saveexec_b64 s[6:7], s[6:7]
	v_mov_b32_e32 v20, s10
	s_xor_b64 exec, exec, s[6:7]
	s_cbranch_execnz .LBB53_2104
.LBB53_54:
	s_or_b64 exec, exec, s[6:7]
	s_and_saveexec_b64 s[6:7], s[4:5]
	s_cbranch_execz .LBB53_56
.LBB53_55:
	v_bfe_u32 v14, v11, 16, 3
	v_ffbh_u32_e32 v22, v14
	v_min_u32_e32 v22, 32, v22
	v_lshrrev_b32_e32 v20, 19, v11
	v_subrev_u32_e32 v23, 28, v22
	v_and_b32_e32 v20, 15, v20
	v_lshlrev_b32_sdwa v23, v23, v11 dst_sel:DWORD dst_unused:UNUSED_PAD src0_sel:DWORD src1_sel:WORD_1
	v_bfe_u32 v21, v11, 19, 4
	v_sub_u32_e32 v22, 29, v22
	v_and_b32_e32 v23, 7, v23
	v_cmp_eq_u16_e32 vcc, 0, v20
	v_cndmask_b32_e32 v14, v14, v23, vcc
	v_cndmask_b32_e32 v20, v21, v22, vcc
	v_lshlrev_b32_e32 v21, 8, v11
	v_mov_b32_e32 v22, 0x3b800000
	v_lshlrev_b32_e32 v14, 20, v14
	v_and_b32_e32 v21, 0x80000000, v21
	v_lshl_add_u32 v20, v20, 23, v22
	v_or3_b32 v20, v21, v20, v14
.LBB53_56:
	s_or_b64 exec, exec, s[6:7]
	s_nop 0
	v_mfma_f32_16x16x4f32 a[0:3], v10, v20, a[0:3]
	s_movk_i32 s4, 0x7f
	v_cmp_gt_i16_sdwa s[6:7], v15, s4 src0_sel:BYTE_3 src1_sel:DWORD
	s_mov_b64 s[4:5], 0
                                        ; implicit-def: $sgpr10
	s_and_saveexec_b64 s[8:9], s[6:7]
	s_xor_b64 s[6:7], exec, s[8:9]
	s_cbranch_execnz .LBB53_2105
; %bb.57:
	s_or_saveexec_b64 s[6:7], s[6:7]
	v_mov_b32_e32 v10, s10
	s_xor_b64 exec, exec, s[6:7]
	s_cbranch_execnz .LBB53_2108
.LBB53_58:
	s_or_b64 exec, exec, s[6:7]
	s_and_saveexec_b64 s[6:7], s[4:5]
	s_cbranch_execz .LBB53_60
.LBB53_59:
	v_bfe_u32 v10, v15, 24, 3
	v_ffbh_u32_e32 v22, v10
	v_min_u32_e32 v22, 32, v22
	v_lshrrev_b32_e32 v20, 27, v15
	v_subrev_u32_e32 v23, 28, v22
	v_and_b32_e32 v14, 0x80000000, v15
	v_and_b32_e32 v20, 15, v20
	v_bfe_u32 v21, v15, 27, 4
	v_lshlrev_b32_sdwa v15, v23, v15 dst_sel:DWORD dst_unused:UNUSED_PAD src0_sel:DWORD src1_sel:BYTE_3
	v_sub_u32_e32 v22, 29, v22
	v_and_b32_e32 v15, 7, v15
	v_cmp_eq_u16_e32 vcc, 0, v20
	v_cndmask_b32_e32 v10, v10, v15, vcc
	v_cndmask_b32_e32 v15, v21, v22, vcc
	v_mov_b32_e32 v20, 0x3b800000
	v_lshlrev_b32_e32 v10, 20, v10
	v_lshl_add_u32 v15, v15, 23, v20
	v_or3_b32 v10, v14, v15, v10
.LBB53_60:
	s_or_b64 exec, exec, s[6:7]
	s_movk_i32 s4, 0x7f
	v_cmp_gt_i16_sdwa s[6:7], v11, s4 src0_sel:BYTE_3 src1_sel:DWORD
	s_mov_b64 s[4:5], 0
                                        ; implicit-def: $sgpr10
	s_and_saveexec_b64 s[8:9], s[6:7]
	s_xor_b64 s[6:7], exec, s[8:9]
	s_cbranch_execnz .LBB53_2109
; %bb.61:
	s_or_saveexec_b64 s[6:7], s[6:7]
	v_mov_b32_e32 v14, s10
	s_xor_b64 exec, exec, s[6:7]
	s_cbranch_execnz .LBB53_2112
.LBB53_62:
	s_or_b64 exec, exec, s[6:7]
	s_and_saveexec_b64 s[6:7], s[4:5]
	s_cbranch_execz .LBB53_64
.LBB53_63:
	v_bfe_u32 v14, v11, 24, 3
	v_ffbh_u32_e32 v22, v14
	v_min_u32_e32 v22, 32, v22
	v_lshrrev_b32_e32 v20, 27, v11
	v_subrev_u32_e32 v23, 28, v22
	v_and_b32_e32 v15, 0x80000000, v11
	v_and_b32_e32 v20, 15, v20
	v_bfe_u32 v21, v11, 27, 4
	v_lshlrev_b32_sdwa v11, v23, v11 dst_sel:DWORD dst_unused:UNUSED_PAD src0_sel:DWORD src1_sel:BYTE_3
	v_sub_u32_e32 v22, 29, v22
	v_and_b32_e32 v11, 7, v11
	v_cmp_eq_u16_e32 vcc, 0, v20
	v_cndmask_b32_e32 v11, v14, v11, vcc
	v_cndmask_b32_e32 v14, v21, v22, vcc
	v_mov_b32_e32 v20, 0x3b800000
	v_lshlrev_b32_e32 v11, 20, v11
	v_lshl_add_u32 v14, v14, 23, v20
	v_or3_b32 v14, v15, v14, v11
.LBB53_64:
	s_or_b64 exec, exec, s[6:7]
	s_nop 0
	v_mfma_f32_16x16x4f32 a[0:3], v10, v14, a[0:3]
	s_movk_i32 s4, 0x7f
	v_cmp_gt_i16_sdwa s[6:7], v16, s4 src0_sel:BYTE_0 src1_sel:DWORD
	s_mov_b64 s[4:5], 0
                                        ; implicit-def: $sgpr10
	s_and_saveexec_b64 s[8:9], s[6:7]
	s_xor_b64 s[6:7], exec, s[8:9]
	s_cbranch_execnz .LBB53_2113
; %bb.65:
	s_or_saveexec_b64 s[6:7], s[6:7]
	v_mov_b32_e32 v10, s10
	s_xor_b64 exec, exec, s[6:7]
	s_cbranch_execnz .LBB53_2116
.LBB53_66:
	s_or_b64 exec, exec, s[6:7]
	s_and_saveexec_b64 s[6:7], s[4:5]
	s_cbranch_execz .LBB53_68
.LBB53_67:
	v_and_b32_e32 v10, 7, v16
	v_ffbh_u32_e32 v14, v10
	v_min_u32_e32 v14, 32, v14
	v_lshrrev_b16_e32 v11, 3, v16
	v_subrev_u32_e32 v15, 28, v14
	v_and_b32_e32 v11, 15, v11
	v_lshlrev_b32_e32 v15, v15, v16
	v_sub_u32_e32 v14, 29, v14
	v_and_b32_e32 v15, 7, v15
	v_cmp_eq_u16_e32 vcc, 0, v11
	v_cndmask_b32_e32 v10, v10, v15, vcc
	v_cndmask_b32_e32 v11, v11, v14, vcc
	v_lshlrev_b32_e32 v14, 24, v16
	v_mov_b32_e32 v15, 0x3b800000
	v_lshlrev_b32_e32 v10, 20, v10
	v_and_b32_e32 v14, 0x80000000, v14
	v_lshl_add_u32 v11, v11, 23, v15
	v_or3_b32 v10, v14, v11, v10
.LBB53_68:
	s_or_b64 exec, exec, s[6:7]
	s_movk_i32 s4, 0x7f
	v_cmp_gt_i16_sdwa s[6:7], v12, s4 src0_sel:BYTE_0 src1_sel:DWORD
	s_mov_b64 s[4:5], 0
                                        ; implicit-def: $sgpr10
	s_and_saveexec_b64 s[8:9], s[6:7]
	s_xor_b64 s[6:7], exec, s[8:9]
	s_cbranch_execnz .LBB53_2117
; %bb.69:
	s_or_saveexec_b64 s[6:7], s[6:7]
	v_mov_b32_e32 v11, s10
	s_xor_b64 exec, exec, s[6:7]
	s_cbranch_execnz .LBB53_2120
.LBB53_70:
	s_or_b64 exec, exec, s[6:7]
	s_and_saveexec_b64 s[6:7], s[4:5]
	s_cbranch_execz .LBB53_72
.LBB53_71:
	v_and_b32_e32 v11, 7, v12
	v_ffbh_u32_e32 v15, v11
	v_min_u32_e32 v15, 32, v15
	v_lshrrev_b16_e32 v14, 3, v12
	v_subrev_u32_e32 v20, 28, v15
	v_and_b32_e32 v14, 15, v14
	v_lshlrev_b32_e32 v20, v20, v12
	v_sub_u32_e32 v15, 29, v15
	v_and_b32_e32 v20, 7, v20
	v_cmp_eq_u16_e32 vcc, 0, v14
	v_cndmask_b32_e32 v11, v11, v20, vcc
	v_cndmask_b32_e32 v14, v14, v15, vcc
	v_lshlrev_b32_e32 v15, 24, v12
	v_mov_b32_e32 v20, 0x3b800000
	v_lshlrev_b32_e32 v11, 20, v11
	v_and_b32_e32 v15, 0x80000000, v15
	v_lshl_add_u32 v14, v14, 23, v20
	v_or3_b32 v11, v15, v14, v11
.LBB53_72:
	s_or_b64 exec, exec, s[6:7]
	s_nop 0
	v_mfma_f32_16x16x4f32 a[0:3], v10, v11, a[0:3]
	v_lshrrev_b32_e32 v11, 8, v16
	s_movk_i32 s4, 0x7f
	v_cmp_gt_i16_sdwa s[6:7], v11, s4 src0_sel:BYTE_0 src1_sel:DWORD
	s_mov_b64 s[4:5], 0
                                        ; implicit-def: $sgpr10
	s_and_saveexec_b64 s[8:9], s[6:7]
	s_xor_b64 s[6:7], exec, s[8:9]
	s_cbranch_execnz .LBB53_2121
; %bb.73:
	s_or_saveexec_b64 s[6:7], s[6:7]
	v_mov_b32_e32 v10, s10
	s_xor_b64 exec, exec, s[6:7]
	s_cbranch_execnz .LBB53_2124
.LBB53_74:
	s_or_b64 exec, exec, s[6:7]
	s_and_saveexec_b64 s[6:7], s[4:5]
	s_cbranch_execz .LBB53_76
.LBB53_75:
	v_bfe_u32 v10, v16, 8, 3
	v_ffbh_u32_e32 v15, v10
	v_min_u32_e32 v15, 32, v15
	v_lshrrev_b16_e32 v14, 3, v11
	v_subrev_u32_e32 v20, 28, v15
	v_and_b32_e32 v14, 15, v14
	v_lshlrev_b32_e32 v11, v20, v11
	v_sub_u32_e32 v15, 29, v15
	v_and_b32_e32 v11, 7, v11
	v_cmp_eq_u16_e32 vcc, 0, v14
	v_cndmask_b32_e32 v10, v10, v11, vcc
	v_cndmask_b32_e32 v11, v14, v15, vcc
	v_lshlrev_b32_e32 v14, 16, v16
	v_mov_b32_e32 v15, 0x3b800000
	v_lshlrev_b32_e32 v10, 20, v10
	v_and_b32_e32 v14, 0x80000000, v14
	v_lshl_add_u32 v11, v11, 23, v15
	v_or3_b32 v10, v14, v11, v10
.LBB53_76:
	s_or_b64 exec, exec, s[6:7]
	v_lshrrev_b32_e32 v11, 8, v12
	s_movk_i32 s4, 0x7f
	v_cmp_gt_i16_sdwa s[6:7], v11, s4 src0_sel:BYTE_0 src1_sel:DWORD
	s_mov_b64 s[4:5], 0
                                        ; implicit-def: $sgpr10
	s_and_saveexec_b64 s[8:9], s[6:7]
	s_xor_b64 s[6:7], exec, s[8:9]
	s_cbranch_execnz .LBB53_2125
; %bb.77:
	s_or_saveexec_b64 s[6:7], s[6:7]
	v_mov_b32_e32 v14, s10
	s_xor_b64 exec, exec, s[6:7]
	s_cbranch_execnz .LBB53_2128
.LBB53_78:
	s_or_b64 exec, exec, s[6:7]
	s_and_saveexec_b64 s[6:7], s[4:5]
	s_cbranch_execz .LBB53_80
.LBB53_79:
	v_bfe_u32 v14, v12, 8, 3
	v_ffbh_u32_e32 v20, v14
	v_min_u32_e32 v20, 32, v20
	v_lshrrev_b16_e32 v15, 3, v11
	v_subrev_u32_e32 v21, 28, v20
	v_and_b32_e32 v15, 15, v15
	v_lshlrev_b32_e32 v11, v21, v11
	v_sub_u32_e32 v20, 29, v20
	v_and_b32_e32 v11, 7, v11
	v_cmp_eq_u16_e32 vcc, 0, v15
	v_cndmask_b32_e32 v11, v14, v11, vcc
	v_cndmask_b32_e32 v14, v15, v20, vcc
	v_lshlrev_b32_e32 v15, 16, v12
	v_mov_b32_e32 v20, 0x3b800000
	v_lshlrev_b32_e32 v11, 20, v11
	v_and_b32_e32 v15, 0x80000000, v15
	v_lshl_add_u32 v14, v14, 23, v20
	v_or3_b32 v14, v15, v14, v11
.LBB53_80:
	s_or_b64 exec, exec, s[6:7]
	s_nop 0
	v_mfma_f32_16x16x4f32 a[0:3], v10, v14, a[0:3]
	s_movk_i32 s4, 0xff
	v_and_b32_sdwa v11, v16, s4 dst_sel:DWORD dst_unused:UNUSED_PAD src0_sel:WORD_1 src1_sel:DWORD
	s_movk_i32 s4, 0x7f
	v_cmp_lt_i16_e32 vcc, s4, v11
	s_mov_b64 s[4:5], 0
                                        ; implicit-def: $sgpr10
	s_and_saveexec_b64 s[6:7], vcc
	s_xor_b64 s[6:7], exec, s[6:7]
	s_cbranch_execnz .LBB53_2129
; %bb.81:
	s_or_saveexec_b64 s[6:7], s[6:7]
	v_mov_b32_e32 v10, s10
	s_xor_b64 exec, exec, s[6:7]
	s_cbranch_execnz .LBB53_2132
.LBB53_82:
	s_or_b64 exec, exec, s[6:7]
	s_and_saveexec_b64 s[6:7], s[4:5]
	s_cbranch_execz .LBB53_84
.LBB53_83:
	v_bfe_u32 v10, v16, 16, 3
	v_ffbh_u32_e32 v15, v10
	v_min_u32_e32 v15, 32, v15
	v_lshrrev_b32_e32 v11, 19, v16
	v_subrev_u32_e32 v20, 28, v15
	v_and_b32_e32 v11, 15, v11
	v_lshlrev_b32_sdwa v20, v20, v16 dst_sel:DWORD dst_unused:UNUSED_PAD src0_sel:DWORD src1_sel:WORD_1
	v_bfe_u32 v14, v16, 19, 4
	v_sub_u32_e32 v15, 29, v15
	v_and_b32_e32 v20, 7, v20
	v_cmp_eq_u16_e32 vcc, 0, v11
	v_cndmask_b32_e32 v10, v10, v20, vcc
	v_cndmask_b32_e32 v11, v14, v15, vcc
	v_lshlrev_b32_e32 v14, 8, v16
	v_mov_b32_e32 v15, 0x3b800000
	v_lshlrev_b32_e32 v10, 20, v10
	v_and_b32_e32 v14, 0x80000000, v14
	v_lshl_add_u32 v11, v11, 23, v15
	v_or3_b32 v10, v14, v11, v10
.LBB53_84:
	s_or_b64 exec, exec, s[6:7]
	s_movk_i32 s4, 0xff
	v_and_b32_sdwa v11, v12, s4 dst_sel:DWORD dst_unused:UNUSED_PAD src0_sel:WORD_1 src1_sel:DWORD
	s_movk_i32 s4, 0x7f
	v_cmp_lt_i16_e32 vcc, s4, v11
	s_mov_b64 s[4:5], 0
                                        ; implicit-def: $sgpr10
	s_and_saveexec_b64 s[6:7], vcc
	s_xor_b64 s[6:7], exec, s[6:7]
	s_cbranch_execnz .LBB53_2133
; %bb.85:
	s_or_saveexec_b64 s[6:7], s[6:7]
	v_mov_b32_e32 v14, s10
	s_xor_b64 exec, exec, s[6:7]
	s_cbranch_execnz .LBB53_2136
.LBB53_86:
	s_or_b64 exec, exec, s[6:7]
	s_and_saveexec_b64 s[6:7], s[4:5]
	s_cbranch_execz .LBB53_88
.LBB53_87:
	v_bfe_u32 v11, v12, 16, 3
	v_ffbh_u32_e32 v20, v11
	v_min_u32_e32 v20, 32, v20
	v_lshrrev_b32_e32 v14, 19, v12
	v_subrev_u32_e32 v21, 28, v20
	v_and_b32_e32 v14, 15, v14
	v_lshlrev_b32_sdwa v21, v21, v12 dst_sel:DWORD dst_unused:UNUSED_PAD src0_sel:DWORD src1_sel:WORD_1
	v_bfe_u32 v15, v12, 19, 4
	v_sub_u32_e32 v20, 29, v20
	v_and_b32_e32 v21, 7, v21
	v_cmp_eq_u16_e32 vcc, 0, v14
	v_cndmask_b32_e32 v11, v11, v21, vcc
	v_cndmask_b32_e32 v14, v15, v20, vcc
	v_lshlrev_b32_e32 v15, 8, v12
	v_mov_b32_e32 v20, 0x3b800000
	v_lshlrev_b32_e32 v11, 20, v11
	v_and_b32_e32 v15, 0x80000000, v15
	v_lshl_add_u32 v14, v14, 23, v20
	v_or3_b32 v14, v15, v14, v11
.LBB53_88:
	s_or_b64 exec, exec, s[6:7]
	s_nop 0
	v_mfma_f32_16x16x4f32 a[0:3], v10, v14, a[0:3]
	s_movk_i32 s4, 0x7f
	v_cmp_gt_i16_sdwa s[6:7], v16, s4 src0_sel:BYTE_3 src1_sel:DWORD
	s_mov_b64 s[4:5], 0
                                        ; implicit-def: $sgpr10
	s_and_saveexec_b64 s[8:9], s[6:7]
	s_xor_b64 s[6:7], exec, s[8:9]
	s_cbranch_execnz .LBB53_2137
; %bb.89:
	s_or_saveexec_b64 s[6:7], s[6:7]
	v_mov_b32_e32 v10, s10
	s_xor_b64 exec, exec, s[6:7]
	s_cbranch_execnz .LBB53_2140
.LBB53_90:
	s_or_b64 exec, exec, s[6:7]
	s_and_saveexec_b64 s[6:7], s[4:5]
	s_cbranch_execz .LBB53_92
.LBB53_91:
	v_bfe_u32 v10, v16, 24, 3
	v_ffbh_u32_e32 v20, v10
	v_min_u32_e32 v20, 32, v20
	v_lshrrev_b32_e32 v14, 27, v16
	v_subrev_u32_e32 v21, 28, v20
	v_and_b32_e32 v11, 0x80000000, v16
	v_and_b32_e32 v14, 15, v14
	v_bfe_u32 v15, v16, 27, 4
	v_lshlrev_b32_sdwa v16, v21, v16 dst_sel:DWORD dst_unused:UNUSED_PAD src0_sel:DWORD src1_sel:BYTE_3
	v_sub_u32_e32 v20, 29, v20
	v_and_b32_e32 v16, 7, v16
	v_cmp_eq_u16_e32 vcc, 0, v14
	v_cndmask_b32_e32 v10, v10, v16, vcc
	v_cndmask_b32_e32 v14, v15, v20, vcc
	v_mov_b32_e32 v15, 0x3b800000
	v_lshlrev_b32_e32 v10, 20, v10
	v_lshl_add_u32 v14, v14, 23, v15
	v_or3_b32 v10, v11, v14, v10
.LBB53_92:
	s_or_b64 exec, exec, s[6:7]
	s_movk_i32 s4, 0x7f
	v_cmp_gt_i16_sdwa s[6:7], v12, s4 src0_sel:BYTE_3 src1_sel:DWORD
	s_mov_b64 s[4:5], 0
                                        ; implicit-def: $sgpr10
	s_and_saveexec_b64 s[8:9], s[6:7]
	s_xor_b64 s[6:7], exec, s[8:9]
	s_cbranch_execnz .LBB53_2141
; %bb.93:
	s_or_saveexec_b64 s[6:7], s[6:7]
	v_mov_b32_e32 v11, s10
	s_xor_b64 exec, exec, s[6:7]
	s_cbranch_execnz .LBB53_2144
.LBB53_94:
	s_or_b64 exec, exec, s[6:7]
	s_and_saveexec_b64 s[6:7], s[4:5]
	s_cbranch_execz .LBB53_96
.LBB53_95:
	v_bfe_u32 v11, v12, 24, 3
	v_ffbh_u32_e32 v20, v11
	v_min_u32_e32 v20, 32, v20
	v_lshrrev_b32_e32 v15, 27, v12
	v_subrev_u32_e32 v21, 28, v20
	v_and_b32_e32 v14, 0x80000000, v12
	v_and_b32_e32 v15, 15, v15
	v_bfe_u32 v16, v12, 27, 4
	v_lshlrev_b32_sdwa v12, v21, v12 dst_sel:DWORD dst_unused:UNUSED_PAD src0_sel:DWORD src1_sel:BYTE_3
	v_sub_u32_e32 v20, 29, v20
	v_and_b32_e32 v12, 7, v12
	v_cmp_eq_u16_e32 vcc, 0, v15
	v_cndmask_b32_e32 v11, v11, v12, vcc
	v_cndmask_b32_e32 v12, v16, v20, vcc
	v_mov_b32_e32 v15, 0x3b800000
	v_lshlrev_b32_e32 v11, 20, v11
	v_lshl_add_u32 v12, v12, 23, v15
	v_or3_b32 v11, v14, v12, v11
.LBB53_96:
	s_or_b64 exec, exec, s[6:7]
	s_nop 0
	v_mfma_f32_16x16x4f32 a[0:3], v10, v11, a[0:3]
	s_movk_i32 s4, 0x7f
	v_cmp_gt_i16_sdwa s[6:7], v17, s4 src0_sel:BYTE_0 src1_sel:DWORD
	s_mov_b64 s[4:5], 0
                                        ; implicit-def: $sgpr10
	s_and_saveexec_b64 s[8:9], s[6:7]
	s_xor_b64 s[6:7], exec, s[8:9]
	s_cbranch_execnz .LBB53_2145
; %bb.97:
	s_or_saveexec_b64 s[6:7], s[6:7]
	v_mov_b32_e32 v10, s10
	s_xor_b64 exec, exec, s[6:7]
	s_cbranch_execnz .LBB53_2148
.LBB53_98:
	s_or_b64 exec, exec, s[6:7]
	s_and_saveexec_b64 s[6:7], s[4:5]
	s_cbranch_execz .LBB53_100
.LBB53_99:
	v_and_b32_e32 v10, 7, v17
	v_ffbh_u32_e32 v12, v10
	v_min_u32_e32 v12, 32, v12
	v_lshrrev_b16_e32 v11, 3, v17
	v_subrev_u32_e32 v14, 28, v12
	v_and_b32_e32 v11, 15, v11
	v_lshlrev_b32_e32 v14, v14, v17
	v_sub_u32_e32 v12, 29, v12
	v_and_b32_e32 v14, 7, v14
	v_cmp_eq_u16_e32 vcc, 0, v11
	v_cndmask_b32_e32 v10, v10, v14, vcc
	v_cndmask_b32_e32 v11, v11, v12, vcc
	v_lshlrev_b32_e32 v12, 24, v17
	v_mov_b32_e32 v14, 0x3b800000
	v_lshlrev_b32_e32 v10, 20, v10
	v_and_b32_e32 v12, 0x80000000, v12
	v_lshl_add_u32 v11, v11, 23, v14
	v_or3_b32 v10, v12, v11, v10
.LBB53_100:
	s_or_b64 exec, exec, s[6:7]
	s_movk_i32 s4, 0x7f
	v_cmp_gt_i16_sdwa s[6:7], v13, s4 src0_sel:BYTE_0 src1_sel:DWORD
	s_mov_b64 s[4:5], 0
                                        ; implicit-def: $sgpr10
	s_and_saveexec_b64 s[8:9], s[6:7]
	s_xor_b64 s[6:7], exec, s[8:9]
	s_cbranch_execnz .LBB53_2149
; %bb.101:
	s_or_saveexec_b64 s[6:7], s[6:7]
	v_mov_b32_e32 v11, s10
	s_xor_b64 exec, exec, s[6:7]
	s_cbranch_execnz .LBB53_2152
.LBB53_102:
	s_or_b64 exec, exec, s[6:7]
	s_and_saveexec_b64 s[6:7], s[4:5]
	s_cbranch_execz .LBB53_104
.LBB53_103:
	v_and_b32_e32 v11, 7, v13
	v_ffbh_u32_e32 v14, v11
	v_min_u32_e32 v14, 32, v14
	v_lshrrev_b16_e32 v12, 3, v13
	v_subrev_u32_e32 v15, 28, v14
	v_and_b32_e32 v12, 15, v12
	v_lshlrev_b32_e32 v15, v15, v13
	v_sub_u32_e32 v14, 29, v14
	v_and_b32_e32 v15, 7, v15
	v_cmp_eq_u16_e32 vcc, 0, v12
	v_cndmask_b32_e32 v11, v11, v15, vcc
	v_cndmask_b32_e32 v12, v12, v14, vcc
	v_lshlrev_b32_e32 v14, 24, v13
	v_mov_b32_e32 v15, 0x3b800000
	v_lshlrev_b32_e32 v11, 20, v11
	v_and_b32_e32 v14, 0x80000000, v14
	v_lshl_add_u32 v12, v12, 23, v15
	v_or3_b32 v11, v14, v12, v11
.LBB53_104:
	s_or_b64 exec, exec, s[6:7]
	s_nop 0
	v_mfma_f32_16x16x4f32 a[0:3], v10, v11, a[0:3]
	v_lshrrev_b32_e32 v11, 8, v17
	s_movk_i32 s4, 0x7f
	v_cmp_gt_i16_sdwa s[6:7], v11, s4 src0_sel:BYTE_0 src1_sel:DWORD
	s_mov_b64 s[4:5], 0
                                        ; implicit-def: $sgpr10
	s_and_saveexec_b64 s[8:9], s[6:7]
	s_xor_b64 s[6:7], exec, s[8:9]
	s_cbranch_execnz .LBB53_2153
; %bb.105:
	s_or_saveexec_b64 s[6:7], s[6:7]
	v_mov_b32_e32 v10, s10
	s_xor_b64 exec, exec, s[6:7]
	s_cbranch_execnz .LBB53_2156
.LBB53_106:
	s_or_b64 exec, exec, s[6:7]
	s_and_saveexec_b64 s[6:7], s[4:5]
	s_cbranch_execz .LBB53_108
.LBB53_107:
	v_bfe_u32 v10, v17, 8, 3
	v_ffbh_u32_e32 v14, v10
	v_min_u32_e32 v14, 32, v14
	v_lshrrev_b16_e32 v12, 3, v11
	v_subrev_u32_e32 v15, 28, v14
	v_and_b32_e32 v12, 15, v12
	v_lshlrev_b32_e32 v11, v15, v11
	v_sub_u32_e32 v14, 29, v14
	v_and_b32_e32 v11, 7, v11
	v_cmp_eq_u16_e32 vcc, 0, v12
	v_cndmask_b32_e32 v10, v10, v11, vcc
	v_cndmask_b32_e32 v11, v12, v14, vcc
	v_lshlrev_b32_e32 v12, 16, v17
	v_mov_b32_e32 v14, 0x3b800000
	v_lshlrev_b32_e32 v10, 20, v10
	v_and_b32_e32 v12, 0x80000000, v12
	v_lshl_add_u32 v11, v11, 23, v14
	v_or3_b32 v10, v12, v11, v10
.LBB53_108:
	s_or_b64 exec, exec, s[6:7]
	v_lshrrev_b32_e32 v11, 8, v13
	s_movk_i32 s4, 0x7f
	v_cmp_gt_i16_sdwa s[6:7], v11, s4 src0_sel:BYTE_0 src1_sel:DWORD
	s_mov_b64 s[4:5], 0
                                        ; implicit-def: $sgpr10
	s_and_saveexec_b64 s[8:9], s[6:7]
	s_xor_b64 s[6:7], exec, s[8:9]
	s_cbranch_execnz .LBB53_2157
; %bb.109:
	s_or_saveexec_b64 s[6:7], s[6:7]
	v_mov_b32_e32 v12, s10
	s_xor_b64 exec, exec, s[6:7]
	s_cbranch_execnz .LBB53_2160
.LBB53_110:
	s_or_b64 exec, exec, s[6:7]
	s_and_saveexec_b64 s[6:7], s[4:5]
	s_cbranch_execz .LBB53_112
.LBB53_111:
	v_bfe_u32 v12, v13, 8, 3
	v_ffbh_u32_e32 v15, v12
	v_min_u32_e32 v15, 32, v15
	v_lshrrev_b16_e32 v14, 3, v11
	v_subrev_u32_e32 v16, 28, v15
	v_and_b32_e32 v14, 15, v14
	v_lshlrev_b32_e32 v11, v16, v11
	v_sub_u32_e32 v15, 29, v15
	v_and_b32_e32 v11, 7, v11
	v_cmp_eq_u16_e32 vcc, 0, v14
	v_cndmask_b32_e32 v11, v12, v11, vcc
	v_cndmask_b32_e32 v12, v14, v15, vcc
	v_lshlrev_b32_e32 v14, 16, v13
	v_mov_b32_e32 v15, 0x3b800000
	v_lshlrev_b32_e32 v11, 20, v11
	v_and_b32_e32 v14, 0x80000000, v14
	v_lshl_add_u32 v12, v12, 23, v15
	v_or3_b32 v12, v14, v12, v11
.LBB53_112:
	s_or_b64 exec, exec, s[6:7]
	s_nop 0
	v_mfma_f32_16x16x4f32 a[0:3], v10, v12, a[0:3]
	s_movk_i32 s4, 0xff
	v_and_b32_sdwa v11, v17, s4 dst_sel:DWORD dst_unused:UNUSED_PAD src0_sel:WORD_1 src1_sel:DWORD
	s_movk_i32 s4, 0x7f
	v_cmp_lt_i16_e32 vcc, s4, v11
	s_mov_b64 s[4:5], 0
                                        ; implicit-def: $sgpr10
	s_and_saveexec_b64 s[6:7], vcc
	s_xor_b64 s[6:7], exec, s[6:7]
	s_cbranch_execnz .LBB53_2161
; %bb.113:
	s_or_saveexec_b64 s[6:7], s[6:7]
	v_mov_b32_e32 v10, s10
	s_xor_b64 exec, exec, s[6:7]
	s_cbranch_execnz .LBB53_2164
.LBB53_114:
	s_or_b64 exec, exec, s[6:7]
	s_and_saveexec_b64 s[6:7], s[4:5]
	s_cbranch_execz .LBB53_116
.LBB53_115:
	v_bfe_u32 v10, v17, 16, 3
	v_ffbh_u32_e32 v14, v10
	v_min_u32_e32 v14, 32, v14
	v_lshrrev_b32_e32 v11, 19, v17
	v_subrev_u32_e32 v15, 28, v14
	v_and_b32_e32 v11, 15, v11
	v_lshlrev_b32_sdwa v15, v15, v17 dst_sel:DWORD dst_unused:UNUSED_PAD src0_sel:DWORD src1_sel:WORD_1
	v_bfe_u32 v12, v17, 19, 4
	v_sub_u32_e32 v14, 29, v14
	v_and_b32_e32 v15, 7, v15
	v_cmp_eq_u16_e32 vcc, 0, v11
	v_cndmask_b32_e32 v10, v10, v15, vcc
	v_cndmask_b32_e32 v11, v12, v14, vcc
	v_lshlrev_b32_e32 v12, 8, v17
	v_mov_b32_e32 v14, 0x3b800000
	v_lshlrev_b32_e32 v10, 20, v10
	v_and_b32_e32 v12, 0x80000000, v12
	v_lshl_add_u32 v11, v11, 23, v14
	v_or3_b32 v10, v12, v11, v10
.LBB53_116:
	s_or_b64 exec, exec, s[6:7]
	s_movk_i32 s4, 0xff
	v_and_b32_sdwa v11, v13, s4 dst_sel:DWORD dst_unused:UNUSED_PAD src0_sel:WORD_1 src1_sel:DWORD
	s_movk_i32 s4, 0x7f
	v_cmp_lt_i16_e32 vcc, s4, v11
	s_mov_b64 s[4:5], 0
                                        ; implicit-def: $sgpr10
	s_and_saveexec_b64 s[6:7], vcc
	s_xor_b64 s[6:7], exec, s[6:7]
	s_cbranch_execnz .LBB53_2165
; %bb.117:
	s_or_saveexec_b64 s[6:7], s[6:7]
	v_mov_b32_e32 v12, s10
	s_xor_b64 exec, exec, s[6:7]
	s_cbranch_execnz .LBB53_2168
.LBB53_118:
	s_or_b64 exec, exec, s[6:7]
	s_and_saveexec_b64 s[6:7], s[4:5]
	s_cbranch_execz .LBB53_120
.LBB53_119:
	v_bfe_u32 v11, v13, 16, 3
	v_ffbh_u32_e32 v15, v11
	v_min_u32_e32 v15, 32, v15
	v_lshrrev_b32_e32 v12, 19, v13
	v_subrev_u32_e32 v16, 28, v15
	v_and_b32_e32 v12, 15, v12
	v_lshlrev_b32_sdwa v16, v16, v13 dst_sel:DWORD dst_unused:UNUSED_PAD src0_sel:DWORD src1_sel:WORD_1
	v_bfe_u32 v14, v13, 19, 4
	v_sub_u32_e32 v15, 29, v15
	v_and_b32_e32 v16, 7, v16
	v_cmp_eq_u16_e32 vcc, 0, v12
	v_cndmask_b32_e32 v11, v11, v16, vcc
	v_cndmask_b32_e32 v12, v14, v15, vcc
	v_lshlrev_b32_e32 v14, 8, v13
	v_mov_b32_e32 v15, 0x3b800000
	v_lshlrev_b32_e32 v11, 20, v11
	v_and_b32_e32 v14, 0x80000000, v14
	v_lshl_add_u32 v12, v12, 23, v15
	v_or3_b32 v12, v14, v12, v11
.LBB53_120:
	s_or_b64 exec, exec, s[6:7]
	s_nop 0
	v_mfma_f32_16x16x4f32 a[0:3], v10, v12, a[0:3]
	s_movk_i32 s4, 0x7f
	v_cmp_gt_i16_sdwa s[6:7], v17, s4 src0_sel:BYTE_3 src1_sel:DWORD
	s_mov_b64 s[4:5], 0
                                        ; implicit-def: $sgpr10
	s_and_saveexec_b64 s[8:9], s[6:7]
	s_xor_b64 s[6:7], exec, s[8:9]
	s_cbranch_execnz .LBB53_2169
; %bb.121:
	s_or_saveexec_b64 s[6:7], s[6:7]
	v_mov_b32_e32 v10, s10
	s_xor_b64 exec, exec, s[6:7]
	s_cbranch_execnz .LBB53_2172
.LBB53_122:
	s_or_b64 exec, exec, s[6:7]
	s_and_saveexec_b64 s[6:7], s[4:5]
	s_cbranch_execz .LBB53_124
.LBB53_123:
	v_bfe_u32 v10, v17, 24, 3
	v_ffbh_u32_e32 v15, v10
	v_min_u32_e32 v15, 32, v15
	v_lshrrev_b32_e32 v12, 27, v17
	v_subrev_u32_e32 v16, 28, v15
	v_and_b32_e32 v12, 15, v12
	v_lshlrev_b32_sdwa v16, v16, v17 dst_sel:DWORD dst_unused:UNUSED_PAD src0_sel:DWORD src1_sel:BYTE_3
	v_bfe_u32 v14, v17, 27, 4
	v_sub_u32_e32 v15, 29, v15
	v_and_b32_e32 v16, 7, v16
	v_cmp_eq_u16_e32 vcc, 0, v12
	v_cndmask_b32_e32 v10, v10, v16, vcc
	v_cndmask_b32_e32 v12, v14, v15, vcc
	v_mov_b32_e32 v14, 0x3b800000
	v_and_b32_e32 v11, 0x80000000, v17
	v_lshlrev_b32_e32 v10, 20, v10
	v_lshl_add_u32 v12, v12, 23, v14
	v_or3_b32 v10, v11, v12, v10
.LBB53_124:
	s_or_b64 exec, exec, s[6:7]
	s_movk_i32 s4, 0x7f
	v_cmp_gt_i16_sdwa s[6:7], v13, s4 src0_sel:BYTE_3 src1_sel:DWORD
	s_mov_b64 s[4:5], 0
                                        ; implicit-def: $sgpr10
	s_and_saveexec_b64 s[8:9], s[6:7]
	s_xor_b64 s[6:7], exec, s[8:9]
	s_cbranch_execnz .LBB53_2173
; %bb.125:
	s_or_saveexec_b64 s[6:7], s[6:7]
	v_mov_b32_e32 v11, s10
	s_xor_b64 exec, exec, s[6:7]
	s_cbranch_execnz .LBB53_2176
.LBB53_126:
	s_or_b64 exec, exec, s[6:7]
	s_and_saveexec_b64 s[6:7], s[4:5]
	s_cbranch_execz .LBB53_128
.LBB53_127:
	v_bfe_u32 v11, v13, 24, 3
	v_ffbh_u32_e32 v16, v11
	v_min_u32_e32 v16, 32, v16
	v_lshrrev_b32_e32 v14, 27, v13
	v_subrev_u32_e32 v17, 28, v16
	v_and_b32_e32 v12, 0x80000000, v13
	v_and_b32_e32 v14, 15, v14
	v_bfe_u32 v15, v13, 27, 4
	v_lshlrev_b32_sdwa v13, v17, v13 dst_sel:DWORD dst_unused:UNUSED_PAD src0_sel:DWORD src1_sel:BYTE_3
	v_sub_u32_e32 v16, 29, v16
	v_and_b32_e32 v13, 7, v13
	v_cmp_eq_u16_e32 vcc, 0, v14
	v_cndmask_b32_e32 v11, v11, v13, vcc
	v_cndmask_b32_e32 v13, v15, v16, vcc
	v_mov_b32_e32 v14, 0x3b800000
	v_lshlrev_b32_e32 v11, 20, v11
	v_lshl_add_u32 v13, v13, 23, v14
	v_or3_b32 v11, v12, v13, v11
.LBB53_128:
	s_or_b64 exec, exec, s[6:7]
	s_nop 0
	v_mfma_f32_16x16x4f32 a[0:3], v10, v11, a[0:3]
	s_movk_i32 s4, 0x7f
	v_cmp_gt_i16_sdwa s[6:7], v6, s4 src0_sel:BYTE_0 src1_sel:DWORD
	s_mov_b64 s[4:5], 0
                                        ; implicit-def: $sgpr10
	s_and_saveexec_b64 s[8:9], s[6:7]
	s_xor_b64 s[6:7], exec, s[8:9]
	s_cbranch_execnz .LBB53_2177
; %bb.129:
	s_or_saveexec_b64 s[6:7], s[6:7]
	v_mov_b32_e32 v10, s10
	s_xor_b64 exec, exec, s[6:7]
	s_cbranch_execnz .LBB53_2180
.LBB53_130:
	s_or_b64 exec, exec, s[6:7]
	s_and_saveexec_b64 s[6:7], s[4:5]
	s_cbranch_execz .LBB53_132
.LBB53_131:
	v_and_b32_e32 v10, 7, v6
	v_ffbh_u32_e32 v12, v10
	v_min_u32_e32 v12, 32, v12
	v_lshrrev_b16_e32 v11, 3, v6
	v_subrev_u32_e32 v13, 28, v12
	v_and_b32_e32 v11, 15, v11
	v_lshlrev_b32_e32 v13, v13, v6
	v_sub_u32_e32 v12, 29, v12
	v_and_b32_e32 v13, 7, v13
	v_cmp_eq_u16_e32 vcc, 0, v11
	v_cndmask_b32_e32 v10, v10, v13, vcc
	v_cndmask_b32_e32 v11, v11, v12, vcc
	v_lshlrev_b32_e32 v12, 24, v6
	v_mov_b32_e32 v13, 0x3b800000
	v_lshlrev_b32_e32 v10, 20, v10
	v_and_b32_e32 v12, 0x80000000, v12
	v_lshl_add_u32 v11, v11, 23, v13
	v_or3_b32 v10, v12, v11, v10
.LBB53_132:
	s_or_b64 exec, exec, s[6:7]
	s_movk_i32 s4, 0x7f
	v_cmp_gt_i16_sdwa s[6:7], v2, s4 src0_sel:BYTE_0 src1_sel:DWORD
	s_mov_b64 s[4:5], 0
                                        ; implicit-def: $sgpr10
	s_and_saveexec_b64 s[8:9], s[6:7]
	s_xor_b64 s[6:7], exec, s[8:9]
	s_cbranch_execnz .LBB53_2181
; %bb.133:
	s_or_saveexec_b64 s[6:7], s[6:7]
	v_mov_b32_e32 v11, s10
	s_xor_b64 exec, exec, s[6:7]
	s_cbranch_execnz .LBB53_2184
.LBB53_134:
	s_or_b64 exec, exec, s[6:7]
	s_and_saveexec_b64 s[6:7], s[4:5]
	s_cbranch_execz .LBB53_136
.LBB53_135:
	v_and_b32_e32 v11, 7, v2
	v_ffbh_u32_e32 v13, v11
	v_min_u32_e32 v13, 32, v13
	v_lshrrev_b16_e32 v12, 3, v2
	v_subrev_u32_e32 v14, 28, v13
	v_and_b32_e32 v12, 15, v12
	v_lshlrev_b32_e32 v14, v14, v2
	v_sub_u32_e32 v13, 29, v13
	v_and_b32_e32 v14, 7, v14
	v_cmp_eq_u16_e32 vcc, 0, v12
	v_cndmask_b32_e32 v11, v11, v14, vcc
	v_cndmask_b32_e32 v12, v12, v13, vcc
	v_lshlrev_b32_e32 v13, 24, v2
	v_mov_b32_e32 v14, 0x3b800000
	v_lshlrev_b32_e32 v11, 20, v11
	v_and_b32_e32 v13, 0x80000000, v13
	v_lshl_add_u32 v12, v12, 23, v14
	v_or3_b32 v11, v13, v12, v11
.LBB53_136:
	s_or_b64 exec, exec, s[6:7]
	s_nop 0
	v_mfma_f32_16x16x4f32 a[0:3], v10, v11, a[0:3]
	v_lshrrev_b32_e32 v11, 8, v6
	s_movk_i32 s4, 0x7f
	v_cmp_gt_i16_sdwa s[6:7], v11, s4 src0_sel:BYTE_0 src1_sel:DWORD
	s_mov_b64 s[4:5], 0
                                        ; implicit-def: $sgpr10
	s_and_saveexec_b64 s[8:9], s[6:7]
	s_xor_b64 s[6:7], exec, s[8:9]
	s_cbranch_execnz .LBB53_2185
; %bb.137:
	s_or_saveexec_b64 s[6:7], s[6:7]
	v_mov_b32_e32 v10, s10
	s_xor_b64 exec, exec, s[6:7]
	s_cbranch_execnz .LBB53_2188
.LBB53_138:
	s_or_b64 exec, exec, s[6:7]
	s_and_saveexec_b64 s[6:7], s[4:5]
	s_cbranch_execz .LBB53_140
.LBB53_139:
	v_bfe_u32 v10, v6, 8, 3
	v_ffbh_u32_e32 v13, v10
	v_min_u32_e32 v13, 32, v13
	v_lshrrev_b16_e32 v12, 3, v11
	v_subrev_u32_e32 v14, 28, v13
	v_and_b32_e32 v12, 15, v12
	v_lshlrev_b32_e32 v11, v14, v11
	v_sub_u32_e32 v13, 29, v13
	v_and_b32_e32 v11, 7, v11
	v_cmp_eq_u16_e32 vcc, 0, v12
	v_cndmask_b32_e32 v10, v10, v11, vcc
	v_cndmask_b32_e32 v11, v12, v13, vcc
	v_lshlrev_b32_e32 v12, 16, v6
	v_mov_b32_e32 v13, 0x3b800000
	v_lshlrev_b32_e32 v10, 20, v10
	v_and_b32_e32 v12, 0x80000000, v12
	v_lshl_add_u32 v11, v11, 23, v13
	v_or3_b32 v10, v12, v11, v10
.LBB53_140:
	s_or_b64 exec, exec, s[6:7]
	v_lshrrev_b32_e32 v11, 8, v2
	s_movk_i32 s4, 0x7f
	v_cmp_gt_i16_sdwa s[6:7], v11, s4 src0_sel:BYTE_0 src1_sel:DWORD
	s_mov_b64 s[4:5], 0
                                        ; implicit-def: $sgpr10
	s_and_saveexec_b64 s[8:9], s[6:7]
	s_xor_b64 s[6:7], exec, s[8:9]
	s_cbranch_execnz .LBB53_2189
; %bb.141:
	s_or_saveexec_b64 s[6:7], s[6:7]
	v_mov_b32_e32 v12, s10
	s_xor_b64 exec, exec, s[6:7]
	s_cbranch_execnz .LBB53_2192
.LBB53_142:
	s_or_b64 exec, exec, s[6:7]
	s_and_saveexec_b64 s[6:7], s[4:5]
	s_cbranch_execz .LBB53_144
.LBB53_143:
	v_bfe_u32 v12, v2, 8, 3
	v_ffbh_u32_e32 v14, v12
	v_min_u32_e32 v14, 32, v14
	v_lshrrev_b16_e32 v13, 3, v11
	v_subrev_u32_e32 v15, 28, v14
	v_and_b32_e32 v13, 15, v13
	v_lshlrev_b32_e32 v11, v15, v11
	v_sub_u32_e32 v14, 29, v14
	v_and_b32_e32 v11, 7, v11
	v_cmp_eq_u16_e32 vcc, 0, v13
	v_cndmask_b32_e32 v11, v12, v11, vcc
	v_cndmask_b32_e32 v12, v13, v14, vcc
	v_lshlrev_b32_e32 v13, 16, v2
	v_mov_b32_e32 v14, 0x3b800000
	v_lshlrev_b32_e32 v11, 20, v11
	v_and_b32_e32 v13, 0x80000000, v13
	v_lshl_add_u32 v12, v12, 23, v14
	v_or3_b32 v12, v13, v12, v11
.LBB53_144:
	s_or_b64 exec, exec, s[6:7]
	s_nop 0
	v_mfma_f32_16x16x4f32 a[0:3], v10, v12, a[0:3]
	s_movk_i32 s4, 0xff
	v_and_b32_sdwa v11, v6, s4 dst_sel:DWORD dst_unused:UNUSED_PAD src0_sel:WORD_1 src1_sel:DWORD
	s_movk_i32 s4, 0x7f
	v_cmp_lt_i16_e32 vcc, s4, v11
	s_mov_b64 s[4:5], 0
                                        ; implicit-def: $sgpr10
	s_and_saveexec_b64 s[6:7], vcc
	s_xor_b64 s[6:7], exec, s[6:7]
	s_cbranch_execnz .LBB53_2193
; %bb.145:
	s_or_saveexec_b64 s[6:7], s[6:7]
	v_mov_b32_e32 v10, s10
	s_xor_b64 exec, exec, s[6:7]
	s_cbranch_execnz .LBB53_2196
.LBB53_146:
	s_or_b64 exec, exec, s[6:7]
	s_and_saveexec_b64 s[6:7], s[4:5]
	s_cbranch_execz .LBB53_148
.LBB53_147:
	v_bfe_u32 v10, v6, 16, 3
	v_ffbh_u32_e32 v13, v10
	v_min_u32_e32 v13, 32, v13
	v_lshrrev_b32_e32 v11, 19, v6
	v_subrev_u32_e32 v14, 28, v13
	v_and_b32_e32 v11, 15, v11
	v_lshlrev_b32_sdwa v14, v14, v6 dst_sel:DWORD dst_unused:UNUSED_PAD src0_sel:DWORD src1_sel:WORD_1
	v_bfe_u32 v12, v6, 19, 4
	v_sub_u32_e32 v13, 29, v13
	v_and_b32_e32 v14, 7, v14
	v_cmp_eq_u16_e32 vcc, 0, v11
	v_cndmask_b32_e32 v10, v10, v14, vcc
	v_cndmask_b32_e32 v11, v12, v13, vcc
	v_lshlrev_b32_e32 v12, 8, v6
	v_mov_b32_e32 v13, 0x3b800000
	v_lshlrev_b32_e32 v10, 20, v10
	v_and_b32_e32 v12, 0x80000000, v12
	v_lshl_add_u32 v11, v11, 23, v13
	v_or3_b32 v10, v12, v11, v10
.LBB53_148:
	s_or_b64 exec, exec, s[6:7]
	s_movk_i32 s4, 0xff
	v_and_b32_sdwa v11, v2, s4 dst_sel:DWORD dst_unused:UNUSED_PAD src0_sel:WORD_1 src1_sel:DWORD
	s_movk_i32 s4, 0x7f
	v_cmp_lt_i16_e32 vcc, s4, v11
	s_mov_b64 s[4:5], 0
                                        ; implicit-def: $sgpr10
	s_and_saveexec_b64 s[6:7], vcc
	s_xor_b64 s[6:7], exec, s[6:7]
	s_cbranch_execnz .LBB53_2197
; %bb.149:
	s_or_saveexec_b64 s[6:7], s[6:7]
	v_mov_b32_e32 v12, s10
	s_xor_b64 exec, exec, s[6:7]
	s_cbranch_execnz .LBB53_2200
.LBB53_150:
	s_or_b64 exec, exec, s[6:7]
	s_and_saveexec_b64 s[6:7], s[4:5]
	s_cbranch_execz .LBB53_152
.LBB53_151:
	v_bfe_u32 v11, v2, 16, 3
	v_ffbh_u32_e32 v14, v11
	v_min_u32_e32 v14, 32, v14
	v_lshrrev_b32_e32 v12, 19, v2
	v_subrev_u32_e32 v15, 28, v14
	v_and_b32_e32 v12, 15, v12
	v_lshlrev_b32_sdwa v15, v15, v2 dst_sel:DWORD dst_unused:UNUSED_PAD src0_sel:DWORD src1_sel:WORD_1
	v_bfe_u32 v13, v2, 19, 4
	v_sub_u32_e32 v14, 29, v14
	v_and_b32_e32 v15, 7, v15
	v_cmp_eq_u16_e32 vcc, 0, v12
	v_cndmask_b32_e32 v11, v11, v15, vcc
	v_cndmask_b32_e32 v12, v13, v14, vcc
	v_lshlrev_b32_e32 v13, 8, v2
	v_mov_b32_e32 v14, 0x3b800000
	v_lshlrev_b32_e32 v11, 20, v11
	v_and_b32_e32 v13, 0x80000000, v13
	v_lshl_add_u32 v12, v12, 23, v14
	v_or3_b32 v12, v13, v12, v11
.LBB53_152:
	s_or_b64 exec, exec, s[6:7]
	s_nop 0
	v_mfma_f32_16x16x4f32 a[0:3], v10, v12, a[0:3]
	s_movk_i32 s4, 0x7f
	v_cmp_gt_i16_sdwa s[6:7], v6, s4 src0_sel:BYTE_3 src1_sel:DWORD
	s_mov_b64 s[4:5], 0
                                        ; implicit-def: $sgpr10
	s_and_saveexec_b64 s[8:9], s[6:7]
	s_xor_b64 s[6:7], exec, s[8:9]
	s_cbranch_execnz .LBB53_2201
; %bb.153:
	s_or_saveexec_b64 s[6:7], s[6:7]
	v_mov_b32_e32 v10, s10
	s_xor_b64 exec, exec, s[6:7]
	s_cbranch_execnz .LBB53_2204
.LBB53_154:
	s_or_b64 exec, exec, s[6:7]
	s_and_saveexec_b64 s[6:7], s[4:5]
	s_cbranch_execz .LBB53_156
.LBB53_155:
	v_bfe_u32 v10, v6, 24, 3
	v_ffbh_u32_e32 v14, v10
	v_min_u32_e32 v14, 32, v14
	v_lshrrev_b32_e32 v12, 27, v6
	v_subrev_u32_e32 v15, 28, v14
	v_and_b32_e32 v11, 0x80000000, v6
	v_and_b32_e32 v12, 15, v12
	v_bfe_u32 v13, v6, 27, 4
	v_lshlrev_b32_sdwa v6, v15, v6 dst_sel:DWORD dst_unused:UNUSED_PAD src0_sel:DWORD src1_sel:BYTE_3
	v_sub_u32_e32 v14, 29, v14
	v_and_b32_e32 v6, 7, v6
	v_cmp_eq_u16_e32 vcc, 0, v12
	v_cndmask_b32_e32 v6, v10, v6, vcc
	v_cndmask_b32_e32 v10, v13, v14, vcc
	v_mov_b32_e32 v12, 0x3b800000
	v_lshlrev_b32_e32 v6, 20, v6
	v_lshl_add_u32 v10, v10, 23, v12
	v_or3_b32 v10, v11, v10, v6
.LBB53_156:
	s_or_b64 exec, exec, s[6:7]
	s_movk_i32 s4, 0x7f
	v_cmp_gt_i16_sdwa s[6:7], v2, s4 src0_sel:BYTE_3 src1_sel:DWORD
	s_mov_b64 s[4:5], 0
                                        ; implicit-def: $sgpr10
	s_and_saveexec_b64 s[8:9], s[6:7]
	s_xor_b64 s[6:7], exec, s[8:9]
	s_cbranch_execnz .LBB53_2205
; %bb.157:
	s_or_saveexec_b64 s[6:7], s[6:7]
	v_mov_b32_e32 v6, s10
	s_xor_b64 exec, exec, s[6:7]
	s_cbranch_execnz .LBB53_2208
.LBB53_158:
	s_or_b64 exec, exec, s[6:7]
	s_and_saveexec_b64 s[6:7], s[4:5]
	s_cbranch_execz .LBB53_160
.LBB53_159:
	v_bfe_u32 v6, v2, 24, 3
	v_ffbh_u32_e32 v14, v6
	v_min_u32_e32 v14, 32, v14
	v_lshrrev_b32_e32 v12, 27, v2
	v_subrev_u32_e32 v15, 28, v14
	v_and_b32_e32 v11, 0x80000000, v2
	v_and_b32_e32 v12, 15, v12
	v_bfe_u32 v13, v2, 27, 4
	v_lshlrev_b32_sdwa v2, v15, v2 dst_sel:DWORD dst_unused:UNUSED_PAD src0_sel:DWORD src1_sel:BYTE_3
	v_sub_u32_e32 v14, 29, v14
	v_and_b32_e32 v2, 7, v2
	v_cmp_eq_u16_e32 vcc, 0, v12
	v_cndmask_b32_e32 v2, v6, v2, vcc
	v_cndmask_b32_e32 v6, v13, v14, vcc
	v_mov_b32_e32 v12, 0x3b800000
	v_lshlrev_b32_e32 v2, 20, v2
	v_lshl_add_u32 v6, v6, 23, v12
	v_or3_b32 v6, v11, v6, v2
.LBB53_160:
	s_or_b64 exec, exec, s[6:7]
	s_nop 0
	v_mfma_f32_16x16x4f32 a[0:3], v10, v6, a[0:3]
	s_movk_i32 s4, 0x7f
	v_cmp_gt_i16_sdwa s[6:7], v7, s4 src0_sel:BYTE_0 src1_sel:DWORD
	s_mov_b64 s[4:5], 0
                                        ; implicit-def: $sgpr10
	s_and_saveexec_b64 s[8:9], s[6:7]
	s_xor_b64 s[6:7], exec, s[8:9]
	s_cbranch_execnz .LBB53_2209
; %bb.161:
	s_or_saveexec_b64 s[6:7], s[6:7]
	v_mov_b32_e32 v2, s10
	s_xor_b64 exec, exec, s[6:7]
	s_cbranch_execnz .LBB53_2212
.LBB53_162:
	s_or_b64 exec, exec, s[6:7]
	s_and_saveexec_b64 s[6:7], s[4:5]
	s_cbranch_execz .LBB53_164
.LBB53_163:
	v_and_b32_e32 v2, 7, v7
	v_ffbh_u32_e32 v10, v2
	v_min_u32_e32 v10, 32, v10
	v_lshrrev_b16_e32 v6, 3, v7
	v_subrev_u32_e32 v11, 28, v10
	v_and_b32_e32 v6, 15, v6
	v_lshlrev_b32_e32 v11, v11, v7
	v_sub_u32_e32 v10, 29, v10
	v_and_b32_e32 v11, 7, v11
	v_cmp_eq_u16_e32 vcc, 0, v6
	v_cndmask_b32_e32 v2, v2, v11, vcc
	v_cndmask_b32_e32 v6, v6, v10, vcc
	v_lshlrev_b32_e32 v10, 24, v7
	v_mov_b32_e32 v11, 0x3b800000
	v_lshlrev_b32_e32 v2, 20, v2
	v_and_b32_e32 v10, 0x80000000, v10
	v_lshl_add_u32 v6, v6, 23, v11
	v_or3_b32 v2, v10, v6, v2
.LBB53_164:
	s_or_b64 exec, exec, s[6:7]
	s_movk_i32 s4, 0x7f
	v_cmp_gt_i16_sdwa s[6:7], v3, s4 src0_sel:BYTE_0 src1_sel:DWORD
	s_mov_b64 s[4:5], 0
                                        ; implicit-def: $sgpr10
	s_and_saveexec_b64 s[8:9], s[6:7]
	s_xor_b64 s[6:7], exec, s[8:9]
	s_cbranch_execnz .LBB53_2213
; %bb.165:
	s_or_saveexec_b64 s[6:7], s[6:7]
	v_mov_b32_e32 v6, s10
	s_xor_b64 exec, exec, s[6:7]
	s_cbranch_execnz .LBB53_2216
.LBB53_166:
	s_or_b64 exec, exec, s[6:7]
	s_and_saveexec_b64 s[6:7], s[4:5]
	s_cbranch_execz .LBB53_168
.LBB53_167:
	v_and_b32_e32 v6, 7, v3
	v_ffbh_u32_e32 v11, v6
	v_min_u32_e32 v11, 32, v11
	v_lshrrev_b16_e32 v10, 3, v3
	v_subrev_u32_e32 v12, 28, v11
	v_and_b32_e32 v10, 15, v10
	v_lshlrev_b32_e32 v12, v12, v3
	v_sub_u32_e32 v11, 29, v11
	v_and_b32_e32 v12, 7, v12
	v_cmp_eq_u16_e32 vcc, 0, v10
	v_cndmask_b32_e32 v6, v6, v12, vcc
	v_cndmask_b32_e32 v10, v10, v11, vcc
	v_lshlrev_b32_e32 v11, 24, v3
	v_mov_b32_e32 v12, 0x3b800000
	v_lshlrev_b32_e32 v6, 20, v6
	v_and_b32_e32 v11, 0x80000000, v11
	v_lshl_add_u32 v10, v10, 23, v12
	v_or3_b32 v6, v11, v10, v6
.LBB53_168:
	s_or_b64 exec, exec, s[6:7]
	s_nop 0
	v_mfma_f32_16x16x4f32 a[0:3], v2, v6, a[0:3]
	v_lshrrev_b32_e32 v6, 8, v7
	s_movk_i32 s4, 0x7f
	v_cmp_gt_i16_sdwa s[6:7], v6, s4 src0_sel:BYTE_0 src1_sel:DWORD
	s_mov_b64 s[4:5], 0
                                        ; implicit-def: $sgpr10
	s_and_saveexec_b64 s[8:9], s[6:7]
	s_xor_b64 s[6:7], exec, s[8:9]
	s_cbranch_execnz .LBB53_2217
; %bb.169:
	s_or_saveexec_b64 s[6:7], s[6:7]
	v_mov_b32_e32 v2, s10
	s_xor_b64 exec, exec, s[6:7]
	s_cbranch_execnz .LBB53_2220
.LBB53_170:
	s_or_b64 exec, exec, s[6:7]
	s_and_saveexec_b64 s[6:7], s[4:5]
	s_cbranch_execz .LBB53_172
.LBB53_171:
	v_bfe_u32 v2, v7, 8, 3
	v_ffbh_u32_e32 v11, v2
	v_min_u32_e32 v11, 32, v11
	v_lshrrev_b16_e32 v10, 3, v6
	v_subrev_u32_e32 v12, 28, v11
	v_and_b32_e32 v10, 15, v10
	v_lshlrev_b32_e32 v6, v12, v6
	v_sub_u32_e32 v11, 29, v11
	v_and_b32_e32 v6, 7, v6
	v_cmp_eq_u16_e32 vcc, 0, v10
	v_cndmask_b32_e32 v2, v2, v6, vcc
	v_cndmask_b32_e32 v6, v10, v11, vcc
	v_lshlrev_b32_e32 v10, 16, v7
	v_mov_b32_e32 v11, 0x3b800000
	v_lshlrev_b32_e32 v2, 20, v2
	v_and_b32_e32 v10, 0x80000000, v10
	v_lshl_add_u32 v6, v6, 23, v11
	v_or3_b32 v2, v10, v6, v2
.LBB53_172:
	s_or_b64 exec, exec, s[6:7]
	v_lshrrev_b32_e32 v6, 8, v3
	s_movk_i32 s4, 0x7f
	v_cmp_gt_i16_sdwa s[6:7], v6, s4 src0_sel:BYTE_0 src1_sel:DWORD
	s_mov_b64 s[4:5], 0
                                        ; implicit-def: $sgpr10
	s_and_saveexec_b64 s[8:9], s[6:7]
	s_xor_b64 s[6:7], exec, s[8:9]
	s_cbranch_execnz .LBB53_2221
; %bb.173:
	s_or_saveexec_b64 s[6:7], s[6:7]
	v_mov_b32_e32 v10, s10
	s_xor_b64 exec, exec, s[6:7]
	s_cbranch_execnz .LBB53_2224
.LBB53_174:
	s_or_b64 exec, exec, s[6:7]
	s_and_saveexec_b64 s[6:7], s[4:5]
	s_cbranch_execz .LBB53_176
.LBB53_175:
	v_bfe_u32 v10, v3, 8, 3
	v_ffbh_u32_e32 v12, v10
	v_min_u32_e32 v12, 32, v12
	v_lshrrev_b16_e32 v11, 3, v6
	v_subrev_u32_e32 v13, 28, v12
	v_and_b32_e32 v11, 15, v11
	v_lshlrev_b32_e32 v6, v13, v6
	v_sub_u32_e32 v12, 29, v12
	v_and_b32_e32 v6, 7, v6
	v_cmp_eq_u16_e32 vcc, 0, v11
	v_cndmask_b32_e32 v6, v10, v6, vcc
	v_cndmask_b32_e32 v10, v11, v12, vcc
	v_lshlrev_b32_e32 v11, 16, v3
	v_mov_b32_e32 v12, 0x3b800000
	v_lshlrev_b32_e32 v6, 20, v6
	v_and_b32_e32 v11, 0x80000000, v11
	v_lshl_add_u32 v10, v10, 23, v12
	v_or3_b32 v10, v11, v10, v6
.LBB53_176:
	s_or_b64 exec, exec, s[6:7]
	s_nop 0
	v_mfma_f32_16x16x4f32 a[0:3], v2, v10, a[0:3]
	s_movk_i32 s4, 0xff
	v_and_b32_sdwa v6, v7, s4 dst_sel:DWORD dst_unused:UNUSED_PAD src0_sel:WORD_1 src1_sel:DWORD
	s_movk_i32 s4, 0x7f
	v_cmp_lt_i16_e32 vcc, s4, v6
	s_mov_b64 s[4:5], 0
                                        ; implicit-def: $sgpr10
	s_and_saveexec_b64 s[6:7], vcc
	s_xor_b64 s[6:7], exec, s[6:7]
	s_cbranch_execnz .LBB53_2225
; %bb.177:
	s_or_saveexec_b64 s[6:7], s[6:7]
	v_mov_b32_e32 v2, s10
	s_xor_b64 exec, exec, s[6:7]
	s_cbranch_execnz .LBB53_2228
.LBB53_178:
	s_or_b64 exec, exec, s[6:7]
	s_and_saveexec_b64 s[6:7], s[4:5]
	s_cbranch_execz .LBB53_180
.LBB53_179:
	v_bfe_u32 v2, v7, 16, 3
	v_ffbh_u32_e32 v11, v2
	v_min_u32_e32 v11, 32, v11
	v_lshrrev_b32_e32 v6, 19, v7
	v_subrev_u32_e32 v12, 28, v11
	v_and_b32_e32 v6, 15, v6
	v_lshlrev_b32_sdwa v12, v12, v7 dst_sel:DWORD dst_unused:UNUSED_PAD src0_sel:DWORD src1_sel:WORD_1
	v_bfe_u32 v10, v7, 19, 4
	v_sub_u32_e32 v11, 29, v11
	v_and_b32_e32 v12, 7, v12
	v_cmp_eq_u16_e32 vcc, 0, v6
	v_cndmask_b32_e32 v2, v2, v12, vcc
	v_cndmask_b32_e32 v6, v10, v11, vcc
	v_lshlrev_b32_e32 v10, 8, v7
	v_mov_b32_e32 v11, 0x3b800000
	v_lshlrev_b32_e32 v2, 20, v2
	v_and_b32_e32 v10, 0x80000000, v10
	v_lshl_add_u32 v6, v6, 23, v11
	v_or3_b32 v2, v10, v6, v2
.LBB53_180:
	s_or_b64 exec, exec, s[6:7]
	s_movk_i32 s4, 0xff
	v_and_b32_sdwa v6, v3, s4 dst_sel:DWORD dst_unused:UNUSED_PAD src0_sel:WORD_1 src1_sel:DWORD
	s_movk_i32 s4, 0x7f
	v_cmp_lt_i16_e32 vcc, s4, v6
	s_mov_b64 s[4:5], 0
                                        ; implicit-def: $sgpr10
	s_and_saveexec_b64 s[6:7], vcc
	s_xor_b64 s[6:7], exec, s[6:7]
	s_cbranch_execnz .LBB53_2229
; %bb.181:
	s_or_saveexec_b64 s[6:7], s[6:7]
	v_mov_b32_e32 v10, s10
	s_xor_b64 exec, exec, s[6:7]
	s_cbranch_execnz .LBB53_2232
.LBB53_182:
	s_or_b64 exec, exec, s[6:7]
	s_and_saveexec_b64 s[6:7], s[4:5]
	s_cbranch_execz .LBB53_184
.LBB53_183:
	v_bfe_u32 v6, v3, 16, 3
	v_ffbh_u32_e32 v12, v6
	v_min_u32_e32 v12, 32, v12
	v_lshrrev_b32_e32 v10, 19, v3
	v_subrev_u32_e32 v13, 28, v12
	v_and_b32_e32 v10, 15, v10
	v_lshlrev_b32_sdwa v13, v13, v3 dst_sel:DWORD dst_unused:UNUSED_PAD src0_sel:DWORD src1_sel:WORD_1
	v_bfe_u32 v11, v3, 19, 4
	v_sub_u32_e32 v12, 29, v12
	v_and_b32_e32 v13, 7, v13
	v_cmp_eq_u16_e32 vcc, 0, v10
	v_cndmask_b32_e32 v6, v6, v13, vcc
	v_cndmask_b32_e32 v10, v11, v12, vcc
	v_lshlrev_b32_e32 v11, 8, v3
	v_mov_b32_e32 v12, 0x3b800000
	v_lshlrev_b32_e32 v6, 20, v6
	v_and_b32_e32 v11, 0x80000000, v11
	v_lshl_add_u32 v10, v10, 23, v12
	v_or3_b32 v10, v11, v10, v6
.LBB53_184:
	s_or_b64 exec, exec, s[6:7]
	s_nop 0
	v_mfma_f32_16x16x4f32 a[0:3], v2, v10, a[0:3]
	s_movk_i32 s4, 0x7f
	v_cmp_gt_i16_sdwa s[6:7], v7, s4 src0_sel:BYTE_3 src1_sel:DWORD
	s_mov_b64 s[4:5], 0
                                        ; implicit-def: $sgpr10
	s_and_saveexec_b64 s[8:9], s[6:7]
	s_xor_b64 s[6:7], exec, s[8:9]
	s_cbranch_execnz .LBB53_2233
; %bb.185:
	s_or_saveexec_b64 s[6:7], s[6:7]
	v_mov_b32_e32 v2, s10
	s_xor_b64 exec, exec, s[6:7]
	s_cbranch_execnz .LBB53_2236
.LBB53_186:
	s_or_b64 exec, exec, s[6:7]
	s_and_saveexec_b64 s[6:7], s[4:5]
	s_cbranch_execz .LBB53_188
.LBB53_187:
	v_bfe_u32 v2, v7, 24, 3
	v_ffbh_u32_e32 v12, v2
	v_min_u32_e32 v12, 32, v12
	v_lshrrev_b32_e32 v10, 27, v7
	v_subrev_u32_e32 v13, 28, v12
	v_and_b32_e32 v6, 0x80000000, v7
	v_and_b32_e32 v10, 15, v10
	v_bfe_u32 v11, v7, 27, 4
	v_lshlrev_b32_sdwa v7, v13, v7 dst_sel:DWORD dst_unused:UNUSED_PAD src0_sel:DWORD src1_sel:BYTE_3
	v_sub_u32_e32 v12, 29, v12
	v_and_b32_e32 v7, 7, v7
	v_cmp_eq_u16_e32 vcc, 0, v10
	v_cndmask_b32_e32 v2, v2, v7, vcc
	v_cndmask_b32_e32 v7, v11, v12, vcc
	v_mov_b32_e32 v10, 0x3b800000
	v_lshlrev_b32_e32 v2, 20, v2
	v_lshl_add_u32 v7, v7, 23, v10
	v_or3_b32 v2, v6, v7, v2
.LBB53_188:
	s_or_b64 exec, exec, s[6:7]
	s_movk_i32 s4, 0x7f
	v_cmp_gt_i16_sdwa s[6:7], v3, s4 src0_sel:BYTE_3 src1_sel:DWORD
	s_mov_b64 s[4:5], 0
                                        ; implicit-def: $sgpr10
	s_and_saveexec_b64 s[8:9], s[6:7]
	s_xor_b64 s[6:7], exec, s[8:9]
	s_cbranch_execnz .LBB53_2237
; %bb.189:
	s_or_saveexec_b64 s[6:7], s[6:7]
	v_mov_b32_e32 v6, s10
	s_xor_b64 exec, exec, s[6:7]
	s_cbranch_execnz .LBB53_2240
.LBB53_190:
	s_or_b64 exec, exec, s[6:7]
	s_and_saveexec_b64 s[6:7], s[4:5]
	s_cbranch_execz .LBB53_192
.LBB53_191:
	v_bfe_u32 v6, v3, 24, 3
	v_ffbh_u32_e32 v12, v6
	v_min_u32_e32 v12, 32, v12
	v_lshrrev_b32_e32 v10, 27, v3
	v_subrev_u32_e32 v13, 28, v12
	v_and_b32_e32 v7, 0x80000000, v3
	v_and_b32_e32 v10, 15, v10
	v_bfe_u32 v11, v3, 27, 4
	v_lshlrev_b32_sdwa v3, v13, v3 dst_sel:DWORD dst_unused:UNUSED_PAD src0_sel:DWORD src1_sel:BYTE_3
	v_sub_u32_e32 v12, 29, v12
	v_and_b32_e32 v3, 7, v3
	v_cmp_eq_u16_e32 vcc, 0, v10
	v_cndmask_b32_e32 v3, v6, v3, vcc
	v_cndmask_b32_e32 v6, v11, v12, vcc
	v_mov_b32_e32 v10, 0x3b800000
	v_lshlrev_b32_e32 v3, 20, v3
	v_lshl_add_u32 v6, v6, 23, v10
	v_or3_b32 v6, v7, v6, v3
.LBB53_192:
	s_or_b64 exec, exec, s[6:7]
	s_nop 0
	v_mfma_f32_16x16x4f32 a[0:3], v2, v6, a[0:3]
	s_movk_i32 s4, 0x7f
	v_cmp_gt_i16_sdwa s[6:7], v8, s4 src0_sel:BYTE_0 src1_sel:DWORD
	s_mov_b64 s[4:5], 0
                                        ; implicit-def: $sgpr10
	s_and_saveexec_b64 s[8:9], s[6:7]
	s_xor_b64 s[6:7], exec, s[8:9]
	s_cbranch_execnz .LBB53_2241
; %bb.193:
	s_or_saveexec_b64 s[6:7], s[6:7]
	v_mov_b32_e32 v2, s10
	s_xor_b64 exec, exec, s[6:7]
	s_cbranch_execnz .LBB53_2244
.LBB53_194:
	s_or_b64 exec, exec, s[6:7]
	s_and_saveexec_b64 s[6:7], s[4:5]
	s_cbranch_execz .LBB53_196
.LBB53_195:
	v_and_b32_e32 v2, 7, v8
	v_ffbh_u32_e32 v6, v2
	v_min_u32_e32 v6, 32, v6
	v_lshrrev_b16_e32 v3, 3, v8
	v_subrev_u32_e32 v7, 28, v6
	v_and_b32_e32 v3, 15, v3
	v_lshlrev_b32_e32 v7, v7, v8
	v_sub_u32_e32 v6, 29, v6
	v_and_b32_e32 v7, 7, v7
	v_cmp_eq_u16_e32 vcc, 0, v3
	v_cndmask_b32_e32 v2, v2, v7, vcc
	v_cndmask_b32_e32 v3, v3, v6, vcc
	v_lshlrev_b32_e32 v6, 24, v8
	v_mov_b32_e32 v7, 0x3b800000
	v_lshlrev_b32_e32 v2, 20, v2
	v_and_b32_e32 v6, 0x80000000, v6
	v_lshl_add_u32 v3, v3, 23, v7
	v_or3_b32 v2, v6, v3, v2
.LBB53_196:
	s_or_b64 exec, exec, s[6:7]
	s_movk_i32 s4, 0x7f
	v_cmp_gt_i16_sdwa s[6:7], v4, s4 src0_sel:BYTE_0 src1_sel:DWORD
	s_mov_b64 s[4:5], 0
                                        ; implicit-def: $sgpr10
	s_and_saveexec_b64 s[8:9], s[6:7]
	s_xor_b64 s[6:7], exec, s[8:9]
	s_cbranch_execnz .LBB53_2245
; %bb.197:
	s_or_saveexec_b64 s[6:7], s[6:7]
	v_mov_b32_e32 v3, s10
	s_xor_b64 exec, exec, s[6:7]
	s_cbranch_execnz .LBB53_2248
.LBB53_198:
	s_or_b64 exec, exec, s[6:7]
	s_and_saveexec_b64 s[6:7], s[4:5]
	s_cbranch_execz .LBB53_200
.LBB53_199:
	v_and_b32_e32 v3, 7, v4
	v_ffbh_u32_e32 v7, v3
	v_min_u32_e32 v7, 32, v7
	v_lshrrev_b16_e32 v6, 3, v4
	v_subrev_u32_e32 v10, 28, v7
	v_and_b32_e32 v6, 15, v6
	v_lshlrev_b32_e32 v10, v10, v4
	v_sub_u32_e32 v7, 29, v7
	v_and_b32_e32 v10, 7, v10
	v_cmp_eq_u16_e32 vcc, 0, v6
	v_cndmask_b32_e32 v3, v3, v10, vcc
	v_cndmask_b32_e32 v6, v6, v7, vcc
	v_lshlrev_b32_e32 v7, 24, v4
	v_mov_b32_e32 v10, 0x3b800000
	v_lshlrev_b32_e32 v3, 20, v3
	v_and_b32_e32 v7, 0x80000000, v7
	v_lshl_add_u32 v6, v6, 23, v10
	v_or3_b32 v3, v7, v6, v3
.LBB53_200:
	s_or_b64 exec, exec, s[6:7]
	s_nop 0
	v_mfma_f32_16x16x4f32 a[0:3], v2, v3, a[0:3]
	v_lshrrev_b32_e32 v3, 8, v8
	s_movk_i32 s4, 0x7f
	v_cmp_gt_i16_sdwa s[6:7], v3, s4 src0_sel:BYTE_0 src1_sel:DWORD
	s_mov_b64 s[4:5], 0
                                        ; implicit-def: $sgpr10
	s_and_saveexec_b64 s[8:9], s[6:7]
	s_xor_b64 s[6:7], exec, s[8:9]
	s_cbranch_execnz .LBB53_2249
; %bb.201:
	s_or_saveexec_b64 s[6:7], s[6:7]
	v_mov_b32_e32 v2, s10
	s_xor_b64 exec, exec, s[6:7]
	s_cbranch_execnz .LBB53_2252
.LBB53_202:
	s_or_b64 exec, exec, s[6:7]
	s_and_saveexec_b64 s[6:7], s[4:5]
	s_cbranch_execz .LBB53_204
.LBB53_203:
	v_bfe_u32 v2, v8, 8, 3
	v_ffbh_u32_e32 v7, v2
	v_min_u32_e32 v7, 32, v7
	v_lshrrev_b16_e32 v6, 3, v3
	v_subrev_u32_e32 v10, 28, v7
	v_and_b32_e32 v6, 15, v6
	v_lshlrev_b32_e32 v3, v10, v3
	v_sub_u32_e32 v7, 29, v7
	v_and_b32_e32 v3, 7, v3
	v_cmp_eq_u16_e32 vcc, 0, v6
	v_cndmask_b32_e32 v2, v2, v3, vcc
	v_cndmask_b32_e32 v3, v6, v7, vcc
	v_lshlrev_b32_e32 v6, 16, v8
	v_mov_b32_e32 v7, 0x3b800000
	v_lshlrev_b32_e32 v2, 20, v2
	v_and_b32_e32 v6, 0x80000000, v6
	v_lshl_add_u32 v3, v3, 23, v7
	v_or3_b32 v2, v6, v3, v2
.LBB53_204:
	s_or_b64 exec, exec, s[6:7]
	v_lshrrev_b32_e32 v3, 8, v4
	s_movk_i32 s4, 0x7f
	v_cmp_gt_i16_sdwa s[6:7], v3, s4 src0_sel:BYTE_0 src1_sel:DWORD
	s_mov_b64 s[4:5], 0
                                        ; implicit-def: $sgpr10
	s_and_saveexec_b64 s[8:9], s[6:7]
	s_xor_b64 s[6:7], exec, s[8:9]
	s_cbranch_execnz .LBB53_2253
; %bb.205:
	s_or_saveexec_b64 s[6:7], s[6:7]
	v_mov_b32_e32 v6, s10
	s_xor_b64 exec, exec, s[6:7]
	s_cbranch_execnz .LBB53_2256
.LBB53_206:
	s_or_b64 exec, exec, s[6:7]
	s_and_saveexec_b64 s[6:7], s[4:5]
	s_cbranch_execz .LBB53_208
.LBB53_207:
	v_bfe_u32 v6, v4, 8, 3
	v_ffbh_u32_e32 v10, v6
	v_min_u32_e32 v10, 32, v10
	v_lshrrev_b16_e32 v7, 3, v3
	v_subrev_u32_e32 v11, 28, v10
	v_and_b32_e32 v7, 15, v7
	v_lshlrev_b32_e32 v3, v11, v3
	v_sub_u32_e32 v10, 29, v10
	v_and_b32_e32 v3, 7, v3
	v_cmp_eq_u16_e32 vcc, 0, v7
	v_cndmask_b32_e32 v3, v6, v3, vcc
	v_cndmask_b32_e32 v6, v7, v10, vcc
	v_lshlrev_b32_e32 v7, 16, v4
	v_mov_b32_e32 v10, 0x3b800000
	v_lshlrev_b32_e32 v3, 20, v3
	v_and_b32_e32 v7, 0x80000000, v7
	v_lshl_add_u32 v6, v6, 23, v10
	v_or3_b32 v6, v7, v6, v3
.LBB53_208:
	s_or_b64 exec, exec, s[6:7]
	s_nop 0
	v_mfma_f32_16x16x4f32 a[0:3], v2, v6, a[0:3]
	s_movk_i32 s4, 0xff
	v_and_b32_sdwa v3, v8, s4 dst_sel:DWORD dst_unused:UNUSED_PAD src0_sel:WORD_1 src1_sel:DWORD
	s_movk_i32 s4, 0x7f
	v_cmp_lt_i16_e32 vcc, s4, v3
	s_mov_b64 s[4:5], 0
                                        ; implicit-def: $sgpr10
	s_and_saveexec_b64 s[6:7], vcc
	s_xor_b64 s[6:7], exec, s[6:7]
	s_cbranch_execnz .LBB53_2257
; %bb.209:
	s_or_saveexec_b64 s[6:7], s[6:7]
	v_mov_b32_e32 v2, s10
	s_xor_b64 exec, exec, s[6:7]
	s_cbranch_execnz .LBB53_2260
.LBB53_210:
	s_or_b64 exec, exec, s[6:7]
	s_and_saveexec_b64 s[6:7], s[4:5]
	s_cbranch_execz .LBB53_212
.LBB53_211:
	v_bfe_u32 v2, v8, 16, 3
	v_ffbh_u32_e32 v7, v2
	v_min_u32_e32 v7, 32, v7
	v_lshrrev_b32_e32 v3, 19, v8
	v_subrev_u32_e32 v10, 28, v7
	v_and_b32_e32 v3, 15, v3
	v_lshlrev_b32_sdwa v10, v10, v8 dst_sel:DWORD dst_unused:UNUSED_PAD src0_sel:DWORD src1_sel:WORD_1
	v_bfe_u32 v6, v8, 19, 4
	v_sub_u32_e32 v7, 29, v7
	v_and_b32_e32 v10, 7, v10
	v_cmp_eq_u16_e32 vcc, 0, v3
	v_cndmask_b32_e32 v2, v2, v10, vcc
	v_cndmask_b32_e32 v3, v6, v7, vcc
	v_lshlrev_b32_e32 v6, 8, v8
	v_mov_b32_e32 v7, 0x3b800000
	v_lshlrev_b32_e32 v2, 20, v2
	v_and_b32_e32 v6, 0x80000000, v6
	v_lshl_add_u32 v3, v3, 23, v7
	v_or3_b32 v2, v6, v3, v2
.LBB53_212:
	s_or_b64 exec, exec, s[6:7]
	s_movk_i32 s4, 0xff
	v_and_b32_sdwa v3, v4, s4 dst_sel:DWORD dst_unused:UNUSED_PAD src0_sel:WORD_1 src1_sel:DWORD
	s_movk_i32 s4, 0x7f
	v_cmp_lt_i16_e32 vcc, s4, v3
	s_mov_b64 s[4:5], 0
                                        ; implicit-def: $sgpr10
	s_and_saveexec_b64 s[6:7], vcc
	s_xor_b64 s[6:7], exec, s[6:7]
	s_cbranch_execnz .LBB53_2261
; %bb.213:
	s_or_saveexec_b64 s[6:7], s[6:7]
	v_mov_b32_e32 v6, s10
	s_xor_b64 exec, exec, s[6:7]
	s_cbranch_execnz .LBB53_2264
.LBB53_214:
	s_or_b64 exec, exec, s[6:7]
	s_and_saveexec_b64 s[6:7], s[4:5]
	s_cbranch_execz .LBB53_216
.LBB53_215:
	v_bfe_u32 v3, v4, 16, 3
	v_ffbh_u32_e32 v10, v3
	v_min_u32_e32 v10, 32, v10
	v_lshrrev_b32_e32 v6, 19, v4
	v_subrev_u32_e32 v11, 28, v10
	v_and_b32_e32 v6, 15, v6
	v_lshlrev_b32_sdwa v11, v11, v4 dst_sel:DWORD dst_unused:UNUSED_PAD src0_sel:DWORD src1_sel:WORD_1
	v_bfe_u32 v7, v4, 19, 4
	v_sub_u32_e32 v10, 29, v10
	v_and_b32_e32 v11, 7, v11
	v_cmp_eq_u16_e32 vcc, 0, v6
	v_cndmask_b32_e32 v3, v3, v11, vcc
	v_cndmask_b32_e32 v6, v7, v10, vcc
	v_lshlrev_b32_e32 v7, 8, v4
	v_mov_b32_e32 v10, 0x3b800000
	v_lshlrev_b32_e32 v3, 20, v3
	v_and_b32_e32 v7, 0x80000000, v7
	v_lshl_add_u32 v6, v6, 23, v10
	v_or3_b32 v6, v7, v6, v3
.LBB53_216:
	s_or_b64 exec, exec, s[6:7]
	s_nop 0
	v_mfma_f32_16x16x4f32 a[0:3], v2, v6, a[0:3]
	s_movk_i32 s4, 0x7f
	v_cmp_gt_i16_sdwa s[6:7], v8, s4 src0_sel:BYTE_3 src1_sel:DWORD
	s_mov_b64 s[4:5], 0
                                        ; implicit-def: $sgpr10
	s_and_saveexec_b64 s[8:9], s[6:7]
	s_xor_b64 s[6:7], exec, s[8:9]
	s_cbranch_execnz .LBB53_2265
; %bb.217:
	s_or_saveexec_b64 s[6:7], s[6:7]
	v_mov_b32_e32 v2, s10
	s_xor_b64 exec, exec, s[6:7]
	s_cbranch_execnz .LBB53_2268
.LBB53_218:
	s_or_b64 exec, exec, s[6:7]
	s_and_saveexec_b64 s[6:7], s[4:5]
	s_cbranch_execz .LBB53_220
.LBB53_219:
	v_bfe_u32 v2, v8, 24, 3
	v_ffbh_u32_e32 v10, v2
	v_min_u32_e32 v10, 32, v10
	v_lshrrev_b32_e32 v6, 27, v8
	v_subrev_u32_e32 v11, 28, v10
	v_and_b32_e32 v3, 0x80000000, v8
	v_and_b32_e32 v6, 15, v6
	v_bfe_u32 v7, v8, 27, 4
	v_lshlrev_b32_sdwa v8, v11, v8 dst_sel:DWORD dst_unused:UNUSED_PAD src0_sel:DWORD src1_sel:BYTE_3
	v_sub_u32_e32 v10, 29, v10
	v_and_b32_e32 v8, 7, v8
	v_cmp_eq_u16_e32 vcc, 0, v6
	v_cndmask_b32_e32 v2, v2, v8, vcc
	v_cndmask_b32_e32 v6, v7, v10, vcc
	v_mov_b32_e32 v7, 0x3b800000
	v_lshlrev_b32_e32 v2, 20, v2
	v_lshl_add_u32 v6, v6, 23, v7
	v_or3_b32 v2, v3, v6, v2
.LBB53_220:
	s_or_b64 exec, exec, s[6:7]
	s_movk_i32 s4, 0x7f
	v_cmp_gt_i16_sdwa s[6:7], v4, s4 src0_sel:BYTE_3 src1_sel:DWORD
	s_mov_b64 s[4:5], 0
                                        ; implicit-def: $sgpr10
	s_and_saveexec_b64 s[8:9], s[6:7]
	s_xor_b64 s[6:7], exec, s[8:9]
	s_cbranch_execnz .LBB53_2269
; %bb.221:
	s_or_saveexec_b64 s[6:7], s[6:7]
	v_mov_b32_e32 v3, s10
	s_xor_b64 exec, exec, s[6:7]
	s_cbranch_execnz .LBB53_2272
.LBB53_222:
	s_or_b64 exec, exec, s[6:7]
	s_and_saveexec_b64 s[6:7], s[4:5]
	s_cbranch_execz .LBB53_224
.LBB53_223:
	v_bfe_u32 v3, v4, 24, 3
	v_ffbh_u32_e32 v10, v3
	v_min_u32_e32 v10, 32, v10
	v_lshrrev_b32_e32 v7, 27, v4
	v_subrev_u32_e32 v11, 28, v10
	v_and_b32_e32 v6, 0x80000000, v4
	v_and_b32_e32 v7, 15, v7
	v_bfe_u32 v8, v4, 27, 4
	v_lshlrev_b32_sdwa v4, v11, v4 dst_sel:DWORD dst_unused:UNUSED_PAD src0_sel:DWORD src1_sel:BYTE_3
	v_sub_u32_e32 v10, 29, v10
	v_and_b32_e32 v4, 7, v4
	v_cmp_eq_u16_e32 vcc, 0, v7
	v_cndmask_b32_e32 v3, v3, v4, vcc
	v_cndmask_b32_e32 v4, v8, v10, vcc
	v_mov_b32_e32 v7, 0x3b800000
	v_lshlrev_b32_e32 v3, 20, v3
	v_lshl_add_u32 v4, v4, 23, v7
	v_or3_b32 v3, v6, v4, v3
.LBB53_224:
	s_or_b64 exec, exec, s[6:7]
	s_nop 0
	v_mfma_f32_16x16x4f32 a[0:3], v2, v3, a[0:3]
	s_movk_i32 s4, 0x7f
	v_cmp_gt_i16_sdwa s[6:7], v9, s4 src0_sel:BYTE_0 src1_sel:DWORD
	s_mov_b64 s[4:5], 0
                                        ; implicit-def: $sgpr10
	s_and_saveexec_b64 s[8:9], s[6:7]
	s_xor_b64 s[6:7], exec, s[8:9]
	s_cbranch_execnz .LBB53_2273
; %bb.225:
	s_or_saveexec_b64 s[6:7], s[6:7]
	v_mov_b32_e32 v2, s10
	s_xor_b64 exec, exec, s[6:7]
	s_cbranch_execnz .LBB53_2276
.LBB53_226:
	s_or_b64 exec, exec, s[6:7]
	s_and_saveexec_b64 s[6:7], s[4:5]
	s_cbranch_execz .LBB53_228
.LBB53_227:
	v_mov_b32_e32 v2, 8
	v_and_b32_e32 v3, 7, v9
	v_lshrrev_b32_sdwa v2, v2, v9 dst_sel:BYTE_1 dst_unused:UNUSED_PAD src0_sel:DWORD src1_sel:DWORD
	v_ffbh_u32_e32 v4, v3
	v_or_b32_sdwa v2, v9, v2 dst_sel:DWORD dst_unused:UNUSED_PAD src0_sel:BYTE_0 src1_sel:DWORD
	v_min_u32_e32 v4, 32, v4
	v_lshrrev_b16_e32 v2, 3, v2
	v_subrev_u32_e32 v6, 28, v4
	v_and_b32_e32 v2, 15, v2
	v_lshlrev_b32_e32 v6, v6, v9
	v_sub_u32_e32 v4, 29, v4
	v_and_b32_e32 v6, 7, v6
	v_cmp_eq_u16_e32 vcc, 0, v2
	v_cndmask_b32_e32 v3, v3, v6, vcc
	v_cndmask_b32_e32 v2, v2, v4, vcc
	v_lshlrev_b32_e32 v4, 24, v9
	v_mov_b32_e32 v6, 0x3b800000
	v_lshlrev_b32_e32 v3, 20, v3
	v_and_b32_e32 v4, 0x80000000, v4
	v_lshl_add_u32 v2, v2, 23, v6
	v_or3_b32 v2, v4, v2, v3
.LBB53_228:
	s_or_b64 exec, exec, s[6:7]
	s_movk_i32 s4, 0x7f
	v_cmp_gt_i16_sdwa s[6:7], v5, s4 src0_sel:BYTE_0 src1_sel:DWORD
	s_mov_b64 s[4:5], 0
                                        ; implicit-def: $sgpr10
	s_and_saveexec_b64 s[8:9], s[6:7]
	s_xor_b64 s[6:7], exec, s[8:9]
	s_cbranch_execnz .LBB53_2277
; %bb.229:
	s_or_saveexec_b64 s[6:7], s[6:7]
	v_mov_b32_e32 v3, s10
	s_xor_b64 exec, exec, s[6:7]
	s_cbranch_execnz .LBB53_2280
.LBB53_230:
	s_or_b64 exec, exec, s[6:7]
	s_and_saveexec_b64 s[6:7], s[4:5]
	s_cbranch_execz .LBB53_232
.LBB53_231:
	v_mov_b32_e32 v3, 8
	v_and_b32_e32 v4, 7, v5
	v_lshrrev_b32_sdwa v3, v3, v5 dst_sel:BYTE_1 dst_unused:UNUSED_PAD src0_sel:DWORD src1_sel:DWORD
	v_ffbh_u32_e32 v6, v4
	v_or_b32_sdwa v3, v5, v3 dst_sel:DWORD dst_unused:UNUSED_PAD src0_sel:BYTE_0 src1_sel:DWORD
	v_min_u32_e32 v6, 32, v6
	v_lshrrev_b16_e32 v3, 3, v3
	v_subrev_u32_e32 v7, 28, v6
	v_and_b32_e32 v3, 15, v3
	v_lshlrev_b32_e32 v7, v7, v5
	v_sub_u32_e32 v6, 29, v6
	v_and_b32_e32 v7, 7, v7
	v_cmp_eq_u16_e32 vcc, 0, v3
	v_cndmask_b32_e32 v4, v4, v7, vcc
	v_cndmask_b32_e32 v3, v3, v6, vcc
	v_lshlrev_b32_e32 v6, 24, v5
	v_mov_b32_e32 v7, 0x3b800000
	v_lshlrev_b32_e32 v4, 20, v4
	v_and_b32_e32 v6, 0x80000000, v6
	v_lshl_add_u32 v3, v3, 23, v7
	v_or3_b32 v3, v6, v3, v4
.LBB53_232:
	s_or_b64 exec, exec, s[6:7]
	s_nop 0
	v_mfma_f32_16x16x4f32 a[0:3], v2, v3, a[0:3]
	v_lshrrev_b32_e32 v3, 8, v9
	s_movk_i32 s4, 0x7f
	v_cmp_gt_i16_sdwa s[6:7], v3, s4 src0_sel:BYTE_0 src1_sel:DWORD
	s_mov_b64 s[4:5], 0
                                        ; implicit-def: $sgpr10
	s_and_saveexec_b64 s[8:9], s[6:7]
	s_xor_b64 s[6:7], exec, s[8:9]
	s_cbranch_execnz .LBB53_2281
; %bb.233:
	s_or_saveexec_b64 s[6:7], s[6:7]
	v_mov_b32_e32 v2, s10
	s_xor_b64 exec, exec, s[6:7]
	s_cbranch_execnz .LBB53_2284
.LBB53_234:
	s_or_b64 exec, exec, s[6:7]
	s_and_saveexec_b64 s[6:7], s[4:5]
	s_cbranch_execz .LBB53_236
.LBB53_235:
	v_bfe_u32 v2, v9, 8, 3
	v_ffbh_u32_e32 v6, v2
	v_min_u32_e32 v6, 32, v6
	v_lshrrev_b16_e32 v4, 3, v3
	v_subrev_u32_e32 v7, 28, v6
	v_and_b32_e32 v4, 15, v4
	v_lshlrev_b32_e32 v3, v7, v3
	v_sub_u32_e32 v6, 29, v6
	v_and_b32_e32 v3, 7, v3
	v_cmp_eq_u16_e32 vcc, 0, v4
	v_cndmask_b32_e32 v2, v2, v3, vcc
	v_cndmask_b32_e32 v3, v4, v6, vcc
	v_lshlrev_b32_e32 v4, 16, v9
	v_mov_b32_e32 v6, 0x3b800000
	v_lshlrev_b32_e32 v2, 20, v2
	v_and_b32_e32 v4, 0x80000000, v4
	v_lshl_add_u32 v3, v3, 23, v6
	v_or3_b32 v2, v4, v3, v2
.LBB53_236:
	s_or_b64 exec, exec, s[6:7]
	v_lshrrev_b32_e32 v3, 8, v5
	s_movk_i32 s4, 0x7f
	v_cmp_gt_i16_sdwa s[6:7], v3, s4 src0_sel:BYTE_0 src1_sel:DWORD
	s_mov_b64 s[4:5], 0
                                        ; implicit-def: $sgpr10
	s_and_saveexec_b64 s[8:9], s[6:7]
	s_xor_b64 s[6:7], exec, s[8:9]
	s_cbranch_execnz .LBB53_2285
; %bb.237:
	s_or_saveexec_b64 s[6:7], s[6:7]
	v_mov_b32_e32 v4, s10
	s_xor_b64 exec, exec, s[6:7]
	s_cbranch_execnz .LBB53_2288
.LBB53_238:
	s_or_b64 exec, exec, s[6:7]
	s_and_saveexec_b64 s[6:7], s[4:5]
	s_cbranch_execz .LBB53_240
.LBB53_239:
	v_bfe_u32 v4, v5, 8, 3
	v_ffbh_u32_e32 v7, v4
	v_min_u32_e32 v7, 32, v7
	v_lshrrev_b16_e32 v6, 3, v3
	v_subrev_u32_e32 v8, 28, v7
	v_and_b32_e32 v6, 15, v6
	v_lshlrev_b32_e32 v3, v8, v3
	v_sub_u32_e32 v7, 29, v7
	v_and_b32_e32 v3, 7, v3
	v_cmp_eq_u16_e32 vcc, 0, v6
	v_cndmask_b32_e32 v3, v4, v3, vcc
	v_cndmask_b32_e32 v4, v6, v7, vcc
	v_lshlrev_b32_e32 v6, 16, v5
	v_mov_b32_e32 v7, 0x3b800000
	v_lshlrev_b32_e32 v3, 20, v3
	v_and_b32_e32 v6, 0x80000000, v6
	v_lshl_add_u32 v4, v4, 23, v7
	v_or3_b32 v4, v6, v4, v3
.LBB53_240:
	s_or_b64 exec, exec, s[6:7]
	s_nop 0
	v_mfma_f32_16x16x4f32 a[0:3], v2, v4, a[0:3]
	s_movk_i32 s4, 0xff
	v_and_b32_sdwa v3, v9, s4 dst_sel:DWORD dst_unused:UNUSED_PAD src0_sel:WORD_1 src1_sel:DWORD
	s_movk_i32 s4, 0x7f
	v_cmp_lt_i16_e32 vcc, s4, v3
	s_mov_b64 s[4:5], 0
                                        ; implicit-def: $sgpr10
	s_and_saveexec_b64 s[6:7], vcc
	s_xor_b64 s[6:7], exec, s[6:7]
	s_cbranch_execnz .LBB53_2289
; %bb.241:
	s_or_saveexec_b64 s[6:7], s[6:7]
	v_mov_b32_e32 v2, s10
	s_xor_b64 exec, exec, s[6:7]
	s_cbranch_execnz .LBB53_2292
.LBB53_242:
	s_or_b64 exec, exec, s[6:7]
	s_and_saveexec_b64 s[6:7], s[4:5]
	s_cbranch_execz .LBB53_244
.LBB53_243:
	v_bfe_u32 v2, v9, 16, 3
	v_ffbh_u32_e32 v6, v2
	v_min_u32_e32 v6, 32, v6
	v_lshrrev_b32_e32 v3, 19, v9
	v_subrev_u32_e32 v7, 28, v6
	v_and_b32_e32 v3, 15, v3
	v_lshlrev_b32_sdwa v7, v7, v9 dst_sel:DWORD dst_unused:UNUSED_PAD src0_sel:DWORD src1_sel:WORD_1
	v_bfe_u32 v4, v9, 19, 4
	v_sub_u32_e32 v6, 29, v6
	v_and_b32_e32 v7, 7, v7
	v_cmp_eq_u16_e32 vcc, 0, v3
	v_cndmask_b32_e32 v2, v2, v7, vcc
	v_cndmask_b32_e32 v3, v4, v6, vcc
	v_lshlrev_b32_e32 v4, 8, v9
	v_mov_b32_e32 v6, 0x3b800000
	v_lshlrev_b32_e32 v2, 20, v2
	v_and_b32_e32 v4, 0x80000000, v4
	v_lshl_add_u32 v3, v3, 23, v6
	v_or3_b32 v2, v4, v3, v2
.LBB53_244:
	s_or_b64 exec, exec, s[6:7]
	s_movk_i32 s4, 0xff
	v_and_b32_sdwa v3, v5, s4 dst_sel:DWORD dst_unused:UNUSED_PAD src0_sel:WORD_1 src1_sel:DWORD
	s_movk_i32 s4, 0x7f
	v_cmp_lt_i16_e32 vcc, s4, v3
	s_mov_b64 s[4:5], 0
                                        ; implicit-def: $sgpr10
	s_and_saveexec_b64 s[6:7], vcc
	s_xor_b64 s[6:7], exec, s[6:7]
	s_cbranch_execnz .LBB53_2293
; %bb.245:
	s_or_saveexec_b64 s[6:7], s[6:7]
	v_mov_b32_e32 v4, s10
	s_xor_b64 exec, exec, s[6:7]
	s_cbranch_execnz .LBB53_2296
.LBB53_246:
	s_or_b64 exec, exec, s[6:7]
	s_and_saveexec_b64 s[6:7], s[4:5]
	s_cbranch_execz .LBB53_248
.LBB53_247:
	v_bfe_u32 v3, v5, 16, 3
	v_ffbh_u32_e32 v7, v3
	v_min_u32_e32 v7, 32, v7
	v_lshrrev_b32_e32 v4, 19, v5
	v_subrev_u32_e32 v8, 28, v7
	v_and_b32_e32 v4, 15, v4
	v_lshlrev_b32_sdwa v8, v8, v5 dst_sel:DWORD dst_unused:UNUSED_PAD src0_sel:DWORD src1_sel:WORD_1
	v_bfe_u32 v6, v5, 19, 4
	v_sub_u32_e32 v7, 29, v7
	v_and_b32_e32 v8, 7, v8
	v_cmp_eq_u16_e32 vcc, 0, v4
	v_cndmask_b32_e32 v3, v3, v8, vcc
	v_cndmask_b32_e32 v4, v6, v7, vcc
	v_lshlrev_b32_e32 v6, 8, v5
	v_mov_b32_e32 v7, 0x3b800000
	v_lshlrev_b32_e32 v3, 20, v3
	v_and_b32_e32 v6, 0x80000000, v6
	v_lshl_add_u32 v4, v4, 23, v7
	v_or3_b32 v4, v6, v4, v3
.LBB53_248:
	s_or_b64 exec, exec, s[6:7]
	s_nop 0
	v_mfma_f32_16x16x4f32 a[0:3], v2, v4, a[0:3]
	s_movk_i32 s4, 0x7f
	v_cmp_gt_i16_sdwa s[6:7], v9, s4 src0_sel:BYTE_3 src1_sel:DWORD
	s_mov_b64 s[4:5], 0
                                        ; implicit-def: $sgpr10
	s_and_saveexec_b64 s[8:9], s[6:7]
	s_xor_b64 s[6:7], exec, s[8:9]
	s_cbranch_execnz .LBB53_2297
; %bb.249:
	s_or_saveexec_b64 s[6:7], s[6:7]
	v_mov_b32_e32 v2, s10
	s_xor_b64 exec, exec, s[6:7]
	s_cbranch_execnz .LBB53_2300
.LBB53_250:
	s_or_b64 exec, exec, s[6:7]
	s_and_saveexec_b64 s[6:7], s[4:5]
	s_cbranch_execz .LBB53_252
.LBB53_251:
	v_bfe_u32 v2, v9, 24, 3
	v_ffbh_u32_e32 v7, v2
	v_min_u32_e32 v7, 32, v7
	v_lshrrev_b32_e32 v4, 27, v9
	v_subrev_u32_e32 v8, 28, v7
	v_and_b32_e32 v4, 15, v4
	v_lshlrev_b32_sdwa v8, v8, v9 dst_sel:DWORD dst_unused:UNUSED_PAD src0_sel:DWORD src1_sel:BYTE_3
	v_bfe_u32 v6, v9, 27, 4
	v_sub_u32_e32 v7, 29, v7
	v_and_b32_e32 v8, 7, v8
	v_cmp_eq_u16_e32 vcc, 0, v4
	v_cndmask_b32_e32 v2, v2, v8, vcc
	v_cndmask_b32_e32 v4, v6, v7, vcc
	v_mov_b32_e32 v6, 0x3b800000
	v_and_b32_e32 v3, 0x80000000, v9
	v_lshlrev_b32_e32 v2, 20, v2
	v_lshl_add_u32 v4, v4, 23, v6
	v_or3_b32 v2, v3, v4, v2
.LBB53_252:
	s_or_b64 exec, exec, s[6:7]
	s_movk_i32 s4, 0x7f
	v_cmp_gt_i16_sdwa s[6:7], v5, s4 src0_sel:BYTE_3 src1_sel:DWORD
	s_mov_b64 s[4:5], 0
                                        ; implicit-def: $sgpr10
	s_and_saveexec_b64 s[8:9], s[6:7]
	s_xor_b64 s[6:7], exec, s[8:9]
	s_cbranch_execnz .LBB53_2301
; %bb.253:
	s_or_saveexec_b64 s[6:7], s[6:7]
	v_mov_b32_e32 v3, s10
	s_xor_b64 exec, exec, s[6:7]
	s_cbranch_execnz .LBB53_2304
.LBB53_254:
	s_or_b64 exec, exec, s[6:7]
	s_and_saveexec_b64 s[6:7], s[4:5]
	s_cbranch_execz .LBB53_256
.LBB53_255:
	v_bfe_u32 v3, v5, 24, 3
	v_ffbh_u32_e32 v8, v3
	v_min_u32_e32 v8, 32, v8
	v_lshrrev_b32_e32 v6, 27, v5
	v_subrev_u32_e32 v9, 28, v8
	v_and_b32_e32 v4, 0x80000000, v5
	v_and_b32_e32 v6, 15, v6
	v_bfe_u32 v7, v5, 27, 4
	v_lshlrev_b32_sdwa v5, v9, v5 dst_sel:DWORD dst_unused:UNUSED_PAD src0_sel:DWORD src1_sel:BYTE_3
	v_sub_u32_e32 v8, 29, v8
	v_and_b32_e32 v5, 7, v5
	v_cmp_eq_u16_e32 vcc, 0, v6
	v_cndmask_b32_e32 v3, v3, v5, vcc
	v_cndmask_b32_e32 v5, v7, v8, vcc
	v_mov_b32_e32 v6, 0x3b800000
	v_lshlrev_b32_e32 v3, 20, v3
	v_lshl_add_u32 v5, v5, 23, v6
	v_or3_b32 v3, v4, v5, v3
.LBB53_256:
	s_or_b64 exec, exec, s[6:7]
	s_nop 0
	v_mfma_f32_16x16x4f32 a[0:3], v2, v3, a[0:3]
	s_movk_i32 s4, 0x7f
                                        ; implicit-def: $sgpr10
	s_nop 7
	s_nop 1
	flat_store_dwordx4 v[18:19], a[0:3] offset:128
	flat_load_dwordx4 v[20:23], v[0:1] offset:8
	s_nop 0
	flat_load_dwordx2 v[18:19], v[0:1] offset:24
	s_waitcnt vmcnt(0) lgkmcnt(0)
	flat_load_dwordx4 v[14:17], v[20:21] offset:32
	flat_load_dwordx4 v[6:9], v[20:21] offset:48
	flat_load_dwordx4 v[10:13], v[22:23] offset:288
	flat_load_dwordx4 v[2:5], v[22:23] offset:304
	s_waitcnt vmcnt(0) lgkmcnt(0)
	v_cmp_gt_i16_sdwa s[6:7], v14, s4 src0_sel:BYTE_0 src1_sel:DWORD
	s_mov_b64 s[4:5], 0
	s_and_saveexec_b64 s[8:9], s[6:7]
	s_xor_b64 s[6:7], exec, s[8:9]
	s_cbranch_execnz .LBB53_2305
; %bb.257:
	s_or_saveexec_b64 s[6:7], s[6:7]
	v_mov_b32_e32 v20, s10
	s_xor_b64 exec, exec, s[6:7]
	s_cbranch_execnz .LBB53_2308
.LBB53_258:
	s_or_b64 exec, exec, s[6:7]
	s_and_saveexec_b64 s[6:7], s[4:5]
	s_cbranch_execz .LBB53_260
.LBB53_259:
	v_and_b32_e32 v20, 7, v14
	v_ffbh_u32_e32 v22, v20
	v_min_u32_e32 v22, 32, v22
	v_lshrrev_b16_e32 v21, 3, v14
	v_subrev_u32_e32 v23, 28, v22
	v_and_b32_e32 v21, 15, v21
	v_lshlrev_b32_e32 v23, v23, v14
	v_sub_u32_e32 v22, 29, v22
	v_and_b32_e32 v23, 7, v23
	v_cmp_eq_u16_e32 vcc, 0, v21
	v_cndmask_b32_e32 v20, v20, v23, vcc
	v_cndmask_b32_e32 v21, v21, v22, vcc
	v_lshlrev_b32_e32 v22, 24, v14
	v_mov_b32_e32 v23, 0x3b800000
	v_lshlrev_b32_e32 v20, 20, v20
	v_and_b32_e32 v22, 0x80000000, v22
	v_lshl_add_u32 v21, v21, 23, v23
	v_or3_b32 v20, v22, v21, v20
.LBB53_260:
	s_or_b64 exec, exec, s[6:7]
	s_movk_i32 s4, 0x7f
	v_cmp_gt_i16_sdwa s[6:7], v10, s4 src0_sel:BYTE_0 src1_sel:DWORD
	s_mov_b64 s[4:5], 0
                                        ; implicit-def: $sgpr10
	s_and_saveexec_b64 s[8:9], s[6:7]
	s_xor_b64 s[6:7], exec, s[8:9]
	s_cbranch_execnz .LBB53_2309
; %bb.261:
	s_or_saveexec_b64 s[6:7], s[6:7]
	v_mov_b32_e32 v21, s10
	s_xor_b64 exec, exec, s[6:7]
	s_cbranch_execnz .LBB53_2312
.LBB53_262:
	s_or_b64 exec, exec, s[6:7]
	s_and_saveexec_b64 s[6:7], s[4:5]
	s_cbranch_execz .LBB53_264
.LBB53_263:
	v_and_b32_e32 v21, 7, v10
	v_ffbh_u32_e32 v23, v21
	v_min_u32_e32 v23, 32, v23
	v_lshrrev_b16_e32 v22, 3, v10
	v_subrev_u32_e32 v24, 28, v23
	v_and_b32_e32 v22, 15, v22
	v_lshlrev_b32_e32 v24, v24, v10
	v_sub_u32_e32 v23, 29, v23
	v_and_b32_e32 v24, 7, v24
	v_cmp_eq_u16_e32 vcc, 0, v22
	v_cndmask_b32_e32 v21, v21, v24, vcc
	v_cndmask_b32_e32 v22, v22, v23, vcc
	v_lshlrev_b32_e32 v23, 24, v10
	v_mov_b32_e32 v24, 0x3b800000
	v_lshlrev_b32_e32 v21, 20, v21
	v_and_b32_e32 v23, 0x80000000, v23
	v_lshl_add_u32 v22, v22, 23, v24
	v_or3_b32 v21, v23, v22, v21
.LBB53_264:
	s_or_b64 exec, exec, s[6:7]
	flat_load_dwordx4 a[0:3], v[18:19] offset:144
	s_movk_i32 s4, 0x7f
                                        ; implicit-def: $sgpr10
	s_waitcnt vmcnt(0) lgkmcnt(0)
	v_mfma_f32_16x16x4f32 a[0:3], v20, v21, a[0:3]
	v_lshrrev_b32_e32 v21, 8, v14
	v_cmp_gt_i16_sdwa s[6:7], v21, s4 src0_sel:BYTE_0 src1_sel:DWORD
	s_mov_b64 s[4:5], 0
	s_and_saveexec_b64 s[8:9], s[6:7]
	s_xor_b64 s[6:7], exec, s[8:9]
	s_cbranch_execnz .LBB53_2313
; %bb.265:
	s_or_saveexec_b64 s[6:7], s[6:7]
	v_mov_b32_e32 v20, s10
	s_xor_b64 exec, exec, s[6:7]
	s_cbranch_execnz .LBB53_2316
.LBB53_266:
	s_or_b64 exec, exec, s[6:7]
	s_and_saveexec_b64 s[6:7], s[4:5]
	s_cbranch_execz .LBB53_268
.LBB53_267:
	v_bfe_u32 v20, v14, 8, 3
	v_ffbh_u32_e32 v23, v20
	v_min_u32_e32 v23, 32, v23
	v_lshrrev_b16_e32 v22, 3, v21
	v_subrev_u32_e32 v24, 28, v23
	v_and_b32_e32 v22, 15, v22
	v_lshlrev_b32_e32 v21, v24, v21
	v_sub_u32_e32 v23, 29, v23
	v_and_b32_e32 v21, 7, v21
	v_cmp_eq_u16_e32 vcc, 0, v22
	v_cndmask_b32_e32 v20, v20, v21, vcc
	v_cndmask_b32_e32 v21, v22, v23, vcc
	v_lshlrev_b32_e32 v22, 16, v14
	v_mov_b32_e32 v23, 0x3b800000
	v_lshlrev_b32_e32 v20, 20, v20
	v_and_b32_e32 v22, 0x80000000, v22
	v_lshl_add_u32 v21, v21, 23, v23
	v_or3_b32 v20, v22, v21, v20
.LBB53_268:
	s_or_b64 exec, exec, s[6:7]
	v_lshrrev_b32_e32 v21, 8, v10
	s_movk_i32 s4, 0x7f
	v_cmp_gt_i16_sdwa s[6:7], v21, s4 src0_sel:BYTE_0 src1_sel:DWORD
	s_mov_b64 s[4:5], 0
                                        ; implicit-def: $sgpr10
	s_and_saveexec_b64 s[8:9], s[6:7]
	s_xor_b64 s[6:7], exec, s[8:9]
	s_cbranch_execnz .LBB53_2317
; %bb.269:
	s_or_saveexec_b64 s[6:7], s[6:7]
	v_mov_b32_e32 v22, s10
	s_xor_b64 exec, exec, s[6:7]
	s_cbranch_execnz .LBB53_2320
.LBB53_270:
	s_or_b64 exec, exec, s[6:7]
	s_and_saveexec_b64 s[6:7], s[4:5]
	s_cbranch_execz .LBB53_272
.LBB53_271:
	v_bfe_u32 v22, v10, 8, 3
	v_ffbh_u32_e32 v24, v22
	v_min_u32_e32 v24, 32, v24
	v_lshrrev_b16_e32 v23, 3, v21
	v_subrev_u32_e32 v25, 28, v24
	v_and_b32_e32 v23, 15, v23
	v_lshlrev_b32_e32 v21, v25, v21
	v_sub_u32_e32 v24, 29, v24
	v_and_b32_e32 v21, 7, v21
	v_cmp_eq_u16_e32 vcc, 0, v23
	v_cndmask_b32_e32 v21, v22, v21, vcc
	v_cndmask_b32_e32 v22, v23, v24, vcc
	v_lshlrev_b32_e32 v23, 16, v10
	v_mov_b32_e32 v24, 0x3b800000
	v_lshlrev_b32_e32 v21, 20, v21
	v_and_b32_e32 v23, 0x80000000, v23
	v_lshl_add_u32 v22, v22, 23, v24
	v_or3_b32 v22, v23, v22, v21
.LBB53_272:
	s_or_b64 exec, exec, s[6:7]
	s_nop 0
	v_mfma_f32_16x16x4f32 a[0:3], v20, v22, a[0:3]
	s_movk_i32 s4, 0xff
	v_and_b32_sdwa v21, v14, s4 dst_sel:DWORD dst_unused:UNUSED_PAD src0_sel:WORD_1 src1_sel:DWORD
	s_movk_i32 s4, 0x7f
	v_cmp_lt_i16_e32 vcc, s4, v21
	s_mov_b64 s[4:5], 0
                                        ; implicit-def: $sgpr10
	s_and_saveexec_b64 s[6:7], vcc
	s_xor_b64 s[6:7], exec, s[6:7]
	s_cbranch_execnz .LBB53_2321
; %bb.273:
	s_or_saveexec_b64 s[6:7], s[6:7]
	v_mov_b32_e32 v20, s10
	s_xor_b64 exec, exec, s[6:7]
	s_cbranch_execnz .LBB53_2324
.LBB53_274:
	s_or_b64 exec, exec, s[6:7]
	s_and_saveexec_b64 s[6:7], s[4:5]
	s_cbranch_execz .LBB53_276
.LBB53_275:
	v_bfe_u32 v20, v14, 16, 3
	v_ffbh_u32_e32 v23, v20
	v_min_u32_e32 v23, 32, v23
	v_lshrrev_b32_e32 v21, 19, v14
	v_subrev_u32_e32 v24, 28, v23
	v_and_b32_e32 v21, 15, v21
	v_lshlrev_b32_sdwa v24, v24, v14 dst_sel:DWORD dst_unused:UNUSED_PAD src0_sel:DWORD src1_sel:WORD_1
	v_bfe_u32 v22, v14, 19, 4
	v_sub_u32_e32 v23, 29, v23
	v_and_b32_e32 v24, 7, v24
	v_cmp_eq_u16_e32 vcc, 0, v21
	v_cndmask_b32_e32 v20, v20, v24, vcc
	v_cndmask_b32_e32 v21, v22, v23, vcc
	v_lshlrev_b32_e32 v22, 8, v14
	v_mov_b32_e32 v23, 0x3b800000
	v_lshlrev_b32_e32 v20, 20, v20
	v_and_b32_e32 v22, 0x80000000, v22
	v_lshl_add_u32 v21, v21, 23, v23
	v_or3_b32 v20, v22, v21, v20
.LBB53_276:
	s_or_b64 exec, exec, s[6:7]
	s_movk_i32 s4, 0xff
	v_and_b32_sdwa v21, v10, s4 dst_sel:DWORD dst_unused:UNUSED_PAD src0_sel:WORD_1 src1_sel:DWORD
	s_movk_i32 s4, 0x7f
	v_cmp_lt_i16_e32 vcc, s4, v21
	s_mov_b64 s[4:5], 0
                                        ; implicit-def: $sgpr10
	s_and_saveexec_b64 s[6:7], vcc
	s_xor_b64 s[6:7], exec, s[6:7]
	s_cbranch_execnz .LBB53_2325
; %bb.277:
	s_or_saveexec_b64 s[6:7], s[6:7]
	v_mov_b32_e32 v22, s10
	s_xor_b64 exec, exec, s[6:7]
	s_cbranch_execnz .LBB53_2328
.LBB53_278:
	s_or_b64 exec, exec, s[6:7]
	s_and_saveexec_b64 s[6:7], s[4:5]
	s_cbranch_execz .LBB53_280
.LBB53_279:
	v_bfe_u32 v21, v10, 16, 3
	v_ffbh_u32_e32 v24, v21
	v_min_u32_e32 v24, 32, v24
	v_lshrrev_b32_e32 v22, 19, v10
	v_subrev_u32_e32 v25, 28, v24
	v_and_b32_e32 v22, 15, v22
	v_lshlrev_b32_sdwa v25, v25, v10 dst_sel:DWORD dst_unused:UNUSED_PAD src0_sel:DWORD src1_sel:WORD_1
	v_bfe_u32 v23, v10, 19, 4
	v_sub_u32_e32 v24, 29, v24
	v_and_b32_e32 v25, 7, v25
	v_cmp_eq_u16_e32 vcc, 0, v22
	v_cndmask_b32_e32 v21, v21, v25, vcc
	v_cndmask_b32_e32 v22, v23, v24, vcc
	v_lshlrev_b32_e32 v23, 8, v10
	v_mov_b32_e32 v24, 0x3b800000
	v_lshlrev_b32_e32 v21, 20, v21
	v_and_b32_e32 v23, 0x80000000, v23
	v_lshl_add_u32 v22, v22, 23, v24
	v_or3_b32 v22, v23, v22, v21
.LBB53_280:
	s_or_b64 exec, exec, s[6:7]
	s_nop 0
	v_mfma_f32_16x16x4f32 a[0:3], v20, v22, a[0:3]
	s_movk_i32 s4, 0x7f
	v_cmp_gt_i16_sdwa s[6:7], v14, s4 src0_sel:BYTE_3 src1_sel:DWORD
	s_mov_b64 s[4:5], 0
                                        ; implicit-def: $sgpr10
	s_and_saveexec_b64 s[8:9], s[6:7]
	s_xor_b64 s[6:7], exec, s[8:9]
	s_cbranch_execnz .LBB53_2329
; %bb.281:
	s_or_saveexec_b64 s[6:7], s[6:7]
	v_mov_b32_e32 v20, s10
	s_xor_b64 exec, exec, s[6:7]
	s_cbranch_execnz .LBB53_2332
.LBB53_282:
	s_or_b64 exec, exec, s[6:7]
	s_and_saveexec_b64 s[6:7], s[4:5]
	s_cbranch_execz .LBB53_284
.LBB53_283:
	v_bfe_u32 v20, v14, 24, 3
	v_ffbh_u32_e32 v24, v20
	v_min_u32_e32 v24, 32, v24
	v_lshrrev_b32_e32 v22, 27, v14
	v_subrev_u32_e32 v25, 28, v24
	v_and_b32_e32 v21, 0x80000000, v14
	v_and_b32_e32 v22, 15, v22
	v_bfe_u32 v23, v14, 27, 4
	v_lshlrev_b32_sdwa v14, v25, v14 dst_sel:DWORD dst_unused:UNUSED_PAD src0_sel:DWORD src1_sel:BYTE_3
	v_sub_u32_e32 v24, 29, v24
	v_and_b32_e32 v14, 7, v14
	v_cmp_eq_u16_e32 vcc, 0, v22
	v_cndmask_b32_e32 v14, v20, v14, vcc
	v_cndmask_b32_e32 v20, v23, v24, vcc
	v_mov_b32_e32 v22, 0x3b800000
	v_lshlrev_b32_e32 v14, 20, v14
	v_lshl_add_u32 v20, v20, 23, v22
	v_or3_b32 v20, v21, v20, v14
.LBB53_284:
	s_or_b64 exec, exec, s[6:7]
	s_movk_i32 s4, 0x7f
	v_cmp_gt_i16_sdwa s[6:7], v10, s4 src0_sel:BYTE_3 src1_sel:DWORD
	s_mov_b64 s[4:5], 0
                                        ; implicit-def: $sgpr10
	s_and_saveexec_b64 s[8:9], s[6:7]
	s_xor_b64 s[6:7], exec, s[8:9]
	s_cbranch_execnz .LBB53_2333
; %bb.285:
	s_or_saveexec_b64 s[6:7], s[6:7]
	v_mov_b32_e32 v14, s10
	s_xor_b64 exec, exec, s[6:7]
	s_cbranch_execnz .LBB53_2336
.LBB53_286:
	s_or_b64 exec, exec, s[6:7]
	s_and_saveexec_b64 s[6:7], s[4:5]
	s_cbranch_execz .LBB53_288
.LBB53_287:
	v_bfe_u32 v14, v10, 24, 3
	v_ffbh_u32_e32 v24, v14
	v_min_u32_e32 v24, 32, v24
	v_lshrrev_b32_e32 v22, 27, v10
	v_subrev_u32_e32 v25, 28, v24
	v_and_b32_e32 v21, 0x80000000, v10
	v_and_b32_e32 v22, 15, v22
	v_bfe_u32 v23, v10, 27, 4
	v_lshlrev_b32_sdwa v10, v25, v10 dst_sel:DWORD dst_unused:UNUSED_PAD src0_sel:DWORD src1_sel:BYTE_3
	v_sub_u32_e32 v24, 29, v24
	v_and_b32_e32 v10, 7, v10
	v_cmp_eq_u16_e32 vcc, 0, v22
	v_cndmask_b32_e32 v10, v14, v10, vcc
	v_cndmask_b32_e32 v14, v23, v24, vcc
	v_mov_b32_e32 v22, 0x3b800000
	v_lshlrev_b32_e32 v10, 20, v10
	v_lshl_add_u32 v14, v14, 23, v22
	v_or3_b32 v14, v21, v14, v10
.LBB53_288:
	s_or_b64 exec, exec, s[6:7]
	s_nop 0
	v_mfma_f32_16x16x4f32 a[0:3], v20, v14, a[0:3]
	s_movk_i32 s4, 0x7f
	v_cmp_gt_i16_sdwa s[6:7], v15, s4 src0_sel:BYTE_0 src1_sel:DWORD
	s_mov_b64 s[4:5], 0
                                        ; implicit-def: $sgpr10
	s_and_saveexec_b64 s[8:9], s[6:7]
	s_xor_b64 s[6:7], exec, s[8:9]
	s_cbranch_execnz .LBB53_2337
; %bb.289:
	s_or_saveexec_b64 s[6:7], s[6:7]
	v_mov_b32_e32 v10, s10
	s_xor_b64 exec, exec, s[6:7]
	s_cbranch_execnz .LBB53_2340
.LBB53_290:
	s_or_b64 exec, exec, s[6:7]
	s_and_saveexec_b64 s[6:7], s[4:5]
	s_cbranch_execz .LBB53_292
.LBB53_291:
	v_and_b32_e32 v10, 7, v15
	v_ffbh_u32_e32 v20, v10
	v_min_u32_e32 v20, 32, v20
	v_lshrrev_b16_e32 v14, 3, v15
	v_subrev_u32_e32 v21, 28, v20
	v_and_b32_e32 v14, 15, v14
	v_lshlrev_b32_e32 v21, v21, v15
	v_sub_u32_e32 v20, 29, v20
	v_and_b32_e32 v21, 7, v21
	v_cmp_eq_u16_e32 vcc, 0, v14
	v_cndmask_b32_e32 v10, v10, v21, vcc
	v_cndmask_b32_e32 v14, v14, v20, vcc
	v_lshlrev_b32_e32 v20, 24, v15
	v_mov_b32_e32 v21, 0x3b800000
	v_lshlrev_b32_e32 v10, 20, v10
	v_and_b32_e32 v20, 0x80000000, v20
	v_lshl_add_u32 v14, v14, 23, v21
	v_or3_b32 v10, v20, v14, v10
.LBB53_292:
	s_or_b64 exec, exec, s[6:7]
	s_movk_i32 s4, 0x7f
	v_cmp_gt_i16_sdwa s[6:7], v11, s4 src0_sel:BYTE_0 src1_sel:DWORD
	s_mov_b64 s[4:5], 0
                                        ; implicit-def: $sgpr10
	s_and_saveexec_b64 s[8:9], s[6:7]
	s_xor_b64 s[6:7], exec, s[8:9]
	s_cbranch_execnz .LBB53_2341
; %bb.293:
	s_or_saveexec_b64 s[6:7], s[6:7]
	v_mov_b32_e32 v14, s10
	s_xor_b64 exec, exec, s[6:7]
	s_cbranch_execnz .LBB53_2344
.LBB53_294:
	s_or_b64 exec, exec, s[6:7]
	s_and_saveexec_b64 s[6:7], s[4:5]
	s_cbranch_execz .LBB53_296
.LBB53_295:
	v_and_b32_e32 v14, 7, v11
	v_ffbh_u32_e32 v21, v14
	v_min_u32_e32 v21, 32, v21
	v_lshrrev_b16_e32 v20, 3, v11
	v_subrev_u32_e32 v22, 28, v21
	v_and_b32_e32 v20, 15, v20
	v_lshlrev_b32_e32 v22, v22, v11
	v_sub_u32_e32 v21, 29, v21
	v_and_b32_e32 v22, 7, v22
	v_cmp_eq_u16_e32 vcc, 0, v20
	v_cndmask_b32_e32 v14, v14, v22, vcc
	v_cndmask_b32_e32 v20, v20, v21, vcc
	v_lshlrev_b32_e32 v21, 24, v11
	v_mov_b32_e32 v22, 0x3b800000
	v_lshlrev_b32_e32 v14, 20, v14
	v_and_b32_e32 v21, 0x80000000, v21
	v_lshl_add_u32 v20, v20, 23, v22
	v_or3_b32 v14, v21, v20, v14
.LBB53_296:
	s_or_b64 exec, exec, s[6:7]
	s_nop 0
	v_mfma_f32_16x16x4f32 a[0:3], v10, v14, a[0:3]
	v_lshrrev_b32_e32 v14, 8, v15
	s_movk_i32 s4, 0x7f
	v_cmp_gt_i16_sdwa s[6:7], v14, s4 src0_sel:BYTE_0 src1_sel:DWORD
	s_mov_b64 s[4:5], 0
                                        ; implicit-def: $sgpr10
	s_and_saveexec_b64 s[8:9], s[6:7]
	s_xor_b64 s[6:7], exec, s[8:9]
	s_cbranch_execnz .LBB53_2345
; %bb.297:
	s_or_saveexec_b64 s[6:7], s[6:7]
	v_mov_b32_e32 v10, s10
	s_xor_b64 exec, exec, s[6:7]
	s_cbranch_execnz .LBB53_2348
.LBB53_298:
	s_or_b64 exec, exec, s[6:7]
	s_and_saveexec_b64 s[6:7], s[4:5]
	s_cbranch_execz .LBB53_300
.LBB53_299:
	v_bfe_u32 v10, v15, 8, 3
	v_ffbh_u32_e32 v21, v10
	v_min_u32_e32 v21, 32, v21
	v_lshrrev_b16_e32 v20, 3, v14
	v_subrev_u32_e32 v22, 28, v21
	v_and_b32_e32 v20, 15, v20
	v_lshlrev_b32_e32 v14, v22, v14
	v_sub_u32_e32 v21, 29, v21
	v_and_b32_e32 v14, 7, v14
	v_cmp_eq_u16_e32 vcc, 0, v20
	v_cndmask_b32_e32 v10, v10, v14, vcc
	v_cndmask_b32_e32 v14, v20, v21, vcc
	v_lshlrev_b32_e32 v20, 16, v15
	v_mov_b32_e32 v21, 0x3b800000
	v_lshlrev_b32_e32 v10, 20, v10
	v_and_b32_e32 v20, 0x80000000, v20
	v_lshl_add_u32 v14, v14, 23, v21
	v_or3_b32 v10, v20, v14, v10
.LBB53_300:
	s_or_b64 exec, exec, s[6:7]
	v_lshrrev_b32_e32 v14, 8, v11
	s_movk_i32 s4, 0x7f
	v_cmp_gt_i16_sdwa s[6:7], v14, s4 src0_sel:BYTE_0 src1_sel:DWORD
	s_mov_b64 s[4:5], 0
                                        ; implicit-def: $sgpr10
	s_and_saveexec_b64 s[8:9], s[6:7]
	s_xor_b64 s[6:7], exec, s[8:9]
	s_cbranch_execnz .LBB53_2349
; %bb.301:
	s_or_saveexec_b64 s[6:7], s[6:7]
	v_mov_b32_e32 v20, s10
	s_xor_b64 exec, exec, s[6:7]
	s_cbranch_execnz .LBB53_2352
.LBB53_302:
	s_or_b64 exec, exec, s[6:7]
	s_and_saveexec_b64 s[6:7], s[4:5]
	s_cbranch_execz .LBB53_304
.LBB53_303:
	v_bfe_u32 v20, v11, 8, 3
	v_ffbh_u32_e32 v22, v20
	v_min_u32_e32 v22, 32, v22
	v_lshrrev_b16_e32 v21, 3, v14
	v_subrev_u32_e32 v23, 28, v22
	v_and_b32_e32 v21, 15, v21
	v_lshlrev_b32_e32 v14, v23, v14
	v_sub_u32_e32 v22, 29, v22
	v_and_b32_e32 v14, 7, v14
	v_cmp_eq_u16_e32 vcc, 0, v21
	v_cndmask_b32_e32 v14, v20, v14, vcc
	v_cndmask_b32_e32 v20, v21, v22, vcc
	v_lshlrev_b32_e32 v21, 16, v11
	v_mov_b32_e32 v22, 0x3b800000
	v_lshlrev_b32_e32 v14, 20, v14
	v_and_b32_e32 v21, 0x80000000, v21
	v_lshl_add_u32 v20, v20, 23, v22
	v_or3_b32 v20, v21, v20, v14
.LBB53_304:
	s_or_b64 exec, exec, s[6:7]
	s_nop 0
	v_mfma_f32_16x16x4f32 a[0:3], v10, v20, a[0:3]
	s_movk_i32 s4, 0xff
	v_and_b32_sdwa v14, v15, s4 dst_sel:DWORD dst_unused:UNUSED_PAD src0_sel:WORD_1 src1_sel:DWORD
	s_movk_i32 s4, 0x7f
	v_cmp_lt_i16_e32 vcc, s4, v14
	s_mov_b64 s[4:5], 0
                                        ; implicit-def: $sgpr10
	s_and_saveexec_b64 s[6:7], vcc
	s_xor_b64 s[6:7], exec, s[6:7]
	s_cbranch_execnz .LBB53_2353
; %bb.305:
	s_or_saveexec_b64 s[6:7], s[6:7]
	v_mov_b32_e32 v10, s10
	s_xor_b64 exec, exec, s[6:7]
	s_cbranch_execnz .LBB53_2356
.LBB53_306:
	s_or_b64 exec, exec, s[6:7]
	s_and_saveexec_b64 s[6:7], s[4:5]
	s_cbranch_execz .LBB53_308
.LBB53_307:
	v_bfe_u32 v10, v15, 16, 3
	v_ffbh_u32_e32 v21, v10
	v_min_u32_e32 v21, 32, v21
	v_lshrrev_b32_e32 v14, 19, v15
	v_subrev_u32_e32 v22, 28, v21
	v_and_b32_e32 v14, 15, v14
	v_lshlrev_b32_sdwa v22, v22, v15 dst_sel:DWORD dst_unused:UNUSED_PAD src0_sel:DWORD src1_sel:WORD_1
	v_bfe_u32 v20, v15, 19, 4
	v_sub_u32_e32 v21, 29, v21
	v_and_b32_e32 v22, 7, v22
	v_cmp_eq_u16_e32 vcc, 0, v14
	v_cndmask_b32_e32 v10, v10, v22, vcc
	v_cndmask_b32_e32 v14, v20, v21, vcc
	v_lshlrev_b32_e32 v20, 8, v15
	v_mov_b32_e32 v21, 0x3b800000
	v_lshlrev_b32_e32 v10, 20, v10
	v_and_b32_e32 v20, 0x80000000, v20
	v_lshl_add_u32 v14, v14, 23, v21
	v_or3_b32 v10, v20, v14, v10
.LBB53_308:
	s_or_b64 exec, exec, s[6:7]
	s_movk_i32 s4, 0xff
	v_and_b32_sdwa v14, v11, s4 dst_sel:DWORD dst_unused:UNUSED_PAD src0_sel:WORD_1 src1_sel:DWORD
	s_movk_i32 s4, 0x7f
	v_cmp_lt_i16_e32 vcc, s4, v14
	s_mov_b64 s[4:5], 0
                                        ; implicit-def: $sgpr10
	s_and_saveexec_b64 s[6:7], vcc
	s_xor_b64 s[6:7], exec, s[6:7]
	s_cbranch_execnz .LBB53_2357
; %bb.309:
	s_or_saveexec_b64 s[6:7], s[6:7]
	v_mov_b32_e32 v20, s10
	s_xor_b64 exec, exec, s[6:7]
	s_cbranch_execnz .LBB53_2360
.LBB53_310:
	s_or_b64 exec, exec, s[6:7]
	s_and_saveexec_b64 s[6:7], s[4:5]
	s_cbranch_execz .LBB53_312
.LBB53_311:
	v_bfe_u32 v14, v11, 16, 3
	v_ffbh_u32_e32 v22, v14
	v_min_u32_e32 v22, 32, v22
	v_lshrrev_b32_e32 v20, 19, v11
	v_subrev_u32_e32 v23, 28, v22
	v_and_b32_e32 v20, 15, v20
	v_lshlrev_b32_sdwa v23, v23, v11 dst_sel:DWORD dst_unused:UNUSED_PAD src0_sel:DWORD src1_sel:WORD_1
	v_bfe_u32 v21, v11, 19, 4
	v_sub_u32_e32 v22, 29, v22
	v_and_b32_e32 v23, 7, v23
	v_cmp_eq_u16_e32 vcc, 0, v20
	v_cndmask_b32_e32 v14, v14, v23, vcc
	v_cndmask_b32_e32 v20, v21, v22, vcc
	v_lshlrev_b32_e32 v21, 8, v11
	v_mov_b32_e32 v22, 0x3b800000
	v_lshlrev_b32_e32 v14, 20, v14
	v_and_b32_e32 v21, 0x80000000, v21
	v_lshl_add_u32 v20, v20, 23, v22
	v_or3_b32 v20, v21, v20, v14
.LBB53_312:
	s_or_b64 exec, exec, s[6:7]
	s_nop 0
	v_mfma_f32_16x16x4f32 a[0:3], v10, v20, a[0:3]
	s_movk_i32 s4, 0x7f
	v_cmp_gt_i16_sdwa s[6:7], v15, s4 src0_sel:BYTE_3 src1_sel:DWORD
	s_mov_b64 s[4:5], 0
                                        ; implicit-def: $sgpr10
	s_and_saveexec_b64 s[8:9], s[6:7]
	s_xor_b64 s[6:7], exec, s[8:9]
	s_cbranch_execnz .LBB53_2361
; %bb.313:
	s_or_saveexec_b64 s[6:7], s[6:7]
	v_mov_b32_e32 v10, s10
	s_xor_b64 exec, exec, s[6:7]
	s_cbranch_execnz .LBB53_2364
.LBB53_314:
	s_or_b64 exec, exec, s[6:7]
	s_and_saveexec_b64 s[6:7], s[4:5]
	s_cbranch_execz .LBB53_316
.LBB53_315:
	v_bfe_u32 v10, v15, 24, 3
	v_ffbh_u32_e32 v22, v10
	v_min_u32_e32 v22, 32, v22
	v_lshrrev_b32_e32 v20, 27, v15
	v_subrev_u32_e32 v23, 28, v22
	v_and_b32_e32 v14, 0x80000000, v15
	v_and_b32_e32 v20, 15, v20
	v_bfe_u32 v21, v15, 27, 4
	v_lshlrev_b32_sdwa v15, v23, v15 dst_sel:DWORD dst_unused:UNUSED_PAD src0_sel:DWORD src1_sel:BYTE_3
	v_sub_u32_e32 v22, 29, v22
	v_and_b32_e32 v15, 7, v15
	v_cmp_eq_u16_e32 vcc, 0, v20
	v_cndmask_b32_e32 v10, v10, v15, vcc
	v_cndmask_b32_e32 v15, v21, v22, vcc
	v_mov_b32_e32 v20, 0x3b800000
	v_lshlrev_b32_e32 v10, 20, v10
	v_lshl_add_u32 v15, v15, 23, v20
	v_or3_b32 v10, v14, v15, v10
.LBB53_316:
	s_or_b64 exec, exec, s[6:7]
	s_movk_i32 s4, 0x7f
	v_cmp_gt_i16_sdwa s[6:7], v11, s4 src0_sel:BYTE_3 src1_sel:DWORD
	s_mov_b64 s[4:5], 0
                                        ; implicit-def: $sgpr10
	s_and_saveexec_b64 s[8:9], s[6:7]
	s_xor_b64 s[6:7], exec, s[8:9]
	s_cbranch_execnz .LBB53_2365
; %bb.317:
	s_or_saveexec_b64 s[6:7], s[6:7]
	v_mov_b32_e32 v14, s10
	s_xor_b64 exec, exec, s[6:7]
	s_cbranch_execnz .LBB53_2368
.LBB53_318:
	s_or_b64 exec, exec, s[6:7]
	s_and_saveexec_b64 s[6:7], s[4:5]
	s_cbranch_execz .LBB53_320
.LBB53_319:
	v_bfe_u32 v14, v11, 24, 3
	v_ffbh_u32_e32 v22, v14
	v_min_u32_e32 v22, 32, v22
	v_lshrrev_b32_e32 v20, 27, v11
	v_subrev_u32_e32 v23, 28, v22
	v_and_b32_e32 v15, 0x80000000, v11
	v_and_b32_e32 v20, 15, v20
	v_bfe_u32 v21, v11, 27, 4
	v_lshlrev_b32_sdwa v11, v23, v11 dst_sel:DWORD dst_unused:UNUSED_PAD src0_sel:DWORD src1_sel:BYTE_3
	v_sub_u32_e32 v22, 29, v22
	v_and_b32_e32 v11, 7, v11
	v_cmp_eq_u16_e32 vcc, 0, v20
	v_cndmask_b32_e32 v11, v14, v11, vcc
	v_cndmask_b32_e32 v14, v21, v22, vcc
	v_mov_b32_e32 v20, 0x3b800000
	v_lshlrev_b32_e32 v11, 20, v11
	v_lshl_add_u32 v14, v14, 23, v20
	v_or3_b32 v14, v15, v14, v11
.LBB53_320:
	s_or_b64 exec, exec, s[6:7]
	s_nop 0
	v_mfma_f32_16x16x4f32 a[0:3], v10, v14, a[0:3]
	s_movk_i32 s4, 0x7f
	v_cmp_gt_i16_sdwa s[6:7], v16, s4 src0_sel:BYTE_0 src1_sel:DWORD
	s_mov_b64 s[4:5], 0
                                        ; implicit-def: $sgpr10
	s_and_saveexec_b64 s[8:9], s[6:7]
	s_xor_b64 s[6:7], exec, s[8:9]
	s_cbranch_execnz .LBB53_2369
; %bb.321:
	s_or_saveexec_b64 s[6:7], s[6:7]
	v_mov_b32_e32 v10, s10
	s_xor_b64 exec, exec, s[6:7]
	s_cbranch_execnz .LBB53_2372
.LBB53_322:
	s_or_b64 exec, exec, s[6:7]
	s_and_saveexec_b64 s[6:7], s[4:5]
	s_cbranch_execz .LBB53_324
.LBB53_323:
	v_and_b32_e32 v10, 7, v16
	v_ffbh_u32_e32 v14, v10
	v_min_u32_e32 v14, 32, v14
	v_lshrrev_b16_e32 v11, 3, v16
	v_subrev_u32_e32 v15, 28, v14
	v_and_b32_e32 v11, 15, v11
	v_lshlrev_b32_e32 v15, v15, v16
	v_sub_u32_e32 v14, 29, v14
	v_and_b32_e32 v15, 7, v15
	v_cmp_eq_u16_e32 vcc, 0, v11
	v_cndmask_b32_e32 v10, v10, v15, vcc
	v_cndmask_b32_e32 v11, v11, v14, vcc
	v_lshlrev_b32_e32 v14, 24, v16
	v_mov_b32_e32 v15, 0x3b800000
	v_lshlrev_b32_e32 v10, 20, v10
	v_and_b32_e32 v14, 0x80000000, v14
	v_lshl_add_u32 v11, v11, 23, v15
	v_or3_b32 v10, v14, v11, v10
.LBB53_324:
	s_or_b64 exec, exec, s[6:7]
	s_movk_i32 s4, 0x7f
	v_cmp_gt_i16_sdwa s[6:7], v12, s4 src0_sel:BYTE_0 src1_sel:DWORD
	s_mov_b64 s[4:5], 0
                                        ; implicit-def: $sgpr10
	s_and_saveexec_b64 s[8:9], s[6:7]
	s_xor_b64 s[6:7], exec, s[8:9]
	s_cbranch_execnz .LBB53_2373
; %bb.325:
	s_or_saveexec_b64 s[6:7], s[6:7]
	v_mov_b32_e32 v11, s10
	s_xor_b64 exec, exec, s[6:7]
	s_cbranch_execnz .LBB53_2376
.LBB53_326:
	s_or_b64 exec, exec, s[6:7]
	s_and_saveexec_b64 s[6:7], s[4:5]
	s_cbranch_execz .LBB53_328
.LBB53_327:
	v_and_b32_e32 v11, 7, v12
	v_ffbh_u32_e32 v15, v11
	v_min_u32_e32 v15, 32, v15
	v_lshrrev_b16_e32 v14, 3, v12
	v_subrev_u32_e32 v20, 28, v15
	v_and_b32_e32 v14, 15, v14
	v_lshlrev_b32_e32 v20, v20, v12
	v_sub_u32_e32 v15, 29, v15
	v_and_b32_e32 v20, 7, v20
	v_cmp_eq_u16_e32 vcc, 0, v14
	v_cndmask_b32_e32 v11, v11, v20, vcc
	v_cndmask_b32_e32 v14, v14, v15, vcc
	v_lshlrev_b32_e32 v15, 24, v12
	v_mov_b32_e32 v20, 0x3b800000
	v_lshlrev_b32_e32 v11, 20, v11
	v_and_b32_e32 v15, 0x80000000, v15
	v_lshl_add_u32 v14, v14, 23, v20
	v_or3_b32 v11, v15, v14, v11
.LBB53_328:
	s_or_b64 exec, exec, s[6:7]
	s_nop 0
	v_mfma_f32_16x16x4f32 a[0:3], v10, v11, a[0:3]
	v_lshrrev_b32_e32 v11, 8, v16
	s_movk_i32 s4, 0x7f
	v_cmp_gt_i16_sdwa s[6:7], v11, s4 src0_sel:BYTE_0 src1_sel:DWORD
	s_mov_b64 s[4:5], 0
                                        ; implicit-def: $sgpr10
	s_and_saveexec_b64 s[8:9], s[6:7]
	s_xor_b64 s[6:7], exec, s[8:9]
	s_cbranch_execnz .LBB53_2377
; %bb.329:
	s_or_saveexec_b64 s[6:7], s[6:7]
	v_mov_b32_e32 v10, s10
	s_xor_b64 exec, exec, s[6:7]
	s_cbranch_execnz .LBB53_2380
.LBB53_330:
	s_or_b64 exec, exec, s[6:7]
	s_and_saveexec_b64 s[6:7], s[4:5]
	s_cbranch_execz .LBB53_332
.LBB53_331:
	v_bfe_u32 v10, v16, 8, 3
	v_ffbh_u32_e32 v15, v10
	v_min_u32_e32 v15, 32, v15
	v_lshrrev_b16_e32 v14, 3, v11
	v_subrev_u32_e32 v20, 28, v15
	v_and_b32_e32 v14, 15, v14
	v_lshlrev_b32_e32 v11, v20, v11
	v_sub_u32_e32 v15, 29, v15
	v_and_b32_e32 v11, 7, v11
	v_cmp_eq_u16_e32 vcc, 0, v14
	v_cndmask_b32_e32 v10, v10, v11, vcc
	v_cndmask_b32_e32 v11, v14, v15, vcc
	v_lshlrev_b32_e32 v14, 16, v16
	v_mov_b32_e32 v15, 0x3b800000
	v_lshlrev_b32_e32 v10, 20, v10
	v_and_b32_e32 v14, 0x80000000, v14
	v_lshl_add_u32 v11, v11, 23, v15
	v_or3_b32 v10, v14, v11, v10
.LBB53_332:
	s_or_b64 exec, exec, s[6:7]
	v_lshrrev_b32_e32 v11, 8, v12
	s_movk_i32 s4, 0x7f
	v_cmp_gt_i16_sdwa s[6:7], v11, s4 src0_sel:BYTE_0 src1_sel:DWORD
	s_mov_b64 s[4:5], 0
                                        ; implicit-def: $sgpr10
	s_and_saveexec_b64 s[8:9], s[6:7]
	s_xor_b64 s[6:7], exec, s[8:9]
	s_cbranch_execnz .LBB53_2381
; %bb.333:
	s_or_saveexec_b64 s[6:7], s[6:7]
	v_mov_b32_e32 v14, s10
	s_xor_b64 exec, exec, s[6:7]
	s_cbranch_execnz .LBB53_2384
.LBB53_334:
	s_or_b64 exec, exec, s[6:7]
	s_and_saveexec_b64 s[6:7], s[4:5]
	s_cbranch_execz .LBB53_336
.LBB53_335:
	v_bfe_u32 v14, v12, 8, 3
	v_ffbh_u32_e32 v20, v14
	v_min_u32_e32 v20, 32, v20
	v_lshrrev_b16_e32 v15, 3, v11
	v_subrev_u32_e32 v21, 28, v20
	v_and_b32_e32 v15, 15, v15
	v_lshlrev_b32_e32 v11, v21, v11
	v_sub_u32_e32 v20, 29, v20
	v_and_b32_e32 v11, 7, v11
	v_cmp_eq_u16_e32 vcc, 0, v15
	v_cndmask_b32_e32 v11, v14, v11, vcc
	v_cndmask_b32_e32 v14, v15, v20, vcc
	v_lshlrev_b32_e32 v15, 16, v12
	v_mov_b32_e32 v20, 0x3b800000
	v_lshlrev_b32_e32 v11, 20, v11
	v_and_b32_e32 v15, 0x80000000, v15
	v_lshl_add_u32 v14, v14, 23, v20
	v_or3_b32 v14, v15, v14, v11
.LBB53_336:
	s_or_b64 exec, exec, s[6:7]
	s_nop 0
	v_mfma_f32_16x16x4f32 a[0:3], v10, v14, a[0:3]
	s_movk_i32 s4, 0xff
	v_and_b32_sdwa v11, v16, s4 dst_sel:DWORD dst_unused:UNUSED_PAD src0_sel:WORD_1 src1_sel:DWORD
	s_movk_i32 s4, 0x7f
	v_cmp_lt_i16_e32 vcc, s4, v11
	s_mov_b64 s[4:5], 0
                                        ; implicit-def: $sgpr10
	s_and_saveexec_b64 s[6:7], vcc
	s_xor_b64 s[6:7], exec, s[6:7]
	s_cbranch_execnz .LBB53_2385
; %bb.337:
	s_or_saveexec_b64 s[6:7], s[6:7]
	v_mov_b32_e32 v10, s10
	s_xor_b64 exec, exec, s[6:7]
	s_cbranch_execnz .LBB53_2388
.LBB53_338:
	s_or_b64 exec, exec, s[6:7]
	s_and_saveexec_b64 s[6:7], s[4:5]
	s_cbranch_execz .LBB53_340
.LBB53_339:
	v_bfe_u32 v10, v16, 16, 3
	v_ffbh_u32_e32 v15, v10
	v_min_u32_e32 v15, 32, v15
	v_lshrrev_b32_e32 v11, 19, v16
	v_subrev_u32_e32 v20, 28, v15
	v_and_b32_e32 v11, 15, v11
	v_lshlrev_b32_sdwa v20, v20, v16 dst_sel:DWORD dst_unused:UNUSED_PAD src0_sel:DWORD src1_sel:WORD_1
	v_bfe_u32 v14, v16, 19, 4
	v_sub_u32_e32 v15, 29, v15
	v_and_b32_e32 v20, 7, v20
	v_cmp_eq_u16_e32 vcc, 0, v11
	v_cndmask_b32_e32 v10, v10, v20, vcc
	v_cndmask_b32_e32 v11, v14, v15, vcc
	v_lshlrev_b32_e32 v14, 8, v16
	v_mov_b32_e32 v15, 0x3b800000
	v_lshlrev_b32_e32 v10, 20, v10
	v_and_b32_e32 v14, 0x80000000, v14
	v_lshl_add_u32 v11, v11, 23, v15
	v_or3_b32 v10, v14, v11, v10
.LBB53_340:
	s_or_b64 exec, exec, s[6:7]
	s_movk_i32 s4, 0xff
	v_and_b32_sdwa v11, v12, s4 dst_sel:DWORD dst_unused:UNUSED_PAD src0_sel:WORD_1 src1_sel:DWORD
	s_movk_i32 s4, 0x7f
	v_cmp_lt_i16_e32 vcc, s4, v11
	s_mov_b64 s[4:5], 0
                                        ; implicit-def: $sgpr10
	s_and_saveexec_b64 s[6:7], vcc
	s_xor_b64 s[6:7], exec, s[6:7]
	s_cbranch_execnz .LBB53_2389
; %bb.341:
	s_or_saveexec_b64 s[6:7], s[6:7]
	v_mov_b32_e32 v14, s10
	s_xor_b64 exec, exec, s[6:7]
	s_cbranch_execnz .LBB53_2392
.LBB53_342:
	s_or_b64 exec, exec, s[6:7]
	s_and_saveexec_b64 s[6:7], s[4:5]
	s_cbranch_execz .LBB53_344
.LBB53_343:
	v_bfe_u32 v11, v12, 16, 3
	v_ffbh_u32_e32 v20, v11
	v_min_u32_e32 v20, 32, v20
	v_lshrrev_b32_e32 v14, 19, v12
	v_subrev_u32_e32 v21, 28, v20
	v_and_b32_e32 v14, 15, v14
	v_lshlrev_b32_sdwa v21, v21, v12 dst_sel:DWORD dst_unused:UNUSED_PAD src0_sel:DWORD src1_sel:WORD_1
	v_bfe_u32 v15, v12, 19, 4
	v_sub_u32_e32 v20, 29, v20
	v_and_b32_e32 v21, 7, v21
	v_cmp_eq_u16_e32 vcc, 0, v14
	v_cndmask_b32_e32 v11, v11, v21, vcc
	v_cndmask_b32_e32 v14, v15, v20, vcc
	v_lshlrev_b32_e32 v15, 8, v12
	v_mov_b32_e32 v20, 0x3b800000
	v_lshlrev_b32_e32 v11, 20, v11
	v_and_b32_e32 v15, 0x80000000, v15
	v_lshl_add_u32 v14, v14, 23, v20
	v_or3_b32 v14, v15, v14, v11
.LBB53_344:
	s_or_b64 exec, exec, s[6:7]
	s_nop 0
	v_mfma_f32_16x16x4f32 a[0:3], v10, v14, a[0:3]
	s_movk_i32 s4, 0x7f
	v_cmp_gt_i16_sdwa s[6:7], v16, s4 src0_sel:BYTE_3 src1_sel:DWORD
	s_mov_b64 s[4:5], 0
                                        ; implicit-def: $sgpr10
	s_and_saveexec_b64 s[8:9], s[6:7]
	s_xor_b64 s[6:7], exec, s[8:9]
	s_cbranch_execnz .LBB53_2393
; %bb.345:
	s_or_saveexec_b64 s[6:7], s[6:7]
	v_mov_b32_e32 v10, s10
	s_xor_b64 exec, exec, s[6:7]
	s_cbranch_execnz .LBB53_2396
.LBB53_346:
	s_or_b64 exec, exec, s[6:7]
	s_and_saveexec_b64 s[6:7], s[4:5]
	s_cbranch_execz .LBB53_348
.LBB53_347:
	v_bfe_u32 v10, v16, 24, 3
	v_ffbh_u32_e32 v20, v10
	v_min_u32_e32 v20, 32, v20
	v_lshrrev_b32_e32 v14, 27, v16
	v_subrev_u32_e32 v21, 28, v20
	v_and_b32_e32 v11, 0x80000000, v16
	v_and_b32_e32 v14, 15, v14
	v_bfe_u32 v15, v16, 27, 4
	v_lshlrev_b32_sdwa v16, v21, v16 dst_sel:DWORD dst_unused:UNUSED_PAD src0_sel:DWORD src1_sel:BYTE_3
	v_sub_u32_e32 v20, 29, v20
	v_and_b32_e32 v16, 7, v16
	v_cmp_eq_u16_e32 vcc, 0, v14
	v_cndmask_b32_e32 v10, v10, v16, vcc
	v_cndmask_b32_e32 v14, v15, v20, vcc
	v_mov_b32_e32 v15, 0x3b800000
	v_lshlrev_b32_e32 v10, 20, v10
	v_lshl_add_u32 v14, v14, 23, v15
	v_or3_b32 v10, v11, v14, v10
.LBB53_348:
	s_or_b64 exec, exec, s[6:7]
	s_movk_i32 s4, 0x7f
	v_cmp_gt_i16_sdwa s[6:7], v12, s4 src0_sel:BYTE_3 src1_sel:DWORD
	s_mov_b64 s[4:5], 0
                                        ; implicit-def: $sgpr10
	s_and_saveexec_b64 s[8:9], s[6:7]
	s_xor_b64 s[6:7], exec, s[8:9]
	s_cbranch_execnz .LBB53_2397
; %bb.349:
	s_or_saveexec_b64 s[6:7], s[6:7]
	v_mov_b32_e32 v11, s10
	s_xor_b64 exec, exec, s[6:7]
	s_cbranch_execnz .LBB53_2400
.LBB53_350:
	s_or_b64 exec, exec, s[6:7]
	s_and_saveexec_b64 s[6:7], s[4:5]
	s_cbranch_execz .LBB53_352
.LBB53_351:
	v_bfe_u32 v11, v12, 24, 3
	v_ffbh_u32_e32 v20, v11
	v_min_u32_e32 v20, 32, v20
	v_lshrrev_b32_e32 v15, 27, v12
	v_subrev_u32_e32 v21, 28, v20
	v_and_b32_e32 v14, 0x80000000, v12
	v_and_b32_e32 v15, 15, v15
	v_bfe_u32 v16, v12, 27, 4
	v_lshlrev_b32_sdwa v12, v21, v12 dst_sel:DWORD dst_unused:UNUSED_PAD src0_sel:DWORD src1_sel:BYTE_3
	v_sub_u32_e32 v20, 29, v20
	v_and_b32_e32 v12, 7, v12
	v_cmp_eq_u16_e32 vcc, 0, v15
	v_cndmask_b32_e32 v11, v11, v12, vcc
	v_cndmask_b32_e32 v12, v16, v20, vcc
	v_mov_b32_e32 v15, 0x3b800000
	v_lshlrev_b32_e32 v11, 20, v11
	v_lshl_add_u32 v12, v12, 23, v15
	v_or3_b32 v11, v14, v12, v11
.LBB53_352:
	s_or_b64 exec, exec, s[6:7]
	s_nop 0
	v_mfma_f32_16x16x4f32 a[0:3], v10, v11, a[0:3]
	s_movk_i32 s4, 0x7f
	v_cmp_gt_i16_sdwa s[6:7], v17, s4 src0_sel:BYTE_0 src1_sel:DWORD
	s_mov_b64 s[4:5], 0
                                        ; implicit-def: $sgpr10
	s_and_saveexec_b64 s[8:9], s[6:7]
	s_xor_b64 s[6:7], exec, s[8:9]
	s_cbranch_execnz .LBB53_2401
; %bb.353:
	s_or_saveexec_b64 s[6:7], s[6:7]
	v_mov_b32_e32 v10, s10
	s_xor_b64 exec, exec, s[6:7]
	s_cbranch_execnz .LBB53_2404
.LBB53_354:
	s_or_b64 exec, exec, s[6:7]
	s_and_saveexec_b64 s[6:7], s[4:5]
	s_cbranch_execz .LBB53_356
.LBB53_355:
	v_and_b32_e32 v10, 7, v17
	v_ffbh_u32_e32 v12, v10
	v_min_u32_e32 v12, 32, v12
	v_lshrrev_b16_e32 v11, 3, v17
	v_subrev_u32_e32 v14, 28, v12
	v_and_b32_e32 v11, 15, v11
	v_lshlrev_b32_e32 v14, v14, v17
	v_sub_u32_e32 v12, 29, v12
	v_and_b32_e32 v14, 7, v14
	v_cmp_eq_u16_e32 vcc, 0, v11
	v_cndmask_b32_e32 v10, v10, v14, vcc
	v_cndmask_b32_e32 v11, v11, v12, vcc
	v_lshlrev_b32_e32 v12, 24, v17
	v_mov_b32_e32 v14, 0x3b800000
	v_lshlrev_b32_e32 v10, 20, v10
	v_and_b32_e32 v12, 0x80000000, v12
	v_lshl_add_u32 v11, v11, 23, v14
	v_or3_b32 v10, v12, v11, v10
.LBB53_356:
	s_or_b64 exec, exec, s[6:7]
	s_movk_i32 s4, 0x7f
	v_cmp_gt_i16_sdwa s[6:7], v13, s4 src0_sel:BYTE_0 src1_sel:DWORD
	s_mov_b64 s[4:5], 0
                                        ; implicit-def: $sgpr10
	s_and_saveexec_b64 s[8:9], s[6:7]
	s_xor_b64 s[6:7], exec, s[8:9]
	s_cbranch_execnz .LBB53_2405
; %bb.357:
	s_or_saveexec_b64 s[6:7], s[6:7]
	v_mov_b32_e32 v11, s10
	s_xor_b64 exec, exec, s[6:7]
	s_cbranch_execnz .LBB53_2408
.LBB53_358:
	s_or_b64 exec, exec, s[6:7]
	s_and_saveexec_b64 s[6:7], s[4:5]
	s_cbranch_execz .LBB53_360
.LBB53_359:
	v_and_b32_e32 v11, 7, v13
	v_ffbh_u32_e32 v14, v11
	v_min_u32_e32 v14, 32, v14
	v_lshrrev_b16_e32 v12, 3, v13
	v_subrev_u32_e32 v15, 28, v14
	v_and_b32_e32 v12, 15, v12
	v_lshlrev_b32_e32 v15, v15, v13
	v_sub_u32_e32 v14, 29, v14
	v_and_b32_e32 v15, 7, v15
	v_cmp_eq_u16_e32 vcc, 0, v12
	v_cndmask_b32_e32 v11, v11, v15, vcc
	v_cndmask_b32_e32 v12, v12, v14, vcc
	v_lshlrev_b32_e32 v14, 24, v13
	v_mov_b32_e32 v15, 0x3b800000
	v_lshlrev_b32_e32 v11, 20, v11
	v_and_b32_e32 v14, 0x80000000, v14
	v_lshl_add_u32 v12, v12, 23, v15
	v_or3_b32 v11, v14, v12, v11
.LBB53_360:
	s_or_b64 exec, exec, s[6:7]
	s_nop 0
	v_mfma_f32_16x16x4f32 a[0:3], v10, v11, a[0:3]
	v_lshrrev_b32_e32 v11, 8, v17
	s_movk_i32 s4, 0x7f
	v_cmp_gt_i16_sdwa s[6:7], v11, s4 src0_sel:BYTE_0 src1_sel:DWORD
	s_mov_b64 s[4:5], 0
                                        ; implicit-def: $sgpr10
	s_and_saveexec_b64 s[8:9], s[6:7]
	s_xor_b64 s[6:7], exec, s[8:9]
	s_cbranch_execnz .LBB53_2409
; %bb.361:
	s_or_saveexec_b64 s[6:7], s[6:7]
	v_mov_b32_e32 v10, s10
	s_xor_b64 exec, exec, s[6:7]
	s_cbranch_execnz .LBB53_2412
.LBB53_362:
	s_or_b64 exec, exec, s[6:7]
	s_and_saveexec_b64 s[6:7], s[4:5]
	s_cbranch_execz .LBB53_364
.LBB53_363:
	v_bfe_u32 v10, v17, 8, 3
	v_ffbh_u32_e32 v14, v10
	v_min_u32_e32 v14, 32, v14
	v_lshrrev_b16_e32 v12, 3, v11
	v_subrev_u32_e32 v15, 28, v14
	v_and_b32_e32 v12, 15, v12
	v_lshlrev_b32_e32 v11, v15, v11
	v_sub_u32_e32 v14, 29, v14
	v_and_b32_e32 v11, 7, v11
	v_cmp_eq_u16_e32 vcc, 0, v12
	v_cndmask_b32_e32 v10, v10, v11, vcc
	v_cndmask_b32_e32 v11, v12, v14, vcc
	v_lshlrev_b32_e32 v12, 16, v17
	v_mov_b32_e32 v14, 0x3b800000
	v_lshlrev_b32_e32 v10, 20, v10
	v_and_b32_e32 v12, 0x80000000, v12
	v_lshl_add_u32 v11, v11, 23, v14
	v_or3_b32 v10, v12, v11, v10
.LBB53_364:
	s_or_b64 exec, exec, s[6:7]
	v_lshrrev_b32_e32 v11, 8, v13
	s_movk_i32 s4, 0x7f
	v_cmp_gt_i16_sdwa s[6:7], v11, s4 src0_sel:BYTE_0 src1_sel:DWORD
	s_mov_b64 s[4:5], 0
                                        ; implicit-def: $sgpr10
	s_and_saveexec_b64 s[8:9], s[6:7]
	s_xor_b64 s[6:7], exec, s[8:9]
	s_cbranch_execnz .LBB53_2413
; %bb.365:
	s_or_saveexec_b64 s[6:7], s[6:7]
	v_mov_b32_e32 v12, s10
	s_xor_b64 exec, exec, s[6:7]
	s_cbranch_execnz .LBB53_2416
.LBB53_366:
	s_or_b64 exec, exec, s[6:7]
	s_and_saveexec_b64 s[6:7], s[4:5]
	s_cbranch_execz .LBB53_368
.LBB53_367:
	v_bfe_u32 v12, v13, 8, 3
	v_ffbh_u32_e32 v15, v12
	v_min_u32_e32 v15, 32, v15
	v_lshrrev_b16_e32 v14, 3, v11
	v_subrev_u32_e32 v16, 28, v15
	v_and_b32_e32 v14, 15, v14
	v_lshlrev_b32_e32 v11, v16, v11
	v_sub_u32_e32 v15, 29, v15
	v_and_b32_e32 v11, 7, v11
	v_cmp_eq_u16_e32 vcc, 0, v14
	v_cndmask_b32_e32 v11, v12, v11, vcc
	v_cndmask_b32_e32 v12, v14, v15, vcc
	v_lshlrev_b32_e32 v14, 16, v13
	v_mov_b32_e32 v15, 0x3b800000
	v_lshlrev_b32_e32 v11, 20, v11
	v_and_b32_e32 v14, 0x80000000, v14
	v_lshl_add_u32 v12, v12, 23, v15
	v_or3_b32 v12, v14, v12, v11
.LBB53_368:
	s_or_b64 exec, exec, s[6:7]
	s_nop 0
	v_mfma_f32_16x16x4f32 a[0:3], v10, v12, a[0:3]
	s_movk_i32 s4, 0xff
	v_and_b32_sdwa v11, v17, s4 dst_sel:DWORD dst_unused:UNUSED_PAD src0_sel:WORD_1 src1_sel:DWORD
	s_movk_i32 s4, 0x7f
	v_cmp_lt_i16_e32 vcc, s4, v11
	s_mov_b64 s[4:5], 0
                                        ; implicit-def: $sgpr10
	s_and_saveexec_b64 s[6:7], vcc
	s_xor_b64 s[6:7], exec, s[6:7]
	s_cbranch_execnz .LBB53_2417
; %bb.369:
	s_or_saveexec_b64 s[6:7], s[6:7]
	v_mov_b32_e32 v10, s10
	s_xor_b64 exec, exec, s[6:7]
	s_cbranch_execnz .LBB53_2420
.LBB53_370:
	s_or_b64 exec, exec, s[6:7]
	s_and_saveexec_b64 s[6:7], s[4:5]
	s_cbranch_execz .LBB53_372
.LBB53_371:
	v_bfe_u32 v10, v17, 16, 3
	v_ffbh_u32_e32 v14, v10
	v_min_u32_e32 v14, 32, v14
	v_lshrrev_b32_e32 v11, 19, v17
	v_subrev_u32_e32 v15, 28, v14
	v_and_b32_e32 v11, 15, v11
	v_lshlrev_b32_sdwa v15, v15, v17 dst_sel:DWORD dst_unused:UNUSED_PAD src0_sel:DWORD src1_sel:WORD_1
	v_bfe_u32 v12, v17, 19, 4
	v_sub_u32_e32 v14, 29, v14
	v_and_b32_e32 v15, 7, v15
	v_cmp_eq_u16_e32 vcc, 0, v11
	v_cndmask_b32_e32 v10, v10, v15, vcc
	v_cndmask_b32_e32 v11, v12, v14, vcc
	v_lshlrev_b32_e32 v12, 8, v17
	v_mov_b32_e32 v14, 0x3b800000
	v_lshlrev_b32_e32 v10, 20, v10
	v_and_b32_e32 v12, 0x80000000, v12
	v_lshl_add_u32 v11, v11, 23, v14
	v_or3_b32 v10, v12, v11, v10
.LBB53_372:
	s_or_b64 exec, exec, s[6:7]
	s_movk_i32 s4, 0xff
	v_and_b32_sdwa v11, v13, s4 dst_sel:DWORD dst_unused:UNUSED_PAD src0_sel:WORD_1 src1_sel:DWORD
	s_movk_i32 s4, 0x7f
	v_cmp_lt_i16_e32 vcc, s4, v11
	s_mov_b64 s[4:5], 0
                                        ; implicit-def: $sgpr10
	s_and_saveexec_b64 s[6:7], vcc
	s_xor_b64 s[6:7], exec, s[6:7]
	s_cbranch_execnz .LBB53_2421
; %bb.373:
	s_or_saveexec_b64 s[6:7], s[6:7]
	v_mov_b32_e32 v12, s10
	s_xor_b64 exec, exec, s[6:7]
	s_cbranch_execnz .LBB53_2424
.LBB53_374:
	s_or_b64 exec, exec, s[6:7]
	s_and_saveexec_b64 s[6:7], s[4:5]
	s_cbranch_execz .LBB53_376
.LBB53_375:
	v_bfe_u32 v11, v13, 16, 3
	v_ffbh_u32_e32 v15, v11
	v_min_u32_e32 v15, 32, v15
	v_lshrrev_b32_e32 v12, 19, v13
	v_subrev_u32_e32 v16, 28, v15
	v_and_b32_e32 v12, 15, v12
	v_lshlrev_b32_sdwa v16, v16, v13 dst_sel:DWORD dst_unused:UNUSED_PAD src0_sel:DWORD src1_sel:WORD_1
	v_bfe_u32 v14, v13, 19, 4
	v_sub_u32_e32 v15, 29, v15
	v_and_b32_e32 v16, 7, v16
	v_cmp_eq_u16_e32 vcc, 0, v12
	v_cndmask_b32_e32 v11, v11, v16, vcc
	v_cndmask_b32_e32 v12, v14, v15, vcc
	v_lshlrev_b32_e32 v14, 8, v13
	v_mov_b32_e32 v15, 0x3b800000
	v_lshlrev_b32_e32 v11, 20, v11
	v_and_b32_e32 v14, 0x80000000, v14
	v_lshl_add_u32 v12, v12, 23, v15
	v_or3_b32 v12, v14, v12, v11
.LBB53_376:
	s_or_b64 exec, exec, s[6:7]
	s_nop 0
	v_mfma_f32_16x16x4f32 a[0:3], v10, v12, a[0:3]
	s_movk_i32 s4, 0x7f
	v_cmp_gt_i16_sdwa s[6:7], v17, s4 src0_sel:BYTE_3 src1_sel:DWORD
	s_mov_b64 s[4:5], 0
                                        ; implicit-def: $sgpr10
	s_and_saveexec_b64 s[8:9], s[6:7]
	s_xor_b64 s[6:7], exec, s[8:9]
	s_cbranch_execnz .LBB53_2425
; %bb.377:
	s_or_saveexec_b64 s[6:7], s[6:7]
	v_mov_b32_e32 v10, s10
	s_xor_b64 exec, exec, s[6:7]
	s_cbranch_execnz .LBB53_2428
.LBB53_378:
	s_or_b64 exec, exec, s[6:7]
	s_and_saveexec_b64 s[6:7], s[4:5]
	s_cbranch_execz .LBB53_380
.LBB53_379:
	v_bfe_u32 v10, v17, 24, 3
	v_ffbh_u32_e32 v15, v10
	v_min_u32_e32 v15, 32, v15
	v_lshrrev_b32_e32 v12, 27, v17
	v_subrev_u32_e32 v16, 28, v15
	v_and_b32_e32 v12, 15, v12
	v_lshlrev_b32_sdwa v16, v16, v17 dst_sel:DWORD dst_unused:UNUSED_PAD src0_sel:DWORD src1_sel:BYTE_3
	v_bfe_u32 v14, v17, 27, 4
	v_sub_u32_e32 v15, 29, v15
	v_and_b32_e32 v16, 7, v16
	v_cmp_eq_u16_e32 vcc, 0, v12
	v_cndmask_b32_e32 v10, v10, v16, vcc
	v_cndmask_b32_e32 v12, v14, v15, vcc
	v_mov_b32_e32 v14, 0x3b800000
	v_and_b32_e32 v11, 0x80000000, v17
	v_lshlrev_b32_e32 v10, 20, v10
	v_lshl_add_u32 v12, v12, 23, v14
	v_or3_b32 v10, v11, v12, v10
.LBB53_380:
	s_or_b64 exec, exec, s[6:7]
	s_movk_i32 s4, 0x7f
	v_cmp_gt_i16_sdwa s[6:7], v13, s4 src0_sel:BYTE_3 src1_sel:DWORD
	s_mov_b64 s[4:5], 0
                                        ; implicit-def: $sgpr10
	s_and_saveexec_b64 s[8:9], s[6:7]
	s_xor_b64 s[6:7], exec, s[8:9]
	s_cbranch_execnz .LBB53_2429
; %bb.381:
	s_or_saveexec_b64 s[6:7], s[6:7]
	v_mov_b32_e32 v11, s10
	s_xor_b64 exec, exec, s[6:7]
	s_cbranch_execnz .LBB53_2432
.LBB53_382:
	s_or_b64 exec, exec, s[6:7]
	s_and_saveexec_b64 s[6:7], s[4:5]
	s_cbranch_execz .LBB53_384
.LBB53_383:
	v_bfe_u32 v11, v13, 24, 3
	v_ffbh_u32_e32 v16, v11
	v_min_u32_e32 v16, 32, v16
	v_lshrrev_b32_e32 v14, 27, v13
	v_subrev_u32_e32 v17, 28, v16
	v_and_b32_e32 v12, 0x80000000, v13
	v_and_b32_e32 v14, 15, v14
	v_bfe_u32 v15, v13, 27, 4
	v_lshlrev_b32_sdwa v13, v17, v13 dst_sel:DWORD dst_unused:UNUSED_PAD src0_sel:DWORD src1_sel:BYTE_3
	v_sub_u32_e32 v16, 29, v16
	v_and_b32_e32 v13, 7, v13
	v_cmp_eq_u16_e32 vcc, 0, v14
	v_cndmask_b32_e32 v11, v11, v13, vcc
	v_cndmask_b32_e32 v13, v15, v16, vcc
	v_mov_b32_e32 v14, 0x3b800000
	v_lshlrev_b32_e32 v11, 20, v11
	v_lshl_add_u32 v13, v13, 23, v14
	v_or3_b32 v11, v12, v13, v11
.LBB53_384:
	s_or_b64 exec, exec, s[6:7]
	s_nop 0
	v_mfma_f32_16x16x4f32 a[0:3], v10, v11, a[0:3]
	s_movk_i32 s4, 0x7f
	v_cmp_gt_i16_sdwa s[6:7], v6, s4 src0_sel:BYTE_0 src1_sel:DWORD
	s_mov_b64 s[4:5], 0
                                        ; implicit-def: $sgpr10
	s_and_saveexec_b64 s[8:9], s[6:7]
	s_xor_b64 s[6:7], exec, s[8:9]
	s_cbranch_execnz .LBB53_2433
; %bb.385:
	s_or_saveexec_b64 s[6:7], s[6:7]
	v_mov_b32_e32 v10, s10
	s_xor_b64 exec, exec, s[6:7]
	s_cbranch_execnz .LBB53_2436
.LBB53_386:
	s_or_b64 exec, exec, s[6:7]
	s_and_saveexec_b64 s[6:7], s[4:5]
	s_cbranch_execz .LBB53_388
.LBB53_387:
	v_and_b32_e32 v10, 7, v6
	v_ffbh_u32_e32 v12, v10
	v_min_u32_e32 v12, 32, v12
	v_lshrrev_b16_e32 v11, 3, v6
	v_subrev_u32_e32 v13, 28, v12
	v_and_b32_e32 v11, 15, v11
	v_lshlrev_b32_e32 v13, v13, v6
	v_sub_u32_e32 v12, 29, v12
	v_and_b32_e32 v13, 7, v13
	v_cmp_eq_u16_e32 vcc, 0, v11
	v_cndmask_b32_e32 v10, v10, v13, vcc
	v_cndmask_b32_e32 v11, v11, v12, vcc
	v_lshlrev_b32_e32 v12, 24, v6
	v_mov_b32_e32 v13, 0x3b800000
	v_lshlrev_b32_e32 v10, 20, v10
	v_and_b32_e32 v12, 0x80000000, v12
	v_lshl_add_u32 v11, v11, 23, v13
	v_or3_b32 v10, v12, v11, v10
.LBB53_388:
	s_or_b64 exec, exec, s[6:7]
	s_movk_i32 s4, 0x7f
	v_cmp_gt_i16_sdwa s[6:7], v2, s4 src0_sel:BYTE_0 src1_sel:DWORD
	s_mov_b64 s[4:5], 0
                                        ; implicit-def: $sgpr10
	s_and_saveexec_b64 s[8:9], s[6:7]
	s_xor_b64 s[6:7], exec, s[8:9]
	s_cbranch_execnz .LBB53_2437
; %bb.389:
	s_or_saveexec_b64 s[6:7], s[6:7]
	v_mov_b32_e32 v11, s10
	s_xor_b64 exec, exec, s[6:7]
	s_cbranch_execnz .LBB53_2440
.LBB53_390:
	s_or_b64 exec, exec, s[6:7]
	s_and_saveexec_b64 s[6:7], s[4:5]
	s_cbranch_execz .LBB53_392
.LBB53_391:
	v_and_b32_e32 v11, 7, v2
	v_ffbh_u32_e32 v13, v11
	v_min_u32_e32 v13, 32, v13
	v_lshrrev_b16_e32 v12, 3, v2
	v_subrev_u32_e32 v14, 28, v13
	v_and_b32_e32 v12, 15, v12
	v_lshlrev_b32_e32 v14, v14, v2
	v_sub_u32_e32 v13, 29, v13
	v_and_b32_e32 v14, 7, v14
	v_cmp_eq_u16_e32 vcc, 0, v12
	v_cndmask_b32_e32 v11, v11, v14, vcc
	v_cndmask_b32_e32 v12, v12, v13, vcc
	v_lshlrev_b32_e32 v13, 24, v2
	v_mov_b32_e32 v14, 0x3b800000
	v_lshlrev_b32_e32 v11, 20, v11
	v_and_b32_e32 v13, 0x80000000, v13
	v_lshl_add_u32 v12, v12, 23, v14
	v_or3_b32 v11, v13, v12, v11
.LBB53_392:
	s_or_b64 exec, exec, s[6:7]
	s_nop 0
	v_mfma_f32_16x16x4f32 a[0:3], v10, v11, a[0:3]
	v_lshrrev_b32_e32 v11, 8, v6
	s_movk_i32 s4, 0x7f
	v_cmp_gt_i16_sdwa s[6:7], v11, s4 src0_sel:BYTE_0 src1_sel:DWORD
	s_mov_b64 s[4:5], 0
                                        ; implicit-def: $sgpr10
	s_and_saveexec_b64 s[8:9], s[6:7]
	s_xor_b64 s[6:7], exec, s[8:9]
	s_cbranch_execnz .LBB53_2441
; %bb.393:
	s_or_saveexec_b64 s[6:7], s[6:7]
	v_mov_b32_e32 v10, s10
	s_xor_b64 exec, exec, s[6:7]
	s_cbranch_execnz .LBB53_2444
.LBB53_394:
	s_or_b64 exec, exec, s[6:7]
	s_and_saveexec_b64 s[6:7], s[4:5]
	s_cbranch_execz .LBB53_396
.LBB53_395:
	v_bfe_u32 v10, v6, 8, 3
	v_ffbh_u32_e32 v13, v10
	v_min_u32_e32 v13, 32, v13
	v_lshrrev_b16_e32 v12, 3, v11
	v_subrev_u32_e32 v14, 28, v13
	v_and_b32_e32 v12, 15, v12
	v_lshlrev_b32_e32 v11, v14, v11
	v_sub_u32_e32 v13, 29, v13
	v_and_b32_e32 v11, 7, v11
	v_cmp_eq_u16_e32 vcc, 0, v12
	v_cndmask_b32_e32 v10, v10, v11, vcc
	v_cndmask_b32_e32 v11, v12, v13, vcc
	v_lshlrev_b32_e32 v12, 16, v6
	v_mov_b32_e32 v13, 0x3b800000
	v_lshlrev_b32_e32 v10, 20, v10
	v_and_b32_e32 v12, 0x80000000, v12
	v_lshl_add_u32 v11, v11, 23, v13
	v_or3_b32 v10, v12, v11, v10
.LBB53_396:
	s_or_b64 exec, exec, s[6:7]
	v_lshrrev_b32_e32 v11, 8, v2
	s_movk_i32 s4, 0x7f
	v_cmp_gt_i16_sdwa s[6:7], v11, s4 src0_sel:BYTE_0 src1_sel:DWORD
	s_mov_b64 s[4:5], 0
                                        ; implicit-def: $sgpr10
	s_and_saveexec_b64 s[8:9], s[6:7]
	s_xor_b64 s[6:7], exec, s[8:9]
	s_cbranch_execnz .LBB53_2445
; %bb.397:
	s_or_saveexec_b64 s[6:7], s[6:7]
	v_mov_b32_e32 v12, s10
	s_xor_b64 exec, exec, s[6:7]
	s_cbranch_execnz .LBB53_2448
.LBB53_398:
	s_or_b64 exec, exec, s[6:7]
	s_and_saveexec_b64 s[6:7], s[4:5]
	s_cbranch_execz .LBB53_400
.LBB53_399:
	v_bfe_u32 v12, v2, 8, 3
	v_ffbh_u32_e32 v14, v12
	v_min_u32_e32 v14, 32, v14
	v_lshrrev_b16_e32 v13, 3, v11
	v_subrev_u32_e32 v15, 28, v14
	v_and_b32_e32 v13, 15, v13
	v_lshlrev_b32_e32 v11, v15, v11
	v_sub_u32_e32 v14, 29, v14
	v_and_b32_e32 v11, 7, v11
	v_cmp_eq_u16_e32 vcc, 0, v13
	v_cndmask_b32_e32 v11, v12, v11, vcc
	v_cndmask_b32_e32 v12, v13, v14, vcc
	v_lshlrev_b32_e32 v13, 16, v2
	v_mov_b32_e32 v14, 0x3b800000
	v_lshlrev_b32_e32 v11, 20, v11
	v_and_b32_e32 v13, 0x80000000, v13
	v_lshl_add_u32 v12, v12, 23, v14
	v_or3_b32 v12, v13, v12, v11
.LBB53_400:
	s_or_b64 exec, exec, s[6:7]
	s_nop 0
	v_mfma_f32_16x16x4f32 a[0:3], v10, v12, a[0:3]
	s_movk_i32 s4, 0xff
	v_and_b32_sdwa v11, v6, s4 dst_sel:DWORD dst_unused:UNUSED_PAD src0_sel:WORD_1 src1_sel:DWORD
	s_movk_i32 s4, 0x7f
	v_cmp_lt_i16_e32 vcc, s4, v11
	s_mov_b64 s[4:5], 0
                                        ; implicit-def: $sgpr10
	s_and_saveexec_b64 s[6:7], vcc
	s_xor_b64 s[6:7], exec, s[6:7]
	s_cbranch_execnz .LBB53_2449
; %bb.401:
	s_or_saveexec_b64 s[6:7], s[6:7]
	v_mov_b32_e32 v10, s10
	s_xor_b64 exec, exec, s[6:7]
	s_cbranch_execnz .LBB53_2452
.LBB53_402:
	s_or_b64 exec, exec, s[6:7]
	s_and_saveexec_b64 s[6:7], s[4:5]
	s_cbranch_execz .LBB53_404
.LBB53_403:
	v_bfe_u32 v10, v6, 16, 3
	v_ffbh_u32_e32 v13, v10
	v_min_u32_e32 v13, 32, v13
	v_lshrrev_b32_e32 v11, 19, v6
	v_subrev_u32_e32 v14, 28, v13
	v_and_b32_e32 v11, 15, v11
	v_lshlrev_b32_sdwa v14, v14, v6 dst_sel:DWORD dst_unused:UNUSED_PAD src0_sel:DWORD src1_sel:WORD_1
	v_bfe_u32 v12, v6, 19, 4
	v_sub_u32_e32 v13, 29, v13
	v_and_b32_e32 v14, 7, v14
	v_cmp_eq_u16_e32 vcc, 0, v11
	v_cndmask_b32_e32 v10, v10, v14, vcc
	v_cndmask_b32_e32 v11, v12, v13, vcc
	v_lshlrev_b32_e32 v12, 8, v6
	v_mov_b32_e32 v13, 0x3b800000
	v_lshlrev_b32_e32 v10, 20, v10
	v_and_b32_e32 v12, 0x80000000, v12
	v_lshl_add_u32 v11, v11, 23, v13
	v_or3_b32 v10, v12, v11, v10
.LBB53_404:
	s_or_b64 exec, exec, s[6:7]
	s_movk_i32 s4, 0xff
	v_and_b32_sdwa v11, v2, s4 dst_sel:DWORD dst_unused:UNUSED_PAD src0_sel:WORD_1 src1_sel:DWORD
	s_movk_i32 s4, 0x7f
	v_cmp_lt_i16_e32 vcc, s4, v11
	s_mov_b64 s[4:5], 0
                                        ; implicit-def: $sgpr10
	s_and_saveexec_b64 s[6:7], vcc
	s_xor_b64 s[6:7], exec, s[6:7]
	s_cbranch_execnz .LBB53_2453
; %bb.405:
	s_or_saveexec_b64 s[6:7], s[6:7]
	v_mov_b32_e32 v12, s10
	s_xor_b64 exec, exec, s[6:7]
	s_cbranch_execnz .LBB53_2456
.LBB53_406:
	s_or_b64 exec, exec, s[6:7]
	s_and_saveexec_b64 s[6:7], s[4:5]
	s_cbranch_execz .LBB53_408
.LBB53_407:
	v_bfe_u32 v11, v2, 16, 3
	v_ffbh_u32_e32 v14, v11
	v_min_u32_e32 v14, 32, v14
	v_lshrrev_b32_e32 v12, 19, v2
	v_subrev_u32_e32 v15, 28, v14
	v_and_b32_e32 v12, 15, v12
	v_lshlrev_b32_sdwa v15, v15, v2 dst_sel:DWORD dst_unused:UNUSED_PAD src0_sel:DWORD src1_sel:WORD_1
	v_bfe_u32 v13, v2, 19, 4
	v_sub_u32_e32 v14, 29, v14
	v_and_b32_e32 v15, 7, v15
	v_cmp_eq_u16_e32 vcc, 0, v12
	v_cndmask_b32_e32 v11, v11, v15, vcc
	v_cndmask_b32_e32 v12, v13, v14, vcc
	v_lshlrev_b32_e32 v13, 8, v2
	v_mov_b32_e32 v14, 0x3b800000
	v_lshlrev_b32_e32 v11, 20, v11
	v_and_b32_e32 v13, 0x80000000, v13
	v_lshl_add_u32 v12, v12, 23, v14
	v_or3_b32 v12, v13, v12, v11
.LBB53_408:
	s_or_b64 exec, exec, s[6:7]
	s_nop 0
	v_mfma_f32_16x16x4f32 a[0:3], v10, v12, a[0:3]
	s_movk_i32 s4, 0x7f
	v_cmp_gt_i16_sdwa s[6:7], v6, s4 src0_sel:BYTE_3 src1_sel:DWORD
	s_mov_b64 s[4:5], 0
                                        ; implicit-def: $sgpr10
	s_and_saveexec_b64 s[8:9], s[6:7]
	s_xor_b64 s[6:7], exec, s[8:9]
	s_cbranch_execnz .LBB53_2457
; %bb.409:
	s_or_saveexec_b64 s[6:7], s[6:7]
	v_mov_b32_e32 v10, s10
	s_xor_b64 exec, exec, s[6:7]
	s_cbranch_execnz .LBB53_2460
.LBB53_410:
	s_or_b64 exec, exec, s[6:7]
	s_and_saveexec_b64 s[6:7], s[4:5]
	s_cbranch_execz .LBB53_412
.LBB53_411:
	v_bfe_u32 v10, v6, 24, 3
	v_ffbh_u32_e32 v14, v10
	v_min_u32_e32 v14, 32, v14
	v_lshrrev_b32_e32 v12, 27, v6
	v_subrev_u32_e32 v15, 28, v14
	v_and_b32_e32 v11, 0x80000000, v6
	v_and_b32_e32 v12, 15, v12
	v_bfe_u32 v13, v6, 27, 4
	v_lshlrev_b32_sdwa v6, v15, v6 dst_sel:DWORD dst_unused:UNUSED_PAD src0_sel:DWORD src1_sel:BYTE_3
	v_sub_u32_e32 v14, 29, v14
	v_and_b32_e32 v6, 7, v6
	v_cmp_eq_u16_e32 vcc, 0, v12
	v_cndmask_b32_e32 v6, v10, v6, vcc
	v_cndmask_b32_e32 v10, v13, v14, vcc
	v_mov_b32_e32 v12, 0x3b800000
	v_lshlrev_b32_e32 v6, 20, v6
	v_lshl_add_u32 v10, v10, 23, v12
	v_or3_b32 v10, v11, v10, v6
.LBB53_412:
	s_or_b64 exec, exec, s[6:7]
	s_movk_i32 s4, 0x7f
	v_cmp_gt_i16_sdwa s[6:7], v2, s4 src0_sel:BYTE_3 src1_sel:DWORD
	s_mov_b64 s[4:5], 0
                                        ; implicit-def: $sgpr10
	s_and_saveexec_b64 s[8:9], s[6:7]
	s_xor_b64 s[6:7], exec, s[8:9]
	s_cbranch_execnz .LBB53_2461
; %bb.413:
	s_or_saveexec_b64 s[6:7], s[6:7]
	v_mov_b32_e32 v6, s10
	s_xor_b64 exec, exec, s[6:7]
	s_cbranch_execnz .LBB53_2464
.LBB53_414:
	s_or_b64 exec, exec, s[6:7]
	s_and_saveexec_b64 s[6:7], s[4:5]
	s_cbranch_execz .LBB53_416
.LBB53_415:
	v_bfe_u32 v6, v2, 24, 3
	v_ffbh_u32_e32 v14, v6
	v_min_u32_e32 v14, 32, v14
	v_lshrrev_b32_e32 v12, 27, v2
	v_subrev_u32_e32 v15, 28, v14
	v_and_b32_e32 v11, 0x80000000, v2
	v_and_b32_e32 v12, 15, v12
	v_bfe_u32 v13, v2, 27, 4
	v_lshlrev_b32_sdwa v2, v15, v2 dst_sel:DWORD dst_unused:UNUSED_PAD src0_sel:DWORD src1_sel:BYTE_3
	v_sub_u32_e32 v14, 29, v14
	v_and_b32_e32 v2, 7, v2
	v_cmp_eq_u16_e32 vcc, 0, v12
	v_cndmask_b32_e32 v2, v6, v2, vcc
	v_cndmask_b32_e32 v6, v13, v14, vcc
	v_mov_b32_e32 v12, 0x3b800000
	v_lshlrev_b32_e32 v2, 20, v2
	v_lshl_add_u32 v6, v6, 23, v12
	v_or3_b32 v6, v11, v6, v2
.LBB53_416:
	s_or_b64 exec, exec, s[6:7]
	s_nop 0
	v_mfma_f32_16x16x4f32 a[0:3], v10, v6, a[0:3]
	s_movk_i32 s4, 0x7f
	v_cmp_gt_i16_sdwa s[6:7], v7, s4 src0_sel:BYTE_0 src1_sel:DWORD
	s_mov_b64 s[4:5], 0
                                        ; implicit-def: $sgpr10
	s_and_saveexec_b64 s[8:9], s[6:7]
	s_xor_b64 s[6:7], exec, s[8:9]
	s_cbranch_execnz .LBB53_2465
; %bb.417:
	s_or_saveexec_b64 s[6:7], s[6:7]
	v_mov_b32_e32 v2, s10
	s_xor_b64 exec, exec, s[6:7]
	s_cbranch_execnz .LBB53_2468
.LBB53_418:
	s_or_b64 exec, exec, s[6:7]
	s_and_saveexec_b64 s[6:7], s[4:5]
	s_cbranch_execz .LBB53_420
.LBB53_419:
	v_and_b32_e32 v2, 7, v7
	v_ffbh_u32_e32 v10, v2
	v_min_u32_e32 v10, 32, v10
	v_lshrrev_b16_e32 v6, 3, v7
	v_subrev_u32_e32 v11, 28, v10
	v_and_b32_e32 v6, 15, v6
	v_lshlrev_b32_e32 v11, v11, v7
	v_sub_u32_e32 v10, 29, v10
	v_and_b32_e32 v11, 7, v11
	v_cmp_eq_u16_e32 vcc, 0, v6
	v_cndmask_b32_e32 v2, v2, v11, vcc
	v_cndmask_b32_e32 v6, v6, v10, vcc
	v_lshlrev_b32_e32 v10, 24, v7
	v_mov_b32_e32 v11, 0x3b800000
	v_lshlrev_b32_e32 v2, 20, v2
	v_and_b32_e32 v10, 0x80000000, v10
	v_lshl_add_u32 v6, v6, 23, v11
	v_or3_b32 v2, v10, v6, v2
.LBB53_420:
	s_or_b64 exec, exec, s[6:7]
	s_movk_i32 s4, 0x7f
	v_cmp_gt_i16_sdwa s[6:7], v3, s4 src0_sel:BYTE_0 src1_sel:DWORD
	s_mov_b64 s[4:5], 0
                                        ; implicit-def: $sgpr10
	s_and_saveexec_b64 s[8:9], s[6:7]
	s_xor_b64 s[6:7], exec, s[8:9]
	s_cbranch_execnz .LBB53_2469
; %bb.421:
	s_or_saveexec_b64 s[6:7], s[6:7]
	v_mov_b32_e32 v6, s10
	s_xor_b64 exec, exec, s[6:7]
	s_cbranch_execnz .LBB53_2472
.LBB53_422:
	s_or_b64 exec, exec, s[6:7]
	s_and_saveexec_b64 s[6:7], s[4:5]
	s_cbranch_execz .LBB53_424
.LBB53_423:
	v_and_b32_e32 v6, 7, v3
	v_ffbh_u32_e32 v11, v6
	v_min_u32_e32 v11, 32, v11
	v_lshrrev_b16_e32 v10, 3, v3
	v_subrev_u32_e32 v12, 28, v11
	v_and_b32_e32 v10, 15, v10
	v_lshlrev_b32_e32 v12, v12, v3
	v_sub_u32_e32 v11, 29, v11
	v_and_b32_e32 v12, 7, v12
	v_cmp_eq_u16_e32 vcc, 0, v10
	v_cndmask_b32_e32 v6, v6, v12, vcc
	v_cndmask_b32_e32 v10, v10, v11, vcc
	v_lshlrev_b32_e32 v11, 24, v3
	v_mov_b32_e32 v12, 0x3b800000
	v_lshlrev_b32_e32 v6, 20, v6
	v_and_b32_e32 v11, 0x80000000, v11
	v_lshl_add_u32 v10, v10, 23, v12
	v_or3_b32 v6, v11, v10, v6
.LBB53_424:
	s_or_b64 exec, exec, s[6:7]
	s_nop 0
	v_mfma_f32_16x16x4f32 a[0:3], v2, v6, a[0:3]
	v_lshrrev_b32_e32 v6, 8, v7
	s_movk_i32 s4, 0x7f
	v_cmp_gt_i16_sdwa s[6:7], v6, s4 src0_sel:BYTE_0 src1_sel:DWORD
	s_mov_b64 s[4:5], 0
                                        ; implicit-def: $sgpr10
	s_and_saveexec_b64 s[8:9], s[6:7]
	s_xor_b64 s[6:7], exec, s[8:9]
	s_cbranch_execnz .LBB53_2473
; %bb.425:
	s_or_saveexec_b64 s[6:7], s[6:7]
	v_mov_b32_e32 v2, s10
	s_xor_b64 exec, exec, s[6:7]
	s_cbranch_execnz .LBB53_2476
.LBB53_426:
	s_or_b64 exec, exec, s[6:7]
	s_and_saveexec_b64 s[6:7], s[4:5]
	s_cbranch_execz .LBB53_428
.LBB53_427:
	v_bfe_u32 v2, v7, 8, 3
	v_ffbh_u32_e32 v11, v2
	v_min_u32_e32 v11, 32, v11
	v_lshrrev_b16_e32 v10, 3, v6
	v_subrev_u32_e32 v12, 28, v11
	v_and_b32_e32 v10, 15, v10
	v_lshlrev_b32_e32 v6, v12, v6
	v_sub_u32_e32 v11, 29, v11
	v_and_b32_e32 v6, 7, v6
	v_cmp_eq_u16_e32 vcc, 0, v10
	v_cndmask_b32_e32 v2, v2, v6, vcc
	v_cndmask_b32_e32 v6, v10, v11, vcc
	v_lshlrev_b32_e32 v10, 16, v7
	v_mov_b32_e32 v11, 0x3b800000
	v_lshlrev_b32_e32 v2, 20, v2
	v_and_b32_e32 v10, 0x80000000, v10
	v_lshl_add_u32 v6, v6, 23, v11
	v_or3_b32 v2, v10, v6, v2
.LBB53_428:
	s_or_b64 exec, exec, s[6:7]
	v_lshrrev_b32_e32 v6, 8, v3
	s_movk_i32 s4, 0x7f
	v_cmp_gt_i16_sdwa s[6:7], v6, s4 src0_sel:BYTE_0 src1_sel:DWORD
	s_mov_b64 s[4:5], 0
                                        ; implicit-def: $sgpr10
	s_and_saveexec_b64 s[8:9], s[6:7]
	s_xor_b64 s[6:7], exec, s[8:9]
	s_cbranch_execnz .LBB53_2477
; %bb.429:
	s_or_saveexec_b64 s[6:7], s[6:7]
	v_mov_b32_e32 v10, s10
	s_xor_b64 exec, exec, s[6:7]
	s_cbranch_execnz .LBB53_2480
.LBB53_430:
	s_or_b64 exec, exec, s[6:7]
	s_and_saveexec_b64 s[6:7], s[4:5]
	s_cbranch_execz .LBB53_432
.LBB53_431:
	v_bfe_u32 v10, v3, 8, 3
	v_ffbh_u32_e32 v12, v10
	v_min_u32_e32 v12, 32, v12
	v_lshrrev_b16_e32 v11, 3, v6
	v_subrev_u32_e32 v13, 28, v12
	v_and_b32_e32 v11, 15, v11
	v_lshlrev_b32_e32 v6, v13, v6
	v_sub_u32_e32 v12, 29, v12
	v_and_b32_e32 v6, 7, v6
	v_cmp_eq_u16_e32 vcc, 0, v11
	v_cndmask_b32_e32 v6, v10, v6, vcc
	v_cndmask_b32_e32 v10, v11, v12, vcc
	v_lshlrev_b32_e32 v11, 16, v3
	v_mov_b32_e32 v12, 0x3b800000
	v_lshlrev_b32_e32 v6, 20, v6
	v_and_b32_e32 v11, 0x80000000, v11
	v_lshl_add_u32 v10, v10, 23, v12
	v_or3_b32 v10, v11, v10, v6
.LBB53_432:
	s_or_b64 exec, exec, s[6:7]
	s_nop 0
	v_mfma_f32_16x16x4f32 a[0:3], v2, v10, a[0:3]
	s_movk_i32 s4, 0xff
	v_and_b32_sdwa v6, v7, s4 dst_sel:DWORD dst_unused:UNUSED_PAD src0_sel:WORD_1 src1_sel:DWORD
	s_movk_i32 s4, 0x7f
	v_cmp_lt_i16_e32 vcc, s4, v6
	s_mov_b64 s[4:5], 0
                                        ; implicit-def: $sgpr10
	s_and_saveexec_b64 s[6:7], vcc
	s_xor_b64 s[6:7], exec, s[6:7]
	s_cbranch_execnz .LBB53_2481
; %bb.433:
	s_or_saveexec_b64 s[6:7], s[6:7]
	v_mov_b32_e32 v2, s10
	s_xor_b64 exec, exec, s[6:7]
	s_cbranch_execnz .LBB53_2484
.LBB53_434:
	s_or_b64 exec, exec, s[6:7]
	s_and_saveexec_b64 s[6:7], s[4:5]
	s_cbranch_execz .LBB53_436
.LBB53_435:
	v_bfe_u32 v2, v7, 16, 3
	v_ffbh_u32_e32 v11, v2
	v_min_u32_e32 v11, 32, v11
	v_lshrrev_b32_e32 v6, 19, v7
	v_subrev_u32_e32 v12, 28, v11
	v_and_b32_e32 v6, 15, v6
	v_lshlrev_b32_sdwa v12, v12, v7 dst_sel:DWORD dst_unused:UNUSED_PAD src0_sel:DWORD src1_sel:WORD_1
	v_bfe_u32 v10, v7, 19, 4
	v_sub_u32_e32 v11, 29, v11
	v_and_b32_e32 v12, 7, v12
	v_cmp_eq_u16_e32 vcc, 0, v6
	v_cndmask_b32_e32 v2, v2, v12, vcc
	v_cndmask_b32_e32 v6, v10, v11, vcc
	v_lshlrev_b32_e32 v10, 8, v7
	v_mov_b32_e32 v11, 0x3b800000
	v_lshlrev_b32_e32 v2, 20, v2
	v_and_b32_e32 v10, 0x80000000, v10
	v_lshl_add_u32 v6, v6, 23, v11
	v_or3_b32 v2, v10, v6, v2
.LBB53_436:
	s_or_b64 exec, exec, s[6:7]
	s_movk_i32 s4, 0xff
	v_and_b32_sdwa v6, v3, s4 dst_sel:DWORD dst_unused:UNUSED_PAD src0_sel:WORD_1 src1_sel:DWORD
	s_movk_i32 s4, 0x7f
	v_cmp_lt_i16_e32 vcc, s4, v6
	s_mov_b64 s[4:5], 0
                                        ; implicit-def: $sgpr10
	s_and_saveexec_b64 s[6:7], vcc
	s_xor_b64 s[6:7], exec, s[6:7]
	s_cbranch_execnz .LBB53_2485
; %bb.437:
	s_or_saveexec_b64 s[6:7], s[6:7]
	v_mov_b32_e32 v10, s10
	s_xor_b64 exec, exec, s[6:7]
	s_cbranch_execnz .LBB53_2488
.LBB53_438:
	s_or_b64 exec, exec, s[6:7]
	s_and_saveexec_b64 s[6:7], s[4:5]
	s_cbranch_execz .LBB53_440
.LBB53_439:
	v_bfe_u32 v6, v3, 16, 3
	v_ffbh_u32_e32 v12, v6
	v_min_u32_e32 v12, 32, v12
	v_lshrrev_b32_e32 v10, 19, v3
	v_subrev_u32_e32 v13, 28, v12
	v_and_b32_e32 v10, 15, v10
	v_lshlrev_b32_sdwa v13, v13, v3 dst_sel:DWORD dst_unused:UNUSED_PAD src0_sel:DWORD src1_sel:WORD_1
	v_bfe_u32 v11, v3, 19, 4
	v_sub_u32_e32 v12, 29, v12
	v_and_b32_e32 v13, 7, v13
	v_cmp_eq_u16_e32 vcc, 0, v10
	v_cndmask_b32_e32 v6, v6, v13, vcc
	v_cndmask_b32_e32 v10, v11, v12, vcc
	v_lshlrev_b32_e32 v11, 8, v3
	v_mov_b32_e32 v12, 0x3b800000
	v_lshlrev_b32_e32 v6, 20, v6
	v_and_b32_e32 v11, 0x80000000, v11
	v_lshl_add_u32 v10, v10, 23, v12
	v_or3_b32 v10, v11, v10, v6
.LBB53_440:
	s_or_b64 exec, exec, s[6:7]
	s_nop 0
	v_mfma_f32_16x16x4f32 a[0:3], v2, v10, a[0:3]
	s_movk_i32 s4, 0x7f
	v_cmp_gt_i16_sdwa s[6:7], v7, s4 src0_sel:BYTE_3 src1_sel:DWORD
	s_mov_b64 s[4:5], 0
                                        ; implicit-def: $sgpr10
	s_and_saveexec_b64 s[8:9], s[6:7]
	s_xor_b64 s[6:7], exec, s[8:9]
	s_cbranch_execnz .LBB53_2489
; %bb.441:
	s_or_saveexec_b64 s[6:7], s[6:7]
	v_mov_b32_e32 v2, s10
	s_xor_b64 exec, exec, s[6:7]
	s_cbranch_execnz .LBB53_2492
.LBB53_442:
	s_or_b64 exec, exec, s[6:7]
	s_and_saveexec_b64 s[6:7], s[4:5]
	s_cbranch_execz .LBB53_444
.LBB53_443:
	v_bfe_u32 v2, v7, 24, 3
	v_ffbh_u32_e32 v12, v2
	v_min_u32_e32 v12, 32, v12
	v_lshrrev_b32_e32 v10, 27, v7
	v_subrev_u32_e32 v13, 28, v12
	v_and_b32_e32 v6, 0x80000000, v7
	v_and_b32_e32 v10, 15, v10
	v_bfe_u32 v11, v7, 27, 4
	v_lshlrev_b32_sdwa v7, v13, v7 dst_sel:DWORD dst_unused:UNUSED_PAD src0_sel:DWORD src1_sel:BYTE_3
	v_sub_u32_e32 v12, 29, v12
	v_and_b32_e32 v7, 7, v7
	v_cmp_eq_u16_e32 vcc, 0, v10
	v_cndmask_b32_e32 v2, v2, v7, vcc
	v_cndmask_b32_e32 v7, v11, v12, vcc
	v_mov_b32_e32 v10, 0x3b800000
	v_lshlrev_b32_e32 v2, 20, v2
	v_lshl_add_u32 v7, v7, 23, v10
	v_or3_b32 v2, v6, v7, v2
.LBB53_444:
	s_or_b64 exec, exec, s[6:7]
	s_movk_i32 s4, 0x7f
	v_cmp_gt_i16_sdwa s[6:7], v3, s4 src0_sel:BYTE_3 src1_sel:DWORD
	s_mov_b64 s[4:5], 0
                                        ; implicit-def: $sgpr10
	s_and_saveexec_b64 s[8:9], s[6:7]
	s_xor_b64 s[6:7], exec, s[8:9]
	s_cbranch_execnz .LBB53_2493
; %bb.445:
	s_or_saveexec_b64 s[6:7], s[6:7]
	v_mov_b32_e32 v6, s10
	s_xor_b64 exec, exec, s[6:7]
	s_cbranch_execnz .LBB53_2496
.LBB53_446:
	s_or_b64 exec, exec, s[6:7]
	s_and_saveexec_b64 s[6:7], s[4:5]
	s_cbranch_execz .LBB53_448
.LBB53_447:
	v_bfe_u32 v6, v3, 24, 3
	v_ffbh_u32_e32 v12, v6
	v_min_u32_e32 v12, 32, v12
	v_lshrrev_b32_e32 v10, 27, v3
	v_subrev_u32_e32 v13, 28, v12
	v_and_b32_e32 v7, 0x80000000, v3
	v_and_b32_e32 v10, 15, v10
	v_bfe_u32 v11, v3, 27, 4
	v_lshlrev_b32_sdwa v3, v13, v3 dst_sel:DWORD dst_unused:UNUSED_PAD src0_sel:DWORD src1_sel:BYTE_3
	v_sub_u32_e32 v12, 29, v12
	v_and_b32_e32 v3, 7, v3
	v_cmp_eq_u16_e32 vcc, 0, v10
	v_cndmask_b32_e32 v3, v6, v3, vcc
	v_cndmask_b32_e32 v6, v11, v12, vcc
	v_mov_b32_e32 v10, 0x3b800000
	v_lshlrev_b32_e32 v3, 20, v3
	v_lshl_add_u32 v6, v6, 23, v10
	v_or3_b32 v6, v7, v6, v3
.LBB53_448:
	s_or_b64 exec, exec, s[6:7]
	s_nop 0
	v_mfma_f32_16x16x4f32 a[0:3], v2, v6, a[0:3]
	s_movk_i32 s4, 0x7f
	v_cmp_gt_i16_sdwa s[6:7], v8, s4 src0_sel:BYTE_0 src1_sel:DWORD
	s_mov_b64 s[4:5], 0
                                        ; implicit-def: $sgpr10
	s_and_saveexec_b64 s[8:9], s[6:7]
	s_xor_b64 s[6:7], exec, s[8:9]
	s_cbranch_execnz .LBB53_2497
; %bb.449:
	s_or_saveexec_b64 s[6:7], s[6:7]
	v_mov_b32_e32 v2, s10
	s_xor_b64 exec, exec, s[6:7]
	s_cbranch_execnz .LBB53_2500
.LBB53_450:
	s_or_b64 exec, exec, s[6:7]
	s_and_saveexec_b64 s[6:7], s[4:5]
	s_cbranch_execz .LBB53_452
.LBB53_451:
	v_and_b32_e32 v2, 7, v8
	v_ffbh_u32_e32 v6, v2
	v_min_u32_e32 v6, 32, v6
	v_lshrrev_b16_e32 v3, 3, v8
	v_subrev_u32_e32 v7, 28, v6
	v_and_b32_e32 v3, 15, v3
	v_lshlrev_b32_e32 v7, v7, v8
	v_sub_u32_e32 v6, 29, v6
	v_and_b32_e32 v7, 7, v7
	v_cmp_eq_u16_e32 vcc, 0, v3
	v_cndmask_b32_e32 v2, v2, v7, vcc
	v_cndmask_b32_e32 v3, v3, v6, vcc
	v_lshlrev_b32_e32 v6, 24, v8
	v_mov_b32_e32 v7, 0x3b800000
	v_lshlrev_b32_e32 v2, 20, v2
	v_and_b32_e32 v6, 0x80000000, v6
	v_lshl_add_u32 v3, v3, 23, v7
	v_or3_b32 v2, v6, v3, v2
.LBB53_452:
	s_or_b64 exec, exec, s[6:7]
	s_movk_i32 s4, 0x7f
	v_cmp_gt_i16_sdwa s[6:7], v4, s4 src0_sel:BYTE_0 src1_sel:DWORD
	s_mov_b64 s[4:5], 0
                                        ; implicit-def: $sgpr10
	s_and_saveexec_b64 s[8:9], s[6:7]
	s_xor_b64 s[6:7], exec, s[8:9]
	s_cbranch_execnz .LBB53_2501
; %bb.453:
	s_or_saveexec_b64 s[6:7], s[6:7]
	v_mov_b32_e32 v3, s10
	s_xor_b64 exec, exec, s[6:7]
	s_cbranch_execnz .LBB53_2504
.LBB53_454:
	s_or_b64 exec, exec, s[6:7]
	s_and_saveexec_b64 s[6:7], s[4:5]
	s_cbranch_execz .LBB53_456
.LBB53_455:
	v_and_b32_e32 v3, 7, v4
	v_ffbh_u32_e32 v7, v3
	v_min_u32_e32 v7, 32, v7
	v_lshrrev_b16_e32 v6, 3, v4
	v_subrev_u32_e32 v10, 28, v7
	v_and_b32_e32 v6, 15, v6
	v_lshlrev_b32_e32 v10, v10, v4
	v_sub_u32_e32 v7, 29, v7
	v_and_b32_e32 v10, 7, v10
	v_cmp_eq_u16_e32 vcc, 0, v6
	v_cndmask_b32_e32 v3, v3, v10, vcc
	v_cndmask_b32_e32 v6, v6, v7, vcc
	v_lshlrev_b32_e32 v7, 24, v4
	v_mov_b32_e32 v10, 0x3b800000
	v_lshlrev_b32_e32 v3, 20, v3
	v_and_b32_e32 v7, 0x80000000, v7
	v_lshl_add_u32 v6, v6, 23, v10
	v_or3_b32 v3, v7, v6, v3
.LBB53_456:
	s_or_b64 exec, exec, s[6:7]
	s_nop 0
	v_mfma_f32_16x16x4f32 a[0:3], v2, v3, a[0:3]
	v_lshrrev_b32_e32 v3, 8, v8
	s_movk_i32 s4, 0x7f
	v_cmp_gt_i16_sdwa s[6:7], v3, s4 src0_sel:BYTE_0 src1_sel:DWORD
	s_mov_b64 s[4:5], 0
                                        ; implicit-def: $sgpr10
	s_and_saveexec_b64 s[8:9], s[6:7]
	s_xor_b64 s[6:7], exec, s[8:9]
	s_cbranch_execnz .LBB53_2505
; %bb.457:
	s_or_saveexec_b64 s[6:7], s[6:7]
	v_mov_b32_e32 v2, s10
	s_xor_b64 exec, exec, s[6:7]
	s_cbranch_execnz .LBB53_2508
.LBB53_458:
	s_or_b64 exec, exec, s[6:7]
	s_and_saveexec_b64 s[6:7], s[4:5]
	s_cbranch_execz .LBB53_460
.LBB53_459:
	v_bfe_u32 v2, v8, 8, 3
	v_ffbh_u32_e32 v7, v2
	v_min_u32_e32 v7, 32, v7
	v_lshrrev_b16_e32 v6, 3, v3
	v_subrev_u32_e32 v10, 28, v7
	v_and_b32_e32 v6, 15, v6
	v_lshlrev_b32_e32 v3, v10, v3
	v_sub_u32_e32 v7, 29, v7
	v_and_b32_e32 v3, 7, v3
	v_cmp_eq_u16_e32 vcc, 0, v6
	v_cndmask_b32_e32 v2, v2, v3, vcc
	v_cndmask_b32_e32 v3, v6, v7, vcc
	v_lshlrev_b32_e32 v6, 16, v8
	v_mov_b32_e32 v7, 0x3b800000
	v_lshlrev_b32_e32 v2, 20, v2
	v_and_b32_e32 v6, 0x80000000, v6
	v_lshl_add_u32 v3, v3, 23, v7
	v_or3_b32 v2, v6, v3, v2
.LBB53_460:
	s_or_b64 exec, exec, s[6:7]
	v_lshrrev_b32_e32 v3, 8, v4
	s_movk_i32 s4, 0x7f
	v_cmp_gt_i16_sdwa s[6:7], v3, s4 src0_sel:BYTE_0 src1_sel:DWORD
	s_mov_b64 s[4:5], 0
                                        ; implicit-def: $sgpr10
	s_and_saveexec_b64 s[8:9], s[6:7]
	s_xor_b64 s[6:7], exec, s[8:9]
	s_cbranch_execnz .LBB53_2509
; %bb.461:
	s_or_saveexec_b64 s[6:7], s[6:7]
	v_mov_b32_e32 v6, s10
	s_xor_b64 exec, exec, s[6:7]
	s_cbranch_execnz .LBB53_2512
.LBB53_462:
	s_or_b64 exec, exec, s[6:7]
	s_and_saveexec_b64 s[6:7], s[4:5]
	s_cbranch_execz .LBB53_464
.LBB53_463:
	v_bfe_u32 v6, v4, 8, 3
	v_ffbh_u32_e32 v10, v6
	v_min_u32_e32 v10, 32, v10
	v_lshrrev_b16_e32 v7, 3, v3
	v_subrev_u32_e32 v11, 28, v10
	v_and_b32_e32 v7, 15, v7
	v_lshlrev_b32_e32 v3, v11, v3
	v_sub_u32_e32 v10, 29, v10
	v_and_b32_e32 v3, 7, v3
	v_cmp_eq_u16_e32 vcc, 0, v7
	v_cndmask_b32_e32 v3, v6, v3, vcc
	v_cndmask_b32_e32 v6, v7, v10, vcc
	v_lshlrev_b32_e32 v7, 16, v4
	v_mov_b32_e32 v10, 0x3b800000
	v_lshlrev_b32_e32 v3, 20, v3
	v_and_b32_e32 v7, 0x80000000, v7
	v_lshl_add_u32 v6, v6, 23, v10
	v_or3_b32 v6, v7, v6, v3
.LBB53_464:
	s_or_b64 exec, exec, s[6:7]
	s_nop 0
	v_mfma_f32_16x16x4f32 a[0:3], v2, v6, a[0:3]
	s_movk_i32 s4, 0xff
	v_and_b32_sdwa v3, v8, s4 dst_sel:DWORD dst_unused:UNUSED_PAD src0_sel:WORD_1 src1_sel:DWORD
	s_movk_i32 s4, 0x7f
	v_cmp_lt_i16_e32 vcc, s4, v3
	s_mov_b64 s[4:5], 0
                                        ; implicit-def: $sgpr10
	s_and_saveexec_b64 s[6:7], vcc
	s_xor_b64 s[6:7], exec, s[6:7]
	s_cbranch_execnz .LBB53_2513
; %bb.465:
	s_or_saveexec_b64 s[6:7], s[6:7]
	v_mov_b32_e32 v2, s10
	s_xor_b64 exec, exec, s[6:7]
	s_cbranch_execnz .LBB53_2516
.LBB53_466:
	s_or_b64 exec, exec, s[6:7]
	s_and_saveexec_b64 s[6:7], s[4:5]
	s_cbranch_execz .LBB53_468
.LBB53_467:
	v_bfe_u32 v2, v8, 16, 3
	v_ffbh_u32_e32 v7, v2
	v_min_u32_e32 v7, 32, v7
	v_lshrrev_b32_e32 v3, 19, v8
	v_subrev_u32_e32 v10, 28, v7
	v_and_b32_e32 v3, 15, v3
	v_lshlrev_b32_sdwa v10, v10, v8 dst_sel:DWORD dst_unused:UNUSED_PAD src0_sel:DWORD src1_sel:WORD_1
	v_bfe_u32 v6, v8, 19, 4
	v_sub_u32_e32 v7, 29, v7
	v_and_b32_e32 v10, 7, v10
	v_cmp_eq_u16_e32 vcc, 0, v3
	v_cndmask_b32_e32 v2, v2, v10, vcc
	v_cndmask_b32_e32 v3, v6, v7, vcc
	v_lshlrev_b32_e32 v6, 8, v8
	v_mov_b32_e32 v7, 0x3b800000
	v_lshlrev_b32_e32 v2, 20, v2
	v_and_b32_e32 v6, 0x80000000, v6
	v_lshl_add_u32 v3, v3, 23, v7
	v_or3_b32 v2, v6, v3, v2
.LBB53_468:
	s_or_b64 exec, exec, s[6:7]
	s_movk_i32 s4, 0xff
	v_and_b32_sdwa v3, v4, s4 dst_sel:DWORD dst_unused:UNUSED_PAD src0_sel:WORD_1 src1_sel:DWORD
	s_movk_i32 s4, 0x7f
	v_cmp_lt_i16_e32 vcc, s4, v3
	s_mov_b64 s[4:5], 0
                                        ; implicit-def: $sgpr10
	s_and_saveexec_b64 s[6:7], vcc
	s_xor_b64 s[6:7], exec, s[6:7]
	s_cbranch_execnz .LBB53_2517
; %bb.469:
	s_or_saveexec_b64 s[6:7], s[6:7]
	v_mov_b32_e32 v6, s10
	s_xor_b64 exec, exec, s[6:7]
	s_cbranch_execnz .LBB53_2520
.LBB53_470:
	s_or_b64 exec, exec, s[6:7]
	s_and_saveexec_b64 s[6:7], s[4:5]
	s_cbranch_execz .LBB53_472
.LBB53_471:
	v_bfe_u32 v3, v4, 16, 3
	v_ffbh_u32_e32 v10, v3
	v_min_u32_e32 v10, 32, v10
	v_lshrrev_b32_e32 v6, 19, v4
	v_subrev_u32_e32 v11, 28, v10
	v_and_b32_e32 v6, 15, v6
	v_lshlrev_b32_sdwa v11, v11, v4 dst_sel:DWORD dst_unused:UNUSED_PAD src0_sel:DWORD src1_sel:WORD_1
	v_bfe_u32 v7, v4, 19, 4
	v_sub_u32_e32 v10, 29, v10
	v_and_b32_e32 v11, 7, v11
	v_cmp_eq_u16_e32 vcc, 0, v6
	v_cndmask_b32_e32 v3, v3, v11, vcc
	v_cndmask_b32_e32 v6, v7, v10, vcc
	v_lshlrev_b32_e32 v7, 8, v4
	v_mov_b32_e32 v10, 0x3b800000
	v_lshlrev_b32_e32 v3, 20, v3
	v_and_b32_e32 v7, 0x80000000, v7
	v_lshl_add_u32 v6, v6, 23, v10
	v_or3_b32 v6, v7, v6, v3
.LBB53_472:
	s_or_b64 exec, exec, s[6:7]
	s_nop 0
	v_mfma_f32_16x16x4f32 a[0:3], v2, v6, a[0:3]
	s_movk_i32 s4, 0x7f
	v_cmp_gt_i16_sdwa s[6:7], v8, s4 src0_sel:BYTE_3 src1_sel:DWORD
	s_mov_b64 s[4:5], 0
                                        ; implicit-def: $sgpr10
	s_and_saveexec_b64 s[8:9], s[6:7]
	s_xor_b64 s[6:7], exec, s[8:9]
	s_cbranch_execnz .LBB53_2521
; %bb.473:
	s_or_saveexec_b64 s[6:7], s[6:7]
	v_mov_b32_e32 v2, s10
	s_xor_b64 exec, exec, s[6:7]
	s_cbranch_execnz .LBB53_2524
.LBB53_474:
	s_or_b64 exec, exec, s[6:7]
	s_and_saveexec_b64 s[6:7], s[4:5]
	s_cbranch_execz .LBB53_476
.LBB53_475:
	v_bfe_u32 v2, v8, 24, 3
	v_ffbh_u32_e32 v10, v2
	v_min_u32_e32 v10, 32, v10
	v_lshrrev_b32_e32 v6, 27, v8
	v_subrev_u32_e32 v11, 28, v10
	v_and_b32_e32 v3, 0x80000000, v8
	v_and_b32_e32 v6, 15, v6
	v_bfe_u32 v7, v8, 27, 4
	v_lshlrev_b32_sdwa v8, v11, v8 dst_sel:DWORD dst_unused:UNUSED_PAD src0_sel:DWORD src1_sel:BYTE_3
	v_sub_u32_e32 v10, 29, v10
	v_and_b32_e32 v8, 7, v8
	v_cmp_eq_u16_e32 vcc, 0, v6
	v_cndmask_b32_e32 v2, v2, v8, vcc
	v_cndmask_b32_e32 v6, v7, v10, vcc
	v_mov_b32_e32 v7, 0x3b800000
	v_lshlrev_b32_e32 v2, 20, v2
	v_lshl_add_u32 v6, v6, 23, v7
	v_or3_b32 v2, v3, v6, v2
.LBB53_476:
	s_or_b64 exec, exec, s[6:7]
	s_movk_i32 s4, 0x7f
	v_cmp_gt_i16_sdwa s[6:7], v4, s4 src0_sel:BYTE_3 src1_sel:DWORD
	s_mov_b64 s[4:5], 0
                                        ; implicit-def: $sgpr10
	s_and_saveexec_b64 s[8:9], s[6:7]
	s_xor_b64 s[6:7], exec, s[8:9]
	s_cbranch_execnz .LBB53_2525
; %bb.477:
	s_or_saveexec_b64 s[6:7], s[6:7]
	v_mov_b32_e32 v3, s10
	s_xor_b64 exec, exec, s[6:7]
	s_cbranch_execnz .LBB53_2528
.LBB53_478:
	s_or_b64 exec, exec, s[6:7]
	s_and_saveexec_b64 s[6:7], s[4:5]
	s_cbranch_execz .LBB53_480
.LBB53_479:
	v_bfe_u32 v3, v4, 24, 3
	v_ffbh_u32_e32 v10, v3
	v_min_u32_e32 v10, 32, v10
	v_lshrrev_b32_e32 v7, 27, v4
	v_subrev_u32_e32 v11, 28, v10
	v_and_b32_e32 v6, 0x80000000, v4
	v_and_b32_e32 v7, 15, v7
	v_bfe_u32 v8, v4, 27, 4
	v_lshlrev_b32_sdwa v4, v11, v4 dst_sel:DWORD dst_unused:UNUSED_PAD src0_sel:DWORD src1_sel:BYTE_3
	v_sub_u32_e32 v10, 29, v10
	v_and_b32_e32 v4, 7, v4
	v_cmp_eq_u16_e32 vcc, 0, v7
	v_cndmask_b32_e32 v3, v3, v4, vcc
	v_cndmask_b32_e32 v4, v8, v10, vcc
	v_mov_b32_e32 v7, 0x3b800000
	v_lshlrev_b32_e32 v3, 20, v3
	v_lshl_add_u32 v4, v4, 23, v7
	v_or3_b32 v3, v6, v4, v3
.LBB53_480:
	s_or_b64 exec, exec, s[6:7]
	s_nop 0
	v_mfma_f32_16x16x4f32 a[0:3], v2, v3, a[0:3]
	s_movk_i32 s4, 0x7f
	v_cmp_gt_i16_sdwa s[6:7], v9, s4 src0_sel:BYTE_0 src1_sel:DWORD
	s_mov_b64 s[4:5], 0
                                        ; implicit-def: $sgpr10
	s_and_saveexec_b64 s[8:9], s[6:7]
	s_xor_b64 s[6:7], exec, s[8:9]
	s_cbranch_execnz .LBB53_2529
; %bb.481:
	s_or_saveexec_b64 s[6:7], s[6:7]
	v_mov_b32_e32 v2, s10
	s_xor_b64 exec, exec, s[6:7]
	s_cbranch_execnz .LBB53_2532
.LBB53_482:
	s_or_b64 exec, exec, s[6:7]
	s_and_saveexec_b64 s[6:7], s[4:5]
	s_cbranch_execz .LBB53_484
.LBB53_483:
	v_mov_b32_e32 v2, 8
	v_and_b32_e32 v3, 7, v9
	v_lshrrev_b32_sdwa v2, v2, v9 dst_sel:BYTE_1 dst_unused:UNUSED_PAD src0_sel:DWORD src1_sel:DWORD
	v_ffbh_u32_e32 v4, v3
	v_or_b32_sdwa v2, v9, v2 dst_sel:DWORD dst_unused:UNUSED_PAD src0_sel:BYTE_0 src1_sel:DWORD
	v_min_u32_e32 v4, 32, v4
	v_lshrrev_b16_e32 v2, 3, v2
	v_subrev_u32_e32 v6, 28, v4
	v_and_b32_e32 v2, 15, v2
	v_lshlrev_b32_e32 v6, v6, v9
	v_sub_u32_e32 v4, 29, v4
	v_and_b32_e32 v6, 7, v6
	v_cmp_eq_u16_e32 vcc, 0, v2
	v_cndmask_b32_e32 v3, v3, v6, vcc
	v_cndmask_b32_e32 v2, v2, v4, vcc
	v_lshlrev_b32_e32 v4, 24, v9
	v_mov_b32_e32 v6, 0x3b800000
	v_lshlrev_b32_e32 v3, 20, v3
	v_and_b32_e32 v4, 0x80000000, v4
	v_lshl_add_u32 v2, v2, 23, v6
	v_or3_b32 v2, v4, v2, v3
.LBB53_484:
	s_or_b64 exec, exec, s[6:7]
	s_movk_i32 s4, 0x7f
	v_cmp_gt_i16_sdwa s[6:7], v5, s4 src0_sel:BYTE_0 src1_sel:DWORD
	s_mov_b64 s[4:5], 0
                                        ; implicit-def: $sgpr10
	s_and_saveexec_b64 s[8:9], s[6:7]
	s_xor_b64 s[6:7], exec, s[8:9]
	s_cbranch_execnz .LBB53_2533
; %bb.485:
	s_or_saveexec_b64 s[6:7], s[6:7]
	v_mov_b32_e32 v3, s10
	s_xor_b64 exec, exec, s[6:7]
	s_cbranch_execnz .LBB53_2536
.LBB53_486:
	s_or_b64 exec, exec, s[6:7]
	s_and_saveexec_b64 s[6:7], s[4:5]
	s_cbranch_execz .LBB53_488
.LBB53_487:
	v_mov_b32_e32 v3, 8
	v_and_b32_e32 v4, 7, v5
	v_lshrrev_b32_sdwa v3, v3, v5 dst_sel:BYTE_1 dst_unused:UNUSED_PAD src0_sel:DWORD src1_sel:DWORD
	v_ffbh_u32_e32 v6, v4
	v_or_b32_sdwa v3, v5, v3 dst_sel:DWORD dst_unused:UNUSED_PAD src0_sel:BYTE_0 src1_sel:DWORD
	v_min_u32_e32 v6, 32, v6
	v_lshrrev_b16_e32 v3, 3, v3
	v_subrev_u32_e32 v7, 28, v6
	v_and_b32_e32 v3, 15, v3
	v_lshlrev_b32_e32 v7, v7, v5
	v_sub_u32_e32 v6, 29, v6
	v_and_b32_e32 v7, 7, v7
	v_cmp_eq_u16_e32 vcc, 0, v3
	v_cndmask_b32_e32 v4, v4, v7, vcc
	v_cndmask_b32_e32 v3, v3, v6, vcc
	v_lshlrev_b32_e32 v6, 24, v5
	v_mov_b32_e32 v7, 0x3b800000
	v_lshlrev_b32_e32 v4, 20, v4
	v_and_b32_e32 v6, 0x80000000, v6
	v_lshl_add_u32 v3, v3, 23, v7
	v_or3_b32 v3, v6, v3, v4
.LBB53_488:
	s_or_b64 exec, exec, s[6:7]
	s_nop 0
	v_mfma_f32_16x16x4f32 a[0:3], v2, v3, a[0:3]
	v_lshrrev_b32_e32 v3, 8, v9
	s_movk_i32 s4, 0x7f
	v_cmp_gt_i16_sdwa s[6:7], v3, s4 src0_sel:BYTE_0 src1_sel:DWORD
	s_mov_b64 s[4:5], 0
                                        ; implicit-def: $sgpr10
	s_and_saveexec_b64 s[8:9], s[6:7]
	s_xor_b64 s[6:7], exec, s[8:9]
	s_cbranch_execnz .LBB53_2537
; %bb.489:
	s_or_saveexec_b64 s[6:7], s[6:7]
	v_mov_b32_e32 v2, s10
	s_xor_b64 exec, exec, s[6:7]
	s_cbranch_execnz .LBB53_2540
.LBB53_490:
	s_or_b64 exec, exec, s[6:7]
	s_and_saveexec_b64 s[6:7], s[4:5]
	s_cbranch_execz .LBB53_492
.LBB53_491:
	v_bfe_u32 v2, v9, 8, 3
	v_ffbh_u32_e32 v6, v2
	v_min_u32_e32 v6, 32, v6
	v_lshrrev_b16_e32 v4, 3, v3
	v_subrev_u32_e32 v7, 28, v6
	v_and_b32_e32 v4, 15, v4
	v_lshlrev_b32_e32 v3, v7, v3
	v_sub_u32_e32 v6, 29, v6
	v_and_b32_e32 v3, 7, v3
	v_cmp_eq_u16_e32 vcc, 0, v4
	v_cndmask_b32_e32 v2, v2, v3, vcc
	v_cndmask_b32_e32 v3, v4, v6, vcc
	v_lshlrev_b32_e32 v4, 16, v9
	v_mov_b32_e32 v6, 0x3b800000
	v_lshlrev_b32_e32 v2, 20, v2
	v_and_b32_e32 v4, 0x80000000, v4
	v_lshl_add_u32 v3, v3, 23, v6
	v_or3_b32 v2, v4, v3, v2
.LBB53_492:
	s_or_b64 exec, exec, s[6:7]
	v_lshrrev_b32_e32 v3, 8, v5
	s_movk_i32 s4, 0x7f
	v_cmp_gt_i16_sdwa s[6:7], v3, s4 src0_sel:BYTE_0 src1_sel:DWORD
	s_mov_b64 s[4:5], 0
                                        ; implicit-def: $sgpr10
	s_and_saveexec_b64 s[8:9], s[6:7]
	s_xor_b64 s[6:7], exec, s[8:9]
	s_cbranch_execnz .LBB53_2541
; %bb.493:
	s_or_saveexec_b64 s[6:7], s[6:7]
	v_mov_b32_e32 v4, s10
	s_xor_b64 exec, exec, s[6:7]
	s_cbranch_execnz .LBB53_2544
.LBB53_494:
	s_or_b64 exec, exec, s[6:7]
	s_and_saveexec_b64 s[6:7], s[4:5]
	s_cbranch_execz .LBB53_496
.LBB53_495:
	v_bfe_u32 v4, v5, 8, 3
	v_ffbh_u32_e32 v7, v4
	v_min_u32_e32 v7, 32, v7
	v_lshrrev_b16_e32 v6, 3, v3
	v_subrev_u32_e32 v8, 28, v7
	v_and_b32_e32 v6, 15, v6
	v_lshlrev_b32_e32 v3, v8, v3
	v_sub_u32_e32 v7, 29, v7
	v_and_b32_e32 v3, 7, v3
	v_cmp_eq_u16_e32 vcc, 0, v6
	v_cndmask_b32_e32 v3, v4, v3, vcc
	v_cndmask_b32_e32 v4, v6, v7, vcc
	v_lshlrev_b32_e32 v6, 16, v5
	v_mov_b32_e32 v7, 0x3b800000
	v_lshlrev_b32_e32 v3, 20, v3
	v_and_b32_e32 v6, 0x80000000, v6
	v_lshl_add_u32 v4, v4, 23, v7
	v_or3_b32 v4, v6, v4, v3
.LBB53_496:
	s_or_b64 exec, exec, s[6:7]
	s_nop 0
	v_mfma_f32_16x16x4f32 a[0:3], v2, v4, a[0:3]
	s_movk_i32 s4, 0xff
	v_and_b32_sdwa v3, v9, s4 dst_sel:DWORD dst_unused:UNUSED_PAD src0_sel:WORD_1 src1_sel:DWORD
	s_movk_i32 s4, 0x7f
	v_cmp_lt_i16_e32 vcc, s4, v3
	s_mov_b64 s[4:5], 0
                                        ; implicit-def: $sgpr10
	s_and_saveexec_b64 s[6:7], vcc
	s_xor_b64 s[6:7], exec, s[6:7]
	s_cbranch_execnz .LBB53_2545
; %bb.497:
	s_or_saveexec_b64 s[6:7], s[6:7]
	v_mov_b32_e32 v2, s10
	s_xor_b64 exec, exec, s[6:7]
	s_cbranch_execnz .LBB53_2548
.LBB53_498:
	s_or_b64 exec, exec, s[6:7]
	s_and_saveexec_b64 s[6:7], s[4:5]
	s_cbranch_execz .LBB53_500
.LBB53_499:
	v_bfe_u32 v2, v9, 16, 3
	v_ffbh_u32_e32 v6, v2
	v_min_u32_e32 v6, 32, v6
	v_lshrrev_b32_e32 v3, 19, v9
	v_subrev_u32_e32 v7, 28, v6
	v_and_b32_e32 v3, 15, v3
	v_lshlrev_b32_sdwa v7, v7, v9 dst_sel:DWORD dst_unused:UNUSED_PAD src0_sel:DWORD src1_sel:WORD_1
	v_bfe_u32 v4, v9, 19, 4
	v_sub_u32_e32 v6, 29, v6
	v_and_b32_e32 v7, 7, v7
	v_cmp_eq_u16_e32 vcc, 0, v3
	v_cndmask_b32_e32 v2, v2, v7, vcc
	v_cndmask_b32_e32 v3, v4, v6, vcc
	v_lshlrev_b32_e32 v4, 8, v9
	v_mov_b32_e32 v6, 0x3b800000
	v_lshlrev_b32_e32 v2, 20, v2
	v_and_b32_e32 v4, 0x80000000, v4
	v_lshl_add_u32 v3, v3, 23, v6
	v_or3_b32 v2, v4, v3, v2
.LBB53_500:
	s_or_b64 exec, exec, s[6:7]
	s_movk_i32 s4, 0xff
	v_and_b32_sdwa v3, v5, s4 dst_sel:DWORD dst_unused:UNUSED_PAD src0_sel:WORD_1 src1_sel:DWORD
	s_movk_i32 s4, 0x7f
	v_cmp_lt_i16_e32 vcc, s4, v3
	s_mov_b64 s[4:5], 0
                                        ; implicit-def: $sgpr10
	s_and_saveexec_b64 s[6:7], vcc
	s_xor_b64 s[6:7], exec, s[6:7]
	s_cbranch_execnz .LBB53_2549
; %bb.501:
	s_or_saveexec_b64 s[6:7], s[6:7]
	v_mov_b32_e32 v4, s10
	s_xor_b64 exec, exec, s[6:7]
	s_cbranch_execnz .LBB53_2552
.LBB53_502:
	s_or_b64 exec, exec, s[6:7]
	s_and_saveexec_b64 s[6:7], s[4:5]
	s_cbranch_execz .LBB53_504
.LBB53_503:
	v_bfe_u32 v3, v5, 16, 3
	v_ffbh_u32_e32 v7, v3
	v_min_u32_e32 v7, 32, v7
	v_lshrrev_b32_e32 v4, 19, v5
	v_subrev_u32_e32 v8, 28, v7
	v_and_b32_e32 v4, 15, v4
	v_lshlrev_b32_sdwa v8, v8, v5 dst_sel:DWORD dst_unused:UNUSED_PAD src0_sel:DWORD src1_sel:WORD_1
	v_bfe_u32 v6, v5, 19, 4
	v_sub_u32_e32 v7, 29, v7
	v_and_b32_e32 v8, 7, v8
	v_cmp_eq_u16_e32 vcc, 0, v4
	v_cndmask_b32_e32 v3, v3, v8, vcc
	v_cndmask_b32_e32 v4, v6, v7, vcc
	v_lshlrev_b32_e32 v6, 8, v5
	v_mov_b32_e32 v7, 0x3b800000
	v_lshlrev_b32_e32 v3, 20, v3
	v_and_b32_e32 v6, 0x80000000, v6
	v_lshl_add_u32 v4, v4, 23, v7
	v_or3_b32 v4, v6, v4, v3
.LBB53_504:
	s_or_b64 exec, exec, s[6:7]
	s_nop 0
	v_mfma_f32_16x16x4f32 a[0:3], v2, v4, a[0:3]
	s_movk_i32 s4, 0x7f
	v_cmp_gt_i16_sdwa s[6:7], v9, s4 src0_sel:BYTE_3 src1_sel:DWORD
	s_mov_b64 s[4:5], 0
                                        ; implicit-def: $sgpr10
	s_and_saveexec_b64 s[8:9], s[6:7]
	s_xor_b64 s[6:7], exec, s[8:9]
	s_cbranch_execnz .LBB53_2553
; %bb.505:
	s_or_saveexec_b64 s[6:7], s[6:7]
	v_mov_b32_e32 v2, s10
	s_xor_b64 exec, exec, s[6:7]
	s_cbranch_execnz .LBB53_2556
.LBB53_506:
	s_or_b64 exec, exec, s[6:7]
	s_and_saveexec_b64 s[6:7], s[4:5]
	s_cbranch_execz .LBB53_508
.LBB53_507:
	v_bfe_u32 v2, v9, 24, 3
	v_ffbh_u32_e32 v7, v2
	v_min_u32_e32 v7, 32, v7
	v_lshrrev_b32_e32 v4, 27, v9
	v_subrev_u32_e32 v8, 28, v7
	v_and_b32_e32 v4, 15, v4
	v_lshlrev_b32_sdwa v8, v8, v9 dst_sel:DWORD dst_unused:UNUSED_PAD src0_sel:DWORD src1_sel:BYTE_3
	v_bfe_u32 v6, v9, 27, 4
	v_sub_u32_e32 v7, 29, v7
	v_and_b32_e32 v8, 7, v8
	v_cmp_eq_u16_e32 vcc, 0, v4
	v_cndmask_b32_e32 v2, v2, v8, vcc
	v_cndmask_b32_e32 v4, v6, v7, vcc
	v_mov_b32_e32 v6, 0x3b800000
	v_and_b32_e32 v3, 0x80000000, v9
	v_lshlrev_b32_e32 v2, 20, v2
	v_lshl_add_u32 v4, v4, 23, v6
	v_or3_b32 v2, v3, v4, v2
.LBB53_508:
	s_or_b64 exec, exec, s[6:7]
	s_movk_i32 s4, 0x7f
	v_cmp_gt_i16_sdwa s[6:7], v5, s4 src0_sel:BYTE_3 src1_sel:DWORD
	s_mov_b64 s[4:5], 0
                                        ; implicit-def: $sgpr10
	s_and_saveexec_b64 s[8:9], s[6:7]
	s_xor_b64 s[6:7], exec, s[8:9]
	s_cbranch_execnz .LBB53_2557
; %bb.509:
	s_or_saveexec_b64 s[6:7], s[6:7]
	v_mov_b32_e32 v3, s10
	s_xor_b64 exec, exec, s[6:7]
	s_cbranch_execnz .LBB53_2560
.LBB53_510:
	s_or_b64 exec, exec, s[6:7]
	s_and_saveexec_b64 s[6:7], s[4:5]
	s_cbranch_execz .LBB53_512
.LBB53_511:
	v_bfe_u32 v3, v5, 24, 3
	v_ffbh_u32_e32 v8, v3
	v_min_u32_e32 v8, 32, v8
	v_lshrrev_b32_e32 v6, 27, v5
	v_subrev_u32_e32 v9, 28, v8
	v_and_b32_e32 v4, 0x80000000, v5
	v_and_b32_e32 v6, 15, v6
	v_bfe_u32 v7, v5, 27, 4
	v_lshlrev_b32_sdwa v5, v9, v5 dst_sel:DWORD dst_unused:UNUSED_PAD src0_sel:DWORD src1_sel:BYTE_3
	v_sub_u32_e32 v8, 29, v8
	v_and_b32_e32 v5, 7, v5
	v_cmp_eq_u16_e32 vcc, 0, v6
	v_cndmask_b32_e32 v3, v3, v5, vcc
	v_cndmask_b32_e32 v5, v7, v8, vcc
	v_mov_b32_e32 v6, 0x3b800000
	v_lshlrev_b32_e32 v3, 20, v3
	v_lshl_add_u32 v5, v5, 23, v6
	v_or3_b32 v3, v4, v5, v3
.LBB53_512:
	s_or_b64 exec, exec, s[6:7]
	s_nop 0
	v_mfma_f32_16x16x4f32 a[0:3], v2, v3, a[0:3]
	s_movk_i32 s4, 0x7f
                                        ; implicit-def: $sgpr10
	s_nop 7
	s_nop 1
	flat_store_dwordx4 v[18:19], a[0:3] offset:144
	flat_load_dwordx4 v[20:23], v[0:1] offset:8
	s_nop 0
	flat_load_dwordx2 v[18:19], v[0:1] offset:24
	s_waitcnt vmcnt(0) lgkmcnt(0)
	flat_load_dwordx4 v[14:17], v[20:21] offset:32
	flat_load_dwordx4 v[6:9], v[20:21] offset:48
	;; [unrolled: 1-line block ×4, first 2 shown]
	s_waitcnt vmcnt(0) lgkmcnt(0)
	v_cmp_gt_i16_sdwa s[6:7], v14, s4 src0_sel:BYTE_0 src1_sel:DWORD
	s_mov_b64 s[4:5], 0
	s_and_saveexec_b64 s[8:9], s[6:7]
	s_xor_b64 s[6:7], exec, s[8:9]
	s_cbranch_execnz .LBB53_2561
; %bb.513:
	s_or_saveexec_b64 s[6:7], s[6:7]
	v_mov_b32_e32 v20, s10
	s_xor_b64 exec, exec, s[6:7]
	s_cbranch_execnz .LBB53_2564
.LBB53_514:
	s_or_b64 exec, exec, s[6:7]
	s_and_saveexec_b64 s[6:7], s[4:5]
	s_cbranch_execz .LBB53_516
.LBB53_515:
	v_and_b32_e32 v20, 7, v14
	v_ffbh_u32_e32 v22, v20
	v_min_u32_e32 v22, 32, v22
	v_lshrrev_b16_e32 v21, 3, v14
	v_subrev_u32_e32 v23, 28, v22
	v_and_b32_e32 v21, 15, v21
	v_lshlrev_b32_e32 v23, v23, v14
	v_sub_u32_e32 v22, 29, v22
	v_and_b32_e32 v23, 7, v23
	v_cmp_eq_u16_e32 vcc, 0, v21
	v_cndmask_b32_e32 v20, v20, v23, vcc
	v_cndmask_b32_e32 v21, v21, v22, vcc
	v_lshlrev_b32_e32 v22, 24, v14
	v_mov_b32_e32 v23, 0x3b800000
	v_lshlrev_b32_e32 v20, 20, v20
	v_and_b32_e32 v22, 0x80000000, v22
	v_lshl_add_u32 v21, v21, 23, v23
	v_or3_b32 v20, v22, v21, v20
.LBB53_516:
	s_or_b64 exec, exec, s[6:7]
	s_movk_i32 s4, 0x7f
	v_cmp_gt_i16_sdwa s[6:7], v10, s4 src0_sel:BYTE_0 src1_sel:DWORD
	s_mov_b64 s[4:5], 0
                                        ; implicit-def: $sgpr10
	s_and_saveexec_b64 s[8:9], s[6:7]
	s_xor_b64 s[6:7], exec, s[8:9]
	s_cbranch_execnz .LBB53_2565
; %bb.517:
	s_or_saveexec_b64 s[6:7], s[6:7]
	v_mov_b32_e32 v21, s10
	s_xor_b64 exec, exec, s[6:7]
	s_cbranch_execnz .LBB53_2568
.LBB53_518:
	s_or_b64 exec, exec, s[6:7]
	s_and_saveexec_b64 s[6:7], s[4:5]
	s_cbranch_execz .LBB53_520
.LBB53_519:
	v_and_b32_e32 v21, 7, v10
	v_ffbh_u32_e32 v23, v21
	v_min_u32_e32 v23, 32, v23
	v_lshrrev_b16_e32 v22, 3, v10
	v_subrev_u32_e32 v24, 28, v23
	v_and_b32_e32 v22, 15, v22
	v_lshlrev_b32_e32 v24, v24, v10
	v_sub_u32_e32 v23, 29, v23
	v_and_b32_e32 v24, 7, v24
	v_cmp_eq_u16_e32 vcc, 0, v22
	v_cndmask_b32_e32 v21, v21, v24, vcc
	v_cndmask_b32_e32 v22, v22, v23, vcc
	v_lshlrev_b32_e32 v23, 24, v10
	v_mov_b32_e32 v24, 0x3b800000
	v_lshlrev_b32_e32 v21, 20, v21
	v_and_b32_e32 v23, 0x80000000, v23
	v_lshl_add_u32 v22, v22, 23, v24
	v_or3_b32 v21, v23, v22, v21
.LBB53_520:
	s_or_b64 exec, exec, s[6:7]
	flat_load_dwordx4 a[0:3], v[18:19] offset:160
	s_movk_i32 s4, 0x7f
                                        ; implicit-def: $sgpr10
	s_waitcnt vmcnt(0) lgkmcnt(0)
	v_mfma_f32_16x16x4f32 a[0:3], v20, v21, a[0:3]
	v_lshrrev_b32_e32 v21, 8, v14
	v_cmp_gt_i16_sdwa s[6:7], v21, s4 src0_sel:BYTE_0 src1_sel:DWORD
	s_mov_b64 s[4:5], 0
	s_and_saveexec_b64 s[8:9], s[6:7]
	s_xor_b64 s[6:7], exec, s[8:9]
	s_cbranch_execnz .LBB53_2569
; %bb.521:
	s_or_saveexec_b64 s[6:7], s[6:7]
	v_mov_b32_e32 v20, s10
	s_xor_b64 exec, exec, s[6:7]
	s_cbranch_execnz .LBB53_2572
.LBB53_522:
	s_or_b64 exec, exec, s[6:7]
	s_and_saveexec_b64 s[6:7], s[4:5]
	s_cbranch_execz .LBB53_524
.LBB53_523:
	v_bfe_u32 v20, v14, 8, 3
	v_ffbh_u32_e32 v23, v20
	v_min_u32_e32 v23, 32, v23
	v_lshrrev_b16_e32 v22, 3, v21
	v_subrev_u32_e32 v24, 28, v23
	v_and_b32_e32 v22, 15, v22
	v_lshlrev_b32_e32 v21, v24, v21
	v_sub_u32_e32 v23, 29, v23
	v_and_b32_e32 v21, 7, v21
	v_cmp_eq_u16_e32 vcc, 0, v22
	v_cndmask_b32_e32 v20, v20, v21, vcc
	v_cndmask_b32_e32 v21, v22, v23, vcc
	v_lshlrev_b32_e32 v22, 16, v14
	v_mov_b32_e32 v23, 0x3b800000
	v_lshlrev_b32_e32 v20, 20, v20
	v_and_b32_e32 v22, 0x80000000, v22
	v_lshl_add_u32 v21, v21, 23, v23
	v_or3_b32 v20, v22, v21, v20
.LBB53_524:
	s_or_b64 exec, exec, s[6:7]
	v_lshrrev_b32_e32 v21, 8, v10
	s_movk_i32 s4, 0x7f
	v_cmp_gt_i16_sdwa s[6:7], v21, s4 src0_sel:BYTE_0 src1_sel:DWORD
	s_mov_b64 s[4:5], 0
                                        ; implicit-def: $sgpr10
	s_and_saveexec_b64 s[8:9], s[6:7]
	s_xor_b64 s[6:7], exec, s[8:9]
	s_cbranch_execnz .LBB53_2573
; %bb.525:
	s_or_saveexec_b64 s[6:7], s[6:7]
	v_mov_b32_e32 v22, s10
	s_xor_b64 exec, exec, s[6:7]
	s_cbranch_execnz .LBB53_2576
.LBB53_526:
	s_or_b64 exec, exec, s[6:7]
	s_and_saveexec_b64 s[6:7], s[4:5]
	s_cbranch_execz .LBB53_528
.LBB53_527:
	v_bfe_u32 v22, v10, 8, 3
	v_ffbh_u32_e32 v24, v22
	v_min_u32_e32 v24, 32, v24
	v_lshrrev_b16_e32 v23, 3, v21
	v_subrev_u32_e32 v25, 28, v24
	v_and_b32_e32 v23, 15, v23
	v_lshlrev_b32_e32 v21, v25, v21
	v_sub_u32_e32 v24, 29, v24
	v_and_b32_e32 v21, 7, v21
	v_cmp_eq_u16_e32 vcc, 0, v23
	v_cndmask_b32_e32 v21, v22, v21, vcc
	v_cndmask_b32_e32 v22, v23, v24, vcc
	v_lshlrev_b32_e32 v23, 16, v10
	v_mov_b32_e32 v24, 0x3b800000
	v_lshlrev_b32_e32 v21, 20, v21
	v_and_b32_e32 v23, 0x80000000, v23
	v_lshl_add_u32 v22, v22, 23, v24
	v_or3_b32 v22, v23, v22, v21
.LBB53_528:
	s_or_b64 exec, exec, s[6:7]
	s_nop 0
	v_mfma_f32_16x16x4f32 a[0:3], v20, v22, a[0:3]
	s_movk_i32 s4, 0xff
	v_and_b32_sdwa v21, v14, s4 dst_sel:DWORD dst_unused:UNUSED_PAD src0_sel:WORD_1 src1_sel:DWORD
	s_movk_i32 s4, 0x7f
	v_cmp_lt_i16_e32 vcc, s4, v21
	s_mov_b64 s[4:5], 0
                                        ; implicit-def: $sgpr10
	s_and_saveexec_b64 s[6:7], vcc
	s_xor_b64 s[6:7], exec, s[6:7]
	s_cbranch_execnz .LBB53_2577
; %bb.529:
	s_or_saveexec_b64 s[6:7], s[6:7]
	v_mov_b32_e32 v20, s10
	s_xor_b64 exec, exec, s[6:7]
	s_cbranch_execnz .LBB53_2580
.LBB53_530:
	s_or_b64 exec, exec, s[6:7]
	s_and_saveexec_b64 s[6:7], s[4:5]
	s_cbranch_execz .LBB53_532
.LBB53_531:
	v_bfe_u32 v20, v14, 16, 3
	v_ffbh_u32_e32 v23, v20
	v_min_u32_e32 v23, 32, v23
	v_lshrrev_b32_e32 v21, 19, v14
	v_subrev_u32_e32 v24, 28, v23
	v_and_b32_e32 v21, 15, v21
	v_lshlrev_b32_sdwa v24, v24, v14 dst_sel:DWORD dst_unused:UNUSED_PAD src0_sel:DWORD src1_sel:WORD_1
	v_bfe_u32 v22, v14, 19, 4
	v_sub_u32_e32 v23, 29, v23
	v_and_b32_e32 v24, 7, v24
	v_cmp_eq_u16_e32 vcc, 0, v21
	v_cndmask_b32_e32 v20, v20, v24, vcc
	v_cndmask_b32_e32 v21, v22, v23, vcc
	v_lshlrev_b32_e32 v22, 8, v14
	v_mov_b32_e32 v23, 0x3b800000
	v_lshlrev_b32_e32 v20, 20, v20
	v_and_b32_e32 v22, 0x80000000, v22
	v_lshl_add_u32 v21, v21, 23, v23
	v_or3_b32 v20, v22, v21, v20
.LBB53_532:
	s_or_b64 exec, exec, s[6:7]
	s_movk_i32 s4, 0xff
	v_and_b32_sdwa v21, v10, s4 dst_sel:DWORD dst_unused:UNUSED_PAD src0_sel:WORD_1 src1_sel:DWORD
	s_movk_i32 s4, 0x7f
	v_cmp_lt_i16_e32 vcc, s4, v21
	s_mov_b64 s[4:5], 0
                                        ; implicit-def: $sgpr10
	s_and_saveexec_b64 s[6:7], vcc
	s_xor_b64 s[6:7], exec, s[6:7]
	s_cbranch_execnz .LBB53_2581
; %bb.533:
	s_or_saveexec_b64 s[6:7], s[6:7]
	v_mov_b32_e32 v22, s10
	s_xor_b64 exec, exec, s[6:7]
	s_cbranch_execnz .LBB53_2584
.LBB53_534:
	s_or_b64 exec, exec, s[6:7]
	s_and_saveexec_b64 s[6:7], s[4:5]
	s_cbranch_execz .LBB53_536
.LBB53_535:
	v_bfe_u32 v21, v10, 16, 3
	v_ffbh_u32_e32 v24, v21
	v_min_u32_e32 v24, 32, v24
	v_lshrrev_b32_e32 v22, 19, v10
	v_subrev_u32_e32 v25, 28, v24
	v_and_b32_e32 v22, 15, v22
	v_lshlrev_b32_sdwa v25, v25, v10 dst_sel:DWORD dst_unused:UNUSED_PAD src0_sel:DWORD src1_sel:WORD_1
	v_bfe_u32 v23, v10, 19, 4
	v_sub_u32_e32 v24, 29, v24
	v_and_b32_e32 v25, 7, v25
	v_cmp_eq_u16_e32 vcc, 0, v22
	v_cndmask_b32_e32 v21, v21, v25, vcc
	v_cndmask_b32_e32 v22, v23, v24, vcc
	v_lshlrev_b32_e32 v23, 8, v10
	v_mov_b32_e32 v24, 0x3b800000
	v_lshlrev_b32_e32 v21, 20, v21
	v_and_b32_e32 v23, 0x80000000, v23
	v_lshl_add_u32 v22, v22, 23, v24
	v_or3_b32 v22, v23, v22, v21
.LBB53_536:
	s_or_b64 exec, exec, s[6:7]
	s_nop 0
	v_mfma_f32_16x16x4f32 a[0:3], v20, v22, a[0:3]
	s_movk_i32 s4, 0x7f
	v_cmp_gt_i16_sdwa s[6:7], v14, s4 src0_sel:BYTE_3 src1_sel:DWORD
	s_mov_b64 s[4:5], 0
                                        ; implicit-def: $sgpr10
	s_and_saveexec_b64 s[8:9], s[6:7]
	s_xor_b64 s[6:7], exec, s[8:9]
	s_cbranch_execnz .LBB53_2585
; %bb.537:
	s_or_saveexec_b64 s[6:7], s[6:7]
	v_mov_b32_e32 v20, s10
	s_xor_b64 exec, exec, s[6:7]
	s_cbranch_execnz .LBB53_2588
.LBB53_538:
	s_or_b64 exec, exec, s[6:7]
	s_and_saveexec_b64 s[6:7], s[4:5]
	s_cbranch_execz .LBB53_540
.LBB53_539:
	v_bfe_u32 v20, v14, 24, 3
	v_ffbh_u32_e32 v24, v20
	v_min_u32_e32 v24, 32, v24
	v_lshrrev_b32_e32 v22, 27, v14
	v_subrev_u32_e32 v25, 28, v24
	v_and_b32_e32 v21, 0x80000000, v14
	v_and_b32_e32 v22, 15, v22
	v_bfe_u32 v23, v14, 27, 4
	v_lshlrev_b32_sdwa v14, v25, v14 dst_sel:DWORD dst_unused:UNUSED_PAD src0_sel:DWORD src1_sel:BYTE_3
	v_sub_u32_e32 v24, 29, v24
	v_and_b32_e32 v14, 7, v14
	v_cmp_eq_u16_e32 vcc, 0, v22
	v_cndmask_b32_e32 v14, v20, v14, vcc
	v_cndmask_b32_e32 v20, v23, v24, vcc
	v_mov_b32_e32 v22, 0x3b800000
	v_lshlrev_b32_e32 v14, 20, v14
	v_lshl_add_u32 v20, v20, 23, v22
	v_or3_b32 v20, v21, v20, v14
.LBB53_540:
	s_or_b64 exec, exec, s[6:7]
	s_movk_i32 s4, 0x7f
	v_cmp_gt_i16_sdwa s[6:7], v10, s4 src0_sel:BYTE_3 src1_sel:DWORD
	s_mov_b64 s[4:5], 0
                                        ; implicit-def: $sgpr10
	s_and_saveexec_b64 s[8:9], s[6:7]
	s_xor_b64 s[6:7], exec, s[8:9]
	s_cbranch_execnz .LBB53_2589
; %bb.541:
	s_or_saveexec_b64 s[6:7], s[6:7]
	v_mov_b32_e32 v14, s10
	s_xor_b64 exec, exec, s[6:7]
	s_cbranch_execnz .LBB53_2592
.LBB53_542:
	s_or_b64 exec, exec, s[6:7]
	s_and_saveexec_b64 s[6:7], s[4:5]
	s_cbranch_execz .LBB53_544
.LBB53_543:
	v_bfe_u32 v14, v10, 24, 3
	v_ffbh_u32_e32 v24, v14
	v_min_u32_e32 v24, 32, v24
	v_lshrrev_b32_e32 v22, 27, v10
	v_subrev_u32_e32 v25, 28, v24
	v_and_b32_e32 v21, 0x80000000, v10
	v_and_b32_e32 v22, 15, v22
	v_bfe_u32 v23, v10, 27, 4
	v_lshlrev_b32_sdwa v10, v25, v10 dst_sel:DWORD dst_unused:UNUSED_PAD src0_sel:DWORD src1_sel:BYTE_3
	v_sub_u32_e32 v24, 29, v24
	v_and_b32_e32 v10, 7, v10
	v_cmp_eq_u16_e32 vcc, 0, v22
	v_cndmask_b32_e32 v10, v14, v10, vcc
	v_cndmask_b32_e32 v14, v23, v24, vcc
	v_mov_b32_e32 v22, 0x3b800000
	v_lshlrev_b32_e32 v10, 20, v10
	v_lshl_add_u32 v14, v14, 23, v22
	v_or3_b32 v14, v21, v14, v10
.LBB53_544:
	s_or_b64 exec, exec, s[6:7]
	s_nop 0
	v_mfma_f32_16x16x4f32 a[0:3], v20, v14, a[0:3]
	s_movk_i32 s4, 0x7f
	v_cmp_gt_i16_sdwa s[6:7], v15, s4 src0_sel:BYTE_0 src1_sel:DWORD
	s_mov_b64 s[4:5], 0
                                        ; implicit-def: $sgpr10
	s_and_saveexec_b64 s[8:9], s[6:7]
	s_xor_b64 s[6:7], exec, s[8:9]
	s_cbranch_execnz .LBB53_2593
; %bb.545:
	s_or_saveexec_b64 s[6:7], s[6:7]
	v_mov_b32_e32 v10, s10
	s_xor_b64 exec, exec, s[6:7]
	s_cbranch_execnz .LBB53_2596
.LBB53_546:
	s_or_b64 exec, exec, s[6:7]
	s_and_saveexec_b64 s[6:7], s[4:5]
	s_cbranch_execz .LBB53_548
.LBB53_547:
	v_and_b32_e32 v10, 7, v15
	v_ffbh_u32_e32 v20, v10
	v_min_u32_e32 v20, 32, v20
	v_lshrrev_b16_e32 v14, 3, v15
	v_subrev_u32_e32 v21, 28, v20
	v_and_b32_e32 v14, 15, v14
	v_lshlrev_b32_e32 v21, v21, v15
	v_sub_u32_e32 v20, 29, v20
	v_and_b32_e32 v21, 7, v21
	v_cmp_eq_u16_e32 vcc, 0, v14
	v_cndmask_b32_e32 v10, v10, v21, vcc
	v_cndmask_b32_e32 v14, v14, v20, vcc
	v_lshlrev_b32_e32 v20, 24, v15
	v_mov_b32_e32 v21, 0x3b800000
	v_lshlrev_b32_e32 v10, 20, v10
	v_and_b32_e32 v20, 0x80000000, v20
	v_lshl_add_u32 v14, v14, 23, v21
	v_or3_b32 v10, v20, v14, v10
.LBB53_548:
	s_or_b64 exec, exec, s[6:7]
	s_movk_i32 s4, 0x7f
	v_cmp_gt_i16_sdwa s[6:7], v11, s4 src0_sel:BYTE_0 src1_sel:DWORD
	s_mov_b64 s[4:5], 0
                                        ; implicit-def: $sgpr10
	s_and_saveexec_b64 s[8:9], s[6:7]
	s_xor_b64 s[6:7], exec, s[8:9]
	s_cbranch_execnz .LBB53_2597
; %bb.549:
	s_or_saveexec_b64 s[6:7], s[6:7]
	v_mov_b32_e32 v14, s10
	s_xor_b64 exec, exec, s[6:7]
	s_cbranch_execnz .LBB53_2600
.LBB53_550:
	s_or_b64 exec, exec, s[6:7]
	s_and_saveexec_b64 s[6:7], s[4:5]
	s_cbranch_execz .LBB53_552
.LBB53_551:
	v_and_b32_e32 v14, 7, v11
	v_ffbh_u32_e32 v21, v14
	v_min_u32_e32 v21, 32, v21
	v_lshrrev_b16_e32 v20, 3, v11
	v_subrev_u32_e32 v22, 28, v21
	v_and_b32_e32 v20, 15, v20
	v_lshlrev_b32_e32 v22, v22, v11
	v_sub_u32_e32 v21, 29, v21
	v_and_b32_e32 v22, 7, v22
	v_cmp_eq_u16_e32 vcc, 0, v20
	v_cndmask_b32_e32 v14, v14, v22, vcc
	v_cndmask_b32_e32 v20, v20, v21, vcc
	v_lshlrev_b32_e32 v21, 24, v11
	v_mov_b32_e32 v22, 0x3b800000
	v_lshlrev_b32_e32 v14, 20, v14
	v_and_b32_e32 v21, 0x80000000, v21
	v_lshl_add_u32 v20, v20, 23, v22
	v_or3_b32 v14, v21, v20, v14
.LBB53_552:
	s_or_b64 exec, exec, s[6:7]
	s_nop 0
	v_mfma_f32_16x16x4f32 a[0:3], v10, v14, a[0:3]
	v_lshrrev_b32_e32 v14, 8, v15
	s_movk_i32 s4, 0x7f
	v_cmp_gt_i16_sdwa s[6:7], v14, s4 src0_sel:BYTE_0 src1_sel:DWORD
	s_mov_b64 s[4:5], 0
                                        ; implicit-def: $sgpr10
	s_and_saveexec_b64 s[8:9], s[6:7]
	s_xor_b64 s[6:7], exec, s[8:9]
	s_cbranch_execnz .LBB53_2601
; %bb.553:
	s_or_saveexec_b64 s[6:7], s[6:7]
	v_mov_b32_e32 v10, s10
	s_xor_b64 exec, exec, s[6:7]
	s_cbranch_execnz .LBB53_2604
.LBB53_554:
	s_or_b64 exec, exec, s[6:7]
	s_and_saveexec_b64 s[6:7], s[4:5]
	s_cbranch_execz .LBB53_556
.LBB53_555:
	v_bfe_u32 v10, v15, 8, 3
	v_ffbh_u32_e32 v21, v10
	v_min_u32_e32 v21, 32, v21
	v_lshrrev_b16_e32 v20, 3, v14
	v_subrev_u32_e32 v22, 28, v21
	v_and_b32_e32 v20, 15, v20
	v_lshlrev_b32_e32 v14, v22, v14
	v_sub_u32_e32 v21, 29, v21
	v_and_b32_e32 v14, 7, v14
	v_cmp_eq_u16_e32 vcc, 0, v20
	v_cndmask_b32_e32 v10, v10, v14, vcc
	v_cndmask_b32_e32 v14, v20, v21, vcc
	v_lshlrev_b32_e32 v20, 16, v15
	v_mov_b32_e32 v21, 0x3b800000
	v_lshlrev_b32_e32 v10, 20, v10
	v_and_b32_e32 v20, 0x80000000, v20
	v_lshl_add_u32 v14, v14, 23, v21
	v_or3_b32 v10, v20, v14, v10
.LBB53_556:
	s_or_b64 exec, exec, s[6:7]
	v_lshrrev_b32_e32 v14, 8, v11
	s_movk_i32 s4, 0x7f
	v_cmp_gt_i16_sdwa s[6:7], v14, s4 src0_sel:BYTE_0 src1_sel:DWORD
	s_mov_b64 s[4:5], 0
                                        ; implicit-def: $sgpr10
	s_and_saveexec_b64 s[8:9], s[6:7]
	s_xor_b64 s[6:7], exec, s[8:9]
	s_cbranch_execnz .LBB53_2605
; %bb.557:
	s_or_saveexec_b64 s[6:7], s[6:7]
	v_mov_b32_e32 v20, s10
	s_xor_b64 exec, exec, s[6:7]
	s_cbranch_execnz .LBB53_2608
.LBB53_558:
	s_or_b64 exec, exec, s[6:7]
	s_and_saveexec_b64 s[6:7], s[4:5]
	s_cbranch_execz .LBB53_560
.LBB53_559:
	v_bfe_u32 v20, v11, 8, 3
	v_ffbh_u32_e32 v22, v20
	v_min_u32_e32 v22, 32, v22
	v_lshrrev_b16_e32 v21, 3, v14
	v_subrev_u32_e32 v23, 28, v22
	v_and_b32_e32 v21, 15, v21
	v_lshlrev_b32_e32 v14, v23, v14
	v_sub_u32_e32 v22, 29, v22
	v_and_b32_e32 v14, 7, v14
	v_cmp_eq_u16_e32 vcc, 0, v21
	v_cndmask_b32_e32 v14, v20, v14, vcc
	v_cndmask_b32_e32 v20, v21, v22, vcc
	v_lshlrev_b32_e32 v21, 16, v11
	v_mov_b32_e32 v22, 0x3b800000
	v_lshlrev_b32_e32 v14, 20, v14
	v_and_b32_e32 v21, 0x80000000, v21
	v_lshl_add_u32 v20, v20, 23, v22
	v_or3_b32 v20, v21, v20, v14
.LBB53_560:
	s_or_b64 exec, exec, s[6:7]
	s_nop 0
	v_mfma_f32_16x16x4f32 a[0:3], v10, v20, a[0:3]
	s_movk_i32 s4, 0xff
	v_and_b32_sdwa v14, v15, s4 dst_sel:DWORD dst_unused:UNUSED_PAD src0_sel:WORD_1 src1_sel:DWORD
	s_movk_i32 s4, 0x7f
	v_cmp_lt_i16_e32 vcc, s4, v14
	s_mov_b64 s[4:5], 0
                                        ; implicit-def: $sgpr10
	s_and_saveexec_b64 s[6:7], vcc
	s_xor_b64 s[6:7], exec, s[6:7]
	s_cbranch_execnz .LBB53_2609
; %bb.561:
	s_or_saveexec_b64 s[6:7], s[6:7]
	v_mov_b32_e32 v10, s10
	s_xor_b64 exec, exec, s[6:7]
	s_cbranch_execnz .LBB53_2612
.LBB53_562:
	s_or_b64 exec, exec, s[6:7]
	s_and_saveexec_b64 s[6:7], s[4:5]
	s_cbranch_execz .LBB53_564
.LBB53_563:
	v_bfe_u32 v10, v15, 16, 3
	v_ffbh_u32_e32 v21, v10
	v_min_u32_e32 v21, 32, v21
	v_lshrrev_b32_e32 v14, 19, v15
	v_subrev_u32_e32 v22, 28, v21
	v_and_b32_e32 v14, 15, v14
	v_lshlrev_b32_sdwa v22, v22, v15 dst_sel:DWORD dst_unused:UNUSED_PAD src0_sel:DWORD src1_sel:WORD_1
	v_bfe_u32 v20, v15, 19, 4
	v_sub_u32_e32 v21, 29, v21
	v_and_b32_e32 v22, 7, v22
	v_cmp_eq_u16_e32 vcc, 0, v14
	v_cndmask_b32_e32 v10, v10, v22, vcc
	v_cndmask_b32_e32 v14, v20, v21, vcc
	v_lshlrev_b32_e32 v20, 8, v15
	v_mov_b32_e32 v21, 0x3b800000
	v_lshlrev_b32_e32 v10, 20, v10
	v_and_b32_e32 v20, 0x80000000, v20
	v_lshl_add_u32 v14, v14, 23, v21
	v_or3_b32 v10, v20, v14, v10
.LBB53_564:
	s_or_b64 exec, exec, s[6:7]
	s_movk_i32 s4, 0xff
	v_and_b32_sdwa v14, v11, s4 dst_sel:DWORD dst_unused:UNUSED_PAD src0_sel:WORD_1 src1_sel:DWORD
	s_movk_i32 s4, 0x7f
	v_cmp_lt_i16_e32 vcc, s4, v14
	s_mov_b64 s[4:5], 0
                                        ; implicit-def: $sgpr10
	s_and_saveexec_b64 s[6:7], vcc
	s_xor_b64 s[6:7], exec, s[6:7]
	s_cbranch_execnz .LBB53_2613
; %bb.565:
	s_or_saveexec_b64 s[6:7], s[6:7]
	v_mov_b32_e32 v20, s10
	s_xor_b64 exec, exec, s[6:7]
	s_cbranch_execnz .LBB53_2616
.LBB53_566:
	s_or_b64 exec, exec, s[6:7]
	s_and_saveexec_b64 s[6:7], s[4:5]
	s_cbranch_execz .LBB53_568
.LBB53_567:
	v_bfe_u32 v14, v11, 16, 3
	v_ffbh_u32_e32 v22, v14
	v_min_u32_e32 v22, 32, v22
	v_lshrrev_b32_e32 v20, 19, v11
	v_subrev_u32_e32 v23, 28, v22
	v_and_b32_e32 v20, 15, v20
	v_lshlrev_b32_sdwa v23, v23, v11 dst_sel:DWORD dst_unused:UNUSED_PAD src0_sel:DWORD src1_sel:WORD_1
	v_bfe_u32 v21, v11, 19, 4
	v_sub_u32_e32 v22, 29, v22
	v_and_b32_e32 v23, 7, v23
	v_cmp_eq_u16_e32 vcc, 0, v20
	v_cndmask_b32_e32 v14, v14, v23, vcc
	v_cndmask_b32_e32 v20, v21, v22, vcc
	v_lshlrev_b32_e32 v21, 8, v11
	v_mov_b32_e32 v22, 0x3b800000
	v_lshlrev_b32_e32 v14, 20, v14
	v_and_b32_e32 v21, 0x80000000, v21
	v_lshl_add_u32 v20, v20, 23, v22
	v_or3_b32 v20, v21, v20, v14
.LBB53_568:
	s_or_b64 exec, exec, s[6:7]
	s_nop 0
	v_mfma_f32_16x16x4f32 a[0:3], v10, v20, a[0:3]
	s_movk_i32 s4, 0x7f
	v_cmp_gt_i16_sdwa s[6:7], v15, s4 src0_sel:BYTE_3 src1_sel:DWORD
	s_mov_b64 s[4:5], 0
                                        ; implicit-def: $sgpr10
	s_and_saveexec_b64 s[8:9], s[6:7]
	s_xor_b64 s[6:7], exec, s[8:9]
	s_cbranch_execnz .LBB53_2617
; %bb.569:
	s_or_saveexec_b64 s[6:7], s[6:7]
	v_mov_b32_e32 v10, s10
	s_xor_b64 exec, exec, s[6:7]
	s_cbranch_execnz .LBB53_2620
.LBB53_570:
	s_or_b64 exec, exec, s[6:7]
	s_and_saveexec_b64 s[6:7], s[4:5]
	s_cbranch_execz .LBB53_572
.LBB53_571:
	v_bfe_u32 v10, v15, 24, 3
	v_ffbh_u32_e32 v22, v10
	v_min_u32_e32 v22, 32, v22
	v_lshrrev_b32_e32 v20, 27, v15
	v_subrev_u32_e32 v23, 28, v22
	v_and_b32_e32 v14, 0x80000000, v15
	v_and_b32_e32 v20, 15, v20
	v_bfe_u32 v21, v15, 27, 4
	v_lshlrev_b32_sdwa v15, v23, v15 dst_sel:DWORD dst_unused:UNUSED_PAD src0_sel:DWORD src1_sel:BYTE_3
	v_sub_u32_e32 v22, 29, v22
	v_and_b32_e32 v15, 7, v15
	v_cmp_eq_u16_e32 vcc, 0, v20
	v_cndmask_b32_e32 v10, v10, v15, vcc
	v_cndmask_b32_e32 v15, v21, v22, vcc
	v_mov_b32_e32 v20, 0x3b800000
	v_lshlrev_b32_e32 v10, 20, v10
	v_lshl_add_u32 v15, v15, 23, v20
	v_or3_b32 v10, v14, v15, v10
.LBB53_572:
	s_or_b64 exec, exec, s[6:7]
	s_movk_i32 s4, 0x7f
	v_cmp_gt_i16_sdwa s[6:7], v11, s4 src0_sel:BYTE_3 src1_sel:DWORD
	s_mov_b64 s[4:5], 0
                                        ; implicit-def: $sgpr10
	s_and_saveexec_b64 s[8:9], s[6:7]
	s_xor_b64 s[6:7], exec, s[8:9]
	s_cbranch_execnz .LBB53_2621
; %bb.573:
	s_or_saveexec_b64 s[6:7], s[6:7]
	v_mov_b32_e32 v14, s10
	s_xor_b64 exec, exec, s[6:7]
	s_cbranch_execnz .LBB53_2624
.LBB53_574:
	s_or_b64 exec, exec, s[6:7]
	s_and_saveexec_b64 s[6:7], s[4:5]
	s_cbranch_execz .LBB53_576
.LBB53_575:
	v_bfe_u32 v14, v11, 24, 3
	v_ffbh_u32_e32 v22, v14
	v_min_u32_e32 v22, 32, v22
	v_lshrrev_b32_e32 v20, 27, v11
	v_subrev_u32_e32 v23, 28, v22
	v_and_b32_e32 v15, 0x80000000, v11
	v_and_b32_e32 v20, 15, v20
	v_bfe_u32 v21, v11, 27, 4
	v_lshlrev_b32_sdwa v11, v23, v11 dst_sel:DWORD dst_unused:UNUSED_PAD src0_sel:DWORD src1_sel:BYTE_3
	v_sub_u32_e32 v22, 29, v22
	v_and_b32_e32 v11, 7, v11
	v_cmp_eq_u16_e32 vcc, 0, v20
	v_cndmask_b32_e32 v11, v14, v11, vcc
	v_cndmask_b32_e32 v14, v21, v22, vcc
	v_mov_b32_e32 v20, 0x3b800000
	v_lshlrev_b32_e32 v11, 20, v11
	v_lshl_add_u32 v14, v14, 23, v20
	v_or3_b32 v14, v15, v14, v11
.LBB53_576:
	s_or_b64 exec, exec, s[6:7]
	s_nop 0
	v_mfma_f32_16x16x4f32 a[0:3], v10, v14, a[0:3]
	s_movk_i32 s4, 0x7f
	v_cmp_gt_i16_sdwa s[6:7], v16, s4 src0_sel:BYTE_0 src1_sel:DWORD
	s_mov_b64 s[4:5], 0
                                        ; implicit-def: $sgpr10
	s_and_saveexec_b64 s[8:9], s[6:7]
	s_xor_b64 s[6:7], exec, s[8:9]
	s_cbranch_execnz .LBB53_2625
; %bb.577:
	s_or_saveexec_b64 s[6:7], s[6:7]
	v_mov_b32_e32 v10, s10
	s_xor_b64 exec, exec, s[6:7]
	s_cbranch_execnz .LBB53_2628
.LBB53_578:
	s_or_b64 exec, exec, s[6:7]
	s_and_saveexec_b64 s[6:7], s[4:5]
	s_cbranch_execz .LBB53_580
.LBB53_579:
	v_and_b32_e32 v10, 7, v16
	v_ffbh_u32_e32 v14, v10
	v_min_u32_e32 v14, 32, v14
	v_lshrrev_b16_e32 v11, 3, v16
	v_subrev_u32_e32 v15, 28, v14
	v_and_b32_e32 v11, 15, v11
	v_lshlrev_b32_e32 v15, v15, v16
	v_sub_u32_e32 v14, 29, v14
	v_and_b32_e32 v15, 7, v15
	v_cmp_eq_u16_e32 vcc, 0, v11
	v_cndmask_b32_e32 v10, v10, v15, vcc
	v_cndmask_b32_e32 v11, v11, v14, vcc
	v_lshlrev_b32_e32 v14, 24, v16
	v_mov_b32_e32 v15, 0x3b800000
	v_lshlrev_b32_e32 v10, 20, v10
	v_and_b32_e32 v14, 0x80000000, v14
	v_lshl_add_u32 v11, v11, 23, v15
	v_or3_b32 v10, v14, v11, v10
.LBB53_580:
	s_or_b64 exec, exec, s[6:7]
	s_movk_i32 s4, 0x7f
	v_cmp_gt_i16_sdwa s[6:7], v12, s4 src0_sel:BYTE_0 src1_sel:DWORD
	s_mov_b64 s[4:5], 0
                                        ; implicit-def: $sgpr10
	s_and_saveexec_b64 s[8:9], s[6:7]
	s_xor_b64 s[6:7], exec, s[8:9]
	s_cbranch_execnz .LBB53_2629
; %bb.581:
	s_or_saveexec_b64 s[6:7], s[6:7]
	v_mov_b32_e32 v11, s10
	s_xor_b64 exec, exec, s[6:7]
	s_cbranch_execnz .LBB53_2632
.LBB53_582:
	s_or_b64 exec, exec, s[6:7]
	s_and_saveexec_b64 s[6:7], s[4:5]
	s_cbranch_execz .LBB53_584
.LBB53_583:
	v_and_b32_e32 v11, 7, v12
	v_ffbh_u32_e32 v15, v11
	v_min_u32_e32 v15, 32, v15
	v_lshrrev_b16_e32 v14, 3, v12
	v_subrev_u32_e32 v20, 28, v15
	v_and_b32_e32 v14, 15, v14
	v_lshlrev_b32_e32 v20, v20, v12
	v_sub_u32_e32 v15, 29, v15
	v_and_b32_e32 v20, 7, v20
	v_cmp_eq_u16_e32 vcc, 0, v14
	v_cndmask_b32_e32 v11, v11, v20, vcc
	v_cndmask_b32_e32 v14, v14, v15, vcc
	v_lshlrev_b32_e32 v15, 24, v12
	v_mov_b32_e32 v20, 0x3b800000
	v_lshlrev_b32_e32 v11, 20, v11
	v_and_b32_e32 v15, 0x80000000, v15
	v_lshl_add_u32 v14, v14, 23, v20
	v_or3_b32 v11, v15, v14, v11
.LBB53_584:
	s_or_b64 exec, exec, s[6:7]
	s_nop 0
	v_mfma_f32_16x16x4f32 a[0:3], v10, v11, a[0:3]
	v_lshrrev_b32_e32 v11, 8, v16
	s_movk_i32 s4, 0x7f
	v_cmp_gt_i16_sdwa s[6:7], v11, s4 src0_sel:BYTE_0 src1_sel:DWORD
	s_mov_b64 s[4:5], 0
                                        ; implicit-def: $sgpr10
	s_and_saveexec_b64 s[8:9], s[6:7]
	s_xor_b64 s[6:7], exec, s[8:9]
	s_cbranch_execnz .LBB53_2633
; %bb.585:
	s_or_saveexec_b64 s[6:7], s[6:7]
	v_mov_b32_e32 v10, s10
	s_xor_b64 exec, exec, s[6:7]
	s_cbranch_execnz .LBB53_2636
.LBB53_586:
	s_or_b64 exec, exec, s[6:7]
	s_and_saveexec_b64 s[6:7], s[4:5]
	s_cbranch_execz .LBB53_588
.LBB53_587:
	v_bfe_u32 v10, v16, 8, 3
	v_ffbh_u32_e32 v15, v10
	v_min_u32_e32 v15, 32, v15
	v_lshrrev_b16_e32 v14, 3, v11
	v_subrev_u32_e32 v20, 28, v15
	v_and_b32_e32 v14, 15, v14
	v_lshlrev_b32_e32 v11, v20, v11
	v_sub_u32_e32 v15, 29, v15
	v_and_b32_e32 v11, 7, v11
	v_cmp_eq_u16_e32 vcc, 0, v14
	v_cndmask_b32_e32 v10, v10, v11, vcc
	v_cndmask_b32_e32 v11, v14, v15, vcc
	v_lshlrev_b32_e32 v14, 16, v16
	v_mov_b32_e32 v15, 0x3b800000
	v_lshlrev_b32_e32 v10, 20, v10
	v_and_b32_e32 v14, 0x80000000, v14
	v_lshl_add_u32 v11, v11, 23, v15
	v_or3_b32 v10, v14, v11, v10
.LBB53_588:
	s_or_b64 exec, exec, s[6:7]
	v_lshrrev_b32_e32 v11, 8, v12
	s_movk_i32 s4, 0x7f
	v_cmp_gt_i16_sdwa s[6:7], v11, s4 src0_sel:BYTE_0 src1_sel:DWORD
	s_mov_b64 s[4:5], 0
                                        ; implicit-def: $sgpr10
	s_and_saveexec_b64 s[8:9], s[6:7]
	s_xor_b64 s[6:7], exec, s[8:9]
	s_cbranch_execnz .LBB53_2637
; %bb.589:
	s_or_saveexec_b64 s[6:7], s[6:7]
	v_mov_b32_e32 v14, s10
	s_xor_b64 exec, exec, s[6:7]
	s_cbranch_execnz .LBB53_2640
.LBB53_590:
	s_or_b64 exec, exec, s[6:7]
	s_and_saveexec_b64 s[6:7], s[4:5]
	s_cbranch_execz .LBB53_592
.LBB53_591:
	v_bfe_u32 v14, v12, 8, 3
	v_ffbh_u32_e32 v20, v14
	v_min_u32_e32 v20, 32, v20
	v_lshrrev_b16_e32 v15, 3, v11
	v_subrev_u32_e32 v21, 28, v20
	v_and_b32_e32 v15, 15, v15
	v_lshlrev_b32_e32 v11, v21, v11
	v_sub_u32_e32 v20, 29, v20
	v_and_b32_e32 v11, 7, v11
	v_cmp_eq_u16_e32 vcc, 0, v15
	v_cndmask_b32_e32 v11, v14, v11, vcc
	v_cndmask_b32_e32 v14, v15, v20, vcc
	v_lshlrev_b32_e32 v15, 16, v12
	v_mov_b32_e32 v20, 0x3b800000
	v_lshlrev_b32_e32 v11, 20, v11
	v_and_b32_e32 v15, 0x80000000, v15
	v_lshl_add_u32 v14, v14, 23, v20
	v_or3_b32 v14, v15, v14, v11
.LBB53_592:
	s_or_b64 exec, exec, s[6:7]
	s_nop 0
	v_mfma_f32_16x16x4f32 a[0:3], v10, v14, a[0:3]
	s_movk_i32 s4, 0xff
	v_and_b32_sdwa v11, v16, s4 dst_sel:DWORD dst_unused:UNUSED_PAD src0_sel:WORD_1 src1_sel:DWORD
	s_movk_i32 s4, 0x7f
	v_cmp_lt_i16_e32 vcc, s4, v11
	s_mov_b64 s[4:5], 0
                                        ; implicit-def: $sgpr10
	s_and_saveexec_b64 s[6:7], vcc
	s_xor_b64 s[6:7], exec, s[6:7]
	s_cbranch_execnz .LBB53_2641
; %bb.593:
	s_or_saveexec_b64 s[6:7], s[6:7]
	v_mov_b32_e32 v10, s10
	s_xor_b64 exec, exec, s[6:7]
	s_cbranch_execnz .LBB53_2644
.LBB53_594:
	s_or_b64 exec, exec, s[6:7]
	s_and_saveexec_b64 s[6:7], s[4:5]
	s_cbranch_execz .LBB53_596
.LBB53_595:
	v_bfe_u32 v10, v16, 16, 3
	v_ffbh_u32_e32 v15, v10
	v_min_u32_e32 v15, 32, v15
	v_lshrrev_b32_e32 v11, 19, v16
	v_subrev_u32_e32 v20, 28, v15
	v_and_b32_e32 v11, 15, v11
	v_lshlrev_b32_sdwa v20, v20, v16 dst_sel:DWORD dst_unused:UNUSED_PAD src0_sel:DWORD src1_sel:WORD_1
	v_bfe_u32 v14, v16, 19, 4
	v_sub_u32_e32 v15, 29, v15
	v_and_b32_e32 v20, 7, v20
	v_cmp_eq_u16_e32 vcc, 0, v11
	v_cndmask_b32_e32 v10, v10, v20, vcc
	v_cndmask_b32_e32 v11, v14, v15, vcc
	v_lshlrev_b32_e32 v14, 8, v16
	v_mov_b32_e32 v15, 0x3b800000
	v_lshlrev_b32_e32 v10, 20, v10
	v_and_b32_e32 v14, 0x80000000, v14
	v_lshl_add_u32 v11, v11, 23, v15
	v_or3_b32 v10, v14, v11, v10
.LBB53_596:
	s_or_b64 exec, exec, s[6:7]
	s_movk_i32 s4, 0xff
	v_and_b32_sdwa v11, v12, s4 dst_sel:DWORD dst_unused:UNUSED_PAD src0_sel:WORD_1 src1_sel:DWORD
	s_movk_i32 s4, 0x7f
	v_cmp_lt_i16_e32 vcc, s4, v11
	s_mov_b64 s[4:5], 0
                                        ; implicit-def: $sgpr10
	s_and_saveexec_b64 s[6:7], vcc
	s_xor_b64 s[6:7], exec, s[6:7]
	s_cbranch_execnz .LBB53_2645
; %bb.597:
	s_or_saveexec_b64 s[6:7], s[6:7]
	v_mov_b32_e32 v14, s10
	s_xor_b64 exec, exec, s[6:7]
	s_cbranch_execnz .LBB53_2648
.LBB53_598:
	s_or_b64 exec, exec, s[6:7]
	s_and_saveexec_b64 s[6:7], s[4:5]
	s_cbranch_execz .LBB53_600
.LBB53_599:
	v_bfe_u32 v11, v12, 16, 3
	v_ffbh_u32_e32 v20, v11
	v_min_u32_e32 v20, 32, v20
	v_lshrrev_b32_e32 v14, 19, v12
	v_subrev_u32_e32 v21, 28, v20
	v_and_b32_e32 v14, 15, v14
	v_lshlrev_b32_sdwa v21, v21, v12 dst_sel:DWORD dst_unused:UNUSED_PAD src0_sel:DWORD src1_sel:WORD_1
	v_bfe_u32 v15, v12, 19, 4
	v_sub_u32_e32 v20, 29, v20
	v_and_b32_e32 v21, 7, v21
	v_cmp_eq_u16_e32 vcc, 0, v14
	v_cndmask_b32_e32 v11, v11, v21, vcc
	v_cndmask_b32_e32 v14, v15, v20, vcc
	v_lshlrev_b32_e32 v15, 8, v12
	v_mov_b32_e32 v20, 0x3b800000
	v_lshlrev_b32_e32 v11, 20, v11
	v_and_b32_e32 v15, 0x80000000, v15
	v_lshl_add_u32 v14, v14, 23, v20
	v_or3_b32 v14, v15, v14, v11
.LBB53_600:
	s_or_b64 exec, exec, s[6:7]
	s_nop 0
	v_mfma_f32_16x16x4f32 a[0:3], v10, v14, a[0:3]
	s_movk_i32 s4, 0x7f
	v_cmp_gt_i16_sdwa s[6:7], v16, s4 src0_sel:BYTE_3 src1_sel:DWORD
	s_mov_b64 s[4:5], 0
                                        ; implicit-def: $sgpr10
	s_and_saveexec_b64 s[8:9], s[6:7]
	s_xor_b64 s[6:7], exec, s[8:9]
	s_cbranch_execnz .LBB53_2649
; %bb.601:
	s_or_saveexec_b64 s[6:7], s[6:7]
	v_mov_b32_e32 v10, s10
	s_xor_b64 exec, exec, s[6:7]
	s_cbranch_execnz .LBB53_2652
.LBB53_602:
	s_or_b64 exec, exec, s[6:7]
	s_and_saveexec_b64 s[6:7], s[4:5]
	s_cbranch_execz .LBB53_604
.LBB53_603:
	v_bfe_u32 v10, v16, 24, 3
	v_ffbh_u32_e32 v20, v10
	v_min_u32_e32 v20, 32, v20
	v_lshrrev_b32_e32 v14, 27, v16
	v_subrev_u32_e32 v21, 28, v20
	v_and_b32_e32 v11, 0x80000000, v16
	v_and_b32_e32 v14, 15, v14
	v_bfe_u32 v15, v16, 27, 4
	v_lshlrev_b32_sdwa v16, v21, v16 dst_sel:DWORD dst_unused:UNUSED_PAD src0_sel:DWORD src1_sel:BYTE_3
	v_sub_u32_e32 v20, 29, v20
	v_and_b32_e32 v16, 7, v16
	v_cmp_eq_u16_e32 vcc, 0, v14
	v_cndmask_b32_e32 v10, v10, v16, vcc
	v_cndmask_b32_e32 v14, v15, v20, vcc
	v_mov_b32_e32 v15, 0x3b800000
	v_lshlrev_b32_e32 v10, 20, v10
	v_lshl_add_u32 v14, v14, 23, v15
	v_or3_b32 v10, v11, v14, v10
.LBB53_604:
	s_or_b64 exec, exec, s[6:7]
	s_movk_i32 s4, 0x7f
	v_cmp_gt_i16_sdwa s[6:7], v12, s4 src0_sel:BYTE_3 src1_sel:DWORD
	s_mov_b64 s[4:5], 0
                                        ; implicit-def: $sgpr10
	s_and_saveexec_b64 s[8:9], s[6:7]
	s_xor_b64 s[6:7], exec, s[8:9]
	s_cbranch_execnz .LBB53_2653
; %bb.605:
	s_or_saveexec_b64 s[6:7], s[6:7]
	v_mov_b32_e32 v11, s10
	s_xor_b64 exec, exec, s[6:7]
	s_cbranch_execnz .LBB53_2656
.LBB53_606:
	s_or_b64 exec, exec, s[6:7]
	s_and_saveexec_b64 s[6:7], s[4:5]
	s_cbranch_execz .LBB53_608
.LBB53_607:
	v_bfe_u32 v11, v12, 24, 3
	v_ffbh_u32_e32 v20, v11
	v_min_u32_e32 v20, 32, v20
	v_lshrrev_b32_e32 v15, 27, v12
	v_subrev_u32_e32 v21, 28, v20
	v_and_b32_e32 v14, 0x80000000, v12
	v_and_b32_e32 v15, 15, v15
	v_bfe_u32 v16, v12, 27, 4
	v_lshlrev_b32_sdwa v12, v21, v12 dst_sel:DWORD dst_unused:UNUSED_PAD src0_sel:DWORD src1_sel:BYTE_3
	v_sub_u32_e32 v20, 29, v20
	v_and_b32_e32 v12, 7, v12
	v_cmp_eq_u16_e32 vcc, 0, v15
	v_cndmask_b32_e32 v11, v11, v12, vcc
	v_cndmask_b32_e32 v12, v16, v20, vcc
	v_mov_b32_e32 v15, 0x3b800000
	v_lshlrev_b32_e32 v11, 20, v11
	v_lshl_add_u32 v12, v12, 23, v15
	v_or3_b32 v11, v14, v12, v11
.LBB53_608:
	s_or_b64 exec, exec, s[6:7]
	s_nop 0
	v_mfma_f32_16x16x4f32 a[0:3], v10, v11, a[0:3]
	s_movk_i32 s4, 0x7f
	v_cmp_gt_i16_sdwa s[6:7], v17, s4 src0_sel:BYTE_0 src1_sel:DWORD
	s_mov_b64 s[4:5], 0
                                        ; implicit-def: $sgpr10
	s_and_saveexec_b64 s[8:9], s[6:7]
	s_xor_b64 s[6:7], exec, s[8:9]
	s_cbranch_execnz .LBB53_2657
; %bb.609:
	s_or_saveexec_b64 s[6:7], s[6:7]
	v_mov_b32_e32 v10, s10
	s_xor_b64 exec, exec, s[6:7]
	s_cbranch_execnz .LBB53_2660
.LBB53_610:
	s_or_b64 exec, exec, s[6:7]
	s_and_saveexec_b64 s[6:7], s[4:5]
	s_cbranch_execz .LBB53_612
.LBB53_611:
	v_and_b32_e32 v10, 7, v17
	v_ffbh_u32_e32 v12, v10
	v_min_u32_e32 v12, 32, v12
	v_lshrrev_b16_e32 v11, 3, v17
	v_subrev_u32_e32 v14, 28, v12
	v_and_b32_e32 v11, 15, v11
	v_lshlrev_b32_e32 v14, v14, v17
	v_sub_u32_e32 v12, 29, v12
	v_and_b32_e32 v14, 7, v14
	v_cmp_eq_u16_e32 vcc, 0, v11
	v_cndmask_b32_e32 v10, v10, v14, vcc
	v_cndmask_b32_e32 v11, v11, v12, vcc
	v_lshlrev_b32_e32 v12, 24, v17
	v_mov_b32_e32 v14, 0x3b800000
	v_lshlrev_b32_e32 v10, 20, v10
	v_and_b32_e32 v12, 0x80000000, v12
	v_lshl_add_u32 v11, v11, 23, v14
	v_or3_b32 v10, v12, v11, v10
.LBB53_612:
	s_or_b64 exec, exec, s[6:7]
	s_movk_i32 s4, 0x7f
	v_cmp_gt_i16_sdwa s[6:7], v13, s4 src0_sel:BYTE_0 src1_sel:DWORD
	s_mov_b64 s[4:5], 0
                                        ; implicit-def: $sgpr10
	s_and_saveexec_b64 s[8:9], s[6:7]
	s_xor_b64 s[6:7], exec, s[8:9]
	s_cbranch_execnz .LBB53_2661
; %bb.613:
	s_or_saveexec_b64 s[6:7], s[6:7]
	v_mov_b32_e32 v11, s10
	s_xor_b64 exec, exec, s[6:7]
	s_cbranch_execnz .LBB53_2664
.LBB53_614:
	s_or_b64 exec, exec, s[6:7]
	s_and_saveexec_b64 s[6:7], s[4:5]
	s_cbranch_execz .LBB53_616
.LBB53_615:
	v_and_b32_e32 v11, 7, v13
	v_ffbh_u32_e32 v14, v11
	v_min_u32_e32 v14, 32, v14
	v_lshrrev_b16_e32 v12, 3, v13
	v_subrev_u32_e32 v15, 28, v14
	v_and_b32_e32 v12, 15, v12
	v_lshlrev_b32_e32 v15, v15, v13
	v_sub_u32_e32 v14, 29, v14
	v_and_b32_e32 v15, 7, v15
	v_cmp_eq_u16_e32 vcc, 0, v12
	v_cndmask_b32_e32 v11, v11, v15, vcc
	v_cndmask_b32_e32 v12, v12, v14, vcc
	v_lshlrev_b32_e32 v14, 24, v13
	v_mov_b32_e32 v15, 0x3b800000
	v_lshlrev_b32_e32 v11, 20, v11
	v_and_b32_e32 v14, 0x80000000, v14
	v_lshl_add_u32 v12, v12, 23, v15
	v_or3_b32 v11, v14, v12, v11
.LBB53_616:
	s_or_b64 exec, exec, s[6:7]
	s_nop 0
	v_mfma_f32_16x16x4f32 a[0:3], v10, v11, a[0:3]
	v_lshrrev_b32_e32 v11, 8, v17
	s_movk_i32 s4, 0x7f
	v_cmp_gt_i16_sdwa s[6:7], v11, s4 src0_sel:BYTE_0 src1_sel:DWORD
	s_mov_b64 s[4:5], 0
                                        ; implicit-def: $sgpr10
	s_and_saveexec_b64 s[8:9], s[6:7]
	s_xor_b64 s[6:7], exec, s[8:9]
	s_cbranch_execnz .LBB53_2665
; %bb.617:
	s_or_saveexec_b64 s[6:7], s[6:7]
	v_mov_b32_e32 v10, s10
	s_xor_b64 exec, exec, s[6:7]
	s_cbranch_execnz .LBB53_2668
.LBB53_618:
	s_or_b64 exec, exec, s[6:7]
	s_and_saveexec_b64 s[6:7], s[4:5]
	s_cbranch_execz .LBB53_620
.LBB53_619:
	v_bfe_u32 v10, v17, 8, 3
	v_ffbh_u32_e32 v14, v10
	v_min_u32_e32 v14, 32, v14
	v_lshrrev_b16_e32 v12, 3, v11
	v_subrev_u32_e32 v15, 28, v14
	v_and_b32_e32 v12, 15, v12
	v_lshlrev_b32_e32 v11, v15, v11
	v_sub_u32_e32 v14, 29, v14
	v_and_b32_e32 v11, 7, v11
	v_cmp_eq_u16_e32 vcc, 0, v12
	v_cndmask_b32_e32 v10, v10, v11, vcc
	v_cndmask_b32_e32 v11, v12, v14, vcc
	v_lshlrev_b32_e32 v12, 16, v17
	v_mov_b32_e32 v14, 0x3b800000
	v_lshlrev_b32_e32 v10, 20, v10
	v_and_b32_e32 v12, 0x80000000, v12
	v_lshl_add_u32 v11, v11, 23, v14
	v_or3_b32 v10, v12, v11, v10
.LBB53_620:
	s_or_b64 exec, exec, s[6:7]
	v_lshrrev_b32_e32 v11, 8, v13
	s_movk_i32 s4, 0x7f
	v_cmp_gt_i16_sdwa s[6:7], v11, s4 src0_sel:BYTE_0 src1_sel:DWORD
	s_mov_b64 s[4:5], 0
                                        ; implicit-def: $sgpr10
	s_and_saveexec_b64 s[8:9], s[6:7]
	s_xor_b64 s[6:7], exec, s[8:9]
	s_cbranch_execnz .LBB53_2669
; %bb.621:
	s_or_saveexec_b64 s[6:7], s[6:7]
	v_mov_b32_e32 v12, s10
	s_xor_b64 exec, exec, s[6:7]
	s_cbranch_execnz .LBB53_2672
.LBB53_622:
	s_or_b64 exec, exec, s[6:7]
	s_and_saveexec_b64 s[6:7], s[4:5]
	s_cbranch_execz .LBB53_624
.LBB53_623:
	v_bfe_u32 v12, v13, 8, 3
	v_ffbh_u32_e32 v15, v12
	v_min_u32_e32 v15, 32, v15
	v_lshrrev_b16_e32 v14, 3, v11
	v_subrev_u32_e32 v16, 28, v15
	v_and_b32_e32 v14, 15, v14
	v_lshlrev_b32_e32 v11, v16, v11
	v_sub_u32_e32 v15, 29, v15
	v_and_b32_e32 v11, 7, v11
	v_cmp_eq_u16_e32 vcc, 0, v14
	v_cndmask_b32_e32 v11, v12, v11, vcc
	v_cndmask_b32_e32 v12, v14, v15, vcc
	v_lshlrev_b32_e32 v14, 16, v13
	v_mov_b32_e32 v15, 0x3b800000
	v_lshlrev_b32_e32 v11, 20, v11
	v_and_b32_e32 v14, 0x80000000, v14
	v_lshl_add_u32 v12, v12, 23, v15
	v_or3_b32 v12, v14, v12, v11
.LBB53_624:
	s_or_b64 exec, exec, s[6:7]
	s_nop 0
	v_mfma_f32_16x16x4f32 a[0:3], v10, v12, a[0:3]
	s_movk_i32 s4, 0xff
	v_and_b32_sdwa v11, v17, s4 dst_sel:DWORD dst_unused:UNUSED_PAD src0_sel:WORD_1 src1_sel:DWORD
	s_movk_i32 s4, 0x7f
	v_cmp_lt_i16_e32 vcc, s4, v11
	s_mov_b64 s[4:5], 0
                                        ; implicit-def: $sgpr10
	s_and_saveexec_b64 s[6:7], vcc
	s_xor_b64 s[6:7], exec, s[6:7]
	s_cbranch_execnz .LBB53_2673
; %bb.625:
	s_or_saveexec_b64 s[6:7], s[6:7]
	v_mov_b32_e32 v10, s10
	s_xor_b64 exec, exec, s[6:7]
	s_cbranch_execnz .LBB53_2676
.LBB53_626:
	s_or_b64 exec, exec, s[6:7]
	s_and_saveexec_b64 s[6:7], s[4:5]
	s_cbranch_execz .LBB53_628
.LBB53_627:
	v_bfe_u32 v10, v17, 16, 3
	v_ffbh_u32_e32 v14, v10
	v_min_u32_e32 v14, 32, v14
	v_lshrrev_b32_e32 v11, 19, v17
	v_subrev_u32_e32 v15, 28, v14
	v_and_b32_e32 v11, 15, v11
	v_lshlrev_b32_sdwa v15, v15, v17 dst_sel:DWORD dst_unused:UNUSED_PAD src0_sel:DWORD src1_sel:WORD_1
	v_bfe_u32 v12, v17, 19, 4
	v_sub_u32_e32 v14, 29, v14
	v_and_b32_e32 v15, 7, v15
	v_cmp_eq_u16_e32 vcc, 0, v11
	v_cndmask_b32_e32 v10, v10, v15, vcc
	v_cndmask_b32_e32 v11, v12, v14, vcc
	v_lshlrev_b32_e32 v12, 8, v17
	v_mov_b32_e32 v14, 0x3b800000
	v_lshlrev_b32_e32 v10, 20, v10
	v_and_b32_e32 v12, 0x80000000, v12
	v_lshl_add_u32 v11, v11, 23, v14
	v_or3_b32 v10, v12, v11, v10
.LBB53_628:
	s_or_b64 exec, exec, s[6:7]
	s_movk_i32 s4, 0xff
	v_and_b32_sdwa v11, v13, s4 dst_sel:DWORD dst_unused:UNUSED_PAD src0_sel:WORD_1 src1_sel:DWORD
	s_movk_i32 s4, 0x7f
	v_cmp_lt_i16_e32 vcc, s4, v11
	s_mov_b64 s[4:5], 0
                                        ; implicit-def: $sgpr10
	s_and_saveexec_b64 s[6:7], vcc
	s_xor_b64 s[6:7], exec, s[6:7]
	s_cbranch_execnz .LBB53_2677
; %bb.629:
	s_or_saveexec_b64 s[6:7], s[6:7]
	v_mov_b32_e32 v12, s10
	s_xor_b64 exec, exec, s[6:7]
	s_cbranch_execnz .LBB53_2680
.LBB53_630:
	s_or_b64 exec, exec, s[6:7]
	s_and_saveexec_b64 s[6:7], s[4:5]
	s_cbranch_execz .LBB53_632
.LBB53_631:
	v_bfe_u32 v11, v13, 16, 3
	v_ffbh_u32_e32 v15, v11
	v_min_u32_e32 v15, 32, v15
	v_lshrrev_b32_e32 v12, 19, v13
	v_subrev_u32_e32 v16, 28, v15
	v_and_b32_e32 v12, 15, v12
	v_lshlrev_b32_sdwa v16, v16, v13 dst_sel:DWORD dst_unused:UNUSED_PAD src0_sel:DWORD src1_sel:WORD_1
	v_bfe_u32 v14, v13, 19, 4
	v_sub_u32_e32 v15, 29, v15
	v_and_b32_e32 v16, 7, v16
	v_cmp_eq_u16_e32 vcc, 0, v12
	v_cndmask_b32_e32 v11, v11, v16, vcc
	v_cndmask_b32_e32 v12, v14, v15, vcc
	v_lshlrev_b32_e32 v14, 8, v13
	v_mov_b32_e32 v15, 0x3b800000
	v_lshlrev_b32_e32 v11, 20, v11
	v_and_b32_e32 v14, 0x80000000, v14
	v_lshl_add_u32 v12, v12, 23, v15
	v_or3_b32 v12, v14, v12, v11
.LBB53_632:
	s_or_b64 exec, exec, s[6:7]
	s_nop 0
	v_mfma_f32_16x16x4f32 a[0:3], v10, v12, a[0:3]
	s_movk_i32 s4, 0x7f
	v_cmp_gt_i16_sdwa s[6:7], v17, s4 src0_sel:BYTE_3 src1_sel:DWORD
	s_mov_b64 s[4:5], 0
                                        ; implicit-def: $sgpr10
	s_and_saveexec_b64 s[8:9], s[6:7]
	s_xor_b64 s[6:7], exec, s[8:9]
	s_cbranch_execnz .LBB53_2681
; %bb.633:
	s_or_saveexec_b64 s[6:7], s[6:7]
	v_mov_b32_e32 v10, s10
	s_xor_b64 exec, exec, s[6:7]
	s_cbranch_execnz .LBB53_2684
.LBB53_634:
	s_or_b64 exec, exec, s[6:7]
	s_and_saveexec_b64 s[6:7], s[4:5]
	s_cbranch_execz .LBB53_636
.LBB53_635:
	v_bfe_u32 v10, v17, 24, 3
	v_ffbh_u32_e32 v15, v10
	v_min_u32_e32 v15, 32, v15
	v_lshrrev_b32_e32 v12, 27, v17
	v_subrev_u32_e32 v16, 28, v15
	v_and_b32_e32 v12, 15, v12
	v_lshlrev_b32_sdwa v16, v16, v17 dst_sel:DWORD dst_unused:UNUSED_PAD src0_sel:DWORD src1_sel:BYTE_3
	v_bfe_u32 v14, v17, 27, 4
	v_sub_u32_e32 v15, 29, v15
	v_and_b32_e32 v16, 7, v16
	v_cmp_eq_u16_e32 vcc, 0, v12
	v_cndmask_b32_e32 v10, v10, v16, vcc
	v_cndmask_b32_e32 v12, v14, v15, vcc
	v_mov_b32_e32 v14, 0x3b800000
	v_and_b32_e32 v11, 0x80000000, v17
	v_lshlrev_b32_e32 v10, 20, v10
	v_lshl_add_u32 v12, v12, 23, v14
	v_or3_b32 v10, v11, v12, v10
.LBB53_636:
	s_or_b64 exec, exec, s[6:7]
	s_movk_i32 s4, 0x7f
	v_cmp_gt_i16_sdwa s[6:7], v13, s4 src0_sel:BYTE_3 src1_sel:DWORD
	s_mov_b64 s[4:5], 0
                                        ; implicit-def: $sgpr10
	s_and_saveexec_b64 s[8:9], s[6:7]
	s_xor_b64 s[6:7], exec, s[8:9]
	s_cbranch_execnz .LBB53_2685
; %bb.637:
	s_or_saveexec_b64 s[6:7], s[6:7]
	v_mov_b32_e32 v11, s10
	s_xor_b64 exec, exec, s[6:7]
	s_cbranch_execnz .LBB53_2688
.LBB53_638:
	s_or_b64 exec, exec, s[6:7]
	s_and_saveexec_b64 s[6:7], s[4:5]
	s_cbranch_execz .LBB53_640
.LBB53_639:
	v_bfe_u32 v11, v13, 24, 3
	v_ffbh_u32_e32 v16, v11
	v_min_u32_e32 v16, 32, v16
	v_lshrrev_b32_e32 v14, 27, v13
	v_subrev_u32_e32 v17, 28, v16
	v_and_b32_e32 v12, 0x80000000, v13
	v_and_b32_e32 v14, 15, v14
	v_bfe_u32 v15, v13, 27, 4
	v_lshlrev_b32_sdwa v13, v17, v13 dst_sel:DWORD dst_unused:UNUSED_PAD src0_sel:DWORD src1_sel:BYTE_3
	v_sub_u32_e32 v16, 29, v16
	v_and_b32_e32 v13, 7, v13
	v_cmp_eq_u16_e32 vcc, 0, v14
	v_cndmask_b32_e32 v11, v11, v13, vcc
	v_cndmask_b32_e32 v13, v15, v16, vcc
	v_mov_b32_e32 v14, 0x3b800000
	v_lshlrev_b32_e32 v11, 20, v11
	v_lshl_add_u32 v13, v13, 23, v14
	v_or3_b32 v11, v12, v13, v11
.LBB53_640:
	s_or_b64 exec, exec, s[6:7]
	s_nop 0
	v_mfma_f32_16x16x4f32 a[0:3], v10, v11, a[0:3]
	s_movk_i32 s4, 0x7f
	v_cmp_gt_i16_sdwa s[6:7], v6, s4 src0_sel:BYTE_0 src1_sel:DWORD
	s_mov_b64 s[4:5], 0
                                        ; implicit-def: $sgpr10
	s_and_saveexec_b64 s[8:9], s[6:7]
	s_xor_b64 s[6:7], exec, s[8:9]
	s_cbranch_execnz .LBB53_2689
; %bb.641:
	s_or_saveexec_b64 s[6:7], s[6:7]
	v_mov_b32_e32 v10, s10
	s_xor_b64 exec, exec, s[6:7]
	s_cbranch_execnz .LBB53_2692
.LBB53_642:
	s_or_b64 exec, exec, s[6:7]
	s_and_saveexec_b64 s[6:7], s[4:5]
	s_cbranch_execz .LBB53_644
.LBB53_643:
	v_and_b32_e32 v10, 7, v6
	v_ffbh_u32_e32 v12, v10
	v_min_u32_e32 v12, 32, v12
	v_lshrrev_b16_e32 v11, 3, v6
	v_subrev_u32_e32 v13, 28, v12
	v_and_b32_e32 v11, 15, v11
	v_lshlrev_b32_e32 v13, v13, v6
	v_sub_u32_e32 v12, 29, v12
	v_and_b32_e32 v13, 7, v13
	v_cmp_eq_u16_e32 vcc, 0, v11
	v_cndmask_b32_e32 v10, v10, v13, vcc
	v_cndmask_b32_e32 v11, v11, v12, vcc
	v_lshlrev_b32_e32 v12, 24, v6
	v_mov_b32_e32 v13, 0x3b800000
	v_lshlrev_b32_e32 v10, 20, v10
	v_and_b32_e32 v12, 0x80000000, v12
	v_lshl_add_u32 v11, v11, 23, v13
	v_or3_b32 v10, v12, v11, v10
.LBB53_644:
	s_or_b64 exec, exec, s[6:7]
	s_movk_i32 s4, 0x7f
	v_cmp_gt_i16_sdwa s[6:7], v2, s4 src0_sel:BYTE_0 src1_sel:DWORD
	s_mov_b64 s[4:5], 0
                                        ; implicit-def: $sgpr10
	s_and_saveexec_b64 s[8:9], s[6:7]
	s_xor_b64 s[6:7], exec, s[8:9]
	s_cbranch_execnz .LBB53_2693
; %bb.645:
	s_or_saveexec_b64 s[6:7], s[6:7]
	v_mov_b32_e32 v11, s10
	s_xor_b64 exec, exec, s[6:7]
	s_cbranch_execnz .LBB53_2696
.LBB53_646:
	s_or_b64 exec, exec, s[6:7]
	s_and_saveexec_b64 s[6:7], s[4:5]
	s_cbranch_execz .LBB53_648
.LBB53_647:
	v_and_b32_e32 v11, 7, v2
	v_ffbh_u32_e32 v13, v11
	v_min_u32_e32 v13, 32, v13
	v_lshrrev_b16_e32 v12, 3, v2
	v_subrev_u32_e32 v14, 28, v13
	v_and_b32_e32 v12, 15, v12
	v_lshlrev_b32_e32 v14, v14, v2
	v_sub_u32_e32 v13, 29, v13
	v_and_b32_e32 v14, 7, v14
	v_cmp_eq_u16_e32 vcc, 0, v12
	v_cndmask_b32_e32 v11, v11, v14, vcc
	v_cndmask_b32_e32 v12, v12, v13, vcc
	v_lshlrev_b32_e32 v13, 24, v2
	v_mov_b32_e32 v14, 0x3b800000
	v_lshlrev_b32_e32 v11, 20, v11
	v_and_b32_e32 v13, 0x80000000, v13
	v_lshl_add_u32 v12, v12, 23, v14
	v_or3_b32 v11, v13, v12, v11
.LBB53_648:
	s_or_b64 exec, exec, s[6:7]
	s_nop 0
	v_mfma_f32_16x16x4f32 a[0:3], v10, v11, a[0:3]
	v_lshrrev_b32_e32 v11, 8, v6
	s_movk_i32 s4, 0x7f
	v_cmp_gt_i16_sdwa s[6:7], v11, s4 src0_sel:BYTE_0 src1_sel:DWORD
	s_mov_b64 s[4:5], 0
                                        ; implicit-def: $sgpr10
	s_and_saveexec_b64 s[8:9], s[6:7]
	s_xor_b64 s[6:7], exec, s[8:9]
	s_cbranch_execnz .LBB53_2697
; %bb.649:
	s_or_saveexec_b64 s[6:7], s[6:7]
	v_mov_b32_e32 v10, s10
	s_xor_b64 exec, exec, s[6:7]
	s_cbranch_execnz .LBB53_2700
.LBB53_650:
	s_or_b64 exec, exec, s[6:7]
	s_and_saveexec_b64 s[6:7], s[4:5]
	s_cbranch_execz .LBB53_652
.LBB53_651:
	v_bfe_u32 v10, v6, 8, 3
	v_ffbh_u32_e32 v13, v10
	v_min_u32_e32 v13, 32, v13
	v_lshrrev_b16_e32 v12, 3, v11
	v_subrev_u32_e32 v14, 28, v13
	v_and_b32_e32 v12, 15, v12
	v_lshlrev_b32_e32 v11, v14, v11
	v_sub_u32_e32 v13, 29, v13
	v_and_b32_e32 v11, 7, v11
	v_cmp_eq_u16_e32 vcc, 0, v12
	v_cndmask_b32_e32 v10, v10, v11, vcc
	v_cndmask_b32_e32 v11, v12, v13, vcc
	v_lshlrev_b32_e32 v12, 16, v6
	v_mov_b32_e32 v13, 0x3b800000
	v_lshlrev_b32_e32 v10, 20, v10
	v_and_b32_e32 v12, 0x80000000, v12
	v_lshl_add_u32 v11, v11, 23, v13
	v_or3_b32 v10, v12, v11, v10
.LBB53_652:
	s_or_b64 exec, exec, s[6:7]
	v_lshrrev_b32_e32 v11, 8, v2
	s_movk_i32 s4, 0x7f
	v_cmp_gt_i16_sdwa s[6:7], v11, s4 src0_sel:BYTE_0 src1_sel:DWORD
	s_mov_b64 s[4:5], 0
                                        ; implicit-def: $sgpr10
	s_and_saveexec_b64 s[8:9], s[6:7]
	s_xor_b64 s[6:7], exec, s[8:9]
	s_cbranch_execnz .LBB53_2701
; %bb.653:
	s_or_saveexec_b64 s[6:7], s[6:7]
	v_mov_b32_e32 v12, s10
	s_xor_b64 exec, exec, s[6:7]
	s_cbranch_execnz .LBB53_2704
.LBB53_654:
	s_or_b64 exec, exec, s[6:7]
	s_and_saveexec_b64 s[6:7], s[4:5]
	s_cbranch_execz .LBB53_656
.LBB53_655:
	v_bfe_u32 v12, v2, 8, 3
	v_ffbh_u32_e32 v14, v12
	v_min_u32_e32 v14, 32, v14
	v_lshrrev_b16_e32 v13, 3, v11
	v_subrev_u32_e32 v15, 28, v14
	v_and_b32_e32 v13, 15, v13
	v_lshlrev_b32_e32 v11, v15, v11
	v_sub_u32_e32 v14, 29, v14
	v_and_b32_e32 v11, 7, v11
	v_cmp_eq_u16_e32 vcc, 0, v13
	v_cndmask_b32_e32 v11, v12, v11, vcc
	v_cndmask_b32_e32 v12, v13, v14, vcc
	v_lshlrev_b32_e32 v13, 16, v2
	v_mov_b32_e32 v14, 0x3b800000
	v_lshlrev_b32_e32 v11, 20, v11
	v_and_b32_e32 v13, 0x80000000, v13
	v_lshl_add_u32 v12, v12, 23, v14
	v_or3_b32 v12, v13, v12, v11
.LBB53_656:
	s_or_b64 exec, exec, s[6:7]
	s_nop 0
	v_mfma_f32_16x16x4f32 a[0:3], v10, v12, a[0:3]
	s_movk_i32 s4, 0xff
	v_and_b32_sdwa v11, v6, s4 dst_sel:DWORD dst_unused:UNUSED_PAD src0_sel:WORD_1 src1_sel:DWORD
	s_movk_i32 s4, 0x7f
	v_cmp_lt_i16_e32 vcc, s4, v11
	s_mov_b64 s[4:5], 0
                                        ; implicit-def: $sgpr10
	s_and_saveexec_b64 s[6:7], vcc
	s_xor_b64 s[6:7], exec, s[6:7]
	s_cbranch_execnz .LBB53_2705
; %bb.657:
	s_or_saveexec_b64 s[6:7], s[6:7]
	v_mov_b32_e32 v10, s10
	s_xor_b64 exec, exec, s[6:7]
	s_cbranch_execnz .LBB53_2708
.LBB53_658:
	s_or_b64 exec, exec, s[6:7]
	s_and_saveexec_b64 s[6:7], s[4:5]
	s_cbranch_execz .LBB53_660
.LBB53_659:
	v_bfe_u32 v10, v6, 16, 3
	v_ffbh_u32_e32 v13, v10
	v_min_u32_e32 v13, 32, v13
	v_lshrrev_b32_e32 v11, 19, v6
	v_subrev_u32_e32 v14, 28, v13
	v_and_b32_e32 v11, 15, v11
	v_lshlrev_b32_sdwa v14, v14, v6 dst_sel:DWORD dst_unused:UNUSED_PAD src0_sel:DWORD src1_sel:WORD_1
	v_bfe_u32 v12, v6, 19, 4
	v_sub_u32_e32 v13, 29, v13
	v_and_b32_e32 v14, 7, v14
	v_cmp_eq_u16_e32 vcc, 0, v11
	v_cndmask_b32_e32 v10, v10, v14, vcc
	v_cndmask_b32_e32 v11, v12, v13, vcc
	v_lshlrev_b32_e32 v12, 8, v6
	v_mov_b32_e32 v13, 0x3b800000
	v_lshlrev_b32_e32 v10, 20, v10
	v_and_b32_e32 v12, 0x80000000, v12
	v_lshl_add_u32 v11, v11, 23, v13
	v_or3_b32 v10, v12, v11, v10
.LBB53_660:
	s_or_b64 exec, exec, s[6:7]
	s_movk_i32 s4, 0xff
	v_and_b32_sdwa v11, v2, s4 dst_sel:DWORD dst_unused:UNUSED_PAD src0_sel:WORD_1 src1_sel:DWORD
	s_movk_i32 s4, 0x7f
	v_cmp_lt_i16_e32 vcc, s4, v11
	s_mov_b64 s[4:5], 0
                                        ; implicit-def: $sgpr10
	s_and_saveexec_b64 s[6:7], vcc
	s_xor_b64 s[6:7], exec, s[6:7]
	s_cbranch_execnz .LBB53_2709
; %bb.661:
	s_or_saveexec_b64 s[6:7], s[6:7]
	v_mov_b32_e32 v12, s10
	s_xor_b64 exec, exec, s[6:7]
	s_cbranch_execnz .LBB53_2712
.LBB53_662:
	s_or_b64 exec, exec, s[6:7]
	s_and_saveexec_b64 s[6:7], s[4:5]
	s_cbranch_execz .LBB53_664
.LBB53_663:
	v_bfe_u32 v11, v2, 16, 3
	v_ffbh_u32_e32 v14, v11
	v_min_u32_e32 v14, 32, v14
	v_lshrrev_b32_e32 v12, 19, v2
	v_subrev_u32_e32 v15, 28, v14
	v_and_b32_e32 v12, 15, v12
	v_lshlrev_b32_sdwa v15, v15, v2 dst_sel:DWORD dst_unused:UNUSED_PAD src0_sel:DWORD src1_sel:WORD_1
	v_bfe_u32 v13, v2, 19, 4
	v_sub_u32_e32 v14, 29, v14
	v_and_b32_e32 v15, 7, v15
	v_cmp_eq_u16_e32 vcc, 0, v12
	v_cndmask_b32_e32 v11, v11, v15, vcc
	v_cndmask_b32_e32 v12, v13, v14, vcc
	v_lshlrev_b32_e32 v13, 8, v2
	v_mov_b32_e32 v14, 0x3b800000
	v_lshlrev_b32_e32 v11, 20, v11
	v_and_b32_e32 v13, 0x80000000, v13
	v_lshl_add_u32 v12, v12, 23, v14
	v_or3_b32 v12, v13, v12, v11
.LBB53_664:
	s_or_b64 exec, exec, s[6:7]
	s_nop 0
	v_mfma_f32_16x16x4f32 a[0:3], v10, v12, a[0:3]
	s_movk_i32 s4, 0x7f
	v_cmp_gt_i16_sdwa s[6:7], v6, s4 src0_sel:BYTE_3 src1_sel:DWORD
	s_mov_b64 s[4:5], 0
                                        ; implicit-def: $sgpr10
	s_and_saveexec_b64 s[8:9], s[6:7]
	s_xor_b64 s[6:7], exec, s[8:9]
	s_cbranch_execnz .LBB53_2713
; %bb.665:
	s_or_saveexec_b64 s[6:7], s[6:7]
	v_mov_b32_e32 v10, s10
	s_xor_b64 exec, exec, s[6:7]
	s_cbranch_execnz .LBB53_2716
.LBB53_666:
	s_or_b64 exec, exec, s[6:7]
	s_and_saveexec_b64 s[6:7], s[4:5]
	s_cbranch_execz .LBB53_668
.LBB53_667:
	v_bfe_u32 v10, v6, 24, 3
	v_ffbh_u32_e32 v14, v10
	v_min_u32_e32 v14, 32, v14
	v_lshrrev_b32_e32 v12, 27, v6
	v_subrev_u32_e32 v15, 28, v14
	v_and_b32_e32 v11, 0x80000000, v6
	v_and_b32_e32 v12, 15, v12
	v_bfe_u32 v13, v6, 27, 4
	v_lshlrev_b32_sdwa v6, v15, v6 dst_sel:DWORD dst_unused:UNUSED_PAD src0_sel:DWORD src1_sel:BYTE_3
	v_sub_u32_e32 v14, 29, v14
	v_and_b32_e32 v6, 7, v6
	v_cmp_eq_u16_e32 vcc, 0, v12
	v_cndmask_b32_e32 v6, v10, v6, vcc
	v_cndmask_b32_e32 v10, v13, v14, vcc
	v_mov_b32_e32 v12, 0x3b800000
	v_lshlrev_b32_e32 v6, 20, v6
	v_lshl_add_u32 v10, v10, 23, v12
	v_or3_b32 v10, v11, v10, v6
.LBB53_668:
	s_or_b64 exec, exec, s[6:7]
	s_movk_i32 s4, 0x7f
	v_cmp_gt_i16_sdwa s[6:7], v2, s4 src0_sel:BYTE_3 src1_sel:DWORD
	s_mov_b64 s[4:5], 0
                                        ; implicit-def: $sgpr10
	s_and_saveexec_b64 s[8:9], s[6:7]
	s_xor_b64 s[6:7], exec, s[8:9]
	s_cbranch_execnz .LBB53_2717
; %bb.669:
	s_or_saveexec_b64 s[6:7], s[6:7]
	v_mov_b32_e32 v6, s10
	s_xor_b64 exec, exec, s[6:7]
	s_cbranch_execnz .LBB53_2720
.LBB53_670:
	s_or_b64 exec, exec, s[6:7]
	s_and_saveexec_b64 s[6:7], s[4:5]
	s_cbranch_execz .LBB53_672
.LBB53_671:
	v_bfe_u32 v6, v2, 24, 3
	v_ffbh_u32_e32 v14, v6
	v_min_u32_e32 v14, 32, v14
	v_lshrrev_b32_e32 v12, 27, v2
	v_subrev_u32_e32 v15, 28, v14
	v_and_b32_e32 v11, 0x80000000, v2
	v_and_b32_e32 v12, 15, v12
	v_bfe_u32 v13, v2, 27, 4
	v_lshlrev_b32_sdwa v2, v15, v2 dst_sel:DWORD dst_unused:UNUSED_PAD src0_sel:DWORD src1_sel:BYTE_3
	v_sub_u32_e32 v14, 29, v14
	v_and_b32_e32 v2, 7, v2
	v_cmp_eq_u16_e32 vcc, 0, v12
	v_cndmask_b32_e32 v2, v6, v2, vcc
	v_cndmask_b32_e32 v6, v13, v14, vcc
	v_mov_b32_e32 v12, 0x3b800000
	v_lshlrev_b32_e32 v2, 20, v2
	v_lshl_add_u32 v6, v6, 23, v12
	v_or3_b32 v6, v11, v6, v2
.LBB53_672:
	s_or_b64 exec, exec, s[6:7]
	s_nop 0
	v_mfma_f32_16x16x4f32 a[0:3], v10, v6, a[0:3]
	s_movk_i32 s4, 0x7f
	v_cmp_gt_i16_sdwa s[6:7], v7, s4 src0_sel:BYTE_0 src1_sel:DWORD
	s_mov_b64 s[4:5], 0
                                        ; implicit-def: $sgpr10
	s_and_saveexec_b64 s[8:9], s[6:7]
	s_xor_b64 s[6:7], exec, s[8:9]
	s_cbranch_execnz .LBB53_2721
; %bb.673:
	s_or_saveexec_b64 s[6:7], s[6:7]
	v_mov_b32_e32 v2, s10
	s_xor_b64 exec, exec, s[6:7]
	s_cbranch_execnz .LBB53_2724
.LBB53_674:
	s_or_b64 exec, exec, s[6:7]
	s_and_saveexec_b64 s[6:7], s[4:5]
	s_cbranch_execz .LBB53_676
.LBB53_675:
	v_and_b32_e32 v2, 7, v7
	v_ffbh_u32_e32 v10, v2
	v_min_u32_e32 v10, 32, v10
	v_lshrrev_b16_e32 v6, 3, v7
	v_subrev_u32_e32 v11, 28, v10
	v_and_b32_e32 v6, 15, v6
	v_lshlrev_b32_e32 v11, v11, v7
	v_sub_u32_e32 v10, 29, v10
	v_and_b32_e32 v11, 7, v11
	v_cmp_eq_u16_e32 vcc, 0, v6
	v_cndmask_b32_e32 v2, v2, v11, vcc
	v_cndmask_b32_e32 v6, v6, v10, vcc
	v_lshlrev_b32_e32 v10, 24, v7
	v_mov_b32_e32 v11, 0x3b800000
	v_lshlrev_b32_e32 v2, 20, v2
	v_and_b32_e32 v10, 0x80000000, v10
	v_lshl_add_u32 v6, v6, 23, v11
	v_or3_b32 v2, v10, v6, v2
.LBB53_676:
	s_or_b64 exec, exec, s[6:7]
	s_movk_i32 s4, 0x7f
	v_cmp_gt_i16_sdwa s[6:7], v3, s4 src0_sel:BYTE_0 src1_sel:DWORD
	s_mov_b64 s[4:5], 0
                                        ; implicit-def: $sgpr10
	s_and_saveexec_b64 s[8:9], s[6:7]
	s_xor_b64 s[6:7], exec, s[8:9]
	s_cbranch_execnz .LBB53_2725
; %bb.677:
	s_or_saveexec_b64 s[6:7], s[6:7]
	v_mov_b32_e32 v6, s10
	s_xor_b64 exec, exec, s[6:7]
	s_cbranch_execnz .LBB53_2728
.LBB53_678:
	s_or_b64 exec, exec, s[6:7]
	s_and_saveexec_b64 s[6:7], s[4:5]
	s_cbranch_execz .LBB53_680
.LBB53_679:
	v_and_b32_e32 v6, 7, v3
	v_ffbh_u32_e32 v11, v6
	v_min_u32_e32 v11, 32, v11
	v_lshrrev_b16_e32 v10, 3, v3
	v_subrev_u32_e32 v12, 28, v11
	v_and_b32_e32 v10, 15, v10
	v_lshlrev_b32_e32 v12, v12, v3
	v_sub_u32_e32 v11, 29, v11
	v_and_b32_e32 v12, 7, v12
	v_cmp_eq_u16_e32 vcc, 0, v10
	v_cndmask_b32_e32 v6, v6, v12, vcc
	v_cndmask_b32_e32 v10, v10, v11, vcc
	v_lshlrev_b32_e32 v11, 24, v3
	v_mov_b32_e32 v12, 0x3b800000
	v_lshlrev_b32_e32 v6, 20, v6
	v_and_b32_e32 v11, 0x80000000, v11
	v_lshl_add_u32 v10, v10, 23, v12
	v_or3_b32 v6, v11, v10, v6
.LBB53_680:
	s_or_b64 exec, exec, s[6:7]
	s_nop 0
	v_mfma_f32_16x16x4f32 a[0:3], v2, v6, a[0:3]
	v_lshrrev_b32_e32 v6, 8, v7
	s_movk_i32 s4, 0x7f
	v_cmp_gt_i16_sdwa s[6:7], v6, s4 src0_sel:BYTE_0 src1_sel:DWORD
	s_mov_b64 s[4:5], 0
                                        ; implicit-def: $sgpr10
	s_and_saveexec_b64 s[8:9], s[6:7]
	s_xor_b64 s[6:7], exec, s[8:9]
	s_cbranch_execnz .LBB53_2729
; %bb.681:
	s_or_saveexec_b64 s[6:7], s[6:7]
	v_mov_b32_e32 v2, s10
	s_xor_b64 exec, exec, s[6:7]
	s_cbranch_execnz .LBB53_2732
.LBB53_682:
	s_or_b64 exec, exec, s[6:7]
	s_and_saveexec_b64 s[6:7], s[4:5]
	s_cbranch_execz .LBB53_684
.LBB53_683:
	v_bfe_u32 v2, v7, 8, 3
	v_ffbh_u32_e32 v11, v2
	v_min_u32_e32 v11, 32, v11
	v_lshrrev_b16_e32 v10, 3, v6
	v_subrev_u32_e32 v12, 28, v11
	v_and_b32_e32 v10, 15, v10
	v_lshlrev_b32_e32 v6, v12, v6
	v_sub_u32_e32 v11, 29, v11
	v_and_b32_e32 v6, 7, v6
	v_cmp_eq_u16_e32 vcc, 0, v10
	v_cndmask_b32_e32 v2, v2, v6, vcc
	v_cndmask_b32_e32 v6, v10, v11, vcc
	v_lshlrev_b32_e32 v10, 16, v7
	v_mov_b32_e32 v11, 0x3b800000
	v_lshlrev_b32_e32 v2, 20, v2
	v_and_b32_e32 v10, 0x80000000, v10
	v_lshl_add_u32 v6, v6, 23, v11
	v_or3_b32 v2, v10, v6, v2
.LBB53_684:
	s_or_b64 exec, exec, s[6:7]
	v_lshrrev_b32_e32 v6, 8, v3
	s_movk_i32 s4, 0x7f
	v_cmp_gt_i16_sdwa s[6:7], v6, s4 src0_sel:BYTE_0 src1_sel:DWORD
	s_mov_b64 s[4:5], 0
                                        ; implicit-def: $sgpr10
	s_and_saveexec_b64 s[8:9], s[6:7]
	s_xor_b64 s[6:7], exec, s[8:9]
	s_cbranch_execnz .LBB53_2733
; %bb.685:
	s_or_saveexec_b64 s[6:7], s[6:7]
	v_mov_b32_e32 v10, s10
	s_xor_b64 exec, exec, s[6:7]
	s_cbranch_execnz .LBB53_2736
.LBB53_686:
	s_or_b64 exec, exec, s[6:7]
	s_and_saveexec_b64 s[6:7], s[4:5]
	s_cbranch_execz .LBB53_688
.LBB53_687:
	v_bfe_u32 v10, v3, 8, 3
	v_ffbh_u32_e32 v12, v10
	v_min_u32_e32 v12, 32, v12
	v_lshrrev_b16_e32 v11, 3, v6
	v_subrev_u32_e32 v13, 28, v12
	v_and_b32_e32 v11, 15, v11
	v_lshlrev_b32_e32 v6, v13, v6
	v_sub_u32_e32 v12, 29, v12
	v_and_b32_e32 v6, 7, v6
	v_cmp_eq_u16_e32 vcc, 0, v11
	v_cndmask_b32_e32 v6, v10, v6, vcc
	v_cndmask_b32_e32 v10, v11, v12, vcc
	v_lshlrev_b32_e32 v11, 16, v3
	v_mov_b32_e32 v12, 0x3b800000
	v_lshlrev_b32_e32 v6, 20, v6
	v_and_b32_e32 v11, 0x80000000, v11
	v_lshl_add_u32 v10, v10, 23, v12
	v_or3_b32 v10, v11, v10, v6
.LBB53_688:
	s_or_b64 exec, exec, s[6:7]
	s_nop 0
	v_mfma_f32_16x16x4f32 a[0:3], v2, v10, a[0:3]
	s_movk_i32 s4, 0xff
	v_and_b32_sdwa v6, v7, s4 dst_sel:DWORD dst_unused:UNUSED_PAD src0_sel:WORD_1 src1_sel:DWORD
	s_movk_i32 s4, 0x7f
	v_cmp_lt_i16_e32 vcc, s4, v6
	s_mov_b64 s[4:5], 0
                                        ; implicit-def: $sgpr10
	s_and_saveexec_b64 s[6:7], vcc
	s_xor_b64 s[6:7], exec, s[6:7]
	s_cbranch_execnz .LBB53_2737
; %bb.689:
	s_or_saveexec_b64 s[6:7], s[6:7]
	v_mov_b32_e32 v2, s10
	s_xor_b64 exec, exec, s[6:7]
	s_cbranch_execnz .LBB53_2740
.LBB53_690:
	s_or_b64 exec, exec, s[6:7]
	s_and_saveexec_b64 s[6:7], s[4:5]
	s_cbranch_execz .LBB53_692
.LBB53_691:
	v_bfe_u32 v2, v7, 16, 3
	v_ffbh_u32_e32 v11, v2
	v_min_u32_e32 v11, 32, v11
	v_lshrrev_b32_e32 v6, 19, v7
	v_subrev_u32_e32 v12, 28, v11
	v_and_b32_e32 v6, 15, v6
	v_lshlrev_b32_sdwa v12, v12, v7 dst_sel:DWORD dst_unused:UNUSED_PAD src0_sel:DWORD src1_sel:WORD_1
	v_bfe_u32 v10, v7, 19, 4
	v_sub_u32_e32 v11, 29, v11
	v_and_b32_e32 v12, 7, v12
	v_cmp_eq_u16_e32 vcc, 0, v6
	v_cndmask_b32_e32 v2, v2, v12, vcc
	v_cndmask_b32_e32 v6, v10, v11, vcc
	v_lshlrev_b32_e32 v10, 8, v7
	v_mov_b32_e32 v11, 0x3b800000
	v_lshlrev_b32_e32 v2, 20, v2
	v_and_b32_e32 v10, 0x80000000, v10
	v_lshl_add_u32 v6, v6, 23, v11
	v_or3_b32 v2, v10, v6, v2
.LBB53_692:
	s_or_b64 exec, exec, s[6:7]
	s_movk_i32 s4, 0xff
	v_and_b32_sdwa v6, v3, s4 dst_sel:DWORD dst_unused:UNUSED_PAD src0_sel:WORD_1 src1_sel:DWORD
	s_movk_i32 s4, 0x7f
	v_cmp_lt_i16_e32 vcc, s4, v6
	s_mov_b64 s[4:5], 0
                                        ; implicit-def: $sgpr10
	s_and_saveexec_b64 s[6:7], vcc
	s_xor_b64 s[6:7], exec, s[6:7]
	s_cbranch_execnz .LBB53_2741
; %bb.693:
	s_or_saveexec_b64 s[6:7], s[6:7]
	v_mov_b32_e32 v10, s10
	s_xor_b64 exec, exec, s[6:7]
	s_cbranch_execnz .LBB53_2744
.LBB53_694:
	s_or_b64 exec, exec, s[6:7]
	s_and_saveexec_b64 s[6:7], s[4:5]
	s_cbranch_execz .LBB53_696
.LBB53_695:
	v_bfe_u32 v6, v3, 16, 3
	v_ffbh_u32_e32 v12, v6
	v_min_u32_e32 v12, 32, v12
	v_lshrrev_b32_e32 v10, 19, v3
	v_subrev_u32_e32 v13, 28, v12
	v_and_b32_e32 v10, 15, v10
	v_lshlrev_b32_sdwa v13, v13, v3 dst_sel:DWORD dst_unused:UNUSED_PAD src0_sel:DWORD src1_sel:WORD_1
	v_bfe_u32 v11, v3, 19, 4
	v_sub_u32_e32 v12, 29, v12
	v_and_b32_e32 v13, 7, v13
	v_cmp_eq_u16_e32 vcc, 0, v10
	v_cndmask_b32_e32 v6, v6, v13, vcc
	v_cndmask_b32_e32 v10, v11, v12, vcc
	v_lshlrev_b32_e32 v11, 8, v3
	v_mov_b32_e32 v12, 0x3b800000
	v_lshlrev_b32_e32 v6, 20, v6
	v_and_b32_e32 v11, 0x80000000, v11
	v_lshl_add_u32 v10, v10, 23, v12
	v_or3_b32 v10, v11, v10, v6
.LBB53_696:
	s_or_b64 exec, exec, s[6:7]
	s_nop 0
	v_mfma_f32_16x16x4f32 a[0:3], v2, v10, a[0:3]
	s_movk_i32 s4, 0x7f
	v_cmp_gt_i16_sdwa s[6:7], v7, s4 src0_sel:BYTE_3 src1_sel:DWORD
	s_mov_b64 s[4:5], 0
                                        ; implicit-def: $sgpr10
	s_and_saveexec_b64 s[8:9], s[6:7]
	s_xor_b64 s[6:7], exec, s[8:9]
	s_cbranch_execnz .LBB53_2745
; %bb.697:
	s_or_saveexec_b64 s[6:7], s[6:7]
	v_mov_b32_e32 v2, s10
	s_xor_b64 exec, exec, s[6:7]
	s_cbranch_execnz .LBB53_2748
.LBB53_698:
	s_or_b64 exec, exec, s[6:7]
	s_and_saveexec_b64 s[6:7], s[4:5]
	s_cbranch_execz .LBB53_700
.LBB53_699:
	v_bfe_u32 v2, v7, 24, 3
	v_ffbh_u32_e32 v12, v2
	v_min_u32_e32 v12, 32, v12
	v_lshrrev_b32_e32 v10, 27, v7
	v_subrev_u32_e32 v13, 28, v12
	v_and_b32_e32 v6, 0x80000000, v7
	v_and_b32_e32 v10, 15, v10
	v_bfe_u32 v11, v7, 27, 4
	v_lshlrev_b32_sdwa v7, v13, v7 dst_sel:DWORD dst_unused:UNUSED_PAD src0_sel:DWORD src1_sel:BYTE_3
	v_sub_u32_e32 v12, 29, v12
	v_and_b32_e32 v7, 7, v7
	v_cmp_eq_u16_e32 vcc, 0, v10
	v_cndmask_b32_e32 v2, v2, v7, vcc
	v_cndmask_b32_e32 v7, v11, v12, vcc
	v_mov_b32_e32 v10, 0x3b800000
	v_lshlrev_b32_e32 v2, 20, v2
	v_lshl_add_u32 v7, v7, 23, v10
	v_or3_b32 v2, v6, v7, v2
.LBB53_700:
	s_or_b64 exec, exec, s[6:7]
	s_movk_i32 s4, 0x7f
	v_cmp_gt_i16_sdwa s[6:7], v3, s4 src0_sel:BYTE_3 src1_sel:DWORD
	s_mov_b64 s[4:5], 0
                                        ; implicit-def: $sgpr10
	s_and_saveexec_b64 s[8:9], s[6:7]
	s_xor_b64 s[6:7], exec, s[8:9]
	s_cbranch_execnz .LBB53_2749
; %bb.701:
	s_or_saveexec_b64 s[6:7], s[6:7]
	v_mov_b32_e32 v6, s10
	s_xor_b64 exec, exec, s[6:7]
	s_cbranch_execnz .LBB53_2752
.LBB53_702:
	s_or_b64 exec, exec, s[6:7]
	s_and_saveexec_b64 s[6:7], s[4:5]
	s_cbranch_execz .LBB53_704
.LBB53_703:
	v_bfe_u32 v6, v3, 24, 3
	v_ffbh_u32_e32 v12, v6
	v_min_u32_e32 v12, 32, v12
	v_lshrrev_b32_e32 v10, 27, v3
	v_subrev_u32_e32 v13, 28, v12
	v_and_b32_e32 v7, 0x80000000, v3
	v_and_b32_e32 v10, 15, v10
	v_bfe_u32 v11, v3, 27, 4
	v_lshlrev_b32_sdwa v3, v13, v3 dst_sel:DWORD dst_unused:UNUSED_PAD src0_sel:DWORD src1_sel:BYTE_3
	v_sub_u32_e32 v12, 29, v12
	v_and_b32_e32 v3, 7, v3
	v_cmp_eq_u16_e32 vcc, 0, v10
	v_cndmask_b32_e32 v3, v6, v3, vcc
	v_cndmask_b32_e32 v6, v11, v12, vcc
	v_mov_b32_e32 v10, 0x3b800000
	v_lshlrev_b32_e32 v3, 20, v3
	v_lshl_add_u32 v6, v6, 23, v10
	v_or3_b32 v6, v7, v6, v3
.LBB53_704:
	s_or_b64 exec, exec, s[6:7]
	s_nop 0
	v_mfma_f32_16x16x4f32 a[0:3], v2, v6, a[0:3]
	s_movk_i32 s4, 0x7f
	v_cmp_gt_i16_sdwa s[6:7], v8, s4 src0_sel:BYTE_0 src1_sel:DWORD
	s_mov_b64 s[4:5], 0
                                        ; implicit-def: $sgpr10
	s_and_saveexec_b64 s[8:9], s[6:7]
	s_xor_b64 s[6:7], exec, s[8:9]
	s_cbranch_execnz .LBB53_2753
; %bb.705:
	s_or_saveexec_b64 s[6:7], s[6:7]
	v_mov_b32_e32 v2, s10
	s_xor_b64 exec, exec, s[6:7]
	s_cbranch_execnz .LBB53_2756
.LBB53_706:
	s_or_b64 exec, exec, s[6:7]
	s_and_saveexec_b64 s[6:7], s[4:5]
	s_cbranch_execz .LBB53_708
.LBB53_707:
	v_and_b32_e32 v2, 7, v8
	v_ffbh_u32_e32 v6, v2
	v_min_u32_e32 v6, 32, v6
	v_lshrrev_b16_e32 v3, 3, v8
	v_subrev_u32_e32 v7, 28, v6
	v_and_b32_e32 v3, 15, v3
	v_lshlrev_b32_e32 v7, v7, v8
	v_sub_u32_e32 v6, 29, v6
	v_and_b32_e32 v7, 7, v7
	v_cmp_eq_u16_e32 vcc, 0, v3
	v_cndmask_b32_e32 v2, v2, v7, vcc
	v_cndmask_b32_e32 v3, v3, v6, vcc
	v_lshlrev_b32_e32 v6, 24, v8
	v_mov_b32_e32 v7, 0x3b800000
	v_lshlrev_b32_e32 v2, 20, v2
	v_and_b32_e32 v6, 0x80000000, v6
	v_lshl_add_u32 v3, v3, 23, v7
	v_or3_b32 v2, v6, v3, v2
.LBB53_708:
	s_or_b64 exec, exec, s[6:7]
	s_movk_i32 s4, 0x7f
	v_cmp_gt_i16_sdwa s[6:7], v4, s4 src0_sel:BYTE_0 src1_sel:DWORD
	s_mov_b64 s[4:5], 0
                                        ; implicit-def: $sgpr10
	s_and_saveexec_b64 s[8:9], s[6:7]
	s_xor_b64 s[6:7], exec, s[8:9]
	s_cbranch_execnz .LBB53_2757
; %bb.709:
	s_or_saveexec_b64 s[6:7], s[6:7]
	v_mov_b32_e32 v3, s10
	s_xor_b64 exec, exec, s[6:7]
	s_cbranch_execnz .LBB53_2760
.LBB53_710:
	s_or_b64 exec, exec, s[6:7]
	s_and_saveexec_b64 s[6:7], s[4:5]
	s_cbranch_execz .LBB53_712
.LBB53_711:
	v_and_b32_e32 v3, 7, v4
	v_ffbh_u32_e32 v7, v3
	v_min_u32_e32 v7, 32, v7
	v_lshrrev_b16_e32 v6, 3, v4
	v_subrev_u32_e32 v10, 28, v7
	v_and_b32_e32 v6, 15, v6
	v_lshlrev_b32_e32 v10, v10, v4
	v_sub_u32_e32 v7, 29, v7
	v_and_b32_e32 v10, 7, v10
	v_cmp_eq_u16_e32 vcc, 0, v6
	v_cndmask_b32_e32 v3, v3, v10, vcc
	v_cndmask_b32_e32 v6, v6, v7, vcc
	v_lshlrev_b32_e32 v7, 24, v4
	v_mov_b32_e32 v10, 0x3b800000
	v_lshlrev_b32_e32 v3, 20, v3
	v_and_b32_e32 v7, 0x80000000, v7
	v_lshl_add_u32 v6, v6, 23, v10
	v_or3_b32 v3, v7, v6, v3
.LBB53_712:
	s_or_b64 exec, exec, s[6:7]
	s_nop 0
	v_mfma_f32_16x16x4f32 a[0:3], v2, v3, a[0:3]
	v_lshrrev_b32_e32 v3, 8, v8
	s_movk_i32 s4, 0x7f
	v_cmp_gt_i16_sdwa s[6:7], v3, s4 src0_sel:BYTE_0 src1_sel:DWORD
	s_mov_b64 s[4:5], 0
                                        ; implicit-def: $sgpr10
	s_and_saveexec_b64 s[8:9], s[6:7]
	s_xor_b64 s[6:7], exec, s[8:9]
	s_cbranch_execnz .LBB53_2761
; %bb.713:
	s_or_saveexec_b64 s[6:7], s[6:7]
	v_mov_b32_e32 v2, s10
	s_xor_b64 exec, exec, s[6:7]
	s_cbranch_execnz .LBB53_2764
.LBB53_714:
	s_or_b64 exec, exec, s[6:7]
	s_and_saveexec_b64 s[6:7], s[4:5]
	s_cbranch_execz .LBB53_716
.LBB53_715:
	v_bfe_u32 v2, v8, 8, 3
	v_ffbh_u32_e32 v7, v2
	v_min_u32_e32 v7, 32, v7
	v_lshrrev_b16_e32 v6, 3, v3
	v_subrev_u32_e32 v10, 28, v7
	v_and_b32_e32 v6, 15, v6
	v_lshlrev_b32_e32 v3, v10, v3
	v_sub_u32_e32 v7, 29, v7
	v_and_b32_e32 v3, 7, v3
	v_cmp_eq_u16_e32 vcc, 0, v6
	v_cndmask_b32_e32 v2, v2, v3, vcc
	v_cndmask_b32_e32 v3, v6, v7, vcc
	v_lshlrev_b32_e32 v6, 16, v8
	v_mov_b32_e32 v7, 0x3b800000
	v_lshlrev_b32_e32 v2, 20, v2
	v_and_b32_e32 v6, 0x80000000, v6
	v_lshl_add_u32 v3, v3, 23, v7
	v_or3_b32 v2, v6, v3, v2
.LBB53_716:
	s_or_b64 exec, exec, s[6:7]
	v_lshrrev_b32_e32 v3, 8, v4
	s_movk_i32 s4, 0x7f
	v_cmp_gt_i16_sdwa s[6:7], v3, s4 src0_sel:BYTE_0 src1_sel:DWORD
	s_mov_b64 s[4:5], 0
                                        ; implicit-def: $sgpr10
	s_and_saveexec_b64 s[8:9], s[6:7]
	s_xor_b64 s[6:7], exec, s[8:9]
	s_cbranch_execnz .LBB53_2765
; %bb.717:
	s_or_saveexec_b64 s[6:7], s[6:7]
	v_mov_b32_e32 v6, s10
	s_xor_b64 exec, exec, s[6:7]
	s_cbranch_execnz .LBB53_2768
.LBB53_718:
	s_or_b64 exec, exec, s[6:7]
	s_and_saveexec_b64 s[6:7], s[4:5]
	s_cbranch_execz .LBB53_720
.LBB53_719:
	v_bfe_u32 v6, v4, 8, 3
	v_ffbh_u32_e32 v10, v6
	v_min_u32_e32 v10, 32, v10
	v_lshrrev_b16_e32 v7, 3, v3
	v_subrev_u32_e32 v11, 28, v10
	v_and_b32_e32 v7, 15, v7
	v_lshlrev_b32_e32 v3, v11, v3
	v_sub_u32_e32 v10, 29, v10
	v_and_b32_e32 v3, 7, v3
	v_cmp_eq_u16_e32 vcc, 0, v7
	v_cndmask_b32_e32 v3, v6, v3, vcc
	v_cndmask_b32_e32 v6, v7, v10, vcc
	v_lshlrev_b32_e32 v7, 16, v4
	v_mov_b32_e32 v10, 0x3b800000
	v_lshlrev_b32_e32 v3, 20, v3
	v_and_b32_e32 v7, 0x80000000, v7
	v_lshl_add_u32 v6, v6, 23, v10
	v_or3_b32 v6, v7, v6, v3
.LBB53_720:
	s_or_b64 exec, exec, s[6:7]
	s_nop 0
	v_mfma_f32_16x16x4f32 a[0:3], v2, v6, a[0:3]
	s_movk_i32 s4, 0xff
	v_and_b32_sdwa v3, v8, s4 dst_sel:DWORD dst_unused:UNUSED_PAD src0_sel:WORD_1 src1_sel:DWORD
	s_movk_i32 s4, 0x7f
	v_cmp_lt_i16_e32 vcc, s4, v3
	s_mov_b64 s[4:5], 0
                                        ; implicit-def: $sgpr10
	s_and_saveexec_b64 s[6:7], vcc
	s_xor_b64 s[6:7], exec, s[6:7]
	s_cbranch_execnz .LBB53_2769
; %bb.721:
	s_or_saveexec_b64 s[6:7], s[6:7]
	v_mov_b32_e32 v2, s10
	s_xor_b64 exec, exec, s[6:7]
	s_cbranch_execnz .LBB53_2772
.LBB53_722:
	s_or_b64 exec, exec, s[6:7]
	s_and_saveexec_b64 s[6:7], s[4:5]
	s_cbranch_execz .LBB53_724
.LBB53_723:
	v_bfe_u32 v2, v8, 16, 3
	v_ffbh_u32_e32 v7, v2
	v_min_u32_e32 v7, 32, v7
	v_lshrrev_b32_e32 v3, 19, v8
	v_subrev_u32_e32 v10, 28, v7
	v_and_b32_e32 v3, 15, v3
	v_lshlrev_b32_sdwa v10, v10, v8 dst_sel:DWORD dst_unused:UNUSED_PAD src0_sel:DWORD src1_sel:WORD_1
	v_bfe_u32 v6, v8, 19, 4
	v_sub_u32_e32 v7, 29, v7
	v_and_b32_e32 v10, 7, v10
	v_cmp_eq_u16_e32 vcc, 0, v3
	v_cndmask_b32_e32 v2, v2, v10, vcc
	v_cndmask_b32_e32 v3, v6, v7, vcc
	v_lshlrev_b32_e32 v6, 8, v8
	v_mov_b32_e32 v7, 0x3b800000
	v_lshlrev_b32_e32 v2, 20, v2
	v_and_b32_e32 v6, 0x80000000, v6
	v_lshl_add_u32 v3, v3, 23, v7
	v_or3_b32 v2, v6, v3, v2
.LBB53_724:
	s_or_b64 exec, exec, s[6:7]
	s_movk_i32 s4, 0xff
	v_and_b32_sdwa v3, v4, s4 dst_sel:DWORD dst_unused:UNUSED_PAD src0_sel:WORD_1 src1_sel:DWORD
	s_movk_i32 s4, 0x7f
	v_cmp_lt_i16_e32 vcc, s4, v3
	s_mov_b64 s[4:5], 0
                                        ; implicit-def: $sgpr10
	s_and_saveexec_b64 s[6:7], vcc
	s_xor_b64 s[6:7], exec, s[6:7]
	s_cbranch_execnz .LBB53_2773
; %bb.725:
	s_or_saveexec_b64 s[6:7], s[6:7]
	v_mov_b32_e32 v6, s10
	s_xor_b64 exec, exec, s[6:7]
	s_cbranch_execnz .LBB53_2776
.LBB53_726:
	s_or_b64 exec, exec, s[6:7]
	s_and_saveexec_b64 s[6:7], s[4:5]
	s_cbranch_execz .LBB53_728
.LBB53_727:
	v_bfe_u32 v3, v4, 16, 3
	v_ffbh_u32_e32 v10, v3
	v_min_u32_e32 v10, 32, v10
	v_lshrrev_b32_e32 v6, 19, v4
	v_subrev_u32_e32 v11, 28, v10
	v_and_b32_e32 v6, 15, v6
	v_lshlrev_b32_sdwa v11, v11, v4 dst_sel:DWORD dst_unused:UNUSED_PAD src0_sel:DWORD src1_sel:WORD_1
	v_bfe_u32 v7, v4, 19, 4
	v_sub_u32_e32 v10, 29, v10
	v_and_b32_e32 v11, 7, v11
	v_cmp_eq_u16_e32 vcc, 0, v6
	v_cndmask_b32_e32 v3, v3, v11, vcc
	v_cndmask_b32_e32 v6, v7, v10, vcc
	v_lshlrev_b32_e32 v7, 8, v4
	v_mov_b32_e32 v10, 0x3b800000
	v_lshlrev_b32_e32 v3, 20, v3
	v_and_b32_e32 v7, 0x80000000, v7
	v_lshl_add_u32 v6, v6, 23, v10
	v_or3_b32 v6, v7, v6, v3
.LBB53_728:
	s_or_b64 exec, exec, s[6:7]
	s_nop 0
	v_mfma_f32_16x16x4f32 a[0:3], v2, v6, a[0:3]
	s_movk_i32 s4, 0x7f
	v_cmp_gt_i16_sdwa s[6:7], v8, s4 src0_sel:BYTE_3 src1_sel:DWORD
	s_mov_b64 s[4:5], 0
                                        ; implicit-def: $sgpr10
	s_and_saveexec_b64 s[8:9], s[6:7]
	s_xor_b64 s[6:7], exec, s[8:9]
	s_cbranch_execnz .LBB53_2777
; %bb.729:
	s_or_saveexec_b64 s[6:7], s[6:7]
	v_mov_b32_e32 v2, s10
	s_xor_b64 exec, exec, s[6:7]
	s_cbranch_execnz .LBB53_2780
.LBB53_730:
	s_or_b64 exec, exec, s[6:7]
	s_and_saveexec_b64 s[6:7], s[4:5]
	s_cbranch_execz .LBB53_732
.LBB53_731:
	v_bfe_u32 v2, v8, 24, 3
	v_ffbh_u32_e32 v10, v2
	v_min_u32_e32 v10, 32, v10
	v_lshrrev_b32_e32 v6, 27, v8
	v_subrev_u32_e32 v11, 28, v10
	v_and_b32_e32 v3, 0x80000000, v8
	v_and_b32_e32 v6, 15, v6
	v_bfe_u32 v7, v8, 27, 4
	v_lshlrev_b32_sdwa v8, v11, v8 dst_sel:DWORD dst_unused:UNUSED_PAD src0_sel:DWORD src1_sel:BYTE_3
	v_sub_u32_e32 v10, 29, v10
	v_and_b32_e32 v8, 7, v8
	v_cmp_eq_u16_e32 vcc, 0, v6
	v_cndmask_b32_e32 v2, v2, v8, vcc
	v_cndmask_b32_e32 v6, v7, v10, vcc
	v_mov_b32_e32 v7, 0x3b800000
	v_lshlrev_b32_e32 v2, 20, v2
	v_lshl_add_u32 v6, v6, 23, v7
	v_or3_b32 v2, v3, v6, v2
.LBB53_732:
	s_or_b64 exec, exec, s[6:7]
	s_movk_i32 s4, 0x7f
	v_cmp_gt_i16_sdwa s[6:7], v4, s4 src0_sel:BYTE_3 src1_sel:DWORD
	s_mov_b64 s[4:5], 0
                                        ; implicit-def: $sgpr10
	s_and_saveexec_b64 s[8:9], s[6:7]
	s_xor_b64 s[6:7], exec, s[8:9]
	s_cbranch_execnz .LBB53_2781
; %bb.733:
	s_or_saveexec_b64 s[6:7], s[6:7]
	v_mov_b32_e32 v3, s10
	s_xor_b64 exec, exec, s[6:7]
	s_cbranch_execnz .LBB53_2784
.LBB53_734:
	s_or_b64 exec, exec, s[6:7]
	s_and_saveexec_b64 s[6:7], s[4:5]
	s_cbranch_execz .LBB53_736
.LBB53_735:
	v_bfe_u32 v3, v4, 24, 3
	v_ffbh_u32_e32 v10, v3
	v_min_u32_e32 v10, 32, v10
	v_lshrrev_b32_e32 v7, 27, v4
	v_subrev_u32_e32 v11, 28, v10
	v_and_b32_e32 v6, 0x80000000, v4
	v_and_b32_e32 v7, 15, v7
	v_bfe_u32 v8, v4, 27, 4
	v_lshlrev_b32_sdwa v4, v11, v4 dst_sel:DWORD dst_unused:UNUSED_PAD src0_sel:DWORD src1_sel:BYTE_3
	v_sub_u32_e32 v10, 29, v10
	v_and_b32_e32 v4, 7, v4
	v_cmp_eq_u16_e32 vcc, 0, v7
	v_cndmask_b32_e32 v3, v3, v4, vcc
	v_cndmask_b32_e32 v4, v8, v10, vcc
	v_mov_b32_e32 v7, 0x3b800000
	v_lshlrev_b32_e32 v3, 20, v3
	v_lshl_add_u32 v4, v4, 23, v7
	v_or3_b32 v3, v6, v4, v3
.LBB53_736:
	s_or_b64 exec, exec, s[6:7]
	s_nop 0
	v_mfma_f32_16x16x4f32 a[0:3], v2, v3, a[0:3]
	s_movk_i32 s4, 0x7f
	v_cmp_gt_i16_sdwa s[6:7], v9, s4 src0_sel:BYTE_0 src1_sel:DWORD
	s_mov_b64 s[4:5], 0
                                        ; implicit-def: $sgpr10
	s_and_saveexec_b64 s[8:9], s[6:7]
	s_xor_b64 s[6:7], exec, s[8:9]
	s_cbranch_execnz .LBB53_2785
; %bb.737:
	s_or_saveexec_b64 s[6:7], s[6:7]
	v_mov_b32_e32 v2, s10
	s_xor_b64 exec, exec, s[6:7]
	s_cbranch_execnz .LBB53_2788
.LBB53_738:
	s_or_b64 exec, exec, s[6:7]
	s_and_saveexec_b64 s[6:7], s[4:5]
	s_cbranch_execz .LBB53_740
.LBB53_739:
	v_mov_b32_e32 v2, 8
	v_and_b32_e32 v3, 7, v9
	v_lshrrev_b32_sdwa v2, v2, v9 dst_sel:BYTE_1 dst_unused:UNUSED_PAD src0_sel:DWORD src1_sel:DWORD
	v_ffbh_u32_e32 v4, v3
	v_or_b32_sdwa v2, v9, v2 dst_sel:DWORD dst_unused:UNUSED_PAD src0_sel:BYTE_0 src1_sel:DWORD
	v_min_u32_e32 v4, 32, v4
	v_lshrrev_b16_e32 v2, 3, v2
	v_subrev_u32_e32 v6, 28, v4
	v_and_b32_e32 v2, 15, v2
	v_lshlrev_b32_e32 v6, v6, v9
	v_sub_u32_e32 v4, 29, v4
	v_and_b32_e32 v6, 7, v6
	v_cmp_eq_u16_e32 vcc, 0, v2
	v_cndmask_b32_e32 v3, v3, v6, vcc
	v_cndmask_b32_e32 v2, v2, v4, vcc
	v_lshlrev_b32_e32 v4, 24, v9
	v_mov_b32_e32 v6, 0x3b800000
	v_lshlrev_b32_e32 v3, 20, v3
	v_and_b32_e32 v4, 0x80000000, v4
	v_lshl_add_u32 v2, v2, 23, v6
	v_or3_b32 v2, v4, v2, v3
.LBB53_740:
	s_or_b64 exec, exec, s[6:7]
	s_movk_i32 s4, 0x7f
	v_cmp_gt_i16_sdwa s[6:7], v5, s4 src0_sel:BYTE_0 src1_sel:DWORD
	s_mov_b64 s[4:5], 0
                                        ; implicit-def: $sgpr10
	s_and_saveexec_b64 s[8:9], s[6:7]
	s_xor_b64 s[6:7], exec, s[8:9]
	s_cbranch_execnz .LBB53_2789
; %bb.741:
	s_or_saveexec_b64 s[6:7], s[6:7]
	v_mov_b32_e32 v3, s10
	s_xor_b64 exec, exec, s[6:7]
	s_cbranch_execnz .LBB53_2792
.LBB53_742:
	s_or_b64 exec, exec, s[6:7]
	s_and_saveexec_b64 s[6:7], s[4:5]
	s_cbranch_execz .LBB53_744
.LBB53_743:
	v_mov_b32_e32 v3, 8
	v_and_b32_e32 v4, 7, v5
	v_lshrrev_b32_sdwa v3, v3, v5 dst_sel:BYTE_1 dst_unused:UNUSED_PAD src0_sel:DWORD src1_sel:DWORD
	v_ffbh_u32_e32 v6, v4
	v_or_b32_sdwa v3, v5, v3 dst_sel:DWORD dst_unused:UNUSED_PAD src0_sel:BYTE_0 src1_sel:DWORD
	v_min_u32_e32 v6, 32, v6
	v_lshrrev_b16_e32 v3, 3, v3
	v_subrev_u32_e32 v7, 28, v6
	v_and_b32_e32 v3, 15, v3
	v_lshlrev_b32_e32 v7, v7, v5
	v_sub_u32_e32 v6, 29, v6
	v_and_b32_e32 v7, 7, v7
	v_cmp_eq_u16_e32 vcc, 0, v3
	v_cndmask_b32_e32 v4, v4, v7, vcc
	v_cndmask_b32_e32 v3, v3, v6, vcc
	v_lshlrev_b32_e32 v6, 24, v5
	v_mov_b32_e32 v7, 0x3b800000
	v_lshlrev_b32_e32 v4, 20, v4
	v_and_b32_e32 v6, 0x80000000, v6
	v_lshl_add_u32 v3, v3, 23, v7
	v_or3_b32 v3, v6, v3, v4
.LBB53_744:
	s_or_b64 exec, exec, s[6:7]
	s_nop 0
	v_mfma_f32_16x16x4f32 a[0:3], v2, v3, a[0:3]
	v_lshrrev_b32_e32 v3, 8, v9
	s_movk_i32 s4, 0x7f
	v_cmp_gt_i16_sdwa s[6:7], v3, s4 src0_sel:BYTE_0 src1_sel:DWORD
	s_mov_b64 s[4:5], 0
                                        ; implicit-def: $sgpr10
	s_and_saveexec_b64 s[8:9], s[6:7]
	s_xor_b64 s[6:7], exec, s[8:9]
	s_cbranch_execnz .LBB53_2793
; %bb.745:
	s_or_saveexec_b64 s[6:7], s[6:7]
	v_mov_b32_e32 v2, s10
	s_xor_b64 exec, exec, s[6:7]
	s_cbranch_execnz .LBB53_2796
.LBB53_746:
	s_or_b64 exec, exec, s[6:7]
	s_and_saveexec_b64 s[6:7], s[4:5]
	s_cbranch_execz .LBB53_748
.LBB53_747:
	v_bfe_u32 v2, v9, 8, 3
	v_ffbh_u32_e32 v6, v2
	v_min_u32_e32 v6, 32, v6
	v_lshrrev_b16_e32 v4, 3, v3
	v_subrev_u32_e32 v7, 28, v6
	v_and_b32_e32 v4, 15, v4
	v_lshlrev_b32_e32 v3, v7, v3
	v_sub_u32_e32 v6, 29, v6
	v_and_b32_e32 v3, 7, v3
	v_cmp_eq_u16_e32 vcc, 0, v4
	v_cndmask_b32_e32 v2, v2, v3, vcc
	v_cndmask_b32_e32 v3, v4, v6, vcc
	v_lshlrev_b32_e32 v4, 16, v9
	v_mov_b32_e32 v6, 0x3b800000
	v_lshlrev_b32_e32 v2, 20, v2
	v_and_b32_e32 v4, 0x80000000, v4
	v_lshl_add_u32 v3, v3, 23, v6
	v_or3_b32 v2, v4, v3, v2
.LBB53_748:
	s_or_b64 exec, exec, s[6:7]
	v_lshrrev_b32_e32 v3, 8, v5
	s_movk_i32 s4, 0x7f
	v_cmp_gt_i16_sdwa s[6:7], v3, s4 src0_sel:BYTE_0 src1_sel:DWORD
	s_mov_b64 s[4:5], 0
                                        ; implicit-def: $sgpr10
	s_and_saveexec_b64 s[8:9], s[6:7]
	s_xor_b64 s[6:7], exec, s[8:9]
	s_cbranch_execnz .LBB53_2797
; %bb.749:
	s_or_saveexec_b64 s[6:7], s[6:7]
	v_mov_b32_e32 v4, s10
	s_xor_b64 exec, exec, s[6:7]
	s_cbranch_execnz .LBB53_2800
.LBB53_750:
	s_or_b64 exec, exec, s[6:7]
	s_and_saveexec_b64 s[6:7], s[4:5]
	s_cbranch_execz .LBB53_752
.LBB53_751:
	v_bfe_u32 v4, v5, 8, 3
	v_ffbh_u32_e32 v7, v4
	v_min_u32_e32 v7, 32, v7
	v_lshrrev_b16_e32 v6, 3, v3
	v_subrev_u32_e32 v8, 28, v7
	v_and_b32_e32 v6, 15, v6
	v_lshlrev_b32_e32 v3, v8, v3
	v_sub_u32_e32 v7, 29, v7
	v_and_b32_e32 v3, 7, v3
	v_cmp_eq_u16_e32 vcc, 0, v6
	v_cndmask_b32_e32 v3, v4, v3, vcc
	v_cndmask_b32_e32 v4, v6, v7, vcc
	v_lshlrev_b32_e32 v6, 16, v5
	v_mov_b32_e32 v7, 0x3b800000
	v_lshlrev_b32_e32 v3, 20, v3
	v_and_b32_e32 v6, 0x80000000, v6
	v_lshl_add_u32 v4, v4, 23, v7
	v_or3_b32 v4, v6, v4, v3
.LBB53_752:
	s_or_b64 exec, exec, s[6:7]
	s_nop 0
	v_mfma_f32_16x16x4f32 a[0:3], v2, v4, a[0:3]
	s_movk_i32 s4, 0xff
	v_and_b32_sdwa v3, v9, s4 dst_sel:DWORD dst_unused:UNUSED_PAD src0_sel:WORD_1 src1_sel:DWORD
	s_movk_i32 s4, 0x7f
	v_cmp_lt_i16_e32 vcc, s4, v3
	s_mov_b64 s[4:5], 0
                                        ; implicit-def: $sgpr10
	s_and_saveexec_b64 s[6:7], vcc
	s_xor_b64 s[6:7], exec, s[6:7]
	s_cbranch_execnz .LBB53_2801
; %bb.753:
	s_or_saveexec_b64 s[6:7], s[6:7]
	v_mov_b32_e32 v2, s10
	s_xor_b64 exec, exec, s[6:7]
	s_cbranch_execnz .LBB53_2804
.LBB53_754:
	s_or_b64 exec, exec, s[6:7]
	s_and_saveexec_b64 s[6:7], s[4:5]
	s_cbranch_execz .LBB53_756
.LBB53_755:
	v_bfe_u32 v2, v9, 16, 3
	v_ffbh_u32_e32 v6, v2
	v_min_u32_e32 v6, 32, v6
	v_lshrrev_b32_e32 v3, 19, v9
	v_subrev_u32_e32 v7, 28, v6
	v_and_b32_e32 v3, 15, v3
	v_lshlrev_b32_sdwa v7, v7, v9 dst_sel:DWORD dst_unused:UNUSED_PAD src0_sel:DWORD src1_sel:WORD_1
	v_bfe_u32 v4, v9, 19, 4
	v_sub_u32_e32 v6, 29, v6
	v_and_b32_e32 v7, 7, v7
	v_cmp_eq_u16_e32 vcc, 0, v3
	v_cndmask_b32_e32 v2, v2, v7, vcc
	v_cndmask_b32_e32 v3, v4, v6, vcc
	v_lshlrev_b32_e32 v4, 8, v9
	v_mov_b32_e32 v6, 0x3b800000
	v_lshlrev_b32_e32 v2, 20, v2
	v_and_b32_e32 v4, 0x80000000, v4
	v_lshl_add_u32 v3, v3, 23, v6
	v_or3_b32 v2, v4, v3, v2
.LBB53_756:
	s_or_b64 exec, exec, s[6:7]
	s_movk_i32 s4, 0xff
	v_and_b32_sdwa v3, v5, s4 dst_sel:DWORD dst_unused:UNUSED_PAD src0_sel:WORD_1 src1_sel:DWORD
	s_movk_i32 s4, 0x7f
	v_cmp_lt_i16_e32 vcc, s4, v3
	s_mov_b64 s[4:5], 0
                                        ; implicit-def: $sgpr10
	s_and_saveexec_b64 s[6:7], vcc
	s_xor_b64 s[6:7], exec, s[6:7]
	s_cbranch_execnz .LBB53_2805
; %bb.757:
	s_or_saveexec_b64 s[6:7], s[6:7]
	v_mov_b32_e32 v4, s10
	s_xor_b64 exec, exec, s[6:7]
	s_cbranch_execnz .LBB53_2808
.LBB53_758:
	s_or_b64 exec, exec, s[6:7]
	s_and_saveexec_b64 s[6:7], s[4:5]
	s_cbranch_execz .LBB53_760
.LBB53_759:
	v_bfe_u32 v3, v5, 16, 3
	v_ffbh_u32_e32 v7, v3
	v_min_u32_e32 v7, 32, v7
	v_lshrrev_b32_e32 v4, 19, v5
	v_subrev_u32_e32 v8, 28, v7
	v_and_b32_e32 v4, 15, v4
	v_lshlrev_b32_sdwa v8, v8, v5 dst_sel:DWORD dst_unused:UNUSED_PAD src0_sel:DWORD src1_sel:WORD_1
	v_bfe_u32 v6, v5, 19, 4
	v_sub_u32_e32 v7, 29, v7
	v_and_b32_e32 v8, 7, v8
	v_cmp_eq_u16_e32 vcc, 0, v4
	v_cndmask_b32_e32 v3, v3, v8, vcc
	v_cndmask_b32_e32 v4, v6, v7, vcc
	v_lshlrev_b32_e32 v6, 8, v5
	v_mov_b32_e32 v7, 0x3b800000
	v_lshlrev_b32_e32 v3, 20, v3
	v_and_b32_e32 v6, 0x80000000, v6
	v_lshl_add_u32 v4, v4, 23, v7
	v_or3_b32 v4, v6, v4, v3
.LBB53_760:
	s_or_b64 exec, exec, s[6:7]
	s_nop 0
	v_mfma_f32_16x16x4f32 a[0:3], v2, v4, a[0:3]
	s_movk_i32 s4, 0x7f
	v_cmp_gt_i16_sdwa s[6:7], v9, s4 src0_sel:BYTE_3 src1_sel:DWORD
	s_mov_b64 s[4:5], 0
                                        ; implicit-def: $sgpr10
	s_and_saveexec_b64 s[8:9], s[6:7]
	s_xor_b64 s[6:7], exec, s[8:9]
	s_cbranch_execnz .LBB53_2809
; %bb.761:
	s_or_saveexec_b64 s[6:7], s[6:7]
	v_mov_b32_e32 v2, s10
	s_xor_b64 exec, exec, s[6:7]
	s_cbranch_execnz .LBB53_2812
.LBB53_762:
	s_or_b64 exec, exec, s[6:7]
	s_and_saveexec_b64 s[6:7], s[4:5]
	s_cbranch_execz .LBB53_764
.LBB53_763:
	v_bfe_u32 v2, v9, 24, 3
	v_ffbh_u32_e32 v7, v2
	v_min_u32_e32 v7, 32, v7
	v_lshrrev_b32_e32 v4, 27, v9
	v_subrev_u32_e32 v8, 28, v7
	v_and_b32_e32 v4, 15, v4
	v_lshlrev_b32_sdwa v8, v8, v9 dst_sel:DWORD dst_unused:UNUSED_PAD src0_sel:DWORD src1_sel:BYTE_3
	v_bfe_u32 v6, v9, 27, 4
	v_sub_u32_e32 v7, 29, v7
	v_and_b32_e32 v8, 7, v8
	v_cmp_eq_u16_e32 vcc, 0, v4
	v_cndmask_b32_e32 v2, v2, v8, vcc
	v_cndmask_b32_e32 v4, v6, v7, vcc
	v_mov_b32_e32 v6, 0x3b800000
	v_and_b32_e32 v3, 0x80000000, v9
	v_lshlrev_b32_e32 v2, 20, v2
	v_lshl_add_u32 v4, v4, 23, v6
	v_or3_b32 v2, v3, v4, v2
.LBB53_764:
	s_or_b64 exec, exec, s[6:7]
	s_movk_i32 s4, 0x7f
	v_cmp_gt_i16_sdwa s[6:7], v5, s4 src0_sel:BYTE_3 src1_sel:DWORD
	s_mov_b64 s[4:5], 0
                                        ; implicit-def: $sgpr10
	s_and_saveexec_b64 s[8:9], s[6:7]
	s_xor_b64 s[6:7], exec, s[8:9]
	s_cbranch_execnz .LBB53_2813
; %bb.765:
	s_or_saveexec_b64 s[6:7], s[6:7]
	v_mov_b32_e32 v3, s10
	s_xor_b64 exec, exec, s[6:7]
	s_cbranch_execnz .LBB53_2816
.LBB53_766:
	s_or_b64 exec, exec, s[6:7]
	s_and_saveexec_b64 s[6:7], s[4:5]
	s_cbranch_execz .LBB53_768
.LBB53_767:
	v_bfe_u32 v3, v5, 24, 3
	v_ffbh_u32_e32 v8, v3
	v_min_u32_e32 v8, 32, v8
	v_lshrrev_b32_e32 v6, 27, v5
	v_subrev_u32_e32 v9, 28, v8
	v_and_b32_e32 v4, 0x80000000, v5
	v_and_b32_e32 v6, 15, v6
	v_bfe_u32 v7, v5, 27, 4
	v_lshlrev_b32_sdwa v5, v9, v5 dst_sel:DWORD dst_unused:UNUSED_PAD src0_sel:DWORD src1_sel:BYTE_3
	v_sub_u32_e32 v8, 29, v8
	v_and_b32_e32 v5, 7, v5
	v_cmp_eq_u16_e32 vcc, 0, v6
	v_cndmask_b32_e32 v3, v3, v5, vcc
	v_cndmask_b32_e32 v5, v7, v8, vcc
	v_mov_b32_e32 v6, 0x3b800000
	v_lshlrev_b32_e32 v3, 20, v3
	v_lshl_add_u32 v5, v5, 23, v6
	v_or3_b32 v3, v4, v5, v3
.LBB53_768:
	s_or_b64 exec, exec, s[6:7]
	s_nop 0
	v_mfma_f32_16x16x4f32 a[0:3], v2, v3, a[0:3]
	s_movk_i32 s4, 0x7f
                                        ; implicit-def: $sgpr10
	s_nop 7
	s_nop 1
	flat_store_dwordx4 v[18:19], a[0:3] offset:160
	flat_load_dwordx4 v[20:23], v[0:1] offset:8
	s_nop 0
	flat_load_dwordx2 v[18:19], v[0:1] offset:24
	s_waitcnt vmcnt(0) lgkmcnt(0)
	flat_load_dwordx4 v[14:17], v[20:21] offset:32
	flat_load_dwordx4 v[6:9], v[20:21] offset:48
	;; [unrolled: 1-line block ×4, first 2 shown]
	s_waitcnt vmcnt(0) lgkmcnt(0)
	v_cmp_gt_i16_sdwa s[6:7], v14, s4 src0_sel:BYTE_0 src1_sel:DWORD
	s_mov_b64 s[4:5], 0
	s_and_saveexec_b64 s[8:9], s[6:7]
	s_xor_b64 s[6:7], exec, s[8:9]
	s_cbranch_execnz .LBB53_2817
; %bb.769:
	s_or_saveexec_b64 s[6:7], s[6:7]
	v_mov_b32_e32 v20, s10
	s_xor_b64 exec, exec, s[6:7]
	s_cbranch_execnz .LBB53_2820
.LBB53_770:
	s_or_b64 exec, exec, s[6:7]
	s_and_saveexec_b64 s[6:7], s[4:5]
	s_cbranch_execz .LBB53_772
.LBB53_771:
	v_and_b32_e32 v20, 7, v14
	v_ffbh_u32_e32 v22, v20
	v_min_u32_e32 v22, 32, v22
	v_lshrrev_b16_e32 v21, 3, v14
	v_subrev_u32_e32 v23, 28, v22
	v_and_b32_e32 v21, 15, v21
	v_lshlrev_b32_e32 v23, v23, v14
	v_sub_u32_e32 v22, 29, v22
	v_and_b32_e32 v23, 7, v23
	v_cmp_eq_u16_e32 vcc, 0, v21
	v_cndmask_b32_e32 v20, v20, v23, vcc
	v_cndmask_b32_e32 v21, v21, v22, vcc
	v_lshlrev_b32_e32 v22, 24, v14
	v_mov_b32_e32 v23, 0x3b800000
	v_lshlrev_b32_e32 v20, 20, v20
	v_and_b32_e32 v22, 0x80000000, v22
	v_lshl_add_u32 v21, v21, 23, v23
	v_or3_b32 v20, v22, v21, v20
.LBB53_772:
	s_or_b64 exec, exec, s[6:7]
	s_movk_i32 s4, 0x7f
	v_cmp_gt_i16_sdwa s[6:7], v10, s4 src0_sel:BYTE_0 src1_sel:DWORD
	s_mov_b64 s[4:5], 0
                                        ; implicit-def: $sgpr10
	s_and_saveexec_b64 s[8:9], s[6:7]
	s_xor_b64 s[6:7], exec, s[8:9]
	s_cbranch_execnz .LBB53_2821
; %bb.773:
	s_or_saveexec_b64 s[6:7], s[6:7]
	v_mov_b32_e32 v21, s10
	s_xor_b64 exec, exec, s[6:7]
	s_cbranch_execnz .LBB53_2824
.LBB53_774:
	s_or_b64 exec, exec, s[6:7]
	s_and_saveexec_b64 s[6:7], s[4:5]
	s_cbranch_execz .LBB53_776
.LBB53_775:
	v_and_b32_e32 v21, 7, v10
	v_ffbh_u32_e32 v23, v21
	v_min_u32_e32 v23, 32, v23
	v_lshrrev_b16_e32 v22, 3, v10
	v_subrev_u32_e32 v24, 28, v23
	v_and_b32_e32 v22, 15, v22
	v_lshlrev_b32_e32 v24, v24, v10
	v_sub_u32_e32 v23, 29, v23
	v_and_b32_e32 v24, 7, v24
	v_cmp_eq_u16_e32 vcc, 0, v22
	v_cndmask_b32_e32 v21, v21, v24, vcc
	v_cndmask_b32_e32 v22, v22, v23, vcc
	v_lshlrev_b32_e32 v23, 24, v10
	v_mov_b32_e32 v24, 0x3b800000
	v_lshlrev_b32_e32 v21, 20, v21
	v_and_b32_e32 v23, 0x80000000, v23
	v_lshl_add_u32 v22, v22, 23, v24
	v_or3_b32 v21, v23, v22, v21
.LBB53_776:
	s_or_b64 exec, exec, s[6:7]
	flat_load_dwordx4 a[0:3], v[18:19] offset:176
	s_movk_i32 s4, 0x7f
                                        ; implicit-def: $sgpr10
	s_waitcnt vmcnt(0) lgkmcnt(0)
	v_mfma_f32_16x16x4f32 a[0:3], v20, v21, a[0:3]
	v_lshrrev_b32_e32 v21, 8, v14
	v_cmp_gt_i16_sdwa s[6:7], v21, s4 src0_sel:BYTE_0 src1_sel:DWORD
	s_mov_b64 s[4:5], 0
	s_and_saveexec_b64 s[8:9], s[6:7]
	s_xor_b64 s[6:7], exec, s[8:9]
	s_cbranch_execnz .LBB53_2825
; %bb.777:
	s_or_saveexec_b64 s[6:7], s[6:7]
	v_mov_b32_e32 v20, s10
	s_xor_b64 exec, exec, s[6:7]
	s_cbranch_execnz .LBB53_2828
.LBB53_778:
	s_or_b64 exec, exec, s[6:7]
	s_and_saveexec_b64 s[6:7], s[4:5]
	s_cbranch_execz .LBB53_780
.LBB53_779:
	v_bfe_u32 v20, v14, 8, 3
	v_ffbh_u32_e32 v23, v20
	v_min_u32_e32 v23, 32, v23
	v_lshrrev_b16_e32 v22, 3, v21
	v_subrev_u32_e32 v24, 28, v23
	v_and_b32_e32 v22, 15, v22
	v_lshlrev_b32_e32 v21, v24, v21
	v_sub_u32_e32 v23, 29, v23
	v_and_b32_e32 v21, 7, v21
	v_cmp_eq_u16_e32 vcc, 0, v22
	v_cndmask_b32_e32 v20, v20, v21, vcc
	v_cndmask_b32_e32 v21, v22, v23, vcc
	v_lshlrev_b32_e32 v22, 16, v14
	v_mov_b32_e32 v23, 0x3b800000
	v_lshlrev_b32_e32 v20, 20, v20
	v_and_b32_e32 v22, 0x80000000, v22
	v_lshl_add_u32 v21, v21, 23, v23
	v_or3_b32 v20, v22, v21, v20
.LBB53_780:
	s_or_b64 exec, exec, s[6:7]
	v_lshrrev_b32_e32 v21, 8, v10
	s_movk_i32 s4, 0x7f
	v_cmp_gt_i16_sdwa s[6:7], v21, s4 src0_sel:BYTE_0 src1_sel:DWORD
	s_mov_b64 s[4:5], 0
                                        ; implicit-def: $sgpr10
	s_and_saveexec_b64 s[8:9], s[6:7]
	s_xor_b64 s[6:7], exec, s[8:9]
	s_cbranch_execnz .LBB53_2829
; %bb.781:
	s_or_saveexec_b64 s[6:7], s[6:7]
	v_mov_b32_e32 v22, s10
	s_xor_b64 exec, exec, s[6:7]
	s_cbranch_execnz .LBB53_2832
.LBB53_782:
	s_or_b64 exec, exec, s[6:7]
	s_and_saveexec_b64 s[6:7], s[4:5]
	s_cbranch_execz .LBB53_784
.LBB53_783:
	v_bfe_u32 v22, v10, 8, 3
	v_ffbh_u32_e32 v24, v22
	v_min_u32_e32 v24, 32, v24
	v_lshrrev_b16_e32 v23, 3, v21
	v_subrev_u32_e32 v25, 28, v24
	v_and_b32_e32 v23, 15, v23
	v_lshlrev_b32_e32 v21, v25, v21
	v_sub_u32_e32 v24, 29, v24
	v_and_b32_e32 v21, 7, v21
	v_cmp_eq_u16_e32 vcc, 0, v23
	v_cndmask_b32_e32 v21, v22, v21, vcc
	v_cndmask_b32_e32 v22, v23, v24, vcc
	v_lshlrev_b32_e32 v23, 16, v10
	v_mov_b32_e32 v24, 0x3b800000
	v_lshlrev_b32_e32 v21, 20, v21
	v_and_b32_e32 v23, 0x80000000, v23
	v_lshl_add_u32 v22, v22, 23, v24
	v_or3_b32 v22, v23, v22, v21
.LBB53_784:
	s_or_b64 exec, exec, s[6:7]
	s_nop 0
	v_mfma_f32_16x16x4f32 a[0:3], v20, v22, a[0:3]
	s_movk_i32 s4, 0xff
	v_and_b32_sdwa v21, v14, s4 dst_sel:DWORD dst_unused:UNUSED_PAD src0_sel:WORD_1 src1_sel:DWORD
	s_movk_i32 s4, 0x7f
	v_cmp_lt_i16_e32 vcc, s4, v21
	s_mov_b64 s[4:5], 0
                                        ; implicit-def: $sgpr10
	s_and_saveexec_b64 s[6:7], vcc
	s_xor_b64 s[6:7], exec, s[6:7]
	s_cbranch_execnz .LBB53_2833
; %bb.785:
	s_or_saveexec_b64 s[6:7], s[6:7]
	v_mov_b32_e32 v20, s10
	s_xor_b64 exec, exec, s[6:7]
	s_cbranch_execnz .LBB53_2836
.LBB53_786:
	s_or_b64 exec, exec, s[6:7]
	s_and_saveexec_b64 s[6:7], s[4:5]
	s_cbranch_execz .LBB53_788
.LBB53_787:
	v_bfe_u32 v20, v14, 16, 3
	v_ffbh_u32_e32 v23, v20
	v_min_u32_e32 v23, 32, v23
	v_lshrrev_b32_e32 v21, 19, v14
	v_subrev_u32_e32 v24, 28, v23
	v_and_b32_e32 v21, 15, v21
	v_lshlrev_b32_sdwa v24, v24, v14 dst_sel:DWORD dst_unused:UNUSED_PAD src0_sel:DWORD src1_sel:WORD_1
	v_bfe_u32 v22, v14, 19, 4
	v_sub_u32_e32 v23, 29, v23
	v_and_b32_e32 v24, 7, v24
	v_cmp_eq_u16_e32 vcc, 0, v21
	v_cndmask_b32_e32 v20, v20, v24, vcc
	v_cndmask_b32_e32 v21, v22, v23, vcc
	v_lshlrev_b32_e32 v22, 8, v14
	v_mov_b32_e32 v23, 0x3b800000
	v_lshlrev_b32_e32 v20, 20, v20
	v_and_b32_e32 v22, 0x80000000, v22
	v_lshl_add_u32 v21, v21, 23, v23
	v_or3_b32 v20, v22, v21, v20
.LBB53_788:
	s_or_b64 exec, exec, s[6:7]
	s_movk_i32 s4, 0xff
	v_and_b32_sdwa v21, v10, s4 dst_sel:DWORD dst_unused:UNUSED_PAD src0_sel:WORD_1 src1_sel:DWORD
	s_movk_i32 s4, 0x7f
	v_cmp_lt_i16_e32 vcc, s4, v21
	s_mov_b64 s[4:5], 0
                                        ; implicit-def: $sgpr10
	s_and_saveexec_b64 s[6:7], vcc
	s_xor_b64 s[6:7], exec, s[6:7]
	s_cbranch_execnz .LBB53_2837
; %bb.789:
	s_or_saveexec_b64 s[6:7], s[6:7]
	v_mov_b32_e32 v22, s10
	s_xor_b64 exec, exec, s[6:7]
	s_cbranch_execnz .LBB53_2840
.LBB53_790:
	s_or_b64 exec, exec, s[6:7]
	s_and_saveexec_b64 s[6:7], s[4:5]
	s_cbranch_execz .LBB53_792
.LBB53_791:
	v_bfe_u32 v21, v10, 16, 3
	v_ffbh_u32_e32 v24, v21
	v_min_u32_e32 v24, 32, v24
	v_lshrrev_b32_e32 v22, 19, v10
	v_subrev_u32_e32 v25, 28, v24
	v_and_b32_e32 v22, 15, v22
	v_lshlrev_b32_sdwa v25, v25, v10 dst_sel:DWORD dst_unused:UNUSED_PAD src0_sel:DWORD src1_sel:WORD_1
	v_bfe_u32 v23, v10, 19, 4
	v_sub_u32_e32 v24, 29, v24
	v_and_b32_e32 v25, 7, v25
	v_cmp_eq_u16_e32 vcc, 0, v22
	v_cndmask_b32_e32 v21, v21, v25, vcc
	v_cndmask_b32_e32 v22, v23, v24, vcc
	v_lshlrev_b32_e32 v23, 8, v10
	v_mov_b32_e32 v24, 0x3b800000
	v_lshlrev_b32_e32 v21, 20, v21
	v_and_b32_e32 v23, 0x80000000, v23
	v_lshl_add_u32 v22, v22, 23, v24
	v_or3_b32 v22, v23, v22, v21
.LBB53_792:
	s_or_b64 exec, exec, s[6:7]
	s_nop 0
	v_mfma_f32_16x16x4f32 a[0:3], v20, v22, a[0:3]
	s_movk_i32 s4, 0x7f
	v_cmp_gt_i16_sdwa s[6:7], v14, s4 src0_sel:BYTE_3 src1_sel:DWORD
	s_mov_b64 s[4:5], 0
                                        ; implicit-def: $sgpr10
	s_and_saveexec_b64 s[8:9], s[6:7]
	s_xor_b64 s[6:7], exec, s[8:9]
	s_cbranch_execnz .LBB53_2841
; %bb.793:
	s_or_saveexec_b64 s[6:7], s[6:7]
	v_mov_b32_e32 v20, s10
	s_xor_b64 exec, exec, s[6:7]
	s_cbranch_execnz .LBB53_2844
.LBB53_794:
	s_or_b64 exec, exec, s[6:7]
	s_and_saveexec_b64 s[6:7], s[4:5]
	s_cbranch_execz .LBB53_796
.LBB53_795:
	v_bfe_u32 v20, v14, 24, 3
	v_ffbh_u32_e32 v24, v20
	v_min_u32_e32 v24, 32, v24
	v_lshrrev_b32_e32 v22, 27, v14
	v_subrev_u32_e32 v25, 28, v24
	v_and_b32_e32 v21, 0x80000000, v14
	v_and_b32_e32 v22, 15, v22
	v_bfe_u32 v23, v14, 27, 4
	v_lshlrev_b32_sdwa v14, v25, v14 dst_sel:DWORD dst_unused:UNUSED_PAD src0_sel:DWORD src1_sel:BYTE_3
	v_sub_u32_e32 v24, 29, v24
	v_and_b32_e32 v14, 7, v14
	v_cmp_eq_u16_e32 vcc, 0, v22
	v_cndmask_b32_e32 v14, v20, v14, vcc
	v_cndmask_b32_e32 v20, v23, v24, vcc
	v_mov_b32_e32 v22, 0x3b800000
	v_lshlrev_b32_e32 v14, 20, v14
	v_lshl_add_u32 v20, v20, 23, v22
	v_or3_b32 v20, v21, v20, v14
.LBB53_796:
	s_or_b64 exec, exec, s[6:7]
	s_movk_i32 s4, 0x7f
	v_cmp_gt_i16_sdwa s[6:7], v10, s4 src0_sel:BYTE_3 src1_sel:DWORD
	s_mov_b64 s[4:5], 0
                                        ; implicit-def: $sgpr10
	s_and_saveexec_b64 s[8:9], s[6:7]
	s_xor_b64 s[6:7], exec, s[8:9]
	s_cbranch_execnz .LBB53_2845
; %bb.797:
	s_or_saveexec_b64 s[6:7], s[6:7]
	v_mov_b32_e32 v14, s10
	s_xor_b64 exec, exec, s[6:7]
	s_cbranch_execnz .LBB53_2848
.LBB53_798:
	s_or_b64 exec, exec, s[6:7]
	s_and_saveexec_b64 s[6:7], s[4:5]
	s_cbranch_execz .LBB53_800
.LBB53_799:
	v_bfe_u32 v14, v10, 24, 3
	v_ffbh_u32_e32 v24, v14
	v_min_u32_e32 v24, 32, v24
	v_lshrrev_b32_e32 v22, 27, v10
	v_subrev_u32_e32 v25, 28, v24
	v_and_b32_e32 v21, 0x80000000, v10
	v_and_b32_e32 v22, 15, v22
	v_bfe_u32 v23, v10, 27, 4
	v_lshlrev_b32_sdwa v10, v25, v10 dst_sel:DWORD dst_unused:UNUSED_PAD src0_sel:DWORD src1_sel:BYTE_3
	v_sub_u32_e32 v24, 29, v24
	v_and_b32_e32 v10, 7, v10
	v_cmp_eq_u16_e32 vcc, 0, v22
	v_cndmask_b32_e32 v10, v14, v10, vcc
	v_cndmask_b32_e32 v14, v23, v24, vcc
	v_mov_b32_e32 v22, 0x3b800000
	v_lshlrev_b32_e32 v10, 20, v10
	v_lshl_add_u32 v14, v14, 23, v22
	v_or3_b32 v14, v21, v14, v10
.LBB53_800:
	s_or_b64 exec, exec, s[6:7]
	s_nop 0
	v_mfma_f32_16x16x4f32 a[0:3], v20, v14, a[0:3]
	s_movk_i32 s4, 0x7f
	v_cmp_gt_i16_sdwa s[6:7], v15, s4 src0_sel:BYTE_0 src1_sel:DWORD
	s_mov_b64 s[4:5], 0
                                        ; implicit-def: $sgpr10
	s_and_saveexec_b64 s[8:9], s[6:7]
	s_xor_b64 s[6:7], exec, s[8:9]
	s_cbranch_execnz .LBB53_2849
; %bb.801:
	s_or_saveexec_b64 s[6:7], s[6:7]
	v_mov_b32_e32 v10, s10
	s_xor_b64 exec, exec, s[6:7]
	s_cbranch_execnz .LBB53_2852
.LBB53_802:
	s_or_b64 exec, exec, s[6:7]
	s_and_saveexec_b64 s[6:7], s[4:5]
	s_cbranch_execz .LBB53_804
.LBB53_803:
	v_and_b32_e32 v10, 7, v15
	v_ffbh_u32_e32 v20, v10
	v_min_u32_e32 v20, 32, v20
	v_lshrrev_b16_e32 v14, 3, v15
	v_subrev_u32_e32 v21, 28, v20
	v_and_b32_e32 v14, 15, v14
	v_lshlrev_b32_e32 v21, v21, v15
	v_sub_u32_e32 v20, 29, v20
	v_and_b32_e32 v21, 7, v21
	v_cmp_eq_u16_e32 vcc, 0, v14
	v_cndmask_b32_e32 v10, v10, v21, vcc
	v_cndmask_b32_e32 v14, v14, v20, vcc
	v_lshlrev_b32_e32 v20, 24, v15
	v_mov_b32_e32 v21, 0x3b800000
	v_lshlrev_b32_e32 v10, 20, v10
	v_and_b32_e32 v20, 0x80000000, v20
	v_lshl_add_u32 v14, v14, 23, v21
	v_or3_b32 v10, v20, v14, v10
.LBB53_804:
	s_or_b64 exec, exec, s[6:7]
	s_movk_i32 s4, 0x7f
	v_cmp_gt_i16_sdwa s[6:7], v11, s4 src0_sel:BYTE_0 src1_sel:DWORD
	s_mov_b64 s[4:5], 0
                                        ; implicit-def: $sgpr10
	s_and_saveexec_b64 s[8:9], s[6:7]
	s_xor_b64 s[6:7], exec, s[8:9]
	s_cbranch_execnz .LBB53_2853
; %bb.805:
	s_or_saveexec_b64 s[6:7], s[6:7]
	v_mov_b32_e32 v14, s10
	s_xor_b64 exec, exec, s[6:7]
	s_cbranch_execnz .LBB53_2856
.LBB53_806:
	s_or_b64 exec, exec, s[6:7]
	s_and_saveexec_b64 s[6:7], s[4:5]
	s_cbranch_execz .LBB53_808
.LBB53_807:
	v_and_b32_e32 v14, 7, v11
	v_ffbh_u32_e32 v21, v14
	v_min_u32_e32 v21, 32, v21
	v_lshrrev_b16_e32 v20, 3, v11
	v_subrev_u32_e32 v22, 28, v21
	v_and_b32_e32 v20, 15, v20
	v_lshlrev_b32_e32 v22, v22, v11
	v_sub_u32_e32 v21, 29, v21
	v_and_b32_e32 v22, 7, v22
	v_cmp_eq_u16_e32 vcc, 0, v20
	v_cndmask_b32_e32 v14, v14, v22, vcc
	v_cndmask_b32_e32 v20, v20, v21, vcc
	v_lshlrev_b32_e32 v21, 24, v11
	v_mov_b32_e32 v22, 0x3b800000
	v_lshlrev_b32_e32 v14, 20, v14
	v_and_b32_e32 v21, 0x80000000, v21
	v_lshl_add_u32 v20, v20, 23, v22
	v_or3_b32 v14, v21, v20, v14
.LBB53_808:
	s_or_b64 exec, exec, s[6:7]
	s_nop 0
	v_mfma_f32_16x16x4f32 a[0:3], v10, v14, a[0:3]
	v_lshrrev_b32_e32 v14, 8, v15
	s_movk_i32 s4, 0x7f
	v_cmp_gt_i16_sdwa s[6:7], v14, s4 src0_sel:BYTE_0 src1_sel:DWORD
	s_mov_b64 s[4:5], 0
                                        ; implicit-def: $sgpr10
	s_and_saveexec_b64 s[8:9], s[6:7]
	s_xor_b64 s[6:7], exec, s[8:9]
	s_cbranch_execnz .LBB53_2857
; %bb.809:
	s_or_saveexec_b64 s[6:7], s[6:7]
	v_mov_b32_e32 v10, s10
	s_xor_b64 exec, exec, s[6:7]
	s_cbranch_execnz .LBB53_2860
.LBB53_810:
	s_or_b64 exec, exec, s[6:7]
	s_and_saveexec_b64 s[6:7], s[4:5]
	s_cbranch_execz .LBB53_812
.LBB53_811:
	v_bfe_u32 v10, v15, 8, 3
	v_ffbh_u32_e32 v21, v10
	v_min_u32_e32 v21, 32, v21
	v_lshrrev_b16_e32 v20, 3, v14
	v_subrev_u32_e32 v22, 28, v21
	v_and_b32_e32 v20, 15, v20
	v_lshlrev_b32_e32 v14, v22, v14
	v_sub_u32_e32 v21, 29, v21
	v_and_b32_e32 v14, 7, v14
	v_cmp_eq_u16_e32 vcc, 0, v20
	v_cndmask_b32_e32 v10, v10, v14, vcc
	v_cndmask_b32_e32 v14, v20, v21, vcc
	v_lshlrev_b32_e32 v20, 16, v15
	v_mov_b32_e32 v21, 0x3b800000
	v_lshlrev_b32_e32 v10, 20, v10
	v_and_b32_e32 v20, 0x80000000, v20
	v_lshl_add_u32 v14, v14, 23, v21
	v_or3_b32 v10, v20, v14, v10
.LBB53_812:
	s_or_b64 exec, exec, s[6:7]
	v_lshrrev_b32_e32 v14, 8, v11
	s_movk_i32 s4, 0x7f
	v_cmp_gt_i16_sdwa s[6:7], v14, s4 src0_sel:BYTE_0 src1_sel:DWORD
	s_mov_b64 s[4:5], 0
                                        ; implicit-def: $sgpr10
	s_and_saveexec_b64 s[8:9], s[6:7]
	s_xor_b64 s[6:7], exec, s[8:9]
	s_cbranch_execnz .LBB53_2861
; %bb.813:
	s_or_saveexec_b64 s[6:7], s[6:7]
	v_mov_b32_e32 v20, s10
	s_xor_b64 exec, exec, s[6:7]
	s_cbranch_execnz .LBB53_2864
.LBB53_814:
	s_or_b64 exec, exec, s[6:7]
	s_and_saveexec_b64 s[6:7], s[4:5]
	s_cbranch_execz .LBB53_816
.LBB53_815:
	v_bfe_u32 v20, v11, 8, 3
	v_ffbh_u32_e32 v22, v20
	v_min_u32_e32 v22, 32, v22
	v_lshrrev_b16_e32 v21, 3, v14
	v_subrev_u32_e32 v23, 28, v22
	v_and_b32_e32 v21, 15, v21
	v_lshlrev_b32_e32 v14, v23, v14
	v_sub_u32_e32 v22, 29, v22
	v_and_b32_e32 v14, 7, v14
	v_cmp_eq_u16_e32 vcc, 0, v21
	v_cndmask_b32_e32 v14, v20, v14, vcc
	v_cndmask_b32_e32 v20, v21, v22, vcc
	v_lshlrev_b32_e32 v21, 16, v11
	v_mov_b32_e32 v22, 0x3b800000
	v_lshlrev_b32_e32 v14, 20, v14
	v_and_b32_e32 v21, 0x80000000, v21
	v_lshl_add_u32 v20, v20, 23, v22
	v_or3_b32 v20, v21, v20, v14
.LBB53_816:
	s_or_b64 exec, exec, s[6:7]
	s_nop 0
	v_mfma_f32_16x16x4f32 a[0:3], v10, v20, a[0:3]
	s_movk_i32 s4, 0xff
	v_and_b32_sdwa v14, v15, s4 dst_sel:DWORD dst_unused:UNUSED_PAD src0_sel:WORD_1 src1_sel:DWORD
	s_movk_i32 s4, 0x7f
	v_cmp_lt_i16_e32 vcc, s4, v14
	s_mov_b64 s[4:5], 0
                                        ; implicit-def: $sgpr10
	s_and_saveexec_b64 s[6:7], vcc
	s_xor_b64 s[6:7], exec, s[6:7]
	s_cbranch_execnz .LBB53_2865
; %bb.817:
	s_or_saveexec_b64 s[6:7], s[6:7]
	v_mov_b32_e32 v10, s10
	s_xor_b64 exec, exec, s[6:7]
	s_cbranch_execnz .LBB53_2868
.LBB53_818:
	s_or_b64 exec, exec, s[6:7]
	s_and_saveexec_b64 s[6:7], s[4:5]
	s_cbranch_execz .LBB53_820
.LBB53_819:
	v_bfe_u32 v10, v15, 16, 3
	v_ffbh_u32_e32 v21, v10
	v_min_u32_e32 v21, 32, v21
	v_lshrrev_b32_e32 v14, 19, v15
	v_subrev_u32_e32 v22, 28, v21
	v_and_b32_e32 v14, 15, v14
	v_lshlrev_b32_sdwa v22, v22, v15 dst_sel:DWORD dst_unused:UNUSED_PAD src0_sel:DWORD src1_sel:WORD_1
	v_bfe_u32 v20, v15, 19, 4
	v_sub_u32_e32 v21, 29, v21
	v_and_b32_e32 v22, 7, v22
	v_cmp_eq_u16_e32 vcc, 0, v14
	v_cndmask_b32_e32 v10, v10, v22, vcc
	v_cndmask_b32_e32 v14, v20, v21, vcc
	v_lshlrev_b32_e32 v20, 8, v15
	v_mov_b32_e32 v21, 0x3b800000
	v_lshlrev_b32_e32 v10, 20, v10
	v_and_b32_e32 v20, 0x80000000, v20
	v_lshl_add_u32 v14, v14, 23, v21
	v_or3_b32 v10, v20, v14, v10
.LBB53_820:
	s_or_b64 exec, exec, s[6:7]
	s_movk_i32 s4, 0xff
	v_and_b32_sdwa v14, v11, s4 dst_sel:DWORD dst_unused:UNUSED_PAD src0_sel:WORD_1 src1_sel:DWORD
	s_movk_i32 s4, 0x7f
	v_cmp_lt_i16_e32 vcc, s4, v14
	s_mov_b64 s[4:5], 0
                                        ; implicit-def: $sgpr10
	s_and_saveexec_b64 s[6:7], vcc
	s_xor_b64 s[6:7], exec, s[6:7]
	s_cbranch_execnz .LBB53_2869
; %bb.821:
	s_or_saveexec_b64 s[6:7], s[6:7]
	v_mov_b32_e32 v20, s10
	s_xor_b64 exec, exec, s[6:7]
	s_cbranch_execnz .LBB53_2872
.LBB53_822:
	s_or_b64 exec, exec, s[6:7]
	s_and_saveexec_b64 s[6:7], s[4:5]
	s_cbranch_execz .LBB53_824
.LBB53_823:
	v_bfe_u32 v14, v11, 16, 3
	v_ffbh_u32_e32 v22, v14
	v_min_u32_e32 v22, 32, v22
	v_lshrrev_b32_e32 v20, 19, v11
	v_subrev_u32_e32 v23, 28, v22
	v_and_b32_e32 v20, 15, v20
	v_lshlrev_b32_sdwa v23, v23, v11 dst_sel:DWORD dst_unused:UNUSED_PAD src0_sel:DWORD src1_sel:WORD_1
	v_bfe_u32 v21, v11, 19, 4
	v_sub_u32_e32 v22, 29, v22
	v_and_b32_e32 v23, 7, v23
	v_cmp_eq_u16_e32 vcc, 0, v20
	v_cndmask_b32_e32 v14, v14, v23, vcc
	v_cndmask_b32_e32 v20, v21, v22, vcc
	v_lshlrev_b32_e32 v21, 8, v11
	v_mov_b32_e32 v22, 0x3b800000
	v_lshlrev_b32_e32 v14, 20, v14
	v_and_b32_e32 v21, 0x80000000, v21
	v_lshl_add_u32 v20, v20, 23, v22
	v_or3_b32 v20, v21, v20, v14
.LBB53_824:
	s_or_b64 exec, exec, s[6:7]
	s_nop 0
	v_mfma_f32_16x16x4f32 a[0:3], v10, v20, a[0:3]
	s_movk_i32 s4, 0x7f
	v_cmp_gt_i16_sdwa s[6:7], v15, s4 src0_sel:BYTE_3 src1_sel:DWORD
	s_mov_b64 s[4:5], 0
                                        ; implicit-def: $sgpr10
	s_and_saveexec_b64 s[8:9], s[6:7]
	s_xor_b64 s[6:7], exec, s[8:9]
	s_cbranch_execnz .LBB53_2873
; %bb.825:
	s_or_saveexec_b64 s[6:7], s[6:7]
	v_mov_b32_e32 v10, s10
	s_xor_b64 exec, exec, s[6:7]
	s_cbranch_execnz .LBB53_2876
.LBB53_826:
	s_or_b64 exec, exec, s[6:7]
	s_and_saveexec_b64 s[6:7], s[4:5]
	s_cbranch_execz .LBB53_828
.LBB53_827:
	v_bfe_u32 v10, v15, 24, 3
	v_ffbh_u32_e32 v22, v10
	v_min_u32_e32 v22, 32, v22
	v_lshrrev_b32_e32 v20, 27, v15
	v_subrev_u32_e32 v23, 28, v22
	v_and_b32_e32 v14, 0x80000000, v15
	v_and_b32_e32 v20, 15, v20
	v_bfe_u32 v21, v15, 27, 4
	v_lshlrev_b32_sdwa v15, v23, v15 dst_sel:DWORD dst_unused:UNUSED_PAD src0_sel:DWORD src1_sel:BYTE_3
	v_sub_u32_e32 v22, 29, v22
	v_and_b32_e32 v15, 7, v15
	v_cmp_eq_u16_e32 vcc, 0, v20
	v_cndmask_b32_e32 v10, v10, v15, vcc
	v_cndmask_b32_e32 v15, v21, v22, vcc
	v_mov_b32_e32 v20, 0x3b800000
	v_lshlrev_b32_e32 v10, 20, v10
	v_lshl_add_u32 v15, v15, 23, v20
	v_or3_b32 v10, v14, v15, v10
.LBB53_828:
	s_or_b64 exec, exec, s[6:7]
	s_movk_i32 s4, 0x7f
	v_cmp_gt_i16_sdwa s[6:7], v11, s4 src0_sel:BYTE_3 src1_sel:DWORD
	s_mov_b64 s[4:5], 0
                                        ; implicit-def: $sgpr10
	s_and_saveexec_b64 s[8:9], s[6:7]
	s_xor_b64 s[6:7], exec, s[8:9]
	s_cbranch_execnz .LBB53_2877
; %bb.829:
	s_or_saveexec_b64 s[6:7], s[6:7]
	v_mov_b32_e32 v14, s10
	s_xor_b64 exec, exec, s[6:7]
	s_cbranch_execnz .LBB53_2880
.LBB53_830:
	s_or_b64 exec, exec, s[6:7]
	s_and_saveexec_b64 s[6:7], s[4:5]
	s_cbranch_execz .LBB53_832
.LBB53_831:
	v_bfe_u32 v14, v11, 24, 3
	v_ffbh_u32_e32 v22, v14
	v_min_u32_e32 v22, 32, v22
	v_lshrrev_b32_e32 v20, 27, v11
	v_subrev_u32_e32 v23, 28, v22
	v_and_b32_e32 v15, 0x80000000, v11
	v_and_b32_e32 v20, 15, v20
	v_bfe_u32 v21, v11, 27, 4
	v_lshlrev_b32_sdwa v11, v23, v11 dst_sel:DWORD dst_unused:UNUSED_PAD src0_sel:DWORD src1_sel:BYTE_3
	v_sub_u32_e32 v22, 29, v22
	v_and_b32_e32 v11, 7, v11
	v_cmp_eq_u16_e32 vcc, 0, v20
	v_cndmask_b32_e32 v11, v14, v11, vcc
	v_cndmask_b32_e32 v14, v21, v22, vcc
	v_mov_b32_e32 v20, 0x3b800000
	v_lshlrev_b32_e32 v11, 20, v11
	v_lshl_add_u32 v14, v14, 23, v20
	v_or3_b32 v14, v15, v14, v11
.LBB53_832:
	s_or_b64 exec, exec, s[6:7]
	s_nop 0
	v_mfma_f32_16x16x4f32 a[0:3], v10, v14, a[0:3]
	s_movk_i32 s4, 0x7f
	v_cmp_gt_i16_sdwa s[6:7], v16, s4 src0_sel:BYTE_0 src1_sel:DWORD
	s_mov_b64 s[4:5], 0
                                        ; implicit-def: $sgpr10
	s_and_saveexec_b64 s[8:9], s[6:7]
	s_xor_b64 s[6:7], exec, s[8:9]
	s_cbranch_execnz .LBB53_2881
; %bb.833:
	s_or_saveexec_b64 s[6:7], s[6:7]
	v_mov_b32_e32 v10, s10
	s_xor_b64 exec, exec, s[6:7]
	s_cbranch_execnz .LBB53_2884
.LBB53_834:
	s_or_b64 exec, exec, s[6:7]
	s_and_saveexec_b64 s[6:7], s[4:5]
	s_cbranch_execz .LBB53_836
.LBB53_835:
	v_and_b32_e32 v10, 7, v16
	v_ffbh_u32_e32 v14, v10
	v_min_u32_e32 v14, 32, v14
	v_lshrrev_b16_e32 v11, 3, v16
	v_subrev_u32_e32 v15, 28, v14
	v_and_b32_e32 v11, 15, v11
	v_lshlrev_b32_e32 v15, v15, v16
	v_sub_u32_e32 v14, 29, v14
	v_and_b32_e32 v15, 7, v15
	v_cmp_eq_u16_e32 vcc, 0, v11
	v_cndmask_b32_e32 v10, v10, v15, vcc
	v_cndmask_b32_e32 v11, v11, v14, vcc
	v_lshlrev_b32_e32 v14, 24, v16
	v_mov_b32_e32 v15, 0x3b800000
	v_lshlrev_b32_e32 v10, 20, v10
	v_and_b32_e32 v14, 0x80000000, v14
	v_lshl_add_u32 v11, v11, 23, v15
	v_or3_b32 v10, v14, v11, v10
.LBB53_836:
	s_or_b64 exec, exec, s[6:7]
	s_movk_i32 s4, 0x7f
	v_cmp_gt_i16_sdwa s[6:7], v12, s4 src0_sel:BYTE_0 src1_sel:DWORD
	s_mov_b64 s[4:5], 0
                                        ; implicit-def: $sgpr10
	s_and_saveexec_b64 s[8:9], s[6:7]
	s_xor_b64 s[6:7], exec, s[8:9]
	s_cbranch_execnz .LBB53_2885
; %bb.837:
	s_or_saveexec_b64 s[6:7], s[6:7]
	v_mov_b32_e32 v11, s10
	s_xor_b64 exec, exec, s[6:7]
	s_cbranch_execnz .LBB53_2888
.LBB53_838:
	s_or_b64 exec, exec, s[6:7]
	s_and_saveexec_b64 s[6:7], s[4:5]
	s_cbranch_execz .LBB53_840
.LBB53_839:
	v_and_b32_e32 v11, 7, v12
	v_ffbh_u32_e32 v15, v11
	v_min_u32_e32 v15, 32, v15
	v_lshrrev_b16_e32 v14, 3, v12
	v_subrev_u32_e32 v20, 28, v15
	v_and_b32_e32 v14, 15, v14
	v_lshlrev_b32_e32 v20, v20, v12
	v_sub_u32_e32 v15, 29, v15
	v_and_b32_e32 v20, 7, v20
	v_cmp_eq_u16_e32 vcc, 0, v14
	v_cndmask_b32_e32 v11, v11, v20, vcc
	v_cndmask_b32_e32 v14, v14, v15, vcc
	v_lshlrev_b32_e32 v15, 24, v12
	v_mov_b32_e32 v20, 0x3b800000
	v_lshlrev_b32_e32 v11, 20, v11
	v_and_b32_e32 v15, 0x80000000, v15
	v_lshl_add_u32 v14, v14, 23, v20
	v_or3_b32 v11, v15, v14, v11
.LBB53_840:
	s_or_b64 exec, exec, s[6:7]
	s_nop 0
	v_mfma_f32_16x16x4f32 a[0:3], v10, v11, a[0:3]
	v_lshrrev_b32_e32 v11, 8, v16
	s_movk_i32 s4, 0x7f
	v_cmp_gt_i16_sdwa s[6:7], v11, s4 src0_sel:BYTE_0 src1_sel:DWORD
	s_mov_b64 s[4:5], 0
                                        ; implicit-def: $sgpr10
	s_and_saveexec_b64 s[8:9], s[6:7]
	s_xor_b64 s[6:7], exec, s[8:9]
	s_cbranch_execnz .LBB53_2889
; %bb.841:
	s_or_saveexec_b64 s[6:7], s[6:7]
	v_mov_b32_e32 v10, s10
	s_xor_b64 exec, exec, s[6:7]
	s_cbranch_execnz .LBB53_2892
.LBB53_842:
	s_or_b64 exec, exec, s[6:7]
	s_and_saveexec_b64 s[6:7], s[4:5]
	s_cbranch_execz .LBB53_844
.LBB53_843:
	v_bfe_u32 v10, v16, 8, 3
	v_ffbh_u32_e32 v15, v10
	v_min_u32_e32 v15, 32, v15
	v_lshrrev_b16_e32 v14, 3, v11
	v_subrev_u32_e32 v20, 28, v15
	v_and_b32_e32 v14, 15, v14
	v_lshlrev_b32_e32 v11, v20, v11
	v_sub_u32_e32 v15, 29, v15
	v_and_b32_e32 v11, 7, v11
	v_cmp_eq_u16_e32 vcc, 0, v14
	v_cndmask_b32_e32 v10, v10, v11, vcc
	v_cndmask_b32_e32 v11, v14, v15, vcc
	v_lshlrev_b32_e32 v14, 16, v16
	v_mov_b32_e32 v15, 0x3b800000
	v_lshlrev_b32_e32 v10, 20, v10
	v_and_b32_e32 v14, 0x80000000, v14
	v_lshl_add_u32 v11, v11, 23, v15
	v_or3_b32 v10, v14, v11, v10
.LBB53_844:
	s_or_b64 exec, exec, s[6:7]
	v_lshrrev_b32_e32 v11, 8, v12
	s_movk_i32 s4, 0x7f
	v_cmp_gt_i16_sdwa s[6:7], v11, s4 src0_sel:BYTE_0 src1_sel:DWORD
	s_mov_b64 s[4:5], 0
                                        ; implicit-def: $sgpr10
	s_and_saveexec_b64 s[8:9], s[6:7]
	s_xor_b64 s[6:7], exec, s[8:9]
	s_cbranch_execnz .LBB53_2893
; %bb.845:
	s_or_saveexec_b64 s[6:7], s[6:7]
	v_mov_b32_e32 v14, s10
	s_xor_b64 exec, exec, s[6:7]
	s_cbranch_execnz .LBB53_2896
.LBB53_846:
	s_or_b64 exec, exec, s[6:7]
	s_and_saveexec_b64 s[6:7], s[4:5]
	s_cbranch_execz .LBB53_848
.LBB53_847:
	v_bfe_u32 v14, v12, 8, 3
	v_ffbh_u32_e32 v20, v14
	v_min_u32_e32 v20, 32, v20
	v_lshrrev_b16_e32 v15, 3, v11
	v_subrev_u32_e32 v21, 28, v20
	v_and_b32_e32 v15, 15, v15
	v_lshlrev_b32_e32 v11, v21, v11
	v_sub_u32_e32 v20, 29, v20
	v_and_b32_e32 v11, 7, v11
	v_cmp_eq_u16_e32 vcc, 0, v15
	v_cndmask_b32_e32 v11, v14, v11, vcc
	v_cndmask_b32_e32 v14, v15, v20, vcc
	v_lshlrev_b32_e32 v15, 16, v12
	v_mov_b32_e32 v20, 0x3b800000
	v_lshlrev_b32_e32 v11, 20, v11
	v_and_b32_e32 v15, 0x80000000, v15
	v_lshl_add_u32 v14, v14, 23, v20
	v_or3_b32 v14, v15, v14, v11
.LBB53_848:
	s_or_b64 exec, exec, s[6:7]
	s_nop 0
	v_mfma_f32_16x16x4f32 a[0:3], v10, v14, a[0:3]
	s_movk_i32 s4, 0xff
	v_and_b32_sdwa v11, v16, s4 dst_sel:DWORD dst_unused:UNUSED_PAD src0_sel:WORD_1 src1_sel:DWORD
	s_movk_i32 s4, 0x7f
	v_cmp_lt_i16_e32 vcc, s4, v11
	s_mov_b64 s[4:5], 0
                                        ; implicit-def: $sgpr10
	s_and_saveexec_b64 s[6:7], vcc
	s_xor_b64 s[6:7], exec, s[6:7]
	s_cbranch_execnz .LBB53_2897
; %bb.849:
	s_or_saveexec_b64 s[6:7], s[6:7]
	v_mov_b32_e32 v10, s10
	s_xor_b64 exec, exec, s[6:7]
	s_cbranch_execnz .LBB53_2900
.LBB53_850:
	s_or_b64 exec, exec, s[6:7]
	s_and_saveexec_b64 s[6:7], s[4:5]
	s_cbranch_execz .LBB53_852
.LBB53_851:
	v_bfe_u32 v10, v16, 16, 3
	v_ffbh_u32_e32 v15, v10
	v_min_u32_e32 v15, 32, v15
	v_lshrrev_b32_e32 v11, 19, v16
	v_subrev_u32_e32 v20, 28, v15
	v_and_b32_e32 v11, 15, v11
	v_lshlrev_b32_sdwa v20, v20, v16 dst_sel:DWORD dst_unused:UNUSED_PAD src0_sel:DWORD src1_sel:WORD_1
	v_bfe_u32 v14, v16, 19, 4
	v_sub_u32_e32 v15, 29, v15
	v_and_b32_e32 v20, 7, v20
	v_cmp_eq_u16_e32 vcc, 0, v11
	v_cndmask_b32_e32 v10, v10, v20, vcc
	v_cndmask_b32_e32 v11, v14, v15, vcc
	v_lshlrev_b32_e32 v14, 8, v16
	v_mov_b32_e32 v15, 0x3b800000
	v_lshlrev_b32_e32 v10, 20, v10
	v_and_b32_e32 v14, 0x80000000, v14
	v_lshl_add_u32 v11, v11, 23, v15
	v_or3_b32 v10, v14, v11, v10
.LBB53_852:
	s_or_b64 exec, exec, s[6:7]
	s_movk_i32 s4, 0xff
	v_and_b32_sdwa v11, v12, s4 dst_sel:DWORD dst_unused:UNUSED_PAD src0_sel:WORD_1 src1_sel:DWORD
	s_movk_i32 s4, 0x7f
	v_cmp_lt_i16_e32 vcc, s4, v11
	s_mov_b64 s[4:5], 0
                                        ; implicit-def: $sgpr10
	s_and_saveexec_b64 s[6:7], vcc
	s_xor_b64 s[6:7], exec, s[6:7]
	s_cbranch_execnz .LBB53_2901
; %bb.853:
	s_or_saveexec_b64 s[6:7], s[6:7]
	v_mov_b32_e32 v14, s10
	s_xor_b64 exec, exec, s[6:7]
	s_cbranch_execnz .LBB53_2904
.LBB53_854:
	s_or_b64 exec, exec, s[6:7]
	s_and_saveexec_b64 s[6:7], s[4:5]
	s_cbranch_execz .LBB53_856
.LBB53_855:
	v_bfe_u32 v11, v12, 16, 3
	v_ffbh_u32_e32 v20, v11
	v_min_u32_e32 v20, 32, v20
	v_lshrrev_b32_e32 v14, 19, v12
	v_subrev_u32_e32 v21, 28, v20
	v_and_b32_e32 v14, 15, v14
	v_lshlrev_b32_sdwa v21, v21, v12 dst_sel:DWORD dst_unused:UNUSED_PAD src0_sel:DWORD src1_sel:WORD_1
	v_bfe_u32 v15, v12, 19, 4
	v_sub_u32_e32 v20, 29, v20
	v_and_b32_e32 v21, 7, v21
	v_cmp_eq_u16_e32 vcc, 0, v14
	v_cndmask_b32_e32 v11, v11, v21, vcc
	v_cndmask_b32_e32 v14, v15, v20, vcc
	v_lshlrev_b32_e32 v15, 8, v12
	v_mov_b32_e32 v20, 0x3b800000
	v_lshlrev_b32_e32 v11, 20, v11
	v_and_b32_e32 v15, 0x80000000, v15
	v_lshl_add_u32 v14, v14, 23, v20
	v_or3_b32 v14, v15, v14, v11
.LBB53_856:
	s_or_b64 exec, exec, s[6:7]
	s_nop 0
	v_mfma_f32_16x16x4f32 a[0:3], v10, v14, a[0:3]
	s_movk_i32 s4, 0x7f
	v_cmp_gt_i16_sdwa s[6:7], v16, s4 src0_sel:BYTE_3 src1_sel:DWORD
	s_mov_b64 s[4:5], 0
                                        ; implicit-def: $sgpr10
	s_and_saveexec_b64 s[8:9], s[6:7]
	s_xor_b64 s[6:7], exec, s[8:9]
	s_cbranch_execnz .LBB53_2905
; %bb.857:
	s_or_saveexec_b64 s[6:7], s[6:7]
	v_mov_b32_e32 v10, s10
	s_xor_b64 exec, exec, s[6:7]
	s_cbranch_execnz .LBB53_2908
.LBB53_858:
	s_or_b64 exec, exec, s[6:7]
	s_and_saveexec_b64 s[6:7], s[4:5]
	s_cbranch_execz .LBB53_860
.LBB53_859:
	v_bfe_u32 v10, v16, 24, 3
	v_ffbh_u32_e32 v20, v10
	v_min_u32_e32 v20, 32, v20
	v_lshrrev_b32_e32 v14, 27, v16
	v_subrev_u32_e32 v21, 28, v20
	v_and_b32_e32 v11, 0x80000000, v16
	v_and_b32_e32 v14, 15, v14
	v_bfe_u32 v15, v16, 27, 4
	v_lshlrev_b32_sdwa v16, v21, v16 dst_sel:DWORD dst_unused:UNUSED_PAD src0_sel:DWORD src1_sel:BYTE_3
	v_sub_u32_e32 v20, 29, v20
	v_and_b32_e32 v16, 7, v16
	v_cmp_eq_u16_e32 vcc, 0, v14
	v_cndmask_b32_e32 v10, v10, v16, vcc
	v_cndmask_b32_e32 v14, v15, v20, vcc
	v_mov_b32_e32 v15, 0x3b800000
	v_lshlrev_b32_e32 v10, 20, v10
	v_lshl_add_u32 v14, v14, 23, v15
	v_or3_b32 v10, v11, v14, v10
.LBB53_860:
	s_or_b64 exec, exec, s[6:7]
	s_movk_i32 s4, 0x7f
	v_cmp_gt_i16_sdwa s[6:7], v12, s4 src0_sel:BYTE_3 src1_sel:DWORD
	s_mov_b64 s[4:5], 0
                                        ; implicit-def: $sgpr10
	s_and_saveexec_b64 s[8:9], s[6:7]
	s_xor_b64 s[6:7], exec, s[8:9]
	s_cbranch_execnz .LBB53_2909
; %bb.861:
	s_or_saveexec_b64 s[6:7], s[6:7]
	v_mov_b32_e32 v11, s10
	s_xor_b64 exec, exec, s[6:7]
	s_cbranch_execnz .LBB53_2912
.LBB53_862:
	s_or_b64 exec, exec, s[6:7]
	s_and_saveexec_b64 s[6:7], s[4:5]
	s_cbranch_execz .LBB53_864
.LBB53_863:
	v_bfe_u32 v11, v12, 24, 3
	v_ffbh_u32_e32 v20, v11
	v_min_u32_e32 v20, 32, v20
	v_lshrrev_b32_e32 v15, 27, v12
	v_subrev_u32_e32 v21, 28, v20
	v_and_b32_e32 v14, 0x80000000, v12
	v_and_b32_e32 v15, 15, v15
	v_bfe_u32 v16, v12, 27, 4
	v_lshlrev_b32_sdwa v12, v21, v12 dst_sel:DWORD dst_unused:UNUSED_PAD src0_sel:DWORD src1_sel:BYTE_3
	v_sub_u32_e32 v20, 29, v20
	v_and_b32_e32 v12, 7, v12
	v_cmp_eq_u16_e32 vcc, 0, v15
	v_cndmask_b32_e32 v11, v11, v12, vcc
	v_cndmask_b32_e32 v12, v16, v20, vcc
	v_mov_b32_e32 v15, 0x3b800000
	v_lshlrev_b32_e32 v11, 20, v11
	v_lshl_add_u32 v12, v12, 23, v15
	v_or3_b32 v11, v14, v12, v11
.LBB53_864:
	s_or_b64 exec, exec, s[6:7]
	s_nop 0
	v_mfma_f32_16x16x4f32 a[0:3], v10, v11, a[0:3]
	s_movk_i32 s4, 0x7f
	v_cmp_gt_i16_sdwa s[6:7], v17, s4 src0_sel:BYTE_0 src1_sel:DWORD
	s_mov_b64 s[4:5], 0
                                        ; implicit-def: $sgpr10
	s_and_saveexec_b64 s[8:9], s[6:7]
	s_xor_b64 s[6:7], exec, s[8:9]
	s_cbranch_execnz .LBB53_2913
; %bb.865:
	s_or_saveexec_b64 s[6:7], s[6:7]
	v_mov_b32_e32 v10, s10
	s_xor_b64 exec, exec, s[6:7]
	s_cbranch_execnz .LBB53_2916
.LBB53_866:
	s_or_b64 exec, exec, s[6:7]
	s_and_saveexec_b64 s[6:7], s[4:5]
	s_cbranch_execz .LBB53_868
.LBB53_867:
	v_and_b32_e32 v10, 7, v17
	v_ffbh_u32_e32 v12, v10
	v_min_u32_e32 v12, 32, v12
	v_lshrrev_b16_e32 v11, 3, v17
	v_subrev_u32_e32 v14, 28, v12
	v_and_b32_e32 v11, 15, v11
	v_lshlrev_b32_e32 v14, v14, v17
	v_sub_u32_e32 v12, 29, v12
	v_and_b32_e32 v14, 7, v14
	v_cmp_eq_u16_e32 vcc, 0, v11
	v_cndmask_b32_e32 v10, v10, v14, vcc
	v_cndmask_b32_e32 v11, v11, v12, vcc
	v_lshlrev_b32_e32 v12, 24, v17
	v_mov_b32_e32 v14, 0x3b800000
	v_lshlrev_b32_e32 v10, 20, v10
	v_and_b32_e32 v12, 0x80000000, v12
	v_lshl_add_u32 v11, v11, 23, v14
	v_or3_b32 v10, v12, v11, v10
.LBB53_868:
	s_or_b64 exec, exec, s[6:7]
	s_movk_i32 s4, 0x7f
	v_cmp_gt_i16_sdwa s[6:7], v13, s4 src0_sel:BYTE_0 src1_sel:DWORD
	s_mov_b64 s[4:5], 0
                                        ; implicit-def: $sgpr10
	s_and_saveexec_b64 s[8:9], s[6:7]
	s_xor_b64 s[6:7], exec, s[8:9]
	s_cbranch_execnz .LBB53_2917
; %bb.869:
	s_or_saveexec_b64 s[6:7], s[6:7]
	v_mov_b32_e32 v11, s10
	s_xor_b64 exec, exec, s[6:7]
	s_cbranch_execnz .LBB53_2920
.LBB53_870:
	s_or_b64 exec, exec, s[6:7]
	s_and_saveexec_b64 s[6:7], s[4:5]
	s_cbranch_execz .LBB53_872
.LBB53_871:
	v_and_b32_e32 v11, 7, v13
	v_ffbh_u32_e32 v14, v11
	v_min_u32_e32 v14, 32, v14
	v_lshrrev_b16_e32 v12, 3, v13
	v_subrev_u32_e32 v15, 28, v14
	v_and_b32_e32 v12, 15, v12
	v_lshlrev_b32_e32 v15, v15, v13
	v_sub_u32_e32 v14, 29, v14
	v_and_b32_e32 v15, 7, v15
	v_cmp_eq_u16_e32 vcc, 0, v12
	v_cndmask_b32_e32 v11, v11, v15, vcc
	v_cndmask_b32_e32 v12, v12, v14, vcc
	v_lshlrev_b32_e32 v14, 24, v13
	v_mov_b32_e32 v15, 0x3b800000
	v_lshlrev_b32_e32 v11, 20, v11
	v_and_b32_e32 v14, 0x80000000, v14
	v_lshl_add_u32 v12, v12, 23, v15
	v_or3_b32 v11, v14, v12, v11
.LBB53_872:
	s_or_b64 exec, exec, s[6:7]
	s_nop 0
	v_mfma_f32_16x16x4f32 a[0:3], v10, v11, a[0:3]
	v_lshrrev_b32_e32 v11, 8, v17
	s_movk_i32 s4, 0x7f
	v_cmp_gt_i16_sdwa s[6:7], v11, s4 src0_sel:BYTE_0 src1_sel:DWORD
	s_mov_b64 s[4:5], 0
                                        ; implicit-def: $sgpr10
	s_and_saveexec_b64 s[8:9], s[6:7]
	s_xor_b64 s[6:7], exec, s[8:9]
	s_cbranch_execnz .LBB53_2921
; %bb.873:
	s_or_saveexec_b64 s[6:7], s[6:7]
	v_mov_b32_e32 v10, s10
	s_xor_b64 exec, exec, s[6:7]
	s_cbranch_execnz .LBB53_2924
.LBB53_874:
	s_or_b64 exec, exec, s[6:7]
	s_and_saveexec_b64 s[6:7], s[4:5]
	s_cbranch_execz .LBB53_876
.LBB53_875:
	v_bfe_u32 v10, v17, 8, 3
	v_ffbh_u32_e32 v14, v10
	v_min_u32_e32 v14, 32, v14
	v_lshrrev_b16_e32 v12, 3, v11
	v_subrev_u32_e32 v15, 28, v14
	v_and_b32_e32 v12, 15, v12
	v_lshlrev_b32_e32 v11, v15, v11
	v_sub_u32_e32 v14, 29, v14
	v_and_b32_e32 v11, 7, v11
	v_cmp_eq_u16_e32 vcc, 0, v12
	v_cndmask_b32_e32 v10, v10, v11, vcc
	v_cndmask_b32_e32 v11, v12, v14, vcc
	v_lshlrev_b32_e32 v12, 16, v17
	v_mov_b32_e32 v14, 0x3b800000
	v_lshlrev_b32_e32 v10, 20, v10
	v_and_b32_e32 v12, 0x80000000, v12
	v_lshl_add_u32 v11, v11, 23, v14
	v_or3_b32 v10, v12, v11, v10
.LBB53_876:
	s_or_b64 exec, exec, s[6:7]
	v_lshrrev_b32_e32 v11, 8, v13
	s_movk_i32 s4, 0x7f
	v_cmp_gt_i16_sdwa s[6:7], v11, s4 src0_sel:BYTE_0 src1_sel:DWORD
	s_mov_b64 s[4:5], 0
                                        ; implicit-def: $sgpr10
	s_and_saveexec_b64 s[8:9], s[6:7]
	s_xor_b64 s[6:7], exec, s[8:9]
	s_cbranch_execnz .LBB53_2925
; %bb.877:
	s_or_saveexec_b64 s[6:7], s[6:7]
	v_mov_b32_e32 v12, s10
	s_xor_b64 exec, exec, s[6:7]
	s_cbranch_execnz .LBB53_2928
.LBB53_878:
	s_or_b64 exec, exec, s[6:7]
	s_and_saveexec_b64 s[6:7], s[4:5]
	s_cbranch_execz .LBB53_880
.LBB53_879:
	v_bfe_u32 v12, v13, 8, 3
	v_ffbh_u32_e32 v15, v12
	v_min_u32_e32 v15, 32, v15
	v_lshrrev_b16_e32 v14, 3, v11
	v_subrev_u32_e32 v16, 28, v15
	v_and_b32_e32 v14, 15, v14
	v_lshlrev_b32_e32 v11, v16, v11
	v_sub_u32_e32 v15, 29, v15
	v_and_b32_e32 v11, 7, v11
	v_cmp_eq_u16_e32 vcc, 0, v14
	v_cndmask_b32_e32 v11, v12, v11, vcc
	v_cndmask_b32_e32 v12, v14, v15, vcc
	v_lshlrev_b32_e32 v14, 16, v13
	v_mov_b32_e32 v15, 0x3b800000
	v_lshlrev_b32_e32 v11, 20, v11
	v_and_b32_e32 v14, 0x80000000, v14
	v_lshl_add_u32 v12, v12, 23, v15
	v_or3_b32 v12, v14, v12, v11
.LBB53_880:
	s_or_b64 exec, exec, s[6:7]
	s_nop 0
	v_mfma_f32_16x16x4f32 a[0:3], v10, v12, a[0:3]
	s_movk_i32 s4, 0xff
	v_and_b32_sdwa v11, v17, s4 dst_sel:DWORD dst_unused:UNUSED_PAD src0_sel:WORD_1 src1_sel:DWORD
	s_movk_i32 s4, 0x7f
	v_cmp_lt_i16_e32 vcc, s4, v11
	s_mov_b64 s[4:5], 0
                                        ; implicit-def: $sgpr10
	s_and_saveexec_b64 s[6:7], vcc
	s_xor_b64 s[6:7], exec, s[6:7]
	s_cbranch_execnz .LBB53_2929
; %bb.881:
	s_or_saveexec_b64 s[6:7], s[6:7]
	v_mov_b32_e32 v10, s10
	s_xor_b64 exec, exec, s[6:7]
	s_cbranch_execnz .LBB53_2932
.LBB53_882:
	s_or_b64 exec, exec, s[6:7]
	s_and_saveexec_b64 s[6:7], s[4:5]
	s_cbranch_execz .LBB53_884
.LBB53_883:
	v_bfe_u32 v10, v17, 16, 3
	v_ffbh_u32_e32 v14, v10
	v_min_u32_e32 v14, 32, v14
	v_lshrrev_b32_e32 v11, 19, v17
	v_subrev_u32_e32 v15, 28, v14
	v_and_b32_e32 v11, 15, v11
	v_lshlrev_b32_sdwa v15, v15, v17 dst_sel:DWORD dst_unused:UNUSED_PAD src0_sel:DWORD src1_sel:WORD_1
	v_bfe_u32 v12, v17, 19, 4
	v_sub_u32_e32 v14, 29, v14
	v_and_b32_e32 v15, 7, v15
	v_cmp_eq_u16_e32 vcc, 0, v11
	v_cndmask_b32_e32 v10, v10, v15, vcc
	v_cndmask_b32_e32 v11, v12, v14, vcc
	v_lshlrev_b32_e32 v12, 8, v17
	v_mov_b32_e32 v14, 0x3b800000
	v_lshlrev_b32_e32 v10, 20, v10
	v_and_b32_e32 v12, 0x80000000, v12
	v_lshl_add_u32 v11, v11, 23, v14
	v_or3_b32 v10, v12, v11, v10
.LBB53_884:
	s_or_b64 exec, exec, s[6:7]
	s_movk_i32 s4, 0xff
	v_and_b32_sdwa v11, v13, s4 dst_sel:DWORD dst_unused:UNUSED_PAD src0_sel:WORD_1 src1_sel:DWORD
	s_movk_i32 s4, 0x7f
	v_cmp_lt_i16_e32 vcc, s4, v11
	s_mov_b64 s[4:5], 0
                                        ; implicit-def: $sgpr10
	s_and_saveexec_b64 s[6:7], vcc
	s_xor_b64 s[6:7], exec, s[6:7]
	s_cbranch_execnz .LBB53_2933
; %bb.885:
	s_or_saveexec_b64 s[6:7], s[6:7]
	v_mov_b32_e32 v12, s10
	s_xor_b64 exec, exec, s[6:7]
	s_cbranch_execnz .LBB53_2936
.LBB53_886:
	s_or_b64 exec, exec, s[6:7]
	s_and_saveexec_b64 s[6:7], s[4:5]
	s_cbranch_execz .LBB53_888
.LBB53_887:
	v_bfe_u32 v11, v13, 16, 3
	v_ffbh_u32_e32 v15, v11
	v_min_u32_e32 v15, 32, v15
	v_lshrrev_b32_e32 v12, 19, v13
	v_subrev_u32_e32 v16, 28, v15
	v_and_b32_e32 v12, 15, v12
	v_lshlrev_b32_sdwa v16, v16, v13 dst_sel:DWORD dst_unused:UNUSED_PAD src0_sel:DWORD src1_sel:WORD_1
	v_bfe_u32 v14, v13, 19, 4
	v_sub_u32_e32 v15, 29, v15
	v_and_b32_e32 v16, 7, v16
	v_cmp_eq_u16_e32 vcc, 0, v12
	v_cndmask_b32_e32 v11, v11, v16, vcc
	v_cndmask_b32_e32 v12, v14, v15, vcc
	v_lshlrev_b32_e32 v14, 8, v13
	v_mov_b32_e32 v15, 0x3b800000
	v_lshlrev_b32_e32 v11, 20, v11
	v_and_b32_e32 v14, 0x80000000, v14
	v_lshl_add_u32 v12, v12, 23, v15
	v_or3_b32 v12, v14, v12, v11
.LBB53_888:
	s_or_b64 exec, exec, s[6:7]
	s_nop 0
	v_mfma_f32_16x16x4f32 a[0:3], v10, v12, a[0:3]
	s_movk_i32 s4, 0x7f
	v_cmp_gt_i16_sdwa s[6:7], v17, s4 src0_sel:BYTE_3 src1_sel:DWORD
	s_mov_b64 s[4:5], 0
                                        ; implicit-def: $sgpr10
	s_and_saveexec_b64 s[8:9], s[6:7]
	s_xor_b64 s[6:7], exec, s[8:9]
	s_cbranch_execnz .LBB53_2937
; %bb.889:
	s_or_saveexec_b64 s[6:7], s[6:7]
	v_mov_b32_e32 v10, s10
	s_xor_b64 exec, exec, s[6:7]
	s_cbranch_execnz .LBB53_2940
.LBB53_890:
	s_or_b64 exec, exec, s[6:7]
	s_and_saveexec_b64 s[6:7], s[4:5]
	s_cbranch_execz .LBB53_892
.LBB53_891:
	v_bfe_u32 v10, v17, 24, 3
	v_ffbh_u32_e32 v15, v10
	v_min_u32_e32 v15, 32, v15
	v_lshrrev_b32_e32 v12, 27, v17
	v_subrev_u32_e32 v16, 28, v15
	v_and_b32_e32 v12, 15, v12
	v_lshlrev_b32_sdwa v16, v16, v17 dst_sel:DWORD dst_unused:UNUSED_PAD src0_sel:DWORD src1_sel:BYTE_3
	v_bfe_u32 v14, v17, 27, 4
	v_sub_u32_e32 v15, 29, v15
	v_and_b32_e32 v16, 7, v16
	v_cmp_eq_u16_e32 vcc, 0, v12
	v_cndmask_b32_e32 v10, v10, v16, vcc
	v_cndmask_b32_e32 v12, v14, v15, vcc
	v_mov_b32_e32 v14, 0x3b800000
	v_and_b32_e32 v11, 0x80000000, v17
	v_lshlrev_b32_e32 v10, 20, v10
	v_lshl_add_u32 v12, v12, 23, v14
	v_or3_b32 v10, v11, v12, v10
.LBB53_892:
	s_or_b64 exec, exec, s[6:7]
	s_movk_i32 s4, 0x7f
	v_cmp_gt_i16_sdwa s[6:7], v13, s4 src0_sel:BYTE_3 src1_sel:DWORD
	s_mov_b64 s[4:5], 0
                                        ; implicit-def: $sgpr10
	s_and_saveexec_b64 s[8:9], s[6:7]
	s_xor_b64 s[6:7], exec, s[8:9]
	s_cbranch_execnz .LBB53_2941
; %bb.893:
	s_or_saveexec_b64 s[6:7], s[6:7]
	v_mov_b32_e32 v11, s10
	s_xor_b64 exec, exec, s[6:7]
	s_cbranch_execnz .LBB53_2944
.LBB53_894:
	s_or_b64 exec, exec, s[6:7]
	s_and_saveexec_b64 s[6:7], s[4:5]
	s_cbranch_execz .LBB53_896
.LBB53_895:
	v_bfe_u32 v11, v13, 24, 3
	v_ffbh_u32_e32 v16, v11
	v_min_u32_e32 v16, 32, v16
	v_lshrrev_b32_e32 v14, 27, v13
	v_subrev_u32_e32 v17, 28, v16
	v_and_b32_e32 v12, 0x80000000, v13
	v_and_b32_e32 v14, 15, v14
	v_bfe_u32 v15, v13, 27, 4
	v_lshlrev_b32_sdwa v13, v17, v13 dst_sel:DWORD dst_unused:UNUSED_PAD src0_sel:DWORD src1_sel:BYTE_3
	v_sub_u32_e32 v16, 29, v16
	v_and_b32_e32 v13, 7, v13
	v_cmp_eq_u16_e32 vcc, 0, v14
	v_cndmask_b32_e32 v11, v11, v13, vcc
	v_cndmask_b32_e32 v13, v15, v16, vcc
	v_mov_b32_e32 v14, 0x3b800000
	v_lshlrev_b32_e32 v11, 20, v11
	v_lshl_add_u32 v13, v13, 23, v14
	v_or3_b32 v11, v12, v13, v11
.LBB53_896:
	s_or_b64 exec, exec, s[6:7]
	s_nop 0
	v_mfma_f32_16x16x4f32 a[0:3], v10, v11, a[0:3]
	s_movk_i32 s4, 0x7f
	v_cmp_gt_i16_sdwa s[6:7], v6, s4 src0_sel:BYTE_0 src1_sel:DWORD
	s_mov_b64 s[4:5], 0
                                        ; implicit-def: $sgpr10
	s_and_saveexec_b64 s[8:9], s[6:7]
	s_xor_b64 s[6:7], exec, s[8:9]
	s_cbranch_execnz .LBB53_2945
; %bb.897:
	s_or_saveexec_b64 s[6:7], s[6:7]
	v_mov_b32_e32 v10, s10
	s_xor_b64 exec, exec, s[6:7]
	s_cbranch_execnz .LBB53_2948
.LBB53_898:
	s_or_b64 exec, exec, s[6:7]
	s_and_saveexec_b64 s[6:7], s[4:5]
	s_cbranch_execz .LBB53_900
.LBB53_899:
	v_and_b32_e32 v10, 7, v6
	v_ffbh_u32_e32 v12, v10
	v_min_u32_e32 v12, 32, v12
	v_lshrrev_b16_e32 v11, 3, v6
	v_subrev_u32_e32 v13, 28, v12
	v_and_b32_e32 v11, 15, v11
	v_lshlrev_b32_e32 v13, v13, v6
	v_sub_u32_e32 v12, 29, v12
	v_and_b32_e32 v13, 7, v13
	v_cmp_eq_u16_e32 vcc, 0, v11
	v_cndmask_b32_e32 v10, v10, v13, vcc
	v_cndmask_b32_e32 v11, v11, v12, vcc
	v_lshlrev_b32_e32 v12, 24, v6
	v_mov_b32_e32 v13, 0x3b800000
	v_lshlrev_b32_e32 v10, 20, v10
	v_and_b32_e32 v12, 0x80000000, v12
	v_lshl_add_u32 v11, v11, 23, v13
	v_or3_b32 v10, v12, v11, v10
.LBB53_900:
	s_or_b64 exec, exec, s[6:7]
	s_movk_i32 s4, 0x7f
	v_cmp_gt_i16_sdwa s[6:7], v2, s4 src0_sel:BYTE_0 src1_sel:DWORD
	s_mov_b64 s[4:5], 0
                                        ; implicit-def: $sgpr10
	s_and_saveexec_b64 s[8:9], s[6:7]
	s_xor_b64 s[6:7], exec, s[8:9]
	s_cbranch_execnz .LBB53_2949
; %bb.901:
	s_or_saveexec_b64 s[6:7], s[6:7]
	v_mov_b32_e32 v11, s10
	s_xor_b64 exec, exec, s[6:7]
	s_cbranch_execnz .LBB53_2952
.LBB53_902:
	s_or_b64 exec, exec, s[6:7]
	s_and_saveexec_b64 s[6:7], s[4:5]
	s_cbranch_execz .LBB53_904
.LBB53_903:
	v_and_b32_e32 v11, 7, v2
	v_ffbh_u32_e32 v13, v11
	v_min_u32_e32 v13, 32, v13
	v_lshrrev_b16_e32 v12, 3, v2
	v_subrev_u32_e32 v14, 28, v13
	v_and_b32_e32 v12, 15, v12
	v_lshlrev_b32_e32 v14, v14, v2
	v_sub_u32_e32 v13, 29, v13
	v_and_b32_e32 v14, 7, v14
	v_cmp_eq_u16_e32 vcc, 0, v12
	v_cndmask_b32_e32 v11, v11, v14, vcc
	v_cndmask_b32_e32 v12, v12, v13, vcc
	v_lshlrev_b32_e32 v13, 24, v2
	v_mov_b32_e32 v14, 0x3b800000
	v_lshlrev_b32_e32 v11, 20, v11
	v_and_b32_e32 v13, 0x80000000, v13
	v_lshl_add_u32 v12, v12, 23, v14
	v_or3_b32 v11, v13, v12, v11
.LBB53_904:
	s_or_b64 exec, exec, s[6:7]
	s_nop 0
	v_mfma_f32_16x16x4f32 a[0:3], v10, v11, a[0:3]
	v_lshrrev_b32_e32 v11, 8, v6
	s_movk_i32 s4, 0x7f
	v_cmp_gt_i16_sdwa s[6:7], v11, s4 src0_sel:BYTE_0 src1_sel:DWORD
	s_mov_b64 s[4:5], 0
                                        ; implicit-def: $sgpr10
	s_and_saveexec_b64 s[8:9], s[6:7]
	s_xor_b64 s[6:7], exec, s[8:9]
	s_cbranch_execnz .LBB53_2953
; %bb.905:
	s_or_saveexec_b64 s[6:7], s[6:7]
	v_mov_b32_e32 v10, s10
	s_xor_b64 exec, exec, s[6:7]
	s_cbranch_execnz .LBB53_2956
.LBB53_906:
	s_or_b64 exec, exec, s[6:7]
	s_and_saveexec_b64 s[6:7], s[4:5]
	s_cbranch_execz .LBB53_908
.LBB53_907:
	v_bfe_u32 v10, v6, 8, 3
	v_ffbh_u32_e32 v13, v10
	v_min_u32_e32 v13, 32, v13
	v_lshrrev_b16_e32 v12, 3, v11
	v_subrev_u32_e32 v14, 28, v13
	v_and_b32_e32 v12, 15, v12
	v_lshlrev_b32_e32 v11, v14, v11
	v_sub_u32_e32 v13, 29, v13
	v_and_b32_e32 v11, 7, v11
	v_cmp_eq_u16_e32 vcc, 0, v12
	v_cndmask_b32_e32 v10, v10, v11, vcc
	v_cndmask_b32_e32 v11, v12, v13, vcc
	v_lshlrev_b32_e32 v12, 16, v6
	v_mov_b32_e32 v13, 0x3b800000
	v_lshlrev_b32_e32 v10, 20, v10
	v_and_b32_e32 v12, 0x80000000, v12
	v_lshl_add_u32 v11, v11, 23, v13
	v_or3_b32 v10, v12, v11, v10
.LBB53_908:
	s_or_b64 exec, exec, s[6:7]
	v_lshrrev_b32_e32 v11, 8, v2
	s_movk_i32 s4, 0x7f
	v_cmp_gt_i16_sdwa s[6:7], v11, s4 src0_sel:BYTE_0 src1_sel:DWORD
	s_mov_b64 s[4:5], 0
                                        ; implicit-def: $sgpr10
	s_and_saveexec_b64 s[8:9], s[6:7]
	s_xor_b64 s[6:7], exec, s[8:9]
	s_cbranch_execnz .LBB53_2957
; %bb.909:
	s_or_saveexec_b64 s[6:7], s[6:7]
	v_mov_b32_e32 v12, s10
	s_xor_b64 exec, exec, s[6:7]
	s_cbranch_execnz .LBB53_2960
.LBB53_910:
	s_or_b64 exec, exec, s[6:7]
	s_and_saveexec_b64 s[6:7], s[4:5]
	s_cbranch_execz .LBB53_912
.LBB53_911:
	v_bfe_u32 v12, v2, 8, 3
	v_ffbh_u32_e32 v14, v12
	v_min_u32_e32 v14, 32, v14
	v_lshrrev_b16_e32 v13, 3, v11
	v_subrev_u32_e32 v15, 28, v14
	v_and_b32_e32 v13, 15, v13
	v_lshlrev_b32_e32 v11, v15, v11
	v_sub_u32_e32 v14, 29, v14
	v_and_b32_e32 v11, 7, v11
	v_cmp_eq_u16_e32 vcc, 0, v13
	v_cndmask_b32_e32 v11, v12, v11, vcc
	v_cndmask_b32_e32 v12, v13, v14, vcc
	v_lshlrev_b32_e32 v13, 16, v2
	v_mov_b32_e32 v14, 0x3b800000
	v_lshlrev_b32_e32 v11, 20, v11
	v_and_b32_e32 v13, 0x80000000, v13
	v_lshl_add_u32 v12, v12, 23, v14
	v_or3_b32 v12, v13, v12, v11
.LBB53_912:
	s_or_b64 exec, exec, s[6:7]
	s_nop 0
	v_mfma_f32_16x16x4f32 a[0:3], v10, v12, a[0:3]
	s_movk_i32 s4, 0xff
	v_and_b32_sdwa v11, v6, s4 dst_sel:DWORD dst_unused:UNUSED_PAD src0_sel:WORD_1 src1_sel:DWORD
	s_movk_i32 s4, 0x7f
	v_cmp_lt_i16_e32 vcc, s4, v11
	s_mov_b64 s[4:5], 0
                                        ; implicit-def: $sgpr10
	s_and_saveexec_b64 s[6:7], vcc
	s_xor_b64 s[6:7], exec, s[6:7]
	s_cbranch_execnz .LBB53_2961
; %bb.913:
	s_or_saveexec_b64 s[6:7], s[6:7]
	v_mov_b32_e32 v10, s10
	s_xor_b64 exec, exec, s[6:7]
	s_cbranch_execnz .LBB53_2964
.LBB53_914:
	s_or_b64 exec, exec, s[6:7]
	s_and_saveexec_b64 s[6:7], s[4:5]
	s_cbranch_execz .LBB53_916
.LBB53_915:
	v_bfe_u32 v10, v6, 16, 3
	v_ffbh_u32_e32 v13, v10
	v_min_u32_e32 v13, 32, v13
	v_lshrrev_b32_e32 v11, 19, v6
	v_subrev_u32_e32 v14, 28, v13
	v_and_b32_e32 v11, 15, v11
	v_lshlrev_b32_sdwa v14, v14, v6 dst_sel:DWORD dst_unused:UNUSED_PAD src0_sel:DWORD src1_sel:WORD_1
	v_bfe_u32 v12, v6, 19, 4
	v_sub_u32_e32 v13, 29, v13
	v_and_b32_e32 v14, 7, v14
	v_cmp_eq_u16_e32 vcc, 0, v11
	v_cndmask_b32_e32 v10, v10, v14, vcc
	v_cndmask_b32_e32 v11, v12, v13, vcc
	v_lshlrev_b32_e32 v12, 8, v6
	v_mov_b32_e32 v13, 0x3b800000
	v_lshlrev_b32_e32 v10, 20, v10
	v_and_b32_e32 v12, 0x80000000, v12
	v_lshl_add_u32 v11, v11, 23, v13
	v_or3_b32 v10, v12, v11, v10
.LBB53_916:
	s_or_b64 exec, exec, s[6:7]
	s_movk_i32 s4, 0xff
	v_and_b32_sdwa v11, v2, s4 dst_sel:DWORD dst_unused:UNUSED_PAD src0_sel:WORD_1 src1_sel:DWORD
	s_movk_i32 s4, 0x7f
	v_cmp_lt_i16_e32 vcc, s4, v11
	s_mov_b64 s[4:5], 0
                                        ; implicit-def: $sgpr10
	s_and_saveexec_b64 s[6:7], vcc
	s_xor_b64 s[6:7], exec, s[6:7]
	s_cbranch_execnz .LBB53_2965
; %bb.917:
	s_or_saveexec_b64 s[6:7], s[6:7]
	v_mov_b32_e32 v12, s10
	s_xor_b64 exec, exec, s[6:7]
	s_cbranch_execnz .LBB53_2968
.LBB53_918:
	s_or_b64 exec, exec, s[6:7]
	s_and_saveexec_b64 s[6:7], s[4:5]
	s_cbranch_execz .LBB53_920
.LBB53_919:
	v_bfe_u32 v11, v2, 16, 3
	v_ffbh_u32_e32 v14, v11
	v_min_u32_e32 v14, 32, v14
	v_lshrrev_b32_e32 v12, 19, v2
	v_subrev_u32_e32 v15, 28, v14
	v_and_b32_e32 v12, 15, v12
	v_lshlrev_b32_sdwa v15, v15, v2 dst_sel:DWORD dst_unused:UNUSED_PAD src0_sel:DWORD src1_sel:WORD_1
	v_bfe_u32 v13, v2, 19, 4
	v_sub_u32_e32 v14, 29, v14
	v_and_b32_e32 v15, 7, v15
	v_cmp_eq_u16_e32 vcc, 0, v12
	v_cndmask_b32_e32 v11, v11, v15, vcc
	v_cndmask_b32_e32 v12, v13, v14, vcc
	v_lshlrev_b32_e32 v13, 8, v2
	v_mov_b32_e32 v14, 0x3b800000
	v_lshlrev_b32_e32 v11, 20, v11
	v_and_b32_e32 v13, 0x80000000, v13
	v_lshl_add_u32 v12, v12, 23, v14
	v_or3_b32 v12, v13, v12, v11
.LBB53_920:
	s_or_b64 exec, exec, s[6:7]
	s_nop 0
	v_mfma_f32_16x16x4f32 a[0:3], v10, v12, a[0:3]
	s_movk_i32 s4, 0x7f
	v_cmp_gt_i16_sdwa s[6:7], v6, s4 src0_sel:BYTE_3 src1_sel:DWORD
	s_mov_b64 s[4:5], 0
                                        ; implicit-def: $sgpr10
	s_and_saveexec_b64 s[8:9], s[6:7]
	s_xor_b64 s[6:7], exec, s[8:9]
	s_cbranch_execnz .LBB53_2969
; %bb.921:
	s_or_saveexec_b64 s[6:7], s[6:7]
	v_mov_b32_e32 v10, s10
	s_xor_b64 exec, exec, s[6:7]
	s_cbranch_execnz .LBB53_2972
.LBB53_922:
	s_or_b64 exec, exec, s[6:7]
	s_and_saveexec_b64 s[6:7], s[4:5]
	s_cbranch_execz .LBB53_924
.LBB53_923:
	v_bfe_u32 v10, v6, 24, 3
	v_ffbh_u32_e32 v14, v10
	v_min_u32_e32 v14, 32, v14
	v_lshrrev_b32_e32 v12, 27, v6
	v_subrev_u32_e32 v15, 28, v14
	v_and_b32_e32 v11, 0x80000000, v6
	v_and_b32_e32 v12, 15, v12
	v_bfe_u32 v13, v6, 27, 4
	v_lshlrev_b32_sdwa v6, v15, v6 dst_sel:DWORD dst_unused:UNUSED_PAD src0_sel:DWORD src1_sel:BYTE_3
	v_sub_u32_e32 v14, 29, v14
	v_and_b32_e32 v6, 7, v6
	v_cmp_eq_u16_e32 vcc, 0, v12
	v_cndmask_b32_e32 v6, v10, v6, vcc
	v_cndmask_b32_e32 v10, v13, v14, vcc
	v_mov_b32_e32 v12, 0x3b800000
	v_lshlrev_b32_e32 v6, 20, v6
	v_lshl_add_u32 v10, v10, 23, v12
	v_or3_b32 v10, v11, v10, v6
.LBB53_924:
	s_or_b64 exec, exec, s[6:7]
	s_movk_i32 s4, 0x7f
	v_cmp_gt_i16_sdwa s[6:7], v2, s4 src0_sel:BYTE_3 src1_sel:DWORD
	s_mov_b64 s[4:5], 0
                                        ; implicit-def: $sgpr10
	s_and_saveexec_b64 s[8:9], s[6:7]
	s_xor_b64 s[6:7], exec, s[8:9]
	s_cbranch_execnz .LBB53_2973
; %bb.925:
	s_or_saveexec_b64 s[6:7], s[6:7]
	v_mov_b32_e32 v6, s10
	s_xor_b64 exec, exec, s[6:7]
	s_cbranch_execnz .LBB53_2976
.LBB53_926:
	s_or_b64 exec, exec, s[6:7]
	s_and_saveexec_b64 s[6:7], s[4:5]
	s_cbranch_execz .LBB53_928
.LBB53_927:
	v_bfe_u32 v6, v2, 24, 3
	v_ffbh_u32_e32 v14, v6
	v_min_u32_e32 v14, 32, v14
	v_lshrrev_b32_e32 v12, 27, v2
	v_subrev_u32_e32 v15, 28, v14
	v_and_b32_e32 v11, 0x80000000, v2
	v_and_b32_e32 v12, 15, v12
	v_bfe_u32 v13, v2, 27, 4
	v_lshlrev_b32_sdwa v2, v15, v2 dst_sel:DWORD dst_unused:UNUSED_PAD src0_sel:DWORD src1_sel:BYTE_3
	v_sub_u32_e32 v14, 29, v14
	v_and_b32_e32 v2, 7, v2
	v_cmp_eq_u16_e32 vcc, 0, v12
	v_cndmask_b32_e32 v2, v6, v2, vcc
	v_cndmask_b32_e32 v6, v13, v14, vcc
	v_mov_b32_e32 v12, 0x3b800000
	v_lshlrev_b32_e32 v2, 20, v2
	v_lshl_add_u32 v6, v6, 23, v12
	v_or3_b32 v6, v11, v6, v2
.LBB53_928:
	s_or_b64 exec, exec, s[6:7]
	s_nop 0
	v_mfma_f32_16x16x4f32 a[0:3], v10, v6, a[0:3]
	s_movk_i32 s4, 0x7f
	v_cmp_gt_i16_sdwa s[6:7], v7, s4 src0_sel:BYTE_0 src1_sel:DWORD
	s_mov_b64 s[4:5], 0
                                        ; implicit-def: $sgpr10
	s_and_saveexec_b64 s[8:9], s[6:7]
	s_xor_b64 s[6:7], exec, s[8:9]
	s_cbranch_execnz .LBB53_2977
; %bb.929:
	s_or_saveexec_b64 s[6:7], s[6:7]
	v_mov_b32_e32 v2, s10
	s_xor_b64 exec, exec, s[6:7]
	s_cbranch_execnz .LBB53_2980
.LBB53_930:
	s_or_b64 exec, exec, s[6:7]
	s_and_saveexec_b64 s[6:7], s[4:5]
	s_cbranch_execz .LBB53_932
.LBB53_931:
	v_and_b32_e32 v2, 7, v7
	v_ffbh_u32_e32 v10, v2
	v_min_u32_e32 v10, 32, v10
	v_lshrrev_b16_e32 v6, 3, v7
	v_subrev_u32_e32 v11, 28, v10
	v_and_b32_e32 v6, 15, v6
	v_lshlrev_b32_e32 v11, v11, v7
	v_sub_u32_e32 v10, 29, v10
	v_and_b32_e32 v11, 7, v11
	v_cmp_eq_u16_e32 vcc, 0, v6
	v_cndmask_b32_e32 v2, v2, v11, vcc
	v_cndmask_b32_e32 v6, v6, v10, vcc
	v_lshlrev_b32_e32 v10, 24, v7
	v_mov_b32_e32 v11, 0x3b800000
	v_lshlrev_b32_e32 v2, 20, v2
	v_and_b32_e32 v10, 0x80000000, v10
	v_lshl_add_u32 v6, v6, 23, v11
	v_or3_b32 v2, v10, v6, v2
.LBB53_932:
	s_or_b64 exec, exec, s[6:7]
	s_movk_i32 s4, 0x7f
	v_cmp_gt_i16_sdwa s[6:7], v3, s4 src0_sel:BYTE_0 src1_sel:DWORD
	s_mov_b64 s[4:5], 0
                                        ; implicit-def: $sgpr10
	s_and_saveexec_b64 s[8:9], s[6:7]
	s_xor_b64 s[6:7], exec, s[8:9]
	s_cbranch_execnz .LBB53_2981
; %bb.933:
	s_or_saveexec_b64 s[6:7], s[6:7]
	v_mov_b32_e32 v6, s10
	s_xor_b64 exec, exec, s[6:7]
	s_cbranch_execnz .LBB53_2984
.LBB53_934:
	s_or_b64 exec, exec, s[6:7]
	s_and_saveexec_b64 s[6:7], s[4:5]
	s_cbranch_execz .LBB53_936
.LBB53_935:
	v_and_b32_e32 v6, 7, v3
	v_ffbh_u32_e32 v11, v6
	v_min_u32_e32 v11, 32, v11
	v_lshrrev_b16_e32 v10, 3, v3
	v_subrev_u32_e32 v12, 28, v11
	v_and_b32_e32 v10, 15, v10
	v_lshlrev_b32_e32 v12, v12, v3
	v_sub_u32_e32 v11, 29, v11
	v_and_b32_e32 v12, 7, v12
	v_cmp_eq_u16_e32 vcc, 0, v10
	v_cndmask_b32_e32 v6, v6, v12, vcc
	v_cndmask_b32_e32 v10, v10, v11, vcc
	v_lshlrev_b32_e32 v11, 24, v3
	v_mov_b32_e32 v12, 0x3b800000
	v_lshlrev_b32_e32 v6, 20, v6
	v_and_b32_e32 v11, 0x80000000, v11
	v_lshl_add_u32 v10, v10, 23, v12
	v_or3_b32 v6, v11, v10, v6
.LBB53_936:
	s_or_b64 exec, exec, s[6:7]
	s_nop 0
	v_mfma_f32_16x16x4f32 a[0:3], v2, v6, a[0:3]
	v_lshrrev_b32_e32 v6, 8, v7
	s_movk_i32 s4, 0x7f
	v_cmp_gt_i16_sdwa s[6:7], v6, s4 src0_sel:BYTE_0 src1_sel:DWORD
	s_mov_b64 s[4:5], 0
                                        ; implicit-def: $sgpr10
	s_and_saveexec_b64 s[8:9], s[6:7]
	s_xor_b64 s[6:7], exec, s[8:9]
	s_cbranch_execnz .LBB53_2985
; %bb.937:
	s_or_saveexec_b64 s[6:7], s[6:7]
	v_mov_b32_e32 v2, s10
	s_xor_b64 exec, exec, s[6:7]
	s_cbranch_execnz .LBB53_2988
.LBB53_938:
	s_or_b64 exec, exec, s[6:7]
	s_and_saveexec_b64 s[6:7], s[4:5]
	s_cbranch_execz .LBB53_940
.LBB53_939:
	v_bfe_u32 v2, v7, 8, 3
	v_ffbh_u32_e32 v11, v2
	v_min_u32_e32 v11, 32, v11
	v_lshrrev_b16_e32 v10, 3, v6
	v_subrev_u32_e32 v12, 28, v11
	v_and_b32_e32 v10, 15, v10
	v_lshlrev_b32_e32 v6, v12, v6
	v_sub_u32_e32 v11, 29, v11
	v_and_b32_e32 v6, 7, v6
	v_cmp_eq_u16_e32 vcc, 0, v10
	v_cndmask_b32_e32 v2, v2, v6, vcc
	v_cndmask_b32_e32 v6, v10, v11, vcc
	v_lshlrev_b32_e32 v10, 16, v7
	v_mov_b32_e32 v11, 0x3b800000
	v_lshlrev_b32_e32 v2, 20, v2
	v_and_b32_e32 v10, 0x80000000, v10
	v_lshl_add_u32 v6, v6, 23, v11
	v_or3_b32 v2, v10, v6, v2
.LBB53_940:
	s_or_b64 exec, exec, s[6:7]
	v_lshrrev_b32_e32 v6, 8, v3
	s_movk_i32 s4, 0x7f
	v_cmp_gt_i16_sdwa s[6:7], v6, s4 src0_sel:BYTE_0 src1_sel:DWORD
	s_mov_b64 s[4:5], 0
                                        ; implicit-def: $sgpr10
	s_and_saveexec_b64 s[8:9], s[6:7]
	s_xor_b64 s[6:7], exec, s[8:9]
	s_cbranch_execnz .LBB53_2989
; %bb.941:
	s_or_saveexec_b64 s[6:7], s[6:7]
	v_mov_b32_e32 v10, s10
	s_xor_b64 exec, exec, s[6:7]
	s_cbranch_execnz .LBB53_2992
.LBB53_942:
	s_or_b64 exec, exec, s[6:7]
	s_and_saveexec_b64 s[6:7], s[4:5]
	s_cbranch_execz .LBB53_944
.LBB53_943:
	v_bfe_u32 v10, v3, 8, 3
	v_ffbh_u32_e32 v12, v10
	v_min_u32_e32 v12, 32, v12
	v_lshrrev_b16_e32 v11, 3, v6
	v_subrev_u32_e32 v13, 28, v12
	v_and_b32_e32 v11, 15, v11
	v_lshlrev_b32_e32 v6, v13, v6
	v_sub_u32_e32 v12, 29, v12
	v_and_b32_e32 v6, 7, v6
	v_cmp_eq_u16_e32 vcc, 0, v11
	v_cndmask_b32_e32 v6, v10, v6, vcc
	v_cndmask_b32_e32 v10, v11, v12, vcc
	v_lshlrev_b32_e32 v11, 16, v3
	v_mov_b32_e32 v12, 0x3b800000
	v_lshlrev_b32_e32 v6, 20, v6
	v_and_b32_e32 v11, 0x80000000, v11
	v_lshl_add_u32 v10, v10, 23, v12
	v_or3_b32 v10, v11, v10, v6
.LBB53_944:
	s_or_b64 exec, exec, s[6:7]
	s_nop 0
	v_mfma_f32_16x16x4f32 a[0:3], v2, v10, a[0:3]
	s_movk_i32 s4, 0xff
	v_and_b32_sdwa v6, v7, s4 dst_sel:DWORD dst_unused:UNUSED_PAD src0_sel:WORD_1 src1_sel:DWORD
	s_movk_i32 s4, 0x7f
	v_cmp_lt_i16_e32 vcc, s4, v6
	s_mov_b64 s[4:5], 0
                                        ; implicit-def: $sgpr10
	s_and_saveexec_b64 s[6:7], vcc
	s_xor_b64 s[6:7], exec, s[6:7]
	s_cbranch_execnz .LBB53_2993
; %bb.945:
	s_or_saveexec_b64 s[6:7], s[6:7]
	v_mov_b32_e32 v2, s10
	s_xor_b64 exec, exec, s[6:7]
	s_cbranch_execnz .LBB53_2996
.LBB53_946:
	s_or_b64 exec, exec, s[6:7]
	s_and_saveexec_b64 s[6:7], s[4:5]
	s_cbranch_execz .LBB53_948
.LBB53_947:
	v_bfe_u32 v2, v7, 16, 3
	v_ffbh_u32_e32 v11, v2
	v_min_u32_e32 v11, 32, v11
	v_lshrrev_b32_e32 v6, 19, v7
	v_subrev_u32_e32 v12, 28, v11
	v_and_b32_e32 v6, 15, v6
	v_lshlrev_b32_sdwa v12, v12, v7 dst_sel:DWORD dst_unused:UNUSED_PAD src0_sel:DWORD src1_sel:WORD_1
	v_bfe_u32 v10, v7, 19, 4
	v_sub_u32_e32 v11, 29, v11
	v_and_b32_e32 v12, 7, v12
	v_cmp_eq_u16_e32 vcc, 0, v6
	v_cndmask_b32_e32 v2, v2, v12, vcc
	v_cndmask_b32_e32 v6, v10, v11, vcc
	v_lshlrev_b32_e32 v10, 8, v7
	v_mov_b32_e32 v11, 0x3b800000
	v_lshlrev_b32_e32 v2, 20, v2
	v_and_b32_e32 v10, 0x80000000, v10
	v_lshl_add_u32 v6, v6, 23, v11
	v_or3_b32 v2, v10, v6, v2
.LBB53_948:
	s_or_b64 exec, exec, s[6:7]
	s_movk_i32 s4, 0xff
	v_and_b32_sdwa v6, v3, s4 dst_sel:DWORD dst_unused:UNUSED_PAD src0_sel:WORD_1 src1_sel:DWORD
	s_movk_i32 s4, 0x7f
	v_cmp_lt_i16_e32 vcc, s4, v6
	s_mov_b64 s[4:5], 0
                                        ; implicit-def: $sgpr10
	s_and_saveexec_b64 s[6:7], vcc
	s_xor_b64 s[6:7], exec, s[6:7]
	s_cbranch_execnz .LBB53_2997
; %bb.949:
	s_or_saveexec_b64 s[6:7], s[6:7]
	v_mov_b32_e32 v10, s10
	s_xor_b64 exec, exec, s[6:7]
	s_cbranch_execnz .LBB53_3000
.LBB53_950:
	s_or_b64 exec, exec, s[6:7]
	s_and_saveexec_b64 s[6:7], s[4:5]
	s_cbranch_execz .LBB53_952
.LBB53_951:
	v_bfe_u32 v6, v3, 16, 3
	v_ffbh_u32_e32 v12, v6
	v_min_u32_e32 v12, 32, v12
	v_lshrrev_b32_e32 v10, 19, v3
	v_subrev_u32_e32 v13, 28, v12
	v_and_b32_e32 v10, 15, v10
	v_lshlrev_b32_sdwa v13, v13, v3 dst_sel:DWORD dst_unused:UNUSED_PAD src0_sel:DWORD src1_sel:WORD_1
	v_bfe_u32 v11, v3, 19, 4
	v_sub_u32_e32 v12, 29, v12
	v_and_b32_e32 v13, 7, v13
	v_cmp_eq_u16_e32 vcc, 0, v10
	v_cndmask_b32_e32 v6, v6, v13, vcc
	v_cndmask_b32_e32 v10, v11, v12, vcc
	v_lshlrev_b32_e32 v11, 8, v3
	v_mov_b32_e32 v12, 0x3b800000
	v_lshlrev_b32_e32 v6, 20, v6
	v_and_b32_e32 v11, 0x80000000, v11
	v_lshl_add_u32 v10, v10, 23, v12
	v_or3_b32 v10, v11, v10, v6
.LBB53_952:
	s_or_b64 exec, exec, s[6:7]
	s_nop 0
	v_mfma_f32_16x16x4f32 a[0:3], v2, v10, a[0:3]
	s_movk_i32 s4, 0x7f
	v_cmp_gt_i16_sdwa s[6:7], v7, s4 src0_sel:BYTE_3 src1_sel:DWORD
	s_mov_b64 s[4:5], 0
                                        ; implicit-def: $sgpr10
	s_and_saveexec_b64 s[8:9], s[6:7]
	s_xor_b64 s[6:7], exec, s[8:9]
	s_cbranch_execnz .LBB53_3001
; %bb.953:
	s_or_saveexec_b64 s[6:7], s[6:7]
	v_mov_b32_e32 v2, s10
	s_xor_b64 exec, exec, s[6:7]
	s_cbranch_execnz .LBB53_3004
.LBB53_954:
	s_or_b64 exec, exec, s[6:7]
	s_and_saveexec_b64 s[6:7], s[4:5]
	s_cbranch_execz .LBB53_956
.LBB53_955:
	v_bfe_u32 v2, v7, 24, 3
	v_ffbh_u32_e32 v12, v2
	v_min_u32_e32 v12, 32, v12
	v_lshrrev_b32_e32 v10, 27, v7
	v_subrev_u32_e32 v13, 28, v12
	v_and_b32_e32 v6, 0x80000000, v7
	v_and_b32_e32 v10, 15, v10
	v_bfe_u32 v11, v7, 27, 4
	v_lshlrev_b32_sdwa v7, v13, v7 dst_sel:DWORD dst_unused:UNUSED_PAD src0_sel:DWORD src1_sel:BYTE_3
	v_sub_u32_e32 v12, 29, v12
	v_and_b32_e32 v7, 7, v7
	v_cmp_eq_u16_e32 vcc, 0, v10
	v_cndmask_b32_e32 v2, v2, v7, vcc
	v_cndmask_b32_e32 v7, v11, v12, vcc
	v_mov_b32_e32 v10, 0x3b800000
	v_lshlrev_b32_e32 v2, 20, v2
	v_lshl_add_u32 v7, v7, 23, v10
	v_or3_b32 v2, v6, v7, v2
.LBB53_956:
	s_or_b64 exec, exec, s[6:7]
	s_movk_i32 s4, 0x7f
	v_cmp_gt_i16_sdwa s[6:7], v3, s4 src0_sel:BYTE_3 src1_sel:DWORD
	s_mov_b64 s[4:5], 0
                                        ; implicit-def: $sgpr10
	s_and_saveexec_b64 s[8:9], s[6:7]
	s_xor_b64 s[6:7], exec, s[8:9]
	s_cbranch_execnz .LBB53_3005
; %bb.957:
	s_or_saveexec_b64 s[6:7], s[6:7]
	v_mov_b32_e32 v6, s10
	s_xor_b64 exec, exec, s[6:7]
	s_cbranch_execnz .LBB53_3008
.LBB53_958:
	s_or_b64 exec, exec, s[6:7]
	s_and_saveexec_b64 s[6:7], s[4:5]
	s_cbranch_execz .LBB53_960
.LBB53_959:
	v_bfe_u32 v6, v3, 24, 3
	v_ffbh_u32_e32 v12, v6
	v_min_u32_e32 v12, 32, v12
	v_lshrrev_b32_e32 v10, 27, v3
	v_subrev_u32_e32 v13, 28, v12
	v_and_b32_e32 v7, 0x80000000, v3
	v_and_b32_e32 v10, 15, v10
	v_bfe_u32 v11, v3, 27, 4
	v_lshlrev_b32_sdwa v3, v13, v3 dst_sel:DWORD dst_unused:UNUSED_PAD src0_sel:DWORD src1_sel:BYTE_3
	v_sub_u32_e32 v12, 29, v12
	v_and_b32_e32 v3, 7, v3
	v_cmp_eq_u16_e32 vcc, 0, v10
	v_cndmask_b32_e32 v3, v6, v3, vcc
	v_cndmask_b32_e32 v6, v11, v12, vcc
	v_mov_b32_e32 v10, 0x3b800000
	v_lshlrev_b32_e32 v3, 20, v3
	v_lshl_add_u32 v6, v6, 23, v10
	v_or3_b32 v6, v7, v6, v3
.LBB53_960:
	s_or_b64 exec, exec, s[6:7]
	s_nop 0
	v_mfma_f32_16x16x4f32 a[0:3], v2, v6, a[0:3]
	s_movk_i32 s4, 0x7f
	v_cmp_gt_i16_sdwa s[6:7], v8, s4 src0_sel:BYTE_0 src1_sel:DWORD
	s_mov_b64 s[4:5], 0
                                        ; implicit-def: $sgpr10
	s_and_saveexec_b64 s[8:9], s[6:7]
	s_xor_b64 s[6:7], exec, s[8:9]
	s_cbranch_execnz .LBB53_3009
; %bb.961:
	s_or_saveexec_b64 s[6:7], s[6:7]
	v_mov_b32_e32 v2, s10
	s_xor_b64 exec, exec, s[6:7]
	s_cbranch_execnz .LBB53_3012
.LBB53_962:
	s_or_b64 exec, exec, s[6:7]
	s_and_saveexec_b64 s[6:7], s[4:5]
	s_cbranch_execz .LBB53_964
.LBB53_963:
	v_and_b32_e32 v2, 7, v8
	v_ffbh_u32_e32 v6, v2
	v_min_u32_e32 v6, 32, v6
	v_lshrrev_b16_e32 v3, 3, v8
	v_subrev_u32_e32 v7, 28, v6
	v_and_b32_e32 v3, 15, v3
	v_lshlrev_b32_e32 v7, v7, v8
	v_sub_u32_e32 v6, 29, v6
	v_and_b32_e32 v7, 7, v7
	v_cmp_eq_u16_e32 vcc, 0, v3
	v_cndmask_b32_e32 v2, v2, v7, vcc
	v_cndmask_b32_e32 v3, v3, v6, vcc
	v_lshlrev_b32_e32 v6, 24, v8
	v_mov_b32_e32 v7, 0x3b800000
	v_lshlrev_b32_e32 v2, 20, v2
	v_and_b32_e32 v6, 0x80000000, v6
	v_lshl_add_u32 v3, v3, 23, v7
	v_or3_b32 v2, v6, v3, v2
.LBB53_964:
	s_or_b64 exec, exec, s[6:7]
	s_movk_i32 s4, 0x7f
	v_cmp_gt_i16_sdwa s[6:7], v4, s4 src0_sel:BYTE_0 src1_sel:DWORD
	s_mov_b64 s[4:5], 0
                                        ; implicit-def: $sgpr10
	s_and_saveexec_b64 s[8:9], s[6:7]
	s_xor_b64 s[6:7], exec, s[8:9]
	s_cbranch_execnz .LBB53_3013
; %bb.965:
	s_or_saveexec_b64 s[6:7], s[6:7]
	v_mov_b32_e32 v3, s10
	s_xor_b64 exec, exec, s[6:7]
	s_cbranch_execnz .LBB53_3016
.LBB53_966:
	s_or_b64 exec, exec, s[6:7]
	s_and_saveexec_b64 s[6:7], s[4:5]
	s_cbranch_execz .LBB53_968
.LBB53_967:
	v_and_b32_e32 v3, 7, v4
	v_ffbh_u32_e32 v7, v3
	v_min_u32_e32 v7, 32, v7
	v_lshrrev_b16_e32 v6, 3, v4
	v_subrev_u32_e32 v10, 28, v7
	v_and_b32_e32 v6, 15, v6
	v_lshlrev_b32_e32 v10, v10, v4
	v_sub_u32_e32 v7, 29, v7
	v_and_b32_e32 v10, 7, v10
	v_cmp_eq_u16_e32 vcc, 0, v6
	v_cndmask_b32_e32 v3, v3, v10, vcc
	v_cndmask_b32_e32 v6, v6, v7, vcc
	v_lshlrev_b32_e32 v7, 24, v4
	v_mov_b32_e32 v10, 0x3b800000
	v_lshlrev_b32_e32 v3, 20, v3
	v_and_b32_e32 v7, 0x80000000, v7
	v_lshl_add_u32 v6, v6, 23, v10
	v_or3_b32 v3, v7, v6, v3
.LBB53_968:
	s_or_b64 exec, exec, s[6:7]
	s_nop 0
	v_mfma_f32_16x16x4f32 a[0:3], v2, v3, a[0:3]
	v_lshrrev_b32_e32 v3, 8, v8
	s_movk_i32 s4, 0x7f
	v_cmp_gt_i16_sdwa s[6:7], v3, s4 src0_sel:BYTE_0 src1_sel:DWORD
	s_mov_b64 s[4:5], 0
                                        ; implicit-def: $sgpr10
	s_and_saveexec_b64 s[8:9], s[6:7]
	s_xor_b64 s[6:7], exec, s[8:9]
	s_cbranch_execnz .LBB53_3017
; %bb.969:
	s_or_saveexec_b64 s[6:7], s[6:7]
	v_mov_b32_e32 v2, s10
	s_xor_b64 exec, exec, s[6:7]
	s_cbranch_execnz .LBB53_3020
.LBB53_970:
	s_or_b64 exec, exec, s[6:7]
	s_and_saveexec_b64 s[6:7], s[4:5]
	s_cbranch_execz .LBB53_972
.LBB53_971:
	v_bfe_u32 v2, v8, 8, 3
	v_ffbh_u32_e32 v7, v2
	v_min_u32_e32 v7, 32, v7
	v_lshrrev_b16_e32 v6, 3, v3
	v_subrev_u32_e32 v10, 28, v7
	v_and_b32_e32 v6, 15, v6
	v_lshlrev_b32_e32 v3, v10, v3
	v_sub_u32_e32 v7, 29, v7
	v_and_b32_e32 v3, 7, v3
	v_cmp_eq_u16_e32 vcc, 0, v6
	v_cndmask_b32_e32 v2, v2, v3, vcc
	v_cndmask_b32_e32 v3, v6, v7, vcc
	v_lshlrev_b32_e32 v6, 16, v8
	v_mov_b32_e32 v7, 0x3b800000
	v_lshlrev_b32_e32 v2, 20, v2
	v_and_b32_e32 v6, 0x80000000, v6
	v_lshl_add_u32 v3, v3, 23, v7
	v_or3_b32 v2, v6, v3, v2
.LBB53_972:
	s_or_b64 exec, exec, s[6:7]
	v_lshrrev_b32_e32 v3, 8, v4
	s_movk_i32 s4, 0x7f
	v_cmp_gt_i16_sdwa s[6:7], v3, s4 src0_sel:BYTE_0 src1_sel:DWORD
	s_mov_b64 s[4:5], 0
                                        ; implicit-def: $sgpr10
	s_and_saveexec_b64 s[8:9], s[6:7]
	s_xor_b64 s[6:7], exec, s[8:9]
	s_cbranch_execnz .LBB53_3021
; %bb.973:
	s_or_saveexec_b64 s[6:7], s[6:7]
	v_mov_b32_e32 v6, s10
	s_xor_b64 exec, exec, s[6:7]
	s_cbranch_execnz .LBB53_3024
.LBB53_974:
	s_or_b64 exec, exec, s[6:7]
	s_and_saveexec_b64 s[6:7], s[4:5]
	s_cbranch_execz .LBB53_976
.LBB53_975:
	v_bfe_u32 v6, v4, 8, 3
	v_ffbh_u32_e32 v10, v6
	v_min_u32_e32 v10, 32, v10
	v_lshrrev_b16_e32 v7, 3, v3
	v_subrev_u32_e32 v11, 28, v10
	v_and_b32_e32 v7, 15, v7
	v_lshlrev_b32_e32 v3, v11, v3
	v_sub_u32_e32 v10, 29, v10
	v_and_b32_e32 v3, 7, v3
	v_cmp_eq_u16_e32 vcc, 0, v7
	v_cndmask_b32_e32 v3, v6, v3, vcc
	v_cndmask_b32_e32 v6, v7, v10, vcc
	v_lshlrev_b32_e32 v7, 16, v4
	v_mov_b32_e32 v10, 0x3b800000
	v_lshlrev_b32_e32 v3, 20, v3
	v_and_b32_e32 v7, 0x80000000, v7
	v_lshl_add_u32 v6, v6, 23, v10
	v_or3_b32 v6, v7, v6, v3
.LBB53_976:
	s_or_b64 exec, exec, s[6:7]
	s_nop 0
	v_mfma_f32_16x16x4f32 a[0:3], v2, v6, a[0:3]
	s_movk_i32 s4, 0xff
	v_and_b32_sdwa v3, v8, s4 dst_sel:DWORD dst_unused:UNUSED_PAD src0_sel:WORD_1 src1_sel:DWORD
	s_movk_i32 s4, 0x7f
	v_cmp_lt_i16_e32 vcc, s4, v3
	s_mov_b64 s[4:5], 0
                                        ; implicit-def: $sgpr10
	s_and_saveexec_b64 s[6:7], vcc
	s_xor_b64 s[6:7], exec, s[6:7]
	s_cbranch_execnz .LBB53_3025
; %bb.977:
	s_or_saveexec_b64 s[6:7], s[6:7]
	v_mov_b32_e32 v2, s10
	s_xor_b64 exec, exec, s[6:7]
	s_cbranch_execnz .LBB53_3028
.LBB53_978:
	s_or_b64 exec, exec, s[6:7]
	s_and_saveexec_b64 s[6:7], s[4:5]
	s_cbranch_execz .LBB53_980
.LBB53_979:
	v_bfe_u32 v2, v8, 16, 3
	v_ffbh_u32_e32 v7, v2
	v_min_u32_e32 v7, 32, v7
	v_lshrrev_b32_e32 v3, 19, v8
	v_subrev_u32_e32 v10, 28, v7
	v_and_b32_e32 v3, 15, v3
	v_lshlrev_b32_sdwa v10, v10, v8 dst_sel:DWORD dst_unused:UNUSED_PAD src0_sel:DWORD src1_sel:WORD_1
	v_bfe_u32 v6, v8, 19, 4
	v_sub_u32_e32 v7, 29, v7
	v_and_b32_e32 v10, 7, v10
	v_cmp_eq_u16_e32 vcc, 0, v3
	v_cndmask_b32_e32 v2, v2, v10, vcc
	v_cndmask_b32_e32 v3, v6, v7, vcc
	v_lshlrev_b32_e32 v6, 8, v8
	v_mov_b32_e32 v7, 0x3b800000
	v_lshlrev_b32_e32 v2, 20, v2
	v_and_b32_e32 v6, 0x80000000, v6
	v_lshl_add_u32 v3, v3, 23, v7
	v_or3_b32 v2, v6, v3, v2
.LBB53_980:
	s_or_b64 exec, exec, s[6:7]
	s_movk_i32 s4, 0xff
	v_and_b32_sdwa v3, v4, s4 dst_sel:DWORD dst_unused:UNUSED_PAD src0_sel:WORD_1 src1_sel:DWORD
	s_movk_i32 s4, 0x7f
	v_cmp_lt_i16_e32 vcc, s4, v3
	s_mov_b64 s[4:5], 0
                                        ; implicit-def: $sgpr10
	s_and_saveexec_b64 s[6:7], vcc
	s_xor_b64 s[6:7], exec, s[6:7]
	s_cbranch_execnz .LBB53_3029
; %bb.981:
	s_or_saveexec_b64 s[6:7], s[6:7]
	v_mov_b32_e32 v6, s10
	s_xor_b64 exec, exec, s[6:7]
	s_cbranch_execnz .LBB53_3032
.LBB53_982:
	s_or_b64 exec, exec, s[6:7]
	s_and_saveexec_b64 s[6:7], s[4:5]
	s_cbranch_execz .LBB53_984
.LBB53_983:
	v_bfe_u32 v3, v4, 16, 3
	v_ffbh_u32_e32 v10, v3
	v_min_u32_e32 v10, 32, v10
	v_lshrrev_b32_e32 v6, 19, v4
	v_subrev_u32_e32 v11, 28, v10
	v_and_b32_e32 v6, 15, v6
	v_lshlrev_b32_sdwa v11, v11, v4 dst_sel:DWORD dst_unused:UNUSED_PAD src0_sel:DWORD src1_sel:WORD_1
	v_bfe_u32 v7, v4, 19, 4
	v_sub_u32_e32 v10, 29, v10
	v_and_b32_e32 v11, 7, v11
	v_cmp_eq_u16_e32 vcc, 0, v6
	v_cndmask_b32_e32 v3, v3, v11, vcc
	v_cndmask_b32_e32 v6, v7, v10, vcc
	v_lshlrev_b32_e32 v7, 8, v4
	v_mov_b32_e32 v10, 0x3b800000
	v_lshlrev_b32_e32 v3, 20, v3
	v_and_b32_e32 v7, 0x80000000, v7
	v_lshl_add_u32 v6, v6, 23, v10
	v_or3_b32 v6, v7, v6, v3
.LBB53_984:
	s_or_b64 exec, exec, s[6:7]
	s_nop 0
	v_mfma_f32_16x16x4f32 a[0:3], v2, v6, a[0:3]
	s_movk_i32 s4, 0x7f
	v_cmp_gt_i16_sdwa s[6:7], v8, s4 src0_sel:BYTE_3 src1_sel:DWORD
	s_mov_b64 s[4:5], 0
                                        ; implicit-def: $sgpr10
	s_and_saveexec_b64 s[8:9], s[6:7]
	s_xor_b64 s[6:7], exec, s[8:9]
	s_cbranch_execnz .LBB53_3033
; %bb.985:
	s_or_saveexec_b64 s[6:7], s[6:7]
	v_mov_b32_e32 v2, s10
	s_xor_b64 exec, exec, s[6:7]
	s_cbranch_execnz .LBB53_3036
.LBB53_986:
	s_or_b64 exec, exec, s[6:7]
	s_and_saveexec_b64 s[6:7], s[4:5]
	s_cbranch_execz .LBB53_988
.LBB53_987:
	v_bfe_u32 v2, v8, 24, 3
	v_ffbh_u32_e32 v10, v2
	v_min_u32_e32 v10, 32, v10
	v_lshrrev_b32_e32 v6, 27, v8
	v_subrev_u32_e32 v11, 28, v10
	v_and_b32_e32 v3, 0x80000000, v8
	v_and_b32_e32 v6, 15, v6
	v_bfe_u32 v7, v8, 27, 4
	v_lshlrev_b32_sdwa v8, v11, v8 dst_sel:DWORD dst_unused:UNUSED_PAD src0_sel:DWORD src1_sel:BYTE_3
	v_sub_u32_e32 v10, 29, v10
	v_and_b32_e32 v8, 7, v8
	v_cmp_eq_u16_e32 vcc, 0, v6
	v_cndmask_b32_e32 v2, v2, v8, vcc
	v_cndmask_b32_e32 v6, v7, v10, vcc
	v_mov_b32_e32 v7, 0x3b800000
	v_lshlrev_b32_e32 v2, 20, v2
	v_lshl_add_u32 v6, v6, 23, v7
	v_or3_b32 v2, v3, v6, v2
.LBB53_988:
	s_or_b64 exec, exec, s[6:7]
	s_movk_i32 s4, 0x7f
	v_cmp_gt_i16_sdwa s[6:7], v4, s4 src0_sel:BYTE_3 src1_sel:DWORD
	s_mov_b64 s[4:5], 0
                                        ; implicit-def: $sgpr10
	s_and_saveexec_b64 s[8:9], s[6:7]
	s_xor_b64 s[6:7], exec, s[8:9]
	s_cbranch_execnz .LBB53_3037
; %bb.989:
	s_or_saveexec_b64 s[6:7], s[6:7]
	v_mov_b32_e32 v3, s10
	s_xor_b64 exec, exec, s[6:7]
	s_cbranch_execnz .LBB53_3040
.LBB53_990:
	s_or_b64 exec, exec, s[6:7]
	s_and_saveexec_b64 s[6:7], s[4:5]
	s_cbranch_execz .LBB53_992
.LBB53_991:
	v_bfe_u32 v3, v4, 24, 3
	v_ffbh_u32_e32 v10, v3
	v_min_u32_e32 v10, 32, v10
	v_lshrrev_b32_e32 v7, 27, v4
	v_subrev_u32_e32 v11, 28, v10
	v_and_b32_e32 v6, 0x80000000, v4
	v_and_b32_e32 v7, 15, v7
	v_bfe_u32 v8, v4, 27, 4
	v_lshlrev_b32_sdwa v4, v11, v4 dst_sel:DWORD dst_unused:UNUSED_PAD src0_sel:DWORD src1_sel:BYTE_3
	v_sub_u32_e32 v10, 29, v10
	v_and_b32_e32 v4, 7, v4
	v_cmp_eq_u16_e32 vcc, 0, v7
	v_cndmask_b32_e32 v3, v3, v4, vcc
	v_cndmask_b32_e32 v4, v8, v10, vcc
	v_mov_b32_e32 v7, 0x3b800000
	v_lshlrev_b32_e32 v3, 20, v3
	v_lshl_add_u32 v4, v4, 23, v7
	v_or3_b32 v3, v6, v4, v3
.LBB53_992:
	s_or_b64 exec, exec, s[6:7]
	s_nop 0
	v_mfma_f32_16x16x4f32 a[0:3], v2, v3, a[0:3]
	s_movk_i32 s4, 0x7f
	v_cmp_gt_i16_sdwa s[6:7], v9, s4 src0_sel:BYTE_0 src1_sel:DWORD
	s_mov_b64 s[4:5], 0
                                        ; implicit-def: $sgpr10
	s_and_saveexec_b64 s[8:9], s[6:7]
	s_xor_b64 s[6:7], exec, s[8:9]
	s_cbranch_execnz .LBB53_3041
; %bb.993:
	s_or_saveexec_b64 s[6:7], s[6:7]
	v_mov_b32_e32 v2, s10
	s_xor_b64 exec, exec, s[6:7]
	s_cbranch_execnz .LBB53_3044
.LBB53_994:
	s_or_b64 exec, exec, s[6:7]
	s_and_saveexec_b64 s[6:7], s[4:5]
	s_cbranch_execz .LBB53_996
.LBB53_995:
	v_mov_b32_e32 v2, 8
	v_and_b32_e32 v3, 7, v9
	v_lshrrev_b32_sdwa v2, v2, v9 dst_sel:BYTE_1 dst_unused:UNUSED_PAD src0_sel:DWORD src1_sel:DWORD
	v_ffbh_u32_e32 v4, v3
	v_or_b32_sdwa v2, v9, v2 dst_sel:DWORD dst_unused:UNUSED_PAD src0_sel:BYTE_0 src1_sel:DWORD
	v_min_u32_e32 v4, 32, v4
	v_lshrrev_b16_e32 v2, 3, v2
	v_subrev_u32_e32 v6, 28, v4
	v_and_b32_e32 v2, 15, v2
	v_lshlrev_b32_e32 v6, v6, v9
	v_sub_u32_e32 v4, 29, v4
	v_and_b32_e32 v6, 7, v6
	v_cmp_eq_u16_e32 vcc, 0, v2
	v_cndmask_b32_e32 v3, v3, v6, vcc
	v_cndmask_b32_e32 v2, v2, v4, vcc
	v_lshlrev_b32_e32 v4, 24, v9
	v_mov_b32_e32 v6, 0x3b800000
	v_lshlrev_b32_e32 v3, 20, v3
	v_and_b32_e32 v4, 0x80000000, v4
	v_lshl_add_u32 v2, v2, 23, v6
	v_or3_b32 v2, v4, v2, v3
.LBB53_996:
	s_or_b64 exec, exec, s[6:7]
	s_movk_i32 s4, 0x7f
	v_cmp_gt_i16_sdwa s[6:7], v5, s4 src0_sel:BYTE_0 src1_sel:DWORD
	s_mov_b64 s[4:5], 0
                                        ; implicit-def: $sgpr10
	s_and_saveexec_b64 s[8:9], s[6:7]
	s_xor_b64 s[6:7], exec, s[8:9]
	s_cbranch_execnz .LBB53_3045
; %bb.997:
	s_or_saveexec_b64 s[6:7], s[6:7]
	v_mov_b32_e32 v3, s10
	s_xor_b64 exec, exec, s[6:7]
	s_cbranch_execnz .LBB53_3048
.LBB53_998:
	s_or_b64 exec, exec, s[6:7]
	s_and_saveexec_b64 s[6:7], s[4:5]
	s_cbranch_execz .LBB53_1000
.LBB53_999:
	v_mov_b32_e32 v3, 8
	v_and_b32_e32 v4, 7, v5
	v_lshrrev_b32_sdwa v3, v3, v5 dst_sel:BYTE_1 dst_unused:UNUSED_PAD src0_sel:DWORD src1_sel:DWORD
	v_ffbh_u32_e32 v6, v4
	v_or_b32_sdwa v3, v5, v3 dst_sel:DWORD dst_unused:UNUSED_PAD src0_sel:BYTE_0 src1_sel:DWORD
	v_min_u32_e32 v6, 32, v6
	v_lshrrev_b16_e32 v3, 3, v3
	v_subrev_u32_e32 v7, 28, v6
	v_and_b32_e32 v3, 15, v3
	v_lshlrev_b32_e32 v7, v7, v5
	v_sub_u32_e32 v6, 29, v6
	v_and_b32_e32 v7, 7, v7
	v_cmp_eq_u16_e32 vcc, 0, v3
	v_cndmask_b32_e32 v4, v4, v7, vcc
	v_cndmask_b32_e32 v3, v3, v6, vcc
	v_lshlrev_b32_e32 v6, 24, v5
	v_mov_b32_e32 v7, 0x3b800000
	v_lshlrev_b32_e32 v4, 20, v4
	v_and_b32_e32 v6, 0x80000000, v6
	v_lshl_add_u32 v3, v3, 23, v7
	v_or3_b32 v3, v6, v3, v4
.LBB53_1000:
	s_or_b64 exec, exec, s[6:7]
	s_nop 0
	v_mfma_f32_16x16x4f32 a[0:3], v2, v3, a[0:3]
	v_lshrrev_b32_e32 v3, 8, v9
	s_movk_i32 s4, 0x7f
	v_cmp_gt_i16_sdwa s[6:7], v3, s4 src0_sel:BYTE_0 src1_sel:DWORD
	s_mov_b64 s[4:5], 0
                                        ; implicit-def: $sgpr10
	s_and_saveexec_b64 s[8:9], s[6:7]
	s_xor_b64 s[6:7], exec, s[8:9]
	s_cbranch_execnz .LBB53_3049
; %bb.1001:
	s_or_saveexec_b64 s[6:7], s[6:7]
	v_mov_b32_e32 v2, s10
	s_xor_b64 exec, exec, s[6:7]
	s_cbranch_execnz .LBB53_3052
.LBB53_1002:
	s_or_b64 exec, exec, s[6:7]
	s_and_saveexec_b64 s[6:7], s[4:5]
	s_cbranch_execz .LBB53_1004
.LBB53_1003:
	v_bfe_u32 v2, v9, 8, 3
	v_ffbh_u32_e32 v6, v2
	v_min_u32_e32 v6, 32, v6
	v_lshrrev_b16_e32 v4, 3, v3
	v_subrev_u32_e32 v7, 28, v6
	v_and_b32_e32 v4, 15, v4
	v_lshlrev_b32_e32 v3, v7, v3
	v_sub_u32_e32 v6, 29, v6
	v_and_b32_e32 v3, 7, v3
	v_cmp_eq_u16_e32 vcc, 0, v4
	v_cndmask_b32_e32 v2, v2, v3, vcc
	v_cndmask_b32_e32 v3, v4, v6, vcc
	v_lshlrev_b32_e32 v4, 16, v9
	v_mov_b32_e32 v6, 0x3b800000
	v_lshlrev_b32_e32 v2, 20, v2
	v_and_b32_e32 v4, 0x80000000, v4
	v_lshl_add_u32 v3, v3, 23, v6
	v_or3_b32 v2, v4, v3, v2
.LBB53_1004:
	s_or_b64 exec, exec, s[6:7]
	v_lshrrev_b32_e32 v3, 8, v5
	s_movk_i32 s4, 0x7f
	v_cmp_gt_i16_sdwa s[6:7], v3, s4 src0_sel:BYTE_0 src1_sel:DWORD
	s_mov_b64 s[4:5], 0
                                        ; implicit-def: $sgpr10
	s_and_saveexec_b64 s[8:9], s[6:7]
	s_xor_b64 s[6:7], exec, s[8:9]
	s_cbranch_execnz .LBB53_3053
; %bb.1005:
	s_or_saveexec_b64 s[6:7], s[6:7]
	v_mov_b32_e32 v4, s10
	s_xor_b64 exec, exec, s[6:7]
	s_cbranch_execnz .LBB53_3056
.LBB53_1006:
	s_or_b64 exec, exec, s[6:7]
	s_and_saveexec_b64 s[6:7], s[4:5]
	s_cbranch_execz .LBB53_1008
.LBB53_1007:
	v_bfe_u32 v4, v5, 8, 3
	v_ffbh_u32_e32 v7, v4
	v_min_u32_e32 v7, 32, v7
	v_lshrrev_b16_e32 v6, 3, v3
	v_subrev_u32_e32 v8, 28, v7
	v_and_b32_e32 v6, 15, v6
	v_lshlrev_b32_e32 v3, v8, v3
	v_sub_u32_e32 v7, 29, v7
	v_and_b32_e32 v3, 7, v3
	v_cmp_eq_u16_e32 vcc, 0, v6
	v_cndmask_b32_e32 v3, v4, v3, vcc
	v_cndmask_b32_e32 v4, v6, v7, vcc
	v_lshlrev_b32_e32 v6, 16, v5
	v_mov_b32_e32 v7, 0x3b800000
	v_lshlrev_b32_e32 v3, 20, v3
	v_and_b32_e32 v6, 0x80000000, v6
	v_lshl_add_u32 v4, v4, 23, v7
	v_or3_b32 v4, v6, v4, v3
.LBB53_1008:
	s_or_b64 exec, exec, s[6:7]
	s_nop 0
	v_mfma_f32_16x16x4f32 a[0:3], v2, v4, a[0:3]
	s_movk_i32 s4, 0xff
	v_and_b32_sdwa v3, v9, s4 dst_sel:DWORD dst_unused:UNUSED_PAD src0_sel:WORD_1 src1_sel:DWORD
	s_movk_i32 s4, 0x7f
	v_cmp_lt_i16_e32 vcc, s4, v3
	s_mov_b64 s[4:5], 0
                                        ; implicit-def: $sgpr10
	s_and_saveexec_b64 s[6:7], vcc
	s_xor_b64 s[6:7], exec, s[6:7]
	s_cbranch_execnz .LBB53_3057
; %bb.1009:
	s_or_saveexec_b64 s[6:7], s[6:7]
	v_mov_b32_e32 v2, s10
	s_xor_b64 exec, exec, s[6:7]
	s_cbranch_execnz .LBB53_3060
.LBB53_1010:
	s_or_b64 exec, exec, s[6:7]
	s_and_saveexec_b64 s[6:7], s[4:5]
	s_cbranch_execz .LBB53_1012
.LBB53_1011:
	v_bfe_u32 v2, v9, 16, 3
	v_ffbh_u32_e32 v6, v2
	v_min_u32_e32 v6, 32, v6
	v_lshrrev_b32_e32 v3, 19, v9
	v_subrev_u32_e32 v7, 28, v6
	v_and_b32_e32 v3, 15, v3
	v_lshlrev_b32_sdwa v7, v7, v9 dst_sel:DWORD dst_unused:UNUSED_PAD src0_sel:DWORD src1_sel:WORD_1
	v_bfe_u32 v4, v9, 19, 4
	v_sub_u32_e32 v6, 29, v6
	v_and_b32_e32 v7, 7, v7
	v_cmp_eq_u16_e32 vcc, 0, v3
	v_cndmask_b32_e32 v2, v2, v7, vcc
	v_cndmask_b32_e32 v3, v4, v6, vcc
	v_lshlrev_b32_e32 v4, 8, v9
	v_mov_b32_e32 v6, 0x3b800000
	v_lshlrev_b32_e32 v2, 20, v2
	v_and_b32_e32 v4, 0x80000000, v4
	v_lshl_add_u32 v3, v3, 23, v6
	v_or3_b32 v2, v4, v3, v2
.LBB53_1012:
	s_or_b64 exec, exec, s[6:7]
	s_movk_i32 s4, 0xff
	v_and_b32_sdwa v3, v5, s4 dst_sel:DWORD dst_unused:UNUSED_PAD src0_sel:WORD_1 src1_sel:DWORD
	s_movk_i32 s4, 0x7f
	v_cmp_lt_i16_e32 vcc, s4, v3
	s_mov_b64 s[4:5], 0
                                        ; implicit-def: $sgpr10
	s_and_saveexec_b64 s[6:7], vcc
	s_xor_b64 s[6:7], exec, s[6:7]
	s_cbranch_execnz .LBB53_3061
; %bb.1013:
	s_or_saveexec_b64 s[6:7], s[6:7]
	v_mov_b32_e32 v4, s10
	s_xor_b64 exec, exec, s[6:7]
	s_cbranch_execnz .LBB53_3064
.LBB53_1014:
	s_or_b64 exec, exec, s[6:7]
	s_and_saveexec_b64 s[6:7], s[4:5]
	s_cbranch_execz .LBB53_1016
.LBB53_1015:
	v_bfe_u32 v3, v5, 16, 3
	v_ffbh_u32_e32 v7, v3
	v_min_u32_e32 v7, 32, v7
	v_lshrrev_b32_e32 v4, 19, v5
	v_subrev_u32_e32 v8, 28, v7
	v_and_b32_e32 v4, 15, v4
	v_lshlrev_b32_sdwa v8, v8, v5 dst_sel:DWORD dst_unused:UNUSED_PAD src0_sel:DWORD src1_sel:WORD_1
	v_bfe_u32 v6, v5, 19, 4
	v_sub_u32_e32 v7, 29, v7
	v_and_b32_e32 v8, 7, v8
	v_cmp_eq_u16_e32 vcc, 0, v4
	v_cndmask_b32_e32 v3, v3, v8, vcc
	v_cndmask_b32_e32 v4, v6, v7, vcc
	v_lshlrev_b32_e32 v6, 8, v5
	v_mov_b32_e32 v7, 0x3b800000
	v_lshlrev_b32_e32 v3, 20, v3
	v_and_b32_e32 v6, 0x80000000, v6
	v_lshl_add_u32 v4, v4, 23, v7
	v_or3_b32 v4, v6, v4, v3
.LBB53_1016:
	s_or_b64 exec, exec, s[6:7]
	s_nop 0
	v_mfma_f32_16x16x4f32 a[0:3], v2, v4, a[0:3]
	s_movk_i32 s4, 0x7f
	v_cmp_gt_i16_sdwa s[6:7], v9, s4 src0_sel:BYTE_3 src1_sel:DWORD
	s_mov_b64 s[4:5], 0
                                        ; implicit-def: $sgpr10
	s_and_saveexec_b64 s[8:9], s[6:7]
	s_xor_b64 s[6:7], exec, s[8:9]
	s_cbranch_execnz .LBB53_3065
; %bb.1017:
	s_or_saveexec_b64 s[6:7], s[6:7]
	v_mov_b32_e32 v2, s10
	s_xor_b64 exec, exec, s[6:7]
	s_cbranch_execnz .LBB53_3068
.LBB53_1018:
	s_or_b64 exec, exec, s[6:7]
	s_and_saveexec_b64 s[6:7], s[4:5]
	s_cbranch_execz .LBB53_1020
.LBB53_1019:
	v_bfe_u32 v2, v9, 24, 3
	v_ffbh_u32_e32 v7, v2
	v_min_u32_e32 v7, 32, v7
	v_lshrrev_b32_e32 v4, 27, v9
	v_subrev_u32_e32 v8, 28, v7
	v_and_b32_e32 v4, 15, v4
	v_lshlrev_b32_sdwa v8, v8, v9 dst_sel:DWORD dst_unused:UNUSED_PAD src0_sel:DWORD src1_sel:BYTE_3
	v_bfe_u32 v6, v9, 27, 4
	v_sub_u32_e32 v7, 29, v7
	v_and_b32_e32 v8, 7, v8
	v_cmp_eq_u16_e32 vcc, 0, v4
	v_cndmask_b32_e32 v2, v2, v8, vcc
	v_cndmask_b32_e32 v4, v6, v7, vcc
	v_mov_b32_e32 v6, 0x3b800000
	v_and_b32_e32 v3, 0x80000000, v9
	v_lshlrev_b32_e32 v2, 20, v2
	v_lshl_add_u32 v4, v4, 23, v6
	v_or3_b32 v2, v3, v4, v2
.LBB53_1020:
	s_or_b64 exec, exec, s[6:7]
	s_movk_i32 s4, 0x7f
	v_cmp_gt_i16_sdwa s[6:7], v5, s4 src0_sel:BYTE_3 src1_sel:DWORD
	s_mov_b64 s[4:5], 0
                                        ; implicit-def: $sgpr10
	s_and_saveexec_b64 s[8:9], s[6:7]
	s_xor_b64 s[6:7], exec, s[8:9]
	s_cbranch_execnz .LBB53_3069
; %bb.1021:
	s_or_saveexec_b64 s[6:7], s[6:7]
	v_mov_b32_e32 v3, s10
	s_xor_b64 exec, exec, s[6:7]
	s_cbranch_execnz .LBB53_3072
.LBB53_1022:
	s_or_b64 exec, exec, s[6:7]
	s_and_saveexec_b64 s[6:7], s[4:5]
	s_cbranch_execz .LBB53_1024
.LBB53_1023:
	v_bfe_u32 v3, v5, 24, 3
	v_ffbh_u32_e32 v8, v3
	v_min_u32_e32 v8, 32, v8
	v_lshrrev_b32_e32 v6, 27, v5
	v_subrev_u32_e32 v9, 28, v8
	v_and_b32_e32 v4, 0x80000000, v5
	v_and_b32_e32 v6, 15, v6
	v_bfe_u32 v7, v5, 27, 4
	v_lshlrev_b32_sdwa v5, v9, v5 dst_sel:DWORD dst_unused:UNUSED_PAD src0_sel:DWORD src1_sel:BYTE_3
	v_sub_u32_e32 v8, 29, v8
	v_and_b32_e32 v5, 7, v5
	v_cmp_eq_u16_e32 vcc, 0, v6
	v_cndmask_b32_e32 v3, v3, v5, vcc
	v_cndmask_b32_e32 v5, v7, v8, vcc
	v_mov_b32_e32 v6, 0x3b800000
	v_lshlrev_b32_e32 v3, 20, v3
	v_lshl_add_u32 v5, v5, 23, v6
	v_or3_b32 v3, v4, v5, v3
.LBB53_1024:
	s_or_b64 exec, exec, s[6:7]
	s_nop 0
	v_mfma_f32_16x16x4f32 a[0:3], v2, v3, a[0:3]
	s_movk_i32 s4, 0x7f
                                        ; implicit-def: $sgpr10
	s_nop 7
	s_nop 1
	flat_store_dwordx4 v[18:19], a[0:3] offset:176
	flat_load_dwordx4 v[20:23], v[0:1] offset:8
	s_nop 0
	flat_load_dwordx2 v[18:19], v[0:1] offset:24
	s_waitcnt vmcnt(0) lgkmcnt(0)
	flat_load_dwordx4 v[14:17], v[20:21] offset:32
	flat_load_dwordx4 v[6:9], v[20:21] offset:48
	;; [unrolled: 1-line block ×4, first 2 shown]
	s_waitcnt vmcnt(0) lgkmcnt(0)
	v_cmp_gt_i16_sdwa s[6:7], v14, s4 src0_sel:BYTE_0 src1_sel:DWORD
	s_mov_b64 s[4:5], 0
	s_and_saveexec_b64 s[8:9], s[6:7]
	s_xor_b64 s[6:7], exec, s[8:9]
	s_cbranch_execnz .LBB53_3073
; %bb.1025:
	s_or_saveexec_b64 s[6:7], s[6:7]
	v_mov_b32_e32 v20, s10
	s_xor_b64 exec, exec, s[6:7]
	s_cbranch_execnz .LBB53_3076
.LBB53_1026:
	s_or_b64 exec, exec, s[6:7]
	s_and_saveexec_b64 s[6:7], s[4:5]
	s_cbranch_execz .LBB53_1028
.LBB53_1027:
	v_and_b32_e32 v20, 7, v14
	v_ffbh_u32_e32 v22, v20
	v_min_u32_e32 v22, 32, v22
	v_lshrrev_b16_e32 v21, 3, v14
	v_subrev_u32_e32 v23, 28, v22
	v_and_b32_e32 v21, 15, v21
	v_lshlrev_b32_e32 v23, v23, v14
	v_sub_u32_e32 v22, 29, v22
	v_and_b32_e32 v23, 7, v23
	v_cmp_eq_u16_e32 vcc, 0, v21
	v_cndmask_b32_e32 v20, v20, v23, vcc
	v_cndmask_b32_e32 v21, v21, v22, vcc
	v_lshlrev_b32_e32 v22, 24, v14
	v_mov_b32_e32 v23, 0x3b800000
	v_lshlrev_b32_e32 v20, 20, v20
	v_and_b32_e32 v22, 0x80000000, v22
	v_lshl_add_u32 v21, v21, 23, v23
	v_or3_b32 v20, v22, v21, v20
.LBB53_1028:
	s_or_b64 exec, exec, s[6:7]
	s_movk_i32 s4, 0x7f
	v_cmp_gt_i16_sdwa s[6:7], v10, s4 src0_sel:BYTE_0 src1_sel:DWORD
	s_mov_b64 s[4:5], 0
                                        ; implicit-def: $sgpr10
	s_and_saveexec_b64 s[8:9], s[6:7]
	s_xor_b64 s[6:7], exec, s[8:9]
	s_cbranch_execnz .LBB53_3077
; %bb.1029:
	s_or_saveexec_b64 s[6:7], s[6:7]
	v_mov_b32_e32 v21, s10
	s_xor_b64 exec, exec, s[6:7]
	s_cbranch_execnz .LBB53_3080
.LBB53_1030:
	s_or_b64 exec, exec, s[6:7]
	s_and_saveexec_b64 s[6:7], s[4:5]
	s_cbranch_execz .LBB53_1032
.LBB53_1031:
	v_and_b32_e32 v21, 7, v10
	v_ffbh_u32_e32 v23, v21
	v_min_u32_e32 v23, 32, v23
	v_lshrrev_b16_e32 v22, 3, v10
	v_subrev_u32_e32 v24, 28, v23
	v_and_b32_e32 v22, 15, v22
	v_lshlrev_b32_e32 v24, v24, v10
	v_sub_u32_e32 v23, 29, v23
	v_and_b32_e32 v24, 7, v24
	v_cmp_eq_u16_e32 vcc, 0, v22
	v_cndmask_b32_e32 v21, v21, v24, vcc
	v_cndmask_b32_e32 v22, v22, v23, vcc
	v_lshlrev_b32_e32 v23, 24, v10
	v_mov_b32_e32 v24, 0x3b800000
	v_lshlrev_b32_e32 v21, 20, v21
	v_and_b32_e32 v23, 0x80000000, v23
	v_lshl_add_u32 v22, v22, 23, v24
	v_or3_b32 v21, v23, v22, v21
.LBB53_1032:
	s_or_b64 exec, exec, s[6:7]
	flat_load_dwordx4 a[0:3], v[18:19] offset:192
	s_movk_i32 s4, 0x7f
                                        ; implicit-def: $sgpr10
	s_waitcnt vmcnt(0) lgkmcnt(0)
	v_mfma_f32_16x16x4f32 a[0:3], v20, v21, a[0:3]
	v_lshrrev_b32_e32 v21, 8, v14
	v_cmp_gt_i16_sdwa s[6:7], v21, s4 src0_sel:BYTE_0 src1_sel:DWORD
	s_mov_b64 s[4:5], 0
	s_and_saveexec_b64 s[8:9], s[6:7]
	s_xor_b64 s[6:7], exec, s[8:9]
	s_cbranch_execnz .LBB53_3081
; %bb.1033:
	s_or_saveexec_b64 s[6:7], s[6:7]
	v_mov_b32_e32 v20, s10
	s_xor_b64 exec, exec, s[6:7]
	s_cbranch_execnz .LBB53_3084
.LBB53_1034:
	s_or_b64 exec, exec, s[6:7]
	s_and_saveexec_b64 s[6:7], s[4:5]
	s_cbranch_execz .LBB53_1036
.LBB53_1035:
	v_bfe_u32 v20, v14, 8, 3
	v_ffbh_u32_e32 v23, v20
	v_min_u32_e32 v23, 32, v23
	v_lshrrev_b16_e32 v22, 3, v21
	v_subrev_u32_e32 v24, 28, v23
	v_and_b32_e32 v22, 15, v22
	v_lshlrev_b32_e32 v21, v24, v21
	v_sub_u32_e32 v23, 29, v23
	v_and_b32_e32 v21, 7, v21
	v_cmp_eq_u16_e32 vcc, 0, v22
	v_cndmask_b32_e32 v20, v20, v21, vcc
	v_cndmask_b32_e32 v21, v22, v23, vcc
	v_lshlrev_b32_e32 v22, 16, v14
	v_mov_b32_e32 v23, 0x3b800000
	v_lshlrev_b32_e32 v20, 20, v20
	v_and_b32_e32 v22, 0x80000000, v22
	v_lshl_add_u32 v21, v21, 23, v23
	v_or3_b32 v20, v22, v21, v20
.LBB53_1036:
	s_or_b64 exec, exec, s[6:7]
	v_lshrrev_b32_e32 v21, 8, v10
	s_movk_i32 s4, 0x7f
	v_cmp_gt_i16_sdwa s[6:7], v21, s4 src0_sel:BYTE_0 src1_sel:DWORD
	s_mov_b64 s[4:5], 0
                                        ; implicit-def: $sgpr10
	s_and_saveexec_b64 s[8:9], s[6:7]
	s_xor_b64 s[6:7], exec, s[8:9]
	s_cbranch_execnz .LBB53_3085
; %bb.1037:
	s_or_saveexec_b64 s[6:7], s[6:7]
	v_mov_b32_e32 v22, s10
	s_xor_b64 exec, exec, s[6:7]
	s_cbranch_execnz .LBB53_3088
.LBB53_1038:
	s_or_b64 exec, exec, s[6:7]
	s_and_saveexec_b64 s[6:7], s[4:5]
	s_cbranch_execz .LBB53_1040
.LBB53_1039:
	v_bfe_u32 v22, v10, 8, 3
	v_ffbh_u32_e32 v24, v22
	v_min_u32_e32 v24, 32, v24
	v_lshrrev_b16_e32 v23, 3, v21
	v_subrev_u32_e32 v25, 28, v24
	v_and_b32_e32 v23, 15, v23
	v_lshlrev_b32_e32 v21, v25, v21
	v_sub_u32_e32 v24, 29, v24
	v_and_b32_e32 v21, 7, v21
	v_cmp_eq_u16_e32 vcc, 0, v23
	v_cndmask_b32_e32 v21, v22, v21, vcc
	v_cndmask_b32_e32 v22, v23, v24, vcc
	v_lshlrev_b32_e32 v23, 16, v10
	v_mov_b32_e32 v24, 0x3b800000
	v_lshlrev_b32_e32 v21, 20, v21
	v_and_b32_e32 v23, 0x80000000, v23
	v_lshl_add_u32 v22, v22, 23, v24
	v_or3_b32 v22, v23, v22, v21
.LBB53_1040:
	s_or_b64 exec, exec, s[6:7]
	s_nop 0
	v_mfma_f32_16x16x4f32 a[0:3], v20, v22, a[0:3]
	s_movk_i32 s4, 0xff
	v_and_b32_sdwa v21, v14, s4 dst_sel:DWORD dst_unused:UNUSED_PAD src0_sel:WORD_1 src1_sel:DWORD
	s_movk_i32 s4, 0x7f
	v_cmp_lt_i16_e32 vcc, s4, v21
	s_mov_b64 s[4:5], 0
                                        ; implicit-def: $sgpr10
	s_and_saveexec_b64 s[6:7], vcc
	s_xor_b64 s[6:7], exec, s[6:7]
	s_cbranch_execnz .LBB53_3089
; %bb.1041:
	s_or_saveexec_b64 s[6:7], s[6:7]
	v_mov_b32_e32 v20, s10
	s_xor_b64 exec, exec, s[6:7]
	s_cbranch_execnz .LBB53_3092
.LBB53_1042:
	s_or_b64 exec, exec, s[6:7]
	s_and_saveexec_b64 s[6:7], s[4:5]
	s_cbranch_execz .LBB53_1044
.LBB53_1043:
	v_bfe_u32 v20, v14, 16, 3
	v_ffbh_u32_e32 v23, v20
	v_min_u32_e32 v23, 32, v23
	v_lshrrev_b32_e32 v21, 19, v14
	v_subrev_u32_e32 v24, 28, v23
	v_and_b32_e32 v21, 15, v21
	v_lshlrev_b32_sdwa v24, v24, v14 dst_sel:DWORD dst_unused:UNUSED_PAD src0_sel:DWORD src1_sel:WORD_1
	v_bfe_u32 v22, v14, 19, 4
	v_sub_u32_e32 v23, 29, v23
	v_and_b32_e32 v24, 7, v24
	v_cmp_eq_u16_e32 vcc, 0, v21
	v_cndmask_b32_e32 v20, v20, v24, vcc
	v_cndmask_b32_e32 v21, v22, v23, vcc
	v_lshlrev_b32_e32 v22, 8, v14
	v_mov_b32_e32 v23, 0x3b800000
	v_lshlrev_b32_e32 v20, 20, v20
	v_and_b32_e32 v22, 0x80000000, v22
	v_lshl_add_u32 v21, v21, 23, v23
	v_or3_b32 v20, v22, v21, v20
.LBB53_1044:
	s_or_b64 exec, exec, s[6:7]
	s_movk_i32 s4, 0xff
	v_and_b32_sdwa v21, v10, s4 dst_sel:DWORD dst_unused:UNUSED_PAD src0_sel:WORD_1 src1_sel:DWORD
	s_movk_i32 s4, 0x7f
	v_cmp_lt_i16_e32 vcc, s4, v21
	s_mov_b64 s[4:5], 0
                                        ; implicit-def: $sgpr10
	s_and_saveexec_b64 s[6:7], vcc
	s_xor_b64 s[6:7], exec, s[6:7]
	s_cbranch_execnz .LBB53_3093
; %bb.1045:
	s_or_saveexec_b64 s[6:7], s[6:7]
	v_mov_b32_e32 v22, s10
	s_xor_b64 exec, exec, s[6:7]
	s_cbranch_execnz .LBB53_3096
.LBB53_1046:
	s_or_b64 exec, exec, s[6:7]
	s_and_saveexec_b64 s[6:7], s[4:5]
	s_cbranch_execz .LBB53_1048
.LBB53_1047:
	v_bfe_u32 v21, v10, 16, 3
	v_ffbh_u32_e32 v24, v21
	v_min_u32_e32 v24, 32, v24
	v_lshrrev_b32_e32 v22, 19, v10
	v_subrev_u32_e32 v25, 28, v24
	v_and_b32_e32 v22, 15, v22
	v_lshlrev_b32_sdwa v25, v25, v10 dst_sel:DWORD dst_unused:UNUSED_PAD src0_sel:DWORD src1_sel:WORD_1
	v_bfe_u32 v23, v10, 19, 4
	v_sub_u32_e32 v24, 29, v24
	v_and_b32_e32 v25, 7, v25
	v_cmp_eq_u16_e32 vcc, 0, v22
	v_cndmask_b32_e32 v21, v21, v25, vcc
	v_cndmask_b32_e32 v22, v23, v24, vcc
	v_lshlrev_b32_e32 v23, 8, v10
	v_mov_b32_e32 v24, 0x3b800000
	v_lshlrev_b32_e32 v21, 20, v21
	v_and_b32_e32 v23, 0x80000000, v23
	v_lshl_add_u32 v22, v22, 23, v24
	v_or3_b32 v22, v23, v22, v21
.LBB53_1048:
	s_or_b64 exec, exec, s[6:7]
	s_nop 0
	v_mfma_f32_16x16x4f32 a[0:3], v20, v22, a[0:3]
	s_movk_i32 s4, 0x7f
	v_cmp_gt_i16_sdwa s[6:7], v14, s4 src0_sel:BYTE_3 src1_sel:DWORD
	s_mov_b64 s[4:5], 0
                                        ; implicit-def: $sgpr10
	s_and_saveexec_b64 s[8:9], s[6:7]
	s_xor_b64 s[6:7], exec, s[8:9]
	s_cbranch_execnz .LBB53_3097
; %bb.1049:
	s_or_saveexec_b64 s[6:7], s[6:7]
	v_mov_b32_e32 v20, s10
	s_xor_b64 exec, exec, s[6:7]
	s_cbranch_execnz .LBB53_3100
.LBB53_1050:
	s_or_b64 exec, exec, s[6:7]
	s_and_saveexec_b64 s[6:7], s[4:5]
	s_cbranch_execz .LBB53_1052
.LBB53_1051:
	v_bfe_u32 v20, v14, 24, 3
	v_ffbh_u32_e32 v24, v20
	v_min_u32_e32 v24, 32, v24
	v_lshrrev_b32_e32 v22, 27, v14
	v_subrev_u32_e32 v25, 28, v24
	v_and_b32_e32 v21, 0x80000000, v14
	v_and_b32_e32 v22, 15, v22
	v_bfe_u32 v23, v14, 27, 4
	v_lshlrev_b32_sdwa v14, v25, v14 dst_sel:DWORD dst_unused:UNUSED_PAD src0_sel:DWORD src1_sel:BYTE_3
	v_sub_u32_e32 v24, 29, v24
	v_and_b32_e32 v14, 7, v14
	v_cmp_eq_u16_e32 vcc, 0, v22
	v_cndmask_b32_e32 v14, v20, v14, vcc
	v_cndmask_b32_e32 v20, v23, v24, vcc
	v_mov_b32_e32 v22, 0x3b800000
	v_lshlrev_b32_e32 v14, 20, v14
	v_lshl_add_u32 v20, v20, 23, v22
	v_or3_b32 v20, v21, v20, v14
.LBB53_1052:
	s_or_b64 exec, exec, s[6:7]
	s_movk_i32 s4, 0x7f
	v_cmp_gt_i16_sdwa s[6:7], v10, s4 src0_sel:BYTE_3 src1_sel:DWORD
	s_mov_b64 s[4:5], 0
                                        ; implicit-def: $sgpr10
	s_and_saveexec_b64 s[8:9], s[6:7]
	s_xor_b64 s[6:7], exec, s[8:9]
	s_cbranch_execnz .LBB53_3101
; %bb.1053:
	s_or_saveexec_b64 s[6:7], s[6:7]
	v_mov_b32_e32 v14, s10
	s_xor_b64 exec, exec, s[6:7]
	s_cbranch_execnz .LBB53_3104
.LBB53_1054:
	s_or_b64 exec, exec, s[6:7]
	s_and_saveexec_b64 s[6:7], s[4:5]
	s_cbranch_execz .LBB53_1056
.LBB53_1055:
	v_bfe_u32 v14, v10, 24, 3
	v_ffbh_u32_e32 v24, v14
	v_min_u32_e32 v24, 32, v24
	v_lshrrev_b32_e32 v22, 27, v10
	v_subrev_u32_e32 v25, 28, v24
	v_and_b32_e32 v21, 0x80000000, v10
	v_and_b32_e32 v22, 15, v22
	v_bfe_u32 v23, v10, 27, 4
	v_lshlrev_b32_sdwa v10, v25, v10 dst_sel:DWORD dst_unused:UNUSED_PAD src0_sel:DWORD src1_sel:BYTE_3
	v_sub_u32_e32 v24, 29, v24
	v_and_b32_e32 v10, 7, v10
	v_cmp_eq_u16_e32 vcc, 0, v22
	v_cndmask_b32_e32 v10, v14, v10, vcc
	v_cndmask_b32_e32 v14, v23, v24, vcc
	v_mov_b32_e32 v22, 0x3b800000
	v_lshlrev_b32_e32 v10, 20, v10
	v_lshl_add_u32 v14, v14, 23, v22
	v_or3_b32 v14, v21, v14, v10
.LBB53_1056:
	s_or_b64 exec, exec, s[6:7]
	s_nop 0
	v_mfma_f32_16x16x4f32 a[0:3], v20, v14, a[0:3]
	s_movk_i32 s4, 0x7f
	v_cmp_gt_i16_sdwa s[6:7], v15, s4 src0_sel:BYTE_0 src1_sel:DWORD
	s_mov_b64 s[4:5], 0
                                        ; implicit-def: $sgpr10
	s_and_saveexec_b64 s[8:9], s[6:7]
	s_xor_b64 s[6:7], exec, s[8:9]
	s_cbranch_execnz .LBB53_3105
; %bb.1057:
	s_or_saveexec_b64 s[6:7], s[6:7]
	v_mov_b32_e32 v10, s10
	s_xor_b64 exec, exec, s[6:7]
	s_cbranch_execnz .LBB53_3108
.LBB53_1058:
	s_or_b64 exec, exec, s[6:7]
	s_and_saveexec_b64 s[6:7], s[4:5]
	s_cbranch_execz .LBB53_1060
.LBB53_1059:
	v_and_b32_e32 v10, 7, v15
	v_ffbh_u32_e32 v20, v10
	v_min_u32_e32 v20, 32, v20
	v_lshrrev_b16_e32 v14, 3, v15
	v_subrev_u32_e32 v21, 28, v20
	v_and_b32_e32 v14, 15, v14
	v_lshlrev_b32_e32 v21, v21, v15
	v_sub_u32_e32 v20, 29, v20
	v_and_b32_e32 v21, 7, v21
	v_cmp_eq_u16_e32 vcc, 0, v14
	v_cndmask_b32_e32 v10, v10, v21, vcc
	v_cndmask_b32_e32 v14, v14, v20, vcc
	v_lshlrev_b32_e32 v20, 24, v15
	v_mov_b32_e32 v21, 0x3b800000
	v_lshlrev_b32_e32 v10, 20, v10
	v_and_b32_e32 v20, 0x80000000, v20
	v_lshl_add_u32 v14, v14, 23, v21
	v_or3_b32 v10, v20, v14, v10
.LBB53_1060:
	s_or_b64 exec, exec, s[6:7]
	s_movk_i32 s4, 0x7f
	v_cmp_gt_i16_sdwa s[6:7], v11, s4 src0_sel:BYTE_0 src1_sel:DWORD
	s_mov_b64 s[4:5], 0
                                        ; implicit-def: $sgpr10
	s_and_saveexec_b64 s[8:9], s[6:7]
	s_xor_b64 s[6:7], exec, s[8:9]
	s_cbranch_execnz .LBB53_3109
; %bb.1061:
	s_or_saveexec_b64 s[6:7], s[6:7]
	v_mov_b32_e32 v14, s10
	s_xor_b64 exec, exec, s[6:7]
	s_cbranch_execnz .LBB53_3112
.LBB53_1062:
	s_or_b64 exec, exec, s[6:7]
	s_and_saveexec_b64 s[6:7], s[4:5]
	s_cbranch_execz .LBB53_1064
.LBB53_1063:
	v_and_b32_e32 v14, 7, v11
	v_ffbh_u32_e32 v21, v14
	v_min_u32_e32 v21, 32, v21
	v_lshrrev_b16_e32 v20, 3, v11
	v_subrev_u32_e32 v22, 28, v21
	v_and_b32_e32 v20, 15, v20
	v_lshlrev_b32_e32 v22, v22, v11
	v_sub_u32_e32 v21, 29, v21
	v_and_b32_e32 v22, 7, v22
	v_cmp_eq_u16_e32 vcc, 0, v20
	v_cndmask_b32_e32 v14, v14, v22, vcc
	v_cndmask_b32_e32 v20, v20, v21, vcc
	v_lshlrev_b32_e32 v21, 24, v11
	v_mov_b32_e32 v22, 0x3b800000
	v_lshlrev_b32_e32 v14, 20, v14
	v_and_b32_e32 v21, 0x80000000, v21
	v_lshl_add_u32 v20, v20, 23, v22
	v_or3_b32 v14, v21, v20, v14
.LBB53_1064:
	s_or_b64 exec, exec, s[6:7]
	s_nop 0
	v_mfma_f32_16x16x4f32 a[0:3], v10, v14, a[0:3]
	v_lshrrev_b32_e32 v14, 8, v15
	s_movk_i32 s4, 0x7f
	v_cmp_gt_i16_sdwa s[6:7], v14, s4 src0_sel:BYTE_0 src1_sel:DWORD
	s_mov_b64 s[4:5], 0
                                        ; implicit-def: $sgpr10
	s_and_saveexec_b64 s[8:9], s[6:7]
	s_xor_b64 s[6:7], exec, s[8:9]
	s_cbranch_execnz .LBB53_3113
; %bb.1065:
	s_or_saveexec_b64 s[6:7], s[6:7]
	v_mov_b32_e32 v10, s10
	s_xor_b64 exec, exec, s[6:7]
	s_cbranch_execnz .LBB53_3116
.LBB53_1066:
	s_or_b64 exec, exec, s[6:7]
	s_and_saveexec_b64 s[6:7], s[4:5]
	s_cbranch_execz .LBB53_1068
.LBB53_1067:
	v_bfe_u32 v10, v15, 8, 3
	v_ffbh_u32_e32 v21, v10
	v_min_u32_e32 v21, 32, v21
	v_lshrrev_b16_e32 v20, 3, v14
	v_subrev_u32_e32 v22, 28, v21
	v_and_b32_e32 v20, 15, v20
	v_lshlrev_b32_e32 v14, v22, v14
	v_sub_u32_e32 v21, 29, v21
	v_and_b32_e32 v14, 7, v14
	v_cmp_eq_u16_e32 vcc, 0, v20
	v_cndmask_b32_e32 v10, v10, v14, vcc
	v_cndmask_b32_e32 v14, v20, v21, vcc
	v_lshlrev_b32_e32 v20, 16, v15
	v_mov_b32_e32 v21, 0x3b800000
	v_lshlrev_b32_e32 v10, 20, v10
	v_and_b32_e32 v20, 0x80000000, v20
	v_lshl_add_u32 v14, v14, 23, v21
	v_or3_b32 v10, v20, v14, v10
.LBB53_1068:
	s_or_b64 exec, exec, s[6:7]
	v_lshrrev_b32_e32 v14, 8, v11
	s_movk_i32 s4, 0x7f
	v_cmp_gt_i16_sdwa s[6:7], v14, s4 src0_sel:BYTE_0 src1_sel:DWORD
	s_mov_b64 s[4:5], 0
                                        ; implicit-def: $sgpr10
	s_and_saveexec_b64 s[8:9], s[6:7]
	s_xor_b64 s[6:7], exec, s[8:9]
	s_cbranch_execnz .LBB53_3117
; %bb.1069:
	s_or_saveexec_b64 s[6:7], s[6:7]
	v_mov_b32_e32 v20, s10
	s_xor_b64 exec, exec, s[6:7]
	s_cbranch_execnz .LBB53_3120
.LBB53_1070:
	s_or_b64 exec, exec, s[6:7]
	s_and_saveexec_b64 s[6:7], s[4:5]
	s_cbranch_execz .LBB53_1072
.LBB53_1071:
	v_bfe_u32 v20, v11, 8, 3
	v_ffbh_u32_e32 v22, v20
	v_min_u32_e32 v22, 32, v22
	v_lshrrev_b16_e32 v21, 3, v14
	v_subrev_u32_e32 v23, 28, v22
	v_and_b32_e32 v21, 15, v21
	v_lshlrev_b32_e32 v14, v23, v14
	v_sub_u32_e32 v22, 29, v22
	v_and_b32_e32 v14, 7, v14
	v_cmp_eq_u16_e32 vcc, 0, v21
	v_cndmask_b32_e32 v14, v20, v14, vcc
	v_cndmask_b32_e32 v20, v21, v22, vcc
	v_lshlrev_b32_e32 v21, 16, v11
	v_mov_b32_e32 v22, 0x3b800000
	v_lshlrev_b32_e32 v14, 20, v14
	v_and_b32_e32 v21, 0x80000000, v21
	v_lshl_add_u32 v20, v20, 23, v22
	v_or3_b32 v20, v21, v20, v14
.LBB53_1072:
	s_or_b64 exec, exec, s[6:7]
	s_nop 0
	v_mfma_f32_16x16x4f32 a[0:3], v10, v20, a[0:3]
	s_movk_i32 s4, 0xff
	v_and_b32_sdwa v14, v15, s4 dst_sel:DWORD dst_unused:UNUSED_PAD src0_sel:WORD_1 src1_sel:DWORD
	s_movk_i32 s4, 0x7f
	v_cmp_lt_i16_e32 vcc, s4, v14
	s_mov_b64 s[4:5], 0
                                        ; implicit-def: $sgpr10
	s_and_saveexec_b64 s[6:7], vcc
	s_xor_b64 s[6:7], exec, s[6:7]
	s_cbranch_execnz .LBB53_3121
; %bb.1073:
	s_or_saveexec_b64 s[6:7], s[6:7]
	v_mov_b32_e32 v10, s10
	s_xor_b64 exec, exec, s[6:7]
	s_cbranch_execnz .LBB53_3124
.LBB53_1074:
	s_or_b64 exec, exec, s[6:7]
	s_and_saveexec_b64 s[6:7], s[4:5]
	s_cbranch_execz .LBB53_1076
.LBB53_1075:
	v_bfe_u32 v10, v15, 16, 3
	v_ffbh_u32_e32 v21, v10
	v_min_u32_e32 v21, 32, v21
	v_lshrrev_b32_e32 v14, 19, v15
	v_subrev_u32_e32 v22, 28, v21
	v_and_b32_e32 v14, 15, v14
	v_lshlrev_b32_sdwa v22, v22, v15 dst_sel:DWORD dst_unused:UNUSED_PAD src0_sel:DWORD src1_sel:WORD_1
	v_bfe_u32 v20, v15, 19, 4
	v_sub_u32_e32 v21, 29, v21
	v_and_b32_e32 v22, 7, v22
	v_cmp_eq_u16_e32 vcc, 0, v14
	v_cndmask_b32_e32 v10, v10, v22, vcc
	v_cndmask_b32_e32 v14, v20, v21, vcc
	v_lshlrev_b32_e32 v20, 8, v15
	v_mov_b32_e32 v21, 0x3b800000
	v_lshlrev_b32_e32 v10, 20, v10
	v_and_b32_e32 v20, 0x80000000, v20
	v_lshl_add_u32 v14, v14, 23, v21
	v_or3_b32 v10, v20, v14, v10
.LBB53_1076:
	s_or_b64 exec, exec, s[6:7]
	s_movk_i32 s4, 0xff
	v_and_b32_sdwa v14, v11, s4 dst_sel:DWORD dst_unused:UNUSED_PAD src0_sel:WORD_1 src1_sel:DWORD
	s_movk_i32 s4, 0x7f
	v_cmp_lt_i16_e32 vcc, s4, v14
	s_mov_b64 s[4:5], 0
                                        ; implicit-def: $sgpr10
	s_and_saveexec_b64 s[6:7], vcc
	s_xor_b64 s[6:7], exec, s[6:7]
	s_cbranch_execnz .LBB53_3125
; %bb.1077:
	s_or_saveexec_b64 s[6:7], s[6:7]
	v_mov_b32_e32 v20, s10
	s_xor_b64 exec, exec, s[6:7]
	s_cbranch_execnz .LBB53_3128
.LBB53_1078:
	s_or_b64 exec, exec, s[6:7]
	s_and_saveexec_b64 s[6:7], s[4:5]
	s_cbranch_execz .LBB53_1080
.LBB53_1079:
	v_bfe_u32 v14, v11, 16, 3
	v_ffbh_u32_e32 v22, v14
	v_min_u32_e32 v22, 32, v22
	v_lshrrev_b32_e32 v20, 19, v11
	v_subrev_u32_e32 v23, 28, v22
	v_and_b32_e32 v20, 15, v20
	v_lshlrev_b32_sdwa v23, v23, v11 dst_sel:DWORD dst_unused:UNUSED_PAD src0_sel:DWORD src1_sel:WORD_1
	v_bfe_u32 v21, v11, 19, 4
	v_sub_u32_e32 v22, 29, v22
	v_and_b32_e32 v23, 7, v23
	v_cmp_eq_u16_e32 vcc, 0, v20
	v_cndmask_b32_e32 v14, v14, v23, vcc
	v_cndmask_b32_e32 v20, v21, v22, vcc
	v_lshlrev_b32_e32 v21, 8, v11
	v_mov_b32_e32 v22, 0x3b800000
	v_lshlrev_b32_e32 v14, 20, v14
	v_and_b32_e32 v21, 0x80000000, v21
	v_lshl_add_u32 v20, v20, 23, v22
	v_or3_b32 v20, v21, v20, v14
.LBB53_1080:
	s_or_b64 exec, exec, s[6:7]
	s_nop 0
	v_mfma_f32_16x16x4f32 a[0:3], v10, v20, a[0:3]
	s_movk_i32 s4, 0x7f
	v_cmp_gt_i16_sdwa s[6:7], v15, s4 src0_sel:BYTE_3 src1_sel:DWORD
	s_mov_b64 s[4:5], 0
                                        ; implicit-def: $sgpr10
	s_and_saveexec_b64 s[8:9], s[6:7]
	s_xor_b64 s[6:7], exec, s[8:9]
	s_cbranch_execnz .LBB53_3129
; %bb.1081:
	s_or_saveexec_b64 s[6:7], s[6:7]
	v_mov_b32_e32 v10, s10
	s_xor_b64 exec, exec, s[6:7]
	s_cbranch_execnz .LBB53_3132
.LBB53_1082:
	s_or_b64 exec, exec, s[6:7]
	s_and_saveexec_b64 s[6:7], s[4:5]
	s_cbranch_execz .LBB53_1084
.LBB53_1083:
	v_bfe_u32 v10, v15, 24, 3
	v_ffbh_u32_e32 v22, v10
	v_min_u32_e32 v22, 32, v22
	v_lshrrev_b32_e32 v20, 27, v15
	v_subrev_u32_e32 v23, 28, v22
	v_and_b32_e32 v14, 0x80000000, v15
	v_and_b32_e32 v20, 15, v20
	v_bfe_u32 v21, v15, 27, 4
	v_lshlrev_b32_sdwa v15, v23, v15 dst_sel:DWORD dst_unused:UNUSED_PAD src0_sel:DWORD src1_sel:BYTE_3
	v_sub_u32_e32 v22, 29, v22
	v_and_b32_e32 v15, 7, v15
	v_cmp_eq_u16_e32 vcc, 0, v20
	v_cndmask_b32_e32 v10, v10, v15, vcc
	v_cndmask_b32_e32 v15, v21, v22, vcc
	v_mov_b32_e32 v20, 0x3b800000
	v_lshlrev_b32_e32 v10, 20, v10
	v_lshl_add_u32 v15, v15, 23, v20
	v_or3_b32 v10, v14, v15, v10
.LBB53_1084:
	s_or_b64 exec, exec, s[6:7]
	s_movk_i32 s4, 0x7f
	v_cmp_gt_i16_sdwa s[6:7], v11, s4 src0_sel:BYTE_3 src1_sel:DWORD
	s_mov_b64 s[4:5], 0
                                        ; implicit-def: $sgpr10
	s_and_saveexec_b64 s[8:9], s[6:7]
	s_xor_b64 s[6:7], exec, s[8:9]
	s_cbranch_execnz .LBB53_3133
; %bb.1085:
	s_or_saveexec_b64 s[6:7], s[6:7]
	v_mov_b32_e32 v14, s10
	s_xor_b64 exec, exec, s[6:7]
	s_cbranch_execnz .LBB53_3136
.LBB53_1086:
	s_or_b64 exec, exec, s[6:7]
	s_and_saveexec_b64 s[6:7], s[4:5]
	s_cbranch_execz .LBB53_1088
.LBB53_1087:
	v_bfe_u32 v14, v11, 24, 3
	v_ffbh_u32_e32 v22, v14
	v_min_u32_e32 v22, 32, v22
	v_lshrrev_b32_e32 v20, 27, v11
	v_subrev_u32_e32 v23, 28, v22
	v_and_b32_e32 v15, 0x80000000, v11
	v_and_b32_e32 v20, 15, v20
	v_bfe_u32 v21, v11, 27, 4
	v_lshlrev_b32_sdwa v11, v23, v11 dst_sel:DWORD dst_unused:UNUSED_PAD src0_sel:DWORD src1_sel:BYTE_3
	v_sub_u32_e32 v22, 29, v22
	v_and_b32_e32 v11, 7, v11
	v_cmp_eq_u16_e32 vcc, 0, v20
	v_cndmask_b32_e32 v11, v14, v11, vcc
	v_cndmask_b32_e32 v14, v21, v22, vcc
	v_mov_b32_e32 v20, 0x3b800000
	v_lshlrev_b32_e32 v11, 20, v11
	v_lshl_add_u32 v14, v14, 23, v20
	v_or3_b32 v14, v15, v14, v11
.LBB53_1088:
	s_or_b64 exec, exec, s[6:7]
	s_nop 0
	v_mfma_f32_16x16x4f32 a[0:3], v10, v14, a[0:3]
	s_movk_i32 s4, 0x7f
	v_cmp_gt_i16_sdwa s[6:7], v16, s4 src0_sel:BYTE_0 src1_sel:DWORD
	s_mov_b64 s[4:5], 0
                                        ; implicit-def: $sgpr10
	s_and_saveexec_b64 s[8:9], s[6:7]
	s_xor_b64 s[6:7], exec, s[8:9]
	s_cbranch_execnz .LBB53_3137
; %bb.1089:
	s_or_saveexec_b64 s[6:7], s[6:7]
	v_mov_b32_e32 v10, s10
	s_xor_b64 exec, exec, s[6:7]
	s_cbranch_execnz .LBB53_3140
.LBB53_1090:
	s_or_b64 exec, exec, s[6:7]
	s_and_saveexec_b64 s[6:7], s[4:5]
	s_cbranch_execz .LBB53_1092
.LBB53_1091:
	v_and_b32_e32 v10, 7, v16
	v_ffbh_u32_e32 v14, v10
	v_min_u32_e32 v14, 32, v14
	v_lshrrev_b16_e32 v11, 3, v16
	v_subrev_u32_e32 v15, 28, v14
	v_and_b32_e32 v11, 15, v11
	v_lshlrev_b32_e32 v15, v15, v16
	v_sub_u32_e32 v14, 29, v14
	v_and_b32_e32 v15, 7, v15
	v_cmp_eq_u16_e32 vcc, 0, v11
	v_cndmask_b32_e32 v10, v10, v15, vcc
	v_cndmask_b32_e32 v11, v11, v14, vcc
	v_lshlrev_b32_e32 v14, 24, v16
	v_mov_b32_e32 v15, 0x3b800000
	v_lshlrev_b32_e32 v10, 20, v10
	v_and_b32_e32 v14, 0x80000000, v14
	v_lshl_add_u32 v11, v11, 23, v15
	v_or3_b32 v10, v14, v11, v10
.LBB53_1092:
	s_or_b64 exec, exec, s[6:7]
	s_movk_i32 s4, 0x7f
	v_cmp_gt_i16_sdwa s[6:7], v12, s4 src0_sel:BYTE_0 src1_sel:DWORD
	s_mov_b64 s[4:5], 0
                                        ; implicit-def: $sgpr10
	s_and_saveexec_b64 s[8:9], s[6:7]
	s_xor_b64 s[6:7], exec, s[8:9]
	s_cbranch_execnz .LBB53_3141
; %bb.1093:
	s_or_saveexec_b64 s[6:7], s[6:7]
	v_mov_b32_e32 v11, s10
	s_xor_b64 exec, exec, s[6:7]
	s_cbranch_execnz .LBB53_3144
.LBB53_1094:
	s_or_b64 exec, exec, s[6:7]
	s_and_saveexec_b64 s[6:7], s[4:5]
	s_cbranch_execz .LBB53_1096
.LBB53_1095:
	v_and_b32_e32 v11, 7, v12
	v_ffbh_u32_e32 v15, v11
	v_min_u32_e32 v15, 32, v15
	v_lshrrev_b16_e32 v14, 3, v12
	v_subrev_u32_e32 v20, 28, v15
	v_and_b32_e32 v14, 15, v14
	v_lshlrev_b32_e32 v20, v20, v12
	v_sub_u32_e32 v15, 29, v15
	v_and_b32_e32 v20, 7, v20
	v_cmp_eq_u16_e32 vcc, 0, v14
	v_cndmask_b32_e32 v11, v11, v20, vcc
	v_cndmask_b32_e32 v14, v14, v15, vcc
	v_lshlrev_b32_e32 v15, 24, v12
	v_mov_b32_e32 v20, 0x3b800000
	v_lshlrev_b32_e32 v11, 20, v11
	v_and_b32_e32 v15, 0x80000000, v15
	v_lshl_add_u32 v14, v14, 23, v20
	v_or3_b32 v11, v15, v14, v11
.LBB53_1096:
	s_or_b64 exec, exec, s[6:7]
	s_nop 0
	v_mfma_f32_16x16x4f32 a[0:3], v10, v11, a[0:3]
	v_lshrrev_b32_e32 v11, 8, v16
	s_movk_i32 s4, 0x7f
	v_cmp_gt_i16_sdwa s[6:7], v11, s4 src0_sel:BYTE_0 src1_sel:DWORD
	s_mov_b64 s[4:5], 0
                                        ; implicit-def: $sgpr10
	s_and_saveexec_b64 s[8:9], s[6:7]
	s_xor_b64 s[6:7], exec, s[8:9]
	s_cbranch_execnz .LBB53_3145
; %bb.1097:
	s_or_saveexec_b64 s[6:7], s[6:7]
	v_mov_b32_e32 v10, s10
	s_xor_b64 exec, exec, s[6:7]
	s_cbranch_execnz .LBB53_3148
.LBB53_1098:
	s_or_b64 exec, exec, s[6:7]
	s_and_saveexec_b64 s[6:7], s[4:5]
	s_cbranch_execz .LBB53_1100
.LBB53_1099:
	v_bfe_u32 v10, v16, 8, 3
	v_ffbh_u32_e32 v15, v10
	v_min_u32_e32 v15, 32, v15
	v_lshrrev_b16_e32 v14, 3, v11
	v_subrev_u32_e32 v20, 28, v15
	v_and_b32_e32 v14, 15, v14
	v_lshlrev_b32_e32 v11, v20, v11
	v_sub_u32_e32 v15, 29, v15
	v_and_b32_e32 v11, 7, v11
	v_cmp_eq_u16_e32 vcc, 0, v14
	v_cndmask_b32_e32 v10, v10, v11, vcc
	v_cndmask_b32_e32 v11, v14, v15, vcc
	v_lshlrev_b32_e32 v14, 16, v16
	v_mov_b32_e32 v15, 0x3b800000
	v_lshlrev_b32_e32 v10, 20, v10
	v_and_b32_e32 v14, 0x80000000, v14
	v_lshl_add_u32 v11, v11, 23, v15
	v_or3_b32 v10, v14, v11, v10
.LBB53_1100:
	s_or_b64 exec, exec, s[6:7]
	v_lshrrev_b32_e32 v11, 8, v12
	s_movk_i32 s4, 0x7f
	v_cmp_gt_i16_sdwa s[6:7], v11, s4 src0_sel:BYTE_0 src1_sel:DWORD
	s_mov_b64 s[4:5], 0
                                        ; implicit-def: $sgpr10
	s_and_saveexec_b64 s[8:9], s[6:7]
	s_xor_b64 s[6:7], exec, s[8:9]
	s_cbranch_execnz .LBB53_3149
; %bb.1101:
	s_or_saveexec_b64 s[6:7], s[6:7]
	v_mov_b32_e32 v14, s10
	s_xor_b64 exec, exec, s[6:7]
	s_cbranch_execnz .LBB53_3152
.LBB53_1102:
	s_or_b64 exec, exec, s[6:7]
	s_and_saveexec_b64 s[6:7], s[4:5]
	s_cbranch_execz .LBB53_1104
.LBB53_1103:
	v_bfe_u32 v14, v12, 8, 3
	v_ffbh_u32_e32 v20, v14
	v_min_u32_e32 v20, 32, v20
	v_lshrrev_b16_e32 v15, 3, v11
	v_subrev_u32_e32 v21, 28, v20
	v_and_b32_e32 v15, 15, v15
	v_lshlrev_b32_e32 v11, v21, v11
	v_sub_u32_e32 v20, 29, v20
	v_and_b32_e32 v11, 7, v11
	v_cmp_eq_u16_e32 vcc, 0, v15
	v_cndmask_b32_e32 v11, v14, v11, vcc
	v_cndmask_b32_e32 v14, v15, v20, vcc
	v_lshlrev_b32_e32 v15, 16, v12
	v_mov_b32_e32 v20, 0x3b800000
	v_lshlrev_b32_e32 v11, 20, v11
	v_and_b32_e32 v15, 0x80000000, v15
	v_lshl_add_u32 v14, v14, 23, v20
	v_or3_b32 v14, v15, v14, v11
.LBB53_1104:
	s_or_b64 exec, exec, s[6:7]
	s_nop 0
	v_mfma_f32_16x16x4f32 a[0:3], v10, v14, a[0:3]
	s_movk_i32 s4, 0xff
	v_and_b32_sdwa v11, v16, s4 dst_sel:DWORD dst_unused:UNUSED_PAD src0_sel:WORD_1 src1_sel:DWORD
	s_movk_i32 s4, 0x7f
	v_cmp_lt_i16_e32 vcc, s4, v11
	s_mov_b64 s[4:5], 0
                                        ; implicit-def: $sgpr10
	s_and_saveexec_b64 s[6:7], vcc
	s_xor_b64 s[6:7], exec, s[6:7]
	s_cbranch_execnz .LBB53_3153
; %bb.1105:
	s_or_saveexec_b64 s[6:7], s[6:7]
	v_mov_b32_e32 v10, s10
	s_xor_b64 exec, exec, s[6:7]
	s_cbranch_execnz .LBB53_3156
.LBB53_1106:
	s_or_b64 exec, exec, s[6:7]
	s_and_saveexec_b64 s[6:7], s[4:5]
	s_cbranch_execz .LBB53_1108
.LBB53_1107:
	v_bfe_u32 v10, v16, 16, 3
	v_ffbh_u32_e32 v15, v10
	v_min_u32_e32 v15, 32, v15
	v_lshrrev_b32_e32 v11, 19, v16
	v_subrev_u32_e32 v20, 28, v15
	v_and_b32_e32 v11, 15, v11
	v_lshlrev_b32_sdwa v20, v20, v16 dst_sel:DWORD dst_unused:UNUSED_PAD src0_sel:DWORD src1_sel:WORD_1
	v_bfe_u32 v14, v16, 19, 4
	v_sub_u32_e32 v15, 29, v15
	v_and_b32_e32 v20, 7, v20
	v_cmp_eq_u16_e32 vcc, 0, v11
	v_cndmask_b32_e32 v10, v10, v20, vcc
	v_cndmask_b32_e32 v11, v14, v15, vcc
	v_lshlrev_b32_e32 v14, 8, v16
	v_mov_b32_e32 v15, 0x3b800000
	v_lshlrev_b32_e32 v10, 20, v10
	v_and_b32_e32 v14, 0x80000000, v14
	v_lshl_add_u32 v11, v11, 23, v15
	v_or3_b32 v10, v14, v11, v10
.LBB53_1108:
	s_or_b64 exec, exec, s[6:7]
	s_movk_i32 s4, 0xff
	v_and_b32_sdwa v11, v12, s4 dst_sel:DWORD dst_unused:UNUSED_PAD src0_sel:WORD_1 src1_sel:DWORD
	s_movk_i32 s4, 0x7f
	v_cmp_lt_i16_e32 vcc, s4, v11
	s_mov_b64 s[4:5], 0
                                        ; implicit-def: $sgpr10
	s_and_saveexec_b64 s[6:7], vcc
	s_xor_b64 s[6:7], exec, s[6:7]
	s_cbranch_execnz .LBB53_3157
; %bb.1109:
	s_or_saveexec_b64 s[6:7], s[6:7]
	v_mov_b32_e32 v14, s10
	s_xor_b64 exec, exec, s[6:7]
	s_cbranch_execnz .LBB53_3160
.LBB53_1110:
	s_or_b64 exec, exec, s[6:7]
	s_and_saveexec_b64 s[6:7], s[4:5]
	s_cbranch_execz .LBB53_1112
.LBB53_1111:
	v_bfe_u32 v11, v12, 16, 3
	v_ffbh_u32_e32 v20, v11
	v_min_u32_e32 v20, 32, v20
	v_lshrrev_b32_e32 v14, 19, v12
	v_subrev_u32_e32 v21, 28, v20
	v_and_b32_e32 v14, 15, v14
	v_lshlrev_b32_sdwa v21, v21, v12 dst_sel:DWORD dst_unused:UNUSED_PAD src0_sel:DWORD src1_sel:WORD_1
	v_bfe_u32 v15, v12, 19, 4
	v_sub_u32_e32 v20, 29, v20
	v_and_b32_e32 v21, 7, v21
	v_cmp_eq_u16_e32 vcc, 0, v14
	v_cndmask_b32_e32 v11, v11, v21, vcc
	v_cndmask_b32_e32 v14, v15, v20, vcc
	v_lshlrev_b32_e32 v15, 8, v12
	v_mov_b32_e32 v20, 0x3b800000
	v_lshlrev_b32_e32 v11, 20, v11
	v_and_b32_e32 v15, 0x80000000, v15
	v_lshl_add_u32 v14, v14, 23, v20
	v_or3_b32 v14, v15, v14, v11
.LBB53_1112:
	s_or_b64 exec, exec, s[6:7]
	s_nop 0
	v_mfma_f32_16x16x4f32 a[0:3], v10, v14, a[0:3]
	s_movk_i32 s4, 0x7f
	v_cmp_gt_i16_sdwa s[6:7], v16, s4 src0_sel:BYTE_3 src1_sel:DWORD
	s_mov_b64 s[4:5], 0
                                        ; implicit-def: $sgpr10
	s_and_saveexec_b64 s[8:9], s[6:7]
	s_xor_b64 s[6:7], exec, s[8:9]
	s_cbranch_execnz .LBB53_3161
; %bb.1113:
	s_or_saveexec_b64 s[6:7], s[6:7]
	v_mov_b32_e32 v10, s10
	s_xor_b64 exec, exec, s[6:7]
	s_cbranch_execnz .LBB53_3164
.LBB53_1114:
	s_or_b64 exec, exec, s[6:7]
	s_and_saveexec_b64 s[6:7], s[4:5]
	s_cbranch_execz .LBB53_1116
.LBB53_1115:
	v_bfe_u32 v10, v16, 24, 3
	v_ffbh_u32_e32 v20, v10
	v_min_u32_e32 v20, 32, v20
	v_lshrrev_b32_e32 v14, 27, v16
	v_subrev_u32_e32 v21, 28, v20
	v_and_b32_e32 v11, 0x80000000, v16
	v_and_b32_e32 v14, 15, v14
	v_bfe_u32 v15, v16, 27, 4
	v_lshlrev_b32_sdwa v16, v21, v16 dst_sel:DWORD dst_unused:UNUSED_PAD src0_sel:DWORD src1_sel:BYTE_3
	v_sub_u32_e32 v20, 29, v20
	v_and_b32_e32 v16, 7, v16
	v_cmp_eq_u16_e32 vcc, 0, v14
	v_cndmask_b32_e32 v10, v10, v16, vcc
	v_cndmask_b32_e32 v14, v15, v20, vcc
	v_mov_b32_e32 v15, 0x3b800000
	v_lshlrev_b32_e32 v10, 20, v10
	v_lshl_add_u32 v14, v14, 23, v15
	v_or3_b32 v10, v11, v14, v10
.LBB53_1116:
	s_or_b64 exec, exec, s[6:7]
	s_movk_i32 s4, 0x7f
	v_cmp_gt_i16_sdwa s[6:7], v12, s4 src0_sel:BYTE_3 src1_sel:DWORD
	s_mov_b64 s[4:5], 0
                                        ; implicit-def: $sgpr10
	s_and_saveexec_b64 s[8:9], s[6:7]
	s_xor_b64 s[6:7], exec, s[8:9]
	s_cbranch_execnz .LBB53_3165
; %bb.1117:
	s_or_saveexec_b64 s[6:7], s[6:7]
	v_mov_b32_e32 v11, s10
	s_xor_b64 exec, exec, s[6:7]
	s_cbranch_execnz .LBB53_3168
.LBB53_1118:
	s_or_b64 exec, exec, s[6:7]
	s_and_saveexec_b64 s[6:7], s[4:5]
	s_cbranch_execz .LBB53_1120
.LBB53_1119:
	v_bfe_u32 v11, v12, 24, 3
	v_ffbh_u32_e32 v20, v11
	v_min_u32_e32 v20, 32, v20
	v_lshrrev_b32_e32 v15, 27, v12
	v_subrev_u32_e32 v21, 28, v20
	v_and_b32_e32 v14, 0x80000000, v12
	v_and_b32_e32 v15, 15, v15
	v_bfe_u32 v16, v12, 27, 4
	v_lshlrev_b32_sdwa v12, v21, v12 dst_sel:DWORD dst_unused:UNUSED_PAD src0_sel:DWORD src1_sel:BYTE_3
	v_sub_u32_e32 v20, 29, v20
	v_and_b32_e32 v12, 7, v12
	v_cmp_eq_u16_e32 vcc, 0, v15
	v_cndmask_b32_e32 v11, v11, v12, vcc
	v_cndmask_b32_e32 v12, v16, v20, vcc
	v_mov_b32_e32 v15, 0x3b800000
	v_lshlrev_b32_e32 v11, 20, v11
	v_lshl_add_u32 v12, v12, 23, v15
	v_or3_b32 v11, v14, v12, v11
.LBB53_1120:
	s_or_b64 exec, exec, s[6:7]
	s_nop 0
	v_mfma_f32_16x16x4f32 a[0:3], v10, v11, a[0:3]
	s_movk_i32 s4, 0x7f
	v_cmp_gt_i16_sdwa s[6:7], v17, s4 src0_sel:BYTE_0 src1_sel:DWORD
	s_mov_b64 s[4:5], 0
                                        ; implicit-def: $sgpr10
	s_and_saveexec_b64 s[8:9], s[6:7]
	s_xor_b64 s[6:7], exec, s[8:9]
	s_cbranch_execnz .LBB53_3169
; %bb.1121:
	s_or_saveexec_b64 s[6:7], s[6:7]
	v_mov_b32_e32 v10, s10
	s_xor_b64 exec, exec, s[6:7]
	s_cbranch_execnz .LBB53_3172
.LBB53_1122:
	s_or_b64 exec, exec, s[6:7]
	s_and_saveexec_b64 s[6:7], s[4:5]
	s_cbranch_execz .LBB53_1124
.LBB53_1123:
	v_and_b32_e32 v10, 7, v17
	v_ffbh_u32_e32 v12, v10
	v_min_u32_e32 v12, 32, v12
	v_lshrrev_b16_e32 v11, 3, v17
	v_subrev_u32_e32 v14, 28, v12
	v_and_b32_e32 v11, 15, v11
	v_lshlrev_b32_e32 v14, v14, v17
	v_sub_u32_e32 v12, 29, v12
	v_and_b32_e32 v14, 7, v14
	v_cmp_eq_u16_e32 vcc, 0, v11
	v_cndmask_b32_e32 v10, v10, v14, vcc
	v_cndmask_b32_e32 v11, v11, v12, vcc
	v_lshlrev_b32_e32 v12, 24, v17
	v_mov_b32_e32 v14, 0x3b800000
	v_lshlrev_b32_e32 v10, 20, v10
	v_and_b32_e32 v12, 0x80000000, v12
	v_lshl_add_u32 v11, v11, 23, v14
	v_or3_b32 v10, v12, v11, v10
.LBB53_1124:
	s_or_b64 exec, exec, s[6:7]
	s_movk_i32 s4, 0x7f
	v_cmp_gt_i16_sdwa s[6:7], v13, s4 src0_sel:BYTE_0 src1_sel:DWORD
	s_mov_b64 s[4:5], 0
                                        ; implicit-def: $sgpr10
	s_and_saveexec_b64 s[8:9], s[6:7]
	s_xor_b64 s[6:7], exec, s[8:9]
	s_cbranch_execnz .LBB53_3173
; %bb.1125:
	s_or_saveexec_b64 s[6:7], s[6:7]
	v_mov_b32_e32 v11, s10
	s_xor_b64 exec, exec, s[6:7]
	s_cbranch_execnz .LBB53_3176
.LBB53_1126:
	s_or_b64 exec, exec, s[6:7]
	s_and_saveexec_b64 s[6:7], s[4:5]
	s_cbranch_execz .LBB53_1128
.LBB53_1127:
	v_and_b32_e32 v11, 7, v13
	v_ffbh_u32_e32 v14, v11
	v_min_u32_e32 v14, 32, v14
	v_lshrrev_b16_e32 v12, 3, v13
	v_subrev_u32_e32 v15, 28, v14
	v_and_b32_e32 v12, 15, v12
	v_lshlrev_b32_e32 v15, v15, v13
	v_sub_u32_e32 v14, 29, v14
	v_and_b32_e32 v15, 7, v15
	v_cmp_eq_u16_e32 vcc, 0, v12
	v_cndmask_b32_e32 v11, v11, v15, vcc
	v_cndmask_b32_e32 v12, v12, v14, vcc
	v_lshlrev_b32_e32 v14, 24, v13
	v_mov_b32_e32 v15, 0x3b800000
	v_lshlrev_b32_e32 v11, 20, v11
	v_and_b32_e32 v14, 0x80000000, v14
	v_lshl_add_u32 v12, v12, 23, v15
	v_or3_b32 v11, v14, v12, v11
.LBB53_1128:
	s_or_b64 exec, exec, s[6:7]
	s_nop 0
	v_mfma_f32_16x16x4f32 a[0:3], v10, v11, a[0:3]
	v_lshrrev_b32_e32 v11, 8, v17
	s_movk_i32 s4, 0x7f
	v_cmp_gt_i16_sdwa s[6:7], v11, s4 src0_sel:BYTE_0 src1_sel:DWORD
	s_mov_b64 s[4:5], 0
                                        ; implicit-def: $sgpr10
	s_and_saveexec_b64 s[8:9], s[6:7]
	s_xor_b64 s[6:7], exec, s[8:9]
	s_cbranch_execnz .LBB53_3177
; %bb.1129:
	s_or_saveexec_b64 s[6:7], s[6:7]
	v_mov_b32_e32 v10, s10
	s_xor_b64 exec, exec, s[6:7]
	s_cbranch_execnz .LBB53_3180
.LBB53_1130:
	s_or_b64 exec, exec, s[6:7]
	s_and_saveexec_b64 s[6:7], s[4:5]
	s_cbranch_execz .LBB53_1132
.LBB53_1131:
	v_bfe_u32 v10, v17, 8, 3
	v_ffbh_u32_e32 v14, v10
	v_min_u32_e32 v14, 32, v14
	v_lshrrev_b16_e32 v12, 3, v11
	v_subrev_u32_e32 v15, 28, v14
	v_and_b32_e32 v12, 15, v12
	v_lshlrev_b32_e32 v11, v15, v11
	v_sub_u32_e32 v14, 29, v14
	v_and_b32_e32 v11, 7, v11
	v_cmp_eq_u16_e32 vcc, 0, v12
	v_cndmask_b32_e32 v10, v10, v11, vcc
	v_cndmask_b32_e32 v11, v12, v14, vcc
	v_lshlrev_b32_e32 v12, 16, v17
	v_mov_b32_e32 v14, 0x3b800000
	v_lshlrev_b32_e32 v10, 20, v10
	v_and_b32_e32 v12, 0x80000000, v12
	v_lshl_add_u32 v11, v11, 23, v14
	v_or3_b32 v10, v12, v11, v10
.LBB53_1132:
	s_or_b64 exec, exec, s[6:7]
	v_lshrrev_b32_e32 v11, 8, v13
	s_movk_i32 s4, 0x7f
	v_cmp_gt_i16_sdwa s[6:7], v11, s4 src0_sel:BYTE_0 src1_sel:DWORD
	s_mov_b64 s[4:5], 0
                                        ; implicit-def: $sgpr10
	s_and_saveexec_b64 s[8:9], s[6:7]
	s_xor_b64 s[6:7], exec, s[8:9]
	s_cbranch_execnz .LBB53_3181
; %bb.1133:
	s_or_saveexec_b64 s[6:7], s[6:7]
	v_mov_b32_e32 v12, s10
	s_xor_b64 exec, exec, s[6:7]
	s_cbranch_execnz .LBB53_3184
.LBB53_1134:
	s_or_b64 exec, exec, s[6:7]
	s_and_saveexec_b64 s[6:7], s[4:5]
	s_cbranch_execz .LBB53_1136
.LBB53_1135:
	v_bfe_u32 v12, v13, 8, 3
	v_ffbh_u32_e32 v15, v12
	v_min_u32_e32 v15, 32, v15
	v_lshrrev_b16_e32 v14, 3, v11
	v_subrev_u32_e32 v16, 28, v15
	v_and_b32_e32 v14, 15, v14
	v_lshlrev_b32_e32 v11, v16, v11
	v_sub_u32_e32 v15, 29, v15
	v_and_b32_e32 v11, 7, v11
	v_cmp_eq_u16_e32 vcc, 0, v14
	v_cndmask_b32_e32 v11, v12, v11, vcc
	v_cndmask_b32_e32 v12, v14, v15, vcc
	v_lshlrev_b32_e32 v14, 16, v13
	v_mov_b32_e32 v15, 0x3b800000
	v_lshlrev_b32_e32 v11, 20, v11
	v_and_b32_e32 v14, 0x80000000, v14
	v_lshl_add_u32 v12, v12, 23, v15
	v_or3_b32 v12, v14, v12, v11
.LBB53_1136:
	s_or_b64 exec, exec, s[6:7]
	s_nop 0
	v_mfma_f32_16x16x4f32 a[0:3], v10, v12, a[0:3]
	s_movk_i32 s4, 0xff
	v_and_b32_sdwa v11, v17, s4 dst_sel:DWORD dst_unused:UNUSED_PAD src0_sel:WORD_1 src1_sel:DWORD
	s_movk_i32 s4, 0x7f
	v_cmp_lt_i16_e32 vcc, s4, v11
	s_mov_b64 s[4:5], 0
                                        ; implicit-def: $sgpr10
	s_and_saveexec_b64 s[6:7], vcc
	s_xor_b64 s[6:7], exec, s[6:7]
	s_cbranch_execnz .LBB53_3185
; %bb.1137:
	s_or_saveexec_b64 s[6:7], s[6:7]
	v_mov_b32_e32 v10, s10
	s_xor_b64 exec, exec, s[6:7]
	s_cbranch_execnz .LBB53_3188
.LBB53_1138:
	s_or_b64 exec, exec, s[6:7]
	s_and_saveexec_b64 s[6:7], s[4:5]
	s_cbranch_execz .LBB53_1140
.LBB53_1139:
	v_bfe_u32 v10, v17, 16, 3
	v_ffbh_u32_e32 v14, v10
	v_min_u32_e32 v14, 32, v14
	v_lshrrev_b32_e32 v11, 19, v17
	v_subrev_u32_e32 v15, 28, v14
	v_and_b32_e32 v11, 15, v11
	v_lshlrev_b32_sdwa v15, v15, v17 dst_sel:DWORD dst_unused:UNUSED_PAD src0_sel:DWORD src1_sel:WORD_1
	v_bfe_u32 v12, v17, 19, 4
	v_sub_u32_e32 v14, 29, v14
	v_and_b32_e32 v15, 7, v15
	v_cmp_eq_u16_e32 vcc, 0, v11
	v_cndmask_b32_e32 v10, v10, v15, vcc
	v_cndmask_b32_e32 v11, v12, v14, vcc
	v_lshlrev_b32_e32 v12, 8, v17
	v_mov_b32_e32 v14, 0x3b800000
	v_lshlrev_b32_e32 v10, 20, v10
	v_and_b32_e32 v12, 0x80000000, v12
	v_lshl_add_u32 v11, v11, 23, v14
	v_or3_b32 v10, v12, v11, v10
.LBB53_1140:
	s_or_b64 exec, exec, s[6:7]
	s_movk_i32 s4, 0xff
	v_and_b32_sdwa v11, v13, s4 dst_sel:DWORD dst_unused:UNUSED_PAD src0_sel:WORD_1 src1_sel:DWORD
	s_movk_i32 s4, 0x7f
	v_cmp_lt_i16_e32 vcc, s4, v11
	s_mov_b64 s[4:5], 0
                                        ; implicit-def: $sgpr10
	s_and_saveexec_b64 s[6:7], vcc
	s_xor_b64 s[6:7], exec, s[6:7]
	s_cbranch_execnz .LBB53_3189
; %bb.1141:
	s_or_saveexec_b64 s[6:7], s[6:7]
	v_mov_b32_e32 v12, s10
	s_xor_b64 exec, exec, s[6:7]
	s_cbranch_execnz .LBB53_3192
.LBB53_1142:
	s_or_b64 exec, exec, s[6:7]
	s_and_saveexec_b64 s[6:7], s[4:5]
	s_cbranch_execz .LBB53_1144
.LBB53_1143:
	v_bfe_u32 v11, v13, 16, 3
	v_ffbh_u32_e32 v15, v11
	v_min_u32_e32 v15, 32, v15
	v_lshrrev_b32_e32 v12, 19, v13
	v_subrev_u32_e32 v16, 28, v15
	v_and_b32_e32 v12, 15, v12
	v_lshlrev_b32_sdwa v16, v16, v13 dst_sel:DWORD dst_unused:UNUSED_PAD src0_sel:DWORD src1_sel:WORD_1
	v_bfe_u32 v14, v13, 19, 4
	v_sub_u32_e32 v15, 29, v15
	v_and_b32_e32 v16, 7, v16
	v_cmp_eq_u16_e32 vcc, 0, v12
	v_cndmask_b32_e32 v11, v11, v16, vcc
	v_cndmask_b32_e32 v12, v14, v15, vcc
	v_lshlrev_b32_e32 v14, 8, v13
	v_mov_b32_e32 v15, 0x3b800000
	v_lshlrev_b32_e32 v11, 20, v11
	v_and_b32_e32 v14, 0x80000000, v14
	v_lshl_add_u32 v12, v12, 23, v15
	v_or3_b32 v12, v14, v12, v11
.LBB53_1144:
	s_or_b64 exec, exec, s[6:7]
	s_nop 0
	v_mfma_f32_16x16x4f32 a[0:3], v10, v12, a[0:3]
	s_movk_i32 s4, 0x7f
	v_cmp_gt_i16_sdwa s[6:7], v17, s4 src0_sel:BYTE_3 src1_sel:DWORD
	s_mov_b64 s[4:5], 0
                                        ; implicit-def: $sgpr10
	s_and_saveexec_b64 s[8:9], s[6:7]
	s_xor_b64 s[6:7], exec, s[8:9]
	s_cbranch_execnz .LBB53_3193
; %bb.1145:
	s_or_saveexec_b64 s[6:7], s[6:7]
	v_mov_b32_e32 v10, s10
	s_xor_b64 exec, exec, s[6:7]
	s_cbranch_execnz .LBB53_3196
.LBB53_1146:
	s_or_b64 exec, exec, s[6:7]
	s_and_saveexec_b64 s[6:7], s[4:5]
	s_cbranch_execz .LBB53_1148
.LBB53_1147:
	v_bfe_u32 v10, v17, 24, 3
	v_ffbh_u32_e32 v15, v10
	v_min_u32_e32 v15, 32, v15
	v_lshrrev_b32_e32 v12, 27, v17
	v_subrev_u32_e32 v16, 28, v15
	v_and_b32_e32 v12, 15, v12
	v_lshlrev_b32_sdwa v16, v16, v17 dst_sel:DWORD dst_unused:UNUSED_PAD src0_sel:DWORD src1_sel:BYTE_3
	v_bfe_u32 v14, v17, 27, 4
	v_sub_u32_e32 v15, 29, v15
	v_and_b32_e32 v16, 7, v16
	v_cmp_eq_u16_e32 vcc, 0, v12
	v_cndmask_b32_e32 v10, v10, v16, vcc
	v_cndmask_b32_e32 v12, v14, v15, vcc
	v_mov_b32_e32 v14, 0x3b800000
	v_and_b32_e32 v11, 0x80000000, v17
	v_lshlrev_b32_e32 v10, 20, v10
	v_lshl_add_u32 v12, v12, 23, v14
	v_or3_b32 v10, v11, v12, v10
.LBB53_1148:
	s_or_b64 exec, exec, s[6:7]
	s_movk_i32 s4, 0x7f
	v_cmp_gt_i16_sdwa s[6:7], v13, s4 src0_sel:BYTE_3 src1_sel:DWORD
	s_mov_b64 s[4:5], 0
                                        ; implicit-def: $sgpr10
	s_and_saveexec_b64 s[8:9], s[6:7]
	s_xor_b64 s[6:7], exec, s[8:9]
	s_cbranch_execnz .LBB53_3197
; %bb.1149:
	s_or_saveexec_b64 s[6:7], s[6:7]
	v_mov_b32_e32 v11, s10
	s_xor_b64 exec, exec, s[6:7]
	s_cbranch_execnz .LBB53_3200
.LBB53_1150:
	s_or_b64 exec, exec, s[6:7]
	s_and_saveexec_b64 s[6:7], s[4:5]
	s_cbranch_execz .LBB53_1152
.LBB53_1151:
	v_bfe_u32 v11, v13, 24, 3
	v_ffbh_u32_e32 v16, v11
	v_min_u32_e32 v16, 32, v16
	v_lshrrev_b32_e32 v14, 27, v13
	v_subrev_u32_e32 v17, 28, v16
	v_and_b32_e32 v12, 0x80000000, v13
	v_and_b32_e32 v14, 15, v14
	v_bfe_u32 v15, v13, 27, 4
	v_lshlrev_b32_sdwa v13, v17, v13 dst_sel:DWORD dst_unused:UNUSED_PAD src0_sel:DWORD src1_sel:BYTE_3
	v_sub_u32_e32 v16, 29, v16
	v_and_b32_e32 v13, 7, v13
	v_cmp_eq_u16_e32 vcc, 0, v14
	v_cndmask_b32_e32 v11, v11, v13, vcc
	v_cndmask_b32_e32 v13, v15, v16, vcc
	v_mov_b32_e32 v14, 0x3b800000
	v_lshlrev_b32_e32 v11, 20, v11
	v_lshl_add_u32 v13, v13, 23, v14
	v_or3_b32 v11, v12, v13, v11
.LBB53_1152:
	s_or_b64 exec, exec, s[6:7]
	s_nop 0
	v_mfma_f32_16x16x4f32 a[0:3], v10, v11, a[0:3]
	s_movk_i32 s4, 0x7f
	v_cmp_gt_i16_sdwa s[6:7], v6, s4 src0_sel:BYTE_0 src1_sel:DWORD
	s_mov_b64 s[4:5], 0
                                        ; implicit-def: $sgpr10
	s_and_saveexec_b64 s[8:9], s[6:7]
	s_xor_b64 s[6:7], exec, s[8:9]
	s_cbranch_execnz .LBB53_3201
; %bb.1153:
	s_or_saveexec_b64 s[6:7], s[6:7]
	v_mov_b32_e32 v10, s10
	s_xor_b64 exec, exec, s[6:7]
	s_cbranch_execnz .LBB53_3204
.LBB53_1154:
	s_or_b64 exec, exec, s[6:7]
	s_and_saveexec_b64 s[6:7], s[4:5]
	s_cbranch_execz .LBB53_1156
.LBB53_1155:
	v_and_b32_e32 v10, 7, v6
	v_ffbh_u32_e32 v12, v10
	v_min_u32_e32 v12, 32, v12
	v_lshrrev_b16_e32 v11, 3, v6
	v_subrev_u32_e32 v13, 28, v12
	v_and_b32_e32 v11, 15, v11
	v_lshlrev_b32_e32 v13, v13, v6
	v_sub_u32_e32 v12, 29, v12
	v_and_b32_e32 v13, 7, v13
	v_cmp_eq_u16_e32 vcc, 0, v11
	v_cndmask_b32_e32 v10, v10, v13, vcc
	v_cndmask_b32_e32 v11, v11, v12, vcc
	v_lshlrev_b32_e32 v12, 24, v6
	v_mov_b32_e32 v13, 0x3b800000
	v_lshlrev_b32_e32 v10, 20, v10
	v_and_b32_e32 v12, 0x80000000, v12
	v_lshl_add_u32 v11, v11, 23, v13
	v_or3_b32 v10, v12, v11, v10
.LBB53_1156:
	s_or_b64 exec, exec, s[6:7]
	s_movk_i32 s4, 0x7f
	v_cmp_gt_i16_sdwa s[6:7], v2, s4 src0_sel:BYTE_0 src1_sel:DWORD
	s_mov_b64 s[4:5], 0
                                        ; implicit-def: $sgpr10
	s_and_saveexec_b64 s[8:9], s[6:7]
	s_xor_b64 s[6:7], exec, s[8:9]
	s_cbranch_execnz .LBB53_3205
; %bb.1157:
	s_or_saveexec_b64 s[6:7], s[6:7]
	v_mov_b32_e32 v11, s10
	s_xor_b64 exec, exec, s[6:7]
	s_cbranch_execnz .LBB53_3208
.LBB53_1158:
	s_or_b64 exec, exec, s[6:7]
	s_and_saveexec_b64 s[6:7], s[4:5]
	s_cbranch_execz .LBB53_1160
.LBB53_1159:
	v_and_b32_e32 v11, 7, v2
	v_ffbh_u32_e32 v13, v11
	v_min_u32_e32 v13, 32, v13
	v_lshrrev_b16_e32 v12, 3, v2
	v_subrev_u32_e32 v14, 28, v13
	v_and_b32_e32 v12, 15, v12
	v_lshlrev_b32_e32 v14, v14, v2
	v_sub_u32_e32 v13, 29, v13
	v_and_b32_e32 v14, 7, v14
	v_cmp_eq_u16_e32 vcc, 0, v12
	v_cndmask_b32_e32 v11, v11, v14, vcc
	v_cndmask_b32_e32 v12, v12, v13, vcc
	v_lshlrev_b32_e32 v13, 24, v2
	v_mov_b32_e32 v14, 0x3b800000
	v_lshlrev_b32_e32 v11, 20, v11
	v_and_b32_e32 v13, 0x80000000, v13
	v_lshl_add_u32 v12, v12, 23, v14
	v_or3_b32 v11, v13, v12, v11
.LBB53_1160:
	s_or_b64 exec, exec, s[6:7]
	s_nop 0
	v_mfma_f32_16x16x4f32 a[0:3], v10, v11, a[0:3]
	v_lshrrev_b32_e32 v11, 8, v6
	s_movk_i32 s4, 0x7f
	v_cmp_gt_i16_sdwa s[6:7], v11, s4 src0_sel:BYTE_0 src1_sel:DWORD
	s_mov_b64 s[4:5], 0
                                        ; implicit-def: $sgpr10
	s_and_saveexec_b64 s[8:9], s[6:7]
	s_xor_b64 s[6:7], exec, s[8:9]
	s_cbranch_execnz .LBB53_3209
; %bb.1161:
	s_or_saveexec_b64 s[6:7], s[6:7]
	v_mov_b32_e32 v10, s10
	s_xor_b64 exec, exec, s[6:7]
	s_cbranch_execnz .LBB53_3212
.LBB53_1162:
	s_or_b64 exec, exec, s[6:7]
	s_and_saveexec_b64 s[6:7], s[4:5]
	s_cbranch_execz .LBB53_1164
.LBB53_1163:
	v_bfe_u32 v10, v6, 8, 3
	v_ffbh_u32_e32 v13, v10
	v_min_u32_e32 v13, 32, v13
	v_lshrrev_b16_e32 v12, 3, v11
	v_subrev_u32_e32 v14, 28, v13
	v_and_b32_e32 v12, 15, v12
	v_lshlrev_b32_e32 v11, v14, v11
	v_sub_u32_e32 v13, 29, v13
	v_and_b32_e32 v11, 7, v11
	v_cmp_eq_u16_e32 vcc, 0, v12
	v_cndmask_b32_e32 v10, v10, v11, vcc
	v_cndmask_b32_e32 v11, v12, v13, vcc
	v_lshlrev_b32_e32 v12, 16, v6
	v_mov_b32_e32 v13, 0x3b800000
	v_lshlrev_b32_e32 v10, 20, v10
	v_and_b32_e32 v12, 0x80000000, v12
	v_lshl_add_u32 v11, v11, 23, v13
	v_or3_b32 v10, v12, v11, v10
.LBB53_1164:
	s_or_b64 exec, exec, s[6:7]
	v_lshrrev_b32_e32 v11, 8, v2
	s_movk_i32 s4, 0x7f
	v_cmp_gt_i16_sdwa s[6:7], v11, s4 src0_sel:BYTE_0 src1_sel:DWORD
	s_mov_b64 s[4:5], 0
                                        ; implicit-def: $sgpr10
	s_and_saveexec_b64 s[8:9], s[6:7]
	s_xor_b64 s[6:7], exec, s[8:9]
	s_cbranch_execnz .LBB53_3213
; %bb.1165:
	s_or_saveexec_b64 s[6:7], s[6:7]
	v_mov_b32_e32 v12, s10
	s_xor_b64 exec, exec, s[6:7]
	s_cbranch_execnz .LBB53_3216
.LBB53_1166:
	s_or_b64 exec, exec, s[6:7]
	s_and_saveexec_b64 s[6:7], s[4:5]
	s_cbranch_execz .LBB53_1168
.LBB53_1167:
	v_bfe_u32 v12, v2, 8, 3
	v_ffbh_u32_e32 v14, v12
	v_min_u32_e32 v14, 32, v14
	v_lshrrev_b16_e32 v13, 3, v11
	v_subrev_u32_e32 v15, 28, v14
	v_and_b32_e32 v13, 15, v13
	v_lshlrev_b32_e32 v11, v15, v11
	v_sub_u32_e32 v14, 29, v14
	v_and_b32_e32 v11, 7, v11
	v_cmp_eq_u16_e32 vcc, 0, v13
	v_cndmask_b32_e32 v11, v12, v11, vcc
	v_cndmask_b32_e32 v12, v13, v14, vcc
	v_lshlrev_b32_e32 v13, 16, v2
	v_mov_b32_e32 v14, 0x3b800000
	v_lshlrev_b32_e32 v11, 20, v11
	v_and_b32_e32 v13, 0x80000000, v13
	v_lshl_add_u32 v12, v12, 23, v14
	v_or3_b32 v12, v13, v12, v11
.LBB53_1168:
	s_or_b64 exec, exec, s[6:7]
	s_nop 0
	v_mfma_f32_16x16x4f32 a[0:3], v10, v12, a[0:3]
	s_movk_i32 s4, 0xff
	v_and_b32_sdwa v11, v6, s4 dst_sel:DWORD dst_unused:UNUSED_PAD src0_sel:WORD_1 src1_sel:DWORD
	s_movk_i32 s4, 0x7f
	v_cmp_lt_i16_e32 vcc, s4, v11
	s_mov_b64 s[4:5], 0
                                        ; implicit-def: $sgpr10
	s_and_saveexec_b64 s[6:7], vcc
	s_xor_b64 s[6:7], exec, s[6:7]
	s_cbranch_execnz .LBB53_3217
; %bb.1169:
	s_or_saveexec_b64 s[6:7], s[6:7]
	v_mov_b32_e32 v10, s10
	s_xor_b64 exec, exec, s[6:7]
	s_cbranch_execnz .LBB53_3220
.LBB53_1170:
	s_or_b64 exec, exec, s[6:7]
	s_and_saveexec_b64 s[6:7], s[4:5]
	s_cbranch_execz .LBB53_1172
.LBB53_1171:
	v_bfe_u32 v10, v6, 16, 3
	v_ffbh_u32_e32 v13, v10
	v_min_u32_e32 v13, 32, v13
	v_lshrrev_b32_e32 v11, 19, v6
	v_subrev_u32_e32 v14, 28, v13
	v_and_b32_e32 v11, 15, v11
	v_lshlrev_b32_sdwa v14, v14, v6 dst_sel:DWORD dst_unused:UNUSED_PAD src0_sel:DWORD src1_sel:WORD_1
	v_bfe_u32 v12, v6, 19, 4
	v_sub_u32_e32 v13, 29, v13
	v_and_b32_e32 v14, 7, v14
	v_cmp_eq_u16_e32 vcc, 0, v11
	v_cndmask_b32_e32 v10, v10, v14, vcc
	v_cndmask_b32_e32 v11, v12, v13, vcc
	v_lshlrev_b32_e32 v12, 8, v6
	v_mov_b32_e32 v13, 0x3b800000
	v_lshlrev_b32_e32 v10, 20, v10
	v_and_b32_e32 v12, 0x80000000, v12
	v_lshl_add_u32 v11, v11, 23, v13
	v_or3_b32 v10, v12, v11, v10
.LBB53_1172:
	s_or_b64 exec, exec, s[6:7]
	s_movk_i32 s4, 0xff
	v_and_b32_sdwa v11, v2, s4 dst_sel:DWORD dst_unused:UNUSED_PAD src0_sel:WORD_1 src1_sel:DWORD
	s_movk_i32 s4, 0x7f
	v_cmp_lt_i16_e32 vcc, s4, v11
	s_mov_b64 s[4:5], 0
                                        ; implicit-def: $sgpr10
	s_and_saveexec_b64 s[6:7], vcc
	s_xor_b64 s[6:7], exec, s[6:7]
	s_cbranch_execnz .LBB53_3221
; %bb.1173:
	s_or_saveexec_b64 s[6:7], s[6:7]
	v_mov_b32_e32 v12, s10
	s_xor_b64 exec, exec, s[6:7]
	s_cbranch_execnz .LBB53_3224
.LBB53_1174:
	s_or_b64 exec, exec, s[6:7]
	s_and_saveexec_b64 s[6:7], s[4:5]
	s_cbranch_execz .LBB53_1176
.LBB53_1175:
	v_bfe_u32 v11, v2, 16, 3
	v_ffbh_u32_e32 v14, v11
	v_min_u32_e32 v14, 32, v14
	v_lshrrev_b32_e32 v12, 19, v2
	v_subrev_u32_e32 v15, 28, v14
	v_and_b32_e32 v12, 15, v12
	v_lshlrev_b32_sdwa v15, v15, v2 dst_sel:DWORD dst_unused:UNUSED_PAD src0_sel:DWORD src1_sel:WORD_1
	v_bfe_u32 v13, v2, 19, 4
	v_sub_u32_e32 v14, 29, v14
	v_and_b32_e32 v15, 7, v15
	v_cmp_eq_u16_e32 vcc, 0, v12
	v_cndmask_b32_e32 v11, v11, v15, vcc
	v_cndmask_b32_e32 v12, v13, v14, vcc
	v_lshlrev_b32_e32 v13, 8, v2
	v_mov_b32_e32 v14, 0x3b800000
	v_lshlrev_b32_e32 v11, 20, v11
	v_and_b32_e32 v13, 0x80000000, v13
	v_lshl_add_u32 v12, v12, 23, v14
	v_or3_b32 v12, v13, v12, v11
.LBB53_1176:
	s_or_b64 exec, exec, s[6:7]
	s_nop 0
	v_mfma_f32_16x16x4f32 a[0:3], v10, v12, a[0:3]
	s_movk_i32 s4, 0x7f
	v_cmp_gt_i16_sdwa s[6:7], v6, s4 src0_sel:BYTE_3 src1_sel:DWORD
	s_mov_b64 s[4:5], 0
                                        ; implicit-def: $sgpr10
	s_and_saveexec_b64 s[8:9], s[6:7]
	s_xor_b64 s[6:7], exec, s[8:9]
	s_cbranch_execnz .LBB53_3225
; %bb.1177:
	s_or_saveexec_b64 s[6:7], s[6:7]
	v_mov_b32_e32 v10, s10
	s_xor_b64 exec, exec, s[6:7]
	s_cbranch_execnz .LBB53_3228
.LBB53_1178:
	s_or_b64 exec, exec, s[6:7]
	s_and_saveexec_b64 s[6:7], s[4:5]
	s_cbranch_execz .LBB53_1180
.LBB53_1179:
	v_bfe_u32 v10, v6, 24, 3
	v_ffbh_u32_e32 v14, v10
	v_min_u32_e32 v14, 32, v14
	v_lshrrev_b32_e32 v12, 27, v6
	v_subrev_u32_e32 v15, 28, v14
	v_and_b32_e32 v11, 0x80000000, v6
	v_and_b32_e32 v12, 15, v12
	v_bfe_u32 v13, v6, 27, 4
	v_lshlrev_b32_sdwa v6, v15, v6 dst_sel:DWORD dst_unused:UNUSED_PAD src0_sel:DWORD src1_sel:BYTE_3
	v_sub_u32_e32 v14, 29, v14
	v_and_b32_e32 v6, 7, v6
	v_cmp_eq_u16_e32 vcc, 0, v12
	v_cndmask_b32_e32 v6, v10, v6, vcc
	v_cndmask_b32_e32 v10, v13, v14, vcc
	v_mov_b32_e32 v12, 0x3b800000
	v_lshlrev_b32_e32 v6, 20, v6
	v_lshl_add_u32 v10, v10, 23, v12
	v_or3_b32 v10, v11, v10, v6
.LBB53_1180:
	s_or_b64 exec, exec, s[6:7]
	s_movk_i32 s4, 0x7f
	v_cmp_gt_i16_sdwa s[6:7], v2, s4 src0_sel:BYTE_3 src1_sel:DWORD
	s_mov_b64 s[4:5], 0
                                        ; implicit-def: $sgpr10
	s_and_saveexec_b64 s[8:9], s[6:7]
	s_xor_b64 s[6:7], exec, s[8:9]
	s_cbranch_execnz .LBB53_3229
; %bb.1181:
	s_or_saveexec_b64 s[6:7], s[6:7]
	v_mov_b32_e32 v6, s10
	s_xor_b64 exec, exec, s[6:7]
	s_cbranch_execnz .LBB53_3232
.LBB53_1182:
	s_or_b64 exec, exec, s[6:7]
	s_and_saveexec_b64 s[6:7], s[4:5]
	s_cbranch_execz .LBB53_1184
.LBB53_1183:
	v_bfe_u32 v6, v2, 24, 3
	v_ffbh_u32_e32 v14, v6
	v_min_u32_e32 v14, 32, v14
	v_lshrrev_b32_e32 v12, 27, v2
	v_subrev_u32_e32 v15, 28, v14
	v_and_b32_e32 v11, 0x80000000, v2
	v_and_b32_e32 v12, 15, v12
	v_bfe_u32 v13, v2, 27, 4
	v_lshlrev_b32_sdwa v2, v15, v2 dst_sel:DWORD dst_unused:UNUSED_PAD src0_sel:DWORD src1_sel:BYTE_3
	v_sub_u32_e32 v14, 29, v14
	v_and_b32_e32 v2, 7, v2
	v_cmp_eq_u16_e32 vcc, 0, v12
	v_cndmask_b32_e32 v2, v6, v2, vcc
	v_cndmask_b32_e32 v6, v13, v14, vcc
	v_mov_b32_e32 v12, 0x3b800000
	v_lshlrev_b32_e32 v2, 20, v2
	v_lshl_add_u32 v6, v6, 23, v12
	v_or3_b32 v6, v11, v6, v2
.LBB53_1184:
	s_or_b64 exec, exec, s[6:7]
	s_nop 0
	v_mfma_f32_16x16x4f32 a[0:3], v10, v6, a[0:3]
	s_movk_i32 s4, 0x7f
	v_cmp_gt_i16_sdwa s[6:7], v7, s4 src0_sel:BYTE_0 src1_sel:DWORD
	s_mov_b64 s[4:5], 0
                                        ; implicit-def: $sgpr10
	s_and_saveexec_b64 s[8:9], s[6:7]
	s_xor_b64 s[6:7], exec, s[8:9]
	s_cbranch_execnz .LBB53_3233
; %bb.1185:
	s_or_saveexec_b64 s[6:7], s[6:7]
	v_mov_b32_e32 v2, s10
	s_xor_b64 exec, exec, s[6:7]
	s_cbranch_execnz .LBB53_3236
.LBB53_1186:
	s_or_b64 exec, exec, s[6:7]
	s_and_saveexec_b64 s[6:7], s[4:5]
	s_cbranch_execz .LBB53_1188
.LBB53_1187:
	v_and_b32_e32 v2, 7, v7
	v_ffbh_u32_e32 v10, v2
	v_min_u32_e32 v10, 32, v10
	v_lshrrev_b16_e32 v6, 3, v7
	v_subrev_u32_e32 v11, 28, v10
	v_and_b32_e32 v6, 15, v6
	v_lshlrev_b32_e32 v11, v11, v7
	v_sub_u32_e32 v10, 29, v10
	v_and_b32_e32 v11, 7, v11
	v_cmp_eq_u16_e32 vcc, 0, v6
	v_cndmask_b32_e32 v2, v2, v11, vcc
	v_cndmask_b32_e32 v6, v6, v10, vcc
	v_lshlrev_b32_e32 v10, 24, v7
	v_mov_b32_e32 v11, 0x3b800000
	v_lshlrev_b32_e32 v2, 20, v2
	v_and_b32_e32 v10, 0x80000000, v10
	v_lshl_add_u32 v6, v6, 23, v11
	v_or3_b32 v2, v10, v6, v2
.LBB53_1188:
	s_or_b64 exec, exec, s[6:7]
	s_movk_i32 s4, 0x7f
	v_cmp_gt_i16_sdwa s[6:7], v3, s4 src0_sel:BYTE_0 src1_sel:DWORD
	s_mov_b64 s[4:5], 0
                                        ; implicit-def: $sgpr10
	s_and_saveexec_b64 s[8:9], s[6:7]
	s_xor_b64 s[6:7], exec, s[8:9]
	s_cbranch_execnz .LBB53_3237
; %bb.1189:
	s_or_saveexec_b64 s[6:7], s[6:7]
	v_mov_b32_e32 v6, s10
	s_xor_b64 exec, exec, s[6:7]
	s_cbranch_execnz .LBB53_3240
.LBB53_1190:
	s_or_b64 exec, exec, s[6:7]
	s_and_saveexec_b64 s[6:7], s[4:5]
	s_cbranch_execz .LBB53_1192
.LBB53_1191:
	v_and_b32_e32 v6, 7, v3
	v_ffbh_u32_e32 v11, v6
	v_min_u32_e32 v11, 32, v11
	v_lshrrev_b16_e32 v10, 3, v3
	v_subrev_u32_e32 v12, 28, v11
	v_and_b32_e32 v10, 15, v10
	v_lshlrev_b32_e32 v12, v12, v3
	v_sub_u32_e32 v11, 29, v11
	v_and_b32_e32 v12, 7, v12
	v_cmp_eq_u16_e32 vcc, 0, v10
	v_cndmask_b32_e32 v6, v6, v12, vcc
	v_cndmask_b32_e32 v10, v10, v11, vcc
	v_lshlrev_b32_e32 v11, 24, v3
	v_mov_b32_e32 v12, 0x3b800000
	v_lshlrev_b32_e32 v6, 20, v6
	v_and_b32_e32 v11, 0x80000000, v11
	v_lshl_add_u32 v10, v10, 23, v12
	v_or3_b32 v6, v11, v10, v6
.LBB53_1192:
	s_or_b64 exec, exec, s[6:7]
	s_nop 0
	v_mfma_f32_16x16x4f32 a[0:3], v2, v6, a[0:3]
	v_lshrrev_b32_e32 v6, 8, v7
	s_movk_i32 s4, 0x7f
	v_cmp_gt_i16_sdwa s[6:7], v6, s4 src0_sel:BYTE_0 src1_sel:DWORD
	s_mov_b64 s[4:5], 0
                                        ; implicit-def: $sgpr10
	s_and_saveexec_b64 s[8:9], s[6:7]
	s_xor_b64 s[6:7], exec, s[8:9]
	s_cbranch_execnz .LBB53_3241
; %bb.1193:
	s_or_saveexec_b64 s[6:7], s[6:7]
	v_mov_b32_e32 v2, s10
	s_xor_b64 exec, exec, s[6:7]
	s_cbranch_execnz .LBB53_3244
.LBB53_1194:
	s_or_b64 exec, exec, s[6:7]
	s_and_saveexec_b64 s[6:7], s[4:5]
	s_cbranch_execz .LBB53_1196
.LBB53_1195:
	v_bfe_u32 v2, v7, 8, 3
	v_ffbh_u32_e32 v11, v2
	v_min_u32_e32 v11, 32, v11
	v_lshrrev_b16_e32 v10, 3, v6
	v_subrev_u32_e32 v12, 28, v11
	v_and_b32_e32 v10, 15, v10
	v_lshlrev_b32_e32 v6, v12, v6
	v_sub_u32_e32 v11, 29, v11
	v_and_b32_e32 v6, 7, v6
	v_cmp_eq_u16_e32 vcc, 0, v10
	v_cndmask_b32_e32 v2, v2, v6, vcc
	v_cndmask_b32_e32 v6, v10, v11, vcc
	v_lshlrev_b32_e32 v10, 16, v7
	v_mov_b32_e32 v11, 0x3b800000
	v_lshlrev_b32_e32 v2, 20, v2
	v_and_b32_e32 v10, 0x80000000, v10
	v_lshl_add_u32 v6, v6, 23, v11
	v_or3_b32 v2, v10, v6, v2
.LBB53_1196:
	s_or_b64 exec, exec, s[6:7]
	v_lshrrev_b32_e32 v6, 8, v3
	s_movk_i32 s4, 0x7f
	v_cmp_gt_i16_sdwa s[6:7], v6, s4 src0_sel:BYTE_0 src1_sel:DWORD
	s_mov_b64 s[4:5], 0
                                        ; implicit-def: $sgpr10
	s_and_saveexec_b64 s[8:9], s[6:7]
	s_xor_b64 s[6:7], exec, s[8:9]
	s_cbranch_execnz .LBB53_3245
; %bb.1197:
	s_or_saveexec_b64 s[6:7], s[6:7]
	v_mov_b32_e32 v10, s10
	s_xor_b64 exec, exec, s[6:7]
	s_cbranch_execnz .LBB53_3248
.LBB53_1198:
	s_or_b64 exec, exec, s[6:7]
	s_and_saveexec_b64 s[6:7], s[4:5]
	s_cbranch_execz .LBB53_1200
.LBB53_1199:
	v_bfe_u32 v10, v3, 8, 3
	v_ffbh_u32_e32 v12, v10
	v_min_u32_e32 v12, 32, v12
	v_lshrrev_b16_e32 v11, 3, v6
	v_subrev_u32_e32 v13, 28, v12
	v_and_b32_e32 v11, 15, v11
	v_lshlrev_b32_e32 v6, v13, v6
	v_sub_u32_e32 v12, 29, v12
	v_and_b32_e32 v6, 7, v6
	v_cmp_eq_u16_e32 vcc, 0, v11
	v_cndmask_b32_e32 v6, v10, v6, vcc
	v_cndmask_b32_e32 v10, v11, v12, vcc
	v_lshlrev_b32_e32 v11, 16, v3
	v_mov_b32_e32 v12, 0x3b800000
	v_lshlrev_b32_e32 v6, 20, v6
	v_and_b32_e32 v11, 0x80000000, v11
	v_lshl_add_u32 v10, v10, 23, v12
	v_or3_b32 v10, v11, v10, v6
.LBB53_1200:
	s_or_b64 exec, exec, s[6:7]
	s_nop 0
	v_mfma_f32_16x16x4f32 a[0:3], v2, v10, a[0:3]
	s_movk_i32 s4, 0xff
	v_and_b32_sdwa v6, v7, s4 dst_sel:DWORD dst_unused:UNUSED_PAD src0_sel:WORD_1 src1_sel:DWORD
	s_movk_i32 s4, 0x7f
	v_cmp_lt_i16_e32 vcc, s4, v6
	s_mov_b64 s[4:5], 0
                                        ; implicit-def: $sgpr10
	s_and_saveexec_b64 s[6:7], vcc
	s_xor_b64 s[6:7], exec, s[6:7]
	s_cbranch_execnz .LBB53_3249
; %bb.1201:
	s_or_saveexec_b64 s[6:7], s[6:7]
	v_mov_b32_e32 v2, s10
	s_xor_b64 exec, exec, s[6:7]
	s_cbranch_execnz .LBB53_3252
.LBB53_1202:
	s_or_b64 exec, exec, s[6:7]
	s_and_saveexec_b64 s[6:7], s[4:5]
	s_cbranch_execz .LBB53_1204
.LBB53_1203:
	v_bfe_u32 v2, v7, 16, 3
	v_ffbh_u32_e32 v11, v2
	v_min_u32_e32 v11, 32, v11
	v_lshrrev_b32_e32 v6, 19, v7
	v_subrev_u32_e32 v12, 28, v11
	v_and_b32_e32 v6, 15, v6
	v_lshlrev_b32_sdwa v12, v12, v7 dst_sel:DWORD dst_unused:UNUSED_PAD src0_sel:DWORD src1_sel:WORD_1
	v_bfe_u32 v10, v7, 19, 4
	v_sub_u32_e32 v11, 29, v11
	v_and_b32_e32 v12, 7, v12
	v_cmp_eq_u16_e32 vcc, 0, v6
	v_cndmask_b32_e32 v2, v2, v12, vcc
	v_cndmask_b32_e32 v6, v10, v11, vcc
	v_lshlrev_b32_e32 v10, 8, v7
	v_mov_b32_e32 v11, 0x3b800000
	v_lshlrev_b32_e32 v2, 20, v2
	v_and_b32_e32 v10, 0x80000000, v10
	v_lshl_add_u32 v6, v6, 23, v11
	v_or3_b32 v2, v10, v6, v2
.LBB53_1204:
	s_or_b64 exec, exec, s[6:7]
	s_movk_i32 s4, 0xff
	v_and_b32_sdwa v6, v3, s4 dst_sel:DWORD dst_unused:UNUSED_PAD src0_sel:WORD_1 src1_sel:DWORD
	s_movk_i32 s4, 0x7f
	v_cmp_lt_i16_e32 vcc, s4, v6
	s_mov_b64 s[4:5], 0
                                        ; implicit-def: $sgpr10
	s_and_saveexec_b64 s[6:7], vcc
	s_xor_b64 s[6:7], exec, s[6:7]
	s_cbranch_execnz .LBB53_3253
; %bb.1205:
	s_or_saveexec_b64 s[6:7], s[6:7]
	v_mov_b32_e32 v10, s10
	s_xor_b64 exec, exec, s[6:7]
	s_cbranch_execnz .LBB53_3256
.LBB53_1206:
	s_or_b64 exec, exec, s[6:7]
	s_and_saveexec_b64 s[6:7], s[4:5]
	s_cbranch_execz .LBB53_1208
.LBB53_1207:
	v_bfe_u32 v6, v3, 16, 3
	v_ffbh_u32_e32 v12, v6
	v_min_u32_e32 v12, 32, v12
	v_lshrrev_b32_e32 v10, 19, v3
	v_subrev_u32_e32 v13, 28, v12
	v_and_b32_e32 v10, 15, v10
	v_lshlrev_b32_sdwa v13, v13, v3 dst_sel:DWORD dst_unused:UNUSED_PAD src0_sel:DWORD src1_sel:WORD_1
	v_bfe_u32 v11, v3, 19, 4
	v_sub_u32_e32 v12, 29, v12
	v_and_b32_e32 v13, 7, v13
	v_cmp_eq_u16_e32 vcc, 0, v10
	v_cndmask_b32_e32 v6, v6, v13, vcc
	v_cndmask_b32_e32 v10, v11, v12, vcc
	v_lshlrev_b32_e32 v11, 8, v3
	v_mov_b32_e32 v12, 0x3b800000
	v_lshlrev_b32_e32 v6, 20, v6
	v_and_b32_e32 v11, 0x80000000, v11
	v_lshl_add_u32 v10, v10, 23, v12
	v_or3_b32 v10, v11, v10, v6
.LBB53_1208:
	s_or_b64 exec, exec, s[6:7]
	s_nop 0
	v_mfma_f32_16x16x4f32 a[0:3], v2, v10, a[0:3]
	s_movk_i32 s4, 0x7f
	v_cmp_gt_i16_sdwa s[6:7], v7, s4 src0_sel:BYTE_3 src1_sel:DWORD
	s_mov_b64 s[4:5], 0
                                        ; implicit-def: $sgpr10
	s_and_saveexec_b64 s[8:9], s[6:7]
	s_xor_b64 s[6:7], exec, s[8:9]
	s_cbranch_execnz .LBB53_3257
; %bb.1209:
	s_or_saveexec_b64 s[6:7], s[6:7]
	v_mov_b32_e32 v2, s10
	s_xor_b64 exec, exec, s[6:7]
	s_cbranch_execnz .LBB53_3260
.LBB53_1210:
	s_or_b64 exec, exec, s[6:7]
	s_and_saveexec_b64 s[6:7], s[4:5]
	s_cbranch_execz .LBB53_1212
.LBB53_1211:
	v_bfe_u32 v2, v7, 24, 3
	v_ffbh_u32_e32 v12, v2
	v_min_u32_e32 v12, 32, v12
	v_lshrrev_b32_e32 v10, 27, v7
	v_subrev_u32_e32 v13, 28, v12
	v_and_b32_e32 v6, 0x80000000, v7
	v_and_b32_e32 v10, 15, v10
	v_bfe_u32 v11, v7, 27, 4
	v_lshlrev_b32_sdwa v7, v13, v7 dst_sel:DWORD dst_unused:UNUSED_PAD src0_sel:DWORD src1_sel:BYTE_3
	v_sub_u32_e32 v12, 29, v12
	v_and_b32_e32 v7, 7, v7
	v_cmp_eq_u16_e32 vcc, 0, v10
	v_cndmask_b32_e32 v2, v2, v7, vcc
	v_cndmask_b32_e32 v7, v11, v12, vcc
	v_mov_b32_e32 v10, 0x3b800000
	v_lshlrev_b32_e32 v2, 20, v2
	v_lshl_add_u32 v7, v7, 23, v10
	v_or3_b32 v2, v6, v7, v2
.LBB53_1212:
	s_or_b64 exec, exec, s[6:7]
	s_movk_i32 s4, 0x7f
	v_cmp_gt_i16_sdwa s[6:7], v3, s4 src0_sel:BYTE_3 src1_sel:DWORD
	s_mov_b64 s[4:5], 0
                                        ; implicit-def: $sgpr10
	s_and_saveexec_b64 s[8:9], s[6:7]
	s_xor_b64 s[6:7], exec, s[8:9]
	s_cbranch_execnz .LBB53_3261
; %bb.1213:
	s_or_saveexec_b64 s[6:7], s[6:7]
	v_mov_b32_e32 v6, s10
	s_xor_b64 exec, exec, s[6:7]
	s_cbranch_execnz .LBB53_3264
.LBB53_1214:
	s_or_b64 exec, exec, s[6:7]
	s_and_saveexec_b64 s[6:7], s[4:5]
	s_cbranch_execz .LBB53_1216
.LBB53_1215:
	v_bfe_u32 v6, v3, 24, 3
	v_ffbh_u32_e32 v12, v6
	v_min_u32_e32 v12, 32, v12
	v_lshrrev_b32_e32 v10, 27, v3
	v_subrev_u32_e32 v13, 28, v12
	v_and_b32_e32 v7, 0x80000000, v3
	v_and_b32_e32 v10, 15, v10
	v_bfe_u32 v11, v3, 27, 4
	v_lshlrev_b32_sdwa v3, v13, v3 dst_sel:DWORD dst_unused:UNUSED_PAD src0_sel:DWORD src1_sel:BYTE_3
	v_sub_u32_e32 v12, 29, v12
	v_and_b32_e32 v3, 7, v3
	v_cmp_eq_u16_e32 vcc, 0, v10
	v_cndmask_b32_e32 v3, v6, v3, vcc
	v_cndmask_b32_e32 v6, v11, v12, vcc
	v_mov_b32_e32 v10, 0x3b800000
	v_lshlrev_b32_e32 v3, 20, v3
	v_lshl_add_u32 v6, v6, 23, v10
	v_or3_b32 v6, v7, v6, v3
.LBB53_1216:
	s_or_b64 exec, exec, s[6:7]
	s_nop 0
	v_mfma_f32_16x16x4f32 a[0:3], v2, v6, a[0:3]
	s_movk_i32 s4, 0x7f
	v_cmp_gt_i16_sdwa s[6:7], v8, s4 src0_sel:BYTE_0 src1_sel:DWORD
	s_mov_b64 s[4:5], 0
                                        ; implicit-def: $sgpr10
	s_and_saveexec_b64 s[8:9], s[6:7]
	s_xor_b64 s[6:7], exec, s[8:9]
	s_cbranch_execnz .LBB53_3265
; %bb.1217:
	s_or_saveexec_b64 s[6:7], s[6:7]
	v_mov_b32_e32 v2, s10
	s_xor_b64 exec, exec, s[6:7]
	s_cbranch_execnz .LBB53_3268
.LBB53_1218:
	s_or_b64 exec, exec, s[6:7]
	s_and_saveexec_b64 s[6:7], s[4:5]
	s_cbranch_execz .LBB53_1220
.LBB53_1219:
	v_and_b32_e32 v2, 7, v8
	v_ffbh_u32_e32 v6, v2
	v_min_u32_e32 v6, 32, v6
	v_lshrrev_b16_e32 v3, 3, v8
	v_subrev_u32_e32 v7, 28, v6
	v_and_b32_e32 v3, 15, v3
	v_lshlrev_b32_e32 v7, v7, v8
	v_sub_u32_e32 v6, 29, v6
	v_and_b32_e32 v7, 7, v7
	v_cmp_eq_u16_e32 vcc, 0, v3
	v_cndmask_b32_e32 v2, v2, v7, vcc
	v_cndmask_b32_e32 v3, v3, v6, vcc
	v_lshlrev_b32_e32 v6, 24, v8
	v_mov_b32_e32 v7, 0x3b800000
	v_lshlrev_b32_e32 v2, 20, v2
	v_and_b32_e32 v6, 0x80000000, v6
	v_lshl_add_u32 v3, v3, 23, v7
	v_or3_b32 v2, v6, v3, v2
.LBB53_1220:
	s_or_b64 exec, exec, s[6:7]
	s_movk_i32 s4, 0x7f
	v_cmp_gt_i16_sdwa s[6:7], v4, s4 src0_sel:BYTE_0 src1_sel:DWORD
	s_mov_b64 s[4:5], 0
                                        ; implicit-def: $sgpr10
	s_and_saveexec_b64 s[8:9], s[6:7]
	s_xor_b64 s[6:7], exec, s[8:9]
	s_cbranch_execnz .LBB53_3269
; %bb.1221:
	s_or_saveexec_b64 s[6:7], s[6:7]
	v_mov_b32_e32 v3, s10
	s_xor_b64 exec, exec, s[6:7]
	s_cbranch_execnz .LBB53_3272
.LBB53_1222:
	s_or_b64 exec, exec, s[6:7]
	s_and_saveexec_b64 s[6:7], s[4:5]
	s_cbranch_execz .LBB53_1224
.LBB53_1223:
	v_and_b32_e32 v3, 7, v4
	v_ffbh_u32_e32 v7, v3
	v_min_u32_e32 v7, 32, v7
	v_lshrrev_b16_e32 v6, 3, v4
	v_subrev_u32_e32 v10, 28, v7
	v_and_b32_e32 v6, 15, v6
	v_lshlrev_b32_e32 v10, v10, v4
	v_sub_u32_e32 v7, 29, v7
	v_and_b32_e32 v10, 7, v10
	v_cmp_eq_u16_e32 vcc, 0, v6
	v_cndmask_b32_e32 v3, v3, v10, vcc
	v_cndmask_b32_e32 v6, v6, v7, vcc
	v_lshlrev_b32_e32 v7, 24, v4
	v_mov_b32_e32 v10, 0x3b800000
	v_lshlrev_b32_e32 v3, 20, v3
	v_and_b32_e32 v7, 0x80000000, v7
	v_lshl_add_u32 v6, v6, 23, v10
	v_or3_b32 v3, v7, v6, v3
.LBB53_1224:
	s_or_b64 exec, exec, s[6:7]
	s_nop 0
	v_mfma_f32_16x16x4f32 a[0:3], v2, v3, a[0:3]
	v_lshrrev_b32_e32 v3, 8, v8
	s_movk_i32 s4, 0x7f
	v_cmp_gt_i16_sdwa s[6:7], v3, s4 src0_sel:BYTE_0 src1_sel:DWORD
	s_mov_b64 s[4:5], 0
                                        ; implicit-def: $sgpr10
	s_and_saveexec_b64 s[8:9], s[6:7]
	s_xor_b64 s[6:7], exec, s[8:9]
	s_cbranch_execnz .LBB53_3273
; %bb.1225:
	s_or_saveexec_b64 s[6:7], s[6:7]
	v_mov_b32_e32 v2, s10
	s_xor_b64 exec, exec, s[6:7]
	s_cbranch_execnz .LBB53_3276
.LBB53_1226:
	s_or_b64 exec, exec, s[6:7]
	s_and_saveexec_b64 s[6:7], s[4:5]
	s_cbranch_execz .LBB53_1228
.LBB53_1227:
	v_bfe_u32 v2, v8, 8, 3
	v_ffbh_u32_e32 v7, v2
	v_min_u32_e32 v7, 32, v7
	v_lshrrev_b16_e32 v6, 3, v3
	v_subrev_u32_e32 v10, 28, v7
	v_and_b32_e32 v6, 15, v6
	v_lshlrev_b32_e32 v3, v10, v3
	v_sub_u32_e32 v7, 29, v7
	v_and_b32_e32 v3, 7, v3
	v_cmp_eq_u16_e32 vcc, 0, v6
	v_cndmask_b32_e32 v2, v2, v3, vcc
	v_cndmask_b32_e32 v3, v6, v7, vcc
	v_lshlrev_b32_e32 v6, 16, v8
	v_mov_b32_e32 v7, 0x3b800000
	v_lshlrev_b32_e32 v2, 20, v2
	v_and_b32_e32 v6, 0x80000000, v6
	v_lshl_add_u32 v3, v3, 23, v7
	v_or3_b32 v2, v6, v3, v2
.LBB53_1228:
	s_or_b64 exec, exec, s[6:7]
	v_lshrrev_b32_e32 v3, 8, v4
	s_movk_i32 s4, 0x7f
	v_cmp_gt_i16_sdwa s[6:7], v3, s4 src0_sel:BYTE_0 src1_sel:DWORD
	s_mov_b64 s[4:5], 0
                                        ; implicit-def: $sgpr10
	s_and_saveexec_b64 s[8:9], s[6:7]
	s_xor_b64 s[6:7], exec, s[8:9]
	s_cbranch_execnz .LBB53_3277
; %bb.1229:
	s_or_saveexec_b64 s[6:7], s[6:7]
	v_mov_b32_e32 v6, s10
	s_xor_b64 exec, exec, s[6:7]
	s_cbranch_execnz .LBB53_3280
.LBB53_1230:
	s_or_b64 exec, exec, s[6:7]
	s_and_saveexec_b64 s[6:7], s[4:5]
	s_cbranch_execz .LBB53_1232
.LBB53_1231:
	v_bfe_u32 v6, v4, 8, 3
	v_ffbh_u32_e32 v10, v6
	v_min_u32_e32 v10, 32, v10
	v_lshrrev_b16_e32 v7, 3, v3
	v_subrev_u32_e32 v11, 28, v10
	v_and_b32_e32 v7, 15, v7
	v_lshlrev_b32_e32 v3, v11, v3
	v_sub_u32_e32 v10, 29, v10
	v_and_b32_e32 v3, 7, v3
	v_cmp_eq_u16_e32 vcc, 0, v7
	v_cndmask_b32_e32 v3, v6, v3, vcc
	v_cndmask_b32_e32 v6, v7, v10, vcc
	v_lshlrev_b32_e32 v7, 16, v4
	v_mov_b32_e32 v10, 0x3b800000
	v_lshlrev_b32_e32 v3, 20, v3
	v_and_b32_e32 v7, 0x80000000, v7
	v_lshl_add_u32 v6, v6, 23, v10
	v_or3_b32 v6, v7, v6, v3
.LBB53_1232:
	s_or_b64 exec, exec, s[6:7]
	s_nop 0
	v_mfma_f32_16x16x4f32 a[0:3], v2, v6, a[0:3]
	s_movk_i32 s4, 0xff
	v_and_b32_sdwa v3, v8, s4 dst_sel:DWORD dst_unused:UNUSED_PAD src0_sel:WORD_1 src1_sel:DWORD
	s_movk_i32 s4, 0x7f
	v_cmp_lt_i16_e32 vcc, s4, v3
	s_mov_b64 s[4:5], 0
                                        ; implicit-def: $sgpr10
	s_and_saveexec_b64 s[6:7], vcc
	s_xor_b64 s[6:7], exec, s[6:7]
	s_cbranch_execnz .LBB53_3281
; %bb.1233:
	s_or_saveexec_b64 s[6:7], s[6:7]
	v_mov_b32_e32 v2, s10
	s_xor_b64 exec, exec, s[6:7]
	s_cbranch_execnz .LBB53_3284
.LBB53_1234:
	s_or_b64 exec, exec, s[6:7]
	s_and_saveexec_b64 s[6:7], s[4:5]
	s_cbranch_execz .LBB53_1236
.LBB53_1235:
	v_bfe_u32 v2, v8, 16, 3
	v_ffbh_u32_e32 v7, v2
	v_min_u32_e32 v7, 32, v7
	v_lshrrev_b32_e32 v3, 19, v8
	v_subrev_u32_e32 v10, 28, v7
	v_and_b32_e32 v3, 15, v3
	v_lshlrev_b32_sdwa v10, v10, v8 dst_sel:DWORD dst_unused:UNUSED_PAD src0_sel:DWORD src1_sel:WORD_1
	v_bfe_u32 v6, v8, 19, 4
	v_sub_u32_e32 v7, 29, v7
	v_and_b32_e32 v10, 7, v10
	v_cmp_eq_u16_e32 vcc, 0, v3
	v_cndmask_b32_e32 v2, v2, v10, vcc
	v_cndmask_b32_e32 v3, v6, v7, vcc
	v_lshlrev_b32_e32 v6, 8, v8
	v_mov_b32_e32 v7, 0x3b800000
	v_lshlrev_b32_e32 v2, 20, v2
	v_and_b32_e32 v6, 0x80000000, v6
	v_lshl_add_u32 v3, v3, 23, v7
	v_or3_b32 v2, v6, v3, v2
.LBB53_1236:
	s_or_b64 exec, exec, s[6:7]
	s_movk_i32 s4, 0xff
	v_and_b32_sdwa v3, v4, s4 dst_sel:DWORD dst_unused:UNUSED_PAD src0_sel:WORD_1 src1_sel:DWORD
	s_movk_i32 s4, 0x7f
	v_cmp_lt_i16_e32 vcc, s4, v3
	s_mov_b64 s[4:5], 0
                                        ; implicit-def: $sgpr10
	s_and_saveexec_b64 s[6:7], vcc
	s_xor_b64 s[6:7], exec, s[6:7]
	s_cbranch_execnz .LBB53_3285
; %bb.1237:
	s_or_saveexec_b64 s[6:7], s[6:7]
	v_mov_b32_e32 v6, s10
	s_xor_b64 exec, exec, s[6:7]
	s_cbranch_execnz .LBB53_3288
.LBB53_1238:
	s_or_b64 exec, exec, s[6:7]
	s_and_saveexec_b64 s[6:7], s[4:5]
	s_cbranch_execz .LBB53_1240
.LBB53_1239:
	v_bfe_u32 v3, v4, 16, 3
	v_ffbh_u32_e32 v10, v3
	v_min_u32_e32 v10, 32, v10
	v_lshrrev_b32_e32 v6, 19, v4
	v_subrev_u32_e32 v11, 28, v10
	v_and_b32_e32 v6, 15, v6
	v_lshlrev_b32_sdwa v11, v11, v4 dst_sel:DWORD dst_unused:UNUSED_PAD src0_sel:DWORD src1_sel:WORD_1
	v_bfe_u32 v7, v4, 19, 4
	v_sub_u32_e32 v10, 29, v10
	v_and_b32_e32 v11, 7, v11
	v_cmp_eq_u16_e32 vcc, 0, v6
	v_cndmask_b32_e32 v3, v3, v11, vcc
	v_cndmask_b32_e32 v6, v7, v10, vcc
	v_lshlrev_b32_e32 v7, 8, v4
	v_mov_b32_e32 v10, 0x3b800000
	v_lshlrev_b32_e32 v3, 20, v3
	v_and_b32_e32 v7, 0x80000000, v7
	v_lshl_add_u32 v6, v6, 23, v10
	v_or3_b32 v6, v7, v6, v3
.LBB53_1240:
	s_or_b64 exec, exec, s[6:7]
	s_nop 0
	v_mfma_f32_16x16x4f32 a[0:3], v2, v6, a[0:3]
	s_movk_i32 s4, 0x7f
	v_cmp_gt_i16_sdwa s[6:7], v8, s4 src0_sel:BYTE_3 src1_sel:DWORD
	s_mov_b64 s[4:5], 0
                                        ; implicit-def: $sgpr10
	s_and_saveexec_b64 s[8:9], s[6:7]
	s_xor_b64 s[6:7], exec, s[8:9]
	s_cbranch_execnz .LBB53_3289
; %bb.1241:
	s_or_saveexec_b64 s[6:7], s[6:7]
	v_mov_b32_e32 v2, s10
	s_xor_b64 exec, exec, s[6:7]
	s_cbranch_execnz .LBB53_3292
.LBB53_1242:
	s_or_b64 exec, exec, s[6:7]
	s_and_saveexec_b64 s[6:7], s[4:5]
	s_cbranch_execz .LBB53_1244
.LBB53_1243:
	v_bfe_u32 v2, v8, 24, 3
	v_ffbh_u32_e32 v10, v2
	v_min_u32_e32 v10, 32, v10
	v_lshrrev_b32_e32 v6, 27, v8
	v_subrev_u32_e32 v11, 28, v10
	v_and_b32_e32 v3, 0x80000000, v8
	v_and_b32_e32 v6, 15, v6
	v_bfe_u32 v7, v8, 27, 4
	v_lshlrev_b32_sdwa v8, v11, v8 dst_sel:DWORD dst_unused:UNUSED_PAD src0_sel:DWORD src1_sel:BYTE_3
	v_sub_u32_e32 v10, 29, v10
	v_and_b32_e32 v8, 7, v8
	v_cmp_eq_u16_e32 vcc, 0, v6
	v_cndmask_b32_e32 v2, v2, v8, vcc
	v_cndmask_b32_e32 v6, v7, v10, vcc
	v_mov_b32_e32 v7, 0x3b800000
	v_lshlrev_b32_e32 v2, 20, v2
	v_lshl_add_u32 v6, v6, 23, v7
	v_or3_b32 v2, v3, v6, v2
.LBB53_1244:
	s_or_b64 exec, exec, s[6:7]
	s_movk_i32 s4, 0x7f
	v_cmp_gt_i16_sdwa s[6:7], v4, s4 src0_sel:BYTE_3 src1_sel:DWORD
	s_mov_b64 s[4:5], 0
                                        ; implicit-def: $sgpr10
	s_and_saveexec_b64 s[8:9], s[6:7]
	s_xor_b64 s[6:7], exec, s[8:9]
	s_cbranch_execnz .LBB53_3293
; %bb.1245:
	s_or_saveexec_b64 s[6:7], s[6:7]
	v_mov_b32_e32 v3, s10
	s_xor_b64 exec, exec, s[6:7]
	s_cbranch_execnz .LBB53_3296
.LBB53_1246:
	s_or_b64 exec, exec, s[6:7]
	s_and_saveexec_b64 s[6:7], s[4:5]
	s_cbranch_execz .LBB53_1248
.LBB53_1247:
	v_bfe_u32 v3, v4, 24, 3
	v_ffbh_u32_e32 v10, v3
	v_min_u32_e32 v10, 32, v10
	v_lshrrev_b32_e32 v7, 27, v4
	v_subrev_u32_e32 v11, 28, v10
	v_and_b32_e32 v6, 0x80000000, v4
	v_and_b32_e32 v7, 15, v7
	v_bfe_u32 v8, v4, 27, 4
	v_lshlrev_b32_sdwa v4, v11, v4 dst_sel:DWORD dst_unused:UNUSED_PAD src0_sel:DWORD src1_sel:BYTE_3
	v_sub_u32_e32 v10, 29, v10
	v_and_b32_e32 v4, 7, v4
	v_cmp_eq_u16_e32 vcc, 0, v7
	v_cndmask_b32_e32 v3, v3, v4, vcc
	v_cndmask_b32_e32 v4, v8, v10, vcc
	v_mov_b32_e32 v7, 0x3b800000
	v_lshlrev_b32_e32 v3, 20, v3
	v_lshl_add_u32 v4, v4, 23, v7
	v_or3_b32 v3, v6, v4, v3
.LBB53_1248:
	s_or_b64 exec, exec, s[6:7]
	s_nop 0
	v_mfma_f32_16x16x4f32 a[0:3], v2, v3, a[0:3]
	s_movk_i32 s4, 0x7f
	v_cmp_gt_i16_sdwa s[6:7], v9, s4 src0_sel:BYTE_0 src1_sel:DWORD
	s_mov_b64 s[4:5], 0
                                        ; implicit-def: $sgpr10
	s_and_saveexec_b64 s[8:9], s[6:7]
	s_xor_b64 s[6:7], exec, s[8:9]
	s_cbranch_execnz .LBB53_3297
; %bb.1249:
	s_or_saveexec_b64 s[6:7], s[6:7]
	v_mov_b32_e32 v2, s10
	s_xor_b64 exec, exec, s[6:7]
	s_cbranch_execnz .LBB53_3300
.LBB53_1250:
	s_or_b64 exec, exec, s[6:7]
	s_and_saveexec_b64 s[6:7], s[4:5]
	s_cbranch_execz .LBB53_1252
.LBB53_1251:
	v_mov_b32_e32 v2, 8
	v_and_b32_e32 v3, 7, v9
	v_lshrrev_b32_sdwa v2, v2, v9 dst_sel:BYTE_1 dst_unused:UNUSED_PAD src0_sel:DWORD src1_sel:DWORD
	v_ffbh_u32_e32 v4, v3
	v_or_b32_sdwa v2, v9, v2 dst_sel:DWORD dst_unused:UNUSED_PAD src0_sel:BYTE_0 src1_sel:DWORD
	v_min_u32_e32 v4, 32, v4
	v_lshrrev_b16_e32 v2, 3, v2
	v_subrev_u32_e32 v6, 28, v4
	v_and_b32_e32 v2, 15, v2
	v_lshlrev_b32_e32 v6, v6, v9
	v_sub_u32_e32 v4, 29, v4
	v_and_b32_e32 v6, 7, v6
	v_cmp_eq_u16_e32 vcc, 0, v2
	v_cndmask_b32_e32 v3, v3, v6, vcc
	v_cndmask_b32_e32 v2, v2, v4, vcc
	v_lshlrev_b32_e32 v4, 24, v9
	v_mov_b32_e32 v6, 0x3b800000
	v_lshlrev_b32_e32 v3, 20, v3
	v_and_b32_e32 v4, 0x80000000, v4
	v_lshl_add_u32 v2, v2, 23, v6
	v_or3_b32 v2, v4, v2, v3
.LBB53_1252:
	s_or_b64 exec, exec, s[6:7]
	s_movk_i32 s4, 0x7f
	v_cmp_gt_i16_sdwa s[6:7], v5, s4 src0_sel:BYTE_0 src1_sel:DWORD
	s_mov_b64 s[4:5], 0
                                        ; implicit-def: $sgpr10
	s_and_saveexec_b64 s[8:9], s[6:7]
	s_xor_b64 s[6:7], exec, s[8:9]
	s_cbranch_execnz .LBB53_3301
; %bb.1253:
	s_or_saveexec_b64 s[6:7], s[6:7]
	v_mov_b32_e32 v3, s10
	s_xor_b64 exec, exec, s[6:7]
	s_cbranch_execnz .LBB53_3304
.LBB53_1254:
	s_or_b64 exec, exec, s[6:7]
	s_and_saveexec_b64 s[6:7], s[4:5]
	s_cbranch_execz .LBB53_1256
.LBB53_1255:
	v_mov_b32_e32 v3, 8
	v_and_b32_e32 v4, 7, v5
	v_lshrrev_b32_sdwa v3, v3, v5 dst_sel:BYTE_1 dst_unused:UNUSED_PAD src0_sel:DWORD src1_sel:DWORD
	v_ffbh_u32_e32 v6, v4
	v_or_b32_sdwa v3, v5, v3 dst_sel:DWORD dst_unused:UNUSED_PAD src0_sel:BYTE_0 src1_sel:DWORD
	v_min_u32_e32 v6, 32, v6
	v_lshrrev_b16_e32 v3, 3, v3
	v_subrev_u32_e32 v7, 28, v6
	v_and_b32_e32 v3, 15, v3
	v_lshlrev_b32_e32 v7, v7, v5
	v_sub_u32_e32 v6, 29, v6
	v_and_b32_e32 v7, 7, v7
	v_cmp_eq_u16_e32 vcc, 0, v3
	v_cndmask_b32_e32 v4, v4, v7, vcc
	v_cndmask_b32_e32 v3, v3, v6, vcc
	v_lshlrev_b32_e32 v6, 24, v5
	v_mov_b32_e32 v7, 0x3b800000
	v_lshlrev_b32_e32 v4, 20, v4
	v_and_b32_e32 v6, 0x80000000, v6
	v_lshl_add_u32 v3, v3, 23, v7
	v_or3_b32 v3, v6, v3, v4
.LBB53_1256:
	s_or_b64 exec, exec, s[6:7]
	s_nop 0
	v_mfma_f32_16x16x4f32 a[0:3], v2, v3, a[0:3]
	v_lshrrev_b32_e32 v3, 8, v9
	s_movk_i32 s4, 0x7f
	v_cmp_gt_i16_sdwa s[6:7], v3, s4 src0_sel:BYTE_0 src1_sel:DWORD
	s_mov_b64 s[4:5], 0
                                        ; implicit-def: $sgpr10
	s_and_saveexec_b64 s[8:9], s[6:7]
	s_xor_b64 s[6:7], exec, s[8:9]
	s_cbranch_execnz .LBB53_3305
; %bb.1257:
	s_or_saveexec_b64 s[6:7], s[6:7]
	v_mov_b32_e32 v2, s10
	s_xor_b64 exec, exec, s[6:7]
	s_cbranch_execnz .LBB53_3308
.LBB53_1258:
	s_or_b64 exec, exec, s[6:7]
	s_and_saveexec_b64 s[6:7], s[4:5]
	s_cbranch_execz .LBB53_1260
.LBB53_1259:
	v_bfe_u32 v2, v9, 8, 3
	v_ffbh_u32_e32 v6, v2
	v_min_u32_e32 v6, 32, v6
	v_lshrrev_b16_e32 v4, 3, v3
	v_subrev_u32_e32 v7, 28, v6
	v_and_b32_e32 v4, 15, v4
	v_lshlrev_b32_e32 v3, v7, v3
	v_sub_u32_e32 v6, 29, v6
	v_and_b32_e32 v3, 7, v3
	v_cmp_eq_u16_e32 vcc, 0, v4
	v_cndmask_b32_e32 v2, v2, v3, vcc
	v_cndmask_b32_e32 v3, v4, v6, vcc
	v_lshlrev_b32_e32 v4, 16, v9
	v_mov_b32_e32 v6, 0x3b800000
	v_lshlrev_b32_e32 v2, 20, v2
	v_and_b32_e32 v4, 0x80000000, v4
	v_lshl_add_u32 v3, v3, 23, v6
	v_or3_b32 v2, v4, v3, v2
.LBB53_1260:
	s_or_b64 exec, exec, s[6:7]
	v_lshrrev_b32_e32 v3, 8, v5
	s_movk_i32 s4, 0x7f
	v_cmp_gt_i16_sdwa s[6:7], v3, s4 src0_sel:BYTE_0 src1_sel:DWORD
	s_mov_b64 s[4:5], 0
                                        ; implicit-def: $sgpr10
	s_and_saveexec_b64 s[8:9], s[6:7]
	s_xor_b64 s[6:7], exec, s[8:9]
	s_cbranch_execnz .LBB53_3309
; %bb.1261:
	s_or_saveexec_b64 s[6:7], s[6:7]
	v_mov_b32_e32 v4, s10
	s_xor_b64 exec, exec, s[6:7]
	s_cbranch_execnz .LBB53_3312
.LBB53_1262:
	s_or_b64 exec, exec, s[6:7]
	s_and_saveexec_b64 s[6:7], s[4:5]
	s_cbranch_execz .LBB53_1264
.LBB53_1263:
	v_bfe_u32 v4, v5, 8, 3
	v_ffbh_u32_e32 v7, v4
	v_min_u32_e32 v7, 32, v7
	v_lshrrev_b16_e32 v6, 3, v3
	v_subrev_u32_e32 v8, 28, v7
	v_and_b32_e32 v6, 15, v6
	v_lshlrev_b32_e32 v3, v8, v3
	v_sub_u32_e32 v7, 29, v7
	v_and_b32_e32 v3, 7, v3
	v_cmp_eq_u16_e32 vcc, 0, v6
	v_cndmask_b32_e32 v3, v4, v3, vcc
	v_cndmask_b32_e32 v4, v6, v7, vcc
	v_lshlrev_b32_e32 v6, 16, v5
	v_mov_b32_e32 v7, 0x3b800000
	v_lshlrev_b32_e32 v3, 20, v3
	v_and_b32_e32 v6, 0x80000000, v6
	v_lshl_add_u32 v4, v4, 23, v7
	v_or3_b32 v4, v6, v4, v3
.LBB53_1264:
	s_or_b64 exec, exec, s[6:7]
	s_nop 0
	v_mfma_f32_16x16x4f32 a[0:3], v2, v4, a[0:3]
	s_movk_i32 s4, 0xff
	v_and_b32_sdwa v3, v9, s4 dst_sel:DWORD dst_unused:UNUSED_PAD src0_sel:WORD_1 src1_sel:DWORD
	s_movk_i32 s4, 0x7f
	v_cmp_lt_i16_e32 vcc, s4, v3
	s_mov_b64 s[4:5], 0
                                        ; implicit-def: $sgpr10
	s_and_saveexec_b64 s[6:7], vcc
	s_xor_b64 s[6:7], exec, s[6:7]
	s_cbranch_execnz .LBB53_3313
; %bb.1265:
	s_or_saveexec_b64 s[6:7], s[6:7]
	v_mov_b32_e32 v2, s10
	s_xor_b64 exec, exec, s[6:7]
	s_cbranch_execnz .LBB53_3316
.LBB53_1266:
	s_or_b64 exec, exec, s[6:7]
	s_and_saveexec_b64 s[6:7], s[4:5]
	s_cbranch_execz .LBB53_1268
.LBB53_1267:
	v_bfe_u32 v2, v9, 16, 3
	v_ffbh_u32_e32 v6, v2
	v_min_u32_e32 v6, 32, v6
	v_lshrrev_b32_e32 v3, 19, v9
	v_subrev_u32_e32 v7, 28, v6
	v_and_b32_e32 v3, 15, v3
	v_lshlrev_b32_sdwa v7, v7, v9 dst_sel:DWORD dst_unused:UNUSED_PAD src0_sel:DWORD src1_sel:WORD_1
	v_bfe_u32 v4, v9, 19, 4
	v_sub_u32_e32 v6, 29, v6
	v_and_b32_e32 v7, 7, v7
	v_cmp_eq_u16_e32 vcc, 0, v3
	v_cndmask_b32_e32 v2, v2, v7, vcc
	v_cndmask_b32_e32 v3, v4, v6, vcc
	v_lshlrev_b32_e32 v4, 8, v9
	v_mov_b32_e32 v6, 0x3b800000
	v_lshlrev_b32_e32 v2, 20, v2
	v_and_b32_e32 v4, 0x80000000, v4
	v_lshl_add_u32 v3, v3, 23, v6
	v_or3_b32 v2, v4, v3, v2
.LBB53_1268:
	s_or_b64 exec, exec, s[6:7]
	s_movk_i32 s4, 0xff
	v_and_b32_sdwa v3, v5, s4 dst_sel:DWORD dst_unused:UNUSED_PAD src0_sel:WORD_1 src1_sel:DWORD
	s_movk_i32 s4, 0x7f
	v_cmp_lt_i16_e32 vcc, s4, v3
	s_mov_b64 s[4:5], 0
                                        ; implicit-def: $sgpr10
	s_and_saveexec_b64 s[6:7], vcc
	s_xor_b64 s[6:7], exec, s[6:7]
	s_cbranch_execnz .LBB53_3317
; %bb.1269:
	s_or_saveexec_b64 s[6:7], s[6:7]
	v_mov_b32_e32 v4, s10
	s_xor_b64 exec, exec, s[6:7]
	s_cbranch_execnz .LBB53_3320
.LBB53_1270:
	s_or_b64 exec, exec, s[6:7]
	s_and_saveexec_b64 s[6:7], s[4:5]
	s_cbranch_execz .LBB53_1272
.LBB53_1271:
	v_bfe_u32 v3, v5, 16, 3
	v_ffbh_u32_e32 v7, v3
	v_min_u32_e32 v7, 32, v7
	v_lshrrev_b32_e32 v4, 19, v5
	v_subrev_u32_e32 v8, 28, v7
	v_and_b32_e32 v4, 15, v4
	v_lshlrev_b32_sdwa v8, v8, v5 dst_sel:DWORD dst_unused:UNUSED_PAD src0_sel:DWORD src1_sel:WORD_1
	v_bfe_u32 v6, v5, 19, 4
	v_sub_u32_e32 v7, 29, v7
	v_and_b32_e32 v8, 7, v8
	v_cmp_eq_u16_e32 vcc, 0, v4
	v_cndmask_b32_e32 v3, v3, v8, vcc
	v_cndmask_b32_e32 v4, v6, v7, vcc
	v_lshlrev_b32_e32 v6, 8, v5
	v_mov_b32_e32 v7, 0x3b800000
	v_lshlrev_b32_e32 v3, 20, v3
	v_and_b32_e32 v6, 0x80000000, v6
	v_lshl_add_u32 v4, v4, 23, v7
	v_or3_b32 v4, v6, v4, v3
.LBB53_1272:
	s_or_b64 exec, exec, s[6:7]
	s_nop 0
	v_mfma_f32_16x16x4f32 a[0:3], v2, v4, a[0:3]
	s_movk_i32 s4, 0x7f
	v_cmp_gt_i16_sdwa s[6:7], v9, s4 src0_sel:BYTE_3 src1_sel:DWORD
	s_mov_b64 s[4:5], 0
                                        ; implicit-def: $sgpr10
	s_and_saveexec_b64 s[8:9], s[6:7]
	s_xor_b64 s[6:7], exec, s[8:9]
	s_cbranch_execnz .LBB53_3321
; %bb.1273:
	s_or_saveexec_b64 s[6:7], s[6:7]
	v_mov_b32_e32 v2, s10
	s_xor_b64 exec, exec, s[6:7]
	s_cbranch_execnz .LBB53_3324
.LBB53_1274:
	s_or_b64 exec, exec, s[6:7]
	s_and_saveexec_b64 s[6:7], s[4:5]
	s_cbranch_execz .LBB53_1276
.LBB53_1275:
	v_bfe_u32 v2, v9, 24, 3
	v_ffbh_u32_e32 v7, v2
	v_min_u32_e32 v7, 32, v7
	v_lshrrev_b32_e32 v4, 27, v9
	v_subrev_u32_e32 v8, 28, v7
	v_and_b32_e32 v4, 15, v4
	v_lshlrev_b32_sdwa v8, v8, v9 dst_sel:DWORD dst_unused:UNUSED_PAD src0_sel:DWORD src1_sel:BYTE_3
	v_bfe_u32 v6, v9, 27, 4
	v_sub_u32_e32 v7, 29, v7
	v_and_b32_e32 v8, 7, v8
	v_cmp_eq_u16_e32 vcc, 0, v4
	v_cndmask_b32_e32 v2, v2, v8, vcc
	v_cndmask_b32_e32 v4, v6, v7, vcc
	v_mov_b32_e32 v6, 0x3b800000
	v_and_b32_e32 v3, 0x80000000, v9
	v_lshlrev_b32_e32 v2, 20, v2
	v_lshl_add_u32 v4, v4, 23, v6
	v_or3_b32 v2, v3, v4, v2
.LBB53_1276:
	s_or_b64 exec, exec, s[6:7]
	s_movk_i32 s4, 0x7f
	v_cmp_gt_i16_sdwa s[6:7], v5, s4 src0_sel:BYTE_3 src1_sel:DWORD
	s_mov_b64 s[4:5], 0
                                        ; implicit-def: $sgpr10
	s_and_saveexec_b64 s[8:9], s[6:7]
	s_xor_b64 s[6:7], exec, s[8:9]
	s_cbranch_execnz .LBB53_3325
; %bb.1277:
	s_or_saveexec_b64 s[6:7], s[6:7]
	v_mov_b32_e32 v3, s10
	s_xor_b64 exec, exec, s[6:7]
	s_cbranch_execnz .LBB53_3328
.LBB53_1278:
	s_or_b64 exec, exec, s[6:7]
	s_and_saveexec_b64 s[6:7], s[4:5]
	s_cbranch_execz .LBB53_1280
.LBB53_1279:
	v_bfe_u32 v3, v5, 24, 3
	v_ffbh_u32_e32 v8, v3
	v_min_u32_e32 v8, 32, v8
	v_lshrrev_b32_e32 v6, 27, v5
	v_subrev_u32_e32 v9, 28, v8
	v_and_b32_e32 v4, 0x80000000, v5
	v_and_b32_e32 v6, 15, v6
	v_bfe_u32 v7, v5, 27, 4
	v_lshlrev_b32_sdwa v5, v9, v5 dst_sel:DWORD dst_unused:UNUSED_PAD src0_sel:DWORD src1_sel:BYTE_3
	v_sub_u32_e32 v8, 29, v8
	v_and_b32_e32 v5, 7, v5
	v_cmp_eq_u16_e32 vcc, 0, v6
	v_cndmask_b32_e32 v3, v3, v5, vcc
	v_cndmask_b32_e32 v5, v7, v8, vcc
	v_mov_b32_e32 v6, 0x3b800000
	v_lshlrev_b32_e32 v3, 20, v3
	v_lshl_add_u32 v5, v5, 23, v6
	v_or3_b32 v3, v4, v5, v3
.LBB53_1280:
	s_or_b64 exec, exec, s[6:7]
	s_nop 0
	v_mfma_f32_16x16x4f32 a[0:3], v2, v3, a[0:3]
	s_movk_i32 s4, 0x7f
                                        ; implicit-def: $sgpr10
	s_nop 7
	s_nop 1
	flat_store_dwordx4 v[18:19], a[0:3] offset:192
	flat_load_dwordx4 v[20:23], v[0:1] offset:8
	s_nop 0
	flat_load_dwordx2 v[18:19], v[0:1] offset:24
	s_waitcnt vmcnt(0) lgkmcnt(0)
	flat_load_dwordx4 v[14:17], v[20:21] offset:32
	flat_load_dwordx4 v[6:9], v[20:21] offset:48
	;; [unrolled: 1-line block ×4, first 2 shown]
	s_waitcnt vmcnt(0) lgkmcnt(0)
	v_cmp_gt_i16_sdwa s[6:7], v14, s4 src0_sel:BYTE_0 src1_sel:DWORD
	s_mov_b64 s[4:5], 0
	s_and_saveexec_b64 s[8:9], s[6:7]
	s_xor_b64 s[6:7], exec, s[8:9]
	s_cbranch_execnz .LBB53_3329
; %bb.1281:
	s_or_saveexec_b64 s[6:7], s[6:7]
	v_mov_b32_e32 v20, s10
	s_xor_b64 exec, exec, s[6:7]
	s_cbranch_execnz .LBB53_3332
.LBB53_1282:
	s_or_b64 exec, exec, s[6:7]
	s_and_saveexec_b64 s[6:7], s[4:5]
	s_cbranch_execz .LBB53_1284
.LBB53_1283:
	v_and_b32_e32 v20, 7, v14
	v_ffbh_u32_e32 v22, v20
	v_min_u32_e32 v22, 32, v22
	v_lshrrev_b16_e32 v21, 3, v14
	v_subrev_u32_e32 v23, 28, v22
	v_and_b32_e32 v21, 15, v21
	v_lshlrev_b32_e32 v23, v23, v14
	v_sub_u32_e32 v22, 29, v22
	v_and_b32_e32 v23, 7, v23
	v_cmp_eq_u16_e32 vcc, 0, v21
	v_cndmask_b32_e32 v20, v20, v23, vcc
	v_cndmask_b32_e32 v21, v21, v22, vcc
	v_lshlrev_b32_e32 v22, 24, v14
	v_mov_b32_e32 v23, 0x3b800000
	v_lshlrev_b32_e32 v20, 20, v20
	v_and_b32_e32 v22, 0x80000000, v22
	v_lshl_add_u32 v21, v21, 23, v23
	v_or3_b32 v20, v22, v21, v20
.LBB53_1284:
	s_or_b64 exec, exec, s[6:7]
	s_movk_i32 s4, 0x7f
	v_cmp_gt_i16_sdwa s[6:7], v10, s4 src0_sel:BYTE_0 src1_sel:DWORD
	s_mov_b64 s[4:5], 0
                                        ; implicit-def: $sgpr10
	s_and_saveexec_b64 s[8:9], s[6:7]
	s_xor_b64 s[6:7], exec, s[8:9]
	s_cbranch_execnz .LBB53_3333
; %bb.1285:
	s_or_saveexec_b64 s[6:7], s[6:7]
	v_mov_b32_e32 v21, s10
	s_xor_b64 exec, exec, s[6:7]
	s_cbranch_execnz .LBB53_3336
.LBB53_1286:
	s_or_b64 exec, exec, s[6:7]
	s_and_saveexec_b64 s[6:7], s[4:5]
	s_cbranch_execz .LBB53_1288
.LBB53_1287:
	v_and_b32_e32 v21, 7, v10
	v_ffbh_u32_e32 v23, v21
	v_min_u32_e32 v23, 32, v23
	v_lshrrev_b16_e32 v22, 3, v10
	v_subrev_u32_e32 v24, 28, v23
	v_and_b32_e32 v22, 15, v22
	v_lshlrev_b32_e32 v24, v24, v10
	v_sub_u32_e32 v23, 29, v23
	v_and_b32_e32 v24, 7, v24
	v_cmp_eq_u16_e32 vcc, 0, v22
	v_cndmask_b32_e32 v21, v21, v24, vcc
	v_cndmask_b32_e32 v22, v22, v23, vcc
	v_lshlrev_b32_e32 v23, 24, v10
	v_mov_b32_e32 v24, 0x3b800000
	v_lshlrev_b32_e32 v21, 20, v21
	v_and_b32_e32 v23, 0x80000000, v23
	v_lshl_add_u32 v22, v22, 23, v24
	v_or3_b32 v21, v23, v22, v21
.LBB53_1288:
	s_or_b64 exec, exec, s[6:7]
	flat_load_dwordx4 a[0:3], v[18:19] offset:208
	s_movk_i32 s4, 0x7f
                                        ; implicit-def: $sgpr10
	s_waitcnt vmcnt(0) lgkmcnt(0)
	v_mfma_f32_16x16x4f32 a[0:3], v20, v21, a[0:3]
	v_lshrrev_b32_e32 v21, 8, v14
	v_cmp_gt_i16_sdwa s[6:7], v21, s4 src0_sel:BYTE_0 src1_sel:DWORD
	s_mov_b64 s[4:5], 0
	s_and_saveexec_b64 s[8:9], s[6:7]
	s_xor_b64 s[6:7], exec, s[8:9]
	s_cbranch_execnz .LBB53_3337
; %bb.1289:
	s_or_saveexec_b64 s[6:7], s[6:7]
	v_mov_b32_e32 v20, s10
	s_xor_b64 exec, exec, s[6:7]
	s_cbranch_execnz .LBB53_3340
.LBB53_1290:
	s_or_b64 exec, exec, s[6:7]
	s_and_saveexec_b64 s[6:7], s[4:5]
	s_cbranch_execz .LBB53_1292
.LBB53_1291:
	v_bfe_u32 v20, v14, 8, 3
	v_ffbh_u32_e32 v23, v20
	v_min_u32_e32 v23, 32, v23
	v_lshrrev_b16_e32 v22, 3, v21
	v_subrev_u32_e32 v24, 28, v23
	v_and_b32_e32 v22, 15, v22
	v_lshlrev_b32_e32 v21, v24, v21
	v_sub_u32_e32 v23, 29, v23
	v_and_b32_e32 v21, 7, v21
	v_cmp_eq_u16_e32 vcc, 0, v22
	v_cndmask_b32_e32 v20, v20, v21, vcc
	v_cndmask_b32_e32 v21, v22, v23, vcc
	v_lshlrev_b32_e32 v22, 16, v14
	v_mov_b32_e32 v23, 0x3b800000
	v_lshlrev_b32_e32 v20, 20, v20
	v_and_b32_e32 v22, 0x80000000, v22
	v_lshl_add_u32 v21, v21, 23, v23
	v_or3_b32 v20, v22, v21, v20
.LBB53_1292:
	s_or_b64 exec, exec, s[6:7]
	v_lshrrev_b32_e32 v21, 8, v10
	s_movk_i32 s4, 0x7f
	v_cmp_gt_i16_sdwa s[6:7], v21, s4 src0_sel:BYTE_0 src1_sel:DWORD
	s_mov_b64 s[4:5], 0
                                        ; implicit-def: $sgpr10
	s_and_saveexec_b64 s[8:9], s[6:7]
	s_xor_b64 s[6:7], exec, s[8:9]
	s_cbranch_execnz .LBB53_3341
; %bb.1293:
	s_or_saveexec_b64 s[6:7], s[6:7]
	v_mov_b32_e32 v22, s10
	s_xor_b64 exec, exec, s[6:7]
	s_cbranch_execnz .LBB53_3344
.LBB53_1294:
	s_or_b64 exec, exec, s[6:7]
	s_and_saveexec_b64 s[6:7], s[4:5]
	s_cbranch_execz .LBB53_1296
.LBB53_1295:
	v_bfe_u32 v22, v10, 8, 3
	v_ffbh_u32_e32 v24, v22
	v_min_u32_e32 v24, 32, v24
	v_lshrrev_b16_e32 v23, 3, v21
	v_subrev_u32_e32 v25, 28, v24
	v_and_b32_e32 v23, 15, v23
	v_lshlrev_b32_e32 v21, v25, v21
	v_sub_u32_e32 v24, 29, v24
	v_and_b32_e32 v21, 7, v21
	v_cmp_eq_u16_e32 vcc, 0, v23
	v_cndmask_b32_e32 v21, v22, v21, vcc
	v_cndmask_b32_e32 v22, v23, v24, vcc
	v_lshlrev_b32_e32 v23, 16, v10
	v_mov_b32_e32 v24, 0x3b800000
	v_lshlrev_b32_e32 v21, 20, v21
	v_and_b32_e32 v23, 0x80000000, v23
	v_lshl_add_u32 v22, v22, 23, v24
	v_or3_b32 v22, v23, v22, v21
.LBB53_1296:
	s_or_b64 exec, exec, s[6:7]
	s_nop 0
	v_mfma_f32_16x16x4f32 a[0:3], v20, v22, a[0:3]
	s_movk_i32 s4, 0xff
	v_and_b32_sdwa v21, v14, s4 dst_sel:DWORD dst_unused:UNUSED_PAD src0_sel:WORD_1 src1_sel:DWORD
	s_movk_i32 s4, 0x7f
	v_cmp_lt_i16_e32 vcc, s4, v21
	s_mov_b64 s[4:5], 0
                                        ; implicit-def: $sgpr10
	s_and_saveexec_b64 s[6:7], vcc
	s_xor_b64 s[6:7], exec, s[6:7]
	s_cbranch_execnz .LBB53_3345
; %bb.1297:
	s_or_saveexec_b64 s[6:7], s[6:7]
	v_mov_b32_e32 v20, s10
	s_xor_b64 exec, exec, s[6:7]
	s_cbranch_execnz .LBB53_3348
.LBB53_1298:
	s_or_b64 exec, exec, s[6:7]
	s_and_saveexec_b64 s[6:7], s[4:5]
	s_cbranch_execz .LBB53_1300
.LBB53_1299:
	v_bfe_u32 v20, v14, 16, 3
	v_ffbh_u32_e32 v23, v20
	v_min_u32_e32 v23, 32, v23
	v_lshrrev_b32_e32 v21, 19, v14
	v_subrev_u32_e32 v24, 28, v23
	v_and_b32_e32 v21, 15, v21
	v_lshlrev_b32_sdwa v24, v24, v14 dst_sel:DWORD dst_unused:UNUSED_PAD src0_sel:DWORD src1_sel:WORD_1
	v_bfe_u32 v22, v14, 19, 4
	v_sub_u32_e32 v23, 29, v23
	v_and_b32_e32 v24, 7, v24
	v_cmp_eq_u16_e32 vcc, 0, v21
	v_cndmask_b32_e32 v20, v20, v24, vcc
	v_cndmask_b32_e32 v21, v22, v23, vcc
	v_lshlrev_b32_e32 v22, 8, v14
	v_mov_b32_e32 v23, 0x3b800000
	v_lshlrev_b32_e32 v20, 20, v20
	v_and_b32_e32 v22, 0x80000000, v22
	v_lshl_add_u32 v21, v21, 23, v23
	v_or3_b32 v20, v22, v21, v20
.LBB53_1300:
	s_or_b64 exec, exec, s[6:7]
	s_movk_i32 s4, 0xff
	v_and_b32_sdwa v21, v10, s4 dst_sel:DWORD dst_unused:UNUSED_PAD src0_sel:WORD_1 src1_sel:DWORD
	s_movk_i32 s4, 0x7f
	v_cmp_lt_i16_e32 vcc, s4, v21
	s_mov_b64 s[4:5], 0
                                        ; implicit-def: $sgpr10
	s_and_saveexec_b64 s[6:7], vcc
	s_xor_b64 s[6:7], exec, s[6:7]
	s_cbranch_execnz .LBB53_3349
; %bb.1301:
	s_or_saveexec_b64 s[6:7], s[6:7]
	v_mov_b32_e32 v22, s10
	s_xor_b64 exec, exec, s[6:7]
	s_cbranch_execnz .LBB53_3352
.LBB53_1302:
	s_or_b64 exec, exec, s[6:7]
	s_and_saveexec_b64 s[6:7], s[4:5]
	s_cbranch_execz .LBB53_1304
.LBB53_1303:
	v_bfe_u32 v21, v10, 16, 3
	v_ffbh_u32_e32 v24, v21
	v_min_u32_e32 v24, 32, v24
	v_lshrrev_b32_e32 v22, 19, v10
	v_subrev_u32_e32 v25, 28, v24
	v_and_b32_e32 v22, 15, v22
	v_lshlrev_b32_sdwa v25, v25, v10 dst_sel:DWORD dst_unused:UNUSED_PAD src0_sel:DWORD src1_sel:WORD_1
	v_bfe_u32 v23, v10, 19, 4
	v_sub_u32_e32 v24, 29, v24
	v_and_b32_e32 v25, 7, v25
	v_cmp_eq_u16_e32 vcc, 0, v22
	v_cndmask_b32_e32 v21, v21, v25, vcc
	v_cndmask_b32_e32 v22, v23, v24, vcc
	v_lshlrev_b32_e32 v23, 8, v10
	v_mov_b32_e32 v24, 0x3b800000
	v_lshlrev_b32_e32 v21, 20, v21
	v_and_b32_e32 v23, 0x80000000, v23
	v_lshl_add_u32 v22, v22, 23, v24
	v_or3_b32 v22, v23, v22, v21
.LBB53_1304:
	s_or_b64 exec, exec, s[6:7]
	s_nop 0
	v_mfma_f32_16x16x4f32 a[0:3], v20, v22, a[0:3]
	s_movk_i32 s4, 0x7f
	v_cmp_gt_i16_sdwa s[6:7], v14, s4 src0_sel:BYTE_3 src1_sel:DWORD
	s_mov_b64 s[4:5], 0
                                        ; implicit-def: $sgpr10
	s_and_saveexec_b64 s[8:9], s[6:7]
	s_xor_b64 s[6:7], exec, s[8:9]
	s_cbranch_execnz .LBB53_3353
; %bb.1305:
	s_or_saveexec_b64 s[6:7], s[6:7]
	v_mov_b32_e32 v20, s10
	s_xor_b64 exec, exec, s[6:7]
	s_cbranch_execnz .LBB53_3356
.LBB53_1306:
	s_or_b64 exec, exec, s[6:7]
	s_and_saveexec_b64 s[6:7], s[4:5]
	s_cbranch_execz .LBB53_1308
.LBB53_1307:
	v_bfe_u32 v20, v14, 24, 3
	v_ffbh_u32_e32 v24, v20
	v_min_u32_e32 v24, 32, v24
	v_lshrrev_b32_e32 v22, 27, v14
	v_subrev_u32_e32 v25, 28, v24
	v_and_b32_e32 v21, 0x80000000, v14
	v_and_b32_e32 v22, 15, v22
	v_bfe_u32 v23, v14, 27, 4
	v_lshlrev_b32_sdwa v14, v25, v14 dst_sel:DWORD dst_unused:UNUSED_PAD src0_sel:DWORD src1_sel:BYTE_3
	v_sub_u32_e32 v24, 29, v24
	v_and_b32_e32 v14, 7, v14
	v_cmp_eq_u16_e32 vcc, 0, v22
	v_cndmask_b32_e32 v14, v20, v14, vcc
	v_cndmask_b32_e32 v20, v23, v24, vcc
	v_mov_b32_e32 v22, 0x3b800000
	v_lshlrev_b32_e32 v14, 20, v14
	v_lshl_add_u32 v20, v20, 23, v22
	v_or3_b32 v20, v21, v20, v14
.LBB53_1308:
	s_or_b64 exec, exec, s[6:7]
	s_movk_i32 s4, 0x7f
	v_cmp_gt_i16_sdwa s[6:7], v10, s4 src0_sel:BYTE_3 src1_sel:DWORD
	s_mov_b64 s[4:5], 0
                                        ; implicit-def: $sgpr10
	s_and_saveexec_b64 s[8:9], s[6:7]
	s_xor_b64 s[6:7], exec, s[8:9]
	s_cbranch_execnz .LBB53_3357
; %bb.1309:
	s_or_saveexec_b64 s[6:7], s[6:7]
	v_mov_b32_e32 v14, s10
	s_xor_b64 exec, exec, s[6:7]
	s_cbranch_execnz .LBB53_3360
.LBB53_1310:
	s_or_b64 exec, exec, s[6:7]
	s_and_saveexec_b64 s[6:7], s[4:5]
	s_cbranch_execz .LBB53_1312
.LBB53_1311:
	v_bfe_u32 v14, v10, 24, 3
	v_ffbh_u32_e32 v24, v14
	v_min_u32_e32 v24, 32, v24
	v_lshrrev_b32_e32 v22, 27, v10
	v_subrev_u32_e32 v25, 28, v24
	v_and_b32_e32 v21, 0x80000000, v10
	v_and_b32_e32 v22, 15, v22
	v_bfe_u32 v23, v10, 27, 4
	v_lshlrev_b32_sdwa v10, v25, v10 dst_sel:DWORD dst_unused:UNUSED_PAD src0_sel:DWORD src1_sel:BYTE_3
	v_sub_u32_e32 v24, 29, v24
	v_and_b32_e32 v10, 7, v10
	v_cmp_eq_u16_e32 vcc, 0, v22
	v_cndmask_b32_e32 v10, v14, v10, vcc
	v_cndmask_b32_e32 v14, v23, v24, vcc
	v_mov_b32_e32 v22, 0x3b800000
	v_lshlrev_b32_e32 v10, 20, v10
	v_lshl_add_u32 v14, v14, 23, v22
	v_or3_b32 v14, v21, v14, v10
.LBB53_1312:
	s_or_b64 exec, exec, s[6:7]
	s_nop 0
	v_mfma_f32_16x16x4f32 a[0:3], v20, v14, a[0:3]
	s_movk_i32 s4, 0x7f
	v_cmp_gt_i16_sdwa s[6:7], v15, s4 src0_sel:BYTE_0 src1_sel:DWORD
	s_mov_b64 s[4:5], 0
                                        ; implicit-def: $sgpr10
	s_and_saveexec_b64 s[8:9], s[6:7]
	s_xor_b64 s[6:7], exec, s[8:9]
	s_cbranch_execnz .LBB53_3361
; %bb.1313:
	s_or_saveexec_b64 s[6:7], s[6:7]
	v_mov_b32_e32 v10, s10
	s_xor_b64 exec, exec, s[6:7]
	s_cbranch_execnz .LBB53_3364
.LBB53_1314:
	s_or_b64 exec, exec, s[6:7]
	s_and_saveexec_b64 s[6:7], s[4:5]
	s_cbranch_execz .LBB53_1316
.LBB53_1315:
	v_and_b32_e32 v10, 7, v15
	v_ffbh_u32_e32 v20, v10
	v_min_u32_e32 v20, 32, v20
	v_lshrrev_b16_e32 v14, 3, v15
	v_subrev_u32_e32 v21, 28, v20
	v_and_b32_e32 v14, 15, v14
	v_lshlrev_b32_e32 v21, v21, v15
	v_sub_u32_e32 v20, 29, v20
	v_and_b32_e32 v21, 7, v21
	v_cmp_eq_u16_e32 vcc, 0, v14
	v_cndmask_b32_e32 v10, v10, v21, vcc
	v_cndmask_b32_e32 v14, v14, v20, vcc
	v_lshlrev_b32_e32 v20, 24, v15
	v_mov_b32_e32 v21, 0x3b800000
	v_lshlrev_b32_e32 v10, 20, v10
	v_and_b32_e32 v20, 0x80000000, v20
	v_lshl_add_u32 v14, v14, 23, v21
	v_or3_b32 v10, v20, v14, v10
.LBB53_1316:
	s_or_b64 exec, exec, s[6:7]
	s_movk_i32 s4, 0x7f
	v_cmp_gt_i16_sdwa s[6:7], v11, s4 src0_sel:BYTE_0 src1_sel:DWORD
	s_mov_b64 s[4:5], 0
                                        ; implicit-def: $sgpr10
	s_and_saveexec_b64 s[8:9], s[6:7]
	s_xor_b64 s[6:7], exec, s[8:9]
	s_cbranch_execnz .LBB53_3365
; %bb.1317:
	s_or_saveexec_b64 s[6:7], s[6:7]
	v_mov_b32_e32 v14, s10
	s_xor_b64 exec, exec, s[6:7]
	s_cbranch_execnz .LBB53_3368
.LBB53_1318:
	s_or_b64 exec, exec, s[6:7]
	s_and_saveexec_b64 s[6:7], s[4:5]
	s_cbranch_execz .LBB53_1320
.LBB53_1319:
	v_and_b32_e32 v14, 7, v11
	v_ffbh_u32_e32 v21, v14
	v_min_u32_e32 v21, 32, v21
	v_lshrrev_b16_e32 v20, 3, v11
	v_subrev_u32_e32 v22, 28, v21
	v_and_b32_e32 v20, 15, v20
	v_lshlrev_b32_e32 v22, v22, v11
	v_sub_u32_e32 v21, 29, v21
	v_and_b32_e32 v22, 7, v22
	v_cmp_eq_u16_e32 vcc, 0, v20
	v_cndmask_b32_e32 v14, v14, v22, vcc
	v_cndmask_b32_e32 v20, v20, v21, vcc
	v_lshlrev_b32_e32 v21, 24, v11
	v_mov_b32_e32 v22, 0x3b800000
	v_lshlrev_b32_e32 v14, 20, v14
	v_and_b32_e32 v21, 0x80000000, v21
	v_lshl_add_u32 v20, v20, 23, v22
	v_or3_b32 v14, v21, v20, v14
.LBB53_1320:
	s_or_b64 exec, exec, s[6:7]
	s_nop 0
	v_mfma_f32_16x16x4f32 a[0:3], v10, v14, a[0:3]
	v_lshrrev_b32_e32 v14, 8, v15
	s_movk_i32 s4, 0x7f
	v_cmp_gt_i16_sdwa s[6:7], v14, s4 src0_sel:BYTE_0 src1_sel:DWORD
	s_mov_b64 s[4:5], 0
                                        ; implicit-def: $sgpr10
	s_and_saveexec_b64 s[8:9], s[6:7]
	s_xor_b64 s[6:7], exec, s[8:9]
	s_cbranch_execnz .LBB53_3369
; %bb.1321:
	s_or_saveexec_b64 s[6:7], s[6:7]
	v_mov_b32_e32 v10, s10
	s_xor_b64 exec, exec, s[6:7]
	s_cbranch_execnz .LBB53_3372
.LBB53_1322:
	s_or_b64 exec, exec, s[6:7]
	s_and_saveexec_b64 s[6:7], s[4:5]
	s_cbranch_execz .LBB53_1324
.LBB53_1323:
	v_bfe_u32 v10, v15, 8, 3
	v_ffbh_u32_e32 v21, v10
	v_min_u32_e32 v21, 32, v21
	v_lshrrev_b16_e32 v20, 3, v14
	v_subrev_u32_e32 v22, 28, v21
	v_and_b32_e32 v20, 15, v20
	v_lshlrev_b32_e32 v14, v22, v14
	v_sub_u32_e32 v21, 29, v21
	v_and_b32_e32 v14, 7, v14
	v_cmp_eq_u16_e32 vcc, 0, v20
	v_cndmask_b32_e32 v10, v10, v14, vcc
	v_cndmask_b32_e32 v14, v20, v21, vcc
	v_lshlrev_b32_e32 v20, 16, v15
	v_mov_b32_e32 v21, 0x3b800000
	v_lshlrev_b32_e32 v10, 20, v10
	v_and_b32_e32 v20, 0x80000000, v20
	v_lshl_add_u32 v14, v14, 23, v21
	v_or3_b32 v10, v20, v14, v10
.LBB53_1324:
	s_or_b64 exec, exec, s[6:7]
	v_lshrrev_b32_e32 v14, 8, v11
	s_movk_i32 s4, 0x7f
	v_cmp_gt_i16_sdwa s[6:7], v14, s4 src0_sel:BYTE_0 src1_sel:DWORD
	s_mov_b64 s[4:5], 0
                                        ; implicit-def: $sgpr10
	s_and_saveexec_b64 s[8:9], s[6:7]
	s_xor_b64 s[6:7], exec, s[8:9]
	s_cbranch_execnz .LBB53_3373
; %bb.1325:
	s_or_saveexec_b64 s[6:7], s[6:7]
	v_mov_b32_e32 v20, s10
	s_xor_b64 exec, exec, s[6:7]
	s_cbranch_execnz .LBB53_3376
.LBB53_1326:
	s_or_b64 exec, exec, s[6:7]
	s_and_saveexec_b64 s[6:7], s[4:5]
	s_cbranch_execz .LBB53_1328
.LBB53_1327:
	v_bfe_u32 v20, v11, 8, 3
	v_ffbh_u32_e32 v22, v20
	v_min_u32_e32 v22, 32, v22
	v_lshrrev_b16_e32 v21, 3, v14
	v_subrev_u32_e32 v23, 28, v22
	v_and_b32_e32 v21, 15, v21
	v_lshlrev_b32_e32 v14, v23, v14
	v_sub_u32_e32 v22, 29, v22
	v_and_b32_e32 v14, 7, v14
	v_cmp_eq_u16_e32 vcc, 0, v21
	v_cndmask_b32_e32 v14, v20, v14, vcc
	v_cndmask_b32_e32 v20, v21, v22, vcc
	v_lshlrev_b32_e32 v21, 16, v11
	v_mov_b32_e32 v22, 0x3b800000
	v_lshlrev_b32_e32 v14, 20, v14
	v_and_b32_e32 v21, 0x80000000, v21
	v_lshl_add_u32 v20, v20, 23, v22
	v_or3_b32 v20, v21, v20, v14
.LBB53_1328:
	s_or_b64 exec, exec, s[6:7]
	s_nop 0
	v_mfma_f32_16x16x4f32 a[0:3], v10, v20, a[0:3]
	s_movk_i32 s4, 0xff
	v_and_b32_sdwa v14, v15, s4 dst_sel:DWORD dst_unused:UNUSED_PAD src0_sel:WORD_1 src1_sel:DWORD
	s_movk_i32 s4, 0x7f
	v_cmp_lt_i16_e32 vcc, s4, v14
	s_mov_b64 s[4:5], 0
                                        ; implicit-def: $sgpr10
	s_and_saveexec_b64 s[6:7], vcc
	s_xor_b64 s[6:7], exec, s[6:7]
	s_cbranch_execnz .LBB53_3377
; %bb.1329:
	s_or_saveexec_b64 s[6:7], s[6:7]
	v_mov_b32_e32 v10, s10
	s_xor_b64 exec, exec, s[6:7]
	s_cbranch_execnz .LBB53_3380
.LBB53_1330:
	s_or_b64 exec, exec, s[6:7]
	s_and_saveexec_b64 s[6:7], s[4:5]
	s_cbranch_execz .LBB53_1332
.LBB53_1331:
	v_bfe_u32 v10, v15, 16, 3
	v_ffbh_u32_e32 v21, v10
	v_min_u32_e32 v21, 32, v21
	v_lshrrev_b32_e32 v14, 19, v15
	v_subrev_u32_e32 v22, 28, v21
	v_and_b32_e32 v14, 15, v14
	v_lshlrev_b32_sdwa v22, v22, v15 dst_sel:DWORD dst_unused:UNUSED_PAD src0_sel:DWORD src1_sel:WORD_1
	v_bfe_u32 v20, v15, 19, 4
	v_sub_u32_e32 v21, 29, v21
	v_and_b32_e32 v22, 7, v22
	v_cmp_eq_u16_e32 vcc, 0, v14
	v_cndmask_b32_e32 v10, v10, v22, vcc
	v_cndmask_b32_e32 v14, v20, v21, vcc
	v_lshlrev_b32_e32 v20, 8, v15
	v_mov_b32_e32 v21, 0x3b800000
	v_lshlrev_b32_e32 v10, 20, v10
	v_and_b32_e32 v20, 0x80000000, v20
	v_lshl_add_u32 v14, v14, 23, v21
	v_or3_b32 v10, v20, v14, v10
.LBB53_1332:
	s_or_b64 exec, exec, s[6:7]
	s_movk_i32 s4, 0xff
	v_and_b32_sdwa v14, v11, s4 dst_sel:DWORD dst_unused:UNUSED_PAD src0_sel:WORD_1 src1_sel:DWORD
	s_movk_i32 s4, 0x7f
	v_cmp_lt_i16_e32 vcc, s4, v14
	s_mov_b64 s[4:5], 0
                                        ; implicit-def: $sgpr10
	s_and_saveexec_b64 s[6:7], vcc
	s_xor_b64 s[6:7], exec, s[6:7]
	s_cbranch_execnz .LBB53_3381
; %bb.1333:
	s_or_saveexec_b64 s[6:7], s[6:7]
	v_mov_b32_e32 v20, s10
	s_xor_b64 exec, exec, s[6:7]
	s_cbranch_execnz .LBB53_3384
.LBB53_1334:
	s_or_b64 exec, exec, s[6:7]
	s_and_saveexec_b64 s[6:7], s[4:5]
	s_cbranch_execz .LBB53_1336
.LBB53_1335:
	v_bfe_u32 v14, v11, 16, 3
	v_ffbh_u32_e32 v22, v14
	v_min_u32_e32 v22, 32, v22
	v_lshrrev_b32_e32 v20, 19, v11
	v_subrev_u32_e32 v23, 28, v22
	v_and_b32_e32 v20, 15, v20
	v_lshlrev_b32_sdwa v23, v23, v11 dst_sel:DWORD dst_unused:UNUSED_PAD src0_sel:DWORD src1_sel:WORD_1
	v_bfe_u32 v21, v11, 19, 4
	v_sub_u32_e32 v22, 29, v22
	v_and_b32_e32 v23, 7, v23
	v_cmp_eq_u16_e32 vcc, 0, v20
	v_cndmask_b32_e32 v14, v14, v23, vcc
	v_cndmask_b32_e32 v20, v21, v22, vcc
	v_lshlrev_b32_e32 v21, 8, v11
	v_mov_b32_e32 v22, 0x3b800000
	v_lshlrev_b32_e32 v14, 20, v14
	v_and_b32_e32 v21, 0x80000000, v21
	v_lshl_add_u32 v20, v20, 23, v22
	v_or3_b32 v20, v21, v20, v14
.LBB53_1336:
	s_or_b64 exec, exec, s[6:7]
	s_nop 0
	v_mfma_f32_16x16x4f32 a[0:3], v10, v20, a[0:3]
	s_movk_i32 s4, 0x7f
	v_cmp_gt_i16_sdwa s[6:7], v15, s4 src0_sel:BYTE_3 src1_sel:DWORD
	s_mov_b64 s[4:5], 0
                                        ; implicit-def: $sgpr10
	s_and_saveexec_b64 s[8:9], s[6:7]
	s_xor_b64 s[6:7], exec, s[8:9]
	s_cbranch_execnz .LBB53_3385
; %bb.1337:
	s_or_saveexec_b64 s[6:7], s[6:7]
	v_mov_b32_e32 v10, s10
	s_xor_b64 exec, exec, s[6:7]
	s_cbranch_execnz .LBB53_3388
.LBB53_1338:
	s_or_b64 exec, exec, s[6:7]
	s_and_saveexec_b64 s[6:7], s[4:5]
	s_cbranch_execz .LBB53_1340
.LBB53_1339:
	v_bfe_u32 v10, v15, 24, 3
	v_ffbh_u32_e32 v22, v10
	v_min_u32_e32 v22, 32, v22
	v_lshrrev_b32_e32 v20, 27, v15
	v_subrev_u32_e32 v23, 28, v22
	v_and_b32_e32 v14, 0x80000000, v15
	v_and_b32_e32 v20, 15, v20
	v_bfe_u32 v21, v15, 27, 4
	v_lshlrev_b32_sdwa v15, v23, v15 dst_sel:DWORD dst_unused:UNUSED_PAD src0_sel:DWORD src1_sel:BYTE_3
	v_sub_u32_e32 v22, 29, v22
	v_and_b32_e32 v15, 7, v15
	v_cmp_eq_u16_e32 vcc, 0, v20
	v_cndmask_b32_e32 v10, v10, v15, vcc
	v_cndmask_b32_e32 v15, v21, v22, vcc
	v_mov_b32_e32 v20, 0x3b800000
	v_lshlrev_b32_e32 v10, 20, v10
	v_lshl_add_u32 v15, v15, 23, v20
	v_or3_b32 v10, v14, v15, v10
.LBB53_1340:
	s_or_b64 exec, exec, s[6:7]
	s_movk_i32 s4, 0x7f
	v_cmp_gt_i16_sdwa s[6:7], v11, s4 src0_sel:BYTE_3 src1_sel:DWORD
	s_mov_b64 s[4:5], 0
                                        ; implicit-def: $sgpr10
	s_and_saveexec_b64 s[8:9], s[6:7]
	s_xor_b64 s[6:7], exec, s[8:9]
	s_cbranch_execnz .LBB53_3389
; %bb.1341:
	s_or_saveexec_b64 s[6:7], s[6:7]
	v_mov_b32_e32 v14, s10
	s_xor_b64 exec, exec, s[6:7]
	s_cbranch_execnz .LBB53_3392
.LBB53_1342:
	s_or_b64 exec, exec, s[6:7]
	s_and_saveexec_b64 s[6:7], s[4:5]
	s_cbranch_execz .LBB53_1344
.LBB53_1343:
	v_bfe_u32 v14, v11, 24, 3
	v_ffbh_u32_e32 v22, v14
	v_min_u32_e32 v22, 32, v22
	v_lshrrev_b32_e32 v20, 27, v11
	v_subrev_u32_e32 v23, 28, v22
	v_and_b32_e32 v15, 0x80000000, v11
	v_and_b32_e32 v20, 15, v20
	v_bfe_u32 v21, v11, 27, 4
	v_lshlrev_b32_sdwa v11, v23, v11 dst_sel:DWORD dst_unused:UNUSED_PAD src0_sel:DWORD src1_sel:BYTE_3
	v_sub_u32_e32 v22, 29, v22
	v_and_b32_e32 v11, 7, v11
	v_cmp_eq_u16_e32 vcc, 0, v20
	v_cndmask_b32_e32 v11, v14, v11, vcc
	v_cndmask_b32_e32 v14, v21, v22, vcc
	v_mov_b32_e32 v20, 0x3b800000
	v_lshlrev_b32_e32 v11, 20, v11
	v_lshl_add_u32 v14, v14, 23, v20
	v_or3_b32 v14, v15, v14, v11
.LBB53_1344:
	s_or_b64 exec, exec, s[6:7]
	s_nop 0
	v_mfma_f32_16x16x4f32 a[0:3], v10, v14, a[0:3]
	s_movk_i32 s4, 0x7f
	v_cmp_gt_i16_sdwa s[6:7], v16, s4 src0_sel:BYTE_0 src1_sel:DWORD
	s_mov_b64 s[4:5], 0
                                        ; implicit-def: $sgpr10
	s_and_saveexec_b64 s[8:9], s[6:7]
	s_xor_b64 s[6:7], exec, s[8:9]
	s_cbranch_execnz .LBB53_3393
; %bb.1345:
	s_or_saveexec_b64 s[6:7], s[6:7]
	v_mov_b32_e32 v10, s10
	s_xor_b64 exec, exec, s[6:7]
	s_cbranch_execnz .LBB53_3396
.LBB53_1346:
	s_or_b64 exec, exec, s[6:7]
	s_and_saveexec_b64 s[6:7], s[4:5]
	s_cbranch_execz .LBB53_1348
.LBB53_1347:
	v_and_b32_e32 v10, 7, v16
	v_ffbh_u32_e32 v14, v10
	v_min_u32_e32 v14, 32, v14
	v_lshrrev_b16_e32 v11, 3, v16
	v_subrev_u32_e32 v15, 28, v14
	v_and_b32_e32 v11, 15, v11
	v_lshlrev_b32_e32 v15, v15, v16
	v_sub_u32_e32 v14, 29, v14
	v_and_b32_e32 v15, 7, v15
	v_cmp_eq_u16_e32 vcc, 0, v11
	v_cndmask_b32_e32 v10, v10, v15, vcc
	v_cndmask_b32_e32 v11, v11, v14, vcc
	v_lshlrev_b32_e32 v14, 24, v16
	v_mov_b32_e32 v15, 0x3b800000
	v_lshlrev_b32_e32 v10, 20, v10
	v_and_b32_e32 v14, 0x80000000, v14
	v_lshl_add_u32 v11, v11, 23, v15
	v_or3_b32 v10, v14, v11, v10
.LBB53_1348:
	s_or_b64 exec, exec, s[6:7]
	s_movk_i32 s4, 0x7f
	v_cmp_gt_i16_sdwa s[6:7], v12, s4 src0_sel:BYTE_0 src1_sel:DWORD
	s_mov_b64 s[4:5], 0
                                        ; implicit-def: $sgpr10
	s_and_saveexec_b64 s[8:9], s[6:7]
	s_xor_b64 s[6:7], exec, s[8:9]
	s_cbranch_execnz .LBB53_3397
; %bb.1349:
	s_or_saveexec_b64 s[6:7], s[6:7]
	v_mov_b32_e32 v11, s10
	s_xor_b64 exec, exec, s[6:7]
	s_cbranch_execnz .LBB53_3400
.LBB53_1350:
	s_or_b64 exec, exec, s[6:7]
	s_and_saveexec_b64 s[6:7], s[4:5]
	s_cbranch_execz .LBB53_1352
.LBB53_1351:
	v_and_b32_e32 v11, 7, v12
	v_ffbh_u32_e32 v15, v11
	v_min_u32_e32 v15, 32, v15
	v_lshrrev_b16_e32 v14, 3, v12
	v_subrev_u32_e32 v20, 28, v15
	v_and_b32_e32 v14, 15, v14
	v_lshlrev_b32_e32 v20, v20, v12
	v_sub_u32_e32 v15, 29, v15
	v_and_b32_e32 v20, 7, v20
	v_cmp_eq_u16_e32 vcc, 0, v14
	v_cndmask_b32_e32 v11, v11, v20, vcc
	v_cndmask_b32_e32 v14, v14, v15, vcc
	v_lshlrev_b32_e32 v15, 24, v12
	v_mov_b32_e32 v20, 0x3b800000
	v_lshlrev_b32_e32 v11, 20, v11
	v_and_b32_e32 v15, 0x80000000, v15
	v_lshl_add_u32 v14, v14, 23, v20
	v_or3_b32 v11, v15, v14, v11
.LBB53_1352:
	s_or_b64 exec, exec, s[6:7]
	s_nop 0
	v_mfma_f32_16x16x4f32 a[0:3], v10, v11, a[0:3]
	v_lshrrev_b32_e32 v11, 8, v16
	s_movk_i32 s4, 0x7f
	v_cmp_gt_i16_sdwa s[6:7], v11, s4 src0_sel:BYTE_0 src1_sel:DWORD
	s_mov_b64 s[4:5], 0
                                        ; implicit-def: $sgpr10
	s_and_saveexec_b64 s[8:9], s[6:7]
	s_xor_b64 s[6:7], exec, s[8:9]
	s_cbranch_execnz .LBB53_3401
; %bb.1353:
	s_or_saveexec_b64 s[6:7], s[6:7]
	v_mov_b32_e32 v10, s10
	s_xor_b64 exec, exec, s[6:7]
	s_cbranch_execnz .LBB53_3404
.LBB53_1354:
	s_or_b64 exec, exec, s[6:7]
	s_and_saveexec_b64 s[6:7], s[4:5]
	s_cbranch_execz .LBB53_1356
.LBB53_1355:
	v_bfe_u32 v10, v16, 8, 3
	v_ffbh_u32_e32 v15, v10
	v_min_u32_e32 v15, 32, v15
	v_lshrrev_b16_e32 v14, 3, v11
	v_subrev_u32_e32 v20, 28, v15
	v_and_b32_e32 v14, 15, v14
	v_lshlrev_b32_e32 v11, v20, v11
	v_sub_u32_e32 v15, 29, v15
	v_and_b32_e32 v11, 7, v11
	v_cmp_eq_u16_e32 vcc, 0, v14
	v_cndmask_b32_e32 v10, v10, v11, vcc
	v_cndmask_b32_e32 v11, v14, v15, vcc
	v_lshlrev_b32_e32 v14, 16, v16
	v_mov_b32_e32 v15, 0x3b800000
	v_lshlrev_b32_e32 v10, 20, v10
	v_and_b32_e32 v14, 0x80000000, v14
	v_lshl_add_u32 v11, v11, 23, v15
	v_or3_b32 v10, v14, v11, v10
.LBB53_1356:
	s_or_b64 exec, exec, s[6:7]
	v_lshrrev_b32_e32 v11, 8, v12
	s_movk_i32 s4, 0x7f
	v_cmp_gt_i16_sdwa s[6:7], v11, s4 src0_sel:BYTE_0 src1_sel:DWORD
	s_mov_b64 s[4:5], 0
                                        ; implicit-def: $sgpr10
	s_and_saveexec_b64 s[8:9], s[6:7]
	s_xor_b64 s[6:7], exec, s[8:9]
	s_cbranch_execnz .LBB53_3405
; %bb.1357:
	s_or_saveexec_b64 s[6:7], s[6:7]
	v_mov_b32_e32 v14, s10
	s_xor_b64 exec, exec, s[6:7]
	s_cbranch_execnz .LBB53_3408
.LBB53_1358:
	s_or_b64 exec, exec, s[6:7]
	s_and_saveexec_b64 s[6:7], s[4:5]
	s_cbranch_execz .LBB53_1360
.LBB53_1359:
	v_bfe_u32 v14, v12, 8, 3
	v_ffbh_u32_e32 v20, v14
	v_min_u32_e32 v20, 32, v20
	v_lshrrev_b16_e32 v15, 3, v11
	v_subrev_u32_e32 v21, 28, v20
	v_and_b32_e32 v15, 15, v15
	v_lshlrev_b32_e32 v11, v21, v11
	v_sub_u32_e32 v20, 29, v20
	v_and_b32_e32 v11, 7, v11
	v_cmp_eq_u16_e32 vcc, 0, v15
	v_cndmask_b32_e32 v11, v14, v11, vcc
	v_cndmask_b32_e32 v14, v15, v20, vcc
	v_lshlrev_b32_e32 v15, 16, v12
	v_mov_b32_e32 v20, 0x3b800000
	v_lshlrev_b32_e32 v11, 20, v11
	v_and_b32_e32 v15, 0x80000000, v15
	v_lshl_add_u32 v14, v14, 23, v20
	v_or3_b32 v14, v15, v14, v11
.LBB53_1360:
	s_or_b64 exec, exec, s[6:7]
	s_nop 0
	v_mfma_f32_16x16x4f32 a[0:3], v10, v14, a[0:3]
	s_movk_i32 s4, 0xff
	v_and_b32_sdwa v11, v16, s4 dst_sel:DWORD dst_unused:UNUSED_PAD src0_sel:WORD_1 src1_sel:DWORD
	s_movk_i32 s4, 0x7f
	v_cmp_lt_i16_e32 vcc, s4, v11
	s_mov_b64 s[4:5], 0
                                        ; implicit-def: $sgpr10
	s_and_saveexec_b64 s[6:7], vcc
	s_xor_b64 s[6:7], exec, s[6:7]
	s_cbranch_execnz .LBB53_3409
; %bb.1361:
	s_or_saveexec_b64 s[6:7], s[6:7]
	v_mov_b32_e32 v10, s10
	s_xor_b64 exec, exec, s[6:7]
	s_cbranch_execnz .LBB53_3412
.LBB53_1362:
	s_or_b64 exec, exec, s[6:7]
	s_and_saveexec_b64 s[6:7], s[4:5]
	s_cbranch_execz .LBB53_1364
.LBB53_1363:
	v_bfe_u32 v10, v16, 16, 3
	v_ffbh_u32_e32 v15, v10
	v_min_u32_e32 v15, 32, v15
	v_lshrrev_b32_e32 v11, 19, v16
	v_subrev_u32_e32 v20, 28, v15
	v_and_b32_e32 v11, 15, v11
	v_lshlrev_b32_sdwa v20, v20, v16 dst_sel:DWORD dst_unused:UNUSED_PAD src0_sel:DWORD src1_sel:WORD_1
	v_bfe_u32 v14, v16, 19, 4
	v_sub_u32_e32 v15, 29, v15
	v_and_b32_e32 v20, 7, v20
	v_cmp_eq_u16_e32 vcc, 0, v11
	v_cndmask_b32_e32 v10, v10, v20, vcc
	v_cndmask_b32_e32 v11, v14, v15, vcc
	v_lshlrev_b32_e32 v14, 8, v16
	v_mov_b32_e32 v15, 0x3b800000
	v_lshlrev_b32_e32 v10, 20, v10
	v_and_b32_e32 v14, 0x80000000, v14
	v_lshl_add_u32 v11, v11, 23, v15
	v_or3_b32 v10, v14, v11, v10
.LBB53_1364:
	s_or_b64 exec, exec, s[6:7]
	s_movk_i32 s4, 0xff
	v_and_b32_sdwa v11, v12, s4 dst_sel:DWORD dst_unused:UNUSED_PAD src0_sel:WORD_1 src1_sel:DWORD
	s_movk_i32 s4, 0x7f
	v_cmp_lt_i16_e32 vcc, s4, v11
	s_mov_b64 s[4:5], 0
                                        ; implicit-def: $sgpr10
	s_and_saveexec_b64 s[6:7], vcc
	s_xor_b64 s[6:7], exec, s[6:7]
	s_cbranch_execnz .LBB53_3413
; %bb.1365:
	s_or_saveexec_b64 s[6:7], s[6:7]
	v_mov_b32_e32 v14, s10
	s_xor_b64 exec, exec, s[6:7]
	s_cbranch_execnz .LBB53_3416
.LBB53_1366:
	s_or_b64 exec, exec, s[6:7]
	s_and_saveexec_b64 s[6:7], s[4:5]
	s_cbranch_execz .LBB53_1368
.LBB53_1367:
	v_bfe_u32 v11, v12, 16, 3
	v_ffbh_u32_e32 v20, v11
	v_min_u32_e32 v20, 32, v20
	v_lshrrev_b32_e32 v14, 19, v12
	v_subrev_u32_e32 v21, 28, v20
	v_and_b32_e32 v14, 15, v14
	v_lshlrev_b32_sdwa v21, v21, v12 dst_sel:DWORD dst_unused:UNUSED_PAD src0_sel:DWORD src1_sel:WORD_1
	v_bfe_u32 v15, v12, 19, 4
	v_sub_u32_e32 v20, 29, v20
	v_and_b32_e32 v21, 7, v21
	v_cmp_eq_u16_e32 vcc, 0, v14
	v_cndmask_b32_e32 v11, v11, v21, vcc
	v_cndmask_b32_e32 v14, v15, v20, vcc
	v_lshlrev_b32_e32 v15, 8, v12
	v_mov_b32_e32 v20, 0x3b800000
	v_lshlrev_b32_e32 v11, 20, v11
	v_and_b32_e32 v15, 0x80000000, v15
	v_lshl_add_u32 v14, v14, 23, v20
	v_or3_b32 v14, v15, v14, v11
.LBB53_1368:
	s_or_b64 exec, exec, s[6:7]
	s_nop 0
	v_mfma_f32_16x16x4f32 a[0:3], v10, v14, a[0:3]
	s_movk_i32 s4, 0x7f
	v_cmp_gt_i16_sdwa s[6:7], v16, s4 src0_sel:BYTE_3 src1_sel:DWORD
	s_mov_b64 s[4:5], 0
                                        ; implicit-def: $sgpr10
	s_and_saveexec_b64 s[8:9], s[6:7]
	s_xor_b64 s[6:7], exec, s[8:9]
	s_cbranch_execnz .LBB53_3417
; %bb.1369:
	s_or_saveexec_b64 s[6:7], s[6:7]
	v_mov_b32_e32 v10, s10
	s_xor_b64 exec, exec, s[6:7]
	s_cbranch_execnz .LBB53_3420
.LBB53_1370:
	s_or_b64 exec, exec, s[6:7]
	s_and_saveexec_b64 s[6:7], s[4:5]
	s_cbranch_execz .LBB53_1372
.LBB53_1371:
	v_bfe_u32 v10, v16, 24, 3
	v_ffbh_u32_e32 v20, v10
	v_min_u32_e32 v20, 32, v20
	v_lshrrev_b32_e32 v14, 27, v16
	v_subrev_u32_e32 v21, 28, v20
	v_and_b32_e32 v11, 0x80000000, v16
	v_and_b32_e32 v14, 15, v14
	v_bfe_u32 v15, v16, 27, 4
	v_lshlrev_b32_sdwa v16, v21, v16 dst_sel:DWORD dst_unused:UNUSED_PAD src0_sel:DWORD src1_sel:BYTE_3
	v_sub_u32_e32 v20, 29, v20
	v_and_b32_e32 v16, 7, v16
	v_cmp_eq_u16_e32 vcc, 0, v14
	v_cndmask_b32_e32 v10, v10, v16, vcc
	v_cndmask_b32_e32 v14, v15, v20, vcc
	v_mov_b32_e32 v15, 0x3b800000
	v_lshlrev_b32_e32 v10, 20, v10
	v_lshl_add_u32 v14, v14, 23, v15
	v_or3_b32 v10, v11, v14, v10
.LBB53_1372:
	s_or_b64 exec, exec, s[6:7]
	s_movk_i32 s4, 0x7f
	v_cmp_gt_i16_sdwa s[6:7], v12, s4 src0_sel:BYTE_3 src1_sel:DWORD
	s_mov_b64 s[4:5], 0
                                        ; implicit-def: $sgpr10
	s_and_saveexec_b64 s[8:9], s[6:7]
	s_xor_b64 s[6:7], exec, s[8:9]
	s_cbranch_execnz .LBB53_3421
; %bb.1373:
	s_or_saveexec_b64 s[6:7], s[6:7]
	v_mov_b32_e32 v11, s10
	s_xor_b64 exec, exec, s[6:7]
	s_cbranch_execnz .LBB53_3424
.LBB53_1374:
	s_or_b64 exec, exec, s[6:7]
	s_and_saveexec_b64 s[6:7], s[4:5]
	s_cbranch_execz .LBB53_1376
.LBB53_1375:
	v_bfe_u32 v11, v12, 24, 3
	v_ffbh_u32_e32 v20, v11
	v_min_u32_e32 v20, 32, v20
	v_lshrrev_b32_e32 v15, 27, v12
	v_subrev_u32_e32 v21, 28, v20
	v_and_b32_e32 v14, 0x80000000, v12
	v_and_b32_e32 v15, 15, v15
	v_bfe_u32 v16, v12, 27, 4
	v_lshlrev_b32_sdwa v12, v21, v12 dst_sel:DWORD dst_unused:UNUSED_PAD src0_sel:DWORD src1_sel:BYTE_3
	v_sub_u32_e32 v20, 29, v20
	v_and_b32_e32 v12, 7, v12
	v_cmp_eq_u16_e32 vcc, 0, v15
	v_cndmask_b32_e32 v11, v11, v12, vcc
	v_cndmask_b32_e32 v12, v16, v20, vcc
	v_mov_b32_e32 v15, 0x3b800000
	v_lshlrev_b32_e32 v11, 20, v11
	v_lshl_add_u32 v12, v12, 23, v15
	v_or3_b32 v11, v14, v12, v11
.LBB53_1376:
	s_or_b64 exec, exec, s[6:7]
	s_nop 0
	v_mfma_f32_16x16x4f32 a[0:3], v10, v11, a[0:3]
	s_movk_i32 s4, 0x7f
	v_cmp_gt_i16_sdwa s[6:7], v17, s4 src0_sel:BYTE_0 src1_sel:DWORD
	s_mov_b64 s[4:5], 0
                                        ; implicit-def: $sgpr10
	s_and_saveexec_b64 s[8:9], s[6:7]
	s_xor_b64 s[6:7], exec, s[8:9]
	s_cbranch_execnz .LBB53_3425
; %bb.1377:
	s_or_saveexec_b64 s[6:7], s[6:7]
	v_mov_b32_e32 v10, s10
	s_xor_b64 exec, exec, s[6:7]
	s_cbranch_execnz .LBB53_3428
.LBB53_1378:
	s_or_b64 exec, exec, s[6:7]
	s_and_saveexec_b64 s[6:7], s[4:5]
	s_cbranch_execz .LBB53_1380
.LBB53_1379:
	v_and_b32_e32 v10, 7, v17
	v_ffbh_u32_e32 v12, v10
	v_min_u32_e32 v12, 32, v12
	v_lshrrev_b16_e32 v11, 3, v17
	v_subrev_u32_e32 v14, 28, v12
	v_and_b32_e32 v11, 15, v11
	v_lshlrev_b32_e32 v14, v14, v17
	v_sub_u32_e32 v12, 29, v12
	v_and_b32_e32 v14, 7, v14
	v_cmp_eq_u16_e32 vcc, 0, v11
	v_cndmask_b32_e32 v10, v10, v14, vcc
	v_cndmask_b32_e32 v11, v11, v12, vcc
	v_lshlrev_b32_e32 v12, 24, v17
	v_mov_b32_e32 v14, 0x3b800000
	v_lshlrev_b32_e32 v10, 20, v10
	v_and_b32_e32 v12, 0x80000000, v12
	v_lshl_add_u32 v11, v11, 23, v14
	v_or3_b32 v10, v12, v11, v10
.LBB53_1380:
	s_or_b64 exec, exec, s[6:7]
	s_movk_i32 s4, 0x7f
	v_cmp_gt_i16_sdwa s[6:7], v13, s4 src0_sel:BYTE_0 src1_sel:DWORD
	s_mov_b64 s[4:5], 0
                                        ; implicit-def: $sgpr10
	s_and_saveexec_b64 s[8:9], s[6:7]
	s_xor_b64 s[6:7], exec, s[8:9]
	s_cbranch_execnz .LBB53_3429
; %bb.1381:
	s_or_saveexec_b64 s[6:7], s[6:7]
	v_mov_b32_e32 v11, s10
	s_xor_b64 exec, exec, s[6:7]
	s_cbranch_execnz .LBB53_3432
.LBB53_1382:
	s_or_b64 exec, exec, s[6:7]
	s_and_saveexec_b64 s[6:7], s[4:5]
	s_cbranch_execz .LBB53_1384
.LBB53_1383:
	v_and_b32_e32 v11, 7, v13
	v_ffbh_u32_e32 v14, v11
	v_min_u32_e32 v14, 32, v14
	v_lshrrev_b16_e32 v12, 3, v13
	v_subrev_u32_e32 v15, 28, v14
	v_and_b32_e32 v12, 15, v12
	v_lshlrev_b32_e32 v15, v15, v13
	v_sub_u32_e32 v14, 29, v14
	v_and_b32_e32 v15, 7, v15
	v_cmp_eq_u16_e32 vcc, 0, v12
	v_cndmask_b32_e32 v11, v11, v15, vcc
	v_cndmask_b32_e32 v12, v12, v14, vcc
	v_lshlrev_b32_e32 v14, 24, v13
	v_mov_b32_e32 v15, 0x3b800000
	v_lshlrev_b32_e32 v11, 20, v11
	v_and_b32_e32 v14, 0x80000000, v14
	v_lshl_add_u32 v12, v12, 23, v15
	v_or3_b32 v11, v14, v12, v11
.LBB53_1384:
	s_or_b64 exec, exec, s[6:7]
	s_nop 0
	v_mfma_f32_16x16x4f32 a[0:3], v10, v11, a[0:3]
	v_lshrrev_b32_e32 v11, 8, v17
	s_movk_i32 s4, 0x7f
	v_cmp_gt_i16_sdwa s[6:7], v11, s4 src0_sel:BYTE_0 src1_sel:DWORD
	s_mov_b64 s[4:5], 0
                                        ; implicit-def: $sgpr10
	s_and_saveexec_b64 s[8:9], s[6:7]
	s_xor_b64 s[6:7], exec, s[8:9]
	s_cbranch_execnz .LBB53_3433
; %bb.1385:
	s_or_saveexec_b64 s[6:7], s[6:7]
	v_mov_b32_e32 v10, s10
	s_xor_b64 exec, exec, s[6:7]
	s_cbranch_execnz .LBB53_3436
.LBB53_1386:
	s_or_b64 exec, exec, s[6:7]
	s_and_saveexec_b64 s[6:7], s[4:5]
	s_cbranch_execz .LBB53_1388
.LBB53_1387:
	v_bfe_u32 v10, v17, 8, 3
	v_ffbh_u32_e32 v14, v10
	v_min_u32_e32 v14, 32, v14
	v_lshrrev_b16_e32 v12, 3, v11
	v_subrev_u32_e32 v15, 28, v14
	v_and_b32_e32 v12, 15, v12
	v_lshlrev_b32_e32 v11, v15, v11
	v_sub_u32_e32 v14, 29, v14
	v_and_b32_e32 v11, 7, v11
	v_cmp_eq_u16_e32 vcc, 0, v12
	v_cndmask_b32_e32 v10, v10, v11, vcc
	v_cndmask_b32_e32 v11, v12, v14, vcc
	v_lshlrev_b32_e32 v12, 16, v17
	v_mov_b32_e32 v14, 0x3b800000
	v_lshlrev_b32_e32 v10, 20, v10
	v_and_b32_e32 v12, 0x80000000, v12
	v_lshl_add_u32 v11, v11, 23, v14
	v_or3_b32 v10, v12, v11, v10
.LBB53_1388:
	s_or_b64 exec, exec, s[6:7]
	v_lshrrev_b32_e32 v11, 8, v13
	s_movk_i32 s4, 0x7f
	v_cmp_gt_i16_sdwa s[6:7], v11, s4 src0_sel:BYTE_0 src1_sel:DWORD
	s_mov_b64 s[4:5], 0
                                        ; implicit-def: $sgpr10
	s_and_saveexec_b64 s[8:9], s[6:7]
	s_xor_b64 s[6:7], exec, s[8:9]
	s_cbranch_execnz .LBB53_3437
; %bb.1389:
	s_or_saveexec_b64 s[6:7], s[6:7]
	v_mov_b32_e32 v12, s10
	s_xor_b64 exec, exec, s[6:7]
	s_cbranch_execnz .LBB53_3440
.LBB53_1390:
	s_or_b64 exec, exec, s[6:7]
	s_and_saveexec_b64 s[6:7], s[4:5]
	s_cbranch_execz .LBB53_1392
.LBB53_1391:
	v_bfe_u32 v12, v13, 8, 3
	v_ffbh_u32_e32 v15, v12
	v_min_u32_e32 v15, 32, v15
	v_lshrrev_b16_e32 v14, 3, v11
	v_subrev_u32_e32 v16, 28, v15
	v_and_b32_e32 v14, 15, v14
	v_lshlrev_b32_e32 v11, v16, v11
	v_sub_u32_e32 v15, 29, v15
	v_and_b32_e32 v11, 7, v11
	v_cmp_eq_u16_e32 vcc, 0, v14
	v_cndmask_b32_e32 v11, v12, v11, vcc
	v_cndmask_b32_e32 v12, v14, v15, vcc
	v_lshlrev_b32_e32 v14, 16, v13
	v_mov_b32_e32 v15, 0x3b800000
	v_lshlrev_b32_e32 v11, 20, v11
	v_and_b32_e32 v14, 0x80000000, v14
	v_lshl_add_u32 v12, v12, 23, v15
	v_or3_b32 v12, v14, v12, v11
.LBB53_1392:
	s_or_b64 exec, exec, s[6:7]
	s_nop 0
	v_mfma_f32_16x16x4f32 a[0:3], v10, v12, a[0:3]
	s_movk_i32 s4, 0xff
	v_and_b32_sdwa v11, v17, s4 dst_sel:DWORD dst_unused:UNUSED_PAD src0_sel:WORD_1 src1_sel:DWORD
	s_movk_i32 s4, 0x7f
	v_cmp_lt_i16_e32 vcc, s4, v11
	s_mov_b64 s[4:5], 0
                                        ; implicit-def: $sgpr10
	s_and_saveexec_b64 s[6:7], vcc
	s_xor_b64 s[6:7], exec, s[6:7]
	s_cbranch_execnz .LBB53_3441
; %bb.1393:
	s_or_saveexec_b64 s[6:7], s[6:7]
	v_mov_b32_e32 v10, s10
	s_xor_b64 exec, exec, s[6:7]
	s_cbranch_execnz .LBB53_3444
.LBB53_1394:
	s_or_b64 exec, exec, s[6:7]
	s_and_saveexec_b64 s[6:7], s[4:5]
	s_cbranch_execz .LBB53_1396
.LBB53_1395:
	v_bfe_u32 v10, v17, 16, 3
	v_ffbh_u32_e32 v14, v10
	v_min_u32_e32 v14, 32, v14
	v_lshrrev_b32_e32 v11, 19, v17
	v_subrev_u32_e32 v15, 28, v14
	v_and_b32_e32 v11, 15, v11
	v_lshlrev_b32_sdwa v15, v15, v17 dst_sel:DWORD dst_unused:UNUSED_PAD src0_sel:DWORD src1_sel:WORD_1
	v_bfe_u32 v12, v17, 19, 4
	v_sub_u32_e32 v14, 29, v14
	v_and_b32_e32 v15, 7, v15
	v_cmp_eq_u16_e32 vcc, 0, v11
	v_cndmask_b32_e32 v10, v10, v15, vcc
	v_cndmask_b32_e32 v11, v12, v14, vcc
	v_lshlrev_b32_e32 v12, 8, v17
	v_mov_b32_e32 v14, 0x3b800000
	v_lshlrev_b32_e32 v10, 20, v10
	v_and_b32_e32 v12, 0x80000000, v12
	v_lshl_add_u32 v11, v11, 23, v14
	v_or3_b32 v10, v12, v11, v10
.LBB53_1396:
	s_or_b64 exec, exec, s[6:7]
	s_movk_i32 s4, 0xff
	v_and_b32_sdwa v11, v13, s4 dst_sel:DWORD dst_unused:UNUSED_PAD src0_sel:WORD_1 src1_sel:DWORD
	s_movk_i32 s4, 0x7f
	v_cmp_lt_i16_e32 vcc, s4, v11
	s_mov_b64 s[4:5], 0
                                        ; implicit-def: $sgpr10
	s_and_saveexec_b64 s[6:7], vcc
	s_xor_b64 s[6:7], exec, s[6:7]
	s_cbranch_execnz .LBB53_3445
; %bb.1397:
	s_or_saveexec_b64 s[6:7], s[6:7]
	v_mov_b32_e32 v12, s10
	s_xor_b64 exec, exec, s[6:7]
	s_cbranch_execnz .LBB53_3448
.LBB53_1398:
	s_or_b64 exec, exec, s[6:7]
	s_and_saveexec_b64 s[6:7], s[4:5]
	s_cbranch_execz .LBB53_1400
.LBB53_1399:
	v_bfe_u32 v11, v13, 16, 3
	v_ffbh_u32_e32 v15, v11
	v_min_u32_e32 v15, 32, v15
	v_lshrrev_b32_e32 v12, 19, v13
	v_subrev_u32_e32 v16, 28, v15
	v_and_b32_e32 v12, 15, v12
	v_lshlrev_b32_sdwa v16, v16, v13 dst_sel:DWORD dst_unused:UNUSED_PAD src0_sel:DWORD src1_sel:WORD_1
	v_bfe_u32 v14, v13, 19, 4
	v_sub_u32_e32 v15, 29, v15
	v_and_b32_e32 v16, 7, v16
	v_cmp_eq_u16_e32 vcc, 0, v12
	v_cndmask_b32_e32 v11, v11, v16, vcc
	v_cndmask_b32_e32 v12, v14, v15, vcc
	v_lshlrev_b32_e32 v14, 8, v13
	v_mov_b32_e32 v15, 0x3b800000
	v_lshlrev_b32_e32 v11, 20, v11
	v_and_b32_e32 v14, 0x80000000, v14
	v_lshl_add_u32 v12, v12, 23, v15
	v_or3_b32 v12, v14, v12, v11
.LBB53_1400:
	s_or_b64 exec, exec, s[6:7]
	s_nop 0
	v_mfma_f32_16x16x4f32 a[0:3], v10, v12, a[0:3]
	s_movk_i32 s4, 0x7f
	v_cmp_gt_i16_sdwa s[6:7], v17, s4 src0_sel:BYTE_3 src1_sel:DWORD
	s_mov_b64 s[4:5], 0
                                        ; implicit-def: $sgpr10
	s_and_saveexec_b64 s[8:9], s[6:7]
	s_xor_b64 s[6:7], exec, s[8:9]
	s_cbranch_execnz .LBB53_3449
; %bb.1401:
	s_or_saveexec_b64 s[6:7], s[6:7]
	v_mov_b32_e32 v10, s10
	s_xor_b64 exec, exec, s[6:7]
	s_cbranch_execnz .LBB53_3452
.LBB53_1402:
	s_or_b64 exec, exec, s[6:7]
	s_and_saveexec_b64 s[6:7], s[4:5]
	s_cbranch_execz .LBB53_1404
.LBB53_1403:
	v_bfe_u32 v10, v17, 24, 3
	v_ffbh_u32_e32 v15, v10
	v_min_u32_e32 v15, 32, v15
	v_lshrrev_b32_e32 v12, 27, v17
	v_subrev_u32_e32 v16, 28, v15
	v_and_b32_e32 v12, 15, v12
	v_lshlrev_b32_sdwa v16, v16, v17 dst_sel:DWORD dst_unused:UNUSED_PAD src0_sel:DWORD src1_sel:BYTE_3
	v_bfe_u32 v14, v17, 27, 4
	v_sub_u32_e32 v15, 29, v15
	v_and_b32_e32 v16, 7, v16
	v_cmp_eq_u16_e32 vcc, 0, v12
	v_cndmask_b32_e32 v10, v10, v16, vcc
	v_cndmask_b32_e32 v12, v14, v15, vcc
	v_mov_b32_e32 v14, 0x3b800000
	v_and_b32_e32 v11, 0x80000000, v17
	v_lshlrev_b32_e32 v10, 20, v10
	v_lshl_add_u32 v12, v12, 23, v14
	v_or3_b32 v10, v11, v12, v10
.LBB53_1404:
	s_or_b64 exec, exec, s[6:7]
	s_movk_i32 s4, 0x7f
	v_cmp_gt_i16_sdwa s[6:7], v13, s4 src0_sel:BYTE_3 src1_sel:DWORD
	s_mov_b64 s[4:5], 0
                                        ; implicit-def: $sgpr10
	s_and_saveexec_b64 s[8:9], s[6:7]
	s_xor_b64 s[6:7], exec, s[8:9]
	s_cbranch_execnz .LBB53_3453
; %bb.1405:
	s_or_saveexec_b64 s[6:7], s[6:7]
	v_mov_b32_e32 v11, s10
	s_xor_b64 exec, exec, s[6:7]
	s_cbranch_execnz .LBB53_3456
.LBB53_1406:
	s_or_b64 exec, exec, s[6:7]
	s_and_saveexec_b64 s[6:7], s[4:5]
	s_cbranch_execz .LBB53_1408
.LBB53_1407:
	v_bfe_u32 v11, v13, 24, 3
	v_ffbh_u32_e32 v16, v11
	v_min_u32_e32 v16, 32, v16
	v_lshrrev_b32_e32 v14, 27, v13
	v_subrev_u32_e32 v17, 28, v16
	v_and_b32_e32 v12, 0x80000000, v13
	v_and_b32_e32 v14, 15, v14
	v_bfe_u32 v15, v13, 27, 4
	v_lshlrev_b32_sdwa v13, v17, v13 dst_sel:DWORD dst_unused:UNUSED_PAD src0_sel:DWORD src1_sel:BYTE_3
	v_sub_u32_e32 v16, 29, v16
	v_and_b32_e32 v13, 7, v13
	v_cmp_eq_u16_e32 vcc, 0, v14
	v_cndmask_b32_e32 v11, v11, v13, vcc
	v_cndmask_b32_e32 v13, v15, v16, vcc
	v_mov_b32_e32 v14, 0x3b800000
	v_lshlrev_b32_e32 v11, 20, v11
	v_lshl_add_u32 v13, v13, 23, v14
	v_or3_b32 v11, v12, v13, v11
.LBB53_1408:
	s_or_b64 exec, exec, s[6:7]
	s_nop 0
	v_mfma_f32_16x16x4f32 a[0:3], v10, v11, a[0:3]
	s_movk_i32 s4, 0x7f
	v_cmp_gt_i16_sdwa s[6:7], v6, s4 src0_sel:BYTE_0 src1_sel:DWORD
	s_mov_b64 s[4:5], 0
                                        ; implicit-def: $sgpr10
	s_and_saveexec_b64 s[8:9], s[6:7]
	s_xor_b64 s[6:7], exec, s[8:9]
	s_cbranch_execnz .LBB53_3457
; %bb.1409:
	s_or_saveexec_b64 s[6:7], s[6:7]
	v_mov_b32_e32 v10, s10
	s_xor_b64 exec, exec, s[6:7]
	s_cbranch_execnz .LBB53_3460
.LBB53_1410:
	s_or_b64 exec, exec, s[6:7]
	s_and_saveexec_b64 s[6:7], s[4:5]
	s_cbranch_execz .LBB53_1412
.LBB53_1411:
	v_and_b32_e32 v10, 7, v6
	v_ffbh_u32_e32 v12, v10
	v_min_u32_e32 v12, 32, v12
	v_lshrrev_b16_e32 v11, 3, v6
	v_subrev_u32_e32 v13, 28, v12
	v_and_b32_e32 v11, 15, v11
	v_lshlrev_b32_e32 v13, v13, v6
	v_sub_u32_e32 v12, 29, v12
	v_and_b32_e32 v13, 7, v13
	v_cmp_eq_u16_e32 vcc, 0, v11
	v_cndmask_b32_e32 v10, v10, v13, vcc
	v_cndmask_b32_e32 v11, v11, v12, vcc
	v_lshlrev_b32_e32 v12, 24, v6
	v_mov_b32_e32 v13, 0x3b800000
	v_lshlrev_b32_e32 v10, 20, v10
	v_and_b32_e32 v12, 0x80000000, v12
	v_lshl_add_u32 v11, v11, 23, v13
	v_or3_b32 v10, v12, v11, v10
.LBB53_1412:
	s_or_b64 exec, exec, s[6:7]
	s_movk_i32 s4, 0x7f
	v_cmp_gt_i16_sdwa s[6:7], v2, s4 src0_sel:BYTE_0 src1_sel:DWORD
	s_mov_b64 s[4:5], 0
                                        ; implicit-def: $sgpr10
	s_and_saveexec_b64 s[8:9], s[6:7]
	s_xor_b64 s[6:7], exec, s[8:9]
	s_cbranch_execnz .LBB53_3461
; %bb.1413:
	s_or_saveexec_b64 s[6:7], s[6:7]
	v_mov_b32_e32 v11, s10
	s_xor_b64 exec, exec, s[6:7]
	s_cbranch_execnz .LBB53_3464
.LBB53_1414:
	s_or_b64 exec, exec, s[6:7]
	s_and_saveexec_b64 s[6:7], s[4:5]
	s_cbranch_execz .LBB53_1416
.LBB53_1415:
	v_and_b32_e32 v11, 7, v2
	v_ffbh_u32_e32 v13, v11
	v_min_u32_e32 v13, 32, v13
	v_lshrrev_b16_e32 v12, 3, v2
	v_subrev_u32_e32 v14, 28, v13
	v_and_b32_e32 v12, 15, v12
	v_lshlrev_b32_e32 v14, v14, v2
	v_sub_u32_e32 v13, 29, v13
	v_and_b32_e32 v14, 7, v14
	v_cmp_eq_u16_e32 vcc, 0, v12
	v_cndmask_b32_e32 v11, v11, v14, vcc
	v_cndmask_b32_e32 v12, v12, v13, vcc
	v_lshlrev_b32_e32 v13, 24, v2
	v_mov_b32_e32 v14, 0x3b800000
	v_lshlrev_b32_e32 v11, 20, v11
	v_and_b32_e32 v13, 0x80000000, v13
	v_lshl_add_u32 v12, v12, 23, v14
	v_or3_b32 v11, v13, v12, v11
.LBB53_1416:
	s_or_b64 exec, exec, s[6:7]
	s_nop 0
	v_mfma_f32_16x16x4f32 a[0:3], v10, v11, a[0:3]
	v_lshrrev_b32_e32 v11, 8, v6
	s_movk_i32 s4, 0x7f
	v_cmp_gt_i16_sdwa s[6:7], v11, s4 src0_sel:BYTE_0 src1_sel:DWORD
	s_mov_b64 s[4:5], 0
                                        ; implicit-def: $sgpr10
	s_and_saveexec_b64 s[8:9], s[6:7]
	s_xor_b64 s[6:7], exec, s[8:9]
	s_cbranch_execnz .LBB53_3465
; %bb.1417:
	s_or_saveexec_b64 s[6:7], s[6:7]
	v_mov_b32_e32 v10, s10
	s_xor_b64 exec, exec, s[6:7]
	s_cbranch_execnz .LBB53_3468
.LBB53_1418:
	s_or_b64 exec, exec, s[6:7]
	s_and_saveexec_b64 s[6:7], s[4:5]
	s_cbranch_execz .LBB53_1420
.LBB53_1419:
	v_bfe_u32 v10, v6, 8, 3
	v_ffbh_u32_e32 v13, v10
	v_min_u32_e32 v13, 32, v13
	v_lshrrev_b16_e32 v12, 3, v11
	v_subrev_u32_e32 v14, 28, v13
	v_and_b32_e32 v12, 15, v12
	v_lshlrev_b32_e32 v11, v14, v11
	v_sub_u32_e32 v13, 29, v13
	v_and_b32_e32 v11, 7, v11
	v_cmp_eq_u16_e32 vcc, 0, v12
	v_cndmask_b32_e32 v10, v10, v11, vcc
	v_cndmask_b32_e32 v11, v12, v13, vcc
	v_lshlrev_b32_e32 v12, 16, v6
	v_mov_b32_e32 v13, 0x3b800000
	v_lshlrev_b32_e32 v10, 20, v10
	v_and_b32_e32 v12, 0x80000000, v12
	v_lshl_add_u32 v11, v11, 23, v13
	v_or3_b32 v10, v12, v11, v10
.LBB53_1420:
	s_or_b64 exec, exec, s[6:7]
	v_lshrrev_b32_e32 v11, 8, v2
	s_movk_i32 s4, 0x7f
	v_cmp_gt_i16_sdwa s[6:7], v11, s4 src0_sel:BYTE_0 src1_sel:DWORD
	s_mov_b64 s[4:5], 0
                                        ; implicit-def: $sgpr10
	s_and_saveexec_b64 s[8:9], s[6:7]
	s_xor_b64 s[6:7], exec, s[8:9]
	s_cbranch_execnz .LBB53_3469
; %bb.1421:
	s_or_saveexec_b64 s[6:7], s[6:7]
	v_mov_b32_e32 v12, s10
	s_xor_b64 exec, exec, s[6:7]
	s_cbranch_execnz .LBB53_3472
.LBB53_1422:
	s_or_b64 exec, exec, s[6:7]
	s_and_saveexec_b64 s[6:7], s[4:5]
	s_cbranch_execz .LBB53_1424
.LBB53_1423:
	v_bfe_u32 v12, v2, 8, 3
	v_ffbh_u32_e32 v14, v12
	v_min_u32_e32 v14, 32, v14
	v_lshrrev_b16_e32 v13, 3, v11
	v_subrev_u32_e32 v15, 28, v14
	v_and_b32_e32 v13, 15, v13
	v_lshlrev_b32_e32 v11, v15, v11
	v_sub_u32_e32 v14, 29, v14
	v_and_b32_e32 v11, 7, v11
	v_cmp_eq_u16_e32 vcc, 0, v13
	v_cndmask_b32_e32 v11, v12, v11, vcc
	v_cndmask_b32_e32 v12, v13, v14, vcc
	v_lshlrev_b32_e32 v13, 16, v2
	v_mov_b32_e32 v14, 0x3b800000
	v_lshlrev_b32_e32 v11, 20, v11
	v_and_b32_e32 v13, 0x80000000, v13
	v_lshl_add_u32 v12, v12, 23, v14
	v_or3_b32 v12, v13, v12, v11
.LBB53_1424:
	s_or_b64 exec, exec, s[6:7]
	s_nop 0
	v_mfma_f32_16x16x4f32 a[0:3], v10, v12, a[0:3]
	s_movk_i32 s4, 0xff
	v_and_b32_sdwa v11, v6, s4 dst_sel:DWORD dst_unused:UNUSED_PAD src0_sel:WORD_1 src1_sel:DWORD
	s_movk_i32 s4, 0x7f
	v_cmp_lt_i16_e32 vcc, s4, v11
	s_mov_b64 s[4:5], 0
                                        ; implicit-def: $sgpr10
	s_and_saveexec_b64 s[6:7], vcc
	s_xor_b64 s[6:7], exec, s[6:7]
	s_cbranch_execnz .LBB53_3473
; %bb.1425:
	s_or_saveexec_b64 s[6:7], s[6:7]
	v_mov_b32_e32 v10, s10
	s_xor_b64 exec, exec, s[6:7]
	s_cbranch_execnz .LBB53_3476
.LBB53_1426:
	s_or_b64 exec, exec, s[6:7]
	s_and_saveexec_b64 s[6:7], s[4:5]
	s_cbranch_execz .LBB53_1428
.LBB53_1427:
	v_bfe_u32 v10, v6, 16, 3
	v_ffbh_u32_e32 v13, v10
	v_min_u32_e32 v13, 32, v13
	v_lshrrev_b32_e32 v11, 19, v6
	v_subrev_u32_e32 v14, 28, v13
	v_and_b32_e32 v11, 15, v11
	v_lshlrev_b32_sdwa v14, v14, v6 dst_sel:DWORD dst_unused:UNUSED_PAD src0_sel:DWORD src1_sel:WORD_1
	v_bfe_u32 v12, v6, 19, 4
	v_sub_u32_e32 v13, 29, v13
	v_and_b32_e32 v14, 7, v14
	v_cmp_eq_u16_e32 vcc, 0, v11
	v_cndmask_b32_e32 v10, v10, v14, vcc
	v_cndmask_b32_e32 v11, v12, v13, vcc
	v_lshlrev_b32_e32 v12, 8, v6
	v_mov_b32_e32 v13, 0x3b800000
	v_lshlrev_b32_e32 v10, 20, v10
	v_and_b32_e32 v12, 0x80000000, v12
	v_lshl_add_u32 v11, v11, 23, v13
	v_or3_b32 v10, v12, v11, v10
.LBB53_1428:
	s_or_b64 exec, exec, s[6:7]
	s_movk_i32 s4, 0xff
	v_and_b32_sdwa v11, v2, s4 dst_sel:DWORD dst_unused:UNUSED_PAD src0_sel:WORD_1 src1_sel:DWORD
	s_movk_i32 s4, 0x7f
	v_cmp_lt_i16_e32 vcc, s4, v11
	s_mov_b64 s[4:5], 0
                                        ; implicit-def: $sgpr10
	s_and_saveexec_b64 s[6:7], vcc
	s_xor_b64 s[6:7], exec, s[6:7]
	s_cbranch_execnz .LBB53_3477
; %bb.1429:
	s_or_saveexec_b64 s[6:7], s[6:7]
	v_mov_b32_e32 v12, s10
	s_xor_b64 exec, exec, s[6:7]
	s_cbranch_execnz .LBB53_3480
.LBB53_1430:
	s_or_b64 exec, exec, s[6:7]
	s_and_saveexec_b64 s[6:7], s[4:5]
	s_cbranch_execz .LBB53_1432
.LBB53_1431:
	v_bfe_u32 v11, v2, 16, 3
	v_ffbh_u32_e32 v14, v11
	v_min_u32_e32 v14, 32, v14
	v_lshrrev_b32_e32 v12, 19, v2
	v_subrev_u32_e32 v15, 28, v14
	v_and_b32_e32 v12, 15, v12
	v_lshlrev_b32_sdwa v15, v15, v2 dst_sel:DWORD dst_unused:UNUSED_PAD src0_sel:DWORD src1_sel:WORD_1
	v_bfe_u32 v13, v2, 19, 4
	v_sub_u32_e32 v14, 29, v14
	v_and_b32_e32 v15, 7, v15
	v_cmp_eq_u16_e32 vcc, 0, v12
	v_cndmask_b32_e32 v11, v11, v15, vcc
	v_cndmask_b32_e32 v12, v13, v14, vcc
	v_lshlrev_b32_e32 v13, 8, v2
	v_mov_b32_e32 v14, 0x3b800000
	v_lshlrev_b32_e32 v11, 20, v11
	v_and_b32_e32 v13, 0x80000000, v13
	v_lshl_add_u32 v12, v12, 23, v14
	v_or3_b32 v12, v13, v12, v11
.LBB53_1432:
	s_or_b64 exec, exec, s[6:7]
	s_nop 0
	v_mfma_f32_16x16x4f32 a[0:3], v10, v12, a[0:3]
	s_movk_i32 s4, 0x7f
	v_cmp_gt_i16_sdwa s[6:7], v6, s4 src0_sel:BYTE_3 src1_sel:DWORD
	s_mov_b64 s[4:5], 0
                                        ; implicit-def: $sgpr10
	s_and_saveexec_b64 s[8:9], s[6:7]
	s_xor_b64 s[6:7], exec, s[8:9]
	s_cbranch_execnz .LBB53_3481
; %bb.1433:
	s_or_saveexec_b64 s[6:7], s[6:7]
	v_mov_b32_e32 v10, s10
	s_xor_b64 exec, exec, s[6:7]
	s_cbranch_execnz .LBB53_3484
.LBB53_1434:
	s_or_b64 exec, exec, s[6:7]
	s_and_saveexec_b64 s[6:7], s[4:5]
	s_cbranch_execz .LBB53_1436
.LBB53_1435:
	v_bfe_u32 v10, v6, 24, 3
	v_ffbh_u32_e32 v14, v10
	v_min_u32_e32 v14, 32, v14
	v_lshrrev_b32_e32 v12, 27, v6
	v_subrev_u32_e32 v15, 28, v14
	v_and_b32_e32 v11, 0x80000000, v6
	v_and_b32_e32 v12, 15, v12
	v_bfe_u32 v13, v6, 27, 4
	v_lshlrev_b32_sdwa v6, v15, v6 dst_sel:DWORD dst_unused:UNUSED_PAD src0_sel:DWORD src1_sel:BYTE_3
	v_sub_u32_e32 v14, 29, v14
	v_and_b32_e32 v6, 7, v6
	v_cmp_eq_u16_e32 vcc, 0, v12
	v_cndmask_b32_e32 v6, v10, v6, vcc
	v_cndmask_b32_e32 v10, v13, v14, vcc
	v_mov_b32_e32 v12, 0x3b800000
	v_lshlrev_b32_e32 v6, 20, v6
	v_lshl_add_u32 v10, v10, 23, v12
	v_or3_b32 v10, v11, v10, v6
.LBB53_1436:
	s_or_b64 exec, exec, s[6:7]
	s_movk_i32 s4, 0x7f
	v_cmp_gt_i16_sdwa s[6:7], v2, s4 src0_sel:BYTE_3 src1_sel:DWORD
	s_mov_b64 s[4:5], 0
                                        ; implicit-def: $sgpr10
	s_and_saveexec_b64 s[8:9], s[6:7]
	s_xor_b64 s[6:7], exec, s[8:9]
	s_cbranch_execnz .LBB53_3485
; %bb.1437:
	s_or_saveexec_b64 s[6:7], s[6:7]
	v_mov_b32_e32 v6, s10
	s_xor_b64 exec, exec, s[6:7]
	s_cbranch_execnz .LBB53_3488
.LBB53_1438:
	s_or_b64 exec, exec, s[6:7]
	s_and_saveexec_b64 s[6:7], s[4:5]
	s_cbranch_execz .LBB53_1440
.LBB53_1439:
	v_bfe_u32 v6, v2, 24, 3
	v_ffbh_u32_e32 v14, v6
	v_min_u32_e32 v14, 32, v14
	v_lshrrev_b32_e32 v12, 27, v2
	v_subrev_u32_e32 v15, 28, v14
	v_and_b32_e32 v11, 0x80000000, v2
	v_and_b32_e32 v12, 15, v12
	v_bfe_u32 v13, v2, 27, 4
	v_lshlrev_b32_sdwa v2, v15, v2 dst_sel:DWORD dst_unused:UNUSED_PAD src0_sel:DWORD src1_sel:BYTE_3
	v_sub_u32_e32 v14, 29, v14
	v_and_b32_e32 v2, 7, v2
	v_cmp_eq_u16_e32 vcc, 0, v12
	v_cndmask_b32_e32 v2, v6, v2, vcc
	v_cndmask_b32_e32 v6, v13, v14, vcc
	v_mov_b32_e32 v12, 0x3b800000
	v_lshlrev_b32_e32 v2, 20, v2
	v_lshl_add_u32 v6, v6, 23, v12
	v_or3_b32 v6, v11, v6, v2
.LBB53_1440:
	s_or_b64 exec, exec, s[6:7]
	s_nop 0
	v_mfma_f32_16x16x4f32 a[0:3], v10, v6, a[0:3]
	s_movk_i32 s4, 0x7f
	v_cmp_gt_i16_sdwa s[6:7], v7, s4 src0_sel:BYTE_0 src1_sel:DWORD
	s_mov_b64 s[4:5], 0
                                        ; implicit-def: $sgpr10
	s_and_saveexec_b64 s[8:9], s[6:7]
	s_xor_b64 s[6:7], exec, s[8:9]
	s_cbranch_execnz .LBB53_3489
; %bb.1441:
	s_or_saveexec_b64 s[6:7], s[6:7]
	v_mov_b32_e32 v2, s10
	s_xor_b64 exec, exec, s[6:7]
	s_cbranch_execnz .LBB53_3492
.LBB53_1442:
	s_or_b64 exec, exec, s[6:7]
	s_and_saveexec_b64 s[6:7], s[4:5]
	s_cbranch_execz .LBB53_1444
.LBB53_1443:
	v_and_b32_e32 v2, 7, v7
	v_ffbh_u32_e32 v10, v2
	v_min_u32_e32 v10, 32, v10
	v_lshrrev_b16_e32 v6, 3, v7
	v_subrev_u32_e32 v11, 28, v10
	v_and_b32_e32 v6, 15, v6
	v_lshlrev_b32_e32 v11, v11, v7
	v_sub_u32_e32 v10, 29, v10
	v_and_b32_e32 v11, 7, v11
	v_cmp_eq_u16_e32 vcc, 0, v6
	v_cndmask_b32_e32 v2, v2, v11, vcc
	v_cndmask_b32_e32 v6, v6, v10, vcc
	v_lshlrev_b32_e32 v10, 24, v7
	v_mov_b32_e32 v11, 0x3b800000
	v_lshlrev_b32_e32 v2, 20, v2
	v_and_b32_e32 v10, 0x80000000, v10
	v_lshl_add_u32 v6, v6, 23, v11
	v_or3_b32 v2, v10, v6, v2
.LBB53_1444:
	s_or_b64 exec, exec, s[6:7]
	s_movk_i32 s4, 0x7f
	v_cmp_gt_i16_sdwa s[6:7], v3, s4 src0_sel:BYTE_0 src1_sel:DWORD
	s_mov_b64 s[4:5], 0
                                        ; implicit-def: $sgpr10
	s_and_saveexec_b64 s[8:9], s[6:7]
	s_xor_b64 s[6:7], exec, s[8:9]
	s_cbranch_execnz .LBB53_3493
; %bb.1445:
	s_or_saveexec_b64 s[6:7], s[6:7]
	v_mov_b32_e32 v6, s10
	s_xor_b64 exec, exec, s[6:7]
	s_cbranch_execnz .LBB53_3496
.LBB53_1446:
	s_or_b64 exec, exec, s[6:7]
	s_and_saveexec_b64 s[6:7], s[4:5]
	s_cbranch_execz .LBB53_1448
.LBB53_1447:
	v_and_b32_e32 v6, 7, v3
	v_ffbh_u32_e32 v11, v6
	v_min_u32_e32 v11, 32, v11
	v_lshrrev_b16_e32 v10, 3, v3
	v_subrev_u32_e32 v12, 28, v11
	v_and_b32_e32 v10, 15, v10
	v_lshlrev_b32_e32 v12, v12, v3
	v_sub_u32_e32 v11, 29, v11
	v_and_b32_e32 v12, 7, v12
	v_cmp_eq_u16_e32 vcc, 0, v10
	v_cndmask_b32_e32 v6, v6, v12, vcc
	v_cndmask_b32_e32 v10, v10, v11, vcc
	v_lshlrev_b32_e32 v11, 24, v3
	v_mov_b32_e32 v12, 0x3b800000
	v_lshlrev_b32_e32 v6, 20, v6
	v_and_b32_e32 v11, 0x80000000, v11
	v_lshl_add_u32 v10, v10, 23, v12
	v_or3_b32 v6, v11, v10, v6
.LBB53_1448:
	s_or_b64 exec, exec, s[6:7]
	s_nop 0
	v_mfma_f32_16x16x4f32 a[0:3], v2, v6, a[0:3]
	v_lshrrev_b32_e32 v6, 8, v7
	s_movk_i32 s4, 0x7f
	v_cmp_gt_i16_sdwa s[6:7], v6, s4 src0_sel:BYTE_0 src1_sel:DWORD
	s_mov_b64 s[4:5], 0
                                        ; implicit-def: $sgpr10
	s_and_saveexec_b64 s[8:9], s[6:7]
	s_xor_b64 s[6:7], exec, s[8:9]
	s_cbranch_execnz .LBB53_3497
; %bb.1449:
	s_or_saveexec_b64 s[6:7], s[6:7]
	v_mov_b32_e32 v2, s10
	s_xor_b64 exec, exec, s[6:7]
	s_cbranch_execnz .LBB53_3500
.LBB53_1450:
	s_or_b64 exec, exec, s[6:7]
	s_and_saveexec_b64 s[6:7], s[4:5]
	s_cbranch_execz .LBB53_1452
.LBB53_1451:
	v_bfe_u32 v2, v7, 8, 3
	v_ffbh_u32_e32 v11, v2
	v_min_u32_e32 v11, 32, v11
	v_lshrrev_b16_e32 v10, 3, v6
	v_subrev_u32_e32 v12, 28, v11
	v_and_b32_e32 v10, 15, v10
	v_lshlrev_b32_e32 v6, v12, v6
	v_sub_u32_e32 v11, 29, v11
	v_and_b32_e32 v6, 7, v6
	v_cmp_eq_u16_e32 vcc, 0, v10
	v_cndmask_b32_e32 v2, v2, v6, vcc
	v_cndmask_b32_e32 v6, v10, v11, vcc
	v_lshlrev_b32_e32 v10, 16, v7
	v_mov_b32_e32 v11, 0x3b800000
	v_lshlrev_b32_e32 v2, 20, v2
	v_and_b32_e32 v10, 0x80000000, v10
	v_lshl_add_u32 v6, v6, 23, v11
	v_or3_b32 v2, v10, v6, v2
.LBB53_1452:
	s_or_b64 exec, exec, s[6:7]
	v_lshrrev_b32_e32 v6, 8, v3
	s_movk_i32 s4, 0x7f
	v_cmp_gt_i16_sdwa s[6:7], v6, s4 src0_sel:BYTE_0 src1_sel:DWORD
	s_mov_b64 s[4:5], 0
                                        ; implicit-def: $sgpr10
	s_and_saveexec_b64 s[8:9], s[6:7]
	s_xor_b64 s[6:7], exec, s[8:9]
	s_cbranch_execnz .LBB53_3501
; %bb.1453:
	s_or_saveexec_b64 s[6:7], s[6:7]
	v_mov_b32_e32 v10, s10
	s_xor_b64 exec, exec, s[6:7]
	s_cbranch_execnz .LBB53_3504
.LBB53_1454:
	s_or_b64 exec, exec, s[6:7]
	s_and_saveexec_b64 s[6:7], s[4:5]
	s_cbranch_execz .LBB53_1456
.LBB53_1455:
	v_bfe_u32 v10, v3, 8, 3
	v_ffbh_u32_e32 v12, v10
	v_min_u32_e32 v12, 32, v12
	v_lshrrev_b16_e32 v11, 3, v6
	v_subrev_u32_e32 v13, 28, v12
	v_and_b32_e32 v11, 15, v11
	v_lshlrev_b32_e32 v6, v13, v6
	v_sub_u32_e32 v12, 29, v12
	v_and_b32_e32 v6, 7, v6
	v_cmp_eq_u16_e32 vcc, 0, v11
	v_cndmask_b32_e32 v6, v10, v6, vcc
	v_cndmask_b32_e32 v10, v11, v12, vcc
	v_lshlrev_b32_e32 v11, 16, v3
	v_mov_b32_e32 v12, 0x3b800000
	v_lshlrev_b32_e32 v6, 20, v6
	v_and_b32_e32 v11, 0x80000000, v11
	v_lshl_add_u32 v10, v10, 23, v12
	v_or3_b32 v10, v11, v10, v6
.LBB53_1456:
	s_or_b64 exec, exec, s[6:7]
	s_nop 0
	v_mfma_f32_16x16x4f32 a[0:3], v2, v10, a[0:3]
	s_movk_i32 s4, 0xff
	v_and_b32_sdwa v6, v7, s4 dst_sel:DWORD dst_unused:UNUSED_PAD src0_sel:WORD_1 src1_sel:DWORD
	s_movk_i32 s4, 0x7f
	v_cmp_lt_i16_e32 vcc, s4, v6
	s_mov_b64 s[4:5], 0
                                        ; implicit-def: $sgpr10
	s_and_saveexec_b64 s[6:7], vcc
	s_xor_b64 s[6:7], exec, s[6:7]
	s_cbranch_execnz .LBB53_3505
; %bb.1457:
	s_or_saveexec_b64 s[6:7], s[6:7]
	v_mov_b32_e32 v2, s10
	s_xor_b64 exec, exec, s[6:7]
	s_cbranch_execnz .LBB53_3508
.LBB53_1458:
	s_or_b64 exec, exec, s[6:7]
	s_and_saveexec_b64 s[6:7], s[4:5]
	s_cbranch_execz .LBB53_1460
.LBB53_1459:
	v_bfe_u32 v2, v7, 16, 3
	v_ffbh_u32_e32 v11, v2
	v_min_u32_e32 v11, 32, v11
	v_lshrrev_b32_e32 v6, 19, v7
	v_subrev_u32_e32 v12, 28, v11
	v_and_b32_e32 v6, 15, v6
	v_lshlrev_b32_sdwa v12, v12, v7 dst_sel:DWORD dst_unused:UNUSED_PAD src0_sel:DWORD src1_sel:WORD_1
	v_bfe_u32 v10, v7, 19, 4
	v_sub_u32_e32 v11, 29, v11
	v_and_b32_e32 v12, 7, v12
	v_cmp_eq_u16_e32 vcc, 0, v6
	v_cndmask_b32_e32 v2, v2, v12, vcc
	v_cndmask_b32_e32 v6, v10, v11, vcc
	v_lshlrev_b32_e32 v10, 8, v7
	v_mov_b32_e32 v11, 0x3b800000
	v_lshlrev_b32_e32 v2, 20, v2
	v_and_b32_e32 v10, 0x80000000, v10
	v_lshl_add_u32 v6, v6, 23, v11
	v_or3_b32 v2, v10, v6, v2
.LBB53_1460:
	s_or_b64 exec, exec, s[6:7]
	s_movk_i32 s4, 0xff
	v_and_b32_sdwa v6, v3, s4 dst_sel:DWORD dst_unused:UNUSED_PAD src0_sel:WORD_1 src1_sel:DWORD
	s_movk_i32 s4, 0x7f
	v_cmp_lt_i16_e32 vcc, s4, v6
	s_mov_b64 s[4:5], 0
                                        ; implicit-def: $sgpr10
	s_and_saveexec_b64 s[6:7], vcc
	s_xor_b64 s[6:7], exec, s[6:7]
	s_cbranch_execnz .LBB53_3509
; %bb.1461:
	s_or_saveexec_b64 s[6:7], s[6:7]
	v_mov_b32_e32 v10, s10
	s_xor_b64 exec, exec, s[6:7]
	s_cbranch_execnz .LBB53_3512
.LBB53_1462:
	s_or_b64 exec, exec, s[6:7]
	s_and_saveexec_b64 s[6:7], s[4:5]
	s_cbranch_execz .LBB53_1464
.LBB53_1463:
	v_bfe_u32 v6, v3, 16, 3
	v_ffbh_u32_e32 v12, v6
	v_min_u32_e32 v12, 32, v12
	v_lshrrev_b32_e32 v10, 19, v3
	v_subrev_u32_e32 v13, 28, v12
	v_and_b32_e32 v10, 15, v10
	v_lshlrev_b32_sdwa v13, v13, v3 dst_sel:DWORD dst_unused:UNUSED_PAD src0_sel:DWORD src1_sel:WORD_1
	v_bfe_u32 v11, v3, 19, 4
	v_sub_u32_e32 v12, 29, v12
	v_and_b32_e32 v13, 7, v13
	v_cmp_eq_u16_e32 vcc, 0, v10
	v_cndmask_b32_e32 v6, v6, v13, vcc
	v_cndmask_b32_e32 v10, v11, v12, vcc
	v_lshlrev_b32_e32 v11, 8, v3
	v_mov_b32_e32 v12, 0x3b800000
	v_lshlrev_b32_e32 v6, 20, v6
	v_and_b32_e32 v11, 0x80000000, v11
	v_lshl_add_u32 v10, v10, 23, v12
	v_or3_b32 v10, v11, v10, v6
.LBB53_1464:
	s_or_b64 exec, exec, s[6:7]
	s_nop 0
	v_mfma_f32_16x16x4f32 a[0:3], v2, v10, a[0:3]
	s_movk_i32 s4, 0x7f
	v_cmp_gt_i16_sdwa s[6:7], v7, s4 src0_sel:BYTE_3 src1_sel:DWORD
	s_mov_b64 s[4:5], 0
                                        ; implicit-def: $sgpr10
	s_and_saveexec_b64 s[8:9], s[6:7]
	s_xor_b64 s[6:7], exec, s[8:9]
	s_cbranch_execnz .LBB53_3513
; %bb.1465:
	s_or_saveexec_b64 s[6:7], s[6:7]
	v_mov_b32_e32 v2, s10
	s_xor_b64 exec, exec, s[6:7]
	s_cbranch_execnz .LBB53_3516
.LBB53_1466:
	s_or_b64 exec, exec, s[6:7]
	s_and_saveexec_b64 s[6:7], s[4:5]
	s_cbranch_execz .LBB53_1468
.LBB53_1467:
	v_bfe_u32 v2, v7, 24, 3
	v_ffbh_u32_e32 v12, v2
	v_min_u32_e32 v12, 32, v12
	v_lshrrev_b32_e32 v10, 27, v7
	v_subrev_u32_e32 v13, 28, v12
	v_and_b32_e32 v6, 0x80000000, v7
	v_and_b32_e32 v10, 15, v10
	v_bfe_u32 v11, v7, 27, 4
	v_lshlrev_b32_sdwa v7, v13, v7 dst_sel:DWORD dst_unused:UNUSED_PAD src0_sel:DWORD src1_sel:BYTE_3
	v_sub_u32_e32 v12, 29, v12
	v_and_b32_e32 v7, 7, v7
	v_cmp_eq_u16_e32 vcc, 0, v10
	v_cndmask_b32_e32 v2, v2, v7, vcc
	v_cndmask_b32_e32 v7, v11, v12, vcc
	v_mov_b32_e32 v10, 0x3b800000
	v_lshlrev_b32_e32 v2, 20, v2
	v_lshl_add_u32 v7, v7, 23, v10
	v_or3_b32 v2, v6, v7, v2
.LBB53_1468:
	s_or_b64 exec, exec, s[6:7]
	s_movk_i32 s4, 0x7f
	v_cmp_gt_i16_sdwa s[6:7], v3, s4 src0_sel:BYTE_3 src1_sel:DWORD
	s_mov_b64 s[4:5], 0
                                        ; implicit-def: $sgpr10
	s_and_saveexec_b64 s[8:9], s[6:7]
	s_xor_b64 s[6:7], exec, s[8:9]
	s_cbranch_execnz .LBB53_3517
; %bb.1469:
	s_or_saveexec_b64 s[6:7], s[6:7]
	v_mov_b32_e32 v6, s10
	s_xor_b64 exec, exec, s[6:7]
	s_cbranch_execnz .LBB53_3520
.LBB53_1470:
	s_or_b64 exec, exec, s[6:7]
	s_and_saveexec_b64 s[6:7], s[4:5]
	s_cbranch_execz .LBB53_1472
.LBB53_1471:
	v_bfe_u32 v6, v3, 24, 3
	v_ffbh_u32_e32 v12, v6
	v_min_u32_e32 v12, 32, v12
	v_lshrrev_b32_e32 v10, 27, v3
	v_subrev_u32_e32 v13, 28, v12
	v_and_b32_e32 v7, 0x80000000, v3
	v_and_b32_e32 v10, 15, v10
	v_bfe_u32 v11, v3, 27, 4
	v_lshlrev_b32_sdwa v3, v13, v3 dst_sel:DWORD dst_unused:UNUSED_PAD src0_sel:DWORD src1_sel:BYTE_3
	v_sub_u32_e32 v12, 29, v12
	v_and_b32_e32 v3, 7, v3
	v_cmp_eq_u16_e32 vcc, 0, v10
	v_cndmask_b32_e32 v3, v6, v3, vcc
	v_cndmask_b32_e32 v6, v11, v12, vcc
	v_mov_b32_e32 v10, 0x3b800000
	v_lshlrev_b32_e32 v3, 20, v3
	v_lshl_add_u32 v6, v6, 23, v10
	v_or3_b32 v6, v7, v6, v3
.LBB53_1472:
	s_or_b64 exec, exec, s[6:7]
	s_nop 0
	v_mfma_f32_16x16x4f32 a[0:3], v2, v6, a[0:3]
	s_movk_i32 s4, 0x7f
	v_cmp_gt_i16_sdwa s[6:7], v8, s4 src0_sel:BYTE_0 src1_sel:DWORD
	s_mov_b64 s[4:5], 0
                                        ; implicit-def: $sgpr10
	s_and_saveexec_b64 s[8:9], s[6:7]
	s_xor_b64 s[6:7], exec, s[8:9]
	s_cbranch_execnz .LBB53_3521
; %bb.1473:
	s_or_saveexec_b64 s[6:7], s[6:7]
	v_mov_b32_e32 v2, s10
	s_xor_b64 exec, exec, s[6:7]
	s_cbranch_execnz .LBB53_3524
.LBB53_1474:
	s_or_b64 exec, exec, s[6:7]
	s_and_saveexec_b64 s[6:7], s[4:5]
	s_cbranch_execz .LBB53_1476
.LBB53_1475:
	v_and_b32_e32 v2, 7, v8
	v_ffbh_u32_e32 v6, v2
	v_min_u32_e32 v6, 32, v6
	v_lshrrev_b16_e32 v3, 3, v8
	v_subrev_u32_e32 v7, 28, v6
	v_and_b32_e32 v3, 15, v3
	v_lshlrev_b32_e32 v7, v7, v8
	v_sub_u32_e32 v6, 29, v6
	v_and_b32_e32 v7, 7, v7
	v_cmp_eq_u16_e32 vcc, 0, v3
	v_cndmask_b32_e32 v2, v2, v7, vcc
	v_cndmask_b32_e32 v3, v3, v6, vcc
	v_lshlrev_b32_e32 v6, 24, v8
	v_mov_b32_e32 v7, 0x3b800000
	v_lshlrev_b32_e32 v2, 20, v2
	v_and_b32_e32 v6, 0x80000000, v6
	v_lshl_add_u32 v3, v3, 23, v7
	v_or3_b32 v2, v6, v3, v2
.LBB53_1476:
	s_or_b64 exec, exec, s[6:7]
	s_movk_i32 s4, 0x7f
	v_cmp_gt_i16_sdwa s[6:7], v4, s4 src0_sel:BYTE_0 src1_sel:DWORD
	s_mov_b64 s[4:5], 0
                                        ; implicit-def: $sgpr10
	s_and_saveexec_b64 s[8:9], s[6:7]
	s_xor_b64 s[6:7], exec, s[8:9]
	s_cbranch_execnz .LBB53_3525
; %bb.1477:
	s_or_saveexec_b64 s[6:7], s[6:7]
	v_mov_b32_e32 v3, s10
	s_xor_b64 exec, exec, s[6:7]
	s_cbranch_execnz .LBB53_3528
.LBB53_1478:
	s_or_b64 exec, exec, s[6:7]
	s_and_saveexec_b64 s[6:7], s[4:5]
	s_cbranch_execz .LBB53_1480
.LBB53_1479:
	v_and_b32_e32 v3, 7, v4
	v_ffbh_u32_e32 v7, v3
	v_min_u32_e32 v7, 32, v7
	v_lshrrev_b16_e32 v6, 3, v4
	v_subrev_u32_e32 v10, 28, v7
	v_and_b32_e32 v6, 15, v6
	v_lshlrev_b32_e32 v10, v10, v4
	v_sub_u32_e32 v7, 29, v7
	v_and_b32_e32 v10, 7, v10
	v_cmp_eq_u16_e32 vcc, 0, v6
	v_cndmask_b32_e32 v3, v3, v10, vcc
	v_cndmask_b32_e32 v6, v6, v7, vcc
	v_lshlrev_b32_e32 v7, 24, v4
	v_mov_b32_e32 v10, 0x3b800000
	v_lshlrev_b32_e32 v3, 20, v3
	v_and_b32_e32 v7, 0x80000000, v7
	v_lshl_add_u32 v6, v6, 23, v10
	v_or3_b32 v3, v7, v6, v3
.LBB53_1480:
	s_or_b64 exec, exec, s[6:7]
	s_nop 0
	v_mfma_f32_16x16x4f32 a[0:3], v2, v3, a[0:3]
	v_lshrrev_b32_e32 v3, 8, v8
	s_movk_i32 s4, 0x7f
	v_cmp_gt_i16_sdwa s[6:7], v3, s4 src0_sel:BYTE_0 src1_sel:DWORD
	s_mov_b64 s[4:5], 0
                                        ; implicit-def: $sgpr10
	s_and_saveexec_b64 s[8:9], s[6:7]
	s_xor_b64 s[6:7], exec, s[8:9]
	s_cbranch_execnz .LBB53_3529
; %bb.1481:
	s_or_saveexec_b64 s[6:7], s[6:7]
	v_mov_b32_e32 v2, s10
	s_xor_b64 exec, exec, s[6:7]
	s_cbranch_execnz .LBB53_3532
.LBB53_1482:
	s_or_b64 exec, exec, s[6:7]
	s_and_saveexec_b64 s[6:7], s[4:5]
	s_cbranch_execz .LBB53_1484
.LBB53_1483:
	v_bfe_u32 v2, v8, 8, 3
	v_ffbh_u32_e32 v7, v2
	v_min_u32_e32 v7, 32, v7
	v_lshrrev_b16_e32 v6, 3, v3
	v_subrev_u32_e32 v10, 28, v7
	v_and_b32_e32 v6, 15, v6
	v_lshlrev_b32_e32 v3, v10, v3
	v_sub_u32_e32 v7, 29, v7
	v_and_b32_e32 v3, 7, v3
	v_cmp_eq_u16_e32 vcc, 0, v6
	v_cndmask_b32_e32 v2, v2, v3, vcc
	v_cndmask_b32_e32 v3, v6, v7, vcc
	v_lshlrev_b32_e32 v6, 16, v8
	v_mov_b32_e32 v7, 0x3b800000
	v_lshlrev_b32_e32 v2, 20, v2
	v_and_b32_e32 v6, 0x80000000, v6
	v_lshl_add_u32 v3, v3, 23, v7
	v_or3_b32 v2, v6, v3, v2
.LBB53_1484:
	s_or_b64 exec, exec, s[6:7]
	v_lshrrev_b32_e32 v3, 8, v4
	s_movk_i32 s4, 0x7f
	v_cmp_gt_i16_sdwa s[6:7], v3, s4 src0_sel:BYTE_0 src1_sel:DWORD
	s_mov_b64 s[4:5], 0
                                        ; implicit-def: $sgpr10
	s_and_saveexec_b64 s[8:9], s[6:7]
	s_xor_b64 s[6:7], exec, s[8:9]
	s_cbranch_execnz .LBB53_3533
; %bb.1485:
	s_or_saveexec_b64 s[6:7], s[6:7]
	v_mov_b32_e32 v6, s10
	s_xor_b64 exec, exec, s[6:7]
	s_cbranch_execnz .LBB53_3536
.LBB53_1486:
	s_or_b64 exec, exec, s[6:7]
	s_and_saveexec_b64 s[6:7], s[4:5]
	s_cbranch_execz .LBB53_1488
.LBB53_1487:
	v_bfe_u32 v6, v4, 8, 3
	v_ffbh_u32_e32 v10, v6
	v_min_u32_e32 v10, 32, v10
	v_lshrrev_b16_e32 v7, 3, v3
	v_subrev_u32_e32 v11, 28, v10
	v_and_b32_e32 v7, 15, v7
	v_lshlrev_b32_e32 v3, v11, v3
	v_sub_u32_e32 v10, 29, v10
	v_and_b32_e32 v3, 7, v3
	v_cmp_eq_u16_e32 vcc, 0, v7
	v_cndmask_b32_e32 v3, v6, v3, vcc
	v_cndmask_b32_e32 v6, v7, v10, vcc
	v_lshlrev_b32_e32 v7, 16, v4
	v_mov_b32_e32 v10, 0x3b800000
	v_lshlrev_b32_e32 v3, 20, v3
	v_and_b32_e32 v7, 0x80000000, v7
	v_lshl_add_u32 v6, v6, 23, v10
	v_or3_b32 v6, v7, v6, v3
.LBB53_1488:
	s_or_b64 exec, exec, s[6:7]
	s_nop 0
	v_mfma_f32_16x16x4f32 a[0:3], v2, v6, a[0:3]
	s_movk_i32 s4, 0xff
	v_and_b32_sdwa v3, v8, s4 dst_sel:DWORD dst_unused:UNUSED_PAD src0_sel:WORD_1 src1_sel:DWORD
	s_movk_i32 s4, 0x7f
	v_cmp_lt_i16_e32 vcc, s4, v3
	s_mov_b64 s[4:5], 0
                                        ; implicit-def: $sgpr10
	s_and_saveexec_b64 s[6:7], vcc
	s_xor_b64 s[6:7], exec, s[6:7]
	s_cbranch_execnz .LBB53_3537
; %bb.1489:
	s_or_saveexec_b64 s[6:7], s[6:7]
	v_mov_b32_e32 v2, s10
	s_xor_b64 exec, exec, s[6:7]
	s_cbranch_execnz .LBB53_3540
.LBB53_1490:
	s_or_b64 exec, exec, s[6:7]
	s_and_saveexec_b64 s[6:7], s[4:5]
	s_cbranch_execz .LBB53_1492
.LBB53_1491:
	v_bfe_u32 v2, v8, 16, 3
	v_ffbh_u32_e32 v7, v2
	v_min_u32_e32 v7, 32, v7
	v_lshrrev_b32_e32 v3, 19, v8
	v_subrev_u32_e32 v10, 28, v7
	v_and_b32_e32 v3, 15, v3
	v_lshlrev_b32_sdwa v10, v10, v8 dst_sel:DWORD dst_unused:UNUSED_PAD src0_sel:DWORD src1_sel:WORD_1
	v_bfe_u32 v6, v8, 19, 4
	v_sub_u32_e32 v7, 29, v7
	v_and_b32_e32 v10, 7, v10
	v_cmp_eq_u16_e32 vcc, 0, v3
	v_cndmask_b32_e32 v2, v2, v10, vcc
	v_cndmask_b32_e32 v3, v6, v7, vcc
	v_lshlrev_b32_e32 v6, 8, v8
	v_mov_b32_e32 v7, 0x3b800000
	v_lshlrev_b32_e32 v2, 20, v2
	v_and_b32_e32 v6, 0x80000000, v6
	v_lshl_add_u32 v3, v3, 23, v7
	v_or3_b32 v2, v6, v3, v2
.LBB53_1492:
	s_or_b64 exec, exec, s[6:7]
	s_movk_i32 s4, 0xff
	v_and_b32_sdwa v3, v4, s4 dst_sel:DWORD dst_unused:UNUSED_PAD src0_sel:WORD_1 src1_sel:DWORD
	s_movk_i32 s4, 0x7f
	v_cmp_lt_i16_e32 vcc, s4, v3
	s_mov_b64 s[4:5], 0
                                        ; implicit-def: $sgpr10
	s_and_saveexec_b64 s[6:7], vcc
	s_xor_b64 s[6:7], exec, s[6:7]
	s_cbranch_execnz .LBB53_3541
; %bb.1493:
	s_or_saveexec_b64 s[6:7], s[6:7]
	v_mov_b32_e32 v6, s10
	s_xor_b64 exec, exec, s[6:7]
	s_cbranch_execnz .LBB53_3544
.LBB53_1494:
	s_or_b64 exec, exec, s[6:7]
	s_and_saveexec_b64 s[6:7], s[4:5]
	s_cbranch_execz .LBB53_1496
.LBB53_1495:
	v_bfe_u32 v3, v4, 16, 3
	v_ffbh_u32_e32 v10, v3
	v_min_u32_e32 v10, 32, v10
	v_lshrrev_b32_e32 v6, 19, v4
	v_subrev_u32_e32 v11, 28, v10
	v_and_b32_e32 v6, 15, v6
	v_lshlrev_b32_sdwa v11, v11, v4 dst_sel:DWORD dst_unused:UNUSED_PAD src0_sel:DWORD src1_sel:WORD_1
	v_bfe_u32 v7, v4, 19, 4
	v_sub_u32_e32 v10, 29, v10
	v_and_b32_e32 v11, 7, v11
	v_cmp_eq_u16_e32 vcc, 0, v6
	v_cndmask_b32_e32 v3, v3, v11, vcc
	v_cndmask_b32_e32 v6, v7, v10, vcc
	v_lshlrev_b32_e32 v7, 8, v4
	v_mov_b32_e32 v10, 0x3b800000
	v_lshlrev_b32_e32 v3, 20, v3
	v_and_b32_e32 v7, 0x80000000, v7
	v_lshl_add_u32 v6, v6, 23, v10
	v_or3_b32 v6, v7, v6, v3
.LBB53_1496:
	s_or_b64 exec, exec, s[6:7]
	s_nop 0
	v_mfma_f32_16x16x4f32 a[0:3], v2, v6, a[0:3]
	s_movk_i32 s4, 0x7f
	v_cmp_gt_i16_sdwa s[6:7], v8, s4 src0_sel:BYTE_3 src1_sel:DWORD
	s_mov_b64 s[4:5], 0
                                        ; implicit-def: $sgpr10
	s_and_saveexec_b64 s[8:9], s[6:7]
	s_xor_b64 s[6:7], exec, s[8:9]
	s_cbranch_execnz .LBB53_3545
; %bb.1497:
	s_or_saveexec_b64 s[6:7], s[6:7]
	v_mov_b32_e32 v2, s10
	s_xor_b64 exec, exec, s[6:7]
	s_cbranch_execnz .LBB53_3548
.LBB53_1498:
	s_or_b64 exec, exec, s[6:7]
	s_and_saveexec_b64 s[6:7], s[4:5]
	s_cbranch_execz .LBB53_1500
.LBB53_1499:
	v_bfe_u32 v2, v8, 24, 3
	v_ffbh_u32_e32 v10, v2
	v_min_u32_e32 v10, 32, v10
	v_lshrrev_b32_e32 v6, 27, v8
	v_subrev_u32_e32 v11, 28, v10
	v_and_b32_e32 v3, 0x80000000, v8
	v_and_b32_e32 v6, 15, v6
	v_bfe_u32 v7, v8, 27, 4
	v_lshlrev_b32_sdwa v8, v11, v8 dst_sel:DWORD dst_unused:UNUSED_PAD src0_sel:DWORD src1_sel:BYTE_3
	v_sub_u32_e32 v10, 29, v10
	v_and_b32_e32 v8, 7, v8
	v_cmp_eq_u16_e32 vcc, 0, v6
	v_cndmask_b32_e32 v2, v2, v8, vcc
	v_cndmask_b32_e32 v6, v7, v10, vcc
	v_mov_b32_e32 v7, 0x3b800000
	v_lshlrev_b32_e32 v2, 20, v2
	v_lshl_add_u32 v6, v6, 23, v7
	v_or3_b32 v2, v3, v6, v2
.LBB53_1500:
	s_or_b64 exec, exec, s[6:7]
	s_movk_i32 s4, 0x7f
	v_cmp_gt_i16_sdwa s[6:7], v4, s4 src0_sel:BYTE_3 src1_sel:DWORD
	s_mov_b64 s[4:5], 0
                                        ; implicit-def: $sgpr10
	s_and_saveexec_b64 s[8:9], s[6:7]
	s_xor_b64 s[6:7], exec, s[8:9]
	s_cbranch_execnz .LBB53_3549
; %bb.1501:
	s_or_saveexec_b64 s[6:7], s[6:7]
	v_mov_b32_e32 v3, s10
	s_xor_b64 exec, exec, s[6:7]
	s_cbranch_execnz .LBB53_3552
.LBB53_1502:
	s_or_b64 exec, exec, s[6:7]
	s_and_saveexec_b64 s[6:7], s[4:5]
	s_cbranch_execz .LBB53_1504
.LBB53_1503:
	v_bfe_u32 v3, v4, 24, 3
	v_ffbh_u32_e32 v10, v3
	v_min_u32_e32 v10, 32, v10
	v_lshrrev_b32_e32 v7, 27, v4
	v_subrev_u32_e32 v11, 28, v10
	v_and_b32_e32 v6, 0x80000000, v4
	v_and_b32_e32 v7, 15, v7
	v_bfe_u32 v8, v4, 27, 4
	v_lshlrev_b32_sdwa v4, v11, v4 dst_sel:DWORD dst_unused:UNUSED_PAD src0_sel:DWORD src1_sel:BYTE_3
	v_sub_u32_e32 v10, 29, v10
	v_and_b32_e32 v4, 7, v4
	v_cmp_eq_u16_e32 vcc, 0, v7
	v_cndmask_b32_e32 v3, v3, v4, vcc
	v_cndmask_b32_e32 v4, v8, v10, vcc
	v_mov_b32_e32 v7, 0x3b800000
	v_lshlrev_b32_e32 v3, 20, v3
	v_lshl_add_u32 v4, v4, 23, v7
	v_or3_b32 v3, v6, v4, v3
.LBB53_1504:
	s_or_b64 exec, exec, s[6:7]
	s_nop 0
	v_mfma_f32_16x16x4f32 a[0:3], v2, v3, a[0:3]
	s_movk_i32 s4, 0x7f
	v_cmp_gt_i16_sdwa s[6:7], v9, s4 src0_sel:BYTE_0 src1_sel:DWORD
	s_mov_b64 s[4:5], 0
                                        ; implicit-def: $sgpr10
	s_and_saveexec_b64 s[8:9], s[6:7]
	s_xor_b64 s[6:7], exec, s[8:9]
	s_cbranch_execnz .LBB53_3553
; %bb.1505:
	s_or_saveexec_b64 s[6:7], s[6:7]
	v_mov_b32_e32 v2, s10
	s_xor_b64 exec, exec, s[6:7]
	s_cbranch_execnz .LBB53_3556
.LBB53_1506:
	s_or_b64 exec, exec, s[6:7]
	s_and_saveexec_b64 s[6:7], s[4:5]
	s_cbranch_execz .LBB53_1508
.LBB53_1507:
	v_mov_b32_e32 v2, 8
	v_and_b32_e32 v3, 7, v9
	v_lshrrev_b32_sdwa v2, v2, v9 dst_sel:BYTE_1 dst_unused:UNUSED_PAD src0_sel:DWORD src1_sel:DWORD
	v_ffbh_u32_e32 v4, v3
	v_or_b32_sdwa v2, v9, v2 dst_sel:DWORD dst_unused:UNUSED_PAD src0_sel:BYTE_0 src1_sel:DWORD
	v_min_u32_e32 v4, 32, v4
	v_lshrrev_b16_e32 v2, 3, v2
	v_subrev_u32_e32 v6, 28, v4
	v_and_b32_e32 v2, 15, v2
	v_lshlrev_b32_e32 v6, v6, v9
	v_sub_u32_e32 v4, 29, v4
	v_and_b32_e32 v6, 7, v6
	v_cmp_eq_u16_e32 vcc, 0, v2
	v_cndmask_b32_e32 v3, v3, v6, vcc
	v_cndmask_b32_e32 v2, v2, v4, vcc
	v_lshlrev_b32_e32 v4, 24, v9
	v_mov_b32_e32 v6, 0x3b800000
	v_lshlrev_b32_e32 v3, 20, v3
	v_and_b32_e32 v4, 0x80000000, v4
	v_lshl_add_u32 v2, v2, 23, v6
	v_or3_b32 v2, v4, v2, v3
.LBB53_1508:
	s_or_b64 exec, exec, s[6:7]
	s_movk_i32 s4, 0x7f
	v_cmp_gt_i16_sdwa s[6:7], v5, s4 src0_sel:BYTE_0 src1_sel:DWORD
	s_mov_b64 s[4:5], 0
                                        ; implicit-def: $sgpr10
	s_and_saveexec_b64 s[8:9], s[6:7]
	s_xor_b64 s[6:7], exec, s[8:9]
	s_cbranch_execnz .LBB53_3557
; %bb.1509:
	s_or_saveexec_b64 s[6:7], s[6:7]
	v_mov_b32_e32 v3, s10
	s_xor_b64 exec, exec, s[6:7]
	s_cbranch_execnz .LBB53_3560
.LBB53_1510:
	s_or_b64 exec, exec, s[6:7]
	s_and_saveexec_b64 s[6:7], s[4:5]
	s_cbranch_execz .LBB53_1512
.LBB53_1511:
	v_mov_b32_e32 v3, 8
	v_and_b32_e32 v4, 7, v5
	v_lshrrev_b32_sdwa v3, v3, v5 dst_sel:BYTE_1 dst_unused:UNUSED_PAD src0_sel:DWORD src1_sel:DWORD
	v_ffbh_u32_e32 v6, v4
	v_or_b32_sdwa v3, v5, v3 dst_sel:DWORD dst_unused:UNUSED_PAD src0_sel:BYTE_0 src1_sel:DWORD
	v_min_u32_e32 v6, 32, v6
	v_lshrrev_b16_e32 v3, 3, v3
	v_subrev_u32_e32 v7, 28, v6
	v_and_b32_e32 v3, 15, v3
	v_lshlrev_b32_e32 v7, v7, v5
	v_sub_u32_e32 v6, 29, v6
	v_and_b32_e32 v7, 7, v7
	v_cmp_eq_u16_e32 vcc, 0, v3
	v_cndmask_b32_e32 v4, v4, v7, vcc
	v_cndmask_b32_e32 v3, v3, v6, vcc
	v_lshlrev_b32_e32 v6, 24, v5
	v_mov_b32_e32 v7, 0x3b800000
	v_lshlrev_b32_e32 v4, 20, v4
	v_and_b32_e32 v6, 0x80000000, v6
	v_lshl_add_u32 v3, v3, 23, v7
	v_or3_b32 v3, v6, v3, v4
.LBB53_1512:
	s_or_b64 exec, exec, s[6:7]
	s_nop 0
	v_mfma_f32_16x16x4f32 a[0:3], v2, v3, a[0:3]
	v_lshrrev_b32_e32 v3, 8, v9
	s_movk_i32 s4, 0x7f
	v_cmp_gt_i16_sdwa s[6:7], v3, s4 src0_sel:BYTE_0 src1_sel:DWORD
	s_mov_b64 s[4:5], 0
                                        ; implicit-def: $sgpr10
	s_and_saveexec_b64 s[8:9], s[6:7]
	s_xor_b64 s[6:7], exec, s[8:9]
	s_cbranch_execnz .LBB53_3561
; %bb.1513:
	s_or_saveexec_b64 s[6:7], s[6:7]
	v_mov_b32_e32 v2, s10
	s_xor_b64 exec, exec, s[6:7]
	s_cbranch_execnz .LBB53_3564
.LBB53_1514:
	s_or_b64 exec, exec, s[6:7]
	s_and_saveexec_b64 s[6:7], s[4:5]
	s_cbranch_execz .LBB53_1516
.LBB53_1515:
	v_bfe_u32 v2, v9, 8, 3
	v_ffbh_u32_e32 v6, v2
	v_min_u32_e32 v6, 32, v6
	v_lshrrev_b16_e32 v4, 3, v3
	v_subrev_u32_e32 v7, 28, v6
	v_and_b32_e32 v4, 15, v4
	v_lshlrev_b32_e32 v3, v7, v3
	v_sub_u32_e32 v6, 29, v6
	v_and_b32_e32 v3, 7, v3
	v_cmp_eq_u16_e32 vcc, 0, v4
	v_cndmask_b32_e32 v2, v2, v3, vcc
	v_cndmask_b32_e32 v3, v4, v6, vcc
	v_lshlrev_b32_e32 v4, 16, v9
	v_mov_b32_e32 v6, 0x3b800000
	v_lshlrev_b32_e32 v2, 20, v2
	v_and_b32_e32 v4, 0x80000000, v4
	v_lshl_add_u32 v3, v3, 23, v6
	v_or3_b32 v2, v4, v3, v2
.LBB53_1516:
	s_or_b64 exec, exec, s[6:7]
	v_lshrrev_b32_e32 v3, 8, v5
	s_movk_i32 s4, 0x7f
	v_cmp_gt_i16_sdwa s[6:7], v3, s4 src0_sel:BYTE_0 src1_sel:DWORD
	s_mov_b64 s[4:5], 0
                                        ; implicit-def: $sgpr10
	s_and_saveexec_b64 s[8:9], s[6:7]
	s_xor_b64 s[6:7], exec, s[8:9]
	s_cbranch_execnz .LBB53_3565
; %bb.1517:
	s_or_saveexec_b64 s[6:7], s[6:7]
	v_mov_b32_e32 v4, s10
	s_xor_b64 exec, exec, s[6:7]
	s_cbranch_execnz .LBB53_3568
.LBB53_1518:
	s_or_b64 exec, exec, s[6:7]
	s_and_saveexec_b64 s[6:7], s[4:5]
	s_cbranch_execz .LBB53_1520
.LBB53_1519:
	v_bfe_u32 v4, v5, 8, 3
	v_ffbh_u32_e32 v7, v4
	v_min_u32_e32 v7, 32, v7
	v_lshrrev_b16_e32 v6, 3, v3
	v_subrev_u32_e32 v8, 28, v7
	v_and_b32_e32 v6, 15, v6
	v_lshlrev_b32_e32 v3, v8, v3
	v_sub_u32_e32 v7, 29, v7
	v_and_b32_e32 v3, 7, v3
	v_cmp_eq_u16_e32 vcc, 0, v6
	v_cndmask_b32_e32 v3, v4, v3, vcc
	v_cndmask_b32_e32 v4, v6, v7, vcc
	v_lshlrev_b32_e32 v6, 16, v5
	v_mov_b32_e32 v7, 0x3b800000
	v_lshlrev_b32_e32 v3, 20, v3
	v_and_b32_e32 v6, 0x80000000, v6
	v_lshl_add_u32 v4, v4, 23, v7
	v_or3_b32 v4, v6, v4, v3
.LBB53_1520:
	s_or_b64 exec, exec, s[6:7]
	s_nop 0
	v_mfma_f32_16x16x4f32 a[0:3], v2, v4, a[0:3]
	s_movk_i32 s4, 0xff
	v_and_b32_sdwa v3, v9, s4 dst_sel:DWORD dst_unused:UNUSED_PAD src0_sel:WORD_1 src1_sel:DWORD
	s_movk_i32 s4, 0x7f
	v_cmp_lt_i16_e32 vcc, s4, v3
	s_mov_b64 s[4:5], 0
                                        ; implicit-def: $sgpr10
	s_and_saveexec_b64 s[6:7], vcc
	s_xor_b64 s[6:7], exec, s[6:7]
	s_cbranch_execnz .LBB53_3569
; %bb.1521:
	s_or_saveexec_b64 s[6:7], s[6:7]
	v_mov_b32_e32 v2, s10
	s_xor_b64 exec, exec, s[6:7]
	s_cbranch_execnz .LBB53_3572
.LBB53_1522:
	s_or_b64 exec, exec, s[6:7]
	s_and_saveexec_b64 s[6:7], s[4:5]
	s_cbranch_execz .LBB53_1524
.LBB53_1523:
	v_bfe_u32 v2, v9, 16, 3
	v_ffbh_u32_e32 v6, v2
	v_min_u32_e32 v6, 32, v6
	v_lshrrev_b32_e32 v3, 19, v9
	v_subrev_u32_e32 v7, 28, v6
	v_and_b32_e32 v3, 15, v3
	v_lshlrev_b32_sdwa v7, v7, v9 dst_sel:DWORD dst_unused:UNUSED_PAD src0_sel:DWORD src1_sel:WORD_1
	v_bfe_u32 v4, v9, 19, 4
	v_sub_u32_e32 v6, 29, v6
	v_and_b32_e32 v7, 7, v7
	v_cmp_eq_u16_e32 vcc, 0, v3
	v_cndmask_b32_e32 v2, v2, v7, vcc
	v_cndmask_b32_e32 v3, v4, v6, vcc
	v_lshlrev_b32_e32 v4, 8, v9
	v_mov_b32_e32 v6, 0x3b800000
	v_lshlrev_b32_e32 v2, 20, v2
	v_and_b32_e32 v4, 0x80000000, v4
	v_lshl_add_u32 v3, v3, 23, v6
	v_or3_b32 v2, v4, v3, v2
.LBB53_1524:
	s_or_b64 exec, exec, s[6:7]
	s_movk_i32 s4, 0xff
	v_and_b32_sdwa v3, v5, s4 dst_sel:DWORD dst_unused:UNUSED_PAD src0_sel:WORD_1 src1_sel:DWORD
	s_movk_i32 s4, 0x7f
	v_cmp_lt_i16_e32 vcc, s4, v3
	s_mov_b64 s[4:5], 0
                                        ; implicit-def: $sgpr10
	s_and_saveexec_b64 s[6:7], vcc
	s_xor_b64 s[6:7], exec, s[6:7]
	s_cbranch_execnz .LBB53_3573
; %bb.1525:
	s_or_saveexec_b64 s[6:7], s[6:7]
	v_mov_b32_e32 v4, s10
	s_xor_b64 exec, exec, s[6:7]
	s_cbranch_execnz .LBB53_3576
.LBB53_1526:
	s_or_b64 exec, exec, s[6:7]
	s_and_saveexec_b64 s[6:7], s[4:5]
	s_cbranch_execz .LBB53_1528
.LBB53_1527:
	v_bfe_u32 v3, v5, 16, 3
	v_ffbh_u32_e32 v7, v3
	v_min_u32_e32 v7, 32, v7
	v_lshrrev_b32_e32 v4, 19, v5
	v_subrev_u32_e32 v8, 28, v7
	v_and_b32_e32 v4, 15, v4
	v_lshlrev_b32_sdwa v8, v8, v5 dst_sel:DWORD dst_unused:UNUSED_PAD src0_sel:DWORD src1_sel:WORD_1
	v_bfe_u32 v6, v5, 19, 4
	v_sub_u32_e32 v7, 29, v7
	v_and_b32_e32 v8, 7, v8
	v_cmp_eq_u16_e32 vcc, 0, v4
	v_cndmask_b32_e32 v3, v3, v8, vcc
	v_cndmask_b32_e32 v4, v6, v7, vcc
	v_lshlrev_b32_e32 v6, 8, v5
	v_mov_b32_e32 v7, 0x3b800000
	v_lshlrev_b32_e32 v3, 20, v3
	v_and_b32_e32 v6, 0x80000000, v6
	v_lshl_add_u32 v4, v4, 23, v7
	v_or3_b32 v4, v6, v4, v3
.LBB53_1528:
	s_or_b64 exec, exec, s[6:7]
	s_nop 0
	v_mfma_f32_16x16x4f32 a[0:3], v2, v4, a[0:3]
	s_movk_i32 s4, 0x7f
	v_cmp_gt_i16_sdwa s[6:7], v9, s4 src0_sel:BYTE_3 src1_sel:DWORD
	s_mov_b64 s[4:5], 0
                                        ; implicit-def: $sgpr10
	s_and_saveexec_b64 s[8:9], s[6:7]
	s_xor_b64 s[6:7], exec, s[8:9]
	s_cbranch_execnz .LBB53_3577
; %bb.1529:
	s_or_saveexec_b64 s[6:7], s[6:7]
	v_mov_b32_e32 v2, s10
	s_xor_b64 exec, exec, s[6:7]
	s_cbranch_execnz .LBB53_3580
.LBB53_1530:
	s_or_b64 exec, exec, s[6:7]
	s_and_saveexec_b64 s[6:7], s[4:5]
	s_cbranch_execz .LBB53_1532
.LBB53_1531:
	v_bfe_u32 v2, v9, 24, 3
	v_ffbh_u32_e32 v7, v2
	v_min_u32_e32 v7, 32, v7
	v_lshrrev_b32_e32 v4, 27, v9
	v_subrev_u32_e32 v8, 28, v7
	v_and_b32_e32 v4, 15, v4
	v_lshlrev_b32_sdwa v8, v8, v9 dst_sel:DWORD dst_unused:UNUSED_PAD src0_sel:DWORD src1_sel:BYTE_3
	v_bfe_u32 v6, v9, 27, 4
	v_sub_u32_e32 v7, 29, v7
	v_and_b32_e32 v8, 7, v8
	v_cmp_eq_u16_e32 vcc, 0, v4
	v_cndmask_b32_e32 v2, v2, v8, vcc
	v_cndmask_b32_e32 v4, v6, v7, vcc
	v_mov_b32_e32 v6, 0x3b800000
	v_and_b32_e32 v3, 0x80000000, v9
	v_lshlrev_b32_e32 v2, 20, v2
	v_lshl_add_u32 v4, v4, 23, v6
	v_or3_b32 v2, v3, v4, v2
.LBB53_1532:
	s_or_b64 exec, exec, s[6:7]
	s_movk_i32 s4, 0x7f
	v_cmp_gt_i16_sdwa s[6:7], v5, s4 src0_sel:BYTE_3 src1_sel:DWORD
	s_mov_b64 s[4:5], 0
                                        ; implicit-def: $sgpr10
	s_and_saveexec_b64 s[8:9], s[6:7]
	s_xor_b64 s[6:7], exec, s[8:9]
	s_cbranch_execnz .LBB53_3581
; %bb.1533:
	s_or_saveexec_b64 s[6:7], s[6:7]
	v_mov_b32_e32 v3, s10
	s_xor_b64 exec, exec, s[6:7]
	s_cbranch_execnz .LBB53_3584
.LBB53_1534:
	s_or_b64 exec, exec, s[6:7]
	s_and_saveexec_b64 s[6:7], s[4:5]
	s_cbranch_execz .LBB53_1536
.LBB53_1535:
	v_bfe_u32 v3, v5, 24, 3
	v_ffbh_u32_e32 v8, v3
	v_min_u32_e32 v8, 32, v8
	v_lshrrev_b32_e32 v6, 27, v5
	v_subrev_u32_e32 v9, 28, v8
	v_and_b32_e32 v4, 0x80000000, v5
	v_and_b32_e32 v6, 15, v6
	v_bfe_u32 v7, v5, 27, 4
	v_lshlrev_b32_sdwa v5, v9, v5 dst_sel:DWORD dst_unused:UNUSED_PAD src0_sel:DWORD src1_sel:BYTE_3
	v_sub_u32_e32 v8, 29, v8
	v_and_b32_e32 v5, 7, v5
	v_cmp_eq_u16_e32 vcc, 0, v6
	v_cndmask_b32_e32 v3, v3, v5, vcc
	v_cndmask_b32_e32 v5, v7, v8, vcc
	v_mov_b32_e32 v6, 0x3b800000
	v_lshlrev_b32_e32 v3, 20, v3
	v_lshl_add_u32 v5, v5, 23, v6
	v_or3_b32 v3, v4, v5, v3
.LBB53_1536:
	s_or_b64 exec, exec, s[6:7]
	s_nop 0
	v_mfma_f32_16x16x4f32 a[0:3], v2, v3, a[0:3]
	s_movk_i32 s4, 0x7f
                                        ; implicit-def: $sgpr10
	s_nop 7
	s_nop 1
	flat_store_dwordx4 v[18:19], a[0:3] offset:208
	flat_load_dwordx4 v[20:23], v[0:1] offset:8
	s_nop 0
	flat_load_dwordx2 v[18:19], v[0:1] offset:24
	s_waitcnt vmcnt(0) lgkmcnt(0)
	flat_load_dwordx4 v[14:17], v[20:21] offset:32
	flat_load_dwordx4 v[6:9], v[20:21] offset:48
	flat_load_dwordx4 v[10:13], v[22:23] offset:448
	flat_load_dwordx4 v[2:5], v[22:23] offset:464
	s_waitcnt vmcnt(0) lgkmcnt(0)
	v_cmp_gt_i16_sdwa s[6:7], v14, s4 src0_sel:BYTE_0 src1_sel:DWORD
	s_mov_b64 s[4:5], 0
	s_and_saveexec_b64 s[8:9], s[6:7]
	s_xor_b64 s[6:7], exec, s[8:9]
	s_cbranch_execnz .LBB53_3585
; %bb.1537:
	s_or_saveexec_b64 s[6:7], s[6:7]
	v_mov_b32_e32 v20, s10
	s_xor_b64 exec, exec, s[6:7]
	s_cbranch_execnz .LBB53_3588
.LBB53_1538:
	s_or_b64 exec, exec, s[6:7]
	s_and_saveexec_b64 s[6:7], s[4:5]
	s_cbranch_execz .LBB53_1540
.LBB53_1539:
	v_and_b32_e32 v20, 7, v14
	v_ffbh_u32_e32 v22, v20
	v_min_u32_e32 v22, 32, v22
	v_lshrrev_b16_e32 v21, 3, v14
	v_subrev_u32_e32 v23, 28, v22
	v_and_b32_e32 v21, 15, v21
	v_lshlrev_b32_e32 v23, v23, v14
	v_sub_u32_e32 v22, 29, v22
	v_and_b32_e32 v23, 7, v23
	v_cmp_eq_u16_e32 vcc, 0, v21
	v_cndmask_b32_e32 v20, v20, v23, vcc
	v_cndmask_b32_e32 v21, v21, v22, vcc
	v_lshlrev_b32_e32 v22, 24, v14
	v_mov_b32_e32 v23, 0x3b800000
	v_lshlrev_b32_e32 v20, 20, v20
	v_and_b32_e32 v22, 0x80000000, v22
	v_lshl_add_u32 v21, v21, 23, v23
	v_or3_b32 v20, v22, v21, v20
.LBB53_1540:
	s_or_b64 exec, exec, s[6:7]
	s_movk_i32 s4, 0x7f
	v_cmp_gt_i16_sdwa s[6:7], v10, s4 src0_sel:BYTE_0 src1_sel:DWORD
	s_mov_b64 s[4:5], 0
                                        ; implicit-def: $sgpr10
	s_and_saveexec_b64 s[8:9], s[6:7]
	s_xor_b64 s[6:7], exec, s[8:9]
	s_cbranch_execnz .LBB53_3589
; %bb.1541:
	s_or_saveexec_b64 s[6:7], s[6:7]
	v_mov_b32_e32 v21, s10
	s_xor_b64 exec, exec, s[6:7]
	s_cbranch_execnz .LBB53_3592
.LBB53_1542:
	s_or_b64 exec, exec, s[6:7]
	s_and_saveexec_b64 s[6:7], s[4:5]
	s_cbranch_execz .LBB53_1544
.LBB53_1543:
	v_and_b32_e32 v21, 7, v10
	v_ffbh_u32_e32 v23, v21
	v_min_u32_e32 v23, 32, v23
	v_lshrrev_b16_e32 v22, 3, v10
	v_subrev_u32_e32 v24, 28, v23
	v_and_b32_e32 v22, 15, v22
	v_lshlrev_b32_e32 v24, v24, v10
	v_sub_u32_e32 v23, 29, v23
	v_and_b32_e32 v24, 7, v24
	v_cmp_eq_u16_e32 vcc, 0, v22
	v_cndmask_b32_e32 v21, v21, v24, vcc
	v_cndmask_b32_e32 v22, v22, v23, vcc
	v_lshlrev_b32_e32 v23, 24, v10
	v_mov_b32_e32 v24, 0x3b800000
	v_lshlrev_b32_e32 v21, 20, v21
	v_and_b32_e32 v23, 0x80000000, v23
	v_lshl_add_u32 v22, v22, 23, v24
	v_or3_b32 v21, v23, v22, v21
.LBB53_1544:
	s_or_b64 exec, exec, s[6:7]
	flat_load_dwordx4 a[0:3], v[18:19] offset:224
	s_movk_i32 s4, 0x7f
                                        ; implicit-def: $sgpr10
	s_waitcnt vmcnt(0) lgkmcnt(0)
	v_mfma_f32_16x16x4f32 a[0:3], v20, v21, a[0:3]
	v_lshrrev_b32_e32 v21, 8, v14
	v_cmp_gt_i16_sdwa s[6:7], v21, s4 src0_sel:BYTE_0 src1_sel:DWORD
	s_mov_b64 s[4:5], 0
	s_and_saveexec_b64 s[8:9], s[6:7]
	s_xor_b64 s[6:7], exec, s[8:9]
	s_cbranch_execnz .LBB53_3593
; %bb.1545:
	s_or_saveexec_b64 s[6:7], s[6:7]
	v_mov_b32_e32 v20, s10
	s_xor_b64 exec, exec, s[6:7]
	s_cbranch_execnz .LBB53_3596
.LBB53_1546:
	s_or_b64 exec, exec, s[6:7]
	s_and_saveexec_b64 s[6:7], s[4:5]
	s_cbranch_execz .LBB53_1548
.LBB53_1547:
	v_bfe_u32 v20, v14, 8, 3
	v_ffbh_u32_e32 v23, v20
	v_min_u32_e32 v23, 32, v23
	v_lshrrev_b16_e32 v22, 3, v21
	v_subrev_u32_e32 v24, 28, v23
	v_and_b32_e32 v22, 15, v22
	v_lshlrev_b32_e32 v21, v24, v21
	v_sub_u32_e32 v23, 29, v23
	v_and_b32_e32 v21, 7, v21
	v_cmp_eq_u16_e32 vcc, 0, v22
	v_cndmask_b32_e32 v20, v20, v21, vcc
	v_cndmask_b32_e32 v21, v22, v23, vcc
	v_lshlrev_b32_e32 v22, 16, v14
	v_mov_b32_e32 v23, 0x3b800000
	v_lshlrev_b32_e32 v20, 20, v20
	v_and_b32_e32 v22, 0x80000000, v22
	v_lshl_add_u32 v21, v21, 23, v23
	v_or3_b32 v20, v22, v21, v20
.LBB53_1548:
	s_or_b64 exec, exec, s[6:7]
	v_lshrrev_b32_e32 v21, 8, v10
	s_movk_i32 s4, 0x7f
	v_cmp_gt_i16_sdwa s[6:7], v21, s4 src0_sel:BYTE_0 src1_sel:DWORD
	s_mov_b64 s[4:5], 0
                                        ; implicit-def: $sgpr10
	s_and_saveexec_b64 s[8:9], s[6:7]
	s_xor_b64 s[6:7], exec, s[8:9]
	s_cbranch_execnz .LBB53_3597
; %bb.1549:
	s_or_saveexec_b64 s[6:7], s[6:7]
	v_mov_b32_e32 v22, s10
	s_xor_b64 exec, exec, s[6:7]
	s_cbranch_execnz .LBB53_3600
.LBB53_1550:
	s_or_b64 exec, exec, s[6:7]
	s_and_saveexec_b64 s[6:7], s[4:5]
	s_cbranch_execz .LBB53_1552
.LBB53_1551:
	v_bfe_u32 v22, v10, 8, 3
	v_ffbh_u32_e32 v24, v22
	v_min_u32_e32 v24, 32, v24
	v_lshrrev_b16_e32 v23, 3, v21
	v_subrev_u32_e32 v25, 28, v24
	v_and_b32_e32 v23, 15, v23
	v_lshlrev_b32_e32 v21, v25, v21
	v_sub_u32_e32 v24, 29, v24
	v_and_b32_e32 v21, 7, v21
	v_cmp_eq_u16_e32 vcc, 0, v23
	v_cndmask_b32_e32 v21, v22, v21, vcc
	v_cndmask_b32_e32 v22, v23, v24, vcc
	v_lshlrev_b32_e32 v23, 16, v10
	v_mov_b32_e32 v24, 0x3b800000
	v_lshlrev_b32_e32 v21, 20, v21
	v_and_b32_e32 v23, 0x80000000, v23
	v_lshl_add_u32 v22, v22, 23, v24
	v_or3_b32 v22, v23, v22, v21
.LBB53_1552:
	s_or_b64 exec, exec, s[6:7]
	s_nop 0
	v_mfma_f32_16x16x4f32 a[0:3], v20, v22, a[0:3]
	s_movk_i32 s4, 0xff
	v_and_b32_sdwa v21, v14, s4 dst_sel:DWORD dst_unused:UNUSED_PAD src0_sel:WORD_1 src1_sel:DWORD
	s_movk_i32 s4, 0x7f
	v_cmp_lt_i16_e32 vcc, s4, v21
	s_mov_b64 s[4:5], 0
                                        ; implicit-def: $sgpr10
	s_and_saveexec_b64 s[6:7], vcc
	s_xor_b64 s[6:7], exec, s[6:7]
	s_cbranch_execnz .LBB53_3601
; %bb.1553:
	s_or_saveexec_b64 s[6:7], s[6:7]
	v_mov_b32_e32 v20, s10
	s_xor_b64 exec, exec, s[6:7]
	s_cbranch_execnz .LBB53_3604
.LBB53_1554:
	s_or_b64 exec, exec, s[6:7]
	s_and_saveexec_b64 s[6:7], s[4:5]
	s_cbranch_execz .LBB53_1556
.LBB53_1555:
	v_bfe_u32 v20, v14, 16, 3
	v_ffbh_u32_e32 v23, v20
	v_min_u32_e32 v23, 32, v23
	v_lshrrev_b32_e32 v21, 19, v14
	v_subrev_u32_e32 v24, 28, v23
	v_and_b32_e32 v21, 15, v21
	v_lshlrev_b32_sdwa v24, v24, v14 dst_sel:DWORD dst_unused:UNUSED_PAD src0_sel:DWORD src1_sel:WORD_1
	v_bfe_u32 v22, v14, 19, 4
	v_sub_u32_e32 v23, 29, v23
	v_and_b32_e32 v24, 7, v24
	v_cmp_eq_u16_e32 vcc, 0, v21
	v_cndmask_b32_e32 v20, v20, v24, vcc
	v_cndmask_b32_e32 v21, v22, v23, vcc
	v_lshlrev_b32_e32 v22, 8, v14
	v_mov_b32_e32 v23, 0x3b800000
	v_lshlrev_b32_e32 v20, 20, v20
	v_and_b32_e32 v22, 0x80000000, v22
	v_lshl_add_u32 v21, v21, 23, v23
	v_or3_b32 v20, v22, v21, v20
.LBB53_1556:
	s_or_b64 exec, exec, s[6:7]
	s_movk_i32 s4, 0xff
	v_and_b32_sdwa v21, v10, s4 dst_sel:DWORD dst_unused:UNUSED_PAD src0_sel:WORD_1 src1_sel:DWORD
	s_movk_i32 s4, 0x7f
	v_cmp_lt_i16_e32 vcc, s4, v21
	s_mov_b64 s[4:5], 0
                                        ; implicit-def: $sgpr10
	s_and_saveexec_b64 s[6:7], vcc
	s_xor_b64 s[6:7], exec, s[6:7]
	s_cbranch_execnz .LBB53_3605
; %bb.1557:
	s_or_saveexec_b64 s[6:7], s[6:7]
	v_mov_b32_e32 v22, s10
	s_xor_b64 exec, exec, s[6:7]
	s_cbranch_execnz .LBB53_3608
.LBB53_1558:
	s_or_b64 exec, exec, s[6:7]
	s_and_saveexec_b64 s[6:7], s[4:5]
	s_cbranch_execz .LBB53_1560
.LBB53_1559:
	v_bfe_u32 v21, v10, 16, 3
	v_ffbh_u32_e32 v24, v21
	v_min_u32_e32 v24, 32, v24
	v_lshrrev_b32_e32 v22, 19, v10
	v_subrev_u32_e32 v25, 28, v24
	v_and_b32_e32 v22, 15, v22
	v_lshlrev_b32_sdwa v25, v25, v10 dst_sel:DWORD dst_unused:UNUSED_PAD src0_sel:DWORD src1_sel:WORD_1
	v_bfe_u32 v23, v10, 19, 4
	v_sub_u32_e32 v24, 29, v24
	v_and_b32_e32 v25, 7, v25
	v_cmp_eq_u16_e32 vcc, 0, v22
	v_cndmask_b32_e32 v21, v21, v25, vcc
	v_cndmask_b32_e32 v22, v23, v24, vcc
	v_lshlrev_b32_e32 v23, 8, v10
	v_mov_b32_e32 v24, 0x3b800000
	v_lshlrev_b32_e32 v21, 20, v21
	v_and_b32_e32 v23, 0x80000000, v23
	v_lshl_add_u32 v22, v22, 23, v24
	v_or3_b32 v22, v23, v22, v21
.LBB53_1560:
	s_or_b64 exec, exec, s[6:7]
	s_nop 0
	v_mfma_f32_16x16x4f32 a[0:3], v20, v22, a[0:3]
	s_movk_i32 s4, 0x7f
	v_cmp_gt_i16_sdwa s[6:7], v14, s4 src0_sel:BYTE_3 src1_sel:DWORD
	s_mov_b64 s[4:5], 0
                                        ; implicit-def: $sgpr10
	s_and_saveexec_b64 s[8:9], s[6:7]
	s_xor_b64 s[6:7], exec, s[8:9]
	s_cbranch_execnz .LBB53_3609
; %bb.1561:
	s_or_saveexec_b64 s[6:7], s[6:7]
	v_mov_b32_e32 v20, s10
	s_xor_b64 exec, exec, s[6:7]
	s_cbranch_execnz .LBB53_3612
.LBB53_1562:
	s_or_b64 exec, exec, s[6:7]
	s_and_saveexec_b64 s[6:7], s[4:5]
	s_cbranch_execz .LBB53_1564
.LBB53_1563:
	v_bfe_u32 v20, v14, 24, 3
	v_ffbh_u32_e32 v24, v20
	v_min_u32_e32 v24, 32, v24
	v_lshrrev_b32_e32 v22, 27, v14
	v_subrev_u32_e32 v25, 28, v24
	v_and_b32_e32 v21, 0x80000000, v14
	v_and_b32_e32 v22, 15, v22
	v_bfe_u32 v23, v14, 27, 4
	v_lshlrev_b32_sdwa v14, v25, v14 dst_sel:DWORD dst_unused:UNUSED_PAD src0_sel:DWORD src1_sel:BYTE_3
	v_sub_u32_e32 v24, 29, v24
	v_and_b32_e32 v14, 7, v14
	v_cmp_eq_u16_e32 vcc, 0, v22
	v_cndmask_b32_e32 v14, v20, v14, vcc
	v_cndmask_b32_e32 v20, v23, v24, vcc
	v_mov_b32_e32 v22, 0x3b800000
	v_lshlrev_b32_e32 v14, 20, v14
	v_lshl_add_u32 v20, v20, 23, v22
	v_or3_b32 v20, v21, v20, v14
.LBB53_1564:
	s_or_b64 exec, exec, s[6:7]
	s_movk_i32 s4, 0x7f
	v_cmp_gt_i16_sdwa s[6:7], v10, s4 src0_sel:BYTE_3 src1_sel:DWORD
	s_mov_b64 s[4:5], 0
                                        ; implicit-def: $sgpr10
	s_and_saveexec_b64 s[8:9], s[6:7]
	s_xor_b64 s[6:7], exec, s[8:9]
	s_cbranch_execnz .LBB53_3613
; %bb.1565:
	s_or_saveexec_b64 s[6:7], s[6:7]
	v_mov_b32_e32 v14, s10
	s_xor_b64 exec, exec, s[6:7]
	s_cbranch_execnz .LBB53_3616
.LBB53_1566:
	s_or_b64 exec, exec, s[6:7]
	s_and_saveexec_b64 s[6:7], s[4:5]
	s_cbranch_execz .LBB53_1568
.LBB53_1567:
	v_bfe_u32 v14, v10, 24, 3
	v_ffbh_u32_e32 v24, v14
	v_min_u32_e32 v24, 32, v24
	v_lshrrev_b32_e32 v22, 27, v10
	v_subrev_u32_e32 v25, 28, v24
	v_and_b32_e32 v21, 0x80000000, v10
	v_and_b32_e32 v22, 15, v22
	v_bfe_u32 v23, v10, 27, 4
	v_lshlrev_b32_sdwa v10, v25, v10 dst_sel:DWORD dst_unused:UNUSED_PAD src0_sel:DWORD src1_sel:BYTE_3
	v_sub_u32_e32 v24, 29, v24
	v_and_b32_e32 v10, 7, v10
	v_cmp_eq_u16_e32 vcc, 0, v22
	v_cndmask_b32_e32 v10, v14, v10, vcc
	v_cndmask_b32_e32 v14, v23, v24, vcc
	v_mov_b32_e32 v22, 0x3b800000
	v_lshlrev_b32_e32 v10, 20, v10
	v_lshl_add_u32 v14, v14, 23, v22
	v_or3_b32 v14, v21, v14, v10
.LBB53_1568:
	s_or_b64 exec, exec, s[6:7]
	s_nop 0
	v_mfma_f32_16x16x4f32 a[0:3], v20, v14, a[0:3]
	s_movk_i32 s4, 0x7f
	v_cmp_gt_i16_sdwa s[6:7], v15, s4 src0_sel:BYTE_0 src1_sel:DWORD
	s_mov_b64 s[4:5], 0
                                        ; implicit-def: $sgpr10
	s_and_saveexec_b64 s[8:9], s[6:7]
	s_xor_b64 s[6:7], exec, s[8:9]
	s_cbranch_execnz .LBB53_3617
; %bb.1569:
	s_or_saveexec_b64 s[6:7], s[6:7]
	v_mov_b32_e32 v10, s10
	s_xor_b64 exec, exec, s[6:7]
	s_cbranch_execnz .LBB53_3620
.LBB53_1570:
	s_or_b64 exec, exec, s[6:7]
	s_and_saveexec_b64 s[6:7], s[4:5]
	s_cbranch_execz .LBB53_1572
.LBB53_1571:
	v_and_b32_e32 v10, 7, v15
	v_ffbh_u32_e32 v20, v10
	v_min_u32_e32 v20, 32, v20
	v_lshrrev_b16_e32 v14, 3, v15
	v_subrev_u32_e32 v21, 28, v20
	v_and_b32_e32 v14, 15, v14
	v_lshlrev_b32_e32 v21, v21, v15
	v_sub_u32_e32 v20, 29, v20
	v_and_b32_e32 v21, 7, v21
	v_cmp_eq_u16_e32 vcc, 0, v14
	v_cndmask_b32_e32 v10, v10, v21, vcc
	v_cndmask_b32_e32 v14, v14, v20, vcc
	v_lshlrev_b32_e32 v20, 24, v15
	v_mov_b32_e32 v21, 0x3b800000
	v_lshlrev_b32_e32 v10, 20, v10
	v_and_b32_e32 v20, 0x80000000, v20
	v_lshl_add_u32 v14, v14, 23, v21
	v_or3_b32 v10, v20, v14, v10
.LBB53_1572:
	s_or_b64 exec, exec, s[6:7]
	s_movk_i32 s4, 0x7f
	v_cmp_gt_i16_sdwa s[6:7], v11, s4 src0_sel:BYTE_0 src1_sel:DWORD
	s_mov_b64 s[4:5], 0
                                        ; implicit-def: $sgpr10
	s_and_saveexec_b64 s[8:9], s[6:7]
	s_xor_b64 s[6:7], exec, s[8:9]
	s_cbranch_execnz .LBB53_3621
; %bb.1573:
	s_or_saveexec_b64 s[6:7], s[6:7]
	v_mov_b32_e32 v14, s10
	s_xor_b64 exec, exec, s[6:7]
	s_cbranch_execnz .LBB53_3624
.LBB53_1574:
	s_or_b64 exec, exec, s[6:7]
	s_and_saveexec_b64 s[6:7], s[4:5]
	s_cbranch_execz .LBB53_1576
.LBB53_1575:
	v_and_b32_e32 v14, 7, v11
	v_ffbh_u32_e32 v21, v14
	v_min_u32_e32 v21, 32, v21
	v_lshrrev_b16_e32 v20, 3, v11
	v_subrev_u32_e32 v22, 28, v21
	v_and_b32_e32 v20, 15, v20
	v_lshlrev_b32_e32 v22, v22, v11
	v_sub_u32_e32 v21, 29, v21
	v_and_b32_e32 v22, 7, v22
	v_cmp_eq_u16_e32 vcc, 0, v20
	v_cndmask_b32_e32 v14, v14, v22, vcc
	v_cndmask_b32_e32 v20, v20, v21, vcc
	v_lshlrev_b32_e32 v21, 24, v11
	v_mov_b32_e32 v22, 0x3b800000
	v_lshlrev_b32_e32 v14, 20, v14
	v_and_b32_e32 v21, 0x80000000, v21
	v_lshl_add_u32 v20, v20, 23, v22
	v_or3_b32 v14, v21, v20, v14
.LBB53_1576:
	s_or_b64 exec, exec, s[6:7]
	s_nop 0
	v_mfma_f32_16x16x4f32 a[0:3], v10, v14, a[0:3]
	v_lshrrev_b32_e32 v14, 8, v15
	s_movk_i32 s4, 0x7f
	v_cmp_gt_i16_sdwa s[6:7], v14, s4 src0_sel:BYTE_0 src1_sel:DWORD
	s_mov_b64 s[4:5], 0
                                        ; implicit-def: $sgpr10
	s_and_saveexec_b64 s[8:9], s[6:7]
	s_xor_b64 s[6:7], exec, s[8:9]
	s_cbranch_execnz .LBB53_3625
; %bb.1577:
	s_or_saveexec_b64 s[6:7], s[6:7]
	v_mov_b32_e32 v10, s10
	s_xor_b64 exec, exec, s[6:7]
	s_cbranch_execnz .LBB53_3628
.LBB53_1578:
	s_or_b64 exec, exec, s[6:7]
	s_and_saveexec_b64 s[6:7], s[4:5]
	s_cbranch_execz .LBB53_1580
.LBB53_1579:
	v_bfe_u32 v10, v15, 8, 3
	v_ffbh_u32_e32 v21, v10
	v_min_u32_e32 v21, 32, v21
	v_lshrrev_b16_e32 v20, 3, v14
	v_subrev_u32_e32 v22, 28, v21
	v_and_b32_e32 v20, 15, v20
	v_lshlrev_b32_e32 v14, v22, v14
	v_sub_u32_e32 v21, 29, v21
	v_and_b32_e32 v14, 7, v14
	v_cmp_eq_u16_e32 vcc, 0, v20
	v_cndmask_b32_e32 v10, v10, v14, vcc
	v_cndmask_b32_e32 v14, v20, v21, vcc
	v_lshlrev_b32_e32 v20, 16, v15
	v_mov_b32_e32 v21, 0x3b800000
	v_lshlrev_b32_e32 v10, 20, v10
	v_and_b32_e32 v20, 0x80000000, v20
	v_lshl_add_u32 v14, v14, 23, v21
	v_or3_b32 v10, v20, v14, v10
.LBB53_1580:
	s_or_b64 exec, exec, s[6:7]
	v_lshrrev_b32_e32 v14, 8, v11
	s_movk_i32 s4, 0x7f
	v_cmp_gt_i16_sdwa s[6:7], v14, s4 src0_sel:BYTE_0 src1_sel:DWORD
	s_mov_b64 s[4:5], 0
                                        ; implicit-def: $sgpr10
	s_and_saveexec_b64 s[8:9], s[6:7]
	s_xor_b64 s[6:7], exec, s[8:9]
	s_cbranch_execnz .LBB53_3629
; %bb.1581:
	s_or_saveexec_b64 s[6:7], s[6:7]
	v_mov_b32_e32 v20, s10
	s_xor_b64 exec, exec, s[6:7]
	s_cbranch_execnz .LBB53_3632
.LBB53_1582:
	s_or_b64 exec, exec, s[6:7]
	s_and_saveexec_b64 s[6:7], s[4:5]
	s_cbranch_execz .LBB53_1584
.LBB53_1583:
	v_bfe_u32 v20, v11, 8, 3
	v_ffbh_u32_e32 v22, v20
	v_min_u32_e32 v22, 32, v22
	v_lshrrev_b16_e32 v21, 3, v14
	v_subrev_u32_e32 v23, 28, v22
	v_and_b32_e32 v21, 15, v21
	v_lshlrev_b32_e32 v14, v23, v14
	v_sub_u32_e32 v22, 29, v22
	v_and_b32_e32 v14, 7, v14
	v_cmp_eq_u16_e32 vcc, 0, v21
	v_cndmask_b32_e32 v14, v20, v14, vcc
	v_cndmask_b32_e32 v20, v21, v22, vcc
	v_lshlrev_b32_e32 v21, 16, v11
	v_mov_b32_e32 v22, 0x3b800000
	v_lshlrev_b32_e32 v14, 20, v14
	v_and_b32_e32 v21, 0x80000000, v21
	v_lshl_add_u32 v20, v20, 23, v22
	v_or3_b32 v20, v21, v20, v14
.LBB53_1584:
	s_or_b64 exec, exec, s[6:7]
	s_nop 0
	v_mfma_f32_16x16x4f32 a[0:3], v10, v20, a[0:3]
	s_movk_i32 s4, 0xff
	v_and_b32_sdwa v14, v15, s4 dst_sel:DWORD dst_unused:UNUSED_PAD src0_sel:WORD_1 src1_sel:DWORD
	s_movk_i32 s4, 0x7f
	v_cmp_lt_i16_e32 vcc, s4, v14
	s_mov_b64 s[4:5], 0
                                        ; implicit-def: $sgpr10
	s_and_saveexec_b64 s[6:7], vcc
	s_xor_b64 s[6:7], exec, s[6:7]
	s_cbranch_execnz .LBB53_3633
; %bb.1585:
	s_or_saveexec_b64 s[6:7], s[6:7]
	v_mov_b32_e32 v10, s10
	s_xor_b64 exec, exec, s[6:7]
	s_cbranch_execnz .LBB53_3636
.LBB53_1586:
	s_or_b64 exec, exec, s[6:7]
	s_and_saveexec_b64 s[6:7], s[4:5]
	s_cbranch_execz .LBB53_1588
.LBB53_1587:
	v_bfe_u32 v10, v15, 16, 3
	v_ffbh_u32_e32 v21, v10
	v_min_u32_e32 v21, 32, v21
	v_lshrrev_b32_e32 v14, 19, v15
	v_subrev_u32_e32 v22, 28, v21
	v_and_b32_e32 v14, 15, v14
	v_lshlrev_b32_sdwa v22, v22, v15 dst_sel:DWORD dst_unused:UNUSED_PAD src0_sel:DWORD src1_sel:WORD_1
	v_bfe_u32 v20, v15, 19, 4
	v_sub_u32_e32 v21, 29, v21
	v_and_b32_e32 v22, 7, v22
	v_cmp_eq_u16_e32 vcc, 0, v14
	v_cndmask_b32_e32 v10, v10, v22, vcc
	v_cndmask_b32_e32 v14, v20, v21, vcc
	v_lshlrev_b32_e32 v20, 8, v15
	v_mov_b32_e32 v21, 0x3b800000
	v_lshlrev_b32_e32 v10, 20, v10
	v_and_b32_e32 v20, 0x80000000, v20
	v_lshl_add_u32 v14, v14, 23, v21
	v_or3_b32 v10, v20, v14, v10
.LBB53_1588:
	s_or_b64 exec, exec, s[6:7]
	s_movk_i32 s4, 0xff
	v_and_b32_sdwa v14, v11, s4 dst_sel:DWORD dst_unused:UNUSED_PAD src0_sel:WORD_1 src1_sel:DWORD
	s_movk_i32 s4, 0x7f
	v_cmp_lt_i16_e32 vcc, s4, v14
	s_mov_b64 s[4:5], 0
                                        ; implicit-def: $sgpr10
	s_and_saveexec_b64 s[6:7], vcc
	s_xor_b64 s[6:7], exec, s[6:7]
	s_cbranch_execnz .LBB53_3637
; %bb.1589:
	s_or_saveexec_b64 s[6:7], s[6:7]
	v_mov_b32_e32 v20, s10
	s_xor_b64 exec, exec, s[6:7]
	s_cbranch_execnz .LBB53_3640
.LBB53_1590:
	s_or_b64 exec, exec, s[6:7]
	s_and_saveexec_b64 s[6:7], s[4:5]
	s_cbranch_execz .LBB53_1592
.LBB53_1591:
	v_bfe_u32 v14, v11, 16, 3
	v_ffbh_u32_e32 v22, v14
	v_min_u32_e32 v22, 32, v22
	v_lshrrev_b32_e32 v20, 19, v11
	v_subrev_u32_e32 v23, 28, v22
	v_and_b32_e32 v20, 15, v20
	v_lshlrev_b32_sdwa v23, v23, v11 dst_sel:DWORD dst_unused:UNUSED_PAD src0_sel:DWORD src1_sel:WORD_1
	v_bfe_u32 v21, v11, 19, 4
	v_sub_u32_e32 v22, 29, v22
	v_and_b32_e32 v23, 7, v23
	v_cmp_eq_u16_e32 vcc, 0, v20
	v_cndmask_b32_e32 v14, v14, v23, vcc
	v_cndmask_b32_e32 v20, v21, v22, vcc
	v_lshlrev_b32_e32 v21, 8, v11
	v_mov_b32_e32 v22, 0x3b800000
	v_lshlrev_b32_e32 v14, 20, v14
	v_and_b32_e32 v21, 0x80000000, v21
	v_lshl_add_u32 v20, v20, 23, v22
	v_or3_b32 v20, v21, v20, v14
.LBB53_1592:
	s_or_b64 exec, exec, s[6:7]
	s_nop 0
	v_mfma_f32_16x16x4f32 a[0:3], v10, v20, a[0:3]
	s_movk_i32 s4, 0x7f
	v_cmp_gt_i16_sdwa s[6:7], v15, s4 src0_sel:BYTE_3 src1_sel:DWORD
	s_mov_b64 s[4:5], 0
                                        ; implicit-def: $sgpr10
	s_and_saveexec_b64 s[8:9], s[6:7]
	s_xor_b64 s[6:7], exec, s[8:9]
	s_cbranch_execnz .LBB53_3641
; %bb.1593:
	s_or_saveexec_b64 s[6:7], s[6:7]
	v_mov_b32_e32 v10, s10
	s_xor_b64 exec, exec, s[6:7]
	s_cbranch_execnz .LBB53_3644
.LBB53_1594:
	s_or_b64 exec, exec, s[6:7]
	s_and_saveexec_b64 s[6:7], s[4:5]
	s_cbranch_execz .LBB53_1596
.LBB53_1595:
	v_bfe_u32 v10, v15, 24, 3
	v_ffbh_u32_e32 v22, v10
	v_min_u32_e32 v22, 32, v22
	v_lshrrev_b32_e32 v20, 27, v15
	v_subrev_u32_e32 v23, 28, v22
	v_and_b32_e32 v14, 0x80000000, v15
	v_and_b32_e32 v20, 15, v20
	v_bfe_u32 v21, v15, 27, 4
	v_lshlrev_b32_sdwa v15, v23, v15 dst_sel:DWORD dst_unused:UNUSED_PAD src0_sel:DWORD src1_sel:BYTE_3
	v_sub_u32_e32 v22, 29, v22
	v_and_b32_e32 v15, 7, v15
	v_cmp_eq_u16_e32 vcc, 0, v20
	v_cndmask_b32_e32 v10, v10, v15, vcc
	v_cndmask_b32_e32 v15, v21, v22, vcc
	v_mov_b32_e32 v20, 0x3b800000
	v_lshlrev_b32_e32 v10, 20, v10
	v_lshl_add_u32 v15, v15, 23, v20
	v_or3_b32 v10, v14, v15, v10
.LBB53_1596:
	s_or_b64 exec, exec, s[6:7]
	s_movk_i32 s4, 0x7f
	v_cmp_gt_i16_sdwa s[6:7], v11, s4 src0_sel:BYTE_3 src1_sel:DWORD
	s_mov_b64 s[4:5], 0
                                        ; implicit-def: $sgpr10
	s_and_saveexec_b64 s[8:9], s[6:7]
	s_xor_b64 s[6:7], exec, s[8:9]
	s_cbranch_execnz .LBB53_3645
; %bb.1597:
	s_or_saveexec_b64 s[6:7], s[6:7]
	v_mov_b32_e32 v14, s10
	s_xor_b64 exec, exec, s[6:7]
	s_cbranch_execnz .LBB53_3648
.LBB53_1598:
	s_or_b64 exec, exec, s[6:7]
	s_and_saveexec_b64 s[6:7], s[4:5]
	s_cbranch_execz .LBB53_1600
.LBB53_1599:
	v_bfe_u32 v14, v11, 24, 3
	v_ffbh_u32_e32 v22, v14
	v_min_u32_e32 v22, 32, v22
	v_lshrrev_b32_e32 v20, 27, v11
	v_subrev_u32_e32 v23, 28, v22
	v_and_b32_e32 v15, 0x80000000, v11
	v_and_b32_e32 v20, 15, v20
	v_bfe_u32 v21, v11, 27, 4
	v_lshlrev_b32_sdwa v11, v23, v11 dst_sel:DWORD dst_unused:UNUSED_PAD src0_sel:DWORD src1_sel:BYTE_3
	v_sub_u32_e32 v22, 29, v22
	v_and_b32_e32 v11, 7, v11
	v_cmp_eq_u16_e32 vcc, 0, v20
	v_cndmask_b32_e32 v11, v14, v11, vcc
	v_cndmask_b32_e32 v14, v21, v22, vcc
	v_mov_b32_e32 v20, 0x3b800000
	v_lshlrev_b32_e32 v11, 20, v11
	v_lshl_add_u32 v14, v14, 23, v20
	v_or3_b32 v14, v15, v14, v11
.LBB53_1600:
	s_or_b64 exec, exec, s[6:7]
	s_nop 0
	v_mfma_f32_16x16x4f32 a[0:3], v10, v14, a[0:3]
	s_movk_i32 s4, 0x7f
	v_cmp_gt_i16_sdwa s[6:7], v16, s4 src0_sel:BYTE_0 src1_sel:DWORD
	s_mov_b64 s[4:5], 0
                                        ; implicit-def: $sgpr10
	s_and_saveexec_b64 s[8:9], s[6:7]
	s_xor_b64 s[6:7], exec, s[8:9]
	s_cbranch_execnz .LBB53_3649
; %bb.1601:
	s_or_saveexec_b64 s[6:7], s[6:7]
	v_mov_b32_e32 v10, s10
	s_xor_b64 exec, exec, s[6:7]
	s_cbranch_execnz .LBB53_3652
.LBB53_1602:
	s_or_b64 exec, exec, s[6:7]
	s_and_saveexec_b64 s[6:7], s[4:5]
	s_cbranch_execz .LBB53_1604
.LBB53_1603:
	v_and_b32_e32 v10, 7, v16
	v_ffbh_u32_e32 v14, v10
	v_min_u32_e32 v14, 32, v14
	v_lshrrev_b16_e32 v11, 3, v16
	v_subrev_u32_e32 v15, 28, v14
	v_and_b32_e32 v11, 15, v11
	v_lshlrev_b32_e32 v15, v15, v16
	v_sub_u32_e32 v14, 29, v14
	v_and_b32_e32 v15, 7, v15
	v_cmp_eq_u16_e32 vcc, 0, v11
	v_cndmask_b32_e32 v10, v10, v15, vcc
	v_cndmask_b32_e32 v11, v11, v14, vcc
	v_lshlrev_b32_e32 v14, 24, v16
	v_mov_b32_e32 v15, 0x3b800000
	v_lshlrev_b32_e32 v10, 20, v10
	v_and_b32_e32 v14, 0x80000000, v14
	v_lshl_add_u32 v11, v11, 23, v15
	v_or3_b32 v10, v14, v11, v10
.LBB53_1604:
	s_or_b64 exec, exec, s[6:7]
	s_movk_i32 s4, 0x7f
	v_cmp_gt_i16_sdwa s[6:7], v12, s4 src0_sel:BYTE_0 src1_sel:DWORD
	s_mov_b64 s[4:5], 0
                                        ; implicit-def: $sgpr10
	s_and_saveexec_b64 s[8:9], s[6:7]
	s_xor_b64 s[6:7], exec, s[8:9]
	s_cbranch_execnz .LBB53_3653
; %bb.1605:
	s_or_saveexec_b64 s[6:7], s[6:7]
	v_mov_b32_e32 v11, s10
	s_xor_b64 exec, exec, s[6:7]
	s_cbranch_execnz .LBB53_3656
.LBB53_1606:
	s_or_b64 exec, exec, s[6:7]
	s_and_saveexec_b64 s[6:7], s[4:5]
	s_cbranch_execz .LBB53_1608
.LBB53_1607:
	v_and_b32_e32 v11, 7, v12
	v_ffbh_u32_e32 v15, v11
	v_min_u32_e32 v15, 32, v15
	v_lshrrev_b16_e32 v14, 3, v12
	v_subrev_u32_e32 v20, 28, v15
	v_and_b32_e32 v14, 15, v14
	v_lshlrev_b32_e32 v20, v20, v12
	v_sub_u32_e32 v15, 29, v15
	v_and_b32_e32 v20, 7, v20
	v_cmp_eq_u16_e32 vcc, 0, v14
	v_cndmask_b32_e32 v11, v11, v20, vcc
	v_cndmask_b32_e32 v14, v14, v15, vcc
	v_lshlrev_b32_e32 v15, 24, v12
	v_mov_b32_e32 v20, 0x3b800000
	v_lshlrev_b32_e32 v11, 20, v11
	v_and_b32_e32 v15, 0x80000000, v15
	v_lshl_add_u32 v14, v14, 23, v20
	v_or3_b32 v11, v15, v14, v11
.LBB53_1608:
	s_or_b64 exec, exec, s[6:7]
	s_nop 0
	v_mfma_f32_16x16x4f32 a[0:3], v10, v11, a[0:3]
	v_lshrrev_b32_e32 v11, 8, v16
	s_movk_i32 s4, 0x7f
	v_cmp_gt_i16_sdwa s[6:7], v11, s4 src0_sel:BYTE_0 src1_sel:DWORD
	s_mov_b64 s[4:5], 0
                                        ; implicit-def: $sgpr10
	s_and_saveexec_b64 s[8:9], s[6:7]
	s_xor_b64 s[6:7], exec, s[8:9]
	s_cbranch_execnz .LBB53_3657
; %bb.1609:
	s_or_saveexec_b64 s[6:7], s[6:7]
	v_mov_b32_e32 v10, s10
	s_xor_b64 exec, exec, s[6:7]
	s_cbranch_execnz .LBB53_3660
.LBB53_1610:
	s_or_b64 exec, exec, s[6:7]
	s_and_saveexec_b64 s[6:7], s[4:5]
	s_cbranch_execz .LBB53_1612
.LBB53_1611:
	v_bfe_u32 v10, v16, 8, 3
	v_ffbh_u32_e32 v15, v10
	v_min_u32_e32 v15, 32, v15
	v_lshrrev_b16_e32 v14, 3, v11
	v_subrev_u32_e32 v20, 28, v15
	v_and_b32_e32 v14, 15, v14
	v_lshlrev_b32_e32 v11, v20, v11
	v_sub_u32_e32 v15, 29, v15
	v_and_b32_e32 v11, 7, v11
	v_cmp_eq_u16_e32 vcc, 0, v14
	v_cndmask_b32_e32 v10, v10, v11, vcc
	v_cndmask_b32_e32 v11, v14, v15, vcc
	v_lshlrev_b32_e32 v14, 16, v16
	v_mov_b32_e32 v15, 0x3b800000
	v_lshlrev_b32_e32 v10, 20, v10
	v_and_b32_e32 v14, 0x80000000, v14
	v_lshl_add_u32 v11, v11, 23, v15
	v_or3_b32 v10, v14, v11, v10
.LBB53_1612:
	s_or_b64 exec, exec, s[6:7]
	v_lshrrev_b32_e32 v11, 8, v12
	s_movk_i32 s4, 0x7f
	v_cmp_gt_i16_sdwa s[6:7], v11, s4 src0_sel:BYTE_0 src1_sel:DWORD
	s_mov_b64 s[4:5], 0
                                        ; implicit-def: $sgpr10
	s_and_saveexec_b64 s[8:9], s[6:7]
	s_xor_b64 s[6:7], exec, s[8:9]
	s_cbranch_execnz .LBB53_3661
; %bb.1613:
	s_or_saveexec_b64 s[6:7], s[6:7]
	v_mov_b32_e32 v14, s10
	s_xor_b64 exec, exec, s[6:7]
	s_cbranch_execnz .LBB53_3664
.LBB53_1614:
	s_or_b64 exec, exec, s[6:7]
	s_and_saveexec_b64 s[6:7], s[4:5]
	s_cbranch_execz .LBB53_1616
.LBB53_1615:
	v_bfe_u32 v14, v12, 8, 3
	v_ffbh_u32_e32 v20, v14
	v_min_u32_e32 v20, 32, v20
	v_lshrrev_b16_e32 v15, 3, v11
	v_subrev_u32_e32 v21, 28, v20
	v_and_b32_e32 v15, 15, v15
	v_lshlrev_b32_e32 v11, v21, v11
	v_sub_u32_e32 v20, 29, v20
	v_and_b32_e32 v11, 7, v11
	v_cmp_eq_u16_e32 vcc, 0, v15
	v_cndmask_b32_e32 v11, v14, v11, vcc
	v_cndmask_b32_e32 v14, v15, v20, vcc
	v_lshlrev_b32_e32 v15, 16, v12
	v_mov_b32_e32 v20, 0x3b800000
	v_lshlrev_b32_e32 v11, 20, v11
	v_and_b32_e32 v15, 0x80000000, v15
	v_lshl_add_u32 v14, v14, 23, v20
	v_or3_b32 v14, v15, v14, v11
.LBB53_1616:
	s_or_b64 exec, exec, s[6:7]
	s_nop 0
	v_mfma_f32_16x16x4f32 a[0:3], v10, v14, a[0:3]
	s_movk_i32 s4, 0xff
	v_and_b32_sdwa v11, v16, s4 dst_sel:DWORD dst_unused:UNUSED_PAD src0_sel:WORD_1 src1_sel:DWORD
	s_movk_i32 s4, 0x7f
	v_cmp_lt_i16_e32 vcc, s4, v11
	s_mov_b64 s[4:5], 0
                                        ; implicit-def: $sgpr10
	s_and_saveexec_b64 s[6:7], vcc
	s_xor_b64 s[6:7], exec, s[6:7]
	s_cbranch_execnz .LBB53_3665
; %bb.1617:
	s_or_saveexec_b64 s[6:7], s[6:7]
	v_mov_b32_e32 v10, s10
	s_xor_b64 exec, exec, s[6:7]
	s_cbranch_execnz .LBB53_3668
.LBB53_1618:
	s_or_b64 exec, exec, s[6:7]
	s_and_saveexec_b64 s[6:7], s[4:5]
	s_cbranch_execz .LBB53_1620
.LBB53_1619:
	v_bfe_u32 v10, v16, 16, 3
	v_ffbh_u32_e32 v15, v10
	v_min_u32_e32 v15, 32, v15
	v_lshrrev_b32_e32 v11, 19, v16
	v_subrev_u32_e32 v20, 28, v15
	v_and_b32_e32 v11, 15, v11
	v_lshlrev_b32_sdwa v20, v20, v16 dst_sel:DWORD dst_unused:UNUSED_PAD src0_sel:DWORD src1_sel:WORD_1
	v_bfe_u32 v14, v16, 19, 4
	v_sub_u32_e32 v15, 29, v15
	v_and_b32_e32 v20, 7, v20
	v_cmp_eq_u16_e32 vcc, 0, v11
	v_cndmask_b32_e32 v10, v10, v20, vcc
	v_cndmask_b32_e32 v11, v14, v15, vcc
	v_lshlrev_b32_e32 v14, 8, v16
	v_mov_b32_e32 v15, 0x3b800000
	v_lshlrev_b32_e32 v10, 20, v10
	v_and_b32_e32 v14, 0x80000000, v14
	v_lshl_add_u32 v11, v11, 23, v15
	v_or3_b32 v10, v14, v11, v10
.LBB53_1620:
	s_or_b64 exec, exec, s[6:7]
	s_movk_i32 s4, 0xff
	v_and_b32_sdwa v11, v12, s4 dst_sel:DWORD dst_unused:UNUSED_PAD src0_sel:WORD_1 src1_sel:DWORD
	s_movk_i32 s4, 0x7f
	v_cmp_lt_i16_e32 vcc, s4, v11
	s_mov_b64 s[4:5], 0
                                        ; implicit-def: $sgpr10
	s_and_saveexec_b64 s[6:7], vcc
	s_xor_b64 s[6:7], exec, s[6:7]
	s_cbranch_execnz .LBB53_3669
; %bb.1621:
	s_or_saveexec_b64 s[6:7], s[6:7]
	v_mov_b32_e32 v14, s10
	s_xor_b64 exec, exec, s[6:7]
	s_cbranch_execnz .LBB53_3672
.LBB53_1622:
	s_or_b64 exec, exec, s[6:7]
	s_and_saveexec_b64 s[6:7], s[4:5]
	s_cbranch_execz .LBB53_1624
.LBB53_1623:
	v_bfe_u32 v11, v12, 16, 3
	v_ffbh_u32_e32 v20, v11
	v_min_u32_e32 v20, 32, v20
	v_lshrrev_b32_e32 v14, 19, v12
	v_subrev_u32_e32 v21, 28, v20
	v_and_b32_e32 v14, 15, v14
	v_lshlrev_b32_sdwa v21, v21, v12 dst_sel:DWORD dst_unused:UNUSED_PAD src0_sel:DWORD src1_sel:WORD_1
	v_bfe_u32 v15, v12, 19, 4
	v_sub_u32_e32 v20, 29, v20
	v_and_b32_e32 v21, 7, v21
	v_cmp_eq_u16_e32 vcc, 0, v14
	v_cndmask_b32_e32 v11, v11, v21, vcc
	v_cndmask_b32_e32 v14, v15, v20, vcc
	v_lshlrev_b32_e32 v15, 8, v12
	v_mov_b32_e32 v20, 0x3b800000
	v_lshlrev_b32_e32 v11, 20, v11
	v_and_b32_e32 v15, 0x80000000, v15
	v_lshl_add_u32 v14, v14, 23, v20
	v_or3_b32 v14, v15, v14, v11
.LBB53_1624:
	s_or_b64 exec, exec, s[6:7]
	s_nop 0
	v_mfma_f32_16x16x4f32 a[0:3], v10, v14, a[0:3]
	s_movk_i32 s4, 0x7f
	v_cmp_gt_i16_sdwa s[6:7], v16, s4 src0_sel:BYTE_3 src1_sel:DWORD
	s_mov_b64 s[4:5], 0
                                        ; implicit-def: $sgpr10
	s_and_saveexec_b64 s[8:9], s[6:7]
	s_xor_b64 s[6:7], exec, s[8:9]
	s_cbranch_execnz .LBB53_3673
; %bb.1625:
	s_or_saveexec_b64 s[6:7], s[6:7]
	v_mov_b32_e32 v10, s10
	s_xor_b64 exec, exec, s[6:7]
	s_cbranch_execnz .LBB53_3676
.LBB53_1626:
	s_or_b64 exec, exec, s[6:7]
	s_and_saveexec_b64 s[6:7], s[4:5]
	s_cbranch_execz .LBB53_1628
.LBB53_1627:
	v_bfe_u32 v10, v16, 24, 3
	v_ffbh_u32_e32 v20, v10
	v_min_u32_e32 v20, 32, v20
	v_lshrrev_b32_e32 v14, 27, v16
	v_subrev_u32_e32 v21, 28, v20
	v_and_b32_e32 v11, 0x80000000, v16
	v_and_b32_e32 v14, 15, v14
	v_bfe_u32 v15, v16, 27, 4
	v_lshlrev_b32_sdwa v16, v21, v16 dst_sel:DWORD dst_unused:UNUSED_PAD src0_sel:DWORD src1_sel:BYTE_3
	v_sub_u32_e32 v20, 29, v20
	v_and_b32_e32 v16, 7, v16
	v_cmp_eq_u16_e32 vcc, 0, v14
	v_cndmask_b32_e32 v10, v10, v16, vcc
	v_cndmask_b32_e32 v14, v15, v20, vcc
	v_mov_b32_e32 v15, 0x3b800000
	v_lshlrev_b32_e32 v10, 20, v10
	v_lshl_add_u32 v14, v14, 23, v15
	v_or3_b32 v10, v11, v14, v10
.LBB53_1628:
	s_or_b64 exec, exec, s[6:7]
	s_movk_i32 s4, 0x7f
	v_cmp_gt_i16_sdwa s[6:7], v12, s4 src0_sel:BYTE_3 src1_sel:DWORD
	s_mov_b64 s[4:5], 0
                                        ; implicit-def: $sgpr10
	s_and_saveexec_b64 s[8:9], s[6:7]
	s_xor_b64 s[6:7], exec, s[8:9]
	s_cbranch_execnz .LBB53_3677
; %bb.1629:
	s_or_saveexec_b64 s[6:7], s[6:7]
	v_mov_b32_e32 v11, s10
	s_xor_b64 exec, exec, s[6:7]
	s_cbranch_execnz .LBB53_3680
.LBB53_1630:
	s_or_b64 exec, exec, s[6:7]
	s_and_saveexec_b64 s[6:7], s[4:5]
	s_cbranch_execz .LBB53_1632
.LBB53_1631:
	v_bfe_u32 v11, v12, 24, 3
	v_ffbh_u32_e32 v20, v11
	v_min_u32_e32 v20, 32, v20
	v_lshrrev_b32_e32 v15, 27, v12
	v_subrev_u32_e32 v21, 28, v20
	v_and_b32_e32 v14, 0x80000000, v12
	v_and_b32_e32 v15, 15, v15
	v_bfe_u32 v16, v12, 27, 4
	v_lshlrev_b32_sdwa v12, v21, v12 dst_sel:DWORD dst_unused:UNUSED_PAD src0_sel:DWORD src1_sel:BYTE_3
	v_sub_u32_e32 v20, 29, v20
	v_and_b32_e32 v12, 7, v12
	v_cmp_eq_u16_e32 vcc, 0, v15
	v_cndmask_b32_e32 v11, v11, v12, vcc
	v_cndmask_b32_e32 v12, v16, v20, vcc
	v_mov_b32_e32 v15, 0x3b800000
	v_lshlrev_b32_e32 v11, 20, v11
	v_lshl_add_u32 v12, v12, 23, v15
	v_or3_b32 v11, v14, v12, v11
.LBB53_1632:
	s_or_b64 exec, exec, s[6:7]
	s_nop 0
	v_mfma_f32_16x16x4f32 a[0:3], v10, v11, a[0:3]
	s_movk_i32 s4, 0x7f
	v_cmp_gt_i16_sdwa s[6:7], v17, s4 src0_sel:BYTE_0 src1_sel:DWORD
	s_mov_b64 s[4:5], 0
                                        ; implicit-def: $sgpr10
	s_and_saveexec_b64 s[8:9], s[6:7]
	s_xor_b64 s[6:7], exec, s[8:9]
	s_cbranch_execnz .LBB53_3681
; %bb.1633:
	s_or_saveexec_b64 s[6:7], s[6:7]
	v_mov_b32_e32 v10, s10
	s_xor_b64 exec, exec, s[6:7]
	s_cbranch_execnz .LBB53_3684
.LBB53_1634:
	s_or_b64 exec, exec, s[6:7]
	s_and_saveexec_b64 s[6:7], s[4:5]
	s_cbranch_execz .LBB53_1636
.LBB53_1635:
	v_and_b32_e32 v10, 7, v17
	v_ffbh_u32_e32 v12, v10
	v_min_u32_e32 v12, 32, v12
	v_lshrrev_b16_e32 v11, 3, v17
	v_subrev_u32_e32 v14, 28, v12
	v_and_b32_e32 v11, 15, v11
	v_lshlrev_b32_e32 v14, v14, v17
	v_sub_u32_e32 v12, 29, v12
	v_and_b32_e32 v14, 7, v14
	v_cmp_eq_u16_e32 vcc, 0, v11
	v_cndmask_b32_e32 v10, v10, v14, vcc
	v_cndmask_b32_e32 v11, v11, v12, vcc
	v_lshlrev_b32_e32 v12, 24, v17
	v_mov_b32_e32 v14, 0x3b800000
	v_lshlrev_b32_e32 v10, 20, v10
	v_and_b32_e32 v12, 0x80000000, v12
	v_lshl_add_u32 v11, v11, 23, v14
	v_or3_b32 v10, v12, v11, v10
.LBB53_1636:
	s_or_b64 exec, exec, s[6:7]
	s_movk_i32 s4, 0x7f
	v_cmp_gt_i16_sdwa s[6:7], v13, s4 src0_sel:BYTE_0 src1_sel:DWORD
	s_mov_b64 s[4:5], 0
                                        ; implicit-def: $sgpr10
	s_and_saveexec_b64 s[8:9], s[6:7]
	s_xor_b64 s[6:7], exec, s[8:9]
	s_cbranch_execnz .LBB53_3685
; %bb.1637:
	s_or_saveexec_b64 s[6:7], s[6:7]
	v_mov_b32_e32 v11, s10
	s_xor_b64 exec, exec, s[6:7]
	s_cbranch_execnz .LBB53_3688
.LBB53_1638:
	s_or_b64 exec, exec, s[6:7]
	s_and_saveexec_b64 s[6:7], s[4:5]
	s_cbranch_execz .LBB53_1640
.LBB53_1639:
	v_and_b32_e32 v11, 7, v13
	v_ffbh_u32_e32 v14, v11
	v_min_u32_e32 v14, 32, v14
	v_lshrrev_b16_e32 v12, 3, v13
	v_subrev_u32_e32 v15, 28, v14
	v_and_b32_e32 v12, 15, v12
	v_lshlrev_b32_e32 v15, v15, v13
	v_sub_u32_e32 v14, 29, v14
	v_and_b32_e32 v15, 7, v15
	v_cmp_eq_u16_e32 vcc, 0, v12
	v_cndmask_b32_e32 v11, v11, v15, vcc
	v_cndmask_b32_e32 v12, v12, v14, vcc
	v_lshlrev_b32_e32 v14, 24, v13
	v_mov_b32_e32 v15, 0x3b800000
	v_lshlrev_b32_e32 v11, 20, v11
	v_and_b32_e32 v14, 0x80000000, v14
	v_lshl_add_u32 v12, v12, 23, v15
	v_or3_b32 v11, v14, v12, v11
.LBB53_1640:
	s_or_b64 exec, exec, s[6:7]
	s_nop 0
	v_mfma_f32_16x16x4f32 a[0:3], v10, v11, a[0:3]
	v_lshrrev_b32_e32 v11, 8, v17
	s_movk_i32 s4, 0x7f
	v_cmp_gt_i16_sdwa s[6:7], v11, s4 src0_sel:BYTE_0 src1_sel:DWORD
	s_mov_b64 s[4:5], 0
                                        ; implicit-def: $sgpr10
	s_and_saveexec_b64 s[8:9], s[6:7]
	s_xor_b64 s[6:7], exec, s[8:9]
	s_cbranch_execnz .LBB53_3689
; %bb.1641:
	s_or_saveexec_b64 s[6:7], s[6:7]
	v_mov_b32_e32 v10, s10
	s_xor_b64 exec, exec, s[6:7]
	s_cbranch_execnz .LBB53_3692
.LBB53_1642:
	s_or_b64 exec, exec, s[6:7]
	s_and_saveexec_b64 s[6:7], s[4:5]
	s_cbranch_execz .LBB53_1644
.LBB53_1643:
	v_bfe_u32 v10, v17, 8, 3
	v_ffbh_u32_e32 v14, v10
	v_min_u32_e32 v14, 32, v14
	v_lshrrev_b16_e32 v12, 3, v11
	v_subrev_u32_e32 v15, 28, v14
	v_and_b32_e32 v12, 15, v12
	v_lshlrev_b32_e32 v11, v15, v11
	v_sub_u32_e32 v14, 29, v14
	v_and_b32_e32 v11, 7, v11
	v_cmp_eq_u16_e32 vcc, 0, v12
	v_cndmask_b32_e32 v10, v10, v11, vcc
	v_cndmask_b32_e32 v11, v12, v14, vcc
	v_lshlrev_b32_e32 v12, 16, v17
	v_mov_b32_e32 v14, 0x3b800000
	v_lshlrev_b32_e32 v10, 20, v10
	v_and_b32_e32 v12, 0x80000000, v12
	v_lshl_add_u32 v11, v11, 23, v14
	v_or3_b32 v10, v12, v11, v10
.LBB53_1644:
	s_or_b64 exec, exec, s[6:7]
	v_lshrrev_b32_e32 v11, 8, v13
	s_movk_i32 s4, 0x7f
	v_cmp_gt_i16_sdwa s[6:7], v11, s4 src0_sel:BYTE_0 src1_sel:DWORD
	s_mov_b64 s[4:5], 0
                                        ; implicit-def: $sgpr10
	s_and_saveexec_b64 s[8:9], s[6:7]
	s_xor_b64 s[6:7], exec, s[8:9]
	s_cbranch_execnz .LBB53_3693
; %bb.1645:
	s_or_saveexec_b64 s[6:7], s[6:7]
	v_mov_b32_e32 v12, s10
	s_xor_b64 exec, exec, s[6:7]
	s_cbranch_execnz .LBB53_3696
.LBB53_1646:
	s_or_b64 exec, exec, s[6:7]
	s_and_saveexec_b64 s[6:7], s[4:5]
	s_cbranch_execz .LBB53_1648
.LBB53_1647:
	v_bfe_u32 v12, v13, 8, 3
	v_ffbh_u32_e32 v15, v12
	v_min_u32_e32 v15, 32, v15
	v_lshrrev_b16_e32 v14, 3, v11
	v_subrev_u32_e32 v16, 28, v15
	v_and_b32_e32 v14, 15, v14
	v_lshlrev_b32_e32 v11, v16, v11
	v_sub_u32_e32 v15, 29, v15
	v_and_b32_e32 v11, 7, v11
	v_cmp_eq_u16_e32 vcc, 0, v14
	v_cndmask_b32_e32 v11, v12, v11, vcc
	v_cndmask_b32_e32 v12, v14, v15, vcc
	v_lshlrev_b32_e32 v14, 16, v13
	v_mov_b32_e32 v15, 0x3b800000
	v_lshlrev_b32_e32 v11, 20, v11
	v_and_b32_e32 v14, 0x80000000, v14
	v_lshl_add_u32 v12, v12, 23, v15
	v_or3_b32 v12, v14, v12, v11
.LBB53_1648:
	s_or_b64 exec, exec, s[6:7]
	s_nop 0
	v_mfma_f32_16x16x4f32 a[0:3], v10, v12, a[0:3]
	s_movk_i32 s4, 0xff
	v_and_b32_sdwa v11, v17, s4 dst_sel:DWORD dst_unused:UNUSED_PAD src0_sel:WORD_1 src1_sel:DWORD
	s_movk_i32 s4, 0x7f
	v_cmp_lt_i16_e32 vcc, s4, v11
	s_mov_b64 s[4:5], 0
                                        ; implicit-def: $sgpr10
	s_and_saveexec_b64 s[6:7], vcc
	s_xor_b64 s[6:7], exec, s[6:7]
	s_cbranch_execnz .LBB53_3697
; %bb.1649:
	s_or_saveexec_b64 s[6:7], s[6:7]
	v_mov_b32_e32 v10, s10
	s_xor_b64 exec, exec, s[6:7]
	s_cbranch_execnz .LBB53_3700
.LBB53_1650:
	s_or_b64 exec, exec, s[6:7]
	s_and_saveexec_b64 s[6:7], s[4:5]
	s_cbranch_execz .LBB53_1652
.LBB53_1651:
	v_bfe_u32 v10, v17, 16, 3
	v_ffbh_u32_e32 v14, v10
	v_min_u32_e32 v14, 32, v14
	v_lshrrev_b32_e32 v11, 19, v17
	v_subrev_u32_e32 v15, 28, v14
	v_and_b32_e32 v11, 15, v11
	v_lshlrev_b32_sdwa v15, v15, v17 dst_sel:DWORD dst_unused:UNUSED_PAD src0_sel:DWORD src1_sel:WORD_1
	v_bfe_u32 v12, v17, 19, 4
	v_sub_u32_e32 v14, 29, v14
	v_and_b32_e32 v15, 7, v15
	v_cmp_eq_u16_e32 vcc, 0, v11
	v_cndmask_b32_e32 v10, v10, v15, vcc
	v_cndmask_b32_e32 v11, v12, v14, vcc
	v_lshlrev_b32_e32 v12, 8, v17
	v_mov_b32_e32 v14, 0x3b800000
	v_lshlrev_b32_e32 v10, 20, v10
	v_and_b32_e32 v12, 0x80000000, v12
	v_lshl_add_u32 v11, v11, 23, v14
	v_or3_b32 v10, v12, v11, v10
.LBB53_1652:
	s_or_b64 exec, exec, s[6:7]
	s_movk_i32 s4, 0xff
	v_and_b32_sdwa v11, v13, s4 dst_sel:DWORD dst_unused:UNUSED_PAD src0_sel:WORD_1 src1_sel:DWORD
	s_movk_i32 s4, 0x7f
	v_cmp_lt_i16_e32 vcc, s4, v11
	s_mov_b64 s[4:5], 0
                                        ; implicit-def: $sgpr10
	s_and_saveexec_b64 s[6:7], vcc
	s_xor_b64 s[6:7], exec, s[6:7]
	s_cbranch_execnz .LBB53_3701
; %bb.1653:
	s_or_saveexec_b64 s[6:7], s[6:7]
	v_mov_b32_e32 v12, s10
	s_xor_b64 exec, exec, s[6:7]
	s_cbranch_execnz .LBB53_3704
.LBB53_1654:
	s_or_b64 exec, exec, s[6:7]
	s_and_saveexec_b64 s[6:7], s[4:5]
	s_cbranch_execz .LBB53_1656
.LBB53_1655:
	v_bfe_u32 v11, v13, 16, 3
	v_ffbh_u32_e32 v15, v11
	v_min_u32_e32 v15, 32, v15
	v_lshrrev_b32_e32 v12, 19, v13
	v_subrev_u32_e32 v16, 28, v15
	v_and_b32_e32 v12, 15, v12
	v_lshlrev_b32_sdwa v16, v16, v13 dst_sel:DWORD dst_unused:UNUSED_PAD src0_sel:DWORD src1_sel:WORD_1
	v_bfe_u32 v14, v13, 19, 4
	v_sub_u32_e32 v15, 29, v15
	v_and_b32_e32 v16, 7, v16
	v_cmp_eq_u16_e32 vcc, 0, v12
	v_cndmask_b32_e32 v11, v11, v16, vcc
	v_cndmask_b32_e32 v12, v14, v15, vcc
	v_lshlrev_b32_e32 v14, 8, v13
	v_mov_b32_e32 v15, 0x3b800000
	v_lshlrev_b32_e32 v11, 20, v11
	v_and_b32_e32 v14, 0x80000000, v14
	v_lshl_add_u32 v12, v12, 23, v15
	v_or3_b32 v12, v14, v12, v11
.LBB53_1656:
	s_or_b64 exec, exec, s[6:7]
	s_nop 0
	v_mfma_f32_16x16x4f32 a[0:3], v10, v12, a[0:3]
	s_movk_i32 s4, 0x7f
	v_cmp_gt_i16_sdwa s[6:7], v17, s4 src0_sel:BYTE_3 src1_sel:DWORD
	s_mov_b64 s[4:5], 0
                                        ; implicit-def: $sgpr10
	s_and_saveexec_b64 s[8:9], s[6:7]
	s_xor_b64 s[6:7], exec, s[8:9]
	s_cbranch_execnz .LBB53_3705
; %bb.1657:
	s_or_saveexec_b64 s[6:7], s[6:7]
	v_mov_b32_e32 v10, s10
	s_xor_b64 exec, exec, s[6:7]
	s_cbranch_execnz .LBB53_3708
.LBB53_1658:
	s_or_b64 exec, exec, s[6:7]
	s_and_saveexec_b64 s[6:7], s[4:5]
	s_cbranch_execz .LBB53_1660
.LBB53_1659:
	v_bfe_u32 v10, v17, 24, 3
	v_ffbh_u32_e32 v15, v10
	v_min_u32_e32 v15, 32, v15
	v_lshrrev_b32_e32 v12, 27, v17
	v_subrev_u32_e32 v16, 28, v15
	v_and_b32_e32 v12, 15, v12
	v_lshlrev_b32_sdwa v16, v16, v17 dst_sel:DWORD dst_unused:UNUSED_PAD src0_sel:DWORD src1_sel:BYTE_3
	v_bfe_u32 v14, v17, 27, 4
	v_sub_u32_e32 v15, 29, v15
	v_and_b32_e32 v16, 7, v16
	v_cmp_eq_u16_e32 vcc, 0, v12
	v_cndmask_b32_e32 v10, v10, v16, vcc
	v_cndmask_b32_e32 v12, v14, v15, vcc
	v_mov_b32_e32 v14, 0x3b800000
	v_and_b32_e32 v11, 0x80000000, v17
	v_lshlrev_b32_e32 v10, 20, v10
	v_lshl_add_u32 v12, v12, 23, v14
	v_or3_b32 v10, v11, v12, v10
.LBB53_1660:
	s_or_b64 exec, exec, s[6:7]
	s_movk_i32 s4, 0x7f
	v_cmp_gt_i16_sdwa s[6:7], v13, s4 src0_sel:BYTE_3 src1_sel:DWORD
	s_mov_b64 s[4:5], 0
                                        ; implicit-def: $sgpr10
	s_and_saveexec_b64 s[8:9], s[6:7]
	s_xor_b64 s[6:7], exec, s[8:9]
	s_cbranch_execnz .LBB53_3709
; %bb.1661:
	s_or_saveexec_b64 s[6:7], s[6:7]
	v_mov_b32_e32 v11, s10
	s_xor_b64 exec, exec, s[6:7]
	s_cbranch_execnz .LBB53_3712
.LBB53_1662:
	s_or_b64 exec, exec, s[6:7]
	s_and_saveexec_b64 s[6:7], s[4:5]
	s_cbranch_execz .LBB53_1664
.LBB53_1663:
	v_bfe_u32 v11, v13, 24, 3
	v_ffbh_u32_e32 v16, v11
	v_min_u32_e32 v16, 32, v16
	v_lshrrev_b32_e32 v14, 27, v13
	v_subrev_u32_e32 v17, 28, v16
	v_and_b32_e32 v12, 0x80000000, v13
	v_and_b32_e32 v14, 15, v14
	v_bfe_u32 v15, v13, 27, 4
	v_lshlrev_b32_sdwa v13, v17, v13 dst_sel:DWORD dst_unused:UNUSED_PAD src0_sel:DWORD src1_sel:BYTE_3
	v_sub_u32_e32 v16, 29, v16
	v_and_b32_e32 v13, 7, v13
	v_cmp_eq_u16_e32 vcc, 0, v14
	v_cndmask_b32_e32 v11, v11, v13, vcc
	v_cndmask_b32_e32 v13, v15, v16, vcc
	v_mov_b32_e32 v14, 0x3b800000
	v_lshlrev_b32_e32 v11, 20, v11
	v_lshl_add_u32 v13, v13, 23, v14
	v_or3_b32 v11, v12, v13, v11
.LBB53_1664:
	s_or_b64 exec, exec, s[6:7]
	s_nop 0
	v_mfma_f32_16x16x4f32 a[0:3], v10, v11, a[0:3]
	s_movk_i32 s4, 0x7f
	v_cmp_gt_i16_sdwa s[6:7], v6, s4 src0_sel:BYTE_0 src1_sel:DWORD
	s_mov_b64 s[4:5], 0
                                        ; implicit-def: $sgpr10
	s_and_saveexec_b64 s[8:9], s[6:7]
	s_xor_b64 s[6:7], exec, s[8:9]
	s_cbranch_execnz .LBB53_3713
; %bb.1665:
	s_or_saveexec_b64 s[6:7], s[6:7]
	v_mov_b32_e32 v10, s10
	s_xor_b64 exec, exec, s[6:7]
	s_cbranch_execnz .LBB53_3716
.LBB53_1666:
	s_or_b64 exec, exec, s[6:7]
	s_and_saveexec_b64 s[6:7], s[4:5]
	s_cbranch_execz .LBB53_1668
.LBB53_1667:
	v_and_b32_e32 v10, 7, v6
	v_ffbh_u32_e32 v12, v10
	v_min_u32_e32 v12, 32, v12
	v_lshrrev_b16_e32 v11, 3, v6
	v_subrev_u32_e32 v13, 28, v12
	v_and_b32_e32 v11, 15, v11
	v_lshlrev_b32_e32 v13, v13, v6
	v_sub_u32_e32 v12, 29, v12
	v_and_b32_e32 v13, 7, v13
	v_cmp_eq_u16_e32 vcc, 0, v11
	v_cndmask_b32_e32 v10, v10, v13, vcc
	v_cndmask_b32_e32 v11, v11, v12, vcc
	v_lshlrev_b32_e32 v12, 24, v6
	v_mov_b32_e32 v13, 0x3b800000
	v_lshlrev_b32_e32 v10, 20, v10
	v_and_b32_e32 v12, 0x80000000, v12
	v_lshl_add_u32 v11, v11, 23, v13
	v_or3_b32 v10, v12, v11, v10
.LBB53_1668:
	s_or_b64 exec, exec, s[6:7]
	s_movk_i32 s4, 0x7f
	v_cmp_gt_i16_sdwa s[6:7], v2, s4 src0_sel:BYTE_0 src1_sel:DWORD
	s_mov_b64 s[4:5], 0
                                        ; implicit-def: $sgpr10
	s_and_saveexec_b64 s[8:9], s[6:7]
	s_xor_b64 s[6:7], exec, s[8:9]
	s_cbranch_execnz .LBB53_3717
; %bb.1669:
	s_or_saveexec_b64 s[6:7], s[6:7]
	v_mov_b32_e32 v11, s10
	s_xor_b64 exec, exec, s[6:7]
	s_cbranch_execnz .LBB53_3720
.LBB53_1670:
	s_or_b64 exec, exec, s[6:7]
	s_and_saveexec_b64 s[6:7], s[4:5]
	s_cbranch_execz .LBB53_1672
.LBB53_1671:
	v_and_b32_e32 v11, 7, v2
	v_ffbh_u32_e32 v13, v11
	v_min_u32_e32 v13, 32, v13
	v_lshrrev_b16_e32 v12, 3, v2
	v_subrev_u32_e32 v14, 28, v13
	v_and_b32_e32 v12, 15, v12
	v_lshlrev_b32_e32 v14, v14, v2
	v_sub_u32_e32 v13, 29, v13
	v_and_b32_e32 v14, 7, v14
	v_cmp_eq_u16_e32 vcc, 0, v12
	v_cndmask_b32_e32 v11, v11, v14, vcc
	v_cndmask_b32_e32 v12, v12, v13, vcc
	v_lshlrev_b32_e32 v13, 24, v2
	v_mov_b32_e32 v14, 0x3b800000
	v_lshlrev_b32_e32 v11, 20, v11
	v_and_b32_e32 v13, 0x80000000, v13
	v_lshl_add_u32 v12, v12, 23, v14
	v_or3_b32 v11, v13, v12, v11
.LBB53_1672:
	s_or_b64 exec, exec, s[6:7]
	s_nop 0
	v_mfma_f32_16x16x4f32 a[0:3], v10, v11, a[0:3]
	v_lshrrev_b32_e32 v11, 8, v6
	s_movk_i32 s4, 0x7f
	v_cmp_gt_i16_sdwa s[6:7], v11, s4 src0_sel:BYTE_0 src1_sel:DWORD
	s_mov_b64 s[4:5], 0
                                        ; implicit-def: $sgpr10
	s_and_saveexec_b64 s[8:9], s[6:7]
	s_xor_b64 s[6:7], exec, s[8:9]
	s_cbranch_execnz .LBB53_3721
; %bb.1673:
	s_or_saveexec_b64 s[6:7], s[6:7]
	v_mov_b32_e32 v10, s10
	s_xor_b64 exec, exec, s[6:7]
	s_cbranch_execnz .LBB53_3724
.LBB53_1674:
	s_or_b64 exec, exec, s[6:7]
	s_and_saveexec_b64 s[6:7], s[4:5]
	s_cbranch_execz .LBB53_1676
.LBB53_1675:
	v_bfe_u32 v10, v6, 8, 3
	v_ffbh_u32_e32 v13, v10
	v_min_u32_e32 v13, 32, v13
	v_lshrrev_b16_e32 v12, 3, v11
	v_subrev_u32_e32 v14, 28, v13
	v_and_b32_e32 v12, 15, v12
	v_lshlrev_b32_e32 v11, v14, v11
	v_sub_u32_e32 v13, 29, v13
	v_and_b32_e32 v11, 7, v11
	v_cmp_eq_u16_e32 vcc, 0, v12
	v_cndmask_b32_e32 v10, v10, v11, vcc
	v_cndmask_b32_e32 v11, v12, v13, vcc
	v_lshlrev_b32_e32 v12, 16, v6
	v_mov_b32_e32 v13, 0x3b800000
	v_lshlrev_b32_e32 v10, 20, v10
	v_and_b32_e32 v12, 0x80000000, v12
	v_lshl_add_u32 v11, v11, 23, v13
	v_or3_b32 v10, v12, v11, v10
.LBB53_1676:
	s_or_b64 exec, exec, s[6:7]
	v_lshrrev_b32_e32 v11, 8, v2
	s_movk_i32 s4, 0x7f
	v_cmp_gt_i16_sdwa s[6:7], v11, s4 src0_sel:BYTE_0 src1_sel:DWORD
	s_mov_b64 s[4:5], 0
                                        ; implicit-def: $sgpr10
	s_and_saveexec_b64 s[8:9], s[6:7]
	s_xor_b64 s[6:7], exec, s[8:9]
	s_cbranch_execnz .LBB53_3725
; %bb.1677:
	s_or_saveexec_b64 s[6:7], s[6:7]
	v_mov_b32_e32 v12, s10
	s_xor_b64 exec, exec, s[6:7]
	s_cbranch_execnz .LBB53_3728
.LBB53_1678:
	s_or_b64 exec, exec, s[6:7]
	s_and_saveexec_b64 s[6:7], s[4:5]
	s_cbranch_execz .LBB53_1680
.LBB53_1679:
	v_bfe_u32 v12, v2, 8, 3
	v_ffbh_u32_e32 v14, v12
	v_min_u32_e32 v14, 32, v14
	v_lshrrev_b16_e32 v13, 3, v11
	v_subrev_u32_e32 v15, 28, v14
	v_and_b32_e32 v13, 15, v13
	v_lshlrev_b32_e32 v11, v15, v11
	v_sub_u32_e32 v14, 29, v14
	v_and_b32_e32 v11, 7, v11
	v_cmp_eq_u16_e32 vcc, 0, v13
	v_cndmask_b32_e32 v11, v12, v11, vcc
	v_cndmask_b32_e32 v12, v13, v14, vcc
	v_lshlrev_b32_e32 v13, 16, v2
	v_mov_b32_e32 v14, 0x3b800000
	v_lshlrev_b32_e32 v11, 20, v11
	v_and_b32_e32 v13, 0x80000000, v13
	v_lshl_add_u32 v12, v12, 23, v14
	v_or3_b32 v12, v13, v12, v11
.LBB53_1680:
	s_or_b64 exec, exec, s[6:7]
	s_nop 0
	v_mfma_f32_16x16x4f32 a[0:3], v10, v12, a[0:3]
	s_movk_i32 s4, 0xff
	v_and_b32_sdwa v11, v6, s4 dst_sel:DWORD dst_unused:UNUSED_PAD src0_sel:WORD_1 src1_sel:DWORD
	s_movk_i32 s4, 0x7f
	v_cmp_lt_i16_e32 vcc, s4, v11
	s_mov_b64 s[4:5], 0
                                        ; implicit-def: $sgpr10
	s_and_saveexec_b64 s[6:7], vcc
	s_xor_b64 s[6:7], exec, s[6:7]
	s_cbranch_execnz .LBB53_3729
; %bb.1681:
	s_or_saveexec_b64 s[6:7], s[6:7]
	v_mov_b32_e32 v10, s10
	s_xor_b64 exec, exec, s[6:7]
	s_cbranch_execnz .LBB53_3732
.LBB53_1682:
	s_or_b64 exec, exec, s[6:7]
	s_and_saveexec_b64 s[6:7], s[4:5]
	s_cbranch_execz .LBB53_1684
.LBB53_1683:
	v_bfe_u32 v10, v6, 16, 3
	v_ffbh_u32_e32 v13, v10
	v_min_u32_e32 v13, 32, v13
	v_lshrrev_b32_e32 v11, 19, v6
	v_subrev_u32_e32 v14, 28, v13
	v_and_b32_e32 v11, 15, v11
	v_lshlrev_b32_sdwa v14, v14, v6 dst_sel:DWORD dst_unused:UNUSED_PAD src0_sel:DWORD src1_sel:WORD_1
	v_bfe_u32 v12, v6, 19, 4
	v_sub_u32_e32 v13, 29, v13
	v_and_b32_e32 v14, 7, v14
	v_cmp_eq_u16_e32 vcc, 0, v11
	v_cndmask_b32_e32 v10, v10, v14, vcc
	v_cndmask_b32_e32 v11, v12, v13, vcc
	v_lshlrev_b32_e32 v12, 8, v6
	v_mov_b32_e32 v13, 0x3b800000
	v_lshlrev_b32_e32 v10, 20, v10
	v_and_b32_e32 v12, 0x80000000, v12
	v_lshl_add_u32 v11, v11, 23, v13
	v_or3_b32 v10, v12, v11, v10
.LBB53_1684:
	s_or_b64 exec, exec, s[6:7]
	s_movk_i32 s4, 0xff
	v_and_b32_sdwa v11, v2, s4 dst_sel:DWORD dst_unused:UNUSED_PAD src0_sel:WORD_1 src1_sel:DWORD
	s_movk_i32 s4, 0x7f
	v_cmp_lt_i16_e32 vcc, s4, v11
	s_mov_b64 s[4:5], 0
                                        ; implicit-def: $sgpr10
	s_and_saveexec_b64 s[6:7], vcc
	s_xor_b64 s[6:7], exec, s[6:7]
	s_cbranch_execnz .LBB53_3733
; %bb.1685:
	s_or_saveexec_b64 s[6:7], s[6:7]
	v_mov_b32_e32 v12, s10
	s_xor_b64 exec, exec, s[6:7]
	s_cbranch_execnz .LBB53_3736
.LBB53_1686:
	s_or_b64 exec, exec, s[6:7]
	s_and_saveexec_b64 s[6:7], s[4:5]
	s_cbranch_execz .LBB53_1688
.LBB53_1687:
	v_bfe_u32 v11, v2, 16, 3
	v_ffbh_u32_e32 v14, v11
	v_min_u32_e32 v14, 32, v14
	v_lshrrev_b32_e32 v12, 19, v2
	v_subrev_u32_e32 v15, 28, v14
	v_and_b32_e32 v12, 15, v12
	v_lshlrev_b32_sdwa v15, v15, v2 dst_sel:DWORD dst_unused:UNUSED_PAD src0_sel:DWORD src1_sel:WORD_1
	v_bfe_u32 v13, v2, 19, 4
	v_sub_u32_e32 v14, 29, v14
	v_and_b32_e32 v15, 7, v15
	v_cmp_eq_u16_e32 vcc, 0, v12
	v_cndmask_b32_e32 v11, v11, v15, vcc
	v_cndmask_b32_e32 v12, v13, v14, vcc
	v_lshlrev_b32_e32 v13, 8, v2
	v_mov_b32_e32 v14, 0x3b800000
	v_lshlrev_b32_e32 v11, 20, v11
	v_and_b32_e32 v13, 0x80000000, v13
	v_lshl_add_u32 v12, v12, 23, v14
	v_or3_b32 v12, v13, v12, v11
.LBB53_1688:
	s_or_b64 exec, exec, s[6:7]
	s_nop 0
	v_mfma_f32_16x16x4f32 a[0:3], v10, v12, a[0:3]
	s_movk_i32 s4, 0x7f
	v_cmp_gt_i16_sdwa s[6:7], v6, s4 src0_sel:BYTE_3 src1_sel:DWORD
	s_mov_b64 s[4:5], 0
                                        ; implicit-def: $sgpr10
	s_and_saveexec_b64 s[8:9], s[6:7]
	s_xor_b64 s[6:7], exec, s[8:9]
	s_cbranch_execnz .LBB53_3737
; %bb.1689:
	s_or_saveexec_b64 s[6:7], s[6:7]
	v_mov_b32_e32 v10, s10
	s_xor_b64 exec, exec, s[6:7]
	s_cbranch_execnz .LBB53_3740
.LBB53_1690:
	s_or_b64 exec, exec, s[6:7]
	s_and_saveexec_b64 s[6:7], s[4:5]
	s_cbranch_execz .LBB53_1692
.LBB53_1691:
	v_bfe_u32 v10, v6, 24, 3
	v_ffbh_u32_e32 v14, v10
	v_min_u32_e32 v14, 32, v14
	v_lshrrev_b32_e32 v12, 27, v6
	v_subrev_u32_e32 v15, 28, v14
	v_and_b32_e32 v11, 0x80000000, v6
	v_and_b32_e32 v12, 15, v12
	v_bfe_u32 v13, v6, 27, 4
	v_lshlrev_b32_sdwa v6, v15, v6 dst_sel:DWORD dst_unused:UNUSED_PAD src0_sel:DWORD src1_sel:BYTE_3
	v_sub_u32_e32 v14, 29, v14
	v_and_b32_e32 v6, 7, v6
	v_cmp_eq_u16_e32 vcc, 0, v12
	v_cndmask_b32_e32 v6, v10, v6, vcc
	v_cndmask_b32_e32 v10, v13, v14, vcc
	v_mov_b32_e32 v12, 0x3b800000
	v_lshlrev_b32_e32 v6, 20, v6
	v_lshl_add_u32 v10, v10, 23, v12
	v_or3_b32 v10, v11, v10, v6
.LBB53_1692:
	s_or_b64 exec, exec, s[6:7]
	s_movk_i32 s4, 0x7f
	v_cmp_gt_i16_sdwa s[6:7], v2, s4 src0_sel:BYTE_3 src1_sel:DWORD
	s_mov_b64 s[4:5], 0
                                        ; implicit-def: $sgpr10
	s_and_saveexec_b64 s[8:9], s[6:7]
	s_xor_b64 s[6:7], exec, s[8:9]
	s_cbranch_execnz .LBB53_3741
; %bb.1693:
	s_or_saveexec_b64 s[6:7], s[6:7]
	v_mov_b32_e32 v6, s10
	s_xor_b64 exec, exec, s[6:7]
	s_cbranch_execnz .LBB53_3744
.LBB53_1694:
	s_or_b64 exec, exec, s[6:7]
	s_and_saveexec_b64 s[6:7], s[4:5]
	s_cbranch_execz .LBB53_1696
.LBB53_1695:
	v_bfe_u32 v6, v2, 24, 3
	v_ffbh_u32_e32 v14, v6
	v_min_u32_e32 v14, 32, v14
	v_lshrrev_b32_e32 v12, 27, v2
	v_subrev_u32_e32 v15, 28, v14
	v_and_b32_e32 v11, 0x80000000, v2
	v_and_b32_e32 v12, 15, v12
	v_bfe_u32 v13, v2, 27, 4
	v_lshlrev_b32_sdwa v2, v15, v2 dst_sel:DWORD dst_unused:UNUSED_PAD src0_sel:DWORD src1_sel:BYTE_3
	v_sub_u32_e32 v14, 29, v14
	v_and_b32_e32 v2, 7, v2
	v_cmp_eq_u16_e32 vcc, 0, v12
	v_cndmask_b32_e32 v2, v6, v2, vcc
	v_cndmask_b32_e32 v6, v13, v14, vcc
	v_mov_b32_e32 v12, 0x3b800000
	v_lshlrev_b32_e32 v2, 20, v2
	v_lshl_add_u32 v6, v6, 23, v12
	v_or3_b32 v6, v11, v6, v2
.LBB53_1696:
	s_or_b64 exec, exec, s[6:7]
	s_nop 0
	v_mfma_f32_16x16x4f32 a[0:3], v10, v6, a[0:3]
	s_movk_i32 s4, 0x7f
	v_cmp_gt_i16_sdwa s[6:7], v7, s4 src0_sel:BYTE_0 src1_sel:DWORD
	s_mov_b64 s[4:5], 0
                                        ; implicit-def: $sgpr10
	s_and_saveexec_b64 s[8:9], s[6:7]
	s_xor_b64 s[6:7], exec, s[8:9]
	s_cbranch_execnz .LBB53_3745
; %bb.1697:
	s_or_saveexec_b64 s[6:7], s[6:7]
	v_mov_b32_e32 v2, s10
	s_xor_b64 exec, exec, s[6:7]
	s_cbranch_execnz .LBB53_3748
.LBB53_1698:
	s_or_b64 exec, exec, s[6:7]
	s_and_saveexec_b64 s[6:7], s[4:5]
	s_cbranch_execz .LBB53_1700
.LBB53_1699:
	v_and_b32_e32 v2, 7, v7
	v_ffbh_u32_e32 v10, v2
	v_min_u32_e32 v10, 32, v10
	v_lshrrev_b16_e32 v6, 3, v7
	v_subrev_u32_e32 v11, 28, v10
	v_and_b32_e32 v6, 15, v6
	v_lshlrev_b32_e32 v11, v11, v7
	v_sub_u32_e32 v10, 29, v10
	v_and_b32_e32 v11, 7, v11
	v_cmp_eq_u16_e32 vcc, 0, v6
	v_cndmask_b32_e32 v2, v2, v11, vcc
	v_cndmask_b32_e32 v6, v6, v10, vcc
	v_lshlrev_b32_e32 v10, 24, v7
	v_mov_b32_e32 v11, 0x3b800000
	v_lshlrev_b32_e32 v2, 20, v2
	v_and_b32_e32 v10, 0x80000000, v10
	v_lshl_add_u32 v6, v6, 23, v11
	v_or3_b32 v2, v10, v6, v2
.LBB53_1700:
	s_or_b64 exec, exec, s[6:7]
	s_movk_i32 s4, 0x7f
	v_cmp_gt_i16_sdwa s[6:7], v3, s4 src0_sel:BYTE_0 src1_sel:DWORD
	s_mov_b64 s[4:5], 0
                                        ; implicit-def: $sgpr10
	s_and_saveexec_b64 s[8:9], s[6:7]
	s_xor_b64 s[6:7], exec, s[8:9]
	s_cbranch_execnz .LBB53_3749
; %bb.1701:
	s_or_saveexec_b64 s[6:7], s[6:7]
	v_mov_b32_e32 v6, s10
	s_xor_b64 exec, exec, s[6:7]
	s_cbranch_execnz .LBB53_3752
.LBB53_1702:
	s_or_b64 exec, exec, s[6:7]
	s_and_saveexec_b64 s[6:7], s[4:5]
	s_cbranch_execz .LBB53_1704
.LBB53_1703:
	v_and_b32_e32 v6, 7, v3
	v_ffbh_u32_e32 v11, v6
	v_min_u32_e32 v11, 32, v11
	v_lshrrev_b16_e32 v10, 3, v3
	v_subrev_u32_e32 v12, 28, v11
	v_and_b32_e32 v10, 15, v10
	v_lshlrev_b32_e32 v12, v12, v3
	v_sub_u32_e32 v11, 29, v11
	v_and_b32_e32 v12, 7, v12
	v_cmp_eq_u16_e32 vcc, 0, v10
	v_cndmask_b32_e32 v6, v6, v12, vcc
	v_cndmask_b32_e32 v10, v10, v11, vcc
	v_lshlrev_b32_e32 v11, 24, v3
	v_mov_b32_e32 v12, 0x3b800000
	v_lshlrev_b32_e32 v6, 20, v6
	v_and_b32_e32 v11, 0x80000000, v11
	v_lshl_add_u32 v10, v10, 23, v12
	v_or3_b32 v6, v11, v10, v6
.LBB53_1704:
	s_or_b64 exec, exec, s[6:7]
	s_nop 0
	v_mfma_f32_16x16x4f32 a[0:3], v2, v6, a[0:3]
	v_lshrrev_b32_e32 v6, 8, v7
	s_movk_i32 s4, 0x7f
	v_cmp_gt_i16_sdwa s[6:7], v6, s4 src0_sel:BYTE_0 src1_sel:DWORD
	s_mov_b64 s[4:5], 0
                                        ; implicit-def: $sgpr10
	s_and_saveexec_b64 s[8:9], s[6:7]
	s_xor_b64 s[6:7], exec, s[8:9]
	s_cbranch_execnz .LBB53_3753
; %bb.1705:
	s_or_saveexec_b64 s[6:7], s[6:7]
	v_mov_b32_e32 v2, s10
	s_xor_b64 exec, exec, s[6:7]
	s_cbranch_execnz .LBB53_3756
.LBB53_1706:
	s_or_b64 exec, exec, s[6:7]
	s_and_saveexec_b64 s[6:7], s[4:5]
	s_cbranch_execz .LBB53_1708
.LBB53_1707:
	v_bfe_u32 v2, v7, 8, 3
	v_ffbh_u32_e32 v11, v2
	v_min_u32_e32 v11, 32, v11
	v_lshrrev_b16_e32 v10, 3, v6
	v_subrev_u32_e32 v12, 28, v11
	v_and_b32_e32 v10, 15, v10
	v_lshlrev_b32_e32 v6, v12, v6
	v_sub_u32_e32 v11, 29, v11
	v_and_b32_e32 v6, 7, v6
	v_cmp_eq_u16_e32 vcc, 0, v10
	v_cndmask_b32_e32 v2, v2, v6, vcc
	v_cndmask_b32_e32 v6, v10, v11, vcc
	v_lshlrev_b32_e32 v10, 16, v7
	v_mov_b32_e32 v11, 0x3b800000
	v_lshlrev_b32_e32 v2, 20, v2
	v_and_b32_e32 v10, 0x80000000, v10
	v_lshl_add_u32 v6, v6, 23, v11
	v_or3_b32 v2, v10, v6, v2
.LBB53_1708:
	s_or_b64 exec, exec, s[6:7]
	v_lshrrev_b32_e32 v6, 8, v3
	s_movk_i32 s4, 0x7f
	v_cmp_gt_i16_sdwa s[6:7], v6, s4 src0_sel:BYTE_0 src1_sel:DWORD
	s_mov_b64 s[4:5], 0
                                        ; implicit-def: $sgpr10
	s_and_saveexec_b64 s[8:9], s[6:7]
	s_xor_b64 s[6:7], exec, s[8:9]
	s_cbranch_execnz .LBB53_3757
; %bb.1709:
	s_or_saveexec_b64 s[6:7], s[6:7]
	v_mov_b32_e32 v10, s10
	s_xor_b64 exec, exec, s[6:7]
	s_cbranch_execnz .LBB53_3760
.LBB53_1710:
	s_or_b64 exec, exec, s[6:7]
	s_and_saveexec_b64 s[6:7], s[4:5]
	s_cbranch_execz .LBB53_1712
.LBB53_1711:
	v_bfe_u32 v10, v3, 8, 3
	v_ffbh_u32_e32 v12, v10
	v_min_u32_e32 v12, 32, v12
	v_lshrrev_b16_e32 v11, 3, v6
	v_subrev_u32_e32 v13, 28, v12
	v_and_b32_e32 v11, 15, v11
	v_lshlrev_b32_e32 v6, v13, v6
	v_sub_u32_e32 v12, 29, v12
	v_and_b32_e32 v6, 7, v6
	v_cmp_eq_u16_e32 vcc, 0, v11
	v_cndmask_b32_e32 v6, v10, v6, vcc
	v_cndmask_b32_e32 v10, v11, v12, vcc
	v_lshlrev_b32_e32 v11, 16, v3
	v_mov_b32_e32 v12, 0x3b800000
	v_lshlrev_b32_e32 v6, 20, v6
	v_and_b32_e32 v11, 0x80000000, v11
	v_lshl_add_u32 v10, v10, 23, v12
	v_or3_b32 v10, v11, v10, v6
.LBB53_1712:
	s_or_b64 exec, exec, s[6:7]
	s_nop 0
	v_mfma_f32_16x16x4f32 a[0:3], v2, v10, a[0:3]
	s_movk_i32 s4, 0xff
	v_and_b32_sdwa v6, v7, s4 dst_sel:DWORD dst_unused:UNUSED_PAD src0_sel:WORD_1 src1_sel:DWORD
	s_movk_i32 s4, 0x7f
	v_cmp_lt_i16_e32 vcc, s4, v6
	s_mov_b64 s[4:5], 0
                                        ; implicit-def: $sgpr10
	s_and_saveexec_b64 s[6:7], vcc
	s_xor_b64 s[6:7], exec, s[6:7]
	s_cbranch_execnz .LBB53_3761
; %bb.1713:
	s_or_saveexec_b64 s[6:7], s[6:7]
	v_mov_b32_e32 v2, s10
	s_xor_b64 exec, exec, s[6:7]
	s_cbranch_execnz .LBB53_3764
.LBB53_1714:
	s_or_b64 exec, exec, s[6:7]
	s_and_saveexec_b64 s[6:7], s[4:5]
	s_cbranch_execz .LBB53_1716
.LBB53_1715:
	v_bfe_u32 v2, v7, 16, 3
	v_ffbh_u32_e32 v11, v2
	v_min_u32_e32 v11, 32, v11
	v_lshrrev_b32_e32 v6, 19, v7
	v_subrev_u32_e32 v12, 28, v11
	v_and_b32_e32 v6, 15, v6
	v_lshlrev_b32_sdwa v12, v12, v7 dst_sel:DWORD dst_unused:UNUSED_PAD src0_sel:DWORD src1_sel:WORD_1
	v_bfe_u32 v10, v7, 19, 4
	v_sub_u32_e32 v11, 29, v11
	v_and_b32_e32 v12, 7, v12
	v_cmp_eq_u16_e32 vcc, 0, v6
	v_cndmask_b32_e32 v2, v2, v12, vcc
	v_cndmask_b32_e32 v6, v10, v11, vcc
	v_lshlrev_b32_e32 v10, 8, v7
	v_mov_b32_e32 v11, 0x3b800000
	v_lshlrev_b32_e32 v2, 20, v2
	v_and_b32_e32 v10, 0x80000000, v10
	v_lshl_add_u32 v6, v6, 23, v11
	v_or3_b32 v2, v10, v6, v2
.LBB53_1716:
	s_or_b64 exec, exec, s[6:7]
	s_movk_i32 s4, 0xff
	v_and_b32_sdwa v6, v3, s4 dst_sel:DWORD dst_unused:UNUSED_PAD src0_sel:WORD_1 src1_sel:DWORD
	s_movk_i32 s4, 0x7f
	v_cmp_lt_i16_e32 vcc, s4, v6
	s_mov_b64 s[4:5], 0
                                        ; implicit-def: $sgpr10
	s_and_saveexec_b64 s[6:7], vcc
	s_xor_b64 s[6:7], exec, s[6:7]
	s_cbranch_execnz .LBB53_3765
; %bb.1717:
	s_or_saveexec_b64 s[6:7], s[6:7]
	v_mov_b32_e32 v10, s10
	s_xor_b64 exec, exec, s[6:7]
	s_cbranch_execnz .LBB53_3768
.LBB53_1718:
	s_or_b64 exec, exec, s[6:7]
	s_and_saveexec_b64 s[6:7], s[4:5]
	s_cbranch_execz .LBB53_1720
.LBB53_1719:
	v_bfe_u32 v6, v3, 16, 3
	v_ffbh_u32_e32 v12, v6
	v_min_u32_e32 v12, 32, v12
	v_lshrrev_b32_e32 v10, 19, v3
	v_subrev_u32_e32 v13, 28, v12
	v_and_b32_e32 v10, 15, v10
	v_lshlrev_b32_sdwa v13, v13, v3 dst_sel:DWORD dst_unused:UNUSED_PAD src0_sel:DWORD src1_sel:WORD_1
	v_bfe_u32 v11, v3, 19, 4
	v_sub_u32_e32 v12, 29, v12
	v_and_b32_e32 v13, 7, v13
	v_cmp_eq_u16_e32 vcc, 0, v10
	v_cndmask_b32_e32 v6, v6, v13, vcc
	v_cndmask_b32_e32 v10, v11, v12, vcc
	v_lshlrev_b32_e32 v11, 8, v3
	v_mov_b32_e32 v12, 0x3b800000
	v_lshlrev_b32_e32 v6, 20, v6
	v_and_b32_e32 v11, 0x80000000, v11
	v_lshl_add_u32 v10, v10, 23, v12
	v_or3_b32 v10, v11, v10, v6
.LBB53_1720:
	s_or_b64 exec, exec, s[6:7]
	s_nop 0
	v_mfma_f32_16x16x4f32 a[0:3], v2, v10, a[0:3]
	s_movk_i32 s4, 0x7f
	v_cmp_gt_i16_sdwa s[6:7], v7, s4 src0_sel:BYTE_3 src1_sel:DWORD
	s_mov_b64 s[4:5], 0
                                        ; implicit-def: $sgpr10
	s_and_saveexec_b64 s[8:9], s[6:7]
	s_xor_b64 s[6:7], exec, s[8:9]
	s_cbranch_execnz .LBB53_3769
; %bb.1721:
	s_or_saveexec_b64 s[6:7], s[6:7]
	v_mov_b32_e32 v2, s10
	s_xor_b64 exec, exec, s[6:7]
	s_cbranch_execnz .LBB53_3772
.LBB53_1722:
	s_or_b64 exec, exec, s[6:7]
	s_and_saveexec_b64 s[6:7], s[4:5]
	s_cbranch_execz .LBB53_1724
.LBB53_1723:
	v_bfe_u32 v2, v7, 24, 3
	v_ffbh_u32_e32 v12, v2
	v_min_u32_e32 v12, 32, v12
	v_lshrrev_b32_e32 v10, 27, v7
	v_subrev_u32_e32 v13, 28, v12
	v_and_b32_e32 v6, 0x80000000, v7
	v_and_b32_e32 v10, 15, v10
	v_bfe_u32 v11, v7, 27, 4
	v_lshlrev_b32_sdwa v7, v13, v7 dst_sel:DWORD dst_unused:UNUSED_PAD src0_sel:DWORD src1_sel:BYTE_3
	v_sub_u32_e32 v12, 29, v12
	v_and_b32_e32 v7, 7, v7
	v_cmp_eq_u16_e32 vcc, 0, v10
	v_cndmask_b32_e32 v2, v2, v7, vcc
	v_cndmask_b32_e32 v7, v11, v12, vcc
	v_mov_b32_e32 v10, 0x3b800000
	v_lshlrev_b32_e32 v2, 20, v2
	v_lshl_add_u32 v7, v7, 23, v10
	v_or3_b32 v2, v6, v7, v2
.LBB53_1724:
	s_or_b64 exec, exec, s[6:7]
	s_movk_i32 s4, 0x7f
	v_cmp_gt_i16_sdwa s[6:7], v3, s4 src0_sel:BYTE_3 src1_sel:DWORD
	s_mov_b64 s[4:5], 0
                                        ; implicit-def: $sgpr10
	s_and_saveexec_b64 s[8:9], s[6:7]
	s_xor_b64 s[6:7], exec, s[8:9]
	s_cbranch_execnz .LBB53_3773
; %bb.1725:
	s_or_saveexec_b64 s[6:7], s[6:7]
	v_mov_b32_e32 v6, s10
	s_xor_b64 exec, exec, s[6:7]
	s_cbranch_execnz .LBB53_3776
.LBB53_1726:
	s_or_b64 exec, exec, s[6:7]
	s_and_saveexec_b64 s[6:7], s[4:5]
	s_cbranch_execz .LBB53_1728
.LBB53_1727:
	v_bfe_u32 v6, v3, 24, 3
	v_ffbh_u32_e32 v12, v6
	v_min_u32_e32 v12, 32, v12
	v_lshrrev_b32_e32 v10, 27, v3
	v_subrev_u32_e32 v13, 28, v12
	v_and_b32_e32 v7, 0x80000000, v3
	v_and_b32_e32 v10, 15, v10
	v_bfe_u32 v11, v3, 27, 4
	v_lshlrev_b32_sdwa v3, v13, v3 dst_sel:DWORD dst_unused:UNUSED_PAD src0_sel:DWORD src1_sel:BYTE_3
	v_sub_u32_e32 v12, 29, v12
	v_and_b32_e32 v3, 7, v3
	v_cmp_eq_u16_e32 vcc, 0, v10
	v_cndmask_b32_e32 v3, v6, v3, vcc
	v_cndmask_b32_e32 v6, v11, v12, vcc
	v_mov_b32_e32 v10, 0x3b800000
	v_lshlrev_b32_e32 v3, 20, v3
	v_lshl_add_u32 v6, v6, 23, v10
	v_or3_b32 v6, v7, v6, v3
.LBB53_1728:
	s_or_b64 exec, exec, s[6:7]
	s_nop 0
	v_mfma_f32_16x16x4f32 a[0:3], v2, v6, a[0:3]
	s_movk_i32 s4, 0x7f
	v_cmp_gt_i16_sdwa s[6:7], v8, s4 src0_sel:BYTE_0 src1_sel:DWORD
	s_mov_b64 s[4:5], 0
                                        ; implicit-def: $sgpr10
	s_and_saveexec_b64 s[8:9], s[6:7]
	s_xor_b64 s[6:7], exec, s[8:9]
	s_cbranch_execnz .LBB53_3777
; %bb.1729:
	s_or_saveexec_b64 s[6:7], s[6:7]
	v_mov_b32_e32 v2, s10
	s_xor_b64 exec, exec, s[6:7]
	s_cbranch_execnz .LBB53_3780
.LBB53_1730:
	s_or_b64 exec, exec, s[6:7]
	s_and_saveexec_b64 s[6:7], s[4:5]
	s_cbranch_execz .LBB53_1732
.LBB53_1731:
	v_and_b32_e32 v2, 7, v8
	v_ffbh_u32_e32 v6, v2
	v_min_u32_e32 v6, 32, v6
	v_lshrrev_b16_e32 v3, 3, v8
	v_subrev_u32_e32 v7, 28, v6
	v_and_b32_e32 v3, 15, v3
	v_lshlrev_b32_e32 v7, v7, v8
	v_sub_u32_e32 v6, 29, v6
	v_and_b32_e32 v7, 7, v7
	v_cmp_eq_u16_e32 vcc, 0, v3
	v_cndmask_b32_e32 v2, v2, v7, vcc
	v_cndmask_b32_e32 v3, v3, v6, vcc
	v_lshlrev_b32_e32 v6, 24, v8
	v_mov_b32_e32 v7, 0x3b800000
	v_lshlrev_b32_e32 v2, 20, v2
	v_and_b32_e32 v6, 0x80000000, v6
	v_lshl_add_u32 v3, v3, 23, v7
	v_or3_b32 v2, v6, v3, v2
.LBB53_1732:
	s_or_b64 exec, exec, s[6:7]
	s_movk_i32 s4, 0x7f
	v_cmp_gt_i16_sdwa s[6:7], v4, s4 src0_sel:BYTE_0 src1_sel:DWORD
	s_mov_b64 s[4:5], 0
                                        ; implicit-def: $sgpr10
	s_and_saveexec_b64 s[8:9], s[6:7]
	s_xor_b64 s[6:7], exec, s[8:9]
	s_cbranch_execnz .LBB53_3781
; %bb.1733:
	s_or_saveexec_b64 s[6:7], s[6:7]
	v_mov_b32_e32 v3, s10
	s_xor_b64 exec, exec, s[6:7]
	s_cbranch_execnz .LBB53_3784
.LBB53_1734:
	s_or_b64 exec, exec, s[6:7]
	s_and_saveexec_b64 s[6:7], s[4:5]
	s_cbranch_execz .LBB53_1736
.LBB53_1735:
	v_and_b32_e32 v3, 7, v4
	v_ffbh_u32_e32 v7, v3
	v_min_u32_e32 v7, 32, v7
	v_lshrrev_b16_e32 v6, 3, v4
	v_subrev_u32_e32 v10, 28, v7
	v_and_b32_e32 v6, 15, v6
	v_lshlrev_b32_e32 v10, v10, v4
	v_sub_u32_e32 v7, 29, v7
	v_and_b32_e32 v10, 7, v10
	v_cmp_eq_u16_e32 vcc, 0, v6
	v_cndmask_b32_e32 v3, v3, v10, vcc
	v_cndmask_b32_e32 v6, v6, v7, vcc
	v_lshlrev_b32_e32 v7, 24, v4
	v_mov_b32_e32 v10, 0x3b800000
	v_lshlrev_b32_e32 v3, 20, v3
	v_and_b32_e32 v7, 0x80000000, v7
	v_lshl_add_u32 v6, v6, 23, v10
	v_or3_b32 v3, v7, v6, v3
.LBB53_1736:
	s_or_b64 exec, exec, s[6:7]
	s_nop 0
	v_mfma_f32_16x16x4f32 a[0:3], v2, v3, a[0:3]
	v_lshrrev_b32_e32 v3, 8, v8
	s_movk_i32 s4, 0x7f
	v_cmp_gt_i16_sdwa s[6:7], v3, s4 src0_sel:BYTE_0 src1_sel:DWORD
	s_mov_b64 s[4:5], 0
                                        ; implicit-def: $sgpr10
	s_and_saveexec_b64 s[8:9], s[6:7]
	s_xor_b64 s[6:7], exec, s[8:9]
	s_cbranch_execnz .LBB53_3785
; %bb.1737:
	s_or_saveexec_b64 s[6:7], s[6:7]
	v_mov_b32_e32 v2, s10
	s_xor_b64 exec, exec, s[6:7]
	s_cbranch_execnz .LBB53_3788
.LBB53_1738:
	s_or_b64 exec, exec, s[6:7]
	s_and_saveexec_b64 s[6:7], s[4:5]
	s_cbranch_execz .LBB53_1740
.LBB53_1739:
	v_bfe_u32 v2, v8, 8, 3
	v_ffbh_u32_e32 v7, v2
	v_min_u32_e32 v7, 32, v7
	v_lshrrev_b16_e32 v6, 3, v3
	v_subrev_u32_e32 v10, 28, v7
	v_and_b32_e32 v6, 15, v6
	v_lshlrev_b32_e32 v3, v10, v3
	v_sub_u32_e32 v7, 29, v7
	v_and_b32_e32 v3, 7, v3
	v_cmp_eq_u16_e32 vcc, 0, v6
	v_cndmask_b32_e32 v2, v2, v3, vcc
	v_cndmask_b32_e32 v3, v6, v7, vcc
	v_lshlrev_b32_e32 v6, 16, v8
	v_mov_b32_e32 v7, 0x3b800000
	v_lshlrev_b32_e32 v2, 20, v2
	v_and_b32_e32 v6, 0x80000000, v6
	v_lshl_add_u32 v3, v3, 23, v7
	v_or3_b32 v2, v6, v3, v2
.LBB53_1740:
	s_or_b64 exec, exec, s[6:7]
	v_lshrrev_b32_e32 v3, 8, v4
	s_movk_i32 s4, 0x7f
	v_cmp_gt_i16_sdwa s[6:7], v3, s4 src0_sel:BYTE_0 src1_sel:DWORD
	s_mov_b64 s[4:5], 0
                                        ; implicit-def: $sgpr10
	s_and_saveexec_b64 s[8:9], s[6:7]
	s_xor_b64 s[6:7], exec, s[8:9]
	s_cbranch_execnz .LBB53_3789
; %bb.1741:
	s_or_saveexec_b64 s[6:7], s[6:7]
	v_mov_b32_e32 v6, s10
	s_xor_b64 exec, exec, s[6:7]
	s_cbranch_execnz .LBB53_3792
.LBB53_1742:
	s_or_b64 exec, exec, s[6:7]
	s_and_saveexec_b64 s[6:7], s[4:5]
	s_cbranch_execz .LBB53_1744
.LBB53_1743:
	v_bfe_u32 v6, v4, 8, 3
	v_ffbh_u32_e32 v10, v6
	v_min_u32_e32 v10, 32, v10
	v_lshrrev_b16_e32 v7, 3, v3
	v_subrev_u32_e32 v11, 28, v10
	v_and_b32_e32 v7, 15, v7
	v_lshlrev_b32_e32 v3, v11, v3
	v_sub_u32_e32 v10, 29, v10
	v_and_b32_e32 v3, 7, v3
	v_cmp_eq_u16_e32 vcc, 0, v7
	v_cndmask_b32_e32 v3, v6, v3, vcc
	v_cndmask_b32_e32 v6, v7, v10, vcc
	v_lshlrev_b32_e32 v7, 16, v4
	v_mov_b32_e32 v10, 0x3b800000
	v_lshlrev_b32_e32 v3, 20, v3
	v_and_b32_e32 v7, 0x80000000, v7
	v_lshl_add_u32 v6, v6, 23, v10
	v_or3_b32 v6, v7, v6, v3
.LBB53_1744:
	s_or_b64 exec, exec, s[6:7]
	s_nop 0
	v_mfma_f32_16x16x4f32 a[0:3], v2, v6, a[0:3]
	s_movk_i32 s4, 0xff
	v_and_b32_sdwa v3, v8, s4 dst_sel:DWORD dst_unused:UNUSED_PAD src0_sel:WORD_1 src1_sel:DWORD
	s_movk_i32 s4, 0x7f
	v_cmp_lt_i16_e32 vcc, s4, v3
	s_mov_b64 s[4:5], 0
                                        ; implicit-def: $sgpr10
	s_and_saveexec_b64 s[6:7], vcc
	s_xor_b64 s[6:7], exec, s[6:7]
	s_cbranch_execnz .LBB53_3793
; %bb.1745:
	s_or_saveexec_b64 s[6:7], s[6:7]
	v_mov_b32_e32 v2, s10
	s_xor_b64 exec, exec, s[6:7]
	s_cbranch_execnz .LBB53_3796
.LBB53_1746:
	s_or_b64 exec, exec, s[6:7]
	s_and_saveexec_b64 s[6:7], s[4:5]
	s_cbranch_execz .LBB53_1748
.LBB53_1747:
	v_bfe_u32 v2, v8, 16, 3
	v_ffbh_u32_e32 v7, v2
	v_min_u32_e32 v7, 32, v7
	v_lshrrev_b32_e32 v3, 19, v8
	v_subrev_u32_e32 v10, 28, v7
	v_and_b32_e32 v3, 15, v3
	v_lshlrev_b32_sdwa v10, v10, v8 dst_sel:DWORD dst_unused:UNUSED_PAD src0_sel:DWORD src1_sel:WORD_1
	v_bfe_u32 v6, v8, 19, 4
	v_sub_u32_e32 v7, 29, v7
	v_and_b32_e32 v10, 7, v10
	v_cmp_eq_u16_e32 vcc, 0, v3
	v_cndmask_b32_e32 v2, v2, v10, vcc
	v_cndmask_b32_e32 v3, v6, v7, vcc
	v_lshlrev_b32_e32 v6, 8, v8
	v_mov_b32_e32 v7, 0x3b800000
	v_lshlrev_b32_e32 v2, 20, v2
	v_and_b32_e32 v6, 0x80000000, v6
	v_lshl_add_u32 v3, v3, 23, v7
	v_or3_b32 v2, v6, v3, v2
.LBB53_1748:
	s_or_b64 exec, exec, s[6:7]
	s_movk_i32 s4, 0xff
	v_and_b32_sdwa v3, v4, s4 dst_sel:DWORD dst_unused:UNUSED_PAD src0_sel:WORD_1 src1_sel:DWORD
	s_movk_i32 s4, 0x7f
	v_cmp_lt_i16_e32 vcc, s4, v3
	s_mov_b64 s[4:5], 0
                                        ; implicit-def: $sgpr10
	s_and_saveexec_b64 s[6:7], vcc
	s_xor_b64 s[6:7], exec, s[6:7]
	s_cbranch_execnz .LBB53_3797
; %bb.1749:
	s_or_saveexec_b64 s[6:7], s[6:7]
	v_mov_b32_e32 v6, s10
	s_xor_b64 exec, exec, s[6:7]
	s_cbranch_execnz .LBB53_3800
.LBB53_1750:
	s_or_b64 exec, exec, s[6:7]
	s_and_saveexec_b64 s[6:7], s[4:5]
	s_cbranch_execz .LBB53_1752
.LBB53_1751:
	v_bfe_u32 v3, v4, 16, 3
	v_ffbh_u32_e32 v10, v3
	v_min_u32_e32 v10, 32, v10
	v_lshrrev_b32_e32 v6, 19, v4
	v_subrev_u32_e32 v11, 28, v10
	v_and_b32_e32 v6, 15, v6
	v_lshlrev_b32_sdwa v11, v11, v4 dst_sel:DWORD dst_unused:UNUSED_PAD src0_sel:DWORD src1_sel:WORD_1
	v_bfe_u32 v7, v4, 19, 4
	v_sub_u32_e32 v10, 29, v10
	v_and_b32_e32 v11, 7, v11
	v_cmp_eq_u16_e32 vcc, 0, v6
	v_cndmask_b32_e32 v3, v3, v11, vcc
	v_cndmask_b32_e32 v6, v7, v10, vcc
	v_lshlrev_b32_e32 v7, 8, v4
	v_mov_b32_e32 v10, 0x3b800000
	v_lshlrev_b32_e32 v3, 20, v3
	v_and_b32_e32 v7, 0x80000000, v7
	v_lshl_add_u32 v6, v6, 23, v10
	v_or3_b32 v6, v7, v6, v3
.LBB53_1752:
	s_or_b64 exec, exec, s[6:7]
	s_nop 0
	v_mfma_f32_16x16x4f32 a[0:3], v2, v6, a[0:3]
	s_movk_i32 s4, 0x7f
	v_cmp_gt_i16_sdwa s[6:7], v8, s4 src0_sel:BYTE_3 src1_sel:DWORD
	s_mov_b64 s[4:5], 0
                                        ; implicit-def: $sgpr10
	s_and_saveexec_b64 s[8:9], s[6:7]
	s_xor_b64 s[6:7], exec, s[8:9]
	s_cbranch_execnz .LBB53_3801
; %bb.1753:
	s_or_saveexec_b64 s[6:7], s[6:7]
	v_mov_b32_e32 v2, s10
	s_xor_b64 exec, exec, s[6:7]
	s_cbranch_execnz .LBB53_3804
.LBB53_1754:
	s_or_b64 exec, exec, s[6:7]
	s_and_saveexec_b64 s[6:7], s[4:5]
	s_cbranch_execz .LBB53_1756
.LBB53_1755:
	v_bfe_u32 v2, v8, 24, 3
	v_ffbh_u32_e32 v10, v2
	v_min_u32_e32 v10, 32, v10
	v_lshrrev_b32_e32 v6, 27, v8
	v_subrev_u32_e32 v11, 28, v10
	v_and_b32_e32 v3, 0x80000000, v8
	v_and_b32_e32 v6, 15, v6
	v_bfe_u32 v7, v8, 27, 4
	v_lshlrev_b32_sdwa v8, v11, v8 dst_sel:DWORD dst_unused:UNUSED_PAD src0_sel:DWORD src1_sel:BYTE_3
	v_sub_u32_e32 v10, 29, v10
	v_and_b32_e32 v8, 7, v8
	v_cmp_eq_u16_e32 vcc, 0, v6
	v_cndmask_b32_e32 v2, v2, v8, vcc
	v_cndmask_b32_e32 v6, v7, v10, vcc
	v_mov_b32_e32 v7, 0x3b800000
	v_lshlrev_b32_e32 v2, 20, v2
	v_lshl_add_u32 v6, v6, 23, v7
	v_or3_b32 v2, v3, v6, v2
.LBB53_1756:
	s_or_b64 exec, exec, s[6:7]
	s_movk_i32 s4, 0x7f
	v_cmp_gt_i16_sdwa s[6:7], v4, s4 src0_sel:BYTE_3 src1_sel:DWORD
	s_mov_b64 s[4:5], 0
                                        ; implicit-def: $sgpr10
	s_and_saveexec_b64 s[8:9], s[6:7]
	s_xor_b64 s[6:7], exec, s[8:9]
	s_cbranch_execnz .LBB53_3805
; %bb.1757:
	s_or_saveexec_b64 s[6:7], s[6:7]
	v_mov_b32_e32 v3, s10
	s_xor_b64 exec, exec, s[6:7]
	s_cbranch_execnz .LBB53_3808
.LBB53_1758:
	s_or_b64 exec, exec, s[6:7]
	s_and_saveexec_b64 s[6:7], s[4:5]
	s_cbranch_execz .LBB53_1760
.LBB53_1759:
	v_bfe_u32 v3, v4, 24, 3
	v_ffbh_u32_e32 v10, v3
	v_min_u32_e32 v10, 32, v10
	v_lshrrev_b32_e32 v7, 27, v4
	v_subrev_u32_e32 v11, 28, v10
	v_and_b32_e32 v6, 0x80000000, v4
	v_and_b32_e32 v7, 15, v7
	v_bfe_u32 v8, v4, 27, 4
	v_lshlrev_b32_sdwa v4, v11, v4 dst_sel:DWORD dst_unused:UNUSED_PAD src0_sel:DWORD src1_sel:BYTE_3
	v_sub_u32_e32 v10, 29, v10
	v_and_b32_e32 v4, 7, v4
	v_cmp_eq_u16_e32 vcc, 0, v7
	v_cndmask_b32_e32 v3, v3, v4, vcc
	v_cndmask_b32_e32 v4, v8, v10, vcc
	v_mov_b32_e32 v7, 0x3b800000
	v_lshlrev_b32_e32 v3, 20, v3
	v_lshl_add_u32 v4, v4, 23, v7
	v_or3_b32 v3, v6, v4, v3
.LBB53_1760:
	s_or_b64 exec, exec, s[6:7]
	s_nop 0
	v_mfma_f32_16x16x4f32 a[0:3], v2, v3, a[0:3]
	s_movk_i32 s4, 0x7f
	v_cmp_gt_i16_sdwa s[6:7], v9, s4 src0_sel:BYTE_0 src1_sel:DWORD
	s_mov_b64 s[4:5], 0
                                        ; implicit-def: $sgpr10
	s_and_saveexec_b64 s[8:9], s[6:7]
	s_xor_b64 s[6:7], exec, s[8:9]
	s_cbranch_execnz .LBB53_3809
; %bb.1761:
	s_or_saveexec_b64 s[6:7], s[6:7]
	v_mov_b32_e32 v2, s10
	s_xor_b64 exec, exec, s[6:7]
	s_cbranch_execnz .LBB53_3812
.LBB53_1762:
	s_or_b64 exec, exec, s[6:7]
	s_and_saveexec_b64 s[6:7], s[4:5]
	s_cbranch_execz .LBB53_1764
.LBB53_1763:
	v_mov_b32_e32 v2, 8
	v_and_b32_e32 v3, 7, v9
	v_lshrrev_b32_sdwa v2, v2, v9 dst_sel:BYTE_1 dst_unused:UNUSED_PAD src0_sel:DWORD src1_sel:DWORD
	v_ffbh_u32_e32 v4, v3
	v_or_b32_sdwa v2, v9, v2 dst_sel:DWORD dst_unused:UNUSED_PAD src0_sel:BYTE_0 src1_sel:DWORD
	v_min_u32_e32 v4, 32, v4
	v_lshrrev_b16_e32 v2, 3, v2
	v_subrev_u32_e32 v6, 28, v4
	v_and_b32_e32 v2, 15, v2
	v_lshlrev_b32_e32 v6, v6, v9
	v_sub_u32_e32 v4, 29, v4
	v_and_b32_e32 v6, 7, v6
	v_cmp_eq_u16_e32 vcc, 0, v2
	v_cndmask_b32_e32 v3, v3, v6, vcc
	v_cndmask_b32_e32 v2, v2, v4, vcc
	v_lshlrev_b32_e32 v4, 24, v9
	v_mov_b32_e32 v6, 0x3b800000
	v_lshlrev_b32_e32 v3, 20, v3
	v_and_b32_e32 v4, 0x80000000, v4
	v_lshl_add_u32 v2, v2, 23, v6
	v_or3_b32 v2, v4, v2, v3
.LBB53_1764:
	s_or_b64 exec, exec, s[6:7]
	s_movk_i32 s4, 0x7f
	v_cmp_gt_i16_sdwa s[6:7], v5, s4 src0_sel:BYTE_0 src1_sel:DWORD
	s_mov_b64 s[4:5], 0
                                        ; implicit-def: $sgpr10
	s_and_saveexec_b64 s[8:9], s[6:7]
	s_xor_b64 s[6:7], exec, s[8:9]
	s_cbranch_execnz .LBB53_3813
; %bb.1765:
	s_or_saveexec_b64 s[6:7], s[6:7]
	v_mov_b32_e32 v3, s10
	s_xor_b64 exec, exec, s[6:7]
	s_cbranch_execnz .LBB53_3816
.LBB53_1766:
	s_or_b64 exec, exec, s[6:7]
	s_and_saveexec_b64 s[6:7], s[4:5]
	s_cbranch_execz .LBB53_1768
.LBB53_1767:
	v_mov_b32_e32 v3, 8
	v_and_b32_e32 v4, 7, v5
	v_lshrrev_b32_sdwa v3, v3, v5 dst_sel:BYTE_1 dst_unused:UNUSED_PAD src0_sel:DWORD src1_sel:DWORD
	v_ffbh_u32_e32 v6, v4
	v_or_b32_sdwa v3, v5, v3 dst_sel:DWORD dst_unused:UNUSED_PAD src0_sel:BYTE_0 src1_sel:DWORD
	v_min_u32_e32 v6, 32, v6
	v_lshrrev_b16_e32 v3, 3, v3
	v_subrev_u32_e32 v7, 28, v6
	v_and_b32_e32 v3, 15, v3
	v_lshlrev_b32_e32 v7, v7, v5
	v_sub_u32_e32 v6, 29, v6
	v_and_b32_e32 v7, 7, v7
	v_cmp_eq_u16_e32 vcc, 0, v3
	v_cndmask_b32_e32 v4, v4, v7, vcc
	v_cndmask_b32_e32 v3, v3, v6, vcc
	v_lshlrev_b32_e32 v6, 24, v5
	v_mov_b32_e32 v7, 0x3b800000
	v_lshlrev_b32_e32 v4, 20, v4
	v_and_b32_e32 v6, 0x80000000, v6
	v_lshl_add_u32 v3, v3, 23, v7
	v_or3_b32 v3, v6, v3, v4
.LBB53_1768:
	s_or_b64 exec, exec, s[6:7]
	s_nop 0
	v_mfma_f32_16x16x4f32 a[0:3], v2, v3, a[0:3]
	v_lshrrev_b32_e32 v3, 8, v9
	s_movk_i32 s4, 0x7f
	v_cmp_gt_i16_sdwa s[6:7], v3, s4 src0_sel:BYTE_0 src1_sel:DWORD
	s_mov_b64 s[4:5], 0
                                        ; implicit-def: $sgpr10
	s_and_saveexec_b64 s[8:9], s[6:7]
	s_xor_b64 s[6:7], exec, s[8:9]
	s_cbranch_execnz .LBB53_3817
; %bb.1769:
	s_or_saveexec_b64 s[6:7], s[6:7]
	v_mov_b32_e32 v2, s10
	s_xor_b64 exec, exec, s[6:7]
	s_cbranch_execnz .LBB53_3820
.LBB53_1770:
	s_or_b64 exec, exec, s[6:7]
	s_and_saveexec_b64 s[6:7], s[4:5]
	s_cbranch_execz .LBB53_1772
.LBB53_1771:
	v_bfe_u32 v2, v9, 8, 3
	v_ffbh_u32_e32 v6, v2
	v_min_u32_e32 v6, 32, v6
	v_lshrrev_b16_e32 v4, 3, v3
	v_subrev_u32_e32 v7, 28, v6
	v_and_b32_e32 v4, 15, v4
	v_lshlrev_b32_e32 v3, v7, v3
	v_sub_u32_e32 v6, 29, v6
	v_and_b32_e32 v3, 7, v3
	v_cmp_eq_u16_e32 vcc, 0, v4
	v_cndmask_b32_e32 v2, v2, v3, vcc
	v_cndmask_b32_e32 v3, v4, v6, vcc
	v_lshlrev_b32_e32 v4, 16, v9
	v_mov_b32_e32 v6, 0x3b800000
	v_lshlrev_b32_e32 v2, 20, v2
	v_and_b32_e32 v4, 0x80000000, v4
	v_lshl_add_u32 v3, v3, 23, v6
	v_or3_b32 v2, v4, v3, v2
.LBB53_1772:
	s_or_b64 exec, exec, s[6:7]
	v_lshrrev_b32_e32 v3, 8, v5
	s_movk_i32 s4, 0x7f
	v_cmp_gt_i16_sdwa s[6:7], v3, s4 src0_sel:BYTE_0 src1_sel:DWORD
	s_mov_b64 s[4:5], 0
                                        ; implicit-def: $sgpr10
	s_and_saveexec_b64 s[8:9], s[6:7]
	s_xor_b64 s[6:7], exec, s[8:9]
	s_cbranch_execnz .LBB53_3821
; %bb.1773:
	s_or_saveexec_b64 s[6:7], s[6:7]
	v_mov_b32_e32 v4, s10
	s_xor_b64 exec, exec, s[6:7]
	s_cbranch_execnz .LBB53_3824
.LBB53_1774:
	s_or_b64 exec, exec, s[6:7]
	s_and_saveexec_b64 s[6:7], s[4:5]
	s_cbranch_execz .LBB53_1776
.LBB53_1775:
	v_bfe_u32 v4, v5, 8, 3
	v_ffbh_u32_e32 v7, v4
	v_min_u32_e32 v7, 32, v7
	v_lshrrev_b16_e32 v6, 3, v3
	v_subrev_u32_e32 v8, 28, v7
	v_and_b32_e32 v6, 15, v6
	v_lshlrev_b32_e32 v3, v8, v3
	v_sub_u32_e32 v7, 29, v7
	v_and_b32_e32 v3, 7, v3
	v_cmp_eq_u16_e32 vcc, 0, v6
	v_cndmask_b32_e32 v3, v4, v3, vcc
	v_cndmask_b32_e32 v4, v6, v7, vcc
	v_lshlrev_b32_e32 v6, 16, v5
	v_mov_b32_e32 v7, 0x3b800000
	v_lshlrev_b32_e32 v3, 20, v3
	v_and_b32_e32 v6, 0x80000000, v6
	v_lshl_add_u32 v4, v4, 23, v7
	v_or3_b32 v4, v6, v4, v3
.LBB53_1776:
	s_or_b64 exec, exec, s[6:7]
	s_nop 0
	v_mfma_f32_16x16x4f32 a[0:3], v2, v4, a[0:3]
	s_movk_i32 s4, 0xff
	v_and_b32_sdwa v3, v9, s4 dst_sel:DWORD dst_unused:UNUSED_PAD src0_sel:WORD_1 src1_sel:DWORD
	s_movk_i32 s4, 0x7f
	v_cmp_lt_i16_e32 vcc, s4, v3
	s_mov_b64 s[4:5], 0
                                        ; implicit-def: $sgpr10
	s_and_saveexec_b64 s[6:7], vcc
	s_xor_b64 s[6:7], exec, s[6:7]
	s_cbranch_execnz .LBB53_3825
; %bb.1777:
	s_or_saveexec_b64 s[6:7], s[6:7]
	v_mov_b32_e32 v2, s10
	s_xor_b64 exec, exec, s[6:7]
	s_cbranch_execnz .LBB53_3828
.LBB53_1778:
	s_or_b64 exec, exec, s[6:7]
	s_and_saveexec_b64 s[6:7], s[4:5]
	s_cbranch_execz .LBB53_1780
.LBB53_1779:
	v_bfe_u32 v2, v9, 16, 3
	v_ffbh_u32_e32 v6, v2
	v_min_u32_e32 v6, 32, v6
	v_lshrrev_b32_e32 v3, 19, v9
	v_subrev_u32_e32 v7, 28, v6
	v_and_b32_e32 v3, 15, v3
	v_lshlrev_b32_sdwa v7, v7, v9 dst_sel:DWORD dst_unused:UNUSED_PAD src0_sel:DWORD src1_sel:WORD_1
	v_bfe_u32 v4, v9, 19, 4
	v_sub_u32_e32 v6, 29, v6
	v_and_b32_e32 v7, 7, v7
	v_cmp_eq_u16_e32 vcc, 0, v3
	v_cndmask_b32_e32 v2, v2, v7, vcc
	v_cndmask_b32_e32 v3, v4, v6, vcc
	v_lshlrev_b32_e32 v4, 8, v9
	v_mov_b32_e32 v6, 0x3b800000
	v_lshlrev_b32_e32 v2, 20, v2
	v_and_b32_e32 v4, 0x80000000, v4
	v_lshl_add_u32 v3, v3, 23, v6
	v_or3_b32 v2, v4, v3, v2
.LBB53_1780:
	s_or_b64 exec, exec, s[6:7]
	s_movk_i32 s4, 0xff
	v_and_b32_sdwa v3, v5, s4 dst_sel:DWORD dst_unused:UNUSED_PAD src0_sel:WORD_1 src1_sel:DWORD
	s_movk_i32 s4, 0x7f
	v_cmp_lt_i16_e32 vcc, s4, v3
	s_mov_b64 s[4:5], 0
                                        ; implicit-def: $sgpr10
	s_and_saveexec_b64 s[6:7], vcc
	s_xor_b64 s[6:7], exec, s[6:7]
	s_cbranch_execnz .LBB53_3829
; %bb.1781:
	s_or_saveexec_b64 s[6:7], s[6:7]
	v_mov_b32_e32 v4, s10
	s_xor_b64 exec, exec, s[6:7]
	s_cbranch_execnz .LBB53_3832
.LBB53_1782:
	s_or_b64 exec, exec, s[6:7]
	s_and_saveexec_b64 s[6:7], s[4:5]
	s_cbranch_execz .LBB53_1784
.LBB53_1783:
	v_bfe_u32 v3, v5, 16, 3
	v_ffbh_u32_e32 v7, v3
	v_min_u32_e32 v7, 32, v7
	v_lshrrev_b32_e32 v4, 19, v5
	v_subrev_u32_e32 v8, 28, v7
	v_and_b32_e32 v4, 15, v4
	v_lshlrev_b32_sdwa v8, v8, v5 dst_sel:DWORD dst_unused:UNUSED_PAD src0_sel:DWORD src1_sel:WORD_1
	v_bfe_u32 v6, v5, 19, 4
	v_sub_u32_e32 v7, 29, v7
	v_and_b32_e32 v8, 7, v8
	v_cmp_eq_u16_e32 vcc, 0, v4
	v_cndmask_b32_e32 v3, v3, v8, vcc
	v_cndmask_b32_e32 v4, v6, v7, vcc
	v_lshlrev_b32_e32 v6, 8, v5
	v_mov_b32_e32 v7, 0x3b800000
	v_lshlrev_b32_e32 v3, 20, v3
	v_and_b32_e32 v6, 0x80000000, v6
	v_lshl_add_u32 v4, v4, 23, v7
	v_or3_b32 v4, v6, v4, v3
.LBB53_1784:
	s_or_b64 exec, exec, s[6:7]
	s_nop 0
	v_mfma_f32_16x16x4f32 a[0:3], v2, v4, a[0:3]
	s_movk_i32 s4, 0x7f
	v_cmp_gt_i16_sdwa s[6:7], v9, s4 src0_sel:BYTE_3 src1_sel:DWORD
	s_mov_b64 s[4:5], 0
                                        ; implicit-def: $sgpr10
	s_and_saveexec_b64 s[8:9], s[6:7]
	s_xor_b64 s[6:7], exec, s[8:9]
	s_cbranch_execnz .LBB53_3833
; %bb.1785:
	s_or_saveexec_b64 s[6:7], s[6:7]
	v_mov_b32_e32 v2, s10
	s_xor_b64 exec, exec, s[6:7]
	s_cbranch_execnz .LBB53_3836
.LBB53_1786:
	s_or_b64 exec, exec, s[6:7]
	s_and_saveexec_b64 s[6:7], s[4:5]
	s_cbranch_execz .LBB53_1788
.LBB53_1787:
	v_bfe_u32 v2, v9, 24, 3
	v_ffbh_u32_e32 v7, v2
	v_min_u32_e32 v7, 32, v7
	v_lshrrev_b32_e32 v4, 27, v9
	v_subrev_u32_e32 v8, 28, v7
	v_and_b32_e32 v4, 15, v4
	v_lshlrev_b32_sdwa v8, v8, v9 dst_sel:DWORD dst_unused:UNUSED_PAD src0_sel:DWORD src1_sel:BYTE_3
	v_bfe_u32 v6, v9, 27, 4
	v_sub_u32_e32 v7, 29, v7
	v_and_b32_e32 v8, 7, v8
	v_cmp_eq_u16_e32 vcc, 0, v4
	v_cndmask_b32_e32 v2, v2, v8, vcc
	v_cndmask_b32_e32 v4, v6, v7, vcc
	v_mov_b32_e32 v6, 0x3b800000
	v_and_b32_e32 v3, 0x80000000, v9
	v_lshlrev_b32_e32 v2, 20, v2
	v_lshl_add_u32 v4, v4, 23, v6
	v_or3_b32 v2, v3, v4, v2
.LBB53_1788:
	s_or_b64 exec, exec, s[6:7]
	s_movk_i32 s4, 0x7f
	v_cmp_gt_i16_sdwa s[6:7], v5, s4 src0_sel:BYTE_3 src1_sel:DWORD
	s_mov_b64 s[4:5], 0
                                        ; implicit-def: $sgpr10
	s_and_saveexec_b64 s[8:9], s[6:7]
	s_xor_b64 s[6:7], exec, s[8:9]
	s_cbranch_execnz .LBB53_3837
; %bb.1789:
	s_or_saveexec_b64 s[6:7], s[6:7]
	v_mov_b32_e32 v3, s10
	s_xor_b64 exec, exec, s[6:7]
	s_cbranch_execnz .LBB53_3840
.LBB53_1790:
	s_or_b64 exec, exec, s[6:7]
	s_and_saveexec_b64 s[6:7], s[4:5]
	s_cbranch_execz .LBB53_1792
.LBB53_1791:
	v_bfe_u32 v3, v5, 24, 3
	v_ffbh_u32_e32 v8, v3
	v_min_u32_e32 v8, 32, v8
	v_lshrrev_b32_e32 v6, 27, v5
	v_subrev_u32_e32 v9, 28, v8
	v_and_b32_e32 v4, 0x80000000, v5
	v_and_b32_e32 v6, 15, v6
	v_bfe_u32 v7, v5, 27, 4
	v_lshlrev_b32_sdwa v5, v9, v5 dst_sel:DWORD dst_unused:UNUSED_PAD src0_sel:DWORD src1_sel:BYTE_3
	v_sub_u32_e32 v8, 29, v8
	v_and_b32_e32 v5, 7, v5
	v_cmp_eq_u16_e32 vcc, 0, v6
	v_cndmask_b32_e32 v3, v3, v5, vcc
	v_cndmask_b32_e32 v5, v7, v8, vcc
	v_mov_b32_e32 v6, 0x3b800000
	v_lshlrev_b32_e32 v3, 20, v3
	v_lshl_add_u32 v5, v5, 23, v6
	v_or3_b32 v3, v4, v5, v3
.LBB53_1792:
	s_or_b64 exec, exec, s[6:7]
	s_nop 0
	v_mfma_f32_16x16x4f32 a[0:3], v2, v3, a[0:3]
	s_movk_i32 s4, 0x7f
                                        ; implicit-def: $sgpr10
	s_nop 7
	s_nop 1
	flat_store_dwordx4 v[18:19], a[0:3] offset:224
	flat_load_dwordx4 v[18:21], v[0:1] offset:8
	s_nop 0
	flat_load_dwordx2 v[16:17], v[0:1] offset:24
	s_waitcnt vmcnt(0) lgkmcnt(0)
	flat_load_dwordx4 v[12:15], v[18:19] offset:32
	flat_load_dwordx4 v[4:7], v[18:19] offset:48
	;; [unrolled: 1-line block ×4, first 2 shown]
	s_waitcnt vmcnt(0) lgkmcnt(0)
	v_cmp_gt_i16_sdwa s[6:7], v12, s4 src0_sel:BYTE_0 src1_sel:DWORD
	s_mov_b64 s[4:5], 0
	s_and_saveexec_b64 s[8:9], s[6:7]
	s_xor_b64 s[6:7], exec, s[8:9]
	s_cbranch_execnz .LBB53_3841
; %bb.1793:
	s_or_saveexec_b64 s[6:7], s[6:7]
	v_mov_b32_e32 v18, s10
	s_xor_b64 exec, exec, s[6:7]
	s_cbranch_execnz .LBB53_3844
.LBB53_1794:
	s_or_b64 exec, exec, s[6:7]
	s_and_saveexec_b64 s[6:7], s[4:5]
	s_cbranch_execz .LBB53_1796
.LBB53_1795:
	v_and_b32_e32 v18, 7, v12
	v_ffbh_u32_e32 v20, v18
	v_min_u32_e32 v20, 32, v20
	v_lshrrev_b16_e32 v19, 3, v12
	v_subrev_u32_e32 v21, 28, v20
	v_and_b32_e32 v19, 15, v19
	v_lshlrev_b32_e32 v21, v21, v12
	v_sub_u32_e32 v20, 29, v20
	v_and_b32_e32 v21, 7, v21
	v_cmp_eq_u16_e32 vcc, 0, v19
	v_cndmask_b32_e32 v18, v18, v21, vcc
	v_cndmask_b32_e32 v19, v19, v20, vcc
	v_lshlrev_b32_e32 v20, 24, v12
	v_mov_b32_e32 v21, 0x3b800000
	v_lshlrev_b32_e32 v18, 20, v18
	v_and_b32_e32 v20, 0x80000000, v20
	v_lshl_add_u32 v19, v19, 23, v21
	v_or3_b32 v18, v20, v19, v18
.LBB53_1796:
	s_or_b64 exec, exec, s[6:7]
	s_movk_i32 s4, 0x7f
	v_cmp_gt_i16_sdwa s[6:7], v8, s4 src0_sel:BYTE_0 src1_sel:DWORD
	s_mov_b64 s[4:5], 0
                                        ; implicit-def: $sgpr10
	s_and_saveexec_b64 s[8:9], s[6:7]
	s_xor_b64 s[6:7], exec, s[8:9]
	s_cbranch_execnz .LBB53_3845
; %bb.1797:
	s_or_saveexec_b64 s[6:7], s[6:7]
	v_mov_b32_e32 v19, s10
	s_xor_b64 exec, exec, s[6:7]
	s_cbranch_execnz .LBB53_3848
.LBB53_1798:
	s_or_b64 exec, exec, s[6:7]
	s_and_saveexec_b64 s[6:7], s[4:5]
	s_cbranch_execz .LBB53_1800
.LBB53_1799:
	v_and_b32_e32 v19, 7, v8
	v_ffbh_u32_e32 v21, v19
	v_min_u32_e32 v21, 32, v21
	v_lshrrev_b16_e32 v20, 3, v8
	v_subrev_u32_e32 v22, 28, v21
	v_and_b32_e32 v20, 15, v20
	v_lshlrev_b32_e32 v22, v22, v8
	v_sub_u32_e32 v21, 29, v21
	v_and_b32_e32 v22, 7, v22
	v_cmp_eq_u16_e32 vcc, 0, v20
	v_cndmask_b32_e32 v19, v19, v22, vcc
	v_cndmask_b32_e32 v20, v20, v21, vcc
	v_lshlrev_b32_e32 v21, 24, v8
	v_mov_b32_e32 v22, 0x3b800000
	v_lshlrev_b32_e32 v19, 20, v19
	v_and_b32_e32 v21, 0x80000000, v21
	v_lshl_add_u32 v20, v20, 23, v22
	v_or3_b32 v19, v21, v20, v19
.LBB53_1800:
	s_or_b64 exec, exec, s[6:7]
	flat_load_dwordx4 a[0:3], v[16:17] offset:240
	s_movk_i32 s4, 0x7f
                                        ; implicit-def: $sgpr10
	s_waitcnt vmcnt(0) lgkmcnt(0)
	v_mfma_f32_16x16x4f32 a[0:3], v18, v19, a[0:3]
	v_lshrrev_b32_e32 v19, 8, v12
	v_cmp_gt_i16_sdwa s[6:7], v19, s4 src0_sel:BYTE_0 src1_sel:DWORD
	s_mov_b64 s[4:5], 0
	s_and_saveexec_b64 s[8:9], s[6:7]
	s_xor_b64 s[6:7], exec, s[8:9]
	s_cbranch_execnz .LBB53_3849
; %bb.1801:
	s_or_saveexec_b64 s[6:7], s[6:7]
	v_mov_b32_e32 v18, s10
	s_xor_b64 exec, exec, s[6:7]
	s_cbranch_execnz .LBB53_3852
.LBB53_1802:
	s_or_b64 exec, exec, s[6:7]
	s_and_saveexec_b64 s[6:7], s[4:5]
	s_cbranch_execz .LBB53_1804
.LBB53_1803:
	v_bfe_u32 v18, v12, 8, 3
	v_ffbh_u32_e32 v21, v18
	v_min_u32_e32 v21, 32, v21
	v_lshrrev_b16_e32 v20, 3, v19
	v_subrev_u32_e32 v22, 28, v21
	v_and_b32_e32 v20, 15, v20
	v_lshlrev_b32_e32 v19, v22, v19
	v_sub_u32_e32 v21, 29, v21
	v_and_b32_e32 v19, 7, v19
	v_cmp_eq_u16_e32 vcc, 0, v20
	v_cndmask_b32_e32 v18, v18, v19, vcc
	v_cndmask_b32_e32 v19, v20, v21, vcc
	v_lshlrev_b32_e32 v20, 16, v12
	v_mov_b32_e32 v21, 0x3b800000
	v_lshlrev_b32_e32 v18, 20, v18
	v_and_b32_e32 v20, 0x80000000, v20
	v_lshl_add_u32 v19, v19, 23, v21
	v_or3_b32 v18, v20, v19, v18
.LBB53_1804:
	s_or_b64 exec, exec, s[6:7]
	v_lshrrev_b32_e32 v19, 8, v8
	s_movk_i32 s4, 0x7f
	v_cmp_gt_i16_sdwa s[6:7], v19, s4 src0_sel:BYTE_0 src1_sel:DWORD
	s_mov_b64 s[4:5], 0
                                        ; implicit-def: $sgpr10
	s_and_saveexec_b64 s[8:9], s[6:7]
	s_xor_b64 s[6:7], exec, s[8:9]
	s_cbranch_execnz .LBB53_3853
; %bb.1805:
	s_or_saveexec_b64 s[6:7], s[6:7]
	v_mov_b32_e32 v20, s10
	s_xor_b64 exec, exec, s[6:7]
	s_cbranch_execnz .LBB53_3856
.LBB53_1806:
	s_or_b64 exec, exec, s[6:7]
	s_and_saveexec_b64 s[6:7], s[4:5]
	s_cbranch_execz .LBB53_1808
.LBB53_1807:
	v_bfe_u32 v20, v8, 8, 3
	v_ffbh_u32_e32 v22, v20
	v_min_u32_e32 v22, 32, v22
	v_lshrrev_b16_e32 v21, 3, v19
	v_subrev_u32_e32 v23, 28, v22
	v_and_b32_e32 v21, 15, v21
	v_lshlrev_b32_e32 v19, v23, v19
	v_sub_u32_e32 v22, 29, v22
	v_and_b32_e32 v19, 7, v19
	v_cmp_eq_u16_e32 vcc, 0, v21
	v_cndmask_b32_e32 v19, v20, v19, vcc
	v_cndmask_b32_e32 v20, v21, v22, vcc
	v_lshlrev_b32_e32 v21, 16, v8
	v_mov_b32_e32 v22, 0x3b800000
	v_lshlrev_b32_e32 v19, 20, v19
	v_and_b32_e32 v21, 0x80000000, v21
	v_lshl_add_u32 v20, v20, 23, v22
	v_or3_b32 v20, v21, v20, v19
.LBB53_1808:
	s_or_b64 exec, exec, s[6:7]
	s_nop 0
	v_mfma_f32_16x16x4f32 a[0:3], v18, v20, a[0:3]
	s_movk_i32 s4, 0xff
	v_and_b32_sdwa v19, v12, s4 dst_sel:DWORD dst_unused:UNUSED_PAD src0_sel:WORD_1 src1_sel:DWORD
	s_movk_i32 s4, 0x7f
	v_cmp_lt_i16_e32 vcc, s4, v19
	s_mov_b64 s[4:5], 0
                                        ; implicit-def: $sgpr10
	s_and_saveexec_b64 s[6:7], vcc
	s_xor_b64 s[6:7], exec, s[6:7]
	s_cbranch_execnz .LBB53_3857
; %bb.1809:
	s_or_saveexec_b64 s[6:7], s[6:7]
	v_mov_b32_e32 v18, s10
	s_xor_b64 exec, exec, s[6:7]
	s_cbranch_execnz .LBB53_3860
.LBB53_1810:
	s_or_b64 exec, exec, s[6:7]
	s_and_saveexec_b64 s[6:7], s[4:5]
	s_cbranch_execz .LBB53_1812
.LBB53_1811:
	v_bfe_u32 v18, v12, 16, 3
	v_ffbh_u32_e32 v21, v18
	v_min_u32_e32 v21, 32, v21
	v_lshrrev_b32_e32 v19, 19, v12
	v_subrev_u32_e32 v22, 28, v21
	v_and_b32_e32 v19, 15, v19
	v_lshlrev_b32_sdwa v22, v22, v12 dst_sel:DWORD dst_unused:UNUSED_PAD src0_sel:DWORD src1_sel:WORD_1
	v_bfe_u32 v20, v12, 19, 4
	v_sub_u32_e32 v21, 29, v21
	v_and_b32_e32 v22, 7, v22
	v_cmp_eq_u16_e32 vcc, 0, v19
	v_cndmask_b32_e32 v18, v18, v22, vcc
	v_cndmask_b32_e32 v19, v20, v21, vcc
	v_lshlrev_b32_e32 v20, 8, v12
	v_mov_b32_e32 v21, 0x3b800000
	v_lshlrev_b32_e32 v18, 20, v18
	v_and_b32_e32 v20, 0x80000000, v20
	v_lshl_add_u32 v19, v19, 23, v21
	v_or3_b32 v18, v20, v19, v18
.LBB53_1812:
	s_or_b64 exec, exec, s[6:7]
	s_movk_i32 s4, 0xff
	v_and_b32_sdwa v19, v8, s4 dst_sel:DWORD dst_unused:UNUSED_PAD src0_sel:WORD_1 src1_sel:DWORD
	s_movk_i32 s4, 0x7f
	v_cmp_lt_i16_e32 vcc, s4, v19
	s_mov_b64 s[4:5], 0
                                        ; implicit-def: $sgpr10
	s_and_saveexec_b64 s[6:7], vcc
	s_xor_b64 s[6:7], exec, s[6:7]
	s_cbranch_execnz .LBB53_3861
; %bb.1813:
	s_or_saveexec_b64 s[6:7], s[6:7]
	v_mov_b32_e32 v20, s10
	s_xor_b64 exec, exec, s[6:7]
	s_cbranch_execnz .LBB53_3864
.LBB53_1814:
	s_or_b64 exec, exec, s[6:7]
	s_and_saveexec_b64 s[6:7], s[4:5]
	s_cbranch_execz .LBB53_1816
.LBB53_1815:
	v_bfe_u32 v19, v8, 16, 3
	v_ffbh_u32_e32 v22, v19
	v_min_u32_e32 v22, 32, v22
	v_lshrrev_b32_e32 v20, 19, v8
	v_subrev_u32_e32 v23, 28, v22
	v_and_b32_e32 v20, 15, v20
	v_lshlrev_b32_sdwa v23, v23, v8 dst_sel:DWORD dst_unused:UNUSED_PAD src0_sel:DWORD src1_sel:WORD_1
	v_bfe_u32 v21, v8, 19, 4
	v_sub_u32_e32 v22, 29, v22
	v_and_b32_e32 v23, 7, v23
	v_cmp_eq_u16_e32 vcc, 0, v20
	v_cndmask_b32_e32 v19, v19, v23, vcc
	v_cndmask_b32_e32 v20, v21, v22, vcc
	v_lshlrev_b32_e32 v21, 8, v8
	v_mov_b32_e32 v22, 0x3b800000
	v_lshlrev_b32_e32 v19, 20, v19
	v_and_b32_e32 v21, 0x80000000, v21
	v_lshl_add_u32 v20, v20, 23, v22
	v_or3_b32 v20, v21, v20, v19
.LBB53_1816:
	s_or_b64 exec, exec, s[6:7]
	s_nop 0
	v_mfma_f32_16x16x4f32 a[0:3], v18, v20, a[0:3]
	s_movk_i32 s4, 0x7f
	v_cmp_gt_i16_sdwa s[6:7], v12, s4 src0_sel:BYTE_3 src1_sel:DWORD
	s_mov_b64 s[4:5], 0
                                        ; implicit-def: $sgpr10
	s_and_saveexec_b64 s[8:9], s[6:7]
	s_xor_b64 s[6:7], exec, s[8:9]
	s_cbranch_execnz .LBB53_3865
; %bb.1817:
	s_or_saveexec_b64 s[6:7], s[6:7]
	v_mov_b32_e32 v18, s10
	s_xor_b64 exec, exec, s[6:7]
	s_cbranch_execnz .LBB53_3868
.LBB53_1818:
	s_or_b64 exec, exec, s[6:7]
	s_and_saveexec_b64 s[6:7], s[4:5]
	s_cbranch_execz .LBB53_1820
.LBB53_1819:
	v_bfe_u32 v18, v12, 24, 3
	v_ffbh_u32_e32 v22, v18
	v_min_u32_e32 v22, 32, v22
	v_lshrrev_b32_e32 v20, 27, v12
	v_subrev_u32_e32 v23, 28, v22
	v_and_b32_e32 v19, 0x80000000, v12
	v_and_b32_e32 v20, 15, v20
	v_bfe_u32 v21, v12, 27, 4
	v_lshlrev_b32_sdwa v12, v23, v12 dst_sel:DWORD dst_unused:UNUSED_PAD src0_sel:DWORD src1_sel:BYTE_3
	v_sub_u32_e32 v22, 29, v22
	v_and_b32_e32 v12, 7, v12
	v_cmp_eq_u16_e32 vcc, 0, v20
	v_cndmask_b32_e32 v12, v18, v12, vcc
	v_cndmask_b32_e32 v18, v21, v22, vcc
	v_mov_b32_e32 v20, 0x3b800000
	v_lshlrev_b32_e32 v12, 20, v12
	v_lshl_add_u32 v18, v18, 23, v20
	v_or3_b32 v18, v19, v18, v12
.LBB53_1820:
	s_or_b64 exec, exec, s[6:7]
	s_movk_i32 s4, 0x7f
	v_cmp_gt_i16_sdwa s[6:7], v8, s4 src0_sel:BYTE_3 src1_sel:DWORD
	s_mov_b64 s[4:5], 0
                                        ; implicit-def: $sgpr10
	s_and_saveexec_b64 s[8:9], s[6:7]
	s_xor_b64 s[6:7], exec, s[8:9]
	s_cbranch_execnz .LBB53_3869
; %bb.1821:
	s_or_saveexec_b64 s[6:7], s[6:7]
	v_mov_b32_e32 v12, s10
	s_xor_b64 exec, exec, s[6:7]
	s_cbranch_execnz .LBB53_3872
.LBB53_1822:
	s_or_b64 exec, exec, s[6:7]
	s_and_saveexec_b64 s[6:7], s[4:5]
	s_cbranch_execz .LBB53_1824
.LBB53_1823:
	v_bfe_u32 v12, v8, 24, 3
	v_ffbh_u32_e32 v22, v12
	v_min_u32_e32 v22, 32, v22
	v_lshrrev_b32_e32 v20, 27, v8
	v_subrev_u32_e32 v23, 28, v22
	v_and_b32_e32 v19, 0x80000000, v8
	v_and_b32_e32 v20, 15, v20
	v_bfe_u32 v21, v8, 27, 4
	v_lshlrev_b32_sdwa v8, v23, v8 dst_sel:DWORD dst_unused:UNUSED_PAD src0_sel:DWORD src1_sel:BYTE_3
	v_sub_u32_e32 v22, 29, v22
	v_and_b32_e32 v8, 7, v8
	v_cmp_eq_u16_e32 vcc, 0, v20
	v_cndmask_b32_e32 v8, v12, v8, vcc
	v_cndmask_b32_e32 v12, v21, v22, vcc
	v_mov_b32_e32 v20, 0x3b800000
	v_lshlrev_b32_e32 v8, 20, v8
	v_lshl_add_u32 v12, v12, 23, v20
	v_or3_b32 v12, v19, v12, v8
.LBB53_1824:
	s_or_b64 exec, exec, s[6:7]
	s_nop 0
	v_mfma_f32_16x16x4f32 a[0:3], v18, v12, a[0:3]
	s_movk_i32 s4, 0x7f
	v_cmp_gt_i16_sdwa s[6:7], v13, s4 src0_sel:BYTE_0 src1_sel:DWORD
	s_mov_b64 s[4:5], 0
                                        ; implicit-def: $sgpr10
	s_and_saveexec_b64 s[8:9], s[6:7]
	s_xor_b64 s[6:7], exec, s[8:9]
	s_cbranch_execnz .LBB53_3873
; %bb.1825:
	s_or_saveexec_b64 s[6:7], s[6:7]
	v_mov_b32_e32 v8, s10
	s_xor_b64 exec, exec, s[6:7]
	s_cbranch_execnz .LBB53_3876
.LBB53_1826:
	s_or_b64 exec, exec, s[6:7]
	s_and_saveexec_b64 s[6:7], s[4:5]
	s_cbranch_execz .LBB53_1828
.LBB53_1827:
	v_and_b32_e32 v8, 7, v13
	v_ffbh_u32_e32 v18, v8
	v_min_u32_e32 v18, 32, v18
	v_lshrrev_b16_e32 v12, 3, v13
	v_subrev_u32_e32 v19, 28, v18
	v_and_b32_e32 v12, 15, v12
	v_lshlrev_b32_e32 v19, v19, v13
	v_sub_u32_e32 v18, 29, v18
	v_and_b32_e32 v19, 7, v19
	v_cmp_eq_u16_e32 vcc, 0, v12
	v_cndmask_b32_e32 v8, v8, v19, vcc
	v_cndmask_b32_e32 v12, v12, v18, vcc
	v_lshlrev_b32_e32 v18, 24, v13
	v_mov_b32_e32 v19, 0x3b800000
	v_lshlrev_b32_e32 v8, 20, v8
	v_and_b32_e32 v18, 0x80000000, v18
	v_lshl_add_u32 v12, v12, 23, v19
	v_or3_b32 v8, v18, v12, v8
.LBB53_1828:
	s_or_b64 exec, exec, s[6:7]
	s_movk_i32 s4, 0x7f
	v_cmp_gt_i16_sdwa s[6:7], v9, s4 src0_sel:BYTE_0 src1_sel:DWORD
	s_mov_b64 s[4:5], 0
                                        ; implicit-def: $sgpr10
	s_and_saveexec_b64 s[8:9], s[6:7]
	s_xor_b64 s[6:7], exec, s[8:9]
	s_cbranch_execnz .LBB53_3877
; %bb.1829:
	s_or_saveexec_b64 s[6:7], s[6:7]
	v_mov_b32_e32 v12, s10
	s_xor_b64 exec, exec, s[6:7]
	s_cbranch_execnz .LBB53_3880
.LBB53_1830:
	s_or_b64 exec, exec, s[6:7]
	s_and_saveexec_b64 s[6:7], s[4:5]
	s_cbranch_execz .LBB53_1832
.LBB53_1831:
	v_and_b32_e32 v12, 7, v9
	v_ffbh_u32_e32 v19, v12
	v_min_u32_e32 v19, 32, v19
	v_lshrrev_b16_e32 v18, 3, v9
	v_subrev_u32_e32 v20, 28, v19
	v_and_b32_e32 v18, 15, v18
	v_lshlrev_b32_e32 v20, v20, v9
	v_sub_u32_e32 v19, 29, v19
	v_and_b32_e32 v20, 7, v20
	v_cmp_eq_u16_e32 vcc, 0, v18
	v_cndmask_b32_e32 v12, v12, v20, vcc
	v_cndmask_b32_e32 v18, v18, v19, vcc
	v_lshlrev_b32_e32 v19, 24, v9
	v_mov_b32_e32 v20, 0x3b800000
	v_lshlrev_b32_e32 v12, 20, v12
	v_and_b32_e32 v19, 0x80000000, v19
	v_lshl_add_u32 v18, v18, 23, v20
	v_or3_b32 v12, v19, v18, v12
.LBB53_1832:
	s_or_b64 exec, exec, s[6:7]
	s_nop 0
	v_mfma_f32_16x16x4f32 a[0:3], v8, v12, a[0:3]
	v_lshrrev_b32_e32 v12, 8, v13
	s_movk_i32 s4, 0x7f
	v_cmp_gt_i16_sdwa s[6:7], v12, s4 src0_sel:BYTE_0 src1_sel:DWORD
	s_mov_b64 s[4:5], 0
                                        ; implicit-def: $sgpr10
	s_and_saveexec_b64 s[8:9], s[6:7]
	s_xor_b64 s[6:7], exec, s[8:9]
	s_cbranch_execnz .LBB53_3881
; %bb.1833:
	s_or_saveexec_b64 s[6:7], s[6:7]
	v_mov_b32_e32 v8, s10
	s_xor_b64 exec, exec, s[6:7]
	s_cbranch_execnz .LBB53_3884
.LBB53_1834:
	s_or_b64 exec, exec, s[6:7]
	s_and_saveexec_b64 s[6:7], s[4:5]
	s_cbranch_execz .LBB53_1836
.LBB53_1835:
	v_bfe_u32 v8, v13, 8, 3
	v_ffbh_u32_e32 v19, v8
	v_min_u32_e32 v19, 32, v19
	v_lshrrev_b16_e32 v18, 3, v12
	v_subrev_u32_e32 v20, 28, v19
	v_and_b32_e32 v18, 15, v18
	v_lshlrev_b32_e32 v12, v20, v12
	v_sub_u32_e32 v19, 29, v19
	v_and_b32_e32 v12, 7, v12
	v_cmp_eq_u16_e32 vcc, 0, v18
	v_cndmask_b32_e32 v8, v8, v12, vcc
	v_cndmask_b32_e32 v12, v18, v19, vcc
	v_lshlrev_b32_e32 v18, 16, v13
	v_mov_b32_e32 v19, 0x3b800000
	v_lshlrev_b32_e32 v8, 20, v8
	v_and_b32_e32 v18, 0x80000000, v18
	v_lshl_add_u32 v12, v12, 23, v19
	v_or3_b32 v8, v18, v12, v8
.LBB53_1836:
	s_or_b64 exec, exec, s[6:7]
	v_lshrrev_b32_e32 v12, 8, v9
	s_movk_i32 s4, 0x7f
	v_cmp_gt_i16_sdwa s[6:7], v12, s4 src0_sel:BYTE_0 src1_sel:DWORD
	s_mov_b64 s[4:5], 0
                                        ; implicit-def: $sgpr10
	s_and_saveexec_b64 s[8:9], s[6:7]
	s_xor_b64 s[6:7], exec, s[8:9]
	s_cbranch_execnz .LBB53_3885
; %bb.1837:
	s_or_saveexec_b64 s[6:7], s[6:7]
	v_mov_b32_e32 v18, s10
	s_xor_b64 exec, exec, s[6:7]
	s_cbranch_execnz .LBB53_3888
.LBB53_1838:
	s_or_b64 exec, exec, s[6:7]
	s_and_saveexec_b64 s[6:7], s[4:5]
	s_cbranch_execz .LBB53_1840
.LBB53_1839:
	v_bfe_u32 v18, v9, 8, 3
	v_ffbh_u32_e32 v20, v18
	v_min_u32_e32 v20, 32, v20
	v_lshrrev_b16_e32 v19, 3, v12
	v_subrev_u32_e32 v21, 28, v20
	v_and_b32_e32 v19, 15, v19
	v_lshlrev_b32_e32 v12, v21, v12
	v_sub_u32_e32 v20, 29, v20
	v_and_b32_e32 v12, 7, v12
	v_cmp_eq_u16_e32 vcc, 0, v19
	v_cndmask_b32_e32 v12, v18, v12, vcc
	v_cndmask_b32_e32 v18, v19, v20, vcc
	v_lshlrev_b32_e32 v19, 16, v9
	v_mov_b32_e32 v20, 0x3b800000
	v_lshlrev_b32_e32 v12, 20, v12
	v_and_b32_e32 v19, 0x80000000, v19
	v_lshl_add_u32 v18, v18, 23, v20
	v_or3_b32 v18, v19, v18, v12
.LBB53_1840:
	s_or_b64 exec, exec, s[6:7]
	s_nop 0
	v_mfma_f32_16x16x4f32 a[0:3], v8, v18, a[0:3]
	s_movk_i32 s4, 0xff
	v_and_b32_sdwa v12, v13, s4 dst_sel:DWORD dst_unused:UNUSED_PAD src0_sel:WORD_1 src1_sel:DWORD
	s_movk_i32 s4, 0x7f
	v_cmp_lt_i16_e32 vcc, s4, v12
	s_mov_b64 s[4:5], 0
                                        ; implicit-def: $sgpr10
	s_and_saveexec_b64 s[6:7], vcc
	s_xor_b64 s[6:7], exec, s[6:7]
	s_cbranch_execnz .LBB53_3889
; %bb.1841:
	s_or_saveexec_b64 s[6:7], s[6:7]
	v_mov_b32_e32 v8, s10
	s_xor_b64 exec, exec, s[6:7]
	s_cbranch_execnz .LBB53_3892
.LBB53_1842:
	s_or_b64 exec, exec, s[6:7]
	s_and_saveexec_b64 s[6:7], s[4:5]
	s_cbranch_execz .LBB53_1844
.LBB53_1843:
	v_bfe_u32 v8, v13, 16, 3
	v_ffbh_u32_e32 v19, v8
	v_min_u32_e32 v19, 32, v19
	v_lshrrev_b32_e32 v12, 19, v13
	v_subrev_u32_e32 v20, 28, v19
	v_and_b32_e32 v12, 15, v12
	v_lshlrev_b32_sdwa v20, v20, v13 dst_sel:DWORD dst_unused:UNUSED_PAD src0_sel:DWORD src1_sel:WORD_1
	v_bfe_u32 v18, v13, 19, 4
	v_sub_u32_e32 v19, 29, v19
	v_and_b32_e32 v20, 7, v20
	v_cmp_eq_u16_e32 vcc, 0, v12
	v_cndmask_b32_e32 v8, v8, v20, vcc
	v_cndmask_b32_e32 v12, v18, v19, vcc
	v_lshlrev_b32_e32 v18, 8, v13
	v_mov_b32_e32 v19, 0x3b800000
	v_lshlrev_b32_e32 v8, 20, v8
	v_and_b32_e32 v18, 0x80000000, v18
	v_lshl_add_u32 v12, v12, 23, v19
	v_or3_b32 v8, v18, v12, v8
.LBB53_1844:
	s_or_b64 exec, exec, s[6:7]
	s_movk_i32 s4, 0xff
	v_and_b32_sdwa v12, v9, s4 dst_sel:DWORD dst_unused:UNUSED_PAD src0_sel:WORD_1 src1_sel:DWORD
	s_movk_i32 s4, 0x7f
	v_cmp_lt_i16_e32 vcc, s4, v12
	s_mov_b64 s[4:5], 0
                                        ; implicit-def: $sgpr10
	s_and_saveexec_b64 s[6:7], vcc
	s_xor_b64 s[6:7], exec, s[6:7]
	s_cbranch_execnz .LBB53_3893
; %bb.1845:
	s_or_saveexec_b64 s[6:7], s[6:7]
	v_mov_b32_e32 v18, s10
	s_xor_b64 exec, exec, s[6:7]
	s_cbranch_execnz .LBB53_3896
.LBB53_1846:
	s_or_b64 exec, exec, s[6:7]
	s_and_saveexec_b64 s[6:7], s[4:5]
	s_cbranch_execz .LBB53_1848
.LBB53_1847:
	v_bfe_u32 v12, v9, 16, 3
	v_ffbh_u32_e32 v20, v12
	v_min_u32_e32 v20, 32, v20
	v_lshrrev_b32_e32 v18, 19, v9
	v_subrev_u32_e32 v21, 28, v20
	v_and_b32_e32 v18, 15, v18
	v_lshlrev_b32_sdwa v21, v21, v9 dst_sel:DWORD dst_unused:UNUSED_PAD src0_sel:DWORD src1_sel:WORD_1
	v_bfe_u32 v19, v9, 19, 4
	v_sub_u32_e32 v20, 29, v20
	v_and_b32_e32 v21, 7, v21
	v_cmp_eq_u16_e32 vcc, 0, v18
	v_cndmask_b32_e32 v12, v12, v21, vcc
	v_cndmask_b32_e32 v18, v19, v20, vcc
	v_lshlrev_b32_e32 v19, 8, v9
	v_mov_b32_e32 v20, 0x3b800000
	v_lshlrev_b32_e32 v12, 20, v12
	v_and_b32_e32 v19, 0x80000000, v19
	v_lshl_add_u32 v18, v18, 23, v20
	v_or3_b32 v18, v19, v18, v12
.LBB53_1848:
	s_or_b64 exec, exec, s[6:7]
	s_nop 0
	v_mfma_f32_16x16x4f32 a[0:3], v8, v18, a[0:3]
	s_movk_i32 s4, 0x7f
	v_cmp_gt_i16_sdwa s[6:7], v13, s4 src0_sel:BYTE_3 src1_sel:DWORD
	s_mov_b64 s[4:5], 0
                                        ; implicit-def: $sgpr10
	s_and_saveexec_b64 s[8:9], s[6:7]
	s_xor_b64 s[6:7], exec, s[8:9]
	s_cbranch_execnz .LBB53_3897
; %bb.1849:
	s_or_saveexec_b64 s[6:7], s[6:7]
	v_mov_b32_e32 v8, s10
	s_xor_b64 exec, exec, s[6:7]
	s_cbranch_execnz .LBB53_3900
.LBB53_1850:
	s_or_b64 exec, exec, s[6:7]
	s_and_saveexec_b64 s[6:7], s[4:5]
	s_cbranch_execz .LBB53_1852
.LBB53_1851:
	v_bfe_u32 v8, v13, 24, 3
	v_ffbh_u32_e32 v20, v8
	v_min_u32_e32 v20, 32, v20
	v_lshrrev_b32_e32 v18, 27, v13
	v_subrev_u32_e32 v21, 28, v20
	v_and_b32_e32 v12, 0x80000000, v13
	v_and_b32_e32 v18, 15, v18
	v_bfe_u32 v19, v13, 27, 4
	v_lshlrev_b32_sdwa v13, v21, v13 dst_sel:DWORD dst_unused:UNUSED_PAD src0_sel:DWORD src1_sel:BYTE_3
	v_sub_u32_e32 v20, 29, v20
	v_and_b32_e32 v13, 7, v13
	v_cmp_eq_u16_e32 vcc, 0, v18
	v_cndmask_b32_e32 v8, v8, v13, vcc
	v_cndmask_b32_e32 v13, v19, v20, vcc
	v_mov_b32_e32 v18, 0x3b800000
	v_lshlrev_b32_e32 v8, 20, v8
	v_lshl_add_u32 v13, v13, 23, v18
	v_or3_b32 v8, v12, v13, v8
.LBB53_1852:
	s_or_b64 exec, exec, s[6:7]
	s_movk_i32 s4, 0x7f
	v_cmp_gt_i16_sdwa s[6:7], v9, s4 src0_sel:BYTE_3 src1_sel:DWORD
	s_mov_b64 s[4:5], 0
                                        ; implicit-def: $sgpr10
	s_and_saveexec_b64 s[8:9], s[6:7]
	s_xor_b64 s[6:7], exec, s[8:9]
	s_cbranch_execnz .LBB53_3901
; %bb.1853:
	s_or_saveexec_b64 s[6:7], s[6:7]
	v_mov_b32_e32 v12, s10
	s_xor_b64 exec, exec, s[6:7]
	s_cbranch_execnz .LBB53_3904
.LBB53_1854:
	s_or_b64 exec, exec, s[6:7]
	s_and_saveexec_b64 s[6:7], s[4:5]
	s_cbranch_execz .LBB53_1856
.LBB53_1855:
	v_bfe_u32 v12, v9, 24, 3
	v_ffbh_u32_e32 v20, v12
	v_min_u32_e32 v20, 32, v20
	v_lshrrev_b32_e32 v18, 27, v9
	v_subrev_u32_e32 v21, 28, v20
	v_and_b32_e32 v13, 0x80000000, v9
	v_and_b32_e32 v18, 15, v18
	v_bfe_u32 v19, v9, 27, 4
	v_lshlrev_b32_sdwa v9, v21, v9 dst_sel:DWORD dst_unused:UNUSED_PAD src0_sel:DWORD src1_sel:BYTE_3
	v_sub_u32_e32 v20, 29, v20
	v_and_b32_e32 v9, 7, v9
	v_cmp_eq_u16_e32 vcc, 0, v18
	v_cndmask_b32_e32 v9, v12, v9, vcc
	v_cndmask_b32_e32 v12, v19, v20, vcc
	v_mov_b32_e32 v18, 0x3b800000
	v_lshlrev_b32_e32 v9, 20, v9
	v_lshl_add_u32 v12, v12, 23, v18
	v_or3_b32 v12, v13, v12, v9
.LBB53_1856:
	s_or_b64 exec, exec, s[6:7]
	s_nop 0
	v_mfma_f32_16x16x4f32 a[0:3], v8, v12, a[0:3]
	s_movk_i32 s4, 0x7f
	v_cmp_gt_i16_sdwa s[6:7], v14, s4 src0_sel:BYTE_0 src1_sel:DWORD
	s_mov_b64 s[4:5], 0
                                        ; implicit-def: $sgpr10
	s_and_saveexec_b64 s[8:9], s[6:7]
	s_xor_b64 s[6:7], exec, s[8:9]
	s_cbranch_execnz .LBB53_3905
; %bb.1857:
	s_or_saveexec_b64 s[6:7], s[6:7]
	v_mov_b32_e32 v8, s10
	s_xor_b64 exec, exec, s[6:7]
	s_cbranch_execnz .LBB53_3908
.LBB53_1858:
	s_or_b64 exec, exec, s[6:7]
	s_and_saveexec_b64 s[6:7], s[4:5]
	s_cbranch_execz .LBB53_1860
.LBB53_1859:
	v_and_b32_e32 v8, 7, v14
	v_ffbh_u32_e32 v12, v8
	v_min_u32_e32 v12, 32, v12
	v_lshrrev_b16_e32 v9, 3, v14
	v_subrev_u32_e32 v13, 28, v12
	v_and_b32_e32 v9, 15, v9
	v_lshlrev_b32_e32 v13, v13, v14
	v_sub_u32_e32 v12, 29, v12
	v_and_b32_e32 v13, 7, v13
	v_cmp_eq_u16_e32 vcc, 0, v9
	v_cndmask_b32_e32 v8, v8, v13, vcc
	v_cndmask_b32_e32 v9, v9, v12, vcc
	v_lshlrev_b32_e32 v12, 24, v14
	v_mov_b32_e32 v13, 0x3b800000
	v_lshlrev_b32_e32 v8, 20, v8
	v_and_b32_e32 v12, 0x80000000, v12
	v_lshl_add_u32 v9, v9, 23, v13
	v_or3_b32 v8, v12, v9, v8
.LBB53_1860:
	s_or_b64 exec, exec, s[6:7]
	s_movk_i32 s4, 0x7f
	v_cmp_gt_i16_sdwa s[6:7], v10, s4 src0_sel:BYTE_0 src1_sel:DWORD
	s_mov_b64 s[4:5], 0
                                        ; implicit-def: $sgpr10
	s_and_saveexec_b64 s[8:9], s[6:7]
	s_xor_b64 s[6:7], exec, s[8:9]
	s_cbranch_execnz .LBB53_3909
; %bb.1861:
	s_or_saveexec_b64 s[6:7], s[6:7]
	v_mov_b32_e32 v9, s10
	s_xor_b64 exec, exec, s[6:7]
	s_cbranch_execnz .LBB53_3912
.LBB53_1862:
	s_or_b64 exec, exec, s[6:7]
	s_and_saveexec_b64 s[6:7], s[4:5]
	s_cbranch_execz .LBB53_1864
.LBB53_1863:
	v_and_b32_e32 v9, 7, v10
	v_ffbh_u32_e32 v13, v9
	v_min_u32_e32 v13, 32, v13
	v_lshrrev_b16_e32 v12, 3, v10
	v_subrev_u32_e32 v18, 28, v13
	v_and_b32_e32 v12, 15, v12
	v_lshlrev_b32_e32 v18, v18, v10
	v_sub_u32_e32 v13, 29, v13
	v_and_b32_e32 v18, 7, v18
	v_cmp_eq_u16_e32 vcc, 0, v12
	v_cndmask_b32_e32 v9, v9, v18, vcc
	v_cndmask_b32_e32 v12, v12, v13, vcc
	v_lshlrev_b32_e32 v13, 24, v10
	v_mov_b32_e32 v18, 0x3b800000
	v_lshlrev_b32_e32 v9, 20, v9
	v_and_b32_e32 v13, 0x80000000, v13
	v_lshl_add_u32 v12, v12, 23, v18
	v_or3_b32 v9, v13, v12, v9
.LBB53_1864:
	s_or_b64 exec, exec, s[6:7]
	s_nop 0
	v_mfma_f32_16x16x4f32 a[0:3], v8, v9, a[0:3]
	v_lshrrev_b32_e32 v9, 8, v14
	s_movk_i32 s4, 0x7f
	v_cmp_gt_i16_sdwa s[6:7], v9, s4 src0_sel:BYTE_0 src1_sel:DWORD
	s_mov_b64 s[4:5], 0
                                        ; implicit-def: $sgpr10
	s_and_saveexec_b64 s[8:9], s[6:7]
	s_xor_b64 s[6:7], exec, s[8:9]
	s_cbranch_execnz .LBB53_3913
; %bb.1865:
	s_or_saveexec_b64 s[6:7], s[6:7]
	v_mov_b32_e32 v8, s10
	s_xor_b64 exec, exec, s[6:7]
	s_cbranch_execnz .LBB53_3916
.LBB53_1866:
	s_or_b64 exec, exec, s[6:7]
	s_and_saveexec_b64 s[6:7], s[4:5]
	s_cbranch_execz .LBB53_1868
.LBB53_1867:
	v_bfe_u32 v8, v14, 8, 3
	v_ffbh_u32_e32 v13, v8
	v_min_u32_e32 v13, 32, v13
	v_lshrrev_b16_e32 v12, 3, v9
	v_subrev_u32_e32 v18, 28, v13
	v_and_b32_e32 v12, 15, v12
	v_lshlrev_b32_e32 v9, v18, v9
	v_sub_u32_e32 v13, 29, v13
	v_and_b32_e32 v9, 7, v9
	v_cmp_eq_u16_e32 vcc, 0, v12
	v_cndmask_b32_e32 v8, v8, v9, vcc
	v_cndmask_b32_e32 v9, v12, v13, vcc
	v_lshlrev_b32_e32 v12, 16, v14
	v_mov_b32_e32 v13, 0x3b800000
	v_lshlrev_b32_e32 v8, 20, v8
	v_and_b32_e32 v12, 0x80000000, v12
	v_lshl_add_u32 v9, v9, 23, v13
	v_or3_b32 v8, v12, v9, v8
.LBB53_1868:
	s_or_b64 exec, exec, s[6:7]
	v_lshrrev_b32_e32 v9, 8, v10
	s_movk_i32 s4, 0x7f
	v_cmp_gt_i16_sdwa s[6:7], v9, s4 src0_sel:BYTE_0 src1_sel:DWORD
	s_mov_b64 s[4:5], 0
                                        ; implicit-def: $sgpr10
	s_and_saveexec_b64 s[8:9], s[6:7]
	s_xor_b64 s[6:7], exec, s[8:9]
	s_cbranch_execnz .LBB53_3917
; %bb.1869:
	s_or_saveexec_b64 s[6:7], s[6:7]
	v_mov_b32_e32 v12, s10
	s_xor_b64 exec, exec, s[6:7]
	s_cbranch_execnz .LBB53_3920
.LBB53_1870:
	s_or_b64 exec, exec, s[6:7]
	s_and_saveexec_b64 s[6:7], s[4:5]
	s_cbranch_execz .LBB53_1872
.LBB53_1871:
	v_bfe_u32 v12, v10, 8, 3
	v_ffbh_u32_e32 v18, v12
	v_min_u32_e32 v18, 32, v18
	v_lshrrev_b16_e32 v13, 3, v9
	v_subrev_u32_e32 v19, 28, v18
	v_and_b32_e32 v13, 15, v13
	v_lshlrev_b32_e32 v9, v19, v9
	v_sub_u32_e32 v18, 29, v18
	v_and_b32_e32 v9, 7, v9
	v_cmp_eq_u16_e32 vcc, 0, v13
	v_cndmask_b32_e32 v9, v12, v9, vcc
	v_cndmask_b32_e32 v12, v13, v18, vcc
	v_lshlrev_b32_e32 v13, 16, v10
	v_mov_b32_e32 v18, 0x3b800000
	v_lshlrev_b32_e32 v9, 20, v9
	v_and_b32_e32 v13, 0x80000000, v13
	v_lshl_add_u32 v12, v12, 23, v18
	v_or3_b32 v12, v13, v12, v9
.LBB53_1872:
	s_or_b64 exec, exec, s[6:7]
	s_nop 0
	v_mfma_f32_16x16x4f32 a[0:3], v8, v12, a[0:3]
	s_movk_i32 s4, 0xff
	v_and_b32_sdwa v9, v14, s4 dst_sel:DWORD dst_unused:UNUSED_PAD src0_sel:WORD_1 src1_sel:DWORD
	s_movk_i32 s4, 0x7f
	v_cmp_lt_i16_e32 vcc, s4, v9
	s_mov_b64 s[4:5], 0
                                        ; implicit-def: $sgpr10
	s_and_saveexec_b64 s[6:7], vcc
	s_xor_b64 s[6:7], exec, s[6:7]
	s_cbranch_execnz .LBB53_3921
; %bb.1873:
	s_or_saveexec_b64 s[6:7], s[6:7]
	v_mov_b32_e32 v8, s10
	s_xor_b64 exec, exec, s[6:7]
	s_cbranch_execnz .LBB53_3924
.LBB53_1874:
	s_or_b64 exec, exec, s[6:7]
	s_and_saveexec_b64 s[6:7], s[4:5]
	s_cbranch_execz .LBB53_1876
.LBB53_1875:
	v_bfe_u32 v8, v14, 16, 3
	v_ffbh_u32_e32 v13, v8
	v_min_u32_e32 v13, 32, v13
	v_lshrrev_b32_e32 v9, 19, v14
	v_subrev_u32_e32 v18, 28, v13
	v_and_b32_e32 v9, 15, v9
	v_lshlrev_b32_sdwa v18, v18, v14 dst_sel:DWORD dst_unused:UNUSED_PAD src0_sel:DWORD src1_sel:WORD_1
	v_bfe_u32 v12, v14, 19, 4
	v_sub_u32_e32 v13, 29, v13
	v_and_b32_e32 v18, 7, v18
	v_cmp_eq_u16_e32 vcc, 0, v9
	v_cndmask_b32_e32 v8, v8, v18, vcc
	v_cndmask_b32_e32 v9, v12, v13, vcc
	v_lshlrev_b32_e32 v12, 8, v14
	v_mov_b32_e32 v13, 0x3b800000
	v_lshlrev_b32_e32 v8, 20, v8
	v_and_b32_e32 v12, 0x80000000, v12
	v_lshl_add_u32 v9, v9, 23, v13
	v_or3_b32 v8, v12, v9, v8
.LBB53_1876:
	s_or_b64 exec, exec, s[6:7]
	s_movk_i32 s4, 0xff
	v_and_b32_sdwa v9, v10, s4 dst_sel:DWORD dst_unused:UNUSED_PAD src0_sel:WORD_1 src1_sel:DWORD
	s_movk_i32 s4, 0x7f
	v_cmp_lt_i16_e32 vcc, s4, v9
	s_mov_b64 s[4:5], 0
                                        ; implicit-def: $sgpr10
	s_and_saveexec_b64 s[6:7], vcc
	s_xor_b64 s[6:7], exec, s[6:7]
	s_cbranch_execnz .LBB53_3925
; %bb.1877:
	s_or_saveexec_b64 s[6:7], s[6:7]
	v_mov_b32_e32 v12, s10
	s_xor_b64 exec, exec, s[6:7]
	s_cbranch_execnz .LBB53_3928
.LBB53_1878:
	s_or_b64 exec, exec, s[6:7]
	s_and_saveexec_b64 s[6:7], s[4:5]
	s_cbranch_execz .LBB53_1880
.LBB53_1879:
	v_bfe_u32 v9, v10, 16, 3
	v_ffbh_u32_e32 v18, v9
	v_min_u32_e32 v18, 32, v18
	v_lshrrev_b32_e32 v12, 19, v10
	v_subrev_u32_e32 v19, 28, v18
	v_and_b32_e32 v12, 15, v12
	v_lshlrev_b32_sdwa v19, v19, v10 dst_sel:DWORD dst_unused:UNUSED_PAD src0_sel:DWORD src1_sel:WORD_1
	v_bfe_u32 v13, v10, 19, 4
	v_sub_u32_e32 v18, 29, v18
	v_and_b32_e32 v19, 7, v19
	v_cmp_eq_u16_e32 vcc, 0, v12
	v_cndmask_b32_e32 v9, v9, v19, vcc
	v_cndmask_b32_e32 v12, v13, v18, vcc
	v_lshlrev_b32_e32 v13, 8, v10
	v_mov_b32_e32 v18, 0x3b800000
	v_lshlrev_b32_e32 v9, 20, v9
	v_and_b32_e32 v13, 0x80000000, v13
	v_lshl_add_u32 v12, v12, 23, v18
	v_or3_b32 v12, v13, v12, v9
.LBB53_1880:
	s_or_b64 exec, exec, s[6:7]
	s_nop 0
	v_mfma_f32_16x16x4f32 a[0:3], v8, v12, a[0:3]
	s_movk_i32 s4, 0x7f
	v_cmp_gt_i16_sdwa s[6:7], v14, s4 src0_sel:BYTE_3 src1_sel:DWORD
	s_mov_b64 s[4:5], 0
                                        ; implicit-def: $sgpr10
	s_and_saveexec_b64 s[8:9], s[6:7]
	s_xor_b64 s[6:7], exec, s[8:9]
	s_cbranch_execnz .LBB53_3929
; %bb.1881:
	s_or_saveexec_b64 s[6:7], s[6:7]
	v_mov_b32_e32 v8, s10
	s_xor_b64 exec, exec, s[6:7]
	s_cbranch_execnz .LBB53_3932
.LBB53_1882:
	s_or_b64 exec, exec, s[6:7]
	s_and_saveexec_b64 s[6:7], s[4:5]
	s_cbranch_execz .LBB53_1884
.LBB53_1883:
	v_bfe_u32 v8, v14, 24, 3
	v_ffbh_u32_e32 v18, v8
	v_min_u32_e32 v18, 32, v18
	v_lshrrev_b32_e32 v12, 27, v14
	v_subrev_u32_e32 v19, 28, v18
	v_and_b32_e32 v9, 0x80000000, v14
	v_and_b32_e32 v12, 15, v12
	v_bfe_u32 v13, v14, 27, 4
	v_lshlrev_b32_sdwa v14, v19, v14 dst_sel:DWORD dst_unused:UNUSED_PAD src0_sel:DWORD src1_sel:BYTE_3
	v_sub_u32_e32 v18, 29, v18
	v_and_b32_e32 v14, 7, v14
	v_cmp_eq_u16_e32 vcc, 0, v12
	v_cndmask_b32_e32 v8, v8, v14, vcc
	v_cndmask_b32_e32 v12, v13, v18, vcc
	v_mov_b32_e32 v13, 0x3b800000
	v_lshlrev_b32_e32 v8, 20, v8
	v_lshl_add_u32 v12, v12, 23, v13
	v_or3_b32 v8, v9, v12, v8
.LBB53_1884:
	s_or_b64 exec, exec, s[6:7]
	s_movk_i32 s4, 0x7f
	v_cmp_gt_i16_sdwa s[6:7], v10, s4 src0_sel:BYTE_3 src1_sel:DWORD
	s_mov_b64 s[4:5], 0
                                        ; implicit-def: $sgpr10
	s_and_saveexec_b64 s[8:9], s[6:7]
	s_xor_b64 s[6:7], exec, s[8:9]
	s_cbranch_execnz .LBB53_3933
; %bb.1885:
	s_or_saveexec_b64 s[6:7], s[6:7]
	v_mov_b32_e32 v9, s10
	s_xor_b64 exec, exec, s[6:7]
	s_cbranch_execnz .LBB53_3936
.LBB53_1886:
	s_or_b64 exec, exec, s[6:7]
	s_and_saveexec_b64 s[6:7], s[4:5]
	s_cbranch_execz .LBB53_1888
.LBB53_1887:
	v_bfe_u32 v9, v10, 24, 3
	v_ffbh_u32_e32 v18, v9
	v_min_u32_e32 v18, 32, v18
	v_lshrrev_b32_e32 v13, 27, v10
	v_subrev_u32_e32 v19, 28, v18
	v_and_b32_e32 v12, 0x80000000, v10
	v_and_b32_e32 v13, 15, v13
	v_bfe_u32 v14, v10, 27, 4
	v_lshlrev_b32_sdwa v10, v19, v10 dst_sel:DWORD dst_unused:UNUSED_PAD src0_sel:DWORD src1_sel:BYTE_3
	v_sub_u32_e32 v18, 29, v18
	v_and_b32_e32 v10, 7, v10
	v_cmp_eq_u16_e32 vcc, 0, v13
	v_cndmask_b32_e32 v9, v9, v10, vcc
	v_cndmask_b32_e32 v10, v14, v18, vcc
	v_mov_b32_e32 v13, 0x3b800000
	v_lshlrev_b32_e32 v9, 20, v9
	v_lshl_add_u32 v10, v10, 23, v13
	v_or3_b32 v9, v12, v10, v9
.LBB53_1888:
	s_or_b64 exec, exec, s[6:7]
	s_nop 0
	v_mfma_f32_16x16x4f32 a[0:3], v8, v9, a[0:3]
	s_movk_i32 s4, 0x7f
	v_cmp_gt_i16_sdwa s[6:7], v15, s4 src0_sel:BYTE_0 src1_sel:DWORD
	s_mov_b64 s[4:5], 0
                                        ; implicit-def: $sgpr10
	s_and_saveexec_b64 s[8:9], s[6:7]
	s_xor_b64 s[6:7], exec, s[8:9]
	s_cbranch_execnz .LBB53_3937
; %bb.1889:
	s_or_saveexec_b64 s[6:7], s[6:7]
	v_mov_b32_e32 v8, s10
	s_xor_b64 exec, exec, s[6:7]
	s_cbranch_execnz .LBB53_3940
.LBB53_1890:
	s_or_b64 exec, exec, s[6:7]
	s_and_saveexec_b64 s[6:7], s[4:5]
	s_cbranch_execz .LBB53_1892
.LBB53_1891:
	v_and_b32_e32 v8, 7, v15
	v_ffbh_u32_e32 v10, v8
	v_min_u32_e32 v10, 32, v10
	v_lshrrev_b16_e32 v9, 3, v15
	v_subrev_u32_e32 v12, 28, v10
	v_and_b32_e32 v9, 15, v9
	v_lshlrev_b32_e32 v12, v12, v15
	v_sub_u32_e32 v10, 29, v10
	v_and_b32_e32 v12, 7, v12
	v_cmp_eq_u16_e32 vcc, 0, v9
	v_cndmask_b32_e32 v8, v8, v12, vcc
	v_cndmask_b32_e32 v9, v9, v10, vcc
	v_lshlrev_b32_e32 v10, 24, v15
	v_mov_b32_e32 v12, 0x3b800000
	v_lshlrev_b32_e32 v8, 20, v8
	v_and_b32_e32 v10, 0x80000000, v10
	v_lshl_add_u32 v9, v9, 23, v12
	v_or3_b32 v8, v10, v9, v8
.LBB53_1892:
	s_or_b64 exec, exec, s[6:7]
	s_movk_i32 s4, 0x7f
	v_cmp_gt_i16_sdwa s[6:7], v11, s4 src0_sel:BYTE_0 src1_sel:DWORD
	s_mov_b64 s[4:5], 0
                                        ; implicit-def: $sgpr10
	s_and_saveexec_b64 s[8:9], s[6:7]
	s_xor_b64 s[6:7], exec, s[8:9]
	s_cbranch_execnz .LBB53_3941
; %bb.1893:
	s_or_saveexec_b64 s[6:7], s[6:7]
	v_mov_b32_e32 v9, s10
	s_xor_b64 exec, exec, s[6:7]
	s_cbranch_execnz .LBB53_3944
.LBB53_1894:
	s_or_b64 exec, exec, s[6:7]
	s_and_saveexec_b64 s[6:7], s[4:5]
	s_cbranch_execz .LBB53_1896
.LBB53_1895:
	v_and_b32_e32 v9, 7, v11
	v_ffbh_u32_e32 v12, v9
	v_min_u32_e32 v12, 32, v12
	v_lshrrev_b16_e32 v10, 3, v11
	v_subrev_u32_e32 v13, 28, v12
	v_and_b32_e32 v10, 15, v10
	v_lshlrev_b32_e32 v13, v13, v11
	v_sub_u32_e32 v12, 29, v12
	v_and_b32_e32 v13, 7, v13
	v_cmp_eq_u16_e32 vcc, 0, v10
	v_cndmask_b32_e32 v9, v9, v13, vcc
	v_cndmask_b32_e32 v10, v10, v12, vcc
	v_lshlrev_b32_e32 v12, 24, v11
	v_mov_b32_e32 v13, 0x3b800000
	v_lshlrev_b32_e32 v9, 20, v9
	v_and_b32_e32 v12, 0x80000000, v12
	v_lshl_add_u32 v10, v10, 23, v13
	v_or3_b32 v9, v12, v10, v9
.LBB53_1896:
	s_or_b64 exec, exec, s[6:7]
	s_nop 0
	v_mfma_f32_16x16x4f32 a[0:3], v8, v9, a[0:3]
	v_lshrrev_b32_e32 v9, 8, v15
	s_movk_i32 s4, 0x7f
	v_cmp_gt_i16_sdwa s[6:7], v9, s4 src0_sel:BYTE_0 src1_sel:DWORD
	s_mov_b64 s[4:5], 0
                                        ; implicit-def: $sgpr10
	s_and_saveexec_b64 s[8:9], s[6:7]
	s_xor_b64 s[6:7], exec, s[8:9]
	s_cbranch_execnz .LBB53_3945
; %bb.1897:
	s_or_saveexec_b64 s[6:7], s[6:7]
	v_mov_b32_e32 v8, s10
	s_xor_b64 exec, exec, s[6:7]
	s_cbranch_execnz .LBB53_3948
.LBB53_1898:
	s_or_b64 exec, exec, s[6:7]
	s_and_saveexec_b64 s[6:7], s[4:5]
	s_cbranch_execz .LBB53_1900
.LBB53_1899:
	v_bfe_u32 v8, v15, 8, 3
	v_ffbh_u32_e32 v12, v8
	v_min_u32_e32 v12, 32, v12
	v_lshrrev_b16_e32 v10, 3, v9
	v_subrev_u32_e32 v13, 28, v12
	v_and_b32_e32 v10, 15, v10
	v_lshlrev_b32_e32 v9, v13, v9
	v_sub_u32_e32 v12, 29, v12
	v_and_b32_e32 v9, 7, v9
	v_cmp_eq_u16_e32 vcc, 0, v10
	v_cndmask_b32_e32 v8, v8, v9, vcc
	v_cndmask_b32_e32 v9, v10, v12, vcc
	v_lshlrev_b32_e32 v10, 16, v15
	v_mov_b32_e32 v12, 0x3b800000
	v_lshlrev_b32_e32 v8, 20, v8
	v_and_b32_e32 v10, 0x80000000, v10
	v_lshl_add_u32 v9, v9, 23, v12
	v_or3_b32 v8, v10, v9, v8
.LBB53_1900:
	s_or_b64 exec, exec, s[6:7]
	v_lshrrev_b32_e32 v9, 8, v11
	s_movk_i32 s4, 0x7f
	v_cmp_gt_i16_sdwa s[6:7], v9, s4 src0_sel:BYTE_0 src1_sel:DWORD
	s_mov_b64 s[4:5], 0
                                        ; implicit-def: $sgpr10
	s_and_saveexec_b64 s[8:9], s[6:7]
	s_xor_b64 s[6:7], exec, s[8:9]
	s_cbranch_execnz .LBB53_3949
; %bb.1901:
	s_or_saveexec_b64 s[6:7], s[6:7]
	v_mov_b32_e32 v10, s10
	s_xor_b64 exec, exec, s[6:7]
	s_cbranch_execnz .LBB53_3952
.LBB53_1902:
	s_or_b64 exec, exec, s[6:7]
	s_and_saveexec_b64 s[6:7], s[4:5]
	s_cbranch_execz .LBB53_1904
.LBB53_1903:
	v_bfe_u32 v10, v11, 8, 3
	v_ffbh_u32_e32 v13, v10
	v_min_u32_e32 v13, 32, v13
	v_lshrrev_b16_e32 v12, 3, v9
	v_subrev_u32_e32 v14, 28, v13
	v_and_b32_e32 v12, 15, v12
	v_lshlrev_b32_e32 v9, v14, v9
	v_sub_u32_e32 v13, 29, v13
	v_and_b32_e32 v9, 7, v9
	v_cmp_eq_u16_e32 vcc, 0, v12
	v_cndmask_b32_e32 v9, v10, v9, vcc
	v_cndmask_b32_e32 v10, v12, v13, vcc
	v_lshlrev_b32_e32 v12, 16, v11
	v_mov_b32_e32 v13, 0x3b800000
	v_lshlrev_b32_e32 v9, 20, v9
	v_and_b32_e32 v12, 0x80000000, v12
	v_lshl_add_u32 v10, v10, 23, v13
	v_or3_b32 v10, v12, v10, v9
.LBB53_1904:
	s_or_b64 exec, exec, s[6:7]
	s_nop 0
	v_mfma_f32_16x16x4f32 a[0:3], v8, v10, a[0:3]
	s_movk_i32 s4, 0xff
	v_and_b32_sdwa v9, v15, s4 dst_sel:DWORD dst_unused:UNUSED_PAD src0_sel:WORD_1 src1_sel:DWORD
	s_movk_i32 s4, 0x7f
	v_cmp_lt_i16_e32 vcc, s4, v9
	s_mov_b64 s[4:5], 0
                                        ; implicit-def: $sgpr10
	s_and_saveexec_b64 s[6:7], vcc
	s_xor_b64 s[6:7], exec, s[6:7]
	s_cbranch_execnz .LBB53_3953
; %bb.1905:
	s_or_saveexec_b64 s[6:7], s[6:7]
	v_mov_b32_e32 v8, s10
	s_xor_b64 exec, exec, s[6:7]
	s_cbranch_execnz .LBB53_3956
.LBB53_1906:
	s_or_b64 exec, exec, s[6:7]
	s_and_saveexec_b64 s[6:7], s[4:5]
	s_cbranch_execz .LBB53_1908
.LBB53_1907:
	v_bfe_u32 v8, v15, 16, 3
	v_ffbh_u32_e32 v12, v8
	v_min_u32_e32 v12, 32, v12
	v_lshrrev_b32_e32 v9, 19, v15
	v_subrev_u32_e32 v13, 28, v12
	v_and_b32_e32 v9, 15, v9
	v_lshlrev_b32_sdwa v13, v13, v15 dst_sel:DWORD dst_unused:UNUSED_PAD src0_sel:DWORD src1_sel:WORD_1
	v_bfe_u32 v10, v15, 19, 4
	v_sub_u32_e32 v12, 29, v12
	v_and_b32_e32 v13, 7, v13
	v_cmp_eq_u16_e32 vcc, 0, v9
	v_cndmask_b32_e32 v8, v8, v13, vcc
	v_cndmask_b32_e32 v9, v10, v12, vcc
	v_lshlrev_b32_e32 v10, 8, v15
	v_mov_b32_e32 v12, 0x3b800000
	v_lshlrev_b32_e32 v8, 20, v8
	v_and_b32_e32 v10, 0x80000000, v10
	v_lshl_add_u32 v9, v9, 23, v12
	v_or3_b32 v8, v10, v9, v8
.LBB53_1908:
	s_or_b64 exec, exec, s[6:7]
	s_movk_i32 s4, 0xff
	v_and_b32_sdwa v9, v11, s4 dst_sel:DWORD dst_unused:UNUSED_PAD src0_sel:WORD_1 src1_sel:DWORD
	s_movk_i32 s4, 0x7f
	v_cmp_lt_i16_e32 vcc, s4, v9
	s_mov_b64 s[4:5], 0
                                        ; implicit-def: $sgpr10
	s_and_saveexec_b64 s[6:7], vcc
	s_xor_b64 s[6:7], exec, s[6:7]
	s_cbranch_execnz .LBB53_3957
; %bb.1909:
	s_or_saveexec_b64 s[6:7], s[6:7]
	v_mov_b32_e32 v10, s10
	s_xor_b64 exec, exec, s[6:7]
	s_cbranch_execnz .LBB53_3960
.LBB53_1910:
	s_or_b64 exec, exec, s[6:7]
	s_and_saveexec_b64 s[6:7], s[4:5]
	s_cbranch_execz .LBB53_1912
.LBB53_1911:
	v_bfe_u32 v9, v11, 16, 3
	v_ffbh_u32_e32 v13, v9
	v_min_u32_e32 v13, 32, v13
	v_lshrrev_b32_e32 v10, 19, v11
	v_subrev_u32_e32 v14, 28, v13
	v_and_b32_e32 v10, 15, v10
	v_lshlrev_b32_sdwa v14, v14, v11 dst_sel:DWORD dst_unused:UNUSED_PAD src0_sel:DWORD src1_sel:WORD_1
	v_bfe_u32 v12, v11, 19, 4
	v_sub_u32_e32 v13, 29, v13
	v_and_b32_e32 v14, 7, v14
	v_cmp_eq_u16_e32 vcc, 0, v10
	v_cndmask_b32_e32 v9, v9, v14, vcc
	v_cndmask_b32_e32 v10, v12, v13, vcc
	v_lshlrev_b32_e32 v12, 8, v11
	v_mov_b32_e32 v13, 0x3b800000
	v_lshlrev_b32_e32 v9, 20, v9
	v_and_b32_e32 v12, 0x80000000, v12
	v_lshl_add_u32 v10, v10, 23, v13
	v_or3_b32 v10, v12, v10, v9
.LBB53_1912:
	s_or_b64 exec, exec, s[6:7]
	s_nop 0
	v_mfma_f32_16x16x4f32 a[0:3], v8, v10, a[0:3]
	s_movk_i32 s4, 0x7f
	v_cmp_gt_i16_sdwa s[6:7], v15, s4 src0_sel:BYTE_3 src1_sel:DWORD
	s_mov_b64 s[4:5], 0
                                        ; implicit-def: $sgpr10
	s_and_saveexec_b64 s[8:9], s[6:7]
	s_xor_b64 s[6:7], exec, s[8:9]
	s_cbranch_execnz .LBB53_3961
; %bb.1913:
	s_or_saveexec_b64 s[6:7], s[6:7]
	v_mov_b32_e32 v8, s10
	s_xor_b64 exec, exec, s[6:7]
	s_cbranch_execnz .LBB53_3964
.LBB53_1914:
	s_or_b64 exec, exec, s[6:7]
	s_and_saveexec_b64 s[6:7], s[4:5]
	s_cbranch_execz .LBB53_1916
.LBB53_1915:
	v_bfe_u32 v8, v15, 24, 3
	v_ffbh_u32_e32 v13, v8
	v_min_u32_e32 v13, 32, v13
	v_lshrrev_b32_e32 v10, 27, v15
	v_subrev_u32_e32 v14, 28, v13
	v_and_b32_e32 v10, 15, v10
	v_lshlrev_b32_sdwa v14, v14, v15 dst_sel:DWORD dst_unused:UNUSED_PAD src0_sel:DWORD src1_sel:BYTE_3
	v_bfe_u32 v12, v15, 27, 4
	v_sub_u32_e32 v13, 29, v13
	v_and_b32_e32 v14, 7, v14
	v_cmp_eq_u16_e32 vcc, 0, v10
	v_cndmask_b32_e32 v8, v8, v14, vcc
	v_cndmask_b32_e32 v10, v12, v13, vcc
	v_mov_b32_e32 v12, 0x3b800000
	v_and_b32_e32 v9, 0x80000000, v15
	v_lshlrev_b32_e32 v8, 20, v8
	v_lshl_add_u32 v10, v10, 23, v12
	v_or3_b32 v8, v9, v10, v8
.LBB53_1916:
	s_or_b64 exec, exec, s[6:7]
	s_movk_i32 s4, 0x7f
	v_cmp_gt_i16_sdwa s[6:7], v11, s4 src0_sel:BYTE_3 src1_sel:DWORD
	s_mov_b64 s[4:5], 0
                                        ; implicit-def: $sgpr10
	s_and_saveexec_b64 s[8:9], s[6:7]
	s_xor_b64 s[6:7], exec, s[8:9]
	s_cbranch_execnz .LBB53_3965
; %bb.1917:
	s_or_saveexec_b64 s[6:7], s[6:7]
	v_mov_b32_e32 v9, s10
	s_xor_b64 exec, exec, s[6:7]
	s_cbranch_execnz .LBB53_3968
.LBB53_1918:
	s_or_b64 exec, exec, s[6:7]
	s_and_saveexec_b64 s[6:7], s[4:5]
	s_cbranch_execz .LBB53_1920
.LBB53_1919:
	v_bfe_u32 v9, v11, 24, 3
	v_ffbh_u32_e32 v14, v9
	v_min_u32_e32 v14, 32, v14
	v_lshrrev_b32_e32 v12, 27, v11
	v_subrev_u32_e32 v15, 28, v14
	v_and_b32_e32 v10, 0x80000000, v11
	v_and_b32_e32 v12, 15, v12
	v_bfe_u32 v13, v11, 27, 4
	v_lshlrev_b32_sdwa v11, v15, v11 dst_sel:DWORD dst_unused:UNUSED_PAD src0_sel:DWORD src1_sel:BYTE_3
	v_sub_u32_e32 v14, 29, v14
	v_and_b32_e32 v11, 7, v11
	v_cmp_eq_u16_e32 vcc, 0, v12
	v_cndmask_b32_e32 v9, v9, v11, vcc
	v_cndmask_b32_e32 v11, v13, v14, vcc
	v_mov_b32_e32 v12, 0x3b800000
	v_lshlrev_b32_e32 v9, 20, v9
	v_lshl_add_u32 v11, v11, 23, v12
	v_or3_b32 v9, v10, v11, v9
.LBB53_1920:
	s_or_b64 exec, exec, s[6:7]
	s_nop 0
	v_mfma_f32_16x16x4f32 a[0:3], v8, v9, a[0:3]
	s_movk_i32 s4, 0x7f
	v_cmp_gt_i16_sdwa s[6:7], v4, s4 src0_sel:BYTE_0 src1_sel:DWORD
	s_mov_b64 s[4:5], 0
                                        ; implicit-def: $sgpr10
	s_and_saveexec_b64 s[8:9], s[6:7]
	s_xor_b64 s[6:7], exec, s[8:9]
	s_cbranch_execnz .LBB53_3969
; %bb.1921:
	s_or_saveexec_b64 s[6:7], s[6:7]
	v_mov_b32_e32 v8, s10
	s_xor_b64 exec, exec, s[6:7]
	s_cbranch_execnz .LBB53_3972
.LBB53_1922:
	s_or_b64 exec, exec, s[6:7]
	s_and_saveexec_b64 s[6:7], s[4:5]
	s_cbranch_execz .LBB53_1924
.LBB53_1923:
	v_and_b32_e32 v8, 7, v4
	v_ffbh_u32_e32 v10, v8
	v_min_u32_e32 v10, 32, v10
	v_lshrrev_b16_e32 v9, 3, v4
	v_subrev_u32_e32 v11, 28, v10
	v_and_b32_e32 v9, 15, v9
	v_lshlrev_b32_e32 v11, v11, v4
	v_sub_u32_e32 v10, 29, v10
	v_and_b32_e32 v11, 7, v11
	v_cmp_eq_u16_e32 vcc, 0, v9
	v_cndmask_b32_e32 v8, v8, v11, vcc
	v_cndmask_b32_e32 v9, v9, v10, vcc
	v_lshlrev_b32_e32 v10, 24, v4
	v_mov_b32_e32 v11, 0x3b800000
	v_lshlrev_b32_e32 v8, 20, v8
	v_and_b32_e32 v10, 0x80000000, v10
	v_lshl_add_u32 v9, v9, 23, v11
	v_or3_b32 v8, v10, v9, v8
.LBB53_1924:
	s_or_b64 exec, exec, s[6:7]
	s_movk_i32 s4, 0x7f
	v_cmp_gt_i16_sdwa s[6:7], v0, s4 src0_sel:BYTE_0 src1_sel:DWORD
	s_mov_b64 s[4:5], 0
                                        ; implicit-def: $sgpr10
	s_and_saveexec_b64 s[8:9], s[6:7]
	s_xor_b64 s[6:7], exec, s[8:9]
	s_cbranch_execnz .LBB53_3973
; %bb.1925:
	s_or_saveexec_b64 s[6:7], s[6:7]
	v_mov_b32_e32 v9, s10
	s_xor_b64 exec, exec, s[6:7]
	s_cbranch_execnz .LBB53_3976
.LBB53_1926:
	s_or_b64 exec, exec, s[6:7]
	s_and_saveexec_b64 s[6:7], s[4:5]
	s_cbranch_execz .LBB53_1928
.LBB53_1927:
	v_and_b32_e32 v9, 7, v0
	v_ffbh_u32_e32 v11, v9
	v_min_u32_e32 v11, 32, v11
	v_lshrrev_b16_e32 v10, 3, v0
	v_subrev_u32_e32 v12, 28, v11
	v_and_b32_e32 v10, 15, v10
	v_lshlrev_b32_e32 v12, v12, v0
	v_sub_u32_e32 v11, 29, v11
	v_and_b32_e32 v12, 7, v12
	v_cmp_eq_u16_e32 vcc, 0, v10
	v_cndmask_b32_e32 v9, v9, v12, vcc
	v_cndmask_b32_e32 v10, v10, v11, vcc
	v_lshlrev_b32_e32 v11, 24, v0
	v_mov_b32_e32 v12, 0x3b800000
	v_lshlrev_b32_e32 v9, 20, v9
	v_and_b32_e32 v11, 0x80000000, v11
	v_lshl_add_u32 v10, v10, 23, v12
	v_or3_b32 v9, v11, v10, v9
.LBB53_1928:
	s_or_b64 exec, exec, s[6:7]
	s_nop 0
	v_mfma_f32_16x16x4f32 a[0:3], v8, v9, a[0:3]
	v_lshrrev_b32_e32 v9, 8, v4
	s_movk_i32 s4, 0x7f
	v_cmp_gt_i16_sdwa s[6:7], v9, s4 src0_sel:BYTE_0 src1_sel:DWORD
	s_mov_b64 s[4:5], 0
                                        ; implicit-def: $sgpr10
	s_and_saveexec_b64 s[8:9], s[6:7]
	s_xor_b64 s[6:7], exec, s[8:9]
	s_cbranch_execnz .LBB53_3977
; %bb.1929:
	s_or_saveexec_b64 s[6:7], s[6:7]
	v_mov_b32_e32 v8, s10
	s_xor_b64 exec, exec, s[6:7]
	s_cbranch_execnz .LBB53_3980
.LBB53_1930:
	s_or_b64 exec, exec, s[6:7]
	s_and_saveexec_b64 s[6:7], s[4:5]
	s_cbranch_execz .LBB53_1932
.LBB53_1931:
	v_bfe_u32 v8, v4, 8, 3
	v_ffbh_u32_e32 v11, v8
	v_min_u32_e32 v11, 32, v11
	v_lshrrev_b16_e32 v10, 3, v9
	v_subrev_u32_e32 v12, 28, v11
	v_and_b32_e32 v10, 15, v10
	v_lshlrev_b32_e32 v9, v12, v9
	v_sub_u32_e32 v11, 29, v11
	v_and_b32_e32 v9, 7, v9
	v_cmp_eq_u16_e32 vcc, 0, v10
	v_cndmask_b32_e32 v8, v8, v9, vcc
	v_cndmask_b32_e32 v9, v10, v11, vcc
	v_lshlrev_b32_e32 v10, 16, v4
	v_mov_b32_e32 v11, 0x3b800000
	v_lshlrev_b32_e32 v8, 20, v8
	v_and_b32_e32 v10, 0x80000000, v10
	v_lshl_add_u32 v9, v9, 23, v11
	v_or3_b32 v8, v10, v9, v8
.LBB53_1932:
	s_or_b64 exec, exec, s[6:7]
	v_lshrrev_b32_e32 v9, 8, v0
	s_movk_i32 s4, 0x7f
	v_cmp_gt_i16_sdwa s[6:7], v9, s4 src0_sel:BYTE_0 src1_sel:DWORD
	s_mov_b64 s[4:5], 0
                                        ; implicit-def: $sgpr10
	s_and_saveexec_b64 s[8:9], s[6:7]
	s_xor_b64 s[6:7], exec, s[8:9]
	s_cbranch_execnz .LBB53_3981
; %bb.1933:
	s_or_saveexec_b64 s[6:7], s[6:7]
	v_mov_b32_e32 v10, s10
	s_xor_b64 exec, exec, s[6:7]
	s_cbranch_execnz .LBB53_3984
.LBB53_1934:
	s_or_b64 exec, exec, s[6:7]
	s_and_saveexec_b64 s[6:7], s[4:5]
	s_cbranch_execz .LBB53_1936
.LBB53_1935:
	v_bfe_u32 v10, v0, 8, 3
	v_ffbh_u32_e32 v12, v10
	v_min_u32_e32 v12, 32, v12
	v_lshrrev_b16_e32 v11, 3, v9
	v_subrev_u32_e32 v13, 28, v12
	v_and_b32_e32 v11, 15, v11
	v_lshlrev_b32_e32 v9, v13, v9
	v_sub_u32_e32 v12, 29, v12
	v_and_b32_e32 v9, 7, v9
	v_cmp_eq_u16_e32 vcc, 0, v11
	v_cndmask_b32_e32 v9, v10, v9, vcc
	v_cndmask_b32_e32 v10, v11, v12, vcc
	v_lshlrev_b32_e32 v11, 16, v0
	v_mov_b32_e32 v12, 0x3b800000
	v_lshlrev_b32_e32 v9, 20, v9
	v_and_b32_e32 v11, 0x80000000, v11
	v_lshl_add_u32 v10, v10, 23, v12
	v_or3_b32 v10, v11, v10, v9
.LBB53_1936:
	s_or_b64 exec, exec, s[6:7]
	s_nop 0
	v_mfma_f32_16x16x4f32 a[0:3], v8, v10, a[0:3]
	s_movk_i32 s4, 0xff
	v_and_b32_sdwa v9, v4, s4 dst_sel:DWORD dst_unused:UNUSED_PAD src0_sel:WORD_1 src1_sel:DWORD
	s_movk_i32 s4, 0x7f
	v_cmp_lt_i16_e32 vcc, s4, v9
	s_mov_b64 s[4:5], 0
                                        ; implicit-def: $sgpr10
	s_and_saveexec_b64 s[6:7], vcc
	s_xor_b64 s[6:7], exec, s[6:7]
	s_cbranch_execnz .LBB53_3985
; %bb.1937:
	s_or_saveexec_b64 s[6:7], s[6:7]
	v_mov_b32_e32 v8, s10
	s_xor_b64 exec, exec, s[6:7]
	s_cbranch_execnz .LBB53_3988
.LBB53_1938:
	s_or_b64 exec, exec, s[6:7]
	s_and_saveexec_b64 s[6:7], s[4:5]
	s_cbranch_execz .LBB53_1940
.LBB53_1939:
	v_bfe_u32 v8, v4, 16, 3
	v_ffbh_u32_e32 v11, v8
	v_min_u32_e32 v11, 32, v11
	v_lshrrev_b32_e32 v9, 19, v4
	v_subrev_u32_e32 v12, 28, v11
	v_and_b32_e32 v9, 15, v9
	v_lshlrev_b32_sdwa v12, v12, v4 dst_sel:DWORD dst_unused:UNUSED_PAD src0_sel:DWORD src1_sel:WORD_1
	v_bfe_u32 v10, v4, 19, 4
	v_sub_u32_e32 v11, 29, v11
	v_and_b32_e32 v12, 7, v12
	v_cmp_eq_u16_e32 vcc, 0, v9
	v_cndmask_b32_e32 v8, v8, v12, vcc
	v_cndmask_b32_e32 v9, v10, v11, vcc
	v_lshlrev_b32_e32 v10, 8, v4
	v_mov_b32_e32 v11, 0x3b800000
	v_lshlrev_b32_e32 v8, 20, v8
	v_and_b32_e32 v10, 0x80000000, v10
	v_lshl_add_u32 v9, v9, 23, v11
	v_or3_b32 v8, v10, v9, v8
.LBB53_1940:
	s_or_b64 exec, exec, s[6:7]
	s_movk_i32 s4, 0xff
	v_and_b32_sdwa v9, v0, s4 dst_sel:DWORD dst_unused:UNUSED_PAD src0_sel:WORD_1 src1_sel:DWORD
	s_movk_i32 s4, 0x7f
	v_cmp_lt_i16_e32 vcc, s4, v9
	s_mov_b64 s[4:5], 0
                                        ; implicit-def: $sgpr10
	s_and_saveexec_b64 s[6:7], vcc
	s_xor_b64 s[6:7], exec, s[6:7]
	s_cbranch_execnz .LBB53_3989
; %bb.1941:
	s_or_saveexec_b64 s[6:7], s[6:7]
	v_mov_b32_e32 v10, s10
	s_xor_b64 exec, exec, s[6:7]
	s_cbranch_execnz .LBB53_3992
.LBB53_1942:
	s_or_b64 exec, exec, s[6:7]
	s_and_saveexec_b64 s[6:7], s[4:5]
	s_cbranch_execz .LBB53_1944
.LBB53_1943:
	v_bfe_u32 v9, v0, 16, 3
	v_ffbh_u32_e32 v12, v9
	v_min_u32_e32 v12, 32, v12
	v_lshrrev_b32_e32 v10, 19, v0
	v_subrev_u32_e32 v13, 28, v12
	v_and_b32_e32 v10, 15, v10
	v_lshlrev_b32_sdwa v13, v13, v0 dst_sel:DWORD dst_unused:UNUSED_PAD src0_sel:DWORD src1_sel:WORD_1
	v_bfe_u32 v11, v0, 19, 4
	v_sub_u32_e32 v12, 29, v12
	v_and_b32_e32 v13, 7, v13
	v_cmp_eq_u16_e32 vcc, 0, v10
	v_cndmask_b32_e32 v9, v9, v13, vcc
	v_cndmask_b32_e32 v10, v11, v12, vcc
	v_lshlrev_b32_e32 v11, 8, v0
	v_mov_b32_e32 v12, 0x3b800000
	v_lshlrev_b32_e32 v9, 20, v9
	v_and_b32_e32 v11, 0x80000000, v11
	v_lshl_add_u32 v10, v10, 23, v12
	v_or3_b32 v10, v11, v10, v9
.LBB53_1944:
	s_or_b64 exec, exec, s[6:7]
	s_nop 0
	v_mfma_f32_16x16x4f32 a[0:3], v8, v10, a[0:3]
	s_movk_i32 s4, 0x7f
	v_cmp_gt_i16_sdwa s[6:7], v4, s4 src0_sel:BYTE_3 src1_sel:DWORD
	s_mov_b64 s[4:5], 0
                                        ; implicit-def: $sgpr10
	s_and_saveexec_b64 s[8:9], s[6:7]
	s_xor_b64 s[6:7], exec, s[8:9]
	s_cbranch_execnz .LBB53_3993
; %bb.1945:
	s_or_saveexec_b64 s[6:7], s[6:7]
	v_mov_b32_e32 v8, s10
	s_xor_b64 exec, exec, s[6:7]
	s_cbranch_execnz .LBB53_3996
.LBB53_1946:
	s_or_b64 exec, exec, s[6:7]
	s_and_saveexec_b64 s[6:7], s[4:5]
	s_cbranch_execz .LBB53_1948
.LBB53_1947:
	v_bfe_u32 v8, v4, 24, 3
	v_ffbh_u32_e32 v12, v8
	v_min_u32_e32 v12, 32, v12
	v_lshrrev_b32_e32 v10, 27, v4
	v_subrev_u32_e32 v13, 28, v12
	v_and_b32_e32 v9, 0x80000000, v4
	v_and_b32_e32 v10, 15, v10
	v_bfe_u32 v11, v4, 27, 4
	v_lshlrev_b32_sdwa v4, v13, v4 dst_sel:DWORD dst_unused:UNUSED_PAD src0_sel:DWORD src1_sel:BYTE_3
	v_sub_u32_e32 v12, 29, v12
	v_and_b32_e32 v4, 7, v4
	v_cmp_eq_u16_e32 vcc, 0, v10
	v_cndmask_b32_e32 v4, v8, v4, vcc
	v_cndmask_b32_e32 v8, v11, v12, vcc
	v_mov_b32_e32 v10, 0x3b800000
	v_lshlrev_b32_e32 v4, 20, v4
	v_lshl_add_u32 v8, v8, 23, v10
	v_or3_b32 v8, v9, v8, v4
.LBB53_1948:
	s_or_b64 exec, exec, s[6:7]
	s_movk_i32 s4, 0x7f
	v_cmp_gt_i16_sdwa s[6:7], v0, s4 src0_sel:BYTE_3 src1_sel:DWORD
	s_mov_b64 s[4:5], 0
                                        ; implicit-def: $sgpr10
	s_and_saveexec_b64 s[8:9], s[6:7]
	s_xor_b64 s[6:7], exec, s[8:9]
	s_cbranch_execnz .LBB53_3997
; %bb.1949:
	s_or_saveexec_b64 s[6:7], s[6:7]
	v_mov_b32_e32 v4, s10
	s_xor_b64 exec, exec, s[6:7]
	s_cbranch_execnz .LBB53_4000
.LBB53_1950:
	s_or_b64 exec, exec, s[6:7]
	s_and_saveexec_b64 s[6:7], s[4:5]
	s_cbranch_execz .LBB53_1952
.LBB53_1951:
	v_bfe_u32 v4, v0, 24, 3
	v_ffbh_u32_e32 v12, v4
	v_min_u32_e32 v12, 32, v12
	v_lshrrev_b32_e32 v10, 27, v0
	v_subrev_u32_e32 v13, 28, v12
	v_and_b32_e32 v9, 0x80000000, v0
	v_and_b32_e32 v10, 15, v10
	v_bfe_u32 v11, v0, 27, 4
	v_lshlrev_b32_sdwa v0, v13, v0 dst_sel:DWORD dst_unused:UNUSED_PAD src0_sel:DWORD src1_sel:BYTE_3
	v_sub_u32_e32 v12, 29, v12
	v_and_b32_e32 v0, 7, v0
	v_cmp_eq_u16_e32 vcc, 0, v10
	v_cndmask_b32_e32 v0, v4, v0, vcc
	v_cndmask_b32_e32 v4, v11, v12, vcc
	v_mov_b32_e32 v10, 0x3b800000
	v_lshlrev_b32_e32 v0, 20, v0
	v_lshl_add_u32 v4, v4, 23, v10
	v_or3_b32 v4, v9, v4, v0
.LBB53_1952:
	s_or_b64 exec, exec, s[6:7]
	s_nop 0
	v_mfma_f32_16x16x4f32 a[0:3], v8, v4, a[0:3]
	s_movk_i32 s4, 0x7f
	v_cmp_gt_i16_sdwa s[6:7], v5, s4 src0_sel:BYTE_0 src1_sel:DWORD
	s_mov_b64 s[4:5], 0
                                        ; implicit-def: $sgpr10
	s_and_saveexec_b64 s[8:9], s[6:7]
	s_xor_b64 s[6:7], exec, s[8:9]
	s_cbranch_execnz .LBB53_4001
; %bb.1953:
	s_or_saveexec_b64 s[6:7], s[6:7]
	v_mov_b32_e32 v0, s10
	s_xor_b64 exec, exec, s[6:7]
	s_cbranch_execnz .LBB53_4004
.LBB53_1954:
	s_or_b64 exec, exec, s[6:7]
	s_and_saveexec_b64 s[6:7], s[4:5]
	s_cbranch_execz .LBB53_1956
.LBB53_1955:
	v_and_b32_e32 v0, 7, v5
	v_ffbh_u32_e32 v8, v0
	v_min_u32_e32 v8, 32, v8
	v_lshrrev_b16_e32 v4, 3, v5
	v_subrev_u32_e32 v9, 28, v8
	v_and_b32_e32 v4, 15, v4
	v_lshlrev_b32_e32 v9, v9, v5
	v_sub_u32_e32 v8, 29, v8
	v_and_b32_e32 v9, 7, v9
	v_cmp_eq_u16_e32 vcc, 0, v4
	v_cndmask_b32_e32 v0, v0, v9, vcc
	v_cndmask_b32_e32 v4, v4, v8, vcc
	v_lshlrev_b32_e32 v8, 24, v5
	v_mov_b32_e32 v9, 0x3b800000
	v_lshlrev_b32_e32 v0, 20, v0
	v_and_b32_e32 v8, 0x80000000, v8
	v_lshl_add_u32 v4, v4, 23, v9
	v_or3_b32 v0, v8, v4, v0
.LBB53_1956:
	s_or_b64 exec, exec, s[6:7]
	s_movk_i32 s4, 0x7f
	v_cmp_gt_i16_sdwa s[6:7], v1, s4 src0_sel:BYTE_0 src1_sel:DWORD
	s_mov_b64 s[4:5], 0
                                        ; implicit-def: $sgpr10
	s_and_saveexec_b64 s[8:9], s[6:7]
	s_xor_b64 s[6:7], exec, s[8:9]
	s_cbranch_execnz .LBB53_4005
; %bb.1957:
	s_or_saveexec_b64 s[6:7], s[6:7]
	v_mov_b32_e32 v4, s10
	s_xor_b64 exec, exec, s[6:7]
	s_cbranch_execnz .LBB53_4008
.LBB53_1958:
	s_or_b64 exec, exec, s[6:7]
	s_and_saveexec_b64 s[6:7], s[4:5]
	s_cbranch_execz .LBB53_1960
.LBB53_1959:
	v_and_b32_e32 v4, 7, v1
	v_ffbh_u32_e32 v9, v4
	v_min_u32_e32 v9, 32, v9
	v_lshrrev_b16_e32 v8, 3, v1
	v_subrev_u32_e32 v10, 28, v9
	v_and_b32_e32 v8, 15, v8
	v_lshlrev_b32_e32 v10, v10, v1
	v_sub_u32_e32 v9, 29, v9
	v_and_b32_e32 v10, 7, v10
	v_cmp_eq_u16_e32 vcc, 0, v8
	v_cndmask_b32_e32 v4, v4, v10, vcc
	v_cndmask_b32_e32 v8, v8, v9, vcc
	v_lshlrev_b32_e32 v9, 24, v1
	v_mov_b32_e32 v10, 0x3b800000
	v_lshlrev_b32_e32 v4, 20, v4
	v_and_b32_e32 v9, 0x80000000, v9
	v_lshl_add_u32 v8, v8, 23, v10
	v_or3_b32 v4, v9, v8, v4
.LBB53_1960:
	s_or_b64 exec, exec, s[6:7]
	s_nop 0
	v_mfma_f32_16x16x4f32 a[0:3], v0, v4, a[0:3]
	v_lshrrev_b32_e32 v4, 8, v5
	s_movk_i32 s4, 0x7f
	v_cmp_gt_i16_sdwa s[6:7], v4, s4 src0_sel:BYTE_0 src1_sel:DWORD
	s_mov_b64 s[4:5], 0
                                        ; implicit-def: $sgpr10
	s_and_saveexec_b64 s[8:9], s[6:7]
	s_xor_b64 s[6:7], exec, s[8:9]
	s_cbranch_execnz .LBB53_4009
; %bb.1961:
	s_or_saveexec_b64 s[6:7], s[6:7]
	v_mov_b32_e32 v0, s10
	s_xor_b64 exec, exec, s[6:7]
	s_cbranch_execnz .LBB53_4012
.LBB53_1962:
	s_or_b64 exec, exec, s[6:7]
	s_and_saveexec_b64 s[6:7], s[4:5]
	s_cbranch_execz .LBB53_1964
.LBB53_1963:
	v_bfe_u32 v0, v5, 8, 3
	v_ffbh_u32_e32 v9, v0
	v_min_u32_e32 v9, 32, v9
	v_lshrrev_b16_e32 v8, 3, v4
	v_subrev_u32_e32 v10, 28, v9
	v_and_b32_e32 v8, 15, v8
	v_lshlrev_b32_e32 v4, v10, v4
	v_sub_u32_e32 v9, 29, v9
	v_and_b32_e32 v4, 7, v4
	v_cmp_eq_u16_e32 vcc, 0, v8
	v_cndmask_b32_e32 v0, v0, v4, vcc
	v_cndmask_b32_e32 v4, v8, v9, vcc
	v_lshlrev_b32_e32 v8, 16, v5
	v_mov_b32_e32 v9, 0x3b800000
	v_lshlrev_b32_e32 v0, 20, v0
	v_and_b32_e32 v8, 0x80000000, v8
	v_lshl_add_u32 v4, v4, 23, v9
	v_or3_b32 v0, v8, v4, v0
.LBB53_1964:
	s_or_b64 exec, exec, s[6:7]
	v_lshrrev_b32_e32 v4, 8, v1
	s_movk_i32 s4, 0x7f
	v_cmp_gt_i16_sdwa s[6:7], v4, s4 src0_sel:BYTE_0 src1_sel:DWORD
	s_mov_b64 s[4:5], 0
                                        ; implicit-def: $sgpr10
	s_and_saveexec_b64 s[8:9], s[6:7]
	s_xor_b64 s[6:7], exec, s[8:9]
	s_cbranch_execnz .LBB53_4013
; %bb.1965:
	s_or_saveexec_b64 s[6:7], s[6:7]
	v_mov_b32_e32 v8, s10
	s_xor_b64 exec, exec, s[6:7]
	s_cbranch_execnz .LBB53_4016
.LBB53_1966:
	s_or_b64 exec, exec, s[6:7]
	s_and_saveexec_b64 s[6:7], s[4:5]
	s_cbranch_execz .LBB53_1968
.LBB53_1967:
	v_bfe_u32 v8, v1, 8, 3
	v_ffbh_u32_e32 v10, v8
	v_min_u32_e32 v10, 32, v10
	v_lshrrev_b16_e32 v9, 3, v4
	v_subrev_u32_e32 v11, 28, v10
	v_and_b32_e32 v9, 15, v9
	v_lshlrev_b32_e32 v4, v11, v4
	v_sub_u32_e32 v10, 29, v10
	v_and_b32_e32 v4, 7, v4
	v_cmp_eq_u16_e32 vcc, 0, v9
	v_cndmask_b32_e32 v4, v8, v4, vcc
	v_cndmask_b32_e32 v8, v9, v10, vcc
	v_lshlrev_b32_e32 v9, 16, v1
	v_mov_b32_e32 v10, 0x3b800000
	v_lshlrev_b32_e32 v4, 20, v4
	v_and_b32_e32 v9, 0x80000000, v9
	v_lshl_add_u32 v8, v8, 23, v10
	v_or3_b32 v8, v9, v8, v4
.LBB53_1968:
	s_or_b64 exec, exec, s[6:7]
	s_nop 0
	v_mfma_f32_16x16x4f32 a[0:3], v0, v8, a[0:3]
	s_movk_i32 s4, 0xff
	v_and_b32_sdwa v4, v5, s4 dst_sel:DWORD dst_unused:UNUSED_PAD src0_sel:WORD_1 src1_sel:DWORD
	s_movk_i32 s4, 0x7f
	v_cmp_lt_i16_e32 vcc, s4, v4
	s_mov_b64 s[4:5], 0
                                        ; implicit-def: $sgpr10
	s_and_saveexec_b64 s[6:7], vcc
	s_xor_b64 s[6:7], exec, s[6:7]
	s_cbranch_execnz .LBB53_4017
; %bb.1969:
	s_or_saveexec_b64 s[6:7], s[6:7]
	v_mov_b32_e32 v0, s10
	s_xor_b64 exec, exec, s[6:7]
	s_cbranch_execnz .LBB53_4020
.LBB53_1970:
	s_or_b64 exec, exec, s[6:7]
	s_and_saveexec_b64 s[6:7], s[4:5]
	s_cbranch_execz .LBB53_1972
.LBB53_1971:
	v_bfe_u32 v0, v5, 16, 3
	v_ffbh_u32_e32 v9, v0
	v_min_u32_e32 v9, 32, v9
	v_lshrrev_b32_e32 v4, 19, v5
	v_subrev_u32_e32 v10, 28, v9
	v_and_b32_e32 v4, 15, v4
	v_lshlrev_b32_sdwa v10, v10, v5 dst_sel:DWORD dst_unused:UNUSED_PAD src0_sel:DWORD src1_sel:WORD_1
	v_bfe_u32 v8, v5, 19, 4
	v_sub_u32_e32 v9, 29, v9
	v_and_b32_e32 v10, 7, v10
	v_cmp_eq_u16_e32 vcc, 0, v4
	v_cndmask_b32_e32 v0, v0, v10, vcc
	v_cndmask_b32_e32 v4, v8, v9, vcc
	v_lshlrev_b32_e32 v8, 8, v5
	v_mov_b32_e32 v9, 0x3b800000
	v_lshlrev_b32_e32 v0, 20, v0
	v_and_b32_e32 v8, 0x80000000, v8
	v_lshl_add_u32 v4, v4, 23, v9
	v_or3_b32 v0, v8, v4, v0
.LBB53_1972:
	s_or_b64 exec, exec, s[6:7]
	s_movk_i32 s4, 0xff
	v_and_b32_sdwa v4, v1, s4 dst_sel:DWORD dst_unused:UNUSED_PAD src0_sel:WORD_1 src1_sel:DWORD
	s_movk_i32 s4, 0x7f
	v_cmp_lt_i16_e32 vcc, s4, v4
	s_mov_b64 s[4:5], 0
                                        ; implicit-def: $sgpr10
	s_and_saveexec_b64 s[6:7], vcc
	s_xor_b64 s[6:7], exec, s[6:7]
	s_cbranch_execnz .LBB53_4021
; %bb.1973:
	s_or_saveexec_b64 s[6:7], s[6:7]
	v_mov_b32_e32 v8, s10
	s_xor_b64 exec, exec, s[6:7]
	s_cbranch_execnz .LBB53_4024
.LBB53_1974:
	s_or_b64 exec, exec, s[6:7]
	s_and_saveexec_b64 s[6:7], s[4:5]
	s_cbranch_execz .LBB53_1976
.LBB53_1975:
	v_bfe_u32 v4, v1, 16, 3
	v_ffbh_u32_e32 v10, v4
	v_min_u32_e32 v10, 32, v10
	v_lshrrev_b32_e32 v8, 19, v1
	v_subrev_u32_e32 v11, 28, v10
	v_and_b32_e32 v8, 15, v8
	v_lshlrev_b32_sdwa v11, v11, v1 dst_sel:DWORD dst_unused:UNUSED_PAD src0_sel:DWORD src1_sel:WORD_1
	v_bfe_u32 v9, v1, 19, 4
	v_sub_u32_e32 v10, 29, v10
	v_and_b32_e32 v11, 7, v11
	v_cmp_eq_u16_e32 vcc, 0, v8
	v_cndmask_b32_e32 v4, v4, v11, vcc
	v_cndmask_b32_e32 v8, v9, v10, vcc
	v_lshlrev_b32_e32 v9, 8, v1
	v_mov_b32_e32 v10, 0x3b800000
	v_lshlrev_b32_e32 v4, 20, v4
	v_and_b32_e32 v9, 0x80000000, v9
	v_lshl_add_u32 v8, v8, 23, v10
	v_or3_b32 v8, v9, v8, v4
.LBB53_1976:
	s_or_b64 exec, exec, s[6:7]
	s_nop 0
	v_mfma_f32_16x16x4f32 a[0:3], v0, v8, a[0:3]
	s_movk_i32 s4, 0x7f
	v_cmp_gt_i16_sdwa s[6:7], v5, s4 src0_sel:BYTE_3 src1_sel:DWORD
	s_mov_b64 s[4:5], 0
                                        ; implicit-def: $sgpr10
	s_and_saveexec_b64 s[8:9], s[6:7]
	s_xor_b64 s[6:7], exec, s[8:9]
	s_cbranch_execnz .LBB53_4025
; %bb.1977:
	s_or_saveexec_b64 s[6:7], s[6:7]
	v_mov_b32_e32 v0, s10
	s_xor_b64 exec, exec, s[6:7]
	s_cbranch_execnz .LBB53_4028
.LBB53_1978:
	s_or_b64 exec, exec, s[6:7]
	s_and_saveexec_b64 s[6:7], s[4:5]
	s_cbranch_execz .LBB53_1980
.LBB53_1979:
	v_bfe_u32 v0, v5, 24, 3
	v_ffbh_u32_e32 v10, v0
	v_min_u32_e32 v10, 32, v10
	v_lshrrev_b32_e32 v8, 27, v5
	v_subrev_u32_e32 v11, 28, v10
	v_and_b32_e32 v4, 0x80000000, v5
	v_and_b32_e32 v8, 15, v8
	v_bfe_u32 v9, v5, 27, 4
	v_lshlrev_b32_sdwa v5, v11, v5 dst_sel:DWORD dst_unused:UNUSED_PAD src0_sel:DWORD src1_sel:BYTE_3
	v_sub_u32_e32 v10, 29, v10
	v_and_b32_e32 v5, 7, v5
	v_cmp_eq_u16_e32 vcc, 0, v8
	v_cndmask_b32_e32 v0, v0, v5, vcc
	v_cndmask_b32_e32 v5, v9, v10, vcc
	v_mov_b32_e32 v8, 0x3b800000
	v_lshlrev_b32_e32 v0, 20, v0
	v_lshl_add_u32 v5, v5, 23, v8
	v_or3_b32 v0, v4, v5, v0
.LBB53_1980:
	s_or_b64 exec, exec, s[6:7]
	s_movk_i32 s4, 0x7f
	v_cmp_gt_i16_sdwa s[6:7], v1, s4 src0_sel:BYTE_3 src1_sel:DWORD
	s_mov_b64 s[4:5], 0
                                        ; implicit-def: $sgpr10
	s_and_saveexec_b64 s[8:9], s[6:7]
	s_xor_b64 s[6:7], exec, s[8:9]
	s_cbranch_execnz .LBB53_4029
; %bb.1981:
	s_or_saveexec_b64 s[6:7], s[6:7]
	v_mov_b32_e32 v4, s10
	s_xor_b64 exec, exec, s[6:7]
	s_cbranch_execnz .LBB53_4032
.LBB53_1982:
	s_or_b64 exec, exec, s[6:7]
	s_and_saveexec_b64 s[6:7], s[4:5]
	s_cbranch_execz .LBB53_1984
.LBB53_1983:
	v_bfe_u32 v4, v1, 24, 3
	v_ffbh_u32_e32 v10, v4
	v_min_u32_e32 v10, 32, v10
	v_lshrrev_b32_e32 v8, 27, v1
	v_subrev_u32_e32 v11, 28, v10
	v_and_b32_e32 v5, 0x80000000, v1
	v_and_b32_e32 v8, 15, v8
	v_bfe_u32 v9, v1, 27, 4
	v_lshlrev_b32_sdwa v1, v11, v1 dst_sel:DWORD dst_unused:UNUSED_PAD src0_sel:DWORD src1_sel:BYTE_3
	v_sub_u32_e32 v10, 29, v10
	v_and_b32_e32 v1, 7, v1
	v_cmp_eq_u16_e32 vcc, 0, v8
	v_cndmask_b32_e32 v1, v4, v1, vcc
	v_cndmask_b32_e32 v4, v9, v10, vcc
	v_mov_b32_e32 v8, 0x3b800000
	v_lshlrev_b32_e32 v1, 20, v1
	v_lshl_add_u32 v4, v4, 23, v8
	v_or3_b32 v4, v5, v4, v1
.LBB53_1984:
	s_or_b64 exec, exec, s[6:7]
	s_nop 0
	v_mfma_f32_16x16x4f32 a[0:3], v0, v4, a[0:3]
	s_movk_i32 s4, 0x7f
	v_cmp_gt_i16_sdwa s[6:7], v6, s4 src0_sel:BYTE_0 src1_sel:DWORD
	s_mov_b64 s[4:5], 0
                                        ; implicit-def: $sgpr10
	s_and_saveexec_b64 s[8:9], s[6:7]
	s_xor_b64 s[6:7], exec, s[8:9]
	s_cbranch_execnz .LBB53_4033
; %bb.1985:
	s_or_saveexec_b64 s[6:7], s[6:7]
	v_mov_b32_e32 v0, s10
	s_xor_b64 exec, exec, s[6:7]
	s_cbranch_execnz .LBB53_4036
.LBB53_1986:
	s_or_b64 exec, exec, s[6:7]
	s_and_saveexec_b64 s[6:7], s[4:5]
	s_cbranch_execz .LBB53_1988
.LBB53_1987:
	v_and_b32_e32 v0, 7, v6
	v_ffbh_u32_e32 v4, v0
	v_min_u32_e32 v4, 32, v4
	v_lshrrev_b16_e32 v1, 3, v6
	v_subrev_u32_e32 v5, 28, v4
	v_and_b32_e32 v1, 15, v1
	v_lshlrev_b32_e32 v5, v5, v6
	v_sub_u32_e32 v4, 29, v4
	v_and_b32_e32 v5, 7, v5
	v_cmp_eq_u16_e32 vcc, 0, v1
	v_cndmask_b32_e32 v0, v0, v5, vcc
	v_cndmask_b32_e32 v1, v1, v4, vcc
	v_lshlrev_b32_e32 v4, 24, v6
	v_mov_b32_e32 v5, 0x3b800000
	v_lshlrev_b32_e32 v0, 20, v0
	v_and_b32_e32 v4, 0x80000000, v4
	v_lshl_add_u32 v1, v1, 23, v5
	v_or3_b32 v0, v4, v1, v0
.LBB53_1988:
	s_or_b64 exec, exec, s[6:7]
	s_movk_i32 s4, 0x7f
	v_cmp_gt_i16_sdwa s[6:7], v2, s4 src0_sel:BYTE_0 src1_sel:DWORD
	s_mov_b64 s[4:5], 0
                                        ; implicit-def: $sgpr10
	s_and_saveexec_b64 s[8:9], s[6:7]
	s_xor_b64 s[6:7], exec, s[8:9]
	s_cbranch_execnz .LBB53_4037
; %bb.1989:
	s_or_saveexec_b64 s[6:7], s[6:7]
	v_mov_b32_e32 v1, s10
	s_xor_b64 exec, exec, s[6:7]
	s_cbranch_execnz .LBB53_4040
.LBB53_1990:
	s_or_b64 exec, exec, s[6:7]
	s_and_saveexec_b64 s[6:7], s[4:5]
	s_cbranch_execz .LBB53_1992
.LBB53_1991:
	v_and_b32_e32 v1, 7, v2
	v_ffbh_u32_e32 v5, v1
	v_min_u32_e32 v5, 32, v5
	v_lshrrev_b16_e32 v4, 3, v2
	v_subrev_u32_e32 v8, 28, v5
	v_and_b32_e32 v4, 15, v4
	v_lshlrev_b32_e32 v8, v8, v2
	v_sub_u32_e32 v5, 29, v5
	v_and_b32_e32 v8, 7, v8
	v_cmp_eq_u16_e32 vcc, 0, v4
	v_cndmask_b32_e32 v1, v1, v8, vcc
	v_cndmask_b32_e32 v4, v4, v5, vcc
	v_lshlrev_b32_e32 v5, 24, v2
	v_mov_b32_e32 v8, 0x3b800000
	v_lshlrev_b32_e32 v1, 20, v1
	v_and_b32_e32 v5, 0x80000000, v5
	v_lshl_add_u32 v4, v4, 23, v8
	v_or3_b32 v1, v5, v4, v1
.LBB53_1992:
	s_or_b64 exec, exec, s[6:7]
	s_nop 0
	v_mfma_f32_16x16x4f32 a[0:3], v0, v1, a[0:3]
	v_lshrrev_b32_e32 v1, 8, v6
	s_movk_i32 s4, 0x7f
	v_cmp_gt_i16_sdwa s[6:7], v1, s4 src0_sel:BYTE_0 src1_sel:DWORD
	s_mov_b64 s[4:5], 0
                                        ; implicit-def: $sgpr10
	s_and_saveexec_b64 s[8:9], s[6:7]
	s_xor_b64 s[6:7], exec, s[8:9]
	s_cbranch_execnz .LBB53_4041
; %bb.1993:
	s_or_saveexec_b64 s[6:7], s[6:7]
	v_mov_b32_e32 v0, s10
	s_xor_b64 exec, exec, s[6:7]
	s_cbranch_execnz .LBB53_4044
.LBB53_1994:
	s_or_b64 exec, exec, s[6:7]
	s_and_saveexec_b64 s[6:7], s[4:5]
	s_cbranch_execz .LBB53_1996
.LBB53_1995:
	v_bfe_u32 v0, v6, 8, 3
	v_ffbh_u32_e32 v5, v0
	v_min_u32_e32 v5, 32, v5
	v_lshrrev_b16_e32 v4, 3, v1
	v_subrev_u32_e32 v8, 28, v5
	v_and_b32_e32 v4, 15, v4
	v_lshlrev_b32_e32 v1, v8, v1
	v_sub_u32_e32 v5, 29, v5
	v_and_b32_e32 v1, 7, v1
	v_cmp_eq_u16_e32 vcc, 0, v4
	v_cndmask_b32_e32 v0, v0, v1, vcc
	v_cndmask_b32_e32 v1, v4, v5, vcc
	v_lshlrev_b32_e32 v4, 16, v6
	v_mov_b32_e32 v5, 0x3b800000
	v_lshlrev_b32_e32 v0, 20, v0
	v_and_b32_e32 v4, 0x80000000, v4
	v_lshl_add_u32 v1, v1, 23, v5
	v_or3_b32 v0, v4, v1, v0
.LBB53_1996:
	s_or_b64 exec, exec, s[6:7]
	v_lshrrev_b32_e32 v1, 8, v2
	s_movk_i32 s4, 0x7f
	v_cmp_gt_i16_sdwa s[6:7], v1, s4 src0_sel:BYTE_0 src1_sel:DWORD
	s_mov_b64 s[4:5], 0
                                        ; implicit-def: $sgpr10
	s_and_saveexec_b64 s[8:9], s[6:7]
	s_xor_b64 s[6:7], exec, s[8:9]
	s_cbranch_execnz .LBB53_4045
; %bb.1997:
	s_or_saveexec_b64 s[6:7], s[6:7]
	v_mov_b32_e32 v4, s10
	s_xor_b64 exec, exec, s[6:7]
	s_cbranch_execnz .LBB53_4048
.LBB53_1998:
	s_or_b64 exec, exec, s[6:7]
	s_and_saveexec_b64 s[6:7], s[4:5]
	s_cbranch_execz .LBB53_2000
.LBB53_1999:
	v_bfe_u32 v4, v2, 8, 3
	v_ffbh_u32_e32 v8, v4
	v_min_u32_e32 v8, 32, v8
	v_lshrrev_b16_e32 v5, 3, v1
	v_subrev_u32_e32 v9, 28, v8
	v_and_b32_e32 v5, 15, v5
	v_lshlrev_b32_e32 v1, v9, v1
	v_sub_u32_e32 v8, 29, v8
	v_and_b32_e32 v1, 7, v1
	v_cmp_eq_u16_e32 vcc, 0, v5
	v_cndmask_b32_e32 v1, v4, v1, vcc
	v_cndmask_b32_e32 v4, v5, v8, vcc
	v_lshlrev_b32_e32 v5, 16, v2
	v_mov_b32_e32 v8, 0x3b800000
	v_lshlrev_b32_e32 v1, 20, v1
	v_and_b32_e32 v5, 0x80000000, v5
	v_lshl_add_u32 v4, v4, 23, v8
	v_or3_b32 v4, v5, v4, v1
.LBB53_2000:
	s_or_b64 exec, exec, s[6:7]
	s_nop 0
	v_mfma_f32_16x16x4f32 a[0:3], v0, v4, a[0:3]
	s_movk_i32 s4, 0xff
	v_and_b32_sdwa v1, v6, s4 dst_sel:DWORD dst_unused:UNUSED_PAD src0_sel:WORD_1 src1_sel:DWORD
	s_movk_i32 s4, 0x7f
	v_cmp_lt_i16_e32 vcc, s4, v1
	s_mov_b64 s[4:5], 0
                                        ; implicit-def: $sgpr10
	s_and_saveexec_b64 s[6:7], vcc
	s_xor_b64 s[6:7], exec, s[6:7]
	s_cbranch_execnz .LBB53_4049
; %bb.2001:
	s_or_saveexec_b64 s[6:7], s[6:7]
	v_mov_b32_e32 v0, s10
	s_xor_b64 exec, exec, s[6:7]
	s_cbranch_execnz .LBB53_4052
.LBB53_2002:
	s_or_b64 exec, exec, s[6:7]
	s_and_saveexec_b64 s[6:7], s[4:5]
	s_cbranch_execz .LBB53_2004
.LBB53_2003:
	v_bfe_u32 v0, v6, 16, 3
	v_ffbh_u32_e32 v5, v0
	v_min_u32_e32 v5, 32, v5
	v_lshrrev_b32_e32 v1, 19, v6
	v_subrev_u32_e32 v8, 28, v5
	v_and_b32_e32 v1, 15, v1
	v_lshlrev_b32_sdwa v8, v8, v6 dst_sel:DWORD dst_unused:UNUSED_PAD src0_sel:DWORD src1_sel:WORD_1
	v_bfe_u32 v4, v6, 19, 4
	v_sub_u32_e32 v5, 29, v5
	v_and_b32_e32 v8, 7, v8
	v_cmp_eq_u16_e32 vcc, 0, v1
	v_cndmask_b32_e32 v0, v0, v8, vcc
	v_cndmask_b32_e32 v1, v4, v5, vcc
	v_lshlrev_b32_e32 v4, 8, v6
	v_mov_b32_e32 v5, 0x3b800000
	v_lshlrev_b32_e32 v0, 20, v0
	v_and_b32_e32 v4, 0x80000000, v4
	v_lshl_add_u32 v1, v1, 23, v5
	v_or3_b32 v0, v4, v1, v0
.LBB53_2004:
	s_or_b64 exec, exec, s[6:7]
	s_movk_i32 s4, 0xff
	v_and_b32_sdwa v1, v2, s4 dst_sel:DWORD dst_unused:UNUSED_PAD src0_sel:WORD_1 src1_sel:DWORD
	s_movk_i32 s4, 0x7f
	v_cmp_lt_i16_e32 vcc, s4, v1
	s_mov_b64 s[4:5], 0
                                        ; implicit-def: $sgpr10
	s_and_saveexec_b64 s[6:7], vcc
	s_xor_b64 s[6:7], exec, s[6:7]
	s_cbranch_execnz .LBB53_4053
; %bb.2005:
	s_or_saveexec_b64 s[6:7], s[6:7]
	v_mov_b32_e32 v4, s10
	s_xor_b64 exec, exec, s[6:7]
	s_cbranch_execnz .LBB53_4056
.LBB53_2006:
	s_or_b64 exec, exec, s[6:7]
	s_and_saveexec_b64 s[6:7], s[4:5]
	s_cbranch_execz .LBB53_2008
.LBB53_2007:
	v_bfe_u32 v1, v2, 16, 3
	v_ffbh_u32_e32 v8, v1
	v_min_u32_e32 v8, 32, v8
	v_lshrrev_b32_e32 v4, 19, v2
	v_subrev_u32_e32 v9, 28, v8
	v_and_b32_e32 v4, 15, v4
	v_lshlrev_b32_sdwa v9, v9, v2 dst_sel:DWORD dst_unused:UNUSED_PAD src0_sel:DWORD src1_sel:WORD_1
	v_bfe_u32 v5, v2, 19, 4
	v_sub_u32_e32 v8, 29, v8
	v_and_b32_e32 v9, 7, v9
	v_cmp_eq_u16_e32 vcc, 0, v4
	v_cndmask_b32_e32 v1, v1, v9, vcc
	v_cndmask_b32_e32 v4, v5, v8, vcc
	v_lshlrev_b32_e32 v5, 8, v2
	v_mov_b32_e32 v8, 0x3b800000
	v_lshlrev_b32_e32 v1, 20, v1
	v_and_b32_e32 v5, 0x80000000, v5
	v_lshl_add_u32 v4, v4, 23, v8
	v_or3_b32 v4, v5, v4, v1
.LBB53_2008:
	s_or_b64 exec, exec, s[6:7]
	s_nop 0
	v_mfma_f32_16x16x4f32 a[0:3], v0, v4, a[0:3]
	s_movk_i32 s4, 0x7f
	v_cmp_gt_i16_sdwa s[6:7], v6, s4 src0_sel:BYTE_3 src1_sel:DWORD
	s_mov_b64 s[4:5], 0
                                        ; implicit-def: $sgpr10
	s_and_saveexec_b64 s[8:9], s[6:7]
	s_xor_b64 s[6:7], exec, s[8:9]
	s_cbranch_execnz .LBB53_4057
; %bb.2009:
	s_or_saveexec_b64 s[6:7], s[6:7]
	v_mov_b32_e32 v0, s10
	s_xor_b64 exec, exec, s[6:7]
	s_cbranch_execnz .LBB53_4060
.LBB53_2010:
	s_or_b64 exec, exec, s[6:7]
	s_and_saveexec_b64 s[6:7], s[4:5]
	s_cbranch_execz .LBB53_2012
.LBB53_2011:
	v_bfe_u32 v0, v6, 24, 3
	v_ffbh_u32_e32 v8, v0
	v_min_u32_e32 v8, 32, v8
	v_lshrrev_b32_e32 v4, 27, v6
	v_subrev_u32_e32 v9, 28, v8
	v_and_b32_e32 v1, 0x80000000, v6
	v_and_b32_e32 v4, 15, v4
	v_bfe_u32 v5, v6, 27, 4
	v_lshlrev_b32_sdwa v6, v9, v6 dst_sel:DWORD dst_unused:UNUSED_PAD src0_sel:DWORD src1_sel:BYTE_3
	v_sub_u32_e32 v8, 29, v8
	v_and_b32_e32 v6, 7, v6
	v_cmp_eq_u16_e32 vcc, 0, v4
	v_cndmask_b32_e32 v0, v0, v6, vcc
	v_cndmask_b32_e32 v4, v5, v8, vcc
	v_mov_b32_e32 v5, 0x3b800000
	v_lshlrev_b32_e32 v0, 20, v0
	v_lshl_add_u32 v4, v4, 23, v5
	v_or3_b32 v0, v1, v4, v0
.LBB53_2012:
	s_or_b64 exec, exec, s[6:7]
	s_movk_i32 s4, 0x7f
	v_cmp_gt_i16_sdwa s[6:7], v2, s4 src0_sel:BYTE_3 src1_sel:DWORD
	s_mov_b64 s[4:5], 0
                                        ; implicit-def: $sgpr10
	s_and_saveexec_b64 s[8:9], s[6:7]
	s_xor_b64 s[6:7], exec, s[8:9]
	s_cbranch_execnz .LBB53_4061
; %bb.2013:
	s_or_saveexec_b64 s[6:7], s[6:7]
	v_mov_b32_e32 v1, s10
	s_xor_b64 exec, exec, s[6:7]
	s_cbranch_execnz .LBB53_4064
.LBB53_2014:
	s_or_b64 exec, exec, s[6:7]
	s_and_saveexec_b64 s[6:7], s[4:5]
	s_cbranch_execz .LBB53_2016
.LBB53_2015:
	v_bfe_u32 v1, v2, 24, 3
	v_ffbh_u32_e32 v8, v1
	v_min_u32_e32 v8, 32, v8
	v_lshrrev_b32_e32 v5, 27, v2
	v_subrev_u32_e32 v9, 28, v8
	v_and_b32_e32 v4, 0x80000000, v2
	v_and_b32_e32 v5, 15, v5
	v_bfe_u32 v6, v2, 27, 4
	v_lshlrev_b32_sdwa v2, v9, v2 dst_sel:DWORD dst_unused:UNUSED_PAD src0_sel:DWORD src1_sel:BYTE_3
	v_sub_u32_e32 v8, 29, v8
	v_and_b32_e32 v2, 7, v2
	v_cmp_eq_u16_e32 vcc, 0, v5
	v_cndmask_b32_e32 v1, v1, v2, vcc
	v_cndmask_b32_e32 v2, v6, v8, vcc
	v_mov_b32_e32 v5, 0x3b800000
	v_lshlrev_b32_e32 v1, 20, v1
	v_lshl_add_u32 v2, v2, 23, v5
	v_or3_b32 v1, v4, v2, v1
.LBB53_2016:
	s_or_b64 exec, exec, s[6:7]
	s_nop 0
	v_mfma_f32_16x16x4f32 a[0:3], v0, v1, a[0:3]
	s_movk_i32 s4, 0x7f
	v_cmp_gt_i16_sdwa s[6:7], v7, s4 src0_sel:BYTE_0 src1_sel:DWORD
	s_mov_b64 s[4:5], 0
                                        ; implicit-def: $sgpr10
	s_and_saveexec_b64 s[8:9], s[6:7]
	s_xor_b64 s[6:7], exec, s[8:9]
	s_cbranch_execnz .LBB53_4065
; %bb.2017:
	s_or_saveexec_b64 s[6:7], s[6:7]
	v_mov_b32_e32 v0, s10
	s_xor_b64 exec, exec, s[6:7]
	s_cbranch_execnz .LBB53_4068
.LBB53_2018:
	s_or_b64 exec, exec, s[6:7]
	s_and_saveexec_b64 s[6:7], s[4:5]
	s_cbranch_execz .LBB53_2020
.LBB53_2019:
	v_mov_b32_e32 v0, 8
	v_and_b32_e32 v1, 7, v7
	v_lshrrev_b32_sdwa v0, v0, v7 dst_sel:BYTE_1 dst_unused:UNUSED_PAD src0_sel:DWORD src1_sel:DWORD
	v_ffbh_u32_e32 v2, v1
	v_or_b32_sdwa v0, v7, v0 dst_sel:DWORD dst_unused:UNUSED_PAD src0_sel:BYTE_0 src1_sel:DWORD
	v_min_u32_e32 v2, 32, v2
	v_lshrrev_b16_e32 v0, 3, v0
	v_subrev_u32_e32 v4, 28, v2
	v_and_b32_e32 v0, 15, v0
	v_lshlrev_b32_e32 v4, v4, v7
	v_sub_u32_e32 v2, 29, v2
	v_and_b32_e32 v4, 7, v4
	v_cmp_eq_u16_e32 vcc, 0, v0
	v_cndmask_b32_e32 v1, v1, v4, vcc
	v_cndmask_b32_e32 v0, v0, v2, vcc
	v_lshlrev_b32_e32 v2, 24, v7
	v_mov_b32_e32 v4, 0x3b800000
	v_lshlrev_b32_e32 v1, 20, v1
	v_and_b32_e32 v2, 0x80000000, v2
	v_lshl_add_u32 v0, v0, 23, v4
	v_or3_b32 v0, v2, v0, v1
.LBB53_2020:
	s_or_b64 exec, exec, s[6:7]
	s_movk_i32 s4, 0x7f
	v_cmp_gt_i16_sdwa s[6:7], v3, s4 src0_sel:BYTE_0 src1_sel:DWORD
	s_mov_b64 s[4:5], 0
                                        ; implicit-def: $sgpr10
	s_and_saveexec_b64 s[8:9], s[6:7]
	s_xor_b64 s[6:7], exec, s[8:9]
	s_cbranch_execnz .LBB53_4069
; %bb.2021:
	s_or_saveexec_b64 s[6:7], s[6:7]
	v_mov_b32_e32 v1, s10
	s_xor_b64 exec, exec, s[6:7]
	s_cbranch_execnz .LBB53_4072
.LBB53_2022:
	s_or_b64 exec, exec, s[6:7]
	s_and_saveexec_b64 s[6:7], s[4:5]
	s_cbranch_execz .LBB53_2024
.LBB53_2023:
	v_mov_b32_e32 v1, 8
	v_and_b32_e32 v2, 7, v3
	v_lshrrev_b32_sdwa v1, v1, v3 dst_sel:BYTE_1 dst_unused:UNUSED_PAD src0_sel:DWORD src1_sel:DWORD
	v_ffbh_u32_e32 v4, v2
	v_or_b32_sdwa v1, v3, v1 dst_sel:DWORD dst_unused:UNUSED_PAD src0_sel:BYTE_0 src1_sel:DWORD
	v_min_u32_e32 v4, 32, v4
	v_lshrrev_b16_e32 v1, 3, v1
	v_subrev_u32_e32 v5, 28, v4
	v_and_b32_e32 v1, 15, v1
	v_lshlrev_b32_e32 v5, v5, v3
	v_sub_u32_e32 v4, 29, v4
	v_and_b32_e32 v5, 7, v5
	v_cmp_eq_u16_e32 vcc, 0, v1
	v_cndmask_b32_e32 v2, v2, v5, vcc
	v_cndmask_b32_e32 v1, v1, v4, vcc
	v_lshlrev_b32_e32 v4, 24, v3
	v_mov_b32_e32 v5, 0x3b800000
	v_lshlrev_b32_e32 v2, 20, v2
	v_and_b32_e32 v4, 0x80000000, v4
	v_lshl_add_u32 v1, v1, 23, v5
	v_or3_b32 v1, v4, v1, v2
.LBB53_2024:
	s_or_b64 exec, exec, s[6:7]
	s_nop 0
	v_mfma_f32_16x16x4f32 a[0:3], v0, v1, a[0:3]
	v_lshrrev_b32_e32 v1, 8, v7
	s_movk_i32 s4, 0x7f
	v_cmp_gt_i16_sdwa s[6:7], v1, s4 src0_sel:BYTE_0 src1_sel:DWORD
	s_mov_b64 s[4:5], 0
                                        ; implicit-def: $sgpr10
	s_and_saveexec_b64 s[8:9], s[6:7]
	s_xor_b64 s[6:7], exec, s[8:9]
	s_cbranch_execnz .LBB53_4073
; %bb.2025:
	s_or_saveexec_b64 s[6:7], s[6:7]
	v_mov_b32_e32 v0, s10
	s_xor_b64 exec, exec, s[6:7]
	s_cbranch_execnz .LBB53_4076
.LBB53_2026:
	s_or_b64 exec, exec, s[6:7]
	s_and_saveexec_b64 s[6:7], s[4:5]
	s_cbranch_execz .LBB53_2028
.LBB53_2027:
	v_bfe_u32 v0, v7, 8, 3
	v_ffbh_u32_e32 v4, v0
	v_min_u32_e32 v4, 32, v4
	v_lshrrev_b16_e32 v2, 3, v1
	v_subrev_u32_e32 v5, 28, v4
	v_and_b32_e32 v2, 15, v2
	v_lshlrev_b32_e32 v1, v5, v1
	v_sub_u32_e32 v4, 29, v4
	v_and_b32_e32 v1, 7, v1
	v_cmp_eq_u16_e32 vcc, 0, v2
	v_cndmask_b32_e32 v0, v0, v1, vcc
	v_cndmask_b32_e32 v1, v2, v4, vcc
	v_lshlrev_b32_e32 v2, 16, v7
	v_mov_b32_e32 v4, 0x3b800000
	v_lshlrev_b32_e32 v0, 20, v0
	v_and_b32_e32 v2, 0x80000000, v2
	v_lshl_add_u32 v1, v1, 23, v4
	v_or3_b32 v0, v2, v1, v0
.LBB53_2028:
	s_or_b64 exec, exec, s[6:7]
	v_lshrrev_b32_e32 v1, 8, v3
	s_movk_i32 s4, 0x7f
	v_cmp_gt_i16_sdwa s[6:7], v1, s4 src0_sel:BYTE_0 src1_sel:DWORD
	s_mov_b64 s[4:5], 0
                                        ; implicit-def: $sgpr10
	s_and_saveexec_b64 s[8:9], s[6:7]
	s_xor_b64 s[6:7], exec, s[8:9]
	s_cbranch_execnz .LBB53_4077
; %bb.2029:
	s_or_saveexec_b64 s[6:7], s[6:7]
	v_mov_b32_e32 v2, s10
	s_xor_b64 exec, exec, s[6:7]
	s_cbranch_execnz .LBB53_4080
.LBB53_2030:
	s_or_b64 exec, exec, s[6:7]
	s_and_saveexec_b64 s[6:7], s[4:5]
	s_cbranch_execz .LBB53_2032
.LBB53_2031:
	v_bfe_u32 v2, v3, 8, 3
	v_ffbh_u32_e32 v5, v2
	v_min_u32_e32 v5, 32, v5
	v_lshrrev_b16_e32 v4, 3, v1
	v_subrev_u32_e32 v6, 28, v5
	v_and_b32_e32 v4, 15, v4
	v_lshlrev_b32_e32 v1, v6, v1
	v_sub_u32_e32 v5, 29, v5
	v_and_b32_e32 v1, 7, v1
	v_cmp_eq_u16_e32 vcc, 0, v4
	v_cndmask_b32_e32 v1, v2, v1, vcc
	v_cndmask_b32_e32 v2, v4, v5, vcc
	v_lshlrev_b32_e32 v4, 16, v3
	v_mov_b32_e32 v5, 0x3b800000
	v_lshlrev_b32_e32 v1, 20, v1
	v_and_b32_e32 v4, 0x80000000, v4
	v_lshl_add_u32 v2, v2, 23, v5
	v_or3_b32 v2, v4, v2, v1
.LBB53_2032:
	s_or_b64 exec, exec, s[6:7]
	s_nop 0
	v_mfma_f32_16x16x4f32 a[0:3], v0, v2, a[0:3]
	s_movk_i32 s4, 0xff
	v_and_b32_sdwa v1, v7, s4 dst_sel:DWORD dst_unused:UNUSED_PAD src0_sel:WORD_1 src1_sel:DWORD
	s_movk_i32 s4, 0x7f
	v_cmp_lt_i16_e32 vcc, s4, v1
	s_mov_b64 s[4:5], 0
                                        ; implicit-def: $sgpr10
	s_and_saveexec_b64 s[6:7], vcc
	s_xor_b64 s[6:7], exec, s[6:7]
	s_cbranch_execnz .LBB53_4081
; %bb.2033:
	s_or_saveexec_b64 s[6:7], s[6:7]
	v_mov_b32_e32 v0, s10
	s_xor_b64 exec, exec, s[6:7]
	s_cbranch_execnz .LBB53_4084
.LBB53_2034:
	s_or_b64 exec, exec, s[6:7]
	s_and_saveexec_b64 s[6:7], s[4:5]
	s_cbranch_execz .LBB53_2036
.LBB53_2035:
	v_bfe_u32 v0, v7, 16, 3
	v_ffbh_u32_e32 v4, v0
	v_min_u32_e32 v4, 32, v4
	v_lshrrev_b32_e32 v1, 19, v7
	v_subrev_u32_e32 v5, 28, v4
	v_and_b32_e32 v1, 15, v1
	v_lshlrev_b32_sdwa v5, v5, v7 dst_sel:DWORD dst_unused:UNUSED_PAD src0_sel:DWORD src1_sel:WORD_1
	v_bfe_u32 v2, v7, 19, 4
	v_sub_u32_e32 v4, 29, v4
	v_and_b32_e32 v5, 7, v5
	v_cmp_eq_u16_e32 vcc, 0, v1
	v_cndmask_b32_e32 v0, v0, v5, vcc
	v_cndmask_b32_e32 v1, v2, v4, vcc
	v_lshlrev_b32_e32 v2, 8, v7
	v_mov_b32_e32 v4, 0x3b800000
	v_lshlrev_b32_e32 v0, 20, v0
	v_and_b32_e32 v2, 0x80000000, v2
	v_lshl_add_u32 v1, v1, 23, v4
	v_or3_b32 v0, v2, v1, v0
.LBB53_2036:
	s_or_b64 exec, exec, s[6:7]
	s_movk_i32 s4, 0xff
	v_and_b32_sdwa v1, v3, s4 dst_sel:DWORD dst_unused:UNUSED_PAD src0_sel:WORD_1 src1_sel:DWORD
	s_movk_i32 s4, 0x7f
	v_cmp_lt_i16_e32 vcc, s4, v1
	s_mov_b64 s[4:5], 0
                                        ; implicit-def: $sgpr10
	s_and_saveexec_b64 s[6:7], vcc
	s_xor_b64 s[6:7], exec, s[6:7]
	s_cbranch_execnz .LBB53_4085
; %bb.2037:
	s_or_saveexec_b64 s[6:7], s[6:7]
	v_mov_b32_e32 v2, s10
	s_xor_b64 exec, exec, s[6:7]
	s_cbranch_execnz .LBB53_4088
.LBB53_2038:
	s_or_b64 exec, exec, s[6:7]
	s_and_saveexec_b64 s[6:7], s[4:5]
	s_cbranch_execz .LBB53_2040
.LBB53_2039:
	v_bfe_u32 v1, v3, 16, 3
	v_ffbh_u32_e32 v5, v1
	v_min_u32_e32 v5, 32, v5
	v_lshrrev_b32_e32 v2, 19, v3
	v_subrev_u32_e32 v6, 28, v5
	v_and_b32_e32 v2, 15, v2
	v_lshlrev_b32_sdwa v6, v6, v3 dst_sel:DWORD dst_unused:UNUSED_PAD src0_sel:DWORD src1_sel:WORD_1
	v_bfe_u32 v4, v3, 19, 4
	v_sub_u32_e32 v5, 29, v5
	v_and_b32_e32 v6, 7, v6
	v_cmp_eq_u16_e32 vcc, 0, v2
	v_cndmask_b32_e32 v1, v1, v6, vcc
	v_cndmask_b32_e32 v2, v4, v5, vcc
	v_lshlrev_b32_e32 v4, 8, v3
	v_mov_b32_e32 v5, 0x3b800000
	v_lshlrev_b32_e32 v1, 20, v1
	v_and_b32_e32 v4, 0x80000000, v4
	v_lshl_add_u32 v2, v2, 23, v5
	v_or3_b32 v2, v4, v2, v1
.LBB53_2040:
	s_or_b64 exec, exec, s[6:7]
	s_nop 0
	v_mfma_f32_16x16x4f32 a[0:3], v0, v2, a[0:3]
	s_movk_i32 s4, 0x7f
	v_cmp_gt_i16_sdwa s[6:7], v7, s4 src0_sel:BYTE_3 src1_sel:DWORD
	s_mov_b64 s[4:5], 0
                                        ; implicit-def: $sgpr10
	s_and_saveexec_b64 s[8:9], s[6:7]
	s_xor_b64 s[6:7], exec, s[8:9]
	s_cbranch_execnz .LBB53_4089
; %bb.2041:
	s_or_saveexec_b64 s[6:7], s[6:7]
	v_mov_b32_e32 v0, s10
	s_xor_b64 exec, exec, s[6:7]
	s_cbranch_execnz .LBB53_4092
.LBB53_2042:
	s_or_b64 exec, exec, s[6:7]
	s_and_saveexec_b64 s[6:7], s[4:5]
	s_cbranch_execz .LBB53_2044
.LBB53_2043:
	v_bfe_u32 v0, v7, 24, 3
	v_ffbh_u32_e32 v5, v0
	v_min_u32_e32 v5, 32, v5
	v_lshrrev_b32_e32 v2, 27, v7
	v_subrev_u32_e32 v6, 28, v5
	v_and_b32_e32 v2, 15, v2
	v_lshlrev_b32_sdwa v6, v6, v7 dst_sel:DWORD dst_unused:UNUSED_PAD src0_sel:DWORD src1_sel:BYTE_3
	v_bfe_u32 v4, v7, 27, 4
	v_sub_u32_e32 v5, 29, v5
	v_and_b32_e32 v6, 7, v6
	v_cmp_eq_u16_e32 vcc, 0, v2
	v_cndmask_b32_e32 v0, v0, v6, vcc
	v_cndmask_b32_e32 v2, v4, v5, vcc
	v_mov_b32_e32 v4, 0x3b800000
	v_and_b32_e32 v1, 0x80000000, v7
	v_lshlrev_b32_e32 v0, 20, v0
	v_lshl_add_u32 v2, v2, 23, v4
	v_or3_b32 v0, v1, v2, v0
.LBB53_2044:
	s_or_b64 exec, exec, s[6:7]
	s_movk_i32 s4, 0x7f
	v_cmp_gt_i16_sdwa s[6:7], v3, s4 src0_sel:BYTE_3 src1_sel:DWORD
	s_mov_b64 s[4:5], 0
                                        ; implicit-def: $sgpr10
	s_and_saveexec_b64 s[8:9], s[6:7]
	s_xor_b64 s[6:7], exec, s[8:9]
	s_cbranch_execnz .LBB53_4093
; %bb.2045:
	s_or_saveexec_b64 s[6:7], s[6:7]
	v_mov_b32_e32 v1, s10
	s_xor_b64 exec, exec, s[6:7]
	s_cbranch_execnz .LBB53_4096
.LBB53_2046:
	s_or_b64 exec, exec, s[6:7]
	s_and_saveexec_b64 s[6:7], s[4:5]
	s_cbranch_execz .LBB53_2048
.LBB53_2047:
	v_bfe_u32 v1, v3, 24, 3
	v_ffbh_u32_e32 v6, v1
	v_min_u32_e32 v6, 32, v6
	v_lshrrev_b32_e32 v4, 27, v3
	v_subrev_u32_e32 v7, 28, v6
	v_and_b32_e32 v2, 0x80000000, v3
	v_and_b32_e32 v4, 15, v4
	v_bfe_u32 v5, v3, 27, 4
	v_lshlrev_b32_sdwa v3, v7, v3 dst_sel:DWORD dst_unused:UNUSED_PAD src0_sel:DWORD src1_sel:BYTE_3
	v_sub_u32_e32 v6, 29, v6
	v_and_b32_e32 v3, 7, v3
	v_cmp_eq_u16_e32 vcc, 0, v4
	v_cndmask_b32_e32 v1, v1, v3, vcc
	v_cndmask_b32_e32 v3, v5, v6, vcc
	v_mov_b32_e32 v4, 0x3b800000
	v_lshlrev_b32_e32 v1, 20, v1
	v_lshl_add_u32 v3, v3, 23, v4
	v_or3_b32 v1, v2, v3, v1
.LBB53_2048:
	s_or_b64 exec, exec, s[6:7]
	s_nop 0
	v_mfma_f32_16x16x4f32 a[0:3], v0, v1, a[0:3]
	s_nop 7
	s_nop 2
	flat_store_dwordx4 v[16:17], a[0:3] offset:240
	s_waitcnt vmcnt(0) lgkmcnt(0)
	s_setpc_b64 s[30:31]
.LBB53_2049:
	s_movk_i32 s4, 0x80
	v_cmp_eq_u16_sdwa s[12:13], v14, s4 src0_sel:BYTE_0 src1_sel:DWORD
	s_mov_b64 s[4:5], -1
                                        ; implicit-def: $sgpr10
	s_and_saveexec_b64 s[8:9], s[12:13]
; %bb.2050:
	s_mov_b32 s10, 0x7f800001
	s_xor_b64 s[4:5], exec, -1
; %bb.2051:
	s_or_b64 exec, exec, s[8:9]
	s_and_b64 s[4:5], s[4:5], exec
	s_or_saveexec_b64 s[6:7], s[6:7]
	v_mov_b32_e32 v20, s10
	s_xor_b64 exec, exec, s[6:7]
	s_cbranch_execz .LBB53_2
.LBB53_2052:
	v_mov_b32_e32 v20, 0
	v_cmp_ne_u16_sdwa s[8:9], v14, v20 src0_sel:BYTE_0 src1_sel:DWORD
	s_andn2_b64 s[4:5], s[4:5], exec
	s_and_b64 s[8:9], s[8:9], exec
	s_or_b64 s[4:5], s[4:5], s[8:9]
	s_or_b64 exec, exec, s[6:7]
	s_and_saveexec_b64 s[6:7], s[4:5]
	s_cbranch_execnz .LBB53_3
	s_branch .LBB53_4
.LBB53_2053:
	s_movk_i32 s4, 0x80
	v_cmp_eq_u16_sdwa s[12:13], v10, s4 src0_sel:BYTE_0 src1_sel:DWORD
	s_mov_b64 s[4:5], -1
                                        ; implicit-def: $sgpr10
	s_and_saveexec_b64 s[8:9], s[12:13]
; %bb.2054:
	s_mov_b32 s10, 0x7f800001
	s_xor_b64 s[4:5], exec, -1
; %bb.2055:
	s_or_b64 exec, exec, s[8:9]
	s_and_b64 s[4:5], s[4:5], exec
	s_or_saveexec_b64 s[6:7], s[6:7]
	v_mov_b32_e32 v21, s10
	s_xor_b64 exec, exec, s[6:7]
	s_cbranch_execz .LBB53_6
.LBB53_2056:
	v_mov_b32_e32 v21, 0
	v_cmp_ne_u16_sdwa s[8:9], v10, v21 src0_sel:BYTE_0 src1_sel:DWORD
	s_andn2_b64 s[4:5], s[4:5], exec
	s_and_b64 s[8:9], s[8:9], exec
	s_or_b64 s[4:5], s[4:5], s[8:9]
	s_or_b64 exec, exec, s[6:7]
	s_and_saveexec_b64 s[6:7], s[4:5]
	s_cbranch_execnz .LBB53_7
	s_branch .LBB53_8
.LBB53_2057:
	s_movk_i32 s4, 0x80
	v_cmp_eq_u16_sdwa s[12:13], v21, s4 src0_sel:BYTE_0 src1_sel:DWORD
	s_mov_b64 s[4:5], -1
                                        ; implicit-def: $sgpr10
	s_and_saveexec_b64 s[8:9], s[12:13]
; %bb.2058:
	s_mov_b32 s10, 0x7f800001
	s_xor_b64 s[4:5], exec, -1
; %bb.2059:
	s_or_b64 exec, exec, s[8:9]
	s_and_b64 s[4:5], s[4:5], exec
	s_or_saveexec_b64 s[6:7], s[6:7]
	v_mov_b32_e32 v20, s10
	s_xor_b64 exec, exec, s[6:7]
	s_cbranch_execz .LBB53_10
.LBB53_2060:
	v_mov_b32_e32 v20, 0
	v_cmp_ne_u16_sdwa s[8:9], v21, v20 src0_sel:BYTE_0 src1_sel:DWORD
	s_andn2_b64 s[4:5], s[4:5], exec
	s_and_b64 s[8:9], s[8:9], exec
	s_or_b64 s[4:5], s[4:5], s[8:9]
	s_or_b64 exec, exec, s[6:7]
	s_and_saveexec_b64 s[6:7], s[4:5]
	s_cbranch_execnz .LBB53_11
	s_branch .LBB53_12
.LBB53_2061:
	s_movk_i32 s4, 0x80
	v_cmp_eq_u16_sdwa s[12:13], v21, s4 src0_sel:BYTE_0 src1_sel:DWORD
	s_mov_b64 s[4:5], -1
                                        ; implicit-def: $sgpr10
	s_and_saveexec_b64 s[8:9], s[12:13]
; %bb.2062:
	s_mov_b32 s10, 0x7f800001
	s_xor_b64 s[4:5], exec, -1
; %bb.2063:
	s_or_b64 exec, exec, s[8:9]
	s_and_b64 s[4:5], s[4:5], exec
	s_or_saveexec_b64 s[6:7], s[6:7]
	v_mov_b32_e32 v22, s10
	s_xor_b64 exec, exec, s[6:7]
	s_cbranch_execz .LBB53_14
.LBB53_2064:
	v_mov_b32_e32 v22, 0
	v_cmp_ne_u16_sdwa s[8:9], v21, v22 src0_sel:BYTE_0 src1_sel:DWORD
	s_andn2_b64 s[4:5], s[4:5], exec
	s_and_b64 s[8:9], s[8:9], exec
	s_or_b64 s[4:5], s[4:5], s[8:9]
	s_or_b64 exec, exec, s[6:7]
	s_and_saveexec_b64 s[6:7], s[4:5]
	s_cbranch_execnz .LBB53_15
	s_branch .LBB53_16
.LBB53_2065:
	s_movk_i32 s4, 0x80
	v_cmp_eq_u16_e32 vcc, s4, v21
	s_mov_b64 s[4:5], -1
                                        ; implicit-def: $sgpr10
	s_and_saveexec_b64 s[8:9], vcc
; %bb.2066:
	s_mov_b32 s10, 0x7f800001
	s_xor_b64 s[4:5], exec, -1
; %bb.2067:
	s_or_b64 exec, exec, s[8:9]
	s_and_b64 s[4:5], s[4:5], exec
                                        ; implicit-def: $vgpr21
	s_or_saveexec_b64 s[6:7], s[6:7]
	v_mov_b32_e32 v20, s10
	s_xor_b64 exec, exec, s[6:7]
	s_cbranch_execz .LBB53_18
.LBB53_2068:
	v_cmp_ne_u16_e32 vcc, 0, v21
	s_andn2_b64 s[4:5], s[4:5], exec
	s_and_b64 s[8:9], vcc, exec
	v_mov_b32_e32 v20, 0
	s_or_b64 s[4:5], s[4:5], s[8:9]
	s_or_b64 exec, exec, s[6:7]
	s_and_saveexec_b64 s[6:7], s[4:5]
	s_cbranch_execnz .LBB53_19
	s_branch .LBB53_20
.LBB53_2069:
	s_movk_i32 s4, 0x80
	v_cmp_eq_u16_e32 vcc, s4, v21
	s_mov_b64 s[4:5], -1
                                        ; implicit-def: $sgpr10
	s_and_saveexec_b64 s[8:9], vcc
; %bb.2070:
	s_mov_b32 s10, 0x7f800001
	s_xor_b64 s[4:5], exec, -1
; %bb.2071:
	s_or_b64 exec, exec, s[8:9]
	s_and_b64 s[4:5], s[4:5], exec
                                        ; implicit-def: $vgpr21
	s_or_saveexec_b64 s[6:7], s[6:7]
	v_mov_b32_e32 v22, s10
	s_xor_b64 exec, exec, s[6:7]
	s_cbranch_execz .LBB53_22
.LBB53_2072:
	v_cmp_ne_u16_e32 vcc, 0, v21
	s_andn2_b64 s[4:5], s[4:5], exec
	s_and_b64 s[8:9], vcc, exec
	v_mov_b32_e32 v22, 0
	s_or_b64 s[4:5], s[4:5], s[8:9]
	s_or_b64 exec, exec, s[6:7]
	s_and_saveexec_b64 s[6:7], s[4:5]
	s_cbranch_execnz .LBB53_23
	s_branch .LBB53_24
.LBB53_2073:
	s_movk_i32 s4, 0x80
	v_cmp_eq_u16_sdwa s[12:13], v14, s4 src0_sel:BYTE_3 src1_sel:DWORD
	s_mov_b64 s[4:5], -1
                                        ; implicit-def: $sgpr10
	s_and_saveexec_b64 s[8:9], s[12:13]
; %bb.2074:
	s_mov_b32 s10, 0x7f800001
	s_xor_b64 s[4:5], exec, -1
; %bb.2075:
	s_or_b64 exec, exec, s[8:9]
	s_and_b64 s[4:5], s[4:5], exec
	s_or_saveexec_b64 s[6:7], s[6:7]
	v_mov_b32_e32 v20, s10
	s_xor_b64 exec, exec, s[6:7]
	s_cbranch_execz .LBB53_26
.LBB53_2076:
	v_mov_b32_e32 v20, 0
	v_cmp_ne_u16_sdwa s[8:9], v14, v20 src0_sel:BYTE_3 src1_sel:DWORD
	s_andn2_b64 s[4:5], s[4:5], exec
	s_and_b64 s[8:9], s[8:9], exec
	s_or_b64 s[4:5], s[4:5], s[8:9]
	s_or_b64 exec, exec, s[6:7]
	s_and_saveexec_b64 s[6:7], s[4:5]
	s_cbranch_execnz .LBB53_27
	s_branch .LBB53_28
.LBB53_2077:
	s_movk_i32 s4, 0x80
	v_cmp_eq_u16_sdwa s[12:13], v10, s4 src0_sel:BYTE_3 src1_sel:DWORD
	s_mov_b64 s[4:5], -1
                                        ; implicit-def: $sgpr10
	s_and_saveexec_b64 s[8:9], s[12:13]
; %bb.2078:
	s_mov_b32 s10, 0x7f800001
	s_xor_b64 s[4:5], exec, -1
; %bb.2079:
	s_or_b64 exec, exec, s[8:9]
	s_and_b64 s[4:5], s[4:5], exec
	s_or_saveexec_b64 s[6:7], s[6:7]
	v_mov_b32_e32 v14, s10
	s_xor_b64 exec, exec, s[6:7]
	s_cbranch_execz .LBB53_30
.LBB53_2080:
	v_mov_b32_e32 v14, 0
	v_cmp_ne_u16_sdwa s[8:9], v10, v14 src0_sel:BYTE_3 src1_sel:DWORD
	s_andn2_b64 s[4:5], s[4:5], exec
	s_and_b64 s[8:9], s[8:9], exec
	s_or_b64 s[4:5], s[4:5], s[8:9]
	s_or_b64 exec, exec, s[6:7]
	s_and_saveexec_b64 s[6:7], s[4:5]
	s_cbranch_execnz .LBB53_31
	s_branch .LBB53_32
.LBB53_2081:
	s_movk_i32 s4, 0x80
	v_cmp_eq_u16_sdwa s[12:13], v15, s4 src0_sel:BYTE_0 src1_sel:DWORD
	s_mov_b64 s[4:5], -1
                                        ; implicit-def: $sgpr10
	s_and_saveexec_b64 s[8:9], s[12:13]
; %bb.2082:
	s_mov_b32 s10, 0x7f800001
	s_xor_b64 s[4:5], exec, -1
; %bb.2083:
	s_or_b64 exec, exec, s[8:9]
	s_and_b64 s[4:5], s[4:5], exec
	s_or_saveexec_b64 s[6:7], s[6:7]
	v_mov_b32_e32 v10, s10
	s_xor_b64 exec, exec, s[6:7]
	s_cbranch_execz .LBB53_34
.LBB53_2084:
	v_mov_b32_e32 v10, 0
	v_cmp_ne_u16_sdwa s[8:9], v15, v10 src0_sel:BYTE_0 src1_sel:DWORD
	s_andn2_b64 s[4:5], s[4:5], exec
	s_and_b64 s[8:9], s[8:9], exec
	s_or_b64 s[4:5], s[4:5], s[8:9]
	s_or_b64 exec, exec, s[6:7]
	s_and_saveexec_b64 s[6:7], s[4:5]
	s_cbranch_execnz .LBB53_35
	s_branch .LBB53_36
.LBB53_2085:
	s_movk_i32 s4, 0x80
	v_cmp_eq_u16_sdwa s[12:13], v11, s4 src0_sel:BYTE_0 src1_sel:DWORD
	s_mov_b64 s[4:5], -1
                                        ; implicit-def: $sgpr10
	s_and_saveexec_b64 s[8:9], s[12:13]
; %bb.2086:
	s_mov_b32 s10, 0x7f800001
	s_xor_b64 s[4:5], exec, -1
; %bb.2087:
	s_or_b64 exec, exec, s[8:9]
	s_and_b64 s[4:5], s[4:5], exec
	s_or_saveexec_b64 s[6:7], s[6:7]
	v_mov_b32_e32 v14, s10
	s_xor_b64 exec, exec, s[6:7]
	s_cbranch_execz .LBB53_38
.LBB53_2088:
	v_mov_b32_e32 v14, 0
	v_cmp_ne_u16_sdwa s[8:9], v11, v14 src0_sel:BYTE_0 src1_sel:DWORD
	s_andn2_b64 s[4:5], s[4:5], exec
	s_and_b64 s[8:9], s[8:9], exec
	s_or_b64 s[4:5], s[4:5], s[8:9]
	s_or_b64 exec, exec, s[6:7]
	s_and_saveexec_b64 s[6:7], s[4:5]
	s_cbranch_execnz .LBB53_39
	s_branch .LBB53_40
.LBB53_2089:
	s_movk_i32 s4, 0x80
	v_cmp_eq_u16_sdwa s[12:13], v14, s4 src0_sel:BYTE_0 src1_sel:DWORD
	s_mov_b64 s[4:5], -1
                                        ; implicit-def: $sgpr10
	s_and_saveexec_b64 s[8:9], s[12:13]
; %bb.2090:
	s_mov_b32 s10, 0x7f800001
	s_xor_b64 s[4:5], exec, -1
; %bb.2091:
	s_or_b64 exec, exec, s[8:9]
	s_and_b64 s[4:5], s[4:5], exec
	s_or_saveexec_b64 s[6:7], s[6:7]
	v_mov_b32_e32 v10, s10
	s_xor_b64 exec, exec, s[6:7]
	s_cbranch_execz .LBB53_42
.LBB53_2092:
	v_mov_b32_e32 v10, 0
	v_cmp_ne_u16_sdwa s[8:9], v14, v10 src0_sel:BYTE_0 src1_sel:DWORD
	s_andn2_b64 s[4:5], s[4:5], exec
	s_and_b64 s[8:9], s[8:9], exec
	s_or_b64 s[4:5], s[4:5], s[8:9]
	s_or_b64 exec, exec, s[6:7]
	s_and_saveexec_b64 s[6:7], s[4:5]
	s_cbranch_execnz .LBB53_43
	s_branch .LBB53_44
.LBB53_2093:
	s_movk_i32 s4, 0x80
	v_cmp_eq_u16_sdwa s[12:13], v14, s4 src0_sel:BYTE_0 src1_sel:DWORD
	s_mov_b64 s[4:5], -1
                                        ; implicit-def: $sgpr10
	s_and_saveexec_b64 s[8:9], s[12:13]
; %bb.2094:
	s_mov_b32 s10, 0x7f800001
	s_xor_b64 s[4:5], exec, -1
; %bb.2095:
	s_or_b64 exec, exec, s[8:9]
	s_and_b64 s[4:5], s[4:5], exec
	s_or_saveexec_b64 s[6:7], s[6:7]
	v_mov_b32_e32 v20, s10
	s_xor_b64 exec, exec, s[6:7]
	s_cbranch_execz .LBB53_46
.LBB53_2096:
	v_mov_b32_e32 v20, 0
	v_cmp_ne_u16_sdwa s[8:9], v14, v20 src0_sel:BYTE_0 src1_sel:DWORD
	s_andn2_b64 s[4:5], s[4:5], exec
	s_and_b64 s[8:9], s[8:9], exec
	s_or_b64 s[4:5], s[4:5], s[8:9]
	s_or_b64 exec, exec, s[6:7]
	s_and_saveexec_b64 s[6:7], s[4:5]
	s_cbranch_execnz .LBB53_47
	s_branch .LBB53_48
.LBB53_2097:
	s_movk_i32 s4, 0x80
	v_cmp_eq_u16_e32 vcc, s4, v14
	s_mov_b64 s[4:5], -1
                                        ; implicit-def: $sgpr10
	s_and_saveexec_b64 s[8:9], vcc
; %bb.2098:
	s_mov_b32 s10, 0x7f800001
	s_xor_b64 s[4:5], exec, -1
; %bb.2099:
	s_or_b64 exec, exec, s[8:9]
	s_and_b64 s[4:5], s[4:5], exec
                                        ; implicit-def: $vgpr14
	s_or_saveexec_b64 s[6:7], s[6:7]
	v_mov_b32_e32 v10, s10
	s_xor_b64 exec, exec, s[6:7]
	s_cbranch_execz .LBB53_50
.LBB53_2100:
	v_cmp_ne_u16_e32 vcc, 0, v14
	s_andn2_b64 s[4:5], s[4:5], exec
	s_and_b64 s[8:9], vcc, exec
	v_mov_b32_e32 v10, 0
	s_or_b64 s[4:5], s[4:5], s[8:9]
	s_or_b64 exec, exec, s[6:7]
	s_and_saveexec_b64 s[6:7], s[4:5]
	s_cbranch_execnz .LBB53_51
	s_branch .LBB53_52
.LBB53_2101:
	s_movk_i32 s4, 0x80
	v_cmp_eq_u16_e32 vcc, s4, v14
	s_mov_b64 s[4:5], -1
                                        ; implicit-def: $sgpr10
	s_and_saveexec_b64 s[8:9], vcc
; %bb.2102:
	s_mov_b32 s10, 0x7f800001
	s_xor_b64 s[4:5], exec, -1
; %bb.2103:
	s_or_b64 exec, exec, s[8:9]
	s_and_b64 s[4:5], s[4:5], exec
                                        ; implicit-def: $vgpr14
	s_or_saveexec_b64 s[6:7], s[6:7]
	v_mov_b32_e32 v20, s10
	s_xor_b64 exec, exec, s[6:7]
	s_cbranch_execz .LBB53_54
.LBB53_2104:
	v_cmp_ne_u16_e32 vcc, 0, v14
	s_andn2_b64 s[4:5], s[4:5], exec
	s_and_b64 s[8:9], vcc, exec
	v_mov_b32_e32 v20, 0
	s_or_b64 s[4:5], s[4:5], s[8:9]
	s_or_b64 exec, exec, s[6:7]
	s_and_saveexec_b64 s[6:7], s[4:5]
	s_cbranch_execnz .LBB53_55
	s_branch .LBB53_56
.LBB53_2105:
	s_movk_i32 s4, 0x80
	v_cmp_eq_u16_sdwa s[12:13], v15, s4 src0_sel:BYTE_3 src1_sel:DWORD
	s_mov_b64 s[4:5], -1
                                        ; implicit-def: $sgpr10
	s_and_saveexec_b64 s[8:9], s[12:13]
; %bb.2106:
	s_mov_b32 s10, 0x7f800001
	s_xor_b64 s[4:5], exec, -1
; %bb.2107:
	s_or_b64 exec, exec, s[8:9]
	s_and_b64 s[4:5], s[4:5], exec
	s_or_saveexec_b64 s[6:7], s[6:7]
	v_mov_b32_e32 v10, s10
	s_xor_b64 exec, exec, s[6:7]
	s_cbranch_execz .LBB53_58
.LBB53_2108:
	v_mov_b32_e32 v10, 0
	v_cmp_ne_u16_sdwa s[8:9], v15, v10 src0_sel:BYTE_3 src1_sel:DWORD
	s_andn2_b64 s[4:5], s[4:5], exec
	s_and_b64 s[8:9], s[8:9], exec
	s_or_b64 s[4:5], s[4:5], s[8:9]
	s_or_b64 exec, exec, s[6:7]
	s_and_saveexec_b64 s[6:7], s[4:5]
	s_cbranch_execnz .LBB53_59
	s_branch .LBB53_60
.LBB53_2109:
	s_movk_i32 s4, 0x80
	v_cmp_eq_u16_sdwa s[12:13], v11, s4 src0_sel:BYTE_3 src1_sel:DWORD
	s_mov_b64 s[4:5], -1
                                        ; implicit-def: $sgpr10
	s_and_saveexec_b64 s[8:9], s[12:13]
; %bb.2110:
	s_mov_b32 s10, 0x7f800001
	s_xor_b64 s[4:5], exec, -1
; %bb.2111:
	s_or_b64 exec, exec, s[8:9]
	s_and_b64 s[4:5], s[4:5], exec
	s_or_saveexec_b64 s[6:7], s[6:7]
	v_mov_b32_e32 v14, s10
	s_xor_b64 exec, exec, s[6:7]
	s_cbranch_execz .LBB53_62
.LBB53_2112:
	v_mov_b32_e32 v14, 0
	v_cmp_ne_u16_sdwa s[8:9], v11, v14 src0_sel:BYTE_3 src1_sel:DWORD
	s_andn2_b64 s[4:5], s[4:5], exec
	s_and_b64 s[8:9], s[8:9], exec
	s_or_b64 s[4:5], s[4:5], s[8:9]
	s_or_b64 exec, exec, s[6:7]
	s_and_saveexec_b64 s[6:7], s[4:5]
	s_cbranch_execnz .LBB53_63
	s_branch .LBB53_64
.LBB53_2113:
	s_movk_i32 s4, 0x80
	v_cmp_eq_u16_sdwa s[12:13], v16, s4 src0_sel:BYTE_0 src1_sel:DWORD
	s_mov_b64 s[4:5], -1
                                        ; implicit-def: $sgpr10
	s_and_saveexec_b64 s[8:9], s[12:13]
; %bb.2114:
	s_mov_b32 s10, 0x7f800001
	s_xor_b64 s[4:5], exec, -1
; %bb.2115:
	s_or_b64 exec, exec, s[8:9]
	s_and_b64 s[4:5], s[4:5], exec
	s_or_saveexec_b64 s[6:7], s[6:7]
	v_mov_b32_e32 v10, s10
	s_xor_b64 exec, exec, s[6:7]
	s_cbranch_execz .LBB53_66
.LBB53_2116:
	v_mov_b32_e32 v10, 0
	v_cmp_ne_u16_sdwa s[8:9], v16, v10 src0_sel:BYTE_0 src1_sel:DWORD
	s_andn2_b64 s[4:5], s[4:5], exec
	s_and_b64 s[8:9], s[8:9], exec
	s_or_b64 s[4:5], s[4:5], s[8:9]
	s_or_b64 exec, exec, s[6:7]
	s_and_saveexec_b64 s[6:7], s[4:5]
	s_cbranch_execnz .LBB53_67
	s_branch .LBB53_68
.LBB53_2117:
	s_movk_i32 s4, 0x80
	v_cmp_eq_u16_sdwa s[12:13], v12, s4 src0_sel:BYTE_0 src1_sel:DWORD
	s_mov_b64 s[4:5], -1
                                        ; implicit-def: $sgpr10
	s_and_saveexec_b64 s[8:9], s[12:13]
; %bb.2118:
	s_mov_b32 s10, 0x7f800001
	s_xor_b64 s[4:5], exec, -1
; %bb.2119:
	s_or_b64 exec, exec, s[8:9]
	s_and_b64 s[4:5], s[4:5], exec
	s_or_saveexec_b64 s[6:7], s[6:7]
	v_mov_b32_e32 v11, s10
	s_xor_b64 exec, exec, s[6:7]
	s_cbranch_execz .LBB53_70
.LBB53_2120:
	v_mov_b32_e32 v11, 0
	v_cmp_ne_u16_sdwa s[8:9], v12, v11 src0_sel:BYTE_0 src1_sel:DWORD
	s_andn2_b64 s[4:5], s[4:5], exec
	s_and_b64 s[8:9], s[8:9], exec
	s_or_b64 s[4:5], s[4:5], s[8:9]
	s_or_b64 exec, exec, s[6:7]
	s_and_saveexec_b64 s[6:7], s[4:5]
	s_cbranch_execnz .LBB53_71
	s_branch .LBB53_72
.LBB53_2121:
	s_movk_i32 s4, 0x80
	v_cmp_eq_u16_sdwa s[12:13], v11, s4 src0_sel:BYTE_0 src1_sel:DWORD
	s_mov_b64 s[4:5], -1
                                        ; implicit-def: $sgpr10
	s_and_saveexec_b64 s[8:9], s[12:13]
; %bb.2122:
	s_mov_b32 s10, 0x7f800001
	s_xor_b64 s[4:5], exec, -1
; %bb.2123:
	s_or_b64 exec, exec, s[8:9]
	s_and_b64 s[4:5], s[4:5], exec
	s_or_saveexec_b64 s[6:7], s[6:7]
	v_mov_b32_e32 v10, s10
	s_xor_b64 exec, exec, s[6:7]
	s_cbranch_execz .LBB53_74
.LBB53_2124:
	v_mov_b32_e32 v10, 0
	v_cmp_ne_u16_sdwa s[8:9], v11, v10 src0_sel:BYTE_0 src1_sel:DWORD
	s_andn2_b64 s[4:5], s[4:5], exec
	s_and_b64 s[8:9], s[8:9], exec
	s_or_b64 s[4:5], s[4:5], s[8:9]
	s_or_b64 exec, exec, s[6:7]
	s_and_saveexec_b64 s[6:7], s[4:5]
	s_cbranch_execnz .LBB53_75
	s_branch .LBB53_76
.LBB53_2125:
	s_movk_i32 s4, 0x80
	v_cmp_eq_u16_sdwa s[12:13], v11, s4 src0_sel:BYTE_0 src1_sel:DWORD
	s_mov_b64 s[4:5], -1
                                        ; implicit-def: $sgpr10
	s_and_saveexec_b64 s[8:9], s[12:13]
; %bb.2126:
	s_mov_b32 s10, 0x7f800001
	s_xor_b64 s[4:5], exec, -1
; %bb.2127:
	s_or_b64 exec, exec, s[8:9]
	s_and_b64 s[4:5], s[4:5], exec
	s_or_saveexec_b64 s[6:7], s[6:7]
	v_mov_b32_e32 v14, s10
	s_xor_b64 exec, exec, s[6:7]
	s_cbranch_execz .LBB53_78
.LBB53_2128:
	v_mov_b32_e32 v14, 0
	v_cmp_ne_u16_sdwa s[8:9], v11, v14 src0_sel:BYTE_0 src1_sel:DWORD
	s_andn2_b64 s[4:5], s[4:5], exec
	s_and_b64 s[8:9], s[8:9], exec
	s_or_b64 s[4:5], s[4:5], s[8:9]
	s_or_b64 exec, exec, s[6:7]
	s_and_saveexec_b64 s[6:7], s[4:5]
	s_cbranch_execnz .LBB53_79
	s_branch .LBB53_80
.LBB53_2129:
	s_movk_i32 s4, 0x80
	v_cmp_eq_u16_e32 vcc, s4, v11
	s_mov_b64 s[4:5], -1
                                        ; implicit-def: $sgpr10
	s_and_saveexec_b64 s[8:9], vcc
; %bb.2130:
	s_mov_b32 s10, 0x7f800001
	s_xor_b64 s[4:5], exec, -1
; %bb.2131:
	s_or_b64 exec, exec, s[8:9]
	s_and_b64 s[4:5], s[4:5], exec
                                        ; implicit-def: $vgpr11
	s_or_saveexec_b64 s[6:7], s[6:7]
	v_mov_b32_e32 v10, s10
	s_xor_b64 exec, exec, s[6:7]
	s_cbranch_execz .LBB53_82
.LBB53_2132:
	v_cmp_ne_u16_e32 vcc, 0, v11
	s_andn2_b64 s[4:5], s[4:5], exec
	s_and_b64 s[8:9], vcc, exec
	v_mov_b32_e32 v10, 0
	s_or_b64 s[4:5], s[4:5], s[8:9]
	s_or_b64 exec, exec, s[6:7]
	s_and_saveexec_b64 s[6:7], s[4:5]
	s_cbranch_execnz .LBB53_83
	s_branch .LBB53_84
.LBB53_2133:
	s_movk_i32 s4, 0x80
	v_cmp_eq_u16_e32 vcc, s4, v11
	s_mov_b64 s[4:5], -1
                                        ; implicit-def: $sgpr10
	s_and_saveexec_b64 s[8:9], vcc
; %bb.2134:
	s_mov_b32 s10, 0x7f800001
	s_xor_b64 s[4:5], exec, -1
; %bb.2135:
	s_or_b64 exec, exec, s[8:9]
	s_and_b64 s[4:5], s[4:5], exec
                                        ; implicit-def: $vgpr11
	s_or_saveexec_b64 s[6:7], s[6:7]
	v_mov_b32_e32 v14, s10
	s_xor_b64 exec, exec, s[6:7]
	s_cbranch_execz .LBB53_86
.LBB53_2136:
	v_cmp_ne_u16_e32 vcc, 0, v11
	s_andn2_b64 s[4:5], s[4:5], exec
	s_and_b64 s[8:9], vcc, exec
	v_mov_b32_e32 v14, 0
	s_or_b64 s[4:5], s[4:5], s[8:9]
	s_or_b64 exec, exec, s[6:7]
	s_and_saveexec_b64 s[6:7], s[4:5]
	s_cbranch_execnz .LBB53_87
	s_branch .LBB53_88
.LBB53_2137:
	s_movk_i32 s4, 0x80
	v_cmp_eq_u16_sdwa s[12:13], v16, s4 src0_sel:BYTE_3 src1_sel:DWORD
	s_mov_b64 s[4:5], -1
                                        ; implicit-def: $sgpr10
	s_and_saveexec_b64 s[8:9], s[12:13]
; %bb.2138:
	s_mov_b32 s10, 0x7f800001
	s_xor_b64 s[4:5], exec, -1
; %bb.2139:
	s_or_b64 exec, exec, s[8:9]
	s_and_b64 s[4:5], s[4:5], exec
	s_or_saveexec_b64 s[6:7], s[6:7]
	v_mov_b32_e32 v10, s10
	s_xor_b64 exec, exec, s[6:7]
	s_cbranch_execz .LBB53_90
.LBB53_2140:
	v_mov_b32_e32 v10, 0
	v_cmp_ne_u16_sdwa s[8:9], v16, v10 src0_sel:BYTE_3 src1_sel:DWORD
	s_andn2_b64 s[4:5], s[4:5], exec
	s_and_b64 s[8:9], s[8:9], exec
	s_or_b64 s[4:5], s[4:5], s[8:9]
	s_or_b64 exec, exec, s[6:7]
	s_and_saveexec_b64 s[6:7], s[4:5]
	s_cbranch_execnz .LBB53_91
	s_branch .LBB53_92
.LBB53_2141:
	s_movk_i32 s4, 0x80
	v_cmp_eq_u16_sdwa s[12:13], v12, s4 src0_sel:BYTE_3 src1_sel:DWORD
	s_mov_b64 s[4:5], -1
                                        ; implicit-def: $sgpr10
	s_and_saveexec_b64 s[8:9], s[12:13]
; %bb.2142:
	s_mov_b32 s10, 0x7f800001
	s_xor_b64 s[4:5], exec, -1
; %bb.2143:
	s_or_b64 exec, exec, s[8:9]
	s_and_b64 s[4:5], s[4:5], exec
	s_or_saveexec_b64 s[6:7], s[6:7]
	v_mov_b32_e32 v11, s10
	s_xor_b64 exec, exec, s[6:7]
	s_cbranch_execz .LBB53_94
.LBB53_2144:
	v_mov_b32_e32 v11, 0
	v_cmp_ne_u16_sdwa s[8:9], v12, v11 src0_sel:BYTE_3 src1_sel:DWORD
	s_andn2_b64 s[4:5], s[4:5], exec
	s_and_b64 s[8:9], s[8:9], exec
	s_or_b64 s[4:5], s[4:5], s[8:9]
	s_or_b64 exec, exec, s[6:7]
	s_and_saveexec_b64 s[6:7], s[4:5]
	s_cbranch_execnz .LBB53_95
	s_branch .LBB53_96
.LBB53_2145:
	s_movk_i32 s4, 0x80
	v_cmp_eq_u16_sdwa s[12:13], v17, s4 src0_sel:BYTE_0 src1_sel:DWORD
	s_mov_b64 s[4:5], -1
                                        ; implicit-def: $sgpr10
	s_and_saveexec_b64 s[8:9], s[12:13]
; %bb.2146:
	s_mov_b32 s10, 0x7f800001
	s_xor_b64 s[4:5], exec, -1
; %bb.2147:
	s_or_b64 exec, exec, s[8:9]
	s_and_b64 s[4:5], s[4:5], exec
	s_or_saveexec_b64 s[6:7], s[6:7]
	v_mov_b32_e32 v10, s10
	s_xor_b64 exec, exec, s[6:7]
	s_cbranch_execz .LBB53_98
.LBB53_2148:
	v_mov_b32_e32 v10, 0
	v_cmp_ne_u16_sdwa s[8:9], v17, v10 src0_sel:BYTE_0 src1_sel:DWORD
	s_andn2_b64 s[4:5], s[4:5], exec
	s_and_b64 s[8:9], s[8:9], exec
	s_or_b64 s[4:5], s[4:5], s[8:9]
	s_or_b64 exec, exec, s[6:7]
	s_and_saveexec_b64 s[6:7], s[4:5]
	s_cbranch_execnz .LBB53_99
	s_branch .LBB53_100
.LBB53_2149:
	s_movk_i32 s4, 0x80
	v_cmp_eq_u16_sdwa s[12:13], v13, s4 src0_sel:BYTE_0 src1_sel:DWORD
	s_mov_b64 s[4:5], -1
                                        ; implicit-def: $sgpr10
	s_and_saveexec_b64 s[8:9], s[12:13]
; %bb.2150:
	s_mov_b32 s10, 0x7f800001
	s_xor_b64 s[4:5], exec, -1
; %bb.2151:
	s_or_b64 exec, exec, s[8:9]
	s_and_b64 s[4:5], s[4:5], exec
	s_or_saveexec_b64 s[6:7], s[6:7]
	v_mov_b32_e32 v11, s10
	s_xor_b64 exec, exec, s[6:7]
	s_cbranch_execz .LBB53_102
.LBB53_2152:
	v_mov_b32_e32 v11, 0
	v_cmp_ne_u16_sdwa s[8:9], v13, v11 src0_sel:BYTE_0 src1_sel:DWORD
	s_andn2_b64 s[4:5], s[4:5], exec
	s_and_b64 s[8:9], s[8:9], exec
	s_or_b64 s[4:5], s[4:5], s[8:9]
	s_or_b64 exec, exec, s[6:7]
	s_and_saveexec_b64 s[6:7], s[4:5]
	s_cbranch_execnz .LBB53_103
	s_branch .LBB53_104
.LBB53_2153:
	s_movk_i32 s4, 0x80
	v_cmp_eq_u16_sdwa s[12:13], v11, s4 src0_sel:BYTE_0 src1_sel:DWORD
	s_mov_b64 s[4:5], -1
                                        ; implicit-def: $sgpr10
	s_and_saveexec_b64 s[8:9], s[12:13]
; %bb.2154:
	s_mov_b32 s10, 0x7f800001
	s_xor_b64 s[4:5], exec, -1
; %bb.2155:
	s_or_b64 exec, exec, s[8:9]
	s_and_b64 s[4:5], s[4:5], exec
	s_or_saveexec_b64 s[6:7], s[6:7]
	v_mov_b32_e32 v10, s10
	s_xor_b64 exec, exec, s[6:7]
	s_cbranch_execz .LBB53_106
.LBB53_2156:
	v_mov_b32_e32 v10, 0
	v_cmp_ne_u16_sdwa s[8:9], v11, v10 src0_sel:BYTE_0 src1_sel:DWORD
	s_andn2_b64 s[4:5], s[4:5], exec
	s_and_b64 s[8:9], s[8:9], exec
	s_or_b64 s[4:5], s[4:5], s[8:9]
	s_or_b64 exec, exec, s[6:7]
	s_and_saveexec_b64 s[6:7], s[4:5]
	s_cbranch_execnz .LBB53_107
	s_branch .LBB53_108
.LBB53_2157:
	s_movk_i32 s4, 0x80
	v_cmp_eq_u16_sdwa s[12:13], v11, s4 src0_sel:BYTE_0 src1_sel:DWORD
	s_mov_b64 s[4:5], -1
                                        ; implicit-def: $sgpr10
	s_and_saveexec_b64 s[8:9], s[12:13]
; %bb.2158:
	s_mov_b32 s10, 0x7f800001
	s_xor_b64 s[4:5], exec, -1
; %bb.2159:
	s_or_b64 exec, exec, s[8:9]
	s_and_b64 s[4:5], s[4:5], exec
	s_or_saveexec_b64 s[6:7], s[6:7]
	v_mov_b32_e32 v12, s10
	s_xor_b64 exec, exec, s[6:7]
	s_cbranch_execz .LBB53_110
.LBB53_2160:
	v_mov_b32_e32 v12, 0
	v_cmp_ne_u16_sdwa s[8:9], v11, v12 src0_sel:BYTE_0 src1_sel:DWORD
	s_andn2_b64 s[4:5], s[4:5], exec
	s_and_b64 s[8:9], s[8:9], exec
	s_or_b64 s[4:5], s[4:5], s[8:9]
	s_or_b64 exec, exec, s[6:7]
	s_and_saveexec_b64 s[6:7], s[4:5]
	s_cbranch_execnz .LBB53_111
	s_branch .LBB53_112
.LBB53_2161:
	s_movk_i32 s4, 0x80
	v_cmp_eq_u16_e32 vcc, s4, v11
	s_mov_b64 s[4:5], -1
                                        ; implicit-def: $sgpr10
	s_and_saveexec_b64 s[8:9], vcc
; %bb.2162:
	s_mov_b32 s10, 0x7f800001
	s_xor_b64 s[4:5], exec, -1
; %bb.2163:
	s_or_b64 exec, exec, s[8:9]
	s_and_b64 s[4:5], s[4:5], exec
                                        ; implicit-def: $vgpr11
	s_or_saveexec_b64 s[6:7], s[6:7]
	v_mov_b32_e32 v10, s10
	s_xor_b64 exec, exec, s[6:7]
	s_cbranch_execz .LBB53_114
.LBB53_2164:
	v_cmp_ne_u16_e32 vcc, 0, v11
	s_andn2_b64 s[4:5], s[4:5], exec
	s_and_b64 s[8:9], vcc, exec
	v_mov_b32_e32 v10, 0
	s_or_b64 s[4:5], s[4:5], s[8:9]
	s_or_b64 exec, exec, s[6:7]
	s_and_saveexec_b64 s[6:7], s[4:5]
	s_cbranch_execnz .LBB53_115
	s_branch .LBB53_116
.LBB53_2165:
	s_movk_i32 s4, 0x80
	v_cmp_eq_u16_e32 vcc, s4, v11
	s_mov_b64 s[4:5], -1
                                        ; implicit-def: $sgpr10
	s_and_saveexec_b64 s[8:9], vcc
; %bb.2166:
	s_mov_b32 s10, 0x7f800001
	s_xor_b64 s[4:5], exec, -1
; %bb.2167:
	s_or_b64 exec, exec, s[8:9]
	s_and_b64 s[4:5], s[4:5], exec
                                        ; implicit-def: $vgpr11
	s_or_saveexec_b64 s[6:7], s[6:7]
	v_mov_b32_e32 v12, s10
	s_xor_b64 exec, exec, s[6:7]
	s_cbranch_execz .LBB53_118
.LBB53_2168:
	v_cmp_ne_u16_e32 vcc, 0, v11
	s_andn2_b64 s[4:5], s[4:5], exec
	s_and_b64 s[8:9], vcc, exec
	v_mov_b32_e32 v12, 0
	s_or_b64 s[4:5], s[4:5], s[8:9]
	s_or_b64 exec, exec, s[6:7]
	s_and_saveexec_b64 s[6:7], s[4:5]
	s_cbranch_execnz .LBB53_119
	s_branch .LBB53_120
.LBB53_2169:
	s_movk_i32 s4, 0x80
	v_cmp_eq_u16_sdwa s[12:13], v17, s4 src0_sel:BYTE_3 src1_sel:DWORD
	s_mov_b64 s[4:5], -1
                                        ; implicit-def: $sgpr10
	s_and_saveexec_b64 s[8:9], s[12:13]
; %bb.2170:
	s_mov_b32 s10, 0x7f800001
	s_xor_b64 s[4:5], exec, -1
; %bb.2171:
	s_or_b64 exec, exec, s[8:9]
	s_and_b64 s[4:5], s[4:5], exec
	s_or_saveexec_b64 s[6:7], s[6:7]
	v_mov_b32_e32 v10, s10
	s_xor_b64 exec, exec, s[6:7]
	s_cbranch_execz .LBB53_122
.LBB53_2172:
	v_mov_b32_e32 v10, 0
	v_cmp_ne_u16_sdwa s[8:9], v17, v10 src0_sel:BYTE_3 src1_sel:DWORD
	s_andn2_b64 s[4:5], s[4:5], exec
	s_and_b64 s[8:9], s[8:9], exec
	s_or_b64 s[4:5], s[4:5], s[8:9]
	s_or_b64 exec, exec, s[6:7]
	s_and_saveexec_b64 s[6:7], s[4:5]
	s_cbranch_execnz .LBB53_123
	s_branch .LBB53_124
.LBB53_2173:
	s_movk_i32 s4, 0x80
	v_cmp_eq_u16_sdwa s[12:13], v13, s4 src0_sel:BYTE_3 src1_sel:DWORD
	s_mov_b64 s[4:5], -1
                                        ; implicit-def: $sgpr10
	s_and_saveexec_b64 s[8:9], s[12:13]
; %bb.2174:
	s_mov_b32 s10, 0x7f800001
	s_xor_b64 s[4:5], exec, -1
; %bb.2175:
	s_or_b64 exec, exec, s[8:9]
	s_and_b64 s[4:5], s[4:5], exec
	s_or_saveexec_b64 s[6:7], s[6:7]
	v_mov_b32_e32 v11, s10
	s_xor_b64 exec, exec, s[6:7]
	s_cbranch_execz .LBB53_126
.LBB53_2176:
	v_mov_b32_e32 v11, 0
	v_cmp_ne_u16_sdwa s[8:9], v13, v11 src0_sel:BYTE_3 src1_sel:DWORD
	s_andn2_b64 s[4:5], s[4:5], exec
	s_and_b64 s[8:9], s[8:9], exec
	s_or_b64 s[4:5], s[4:5], s[8:9]
	s_or_b64 exec, exec, s[6:7]
	s_and_saveexec_b64 s[6:7], s[4:5]
	s_cbranch_execnz .LBB53_127
	s_branch .LBB53_128
.LBB53_2177:
	s_movk_i32 s4, 0x80
	v_cmp_eq_u16_sdwa s[12:13], v6, s4 src0_sel:BYTE_0 src1_sel:DWORD
	s_mov_b64 s[4:5], -1
                                        ; implicit-def: $sgpr10
	s_and_saveexec_b64 s[8:9], s[12:13]
; %bb.2178:
	s_mov_b32 s10, 0x7f800001
	s_xor_b64 s[4:5], exec, -1
; %bb.2179:
	s_or_b64 exec, exec, s[8:9]
	s_and_b64 s[4:5], s[4:5], exec
	s_or_saveexec_b64 s[6:7], s[6:7]
	v_mov_b32_e32 v10, s10
	s_xor_b64 exec, exec, s[6:7]
	s_cbranch_execz .LBB53_130
.LBB53_2180:
	v_mov_b32_e32 v10, 0
	v_cmp_ne_u16_sdwa s[8:9], v6, v10 src0_sel:BYTE_0 src1_sel:DWORD
	s_andn2_b64 s[4:5], s[4:5], exec
	s_and_b64 s[8:9], s[8:9], exec
	s_or_b64 s[4:5], s[4:5], s[8:9]
	s_or_b64 exec, exec, s[6:7]
	s_and_saveexec_b64 s[6:7], s[4:5]
	s_cbranch_execnz .LBB53_131
	s_branch .LBB53_132
.LBB53_2181:
	s_movk_i32 s4, 0x80
	v_cmp_eq_u16_sdwa s[12:13], v2, s4 src0_sel:BYTE_0 src1_sel:DWORD
	s_mov_b64 s[4:5], -1
                                        ; implicit-def: $sgpr10
	s_and_saveexec_b64 s[8:9], s[12:13]
; %bb.2182:
	s_mov_b32 s10, 0x7f800001
	s_xor_b64 s[4:5], exec, -1
; %bb.2183:
	s_or_b64 exec, exec, s[8:9]
	s_and_b64 s[4:5], s[4:5], exec
	s_or_saveexec_b64 s[6:7], s[6:7]
	v_mov_b32_e32 v11, s10
	s_xor_b64 exec, exec, s[6:7]
	s_cbranch_execz .LBB53_134
.LBB53_2184:
	v_mov_b32_e32 v11, 0
	v_cmp_ne_u16_sdwa s[8:9], v2, v11 src0_sel:BYTE_0 src1_sel:DWORD
	s_andn2_b64 s[4:5], s[4:5], exec
	s_and_b64 s[8:9], s[8:9], exec
	s_or_b64 s[4:5], s[4:5], s[8:9]
	s_or_b64 exec, exec, s[6:7]
	s_and_saveexec_b64 s[6:7], s[4:5]
	s_cbranch_execnz .LBB53_135
	s_branch .LBB53_136
.LBB53_2185:
	s_movk_i32 s4, 0x80
	v_cmp_eq_u16_sdwa s[12:13], v11, s4 src0_sel:BYTE_0 src1_sel:DWORD
	s_mov_b64 s[4:5], -1
                                        ; implicit-def: $sgpr10
	s_and_saveexec_b64 s[8:9], s[12:13]
; %bb.2186:
	s_mov_b32 s10, 0x7f800001
	s_xor_b64 s[4:5], exec, -1
; %bb.2187:
	s_or_b64 exec, exec, s[8:9]
	s_and_b64 s[4:5], s[4:5], exec
	s_or_saveexec_b64 s[6:7], s[6:7]
	v_mov_b32_e32 v10, s10
	s_xor_b64 exec, exec, s[6:7]
	s_cbranch_execz .LBB53_138
.LBB53_2188:
	v_mov_b32_e32 v10, 0
	v_cmp_ne_u16_sdwa s[8:9], v11, v10 src0_sel:BYTE_0 src1_sel:DWORD
	s_andn2_b64 s[4:5], s[4:5], exec
	s_and_b64 s[8:9], s[8:9], exec
	s_or_b64 s[4:5], s[4:5], s[8:9]
	s_or_b64 exec, exec, s[6:7]
	s_and_saveexec_b64 s[6:7], s[4:5]
	s_cbranch_execnz .LBB53_139
	s_branch .LBB53_140
.LBB53_2189:
	s_movk_i32 s4, 0x80
	v_cmp_eq_u16_sdwa s[12:13], v11, s4 src0_sel:BYTE_0 src1_sel:DWORD
	s_mov_b64 s[4:5], -1
                                        ; implicit-def: $sgpr10
	s_and_saveexec_b64 s[8:9], s[12:13]
; %bb.2190:
	s_mov_b32 s10, 0x7f800001
	s_xor_b64 s[4:5], exec, -1
; %bb.2191:
	s_or_b64 exec, exec, s[8:9]
	s_and_b64 s[4:5], s[4:5], exec
	s_or_saveexec_b64 s[6:7], s[6:7]
	v_mov_b32_e32 v12, s10
	s_xor_b64 exec, exec, s[6:7]
	s_cbranch_execz .LBB53_142
.LBB53_2192:
	v_mov_b32_e32 v12, 0
	v_cmp_ne_u16_sdwa s[8:9], v11, v12 src0_sel:BYTE_0 src1_sel:DWORD
	s_andn2_b64 s[4:5], s[4:5], exec
	s_and_b64 s[8:9], s[8:9], exec
	s_or_b64 s[4:5], s[4:5], s[8:9]
	s_or_b64 exec, exec, s[6:7]
	s_and_saveexec_b64 s[6:7], s[4:5]
	s_cbranch_execnz .LBB53_143
	s_branch .LBB53_144
.LBB53_2193:
	s_movk_i32 s4, 0x80
	v_cmp_eq_u16_e32 vcc, s4, v11
	s_mov_b64 s[4:5], -1
                                        ; implicit-def: $sgpr10
	s_and_saveexec_b64 s[8:9], vcc
; %bb.2194:
	s_mov_b32 s10, 0x7f800001
	s_xor_b64 s[4:5], exec, -1
; %bb.2195:
	s_or_b64 exec, exec, s[8:9]
	s_and_b64 s[4:5], s[4:5], exec
                                        ; implicit-def: $vgpr11
	s_or_saveexec_b64 s[6:7], s[6:7]
	v_mov_b32_e32 v10, s10
	s_xor_b64 exec, exec, s[6:7]
	s_cbranch_execz .LBB53_146
.LBB53_2196:
	v_cmp_ne_u16_e32 vcc, 0, v11
	s_andn2_b64 s[4:5], s[4:5], exec
	s_and_b64 s[8:9], vcc, exec
	v_mov_b32_e32 v10, 0
	s_or_b64 s[4:5], s[4:5], s[8:9]
	s_or_b64 exec, exec, s[6:7]
	s_and_saveexec_b64 s[6:7], s[4:5]
	s_cbranch_execnz .LBB53_147
	s_branch .LBB53_148
.LBB53_2197:
	s_movk_i32 s4, 0x80
	v_cmp_eq_u16_e32 vcc, s4, v11
	s_mov_b64 s[4:5], -1
                                        ; implicit-def: $sgpr10
	s_and_saveexec_b64 s[8:9], vcc
; %bb.2198:
	s_mov_b32 s10, 0x7f800001
	s_xor_b64 s[4:5], exec, -1
; %bb.2199:
	s_or_b64 exec, exec, s[8:9]
	s_and_b64 s[4:5], s[4:5], exec
                                        ; implicit-def: $vgpr11
	s_or_saveexec_b64 s[6:7], s[6:7]
	v_mov_b32_e32 v12, s10
	s_xor_b64 exec, exec, s[6:7]
	s_cbranch_execz .LBB53_150
.LBB53_2200:
	v_cmp_ne_u16_e32 vcc, 0, v11
	s_andn2_b64 s[4:5], s[4:5], exec
	s_and_b64 s[8:9], vcc, exec
	v_mov_b32_e32 v12, 0
	s_or_b64 s[4:5], s[4:5], s[8:9]
	s_or_b64 exec, exec, s[6:7]
	s_and_saveexec_b64 s[6:7], s[4:5]
	s_cbranch_execnz .LBB53_151
	s_branch .LBB53_152
.LBB53_2201:
	s_movk_i32 s4, 0x80
	v_cmp_eq_u16_sdwa s[12:13], v6, s4 src0_sel:BYTE_3 src1_sel:DWORD
	s_mov_b64 s[4:5], -1
                                        ; implicit-def: $sgpr10
	s_and_saveexec_b64 s[8:9], s[12:13]
; %bb.2202:
	s_mov_b32 s10, 0x7f800001
	s_xor_b64 s[4:5], exec, -1
; %bb.2203:
	s_or_b64 exec, exec, s[8:9]
	s_and_b64 s[4:5], s[4:5], exec
	s_or_saveexec_b64 s[6:7], s[6:7]
	v_mov_b32_e32 v10, s10
	s_xor_b64 exec, exec, s[6:7]
	s_cbranch_execz .LBB53_154
.LBB53_2204:
	v_mov_b32_e32 v10, 0
	v_cmp_ne_u16_sdwa s[8:9], v6, v10 src0_sel:BYTE_3 src1_sel:DWORD
	s_andn2_b64 s[4:5], s[4:5], exec
	s_and_b64 s[8:9], s[8:9], exec
	s_or_b64 s[4:5], s[4:5], s[8:9]
	s_or_b64 exec, exec, s[6:7]
	s_and_saveexec_b64 s[6:7], s[4:5]
	s_cbranch_execnz .LBB53_155
	s_branch .LBB53_156
.LBB53_2205:
	s_movk_i32 s4, 0x80
	v_cmp_eq_u16_sdwa s[12:13], v2, s4 src0_sel:BYTE_3 src1_sel:DWORD
	s_mov_b64 s[4:5], -1
                                        ; implicit-def: $sgpr10
	s_and_saveexec_b64 s[8:9], s[12:13]
; %bb.2206:
	s_mov_b32 s10, 0x7f800001
	s_xor_b64 s[4:5], exec, -1
; %bb.2207:
	s_or_b64 exec, exec, s[8:9]
	s_and_b64 s[4:5], s[4:5], exec
	s_or_saveexec_b64 s[6:7], s[6:7]
	v_mov_b32_e32 v6, s10
	s_xor_b64 exec, exec, s[6:7]
	s_cbranch_execz .LBB53_158
.LBB53_2208:
	v_mov_b32_e32 v6, 0
	v_cmp_ne_u16_sdwa s[8:9], v2, v6 src0_sel:BYTE_3 src1_sel:DWORD
	s_andn2_b64 s[4:5], s[4:5], exec
	s_and_b64 s[8:9], s[8:9], exec
	s_or_b64 s[4:5], s[4:5], s[8:9]
	s_or_b64 exec, exec, s[6:7]
	s_and_saveexec_b64 s[6:7], s[4:5]
	s_cbranch_execnz .LBB53_159
	s_branch .LBB53_160
.LBB53_2209:
	s_movk_i32 s4, 0x80
	v_cmp_eq_u16_sdwa s[12:13], v7, s4 src0_sel:BYTE_0 src1_sel:DWORD
	s_mov_b64 s[4:5], -1
                                        ; implicit-def: $sgpr10
	s_and_saveexec_b64 s[8:9], s[12:13]
; %bb.2210:
	s_mov_b32 s10, 0x7f800001
	s_xor_b64 s[4:5], exec, -1
; %bb.2211:
	s_or_b64 exec, exec, s[8:9]
	s_and_b64 s[4:5], s[4:5], exec
	s_or_saveexec_b64 s[6:7], s[6:7]
	v_mov_b32_e32 v2, s10
	s_xor_b64 exec, exec, s[6:7]
	s_cbranch_execz .LBB53_162
.LBB53_2212:
	v_mov_b32_e32 v2, 0
	v_cmp_ne_u16_sdwa s[8:9], v7, v2 src0_sel:BYTE_0 src1_sel:DWORD
	s_andn2_b64 s[4:5], s[4:5], exec
	s_and_b64 s[8:9], s[8:9], exec
	s_or_b64 s[4:5], s[4:5], s[8:9]
	s_or_b64 exec, exec, s[6:7]
	s_and_saveexec_b64 s[6:7], s[4:5]
	s_cbranch_execnz .LBB53_163
	s_branch .LBB53_164
.LBB53_2213:
	s_movk_i32 s4, 0x80
	v_cmp_eq_u16_sdwa s[12:13], v3, s4 src0_sel:BYTE_0 src1_sel:DWORD
	s_mov_b64 s[4:5], -1
                                        ; implicit-def: $sgpr10
	s_and_saveexec_b64 s[8:9], s[12:13]
; %bb.2214:
	s_mov_b32 s10, 0x7f800001
	s_xor_b64 s[4:5], exec, -1
; %bb.2215:
	s_or_b64 exec, exec, s[8:9]
	s_and_b64 s[4:5], s[4:5], exec
	s_or_saveexec_b64 s[6:7], s[6:7]
	v_mov_b32_e32 v6, s10
	s_xor_b64 exec, exec, s[6:7]
	s_cbranch_execz .LBB53_166
.LBB53_2216:
	v_mov_b32_e32 v6, 0
	v_cmp_ne_u16_sdwa s[8:9], v3, v6 src0_sel:BYTE_0 src1_sel:DWORD
	s_andn2_b64 s[4:5], s[4:5], exec
	s_and_b64 s[8:9], s[8:9], exec
	s_or_b64 s[4:5], s[4:5], s[8:9]
	s_or_b64 exec, exec, s[6:7]
	s_and_saveexec_b64 s[6:7], s[4:5]
	s_cbranch_execnz .LBB53_167
	s_branch .LBB53_168
.LBB53_2217:
	s_movk_i32 s4, 0x80
	v_cmp_eq_u16_sdwa s[12:13], v6, s4 src0_sel:BYTE_0 src1_sel:DWORD
	s_mov_b64 s[4:5], -1
                                        ; implicit-def: $sgpr10
	s_and_saveexec_b64 s[8:9], s[12:13]
; %bb.2218:
	s_mov_b32 s10, 0x7f800001
	s_xor_b64 s[4:5], exec, -1
; %bb.2219:
	s_or_b64 exec, exec, s[8:9]
	s_and_b64 s[4:5], s[4:5], exec
	s_or_saveexec_b64 s[6:7], s[6:7]
	v_mov_b32_e32 v2, s10
	s_xor_b64 exec, exec, s[6:7]
	s_cbranch_execz .LBB53_170
.LBB53_2220:
	v_mov_b32_e32 v2, 0
	v_cmp_ne_u16_sdwa s[8:9], v6, v2 src0_sel:BYTE_0 src1_sel:DWORD
	s_andn2_b64 s[4:5], s[4:5], exec
	s_and_b64 s[8:9], s[8:9], exec
	s_or_b64 s[4:5], s[4:5], s[8:9]
	s_or_b64 exec, exec, s[6:7]
	s_and_saveexec_b64 s[6:7], s[4:5]
	s_cbranch_execnz .LBB53_171
	s_branch .LBB53_172
.LBB53_2221:
	s_movk_i32 s4, 0x80
	v_cmp_eq_u16_sdwa s[12:13], v6, s4 src0_sel:BYTE_0 src1_sel:DWORD
	s_mov_b64 s[4:5], -1
                                        ; implicit-def: $sgpr10
	s_and_saveexec_b64 s[8:9], s[12:13]
; %bb.2222:
	s_mov_b32 s10, 0x7f800001
	s_xor_b64 s[4:5], exec, -1
; %bb.2223:
	s_or_b64 exec, exec, s[8:9]
	s_and_b64 s[4:5], s[4:5], exec
	s_or_saveexec_b64 s[6:7], s[6:7]
	v_mov_b32_e32 v10, s10
	s_xor_b64 exec, exec, s[6:7]
	s_cbranch_execz .LBB53_174
.LBB53_2224:
	v_mov_b32_e32 v10, 0
	v_cmp_ne_u16_sdwa s[8:9], v6, v10 src0_sel:BYTE_0 src1_sel:DWORD
	s_andn2_b64 s[4:5], s[4:5], exec
	s_and_b64 s[8:9], s[8:9], exec
	s_or_b64 s[4:5], s[4:5], s[8:9]
	s_or_b64 exec, exec, s[6:7]
	s_and_saveexec_b64 s[6:7], s[4:5]
	s_cbranch_execnz .LBB53_175
	s_branch .LBB53_176
.LBB53_2225:
	s_movk_i32 s4, 0x80
	v_cmp_eq_u16_e32 vcc, s4, v6
	s_mov_b64 s[4:5], -1
                                        ; implicit-def: $sgpr10
	s_and_saveexec_b64 s[8:9], vcc
; %bb.2226:
	s_mov_b32 s10, 0x7f800001
	s_xor_b64 s[4:5], exec, -1
; %bb.2227:
	s_or_b64 exec, exec, s[8:9]
	s_and_b64 s[4:5], s[4:5], exec
                                        ; implicit-def: $vgpr6
	s_or_saveexec_b64 s[6:7], s[6:7]
	v_mov_b32_e32 v2, s10
	s_xor_b64 exec, exec, s[6:7]
	s_cbranch_execz .LBB53_178
.LBB53_2228:
	v_cmp_ne_u16_e32 vcc, 0, v6
	s_andn2_b64 s[4:5], s[4:5], exec
	s_and_b64 s[8:9], vcc, exec
	v_mov_b32_e32 v2, 0
	s_or_b64 s[4:5], s[4:5], s[8:9]
	s_or_b64 exec, exec, s[6:7]
	s_and_saveexec_b64 s[6:7], s[4:5]
	s_cbranch_execnz .LBB53_179
	s_branch .LBB53_180
.LBB53_2229:
	s_movk_i32 s4, 0x80
	v_cmp_eq_u16_e32 vcc, s4, v6
	s_mov_b64 s[4:5], -1
                                        ; implicit-def: $sgpr10
	s_and_saveexec_b64 s[8:9], vcc
; %bb.2230:
	s_mov_b32 s10, 0x7f800001
	s_xor_b64 s[4:5], exec, -1
; %bb.2231:
	s_or_b64 exec, exec, s[8:9]
	s_and_b64 s[4:5], s[4:5], exec
                                        ; implicit-def: $vgpr6
	s_or_saveexec_b64 s[6:7], s[6:7]
	v_mov_b32_e32 v10, s10
	s_xor_b64 exec, exec, s[6:7]
	s_cbranch_execz .LBB53_182
.LBB53_2232:
	v_cmp_ne_u16_e32 vcc, 0, v6
	s_andn2_b64 s[4:5], s[4:5], exec
	s_and_b64 s[8:9], vcc, exec
	v_mov_b32_e32 v10, 0
	s_or_b64 s[4:5], s[4:5], s[8:9]
	s_or_b64 exec, exec, s[6:7]
	s_and_saveexec_b64 s[6:7], s[4:5]
	s_cbranch_execnz .LBB53_183
	s_branch .LBB53_184
.LBB53_2233:
	s_movk_i32 s4, 0x80
	v_cmp_eq_u16_sdwa s[12:13], v7, s4 src0_sel:BYTE_3 src1_sel:DWORD
	s_mov_b64 s[4:5], -1
                                        ; implicit-def: $sgpr10
	s_and_saveexec_b64 s[8:9], s[12:13]
; %bb.2234:
	s_mov_b32 s10, 0x7f800001
	s_xor_b64 s[4:5], exec, -1
; %bb.2235:
	s_or_b64 exec, exec, s[8:9]
	s_and_b64 s[4:5], s[4:5], exec
	s_or_saveexec_b64 s[6:7], s[6:7]
	v_mov_b32_e32 v2, s10
	s_xor_b64 exec, exec, s[6:7]
	s_cbranch_execz .LBB53_186
.LBB53_2236:
	v_mov_b32_e32 v2, 0
	v_cmp_ne_u16_sdwa s[8:9], v7, v2 src0_sel:BYTE_3 src1_sel:DWORD
	s_andn2_b64 s[4:5], s[4:5], exec
	s_and_b64 s[8:9], s[8:9], exec
	s_or_b64 s[4:5], s[4:5], s[8:9]
	s_or_b64 exec, exec, s[6:7]
	s_and_saveexec_b64 s[6:7], s[4:5]
	s_cbranch_execnz .LBB53_187
	s_branch .LBB53_188
.LBB53_2237:
	s_movk_i32 s4, 0x80
	v_cmp_eq_u16_sdwa s[12:13], v3, s4 src0_sel:BYTE_3 src1_sel:DWORD
	s_mov_b64 s[4:5], -1
                                        ; implicit-def: $sgpr10
	s_and_saveexec_b64 s[8:9], s[12:13]
; %bb.2238:
	s_mov_b32 s10, 0x7f800001
	s_xor_b64 s[4:5], exec, -1
; %bb.2239:
	s_or_b64 exec, exec, s[8:9]
	s_and_b64 s[4:5], s[4:5], exec
	s_or_saveexec_b64 s[6:7], s[6:7]
	v_mov_b32_e32 v6, s10
	s_xor_b64 exec, exec, s[6:7]
	s_cbranch_execz .LBB53_190
.LBB53_2240:
	v_mov_b32_e32 v6, 0
	v_cmp_ne_u16_sdwa s[8:9], v3, v6 src0_sel:BYTE_3 src1_sel:DWORD
	s_andn2_b64 s[4:5], s[4:5], exec
	s_and_b64 s[8:9], s[8:9], exec
	s_or_b64 s[4:5], s[4:5], s[8:9]
	s_or_b64 exec, exec, s[6:7]
	s_and_saveexec_b64 s[6:7], s[4:5]
	s_cbranch_execnz .LBB53_191
	s_branch .LBB53_192
.LBB53_2241:
	s_movk_i32 s4, 0x80
	v_cmp_eq_u16_sdwa s[12:13], v8, s4 src0_sel:BYTE_0 src1_sel:DWORD
	s_mov_b64 s[4:5], -1
                                        ; implicit-def: $sgpr10
	s_and_saveexec_b64 s[8:9], s[12:13]
; %bb.2242:
	s_mov_b32 s10, 0x7f800001
	s_xor_b64 s[4:5], exec, -1
; %bb.2243:
	s_or_b64 exec, exec, s[8:9]
	s_and_b64 s[4:5], s[4:5], exec
	s_or_saveexec_b64 s[6:7], s[6:7]
	v_mov_b32_e32 v2, s10
	s_xor_b64 exec, exec, s[6:7]
	s_cbranch_execz .LBB53_194
.LBB53_2244:
	v_mov_b32_e32 v2, 0
	v_cmp_ne_u16_sdwa s[8:9], v8, v2 src0_sel:BYTE_0 src1_sel:DWORD
	s_andn2_b64 s[4:5], s[4:5], exec
	s_and_b64 s[8:9], s[8:9], exec
	s_or_b64 s[4:5], s[4:5], s[8:9]
	s_or_b64 exec, exec, s[6:7]
	s_and_saveexec_b64 s[6:7], s[4:5]
	s_cbranch_execnz .LBB53_195
	s_branch .LBB53_196
.LBB53_2245:
	s_movk_i32 s4, 0x80
	v_cmp_eq_u16_sdwa s[12:13], v4, s4 src0_sel:BYTE_0 src1_sel:DWORD
	s_mov_b64 s[4:5], -1
                                        ; implicit-def: $sgpr10
	s_and_saveexec_b64 s[8:9], s[12:13]
; %bb.2246:
	s_mov_b32 s10, 0x7f800001
	s_xor_b64 s[4:5], exec, -1
; %bb.2247:
	s_or_b64 exec, exec, s[8:9]
	s_and_b64 s[4:5], s[4:5], exec
	s_or_saveexec_b64 s[6:7], s[6:7]
	v_mov_b32_e32 v3, s10
	s_xor_b64 exec, exec, s[6:7]
	s_cbranch_execz .LBB53_198
.LBB53_2248:
	v_mov_b32_e32 v3, 0
	v_cmp_ne_u16_sdwa s[8:9], v4, v3 src0_sel:BYTE_0 src1_sel:DWORD
	s_andn2_b64 s[4:5], s[4:5], exec
	s_and_b64 s[8:9], s[8:9], exec
	s_or_b64 s[4:5], s[4:5], s[8:9]
	s_or_b64 exec, exec, s[6:7]
	s_and_saveexec_b64 s[6:7], s[4:5]
	s_cbranch_execnz .LBB53_199
	s_branch .LBB53_200
.LBB53_2249:
	s_movk_i32 s4, 0x80
	v_cmp_eq_u16_sdwa s[12:13], v3, s4 src0_sel:BYTE_0 src1_sel:DWORD
	s_mov_b64 s[4:5], -1
                                        ; implicit-def: $sgpr10
	s_and_saveexec_b64 s[8:9], s[12:13]
; %bb.2250:
	s_mov_b32 s10, 0x7f800001
	s_xor_b64 s[4:5], exec, -1
; %bb.2251:
	s_or_b64 exec, exec, s[8:9]
	s_and_b64 s[4:5], s[4:5], exec
	s_or_saveexec_b64 s[6:7], s[6:7]
	v_mov_b32_e32 v2, s10
	s_xor_b64 exec, exec, s[6:7]
	s_cbranch_execz .LBB53_202
.LBB53_2252:
	v_mov_b32_e32 v2, 0
	v_cmp_ne_u16_sdwa s[8:9], v3, v2 src0_sel:BYTE_0 src1_sel:DWORD
	s_andn2_b64 s[4:5], s[4:5], exec
	s_and_b64 s[8:9], s[8:9], exec
	s_or_b64 s[4:5], s[4:5], s[8:9]
	s_or_b64 exec, exec, s[6:7]
	s_and_saveexec_b64 s[6:7], s[4:5]
	s_cbranch_execnz .LBB53_203
	s_branch .LBB53_204
.LBB53_2253:
	s_movk_i32 s4, 0x80
	v_cmp_eq_u16_sdwa s[12:13], v3, s4 src0_sel:BYTE_0 src1_sel:DWORD
	s_mov_b64 s[4:5], -1
                                        ; implicit-def: $sgpr10
	s_and_saveexec_b64 s[8:9], s[12:13]
; %bb.2254:
	s_mov_b32 s10, 0x7f800001
	s_xor_b64 s[4:5], exec, -1
; %bb.2255:
	s_or_b64 exec, exec, s[8:9]
	s_and_b64 s[4:5], s[4:5], exec
	s_or_saveexec_b64 s[6:7], s[6:7]
	v_mov_b32_e32 v6, s10
	s_xor_b64 exec, exec, s[6:7]
	s_cbranch_execz .LBB53_206
.LBB53_2256:
	v_mov_b32_e32 v6, 0
	v_cmp_ne_u16_sdwa s[8:9], v3, v6 src0_sel:BYTE_0 src1_sel:DWORD
	s_andn2_b64 s[4:5], s[4:5], exec
	s_and_b64 s[8:9], s[8:9], exec
	s_or_b64 s[4:5], s[4:5], s[8:9]
	s_or_b64 exec, exec, s[6:7]
	s_and_saveexec_b64 s[6:7], s[4:5]
	s_cbranch_execnz .LBB53_207
	s_branch .LBB53_208
.LBB53_2257:
	s_movk_i32 s4, 0x80
	v_cmp_eq_u16_e32 vcc, s4, v3
	s_mov_b64 s[4:5], -1
                                        ; implicit-def: $sgpr10
	s_and_saveexec_b64 s[8:9], vcc
; %bb.2258:
	s_mov_b32 s10, 0x7f800001
	s_xor_b64 s[4:5], exec, -1
; %bb.2259:
	s_or_b64 exec, exec, s[8:9]
	s_and_b64 s[4:5], s[4:5], exec
                                        ; implicit-def: $vgpr3
	s_or_saveexec_b64 s[6:7], s[6:7]
	v_mov_b32_e32 v2, s10
	s_xor_b64 exec, exec, s[6:7]
	s_cbranch_execz .LBB53_210
.LBB53_2260:
	v_cmp_ne_u16_e32 vcc, 0, v3
	s_andn2_b64 s[4:5], s[4:5], exec
	s_and_b64 s[8:9], vcc, exec
	v_mov_b32_e32 v2, 0
	s_or_b64 s[4:5], s[4:5], s[8:9]
	s_or_b64 exec, exec, s[6:7]
	s_and_saveexec_b64 s[6:7], s[4:5]
	s_cbranch_execnz .LBB53_211
	s_branch .LBB53_212
.LBB53_2261:
	s_movk_i32 s4, 0x80
	v_cmp_eq_u16_e32 vcc, s4, v3
	s_mov_b64 s[4:5], -1
                                        ; implicit-def: $sgpr10
	s_and_saveexec_b64 s[8:9], vcc
; %bb.2262:
	s_mov_b32 s10, 0x7f800001
	s_xor_b64 s[4:5], exec, -1
; %bb.2263:
	s_or_b64 exec, exec, s[8:9]
	s_and_b64 s[4:5], s[4:5], exec
                                        ; implicit-def: $vgpr3
	s_or_saveexec_b64 s[6:7], s[6:7]
	v_mov_b32_e32 v6, s10
	s_xor_b64 exec, exec, s[6:7]
	s_cbranch_execz .LBB53_214
.LBB53_2264:
	v_cmp_ne_u16_e32 vcc, 0, v3
	s_andn2_b64 s[4:5], s[4:5], exec
	s_and_b64 s[8:9], vcc, exec
	v_mov_b32_e32 v6, 0
	s_or_b64 s[4:5], s[4:5], s[8:9]
	s_or_b64 exec, exec, s[6:7]
	s_and_saveexec_b64 s[6:7], s[4:5]
	s_cbranch_execnz .LBB53_215
	s_branch .LBB53_216
.LBB53_2265:
	s_movk_i32 s4, 0x80
	v_cmp_eq_u16_sdwa s[12:13], v8, s4 src0_sel:BYTE_3 src1_sel:DWORD
	s_mov_b64 s[4:5], -1
                                        ; implicit-def: $sgpr10
	s_and_saveexec_b64 s[8:9], s[12:13]
; %bb.2266:
	s_mov_b32 s10, 0x7f800001
	s_xor_b64 s[4:5], exec, -1
; %bb.2267:
	s_or_b64 exec, exec, s[8:9]
	s_and_b64 s[4:5], s[4:5], exec
	s_or_saveexec_b64 s[6:7], s[6:7]
	v_mov_b32_e32 v2, s10
	s_xor_b64 exec, exec, s[6:7]
	s_cbranch_execz .LBB53_218
.LBB53_2268:
	v_mov_b32_e32 v2, 0
	v_cmp_ne_u16_sdwa s[8:9], v8, v2 src0_sel:BYTE_3 src1_sel:DWORD
	s_andn2_b64 s[4:5], s[4:5], exec
	s_and_b64 s[8:9], s[8:9], exec
	s_or_b64 s[4:5], s[4:5], s[8:9]
	s_or_b64 exec, exec, s[6:7]
	s_and_saveexec_b64 s[6:7], s[4:5]
	s_cbranch_execnz .LBB53_219
	s_branch .LBB53_220
.LBB53_2269:
	s_movk_i32 s4, 0x80
	v_cmp_eq_u16_sdwa s[12:13], v4, s4 src0_sel:BYTE_3 src1_sel:DWORD
	s_mov_b64 s[4:5], -1
                                        ; implicit-def: $sgpr10
	s_and_saveexec_b64 s[8:9], s[12:13]
; %bb.2270:
	s_mov_b32 s10, 0x7f800001
	s_xor_b64 s[4:5], exec, -1
; %bb.2271:
	s_or_b64 exec, exec, s[8:9]
	s_and_b64 s[4:5], s[4:5], exec
	s_or_saveexec_b64 s[6:7], s[6:7]
	v_mov_b32_e32 v3, s10
	s_xor_b64 exec, exec, s[6:7]
	s_cbranch_execz .LBB53_222
.LBB53_2272:
	v_mov_b32_e32 v3, 0
	v_cmp_ne_u16_sdwa s[8:9], v4, v3 src0_sel:BYTE_3 src1_sel:DWORD
	s_andn2_b64 s[4:5], s[4:5], exec
	s_and_b64 s[8:9], s[8:9], exec
	s_or_b64 s[4:5], s[4:5], s[8:9]
	s_or_b64 exec, exec, s[6:7]
	s_and_saveexec_b64 s[6:7], s[4:5]
	s_cbranch_execnz .LBB53_223
	s_branch .LBB53_224
.LBB53_2273:
	s_movk_i32 s4, 0x80
	v_cmp_eq_u16_sdwa s[12:13], v9, s4 src0_sel:BYTE_0 src1_sel:DWORD
	s_mov_b64 s[4:5], -1
                                        ; implicit-def: $sgpr10
	s_and_saveexec_b64 s[8:9], s[12:13]
; %bb.2274:
	s_mov_b32 s10, 0x7f800001
	s_xor_b64 s[4:5], exec, -1
; %bb.2275:
	s_or_b64 exec, exec, s[8:9]
	s_and_b64 s[4:5], s[4:5], exec
	s_or_saveexec_b64 s[6:7], s[6:7]
	v_mov_b32_e32 v2, s10
	s_xor_b64 exec, exec, s[6:7]
	s_cbranch_execz .LBB53_226
.LBB53_2276:
	v_mov_b32_e32 v2, 0
	v_cmp_ne_u16_sdwa s[8:9], v9, v2 src0_sel:BYTE_0 src1_sel:DWORD
	s_andn2_b64 s[4:5], s[4:5], exec
	s_and_b64 s[8:9], s[8:9], exec
	s_or_b64 s[4:5], s[4:5], s[8:9]
	s_or_b64 exec, exec, s[6:7]
	s_and_saveexec_b64 s[6:7], s[4:5]
	s_cbranch_execnz .LBB53_227
	s_branch .LBB53_228
.LBB53_2277:
	s_movk_i32 s4, 0x80
	v_cmp_eq_u16_sdwa s[12:13], v5, s4 src0_sel:BYTE_0 src1_sel:DWORD
	s_mov_b64 s[4:5], -1
                                        ; implicit-def: $sgpr10
	s_and_saveexec_b64 s[8:9], s[12:13]
; %bb.2278:
	s_mov_b32 s10, 0x7f800001
	s_xor_b64 s[4:5], exec, -1
; %bb.2279:
	s_or_b64 exec, exec, s[8:9]
	s_and_b64 s[4:5], s[4:5], exec
	s_or_saveexec_b64 s[6:7], s[6:7]
	v_mov_b32_e32 v3, s10
	s_xor_b64 exec, exec, s[6:7]
	s_cbranch_execz .LBB53_230
.LBB53_2280:
	v_mov_b32_e32 v3, 0
	v_cmp_ne_u16_sdwa s[8:9], v5, v3 src0_sel:BYTE_0 src1_sel:DWORD
	s_andn2_b64 s[4:5], s[4:5], exec
	s_and_b64 s[8:9], s[8:9], exec
	s_or_b64 s[4:5], s[4:5], s[8:9]
	s_or_b64 exec, exec, s[6:7]
	s_and_saveexec_b64 s[6:7], s[4:5]
	s_cbranch_execnz .LBB53_231
	s_branch .LBB53_232
.LBB53_2281:
	s_movk_i32 s4, 0x80
	v_cmp_eq_u16_sdwa s[12:13], v3, s4 src0_sel:BYTE_0 src1_sel:DWORD
	s_mov_b64 s[4:5], -1
                                        ; implicit-def: $sgpr10
	s_and_saveexec_b64 s[8:9], s[12:13]
; %bb.2282:
	s_mov_b32 s10, 0x7f800001
	s_xor_b64 s[4:5], exec, -1
; %bb.2283:
	s_or_b64 exec, exec, s[8:9]
	s_and_b64 s[4:5], s[4:5], exec
	s_or_saveexec_b64 s[6:7], s[6:7]
	v_mov_b32_e32 v2, s10
	s_xor_b64 exec, exec, s[6:7]
	s_cbranch_execz .LBB53_234
.LBB53_2284:
	v_mov_b32_e32 v2, 0
	v_cmp_ne_u16_sdwa s[8:9], v3, v2 src0_sel:BYTE_0 src1_sel:DWORD
	s_andn2_b64 s[4:5], s[4:5], exec
	s_and_b64 s[8:9], s[8:9], exec
	s_or_b64 s[4:5], s[4:5], s[8:9]
	s_or_b64 exec, exec, s[6:7]
	s_and_saveexec_b64 s[6:7], s[4:5]
	s_cbranch_execnz .LBB53_235
	s_branch .LBB53_236
.LBB53_2285:
	s_movk_i32 s4, 0x80
	v_cmp_eq_u16_sdwa s[12:13], v3, s4 src0_sel:BYTE_0 src1_sel:DWORD
	s_mov_b64 s[4:5], -1
                                        ; implicit-def: $sgpr10
	s_and_saveexec_b64 s[8:9], s[12:13]
; %bb.2286:
	s_mov_b32 s10, 0x7f800001
	s_xor_b64 s[4:5], exec, -1
; %bb.2287:
	s_or_b64 exec, exec, s[8:9]
	s_and_b64 s[4:5], s[4:5], exec
	s_or_saveexec_b64 s[6:7], s[6:7]
	v_mov_b32_e32 v4, s10
	s_xor_b64 exec, exec, s[6:7]
	s_cbranch_execz .LBB53_238
.LBB53_2288:
	v_mov_b32_e32 v4, 0
	v_cmp_ne_u16_sdwa s[8:9], v3, v4 src0_sel:BYTE_0 src1_sel:DWORD
	s_andn2_b64 s[4:5], s[4:5], exec
	s_and_b64 s[8:9], s[8:9], exec
	s_or_b64 s[4:5], s[4:5], s[8:9]
	s_or_b64 exec, exec, s[6:7]
	s_and_saveexec_b64 s[6:7], s[4:5]
	s_cbranch_execnz .LBB53_239
	s_branch .LBB53_240
.LBB53_2289:
	s_movk_i32 s4, 0x80
	v_cmp_eq_u16_e32 vcc, s4, v3
	s_mov_b64 s[4:5], -1
                                        ; implicit-def: $sgpr10
	s_and_saveexec_b64 s[8:9], vcc
; %bb.2290:
	s_mov_b32 s10, 0x7f800001
	s_xor_b64 s[4:5], exec, -1
; %bb.2291:
	s_or_b64 exec, exec, s[8:9]
	s_and_b64 s[4:5], s[4:5], exec
                                        ; implicit-def: $vgpr3
	s_or_saveexec_b64 s[6:7], s[6:7]
	v_mov_b32_e32 v2, s10
	s_xor_b64 exec, exec, s[6:7]
	s_cbranch_execz .LBB53_242
.LBB53_2292:
	v_cmp_ne_u16_e32 vcc, 0, v3
	s_andn2_b64 s[4:5], s[4:5], exec
	s_and_b64 s[8:9], vcc, exec
	v_mov_b32_e32 v2, 0
	s_or_b64 s[4:5], s[4:5], s[8:9]
	s_or_b64 exec, exec, s[6:7]
	s_and_saveexec_b64 s[6:7], s[4:5]
	s_cbranch_execnz .LBB53_243
	s_branch .LBB53_244
.LBB53_2293:
	s_movk_i32 s4, 0x80
	v_cmp_eq_u16_e32 vcc, s4, v3
	s_mov_b64 s[4:5], -1
                                        ; implicit-def: $sgpr10
	s_and_saveexec_b64 s[8:9], vcc
; %bb.2294:
	s_mov_b32 s10, 0x7f800001
	s_xor_b64 s[4:5], exec, -1
; %bb.2295:
	s_or_b64 exec, exec, s[8:9]
	s_and_b64 s[4:5], s[4:5], exec
                                        ; implicit-def: $vgpr3
	s_or_saveexec_b64 s[6:7], s[6:7]
	v_mov_b32_e32 v4, s10
	s_xor_b64 exec, exec, s[6:7]
	s_cbranch_execz .LBB53_246
.LBB53_2296:
	v_cmp_ne_u16_e32 vcc, 0, v3
	s_andn2_b64 s[4:5], s[4:5], exec
	s_and_b64 s[8:9], vcc, exec
	v_mov_b32_e32 v4, 0
	s_or_b64 s[4:5], s[4:5], s[8:9]
	s_or_b64 exec, exec, s[6:7]
	s_and_saveexec_b64 s[6:7], s[4:5]
	s_cbranch_execnz .LBB53_247
	s_branch .LBB53_248
.LBB53_2297:
	s_movk_i32 s4, 0x80
	v_cmp_eq_u16_sdwa s[12:13], v9, s4 src0_sel:BYTE_3 src1_sel:DWORD
	s_mov_b64 s[4:5], -1
                                        ; implicit-def: $sgpr10
	s_and_saveexec_b64 s[8:9], s[12:13]
; %bb.2298:
	s_mov_b32 s10, 0x7f800001
	s_xor_b64 s[4:5], exec, -1
; %bb.2299:
	s_or_b64 exec, exec, s[8:9]
	s_and_b64 s[4:5], s[4:5], exec
	s_or_saveexec_b64 s[6:7], s[6:7]
	v_mov_b32_e32 v2, s10
	s_xor_b64 exec, exec, s[6:7]
	s_cbranch_execz .LBB53_250
.LBB53_2300:
	v_mov_b32_e32 v2, 0
	v_cmp_ne_u16_sdwa s[8:9], v9, v2 src0_sel:BYTE_3 src1_sel:DWORD
	s_andn2_b64 s[4:5], s[4:5], exec
	s_and_b64 s[8:9], s[8:9], exec
	s_or_b64 s[4:5], s[4:5], s[8:9]
	s_or_b64 exec, exec, s[6:7]
	s_and_saveexec_b64 s[6:7], s[4:5]
	s_cbranch_execnz .LBB53_251
	s_branch .LBB53_252
.LBB53_2301:
	s_movk_i32 s4, 0x80
	v_cmp_eq_u16_sdwa s[12:13], v5, s4 src0_sel:BYTE_3 src1_sel:DWORD
	s_mov_b64 s[4:5], -1
                                        ; implicit-def: $sgpr10
	s_and_saveexec_b64 s[8:9], s[12:13]
; %bb.2302:
	s_mov_b32 s10, 0x7f800001
	s_xor_b64 s[4:5], exec, -1
; %bb.2303:
	s_or_b64 exec, exec, s[8:9]
	s_and_b64 s[4:5], s[4:5], exec
	s_or_saveexec_b64 s[6:7], s[6:7]
	v_mov_b32_e32 v3, s10
	s_xor_b64 exec, exec, s[6:7]
	s_cbranch_execz .LBB53_254
.LBB53_2304:
	v_mov_b32_e32 v3, 0
	v_cmp_ne_u16_sdwa s[8:9], v5, v3 src0_sel:BYTE_3 src1_sel:DWORD
	s_andn2_b64 s[4:5], s[4:5], exec
	s_and_b64 s[8:9], s[8:9], exec
	s_or_b64 s[4:5], s[4:5], s[8:9]
	s_or_b64 exec, exec, s[6:7]
	s_and_saveexec_b64 s[6:7], s[4:5]
	s_cbranch_execnz .LBB53_255
	s_branch .LBB53_256
.LBB53_2305:
	s_movk_i32 s4, 0x80
	v_cmp_eq_u16_sdwa s[12:13], v14, s4 src0_sel:BYTE_0 src1_sel:DWORD
	s_mov_b64 s[4:5], -1
                                        ; implicit-def: $sgpr10
	s_and_saveexec_b64 s[8:9], s[12:13]
; %bb.2306:
	s_mov_b32 s10, 0x7f800001
	s_xor_b64 s[4:5], exec, -1
; %bb.2307:
	s_or_b64 exec, exec, s[8:9]
	s_and_b64 s[4:5], s[4:5], exec
	s_or_saveexec_b64 s[6:7], s[6:7]
	v_mov_b32_e32 v20, s10
	s_xor_b64 exec, exec, s[6:7]
	s_cbranch_execz .LBB53_258
.LBB53_2308:
	v_mov_b32_e32 v20, 0
	v_cmp_ne_u16_sdwa s[8:9], v14, v20 src0_sel:BYTE_0 src1_sel:DWORD
	s_andn2_b64 s[4:5], s[4:5], exec
	s_and_b64 s[8:9], s[8:9], exec
	s_or_b64 s[4:5], s[4:5], s[8:9]
	s_or_b64 exec, exec, s[6:7]
	s_and_saveexec_b64 s[6:7], s[4:5]
	s_cbranch_execnz .LBB53_259
	s_branch .LBB53_260
.LBB53_2309:
	s_movk_i32 s4, 0x80
	v_cmp_eq_u16_sdwa s[12:13], v10, s4 src0_sel:BYTE_0 src1_sel:DWORD
	s_mov_b64 s[4:5], -1
                                        ; implicit-def: $sgpr10
	s_and_saveexec_b64 s[8:9], s[12:13]
; %bb.2310:
	s_mov_b32 s10, 0x7f800001
	s_xor_b64 s[4:5], exec, -1
; %bb.2311:
	s_or_b64 exec, exec, s[8:9]
	s_and_b64 s[4:5], s[4:5], exec
	s_or_saveexec_b64 s[6:7], s[6:7]
	v_mov_b32_e32 v21, s10
	s_xor_b64 exec, exec, s[6:7]
	s_cbranch_execz .LBB53_262
.LBB53_2312:
	v_mov_b32_e32 v21, 0
	v_cmp_ne_u16_sdwa s[8:9], v10, v21 src0_sel:BYTE_0 src1_sel:DWORD
	s_andn2_b64 s[4:5], s[4:5], exec
	s_and_b64 s[8:9], s[8:9], exec
	s_or_b64 s[4:5], s[4:5], s[8:9]
	s_or_b64 exec, exec, s[6:7]
	s_and_saveexec_b64 s[6:7], s[4:5]
	s_cbranch_execnz .LBB53_263
	s_branch .LBB53_264
.LBB53_2313:
	s_movk_i32 s4, 0x80
	v_cmp_eq_u16_sdwa s[12:13], v21, s4 src0_sel:BYTE_0 src1_sel:DWORD
	s_mov_b64 s[4:5], -1
                                        ; implicit-def: $sgpr10
	s_and_saveexec_b64 s[8:9], s[12:13]
; %bb.2314:
	s_mov_b32 s10, 0x7f800001
	s_xor_b64 s[4:5], exec, -1
; %bb.2315:
	s_or_b64 exec, exec, s[8:9]
	s_and_b64 s[4:5], s[4:5], exec
	s_or_saveexec_b64 s[6:7], s[6:7]
	v_mov_b32_e32 v20, s10
	s_xor_b64 exec, exec, s[6:7]
	s_cbranch_execz .LBB53_266
.LBB53_2316:
	v_mov_b32_e32 v20, 0
	v_cmp_ne_u16_sdwa s[8:9], v21, v20 src0_sel:BYTE_0 src1_sel:DWORD
	s_andn2_b64 s[4:5], s[4:5], exec
	s_and_b64 s[8:9], s[8:9], exec
	s_or_b64 s[4:5], s[4:5], s[8:9]
	s_or_b64 exec, exec, s[6:7]
	s_and_saveexec_b64 s[6:7], s[4:5]
	s_cbranch_execnz .LBB53_267
	s_branch .LBB53_268
.LBB53_2317:
	s_movk_i32 s4, 0x80
	v_cmp_eq_u16_sdwa s[12:13], v21, s4 src0_sel:BYTE_0 src1_sel:DWORD
	s_mov_b64 s[4:5], -1
                                        ; implicit-def: $sgpr10
	s_and_saveexec_b64 s[8:9], s[12:13]
; %bb.2318:
	s_mov_b32 s10, 0x7f800001
	s_xor_b64 s[4:5], exec, -1
; %bb.2319:
	s_or_b64 exec, exec, s[8:9]
	s_and_b64 s[4:5], s[4:5], exec
	s_or_saveexec_b64 s[6:7], s[6:7]
	v_mov_b32_e32 v22, s10
	s_xor_b64 exec, exec, s[6:7]
	s_cbranch_execz .LBB53_270
.LBB53_2320:
	v_mov_b32_e32 v22, 0
	v_cmp_ne_u16_sdwa s[8:9], v21, v22 src0_sel:BYTE_0 src1_sel:DWORD
	s_andn2_b64 s[4:5], s[4:5], exec
	s_and_b64 s[8:9], s[8:9], exec
	s_or_b64 s[4:5], s[4:5], s[8:9]
	s_or_b64 exec, exec, s[6:7]
	s_and_saveexec_b64 s[6:7], s[4:5]
	s_cbranch_execnz .LBB53_271
	s_branch .LBB53_272
.LBB53_2321:
	s_movk_i32 s4, 0x80
	v_cmp_eq_u16_e32 vcc, s4, v21
	s_mov_b64 s[4:5], -1
                                        ; implicit-def: $sgpr10
	s_and_saveexec_b64 s[8:9], vcc
; %bb.2322:
	s_mov_b32 s10, 0x7f800001
	s_xor_b64 s[4:5], exec, -1
; %bb.2323:
	s_or_b64 exec, exec, s[8:9]
	s_and_b64 s[4:5], s[4:5], exec
                                        ; implicit-def: $vgpr21
	s_or_saveexec_b64 s[6:7], s[6:7]
	v_mov_b32_e32 v20, s10
	s_xor_b64 exec, exec, s[6:7]
	s_cbranch_execz .LBB53_274
.LBB53_2324:
	v_cmp_ne_u16_e32 vcc, 0, v21
	s_andn2_b64 s[4:5], s[4:5], exec
	s_and_b64 s[8:9], vcc, exec
	v_mov_b32_e32 v20, 0
	s_or_b64 s[4:5], s[4:5], s[8:9]
	s_or_b64 exec, exec, s[6:7]
	s_and_saveexec_b64 s[6:7], s[4:5]
	s_cbranch_execnz .LBB53_275
	s_branch .LBB53_276
.LBB53_2325:
	s_movk_i32 s4, 0x80
	v_cmp_eq_u16_e32 vcc, s4, v21
	s_mov_b64 s[4:5], -1
                                        ; implicit-def: $sgpr10
	s_and_saveexec_b64 s[8:9], vcc
; %bb.2326:
	s_mov_b32 s10, 0x7f800001
	s_xor_b64 s[4:5], exec, -1
; %bb.2327:
	s_or_b64 exec, exec, s[8:9]
	s_and_b64 s[4:5], s[4:5], exec
                                        ; implicit-def: $vgpr21
	s_or_saveexec_b64 s[6:7], s[6:7]
	v_mov_b32_e32 v22, s10
	s_xor_b64 exec, exec, s[6:7]
	s_cbranch_execz .LBB53_278
.LBB53_2328:
	v_cmp_ne_u16_e32 vcc, 0, v21
	s_andn2_b64 s[4:5], s[4:5], exec
	s_and_b64 s[8:9], vcc, exec
	v_mov_b32_e32 v22, 0
	s_or_b64 s[4:5], s[4:5], s[8:9]
	s_or_b64 exec, exec, s[6:7]
	s_and_saveexec_b64 s[6:7], s[4:5]
	s_cbranch_execnz .LBB53_279
	s_branch .LBB53_280
.LBB53_2329:
	s_movk_i32 s4, 0x80
	v_cmp_eq_u16_sdwa s[12:13], v14, s4 src0_sel:BYTE_3 src1_sel:DWORD
	s_mov_b64 s[4:5], -1
                                        ; implicit-def: $sgpr10
	s_and_saveexec_b64 s[8:9], s[12:13]
; %bb.2330:
	s_mov_b32 s10, 0x7f800001
	s_xor_b64 s[4:5], exec, -1
; %bb.2331:
	s_or_b64 exec, exec, s[8:9]
	s_and_b64 s[4:5], s[4:5], exec
	s_or_saveexec_b64 s[6:7], s[6:7]
	v_mov_b32_e32 v20, s10
	s_xor_b64 exec, exec, s[6:7]
	s_cbranch_execz .LBB53_282
.LBB53_2332:
	v_mov_b32_e32 v20, 0
	v_cmp_ne_u16_sdwa s[8:9], v14, v20 src0_sel:BYTE_3 src1_sel:DWORD
	s_andn2_b64 s[4:5], s[4:5], exec
	s_and_b64 s[8:9], s[8:9], exec
	s_or_b64 s[4:5], s[4:5], s[8:9]
	s_or_b64 exec, exec, s[6:7]
	s_and_saveexec_b64 s[6:7], s[4:5]
	s_cbranch_execnz .LBB53_283
	s_branch .LBB53_284
.LBB53_2333:
	s_movk_i32 s4, 0x80
	v_cmp_eq_u16_sdwa s[12:13], v10, s4 src0_sel:BYTE_3 src1_sel:DWORD
	s_mov_b64 s[4:5], -1
                                        ; implicit-def: $sgpr10
	s_and_saveexec_b64 s[8:9], s[12:13]
; %bb.2334:
	s_mov_b32 s10, 0x7f800001
	s_xor_b64 s[4:5], exec, -1
; %bb.2335:
	s_or_b64 exec, exec, s[8:9]
	s_and_b64 s[4:5], s[4:5], exec
	s_or_saveexec_b64 s[6:7], s[6:7]
	v_mov_b32_e32 v14, s10
	s_xor_b64 exec, exec, s[6:7]
	s_cbranch_execz .LBB53_286
.LBB53_2336:
	v_mov_b32_e32 v14, 0
	v_cmp_ne_u16_sdwa s[8:9], v10, v14 src0_sel:BYTE_3 src1_sel:DWORD
	s_andn2_b64 s[4:5], s[4:5], exec
	s_and_b64 s[8:9], s[8:9], exec
	s_or_b64 s[4:5], s[4:5], s[8:9]
	s_or_b64 exec, exec, s[6:7]
	s_and_saveexec_b64 s[6:7], s[4:5]
	s_cbranch_execnz .LBB53_287
	s_branch .LBB53_288
.LBB53_2337:
	s_movk_i32 s4, 0x80
	v_cmp_eq_u16_sdwa s[12:13], v15, s4 src0_sel:BYTE_0 src1_sel:DWORD
	s_mov_b64 s[4:5], -1
                                        ; implicit-def: $sgpr10
	s_and_saveexec_b64 s[8:9], s[12:13]
; %bb.2338:
	s_mov_b32 s10, 0x7f800001
	s_xor_b64 s[4:5], exec, -1
; %bb.2339:
	s_or_b64 exec, exec, s[8:9]
	s_and_b64 s[4:5], s[4:5], exec
	s_or_saveexec_b64 s[6:7], s[6:7]
	v_mov_b32_e32 v10, s10
	s_xor_b64 exec, exec, s[6:7]
	s_cbranch_execz .LBB53_290
.LBB53_2340:
	v_mov_b32_e32 v10, 0
	v_cmp_ne_u16_sdwa s[8:9], v15, v10 src0_sel:BYTE_0 src1_sel:DWORD
	s_andn2_b64 s[4:5], s[4:5], exec
	s_and_b64 s[8:9], s[8:9], exec
	s_or_b64 s[4:5], s[4:5], s[8:9]
	s_or_b64 exec, exec, s[6:7]
	s_and_saveexec_b64 s[6:7], s[4:5]
	s_cbranch_execnz .LBB53_291
	s_branch .LBB53_292
.LBB53_2341:
	s_movk_i32 s4, 0x80
	v_cmp_eq_u16_sdwa s[12:13], v11, s4 src0_sel:BYTE_0 src1_sel:DWORD
	s_mov_b64 s[4:5], -1
                                        ; implicit-def: $sgpr10
	s_and_saveexec_b64 s[8:9], s[12:13]
; %bb.2342:
	s_mov_b32 s10, 0x7f800001
	s_xor_b64 s[4:5], exec, -1
; %bb.2343:
	s_or_b64 exec, exec, s[8:9]
	s_and_b64 s[4:5], s[4:5], exec
	s_or_saveexec_b64 s[6:7], s[6:7]
	v_mov_b32_e32 v14, s10
	s_xor_b64 exec, exec, s[6:7]
	s_cbranch_execz .LBB53_294
.LBB53_2344:
	v_mov_b32_e32 v14, 0
	v_cmp_ne_u16_sdwa s[8:9], v11, v14 src0_sel:BYTE_0 src1_sel:DWORD
	s_andn2_b64 s[4:5], s[4:5], exec
	s_and_b64 s[8:9], s[8:9], exec
	s_or_b64 s[4:5], s[4:5], s[8:9]
	s_or_b64 exec, exec, s[6:7]
	s_and_saveexec_b64 s[6:7], s[4:5]
	s_cbranch_execnz .LBB53_295
	s_branch .LBB53_296
.LBB53_2345:
	s_movk_i32 s4, 0x80
	v_cmp_eq_u16_sdwa s[12:13], v14, s4 src0_sel:BYTE_0 src1_sel:DWORD
	s_mov_b64 s[4:5], -1
                                        ; implicit-def: $sgpr10
	s_and_saveexec_b64 s[8:9], s[12:13]
; %bb.2346:
	s_mov_b32 s10, 0x7f800001
	s_xor_b64 s[4:5], exec, -1
; %bb.2347:
	s_or_b64 exec, exec, s[8:9]
	s_and_b64 s[4:5], s[4:5], exec
	s_or_saveexec_b64 s[6:7], s[6:7]
	v_mov_b32_e32 v10, s10
	s_xor_b64 exec, exec, s[6:7]
	s_cbranch_execz .LBB53_298
.LBB53_2348:
	v_mov_b32_e32 v10, 0
	v_cmp_ne_u16_sdwa s[8:9], v14, v10 src0_sel:BYTE_0 src1_sel:DWORD
	s_andn2_b64 s[4:5], s[4:5], exec
	s_and_b64 s[8:9], s[8:9], exec
	s_or_b64 s[4:5], s[4:5], s[8:9]
	s_or_b64 exec, exec, s[6:7]
	s_and_saveexec_b64 s[6:7], s[4:5]
	s_cbranch_execnz .LBB53_299
	s_branch .LBB53_300
.LBB53_2349:
	s_movk_i32 s4, 0x80
	v_cmp_eq_u16_sdwa s[12:13], v14, s4 src0_sel:BYTE_0 src1_sel:DWORD
	s_mov_b64 s[4:5], -1
                                        ; implicit-def: $sgpr10
	s_and_saveexec_b64 s[8:9], s[12:13]
; %bb.2350:
	s_mov_b32 s10, 0x7f800001
	s_xor_b64 s[4:5], exec, -1
; %bb.2351:
	s_or_b64 exec, exec, s[8:9]
	s_and_b64 s[4:5], s[4:5], exec
	s_or_saveexec_b64 s[6:7], s[6:7]
	v_mov_b32_e32 v20, s10
	s_xor_b64 exec, exec, s[6:7]
	s_cbranch_execz .LBB53_302
.LBB53_2352:
	v_mov_b32_e32 v20, 0
	v_cmp_ne_u16_sdwa s[8:9], v14, v20 src0_sel:BYTE_0 src1_sel:DWORD
	s_andn2_b64 s[4:5], s[4:5], exec
	s_and_b64 s[8:9], s[8:9], exec
	s_or_b64 s[4:5], s[4:5], s[8:9]
	s_or_b64 exec, exec, s[6:7]
	s_and_saveexec_b64 s[6:7], s[4:5]
	s_cbranch_execnz .LBB53_303
	s_branch .LBB53_304
.LBB53_2353:
	s_movk_i32 s4, 0x80
	v_cmp_eq_u16_e32 vcc, s4, v14
	s_mov_b64 s[4:5], -1
                                        ; implicit-def: $sgpr10
	s_and_saveexec_b64 s[8:9], vcc
; %bb.2354:
	s_mov_b32 s10, 0x7f800001
	s_xor_b64 s[4:5], exec, -1
; %bb.2355:
	s_or_b64 exec, exec, s[8:9]
	s_and_b64 s[4:5], s[4:5], exec
                                        ; implicit-def: $vgpr14
	s_or_saveexec_b64 s[6:7], s[6:7]
	v_mov_b32_e32 v10, s10
	s_xor_b64 exec, exec, s[6:7]
	s_cbranch_execz .LBB53_306
.LBB53_2356:
	v_cmp_ne_u16_e32 vcc, 0, v14
	s_andn2_b64 s[4:5], s[4:5], exec
	s_and_b64 s[8:9], vcc, exec
	v_mov_b32_e32 v10, 0
	s_or_b64 s[4:5], s[4:5], s[8:9]
	s_or_b64 exec, exec, s[6:7]
	s_and_saveexec_b64 s[6:7], s[4:5]
	s_cbranch_execnz .LBB53_307
	s_branch .LBB53_308
.LBB53_2357:
	s_movk_i32 s4, 0x80
	v_cmp_eq_u16_e32 vcc, s4, v14
	s_mov_b64 s[4:5], -1
                                        ; implicit-def: $sgpr10
	s_and_saveexec_b64 s[8:9], vcc
; %bb.2358:
	s_mov_b32 s10, 0x7f800001
	s_xor_b64 s[4:5], exec, -1
; %bb.2359:
	s_or_b64 exec, exec, s[8:9]
	s_and_b64 s[4:5], s[4:5], exec
                                        ; implicit-def: $vgpr14
	s_or_saveexec_b64 s[6:7], s[6:7]
	v_mov_b32_e32 v20, s10
	s_xor_b64 exec, exec, s[6:7]
	s_cbranch_execz .LBB53_310
.LBB53_2360:
	v_cmp_ne_u16_e32 vcc, 0, v14
	s_andn2_b64 s[4:5], s[4:5], exec
	s_and_b64 s[8:9], vcc, exec
	v_mov_b32_e32 v20, 0
	s_or_b64 s[4:5], s[4:5], s[8:9]
	s_or_b64 exec, exec, s[6:7]
	s_and_saveexec_b64 s[6:7], s[4:5]
	s_cbranch_execnz .LBB53_311
	s_branch .LBB53_312
.LBB53_2361:
	s_movk_i32 s4, 0x80
	v_cmp_eq_u16_sdwa s[12:13], v15, s4 src0_sel:BYTE_3 src1_sel:DWORD
	s_mov_b64 s[4:5], -1
                                        ; implicit-def: $sgpr10
	s_and_saveexec_b64 s[8:9], s[12:13]
; %bb.2362:
	s_mov_b32 s10, 0x7f800001
	s_xor_b64 s[4:5], exec, -1
; %bb.2363:
	s_or_b64 exec, exec, s[8:9]
	s_and_b64 s[4:5], s[4:5], exec
	s_or_saveexec_b64 s[6:7], s[6:7]
	v_mov_b32_e32 v10, s10
	s_xor_b64 exec, exec, s[6:7]
	s_cbranch_execz .LBB53_314
.LBB53_2364:
	v_mov_b32_e32 v10, 0
	v_cmp_ne_u16_sdwa s[8:9], v15, v10 src0_sel:BYTE_3 src1_sel:DWORD
	s_andn2_b64 s[4:5], s[4:5], exec
	s_and_b64 s[8:9], s[8:9], exec
	s_or_b64 s[4:5], s[4:5], s[8:9]
	s_or_b64 exec, exec, s[6:7]
	s_and_saveexec_b64 s[6:7], s[4:5]
	s_cbranch_execnz .LBB53_315
	s_branch .LBB53_316
.LBB53_2365:
	s_movk_i32 s4, 0x80
	v_cmp_eq_u16_sdwa s[12:13], v11, s4 src0_sel:BYTE_3 src1_sel:DWORD
	s_mov_b64 s[4:5], -1
                                        ; implicit-def: $sgpr10
	s_and_saveexec_b64 s[8:9], s[12:13]
; %bb.2366:
	s_mov_b32 s10, 0x7f800001
	s_xor_b64 s[4:5], exec, -1
; %bb.2367:
	s_or_b64 exec, exec, s[8:9]
	s_and_b64 s[4:5], s[4:5], exec
	s_or_saveexec_b64 s[6:7], s[6:7]
	v_mov_b32_e32 v14, s10
	s_xor_b64 exec, exec, s[6:7]
	s_cbranch_execz .LBB53_318
.LBB53_2368:
	v_mov_b32_e32 v14, 0
	v_cmp_ne_u16_sdwa s[8:9], v11, v14 src0_sel:BYTE_3 src1_sel:DWORD
	s_andn2_b64 s[4:5], s[4:5], exec
	s_and_b64 s[8:9], s[8:9], exec
	s_or_b64 s[4:5], s[4:5], s[8:9]
	s_or_b64 exec, exec, s[6:7]
	s_and_saveexec_b64 s[6:7], s[4:5]
	s_cbranch_execnz .LBB53_319
	s_branch .LBB53_320
.LBB53_2369:
	s_movk_i32 s4, 0x80
	v_cmp_eq_u16_sdwa s[12:13], v16, s4 src0_sel:BYTE_0 src1_sel:DWORD
	s_mov_b64 s[4:5], -1
                                        ; implicit-def: $sgpr10
	s_and_saveexec_b64 s[8:9], s[12:13]
; %bb.2370:
	s_mov_b32 s10, 0x7f800001
	s_xor_b64 s[4:5], exec, -1
; %bb.2371:
	s_or_b64 exec, exec, s[8:9]
	s_and_b64 s[4:5], s[4:5], exec
	s_or_saveexec_b64 s[6:7], s[6:7]
	v_mov_b32_e32 v10, s10
	s_xor_b64 exec, exec, s[6:7]
	s_cbranch_execz .LBB53_322
.LBB53_2372:
	v_mov_b32_e32 v10, 0
	v_cmp_ne_u16_sdwa s[8:9], v16, v10 src0_sel:BYTE_0 src1_sel:DWORD
	s_andn2_b64 s[4:5], s[4:5], exec
	s_and_b64 s[8:9], s[8:9], exec
	s_or_b64 s[4:5], s[4:5], s[8:9]
	s_or_b64 exec, exec, s[6:7]
	s_and_saveexec_b64 s[6:7], s[4:5]
	s_cbranch_execnz .LBB53_323
	s_branch .LBB53_324
.LBB53_2373:
	s_movk_i32 s4, 0x80
	v_cmp_eq_u16_sdwa s[12:13], v12, s4 src0_sel:BYTE_0 src1_sel:DWORD
	s_mov_b64 s[4:5], -1
                                        ; implicit-def: $sgpr10
	s_and_saveexec_b64 s[8:9], s[12:13]
; %bb.2374:
	s_mov_b32 s10, 0x7f800001
	s_xor_b64 s[4:5], exec, -1
; %bb.2375:
	s_or_b64 exec, exec, s[8:9]
	s_and_b64 s[4:5], s[4:5], exec
	s_or_saveexec_b64 s[6:7], s[6:7]
	v_mov_b32_e32 v11, s10
	s_xor_b64 exec, exec, s[6:7]
	s_cbranch_execz .LBB53_326
.LBB53_2376:
	v_mov_b32_e32 v11, 0
	v_cmp_ne_u16_sdwa s[8:9], v12, v11 src0_sel:BYTE_0 src1_sel:DWORD
	s_andn2_b64 s[4:5], s[4:5], exec
	s_and_b64 s[8:9], s[8:9], exec
	s_or_b64 s[4:5], s[4:5], s[8:9]
	s_or_b64 exec, exec, s[6:7]
	s_and_saveexec_b64 s[6:7], s[4:5]
	s_cbranch_execnz .LBB53_327
	s_branch .LBB53_328
.LBB53_2377:
	s_movk_i32 s4, 0x80
	v_cmp_eq_u16_sdwa s[12:13], v11, s4 src0_sel:BYTE_0 src1_sel:DWORD
	s_mov_b64 s[4:5], -1
                                        ; implicit-def: $sgpr10
	s_and_saveexec_b64 s[8:9], s[12:13]
; %bb.2378:
	s_mov_b32 s10, 0x7f800001
	s_xor_b64 s[4:5], exec, -1
; %bb.2379:
	s_or_b64 exec, exec, s[8:9]
	s_and_b64 s[4:5], s[4:5], exec
	s_or_saveexec_b64 s[6:7], s[6:7]
	v_mov_b32_e32 v10, s10
	s_xor_b64 exec, exec, s[6:7]
	s_cbranch_execz .LBB53_330
.LBB53_2380:
	v_mov_b32_e32 v10, 0
	v_cmp_ne_u16_sdwa s[8:9], v11, v10 src0_sel:BYTE_0 src1_sel:DWORD
	s_andn2_b64 s[4:5], s[4:5], exec
	s_and_b64 s[8:9], s[8:9], exec
	s_or_b64 s[4:5], s[4:5], s[8:9]
	s_or_b64 exec, exec, s[6:7]
	s_and_saveexec_b64 s[6:7], s[4:5]
	s_cbranch_execnz .LBB53_331
	s_branch .LBB53_332
.LBB53_2381:
	s_movk_i32 s4, 0x80
	v_cmp_eq_u16_sdwa s[12:13], v11, s4 src0_sel:BYTE_0 src1_sel:DWORD
	s_mov_b64 s[4:5], -1
                                        ; implicit-def: $sgpr10
	s_and_saveexec_b64 s[8:9], s[12:13]
; %bb.2382:
	s_mov_b32 s10, 0x7f800001
	s_xor_b64 s[4:5], exec, -1
; %bb.2383:
	s_or_b64 exec, exec, s[8:9]
	s_and_b64 s[4:5], s[4:5], exec
	s_or_saveexec_b64 s[6:7], s[6:7]
	v_mov_b32_e32 v14, s10
	s_xor_b64 exec, exec, s[6:7]
	s_cbranch_execz .LBB53_334
.LBB53_2384:
	v_mov_b32_e32 v14, 0
	v_cmp_ne_u16_sdwa s[8:9], v11, v14 src0_sel:BYTE_0 src1_sel:DWORD
	s_andn2_b64 s[4:5], s[4:5], exec
	s_and_b64 s[8:9], s[8:9], exec
	s_or_b64 s[4:5], s[4:5], s[8:9]
	s_or_b64 exec, exec, s[6:7]
	s_and_saveexec_b64 s[6:7], s[4:5]
	s_cbranch_execnz .LBB53_335
	s_branch .LBB53_336
.LBB53_2385:
	s_movk_i32 s4, 0x80
	v_cmp_eq_u16_e32 vcc, s4, v11
	s_mov_b64 s[4:5], -1
                                        ; implicit-def: $sgpr10
	s_and_saveexec_b64 s[8:9], vcc
; %bb.2386:
	s_mov_b32 s10, 0x7f800001
	s_xor_b64 s[4:5], exec, -1
; %bb.2387:
	s_or_b64 exec, exec, s[8:9]
	s_and_b64 s[4:5], s[4:5], exec
                                        ; implicit-def: $vgpr11
	s_or_saveexec_b64 s[6:7], s[6:7]
	v_mov_b32_e32 v10, s10
	s_xor_b64 exec, exec, s[6:7]
	s_cbranch_execz .LBB53_338
.LBB53_2388:
	v_cmp_ne_u16_e32 vcc, 0, v11
	s_andn2_b64 s[4:5], s[4:5], exec
	s_and_b64 s[8:9], vcc, exec
	v_mov_b32_e32 v10, 0
	s_or_b64 s[4:5], s[4:5], s[8:9]
	s_or_b64 exec, exec, s[6:7]
	s_and_saveexec_b64 s[6:7], s[4:5]
	s_cbranch_execnz .LBB53_339
	s_branch .LBB53_340
.LBB53_2389:
	s_movk_i32 s4, 0x80
	v_cmp_eq_u16_e32 vcc, s4, v11
	s_mov_b64 s[4:5], -1
                                        ; implicit-def: $sgpr10
	s_and_saveexec_b64 s[8:9], vcc
; %bb.2390:
	s_mov_b32 s10, 0x7f800001
	s_xor_b64 s[4:5], exec, -1
; %bb.2391:
	s_or_b64 exec, exec, s[8:9]
	s_and_b64 s[4:5], s[4:5], exec
                                        ; implicit-def: $vgpr11
	s_or_saveexec_b64 s[6:7], s[6:7]
	v_mov_b32_e32 v14, s10
	s_xor_b64 exec, exec, s[6:7]
	s_cbranch_execz .LBB53_342
.LBB53_2392:
	v_cmp_ne_u16_e32 vcc, 0, v11
	s_andn2_b64 s[4:5], s[4:5], exec
	s_and_b64 s[8:9], vcc, exec
	v_mov_b32_e32 v14, 0
	s_or_b64 s[4:5], s[4:5], s[8:9]
	s_or_b64 exec, exec, s[6:7]
	s_and_saveexec_b64 s[6:7], s[4:5]
	s_cbranch_execnz .LBB53_343
	s_branch .LBB53_344
.LBB53_2393:
	s_movk_i32 s4, 0x80
	v_cmp_eq_u16_sdwa s[12:13], v16, s4 src0_sel:BYTE_3 src1_sel:DWORD
	s_mov_b64 s[4:5], -1
                                        ; implicit-def: $sgpr10
	s_and_saveexec_b64 s[8:9], s[12:13]
; %bb.2394:
	s_mov_b32 s10, 0x7f800001
	s_xor_b64 s[4:5], exec, -1
; %bb.2395:
	s_or_b64 exec, exec, s[8:9]
	s_and_b64 s[4:5], s[4:5], exec
	s_or_saveexec_b64 s[6:7], s[6:7]
	v_mov_b32_e32 v10, s10
	s_xor_b64 exec, exec, s[6:7]
	s_cbranch_execz .LBB53_346
.LBB53_2396:
	v_mov_b32_e32 v10, 0
	v_cmp_ne_u16_sdwa s[8:9], v16, v10 src0_sel:BYTE_3 src1_sel:DWORD
	s_andn2_b64 s[4:5], s[4:5], exec
	s_and_b64 s[8:9], s[8:9], exec
	s_or_b64 s[4:5], s[4:5], s[8:9]
	s_or_b64 exec, exec, s[6:7]
	s_and_saveexec_b64 s[6:7], s[4:5]
	s_cbranch_execnz .LBB53_347
	s_branch .LBB53_348
.LBB53_2397:
	s_movk_i32 s4, 0x80
	v_cmp_eq_u16_sdwa s[12:13], v12, s4 src0_sel:BYTE_3 src1_sel:DWORD
	s_mov_b64 s[4:5], -1
                                        ; implicit-def: $sgpr10
	s_and_saveexec_b64 s[8:9], s[12:13]
; %bb.2398:
	s_mov_b32 s10, 0x7f800001
	s_xor_b64 s[4:5], exec, -1
; %bb.2399:
	s_or_b64 exec, exec, s[8:9]
	s_and_b64 s[4:5], s[4:5], exec
	s_or_saveexec_b64 s[6:7], s[6:7]
	v_mov_b32_e32 v11, s10
	s_xor_b64 exec, exec, s[6:7]
	s_cbranch_execz .LBB53_350
.LBB53_2400:
	v_mov_b32_e32 v11, 0
	v_cmp_ne_u16_sdwa s[8:9], v12, v11 src0_sel:BYTE_3 src1_sel:DWORD
	s_andn2_b64 s[4:5], s[4:5], exec
	s_and_b64 s[8:9], s[8:9], exec
	s_or_b64 s[4:5], s[4:5], s[8:9]
	s_or_b64 exec, exec, s[6:7]
	s_and_saveexec_b64 s[6:7], s[4:5]
	s_cbranch_execnz .LBB53_351
	s_branch .LBB53_352
.LBB53_2401:
	s_movk_i32 s4, 0x80
	v_cmp_eq_u16_sdwa s[12:13], v17, s4 src0_sel:BYTE_0 src1_sel:DWORD
	s_mov_b64 s[4:5], -1
                                        ; implicit-def: $sgpr10
	s_and_saveexec_b64 s[8:9], s[12:13]
; %bb.2402:
	s_mov_b32 s10, 0x7f800001
	s_xor_b64 s[4:5], exec, -1
; %bb.2403:
	s_or_b64 exec, exec, s[8:9]
	s_and_b64 s[4:5], s[4:5], exec
	s_or_saveexec_b64 s[6:7], s[6:7]
	v_mov_b32_e32 v10, s10
	s_xor_b64 exec, exec, s[6:7]
	s_cbranch_execz .LBB53_354
.LBB53_2404:
	v_mov_b32_e32 v10, 0
	v_cmp_ne_u16_sdwa s[8:9], v17, v10 src0_sel:BYTE_0 src1_sel:DWORD
	s_andn2_b64 s[4:5], s[4:5], exec
	s_and_b64 s[8:9], s[8:9], exec
	s_or_b64 s[4:5], s[4:5], s[8:9]
	s_or_b64 exec, exec, s[6:7]
	s_and_saveexec_b64 s[6:7], s[4:5]
	s_cbranch_execnz .LBB53_355
	s_branch .LBB53_356
.LBB53_2405:
	s_movk_i32 s4, 0x80
	v_cmp_eq_u16_sdwa s[12:13], v13, s4 src0_sel:BYTE_0 src1_sel:DWORD
	s_mov_b64 s[4:5], -1
                                        ; implicit-def: $sgpr10
	s_and_saveexec_b64 s[8:9], s[12:13]
; %bb.2406:
	s_mov_b32 s10, 0x7f800001
	s_xor_b64 s[4:5], exec, -1
; %bb.2407:
	s_or_b64 exec, exec, s[8:9]
	s_and_b64 s[4:5], s[4:5], exec
	s_or_saveexec_b64 s[6:7], s[6:7]
	v_mov_b32_e32 v11, s10
	s_xor_b64 exec, exec, s[6:7]
	s_cbranch_execz .LBB53_358
.LBB53_2408:
	v_mov_b32_e32 v11, 0
	v_cmp_ne_u16_sdwa s[8:9], v13, v11 src0_sel:BYTE_0 src1_sel:DWORD
	s_andn2_b64 s[4:5], s[4:5], exec
	s_and_b64 s[8:9], s[8:9], exec
	s_or_b64 s[4:5], s[4:5], s[8:9]
	s_or_b64 exec, exec, s[6:7]
	s_and_saveexec_b64 s[6:7], s[4:5]
	s_cbranch_execnz .LBB53_359
	s_branch .LBB53_360
.LBB53_2409:
	s_movk_i32 s4, 0x80
	v_cmp_eq_u16_sdwa s[12:13], v11, s4 src0_sel:BYTE_0 src1_sel:DWORD
	s_mov_b64 s[4:5], -1
                                        ; implicit-def: $sgpr10
	s_and_saveexec_b64 s[8:9], s[12:13]
; %bb.2410:
	s_mov_b32 s10, 0x7f800001
	s_xor_b64 s[4:5], exec, -1
; %bb.2411:
	s_or_b64 exec, exec, s[8:9]
	s_and_b64 s[4:5], s[4:5], exec
	s_or_saveexec_b64 s[6:7], s[6:7]
	v_mov_b32_e32 v10, s10
	s_xor_b64 exec, exec, s[6:7]
	s_cbranch_execz .LBB53_362
.LBB53_2412:
	v_mov_b32_e32 v10, 0
	v_cmp_ne_u16_sdwa s[8:9], v11, v10 src0_sel:BYTE_0 src1_sel:DWORD
	s_andn2_b64 s[4:5], s[4:5], exec
	s_and_b64 s[8:9], s[8:9], exec
	s_or_b64 s[4:5], s[4:5], s[8:9]
	s_or_b64 exec, exec, s[6:7]
	s_and_saveexec_b64 s[6:7], s[4:5]
	s_cbranch_execnz .LBB53_363
	s_branch .LBB53_364
.LBB53_2413:
	s_movk_i32 s4, 0x80
	v_cmp_eq_u16_sdwa s[12:13], v11, s4 src0_sel:BYTE_0 src1_sel:DWORD
	s_mov_b64 s[4:5], -1
                                        ; implicit-def: $sgpr10
	s_and_saveexec_b64 s[8:9], s[12:13]
; %bb.2414:
	s_mov_b32 s10, 0x7f800001
	s_xor_b64 s[4:5], exec, -1
; %bb.2415:
	s_or_b64 exec, exec, s[8:9]
	s_and_b64 s[4:5], s[4:5], exec
	s_or_saveexec_b64 s[6:7], s[6:7]
	v_mov_b32_e32 v12, s10
	s_xor_b64 exec, exec, s[6:7]
	s_cbranch_execz .LBB53_366
.LBB53_2416:
	v_mov_b32_e32 v12, 0
	v_cmp_ne_u16_sdwa s[8:9], v11, v12 src0_sel:BYTE_0 src1_sel:DWORD
	s_andn2_b64 s[4:5], s[4:5], exec
	s_and_b64 s[8:9], s[8:9], exec
	s_or_b64 s[4:5], s[4:5], s[8:9]
	s_or_b64 exec, exec, s[6:7]
	s_and_saveexec_b64 s[6:7], s[4:5]
	s_cbranch_execnz .LBB53_367
	s_branch .LBB53_368
.LBB53_2417:
	s_movk_i32 s4, 0x80
	v_cmp_eq_u16_e32 vcc, s4, v11
	s_mov_b64 s[4:5], -1
                                        ; implicit-def: $sgpr10
	s_and_saveexec_b64 s[8:9], vcc
; %bb.2418:
	s_mov_b32 s10, 0x7f800001
	s_xor_b64 s[4:5], exec, -1
; %bb.2419:
	s_or_b64 exec, exec, s[8:9]
	s_and_b64 s[4:5], s[4:5], exec
                                        ; implicit-def: $vgpr11
	s_or_saveexec_b64 s[6:7], s[6:7]
	v_mov_b32_e32 v10, s10
	s_xor_b64 exec, exec, s[6:7]
	s_cbranch_execz .LBB53_370
.LBB53_2420:
	v_cmp_ne_u16_e32 vcc, 0, v11
	s_andn2_b64 s[4:5], s[4:5], exec
	s_and_b64 s[8:9], vcc, exec
	v_mov_b32_e32 v10, 0
	s_or_b64 s[4:5], s[4:5], s[8:9]
	s_or_b64 exec, exec, s[6:7]
	s_and_saveexec_b64 s[6:7], s[4:5]
	s_cbranch_execnz .LBB53_371
	s_branch .LBB53_372
.LBB53_2421:
	s_movk_i32 s4, 0x80
	v_cmp_eq_u16_e32 vcc, s4, v11
	s_mov_b64 s[4:5], -1
                                        ; implicit-def: $sgpr10
	s_and_saveexec_b64 s[8:9], vcc
; %bb.2422:
	s_mov_b32 s10, 0x7f800001
	s_xor_b64 s[4:5], exec, -1
; %bb.2423:
	s_or_b64 exec, exec, s[8:9]
	s_and_b64 s[4:5], s[4:5], exec
                                        ; implicit-def: $vgpr11
	s_or_saveexec_b64 s[6:7], s[6:7]
	v_mov_b32_e32 v12, s10
	s_xor_b64 exec, exec, s[6:7]
	s_cbranch_execz .LBB53_374
.LBB53_2424:
	v_cmp_ne_u16_e32 vcc, 0, v11
	s_andn2_b64 s[4:5], s[4:5], exec
	s_and_b64 s[8:9], vcc, exec
	v_mov_b32_e32 v12, 0
	s_or_b64 s[4:5], s[4:5], s[8:9]
	s_or_b64 exec, exec, s[6:7]
	s_and_saveexec_b64 s[6:7], s[4:5]
	s_cbranch_execnz .LBB53_375
	s_branch .LBB53_376
.LBB53_2425:
	s_movk_i32 s4, 0x80
	v_cmp_eq_u16_sdwa s[12:13], v17, s4 src0_sel:BYTE_3 src1_sel:DWORD
	s_mov_b64 s[4:5], -1
                                        ; implicit-def: $sgpr10
	s_and_saveexec_b64 s[8:9], s[12:13]
; %bb.2426:
	s_mov_b32 s10, 0x7f800001
	s_xor_b64 s[4:5], exec, -1
; %bb.2427:
	s_or_b64 exec, exec, s[8:9]
	s_and_b64 s[4:5], s[4:5], exec
	s_or_saveexec_b64 s[6:7], s[6:7]
	v_mov_b32_e32 v10, s10
	s_xor_b64 exec, exec, s[6:7]
	s_cbranch_execz .LBB53_378
.LBB53_2428:
	v_mov_b32_e32 v10, 0
	v_cmp_ne_u16_sdwa s[8:9], v17, v10 src0_sel:BYTE_3 src1_sel:DWORD
	s_andn2_b64 s[4:5], s[4:5], exec
	s_and_b64 s[8:9], s[8:9], exec
	s_or_b64 s[4:5], s[4:5], s[8:9]
	s_or_b64 exec, exec, s[6:7]
	s_and_saveexec_b64 s[6:7], s[4:5]
	s_cbranch_execnz .LBB53_379
	s_branch .LBB53_380
.LBB53_2429:
	s_movk_i32 s4, 0x80
	v_cmp_eq_u16_sdwa s[12:13], v13, s4 src0_sel:BYTE_3 src1_sel:DWORD
	s_mov_b64 s[4:5], -1
                                        ; implicit-def: $sgpr10
	s_and_saveexec_b64 s[8:9], s[12:13]
; %bb.2430:
	s_mov_b32 s10, 0x7f800001
	s_xor_b64 s[4:5], exec, -1
; %bb.2431:
	s_or_b64 exec, exec, s[8:9]
	s_and_b64 s[4:5], s[4:5], exec
	s_or_saveexec_b64 s[6:7], s[6:7]
	v_mov_b32_e32 v11, s10
	s_xor_b64 exec, exec, s[6:7]
	s_cbranch_execz .LBB53_382
.LBB53_2432:
	v_mov_b32_e32 v11, 0
	v_cmp_ne_u16_sdwa s[8:9], v13, v11 src0_sel:BYTE_3 src1_sel:DWORD
	s_andn2_b64 s[4:5], s[4:5], exec
	s_and_b64 s[8:9], s[8:9], exec
	s_or_b64 s[4:5], s[4:5], s[8:9]
	s_or_b64 exec, exec, s[6:7]
	s_and_saveexec_b64 s[6:7], s[4:5]
	s_cbranch_execnz .LBB53_383
	s_branch .LBB53_384
.LBB53_2433:
	s_movk_i32 s4, 0x80
	v_cmp_eq_u16_sdwa s[12:13], v6, s4 src0_sel:BYTE_0 src1_sel:DWORD
	s_mov_b64 s[4:5], -1
                                        ; implicit-def: $sgpr10
	s_and_saveexec_b64 s[8:9], s[12:13]
; %bb.2434:
	s_mov_b32 s10, 0x7f800001
	s_xor_b64 s[4:5], exec, -1
; %bb.2435:
	s_or_b64 exec, exec, s[8:9]
	s_and_b64 s[4:5], s[4:5], exec
	s_or_saveexec_b64 s[6:7], s[6:7]
	v_mov_b32_e32 v10, s10
	s_xor_b64 exec, exec, s[6:7]
	s_cbranch_execz .LBB53_386
.LBB53_2436:
	v_mov_b32_e32 v10, 0
	v_cmp_ne_u16_sdwa s[8:9], v6, v10 src0_sel:BYTE_0 src1_sel:DWORD
	s_andn2_b64 s[4:5], s[4:5], exec
	s_and_b64 s[8:9], s[8:9], exec
	s_or_b64 s[4:5], s[4:5], s[8:9]
	s_or_b64 exec, exec, s[6:7]
	s_and_saveexec_b64 s[6:7], s[4:5]
	s_cbranch_execnz .LBB53_387
	s_branch .LBB53_388
.LBB53_2437:
	s_movk_i32 s4, 0x80
	v_cmp_eq_u16_sdwa s[12:13], v2, s4 src0_sel:BYTE_0 src1_sel:DWORD
	s_mov_b64 s[4:5], -1
                                        ; implicit-def: $sgpr10
	s_and_saveexec_b64 s[8:9], s[12:13]
; %bb.2438:
	s_mov_b32 s10, 0x7f800001
	s_xor_b64 s[4:5], exec, -1
; %bb.2439:
	s_or_b64 exec, exec, s[8:9]
	s_and_b64 s[4:5], s[4:5], exec
	s_or_saveexec_b64 s[6:7], s[6:7]
	v_mov_b32_e32 v11, s10
	s_xor_b64 exec, exec, s[6:7]
	s_cbranch_execz .LBB53_390
.LBB53_2440:
	v_mov_b32_e32 v11, 0
	v_cmp_ne_u16_sdwa s[8:9], v2, v11 src0_sel:BYTE_0 src1_sel:DWORD
	s_andn2_b64 s[4:5], s[4:5], exec
	s_and_b64 s[8:9], s[8:9], exec
	s_or_b64 s[4:5], s[4:5], s[8:9]
	s_or_b64 exec, exec, s[6:7]
	s_and_saveexec_b64 s[6:7], s[4:5]
	s_cbranch_execnz .LBB53_391
	s_branch .LBB53_392
.LBB53_2441:
	s_movk_i32 s4, 0x80
	v_cmp_eq_u16_sdwa s[12:13], v11, s4 src0_sel:BYTE_0 src1_sel:DWORD
	s_mov_b64 s[4:5], -1
                                        ; implicit-def: $sgpr10
	s_and_saveexec_b64 s[8:9], s[12:13]
; %bb.2442:
	s_mov_b32 s10, 0x7f800001
	s_xor_b64 s[4:5], exec, -1
; %bb.2443:
	s_or_b64 exec, exec, s[8:9]
	s_and_b64 s[4:5], s[4:5], exec
	s_or_saveexec_b64 s[6:7], s[6:7]
	v_mov_b32_e32 v10, s10
	s_xor_b64 exec, exec, s[6:7]
	s_cbranch_execz .LBB53_394
.LBB53_2444:
	v_mov_b32_e32 v10, 0
	v_cmp_ne_u16_sdwa s[8:9], v11, v10 src0_sel:BYTE_0 src1_sel:DWORD
	s_andn2_b64 s[4:5], s[4:5], exec
	s_and_b64 s[8:9], s[8:9], exec
	s_or_b64 s[4:5], s[4:5], s[8:9]
	s_or_b64 exec, exec, s[6:7]
	s_and_saveexec_b64 s[6:7], s[4:5]
	s_cbranch_execnz .LBB53_395
	s_branch .LBB53_396
.LBB53_2445:
	s_movk_i32 s4, 0x80
	v_cmp_eq_u16_sdwa s[12:13], v11, s4 src0_sel:BYTE_0 src1_sel:DWORD
	s_mov_b64 s[4:5], -1
                                        ; implicit-def: $sgpr10
	s_and_saveexec_b64 s[8:9], s[12:13]
; %bb.2446:
	s_mov_b32 s10, 0x7f800001
	s_xor_b64 s[4:5], exec, -1
; %bb.2447:
	s_or_b64 exec, exec, s[8:9]
	s_and_b64 s[4:5], s[4:5], exec
	s_or_saveexec_b64 s[6:7], s[6:7]
	v_mov_b32_e32 v12, s10
	s_xor_b64 exec, exec, s[6:7]
	s_cbranch_execz .LBB53_398
.LBB53_2448:
	v_mov_b32_e32 v12, 0
	v_cmp_ne_u16_sdwa s[8:9], v11, v12 src0_sel:BYTE_0 src1_sel:DWORD
	s_andn2_b64 s[4:5], s[4:5], exec
	s_and_b64 s[8:9], s[8:9], exec
	s_or_b64 s[4:5], s[4:5], s[8:9]
	s_or_b64 exec, exec, s[6:7]
	s_and_saveexec_b64 s[6:7], s[4:5]
	s_cbranch_execnz .LBB53_399
	s_branch .LBB53_400
.LBB53_2449:
	s_movk_i32 s4, 0x80
	v_cmp_eq_u16_e32 vcc, s4, v11
	s_mov_b64 s[4:5], -1
                                        ; implicit-def: $sgpr10
	s_and_saveexec_b64 s[8:9], vcc
; %bb.2450:
	s_mov_b32 s10, 0x7f800001
	s_xor_b64 s[4:5], exec, -1
; %bb.2451:
	s_or_b64 exec, exec, s[8:9]
	s_and_b64 s[4:5], s[4:5], exec
                                        ; implicit-def: $vgpr11
	s_or_saveexec_b64 s[6:7], s[6:7]
	v_mov_b32_e32 v10, s10
	s_xor_b64 exec, exec, s[6:7]
	s_cbranch_execz .LBB53_402
.LBB53_2452:
	v_cmp_ne_u16_e32 vcc, 0, v11
	s_andn2_b64 s[4:5], s[4:5], exec
	s_and_b64 s[8:9], vcc, exec
	v_mov_b32_e32 v10, 0
	s_or_b64 s[4:5], s[4:5], s[8:9]
	s_or_b64 exec, exec, s[6:7]
	s_and_saveexec_b64 s[6:7], s[4:5]
	s_cbranch_execnz .LBB53_403
	s_branch .LBB53_404
.LBB53_2453:
	s_movk_i32 s4, 0x80
	v_cmp_eq_u16_e32 vcc, s4, v11
	s_mov_b64 s[4:5], -1
                                        ; implicit-def: $sgpr10
	s_and_saveexec_b64 s[8:9], vcc
; %bb.2454:
	s_mov_b32 s10, 0x7f800001
	s_xor_b64 s[4:5], exec, -1
; %bb.2455:
	s_or_b64 exec, exec, s[8:9]
	s_and_b64 s[4:5], s[4:5], exec
                                        ; implicit-def: $vgpr11
	s_or_saveexec_b64 s[6:7], s[6:7]
	v_mov_b32_e32 v12, s10
	s_xor_b64 exec, exec, s[6:7]
	s_cbranch_execz .LBB53_406
.LBB53_2456:
	v_cmp_ne_u16_e32 vcc, 0, v11
	s_andn2_b64 s[4:5], s[4:5], exec
	s_and_b64 s[8:9], vcc, exec
	v_mov_b32_e32 v12, 0
	s_or_b64 s[4:5], s[4:5], s[8:9]
	s_or_b64 exec, exec, s[6:7]
	s_and_saveexec_b64 s[6:7], s[4:5]
	s_cbranch_execnz .LBB53_407
	s_branch .LBB53_408
.LBB53_2457:
	s_movk_i32 s4, 0x80
	v_cmp_eq_u16_sdwa s[12:13], v6, s4 src0_sel:BYTE_3 src1_sel:DWORD
	s_mov_b64 s[4:5], -1
                                        ; implicit-def: $sgpr10
	s_and_saveexec_b64 s[8:9], s[12:13]
; %bb.2458:
	s_mov_b32 s10, 0x7f800001
	s_xor_b64 s[4:5], exec, -1
; %bb.2459:
	s_or_b64 exec, exec, s[8:9]
	s_and_b64 s[4:5], s[4:5], exec
	s_or_saveexec_b64 s[6:7], s[6:7]
	v_mov_b32_e32 v10, s10
	s_xor_b64 exec, exec, s[6:7]
	s_cbranch_execz .LBB53_410
.LBB53_2460:
	v_mov_b32_e32 v10, 0
	v_cmp_ne_u16_sdwa s[8:9], v6, v10 src0_sel:BYTE_3 src1_sel:DWORD
	s_andn2_b64 s[4:5], s[4:5], exec
	s_and_b64 s[8:9], s[8:9], exec
	s_or_b64 s[4:5], s[4:5], s[8:9]
	s_or_b64 exec, exec, s[6:7]
	s_and_saveexec_b64 s[6:7], s[4:5]
	s_cbranch_execnz .LBB53_411
	s_branch .LBB53_412
.LBB53_2461:
	s_movk_i32 s4, 0x80
	v_cmp_eq_u16_sdwa s[12:13], v2, s4 src0_sel:BYTE_3 src1_sel:DWORD
	s_mov_b64 s[4:5], -1
                                        ; implicit-def: $sgpr10
	s_and_saveexec_b64 s[8:9], s[12:13]
; %bb.2462:
	s_mov_b32 s10, 0x7f800001
	s_xor_b64 s[4:5], exec, -1
; %bb.2463:
	s_or_b64 exec, exec, s[8:9]
	s_and_b64 s[4:5], s[4:5], exec
	s_or_saveexec_b64 s[6:7], s[6:7]
	v_mov_b32_e32 v6, s10
	s_xor_b64 exec, exec, s[6:7]
	s_cbranch_execz .LBB53_414
.LBB53_2464:
	v_mov_b32_e32 v6, 0
	v_cmp_ne_u16_sdwa s[8:9], v2, v6 src0_sel:BYTE_3 src1_sel:DWORD
	s_andn2_b64 s[4:5], s[4:5], exec
	s_and_b64 s[8:9], s[8:9], exec
	s_or_b64 s[4:5], s[4:5], s[8:9]
	s_or_b64 exec, exec, s[6:7]
	s_and_saveexec_b64 s[6:7], s[4:5]
	s_cbranch_execnz .LBB53_415
	s_branch .LBB53_416
.LBB53_2465:
	s_movk_i32 s4, 0x80
	v_cmp_eq_u16_sdwa s[12:13], v7, s4 src0_sel:BYTE_0 src1_sel:DWORD
	s_mov_b64 s[4:5], -1
                                        ; implicit-def: $sgpr10
	s_and_saveexec_b64 s[8:9], s[12:13]
; %bb.2466:
	s_mov_b32 s10, 0x7f800001
	s_xor_b64 s[4:5], exec, -1
; %bb.2467:
	s_or_b64 exec, exec, s[8:9]
	s_and_b64 s[4:5], s[4:5], exec
	s_or_saveexec_b64 s[6:7], s[6:7]
	v_mov_b32_e32 v2, s10
	s_xor_b64 exec, exec, s[6:7]
	s_cbranch_execz .LBB53_418
.LBB53_2468:
	v_mov_b32_e32 v2, 0
	v_cmp_ne_u16_sdwa s[8:9], v7, v2 src0_sel:BYTE_0 src1_sel:DWORD
	s_andn2_b64 s[4:5], s[4:5], exec
	s_and_b64 s[8:9], s[8:9], exec
	s_or_b64 s[4:5], s[4:5], s[8:9]
	s_or_b64 exec, exec, s[6:7]
	s_and_saveexec_b64 s[6:7], s[4:5]
	s_cbranch_execnz .LBB53_419
	s_branch .LBB53_420
.LBB53_2469:
	s_movk_i32 s4, 0x80
	v_cmp_eq_u16_sdwa s[12:13], v3, s4 src0_sel:BYTE_0 src1_sel:DWORD
	s_mov_b64 s[4:5], -1
                                        ; implicit-def: $sgpr10
	s_and_saveexec_b64 s[8:9], s[12:13]
; %bb.2470:
	s_mov_b32 s10, 0x7f800001
	s_xor_b64 s[4:5], exec, -1
; %bb.2471:
	s_or_b64 exec, exec, s[8:9]
	s_and_b64 s[4:5], s[4:5], exec
	s_or_saveexec_b64 s[6:7], s[6:7]
	v_mov_b32_e32 v6, s10
	s_xor_b64 exec, exec, s[6:7]
	s_cbranch_execz .LBB53_422
.LBB53_2472:
	v_mov_b32_e32 v6, 0
	v_cmp_ne_u16_sdwa s[8:9], v3, v6 src0_sel:BYTE_0 src1_sel:DWORD
	s_andn2_b64 s[4:5], s[4:5], exec
	s_and_b64 s[8:9], s[8:9], exec
	s_or_b64 s[4:5], s[4:5], s[8:9]
	s_or_b64 exec, exec, s[6:7]
	s_and_saveexec_b64 s[6:7], s[4:5]
	s_cbranch_execnz .LBB53_423
	s_branch .LBB53_424
.LBB53_2473:
	s_movk_i32 s4, 0x80
	v_cmp_eq_u16_sdwa s[12:13], v6, s4 src0_sel:BYTE_0 src1_sel:DWORD
	s_mov_b64 s[4:5], -1
                                        ; implicit-def: $sgpr10
	s_and_saveexec_b64 s[8:9], s[12:13]
; %bb.2474:
	s_mov_b32 s10, 0x7f800001
	s_xor_b64 s[4:5], exec, -1
; %bb.2475:
	s_or_b64 exec, exec, s[8:9]
	s_and_b64 s[4:5], s[4:5], exec
	s_or_saveexec_b64 s[6:7], s[6:7]
	v_mov_b32_e32 v2, s10
	s_xor_b64 exec, exec, s[6:7]
	s_cbranch_execz .LBB53_426
.LBB53_2476:
	v_mov_b32_e32 v2, 0
	v_cmp_ne_u16_sdwa s[8:9], v6, v2 src0_sel:BYTE_0 src1_sel:DWORD
	s_andn2_b64 s[4:5], s[4:5], exec
	s_and_b64 s[8:9], s[8:9], exec
	s_or_b64 s[4:5], s[4:5], s[8:9]
	s_or_b64 exec, exec, s[6:7]
	s_and_saveexec_b64 s[6:7], s[4:5]
	s_cbranch_execnz .LBB53_427
	s_branch .LBB53_428
.LBB53_2477:
	s_movk_i32 s4, 0x80
	v_cmp_eq_u16_sdwa s[12:13], v6, s4 src0_sel:BYTE_0 src1_sel:DWORD
	s_mov_b64 s[4:5], -1
                                        ; implicit-def: $sgpr10
	s_and_saveexec_b64 s[8:9], s[12:13]
; %bb.2478:
	s_mov_b32 s10, 0x7f800001
	s_xor_b64 s[4:5], exec, -1
; %bb.2479:
	s_or_b64 exec, exec, s[8:9]
	s_and_b64 s[4:5], s[4:5], exec
	s_or_saveexec_b64 s[6:7], s[6:7]
	v_mov_b32_e32 v10, s10
	s_xor_b64 exec, exec, s[6:7]
	s_cbranch_execz .LBB53_430
.LBB53_2480:
	v_mov_b32_e32 v10, 0
	v_cmp_ne_u16_sdwa s[8:9], v6, v10 src0_sel:BYTE_0 src1_sel:DWORD
	s_andn2_b64 s[4:5], s[4:5], exec
	s_and_b64 s[8:9], s[8:9], exec
	s_or_b64 s[4:5], s[4:5], s[8:9]
	s_or_b64 exec, exec, s[6:7]
	s_and_saveexec_b64 s[6:7], s[4:5]
	s_cbranch_execnz .LBB53_431
	s_branch .LBB53_432
.LBB53_2481:
	s_movk_i32 s4, 0x80
	v_cmp_eq_u16_e32 vcc, s4, v6
	s_mov_b64 s[4:5], -1
                                        ; implicit-def: $sgpr10
	s_and_saveexec_b64 s[8:9], vcc
; %bb.2482:
	s_mov_b32 s10, 0x7f800001
	s_xor_b64 s[4:5], exec, -1
; %bb.2483:
	s_or_b64 exec, exec, s[8:9]
	s_and_b64 s[4:5], s[4:5], exec
                                        ; implicit-def: $vgpr6
	s_or_saveexec_b64 s[6:7], s[6:7]
	v_mov_b32_e32 v2, s10
	s_xor_b64 exec, exec, s[6:7]
	s_cbranch_execz .LBB53_434
.LBB53_2484:
	v_cmp_ne_u16_e32 vcc, 0, v6
	s_andn2_b64 s[4:5], s[4:5], exec
	s_and_b64 s[8:9], vcc, exec
	v_mov_b32_e32 v2, 0
	s_or_b64 s[4:5], s[4:5], s[8:9]
	s_or_b64 exec, exec, s[6:7]
	s_and_saveexec_b64 s[6:7], s[4:5]
	s_cbranch_execnz .LBB53_435
	s_branch .LBB53_436
.LBB53_2485:
	s_movk_i32 s4, 0x80
	v_cmp_eq_u16_e32 vcc, s4, v6
	s_mov_b64 s[4:5], -1
                                        ; implicit-def: $sgpr10
	s_and_saveexec_b64 s[8:9], vcc
; %bb.2486:
	s_mov_b32 s10, 0x7f800001
	s_xor_b64 s[4:5], exec, -1
; %bb.2487:
	s_or_b64 exec, exec, s[8:9]
	s_and_b64 s[4:5], s[4:5], exec
                                        ; implicit-def: $vgpr6
	s_or_saveexec_b64 s[6:7], s[6:7]
	v_mov_b32_e32 v10, s10
	s_xor_b64 exec, exec, s[6:7]
	s_cbranch_execz .LBB53_438
.LBB53_2488:
	v_cmp_ne_u16_e32 vcc, 0, v6
	s_andn2_b64 s[4:5], s[4:5], exec
	s_and_b64 s[8:9], vcc, exec
	v_mov_b32_e32 v10, 0
	s_or_b64 s[4:5], s[4:5], s[8:9]
	s_or_b64 exec, exec, s[6:7]
	s_and_saveexec_b64 s[6:7], s[4:5]
	s_cbranch_execnz .LBB53_439
	s_branch .LBB53_440
.LBB53_2489:
	s_movk_i32 s4, 0x80
	v_cmp_eq_u16_sdwa s[12:13], v7, s4 src0_sel:BYTE_3 src1_sel:DWORD
	s_mov_b64 s[4:5], -1
                                        ; implicit-def: $sgpr10
	s_and_saveexec_b64 s[8:9], s[12:13]
; %bb.2490:
	s_mov_b32 s10, 0x7f800001
	s_xor_b64 s[4:5], exec, -1
; %bb.2491:
	s_or_b64 exec, exec, s[8:9]
	s_and_b64 s[4:5], s[4:5], exec
	s_or_saveexec_b64 s[6:7], s[6:7]
	v_mov_b32_e32 v2, s10
	s_xor_b64 exec, exec, s[6:7]
	s_cbranch_execz .LBB53_442
.LBB53_2492:
	v_mov_b32_e32 v2, 0
	v_cmp_ne_u16_sdwa s[8:9], v7, v2 src0_sel:BYTE_3 src1_sel:DWORD
	s_andn2_b64 s[4:5], s[4:5], exec
	s_and_b64 s[8:9], s[8:9], exec
	s_or_b64 s[4:5], s[4:5], s[8:9]
	s_or_b64 exec, exec, s[6:7]
	s_and_saveexec_b64 s[6:7], s[4:5]
	s_cbranch_execnz .LBB53_443
	s_branch .LBB53_444
.LBB53_2493:
	s_movk_i32 s4, 0x80
	v_cmp_eq_u16_sdwa s[12:13], v3, s4 src0_sel:BYTE_3 src1_sel:DWORD
	s_mov_b64 s[4:5], -1
                                        ; implicit-def: $sgpr10
	s_and_saveexec_b64 s[8:9], s[12:13]
; %bb.2494:
	s_mov_b32 s10, 0x7f800001
	s_xor_b64 s[4:5], exec, -1
; %bb.2495:
	s_or_b64 exec, exec, s[8:9]
	s_and_b64 s[4:5], s[4:5], exec
	s_or_saveexec_b64 s[6:7], s[6:7]
	v_mov_b32_e32 v6, s10
	s_xor_b64 exec, exec, s[6:7]
	s_cbranch_execz .LBB53_446
.LBB53_2496:
	v_mov_b32_e32 v6, 0
	v_cmp_ne_u16_sdwa s[8:9], v3, v6 src0_sel:BYTE_3 src1_sel:DWORD
	s_andn2_b64 s[4:5], s[4:5], exec
	s_and_b64 s[8:9], s[8:9], exec
	s_or_b64 s[4:5], s[4:5], s[8:9]
	s_or_b64 exec, exec, s[6:7]
	s_and_saveexec_b64 s[6:7], s[4:5]
	s_cbranch_execnz .LBB53_447
	s_branch .LBB53_448
.LBB53_2497:
	s_movk_i32 s4, 0x80
	v_cmp_eq_u16_sdwa s[12:13], v8, s4 src0_sel:BYTE_0 src1_sel:DWORD
	s_mov_b64 s[4:5], -1
                                        ; implicit-def: $sgpr10
	s_and_saveexec_b64 s[8:9], s[12:13]
; %bb.2498:
	s_mov_b32 s10, 0x7f800001
	s_xor_b64 s[4:5], exec, -1
; %bb.2499:
	s_or_b64 exec, exec, s[8:9]
	s_and_b64 s[4:5], s[4:5], exec
	s_or_saveexec_b64 s[6:7], s[6:7]
	v_mov_b32_e32 v2, s10
	s_xor_b64 exec, exec, s[6:7]
	s_cbranch_execz .LBB53_450
.LBB53_2500:
	v_mov_b32_e32 v2, 0
	v_cmp_ne_u16_sdwa s[8:9], v8, v2 src0_sel:BYTE_0 src1_sel:DWORD
	s_andn2_b64 s[4:5], s[4:5], exec
	s_and_b64 s[8:9], s[8:9], exec
	s_or_b64 s[4:5], s[4:5], s[8:9]
	s_or_b64 exec, exec, s[6:7]
	s_and_saveexec_b64 s[6:7], s[4:5]
	s_cbranch_execnz .LBB53_451
	s_branch .LBB53_452
.LBB53_2501:
	s_movk_i32 s4, 0x80
	v_cmp_eq_u16_sdwa s[12:13], v4, s4 src0_sel:BYTE_0 src1_sel:DWORD
	s_mov_b64 s[4:5], -1
                                        ; implicit-def: $sgpr10
	s_and_saveexec_b64 s[8:9], s[12:13]
; %bb.2502:
	s_mov_b32 s10, 0x7f800001
	s_xor_b64 s[4:5], exec, -1
; %bb.2503:
	s_or_b64 exec, exec, s[8:9]
	s_and_b64 s[4:5], s[4:5], exec
	s_or_saveexec_b64 s[6:7], s[6:7]
	v_mov_b32_e32 v3, s10
	s_xor_b64 exec, exec, s[6:7]
	s_cbranch_execz .LBB53_454
.LBB53_2504:
	v_mov_b32_e32 v3, 0
	v_cmp_ne_u16_sdwa s[8:9], v4, v3 src0_sel:BYTE_0 src1_sel:DWORD
	s_andn2_b64 s[4:5], s[4:5], exec
	s_and_b64 s[8:9], s[8:9], exec
	s_or_b64 s[4:5], s[4:5], s[8:9]
	s_or_b64 exec, exec, s[6:7]
	s_and_saveexec_b64 s[6:7], s[4:5]
	s_cbranch_execnz .LBB53_455
	s_branch .LBB53_456
.LBB53_2505:
	s_movk_i32 s4, 0x80
	v_cmp_eq_u16_sdwa s[12:13], v3, s4 src0_sel:BYTE_0 src1_sel:DWORD
	s_mov_b64 s[4:5], -1
                                        ; implicit-def: $sgpr10
	s_and_saveexec_b64 s[8:9], s[12:13]
; %bb.2506:
	s_mov_b32 s10, 0x7f800001
	s_xor_b64 s[4:5], exec, -1
; %bb.2507:
	s_or_b64 exec, exec, s[8:9]
	s_and_b64 s[4:5], s[4:5], exec
	s_or_saveexec_b64 s[6:7], s[6:7]
	v_mov_b32_e32 v2, s10
	s_xor_b64 exec, exec, s[6:7]
	s_cbranch_execz .LBB53_458
.LBB53_2508:
	v_mov_b32_e32 v2, 0
	v_cmp_ne_u16_sdwa s[8:9], v3, v2 src0_sel:BYTE_0 src1_sel:DWORD
	s_andn2_b64 s[4:5], s[4:5], exec
	s_and_b64 s[8:9], s[8:9], exec
	s_or_b64 s[4:5], s[4:5], s[8:9]
	s_or_b64 exec, exec, s[6:7]
	s_and_saveexec_b64 s[6:7], s[4:5]
	s_cbranch_execnz .LBB53_459
	s_branch .LBB53_460
.LBB53_2509:
	s_movk_i32 s4, 0x80
	v_cmp_eq_u16_sdwa s[12:13], v3, s4 src0_sel:BYTE_0 src1_sel:DWORD
	s_mov_b64 s[4:5], -1
                                        ; implicit-def: $sgpr10
	s_and_saveexec_b64 s[8:9], s[12:13]
; %bb.2510:
	s_mov_b32 s10, 0x7f800001
	s_xor_b64 s[4:5], exec, -1
; %bb.2511:
	s_or_b64 exec, exec, s[8:9]
	s_and_b64 s[4:5], s[4:5], exec
	s_or_saveexec_b64 s[6:7], s[6:7]
	v_mov_b32_e32 v6, s10
	s_xor_b64 exec, exec, s[6:7]
	s_cbranch_execz .LBB53_462
.LBB53_2512:
	v_mov_b32_e32 v6, 0
	v_cmp_ne_u16_sdwa s[8:9], v3, v6 src0_sel:BYTE_0 src1_sel:DWORD
	s_andn2_b64 s[4:5], s[4:5], exec
	s_and_b64 s[8:9], s[8:9], exec
	s_or_b64 s[4:5], s[4:5], s[8:9]
	s_or_b64 exec, exec, s[6:7]
	s_and_saveexec_b64 s[6:7], s[4:5]
	s_cbranch_execnz .LBB53_463
	s_branch .LBB53_464
.LBB53_2513:
	s_movk_i32 s4, 0x80
	v_cmp_eq_u16_e32 vcc, s4, v3
	s_mov_b64 s[4:5], -1
                                        ; implicit-def: $sgpr10
	s_and_saveexec_b64 s[8:9], vcc
; %bb.2514:
	s_mov_b32 s10, 0x7f800001
	s_xor_b64 s[4:5], exec, -1
; %bb.2515:
	s_or_b64 exec, exec, s[8:9]
	s_and_b64 s[4:5], s[4:5], exec
                                        ; implicit-def: $vgpr3
	s_or_saveexec_b64 s[6:7], s[6:7]
	v_mov_b32_e32 v2, s10
	s_xor_b64 exec, exec, s[6:7]
	s_cbranch_execz .LBB53_466
.LBB53_2516:
	v_cmp_ne_u16_e32 vcc, 0, v3
	s_andn2_b64 s[4:5], s[4:5], exec
	s_and_b64 s[8:9], vcc, exec
	v_mov_b32_e32 v2, 0
	s_or_b64 s[4:5], s[4:5], s[8:9]
	s_or_b64 exec, exec, s[6:7]
	s_and_saveexec_b64 s[6:7], s[4:5]
	s_cbranch_execnz .LBB53_467
	s_branch .LBB53_468
.LBB53_2517:
	s_movk_i32 s4, 0x80
	v_cmp_eq_u16_e32 vcc, s4, v3
	s_mov_b64 s[4:5], -1
                                        ; implicit-def: $sgpr10
	s_and_saveexec_b64 s[8:9], vcc
; %bb.2518:
	s_mov_b32 s10, 0x7f800001
	s_xor_b64 s[4:5], exec, -1
; %bb.2519:
	s_or_b64 exec, exec, s[8:9]
	s_and_b64 s[4:5], s[4:5], exec
                                        ; implicit-def: $vgpr3
	s_or_saveexec_b64 s[6:7], s[6:7]
	v_mov_b32_e32 v6, s10
	s_xor_b64 exec, exec, s[6:7]
	s_cbranch_execz .LBB53_470
.LBB53_2520:
	v_cmp_ne_u16_e32 vcc, 0, v3
	s_andn2_b64 s[4:5], s[4:5], exec
	s_and_b64 s[8:9], vcc, exec
	v_mov_b32_e32 v6, 0
	s_or_b64 s[4:5], s[4:5], s[8:9]
	s_or_b64 exec, exec, s[6:7]
	s_and_saveexec_b64 s[6:7], s[4:5]
	s_cbranch_execnz .LBB53_471
	s_branch .LBB53_472
.LBB53_2521:
	s_movk_i32 s4, 0x80
	v_cmp_eq_u16_sdwa s[12:13], v8, s4 src0_sel:BYTE_3 src1_sel:DWORD
	s_mov_b64 s[4:5], -1
                                        ; implicit-def: $sgpr10
	s_and_saveexec_b64 s[8:9], s[12:13]
; %bb.2522:
	s_mov_b32 s10, 0x7f800001
	s_xor_b64 s[4:5], exec, -1
; %bb.2523:
	s_or_b64 exec, exec, s[8:9]
	s_and_b64 s[4:5], s[4:5], exec
	s_or_saveexec_b64 s[6:7], s[6:7]
	v_mov_b32_e32 v2, s10
	s_xor_b64 exec, exec, s[6:7]
	s_cbranch_execz .LBB53_474
.LBB53_2524:
	v_mov_b32_e32 v2, 0
	v_cmp_ne_u16_sdwa s[8:9], v8, v2 src0_sel:BYTE_3 src1_sel:DWORD
	s_andn2_b64 s[4:5], s[4:5], exec
	s_and_b64 s[8:9], s[8:9], exec
	s_or_b64 s[4:5], s[4:5], s[8:9]
	s_or_b64 exec, exec, s[6:7]
	s_and_saveexec_b64 s[6:7], s[4:5]
	s_cbranch_execnz .LBB53_475
	s_branch .LBB53_476
.LBB53_2525:
	s_movk_i32 s4, 0x80
	v_cmp_eq_u16_sdwa s[12:13], v4, s4 src0_sel:BYTE_3 src1_sel:DWORD
	s_mov_b64 s[4:5], -1
                                        ; implicit-def: $sgpr10
	s_and_saveexec_b64 s[8:9], s[12:13]
; %bb.2526:
	s_mov_b32 s10, 0x7f800001
	s_xor_b64 s[4:5], exec, -1
; %bb.2527:
	s_or_b64 exec, exec, s[8:9]
	s_and_b64 s[4:5], s[4:5], exec
	s_or_saveexec_b64 s[6:7], s[6:7]
	v_mov_b32_e32 v3, s10
	s_xor_b64 exec, exec, s[6:7]
	s_cbranch_execz .LBB53_478
.LBB53_2528:
	v_mov_b32_e32 v3, 0
	v_cmp_ne_u16_sdwa s[8:9], v4, v3 src0_sel:BYTE_3 src1_sel:DWORD
	s_andn2_b64 s[4:5], s[4:5], exec
	s_and_b64 s[8:9], s[8:9], exec
	s_or_b64 s[4:5], s[4:5], s[8:9]
	s_or_b64 exec, exec, s[6:7]
	s_and_saveexec_b64 s[6:7], s[4:5]
	s_cbranch_execnz .LBB53_479
	s_branch .LBB53_480
.LBB53_2529:
	s_movk_i32 s4, 0x80
	v_cmp_eq_u16_sdwa s[12:13], v9, s4 src0_sel:BYTE_0 src1_sel:DWORD
	s_mov_b64 s[4:5], -1
                                        ; implicit-def: $sgpr10
	s_and_saveexec_b64 s[8:9], s[12:13]
; %bb.2530:
	s_mov_b32 s10, 0x7f800001
	s_xor_b64 s[4:5], exec, -1
; %bb.2531:
	s_or_b64 exec, exec, s[8:9]
	s_and_b64 s[4:5], s[4:5], exec
	s_or_saveexec_b64 s[6:7], s[6:7]
	v_mov_b32_e32 v2, s10
	s_xor_b64 exec, exec, s[6:7]
	s_cbranch_execz .LBB53_482
.LBB53_2532:
	v_mov_b32_e32 v2, 0
	v_cmp_ne_u16_sdwa s[8:9], v9, v2 src0_sel:BYTE_0 src1_sel:DWORD
	s_andn2_b64 s[4:5], s[4:5], exec
	s_and_b64 s[8:9], s[8:9], exec
	s_or_b64 s[4:5], s[4:5], s[8:9]
	s_or_b64 exec, exec, s[6:7]
	s_and_saveexec_b64 s[6:7], s[4:5]
	s_cbranch_execnz .LBB53_483
	s_branch .LBB53_484
.LBB53_2533:
	s_movk_i32 s4, 0x80
	v_cmp_eq_u16_sdwa s[12:13], v5, s4 src0_sel:BYTE_0 src1_sel:DWORD
	s_mov_b64 s[4:5], -1
                                        ; implicit-def: $sgpr10
	s_and_saveexec_b64 s[8:9], s[12:13]
; %bb.2534:
	s_mov_b32 s10, 0x7f800001
	s_xor_b64 s[4:5], exec, -1
; %bb.2535:
	s_or_b64 exec, exec, s[8:9]
	s_and_b64 s[4:5], s[4:5], exec
	s_or_saveexec_b64 s[6:7], s[6:7]
	v_mov_b32_e32 v3, s10
	s_xor_b64 exec, exec, s[6:7]
	s_cbranch_execz .LBB53_486
.LBB53_2536:
	v_mov_b32_e32 v3, 0
	v_cmp_ne_u16_sdwa s[8:9], v5, v3 src0_sel:BYTE_0 src1_sel:DWORD
	s_andn2_b64 s[4:5], s[4:5], exec
	s_and_b64 s[8:9], s[8:9], exec
	s_or_b64 s[4:5], s[4:5], s[8:9]
	s_or_b64 exec, exec, s[6:7]
	s_and_saveexec_b64 s[6:7], s[4:5]
	s_cbranch_execnz .LBB53_487
	s_branch .LBB53_488
.LBB53_2537:
	s_movk_i32 s4, 0x80
	v_cmp_eq_u16_sdwa s[12:13], v3, s4 src0_sel:BYTE_0 src1_sel:DWORD
	s_mov_b64 s[4:5], -1
                                        ; implicit-def: $sgpr10
	s_and_saveexec_b64 s[8:9], s[12:13]
; %bb.2538:
	s_mov_b32 s10, 0x7f800001
	s_xor_b64 s[4:5], exec, -1
; %bb.2539:
	s_or_b64 exec, exec, s[8:9]
	s_and_b64 s[4:5], s[4:5], exec
	s_or_saveexec_b64 s[6:7], s[6:7]
	v_mov_b32_e32 v2, s10
	s_xor_b64 exec, exec, s[6:7]
	s_cbranch_execz .LBB53_490
.LBB53_2540:
	v_mov_b32_e32 v2, 0
	v_cmp_ne_u16_sdwa s[8:9], v3, v2 src0_sel:BYTE_0 src1_sel:DWORD
	s_andn2_b64 s[4:5], s[4:5], exec
	s_and_b64 s[8:9], s[8:9], exec
	s_or_b64 s[4:5], s[4:5], s[8:9]
	s_or_b64 exec, exec, s[6:7]
	s_and_saveexec_b64 s[6:7], s[4:5]
	s_cbranch_execnz .LBB53_491
	s_branch .LBB53_492
.LBB53_2541:
	s_movk_i32 s4, 0x80
	v_cmp_eq_u16_sdwa s[12:13], v3, s4 src0_sel:BYTE_0 src1_sel:DWORD
	s_mov_b64 s[4:5], -1
                                        ; implicit-def: $sgpr10
	s_and_saveexec_b64 s[8:9], s[12:13]
; %bb.2542:
	s_mov_b32 s10, 0x7f800001
	s_xor_b64 s[4:5], exec, -1
; %bb.2543:
	s_or_b64 exec, exec, s[8:9]
	s_and_b64 s[4:5], s[4:5], exec
	s_or_saveexec_b64 s[6:7], s[6:7]
	v_mov_b32_e32 v4, s10
	s_xor_b64 exec, exec, s[6:7]
	s_cbranch_execz .LBB53_494
.LBB53_2544:
	v_mov_b32_e32 v4, 0
	v_cmp_ne_u16_sdwa s[8:9], v3, v4 src0_sel:BYTE_0 src1_sel:DWORD
	s_andn2_b64 s[4:5], s[4:5], exec
	s_and_b64 s[8:9], s[8:9], exec
	s_or_b64 s[4:5], s[4:5], s[8:9]
	s_or_b64 exec, exec, s[6:7]
	s_and_saveexec_b64 s[6:7], s[4:5]
	s_cbranch_execnz .LBB53_495
	s_branch .LBB53_496
.LBB53_2545:
	s_movk_i32 s4, 0x80
	v_cmp_eq_u16_e32 vcc, s4, v3
	s_mov_b64 s[4:5], -1
                                        ; implicit-def: $sgpr10
	s_and_saveexec_b64 s[8:9], vcc
; %bb.2546:
	s_mov_b32 s10, 0x7f800001
	s_xor_b64 s[4:5], exec, -1
; %bb.2547:
	s_or_b64 exec, exec, s[8:9]
	s_and_b64 s[4:5], s[4:5], exec
                                        ; implicit-def: $vgpr3
	s_or_saveexec_b64 s[6:7], s[6:7]
	v_mov_b32_e32 v2, s10
	s_xor_b64 exec, exec, s[6:7]
	s_cbranch_execz .LBB53_498
.LBB53_2548:
	v_cmp_ne_u16_e32 vcc, 0, v3
	s_andn2_b64 s[4:5], s[4:5], exec
	s_and_b64 s[8:9], vcc, exec
	v_mov_b32_e32 v2, 0
	s_or_b64 s[4:5], s[4:5], s[8:9]
	s_or_b64 exec, exec, s[6:7]
	s_and_saveexec_b64 s[6:7], s[4:5]
	s_cbranch_execnz .LBB53_499
	s_branch .LBB53_500
.LBB53_2549:
	s_movk_i32 s4, 0x80
	v_cmp_eq_u16_e32 vcc, s4, v3
	s_mov_b64 s[4:5], -1
                                        ; implicit-def: $sgpr10
	s_and_saveexec_b64 s[8:9], vcc
; %bb.2550:
	s_mov_b32 s10, 0x7f800001
	s_xor_b64 s[4:5], exec, -1
; %bb.2551:
	s_or_b64 exec, exec, s[8:9]
	s_and_b64 s[4:5], s[4:5], exec
                                        ; implicit-def: $vgpr3
	s_or_saveexec_b64 s[6:7], s[6:7]
	v_mov_b32_e32 v4, s10
	s_xor_b64 exec, exec, s[6:7]
	s_cbranch_execz .LBB53_502
.LBB53_2552:
	v_cmp_ne_u16_e32 vcc, 0, v3
	s_andn2_b64 s[4:5], s[4:5], exec
	s_and_b64 s[8:9], vcc, exec
	v_mov_b32_e32 v4, 0
	s_or_b64 s[4:5], s[4:5], s[8:9]
	s_or_b64 exec, exec, s[6:7]
	s_and_saveexec_b64 s[6:7], s[4:5]
	s_cbranch_execnz .LBB53_503
	s_branch .LBB53_504
.LBB53_2553:
	s_movk_i32 s4, 0x80
	v_cmp_eq_u16_sdwa s[12:13], v9, s4 src0_sel:BYTE_3 src1_sel:DWORD
	s_mov_b64 s[4:5], -1
                                        ; implicit-def: $sgpr10
	s_and_saveexec_b64 s[8:9], s[12:13]
; %bb.2554:
	s_mov_b32 s10, 0x7f800001
	s_xor_b64 s[4:5], exec, -1
; %bb.2555:
	s_or_b64 exec, exec, s[8:9]
	s_and_b64 s[4:5], s[4:5], exec
	s_or_saveexec_b64 s[6:7], s[6:7]
	v_mov_b32_e32 v2, s10
	s_xor_b64 exec, exec, s[6:7]
	s_cbranch_execz .LBB53_506
.LBB53_2556:
	v_mov_b32_e32 v2, 0
	v_cmp_ne_u16_sdwa s[8:9], v9, v2 src0_sel:BYTE_3 src1_sel:DWORD
	s_andn2_b64 s[4:5], s[4:5], exec
	s_and_b64 s[8:9], s[8:9], exec
	s_or_b64 s[4:5], s[4:5], s[8:9]
	s_or_b64 exec, exec, s[6:7]
	s_and_saveexec_b64 s[6:7], s[4:5]
	s_cbranch_execnz .LBB53_507
	s_branch .LBB53_508
.LBB53_2557:
	s_movk_i32 s4, 0x80
	v_cmp_eq_u16_sdwa s[12:13], v5, s4 src0_sel:BYTE_3 src1_sel:DWORD
	s_mov_b64 s[4:5], -1
                                        ; implicit-def: $sgpr10
	s_and_saveexec_b64 s[8:9], s[12:13]
; %bb.2558:
	s_mov_b32 s10, 0x7f800001
	s_xor_b64 s[4:5], exec, -1
; %bb.2559:
	s_or_b64 exec, exec, s[8:9]
	s_and_b64 s[4:5], s[4:5], exec
	s_or_saveexec_b64 s[6:7], s[6:7]
	v_mov_b32_e32 v3, s10
	s_xor_b64 exec, exec, s[6:7]
	s_cbranch_execz .LBB53_510
.LBB53_2560:
	v_mov_b32_e32 v3, 0
	v_cmp_ne_u16_sdwa s[8:9], v5, v3 src0_sel:BYTE_3 src1_sel:DWORD
	s_andn2_b64 s[4:5], s[4:5], exec
	s_and_b64 s[8:9], s[8:9], exec
	s_or_b64 s[4:5], s[4:5], s[8:9]
	s_or_b64 exec, exec, s[6:7]
	s_and_saveexec_b64 s[6:7], s[4:5]
	s_cbranch_execnz .LBB53_511
	s_branch .LBB53_512
.LBB53_2561:
	s_movk_i32 s4, 0x80
	v_cmp_eq_u16_sdwa s[12:13], v14, s4 src0_sel:BYTE_0 src1_sel:DWORD
	s_mov_b64 s[4:5], -1
                                        ; implicit-def: $sgpr10
	s_and_saveexec_b64 s[8:9], s[12:13]
; %bb.2562:
	s_mov_b32 s10, 0x7f800001
	s_xor_b64 s[4:5], exec, -1
; %bb.2563:
	s_or_b64 exec, exec, s[8:9]
	s_and_b64 s[4:5], s[4:5], exec
	s_or_saveexec_b64 s[6:7], s[6:7]
	v_mov_b32_e32 v20, s10
	s_xor_b64 exec, exec, s[6:7]
	s_cbranch_execz .LBB53_514
.LBB53_2564:
	v_mov_b32_e32 v20, 0
	v_cmp_ne_u16_sdwa s[8:9], v14, v20 src0_sel:BYTE_0 src1_sel:DWORD
	s_andn2_b64 s[4:5], s[4:5], exec
	s_and_b64 s[8:9], s[8:9], exec
	s_or_b64 s[4:5], s[4:5], s[8:9]
	s_or_b64 exec, exec, s[6:7]
	s_and_saveexec_b64 s[6:7], s[4:5]
	s_cbranch_execnz .LBB53_515
	s_branch .LBB53_516
.LBB53_2565:
	s_movk_i32 s4, 0x80
	v_cmp_eq_u16_sdwa s[12:13], v10, s4 src0_sel:BYTE_0 src1_sel:DWORD
	s_mov_b64 s[4:5], -1
                                        ; implicit-def: $sgpr10
	s_and_saveexec_b64 s[8:9], s[12:13]
; %bb.2566:
	s_mov_b32 s10, 0x7f800001
	s_xor_b64 s[4:5], exec, -1
; %bb.2567:
	s_or_b64 exec, exec, s[8:9]
	s_and_b64 s[4:5], s[4:5], exec
	s_or_saveexec_b64 s[6:7], s[6:7]
	v_mov_b32_e32 v21, s10
	s_xor_b64 exec, exec, s[6:7]
	s_cbranch_execz .LBB53_518
.LBB53_2568:
	v_mov_b32_e32 v21, 0
	v_cmp_ne_u16_sdwa s[8:9], v10, v21 src0_sel:BYTE_0 src1_sel:DWORD
	s_andn2_b64 s[4:5], s[4:5], exec
	s_and_b64 s[8:9], s[8:9], exec
	s_or_b64 s[4:5], s[4:5], s[8:9]
	s_or_b64 exec, exec, s[6:7]
	s_and_saveexec_b64 s[6:7], s[4:5]
	s_cbranch_execnz .LBB53_519
	s_branch .LBB53_520
.LBB53_2569:
	s_movk_i32 s4, 0x80
	v_cmp_eq_u16_sdwa s[12:13], v21, s4 src0_sel:BYTE_0 src1_sel:DWORD
	s_mov_b64 s[4:5], -1
                                        ; implicit-def: $sgpr10
	s_and_saveexec_b64 s[8:9], s[12:13]
; %bb.2570:
	s_mov_b32 s10, 0x7f800001
	s_xor_b64 s[4:5], exec, -1
; %bb.2571:
	s_or_b64 exec, exec, s[8:9]
	s_and_b64 s[4:5], s[4:5], exec
	s_or_saveexec_b64 s[6:7], s[6:7]
	v_mov_b32_e32 v20, s10
	s_xor_b64 exec, exec, s[6:7]
	s_cbranch_execz .LBB53_522
.LBB53_2572:
	v_mov_b32_e32 v20, 0
	v_cmp_ne_u16_sdwa s[8:9], v21, v20 src0_sel:BYTE_0 src1_sel:DWORD
	s_andn2_b64 s[4:5], s[4:5], exec
	s_and_b64 s[8:9], s[8:9], exec
	s_or_b64 s[4:5], s[4:5], s[8:9]
	s_or_b64 exec, exec, s[6:7]
	s_and_saveexec_b64 s[6:7], s[4:5]
	s_cbranch_execnz .LBB53_523
	s_branch .LBB53_524
.LBB53_2573:
	s_movk_i32 s4, 0x80
	v_cmp_eq_u16_sdwa s[12:13], v21, s4 src0_sel:BYTE_0 src1_sel:DWORD
	s_mov_b64 s[4:5], -1
                                        ; implicit-def: $sgpr10
	s_and_saveexec_b64 s[8:9], s[12:13]
; %bb.2574:
	s_mov_b32 s10, 0x7f800001
	s_xor_b64 s[4:5], exec, -1
; %bb.2575:
	s_or_b64 exec, exec, s[8:9]
	s_and_b64 s[4:5], s[4:5], exec
	s_or_saveexec_b64 s[6:7], s[6:7]
	v_mov_b32_e32 v22, s10
	s_xor_b64 exec, exec, s[6:7]
	s_cbranch_execz .LBB53_526
.LBB53_2576:
	v_mov_b32_e32 v22, 0
	v_cmp_ne_u16_sdwa s[8:9], v21, v22 src0_sel:BYTE_0 src1_sel:DWORD
	s_andn2_b64 s[4:5], s[4:5], exec
	s_and_b64 s[8:9], s[8:9], exec
	s_or_b64 s[4:5], s[4:5], s[8:9]
	s_or_b64 exec, exec, s[6:7]
	s_and_saveexec_b64 s[6:7], s[4:5]
	s_cbranch_execnz .LBB53_527
	s_branch .LBB53_528
.LBB53_2577:
	s_movk_i32 s4, 0x80
	v_cmp_eq_u16_e32 vcc, s4, v21
	s_mov_b64 s[4:5], -1
                                        ; implicit-def: $sgpr10
	s_and_saveexec_b64 s[8:9], vcc
; %bb.2578:
	s_mov_b32 s10, 0x7f800001
	s_xor_b64 s[4:5], exec, -1
; %bb.2579:
	s_or_b64 exec, exec, s[8:9]
	s_and_b64 s[4:5], s[4:5], exec
                                        ; implicit-def: $vgpr21
	s_or_saveexec_b64 s[6:7], s[6:7]
	v_mov_b32_e32 v20, s10
	s_xor_b64 exec, exec, s[6:7]
	s_cbranch_execz .LBB53_530
.LBB53_2580:
	v_cmp_ne_u16_e32 vcc, 0, v21
	s_andn2_b64 s[4:5], s[4:5], exec
	s_and_b64 s[8:9], vcc, exec
	v_mov_b32_e32 v20, 0
	s_or_b64 s[4:5], s[4:5], s[8:9]
	s_or_b64 exec, exec, s[6:7]
	s_and_saveexec_b64 s[6:7], s[4:5]
	s_cbranch_execnz .LBB53_531
	s_branch .LBB53_532
.LBB53_2581:
	s_movk_i32 s4, 0x80
	v_cmp_eq_u16_e32 vcc, s4, v21
	s_mov_b64 s[4:5], -1
                                        ; implicit-def: $sgpr10
	s_and_saveexec_b64 s[8:9], vcc
; %bb.2582:
	s_mov_b32 s10, 0x7f800001
	s_xor_b64 s[4:5], exec, -1
; %bb.2583:
	s_or_b64 exec, exec, s[8:9]
	s_and_b64 s[4:5], s[4:5], exec
                                        ; implicit-def: $vgpr21
	s_or_saveexec_b64 s[6:7], s[6:7]
	v_mov_b32_e32 v22, s10
	s_xor_b64 exec, exec, s[6:7]
	s_cbranch_execz .LBB53_534
.LBB53_2584:
	v_cmp_ne_u16_e32 vcc, 0, v21
	s_andn2_b64 s[4:5], s[4:5], exec
	s_and_b64 s[8:9], vcc, exec
	v_mov_b32_e32 v22, 0
	s_or_b64 s[4:5], s[4:5], s[8:9]
	s_or_b64 exec, exec, s[6:7]
	s_and_saveexec_b64 s[6:7], s[4:5]
	s_cbranch_execnz .LBB53_535
	s_branch .LBB53_536
.LBB53_2585:
	s_movk_i32 s4, 0x80
	v_cmp_eq_u16_sdwa s[12:13], v14, s4 src0_sel:BYTE_3 src1_sel:DWORD
	s_mov_b64 s[4:5], -1
                                        ; implicit-def: $sgpr10
	s_and_saveexec_b64 s[8:9], s[12:13]
; %bb.2586:
	s_mov_b32 s10, 0x7f800001
	s_xor_b64 s[4:5], exec, -1
; %bb.2587:
	s_or_b64 exec, exec, s[8:9]
	s_and_b64 s[4:5], s[4:5], exec
	s_or_saveexec_b64 s[6:7], s[6:7]
	v_mov_b32_e32 v20, s10
	s_xor_b64 exec, exec, s[6:7]
	s_cbranch_execz .LBB53_538
.LBB53_2588:
	v_mov_b32_e32 v20, 0
	v_cmp_ne_u16_sdwa s[8:9], v14, v20 src0_sel:BYTE_3 src1_sel:DWORD
	s_andn2_b64 s[4:5], s[4:5], exec
	s_and_b64 s[8:9], s[8:9], exec
	s_or_b64 s[4:5], s[4:5], s[8:9]
	s_or_b64 exec, exec, s[6:7]
	s_and_saveexec_b64 s[6:7], s[4:5]
	s_cbranch_execnz .LBB53_539
	s_branch .LBB53_540
.LBB53_2589:
	s_movk_i32 s4, 0x80
	v_cmp_eq_u16_sdwa s[12:13], v10, s4 src0_sel:BYTE_3 src1_sel:DWORD
	s_mov_b64 s[4:5], -1
                                        ; implicit-def: $sgpr10
	s_and_saveexec_b64 s[8:9], s[12:13]
; %bb.2590:
	s_mov_b32 s10, 0x7f800001
	s_xor_b64 s[4:5], exec, -1
; %bb.2591:
	s_or_b64 exec, exec, s[8:9]
	s_and_b64 s[4:5], s[4:5], exec
	s_or_saveexec_b64 s[6:7], s[6:7]
	v_mov_b32_e32 v14, s10
	s_xor_b64 exec, exec, s[6:7]
	s_cbranch_execz .LBB53_542
.LBB53_2592:
	v_mov_b32_e32 v14, 0
	v_cmp_ne_u16_sdwa s[8:9], v10, v14 src0_sel:BYTE_3 src1_sel:DWORD
	s_andn2_b64 s[4:5], s[4:5], exec
	s_and_b64 s[8:9], s[8:9], exec
	s_or_b64 s[4:5], s[4:5], s[8:9]
	s_or_b64 exec, exec, s[6:7]
	s_and_saveexec_b64 s[6:7], s[4:5]
	s_cbranch_execnz .LBB53_543
	s_branch .LBB53_544
.LBB53_2593:
	s_movk_i32 s4, 0x80
	v_cmp_eq_u16_sdwa s[12:13], v15, s4 src0_sel:BYTE_0 src1_sel:DWORD
	s_mov_b64 s[4:5], -1
                                        ; implicit-def: $sgpr10
	s_and_saveexec_b64 s[8:9], s[12:13]
; %bb.2594:
	s_mov_b32 s10, 0x7f800001
	s_xor_b64 s[4:5], exec, -1
; %bb.2595:
	s_or_b64 exec, exec, s[8:9]
	s_and_b64 s[4:5], s[4:5], exec
	s_or_saveexec_b64 s[6:7], s[6:7]
	v_mov_b32_e32 v10, s10
	s_xor_b64 exec, exec, s[6:7]
	s_cbranch_execz .LBB53_546
.LBB53_2596:
	v_mov_b32_e32 v10, 0
	v_cmp_ne_u16_sdwa s[8:9], v15, v10 src0_sel:BYTE_0 src1_sel:DWORD
	s_andn2_b64 s[4:5], s[4:5], exec
	s_and_b64 s[8:9], s[8:9], exec
	s_or_b64 s[4:5], s[4:5], s[8:9]
	s_or_b64 exec, exec, s[6:7]
	s_and_saveexec_b64 s[6:7], s[4:5]
	s_cbranch_execnz .LBB53_547
	s_branch .LBB53_548
.LBB53_2597:
	s_movk_i32 s4, 0x80
	v_cmp_eq_u16_sdwa s[12:13], v11, s4 src0_sel:BYTE_0 src1_sel:DWORD
	s_mov_b64 s[4:5], -1
                                        ; implicit-def: $sgpr10
	s_and_saveexec_b64 s[8:9], s[12:13]
; %bb.2598:
	s_mov_b32 s10, 0x7f800001
	s_xor_b64 s[4:5], exec, -1
; %bb.2599:
	s_or_b64 exec, exec, s[8:9]
	s_and_b64 s[4:5], s[4:5], exec
	s_or_saveexec_b64 s[6:7], s[6:7]
	v_mov_b32_e32 v14, s10
	s_xor_b64 exec, exec, s[6:7]
	s_cbranch_execz .LBB53_550
.LBB53_2600:
	v_mov_b32_e32 v14, 0
	v_cmp_ne_u16_sdwa s[8:9], v11, v14 src0_sel:BYTE_0 src1_sel:DWORD
	s_andn2_b64 s[4:5], s[4:5], exec
	s_and_b64 s[8:9], s[8:9], exec
	s_or_b64 s[4:5], s[4:5], s[8:9]
	s_or_b64 exec, exec, s[6:7]
	s_and_saveexec_b64 s[6:7], s[4:5]
	s_cbranch_execnz .LBB53_551
	s_branch .LBB53_552
.LBB53_2601:
	s_movk_i32 s4, 0x80
	v_cmp_eq_u16_sdwa s[12:13], v14, s4 src0_sel:BYTE_0 src1_sel:DWORD
	s_mov_b64 s[4:5], -1
                                        ; implicit-def: $sgpr10
	s_and_saveexec_b64 s[8:9], s[12:13]
; %bb.2602:
	s_mov_b32 s10, 0x7f800001
	s_xor_b64 s[4:5], exec, -1
; %bb.2603:
	s_or_b64 exec, exec, s[8:9]
	s_and_b64 s[4:5], s[4:5], exec
	s_or_saveexec_b64 s[6:7], s[6:7]
	v_mov_b32_e32 v10, s10
	s_xor_b64 exec, exec, s[6:7]
	s_cbranch_execz .LBB53_554
.LBB53_2604:
	v_mov_b32_e32 v10, 0
	v_cmp_ne_u16_sdwa s[8:9], v14, v10 src0_sel:BYTE_0 src1_sel:DWORD
	s_andn2_b64 s[4:5], s[4:5], exec
	s_and_b64 s[8:9], s[8:9], exec
	s_or_b64 s[4:5], s[4:5], s[8:9]
	s_or_b64 exec, exec, s[6:7]
	s_and_saveexec_b64 s[6:7], s[4:5]
	s_cbranch_execnz .LBB53_555
	s_branch .LBB53_556
.LBB53_2605:
	s_movk_i32 s4, 0x80
	v_cmp_eq_u16_sdwa s[12:13], v14, s4 src0_sel:BYTE_0 src1_sel:DWORD
	s_mov_b64 s[4:5], -1
                                        ; implicit-def: $sgpr10
	s_and_saveexec_b64 s[8:9], s[12:13]
; %bb.2606:
	s_mov_b32 s10, 0x7f800001
	s_xor_b64 s[4:5], exec, -1
; %bb.2607:
	s_or_b64 exec, exec, s[8:9]
	s_and_b64 s[4:5], s[4:5], exec
	s_or_saveexec_b64 s[6:7], s[6:7]
	v_mov_b32_e32 v20, s10
	s_xor_b64 exec, exec, s[6:7]
	s_cbranch_execz .LBB53_558
.LBB53_2608:
	v_mov_b32_e32 v20, 0
	v_cmp_ne_u16_sdwa s[8:9], v14, v20 src0_sel:BYTE_0 src1_sel:DWORD
	s_andn2_b64 s[4:5], s[4:5], exec
	s_and_b64 s[8:9], s[8:9], exec
	s_or_b64 s[4:5], s[4:5], s[8:9]
	s_or_b64 exec, exec, s[6:7]
	s_and_saveexec_b64 s[6:7], s[4:5]
	s_cbranch_execnz .LBB53_559
	s_branch .LBB53_560
.LBB53_2609:
	s_movk_i32 s4, 0x80
	v_cmp_eq_u16_e32 vcc, s4, v14
	s_mov_b64 s[4:5], -1
                                        ; implicit-def: $sgpr10
	s_and_saveexec_b64 s[8:9], vcc
; %bb.2610:
	s_mov_b32 s10, 0x7f800001
	s_xor_b64 s[4:5], exec, -1
; %bb.2611:
	s_or_b64 exec, exec, s[8:9]
	s_and_b64 s[4:5], s[4:5], exec
                                        ; implicit-def: $vgpr14
	s_or_saveexec_b64 s[6:7], s[6:7]
	v_mov_b32_e32 v10, s10
	s_xor_b64 exec, exec, s[6:7]
	s_cbranch_execz .LBB53_562
.LBB53_2612:
	v_cmp_ne_u16_e32 vcc, 0, v14
	s_andn2_b64 s[4:5], s[4:5], exec
	s_and_b64 s[8:9], vcc, exec
	v_mov_b32_e32 v10, 0
	s_or_b64 s[4:5], s[4:5], s[8:9]
	s_or_b64 exec, exec, s[6:7]
	s_and_saveexec_b64 s[6:7], s[4:5]
	s_cbranch_execnz .LBB53_563
	s_branch .LBB53_564
.LBB53_2613:
	s_movk_i32 s4, 0x80
	v_cmp_eq_u16_e32 vcc, s4, v14
	s_mov_b64 s[4:5], -1
                                        ; implicit-def: $sgpr10
	s_and_saveexec_b64 s[8:9], vcc
; %bb.2614:
	s_mov_b32 s10, 0x7f800001
	s_xor_b64 s[4:5], exec, -1
; %bb.2615:
	s_or_b64 exec, exec, s[8:9]
	s_and_b64 s[4:5], s[4:5], exec
                                        ; implicit-def: $vgpr14
	s_or_saveexec_b64 s[6:7], s[6:7]
	v_mov_b32_e32 v20, s10
	s_xor_b64 exec, exec, s[6:7]
	s_cbranch_execz .LBB53_566
.LBB53_2616:
	v_cmp_ne_u16_e32 vcc, 0, v14
	s_andn2_b64 s[4:5], s[4:5], exec
	s_and_b64 s[8:9], vcc, exec
	v_mov_b32_e32 v20, 0
	s_or_b64 s[4:5], s[4:5], s[8:9]
	s_or_b64 exec, exec, s[6:7]
	s_and_saveexec_b64 s[6:7], s[4:5]
	s_cbranch_execnz .LBB53_567
	s_branch .LBB53_568
.LBB53_2617:
	s_movk_i32 s4, 0x80
	v_cmp_eq_u16_sdwa s[12:13], v15, s4 src0_sel:BYTE_3 src1_sel:DWORD
	s_mov_b64 s[4:5], -1
                                        ; implicit-def: $sgpr10
	s_and_saveexec_b64 s[8:9], s[12:13]
; %bb.2618:
	s_mov_b32 s10, 0x7f800001
	s_xor_b64 s[4:5], exec, -1
; %bb.2619:
	s_or_b64 exec, exec, s[8:9]
	s_and_b64 s[4:5], s[4:5], exec
	s_or_saveexec_b64 s[6:7], s[6:7]
	v_mov_b32_e32 v10, s10
	s_xor_b64 exec, exec, s[6:7]
	s_cbranch_execz .LBB53_570
.LBB53_2620:
	v_mov_b32_e32 v10, 0
	v_cmp_ne_u16_sdwa s[8:9], v15, v10 src0_sel:BYTE_3 src1_sel:DWORD
	s_andn2_b64 s[4:5], s[4:5], exec
	s_and_b64 s[8:9], s[8:9], exec
	s_or_b64 s[4:5], s[4:5], s[8:9]
	s_or_b64 exec, exec, s[6:7]
	s_and_saveexec_b64 s[6:7], s[4:5]
	s_cbranch_execnz .LBB53_571
	s_branch .LBB53_572
.LBB53_2621:
	s_movk_i32 s4, 0x80
	v_cmp_eq_u16_sdwa s[12:13], v11, s4 src0_sel:BYTE_3 src1_sel:DWORD
	s_mov_b64 s[4:5], -1
                                        ; implicit-def: $sgpr10
	s_and_saveexec_b64 s[8:9], s[12:13]
; %bb.2622:
	s_mov_b32 s10, 0x7f800001
	s_xor_b64 s[4:5], exec, -1
; %bb.2623:
	s_or_b64 exec, exec, s[8:9]
	s_and_b64 s[4:5], s[4:5], exec
	s_or_saveexec_b64 s[6:7], s[6:7]
	v_mov_b32_e32 v14, s10
	s_xor_b64 exec, exec, s[6:7]
	s_cbranch_execz .LBB53_574
.LBB53_2624:
	v_mov_b32_e32 v14, 0
	v_cmp_ne_u16_sdwa s[8:9], v11, v14 src0_sel:BYTE_3 src1_sel:DWORD
	s_andn2_b64 s[4:5], s[4:5], exec
	s_and_b64 s[8:9], s[8:9], exec
	s_or_b64 s[4:5], s[4:5], s[8:9]
	s_or_b64 exec, exec, s[6:7]
	s_and_saveexec_b64 s[6:7], s[4:5]
	s_cbranch_execnz .LBB53_575
	s_branch .LBB53_576
.LBB53_2625:
	s_movk_i32 s4, 0x80
	v_cmp_eq_u16_sdwa s[12:13], v16, s4 src0_sel:BYTE_0 src1_sel:DWORD
	s_mov_b64 s[4:5], -1
                                        ; implicit-def: $sgpr10
	s_and_saveexec_b64 s[8:9], s[12:13]
; %bb.2626:
	s_mov_b32 s10, 0x7f800001
	s_xor_b64 s[4:5], exec, -1
; %bb.2627:
	s_or_b64 exec, exec, s[8:9]
	s_and_b64 s[4:5], s[4:5], exec
	s_or_saveexec_b64 s[6:7], s[6:7]
	v_mov_b32_e32 v10, s10
	s_xor_b64 exec, exec, s[6:7]
	s_cbranch_execz .LBB53_578
.LBB53_2628:
	v_mov_b32_e32 v10, 0
	v_cmp_ne_u16_sdwa s[8:9], v16, v10 src0_sel:BYTE_0 src1_sel:DWORD
	s_andn2_b64 s[4:5], s[4:5], exec
	s_and_b64 s[8:9], s[8:9], exec
	s_or_b64 s[4:5], s[4:5], s[8:9]
	s_or_b64 exec, exec, s[6:7]
	s_and_saveexec_b64 s[6:7], s[4:5]
	s_cbranch_execnz .LBB53_579
	s_branch .LBB53_580
.LBB53_2629:
	s_movk_i32 s4, 0x80
	v_cmp_eq_u16_sdwa s[12:13], v12, s4 src0_sel:BYTE_0 src1_sel:DWORD
	s_mov_b64 s[4:5], -1
                                        ; implicit-def: $sgpr10
	s_and_saveexec_b64 s[8:9], s[12:13]
; %bb.2630:
	s_mov_b32 s10, 0x7f800001
	s_xor_b64 s[4:5], exec, -1
; %bb.2631:
	s_or_b64 exec, exec, s[8:9]
	s_and_b64 s[4:5], s[4:5], exec
	s_or_saveexec_b64 s[6:7], s[6:7]
	v_mov_b32_e32 v11, s10
	s_xor_b64 exec, exec, s[6:7]
	s_cbranch_execz .LBB53_582
.LBB53_2632:
	v_mov_b32_e32 v11, 0
	v_cmp_ne_u16_sdwa s[8:9], v12, v11 src0_sel:BYTE_0 src1_sel:DWORD
	s_andn2_b64 s[4:5], s[4:5], exec
	s_and_b64 s[8:9], s[8:9], exec
	s_or_b64 s[4:5], s[4:5], s[8:9]
	s_or_b64 exec, exec, s[6:7]
	s_and_saveexec_b64 s[6:7], s[4:5]
	s_cbranch_execnz .LBB53_583
	s_branch .LBB53_584
.LBB53_2633:
	s_movk_i32 s4, 0x80
	v_cmp_eq_u16_sdwa s[12:13], v11, s4 src0_sel:BYTE_0 src1_sel:DWORD
	s_mov_b64 s[4:5], -1
                                        ; implicit-def: $sgpr10
	s_and_saveexec_b64 s[8:9], s[12:13]
; %bb.2634:
	s_mov_b32 s10, 0x7f800001
	s_xor_b64 s[4:5], exec, -1
; %bb.2635:
	s_or_b64 exec, exec, s[8:9]
	s_and_b64 s[4:5], s[4:5], exec
	s_or_saveexec_b64 s[6:7], s[6:7]
	v_mov_b32_e32 v10, s10
	s_xor_b64 exec, exec, s[6:7]
	s_cbranch_execz .LBB53_586
.LBB53_2636:
	v_mov_b32_e32 v10, 0
	v_cmp_ne_u16_sdwa s[8:9], v11, v10 src0_sel:BYTE_0 src1_sel:DWORD
	s_andn2_b64 s[4:5], s[4:5], exec
	s_and_b64 s[8:9], s[8:9], exec
	s_or_b64 s[4:5], s[4:5], s[8:9]
	s_or_b64 exec, exec, s[6:7]
	s_and_saveexec_b64 s[6:7], s[4:5]
	s_cbranch_execnz .LBB53_587
	s_branch .LBB53_588
.LBB53_2637:
	s_movk_i32 s4, 0x80
	v_cmp_eq_u16_sdwa s[12:13], v11, s4 src0_sel:BYTE_0 src1_sel:DWORD
	s_mov_b64 s[4:5], -1
                                        ; implicit-def: $sgpr10
	s_and_saveexec_b64 s[8:9], s[12:13]
; %bb.2638:
	s_mov_b32 s10, 0x7f800001
	s_xor_b64 s[4:5], exec, -1
; %bb.2639:
	s_or_b64 exec, exec, s[8:9]
	s_and_b64 s[4:5], s[4:5], exec
	s_or_saveexec_b64 s[6:7], s[6:7]
	v_mov_b32_e32 v14, s10
	s_xor_b64 exec, exec, s[6:7]
	s_cbranch_execz .LBB53_590
.LBB53_2640:
	v_mov_b32_e32 v14, 0
	v_cmp_ne_u16_sdwa s[8:9], v11, v14 src0_sel:BYTE_0 src1_sel:DWORD
	s_andn2_b64 s[4:5], s[4:5], exec
	s_and_b64 s[8:9], s[8:9], exec
	s_or_b64 s[4:5], s[4:5], s[8:9]
	s_or_b64 exec, exec, s[6:7]
	s_and_saveexec_b64 s[6:7], s[4:5]
	s_cbranch_execnz .LBB53_591
	s_branch .LBB53_592
.LBB53_2641:
	s_movk_i32 s4, 0x80
	v_cmp_eq_u16_e32 vcc, s4, v11
	s_mov_b64 s[4:5], -1
                                        ; implicit-def: $sgpr10
	s_and_saveexec_b64 s[8:9], vcc
; %bb.2642:
	s_mov_b32 s10, 0x7f800001
	s_xor_b64 s[4:5], exec, -1
; %bb.2643:
	s_or_b64 exec, exec, s[8:9]
	s_and_b64 s[4:5], s[4:5], exec
                                        ; implicit-def: $vgpr11
	s_or_saveexec_b64 s[6:7], s[6:7]
	v_mov_b32_e32 v10, s10
	s_xor_b64 exec, exec, s[6:7]
	s_cbranch_execz .LBB53_594
.LBB53_2644:
	v_cmp_ne_u16_e32 vcc, 0, v11
	s_andn2_b64 s[4:5], s[4:5], exec
	s_and_b64 s[8:9], vcc, exec
	v_mov_b32_e32 v10, 0
	s_or_b64 s[4:5], s[4:5], s[8:9]
	s_or_b64 exec, exec, s[6:7]
	s_and_saveexec_b64 s[6:7], s[4:5]
	s_cbranch_execnz .LBB53_595
	s_branch .LBB53_596
.LBB53_2645:
	s_movk_i32 s4, 0x80
	v_cmp_eq_u16_e32 vcc, s4, v11
	s_mov_b64 s[4:5], -1
                                        ; implicit-def: $sgpr10
	s_and_saveexec_b64 s[8:9], vcc
; %bb.2646:
	s_mov_b32 s10, 0x7f800001
	s_xor_b64 s[4:5], exec, -1
; %bb.2647:
	s_or_b64 exec, exec, s[8:9]
	s_and_b64 s[4:5], s[4:5], exec
                                        ; implicit-def: $vgpr11
	s_or_saveexec_b64 s[6:7], s[6:7]
	v_mov_b32_e32 v14, s10
	s_xor_b64 exec, exec, s[6:7]
	s_cbranch_execz .LBB53_598
.LBB53_2648:
	v_cmp_ne_u16_e32 vcc, 0, v11
	s_andn2_b64 s[4:5], s[4:5], exec
	s_and_b64 s[8:9], vcc, exec
	v_mov_b32_e32 v14, 0
	s_or_b64 s[4:5], s[4:5], s[8:9]
	s_or_b64 exec, exec, s[6:7]
	s_and_saveexec_b64 s[6:7], s[4:5]
	s_cbranch_execnz .LBB53_599
	s_branch .LBB53_600
.LBB53_2649:
	s_movk_i32 s4, 0x80
	v_cmp_eq_u16_sdwa s[12:13], v16, s4 src0_sel:BYTE_3 src1_sel:DWORD
	s_mov_b64 s[4:5], -1
                                        ; implicit-def: $sgpr10
	s_and_saveexec_b64 s[8:9], s[12:13]
; %bb.2650:
	s_mov_b32 s10, 0x7f800001
	s_xor_b64 s[4:5], exec, -1
; %bb.2651:
	s_or_b64 exec, exec, s[8:9]
	s_and_b64 s[4:5], s[4:5], exec
	s_or_saveexec_b64 s[6:7], s[6:7]
	v_mov_b32_e32 v10, s10
	s_xor_b64 exec, exec, s[6:7]
	s_cbranch_execz .LBB53_602
.LBB53_2652:
	v_mov_b32_e32 v10, 0
	v_cmp_ne_u16_sdwa s[8:9], v16, v10 src0_sel:BYTE_3 src1_sel:DWORD
	s_andn2_b64 s[4:5], s[4:5], exec
	s_and_b64 s[8:9], s[8:9], exec
	s_or_b64 s[4:5], s[4:5], s[8:9]
	s_or_b64 exec, exec, s[6:7]
	s_and_saveexec_b64 s[6:7], s[4:5]
	s_cbranch_execnz .LBB53_603
	s_branch .LBB53_604
.LBB53_2653:
	s_movk_i32 s4, 0x80
	v_cmp_eq_u16_sdwa s[12:13], v12, s4 src0_sel:BYTE_3 src1_sel:DWORD
	s_mov_b64 s[4:5], -1
                                        ; implicit-def: $sgpr10
	s_and_saveexec_b64 s[8:9], s[12:13]
; %bb.2654:
	s_mov_b32 s10, 0x7f800001
	s_xor_b64 s[4:5], exec, -1
; %bb.2655:
	s_or_b64 exec, exec, s[8:9]
	s_and_b64 s[4:5], s[4:5], exec
	s_or_saveexec_b64 s[6:7], s[6:7]
	v_mov_b32_e32 v11, s10
	s_xor_b64 exec, exec, s[6:7]
	s_cbranch_execz .LBB53_606
.LBB53_2656:
	v_mov_b32_e32 v11, 0
	v_cmp_ne_u16_sdwa s[8:9], v12, v11 src0_sel:BYTE_3 src1_sel:DWORD
	s_andn2_b64 s[4:5], s[4:5], exec
	s_and_b64 s[8:9], s[8:9], exec
	s_or_b64 s[4:5], s[4:5], s[8:9]
	s_or_b64 exec, exec, s[6:7]
	s_and_saveexec_b64 s[6:7], s[4:5]
	s_cbranch_execnz .LBB53_607
	s_branch .LBB53_608
.LBB53_2657:
	s_movk_i32 s4, 0x80
	v_cmp_eq_u16_sdwa s[12:13], v17, s4 src0_sel:BYTE_0 src1_sel:DWORD
	s_mov_b64 s[4:5], -1
                                        ; implicit-def: $sgpr10
	s_and_saveexec_b64 s[8:9], s[12:13]
; %bb.2658:
	s_mov_b32 s10, 0x7f800001
	s_xor_b64 s[4:5], exec, -1
; %bb.2659:
	s_or_b64 exec, exec, s[8:9]
	s_and_b64 s[4:5], s[4:5], exec
	s_or_saveexec_b64 s[6:7], s[6:7]
	v_mov_b32_e32 v10, s10
	s_xor_b64 exec, exec, s[6:7]
	s_cbranch_execz .LBB53_610
.LBB53_2660:
	v_mov_b32_e32 v10, 0
	v_cmp_ne_u16_sdwa s[8:9], v17, v10 src0_sel:BYTE_0 src1_sel:DWORD
	s_andn2_b64 s[4:5], s[4:5], exec
	s_and_b64 s[8:9], s[8:9], exec
	s_or_b64 s[4:5], s[4:5], s[8:9]
	s_or_b64 exec, exec, s[6:7]
	s_and_saveexec_b64 s[6:7], s[4:5]
	s_cbranch_execnz .LBB53_611
	s_branch .LBB53_612
.LBB53_2661:
	s_movk_i32 s4, 0x80
	v_cmp_eq_u16_sdwa s[12:13], v13, s4 src0_sel:BYTE_0 src1_sel:DWORD
	s_mov_b64 s[4:5], -1
                                        ; implicit-def: $sgpr10
	s_and_saveexec_b64 s[8:9], s[12:13]
; %bb.2662:
	s_mov_b32 s10, 0x7f800001
	s_xor_b64 s[4:5], exec, -1
; %bb.2663:
	s_or_b64 exec, exec, s[8:9]
	s_and_b64 s[4:5], s[4:5], exec
	s_or_saveexec_b64 s[6:7], s[6:7]
	v_mov_b32_e32 v11, s10
	s_xor_b64 exec, exec, s[6:7]
	s_cbranch_execz .LBB53_614
.LBB53_2664:
	v_mov_b32_e32 v11, 0
	v_cmp_ne_u16_sdwa s[8:9], v13, v11 src0_sel:BYTE_0 src1_sel:DWORD
	s_andn2_b64 s[4:5], s[4:5], exec
	s_and_b64 s[8:9], s[8:9], exec
	s_or_b64 s[4:5], s[4:5], s[8:9]
	s_or_b64 exec, exec, s[6:7]
	s_and_saveexec_b64 s[6:7], s[4:5]
	s_cbranch_execnz .LBB53_615
	s_branch .LBB53_616
.LBB53_2665:
	s_movk_i32 s4, 0x80
	v_cmp_eq_u16_sdwa s[12:13], v11, s4 src0_sel:BYTE_0 src1_sel:DWORD
	s_mov_b64 s[4:5], -1
                                        ; implicit-def: $sgpr10
	s_and_saveexec_b64 s[8:9], s[12:13]
; %bb.2666:
	s_mov_b32 s10, 0x7f800001
	s_xor_b64 s[4:5], exec, -1
; %bb.2667:
	s_or_b64 exec, exec, s[8:9]
	s_and_b64 s[4:5], s[4:5], exec
	s_or_saveexec_b64 s[6:7], s[6:7]
	v_mov_b32_e32 v10, s10
	s_xor_b64 exec, exec, s[6:7]
	s_cbranch_execz .LBB53_618
.LBB53_2668:
	v_mov_b32_e32 v10, 0
	v_cmp_ne_u16_sdwa s[8:9], v11, v10 src0_sel:BYTE_0 src1_sel:DWORD
	s_andn2_b64 s[4:5], s[4:5], exec
	s_and_b64 s[8:9], s[8:9], exec
	s_or_b64 s[4:5], s[4:5], s[8:9]
	s_or_b64 exec, exec, s[6:7]
	s_and_saveexec_b64 s[6:7], s[4:5]
	s_cbranch_execnz .LBB53_619
	s_branch .LBB53_620
.LBB53_2669:
	s_movk_i32 s4, 0x80
	v_cmp_eq_u16_sdwa s[12:13], v11, s4 src0_sel:BYTE_0 src1_sel:DWORD
	s_mov_b64 s[4:5], -1
                                        ; implicit-def: $sgpr10
	s_and_saveexec_b64 s[8:9], s[12:13]
; %bb.2670:
	s_mov_b32 s10, 0x7f800001
	s_xor_b64 s[4:5], exec, -1
; %bb.2671:
	s_or_b64 exec, exec, s[8:9]
	s_and_b64 s[4:5], s[4:5], exec
	s_or_saveexec_b64 s[6:7], s[6:7]
	v_mov_b32_e32 v12, s10
	s_xor_b64 exec, exec, s[6:7]
	s_cbranch_execz .LBB53_622
.LBB53_2672:
	v_mov_b32_e32 v12, 0
	v_cmp_ne_u16_sdwa s[8:9], v11, v12 src0_sel:BYTE_0 src1_sel:DWORD
	s_andn2_b64 s[4:5], s[4:5], exec
	s_and_b64 s[8:9], s[8:9], exec
	s_or_b64 s[4:5], s[4:5], s[8:9]
	s_or_b64 exec, exec, s[6:7]
	s_and_saveexec_b64 s[6:7], s[4:5]
	s_cbranch_execnz .LBB53_623
	s_branch .LBB53_624
.LBB53_2673:
	s_movk_i32 s4, 0x80
	v_cmp_eq_u16_e32 vcc, s4, v11
	s_mov_b64 s[4:5], -1
                                        ; implicit-def: $sgpr10
	s_and_saveexec_b64 s[8:9], vcc
; %bb.2674:
	s_mov_b32 s10, 0x7f800001
	s_xor_b64 s[4:5], exec, -1
; %bb.2675:
	s_or_b64 exec, exec, s[8:9]
	s_and_b64 s[4:5], s[4:5], exec
                                        ; implicit-def: $vgpr11
	s_or_saveexec_b64 s[6:7], s[6:7]
	v_mov_b32_e32 v10, s10
	s_xor_b64 exec, exec, s[6:7]
	s_cbranch_execz .LBB53_626
.LBB53_2676:
	v_cmp_ne_u16_e32 vcc, 0, v11
	s_andn2_b64 s[4:5], s[4:5], exec
	s_and_b64 s[8:9], vcc, exec
	v_mov_b32_e32 v10, 0
	s_or_b64 s[4:5], s[4:5], s[8:9]
	s_or_b64 exec, exec, s[6:7]
	s_and_saveexec_b64 s[6:7], s[4:5]
	s_cbranch_execnz .LBB53_627
	s_branch .LBB53_628
.LBB53_2677:
	s_movk_i32 s4, 0x80
	v_cmp_eq_u16_e32 vcc, s4, v11
	s_mov_b64 s[4:5], -1
                                        ; implicit-def: $sgpr10
	s_and_saveexec_b64 s[8:9], vcc
; %bb.2678:
	s_mov_b32 s10, 0x7f800001
	s_xor_b64 s[4:5], exec, -1
; %bb.2679:
	s_or_b64 exec, exec, s[8:9]
	s_and_b64 s[4:5], s[4:5], exec
                                        ; implicit-def: $vgpr11
	s_or_saveexec_b64 s[6:7], s[6:7]
	v_mov_b32_e32 v12, s10
	s_xor_b64 exec, exec, s[6:7]
	s_cbranch_execz .LBB53_630
.LBB53_2680:
	v_cmp_ne_u16_e32 vcc, 0, v11
	s_andn2_b64 s[4:5], s[4:5], exec
	s_and_b64 s[8:9], vcc, exec
	v_mov_b32_e32 v12, 0
	s_or_b64 s[4:5], s[4:5], s[8:9]
	s_or_b64 exec, exec, s[6:7]
	s_and_saveexec_b64 s[6:7], s[4:5]
	s_cbranch_execnz .LBB53_631
	s_branch .LBB53_632
.LBB53_2681:
	s_movk_i32 s4, 0x80
	v_cmp_eq_u16_sdwa s[12:13], v17, s4 src0_sel:BYTE_3 src1_sel:DWORD
	s_mov_b64 s[4:5], -1
                                        ; implicit-def: $sgpr10
	s_and_saveexec_b64 s[8:9], s[12:13]
; %bb.2682:
	s_mov_b32 s10, 0x7f800001
	s_xor_b64 s[4:5], exec, -1
; %bb.2683:
	s_or_b64 exec, exec, s[8:9]
	s_and_b64 s[4:5], s[4:5], exec
	s_or_saveexec_b64 s[6:7], s[6:7]
	v_mov_b32_e32 v10, s10
	s_xor_b64 exec, exec, s[6:7]
	s_cbranch_execz .LBB53_634
.LBB53_2684:
	v_mov_b32_e32 v10, 0
	v_cmp_ne_u16_sdwa s[8:9], v17, v10 src0_sel:BYTE_3 src1_sel:DWORD
	s_andn2_b64 s[4:5], s[4:5], exec
	s_and_b64 s[8:9], s[8:9], exec
	s_or_b64 s[4:5], s[4:5], s[8:9]
	s_or_b64 exec, exec, s[6:7]
	s_and_saveexec_b64 s[6:7], s[4:5]
	s_cbranch_execnz .LBB53_635
	s_branch .LBB53_636
.LBB53_2685:
	s_movk_i32 s4, 0x80
	v_cmp_eq_u16_sdwa s[12:13], v13, s4 src0_sel:BYTE_3 src1_sel:DWORD
	s_mov_b64 s[4:5], -1
                                        ; implicit-def: $sgpr10
	s_and_saveexec_b64 s[8:9], s[12:13]
; %bb.2686:
	s_mov_b32 s10, 0x7f800001
	s_xor_b64 s[4:5], exec, -1
; %bb.2687:
	s_or_b64 exec, exec, s[8:9]
	s_and_b64 s[4:5], s[4:5], exec
	s_or_saveexec_b64 s[6:7], s[6:7]
	v_mov_b32_e32 v11, s10
	s_xor_b64 exec, exec, s[6:7]
	s_cbranch_execz .LBB53_638
.LBB53_2688:
	v_mov_b32_e32 v11, 0
	v_cmp_ne_u16_sdwa s[8:9], v13, v11 src0_sel:BYTE_3 src1_sel:DWORD
	s_andn2_b64 s[4:5], s[4:5], exec
	s_and_b64 s[8:9], s[8:9], exec
	s_or_b64 s[4:5], s[4:5], s[8:9]
	s_or_b64 exec, exec, s[6:7]
	s_and_saveexec_b64 s[6:7], s[4:5]
	s_cbranch_execnz .LBB53_639
	s_branch .LBB53_640
.LBB53_2689:
	s_movk_i32 s4, 0x80
	v_cmp_eq_u16_sdwa s[12:13], v6, s4 src0_sel:BYTE_0 src1_sel:DWORD
	s_mov_b64 s[4:5], -1
                                        ; implicit-def: $sgpr10
	s_and_saveexec_b64 s[8:9], s[12:13]
; %bb.2690:
	s_mov_b32 s10, 0x7f800001
	s_xor_b64 s[4:5], exec, -1
; %bb.2691:
	s_or_b64 exec, exec, s[8:9]
	s_and_b64 s[4:5], s[4:5], exec
	s_or_saveexec_b64 s[6:7], s[6:7]
	v_mov_b32_e32 v10, s10
	s_xor_b64 exec, exec, s[6:7]
	s_cbranch_execz .LBB53_642
.LBB53_2692:
	v_mov_b32_e32 v10, 0
	v_cmp_ne_u16_sdwa s[8:9], v6, v10 src0_sel:BYTE_0 src1_sel:DWORD
	s_andn2_b64 s[4:5], s[4:5], exec
	s_and_b64 s[8:9], s[8:9], exec
	s_or_b64 s[4:5], s[4:5], s[8:9]
	s_or_b64 exec, exec, s[6:7]
	s_and_saveexec_b64 s[6:7], s[4:5]
	s_cbranch_execnz .LBB53_643
	s_branch .LBB53_644
.LBB53_2693:
	s_movk_i32 s4, 0x80
	v_cmp_eq_u16_sdwa s[12:13], v2, s4 src0_sel:BYTE_0 src1_sel:DWORD
	s_mov_b64 s[4:5], -1
                                        ; implicit-def: $sgpr10
	s_and_saveexec_b64 s[8:9], s[12:13]
; %bb.2694:
	s_mov_b32 s10, 0x7f800001
	s_xor_b64 s[4:5], exec, -1
; %bb.2695:
	s_or_b64 exec, exec, s[8:9]
	s_and_b64 s[4:5], s[4:5], exec
	s_or_saveexec_b64 s[6:7], s[6:7]
	v_mov_b32_e32 v11, s10
	s_xor_b64 exec, exec, s[6:7]
	s_cbranch_execz .LBB53_646
.LBB53_2696:
	v_mov_b32_e32 v11, 0
	v_cmp_ne_u16_sdwa s[8:9], v2, v11 src0_sel:BYTE_0 src1_sel:DWORD
	s_andn2_b64 s[4:5], s[4:5], exec
	s_and_b64 s[8:9], s[8:9], exec
	s_or_b64 s[4:5], s[4:5], s[8:9]
	s_or_b64 exec, exec, s[6:7]
	s_and_saveexec_b64 s[6:7], s[4:5]
	s_cbranch_execnz .LBB53_647
	s_branch .LBB53_648
.LBB53_2697:
	s_movk_i32 s4, 0x80
	v_cmp_eq_u16_sdwa s[12:13], v11, s4 src0_sel:BYTE_0 src1_sel:DWORD
	s_mov_b64 s[4:5], -1
                                        ; implicit-def: $sgpr10
	s_and_saveexec_b64 s[8:9], s[12:13]
; %bb.2698:
	s_mov_b32 s10, 0x7f800001
	s_xor_b64 s[4:5], exec, -1
; %bb.2699:
	s_or_b64 exec, exec, s[8:9]
	s_and_b64 s[4:5], s[4:5], exec
	s_or_saveexec_b64 s[6:7], s[6:7]
	v_mov_b32_e32 v10, s10
	s_xor_b64 exec, exec, s[6:7]
	s_cbranch_execz .LBB53_650
.LBB53_2700:
	v_mov_b32_e32 v10, 0
	v_cmp_ne_u16_sdwa s[8:9], v11, v10 src0_sel:BYTE_0 src1_sel:DWORD
	s_andn2_b64 s[4:5], s[4:5], exec
	s_and_b64 s[8:9], s[8:9], exec
	s_or_b64 s[4:5], s[4:5], s[8:9]
	s_or_b64 exec, exec, s[6:7]
	s_and_saveexec_b64 s[6:7], s[4:5]
	s_cbranch_execnz .LBB53_651
	s_branch .LBB53_652
.LBB53_2701:
	s_movk_i32 s4, 0x80
	v_cmp_eq_u16_sdwa s[12:13], v11, s4 src0_sel:BYTE_0 src1_sel:DWORD
	s_mov_b64 s[4:5], -1
                                        ; implicit-def: $sgpr10
	s_and_saveexec_b64 s[8:9], s[12:13]
; %bb.2702:
	s_mov_b32 s10, 0x7f800001
	s_xor_b64 s[4:5], exec, -1
; %bb.2703:
	s_or_b64 exec, exec, s[8:9]
	s_and_b64 s[4:5], s[4:5], exec
	s_or_saveexec_b64 s[6:7], s[6:7]
	v_mov_b32_e32 v12, s10
	s_xor_b64 exec, exec, s[6:7]
	s_cbranch_execz .LBB53_654
.LBB53_2704:
	v_mov_b32_e32 v12, 0
	v_cmp_ne_u16_sdwa s[8:9], v11, v12 src0_sel:BYTE_0 src1_sel:DWORD
	s_andn2_b64 s[4:5], s[4:5], exec
	s_and_b64 s[8:9], s[8:9], exec
	s_or_b64 s[4:5], s[4:5], s[8:9]
	s_or_b64 exec, exec, s[6:7]
	s_and_saveexec_b64 s[6:7], s[4:5]
	s_cbranch_execnz .LBB53_655
	s_branch .LBB53_656
.LBB53_2705:
	s_movk_i32 s4, 0x80
	v_cmp_eq_u16_e32 vcc, s4, v11
	s_mov_b64 s[4:5], -1
                                        ; implicit-def: $sgpr10
	s_and_saveexec_b64 s[8:9], vcc
; %bb.2706:
	s_mov_b32 s10, 0x7f800001
	s_xor_b64 s[4:5], exec, -1
; %bb.2707:
	s_or_b64 exec, exec, s[8:9]
	s_and_b64 s[4:5], s[4:5], exec
                                        ; implicit-def: $vgpr11
	s_or_saveexec_b64 s[6:7], s[6:7]
	v_mov_b32_e32 v10, s10
	s_xor_b64 exec, exec, s[6:7]
	s_cbranch_execz .LBB53_658
.LBB53_2708:
	v_cmp_ne_u16_e32 vcc, 0, v11
	s_andn2_b64 s[4:5], s[4:5], exec
	s_and_b64 s[8:9], vcc, exec
	v_mov_b32_e32 v10, 0
	s_or_b64 s[4:5], s[4:5], s[8:9]
	s_or_b64 exec, exec, s[6:7]
	s_and_saveexec_b64 s[6:7], s[4:5]
	s_cbranch_execnz .LBB53_659
	s_branch .LBB53_660
.LBB53_2709:
	s_movk_i32 s4, 0x80
	v_cmp_eq_u16_e32 vcc, s4, v11
	s_mov_b64 s[4:5], -1
                                        ; implicit-def: $sgpr10
	s_and_saveexec_b64 s[8:9], vcc
; %bb.2710:
	s_mov_b32 s10, 0x7f800001
	s_xor_b64 s[4:5], exec, -1
; %bb.2711:
	s_or_b64 exec, exec, s[8:9]
	s_and_b64 s[4:5], s[4:5], exec
                                        ; implicit-def: $vgpr11
	s_or_saveexec_b64 s[6:7], s[6:7]
	v_mov_b32_e32 v12, s10
	s_xor_b64 exec, exec, s[6:7]
	s_cbranch_execz .LBB53_662
.LBB53_2712:
	v_cmp_ne_u16_e32 vcc, 0, v11
	s_andn2_b64 s[4:5], s[4:5], exec
	s_and_b64 s[8:9], vcc, exec
	v_mov_b32_e32 v12, 0
	s_or_b64 s[4:5], s[4:5], s[8:9]
	s_or_b64 exec, exec, s[6:7]
	s_and_saveexec_b64 s[6:7], s[4:5]
	s_cbranch_execnz .LBB53_663
	s_branch .LBB53_664
.LBB53_2713:
	s_movk_i32 s4, 0x80
	v_cmp_eq_u16_sdwa s[12:13], v6, s4 src0_sel:BYTE_3 src1_sel:DWORD
	s_mov_b64 s[4:5], -1
                                        ; implicit-def: $sgpr10
	s_and_saveexec_b64 s[8:9], s[12:13]
; %bb.2714:
	s_mov_b32 s10, 0x7f800001
	s_xor_b64 s[4:5], exec, -1
; %bb.2715:
	s_or_b64 exec, exec, s[8:9]
	s_and_b64 s[4:5], s[4:5], exec
	s_or_saveexec_b64 s[6:7], s[6:7]
	v_mov_b32_e32 v10, s10
	s_xor_b64 exec, exec, s[6:7]
	s_cbranch_execz .LBB53_666
.LBB53_2716:
	v_mov_b32_e32 v10, 0
	v_cmp_ne_u16_sdwa s[8:9], v6, v10 src0_sel:BYTE_3 src1_sel:DWORD
	s_andn2_b64 s[4:5], s[4:5], exec
	s_and_b64 s[8:9], s[8:9], exec
	s_or_b64 s[4:5], s[4:5], s[8:9]
	s_or_b64 exec, exec, s[6:7]
	s_and_saveexec_b64 s[6:7], s[4:5]
	s_cbranch_execnz .LBB53_667
	s_branch .LBB53_668
.LBB53_2717:
	s_movk_i32 s4, 0x80
	v_cmp_eq_u16_sdwa s[12:13], v2, s4 src0_sel:BYTE_3 src1_sel:DWORD
	s_mov_b64 s[4:5], -1
                                        ; implicit-def: $sgpr10
	s_and_saveexec_b64 s[8:9], s[12:13]
; %bb.2718:
	s_mov_b32 s10, 0x7f800001
	s_xor_b64 s[4:5], exec, -1
; %bb.2719:
	s_or_b64 exec, exec, s[8:9]
	s_and_b64 s[4:5], s[4:5], exec
	s_or_saveexec_b64 s[6:7], s[6:7]
	v_mov_b32_e32 v6, s10
	s_xor_b64 exec, exec, s[6:7]
	s_cbranch_execz .LBB53_670
.LBB53_2720:
	v_mov_b32_e32 v6, 0
	v_cmp_ne_u16_sdwa s[8:9], v2, v6 src0_sel:BYTE_3 src1_sel:DWORD
	s_andn2_b64 s[4:5], s[4:5], exec
	s_and_b64 s[8:9], s[8:9], exec
	s_or_b64 s[4:5], s[4:5], s[8:9]
	s_or_b64 exec, exec, s[6:7]
	s_and_saveexec_b64 s[6:7], s[4:5]
	s_cbranch_execnz .LBB53_671
	s_branch .LBB53_672
.LBB53_2721:
	s_movk_i32 s4, 0x80
	v_cmp_eq_u16_sdwa s[12:13], v7, s4 src0_sel:BYTE_0 src1_sel:DWORD
	s_mov_b64 s[4:5], -1
                                        ; implicit-def: $sgpr10
	s_and_saveexec_b64 s[8:9], s[12:13]
; %bb.2722:
	s_mov_b32 s10, 0x7f800001
	s_xor_b64 s[4:5], exec, -1
; %bb.2723:
	s_or_b64 exec, exec, s[8:9]
	s_and_b64 s[4:5], s[4:5], exec
	s_or_saveexec_b64 s[6:7], s[6:7]
	v_mov_b32_e32 v2, s10
	s_xor_b64 exec, exec, s[6:7]
	s_cbranch_execz .LBB53_674
.LBB53_2724:
	v_mov_b32_e32 v2, 0
	v_cmp_ne_u16_sdwa s[8:9], v7, v2 src0_sel:BYTE_0 src1_sel:DWORD
	s_andn2_b64 s[4:5], s[4:5], exec
	s_and_b64 s[8:9], s[8:9], exec
	s_or_b64 s[4:5], s[4:5], s[8:9]
	s_or_b64 exec, exec, s[6:7]
	s_and_saveexec_b64 s[6:7], s[4:5]
	s_cbranch_execnz .LBB53_675
	s_branch .LBB53_676
.LBB53_2725:
	s_movk_i32 s4, 0x80
	v_cmp_eq_u16_sdwa s[12:13], v3, s4 src0_sel:BYTE_0 src1_sel:DWORD
	s_mov_b64 s[4:5], -1
                                        ; implicit-def: $sgpr10
	s_and_saveexec_b64 s[8:9], s[12:13]
; %bb.2726:
	s_mov_b32 s10, 0x7f800001
	s_xor_b64 s[4:5], exec, -1
; %bb.2727:
	s_or_b64 exec, exec, s[8:9]
	s_and_b64 s[4:5], s[4:5], exec
	s_or_saveexec_b64 s[6:7], s[6:7]
	v_mov_b32_e32 v6, s10
	s_xor_b64 exec, exec, s[6:7]
	s_cbranch_execz .LBB53_678
.LBB53_2728:
	v_mov_b32_e32 v6, 0
	v_cmp_ne_u16_sdwa s[8:9], v3, v6 src0_sel:BYTE_0 src1_sel:DWORD
	s_andn2_b64 s[4:5], s[4:5], exec
	s_and_b64 s[8:9], s[8:9], exec
	s_or_b64 s[4:5], s[4:5], s[8:9]
	s_or_b64 exec, exec, s[6:7]
	s_and_saveexec_b64 s[6:7], s[4:5]
	s_cbranch_execnz .LBB53_679
	s_branch .LBB53_680
.LBB53_2729:
	s_movk_i32 s4, 0x80
	v_cmp_eq_u16_sdwa s[12:13], v6, s4 src0_sel:BYTE_0 src1_sel:DWORD
	s_mov_b64 s[4:5], -1
                                        ; implicit-def: $sgpr10
	s_and_saveexec_b64 s[8:9], s[12:13]
; %bb.2730:
	s_mov_b32 s10, 0x7f800001
	s_xor_b64 s[4:5], exec, -1
; %bb.2731:
	s_or_b64 exec, exec, s[8:9]
	s_and_b64 s[4:5], s[4:5], exec
	s_or_saveexec_b64 s[6:7], s[6:7]
	v_mov_b32_e32 v2, s10
	s_xor_b64 exec, exec, s[6:7]
	s_cbranch_execz .LBB53_682
.LBB53_2732:
	v_mov_b32_e32 v2, 0
	v_cmp_ne_u16_sdwa s[8:9], v6, v2 src0_sel:BYTE_0 src1_sel:DWORD
	s_andn2_b64 s[4:5], s[4:5], exec
	s_and_b64 s[8:9], s[8:9], exec
	s_or_b64 s[4:5], s[4:5], s[8:9]
	s_or_b64 exec, exec, s[6:7]
	s_and_saveexec_b64 s[6:7], s[4:5]
	s_cbranch_execnz .LBB53_683
	s_branch .LBB53_684
.LBB53_2733:
	s_movk_i32 s4, 0x80
	v_cmp_eq_u16_sdwa s[12:13], v6, s4 src0_sel:BYTE_0 src1_sel:DWORD
	s_mov_b64 s[4:5], -1
                                        ; implicit-def: $sgpr10
	s_and_saveexec_b64 s[8:9], s[12:13]
; %bb.2734:
	s_mov_b32 s10, 0x7f800001
	s_xor_b64 s[4:5], exec, -1
; %bb.2735:
	s_or_b64 exec, exec, s[8:9]
	s_and_b64 s[4:5], s[4:5], exec
	s_or_saveexec_b64 s[6:7], s[6:7]
	v_mov_b32_e32 v10, s10
	s_xor_b64 exec, exec, s[6:7]
	s_cbranch_execz .LBB53_686
.LBB53_2736:
	v_mov_b32_e32 v10, 0
	v_cmp_ne_u16_sdwa s[8:9], v6, v10 src0_sel:BYTE_0 src1_sel:DWORD
	s_andn2_b64 s[4:5], s[4:5], exec
	s_and_b64 s[8:9], s[8:9], exec
	s_or_b64 s[4:5], s[4:5], s[8:9]
	s_or_b64 exec, exec, s[6:7]
	s_and_saveexec_b64 s[6:7], s[4:5]
	s_cbranch_execnz .LBB53_687
	s_branch .LBB53_688
.LBB53_2737:
	s_movk_i32 s4, 0x80
	v_cmp_eq_u16_e32 vcc, s4, v6
	s_mov_b64 s[4:5], -1
                                        ; implicit-def: $sgpr10
	s_and_saveexec_b64 s[8:9], vcc
; %bb.2738:
	s_mov_b32 s10, 0x7f800001
	s_xor_b64 s[4:5], exec, -1
; %bb.2739:
	s_or_b64 exec, exec, s[8:9]
	s_and_b64 s[4:5], s[4:5], exec
                                        ; implicit-def: $vgpr6
	s_or_saveexec_b64 s[6:7], s[6:7]
	v_mov_b32_e32 v2, s10
	s_xor_b64 exec, exec, s[6:7]
	s_cbranch_execz .LBB53_690
.LBB53_2740:
	v_cmp_ne_u16_e32 vcc, 0, v6
	s_andn2_b64 s[4:5], s[4:5], exec
	s_and_b64 s[8:9], vcc, exec
	v_mov_b32_e32 v2, 0
	s_or_b64 s[4:5], s[4:5], s[8:9]
	s_or_b64 exec, exec, s[6:7]
	s_and_saveexec_b64 s[6:7], s[4:5]
	s_cbranch_execnz .LBB53_691
	s_branch .LBB53_692
.LBB53_2741:
	s_movk_i32 s4, 0x80
	v_cmp_eq_u16_e32 vcc, s4, v6
	s_mov_b64 s[4:5], -1
                                        ; implicit-def: $sgpr10
	s_and_saveexec_b64 s[8:9], vcc
; %bb.2742:
	s_mov_b32 s10, 0x7f800001
	s_xor_b64 s[4:5], exec, -1
; %bb.2743:
	s_or_b64 exec, exec, s[8:9]
	s_and_b64 s[4:5], s[4:5], exec
                                        ; implicit-def: $vgpr6
	s_or_saveexec_b64 s[6:7], s[6:7]
	v_mov_b32_e32 v10, s10
	s_xor_b64 exec, exec, s[6:7]
	s_cbranch_execz .LBB53_694
.LBB53_2744:
	v_cmp_ne_u16_e32 vcc, 0, v6
	s_andn2_b64 s[4:5], s[4:5], exec
	s_and_b64 s[8:9], vcc, exec
	v_mov_b32_e32 v10, 0
	s_or_b64 s[4:5], s[4:5], s[8:9]
	s_or_b64 exec, exec, s[6:7]
	s_and_saveexec_b64 s[6:7], s[4:5]
	s_cbranch_execnz .LBB53_695
	s_branch .LBB53_696
.LBB53_2745:
	s_movk_i32 s4, 0x80
	v_cmp_eq_u16_sdwa s[12:13], v7, s4 src0_sel:BYTE_3 src1_sel:DWORD
	s_mov_b64 s[4:5], -1
                                        ; implicit-def: $sgpr10
	s_and_saveexec_b64 s[8:9], s[12:13]
; %bb.2746:
	s_mov_b32 s10, 0x7f800001
	s_xor_b64 s[4:5], exec, -1
; %bb.2747:
	s_or_b64 exec, exec, s[8:9]
	s_and_b64 s[4:5], s[4:5], exec
	s_or_saveexec_b64 s[6:7], s[6:7]
	v_mov_b32_e32 v2, s10
	s_xor_b64 exec, exec, s[6:7]
	s_cbranch_execz .LBB53_698
.LBB53_2748:
	v_mov_b32_e32 v2, 0
	v_cmp_ne_u16_sdwa s[8:9], v7, v2 src0_sel:BYTE_3 src1_sel:DWORD
	s_andn2_b64 s[4:5], s[4:5], exec
	s_and_b64 s[8:9], s[8:9], exec
	s_or_b64 s[4:5], s[4:5], s[8:9]
	s_or_b64 exec, exec, s[6:7]
	s_and_saveexec_b64 s[6:7], s[4:5]
	s_cbranch_execnz .LBB53_699
	s_branch .LBB53_700
.LBB53_2749:
	s_movk_i32 s4, 0x80
	v_cmp_eq_u16_sdwa s[12:13], v3, s4 src0_sel:BYTE_3 src1_sel:DWORD
	s_mov_b64 s[4:5], -1
                                        ; implicit-def: $sgpr10
	s_and_saveexec_b64 s[8:9], s[12:13]
; %bb.2750:
	s_mov_b32 s10, 0x7f800001
	s_xor_b64 s[4:5], exec, -1
; %bb.2751:
	s_or_b64 exec, exec, s[8:9]
	s_and_b64 s[4:5], s[4:5], exec
	s_or_saveexec_b64 s[6:7], s[6:7]
	v_mov_b32_e32 v6, s10
	s_xor_b64 exec, exec, s[6:7]
	s_cbranch_execz .LBB53_702
.LBB53_2752:
	v_mov_b32_e32 v6, 0
	v_cmp_ne_u16_sdwa s[8:9], v3, v6 src0_sel:BYTE_3 src1_sel:DWORD
	s_andn2_b64 s[4:5], s[4:5], exec
	s_and_b64 s[8:9], s[8:9], exec
	s_or_b64 s[4:5], s[4:5], s[8:9]
	s_or_b64 exec, exec, s[6:7]
	s_and_saveexec_b64 s[6:7], s[4:5]
	s_cbranch_execnz .LBB53_703
	s_branch .LBB53_704
.LBB53_2753:
	s_movk_i32 s4, 0x80
	v_cmp_eq_u16_sdwa s[12:13], v8, s4 src0_sel:BYTE_0 src1_sel:DWORD
	s_mov_b64 s[4:5], -1
                                        ; implicit-def: $sgpr10
	s_and_saveexec_b64 s[8:9], s[12:13]
; %bb.2754:
	s_mov_b32 s10, 0x7f800001
	s_xor_b64 s[4:5], exec, -1
; %bb.2755:
	s_or_b64 exec, exec, s[8:9]
	s_and_b64 s[4:5], s[4:5], exec
	s_or_saveexec_b64 s[6:7], s[6:7]
	v_mov_b32_e32 v2, s10
	s_xor_b64 exec, exec, s[6:7]
	s_cbranch_execz .LBB53_706
.LBB53_2756:
	v_mov_b32_e32 v2, 0
	v_cmp_ne_u16_sdwa s[8:9], v8, v2 src0_sel:BYTE_0 src1_sel:DWORD
	s_andn2_b64 s[4:5], s[4:5], exec
	s_and_b64 s[8:9], s[8:9], exec
	s_or_b64 s[4:5], s[4:5], s[8:9]
	s_or_b64 exec, exec, s[6:7]
	s_and_saveexec_b64 s[6:7], s[4:5]
	s_cbranch_execnz .LBB53_707
	s_branch .LBB53_708
.LBB53_2757:
	s_movk_i32 s4, 0x80
	v_cmp_eq_u16_sdwa s[12:13], v4, s4 src0_sel:BYTE_0 src1_sel:DWORD
	s_mov_b64 s[4:5], -1
                                        ; implicit-def: $sgpr10
	s_and_saveexec_b64 s[8:9], s[12:13]
; %bb.2758:
	s_mov_b32 s10, 0x7f800001
	s_xor_b64 s[4:5], exec, -1
; %bb.2759:
	s_or_b64 exec, exec, s[8:9]
	s_and_b64 s[4:5], s[4:5], exec
	s_or_saveexec_b64 s[6:7], s[6:7]
	v_mov_b32_e32 v3, s10
	s_xor_b64 exec, exec, s[6:7]
	s_cbranch_execz .LBB53_710
.LBB53_2760:
	v_mov_b32_e32 v3, 0
	v_cmp_ne_u16_sdwa s[8:9], v4, v3 src0_sel:BYTE_0 src1_sel:DWORD
	s_andn2_b64 s[4:5], s[4:5], exec
	s_and_b64 s[8:9], s[8:9], exec
	s_or_b64 s[4:5], s[4:5], s[8:9]
	s_or_b64 exec, exec, s[6:7]
	s_and_saveexec_b64 s[6:7], s[4:5]
	s_cbranch_execnz .LBB53_711
	s_branch .LBB53_712
.LBB53_2761:
	s_movk_i32 s4, 0x80
	v_cmp_eq_u16_sdwa s[12:13], v3, s4 src0_sel:BYTE_0 src1_sel:DWORD
	s_mov_b64 s[4:5], -1
                                        ; implicit-def: $sgpr10
	s_and_saveexec_b64 s[8:9], s[12:13]
; %bb.2762:
	s_mov_b32 s10, 0x7f800001
	s_xor_b64 s[4:5], exec, -1
; %bb.2763:
	s_or_b64 exec, exec, s[8:9]
	s_and_b64 s[4:5], s[4:5], exec
	s_or_saveexec_b64 s[6:7], s[6:7]
	v_mov_b32_e32 v2, s10
	s_xor_b64 exec, exec, s[6:7]
	s_cbranch_execz .LBB53_714
.LBB53_2764:
	v_mov_b32_e32 v2, 0
	v_cmp_ne_u16_sdwa s[8:9], v3, v2 src0_sel:BYTE_0 src1_sel:DWORD
	s_andn2_b64 s[4:5], s[4:5], exec
	s_and_b64 s[8:9], s[8:9], exec
	s_or_b64 s[4:5], s[4:5], s[8:9]
	s_or_b64 exec, exec, s[6:7]
	s_and_saveexec_b64 s[6:7], s[4:5]
	s_cbranch_execnz .LBB53_715
	s_branch .LBB53_716
.LBB53_2765:
	s_movk_i32 s4, 0x80
	v_cmp_eq_u16_sdwa s[12:13], v3, s4 src0_sel:BYTE_0 src1_sel:DWORD
	s_mov_b64 s[4:5], -1
                                        ; implicit-def: $sgpr10
	s_and_saveexec_b64 s[8:9], s[12:13]
; %bb.2766:
	s_mov_b32 s10, 0x7f800001
	s_xor_b64 s[4:5], exec, -1
; %bb.2767:
	s_or_b64 exec, exec, s[8:9]
	s_and_b64 s[4:5], s[4:5], exec
	s_or_saveexec_b64 s[6:7], s[6:7]
	v_mov_b32_e32 v6, s10
	s_xor_b64 exec, exec, s[6:7]
	s_cbranch_execz .LBB53_718
.LBB53_2768:
	v_mov_b32_e32 v6, 0
	v_cmp_ne_u16_sdwa s[8:9], v3, v6 src0_sel:BYTE_0 src1_sel:DWORD
	s_andn2_b64 s[4:5], s[4:5], exec
	s_and_b64 s[8:9], s[8:9], exec
	s_or_b64 s[4:5], s[4:5], s[8:9]
	s_or_b64 exec, exec, s[6:7]
	s_and_saveexec_b64 s[6:7], s[4:5]
	s_cbranch_execnz .LBB53_719
	s_branch .LBB53_720
.LBB53_2769:
	s_movk_i32 s4, 0x80
	v_cmp_eq_u16_e32 vcc, s4, v3
	s_mov_b64 s[4:5], -1
                                        ; implicit-def: $sgpr10
	s_and_saveexec_b64 s[8:9], vcc
; %bb.2770:
	s_mov_b32 s10, 0x7f800001
	s_xor_b64 s[4:5], exec, -1
; %bb.2771:
	s_or_b64 exec, exec, s[8:9]
	s_and_b64 s[4:5], s[4:5], exec
                                        ; implicit-def: $vgpr3
	s_or_saveexec_b64 s[6:7], s[6:7]
	v_mov_b32_e32 v2, s10
	s_xor_b64 exec, exec, s[6:7]
	s_cbranch_execz .LBB53_722
.LBB53_2772:
	v_cmp_ne_u16_e32 vcc, 0, v3
	s_andn2_b64 s[4:5], s[4:5], exec
	s_and_b64 s[8:9], vcc, exec
	v_mov_b32_e32 v2, 0
	s_or_b64 s[4:5], s[4:5], s[8:9]
	s_or_b64 exec, exec, s[6:7]
	s_and_saveexec_b64 s[6:7], s[4:5]
	s_cbranch_execnz .LBB53_723
	s_branch .LBB53_724
.LBB53_2773:
	s_movk_i32 s4, 0x80
	v_cmp_eq_u16_e32 vcc, s4, v3
	s_mov_b64 s[4:5], -1
                                        ; implicit-def: $sgpr10
	s_and_saveexec_b64 s[8:9], vcc
; %bb.2774:
	s_mov_b32 s10, 0x7f800001
	s_xor_b64 s[4:5], exec, -1
; %bb.2775:
	s_or_b64 exec, exec, s[8:9]
	s_and_b64 s[4:5], s[4:5], exec
                                        ; implicit-def: $vgpr3
	s_or_saveexec_b64 s[6:7], s[6:7]
	v_mov_b32_e32 v6, s10
	s_xor_b64 exec, exec, s[6:7]
	s_cbranch_execz .LBB53_726
.LBB53_2776:
	v_cmp_ne_u16_e32 vcc, 0, v3
	s_andn2_b64 s[4:5], s[4:5], exec
	s_and_b64 s[8:9], vcc, exec
	v_mov_b32_e32 v6, 0
	s_or_b64 s[4:5], s[4:5], s[8:9]
	s_or_b64 exec, exec, s[6:7]
	s_and_saveexec_b64 s[6:7], s[4:5]
	s_cbranch_execnz .LBB53_727
	s_branch .LBB53_728
.LBB53_2777:
	s_movk_i32 s4, 0x80
	v_cmp_eq_u16_sdwa s[12:13], v8, s4 src0_sel:BYTE_3 src1_sel:DWORD
	s_mov_b64 s[4:5], -1
                                        ; implicit-def: $sgpr10
	s_and_saveexec_b64 s[8:9], s[12:13]
; %bb.2778:
	s_mov_b32 s10, 0x7f800001
	s_xor_b64 s[4:5], exec, -1
; %bb.2779:
	s_or_b64 exec, exec, s[8:9]
	s_and_b64 s[4:5], s[4:5], exec
	s_or_saveexec_b64 s[6:7], s[6:7]
	v_mov_b32_e32 v2, s10
	s_xor_b64 exec, exec, s[6:7]
	s_cbranch_execz .LBB53_730
.LBB53_2780:
	v_mov_b32_e32 v2, 0
	v_cmp_ne_u16_sdwa s[8:9], v8, v2 src0_sel:BYTE_3 src1_sel:DWORD
	s_andn2_b64 s[4:5], s[4:5], exec
	s_and_b64 s[8:9], s[8:9], exec
	s_or_b64 s[4:5], s[4:5], s[8:9]
	s_or_b64 exec, exec, s[6:7]
	s_and_saveexec_b64 s[6:7], s[4:5]
	s_cbranch_execnz .LBB53_731
	s_branch .LBB53_732
.LBB53_2781:
	s_movk_i32 s4, 0x80
	v_cmp_eq_u16_sdwa s[12:13], v4, s4 src0_sel:BYTE_3 src1_sel:DWORD
	s_mov_b64 s[4:5], -1
                                        ; implicit-def: $sgpr10
	s_and_saveexec_b64 s[8:9], s[12:13]
; %bb.2782:
	s_mov_b32 s10, 0x7f800001
	s_xor_b64 s[4:5], exec, -1
; %bb.2783:
	s_or_b64 exec, exec, s[8:9]
	s_and_b64 s[4:5], s[4:5], exec
	s_or_saveexec_b64 s[6:7], s[6:7]
	v_mov_b32_e32 v3, s10
	s_xor_b64 exec, exec, s[6:7]
	s_cbranch_execz .LBB53_734
.LBB53_2784:
	v_mov_b32_e32 v3, 0
	v_cmp_ne_u16_sdwa s[8:9], v4, v3 src0_sel:BYTE_3 src1_sel:DWORD
	s_andn2_b64 s[4:5], s[4:5], exec
	s_and_b64 s[8:9], s[8:9], exec
	s_or_b64 s[4:5], s[4:5], s[8:9]
	s_or_b64 exec, exec, s[6:7]
	s_and_saveexec_b64 s[6:7], s[4:5]
	s_cbranch_execnz .LBB53_735
	s_branch .LBB53_736
.LBB53_2785:
	s_movk_i32 s4, 0x80
	v_cmp_eq_u16_sdwa s[12:13], v9, s4 src0_sel:BYTE_0 src1_sel:DWORD
	s_mov_b64 s[4:5], -1
                                        ; implicit-def: $sgpr10
	s_and_saveexec_b64 s[8:9], s[12:13]
; %bb.2786:
	s_mov_b32 s10, 0x7f800001
	s_xor_b64 s[4:5], exec, -1
; %bb.2787:
	s_or_b64 exec, exec, s[8:9]
	s_and_b64 s[4:5], s[4:5], exec
	s_or_saveexec_b64 s[6:7], s[6:7]
	v_mov_b32_e32 v2, s10
	s_xor_b64 exec, exec, s[6:7]
	s_cbranch_execz .LBB53_738
.LBB53_2788:
	v_mov_b32_e32 v2, 0
	v_cmp_ne_u16_sdwa s[8:9], v9, v2 src0_sel:BYTE_0 src1_sel:DWORD
	s_andn2_b64 s[4:5], s[4:5], exec
	s_and_b64 s[8:9], s[8:9], exec
	s_or_b64 s[4:5], s[4:5], s[8:9]
	s_or_b64 exec, exec, s[6:7]
	s_and_saveexec_b64 s[6:7], s[4:5]
	s_cbranch_execnz .LBB53_739
	s_branch .LBB53_740
.LBB53_2789:
	s_movk_i32 s4, 0x80
	v_cmp_eq_u16_sdwa s[12:13], v5, s4 src0_sel:BYTE_0 src1_sel:DWORD
	s_mov_b64 s[4:5], -1
                                        ; implicit-def: $sgpr10
	s_and_saveexec_b64 s[8:9], s[12:13]
; %bb.2790:
	s_mov_b32 s10, 0x7f800001
	s_xor_b64 s[4:5], exec, -1
; %bb.2791:
	s_or_b64 exec, exec, s[8:9]
	s_and_b64 s[4:5], s[4:5], exec
	s_or_saveexec_b64 s[6:7], s[6:7]
	v_mov_b32_e32 v3, s10
	s_xor_b64 exec, exec, s[6:7]
	s_cbranch_execz .LBB53_742
.LBB53_2792:
	v_mov_b32_e32 v3, 0
	v_cmp_ne_u16_sdwa s[8:9], v5, v3 src0_sel:BYTE_0 src1_sel:DWORD
	s_andn2_b64 s[4:5], s[4:5], exec
	s_and_b64 s[8:9], s[8:9], exec
	s_or_b64 s[4:5], s[4:5], s[8:9]
	s_or_b64 exec, exec, s[6:7]
	s_and_saveexec_b64 s[6:7], s[4:5]
	s_cbranch_execnz .LBB53_743
	s_branch .LBB53_744
.LBB53_2793:
	s_movk_i32 s4, 0x80
	v_cmp_eq_u16_sdwa s[12:13], v3, s4 src0_sel:BYTE_0 src1_sel:DWORD
	s_mov_b64 s[4:5], -1
                                        ; implicit-def: $sgpr10
	s_and_saveexec_b64 s[8:9], s[12:13]
; %bb.2794:
	s_mov_b32 s10, 0x7f800001
	s_xor_b64 s[4:5], exec, -1
; %bb.2795:
	s_or_b64 exec, exec, s[8:9]
	s_and_b64 s[4:5], s[4:5], exec
	s_or_saveexec_b64 s[6:7], s[6:7]
	v_mov_b32_e32 v2, s10
	s_xor_b64 exec, exec, s[6:7]
	s_cbranch_execz .LBB53_746
.LBB53_2796:
	v_mov_b32_e32 v2, 0
	v_cmp_ne_u16_sdwa s[8:9], v3, v2 src0_sel:BYTE_0 src1_sel:DWORD
	s_andn2_b64 s[4:5], s[4:5], exec
	s_and_b64 s[8:9], s[8:9], exec
	s_or_b64 s[4:5], s[4:5], s[8:9]
	s_or_b64 exec, exec, s[6:7]
	s_and_saveexec_b64 s[6:7], s[4:5]
	s_cbranch_execnz .LBB53_747
	s_branch .LBB53_748
.LBB53_2797:
	s_movk_i32 s4, 0x80
	v_cmp_eq_u16_sdwa s[12:13], v3, s4 src0_sel:BYTE_0 src1_sel:DWORD
	s_mov_b64 s[4:5], -1
                                        ; implicit-def: $sgpr10
	s_and_saveexec_b64 s[8:9], s[12:13]
; %bb.2798:
	s_mov_b32 s10, 0x7f800001
	s_xor_b64 s[4:5], exec, -1
; %bb.2799:
	s_or_b64 exec, exec, s[8:9]
	s_and_b64 s[4:5], s[4:5], exec
	s_or_saveexec_b64 s[6:7], s[6:7]
	v_mov_b32_e32 v4, s10
	s_xor_b64 exec, exec, s[6:7]
	s_cbranch_execz .LBB53_750
.LBB53_2800:
	v_mov_b32_e32 v4, 0
	v_cmp_ne_u16_sdwa s[8:9], v3, v4 src0_sel:BYTE_0 src1_sel:DWORD
	s_andn2_b64 s[4:5], s[4:5], exec
	s_and_b64 s[8:9], s[8:9], exec
	s_or_b64 s[4:5], s[4:5], s[8:9]
	s_or_b64 exec, exec, s[6:7]
	s_and_saveexec_b64 s[6:7], s[4:5]
	s_cbranch_execnz .LBB53_751
	s_branch .LBB53_752
.LBB53_2801:
	s_movk_i32 s4, 0x80
	v_cmp_eq_u16_e32 vcc, s4, v3
	s_mov_b64 s[4:5], -1
                                        ; implicit-def: $sgpr10
	s_and_saveexec_b64 s[8:9], vcc
; %bb.2802:
	s_mov_b32 s10, 0x7f800001
	s_xor_b64 s[4:5], exec, -1
; %bb.2803:
	s_or_b64 exec, exec, s[8:9]
	s_and_b64 s[4:5], s[4:5], exec
                                        ; implicit-def: $vgpr3
	s_or_saveexec_b64 s[6:7], s[6:7]
	v_mov_b32_e32 v2, s10
	s_xor_b64 exec, exec, s[6:7]
	s_cbranch_execz .LBB53_754
.LBB53_2804:
	v_cmp_ne_u16_e32 vcc, 0, v3
	s_andn2_b64 s[4:5], s[4:5], exec
	s_and_b64 s[8:9], vcc, exec
	v_mov_b32_e32 v2, 0
	s_or_b64 s[4:5], s[4:5], s[8:9]
	s_or_b64 exec, exec, s[6:7]
	s_and_saveexec_b64 s[6:7], s[4:5]
	s_cbranch_execnz .LBB53_755
	s_branch .LBB53_756
.LBB53_2805:
	s_movk_i32 s4, 0x80
	v_cmp_eq_u16_e32 vcc, s4, v3
	s_mov_b64 s[4:5], -1
                                        ; implicit-def: $sgpr10
	s_and_saveexec_b64 s[8:9], vcc
; %bb.2806:
	s_mov_b32 s10, 0x7f800001
	s_xor_b64 s[4:5], exec, -1
; %bb.2807:
	s_or_b64 exec, exec, s[8:9]
	s_and_b64 s[4:5], s[4:5], exec
                                        ; implicit-def: $vgpr3
	s_or_saveexec_b64 s[6:7], s[6:7]
	v_mov_b32_e32 v4, s10
	s_xor_b64 exec, exec, s[6:7]
	s_cbranch_execz .LBB53_758
.LBB53_2808:
	v_cmp_ne_u16_e32 vcc, 0, v3
	s_andn2_b64 s[4:5], s[4:5], exec
	s_and_b64 s[8:9], vcc, exec
	v_mov_b32_e32 v4, 0
	s_or_b64 s[4:5], s[4:5], s[8:9]
	s_or_b64 exec, exec, s[6:7]
	s_and_saveexec_b64 s[6:7], s[4:5]
	s_cbranch_execnz .LBB53_759
	s_branch .LBB53_760
.LBB53_2809:
	s_movk_i32 s4, 0x80
	v_cmp_eq_u16_sdwa s[12:13], v9, s4 src0_sel:BYTE_3 src1_sel:DWORD
	s_mov_b64 s[4:5], -1
                                        ; implicit-def: $sgpr10
	s_and_saveexec_b64 s[8:9], s[12:13]
; %bb.2810:
	s_mov_b32 s10, 0x7f800001
	s_xor_b64 s[4:5], exec, -1
; %bb.2811:
	s_or_b64 exec, exec, s[8:9]
	s_and_b64 s[4:5], s[4:5], exec
	s_or_saveexec_b64 s[6:7], s[6:7]
	v_mov_b32_e32 v2, s10
	s_xor_b64 exec, exec, s[6:7]
	s_cbranch_execz .LBB53_762
.LBB53_2812:
	v_mov_b32_e32 v2, 0
	v_cmp_ne_u16_sdwa s[8:9], v9, v2 src0_sel:BYTE_3 src1_sel:DWORD
	s_andn2_b64 s[4:5], s[4:5], exec
	s_and_b64 s[8:9], s[8:9], exec
	s_or_b64 s[4:5], s[4:5], s[8:9]
	s_or_b64 exec, exec, s[6:7]
	s_and_saveexec_b64 s[6:7], s[4:5]
	s_cbranch_execnz .LBB53_763
	s_branch .LBB53_764
.LBB53_2813:
	s_movk_i32 s4, 0x80
	v_cmp_eq_u16_sdwa s[12:13], v5, s4 src0_sel:BYTE_3 src1_sel:DWORD
	s_mov_b64 s[4:5], -1
                                        ; implicit-def: $sgpr10
	s_and_saveexec_b64 s[8:9], s[12:13]
; %bb.2814:
	s_mov_b32 s10, 0x7f800001
	s_xor_b64 s[4:5], exec, -1
; %bb.2815:
	s_or_b64 exec, exec, s[8:9]
	s_and_b64 s[4:5], s[4:5], exec
	s_or_saveexec_b64 s[6:7], s[6:7]
	v_mov_b32_e32 v3, s10
	s_xor_b64 exec, exec, s[6:7]
	s_cbranch_execz .LBB53_766
.LBB53_2816:
	v_mov_b32_e32 v3, 0
	v_cmp_ne_u16_sdwa s[8:9], v5, v3 src0_sel:BYTE_3 src1_sel:DWORD
	s_andn2_b64 s[4:5], s[4:5], exec
	s_and_b64 s[8:9], s[8:9], exec
	s_or_b64 s[4:5], s[4:5], s[8:9]
	s_or_b64 exec, exec, s[6:7]
	s_and_saveexec_b64 s[6:7], s[4:5]
	s_cbranch_execnz .LBB53_767
	s_branch .LBB53_768
.LBB53_2817:
	s_movk_i32 s4, 0x80
	v_cmp_eq_u16_sdwa s[12:13], v14, s4 src0_sel:BYTE_0 src1_sel:DWORD
	s_mov_b64 s[4:5], -1
                                        ; implicit-def: $sgpr10
	s_and_saveexec_b64 s[8:9], s[12:13]
; %bb.2818:
	s_mov_b32 s10, 0x7f800001
	s_xor_b64 s[4:5], exec, -1
; %bb.2819:
	s_or_b64 exec, exec, s[8:9]
	s_and_b64 s[4:5], s[4:5], exec
	s_or_saveexec_b64 s[6:7], s[6:7]
	v_mov_b32_e32 v20, s10
	s_xor_b64 exec, exec, s[6:7]
	s_cbranch_execz .LBB53_770
.LBB53_2820:
	v_mov_b32_e32 v20, 0
	v_cmp_ne_u16_sdwa s[8:9], v14, v20 src0_sel:BYTE_0 src1_sel:DWORD
	s_andn2_b64 s[4:5], s[4:5], exec
	s_and_b64 s[8:9], s[8:9], exec
	s_or_b64 s[4:5], s[4:5], s[8:9]
	s_or_b64 exec, exec, s[6:7]
	s_and_saveexec_b64 s[6:7], s[4:5]
	s_cbranch_execnz .LBB53_771
	s_branch .LBB53_772
.LBB53_2821:
	s_movk_i32 s4, 0x80
	v_cmp_eq_u16_sdwa s[12:13], v10, s4 src0_sel:BYTE_0 src1_sel:DWORD
	s_mov_b64 s[4:5], -1
                                        ; implicit-def: $sgpr10
	s_and_saveexec_b64 s[8:9], s[12:13]
; %bb.2822:
	s_mov_b32 s10, 0x7f800001
	s_xor_b64 s[4:5], exec, -1
; %bb.2823:
	s_or_b64 exec, exec, s[8:9]
	s_and_b64 s[4:5], s[4:5], exec
	s_or_saveexec_b64 s[6:7], s[6:7]
	v_mov_b32_e32 v21, s10
	s_xor_b64 exec, exec, s[6:7]
	s_cbranch_execz .LBB53_774
.LBB53_2824:
	v_mov_b32_e32 v21, 0
	v_cmp_ne_u16_sdwa s[8:9], v10, v21 src0_sel:BYTE_0 src1_sel:DWORD
	s_andn2_b64 s[4:5], s[4:5], exec
	s_and_b64 s[8:9], s[8:9], exec
	s_or_b64 s[4:5], s[4:5], s[8:9]
	s_or_b64 exec, exec, s[6:7]
	s_and_saveexec_b64 s[6:7], s[4:5]
	s_cbranch_execnz .LBB53_775
	s_branch .LBB53_776
.LBB53_2825:
	s_movk_i32 s4, 0x80
	v_cmp_eq_u16_sdwa s[12:13], v21, s4 src0_sel:BYTE_0 src1_sel:DWORD
	s_mov_b64 s[4:5], -1
                                        ; implicit-def: $sgpr10
	s_and_saveexec_b64 s[8:9], s[12:13]
; %bb.2826:
	s_mov_b32 s10, 0x7f800001
	s_xor_b64 s[4:5], exec, -1
; %bb.2827:
	s_or_b64 exec, exec, s[8:9]
	s_and_b64 s[4:5], s[4:5], exec
	s_or_saveexec_b64 s[6:7], s[6:7]
	v_mov_b32_e32 v20, s10
	s_xor_b64 exec, exec, s[6:7]
	s_cbranch_execz .LBB53_778
.LBB53_2828:
	v_mov_b32_e32 v20, 0
	v_cmp_ne_u16_sdwa s[8:9], v21, v20 src0_sel:BYTE_0 src1_sel:DWORD
	s_andn2_b64 s[4:5], s[4:5], exec
	s_and_b64 s[8:9], s[8:9], exec
	s_or_b64 s[4:5], s[4:5], s[8:9]
	s_or_b64 exec, exec, s[6:7]
	s_and_saveexec_b64 s[6:7], s[4:5]
	s_cbranch_execnz .LBB53_779
	s_branch .LBB53_780
.LBB53_2829:
	s_movk_i32 s4, 0x80
	v_cmp_eq_u16_sdwa s[12:13], v21, s4 src0_sel:BYTE_0 src1_sel:DWORD
	s_mov_b64 s[4:5], -1
                                        ; implicit-def: $sgpr10
	s_and_saveexec_b64 s[8:9], s[12:13]
; %bb.2830:
	s_mov_b32 s10, 0x7f800001
	s_xor_b64 s[4:5], exec, -1
; %bb.2831:
	s_or_b64 exec, exec, s[8:9]
	s_and_b64 s[4:5], s[4:5], exec
	s_or_saveexec_b64 s[6:7], s[6:7]
	v_mov_b32_e32 v22, s10
	s_xor_b64 exec, exec, s[6:7]
	s_cbranch_execz .LBB53_782
.LBB53_2832:
	v_mov_b32_e32 v22, 0
	v_cmp_ne_u16_sdwa s[8:9], v21, v22 src0_sel:BYTE_0 src1_sel:DWORD
	s_andn2_b64 s[4:5], s[4:5], exec
	s_and_b64 s[8:9], s[8:9], exec
	s_or_b64 s[4:5], s[4:5], s[8:9]
	s_or_b64 exec, exec, s[6:7]
	s_and_saveexec_b64 s[6:7], s[4:5]
	s_cbranch_execnz .LBB53_783
	s_branch .LBB53_784
.LBB53_2833:
	s_movk_i32 s4, 0x80
	v_cmp_eq_u16_e32 vcc, s4, v21
	s_mov_b64 s[4:5], -1
                                        ; implicit-def: $sgpr10
	s_and_saveexec_b64 s[8:9], vcc
; %bb.2834:
	s_mov_b32 s10, 0x7f800001
	s_xor_b64 s[4:5], exec, -1
; %bb.2835:
	s_or_b64 exec, exec, s[8:9]
	s_and_b64 s[4:5], s[4:5], exec
                                        ; implicit-def: $vgpr21
	s_or_saveexec_b64 s[6:7], s[6:7]
	v_mov_b32_e32 v20, s10
	s_xor_b64 exec, exec, s[6:7]
	s_cbranch_execz .LBB53_786
.LBB53_2836:
	v_cmp_ne_u16_e32 vcc, 0, v21
	s_andn2_b64 s[4:5], s[4:5], exec
	s_and_b64 s[8:9], vcc, exec
	v_mov_b32_e32 v20, 0
	s_or_b64 s[4:5], s[4:5], s[8:9]
	s_or_b64 exec, exec, s[6:7]
	s_and_saveexec_b64 s[6:7], s[4:5]
	s_cbranch_execnz .LBB53_787
	s_branch .LBB53_788
.LBB53_2837:
	s_movk_i32 s4, 0x80
	v_cmp_eq_u16_e32 vcc, s4, v21
	s_mov_b64 s[4:5], -1
                                        ; implicit-def: $sgpr10
	s_and_saveexec_b64 s[8:9], vcc
; %bb.2838:
	s_mov_b32 s10, 0x7f800001
	s_xor_b64 s[4:5], exec, -1
; %bb.2839:
	s_or_b64 exec, exec, s[8:9]
	s_and_b64 s[4:5], s[4:5], exec
                                        ; implicit-def: $vgpr21
	s_or_saveexec_b64 s[6:7], s[6:7]
	v_mov_b32_e32 v22, s10
	s_xor_b64 exec, exec, s[6:7]
	s_cbranch_execz .LBB53_790
.LBB53_2840:
	v_cmp_ne_u16_e32 vcc, 0, v21
	s_andn2_b64 s[4:5], s[4:5], exec
	s_and_b64 s[8:9], vcc, exec
	v_mov_b32_e32 v22, 0
	s_or_b64 s[4:5], s[4:5], s[8:9]
	s_or_b64 exec, exec, s[6:7]
	s_and_saveexec_b64 s[6:7], s[4:5]
	s_cbranch_execnz .LBB53_791
	s_branch .LBB53_792
.LBB53_2841:
	s_movk_i32 s4, 0x80
	v_cmp_eq_u16_sdwa s[12:13], v14, s4 src0_sel:BYTE_3 src1_sel:DWORD
	s_mov_b64 s[4:5], -1
                                        ; implicit-def: $sgpr10
	s_and_saveexec_b64 s[8:9], s[12:13]
; %bb.2842:
	s_mov_b32 s10, 0x7f800001
	s_xor_b64 s[4:5], exec, -1
; %bb.2843:
	s_or_b64 exec, exec, s[8:9]
	s_and_b64 s[4:5], s[4:5], exec
	s_or_saveexec_b64 s[6:7], s[6:7]
	v_mov_b32_e32 v20, s10
	s_xor_b64 exec, exec, s[6:7]
	s_cbranch_execz .LBB53_794
.LBB53_2844:
	v_mov_b32_e32 v20, 0
	v_cmp_ne_u16_sdwa s[8:9], v14, v20 src0_sel:BYTE_3 src1_sel:DWORD
	s_andn2_b64 s[4:5], s[4:5], exec
	s_and_b64 s[8:9], s[8:9], exec
	s_or_b64 s[4:5], s[4:5], s[8:9]
	s_or_b64 exec, exec, s[6:7]
	s_and_saveexec_b64 s[6:7], s[4:5]
	s_cbranch_execnz .LBB53_795
	s_branch .LBB53_796
.LBB53_2845:
	s_movk_i32 s4, 0x80
	v_cmp_eq_u16_sdwa s[12:13], v10, s4 src0_sel:BYTE_3 src1_sel:DWORD
	s_mov_b64 s[4:5], -1
                                        ; implicit-def: $sgpr10
	s_and_saveexec_b64 s[8:9], s[12:13]
; %bb.2846:
	s_mov_b32 s10, 0x7f800001
	s_xor_b64 s[4:5], exec, -1
; %bb.2847:
	s_or_b64 exec, exec, s[8:9]
	s_and_b64 s[4:5], s[4:5], exec
	s_or_saveexec_b64 s[6:7], s[6:7]
	v_mov_b32_e32 v14, s10
	s_xor_b64 exec, exec, s[6:7]
	s_cbranch_execz .LBB53_798
.LBB53_2848:
	v_mov_b32_e32 v14, 0
	v_cmp_ne_u16_sdwa s[8:9], v10, v14 src0_sel:BYTE_3 src1_sel:DWORD
	s_andn2_b64 s[4:5], s[4:5], exec
	s_and_b64 s[8:9], s[8:9], exec
	s_or_b64 s[4:5], s[4:5], s[8:9]
	s_or_b64 exec, exec, s[6:7]
	s_and_saveexec_b64 s[6:7], s[4:5]
	s_cbranch_execnz .LBB53_799
	s_branch .LBB53_800
.LBB53_2849:
	s_movk_i32 s4, 0x80
	v_cmp_eq_u16_sdwa s[12:13], v15, s4 src0_sel:BYTE_0 src1_sel:DWORD
	s_mov_b64 s[4:5], -1
                                        ; implicit-def: $sgpr10
	s_and_saveexec_b64 s[8:9], s[12:13]
; %bb.2850:
	s_mov_b32 s10, 0x7f800001
	s_xor_b64 s[4:5], exec, -1
; %bb.2851:
	s_or_b64 exec, exec, s[8:9]
	s_and_b64 s[4:5], s[4:5], exec
	s_or_saveexec_b64 s[6:7], s[6:7]
	v_mov_b32_e32 v10, s10
	s_xor_b64 exec, exec, s[6:7]
	s_cbranch_execz .LBB53_802
.LBB53_2852:
	v_mov_b32_e32 v10, 0
	v_cmp_ne_u16_sdwa s[8:9], v15, v10 src0_sel:BYTE_0 src1_sel:DWORD
	s_andn2_b64 s[4:5], s[4:5], exec
	s_and_b64 s[8:9], s[8:9], exec
	s_or_b64 s[4:5], s[4:5], s[8:9]
	s_or_b64 exec, exec, s[6:7]
	s_and_saveexec_b64 s[6:7], s[4:5]
	s_cbranch_execnz .LBB53_803
	s_branch .LBB53_804
.LBB53_2853:
	s_movk_i32 s4, 0x80
	v_cmp_eq_u16_sdwa s[12:13], v11, s4 src0_sel:BYTE_0 src1_sel:DWORD
	s_mov_b64 s[4:5], -1
                                        ; implicit-def: $sgpr10
	s_and_saveexec_b64 s[8:9], s[12:13]
; %bb.2854:
	s_mov_b32 s10, 0x7f800001
	s_xor_b64 s[4:5], exec, -1
; %bb.2855:
	s_or_b64 exec, exec, s[8:9]
	s_and_b64 s[4:5], s[4:5], exec
	s_or_saveexec_b64 s[6:7], s[6:7]
	v_mov_b32_e32 v14, s10
	s_xor_b64 exec, exec, s[6:7]
	s_cbranch_execz .LBB53_806
.LBB53_2856:
	v_mov_b32_e32 v14, 0
	v_cmp_ne_u16_sdwa s[8:9], v11, v14 src0_sel:BYTE_0 src1_sel:DWORD
	s_andn2_b64 s[4:5], s[4:5], exec
	s_and_b64 s[8:9], s[8:9], exec
	s_or_b64 s[4:5], s[4:5], s[8:9]
	s_or_b64 exec, exec, s[6:7]
	s_and_saveexec_b64 s[6:7], s[4:5]
	s_cbranch_execnz .LBB53_807
	s_branch .LBB53_808
.LBB53_2857:
	s_movk_i32 s4, 0x80
	v_cmp_eq_u16_sdwa s[12:13], v14, s4 src0_sel:BYTE_0 src1_sel:DWORD
	s_mov_b64 s[4:5], -1
                                        ; implicit-def: $sgpr10
	s_and_saveexec_b64 s[8:9], s[12:13]
; %bb.2858:
	s_mov_b32 s10, 0x7f800001
	s_xor_b64 s[4:5], exec, -1
; %bb.2859:
	s_or_b64 exec, exec, s[8:9]
	s_and_b64 s[4:5], s[4:5], exec
	s_or_saveexec_b64 s[6:7], s[6:7]
	v_mov_b32_e32 v10, s10
	s_xor_b64 exec, exec, s[6:7]
	s_cbranch_execz .LBB53_810
.LBB53_2860:
	v_mov_b32_e32 v10, 0
	v_cmp_ne_u16_sdwa s[8:9], v14, v10 src0_sel:BYTE_0 src1_sel:DWORD
	s_andn2_b64 s[4:5], s[4:5], exec
	s_and_b64 s[8:9], s[8:9], exec
	s_or_b64 s[4:5], s[4:5], s[8:9]
	s_or_b64 exec, exec, s[6:7]
	s_and_saveexec_b64 s[6:7], s[4:5]
	s_cbranch_execnz .LBB53_811
	s_branch .LBB53_812
.LBB53_2861:
	s_movk_i32 s4, 0x80
	v_cmp_eq_u16_sdwa s[12:13], v14, s4 src0_sel:BYTE_0 src1_sel:DWORD
	s_mov_b64 s[4:5], -1
                                        ; implicit-def: $sgpr10
	s_and_saveexec_b64 s[8:9], s[12:13]
; %bb.2862:
	s_mov_b32 s10, 0x7f800001
	s_xor_b64 s[4:5], exec, -1
; %bb.2863:
	s_or_b64 exec, exec, s[8:9]
	s_and_b64 s[4:5], s[4:5], exec
	s_or_saveexec_b64 s[6:7], s[6:7]
	v_mov_b32_e32 v20, s10
	s_xor_b64 exec, exec, s[6:7]
	s_cbranch_execz .LBB53_814
.LBB53_2864:
	v_mov_b32_e32 v20, 0
	v_cmp_ne_u16_sdwa s[8:9], v14, v20 src0_sel:BYTE_0 src1_sel:DWORD
	s_andn2_b64 s[4:5], s[4:5], exec
	s_and_b64 s[8:9], s[8:9], exec
	s_or_b64 s[4:5], s[4:5], s[8:9]
	s_or_b64 exec, exec, s[6:7]
	s_and_saveexec_b64 s[6:7], s[4:5]
	s_cbranch_execnz .LBB53_815
	s_branch .LBB53_816
.LBB53_2865:
	s_movk_i32 s4, 0x80
	v_cmp_eq_u16_e32 vcc, s4, v14
	s_mov_b64 s[4:5], -1
                                        ; implicit-def: $sgpr10
	s_and_saveexec_b64 s[8:9], vcc
; %bb.2866:
	s_mov_b32 s10, 0x7f800001
	s_xor_b64 s[4:5], exec, -1
; %bb.2867:
	s_or_b64 exec, exec, s[8:9]
	s_and_b64 s[4:5], s[4:5], exec
                                        ; implicit-def: $vgpr14
	s_or_saveexec_b64 s[6:7], s[6:7]
	v_mov_b32_e32 v10, s10
	s_xor_b64 exec, exec, s[6:7]
	s_cbranch_execz .LBB53_818
.LBB53_2868:
	v_cmp_ne_u16_e32 vcc, 0, v14
	s_andn2_b64 s[4:5], s[4:5], exec
	s_and_b64 s[8:9], vcc, exec
	v_mov_b32_e32 v10, 0
	s_or_b64 s[4:5], s[4:5], s[8:9]
	s_or_b64 exec, exec, s[6:7]
	s_and_saveexec_b64 s[6:7], s[4:5]
	s_cbranch_execnz .LBB53_819
	s_branch .LBB53_820
.LBB53_2869:
	s_movk_i32 s4, 0x80
	v_cmp_eq_u16_e32 vcc, s4, v14
	s_mov_b64 s[4:5], -1
                                        ; implicit-def: $sgpr10
	s_and_saveexec_b64 s[8:9], vcc
; %bb.2870:
	s_mov_b32 s10, 0x7f800001
	s_xor_b64 s[4:5], exec, -1
; %bb.2871:
	s_or_b64 exec, exec, s[8:9]
	s_and_b64 s[4:5], s[4:5], exec
                                        ; implicit-def: $vgpr14
	s_or_saveexec_b64 s[6:7], s[6:7]
	v_mov_b32_e32 v20, s10
	s_xor_b64 exec, exec, s[6:7]
	s_cbranch_execz .LBB53_822
.LBB53_2872:
	v_cmp_ne_u16_e32 vcc, 0, v14
	s_andn2_b64 s[4:5], s[4:5], exec
	s_and_b64 s[8:9], vcc, exec
	v_mov_b32_e32 v20, 0
	s_or_b64 s[4:5], s[4:5], s[8:9]
	s_or_b64 exec, exec, s[6:7]
	s_and_saveexec_b64 s[6:7], s[4:5]
	s_cbranch_execnz .LBB53_823
	s_branch .LBB53_824
.LBB53_2873:
	s_movk_i32 s4, 0x80
	v_cmp_eq_u16_sdwa s[12:13], v15, s4 src0_sel:BYTE_3 src1_sel:DWORD
	s_mov_b64 s[4:5], -1
                                        ; implicit-def: $sgpr10
	s_and_saveexec_b64 s[8:9], s[12:13]
; %bb.2874:
	s_mov_b32 s10, 0x7f800001
	s_xor_b64 s[4:5], exec, -1
; %bb.2875:
	s_or_b64 exec, exec, s[8:9]
	s_and_b64 s[4:5], s[4:5], exec
	s_or_saveexec_b64 s[6:7], s[6:7]
	v_mov_b32_e32 v10, s10
	s_xor_b64 exec, exec, s[6:7]
	s_cbranch_execz .LBB53_826
.LBB53_2876:
	v_mov_b32_e32 v10, 0
	v_cmp_ne_u16_sdwa s[8:9], v15, v10 src0_sel:BYTE_3 src1_sel:DWORD
	s_andn2_b64 s[4:5], s[4:5], exec
	s_and_b64 s[8:9], s[8:9], exec
	s_or_b64 s[4:5], s[4:5], s[8:9]
	s_or_b64 exec, exec, s[6:7]
	s_and_saveexec_b64 s[6:7], s[4:5]
	s_cbranch_execnz .LBB53_827
	s_branch .LBB53_828
.LBB53_2877:
	s_movk_i32 s4, 0x80
	v_cmp_eq_u16_sdwa s[12:13], v11, s4 src0_sel:BYTE_3 src1_sel:DWORD
	s_mov_b64 s[4:5], -1
                                        ; implicit-def: $sgpr10
	s_and_saveexec_b64 s[8:9], s[12:13]
; %bb.2878:
	s_mov_b32 s10, 0x7f800001
	s_xor_b64 s[4:5], exec, -1
; %bb.2879:
	s_or_b64 exec, exec, s[8:9]
	s_and_b64 s[4:5], s[4:5], exec
	s_or_saveexec_b64 s[6:7], s[6:7]
	v_mov_b32_e32 v14, s10
	s_xor_b64 exec, exec, s[6:7]
	s_cbranch_execz .LBB53_830
.LBB53_2880:
	v_mov_b32_e32 v14, 0
	v_cmp_ne_u16_sdwa s[8:9], v11, v14 src0_sel:BYTE_3 src1_sel:DWORD
	s_andn2_b64 s[4:5], s[4:5], exec
	s_and_b64 s[8:9], s[8:9], exec
	s_or_b64 s[4:5], s[4:5], s[8:9]
	s_or_b64 exec, exec, s[6:7]
	s_and_saveexec_b64 s[6:7], s[4:5]
	s_cbranch_execnz .LBB53_831
	s_branch .LBB53_832
.LBB53_2881:
	s_movk_i32 s4, 0x80
	v_cmp_eq_u16_sdwa s[12:13], v16, s4 src0_sel:BYTE_0 src1_sel:DWORD
	s_mov_b64 s[4:5], -1
                                        ; implicit-def: $sgpr10
	s_and_saveexec_b64 s[8:9], s[12:13]
; %bb.2882:
	s_mov_b32 s10, 0x7f800001
	s_xor_b64 s[4:5], exec, -1
; %bb.2883:
	s_or_b64 exec, exec, s[8:9]
	s_and_b64 s[4:5], s[4:5], exec
	s_or_saveexec_b64 s[6:7], s[6:7]
	v_mov_b32_e32 v10, s10
	s_xor_b64 exec, exec, s[6:7]
	s_cbranch_execz .LBB53_834
.LBB53_2884:
	v_mov_b32_e32 v10, 0
	v_cmp_ne_u16_sdwa s[8:9], v16, v10 src0_sel:BYTE_0 src1_sel:DWORD
	s_andn2_b64 s[4:5], s[4:5], exec
	s_and_b64 s[8:9], s[8:9], exec
	s_or_b64 s[4:5], s[4:5], s[8:9]
	s_or_b64 exec, exec, s[6:7]
	s_and_saveexec_b64 s[6:7], s[4:5]
	s_cbranch_execnz .LBB53_835
	s_branch .LBB53_836
.LBB53_2885:
	s_movk_i32 s4, 0x80
	v_cmp_eq_u16_sdwa s[12:13], v12, s4 src0_sel:BYTE_0 src1_sel:DWORD
	s_mov_b64 s[4:5], -1
                                        ; implicit-def: $sgpr10
	s_and_saveexec_b64 s[8:9], s[12:13]
; %bb.2886:
	s_mov_b32 s10, 0x7f800001
	s_xor_b64 s[4:5], exec, -1
; %bb.2887:
	s_or_b64 exec, exec, s[8:9]
	s_and_b64 s[4:5], s[4:5], exec
	s_or_saveexec_b64 s[6:7], s[6:7]
	v_mov_b32_e32 v11, s10
	s_xor_b64 exec, exec, s[6:7]
	s_cbranch_execz .LBB53_838
.LBB53_2888:
	v_mov_b32_e32 v11, 0
	v_cmp_ne_u16_sdwa s[8:9], v12, v11 src0_sel:BYTE_0 src1_sel:DWORD
	s_andn2_b64 s[4:5], s[4:5], exec
	s_and_b64 s[8:9], s[8:9], exec
	s_or_b64 s[4:5], s[4:5], s[8:9]
	s_or_b64 exec, exec, s[6:7]
	s_and_saveexec_b64 s[6:7], s[4:5]
	s_cbranch_execnz .LBB53_839
	s_branch .LBB53_840
.LBB53_2889:
	s_movk_i32 s4, 0x80
	v_cmp_eq_u16_sdwa s[12:13], v11, s4 src0_sel:BYTE_0 src1_sel:DWORD
	s_mov_b64 s[4:5], -1
                                        ; implicit-def: $sgpr10
	s_and_saveexec_b64 s[8:9], s[12:13]
; %bb.2890:
	s_mov_b32 s10, 0x7f800001
	s_xor_b64 s[4:5], exec, -1
; %bb.2891:
	s_or_b64 exec, exec, s[8:9]
	s_and_b64 s[4:5], s[4:5], exec
	s_or_saveexec_b64 s[6:7], s[6:7]
	v_mov_b32_e32 v10, s10
	s_xor_b64 exec, exec, s[6:7]
	s_cbranch_execz .LBB53_842
.LBB53_2892:
	v_mov_b32_e32 v10, 0
	v_cmp_ne_u16_sdwa s[8:9], v11, v10 src0_sel:BYTE_0 src1_sel:DWORD
	s_andn2_b64 s[4:5], s[4:5], exec
	s_and_b64 s[8:9], s[8:9], exec
	s_or_b64 s[4:5], s[4:5], s[8:9]
	s_or_b64 exec, exec, s[6:7]
	s_and_saveexec_b64 s[6:7], s[4:5]
	s_cbranch_execnz .LBB53_843
	s_branch .LBB53_844
.LBB53_2893:
	s_movk_i32 s4, 0x80
	v_cmp_eq_u16_sdwa s[12:13], v11, s4 src0_sel:BYTE_0 src1_sel:DWORD
	s_mov_b64 s[4:5], -1
                                        ; implicit-def: $sgpr10
	s_and_saveexec_b64 s[8:9], s[12:13]
; %bb.2894:
	s_mov_b32 s10, 0x7f800001
	s_xor_b64 s[4:5], exec, -1
; %bb.2895:
	s_or_b64 exec, exec, s[8:9]
	s_and_b64 s[4:5], s[4:5], exec
	s_or_saveexec_b64 s[6:7], s[6:7]
	v_mov_b32_e32 v14, s10
	s_xor_b64 exec, exec, s[6:7]
	s_cbranch_execz .LBB53_846
.LBB53_2896:
	v_mov_b32_e32 v14, 0
	v_cmp_ne_u16_sdwa s[8:9], v11, v14 src0_sel:BYTE_0 src1_sel:DWORD
	s_andn2_b64 s[4:5], s[4:5], exec
	s_and_b64 s[8:9], s[8:9], exec
	s_or_b64 s[4:5], s[4:5], s[8:9]
	s_or_b64 exec, exec, s[6:7]
	s_and_saveexec_b64 s[6:7], s[4:5]
	s_cbranch_execnz .LBB53_847
	s_branch .LBB53_848
.LBB53_2897:
	s_movk_i32 s4, 0x80
	v_cmp_eq_u16_e32 vcc, s4, v11
	s_mov_b64 s[4:5], -1
                                        ; implicit-def: $sgpr10
	s_and_saveexec_b64 s[8:9], vcc
; %bb.2898:
	s_mov_b32 s10, 0x7f800001
	s_xor_b64 s[4:5], exec, -1
; %bb.2899:
	s_or_b64 exec, exec, s[8:9]
	s_and_b64 s[4:5], s[4:5], exec
                                        ; implicit-def: $vgpr11
	s_or_saveexec_b64 s[6:7], s[6:7]
	v_mov_b32_e32 v10, s10
	s_xor_b64 exec, exec, s[6:7]
	s_cbranch_execz .LBB53_850
.LBB53_2900:
	v_cmp_ne_u16_e32 vcc, 0, v11
	s_andn2_b64 s[4:5], s[4:5], exec
	s_and_b64 s[8:9], vcc, exec
	v_mov_b32_e32 v10, 0
	s_or_b64 s[4:5], s[4:5], s[8:9]
	s_or_b64 exec, exec, s[6:7]
	s_and_saveexec_b64 s[6:7], s[4:5]
	s_cbranch_execnz .LBB53_851
	s_branch .LBB53_852
.LBB53_2901:
	s_movk_i32 s4, 0x80
	v_cmp_eq_u16_e32 vcc, s4, v11
	s_mov_b64 s[4:5], -1
                                        ; implicit-def: $sgpr10
	s_and_saveexec_b64 s[8:9], vcc
; %bb.2902:
	s_mov_b32 s10, 0x7f800001
	s_xor_b64 s[4:5], exec, -1
; %bb.2903:
	s_or_b64 exec, exec, s[8:9]
	s_and_b64 s[4:5], s[4:5], exec
                                        ; implicit-def: $vgpr11
	s_or_saveexec_b64 s[6:7], s[6:7]
	v_mov_b32_e32 v14, s10
	s_xor_b64 exec, exec, s[6:7]
	s_cbranch_execz .LBB53_854
.LBB53_2904:
	v_cmp_ne_u16_e32 vcc, 0, v11
	s_andn2_b64 s[4:5], s[4:5], exec
	s_and_b64 s[8:9], vcc, exec
	v_mov_b32_e32 v14, 0
	s_or_b64 s[4:5], s[4:5], s[8:9]
	s_or_b64 exec, exec, s[6:7]
	s_and_saveexec_b64 s[6:7], s[4:5]
	s_cbranch_execnz .LBB53_855
	s_branch .LBB53_856
.LBB53_2905:
	s_movk_i32 s4, 0x80
	v_cmp_eq_u16_sdwa s[12:13], v16, s4 src0_sel:BYTE_3 src1_sel:DWORD
	s_mov_b64 s[4:5], -1
                                        ; implicit-def: $sgpr10
	s_and_saveexec_b64 s[8:9], s[12:13]
; %bb.2906:
	s_mov_b32 s10, 0x7f800001
	s_xor_b64 s[4:5], exec, -1
; %bb.2907:
	s_or_b64 exec, exec, s[8:9]
	s_and_b64 s[4:5], s[4:5], exec
	s_or_saveexec_b64 s[6:7], s[6:7]
	v_mov_b32_e32 v10, s10
	s_xor_b64 exec, exec, s[6:7]
	s_cbranch_execz .LBB53_858
.LBB53_2908:
	v_mov_b32_e32 v10, 0
	v_cmp_ne_u16_sdwa s[8:9], v16, v10 src0_sel:BYTE_3 src1_sel:DWORD
	s_andn2_b64 s[4:5], s[4:5], exec
	s_and_b64 s[8:9], s[8:9], exec
	s_or_b64 s[4:5], s[4:5], s[8:9]
	s_or_b64 exec, exec, s[6:7]
	s_and_saveexec_b64 s[6:7], s[4:5]
	s_cbranch_execnz .LBB53_859
	s_branch .LBB53_860
.LBB53_2909:
	s_movk_i32 s4, 0x80
	v_cmp_eq_u16_sdwa s[12:13], v12, s4 src0_sel:BYTE_3 src1_sel:DWORD
	s_mov_b64 s[4:5], -1
                                        ; implicit-def: $sgpr10
	s_and_saveexec_b64 s[8:9], s[12:13]
; %bb.2910:
	s_mov_b32 s10, 0x7f800001
	s_xor_b64 s[4:5], exec, -1
; %bb.2911:
	s_or_b64 exec, exec, s[8:9]
	s_and_b64 s[4:5], s[4:5], exec
	s_or_saveexec_b64 s[6:7], s[6:7]
	v_mov_b32_e32 v11, s10
	s_xor_b64 exec, exec, s[6:7]
	s_cbranch_execz .LBB53_862
.LBB53_2912:
	v_mov_b32_e32 v11, 0
	v_cmp_ne_u16_sdwa s[8:9], v12, v11 src0_sel:BYTE_3 src1_sel:DWORD
	s_andn2_b64 s[4:5], s[4:5], exec
	s_and_b64 s[8:9], s[8:9], exec
	s_or_b64 s[4:5], s[4:5], s[8:9]
	s_or_b64 exec, exec, s[6:7]
	s_and_saveexec_b64 s[6:7], s[4:5]
	s_cbranch_execnz .LBB53_863
	s_branch .LBB53_864
.LBB53_2913:
	s_movk_i32 s4, 0x80
	v_cmp_eq_u16_sdwa s[12:13], v17, s4 src0_sel:BYTE_0 src1_sel:DWORD
	s_mov_b64 s[4:5], -1
                                        ; implicit-def: $sgpr10
	s_and_saveexec_b64 s[8:9], s[12:13]
; %bb.2914:
	s_mov_b32 s10, 0x7f800001
	s_xor_b64 s[4:5], exec, -1
; %bb.2915:
	s_or_b64 exec, exec, s[8:9]
	s_and_b64 s[4:5], s[4:5], exec
	s_or_saveexec_b64 s[6:7], s[6:7]
	v_mov_b32_e32 v10, s10
	s_xor_b64 exec, exec, s[6:7]
	s_cbranch_execz .LBB53_866
.LBB53_2916:
	v_mov_b32_e32 v10, 0
	v_cmp_ne_u16_sdwa s[8:9], v17, v10 src0_sel:BYTE_0 src1_sel:DWORD
	s_andn2_b64 s[4:5], s[4:5], exec
	s_and_b64 s[8:9], s[8:9], exec
	s_or_b64 s[4:5], s[4:5], s[8:9]
	s_or_b64 exec, exec, s[6:7]
	s_and_saveexec_b64 s[6:7], s[4:5]
	s_cbranch_execnz .LBB53_867
	s_branch .LBB53_868
.LBB53_2917:
	s_movk_i32 s4, 0x80
	v_cmp_eq_u16_sdwa s[12:13], v13, s4 src0_sel:BYTE_0 src1_sel:DWORD
	s_mov_b64 s[4:5], -1
                                        ; implicit-def: $sgpr10
	s_and_saveexec_b64 s[8:9], s[12:13]
; %bb.2918:
	s_mov_b32 s10, 0x7f800001
	s_xor_b64 s[4:5], exec, -1
; %bb.2919:
	s_or_b64 exec, exec, s[8:9]
	s_and_b64 s[4:5], s[4:5], exec
	s_or_saveexec_b64 s[6:7], s[6:7]
	v_mov_b32_e32 v11, s10
	s_xor_b64 exec, exec, s[6:7]
	s_cbranch_execz .LBB53_870
.LBB53_2920:
	v_mov_b32_e32 v11, 0
	v_cmp_ne_u16_sdwa s[8:9], v13, v11 src0_sel:BYTE_0 src1_sel:DWORD
	s_andn2_b64 s[4:5], s[4:5], exec
	s_and_b64 s[8:9], s[8:9], exec
	s_or_b64 s[4:5], s[4:5], s[8:9]
	s_or_b64 exec, exec, s[6:7]
	s_and_saveexec_b64 s[6:7], s[4:5]
	s_cbranch_execnz .LBB53_871
	s_branch .LBB53_872
.LBB53_2921:
	s_movk_i32 s4, 0x80
	v_cmp_eq_u16_sdwa s[12:13], v11, s4 src0_sel:BYTE_0 src1_sel:DWORD
	s_mov_b64 s[4:5], -1
                                        ; implicit-def: $sgpr10
	s_and_saveexec_b64 s[8:9], s[12:13]
; %bb.2922:
	s_mov_b32 s10, 0x7f800001
	s_xor_b64 s[4:5], exec, -1
; %bb.2923:
	s_or_b64 exec, exec, s[8:9]
	s_and_b64 s[4:5], s[4:5], exec
	s_or_saveexec_b64 s[6:7], s[6:7]
	v_mov_b32_e32 v10, s10
	s_xor_b64 exec, exec, s[6:7]
	s_cbranch_execz .LBB53_874
.LBB53_2924:
	v_mov_b32_e32 v10, 0
	v_cmp_ne_u16_sdwa s[8:9], v11, v10 src0_sel:BYTE_0 src1_sel:DWORD
	s_andn2_b64 s[4:5], s[4:5], exec
	s_and_b64 s[8:9], s[8:9], exec
	s_or_b64 s[4:5], s[4:5], s[8:9]
	s_or_b64 exec, exec, s[6:7]
	s_and_saveexec_b64 s[6:7], s[4:5]
	s_cbranch_execnz .LBB53_875
	s_branch .LBB53_876
.LBB53_2925:
	s_movk_i32 s4, 0x80
	v_cmp_eq_u16_sdwa s[12:13], v11, s4 src0_sel:BYTE_0 src1_sel:DWORD
	s_mov_b64 s[4:5], -1
                                        ; implicit-def: $sgpr10
	s_and_saveexec_b64 s[8:9], s[12:13]
; %bb.2926:
	s_mov_b32 s10, 0x7f800001
	s_xor_b64 s[4:5], exec, -1
; %bb.2927:
	s_or_b64 exec, exec, s[8:9]
	s_and_b64 s[4:5], s[4:5], exec
	s_or_saveexec_b64 s[6:7], s[6:7]
	v_mov_b32_e32 v12, s10
	s_xor_b64 exec, exec, s[6:7]
	s_cbranch_execz .LBB53_878
.LBB53_2928:
	v_mov_b32_e32 v12, 0
	v_cmp_ne_u16_sdwa s[8:9], v11, v12 src0_sel:BYTE_0 src1_sel:DWORD
	s_andn2_b64 s[4:5], s[4:5], exec
	s_and_b64 s[8:9], s[8:9], exec
	s_or_b64 s[4:5], s[4:5], s[8:9]
	s_or_b64 exec, exec, s[6:7]
	s_and_saveexec_b64 s[6:7], s[4:5]
	s_cbranch_execnz .LBB53_879
	s_branch .LBB53_880
.LBB53_2929:
	s_movk_i32 s4, 0x80
	v_cmp_eq_u16_e32 vcc, s4, v11
	s_mov_b64 s[4:5], -1
                                        ; implicit-def: $sgpr10
	s_and_saveexec_b64 s[8:9], vcc
; %bb.2930:
	s_mov_b32 s10, 0x7f800001
	s_xor_b64 s[4:5], exec, -1
; %bb.2931:
	s_or_b64 exec, exec, s[8:9]
	s_and_b64 s[4:5], s[4:5], exec
                                        ; implicit-def: $vgpr11
	s_or_saveexec_b64 s[6:7], s[6:7]
	v_mov_b32_e32 v10, s10
	s_xor_b64 exec, exec, s[6:7]
	s_cbranch_execz .LBB53_882
.LBB53_2932:
	v_cmp_ne_u16_e32 vcc, 0, v11
	s_andn2_b64 s[4:5], s[4:5], exec
	s_and_b64 s[8:9], vcc, exec
	v_mov_b32_e32 v10, 0
	s_or_b64 s[4:5], s[4:5], s[8:9]
	s_or_b64 exec, exec, s[6:7]
	s_and_saveexec_b64 s[6:7], s[4:5]
	s_cbranch_execnz .LBB53_883
	s_branch .LBB53_884
.LBB53_2933:
	s_movk_i32 s4, 0x80
	v_cmp_eq_u16_e32 vcc, s4, v11
	s_mov_b64 s[4:5], -1
                                        ; implicit-def: $sgpr10
	s_and_saveexec_b64 s[8:9], vcc
; %bb.2934:
	s_mov_b32 s10, 0x7f800001
	s_xor_b64 s[4:5], exec, -1
; %bb.2935:
	s_or_b64 exec, exec, s[8:9]
	s_and_b64 s[4:5], s[4:5], exec
                                        ; implicit-def: $vgpr11
	s_or_saveexec_b64 s[6:7], s[6:7]
	v_mov_b32_e32 v12, s10
	s_xor_b64 exec, exec, s[6:7]
	s_cbranch_execz .LBB53_886
.LBB53_2936:
	v_cmp_ne_u16_e32 vcc, 0, v11
	s_andn2_b64 s[4:5], s[4:5], exec
	s_and_b64 s[8:9], vcc, exec
	v_mov_b32_e32 v12, 0
	s_or_b64 s[4:5], s[4:5], s[8:9]
	s_or_b64 exec, exec, s[6:7]
	s_and_saveexec_b64 s[6:7], s[4:5]
	s_cbranch_execnz .LBB53_887
	s_branch .LBB53_888
.LBB53_2937:
	s_movk_i32 s4, 0x80
	v_cmp_eq_u16_sdwa s[12:13], v17, s4 src0_sel:BYTE_3 src1_sel:DWORD
	s_mov_b64 s[4:5], -1
                                        ; implicit-def: $sgpr10
	s_and_saveexec_b64 s[8:9], s[12:13]
; %bb.2938:
	s_mov_b32 s10, 0x7f800001
	s_xor_b64 s[4:5], exec, -1
; %bb.2939:
	s_or_b64 exec, exec, s[8:9]
	s_and_b64 s[4:5], s[4:5], exec
	s_or_saveexec_b64 s[6:7], s[6:7]
	v_mov_b32_e32 v10, s10
	s_xor_b64 exec, exec, s[6:7]
	s_cbranch_execz .LBB53_890
.LBB53_2940:
	v_mov_b32_e32 v10, 0
	v_cmp_ne_u16_sdwa s[8:9], v17, v10 src0_sel:BYTE_3 src1_sel:DWORD
	s_andn2_b64 s[4:5], s[4:5], exec
	s_and_b64 s[8:9], s[8:9], exec
	s_or_b64 s[4:5], s[4:5], s[8:9]
	s_or_b64 exec, exec, s[6:7]
	s_and_saveexec_b64 s[6:7], s[4:5]
	s_cbranch_execnz .LBB53_891
	s_branch .LBB53_892
.LBB53_2941:
	s_movk_i32 s4, 0x80
	v_cmp_eq_u16_sdwa s[12:13], v13, s4 src0_sel:BYTE_3 src1_sel:DWORD
	s_mov_b64 s[4:5], -1
                                        ; implicit-def: $sgpr10
	s_and_saveexec_b64 s[8:9], s[12:13]
; %bb.2942:
	s_mov_b32 s10, 0x7f800001
	s_xor_b64 s[4:5], exec, -1
; %bb.2943:
	s_or_b64 exec, exec, s[8:9]
	s_and_b64 s[4:5], s[4:5], exec
	s_or_saveexec_b64 s[6:7], s[6:7]
	v_mov_b32_e32 v11, s10
	s_xor_b64 exec, exec, s[6:7]
	s_cbranch_execz .LBB53_894
.LBB53_2944:
	v_mov_b32_e32 v11, 0
	v_cmp_ne_u16_sdwa s[8:9], v13, v11 src0_sel:BYTE_3 src1_sel:DWORD
	s_andn2_b64 s[4:5], s[4:5], exec
	s_and_b64 s[8:9], s[8:9], exec
	s_or_b64 s[4:5], s[4:5], s[8:9]
	s_or_b64 exec, exec, s[6:7]
	s_and_saveexec_b64 s[6:7], s[4:5]
	s_cbranch_execnz .LBB53_895
	s_branch .LBB53_896
.LBB53_2945:
	s_movk_i32 s4, 0x80
	v_cmp_eq_u16_sdwa s[12:13], v6, s4 src0_sel:BYTE_0 src1_sel:DWORD
	s_mov_b64 s[4:5], -1
                                        ; implicit-def: $sgpr10
	s_and_saveexec_b64 s[8:9], s[12:13]
; %bb.2946:
	s_mov_b32 s10, 0x7f800001
	s_xor_b64 s[4:5], exec, -1
; %bb.2947:
	s_or_b64 exec, exec, s[8:9]
	s_and_b64 s[4:5], s[4:5], exec
	s_or_saveexec_b64 s[6:7], s[6:7]
	v_mov_b32_e32 v10, s10
	s_xor_b64 exec, exec, s[6:7]
	s_cbranch_execz .LBB53_898
.LBB53_2948:
	v_mov_b32_e32 v10, 0
	v_cmp_ne_u16_sdwa s[8:9], v6, v10 src0_sel:BYTE_0 src1_sel:DWORD
	s_andn2_b64 s[4:5], s[4:5], exec
	s_and_b64 s[8:9], s[8:9], exec
	s_or_b64 s[4:5], s[4:5], s[8:9]
	s_or_b64 exec, exec, s[6:7]
	s_and_saveexec_b64 s[6:7], s[4:5]
	s_cbranch_execnz .LBB53_899
	s_branch .LBB53_900
.LBB53_2949:
	s_movk_i32 s4, 0x80
	v_cmp_eq_u16_sdwa s[12:13], v2, s4 src0_sel:BYTE_0 src1_sel:DWORD
	s_mov_b64 s[4:5], -1
                                        ; implicit-def: $sgpr10
	s_and_saveexec_b64 s[8:9], s[12:13]
; %bb.2950:
	s_mov_b32 s10, 0x7f800001
	s_xor_b64 s[4:5], exec, -1
; %bb.2951:
	s_or_b64 exec, exec, s[8:9]
	s_and_b64 s[4:5], s[4:5], exec
	s_or_saveexec_b64 s[6:7], s[6:7]
	v_mov_b32_e32 v11, s10
	s_xor_b64 exec, exec, s[6:7]
	s_cbranch_execz .LBB53_902
.LBB53_2952:
	v_mov_b32_e32 v11, 0
	v_cmp_ne_u16_sdwa s[8:9], v2, v11 src0_sel:BYTE_0 src1_sel:DWORD
	s_andn2_b64 s[4:5], s[4:5], exec
	s_and_b64 s[8:9], s[8:9], exec
	s_or_b64 s[4:5], s[4:5], s[8:9]
	s_or_b64 exec, exec, s[6:7]
	s_and_saveexec_b64 s[6:7], s[4:5]
	s_cbranch_execnz .LBB53_903
	s_branch .LBB53_904
.LBB53_2953:
	s_movk_i32 s4, 0x80
	v_cmp_eq_u16_sdwa s[12:13], v11, s4 src0_sel:BYTE_0 src1_sel:DWORD
	s_mov_b64 s[4:5], -1
                                        ; implicit-def: $sgpr10
	s_and_saveexec_b64 s[8:9], s[12:13]
; %bb.2954:
	s_mov_b32 s10, 0x7f800001
	s_xor_b64 s[4:5], exec, -1
; %bb.2955:
	s_or_b64 exec, exec, s[8:9]
	s_and_b64 s[4:5], s[4:5], exec
	s_or_saveexec_b64 s[6:7], s[6:7]
	v_mov_b32_e32 v10, s10
	s_xor_b64 exec, exec, s[6:7]
	s_cbranch_execz .LBB53_906
.LBB53_2956:
	v_mov_b32_e32 v10, 0
	v_cmp_ne_u16_sdwa s[8:9], v11, v10 src0_sel:BYTE_0 src1_sel:DWORD
	s_andn2_b64 s[4:5], s[4:5], exec
	s_and_b64 s[8:9], s[8:9], exec
	s_or_b64 s[4:5], s[4:5], s[8:9]
	s_or_b64 exec, exec, s[6:7]
	s_and_saveexec_b64 s[6:7], s[4:5]
	s_cbranch_execnz .LBB53_907
	s_branch .LBB53_908
.LBB53_2957:
	s_movk_i32 s4, 0x80
	v_cmp_eq_u16_sdwa s[12:13], v11, s4 src0_sel:BYTE_0 src1_sel:DWORD
	s_mov_b64 s[4:5], -1
                                        ; implicit-def: $sgpr10
	s_and_saveexec_b64 s[8:9], s[12:13]
; %bb.2958:
	s_mov_b32 s10, 0x7f800001
	s_xor_b64 s[4:5], exec, -1
; %bb.2959:
	s_or_b64 exec, exec, s[8:9]
	s_and_b64 s[4:5], s[4:5], exec
	s_or_saveexec_b64 s[6:7], s[6:7]
	v_mov_b32_e32 v12, s10
	s_xor_b64 exec, exec, s[6:7]
	s_cbranch_execz .LBB53_910
.LBB53_2960:
	v_mov_b32_e32 v12, 0
	v_cmp_ne_u16_sdwa s[8:9], v11, v12 src0_sel:BYTE_0 src1_sel:DWORD
	s_andn2_b64 s[4:5], s[4:5], exec
	s_and_b64 s[8:9], s[8:9], exec
	s_or_b64 s[4:5], s[4:5], s[8:9]
	s_or_b64 exec, exec, s[6:7]
	s_and_saveexec_b64 s[6:7], s[4:5]
	s_cbranch_execnz .LBB53_911
	s_branch .LBB53_912
.LBB53_2961:
	s_movk_i32 s4, 0x80
	v_cmp_eq_u16_e32 vcc, s4, v11
	s_mov_b64 s[4:5], -1
                                        ; implicit-def: $sgpr10
	s_and_saveexec_b64 s[8:9], vcc
; %bb.2962:
	s_mov_b32 s10, 0x7f800001
	s_xor_b64 s[4:5], exec, -1
; %bb.2963:
	s_or_b64 exec, exec, s[8:9]
	s_and_b64 s[4:5], s[4:5], exec
                                        ; implicit-def: $vgpr11
	s_or_saveexec_b64 s[6:7], s[6:7]
	v_mov_b32_e32 v10, s10
	s_xor_b64 exec, exec, s[6:7]
	s_cbranch_execz .LBB53_914
.LBB53_2964:
	v_cmp_ne_u16_e32 vcc, 0, v11
	s_andn2_b64 s[4:5], s[4:5], exec
	s_and_b64 s[8:9], vcc, exec
	v_mov_b32_e32 v10, 0
	s_or_b64 s[4:5], s[4:5], s[8:9]
	s_or_b64 exec, exec, s[6:7]
	s_and_saveexec_b64 s[6:7], s[4:5]
	s_cbranch_execnz .LBB53_915
	s_branch .LBB53_916
.LBB53_2965:
	s_movk_i32 s4, 0x80
	v_cmp_eq_u16_e32 vcc, s4, v11
	s_mov_b64 s[4:5], -1
                                        ; implicit-def: $sgpr10
	s_and_saveexec_b64 s[8:9], vcc
; %bb.2966:
	s_mov_b32 s10, 0x7f800001
	s_xor_b64 s[4:5], exec, -1
; %bb.2967:
	s_or_b64 exec, exec, s[8:9]
	s_and_b64 s[4:5], s[4:5], exec
                                        ; implicit-def: $vgpr11
	s_or_saveexec_b64 s[6:7], s[6:7]
	v_mov_b32_e32 v12, s10
	s_xor_b64 exec, exec, s[6:7]
	s_cbranch_execz .LBB53_918
.LBB53_2968:
	v_cmp_ne_u16_e32 vcc, 0, v11
	s_andn2_b64 s[4:5], s[4:5], exec
	s_and_b64 s[8:9], vcc, exec
	v_mov_b32_e32 v12, 0
	s_or_b64 s[4:5], s[4:5], s[8:9]
	s_or_b64 exec, exec, s[6:7]
	s_and_saveexec_b64 s[6:7], s[4:5]
	s_cbranch_execnz .LBB53_919
	s_branch .LBB53_920
.LBB53_2969:
	s_movk_i32 s4, 0x80
	v_cmp_eq_u16_sdwa s[12:13], v6, s4 src0_sel:BYTE_3 src1_sel:DWORD
	s_mov_b64 s[4:5], -1
                                        ; implicit-def: $sgpr10
	s_and_saveexec_b64 s[8:9], s[12:13]
; %bb.2970:
	s_mov_b32 s10, 0x7f800001
	s_xor_b64 s[4:5], exec, -1
; %bb.2971:
	s_or_b64 exec, exec, s[8:9]
	s_and_b64 s[4:5], s[4:5], exec
	s_or_saveexec_b64 s[6:7], s[6:7]
	v_mov_b32_e32 v10, s10
	s_xor_b64 exec, exec, s[6:7]
	s_cbranch_execz .LBB53_922
.LBB53_2972:
	v_mov_b32_e32 v10, 0
	v_cmp_ne_u16_sdwa s[8:9], v6, v10 src0_sel:BYTE_3 src1_sel:DWORD
	s_andn2_b64 s[4:5], s[4:5], exec
	s_and_b64 s[8:9], s[8:9], exec
	s_or_b64 s[4:5], s[4:5], s[8:9]
	s_or_b64 exec, exec, s[6:7]
	s_and_saveexec_b64 s[6:7], s[4:5]
	s_cbranch_execnz .LBB53_923
	s_branch .LBB53_924
.LBB53_2973:
	s_movk_i32 s4, 0x80
	v_cmp_eq_u16_sdwa s[12:13], v2, s4 src0_sel:BYTE_3 src1_sel:DWORD
	s_mov_b64 s[4:5], -1
                                        ; implicit-def: $sgpr10
	s_and_saveexec_b64 s[8:9], s[12:13]
; %bb.2974:
	s_mov_b32 s10, 0x7f800001
	s_xor_b64 s[4:5], exec, -1
; %bb.2975:
	s_or_b64 exec, exec, s[8:9]
	s_and_b64 s[4:5], s[4:5], exec
	s_or_saveexec_b64 s[6:7], s[6:7]
	v_mov_b32_e32 v6, s10
	s_xor_b64 exec, exec, s[6:7]
	s_cbranch_execz .LBB53_926
.LBB53_2976:
	v_mov_b32_e32 v6, 0
	v_cmp_ne_u16_sdwa s[8:9], v2, v6 src0_sel:BYTE_3 src1_sel:DWORD
	s_andn2_b64 s[4:5], s[4:5], exec
	s_and_b64 s[8:9], s[8:9], exec
	s_or_b64 s[4:5], s[4:5], s[8:9]
	s_or_b64 exec, exec, s[6:7]
	s_and_saveexec_b64 s[6:7], s[4:5]
	s_cbranch_execnz .LBB53_927
	s_branch .LBB53_928
.LBB53_2977:
	s_movk_i32 s4, 0x80
	v_cmp_eq_u16_sdwa s[12:13], v7, s4 src0_sel:BYTE_0 src1_sel:DWORD
	s_mov_b64 s[4:5], -1
                                        ; implicit-def: $sgpr10
	s_and_saveexec_b64 s[8:9], s[12:13]
; %bb.2978:
	s_mov_b32 s10, 0x7f800001
	s_xor_b64 s[4:5], exec, -1
; %bb.2979:
	s_or_b64 exec, exec, s[8:9]
	s_and_b64 s[4:5], s[4:5], exec
	s_or_saveexec_b64 s[6:7], s[6:7]
	v_mov_b32_e32 v2, s10
	s_xor_b64 exec, exec, s[6:7]
	s_cbranch_execz .LBB53_930
.LBB53_2980:
	v_mov_b32_e32 v2, 0
	v_cmp_ne_u16_sdwa s[8:9], v7, v2 src0_sel:BYTE_0 src1_sel:DWORD
	s_andn2_b64 s[4:5], s[4:5], exec
	s_and_b64 s[8:9], s[8:9], exec
	s_or_b64 s[4:5], s[4:5], s[8:9]
	s_or_b64 exec, exec, s[6:7]
	s_and_saveexec_b64 s[6:7], s[4:5]
	s_cbranch_execnz .LBB53_931
	s_branch .LBB53_932
.LBB53_2981:
	s_movk_i32 s4, 0x80
	v_cmp_eq_u16_sdwa s[12:13], v3, s4 src0_sel:BYTE_0 src1_sel:DWORD
	s_mov_b64 s[4:5], -1
                                        ; implicit-def: $sgpr10
	s_and_saveexec_b64 s[8:9], s[12:13]
; %bb.2982:
	s_mov_b32 s10, 0x7f800001
	s_xor_b64 s[4:5], exec, -1
; %bb.2983:
	s_or_b64 exec, exec, s[8:9]
	s_and_b64 s[4:5], s[4:5], exec
	s_or_saveexec_b64 s[6:7], s[6:7]
	v_mov_b32_e32 v6, s10
	s_xor_b64 exec, exec, s[6:7]
	s_cbranch_execz .LBB53_934
.LBB53_2984:
	v_mov_b32_e32 v6, 0
	v_cmp_ne_u16_sdwa s[8:9], v3, v6 src0_sel:BYTE_0 src1_sel:DWORD
	s_andn2_b64 s[4:5], s[4:5], exec
	s_and_b64 s[8:9], s[8:9], exec
	s_or_b64 s[4:5], s[4:5], s[8:9]
	s_or_b64 exec, exec, s[6:7]
	s_and_saveexec_b64 s[6:7], s[4:5]
	s_cbranch_execnz .LBB53_935
	s_branch .LBB53_936
.LBB53_2985:
	s_movk_i32 s4, 0x80
	v_cmp_eq_u16_sdwa s[12:13], v6, s4 src0_sel:BYTE_0 src1_sel:DWORD
	s_mov_b64 s[4:5], -1
                                        ; implicit-def: $sgpr10
	s_and_saveexec_b64 s[8:9], s[12:13]
; %bb.2986:
	s_mov_b32 s10, 0x7f800001
	s_xor_b64 s[4:5], exec, -1
; %bb.2987:
	s_or_b64 exec, exec, s[8:9]
	s_and_b64 s[4:5], s[4:5], exec
	s_or_saveexec_b64 s[6:7], s[6:7]
	v_mov_b32_e32 v2, s10
	s_xor_b64 exec, exec, s[6:7]
	s_cbranch_execz .LBB53_938
.LBB53_2988:
	v_mov_b32_e32 v2, 0
	v_cmp_ne_u16_sdwa s[8:9], v6, v2 src0_sel:BYTE_0 src1_sel:DWORD
	s_andn2_b64 s[4:5], s[4:5], exec
	s_and_b64 s[8:9], s[8:9], exec
	s_or_b64 s[4:5], s[4:5], s[8:9]
	s_or_b64 exec, exec, s[6:7]
	s_and_saveexec_b64 s[6:7], s[4:5]
	s_cbranch_execnz .LBB53_939
	s_branch .LBB53_940
.LBB53_2989:
	s_movk_i32 s4, 0x80
	v_cmp_eq_u16_sdwa s[12:13], v6, s4 src0_sel:BYTE_0 src1_sel:DWORD
	s_mov_b64 s[4:5], -1
                                        ; implicit-def: $sgpr10
	s_and_saveexec_b64 s[8:9], s[12:13]
; %bb.2990:
	s_mov_b32 s10, 0x7f800001
	s_xor_b64 s[4:5], exec, -1
; %bb.2991:
	s_or_b64 exec, exec, s[8:9]
	s_and_b64 s[4:5], s[4:5], exec
	s_or_saveexec_b64 s[6:7], s[6:7]
	v_mov_b32_e32 v10, s10
	s_xor_b64 exec, exec, s[6:7]
	s_cbranch_execz .LBB53_942
.LBB53_2992:
	v_mov_b32_e32 v10, 0
	v_cmp_ne_u16_sdwa s[8:9], v6, v10 src0_sel:BYTE_0 src1_sel:DWORD
	s_andn2_b64 s[4:5], s[4:5], exec
	s_and_b64 s[8:9], s[8:9], exec
	s_or_b64 s[4:5], s[4:5], s[8:9]
	s_or_b64 exec, exec, s[6:7]
	s_and_saveexec_b64 s[6:7], s[4:5]
	s_cbranch_execnz .LBB53_943
	s_branch .LBB53_944
.LBB53_2993:
	s_movk_i32 s4, 0x80
	v_cmp_eq_u16_e32 vcc, s4, v6
	s_mov_b64 s[4:5], -1
                                        ; implicit-def: $sgpr10
	s_and_saveexec_b64 s[8:9], vcc
; %bb.2994:
	s_mov_b32 s10, 0x7f800001
	s_xor_b64 s[4:5], exec, -1
; %bb.2995:
	s_or_b64 exec, exec, s[8:9]
	s_and_b64 s[4:5], s[4:5], exec
                                        ; implicit-def: $vgpr6
	s_or_saveexec_b64 s[6:7], s[6:7]
	v_mov_b32_e32 v2, s10
	s_xor_b64 exec, exec, s[6:7]
	s_cbranch_execz .LBB53_946
.LBB53_2996:
	v_cmp_ne_u16_e32 vcc, 0, v6
	s_andn2_b64 s[4:5], s[4:5], exec
	s_and_b64 s[8:9], vcc, exec
	v_mov_b32_e32 v2, 0
	s_or_b64 s[4:5], s[4:5], s[8:9]
	s_or_b64 exec, exec, s[6:7]
	s_and_saveexec_b64 s[6:7], s[4:5]
	s_cbranch_execnz .LBB53_947
	s_branch .LBB53_948
.LBB53_2997:
	s_movk_i32 s4, 0x80
	v_cmp_eq_u16_e32 vcc, s4, v6
	s_mov_b64 s[4:5], -1
                                        ; implicit-def: $sgpr10
	s_and_saveexec_b64 s[8:9], vcc
; %bb.2998:
	s_mov_b32 s10, 0x7f800001
	s_xor_b64 s[4:5], exec, -1
; %bb.2999:
	s_or_b64 exec, exec, s[8:9]
	s_and_b64 s[4:5], s[4:5], exec
                                        ; implicit-def: $vgpr6
	s_or_saveexec_b64 s[6:7], s[6:7]
	v_mov_b32_e32 v10, s10
	s_xor_b64 exec, exec, s[6:7]
	s_cbranch_execz .LBB53_950
.LBB53_3000:
	v_cmp_ne_u16_e32 vcc, 0, v6
	s_andn2_b64 s[4:5], s[4:5], exec
	s_and_b64 s[8:9], vcc, exec
	v_mov_b32_e32 v10, 0
	s_or_b64 s[4:5], s[4:5], s[8:9]
	s_or_b64 exec, exec, s[6:7]
	s_and_saveexec_b64 s[6:7], s[4:5]
	s_cbranch_execnz .LBB53_951
	s_branch .LBB53_952
.LBB53_3001:
	s_movk_i32 s4, 0x80
	v_cmp_eq_u16_sdwa s[12:13], v7, s4 src0_sel:BYTE_3 src1_sel:DWORD
	s_mov_b64 s[4:5], -1
                                        ; implicit-def: $sgpr10
	s_and_saveexec_b64 s[8:9], s[12:13]
; %bb.3002:
	s_mov_b32 s10, 0x7f800001
	s_xor_b64 s[4:5], exec, -1
; %bb.3003:
	s_or_b64 exec, exec, s[8:9]
	s_and_b64 s[4:5], s[4:5], exec
	s_or_saveexec_b64 s[6:7], s[6:7]
	v_mov_b32_e32 v2, s10
	s_xor_b64 exec, exec, s[6:7]
	s_cbranch_execz .LBB53_954
.LBB53_3004:
	v_mov_b32_e32 v2, 0
	v_cmp_ne_u16_sdwa s[8:9], v7, v2 src0_sel:BYTE_3 src1_sel:DWORD
	s_andn2_b64 s[4:5], s[4:5], exec
	s_and_b64 s[8:9], s[8:9], exec
	s_or_b64 s[4:5], s[4:5], s[8:9]
	s_or_b64 exec, exec, s[6:7]
	s_and_saveexec_b64 s[6:7], s[4:5]
	s_cbranch_execnz .LBB53_955
	s_branch .LBB53_956
.LBB53_3005:
	s_movk_i32 s4, 0x80
	v_cmp_eq_u16_sdwa s[12:13], v3, s4 src0_sel:BYTE_3 src1_sel:DWORD
	s_mov_b64 s[4:5], -1
                                        ; implicit-def: $sgpr10
	s_and_saveexec_b64 s[8:9], s[12:13]
; %bb.3006:
	s_mov_b32 s10, 0x7f800001
	s_xor_b64 s[4:5], exec, -1
; %bb.3007:
	s_or_b64 exec, exec, s[8:9]
	s_and_b64 s[4:5], s[4:5], exec
	s_or_saveexec_b64 s[6:7], s[6:7]
	v_mov_b32_e32 v6, s10
	s_xor_b64 exec, exec, s[6:7]
	s_cbranch_execz .LBB53_958
.LBB53_3008:
	v_mov_b32_e32 v6, 0
	v_cmp_ne_u16_sdwa s[8:9], v3, v6 src0_sel:BYTE_3 src1_sel:DWORD
	s_andn2_b64 s[4:5], s[4:5], exec
	s_and_b64 s[8:9], s[8:9], exec
	s_or_b64 s[4:5], s[4:5], s[8:9]
	s_or_b64 exec, exec, s[6:7]
	s_and_saveexec_b64 s[6:7], s[4:5]
	s_cbranch_execnz .LBB53_959
	s_branch .LBB53_960
.LBB53_3009:
	s_movk_i32 s4, 0x80
	v_cmp_eq_u16_sdwa s[12:13], v8, s4 src0_sel:BYTE_0 src1_sel:DWORD
	s_mov_b64 s[4:5], -1
                                        ; implicit-def: $sgpr10
	s_and_saveexec_b64 s[8:9], s[12:13]
; %bb.3010:
	s_mov_b32 s10, 0x7f800001
	s_xor_b64 s[4:5], exec, -1
; %bb.3011:
	s_or_b64 exec, exec, s[8:9]
	s_and_b64 s[4:5], s[4:5], exec
	s_or_saveexec_b64 s[6:7], s[6:7]
	v_mov_b32_e32 v2, s10
	s_xor_b64 exec, exec, s[6:7]
	s_cbranch_execz .LBB53_962
.LBB53_3012:
	v_mov_b32_e32 v2, 0
	v_cmp_ne_u16_sdwa s[8:9], v8, v2 src0_sel:BYTE_0 src1_sel:DWORD
	s_andn2_b64 s[4:5], s[4:5], exec
	s_and_b64 s[8:9], s[8:9], exec
	s_or_b64 s[4:5], s[4:5], s[8:9]
	s_or_b64 exec, exec, s[6:7]
	s_and_saveexec_b64 s[6:7], s[4:5]
	s_cbranch_execnz .LBB53_963
	s_branch .LBB53_964
.LBB53_3013:
	s_movk_i32 s4, 0x80
	v_cmp_eq_u16_sdwa s[12:13], v4, s4 src0_sel:BYTE_0 src1_sel:DWORD
	s_mov_b64 s[4:5], -1
                                        ; implicit-def: $sgpr10
	s_and_saveexec_b64 s[8:9], s[12:13]
; %bb.3014:
	s_mov_b32 s10, 0x7f800001
	s_xor_b64 s[4:5], exec, -1
; %bb.3015:
	s_or_b64 exec, exec, s[8:9]
	s_and_b64 s[4:5], s[4:5], exec
	s_or_saveexec_b64 s[6:7], s[6:7]
	v_mov_b32_e32 v3, s10
	s_xor_b64 exec, exec, s[6:7]
	s_cbranch_execz .LBB53_966
.LBB53_3016:
	v_mov_b32_e32 v3, 0
	v_cmp_ne_u16_sdwa s[8:9], v4, v3 src0_sel:BYTE_0 src1_sel:DWORD
	s_andn2_b64 s[4:5], s[4:5], exec
	s_and_b64 s[8:9], s[8:9], exec
	s_or_b64 s[4:5], s[4:5], s[8:9]
	s_or_b64 exec, exec, s[6:7]
	s_and_saveexec_b64 s[6:7], s[4:5]
	s_cbranch_execnz .LBB53_967
	s_branch .LBB53_968
.LBB53_3017:
	s_movk_i32 s4, 0x80
	v_cmp_eq_u16_sdwa s[12:13], v3, s4 src0_sel:BYTE_0 src1_sel:DWORD
	s_mov_b64 s[4:5], -1
                                        ; implicit-def: $sgpr10
	s_and_saveexec_b64 s[8:9], s[12:13]
; %bb.3018:
	s_mov_b32 s10, 0x7f800001
	s_xor_b64 s[4:5], exec, -1
; %bb.3019:
	s_or_b64 exec, exec, s[8:9]
	s_and_b64 s[4:5], s[4:5], exec
	s_or_saveexec_b64 s[6:7], s[6:7]
	v_mov_b32_e32 v2, s10
	s_xor_b64 exec, exec, s[6:7]
	s_cbranch_execz .LBB53_970
.LBB53_3020:
	v_mov_b32_e32 v2, 0
	v_cmp_ne_u16_sdwa s[8:9], v3, v2 src0_sel:BYTE_0 src1_sel:DWORD
	s_andn2_b64 s[4:5], s[4:5], exec
	s_and_b64 s[8:9], s[8:9], exec
	s_or_b64 s[4:5], s[4:5], s[8:9]
	s_or_b64 exec, exec, s[6:7]
	s_and_saveexec_b64 s[6:7], s[4:5]
	s_cbranch_execnz .LBB53_971
	s_branch .LBB53_972
.LBB53_3021:
	s_movk_i32 s4, 0x80
	v_cmp_eq_u16_sdwa s[12:13], v3, s4 src0_sel:BYTE_0 src1_sel:DWORD
	s_mov_b64 s[4:5], -1
                                        ; implicit-def: $sgpr10
	s_and_saveexec_b64 s[8:9], s[12:13]
; %bb.3022:
	s_mov_b32 s10, 0x7f800001
	s_xor_b64 s[4:5], exec, -1
; %bb.3023:
	s_or_b64 exec, exec, s[8:9]
	s_and_b64 s[4:5], s[4:5], exec
	s_or_saveexec_b64 s[6:7], s[6:7]
	v_mov_b32_e32 v6, s10
	s_xor_b64 exec, exec, s[6:7]
	s_cbranch_execz .LBB53_974
.LBB53_3024:
	v_mov_b32_e32 v6, 0
	v_cmp_ne_u16_sdwa s[8:9], v3, v6 src0_sel:BYTE_0 src1_sel:DWORD
	s_andn2_b64 s[4:5], s[4:5], exec
	s_and_b64 s[8:9], s[8:9], exec
	s_or_b64 s[4:5], s[4:5], s[8:9]
	s_or_b64 exec, exec, s[6:7]
	s_and_saveexec_b64 s[6:7], s[4:5]
	s_cbranch_execnz .LBB53_975
	s_branch .LBB53_976
.LBB53_3025:
	s_movk_i32 s4, 0x80
	v_cmp_eq_u16_e32 vcc, s4, v3
	s_mov_b64 s[4:5], -1
                                        ; implicit-def: $sgpr10
	s_and_saveexec_b64 s[8:9], vcc
; %bb.3026:
	s_mov_b32 s10, 0x7f800001
	s_xor_b64 s[4:5], exec, -1
; %bb.3027:
	s_or_b64 exec, exec, s[8:9]
	s_and_b64 s[4:5], s[4:5], exec
                                        ; implicit-def: $vgpr3
	s_or_saveexec_b64 s[6:7], s[6:7]
	v_mov_b32_e32 v2, s10
	s_xor_b64 exec, exec, s[6:7]
	s_cbranch_execz .LBB53_978
.LBB53_3028:
	v_cmp_ne_u16_e32 vcc, 0, v3
	s_andn2_b64 s[4:5], s[4:5], exec
	s_and_b64 s[8:9], vcc, exec
	v_mov_b32_e32 v2, 0
	s_or_b64 s[4:5], s[4:5], s[8:9]
	s_or_b64 exec, exec, s[6:7]
	s_and_saveexec_b64 s[6:7], s[4:5]
	s_cbranch_execnz .LBB53_979
	s_branch .LBB53_980
.LBB53_3029:
	s_movk_i32 s4, 0x80
	v_cmp_eq_u16_e32 vcc, s4, v3
	s_mov_b64 s[4:5], -1
                                        ; implicit-def: $sgpr10
	s_and_saveexec_b64 s[8:9], vcc
; %bb.3030:
	s_mov_b32 s10, 0x7f800001
	s_xor_b64 s[4:5], exec, -1
; %bb.3031:
	s_or_b64 exec, exec, s[8:9]
	s_and_b64 s[4:5], s[4:5], exec
                                        ; implicit-def: $vgpr3
	s_or_saveexec_b64 s[6:7], s[6:7]
	v_mov_b32_e32 v6, s10
	s_xor_b64 exec, exec, s[6:7]
	s_cbranch_execz .LBB53_982
.LBB53_3032:
	v_cmp_ne_u16_e32 vcc, 0, v3
	s_andn2_b64 s[4:5], s[4:5], exec
	s_and_b64 s[8:9], vcc, exec
	v_mov_b32_e32 v6, 0
	s_or_b64 s[4:5], s[4:5], s[8:9]
	s_or_b64 exec, exec, s[6:7]
	s_and_saveexec_b64 s[6:7], s[4:5]
	s_cbranch_execnz .LBB53_983
	s_branch .LBB53_984
.LBB53_3033:
	s_movk_i32 s4, 0x80
	v_cmp_eq_u16_sdwa s[12:13], v8, s4 src0_sel:BYTE_3 src1_sel:DWORD
	s_mov_b64 s[4:5], -1
                                        ; implicit-def: $sgpr10
	s_and_saveexec_b64 s[8:9], s[12:13]
; %bb.3034:
	s_mov_b32 s10, 0x7f800001
	s_xor_b64 s[4:5], exec, -1
; %bb.3035:
	s_or_b64 exec, exec, s[8:9]
	s_and_b64 s[4:5], s[4:5], exec
	s_or_saveexec_b64 s[6:7], s[6:7]
	v_mov_b32_e32 v2, s10
	s_xor_b64 exec, exec, s[6:7]
	s_cbranch_execz .LBB53_986
.LBB53_3036:
	v_mov_b32_e32 v2, 0
	v_cmp_ne_u16_sdwa s[8:9], v8, v2 src0_sel:BYTE_3 src1_sel:DWORD
	s_andn2_b64 s[4:5], s[4:5], exec
	s_and_b64 s[8:9], s[8:9], exec
	s_or_b64 s[4:5], s[4:5], s[8:9]
	s_or_b64 exec, exec, s[6:7]
	s_and_saveexec_b64 s[6:7], s[4:5]
	s_cbranch_execnz .LBB53_987
	s_branch .LBB53_988
.LBB53_3037:
	s_movk_i32 s4, 0x80
	v_cmp_eq_u16_sdwa s[12:13], v4, s4 src0_sel:BYTE_3 src1_sel:DWORD
	s_mov_b64 s[4:5], -1
                                        ; implicit-def: $sgpr10
	s_and_saveexec_b64 s[8:9], s[12:13]
; %bb.3038:
	s_mov_b32 s10, 0x7f800001
	s_xor_b64 s[4:5], exec, -1
; %bb.3039:
	s_or_b64 exec, exec, s[8:9]
	s_and_b64 s[4:5], s[4:5], exec
	s_or_saveexec_b64 s[6:7], s[6:7]
	v_mov_b32_e32 v3, s10
	s_xor_b64 exec, exec, s[6:7]
	s_cbranch_execz .LBB53_990
.LBB53_3040:
	v_mov_b32_e32 v3, 0
	v_cmp_ne_u16_sdwa s[8:9], v4, v3 src0_sel:BYTE_3 src1_sel:DWORD
	s_andn2_b64 s[4:5], s[4:5], exec
	s_and_b64 s[8:9], s[8:9], exec
	s_or_b64 s[4:5], s[4:5], s[8:9]
	s_or_b64 exec, exec, s[6:7]
	s_and_saveexec_b64 s[6:7], s[4:5]
	s_cbranch_execnz .LBB53_991
	s_branch .LBB53_992
.LBB53_3041:
	s_movk_i32 s4, 0x80
	v_cmp_eq_u16_sdwa s[12:13], v9, s4 src0_sel:BYTE_0 src1_sel:DWORD
	s_mov_b64 s[4:5], -1
                                        ; implicit-def: $sgpr10
	s_and_saveexec_b64 s[8:9], s[12:13]
; %bb.3042:
	s_mov_b32 s10, 0x7f800001
	s_xor_b64 s[4:5], exec, -1
; %bb.3043:
	s_or_b64 exec, exec, s[8:9]
	s_and_b64 s[4:5], s[4:5], exec
	s_or_saveexec_b64 s[6:7], s[6:7]
	v_mov_b32_e32 v2, s10
	s_xor_b64 exec, exec, s[6:7]
	s_cbranch_execz .LBB53_994
.LBB53_3044:
	v_mov_b32_e32 v2, 0
	v_cmp_ne_u16_sdwa s[8:9], v9, v2 src0_sel:BYTE_0 src1_sel:DWORD
	s_andn2_b64 s[4:5], s[4:5], exec
	s_and_b64 s[8:9], s[8:9], exec
	s_or_b64 s[4:5], s[4:5], s[8:9]
	s_or_b64 exec, exec, s[6:7]
	s_and_saveexec_b64 s[6:7], s[4:5]
	s_cbranch_execnz .LBB53_995
	s_branch .LBB53_996
.LBB53_3045:
	s_movk_i32 s4, 0x80
	v_cmp_eq_u16_sdwa s[12:13], v5, s4 src0_sel:BYTE_0 src1_sel:DWORD
	s_mov_b64 s[4:5], -1
                                        ; implicit-def: $sgpr10
	s_and_saveexec_b64 s[8:9], s[12:13]
; %bb.3046:
	s_mov_b32 s10, 0x7f800001
	s_xor_b64 s[4:5], exec, -1
; %bb.3047:
	s_or_b64 exec, exec, s[8:9]
	s_and_b64 s[4:5], s[4:5], exec
	s_or_saveexec_b64 s[6:7], s[6:7]
	v_mov_b32_e32 v3, s10
	s_xor_b64 exec, exec, s[6:7]
	s_cbranch_execz .LBB53_998
.LBB53_3048:
	v_mov_b32_e32 v3, 0
	v_cmp_ne_u16_sdwa s[8:9], v5, v3 src0_sel:BYTE_0 src1_sel:DWORD
	s_andn2_b64 s[4:5], s[4:5], exec
	s_and_b64 s[8:9], s[8:9], exec
	s_or_b64 s[4:5], s[4:5], s[8:9]
	s_or_b64 exec, exec, s[6:7]
	s_and_saveexec_b64 s[6:7], s[4:5]
	s_cbranch_execnz .LBB53_999
	s_branch .LBB53_1000
.LBB53_3049:
	s_movk_i32 s4, 0x80
	v_cmp_eq_u16_sdwa s[12:13], v3, s4 src0_sel:BYTE_0 src1_sel:DWORD
	s_mov_b64 s[4:5], -1
                                        ; implicit-def: $sgpr10
	s_and_saveexec_b64 s[8:9], s[12:13]
; %bb.3050:
	s_mov_b32 s10, 0x7f800001
	s_xor_b64 s[4:5], exec, -1
; %bb.3051:
	s_or_b64 exec, exec, s[8:9]
	s_and_b64 s[4:5], s[4:5], exec
	s_or_saveexec_b64 s[6:7], s[6:7]
	v_mov_b32_e32 v2, s10
	s_xor_b64 exec, exec, s[6:7]
	s_cbranch_execz .LBB53_1002
.LBB53_3052:
	v_mov_b32_e32 v2, 0
	v_cmp_ne_u16_sdwa s[8:9], v3, v2 src0_sel:BYTE_0 src1_sel:DWORD
	s_andn2_b64 s[4:5], s[4:5], exec
	s_and_b64 s[8:9], s[8:9], exec
	s_or_b64 s[4:5], s[4:5], s[8:9]
	s_or_b64 exec, exec, s[6:7]
	s_and_saveexec_b64 s[6:7], s[4:5]
	s_cbranch_execnz .LBB53_1003
	s_branch .LBB53_1004
.LBB53_3053:
	s_movk_i32 s4, 0x80
	v_cmp_eq_u16_sdwa s[12:13], v3, s4 src0_sel:BYTE_0 src1_sel:DWORD
	s_mov_b64 s[4:5], -1
                                        ; implicit-def: $sgpr10
	s_and_saveexec_b64 s[8:9], s[12:13]
; %bb.3054:
	s_mov_b32 s10, 0x7f800001
	s_xor_b64 s[4:5], exec, -1
; %bb.3055:
	s_or_b64 exec, exec, s[8:9]
	s_and_b64 s[4:5], s[4:5], exec
	s_or_saveexec_b64 s[6:7], s[6:7]
	v_mov_b32_e32 v4, s10
	s_xor_b64 exec, exec, s[6:7]
	s_cbranch_execz .LBB53_1006
.LBB53_3056:
	v_mov_b32_e32 v4, 0
	v_cmp_ne_u16_sdwa s[8:9], v3, v4 src0_sel:BYTE_0 src1_sel:DWORD
	s_andn2_b64 s[4:5], s[4:5], exec
	s_and_b64 s[8:9], s[8:9], exec
	s_or_b64 s[4:5], s[4:5], s[8:9]
	s_or_b64 exec, exec, s[6:7]
	s_and_saveexec_b64 s[6:7], s[4:5]
	s_cbranch_execnz .LBB53_1007
	s_branch .LBB53_1008
.LBB53_3057:
	s_movk_i32 s4, 0x80
	v_cmp_eq_u16_e32 vcc, s4, v3
	s_mov_b64 s[4:5], -1
                                        ; implicit-def: $sgpr10
	s_and_saveexec_b64 s[8:9], vcc
; %bb.3058:
	s_mov_b32 s10, 0x7f800001
	s_xor_b64 s[4:5], exec, -1
; %bb.3059:
	s_or_b64 exec, exec, s[8:9]
	s_and_b64 s[4:5], s[4:5], exec
                                        ; implicit-def: $vgpr3
	s_or_saveexec_b64 s[6:7], s[6:7]
	v_mov_b32_e32 v2, s10
	s_xor_b64 exec, exec, s[6:7]
	s_cbranch_execz .LBB53_1010
.LBB53_3060:
	v_cmp_ne_u16_e32 vcc, 0, v3
	s_andn2_b64 s[4:5], s[4:5], exec
	s_and_b64 s[8:9], vcc, exec
	v_mov_b32_e32 v2, 0
	s_or_b64 s[4:5], s[4:5], s[8:9]
	s_or_b64 exec, exec, s[6:7]
	s_and_saveexec_b64 s[6:7], s[4:5]
	s_cbranch_execnz .LBB53_1011
	s_branch .LBB53_1012
.LBB53_3061:
	s_movk_i32 s4, 0x80
	v_cmp_eq_u16_e32 vcc, s4, v3
	s_mov_b64 s[4:5], -1
                                        ; implicit-def: $sgpr10
	s_and_saveexec_b64 s[8:9], vcc
; %bb.3062:
	s_mov_b32 s10, 0x7f800001
	s_xor_b64 s[4:5], exec, -1
; %bb.3063:
	s_or_b64 exec, exec, s[8:9]
	s_and_b64 s[4:5], s[4:5], exec
                                        ; implicit-def: $vgpr3
	s_or_saveexec_b64 s[6:7], s[6:7]
	v_mov_b32_e32 v4, s10
	s_xor_b64 exec, exec, s[6:7]
	s_cbranch_execz .LBB53_1014
.LBB53_3064:
	v_cmp_ne_u16_e32 vcc, 0, v3
	s_andn2_b64 s[4:5], s[4:5], exec
	s_and_b64 s[8:9], vcc, exec
	v_mov_b32_e32 v4, 0
	s_or_b64 s[4:5], s[4:5], s[8:9]
	s_or_b64 exec, exec, s[6:7]
	s_and_saveexec_b64 s[6:7], s[4:5]
	s_cbranch_execnz .LBB53_1015
	s_branch .LBB53_1016
.LBB53_3065:
	s_movk_i32 s4, 0x80
	v_cmp_eq_u16_sdwa s[12:13], v9, s4 src0_sel:BYTE_3 src1_sel:DWORD
	s_mov_b64 s[4:5], -1
                                        ; implicit-def: $sgpr10
	s_and_saveexec_b64 s[8:9], s[12:13]
; %bb.3066:
	s_mov_b32 s10, 0x7f800001
	s_xor_b64 s[4:5], exec, -1
; %bb.3067:
	s_or_b64 exec, exec, s[8:9]
	s_and_b64 s[4:5], s[4:5], exec
	s_or_saveexec_b64 s[6:7], s[6:7]
	v_mov_b32_e32 v2, s10
	s_xor_b64 exec, exec, s[6:7]
	s_cbranch_execz .LBB53_1018
.LBB53_3068:
	v_mov_b32_e32 v2, 0
	v_cmp_ne_u16_sdwa s[8:9], v9, v2 src0_sel:BYTE_3 src1_sel:DWORD
	s_andn2_b64 s[4:5], s[4:5], exec
	s_and_b64 s[8:9], s[8:9], exec
	s_or_b64 s[4:5], s[4:5], s[8:9]
	s_or_b64 exec, exec, s[6:7]
	s_and_saveexec_b64 s[6:7], s[4:5]
	s_cbranch_execnz .LBB53_1019
	s_branch .LBB53_1020
.LBB53_3069:
	s_movk_i32 s4, 0x80
	v_cmp_eq_u16_sdwa s[12:13], v5, s4 src0_sel:BYTE_3 src1_sel:DWORD
	s_mov_b64 s[4:5], -1
                                        ; implicit-def: $sgpr10
	s_and_saveexec_b64 s[8:9], s[12:13]
; %bb.3070:
	s_mov_b32 s10, 0x7f800001
	s_xor_b64 s[4:5], exec, -1
; %bb.3071:
	s_or_b64 exec, exec, s[8:9]
	s_and_b64 s[4:5], s[4:5], exec
	s_or_saveexec_b64 s[6:7], s[6:7]
	v_mov_b32_e32 v3, s10
	s_xor_b64 exec, exec, s[6:7]
	s_cbranch_execz .LBB53_1022
.LBB53_3072:
	v_mov_b32_e32 v3, 0
	v_cmp_ne_u16_sdwa s[8:9], v5, v3 src0_sel:BYTE_3 src1_sel:DWORD
	s_andn2_b64 s[4:5], s[4:5], exec
	s_and_b64 s[8:9], s[8:9], exec
	s_or_b64 s[4:5], s[4:5], s[8:9]
	s_or_b64 exec, exec, s[6:7]
	s_and_saveexec_b64 s[6:7], s[4:5]
	s_cbranch_execnz .LBB53_1023
	s_branch .LBB53_1024
.LBB53_3073:
	s_movk_i32 s4, 0x80
	v_cmp_eq_u16_sdwa s[12:13], v14, s4 src0_sel:BYTE_0 src1_sel:DWORD
	s_mov_b64 s[4:5], -1
                                        ; implicit-def: $sgpr10
	s_and_saveexec_b64 s[8:9], s[12:13]
; %bb.3074:
	s_mov_b32 s10, 0x7f800001
	s_xor_b64 s[4:5], exec, -1
; %bb.3075:
	s_or_b64 exec, exec, s[8:9]
	s_and_b64 s[4:5], s[4:5], exec
	s_or_saveexec_b64 s[6:7], s[6:7]
	v_mov_b32_e32 v20, s10
	s_xor_b64 exec, exec, s[6:7]
	s_cbranch_execz .LBB53_1026
.LBB53_3076:
	v_mov_b32_e32 v20, 0
	v_cmp_ne_u16_sdwa s[8:9], v14, v20 src0_sel:BYTE_0 src1_sel:DWORD
	s_andn2_b64 s[4:5], s[4:5], exec
	s_and_b64 s[8:9], s[8:9], exec
	s_or_b64 s[4:5], s[4:5], s[8:9]
	s_or_b64 exec, exec, s[6:7]
	s_and_saveexec_b64 s[6:7], s[4:5]
	s_cbranch_execnz .LBB53_1027
	s_branch .LBB53_1028
.LBB53_3077:
	s_movk_i32 s4, 0x80
	v_cmp_eq_u16_sdwa s[12:13], v10, s4 src0_sel:BYTE_0 src1_sel:DWORD
	s_mov_b64 s[4:5], -1
                                        ; implicit-def: $sgpr10
	s_and_saveexec_b64 s[8:9], s[12:13]
; %bb.3078:
	s_mov_b32 s10, 0x7f800001
	s_xor_b64 s[4:5], exec, -1
; %bb.3079:
	s_or_b64 exec, exec, s[8:9]
	s_and_b64 s[4:5], s[4:5], exec
	s_or_saveexec_b64 s[6:7], s[6:7]
	v_mov_b32_e32 v21, s10
	s_xor_b64 exec, exec, s[6:7]
	s_cbranch_execz .LBB53_1030
.LBB53_3080:
	v_mov_b32_e32 v21, 0
	v_cmp_ne_u16_sdwa s[8:9], v10, v21 src0_sel:BYTE_0 src1_sel:DWORD
	s_andn2_b64 s[4:5], s[4:5], exec
	s_and_b64 s[8:9], s[8:9], exec
	s_or_b64 s[4:5], s[4:5], s[8:9]
	s_or_b64 exec, exec, s[6:7]
	s_and_saveexec_b64 s[6:7], s[4:5]
	s_cbranch_execnz .LBB53_1031
	s_branch .LBB53_1032
.LBB53_3081:
	s_movk_i32 s4, 0x80
	v_cmp_eq_u16_sdwa s[12:13], v21, s4 src0_sel:BYTE_0 src1_sel:DWORD
	s_mov_b64 s[4:5], -1
                                        ; implicit-def: $sgpr10
	s_and_saveexec_b64 s[8:9], s[12:13]
; %bb.3082:
	s_mov_b32 s10, 0x7f800001
	s_xor_b64 s[4:5], exec, -1
; %bb.3083:
	s_or_b64 exec, exec, s[8:9]
	s_and_b64 s[4:5], s[4:5], exec
	s_or_saveexec_b64 s[6:7], s[6:7]
	v_mov_b32_e32 v20, s10
	s_xor_b64 exec, exec, s[6:7]
	s_cbranch_execz .LBB53_1034
.LBB53_3084:
	v_mov_b32_e32 v20, 0
	v_cmp_ne_u16_sdwa s[8:9], v21, v20 src0_sel:BYTE_0 src1_sel:DWORD
	s_andn2_b64 s[4:5], s[4:5], exec
	s_and_b64 s[8:9], s[8:9], exec
	s_or_b64 s[4:5], s[4:5], s[8:9]
	s_or_b64 exec, exec, s[6:7]
	s_and_saveexec_b64 s[6:7], s[4:5]
	s_cbranch_execnz .LBB53_1035
	s_branch .LBB53_1036
.LBB53_3085:
	s_movk_i32 s4, 0x80
	v_cmp_eq_u16_sdwa s[12:13], v21, s4 src0_sel:BYTE_0 src1_sel:DWORD
	s_mov_b64 s[4:5], -1
                                        ; implicit-def: $sgpr10
	s_and_saveexec_b64 s[8:9], s[12:13]
; %bb.3086:
	s_mov_b32 s10, 0x7f800001
	s_xor_b64 s[4:5], exec, -1
; %bb.3087:
	s_or_b64 exec, exec, s[8:9]
	s_and_b64 s[4:5], s[4:5], exec
	s_or_saveexec_b64 s[6:7], s[6:7]
	v_mov_b32_e32 v22, s10
	s_xor_b64 exec, exec, s[6:7]
	s_cbranch_execz .LBB53_1038
.LBB53_3088:
	v_mov_b32_e32 v22, 0
	v_cmp_ne_u16_sdwa s[8:9], v21, v22 src0_sel:BYTE_0 src1_sel:DWORD
	s_andn2_b64 s[4:5], s[4:5], exec
	s_and_b64 s[8:9], s[8:9], exec
	s_or_b64 s[4:5], s[4:5], s[8:9]
	s_or_b64 exec, exec, s[6:7]
	s_and_saveexec_b64 s[6:7], s[4:5]
	s_cbranch_execnz .LBB53_1039
	s_branch .LBB53_1040
.LBB53_3089:
	s_movk_i32 s4, 0x80
	v_cmp_eq_u16_e32 vcc, s4, v21
	s_mov_b64 s[4:5], -1
                                        ; implicit-def: $sgpr10
	s_and_saveexec_b64 s[8:9], vcc
; %bb.3090:
	s_mov_b32 s10, 0x7f800001
	s_xor_b64 s[4:5], exec, -1
; %bb.3091:
	s_or_b64 exec, exec, s[8:9]
	s_and_b64 s[4:5], s[4:5], exec
                                        ; implicit-def: $vgpr21
	s_or_saveexec_b64 s[6:7], s[6:7]
	v_mov_b32_e32 v20, s10
	s_xor_b64 exec, exec, s[6:7]
	s_cbranch_execz .LBB53_1042
.LBB53_3092:
	v_cmp_ne_u16_e32 vcc, 0, v21
	s_andn2_b64 s[4:5], s[4:5], exec
	s_and_b64 s[8:9], vcc, exec
	v_mov_b32_e32 v20, 0
	s_or_b64 s[4:5], s[4:5], s[8:9]
	s_or_b64 exec, exec, s[6:7]
	s_and_saveexec_b64 s[6:7], s[4:5]
	s_cbranch_execnz .LBB53_1043
	s_branch .LBB53_1044
.LBB53_3093:
	s_movk_i32 s4, 0x80
	v_cmp_eq_u16_e32 vcc, s4, v21
	s_mov_b64 s[4:5], -1
                                        ; implicit-def: $sgpr10
	s_and_saveexec_b64 s[8:9], vcc
; %bb.3094:
	s_mov_b32 s10, 0x7f800001
	s_xor_b64 s[4:5], exec, -1
; %bb.3095:
	s_or_b64 exec, exec, s[8:9]
	s_and_b64 s[4:5], s[4:5], exec
                                        ; implicit-def: $vgpr21
	s_or_saveexec_b64 s[6:7], s[6:7]
	v_mov_b32_e32 v22, s10
	s_xor_b64 exec, exec, s[6:7]
	s_cbranch_execz .LBB53_1046
.LBB53_3096:
	v_cmp_ne_u16_e32 vcc, 0, v21
	s_andn2_b64 s[4:5], s[4:5], exec
	s_and_b64 s[8:9], vcc, exec
	v_mov_b32_e32 v22, 0
	s_or_b64 s[4:5], s[4:5], s[8:9]
	s_or_b64 exec, exec, s[6:7]
	s_and_saveexec_b64 s[6:7], s[4:5]
	s_cbranch_execnz .LBB53_1047
	s_branch .LBB53_1048
.LBB53_3097:
	s_movk_i32 s4, 0x80
	v_cmp_eq_u16_sdwa s[12:13], v14, s4 src0_sel:BYTE_3 src1_sel:DWORD
	s_mov_b64 s[4:5], -1
                                        ; implicit-def: $sgpr10
	s_and_saveexec_b64 s[8:9], s[12:13]
; %bb.3098:
	s_mov_b32 s10, 0x7f800001
	s_xor_b64 s[4:5], exec, -1
; %bb.3099:
	s_or_b64 exec, exec, s[8:9]
	s_and_b64 s[4:5], s[4:5], exec
	s_or_saveexec_b64 s[6:7], s[6:7]
	v_mov_b32_e32 v20, s10
	s_xor_b64 exec, exec, s[6:7]
	s_cbranch_execz .LBB53_1050
.LBB53_3100:
	v_mov_b32_e32 v20, 0
	v_cmp_ne_u16_sdwa s[8:9], v14, v20 src0_sel:BYTE_3 src1_sel:DWORD
	s_andn2_b64 s[4:5], s[4:5], exec
	s_and_b64 s[8:9], s[8:9], exec
	s_or_b64 s[4:5], s[4:5], s[8:9]
	s_or_b64 exec, exec, s[6:7]
	s_and_saveexec_b64 s[6:7], s[4:5]
	s_cbranch_execnz .LBB53_1051
	s_branch .LBB53_1052
.LBB53_3101:
	s_movk_i32 s4, 0x80
	v_cmp_eq_u16_sdwa s[12:13], v10, s4 src0_sel:BYTE_3 src1_sel:DWORD
	s_mov_b64 s[4:5], -1
                                        ; implicit-def: $sgpr10
	s_and_saveexec_b64 s[8:9], s[12:13]
; %bb.3102:
	s_mov_b32 s10, 0x7f800001
	s_xor_b64 s[4:5], exec, -1
; %bb.3103:
	s_or_b64 exec, exec, s[8:9]
	s_and_b64 s[4:5], s[4:5], exec
	s_or_saveexec_b64 s[6:7], s[6:7]
	v_mov_b32_e32 v14, s10
	s_xor_b64 exec, exec, s[6:7]
	s_cbranch_execz .LBB53_1054
.LBB53_3104:
	v_mov_b32_e32 v14, 0
	v_cmp_ne_u16_sdwa s[8:9], v10, v14 src0_sel:BYTE_3 src1_sel:DWORD
	s_andn2_b64 s[4:5], s[4:5], exec
	s_and_b64 s[8:9], s[8:9], exec
	s_or_b64 s[4:5], s[4:5], s[8:9]
	s_or_b64 exec, exec, s[6:7]
	s_and_saveexec_b64 s[6:7], s[4:5]
	s_cbranch_execnz .LBB53_1055
	s_branch .LBB53_1056
.LBB53_3105:
	s_movk_i32 s4, 0x80
	v_cmp_eq_u16_sdwa s[12:13], v15, s4 src0_sel:BYTE_0 src1_sel:DWORD
	s_mov_b64 s[4:5], -1
                                        ; implicit-def: $sgpr10
	s_and_saveexec_b64 s[8:9], s[12:13]
; %bb.3106:
	s_mov_b32 s10, 0x7f800001
	s_xor_b64 s[4:5], exec, -1
; %bb.3107:
	s_or_b64 exec, exec, s[8:9]
	s_and_b64 s[4:5], s[4:5], exec
	s_or_saveexec_b64 s[6:7], s[6:7]
	v_mov_b32_e32 v10, s10
	s_xor_b64 exec, exec, s[6:7]
	s_cbranch_execz .LBB53_1058
.LBB53_3108:
	v_mov_b32_e32 v10, 0
	v_cmp_ne_u16_sdwa s[8:9], v15, v10 src0_sel:BYTE_0 src1_sel:DWORD
	s_andn2_b64 s[4:5], s[4:5], exec
	s_and_b64 s[8:9], s[8:9], exec
	s_or_b64 s[4:5], s[4:5], s[8:9]
	s_or_b64 exec, exec, s[6:7]
	s_and_saveexec_b64 s[6:7], s[4:5]
	s_cbranch_execnz .LBB53_1059
	s_branch .LBB53_1060
.LBB53_3109:
	s_movk_i32 s4, 0x80
	v_cmp_eq_u16_sdwa s[12:13], v11, s4 src0_sel:BYTE_0 src1_sel:DWORD
	s_mov_b64 s[4:5], -1
                                        ; implicit-def: $sgpr10
	s_and_saveexec_b64 s[8:9], s[12:13]
; %bb.3110:
	s_mov_b32 s10, 0x7f800001
	s_xor_b64 s[4:5], exec, -1
; %bb.3111:
	s_or_b64 exec, exec, s[8:9]
	s_and_b64 s[4:5], s[4:5], exec
	s_or_saveexec_b64 s[6:7], s[6:7]
	v_mov_b32_e32 v14, s10
	s_xor_b64 exec, exec, s[6:7]
	s_cbranch_execz .LBB53_1062
.LBB53_3112:
	v_mov_b32_e32 v14, 0
	v_cmp_ne_u16_sdwa s[8:9], v11, v14 src0_sel:BYTE_0 src1_sel:DWORD
	s_andn2_b64 s[4:5], s[4:5], exec
	s_and_b64 s[8:9], s[8:9], exec
	s_or_b64 s[4:5], s[4:5], s[8:9]
	s_or_b64 exec, exec, s[6:7]
	s_and_saveexec_b64 s[6:7], s[4:5]
	s_cbranch_execnz .LBB53_1063
	s_branch .LBB53_1064
.LBB53_3113:
	s_movk_i32 s4, 0x80
	v_cmp_eq_u16_sdwa s[12:13], v14, s4 src0_sel:BYTE_0 src1_sel:DWORD
	s_mov_b64 s[4:5], -1
                                        ; implicit-def: $sgpr10
	s_and_saveexec_b64 s[8:9], s[12:13]
; %bb.3114:
	s_mov_b32 s10, 0x7f800001
	s_xor_b64 s[4:5], exec, -1
; %bb.3115:
	s_or_b64 exec, exec, s[8:9]
	s_and_b64 s[4:5], s[4:5], exec
	s_or_saveexec_b64 s[6:7], s[6:7]
	v_mov_b32_e32 v10, s10
	s_xor_b64 exec, exec, s[6:7]
	s_cbranch_execz .LBB53_1066
.LBB53_3116:
	v_mov_b32_e32 v10, 0
	v_cmp_ne_u16_sdwa s[8:9], v14, v10 src0_sel:BYTE_0 src1_sel:DWORD
	s_andn2_b64 s[4:5], s[4:5], exec
	s_and_b64 s[8:9], s[8:9], exec
	s_or_b64 s[4:5], s[4:5], s[8:9]
	s_or_b64 exec, exec, s[6:7]
	s_and_saveexec_b64 s[6:7], s[4:5]
	s_cbranch_execnz .LBB53_1067
	s_branch .LBB53_1068
.LBB53_3117:
	s_movk_i32 s4, 0x80
	v_cmp_eq_u16_sdwa s[12:13], v14, s4 src0_sel:BYTE_0 src1_sel:DWORD
	s_mov_b64 s[4:5], -1
                                        ; implicit-def: $sgpr10
	s_and_saveexec_b64 s[8:9], s[12:13]
; %bb.3118:
	s_mov_b32 s10, 0x7f800001
	s_xor_b64 s[4:5], exec, -1
; %bb.3119:
	s_or_b64 exec, exec, s[8:9]
	s_and_b64 s[4:5], s[4:5], exec
	s_or_saveexec_b64 s[6:7], s[6:7]
	v_mov_b32_e32 v20, s10
	s_xor_b64 exec, exec, s[6:7]
	s_cbranch_execz .LBB53_1070
.LBB53_3120:
	v_mov_b32_e32 v20, 0
	v_cmp_ne_u16_sdwa s[8:9], v14, v20 src0_sel:BYTE_0 src1_sel:DWORD
	s_andn2_b64 s[4:5], s[4:5], exec
	s_and_b64 s[8:9], s[8:9], exec
	s_or_b64 s[4:5], s[4:5], s[8:9]
	s_or_b64 exec, exec, s[6:7]
	s_and_saveexec_b64 s[6:7], s[4:5]
	s_cbranch_execnz .LBB53_1071
	s_branch .LBB53_1072
.LBB53_3121:
	s_movk_i32 s4, 0x80
	v_cmp_eq_u16_e32 vcc, s4, v14
	s_mov_b64 s[4:5], -1
                                        ; implicit-def: $sgpr10
	s_and_saveexec_b64 s[8:9], vcc
; %bb.3122:
	s_mov_b32 s10, 0x7f800001
	s_xor_b64 s[4:5], exec, -1
; %bb.3123:
	s_or_b64 exec, exec, s[8:9]
	s_and_b64 s[4:5], s[4:5], exec
                                        ; implicit-def: $vgpr14
	s_or_saveexec_b64 s[6:7], s[6:7]
	v_mov_b32_e32 v10, s10
	s_xor_b64 exec, exec, s[6:7]
	s_cbranch_execz .LBB53_1074
.LBB53_3124:
	v_cmp_ne_u16_e32 vcc, 0, v14
	s_andn2_b64 s[4:5], s[4:5], exec
	s_and_b64 s[8:9], vcc, exec
	v_mov_b32_e32 v10, 0
	s_or_b64 s[4:5], s[4:5], s[8:9]
	s_or_b64 exec, exec, s[6:7]
	s_and_saveexec_b64 s[6:7], s[4:5]
	s_cbranch_execnz .LBB53_1075
	s_branch .LBB53_1076
.LBB53_3125:
	s_movk_i32 s4, 0x80
	v_cmp_eq_u16_e32 vcc, s4, v14
	s_mov_b64 s[4:5], -1
                                        ; implicit-def: $sgpr10
	s_and_saveexec_b64 s[8:9], vcc
; %bb.3126:
	s_mov_b32 s10, 0x7f800001
	s_xor_b64 s[4:5], exec, -1
; %bb.3127:
	s_or_b64 exec, exec, s[8:9]
	s_and_b64 s[4:5], s[4:5], exec
                                        ; implicit-def: $vgpr14
	s_or_saveexec_b64 s[6:7], s[6:7]
	v_mov_b32_e32 v20, s10
	s_xor_b64 exec, exec, s[6:7]
	s_cbranch_execz .LBB53_1078
.LBB53_3128:
	v_cmp_ne_u16_e32 vcc, 0, v14
	s_andn2_b64 s[4:5], s[4:5], exec
	s_and_b64 s[8:9], vcc, exec
	v_mov_b32_e32 v20, 0
	s_or_b64 s[4:5], s[4:5], s[8:9]
	s_or_b64 exec, exec, s[6:7]
	s_and_saveexec_b64 s[6:7], s[4:5]
	s_cbranch_execnz .LBB53_1079
	s_branch .LBB53_1080
.LBB53_3129:
	s_movk_i32 s4, 0x80
	v_cmp_eq_u16_sdwa s[12:13], v15, s4 src0_sel:BYTE_3 src1_sel:DWORD
	s_mov_b64 s[4:5], -1
                                        ; implicit-def: $sgpr10
	s_and_saveexec_b64 s[8:9], s[12:13]
; %bb.3130:
	s_mov_b32 s10, 0x7f800001
	s_xor_b64 s[4:5], exec, -1
; %bb.3131:
	s_or_b64 exec, exec, s[8:9]
	s_and_b64 s[4:5], s[4:5], exec
	s_or_saveexec_b64 s[6:7], s[6:7]
	v_mov_b32_e32 v10, s10
	s_xor_b64 exec, exec, s[6:7]
	s_cbranch_execz .LBB53_1082
.LBB53_3132:
	v_mov_b32_e32 v10, 0
	v_cmp_ne_u16_sdwa s[8:9], v15, v10 src0_sel:BYTE_3 src1_sel:DWORD
	s_andn2_b64 s[4:5], s[4:5], exec
	s_and_b64 s[8:9], s[8:9], exec
	s_or_b64 s[4:5], s[4:5], s[8:9]
	s_or_b64 exec, exec, s[6:7]
	s_and_saveexec_b64 s[6:7], s[4:5]
	s_cbranch_execnz .LBB53_1083
	s_branch .LBB53_1084
.LBB53_3133:
	s_movk_i32 s4, 0x80
	v_cmp_eq_u16_sdwa s[12:13], v11, s4 src0_sel:BYTE_3 src1_sel:DWORD
	s_mov_b64 s[4:5], -1
                                        ; implicit-def: $sgpr10
	s_and_saveexec_b64 s[8:9], s[12:13]
; %bb.3134:
	s_mov_b32 s10, 0x7f800001
	s_xor_b64 s[4:5], exec, -1
; %bb.3135:
	s_or_b64 exec, exec, s[8:9]
	s_and_b64 s[4:5], s[4:5], exec
	s_or_saveexec_b64 s[6:7], s[6:7]
	v_mov_b32_e32 v14, s10
	s_xor_b64 exec, exec, s[6:7]
	s_cbranch_execz .LBB53_1086
.LBB53_3136:
	v_mov_b32_e32 v14, 0
	v_cmp_ne_u16_sdwa s[8:9], v11, v14 src0_sel:BYTE_3 src1_sel:DWORD
	s_andn2_b64 s[4:5], s[4:5], exec
	s_and_b64 s[8:9], s[8:9], exec
	s_or_b64 s[4:5], s[4:5], s[8:9]
	s_or_b64 exec, exec, s[6:7]
	s_and_saveexec_b64 s[6:7], s[4:5]
	s_cbranch_execnz .LBB53_1087
	s_branch .LBB53_1088
.LBB53_3137:
	s_movk_i32 s4, 0x80
	v_cmp_eq_u16_sdwa s[12:13], v16, s4 src0_sel:BYTE_0 src1_sel:DWORD
	s_mov_b64 s[4:5], -1
                                        ; implicit-def: $sgpr10
	s_and_saveexec_b64 s[8:9], s[12:13]
; %bb.3138:
	s_mov_b32 s10, 0x7f800001
	s_xor_b64 s[4:5], exec, -1
; %bb.3139:
	s_or_b64 exec, exec, s[8:9]
	s_and_b64 s[4:5], s[4:5], exec
	s_or_saveexec_b64 s[6:7], s[6:7]
	v_mov_b32_e32 v10, s10
	s_xor_b64 exec, exec, s[6:7]
	s_cbranch_execz .LBB53_1090
.LBB53_3140:
	v_mov_b32_e32 v10, 0
	v_cmp_ne_u16_sdwa s[8:9], v16, v10 src0_sel:BYTE_0 src1_sel:DWORD
	s_andn2_b64 s[4:5], s[4:5], exec
	s_and_b64 s[8:9], s[8:9], exec
	s_or_b64 s[4:5], s[4:5], s[8:9]
	s_or_b64 exec, exec, s[6:7]
	s_and_saveexec_b64 s[6:7], s[4:5]
	s_cbranch_execnz .LBB53_1091
	s_branch .LBB53_1092
.LBB53_3141:
	s_movk_i32 s4, 0x80
	v_cmp_eq_u16_sdwa s[12:13], v12, s4 src0_sel:BYTE_0 src1_sel:DWORD
	s_mov_b64 s[4:5], -1
                                        ; implicit-def: $sgpr10
	s_and_saveexec_b64 s[8:9], s[12:13]
; %bb.3142:
	s_mov_b32 s10, 0x7f800001
	s_xor_b64 s[4:5], exec, -1
; %bb.3143:
	s_or_b64 exec, exec, s[8:9]
	s_and_b64 s[4:5], s[4:5], exec
	s_or_saveexec_b64 s[6:7], s[6:7]
	v_mov_b32_e32 v11, s10
	s_xor_b64 exec, exec, s[6:7]
	s_cbranch_execz .LBB53_1094
.LBB53_3144:
	v_mov_b32_e32 v11, 0
	v_cmp_ne_u16_sdwa s[8:9], v12, v11 src0_sel:BYTE_0 src1_sel:DWORD
	s_andn2_b64 s[4:5], s[4:5], exec
	s_and_b64 s[8:9], s[8:9], exec
	s_or_b64 s[4:5], s[4:5], s[8:9]
	s_or_b64 exec, exec, s[6:7]
	s_and_saveexec_b64 s[6:7], s[4:5]
	s_cbranch_execnz .LBB53_1095
	s_branch .LBB53_1096
.LBB53_3145:
	s_movk_i32 s4, 0x80
	v_cmp_eq_u16_sdwa s[12:13], v11, s4 src0_sel:BYTE_0 src1_sel:DWORD
	s_mov_b64 s[4:5], -1
                                        ; implicit-def: $sgpr10
	s_and_saveexec_b64 s[8:9], s[12:13]
; %bb.3146:
	s_mov_b32 s10, 0x7f800001
	s_xor_b64 s[4:5], exec, -1
; %bb.3147:
	s_or_b64 exec, exec, s[8:9]
	s_and_b64 s[4:5], s[4:5], exec
	s_or_saveexec_b64 s[6:7], s[6:7]
	v_mov_b32_e32 v10, s10
	s_xor_b64 exec, exec, s[6:7]
	s_cbranch_execz .LBB53_1098
.LBB53_3148:
	v_mov_b32_e32 v10, 0
	v_cmp_ne_u16_sdwa s[8:9], v11, v10 src0_sel:BYTE_0 src1_sel:DWORD
	s_andn2_b64 s[4:5], s[4:5], exec
	s_and_b64 s[8:9], s[8:9], exec
	s_or_b64 s[4:5], s[4:5], s[8:9]
	s_or_b64 exec, exec, s[6:7]
	s_and_saveexec_b64 s[6:7], s[4:5]
	s_cbranch_execnz .LBB53_1099
	s_branch .LBB53_1100
.LBB53_3149:
	s_movk_i32 s4, 0x80
	v_cmp_eq_u16_sdwa s[12:13], v11, s4 src0_sel:BYTE_0 src1_sel:DWORD
	s_mov_b64 s[4:5], -1
                                        ; implicit-def: $sgpr10
	s_and_saveexec_b64 s[8:9], s[12:13]
; %bb.3150:
	s_mov_b32 s10, 0x7f800001
	s_xor_b64 s[4:5], exec, -1
; %bb.3151:
	s_or_b64 exec, exec, s[8:9]
	s_and_b64 s[4:5], s[4:5], exec
	s_or_saveexec_b64 s[6:7], s[6:7]
	v_mov_b32_e32 v14, s10
	s_xor_b64 exec, exec, s[6:7]
	s_cbranch_execz .LBB53_1102
.LBB53_3152:
	v_mov_b32_e32 v14, 0
	v_cmp_ne_u16_sdwa s[8:9], v11, v14 src0_sel:BYTE_0 src1_sel:DWORD
	s_andn2_b64 s[4:5], s[4:5], exec
	s_and_b64 s[8:9], s[8:9], exec
	s_or_b64 s[4:5], s[4:5], s[8:9]
	s_or_b64 exec, exec, s[6:7]
	s_and_saveexec_b64 s[6:7], s[4:5]
	s_cbranch_execnz .LBB53_1103
	s_branch .LBB53_1104
.LBB53_3153:
	s_movk_i32 s4, 0x80
	v_cmp_eq_u16_e32 vcc, s4, v11
	s_mov_b64 s[4:5], -1
                                        ; implicit-def: $sgpr10
	s_and_saveexec_b64 s[8:9], vcc
; %bb.3154:
	s_mov_b32 s10, 0x7f800001
	s_xor_b64 s[4:5], exec, -1
; %bb.3155:
	s_or_b64 exec, exec, s[8:9]
	s_and_b64 s[4:5], s[4:5], exec
                                        ; implicit-def: $vgpr11
	s_or_saveexec_b64 s[6:7], s[6:7]
	v_mov_b32_e32 v10, s10
	s_xor_b64 exec, exec, s[6:7]
	s_cbranch_execz .LBB53_1106
.LBB53_3156:
	v_cmp_ne_u16_e32 vcc, 0, v11
	s_andn2_b64 s[4:5], s[4:5], exec
	s_and_b64 s[8:9], vcc, exec
	v_mov_b32_e32 v10, 0
	s_or_b64 s[4:5], s[4:5], s[8:9]
	s_or_b64 exec, exec, s[6:7]
	s_and_saveexec_b64 s[6:7], s[4:5]
	s_cbranch_execnz .LBB53_1107
	s_branch .LBB53_1108
.LBB53_3157:
	s_movk_i32 s4, 0x80
	v_cmp_eq_u16_e32 vcc, s4, v11
	s_mov_b64 s[4:5], -1
                                        ; implicit-def: $sgpr10
	s_and_saveexec_b64 s[8:9], vcc
; %bb.3158:
	s_mov_b32 s10, 0x7f800001
	s_xor_b64 s[4:5], exec, -1
; %bb.3159:
	s_or_b64 exec, exec, s[8:9]
	s_and_b64 s[4:5], s[4:5], exec
                                        ; implicit-def: $vgpr11
	s_or_saveexec_b64 s[6:7], s[6:7]
	v_mov_b32_e32 v14, s10
	s_xor_b64 exec, exec, s[6:7]
	s_cbranch_execz .LBB53_1110
.LBB53_3160:
	v_cmp_ne_u16_e32 vcc, 0, v11
	s_andn2_b64 s[4:5], s[4:5], exec
	s_and_b64 s[8:9], vcc, exec
	v_mov_b32_e32 v14, 0
	s_or_b64 s[4:5], s[4:5], s[8:9]
	s_or_b64 exec, exec, s[6:7]
	s_and_saveexec_b64 s[6:7], s[4:5]
	s_cbranch_execnz .LBB53_1111
	s_branch .LBB53_1112
.LBB53_3161:
	s_movk_i32 s4, 0x80
	v_cmp_eq_u16_sdwa s[12:13], v16, s4 src0_sel:BYTE_3 src1_sel:DWORD
	s_mov_b64 s[4:5], -1
                                        ; implicit-def: $sgpr10
	s_and_saveexec_b64 s[8:9], s[12:13]
; %bb.3162:
	s_mov_b32 s10, 0x7f800001
	s_xor_b64 s[4:5], exec, -1
; %bb.3163:
	s_or_b64 exec, exec, s[8:9]
	s_and_b64 s[4:5], s[4:5], exec
	s_or_saveexec_b64 s[6:7], s[6:7]
	v_mov_b32_e32 v10, s10
	s_xor_b64 exec, exec, s[6:7]
	s_cbranch_execz .LBB53_1114
.LBB53_3164:
	v_mov_b32_e32 v10, 0
	v_cmp_ne_u16_sdwa s[8:9], v16, v10 src0_sel:BYTE_3 src1_sel:DWORD
	s_andn2_b64 s[4:5], s[4:5], exec
	s_and_b64 s[8:9], s[8:9], exec
	s_or_b64 s[4:5], s[4:5], s[8:9]
	s_or_b64 exec, exec, s[6:7]
	s_and_saveexec_b64 s[6:7], s[4:5]
	s_cbranch_execnz .LBB53_1115
	s_branch .LBB53_1116
.LBB53_3165:
	s_movk_i32 s4, 0x80
	v_cmp_eq_u16_sdwa s[12:13], v12, s4 src0_sel:BYTE_3 src1_sel:DWORD
	s_mov_b64 s[4:5], -1
                                        ; implicit-def: $sgpr10
	s_and_saveexec_b64 s[8:9], s[12:13]
; %bb.3166:
	s_mov_b32 s10, 0x7f800001
	s_xor_b64 s[4:5], exec, -1
; %bb.3167:
	s_or_b64 exec, exec, s[8:9]
	s_and_b64 s[4:5], s[4:5], exec
	s_or_saveexec_b64 s[6:7], s[6:7]
	v_mov_b32_e32 v11, s10
	s_xor_b64 exec, exec, s[6:7]
	s_cbranch_execz .LBB53_1118
.LBB53_3168:
	v_mov_b32_e32 v11, 0
	v_cmp_ne_u16_sdwa s[8:9], v12, v11 src0_sel:BYTE_3 src1_sel:DWORD
	s_andn2_b64 s[4:5], s[4:5], exec
	s_and_b64 s[8:9], s[8:9], exec
	s_or_b64 s[4:5], s[4:5], s[8:9]
	s_or_b64 exec, exec, s[6:7]
	s_and_saveexec_b64 s[6:7], s[4:5]
	s_cbranch_execnz .LBB53_1119
	s_branch .LBB53_1120
.LBB53_3169:
	s_movk_i32 s4, 0x80
	v_cmp_eq_u16_sdwa s[12:13], v17, s4 src0_sel:BYTE_0 src1_sel:DWORD
	s_mov_b64 s[4:5], -1
                                        ; implicit-def: $sgpr10
	s_and_saveexec_b64 s[8:9], s[12:13]
; %bb.3170:
	s_mov_b32 s10, 0x7f800001
	s_xor_b64 s[4:5], exec, -1
; %bb.3171:
	s_or_b64 exec, exec, s[8:9]
	s_and_b64 s[4:5], s[4:5], exec
	s_or_saveexec_b64 s[6:7], s[6:7]
	v_mov_b32_e32 v10, s10
	s_xor_b64 exec, exec, s[6:7]
	s_cbranch_execz .LBB53_1122
.LBB53_3172:
	v_mov_b32_e32 v10, 0
	v_cmp_ne_u16_sdwa s[8:9], v17, v10 src0_sel:BYTE_0 src1_sel:DWORD
	s_andn2_b64 s[4:5], s[4:5], exec
	s_and_b64 s[8:9], s[8:9], exec
	s_or_b64 s[4:5], s[4:5], s[8:9]
	s_or_b64 exec, exec, s[6:7]
	s_and_saveexec_b64 s[6:7], s[4:5]
	s_cbranch_execnz .LBB53_1123
	s_branch .LBB53_1124
.LBB53_3173:
	s_movk_i32 s4, 0x80
	v_cmp_eq_u16_sdwa s[12:13], v13, s4 src0_sel:BYTE_0 src1_sel:DWORD
	s_mov_b64 s[4:5], -1
                                        ; implicit-def: $sgpr10
	s_and_saveexec_b64 s[8:9], s[12:13]
; %bb.3174:
	s_mov_b32 s10, 0x7f800001
	s_xor_b64 s[4:5], exec, -1
; %bb.3175:
	s_or_b64 exec, exec, s[8:9]
	s_and_b64 s[4:5], s[4:5], exec
	s_or_saveexec_b64 s[6:7], s[6:7]
	v_mov_b32_e32 v11, s10
	s_xor_b64 exec, exec, s[6:7]
	s_cbranch_execz .LBB53_1126
.LBB53_3176:
	v_mov_b32_e32 v11, 0
	v_cmp_ne_u16_sdwa s[8:9], v13, v11 src0_sel:BYTE_0 src1_sel:DWORD
	s_andn2_b64 s[4:5], s[4:5], exec
	s_and_b64 s[8:9], s[8:9], exec
	s_or_b64 s[4:5], s[4:5], s[8:9]
	s_or_b64 exec, exec, s[6:7]
	s_and_saveexec_b64 s[6:7], s[4:5]
	s_cbranch_execnz .LBB53_1127
	s_branch .LBB53_1128
.LBB53_3177:
	s_movk_i32 s4, 0x80
	v_cmp_eq_u16_sdwa s[12:13], v11, s4 src0_sel:BYTE_0 src1_sel:DWORD
	s_mov_b64 s[4:5], -1
                                        ; implicit-def: $sgpr10
	s_and_saveexec_b64 s[8:9], s[12:13]
; %bb.3178:
	s_mov_b32 s10, 0x7f800001
	s_xor_b64 s[4:5], exec, -1
; %bb.3179:
	s_or_b64 exec, exec, s[8:9]
	s_and_b64 s[4:5], s[4:5], exec
	s_or_saveexec_b64 s[6:7], s[6:7]
	v_mov_b32_e32 v10, s10
	s_xor_b64 exec, exec, s[6:7]
	s_cbranch_execz .LBB53_1130
.LBB53_3180:
	v_mov_b32_e32 v10, 0
	v_cmp_ne_u16_sdwa s[8:9], v11, v10 src0_sel:BYTE_0 src1_sel:DWORD
	s_andn2_b64 s[4:5], s[4:5], exec
	s_and_b64 s[8:9], s[8:9], exec
	s_or_b64 s[4:5], s[4:5], s[8:9]
	s_or_b64 exec, exec, s[6:7]
	s_and_saveexec_b64 s[6:7], s[4:5]
	s_cbranch_execnz .LBB53_1131
	s_branch .LBB53_1132
.LBB53_3181:
	s_movk_i32 s4, 0x80
	v_cmp_eq_u16_sdwa s[12:13], v11, s4 src0_sel:BYTE_0 src1_sel:DWORD
	s_mov_b64 s[4:5], -1
                                        ; implicit-def: $sgpr10
	s_and_saveexec_b64 s[8:9], s[12:13]
; %bb.3182:
	s_mov_b32 s10, 0x7f800001
	s_xor_b64 s[4:5], exec, -1
; %bb.3183:
	s_or_b64 exec, exec, s[8:9]
	s_and_b64 s[4:5], s[4:5], exec
	s_or_saveexec_b64 s[6:7], s[6:7]
	v_mov_b32_e32 v12, s10
	s_xor_b64 exec, exec, s[6:7]
	s_cbranch_execz .LBB53_1134
.LBB53_3184:
	v_mov_b32_e32 v12, 0
	v_cmp_ne_u16_sdwa s[8:9], v11, v12 src0_sel:BYTE_0 src1_sel:DWORD
	s_andn2_b64 s[4:5], s[4:5], exec
	s_and_b64 s[8:9], s[8:9], exec
	s_or_b64 s[4:5], s[4:5], s[8:9]
	s_or_b64 exec, exec, s[6:7]
	s_and_saveexec_b64 s[6:7], s[4:5]
	s_cbranch_execnz .LBB53_1135
	s_branch .LBB53_1136
.LBB53_3185:
	s_movk_i32 s4, 0x80
	v_cmp_eq_u16_e32 vcc, s4, v11
	s_mov_b64 s[4:5], -1
                                        ; implicit-def: $sgpr10
	s_and_saveexec_b64 s[8:9], vcc
; %bb.3186:
	s_mov_b32 s10, 0x7f800001
	s_xor_b64 s[4:5], exec, -1
; %bb.3187:
	s_or_b64 exec, exec, s[8:9]
	s_and_b64 s[4:5], s[4:5], exec
                                        ; implicit-def: $vgpr11
	s_or_saveexec_b64 s[6:7], s[6:7]
	v_mov_b32_e32 v10, s10
	s_xor_b64 exec, exec, s[6:7]
	s_cbranch_execz .LBB53_1138
.LBB53_3188:
	v_cmp_ne_u16_e32 vcc, 0, v11
	s_andn2_b64 s[4:5], s[4:5], exec
	s_and_b64 s[8:9], vcc, exec
	v_mov_b32_e32 v10, 0
	s_or_b64 s[4:5], s[4:5], s[8:9]
	s_or_b64 exec, exec, s[6:7]
	s_and_saveexec_b64 s[6:7], s[4:5]
	s_cbranch_execnz .LBB53_1139
	s_branch .LBB53_1140
.LBB53_3189:
	s_movk_i32 s4, 0x80
	v_cmp_eq_u16_e32 vcc, s4, v11
	s_mov_b64 s[4:5], -1
                                        ; implicit-def: $sgpr10
	s_and_saveexec_b64 s[8:9], vcc
; %bb.3190:
	s_mov_b32 s10, 0x7f800001
	s_xor_b64 s[4:5], exec, -1
; %bb.3191:
	s_or_b64 exec, exec, s[8:9]
	s_and_b64 s[4:5], s[4:5], exec
                                        ; implicit-def: $vgpr11
	s_or_saveexec_b64 s[6:7], s[6:7]
	v_mov_b32_e32 v12, s10
	s_xor_b64 exec, exec, s[6:7]
	s_cbranch_execz .LBB53_1142
.LBB53_3192:
	v_cmp_ne_u16_e32 vcc, 0, v11
	s_andn2_b64 s[4:5], s[4:5], exec
	s_and_b64 s[8:9], vcc, exec
	v_mov_b32_e32 v12, 0
	s_or_b64 s[4:5], s[4:5], s[8:9]
	s_or_b64 exec, exec, s[6:7]
	s_and_saveexec_b64 s[6:7], s[4:5]
	s_cbranch_execnz .LBB53_1143
	s_branch .LBB53_1144
.LBB53_3193:
	s_movk_i32 s4, 0x80
	v_cmp_eq_u16_sdwa s[12:13], v17, s4 src0_sel:BYTE_3 src1_sel:DWORD
	s_mov_b64 s[4:5], -1
                                        ; implicit-def: $sgpr10
	s_and_saveexec_b64 s[8:9], s[12:13]
; %bb.3194:
	s_mov_b32 s10, 0x7f800001
	s_xor_b64 s[4:5], exec, -1
; %bb.3195:
	s_or_b64 exec, exec, s[8:9]
	s_and_b64 s[4:5], s[4:5], exec
	s_or_saveexec_b64 s[6:7], s[6:7]
	v_mov_b32_e32 v10, s10
	s_xor_b64 exec, exec, s[6:7]
	s_cbranch_execz .LBB53_1146
.LBB53_3196:
	v_mov_b32_e32 v10, 0
	v_cmp_ne_u16_sdwa s[8:9], v17, v10 src0_sel:BYTE_3 src1_sel:DWORD
	s_andn2_b64 s[4:5], s[4:5], exec
	s_and_b64 s[8:9], s[8:9], exec
	s_or_b64 s[4:5], s[4:5], s[8:9]
	s_or_b64 exec, exec, s[6:7]
	s_and_saveexec_b64 s[6:7], s[4:5]
	s_cbranch_execnz .LBB53_1147
	s_branch .LBB53_1148
.LBB53_3197:
	s_movk_i32 s4, 0x80
	v_cmp_eq_u16_sdwa s[12:13], v13, s4 src0_sel:BYTE_3 src1_sel:DWORD
	s_mov_b64 s[4:5], -1
                                        ; implicit-def: $sgpr10
	s_and_saveexec_b64 s[8:9], s[12:13]
; %bb.3198:
	s_mov_b32 s10, 0x7f800001
	s_xor_b64 s[4:5], exec, -1
; %bb.3199:
	s_or_b64 exec, exec, s[8:9]
	s_and_b64 s[4:5], s[4:5], exec
	s_or_saveexec_b64 s[6:7], s[6:7]
	v_mov_b32_e32 v11, s10
	s_xor_b64 exec, exec, s[6:7]
	s_cbranch_execz .LBB53_1150
.LBB53_3200:
	v_mov_b32_e32 v11, 0
	v_cmp_ne_u16_sdwa s[8:9], v13, v11 src0_sel:BYTE_3 src1_sel:DWORD
	s_andn2_b64 s[4:5], s[4:5], exec
	s_and_b64 s[8:9], s[8:9], exec
	s_or_b64 s[4:5], s[4:5], s[8:9]
	s_or_b64 exec, exec, s[6:7]
	s_and_saveexec_b64 s[6:7], s[4:5]
	s_cbranch_execnz .LBB53_1151
	s_branch .LBB53_1152
.LBB53_3201:
	s_movk_i32 s4, 0x80
	v_cmp_eq_u16_sdwa s[12:13], v6, s4 src0_sel:BYTE_0 src1_sel:DWORD
	s_mov_b64 s[4:5], -1
                                        ; implicit-def: $sgpr10
	s_and_saveexec_b64 s[8:9], s[12:13]
; %bb.3202:
	s_mov_b32 s10, 0x7f800001
	s_xor_b64 s[4:5], exec, -1
; %bb.3203:
	s_or_b64 exec, exec, s[8:9]
	s_and_b64 s[4:5], s[4:5], exec
	s_or_saveexec_b64 s[6:7], s[6:7]
	v_mov_b32_e32 v10, s10
	s_xor_b64 exec, exec, s[6:7]
	s_cbranch_execz .LBB53_1154
.LBB53_3204:
	v_mov_b32_e32 v10, 0
	v_cmp_ne_u16_sdwa s[8:9], v6, v10 src0_sel:BYTE_0 src1_sel:DWORD
	s_andn2_b64 s[4:5], s[4:5], exec
	s_and_b64 s[8:9], s[8:9], exec
	s_or_b64 s[4:5], s[4:5], s[8:9]
	s_or_b64 exec, exec, s[6:7]
	s_and_saveexec_b64 s[6:7], s[4:5]
	s_cbranch_execnz .LBB53_1155
	s_branch .LBB53_1156
.LBB53_3205:
	s_movk_i32 s4, 0x80
	v_cmp_eq_u16_sdwa s[12:13], v2, s4 src0_sel:BYTE_0 src1_sel:DWORD
	s_mov_b64 s[4:5], -1
                                        ; implicit-def: $sgpr10
	s_and_saveexec_b64 s[8:9], s[12:13]
; %bb.3206:
	s_mov_b32 s10, 0x7f800001
	s_xor_b64 s[4:5], exec, -1
; %bb.3207:
	s_or_b64 exec, exec, s[8:9]
	s_and_b64 s[4:5], s[4:5], exec
	s_or_saveexec_b64 s[6:7], s[6:7]
	v_mov_b32_e32 v11, s10
	s_xor_b64 exec, exec, s[6:7]
	s_cbranch_execz .LBB53_1158
.LBB53_3208:
	v_mov_b32_e32 v11, 0
	v_cmp_ne_u16_sdwa s[8:9], v2, v11 src0_sel:BYTE_0 src1_sel:DWORD
	s_andn2_b64 s[4:5], s[4:5], exec
	s_and_b64 s[8:9], s[8:9], exec
	s_or_b64 s[4:5], s[4:5], s[8:9]
	s_or_b64 exec, exec, s[6:7]
	s_and_saveexec_b64 s[6:7], s[4:5]
	s_cbranch_execnz .LBB53_1159
	s_branch .LBB53_1160
.LBB53_3209:
	s_movk_i32 s4, 0x80
	v_cmp_eq_u16_sdwa s[12:13], v11, s4 src0_sel:BYTE_0 src1_sel:DWORD
	s_mov_b64 s[4:5], -1
                                        ; implicit-def: $sgpr10
	s_and_saveexec_b64 s[8:9], s[12:13]
; %bb.3210:
	s_mov_b32 s10, 0x7f800001
	s_xor_b64 s[4:5], exec, -1
; %bb.3211:
	s_or_b64 exec, exec, s[8:9]
	s_and_b64 s[4:5], s[4:5], exec
	s_or_saveexec_b64 s[6:7], s[6:7]
	v_mov_b32_e32 v10, s10
	s_xor_b64 exec, exec, s[6:7]
	s_cbranch_execz .LBB53_1162
.LBB53_3212:
	v_mov_b32_e32 v10, 0
	v_cmp_ne_u16_sdwa s[8:9], v11, v10 src0_sel:BYTE_0 src1_sel:DWORD
	s_andn2_b64 s[4:5], s[4:5], exec
	s_and_b64 s[8:9], s[8:9], exec
	s_or_b64 s[4:5], s[4:5], s[8:9]
	s_or_b64 exec, exec, s[6:7]
	s_and_saveexec_b64 s[6:7], s[4:5]
	s_cbranch_execnz .LBB53_1163
	s_branch .LBB53_1164
.LBB53_3213:
	s_movk_i32 s4, 0x80
	v_cmp_eq_u16_sdwa s[12:13], v11, s4 src0_sel:BYTE_0 src1_sel:DWORD
	s_mov_b64 s[4:5], -1
                                        ; implicit-def: $sgpr10
	s_and_saveexec_b64 s[8:9], s[12:13]
; %bb.3214:
	s_mov_b32 s10, 0x7f800001
	s_xor_b64 s[4:5], exec, -1
; %bb.3215:
	s_or_b64 exec, exec, s[8:9]
	s_and_b64 s[4:5], s[4:5], exec
	s_or_saveexec_b64 s[6:7], s[6:7]
	v_mov_b32_e32 v12, s10
	s_xor_b64 exec, exec, s[6:7]
	s_cbranch_execz .LBB53_1166
.LBB53_3216:
	v_mov_b32_e32 v12, 0
	v_cmp_ne_u16_sdwa s[8:9], v11, v12 src0_sel:BYTE_0 src1_sel:DWORD
	s_andn2_b64 s[4:5], s[4:5], exec
	s_and_b64 s[8:9], s[8:9], exec
	s_or_b64 s[4:5], s[4:5], s[8:9]
	s_or_b64 exec, exec, s[6:7]
	s_and_saveexec_b64 s[6:7], s[4:5]
	s_cbranch_execnz .LBB53_1167
	s_branch .LBB53_1168
.LBB53_3217:
	s_movk_i32 s4, 0x80
	v_cmp_eq_u16_e32 vcc, s4, v11
	s_mov_b64 s[4:5], -1
                                        ; implicit-def: $sgpr10
	s_and_saveexec_b64 s[8:9], vcc
; %bb.3218:
	s_mov_b32 s10, 0x7f800001
	s_xor_b64 s[4:5], exec, -1
; %bb.3219:
	s_or_b64 exec, exec, s[8:9]
	s_and_b64 s[4:5], s[4:5], exec
                                        ; implicit-def: $vgpr11
	s_or_saveexec_b64 s[6:7], s[6:7]
	v_mov_b32_e32 v10, s10
	s_xor_b64 exec, exec, s[6:7]
	s_cbranch_execz .LBB53_1170
.LBB53_3220:
	v_cmp_ne_u16_e32 vcc, 0, v11
	s_andn2_b64 s[4:5], s[4:5], exec
	s_and_b64 s[8:9], vcc, exec
	v_mov_b32_e32 v10, 0
	s_or_b64 s[4:5], s[4:5], s[8:9]
	s_or_b64 exec, exec, s[6:7]
	s_and_saveexec_b64 s[6:7], s[4:5]
	s_cbranch_execnz .LBB53_1171
	s_branch .LBB53_1172
.LBB53_3221:
	s_movk_i32 s4, 0x80
	v_cmp_eq_u16_e32 vcc, s4, v11
	s_mov_b64 s[4:5], -1
                                        ; implicit-def: $sgpr10
	s_and_saveexec_b64 s[8:9], vcc
; %bb.3222:
	s_mov_b32 s10, 0x7f800001
	s_xor_b64 s[4:5], exec, -1
; %bb.3223:
	s_or_b64 exec, exec, s[8:9]
	s_and_b64 s[4:5], s[4:5], exec
                                        ; implicit-def: $vgpr11
	s_or_saveexec_b64 s[6:7], s[6:7]
	v_mov_b32_e32 v12, s10
	s_xor_b64 exec, exec, s[6:7]
	s_cbranch_execz .LBB53_1174
.LBB53_3224:
	v_cmp_ne_u16_e32 vcc, 0, v11
	s_andn2_b64 s[4:5], s[4:5], exec
	s_and_b64 s[8:9], vcc, exec
	v_mov_b32_e32 v12, 0
	s_or_b64 s[4:5], s[4:5], s[8:9]
	s_or_b64 exec, exec, s[6:7]
	s_and_saveexec_b64 s[6:7], s[4:5]
	s_cbranch_execnz .LBB53_1175
	s_branch .LBB53_1176
.LBB53_3225:
	s_movk_i32 s4, 0x80
	v_cmp_eq_u16_sdwa s[12:13], v6, s4 src0_sel:BYTE_3 src1_sel:DWORD
	s_mov_b64 s[4:5], -1
                                        ; implicit-def: $sgpr10
	s_and_saveexec_b64 s[8:9], s[12:13]
; %bb.3226:
	s_mov_b32 s10, 0x7f800001
	s_xor_b64 s[4:5], exec, -1
; %bb.3227:
	s_or_b64 exec, exec, s[8:9]
	s_and_b64 s[4:5], s[4:5], exec
	s_or_saveexec_b64 s[6:7], s[6:7]
	v_mov_b32_e32 v10, s10
	s_xor_b64 exec, exec, s[6:7]
	s_cbranch_execz .LBB53_1178
.LBB53_3228:
	v_mov_b32_e32 v10, 0
	v_cmp_ne_u16_sdwa s[8:9], v6, v10 src0_sel:BYTE_3 src1_sel:DWORD
	s_andn2_b64 s[4:5], s[4:5], exec
	s_and_b64 s[8:9], s[8:9], exec
	s_or_b64 s[4:5], s[4:5], s[8:9]
	s_or_b64 exec, exec, s[6:7]
	s_and_saveexec_b64 s[6:7], s[4:5]
	s_cbranch_execnz .LBB53_1179
	s_branch .LBB53_1180
.LBB53_3229:
	s_movk_i32 s4, 0x80
	v_cmp_eq_u16_sdwa s[12:13], v2, s4 src0_sel:BYTE_3 src1_sel:DWORD
	s_mov_b64 s[4:5], -1
                                        ; implicit-def: $sgpr10
	s_and_saveexec_b64 s[8:9], s[12:13]
; %bb.3230:
	s_mov_b32 s10, 0x7f800001
	s_xor_b64 s[4:5], exec, -1
; %bb.3231:
	s_or_b64 exec, exec, s[8:9]
	s_and_b64 s[4:5], s[4:5], exec
	s_or_saveexec_b64 s[6:7], s[6:7]
	v_mov_b32_e32 v6, s10
	s_xor_b64 exec, exec, s[6:7]
	s_cbranch_execz .LBB53_1182
.LBB53_3232:
	v_mov_b32_e32 v6, 0
	v_cmp_ne_u16_sdwa s[8:9], v2, v6 src0_sel:BYTE_3 src1_sel:DWORD
	s_andn2_b64 s[4:5], s[4:5], exec
	s_and_b64 s[8:9], s[8:9], exec
	s_or_b64 s[4:5], s[4:5], s[8:9]
	s_or_b64 exec, exec, s[6:7]
	s_and_saveexec_b64 s[6:7], s[4:5]
	s_cbranch_execnz .LBB53_1183
	s_branch .LBB53_1184
.LBB53_3233:
	s_movk_i32 s4, 0x80
	v_cmp_eq_u16_sdwa s[12:13], v7, s4 src0_sel:BYTE_0 src1_sel:DWORD
	s_mov_b64 s[4:5], -1
                                        ; implicit-def: $sgpr10
	s_and_saveexec_b64 s[8:9], s[12:13]
; %bb.3234:
	s_mov_b32 s10, 0x7f800001
	s_xor_b64 s[4:5], exec, -1
; %bb.3235:
	s_or_b64 exec, exec, s[8:9]
	s_and_b64 s[4:5], s[4:5], exec
	s_or_saveexec_b64 s[6:7], s[6:7]
	v_mov_b32_e32 v2, s10
	s_xor_b64 exec, exec, s[6:7]
	s_cbranch_execz .LBB53_1186
.LBB53_3236:
	v_mov_b32_e32 v2, 0
	v_cmp_ne_u16_sdwa s[8:9], v7, v2 src0_sel:BYTE_0 src1_sel:DWORD
	s_andn2_b64 s[4:5], s[4:5], exec
	s_and_b64 s[8:9], s[8:9], exec
	s_or_b64 s[4:5], s[4:5], s[8:9]
	s_or_b64 exec, exec, s[6:7]
	s_and_saveexec_b64 s[6:7], s[4:5]
	s_cbranch_execnz .LBB53_1187
	s_branch .LBB53_1188
.LBB53_3237:
	s_movk_i32 s4, 0x80
	v_cmp_eq_u16_sdwa s[12:13], v3, s4 src0_sel:BYTE_0 src1_sel:DWORD
	s_mov_b64 s[4:5], -1
                                        ; implicit-def: $sgpr10
	s_and_saveexec_b64 s[8:9], s[12:13]
; %bb.3238:
	s_mov_b32 s10, 0x7f800001
	s_xor_b64 s[4:5], exec, -1
; %bb.3239:
	s_or_b64 exec, exec, s[8:9]
	s_and_b64 s[4:5], s[4:5], exec
	s_or_saveexec_b64 s[6:7], s[6:7]
	v_mov_b32_e32 v6, s10
	s_xor_b64 exec, exec, s[6:7]
	s_cbranch_execz .LBB53_1190
.LBB53_3240:
	v_mov_b32_e32 v6, 0
	v_cmp_ne_u16_sdwa s[8:9], v3, v6 src0_sel:BYTE_0 src1_sel:DWORD
	s_andn2_b64 s[4:5], s[4:5], exec
	s_and_b64 s[8:9], s[8:9], exec
	s_or_b64 s[4:5], s[4:5], s[8:9]
	s_or_b64 exec, exec, s[6:7]
	s_and_saveexec_b64 s[6:7], s[4:5]
	s_cbranch_execnz .LBB53_1191
	s_branch .LBB53_1192
.LBB53_3241:
	s_movk_i32 s4, 0x80
	v_cmp_eq_u16_sdwa s[12:13], v6, s4 src0_sel:BYTE_0 src1_sel:DWORD
	s_mov_b64 s[4:5], -1
                                        ; implicit-def: $sgpr10
	s_and_saveexec_b64 s[8:9], s[12:13]
; %bb.3242:
	s_mov_b32 s10, 0x7f800001
	s_xor_b64 s[4:5], exec, -1
; %bb.3243:
	s_or_b64 exec, exec, s[8:9]
	s_and_b64 s[4:5], s[4:5], exec
	s_or_saveexec_b64 s[6:7], s[6:7]
	v_mov_b32_e32 v2, s10
	s_xor_b64 exec, exec, s[6:7]
	s_cbranch_execz .LBB53_1194
.LBB53_3244:
	v_mov_b32_e32 v2, 0
	v_cmp_ne_u16_sdwa s[8:9], v6, v2 src0_sel:BYTE_0 src1_sel:DWORD
	s_andn2_b64 s[4:5], s[4:5], exec
	s_and_b64 s[8:9], s[8:9], exec
	s_or_b64 s[4:5], s[4:5], s[8:9]
	s_or_b64 exec, exec, s[6:7]
	s_and_saveexec_b64 s[6:7], s[4:5]
	s_cbranch_execnz .LBB53_1195
	s_branch .LBB53_1196
.LBB53_3245:
	s_movk_i32 s4, 0x80
	v_cmp_eq_u16_sdwa s[12:13], v6, s4 src0_sel:BYTE_0 src1_sel:DWORD
	s_mov_b64 s[4:5], -1
                                        ; implicit-def: $sgpr10
	s_and_saveexec_b64 s[8:9], s[12:13]
; %bb.3246:
	s_mov_b32 s10, 0x7f800001
	s_xor_b64 s[4:5], exec, -1
; %bb.3247:
	s_or_b64 exec, exec, s[8:9]
	s_and_b64 s[4:5], s[4:5], exec
	s_or_saveexec_b64 s[6:7], s[6:7]
	v_mov_b32_e32 v10, s10
	s_xor_b64 exec, exec, s[6:7]
	s_cbranch_execz .LBB53_1198
.LBB53_3248:
	v_mov_b32_e32 v10, 0
	v_cmp_ne_u16_sdwa s[8:9], v6, v10 src0_sel:BYTE_0 src1_sel:DWORD
	s_andn2_b64 s[4:5], s[4:5], exec
	s_and_b64 s[8:9], s[8:9], exec
	s_or_b64 s[4:5], s[4:5], s[8:9]
	s_or_b64 exec, exec, s[6:7]
	s_and_saveexec_b64 s[6:7], s[4:5]
	s_cbranch_execnz .LBB53_1199
	s_branch .LBB53_1200
.LBB53_3249:
	s_movk_i32 s4, 0x80
	v_cmp_eq_u16_e32 vcc, s4, v6
	s_mov_b64 s[4:5], -1
                                        ; implicit-def: $sgpr10
	s_and_saveexec_b64 s[8:9], vcc
; %bb.3250:
	s_mov_b32 s10, 0x7f800001
	s_xor_b64 s[4:5], exec, -1
; %bb.3251:
	s_or_b64 exec, exec, s[8:9]
	s_and_b64 s[4:5], s[4:5], exec
                                        ; implicit-def: $vgpr6
	s_or_saveexec_b64 s[6:7], s[6:7]
	v_mov_b32_e32 v2, s10
	s_xor_b64 exec, exec, s[6:7]
	s_cbranch_execz .LBB53_1202
.LBB53_3252:
	v_cmp_ne_u16_e32 vcc, 0, v6
	s_andn2_b64 s[4:5], s[4:5], exec
	s_and_b64 s[8:9], vcc, exec
	v_mov_b32_e32 v2, 0
	s_or_b64 s[4:5], s[4:5], s[8:9]
	s_or_b64 exec, exec, s[6:7]
	s_and_saveexec_b64 s[6:7], s[4:5]
	s_cbranch_execnz .LBB53_1203
	s_branch .LBB53_1204
.LBB53_3253:
	s_movk_i32 s4, 0x80
	v_cmp_eq_u16_e32 vcc, s4, v6
	s_mov_b64 s[4:5], -1
                                        ; implicit-def: $sgpr10
	s_and_saveexec_b64 s[8:9], vcc
; %bb.3254:
	s_mov_b32 s10, 0x7f800001
	s_xor_b64 s[4:5], exec, -1
; %bb.3255:
	s_or_b64 exec, exec, s[8:9]
	s_and_b64 s[4:5], s[4:5], exec
                                        ; implicit-def: $vgpr6
	s_or_saveexec_b64 s[6:7], s[6:7]
	v_mov_b32_e32 v10, s10
	s_xor_b64 exec, exec, s[6:7]
	s_cbranch_execz .LBB53_1206
.LBB53_3256:
	v_cmp_ne_u16_e32 vcc, 0, v6
	s_andn2_b64 s[4:5], s[4:5], exec
	s_and_b64 s[8:9], vcc, exec
	v_mov_b32_e32 v10, 0
	s_or_b64 s[4:5], s[4:5], s[8:9]
	s_or_b64 exec, exec, s[6:7]
	s_and_saveexec_b64 s[6:7], s[4:5]
	s_cbranch_execnz .LBB53_1207
	s_branch .LBB53_1208
.LBB53_3257:
	s_movk_i32 s4, 0x80
	v_cmp_eq_u16_sdwa s[12:13], v7, s4 src0_sel:BYTE_3 src1_sel:DWORD
	s_mov_b64 s[4:5], -1
                                        ; implicit-def: $sgpr10
	s_and_saveexec_b64 s[8:9], s[12:13]
; %bb.3258:
	s_mov_b32 s10, 0x7f800001
	s_xor_b64 s[4:5], exec, -1
; %bb.3259:
	s_or_b64 exec, exec, s[8:9]
	s_and_b64 s[4:5], s[4:5], exec
	s_or_saveexec_b64 s[6:7], s[6:7]
	v_mov_b32_e32 v2, s10
	s_xor_b64 exec, exec, s[6:7]
	s_cbranch_execz .LBB53_1210
.LBB53_3260:
	v_mov_b32_e32 v2, 0
	v_cmp_ne_u16_sdwa s[8:9], v7, v2 src0_sel:BYTE_3 src1_sel:DWORD
	s_andn2_b64 s[4:5], s[4:5], exec
	s_and_b64 s[8:9], s[8:9], exec
	s_or_b64 s[4:5], s[4:5], s[8:9]
	s_or_b64 exec, exec, s[6:7]
	s_and_saveexec_b64 s[6:7], s[4:5]
	s_cbranch_execnz .LBB53_1211
	s_branch .LBB53_1212
.LBB53_3261:
	s_movk_i32 s4, 0x80
	v_cmp_eq_u16_sdwa s[12:13], v3, s4 src0_sel:BYTE_3 src1_sel:DWORD
	s_mov_b64 s[4:5], -1
                                        ; implicit-def: $sgpr10
	s_and_saveexec_b64 s[8:9], s[12:13]
; %bb.3262:
	s_mov_b32 s10, 0x7f800001
	s_xor_b64 s[4:5], exec, -1
; %bb.3263:
	s_or_b64 exec, exec, s[8:9]
	s_and_b64 s[4:5], s[4:5], exec
	s_or_saveexec_b64 s[6:7], s[6:7]
	v_mov_b32_e32 v6, s10
	s_xor_b64 exec, exec, s[6:7]
	s_cbranch_execz .LBB53_1214
.LBB53_3264:
	v_mov_b32_e32 v6, 0
	v_cmp_ne_u16_sdwa s[8:9], v3, v6 src0_sel:BYTE_3 src1_sel:DWORD
	s_andn2_b64 s[4:5], s[4:5], exec
	s_and_b64 s[8:9], s[8:9], exec
	s_or_b64 s[4:5], s[4:5], s[8:9]
	s_or_b64 exec, exec, s[6:7]
	s_and_saveexec_b64 s[6:7], s[4:5]
	s_cbranch_execnz .LBB53_1215
	s_branch .LBB53_1216
.LBB53_3265:
	s_movk_i32 s4, 0x80
	v_cmp_eq_u16_sdwa s[12:13], v8, s4 src0_sel:BYTE_0 src1_sel:DWORD
	s_mov_b64 s[4:5], -1
                                        ; implicit-def: $sgpr10
	s_and_saveexec_b64 s[8:9], s[12:13]
; %bb.3266:
	s_mov_b32 s10, 0x7f800001
	s_xor_b64 s[4:5], exec, -1
; %bb.3267:
	s_or_b64 exec, exec, s[8:9]
	s_and_b64 s[4:5], s[4:5], exec
	s_or_saveexec_b64 s[6:7], s[6:7]
	v_mov_b32_e32 v2, s10
	s_xor_b64 exec, exec, s[6:7]
	s_cbranch_execz .LBB53_1218
.LBB53_3268:
	v_mov_b32_e32 v2, 0
	v_cmp_ne_u16_sdwa s[8:9], v8, v2 src0_sel:BYTE_0 src1_sel:DWORD
	s_andn2_b64 s[4:5], s[4:5], exec
	s_and_b64 s[8:9], s[8:9], exec
	s_or_b64 s[4:5], s[4:5], s[8:9]
	s_or_b64 exec, exec, s[6:7]
	s_and_saveexec_b64 s[6:7], s[4:5]
	s_cbranch_execnz .LBB53_1219
	s_branch .LBB53_1220
.LBB53_3269:
	s_movk_i32 s4, 0x80
	v_cmp_eq_u16_sdwa s[12:13], v4, s4 src0_sel:BYTE_0 src1_sel:DWORD
	s_mov_b64 s[4:5], -1
                                        ; implicit-def: $sgpr10
	s_and_saveexec_b64 s[8:9], s[12:13]
; %bb.3270:
	s_mov_b32 s10, 0x7f800001
	s_xor_b64 s[4:5], exec, -1
; %bb.3271:
	s_or_b64 exec, exec, s[8:9]
	s_and_b64 s[4:5], s[4:5], exec
	s_or_saveexec_b64 s[6:7], s[6:7]
	v_mov_b32_e32 v3, s10
	s_xor_b64 exec, exec, s[6:7]
	s_cbranch_execz .LBB53_1222
.LBB53_3272:
	v_mov_b32_e32 v3, 0
	v_cmp_ne_u16_sdwa s[8:9], v4, v3 src0_sel:BYTE_0 src1_sel:DWORD
	s_andn2_b64 s[4:5], s[4:5], exec
	s_and_b64 s[8:9], s[8:9], exec
	s_or_b64 s[4:5], s[4:5], s[8:9]
	s_or_b64 exec, exec, s[6:7]
	s_and_saveexec_b64 s[6:7], s[4:5]
	s_cbranch_execnz .LBB53_1223
	s_branch .LBB53_1224
.LBB53_3273:
	s_movk_i32 s4, 0x80
	v_cmp_eq_u16_sdwa s[12:13], v3, s4 src0_sel:BYTE_0 src1_sel:DWORD
	s_mov_b64 s[4:5], -1
                                        ; implicit-def: $sgpr10
	s_and_saveexec_b64 s[8:9], s[12:13]
; %bb.3274:
	s_mov_b32 s10, 0x7f800001
	s_xor_b64 s[4:5], exec, -1
; %bb.3275:
	s_or_b64 exec, exec, s[8:9]
	s_and_b64 s[4:5], s[4:5], exec
	s_or_saveexec_b64 s[6:7], s[6:7]
	v_mov_b32_e32 v2, s10
	s_xor_b64 exec, exec, s[6:7]
	s_cbranch_execz .LBB53_1226
.LBB53_3276:
	v_mov_b32_e32 v2, 0
	v_cmp_ne_u16_sdwa s[8:9], v3, v2 src0_sel:BYTE_0 src1_sel:DWORD
	s_andn2_b64 s[4:5], s[4:5], exec
	s_and_b64 s[8:9], s[8:9], exec
	s_or_b64 s[4:5], s[4:5], s[8:9]
	s_or_b64 exec, exec, s[6:7]
	s_and_saveexec_b64 s[6:7], s[4:5]
	s_cbranch_execnz .LBB53_1227
	s_branch .LBB53_1228
.LBB53_3277:
	s_movk_i32 s4, 0x80
	v_cmp_eq_u16_sdwa s[12:13], v3, s4 src0_sel:BYTE_0 src1_sel:DWORD
	s_mov_b64 s[4:5], -1
                                        ; implicit-def: $sgpr10
	s_and_saveexec_b64 s[8:9], s[12:13]
; %bb.3278:
	s_mov_b32 s10, 0x7f800001
	s_xor_b64 s[4:5], exec, -1
; %bb.3279:
	s_or_b64 exec, exec, s[8:9]
	s_and_b64 s[4:5], s[4:5], exec
	s_or_saveexec_b64 s[6:7], s[6:7]
	v_mov_b32_e32 v6, s10
	s_xor_b64 exec, exec, s[6:7]
	s_cbranch_execz .LBB53_1230
.LBB53_3280:
	v_mov_b32_e32 v6, 0
	v_cmp_ne_u16_sdwa s[8:9], v3, v6 src0_sel:BYTE_0 src1_sel:DWORD
	s_andn2_b64 s[4:5], s[4:5], exec
	s_and_b64 s[8:9], s[8:9], exec
	s_or_b64 s[4:5], s[4:5], s[8:9]
	s_or_b64 exec, exec, s[6:7]
	s_and_saveexec_b64 s[6:7], s[4:5]
	s_cbranch_execnz .LBB53_1231
	s_branch .LBB53_1232
.LBB53_3281:
	s_movk_i32 s4, 0x80
	v_cmp_eq_u16_e32 vcc, s4, v3
	s_mov_b64 s[4:5], -1
                                        ; implicit-def: $sgpr10
	s_and_saveexec_b64 s[8:9], vcc
; %bb.3282:
	s_mov_b32 s10, 0x7f800001
	s_xor_b64 s[4:5], exec, -1
; %bb.3283:
	s_or_b64 exec, exec, s[8:9]
	s_and_b64 s[4:5], s[4:5], exec
                                        ; implicit-def: $vgpr3
	s_or_saveexec_b64 s[6:7], s[6:7]
	v_mov_b32_e32 v2, s10
	s_xor_b64 exec, exec, s[6:7]
	s_cbranch_execz .LBB53_1234
.LBB53_3284:
	v_cmp_ne_u16_e32 vcc, 0, v3
	s_andn2_b64 s[4:5], s[4:5], exec
	s_and_b64 s[8:9], vcc, exec
	v_mov_b32_e32 v2, 0
	s_or_b64 s[4:5], s[4:5], s[8:9]
	s_or_b64 exec, exec, s[6:7]
	s_and_saveexec_b64 s[6:7], s[4:5]
	s_cbranch_execnz .LBB53_1235
	s_branch .LBB53_1236
.LBB53_3285:
	s_movk_i32 s4, 0x80
	v_cmp_eq_u16_e32 vcc, s4, v3
	s_mov_b64 s[4:5], -1
                                        ; implicit-def: $sgpr10
	s_and_saveexec_b64 s[8:9], vcc
; %bb.3286:
	s_mov_b32 s10, 0x7f800001
	s_xor_b64 s[4:5], exec, -1
; %bb.3287:
	s_or_b64 exec, exec, s[8:9]
	s_and_b64 s[4:5], s[4:5], exec
                                        ; implicit-def: $vgpr3
	s_or_saveexec_b64 s[6:7], s[6:7]
	v_mov_b32_e32 v6, s10
	s_xor_b64 exec, exec, s[6:7]
	s_cbranch_execz .LBB53_1238
.LBB53_3288:
	v_cmp_ne_u16_e32 vcc, 0, v3
	s_andn2_b64 s[4:5], s[4:5], exec
	s_and_b64 s[8:9], vcc, exec
	v_mov_b32_e32 v6, 0
	s_or_b64 s[4:5], s[4:5], s[8:9]
	s_or_b64 exec, exec, s[6:7]
	s_and_saveexec_b64 s[6:7], s[4:5]
	s_cbranch_execnz .LBB53_1239
	s_branch .LBB53_1240
.LBB53_3289:
	s_movk_i32 s4, 0x80
	v_cmp_eq_u16_sdwa s[12:13], v8, s4 src0_sel:BYTE_3 src1_sel:DWORD
	s_mov_b64 s[4:5], -1
                                        ; implicit-def: $sgpr10
	s_and_saveexec_b64 s[8:9], s[12:13]
; %bb.3290:
	s_mov_b32 s10, 0x7f800001
	s_xor_b64 s[4:5], exec, -1
; %bb.3291:
	s_or_b64 exec, exec, s[8:9]
	s_and_b64 s[4:5], s[4:5], exec
	s_or_saveexec_b64 s[6:7], s[6:7]
	v_mov_b32_e32 v2, s10
	s_xor_b64 exec, exec, s[6:7]
	s_cbranch_execz .LBB53_1242
.LBB53_3292:
	v_mov_b32_e32 v2, 0
	v_cmp_ne_u16_sdwa s[8:9], v8, v2 src0_sel:BYTE_3 src1_sel:DWORD
	s_andn2_b64 s[4:5], s[4:5], exec
	s_and_b64 s[8:9], s[8:9], exec
	s_or_b64 s[4:5], s[4:5], s[8:9]
	s_or_b64 exec, exec, s[6:7]
	s_and_saveexec_b64 s[6:7], s[4:5]
	s_cbranch_execnz .LBB53_1243
	s_branch .LBB53_1244
.LBB53_3293:
	s_movk_i32 s4, 0x80
	v_cmp_eq_u16_sdwa s[12:13], v4, s4 src0_sel:BYTE_3 src1_sel:DWORD
	s_mov_b64 s[4:5], -1
                                        ; implicit-def: $sgpr10
	s_and_saveexec_b64 s[8:9], s[12:13]
; %bb.3294:
	s_mov_b32 s10, 0x7f800001
	s_xor_b64 s[4:5], exec, -1
; %bb.3295:
	s_or_b64 exec, exec, s[8:9]
	s_and_b64 s[4:5], s[4:5], exec
	s_or_saveexec_b64 s[6:7], s[6:7]
	v_mov_b32_e32 v3, s10
	s_xor_b64 exec, exec, s[6:7]
	s_cbranch_execz .LBB53_1246
.LBB53_3296:
	v_mov_b32_e32 v3, 0
	v_cmp_ne_u16_sdwa s[8:9], v4, v3 src0_sel:BYTE_3 src1_sel:DWORD
	s_andn2_b64 s[4:5], s[4:5], exec
	s_and_b64 s[8:9], s[8:9], exec
	s_or_b64 s[4:5], s[4:5], s[8:9]
	s_or_b64 exec, exec, s[6:7]
	s_and_saveexec_b64 s[6:7], s[4:5]
	s_cbranch_execnz .LBB53_1247
	s_branch .LBB53_1248
.LBB53_3297:
	s_movk_i32 s4, 0x80
	v_cmp_eq_u16_sdwa s[12:13], v9, s4 src0_sel:BYTE_0 src1_sel:DWORD
	s_mov_b64 s[4:5], -1
                                        ; implicit-def: $sgpr10
	s_and_saveexec_b64 s[8:9], s[12:13]
; %bb.3298:
	s_mov_b32 s10, 0x7f800001
	s_xor_b64 s[4:5], exec, -1
; %bb.3299:
	s_or_b64 exec, exec, s[8:9]
	s_and_b64 s[4:5], s[4:5], exec
	s_or_saveexec_b64 s[6:7], s[6:7]
	v_mov_b32_e32 v2, s10
	s_xor_b64 exec, exec, s[6:7]
	s_cbranch_execz .LBB53_1250
.LBB53_3300:
	v_mov_b32_e32 v2, 0
	v_cmp_ne_u16_sdwa s[8:9], v9, v2 src0_sel:BYTE_0 src1_sel:DWORD
	s_andn2_b64 s[4:5], s[4:5], exec
	s_and_b64 s[8:9], s[8:9], exec
	s_or_b64 s[4:5], s[4:5], s[8:9]
	s_or_b64 exec, exec, s[6:7]
	s_and_saveexec_b64 s[6:7], s[4:5]
	s_cbranch_execnz .LBB53_1251
	s_branch .LBB53_1252
.LBB53_3301:
	s_movk_i32 s4, 0x80
	v_cmp_eq_u16_sdwa s[12:13], v5, s4 src0_sel:BYTE_0 src1_sel:DWORD
	s_mov_b64 s[4:5], -1
                                        ; implicit-def: $sgpr10
	s_and_saveexec_b64 s[8:9], s[12:13]
; %bb.3302:
	s_mov_b32 s10, 0x7f800001
	s_xor_b64 s[4:5], exec, -1
; %bb.3303:
	s_or_b64 exec, exec, s[8:9]
	s_and_b64 s[4:5], s[4:5], exec
	s_or_saveexec_b64 s[6:7], s[6:7]
	v_mov_b32_e32 v3, s10
	s_xor_b64 exec, exec, s[6:7]
	s_cbranch_execz .LBB53_1254
.LBB53_3304:
	v_mov_b32_e32 v3, 0
	v_cmp_ne_u16_sdwa s[8:9], v5, v3 src0_sel:BYTE_0 src1_sel:DWORD
	s_andn2_b64 s[4:5], s[4:5], exec
	s_and_b64 s[8:9], s[8:9], exec
	s_or_b64 s[4:5], s[4:5], s[8:9]
	s_or_b64 exec, exec, s[6:7]
	s_and_saveexec_b64 s[6:7], s[4:5]
	s_cbranch_execnz .LBB53_1255
	s_branch .LBB53_1256
.LBB53_3305:
	s_movk_i32 s4, 0x80
	v_cmp_eq_u16_sdwa s[12:13], v3, s4 src0_sel:BYTE_0 src1_sel:DWORD
	s_mov_b64 s[4:5], -1
                                        ; implicit-def: $sgpr10
	s_and_saveexec_b64 s[8:9], s[12:13]
; %bb.3306:
	s_mov_b32 s10, 0x7f800001
	s_xor_b64 s[4:5], exec, -1
; %bb.3307:
	s_or_b64 exec, exec, s[8:9]
	s_and_b64 s[4:5], s[4:5], exec
	s_or_saveexec_b64 s[6:7], s[6:7]
	v_mov_b32_e32 v2, s10
	s_xor_b64 exec, exec, s[6:7]
	s_cbranch_execz .LBB53_1258
.LBB53_3308:
	v_mov_b32_e32 v2, 0
	v_cmp_ne_u16_sdwa s[8:9], v3, v2 src0_sel:BYTE_0 src1_sel:DWORD
	s_andn2_b64 s[4:5], s[4:5], exec
	s_and_b64 s[8:9], s[8:9], exec
	s_or_b64 s[4:5], s[4:5], s[8:9]
	s_or_b64 exec, exec, s[6:7]
	s_and_saveexec_b64 s[6:7], s[4:5]
	s_cbranch_execnz .LBB53_1259
	s_branch .LBB53_1260
.LBB53_3309:
	s_movk_i32 s4, 0x80
	v_cmp_eq_u16_sdwa s[12:13], v3, s4 src0_sel:BYTE_0 src1_sel:DWORD
	s_mov_b64 s[4:5], -1
                                        ; implicit-def: $sgpr10
	s_and_saveexec_b64 s[8:9], s[12:13]
; %bb.3310:
	s_mov_b32 s10, 0x7f800001
	s_xor_b64 s[4:5], exec, -1
; %bb.3311:
	s_or_b64 exec, exec, s[8:9]
	s_and_b64 s[4:5], s[4:5], exec
	s_or_saveexec_b64 s[6:7], s[6:7]
	v_mov_b32_e32 v4, s10
	s_xor_b64 exec, exec, s[6:7]
	s_cbranch_execz .LBB53_1262
.LBB53_3312:
	v_mov_b32_e32 v4, 0
	v_cmp_ne_u16_sdwa s[8:9], v3, v4 src0_sel:BYTE_0 src1_sel:DWORD
	s_andn2_b64 s[4:5], s[4:5], exec
	s_and_b64 s[8:9], s[8:9], exec
	s_or_b64 s[4:5], s[4:5], s[8:9]
	s_or_b64 exec, exec, s[6:7]
	s_and_saveexec_b64 s[6:7], s[4:5]
	s_cbranch_execnz .LBB53_1263
	s_branch .LBB53_1264
.LBB53_3313:
	s_movk_i32 s4, 0x80
	v_cmp_eq_u16_e32 vcc, s4, v3
	s_mov_b64 s[4:5], -1
                                        ; implicit-def: $sgpr10
	s_and_saveexec_b64 s[8:9], vcc
; %bb.3314:
	s_mov_b32 s10, 0x7f800001
	s_xor_b64 s[4:5], exec, -1
; %bb.3315:
	s_or_b64 exec, exec, s[8:9]
	s_and_b64 s[4:5], s[4:5], exec
                                        ; implicit-def: $vgpr3
	s_or_saveexec_b64 s[6:7], s[6:7]
	v_mov_b32_e32 v2, s10
	s_xor_b64 exec, exec, s[6:7]
	s_cbranch_execz .LBB53_1266
.LBB53_3316:
	v_cmp_ne_u16_e32 vcc, 0, v3
	s_andn2_b64 s[4:5], s[4:5], exec
	s_and_b64 s[8:9], vcc, exec
	v_mov_b32_e32 v2, 0
	s_or_b64 s[4:5], s[4:5], s[8:9]
	s_or_b64 exec, exec, s[6:7]
	s_and_saveexec_b64 s[6:7], s[4:5]
	s_cbranch_execnz .LBB53_1267
	s_branch .LBB53_1268
.LBB53_3317:
	s_movk_i32 s4, 0x80
	v_cmp_eq_u16_e32 vcc, s4, v3
	s_mov_b64 s[4:5], -1
                                        ; implicit-def: $sgpr10
	s_and_saveexec_b64 s[8:9], vcc
; %bb.3318:
	s_mov_b32 s10, 0x7f800001
	s_xor_b64 s[4:5], exec, -1
; %bb.3319:
	s_or_b64 exec, exec, s[8:9]
	s_and_b64 s[4:5], s[4:5], exec
                                        ; implicit-def: $vgpr3
	s_or_saveexec_b64 s[6:7], s[6:7]
	v_mov_b32_e32 v4, s10
	s_xor_b64 exec, exec, s[6:7]
	s_cbranch_execz .LBB53_1270
.LBB53_3320:
	v_cmp_ne_u16_e32 vcc, 0, v3
	s_andn2_b64 s[4:5], s[4:5], exec
	s_and_b64 s[8:9], vcc, exec
	v_mov_b32_e32 v4, 0
	s_or_b64 s[4:5], s[4:5], s[8:9]
	s_or_b64 exec, exec, s[6:7]
	s_and_saveexec_b64 s[6:7], s[4:5]
	s_cbranch_execnz .LBB53_1271
	s_branch .LBB53_1272
.LBB53_3321:
	s_movk_i32 s4, 0x80
	v_cmp_eq_u16_sdwa s[12:13], v9, s4 src0_sel:BYTE_3 src1_sel:DWORD
	s_mov_b64 s[4:5], -1
                                        ; implicit-def: $sgpr10
	s_and_saveexec_b64 s[8:9], s[12:13]
; %bb.3322:
	s_mov_b32 s10, 0x7f800001
	s_xor_b64 s[4:5], exec, -1
; %bb.3323:
	s_or_b64 exec, exec, s[8:9]
	s_and_b64 s[4:5], s[4:5], exec
	s_or_saveexec_b64 s[6:7], s[6:7]
	v_mov_b32_e32 v2, s10
	s_xor_b64 exec, exec, s[6:7]
	s_cbranch_execz .LBB53_1274
.LBB53_3324:
	v_mov_b32_e32 v2, 0
	v_cmp_ne_u16_sdwa s[8:9], v9, v2 src0_sel:BYTE_3 src1_sel:DWORD
	s_andn2_b64 s[4:5], s[4:5], exec
	s_and_b64 s[8:9], s[8:9], exec
	s_or_b64 s[4:5], s[4:5], s[8:9]
	s_or_b64 exec, exec, s[6:7]
	s_and_saveexec_b64 s[6:7], s[4:5]
	s_cbranch_execnz .LBB53_1275
	s_branch .LBB53_1276
.LBB53_3325:
	s_movk_i32 s4, 0x80
	v_cmp_eq_u16_sdwa s[12:13], v5, s4 src0_sel:BYTE_3 src1_sel:DWORD
	s_mov_b64 s[4:5], -1
                                        ; implicit-def: $sgpr10
	s_and_saveexec_b64 s[8:9], s[12:13]
; %bb.3326:
	s_mov_b32 s10, 0x7f800001
	s_xor_b64 s[4:5], exec, -1
; %bb.3327:
	s_or_b64 exec, exec, s[8:9]
	s_and_b64 s[4:5], s[4:5], exec
	s_or_saveexec_b64 s[6:7], s[6:7]
	v_mov_b32_e32 v3, s10
	s_xor_b64 exec, exec, s[6:7]
	s_cbranch_execz .LBB53_1278
.LBB53_3328:
	v_mov_b32_e32 v3, 0
	v_cmp_ne_u16_sdwa s[8:9], v5, v3 src0_sel:BYTE_3 src1_sel:DWORD
	s_andn2_b64 s[4:5], s[4:5], exec
	s_and_b64 s[8:9], s[8:9], exec
	s_or_b64 s[4:5], s[4:5], s[8:9]
	s_or_b64 exec, exec, s[6:7]
	s_and_saveexec_b64 s[6:7], s[4:5]
	s_cbranch_execnz .LBB53_1279
	s_branch .LBB53_1280
.LBB53_3329:
	s_movk_i32 s4, 0x80
	v_cmp_eq_u16_sdwa s[12:13], v14, s4 src0_sel:BYTE_0 src1_sel:DWORD
	s_mov_b64 s[4:5], -1
                                        ; implicit-def: $sgpr10
	s_and_saveexec_b64 s[8:9], s[12:13]
; %bb.3330:
	s_mov_b32 s10, 0x7f800001
	s_xor_b64 s[4:5], exec, -1
; %bb.3331:
	s_or_b64 exec, exec, s[8:9]
	s_and_b64 s[4:5], s[4:5], exec
	s_or_saveexec_b64 s[6:7], s[6:7]
	v_mov_b32_e32 v20, s10
	s_xor_b64 exec, exec, s[6:7]
	s_cbranch_execz .LBB53_1282
.LBB53_3332:
	v_mov_b32_e32 v20, 0
	v_cmp_ne_u16_sdwa s[8:9], v14, v20 src0_sel:BYTE_0 src1_sel:DWORD
	s_andn2_b64 s[4:5], s[4:5], exec
	s_and_b64 s[8:9], s[8:9], exec
	s_or_b64 s[4:5], s[4:5], s[8:9]
	s_or_b64 exec, exec, s[6:7]
	s_and_saveexec_b64 s[6:7], s[4:5]
	s_cbranch_execnz .LBB53_1283
	s_branch .LBB53_1284
.LBB53_3333:
	s_movk_i32 s4, 0x80
	v_cmp_eq_u16_sdwa s[12:13], v10, s4 src0_sel:BYTE_0 src1_sel:DWORD
	s_mov_b64 s[4:5], -1
                                        ; implicit-def: $sgpr10
	s_and_saveexec_b64 s[8:9], s[12:13]
; %bb.3334:
	s_mov_b32 s10, 0x7f800001
	s_xor_b64 s[4:5], exec, -1
; %bb.3335:
	s_or_b64 exec, exec, s[8:9]
	s_and_b64 s[4:5], s[4:5], exec
	s_or_saveexec_b64 s[6:7], s[6:7]
	v_mov_b32_e32 v21, s10
	s_xor_b64 exec, exec, s[6:7]
	s_cbranch_execz .LBB53_1286
.LBB53_3336:
	v_mov_b32_e32 v21, 0
	v_cmp_ne_u16_sdwa s[8:9], v10, v21 src0_sel:BYTE_0 src1_sel:DWORD
	s_andn2_b64 s[4:5], s[4:5], exec
	s_and_b64 s[8:9], s[8:9], exec
	s_or_b64 s[4:5], s[4:5], s[8:9]
	s_or_b64 exec, exec, s[6:7]
	s_and_saveexec_b64 s[6:7], s[4:5]
	s_cbranch_execnz .LBB53_1287
	s_branch .LBB53_1288
.LBB53_3337:
	s_movk_i32 s4, 0x80
	v_cmp_eq_u16_sdwa s[12:13], v21, s4 src0_sel:BYTE_0 src1_sel:DWORD
	s_mov_b64 s[4:5], -1
                                        ; implicit-def: $sgpr10
	s_and_saveexec_b64 s[8:9], s[12:13]
; %bb.3338:
	s_mov_b32 s10, 0x7f800001
	s_xor_b64 s[4:5], exec, -1
; %bb.3339:
	s_or_b64 exec, exec, s[8:9]
	s_and_b64 s[4:5], s[4:5], exec
	s_or_saveexec_b64 s[6:7], s[6:7]
	v_mov_b32_e32 v20, s10
	s_xor_b64 exec, exec, s[6:7]
	s_cbranch_execz .LBB53_1290
.LBB53_3340:
	v_mov_b32_e32 v20, 0
	v_cmp_ne_u16_sdwa s[8:9], v21, v20 src0_sel:BYTE_0 src1_sel:DWORD
	s_andn2_b64 s[4:5], s[4:5], exec
	s_and_b64 s[8:9], s[8:9], exec
	s_or_b64 s[4:5], s[4:5], s[8:9]
	s_or_b64 exec, exec, s[6:7]
	s_and_saveexec_b64 s[6:7], s[4:5]
	s_cbranch_execnz .LBB53_1291
	s_branch .LBB53_1292
.LBB53_3341:
	s_movk_i32 s4, 0x80
	v_cmp_eq_u16_sdwa s[12:13], v21, s4 src0_sel:BYTE_0 src1_sel:DWORD
	s_mov_b64 s[4:5], -1
                                        ; implicit-def: $sgpr10
	s_and_saveexec_b64 s[8:9], s[12:13]
; %bb.3342:
	s_mov_b32 s10, 0x7f800001
	s_xor_b64 s[4:5], exec, -1
; %bb.3343:
	s_or_b64 exec, exec, s[8:9]
	s_and_b64 s[4:5], s[4:5], exec
	s_or_saveexec_b64 s[6:7], s[6:7]
	v_mov_b32_e32 v22, s10
	s_xor_b64 exec, exec, s[6:7]
	s_cbranch_execz .LBB53_1294
.LBB53_3344:
	v_mov_b32_e32 v22, 0
	v_cmp_ne_u16_sdwa s[8:9], v21, v22 src0_sel:BYTE_0 src1_sel:DWORD
	s_andn2_b64 s[4:5], s[4:5], exec
	s_and_b64 s[8:9], s[8:9], exec
	s_or_b64 s[4:5], s[4:5], s[8:9]
	s_or_b64 exec, exec, s[6:7]
	s_and_saveexec_b64 s[6:7], s[4:5]
	s_cbranch_execnz .LBB53_1295
	s_branch .LBB53_1296
.LBB53_3345:
	s_movk_i32 s4, 0x80
	v_cmp_eq_u16_e32 vcc, s4, v21
	s_mov_b64 s[4:5], -1
                                        ; implicit-def: $sgpr10
	s_and_saveexec_b64 s[8:9], vcc
; %bb.3346:
	s_mov_b32 s10, 0x7f800001
	s_xor_b64 s[4:5], exec, -1
; %bb.3347:
	s_or_b64 exec, exec, s[8:9]
	s_and_b64 s[4:5], s[4:5], exec
                                        ; implicit-def: $vgpr21
	s_or_saveexec_b64 s[6:7], s[6:7]
	v_mov_b32_e32 v20, s10
	s_xor_b64 exec, exec, s[6:7]
	s_cbranch_execz .LBB53_1298
.LBB53_3348:
	v_cmp_ne_u16_e32 vcc, 0, v21
	s_andn2_b64 s[4:5], s[4:5], exec
	s_and_b64 s[8:9], vcc, exec
	v_mov_b32_e32 v20, 0
	s_or_b64 s[4:5], s[4:5], s[8:9]
	s_or_b64 exec, exec, s[6:7]
	s_and_saveexec_b64 s[6:7], s[4:5]
	s_cbranch_execnz .LBB53_1299
	s_branch .LBB53_1300
.LBB53_3349:
	s_movk_i32 s4, 0x80
	v_cmp_eq_u16_e32 vcc, s4, v21
	s_mov_b64 s[4:5], -1
                                        ; implicit-def: $sgpr10
	s_and_saveexec_b64 s[8:9], vcc
; %bb.3350:
	s_mov_b32 s10, 0x7f800001
	s_xor_b64 s[4:5], exec, -1
; %bb.3351:
	s_or_b64 exec, exec, s[8:9]
	s_and_b64 s[4:5], s[4:5], exec
                                        ; implicit-def: $vgpr21
	s_or_saveexec_b64 s[6:7], s[6:7]
	v_mov_b32_e32 v22, s10
	s_xor_b64 exec, exec, s[6:7]
	s_cbranch_execz .LBB53_1302
.LBB53_3352:
	v_cmp_ne_u16_e32 vcc, 0, v21
	s_andn2_b64 s[4:5], s[4:5], exec
	s_and_b64 s[8:9], vcc, exec
	v_mov_b32_e32 v22, 0
	s_or_b64 s[4:5], s[4:5], s[8:9]
	s_or_b64 exec, exec, s[6:7]
	s_and_saveexec_b64 s[6:7], s[4:5]
	s_cbranch_execnz .LBB53_1303
	s_branch .LBB53_1304
.LBB53_3353:
	s_movk_i32 s4, 0x80
	v_cmp_eq_u16_sdwa s[12:13], v14, s4 src0_sel:BYTE_3 src1_sel:DWORD
	s_mov_b64 s[4:5], -1
                                        ; implicit-def: $sgpr10
	s_and_saveexec_b64 s[8:9], s[12:13]
; %bb.3354:
	s_mov_b32 s10, 0x7f800001
	s_xor_b64 s[4:5], exec, -1
; %bb.3355:
	s_or_b64 exec, exec, s[8:9]
	s_and_b64 s[4:5], s[4:5], exec
	s_or_saveexec_b64 s[6:7], s[6:7]
	v_mov_b32_e32 v20, s10
	s_xor_b64 exec, exec, s[6:7]
	s_cbranch_execz .LBB53_1306
.LBB53_3356:
	v_mov_b32_e32 v20, 0
	v_cmp_ne_u16_sdwa s[8:9], v14, v20 src0_sel:BYTE_3 src1_sel:DWORD
	s_andn2_b64 s[4:5], s[4:5], exec
	s_and_b64 s[8:9], s[8:9], exec
	s_or_b64 s[4:5], s[4:5], s[8:9]
	s_or_b64 exec, exec, s[6:7]
	s_and_saveexec_b64 s[6:7], s[4:5]
	s_cbranch_execnz .LBB53_1307
	s_branch .LBB53_1308
.LBB53_3357:
	s_movk_i32 s4, 0x80
	v_cmp_eq_u16_sdwa s[12:13], v10, s4 src0_sel:BYTE_3 src1_sel:DWORD
	s_mov_b64 s[4:5], -1
                                        ; implicit-def: $sgpr10
	s_and_saveexec_b64 s[8:9], s[12:13]
; %bb.3358:
	s_mov_b32 s10, 0x7f800001
	s_xor_b64 s[4:5], exec, -1
; %bb.3359:
	s_or_b64 exec, exec, s[8:9]
	s_and_b64 s[4:5], s[4:5], exec
	s_or_saveexec_b64 s[6:7], s[6:7]
	v_mov_b32_e32 v14, s10
	s_xor_b64 exec, exec, s[6:7]
	s_cbranch_execz .LBB53_1310
.LBB53_3360:
	v_mov_b32_e32 v14, 0
	v_cmp_ne_u16_sdwa s[8:9], v10, v14 src0_sel:BYTE_3 src1_sel:DWORD
	s_andn2_b64 s[4:5], s[4:5], exec
	s_and_b64 s[8:9], s[8:9], exec
	s_or_b64 s[4:5], s[4:5], s[8:9]
	s_or_b64 exec, exec, s[6:7]
	s_and_saveexec_b64 s[6:7], s[4:5]
	s_cbranch_execnz .LBB53_1311
	s_branch .LBB53_1312
.LBB53_3361:
	s_movk_i32 s4, 0x80
	v_cmp_eq_u16_sdwa s[12:13], v15, s4 src0_sel:BYTE_0 src1_sel:DWORD
	s_mov_b64 s[4:5], -1
                                        ; implicit-def: $sgpr10
	s_and_saveexec_b64 s[8:9], s[12:13]
; %bb.3362:
	s_mov_b32 s10, 0x7f800001
	s_xor_b64 s[4:5], exec, -1
; %bb.3363:
	s_or_b64 exec, exec, s[8:9]
	s_and_b64 s[4:5], s[4:5], exec
	s_or_saveexec_b64 s[6:7], s[6:7]
	v_mov_b32_e32 v10, s10
	s_xor_b64 exec, exec, s[6:7]
	s_cbranch_execz .LBB53_1314
.LBB53_3364:
	v_mov_b32_e32 v10, 0
	v_cmp_ne_u16_sdwa s[8:9], v15, v10 src0_sel:BYTE_0 src1_sel:DWORD
	s_andn2_b64 s[4:5], s[4:5], exec
	s_and_b64 s[8:9], s[8:9], exec
	s_or_b64 s[4:5], s[4:5], s[8:9]
	s_or_b64 exec, exec, s[6:7]
	s_and_saveexec_b64 s[6:7], s[4:5]
	s_cbranch_execnz .LBB53_1315
	s_branch .LBB53_1316
.LBB53_3365:
	s_movk_i32 s4, 0x80
	v_cmp_eq_u16_sdwa s[12:13], v11, s4 src0_sel:BYTE_0 src1_sel:DWORD
	s_mov_b64 s[4:5], -1
                                        ; implicit-def: $sgpr10
	s_and_saveexec_b64 s[8:9], s[12:13]
; %bb.3366:
	s_mov_b32 s10, 0x7f800001
	s_xor_b64 s[4:5], exec, -1
; %bb.3367:
	s_or_b64 exec, exec, s[8:9]
	s_and_b64 s[4:5], s[4:5], exec
	s_or_saveexec_b64 s[6:7], s[6:7]
	v_mov_b32_e32 v14, s10
	s_xor_b64 exec, exec, s[6:7]
	s_cbranch_execz .LBB53_1318
.LBB53_3368:
	v_mov_b32_e32 v14, 0
	v_cmp_ne_u16_sdwa s[8:9], v11, v14 src0_sel:BYTE_0 src1_sel:DWORD
	s_andn2_b64 s[4:5], s[4:5], exec
	s_and_b64 s[8:9], s[8:9], exec
	s_or_b64 s[4:5], s[4:5], s[8:9]
	s_or_b64 exec, exec, s[6:7]
	s_and_saveexec_b64 s[6:7], s[4:5]
	s_cbranch_execnz .LBB53_1319
	s_branch .LBB53_1320
.LBB53_3369:
	s_movk_i32 s4, 0x80
	v_cmp_eq_u16_sdwa s[12:13], v14, s4 src0_sel:BYTE_0 src1_sel:DWORD
	s_mov_b64 s[4:5], -1
                                        ; implicit-def: $sgpr10
	s_and_saveexec_b64 s[8:9], s[12:13]
; %bb.3370:
	s_mov_b32 s10, 0x7f800001
	s_xor_b64 s[4:5], exec, -1
; %bb.3371:
	s_or_b64 exec, exec, s[8:9]
	s_and_b64 s[4:5], s[4:5], exec
	s_or_saveexec_b64 s[6:7], s[6:7]
	v_mov_b32_e32 v10, s10
	s_xor_b64 exec, exec, s[6:7]
	s_cbranch_execz .LBB53_1322
.LBB53_3372:
	v_mov_b32_e32 v10, 0
	v_cmp_ne_u16_sdwa s[8:9], v14, v10 src0_sel:BYTE_0 src1_sel:DWORD
	s_andn2_b64 s[4:5], s[4:5], exec
	s_and_b64 s[8:9], s[8:9], exec
	s_or_b64 s[4:5], s[4:5], s[8:9]
	s_or_b64 exec, exec, s[6:7]
	s_and_saveexec_b64 s[6:7], s[4:5]
	s_cbranch_execnz .LBB53_1323
	s_branch .LBB53_1324
.LBB53_3373:
	s_movk_i32 s4, 0x80
	v_cmp_eq_u16_sdwa s[12:13], v14, s4 src0_sel:BYTE_0 src1_sel:DWORD
	s_mov_b64 s[4:5], -1
                                        ; implicit-def: $sgpr10
	s_and_saveexec_b64 s[8:9], s[12:13]
; %bb.3374:
	s_mov_b32 s10, 0x7f800001
	s_xor_b64 s[4:5], exec, -1
; %bb.3375:
	s_or_b64 exec, exec, s[8:9]
	s_and_b64 s[4:5], s[4:5], exec
	s_or_saveexec_b64 s[6:7], s[6:7]
	v_mov_b32_e32 v20, s10
	s_xor_b64 exec, exec, s[6:7]
	s_cbranch_execz .LBB53_1326
.LBB53_3376:
	v_mov_b32_e32 v20, 0
	v_cmp_ne_u16_sdwa s[8:9], v14, v20 src0_sel:BYTE_0 src1_sel:DWORD
	s_andn2_b64 s[4:5], s[4:5], exec
	s_and_b64 s[8:9], s[8:9], exec
	s_or_b64 s[4:5], s[4:5], s[8:9]
	s_or_b64 exec, exec, s[6:7]
	s_and_saveexec_b64 s[6:7], s[4:5]
	s_cbranch_execnz .LBB53_1327
	s_branch .LBB53_1328
.LBB53_3377:
	s_movk_i32 s4, 0x80
	v_cmp_eq_u16_e32 vcc, s4, v14
	s_mov_b64 s[4:5], -1
                                        ; implicit-def: $sgpr10
	s_and_saveexec_b64 s[8:9], vcc
; %bb.3378:
	s_mov_b32 s10, 0x7f800001
	s_xor_b64 s[4:5], exec, -1
; %bb.3379:
	s_or_b64 exec, exec, s[8:9]
	s_and_b64 s[4:5], s[4:5], exec
                                        ; implicit-def: $vgpr14
	s_or_saveexec_b64 s[6:7], s[6:7]
	v_mov_b32_e32 v10, s10
	s_xor_b64 exec, exec, s[6:7]
	s_cbranch_execz .LBB53_1330
.LBB53_3380:
	v_cmp_ne_u16_e32 vcc, 0, v14
	s_andn2_b64 s[4:5], s[4:5], exec
	s_and_b64 s[8:9], vcc, exec
	v_mov_b32_e32 v10, 0
	s_or_b64 s[4:5], s[4:5], s[8:9]
	s_or_b64 exec, exec, s[6:7]
	s_and_saveexec_b64 s[6:7], s[4:5]
	s_cbranch_execnz .LBB53_1331
	s_branch .LBB53_1332
.LBB53_3381:
	s_movk_i32 s4, 0x80
	v_cmp_eq_u16_e32 vcc, s4, v14
	s_mov_b64 s[4:5], -1
                                        ; implicit-def: $sgpr10
	s_and_saveexec_b64 s[8:9], vcc
; %bb.3382:
	s_mov_b32 s10, 0x7f800001
	s_xor_b64 s[4:5], exec, -1
; %bb.3383:
	s_or_b64 exec, exec, s[8:9]
	s_and_b64 s[4:5], s[4:5], exec
                                        ; implicit-def: $vgpr14
	s_or_saveexec_b64 s[6:7], s[6:7]
	v_mov_b32_e32 v20, s10
	s_xor_b64 exec, exec, s[6:7]
	s_cbranch_execz .LBB53_1334
.LBB53_3384:
	v_cmp_ne_u16_e32 vcc, 0, v14
	s_andn2_b64 s[4:5], s[4:5], exec
	s_and_b64 s[8:9], vcc, exec
	v_mov_b32_e32 v20, 0
	s_or_b64 s[4:5], s[4:5], s[8:9]
	s_or_b64 exec, exec, s[6:7]
	s_and_saveexec_b64 s[6:7], s[4:5]
	s_cbranch_execnz .LBB53_1335
	s_branch .LBB53_1336
.LBB53_3385:
	s_movk_i32 s4, 0x80
	v_cmp_eq_u16_sdwa s[12:13], v15, s4 src0_sel:BYTE_3 src1_sel:DWORD
	s_mov_b64 s[4:5], -1
                                        ; implicit-def: $sgpr10
	s_and_saveexec_b64 s[8:9], s[12:13]
; %bb.3386:
	s_mov_b32 s10, 0x7f800001
	s_xor_b64 s[4:5], exec, -1
; %bb.3387:
	s_or_b64 exec, exec, s[8:9]
	s_and_b64 s[4:5], s[4:5], exec
	s_or_saveexec_b64 s[6:7], s[6:7]
	v_mov_b32_e32 v10, s10
	s_xor_b64 exec, exec, s[6:7]
	s_cbranch_execz .LBB53_1338
.LBB53_3388:
	v_mov_b32_e32 v10, 0
	v_cmp_ne_u16_sdwa s[8:9], v15, v10 src0_sel:BYTE_3 src1_sel:DWORD
	s_andn2_b64 s[4:5], s[4:5], exec
	s_and_b64 s[8:9], s[8:9], exec
	s_or_b64 s[4:5], s[4:5], s[8:9]
	s_or_b64 exec, exec, s[6:7]
	s_and_saveexec_b64 s[6:7], s[4:5]
	s_cbranch_execnz .LBB53_1339
	s_branch .LBB53_1340
.LBB53_3389:
	s_movk_i32 s4, 0x80
	v_cmp_eq_u16_sdwa s[12:13], v11, s4 src0_sel:BYTE_3 src1_sel:DWORD
	s_mov_b64 s[4:5], -1
                                        ; implicit-def: $sgpr10
	s_and_saveexec_b64 s[8:9], s[12:13]
; %bb.3390:
	s_mov_b32 s10, 0x7f800001
	s_xor_b64 s[4:5], exec, -1
; %bb.3391:
	s_or_b64 exec, exec, s[8:9]
	s_and_b64 s[4:5], s[4:5], exec
	s_or_saveexec_b64 s[6:7], s[6:7]
	v_mov_b32_e32 v14, s10
	s_xor_b64 exec, exec, s[6:7]
	s_cbranch_execz .LBB53_1342
.LBB53_3392:
	v_mov_b32_e32 v14, 0
	v_cmp_ne_u16_sdwa s[8:9], v11, v14 src0_sel:BYTE_3 src1_sel:DWORD
	s_andn2_b64 s[4:5], s[4:5], exec
	s_and_b64 s[8:9], s[8:9], exec
	s_or_b64 s[4:5], s[4:5], s[8:9]
	s_or_b64 exec, exec, s[6:7]
	s_and_saveexec_b64 s[6:7], s[4:5]
	s_cbranch_execnz .LBB53_1343
	s_branch .LBB53_1344
.LBB53_3393:
	s_movk_i32 s4, 0x80
	v_cmp_eq_u16_sdwa s[12:13], v16, s4 src0_sel:BYTE_0 src1_sel:DWORD
	s_mov_b64 s[4:5], -1
                                        ; implicit-def: $sgpr10
	s_and_saveexec_b64 s[8:9], s[12:13]
; %bb.3394:
	s_mov_b32 s10, 0x7f800001
	s_xor_b64 s[4:5], exec, -1
; %bb.3395:
	s_or_b64 exec, exec, s[8:9]
	s_and_b64 s[4:5], s[4:5], exec
	s_or_saveexec_b64 s[6:7], s[6:7]
	v_mov_b32_e32 v10, s10
	s_xor_b64 exec, exec, s[6:7]
	s_cbranch_execz .LBB53_1346
.LBB53_3396:
	v_mov_b32_e32 v10, 0
	v_cmp_ne_u16_sdwa s[8:9], v16, v10 src0_sel:BYTE_0 src1_sel:DWORD
	s_andn2_b64 s[4:5], s[4:5], exec
	s_and_b64 s[8:9], s[8:9], exec
	s_or_b64 s[4:5], s[4:5], s[8:9]
	s_or_b64 exec, exec, s[6:7]
	s_and_saveexec_b64 s[6:7], s[4:5]
	s_cbranch_execnz .LBB53_1347
	s_branch .LBB53_1348
.LBB53_3397:
	s_movk_i32 s4, 0x80
	v_cmp_eq_u16_sdwa s[12:13], v12, s4 src0_sel:BYTE_0 src1_sel:DWORD
	s_mov_b64 s[4:5], -1
                                        ; implicit-def: $sgpr10
	s_and_saveexec_b64 s[8:9], s[12:13]
; %bb.3398:
	s_mov_b32 s10, 0x7f800001
	s_xor_b64 s[4:5], exec, -1
; %bb.3399:
	s_or_b64 exec, exec, s[8:9]
	s_and_b64 s[4:5], s[4:5], exec
	s_or_saveexec_b64 s[6:7], s[6:7]
	v_mov_b32_e32 v11, s10
	s_xor_b64 exec, exec, s[6:7]
	s_cbranch_execz .LBB53_1350
.LBB53_3400:
	v_mov_b32_e32 v11, 0
	v_cmp_ne_u16_sdwa s[8:9], v12, v11 src0_sel:BYTE_0 src1_sel:DWORD
	s_andn2_b64 s[4:5], s[4:5], exec
	s_and_b64 s[8:9], s[8:9], exec
	s_or_b64 s[4:5], s[4:5], s[8:9]
	s_or_b64 exec, exec, s[6:7]
	s_and_saveexec_b64 s[6:7], s[4:5]
	s_cbranch_execnz .LBB53_1351
	s_branch .LBB53_1352
.LBB53_3401:
	s_movk_i32 s4, 0x80
	v_cmp_eq_u16_sdwa s[12:13], v11, s4 src0_sel:BYTE_0 src1_sel:DWORD
	s_mov_b64 s[4:5], -1
                                        ; implicit-def: $sgpr10
	s_and_saveexec_b64 s[8:9], s[12:13]
; %bb.3402:
	s_mov_b32 s10, 0x7f800001
	s_xor_b64 s[4:5], exec, -1
; %bb.3403:
	s_or_b64 exec, exec, s[8:9]
	s_and_b64 s[4:5], s[4:5], exec
	s_or_saveexec_b64 s[6:7], s[6:7]
	v_mov_b32_e32 v10, s10
	s_xor_b64 exec, exec, s[6:7]
	s_cbranch_execz .LBB53_1354
.LBB53_3404:
	v_mov_b32_e32 v10, 0
	v_cmp_ne_u16_sdwa s[8:9], v11, v10 src0_sel:BYTE_0 src1_sel:DWORD
	s_andn2_b64 s[4:5], s[4:5], exec
	s_and_b64 s[8:9], s[8:9], exec
	s_or_b64 s[4:5], s[4:5], s[8:9]
	s_or_b64 exec, exec, s[6:7]
	s_and_saveexec_b64 s[6:7], s[4:5]
	s_cbranch_execnz .LBB53_1355
	s_branch .LBB53_1356
.LBB53_3405:
	s_movk_i32 s4, 0x80
	v_cmp_eq_u16_sdwa s[12:13], v11, s4 src0_sel:BYTE_0 src1_sel:DWORD
	s_mov_b64 s[4:5], -1
                                        ; implicit-def: $sgpr10
	s_and_saveexec_b64 s[8:9], s[12:13]
; %bb.3406:
	s_mov_b32 s10, 0x7f800001
	s_xor_b64 s[4:5], exec, -1
; %bb.3407:
	s_or_b64 exec, exec, s[8:9]
	s_and_b64 s[4:5], s[4:5], exec
	s_or_saveexec_b64 s[6:7], s[6:7]
	v_mov_b32_e32 v14, s10
	s_xor_b64 exec, exec, s[6:7]
	s_cbranch_execz .LBB53_1358
.LBB53_3408:
	v_mov_b32_e32 v14, 0
	v_cmp_ne_u16_sdwa s[8:9], v11, v14 src0_sel:BYTE_0 src1_sel:DWORD
	s_andn2_b64 s[4:5], s[4:5], exec
	s_and_b64 s[8:9], s[8:9], exec
	s_or_b64 s[4:5], s[4:5], s[8:9]
	s_or_b64 exec, exec, s[6:7]
	s_and_saveexec_b64 s[6:7], s[4:5]
	s_cbranch_execnz .LBB53_1359
	s_branch .LBB53_1360
.LBB53_3409:
	s_movk_i32 s4, 0x80
	v_cmp_eq_u16_e32 vcc, s4, v11
	s_mov_b64 s[4:5], -1
                                        ; implicit-def: $sgpr10
	s_and_saveexec_b64 s[8:9], vcc
; %bb.3410:
	s_mov_b32 s10, 0x7f800001
	s_xor_b64 s[4:5], exec, -1
; %bb.3411:
	s_or_b64 exec, exec, s[8:9]
	s_and_b64 s[4:5], s[4:5], exec
                                        ; implicit-def: $vgpr11
	s_or_saveexec_b64 s[6:7], s[6:7]
	v_mov_b32_e32 v10, s10
	s_xor_b64 exec, exec, s[6:7]
	s_cbranch_execz .LBB53_1362
.LBB53_3412:
	v_cmp_ne_u16_e32 vcc, 0, v11
	s_andn2_b64 s[4:5], s[4:5], exec
	s_and_b64 s[8:9], vcc, exec
	v_mov_b32_e32 v10, 0
	s_or_b64 s[4:5], s[4:5], s[8:9]
	s_or_b64 exec, exec, s[6:7]
	s_and_saveexec_b64 s[6:7], s[4:5]
	s_cbranch_execnz .LBB53_1363
	s_branch .LBB53_1364
.LBB53_3413:
	s_movk_i32 s4, 0x80
	v_cmp_eq_u16_e32 vcc, s4, v11
	s_mov_b64 s[4:5], -1
                                        ; implicit-def: $sgpr10
	s_and_saveexec_b64 s[8:9], vcc
; %bb.3414:
	s_mov_b32 s10, 0x7f800001
	s_xor_b64 s[4:5], exec, -1
; %bb.3415:
	s_or_b64 exec, exec, s[8:9]
	s_and_b64 s[4:5], s[4:5], exec
                                        ; implicit-def: $vgpr11
	s_or_saveexec_b64 s[6:7], s[6:7]
	v_mov_b32_e32 v14, s10
	s_xor_b64 exec, exec, s[6:7]
	s_cbranch_execz .LBB53_1366
.LBB53_3416:
	v_cmp_ne_u16_e32 vcc, 0, v11
	s_andn2_b64 s[4:5], s[4:5], exec
	s_and_b64 s[8:9], vcc, exec
	v_mov_b32_e32 v14, 0
	s_or_b64 s[4:5], s[4:5], s[8:9]
	s_or_b64 exec, exec, s[6:7]
	s_and_saveexec_b64 s[6:7], s[4:5]
	s_cbranch_execnz .LBB53_1367
	s_branch .LBB53_1368
.LBB53_3417:
	s_movk_i32 s4, 0x80
	v_cmp_eq_u16_sdwa s[12:13], v16, s4 src0_sel:BYTE_3 src1_sel:DWORD
	s_mov_b64 s[4:5], -1
                                        ; implicit-def: $sgpr10
	s_and_saveexec_b64 s[8:9], s[12:13]
; %bb.3418:
	s_mov_b32 s10, 0x7f800001
	s_xor_b64 s[4:5], exec, -1
; %bb.3419:
	s_or_b64 exec, exec, s[8:9]
	s_and_b64 s[4:5], s[4:5], exec
	s_or_saveexec_b64 s[6:7], s[6:7]
	v_mov_b32_e32 v10, s10
	s_xor_b64 exec, exec, s[6:7]
	s_cbranch_execz .LBB53_1370
.LBB53_3420:
	v_mov_b32_e32 v10, 0
	v_cmp_ne_u16_sdwa s[8:9], v16, v10 src0_sel:BYTE_3 src1_sel:DWORD
	s_andn2_b64 s[4:5], s[4:5], exec
	s_and_b64 s[8:9], s[8:9], exec
	s_or_b64 s[4:5], s[4:5], s[8:9]
	s_or_b64 exec, exec, s[6:7]
	s_and_saveexec_b64 s[6:7], s[4:5]
	s_cbranch_execnz .LBB53_1371
	s_branch .LBB53_1372
.LBB53_3421:
	s_movk_i32 s4, 0x80
	v_cmp_eq_u16_sdwa s[12:13], v12, s4 src0_sel:BYTE_3 src1_sel:DWORD
	s_mov_b64 s[4:5], -1
                                        ; implicit-def: $sgpr10
	s_and_saveexec_b64 s[8:9], s[12:13]
; %bb.3422:
	s_mov_b32 s10, 0x7f800001
	s_xor_b64 s[4:5], exec, -1
; %bb.3423:
	s_or_b64 exec, exec, s[8:9]
	s_and_b64 s[4:5], s[4:5], exec
	s_or_saveexec_b64 s[6:7], s[6:7]
	v_mov_b32_e32 v11, s10
	s_xor_b64 exec, exec, s[6:7]
	s_cbranch_execz .LBB53_1374
.LBB53_3424:
	v_mov_b32_e32 v11, 0
	v_cmp_ne_u16_sdwa s[8:9], v12, v11 src0_sel:BYTE_3 src1_sel:DWORD
	s_andn2_b64 s[4:5], s[4:5], exec
	s_and_b64 s[8:9], s[8:9], exec
	s_or_b64 s[4:5], s[4:5], s[8:9]
	s_or_b64 exec, exec, s[6:7]
	s_and_saveexec_b64 s[6:7], s[4:5]
	s_cbranch_execnz .LBB53_1375
	s_branch .LBB53_1376
.LBB53_3425:
	s_movk_i32 s4, 0x80
	v_cmp_eq_u16_sdwa s[12:13], v17, s4 src0_sel:BYTE_0 src1_sel:DWORD
	s_mov_b64 s[4:5], -1
                                        ; implicit-def: $sgpr10
	s_and_saveexec_b64 s[8:9], s[12:13]
; %bb.3426:
	s_mov_b32 s10, 0x7f800001
	s_xor_b64 s[4:5], exec, -1
; %bb.3427:
	s_or_b64 exec, exec, s[8:9]
	s_and_b64 s[4:5], s[4:5], exec
	s_or_saveexec_b64 s[6:7], s[6:7]
	v_mov_b32_e32 v10, s10
	s_xor_b64 exec, exec, s[6:7]
	s_cbranch_execz .LBB53_1378
.LBB53_3428:
	v_mov_b32_e32 v10, 0
	v_cmp_ne_u16_sdwa s[8:9], v17, v10 src0_sel:BYTE_0 src1_sel:DWORD
	s_andn2_b64 s[4:5], s[4:5], exec
	s_and_b64 s[8:9], s[8:9], exec
	s_or_b64 s[4:5], s[4:5], s[8:9]
	s_or_b64 exec, exec, s[6:7]
	s_and_saveexec_b64 s[6:7], s[4:5]
	s_cbranch_execnz .LBB53_1379
	s_branch .LBB53_1380
.LBB53_3429:
	s_movk_i32 s4, 0x80
	v_cmp_eq_u16_sdwa s[12:13], v13, s4 src0_sel:BYTE_0 src1_sel:DWORD
	s_mov_b64 s[4:5], -1
                                        ; implicit-def: $sgpr10
	s_and_saveexec_b64 s[8:9], s[12:13]
; %bb.3430:
	s_mov_b32 s10, 0x7f800001
	s_xor_b64 s[4:5], exec, -1
; %bb.3431:
	s_or_b64 exec, exec, s[8:9]
	s_and_b64 s[4:5], s[4:5], exec
	s_or_saveexec_b64 s[6:7], s[6:7]
	v_mov_b32_e32 v11, s10
	s_xor_b64 exec, exec, s[6:7]
	s_cbranch_execz .LBB53_1382
.LBB53_3432:
	v_mov_b32_e32 v11, 0
	v_cmp_ne_u16_sdwa s[8:9], v13, v11 src0_sel:BYTE_0 src1_sel:DWORD
	s_andn2_b64 s[4:5], s[4:5], exec
	s_and_b64 s[8:9], s[8:9], exec
	s_or_b64 s[4:5], s[4:5], s[8:9]
	s_or_b64 exec, exec, s[6:7]
	s_and_saveexec_b64 s[6:7], s[4:5]
	s_cbranch_execnz .LBB53_1383
	s_branch .LBB53_1384
.LBB53_3433:
	s_movk_i32 s4, 0x80
	v_cmp_eq_u16_sdwa s[12:13], v11, s4 src0_sel:BYTE_0 src1_sel:DWORD
	s_mov_b64 s[4:5], -1
                                        ; implicit-def: $sgpr10
	s_and_saveexec_b64 s[8:9], s[12:13]
; %bb.3434:
	s_mov_b32 s10, 0x7f800001
	s_xor_b64 s[4:5], exec, -1
; %bb.3435:
	s_or_b64 exec, exec, s[8:9]
	s_and_b64 s[4:5], s[4:5], exec
	s_or_saveexec_b64 s[6:7], s[6:7]
	v_mov_b32_e32 v10, s10
	s_xor_b64 exec, exec, s[6:7]
	s_cbranch_execz .LBB53_1386
.LBB53_3436:
	v_mov_b32_e32 v10, 0
	v_cmp_ne_u16_sdwa s[8:9], v11, v10 src0_sel:BYTE_0 src1_sel:DWORD
	s_andn2_b64 s[4:5], s[4:5], exec
	s_and_b64 s[8:9], s[8:9], exec
	s_or_b64 s[4:5], s[4:5], s[8:9]
	s_or_b64 exec, exec, s[6:7]
	s_and_saveexec_b64 s[6:7], s[4:5]
	s_cbranch_execnz .LBB53_1387
	s_branch .LBB53_1388
.LBB53_3437:
	s_movk_i32 s4, 0x80
	v_cmp_eq_u16_sdwa s[12:13], v11, s4 src0_sel:BYTE_0 src1_sel:DWORD
	s_mov_b64 s[4:5], -1
                                        ; implicit-def: $sgpr10
	s_and_saveexec_b64 s[8:9], s[12:13]
; %bb.3438:
	s_mov_b32 s10, 0x7f800001
	s_xor_b64 s[4:5], exec, -1
; %bb.3439:
	s_or_b64 exec, exec, s[8:9]
	s_and_b64 s[4:5], s[4:5], exec
	s_or_saveexec_b64 s[6:7], s[6:7]
	v_mov_b32_e32 v12, s10
	s_xor_b64 exec, exec, s[6:7]
	s_cbranch_execz .LBB53_1390
.LBB53_3440:
	v_mov_b32_e32 v12, 0
	v_cmp_ne_u16_sdwa s[8:9], v11, v12 src0_sel:BYTE_0 src1_sel:DWORD
	s_andn2_b64 s[4:5], s[4:5], exec
	s_and_b64 s[8:9], s[8:9], exec
	s_or_b64 s[4:5], s[4:5], s[8:9]
	s_or_b64 exec, exec, s[6:7]
	s_and_saveexec_b64 s[6:7], s[4:5]
	s_cbranch_execnz .LBB53_1391
	s_branch .LBB53_1392
.LBB53_3441:
	s_movk_i32 s4, 0x80
	v_cmp_eq_u16_e32 vcc, s4, v11
	s_mov_b64 s[4:5], -1
                                        ; implicit-def: $sgpr10
	s_and_saveexec_b64 s[8:9], vcc
; %bb.3442:
	s_mov_b32 s10, 0x7f800001
	s_xor_b64 s[4:5], exec, -1
; %bb.3443:
	s_or_b64 exec, exec, s[8:9]
	s_and_b64 s[4:5], s[4:5], exec
                                        ; implicit-def: $vgpr11
	s_or_saveexec_b64 s[6:7], s[6:7]
	v_mov_b32_e32 v10, s10
	s_xor_b64 exec, exec, s[6:7]
	s_cbranch_execz .LBB53_1394
.LBB53_3444:
	v_cmp_ne_u16_e32 vcc, 0, v11
	s_andn2_b64 s[4:5], s[4:5], exec
	s_and_b64 s[8:9], vcc, exec
	v_mov_b32_e32 v10, 0
	s_or_b64 s[4:5], s[4:5], s[8:9]
	s_or_b64 exec, exec, s[6:7]
	s_and_saveexec_b64 s[6:7], s[4:5]
	s_cbranch_execnz .LBB53_1395
	s_branch .LBB53_1396
.LBB53_3445:
	s_movk_i32 s4, 0x80
	v_cmp_eq_u16_e32 vcc, s4, v11
	s_mov_b64 s[4:5], -1
                                        ; implicit-def: $sgpr10
	s_and_saveexec_b64 s[8:9], vcc
; %bb.3446:
	s_mov_b32 s10, 0x7f800001
	s_xor_b64 s[4:5], exec, -1
; %bb.3447:
	s_or_b64 exec, exec, s[8:9]
	s_and_b64 s[4:5], s[4:5], exec
                                        ; implicit-def: $vgpr11
	s_or_saveexec_b64 s[6:7], s[6:7]
	v_mov_b32_e32 v12, s10
	s_xor_b64 exec, exec, s[6:7]
	s_cbranch_execz .LBB53_1398
.LBB53_3448:
	v_cmp_ne_u16_e32 vcc, 0, v11
	s_andn2_b64 s[4:5], s[4:5], exec
	s_and_b64 s[8:9], vcc, exec
	v_mov_b32_e32 v12, 0
	s_or_b64 s[4:5], s[4:5], s[8:9]
	s_or_b64 exec, exec, s[6:7]
	s_and_saveexec_b64 s[6:7], s[4:5]
	s_cbranch_execnz .LBB53_1399
	s_branch .LBB53_1400
.LBB53_3449:
	s_movk_i32 s4, 0x80
	v_cmp_eq_u16_sdwa s[12:13], v17, s4 src0_sel:BYTE_3 src1_sel:DWORD
	s_mov_b64 s[4:5], -1
                                        ; implicit-def: $sgpr10
	s_and_saveexec_b64 s[8:9], s[12:13]
; %bb.3450:
	s_mov_b32 s10, 0x7f800001
	s_xor_b64 s[4:5], exec, -1
; %bb.3451:
	s_or_b64 exec, exec, s[8:9]
	s_and_b64 s[4:5], s[4:5], exec
	s_or_saveexec_b64 s[6:7], s[6:7]
	v_mov_b32_e32 v10, s10
	s_xor_b64 exec, exec, s[6:7]
	s_cbranch_execz .LBB53_1402
.LBB53_3452:
	v_mov_b32_e32 v10, 0
	v_cmp_ne_u16_sdwa s[8:9], v17, v10 src0_sel:BYTE_3 src1_sel:DWORD
	s_andn2_b64 s[4:5], s[4:5], exec
	s_and_b64 s[8:9], s[8:9], exec
	s_or_b64 s[4:5], s[4:5], s[8:9]
	s_or_b64 exec, exec, s[6:7]
	s_and_saveexec_b64 s[6:7], s[4:5]
	s_cbranch_execnz .LBB53_1403
	s_branch .LBB53_1404
.LBB53_3453:
	s_movk_i32 s4, 0x80
	v_cmp_eq_u16_sdwa s[12:13], v13, s4 src0_sel:BYTE_3 src1_sel:DWORD
	s_mov_b64 s[4:5], -1
                                        ; implicit-def: $sgpr10
	s_and_saveexec_b64 s[8:9], s[12:13]
; %bb.3454:
	s_mov_b32 s10, 0x7f800001
	s_xor_b64 s[4:5], exec, -1
; %bb.3455:
	s_or_b64 exec, exec, s[8:9]
	s_and_b64 s[4:5], s[4:5], exec
	s_or_saveexec_b64 s[6:7], s[6:7]
	v_mov_b32_e32 v11, s10
	s_xor_b64 exec, exec, s[6:7]
	s_cbranch_execz .LBB53_1406
.LBB53_3456:
	v_mov_b32_e32 v11, 0
	v_cmp_ne_u16_sdwa s[8:9], v13, v11 src0_sel:BYTE_3 src1_sel:DWORD
	s_andn2_b64 s[4:5], s[4:5], exec
	s_and_b64 s[8:9], s[8:9], exec
	s_or_b64 s[4:5], s[4:5], s[8:9]
	s_or_b64 exec, exec, s[6:7]
	s_and_saveexec_b64 s[6:7], s[4:5]
	s_cbranch_execnz .LBB53_1407
	s_branch .LBB53_1408
.LBB53_3457:
	s_movk_i32 s4, 0x80
	v_cmp_eq_u16_sdwa s[12:13], v6, s4 src0_sel:BYTE_0 src1_sel:DWORD
	s_mov_b64 s[4:5], -1
                                        ; implicit-def: $sgpr10
	s_and_saveexec_b64 s[8:9], s[12:13]
; %bb.3458:
	s_mov_b32 s10, 0x7f800001
	s_xor_b64 s[4:5], exec, -1
; %bb.3459:
	s_or_b64 exec, exec, s[8:9]
	s_and_b64 s[4:5], s[4:5], exec
	s_or_saveexec_b64 s[6:7], s[6:7]
	v_mov_b32_e32 v10, s10
	s_xor_b64 exec, exec, s[6:7]
	s_cbranch_execz .LBB53_1410
.LBB53_3460:
	v_mov_b32_e32 v10, 0
	v_cmp_ne_u16_sdwa s[8:9], v6, v10 src0_sel:BYTE_0 src1_sel:DWORD
	s_andn2_b64 s[4:5], s[4:5], exec
	s_and_b64 s[8:9], s[8:9], exec
	s_or_b64 s[4:5], s[4:5], s[8:9]
	s_or_b64 exec, exec, s[6:7]
	s_and_saveexec_b64 s[6:7], s[4:5]
	s_cbranch_execnz .LBB53_1411
	s_branch .LBB53_1412
.LBB53_3461:
	s_movk_i32 s4, 0x80
	v_cmp_eq_u16_sdwa s[12:13], v2, s4 src0_sel:BYTE_0 src1_sel:DWORD
	s_mov_b64 s[4:5], -1
                                        ; implicit-def: $sgpr10
	s_and_saveexec_b64 s[8:9], s[12:13]
; %bb.3462:
	s_mov_b32 s10, 0x7f800001
	s_xor_b64 s[4:5], exec, -1
; %bb.3463:
	s_or_b64 exec, exec, s[8:9]
	s_and_b64 s[4:5], s[4:5], exec
	s_or_saveexec_b64 s[6:7], s[6:7]
	v_mov_b32_e32 v11, s10
	s_xor_b64 exec, exec, s[6:7]
	s_cbranch_execz .LBB53_1414
.LBB53_3464:
	v_mov_b32_e32 v11, 0
	v_cmp_ne_u16_sdwa s[8:9], v2, v11 src0_sel:BYTE_0 src1_sel:DWORD
	s_andn2_b64 s[4:5], s[4:5], exec
	s_and_b64 s[8:9], s[8:9], exec
	s_or_b64 s[4:5], s[4:5], s[8:9]
	s_or_b64 exec, exec, s[6:7]
	s_and_saveexec_b64 s[6:7], s[4:5]
	s_cbranch_execnz .LBB53_1415
	s_branch .LBB53_1416
.LBB53_3465:
	s_movk_i32 s4, 0x80
	v_cmp_eq_u16_sdwa s[12:13], v11, s4 src0_sel:BYTE_0 src1_sel:DWORD
	s_mov_b64 s[4:5], -1
                                        ; implicit-def: $sgpr10
	s_and_saveexec_b64 s[8:9], s[12:13]
; %bb.3466:
	s_mov_b32 s10, 0x7f800001
	s_xor_b64 s[4:5], exec, -1
; %bb.3467:
	s_or_b64 exec, exec, s[8:9]
	s_and_b64 s[4:5], s[4:5], exec
	s_or_saveexec_b64 s[6:7], s[6:7]
	v_mov_b32_e32 v10, s10
	s_xor_b64 exec, exec, s[6:7]
	s_cbranch_execz .LBB53_1418
.LBB53_3468:
	v_mov_b32_e32 v10, 0
	v_cmp_ne_u16_sdwa s[8:9], v11, v10 src0_sel:BYTE_0 src1_sel:DWORD
	s_andn2_b64 s[4:5], s[4:5], exec
	s_and_b64 s[8:9], s[8:9], exec
	s_or_b64 s[4:5], s[4:5], s[8:9]
	s_or_b64 exec, exec, s[6:7]
	s_and_saveexec_b64 s[6:7], s[4:5]
	s_cbranch_execnz .LBB53_1419
	s_branch .LBB53_1420
.LBB53_3469:
	s_movk_i32 s4, 0x80
	v_cmp_eq_u16_sdwa s[12:13], v11, s4 src0_sel:BYTE_0 src1_sel:DWORD
	s_mov_b64 s[4:5], -1
                                        ; implicit-def: $sgpr10
	s_and_saveexec_b64 s[8:9], s[12:13]
; %bb.3470:
	s_mov_b32 s10, 0x7f800001
	s_xor_b64 s[4:5], exec, -1
; %bb.3471:
	s_or_b64 exec, exec, s[8:9]
	s_and_b64 s[4:5], s[4:5], exec
	s_or_saveexec_b64 s[6:7], s[6:7]
	v_mov_b32_e32 v12, s10
	s_xor_b64 exec, exec, s[6:7]
	s_cbranch_execz .LBB53_1422
.LBB53_3472:
	v_mov_b32_e32 v12, 0
	v_cmp_ne_u16_sdwa s[8:9], v11, v12 src0_sel:BYTE_0 src1_sel:DWORD
	s_andn2_b64 s[4:5], s[4:5], exec
	s_and_b64 s[8:9], s[8:9], exec
	s_or_b64 s[4:5], s[4:5], s[8:9]
	s_or_b64 exec, exec, s[6:7]
	s_and_saveexec_b64 s[6:7], s[4:5]
	s_cbranch_execnz .LBB53_1423
	s_branch .LBB53_1424
.LBB53_3473:
	s_movk_i32 s4, 0x80
	v_cmp_eq_u16_e32 vcc, s4, v11
	s_mov_b64 s[4:5], -1
                                        ; implicit-def: $sgpr10
	s_and_saveexec_b64 s[8:9], vcc
; %bb.3474:
	s_mov_b32 s10, 0x7f800001
	s_xor_b64 s[4:5], exec, -1
; %bb.3475:
	s_or_b64 exec, exec, s[8:9]
	s_and_b64 s[4:5], s[4:5], exec
                                        ; implicit-def: $vgpr11
	s_or_saveexec_b64 s[6:7], s[6:7]
	v_mov_b32_e32 v10, s10
	s_xor_b64 exec, exec, s[6:7]
	s_cbranch_execz .LBB53_1426
.LBB53_3476:
	v_cmp_ne_u16_e32 vcc, 0, v11
	s_andn2_b64 s[4:5], s[4:5], exec
	s_and_b64 s[8:9], vcc, exec
	v_mov_b32_e32 v10, 0
	s_or_b64 s[4:5], s[4:5], s[8:9]
	s_or_b64 exec, exec, s[6:7]
	s_and_saveexec_b64 s[6:7], s[4:5]
	s_cbranch_execnz .LBB53_1427
	s_branch .LBB53_1428
.LBB53_3477:
	s_movk_i32 s4, 0x80
	v_cmp_eq_u16_e32 vcc, s4, v11
	s_mov_b64 s[4:5], -1
                                        ; implicit-def: $sgpr10
	s_and_saveexec_b64 s[8:9], vcc
; %bb.3478:
	s_mov_b32 s10, 0x7f800001
	s_xor_b64 s[4:5], exec, -1
; %bb.3479:
	s_or_b64 exec, exec, s[8:9]
	s_and_b64 s[4:5], s[4:5], exec
                                        ; implicit-def: $vgpr11
	s_or_saveexec_b64 s[6:7], s[6:7]
	v_mov_b32_e32 v12, s10
	s_xor_b64 exec, exec, s[6:7]
	s_cbranch_execz .LBB53_1430
.LBB53_3480:
	v_cmp_ne_u16_e32 vcc, 0, v11
	s_andn2_b64 s[4:5], s[4:5], exec
	s_and_b64 s[8:9], vcc, exec
	v_mov_b32_e32 v12, 0
	s_or_b64 s[4:5], s[4:5], s[8:9]
	s_or_b64 exec, exec, s[6:7]
	s_and_saveexec_b64 s[6:7], s[4:5]
	s_cbranch_execnz .LBB53_1431
	s_branch .LBB53_1432
.LBB53_3481:
	s_movk_i32 s4, 0x80
	v_cmp_eq_u16_sdwa s[12:13], v6, s4 src0_sel:BYTE_3 src1_sel:DWORD
	s_mov_b64 s[4:5], -1
                                        ; implicit-def: $sgpr10
	s_and_saveexec_b64 s[8:9], s[12:13]
; %bb.3482:
	s_mov_b32 s10, 0x7f800001
	s_xor_b64 s[4:5], exec, -1
; %bb.3483:
	s_or_b64 exec, exec, s[8:9]
	s_and_b64 s[4:5], s[4:5], exec
	s_or_saveexec_b64 s[6:7], s[6:7]
	v_mov_b32_e32 v10, s10
	s_xor_b64 exec, exec, s[6:7]
	s_cbranch_execz .LBB53_1434
.LBB53_3484:
	v_mov_b32_e32 v10, 0
	v_cmp_ne_u16_sdwa s[8:9], v6, v10 src0_sel:BYTE_3 src1_sel:DWORD
	s_andn2_b64 s[4:5], s[4:5], exec
	s_and_b64 s[8:9], s[8:9], exec
	s_or_b64 s[4:5], s[4:5], s[8:9]
	s_or_b64 exec, exec, s[6:7]
	s_and_saveexec_b64 s[6:7], s[4:5]
	s_cbranch_execnz .LBB53_1435
	s_branch .LBB53_1436
.LBB53_3485:
	s_movk_i32 s4, 0x80
	v_cmp_eq_u16_sdwa s[12:13], v2, s4 src0_sel:BYTE_3 src1_sel:DWORD
	s_mov_b64 s[4:5], -1
                                        ; implicit-def: $sgpr10
	s_and_saveexec_b64 s[8:9], s[12:13]
; %bb.3486:
	s_mov_b32 s10, 0x7f800001
	s_xor_b64 s[4:5], exec, -1
; %bb.3487:
	s_or_b64 exec, exec, s[8:9]
	s_and_b64 s[4:5], s[4:5], exec
	s_or_saveexec_b64 s[6:7], s[6:7]
	v_mov_b32_e32 v6, s10
	s_xor_b64 exec, exec, s[6:7]
	s_cbranch_execz .LBB53_1438
.LBB53_3488:
	v_mov_b32_e32 v6, 0
	v_cmp_ne_u16_sdwa s[8:9], v2, v6 src0_sel:BYTE_3 src1_sel:DWORD
	s_andn2_b64 s[4:5], s[4:5], exec
	s_and_b64 s[8:9], s[8:9], exec
	s_or_b64 s[4:5], s[4:5], s[8:9]
	s_or_b64 exec, exec, s[6:7]
	s_and_saveexec_b64 s[6:7], s[4:5]
	s_cbranch_execnz .LBB53_1439
	s_branch .LBB53_1440
.LBB53_3489:
	s_movk_i32 s4, 0x80
	v_cmp_eq_u16_sdwa s[12:13], v7, s4 src0_sel:BYTE_0 src1_sel:DWORD
	s_mov_b64 s[4:5], -1
                                        ; implicit-def: $sgpr10
	s_and_saveexec_b64 s[8:9], s[12:13]
; %bb.3490:
	s_mov_b32 s10, 0x7f800001
	s_xor_b64 s[4:5], exec, -1
; %bb.3491:
	s_or_b64 exec, exec, s[8:9]
	s_and_b64 s[4:5], s[4:5], exec
	s_or_saveexec_b64 s[6:7], s[6:7]
	v_mov_b32_e32 v2, s10
	s_xor_b64 exec, exec, s[6:7]
	s_cbranch_execz .LBB53_1442
.LBB53_3492:
	v_mov_b32_e32 v2, 0
	v_cmp_ne_u16_sdwa s[8:9], v7, v2 src0_sel:BYTE_0 src1_sel:DWORD
	s_andn2_b64 s[4:5], s[4:5], exec
	s_and_b64 s[8:9], s[8:9], exec
	s_or_b64 s[4:5], s[4:5], s[8:9]
	s_or_b64 exec, exec, s[6:7]
	s_and_saveexec_b64 s[6:7], s[4:5]
	s_cbranch_execnz .LBB53_1443
	s_branch .LBB53_1444
.LBB53_3493:
	s_movk_i32 s4, 0x80
	v_cmp_eq_u16_sdwa s[12:13], v3, s4 src0_sel:BYTE_0 src1_sel:DWORD
	s_mov_b64 s[4:5], -1
                                        ; implicit-def: $sgpr10
	s_and_saveexec_b64 s[8:9], s[12:13]
; %bb.3494:
	s_mov_b32 s10, 0x7f800001
	s_xor_b64 s[4:5], exec, -1
; %bb.3495:
	s_or_b64 exec, exec, s[8:9]
	s_and_b64 s[4:5], s[4:5], exec
	s_or_saveexec_b64 s[6:7], s[6:7]
	v_mov_b32_e32 v6, s10
	s_xor_b64 exec, exec, s[6:7]
	s_cbranch_execz .LBB53_1446
.LBB53_3496:
	v_mov_b32_e32 v6, 0
	v_cmp_ne_u16_sdwa s[8:9], v3, v6 src0_sel:BYTE_0 src1_sel:DWORD
	s_andn2_b64 s[4:5], s[4:5], exec
	s_and_b64 s[8:9], s[8:9], exec
	s_or_b64 s[4:5], s[4:5], s[8:9]
	s_or_b64 exec, exec, s[6:7]
	s_and_saveexec_b64 s[6:7], s[4:5]
	s_cbranch_execnz .LBB53_1447
	s_branch .LBB53_1448
.LBB53_3497:
	s_movk_i32 s4, 0x80
	v_cmp_eq_u16_sdwa s[12:13], v6, s4 src0_sel:BYTE_0 src1_sel:DWORD
	s_mov_b64 s[4:5], -1
                                        ; implicit-def: $sgpr10
	s_and_saveexec_b64 s[8:9], s[12:13]
; %bb.3498:
	s_mov_b32 s10, 0x7f800001
	s_xor_b64 s[4:5], exec, -1
; %bb.3499:
	s_or_b64 exec, exec, s[8:9]
	s_and_b64 s[4:5], s[4:5], exec
	s_or_saveexec_b64 s[6:7], s[6:7]
	v_mov_b32_e32 v2, s10
	s_xor_b64 exec, exec, s[6:7]
	s_cbranch_execz .LBB53_1450
.LBB53_3500:
	v_mov_b32_e32 v2, 0
	v_cmp_ne_u16_sdwa s[8:9], v6, v2 src0_sel:BYTE_0 src1_sel:DWORD
	s_andn2_b64 s[4:5], s[4:5], exec
	s_and_b64 s[8:9], s[8:9], exec
	s_or_b64 s[4:5], s[4:5], s[8:9]
	s_or_b64 exec, exec, s[6:7]
	s_and_saveexec_b64 s[6:7], s[4:5]
	s_cbranch_execnz .LBB53_1451
	s_branch .LBB53_1452
.LBB53_3501:
	s_movk_i32 s4, 0x80
	v_cmp_eq_u16_sdwa s[12:13], v6, s4 src0_sel:BYTE_0 src1_sel:DWORD
	s_mov_b64 s[4:5], -1
                                        ; implicit-def: $sgpr10
	s_and_saveexec_b64 s[8:9], s[12:13]
; %bb.3502:
	s_mov_b32 s10, 0x7f800001
	s_xor_b64 s[4:5], exec, -1
; %bb.3503:
	s_or_b64 exec, exec, s[8:9]
	s_and_b64 s[4:5], s[4:5], exec
	s_or_saveexec_b64 s[6:7], s[6:7]
	v_mov_b32_e32 v10, s10
	s_xor_b64 exec, exec, s[6:7]
	s_cbranch_execz .LBB53_1454
.LBB53_3504:
	v_mov_b32_e32 v10, 0
	v_cmp_ne_u16_sdwa s[8:9], v6, v10 src0_sel:BYTE_0 src1_sel:DWORD
	s_andn2_b64 s[4:5], s[4:5], exec
	s_and_b64 s[8:9], s[8:9], exec
	s_or_b64 s[4:5], s[4:5], s[8:9]
	s_or_b64 exec, exec, s[6:7]
	s_and_saveexec_b64 s[6:7], s[4:5]
	s_cbranch_execnz .LBB53_1455
	s_branch .LBB53_1456
.LBB53_3505:
	s_movk_i32 s4, 0x80
	v_cmp_eq_u16_e32 vcc, s4, v6
	s_mov_b64 s[4:5], -1
                                        ; implicit-def: $sgpr10
	s_and_saveexec_b64 s[8:9], vcc
; %bb.3506:
	s_mov_b32 s10, 0x7f800001
	s_xor_b64 s[4:5], exec, -1
; %bb.3507:
	s_or_b64 exec, exec, s[8:9]
	s_and_b64 s[4:5], s[4:5], exec
                                        ; implicit-def: $vgpr6
	s_or_saveexec_b64 s[6:7], s[6:7]
	v_mov_b32_e32 v2, s10
	s_xor_b64 exec, exec, s[6:7]
	s_cbranch_execz .LBB53_1458
.LBB53_3508:
	v_cmp_ne_u16_e32 vcc, 0, v6
	s_andn2_b64 s[4:5], s[4:5], exec
	s_and_b64 s[8:9], vcc, exec
	v_mov_b32_e32 v2, 0
	s_or_b64 s[4:5], s[4:5], s[8:9]
	s_or_b64 exec, exec, s[6:7]
	s_and_saveexec_b64 s[6:7], s[4:5]
	s_cbranch_execnz .LBB53_1459
	s_branch .LBB53_1460
.LBB53_3509:
	s_movk_i32 s4, 0x80
	v_cmp_eq_u16_e32 vcc, s4, v6
	s_mov_b64 s[4:5], -1
                                        ; implicit-def: $sgpr10
	s_and_saveexec_b64 s[8:9], vcc
; %bb.3510:
	s_mov_b32 s10, 0x7f800001
	s_xor_b64 s[4:5], exec, -1
; %bb.3511:
	s_or_b64 exec, exec, s[8:9]
	s_and_b64 s[4:5], s[4:5], exec
                                        ; implicit-def: $vgpr6
	s_or_saveexec_b64 s[6:7], s[6:7]
	v_mov_b32_e32 v10, s10
	s_xor_b64 exec, exec, s[6:7]
	s_cbranch_execz .LBB53_1462
.LBB53_3512:
	v_cmp_ne_u16_e32 vcc, 0, v6
	s_andn2_b64 s[4:5], s[4:5], exec
	s_and_b64 s[8:9], vcc, exec
	v_mov_b32_e32 v10, 0
	s_or_b64 s[4:5], s[4:5], s[8:9]
	s_or_b64 exec, exec, s[6:7]
	s_and_saveexec_b64 s[6:7], s[4:5]
	s_cbranch_execnz .LBB53_1463
	s_branch .LBB53_1464
.LBB53_3513:
	s_movk_i32 s4, 0x80
	v_cmp_eq_u16_sdwa s[12:13], v7, s4 src0_sel:BYTE_3 src1_sel:DWORD
	s_mov_b64 s[4:5], -1
                                        ; implicit-def: $sgpr10
	s_and_saveexec_b64 s[8:9], s[12:13]
; %bb.3514:
	s_mov_b32 s10, 0x7f800001
	s_xor_b64 s[4:5], exec, -1
; %bb.3515:
	s_or_b64 exec, exec, s[8:9]
	s_and_b64 s[4:5], s[4:5], exec
	s_or_saveexec_b64 s[6:7], s[6:7]
	v_mov_b32_e32 v2, s10
	s_xor_b64 exec, exec, s[6:7]
	s_cbranch_execz .LBB53_1466
.LBB53_3516:
	v_mov_b32_e32 v2, 0
	v_cmp_ne_u16_sdwa s[8:9], v7, v2 src0_sel:BYTE_3 src1_sel:DWORD
	s_andn2_b64 s[4:5], s[4:5], exec
	s_and_b64 s[8:9], s[8:9], exec
	s_or_b64 s[4:5], s[4:5], s[8:9]
	s_or_b64 exec, exec, s[6:7]
	s_and_saveexec_b64 s[6:7], s[4:5]
	s_cbranch_execnz .LBB53_1467
	s_branch .LBB53_1468
.LBB53_3517:
	s_movk_i32 s4, 0x80
	v_cmp_eq_u16_sdwa s[12:13], v3, s4 src0_sel:BYTE_3 src1_sel:DWORD
	s_mov_b64 s[4:5], -1
                                        ; implicit-def: $sgpr10
	s_and_saveexec_b64 s[8:9], s[12:13]
; %bb.3518:
	s_mov_b32 s10, 0x7f800001
	s_xor_b64 s[4:5], exec, -1
; %bb.3519:
	s_or_b64 exec, exec, s[8:9]
	s_and_b64 s[4:5], s[4:5], exec
	s_or_saveexec_b64 s[6:7], s[6:7]
	v_mov_b32_e32 v6, s10
	s_xor_b64 exec, exec, s[6:7]
	s_cbranch_execz .LBB53_1470
.LBB53_3520:
	v_mov_b32_e32 v6, 0
	v_cmp_ne_u16_sdwa s[8:9], v3, v6 src0_sel:BYTE_3 src1_sel:DWORD
	s_andn2_b64 s[4:5], s[4:5], exec
	s_and_b64 s[8:9], s[8:9], exec
	s_or_b64 s[4:5], s[4:5], s[8:9]
	s_or_b64 exec, exec, s[6:7]
	s_and_saveexec_b64 s[6:7], s[4:5]
	s_cbranch_execnz .LBB53_1471
	s_branch .LBB53_1472
.LBB53_3521:
	s_movk_i32 s4, 0x80
	v_cmp_eq_u16_sdwa s[12:13], v8, s4 src0_sel:BYTE_0 src1_sel:DWORD
	s_mov_b64 s[4:5], -1
                                        ; implicit-def: $sgpr10
	s_and_saveexec_b64 s[8:9], s[12:13]
; %bb.3522:
	s_mov_b32 s10, 0x7f800001
	s_xor_b64 s[4:5], exec, -1
; %bb.3523:
	s_or_b64 exec, exec, s[8:9]
	s_and_b64 s[4:5], s[4:5], exec
	s_or_saveexec_b64 s[6:7], s[6:7]
	v_mov_b32_e32 v2, s10
	s_xor_b64 exec, exec, s[6:7]
	s_cbranch_execz .LBB53_1474
.LBB53_3524:
	v_mov_b32_e32 v2, 0
	v_cmp_ne_u16_sdwa s[8:9], v8, v2 src0_sel:BYTE_0 src1_sel:DWORD
	s_andn2_b64 s[4:5], s[4:5], exec
	s_and_b64 s[8:9], s[8:9], exec
	s_or_b64 s[4:5], s[4:5], s[8:9]
	s_or_b64 exec, exec, s[6:7]
	s_and_saveexec_b64 s[6:7], s[4:5]
	s_cbranch_execnz .LBB53_1475
	s_branch .LBB53_1476
.LBB53_3525:
	s_movk_i32 s4, 0x80
	v_cmp_eq_u16_sdwa s[12:13], v4, s4 src0_sel:BYTE_0 src1_sel:DWORD
	s_mov_b64 s[4:5], -1
                                        ; implicit-def: $sgpr10
	s_and_saveexec_b64 s[8:9], s[12:13]
; %bb.3526:
	s_mov_b32 s10, 0x7f800001
	s_xor_b64 s[4:5], exec, -1
; %bb.3527:
	s_or_b64 exec, exec, s[8:9]
	s_and_b64 s[4:5], s[4:5], exec
	s_or_saveexec_b64 s[6:7], s[6:7]
	v_mov_b32_e32 v3, s10
	s_xor_b64 exec, exec, s[6:7]
	s_cbranch_execz .LBB53_1478
.LBB53_3528:
	v_mov_b32_e32 v3, 0
	v_cmp_ne_u16_sdwa s[8:9], v4, v3 src0_sel:BYTE_0 src1_sel:DWORD
	s_andn2_b64 s[4:5], s[4:5], exec
	s_and_b64 s[8:9], s[8:9], exec
	s_or_b64 s[4:5], s[4:5], s[8:9]
	s_or_b64 exec, exec, s[6:7]
	s_and_saveexec_b64 s[6:7], s[4:5]
	s_cbranch_execnz .LBB53_1479
	s_branch .LBB53_1480
.LBB53_3529:
	s_movk_i32 s4, 0x80
	v_cmp_eq_u16_sdwa s[12:13], v3, s4 src0_sel:BYTE_0 src1_sel:DWORD
	s_mov_b64 s[4:5], -1
                                        ; implicit-def: $sgpr10
	s_and_saveexec_b64 s[8:9], s[12:13]
; %bb.3530:
	s_mov_b32 s10, 0x7f800001
	s_xor_b64 s[4:5], exec, -1
; %bb.3531:
	s_or_b64 exec, exec, s[8:9]
	s_and_b64 s[4:5], s[4:5], exec
	s_or_saveexec_b64 s[6:7], s[6:7]
	v_mov_b32_e32 v2, s10
	s_xor_b64 exec, exec, s[6:7]
	s_cbranch_execz .LBB53_1482
.LBB53_3532:
	v_mov_b32_e32 v2, 0
	v_cmp_ne_u16_sdwa s[8:9], v3, v2 src0_sel:BYTE_0 src1_sel:DWORD
	s_andn2_b64 s[4:5], s[4:5], exec
	s_and_b64 s[8:9], s[8:9], exec
	s_or_b64 s[4:5], s[4:5], s[8:9]
	s_or_b64 exec, exec, s[6:7]
	s_and_saveexec_b64 s[6:7], s[4:5]
	s_cbranch_execnz .LBB53_1483
	s_branch .LBB53_1484
.LBB53_3533:
	s_movk_i32 s4, 0x80
	v_cmp_eq_u16_sdwa s[12:13], v3, s4 src0_sel:BYTE_0 src1_sel:DWORD
	s_mov_b64 s[4:5], -1
                                        ; implicit-def: $sgpr10
	s_and_saveexec_b64 s[8:9], s[12:13]
; %bb.3534:
	s_mov_b32 s10, 0x7f800001
	s_xor_b64 s[4:5], exec, -1
; %bb.3535:
	s_or_b64 exec, exec, s[8:9]
	s_and_b64 s[4:5], s[4:5], exec
	s_or_saveexec_b64 s[6:7], s[6:7]
	v_mov_b32_e32 v6, s10
	s_xor_b64 exec, exec, s[6:7]
	s_cbranch_execz .LBB53_1486
.LBB53_3536:
	v_mov_b32_e32 v6, 0
	v_cmp_ne_u16_sdwa s[8:9], v3, v6 src0_sel:BYTE_0 src1_sel:DWORD
	s_andn2_b64 s[4:5], s[4:5], exec
	s_and_b64 s[8:9], s[8:9], exec
	s_or_b64 s[4:5], s[4:5], s[8:9]
	s_or_b64 exec, exec, s[6:7]
	s_and_saveexec_b64 s[6:7], s[4:5]
	s_cbranch_execnz .LBB53_1487
	s_branch .LBB53_1488
.LBB53_3537:
	s_movk_i32 s4, 0x80
	v_cmp_eq_u16_e32 vcc, s4, v3
	s_mov_b64 s[4:5], -1
                                        ; implicit-def: $sgpr10
	s_and_saveexec_b64 s[8:9], vcc
; %bb.3538:
	s_mov_b32 s10, 0x7f800001
	s_xor_b64 s[4:5], exec, -1
; %bb.3539:
	s_or_b64 exec, exec, s[8:9]
	s_and_b64 s[4:5], s[4:5], exec
                                        ; implicit-def: $vgpr3
	s_or_saveexec_b64 s[6:7], s[6:7]
	v_mov_b32_e32 v2, s10
	s_xor_b64 exec, exec, s[6:7]
	s_cbranch_execz .LBB53_1490
.LBB53_3540:
	v_cmp_ne_u16_e32 vcc, 0, v3
	s_andn2_b64 s[4:5], s[4:5], exec
	s_and_b64 s[8:9], vcc, exec
	v_mov_b32_e32 v2, 0
	s_or_b64 s[4:5], s[4:5], s[8:9]
	s_or_b64 exec, exec, s[6:7]
	s_and_saveexec_b64 s[6:7], s[4:5]
	s_cbranch_execnz .LBB53_1491
	s_branch .LBB53_1492
.LBB53_3541:
	s_movk_i32 s4, 0x80
	v_cmp_eq_u16_e32 vcc, s4, v3
	s_mov_b64 s[4:5], -1
                                        ; implicit-def: $sgpr10
	s_and_saveexec_b64 s[8:9], vcc
; %bb.3542:
	s_mov_b32 s10, 0x7f800001
	s_xor_b64 s[4:5], exec, -1
; %bb.3543:
	s_or_b64 exec, exec, s[8:9]
	s_and_b64 s[4:5], s[4:5], exec
                                        ; implicit-def: $vgpr3
	s_or_saveexec_b64 s[6:7], s[6:7]
	v_mov_b32_e32 v6, s10
	s_xor_b64 exec, exec, s[6:7]
	s_cbranch_execz .LBB53_1494
.LBB53_3544:
	v_cmp_ne_u16_e32 vcc, 0, v3
	s_andn2_b64 s[4:5], s[4:5], exec
	s_and_b64 s[8:9], vcc, exec
	v_mov_b32_e32 v6, 0
	s_or_b64 s[4:5], s[4:5], s[8:9]
	s_or_b64 exec, exec, s[6:7]
	s_and_saveexec_b64 s[6:7], s[4:5]
	s_cbranch_execnz .LBB53_1495
	s_branch .LBB53_1496
.LBB53_3545:
	s_movk_i32 s4, 0x80
	v_cmp_eq_u16_sdwa s[12:13], v8, s4 src0_sel:BYTE_3 src1_sel:DWORD
	s_mov_b64 s[4:5], -1
                                        ; implicit-def: $sgpr10
	s_and_saveexec_b64 s[8:9], s[12:13]
; %bb.3546:
	s_mov_b32 s10, 0x7f800001
	s_xor_b64 s[4:5], exec, -1
; %bb.3547:
	s_or_b64 exec, exec, s[8:9]
	s_and_b64 s[4:5], s[4:5], exec
	s_or_saveexec_b64 s[6:7], s[6:7]
	v_mov_b32_e32 v2, s10
	s_xor_b64 exec, exec, s[6:7]
	s_cbranch_execz .LBB53_1498
.LBB53_3548:
	v_mov_b32_e32 v2, 0
	v_cmp_ne_u16_sdwa s[8:9], v8, v2 src0_sel:BYTE_3 src1_sel:DWORD
	s_andn2_b64 s[4:5], s[4:5], exec
	s_and_b64 s[8:9], s[8:9], exec
	s_or_b64 s[4:5], s[4:5], s[8:9]
	s_or_b64 exec, exec, s[6:7]
	s_and_saveexec_b64 s[6:7], s[4:5]
	s_cbranch_execnz .LBB53_1499
	s_branch .LBB53_1500
.LBB53_3549:
	s_movk_i32 s4, 0x80
	v_cmp_eq_u16_sdwa s[12:13], v4, s4 src0_sel:BYTE_3 src1_sel:DWORD
	s_mov_b64 s[4:5], -1
                                        ; implicit-def: $sgpr10
	s_and_saveexec_b64 s[8:9], s[12:13]
; %bb.3550:
	s_mov_b32 s10, 0x7f800001
	s_xor_b64 s[4:5], exec, -1
; %bb.3551:
	s_or_b64 exec, exec, s[8:9]
	s_and_b64 s[4:5], s[4:5], exec
	s_or_saveexec_b64 s[6:7], s[6:7]
	v_mov_b32_e32 v3, s10
	s_xor_b64 exec, exec, s[6:7]
	s_cbranch_execz .LBB53_1502
.LBB53_3552:
	v_mov_b32_e32 v3, 0
	v_cmp_ne_u16_sdwa s[8:9], v4, v3 src0_sel:BYTE_3 src1_sel:DWORD
	s_andn2_b64 s[4:5], s[4:5], exec
	s_and_b64 s[8:9], s[8:9], exec
	s_or_b64 s[4:5], s[4:5], s[8:9]
	s_or_b64 exec, exec, s[6:7]
	s_and_saveexec_b64 s[6:7], s[4:5]
	s_cbranch_execnz .LBB53_1503
	s_branch .LBB53_1504
.LBB53_3553:
	s_movk_i32 s4, 0x80
	v_cmp_eq_u16_sdwa s[12:13], v9, s4 src0_sel:BYTE_0 src1_sel:DWORD
	s_mov_b64 s[4:5], -1
                                        ; implicit-def: $sgpr10
	s_and_saveexec_b64 s[8:9], s[12:13]
; %bb.3554:
	s_mov_b32 s10, 0x7f800001
	s_xor_b64 s[4:5], exec, -1
; %bb.3555:
	s_or_b64 exec, exec, s[8:9]
	s_and_b64 s[4:5], s[4:5], exec
	s_or_saveexec_b64 s[6:7], s[6:7]
	v_mov_b32_e32 v2, s10
	s_xor_b64 exec, exec, s[6:7]
	s_cbranch_execz .LBB53_1506
.LBB53_3556:
	v_mov_b32_e32 v2, 0
	v_cmp_ne_u16_sdwa s[8:9], v9, v2 src0_sel:BYTE_0 src1_sel:DWORD
	s_andn2_b64 s[4:5], s[4:5], exec
	s_and_b64 s[8:9], s[8:9], exec
	s_or_b64 s[4:5], s[4:5], s[8:9]
	s_or_b64 exec, exec, s[6:7]
	s_and_saveexec_b64 s[6:7], s[4:5]
	s_cbranch_execnz .LBB53_1507
	s_branch .LBB53_1508
.LBB53_3557:
	s_movk_i32 s4, 0x80
	v_cmp_eq_u16_sdwa s[12:13], v5, s4 src0_sel:BYTE_0 src1_sel:DWORD
	s_mov_b64 s[4:5], -1
                                        ; implicit-def: $sgpr10
	s_and_saveexec_b64 s[8:9], s[12:13]
; %bb.3558:
	s_mov_b32 s10, 0x7f800001
	s_xor_b64 s[4:5], exec, -1
; %bb.3559:
	s_or_b64 exec, exec, s[8:9]
	s_and_b64 s[4:5], s[4:5], exec
	s_or_saveexec_b64 s[6:7], s[6:7]
	v_mov_b32_e32 v3, s10
	s_xor_b64 exec, exec, s[6:7]
	s_cbranch_execz .LBB53_1510
.LBB53_3560:
	v_mov_b32_e32 v3, 0
	v_cmp_ne_u16_sdwa s[8:9], v5, v3 src0_sel:BYTE_0 src1_sel:DWORD
	s_andn2_b64 s[4:5], s[4:5], exec
	s_and_b64 s[8:9], s[8:9], exec
	s_or_b64 s[4:5], s[4:5], s[8:9]
	s_or_b64 exec, exec, s[6:7]
	s_and_saveexec_b64 s[6:7], s[4:5]
	s_cbranch_execnz .LBB53_1511
	s_branch .LBB53_1512
.LBB53_3561:
	s_movk_i32 s4, 0x80
	v_cmp_eq_u16_sdwa s[12:13], v3, s4 src0_sel:BYTE_0 src1_sel:DWORD
	s_mov_b64 s[4:5], -1
                                        ; implicit-def: $sgpr10
	s_and_saveexec_b64 s[8:9], s[12:13]
; %bb.3562:
	s_mov_b32 s10, 0x7f800001
	s_xor_b64 s[4:5], exec, -1
; %bb.3563:
	s_or_b64 exec, exec, s[8:9]
	s_and_b64 s[4:5], s[4:5], exec
	s_or_saveexec_b64 s[6:7], s[6:7]
	v_mov_b32_e32 v2, s10
	s_xor_b64 exec, exec, s[6:7]
	s_cbranch_execz .LBB53_1514
.LBB53_3564:
	v_mov_b32_e32 v2, 0
	v_cmp_ne_u16_sdwa s[8:9], v3, v2 src0_sel:BYTE_0 src1_sel:DWORD
	s_andn2_b64 s[4:5], s[4:5], exec
	s_and_b64 s[8:9], s[8:9], exec
	s_or_b64 s[4:5], s[4:5], s[8:9]
	s_or_b64 exec, exec, s[6:7]
	s_and_saveexec_b64 s[6:7], s[4:5]
	s_cbranch_execnz .LBB53_1515
	s_branch .LBB53_1516
.LBB53_3565:
	s_movk_i32 s4, 0x80
	v_cmp_eq_u16_sdwa s[12:13], v3, s4 src0_sel:BYTE_0 src1_sel:DWORD
	s_mov_b64 s[4:5], -1
                                        ; implicit-def: $sgpr10
	s_and_saveexec_b64 s[8:9], s[12:13]
; %bb.3566:
	s_mov_b32 s10, 0x7f800001
	s_xor_b64 s[4:5], exec, -1
; %bb.3567:
	s_or_b64 exec, exec, s[8:9]
	s_and_b64 s[4:5], s[4:5], exec
	s_or_saveexec_b64 s[6:7], s[6:7]
	v_mov_b32_e32 v4, s10
	s_xor_b64 exec, exec, s[6:7]
	s_cbranch_execz .LBB53_1518
.LBB53_3568:
	v_mov_b32_e32 v4, 0
	v_cmp_ne_u16_sdwa s[8:9], v3, v4 src0_sel:BYTE_0 src1_sel:DWORD
	s_andn2_b64 s[4:5], s[4:5], exec
	s_and_b64 s[8:9], s[8:9], exec
	s_or_b64 s[4:5], s[4:5], s[8:9]
	s_or_b64 exec, exec, s[6:7]
	s_and_saveexec_b64 s[6:7], s[4:5]
	s_cbranch_execnz .LBB53_1519
	s_branch .LBB53_1520
.LBB53_3569:
	s_movk_i32 s4, 0x80
	v_cmp_eq_u16_e32 vcc, s4, v3
	s_mov_b64 s[4:5], -1
                                        ; implicit-def: $sgpr10
	s_and_saveexec_b64 s[8:9], vcc
; %bb.3570:
	s_mov_b32 s10, 0x7f800001
	s_xor_b64 s[4:5], exec, -1
; %bb.3571:
	s_or_b64 exec, exec, s[8:9]
	s_and_b64 s[4:5], s[4:5], exec
                                        ; implicit-def: $vgpr3
	s_or_saveexec_b64 s[6:7], s[6:7]
	v_mov_b32_e32 v2, s10
	s_xor_b64 exec, exec, s[6:7]
	s_cbranch_execz .LBB53_1522
.LBB53_3572:
	v_cmp_ne_u16_e32 vcc, 0, v3
	s_andn2_b64 s[4:5], s[4:5], exec
	s_and_b64 s[8:9], vcc, exec
	v_mov_b32_e32 v2, 0
	s_or_b64 s[4:5], s[4:5], s[8:9]
	s_or_b64 exec, exec, s[6:7]
	s_and_saveexec_b64 s[6:7], s[4:5]
	s_cbranch_execnz .LBB53_1523
	s_branch .LBB53_1524
.LBB53_3573:
	s_movk_i32 s4, 0x80
	v_cmp_eq_u16_e32 vcc, s4, v3
	s_mov_b64 s[4:5], -1
                                        ; implicit-def: $sgpr10
	s_and_saveexec_b64 s[8:9], vcc
; %bb.3574:
	s_mov_b32 s10, 0x7f800001
	s_xor_b64 s[4:5], exec, -1
; %bb.3575:
	s_or_b64 exec, exec, s[8:9]
	s_and_b64 s[4:5], s[4:5], exec
                                        ; implicit-def: $vgpr3
	s_or_saveexec_b64 s[6:7], s[6:7]
	v_mov_b32_e32 v4, s10
	s_xor_b64 exec, exec, s[6:7]
	s_cbranch_execz .LBB53_1526
.LBB53_3576:
	v_cmp_ne_u16_e32 vcc, 0, v3
	s_andn2_b64 s[4:5], s[4:5], exec
	s_and_b64 s[8:9], vcc, exec
	v_mov_b32_e32 v4, 0
	s_or_b64 s[4:5], s[4:5], s[8:9]
	s_or_b64 exec, exec, s[6:7]
	s_and_saveexec_b64 s[6:7], s[4:5]
	s_cbranch_execnz .LBB53_1527
	s_branch .LBB53_1528
.LBB53_3577:
	s_movk_i32 s4, 0x80
	v_cmp_eq_u16_sdwa s[12:13], v9, s4 src0_sel:BYTE_3 src1_sel:DWORD
	s_mov_b64 s[4:5], -1
                                        ; implicit-def: $sgpr10
	s_and_saveexec_b64 s[8:9], s[12:13]
; %bb.3578:
	s_mov_b32 s10, 0x7f800001
	s_xor_b64 s[4:5], exec, -1
; %bb.3579:
	s_or_b64 exec, exec, s[8:9]
	s_and_b64 s[4:5], s[4:5], exec
	s_or_saveexec_b64 s[6:7], s[6:7]
	v_mov_b32_e32 v2, s10
	s_xor_b64 exec, exec, s[6:7]
	s_cbranch_execz .LBB53_1530
.LBB53_3580:
	v_mov_b32_e32 v2, 0
	v_cmp_ne_u16_sdwa s[8:9], v9, v2 src0_sel:BYTE_3 src1_sel:DWORD
	s_andn2_b64 s[4:5], s[4:5], exec
	s_and_b64 s[8:9], s[8:9], exec
	s_or_b64 s[4:5], s[4:5], s[8:9]
	s_or_b64 exec, exec, s[6:7]
	s_and_saveexec_b64 s[6:7], s[4:5]
	s_cbranch_execnz .LBB53_1531
	s_branch .LBB53_1532
.LBB53_3581:
	s_movk_i32 s4, 0x80
	v_cmp_eq_u16_sdwa s[12:13], v5, s4 src0_sel:BYTE_3 src1_sel:DWORD
	s_mov_b64 s[4:5], -1
                                        ; implicit-def: $sgpr10
	s_and_saveexec_b64 s[8:9], s[12:13]
; %bb.3582:
	s_mov_b32 s10, 0x7f800001
	s_xor_b64 s[4:5], exec, -1
; %bb.3583:
	s_or_b64 exec, exec, s[8:9]
	s_and_b64 s[4:5], s[4:5], exec
	s_or_saveexec_b64 s[6:7], s[6:7]
	v_mov_b32_e32 v3, s10
	s_xor_b64 exec, exec, s[6:7]
	s_cbranch_execz .LBB53_1534
.LBB53_3584:
	v_mov_b32_e32 v3, 0
	v_cmp_ne_u16_sdwa s[8:9], v5, v3 src0_sel:BYTE_3 src1_sel:DWORD
	s_andn2_b64 s[4:5], s[4:5], exec
	s_and_b64 s[8:9], s[8:9], exec
	s_or_b64 s[4:5], s[4:5], s[8:9]
	s_or_b64 exec, exec, s[6:7]
	s_and_saveexec_b64 s[6:7], s[4:5]
	s_cbranch_execnz .LBB53_1535
	s_branch .LBB53_1536
.LBB53_3585:
	s_movk_i32 s4, 0x80
	v_cmp_eq_u16_sdwa s[12:13], v14, s4 src0_sel:BYTE_0 src1_sel:DWORD
	s_mov_b64 s[4:5], -1
                                        ; implicit-def: $sgpr10
	s_and_saveexec_b64 s[8:9], s[12:13]
; %bb.3586:
	s_mov_b32 s10, 0x7f800001
	s_xor_b64 s[4:5], exec, -1
; %bb.3587:
	s_or_b64 exec, exec, s[8:9]
	s_and_b64 s[4:5], s[4:5], exec
	s_or_saveexec_b64 s[6:7], s[6:7]
	v_mov_b32_e32 v20, s10
	s_xor_b64 exec, exec, s[6:7]
	s_cbranch_execz .LBB53_1538
.LBB53_3588:
	v_mov_b32_e32 v20, 0
	v_cmp_ne_u16_sdwa s[8:9], v14, v20 src0_sel:BYTE_0 src1_sel:DWORD
	s_andn2_b64 s[4:5], s[4:5], exec
	s_and_b64 s[8:9], s[8:9], exec
	s_or_b64 s[4:5], s[4:5], s[8:9]
	s_or_b64 exec, exec, s[6:7]
	s_and_saveexec_b64 s[6:7], s[4:5]
	s_cbranch_execnz .LBB53_1539
	s_branch .LBB53_1540
.LBB53_3589:
	s_movk_i32 s4, 0x80
	v_cmp_eq_u16_sdwa s[12:13], v10, s4 src0_sel:BYTE_0 src1_sel:DWORD
	s_mov_b64 s[4:5], -1
                                        ; implicit-def: $sgpr10
	s_and_saveexec_b64 s[8:9], s[12:13]
; %bb.3590:
	s_mov_b32 s10, 0x7f800001
	s_xor_b64 s[4:5], exec, -1
; %bb.3591:
	s_or_b64 exec, exec, s[8:9]
	s_and_b64 s[4:5], s[4:5], exec
	s_or_saveexec_b64 s[6:7], s[6:7]
	v_mov_b32_e32 v21, s10
	s_xor_b64 exec, exec, s[6:7]
	s_cbranch_execz .LBB53_1542
.LBB53_3592:
	v_mov_b32_e32 v21, 0
	v_cmp_ne_u16_sdwa s[8:9], v10, v21 src0_sel:BYTE_0 src1_sel:DWORD
	s_andn2_b64 s[4:5], s[4:5], exec
	s_and_b64 s[8:9], s[8:9], exec
	s_or_b64 s[4:5], s[4:5], s[8:9]
	s_or_b64 exec, exec, s[6:7]
	s_and_saveexec_b64 s[6:7], s[4:5]
	s_cbranch_execnz .LBB53_1543
	s_branch .LBB53_1544
.LBB53_3593:
	s_movk_i32 s4, 0x80
	v_cmp_eq_u16_sdwa s[12:13], v21, s4 src0_sel:BYTE_0 src1_sel:DWORD
	s_mov_b64 s[4:5], -1
                                        ; implicit-def: $sgpr10
	s_and_saveexec_b64 s[8:9], s[12:13]
; %bb.3594:
	s_mov_b32 s10, 0x7f800001
	s_xor_b64 s[4:5], exec, -1
; %bb.3595:
	s_or_b64 exec, exec, s[8:9]
	s_and_b64 s[4:5], s[4:5], exec
	s_or_saveexec_b64 s[6:7], s[6:7]
	v_mov_b32_e32 v20, s10
	s_xor_b64 exec, exec, s[6:7]
	s_cbranch_execz .LBB53_1546
.LBB53_3596:
	v_mov_b32_e32 v20, 0
	v_cmp_ne_u16_sdwa s[8:9], v21, v20 src0_sel:BYTE_0 src1_sel:DWORD
	s_andn2_b64 s[4:5], s[4:5], exec
	s_and_b64 s[8:9], s[8:9], exec
	s_or_b64 s[4:5], s[4:5], s[8:9]
	s_or_b64 exec, exec, s[6:7]
	s_and_saveexec_b64 s[6:7], s[4:5]
	s_cbranch_execnz .LBB53_1547
	s_branch .LBB53_1548
.LBB53_3597:
	s_movk_i32 s4, 0x80
	v_cmp_eq_u16_sdwa s[12:13], v21, s4 src0_sel:BYTE_0 src1_sel:DWORD
	s_mov_b64 s[4:5], -1
                                        ; implicit-def: $sgpr10
	s_and_saveexec_b64 s[8:9], s[12:13]
; %bb.3598:
	s_mov_b32 s10, 0x7f800001
	s_xor_b64 s[4:5], exec, -1
; %bb.3599:
	s_or_b64 exec, exec, s[8:9]
	s_and_b64 s[4:5], s[4:5], exec
	s_or_saveexec_b64 s[6:7], s[6:7]
	v_mov_b32_e32 v22, s10
	s_xor_b64 exec, exec, s[6:7]
	s_cbranch_execz .LBB53_1550
.LBB53_3600:
	v_mov_b32_e32 v22, 0
	v_cmp_ne_u16_sdwa s[8:9], v21, v22 src0_sel:BYTE_0 src1_sel:DWORD
	s_andn2_b64 s[4:5], s[4:5], exec
	s_and_b64 s[8:9], s[8:9], exec
	s_or_b64 s[4:5], s[4:5], s[8:9]
	s_or_b64 exec, exec, s[6:7]
	s_and_saveexec_b64 s[6:7], s[4:5]
	s_cbranch_execnz .LBB53_1551
	s_branch .LBB53_1552
.LBB53_3601:
	s_movk_i32 s4, 0x80
	v_cmp_eq_u16_e32 vcc, s4, v21
	s_mov_b64 s[4:5], -1
                                        ; implicit-def: $sgpr10
	s_and_saveexec_b64 s[8:9], vcc
; %bb.3602:
	s_mov_b32 s10, 0x7f800001
	s_xor_b64 s[4:5], exec, -1
; %bb.3603:
	s_or_b64 exec, exec, s[8:9]
	s_and_b64 s[4:5], s[4:5], exec
                                        ; implicit-def: $vgpr21
	s_or_saveexec_b64 s[6:7], s[6:7]
	v_mov_b32_e32 v20, s10
	s_xor_b64 exec, exec, s[6:7]
	s_cbranch_execz .LBB53_1554
.LBB53_3604:
	v_cmp_ne_u16_e32 vcc, 0, v21
	s_andn2_b64 s[4:5], s[4:5], exec
	s_and_b64 s[8:9], vcc, exec
	v_mov_b32_e32 v20, 0
	s_or_b64 s[4:5], s[4:5], s[8:9]
	s_or_b64 exec, exec, s[6:7]
	s_and_saveexec_b64 s[6:7], s[4:5]
	s_cbranch_execnz .LBB53_1555
	s_branch .LBB53_1556
.LBB53_3605:
	s_movk_i32 s4, 0x80
	v_cmp_eq_u16_e32 vcc, s4, v21
	s_mov_b64 s[4:5], -1
                                        ; implicit-def: $sgpr10
	s_and_saveexec_b64 s[8:9], vcc
; %bb.3606:
	s_mov_b32 s10, 0x7f800001
	s_xor_b64 s[4:5], exec, -1
; %bb.3607:
	s_or_b64 exec, exec, s[8:9]
	s_and_b64 s[4:5], s[4:5], exec
                                        ; implicit-def: $vgpr21
	s_or_saveexec_b64 s[6:7], s[6:7]
	v_mov_b32_e32 v22, s10
	s_xor_b64 exec, exec, s[6:7]
	s_cbranch_execz .LBB53_1558
.LBB53_3608:
	v_cmp_ne_u16_e32 vcc, 0, v21
	s_andn2_b64 s[4:5], s[4:5], exec
	s_and_b64 s[8:9], vcc, exec
	v_mov_b32_e32 v22, 0
	s_or_b64 s[4:5], s[4:5], s[8:9]
	s_or_b64 exec, exec, s[6:7]
	s_and_saveexec_b64 s[6:7], s[4:5]
	s_cbranch_execnz .LBB53_1559
	s_branch .LBB53_1560
.LBB53_3609:
	s_movk_i32 s4, 0x80
	v_cmp_eq_u16_sdwa s[12:13], v14, s4 src0_sel:BYTE_3 src1_sel:DWORD
	s_mov_b64 s[4:5], -1
                                        ; implicit-def: $sgpr10
	s_and_saveexec_b64 s[8:9], s[12:13]
; %bb.3610:
	s_mov_b32 s10, 0x7f800001
	s_xor_b64 s[4:5], exec, -1
; %bb.3611:
	s_or_b64 exec, exec, s[8:9]
	s_and_b64 s[4:5], s[4:5], exec
	s_or_saveexec_b64 s[6:7], s[6:7]
	v_mov_b32_e32 v20, s10
	s_xor_b64 exec, exec, s[6:7]
	s_cbranch_execz .LBB53_1562
.LBB53_3612:
	v_mov_b32_e32 v20, 0
	v_cmp_ne_u16_sdwa s[8:9], v14, v20 src0_sel:BYTE_3 src1_sel:DWORD
	s_andn2_b64 s[4:5], s[4:5], exec
	s_and_b64 s[8:9], s[8:9], exec
	s_or_b64 s[4:5], s[4:5], s[8:9]
	s_or_b64 exec, exec, s[6:7]
	s_and_saveexec_b64 s[6:7], s[4:5]
	s_cbranch_execnz .LBB53_1563
	s_branch .LBB53_1564
.LBB53_3613:
	s_movk_i32 s4, 0x80
	v_cmp_eq_u16_sdwa s[12:13], v10, s4 src0_sel:BYTE_3 src1_sel:DWORD
	s_mov_b64 s[4:5], -1
                                        ; implicit-def: $sgpr10
	s_and_saveexec_b64 s[8:9], s[12:13]
; %bb.3614:
	s_mov_b32 s10, 0x7f800001
	s_xor_b64 s[4:5], exec, -1
; %bb.3615:
	s_or_b64 exec, exec, s[8:9]
	s_and_b64 s[4:5], s[4:5], exec
	s_or_saveexec_b64 s[6:7], s[6:7]
	v_mov_b32_e32 v14, s10
	s_xor_b64 exec, exec, s[6:7]
	s_cbranch_execz .LBB53_1566
.LBB53_3616:
	v_mov_b32_e32 v14, 0
	v_cmp_ne_u16_sdwa s[8:9], v10, v14 src0_sel:BYTE_3 src1_sel:DWORD
	s_andn2_b64 s[4:5], s[4:5], exec
	s_and_b64 s[8:9], s[8:9], exec
	s_or_b64 s[4:5], s[4:5], s[8:9]
	s_or_b64 exec, exec, s[6:7]
	s_and_saveexec_b64 s[6:7], s[4:5]
	s_cbranch_execnz .LBB53_1567
	s_branch .LBB53_1568
.LBB53_3617:
	s_movk_i32 s4, 0x80
	v_cmp_eq_u16_sdwa s[12:13], v15, s4 src0_sel:BYTE_0 src1_sel:DWORD
	s_mov_b64 s[4:5], -1
                                        ; implicit-def: $sgpr10
	s_and_saveexec_b64 s[8:9], s[12:13]
; %bb.3618:
	s_mov_b32 s10, 0x7f800001
	s_xor_b64 s[4:5], exec, -1
; %bb.3619:
	s_or_b64 exec, exec, s[8:9]
	s_and_b64 s[4:5], s[4:5], exec
	s_or_saveexec_b64 s[6:7], s[6:7]
	v_mov_b32_e32 v10, s10
	s_xor_b64 exec, exec, s[6:7]
	s_cbranch_execz .LBB53_1570
.LBB53_3620:
	v_mov_b32_e32 v10, 0
	v_cmp_ne_u16_sdwa s[8:9], v15, v10 src0_sel:BYTE_0 src1_sel:DWORD
	s_andn2_b64 s[4:5], s[4:5], exec
	s_and_b64 s[8:9], s[8:9], exec
	s_or_b64 s[4:5], s[4:5], s[8:9]
	s_or_b64 exec, exec, s[6:7]
	s_and_saveexec_b64 s[6:7], s[4:5]
	s_cbranch_execnz .LBB53_1571
	s_branch .LBB53_1572
.LBB53_3621:
	s_movk_i32 s4, 0x80
	v_cmp_eq_u16_sdwa s[12:13], v11, s4 src0_sel:BYTE_0 src1_sel:DWORD
	s_mov_b64 s[4:5], -1
                                        ; implicit-def: $sgpr10
	s_and_saveexec_b64 s[8:9], s[12:13]
; %bb.3622:
	s_mov_b32 s10, 0x7f800001
	s_xor_b64 s[4:5], exec, -1
; %bb.3623:
	s_or_b64 exec, exec, s[8:9]
	s_and_b64 s[4:5], s[4:5], exec
	s_or_saveexec_b64 s[6:7], s[6:7]
	v_mov_b32_e32 v14, s10
	s_xor_b64 exec, exec, s[6:7]
	s_cbranch_execz .LBB53_1574
.LBB53_3624:
	v_mov_b32_e32 v14, 0
	v_cmp_ne_u16_sdwa s[8:9], v11, v14 src0_sel:BYTE_0 src1_sel:DWORD
	s_andn2_b64 s[4:5], s[4:5], exec
	s_and_b64 s[8:9], s[8:9], exec
	s_or_b64 s[4:5], s[4:5], s[8:9]
	s_or_b64 exec, exec, s[6:7]
	s_and_saveexec_b64 s[6:7], s[4:5]
	s_cbranch_execnz .LBB53_1575
	s_branch .LBB53_1576
.LBB53_3625:
	s_movk_i32 s4, 0x80
	v_cmp_eq_u16_sdwa s[12:13], v14, s4 src0_sel:BYTE_0 src1_sel:DWORD
	s_mov_b64 s[4:5], -1
                                        ; implicit-def: $sgpr10
	s_and_saveexec_b64 s[8:9], s[12:13]
; %bb.3626:
	s_mov_b32 s10, 0x7f800001
	s_xor_b64 s[4:5], exec, -1
; %bb.3627:
	s_or_b64 exec, exec, s[8:9]
	s_and_b64 s[4:5], s[4:5], exec
	s_or_saveexec_b64 s[6:7], s[6:7]
	v_mov_b32_e32 v10, s10
	s_xor_b64 exec, exec, s[6:7]
	s_cbranch_execz .LBB53_1578
.LBB53_3628:
	v_mov_b32_e32 v10, 0
	v_cmp_ne_u16_sdwa s[8:9], v14, v10 src0_sel:BYTE_0 src1_sel:DWORD
	s_andn2_b64 s[4:5], s[4:5], exec
	s_and_b64 s[8:9], s[8:9], exec
	s_or_b64 s[4:5], s[4:5], s[8:9]
	s_or_b64 exec, exec, s[6:7]
	s_and_saveexec_b64 s[6:7], s[4:5]
	s_cbranch_execnz .LBB53_1579
	s_branch .LBB53_1580
.LBB53_3629:
	s_movk_i32 s4, 0x80
	v_cmp_eq_u16_sdwa s[12:13], v14, s4 src0_sel:BYTE_0 src1_sel:DWORD
	s_mov_b64 s[4:5], -1
                                        ; implicit-def: $sgpr10
	s_and_saveexec_b64 s[8:9], s[12:13]
; %bb.3630:
	s_mov_b32 s10, 0x7f800001
	s_xor_b64 s[4:5], exec, -1
; %bb.3631:
	s_or_b64 exec, exec, s[8:9]
	s_and_b64 s[4:5], s[4:5], exec
	s_or_saveexec_b64 s[6:7], s[6:7]
	v_mov_b32_e32 v20, s10
	s_xor_b64 exec, exec, s[6:7]
	s_cbranch_execz .LBB53_1582
.LBB53_3632:
	v_mov_b32_e32 v20, 0
	v_cmp_ne_u16_sdwa s[8:9], v14, v20 src0_sel:BYTE_0 src1_sel:DWORD
	s_andn2_b64 s[4:5], s[4:5], exec
	s_and_b64 s[8:9], s[8:9], exec
	s_or_b64 s[4:5], s[4:5], s[8:9]
	s_or_b64 exec, exec, s[6:7]
	s_and_saveexec_b64 s[6:7], s[4:5]
	s_cbranch_execnz .LBB53_1583
	s_branch .LBB53_1584
.LBB53_3633:
	s_movk_i32 s4, 0x80
	v_cmp_eq_u16_e32 vcc, s4, v14
	s_mov_b64 s[4:5], -1
                                        ; implicit-def: $sgpr10
	s_and_saveexec_b64 s[8:9], vcc
; %bb.3634:
	s_mov_b32 s10, 0x7f800001
	s_xor_b64 s[4:5], exec, -1
; %bb.3635:
	s_or_b64 exec, exec, s[8:9]
	s_and_b64 s[4:5], s[4:5], exec
                                        ; implicit-def: $vgpr14
	s_or_saveexec_b64 s[6:7], s[6:7]
	v_mov_b32_e32 v10, s10
	s_xor_b64 exec, exec, s[6:7]
	s_cbranch_execz .LBB53_1586
.LBB53_3636:
	v_cmp_ne_u16_e32 vcc, 0, v14
	s_andn2_b64 s[4:5], s[4:5], exec
	s_and_b64 s[8:9], vcc, exec
	v_mov_b32_e32 v10, 0
	s_or_b64 s[4:5], s[4:5], s[8:9]
	s_or_b64 exec, exec, s[6:7]
	s_and_saveexec_b64 s[6:7], s[4:5]
	s_cbranch_execnz .LBB53_1587
	s_branch .LBB53_1588
.LBB53_3637:
	s_movk_i32 s4, 0x80
	v_cmp_eq_u16_e32 vcc, s4, v14
	s_mov_b64 s[4:5], -1
                                        ; implicit-def: $sgpr10
	s_and_saveexec_b64 s[8:9], vcc
; %bb.3638:
	s_mov_b32 s10, 0x7f800001
	s_xor_b64 s[4:5], exec, -1
; %bb.3639:
	s_or_b64 exec, exec, s[8:9]
	s_and_b64 s[4:5], s[4:5], exec
                                        ; implicit-def: $vgpr14
	s_or_saveexec_b64 s[6:7], s[6:7]
	v_mov_b32_e32 v20, s10
	s_xor_b64 exec, exec, s[6:7]
	s_cbranch_execz .LBB53_1590
.LBB53_3640:
	v_cmp_ne_u16_e32 vcc, 0, v14
	s_andn2_b64 s[4:5], s[4:5], exec
	s_and_b64 s[8:9], vcc, exec
	v_mov_b32_e32 v20, 0
	s_or_b64 s[4:5], s[4:5], s[8:9]
	s_or_b64 exec, exec, s[6:7]
	s_and_saveexec_b64 s[6:7], s[4:5]
	s_cbranch_execnz .LBB53_1591
	s_branch .LBB53_1592
.LBB53_3641:
	s_movk_i32 s4, 0x80
	v_cmp_eq_u16_sdwa s[12:13], v15, s4 src0_sel:BYTE_3 src1_sel:DWORD
	s_mov_b64 s[4:5], -1
                                        ; implicit-def: $sgpr10
	s_and_saveexec_b64 s[8:9], s[12:13]
; %bb.3642:
	s_mov_b32 s10, 0x7f800001
	s_xor_b64 s[4:5], exec, -1
; %bb.3643:
	s_or_b64 exec, exec, s[8:9]
	s_and_b64 s[4:5], s[4:5], exec
	s_or_saveexec_b64 s[6:7], s[6:7]
	v_mov_b32_e32 v10, s10
	s_xor_b64 exec, exec, s[6:7]
	s_cbranch_execz .LBB53_1594
.LBB53_3644:
	v_mov_b32_e32 v10, 0
	v_cmp_ne_u16_sdwa s[8:9], v15, v10 src0_sel:BYTE_3 src1_sel:DWORD
	s_andn2_b64 s[4:5], s[4:5], exec
	s_and_b64 s[8:9], s[8:9], exec
	s_or_b64 s[4:5], s[4:5], s[8:9]
	s_or_b64 exec, exec, s[6:7]
	s_and_saveexec_b64 s[6:7], s[4:5]
	s_cbranch_execnz .LBB53_1595
	s_branch .LBB53_1596
.LBB53_3645:
	s_movk_i32 s4, 0x80
	v_cmp_eq_u16_sdwa s[12:13], v11, s4 src0_sel:BYTE_3 src1_sel:DWORD
	s_mov_b64 s[4:5], -1
                                        ; implicit-def: $sgpr10
	s_and_saveexec_b64 s[8:9], s[12:13]
; %bb.3646:
	s_mov_b32 s10, 0x7f800001
	s_xor_b64 s[4:5], exec, -1
; %bb.3647:
	s_or_b64 exec, exec, s[8:9]
	s_and_b64 s[4:5], s[4:5], exec
	s_or_saveexec_b64 s[6:7], s[6:7]
	v_mov_b32_e32 v14, s10
	s_xor_b64 exec, exec, s[6:7]
	s_cbranch_execz .LBB53_1598
.LBB53_3648:
	v_mov_b32_e32 v14, 0
	v_cmp_ne_u16_sdwa s[8:9], v11, v14 src0_sel:BYTE_3 src1_sel:DWORD
	s_andn2_b64 s[4:5], s[4:5], exec
	s_and_b64 s[8:9], s[8:9], exec
	s_or_b64 s[4:5], s[4:5], s[8:9]
	s_or_b64 exec, exec, s[6:7]
	s_and_saveexec_b64 s[6:7], s[4:5]
	s_cbranch_execnz .LBB53_1599
	s_branch .LBB53_1600
.LBB53_3649:
	s_movk_i32 s4, 0x80
	v_cmp_eq_u16_sdwa s[12:13], v16, s4 src0_sel:BYTE_0 src1_sel:DWORD
	s_mov_b64 s[4:5], -1
                                        ; implicit-def: $sgpr10
	s_and_saveexec_b64 s[8:9], s[12:13]
; %bb.3650:
	s_mov_b32 s10, 0x7f800001
	s_xor_b64 s[4:5], exec, -1
; %bb.3651:
	s_or_b64 exec, exec, s[8:9]
	s_and_b64 s[4:5], s[4:5], exec
	s_or_saveexec_b64 s[6:7], s[6:7]
	v_mov_b32_e32 v10, s10
	s_xor_b64 exec, exec, s[6:7]
	s_cbranch_execz .LBB53_1602
.LBB53_3652:
	v_mov_b32_e32 v10, 0
	v_cmp_ne_u16_sdwa s[8:9], v16, v10 src0_sel:BYTE_0 src1_sel:DWORD
	s_andn2_b64 s[4:5], s[4:5], exec
	s_and_b64 s[8:9], s[8:9], exec
	s_or_b64 s[4:5], s[4:5], s[8:9]
	s_or_b64 exec, exec, s[6:7]
	s_and_saveexec_b64 s[6:7], s[4:5]
	s_cbranch_execnz .LBB53_1603
	s_branch .LBB53_1604
.LBB53_3653:
	s_movk_i32 s4, 0x80
	v_cmp_eq_u16_sdwa s[12:13], v12, s4 src0_sel:BYTE_0 src1_sel:DWORD
	s_mov_b64 s[4:5], -1
                                        ; implicit-def: $sgpr10
	s_and_saveexec_b64 s[8:9], s[12:13]
; %bb.3654:
	s_mov_b32 s10, 0x7f800001
	s_xor_b64 s[4:5], exec, -1
; %bb.3655:
	s_or_b64 exec, exec, s[8:9]
	s_and_b64 s[4:5], s[4:5], exec
	s_or_saveexec_b64 s[6:7], s[6:7]
	v_mov_b32_e32 v11, s10
	s_xor_b64 exec, exec, s[6:7]
	s_cbranch_execz .LBB53_1606
.LBB53_3656:
	v_mov_b32_e32 v11, 0
	v_cmp_ne_u16_sdwa s[8:9], v12, v11 src0_sel:BYTE_0 src1_sel:DWORD
	s_andn2_b64 s[4:5], s[4:5], exec
	s_and_b64 s[8:9], s[8:9], exec
	s_or_b64 s[4:5], s[4:5], s[8:9]
	s_or_b64 exec, exec, s[6:7]
	s_and_saveexec_b64 s[6:7], s[4:5]
	s_cbranch_execnz .LBB53_1607
	s_branch .LBB53_1608
.LBB53_3657:
	s_movk_i32 s4, 0x80
	v_cmp_eq_u16_sdwa s[12:13], v11, s4 src0_sel:BYTE_0 src1_sel:DWORD
	s_mov_b64 s[4:5], -1
                                        ; implicit-def: $sgpr10
	s_and_saveexec_b64 s[8:9], s[12:13]
; %bb.3658:
	s_mov_b32 s10, 0x7f800001
	s_xor_b64 s[4:5], exec, -1
; %bb.3659:
	s_or_b64 exec, exec, s[8:9]
	s_and_b64 s[4:5], s[4:5], exec
	s_or_saveexec_b64 s[6:7], s[6:7]
	v_mov_b32_e32 v10, s10
	s_xor_b64 exec, exec, s[6:7]
	s_cbranch_execz .LBB53_1610
.LBB53_3660:
	v_mov_b32_e32 v10, 0
	v_cmp_ne_u16_sdwa s[8:9], v11, v10 src0_sel:BYTE_0 src1_sel:DWORD
	s_andn2_b64 s[4:5], s[4:5], exec
	s_and_b64 s[8:9], s[8:9], exec
	s_or_b64 s[4:5], s[4:5], s[8:9]
	s_or_b64 exec, exec, s[6:7]
	s_and_saveexec_b64 s[6:7], s[4:5]
	s_cbranch_execnz .LBB53_1611
	s_branch .LBB53_1612
.LBB53_3661:
	s_movk_i32 s4, 0x80
	v_cmp_eq_u16_sdwa s[12:13], v11, s4 src0_sel:BYTE_0 src1_sel:DWORD
	s_mov_b64 s[4:5], -1
                                        ; implicit-def: $sgpr10
	s_and_saveexec_b64 s[8:9], s[12:13]
; %bb.3662:
	s_mov_b32 s10, 0x7f800001
	s_xor_b64 s[4:5], exec, -1
; %bb.3663:
	s_or_b64 exec, exec, s[8:9]
	s_and_b64 s[4:5], s[4:5], exec
	s_or_saveexec_b64 s[6:7], s[6:7]
	v_mov_b32_e32 v14, s10
	s_xor_b64 exec, exec, s[6:7]
	s_cbranch_execz .LBB53_1614
.LBB53_3664:
	v_mov_b32_e32 v14, 0
	v_cmp_ne_u16_sdwa s[8:9], v11, v14 src0_sel:BYTE_0 src1_sel:DWORD
	s_andn2_b64 s[4:5], s[4:5], exec
	s_and_b64 s[8:9], s[8:9], exec
	s_or_b64 s[4:5], s[4:5], s[8:9]
	s_or_b64 exec, exec, s[6:7]
	s_and_saveexec_b64 s[6:7], s[4:5]
	s_cbranch_execnz .LBB53_1615
	s_branch .LBB53_1616
.LBB53_3665:
	s_movk_i32 s4, 0x80
	v_cmp_eq_u16_e32 vcc, s4, v11
	s_mov_b64 s[4:5], -1
                                        ; implicit-def: $sgpr10
	s_and_saveexec_b64 s[8:9], vcc
; %bb.3666:
	s_mov_b32 s10, 0x7f800001
	s_xor_b64 s[4:5], exec, -1
; %bb.3667:
	s_or_b64 exec, exec, s[8:9]
	s_and_b64 s[4:5], s[4:5], exec
                                        ; implicit-def: $vgpr11
	s_or_saveexec_b64 s[6:7], s[6:7]
	v_mov_b32_e32 v10, s10
	s_xor_b64 exec, exec, s[6:7]
	s_cbranch_execz .LBB53_1618
.LBB53_3668:
	v_cmp_ne_u16_e32 vcc, 0, v11
	s_andn2_b64 s[4:5], s[4:5], exec
	s_and_b64 s[8:9], vcc, exec
	v_mov_b32_e32 v10, 0
	s_or_b64 s[4:5], s[4:5], s[8:9]
	s_or_b64 exec, exec, s[6:7]
	s_and_saveexec_b64 s[6:7], s[4:5]
	s_cbranch_execnz .LBB53_1619
	s_branch .LBB53_1620
.LBB53_3669:
	s_movk_i32 s4, 0x80
	v_cmp_eq_u16_e32 vcc, s4, v11
	s_mov_b64 s[4:5], -1
                                        ; implicit-def: $sgpr10
	s_and_saveexec_b64 s[8:9], vcc
; %bb.3670:
	s_mov_b32 s10, 0x7f800001
	s_xor_b64 s[4:5], exec, -1
; %bb.3671:
	s_or_b64 exec, exec, s[8:9]
	s_and_b64 s[4:5], s[4:5], exec
                                        ; implicit-def: $vgpr11
	s_or_saveexec_b64 s[6:7], s[6:7]
	v_mov_b32_e32 v14, s10
	s_xor_b64 exec, exec, s[6:7]
	s_cbranch_execz .LBB53_1622
.LBB53_3672:
	v_cmp_ne_u16_e32 vcc, 0, v11
	s_andn2_b64 s[4:5], s[4:5], exec
	s_and_b64 s[8:9], vcc, exec
	v_mov_b32_e32 v14, 0
	s_or_b64 s[4:5], s[4:5], s[8:9]
	s_or_b64 exec, exec, s[6:7]
	s_and_saveexec_b64 s[6:7], s[4:5]
	s_cbranch_execnz .LBB53_1623
	s_branch .LBB53_1624
.LBB53_3673:
	s_movk_i32 s4, 0x80
	v_cmp_eq_u16_sdwa s[12:13], v16, s4 src0_sel:BYTE_3 src1_sel:DWORD
	s_mov_b64 s[4:5], -1
                                        ; implicit-def: $sgpr10
	s_and_saveexec_b64 s[8:9], s[12:13]
; %bb.3674:
	s_mov_b32 s10, 0x7f800001
	s_xor_b64 s[4:5], exec, -1
; %bb.3675:
	s_or_b64 exec, exec, s[8:9]
	s_and_b64 s[4:5], s[4:5], exec
	s_or_saveexec_b64 s[6:7], s[6:7]
	v_mov_b32_e32 v10, s10
	s_xor_b64 exec, exec, s[6:7]
	s_cbranch_execz .LBB53_1626
.LBB53_3676:
	v_mov_b32_e32 v10, 0
	v_cmp_ne_u16_sdwa s[8:9], v16, v10 src0_sel:BYTE_3 src1_sel:DWORD
	s_andn2_b64 s[4:5], s[4:5], exec
	s_and_b64 s[8:9], s[8:9], exec
	s_or_b64 s[4:5], s[4:5], s[8:9]
	s_or_b64 exec, exec, s[6:7]
	s_and_saveexec_b64 s[6:7], s[4:5]
	s_cbranch_execnz .LBB53_1627
	s_branch .LBB53_1628
.LBB53_3677:
	s_movk_i32 s4, 0x80
	v_cmp_eq_u16_sdwa s[12:13], v12, s4 src0_sel:BYTE_3 src1_sel:DWORD
	s_mov_b64 s[4:5], -1
                                        ; implicit-def: $sgpr10
	s_and_saveexec_b64 s[8:9], s[12:13]
; %bb.3678:
	s_mov_b32 s10, 0x7f800001
	s_xor_b64 s[4:5], exec, -1
; %bb.3679:
	s_or_b64 exec, exec, s[8:9]
	s_and_b64 s[4:5], s[4:5], exec
	s_or_saveexec_b64 s[6:7], s[6:7]
	v_mov_b32_e32 v11, s10
	s_xor_b64 exec, exec, s[6:7]
	s_cbranch_execz .LBB53_1630
.LBB53_3680:
	v_mov_b32_e32 v11, 0
	v_cmp_ne_u16_sdwa s[8:9], v12, v11 src0_sel:BYTE_3 src1_sel:DWORD
	s_andn2_b64 s[4:5], s[4:5], exec
	s_and_b64 s[8:9], s[8:9], exec
	s_or_b64 s[4:5], s[4:5], s[8:9]
	s_or_b64 exec, exec, s[6:7]
	s_and_saveexec_b64 s[6:7], s[4:5]
	s_cbranch_execnz .LBB53_1631
	s_branch .LBB53_1632
.LBB53_3681:
	s_movk_i32 s4, 0x80
	v_cmp_eq_u16_sdwa s[12:13], v17, s4 src0_sel:BYTE_0 src1_sel:DWORD
	s_mov_b64 s[4:5], -1
                                        ; implicit-def: $sgpr10
	s_and_saveexec_b64 s[8:9], s[12:13]
; %bb.3682:
	s_mov_b32 s10, 0x7f800001
	s_xor_b64 s[4:5], exec, -1
; %bb.3683:
	s_or_b64 exec, exec, s[8:9]
	s_and_b64 s[4:5], s[4:5], exec
	s_or_saveexec_b64 s[6:7], s[6:7]
	v_mov_b32_e32 v10, s10
	s_xor_b64 exec, exec, s[6:7]
	s_cbranch_execz .LBB53_1634
.LBB53_3684:
	v_mov_b32_e32 v10, 0
	v_cmp_ne_u16_sdwa s[8:9], v17, v10 src0_sel:BYTE_0 src1_sel:DWORD
	s_andn2_b64 s[4:5], s[4:5], exec
	s_and_b64 s[8:9], s[8:9], exec
	s_or_b64 s[4:5], s[4:5], s[8:9]
	s_or_b64 exec, exec, s[6:7]
	s_and_saveexec_b64 s[6:7], s[4:5]
	s_cbranch_execnz .LBB53_1635
	s_branch .LBB53_1636
.LBB53_3685:
	s_movk_i32 s4, 0x80
	v_cmp_eq_u16_sdwa s[12:13], v13, s4 src0_sel:BYTE_0 src1_sel:DWORD
	s_mov_b64 s[4:5], -1
                                        ; implicit-def: $sgpr10
	s_and_saveexec_b64 s[8:9], s[12:13]
; %bb.3686:
	s_mov_b32 s10, 0x7f800001
	s_xor_b64 s[4:5], exec, -1
; %bb.3687:
	s_or_b64 exec, exec, s[8:9]
	s_and_b64 s[4:5], s[4:5], exec
	s_or_saveexec_b64 s[6:7], s[6:7]
	v_mov_b32_e32 v11, s10
	s_xor_b64 exec, exec, s[6:7]
	s_cbranch_execz .LBB53_1638
.LBB53_3688:
	v_mov_b32_e32 v11, 0
	v_cmp_ne_u16_sdwa s[8:9], v13, v11 src0_sel:BYTE_0 src1_sel:DWORD
	s_andn2_b64 s[4:5], s[4:5], exec
	s_and_b64 s[8:9], s[8:9], exec
	s_or_b64 s[4:5], s[4:5], s[8:9]
	s_or_b64 exec, exec, s[6:7]
	s_and_saveexec_b64 s[6:7], s[4:5]
	s_cbranch_execnz .LBB53_1639
	s_branch .LBB53_1640
.LBB53_3689:
	s_movk_i32 s4, 0x80
	v_cmp_eq_u16_sdwa s[12:13], v11, s4 src0_sel:BYTE_0 src1_sel:DWORD
	s_mov_b64 s[4:5], -1
                                        ; implicit-def: $sgpr10
	s_and_saveexec_b64 s[8:9], s[12:13]
; %bb.3690:
	s_mov_b32 s10, 0x7f800001
	s_xor_b64 s[4:5], exec, -1
; %bb.3691:
	s_or_b64 exec, exec, s[8:9]
	s_and_b64 s[4:5], s[4:5], exec
	s_or_saveexec_b64 s[6:7], s[6:7]
	v_mov_b32_e32 v10, s10
	s_xor_b64 exec, exec, s[6:7]
	s_cbranch_execz .LBB53_1642
.LBB53_3692:
	v_mov_b32_e32 v10, 0
	v_cmp_ne_u16_sdwa s[8:9], v11, v10 src0_sel:BYTE_0 src1_sel:DWORD
	s_andn2_b64 s[4:5], s[4:5], exec
	s_and_b64 s[8:9], s[8:9], exec
	s_or_b64 s[4:5], s[4:5], s[8:9]
	s_or_b64 exec, exec, s[6:7]
	s_and_saveexec_b64 s[6:7], s[4:5]
	s_cbranch_execnz .LBB53_1643
	s_branch .LBB53_1644
.LBB53_3693:
	s_movk_i32 s4, 0x80
	v_cmp_eq_u16_sdwa s[12:13], v11, s4 src0_sel:BYTE_0 src1_sel:DWORD
	s_mov_b64 s[4:5], -1
                                        ; implicit-def: $sgpr10
	s_and_saveexec_b64 s[8:9], s[12:13]
; %bb.3694:
	s_mov_b32 s10, 0x7f800001
	s_xor_b64 s[4:5], exec, -1
; %bb.3695:
	s_or_b64 exec, exec, s[8:9]
	s_and_b64 s[4:5], s[4:5], exec
	s_or_saveexec_b64 s[6:7], s[6:7]
	v_mov_b32_e32 v12, s10
	s_xor_b64 exec, exec, s[6:7]
	s_cbranch_execz .LBB53_1646
.LBB53_3696:
	v_mov_b32_e32 v12, 0
	v_cmp_ne_u16_sdwa s[8:9], v11, v12 src0_sel:BYTE_0 src1_sel:DWORD
	s_andn2_b64 s[4:5], s[4:5], exec
	s_and_b64 s[8:9], s[8:9], exec
	s_or_b64 s[4:5], s[4:5], s[8:9]
	s_or_b64 exec, exec, s[6:7]
	s_and_saveexec_b64 s[6:7], s[4:5]
	s_cbranch_execnz .LBB53_1647
	s_branch .LBB53_1648
.LBB53_3697:
	s_movk_i32 s4, 0x80
	v_cmp_eq_u16_e32 vcc, s4, v11
	s_mov_b64 s[4:5], -1
                                        ; implicit-def: $sgpr10
	s_and_saveexec_b64 s[8:9], vcc
; %bb.3698:
	s_mov_b32 s10, 0x7f800001
	s_xor_b64 s[4:5], exec, -1
; %bb.3699:
	s_or_b64 exec, exec, s[8:9]
	s_and_b64 s[4:5], s[4:5], exec
                                        ; implicit-def: $vgpr11
	s_or_saveexec_b64 s[6:7], s[6:7]
	v_mov_b32_e32 v10, s10
	s_xor_b64 exec, exec, s[6:7]
	s_cbranch_execz .LBB53_1650
.LBB53_3700:
	v_cmp_ne_u16_e32 vcc, 0, v11
	s_andn2_b64 s[4:5], s[4:5], exec
	s_and_b64 s[8:9], vcc, exec
	v_mov_b32_e32 v10, 0
	s_or_b64 s[4:5], s[4:5], s[8:9]
	s_or_b64 exec, exec, s[6:7]
	s_and_saveexec_b64 s[6:7], s[4:5]
	s_cbranch_execnz .LBB53_1651
	s_branch .LBB53_1652
.LBB53_3701:
	s_movk_i32 s4, 0x80
	v_cmp_eq_u16_e32 vcc, s4, v11
	s_mov_b64 s[4:5], -1
                                        ; implicit-def: $sgpr10
	s_and_saveexec_b64 s[8:9], vcc
; %bb.3702:
	s_mov_b32 s10, 0x7f800001
	s_xor_b64 s[4:5], exec, -1
; %bb.3703:
	s_or_b64 exec, exec, s[8:9]
	s_and_b64 s[4:5], s[4:5], exec
                                        ; implicit-def: $vgpr11
	s_or_saveexec_b64 s[6:7], s[6:7]
	v_mov_b32_e32 v12, s10
	s_xor_b64 exec, exec, s[6:7]
	s_cbranch_execz .LBB53_1654
.LBB53_3704:
	v_cmp_ne_u16_e32 vcc, 0, v11
	s_andn2_b64 s[4:5], s[4:5], exec
	s_and_b64 s[8:9], vcc, exec
	v_mov_b32_e32 v12, 0
	s_or_b64 s[4:5], s[4:5], s[8:9]
	s_or_b64 exec, exec, s[6:7]
	s_and_saveexec_b64 s[6:7], s[4:5]
	s_cbranch_execnz .LBB53_1655
	s_branch .LBB53_1656
.LBB53_3705:
	s_movk_i32 s4, 0x80
	v_cmp_eq_u16_sdwa s[12:13], v17, s4 src0_sel:BYTE_3 src1_sel:DWORD
	s_mov_b64 s[4:5], -1
                                        ; implicit-def: $sgpr10
	s_and_saveexec_b64 s[8:9], s[12:13]
; %bb.3706:
	s_mov_b32 s10, 0x7f800001
	s_xor_b64 s[4:5], exec, -1
; %bb.3707:
	s_or_b64 exec, exec, s[8:9]
	s_and_b64 s[4:5], s[4:5], exec
	s_or_saveexec_b64 s[6:7], s[6:7]
	v_mov_b32_e32 v10, s10
	s_xor_b64 exec, exec, s[6:7]
	s_cbranch_execz .LBB53_1658
.LBB53_3708:
	v_mov_b32_e32 v10, 0
	v_cmp_ne_u16_sdwa s[8:9], v17, v10 src0_sel:BYTE_3 src1_sel:DWORD
	s_andn2_b64 s[4:5], s[4:5], exec
	s_and_b64 s[8:9], s[8:9], exec
	s_or_b64 s[4:5], s[4:5], s[8:9]
	s_or_b64 exec, exec, s[6:7]
	s_and_saveexec_b64 s[6:7], s[4:5]
	s_cbranch_execnz .LBB53_1659
	s_branch .LBB53_1660
.LBB53_3709:
	s_movk_i32 s4, 0x80
	v_cmp_eq_u16_sdwa s[12:13], v13, s4 src0_sel:BYTE_3 src1_sel:DWORD
	s_mov_b64 s[4:5], -1
                                        ; implicit-def: $sgpr10
	s_and_saveexec_b64 s[8:9], s[12:13]
; %bb.3710:
	s_mov_b32 s10, 0x7f800001
	s_xor_b64 s[4:5], exec, -1
; %bb.3711:
	s_or_b64 exec, exec, s[8:9]
	s_and_b64 s[4:5], s[4:5], exec
	s_or_saveexec_b64 s[6:7], s[6:7]
	v_mov_b32_e32 v11, s10
	s_xor_b64 exec, exec, s[6:7]
	s_cbranch_execz .LBB53_1662
.LBB53_3712:
	v_mov_b32_e32 v11, 0
	v_cmp_ne_u16_sdwa s[8:9], v13, v11 src0_sel:BYTE_3 src1_sel:DWORD
	s_andn2_b64 s[4:5], s[4:5], exec
	s_and_b64 s[8:9], s[8:9], exec
	s_or_b64 s[4:5], s[4:5], s[8:9]
	s_or_b64 exec, exec, s[6:7]
	s_and_saveexec_b64 s[6:7], s[4:5]
	s_cbranch_execnz .LBB53_1663
	s_branch .LBB53_1664
.LBB53_3713:
	s_movk_i32 s4, 0x80
	v_cmp_eq_u16_sdwa s[12:13], v6, s4 src0_sel:BYTE_0 src1_sel:DWORD
	s_mov_b64 s[4:5], -1
                                        ; implicit-def: $sgpr10
	s_and_saveexec_b64 s[8:9], s[12:13]
; %bb.3714:
	s_mov_b32 s10, 0x7f800001
	s_xor_b64 s[4:5], exec, -1
; %bb.3715:
	s_or_b64 exec, exec, s[8:9]
	s_and_b64 s[4:5], s[4:5], exec
	s_or_saveexec_b64 s[6:7], s[6:7]
	v_mov_b32_e32 v10, s10
	s_xor_b64 exec, exec, s[6:7]
	s_cbranch_execz .LBB53_1666
.LBB53_3716:
	v_mov_b32_e32 v10, 0
	v_cmp_ne_u16_sdwa s[8:9], v6, v10 src0_sel:BYTE_0 src1_sel:DWORD
	s_andn2_b64 s[4:5], s[4:5], exec
	s_and_b64 s[8:9], s[8:9], exec
	s_or_b64 s[4:5], s[4:5], s[8:9]
	s_or_b64 exec, exec, s[6:7]
	s_and_saveexec_b64 s[6:7], s[4:5]
	s_cbranch_execnz .LBB53_1667
	s_branch .LBB53_1668
.LBB53_3717:
	s_movk_i32 s4, 0x80
	v_cmp_eq_u16_sdwa s[12:13], v2, s4 src0_sel:BYTE_0 src1_sel:DWORD
	s_mov_b64 s[4:5], -1
                                        ; implicit-def: $sgpr10
	s_and_saveexec_b64 s[8:9], s[12:13]
; %bb.3718:
	s_mov_b32 s10, 0x7f800001
	s_xor_b64 s[4:5], exec, -1
; %bb.3719:
	s_or_b64 exec, exec, s[8:9]
	s_and_b64 s[4:5], s[4:5], exec
	s_or_saveexec_b64 s[6:7], s[6:7]
	v_mov_b32_e32 v11, s10
	s_xor_b64 exec, exec, s[6:7]
	s_cbranch_execz .LBB53_1670
.LBB53_3720:
	v_mov_b32_e32 v11, 0
	v_cmp_ne_u16_sdwa s[8:9], v2, v11 src0_sel:BYTE_0 src1_sel:DWORD
	s_andn2_b64 s[4:5], s[4:5], exec
	s_and_b64 s[8:9], s[8:9], exec
	s_or_b64 s[4:5], s[4:5], s[8:9]
	s_or_b64 exec, exec, s[6:7]
	s_and_saveexec_b64 s[6:7], s[4:5]
	s_cbranch_execnz .LBB53_1671
	s_branch .LBB53_1672
.LBB53_3721:
	s_movk_i32 s4, 0x80
	v_cmp_eq_u16_sdwa s[12:13], v11, s4 src0_sel:BYTE_0 src1_sel:DWORD
	s_mov_b64 s[4:5], -1
                                        ; implicit-def: $sgpr10
	s_and_saveexec_b64 s[8:9], s[12:13]
; %bb.3722:
	s_mov_b32 s10, 0x7f800001
	s_xor_b64 s[4:5], exec, -1
; %bb.3723:
	s_or_b64 exec, exec, s[8:9]
	s_and_b64 s[4:5], s[4:5], exec
	s_or_saveexec_b64 s[6:7], s[6:7]
	v_mov_b32_e32 v10, s10
	s_xor_b64 exec, exec, s[6:7]
	s_cbranch_execz .LBB53_1674
.LBB53_3724:
	v_mov_b32_e32 v10, 0
	v_cmp_ne_u16_sdwa s[8:9], v11, v10 src0_sel:BYTE_0 src1_sel:DWORD
	s_andn2_b64 s[4:5], s[4:5], exec
	s_and_b64 s[8:9], s[8:9], exec
	s_or_b64 s[4:5], s[4:5], s[8:9]
	s_or_b64 exec, exec, s[6:7]
	s_and_saveexec_b64 s[6:7], s[4:5]
	s_cbranch_execnz .LBB53_1675
	s_branch .LBB53_1676
.LBB53_3725:
	s_movk_i32 s4, 0x80
	v_cmp_eq_u16_sdwa s[12:13], v11, s4 src0_sel:BYTE_0 src1_sel:DWORD
	s_mov_b64 s[4:5], -1
                                        ; implicit-def: $sgpr10
	s_and_saveexec_b64 s[8:9], s[12:13]
; %bb.3726:
	s_mov_b32 s10, 0x7f800001
	s_xor_b64 s[4:5], exec, -1
; %bb.3727:
	s_or_b64 exec, exec, s[8:9]
	s_and_b64 s[4:5], s[4:5], exec
	s_or_saveexec_b64 s[6:7], s[6:7]
	v_mov_b32_e32 v12, s10
	s_xor_b64 exec, exec, s[6:7]
	s_cbranch_execz .LBB53_1678
.LBB53_3728:
	v_mov_b32_e32 v12, 0
	v_cmp_ne_u16_sdwa s[8:9], v11, v12 src0_sel:BYTE_0 src1_sel:DWORD
	s_andn2_b64 s[4:5], s[4:5], exec
	s_and_b64 s[8:9], s[8:9], exec
	s_or_b64 s[4:5], s[4:5], s[8:9]
	s_or_b64 exec, exec, s[6:7]
	s_and_saveexec_b64 s[6:7], s[4:5]
	s_cbranch_execnz .LBB53_1679
	s_branch .LBB53_1680
.LBB53_3729:
	s_movk_i32 s4, 0x80
	v_cmp_eq_u16_e32 vcc, s4, v11
	s_mov_b64 s[4:5], -1
                                        ; implicit-def: $sgpr10
	s_and_saveexec_b64 s[8:9], vcc
; %bb.3730:
	s_mov_b32 s10, 0x7f800001
	s_xor_b64 s[4:5], exec, -1
; %bb.3731:
	s_or_b64 exec, exec, s[8:9]
	s_and_b64 s[4:5], s[4:5], exec
                                        ; implicit-def: $vgpr11
	s_or_saveexec_b64 s[6:7], s[6:7]
	v_mov_b32_e32 v10, s10
	s_xor_b64 exec, exec, s[6:7]
	s_cbranch_execz .LBB53_1682
.LBB53_3732:
	v_cmp_ne_u16_e32 vcc, 0, v11
	s_andn2_b64 s[4:5], s[4:5], exec
	s_and_b64 s[8:9], vcc, exec
	v_mov_b32_e32 v10, 0
	s_or_b64 s[4:5], s[4:5], s[8:9]
	s_or_b64 exec, exec, s[6:7]
	s_and_saveexec_b64 s[6:7], s[4:5]
	s_cbranch_execnz .LBB53_1683
	s_branch .LBB53_1684
.LBB53_3733:
	s_movk_i32 s4, 0x80
	v_cmp_eq_u16_e32 vcc, s4, v11
	s_mov_b64 s[4:5], -1
                                        ; implicit-def: $sgpr10
	s_and_saveexec_b64 s[8:9], vcc
; %bb.3734:
	s_mov_b32 s10, 0x7f800001
	s_xor_b64 s[4:5], exec, -1
; %bb.3735:
	s_or_b64 exec, exec, s[8:9]
	s_and_b64 s[4:5], s[4:5], exec
                                        ; implicit-def: $vgpr11
	s_or_saveexec_b64 s[6:7], s[6:7]
	v_mov_b32_e32 v12, s10
	s_xor_b64 exec, exec, s[6:7]
	s_cbranch_execz .LBB53_1686
.LBB53_3736:
	v_cmp_ne_u16_e32 vcc, 0, v11
	s_andn2_b64 s[4:5], s[4:5], exec
	s_and_b64 s[8:9], vcc, exec
	v_mov_b32_e32 v12, 0
	s_or_b64 s[4:5], s[4:5], s[8:9]
	s_or_b64 exec, exec, s[6:7]
	s_and_saveexec_b64 s[6:7], s[4:5]
	s_cbranch_execnz .LBB53_1687
	s_branch .LBB53_1688
.LBB53_3737:
	s_movk_i32 s4, 0x80
	v_cmp_eq_u16_sdwa s[12:13], v6, s4 src0_sel:BYTE_3 src1_sel:DWORD
	s_mov_b64 s[4:5], -1
                                        ; implicit-def: $sgpr10
	s_and_saveexec_b64 s[8:9], s[12:13]
; %bb.3738:
	s_mov_b32 s10, 0x7f800001
	s_xor_b64 s[4:5], exec, -1
; %bb.3739:
	s_or_b64 exec, exec, s[8:9]
	s_and_b64 s[4:5], s[4:5], exec
	s_or_saveexec_b64 s[6:7], s[6:7]
	v_mov_b32_e32 v10, s10
	s_xor_b64 exec, exec, s[6:7]
	s_cbranch_execz .LBB53_1690
.LBB53_3740:
	v_mov_b32_e32 v10, 0
	v_cmp_ne_u16_sdwa s[8:9], v6, v10 src0_sel:BYTE_3 src1_sel:DWORD
	s_andn2_b64 s[4:5], s[4:5], exec
	s_and_b64 s[8:9], s[8:9], exec
	s_or_b64 s[4:5], s[4:5], s[8:9]
	s_or_b64 exec, exec, s[6:7]
	s_and_saveexec_b64 s[6:7], s[4:5]
	s_cbranch_execnz .LBB53_1691
	s_branch .LBB53_1692
.LBB53_3741:
	s_movk_i32 s4, 0x80
	v_cmp_eq_u16_sdwa s[12:13], v2, s4 src0_sel:BYTE_3 src1_sel:DWORD
	s_mov_b64 s[4:5], -1
                                        ; implicit-def: $sgpr10
	s_and_saveexec_b64 s[8:9], s[12:13]
; %bb.3742:
	s_mov_b32 s10, 0x7f800001
	s_xor_b64 s[4:5], exec, -1
; %bb.3743:
	s_or_b64 exec, exec, s[8:9]
	s_and_b64 s[4:5], s[4:5], exec
	s_or_saveexec_b64 s[6:7], s[6:7]
	v_mov_b32_e32 v6, s10
	s_xor_b64 exec, exec, s[6:7]
	s_cbranch_execz .LBB53_1694
.LBB53_3744:
	v_mov_b32_e32 v6, 0
	v_cmp_ne_u16_sdwa s[8:9], v2, v6 src0_sel:BYTE_3 src1_sel:DWORD
	s_andn2_b64 s[4:5], s[4:5], exec
	s_and_b64 s[8:9], s[8:9], exec
	s_or_b64 s[4:5], s[4:5], s[8:9]
	s_or_b64 exec, exec, s[6:7]
	s_and_saveexec_b64 s[6:7], s[4:5]
	s_cbranch_execnz .LBB53_1695
	s_branch .LBB53_1696
.LBB53_3745:
	s_movk_i32 s4, 0x80
	v_cmp_eq_u16_sdwa s[12:13], v7, s4 src0_sel:BYTE_0 src1_sel:DWORD
	s_mov_b64 s[4:5], -1
                                        ; implicit-def: $sgpr10
	s_and_saveexec_b64 s[8:9], s[12:13]
; %bb.3746:
	s_mov_b32 s10, 0x7f800001
	s_xor_b64 s[4:5], exec, -1
; %bb.3747:
	s_or_b64 exec, exec, s[8:9]
	s_and_b64 s[4:5], s[4:5], exec
	s_or_saveexec_b64 s[6:7], s[6:7]
	v_mov_b32_e32 v2, s10
	s_xor_b64 exec, exec, s[6:7]
	s_cbranch_execz .LBB53_1698
.LBB53_3748:
	v_mov_b32_e32 v2, 0
	v_cmp_ne_u16_sdwa s[8:9], v7, v2 src0_sel:BYTE_0 src1_sel:DWORD
	s_andn2_b64 s[4:5], s[4:5], exec
	s_and_b64 s[8:9], s[8:9], exec
	s_or_b64 s[4:5], s[4:5], s[8:9]
	s_or_b64 exec, exec, s[6:7]
	s_and_saveexec_b64 s[6:7], s[4:5]
	s_cbranch_execnz .LBB53_1699
	s_branch .LBB53_1700
.LBB53_3749:
	s_movk_i32 s4, 0x80
	v_cmp_eq_u16_sdwa s[12:13], v3, s4 src0_sel:BYTE_0 src1_sel:DWORD
	s_mov_b64 s[4:5], -1
                                        ; implicit-def: $sgpr10
	s_and_saveexec_b64 s[8:9], s[12:13]
; %bb.3750:
	s_mov_b32 s10, 0x7f800001
	s_xor_b64 s[4:5], exec, -1
; %bb.3751:
	s_or_b64 exec, exec, s[8:9]
	s_and_b64 s[4:5], s[4:5], exec
	s_or_saveexec_b64 s[6:7], s[6:7]
	v_mov_b32_e32 v6, s10
	s_xor_b64 exec, exec, s[6:7]
	s_cbranch_execz .LBB53_1702
.LBB53_3752:
	v_mov_b32_e32 v6, 0
	v_cmp_ne_u16_sdwa s[8:9], v3, v6 src0_sel:BYTE_0 src1_sel:DWORD
	s_andn2_b64 s[4:5], s[4:5], exec
	s_and_b64 s[8:9], s[8:9], exec
	s_or_b64 s[4:5], s[4:5], s[8:9]
	s_or_b64 exec, exec, s[6:7]
	s_and_saveexec_b64 s[6:7], s[4:5]
	s_cbranch_execnz .LBB53_1703
	s_branch .LBB53_1704
.LBB53_3753:
	s_movk_i32 s4, 0x80
	v_cmp_eq_u16_sdwa s[12:13], v6, s4 src0_sel:BYTE_0 src1_sel:DWORD
	s_mov_b64 s[4:5], -1
                                        ; implicit-def: $sgpr10
	s_and_saveexec_b64 s[8:9], s[12:13]
; %bb.3754:
	s_mov_b32 s10, 0x7f800001
	s_xor_b64 s[4:5], exec, -1
; %bb.3755:
	s_or_b64 exec, exec, s[8:9]
	s_and_b64 s[4:5], s[4:5], exec
	s_or_saveexec_b64 s[6:7], s[6:7]
	v_mov_b32_e32 v2, s10
	s_xor_b64 exec, exec, s[6:7]
	s_cbranch_execz .LBB53_1706
.LBB53_3756:
	v_mov_b32_e32 v2, 0
	v_cmp_ne_u16_sdwa s[8:9], v6, v2 src0_sel:BYTE_0 src1_sel:DWORD
	s_andn2_b64 s[4:5], s[4:5], exec
	s_and_b64 s[8:9], s[8:9], exec
	s_or_b64 s[4:5], s[4:5], s[8:9]
	s_or_b64 exec, exec, s[6:7]
	s_and_saveexec_b64 s[6:7], s[4:5]
	s_cbranch_execnz .LBB53_1707
	s_branch .LBB53_1708
.LBB53_3757:
	s_movk_i32 s4, 0x80
	v_cmp_eq_u16_sdwa s[12:13], v6, s4 src0_sel:BYTE_0 src1_sel:DWORD
	s_mov_b64 s[4:5], -1
                                        ; implicit-def: $sgpr10
	s_and_saveexec_b64 s[8:9], s[12:13]
; %bb.3758:
	s_mov_b32 s10, 0x7f800001
	s_xor_b64 s[4:5], exec, -1
; %bb.3759:
	s_or_b64 exec, exec, s[8:9]
	s_and_b64 s[4:5], s[4:5], exec
	s_or_saveexec_b64 s[6:7], s[6:7]
	v_mov_b32_e32 v10, s10
	s_xor_b64 exec, exec, s[6:7]
	s_cbranch_execz .LBB53_1710
.LBB53_3760:
	v_mov_b32_e32 v10, 0
	v_cmp_ne_u16_sdwa s[8:9], v6, v10 src0_sel:BYTE_0 src1_sel:DWORD
	s_andn2_b64 s[4:5], s[4:5], exec
	s_and_b64 s[8:9], s[8:9], exec
	s_or_b64 s[4:5], s[4:5], s[8:9]
	s_or_b64 exec, exec, s[6:7]
	s_and_saveexec_b64 s[6:7], s[4:5]
	s_cbranch_execnz .LBB53_1711
	s_branch .LBB53_1712
.LBB53_3761:
	s_movk_i32 s4, 0x80
	v_cmp_eq_u16_e32 vcc, s4, v6
	s_mov_b64 s[4:5], -1
                                        ; implicit-def: $sgpr10
	s_and_saveexec_b64 s[8:9], vcc
; %bb.3762:
	s_mov_b32 s10, 0x7f800001
	s_xor_b64 s[4:5], exec, -1
; %bb.3763:
	s_or_b64 exec, exec, s[8:9]
	s_and_b64 s[4:5], s[4:5], exec
                                        ; implicit-def: $vgpr6
	s_or_saveexec_b64 s[6:7], s[6:7]
	v_mov_b32_e32 v2, s10
	s_xor_b64 exec, exec, s[6:7]
	s_cbranch_execz .LBB53_1714
.LBB53_3764:
	v_cmp_ne_u16_e32 vcc, 0, v6
	s_andn2_b64 s[4:5], s[4:5], exec
	s_and_b64 s[8:9], vcc, exec
	v_mov_b32_e32 v2, 0
	s_or_b64 s[4:5], s[4:5], s[8:9]
	s_or_b64 exec, exec, s[6:7]
	s_and_saveexec_b64 s[6:7], s[4:5]
	s_cbranch_execnz .LBB53_1715
	s_branch .LBB53_1716
.LBB53_3765:
	s_movk_i32 s4, 0x80
	v_cmp_eq_u16_e32 vcc, s4, v6
	s_mov_b64 s[4:5], -1
                                        ; implicit-def: $sgpr10
	s_and_saveexec_b64 s[8:9], vcc
; %bb.3766:
	s_mov_b32 s10, 0x7f800001
	s_xor_b64 s[4:5], exec, -1
; %bb.3767:
	s_or_b64 exec, exec, s[8:9]
	s_and_b64 s[4:5], s[4:5], exec
                                        ; implicit-def: $vgpr6
	s_or_saveexec_b64 s[6:7], s[6:7]
	v_mov_b32_e32 v10, s10
	s_xor_b64 exec, exec, s[6:7]
	s_cbranch_execz .LBB53_1718
.LBB53_3768:
	v_cmp_ne_u16_e32 vcc, 0, v6
	s_andn2_b64 s[4:5], s[4:5], exec
	s_and_b64 s[8:9], vcc, exec
	v_mov_b32_e32 v10, 0
	s_or_b64 s[4:5], s[4:5], s[8:9]
	s_or_b64 exec, exec, s[6:7]
	s_and_saveexec_b64 s[6:7], s[4:5]
	s_cbranch_execnz .LBB53_1719
	s_branch .LBB53_1720
.LBB53_3769:
	s_movk_i32 s4, 0x80
	v_cmp_eq_u16_sdwa s[12:13], v7, s4 src0_sel:BYTE_3 src1_sel:DWORD
	s_mov_b64 s[4:5], -1
                                        ; implicit-def: $sgpr10
	s_and_saveexec_b64 s[8:9], s[12:13]
; %bb.3770:
	s_mov_b32 s10, 0x7f800001
	s_xor_b64 s[4:5], exec, -1
; %bb.3771:
	s_or_b64 exec, exec, s[8:9]
	s_and_b64 s[4:5], s[4:5], exec
	s_or_saveexec_b64 s[6:7], s[6:7]
	v_mov_b32_e32 v2, s10
	s_xor_b64 exec, exec, s[6:7]
	s_cbranch_execz .LBB53_1722
.LBB53_3772:
	v_mov_b32_e32 v2, 0
	v_cmp_ne_u16_sdwa s[8:9], v7, v2 src0_sel:BYTE_3 src1_sel:DWORD
	s_andn2_b64 s[4:5], s[4:5], exec
	s_and_b64 s[8:9], s[8:9], exec
	s_or_b64 s[4:5], s[4:5], s[8:9]
	s_or_b64 exec, exec, s[6:7]
	s_and_saveexec_b64 s[6:7], s[4:5]
	s_cbranch_execnz .LBB53_1723
	s_branch .LBB53_1724
.LBB53_3773:
	s_movk_i32 s4, 0x80
	v_cmp_eq_u16_sdwa s[12:13], v3, s4 src0_sel:BYTE_3 src1_sel:DWORD
	s_mov_b64 s[4:5], -1
                                        ; implicit-def: $sgpr10
	s_and_saveexec_b64 s[8:9], s[12:13]
; %bb.3774:
	s_mov_b32 s10, 0x7f800001
	s_xor_b64 s[4:5], exec, -1
; %bb.3775:
	s_or_b64 exec, exec, s[8:9]
	s_and_b64 s[4:5], s[4:5], exec
	s_or_saveexec_b64 s[6:7], s[6:7]
	v_mov_b32_e32 v6, s10
	s_xor_b64 exec, exec, s[6:7]
	s_cbranch_execz .LBB53_1726
.LBB53_3776:
	v_mov_b32_e32 v6, 0
	v_cmp_ne_u16_sdwa s[8:9], v3, v6 src0_sel:BYTE_3 src1_sel:DWORD
	s_andn2_b64 s[4:5], s[4:5], exec
	s_and_b64 s[8:9], s[8:9], exec
	s_or_b64 s[4:5], s[4:5], s[8:9]
	s_or_b64 exec, exec, s[6:7]
	s_and_saveexec_b64 s[6:7], s[4:5]
	s_cbranch_execnz .LBB53_1727
	s_branch .LBB53_1728
.LBB53_3777:
	s_movk_i32 s4, 0x80
	v_cmp_eq_u16_sdwa s[12:13], v8, s4 src0_sel:BYTE_0 src1_sel:DWORD
	s_mov_b64 s[4:5], -1
                                        ; implicit-def: $sgpr10
	s_and_saveexec_b64 s[8:9], s[12:13]
; %bb.3778:
	s_mov_b32 s10, 0x7f800001
	s_xor_b64 s[4:5], exec, -1
; %bb.3779:
	s_or_b64 exec, exec, s[8:9]
	s_and_b64 s[4:5], s[4:5], exec
	s_or_saveexec_b64 s[6:7], s[6:7]
	v_mov_b32_e32 v2, s10
	s_xor_b64 exec, exec, s[6:7]
	s_cbranch_execz .LBB53_1730
.LBB53_3780:
	v_mov_b32_e32 v2, 0
	v_cmp_ne_u16_sdwa s[8:9], v8, v2 src0_sel:BYTE_0 src1_sel:DWORD
	s_andn2_b64 s[4:5], s[4:5], exec
	s_and_b64 s[8:9], s[8:9], exec
	s_or_b64 s[4:5], s[4:5], s[8:9]
	s_or_b64 exec, exec, s[6:7]
	s_and_saveexec_b64 s[6:7], s[4:5]
	s_cbranch_execnz .LBB53_1731
	s_branch .LBB53_1732
.LBB53_3781:
	s_movk_i32 s4, 0x80
	v_cmp_eq_u16_sdwa s[12:13], v4, s4 src0_sel:BYTE_0 src1_sel:DWORD
	s_mov_b64 s[4:5], -1
                                        ; implicit-def: $sgpr10
	s_and_saveexec_b64 s[8:9], s[12:13]
; %bb.3782:
	s_mov_b32 s10, 0x7f800001
	s_xor_b64 s[4:5], exec, -1
; %bb.3783:
	s_or_b64 exec, exec, s[8:9]
	s_and_b64 s[4:5], s[4:5], exec
	s_or_saveexec_b64 s[6:7], s[6:7]
	v_mov_b32_e32 v3, s10
	s_xor_b64 exec, exec, s[6:7]
	s_cbranch_execz .LBB53_1734
.LBB53_3784:
	v_mov_b32_e32 v3, 0
	v_cmp_ne_u16_sdwa s[8:9], v4, v3 src0_sel:BYTE_0 src1_sel:DWORD
	s_andn2_b64 s[4:5], s[4:5], exec
	s_and_b64 s[8:9], s[8:9], exec
	s_or_b64 s[4:5], s[4:5], s[8:9]
	s_or_b64 exec, exec, s[6:7]
	s_and_saveexec_b64 s[6:7], s[4:5]
	s_cbranch_execnz .LBB53_1735
	s_branch .LBB53_1736
.LBB53_3785:
	s_movk_i32 s4, 0x80
	v_cmp_eq_u16_sdwa s[12:13], v3, s4 src0_sel:BYTE_0 src1_sel:DWORD
	s_mov_b64 s[4:5], -1
                                        ; implicit-def: $sgpr10
	s_and_saveexec_b64 s[8:9], s[12:13]
; %bb.3786:
	s_mov_b32 s10, 0x7f800001
	s_xor_b64 s[4:5], exec, -1
; %bb.3787:
	s_or_b64 exec, exec, s[8:9]
	s_and_b64 s[4:5], s[4:5], exec
	s_or_saveexec_b64 s[6:7], s[6:7]
	v_mov_b32_e32 v2, s10
	s_xor_b64 exec, exec, s[6:7]
	s_cbranch_execz .LBB53_1738
.LBB53_3788:
	v_mov_b32_e32 v2, 0
	v_cmp_ne_u16_sdwa s[8:9], v3, v2 src0_sel:BYTE_0 src1_sel:DWORD
	s_andn2_b64 s[4:5], s[4:5], exec
	s_and_b64 s[8:9], s[8:9], exec
	s_or_b64 s[4:5], s[4:5], s[8:9]
	s_or_b64 exec, exec, s[6:7]
	s_and_saveexec_b64 s[6:7], s[4:5]
	s_cbranch_execnz .LBB53_1739
	s_branch .LBB53_1740
.LBB53_3789:
	s_movk_i32 s4, 0x80
	v_cmp_eq_u16_sdwa s[12:13], v3, s4 src0_sel:BYTE_0 src1_sel:DWORD
	s_mov_b64 s[4:5], -1
                                        ; implicit-def: $sgpr10
	s_and_saveexec_b64 s[8:9], s[12:13]
; %bb.3790:
	s_mov_b32 s10, 0x7f800001
	s_xor_b64 s[4:5], exec, -1
; %bb.3791:
	s_or_b64 exec, exec, s[8:9]
	s_and_b64 s[4:5], s[4:5], exec
	s_or_saveexec_b64 s[6:7], s[6:7]
	v_mov_b32_e32 v6, s10
	s_xor_b64 exec, exec, s[6:7]
	s_cbranch_execz .LBB53_1742
.LBB53_3792:
	v_mov_b32_e32 v6, 0
	v_cmp_ne_u16_sdwa s[8:9], v3, v6 src0_sel:BYTE_0 src1_sel:DWORD
	s_andn2_b64 s[4:5], s[4:5], exec
	s_and_b64 s[8:9], s[8:9], exec
	s_or_b64 s[4:5], s[4:5], s[8:9]
	s_or_b64 exec, exec, s[6:7]
	s_and_saveexec_b64 s[6:7], s[4:5]
	s_cbranch_execnz .LBB53_1743
	s_branch .LBB53_1744
.LBB53_3793:
	s_movk_i32 s4, 0x80
	v_cmp_eq_u16_e32 vcc, s4, v3
	s_mov_b64 s[4:5], -1
                                        ; implicit-def: $sgpr10
	s_and_saveexec_b64 s[8:9], vcc
; %bb.3794:
	s_mov_b32 s10, 0x7f800001
	s_xor_b64 s[4:5], exec, -1
; %bb.3795:
	s_or_b64 exec, exec, s[8:9]
	s_and_b64 s[4:5], s[4:5], exec
                                        ; implicit-def: $vgpr3
	s_or_saveexec_b64 s[6:7], s[6:7]
	v_mov_b32_e32 v2, s10
	s_xor_b64 exec, exec, s[6:7]
	s_cbranch_execz .LBB53_1746
.LBB53_3796:
	v_cmp_ne_u16_e32 vcc, 0, v3
	s_andn2_b64 s[4:5], s[4:5], exec
	s_and_b64 s[8:9], vcc, exec
	v_mov_b32_e32 v2, 0
	s_or_b64 s[4:5], s[4:5], s[8:9]
	s_or_b64 exec, exec, s[6:7]
	s_and_saveexec_b64 s[6:7], s[4:5]
	s_cbranch_execnz .LBB53_1747
	s_branch .LBB53_1748
.LBB53_3797:
	s_movk_i32 s4, 0x80
	v_cmp_eq_u16_e32 vcc, s4, v3
	s_mov_b64 s[4:5], -1
                                        ; implicit-def: $sgpr10
	s_and_saveexec_b64 s[8:9], vcc
; %bb.3798:
	s_mov_b32 s10, 0x7f800001
	s_xor_b64 s[4:5], exec, -1
; %bb.3799:
	s_or_b64 exec, exec, s[8:9]
	s_and_b64 s[4:5], s[4:5], exec
                                        ; implicit-def: $vgpr3
	s_or_saveexec_b64 s[6:7], s[6:7]
	v_mov_b32_e32 v6, s10
	s_xor_b64 exec, exec, s[6:7]
	s_cbranch_execz .LBB53_1750
.LBB53_3800:
	v_cmp_ne_u16_e32 vcc, 0, v3
	s_andn2_b64 s[4:5], s[4:5], exec
	s_and_b64 s[8:9], vcc, exec
	v_mov_b32_e32 v6, 0
	s_or_b64 s[4:5], s[4:5], s[8:9]
	s_or_b64 exec, exec, s[6:7]
	s_and_saveexec_b64 s[6:7], s[4:5]
	s_cbranch_execnz .LBB53_1751
	s_branch .LBB53_1752
.LBB53_3801:
	s_movk_i32 s4, 0x80
	v_cmp_eq_u16_sdwa s[12:13], v8, s4 src0_sel:BYTE_3 src1_sel:DWORD
	s_mov_b64 s[4:5], -1
                                        ; implicit-def: $sgpr10
	s_and_saveexec_b64 s[8:9], s[12:13]
; %bb.3802:
	s_mov_b32 s10, 0x7f800001
	s_xor_b64 s[4:5], exec, -1
; %bb.3803:
	s_or_b64 exec, exec, s[8:9]
	s_and_b64 s[4:5], s[4:5], exec
	s_or_saveexec_b64 s[6:7], s[6:7]
	v_mov_b32_e32 v2, s10
	s_xor_b64 exec, exec, s[6:7]
	s_cbranch_execz .LBB53_1754
.LBB53_3804:
	v_mov_b32_e32 v2, 0
	v_cmp_ne_u16_sdwa s[8:9], v8, v2 src0_sel:BYTE_3 src1_sel:DWORD
	s_andn2_b64 s[4:5], s[4:5], exec
	s_and_b64 s[8:9], s[8:9], exec
	s_or_b64 s[4:5], s[4:5], s[8:9]
	s_or_b64 exec, exec, s[6:7]
	s_and_saveexec_b64 s[6:7], s[4:5]
	s_cbranch_execnz .LBB53_1755
	s_branch .LBB53_1756
.LBB53_3805:
	s_movk_i32 s4, 0x80
	v_cmp_eq_u16_sdwa s[12:13], v4, s4 src0_sel:BYTE_3 src1_sel:DWORD
	s_mov_b64 s[4:5], -1
                                        ; implicit-def: $sgpr10
	s_and_saveexec_b64 s[8:9], s[12:13]
; %bb.3806:
	s_mov_b32 s10, 0x7f800001
	s_xor_b64 s[4:5], exec, -1
; %bb.3807:
	s_or_b64 exec, exec, s[8:9]
	s_and_b64 s[4:5], s[4:5], exec
	s_or_saveexec_b64 s[6:7], s[6:7]
	v_mov_b32_e32 v3, s10
	s_xor_b64 exec, exec, s[6:7]
	s_cbranch_execz .LBB53_1758
.LBB53_3808:
	v_mov_b32_e32 v3, 0
	v_cmp_ne_u16_sdwa s[8:9], v4, v3 src0_sel:BYTE_3 src1_sel:DWORD
	s_andn2_b64 s[4:5], s[4:5], exec
	s_and_b64 s[8:9], s[8:9], exec
	s_or_b64 s[4:5], s[4:5], s[8:9]
	s_or_b64 exec, exec, s[6:7]
	s_and_saveexec_b64 s[6:7], s[4:5]
	s_cbranch_execnz .LBB53_1759
	s_branch .LBB53_1760
.LBB53_3809:
	s_movk_i32 s4, 0x80
	v_cmp_eq_u16_sdwa s[12:13], v9, s4 src0_sel:BYTE_0 src1_sel:DWORD
	s_mov_b64 s[4:5], -1
                                        ; implicit-def: $sgpr10
	s_and_saveexec_b64 s[8:9], s[12:13]
; %bb.3810:
	s_mov_b32 s10, 0x7f800001
	s_xor_b64 s[4:5], exec, -1
; %bb.3811:
	s_or_b64 exec, exec, s[8:9]
	s_and_b64 s[4:5], s[4:5], exec
	s_or_saveexec_b64 s[6:7], s[6:7]
	v_mov_b32_e32 v2, s10
	s_xor_b64 exec, exec, s[6:7]
	s_cbranch_execz .LBB53_1762
.LBB53_3812:
	v_mov_b32_e32 v2, 0
	v_cmp_ne_u16_sdwa s[8:9], v9, v2 src0_sel:BYTE_0 src1_sel:DWORD
	s_andn2_b64 s[4:5], s[4:5], exec
	s_and_b64 s[8:9], s[8:9], exec
	s_or_b64 s[4:5], s[4:5], s[8:9]
	s_or_b64 exec, exec, s[6:7]
	s_and_saveexec_b64 s[6:7], s[4:5]
	s_cbranch_execnz .LBB53_1763
	s_branch .LBB53_1764
.LBB53_3813:
	s_movk_i32 s4, 0x80
	v_cmp_eq_u16_sdwa s[12:13], v5, s4 src0_sel:BYTE_0 src1_sel:DWORD
	s_mov_b64 s[4:5], -1
                                        ; implicit-def: $sgpr10
	s_and_saveexec_b64 s[8:9], s[12:13]
; %bb.3814:
	s_mov_b32 s10, 0x7f800001
	s_xor_b64 s[4:5], exec, -1
; %bb.3815:
	s_or_b64 exec, exec, s[8:9]
	s_and_b64 s[4:5], s[4:5], exec
	s_or_saveexec_b64 s[6:7], s[6:7]
	v_mov_b32_e32 v3, s10
	s_xor_b64 exec, exec, s[6:7]
	s_cbranch_execz .LBB53_1766
.LBB53_3816:
	v_mov_b32_e32 v3, 0
	v_cmp_ne_u16_sdwa s[8:9], v5, v3 src0_sel:BYTE_0 src1_sel:DWORD
	s_andn2_b64 s[4:5], s[4:5], exec
	s_and_b64 s[8:9], s[8:9], exec
	s_or_b64 s[4:5], s[4:5], s[8:9]
	s_or_b64 exec, exec, s[6:7]
	s_and_saveexec_b64 s[6:7], s[4:5]
	s_cbranch_execnz .LBB53_1767
	s_branch .LBB53_1768
.LBB53_3817:
	s_movk_i32 s4, 0x80
	v_cmp_eq_u16_sdwa s[12:13], v3, s4 src0_sel:BYTE_0 src1_sel:DWORD
	s_mov_b64 s[4:5], -1
                                        ; implicit-def: $sgpr10
	s_and_saveexec_b64 s[8:9], s[12:13]
; %bb.3818:
	s_mov_b32 s10, 0x7f800001
	s_xor_b64 s[4:5], exec, -1
; %bb.3819:
	s_or_b64 exec, exec, s[8:9]
	s_and_b64 s[4:5], s[4:5], exec
	s_or_saveexec_b64 s[6:7], s[6:7]
	v_mov_b32_e32 v2, s10
	s_xor_b64 exec, exec, s[6:7]
	s_cbranch_execz .LBB53_1770
.LBB53_3820:
	v_mov_b32_e32 v2, 0
	v_cmp_ne_u16_sdwa s[8:9], v3, v2 src0_sel:BYTE_0 src1_sel:DWORD
	s_andn2_b64 s[4:5], s[4:5], exec
	s_and_b64 s[8:9], s[8:9], exec
	s_or_b64 s[4:5], s[4:5], s[8:9]
	s_or_b64 exec, exec, s[6:7]
	s_and_saveexec_b64 s[6:7], s[4:5]
	s_cbranch_execnz .LBB53_1771
	s_branch .LBB53_1772
.LBB53_3821:
	s_movk_i32 s4, 0x80
	v_cmp_eq_u16_sdwa s[12:13], v3, s4 src0_sel:BYTE_0 src1_sel:DWORD
	s_mov_b64 s[4:5], -1
                                        ; implicit-def: $sgpr10
	s_and_saveexec_b64 s[8:9], s[12:13]
; %bb.3822:
	s_mov_b32 s10, 0x7f800001
	s_xor_b64 s[4:5], exec, -1
; %bb.3823:
	s_or_b64 exec, exec, s[8:9]
	s_and_b64 s[4:5], s[4:5], exec
	s_or_saveexec_b64 s[6:7], s[6:7]
	v_mov_b32_e32 v4, s10
	s_xor_b64 exec, exec, s[6:7]
	s_cbranch_execz .LBB53_1774
.LBB53_3824:
	v_mov_b32_e32 v4, 0
	v_cmp_ne_u16_sdwa s[8:9], v3, v4 src0_sel:BYTE_0 src1_sel:DWORD
	s_andn2_b64 s[4:5], s[4:5], exec
	s_and_b64 s[8:9], s[8:9], exec
	s_or_b64 s[4:5], s[4:5], s[8:9]
	s_or_b64 exec, exec, s[6:7]
	s_and_saveexec_b64 s[6:7], s[4:5]
	s_cbranch_execnz .LBB53_1775
	s_branch .LBB53_1776
.LBB53_3825:
	s_movk_i32 s4, 0x80
	v_cmp_eq_u16_e32 vcc, s4, v3
	s_mov_b64 s[4:5], -1
                                        ; implicit-def: $sgpr10
	s_and_saveexec_b64 s[8:9], vcc
; %bb.3826:
	s_mov_b32 s10, 0x7f800001
	s_xor_b64 s[4:5], exec, -1
; %bb.3827:
	s_or_b64 exec, exec, s[8:9]
	s_and_b64 s[4:5], s[4:5], exec
                                        ; implicit-def: $vgpr3
	s_or_saveexec_b64 s[6:7], s[6:7]
	v_mov_b32_e32 v2, s10
	s_xor_b64 exec, exec, s[6:7]
	s_cbranch_execz .LBB53_1778
.LBB53_3828:
	v_cmp_ne_u16_e32 vcc, 0, v3
	s_andn2_b64 s[4:5], s[4:5], exec
	s_and_b64 s[8:9], vcc, exec
	v_mov_b32_e32 v2, 0
	s_or_b64 s[4:5], s[4:5], s[8:9]
	s_or_b64 exec, exec, s[6:7]
	s_and_saveexec_b64 s[6:7], s[4:5]
	s_cbranch_execnz .LBB53_1779
	s_branch .LBB53_1780
.LBB53_3829:
	s_movk_i32 s4, 0x80
	v_cmp_eq_u16_e32 vcc, s4, v3
	s_mov_b64 s[4:5], -1
                                        ; implicit-def: $sgpr10
	s_and_saveexec_b64 s[8:9], vcc
; %bb.3830:
	s_mov_b32 s10, 0x7f800001
	s_xor_b64 s[4:5], exec, -1
; %bb.3831:
	s_or_b64 exec, exec, s[8:9]
	s_and_b64 s[4:5], s[4:5], exec
                                        ; implicit-def: $vgpr3
	s_or_saveexec_b64 s[6:7], s[6:7]
	v_mov_b32_e32 v4, s10
	s_xor_b64 exec, exec, s[6:7]
	s_cbranch_execz .LBB53_1782
.LBB53_3832:
	v_cmp_ne_u16_e32 vcc, 0, v3
	s_andn2_b64 s[4:5], s[4:5], exec
	s_and_b64 s[8:9], vcc, exec
	v_mov_b32_e32 v4, 0
	s_or_b64 s[4:5], s[4:5], s[8:9]
	s_or_b64 exec, exec, s[6:7]
	s_and_saveexec_b64 s[6:7], s[4:5]
	s_cbranch_execnz .LBB53_1783
	s_branch .LBB53_1784
.LBB53_3833:
	s_movk_i32 s4, 0x80
	v_cmp_eq_u16_sdwa s[12:13], v9, s4 src0_sel:BYTE_3 src1_sel:DWORD
	s_mov_b64 s[4:5], -1
                                        ; implicit-def: $sgpr10
	s_and_saveexec_b64 s[8:9], s[12:13]
; %bb.3834:
	s_mov_b32 s10, 0x7f800001
	s_xor_b64 s[4:5], exec, -1
; %bb.3835:
	s_or_b64 exec, exec, s[8:9]
	s_and_b64 s[4:5], s[4:5], exec
	s_or_saveexec_b64 s[6:7], s[6:7]
	v_mov_b32_e32 v2, s10
	s_xor_b64 exec, exec, s[6:7]
	s_cbranch_execz .LBB53_1786
.LBB53_3836:
	v_mov_b32_e32 v2, 0
	v_cmp_ne_u16_sdwa s[8:9], v9, v2 src0_sel:BYTE_3 src1_sel:DWORD
	s_andn2_b64 s[4:5], s[4:5], exec
	s_and_b64 s[8:9], s[8:9], exec
	s_or_b64 s[4:5], s[4:5], s[8:9]
	s_or_b64 exec, exec, s[6:7]
	s_and_saveexec_b64 s[6:7], s[4:5]
	s_cbranch_execnz .LBB53_1787
	s_branch .LBB53_1788
.LBB53_3837:
	s_movk_i32 s4, 0x80
	v_cmp_eq_u16_sdwa s[12:13], v5, s4 src0_sel:BYTE_3 src1_sel:DWORD
	s_mov_b64 s[4:5], -1
                                        ; implicit-def: $sgpr10
	s_and_saveexec_b64 s[8:9], s[12:13]
; %bb.3838:
	s_mov_b32 s10, 0x7f800001
	s_xor_b64 s[4:5], exec, -1
; %bb.3839:
	s_or_b64 exec, exec, s[8:9]
	s_and_b64 s[4:5], s[4:5], exec
	s_or_saveexec_b64 s[6:7], s[6:7]
	v_mov_b32_e32 v3, s10
	s_xor_b64 exec, exec, s[6:7]
	s_cbranch_execz .LBB53_1790
.LBB53_3840:
	v_mov_b32_e32 v3, 0
	v_cmp_ne_u16_sdwa s[8:9], v5, v3 src0_sel:BYTE_3 src1_sel:DWORD
	s_andn2_b64 s[4:5], s[4:5], exec
	s_and_b64 s[8:9], s[8:9], exec
	s_or_b64 s[4:5], s[4:5], s[8:9]
	s_or_b64 exec, exec, s[6:7]
	s_and_saveexec_b64 s[6:7], s[4:5]
	s_cbranch_execnz .LBB53_1791
	s_branch .LBB53_1792
.LBB53_3841:
	s_movk_i32 s4, 0x80
	v_cmp_eq_u16_sdwa s[12:13], v12, s4 src0_sel:BYTE_0 src1_sel:DWORD
	s_mov_b64 s[4:5], -1
                                        ; implicit-def: $sgpr10
	s_and_saveexec_b64 s[8:9], s[12:13]
; %bb.3842:
	s_mov_b32 s10, 0x7f800001
	s_xor_b64 s[4:5], exec, -1
; %bb.3843:
	s_or_b64 exec, exec, s[8:9]
	s_and_b64 s[4:5], s[4:5], exec
	s_or_saveexec_b64 s[6:7], s[6:7]
	v_mov_b32_e32 v18, s10
	s_xor_b64 exec, exec, s[6:7]
	s_cbranch_execz .LBB53_1794
.LBB53_3844:
	v_mov_b32_e32 v18, 0
	v_cmp_ne_u16_sdwa s[8:9], v12, v18 src0_sel:BYTE_0 src1_sel:DWORD
	s_andn2_b64 s[4:5], s[4:5], exec
	s_and_b64 s[8:9], s[8:9], exec
	s_or_b64 s[4:5], s[4:5], s[8:9]
	s_or_b64 exec, exec, s[6:7]
	s_and_saveexec_b64 s[6:7], s[4:5]
	s_cbranch_execnz .LBB53_1795
	s_branch .LBB53_1796
.LBB53_3845:
	s_movk_i32 s4, 0x80
	v_cmp_eq_u16_sdwa s[12:13], v8, s4 src0_sel:BYTE_0 src1_sel:DWORD
	s_mov_b64 s[4:5], -1
                                        ; implicit-def: $sgpr10
	s_and_saveexec_b64 s[8:9], s[12:13]
; %bb.3846:
	s_mov_b32 s10, 0x7f800001
	s_xor_b64 s[4:5], exec, -1
; %bb.3847:
	s_or_b64 exec, exec, s[8:9]
	s_and_b64 s[4:5], s[4:5], exec
	s_or_saveexec_b64 s[6:7], s[6:7]
	v_mov_b32_e32 v19, s10
	s_xor_b64 exec, exec, s[6:7]
	s_cbranch_execz .LBB53_1798
.LBB53_3848:
	v_mov_b32_e32 v19, 0
	v_cmp_ne_u16_sdwa s[8:9], v8, v19 src0_sel:BYTE_0 src1_sel:DWORD
	s_andn2_b64 s[4:5], s[4:5], exec
	s_and_b64 s[8:9], s[8:9], exec
	s_or_b64 s[4:5], s[4:5], s[8:9]
	s_or_b64 exec, exec, s[6:7]
	s_and_saveexec_b64 s[6:7], s[4:5]
	s_cbranch_execnz .LBB53_1799
	s_branch .LBB53_1800
.LBB53_3849:
	s_movk_i32 s4, 0x80
	v_cmp_eq_u16_sdwa s[12:13], v19, s4 src0_sel:BYTE_0 src1_sel:DWORD
	s_mov_b64 s[4:5], -1
                                        ; implicit-def: $sgpr10
	s_and_saveexec_b64 s[8:9], s[12:13]
; %bb.3850:
	s_mov_b32 s10, 0x7f800001
	s_xor_b64 s[4:5], exec, -1
; %bb.3851:
	s_or_b64 exec, exec, s[8:9]
	s_and_b64 s[4:5], s[4:5], exec
	s_or_saveexec_b64 s[6:7], s[6:7]
	v_mov_b32_e32 v18, s10
	s_xor_b64 exec, exec, s[6:7]
	s_cbranch_execz .LBB53_1802
.LBB53_3852:
	v_mov_b32_e32 v18, 0
	v_cmp_ne_u16_sdwa s[8:9], v19, v18 src0_sel:BYTE_0 src1_sel:DWORD
	s_andn2_b64 s[4:5], s[4:5], exec
	s_and_b64 s[8:9], s[8:9], exec
	s_or_b64 s[4:5], s[4:5], s[8:9]
	s_or_b64 exec, exec, s[6:7]
	s_and_saveexec_b64 s[6:7], s[4:5]
	s_cbranch_execnz .LBB53_1803
	s_branch .LBB53_1804
.LBB53_3853:
	s_movk_i32 s4, 0x80
	v_cmp_eq_u16_sdwa s[12:13], v19, s4 src0_sel:BYTE_0 src1_sel:DWORD
	s_mov_b64 s[4:5], -1
                                        ; implicit-def: $sgpr10
	s_and_saveexec_b64 s[8:9], s[12:13]
; %bb.3854:
	s_mov_b32 s10, 0x7f800001
	s_xor_b64 s[4:5], exec, -1
; %bb.3855:
	s_or_b64 exec, exec, s[8:9]
	s_and_b64 s[4:5], s[4:5], exec
	s_or_saveexec_b64 s[6:7], s[6:7]
	v_mov_b32_e32 v20, s10
	s_xor_b64 exec, exec, s[6:7]
	s_cbranch_execz .LBB53_1806
.LBB53_3856:
	v_mov_b32_e32 v20, 0
	v_cmp_ne_u16_sdwa s[8:9], v19, v20 src0_sel:BYTE_0 src1_sel:DWORD
	s_andn2_b64 s[4:5], s[4:5], exec
	s_and_b64 s[8:9], s[8:9], exec
	s_or_b64 s[4:5], s[4:5], s[8:9]
	s_or_b64 exec, exec, s[6:7]
	s_and_saveexec_b64 s[6:7], s[4:5]
	s_cbranch_execnz .LBB53_1807
	s_branch .LBB53_1808
.LBB53_3857:
	s_movk_i32 s4, 0x80
	v_cmp_eq_u16_e32 vcc, s4, v19
	s_mov_b64 s[4:5], -1
                                        ; implicit-def: $sgpr10
	s_and_saveexec_b64 s[8:9], vcc
; %bb.3858:
	s_mov_b32 s10, 0x7f800001
	s_xor_b64 s[4:5], exec, -1
; %bb.3859:
	s_or_b64 exec, exec, s[8:9]
	s_and_b64 s[4:5], s[4:5], exec
                                        ; implicit-def: $vgpr19
	s_or_saveexec_b64 s[6:7], s[6:7]
	v_mov_b32_e32 v18, s10
	s_xor_b64 exec, exec, s[6:7]
	s_cbranch_execz .LBB53_1810
.LBB53_3860:
	v_cmp_ne_u16_e32 vcc, 0, v19
	s_andn2_b64 s[4:5], s[4:5], exec
	s_and_b64 s[8:9], vcc, exec
	v_mov_b32_e32 v18, 0
	s_or_b64 s[4:5], s[4:5], s[8:9]
	s_or_b64 exec, exec, s[6:7]
	s_and_saveexec_b64 s[6:7], s[4:5]
	s_cbranch_execnz .LBB53_1811
	s_branch .LBB53_1812
.LBB53_3861:
	s_movk_i32 s4, 0x80
	v_cmp_eq_u16_e32 vcc, s4, v19
	s_mov_b64 s[4:5], -1
                                        ; implicit-def: $sgpr10
	s_and_saveexec_b64 s[8:9], vcc
; %bb.3862:
	s_mov_b32 s10, 0x7f800001
	s_xor_b64 s[4:5], exec, -1
; %bb.3863:
	s_or_b64 exec, exec, s[8:9]
	s_and_b64 s[4:5], s[4:5], exec
                                        ; implicit-def: $vgpr19
	s_or_saveexec_b64 s[6:7], s[6:7]
	v_mov_b32_e32 v20, s10
	s_xor_b64 exec, exec, s[6:7]
	s_cbranch_execz .LBB53_1814
.LBB53_3864:
	v_cmp_ne_u16_e32 vcc, 0, v19
	s_andn2_b64 s[4:5], s[4:5], exec
	s_and_b64 s[8:9], vcc, exec
	v_mov_b32_e32 v20, 0
	s_or_b64 s[4:5], s[4:5], s[8:9]
	s_or_b64 exec, exec, s[6:7]
	s_and_saveexec_b64 s[6:7], s[4:5]
	s_cbranch_execnz .LBB53_1815
	s_branch .LBB53_1816
.LBB53_3865:
	s_movk_i32 s4, 0x80
	v_cmp_eq_u16_sdwa s[12:13], v12, s4 src0_sel:BYTE_3 src1_sel:DWORD
	s_mov_b64 s[4:5], -1
                                        ; implicit-def: $sgpr10
	s_and_saveexec_b64 s[8:9], s[12:13]
; %bb.3866:
	s_mov_b32 s10, 0x7f800001
	s_xor_b64 s[4:5], exec, -1
; %bb.3867:
	s_or_b64 exec, exec, s[8:9]
	s_and_b64 s[4:5], s[4:5], exec
	s_or_saveexec_b64 s[6:7], s[6:7]
	v_mov_b32_e32 v18, s10
	s_xor_b64 exec, exec, s[6:7]
	s_cbranch_execz .LBB53_1818
.LBB53_3868:
	v_mov_b32_e32 v18, 0
	v_cmp_ne_u16_sdwa s[8:9], v12, v18 src0_sel:BYTE_3 src1_sel:DWORD
	s_andn2_b64 s[4:5], s[4:5], exec
	s_and_b64 s[8:9], s[8:9], exec
	s_or_b64 s[4:5], s[4:5], s[8:9]
	s_or_b64 exec, exec, s[6:7]
	s_and_saveexec_b64 s[6:7], s[4:5]
	s_cbranch_execnz .LBB53_1819
	s_branch .LBB53_1820
.LBB53_3869:
	s_movk_i32 s4, 0x80
	v_cmp_eq_u16_sdwa s[12:13], v8, s4 src0_sel:BYTE_3 src1_sel:DWORD
	s_mov_b64 s[4:5], -1
                                        ; implicit-def: $sgpr10
	s_and_saveexec_b64 s[8:9], s[12:13]
; %bb.3870:
	s_mov_b32 s10, 0x7f800001
	s_xor_b64 s[4:5], exec, -1
; %bb.3871:
	s_or_b64 exec, exec, s[8:9]
	s_and_b64 s[4:5], s[4:5], exec
	s_or_saveexec_b64 s[6:7], s[6:7]
	v_mov_b32_e32 v12, s10
	s_xor_b64 exec, exec, s[6:7]
	s_cbranch_execz .LBB53_1822
.LBB53_3872:
	v_mov_b32_e32 v12, 0
	v_cmp_ne_u16_sdwa s[8:9], v8, v12 src0_sel:BYTE_3 src1_sel:DWORD
	s_andn2_b64 s[4:5], s[4:5], exec
	s_and_b64 s[8:9], s[8:9], exec
	s_or_b64 s[4:5], s[4:5], s[8:9]
	s_or_b64 exec, exec, s[6:7]
	s_and_saveexec_b64 s[6:7], s[4:5]
	s_cbranch_execnz .LBB53_1823
	s_branch .LBB53_1824
.LBB53_3873:
	s_movk_i32 s4, 0x80
	v_cmp_eq_u16_sdwa s[12:13], v13, s4 src0_sel:BYTE_0 src1_sel:DWORD
	s_mov_b64 s[4:5], -1
                                        ; implicit-def: $sgpr10
	s_and_saveexec_b64 s[8:9], s[12:13]
; %bb.3874:
	s_mov_b32 s10, 0x7f800001
	s_xor_b64 s[4:5], exec, -1
; %bb.3875:
	s_or_b64 exec, exec, s[8:9]
	s_and_b64 s[4:5], s[4:5], exec
	s_or_saveexec_b64 s[6:7], s[6:7]
	v_mov_b32_e32 v8, s10
	s_xor_b64 exec, exec, s[6:7]
	s_cbranch_execz .LBB53_1826
.LBB53_3876:
	v_mov_b32_e32 v8, 0
	v_cmp_ne_u16_sdwa s[8:9], v13, v8 src0_sel:BYTE_0 src1_sel:DWORD
	s_andn2_b64 s[4:5], s[4:5], exec
	s_and_b64 s[8:9], s[8:9], exec
	s_or_b64 s[4:5], s[4:5], s[8:9]
	s_or_b64 exec, exec, s[6:7]
	s_and_saveexec_b64 s[6:7], s[4:5]
	s_cbranch_execnz .LBB53_1827
	s_branch .LBB53_1828
.LBB53_3877:
	s_movk_i32 s4, 0x80
	v_cmp_eq_u16_sdwa s[12:13], v9, s4 src0_sel:BYTE_0 src1_sel:DWORD
	s_mov_b64 s[4:5], -1
                                        ; implicit-def: $sgpr10
	s_and_saveexec_b64 s[8:9], s[12:13]
; %bb.3878:
	s_mov_b32 s10, 0x7f800001
	s_xor_b64 s[4:5], exec, -1
; %bb.3879:
	s_or_b64 exec, exec, s[8:9]
	s_and_b64 s[4:5], s[4:5], exec
	s_or_saveexec_b64 s[6:7], s[6:7]
	v_mov_b32_e32 v12, s10
	s_xor_b64 exec, exec, s[6:7]
	s_cbranch_execz .LBB53_1830
.LBB53_3880:
	v_mov_b32_e32 v12, 0
	v_cmp_ne_u16_sdwa s[8:9], v9, v12 src0_sel:BYTE_0 src1_sel:DWORD
	s_andn2_b64 s[4:5], s[4:5], exec
	s_and_b64 s[8:9], s[8:9], exec
	s_or_b64 s[4:5], s[4:5], s[8:9]
	s_or_b64 exec, exec, s[6:7]
	s_and_saveexec_b64 s[6:7], s[4:5]
	s_cbranch_execnz .LBB53_1831
	s_branch .LBB53_1832
.LBB53_3881:
	s_movk_i32 s4, 0x80
	v_cmp_eq_u16_sdwa s[12:13], v12, s4 src0_sel:BYTE_0 src1_sel:DWORD
	s_mov_b64 s[4:5], -1
                                        ; implicit-def: $sgpr10
	s_and_saveexec_b64 s[8:9], s[12:13]
; %bb.3882:
	s_mov_b32 s10, 0x7f800001
	s_xor_b64 s[4:5], exec, -1
; %bb.3883:
	s_or_b64 exec, exec, s[8:9]
	s_and_b64 s[4:5], s[4:5], exec
	s_or_saveexec_b64 s[6:7], s[6:7]
	v_mov_b32_e32 v8, s10
	s_xor_b64 exec, exec, s[6:7]
	s_cbranch_execz .LBB53_1834
.LBB53_3884:
	v_mov_b32_e32 v8, 0
	v_cmp_ne_u16_sdwa s[8:9], v12, v8 src0_sel:BYTE_0 src1_sel:DWORD
	s_andn2_b64 s[4:5], s[4:5], exec
	s_and_b64 s[8:9], s[8:9], exec
	s_or_b64 s[4:5], s[4:5], s[8:9]
	s_or_b64 exec, exec, s[6:7]
	s_and_saveexec_b64 s[6:7], s[4:5]
	s_cbranch_execnz .LBB53_1835
	s_branch .LBB53_1836
.LBB53_3885:
	s_movk_i32 s4, 0x80
	v_cmp_eq_u16_sdwa s[12:13], v12, s4 src0_sel:BYTE_0 src1_sel:DWORD
	s_mov_b64 s[4:5], -1
                                        ; implicit-def: $sgpr10
	s_and_saveexec_b64 s[8:9], s[12:13]
; %bb.3886:
	s_mov_b32 s10, 0x7f800001
	s_xor_b64 s[4:5], exec, -1
; %bb.3887:
	s_or_b64 exec, exec, s[8:9]
	s_and_b64 s[4:5], s[4:5], exec
	s_or_saveexec_b64 s[6:7], s[6:7]
	v_mov_b32_e32 v18, s10
	s_xor_b64 exec, exec, s[6:7]
	s_cbranch_execz .LBB53_1838
.LBB53_3888:
	v_mov_b32_e32 v18, 0
	v_cmp_ne_u16_sdwa s[8:9], v12, v18 src0_sel:BYTE_0 src1_sel:DWORD
	s_andn2_b64 s[4:5], s[4:5], exec
	s_and_b64 s[8:9], s[8:9], exec
	s_or_b64 s[4:5], s[4:5], s[8:9]
	s_or_b64 exec, exec, s[6:7]
	s_and_saveexec_b64 s[6:7], s[4:5]
	s_cbranch_execnz .LBB53_1839
	s_branch .LBB53_1840
.LBB53_3889:
	s_movk_i32 s4, 0x80
	v_cmp_eq_u16_e32 vcc, s4, v12
	s_mov_b64 s[4:5], -1
                                        ; implicit-def: $sgpr10
	s_and_saveexec_b64 s[8:9], vcc
; %bb.3890:
	s_mov_b32 s10, 0x7f800001
	s_xor_b64 s[4:5], exec, -1
; %bb.3891:
	s_or_b64 exec, exec, s[8:9]
	s_and_b64 s[4:5], s[4:5], exec
                                        ; implicit-def: $vgpr12
	s_or_saveexec_b64 s[6:7], s[6:7]
	v_mov_b32_e32 v8, s10
	s_xor_b64 exec, exec, s[6:7]
	s_cbranch_execz .LBB53_1842
.LBB53_3892:
	v_cmp_ne_u16_e32 vcc, 0, v12
	s_andn2_b64 s[4:5], s[4:5], exec
	s_and_b64 s[8:9], vcc, exec
	v_mov_b32_e32 v8, 0
	s_or_b64 s[4:5], s[4:5], s[8:9]
	s_or_b64 exec, exec, s[6:7]
	s_and_saveexec_b64 s[6:7], s[4:5]
	s_cbranch_execnz .LBB53_1843
	s_branch .LBB53_1844
.LBB53_3893:
	s_movk_i32 s4, 0x80
	v_cmp_eq_u16_e32 vcc, s4, v12
	s_mov_b64 s[4:5], -1
                                        ; implicit-def: $sgpr10
	s_and_saveexec_b64 s[8:9], vcc
; %bb.3894:
	s_mov_b32 s10, 0x7f800001
	s_xor_b64 s[4:5], exec, -1
; %bb.3895:
	s_or_b64 exec, exec, s[8:9]
	s_and_b64 s[4:5], s[4:5], exec
                                        ; implicit-def: $vgpr12
	s_or_saveexec_b64 s[6:7], s[6:7]
	v_mov_b32_e32 v18, s10
	s_xor_b64 exec, exec, s[6:7]
	s_cbranch_execz .LBB53_1846
.LBB53_3896:
	v_cmp_ne_u16_e32 vcc, 0, v12
	s_andn2_b64 s[4:5], s[4:5], exec
	s_and_b64 s[8:9], vcc, exec
	v_mov_b32_e32 v18, 0
	s_or_b64 s[4:5], s[4:5], s[8:9]
	s_or_b64 exec, exec, s[6:7]
	s_and_saveexec_b64 s[6:7], s[4:5]
	s_cbranch_execnz .LBB53_1847
	s_branch .LBB53_1848
.LBB53_3897:
	s_movk_i32 s4, 0x80
	v_cmp_eq_u16_sdwa s[12:13], v13, s4 src0_sel:BYTE_3 src1_sel:DWORD
	s_mov_b64 s[4:5], -1
                                        ; implicit-def: $sgpr10
	s_and_saveexec_b64 s[8:9], s[12:13]
; %bb.3898:
	s_mov_b32 s10, 0x7f800001
	s_xor_b64 s[4:5], exec, -1
; %bb.3899:
	s_or_b64 exec, exec, s[8:9]
	s_and_b64 s[4:5], s[4:5], exec
	s_or_saveexec_b64 s[6:7], s[6:7]
	v_mov_b32_e32 v8, s10
	s_xor_b64 exec, exec, s[6:7]
	s_cbranch_execz .LBB53_1850
.LBB53_3900:
	v_mov_b32_e32 v8, 0
	v_cmp_ne_u16_sdwa s[8:9], v13, v8 src0_sel:BYTE_3 src1_sel:DWORD
	s_andn2_b64 s[4:5], s[4:5], exec
	s_and_b64 s[8:9], s[8:9], exec
	s_or_b64 s[4:5], s[4:5], s[8:9]
	s_or_b64 exec, exec, s[6:7]
	s_and_saveexec_b64 s[6:7], s[4:5]
	s_cbranch_execnz .LBB53_1851
	s_branch .LBB53_1852
.LBB53_3901:
	s_movk_i32 s4, 0x80
	v_cmp_eq_u16_sdwa s[12:13], v9, s4 src0_sel:BYTE_3 src1_sel:DWORD
	s_mov_b64 s[4:5], -1
                                        ; implicit-def: $sgpr10
	s_and_saveexec_b64 s[8:9], s[12:13]
; %bb.3902:
	s_mov_b32 s10, 0x7f800001
	s_xor_b64 s[4:5], exec, -1
; %bb.3903:
	s_or_b64 exec, exec, s[8:9]
	s_and_b64 s[4:5], s[4:5], exec
	s_or_saveexec_b64 s[6:7], s[6:7]
	v_mov_b32_e32 v12, s10
	s_xor_b64 exec, exec, s[6:7]
	s_cbranch_execz .LBB53_1854
.LBB53_3904:
	v_mov_b32_e32 v12, 0
	v_cmp_ne_u16_sdwa s[8:9], v9, v12 src0_sel:BYTE_3 src1_sel:DWORD
	s_andn2_b64 s[4:5], s[4:5], exec
	s_and_b64 s[8:9], s[8:9], exec
	s_or_b64 s[4:5], s[4:5], s[8:9]
	s_or_b64 exec, exec, s[6:7]
	s_and_saveexec_b64 s[6:7], s[4:5]
	s_cbranch_execnz .LBB53_1855
	s_branch .LBB53_1856
.LBB53_3905:
	s_movk_i32 s4, 0x80
	v_cmp_eq_u16_sdwa s[12:13], v14, s4 src0_sel:BYTE_0 src1_sel:DWORD
	s_mov_b64 s[4:5], -1
                                        ; implicit-def: $sgpr10
	s_and_saveexec_b64 s[8:9], s[12:13]
; %bb.3906:
	s_mov_b32 s10, 0x7f800001
	s_xor_b64 s[4:5], exec, -1
; %bb.3907:
	s_or_b64 exec, exec, s[8:9]
	s_and_b64 s[4:5], s[4:5], exec
	s_or_saveexec_b64 s[6:7], s[6:7]
	v_mov_b32_e32 v8, s10
	s_xor_b64 exec, exec, s[6:7]
	s_cbranch_execz .LBB53_1858
.LBB53_3908:
	v_mov_b32_e32 v8, 0
	v_cmp_ne_u16_sdwa s[8:9], v14, v8 src0_sel:BYTE_0 src1_sel:DWORD
	s_andn2_b64 s[4:5], s[4:5], exec
	s_and_b64 s[8:9], s[8:9], exec
	s_or_b64 s[4:5], s[4:5], s[8:9]
	s_or_b64 exec, exec, s[6:7]
	s_and_saveexec_b64 s[6:7], s[4:5]
	s_cbranch_execnz .LBB53_1859
	s_branch .LBB53_1860
.LBB53_3909:
	s_movk_i32 s4, 0x80
	v_cmp_eq_u16_sdwa s[12:13], v10, s4 src0_sel:BYTE_0 src1_sel:DWORD
	s_mov_b64 s[4:5], -1
                                        ; implicit-def: $sgpr10
	s_and_saveexec_b64 s[8:9], s[12:13]
; %bb.3910:
	s_mov_b32 s10, 0x7f800001
	s_xor_b64 s[4:5], exec, -1
; %bb.3911:
	s_or_b64 exec, exec, s[8:9]
	s_and_b64 s[4:5], s[4:5], exec
	s_or_saveexec_b64 s[6:7], s[6:7]
	v_mov_b32_e32 v9, s10
	s_xor_b64 exec, exec, s[6:7]
	s_cbranch_execz .LBB53_1862
.LBB53_3912:
	v_mov_b32_e32 v9, 0
	v_cmp_ne_u16_sdwa s[8:9], v10, v9 src0_sel:BYTE_0 src1_sel:DWORD
	s_andn2_b64 s[4:5], s[4:5], exec
	s_and_b64 s[8:9], s[8:9], exec
	s_or_b64 s[4:5], s[4:5], s[8:9]
	s_or_b64 exec, exec, s[6:7]
	s_and_saveexec_b64 s[6:7], s[4:5]
	s_cbranch_execnz .LBB53_1863
	s_branch .LBB53_1864
.LBB53_3913:
	s_movk_i32 s4, 0x80
	v_cmp_eq_u16_sdwa s[12:13], v9, s4 src0_sel:BYTE_0 src1_sel:DWORD
	s_mov_b64 s[4:5], -1
                                        ; implicit-def: $sgpr10
	s_and_saveexec_b64 s[8:9], s[12:13]
; %bb.3914:
	s_mov_b32 s10, 0x7f800001
	s_xor_b64 s[4:5], exec, -1
; %bb.3915:
	s_or_b64 exec, exec, s[8:9]
	s_and_b64 s[4:5], s[4:5], exec
	s_or_saveexec_b64 s[6:7], s[6:7]
	v_mov_b32_e32 v8, s10
	s_xor_b64 exec, exec, s[6:7]
	s_cbranch_execz .LBB53_1866
.LBB53_3916:
	v_mov_b32_e32 v8, 0
	v_cmp_ne_u16_sdwa s[8:9], v9, v8 src0_sel:BYTE_0 src1_sel:DWORD
	s_andn2_b64 s[4:5], s[4:5], exec
	s_and_b64 s[8:9], s[8:9], exec
	s_or_b64 s[4:5], s[4:5], s[8:9]
	s_or_b64 exec, exec, s[6:7]
	s_and_saveexec_b64 s[6:7], s[4:5]
	s_cbranch_execnz .LBB53_1867
	s_branch .LBB53_1868
.LBB53_3917:
	s_movk_i32 s4, 0x80
	v_cmp_eq_u16_sdwa s[12:13], v9, s4 src0_sel:BYTE_0 src1_sel:DWORD
	s_mov_b64 s[4:5], -1
                                        ; implicit-def: $sgpr10
	s_and_saveexec_b64 s[8:9], s[12:13]
; %bb.3918:
	s_mov_b32 s10, 0x7f800001
	s_xor_b64 s[4:5], exec, -1
; %bb.3919:
	s_or_b64 exec, exec, s[8:9]
	s_and_b64 s[4:5], s[4:5], exec
	s_or_saveexec_b64 s[6:7], s[6:7]
	v_mov_b32_e32 v12, s10
	s_xor_b64 exec, exec, s[6:7]
	s_cbranch_execz .LBB53_1870
.LBB53_3920:
	v_mov_b32_e32 v12, 0
	v_cmp_ne_u16_sdwa s[8:9], v9, v12 src0_sel:BYTE_0 src1_sel:DWORD
	s_andn2_b64 s[4:5], s[4:5], exec
	s_and_b64 s[8:9], s[8:9], exec
	s_or_b64 s[4:5], s[4:5], s[8:9]
	s_or_b64 exec, exec, s[6:7]
	s_and_saveexec_b64 s[6:7], s[4:5]
	s_cbranch_execnz .LBB53_1871
	s_branch .LBB53_1872
.LBB53_3921:
	s_movk_i32 s4, 0x80
	v_cmp_eq_u16_e32 vcc, s4, v9
	s_mov_b64 s[4:5], -1
                                        ; implicit-def: $sgpr10
	s_and_saveexec_b64 s[8:9], vcc
; %bb.3922:
	s_mov_b32 s10, 0x7f800001
	s_xor_b64 s[4:5], exec, -1
; %bb.3923:
	s_or_b64 exec, exec, s[8:9]
	s_and_b64 s[4:5], s[4:5], exec
                                        ; implicit-def: $vgpr9
	s_or_saveexec_b64 s[6:7], s[6:7]
	v_mov_b32_e32 v8, s10
	s_xor_b64 exec, exec, s[6:7]
	s_cbranch_execz .LBB53_1874
.LBB53_3924:
	v_cmp_ne_u16_e32 vcc, 0, v9
	s_andn2_b64 s[4:5], s[4:5], exec
	s_and_b64 s[8:9], vcc, exec
	v_mov_b32_e32 v8, 0
	s_or_b64 s[4:5], s[4:5], s[8:9]
	s_or_b64 exec, exec, s[6:7]
	s_and_saveexec_b64 s[6:7], s[4:5]
	s_cbranch_execnz .LBB53_1875
	s_branch .LBB53_1876
.LBB53_3925:
	s_movk_i32 s4, 0x80
	v_cmp_eq_u16_e32 vcc, s4, v9
	s_mov_b64 s[4:5], -1
                                        ; implicit-def: $sgpr10
	s_and_saveexec_b64 s[8:9], vcc
; %bb.3926:
	s_mov_b32 s10, 0x7f800001
	s_xor_b64 s[4:5], exec, -1
; %bb.3927:
	s_or_b64 exec, exec, s[8:9]
	s_and_b64 s[4:5], s[4:5], exec
                                        ; implicit-def: $vgpr9
	s_or_saveexec_b64 s[6:7], s[6:7]
	v_mov_b32_e32 v12, s10
	s_xor_b64 exec, exec, s[6:7]
	s_cbranch_execz .LBB53_1878
.LBB53_3928:
	v_cmp_ne_u16_e32 vcc, 0, v9
	s_andn2_b64 s[4:5], s[4:5], exec
	s_and_b64 s[8:9], vcc, exec
	v_mov_b32_e32 v12, 0
	s_or_b64 s[4:5], s[4:5], s[8:9]
	s_or_b64 exec, exec, s[6:7]
	s_and_saveexec_b64 s[6:7], s[4:5]
	s_cbranch_execnz .LBB53_1879
	s_branch .LBB53_1880
.LBB53_3929:
	s_movk_i32 s4, 0x80
	v_cmp_eq_u16_sdwa s[12:13], v14, s4 src0_sel:BYTE_3 src1_sel:DWORD
	s_mov_b64 s[4:5], -1
                                        ; implicit-def: $sgpr10
	s_and_saveexec_b64 s[8:9], s[12:13]
; %bb.3930:
	s_mov_b32 s10, 0x7f800001
	s_xor_b64 s[4:5], exec, -1
; %bb.3931:
	s_or_b64 exec, exec, s[8:9]
	s_and_b64 s[4:5], s[4:5], exec
	s_or_saveexec_b64 s[6:7], s[6:7]
	v_mov_b32_e32 v8, s10
	s_xor_b64 exec, exec, s[6:7]
	s_cbranch_execz .LBB53_1882
.LBB53_3932:
	v_mov_b32_e32 v8, 0
	v_cmp_ne_u16_sdwa s[8:9], v14, v8 src0_sel:BYTE_3 src1_sel:DWORD
	s_andn2_b64 s[4:5], s[4:5], exec
	s_and_b64 s[8:9], s[8:9], exec
	s_or_b64 s[4:5], s[4:5], s[8:9]
	s_or_b64 exec, exec, s[6:7]
	s_and_saveexec_b64 s[6:7], s[4:5]
	s_cbranch_execnz .LBB53_1883
	s_branch .LBB53_1884
.LBB53_3933:
	s_movk_i32 s4, 0x80
	v_cmp_eq_u16_sdwa s[12:13], v10, s4 src0_sel:BYTE_3 src1_sel:DWORD
	s_mov_b64 s[4:5], -1
                                        ; implicit-def: $sgpr10
	s_and_saveexec_b64 s[8:9], s[12:13]
; %bb.3934:
	s_mov_b32 s10, 0x7f800001
	s_xor_b64 s[4:5], exec, -1
; %bb.3935:
	s_or_b64 exec, exec, s[8:9]
	s_and_b64 s[4:5], s[4:5], exec
	s_or_saveexec_b64 s[6:7], s[6:7]
	v_mov_b32_e32 v9, s10
	s_xor_b64 exec, exec, s[6:7]
	s_cbranch_execz .LBB53_1886
.LBB53_3936:
	v_mov_b32_e32 v9, 0
	v_cmp_ne_u16_sdwa s[8:9], v10, v9 src0_sel:BYTE_3 src1_sel:DWORD
	s_andn2_b64 s[4:5], s[4:5], exec
	s_and_b64 s[8:9], s[8:9], exec
	s_or_b64 s[4:5], s[4:5], s[8:9]
	s_or_b64 exec, exec, s[6:7]
	s_and_saveexec_b64 s[6:7], s[4:5]
	s_cbranch_execnz .LBB53_1887
	s_branch .LBB53_1888
.LBB53_3937:
	s_movk_i32 s4, 0x80
	v_cmp_eq_u16_sdwa s[12:13], v15, s4 src0_sel:BYTE_0 src1_sel:DWORD
	s_mov_b64 s[4:5], -1
                                        ; implicit-def: $sgpr10
	s_and_saveexec_b64 s[8:9], s[12:13]
; %bb.3938:
	s_mov_b32 s10, 0x7f800001
	s_xor_b64 s[4:5], exec, -1
; %bb.3939:
	s_or_b64 exec, exec, s[8:9]
	s_and_b64 s[4:5], s[4:5], exec
	s_or_saveexec_b64 s[6:7], s[6:7]
	v_mov_b32_e32 v8, s10
	s_xor_b64 exec, exec, s[6:7]
	s_cbranch_execz .LBB53_1890
.LBB53_3940:
	v_mov_b32_e32 v8, 0
	v_cmp_ne_u16_sdwa s[8:9], v15, v8 src0_sel:BYTE_0 src1_sel:DWORD
	s_andn2_b64 s[4:5], s[4:5], exec
	s_and_b64 s[8:9], s[8:9], exec
	s_or_b64 s[4:5], s[4:5], s[8:9]
	s_or_b64 exec, exec, s[6:7]
	s_and_saveexec_b64 s[6:7], s[4:5]
	s_cbranch_execnz .LBB53_1891
	s_branch .LBB53_1892
.LBB53_3941:
	s_movk_i32 s4, 0x80
	v_cmp_eq_u16_sdwa s[12:13], v11, s4 src0_sel:BYTE_0 src1_sel:DWORD
	s_mov_b64 s[4:5], -1
                                        ; implicit-def: $sgpr10
	s_and_saveexec_b64 s[8:9], s[12:13]
; %bb.3942:
	s_mov_b32 s10, 0x7f800001
	s_xor_b64 s[4:5], exec, -1
; %bb.3943:
	s_or_b64 exec, exec, s[8:9]
	s_and_b64 s[4:5], s[4:5], exec
	s_or_saveexec_b64 s[6:7], s[6:7]
	v_mov_b32_e32 v9, s10
	s_xor_b64 exec, exec, s[6:7]
	s_cbranch_execz .LBB53_1894
.LBB53_3944:
	v_mov_b32_e32 v9, 0
	v_cmp_ne_u16_sdwa s[8:9], v11, v9 src0_sel:BYTE_0 src1_sel:DWORD
	s_andn2_b64 s[4:5], s[4:5], exec
	s_and_b64 s[8:9], s[8:9], exec
	s_or_b64 s[4:5], s[4:5], s[8:9]
	s_or_b64 exec, exec, s[6:7]
	s_and_saveexec_b64 s[6:7], s[4:5]
	s_cbranch_execnz .LBB53_1895
	s_branch .LBB53_1896
.LBB53_3945:
	s_movk_i32 s4, 0x80
	v_cmp_eq_u16_sdwa s[12:13], v9, s4 src0_sel:BYTE_0 src1_sel:DWORD
	s_mov_b64 s[4:5], -1
                                        ; implicit-def: $sgpr10
	s_and_saveexec_b64 s[8:9], s[12:13]
; %bb.3946:
	s_mov_b32 s10, 0x7f800001
	s_xor_b64 s[4:5], exec, -1
; %bb.3947:
	s_or_b64 exec, exec, s[8:9]
	s_and_b64 s[4:5], s[4:5], exec
	s_or_saveexec_b64 s[6:7], s[6:7]
	v_mov_b32_e32 v8, s10
	s_xor_b64 exec, exec, s[6:7]
	s_cbranch_execz .LBB53_1898
.LBB53_3948:
	v_mov_b32_e32 v8, 0
	v_cmp_ne_u16_sdwa s[8:9], v9, v8 src0_sel:BYTE_0 src1_sel:DWORD
	s_andn2_b64 s[4:5], s[4:5], exec
	s_and_b64 s[8:9], s[8:9], exec
	s_or_b64 s[4:5], s[4:5], s[8:9]
	s_or_b64 exec, exec, s[6:7]
	s_and_saveexec_b64 s[6:7], s[4:5]
	s_cbranch_execnz .LBB53_1899
	s_branch .LBB53_1900
.LBB53_3949:
	s_movk_i32 s4, 0x80
	v_cmp_eq_u16_sdwa s[12:13], v9, s4 src0_sel:BYTE_0 src1_sel:DWORD
	s_mov_b64 s[4:5], -1
                                        ; implicit-def: $sgpr10
	s_and_saveexec_b64 s[8:9], s[12:13]
; %bb.3950:
	s_mov_b32 s10, 0x7f800001
	s_xor_b64 s[4:5], exec, -1
; %bb.3951:
	s_or_b64 exec, exec, s[8:9]
	s_and_b64 s[4:5], s[4:5], exec
	s_or_saveexec_b64 s[6:7], s[6:7]
	v_mov_b32_e32 v10, s10
	s_xor_b64 exec, exec, s[6:7]
	s_cbranch_execz .LBB53_1902
.LBB53_3952:
	v_mov_b32_e32 v10, 0
	v_cmp_ne_u16_sdwa s[8:9], v9, v10 src0_sel:BYTE_0 src1_sel:DWORD
	s_andn2_b64 s[4:5], s[4:5], exec
	s_and_b64 s[8:9], s[8:9], exec
	s_or_b64 s[4:5], s[4:5], s[8:9]
	s_or_b64 exec, exec, s[6:7]
	s_and_saveexec_b64 s[6:7], s[4:5]
	s_cbranch_execnz .LBB53_1903
	s_branch .LBB53_1904
.LBB53_3953:
	s_movk_i32 s4, 0x80
	v_cmp_eq_u16_e32 vcc, s4, v9
	s_mov_b64 s[4:5], -1
                                        ; implicit-def: $sgpr10
	s_and_saveexec_b64 s[8:9], vcc
; %bb.3954:
	s_mov_b32 s10, 0x7f800001
	s_xor_b64 s[4:5], exec, -1
; %bb.3955:
	s_or_b64 exec, exec, s[8:9]
	s_and_b64 s[4:5], s[4:5], exec
                                        ; implicit-def: $vgpr9
	s_or_saveexec_b64 s[6:7], s[6:7]
	v_mov_b32_e32 v8, s10
	s_xor_b64 exec, exec, s[6:7]
	s_cbranch_execz .LBB53_1906
.LBB53_3956:
	v_cmp_ne_u16_e32 vcc, 0, v9
	s_andn2_b64 s[4:5], s[4:5], exec
	s_and_b64 s[8:9], vcc, exec
	v_mov_b32_e32 v8, 0
	s_or_b64 s[4:5], s[4:5], s[8:9]
	s_or_b64 exec, exec, s[6:7]
	s_and_saveexec_b64 s[6:7], s[4:5]
	s_cbranch_execnz .LBB53_1907
	s_branch .LBB53_1908
.LBB53_3957:
	s_movk_i32 s4, 0x80
	v_cmp_eq_u16_e32 vcc, s4, v9
	s_mov_b64 s[4:5], -1
                                        ; implicit-def: $sgpr10
	s_and_saveexec_b64 s[8:9], vcc
; %bb.3958:
	s_mov_b32 s10, 0x7f800001
	s_xor_b64 s[4:5], exec, -1
; %bb.3959:
	s_or_b64 exec, exec, s[8:9]
	s_and_b64 s[4:5], s[4:5], exec
                                        ; implicit-def: $vgpr9
	s_or_saveexec_b64 s[6:7], s[6:7]
	v_mov_b32_e32 v10, s10
	s_xor_b64 exec, exec, s[6:7]
	s_cbranch_execz .LBB53_1910
.LBB53_3960:
	v_cmp_ne_u16_e32 vcc, 0, v9
	s_andn2_b64 s[4:5], s[4:5], exec
	s_and_b64 s[8:9], vcc, exec
	v_mov_b32_e32 v10, 0
	s_or_b64 s[4:5], s[4:5], s[8:9]
	s_or_b64 exec, exec, s[6:7]
	s_and_saveexec_b64 s[6:7], s[4:5]
	s_cbranch_execnz .LBB53_1911
	s_branch .LBB53_1912
.LBB53_3961:
	s_movk_i32 s4, 0x80
	v_cmp_eq_u16_sdwa s[12:13], v15, s4 src0_sel:BYTE_3 src1_sel:DWORD
	s_mov_b64 s[4:5], -1
                                        ; implicit-def: $sgpr10
	s_and_saveexec_b64 s[8:9], s[12:13]
; %bb.3962:
	s_mov_b32 s10, 0x7f800001
	s_xor_b64 s[4:5], exec, -1
; %bb.3963:
	s_or_b64 exec, exec, s[8:9]
	s_and_b64 s[4:5], s[4:5], exec
	s_or_saveexec_b64 s[6:7], s[6:7]
	v_mov_b32_e32 v8, s10
	s_xor_b64 exec, exec, s[6:7]
	s_cbranch_execz .LBB53_1914
.LBB53_3964:
	v_mov_b32_e32 v8, 0
	v_cmp_ne_u16_sdwa s[8:9], v15, v8 src0_sel:BYTE_3 src1_sel:DWORD
	s_andn2_b64 s[4:5], s[4:5], exec
	s_and_b64 s[8:9], s[8:9], exec
	s_or_b64 s[4:5], s[4:5], s[8:9]
	s_or_b64 exec, exec, s[6:7]
	s_and_saveexec_b64 s[6:7], s[4:5]
	s_cbranch_execnz .LBB53_1915
	s_branch .LBB53_1916
.LBB53_3965:
	s_movk_i32 s4, 0x80
	v_cmp_eq_u16_sdwa s[12:13], v11, s4 src0_sel:BYTE_3 src1_sel:DWORD
	s_mov_b64 s[4:5], -1
                                        ; implicit-def: $sgpr10
	s_and_saveexec_b64 s[8:9], s[12:13]
; %bb.3966:
	s_mov_b32 s10, 0x7f800001
	s_xor_b64 s[4:5], exec, -1
; %bb.3967:
	s_or_b64 exec, exec, s[8:9]
	s_and_b64 s[4:5], s[4:5], exec
	s_or_saveexec_b64 s[6:7], s[6:7]
	v_mov_b32_e32 v9, s10
	s_xor_b64 exec, exec, s[6:7]
	s_cbranch_execz .LBB53_1918
.LBB53_3968:
	v_mov_b32_e32 v9, 0
	v_cmp_ne_u16_sdwa s[8:9], v11, v9 src0_sel:BYTE_3 src1_sel:DWORD
	s_andn2_b64 s[4:5], s[4:5], exec
	s_and_b64 s[8:9], s[8:9], exec
	s_or_b64 s[4:5], s[4:5], s[8:9]
	s_or_b64 exec, exec, s[6:7]
	s_and_saveexec_b64 s[6:7], s[4:5]
	s_cbranch_execnz .LBB53_1919
	s_branch .LBB53_1920
.LBB53_3969:
	s_movk_i32 s4, 0x80
	v_cmp_eq_u16_sdwa s[12:13], v4, s4 src0_sel:BYTE_0 src1_sel:DWORD
	s_mov_b64 s[4:5], -1
                                        ; implicit-def: $sgpr10
	s_and_saveexec_b64 s[8:9], s[12:13]
; %bb.3970:
	s_mov_b32 s10, 0x7f800001
	s_xor_b64 s[4:5], exec, -1
; %bb.3971:
	s_or_b64 exec, exec, s[8:9]
	s_and_b64 s[4:5], s[4:5], exec
	s_or_saveexec_b64 s[6:7], s[6:7]
	v_mov_b32_e32 v8, s10
	s_xor_b64 exec, exec, s[6:7]
	s_cbranch_execz .LBB53_1922
.LBB53_3972:
	v_mov_b32_e32 v8, 0
	v_cmp_ne_u16_sdwa s[8:9], v4, v8 src0_sel:BYTE_0 src1_sel:DWORD
	s_andn2_b64 s[4:5], s[4:5], exec
	s_and_b64 s[8:9], s[8:9], exec
	s_or_b64 s[4:5], s[4:5], s[8:9]
	s_or_b64 exec, exec, s[6:7]
	s_and_saveexec_b64 s[6:7], s[4:5]
	s_cbranch_execnz .LBB53_1923
	s_branch .LBB53_1924
.LBB53_3973:
	s_movk_i32 s4, 0x80
	v_cmp_eq_u16_sdwa s[12:13], v0, s4 src0_sel:BYTE_0 src1_sel:DWORD
	s_mov_b64 s[4:5], -1
                                        ; implicit-def: $sgpr10
	s_and_saveexec_b64 s[8:9], s[12:13]
; %bb.3974:
	s_mov_b32 s10, 0x7f800001
	s_xor_b64 s[4:5], exec, -1
; %bb.3975:
	s_or_b64 exec, exec, s[8:9]
	s_and_b64 s[4:5], s[4:5], exec
	s_or_saveexec_b64 s[6:7], s[6:7]
	v_mov_b32_e32 v9, s10
	s_xor_b64 exec, exec, s[6:7]
	s_cbranch_execz .LBB53_1926
.LBB53_3976:
	v_mov_b32_e32 v9, 0
	v_cmp_ne_u16_sdwa s[8:9], v0, v9 src0_sel:BYTE_0 src1_sel:DWORD
	s_andn2_b64 s[4:5], s[4:5], exec
	s_and_b64 s[8:9], s[8:9], exec
	s_or_b64 s[4:5], s[4:5], s[8:9]
	s_or_b64 exec, exec, s[6:7]
	s_and_saveexec_b64 s[6:7], s[4:5]
	s_cbranch_execnz .LBB53_1927
	s_branch .LBB53_1928
.LBB53_3977:
	s_movk_i32 s4, 0x80
	v_cmp_eq_u16_sdwa s[12:13], v9, s4 src0_sel:BYTE_0 src1_sel:DWORD
	s_mov_b64 s[4:5], -1
                                        ; implicit-def: $sgpr10
	s_and_saveexec_b64 s[8:9], s[12:13]
; %bb.3978:
	s_mov_b32 s10, 0x7f800001
	s_xor_b64 s[4:5], exec, -1
; %bb.3979:
	s_or_b64 exec, exec, s[8:9]
	s_and_b64 s[4:5], s[4:5], exec
	s_or_saveexec_b64 s[6:7], s[6:7]
	v_mov_b32_e32 v8, s10
	s_xor_b64 exec, exec, s[6:7]
	s_cbranch_execz .LBB53_1930
.LBB53_3980:
	v_mov_b32_e32 v8, 0
	v_cmp_ne_u16_sdwa s[8:9], v9, v8 src0_sel:BYTE_0 src1_sel:DWORD
	s_andn2_b64 s[4:5], s[4:5], exec
	s_and_b64 s[8:9], s[8:9], exec
	s_or_b64 s[4:5], s[4:5], s[8:9]
	s_or_b64 exec, exec, s[6:7]
	s_and_saveexec_b64 s[6:7], s[4:5]
	s_cbranch_execnz .LBB53_1931
	s_branch .LBB53_1932
.LBB53_3981:
	s_movk_i32 s4, 0x80
	v_cmp_eq_u16_sdwa s[12:13], v9, s4 src0_sel:BYTE_0 src1_sel:DWORD
	s_mov_b64 s[4:5], -1
                                        ; implicit-def: $sgpr10
	s_and_saveexec_b64 s[8:9], s[12:13]
; %bb.3982:
	s_mov_b32 s10, 0x7f800001
	s_xor_b64 s[4:5], exec, -1
; %bb.3983:
	s_or_b64 exec, exec, s[8:9]
	s_and_b64 s[4:5], s[4:5], exec
	s_or_saveexec_b64 s[6:7], s[6:7]
	v_mov_b32_e32 v10, s10
	s_xor_b64 exec, exec, s[6:7]
	s_cbranch_execz .LBB53_1934
.LBB53_3984:
	v_mov_b32_e32 v10, 0
	v_cmp_ne_u16_sdwa s[8:9], v9, v10 src0_sel:BYTE_0 src1_sel:DWORD
	s_andn2_b64 s[4:5], s[4:5], exec
	s_and_b64 s[8:9], s[8:9], exec
	s_or_b64 s[4:5], s[4:5], s[8:9]
	s_or_b64 exec, exec, s[6:7]
	s_and_saveexec_b64 s[6:7], s[4:5]
	s_cbranch_execnz .LBB53_1935
	s_branch .LBB53_1936
.LBB53_3985:
	s_movk_i32 s4, 0x80
	v_cmp_eq_u16_e32 vcc, s4, v9
	s_mov_b64 s[4:5], -1
                                        ; implicit-def: $sgpr10
	s_and_saveexec_b64 s[8:9], vcc
; %bb.3986:
	s_mov_b32 s10, 0x7f800001
	s_xor_b64 s[4:5], exec, -1
; %bb.3987:
	s_or_b64 exec, exec, s[8:9]
	s_and_b64 s[4:5], s[4:5], exec
                                        ; implicit-def: $vgpr9
	s_or_saveexec_b64 s[6:7], s[6:7]
	v_mov_b32_e32 v8, s10
	s_xor_b64 exec, exec, s[6:7]
	s_cbranch_execz .LBB53_1938
.LBB53_3988:
	v_cmp_ne_u16_e32 vcc, 0, v9
	s_andn2_b64 s[4:5], s[4:5], exec
	s_and_b64 s[8:9], vcc, exec
	v_mov_b32_e32 v8, 0
	s_or_b64 s[4:5], s[4:5], s[8:9]
	s_or_b64 exec, exec, s[6:7]
	s_and_saveexec_b64 s[6:7], s[4:5]
	s_cbranch_execnz .LBB53_1939
	s_branch .LBB53_1940
.LBB53_3989:
	s_movk_i32 s4, 0x80
	v_cmp_eq_u16_e32 vcc, s4, v9
	s_mov_b64 s[4:5], -1
                                        ; implicit-def: $sgpr10
	s_and_saveexec_b64 s[8:9], vcc
; %bb.3990:
	s_mov_b32 s10, 0x7f800001
	s_xor_b64 s[4:5], exec, -1
; %bb.3991:
	s_or_b64 exec, exec, s[8:9]
	s_and_b64 s[4:5], s[4:5], exec
                                        ; implicit-def: $vgpr9
	s_or_saveexec_b64 s[6:7], s[6:7]
	v_mov_b32_e32 v10, s10
	s_xor_b64 exec, exec, s[6:7]
	s_cbranch_execz .LBB53_1942
.LBB53_3992:
	v_cmp_ne_u16_e32 vcc, 0, v9
	s_andn2_b64 s[4:5], s[4:5], exec
	s_and_b64 s[8:9], vcc, exec
	v_mov_b32_e32 v10, 0
	s_or_b64 s[4:5], s[4:5], s[8:9]
	s_or_b64 exec, exec, s[6:7]
	s_and_saveexec_b64 s[6:7], s[4:5]
	s_cbranch_execnz .LBB53_1943
	s_branch .LBB53_1944
.LBB53_3993:
	s_movk_i32 s4, 0x80
	v_cmp_eq_u16_sdwa s[12:13], v4, s4 src0_sel:BYTE_3 src1_sel:DWORD
	s_mov_b64 s[4:5], -1
                                        ; implicit-def: $sgpr10
	s_and_saveexec_b64 s[8:9], s[12:13]
; %bb.3994:
	s_mov_b32 s10, 0x7f800001
	s_xor_b64 s[4:5], exec, -1
; %bb.3995:
	s_or_b64 exec, exec, s[8:9]
	s_and_b64 s[4:5], s[4:5], exec
	s_or_saveexec_b64 s[6:7], s[6:7]
	v_mov_b32_e32 v8, s10
	s_xor_b64 exec, exec, s[6:7]
	s_cbranch_execz .LBB53_1946
.LBB53_3996:
	v_mov_b32_e32 v8, 0
	v_cmp_ne_u16_sdwa s[8:9], v4, v8 src0_sel:BYTE_3 src1_sel:DWORD
	s_andn2_b64 s[4:5], s[4:5], exec
	s_and_b64 s[8:9], s[8:9], exec
	s_or_b64 s[4:5], s[4:5], s[8:9]
	s_or_b64 exec, exec, s[6:7]
	s_and_saveexec_b64 s[6:7], s[4:5]
	s_cbranch_execnz .LBB53_1947
	s_branch .LBB53_1948
.LBB53_3997:
	s_movk_i32 s4, 0x80
	v_cmp_eq_u16_sdwa s[12:13], v0, s4 src0_sel:BYTE_3 src1_sel:DWORD
	s_mov_b64 s[4:5], -1
                                        ; implicit-def: $sgpr10
	s_and_saveexec_b64 s[8:9], s[12:13]
; %bb.3998:
	s_mov_b32 s10, 0x7f800001
	s_xor_b64 s[4:5], exec, -1
; %bb.3999:
	s_or_b64 exec, exec, s[8:9]
	s_and_b64 s[4:5], s[4:5], exec
	s_or_saveexec_b64 s[6:7], s[6:7]
	v_mov_b32_e32 v4, s10
	s_xor_b64 exec, exec, s[6:7]
	s_cbranch_execz .LBB53_1950
.LBB53_4000:
	v_mov_b32_e32 v4, 0
	v_cmp_ne_u16_sdwa s[8:9], v0, v4 src0_sel:BYTE_3 src1_sel:DWORD
	s_andn2_b64 s[4:5], s[4:5], exec
	s_and_b64 s[8:9], s[8:9], exec
	s_or_b64 s[4:5], s[4:5], s[8:9]
	s_or_b64 exec, exec, s[6:7]
	s_and_saveexec_b64 s[6:7], s[4:5]
	s_cbranch_execnz .LBB53_1951
	s_branch .LBB53_1952
.LBB53_4001:
	s_movk_i32 s4, 0x80
	v_cmp_eq_u16_sdwa s[12:13], v5, s4 src0_sel:BYTE_0 src1_sel:DWORD
	s_mov_b64 s[4:5], -1
                                        ; implicit-def: $sgpr10
	s_and_saveexec_b64 s[8:9], s[12:13]
; %bb.4002:
	s_mov_b32 s10, 0x7f800001
	s_xor_b64 s[4:5], exec, -1
; %bb.4003:
	s_or_b64 exec, exec, s[8:9]
	s_and_b64 s[4:5], s[4:5], exec
	s_or_saveexec_b64 s[6:7], s[6:7]
	v_mov_b32_e32 v0, s10
	s_xor_b64 exec, exec, s[6:7]
	s_cbranch_execz .LBB53_1954
.LBB53_4004:
	v_mov_b32_e32 v0, 0
	v_cmp_ne_u16_sdwa s[8:9], v5, v0 src0_sel:BYTE_0 src1_sel:DWORD
	s_andn2_b64 s[4:5], s[4:5], exec
	s_and_b64 s[8:9], s[8:9], exec
	s_or_b64 s[4:5], s[4:5], s[8:9]
	s_or_b64 exec, exec, s[6:7]
	s_and_saveexec_b64 s[6:7], s[4:5]
	s_cbranch_execnz .LBB53_1955
	s_branch .LBB53_1956
.LBB53_4005:
	s_movk_i32 s4, 0x80
	v_cmp_eq_u16_sdwa s[12:13], v1, s4 src0_sel:BYTE_0 src1_sel:DWORD
	s_mov_b64 s[4:5], -1
                                        ; implicit-def: $sgpr10
	s_and_saveexec_b64 s[8:9], s[12:13]
; %bb.4006:
	s_mov_b32 s10, 0x7f800001
	s_xor_b64 s[4:5], exec, -1
; %bb.4007:
	s_or_b64 exec, exec, s[8:9]
	s_and_b64 s[4:5], s[4:5], exec
	s_or_saveexec_b64 s[6:7], s[6:7]
	v_mov_b32_e32 v4, s10
	s_xor_b64 exec, exec, s[6:7]
	s_cbranch_execz .LBB53_1958
.LBB53_4008:
	v_mov_b32_e32 v4, 0
	v_cmp_ne_u16_sdwa s[8:9], v1, v4 src0_sel:BYTE_0 src1_sel:DWORD
	s_andn2_b64 s[4:5], s[4:5], exec
	s_and_b64 s[8:9], s[8:9], exec
	s_or_b64 s[4:5], s[4:5], s[8:9]
	s_or_b64 exec, exec, s[6:7]
	s_and_saveexec_b64 s[6:7], s[4:5]
	s_cbranch_execnz .LBB53_1959
	s_branch .LBB53_1960
.LBB53_4009:
	s_movk_i32 s4, 0x80
	v_cmp_eq_u16_sdwa s[12:13], v4, s4 src0_sel:BYTE_0 src1_sel:DWORD
	s_mov_b64 s[4:5], -1
                                        ; implicit-def: $sgpr10
	s_and_saveexec_b64 s[8:9], s[12:13]
; %bb.4010:
	s_mov_b32 s10, 0x7f800001
	s_xor_b64 s[4:5], exec, -1
; %bb.4011:
	s_or_b64 exec, exec, s[8:9]
	s_and_b64 s[4:5], s[4:5], exec
	s_or_saveexec_b64 s[6:7], s[6:7]
	v_mov_b32_e32 v0, s10
	s_xor_b64 exec, exec, s[6:7]
	s_cbranch_execz .LBB53_1962
.LBB53_4012:
	v_mov_b32_e32 v0, 0
	v_cmp_ne_u16_sdwa s[8:9], v4, v0 src0_sel:BYTE_0 src1_sel:DWORD
	s_andn2_b64 s[4:5], s[4:5], exec
	s_and_b64 s[8:9], s[8:9], exec
	s_or_b64 s[4:5], s[4:5], s[8:9]
	s_or_b64 exec, exec, s[6:7]
	s_and_saveexec_b64 s[6:7], s[4:5]
	s_cbranch_execnz .LBB53_1963
	s_branch .LBB53_1964
.LBB53_4013:
	s_movk_i32 s4, 0x80
	v_cmp_eq_u16_sdwa s[12:13], v4, s4 src0_sel:BYTE_0 src1_sel:DWORD
	s_mov_b64 s[4:5], -1
                                        ; implicit-def: $sgpr10
	s_and_saveexec_b64 s[8:9], s[12:13]
; %bb.4014:
	s_mov_b32 s10, 0x7f800001
	s_xor_b64 s[4:5], exec, -1
; %bb.4015:
	s_or_b64 exec, exec, s[8:9]
	s_and_b64 s[4:5], s[4:5], exec
	s_or_saveexec_b64 s[6:7], s[6:7]
	v_mov_b32_e32 v8, s10
	s_xor_b64 exec, exec, s[6:7]
	s_cbranch_execz .LBB53_1966
.LBB53_4016:
	v_mov_b32_e32 v8, 0
	v_cmp_ne_u16_sdwa s[8:9], v4, v8 src0_sel:BYTE_0 src1_sel:DWORD
	s_andn2_b64 s[4:5], s[4:5], exec
	s_and_b64 s[8:9], s[8:9], exec
	s_or_b64 s[4:5], s[4:5], s[8:9]
	s_or_b64 exec, exec, s[6:7]
	s_and_saveexec_b64 s[6:7], s[4:5]
	s_cbranch_execnz .LBB53_1967
	s_branch .LBB53_1968
.LBB53_4017:
	s_movk_i32 s4, 0x80
	v_cmp_eq_u16_e32 vcc, s4, v4
	s_mov_b64 s[4:5], -1
                                        ; implicit-def: $sgpr10
	s_and_saveexec_b64 s[8:9], vcc
; %bb.4018:
	s_mov_b32 s10, 0x7f800001
	s_xor_b64 s[4:5], exec, -1
; %bb.4019:
	s_or_b64 exec, exec, s[8:9]
	s_and_b64 s[4:5], s[4:5], exec
                                        ; implicit-def: $vgpr4
	s_or_saveexec_b64 s[6:7], s[6:7]
	v_mov_b32_e32 v0, s10
	s_xor_b64 exec, exec, s[6:7]
	s_cbranch_execz .LBB53_1970
.LBB53_4020:
	v_cmp_ne_u16_e32 vcc, 0, v4
	s_andn2_b64 s[4:5], s[4:5], exec
	s_and_b64 s[8:9], vcc, exec
	v_mov_b32_e32 v0, 0
	s_or_b64 s[4:5], s[4:5], s[8:9]
	s_or_b64 exec, exec, s[6:7]
	s_and_saveexec_b64 s[6:7], s[4:5]
	s_cbranch_execnz .LBB53_1971
	s_branch .LBB53_1972
.LBB53_4021:
	s_movk_i32 s4, 0x80
	v_cmp_eq_u16_e32 vcc, s4, v4
	s_mov_b64 s[4:5], -1
                                        ; implicit-def: $sgpr10
	s_and_saveexec_b64 s[8:9], vcc
; %bb.4022:
	s_mov_b32 s10, 0x7f800001
	s_xor_b64 s[4:5], exec, -1
; %bb.4023:
	s_or_b64 exec, exec, s[8:9]
	s_and_b64 s[4:5], s[4:5], exec
                                        ; implicit-def: $vgpr4
	s_or_saveexec_b64 s[6:7], s[6:7]
	v_mov_b32_e32 v8, s10
	s_xor_b64 exec, exec, s[6:7]
	s_cbranch_execz .LBB53_1974
.LBB53_4024:
	v_cmp_ne_u16_e32 vcc, 0, v4
	s_andn2_b64 s[4:5], s[4:5], exec
	s_and_b64 s[8:9], vcc, exec
	v_mov_b32_e32 v8, 0
	s_or_b64 s[4:5], s[4:5], s[8:9]
	s_or_b64 exec, exec, s[6:7]
	s_and_saveexec_b64 s[6:7], s[4:5]
	s_cbranch_execnz .LBB53_1975
	s_branch .LBB53_1976
.LBB53_4025:
	s_movk_i32 s4, 0x80
	v_cmp_eq_u16_sdwa s[12:13], v5, s4 src0_sel:BYTE_3 src1_sel:DWORD
	s_mov_b64 s[4:5], -1
                                        ; implicit-def: $sgpr10
	s_and_saveexec_b64 s[8:9], s[12:13]
; %bb.4026:
	s_mov_b32 s10, 0x7f800001
	s_xor_b64 s[4:5], exec, -1
; %bb.4027:
	s_or_b64 exec, exec, s[8:9]
	s_and_b64 s[4:5], s[4:5], exec
	s_or_saveexec_b64 s[6:7], s[6:7]
	v_mov_b32_e32 v0, s10
	s_xor_b64 exec, exec, s[6:7]
	s_cbranch_execz .LBB53_1978
.LBB53_4028:
	v_mov_b32_e32 v0, 0
	v_cmp_ne_u16_sdwa s[8:9], v5, v0 src0_sel:BYTE_3 src1_sel:DWORD
	s_andn2_b64 s[4:5], s[4:5], exec
	s_and_b64 s[8:9], s[8:9], exec
	s_or_b64 s[4:5], s[4:5], s[8:9]
	s_or_b64 exec, exec, s[6:7]
	s_and_saveexec_b64 s[6:7], s[4:5]
	s_cbranch_execnz .LBB53_1979
	s_branch .LBB53_1980
.LBB53_4029:
	s_movk_i32 s4, 0x80
	v_cmp_eq_u16_sdwa s[12:13], v1, s4 src0_sel:BYTE_3 src1_sel:DWORD
	s_mov_b64 s[4:5], -1
                                        ; implicit-def: $sgpr10
	s_and_saveexec_b64 s[8:9], s[12:13]
; %bb.4030:
	s_mov_b32 s10, 0x7f800001
	s_xor_b64 s[4:5], exec, -1
; %bb.4031:
	s_or_b64 exec, exec, s[8:9]
	s_and_b64 s[4:5], s[4:5], exec
	s_or_saveexec_b64 s[6:7], s[6:7]
	v_mov_b32_e32 v4, s10
	s_xor_b64 exec, exec, s[6:7]
	s_cbranch_execz .LBB53_1982
.LBB53_4032:
	v_mov_b32_e32 v4, 0
	v_cmp_ne_u16_sdwa s[8:9], v1, v4 src0_sel:BYTE_3 src1_sel:DWORD
	s_andn2_b64 s[4:5], s[4:5], exec
	s_and_b64 s[8:9], s[8:9], exec
	s_or_b64 s[4:5], s[4:5], s[8:9]
	s_or_b64 exec, exec, s[6:7]
	s_and_saveexec_b64 s[6:7], s[4:5]
	s_cbranch_execnz .LBB53_1983
	s_branch .LBB53_1984
.LBB53_4033:
	s_movk_i32 s4, 0x80
	v_cmp_eq_u16_sdwa s[12:13], v6, s4 src0_sel:BYTE_0 src1_sel:DWORD
	s_mov_b64 s[4:5], -1
                                        ; implicit-def: $sgpr10
	s_and_saveexec_b64 s[8:9], s[12:13]
; %bb.4034:
	s_mov_b32 s10, 0x7f800001
	s_xor_b64 s[4:5], exec, -1
; %bb.4035:
	s_or_b64 exec, exec, s[8:9]
	s_and_b64 s[4:5], s[4:5], exec
	s_or_saveexec_b64 s[6:7], s[6:7]
	v_mov_b32_e32 v0, s10
	s_xor_b64 exec, exec, s[6:7]
	s_cbranch_execz .LBB53_1986
.LBB53_4036:
	v_mov_b32_e32 v0, 0
	v_cmp_ne_u16_sdwa s[8:9], v6, v0 src0_sel:BYTE_0 src1_sel:DWORD
	s_andn2_b64 s[4:5], s[4:5], exec
	s_and_b64 s[8:9], s[8:9], exec
	s_or_b64 s[4:5], s[4:5], s[8:9]
	s_or_b64 exec, exec, s[6:7]
	s_and_saveexec_b64 s[6:7], s[4:5]
	s_cbranch_execnz .LBB53_1987
	s_branch .LBB53_1988
.LBB53_4037:
	s_movk_i32 s4, 0x80
	v_cmp_eq_u16_sdwa s[12:13], v2, s4 src0_sel:BYTE_0 src1_sel:DWORD
	s_mov_b64 s[4:5], -1
                                        ; implicit-def: $sgpr10
	s_and_saveexec_b64 s[8:9], s[12:13]
; %bb.4038:
	s_mov_b32 s10, 0x7f800001
	s_xor_b64 s[4:5], exec, -1
; %bb.4039:
	s_or_b64 exec, exec, s[8:9]
	s_and_b64 s[4:5], s[4:5], exec
	s_or_saveexec_b64 s[6:7], s[6:7]
	v_mov_b32_e32 v1, s10
	s_xor_b64 exec, exec, s[6:7]
	s_cbranch_execz .LBB53_1990
.LBB53_4040:
	v_mov_b32_e32 v1, 0
	v_cmp_ne_u16_sdwa s[8:9], v2, v1 src0_sel:BYTE_0 src1_sel:DWORD
	s_andn2_b64 s[4:5], s[4:5], exec
	s_and_b64 s[8:9], s[8:9], exec
	s_or_b64 s[4:5], s[4:5], s[8:9]
	s_or_b64 exec, exec, s[6:7]
	s_and_saveexec_b64 s[6:7], s[4:5]
	s_cbranch_execnz .LBB53_1991
	s_branch .LBB53_1992
.LBB53_4041:
	s_movk_i32 s4, 0x80
	v_cmp_eq_u16_sdwa s[12:13], v1, s4 src0_sel:BYTE_0 src1_sel:DWORD
	s_mov_b64 s[4:5], -1
                                        ; implicit-def: $sgpr10
	s_and_saveexec_b64 s[8:9], s[12:13]
; %bb.4042:
	s_mov_b32 s10, 0x7f800001
	s_xor_b64 s[4:5], exec, -1
; %bb.4043:
	s_or_b64 exec, exec, s[8:9]
	s_and_b64 s[4:5], s[4:5], exec
	s_or_saveexec_b64 s[6:7], s[6:7]
	v_mov_b32_e32 v0, s10
	s_xor_b64 exec, exec, s[6:7]
	s_cbranch_execz .LBB53_1994
.LBB53_4044:
	v_mov_b32_e32 v0, 0
	v_cmp_ne_u16_sdwa s[8:9], v1, v0 src0_sel:BYTE_0 src1_sel:DWORD
	s_andn2_b64 s[4:5], s[4:5], exec
	s_and_b64 s[8:9], s[8:9], exec
	s_or_b64 s[4:5], s[4:5], s[8:9]
	s_or_b64 exec, exec, s[6:7]
	s_and_saveexec_b64 s[6:7], s[4:5]
	s_cbranch_execnz .LBB53_1995
	s_branch .LBB53_1996
.LBB53_4045:
	s_movk_i32 s4, 0x80
	v_cmp_eq_u16_sdwa s[12:13], v1, s4 src0_sel:BYTE_0 src1_sel:DWORD
	s_mov_b64 s[4:5], -1
                                        ; implicit-def: $sgpr10
	s_and_saveexec_b64 s[8:9], s[12:13]
; %bb.4046:
	s_mov_b32 s10, 0x7f800001
	s_xor_b64 s[4:5], exec, -1
; %bb.4047:
	s_or_b64 exec, exec, s[8:9]
	s_and_b64 s[4:5], s[4:5], exec
	s_or_saveexec_b64 s[6:7], s[6:7]
	v_mov_b32_e32 v4, s10
	s_xor_b64 exec, exec, s[6:7]
	s_cbranch_execz .LBB53_1998
.LBB53_4048:
	v_mov_b32_e32 v4, 0
	v_cmp_ne_u16_sdwa s[8:9], v1, v4 src0_sel:BYTE_0 src1_sel:DWORD
	s_andn2_b64 s[4:5], s[4:5], exec
	s_and_b64 s[8:9], s[8:9], exec
	s_or_b64 s[4:5], s[4:5], s[8:9]
	s_or_b64 exec, exec, s[6:7]
	s_and_saveexec_b64 s[6:7], s[4:5]
	s_cbranch_execnz .LBB53_1999
	s_branch .LBB53_2000
.LBB53_4049:
	s_movk_i32 s4, 0x80
	v_cmp_eq_u16_e32 vcc, s4, v1
	s_mov_b64 s[4:5], -1
                                        ; implicit-def: $sgpr10
	s_and_saveexec_b64 s[8:9], vcc
; %bb.4050:
	s_mov_b32 s10, 0x7f800001
	s_xor_b64 s[4:5], exec, -1
; %bb.4051:
	s_or_b64 exec, exec, s[8:9]
	s_and_b64 s[4:5], s[4:5], exec
                                        ; implicit-def: $vgpr1
	s_or_saveexec_b64 s[6:7], s[6:7]
	v_mov_b32_e32 v0, s10
	s_xor_b64 exec, exec, s[6:7]
	s_cbranch_execz .LBB53_2002
.LBB53_4052:
	v_cmp_ne_u16_e32 vcc, 0, v1
	s_andn2_b64 s[4:5], s[4:5], exec
	s_and_b64 s[8:9], vcc, exec
	v_mov_b32_e32 v0, 0
	s_or_b64 s[4:5], s[4:5], s[8:9]
	s_or_b64 exec, exec, s[6:7]
	s_and_saveexec_b64 s[6:7], s[4:5]
	s_cbranch_execnz .LBB53_2003
	s_branch .LBB53_2004
.LBB53_4053:
	s_movk_i32 s4, 0x80
	v_cmp_eq_u16_e32 vcc, s4, v1
	s_mov_b64 s[4:5], -1
                                        ; implicit-def: $sgpr10
	s_and_saveexec_b64 s[8:9], vcc
; %bb.4054:
	s_mov_b32 s10, 0x7f800001
	s_xor_b64 s[4:5], exec, -1
; %bb.4055:
	s_or_b64 exec, exec, s[8:9]
	s_and_b64 s[4:5], s[4:5], exec
                                        ; implicit-def: $vgpr1
	s_or_saveexec_b64 s[6:7], s[6:7]
	v_mov_b32_e32 v4, s10
	s_xor_b64 exec, exec, s[6:7]
	s_cbranch_execz .LBB53_2006
.LBB53_4056:
	v_cmp_ne_u16_e32 vcc, 0, v1
	s_andn2_b64 s[4:5], s[4:5], exec
	s_and_b64 s[8:9], vcc, exec
	v_mov_b32_e32 v4, 0
	s_or_b64 s[4:5], s[4:5], s[8:9]
	s_or_b64 exec, exec, s[6:7]
	s_and_saveexec_b64 s[6:7], s[4:5]
	s_cbranch_execnz .LBB53_2007
	s_branch .LBB53_2008
.LBB53_4057:
	s_movk_i32 s4, 0x80
	v_cmp_eq_u16_sdwa s[12:13], v6, s4 src0_sel:BYTE_3 src1_sel:DWORD
	s_mov_b64 s[4:5], -1
                                        ; implicit-def: $sgpr10
	s_and_saveexec_b64 s[8:9], s[12:13]
; %bb.4058:
	s_mov_b32 s10, 0x7f800001
	s_xor_b64 s[4:5], exec, -1
; %bb.4059:
	s_or_b64 exec, exec, s[8:9]
	s_and_b64 s[4:5], s[4:5], exec
	s_or_saveexec_b64 s[6:7], s[6:7]
	v_mov_b32_e32 v0, s10
	s_xor_b64 exec, exec, s[6:7]
	s_cbranch_execz .LBB53_2010
.LBB53_4060:
	v_mov_b32_e32 v0, 0
	v_cmp_ne_u16_sdwa s[8:9], v6, v0 src0_sel:BYTE_3 src1_sel:DWORD
	s_andn2_b64 s[4:5], s[4:5], exec
	s_and_b64 s[8:9], s[8:9], exec
	s_or_b64 s[4:5], s[4:5], s[8:9]
	s_or_b64 exec, exec, s[6:7]
	s_and_saveexec_b64 s[6:7], s[4:5]
	s_cbranch_execnz .LBB53_2011
	s_branch .LBB53_2012
.LBB53_4061:
	s_movk_i32 s4, 0x80
	v_cmp_eq_u16_sdwa s[12:13], v2, s4 src0_sel:BYTE_3 src1_sel:DWORD
	s_mov_b64 s[4:5], -1
                                        ; implicit-def: $sgpr10
	s_and_saveexec_b64 s[8:9], s[12:13]
; %bb.4062:
	s_mov_b32 s10, 0x7f800001
	s_xor_b64 s[4:5], exec, -1
; %bb.4063:
	s_or_b64 exec, exec, s[8:9]
	s_and_b64 s[4:5], s[4:5], exec
	s_or_saveexec_b64 s[6:7], s[6:7]
	v_mov_b32_e32 v1, s10
	s_xor_b64 exec, exec, s[6:7]
	s_cbranch_execz .LBB53_2014
.LBB53_4064:
	v_mov_b32_e32 v1, 0
	v_cmp_ne_u16_sdwa s[8:9], v2, v1 src0_sel:BYTE_3 src1_sel:DWORD
	s_andn2_b64 s[4:5], s[4:5], exec
	s_and_b64 s[8:9], s[8:9], exec
	s_or_b64 s[4:5], s[4:5], s[8:9]
	s_or_b64 exec, exec, s[6:7]
	s_and_saveexec_b64 s[6:7], s[4:5]
	s_cbranch_execnz .LBB53_2015
	s_branch .LBB53_2016
.LBB53_4065:
	s_movk_i32 s4, 0x80
	v_cmp_eq_u16_sdwa s[12:13], v7, s4 src0_sel:BYTE_0 src1_sel:DWORD
	s_mov_b64 s[4:5], -1
                                        ; implicit-def: $sgpr10
	s_and_saveexec_b64 s[8:9], s[12:13]
; %bb.4066:
	s_mov_b32 s10, 0x7f800001
	s_xor_b64 s[4:5], exec, -1
; %bb.4067:
	s_or_b64 exec, exec, s[8:9]
	s_and_b64 s[4:5], s[4:5], exec
	s_or_saveexec_b64 s[6:7], s[6:7]
	v_mov_b32_e32 v0, s10
	s_xor_b64 exec, exec, s[6:7]
	s_cbranch_execz .LBB53_2018
.LBB53_4068:
	v_mov_b32_e32 v0, 0
	v_cmp_ne_u16_sdwa s[8:9], v7, v0 src0_sel:BYTE_0 src1_sel:DWORD
	s_andn2_b64 s[4:5], s[4:5], exec
	s_and_b64 s[8:9], s[8:9], exec
	s_or_b64 s[4:5], s[4:5], s[8:9]
	s_or_b64 exec, exec, s[6:7]
	s_and_saveexec_b64 s[6:7], s[4:5]
	s_cbranch_execnz .LBB53_2019
	s_branch .LBB53_2020
.LBB53_4069:
	s_movk_i32 s4, 0x80
	v_cmp_eq_u16_sdwa s[12:13], v3, s4 src0_sel:BYTE_0 src1_sel:DWORD
	s_mov_b64 s[4:5], -1
                                        ; implicit-def: $sgpr10
	s_and_saveexec_b64 s[8:9], s[12:13]
; %bb.4070:
	s_mov_b32 s10, 0x7f800001
	s_xor_b64 s[4:5], exec, -1
; %bb.4071:
	s_or_b64 exec, exec, s[8:9]
	s_and_b64 s[4:5], s[4:5], exec
	s_or_saveexec_b64 s[6:7], s[6:7]
	v_mov_b32_e32 v1, s10
	s_xor_b64 exec, exec, s[6:7]
	s_cbranch_execz .LBB53_2022
.LBB53_4072:
	v_mov_b32_e32 v1, 0
	v_cmp_ne_u16_sdwa s[8:9], v3, v1 src0_sel:BYTE_0 src1_sel:DWORD
	s_andn2_b64 s[4:5], s[4:5], exec
	s_and_b64 s[8:9], s[8:9], exec
	s_or_b64 s[4:5], s[4:5], s[8:9]
	s_or_b64 exec, exec, s[6:7]
	s_and_saveexec_b64 s[6:7], s[4:5]
	s_cbranch_execnz .LBB53_2023
	s_branch .LBB53_2024
.LBB53_4073:
	s_movk_i32 s4, 0x80
	v_cmp_eq_u16_sdwa s[12:13], v1, s4 src0_sel:BYTE_0 src1_sel:DWORD
	s_mov_b64 s[4:5], -1
                                        ; implicit-def: $sgpr10
	s_and_saveexec_b64 s[8:9], s[12:13]
; %bb.4074:
	s_mov_b32 s10, 0x7f800001
	s_xor_b64 s[4:5], exec, -1
; %bb.4075:
	s_or_b64 exec, exec, s[8:9]
	s_and_b64 s[4:5], s[4:5], exec
	s_or_saveexec_b64 s[6:7], s[6:7]
	v_mov_b32_e32 v0, s10
	s_xor_b64 exec, exec, s[6:7]
	s_cbranch_execz .LBB53_2026
.LBB53_4076:
	v_mov_b32_e32 v0, 0
	v_cmp_ne_u16_sdwa s[8:9], v1, v0 src0_sel:BYTE_0 src1_sel:DWORD
	s_andn2_b64 s[4:5], s[4:5], exec
	s_and_b64 s[8:9], s[8:9], exec
	s_or_b64 s[4:5], s[4:5], s[8:9]
	s_or_b64 exec, exec, s[6:7]
	s_and_saveexec_b64 s[6:7], s[4:5]
	s_cbranch_execnz .LBB53_2027
	s_branch .LBB53_2028
.LBB53_4077:
	s_movk_i32 s4, 0x80
	v_cmp_eq_u16_sdwa s[12:13], v1, s4 src0_sel:BYTE_0 src1_sel:DWORD
	s_mov_b64 s[4:5], -1
                                        ; implicit-def: $sgpr10
	s_and_saveexec_b64 s[8:9], s[12:13]
; %bb.4078:
	s_mov_b32 s10, 0x7f800001
	s_xor_b64 s[4:5], exec, -1
; %bb.4079:
	s_or_b64 exec, exec, s[8:9]
	s_and_b64 s[4:5], s[4:5], exec
	s_or_saveexec_b64 s[6:7], s[6:7]
	v_mov_b32_e32 v2, s10
	s_xor_b64 exec, exec, s[6:7]
	s_cbranch_execz .LBB53_2030
.LBB53_4080:
	v_mov_b32_e32 v2, 0
	v_cmp_ne_u16_sdwa s[8:9], v1, v2 src0_sel:BYTE_0 src1_sel:DWORD
	s_andn2_b64 s[4:5], s[4:5], exec
	s_and_b64 s[8:9], s[8:9], exec
	s_or_b64 s[4:5], s[4:5], s[8:9]
	s_or_b64 exec, exec, s[6:7]
	s_and_saveexec_b64 s[6:7], s[4:5]
	s_cbranch_execnz .LBB53_2031
	s_branch .LBB53_2032
.LBB53_4081:
	s_movk_i32 s4, 0x80
	v_cmp_eq_u16_e32 vcc, s4, v1
	s_mov_b64 s[4:5], -1
                                        ; implicit-def: $sgpr10
	s_and_saveexec_b64 s[8:9], vcc
; %bb.4082:
	s_mov_b32 s10, 0x7f800001
	s_xor_b64 s[4:5], exec, -1
; %bb.4083:
	s_or_b64 exec, exec, s[8:9]
	s_and_b64 s[4:5], s[4:5], exec
                                        ; implicit-def: $vgpr1
	s_or_saveexec_b64 s[6:7], s[6:7]
	v_mov_b32_e32 v0, s10
	s_xor_b64 exec, exec, s[6:7]
	s_cbranch_execz .LBB53_2034
.LBB53_4084:
	v_cmp_ne_u16_e32 vcc, 0, v1
	s_andn2_b64 s[4:5], s[4:5], exec
	s_and_b64 s[8:9], vcc, exec
	v_mov_b32_e32 v0, 0
	s_or_b64 s[4:5], s[4:5], s[8:9]
	s_or_b64 exec, exec, s[6:7]
	s_and_saveexec_b64 s[6:7], s[4:5]
	s_cbranch_execnz .LBB53_2035
	s_branch .LBB53_2036
.LBB53_4085:
	s_movk_i32 s4, 0x80
	v_cmp_eq_u16_e32 vcc, s4, v1
	s_mov_b64 s[4:5], -1
                                        ; implicit-def: $sgpr10
	s_and_saveexec_b64 s[8:9], vcc
; %bb.4086:
	s_mov_b32 s10, 0x7f800001
	s_xor_b64 s[4:5], exec, -1
; %bb.4087:
	s_or_b64 exec, exec, s[8:9]
	s_and_b64 s[4:5], s[4:5], exec
                                        ; implicit-def: $vgpr1
	s_or_saveexec_b64 s[6:7], s[6:7]
	v_mov_b32_e32 v2, s10
	s_xor_b64 exec, exec, s[6:7]
	s_cbranch_execz .LBB53_2038
.LBB53_4088:
	v_cmp_ne_u16_e32 vcc, 0, v1
	s_andn2_b64 s[4:5], s[4:5], exec
	s_and_b64 s[8:9], vcc, exec
	v_mov_b32_e32 v2, 0
	s_or_b64 s[4:5], s[4:5], s[8:9]
	s_or_b64 exec, exec, s[6:7]
	s_and_saveexec_b64 s[6:7], s[4:5]
	s_cbranch_execnz .LBB53_2039
	s_branch .LBB53_2040
.LBB53_4089:
	s_movk_i32 s4, 0x80
	v_cmp_eq_u16_sdwa s[12:13], v7, s4 src0_sel:BYTE_3 src1_sel:DWORD
	s_mov_b64 s[4:5], -1
                                        ; implicit-def: $sgpr10
	s_and_saveexec_b64 s[8:9], s[12:13]
; %bb.4090:
	s_mov_b32 s10, 0x7f800001
	s_xor_b64 s[4:5], exec, -1
; %bb.4091:
	s_or_b64 exec, exec, s[8:9]
	s_and_b64 s[4:5], s[4:5], exec
	s_or_saveexec_b64 s[6:7], s[6:7]
	v_mov_b32_e32 v0, s10
	s_xor_b64 exec, exec, s[6:7]
	s_cbranch_execz .LBB53_2042
.LBB53_4092:
	v_mov_b32_e32 v0, 0
	v_cmp_ne_u16_sdwa s[8:9], v7, v0 src0_sel:BYTE_3 src1_sel:DWORD
	s_andn2_b64 s[4:5], s[4:5], exec
	s_and_b64 s[8:9], s[8:9], exec
	s_or_b64 s[4:5], s[4:5], s[8:9]
	s_or_b64 exec, exec, s[6:7]
	s_and_saveexec_b64 s[6:7], s[4:5]
	s_cbranch_execnz .LBB53_2043
	s_branch .LBB53_2044
.LBB53_4093:
	s_movk_i32 s4, 0x80
	v_cmp_eq_u16_sdwa s[12:13], v3, s4 src0_sel:BYTE_3 src1_sel:DWORD
	s_mov_b64 s[4:5], -1
                                        ; implicit-def: $sgpr10
	s_and_saveexec_b64 s[8:9], s[12:13]
; %bb.4094:
	s_mov_b32 s10, 0x7f800001
	s_xor_b64 s[4:5], exec, -1
; %bb.4095:
	s_or_b64 exec, exec, s[8:9]
	s_and_b64 s[4:5], s[4:5], exec
	s_or_saveexec_b64 s[6:7], s[6:7]
	v_mov_b32_e32 v1, s10
	s_xor_b64 exec, exec, s[6:7]
	s_cbranch_execz .LBB53_2046
.LBB53_4096:
	v_mov_b32_e32 v1, 0
	v_cmp_ne_u16_sdwa s[8:9], v3, v1 src0_sel:BYTE_3 src1_sel:DWORD
	s_andn2_b64 s[4:5], s[4:5], exec
	s_and_b64 s[8:9], s[8:9], exec
	s_or_b64 s[4:5], s[4:5], s[8:9]
	s_or_b64 exec, exec, s[6:7]
	s_and_saveexec_b64 s[6:7], s[4:5]
	s_cbranch_execnz .LBB53_2047
	s_branch .LBB53_2048
.Lfunc_end53:
	.size	_ZNK2ck6detail7applierIiJLi0ELi1ELi2ELi3ELi4ELi5ELi6ELi7EEEclIZNKS_11static_fordINS_8SequenceIJLi1ELi8EEEENS5_IJLi0ELi1EEEEEclIZZNKS_52BlockwiseGemmXdlops_pipeline_bpreshuffle_bdequant_v3ILNS_26BlockGemmPipelineSchedulerE0ELi256ENS_9f8_fnuz_tENS_7pk_i4_tESC_fNS_16TensorDescriptorINS_5TupleIJNS_5EmbedINSF_IJNS_17integral_constantIiLi8EEENSH_IiLi256EEENSH_IiLi16EEEEEENSF_IJSK_NSH_IiLi128EEENSH_IiLi1EEEEEELb0EEENS_3XorINSF_IJSJ_SI_EEELb1EEENS_11PassThroughISK_EENS_7UnMergeINSF_IJSI_SN_EEELb0EEENST_ISJ_EESU_NST_ISI_EENS_21Merge_v3_division_modINSF_IJSJ_SN_EEEEESU_EEENSF_IJNS5_IJLi0EEEENS5_IJLi2ELi1EEEENS5_IJLi3EEEENS5_IJLi5EEEENS5_IJLi4EEEENS5_IJLi6EEEENS5_IJLi7EEEENS5_IJLi9ELi8EEEENS5_IJLi10EEEEEEENSF_IJNS5_IJLi1ELi2ELi3EEEENS5_IJLi4ELi5EEEES19_NS5_IJLi7ELi8EEEENS5_IJLi9EEEES1C_NS5_IJLi11EEEENS5_IJLi12EEEENS5_IJLi13EEEEEEENS5_IJLi11ELi12ELi13EEEENSH_IlLl32768EEEEENSE_INSF_IJNSV_INSF_IJSI_SN_SN_NSH_IiLi32EEEEEELb0EEEEEENSF_IJS14_EEENSF_IJNS5_IJLi1ELi2ELi3ELi4EEEEEEES1U_NSH_IlLl256EEEEENSE_INSF_IJSP_SS_SU_SX_SY_SU_SZ_S12_SU_NS10_INSF_IJSI_SK_EEEEENSV_INSF_IJSI_NSH_IiLi2EEESK_EEELb0EEEEEENSF_IJS14_S15_S16_S17_S18_S19_S1A_S1B_S1C_NS5_IJLi11ELi13EEEES1J_EEENSF_IJS1E_S1F_S19_S1G_S1H_S1C_S1I_S1J_S1K_NS5_IJLi14EEEENS5_IJLi15ELi16ELi17EEEEEEENS5_IJLi15ELi16ELi17ELi14EEEES1N_EENSE_INSF_IJS1R_NS10_ISW_EES22_EEENSF_IJS14_NS5_IJLi1ELi3EEEENS5_IJLi2EEEEEEENSF_IJS1U_S17_NS5_IJLi6ELi7ELi8EEEEEEENS5_IJLi6ELi7ELi8ELi5EEEES1W_EELi16ELi32ELi256ELi256ELi128ELi16ELi16ELi8ELi8ELi32ELb0EE3RunILb1ELNS_10TailNumberE1ENSE_INSF_IJNSG_INSF_IJiiEEENSF_IJiSN_EEELb0EEENSV_IS2N_Lb0EEENST_IiEEEEENSF_IJS14_S2E_NS5_IJLi1EEEEEEENSF_IJNS5_IJLi1ELi2EEEENS5_IJLi3ELi4EEEES17_EEENS5_IJLi3ELi5ELi4EEEElEES1O_NS_35ThreadGroupTensorSliceTransfer_v4r1INS_15ThisThreadBlockILi256EEENS_16tensor_operation12element_wise11PassThroughES35_LNS_25InMemoryDataOperationEnumE0ENS5_IJLi8ELi256ELi16EEEENS5_IJLi8ELi32ELi1EEEENS5_IJLi1ELi0ELi2EEEESC_SC_RKS2Z_KS1O_S39_NS5_IJLi0ELi1ELi2EEEELi2ELi2ELi16ELi16ELi1ELi1ELb0ELb1ELi2EiEENS_13DynamicBufferILNS_16AddressSpaceEnumE1EKSC_lLb1ELNS_22AmdBufferCoherenceEnumE0EiEENSF_IJNS3F_ILS3G_2ESC_S1N_Lb1ELS3I_0EiEES3K_EEENSF_IJiiiEEENSE_INSF_IJNSG_INSF_IJiiiiEEENSF_IJiiiSN_EEELb0EEEEEES1T_S1V_S1U_lEENS_32ThreadwiseTensorSliceTransfer_v2ISD_SD_RKS3R_KS1X_NS5_IJLi8ELi1ELi1ELi32EEEENS5_IJLi1ELi2ELi0ELi3EEEELi3ELi32ELi0ELb1ELb0ELb0EEENS3F_ILS3G_1EKSD_lLb1ELS3I_0EiEENSF_IJNS_12StaticBufferILS3G_4ESD_Li256ELb1EEES42_EEES3N_NS_25StaticBufferTupleOfVectorILS3G_4EfLi64ELi4ELb1ELb0EEEEEvRKT1_RKT2_RT3_RKT4_RT5_RKT6_RKT7_RT8_RKT9_RT10_RKT11_RT12_iENKUlT_E1_clISN_EEDaS51_EUlS51_E_EEvS51_EUlS51_E_EEvS51_, .Lfunc_end53-_ZNK2ck6detail7applierIiJLi0ELi1ELi2ELi3ELi4ELi5ELi6ELi7EEEclIZNKS_11static_fordINS_8SequenceIJLi1ELi8EEEENS5_IJLi0ELi1EEEEEclIZZNKS_52BlockwiseGemmXdlops_pipeline_bpreshuffle_bdequant_v3ILNS_26BlockGemmPipelineSchedulerE0ELi256ENS_9f8_fnuz_tENS_7pk_i4_tESC_fNS_16TensorDescriptorINS_5TupleIJNS_5EmbedINSF_IJNS_17integral_constantIiLi8EEENSH_IiLi256EEENSH_IiLi16EEEEEENSF_IJSK_NSH_IiLi128EEENSH_IiLi1EEEEEELb0EEENS_3XorINSF_IJSJ_SI_EEELb1EEENS_11PassThroughISK_EENS_7UnMergeINSF_IJSI_SN_EEELb0EEENST_ISJ_EESU_NST_ISI_EENS_21Merge_v3_division_modINSF_IJSJ_SN_EEEEESU_EEENSF_IJNS5_IJLi0EEEENS5_IJLi2ELi1EEEENS5_IJLi3EEEENS5_IJLi5EEEENS5_IJLi4EEEENS5_IJLi6EEEENS5_IJLi7EEEENS5_IJLi9ELi8EEEENS5_IJLi10EEEEEEENSF_IJNS5_IJLi1ELi2ELi3EEEENS5_IJLi4ELi5EEEES19_NS5_IJLi7ELi8EEEENS5_IJLi9EEEES1C_NS5_IJLi11EEEENS5_IJLi12EEEENS5_IJLi13EEEEEEENS5_IJLi11ELi12ELi13EEEENSH_IlLl32768EEEEENSE_INSF_IJNSV_INSF_IJSI_SN_SN_NSH_IiLi32EEEEEELb0EEEEEENSF_IJS14_EEENSF_IJNS5_IJLi1ELi2ELi3ELi4EEEEEEES1U_NSH_IlLl256EEEEENSE_INSF_IJSP_SS_SU_SX_SY_SU_SZ_S12_SU_NS10_INSF_IJSI_SK_EEEEENSV_INSF_IJSI_NSH_IiLi2EEESK_EEELb0EEEEEENSF_IJS14_S15_S16_S17_S18_S19_S1A_S1B_S1C_NS5_IJLi11ELi13EEEES1J_EEENSF_IJS1E_S1F_S19_S1G_S1H_S1C_S1I_S1J_S1K_NS5_IJLi14EEEENS5_IJLi15ELi16ELi17EEEEEEENS5_IJLi15ELi16ELi17ELi14EEEES1N_EENSE_INSF_IJS1R_NS10_ISW_EES22_EEENSF_IJS14_NS5_IJLi1ELi3EEEENS5_IJLi2EEEEEEENSF_IJS1U_S17_NS5_IJLi6ELi7ELi8EEEEEEENS5_IJLi6ELi7ELi8ELi5EEEES1W_EELi16ELi32ELi256ELi256ELi128ELi16ELi16ELi8ELi8ELi32ELb0EE3RunILb1ELNS_10TailNumberE1ENSE_INSF_IJNSG_INSF_IJiiEEENSF_IJiSN_EEELb0EEENSV_IS2N_Lb0EEENST_IiEEEEENSF_IJS14_S2E_NS5_IJLi1EEEEEEENSF_IJNS5_IJLi1ELi2EEEENS5_IJLi3ELi4EEEES17_EEENS5_IJLi3ELi5ELi4EEEElEES1O_NS_35ThreadGroupTensorSliceTransfer_v4r1INS_15ThisThreadBlockILi256EEENS_16tensor_operation12element_wise11PassThroughES35_LNS_25InMemoryDataOperationEnumE0ENS5_IJLi8ELi256ELi16EEEENS5_IJLi8ELi32ELi1EEEENS5_IJLi1ELi0ELi2EEEESC_SC_RKS2Z_KS1O_S39_NS5_IJLi0ELi1ELi2EEEELi2ELi2ELi16ELi16ELi1ELi1ELb0ELb1ELi2EiEENS_13DynamicBufferILNS_16AddressSpaceEnumE1EKSC_lLb1ELNS_22AmdBufferCoherenceEnumE0EiEENSF_IJNS3F_ILS3G_2ESC_S1N_Lb1ELS3I_0EiEES3K_EEENSF_IJiiiEEENSE_INSF_IJNSG_INSF_IJiiiiEEENSF_IJiiiSN_EEELb0EEEEEES1T_S1V_S1U_lEENS_32ThreadwiseTensorSliceTransfer_v2ISD_SD_RKS3R_KS1X_NS5_IJLi8ELi1ELi1ELi32EEEENS5_IJLi1ELi2ELi0ELi3EEEELi3ELi32ELi0ELb1ELb0ELb0EEENS3F_ILS3G_1EKSD_lLb1ELS3I_0EiEENSF_IJNS_12StaticBufferILS3G_4ESD_Li256ELb1EEES42_EEES3N_NS_25StaticBufferTupleOfVectorILS3G_4EfLi64ELi4ELb1ELb0EEEEEvRKT1_RKT2_RT3_RKT4_RT5_RKT6_RKT7_RT8_RKT9_RT10_RKT11_RT12_iENKUlT_E1_clISN_EEDaS51_EUlS51_E_EEvS51_EUlS51_E_EEvS51_
                                        ; -- End function
	.section	.AMDGPU.csdata,"",@progbits
; Function info:
; codeLenInByte = 133608
; NumSgprs: 36
; NumVgprs: 26
; NumAgprs: 4
; TotalNumVgprs: 32
; ScratchSize: 0
; MemoryBound: 1
	.text
	.p2align	2                               ; -- Begin function _ZNK2ck6detail7applierIiJLi0ELi1ELi2ELi3ELi4ELi5ELi6ELi7EEEclIZNKS_11static_fordINS_8SequenceIJLi1ELi8EEEENS5_IJLi0ELi1EEEEEclIZZNKS_52BlockwiseGemmXdlops_pipeline_bpreshuffle_bdequant_v3ILNS_26BlockGemmPipelineSchedulerE0ELi256ENS_9f8_fnuz_tENS_7pk_i4_tESC_fNS_16TensorDescriptorINS_5TupleIJNS_5EmbedINSF_IJNS_17integral_constantIiLi8EEENSH_IiLi256EEENSH_IiLi16EEEEEENSF_IJSK_NSH_IiLi128EEENSH_IiLi1EEEEEELb0EEENS_3XorINSF_IJSJ_SI_EEELb1EEENS_11PassThroughISK_EENS_7UnMergeINSF_IJSI_SN_EEELb0EEENST_ISJ_EESU_NST_ISI_EENS_21Merge_v3_division_modINSF_IJSJ_SN_EEEEESU_EEENSF_IJNS5_IJLi0EEEENS5_IJLi2ELi1EEEENS5_IJLi3EEEENS5_IJLi5EEEENS5_IJLi4EEEENS5_IJLi6EEEENS5_IJLi7EEEENS5_IJLi9ELi8EEEENS5_IJLi10EEEEEEENSF_IJNS5_IJLi1ELi2ELi3EEEENS5_IJLi4ELi5EEEES19_NS5_IJLi7ELi8EEEENS5_IJLi9EEEES1C_NS5_IJLi11EEEENS5_IJLi12EEEENS5_IJLi13EEEEEEENS5_IJLi11ELi12ELi13EEEENSH_IlLl32768EEEEENSE_INSF_IJNSV_INSF_IJSI_SN_SN_NSH_IiLi32EEEEEELb0EEEEEENSF_IJS14_EEENSF_IJNS5_IJLi1ELi2ELi3ELi4EEEEEEES1U_NSH_IlLl256EEEEENSE_INSF_IJSP_SS_SU_SX_SY_SU_SZ_S12_SU_NS10_INSF_IJSI_SK_EEEEENSV_INSF_IJSI_NSH_IiLi2EEESK_EEELb0EEEEEENSF_IJS14_S15_S16_S17_S18_S19_S1A_S1B_S1C_NS5_IJLi11ELi13EEEES1J_EEENSF_IJS1E_S1F_S19_S1G_S1H_S1C_S1I_S1J_S1K_NS5_IJLi14EEEENS5_IJLi15ELi16ELi17EEEEEEENS5_IJLi15ELi16ELi17ELi14EEEES1N_EENSE_INSF_IJS1R_NS10_ISW_EES22_EEENSF_IJS14_NS5_IJLi1ELi3EEEENS5_IJLi2EEEEEEENSF_IJS1U_S17_NS5_IJLi6ELi7ELi8EEEEEEENS5_IJLi6ELi7ELi8ELi5EEEES1W_EELi16ELi32ELi256ELi256ELi128ELi16ELi16ELi8ELi8ELi32ELb0EE3RunILb1ELNS_10TailNumberE1ENSE_INSF_IJNSG_INSF_IJiiEEENSF_IJiSN_EEELb0EEENSV_IS2N_Lb0EEENST_IiEEEEENSF_IJS14_S2E_NS5_IJLi1EEEEEEENSF_IJNS5_IJLi1ELi2EEEENS5_IJLi3ELi4EEEES17_EEENS5_IJLi3ELi5ELi4EEEElEES1O_NS_35ThreadGroupTensorSliceTransfer_v4r1INS_15ThisThreadBlockILi256EEENS_16tensor_operation12element_wise11PassThroughES35_LNS_25InMemoryDataOperationEnumE0ENS5_IJLi8ELi256ELi16EEEENS5_IJLi8ELi32ELi1EEEENS5_IJLi1ELi0ELi2EEEESC_SC_RKS2Z_KS1O_S39_NS5_IJLi0ELi1ELi2EEEELi2ELi2ELi16ELi16ELi1ELi1ELb0ELb1ELi2EiEENS_13DynamicBufferILNS_16AddressSpaceEnumE1EKSC_lLb1ELNS_22AmdBufferCoherenceEnumE0EiEENSF_IJNS3F_ILS3G_2ESC_S1N_Lb1ELS3I_0EiEES3K_EEENSF_IJiiiEEENSE_INSF_IJNSG_INSF_IJiiiiEEENSF_IJiiiSN_EEELb0EEEEEES1T_S1V_S1U_lEENS_32ThreadwiseTensorSliceTransfer_v2ISD_SD_RKS3R_KS1X_NS5_IJLi8ELi1ELi1ELi32EEEENS5_IJLi1ELi2ELi0ELi3EEEELi3ELi32ELi0ELb1ELb0ELb0EEENS3F_ILS3G_1EKSD_lLb1ELS3I_0EiEENSF_IJNS_12StaticBufferILS3G_4ESD_Li256ELb1EEES42_EEES3N_NS_25StaticBufferTupleOfVectorILS3G_4EfLi64ELi4ELb1ELb0EEEEEvRKT1_RKT2_RT3_RKT4_RT5_RKT6_RKT7_RT8_RKT9_RT10_RKT11_RT12_iENKUlT_E1_clIS20_EEDaS51_EUlS51_E_EEvS51_EUlS51_E_EEvS51_
	.type	_ZNK2ck6detail7applierIiJLi0ELi1ELi2ELi3ELi4ELi5ELi6ELi7EEEclIZNKS_11static_fordINS_8SequenceIJLi1ELi8EEEENS5_IJLi0ELi1EEEEEclIZZNKS_52BlockwiseGemmXdlops_pipeline_bpreshuffle_bdequant_v3ILNS_26BlockGemmPipelineSchedulerE0ELi256ENS_9f8_fnuz_tENS_7pk_i4_tESC_fNS_16TensorDescriptorINS_5TupleIJNS_5EmbedINSF_IJNS_17integral_constantIiLi8EEENSH_IiLi256EEENSH_IiLi16EEEEEENSF_IJSK_NSH_IiLi128EEENSH_IiLi1EEEEEELb0EEENS_3XorINSF_IJSJ_SI_EEELb1EEENS_11PassThroughISK_EENS_7UnMergeINSF_IJSI_SN_EEELb0EEENST_ISJ_EESU_NST_ISI_EENS_21Merge_v3_division_modINSF_IJSJ_SN_EEEEESU_EEENSF_IJNS5_IJLi0EEEENS5_IJLi2ELi1EEEENS5_IJLi3EEEENS5_IJLi5EEEENS5_IJLi4EEEENS5_IJLi6EEEENS5_IJLi7EEEENS5_IJLi9ELi8EEEENS5_IJLi10EEEEEEENSF_IJNS5_IJLi1ELi2ELi3EEEENS5_IJLi4ELi5EEEES19_NS5_IJLi7ELi8EEEENS5_IJLi9EEEES1C_NS5_IJLi11EEEENS5_IJLi12EEEENS5_IJLi13EEEEEEENS5_IJLi11ELi12ELi13EEEENSH_IlLl32768EEEEENSE_INSF_IJNSV_INSF_IJSI_SN_SN_NSH_IiLi32EEEEEELb0EEEEEENSF_IJS14_EEENSF_IJNS5_IJLi1ELi2ELi3ELi4EEEEEEES1U_NSH_IlLl256EEEEENSE_INSF_IJSP_SS_SU_SX_SY_SU_SZ_S12_SU_NS10_INSF_IJSI_SK_EEEEENSV_INSF_IJSI_NSH_IiLi2EEESK_EEELb0EEEEEENSF_IJS14_S15_S16_S17_S18_S19_S1A_S1B_S1C_NS5_IJLi11ELi13EEEES1J_EEENSF_IJS1E_S1F_S19_S1G_S1H_S1C_S1I_S1J_S1K_NS5_IJLi14EEEENS5_IJLi15ELi16ELi17EEEEEEENS5_IJLi15ELi16ELi17ELi14EEEES1N_EENSE_INSF_IJS1R_NS10_ISW_EES22_EEENSF_IJS14_NS5_IJLi1ELi3EEEENS5_IJLi2EEEEEEENSF_IJS1U_S17_NS5_IJLi6ELi7ELi8EEEEEEENS5_IJLi6ELi7ELi8ELi5EEEES1W_EELi16ELi32ELi256ELi256ELi128ELi16ELi16ELi8ELi8ELi32ELb0EE3RunILb1ELNS_10TailNumberE1ENSE_INSF_IJNSG_INSF_IJiiEEENSF_IJiSN_EEELb0EEENSV_IS2N_Lb0EEENST_IiEEEEENSF_IJS14_S2E_NS5_IJLi1EEEEEEENSF_IJNS5_IJLi1ELi2EEEENS5_IJLi3ELi4EEEES17_EEENS5_IJLi3ELi5ELi4EEEElEES1O_NS_35ThreadGroupTensorSliceTransfer_v4r1INS_15ThisThreadBlockILi256EEENS_16tensor_operation12element_wise11PassThroughES35_LNS_25InMemoryDataOperationEnumE0ENS5_IJLi8ELi256ELi16EEEENS5_IJLi8ELi32ELi1EEEENS5_IJLi1ELi0ELi2EEEESC_SC_RKS2Z_KS1O_S39_NS5_IJLi0ELi1ELi2EEEELi2ELi2ELi16ELi16ELi1ELi1ELb0ELb1ELi2EiEENS_13DynamicBufferILNS_16AddressSpaceEnumE1EKSC_lLb1ELNS_22AmdBufferCoherenceEnumE0EiEENSF_IJNS3F_ILS3G_2ESC_S1N_Lb1ELS3I_0EiEES3K_EEENSF_IJiiiEEENSE_INSF_IJNSG_INSF_IJiiiiEEENSF_IJiiiSN_EEELb0EEEEEES1T_S1V_S1U_lEENS_32ThreadwiseTensorSliceTransfer_v2ISD_SD_RKS3R_KS1X_NS5_IJLi8ELi1ELi1ELi32EEEENS5_IJLi1ELi2ELi0ELi3EEEELi3ELi32ELi0ELb1ELb0ELb0EEENS3F_ILS3G_1EKSD_lLb1ELS3I_0EiEENSF_IJNS_12StaticBufferILS3G_4ESD_Li256ELb1EEES42_EEES3N_NS_25StaticBufferTupleOfVectorILS3G_4EfLi64ELi4ELb1ELb0EEEEEvRKT1_RKT2_RT3_RKT4_RT5_RKT6_RKT7_RT8_RKT9_RT10_RKT11_RT12_iENKUlT_E1_clIS20_EEDaS51_EUlS51_E_EEvS51_EUlS51_E_EEvS51_,@function
_ZNK2ck6detail7applierIiJLi0ELi1ELi2ELi3ELi4ELi5ELi6ELi7EEEclIZNKS_11static_fordINS_8SequenceIJLi1ELi8EEEENS5_IJLi0ELi1EEEEEclIZZNKS_52BlockwiseGemmXdlops_pipeline_bpreshuffle_bdequant_v3ILNS_26BlockGemmPipelineSchedulerE0ELi256ENS_9f8_fnuz_tENS_7pk_i4_tESC_fNS_16TensorDescriptorINS_5TupleIJNS_5EmbedINSF_IJNS_17integral_constantIiLi8EEENSH_IiLi256EEENSH_IiLi16EEEEEENSF_IJSK_NSH_IiLi128EEENSH_IiLi1EEEEEELb0EEENS_3XorINSF_IJSJ_SI_EEELb1EEENS_11PassThroughISK_EENS_7UnMergeINSF_IJSI_SN_EEELb0EEENST_ISJ_EESU_NST_ISI_EENS_21Merge_v3_division_modINSF_IJSJ_SN_EEEEESU_EEENSF_IJNS5_IJLi0EEEENS5_IJLi2ELi1EEEENS5_IJLi3EEEENS5_IJLi5EEEENS5_IJLi4EEEENS5_IJLi6EEEENS5_IJLi7EEEENS5_IJLi9ELi8EEEENS5_IJLi10EEEEEEENSF_IJNS5_IJLi1ELi2ELi3EEEENS5_IJLi4ELi5EEEES19_NS5_IJLi7ELi8EEEENS5_IJLi9EEEES1C_NS5_IJLi11EEEENS5_IJLi12EEEENS5_IJLi13EEEEEEENS5_IJLi11ELi12ELi13EEEENSH_IlLl32768EEEEENSE_INSF_IJNSV_INSF_IJSI_SN_SN_NSH_IiLi32EEEEEELb0EEEEEENSF_IJS14_EEENSF_IJNS5_IJLi1ELi2ELi3ELi4EEEEEEES1U_NSH_IlLl256EEEEENSE_INSF_IJSP_SS_SU_SX_SY_SU_SZ_S12_SU_NS10_INSF_IJSI_SK_EEEEENSV_INSF_IJSI_NSH_IiLi2EEESK_EEELb0EEEEEENSF_IJS14_S15_S16_S17_S18_S19_S1A_S1B_S1C_NS5_IJLi11ELi13EEEES1J_EEENSF_IJS1E_S1F_S19_S1G_S1H_S1C_S1I_S1J_S1K_NS5_IJLi14EEEENS5_IJLi15ELi16ELi17EEEEEEENS5_IJLi15ELi16ELi17ELi14EEEES1N_EENSE_INSF_IJS1R_NS10_ISW_EES22_EEENSF_IJS14_NS5_IJLi1ELi3EEEENS5_IJLi2EEEEEEENSF_IJS1U_S17_NS5_IJLi6ELi7ELi8EEEEEEENS5_IJLi6ELi7ELi8ELi5EEEES1W_EELi16ELi32ELi256ELi256ELi128ELi16ELi16ELi8ELi8ELi32ELb0EE3RunILb1ELNS_10TailNumberE1ENSE_INSF_IJNSG_INSF_IJiiEEENSF_IJiSN_EEELb0EEENSV_IS2N_Lb0EEENST_IiEEEEENSF_IJS14_S2E_NS5_IJLi1EEEEEEENSF_IJNS5_IJLi1ELi2EEEENS5_IJLi3ELi4EEEES17_EEENS5_IJLi3ELi5ELi4EEEElEES1O_NS_35ThreadGroupTensorSliceTransfer_v4r1INS_15ThisThreadBlockILi256EEENS_16tensor_operation12element_wise11PassThroughES35_LNS_25InMemoryDataOperationEnumE0ENS5_IJLi8ELi256ELi16EEEENS5_IJLi8ELi32ELi1EEEENS5_IJLi1ELi0ELi2EEEESC_SC_RKS2Z_KS1O_S39_NS5_IJLi0ELi1ELi2EEEELi2ELi2ELi16ELi16ELi1ELi1ELb0ELb1ELi2EiEENS_13DynamicBufferILNS_16AddressSpaceEnumE1EKSC_lLb1ELNS_22AmdBufferCoherenceEnumE0EiEENSF_IJNS3F_ILS3G_2ESC_S1N_Lb1ELS3I_0EiEES3K_EEENSF_IJiiiEEENSE_INSF_IJNSG_INSF_IJiiiiEEENSF_IJiiiSN_EEELb0EEEEEES1T_S1V_S1U_lEENS_32ThreadwiseTensorSliceTransfer_v2ISD_SD_RKS3R_KS1X_NS5_IJLi8ELi1ELi1ELi32EEEENS5_IJLi1ELi2ELi0ELi3EEEELi3ELi32ELi0ELb1ELb0ELb0EEENS3F_ILS3G_1EKSD_lLb1ELS3I_0EiEENSF_IJNS_12StaticBufferILS3G_4ESD_Li256ELb1EEES42_EEES3N_NS_25StaticBufferTupleOfVectorILS3G_4EfLi64ELi4ELb1ELb0EEEEEvRKT1_RKT2_RT3_RKT4_RT5_RKT6_RKT7_RT8_RKT9_RT10_RKT11_RT12_iENKUlT_E1_clIS20_EEDaS51_EUlS51_E_EEvS51_EUlS51_E_EEvS51_: ; @_ZNK2ck6detail7applierIiJLi0ELi1ELi2ELi3ELi4ELi5ELi6ELi7EEEclIZNKS_11static_fordINS_8SequenceIJLi1ELi8EEEENS5_IJLi0ELi1EEEEEclIZZNKS_52BlockwiseGemmXdlops_pipeline_bpreshuffle_bdequant_v3ILNS_26BlockGemmPipelineSchedulerE0ELi256ENS_9f8_fnuz_tENS_7pk_i4_tESC_fNS_16TensorDescriptorINS_5TupleIJNS_5EmbedINSF_IJNS_17integral_constantIiLi8EEENSH_IiLi256EEENSH_IiLi16EEEEEENSF_IJSK_NSH_IiLi128EEENSH_IiLi1EEEEEELb0EEENS_3XorINSF_IJSJ_SI_EEELb1EEENS_11PassThroughISK_EENS_7UnMergeINSF_IJSI_SN_EEELb0EEENST_ISJ_EESU_NST_ISI_EENS_21Merge_v3_division_modINSF_IJSJ_SN_EEEEESU_EEENSF_IJNS5_IJLi0EEEENS5_IJLi2ELi1EEEENS5_IJLi3EEEENS5_IJLi5EEEENS5_IJLi4EEEENS5_IJLi6EEEENS5_IJLi7EEEENS5_IJLi9ELi8EEEENS5_IJLi10EEEEEEENSF_IJNS5_IJLi1ELi2ELi3EEEENS5_IJLi4ELi5EEEES19_NS5_IJLi7ELi8EEEENS5_IJLi9EEEES1C_NS5_IJLi11EEEENS5_IJLi12EEEENS5_IJLi13EEEEEEENS5_IJLi11ELi12ELi13EEEENSH_IlLl32768EEEEENSE_INSF_IJNSV_INSF_IJSI_SN_SN_NSH_IiLi32EEEEEELb0EEEEEENSF_IJS14_EEENSF_IJNS5_IJLi1ELi2ELi3ELi4EEEEEEES1U_NSH_IlLl256EEEEENSE_INSF_IJSP_SS_SU_SX_SY_SU_SZ_S12_SU_NS10_INSF_IJSI_SK_EEEEENSV_INSF_IJSI_NSH_IiLi2EEESK_EEELb0EEEEEENSF_IJS14_S15_S16_S17_S18_S19_S1A_S1B_S1C_NS5_IJLi11ELi13EEEES1J_EEENSF_IJS1E_S1F_S19_S1G_S1H_S1C_S1I_S1J_S1K_NS5_IJLi14EEEENS5_IJLi15ELi16ELi17EEEEEEENS5_IJLi15ELi16ELi17ELi14EEEES1N_EENSE_INSF_IJS1R_NS10_ISW_EES22_EEENSF_IJS14_NS5_IJLi1ELi3EEEENS5_IJLi2EEEEEEENSF_IJS1U_S17_NS5_IJLi6ELi7ELi8EEEEEEENS5_IJLi6ELi7ELi8ELi5EEEES1W_EELi16ELi32ELi256ELi256ELi128ELi16ELi16ELi8ELi8ELi32ELb0EE3RunILb1ELNS_10TailNumberE1ENSE_INSF_IJNSG_INSF_IJiiEEENSF_IJiSN_EEELb0EEENSV_IS2N_Lb0EEENST_IiEEEEENSF_IJS14_S2E_NS5_IJLi1EEEEEEENSF_IJNS5_IJLi1ELi2EEEENS5_IJLi3ELi4EEEES17_EEENS5_IJLi3ELi5ELi4EEEElEES1O_NS_35ThreadGroupTensorSliceTransfer_v4r1INS_15ThisThreadBlockILi256EEENS_16tensor_operation12element_wise11PassThroughES35_LNS_25InMemoryDataOperationEnumE0ENS5_IJLi8ELi256ELi16EEEENS5_IJLi8ELi32ELi1EEEENS5_IJLi1ELi0ELi2EEEESC_SC_RKS2Z_KS1O_S39_NS5_IJLi0ELi1ELi2EEEELi2ELi2ELi16ELi16ELi1ELi1ELb0ELb1ELi2EiEENS_13DynamicBufferILNS_16AddressSpaceEnumE1EKSC_lLb1ELNS_22AmdBufferCoherenceEnumE0EiEENSF_IJNS3F_ILS3G_2ESC_S1N_Lb1ELS3I_0EiEES3K_EEENSF_IJiiiEEENSE_INSF_IJNSG_INSF_IJiiiiEEENSF_IJiiiSN_EEELb0EEEEEES1T_S1V_S1U_lEENS_32ThreadwiseTensorSliceTransfer_v2ISD_SD_RKS3R_KS1X_NS5_IJLi8ELi1ELi1ELi32EEEENS5_IJLi1ELi2ELi0ELi3EEEELi3ELi32ELi0ELb1ELb0ELb0EEENS3F_ILS3G_1EKSD_lLb1ELS3I_0EiEENSF_IJNS_12StaticBufferILS3G_4ESD_Li256ELb1EEES42_EEES3N_NS_25StaticBufferTupleOfVectorILS3G_4EfLi64ELi4ELb1ELb0EEEEEvRKT1_RKT2_RT3_RKT4_RT5_RKT6_RKT7_RT8_RKT9_RT10_RKT11_RT12_iENKUlT_E1_clIS20_EEDaS51_EUlS51_E_EEvS51_EUlS51_E_EEvS51_
; %bb.0:
	s_waitcnt vmcnt(0) expcnt(0) lgkmcnt(0)
	flat_load_dwordx4 v[20:23], v[0:1] offset:8
	flat_load_dwordx2 v[18:19], v[0:1] offset:24
	s_movk_i32 s4, 0x7f
                                        ; implicit-def: $sgpr10
	s_waitcnt vmcnt(0) lgkmcnt(0)
	flat_load_dwordx4 v[14:17], v[20:21]
	flat_load_dwordx4 v[6:9], v[20:21] offset:16
	flat_load_dwordx4 v[10:13], v[22:23] offset:256
	;; [unrolled: 1-line block ×3, first 2 shown]
	s_waitcnt vmcnt(0) lgkmcnt(0)
	v_cmp_gt_i16_sdwa s[6:7], v14, s4 src0_sel:BYTE_0 src1_sel:DWORD
	s_mov_b64 s[4:5], 0
	s_and_saveexec_b64 s[8:9], s[6:7]
	s_xor_b64 s[6:7], exec, s[8:9]
	s_cbranch_execnz .LBB54_2049
; %bb.1:
	s_or_saveexec_b64 s[6:7], s[6:7]
	v_mov_b32_e32 v20, s10
	s_xor_b64 exec, exec, s[6:7]
	s_cbranch_execnz .LBB54_2052
.LBB54_2:
	s_or_b64 exec, exec, s[6:7]
	s_and_saveexec_b64 s[6:7], s[4:5]
	s_cbranch_execz .LBB54_4
.LBB54_3:
	v_and_b32_e32 v20, 7, v14
	v_ffbh_u32_e32 v22, v20
	v_min_u32_e32 v22, 32, v22
	v_lshrrev_b16_e32 v21, 3, v14
	v_subrev_u32_e32 v23, 28, v22
	v_and_b32_e32 v21, 15, v21
	v_lshlrev_b32_e32 v23, v23, v14
	v_sub_u32_e32 v22, 29, v22
	v_and_b32_e32 v23, 7, v23
	v_cmp_eq_u16_e32 vcc, 0, v21
	v_cndmask_b32_e32 v20, v20, v23, vcc
	v_cndmask_b32_e32 v21, v21, v22, vcc
	v_lshlrev_b32_e32 v22, 24, v14
	v_mov_b32_e32 v23, 0x3b800000
	v_lshlrev_b32_e32 v20, 20, v20
	v_and_b32_e32 v22, 0x80000000, v22
	v_lshl_add_u32 v21, v21, 23, v23
	v_or3_b32 v20, v22, v21, v20
.LBB54_4:
	s_or_b64 exec, exec, s[6:7]
	s_movk_i32 s4, 0x7f
	v_cmp_gt_i16_sdwa s[6:7], v10, s4 src0_sel:BYTE_0 src1_sel:DWORD
	s_mov_b64 s[4:5], 0
                                        ; implicit-def: $sgpr10
	s_and_saveexec_b64 s[8:9], s[6:7]
	s_xor_b64 s[6:7], exec, s[8:9]
	s_cbranch_execnz .LBB54_2053
; %bb.5:
	s_or_saveexec_b64 s[6:7], s[6:7]
	v_mov_b32_e32 v21, s10
	s_xor_b64 exec, exec, s[6:7]
	s_cbranch_execnz .LBB54_2056
.LBB54_6:
	s_or_b64 exec, exec, s[6:7]
	s_and_saveexec_b64 s[6:7], s[4:5]
	s_cbranch_execz .LBB54_8
.LBB54_7:
	v_and_b32_e32 v21, 7, v10
	v_ffbh_u32_e32 v23, v21
	v_min_u32_e32 v23, 32, v23
	v_lshrrev_b16_e32 v22, 3, v10
	v_subrev_u32_e32 v24, 28, v23
	v_and_b32_e32 v22, 15, v22
	v_lshlrev_b32_e32 v24, v24, v10
	v_sub_u32_e32 v23, 29, v23
	v_and_b32_e32 v24, 7, v24
	v_cmp_eq_u16_e32 vcc, 0, v22
	v_cndmask_b32_e32 v21, v21, v24, vcc
	v_cndmask_b32_e32 v22, v22, v23, vcc
	v_lshlrev_b32_e32 v23, 24, v10
	v_mov_b32_e32 v24, 0x3b800000
	v_lshlrev_b32_e32 v21, 20, v21
	v_and_b32_e32 v23, 0x80000000, v23
	v_lshl_add_u32 v22, v22, 23, v24
	v_or3_b32 v21, v23, v22, v21
.LBB54_8:
	s_or_b64 exec, exec, s[6:7]
	flat_load_dwordx4 a[0:3], v[18:19] offset:256
	s_movk_i32 s4, 0x7f
                                        ; implicit-def: $sgpr10
	s_waitcnt vmcnt(0) lgkmcnt(0)
	v_mfma_f32_16x16x4f32 a[0:3], v20, v21, a[0:3]
	v_lshrrev_b32_e32 v21, 8, v14
	v_cmp_gt_i16_sdwa s[6:7], v21, s4 src0_sel:BYTE_0 src1_sel:DWORD
	s_mov_b64 s[4:5], 0
	s_and_saveexec_b64 s[8:9], s[6:7]
	s_xor_b64 s[6:7], exec, s[8:9]
	s_cbranch_execnz .LBB54_2057
; %bb.9:
	s_or_saveexec_b64 s[6:7], s[6:7]
	v_mov_b32_e32 v20, s10
	s_xor_b64 exec, exec, s[6:7]
	s_cbranch_execnz .LBB54_2060
.LBB54_10:
	s_or_b64 exec, exec, s[6:7]
	s_and_saveexec_b64 s[6:7], s[4:5]
	s_cbranch_execz .LBB54_12
.LBB54_11:
	v_bfe_u32 v20, v14, 8, 3
	v_ffbh_u32_e32 v23, v20
	v_min_u32_e32 v23, 32, v23
	v_lshrrev_b16_e32 v22, 3, v21
	v_subrev_u32_e32 v24, 28, v23
	v_and_b32_e32 v22, 15, v22
	v_lshlrev_b32_e32 v21, v24, v21
	v_sub_u32_e32 v23, 29, v23
	v_and_b32_e32 v21, 7, v21
	v_cmp_eq_u16_e32 vcc, 0, v22
	v_cndmask_b32_e32 v20, v20, v21, vcc
	v_cndmask_b32_e32 v21, v22, v23, vcc
	v_lshlrev_b32_e32 v22, 16, v14
	v_mov_b32_e32 v23, 0x3b800000
	v_lshlrev_b32_e32 v20, 20, v20
	v_and_b32_e32 v22, 0x80000000, v22
	v_lshl_add_u32 v21, v21, 23, v23
	v_or3_b32 v20, v22, v21, v20
.LBB54_12:
	s_or_b64 exec, exec, s[6:7]
	v_lshrrev_b32_e32 v21, 8, v10
	s_movk_i32 s4, 0x7f
	v_cmp_gt_i16_sdwa s[6:7], v21, s4 src0_sel:BYTE_0 src1_sel:DWORD
	s_mov_b64 s[4:5], 0
                                        ; implicit-def: $sgpr10
	s_and_saveexec_b64 s[8:9], s[6:7]
	s_xor_b64 s[6:7], exec, s[8:9]
	s_cbranch_execnz .LBB54_2061
; %bb.13:
	s_or_saveexec_b64 s[6:7], s[6:7]
	v_mov_b32_e32 v22, s10
	s_xor_b64 exec, exec, s[6:7]
	s_cbranch_execnz .LBB54_2064
.LBB54_14:
	s_or_b64 exec, exec, s[6:7]
	s_and_saveexec_b64 s[6:7], s[4:5]
	s_cbranch_execz .LBB54_16
.LBB54_15:
	v_bfe_u32 v22, v10, 8, 3
	v_ffbh_u32_e32 v24, v22
	v_min_u32_e32 v24, 32, v24
	v_lshrrev_b16_e32 v23, 3, v21
	v_subrev_u32_e32 v25, 28, v24
	v_and_b32_e32 v23, 15, v23
	v_lshlrev_b32_e32 v21, v25, v21
	v_sub_u32_e32 v24, 29, v24
	v_and_b32_e32 v21, 7, v21
	v_cmp_eq_u16_e32 vcc, 0, v23
	v_cndmask_b32_e32 v21, v22, v21, vcc
	v_cndmask_b32_e32 v22, v23, v24, vcc
	v_lshlrev_b32_e32 v23, 16, v10
	v_mov_b32_e32 v24, 0x3b800000
	v_lshlrev_b32_e32 v21, 20, v21
	v_and_b32_e32 v23, 0x80000000, v23
	v_lshl_add_u32 v22, v22, 23, v24
	v_or3_b32 v22, v23, v22, v21
.LBB54_16:
	s_or_b64 exec, exec, s[6:7]
	s_nop 0
	v_mfma_f32_16x16x4f32 a[0:3], v20, v22, a[0:3]
	s_movk_i32 s4, 0xff
	v_and_b32_sdwa v21, v14, s4 dst_sel:DWORD dst_unused:UNUSED_PAD src0_sel:WORD_1 src1_sel:DWORD
	s_movk_i32 s4, 0x7f
	v_cmp_lt_i16_e32 vcc, s4, v21
	s_mov_b64 s[4:5], 0
                                        ; implicit-def: $sgpr10
	s_and_saveexec_b64 s[6:7], vcc
	s_xor_b64 s[6:7], exec, s[6:7]
	s_cbranch_execnz .LBB54_2065
; %bb.17:
	s_or_saveexec_b64 s[6:7], s[6:7]
	v_mov_b32_e32 v20, s10
	s_xor_b64 exec, exec, s[6:7]
	s_cbranch_execnz .LBB54_2068
.LBB54_18:
	s_or_b64 exec, exec, s[6:7]
	s_and_saveexec_b64 s[6:7], s[4:5]
	s_cbranch_execz .LBB54_20
.LBB54_19:
	v_bfe_u32 v20, v14, 16, 3
	v_ffbh_u32_e32 v23, v20
	v_min_u32_e32 v23, 32, v23
	v_lshrrev_b32_e32 v21, 19, v14
	v_subrev_u32_e32 v24, 28, v23
	v_and_b32_e32 v21, 15, v21
	v_lshlrev_b32_sdwa v24, v24, v14 dst_sel:DWORD dst_unused:UNUSED_PAD src0_sel:DWORD src1_sel:WORD_1
	v_bfe_u32 v22, v14, 19, 4
	v_sub_u32_e32 v23, 29, v23
	v_and_b32_e32 v24, 7, v24
	v_cmp_eq_u16_e32 vcc, 0, v21
	v_cndmask_b32_e32 v20, v20, v24, vcc
	v_cndmask_b32_e32 v21, v22, v23, vcc
	v_lshlrev_b32_e32 v22, 8, v14
	v_mov_b32_e32 v23, 0x3b800000
	v_lshlrev_b32_e32 v20, 20, v20
	v_and_b32_e32 v22, 0x80000000, v22
	v_lshl_add_u32 v21, v21, 23, v23
	v_or3_b32 v20, v22, v21, v20
.LBB54_20:
	s_or_b64 exec, exec, s[6:7]
	s_movk_i32 s4, 0xff
	v_and_b32_sdwa v21, v10, s4 dst_sel:DWORD dst_unused:UNUSED_PAD src0_sel:WORD_1 src1_sel:DWORD
	s_movk_i32 s4, 0x7f
	v_cmp_lt_i16_e32 vcc, s4, v21
	s_mov_b64 s[4:5], 0
                                        ; implicit-def: $sgpr10
	s_and_saveexec_b64 s[6:7], vcc
	s_xor_b64 s[6:7], exec, s[6:7]
	s_cbranch_execnz .LBB54_2069
; %bb.21:
	s_or_saveexec_b64 s[6:7], s[6:7]
	v_mov_b32_e32 v22, s10
	s_xor_b64 exec, exec, s[6:7]
	s_cbranch_execnz .LBB54_2072
.LBB54_22:
	s_or_b64 exec, exec, s[6:7]
	s_and_saveexec_b64 s[6:7], s[4:5]
	s_cbranch_execz .LBB54_24
.LBB54_23:
	v_bfe_u32 v21, v10, 16, 3
	v_ffbh_u32_e32 v24, v21
	v_min_u32_e32 v24, 32, v24
	v_lshrrev_b32_e32 v22, 19, v10
	v_subrev_u32_e32 v25, 28, v24
	v_and_b32_e32 v22, 15, v22
	v_lshlrev_b32_sdwa v25, v25, v10 dst_sel:DWORD dst_unused:UNUSED_PAD src0_sel:DWORD src1_sel:WORD_1
	v_bfe_u32 v23, v10, 19, 4
	v_sub_u32_e32 v24, 29, v24
	v_and_b32_e32 v25, 7, v25
	v_cmp_eq_u16_e32 vcc, 0, v22
	v_cndmask_b32_e32 v21, v21, v25, vcc
	v_cndmask_b32_e32 v22, v23, v24, vcc
	v_lshlrev_b32_e32 v23, 8, v10
	v_mov_b32_e32 v24, 0x3b800000
	v_lshlrev_b32_e32 v21, 20, v21
	v_and_b32_e32 v23, 0x80000000, v23
	v_lshl_add_u32 v22, v22, 23, v24
	v_or3_b32 v22, v23, v22, v21
.LBB54_24:
	s_or_b64 exec, exec, s[6:7]
	s_nop 0
	v_mfma_f32_16x16x4f32 a[0:3], v20, v22, a[0:3]
	s_movk_i32 s4, 0x7f
	v_cmp_gt_i16_sdwa s[6:7], v14, s4 src0_sel:BYTE_3 src1_sel:DWORD
	s_mov_b64 s[4:5], 0
                                        ; implicit-def: $sgpr10
	s_and_saveexec_b64 s[8:9], s[6:7]
	s_xor_b64 s[6:7], exec, s[8:9]
	s_cbranch_execnz .LBB54_2073
; %bb.25:
	s_or_saveexec_b64 s[6:7], s[6:7]
	v_mov_b32_e32 v20, s10
	s_xor_b64 exec, exec, s[6:7]
	s_cbranch_execnz .LBB54_2076
.LBB54_26:
	s_or_b64 exec, exec, s[6:7]
	s_and_saveexec_b64 s[6:7], s[4:5]
	s_cbranch_execz .LBB54_28
.LBB54_27:
	v_bfe_u32 v20, v14, 24, 3
	v_ffbh_u32_e32 v24, v20
	v_min_u32_e32 v24, 32, v24
	v_lshrrev_b32_e32 v22, 27, v14
	v_subrev_u32_e32 v25, 28, v24
	v_and_b32_e32 v21, 0x80000000, v14
	v_and_b32_e32 v22, 15, v22
	v_bfe_u32 v23, v14, 27, 4
	v_lshlrev_b32_sdwa v14, v25, v14 dst_sel:DWORD dst_unused:UNUSED_PAD src0_sel:DWORD src1_sel:BYTE_3
	v_sub_u32_e32 v24, 29, v24
	v_and_b32_e32 v14, 7, v14
	v_cmp_eq_u16_e32 vcc, 0, v22
	v_cndmask_b32_e32 v14, v20, v14, vcc
	v_cndmask_b32_e32 v20, v23, v24, vcc
	v_mov_b32_e32 v22, 0x3b800000
	v_lshlrev_b32_e32 v14, 20, v14
	v_lshl_add_u32 v20, v20, 23, v22
	v_or3_b32 v20, v21, v20, v14
.LBB54_28:
	s_or_b64 exec, exec, s[6:7]
	s_movk_i32 s4, 0x7f
	v_cmp_gt_i16_sdwa s[6:7], v10, s4 src0_sel:BYTE_3 src1_sel:DWORD
	s_mov_b64 s[4:5], 0
                                        ; implicit-def: $sgpr10
	s_and_saveexec_b64 s[8:9], s[6:7]
	s_xor_b64 s[6:7], exec, s[8:9]
	s_cbranch_execnz .LBB54_2077
; %bb.29:
	s_or_saveexec_b64 s[6:7], s[6:7]
	v_mov_b32_e32 v14, s10
	s_xor_b64 exec, exec, s[6:7]
	s_cbranch_execnz .LBB54_2080
.LBB54_30:
	s_or_b64 exec, exec, s[6:7]
	s_and_saveexec_b64 s[6:7], s[4:5]
	s_cbranch_execz .LBB54_32
.LBB54_31:
	v_bfe_u32 v14, v10, 24, 3
	v_ffbh_u32_e32 v24, v14
	v_min_u32_e32 v24, 32, v24
	v_lshrrev_b32_e32 v22, 27, v10
	v_subrev_u32_e32 v25, 28, v24
	v_and_b32_e32 v21, 0x80000000, v10
	v_and_b32_e32 v22, 15, v22
	v_bfe_u32 v23, v10, 27, 4
	v_lshlrev_b32_sdwa v10, v25, v10 dst_sel:DWORD dst_unused:UNUSED_PAD src0_sel:DWORD src1_sel:BYTE_3
	v_sub_u32_e32 v24, 29, v24
	v_and_b32_e32 v10, 7, v10
	v_cmp_eq_u16_e32 vcc, 0, v22
	v_cndmask_b32_e32 v10, v14, v10, vcc
	v_cndmask_b32_e32 v14, v23, v24, vcc
	v_mov_b32_e32 v22, 0x3b800000
	v_lshlrev_b32_e32 v10, 20, v10
	v_lshl_add_u32 v14, v14, 23, v22
	v_or3_b32 v14, v21, v14, v10
.LBB54_32:
	s_or_b64 exec, exec, s[6:7]
	s_nop 0
	v_mfma_f32_16x16x4f32 a[0:3], v20, v14, a[0:3]
	s_movk_i32 s4, 0x7f
	v_cmp_gt_i16_sdwa s[6:7], v15, s4 src0_sel:BYTE_0 src1_sel:DWORD
	s_mov_b64 s[4:5], 0
                                        ; implicit-def: $sgpr10
	s_and_saveexec_b64 s[8:9], s[6:7]
	s_xor_b64 s[6:7], exec, s[8:9]
	s_cbranch_execnz .LBB54_2081
; %bb.33:
	s_or_saveexec_b64 s[6:7], s[6:7]
	v_mov_b32_e32 v10, s10
	s_xor_b64 exec, exec, s[6:7]
	s_cbranch_execnz .LBB54_2084
.LBB54_34:
	s_or_b64 exec, exec, s[6:7]
	s_and_saveexec_b64 s[6:7], s[4:5]
	s_cbranch_execz .LBB54_36
.LBB54_35:
	v_and_b32_e32 v10, 7, v15
	v_ffbh_u32_e32 v20, v10
	v_min_u32_e32 v20, 32, v20
	v_lshrrev_b16_e32 v14, 3, v15
	v_subrev_u32_e32 v21, 28, v20
	v_and_b32_e32 v14, 15, v14
	v_lshlrev_b32_e32 v21, v21, v15
	v_sub_u32_e32 v20, 29, v20
	v_and_b32_e32 v21, 7, v21
	v_cmp_eq_u16_e32 vcc, 0, v14
	v_cndmask_b32_e32 v10, v10, v21, vcc
	v_cndmask_b32_e32 v14, v14, v20, vcc
	v_lshlrev_b32_e32 v20, 24, v15
	v_mov_b32_e32 v21, 0x3b800000
	v_lshlrev_b32_e32 v10, 20, v10
	v_and_b32_e32 v20, 0x80000000, v20
	v_lshl_add_u32 v14, v14, 23, v21
	v_or3_b32 v10, v20, v14, v10
.LBB54_36:
	s_or_b64 exec, exec, s[6:7]
	s_movk_i32 s4, 0x7f
	v_cmp_gt_i16_sdwa s[6:7], v11, s4 src0_sel:BYTE_0 src1_sel:DWORD
	s_mov_b64 s[4:5], 0
                                        ; implicit-def: $sgpr10
	s_and_saveexec_b64 s[8:9], s[6:7]
	s_xor_b64 s[6:7], exec, s[8:9]
	s_cbranch_execnz .LBB54_2085
; %bb.37:
	s_or_saveexec_b64 s[6:7], s[6:7]
	v_mov_b32_e32 v14, s10
	s_xor_b64 exec, exec, s[6:7]
	s_cbranch_execnz .LBB54_2088
.LBB54_38:
	s_or_b64 exec, exec, s[6:7]
	s_and_saveexec_b64 s[6:7], s[4:5]
	s_cbranch_execz .LBB54_40
.LBB54_39:
	v_and_b32_e32 v14, 7, v11
	v_ffbh_u32_e32 v21, v14
	v_min_u32_e32 v21, 32, v21
	v_lshrrev_b16_e32 v20, 3, v11
	v_subrev_u32_e32 v22, 28, v21
	v_and_b32_e32 v20, 15, v20
	v_lshlrev_b32_e32 v22, v22, v11
	v_sub_u32_e32 v21, 29, v21
	v_and_b32_e32 v22, 7, v22
	v_cmp_eq_u16_e32 vcc, 0, v20
	v_cndmask_b32_e32 v14, v14, v22, vcc
	v_cndmask_b32_e32 v20, v20, v21, vcc
	v_lshlrev_b32_e32 v21, 24, v11
	v_mov_b32_e32 v22, 0x3b800000
	v_lshlrev_b32_e32 v14, 20, v14
	v_and_b32_e32 v21, 0x80000000, v21
	v_lshl_add_u32 v20, v20, 23, v22
	v_or3_b32 v14, v21, v20, v14
.LBB54_40:
	s_or_b64 exec, exec, s[6:7]
	s_nop 0
	v_mfma_f32_16x16x4f32 a[0:3], v10, v14, a[0:3]
	v_lshrrev_b32_e32 v14, 8, v15
	s_movk_i32 s4, 0x7f
	v_cmp_gt_i16_sdwa s[6:7], v14, s4 src0_sel:BYTE_0 src1_sel:DWORD
	s_mov_b64 s[4:5], 0
                                        ; implicit-def: $sgpr10
	s_and_saveexec_b64 s[8:9], s[6:7]
	s_xor_b64 s[6:7], exec, s[8:9]
	s_cbranch_execnz .LBB54_2089
; %bb.41:
	s_or_saveexec_b64 s[6:7], s[6:7]
	v_mov_b32_e32 v10, s10
	s_xor_b64 exec, exec, s[6:7]
	s_cbranch_execnz .LBB54_2092
.LBB54_42:
	s_or_b64 exec, exec, s[6:7]
	s_and_saveexec_b64 s[6:7], s[4:5]
	s_cbranch_execz .LBB54_44
.LBB54_43:
	v_bfe_u32 v10, v15, 8, 3
	v_ffbh_u32_e32 v21, v10
	v_min_u32_e32 v21, 32, v21
	v_lshrrev_b16_e32 v20, 3, v14
	v_subrev_u32_e32 v22, 28, v21
	v_and_b32_e32 v20, 15, v20
	v_lshlrev_b32_e32 v14, v22, v14
	v_sub_u32_e32 v21, 29, v21
	v_and_b32_e32 v14, 7, v14
	v_cmp_eq_u16_e32 vcc, 0, v20
	v_cndmask_b32_e32 v10, v10, v14, vcc
	v_cndmask_b32_e32 v14, v20, v21, vcc
	v_lshlrev_b32_e32 v20, 16, v15
	v_mov_b32_e32 v21, 0x3b800000
	v_lshlrev_b32_e32 v10, 20, v10
	v_and_b32_e32 v20, 0x80000000, v20
	v_lshl_add_u32 v14, v14, 23, v21
	v_or3_b32 v10, v20, v14, v10
.LBB54_44:
	s_or_b64 exec, exec, s[6:7]
	v_lshrrev_b32_e32 v14, 8, v11
	s_movk_i32 s4, 0x7f
	v_cmp_gt_i16_sdwa s[6:7], v14, s4 src0_sel:BYTE_0 src1_sel:DWORD
	s_mov_b64 s[4:5], 0
                                        ; implicit-def: $sgpr10
	s_and_saveexec_b64 s[8:9], s[6:7]
	s_xor_b64 s[6:7], exec, s[8:9]
	s_cbranch_execnz .LBB54_2093
; %bb.45:
	s_or_saveexec_b64 s[6:7], s[6:7]
	v_mov_b32_e32 v20, s10
	s_xor_b64 exec, exec, s[6:7]
	s_cbranch_execnz .LBB54_2096
.LBB54_46:
	s_or_b64 exec, exec, s[6:7]
	s_and_saveexec_b64 s[6:7], s[4:5]
	s_cbranch_execz .LBB54_48
.LBB54_47:
	v_bfe_u32 v20, v11, 8, 3
	v_ffbh_u32_e32 v22, v20
	v_min_u32_e32 v22, 32, v22
	v_lshrrev_b16_e32 v21, 3, v14
	v_subrev_u32_e32 v23, 28, v22
	v_and_b32_e32 v21, 15, v21
	v_lshlrev_b32_e32 v14, v23, v14
	v_sub_u32_e32 v22, 29, v22
	v_and_b32_e32 v14, 7, v14
	v_cmp_eq_u16_e32 vcc, 0, v21
	v_cndmask_b32_e32 v14, v20, v14, vcc
	v_cndmask_b32_e32 v20, v21, v22, vcc
	v_lshlrev_b32_e32 v21, 16, v11
	v_mov_b32_e32 v22, 0x3b800000
	v_lshlrev_b32_e32 v14, 20, v14
	v_and_b32_e32 v21, 0x80000000, v21
	v_lshl_add_u32 v20, v20, 23, v22
	v_or3_b32 v20, v21, v20, v14
.LBB54_48:
	s_or_b64 exec, exec, s[6:7]
	s_nop 0
	v_mfma_f32_16x16x4f32 a[0:3], v10, v20, a[0:3]
	s_movk_i32 s4, 0xff
	v_and_b32_sdwa v14, v15, s4 dst_sel:DWORD dst_unused:UNUSED_PAD src0_sel:WORD_1 src1_sel:DWORD
	s_movk_i32 s4, 0x7f
	v_cmp_lt_i16_e32 vcc, s4, v14
	s_mov_b64 s[4:5], 0
                                        ; implicit-def: $sgpr10
	s_and_saveexec_b64 s[6:7], vcc
	s_xor_b64 s[6:7], exec, s[6:7]
	s_cbranch_execnz .LBB54_2097
; %bb.49:
	s_or_saveexec_b64 s[6:7], s[6:7]
	v_mov_b32_e32 v10, s10
	s_xor_b64 exec, exec, s[6:7]
	s_cbranch_execnz .LBB54_2100
.LBB54_50:
	s_or_b64 exec, exec, s[6:7]
	s_and_saveexec_b64 s[6:7], s[4:5]
	s_cbranch_execz .LBB54_52
.LBB54_51:
	v_bfe_u32 v10, v15, 16, 3
	v_ffbh_u32_e32 v21, v10
	v_min_u32_e32 v21, 32, v21
	v_lshrrev_b32_e32 v14, 19, v15
	v_subrev_u32_e32 v22, 28, v21
	v_and_b32_e32 v14, 15, v14
	v_lshlrev_b32_sdwa v22, v22, v15 dst_sel:DWORD dst_unused:UNUSED_PAD src0_sel:DWORD src1_sel:WORD_1
	v_bfe_u32 v20, v15, 19, 4
	v_sub_u32_e32 v21, 29, v21
	v_and_b32_e32 v22, 7, v22
	v_cmp_eq_u16_e32 vcc, 0, v14
	v_cndmask_b32_e32 v10, v10, v22, vcc
	v_cndmask_b32_e32 v14, v20, v21, vcc
	v_lshlrev_b32_e32 v20, 8, v15
	v_mov_b32_e32 v21, 0x3b800000
	v_lshlrev_b32_e32 v10, 20, v10
	v_and_b32_e32 v20, 0x80000000, v20
	v_lshl_add_u32 v14, v14, 23, v21
	v_or3_b32 v10, v20, v14, v10
.LBB54_52:
	s_or_b64 exec, exec, s[6:7]
	s_movk_i32 s4, 0xff
	v_and_b32_sdwa v14, v11, s4 dst_sel:DWORD dst_unused:UNUSED_PAD src0_sel:WORD_1 src1_sel:DWORD
	s_movk_i32 s4, 0x7f
	v_cmp_lt_i16_e32 vcc, s4, v14
	s_mov_b64 s[4:5], 0
                                        ; implicit-def: $sgpr10
	s_and_saveexec_b64 s[6:7], vcc
	s_xor_b64 s[6:7], exec, s[6:7]
	s_cbranch_execnz .LBB54_2101
; %bb.53:
	s_or_saveexec_b64 s[6:7], s[6:7]
	v_mov_b32_e32 v20, s10
	s_xor_b64 exec, exec, s[6:7]
	s_cbranch_execnz .LBB54_2104
.LBB54_54:
	s_or_b64 exec, exec, s[6:7]
	s_and_saveexec_b64 s[6:7], s[4:5]
	s_cbranch_execz .LBB54_56
.LBB54_55:
	v_bfe_u32 v14, v11, 16, 3
	v_ffbh_u32_e32 v22, v14
	v_min_u32_e32 v22, 32, v22
	v_lshrrev_b32_e32 v20, 19, v11
	v_subrev_u32_e32 v23, 28, v22
	v_and_b32_e32 v20, 15, v20
	v_lshlrev_b32_sdwa v23, v23, v11 dst_sel:DWORD dst_unused:UNUSED_PAD src0_sel:DWORD src1_sel:WORD_1
	v_bfe_u32 v21, v11, 19, 4
	v_sub_u32_e32 v22, 29, v22
	v_and_b32_e32 v23, 7, v23
	v_cmp_eq_u16_e32 vcc, 0, v20
	v_cndmask_b32_e32 v14, v14, v23, vcc
	v_cndmask_b32_e32 v20, v21, v22, vcc
	v_lshlrev_b32_e32 v21, 8, v11
	v_mov_b32_e32 v22, 0x3b800000
	v_lshlrev_b32_e32 v14, 20, v14
	v_and_b32_e32 v21, 0x80000000, v21
	v_lshl_add_u32 v20, v20, 23, v22
	v_or3_b32 v20, v21, v20, v14
.LBB54_56:
	s_or_b64 exec, exec, s[6:7]
	s_nop 0
	v_mfma_f32_16x16x4f32 a[0:3], v10, v20, a[0:3]
	s_movk_i32 s4, 0x7f
	v_cmp_gt_i16_sdwa s[6:7], v15, s4 src0_sel:BYTE_3 src1_sel:DWORD
	s_mov_b64 s[4:5], 0
                                        ; implicit-def: $sgpr10
	s_and_saveexec_b64 s[8:9], s[6:7]
	s_xor_b64 s[6:7], exec, s[8:9]
	s_cbranch_execnz .LBB54_2105
; %bb.57:
	s_or_saveexec_b64 s[6:7], s[6:7]
	v_mov_b32_e32 v10, s10
	s_xor_b64 exec, exec, s[6:7]
	s_cbranch_execnz .LBB54_2108
.LBB54_58:
	s_or_b64 exec, exec, s[6:7]
	s_and_saveexec_b64 s[6:7], s[4:5]
	s_cbranch_execz .LBB54_60
.LBB54_59:
	v_bfe_u32 v10, v15, 24, 3
	v_ffbh_u32_e32 v22, v10
	v_min_u32_e32 v22, 32, v22
	v_lshrrev_b32_e32 v20, 27, v15
	v_subrev_u32_e32 v23, 28, v22
	v_and_b32_e32 v14, 0x80000000, v15
	v_and_b32_e32 v20, 15, v20
	v_bfe_u32 v21, v15, 27, 4
	v_lshlrev_b32_sdwa v15, v23, v15 dst_sel:DWORD dst_unused:UNUSED_PAD src0_sel:DWORD src1_sel:BYTE_3
	v_sub_u32_e32 v22, 29, v22
	v_and_b32_e32 v15, 7, v15
	v_cmp_eq_u16_e32 vcc, 0, v20
	v_cndmask_b32_e32 v10, v10, v15, vcc
	v_cndmask_b32_e32 v15, v21, v22, vcc
	v_mov_b32_e32 v20, 0x3b800000
	v_lshlrev_b32_e32 v10, 20, v10
	v_lshl_add_u32 v15, v15, 23, v20
	v_or3_b32 v10, v14, v15, v10
.LBB54_60:
	s_or_b64 exec, exec, s[6:7]
	s_movk_i32 s4, 0x7f
	v_cmp_gt_i16_sdwa s[6:7], v11, s4 src0_sel:BYTE_3 src1_sel:DWORD
	s_mov_b64 s[4:5], 0
                                        ; implicit-def: $sgpr10
	s_and_saveexec_b64 s[8:9], s[6:7]
	s_xor_b64 s[6:7], exec, s[8:9]
	s_cbranch_execnz .LBB54_2109
; %bb.61:
	s_or_saveexec_b64 s[6:7], s[6:7]
	v_mov_b32_e32 v14, s10
	s_xor_b64 exec, exec, s[6:7]
	s_cbranch_execnz .LBB54_2112
.LBB54_62:
	s_or_b64 exec, exec, s[6:7]
	s_and_saveexec_b64 s[6:7], s[4:5]
	s_cbranch_execz .LBB54_64
.LBB54_63:
	v_bfe_u32 v14, v11, 24, 3
	v_ffbh_u32_e32 v22, v14
	v_min_u32_e32 v22, 32, v22
	v_lshrrev_b32_e32 v20, 27, v11
	v_subrev_u32_e32 v23, 28, v22
	v_and_b32_e32 v15, 0x80000000, v11
	v_and_b32_e32 v20, 15, v20
	v_bfe_u32 v21, v11, 27, 4
	v_lshlrev_b32_sdwa v11, v23, v11 dst_sel:DWORD dst_unused:UNUSED_PAD src0_sel:DWORD src1_sel:BYTE_3
	v_sub_u32_e32 v22, 29, v22
	v_and_b32_e32 v11, 7, v11
	v_cmp_eq_u16_e32 vcc, 0, v20
	v_cndmask_b32_e32 v11, v14, v11, vcc
	v_cndmask_b32_e32 v14, v21, v22, vcc
	v_mov_b32_e32 v20, 0x3b800000
	v_lshlrev_b32_e32 v11, 20, v11
	v_lshl_add_u32 v14, v14, 23, v20
	v_or3_b32 v14, v15, v14, v11
.LBB54_64:
	s_or_b64 exec, exec, s[6:7]
	s_nop 0
	v_mfma_f32_16x16x4f32 a[0:3], v10, v14, a[0:3]
	s_movk_i32 s4, 0x7f
	v_cmp_gt_i16_sdwa s[6:7], v16, s4 src0_sel:BYTE_0 src1_sel:DWORD
	s_mov_b64 s[4:5], 0
                                        ; implicit-def: $sgpr10
	s_and_saveexec_b64 s[8:9], s[6:7]
	s_xor_b64 s[6:7], exec, s[8:9]
	s_cbranch_execnz .LBB54_2113
; %bb.65:
	s_or_saveexec_b64 s[6:7], s[6:7]
	v_mov_b32_e32 v10, s10
	s_xor_b64 exec, exec, s[6:7]
	s_cbranch_execnz .LBB54_2116
.LBB54_66:
	s_or_b64 exec, exec, s[6:7]
	s_and_saveexec_b64 s[6:7], s[4:5]
	s_cbranch_execz .LBB54_68
.LBB54_67:
	v_and_b32_e32 v10, 7, v16
	v_ffbh_u32_e32 v14, v10
	v_min_u32_e32 v14, 32, v14
	v_lshrrev_b16_e32 v11, 3, v16
	v_subrev_u32_e32 v15, 28, v14
	v_and_b32_e32 v11, 15, v11
	v_lshlrev_b32_e32 v15, v15, v16
	v_sub_u32_e32 v14, 29, v14
	v_and_b32_e32 v15, 7, v15
	v_cmp_eq_u16_e32 vcc, 0, v11
	v_cndmask_b32_e32 v10, v10, v15, vcc
	v_cndmask_b32_e32 v11, v11, v14, vcc
	v_lshlrev_b32_e32 v14, 24, v16
	v_mov_b32_e32 v15, 0x3b800000
	v_lshlrev_b32_e32 v10, 20, v10
	v_and_b32_e32 v14, 0x80000000, v14
	v_lshl_add_u32 v11, v11, 23, v15
	v_or3_b32 v10, v14, v11, v10
.LBB54_68:
	s_or_b64 exec, exec, s[6:7]
	s_movk_i32 s4, 0x7f
	v_cmp_gt_i16_sdwa s[6:7], v12, s4 src0_sel:BYTE_0 src1_sel:DWORD
	s_mov_b64 s[4:5], 0
                                        ; implicit-def: $sgpr10
	s_and_saveexec_b64 s[8:9], s[6:7]
	s_xor_b64 s[6:7], exec, s[8:9]
	s_cbranch_execnz .LBB54_2117
; %bb.69:
	s_or_saveexec_b64 s[6:7], s[6:7]
	v_mov_b32_e32 v11, s10
	s_xor_b64 exec, exec, s[6:7]
	s_cbranch_execnz .LBB54_2120
.LBB54_70:
	s_or_b64 exec, exec, s[6:7]
	s_and_saveexec_b64 s[6:7], s[4:5]
	s_cbranch_execz .LBB54_72
.LBB54_71:
	v_and_b32_e32 v11, 7, v12
	v_ffbh_u32_e32 v15, v11
	v_min_u32_e32 v15, 32, v15
	v_lshrrev_b16_e32 v14, 3, v12
	v_subrev_u32_e32 v20, 28, v15
	v_and_b32_e32 v14, 15, v14
	v_lshlrev_b32_e32 v20, v20, v12
	v_sub_u32_e32 v15, 29, v15
	v_and_b32_e32 v20, 7, v20
	v_cmp_eq_u16_e32 vcc, 0, v14
	v_cndmask_b32_e32 v11, v11, v20, vcc
	v_cndmask_b32_e32 v14, v14, v15, vcc
	v_lshlrev_b32_e32 v15, 24, v12
	v_mov_b32_e32 v20, 0x3b800000
	v_lshlrev_b32_e32 v11, 20, v11
	v_and_b32_e32 v15, 0x80000000, v15
	v_lshl_add_u32 v14, v14, 23, v20
	v_or3_b32 v11, v15, v14, v11
.LBB54_72:
	s_or_b64 exec, exec, s[6:7]
	s_nop 0
	v_mfma_f32_16x16x4f32 a[0:3], v10, v11, a[0:3]
	v_lshrrev_b32_e32 v11, 8, v16
	s_movk_i32 s4, 0x7f
	v_cmp_gt_i16_sdwa s[6:7], v11, s4 src0_sel:BYTE_0 src1_sel:DWORD
	s_mov_b64 s[4:5], 0
                                        ; implicit-def: $sgpr10
	s_and_saveexec_b64 s[8:9], s[6:7]
	s_xor_b64 s[6:7], exec, s[8:9]
	s_cbranch_execnz .LBB54_2121
; %bb.73:
	s_or_saveexec_b64 s[6:7], s[6:7]
	v_mov_b32_e32 v10, s10
	s_xor_b64 exec, exec, s[6:7]
	s_cbranch_execnz .LBB54_2124
.LBB54_74:
	s_or_b64 exec, exec, s[6:7]
	s_and_saveexec_b64 s[6:7], s[4:5]
	s_cbranch_execz .LBB54_76
.LBB54_75:
	v_bfe_u32 v10, v16, 8, 3
	v_ffbh_u32_e32 v15, v10
	v_min_u32_e32 v15, 32, v15
	v_lshrrev_b16_e32 v14, 3, v11
	v_subrev_u32_e32 v20, 28, v15
	v_and_b32_e32 v14, 15, v14
	v_lshlrev_b32_e32 v11, v20, v11
	v_sub_u32_e32 v15, 29, v15
	v_and_b32_e32 v11, 7, v11
	v_cmp_eq_u16_e32 vcc, 0, v14
	v_cndmask_b32_e32 v10, v10, v11, vcc
	v_cndmask_b32_e32 v11, v14, v15, vcc
	v_lshlrev_b32_e32 v14, 16, v16
	v_mov_b32_e32 v15, 0x3b800000
	v_lshlrev_b32_e32 v10, 20, v10
	v_and_b32_e32 v14, 0x80000000, v14
	v_lshl_add_u32 v11, v11, 23, v15
	v_or3_b32 v10, v14, v11, v10
.LBB54_76:
	s_or_b64 exec, exec, s[6:7]
	v_lshrrev_b32_e32 v11, 8, v12
	s_movk_i32 s4, 0x7f
	v_cmp_gt_i16_sdwa s[6:7], v11, s4 src0_sel:BYTE_0 src1_sel:DWORD
	s_mov_b64 s[4:5], 0
                                        ; implicit-def: $sgpr10
	s_and_saveexec_b64 s[8:9], s[6:7]
	s_xor_b64 s[6:7], exec, s[8:9]
	s_cbranch_execnz .LBB54_2125
; %bb.77:
	s_or_saveexec_b64 s[6:7], s[6:7]
	v_mov_b32_e32 v14, s10
	s_xor_b64 exec, exec, s[6:7]
	s_cbranch_execnz .LBB54_2128
.LBB54_78:
	s_or_b64 exec, exec, s[6:7]
	s_and_saveexec_b64 s[6:7], s[4:5]
	s_cbranch_execz .LBB54_80
.LBB54_79:
	v_bfe_u32 v14, v12, 8, 3
	v_ffbh_u32_e32 v20, v14
	v_min_u32_e32 v20, 32, v20
	v_lshrrev_b16_e32 v15, 3, v11
	v_subrev_u32_e32 v21, 28, v20
	v_and_b32_e32 v15, 15, v15
	v_lshlrev_b32_e32 v11, v21, v11
	v_sub_u32_e32 v20, 29, v20
	v_and_b32_e32 v11, 7, v11
	v_cmp_eq_u16_e32 vcc, 0, v15
	v_cndmask_b32_e32 v11, v14, v11, vcc
	v_cndmask_b32_e32 v14, v15, v20, vcc
	v_lshlrev_b32_e32 v15, 16, v12
	v_mov_b32_e32 v20, 0x3b800000
	v_lshlrev_b32_e32 v11, 20, v11
	v_and_b32_e32 v15, 0x80000000, v15
	v_lshl_add_u32 v14, v14, 23, v20
	v_or3_b32 v14, v15, v14, v11
.LBB54_80:
	s_or_b64 exec, exec, s[6:7]
	s_nop 0
	v_mfma_f32_16x16x4f32 a[0:3], v10, v14, a[0:3]
	s_movk_i32 s4, 0xff
	v_and_b32_sdwa v11, v16, s4 dst_sel:DWORD dst_unused:UNUSED_PAD src0_sel:WORD_1 src1_sel:DWORD
	s_movk_i32 s4, 0x7f
	v_cmp_lt_i16_e32 vcc, s4, v11
	s_mov_b64 s[4:5], 0
                                        ; implicit-def: $sgpr10
	s_and_saveexec_b64 s[6:7], vcc
	s_xor_b64 s[6:7], exec, s[6:7]
	s_cbranch_execnz .LBB54_2129
; %bb.81:
	s_or_saveexec_b64 s[6:7], s[6:7]
	v_mov_b32_e32 v10, s10
	s_xor_b64 exec, exec, s[6:7]
	s_cbranch_execnz .LBB54_2132
.LBB54_82:
	s_or_b64 exec, exec, s[6:7]
	s_and_saveexec_b64 s[6:7], s[4:5]
	s_cbranch_execz .LBB54_84
.LBB54_83:
	v_bfe_u32 v10, v16, 16, 3
	v_ffbh_u32_e32 v15, v10
	v_min_u32_e32 v15, 32, v15
	v_lshrrev_b32_e32 v11, 19, v16
	v_subrev_u32_e32 v20, 28, v15
	v_and_b32_e32 v11, 15, v11
	v_lshlrev_b32_sdwa v20, v20, v16 dst_sel:DWORD dst_unused:UNUSED_PAD src0_sel:DWORD src1_sel:WORD_1
	v_bfe_u32 v14, v16, 19, 4
	v_sub_u32_e32 v15, 29, v15
	v_and_b32_e32 v20, 7, v20
	v_cmp_eq_u16_e32 vcc, 0, v11
	v_cndmask_b32_e32 v10, v10, v20, vcc
	v_cndmask_b32_e32 v11, v14, v15, vcc
	v_lshlrev_b32_e32 v14, 8, v16
	v_mov_b32_e32 v15, 0x3b800000
	v_lshlrev_b32_e32 v10, 20, v10
	v_and_b32_e32 v14, 0x80000000, v14
	v_lshl_add_u32 v11, v11, 23, v15
	v_or3_b32 v10, v14, v11, v10
.LBB54_84:
	s_or_b64 exec, exec, s[6:7]
	s_movk_i32 s4, 0xff
	v_and_b32_sdwa v11, v12, s4 dst_sel:DWORD dst_unused:UNUSED_PAD src0_sel:WORD_1 src1_sel:DWORD
	s_movk_i32 s4, 0x7f
	v_cmp_lt_i16_e32 vcc, s4, v11
	s_mov_b64 s[4:5], 0
                                        ; implicit-def: $sgpr10
	s_and_saveexec_b64 s[6:7], vcc
	s_xor_b64 s[6:7], exec, s[6:7]
	s_cbranch_execnz .LBB54_2133
; %bb.85:
	s_or_saveexec_b64 s[6:7], s[6:7]
	v_mov_b32_e32 v14, s10
	s_xor_b64 exec, exec, s[6:7]
	s_cbranch_execnz .LBB54_2136
.LBB54_86:
	s_or_b64 exec, exec, s[6:7]
	s_and_saveexec_b64 s[6:7], s[4:5]
	s_cbranch_execz .LBB54_88
.LBB54_87:
	v_bfe_u32 v11, v12, 16, 3
	v_ffbh_u32_e32 v20, v11
	v_min_u32_e32 v20, 32, v20
	v_lshrrev_b32_e32 v14, 19, v12
	v_subrev_u32_e32 v21, 28, v20
	v_and_b32_e32 v14, 15, v14
	v_lshlrev_b32_sdwa v21, v21, v12 dst_sel:DWORD dst_unused:UNUSED_PAD src0_sel:DWORD src1_sel:WORD_1
	v_bfe_u32 v15, v12, 19, 4
	v_sub_u32_e32 v20, 29, v20
	v_and_b32_e32 v21, 7, v21
	v_cmp_eq_u16_e32 vcc, 0, v14
	v_cndmask_b32_e32 v11, v11, v21, vcc
	v_cndmask_b32_e32 v14, v15, v20, vcc
	v_lshlrev_b32_e32 v15, 8, v12
	v_mov_b32_e32 v20, 0x3b800000
	v_lshlrev_b32_e32 v11, 20, v11
	v_and_b32_e32 v15, 0x80000000, v15
	v_lshl_add_u32 v14, v14, 23, v20
	v_or3_b32 v14, v15, v14, v11
.LBB54_88:
	s_or_b64 exec, exec, s[6:7]
	s_nop 0
	v_mfma_f32_16x16x4f32 a[0:3], v10, v14, a[0:3]
	s_movk_i32 s4, 0x7f
	v_cmp_gt_i16_sdwa s[6:7], v16, s4 src0_sel:BYTE_3 src1_sel:DWORD
	s_mov_b64 s[4:5], 0
                                        ; implicit-def: $sgpr10
	s_and_saveexec_b64 s[8:9], s[6:7]
	s_xor_b64 s[6:7], exec, s[8:9]
	s_cbranch_execnz .LBB54_2137
; %bb.89:
	s_or_saveexec_b64 s[6:7], s[6:7]
	v_mov_b32_e32 v10, s10
	s_xor_b64 exec, exec, s[6:7]
	s_cbranch_execnz .LBB54_2140
.LBB54_90:
	s_or_b64 exec, exec, s[6:7]
	s_and_saveexec_b64 s[6:7], s[4:5]
	s_cbranch_execz .LBB54_92
.LBB54_91:
	v_bfe_u32 v10, v16, 24, 3
	v_ffbh_u32_e32 v20, v10
	v_min_u32_e32 v20, 32, v20
	v_lshrrev_b32_e32 v14, 27, v16
	v_subrev_u32_e32 v21, 28, v20
	v_and_b32_e32 v11, 0x80000000, v16
	v_and_b32_e32 v14, 15, v14
	v_bfe_u32 v15, v16, 27, 4
	v_lshlrev_b32_sdwa v16, v21, v16 dst_sel:DWORD dst_unused:UNUSED_PAD src0_sel:DWORD src1_sel:BYTE_3
	v_sub_u32_e32 v20, 29, v20
	v_and_b32_e32 v16, 7, v16
	v_cmp_eq_u16_e32 vcc, 0, v14
	v_cndmask_b32_e32 v10, v10, v16, vcc
	v_cndmask_b32_e32 v14, v15, v20, vcc
	v_mov_b32_e32 v15, 0x3b800000
	v_lshlrev_b32_e32 v10, 20, v10
	v_lshl_add_u32 v14, v14, 23, v15
	v_or3_b32 v10, v11, v14, v10
.LBB54_92:
	s_or_b64 exec, exec, s[6:7]
	s_movk_i32 s4, 0x7f
	v_cmp_gt_i16_sdwa s[6:7], v12, s4 src0_sel:BYTE_3 src1_sel:DWORD
	s_mov_b64 s[4:5], 0
                                        ; implicit-def: $sgpr10
	s_and_saveexec_b64 s[8:9], s[6:7]
	s_xor_b64 s[6:7], exec, s[8:9]
	s_cbranch_execnz .LBB54_2141
; %bb.93:
	s_or_saveexec_b64 s[6:7], s[6:7]
	v_mov_b32_e32 v11, s10
	s_xor_b64 exec, exec, s[6:7]
	s_cbranch_execnz .LBB54_2144
.LBB54_94:
	s_or_b64 exec, exec, s[6:7]
	s_and_saveexec_b64 s[6:7], s[4:5]
	s_cbranch_execz .LBB54_96
.LBB54_95:
	v_bfe_u32 v11, v12, 24, 3
	v_ffbh_u32_e32 v20, v11
	v_min_u32_e32 v20, 32, v20
	v_lshrrev_b32_e32 v15, 27, v12
	v_subrev_u32_e32 v21, 28, v20
	v_and_b32_e32 v14, 0x80000000, v12
	v_and_b32_e32 v15, 15, v15
	v_bfe_u32 v16, v12, 27, 4
	v_lshlrev_b32_sdwa v12, v21, v12 dst_sel:DWORD dst_unused:UNUSED_PAD src0_sel:DWORD src1_sel:BYTE_3
	v_sub_u32_e32 v20, 29, v20
	v_and_b32_e32 v12, 7, v12
	v_cmp_eq_u16_e32 vcc, 0, v15
	v_cndmask_b32_e32 v11, v11, v12, vcc
	v_cndmask_b32_e32 v12, v16, v20, vcc
	v_mov_b32_e32 v15, 0x3b800000
	v_lshlrev_b32_e32 v11, 20, v11
	v_lshl_add_u32 v12, v12, 23, v15
	v_or3_b32 v11, v14, v12, v11
.LBB54_96:
	s_or_b64 exec, exec, s[6:7]
	s_nop 0
	v_mfma_f32_16x16x4f32 a[0:3], v10, v11, a[0:3]
	s_movk_i32 s4, 0x7f
	v_cmp_gt_i16_sdwa s[6:7], v17, s4 src0_sel:BYTE_0 src1_sel:DWORD
	s_mov_b64 s[4:5], 0
                                        ; implicit-def: $sgpr10
	s_and_saveexec_b64 s[8:9], s[6:7]
	s_xor_b64 s[6:7], exec, s[8:9]
	s_cbranch_execnz .LBB54_2145
; %bb.97:
	s_or_saveexec_b64 s[6:7], s[6:7]
	v_mov_b32_e32 v10, s10
	s_xor_b64 exec, exec, s[6:7]
	s_cbranch_execnz .LBB54_2148
.LBB54_98:
	s_or_b64 exec, exec, s[6:7]
	s_and_saveexec_b64 s[6:7], s[4:5]
	s_cbranch_execz .LBB54_100
.LBB54_99:
	v_and_b32_e32 v10, 7, v17
	v_ffbh_u32_e32 v12, v10
	v_min_u32_e32 v12, 32, v12
	v_lshrrev_b16_e32 v11, 3, v17
	v_subrev_u32_e32 v14, 28, v12
	v_and_b32_e32 v11, 15, v11
	v_lshlrev_b32_e32 v14, v14, v17
	v_sub_u32_e32 v12, 29, v12
	v_and_b32_e32 v14, 7, v14
	v_cmp_eq_u16_e32 vcc, 0, v11
	v_cndmask_b32_e32 v10, v10, v14, vcc
	v_cndmask_b32_e32 v11, v11, v12, vcc
	v_lshlrev_b32_e32 v12, 24, v17
	v_mov_b32_e32 v14, 0x3b800000
	v_lshlrev_b32_e32 v10, 20, v10
	v_and_b32_e32 v12, 0x80000000, v12
	v_lshl_add_u32 v11, v11, 23, v14
	v_or3_b32 v10, v12, v11, v10
.LBB54_100:
	s_or_b64 exec, exec, s[6:7]
	s_movk_i32 s4, 0x7f
	v_cmp_gt_i16_sdwa s[6:7], v13, s4 src0_sel:BYTE_0 src1_sel:DWORD
	s_mov_b64 s[4:5], 0
                                        ; implicit-def: $sgpr10
	s_and_saveexec_b64 s[8:9], s[6:7]
	s_xor_b64 s[6:7], exec, s[8:9]
	s_cbranch_execnz .LBB54_2149
; %bb.101:
	s_or_saveexec_b64 s[6:7], s[6:7]
	v_mov_b32_e32 v11, s10
	s_xor_b64 exec, exec, s[6:7]
	s_cbranch_execnz .LBB54_2152
.LBB54_102:
	s_or_b64 exec, exec, s[6:7]
	s_and_saveexec_b64 s[6:7], s[4:5]
	s_cbranch_execz .LBB54_104
.LBB54_103:
	v_and_b32_e32 v11, 7, v13
	v_ffbh_u32_e32 v14, v11
	v_min_u32_e32 v14, 32, v14
	v_lshrrev_b16_e32 v12, 3, v13
	v_subrev_u32_e32 v15, 28, v14
	v_and_b32_e32 v12, 15, v12
	v_lshlrev_b32_e32 v15, v15, v13
	v_sub_u32_e32 v14, 29, v14
	v_and_b32_e32 v15, 7, v15
	v_cmp_eq_u16_e32 vcc, 0, v12
	v_cndmask_b32_e32 v11, v11, v15, vcc
	v_cndmask_b32_e32 v12, v12, v14, vcc
	v_lshlrev_b32_e32 v14, 24, v13
	v_mov_b32_e32 v15, 0x3b800000
	v_lshlrev_b32_e32 v11, 20, v11
	v_and_b32_e32 v14, 0x80000000, v14
	v_lshl_add_u32 v12, v12, 23, v15
	v_or3_b32 v11, v14, v12, v11
.LBB54_104:
	s_or_b64 exec, exec, s[6:7]
	s_nop 0
	v_mfma_f32_16x16x4f32 a[0:3], v10, v11, a[0:3]
	v_lshrrev_b32_e32 v11, 8, v17
	s_movk_i32 s4, 0x7f
	v_cmp_gt_i16_sdwa s[6:7], v11, s4 src0_sel:BYTE_0 src1_sel:DWORD
	s_mov_b64 s[4:5], 0
                                        ; implicit-def: $sgpr10
	s_and_saveexec_b64 s[8:9], s[6:7]
	s_xor_b64 s[6:7], exec, s[8:9]
	s_cbranch_execnz .LBB54_2153
; %bb.105:
	s_or_saveexec_b64 s[6:7], s[6:7]
	v_mov_b32_e32 v10, s10
	s_xor_b64 exec, exec, s[6:7]
	s_cbranch_execnz .LBB54_2156
.LBB54_106:
	s_or_b64 exec, exec, s[6:7]
	s_and_saveexec_b64 s[6:7], s[4:5]
	s_cbranch_execz .LBB54_108
.LBB54_107:
	v_bfe_u32 v10, v17, 8, 3
	v_ffbh_u32_e32 v14, v10
	v_min_u32_e32 v14, 32, v14
	v_lshrrev_b16_e32 v12, 3, v11
	v_subrev_u32_e32 v15, 28, v14
	v_and_b32_e32 v12, 15, v12
	v_lshlrev_b32_e32 v11, v15, v11
	v_sub_u32_e32 v14, 29, v14
	v_and_b32_e32 v11, 7, v11
	v_cmp_eq_u16_e32 vcc, 0, v12
	v_cndmask_b32_e32 v10, v10, v11, vcc
	v_cndmask_b32_e32 v11, v12, v14, vcc
	v_lshlrev_b32_e32 v12, 16, v17
	v_mov_b32_e32 v14, 0x3b800000
	v_lshlrev_b32_e32 v10, 20, v10
	v_and_b32_e32 v12, 0x80000000, v12
	v_lshl_add_u32 v11, v11, 23, v14
	v_or3_b32 v10, v12, v11, v10
.LBB54_108:
	s_or_b64 exec, exec, s[6:7]
	v_lshrrev_b32_e32 v11, 8, v13
	s_movk_i32 s4, 0x7f
	v_cmp_gt_i16_sdwa s[6:7], v11, s4 src0_sel:BYTE_0 src1_sel:DWORD
	s_mov_b64 s[4:5], 0
                                        ; implicit-def: $sgpr10
	s_and_saveexec_b64 s[8:9], s[6:7]
	s_xor_b64 s[6:7], exec, s[8:9]
	s_cbranch_execnz .LBB54_2157
; %bb.109:
	s_or_saveexec_b64 s[6:7], s[6:7]
	v_mov_b32_e32 v12, s10
	s_xor_b64 exec, exec, s[6:7]
	s_cbranch_execnz .LBB54_2160
.LBB54_110:
	s_or_b64 exec, exec, s[6:7]
	s_and_saveexec_b64 s[6:7], s[4:5]
	s_cbranch_execz .LBB54_112
.LBB54_111:
	v_bfe_u32 v12, v13, 8, 3
	v_ffbh_u32_e32 v15, v12
	v_min_u32_e32 v15, 32, v15
	v_lshrrev_b16_e32 v14, 3, v11
	v_subrev_u32_e32 v16, 28, v15
	v_and_b32_e32 v14, 15, v14
	v_lshlrev_b32_e32 v11, v16, v11
	v_sub_u32_e32 v15, 29, v15
	v_and_b32_e32 v11, 7, v11
	v_cmp_eq_u16_e32 vcc, 0, v14
	v_cndmask_b32_e32 v11, v12, v11, vcc
	v_cndmask_b32_e32 v12, v14, v15, vcc
	v_lshlrev_b32_e32 v14, 16, v13
	v_mov_b32_e32 v15, 0x3b800000
	v_lshlrev_b32_e32 v11, 20, v11
	v_and_b32_e32 v14, 0x80000000, v14
	v_lshl_add_u32 v12, v12, 23, v15
	v_or3_b32 v12, v14, v12, v11
.LBB54_112:
	s_or_b64 exec, exec, s[6:7]
	s_nop 0
	v_mfma_f32_16x16x4f32 a[0:3], v10, v12, a[0:3]
	s_movk_i32 s4, 0xff
	v_and_b32_sdwa v11, v17, s4 dst_sel:DWORD dst_unused:UNUSED_PAD src0_sel:WORD_1 src1_sel:DWORD
	s_movk_i32 s4, 0x7f
	v_cmp_lt_i16_e32 vcc, s4, v11
	s_mov_b64 s[4:5], 0
                                        ; implicit-def: $sgpr10
	s_and_saveexec_b64 s[6:7], vcc
	s_xor_b64 s[6:7], exec, s[6:7]
	s_cbranch_execnz .LBB54_2161
; %bb.113:
	s_or_saveexec_b64 s[6:7], s[6:7]
	v_mov_b32_e32 v10, s10
	s_xor_b64 exec, exec, s[6:7]
	s_cbranch_execnz .LBB54_2164
.LBB54_114:
	s_or_b64 exec, exec, s[6:7]
	s_and_saveexec_b64 s[6:7], s[4:5]
	s_cbranch_execz .LBB54_116
.LBB54_115:
	v_bfe_u32 v10, v17, 16, 3
	v_ffbh_u32_e32 v14, v10
	v_min_u32_e32 v14, 32, v14
	v_lshrrev_b32_e32 v11, 19, v17
	v_subrev_u32_e32 v15, 28, v14
	v_and_b32_e32 v11, 15, v11
	v_lshlrev_b32_sdwa v15, v15, v17 dst_sel:DWORD dst_unused:UNUSED_PAD src0_sel:DWORD src1_sel:WORD_1
	v_bfe_u32 v12, v17, 19, 4
	v_sub_u32_e32 v14, 29, v14
	v_and_b32_e32 v15, 7, v15
	v_cmp_eq_u16_e32 vcc, 0, v11
	v_cndmask_b32_e32 v10, v10, v15, vcc
	v_cndmask_b32_e32 v11, v12, v14, vcc
	v_lshlrev_b32_e32 v12, 8, v17
	v_mov_b32_e32 v14, 0x3b800000
	v_lshlrev_b32_e32 v10, 20, v10
	v_and_b32_e32 v12, 0x80000000, v12
	v_lshl_add_u32 v11, v11, 23, v14
	v_or3_b32 v10, v12, v11, v10
.LBB54_116:
	s_or_b64 exec, exec, s[6:7]
	s_movk_i32 s4, 0xff
	v_and_b32_sdwa v11, v13, s4 dst_sel:DWORD dst_unused:UNUSED_PAD src0_sel:WORD_1 src1_sel:DWORD
	s_movk_i32 s4, 0x7f
	v_cmp_lt_i16_e32 vcc, s4, v11
	s_mov_b64 s[4:5], 0
                                        ; implicit-def: $sgpr10
	s_and_saveexec_b64 s[6:7], vcc
	s_xor_b64 s[6:7], exec, s[6:7]
	s_cbranch_execnz .LBB54_2165
; %bb.117:
	s_or_saveexec_b64 s[6:7], s[6:7]
	v_mov_b32_e32 v12, s10
	s_xor_b64 exec, exec, s[6:7]
	s_cbranch_execnz .LBB54_2168
.LBB54_118:
	s_or_b64 exec, exec, s[6:7]
	s_and_saveexec_b64 s[6:7], s[4:5]
	s_cbranch_execz .LBB54_120
.LBB54_119:
	v_bfe_u32 v11, v13, 16, 3
	v_ffbh_u32_e32 v15, v11
	v_min_u32_e32 v15, 32, v15
	v_lshrrev_b32_e32 v12, 19, v13
	v_subrev_u32_e32 v16, 28, v15
	v_and_b32_e32 v12, 15, v12
	v_lshlrev_b32_sdwa v16, v16, v13 dst_sel:DWORD dst_unused:UNUSED_PAD src0_sel:DWORD src1_sel:WORD_1
	v_bfe_u32 v14, v13, 19, 4
	v_sub_u32_e32 v15, 29, v15
	v_and_b32_e32 v16, 7, v16
	v_cmp_eq_u16_e32 vcc, 0, v12
	v_cndmask_b32_e32 v11, v11, v16, vcc
	v_cndmask_b32_e32 v12, v14, v15, vcc
	v_lshlrev_b32_e32 v14, 8, v13
	v_mov_b32_e32 v15, 0x3b800000
	v_lshlrev_b32_e32 v11, 20, v11
	v_and_b32_e32 v14, 0x80000000, v14
	v_lshl_add_u32 v12, v12, 23, v15
	v_or3_b32 v12, v14, v12, v11
.LBB54_120:
	s_or_b64 exec, exec, s[6:7]
	s_nop 0
	v_mfma_f32_16x16x4f32 a[0:3], v10, v12, a[0:3]
	s_movk_i32 s4, 0x7f
	v_cmp_gt_i16_sdwa s[6:7], v17, s4 src0_sel:BYTE_3 src1_sel:DWORD
	s_mov_b64 s[4:5], 0
                                        ; implicit-def: $sgpr10
	s_and_saveexec_b64 s[8:9], s[6:7]
	s_xor_b64 s[6:7], exec, s[8:9]
	s_cbranch_execnz .LBB54_2169
; %bb.121:
	s_or_saveexec_b64 s[6:7], s[6:7]
	v_mov_b32_e32 v10, s10
	s_xor_b64 exec, exec, s[6:7]
	s_cbranch_execnz .LBB54_2172
.LBB54_122:
	s_or_b64 exec, exec, s[6:7]
	s_and_saveexec_b64 s[6:7], s[4:5]
	s_cbranch_execz .LBB54_124
.LBB54_123:
	v_bfe_u32 v10, v17, 24, 3
	v_ffbh_u32_e32 v15, v10
	v_min_u32_e32 v15, 32, v15
	v_lshrrev_b32_e32 v12, 27, v17
	v_subrev_u32_e32 v16, 28, v15
	v_and_b32_e32 v12, 15, v12
	v_lshlrev_b32_sdwa v16, v16, v17 dst_sel:DWORD dst_unused:UNUSED_PAD src0_sel:DWORD src1_sel:BYTE_3
	v_bfe_u32 v14, v17, 27, 4
	v_sub_u32_e32 v15, 29, v15
	v_and_b32_e32 v16, 7, v16
	v_cmp_eq_u16_e32 vcc, 0, v12
	v_cndmask_b32_e32 v10, v10, v16, vcc
	v_cndmask_b32_e32 v12, v14, v15, vcc
	v_mov_b32_e32 v14, 0x3b800000
	v_and_b32_e32 v11, 0x80000000, v17
	v_lshlrev_b32_e32 v10, 20, v10
	v_lshl_add_u32 v12, v12, 23, v14
	v_or3_b32 v10, v11, v12, v10
.LBB54_124:
	s_or_b64 exec, exec, s[6:7]
	s_movk_i32 s4, 0x7f
	v_cmp_gt_i16_sdwa s[6:7], v13, s4 src0_sel:BYTE_3 src1_sel:DWORD
	s_mov_b64 s[4:5], 0
                                        ; implicit-def: $sgpr10
	s_and_saveexec_b64 s[8:9], s[6:7]
	s_xor_b64 s[6:7], exec, s[8:9]
	s_cbranch_execnz .LBB54_2173
; %bb.125:
	s_or_saveexec_b64 s[6:7], s[6:7]
	v_mov_b32_e32 v11, s10
	s_xor_b64 exec, exec, s[6:7]
	s_cbranch_execnz .LBB54_2176
.LBB54_126:
	s_or_b64 exec, exec, s[6:7]
	s_and_saveexec_b64 s[6:7], s[4:5]
	s_cbranch_execz .LBB54_128
.LBB54_127:
	v_bfe_u32 v11, v13, 24, 3
	v_ffbh_u32_e32 v16, v11
	v_min_u32_e32 v16, 32, v16
	v_lshrrev_b32_e32 v14, 27, v13
	v_subrev_u32_e32 v17, 28, v16
	v_and_b32_e32 v12, 0x80000000, v13
	v_and_b32_e32 v14, 15, v14
	v_bfe_u32 v15, v13, 27, 4
	v_lshlrev_b32_sdwa v13, v17, v13 dst_sel:DWORD dst_unused:UNUSED_PAD src0_sel:DWORD src1_sel:BYTE_3
	v_sub_u32_e32 v16, 29, v16
	v_and_b32_e32 v13, 7, v13
	v_cmp_eq_u16_e32 vcc, 0, v14
	v_cndmask_b32_e32 v11, v11, v13, vcc
	v_cndmask_b32_e32 v13, v15, v16, vcc
	v_mov_b32_e32 v14, 0x3b800000
	v_lshlrev_b32_e32 v11, 20, v11
	v_lshl_add_u32 v13, v13, 23, v14
	v_or3_b32 v11, v12, v13, v11
.LBB54_128:
	s_or_b64 exec, exec, s[6:7]
	s_nop 0
	v_mfma_f32_16x16x4f32 a[0:3], v10, v11, a[0:3]
	s_movk_i32 s4, 0x7f
	v_cmp_gt_i16_sdwa s[6:7], v6, s4 src0_sel:BYTE_0 src1_sel:DWORD
	s_mov_b64 s[4:5], 0
                                        ; implicit-def: $sgpr10
	s_and_saveexec_b64 s[8:9], s[6:7]
	s_xor_b64 s[6:7], exec, s[8:9]
	s_cbranch_execnz .LBB54_2177
; %bb.129:
	s_or_saveexec_b64 s[6:7], s[6:7]
	v_mov_b32_e32 v10, s10
	s_xor_b64 exec, exec, s[6:7]
	s_cbranch_execnz .LBB54_2180
.LBB54_130:
	s_or_b64 exec, exec, s[6:7]
	s_and_saveexec_b64 s[6:7], s[4:5]
	s_cbranch_execz .LBB54_132
.LBB54_131:
	v_and_b32_e32 v10, 7, v6
	v_ffbh_u32_e32 v12, v10
	v_min_u32_e32 v12, 32, v12
	v_lshrrev_b16_e32 v11, 3, v6
	v_subrev_u32_e32 v13, 28, v12
	v_and_b32_e32 v11, 15, v11
	v_lshlrev_b32_e32 v13, v13, v6
	v_sub_u32_e32 v12, 29, v12
	v_and_b32_e32 v13, 7, v13
	v_cmp_eq_u16_e32 vcc, 0, v11
	v_cndmask_b32_e32 v10, v10, v13, vcc
	v_cndmask_b32_e32 v11, v11, v12, vcc
	v_lshlrev_b32_e32 v12, 24, v6
	v_mov_b32_e32 v13, 0x3b800000
	v_lshlrev_b32_e32 v10, 20, v10
	v_and_b32_e32 v12, 0x80000000, v12
	v_lshl_add_u32 v11, v11, 23, v13
	v_or3_b32 v10, v12, v11, v10
.LBB54_132:
	s_or_b64 exec, exec, s[6:7]
	s_movk_i32 s4, 0x7f
	v_cmp_gt_i16_sdwa s[6:7], v2, s4 src0_sel:BYTE_0 src1_sel:DWORD
	s_mov_b64 s[4:5], 0
                                        ; implicit-def: $sgpr10
	s_and_saveexec_b64 s[8:9], s[6:7]
	s_xor_b64 s[6:7], exec, s[8:9]
	s_cbranch_execnz .LBB54_2181
; %bb.133:
	s_or_saveexec_b64 s[6:7], s[6:7]
	v_mov_b32_e32 v11, s10
	s_xor_b64 exec, exec, s[6:7]
	s_cbranch_execnz .LBB54_2184
.LBB54_134:
	s_or_b64 exec, exec, s[6:7]
	s_and_saveexec_b64 s[6:7], s[4:5]
	s_cbranch_execz .LBB54_136
.LBB54_135:
	v_and_b32_e32 v11, 7, v2
	v_ffbh_u32_e32 v13, v11
	v_min_u32_e32 v13, 32, v13
	v_lshrrev_b16_e32 v12, 3, v2
	v_subrev_u32_e32 v14, 28, v13
	v_and_b32_e32 v12, 15, v12
	v_lshlrev_b32_e32 v14, v14, v2
	v_sub_u32_e32 v13, 29, v13
	v_and_b32_e32 v14, 7, v14
	v_cmp_eq_u16_e32 vcc, 0, v12
	v_cndmask_b32_e32 v11, v11, v14, vcc
	v_cndmask_b32_e32 v12, v12, v13, vcc
	v_lshlrev_b32_e32 v13, 24, v2
	v_mov_b32_e32 v14, 0x3b800000
	v_lshlrev_b32_e32 v11, 20, v11
	v_and_b32_e32 v13, 0x80000000, v13
	v_lshl_add_u32 v12, v12, 23, v14
	v_or3_b32 v11, v13, v12, v11
.LBB54_136:
	s_or_b64 exec, exec, s[6:7]
	s_nop 0
	v_mfma_f32_16x16x4f32 a[0:3], v10, v11, a[0:3]
	v_lshrrev_b32_e32 v11, 8, v6
	s_movk_i32 s4, 0x7f
	v_cmp_gt_i16_sdwa s[6:7], v11, s4 src0_sel:BYTE_0 src1_sel:DWORD
	s_mov_b64 s[4:5], 0
                                        ; implicit-def: $sgpr10
	s_and_saveexec_b64 s[8:9], s[6:7]
	s_xor_b64 s[6:7], exec, s[8:9]
	s_cbranch_execnz .LBB54_2185
; %bb.137:
	s_or_saveexec_b64 s[6:7], s[6:7]
	v_mov_b32_e32 v10, s10
	s_xor_b64 exec, exec, s[6:7]
	s_cbranch_execnz .LBB54_2188
.LBB54_138:
	s_or_b64 exec, exec, s[6:7]
	s_and_saveexec_b64 s[6:7], s[4:5]
	s_cbranch_execz .LBB54_140
.LBB54_139:
	v_bfe_u32 v10, v6, 8, 3
	v_ffbh_u32_e32 v13, v10
	v_min_u32_e32 v13, 32, v13
	v_lshrrev_b16_e32 v12, 3, v11
	v_subrev_u32_e32 v14, 28, v13
	v_and_b32_e32 v12, 15, v12
	v_lshlrev_b32_e32 v11, v14, v11
	v_sub_u32_e32 v13, 29, v13
	v_and_b32_e32 v11, 7, v11
	v_cmp_eq_u16_e32 vcc, 0, v12
	v_cndmask_b32_e32 v10, v10, v11, vcc
	v_cndmask_b32_e32 v11, v12, v13, vcc
	v_lshlrev_b32_e32 v12, 16, v6
	v_mov_b32_e32 v13, 0x3b800000
	v_lshlrev_b32_e32 v10, 20, v10
	v_and_b32_e32 v12, 0x80000000, v12
	v_lshl_add_u32 v11, v11, 23, v13
	v_or3_b32 v10, v12, v11, v10
.LBB54_140:
	s_or_b64 exec, exec, s[6:7]
	v_lshrrev_b32_e32 v11, 8, v2
	s_movk_i32 s4, 0x7f
	v_cmp_gt_i16_sdwa s[6:7], v11, s4 src0_sel:BYTE_0 src1_sel:DWORD
	s_mov_b64 s[4:5], 0
                                        ; implicit-def: $sgpr10
	s_and_saveexec_b64 s[8:9], s[6:7]
	s_xor_b64 s[6:7], exec, s[8:9]
	s_cbranch_execnz .LBB54_2189
; %bb.141:
	s_or_saveexec_b64 s[6:7], s[6:7]
	v_mov_b32_e32 v12, s10
	s_xor_b64 exec, exec, s[6:7]
	s_cbranch_execnz .LBB54_2192
.LBB54_142:
	s_or_b64 exec, exec, s[6:7]
	s_and_saveexec_b64 s[6:7], s[4:5]
	s_cbranch_execz .LBB54_144
.LBB54_143:
	v_bfe_u32 v12, v2, 8, 3
	v_ffbh_u32_e32 v14, v12
	v_min_u32_e32 v14, 32, v14
	v_lshrrev_b16_e32 v13, 3, v11
	v_subrev_u32_e32 v15, 28, v14
	v_and_b32_e32 v13, 15, v13
	v_lshlrev_b32_e32 v11, v15, v11
	v_sub_u32_e32 v14, 29, v14
	v_and_b32_e32 v11, 7, v11
	v_cmp_eq_u16_e32 vcc, 0, v13
	v_cndmask_b32_e32 v11, v12, v11, vcc
	v_cndmask_b32_e32 v12, v13, v14, vcc
	v_lshlrev_b32_e32 v13, 16, v2
	v_mov_b32_e32 v14, 0x3b800000
	v_lshlrev_b32_e32 v11, 20, v11
	v_and_b32_e32 v13, 0x80000000, v13
	v_lshl_add_u32 v12, v12, 23, v14
	v_or3_b32 v12, v13, v12, v11
.LBB54_144:
	s_or_b64 exec, exec, s[6:7]
	s_nop 0
	v_mfma_f32_16x16x4f32 a[0:3], v10, v12, a[0:3]
	s_movk_i32 s4, 0xff
	v_and_b32_sdwa v11, v6, s4 dst_sel:DWORD dst_unused:UNUSED_PAD src0_sel:WORD_1 src1_sel:DWORD
	s_movk_i32 s4, 0x7f
	v_cmp_lt_i16_e32 vcc, s4, v11
	s_mov_b64 s[4:5], 0
                                        ; implicit-def: $sgpr10
	s_and_saveexec_b64 s[6:7], vcc
	s_xor_b64 s[6:7], exec, s[6:7]
	s_cbranch_execnz .LBB54_2193
; %bb.145:
	s_or_saveexec_b64 s[6:7], s[6:7]
	v_mov_b32_e32 v10, s10
	s_xor_b64 exec, exec, s[6:7]
	s_cbranch_execnz .LBB54_2196
.LBB54_146:
	s_or_b64 exec, exec, s[6:7]
	s_and_saveexec_b64 s[6:7], s[4:5]
	s_cbranch_execz .LBB54_148
.LBB54_147:
	v_bfe_u32 v10, v6, 16, 3
	v_ffbh_u32_e32 v13, v10
	v_min_u32_e32 v13, 32, v13
	v_lshrrev_b32_e32 v11, 19, v6
	v_subrev_u32_e32 v14, 28, v13
	v_and_b32_e32 v11, 15, v11
	v_lshlrev_b32_sdwa v14, v14, v6 dst_sel:DWORD dst_unused:UNUSED_PAD src0_sel:DWORD src1_sel:WORD_1
	v_bfe_u32 v12, v6, 19, 4
	v_sub_u32_e32 v13, 29, v13
	v_and_b32_e32 v14, 7, v14
	v_cmp_eq_u16_e32 vcc, 0, v11
	v_cndmask_b32_e32 v10, v10, v14, vcc
	v_cndmask_b32_e32 v11, v12, v13, vcc
	v_lshlrev_b32_e32 v12, 8, v6
	v_mov_b32_e32 v13, 0x3b800000
	v_lshlrev_b32_e32 v10, 20, v10
	v_and_b32_e32 v12, 0x80000000, v12
	v_lshl_add_u32 v11, v11, 23, v13
	v_or3_b32 v10, v12, v11, v10
.LBB54_148:
	s_or_b64 exec, exec, s[6:7]
	s_movk_i32 s4, 0xff
	v_and_b32_sdwa v11, v2, s4 dst_sel:DWORD dst_unused:UNUSED_PAD src0_sel:WORD_1 src1_sel:DWORD
	s_movk_i32 s4, 0x7f
	v_cmp_lt_i16_e32 vcc, s4, v11
	s_mov_b64 s[4:5], 0
                                        ; implicit-def: $sgpr10
	s_and_saveexec_b64 s[6:7], vcc
	s_xor_b64 s[6:7], exec, s[6:7]
	s_cbranch_execnz .LBB54_2197
; %bb.149:
	s_or_saveexec_b64 s[6:7], s[6:7]
	v_mov_b32_e32 v12, s10
	s_xor_b64 exec, exec, s[6:7]
	s_cbranch_execnz .LBB54_2200
.LBB54_150:
	s_or_b64 exec, exec, s[6:7]
	s_and_saveexec_b64 s[6:7], s[4:5]
	s_cbranch_execz .LBB54_152
.LBB54_151:
	v_bfe_u32 v11, v2, 16, 3
	v_ffbh_u32_e32 v14, v11
	v_min_u32_e32 v14, 32, v14
	v_lshrrev_b32_e32 v12, 19, v2
	v_subrev_u32_e32 v15, 28, v14
	v_and_b32_e32 v12, 15, v12
	v_lshlrev_b32_sdwa v15, v15, v2 dst_sel:DWORD dst_unused:UNUSED_PAD src0_sel:DWORD src1_sel:WORD_1
	v_bfe_u32 v13, v2, 19, 4
	v_sub_u32_e32 v14, 29, v14
	v_and_b32_e32 v15, 7, v15
	v_cmp_eq_u16_e32 vcc, 0, v12
	v_cndmask_b32_e32 v11, v11, v15, vcc
	v_cndmask_b32_e32 v12, v13, v14, vcc
	v_lshlrev_b32_e32 v13, 8, v2
	v_mov_b32_e32 v14, 0x3b800000
	v_lshlrev_b32_e32 v11, 20, v11
	v_and_b32_e32 v13, 0x80000000, v13
	v_lshl_add_u32 v12, v12, 23, v14
	v_or3_b32 v12, v13, v12, v11
.LBB54_152:
	s_or_b64 exec, exec, s[6:7]
	s_nop 0
	v_mfma_f32_16x16x4f32 a[0:3], v10, v12, a[0:3]
	s_movk_i32 s4, 0x7f
	v_cmp_gt_i16_sdwa s[6:7], v6, s4 src0_sel:BYTE_3 src1_sel:DWORD
	s_mov_b64 s[4:5], 0
                                        ; implicit-def: $sgpr10
	s_and_saveexec_b64 s[8:9], s[6:7]
	s_xor_b64 s[6:7], exec, s[8:9]
	s_cbranch_execnz .LBB54_2201
; %bb.153:
	s_or_saveexec_b64 s[6:7], s[6:7]
	v_mov_b32_e32 v10, s10
	s_xor_b64 exec, exec, s[6:7]
	s_cbranch_execnz .LBB54_2204
.LBB54_154:
	s_or_b64 exec, exec, s[6:7]
	s_and_saveexec_b64 s[6:7], s[4:5]
	s_cbranch_execz .LBB54_156
.LBB54_155:
	v_bfe_u32 v10, v6, 24, 3
	v_ffbh_u32_e32 v14, v10
	v_min_u32_e32 v14, 32, v14
	v_lshrrev_b32_e32 v12, 27, v6
	v_subrev_u32_e32 v15, 28, v14
	v_and_b32_e32 v11, 0x80000000, v6
	v_and_b32_e32 v12, 15, v12
	v_bfe_u32 v13, v6, 27, 4
	v_lshlrev_b32_sdwa v6, v15, v6 dst_sel:DWORD dst_unused:UNUSED_PAD src0_sel:DWORD src1_sel:BYTE_3
	v_sub_u32_e32 v14, 29, v14
	v_and_b32_e32 v6, 7, v6
	v_cmp_eq_u16_e32 vcc, 0, v12
	v_cndmask_b32_e32 v6, v10, v6, vcc
	v_cndmask_b32_e32 v10, v13, v14, vcc
	v_mov_b32_e32 v12, 0x3b800000
	v_lshlrev_b32_e32 v6, 20, v6
	v_lshl_add_u32 v10, v10, 23, v12
	v_or3_b32 v10, v11, v10, v6
.LBB54_156:
	s_or_b64 exec, exec, s[6:7]
	s_movk_i32 s4, 0x7f
	v_cmp_gt_i16_sdwa s[6:7], v2, s4 src0_sel:BYTE_3 src1_sel:DWORD
	s_mov_b64 s[4:5], 0
                                        ; implicit-def: $sgpr10
	s_and_saveexec_b64 s[8:9], s[6:7]
	s_xor_b64 s[6:7], exec, s[8:9]
	s_cbranch_execnz .LBB54_2205
; %bb.157:
	s_or_saveexec_b64 s[6:7], s[6:7]
	v_mov_b32_e32 v6, s10
	s_xor_b64 exec, exec, s[6:7]
	s_cbranch_execnz .LBB54_2208
.LBB54_158:
	s_or_b64 exec, exec, s[6:7]
	s_and_saveexec_b64 s[6:7], s[4:5]
	s_cbranch_execz .LBB54_160
.LBB54_159:
	v_bfe_u32 v6, v2, 24, 3
	v_ffbh_u32_e32 v14, v6
	v_min_u32_e32 v14, 32, v14
	v_lshrrev_b32_e32 v12, 27, v2
	v_subrev_u32_e32 v15, 28, v14
	v_and_b32_e32 v11, 0x80000000, v2
	v_and_b32_e32 v12, 15, v12
	v_bfe_u32 v13, v2, 27, 4
	v_lshlrev_b32_sdwa v2, v15, v2 dst_sel:DWORD dst_unused:UNUSED_PAD src0_sel:DWORD src1_sel:BYTE_3
	v_sub_u32_e32 v14, 29, v14
	v_and_b32_e32 v2, 7, v2
	v_cmp_eq_u16_e32 vcc, 0, v12
	v_cndmask_b32_e32 v2, v6, v2, vcc
	v_cndmask_b32_e32 v6, v13, v14, vcc
	v_mov_b32_e32 v12, 0x3b800000
	v_lshlrev_b32_e32 v2, 20, v2
	v_lshl_add_u32 v6, v6, 23, v12
	v_or3_b32 v6, v11, v6, v2
.LBB54_160:
	s_or_b64 exec, exec, s[6:7]
	s_nop 0
	v_mfma_f32_16x16x4f32 a[0:3], v10, v6, a[0:3]
	s_movk_i32 s4, 0x7f
	v_cmp_gt_i16_sdwa s[6:7], v7, s4 src0_sel:BYTE_0 src1_sel:DWORD
	s_mov_b64 s[4:5], 0
                                        ; implicit-def: $sgpr10
	s_and_saveexec_b64 s[8:9], s[6:7]
	s_xor_b64 s[6:7], exec, s[8:9]
	s_cbranch_execnz .LBB54_2209
; %bb.161:
	s_or_saveexec_b64 s[6:7], s[6:7]
	v_mov_b32_e32 v2, s10
	s_xor_b64 exec, exec, s[6:7]
	s_cbranch_execnz .LBB54_2212
.LBB54_162:
	s_or_b64 exec, exec, s[6:7]
	s_and_saveexec_b64 s[6:7], s[4:5]
	s_cbranch_execz .LBB54_164
.LBB54_163:
	v_and_b32_e32 v2, 7, v7
	v_ffbh_u32_e32 v10, v2
	v_min_u32_e32 v10, 32, v10
	v_lshrrev_b16_e32 v6, 3, v7
	v_subrev_u32_e32 v11, 28, v10
	v_and_b32_e32 v6, 15, v6
	v_lshlrev_b32_e32 v11, v11, v7
	v_sub_u32_e32 v10, 29, v10
	v_and_b32_e32 v11, 7, v11
	v_cmp_eq_u16_e32 vcc, 0, v6
	v_cndmask_b32_e32 v2, v2, v11, vcc
	v_cndmask_b32_e32 v6, v6, v10, vcc
	v_lshlrev_b32_e32 v10, 24, v7
	v_mov_b32_e32 v11, 0x3b800000
	v_lshlrev_b32_e32 v2, 20, v2
	v_and_b32_e32 v10, 0x80000000, v10
	v_lshl_add_u32 v6, v6, 23, v11
	v_or3_b32 v2, v10, v6, v2
.LBB54_164:
	s_or_b64 exec, exec, s[6:7]
	s_movk_i32 s4, 0x7f
	v_cmp_gt_i16_sdwa s[6:7], v3, s4 src0_sel:BYTE_0 src1_sel:DWORD
	s_mov_b64 s[4:5], 0
                                        ; implicit-def: $sgpr10
	s_and_saveexec_b64 s[8:9], s[6:7]
	s_xor_b64 s[6:7], exec, s[8:9]
	s_cbranch_execnz .LBB54_2213
; %bb.165:
	s_or_saveexec_b64 s[6:7], s[6:7]
	v_mov_b32_e32 v6, s10
	s_xor_b64 exec, exec, s[6:7]
	s_cbranch_execnz .LBB54_2216
.LBB54_166:
	s_or_b64 exec, exec, s[6:7]
	s_and_saveexec_b64 s[6:7], s[4:5]
	s_cbranch_execz .LBB54_168
.LBB54_167:
	v_and_b32_e32 v6, 7, v3
	v_ffbh_u32_e32 v11, v6
	v_min_u32_e32 v11, 32, v11
	v_lshrrev_b16_e32 v10, 3, v3
	v_subrev_u32_e32 v12, 28, v11
	v_and_b32_e32 v10, 15, v10
	v_lshlrev_b32_e32 v12, v12, v3
	v_sub_u32_e32 v11, 29, v11
	v_and_b32_e32 v12, 7, v12
	v_cmp_eq_u16_e32 vcc, 0, v10
	v_cndmask_b32_e32 v6, v6, v12, vcc
	v_cndmask_b32_e32 v10, v10, v11, vcc
	v_lshlrev_b32_e32 v11, 24, v3
	v_mov_b32_e32 v12, 0x3b800000
	v_lshlrev_b32_e32 v6, 20, v6
	v_and_b32_e32 v11, 0x80000000, v11
	v_lshl_add_u32 v10, v10, 23, v12
	v_or3_b32 v6, v11, v10, v6
.LBB54_168:
	s_or_b64 exec, exec, s[6:7]
	s_nop 0
	v_mfma_f32_16x16x4f32 a[0:3], v2, v6, a[0:3]
	v_lshrrev_b32_e32 v6, 8, v7
	s_movk_i32 s4, 0x7f
	v_cmp_gt_i16_sdwa s[6:7], v6, s4 src0_sel:BYTE_0 src1_sel:DWORD
	s_mov_b64 s[4:5], 0
                                        ; implicit-def: $sgpr10
	s_and_saveexec_b64 s[8:9], s[6:7]
	s_xor_b64 s[6:7], exec, s[8:9]
	s_cbranch_execnz .LBB54_2217
; %bb.169:
	s_or_saveexec_b64 s[6:7], s[6:7]
	v_mov_b32_e32 v2, s10
	s_xor_b64 exec, exec, s[6:7]
	s_cbranch_execnz .LBB54_2220
.LBB54_170:
	s_or_b64 exec, exec, s[6:7]
	s_and_saveexec_b64 s[6:7], s[4:5]
	s_cbranch_execz .LBB54_172
.LBB54_171:
	v_bfe_u32 v2, v7, 8, 3
	v_ffbh_u32_e32 v11, v2
	v_min_u32_e32 v11, 32, v11
	v_lshrrev_b16_e32 v10, 3, v6
	v_subrev_u32_e32 v12, 28, v11
	v_and_b32_e32 v10, 15, v10
	v_lshlrev_b32_e32 v6, v12, v6
	v_sub_u32_e32 v11, 29, v11
	v_and_b32_e32 v6, 7, v6
	v_cmp_eq_u16_e32 vcc, 0, v10
	v_cndmask_b32_e32 v2, v2, v6, vcc
	v_cndmask_b32_e32 v6, v10, v11, vcc
	v_lshlrev_b32_e32 v10, 16, v7
	v_mov_b32_e32 v11, 0x3b800000
	v_lshlrev_b32_e32 v2, 20, v2
	v_and_b32_e32 v10, 0x80000000, v10
	v_lshl_add_u32 v6, v6, 23, v11
	v_or3_b32 v2, v10, v6, v2
.LBB54_172:
	s_or_b64 exec, exec, s[6:7]
	v_lshrrev_b32_e32 v6, 8, v3
	s_movk_i32 s4, 0x7f
	v_cmp_gt_i16_sdwa s[6:7], v6, s4 src0_sel:BYTE_0 src1_sel:DWORD
	s_mov_b64 s[4:5], 0
                                        ; implicit-def: $sgpr10
	s_and_saveexec_b64 s[8:9], s[6:7]
	s_xor_b64 s[6:7], exec, s[8:9]
	s_cbranch_execnz .LBB54_2221
; %bb.173:
	s_or_saveexec_b64 s[6:7], s[6:7]
	v_mov_b32_e32 v10, s10
	s_xor_b64 exec, exec, s[6:7]
	s_cbranch_execnz .LBB54_2224
.LBB54_174:
	s_or_b64 exec, exec, s[6:7]
	s_and_saveexec_b64 s[6:7], s[4:5]
	s_cbranch_execz .LBB54_176
.LBB54_175:
	v_bfe_u32 v10, v3, 8, 3
	v_ffbh_u32_e32 v12, v10
	v_min_u32_e32 v12, 32, v12
	v_lshrrev_b16_e32 v11, 3, v6
	v_subrev_u32_e32 v13, 28, v12
	v_and_b32_e32 v11, 15, v11
	v_lshlrev_b32_e32 v6, v13, v6
	v_sub_u32_e32 v12, 29, v12
	v_and_b32_e32 v6, 7, v6
	v_cmp_eq_u16_e32 vcc, 0, v11
	v_cndmask_b32_e32 v6, v10, v6, vcc
	v_cndmask_b32_e32 v10, v11, v12, vcc
	v_lshlrev_b32_e32 v11, 16, v3
	v_mov_b32_e32 v12, 0x3b800000
	v_lshlrev_b32_e32 v6, 20, v6
	v_and_b32_e32 v11, 0x80000000, v11
	v_lshl_add_u32 v10, v10, 23, v12
	v_or3_b32 v10, v11, v10, v6
.LBB54_176:
	s_or_b64 exec, exec, s[6:7]
	s_nop 0
	v_mfma_f32_16x16x4f32 a[0:3], v2, v10, a[0:3]
	s_movk_i32 s4, 0xff
	v_and_b32_sdwa v6, v7, s4 dst_sel:DWORD dst_unused:UNUSED_PAD src0_sel:WORD_1 src1_sel:DWORD
	s_movk_i32 s4, 0x7f
	v_cmp_lt_i16_e32 vcc, s4, v6
	s_mov_b64 s[4:5], 0
                                        ; implicit-def: $sgpr10
	s_and_saveexec_b64 s[6:7], vcc
	s_xor_b64 s[6:7], exec, s[6:7]
	s_cbranch_execnz .LBB54_2225
; %bb.177:
	s_or_saveexec_b64 s[6:7], s[6:7]
	v_mov_b32_e32 v2, s10
	s_xor_b64 exec, exec, s[6:7]
	s_cbranch_execnz .LBB54_2228
.LBB54_178:
	s_or_b64 exec, exec, s[6:7]
	s_and_saveexec_b64 s[6:7], s[4:5]
	s_cbranch_execz .LBB54_180
.LBB54_179:
	v_bfe_u32 v2, v7, 16, 3
	v_ffbh_u32_e32 v11, v2
	v_min_u32_e32 v11, 32, v11
	v_lshrrev_b32_e32 v6, 19, v7
	v_subrev_u32_e32 v12, 28, v11
	v_and_b32_e32 v6, 15, v6
	v_lshlrev_b32_sdwa v12, v12, v7 dst_sel:DWORD dst_unused:UNUSED_PAD src0_sel:DWORD src1_sel:WORD_1
	v_bfe_u32 v10, v7, 19, 4
	v_sub_u32_e32 v11, 29, v11
	v_and_b32_e32 v12, 7, v12
	v_cmp_eq_u16_e32 vcc, 0, v6
	v_cndmask_b32_e32 v2, v2, v12, vcc
	v_cndmask_b32_e32 v6, v10, v11, vcc
	v_lshlrev_b32_e32 v10, 8, v7
	v_mov_b32_e32 v11, 0x3b800000
	v_lshlrev_b32_e32 v2, 20, v2
	v_and_b32_e32 v10, 0x80000000, v10
	v_lshl_add_u32 v6, v6, 23, v11
	v_or3_b32 v2, v10, v6, v2
.LBB54_180:
	s_or_b64 exec, exec, s[6:7]
	s_movk_i32 s4, 0xff
	v_and_b32_sdwa v6, v3, s4 dst_sel:DWORD dst_unused:UNUSED_PAD src0_sel:WORD_1 src1_sel:DWORD
	s_movk_i32 s4, 0x7f
	v_cmp_lt_i16_e32 vcc, s4, v6
	s_mov_b64 s[4:5], 0
                                        ; implicit-def: $sgpr10
	s_and_saveexec_b64 s[6:7], vcc
	s_xor_b64 s[6:7], exec, s[6:7]
	s_cbranch_execnz .LBB54_2229
; %bb.181:
	s_or_saveexec_b64 s[6:7], s[6:7]
	v_mov_b32_e32 v10, s10
	s_xor_b64 exec, exec, s[6:7]
	s_cbranch_execnz .LBB54_2232
.LBB54_182:
	s_or_b64 exec, exec, s[6:7]
	s_and_saveexec_b64 s[6:7], s[4:5]
	s_cbranch_execz .LBB54_184
.LBB54_183:
	v_bfe_u32 v6, v3, 16, 3
	v_ffbh_u32_e32 v12, v6
	v_min_u32_e32 v12, 32, v12
	v_lshrrev_b32_e32 v10, 19, v3
	v_subrev_u32_e32 v13, 28, v12
	v_and_b32_e32 v10, 15, v10
	v_lshlrev_b32_sdwa v13, v13, v3 dst_sel:DWORD dst_unused:UNUSED_PAD src0_sel:DWORD src1_sel:WORD_1
	v_bfe_u32 v11, v3, 19, 4
	v_sub_u32_e32 v12, 29, v12
	v_and_b32_e32 v13, 7, v13
	v_cmp_eq_u16_e32 vcc, 0, v10
	v_cndmask_b32_e32 v6, v6, v13, vcc
	v_cndmask_b32_e32 v10, v11, v12, vcc
	v_lshlrev_b32_e32 v11, 8, v3
	v_mov_b32_e32 v12, 0x3b800000
	v_lshlrev_b32_e32 v6, 20, v6
	v_and_b32_e32 v11, 0x80000000, v11
	v_lshl_add_u32 v10, v10, 23, v12
	v_or3_b32 v10, v11, v10, v6
.LBB54_184:
	s_or_b64 exec, exec, s[6:7]
	s_nop 0
	v_mfma_f32_16x16x4f32 a[0:3], v2, v10, a[0:3]
	s_movk_i32 s4, 0x7f
	v_cmp_gt_i16_sdwa s[6:7], v7, s4 src0_sel:BYTE_3 src1_sel:DWORD
	s_mov_b64 s[4:5], 0
                                        ; implicit-def: $sgpr10
	s_and_saveexec_b64 s[8:9], s[6:7]
	s_xor_b64 s[6:7], exec, s[8:9]
	s_cbranch_execnz .LBB54_2233
; %bb.185:
	s_or_saveexec_b64 s[6:7], s[6:7]
	v_mov_b32_e32 v2, s10
	s_xor_b64 exec, exec, s[6:7]
	s_cbranch_execnz .LBB54_2236
.LBB54_186:
	s_or_b64 exec, exec, s[6:7]
	s_and_saveexec_b64 s[6:7], s[4:5]
	s_cbranch_execz .LBB54_188
.LBB54_187:
	v_bfe_u32 v2, v7, 24, 3
	v_ffbh_u32_e32 v12, v2
	v_min_u32_e32 v12, 32, v12
	v_lshrrev_b32_e32 v10, 27, v7
	v_subrev_u32_e32 v13, 28, v12
	v_and_b32_e32 v6, 0x80000000, v7
	v_and_b32_e32 v10, 15, v10
	v_bfe_u32 v11, v7, 27, 4
	v_lshlrev_b32_sdwa v7, v13, v7 dst_sel:DWORD dst_unused:UNUSED_PAD src0_sel:DWORD src1_sel:BYTE_3
	v_sub_u32_e32 v12, 29, v12
	v_and_b32_e32 v7, 7, v7
	v_cmp_eq_u16_e32 vcc, 0, v10
	v_cndmask_b32_e32 v2, v2, v7, vcc
	v_cndmask_b32_e32 v7, v11, v12, vcc
	v_mov_b32_e32 v10, 0x3b800000
	v_lshlrev_b32_e32 v2, 20, v2
	v_lshl_add_u32 v7, v7, 23, v10
	v_or3_b32 v2, v6, v7, v2
.LBB54_188:
	s_or_b64 exec, exec, s[6:7]
	s_movk_i32 s4, 0x7f
	v_cmp_gt_i16_sdwa s[6:7], v3, s4 src0_sel:BYTE_3 src1_sel:DWORD
	s_mov_b64 s[4:5], 0
                                        ; implicit-def: $sgpr10
	s_and_saveexec_b64 s[8:9], s[6:7]
	s_xor_b64 s[6:7], exec, s[8:9]
	s_cbranch_execnz .LBB54_2237
; %bb.189:
	s_or_saveexec_b64 s[6:7], s[6:7]
	v_mov_b32_e32 v6, s10
	s_xor_b64 exec, exec, s[6:7]
	s_cbranch_execnz .LBB54_2240
.LBB54_190:
	s_or_b64 exec, exec, s[6:7]
	s_and_saveexec_b64 s[6:7], s[4:5]
	s_cbranch_execz .LBB54_192
.LBB54_191:
	v_bfe_u32 v6, v3, 24, 3
	v_ffbh_u32_e32 v12, v6
	v_min_u32_e32 v12, 32, v12
	v_lshrrev_b32_e32 v10, 27, v3
	v_subrev_u32_e32 v13, 28, v12
	v_and_b32_e32 v7, 0x80000000, v3
	v_and_b32_e32 v10, 15, v10
	v_bfe_u32 v11, v3, 27, 4
	v_lshlrev_b32_sdwa v3, v13, v3 dst_sel:DWORD dst_unused:UNUSED_PAD src0_sel:DWORD src1_sel:BYTE_3
	v_sub_u32_e32 v12, 29, v12
	v_and_b32_e32 v3, 7, v3
	v_cmp_eq_u16_e32 vcc, 0, v10
	v_cndmask_b32_e32 v3, v6, v3, vcc
	v_cndmask_b32_e32 v6, v11, v12, vcc
	v_mov_b32_e32 v10, 0x3b800000
	v_lshlrev_b32_e32 v3, 20, v3
	v_lshl_add_u32 v6, v6, 23, v10
	v_or3_b32 v6, v7, v6, v3
.LBB54_192:
	s_or_b64 exec, exec, s[6:7]
	s_nop 0
	v_mfma_f32_16x16x4f32 a[0:3], v2, v6, a[0:3]
	s_movk_i32 s4, 0x7f
	v_cmp_gt_i16_sdwa s[6:7], v8, s4 src0_sel:BYTE_0 src1_sel:DWORD
	s_mov_b64 s[4:5], 0
                                        ; implicit-def: $sgpr10
	s_and_saveexec_b64 s[8:9], s[6:7]
	s_xor_b64 s[6:7], exec, s[8:9]
	s_cbranch_execnz .LBB54_2241
; %bb.193:
	s_or_saveexec_b64 s[6:7], s[6:7]
	v_mov_b32_e32 v2, s10
	s_xor_b64 exec, exec, s[6:7]
	s_cbranch_execnz .LBB54_2244
.LBB54_194:
	s_or_b64 exec, exec, s[6:7]
	s_and_saveexec_b64 s[6:7], s[4:5]
	s_cbranch_execz .LBB54_196
.LBB54_195:
	v_and_b32_e32 v2, 7, v8
	v_ffbh_u32_e32 v6, v2
	v_min_u32_e32 v6, 32, v6
	v_lshrrev_b16_e32 v3, 3, v8
	v_subrev_u32_e32 v7, 28, v6
	v_and_b32_e32 v3, 15, v3
	v_lshlrev_b32_e32 v7, v7, v8
	v_sub_u32_e32 v6, 29, v6
	v_and_b32_e32 v7, 7, v7
	v_cmp_eq_u16_e32 vcc, 0, v3
	v_cndmask_b32_e32 v2, v2, v7, vcc
	v_cndmask_b32_e32 v3, v3, v6, vcc
	v_lshlrev_b32_e32 v6, 24, v8
	v_mov_b32_e32 v7, 0x3b800000
	v_lshlrev_b32_e32 v2, 20, v2
	v_and_b32_e32 v6, 0x80000000, v6
	v_lshl_add_u32 v3, v3, 23, v7
	v_or3_b32 v2, v6, v3, v2
.LBB54_196:
	s_or_b64 exec, exec, s[6:7]
	s_movk_i32 s4, 0x7f
	v_cmp_gt_i16_sdwa s[6:7], v4, s4 src0_sel:BYTE_0 src1_sel:DWORD
	s_mov_b64 s[4:5], 0
                                        ; implicit-def: $sgpr10
	s_and_saveexec_b64 s[8:9], s[6:7]
	s_xor_b64 s[6:7], exec, s[8:9]
	s_cbranch_execnz .LBB54_2245
; %bb.197:
	s_or_saveexec_b64 s[6:7], s[6:7]
	v_mov_b32_e32 v3, s10
	s_xor_b64 exec, exec, s[6:7]
	s_cbranch_execnz .LBB54_2248
.LBB54_198:
	s_or_b64 exec, exec, s[6:7]
	s_and_saveexec_b64 s[6:7], s[4:5]
	s_cbranch_execz .LBB54_200
.LBB54_199:
	v_and_b32_e32 v3, 7, v4
	v_ffbh_u32_e32 v7, v3
	v_min_u32_e32 v7, 32, v7
	v_lshrrev_b16_e32 v6, 3, v4
	v_subrev_u32_e32 v10, 28, v7
	v_and_b32_e32 v6, 15, v6
	v_lshlrev_b32_e32 v10, v10, v4
	v_sub_u32_e32 v7, 29, v7
	v_and_b32_e32 v10, 7, v10
	v_cmp_eq_u16_e32 vcc, 0, v6
	v_cndmask_b32_e32 v3, v3, v10, vcc
	v_cndmask_b32_e32 v6, v6, v7, vcc
	v_lshlrev_b32_e32 v7, 24, v4
	v_mov_b32_e32 v10, 0x3b800000
	v_lshlrev_b32_e32 v3, 20, v3
	v_and_b32_e32 v7, 0x80000000, v7
	v_lshl_add_u32 v6, v6, 23, v10
	v_or3_b32 v3, v7, v6, v3
.LBB54_200:
	s_or_b64 exec, exec, s[6:7]
	s_nop 0
	v_mfma_f32_16x16x4f32 a[0:3], v2, v3, a[0:3]
	v_lshrrev_b32_e32 v3, 8, v8
	s_movk_i32 s4, 0x7f
	v_cmp_gt_i16_sdwa s[6:7], v3, s4 src0_sel:BYTE_0 src1_sel:DWORD
	s_mov_b64 s[4:5], 0
                                        ; implicit-def: $sgpr10
	s_and_saveexec_b64 s[8:9], s[6:7]
	s_xor_b64 s[6:7], exec, s[8:9]
	s_cbranch_execnz .LBB54_2249
; %bb.201:
	s_or_saveexec_b64 s[6:7], s[6:7]
	v_mov_b32_e32 v2, s10
	s_xor_b64 exec, exec, s[6:7]
	s_cbranch_execnz .LBB54_2252
.LBB54_202:
	s_or_b64 exec, exec, s[6:7]
	s_and_saveexec_b64 s[6:7], s[4:5]
	s_cbranch_execz .LBB54_204
.LBB54_203:
	v_bfe_u32 v2, v8, 8, 3
	v_ffbh_u32_e32 v7, v2
	v_min_u32_e32 v7, 32, v7
	v_lshrrev_b16_e32 v6, 3, v3
	v_subrev_u32_e32 v10, 28, v7
	v_and_b32_e32 v6, 15, v6
	v_lshlrev_b32_e32 v3, v10, v3
	v_sub_u32_e32 v7, 29, v7
	v_and_b32_e32 v3, 7, v3
	v_cmp_eq_u16_e32 vcc, 0, v6
	v_cndmask_b32_e32 v2, v2, v3, vcc
	v_cndmask_b32_e32 v3, v6, v7, vcc
	v_lshlrev_b32_e32 v6, 16, v8
	v_mov_b32_e32 v7, 0x3b800000
	v_lshlrev_b32_e32 v2, 20, v2
	v_and_b32_e32 v6, 0x80000000, v6
	v_lshl_add_u32 v3, v3, 23, v7
	v_or3_b32 v2, v6, v3, v2
.LBB54_204:
	s_or_b64 exec, exec, s[6:7]
	v_lshrrev_b32_e32 v3, 8, v4
	s_movk_i32 s4, 0x7f
	v_cmp_gt_i16_sdwa s[6:7], v3, s4 src0_sel:BYTE_0 src1_sel:DWORD
	s_mov_b64 s[4:5], 0
                                        ; implicit-def: $sgpr10
	s_and_saveexec_b64 s[8:9], s[6:7]
	s_xor_b64 s[6:7], exec, s[8:9]
	s_cbranch_execnz .LBB54_2253
; %bb.205:
	s_or_saveexec_b64 s[6:7], s[6:7]
	v_mov_b32_e32 v6, s10
	s_xor_b64 exec, exec, s[6:7]
	s_cbranch_execnz .LBB54_2256
.LBB54_206:
	s_or_b64 exec, exec, s[6:7]
	s_and_saveexec_b64 s[6:7], s[4:5]
	s_cbranch_execz .LBB54_208
.LBB54_207:
	v_bfe_u32 v6, v4, 8, 3
	v_ffbh_u32_e32 v10, v6
	v_min_u32_e32 v10, 32, v10
	v_lshrrev_b16_e32 v7, 3, v3
	v_subrev_u32_e32 v11, 28, v10
	v_and_b32_e32 v7, 15, v7
	v_lshlrev_b32_e32 v3, v11, v3
	v_sub_u32_e32 v10, 29, v10
	v_and_b32_e32 v3, 7, v3
	v_cmp_eq_u16_e32 vcc, 0, v7
	v_cndmask_b32_e32 v3, v6, v3, vcc
	v_cndmask_b32_e32 v6, v7, v10, vcc
	v_lshlrev_b32_e32 v7, 16, v4
	v_mov_b32_e32 v10, 0x3b800000
	v_lshlrev_b32_e32 v3, 20, v3
	v_and_b32_e32 v7, 0x80000000, v7
	v_lshl_add_u32 v6, v6, 23, v10
	v_or3_b32 v6, v7, v6, v3
.LBB54_208:
	s_or_b64 exec, exec, s[6:7]
	s_nop 0
	v_mfma_f32_16x16x4f32 a[0:3], v2, v6, a[0:3]
	s_movk_i32 s4, 0xff
	v_and_b32_sdwa v3, v8, s4 dst_sel:DWORD dst_unused:UNUSED_PAD src0_sel:WORD_1 src1_sel:DWORD
	s_movk_i32 s4, 0x7f
	v_cmp_lt_i16_e32 vcc, s4, v3
	s_mov_b64 s[4:5], 0
                                        ; implicit-def: $sgpr10
	s_and_saveexec_b64 s[6:7], vcc
	s_xor_b64 s[6:7], exec, s[6:7]
	s_cbranch_execnz .LBB54_2257
; %bb.209:
	s_or_saveexec_b64 s[6:7], s[6:7]
	v_mov_b32_e32 v2, s10
	s_xor_b64 exec, exec, s[6:7]
	s_cbranch_execnz .LBB54_2260
.LBB54_210:
	s_or_b64 exec, exec, s[6:7]
	s_and_saveexec_b64 s[6:7], s[4:5]
	s_cbranch_execz .LBB54_212
.LBB54_211:
	v_bfe_u32 v2, v8, 16, 3
	v_ffbh_u32_e32 v7, v2
	v_min_u32_e32 v7, 32, v7
	v_lshrrev_b32_e32 v3, 19, v8
	v_subrev_u32_e32 v10, 28, v7
	v_and_b32_e32 v3, 15, v3
	v_lshlrev_b32_sdwa v10, v10, v8 dst_sel:DWORD dst_unused:UNUSED_PAD src0_sel:DWORD src1_sel:WORD_1
	v_bfe_u32 v6, v8, 19, 4
	v_sub_u32_e32 v7, 29, v7
	v_and_b32_e32 v10, 7, v10
	v_cmp_eq_u16_e32 vcc, 0, v3
	v_cndmask_b32_e32 v2, v2, v10, vcc
	v_cndmask_b32_e32 v3, v6, v7, vcc
	v_lshlrev_b32_e32 v6, 8, v8
	v_mov_b32_e32 v7, 0x3b800000
	v_lshlrev_b32_e32 v2, 20, v2
	v_and_b32_e32 v6, 0x80000000, v6
	v_lshl_add_u32 v3, v3, 23, v7
	v_or3_b32 v2, v6, v3, v2
.LBB54_212:
	s_or_b64 exec, exec, s[6:7]
	s_movk_i32 s4, 0xff
	v_and_b32_sdwa v3, v4, s4 dst_sel:DWORD dst_unused:UNUSED_PAD src0_sel:WORD_1 src1_sel:DWORD
	s_movk_i32 s4, 0x7f
	v_cmp_lt_i16_e32 vcc, s4, v3
	s_mov_b64 s[4:5], 0
                                        ; implicit-def: $sgpr10
	s_and_saveexec_b64 s[6:7], vcc
	s_xor_b64 s[6:7], exec, s[6:7]
	s_cbranch_execnz .LBB54_2261
; %bb.213:
	s_or_saveexec_b64 s[6:7], s[6:7]
	v_mov_b32_e32 v6, s10
	s_xor_b64 exec, exec, s[6:7]
	s_cbranch_execnz .LBB54_2264
.LBB54_214:
	s_or_b64 exec, exec, s[6:7]
	s_and_saveexec_b64 s[6:7], s[4:5]
	s_cbranch_execz .LBB54_216
.LBB54_215:
	v_bfe_u32 v3, v4, 16, 3
	v_ffbh_u32_e32 v10, v3
	v_min_u32_e32 v10, 32, v10
	v_lshrrev_b32_e32 v6, 19, v4
	v_subrev_u32_e32 v11, 28, v10
	v_and_b32_e32 v6, 15, v6
	v_lshlrev_b32_sdwa v11, v11, v4 dst_sel:DWORD dst_unused:UNUSED_PAD src0_sel:DWORD src1_sel:WORD_1
	v_bfe_u32 v7, v4, 19, 4
	v_sub_u32_e32 v10, 29, v10
	v_and_b32_e32 v11, 7, v11
	v_cmp_eq_u16_e32 vcc, 0, v6
	v_cndmask_b32_e32 v3, v3, v11, vcc
	v_cndmask_b32_e32 v6, v7, v10, vcc
	v_lshlrev_b32_e32 v7, 8, v4
	v_mov_b32_e32 v10, 0x3b800000
	v_lshlrev_b32_e32 v3, 20, v3
	v_and_b32_e32 v7, 0x80000000, v7
	v_lshl_add_u32 v6, v6, 23, v10
	v_or3_b32 v6, v7, v6, v3
.LBB54_216:
	s_or_b64 exec, exec, s[6:7]
	s_nop 0
	v_mfma_f32_16x16x4f32 a[0:3], v2, v6, a[0:3]
	s_movk_i32 s4, 0x7f
	v_cmp_gt_i16_sdwa s[6:7], v8, s4 src0_sel:BYTE_3 src1_sel:DWORD
	s_mov_b64 s[4:5], 0
                                        ; implicit-def: $sgpr10
	s_and_saveexec_b64 s[8:9], s[6:7]
	s_xor_b64 s[6:7], exec, s[8:9]
	s_cbranch_execnz .LBB54_2265
; %bb.217:
	s_or_saveexec_b64 s[6:7], s[6:7]
	v_mov_b32_e32 v2, s10
	s_xor_b64 exec, exec, s[6:7]
	s_cbranch_execnz .LBB54_2268
.LBB54_218:
	s_or_b64 exec, exec, s[6:7]
	s_and_saveexec_b64 s[6:7], s[4:5]
	s_cbranch_execz .LBB54_220
.LBB54_219:
	v_bfe_u32 v2, v8, 24, 3
	v_ffbh_u32_e32 v10, v2
	v_min_u32_e32 v10, 32, v10
	v_lshrrev_b32_e32 v6, 27, v8
	v_subrev_u32_e32 v11, 28, v10
	v_and_b32_e32 v3, 0x80000000, v8
	v_and_b32_e32 v6, 15, v6
	v_bfe_u32 v7, v8, 27, 4
	v_lshlrev_b32_sdwa v8, v11, v8 dst_sel:DWORD dst_unused:UNUSED_PAD src0_sel:DWORD src1_sel:BYTE_3
	v_sub_u32_e32 v10, 29, v10
	v_and_b32_e32 v8, 7, v8
	v_cmp_eq_u16_e32 vcc, 0, v6
	v_cndmask_b32_e32 v2, v2, v8, vcc
	v_cndmask_b32_e32 v6, v7, v10, vcc
	v_mov_b32_e32 v7, 0x3b800000
	v_lshlrev_b32_e32 v2, 20, v2
	v_lshl_add_u32 v6, v6, 23, v7
	v_or3_b32 v2, v3, v6, v2
.LBB54_220:
	s_or_b64 exec, exec, s[6:7]
	s_movk_i32 s4, 0x7f
	v_cmp_gt_i16_sdwa s[6:7], v4, s4 src0_sel:BYTE_3 src1_sel:DWORD
	s_mov_b64 s[4:5], 0
                                        ; implicit-def: $sgpr10
	s_and_saveexec_b64 s[8:9], s[6:7]
	s_xor_b64 s[6:7], exec, s[8:9]
	s_cbranch_execnz .LBB54_2269
; %bb.221:
	s_or_saveexec_b64 s[6:7], s[6:7]
	v_mov_b32_e32 v3, s10
	s_xor_b64 exec, exec, s[6:7]
	s_cbranch_execnz .LBB54_2272
.LBB54_222:
	s_or_b64 exec, exec, s[6:7]
	s_and_saveexec_b64 s[6:7], s[4:5]
	s_cbranch_execz .LBB54_224
.LBB54_223:
	v_bfe_u32 v3, v4, 24, 3
	v_ffbh_u32_e32 v10, v3
	v_min_u32_e32 v10, 32, v10
	v_lshrrev_b32_e32 v7, 27, v4
	v_subrev_u32_e32 v11, 28, v10
	v_and_b32_e32 v6, 0x80000000, v4
	v_and_b32_e32 v7, 15, v7
	v_bfe_u32 v8, v4, 27, 4
	v_lshlrev_b32_sdwa v4, v11, v4 dst_sel:DWORD dst_unused:UNUSED_PAD src0_sel:DWORD src1_sel:BYTE_3
	v_sub_u32_e32 v10, 29, v10
	v_and_b32_e32 v4, 7, v4
	v_cmp_eq_u16_e32 vcc, 0, v7
	v_cndmask_b32_e32 v3, v3, v4, vcc
	v_cndmask_b32_e32 v4, v8, v10, vcc
	v_mov_b32_e32 v7, 0x3b800000
	v_lshlrev_b32_e32 v3, 20, v3
	v_lshl_add_u32 v4, v4, 23, v7
	v_or3_b32 v3, v6, v4, v3
.LBB54_224:
	s_or_b64 exec, exec, s[6:7]
	s_nop 0
	v_mfma_f32_16x16x4f32 a[0:3], v2, v3, a[0:3]
	s_movk_i32 s4, 0x7f
	v_cmp_gt_i16_sdwa s[6:7], v9, s4 src0_sel:BYTE_0 src1_sel:DWORD
	s_mov_b64 s[4:5], 0
                                        ; implicit-def: $sgpr10
	s_and_saveexec_b64 s[8:9], s[6:7]
	s_xor_b64 s[6:7], exec, s[8:9]
	s_cbranch_execnz .LBB54_2273
; %bb.225:
	s_or_saveexec_b64 s[6:7], s[6:7]
	v_mov_b32_e32 v2, s10
	s_xor_b64 exec, exec, s[6:7]
	s_cbranch_execnz .LBB54_2276
.LBB54_226:
	s_or_b64 exec, exec, s[6:7]
	s_and_saveexec_b64 s[6:7], s[4:5]
	s_cbranch_execz .LBB54_228
.LBB54_227:
	v_mov_b32_e32 v2, 8
	v_and_b32_e32 v3, 7, v9
	v_lshrrev_b32_sdwa v2, v2, v9 dst_sel:BYTE_1 dst_unused:UNUSED_PAD src0_sel:DWORD src1_sel:DWORD
	v_ffbh_u32_e32 v4, v3
	v_or_b32_sdwa v2, v9, v2 dst_sel:DWORD dst_unused:UNUSED_PAD src0_sel:BYTE_0 src1_sel:DWORD
	v_min_u32_e32 v4, 32, v4
	v_lshrrev_b16_e32 v2, 3, v2
	v_subrev_u32_e32 v6, 28, v4
	v_and_b32_e32 v2, 15, v2
	v_lshlrev_b32_e32 v6, v6, v9
	v_sub_u32_e32 v4, 29, v4
	v_and_b32_e32 v6, 7, v6
	v_cmp_eq_u16_e32 vcc, 0, v2
	v_cndmask_b32_e32 v3, v3, v6, vcc
	v_cndmask_b32_e32 v2, v2, v4, vcc
	v_lshlrev_b32_e32 v4, 24, v9
	v_mov_b32_e32 v6, 0x3b800000
	v_lshlrev_b32_e32 v3, 20, v3
	v_and_b32_e32 v4, 0x80000000, v4
	v_lshl_add_u32 v2, v2, 23, v6
	v_or3_b32 v2, v4, v2, v3
.LBB54_228:
	s_or_b64 exec, exec, s[6:7]
	s_movk_i32 s4, 0x7f
	v_cmp_gt_i16_sdwa s[6:7], v5, s4 src0_sel:BYTE_0 src1_sel:DWORD
	s_mov_b64 s[4:5], 0
                                        ; implicit-def: $sgpr10
	s_and_saveexec_b64 s[8:9], s[6:7]
	s_xor_b64 s[6:7], exec, s[8:9]
	s_cbranch_execnz .LBB54_2277
; %bb.229:
	s_or_saveexec_b64 s[6:7], s[6:7]
	v_mov_b32_e32 v3, s10
	s_xor_b64 exec, exec, s[6:7]
	s_cbranch_execnz .LBB54_2280
.LBB54_230:
	s_or_b64 exec, exec, s[6:7]
	s_and_saveexec_b64 s[6:7], s[4:5]
	s_cbranch_execz .LBB54_232
.LBB54_231:
	v_mov_b32_e32 v3, 8
	v_and_b32_e32 v4, 7, v5
	v_lshrrev_b32_sdwa v3, v3, v5 dst_sel:BYTE_1 dst_unused:UNUSED_PAD src0_sel:DWORD src1_sel:DWORD
	v_ffbh_u32_e32 v6, v4
	v_or_b32_sdwa v3, v5, v3 dst_sel:DWORD dst_unused:UNUSED_PAD src0_sel:BYTE_0 src1_sel:DWORD
	v_min_u32_e32 v6, 32, v6
	v_lshrrev_b16_e32 v3, 3, v3
	v_subrev_u32_e32 v7, 28, v6
	v_and_b32_e32 v3, 15, v3
	v_lshlrev_b32_e32 v7, v7, v5
	v_sub_u32_e32 v6, 29, v6
	v_and_b32_e32 v7, 7, v7
	v_cmp_eq_u16_e32 vcc, 0, v3
	v_cndmask_b32_e32 v4, v4, v7, vcc
	v_cndmask_b32_e32 v3, v3, v6, vcc
	v_lshlrev_b32_e32 v6, 24, v5
	v_mov_b32_e32 v7, 0x3b800000
	v_lshlrev_b32_e32 v4, 20, v4
	v_and_b32_e32 v6, 0x80000000, v6
	v_lshl_add_u32 v3, v3, 23, v7
	v_or3_b32 v3, v6, v3, v4
.LBB54_232:
	s_or_b64 exec, exec, s[6:7]
	s_nop 0
	v_mfma_f32_16x16x4f32 a[0:3], v2, v3, a[0:3]
	v_lshrrev_b32_e32 v3, 8, v9
	s_movk_i32 s4, 0x7f
	v_cmp_gt_i16_sdwa s[6:7], v3, s4 src0_sel:BYTE_0 src1_sel:DWORD
	s_mov_b64 s[4:5], 0
                                        ; implicit-def: $sgpr10
	s_and_saveexec_b64 s[8:9], s[6:7]
	s_xor_b64 s[6:7], exec, s[8:9]
	s_cbranch_execnz .LBB54_2281
; %bb.233:
	s_or_saveexec_b64 s[6:7], s[6:7]
	v_mov_b32_e32 v2, s10
	s_xor_b64 exec, exec, s[6:7]
	s_cbranch_execnz .LBB54_2284
.LBB54_234:
	s_or_b64 exec, exec, s[6:7]
	s_and_saveexec_b64 s[6:7], s[4:5]
	s_cbranch_execz .LBB54_236
.LBB54_235:
	v_bfe_u32 v2, v9, 8, 3
	v_ffbh_u32_e32 v6, v2
	v_min_u32_e32 v6, 32, v6
	v_lshrrev_b16_e32 v4, 3, v3
	v_subrev_u32_e32 v7, 28, v6
	v_and_b32_e32 v4, 15, v4
	v_lshlrev_b32_e32 v3, v7, v3
	v_sub_u32_e32 v6, 29, v6
	v_and_b32_e32 v3, 7, v3
	v_cmp_eq_u16_e32 vcc, 0, v4
	v_cndmask_b32_e32 v2, v2, v3, vcc
	v_cndmask_b32_e32 v3, v4, v6, vcc
	v_lshlrev_b32_e32 v4, 16, v9
	v_mov_b32_e32 v6, 0x3b800000
	v_lshlrev_b32_e32 v2, 20, v2
	v_and_b32_e32 v4, 0x80000000, v4
	v_lshl_add_u32 v3, v3, 23, v6
	v_or3_b32 v2, v4, v3, v2
.LBB54_236:
	s_or_b64 exec, exec, s[6:7]
	v_lshrrev_b32_e32 v3, 8, v5
	s_movk_i32 s4, 0x7f
	v_cmp_gt_i16_sdwa s[6:7], v3, s4 src0_sel:BYTE_0 src1_sel:DWORD
	s_mov_b64 s[4:5], 0
                                        ; implicit-def: $sgpr10
	s_and_saveexec_b64 s[8:9], s[6:7]
	s_xor_b64 s[6:7], exec, s[8:9]
	s_cbranch_execnz .LBB54_2285
; %bb.237:
	s_or_saveexec_b64 s[6:7], s[6:7]
	v_mov_b32_e32 v4, s10
	s_xor_b64 exec, exec, s[6:7]
	s_cbranch_execnz .LBB54_2288
.LBB54_238:
	s_or_b64 exec, exec, s[6:7]
	s_and_saveexec_b64 s[6:7], s[4:5]
	s_cbranch_execz .LBB54_240
.LBB54_239:
	v_bfe_u32 v4, v5, 8, 3
	v_ffbh_u32_e32 v7, v4
	v_min_u32_e32 v7, 32, v7
	v_lshrrev_b16_e32 v6, 3, v3
	v_subrev_u32_e32 v8, 28, v7
	v_and_b32_e32 v6, 15, v6
	v_lshlrev_b32_e32 v3, v8, v3
	v_sub_u32_e32 v7, 29, v7
	v_and_b32_e32 v3, 7, v3
	v_cmp_eq_u16_e32 vcc, 0, v6
	v_cndmask_b32_e32 v3, v4, v3, vcc
	v_cndmask_b32_e32 v4, v6, v7, vcc
	v_lshlrev_b32_e32 v6, 16, v5
	v_mov_b32_e32 v7, 0x3b800000
	v_lshlrev_b32_e32 v3, 20, v3
	v_and_b32_e32 v6, 0x80000000, v6
	v_lshl_add_u32 v4, v4, 23, v7
	v_or3_b32 v4, v6, v4, v3
.LBB54_240:
	s_or_b64 exec, exec, s[6:7]
	s_nop 0
	v_mfma_f32_16x16x4f32 a[0:3], v2, v4, a[0:3]
	s_movk_i32 s4, 0xff
	v_and_b32_sdwa v3, v9, s4 dst_sel:DWORD dst_unused:UNUSED_PAD src0_sel:WORD_1 src1_sel:DWORD
	s_movk_i32 s4, 0x7f
	v_cmp_lt_i16_e32 vcc, s4, v3
	s_mov_b64 s[4:5], 0
                                        ; implicit-def: $sgpr10
	s_and_saveexec_b64 s[6:7], vcc
	s_xor_b64 s[6:7], exec, s[6:7]
	s_cbranch_execnz .LBB54_2289
; %bb.241:
	s_or_saveexec_b64 s[6:7], s[6:7]
	v_mov_b32_e32 v2, s10
	s_xor_b64 exec, exec, s[6:7]
	s_cbranch_execnz .LBB54_2292
.LBB54_242:
	s_or_b64 exec, exec, s[6:7]
	s_and_saveexec_b64 s[6:7], s[4:5]
	s_cbranch_execz .LBB54_244
.LBB54_243:
	v_bfe_u32 v2, v9, 16, 3
	v_ffbh_u32_e32 v6, v2
	v_min_u32_e32 v6, 32, v6
	v_lshrrev_b32_e32 v3, 19, v9
	v_subrev_u32_e32 v7, 28, v6
	v_and_b32_e32 v3, 15, v3
	v_lshlrev_b32_sdwa v7, v7, v9 dst_sel:DWORD dst_unused:UNUSED_PAD src0_sel:DWORD src1_sel:WORD_1
	v_bfe_u32 v4, v9, 19, 4
	v_sub_u32_e32 v6, 29, v6
	v_and_b32_e32 v7, 7, v7
	v_cmp_eq_u16_e32 vcc, 0, v3
	v_cndmask_b32_e32 v2, v2, v7, vcc
	v_cndmask_b32_e32 v3, v4, v6, vcc
	v_lshlrev_b32_e32 v4, 8, v9
	v_mov_b32_e32 v6, 0x3b800000
	v_lshlrev_b32_e32 v2, 20, v2
	v_and_b32_e32 v4, 0x80000000, v4
	v_lshl_add_u32 v3, v3, 23, v6
	v_or3_b32 v2, v4, v3, v2
.LBB54_244:
	s_or_b64 exec, exec, s[6:7]
	s_movk_i32 s4, 0xff
	v_and_b32_sdwa v3, v5, s4 dst_sel:DWORD dst_unused:UNUSED_PAD src0_sel:WORD_1 src1_sel:DWORD
	s_movk_i32 s4, 0x7f
	v_cmp_lt_i16_e32 vcc, s4, v3
	s_mov_b64 s[4:5], 0
                                        ; implicit-def: $sgpr10
	s_and_saveexec_b64 s[6:7], vcc
	s_xor_b64 s[6:7], exec, s[6:7]
	s_cbranch_execnz .LBB54_2293
; %bb.245:
	s_or_saveexec_b64 s[6:7], s[6:7]
	v_mov_b32_e32 v4, s10
	s_xor_b64 exec, exec, s[6:7]
	s_cbranch_execnz .LBB54_2296
.LBB54_246:
	s_or_b64 exec, exec, s[6:7]
	s_and_saveexec_b64 s[6:7], s[4:5]
	s_cbranch_execz .LBB54_248
.LBB54_247:
	v_bfe_u32 v3, v5, 16, 3
	v_ffbh_u32_e32 v7, v3
	v_min_u32_e32 v7, 32, v7
	v_lshrrev_b32_e32 v4, 19, v5
	v_subrev_u32_e32 v8, 28, v7
	v_and_b32_e32 v4, 15, v4
	v_lshlrev_b32_sdwa v8, v8, v5 dst_sel:DWORD dst_unused:UNUSED_PAD src0_sel:DWORD src1_sel:WORD_1
	v_bfe_u32 v6, v5, 19, 4
	v_sub_u32_e32 v7, 29, v7
	v_and_b32_e32 v8, 7, v8
	v_cmp_eq_u16_e32 vcc, 0, v4
	v_cndmask_b32_e32 v3, v3, v8, vcc
	v_cndmask_b32_e32 v4, v6, v7, vcc
	v_lshlrev_b32_e32 v6, 8, v5
	v_mov_b32_e32 v7, 0x3b800000
	v_lshlrev_b32_e32 v3, 20, v3
	v_and_b32_e32 v6, 0x80000000, v6
	v_lshl_add_u32 v4, v4, 23, v7
	v_or3_b32 v4, v6, v4, v3
.LBB54_248:
	s_or_b64 exec, exec, s[6:7]
	s_nop 0
	v_mfma_f32_16x16x4f32 a[0:3], v2, v4, a[0:3]
	s_movk_i32 s4, 0x7f
	v_cmp_gt_i16_sdwa s[6:7], v9, s4 src0_sel:BYTE_3 src1_sel:DWORD
	s_mov_b64 s[4:5], 0
                                        ; implicit-def: $sgpr10
	s_and_saveexec_b64 s[8:9], s[6:7]
	s_xor_b64 s[6:7], exec, s[8:9]
	s_cbranch_execnz .LBB54_2297
; %bb.249:
	s_or_saveexec_b64 s[6:7], s[6:7]
	v_mov_b32_e32 v2, s10
	s_xor_b64 exec, exec, s[6:7]
	s_cbranch_execnz .LBB54_2300
.LBB54_250:
	s_or_b64 exec, exec, s[6:7]
	s_and_saveexec_b64 s[6:7], s[4:5]
	s_cbranch_execz .LBB54_252
.LBB54_251:
	v_bfe_u32 v2, v9, 24, 3
	v_ffbh_u32_e32 v7, v2
	v_min_u32_e32 v7, 32, v7
	v_lshrrev_b32_e32 v4, 27, v9
	v_subrev_u32_e32 v8, 28, v7
	v_and_b32_e32 v4, 15, v4
	v_lshlrev_b32_sdwa v8, v8, v9 dst_sel:DWORD dst_unused:UNUSED_PAD src0_sel:DWORD src1_sel:BYTE_3
	v_bfe_u32 v6, v9, 27, 4
	v_sub_u32_e32 v7, 29, v7
	v_and_b32_e32 v8, 7, v8
	v_cmp_eq_u16_e32 vcc, 0, v4
	v_cndmask_b32_e32 v2, v2, v8, vcc
	v_cndmask_b32_e32 v4, v6, v7, vcc
	v_mov_b32_e32 v6, 0x3b800000
	v_and_b32_e32 v3, 0x80000000, v9
	v_lshlrev_b32_e32 v2, 20, v2
	v_lshl_add_u32 v4, v4, 23, v6
	v_or3_b32 v2, v3, v4, v2
.LBB54_252:
	s_or_b64 exec, exec, s[6:7]
	s_movk_i32 s4, 0x7f
	v_cmp_gt_i16_sdwa s[6:7], v5, s4 src0_sel:BYTE_3 src1_sel:DWORD
	s_mov_b64 s[4:5], 0
                                        ; implicit-def: $sgpr10
	s_and_saveexec_b64 s[8:9], s[6:7]
	s_xor_b64 s[6:7], exec, s[8:9]
	s_cbranch_execnz .LBB54_2301
; %bb.253:
	s_or_saveexec_b64 s[6:7], s[6:7]
	v_mov_b32_e32 v3, s10
	s_xor_b64 exec, exec, s[6:7]
	s_cbranch_execnz .LBB54_2304
.LBB54_254:
	s_or_b64 exec, exec, s[6:7]
	s_and_saveexec_b64 s[6:7], s[4:5]
	s_cbranch_execz .LBB54_256
.LBB54_255:
	v_bfe_u32 v3, v5, 24, 3
	v_ffbh_u32_e32 v8, v3
	v_min_u32_e32 v8, 32, v8
	v_lshrrev_b32_e32 v6, 27, v5
	v_subrev_u32_e32 v9, 28, v8
	v_and_b32_e32 v4, 0x80000000, v5
	v_and_b32_e32 v6, 15, v6
	v_bfe_u32 v7, v5, 27, 4
	v_lshlrev_b32_sdwa v5, v9, v5 dst_sel:DWORD dst_unused:UNUSED_PAD src0_sel:DWORD src1_sel:BYTE_3
	v_sub_u32_e32 v8, 29, v8
	v_and_b32_e32 v5, 7, v5
	v_cmp_eq_u16_e32 vcc, 0, v6
	v_cndmask_b32_e32 v3, v3, v5, vcc
	v_cndmask_b32_e32 v5, v7, v8, vcc
	v_mov_b32_e32 v6, 0x3b800000
	v_lshlrev_b32_e32 v3, 20, v3
	v_lshl_add_u32 v5, v5, 23, v6
	v_or3_b32 v3, v4, v5, v3
.LBB54_256:
	s_or_b64 exec, exec, s[6:7]
	s_nop 0
	v_mfma_f32_16x16x4f32 a[0:3], v2, v3, a[0:3]
	s_movk_i32 s4, 0x7f
                                        ; implicit-def: $sgpr10
	s_nop 7
	s_nop 1
	flat_store_dwordx4 v[18:19], a[0:3] offset:256
	flat_load_dwordx4 v[20:23], v[0:1] offset:8
	s_nop 0
	flat_load_dwordx2 v[18:19], v[0:1] offset:24
	s_waitcnt vmcnt(0) lgkmcnt(0)
	flat_load_dwordx4 v[14:17], v[20:21]
	flat_load_dwordx4 v[6:9], v[20:21] offset:16
	flat_load_dwordx4 v[10:13], v[22:23] offset:288
	;; [unrolled: 1-line block ×3, first 2 shown]
	s_waitcnt vmcnt(0) lgkmcnt(0)
	v_cmp_gt_i16_sdwa s[6:7], v14, s4 src0_sel:BYTE_0 src1_sel:DWORD
	s_mov_b64 s[4:5], 0
	s_and_saveexec_b64 s[8:9], s[6:7]
	s_xor_b64 s[6:7], exec, s[8:9]
	s_cbranch_execnz .LBB54_2305
; %bb.257:
	s_or_saveexec_b64 s[6:7], s[6:7]
	v_mov_b32_e32 v20, s10
	s_xor_b64 exec, exec, s[6:7]
	s_cbranch_execnz .LBB54_2308
.LBB54_258:
	s_or_b64 exec, exec, s[6:7]
	s_and_saveexec_b64 s[6:7], s[4:5]
	s_cbranch_execz .LBB54_260
.LBB54_259:
	v_and_b32_e32 v20, 7, v14
	v_ffbh_u32_e32 v22, v20
	v_min_u32_e32 v22, 32, v22
	v_lshrrev_b16_e32 v21, 3, v14
	v_subrev_u32_e32 v23, 28, v22
	v_and_b32_e32 v21, 15, v21
	v_lshlrev_b32_e32 v23, v23, v14
	v_sub_u32_e32 v22, 29, v22
	v_and_b32_e32 v23, 7, v23
	v_cmp_eq_u16_e32 vcc, 0, v21
	v_cndmask_b32_e32 v20, v20, v23, vcc
	v_cndmask_b32_e32 v21, v21, v22, vcc
	v_lshlrev_b32_e32 v22, 24, v14
	v_mov_b32_e32 v23, 0x3b800000
	v_lshlrev_b32_e32 v20, 20, v20
	v_and_b32_e32 v22, 0x80000000, v22
	v_lshl_add_u32 v21, v21, 23, v23
	v_or3_b32 v20, v22, v21, v20
.LBB54_260:
	s_or_b64 exec, exec, s[6:7]
	s_movk_i32 s4, 0x7f
	v_cmp_gt_i16_sdwa s[6:7], v10, s4 src0_sel:BYTE_0 src1_sel:DWORD
	s_mov_b64 s[4:5], 0
                                        ; implicit-def: $sgpr10
	s_and_saveexec_b64 s[8:9], s[6:7]
	s_xor_b64 s[6:7], exec, s[8:9]
	s_cbranch_execnz .LBB54_2309
; %bb.261:
	s_or_saveexec_b64 s[6:7], s[6:7]
	v_mov_b32_e32 v21, s10
	s_xor_b64 exec, exec, s[6:7]
	s_cbranch_execnz .LBB54_2312
.LBB54_262:
	s_or_b64 exec, exec, s[6:7]
	s_and_saveexec_b64 s[6:7], s[4:5]
	s_cbranch_execz .LBB54_264
.LBB54_263:
	v_and_b32_e32 v21, 7, v10
	v_ffbh_u32_e32 v23, v21
	v_min_u32_e32 v23, 32, v23
	v_lshrrev_b16_e32 v22, 3, v10
	v_subrev_u32_e32 v24, 28, v23
	v_and_b32_e32 v22, 15, v22
	v_lshlrev_b32_e32 v24, v24, v10
	v_sub_u32_e32 v23, 29, v23
	v_and_b32_e32 v24, 7, v24
	v_cmp_eq_u16_e32 vcc, 0, v22
	v_cndmask_b32_e32 v21, v21, v24, vcc
	v_cndmask_b32_e32 v22, v22, v23, vcc
	v_lshlrev_b32_e32 v23, 24, v10
	v_mov_b32_e32 v24, 0x3b800000
	v_lshlrev_b32_e32 v21, 20, v21
	v_and_b32_e32 v23, 0x80000000, v23
	v_lshl_add_u32 v22, v22, 23, v24
	v_or3_b32 v21, v23, v22, v21
.LBB54_264:
	s_or_b64 exec, exec, s[6:7]
	flat_load_dwordx4 a[0:3], v[18:19] offset:272
	s_movk_i32 s4, 0x7f
                                        ; implicit-def: $sgpr10
	s_waitcnt vmcnt(0) lgkmcnt(0)
	v_mfma_f32_16x16x4f32 a[0:3], v20, v21, a[0:3]
	v_lshrrev_b32_e32 v21, 8, v14
	v_cmp_gt_i16_sdwa s[6:7], v21, s4 src0_sel:BYTE_0 src1_sel:DWORD
	s_mov_b64 s[4:5], 0
	s_and_saveexec_b64 s[8:9], s[6:7]
	s_xor_b64 s[6:7], exec, s[8:9]
	s_cbranch_execnz .LBB54_2313
; %bb.265:
	s_or_saveexec_b64 s[6:7], s[6:7]
	v_mov_b32_e32 v20, s10
	s_xor_b64 exec, exec, s[6:7]
	s_cbranch_execnz .LBB54_2316
.LBB54_266:
	s_or_b64 exec, exec, s[6:7]
	s_and_saveexec_b64 s[6:7], s[4:5]
	s_cbranch_execz .LBB54_268
.LBB54_267:
	v_bfe_u32 v20, v14, 8, 3
	v_ffbh_u32_e32 v23, v20
	v_min_u32_e32 v23, 32, v23
	v_lshrrev_b16_e32 v22, 3, v21
	v_subrev_u32_e32 v24, 28, v23
	v_and_b32_e32 v22, 15, v22
	v_lshlrev_b32_e32 v21, v24, v21
	v_sub_u32_e32 v23, 29, v23
	v_and_b32_e32 v21, 7, v21
	v_cmp_eq_u16_e32 vcc, 0, v22
	v_cndmask_b32_e32 v20, v20, v21, vcc
	v_cndmask_b32_e32 v21, v22, v23, vcc
	v_lshlrev_b32_e32 v22, 16, v14
	v_mov_b32_e32 v23, 0x3b800000
	v_lshlrev_b32_e32 v20, 20, v20
	v_and_b32_e32 v22, 0x80000000, v22
	v_lshl_add_u32 v21, v21, 23, v23
	v_or3_b32 v20, v22, v21, v20
.LBB54_268:
	s_or_b64 exec, exec, s[6:7]
	v_lshrrev_b32_e32 v21, 8, v10
	s_movk_i32 s4, 0x7f
	v_cmp_gt_i16_sdwa s[6:7], v21, s4 src0_sel:BYTE_0 src1_sel:DWORD
	s_mov_b64 s[4:5], 0
                                        ; implicit-def: $sgpr10
	s_and_saveexec_b64 s[8:9], s[6:7]
	s_xor_b64 s[6:7], exec, s[8:9]
	s_cbranch_execnz .LBB54_2317
; %bb.269:
	s_or_saveexec_b64 s[6:7], s[6:7]
	v_mov_b32_e32 v22, s10
	s_xor_b64 exec, exec, s[6:7]
	s_cbranch_execnz .LBB54_2320
.LBB54_270:
	s_or_b64 exec, exec, s[6:7]
	s_and_saveexec_b64 s[6:7], s[4:5]
	s_cbranch_execz .LBB54_272
.LBB54_271:
	v_bfe_u32 v22, v10, 8, 3
	v_ffbh_u32_e32 v24, v22
	v_min_u32_e32 v24, 32, v24
	v_lshrrev_b16_e32 v23, 3, v21
	v_subrev_u32_e32 v25, 28, v24
	v_and_b32_e32 v23, 15, v23
	v_lshlrev_b32_e32 v21, v25, v21
	v_sub_u32_e32 v24, 29, v24
	v_and_b32_e32 v21, 7, v21
	v_cmp_eq_u16_e32 vcc, 0, v23
	v_cndmask_b32_e32 v21, v22, v21, vcc
	v_cndmask_b32_e32 v22, v23, v24, vcc
	v_lshlrev_b32_e32 v23, 16, v10
	v_mov_b32_e32 v24, 0x3b800000
	v_lshlrev_b32_e32 v21, 20, v21
	v_and_b32_e32 v23, 0x80000000, v23
	v_lshl_add_u32 v22, v22, 23, v24
	v_or3_b32 v22, v23, v22, v21
.LBB54_272:
	s_or_b64 exec, exec, s[6:7]
	s_nop 0
	v_mfma_f32_16x16x4f32 a[0:3], v20, v22, a[0:3]
	s_movk_i32 s4, 0xff
	v_and_b32_sdwa v21, v14, s4 dst_sel:DWORD dst_unused:UNUSED_PAD src0_sel:WORD_1 src1_sel:DWORD
	s_movk_i32 s4, 0x7f
	v_cmp_lt_i16_e32 vcc, s4, v21
	s_mov_b64 s[4:5], 0
                                        ; implicit-def: $sgpr10
	s_and_saveexec_b64 s[6:7], vcc
	s_xor_b64 s[6:7], exec, s[6:7]
	s_cbranch_execnz .LBB54_2321
; %bb.273:
	s_or_saveexec_b64 s[6:7], s[6:7]
	v_mov_b32_e32 v20, s10
	s_xor_b64 exec, exec, s[6:7]
	s_cbranch_execnz .LBB54_2324
.LBB54_274:
	s_or_b64 exec, exec, s[6:7]
	s_and_saveexec_b64 s[6:7], s[4:5]
	s_cbranch_execz .LBB54_276
.LBB54_275:
	v_bfe_u32 v20, v14, 16, 3
	v_ffbh_u32_e32 v23, v20
	v_min_u32_e32 v23, 32, v23
	v_lshrrev_b32_e32 v21, 19, v14
	v_subrev_u32_e32 v24, 28, v23
	v_and_b32_e32 v21, 15, v21
	v_lshlrev_b32_sdwa v24, v24, v14 dst_sel:DWORD dst_unused:UNUSED_PAD src0_sel:DWORD src1_sel:WORD_1
	v_bfe_u32 v22, v14, 19, 4
	v_sub_u32_e32 v23, 29, v23
	v_and_b32_e32 v24, 7, v24
	v_cmp_eq_u16_e32 vcc, 0, v21
	v_cndmask_b32_e32 v20, v20, v24, vcc
	v_cndmask_b32_e32 v21, v22, v23, vcc
	v_lshlrev_b32_e32 v22, 8, v14
	v_mov_b32_e32 v23, 0x3b800000
	v_lshlrev_b32_e32 v20, 20, v20
	v_and_b32_e32 v22, 0x80000000, v22
	v_lshl_add_u32 v21, v21, 23, v23
	v_or3_b32 v20, v22, v21, v20
.LBB54_276:
	s_or_b64 exec, exec, s[6:7]
	s_movk_i32 s4, 0xff
	v_and_b32_sdwa v21, v10, s4 dst_sel:DWORD dst_unused:UNUSED_PAD src0_sel:WORD_1 src1_sel:DWORD
	s_movk_i32 s4, 0x7f
	v_cmp_lt_i16_e32 vcc, s4, v21
	s_mov_b64 s[4:5], 0
                                        ; implicit-def: $sgpr10
	s_and_saveexec_b64 s[6:7], vcc
	s_xor_b64 s[6:7], exec, s[6:7]
	s_cbranch_execnz .LBB54_2325
; %bb.277:
	s_or_saveexec_b64 s[6:7], s[6:7]
	v_mov_b32_e32 v22, s10
	s_xor_b64 exec, exec, s[6:7]
	s_cbranch_execnz .LBB54_2328
.LBB54_278:
	s_or_b64 exec, exec, s[6:7]
	s_and_saveexec_b64 s[6:7], s[4:5]
	s_cbranch_execz .LBB54_280
.LBB54_279:
	v_bfe_u32 v21, v10, 16, 3
	v_ffbh_u32_e32 v24, v21
	v_min_u32_e32 v24, 32, v24
	v_lshrrev_b32_e32 v22, 19, v10
	v_subrev_u32_e32 v25, 28, v24
	v_and_b32_e32 v22, 15, v22
	v_lshlrev_b32_sdwa v25, v25, v10 dst_sel:DWORD dst_unused:UNUSED_PAD src0_sel:DWORD src1_sel:WORD_1
	v_bfe_u32 v23, v10, 19, 4
	v_sub_u32_e32 v24, 29, v24
	v_and_b32_e32 v25, 7, v25
	v_cmp_eq_u16_e32 vcc, 0, v22
	v_cndmask_b32_e32 v21, v21, v25, vcc
	v_cndmask_b32_e32 v22, v23, v24, vcc
	v_lshlrev_b32_e32 v23, 8, v10
	v_mov_b32_e32 v24, 0x3b800000
	v_lshlrev_b32_e32 v21, 20, v21
	v_and_b32_e32 v23, 0x80000000, v23
	v_lshl_add_u32 v22, v22, 23, v24
	v_or3_b32 v22, v23, v22, v21
.LBB54_280:
	s_or_b64 exec, exec, s[6:7]
	s_nop 0
	v_mfma_f32_16x16x4f32 a[0:3], v20, v22, a[0:3]
	s_movk_i32 s4, 0x7f
	v_cmp_gt_i16_sdwa s[6:7], v14, s4 src0_sel:BYTE_3 src1_sel:DWORD
	s_mov_b64 s[4:5], 0
                                        ; implicit-def: $sgpr10
	s_and_saveexec_b64 s[8:9], s[6:7]
	s_xor_b64 s[6:7], exec, s[8:9]
	s_cbranch_execnz .LBB54_2329
; %bb.281:
	s_or_saveexec_b64 s[6:7], s[6:7]
	v_mov_b32_e32 v20, s10
	s_xor_b64 exec, exec, s[6:7]
	s_cbranch_execnz .LBB54_2332
.LBB54_282:
	s_or_b64 exec, exec, s[6:7]
	s_and_saveexec_b64 s[6:7], s[4:5]
	s_cbranch_execz .LBB54_284
.LBB54_283:
	v_bfe_u32 v20, v14, 24, 3
	v_ffbh_u32_e32 v24, v20
	v_min_u32_e32 v24, 32, v24
	v_lshrrev_b32_e32 v22, 27, v14
	v_subrev_u32_e32 v25, 28, v24
	v_and_b32_e32 v21, 0x80000000, v14
	v_and_b32_e32 v22, 15, v22
	v_bfe_u32 v23, v14, 27, 4
	v_lshlrev_b32_sdwa v14, v25, v14 dst_sel:DWORD dst_unused:UNUSED_PAD src0_sel:DWORD src1_sel:BYTE_3
	v_sub_u32_e32 v24, 29, v24
	v_and_b32_e32 v14, 7, v14
	v_cmp_eq_u16_e32 vcc, 0, v22
	v_cndmask_b32_e32 v14, v20, v14, vcc
	v_cndmask_b32_e32 v20, v23, v24, vcc
	v_mov_b32_e32 v22, 0x3b800000
	v_lshlrev_b32_e32 v14, 20, v14
	v_lshl_add_u32 v20, v20, 23, v22
	v_or3_b32 v20, v21, v20, v14
.LBB54_284:
	s_or_b64 exec, exec, s[6:7]
	s_movk_i32 s4, 0x7f
	v_cmp_gt_i16_sdwa s[6:7], v10, s4 src0_sel:BYTE_3 src1_sel:DWORD
	s_mov_b64 s[4:5], 0
                                        ; implicit-def: $sgpr10
	s_and_saveexec_b64 s[8:9], s[6:7]
	s_xor_b64 s[6:7], exec, s[8:9]
	s_cbranch_execnz .LBB54_2333
; %bb.285:
	s_or_saveexec_b64 s[6:7], s[6:7]
	v_mov_b32_e32 v14, s10
	s_xor_b64 exec, exec, s[6:7]
	s_cbranch_execnz .LBB54_2336
.LBB54_286:
	s_or_b64 exec, exec, s[6:7]
	s_and_saveexec_b64 s[6:7], s[4:5]
	s_cbranch_execz .LBB54_288
.LBB54_287:
	v_bfe_u32 v14, v10, 24, 3
	v_ffbh_u32_e32 v24, v14
	v_min_u32_e32 v24, 32, v24
	v_lshrrev_b32_e32 v22, 27, v10
	v_subrev_u32_e32 v25, 28, v24
	v_and_b32_e32 v21, 0x80000000, v10
	v_and_b32_e32 v22, 15, v22
	v_bfe_u32 v23, v10, 27, 4
	v_lshlrev_b32_sdwa v10, v25, v10 dst_sel:DWORD dst_unused:UNUSED_PAD src0_sel:DWORD src1_sel:BYTE_3
	v_sub_u32_e32 v24, 29, v24
	v_and_b32_e32 v10, 7, v10
	v_cmp_eq_u16_e32 vcc, 0, v22
	v_cndmask_b32_e32 v10, v14, v10, vcc
	v_cndmask_b32_e32 v14, v23, v24, vcc
	v_mov_b32_e32 v22, 0x3b800000
	v_lshlrev_b32_e32 v10, 20, v10
	v_lshl_add_u32 v14, v14, 23, v22
	v_or3_b32 v14, v21, v14, v10
.LBB54_288:
	s_or_b64 exec, exec, s[6:7]
	s_nop 0
	v_mfma_f32_16x16x4f32 a[0:3], v20, v14, a[0:3]
	s_movk_i32 s4, 0x7f
	v_cmp_gt_i16_sdwa s[6:7], v15, s4 src0_sel:BYTE_0 src1_sel:DWORD
	s_mov_b64 s[4:5], 0
                                        ; implicit-def: $sgpr10
	s_and_saveexec_b64 s[8:9], s[6:7]
	s_xor_b64 s[6:7], exec, s[8:9]
	s_cbranch_execnz .LBB54_2337
; %bb.289:
	s_or_saveexec_b64 s[6:7], s[6:7]
	v_mov_b32_e32 v10, s10
	s_xor_b64 exec, exec, s[6:7]
	s_cbranch_execnz .LBB54_2340
.LBB54_290:
	s_or_b64 exec, exec, s[6:7]
	s_and_saveexec_b64 s[6:7], s[4:5]
	s_cbranch_execz .LBB54_292
.LBB54_291:
	v_and_b32_e32 v10, 7, v15
	v_ffbh_u32_e32 v20, v10
	v_min_u32_e32 v20, 32, v20
	v_lshrrev_b16_e32 v14, 3, v15
	v_subrev_u32_e32 v21, 28, v20
	v_and_b32_e32 v14, 15, v14
	v_lshlrev_b32_e32 v21, v21, v15
	v_sub_u32_e32 v20, 29, v20
	v_and_b32_e32 v21, 7, v21
	v_cmp_eq_u16_e32 vcc, 0, v14
	v_cndmask_b32_e32 v10, v10, v21, vcc
	v_cndmask_b32_e32 v14, v14, v20, vcc
	v_lshlrev_b32_e32 v20, 24, v15
	v_mov_b32_e32 v21, 0x3b800000
	v_lshlrev_b32_e32 v10, 20, v10
	v_and_b32_e32 v20, 0x80000000, v20
	v_lshl_add_u32 v14, v14, 23, v21
	v_or3_b32 v10, v20, v14, v10
.LBB54_292:
	s_or_b64 exec, exec, s[6:7]
	s_movk_i32 s4, 0x7f
	v_cmp_gt_i16_sdwa s[6:7], v11, s4 src0_sel:BYTE_0 src1_sel:DWORD
	s_mov_b64 s[4:5], 0
                                        ; implicit-def: $sgpr10
	s_and_saveexec_b64 s[8:9], s[6:7]
	s_xor_b64 s[6:7], exec, s[8:9]
	s_cbranch_execnz .LBB54_2341
; %bb.293:
	s_or_saveexec_b64 s[6:7], s[6:7]
	v_mov_b32_e32 v14, s10
	s_xor_b64 exec, exec, s[6:7]
	s_cbranch_execnz .LBB54_2344
.LBB54_294:
	s_or_b64 exec, exec, s[6:7]
	s_and_saveexec_b64 s[6:7], s[4:5]
	s_cbranch_execz .LBB54_296
.LBB54_295:
	v_and_b32_e32 v14, 7, v11
	v_ffbh_u32_e32 v21, v14
	v_min_u32_e32 v21, 32, v21
	v_lshrrev_b16_e32 v20, 3, v11
	v_subrev_u32_e32 v22, 28, v21
	v_and_b32_e32 v20, 15, v20
	v_lshlrev_b32_e32 v22, v22, v11
	v_sub_u32_e32 v21, 29, v21
	v_and_b32_e32 v22, 7, v22
	v_cmp_eq_u16_e32 vcc, 0, v20
	v_cndmask_b32_e32 v14, v14, v22, vcc
	v_cndmask_b32_e32 v20, v20, v21, vcc
	v_lshlrev_b32_e32 v21, 24, v11
	v_mov_b32_e32 v22, 0x3b800000
	v_lshlrev_b32_e32 v14, 20, v14
	v_and_b32_e32 v21, 0x80000000, v21
	v_lshl_add_u32 v20, v20, 23, v22
	v_or3_b32 v14, v21, v20, v14
.LBB54_296:
	s_or_b64 exec, exec, s[6:7]
	s_nop 0
	v_mfma_f32_16x16x4f32 a[0:3], v10, v14, a[0:3]
	v_lshrrev_b32_e32 v14, 8, v15
	s_movk_i32 s4, 0x7f
	v_cmp_gt_i16_sdwa s[6:7], v14, s4 src0_sel:BYTE_0 src1_sel:DWORD
	s_mov_b64 s[4:5], 0
                                        ; implicit-def: $sgpr10
	s_and_saveexec_b64 s[8:9], s[6:7]
	s_xor_b64 s[6:7], exec, s[8:9]
	s_cbranch_execnz .LBB54_2345
; %bb.297:
	s_or_saveexec_b64 s[6:7], s[6:7]
	v_mov_b32_e32 v10, s10
	s_xor_b64 exec, exec, s[6:7]
	s_cbranch_execnz .LBB54_2348
.LBB54_298:
	s_or_b64 exec, exec, s[6:7]
	s_and_saveexec_b64 s[6:7], s[4:5]
	s_cbranch_execz .LBB54_300
.LBB54_299:
	v_bfe_u32 v10, v15, 8, 3
	v_ffbh_u32_e32 v21, v10
	v_min_u32_e32 v21, 32, v21
	v_lshrrev_b16_e32 v20, 3, v14
	v_subrev_u32_e32 v22, 28, v21
	v_and_b32_e32 v20, 15, v20
	v_lshlrev_b32_e32 v14, v22, v14
	v_sub_u32_e32 v21, 29, v21
	v_and_b32_e32 v14, 7, v14
	v_cmp_eq_u16_e32 vcc, 0, v20
	v_cndmask_b32_e32 v10, v10, v14, vcc
	v_cndmask_b32_e32 v14, v20, v21, vcc
	v_lshlrev_b32_e32 v20, 16, v15
	v_mov_b32_e32 v21, 0x3b800000
	v_lshlrev_b32_e32 v10, 20, v10
	v_and_b32_e32 v20, 0x80000000, v20
	v_lshl_add_u32 v14, v14, 23, v21
	v_or3_b32 v10, v20, v14, v10
.LBB54_300:
	s_or_b64 exec, exec, s[6:7]
	v_lshrrev_b32_e32 v14, 8, v11
	s_movk_i32 s4, 0x7f
	v_cmp_gt_i16_sdwa s[6:7], v14, s4 src0_sel:BYTE_0 src1_sel:DWORD
	s_mov_b64 s[4:5], 0
                                        ; implicit-def: $sgpr10
	s_and_saveexec_b64 s[8:9], s[6:7]
	s_xor_b64 s[6:7], exec, s[8:9]
	s_cbranch_execnz .LBB54_2349
; %bb.301:
	s_or_saveexec_b64 s[6:7], s[6:7]
	v_mov_b32_e32 v20, s10
	s_xor_b64 exec, exec, s[6:7]
	s_cbranch_execnz .LBB54_2352
.LBB54_302:
	s_or_b64 exec, exec, s[6:7]
	s_and_saveexec_b64 s[6:7], s[4:5]
	s_cbranch_execz .LBB54_304
.LBB54_303:
	v_bfe_u32 v20, v11, 8, 3
	v_ffbh_u32_e32 v22, v20
	v_min_u32_e32 v22, 32, v22
	v_lshrrev_b16_e32 v21, 3, v14
	v_subrev_u32_e32 v23, 28, v22
	v_and_b32_e32 v21, 15, v21
	v_lshlrev_b32_e32 v14, v23, v14
	v_sub_u32_e32 v22, 29, v22
	v_and_b32_e32 v14, 7, v14
	v_cmp_eq_u16_e32 vcc, 0, v21
	v_cndmask_b32_e32 v14, v20, v14, vcc
	v_cndmask_b32_e32 v20, v21, v22, vcc
	v_lshlrev_b32_e32 v21, 16, v11
	v_mov_b32_e32 v22, 0x3b800000
	v_lshlrev_b32_e32 v14, 20, v14
	v_and_b32_e32 v21, 0x80000000, v21
	v_lshl_add_u32 v20, v20, 23, v22
	v_or3_b32 v20, v21, v20, v14
.LBB54_304:
	s_or_b64 exec, exec, s[6:7]
	s_nop 0
	v_mfma_f32_16x16x4f32 a[0:3], v10, v20, a[0:3]
	s_movk_i32 s4, 0xff
	v_and_b32_sdwa v14, v15, s4 dst_sel:DWORD dst_unused:UNUSED_PAD src0_sel:WORD_1 src1_sel:DWORD
	s_movk_i32 s4, 0x7f
	v_cmp_lt_i16_e32 vcc, s4, v14
	s_mov_b64 s[4:5], 0
                                        ; implicit-def: $sgpr10
	s_and_saveexec_b64 s[6:7], vcc
	s_xor_b64 s[6:7], exec, s[6:7]
	s_cbranch_execnz .LBB54_2353
; %bb.305:
	s_or_saveexec_b64 s[6:7], s[6:7]
	v_mov_b32_e32 v10, s10
	s_xor_b64 exec, exec, s[6:7]
	s_cbranch_execnz .LBB54_2356
.LBB54_306:
	s_or_b64 exec, exec, s[6:7]
	s_and_saveexec_b64 s[6:7], s[4:5]
	s_cbranch_execz .LBB54_308
.LBB54_307:
	v_bfe_u32 v10, v15, 16, 3
	v_ffbh_u32_e32 v21, v10
	v_min_u32_e32 v21, 32, v21
	v_lshrrev_b32_e32 v14, 19, v15
	v_subrev_u32_e32 v22, 28, v21
	v_and_b32_e32 v14, 15, v14
	v_lshlrev_b32_sdwa v22, v22, v15 dst_sel:DWORD dst_unused:UNUSED_PAD src0_sel:DWORD src1_sel:WORD_1
	v_bfe_u32 v20, v15, 19, 4
	v_sub_u32_e32 v21, 29, v21
	v_and_b32_e32 v22, 7, v22
	v_cmp_eq_u16_e32 vcc, 0, v14
	v_cndmask_b32_e32 v10, v10, v22, vcc
	v_cndmask_b32_e32 v14, v20, v21, vcc
	v_lshlrev_b32_e32 v20, 8, v15
	v_mov_b32_e32 v21, 0x3b800000
	v_lshlrev_b32_e32 v10, 20, v10
	v_and_b32_e32 v20, 0x80000000, v20
	v_lshl_add_u32 v14, v14, 23, v21
	v_or3_b32 v10, v20, v14, v10
.LBB54_308:
	s_or_b64 exec, exec, s[6:7]
	s_movk_i32 s4, 0xff
	v_and_b32_sdwa v14, v11, s4 dst_sel:DWORD dst_unused:UNUSED_PAD src0_sel:WORD_1 src1_sel:DWORD
	s_movk_i32 s4, 0x7f
	v_cmp_lt_i16_e32 vcc, s4, v14
	s_mov_b64 s[4:5], 0
                                        ; implicit-def: $sgpr10
	s_and_saveexec_b64 s[6:7], vcc
	s_xor_b64 s[6:7], exec, s[6:7]
	s_cbranch_execnz .LBB54_2357
; %bb.309:
	s_or_saveexec_b64 s[6:7], s[6:7]
	v_mov_b32_e32 v20, s10
	s_xor_b64 exec, exec, s[6:7]
	s_cbranch_execnz .LBB54_2360
.LBB54_310:
	s_or_b64 exec, exec, s[6:7]
	s_and_saveexec_b64 s[6:7], s[4:5]
	s_cbranch_execz .LBB54_312
.LBB54_311:
	v_bfe_u32 v14, v11, 16, 3
	v_ffbh_u32_e32 v22, v14
	v_min_u32_e32 v22, 32, v22
	v_lshrrev_b32_e32 v20, 19, v11
	v_subrev_u32_e32 v23, 28, v22
	v_and_b32_e32 v20, 15, v20
	v_lshlrev_b32_sdwa v23, v23, v11 dst_sel:DWORD dst_unused:UNUSED_PAD src0_sel:DWORD src1_sel:WORD_1
	v_bfe_u32 v21, v11, 19, 4
	v_sub_u32_e32 v22, 29, v22
	v_and_b32_e32 v23, 7, v23
	v_cmp_eq_u16_e32 vcc, 0, v20
	v_cndmask_b32_e32 v14, v14, v23, vcc
	v_cndmask_b32_e32 v20, v21, v22, vcc
	v_lshlrev_b32_e32 v21, 8, v11
	v_mov_b32_e32 v22, 0x3b800000
	v_lshlrev_b32_e32 v14, 20, v14
	v_and_b32_e32 v21, 0x80000000, v21
	v_lshl_add_u32 v20, v20, 23, v22
	v_or3_b32 v20, v21, v20, v14
.LBB54_312:
	s_or_b64 exec, exec, s[6:7]
	s_nop 0
	v_mfma_f32_16x16x4f32 a[0:3], v10, v20, a[0:3]
	s_movk_i32 s4, 0x7f
	v_cmp_gt_i16_sdwa s[6:7], v15, s4 src0_sel:BYTE_3 src1_sel:DWORD
	s_mov_b64 s[4:5], 0
                                        ; implicit-def: $sgpr10
	s_and_saveexec_b64 s[8:9], s[6:7]
	s_xor_b64 s[6:7], exec, s[8:9]
	s_cbranch_execnz .LBB54_2361
; %bb.313:
	s_or_saveexec_b64 s[6:7], s[6:7]
	v_mov_b32_e32 v10, s10
	s_xor_b64 exec, exec, s[6:7]
	s_cbranch_execnz .LBB54_2364
.LBB54_314:
	s_or_b64 exec, exec, s[6:7]
	s_and_saveexec_b64 s[6:7], s[4:5]
	s_cbranch_execz .LBB54_316
.LBB54_315:
	v_bfe_u32 v10, v15, 24, 3
	v_ffbh_u32_e32 v22, v10
	v_min_u32_e32 v22, 32, v22
	v_lshrrev_b32_e32 v20, 27, v15
	v_subrev_u32_e32 v23, 28, v22
	v_and_b32_e32 v14, 0x80000000, v15
	v_and_b32_e32 v20, 15, v20
	v_bfe_u32 v21, v15, 27, 4
	v_lshlrev_b32_sdwa v15, v23, v15 dst_sel:DWORD dst_unused:UNUSED_PAD src0_sel:DWORD src1_sel:BYTE_3
	v_sub_u32_e32 v22, 29, v22
	v_and_b32_e32 v15, 7, v15
	v_cmp_eq_u16_e32 vcc, 0, v20
	v_cndmask_b32_e32 v10, v10, v15, vcc
	v_cndmask_b32_e32 v15, v21, v22, vcc
	v_mov_b32_e32 v20, 0x3b800000
	v_lshlrev_b32_e32 v10, 20, v10
	v_lshl_add_u32 v15, v15, 23, v20
	v_or3_b32 v10, v14, v15, v10
.LBB54_316:
	s_or_b64 exec, exec, s[6:7]
	s_movk_i32 s4, 0x7f
	v_cmp_gt_i16_sdwa s[6:7], v11, s4 src0_sel:BYTE_3 src1_sel:DWORD
	s_mov_b64 s[4:5], 0
                                        ; implicit-def: $sgpr10
	s_and_saveexec_b64 s[8:9], s[6:7]
	s_xor_b64 s[6:7], exec, s[8:9]
	s_cbranch_execnz .LBB54_2365
; %bb.317:
	s_or_saveexec_b64 s[6:7], s[6:7]
	v_mov_b32_e32 v14, s10
	s_xor_b64 exec, exec, s[6:7]
	s_cbranch_execnz .LBB54_2368
.LBB54_318:
	s_or_b64 exec, exec, s[6:7]
	s_and_saveexec_b64 s[6:7], s[4:5]
	s_cbranch_execz .LBB54_320
.LBB54_319:
	v_bfe_u32 v14, v11, 24, 3
	v_ffbh_u32_e32 v22, v14
	v_min_u32_e32 v22, 32, v22
	v_lshrrev_b32_e32 v20, 27, v11
	v_subrev_u32_e32 v23, 28, v22
	v_and_b32_e32 v15, 0x80000000, v11
	v_and_b32_e32 v20, 15, v20
	v_bfe_u32 v21, v11, 27, 4
	v_lshlrev_b32_sdwa v11, v23, v11 dst_sel:DWORD dst_unused:UNUSED_PAD src0_sel:DWORD src1_sel:BYTE_3
	v_sub_u32_e32 v22, 29, v22
	v_and_b32_e32 v11, 7, v11
	v_cmp_eq_u16_e32 vcc, 0, v20
	v_cndmask_b32_e32 v11, v14, v11, vcc
	v_cndmask_b32_e32 v14, v21, v22, vcc
	v_mov_b32_e32 v20, 0x3b800000
	v_lshlrev_b32_e32 v11, 20, v11
	v_lshl_add_u32 v14, v14, 23, v20
	v_or3_b32 v14, v15, v14, v11
.LBB54_320:
	s_or_b64 exec, exec, s[6:7]
	s_nop 0
	v_mfma_f32_16x16x4f32 a[0:3], v10, v14, a[0:3]
	s_movk_i32 s4, 0x7f
	v_cmp_gt_i16_sdwa s[6:7], v16, s4 src0_sel:BYTE_0 src1_sel:DWORD
	s_mov_b64 s[4:5], 0
                                        ; implicit-def: $sgpr10
	s_and_saveexec_b64 s[8:9], s[6:7]
	s_xor_b64 s[6:7], exec, s[8:9]
	s_cbranch_execnz .LBB54_2369
; %bb.321:
	s_or_saveexec_b64 s[6:7], s[6:7]
	v_mov_b32_e32 v10, s10
	s_xor_b64 exec, exec, s[6:7]
	s_cbranch_execnz .LBB54_2372
.LBB54_322:
	s_or_b64 exec, exec, s[6:7]
	s_and_saveexec_b64 s[6:7], s[4:5]
	s_cbranch_execz .LBB54_324
.LBB54_323:
	v_and_b32_e32 v10, 7, v16
	v_ffbh_u32_e32 v14, v10
	v_min_u32_e32 v14, 32, v14
	v_lshrrev_b16_e32 v11, 3, v16
	v_subrev_u32_e32 v15, 28, v14
	v_and_b32_e32 v11, 15, v11
	v_lshlrev_b32_e32 v15, v15, v16
	v_sub_u32_e32 v14, 29, v14
	v_and_b32_e32 v15, 7, v15
	v_cmp_eq_u16_e32 vcc, 0, v11
	v_cndmask_b32_e32 v10, v10, v15, vcc
	v_cndmask_b32_e32 v11, v11, v14, vcc
	v_lshlrev_b32_e32 v14, 24, v16
	v_mov_b32_e32 v15, 0x3b800000
	v_lshlrev_b32_e32 v10, 20, v10
	v_and_b32_e32 v14, 0x80000000, v14
	v_lshl_add_u32 v11, v11, 23, v15
	v_or3_b32 v10, v14, v11, v10
.LBB54_324:
	s_or_b64 exec, exec, s[6:7]
	s_movk_i32 s4, 0x7f
	v_cmp_gt_i16_sdwa s[6:7], v12, s4 src0_sel:BYTE_0 src1_sel:DWORD
	s_mov_b64 s[4:5], 0
                                        ; implicit-def: $sgpr10
	s_and_saveexec_b64 s[8:9], s[6:7]
	s_xor_b64 s[6:7], exec, s[8:9]
	s_cbranch_execnz .LBB54_2373
; %bb.325:
	s_or_saveexec_b64 s[6:7], s[6:7]
	v_mov_b32_e32 v11, s10
	s_xor_b64 exec, exec, s[6:7]
	s_cbranch_execnz .LBB54_2376
.LBB54_326:
	s_or_b64 exec, exec, s[6:7]
	s_and_saveexec_b64 s[6:7], s[4:5]
	s_cbranch_execz .LBB54_328
.LBB54_327:
	v_and_b32_e32 v11, 7, v12
	v_ffbh_u32_e32 v15, v11
	v_min_u32_e32 v15, 32, v15
	v_lshrrev_b16_e32 v14, 3, v12
	v_subrev_u32_e32 v20, 28, v15
	v_and_b32_e32 v14, 15, v14
	v_lshlrev_b32_e32 v20, v20, v12
	v_sub_u32_e32 v15, 29, v15
	v_and_b32_e32 v20, 7, v20
	v_cmp_eq_u16_e32 vcc, 0, v14
	v_cndmask_b32_e32 v11, v11, v20, vcc
	v_cndmask_b32_e32 v14, v14, v15, vcc
	v_lshlrev_b32_e32 v15, 24, v12
	v_mov_b32_e32 v20, 0x3b800000
	v_lshlrev_b32_e32 v11, 20, v11
	v_and_b32_e32 v15, 0x80000000, v15
	v_lshl_add_u32 v14, v14, 23, v20
	v_or3_b32 v11, v15, v14, v11
.LBB54_328:
	s_or_b64 exec, exec, s[6:7]
	s_nop 0
	v_mfma_f32_16x16x4f32 a[0:3], v10, v11, a[0:3]
	v_lshrrev_b32_e32 v11, 8, v16
	s_movk_i32 s4, 0x7f
	v_cmp_gt_i16_sdwa s[6:7], v11, s4 src0_sel:BYTE_0 src1_sel:DWORD
	s_mov_b64 s[4:5], 0
                                        ; implicit-def: $sgpr10
	s_and_saveexec_b64 s[8:9], s[6:7]
	s_xor_b64 s[6:7], exec, s[8:9]
	s_cbranch_execnz .LBB54_2377
; %bb.329:
	s_or_saveexec_b64 s[6:7], s[6:7]
	v_mov_b32_e32 v10, s10
	s_xor_b64 exec, exec, s[6:7]
	s_cbranch_execnz .LBB54_2380
.LBB54_330:
	s_or_b64 exec, exec, s[6:7]
	s_and_saveexec_b64 s[6:7], s[4:5]
	s_cbranch_execz .LBB54_332
.LBB54_331:
	v_bfe_u32 v10, v16, 8, 3
	v_ffbh_u32_e32 v15, v10
	v_min_u32_e32 v15, 32, v15
	v_lshrrev_b16_e32 v14, 3, v11
	v_subrev_u32_e32 v20, 28, v15
	v_and_b32_e32 v14, 15, v14
	v_lshlrev_b32_e32 v11, v20, v11
	v_sub_u32_e32 v15, 29, v15
	v_and_b32_e32 v11, 7, v11
	v_cmp_eq_u16_e32 vcc, 0, v14
	v_cndmask_b32_e32 v10, v10, v11, vcc
	v_cndmask_b32_e32 v11, v14, v15, vcc
	v_lshlrev_b32_e32 v14, 16, v16
	v_mov_b32_e32 v15, 0x3b800000
	v_lshlrev_b32_e32 v10, 20, v10
	v_and_b32_e32 v14, 0x80000000, v14
	v_lshl_add_u32 v11, v11, 23, v15
	v_or3_b32 v10, v14, v11, v10
.LBB54_332:
	s_or_b64 exec, exec, s[6:7]
	v_lshrrev_b32_e32 v11, 8, v12
	s_movk_i32 s4, 0x7f
	v_cmp_gt_i16_sdwa s[6:7], v11, s4 src0_sel:BYTE_0 src1_sel:DWORD
	s_mov_b64 s[4:5], 0
                                        ; implicit-def: $sgpr10
	s_and_saveexec_b64 s[8:9], s[6:7]
	s_xor_b64 s[6:7], exec, s[8:9]
	s_cbranch_execnz .LBB54_2381
; %bb.333:
	s_or_saveexec_b64 s[6:7], s[6:7]
	v_mov_b32_e32 v14, s10
	s_xor_b64 exec, exec, s[6:7]
	s_cbranch_execnz .LBB54_2384
.LBB54_334:
	s_or_b64 exec, exec, s[6:7]
	s_and_saveexec_b64 s[6:7], s[4:5]
	s_cbranch_execz .LBB54_336
.LBB54_335:
	v_bfe_u32 v14, v12, 8, 3
	v_ffbh_u32_e32 v20, v14
	v_min_u32_e32 v20, 32, v20
	v_lshrrev_b16_e32 v15, 3, v11
	v_subrev_u32_e32 v21, 28, v20
	v_and_b32_e32 v15, 15, v15
	v_lshlrev_b32_e32 v11, v21, v11
	v_sub_u32_e32 v20, 29, v20
	v_and_b32_e32 v11, 7, v11
	v_cmp_eq_u16_e32 vcc, 0, v15
	v_cndmask_b32_e32 v11, v14, v11, vcc
	v_cndmask_b32_e32 v14, v15, v20, vcc
	v_lshlrev_b32_e32 v15, 16, v12
	v_mov_b32_e32 v20, 0x3b800000
	v_lshlrev_b32_e32 v11, 20, v11
	v_and_b32_e32 v15, 0x80000000, v15
	v_lshl_add_u32 v14, v14, 23, v20
	v_or3_b32 v14, v15, v14, v11
.LBB54_336:
	s_or_b64 exec, exec, s[6:7]
	s_nop 0
	v_mfma_f32_16x16x4f32 a[0:3], v10, v14, a[0:3]
	s_movk_i32 s4, 0xff
	v_and_b32_sdwa v11, v16, s4 dst_sel:DWORD dst_unused:UNUSED_PAD src0_sel:WORD_1 src1_sel:DWORD
	s_movk_i32 s4, 0x7f
	v_cmp_lt_i16_e32 vcc, s4, v11
	s_mov_b64 s[4:5], 0
                                        ; implicit-def: $sgpr10
	s_and_saveexec_b64 s[6:7], vcc
	s_xor_b64 s[6:7], exec, s[6:7]
	s_cbranch_execnz .LBB54_2385
; %bb.337:
	s_or_saveexec_b64 s[6:7], s[6:7]
	v_mov_b32_e32 v10, s10
	s_xor_b64 exec, exec, s[6:7]
	s_cbranch_execnz .LBB54_2388
.LBB54_338:
	s_or_b64 exec, exec, s[6:7]
	s_and_saveexec_b64 s[6:7], s[4:5]
	s_cbranch_execz .LBB54_340
.LBB54_339:
	v_bfe_u32 v10, v16, 16, 3
	v_ffbh_u32_e32 v15, v10
	v_min_u32_e32 v15, 32, v15
	v_lshrrev_b32_e32 v11, 19, v16
	v_subrev_u32_e32 v20, 28, v15
	v_and_b32_e32 v11, 15, v11
	v_lshlrev_b32_sdwa v20, v20, v16 dst_sel:DWORD dst_unused:UNUSED_PAD src0_sel:DWORD src1_sel:WORD_1
	v_bfe_u32 v14, v16, 19, 4
	v_sub_u32_e32 v15, 29, v15
	v_and_b32_e32 v20, 7, v20
	v_cmp_eq_u16_e32 vcc, 0, v11
	v_cndmask_b32_e32 v10, v10, v20, vcc
	v_cndmask_b32_e32 v11, v14, v15, vcc
	v_lshlrev_b32_e32 v14, 8, v16
	v_mov_b32_e32 v15, 0x3b800000
	v_lshlrev_b32_e32 v10, 20, v10
	v_and_b32_e32 v14, 0x80000000, v14
	v_lshl_add_u32 v11, v11, 23, v15
	v_or3_b32 v10, v14, v11, v10
.LBB54_340:
	s_or_b64 exec, exec, s[6:7]
	s_movk_i32 s4, 0xff
	v_and_b32_sdwa v11, v12, s4 dst_sel:DWORD dst_unused:UNUSED_PAD src0_sel:WORD_1 src1_sel:DWORD
	s_movk_i32 s4, 0x7f
	v_cmp_lt_i16_e32 vcc, s4, v11
	s_mov_b64 s[4:5], 0
                                        ; implicit-def: $sgpr10
	s_and_saveexec_b64 s[6:7], vcc
	s_xor_b64 s[6:7], exec, s[6:7]
	s_cbranch_execnz .LBB54_2389
; %bb.341:
	s_or_saveexec_b64 s[6:7], s[6:7]
	v_mov_b32_e32 v14, s10
	s_xor_b64 exec, exec, s[6:7]
	s_cbranch_execnz .LBB54_2392
.LBB54_342:
	s_or_b64 exec, exec, s[6:7]
	s_and_saveexec_b64 s[6:7], s[4:5]
	s_cbranch_execz .LBB54_344
.LBB54_343:
	v_bfe_u32 v11, v12, 16, 3
	v_ffbh_u32_e32 v20, v11
	v_min_u32_e32 v20, 32, v20
	v_lshrrev_b32_e32 v14, 19, v12
	v_subrev_u32_e32 v21, 28, v20
	v_and_b32_e32 v14, 15, v14
	v_lshlrev_b32_sdwa v21, v21, v12 dst_sel:DWORD dst_unused:UNUSED_PAD src0_sel:DWORD src1_sel:WORD_1
	v_bfe_u32 v15, v12, 19, 4
	v_sub_u32_e32 v20, 29, v20
	v_and_b32_e32 v21, 7, v21
	v_cmp_eq_u16_e32 vcc, 0, v14
	v_cndmask_b32_e32 v11, v11, v21, vcc
	v_cndmask_b32_e32 v14, v15, v20, vcc
	v_lshlrev_b32_e32 v15, 8, v12
	v_mov_b32_e32 v20, 0x3b800000
	v_lshlrev_b32_e32 v11, 20, v11
	v_and_b32_e32 v15, 0x80000000, v15
	v_lshl_add_u32 v14, v14, 23, v20
	v_or3_b32 v14, v15, v14, v11
.LBB54_344:
	s_or_b64 exec, exec, s[6:7]
	s_nop 0
	v_mfma_f32_16x16x4f32 a[0:3], v10, v14, a[0:3]
	s_movk_i32 s4, 0x7f
	v_cmp_gt_i16_sdwa s[6:7], v16, s4 src0_sel:BYTE_3 src1_sel:DWORD
	s_mov_b64 s[4:5], 0
                                        ; implicit-def: $sgpr10
	s_and_saveexec_b64 s[8:9], s[6:7]
	s_xor_b64 s[6:7], exec, s[8:9]
	s_cbranch_execnz .LBB54_2393
; %bb.345:
	s_or_saveexec_b64 s[6:7], s[6:7]
	v_mov_b32_e32 v10, s10
	s_xor_b64 exec, exec, s[6:7]
	s_cbranch_execnz .LBB54_2396
.LBB54_346:
	s_or_b64 exec, exec, s[6:7]
	s_and_saveexec_b64 s[6:7], s[4:5]
	s_cbranch_execz .LBB54_348
.LBB54_347:
	v_bfe_u32 v10, v16, 24, 3
	v_ffbh_u32_e32 v20, v10
	v_min_u32_e32 v20, 32, v20
	v_lshrrev_b32_e32 v14, 27, v16
	v_subrev_u32_e32 v21, 28, v20
	v_and_b32_e32 v11, 0x80000000, v16
	v_and_b32_e32 v14, 15, v14
	v_bfe_u32 v15, v16, 27, 4
	v_lshlrev_b32_sdwa v16, v21, v16 dst_sel:DWORD dst_unused:UNUSED_PAD src0_sel:DWORD src1_sel:BYTE_3
	v_sub_u32_e32 v20, 29, v20
	v_and_b32_e32 v16, 7, v16
	v_cmp_eq_u16_e32 vcc, 0, v14
	v_cndmask_b32_e32 v10, v10, v16, vcc
	v_cndmask_b32_e32 v14, v15, v20, vcc
	v_mov_b32_e32 v15, 0x3b800000
	v_lshlrev_b32_e32 v10, 20, v10
	v_lshl_add_u32 v14, v14, 23, v15
	v_or3_b32 v10, v11, v14, v10
.LBB54_348:
	s_or_b64 exec, exec, s[6:7]
	s_movk_i32 s4, 0x7f
	v_cmp_gt_i16_sdwa s[6:7], v12, s4 src0_sel:BYTE_3 src1_sel:DWORD
	s_mov_b64 s[4:5], 0
                                        ; implicit-def: $sgpr10
	s_and_saveexec_b64 s[8:9], s[6:7]
	s_xor_b64 s[6:7], exec, s[8:9]
	s_cbranch_execnz .LBB54_2397
; %bb.349:
	s_or_saveexec_b64 s[6:7], s[6:7]
	v_mov_b32_e32 v11, s10
	s_xor_b64 exec, exec, s[6:7]
	s_cbranch_execnz .LBB54_2400
.LBB54_350:
	s_or_b64 exec, exec, s[6:7]
	s_and_saveexec_b64 s[6:7], s[4:5]
	s_cbranch_execz .LBB54_352
.LBB54_351:
	v_bfe_u32 v11, v12, 24, 3
	v_ffbh_u32_e32 v20, v11
	v_min_u32_e32 v20, 32, v20
	v_lshrrev_b32_e32 v15, 27, v12
	v_subrev_u32_e32 v21, 28, v20
	v_and_b32_e32 v14, 0x80000000, v12
	v_and_b32_e32 v15, 15, v15
	v_bfe_u32 v16, v12, 27, 4
	v_lshlrev_b32_sdwa v12, v21, v12 dst_sel:DWORD dst_unused:UNUSED_PAD src0_sel:DWORD src1_sel:BYTE_3
	v_sub_u32_e32 v20, 29, v20
	v_and_b32_e32 v12, 7, v12
	v_cmp_eq_u16_e32 vcc, 0, v15
	v_cndmask_b32_e32 v11, v11, v12, vcc
	v_cndmask_b32_e32 v12, v16, v20, vcc
	v_mov_b32_e32 v15, 0x3b800000
	v_lshlrev_b32_e32 v11, 20, v11
	v_lshl_add_u32 v12, v12, 23, v15
	v_or3_b32 v11, v14, v12, v11
.LBB54_352:
	s_or_b64 exec, exec, s[6:7]
	s_nop 0
	v_mfma_f32_16x16x4f32 a[0:3], v10, v11, a[0:3]
	s_movk_i32 s4, 0x7f
	v_cmp_gt_i16_sdwa s[6:7], v17, s4 src0_sel:BYTE_0 src1_sel:DWORD
	s_mov_b64 s[4:5], 0
                                        ; implicit-def: $sgpr10
	s_and_saveexec_b64 s[8:9], s[6:7]
	s_xor_b64 s[6:7], exec, s[8:9]
	s_cbranch_execnz .LBB54_2401
; %bb.353:
	s_or_saveexec_b64 s[6:7], s[6:7]
	v_mov_b32_e32 v10, s10
	s_xor_b64 exec, exec, s[6:7]
	s_cbranch_execnz .LBB54_2404
.LBB54_354:
	s_or_b64 exec, exec, s[6:7]
	s_and_saveexec_b64 s[6:7], s[4:5]
	s_cbranch_execz .LBB54_356
.LBB54_355:
	v_and_b32_e32 v10, 7, v17
	v_ffbh_u32_e32 v12, v10
	v_min_u32_e32 v12, 32, v12
	v_lshrrev_b16_e32 v11, 3, v17
	v_subrev_u32_e32 v14, 28, v12
	v_and_b32_e32 v11, 15, v11
	v_lshlrev_b32_e32 v14, v14, v17
	v_sub_u32_e32 v12, 29, v12
	v_and_b32_e32 v14, 7, v14
	v_cmp_eq_u16_e32 vcc, 0, v11
	v_cndmask_b32_e32 v10, v10, v14, vcc
	v_cndmask_b32_e32 v11, v11, v12, vcc
	v_lshlrev_b32_e32 v12, 24, v17
	v_mov_b32_e32 v14, 0x3b800000
	v_lshlrev_b32_e32 v10, 20, v10
	v_and_b32_e32 v12, 0x80000000, v12
	v_lshl_add_u32 v11, v11, 23, v14
	v_or3_b32 v10, v12, v11, v10
.LBB54_356:
	s_or_b64 exec, exec, s[6:7]
	s_movk_i32 s4, 0x7f
	v_cmp_gt_i16_sdwa s[6:7], v13, s4 src0_sel:BYTE_0 src1_sel:DWORD
	s_mov_b64 s[4:5], 0
                                        ; implicit-def: $sgpr10
	s_and_saveexec_b64 s[8:9], s[6:7]
	s_xor_b64 s[6:7], exec, s[8:9]
	s_cbranch_execnz .LBB54_2405
; %bb.357:
	s_or_saveexec_b64 s[6:7], s[6:7]
	v_mov_b32_e32 v11, s10
	s_xor_b64 exec, exec, s[6:7]
	s_cbranch_execnz .LBB54_2408
.LBB54_358:
	s_or_b64 exec, exec, s[6:7]
	s_and_saveexec_b64 s[6:7], s[4:5]
	s_cbranch_execz .LBB54_360
.LBB54_359:
	v_and_b32_e32 v11, 7, v13
	v_ffbh_u32_e32 v14, v11
	v_min_u32_e32 v14, 32, v14
	v_lshrrev_b16_e32 v12, 3, v13
	v_subrev_u32_e32 v15, 28, v14
	v_and_b32_e32 v12, 15, v12
	v_lshlrev_b32_e32 v15, v15, v13
	v_sub_u32_e32 v14, 29, v14
	v_and_b32_e32 v15, 7, v15
	v_cmp_eq_u16_e32 vcc, 0, v12
	v_cndmask_b32_e32 v11, v11, v15, vcc
	v_cndmask_b32_e32 v12, v12, v14, vcc
	v_lshlrev_b32_e32 v14, 24, v13
	v_mov_b32_e32 v15, 0x3b800000
	v_lshlrev_b32_e32 v11, 20, v11
	v_and_b32_e32 v14, 0x80000000, v14
	v_lshl_add_u32 v12, v12, 23, v15
	v_or3_b32 v11, v14, v12, v11
.LBB54_360:
	s_or_b64 exec, exec, s[6:7]
	s_nop 0
	v_mfma_f32_16x16x4f32 a[0:3], v10, v11, a[0:3]
	v_lshrrev_b32_e32 v11, 8, v17
	s_movk_i32 s4, 0x7f
	v_cmp_gt_i16_sdwa s[6:7], v11, s4 src0_sel:BYTE_0 src1_sel:DWORD
	s_mov_b64 s[4:5], 0
                                        ; implicit-def: $sgpr10
	s_and_saveexec_b64 s[8:9], s[6:7]
	s_xor_b64 s[6:7], exec, s[8:9]
	s_cbranch_execnz .LBB54_2409
; %bb.361:
	s_or_saveexec_b64 s[6:7], s[6:7]
	v_mov_b32_e32 v10, s10
	s_xor_b64 exec, exec, s[6:7]
	s_cbranch_execnz .LBB54_2412
.LBB54_362:
	s_or_b64 exec, exec, s[6:7]
	s_and_saveexec_b64 s[6:7], s[4:5]
	s_cbranch_execz .LBB54_364
.LBB54_363:
	v_bfe_u32 v10, v17, 8, 3
	v_ffbh_u32_e32 v14, v10
	v_min_u32_e32 v14, 32, v14
	v_lshrrev_b16_e32 v12, 3, v11
	v_subrev_u32_e32 v15, 28, v14
	v_and_b32_e32 v12, 15, v12
	v_lshlrev_b32_e32 v11, v15, v11
	v_sub_u32_e32 v14, 29, v14
	v_and_b32_e32 v11, 7, v11
	v_cmp_eq_u16_e32 vcc, 0, v12
	v_cndmask_b32_e32 v10, v10, v11, vcc
	v_cndmask_b32_e32 v11, v12, v14, vcc
	v_lshlrev_b32_e32 v12, 16, v17
	v_mov_b32_e32 v14, 0x3b800000
	v_lshlrev_b32_e32 v10, 20, v10
	v_and_b32_e32 v12, 0x80000000, v12
	v_lshl_add_u32 v11, v11, 23, v14
	v_or3_b32 v10, v12, v11, v10
.LBB54_364:
	s_or_b64 exec, exec, s[6:7]
	v_lshrrev_b32_e32 v11, 8, v13
	s_movk_i32 s4, 0x7f
	v_cmp_gt_i16_sdwa s[6:7], v11, s4 src0_sel:BYTE_0 src1_sel:DWORD
	s_mov_b64 s[4:5], 0
                                        ; implicit-def: $sgpr10
	s_and_saveexec_b64 s[8:9], s[6:7]
	s_xor_b64 s[6:7], exec, s[8:9]
	s_cbranch_execnz .LBB54_2413
; %bb.365:
	s_or_saveexec_b64 s[6:7], s[6:7]
	v_mov_b32_e32 v12, s10
	s_xor_b64 exec, exec, s[6:7]
	s_cbranch_execnz .LBB54_2416
.LBB54_366:
	s_or_b64 exec, exec, s[6:7]
	s_and_saveexec_b64 s[6:7], s[4:5]
	s_cbranch_execz .LBB54_368
.LBB54_367:
	v_bfe_u32 v12, v13, 8, 3
	v_ffbh_u32_e32 v15, v12
	v_min_u32_e32 v15, 32, v15
	v_lshrrev_b16_e32 v14, 3, v11
	v_subrev_u32_e32 v16, 28, v15
	v_and_b32_e32 v14, 15, v14
	v_lshlrev_b32_e32 v11, v16, v11
	v_sub_u32_e32 v15, 29, v15
	v_and_b32_e32 v11, 7, v11
	v_cmp_eq_u16_e32 vcc, 0, v14
	v_cndmask_b32_e32 v11, v12, v11, vcc
	v_cndmask_b32_e32 v12, v14, v15, vcc
	v_lshlrev_b32_e32 v14, 16, v13
	v_mov_b32_e32 v15, 0x3b800000
	v_lshlrev_b32_e32 v11, 20, v11
	v_and_b32_e32 v14, 0x80000000, v14
	v_lshl_add_u32 v12, v12, 23, v15
	v_or3_b32 v12, v14, v12, v11
.LBB54_368:
	s_or_b64 exec, exec, s[6:7]
	s_nop 0
	v_mfma_f32_16x16x4f32 a[0:3], v10, v12, a[0:3]
	s_movk_i32 s4, 0xff
	v_and_b32_sdwa v11, v17, s4 dst_sel:DWORD dst_unused:UNUSED_PAD src0_sel:WORD_1 src1_sel:DWORD
	s_movk_i32 s4, 0x7f
	v_cmp_lt_i16_e32 vcc, s4, v11
	s_mov_b64 s[4:5], 0
                                        ; implicit-def: $sgpr10
	s_and_saveexec_b64 s[6:7], vcc
	s_xor_b64 s[6:7], exec, s[6:7]
	s_cbranch_execnz .LBB54_2417
; %bb.369:
	s_or_saveexec_b64 s[6:7], s[6:7]
	v_mov_b32_e32 v10, s10
	s_xor_b64 exec, exec, s[6:7]
	s_cbranch_execnz .LBB54_2420
.LBB54_370:
	s_or_b64 exec, exec, s[6:7]
	s_and_saveexec_b64 s[6:7], s[4:5]
	s_cbranch_execz .LBB54_372
.LBB54_371:
	v_bfe_u32 v10, v17, 16, 3
	v_ffbh_u32_e32 v14, v10
	v_min_u32_e32 v14, 32, v14
	v_lshrrev_b32_e32 v11, 19, v17
	v_subrev_u32_e32 v15, 28, v14
	v_and_b32_e32 v11, 15, v11
	v_lshlrev_b32_sdwa v15, v15, v17 dst_sel:DWORD dst_unused:UNUSED_PAD src0_sel:DWORD src1_sel:WORD_1
	v_bfe_u32 v12, v17, 19, 4
	v_sub_u32_e32 v14, 29, v14
	v_and_b32_e32 v15, 7, v15
	v_cmp_eq_u16_e32 vcc, 0, v11
	v_cndmask_b32_e32 v10, v10, v15, vcc
	v_cndmask_b32_e32 v11, v12, v14, vcc
	v_lshlrev_b32_e32 v12, 8, v17
	v_mov_b32_e32 v14, 0x3b800000
	v_lshlrev_b32_e32 v10, 20, v10
	v_and_b32_e32 v12, 0x80000000, v12
	v_lshl_add_u32 v11, v11, 23, v14
	v_or3_b32 v10, v12, v11, v10
.LBB54_372:
	s_or_b64 exec, exec, s[6:7]
	s_movk_i32 s4, 0xff
	v_and_b32_sdwa v11, v13, s4 dst_sel:DWORD dst_unused:UNUSED_PAD src0_sel:WORD_1 src1_sel:DWORD
	s_movk_i32 s4, 0x7f
	v_cmp_lt_i16_e32 vcc, s4, v11
	s_mov_b64 s[4:5], 0
                                        ; implicit-def: $sgpr10
	s_and_saveexec_b64 s[6:7], vcc
	s_xor_b64 s[6:7], exec, s[6:7]
	s_cbranch_execnz .LBB54_2421
; %bb.373:
	s_or_saveexec_b64 s[6:7], s[6:7]
	v_mov_b32_e32 v12, s10
	s_xor_b64 exec, exec, s[6:7]
	s_cbranch_execnz .LBB54_2424
.LBB54_374:
	s_or_b64 exec, exec, s[6:7]
	s_and_saveexec_b64 s[6:7], s[4:5]
	s_cbranch_execz .LBB54_376
.LBB54_375:
	v_bfe_u32 v11, v13, 16, 3
	v_ffbh_u32_e32 v15, v11
	v_min_u32_e32 v15, 32, v15
	v_lshrrev_b32_e32 v12, 19, v13
	v_subrev_u32_e32 v16, 28, v15
	v_and_b32_e32 v12, 15, v12
	v_lshlrev_b32_sdwa v16, v16, v13 dst_sel:DWORD dst_unused:UNUSED_PAD src0_sel:DWORD src1_sel:WORD_1
	v_bfe_u32 v14, v13, 19, 4
	v_sub_u32_e32 v15, 29, v15
	v_and_b32_e32 v16, 7, v16
	v_cmp_eq_u16_e32 vcc, 0, v12
	v_cndmask_b32_e32 v11, v11, v16, vcc
	v_cndmask_b32_e32 v12, v14, v15, vcc
	v_lshlrev_b32_e32 v14, 8, v13
	v_mov_b32_e32 v15, 0x3b800000
	v_lshlrev_b32_e32 v11, 20, v11
	v_and_b32_e32 v14, 0x80000000, v14
	v_lshl_add_u32 v12, v12, 23, v15
	v_or3_b32 v12, v14, v12, v11
.LBB54_376:
	s_or_b64 exec, exec, s[6:7]
	s_nop 0
	v_mfma_f32_16x16x4f32 a[0:3], v10, v12, a[0:3]
	s_movk_i32 s4, 0x7f
	v_cmp_gt_i16_sdwa s[6:7], v17, s4 src0_sel:BYTE_3 src1_sel:DWORD
	s_mov_b64 s[4:5], 0
                                        ; implicit-def: $sgpr10
	s_and_saveexec_b64 s[8:9], s[6:7]
	s_xor_b64 s[6:7], exec, s[8:9]
	s_cbranch_execnz .LBB54_2425
; %bb.377:
	s_or_saveexec_b64 s[6:7], s[6:7]
	v_mov_b32_e32 v10, s10
	s_xor_b64 exec, exec, s[6:7]
	s_cbranch_execnz .LBB54_2428
.LBB54_378:
	s_or_b64 exec, exec, s[6:7]
	s_and_saveexec_b64 s[6:7], s[4:5]
	s_cbranch_execz .LBB54_380
.LBB54_379:
	v_bfe_u32 v10, v17, 24, 3
	v_ffbh_u32_e32 v15, v10
	v_min_u32_e32 v15, 32, v15
	v_lshrrev_b32_e32 v12, 27, v17
	v_subrev_u32_e32 v16, 28, v15
	v_and_b32_e32 v12, 15, v12
	v_lshlrev_b32_sdwa v16, v16, v17 dst_sel:DWORD dst_unused:UNUSED_PAD src0_sel:DWORD src1_sel:BYTE_3
	v_bfe_u32 v14, v17, 27, 4
	v_sub_u32_e32 v15, 29, v15
	v_and_b32_e32 v16, 7, v16
	v_cmp_eq_u16_e32 vcc, 0, v12
	v_cndmask_b32_e32 v10, v10, v16, vcc
	v_cndmask_b32_e32 v12, v14, v15, vcc
	v_mov_b32_e32 v14, 0x3b800000
	v_and_b32_e32 v11, 0x80000000, v17
	v_lshlrev_b32_e32 v10, 20, v10
	v_lshl_add_u32 v12, v12, 23, v14
	v_or3_b32 v10, v11, v12, v10
.LBB54_380:
	s_or_b64 exec, exec, s[6:7]
	s_movk_i32 s4, 0x7f
	v_cmp_gt_i16_sdwa s[6:7], v13, s4 src0_sel:BYTE_3 src1_sel:DWORD
	s_mov_b64 s[4:5], 0
                                        ; implicit-def: $sgpr10
	s_and_saveexec_b64 s[8:9], s[6:7]
	s_xor_b64 s[6:7], exec, s[8:9]
	s_cbranch_execnz .LBB54_2429
; %bb.381:
	s_or_saveexec_b64 s[6:7], s[6:7]
	v_mov_b32_e32 v11, s10
	s_xor_b64 exec, exec, s[6:7]
	s_cbranch_execnz .LBB54_2432
.LBB54_382:
	s_or_b64 exec, exec, s[6:7]
	s_and_saveexec_b64 s[6:7], s[4:5]
	s_cbranch_execz .LBB54_384
.LBB54_383:
	v_bfe_u32 v11, v13, 24, 3
	v_ffbh_u32_e32 v16, v11
	v_min_u32_e32 v16, 32, v16
	v_lshrrev_b32_e32 v14, 27, v13
	v_subrev_u32_e32 v17, 28, v16
	v_and_b32_e32 v12, 0x80000000, v13
	v_and_b32_e32 v14, 15, v14
	v_bfe_u32 v15, v13, 27, 4
	v_lshlrev_b32_sdwa v13, v17, v13 dst_sel:DWORD dst_unused:UNUSED_PAD src0_sel:DWORD src1_sel:BYTE_3
	v_sub_u32_e32 v16, 29, v16
	v_and_b32_e32 v13, 7, v13
	v_cmp_eq_u16_e32 vcc, 0, v14
	v_cndmask_b32_e32 v11, v11, v13, vcc
	v_cndmask_b32_e32 v13, v15, v16, vcc
	v_mov_b32_e32 v14, 0x3b800000
	v_lshlrev_b32_e32 v11, 20, v11
	v_lshl_add_u32 v13, v13, 23, v14
	v_or3_b32 v11, v12, v13, v11
.LBB54_384:
	s_or_b64 exec, exec, s[6:7]
	s_nop 0
	v_mfma_f32_16x16x4f32 a[0:3], v10, v11, a[0:3]
	s_movk_i32 s4, 0x7f
	v_cmp_gt_i16_sdwa s[6:7], v6, s4 src0_sel:BYTE_0 src1_sel:DWORD
	s_mov_b64 s[4:5], 0
                                        ; implicit-def: $sgpr10
	s_and_saveexec_b64 s[8:9], s[6:7]
	s_xor_b64 s[6:7], exec, s[8:9]
	s_cbranch_execnz .LBB54_2433
; %bb.385:
	s_or_saveexec_b64 s[6:7], s[6:7]
	v_mov_b32_e32 v10, s10
	s_xor_b64 exec, exec, s[6:7]
	s_cbranch_execnz .LBB54_2436
.LBB54_386:
	s_or_b64 exec, exec, s[6:7]
	s_and_saveexec_b64 s[6:7], s[4:5]
	s_cbranch_execz .LBB54_388
.LBB54_387:
	v_and_b32_e32 v10, 7, v6
	v_ffbh_u32_e32 v12, v10
	v_min_u32_e32 v12, 32, v12
	v_lshrrev_b16_e32 v11, 3, v6
	v_subrev_u32_e32 v13, 28, v12
	v_and_b32_e32 v11, 15, v11
	v_lshlrev_b32_e32 v13, v13, v6
	v_sub_u32_e32 v12, 29, v12
	v_and_b32_e32 v13, 7, v13
	v_cmp_eq_u16_e32 vcc, 0, v11
	v_cndmask_b32_e32 v10, v10, v13, vcc
	v_cndmask_b32_e32 v11, v11, v12, vcc
	v_lshlrev_b32_e32 v12, 24, v6
	v_mov_b32_e32 v13, 0x3b800000
	v_lshlrev_b32_e32 v10, 20, v10
	v_and_b32_e32 v12, 0x80000000, v12
	v_lshl_add_u32 v11, v11, 23, v13
	v_or3_b32 v10, v12, v11, v10
.LBB54_388:
	s_or_b64 exec, exec, s[6:7]
	s_movk_i32 s4, 0x7f
	v_cmp_gt_i16_sdwa s[6:7], v2, s4 src0_sel:BYTE_0 src1_sel:DWORD
	s_mov_b64 s[4:5], 0
                                        ; implicit-def: $sgpr10
	s_and_saveexec_b64 s[8:9], s[6:7]
	s_xor_b64 s[6:7], exec, s[8:9]
	s_cbranch_execnz .LBB54_2437
; %bb.389:
	s_or_saveexec_b64 s[6:7], s[6:7]
	v_mov_b32_e32 v11, s10
	s_xor_b64 exec, exec, s[6:7]
	s_cbranch_execnz .LBB54_2440
.LBB54_390:
	s_or_b64 exec, exec, s[6:7]
	s_and_saveexec_b64 s[6:7], s[4:5]
	s_cbranch_execz .LBB54_392
.LBB54_391:
	v_and_b32_e32 v11, 7, v2
	v_ffbh_u32_e32 v13, v11
	v_min_u32_e32 v13, 32, v13
	v_lshrrev_b16_e32 v12, 3, v2
	v_subrev_u32_e32 v14, 28, v13
	v_and_b32_e32 v12, 15, v12
	v_lshlrev_b32_e32 v14, v14, v2
	v_sub_u32_e32 v13, 29, v13
	v_and_b32_e32 v14, 7, v14
	v_cmp_eq_u16_e32 vcc, 0, v12
	v_cndmask_b32_e32 v11, v11, v14, vcc
	v_cndmask_b32_e32 v12, v12, v13, vcc
	v_lshlrev_b32_e32 v13, 24, v2
	v_mov_b32_e32 v14, 0x3b800000
	v_lshlrev_b32_e32 v11, 20, v11
	v_and_b32_e32 v13, 0x80000000, v13
	v_lshl_add_u32 v12, v12, 23, v14
	v_or3_b32 v11, v13, v12, v11
.LBB54_392:
	s_or_b64 exec, exec, s[6:7]
	s_nop 0
	v_mfma_f32_16x16x4f32 a[0:3], v10, v11, a[0:3]
	v_lshrrev_b32_e32 v11, 8, v6
	s_movk_i32 s4, 0x7f
	v_cmp_gt_i16_sdwa s[6:7], v11, s4 src0_sel:BYTE_0 src1_sel:DWORD
	s_mov_b64 s[4:5], 0
                                        ; implicit-def: $sgpr10
	s_and_saveexec_b64 s[8:9], s[6:7]
	s_xor_b64 s[6:7], exec, s[8:9]
	s_cbranch_execnz .LBB54_2441
; %bb.393:
	s_or_saveexec_b64 s[6:7], s[6:7]
	v_mov_b32_e32 v10, s10
	s_xor_b64 exec, exec, s[6:7]
	s_cbranch_execnz .LBB54_2444
.LBB54_394:
	s_or_b64 exec, exec, s[6:7]
	s_and_saveexec_b64 s[6:7], s[4:5]
	s_cbranch_execz .LBB54_396
.LBB54_395:
	v_bfe_u32 v10, v6, 8, 3
	v_ffbh_u32_e32 v13, v10
	v_min_u32_e32 v13, 32, v13
	v_lshrrev_b16_e32 v12, 3, v11
	v_subrev_u32_e32 v14, 28, v13
	v_and_b32_e32 v12, 15, v12
	v_lshlrev_b32_e32 v11, v14, v11
	v_sub_u32_e32 v13, 29, v13
	v_and_b32_e32 v11, 7, v11
	v_cmp_eq_u16_e32 vcc, 0, v12
	v_cndmask_b32_e32 v10, v10, v11, vcc
	v_cndmask_b32_e32 v11, v12, v13, vcc
	v_lshlrev_b32_e32 v12, 16, v6
	v_mov_b32_e32 v13, 0x3b800000
	v_lshlrev_b32_e32 v10, 20, v10
	v_and_b32_e32 v12, 0x80000000, v12
	v_lshl_add_u32 v11, v11, 23, v13
	v_or3_b32 v10, v12, v11, v10
.LBB54_396:
	s_or_b64 exec, exec, s[6:7]
	v_lshrrev_b32_e32 v11, 8, v2
	s_movk_i32 s4, 0x7f
	v_cmp_gt_i16_sdwa s[6:7], v11, s4 src0_sel:BYTE_0 src1_sel:DWORD
	s_mov_b64 s[4:5], 0
                                        ; implicit-def: $sgpr10
	s_and_saveexec_b64 s[8:9], s[6:7]
	s_xor_b64 s[6:7], exec, s[8:9]
	s_cbranch_execnz .LBB54_2445
; %bb.397:
	s_or_saveexec_b64 s[6:7], s[6:7]
	v_mov_b32_e32 v12, s10
	s_xor_b64 exec, exec, s[6:7]
	s_cbranch_execnz .LBB54_2448
.LBB54_398:
	s_or_b64 exec, exec, s[6:7]
	s_and_saveexec_b64 s[6:7], s[4:5]
	s_cbranch_execz .LBB54_400
.LBB54_399:
	v_bfe_u32 v12, v2, 8, 3
	v_ffbh_u32_e32 v14, v12
	v_min_u32_e32 v14, 32, v14
	v_lshrrev_b16_e32 v13, 3, v11
	v_subrev_u32_e32 v15, 28, v14
	v_and_b32_e32 v13, 15, v13
	v_lshlrev_b32_e32 v11, v15, v11
	v_sub_u32_e32 v14, 29, v14
	v_and_b32_e32 v11, 7, v11
	v_cmp_eq_u16_e32 vcc, 0, v13
	v_cndmask_b32_e32 v11, v12, v11, vcc
	v_cndmask_b32_e32 v12, v13, v14, vcc
	v_lshlrev_b32_e32 v13, 16, v2
	v_mov_b32_e32 v14, 0x3b800000
	v_lshlrev_b32_e32 v11, 20, v11
	v_and_b32_e32 v13, 0x80000000, v13
	v_lshl_add_u32 v12, v12, 23, v14
	v_or3_b32 v12, v13, v12, v11
.LBB54_400:
	s_or_b64 exec, exec, s[6:7]
	s_nop 0
	v_mfma_f32_16x16x4f32 a[0:3], v10, v12, a[0:3]
	s_movk_i32 s4, 0xff
	v_and_b32_sdwa v11, v6, s4 dst_sel:DWORD dst_unused:UNUSED_PAD src0_sel:WORD_1 src1_sel:DWORD
	s_movk_i32 s4, 0x7f
	v_cmp_lt_i16_e32 vcc, s4, v11
	s_mov_b64 s[4:5], 0
                                        ; implicit-def: $sgpr10
	s_and_saveexec_b64 s[6:7], vcc
	s_xor_b64 s[6:7], exec, s[6:7]
	s_cbranch_execnz .LBB54_2449
; %bb.401:
	s_or_saveexec_b64 s[6:7], s[6:7]
	v_mov_b32_e32 v10, s10
	s_xor_b64 exec, exec, s[6:7]
	s_cbranch_execnz .LBB54_2452
.LBB54_402:
	s_or_b64 exec, exec, s[6:7]
	s_and_saveexec_b64 s[6:7], s[4:5]
	s_cbranch_execz .LBB54_404
.LBB54_403:
	v_bfe_u32 v10, v6, 16, 3
	v_ffbh_u32_e32 v13, v10
	v_min_u32_e32 v13, 32, v13
	v_lshrrev_b32_e32 v11, 19, v6
	v_subrev_u32_e32 v14, 28, v13
	v_and_b32_e32 v11, 15, v11
	v_lshlrev_b32_sdwa v14, v14, v6 dst_sel:DWORD dst_unused:UNUSED_PAD src0_sel:DWORD src1_sel:WORD_1
	v_bfe_u32 v12, v6, 19, 4
	v_sub_u32_e32 v13, 29, v13
	v_and_b32_e32 v14, 7, v14
	v_cmp_eq_u16_e32 vcc, 0, v11
	v_cndmask_b32_e32 v10, v10, v14, vcc
	v_cndmask_b32_e32 v11, v12, v13, vcc
	v_lshlrev_b32_e32 v12, 8, v6
	v_mov_b32_e32 v13, 0x3b800000
	v_lshlrev_b32_e32 v10, 20, v10
	v_and_b32_e32 v12, 0x80000000, v12
	v_lshl_add_u32 v11, v11, 23, v13
	v_or3_b32 v10, v12, v11, v10
.LBB54_404:
	s_or_b64 exec, exec, s[6:7]
	s_movk_i32 s4, 0xff
	v_and_b32_sdwa v11, v2, s4 dst_sel:DWORD dst_unused:UNUSED_PAD src0_sel:WORD_1 src1_sel:DWORD
	s_movk_i32 s4, 0x7f
	v_cmp_lt_i16_e32 vcc, s4, v11
	s_mov_b64 s[4:5], 0
                                        ; implicit-def: $sgpr10
	s_and_saveexec_b64 s[6:7], vcc
	s_xor_b64 s[6:7], exec, s[6:7]
	s_cbranch_execnz .LBB54_2453
; %bb.405:
	s_or_saveexec_b64 s[6:7], s[6:7]
	v_mov_b32_e32 v12, s10
	s_xor_b64 exec, exec, s[6:7]
	s_cbranch_execnz .LBB54_2456
.LBB54_406:
	s_or_b64 exec, exec, s[6:7]
	s_and_saveexec_b64 s[6:7], s[4:5]
	s_cbranch_execz .LBB54_408
.LBB54_407:
	v_bfe_u32 v11, v2, 16, 3
	v_ffbh_u32_e32 v14, v11
	v_min_u32_e32 v14, 32, v14
	v_lshrrev_b32_e32 v12, 19, v2
	v_subrev_u32_e32 v15, 28, v14
	v_and_b32_e32 v12, 15, v12
	v_lshlrev_b32_sdwa v15, v15, v2 dst_sel:DWORD dst_unused:UNUSED_PAD src0_sel:DWORD src1_sel:WORD_1
	v_bfe_u32 v13, v2, 19, 4
	v_sub_u32_e32 v14, 29, v14
	v_and_b32_e32 v15, 7, v15
	v_cmp_eq_u16_e32 vcc, 0, v12
	v_cndmask_b32_e32 v11, v11, v15, vcc
	v_cndmask_b32_e32 v12, v13, v14, vcc
	v_lshlrev_b32_e32 v13, 8, v2
	v_mov_b32_e32 v14, 0x3b800000
	v_lshlrev_b32_e32 v11, 20, v11
	v_and_b32_e32 v13, 0x80000000, v13
	v_lshl_add_u32 v12, v12, 23, v14
	v_or3_b32 v12, v13, v12, v11
.LBB54_408:
	s_or_b64 exec, exec, s[6:7]
	s_nop 0
	v_mfma_f32_16x16x4f32 a[0:3], v10, v12, a[0:3]
	s_movk_i32 s4, 0x7f
	v_cmp_gt_i16_sdwa s[6:7], v6, s4 src0_sel:BYTE_3 src1_sel:DWORD
	s_mov_b64 s[4:5], 0
                                        ; implicit-def: $sgpr10
	s_and_saveexec_b64 s[8:9], s[6:7]
	s_xor_b64 s[6:7], exec, s[8:9]
	s_cbranch_execnz .LBB54_2457
; %bb.409:
	s_or_saveexec_b64 s[6:7], s[6:7]
	v_mov_b32_e32 v10, s10
	s_xor_b64 exec, exec, s[6:7]
	s_cbranch_execnz .LBB54_2460
.LBB54_410:
	s_or_b64 exec, exec, s[6:7]
	s_and_saveexec_b64 s[6:7], s[4:5]
	s_cbranch_execz .LBB54_412
.LBB54_411:
	v_bfe_u32 v10, v6, 24, 3
	v_ffbh_u32_e32 v14, v10
	v_min_u32_e32 v14, 32, v14
	v_lshrrev_b32_e32 v12, 27, v6
	v_subrev_u32_e32 v15, 28, v14
	v_and_b32_e32 v11, 0x80000000, v6
	v_and_b32_e32 v12, 15, v12
	v_bfe_u32 v13, v6, 27, 4
	v_lshlrev_b32_sdwa v6, v15, v6 dst_sel:DWORD dst_unused:UNUSED_PAD src0_sel:DWORD src1_sel:BYTE_3
	v_sub_u32_e32 v14, 29, v14
	v_and_b32_e32 v6, 7, v6
	v_cmp_eq_u16_e32 vcc, 0, v12
	v_cndmask_b32_e32 v6, v10, v6, vcc
	v_cndmask_b32_e32 v10, v13, v14, vcc
	v_mov_b32_e32 v12, 0x3b800000
	v_lshlrev_b32_e32 v6, 20, v6
	v_lshl_add_u32 v10, v10, 23, v12
	v_or3_b32 v10, v11, v10, v6
.LBB54_412:
	s_or_b64 exec, exec, s[6:7]
	s_movk_i32 s4, 0x7f
	v_cmp_gt_i16_sdwa s[6:7], v2, s4 src0_sel:BYTE_3 src1_sel:DWORD
	s_mov_b64 s[4:5], 0
                                        ; implicit-def: $sgpr10
	s_and_saveexec_b64 s[8:9], s[6:7]
	s_xor_b64 s[6:7], exec, s[8:9]
	s_cbranch_execnz .LBB54_2461
; %bb.413:
	s_or_saveexec_b64 s[6:7], s[6:7]
	v_mov_b32_e32 v6, s10
	s_xor_b64 exec, exec, s[6:7]
	s_cbranch_execnz .LBB54_2464
.LBB54_414:
	s_or_b64 exec, exec, s[6:7]
	s_and_saveexec_b64 s[6:7], s[4:5]
	s_cbranch_execz .LBB54_416
.LBB54_415:
	v_bfe_u32 v6, v2, 24, 3
	v_ffbh_u32_e32 v14, v6
	v_min_u32_e32 v14, 32, v14
	v_lshrrev_b32_e32 v12, 27, v2
	v_subrev_u32_e32 v15, 28, v14
	v_and_b32_e32 v11, 0x80000000, v2
	v_and_b32_e32 v12, 15, v12
	v_bfe_u32 v13, v2, 27, 4
	v_lshlrev_b32_sdwa v2, v15, v2 dst_sel:DWORD dst_unused:UNUSED_PAD src0_sel:DWORD src1_sel:BYTE_3
	v_sub_u32_e32 v14, 29, v14
	v_and_b32_e32 v2, 7, v2
	v_cmp_eq_u16_e32 vcc, 0, v12
	v_cndmask_b32_e32 v2, v6, v2, vcc
	v_cndmask_b32_e32 v6, v13, v14, vcc
	v_mov_b32_e32 v12, 0x3b800000
	v_lshlrev_b32_e32 v2, 20, v2
	v_lshl_add_u32 v6, v6, 23, v12
	v_or3_b32 v6, v11, v6, v2
.LBB54_416:
	s_or_b64 exec, exec, s[6:7]
	s_nop 0
	v_mfma_f32_16x16x4f32 a[0:3], v10, v6, a[0:3]
	s_movk_i32 s4, 0x7f
	v_cmp_gt_i16_sdwa s[6:7], v7, s4 src0_sel:BYTE_0 src1_sel:DWORD
	s_mov_b64 s[4:5], 0
                                        ; implicit-def: $sgpr10
	s_and_saveexec_b64 s[8:9], s[6:7]
	s_xor_b64 s[6:7], exec, s[8:9]
	s_cbranch_execnz .LBB54_2465
; %bb.417:
	s_or_saveexec_b64 s[6:7], s[6:7]
	v_mov_b32_e32 v2, s10
	s_xor_b64 exec, exec, s[6:7]
	s_cbranch_execnz .LBB54_2468
.LBB54_418:
	s_or_b64 exec, exec, s[6:7]
	s_and_saveexec_b64 s[6:7], s[4:5]
	s_cbranch_execz .LBB54_420
.LBB54_419:
	v_and_b32_e32 v2, 7, v7
	v_ffbh_u32_e32 v10, v2
	v_min_u32_e32 v10, 32, v10
	v_lshrrev_b16_e32 v6, 3, v7
	v_subrev_u32_e32 v11, 28, v10
	v_and_b32_e32 v6, 15, v6
	v_lshlrev_b32_e32 v11, v11, v7
	v_sub_u32_e32 v10, 29, v10
	v_and_b32_e32 v11, 7, v11
	v_cmp_eq_u16_e32 vcc, 0, v6
	v_cndmask_b32_e32 v2, v2, v11, vcc
	v_cndmask_b32_e32 v6, v6, v10, vcc
	v_lshlrev_b32_e32 v10, 24, v7
	v_mov_b32_e32 v11, 0x3b800000
	v_lshlrev_b32_e32 v2, 20, v2
	v_and_b32_e32 v10, 0x80000000, v10
	v_lshl_add_u32 v6, v6, 23, v11
	v_or3_b32 v2, v10, v6, v2
.LBB54_420:
	s_or_b64 exec, exec, s[6:7]
	s_movk_i32 s4, 0x7f
	v_cmp_gt_i16_sdwa s[6:7], v3, s4 src0_sel:BYTE_0 src1_sel:DWORD
	s_mov_b64 s[4:5], 0
                                        ; implicit-def: $sgpr10
	s_and_saveexec_b64 s[8:9], s[6:7]
	s_xor_b64 s[6:7], exec, s[8:9]
	s_cbranch_execnz .LBB54_2469
; %bb.421:
	s_or_saveexec_b64 s[6:7], s[6:7]
	v_mov_b32_e32 v6, s10
	s_xor_b64 exec, exec, s[6:7]
	s_cbranch_execnz .LBB54_2472
.LBB54_422:
	s_or_b64 exec, exec, s[6:7]
	s_and_saveexec_b64 s[6:7], s[4:5]
	s_cbranch_execz .LBB54_424
.LBB54_423:
	v_and_b32_e32 v6, 7, v3
	v_ffbh_u32_e32 v11, v6
	v_min_u32_e32 v11, 32, v11
	v_lshrrev_b16_e32 v10, 3, v3
	v_subrev_u32_e32 v12, 28, v11
	v_and_b32_e32 v10, 15, v10
	v_lshlrev_b32_e32 v12, v12, v3
	v_sub_u32_e32 v11, 29, v11
	v_and_b32_e32 v12, 7, v12
	v_cmp_eq_u16_e32 vcc, 0, v10
	v_cndmask_b32_e32 v6, v6, v12, vcc
	v_cndmask_b32_e32 v10, v10, v11, vcc
	v_lshlrev_b32_e32 v11, 24, v3
	v_mov_b32_e32 v12, 0x3b800000
	v_lshlrev_b32_e32 v6, 20, v6
	v_and_b32_e32 v11, 0x80000000, v11
	v_lshl_add_u32 v10, v10, 23, v12
	v_or3_b32 v6, v11, v10, v6
.LBB54_424:
	s_or_b64 exec, exec, s[6:7]
	s_nop 0
	v_mfma_f32_16x16x4f32 a[0:3], v2, v6, a[0:3]
	v_lshrrev_b32_e32 v6, 8, v7
	s_movk_i32 s4, 0x7f
	v_cmp_gt_i16_sdwa s[6:7], v6, s4 src0_sel:BYTE_0 src1_sel:DWORD
	s_mov_b64 s[4:5], 0
                                        ; implicit-def: $sgpr10
	s_and_saveexec_b64 s[8:9], s[6:7]
	s_xor_b64 s[6:7], exec, s[8:9]
	s_cbranch_execnz .LBB54_2473
; %bb.425:
	s_or_saveexec_b64 s[6:7], s[6:7]
	v_mov_b32_e32 v2, s10
	s_xor_b64 exec, exec, s[6:7]
	s_cbranch_execnz .LBB54_2476
.LBB54_426:
	s_or_b64 exec, exec, s[6:7]
	s_and_saveexec_b64 s[6:7], s[4:5]
	s_cbranch_execz .LBB54_428
.LBB54_427:
	v_bfe_u32 v2, v7, 8, 3
	v_ffbh_u32_e32 v11, v2
	v_min_u32_e32 v11, 32, v11
	v_lshrrev_b16_e32 v10, 3, v6
	v_subrev_u32_e32 v12, 28, v11
	v_and_b32_e32 v10, 15, v10
	v_lshlrev_b32_e32 v6, v12, v6
	v_sub_u32_e32 v11, 29, v11
	v_and_b32_e32 v6, 7, v6
	v_cmp_eq_u16_e32 vcc, 0, v10
	v_cndmask_b32_e32 v2, v2, v6, vcc
	v_cndmask_b32_e32 v6, v10, v11, vcc
	v_lshlrev_b32_e32 v10, 16, v7
	v_mov_b32_e32 v11, 0x3b800000
	v_lshlrev_b32_e32 v2, 20, v2
	v_and_b32_e32 v10, 0x80000000, v10
	v_lshl_add_u32 v6, v6, 23, v11
	v_or3_b32 v2, v10, v6, v2
.LBB54_428:
	s_or_b64 exec, exec, s[6:7]
	v_lshrrev_b32_e32 v6, 8, v3
	s_movk_i32 s4, 0x7f
	v_cmp_gt_i16_sdwa s[6:7], v6, s4 src0_sel:BYTE_0 src1_sel:DWORD
	s_mov_b64 s[4:5], 0
                                        ; implicit-def: $sgpr10
	s_and_saveexec_b64 s[8:9], s[6:7]
	s_xor_b64 s[6:7], exec, s[8:9]
	s_cbranch_execnz .LBB54_2477
; %bb.429:
	s_or_saveexec_b64 s[6:7], s[6:7]
	v_mov_b32_e32 v10, s10
	s_xor_b64 exec, exec, s[6:7]
	s_cbranch_execnz .LBB54_2480
.LBB54_430:
	s_or_b64 exec, exec, s[6:7]
	s_and_saveexec_b64 s[6:7], s[4:5]
	s_cbranch_execz .LBB54_432
.LBB54_431:
	v_bfe_u32 v10, v3, 8, 3
	v_ffbh_u32_e32 v12, v10
	v_min_u32_e32 v12, 32, v12
	v_lshrrev_b16_e32 v11, 3, v6
	v_subrev_u32_e32 v13, 28, v12
	v_and_b32_e32 v11, 15, v11
	v_lshlrev_b32_e32 v6, v13, v6
	v_sub_u32_e32 v12, 29, v12
	v_and_b32_e32 v6, 7, v6
	v_cmp_eq_u16_e32 vcc, 0, v11
	v_cndmask_b32_e32 v6, v10, v6, vcc
	v_cndmask_b32_e32 v10, v11, v12, vcc
	v_lshlrev_b32_e32 v11, 16, v3
	v_mov_b32_e32 v12, 0x3b800000
	v_lshlrev_b32_e32 v6, 20, v6
	v_and_b32_e32 v11, 0x80000000, v11
	v_lshl_add_u32 v10, v10, 23, v12
	v_or3_b32 v10, v11, v10, v6
.LBB54_432:
	s_or_b64 exec, exec, s[6:7]
	s_nop 0
	v_mfma_f32_16x16x4f32 a[0:3], v2, v10, a[0:3]
	s_movk_i32 s4, 0xff
	v_and_b32_sdwa v6, v7, s4 dst_sel:DWORD dst_unused:UNUSED_PAD src0_sel:WORD_1 src1_sel:DWORD
	s_movk_i32 s4, 0x7f
	v_cmp_lt_i16_e32 vcc, s4, v6
	s_mov_b64 s[4:5], 0
                                        ; implicit-def: $sgpr10
	s_and_saveexec_b64 s[6:7], vcc
	s_xor_b64 s[6:7], exec, s[6:7]
	s_cbranch_execnz .LBB54_2481
; %bb.433:
	s_or_saveexec_b64 s[6:7], s[6:7]
	v_mov_b32_e32 v2, s10
	s_xor_b64 exec, exec, s[6:7]
	s_cbranch_execnz .LBB54_2484
.LBB54_434:
	s_or_b64 exec, exec, s[6:7]
	s_and_saveexec_b64 s[6:7], s[4:5]
	s_cbranch_execz .LBB54_436
.LBB54_435:
	v_bfe_u32 v2, v7, 16, 3
	v_ffbh_u32_e32 v11, v2
	v_min_u32_e32 v11, 32, v11
	v_lshrrev_b32_e32 v6, 19, v7
	v_subrev_u32_e32 v12, 28, v11
	v_and_b32_e32 v6, 15, v6
	v_lshlrev_b32_sdwa v12, v12, v7 dst_sel:DWORD dst_unused:UNUSED_PAD src0_sel:DWORD src1_sel:WORD_1
	v_bfe_u32 v10, v7, 19, 4
	v_sub_u32_e32 v11, 29, v11
	v_and_b32_e32 v12, 7, v12
	v_cmp_eq_u16_e32 vcc, 0, v6
	v_cndmask_b32_e32 v2, v2, v12, vcc
	v_cndmask_b32_e32 v6, v10, v11, vcc
	v_lshlrev_b32_e32 v10, 8, v7
	v_mov_b32_e32 v11, 0x3b800000
	v_lshlrev_b32_e32 v2, 20, v2
	v_and_b32_e32 v10, 0x80000000, v10
	v_lshl_add_u32 v6, v6, 23, v11
	v_or3_b32 v2, v10, v6, v2
.LBB54_436:
	s_or_b64 exec, exec, s[6:7]
	s_movk_i32 s4, 0xff
	v_and_b32_sdwa v6, v3, s4 dst_sel:DWORD dst_unused:UNUSED_PAD src0_sel:WORD_1 src1_sel:DWORD
	s_movk_i32 s4, 0x7f
	v_cmp_lt_i16_e32 vcc, s4, v6
	s_mov_b64 s[4:5], 0
                                        ; implicit-def: $sgpr10
	s_and_saveexec_b64 s[6:7], vcc
	s_xor_b64 s[6:7], exec, s[6:7]
	s_cbranch_execnz .LBB54_2485
; %bb.437:
	s_or_saveexec_b64 s[6:7], s[6:7]
	v_mov_b32_e32 v10, s10
	s_xor_b64 exec, exec, s[6:7]
	s_cbranch_execnz .LBB54_2488
.LBB54_438:
	s_or_b64 exec, exec, s[6:7]
	s_and_saveexec_b64 s[6:7], s[4:5]
	s_cbranch_execz .LBB54_440
.LBB54_439:
	v_bfe_u32 v6, v3, 16, 3
	v_ffbh_u32_e32 v12, v6
	v_min_u32_e32 v12, 32, v12
	v_lshrrev_b32_e32 v10, 19, v3
	v_subrev_u32_e32 v13, 28, v12
	v_and_b32_e32 v10, 15, v10
	v_lshlrev_b32_sdwa v13, v13, v3 dst_sel:DWORD dst_unused:UNUSED_PAD src0_sel:DWORD src1_sel:WORD_1
	v_bfe_u32 v11, v3, 19, 4
	v_sub_u32_e32 v12, 29, v12
	v_and_b32_e32 v13, 7, v13
	v_cmp_eq_u16_e32 vcc, 0, v10
	v_cndmask_b32_e32 v6, v6, v13, vcc
	v_cndmask_b32_e32 v10, v11, v12, vcc
	v_lshlrev_b32_e32 v11, 8, v3
	v_mov_b32_e32 v12, 0x3b800000
	v_lshlrev_b32_e32 v6, 20, v6
	v_and_b32_e32 v11, 0x80000000, v11
	v_lshl_add_u32 v10, v10, 23, v12
	v_or3_b32 v10, v11, v10, v6
.LBB54_440:
	s_or_b64 exec, exec, s[6:7]
	s_nop 0
	v_mfma_f32_16x16x4f32 a[0:3], v2, v10, a[0:3]
	s_movk_i32 s4, 0x7f
	v_cmp_gt_i16_sdwa s[6:7], v7, s4 src0_sel:BYTE_3 src1_sel:DWORD
	s_mov_b64 s[4:5], 0
                                        ; implicit-def: $sgpr10
	s_and_saveexec_b64 s[8:9], s[6:7]
	s_xor_b64 s[6:7], exec, s[8:9]
	s_cbranch_execnz .LBB54_2489
; %bb.441:
	s_or_saveexec_b64 s[6:7], s[6:7]
	v_mov_b32_e32 v2, s10
	s_xor_b64 exec, exec, s[6:7]
	s_cbranch_execnz .LBB54_2492
.LBB54_442:
	s_or_b64 exec, exec, s[6:7]
	s_and_saveexec_b64 s[6:7], s[4:5]
	s_cbranch_execz .LBB54_444
.LBB54_443:
	v_bfe_u32 v2, v7, 24, 3
	v_ffbh_u32_e32 v12, v2
	v_min_u32_e32 v12, 32, v12
	v_lshrrev_b32_e32 v10, 27, v7
	v_subrev_u32_e32 v13, 28, v12
	v_and_b32_e32 v6, 0x80000000, v7
	v_and_b32_e32 v10, 15, v10
	v_bfe_u32 v11, v7, 27, 4
	v_lshlrev_b32_sdwa v7, v13, v7 dst_sel:DWORD dst_unused:UNUSED_PAD src0_sel:DWORD src1_sel:BYTE_3
	v_sub_u32_e32 v12, 29, v12
	v_and_b32_e32 v7, 7, v7
	v_cmp_eq_u16_e32 vcc, 0, v10
	v_cndmask_b32_e32 v2, v2, v7, vcc
	v_cndmask_b32_e32 v7, v11, v12, vcc
	v_mov_b32_e32 v10, 0x3b800000
	v_lshlrev_b32_e32 v2, 20, v2
	v_lshl_add_u32 v7, v7, 23, v10
	v_or3_b32 v2, v6, v7, v2
.LBB54_444:
	s_or_b64 exec, exec, s[6:7]
	s_movk_i32 s4, 0x7f
	v_cmp_gt_i16_sdwa s[6:7], v3, s4 src0_sel:BYTE_3 src1_sel:DWORD
	s_mov_b64 s[4:5], 0
                                        ; implicit-def: $sgpr10
	s_and_saveexec_b64 s[8:9], s[6:7]
	s_xor_b64 s[6:7], exec, s[8:9]
	s_cbranch_execnz .LBB54_2493
; %bb.445:
	s_or_saveexec_b64 s[6:7], s[6:7]
	v_mov_b32_e32 v6, s10
	s_xor_b64 exec, exec, s[6:7]
	s_cbranch_execnz .LBB54_2496
.LBB54_446:
	s_or_b64 exec, exec, s[6:7]
	s_and_saveexec_b64 s[6:7], s[4:5]
	s_cbranch_execz .LBB54_448
.LBB54_447:
	v_bfe_u32 v6, v3, 24, 3
	v_ffbh_u32_e32 v12, v6
	v_min_u32_e32 v12, 32, v12
	v_lshrrev_b32_e32 v10, 27, v3
	v_subrev_u32_e32 v13, 28, v12
	v_and_b32_e32 v7, 0x80000000, v3
	v_and_b32_e32 v10, 15, v10
	v_bfe_u32 v11, v3, 27, 4
	v_lshlrev_b32_sdwa v3, v13, v3 dst_sel:DWORD dst_unused:UNUSED_PAD src0_sel:DWORD src1_sel:BYTE_3
	v_sub_u32_e32 v12, 29, v12
	v_and_b32_e32 v3, 7, v3
	v_cmp_eq_u16_e32 vcc, 0, v10
	v_cndmask_b32_e32 v3, v6, v3, vcc
	v_cndmask_b32_e32 v6, v11, v12, vcc
	v_mov_b32_e32 v10, 0x3b800000
	v_lshlrev_b32_e32 v3, 20, v3
	v_lshl_add_u32 v6, v6, 23, v10
	v_or3_b32 v6, v7, v6, v3
.LBB54_448:
	s_or_b64 exec, exec, s[6:7]
	s_nop 0
	v_mfma_f32_16x16x4f32 a[0:3], v2, v6, a[0:3]
	s_movk_i32 s4, 0x7f
	v_cmp_gt_i16_sdwa s[6:7], v8, s4 src0_sel:BYTE_0 src1_sel:DWORD
	s_mov_b64 s[4:5], 0
                                        ; implicit-def: $sgpr10
	s_and_saveexec_b64 s[8:9], s[6:7]
	s_xor_b64 s[6:7], exec, s[8:9]
	s_cbranch_execnz .LBB54_2497
; %bb.449:
	s_or_saveexec_b64 s[6:7], s[6:7]
	v_mov_b32_e32 v2, s10
	s_xor_b64 exec, exec, s[6:7]
	s_cbranch_execnz .LBB54_2500
.LBB54_450:
	s_or_b64 exec, exec, s[6:7]
	s_and_saveexec_b64 s[6:7], s[4:5]
	s_cbranch_execz .LBB54_452
.LBB54_451:
	v_and_b32_e32 v2, 7, v8
	v_ffbh_u32_e32 v6, v2
	v_min_u32_e32 v6, 32, v6
	v_lshrrev_b16_e32 v3, 3, v8
	v_subrev_u32_e32 v7, 28, v6
	v_and_b32_e32 v3, 15, v3
	v_lshlrev_b32_e32 v7, v7, v8
	v_sub_u32_e32 v6, 29, v6
	v_and_b32_e32 v7, 7, v7
	v_cmp_eq_u16_e32 vcc, 0, v3
	v_cndmask_b32_e32 v2, v2, v7, vcc
	v_cndmask_b32_e32 v3, v3, v6, vcc
	v_lshlrev_b32_e32 v6, 24, v8
	v_mov_b32_e32 v7, 0x3b800000
	v_lshlrev_b32_e32 v2, 20, v2
	v_and_b32_e32 v6, 0x80000000, v6
	v_lshl_add_u32 v3, v3, 23, v7
	v_or3_b32 v2, v6, v3, v2
.LBB54_452:
	s_or_b64 exec, exec, s[6:7]
	s_movk_i32 s4, 0x7f
	v_cmp_gt_i16_sdwa s[6:7], v4, s4 src0_sel:BYTE_0 src1_sel:DWORD
	s_mov_b64 s[4:5], 0
                                        ; implicit-def: $sgpr10
	s_and_saveexec_b64 s[8:9], s[6:7]
	s_xor_b64 s[6:7], exec, s[8:9]
	s_cbranch_execnz .LBB54_2501
; %bb.453:
	s_or_saveexec_b64 s[6:7], s[6:7]
	v_mov_b32_e32 v3, s10
	s_xor_b64 exec, exec, s[6:7]
	s_cbranch_execnz .LBB54_2504
.LBB54_454:
	s_or_b64 exec, exec, s[6:7]
	s_and_saveexec_b64 s[6:7], s[4:5]
	s_cbranch_execz .LBB54_456
.LBB54_455:
	v_and_b32_e32 v3, 7, v4
	v_ffbh_u32_e32 v7, v3
	v_min_u32_e32 v7, 32, v7
	v_lshrrev_b16_e32 v6, 3, v4
	v_subrev_u32_e32 v10, 28, v7
	v_and_b32_e32 v6, 15, v6
	v_lshlrev_b32_e32 v10, v10, v4
	v_sub_u32_e32 v7, 29, v7
	v_and_b32_e32 v10, 7, v10
	v_cmp_eq_u16_e32 vcc, 0, v6
	v_cndmask_b32_e32 v3, v3, v10, vcc
	v_cndmask_b32_e32 v6, v6, v7, vcc
	v_lshlrev_b32_e32 v7, 24, v4
	v_mov_b32_e32 v10, 0x3b800000
	v_lshlrev_b32_e32 v3, 20, v3
	v_and_b32_e32 v7, 0x80000000, v7
	v_lshl_add_u32 v6, v6, 23, v10
	v_or3_b32 v3, v7, v6, v3
.LBB54_456:
	s_or_b64 exec, exec, s[6:7]
	s_nop 0
	v_mfma_f32_16x16x4f32 a[0:3], v2, v3, a[0:3]
	v_lshrrev_b32_e32 v3, 8, v8
	s_movk_i32 s4, 0x7f
	v_cmp_gt_i16_sdwa s[6:7], v3, s4 src0_sel:BYTE_0 src1_sel:DWORD
	s_mov_b64 s[4:5], 0
                                        ; implicit-def: $sgpr10
	s_and_saveexec_b64 s[8:9], s[6:7]
	s_xor_b64 s[6:7], exec, s[8:9]
	s_cbranch_execnz .LBB54_2505
; %bb.457:
	s_or_saveexec_b64 s[6:7], s[6:7]
	v_mov_b32_e32 v2, s10
	s_xor_b64 exec, exec, s[6:7]
	s_cbranch_execnz .LBB54_2508
.LBB54_458:
	s_or_b64 exec, exec, s[6:7]
	s_and_saveexec_b64 s[6:7], s[4:5]
	s_cbranch_execz .LBB54_460
.LBB54_459:
	v_bfe_u32 v2, v8, 8, 3
	v_ffbh_u32_e32 v7, v2
	v_min_u32_e32 v7, 32, v7
	v_lshrrev_b16_e32 v6, 3, v3
	v_subrev_u32_e32 v10, 28, v7
	v_and_b32_e32 v6, 15, v6
	v_lshlrev_b32_e32 v3, v10, v3
	v_sub_u32_e32 v7, 29, v7
	v_and_b32_e32 v3, 7, v3
	v_cmp_eq_u16_e32 vcc, 0, v6
	v_cndmask_b32_e32 v2, v2, v3, vcc
	v_cndmask_b32_e32 v3, v6, v7, vcc
	v_lshlrev_b32_e32 v6, 16, v8
	v_mov_b32_e32 v7, 0x3b800000
	v_lshlrev_b32_e32 v2, 20, v2
	v_and_b32_e32 v6, 0x80000000, v6
	v_lshl_add_u32 v3, v3, 23, v7
	v_or3_b32 v2, v6, v3, v2
.LBB54_460:
	s_or_b64 exec, exec, s[6:7]
	v_lshrrev_b32_e32 v3, 8, v4
	s_movk_i32 s4, 0x7f
	v_cmp_gt_i16_sdwa s[6:7], v3, s4 src0_sel:BYTE_0 src1_sel:DWORD
	s_mov_b64 s[4:5], 0
                                        ; implicit-def: $sgpr10
	s_and_saveexec_b64 s[8:9], s[6:7]
	s_xor_b64 s[6:7], exec, s[8:9]
	s_cbranch_execnz .LBB54_2509
; %bb.461:
	s_or_saveexec_b64 s[6:7], s[6:7]
	v_mov_b32_e32 v6, s10
	s_xor_b64 exec, exec, s[6:7]
	s_cbranch_execnz .LBB54_2512
.LBB54_462:
	s_or_b64 exec, exec, s[6:7]
	s_and_saveexec_b64 s[6:7], s[4:5]
	s_cbranch_execz .LBB54_464
.LBB54_463:
	v_bfe_u32 v6, v4, 8, 3
	v_ffbh_u32_e32 v10, v6
	v_min_u32_e32 v10, 32, v10
	v_lshrrev_b16_e32 v7, 3, v3
	v_subrev_u32_e32 v11, 28, v10
	v_and_b32_e32 v7, 15, v7
	v_lshlrev_b32_e32 v3, v11, v3
	v_sub_u32_e32 v10, 29, v10
	v_and_b32_e32 v3, 7, v3
	v_cmp_eq_u16_e32 vcc, 0, v7
	v_cndmask_b32_e32 v3, v6, v3, vcc
	v_cndmask_b32_e32 v6, v7, v10, vcc
	v_lshlrev_b32_e32 v7, 16, v4
	v_mov_b32_e32 v10, 0x3b800000
	v_lshlrev_b32_e32 v3, 20, v3
	v_and_b32_e32 v7, 0x80000000, v7
	v_lshl_add_u32 v6, v6, 23, v10
	v_or3_b32 v6, v7, v6, v3
.LBB54_464:
	s_or_b64 exec, exec, s[6:7]
	s_nop 0
	v_mfma_f32_16x16x4f32 a[0:3], v2, v6, a[0:3]
	s_movk_i32 s4, 0xff
	v_and_b32_sdwa v3, v8, s4 dst_sel:DWORD dst_unused:UNUSED_PAD src0_sel:WORD_1 src1_sel:DWORD
	s_movk_i32 s4, 0x7f
	v_cmp_lt_i16_e32 vcc, s4, v3
	s_mov_b64 s[4:5], 0
                                        ; implicit-def: $sgpr10
	s_and_saveexec_b64 s[6:7], vcc
	s_xor_b64 s[6:7], exec, s[6:7]
	s_cbranch_execnz .LBB54_2513
; %bb.465:
	s_or_saveexec_b64 s[6:7], s[6:7]
	v_mov_b32_e32 v2, s10
	s_xor_b64 exec, exec, s[6:7]
	s_cbranch_execnz .LBB54_2516
.LBB54_466:
	s_or_b64 exec, exec, s[6:7]
	s_and_saveexec_b64 s[6:7], s[4:5]
	s_cbranch_execz .LBB54_468
.LBB54_467:
	v_bfe_u32 v2, v8, 16, 3
	v_ffbh_u32_e32 v7, v2
	v_min_u32_e32 v7, 32, v7
	v_lshrrev_b32_e32 v3, 19, v8
	v_subrev_u32_e32 v10, 28, v7
	v_and_b32_e32 v3, 15, v3
	v_lshlrev_b32_sdwa v10, v10, v8 dst_sel:DWORD dst_unused:UNUSED_PAD src0_sel:DWORD src1_sel:WORD_1
	v_bfe_u32 v6, v8, 19, 4
	v_sub_u32_e32 v7, 29, v7
	v_and_b32_e32 v10, 7, v10
	v_cmp_eq_u16_e32 vcc, 0, v3
	v_cndmask_b32_e32 v2, v2, v10, vcc
	v_cndmask_b32_e32 v3, v6, v7, vcc
	v_lshlrev_b32_e32 v6, 8, v8
	v_mov_b32_e32 v7, 0x3b800000
	v_lshlrev_b32_e32 v2, 20, v2
	v_and_b32_e32 v6, 0x80000000, v6
	v_lshl_add_u32 v3, v3, 23, v7
	v_or3_b32 v2, v6, v3, v2
.LBB54_468:
	s_or_b64 exec, exec, s[6:7]
	s_movk_i32 s4, 0xff
	v_and_b32_sdwa v3, v4, s4 dst_sel:DWORD dst_unused:UNUSED_PAD src0_sel:WORD_1 src1_sel:DWORD
	s_movk_i32 s4, 0x7f
	v_cmp_lt_i16_e32 vcc, s4, v3
	s_mov_b64 s[4:5], 0
                                        ; implicit-def: $sgpr10
	s_and_saveexec_b64 s[6:7], vcc
	s_xor_b64 s[6:7], exec, s[6:7]
	s_cbranch_execnz .LBB54_2517
; %bb.469:
	s_or_saveexec_b64 s[6:7], s[6:7]
	v_mov_b32_e32 v6, s10
	s_xor_b64 exec, exec, s[6:7]
	s_cbranch_execnz .LBB54_2520
.LBB54_470:
	s_or_b64 exec, exec, s[6:7]
	s_and_saveexec_b64 s[6:7], s[4:5]
	s_cbranch_execz .LBB54_472
.LBB54_471:
	v_bfe_u32 v3, v4, 16, 3
	v_ffbh_u32_e32 v10, v3
	v_min_u32_e32 v10, 32, v10
	v_lshrrev_b32_e32 v6, 19, v4
	v_subrev_u32_e32 v11, 28, v10
	v_and_b32_e32 v6, 15, v6
	v_lshlrev_b32_sdwa v11, v11, v4 dst_sel:DWORD dst_unused:UNUSED_PAD src0_sel:DWORD src1_sel:WORD_1
	v_bfe_u32 v7, v4, 19, 4
	v_sub_u32_e32 v10, 29, v10
	v_and_b32_e32 v11, 7, v11
	v_cmp_eq_u16_e32 vcc, 0, v6
	v_cndmask_b32_e32 v3, v3, v11, vcc
	v_cndmask_b32_e32 v6, v7, v10, vcc
	v_lshlrev_b32_e32 v7, 8, v4
	v_mov_b32_e32 v10, 0x3b800000
	v_lshlrev_b32_e32 v3, 20, v3
	v_and_b32_e32 v7, 0x80000000, v7
	v_lshl_add_u32 v6, v6, 23, v10
	v_or3_b32 v6, v7, v6, v3
.LBB54_472:
	s_or_b64 exec, exec, s[6:7]
	s_nop 0
	v_mfma_f32_16x16x4f32 a[0:3], v2, v6, a[0:3]
	s_movk_i32 s4, 0x7f
	v_cmp_gt_i16_sdwa s[6:7], v8, s4 src0_sel:BYTE_3 src1_sel:DWORD
	s_mov_b64 s[4:5], 0
                                        ; implicit-def: $sgpr10
	s_and_saveexec_b64 s[8:9], s[6:7]
	s_xor_b64 s[6:7], exec, s[8:9]
	s_cbranch_execnz .LBB54_2521
; %bb.473:
	s_or_saveexec_b64 s[6:7], s[6:7]
	v_mov_b32_e32 v2, s10
	s_xor_b64 exec, exec, s[6:7]
	s_cbranch_execnz .LBB54_2524
.LBB54_474:
	s_or_b64 exec, exec, s[6:7]
	s_and_saveexec_b64 s[6:7], s[4:5]
	s_cbranch_execz .LBB54_476
.LBB54_475:
	v_bfe_u32 v2, v8, 24, 3
	v_ffbh_u32_e32 v10, v2
	v_min_u32_e32 v10, 32, v10
	v_lshrrev_b32_e32 v6, 27, v8
	v_subrev_u32_e32 v11, 28, v10
	v_and_b32_e32 v3, 0x80000000, v8
	v_and_b32_e32 v6, 15, v6
	v_bfe_u32 v7, v8, 27, 4
	v_lshlrev_b32_sdwa v8, v11, v8 dst_sel:DWORD dst_unused:UNUSED_PAD src0_sel:DWORD src1_sel:BYTE_3
	v_sub_u32_e32 v10, 29, v10
	v_and_b32_e32 v8, 7, v8
	v_cmp_eq_u16_e32 vcc, 0, v6
	v_cndmask_b32_e32 v2, v2, v8, vcc
	v_cndmask_b32_e32 v6, v7, v10, vcc
	v_mov_b32_e32 v7, 0x3b800000
	v_lshlrev_b32_e32 v2, 20, v2
	v_lshl_add_u32 v6, v6, 23, v7
	v_or3_b32 v2, v3, v6, v2
.LBB54_476:
	s_or_b64 exec, exec, s[6:7]
	s_movk_i32 s4, 0x7f
	v_cmp_gt_i16_sdwa s[6:7], v4, s4 src0_sel:BYTE_3 src1_sel:DWORD
	s_mov_b64 s[4:5], 0
                                        ; implicit-def: $sgpr10
	s_and_saveexec_b64 s[8:9], s[6:7]
	s_xor_b64 s[6:7], exec, s[8:9]
	s_cbranch_execnz .LBB54_2525
; %bb.477:
	s_or_saveexec_b64 s[6:7], s[6:7]
	v_mov_b32_e32 v3, s10
	s_xor_b64 exec, exec, s[6:7]
	s_cbranch_execnz .LBB54_2528
.LBB54_478:
	s_or_b64 exec, exec, s[6:7]
	s_and_saveexec_b64 s[6:7], s[4:5]
	s_cbranch_execz .LBB54_480
.LBB54_479:
	v_bfe_u32 v3, v4, 24, 3
	v_ffbh_u32_e32 v10, v3
	v_min_u32_e32 v10, 32, v10
	v_lshrrev_b32_e32 v7, 27, v4
	v_subrev_u32_e32 v11, 28, v10
	v_and_b32_e32 v6, 0x80000000, v4
	v_and_b32_e32 v7, 15, v7
	v_bfe_u32 v8, v4, 27, 4
	v_lshlrev_b32_sdwa v4, v11, v4 dst_sel:DWORD dst_unused:UNUSED_PAD src0_sel:DWORD src1_sel:BYTE_3
	v_sub_u32_e32 v10, 29, v10
	v_and_b32_e32 v4, 7, v4
	v_cmp_eq_u16_e32 vcc, 0, v7
	v_cndmask_b32_e32 v3, v3, v4, vcc
	v_cndmask_b32_e32 v4, v8, v10, vcc
	v_mov_b32_e32 v7, 0x3b800000
	v_lshlrev_b32_e32 v3, 20, v3
	v_lshl_add_u32 v4, v4, 23, v7
	v_or3_b32 v3, v6, v4, v3
.LBB54_480:
	s_or_b64 exec, exec, s[6:7]
	s_nop 0
	v_mfma_f32_16x16x4f32 a[0:3], v2, v3, a[0:3]
	s_movk_i32 s4, 0x7f
	v_cmp_gt_i16_sdwa s[6:7], v9, s4 src0_sel:BYTE_0 src1_sel:DWORD
	s_mov_b64 s[4:5], 0
                                        ; implicit-def: $sgpr10
	s_and_saveexec_b64 s[8:9], s[6:7]
	s_xor_b64 s[6:7], exec, s[8:9]
	s_cbranch_execnz .LBB54_2529
; %bb.481:
	s_or_saveexec_b64 s[6:7], s[6:7]
	v_mov_b32_e32 v2, s10
	s_xor_b64 exec, exec, s[6:7]
	s_cbranch_execnz .LBB54_2532
.LBB54_482:
	s_or_b64 exec, exec, s[6:7]
	s_and_saveexec_b64 s[6:7], s[4:5]
	s_cbranch_execz .LBB54_484
.LBB54_483:
	v_mov_b32_e32 v2, 8
	v_and_b32_e32 v3, 7, v9
	v_lshrrev_b32_sdwa v2, v2, v9 dst_sel:BYTE_1 dst_unused:UNUSED_PAD src0_sel:DWORD src1_sel:DWORD
	v_ffbh_u32_e32 v4, v3
	v_or_b32_sdwa v2, v9, v2 dst_sel:DWORD dst_unused:UNUSED_PAD src0_sel:BYTE_0 src1_sel:DWORD
	v_min_u32_e32 v4, 32, v4
	v_lshrrev_b16_e32 v2, 3, v2
	v_subrev_u32_e32 v6, 28, v4
	v_and_b32_e32 v2, 15, v2
	v_lshlrev_b32_e32 v6, v6, v9
	v_sub_u32_e32 v4, 29, v4
	v_and_b32_e32 v6, 7, v6
	v_cmp_eq_u16_e32 vcc, 0, v2
	v_cndmask_b32_e32 v3, v3, v6, vcc
	v_cndmask_b32_e32 v2, v2, v4, vcc
	v_lshlrev_b32_e32 v4, 24, v9
	v_mov_b32_e32 v6, 0x3b800000
	v_lshlrev_b32_e32 v3, 20, v3
	v_and_b32_e32 v4, 0x80000000, v4
	v_lshl_add_u32 v2, v2, 23, v6
	v_or3_b32 v2, v4, v2, v3
.LBB54_484:
	s_or_b64 exec, exec, s[6:7]
	s_movk_i32 s4, 0x7f
	v_cmp_gt_i16_sdwa s[6:7], v5, s4 src0_sel:BYTE_0 src1_sel:DWORD
	s_mov_b64 s[4:5], 0
                                        ; implicit-def: $sgpr10
	s_and_saveexec_b64 s[8:9], s[6:7]
	s_xor_b64 s[6:7], exec, s[8:9]
	s_cbranch_execnz .LBB54_2533
; %bb.485:
	s_or_saveexec_b64 s[6:7], s[6:7]
	v_mov_b32_e32 v3, s10
	s_xor_b64 exec, exec, s[6:7]
	s_cbranch_execnz .LBB54_2536
.LBB54_486:
	s_or_b64 exec, exec, s[6:7]
	s_and_saveexec_b64 s[6:7], s[4:5]
	s_cbranch_execz .LBB54_488
.LBB54_487:
	v_mov_b32_e32 v3, 8
	v_and_b32_e32 v4, 7, v5
	v_lshrrev_b32_sdwa v3, v3, v5 dst_sel:BYTE_1 dst_unused:UNUSED_PAD src0_sel:DWORD src1_sel:DWORD
	v_ffbh_u32_e32 v6, v4
	v_or_b32_sdwa v3, v5, v3 dst_sel:DWORD dst_unused:UNUSED_PAD src0_sel:BYTE_0 src1_sel:DWORD
	v_min_u32_e32 v6, 32, v6
	v_lshrrev_b16_e32 v3, 3, v3
	v_subrev_u32_e32 v7, 28, v6
	v_and_b32_e32 v3, 15, v3
	v_lshlrev_b32_e32 v7, v7, v5
	v_sub_u32_e32 v6, 29, v6
	v_and_b32_e32 v7, 7, v7
	v_cmp_eq_u16_e32 vcc, 0, v3
	v_cndmask_b32_e32 v4, v4, v7, vcc
	v_cndmask_b32_e32 v3, v3, v6, vcc
	v_lshlrev_b32_e32 v6, 24, v5
	v_mov_b32_e32 v7, 0x3b800000
	v_lshlrev_b32_e32 v4, 20, v4
	v_and_b32_e32 v6, 0x80000000, v6
	v_lshl_add_u32 v3, v3, 23, v7
	v_or3_b32 v3, v6, v3, v4
.LBB54_488:
	s_or_b64 exec, exec, s[6:7]
	s_nop 0
	v_mfma_f32_16x16x4f32 a[0:3], v2, v3, a[0:3]
	v_lshrrev_b32_e32 v3, 8, v9
	s_movk_i32 s4, 0x7f
	v_cmp_gt_i16_sdwa s[6:7], v3, s4 src0_sel:BYTE_0 src1_sel:DWORD
	s_mov_b64 s[4:5], 0
                                        ; implicit-def: $sgpr10
	s_and_saveexec_b64 s[8:9], s[6:7]
	s_xor_b64 s[6:7], exec, s[8:9]
	s_cbranch_execnz .LBB54_2537
; %bb.489:
	s_or_saveexec_b64 s[6:7], s[6:7]
	v_mov_b32_e32 v2, s10
	s_xor_b64 exec, exec, s[6:7]
	s_cbranch_execnz .LBB54_2540
.LBB54_490:
	s_or_b64 exec, exec, s[6:7]
	s_and_saveexec_b64 s[6:7], s[4:5]
	s_cbranch_execz .LBB54_492
.LBB54_491:
	v_bfe_u32 v2, v9, 8, 3
	v_ffbh_u32_e32 v6, v2
	v_min_u32_e32 v6, 32, v6
	v_lshrrev_b16_e32 v4, 3, v3
	v_subrev_u32_e32 v7, 28, v6
	v_and_b32_e32 v4, 15, v4
	v_lshlrev_b32_e32 v3, v7, v3
	v_sub_u32_e32 v6, 29, v6
	v_and_b32_e32 v3, 7, v3
	v_cmp_eq_u16_e32 vcc, 0, v4
	v_cndmask_b32_e32 v2, v2, v3, vcc
	v_cndmask_b32_e32 v3, v4, v6, vcc
	v_lshlrev_b32_e32 v4, 16, v9
	v_mov_b32_e32 v6, 0x3b800000
	v_lshlrev_b32_e32 v2, 20, v2
	v_and_b32_e32 v4, 0x80000000, v4
	v_lshl_add_u32 v3, v3, 23, v6
	v_or3_b32 v2, v4, v3, v2
.LBB54_492:
	s_or_b64 exec, exec, s[6:7]
	v_lshrrev_b32_e32 v3, 8, v5
	s_movk_i32 s4, 0x7f
	v_cmp_gt_i16_sdwa s[6:7], v3, s4 src0_sel:BYTE_0 src1_sel:DWORD
	s_mov_b64 s[4:5], 0
                                        ; implicit-def: $sgpr10
	s_and_saveexec_b64 s[8:9], s[6:7]
	s_xor_b64 s[6:7], exec, s[8:9]
	s_cbranch_execnz .LBB54_2541
; %bb.493:
	s_or_saveexec_b64 s[6:7], s[6:7]
	v_mov_b32_e32 v4, s10
	s_xor_b64 exec, exec, s[6:7]
	s_cbranch_execnz .LBB54_2544
.LBB54_494:
	s_or_b64 exec, exec, s[6:7]
	s_and_saveexec_b64 s[6:7], s[4:5]
	s_cbranch_execz .LBB54_496
.LBB54_495:
	v_bfe_u32 v4, v5, 8, 3
	v_ffbh_u32_e32 v7, v4
	v_min_u32_e32 v7, 32, v7
	v_lshrrev_b16_e32 v6, 3, v3
	v_subrev_u32_e32 v8, 28, v7
	v_and_b32_e32 v6, 15, v6
	v_lshlrev_b32_e32 v3, v8, v3
	v_sub_u32_e32 v7, 29, v7
	v_and_b32_e32 v3, 7, v3
	v_cmp_eq_u16_e32 vcc, 0, v6
	v_cndmask_b32_e32 v3, v4, v3, vcc
	v_cndmask_b32_e32 v4, v6, v7, vcc
	v_lshlrev_b32_e32 v6, 16, v5
	v_mov_b32_e32 v7, 0x3b800000
	v_lshlrev_b32_e32 v3, 20, v3
	v_and_b32_e32 v6, 0x80000000, v6
	v_lshl_add_u32 v4, v4, 23, v7
	v_or3_b32 v4, v6, v4, v3
.LBB54_496:
	s_or_b64 exec, exec, s[6:7]
	s_nop 0
	v_mfma_f32_16x16x4f32 a[0:3], v2, v4, a[0:3]
	s_movk_i32 s4, 0xff
	v_and_b32_sdwa v3, v9, s4 dst_sel:DWORD dst_unused:UNUSED_PAD src0_sel:WORD_1 src1_sel:DWORD
	s_movk_i32 s4, 0x7f
	v_cmp_lt_i16_e32 vcc, s4, v3
	s_mov_b64 s[4:5], 0
                                        ; implicit-def: $sgpr10
	s_and_saveexec_b64 s[6:7], vcc
	s_xor_b64 s[6:7], exec, s[6:7]
	s_cbranch_execnz .LBB54_2545
; %bb.497:
	s_or_saveexec_b64 s[6:7], s[6:7]
	v_mov_b32_e32 v2, s10
	s_xor_b64 exec, exec, s[6:7]
	s_cbranch_execnz .LBB54_2548
.LBB54_498:
	s_or_b64 exec, exec, s[6:7]
	s_and_saveexec_b64 s[6:7], s[4:5]
	s_cbranch_execz .LBB54_500
.LBB54_499:
	v_bfe_u32 v2, v9, 16, 3
	v_ffbh_u32_e32 v6, v2
	v_min_u32_e32 v6, 32, v6
	v_lshrrev_b32_e32 v3, 19, v9
	v_subrev_u32_e32 v7, 28, v6
	v_and_b32_e32 v3, 15, v3
	v_lshlrev_b32_sdwa v7, v7, v9 dst_sel:DWORD dst_unused:UNUSED_PAD src0_sel:DWORD src1_sel:WORD_1
	v_bfe_u32 v4, v9, 19, 4
	v_sub_u32_e32 v6, 29, v6
	v_and_b32_e32 v7, 7, v7
	v_cmp_eq_u16_e32 vcc, 0, v3
	v_cndmask_b32_e32 v2, v2, v7, vcc
	v_cndmask_b32_e32 v3, v4, v6, vcc
	v_lshlrev_b32_e32 v4, 8, v9
	v_mov_b32_e32 v6, 0x3b800000
	v_lshlrev_b32_e32 v2, 20, v2
	v_and_b32_e32 v4, 0x80000000, v4
	v_lshl_add_u32 v3, v3, 23, v6
	v_or3_b32 v2, v4, v3, v2
.LBB54_500:
	s_or_b64 exec, exec, s[6:7]
	s_movk_i32 s4, 0xff
	v_and_b32_sdwa v3, v5, s4 dst_sel:DWORD dst_unused:UNUSED_PAD src0_sel:WORD_1 src1_sel:DWORD
	s_movk_i32 s4, 0x7f
	v_cmp_lt_i16_e32 vcc, s4, v3
	s_mov_b64 s[4:5], 0
                                        ; implicit-def: $sgpr10
	s_and_saveexec_b64 s[6:7], vcc
	s_xor_b64 s[6:7], exec, s[6:7]
	s_cbranch_execnz .LBB54_2549
; %bb.501:
	s_or_saveexec_b64 s[6:7], s[6:7]
	v_mov_b32_e32 v4, s10
	s_xor_b64 exec, exec, s[6:7]
	s_cbranch_execnz .LBB54_2552
.LBB54_502:
	s_or_b64 exec, exec, s[6:7]
	s_and_saveexec_b64 s[6:7], s[4:5]
	s_cbranch_execz .LBB54_504
.LBB54_503:
	v_bfe_u32 v3, v5, 16, 3
	v_ffbh_u32_e32 v7, v3
	v_min_u32_e32 v7, 32, v7
	v_lshrrev_b32_e32 v4, 19, v5
	v_subrev_u32_e32 v8, 28, v7
	v_and_b32_e32 v4, 15, v4
	v_lshlrev_b32_sdwa v8, v8, v5 dst_sel:DWORD dst_unused:UNUSED_PAD src0_sel:DWORD src1_sel:WORD_1
	v_bfe_u32 v6, v5, 19, 4
	v_sub_u32_e32 v7, 29, v7
	v_and_b32_e32 v8, 7, v8
	v_cmp_eq_u16_e32 vcc, 0, v4
	v_cndmask_b32_e32 v3, v3, v8, vcc
	v_cndmask_b32_e32 v4, v6, v7, vcc
	v_lshlrev_b32_e32 v6, 8, v5
	v_mov_b32_e32 v7, 0x3b800000
	v_lshlrev_b32_e32 v3, 20, v3
	v_and_b32_e32 v6, 0x80000000, v6
	v_lshl_add_u32 v4, v4, 23, v7
	v_or3_b32 v4, v6, v4, v3
.LBB54_504:
	s_or_b64 exec, exec, s[6:7]
	s_nop 0
	v_mfma_f32_16x16x4f32 a[0:3], v2, v4, a[0:3]
	s_movk_i32 s4, 0x7f
	v_cmp_gt_i16_sdwa s[6:7], v9, s4 src0_sel:BYTE_3 src1_sel:DWORD
	s_mov_b64 s[4:5], 0
                                        ; implicit-def: $sgpr10
	s_and_saveexec_b64 s[8:9], s[6:7]
	s_xor_b64 s[6:7], exec, s[8:9]
	s_cbranch_execnz .LBB54_2553
; %bb.505:
	s_or_saveexec_b64 s[6:7], s[6:7]
	v_mov_b32_e32 v2, s10
	s_xor_b64 exec, exec, s[6:7]
	s_cbranch_execnz .LBB54_2556
.LBB54_506:
	s_or_b64 exec, exec, s[6:7]
	s_and_saveexec_b64 s[6:7], s[4:5]
	s_cbranch_execz .LBB54_508
.LBB54_507:
	v_bfe_u32 v2, v9, 24, 3
	v_ffbh_u32_e32 v7, v2
	v_min_u32_e32 v7, 32, v7
	v_lshrrev_b32_e32 v4, 27, v9
	v_subrev_u32_e32 v8, 28, v7
	v_and_b32_e32 v4, 15, v4
	v_lshlrev_b32_sdwa v8, v8, v9 dst_sel:DWORD dst_unused:UNUSED_PAD src0_sel:DWORD src1_sel:BYTE_3
	v_bfe_u32 v6, v9, 27, 4
	v_sub_u32_e32 v7, 29, v7
	v_and_b32_e32 v8, 7, v8
	v_cmp_eq_u16_e32 vcc, 0, v4
	v_cndmask_b32_e32 v2, v2, v8, vcc
	v_cndmask_b32_e32 v4, v6, v7, vcc
	v_mov_b32_e32 v6, 0x3b800000
	v_and_b32_e32 v3, 0x80000000, v9
	v_lshlrev_b32_e32 v2, 20, v2
	v_lshl_add_u32 v4, v4, 23, v6
	v_or3_b32 v2, v3, v4, v2
.LBB54_508:
	s_or_b64 exec, exec, s[6:7]
	s_movk_i32 s4, 0x7f
	v_cmp_gt_i16_sdwa s[6:7], v5, s4 src0_sel:BYTE_3 src1_sel:DWORD
	s_mov_b64 s[4:5], 0
                                        ; implicit-def: $sgpr10
	s_and_saveexec_b64 s[8:9], s[6:7]
	s_xor_b64 s[6:7], exec, s[8:9]
	s_cbranch_execnz .LBB54_2557
; %bb.509:
	s_or_saveexec_b64 s[6:7], s[6:7]
	v_mov_b32_e32 v3, s10
	s_xor_b64 exec, exec, s[6:7]
	s_cbranch_execnz .LBB54_2560
.LBB54_510:
	s_or_b64 exec, exec, s[6:7]
	s_and_saveexec_b64 s[6:7], s[4:5]
	s_cbranch_execz .LBB54_512
.LBB54_511:
	v_bfe_u32 v3, v5, 24, 3
	v_ffbh_u32_e32 v8, v3
	v_min_u32_e32 v8, 32, v8
	v_lshrrev_b32_e32 v6, 27, v5
	v_subrev_u32_e32 v9, 28, v8
	v_and_b32_e32 v4, 0x80000000, v5
	v_and_b32_e32 v6, 15, v6
	v_bfe_u32 v7, v5, 27, 4
	v_lshlrev_b32_sdwa v5, v9, v5 dst_sel:DWORD dst_unused:UNUSED_PAD src0_sel:DWORD src1_sel:BYTE_3
	v_sub_u32_e32 v8, 29, v8
	v_and_b32_e32 v5, 7, v5
	v_cmp_eq_u16_e32 vcc, 0, v6
	v_cndmask_b32_e32 v3, v3, v5, vcc
	v_cndmask_b32_e32 v5, v7, v8, vcc
	v_mov_b32_e32 v6, 0x3b800000
	v_lshlrev_b32_e32 v3, 20, v3
	v_lshl_add_u32 v5, v5, 23, v6
	v_or3_b32 v3, v4, v5, v3
.LBB54_512:
	s_or_b64 exec, exec, s[6:7]
	s_nop 0
	v_mfma_f32_16x16x4f32 a[0:3], v2, v3, a[0:3]
	s_movk_i32 s4, 0x7f
                                        ; implicit-def: $sgpr10
	s_nop 7
	s_nop 1
	flat_store_dwordx4 v[18:19], a[0:3] offset:272
	flat_load_dwordx4 v[20:23], v[0:1] offset:8
	s_nop 0
	flat_load_dwordx2 v[18:19], v[0:1] offset:24
	s_waitcnt vmcnt(0) lgkmcnt(0)
	flat_load_dwordx4 v[14:17], v[20:21]
	flat_load_dwordx4 v[6:9], v[20:21] offset:16
	flat_load_dwordx4 v[10:13], v[22:23] offset:320
	;; [unrolled: 1-line block ×3, first 2 shown]
	s_waitcnt vmcnt(0) lgkmcnt(0)
	v_cmp_gt_i16_sdwa s[6:7], v14, s4 src0_sel:BYTE_0 src1_sel:DWORD
	s_mov_b64 s[4:5], 0
	s_and_saveexec_b64 s[8:9], s[6:7]
	s_xor_b64 s[6:7], exec, s[8:9]
	s_cbranch_execnz .LBB54_2561
; %bb.513:
	s_or_saveexec_b64 s[6:7], s[6:7]
	v_mov_b32_e32 v20, s10
	s_xor_b64 exec, exec, s[6:7]
	s_cbranch_execnz .LBB54_2564
.LBB54_514:
	s_or_b64 exec, exec, s[6:7]
	s_and_saveexec_b64 s[6:7], s[4:5]
	s_cbranch_execz .LBB54_516
.LBB54_515:
	v_and_b32_e32 v20, 7, v14
	v_ffbh_u32_e32 v22, v20
	v_min_u32_e32 v22, 32, v22
	v_lshrrev_b16_e32 v21, 3, v14
	v_subrev_u32_e32 v23, 28, v22
	v_and_b32_e32 v21, 15, v21
	v_lshlrev_b32_e32 v23, v23, v14
	v_sub_u32_e32 v22, 29, v22
	v_and_b32_e32 v23, 7, v23
	v_cmp_eq_u16_e32 vcc, 0, v21
	v_cndmask_b32_e32 v20, v20, v23, vcc
	v_cndmask_b32_e32 v21, v21, v22, vcc
	v_lshlrev_b32_e32 v22, 24, v14
	v_mov_b32_e32 v23, 0x3b800000
	v_lshlrev_b32_e32 v20, 20, v20
	v_and_b32_e32 v22, 0x80000000, v22
	v_lshl_add_u32 v21, v21, 23, v23
	v_or3_b32 v20, v22, v21, v20
.LBB54_516:
	s_or_b64 exec, exec, s[6:7]
	s_movk_i32 s4, 0x7f
	v_cmp_gt_i16_sdwa s[6:7], v10, s4 src0_sel:BYTE_0 src1_sel:DWORD
	s_mov_b64 s[4:5], 0
                                        ; implicit-def: $sgpr10
	s_and_saveexec_b64 s[8:9], s[6:7]
	s_xor_b64 s[6:7], exec, s[8:9]
	s_cbranch_execnz .LBB54_2565
; %bb.517:
	s_or_saveexec_b64 s[6:7], s[6:7]
	v_mov_b32_e32 v21, s10
	s_xor_b64 exec, exec, s[6:7]
	s_cbranch_execnz .LBB54_2568
.LBB54_518:
	s_or_b64 exec, exec, s[6:7]
	s_and_saveexec_b64 s[6:7], s[4:5]
	s_cbranch_execz .LBB54_520
.LBB54_519:
	v_and_b32_e32 v21, 7, v10
	v_ffbh_u32_e32 v23, v21
	v_min_u32_e32 v23, 32, v23
	v_lshrrev_b16_e32 v22, 3, v10
	v_subrev_u32_e32 v24, 28, v23
	v_and_b32_e32 v22, 15, v22
	v_lshlrev_b32_e32 v24, v24, v10
	v_sub_u32_e32 v23, 29, v23
	v_and_b32_e32 v24, 7, v24
	v_cmp_eq_u16_e32 vcc, 0, v22
	v_cndmask_b32_e32 v21, v21, v24, vcc
	v_cndmask_b32_e32 v22, v22, v23, vcc
	v_lshlrev_b32_e32 v23, 24, v10
	v_mov_b32_e32 v24, 0x3b800000
	v_lshlrev_b32_e32 v21, 20, v21
	v_and_b32_e32 v23, 0x80000000, v23
	v_lshl_add_u32 v22, v22, 23, v24
	v_or3_b32 v21, v23, v22, v21
.LBB54_520:
	s_or_b64 exec, exec, s[6:7]
	flat_load_dwordx4 a[0:3], v[18:19] offset:288
	s_movk_i32 s4, 0x7f
                                        ; implicit-def: $sgpr10
	s_waitcnt vmcnt(0) lgkmcnt(0)
	v_mfma_f32_16x16x4f32 a[0:3], v20, v21, a[0:3]
	v_lshrrev_b32_e32 v21, 8, v14
	v_cmp_gt_i16_sdwa s[6:7], v21, s4 src0_sel:BYTE_0 src1_sel:DWORD
	s_mov_b64 s[4:5], 0
	s_and_saveexec_b64 s[8:9], s[6:7]
	s_xor_b64 s[6:7], exec, s[8:9]
	s_cbranch_execnz .LBB54_2569
; %bb.521:
	s_or_saveexec_b64 s[6:7], s[6:7]
	v_mov_b32_e32 v20, s10
	s_xor_b64 exec, exec, s[6:7]
	s_cbranch_execnz .LBB54_2572
.LBB54_522:
	s_or_b64 exec, exec, s[6:7]
	s_and_saveexec_b64 s[6:7], s[4:5]
	s_cbranch_execz .LBB54_524
.LBB54_523:
	v_bfe_u32 v20, v14, 8, 3
	v_ffbh_u32_e32 v23, v20
	v_min_u32_e32 v23, 32, v23
	v_lshrrev_b16_e32 v22, 3, v21
	v_subrev_u32_e32 v24, 28, v23
	v_and_b32_e32 v22, 15, v22
	v_lshlrev_b32_e32 v21, v24, v21
	v_sub_u32_e32 v23, 29, v23
	v_and_b32_e32 v21, 7, v21
	v_cmp_eq_u16_e32 vcc, 0, v22
	v_cndmask_b32_e32 v20, v20, v21, vcc
	v_cndmask_b32_e32 v21, v22, v23, vcc
	v_lshlrev_b32_e32 v22, 16, v14
	v_mov_b32_e32 v23, 0x3b800000
	v_lshlrev_b32_e32 v20, 20, v20
	v_and_b32_e32 v22, 0x80000000, v22
	v_lshl_add_u32 v21, v21, 23, v23
	v_or3_b32 v20, v22, v21, v20
.LBB54_524:
	s_or_b64 exec, exec, s[6:7]
	v_lshrrev_b32_e32 v21, 8, v10
	s_movk_i32 s4, 0x7f
	v_cmp_gt_i16_sdwa s[6:7], v21, s4 src0_sel:BYTE_0 src1_sel:DWORD
	s_mov_b64 s[4:5], 0
                                        ; implicit-def: $sgpr10
	s_and_saveexec_b64 s[8:9], s[6:7]
	s_xor_b64 s[6:7], exec, s[8:9]
	s_cbranch_execnz .LBB54_2573
; %bb.525:
	s_or_saveexec_b64 s[6:7], s[6:7]
	v_mov_b32_e32 v22, s10
	s_xor_b64 exec, exec, s[6:7]
	s_cbranch_execnz .LBB54_2576
.LBB54_526:
	s_or_b64 exec, exec, s[6:7]
	s_and_saveexec_b64 s[6:7], s[4:5]
	s_cbranch_execz .LBB54_528
.LBB54_527:
	v_bfe_u32 v22, v10, 8, 3
	v_ffbh_u32_e32 v24, v22
	v_min_u32_e32 v24, 32, v24
	v_lshrrev_b16_e32 v23, 3, v21
	v_subrev_u32_e32 v25, 28, v24
	v_and_b32_e32 v23, 15, v23
	v_lshlrev_b32_e32 v21, v25, v21
	v_sub_u32_e32 v24, 29, v24
	v_and_b32_e32 v21, 7, v21
	v_cmp_eq_u16_e32 vcc, 0, v23
	v_cndmask_b32_e32 v21, v22, v21, vcc
	v_cndmask_b32_e32 v22, v23, v24, vcc
	v_lshlrev_b32_e32 v23, 16, v10
	v_mov_b32_e32 v24, 0x3b800000
	v_lshlrev_b32_e32 v21, 20, v21
	v_and_b32_e32 v23, 0x80000000, v23
	v_lshl_add_u32 v22, v22, 23, v24
	v_or3_b32 v22, v23, v22, v21
.LBB54_528:
	s_or_b64 exec, exec, s[6:7]
	s_nop 0
	v_mfma_f32_16x16x4f32 a[0:3], v20, v22, a[0:3]
	s_movk_i32 s4, 0xff
	v_and_b32_sdwa v21, v14, s4 dst_sel:DWORD dst_unused:UNUSED_PAD src0_sel:WORD_1 src1_sel:DWORD
	s_movk_i32 s4, 0x7f
	v_cmp_lt_i16_e32 vcc, s4, v21
	s_mov_b64 s[4:5], 0
                                        ; implicit-def: $sgpr10
	s_and_saveexec_b64 s[6:7], vcc
	s_xor_b64 s[6:7], exec, s[6:7]
	s_cbranch_execnz .LBB54_2577
; %bb.529:
	s_or_saveexec_b64 s[6:7], s[6:7]
	v_mov_b32_e32 v20, s10
	s_xor_b64 exec, exec, s[6:7]
	s_cbranch_execnz .LBB54_2580
.LBB54_530:
	s_or_b64 exec, exec, s[6:7]
	s_and_saveexec_b64 s[6:7], s[4:5]
	s_cbranch_execz .LBB54_532
.LBB54_531:
	v_bfe_u32 v20, v14, 16, 3
	v_ffbh_u32_e32 v23, v20
	v_min_u32_e32 v23, 32, v23
	v_lshrrev_b32_e32 v21, 19, v14
	v_subrev_u32_e32 v24, 28, v23
	v_and_b32_e32 v21, 15, v21
	v_lshlrev_b32_sdwa v24, v24, v14 dst_sel:DWORD dst_unused:UNUSED_PAD src0_sel:DWORD src1_sel:WORD_1
	v_bfe_u32 v22, v14, 19, 4
	v_sub_u32_e32 v23, 29, v23
	v_and_b32_e32 v24, 7, v24
	v_cmp_eq_u16_e32 vcc, 0, v21
	v_cndmask_b32_e32 v20, v20, v24, vcc
	v_cndmask_b32_e32 v21, v22, v23, vcc
	v_lshlrev_b32_e32 v22, 8, v14
	v_mov_b32_e32 v23, 0x3b800000
	v_lshlrev_b32_e32 v20, 20, v20
	v_and_b32_e32 v22, 0x80000000, v22
	v_lshl_add_u32 v21, v21, 23, v23
	v_or3_b32 v20, v22, v21, v20
.LBB54_532:
	s_or_b64 exec, exec, s[6:7]
	s_movk_i32 s4, 0xff
	v_and_b32_sdwa v21, v10, s4 dst_sel:DWORD dst_unused:UNUSED_PAD src0_sel:WORD_1 src1_sel:DWORD
	s_movk_i32 s4, 0x7f
	v_cmp_lt_i16_e32 vcc, s4, v21
	s_mov_b64 s[4:5], 0
                                        ; implicit-def: $sgpr10
	s_and_saveexec_b64 s[6:7], vcc
	s_xor_b64 s[6:7], exec, s[6:7]
	s_cbranch_execnz .LBB54_2581
; %bb.533:
	s_or_saveexec_b64 s[6:7], s[6:7]
	v_mov_b32_e32 v22, s10
	s_xor_b64 exec, exec, s[6:7]
	s_cbranch_execnz .LBB54_2584
.LBB54_534:
	s_or_b64 exec, exec, s[6:7]
	s_and_saveexec_b64 s[6:7], s[4:5]
	s_cbranch_execz .LBB54_536
.LBB54_535:
	v_bfe_u32 v21, v10, 16, 3
	v_ffbh_u32_e32 v24, v21
	v_min_u32_e32 v24, 32, v24
	v_lshrrev_b32_e32 v22, 19, v10
	v_subrev_u32_e32 v25, 28, v24
	v_and_b32_e32 v22, 15, v22
	v_lshlrev_b32_sdwa v25, v25, v10 dst_sel:DWORD dst_unused:UNUSED_PAD src0_sel:DWORD src1_sel:WORD_1
	v_bfe_u32 v23, v10, 19, 4
	v_sub_u32_e32 v24, 29, v24
	v_and_b32_e32 v25, 7, v25
	v_cmp_eq_u16_e32 vcc, 0, v22
	v_cndmask_b32_e32 v21, v21, v25, vcc
	v_cndmask_b32_e32 v22, v23, v24, vcc
	v_lshlrev_b32_e32 v23, 8, v10
	v_mov_b32_e32 v24, 0x3b800000
	v_lshlrev_b32_e32 v21, 20, v21
	v_and_b32_e32 v23, 0x80000000, v23
	v_lshl_add_u32 v22, v22, 23, v24
	v_or3_b32 v22, v23, v22, v21
.LBB54_536:
	s_or_b64 exec, exec, s[6:7]
	s_nop 0
	v_mfma_f32_16x16x4f32 a[0:3], v20, v22, a[0:3]
	s_movk_i32 s4, 0x7f
	v_cmp_gt_i16_sdwa s[6:7], v14, s4 src0_sel:BYTE_3 src1_sel:DWORD
	s_mov_b64 s[4:5], 0
                                        ; implicit-def: $sgpr10
	s_and_saveexec_b64 s[8:9], s[6:7]
	s_xor_b64 s[6:7], exec, s[8:9]
	s_cbranch_execnz .LBB54_2585
; %bb.537:
	s_or_saveexec_b64 s[6:7], s[6:7]
	v_mov_b32_e32 v20, s10
	s_xor_b64 exec, exec, s[6:7]
	s_cbranch_execnz .LBB54_2588
.LBB54_538:
	s_or_b64 exec, exec, s[6:7]
	s_and_saveexec_b64 s[6:7], s[4:5]
	s_cbranch_execz .LBB54_540
.LBB54_539:
	v_bfe_u32 v20, v14, 24, 3
	v_ffbh_u32_e32 v24, v20
	v_min_u32_e32 v24, 32, v24
	v_lshrrev_b32_e32 v22, 27, v14
	v_subrev_u32_e32 v25, 28, v24
	v_and_b32_e32 v21, 0x80000000, v14
	v_and_b32_e32 v22, 15, v22
	v_bfe_u32 v23, v14, 27, 4
	v_lshlrev_b32_sdwa v14, v25, v14 dst_sel:DWORD dst_unused:UNUSED_PAD src0_sel:DWORD src1_sel:BYTE_3
	v_sub_u32_e32 v24, 29, v24
	v_and_b32_e32 v14, 7, v14
	v_cmp_eq_u16_e32 vcc, 0, v22
	v_cndmask_b32_e32 v14, v20, v14, vcc
	v_cndmask_b32_e32 v20, v23, v24, vcc
	v_mov_b32_e32 v22, 0x3b800000
	v_lshlrev_b32_e32 v14, 20, v14
	v_lshl_add_u32 v20, v20, 23, v22
	v_or3_b32 v20, v21, v20, v14
.LBB54_540:
	s_or_b64 exec, exec, s[6:7]
	s_movk_i32 s4, 0x7f
	v_cmp_gt_i16_sdwa s[6:7], v10, s4 src0_sel:BYTE_3 src1_sel:DWORD
	s_mov_b64 s[4:5], 0
                                        ; implicit-def: $sgpr10
	s_and_saveexec_b64 s[8:9], s[6:7]
	s_xor_b64 s[6:7], exec, s[8:9]
	s_cbranch_execnz .LBB54_2589
; %bb.541:
	s_or_saveexec_b64 s[6:7], s[6:7]
	v_mov_b32_e32 v14, s10
	s_xor_b64 exec, exec, s[6:7]
	s_cbranch_execnz .LBB54_2592
.LBB54_542:
	s_or_b64 exec, exec, s[6:7]
	s_and_saveexec_b64 s[6:7], s[4:5]
	s_cbranch_execz .LBB54_544
.LBB54_543:
	v_bfe_u32 v14, v10, 24, 3
	v_ffbh_u32_e32 v24, v14
	v_min_u32_e32 v24, 32, v24
	v_lshrrev_b32_e32 v22, 27, v10
	v_subrev_u32_e32 v25, 28, v24
	v_and_b32_e32 v21, 0x80000000, v10
	v_and_b32_e32 v22, 15, v22
	v_bfe_u32 v23, v10, 27, 4
	v_lshlrev_b32_sdwa v10, v25, v10 dst_sel:DWORD dst_unused:UNUSED_PAD src0_sel:DWORD src1_sel:BYTE_3
	v_sub_u32_e32 v24, 29, v24
	v_and_b32_e32 v10, 7, v10
	v_cmp_eq_u16_e32 vcc, 0, v22
	v_cndmask_b32_e32 v10, v14, v10, vcc
	v_cndmask_b32_e32 v14, v23, v24, vcc
	v_mov_b32_e32 v22, 0x3b800000
	v_lshlrev_b32_e32 v10, 20, v10
	v_lshl_add_u32 v14, v14, 23, v22
	v_or3_b32 v14, v21, v14, v10
.LBB54_544:
	s_or_b64 exec, exec, s[6:7]
	s_nop 0
	v_mfma_f32_16x16x4f32 a[0:3], v20, v14, a[0:3]
	s_movk_i32 s4, 0x7f
	v_cmp_gt_i16_sdwa s[6:7], v15, s4 src0_sel:BYTE_0 src1_sel:DWORD
	s_mov_b64 s[4:5], 0
                                        ; implicit-def: $sgpr10
	s_and_saveexec_b64 s[8:9], s[6:7]
	s_xor_b64 s[6:7], exec, s[8:9]
	s_cbranch_execnz .LBB54_2593
; %bb.545:
	s_or_saveexec_b64 s[6:7], s[6:7]
	v_mov_b32_e32 v10, s10
	s_xor_b64 exec, exec, s[6:7]
	s_cbranch_execnz .LBB54_2596
.LBB54_546:
	s_or_b64 exec, exec, s[6:7]
	s_and_saveexec_b64 s[6:7], s[4:5]
	s_cbranch_execz .LBB54_548
.LBB54_547:
	v_and_b32_e32 v10, 7, v15
	v_ffbh_u32_e32 v20, v10
	v_min_u32_e32 v20, 32, v20
	v_lshrrev_b16_e32 v14, 3, v15
	v_subrev_u32_e32 v21, 28, v20
	v_and_b32_e32 v14, 15, v14
	v_lshlrev_b32_e32 v21, v21, v15
	v_sub_u32_e32 v20, 29, v20
	v_and_b32_e32 v21, 7, v21
	v_cmp_eq_u16_e32 vcc, 0, v14
	v_cndmask_b32_e32 v10, v10, v21, vcc
	v_cndmask_b32_e32 v14, v14, v20, vcc
	v_lshlrev_b32_e32 v20, 24, v15
	v_mov_b32_e32 v21, 0x3b800000
	v_lshlrev_b32_e32 v10, 20, v10
	v_and_b32_e32 v20, 0x80000000, v20
	v_lshl_add_u32 v14, v14, 23, v21
	v_or3_b32 v10, v20, v14, v10
.LBB54_548:
	s_or_b64 exec, exec, s[6:7]
	s_movk_i32 s4, 0x7f
	v_cmp_gt_i16_sdwa s[6:7], v11, s4 src0_sel:BYTE_0 src1_sel:DWORD
	s_mov_b64 s[4:5], 0
                                        ; implicit-def: $sgpr10
	s_and_saveexec_b64 s[8:9], s[6:7]
	s_xor_b64 s[6:7], exec, s[8:9]
	s_cbranch_execnz .LBB54_2597
; %bb.549:
	s_or_saveexec_b64 s[6:7], s[6:7]
	v_mov_b32_e32 v14, s10
	s_xor_b64 exec, exec, s[6:7]
	s_cbranch_execnz .LBB54_2600
.LBB54_550:
	s_or_b64 exec, exec, s[6:7]
	s_and_saveexec_b64 s[6:7], s[4:5]
	s_cbranch_execz .LBB54_552
.LBB54_551:
	v_and_b32_e32 v14, 7, v11
	v_ffbh_u32_e32 v21, v14
	v_min_u32_e32 v21, 32, v21
	v_lshrrev_b16_e32 v20, 3, v11
	v_subrev_u32_e32 v22, 28, v21
	v_and_b32_e32 v20, 15, v20
	v_lshlrev_b32_e32 v22, v22, v11
	v_sub_u32_e32 v21, 29, v21
	v_and_b32_e32 v22, 7, v22
	v_cmp_eq_u16_e32 vcc, 0, v20
	v_cndmask_b32_e32 v14, v14, v22, vcc
	v_cndmask_b32_e32 v20, v20, v21, vcc
	v_lshlrev_b32_e32 v21, 24, v11
	v_mov_b32_e32 v22, 0x3b800000
	v_lshlrev_b32_e32 v14, 20, v14
	v_and_b32_e32 v21, 0x80000000, v21
	v_lshl_add_u32 v20, v20, 23, v22
	v_or3_b32 v14, v21, v20, v14
.LBB54_552:
	s_or_b64 exec, exec, s[6:7]
	s_nop 0
	v_mfma_f32_16x16x4f32 a[0:3], v10, v14, a[0:3]
	v_lshrrev_b32_e32 v14, 8, v15
	s_movk_i32 s4, 0x7f
	v_cmp_gt_i16_sdwa s[6:7], v14, s4 src0_sel:BYTE_0 src1_sel:DWORD
	s_mov_b64 s[4:5], 0
                                        ; implicit-def: $sgpr10
	s_and_saveexec_b64 s[8:9], s[6:7]
	s_xor_b64 s[6:7], exec, s[8:9]
	s_cbranch_execnz .LBB54_2601
; %bb.553:
	s_or_saveexec_b64 s[6:7], s[6:7]
	v_mov_b32_e32 v10, s10
	s_xor_b64 exec, exec, s[6:7]
	s_cbranch_execnz .LBB54_2604
.LBB54_554:
	s_or_b64 exec, exec, s[6:7]
	s_and_saveexec_b64 s[6:7], s[4:5]
	s_cbranch_execz .LBB54_556
.LBB54_555:
	v_bfe_u32 v10, v15, 8, 3
	v_ffbh_u32_e32 v21, v10
	v_min_u32_e32 v21, 32, v21
	v_lshrrev_b16_e32 v20, 3, v14
	v_subrev_u32_e32 v22, 28, v21
	v_and_b32_e32 v20, 15, v20
	v_lshlrev_b32_e32 v14, v22, v14
	v_sub_u32_e32 v21, 29, v21
	v_and_b32_e32 v14, 7, v14
	v_cmp_eq_u16_e32 vcc, 0, v20
	v_cndmask_b32_e32 v10, v10, v14, vcc
	v_cndmask_b32_e32 v14, v20, v21, vcc
	v_lshlrev_b32_e32 v20, 16, v15
	v_mov_b32_e32 v21, 0x3b800000
	v_lshlrev_b32_e32 v10, 20, v10
	v_and_b32_e32 v20, 0x80000000, v20
	v_lshl_add_u32 v14, v14, 23, v21
	v_or3_b32 v10, v20, v14, v10
.LBB54_556:
	s_or_b64 exec, exec, s[6:7]
	v_lshrrev_b32_e32 v14, 8, v11
	s_movk_i32 s4, 0x7f
	v_cmp_gt_i16_sdwa s[6:7], v14, s4 src0_sel:BYTE_0 src1_sel:DWORD
	s_mov_b64 s[4:5], 0
                                        ; implicit-def: $sgpr10
	s_and_saveexec_b64 s[8:9], s[6:7]
	s_xor_b64 s[6:7], exec, s[8:9]
	s_cbranch_execnz .LBB54_2605
; %bb.557:
	s_or_saveexec_b64 s[6:7], s[6:7]
	v_mov_b32_e32 v20, s10
	s_xor_b64 exec, exec, s[6:7]
	s_cbranch_execnz .LBB54_2608
.LBB54_558:
	s_or_b64 exec, exec, s[6:7]
	s_and_saveexec_b64 s[6:7], s[4:5]
	s_cbranch_execz .LBB54_560
.LBB54_559:
	v_bfe_u32 v20, v11, 8, 3
	v_ffbh_u32_e32 v22, v20
	v_min_u32_e32 v22, 32, v22
	v_lshrrev_b16_e32 v21, 3, v14
	v_subrev_u32_e32 v23, 28, v22
	v_and_b32_e32 v21, 15, v21
	v_lshlrev_b32_e32 v14, v23, v14
	v_sub_u32_e32 v22, 29, v22
	v_and_b32_e32 v14, 7, v14
	v_cmp_eq_u16_e32 vcc, 0, v21
	v_cndmask_b32_e32 v14, v20, v14, vcc
	v_cndmask_b32_e32 v20, v21, v22, vcc
	v_lshlrev_b32_e32 v21, 16, v11
	v_mov_b32_e32 v22, 0x3b800000
	v_lshlrev_b32_e32 v14, 20, v14
	v_and_b32_e32 v21, 0x80000000, v21
	v_lshl_add_u32 v20, v20, 23, v22
	v_or3_b32 v20, v21, v20, v14
.LBB54_560:
	s_or_b64 exec, exec, s[6:7]
	s_nop 0
	v_mfma_f32_16x16x4f32 a[0:3], v10, v20, a[0:3]
	s_movk_i32 s4, 0xff
	v_and_b32_sdwa v14, v15, s4 dst_sel:DWORD dst_unused:UNUSED_PAD src0_sel:WORD_1 src1_sel:DWORD
	s_movk_i32 s4, 0x7f
	v_cmp_lt_i16_e32 vcc, s4, v14
	s_mov_b64 s[4:5], 0
                                        ; implicit-def: $sgpr10
	s_and_saveexec_b64 s[6:7], vcc
	s_xor_b64 s[6:7], exec, s[6:7]
	s_cbranch_execnz .LBB54_2609
; %bb.561:
	s_or_saveexec_b64 s[6:7], s[6:7]
	v_mov_b32_e32 v10, s10
	s_xor_b64 exec, exec, s[6:7]
	s_cbranch_execnz .LBB54_2612
.LBB54_562:
	s_or_b64 exec, exec, s[6:7]
	s_and_saveexec_b64 s[6:7], s[4:5]
	s_cbranch_execz .LBB54_564
.LBB54_563:
	v_bfe_u32 v10, v15, 16, 3
	v_ffbh_u32_e32 v21, v10
	v_min_u32_e32 v21, 32, v21
	v_lshrrev_b32_e32 v14, 19, v15
	v_subrev_u32_e32 v22, 28, v21
	v_and_b32_e32 v14, 15, v14
	v_lshlrev_b32_sdwa v22, v22, v15 dst_sel:DWORD dst_unused:UNUSED_PAD src0_sel:DWORD src1_sel:WORD_1
	v_bfe_u32 v20, v15, 19, 4
	v_sub_u32_e32 v21, 29, v21
	v_and_b32_e32 v22, 7, v22
	v_cmp_eq_u16_e32 vcc, 0, v14
	v_cndmask_b32_e32 v10, v10, v22, vcc
	v_cndmask_b32_e32 v14, v20, v21, vcc
	v_lshlrev_b32_e32 v20, 8, v15
	v_mov_b32_e32 v21, 0x3b800000
	v_lshlrev_b32_e32 v10, 20, v10
	v_and_b32_e32 v20, 0x80000000, v20
	v_lshl_add_u32 v14, v14, 23, v21
	v_or3_b32 v10, v20, v14, v10
.LBB54_564:
	s_or_b64 exec, exec, s[6:7]
	s_movk_i32 s4, 0xff
	v_and_b32_sdwa v14, v11, s4 dst_sel:DWORD dst_unused:UNUSED_PAD src0_sel:WORD_1 src1_sel:DWORD
	s_movk_i32 s4, 0x7f
	v_cmp_lt_i16_e32 vcc, s4, v14
	s_mov_b64 s[4:5], 0
                                        ; implicit-def: $sgpr10
	s_and_saveexec_b64 s[6:7], vcc
	s_xor_b64 s[6:7], exec, s[6:7]
	s_cbranch_execnz .LBB54_2613
; %bb.565:
	s_or_saveexec_b64 s[6:7], s[6:7]
	v_mov_b32_e32 v20, s10
	s_xor_b64 exec, exec, s[6:7]
	s_cbranch_execnz .LBB54_2616
.LBB54_566:
	s_or_b64 exec, exec, s[6:7]
	s_and_saveexec_b64 s[6:7], s[4:5]
	s_cbranch_execz .LBB54_568
.LBB54_567:
	v_bfe_u32 v14, v11, 16, 3
	v_ffbh_u32_e32 v22, v14
	v_min_u32_e32 v22, 32, v22
	v_lshrrev_b32_e32 v20, 19, v11
	v_subrev_u32_e32 v23, 28, v22
	v_and_b32_e32 v20, 15, v20
	v_lshlrev_b32_sdwa v23, v23, v11 dst_sel:DWORD dst_unused:UNUSED_PAD src0_sel:DWORD src1_sel:WORD_1
	v_bfe_u32 v21, v11, 19, 4
	v_sub_u32_e32 v22, 29, v22
	v_and_b32_e32 v23, 7, v23
	v_cmp_eq_u16_e32 vcc, 0, v20
	v_cndmask_b32_e32 v14, v14, v23, vcc
	v_cndmask_b32_e32 v20, v21, v22, vcc
	v_lshlrev_b32_e32 v21, 8, v11
	v_mov_b32_e32 v22, 0x3b800000
	v_lshlrev_b32_e32 v14, 20, v14
	v_and_b32_e32 v21, 0x80000000, v21
	v_lshl_add_u32 v20, v20, 23, v22
	v_or3_b32 v20, v21, v20, v14
.LBB54_568:
	s_or_b64 exec, exec, s[6:7]
	s_nop 0
	v_mfma_f32_16x16x4f32 a[0:3], v10, v20, a[0:3]
	s_movk_i32 s4, 0x7f
	v_cmp_gt_i16_sdwa s[6:7], v15, s4 src0_sel:BYTE_3 src1_sel:DWORD
	s_mov_b64 s[4:5], 0
                                        ; implicit-def: $sgpr10
	s_and_saveexec_b64 s[8:9], s[6:7]
	s_xor_b64 s[6:7], exec, s[8:9]
	s_cbranch_execnz .LBB54_2617
; %bb.569:
	s_or_saveexec_b64 s[6:7], s[6:7]
	v_mov_b32_e32 v10, s10
	s_xor_b64 exec, exec, s[6:7]
	s_cbranch_execnz .LBB54_2620
.LBB54_570:
	s_or_b64 exec, exec, s[6:7]
	s_and_saveexec_b64 s[6:7], s[4:5]
	s_cbranch_execz .LBB54_572
.LBB54_571:
	v_bfe_u32 v10, v15, 24, 3
	v_ffbh_u32_e32 v22, v10
	v_min_u32_e32 v22, 32, v22
	v_lshrrev_b32_e32 v20, 27, v15
	v_subrev_u32_e32 v23, 28, v22
	v_and_b32_e32 v14, 0x80000000, v15
	v_and_b32_e32 v20, 15, v20
	v_bfe_u32 v21, v15, 27, 4
	v_lshlrev_b32_sdwa v15, v23, v15 dst_sel:DWORD dst_unused:UNUSED_PAD src0_sel:DWORD src1_sel:BYTE_3
	v_sub_u32_e32 v22, 29, v22
	v_and_b32_e32 v15, 7, v15
	v_cmp_eq_u16_e32 vcc, 0, v20
	v_cndmask_b32_e32 v10, v10, v15, vcc
	v_cndmask_b32_e32 v15, v21, v22, vcc
	v_mov_b32_e32 v20, 0x3b800000
	v_lshlrev_b32_e32 v10, 20, v10
	v_lshl_add_u32 v15, v15, 23, v20
	v_or3_b32 v10, v14, v15, v10
.LBB54_572:
	s_or_b64 exec, exec, s[6:7]
	s_movk_i32 s4, 0x7f
	v_cmp_gt_i16_sdwa s[6:7], v11, s4 src0_sel:BYTE_3 src1_sel:DWORD
	s_mov_b64 s[4:5], 0
                                        ; implicit-def: $sgpr10
	s_and_saveexec_b64 s[8:9], s[6:7]
	s_xor_b64 s[6:7], exec, s[8:9]
	s_cbranch_execnz .LBB54_2621
; %bb.573:
	s_or_saveexec_b64 s[6:7], s[6:7]
	v_mov_b32_e32 v14, s10
	s_xor_b64 exec, exec, s[6:7]
	s_cbranch_execnz .LBB54_2624
.LBB54_574:
	s_or_b64 exec, exec, s[6:7]
	s_and_saveexec_b64 s[6:7], s[4:5]
	s_cbranch_execz .LBB54_576
.LBB54_575:
	v_bfe_u32 v14, v11, 24, 3
	v_ffbh_u32_e32 v22, v14
	v_min_u32_e32 v22, 32, v22
	v_lshrrev_b32_e32 v20, 27, v11
	v_subrev_u32_e32 v23, 28, v22
	v_and_b32_e32 v15, 0x80000000, v11
	v_and_b32_e32 v20, 15, v20
	v_bfe_u32 v21, v11, 27, 4
	v_lshlrev_b32_sdwa v11, v23, v11 dst_sel:DWORD dst_unused:UNUSED_PAD src0_sel:DWORD src1_sel:BYTE_3
	v_sub_u32_e32 v22, 29, v22
	v_and_b32_e32 v11, 7, v11
	v_cmp_eq_u16_e32 vcc, 0, v20
	v_cndmask_b32_e32 v11, v14, v11, vcc
	v_cndmask_b32_e32 v14, v21, v22, vcc
	v_mov_b32_e32 v20, 0x3b800000
	v_lshlrev_b32_e32 v11, 20, v11
	v_lshl_add_u32 v14, v14, 23, v20
	v_or3_b32 v14, v15, v14, v11
.LBB54_576:
	s_or_b64 exec, exec, s[6:7]
	s_nop 0
	v_mfma_f32_16x16x4f32 a[0:3], v10, v14, a[0:3]
	s_movk_i32 s4, 0x7f
	v_cmp_gt_i16_sdwa s[6:7], v16, s4 src0_sel:BYTE_0 src1_sel:DWORD
	s_mov_b64 s[4:5], 0
                                        ; implicit-def: $sgpr10
	s_and_saveexec_b64 s[8:9], s[6:7]
	s_xor_b64 s[6:7], exec, s[8:9]
	s_cbranch_execnz .LBB54_2625
; %bb.577:
	s_or_saveexec_b64 s[6:7], s[6:7]
	v_mov_b32_e32 v10, s10
	s_xor_b64 exec, exec, s[6:7]
	s_cbranch_execnz .LBB54_2628
.LBB54_578:
	s_or_b64 exec, exec, s[6:7]
	s_and_saveexec_b64 s[6:7], s[4:5]
	s_cbranch_execz .LBB54_580
.LBB54_579:
	v_and_b32_e32 v10, 7, v16
	v_ffbh_u32_e32 v14, v10
	v_min_u32_e32 v14, 32, v14
	v_lshrrev_b16_e32 v11, 3, v16
	v_subrev_u32_e32 v15, 28, v14
	v_and_b32_e32 v11, 15, v11
	v_lshlrev_b32_e32 v15, v15, v16
	v_sub_u32_e32 v14, 29, v14
	v_and_b32_e32 v15, 7, v15
	v_cmp_eq_u16_e32 vcc, 0, v11
	v_cndmask_b32_e32 v10, v10, v15, vcc
	v_cndmask_b32_e32 v11, v11, v14, vcc
	v_lshlrev_b32_e32 v14, 24, v16
	v_mov_b32_e32 v15, 0x3b800000
	v_lshlrev_b32_e32 v10, 20, v10
	v_and_b32_e32 v14, 0x80000000, v14
	v_lshl_add_u32 v11, v11, 23, v15
	v_or3_b32 v10, v14, v11, v10
.LBB54_580:
	s_or_b64 exec, exec, s[6:7]
	s_movk_i32 s4, 0x7f
	v_cmp_gt_i16_sdwa s[6:7], v12, s4 src0_sel:BYTE_0 src1_sel:DWORD
	s_mov_b64 s[4:5], 0
                                        ; implicit-def: $sgpr10
	s_and_saveexec_b64 s[8:9], s[6:7]
	s_xor_b64 s[6:7], exec, s[8:9]
	s_cbranch_execnz .LBB54_2629
; %bb.581:
	s_or_saveexec_b64 s[6:7], s[6:7]
	v_mov_b32_e32 v11, s10
	s_xor_b64 exec, exec, s[6:7]
	s_cbranch_execnz .LBB54_2632
.LBB54_582:
	s_or_b64 exec, exec, s[6:7]
	s_and_saveexec_b64 s[6:7], s[4:5]
	s_cbranch_execz .LBB54_584
.LBB54_583:
	v_and_b32_e32 v11, 7, v12
	v_ffbh_u32_e32 v15, v11
	v_min_u32_e32 v15, 32, v15
	v_lshrrev_b16_e32 v14, 3, v12
	v_subrev_u32_e32 v20, 28, v15
	v_and_b32_e32 v14, 15, v14
	v_lshlrev_b32_e32 v20, v20, v12
	v_sub_u32_e32 v15, 29, v15
	v_and_b32_e32 v20, 7, v20
	v_cmp_eq_u16_e32 vcc, 0, v14
	v_cndmask_b32_e32 v11, v11, v20, vcc
	v_cndmask_b32_e32 v14, v14, v15, vcc
	v_lshlrev_b32_e32 v15, 24, v12
	v_mov_b32_e32 v20, 0x3b800000
	v_lshlrev_b32_e32 v11, 20, v11
	v_and_b32_e32 v15, 0x80000000, v15
	v_lshl_add_u32 v14, v14, 23, v20
	v_or3_b32 v11, v15, v14, v11
.LBB54_584:
	s_or_b64 exec, exec, s[6:7]
	s_nop 0
	v_mfma_f32_16x16x4f32 a[0:3], v10, v11, a[0:3]
	v_lshrrev_b32_e32 v11, 8, v16
	s_movk_i32 s4, 0x7f
	v_cmp_gt_i16_sdwa s[6:7], v11, s4 src0_sel:BYTE_0 src1_sel:DWORD
	s_mov_b64 s[4:5], 0
                                        ; implicit-def: $sgpr10
	s_and_saveexec_b64 s[8:9], s[6:7]
	s_xor_b64 s[6:7], exec, s[8:9]
	s_cbranch_execnz .LBB54_2633
; %bb.585:
	s_or_saveexec_b64 s[6:7], s[6:7]
	v_mov_b32_e32 v10, s10
	s_xor_b64 exec, exec, s[6:7]
	s_cbranch_execnz .LBB54_2636
.LBB54_586:
	s_or_b64 exec, exec, s[6:7]
	s_and_saveexec_b64 s[6:7], s[4:5]
	s_cbranch_execz .LBB54_588
.LBB54_587:
	v_bfe_u32 v10, v16, 8, 3
	v_ffbh_u32_e32 v15, v10
	v_min_u32_e32 v15, 32, v15
	v_lshrrev_b16_e32 v14, 3, v11
	v_subrev_u32_e32 v20, 28, v15
	v_and_b32_e32 v14, 15, v14
	v_lshlrev_b32_e32 v11, v20, v11
	v_sub_u32_e32 v15, 29, v15
	v_and_b32_e32 v11, 7, v11
	v_cmp_eq_u16_e32 vcc, 0, v14
	v_cndmask_b32_e32 v10, v10, v11, vcc
	v_cndmask_b32_e32 v11, v14, v15, vcc
	v_lshlrev_b32_e32 v14, 16, v16
	v_mov_b32_e32 v15, 0x3b800000
	v_lshlrev_b32_e32 v10, 20, v10
	v_and_b32_e32 v14, 0x80000000, v14
	v_lshl_add_u32 v11, v11, 23, v15
	v_or3_b32 v10, v14, v11, v10
.LBB54_588:
	s_or_b64 exec, exec, s[6:7]
	v_lshrrev_b32_e32 v11, 8, v12
	s_movk_i32 s4, 0x7f
	v_cmp_gt_i16_sdwa s[6:7], v11, s4 src0_sel:BYTE_0 src1_sel:DWORD
	s_mov_b64 s[4:5], 0
                                        ; implicit-def: $sgpr10
	s_and_saveexec_b64 s[8:9], s[6:7]
	s_xor_b64 s[6:7], exec, s[8:9]
	s_cbranch_execnz .LBB54_2637
; %bb.589:
	s_or_saveexec_b64 s[6:7], s[6:7]
	v_mov_b32_e32 v14, s10
	s_xor_b64 exec, exec, s[6:7]
	s_cbranch_execnz .LBB54_2640
.LBB54_590:
	s_or_b64 exec, exec, s[6:7]
	s_and_saveexec_b64 s[6:7], s[4:5]
	s_cbranch_execz .LBB54_592
.LBB54_591:
	v_bfe_u32 v14, v12, 8, 3
	v_ffbh_u32_e32 v20, v14
	v_min_u32_e32 v20, 32, v20
	v_lshrrev_b16_e32 v15, 3, v11
	v_subrev_u32_e32 v21, 28, v20
	v_and_b32_e32 v15, 15, v15
	v_lshlrev_b32_e32 v11, v21, v11
	v_sub_u32_e32 v20, 29, v20
	v_and_b32_e32 v11, 7, v11
	v_cmp_eq_u16_e32 vcc, 0, v15
	v_cndmask_b32_e32 v11, v14, v11, vcc
	v_cndmask_b32_e32 v14, v15, v20, vcc
	v_lshlrev_b32_e32 v15, 16, v12
	v_mov_b32_e32 v20, 0x3b800000
	v_lshlrev_b32_e32 v11, 20, v11
	v_and_b32_e32 v15, 0x80000000, v15
	v_lshl_add_u32 v14, v14, 23, v20
	v_or3_b32 v14, v15, v14, v11
.LBB54_592:
	s_or_b64 exec, exec, s[6:7]
	s_nop 0
	v_mfma_f32_16x16x4f32 a[0:3], v10, v14, a[0:3]
	s_movk_i32 s4, 0xff
	v_and_b32_sdwa v11, v16, s4 dst_sel:DWORD dst_unused:UNUSED_PAD src0_sel:WORD_1 src1_sel:DWORD
	s_movk_i32 s4, 0x7f
	v_cmp_lt_i16_e32 vcc, s4, v11
	s_mov_b64 s[4:5], 0
                                        ; implicit-def: $sgpr10
	s_and_saveexec_b64 s[6:7], vcc
	s_xor_b64 s[6:7], exec, s[6:7]
	s_cbranch_execnz .LBB54_2641
; %bb.593:
	s_or_saveexec_b64 s[6:7], s[6:7]
	v_mov_b32_e32 v10, s10
	s_xor_b64 exec, exec, s[6:7]
	s_cbranch_execnz .LBB54_2644
.LBB54_594:
	s_or_b64 exec, exec, s[6:7]
	s_and_saveexec_b64 s[6:7], s[4:5]
	s_cbranch_execz .LBB54_596
.LBB54_595:
	v_bfe_u32 v10, v16, 16, 3
	v_ffbh_u32_e32 v15, v10
	v_min_u32_e32 v15, 32, v15
	v_lshrrev_b32_e32 v11, 19, v16
	v_subrev_u32_e32 v20, 28, v15
	v_and_b32_e32 v11, 15, v11
	v_lshlrev_b32_sdwa v20, v20, v16 dst_sel:DWORD dst_unused:UNUSED_PAD src0_sel:DWORD src1_sel:WORD_1
	v_bfe_u32 v14, v16, 19, 4
	v_sub_u32_e32 v15, 29, v15
	v_and_b32_e32 v20, 7, v20
	v_cmp_eq_u16_e32 vcc, 0, v11
	v_cndmask_b32_e32 v10, v10, v20, vcc
	v_cndmask_b32_e32 v11, v14, v15, vcc
	v_lshlrev_b32_e32 v14, 8, v16
	v_mov_b32_e32 v15, 0x3b800000
	v_lshlrev_b32_e32 v10, 20, v10
	v_and_b32_e32 v14, 0x80000000, v14
	v_lshl_add_u32 v11, v11, 23, v15
	v_or3_b32 v10, v14, v11, v10
.LBB54_596:
	s_or_b64 exec, exec, s[6:7]
	s_movk_i32 s4, 0xff
	v_and_b32_sdwa v11, v12, s4 dst_sel:DWORD dst_unused:UNUSED_PAD src0_sel:WORD_1 src1_sel:DWORD
	s_movk_i32 s4, 0x7f
	v_cmp_lt_i16_e32 vcc, s4, v11
	s_mov_b64 s[4:5], 0
                                        ; implicit-def: $sgpr10
	s_and_saveexec_b64 s[6:7], vcc
	s_xor_b64 s[6:7], exec, s[6:7]
	s_cbranch_execnz .LBB54_2645
; %bb.597:
	s_or_saveexec_b64 s[6:7], s[6:7]
	v_mov_b32_e32 v14, s10
	s_xor_b64 exec, exec, s[6:7]
	s_cbranch_execnz .LBB54_2648
.LBB54_598:
	s_or_b64 exec, exec, s[6:7]
	s_and_saveexec_b64 s[6:7], s[4:5]
	s_cbranch_execz .LBB54_600
.LBB54_599:
	v_bfe_u32 v11, v12, 16, 3
	v_ffbh_u32_e32 v20, v11
	v_min_u32_e32 v20, 32, v20
	v_lshrrev_b32_e32 v14, 19, v12
	v_subrev_u32_e32 v21, 28, v20
	v_and_b32_e32 v14, 15, v14
	v_lshlrev_b32_sdwa v21, v21, v12 dst_sel:DWORD dst_unused:UNUSED_PAD src0_sel:DWORD src1_sel:WORD_1
	v_bfe_u32 v15, v12, 19, 4
	v_sub_u32_e32 v20, 29, v20
	v_and_b32_e32 v21, 7, v21
	v_cmp_eq_u16_e32 vcc, 0, v14
	v_cndmask_b32_e32 v11, v11, v21, vcc
	v_cndmask_b32_e32 v14, v15, v20, vcc
	v_lshlrev_b32_e32 v15, 8, v12
	v_mov_b32_e32 v20, 0x3b800000
	v_lshlrev_b32_e32 v11, 20, v11
	v_and_b32_e32 v15, 0x80000000, v15
	v_lshl_add_u32 v14, v14, 23, v20
	v_or3_b32 v14, v15, v14, v11
.LBB54_600:
	s_or_b64 exec, exec, s[6:7]
	s_nop 0
	v_mfma_f32_16x16x4f32 a[0:3], v10, v14, a[0:3]
	s_movk_i32 s4, 0x7f
	v_cmp_gt_i16_sdwa s[6:7], v16, s4 src0_sel:BYTE_3 src1_sel:DWORD
	s_mov_b64 s[4:5], 0
                                        ; implicit-def: $sgpr10
	s_and_saveexec_b64 s[8:9], s[6:7]
	s_xor_b64 s[6:7], exec, s[8:9]
	s_cbranch_execnz .LBB54_2649
; %bb.601:
	s_or_saveexec_b64 s[6:7], s[6:7]
	v_mov_b32_e32 v10, s10
	s_xor_b64 exec, exec, s[6:7]
	s_cbranch_execnz .LBB54_2652
.LBB54_602:
	s_or_b64 exec, exec, s[6:7]
	s_and_saveexec_b64 s[6:7], s[4:5]
	s_cbranch_execz .LBB54_604
.LBB54_603:
	v_bfe_u32 v10, v16, 24, 3
	v_ffbh_u32_e32 v20, v10
	v_min_u32_e32 v20, 32, v20
	v_lshrrev_b32_e32 v14, 27, v16
	v_subrev_u32_e32 v21, 28, v20
	v_and_b32_e32 v11, 0x80000000, v16
	v_and_b32_e32 v14, 15, v14
	v_bfe_u32 v15, v16, 27, 4
	v_lshlrev_b32_sdwa v16, v21, v16 dst_sel:DWORD dst_unused:UNUSED_PAD src0_sel:DWORD src1_sel:BYTE_3
	v_sub_u32_e32 v20, 29, v20
	v_and_b32_e32 v16, 7, v16
	v_cmp_eq_u16_e32 vcc, 0, v14
	v_cndmask_b32_e32 v10, v10, v16, vcc
	v_cndmask_b32_e32 v14, v15, v20, vcc
	v_mov_b32_e32 v15, 0x3b800000
	v_lshlrev_b32_e32 v10, 20, v10
	v_lshl_add_u32 v14, v14, 23, v15
	v_or3_b32 v10, v11, v14, v10
.LBB54_604:
	s_or_b64 exec, exec, s[6:7]
	s_movk_i32 s4, 0x7f
	v_cmp_gt_i16_sdwa s[6:7], v12, s4 src0_sel:BYTE_3 src1_sel:DWORD
	s_mov_b64 s[4:5], 0
                                        ; implicit-def: $sgpr10
	s_and_saveexec_b64 s[8:9], s[6:7]
	s_xor_b64 s[6:7], exec, s[8:9]
	s_cbranch_execnz .LBB54_2653
; %bb.605:
	s_or_saveexec_b64 s[6:7], s[6:7]
	v_mov_b32_e32 v11, s10
	s_xor_b64 exec, exec, s[6:7]
	s_cbranch_execnz .LBB54_2656
.LBB54_606:
	s_or_b64 exec, exec, s[6:7]
	s_and_saveexec_b64 s[6:7], s[4:5]
	s_cbranch_execz .LBB54_608
.LBB54_607:
	v_bfe_u32 v11, v12, 24, 3
	v_ffbh_u32_e32 v20, v11
	v_min_u32_e32 v20, 32, v20
	v_lshrrev_b32_e32 v15, 27, v12
	v_subrev_u32_e32 v21, 28, v20
	v_and_b32_e32 v14, 0x80000000, v12
	v_and_b32_e32 v15, 15, v15
	v_bfe_u32 v16, v12, 27, 4
	v_lshlrev_b32_sdwa v12, v21, v12 dst_sel:DWORD dst_unused:UNUSED_PAD src0_sel:DWORD src1_sel:BYTE_3
	v_sub_u32_e32 v20, 29, v20
	v_and_b32_e32 v12, 7, v12
	v_cmp_eq_u16_e32 vcc, 0, v15
	v_cndmask_b32_e32 v11, v11, v12, vcc
	v_cndmask_b32_e32 v12, v16, v20, vcc
	v_mov_b32_e32 v15, 0x3b800000
	v_lshlrev_b32_e32 v11, 20, v11
	v_lshl_add_u32 v12, v12, 23, v15
	v_or3_b32 v11, v14, v12, v11
.LBB54_608:
	s_or_b64 exec, exec, s[6:7]
	s_nop 0
	v_mfma_f32_16x16x4f32 a[0:3], v10, v11, a[0:3]
	s_movk_i32 s4, 0x7f
	v_cmp_gt_i16_sdwa s[6:7], v17, s4 src0_sel:BYTE_0 src1_sel:DWORD
	s_mov_b64 s[4:5], 0
                                        ; implicit-def: $sgpr10
	s_and_saveexec_b64 s[8:9], s[6:7]
	s_xor_b64 s[6:7], exec, s[8:9]
	s_cbranch_execnz .LBB54_2657
; %bb.609:
	s_or_saveexec_b64 s[6:7], s[6:7]
	v_mov_b32_e32 v10, s10
	s_xor_b64 exec, exec, s[6:7]
	s_cbranch_execnz .LBB54_2660
.LBB54_610:
	s_or_b64 exec, exec, s[6:7]
	s_and_saveexec_b64 s[6:7], s[4:5]
	s_cbranch_execz .LBB54_612
.LBB54_611:
	v_and_b32_e32 v10, 7, v17
	v_ffbh_u32_e32 v12, v10
	v_min_u32_e32 v12, 32, v12
	v_lshrrev_b16_e32 v11, 3, v17
	v_subrev_u32_e32 v14, 28, v12
	v_and_b32_e32 v11, 15, v11
	v_lshlrev_b32_e32 v14, v14, v17
	v_sub_u32_e32 v12, 29, v12
	v_and_b32_e32 v14, 7, v14
	v_cmp_eq_u16_e32 vcc, 0, v11
	v_cndmask_b32_e32 v10, v10, v14, vcc
	v_cndmask_b32_e32 v11, v11, v12, vcc
	v_lshlrev_b32_e32 v12, 24, v17
	v_mov_b32_e32 v14, 0x3b800000
	v_lshlrev_b32_e32 v10, 20, v10
	v_and_b32_e32 v12, 0x80000000, v12
	v_lshl_add_u32 v11, v11, 23, v14
	v_or3_b32 v10, v12, v11, v10
.LBB54_612:
	s_or_b64 exec, exec, s[6:7]
	s_movk_i32 s4, 0x7f
	v_cmp_gt_i16_sdwa s[6:7], v13, s4 src0_sel:BYTE_0 src1_sel:DWORD
	s_mov_b64 s[4:5], 0
                                        ; implicit-def: $sgpr10
	s_and_saveexec_b64 s[8:9], s[6:7]
	s_xor_b64 s[6:7], exec, s[8:9]
	s_cbranch_execnz .LBB54_2661
; %bb.613:
	s_or_saveexec_b64 s[6:7], s[6:7]
	v_mov_b32_e32 v11, s10
	s_xor_b64 exec, exec, s[6:7]
	s_cbranch_execnz .LBB54_2664
.LBB54_614:
	s_or_b64 exec, exec, s[6:7]
	s_and_saveexec_b64 s[6:7], s[4:5]
	s_cbranch_execz .LBB54_616
.LBB54_615:
	v_and_b32_e32 v11, 7, v13
	v_ffbh_u32_e32 v14, v11
	v_min_u32_e32 v14, 32, v14
	v_lshrrev_b16_e32 v12, 3, v13
	v_subrev_u32_e32 v15, 28, v14
	v_and_b32_e32 v12, 15, v12
	v_lshlrev_b32_e32 v15, v15, v13
	v_sub_u32_e32 v14, 29, v14
	v_and_b32_e32 v15, 7, v15
	v_cmp_eq_u16_e32 vcc, 0, v12
	v_cndmask_b32_e32 v11, v11, v15, vcc
	v_cndmask_b32_e32 v12, v12, v14, vcc
	v_lshlrev_b32_e32 v14, 24, v13
	v_mov_b32_e32 v15, 0x3b800000
	v_lshlrev_b32_e32 v11, 20, v11
	v_and_b32_e32 v14, 0x80000000, v14
	v_lshl_add_u32 v12, v12, 23, v15
	v_or3_b32 v11, v14, v12, v11
.LBB54_616:
	s_or_b64 exec, exec, s[6:7]
	s_nop 0
	v_mfma_f32_16x16x4f32 a[0:3], v10, v11, a[0:3]
	v_lshrrev_b32_e32 v11, 8, v17
	s_movk_i32 s4, 0x7f
	v_cmp_gt_i16_sdwa s[6:7], v11, s4 src0_sel:BYTE_0 src1_sel:DWORD
	s_mov_b64 s[4:5], 0
                                        ; implicit-def: $sgpr10
	s_and_saveexec_b64 s[8:9], s[6:7]
	s_xor_b64 s[6:7], exec, s[8:9]
	s_cbranch_execnz .LBB54_2665
; %bb.617:
	s_or_saveexec_b64 s[6:7], s[6:7]
	v_mov_b32_e32 v10, s10
	s_xor_b64 exec, exec, s[6:7]
	s_cbranch_execnz .LBB54_2668
.LBB54_618:
	s_or_b64 exec, exec, s[6:7]
	s_and_saveexec_b64 s[6:7], s[4:5]
	s_cbranch_execz .LBB54_620
.LBB54_619:
	v_bfe_u32 v10, v17, 8, 3
	v_ffbh_u32_e32 v14, v10
	v_min_u32_e32 v14, 32, v14
	v_lshrrev_b16_e32 v12, 3, v11
	v_subrev_u32_e32 v15, 28, v14
	v_and_b32_e32 v12, 15, v12
	v_lshlrev_b32_e32 v11, v15, v11
	v_sub_u32_e32 v14, 29, v14
	v_and_b32_e32 v11, 7, v11
	v_cmp_eq_u16_e32 vcc, 0, v12
	v_cndmask_b32_e32 v10, v10, v11, vcc
	v_cndmask_b32_e32 v11, v12, v14, vcc
	v_lshlrev_b32_e32 v12, 16, v17
	v_mov_b32_e32 v14, 0x3b800000
	v_lshlrev_b32_e32 v10, 20, v10
	v_and_b32_e32 v12, 0x80000000, v12
	v_lshl_add_u32 v11, v11, 23, v14
	v_or3_b32 v10, v12, v11, v10
.LBB54_620:
	s_or_b64 exec, exec, s[6:7]
	v_lshrrev_b32_e32 v11, 8, v13
	s_movk_i32 s4, 0x7f
	v_cmp_gt_i16_sdwa s[6:7], v11, s4 src0_sel:BYTE_0 src1_sel:DWORD
	s_mov_b64 s[4:5], 0
                                        ; implicit-def: $sgpr10
	s_and_saveexec_b64 s[8:9], s[6:7]
	s_xor_b64 s[6:7], exec, s[8:9]
	s_cbranch_execnz .LBB54_2669
; %bb.621:
	s_or_saveexec_b64 s[6:7], s[6:7]
	v_mov_b32_e32 v12, s10
	s_xor_b64 exec, exec, s[6:7]
	s_cbranch_execnz .LBB54_2672
.LBB54_622:
	s_or_b64 exec, exec, s[6:7]
	s_and_saveexec_b64 s[6:7], s[4:5]
	s_cbranch_execz .LBB54_624
.LBB54_623:
	v_bfe_u32 v12, v13, 8, 3
	v_ffbh_u32_e32 v15, v12
	v_min_u32_e32 v15, 32, v15
	v_lshrrev_b16_e32 v14, 3, v11
	v_subrev_u32_e32 v16, 28, v15
	v_and_b32_e32 v14, 15, v14
	v_lshlrev_b32_e32 v11, v16, v11
	v_sub_u32_e32 v15, 29, v15
	v_and_b32_e32 v11, 7, v11
	v_cmp_eq_u16_e32 vcc, 0, v14
	v_cndmask_b32_e32 v11, v12, v11, vcc
	v_cndmask_b32_e32 v12, v14, v15, vcc
	v_lshlrev_b32_e32 v14, 16, v13
	v_mov_b32_e32 v15, 0x3b800000
	v_lshlrev_b32_e32 v11, 20, v11
	v_and_b32_e32 v14, 0x80000000, v14
	v_lshl_add_u32 v12, v12, 23, v15
	v_or3_b32 v12, v14, v12, v11
.LBB54_624:
	s_or_b64 exec, exec, s[6:7]
	s_nop 0
	v_mfma_f32_16x16x4f32 a[0:3], v10, v12, a[0:3]
	s_movk_i32 s4, 0xff
	v_and_b32_sdwa v11, v17, s4 dst_sel:DWORD dst_unused:UNUSED_PAD src0_sel:WORD_1 src1_sel:DWORD
	s_movk_i32 s4, 0x7f
	v_cmp_lt_i16_e32 vcc, s4, v11
	s_mov_b64 s[4:5], 0
                                        ; implicit-def: $sgpr10
	s_and_saveexec_b64 s[6:7], vcc
	s_xor_b64 s[6:7], exec, s[6:7]
	s_cbranch_execnz .LBB54_2673
; %bb.625:
	s_or_saveexec_b64 s[6:7], s[6:7]
	v_mov_b32_e32 v10, s10
	s_xor_b64 exec, exec, s[6:7]
	s_cbranch_execnz .LBB54_2676
.LBB54_626:
	s_or_b64 exec, exec, s[6:7]
	s_and_saveexec_b64 s[6:7], s[4:5]
	s_cbranch_execz .LBB54_628
.LBB54_627:
	v_bfe_u32 v10, v17, 16, 3
	v_ffbh_u32_e32 v14, v10
	v_min_u32_e32 v14, 32, v14
	v_lshrrev_b32_e32 v11, 19, v17
	v_subrev_u32_e32 v15, 28, v14
	v_and_b32_e32 v11, 15, v11
	v_lshlrev_b32_sdwa v15, v15, v17 dst_sel:DWORD dst_unused:UNUSED_PAD src0_sel:DWORD src1_sel:WORD_1
	v_bfe_u32 v12, v17, 19, 4
	v_sub_u32_e32 v14, 29, v14
	v_and_b32_e32 v15, 7, v15
	v_cmp_eq_u16_e32 vcc, 0, v11
	v_cndmask_b32_e32 v10, v10, v15, vcc
	v_cndmask_b32_e32 v11, v12, v14, vcc
	v_lshlrev_b32_e32 v12, 8, v17
	v_mov_b32_e32 v14, 0x3b800000
	v_lshlrev_b32_e32 v10, 20, v10
	v_and_b32_e32 v12, 0x80000000, v12
	v_lshl_add_u32 v11, v11, 23, v14
	v_or3_b32 v10, v12, v11, v10
.LBB54_628:
	s_or_b64 exec, exec, s[6:7]
	s_movk_i32 s4, 0xff
	v_and_b32_sdwa v11, v13, s4 dst_sel:DWORD dst_unused:UNUSED_PAD src0_sel:WORD_1 src1_sel:DWORD
	s_movk_i32 s4, 0x7f
	v_cmp_lt_i16_e32 vcc, s4, v11
	s_mov_b64 s[4:5], 0
                                        ; implicit-def: $sgpr10
	s_and_saveexec_b64 s[6:7], vcc
	s_xor_b64 s[6:7], exec, s[6:7]
	s_cbranch_execnz .LBB54_2677
; %bb.629:
	s_or_saveexec_b64 s[6:7], s[6:7]
	v_mov_b32_e32 v12, s10
	s_xor_b64 exec, exec, s[6:7]
	s_cbranch_execnz .LBB54_2680
.LBB54_630:
	s_or_b64 exec, exec, s[6:7]
	s_and_saveexec_b64 s[6:7], s[4:5]
	s_cbranch_execz .LBB54_632
.LBB54_631:
	v_bfe_u32 v11, v13, 16, 3
	v_ffbh_u32_e32 v15, v11
	v_min_u32_e32 v15, 32, v15
	v_lshrrev_b32_e32 v12, 19, v13
	v_subrev_u32_e32 v16, 28, v15
	v_and_b32_e32 v12, 15, v12
	v_lshlrev_b32_sdwa v16, v16, v13 dst_sel:DWORD dst_unused:UNUSED_PAD src0_sel:DWORD src1_sel:WORD_1
	v_bfe_u32 v14, v13, 19, 4
	v_sub_u32_e32 v15, 29, v15
	v_and_b32_e32 v16, 7, v16
	v_cmp_eq_u16_e32 vcc, 0, v12
	v_cndmask_b32_e32 v11, v11, v16, vcc
	v_cndmask_b32_e32 v12, v14, v15, vcc
	v_lshlrev_b32_e32 v14, 8, v13
	v_mov_b32_e32 v15, 0x3b800000
	v_lshlrev_b32_e32 v11, 20, v11
	v_and_b32_e32 v14, 0x80000000, v14
	v_lshl_add_u32 v12, v12, 23, v15
	v_or3_b32 v12, v14, v12, v11
.LBB54_632:
	s_or_b64 exec, exec, s[6:7]
	s_nop 0
	v_mfma_f32_16x16x4f32 a[0:3], v10, v12, a[0:3]
	s_movk_i32 s4, 0x7f
	v_cmp_gt_i16_sdwa s[6:7], v17, s4 src0_sel:BYTE_3 src1_sel:DWORD
	s_mov_b64 s[4:5], 0
                                        ; implicit-def: $sgpr10
	s_and_saveexec_b64 s[8:9], s[6:7]
	s_xor_b64 s[6:7], exec, s[8:9]
	s_cbranch_execnz .LBB54_2681
; %bb.633:
	s_or_saveexec_b64 s[6:7], s[6:7]
	v_mov_b32_e32 v10, s10
	s_xor_b64 exec, exec, s[6:7]
	s_cbranch_execnz .LBB54_2684
.LBB54_634:
	s_or_b64 exec, exec, s[6:7]
	s_and_saveexec_b64 s[6:7], s[4:5]
	s_cbranch_execz .LBB54_636
.LBB54_635:
	v_bfe_u32 v10, v17, 24, 3
	v_ffbh_u32_e32 v15, v10
	v_min_u32_e32 v15, 32, v15
	v_lshrrev_b32_e32 v12, 27, v17
	v_subrev_u32_e32 v16, 28, v15
	v_and_b32_e32 v12, 15, v12
	v_lshlrev_b32_sdwa v16, v16, v17 dst_sel:DWORD dst_unused:UNUSED_PAD src0_sel:DWORD src1_sel:BYTE_3
	v_bfe_u32 v14, v17, 27, 4
	v_sub_u32_e32 v15, 29, v15
	v_and_b32_e32 v16, 7, v16
	v_cmp_eq_u16_e32 vcc, 0, v12
	v_cndmask_b32_e32 v10, v10, v16, vcc
	v_cndmask_b32_e32 v12, v14, v15, vcc
	v_mov_b32_e32 v14, 0x3b800000
	v_and_b32_e32 v11, 0x80000000, v17
	v_lshlrev_b32_e32 v10, 20, v10
	v_lshl_add_u32 v12, v12, 23, v14
	v_or3_b32 v10, v11, v12, v10
.LBB54_636:
	s_or_b64 exec, exec, s[6:7]
	s_movk_i32 s4, 0x7f
	v_cmp_gt_i16_sdwa s[6:7], v13, s4 src0_sel:BYTE_3 src1_sel:DWORD
	s_mov_b64 s[4:5], 0
                                        ; implicit-def: $sgpr10
	s_and_saveexec_b64 s[8:9], s[6:7]
	s_xor_b64 s[6:7], exec, s[8:9]
	s_cbranch_execnz .LBB54_2685
; %bb.637:
	s_or_saveexec_b64 s[6:7], s[6:7]
	v_mov_b32_e32 v11, s10
	s_xor_b64 exec, exec, s[6:7]
	s_cbranch_execnz .LBB54_2688
.LBB54_638:
	s_or_b64 exec, exec, s[6:7]
	s_and_saveexec_b64 s[6:7], s[4:5]
	s_cbranch_execz .LBB54_640
.LBB54_639:
	v_bfe_u32 v11, v13, 24, 3
	v_ffbh_u32_e32 v16, v11
	v_min_u32_e32 v16, 32, v16
	v_lshrrev_b32_e32 v14, 27, v13
	v_subrev_u32_e32 v17, 28, v16
	v_and_b32_e32 v12, 0x80000000, v13
	v_and_b32_e32 v14, 15, v14
	v_bfe_u32 v15, v13, 27, 4
	v_lshlrev_b32_sdwa v13, v17, v13 dst_sel:DWORD dst_unused:UNUSED_PAD src0_sel:DWORD src1_sel:BYTE_3
	v_sub_u32_e32 v16, 29, v16
	v_and_b32_e32 v13, 7, v13
	v_cmp_eq_u16_e32 vcc, 0, v14
	v_cndmask_b32_e32 v11, v11, v13, vcc
	v_cndmask_b32_e32 v13, v15, v16, vcc
	v_mov_b32_e32 v14, 0x3b800000
	v_lshlrev_b32_e32 v11, 20, v11
	v_lshl_add_u32 v13, v13, 23, v14
	v_or3_b32 v11, v12, v13, v11
.LBB54_640:
	s_or_b64 exec, exec, s[6:7]
	s_nop 0
	v_mfma_f32_16x16x4f32 a[0:3], v10, v11, a[0:3]
	s_movk_i32 s4, 0x7f
	v_cmp_gt_i16_sdwa s[6:7], v6, s4 src0_sel:BYTE_0 src1_sel:DWORD
	s_mov_b64 s[4:5], 0
                                        ; implicit-def: $sgpr10
	s_and_saveexec_b64 s[8:9], s[6:7]
	s_xor_b64 s[6:7], exec, s[8:9]
	s_cbranch_execnz .LBB54_2689
; %bb.641:
	s_or_saveexec_b64 s[6:7], s[6:7]
	v_mov_b32_e32 v10, s10
	s_xor_b64 exec, exec, s[6:7]
	s_cbranch_execnz .LBB54_2692
.LBB54_642:
	s_or_b64 exec, exec, s[6:7]
	s_and_saveexec_b64 s[6:7], s[4:5]
	s_cbranch_execz .LBB54_644
.LBB54_643:
	v_and_b32_e32 v10, 7, v6
	v_ffbh_u32_e32 v12, v10
	v_min_u32_e32 v12, 32, v12
	v_lshrrev_b16_e32 v11, 3, v6
	v_subrev_u32_e32 v13, 28, v12
	v_and_b32_e32 v11, 15, v11
	v_lshlrev_b32_e32 v13, v13, v6
	v_sub_u32_e32 v12, 29, v12
	v_and_b32_e32 v13, 7, v13
	v_cmp_eq_u16_e32 vcc, 0, v11
	v_cndmask_b32_e32 v10, v10, v13, vcc
	v_cndmask_b32_e32 v11, v11, v12, vcc
	v_lshlrev_b32_e32 v12, 24, v6
	v_mov_b32_e32 v13, 0x3b800000
	v_lshlrev_b32_e32 v10, 20, v10
	v_and_b32_e32 v12, 0x80000000, v12
	v_lshl_add_u32 v11, v11, 23, v13
	v_or3_b32 v10, v12, v11, v10
.LBB54_644:
	s_or_b64 exec, exec, s[6:7]
	s_movk_i32 s4, 0x7f
	v_cmp_gt_i16_sdwa s[6:7], v2, s4 src0_sel:BYTE_0 src1_sel:DWORD
	s_mov_b64 s[4:5], 0
                                        ; implicit-def: $sgpr10
	s_and_saveexec_b64 s[8:9], s[6:7]
	s_xor_b64 s[6:7], exec, s[8:9]
	s_cbranch_execnz .LBB54_2693
; %bb.645:
	s_or_saveexec_b64 s[6:7], s[6:7]
	v_mov_b32_e32 v11, s10
	s_xor_b64 exec, exec, s[6:7]
	s_cbranch_execnz .LBB54_2696
.LBB54_646:
	s_or_b64 exec, exec, s[6:7]
	s_and_saveexec_b64 s[6:7], s[4:5]
	s_cbranch_execz .LBB54_648
.LBB54_647:
	v_and_b32_e32 v11, 7, v2
	v_ffbh_u32_e32 v13, v11
	v_min_u32_e32 v13, 32, v13
	v_lshrrev_b16_e32 v12, 3, v2
	v_subrev_u32_e32 v14, 28, v13
	v_and_b32_e32 v12, 15, v12
	v_lshlrev_b32_e32 v14, v14, v2
	v_sub_u32_e32 v13, 29, v13
	v_and_b32_e32 v14, 7, v14
	v_cmp_eq_u16_e32 vcc, 0, v12
	v_cndmask_b32_e32 v11, v11, v14, vcc
	v_cndmask_b32_e32 v12, v12, v13, vcc
	v_lshlrev_b32_e32 v13, 24, v2
	v_mov_b32_e32 v14, 0x3b800000
	v_lshlrev_b32_e32 v11, 20, v11
	v_and_b32_e32 v13, 0x80000000, v13
	v_lshl_add_u32 v12, v12, 23, v14
	v_or3_b32 v11, v13, v12, v11
.LBB54_648:
	s_or_b64 exec, exec, s[6:7]
	s_nop 0
	v_mfma_f32_16x16x4f32 a[0:3], v10, v11, a[0:3]
	v_lshrrev_b32_e32 v11, 8, v6
	s_movk_i32 s4, 0x7f
	v_cmp_gt_i16_sdwa s[6:7], v11, s4 src0_sel:BYTE_0 src1_sel:DWORD
	s_mov_b64 s[4:5], 0
                                        ; implicit-def: $sgpr10
	s_and_saveexec_b64 s[8:9], s[6:7]
	s_xor_b64 s[6:7], exec, s[8:9]
	s_cbranch_execnz .LBB54_2697
; %bb.649:
	s_or_saveexec_b64 s[6:7], s[6:7]
	v_mov_b32_e32 v10, s10
	s_xor_b64 exec, exec, s[6:7]
	s_cbranch_execnz .LBB54_2700
.LBB54_650:
	s_or_b64 exec, exec, s[6:7]
	s_and_saveexec_b64 s[6:7], s[4:5]
	s_cbranch_execz .LBB54_652
.LBB54_651:
	v_bfe_u32 v10, v6, 8, 3
	v_ffbh_u32_e32 v13, v10
	v_min_u32_e32 v13, 32, v13
	v_lshrrev_b16_e32 v12, 3, v11
	v_subrev_u32_e32 v14, 28, v13
	v_and_b32_e32 v12, 15, v12
	v_lshlrev_b32_e32 v11, v14, v11
	v_sub_u32_e32 v13, 29, v13
	v_and_b32_e32 v11, 7, v11
	v_cmp_eq_u16_e32 vcc, 0, v12
	v_cndmask_b32_e32 v10, v10, v11, vcc
	v_cndmask_b32_e32 v11, v12, v13, vcc
	v_lshlrev_b32_e32 v12, 16, v6
	v_mov_b32_e32 v13, 0x3b800000
	v_lshlrev_b32_e32 v10, 20, v10
	v_and_b32_e32 v12, 0x80000000, v12
	v_lshl_add_u32 v11, v11, 23, v13
	v_or3_b32 v10, v12, v11, v10
.LBB54_652:
	s_or_b64 exec, exec, s[6:7]
	v_lshrrev_b32_e32 v11, 8, v2
	s_movk_i32 s4, 0x7f
	v_cmp_gt_i16_sdwa s[6:7], v11, s4 src0_sel:BYTE_0 src1_sel:DWORD
	s_mov_b64 s[4:5], 0
                                        ; implicit-def: $sgpr10
	s_and_saveexec_b64 s[8:9], s[6:7]
	s_xor_b64 s[6:7], exec, s[8:9]
	s_cbranch_execnz .LBB54_2701
; %bb.653:
	s_or_saveexec_b64 s[6:7], s[6:7]
	v_mov_b32_e32 v12, s10
	s_xor_b64 exec, exec, s[6:7]
	s_cbranch_execnz .LBB54_2704
.LBB54_654:
	s_or_b64 exec, exec, s[6:7]
	s_and_saveexec_b64 s[6:7], s[4:5]
	s_cbranch_execz .LBB54_656
.LBB54_655:
	v_bfe_u32 v12, v2, 8, 3
	v_ffbh_u32_e32 v14, v12
	v_min_u32_e32 v14, 32, v14
	v_lshrrev_b16_e32 v13, 3, v11
	v_subrev_u32_e32 v15, 28, v14
	v_and_b32_e32 v13, 15, v13
	v_lshlrev_b32_e32 v11, v15, v11
	v_sub_u32_e32 v14, 29, v14
	v_and_b32_e32 v11, 7, v11
	v_cmp_eq_u16_e32 vcc, 0, v13
	v_cndmask_b32_e32 v11, v12, v11, vcc
	v_cndmask_b32_e32 v12, v13, v14, vcc
	v_lshlrev_b32_e32 v13, 16, v2
	v_mov_b32_e32 v14, 0x3b800000
	v_lshlrev_b32_e32 v11, 20, v11
	v_and_b32_e32 v13, 0x80000000, v13
	v_lshl_add_u32 v12, v12, 23, v14
	v_or3_b32 v12, v13, v12, v11
.LBB54_656:
	s_or_b64 exec, exec, s[6:7]
	s_nop 0
	v_mfma_f32_16x16x4f32 a[0:3], v10, v12, a[0:3]
	s_movk_i32 s4, 0xff
	v_and_b32_sdwa v11, v6, s4 dst_sel:DWORD dst_unused:UNUSED_PAD src0_sel:WORD_1 src1_sel:DWORD
	s_movk_i32 s4, 0x7f
	v_cmp_lt_i16_e32 vcc, s4, v11
	s_mov_b64 s[4:5], 0
                                        ; implicit-def: $sgpr10
	s_and_saveexec_b64 s[6:7], vcc
	s_xor_b64 s[6:7], exec, s[6:7]
	s_cbranch_execnz .LBB54_2705
; %bb.657:
	s_or_saveexec_b64 s[6:7], s[6:7]
	v_mov_b32_e32 v10, s10
	s_xor_b64 exec, exec, s[6:7]
	s_cbranch_execnz .LBB54_2708
.LBB54_658:
	s_or_b64 exec, exec, s[6:7]
	s_and_saveexec_b64 s[6:7], s[4:5]
	s_cbranch_execz .LBB54_660
.LBB54_659:
	v_bfe_u32 v10, v6, 16, 3
	v_ffbh_u32_e32 v13, v10
	v_min_u32_e32 v13, 32, v13
	v_lshrrev_b32_e32 v11, 19, v6
	v_subrev_u32_e32 v14, 28, v13
	v_and_b32_e32 v11, 15, v11
	v_lshlrev_b32_sdwa v14, v14, v6 dst_sel:DWORD dst_unused:UNUSED_PAD src0_sel:DWORD src1_sel:WORD_1
	v_bfe_u32 v12, v6, 19, 4
	v_sub_u32_e32 v13, 29, v13
	v_and_b32_e32 v14, 7, v14
	v_cmp_eq_u16_e32 vcc, 0, v11
	v_cndmask_b32_e32 v10, v10, v14, vcc
	v_cndmask_b32_e32 v11, v12, v13, vcc
	v_lshlrev_b32_e32 v12, 8, v6
	v_mov_b32_e32 v13, 0x3b800000
	v_lshlrev_b32_e32 v10, 20, v10
	v_and_b32_e32 v12, 0x80000000, v12
	v_lshl_add_u32 v11, v11, 23, v13
	v_or3_b32 v10, v12, v11, v10
.LBB54_660:
	s_or_b64 exec, exec, s[6:7]
	s_movk_i32 s4, 0xff
	v_and_b32_sdwa v11, v2, s4 dst_sel:DWORD dst_unused:UNUSED_PAD src0_sel:WORD_1 src1_sel:DWORD
	s_movk_i32 s4, 0x7f
	v_cmp_lt_i16_e32 vcc, s4, v11
	s_mov_b64 s[4:5], 0
                                        ; implicit-def: $sgpr10
	s_and_saveexec_b64 s[6:7], vcc
	s_xor_b64 s[6:7], exec, s[6:7]
	s_cbranch_execnz .LBB54_2709
; %bb.661:
	s_or_saveexec_b64 s[6:7], s[6:7]
	v_mov_b32_e32 v12, s10
	s_xor_b64 exec, exec, s[6:7]
	s_cbranch_execnz .LBB54_2712
.LBB54_662:
	s_or_b64 exec, exec, s[6:7]
	s_and_saveexec_b64 s[6:7], s[4:5]
	s_cbranch_execz .LBB54_664
.LBB54_663:
	v_bfe_u32 v11, v2, 16, 3
	v_ffbh_u32_e32 v14, v11
	v_min_u32_e32 v14, 32, v14
	v_lshrrev_b32_e32 v12, 19, v2
	v_subrev_u32_e32 v15, 28, v14
	v_and_b32_e32 v12, 15, v12
	v_lshlrev_b32_sdwa v15, v15, v2 dst_sel:DWORD dst_unused:UNUSED_PAD src0_sel:DWORD src1_sel:WORD_1
	v_bfe_u32 v13, v2, 19, 4
	v_sub_u32_e32 v14, 29, v14
	v_and_b32_e32 v15, 7, v15
	v_cmp_eq_u16_e32 vcc, 0, v12
	v_cndmask_b32_e32 v11, v11, v15, vcc
	v_cndmask_b32_e32 v12, v13, v14, vcc
	v_lshlrev_b32_e32 v13, 8, v2
	v_mov_b32_e32 v14, 0x3b800000
	v_lshlrev_b32_e32 v11, 20, v11
	v_and_b32_e32 v13, 0x80000000, v13
	v_lshl_add_u32 v12, v12, 23, v14
	v_or3_b32 v12, v13, v12, v11
.LBB54_664:
	s_or_b64 exec, exec, s[6:7]
	s_nop 0
	v_mfma_f32_16x16x4f32 a[0:3], v10, v12, a[0:3]
	s_movk_i32 s4, 0x7f
	v_cmp_gt_i16_sdwa s[6:7], v6, s4 src0_sel:BYTE_3 src1_sel:DWORD
	s_mov_b64 s[4:5], 0
                                        ; implicit-def: $sgpr10
	s_and_saveexec_b64 s[8:9], s[6:7]
	s_xor_b64 s[6:7], exec, s[8:9]
	s_cbranch_execnz .LBB54_2713
; %bb.665:
	s_or_saveexec_b64 s[6:7], s[6:7]
	v_mov_b32_e32 v10, s10
	s_xor_b64 exec, exec, s[6:7]
	s_cbranch_execnz .LBB54_2716
.LBB54_666:
	s_or_b64 exec, exec, s[6:7]
	s_and_saveexec_b64 s[6:7], s[4:5]
	s_cbranch_execz .LBB54_668
.LBB54_667:
	v_bfe_u32 v10, v6, 24, 3
	v_ffbh_u32_e32 v14, v10
	v_min_u32_e32 v14, 32, v14
	v_lshrrev_b32_e32 v12, 27, v6
	v_subrev_u32_e32 v15, 28, v14
	v_and_b32_e32 v11, 0x80000000, v6
	v_and_b32_e32 v12, 15, v12
	v_bfe_u32 v13, v6, 27, 4
	v_lshlrev_b32_sdwa v6, v15, v6 dst_sel:DWORD dst_unused:UNUSED_PAD src0_sel:DWORD src1_sel:BYTE_3
	v_sub_u32_e32 v14, 29, v14
	v_and_b32_e32 v6, 7, v6
	v_cmp_eq_u16_e32 vcc, 0, v12
	v_cndmask_b32_e32 v6, v10, v6, vcc
	v_cndmask_b32_e32 v10, v13, v14, vcc
	v_mov_b32_e32 v12, 0x3b800000
	v_lshlrev_b32_e32 v6, 20, v6
	v_lshl_add_u32 v10, v10, 23, v12
	v_or3_b32 v10, v11, v10, v6
.LBB54_668:
	s_or_b64 exec, exec, s[6:7]
	s_movk_i32 s4, 0x7f
	v_cmp_gt_i16_sdwa s[6:7], v2, s4 src0_sel:BYTE_3 src1_sel:DWORD
	s_mov_b64 s[4:5], 0
                                        ; implicit-def: $sgpr10
	s_and_saveexec_b64 s[8:9], s[6:7]
	s_xor_b64 s[6:7], exec, s[8:9]
	s_cbranch_execnz .LBB54_2717
; %bb.669:
	s_or_saveexec_b64 s[6:7], s[6:7]
	v_mov_b32_e32 v6, s10
	s_xor_b64 exec, exec, s[6:7]
	s_cbranch_execnz .LBB54_2720
.LBB54_670:
	s_or_b64 exec, exec, s[6:7]
	s_and_saveexec_b64 s[6:7], s[4:5]
	s_cbranch_execz .LBB54_672
.LBB54_671:
	v_bfe_u32 v6, v2, 24, 3
	v_ffbh_u32_e32 v14, v6
	v_min_u32_e32 v14, 32, v14
	v_lshrrev_b32_e32 v12, 27, v2
	v_subrev_u32_e32 v15, 28, v14
	v_and_b32_e32 v11, 0x80000000, v2
	v_and_b32_e32 v12, 15, v12
	v_bfe_u32 v13, v2, 27, 4
	v_lshlrev_b32_sdwa v2, v15, v2 dst_sel:DWORD dst_unused:UNUSED_PAD src0_sel:DWORD src1_sel:BYTE_3
	v_sub_u32_e32 v14, 29, v14
	v_and_b32_e32 v2, 7, v2
	v_cmp_eq_u16_e32 vcc, 0, v12
	v_cndmask_b32_e32 v2, v6, v2, vcc
	v_cndmask_b32_e32 v6, v13, v14, vcc
	v_mov_b32_e32 v12, 0x3b800000
	v_lshlrev_b32_e32 v2, 20, v2
	v_lshl_add_u32 v6, v6, 23, v12
	v_or3_b32 v6, v11, v6, v2
.LBB54_672:
	s_or_b64 exec, exec, s[6:7]
	s_nop 0
	v_mfma_f32_16x16x4f32 a[0:3], v10, v6, a[0:3]
	s_movk_i32 s4, 0x7f
	v_cmp_gt_i16_sdwa s[6:7], v7, s4 src0_sel:BYTE_0 src1_sel:DWORD
	s_mov_b64 s[4:5], 0
                                        ; implicit-def: $sgpr10
	s_and_saveexec_b64 s[8:9], s[6:7]
	s_xor_b64 s[6:7], exec, s[8:9]
	s_cbranch_execnz .LBB54_2721
; %bb.673:
	s_or_saveexec_b64 s[6:7], s[6:7]
	v_mov_b32_e32 v2, s10
	s_xor_b64 exec, exec, s[6:7]
	s_cbranch_execnz .LBB54_2724
.LBB54_674:
	s_or_b64 exec, exec, s[6:7]
	s_and_saveexec_b64 s[6:7], s[4:5]
	s_cbranch_execz .LBB54_676
.LBB54_675:
	v_and_b32_e32 v2, 7, v7
	v_ffbh_u32_e32 v10, v2
	v_min_u32_e32 v10, 32, v10
	v_lshrrev_b16_e32 v6, 3, v7
	v_subrev_u32_e32 v11, 28, v10
	v_and_b32_e32 v6, 15, v6
	v_lshlrev_b32_e32 v11, v11, v7
	v_sub_u32_e32 v10, 29, v10
	v_and_b32_e32 v11, 7, v11
	v_cmp_eq_u16_e32 vcc, 0, v6
	v_cndmask_b32_e32 v2, v2, v11, vcc
	v_cndmask_b32_e32 v6, v6, v10, vcc
	v_lshlrev_b32_e32 v10, 24, v7
	v_mov_b32_e32 v11, 0x3b800000
	v_lshlrev_b32_e32 v2, 20, v2
	v_and_b32_e32 v10, 0x80000000, v10
	v_lshl_add_u32 v6, v6, 23, v11
	v_or3_b32 v2, v10, v6, v2
.LBB54_676:
	s_or_b64 exec, exec, s[6:7]
	s_movk_i32 s4, 0x7f
	v_cmp_gt_i16_sdwa s[6:7], v3, s4 src0_sel:BYTE_0 src1_sel:DWORD
	s_mov_b64 s[4:5], 0
                                        ; implicit-def: $sgpr10
	s_and_saveexec_b64 s[8:9], s[6:7]
	s_xor_b64 s[6:7], exec, s[8:9]
	s_cbranch_execnz .LBB54_2725
; %bb.677:
	s_or_saveexec_b64 s[6:7], s[6:7]
	v_mov_b32_e32 v6, s10
	s_xor_b64 exec, exec, s[6:7]
	s_cbranch_execnz .LBB54_2728
.LBB54_678:
	s_or_b64 exec, exec, s[6:7]
	s_and_saveexec_b64 s[6:7], s[4:5]
	s_cbranch_execz .LBB54_680
.LBB54_679:
	v_and_b32_e32 v6, 7, v3
	v_ffbh_u32_e32 v11, v6
	v_min_u32_e32 v11, 32, v11
	v_lshrrev_b16_e32 v10, 3, v3
	v_subrev_u32_e32 v12, 28, v11
	v_and_b32_e32 v10, 15, v10
	v_lshlrev_b32_e32 v12, v12, v3
	v_sub_u32_e32 v11, 29, v11
	v_and_b32_e32 v12, 7, v12
	v_cmp_eq_u16_e32 vcc, 0, v10
	v_cndmask_b32_e32 v6, v6, v12, vcc
	v_cndmask_b32_e32 v10, v10, v11, vcc
	v_lshlrev_b32_e32 v11, 24, v3
	v_mov_b32_e32 v12, 0x3b800000
	v_lshlrev_b32_e32 v6, 20, v6
	v_and_b32_e32 v11, 0x80000000, v11
	v_lshl_add_u32 v10, v10, 23, v12
	v_or3_b32 v6, v11, v10, v6
.LBB54_680:
	s_or_b64 exec, exec, s[6:7]
	s_nop 0
	v_mfma_f32_16x16x4f32 a[0:3], v2, v6, a[0:3]
	v_lshrrev_b32_e32 v6, 8, v7
	s_movk_i32 s4, 0x7f
	v_cmp_gt_i16_sdwa s[6:7], v6, s4 src0_sel:BYTE_0 src1_sel:DWORD
	s_mov_b64 s[4:5], 0
                                        ; implicit-def: $sgpr10
	s_and_saveexec_b64 s[8:9], s[6:7]
	s_xor_b64 s[6:7], exec, s[8:9]
	s_cbranch_execnz .LBB54_2729
; %bb.681:
	s_or_saveexec_b64 s[6:7], s[6:7]
	v_mov_b32_e32 v2, s10
	s_xor_b64 exec, exec, s[6:7]
	s_cbranch_execnz .LBB54_2732
.LBB54_682:
	s_or_b64 exec, exec, s[6:7]
	s_and_saveexec_b64 s[6:7], s[4:5]
	s_cbranch_execz .LBB54_684
.LBB54_683:
	v_bfe_u32 v2, v7, 8, 3
	v_ffbh_u32_e32 v11, v2
	v_min_u32_e32 v11, 32, v11
	v_lshrrev_b16_e32 v10, 3, v6
	v_subrev_u32_e32 v12, 28, v11
	v_and_b32_e32 v10, 15, v10
	v_lshlrev_b32_e32 v6, v12, v6
	v_sub_u32_e32 v11, 29, v11
	v_and_b32_e32 v6, 7, v6
	v_cmp_eq_u16_e32 vcc, 0, v10
	v_cndmask_b32_e32 v2, v2, v6, vcc
	v_cndmask_b32_e32 v6, v10, v11, vcc
	v_lshlrev_b32_e32 v10, 16, v7
	v_mov_b32_e32 v11, 0x3b800000
	v_lshlrev_b32_e32 v2, 20, v2
	v_and_b32_e32 v10, 0x80000000, v10
	v_lshl_add_u32 v6, v6, 23, v11
	v_or3_b32 v2, v10, v6, v2
.LBB54_684:
	s_or_b64 exec, exec, s[6:7]
	v_lshrrev_b32_e32 v6, 8, v3
	s_movk_i32 s4, 0x7f
	v_cmp_gt_i16_sdwa s[6:7], v6, s4 src0_sel:BYTE_0 src1_sel:DWORD
	s_mov_b64 s[4:5], 0
                                        ; implicit-def: $sgpr10
	s_and_saveexec_b64 s[8:9], s[6:7]
	s_xor_b64 s[6:7], exec, s[8:9]
	s_cbranch_execnz .LBB54_2733
; %bb.685:
	s_or_saveexec_b64 s[6:7], s[6:7]
	v_mov_b32_e32 v10, s10
	s_xor_b64 exec, exec, s[6:7]
	s_cbranch_execnz .LBB54_2736
.LBB54_686:
	s_or_b64 exec, exec, s[6:7]
	s_and_saveexec_b64 s[6:7], s[4:5]
	s_cbranch_execz .LBB54_688
.LBB54_687:
	v_bfe_u32 v10, v3, 8, 3
	v_ffbh_u32_e32 v12, v10
	v_min_u32_e32 v12, 32, v12
	v_lshrrev_b16_e32 v11, 3, v6
	v_subrev_u32_e32 v13, 28, v12
	v_and_b32_e32 v11, 15, v11
	v_lshlrev_b32_e32 v6, v13, v6
	v_sub_u32_e32 v12, 29, v12
	v_and_b32_e32 v6, 7, v6
	v_cmp_eq_u16_e32 vcc, 0, v11
	v_cndmask_b32_e32 v6, v10, v6, vcc
	v_cndmask_b32_e32 v10, v11, v12, vcc
	v_lshlrev_b32_e32 v11, 16, v3
	v_mov_b32_e32 v12, 0x3b800000
	v_lshlrev_b32_e32 v6, 20, v6
	v_and_b32_e32 v11, 0x80000000, v11
	v_lshl_add_u32 v10, v10, 23, v12
	v_or3_b32 v10, v11, v10, v6
.LBB54_688:
	s_or_b64 exec, exec, s[6:7]
	s_nop 0
	v_mfma_f32_16x16x4f32 a[0:3], v2, v10, a[0:3]
	s_movk_i32 s4, 0xff
	v_and_b32_sdwa v6, v7, s4 dst_sel:DWORD dst_unused:UNUSED_PAD src0_sel:WORD_1 src1_sel:DWORD
	s_movk_i32 s4, 0x7f
	v_cmp_lt_i16_e32 vcc, s4, v6
	s_mov_b64 s[4:5], 0
                                        ; implicit-def: $sgpr10
	s_and_saveexec_b64 s[6:7], vcc
	s_xor_b64 s[6:7], exec, s[6:7]
	s_cbranch_execnz .LBB54_2737
; %bb.689:
	s_or_saveexec_b64 s[6:7], s[6:7]
	v_mov_b32_e32 v2, s10
	s_xor_b64 exec, exec, s[6:7]
	s_cbranch_execnz .LBB54_2740
.LBB54_690:
	s_or_b64 exec, exec, s[6:7]
	s_and_saveexec_b64 s[6:7], s[4:5]
	s_cbranch_execz .LBB54_692
.LBB54_691:
	v_bfe_u32 v2, v7, 16, 3
	v_ffbh_u32_e32 v11, v2
	v_min_u32_e32 v11, 32, v11
	v_lshrrev_b32_e32 v6, 19, v7
	v_subrev_u32_e32 v12, 28, v11
	v_and_b32_e32 v6, 15, v6
	v_lshlrev_b32_sdwa v12, v12, v7 dst_sel:DWORD dst_unused:UNUSED_PAD src0_sel:DWORD src1_sel:WORD_1
	v_bfe_u32 v10, v7, 19, 4
	v_sub_u32_e32 v11, 29, v11
	v_and_b32_e32 v12, 7, v12
	v_cmp_eq_u16_e32 vcc, 0, v6
	v_cndmask_b32_e32 v2, v2, v12, vcc
	v_cndmask_b32_e32 v6, v10, v11, vcc
	v_lshlrev_b32_e32 v10, 8, v7
	v_mov_b32_e32 v11, 0x3b800000
	v_lshlrev_b32_e32 v2, 20, v2
	v_and_b32_e32 v10, 0x80000000, v10
	v_lshl_add_u32 v6, v6, 23, v11
	v_or3_b32 v2, v10, v6, v2
.LBB54_692:
	s_or_b64 exec, exec, s[6:7]
	s_movk_i32 s4, 0xff
	v_and_b32_sdwa v6, v3, s4 dst_sel:DWORD dst_unused:UNUSED_PAD src0_sel:WORD_1 src1_sel:DWORD
	s_movk_i32 s4, 0x7f
	v_cmp_lt_i16_e32 vcc, s4, v6
	s_mov_b64 s[4:5], 0
                                        ; implicit-def: $sgpr10
	s_and_saveexec_b64 s[6:7], vcc
	s_xor_b64 s[6:7], exec, s[6:7]
	s_cbranch_execnz .LBB54_2741
; %bb.693:
	s_or_saveexec_b64 s[6:7], s[6:7]
	v_mov_b32_e32 v10, s10
	s_xor_b64 exec, exec, s[6:7]
	s_cbranch_execnz .LBB54_2744
.LBB54_694:
	s_or_b64 exec, exec, s[6:7]
	s_and_saveexec_b64 s[6:7], s[4:5]
	s_cbranch_execz .LBB54_696
.LBB54_695:
	v_bfe_u32 v6, v3, 16, 3
	v_ffbh_u32_e32 v12, v6
	v_min_u32_e32 v12, 32, v12
	v_lshrrev_b32_e32 v10, 19, v3
	v_subrev_u32_e32 v13, 28, v12
	v_and_b32_e32 v10, 15, v10
	v_lshlrev_b32_sdwa v13, v13, v3 dst_sel:DWORD dst_unused:UNUSED_PAD src0_sel:DWORD src1_sel:WORD_1
	v_bfe_u32 v11, v3, 19, 4
	v_sub_u32_e32 v12, 29, v12
	v_and_b32_e32 v13, 7, v13
	v_cmp_eq_u16_e32 vcc, 0, v10
	v_cndmask_b32_e32 v6, v6, v13, vcc
	v_cndmask_b32_e32 v10, v11, v12, vcc
	v_lshlrev_b32_e32 v11, 8, v3
	v_mov_b32_e32 v12, 0x3b800000
	v_lshlrev_b32_e32 v6, 20, v6
	v_and_b32_e32 v11, 0x80000000, v11
	v_lshl_add_u32 v10, v10, 23, v12
	v_or3_b32 v10, v11, v10, v6
.LBB54_696:
	s_or_b64 exec, exec, s[6:7]
	s_nop 0
	v_mfma_f32_16x16x4f32 a[0:3], v2, v10, a[0:3]
	s_movk_i32 s4, 0x7f
	v_cmp_gt_i16_sdwa s[6:7], v7, s4 src0_sel:BYTE_3 src1_sel:DWORD
	s_mov_b64 s[4:5], 0
                                        ; implicit-def: $sgpr10
	s_and_saveexec_b64 s[8:9], s[6:7]
	s_xor_b64 s[6:7], exec, s[8:9]
	s_cbranch_execnz .LBB54_2745
; %bb.697:
	s_or_saveexec_b64 s[6:7], s[6:7]
	v_mov_b32_e32 v2, s10
	s_xor_b64 exec, exec, s[6:7]
	s_cbranch_execnz .LBB54_2748
.LBB54_698:
	s_or_b64 exec, exec, s[6:7]
	s_and_saveexec_b64 s[6:7], s[4:5]
	s_cbranch_execz .LBB54_700
.LBB54_699:
	v_bfe_u32 v2, v7, 24, 3
	v_ffbh_u32_e32 v12, v2
	v_min_u32_e32 v12, 32, v12
	v_lshrrev_b32_e32 v10, 27, v7
	v_subrev_u32_e32 v13, 28, v12
	v_and_b32_e32 v6, 0x80000000, v7
	v_and_b32_e32 v10, 15, v10
	v_bfe_u32 v11, v7, 27, 4
	v_lshlrev_b32_sdwa v7, v13, v7 dst_sel:DWORD dst_unused:UNUSED_PAD src0_sel:DWORD src1_sel:BYTE_3
	v_sub_u32_e32 v12, 29, v12
	v_and_b32_e32 v7, 7, v7
	v_cmp_eq_u16_e32 vcc, 0, v10
	v_cndmask_b32_e32 v2, v2, v7, vcc
	v_cndmask_b32_e32 v7, v11, v12, vcc
	v_mov_b32_e32 v10, 0x3b800000
	v_lshlrev_b32_e32 v2, 20, v2
	v_lshl_add_u32 v7, v7, 23, v10
	v_or3_b32 v2, v6, v7, v2
.LBB54_700:
	s_or_b64 exec, exec, s[6:7]
	s_movk_i32 s4, 0x7f
	v_cmp_gt_i16_sdwa s[6:7], v3, s4 src0_sel:BYTE_3 src1_sel:DWORD
	s_mov_b64 s[4:5], 0
                                        ; implicit-def: $sgpr10
	s_and_saveexec_b64 s[8:9], s[6:7]
	s_xor_b64 s[6:7], exec, s[8:9]
	s_cbranch_execnz .LBB54_2749
; %bb.701:
	s_or_saveexec_b64 s[6:7], s[6:7]
	v_mov_b32_e32 v6, s10
	s_xor_b64 exec, exec, s[6:7]
	s_cbranch_execnz .LBB54_2752
.LBB54_702:
	s_or_b64 exec, exec, s[6:7]
	s_and_saveexec_b64 s[6:7], s[4:5]
	s_cbranch_execz .LBB54_704
.LBB54_703:
	v_bfe_u32 v6, v3, 24, 3
	v_ffbh_u32_e32 v12, v6
	v_min_u32_e32 v12, 32, v12
	v_lshrrev_b32_e32 v10, 27, v3
	v_subrev_u32_e32 v13, 28, v12
	v_and_b32_e32 v7, 0x80000000, v3
	v_and_b32_e32 v10, 15, v10
	v_bfe_u32 v11, v3, 27, 4
	v_lshlrev_b32_sdwa v3, v13, v3 dst_sel:DWORD dst_unused:UNUSED_PAD src0_sel:DWORD src1_sel:BYTE_3
	v_sub_u32_e32 v12, 29, v12
	v_and_b32_e32 v3, 7, v3
	v_cmp_eq_u16_e32 vcc, 0, v10
	v_cndmask_b32_e32 v3, v6, v3, vcc
	v_cndmask_b32_e32 v6, v11, v12, vcc
	v_mov_b32_e32 v10, 0x3b800000
	v_lshlrev_b32_e32 v3, 20, v3
	v_lshl_add_u32 v6, v6, 23, v10
	v_or3_b32 v6, v7, v6, v3
.LBB54_704:
	s_or_b64 exec, exec, s[6:7]
	s_nop 0
	v_mfma_f32_16x16x4f32 a[0:3], v2, v6, a[0:3]
	s_movk_i32 s4, 0x7f
	v_cmp_gt_i16_sdwa s[6:7], v8, s4 src0_sel:BYTE_0 src1_sel:DWORD
	s_mov_b64 s[4:5], 0
                                        ; implicit-def: $sgpr10
	s_and_saveexec_b64 s[8:9], s[6:7]
	s_xor_b64 s[6:7], exec, s[8:9]
	s_cbranch_execnz .LBB54_2753
; %bb.705:
	s_or_saveexec_b64 s[6:7], s[6:7]
	v_mov_b32_e32 v2, s10
	s_xor_b64 exec, exec, s[6:7]
	s_cbranch_execnz .LBB54_2756
.LBB54_706:
	s_or_b64 exec, exec, s[6:7]
	s_and_saveexec_b64 s[6:7], s[4:5]
	s_cbranch_execz .LBB54_708
.LBB54_707:
	v_and_b32_e32 v2, 7, v8
	v_ffbh_u32_e32 v6, v2
	v_min_u32_e32 v6, 32, v6
	v_lshrrev_b16_e32 v3, 3, v8
	v_subrev_u32_e32 v7, 28, v6
	v_and_b32_e32 v3, 15, v3
	v_lshlrev_b32_e32 v7, v7, v8
	v_sub_u32_e32 v6, 29, v6
	v_and_b32_e32 v7, 7, v7
	v_cmp_eq_u16_e32 vcc, 0, v3
	v_cndmask_b32_e32 v2, v2, v7, vcc
	v_cndmask_b32_e32 v3, v3, v6, vcc
	v_lshlrev_b32_e32 v6, 24, v8
	v_mov_b32_e32 v7, 0x3b800000
	v_lshlrev_b32_e32 v2, 20, v2
	v_and_b32_e32 v6, 0x80000000, v6
	v_lshl_add_u32 v3, v3, 23, v7
	v_or3_b32 v2, v6, v3, v2
.LBB54_708:
	s_or_b64 exec, exec, s[6:7]
	s_movk_i32 s4, 0x7f
	v_cmp_gt_i16_sdwa s[6:7], v4, s4 src0_sel:BYTE_0 src1_sel:DWORD
	s_mov_b64 s[4:5], 0
                                        ; implicit-def: $sgpr10
	s_and_saveexec_b64 s[8:9], s[6:7]
	s_xor_b64 s[6:7], exec, s[8:9]
	s_cbranch_execnz .LBB54_2757
; %bb.709:
	s_or_saveexec_b64 s[6:7], s[6:7]
	v_mov_b32_e32 v3, s10
	s_xor_b64 exec, exec, s[6:7]
	s_cbranch_execnz .LBB54_2760
.LBB54_710:
	s_or_b64 exec, exec, s[6:7]
	s_and_saveexec_b64 s[6:7], s[4:5]
	s_cbranch_execz .LBB54_712
.LBB54_711:
	v_and_b32_e32 v3, 7, v4
	v_ffbh_u32_e32 v7, v3
	v_min_u32_e32 v7, 32, v7
	v_lshrrev_b16_e32 v6, 3, v4
	v_subrev_u32_e32 v10, 28, v7
	v_and_b32_e32 v6, 15, v6
	v_lshlrev_b32_e32 v10, v10, v4
	v_sub_u32_e32 v7, 29, v7
	v_and_b32_e32 v10, 7, v10
	v_cmp_eq_u16_e32 vcc, 0, v6
	v_cndmask_b32_e32 v3, v3, v10, vcc
	v_cndmask_b32_e32 v6, v6, v7, vcc
	v_lshlrev_b32_e32 v7, 24, v4
	v_mov_b32_e32 v10, 0x3b800000
	v_lshlrev_b32_e32 v3, 20, v3
	v_and_b32_e32 v7, 0x80000000, v7
	v_lshl_add_u32 v6, v6, 23, v10
	v_or3_b32 v3, v7, v6, v3
.LBB54_712:
	s_or_b64 exec, exec, s[6:7]
	s_nop 0
	v_mfma_f32_16x16x4f32 a[0:3], v2, v3, a[0:3]
	v_lshrrev_b32_e32 v3, 8, v8
	s_movk_i32 s4, 0x7f
	v_cmp_gt_i16_sdwa s[6:7], v3, s4 src0_sel:BYTE_0 src1_sel:DWORD
	s_mov_b64 s[4:5], 0
                                        ; implicit-def: $sgpr10
	s_and_saveexec_b64 s[8:9], s[6:7]
	s_xor_b64 s[6:7], exec, s[8:9]
	s_cbranch_execnz .LBB54_2761
; %bb.713:
	s_or_saveexec_b64 s[6:7], s[6:7]
	v_mov_b32_e32 v2, s10
	s_xor_b64 exec, exec, s[6:7]
	s_cbranch_execnz .LBB54_2764
.LBB54_714:
	s_or_b64 exec, exec, s[6:7]
	s_and_saveexec_b64 s[6:7], s[4:5]
	s_cbranch_execz .LBB54_716
.LBB54_715:
	v_bfe_u32 v2, v8, 8, 3
	v_ffbh_u32_e32 v7, v2
	v_min_u32_e32 v7, 32, v7
	v_lshrrev_b16_e32 v6, 3, v3
	v_subrev_u32_e32 v10, 28, v7
	v_and_b32_e32 v6, 15, v6
	v_lshlrev_b32_e32 v3, v10, v3
	v_sub_u32_e32 v7, 29, v7
	v_and_b32_e32 v3, 7, v3
	v_cmp_eq_u16_e32 vcc, 0, v6
	v_cndmask_b32_e32 v2, v2, v3, vcc
	v_cndmask_b32_e32 v3, v6, v7, vcc
	v_lshlrev_b32_e32 v6, 16, v8
	v_mov_b32_e32 v7, 0x3b800000
	v_lshlrev_b32_e32 v2, 20, v2
	v_and_b32_e32 v6, 0x80000000, v6
	v_lshl_add_u32 v3, v3, 23, v7
	v_or3_b32 v2, v6, v3, v2
.LBB54_716:
	s_or_b64 exec, exec, s[6:7]
	v_lshrrev_b32_e32 v3, 8, v4
	s_movk_i32 s4, 0x7f
	v_cmp_gt_i16_sdwa s[6:7], v3, s4 src0_sel:BYTE_0 src1_sel:DWORD
	s_mov_b64 s[4:5], 0
                                        ; implicit-def: $sgpr10
	s_and_saveexec_b64 s[8:9], s[6:7]
	s_xor_b64 s[6:7], exec, s[8:9]
	s_cbranch_execnz .LBB54_2765
; %bb.717:
	s_or_saveexec_b64 s[6:7], s[6:7]
	v_mov_b32_e32 v6, s10
	s_xor_b64 exec, exec, s[6:7]
	s_cbranch_execnz .LBB54_2768
.LBB54_718:
	s_or_b64 exec, exec, s[6:7]
	s_and_saveexec_b64 s[6:7], s[4:5]
	s_cbranch_execz .LBB54_720
.LBB54_719:
	v_bfe_u32 v6, v4, 8, 3
	v_ffbh_u32_e32 v10, v6
	v_min_u32_e32 v10, 32, v10
	v_lshrrev_b16_e32 v7, 3, v3
	v_subrev_u32_e32 v11, 28, v10
	v_and_b32_e32 v7, 15, v7
	v_lshlrev_b32_e32 v3, v11, v3
	v_sub_u32_e32 v10, 29, v10
	v_and_b32_e32 v3, 7, v3
	v_cmp_eq_u16_e32 vcc, 0, v7
	v_cndmask_b32_e32 v3, v6, v3, vcc
	v_cndmask_b32_e32 v6, v7, v10, vcc
	v_lshlrev_b32_e32 v7, 16, v4
	v_mov_b32_e32 v10, 0x3b800000
	v_lshlrev_b32_e32 v3, 20, v3
	v_and_b32_e32 v7, 0x80000000, v7
	v_lshl_add_u32 v6, v6, 23, v10
	v_or3_b32 v6, v7, v6, v3
.LBB54_720:
	s_or_b64 exec, exec, s[6:7]
	s_nop 0
	v_mfma_f32_16x16x4f32 a[0:3], v2, v6, a[0:3]
	s_movk_i32 s4, 0xff
	v_and_b32_sdwa v3, v8, s4 dst_sel:DWORD dst_unused:UNUSED_PAD src0_sel:WORD_1 src1_sel:DWORD
	s_movk_i32 s4, 0x7f
	v_cmp_lt_i16_e32 vcc, s4, v3
	s_mov_b64 s[4:5], 0
                                        ; implicit-def: $sgpr10
	s_and_saveexec_b64 s[6:7], vcc
	s_xor_b64 s[6:7], exec, s[6:7]
	s_cbranch_execnz .LBB54_2769
; %bb.721:
	s_or_saveexec_b64 s[6:7], s[6:7]
	v_mov_b32_e32 v2, s10
	s_xor_b64 exec, exec, s[6:7]
	s_cbranch_execnz .LBB54_2772
.LBB54_722:
	s_or_b64 exec, exec, s[6:7]
	s_and_saveexec_b64 s[6:7], s[4:5]
	s_cbranch_execz .LBB54_724
.LBB54_723:
	v_bfe_u32 v2, v8, 16, 3
	v_ffbh_u32_e32 v7, v2
	v_min_u32_e32 v7, 32, v7
	v_lshrrev_b32_e32 v3, 19, v8
	v_subrev_u32_e32 v10, 28, v7
	v_and_b32_e32 v3, 15, v3
	v_lshlrev_b32_sdwa v10, v10, v8 dst_sel:DWORD dst_unused:UNUSED_PAD src0_sel:DWORD src1_sel:WORD_1
	v_bfe_u32 v6, v8, 19, 4
	v_sub_u32_e32 v7, 29, v7
	v_and_b32_e32 v10, 7, v10
	v_cmp_eq_u16_e32 vcc, 0, v3
	v_cndmask_b32_e32 v2, v2, v10, vcc
	v_cndmask_b32_e32 v3, v6, v7, vcc
	v_lshlrev_b32_e32 v6, 8, v8
	v_mov_b32_e32 v7, 0x3b800000
	v_lshlrev_b32_e32 v2, 20, v2
	v_and_b32_e32 v6, 0x80000000, v6
	v_lshl_add_u32 v3, v3, 23, v7
	v_or3_b32 v2, v6, v3, v2
.LBB54_724:
	s_or_b64 exec, exec, s[6:7]
	s_movk_i32 s4, 0xff
	v_and_b32_sdwa v3, v4, s4 dst_sel:DWORD dst_unused:UNUSED_PAD src0_sel:WORD_1 src1_sel:DWORD
	s_movk_i32 s4, 0x7f
	v_cmp_lt_i16_e32 vcc, s4, v3
	s_mov_b64 s[4:5], 0
                                        ; implicit-def: $sgpr10
	s_and_saveexec_b64 s[6:7], vcc
	s_xor_b64 s[6:7], exec, s[6:7]
	s_cbranch_execnz .LBB54_2773
; %bb.725:
	s_or_saveexec_b64 s[6:7], s[6:7]
	v_mov_b32_e32 v6, s10
	s_xor_b64 exec, exec, s[6:7]
	s_cbranch_execnz .LBB54_2776
.LBB54_726:
	s_or_b64 exec, exec, s[6:7]
	s_and_saveexec_b64 s[6:7], s[4:5]
	s_cbranch_execz .LBB54_728
.LBB54_727:
	v_bfe_u32 v3, v4, 16, 3
	v_ffbh_u32_e32 v10, v3
	v_min_u32_e32 v10, 32, v10
	v_lshrrev_b32_e32 v6, 19, v4
	v_subrev_u32_e32 v11, 28, v10
	v_and_b32_e32 v6, 15, v6
	v_lshlrev_b32_sdwa v11, v11, v4 dst_sel:DWORD dst_unused:UNUSED_PAD src0_sel:DWORD src1_sel:WORD_1
	v_bfe_u32 v7, v4, 19, 4
	v_sub_u32_e32 v10, 29, v10
	v_and_b32_e32 v11, 7, v11
	v_cmp_eq_u16_e32 vcc, 0, v6
	v_cndmask_b32_e32 v3, v3, v11, vcc
	v_cndmask_b32_e32 v6, v7, v10, vcc
	v_lshlrev_b32_e32 v7, 8, v4
	v_mov_b32_e32 v10, 0x3b800000
	v_lshlrev_b32_e32 v3, 20, v3
	v_and_b32_e32 v7, 0x80000000, v7
	v_lshl_add_u32 v6, v6, 23, v10
	v_or3_b32 v6, v7, v6, v3
.LBB54_728:
	s_or_b64 exec, exec, s[6:7]
	s_nop 0
	v_mfma_f32_16x16x4f32 a[0:3], v2, v6, a[0:3]
	s_movk_i32 s4, 0x7f
	v_cmp_gt_i16_sdwa s[6:7], v8, s4 src0_sel:BYTE_3 src1_sel:DWORD
	s_mov_b64 s[4:5], 0
                                        ; implicit-def: $sgpr10
	s_and_saveexec_b64 s[8:9], s[6:7]
	s_xor_b64 s[6:7], exec, s[8:9]
	s_cbranch_execnz .LBB54_2777
; %bb.729:
	s_or_saveexec_b64 s[6:7], s[6:7]
	v_mov_b32_e32 v2, s10
	s_xor_b64 exec, exec, s[6:7]
	s_cbranch_execnz .LBB54_2780
.LBB54_730:
	s_or_b64 exec, exec, s[6:7]
	s_and_saveexec_b64 s[6:7], s[4:5]
	s_cbranch_execz .LBB54_732
.LBB54_731:
	v_bfe_u32 v2, v8, 24, 3
	v_ffbh_u32_e32 v10, v2
	v_min_u32_e32 v10, 32, v10
	v_lshrrev_b32_e32 v6, 27, v8
	v_subrev_u32_e32 v11, 28, v10
	v_and_b32_e32 v3, 0x80000000, v8
	v_and_b32_e32 v6, 15, v6
	v_bfe_u32 v7, v8, 27, 4
	v_lshlrev_b32_sdwa v8, v11, v8 dst_sel:DWORD dst_unused:UNUSED_PAD src0_sel:DWORD src1_sel:BYTE_3
	v_sub_u32_e32 v10, 29, v10
	v_and_b32_e32 v8, 7, v8
	v_cmp_eq_u16_e32 vcc, 0, v6
	v_cndmask_b32_e32 v2, v2, v8, vcc
	v_cndmask_b32_e32 v6, v7, v10, vcc
	v_mov_b32_e32 v7, 0x3b800000
	v_lshlrev_b32_e32 v2, 20, v2
	v_lshl_add_u32 v6, v6, 23, v7
	v_or3_b32 v2, v3, v6, v2
.LBB54_732:
	s_or_b64 exec, exec, s[6:7]
	s_movk_i32 s4, 0x7f
	v_cmp_gt_i16_sdwa s[6:7], v4, s4 src0_sel:BYTE_3 src1_sel:DWORD
	s_mov_b64 s[4:5], 0
                                        ; implicit-def: $sgpr10
	s_and_saveexec_b64 s[8:9], s[6:7]
	s_xor_b64 s[6:7], exec, s[8:9]
	s_cbranch_execnz .LBB54_2781
; %bb.733:
	s_or_saveexec_b64 s[6:7], s[6:7]
	v_mov_b32_e32 v3, s10
	s_xor_b64 exec, exec, s[6:7]
	s_cbranch_execnz .LBB54_2784
.LBB54_734:
	s_or_b64 exec, exec, s[6:7]
	s_and_saveexec_b64 s[6:7], s[4:5]
	s_cbranch_execz .LBB54_736
.LBB54_735:
	v_bfe_u32 v3, v4, 24, 3
	v_ffbh_u32_e32 v10, v3
	v_min_u32_e32 v10, 32, v10
	v_lshrrev_b32_e32 v7, 27, v4
	v_subrev_u32_e32 v11, 28, v10
	v_and_b32_e32 v6, 0x80000000, v4
	v_and_b32_e32 v7, 15, v7
	v_bfe_u32 v8, v4, 27, 4
	v_lshlrev_b32_sdwa v4, v11, v4 dst_sel:DWORD dst_unused:UNUSED_PAD src0_sel:DWORD src1_sel:BYTE_3
	v_sub_u32_e32 v10, 29, v10
	v_and_b32_e32 v4, 7, v4
	v_cmp_eq_u16_e32 vcc, 0, v7
	v_cndmask_b32_e32 v3, v3, v4, vcc
	v_cndmask_b32_e32 v4, v8, v10, vcc
	v_mov_b32_e32 v7, 0x3b800000
	v_lshlrev_b32_e32 v3, 20, v3
	v_lshl_add_u32 v4, v4, 23, v7
	v_or3_b32 v3, v6, v4, v3
.LBB54_736:
	s_or_b64 exec, exec, s[6:7]
	s_nop 0
	v_mfma_f32_16x16x4f32 a[0:3], v2, v3, a[0:3]
	s_movk_i32 s4, 0x7f
	v_cmp_gt_i16_sdwa s[6:7], v9, s4 src0_sel:BYTE_0 src1_sel:DWORD
	s_mov_b64 s[4:5], 0
                                        ; implicit-def: $sgpr10
	s_and_saveexec_b64 s[8:9], s[6:7]
	s_xor_b64 s[6:7], exec, s[8:9]
	s_cbranch_execnz .LBB54_2785
; %bb.737:
	s_or_saveexec_b64 s[6:7], s[6:7]
	v_mov_b32_e32 v2, s10
	s_xor_b64 exec, exec, s[6:7]
	s_cbranch_execnz .LBB54_2788
.LBB54_738:
	s_or_b64 exec, exec, s[6:7]
	s_and_saveexec_b64 s[6:7], s[4:5]
	s_cbranch_execz .LBB54_740
.LBB54_739:
	v_mov_b32_e32 v2, 8
	v_and_b32_e32 v3, 7, v9
	v_lshrrev_b32_sdwa v2, v2, v9 dst_sel:BYTE_1 dst_unused:UNUSED_PAD src0_sel:DWORD src1_sel:DWORD
	v_ffbh_u32_e32 v4, v3
	v_or_b32_sdwa v2, v9, v2 dst_sel:DWORD dst_unused:UNUSED_PAD src0_sel:BYTE_0 src1_sel:DWORD
	v_min_u32_e32 v4, 32, v4
	v_lshrrev_b16_e32 v2, 3, v2
	v_subrev_u32_e32 v6, 28, v4
	v_and_b32_e32 v2, 15, v2
	v_lshlrev_b32_e32 v6, v6, v9
	v_sub_u32_e32 v4, 29, v4
	v_and_b32_e32 v6, 7, v6
	v_cmp_eq_u16_e32 vcc, 0, v2
	v_cndmask_b32_e32 v3, v3, v6, vcc
	v_cndmask_b32_e32 v2, v2, v4, vcc
	v_lshlrev_b32_e32 v4, 24, v9
	v_mov_b32_e32 v6, 0x3b800000
	v_lshlrev_b32_e32 v3, 20, v3
	v_and_b32_e32 v4, 0x80000000, v4
	v_lshl_add_u32 v2, v2, 23, v6
	v_or3_b32 v2, v4, v2, v3
.LBB54_740:
	s_or_b64 exec, exec, s[6:7]
	s_movk_i32 s4, 0x7f
	v_cmp_gt_i16_sdwa s[6:7], v5, s4 src0_sel:BYTE_0 src1_sel:DWORD
	s_mov_b64 s[4:5], 0
                                        ; implicit-def: $sgpr10
	s_and_saveexec_b64 s[8:9], s[6:7]
	s_xor_b64 s[6:7], exec, s[8:9]
	s_cbranch_execnz .LBB54_2789
; %bb.741:
	s_or_saveexec_b64 s[6:7], s[6:7]
	v_mov_b32_e32 v3, s10
	s_xor_b64 exec, exec, s[6:7]
	s_cbranch_execnz .LBB54_2792
.LBB54_742:
	s_or_b64 exec, exec, s[6:7]
	s_and_saveexec_b64 s[6:7], s[4:5]
	s_cbranch_execz .LBB54_744
.LBB54_743:
	v_mov_b32_e32 v3, 8
	v_and_b32_e32 v4, 7, v5
	v_lshrrev_b32_sdwa v3, v3, v5 dst_sel:BYTE_1 dst_unused:UNUSED_PAD src0_sel:DWORD src1_sel:DWORD
	v_ffbh_u32_e32 v6, v4
	v_or_b32_sdwa v3, v5, v3 dst_sel:DWORD dst_unused:UNUSED_PAD src0_sel:BYTE_0 src1_sel:DWORD
	v_min_u32_e32 v6, 32, v6
	v_lshrrev_b16_e32 v3, 3, v3
	v_subrev_u32_e32 v7, 28, v6
	v_and_b32_e32 v3, 15, v3
	v_lshlrev_b32_e32 v7, v7, v5
	v_sub_u32_e32 v6, 29, v6
	v_and_b32_e32 v7, 7, v7
	v_cmp_eq_u16_e32 vcc, 0, v3
	v_cndmask_b32_e32 v4, v4, v7, vcc
	v_cndmask_b32_e32 v3, v3, v6, vcc
	v_lshlrev_b32_e32 v6, 24, v5
	v_mov_b32_e32 v7, 0x3b800000
	v_lshlrev_b32_e32 v4, 20, v4
	v_and_b32_e32 v6, 0x80000000, v6
	v_lshl_add_u32 v3, v3, 23, v7
	v_or3_b32 v3, v6, v3, v4
.LBB54_744:
	s_or_b64 exec, exec, s[6:7]
	s_nop 0
	v_mfma_f32_16x16x4f32 a[0:3], v2, v3, a[0:3]
	v_lshrrev_b32_e32 v3, 8, v9
	s_movk_i32 s4, 0x7f
	v_cmp_gt_i16_sdwa s[6:7], v3, s4 src0_sel:BYTE_0 src1_sel:DWORD
	s_mov_b64 s[4:5], 0
                                        ; implicit-def: $sgpr10
	s_and_saveexec_b64 s[8:9], s[6:7]
	s_xor_b64 s[6:7], exec, s[8:9]
	s_cbranch_execnz .LBB54_2793
; %bb.745:
	s_or_saveexec_b64 s[6:7], s[6:7]
	v_mov_b32_e32 v2, s10
	s_xor_b64 exec, exec, s[6:7]
	s_cbranch_execnz .LBB54_2796
.LBB54_746:
	s_or_b64 exec, exec, s[6:7]
	s_and_saveexec_b64 s[6:7], s[4:5]
	s_cbranch_execz .LBB54_748
.LBB54_747:
	v_bfe_u32 v2, v9, 8, 3
	v_ffbh_u32_e32 v6, v2
	v_min_u32_e32 v6, 32, v6
	v_lshrrev_b16_e32 v4, 3, v3
	v_subrev_u32_e32 v7, 28, v6
	v_and_b32_e32 v4, 15, v4
	v_lshlrev_b32_e32 v3, v7, v3
	v_sub_u32_e32 v6, 29, v6
	v_and_b32_e32 v3, 7, v3
	v_cmp_eq_u16_e32 vcc, 0, v4
	v_cndmask_b32_e32 v2, v2, v3, vcc
	v_cndmask_b32_e32 v3, v4, v6, vcc
	v_lshlrev_b32_e32 v4, 16, v9
	v_mov_b32_e32 v6, 0x3b800000
	v_lshlrev_b32_e32 v2, 20, v2
	v_and_b32_e32 v4, 0x80000000, v4
	v_lshl_add_u32 v3, v3, 23, v6
	v_or3_b32 v2, v4, v3, v2
.LBB54_748:
	s_or_b64 exec, exec, s[6:7]
	v_lshrrev_b32_e32 v3, 8, v5
	s_movk_i32 s4, 0x7f
	v_cmp_gt_i16_sdwa s[6:7], v3, s4 src0_sel:BYTE_0 src1_sel:DWORD
	s_mov_b64 s[4:5], 0
                                        ; implicit-def: $sgpr10
	s_and_saveexec_b64 s[8:9], s[6:7]
	s_xor_b64 s[6:7], exec, s[8:9]
	s_cbranch_execnz .LBB54_2797
; %bb.749:
	s_or_saveexec_b64 s[6:7], s[6:7]
	v_mov_b32_e32 v4, s10
	s_xor_b64 exec, exec, s[6:7]
	s_cbranch_execnz .LBB54_2800
.LBB54_750:
	s_or_b64 exec, exec, s[6:7]
	s_and_saveexec_b64 s[6:7], s[4:5]
	s_cbranch_execz .LBB54_752
.LBB54_751:
	v_bfe_u32 v4, v5, 8, 3
	v_ffbh_u32_e32 v7, v4
	v_min_u32_e32 v7, 32, v7
	v_lshrrev_b16_e32 v6, 3, v3
	v_subrev_u32_e32 v8, 28, v7
	v_and_b32_e32 v6, 15, v6
	v_lshlrev_b32_e32 v3, v8, v3
	v_sub_u32_e32 v7, 29, v7
	v_and_b32_e32 v3, 7, v3
	v_cmp_eq_u16_e32 vcc, 0, v6
	v_cndmask_b32_e32 v3, v4, v3, vcc
	v_cndmask_b32_e32 v4, v6, v7, vcc
	v_lshlrev_b32_e32 v6, 16, v5
	v_mov_b32_e32 v7, 0x3b800000
	v_lshlrev_b32_e32 v3, 20, v3
	v_and_b32_e32 v6, 0x80000000, v6
	v_lshl_add_u32 v4, v4, 23, v7
	v_or3_b32 v4, v6, v4, v3
.LBB54_752:
	s_or_b64 exec, exec, s[6:7]
	s_nop 0
	v_mfma_f32_16x16x4f32 a[0:3], v2, v4, a[0:3]
	s_movk_i32 s4, 0xff
	v_and_b32_sdwa v3, v9, s4 dst_sel:DWORD dst_unused:UNUSED_PAD src0_sel:WORD_1 src1_sel:DWORD
	s_movk_i32 s4, 0x7f
	v_cmp_lt_i16_e32 vcc, s4, v3
	s_mov_b64 s[4:5], 0
                                        ; implicit-def: $sgpr10
	s_and_saveexec_b64 s[6:7], vcc
	s_xor_b64 s[6:7], exec, s[6:7]
	s_cbranch_execnz .LBB54_2801
; %bb.753:
	s_or_saveexec_b64 s[6:7], s[6:7]
	v_mov_b32_e32 v2, s10
	s_xor_b64 exec, exec, s[6:7]
	s_cbranch_execnz .LBB54_2804
.LBB54_754:
	s_or_b64 exec, exec, s[6:7]
	s_and_saveexec_b64 s[6:7], s[4:5]
	s_cbranch_execz .LBB54_756
.LBB54_755:
	v_bfe_u32 v2, v9, 16, 3
	v_ffbh_u32_e32 v6, v2
	v_min_u32_e32 v6, 32, v6
	v_lshrrev_b32_e32 v3, 19, v9
	v_subrev_u32_e32 v7, 28, v6
	v_and_b32_e32 v3, 15, v3
	v_lshlrev_b32_sdwa v7, v7, v9 dst_sel:DWORD dst_unused:UNUSED_PAD src0_sel:DWORD src1_sel:WORD_1
	v_bfe_u32 v4, v9, 19, 4
	v_sub_u32_e32 v6, 29, v6
	v_and_b32_e32 v7, 7, v7
	v_cmp_eq_u16_e32 vcc, 0, v3
	v_cndmask_b32_e32 v2, v2, v7, vcc
	v_cndmask_b32_e32 v3, v4, v6, vcc
	v_lshlrev_b32_e32 v4, 8, v9
	v_mov_b32_e32 v6, 0x3b800000
	v_lshlrev_b32_e32 v2, 20, v2
	v_and_b32_e32 v4, 0x80000000, v4
	v_lshl_add_u32 v3, v3, 23, v6
	v_or3_b32 v2, v4, v3, v2
.LBB54_756:
	s_or_b64 exec, exec, s[6:7]
	s_movk_i32 s4, 0xff
	v_and_b32_sdwa v3, v5, s4 dst_sel:DWORD dst_unused:UNUSED_PAD src0_sel:WORD_1 src1_sel:DWORD
	s_movk_i32 s4, 0x7f
	v_cmp_lt_i16_e32 vcc, s4, v3
	s_mov_b64 s[4:5], 0
                                        ; implicit-def: $sgpr10
	s_and_saveexec_b64 s[6:7], vcc
	s_xor_b64 s[6:7], exec, s[6:7]
	s_cbranch_execnz .LBB54_2805
; %bb.757:
	s_or_saveexec_b64 s[6:7], s[6:7]
	v_mov_b32_e32 v4, s10
	s_xor_b64 exec, exec, s[6:7]
	s_cbranch_execnz .LBB54_2808
.LBB54_758:
	s_or_b64 exec, exec, s[6:7]
	s_and_saveexec_b64 s[6:7], s[4:5]
	s_cbranch_execz .LBB54_760
.LBB54_759:
	v_bfe_u32 v3, v5, 16, 3
	v_ffbh_u32_e32 v7, v3
	v_min_u32_e32 v7, 32, v7
	v_lshrrev_b32_e32 v4, 19, v5
	v_subrev_u32_e32 v8, 28, v7
	v_and_b32_e32 v4, 15, v4
	v_lshlrev_b32_sdwa v8, v8, v5 dst_sel:DWORD dst_unused:UNUSED_PAD src0_sel:DWORD src1_sel:WORD_1
	v_bfe_u32 v6, v5, 19, 4
	v_sub_u32_e32 v7, 29, v7
	v_and_b32_e32 v8, 7, v8
	v_cmp_eq_u16_e32 vcc, 0, v4
	v_cndmask_b32_e32 v3, v3, v8, vcc
	v_cndmask_b32_e32 v4, v6, v7, vcc
	v_lshlrev_b32_e32 v6, 8, v5
	v_mov_b32_e32 v7, 0x3b800000
	v_lshlrev_b32_e32 v3, 20, v3
	v_and_b32_e32 v6, 0x80000000, v6
	v_lshl_add_u32 v4, v4, 23, v7
	v_or3_b32 v4, v6, v4, v3
.LBB54_760:
	s_or_b64 exec, exec, s[6:7]
	s_nop 0
	v_mfma_f32_16x16x4f32 a[0:3], v2, v4, a[0:3]
	s_movk_i32 s4, 0x7f
	v_cmp_gt_i16_sdwa s[6:7], v9, s4 src0_sel:BYTE_3 src1_sel:DWORD
	s_mov_b64 s[4:5], 0
                                        ; implicit-def: $sgpr10
	s_and_saveexec_b64 s[8:9], s[6:7]
	s_xor_b64 s[6:7], exec, s[8:9]
	s_cbranch_execnz .LBB54_2809
; %bb.761:
	s_or_saveexec_b64 s[6:7], s[6:7]
	v_mov_b32_e32 v2, s10
	s_xor_b64 exec, exec, s[6:7]
	s_cbranch_execnz .LBB54_2812
.LBB54_762:
	s_or_b64 exec, exec, s[6:7]
	s_and_saveexec_b64 s[6:7], s[4:5]
	s_cbranch_execz .LBB54_764
.LBB54_763:
	v_bfe_u32 v2, v9, 24, 3
	v_ffbh_u32_e32 v7, v2
	v_min_u32_e32 v7, 32, v7
	v_lshrrev_b32_e32 v4, 27, v9
	v_subrev_u32_e32 v8, 28, v7
	v_and_b32_e32 v4, 15, v4
	v_lshlrev_b32_sdwa v8, v8, v9 dst_sel:DWORD dst_unused:UNUSED_PAD src0_sel:DWORD src1_sel:BYTE_3
	v_bfe_u32 v6, v9, 27, 4
	v_sub_u32_e32 v7, 29, v7
	v_and_b32_e32 v8, 7, v8
	v_cmp_eq_u16_e32 vcc, 0, v4
	v_cndmask_b32_e32 v2, v2, v8, vcc
	v_cndmask_b32_e32 v4, v6, v7, vcc
	v_mov_b32_e32 v6, 0x3b800000
	v_and_b32_e32 v3, 0x80000000, v9
	v_lshlrev_b32_e32 v2, 20, v2
	v_lshl_add_u32 v4, v4, 23, v6
	v_or3_b32 v2, v3, v4, v2
.LBB54_764:
	s_or_b64 exec, exec, s[6:7]
	s_movk_i32 s4, 0x7f
	v_cmp_gt_i16_sdwa s[6:7], v5, s4 src0_sel:BYTE_3 src1_sel:DWORD
	s_mov_b64 s[4:5], 0
                                        ; implicit-def: $sgpr10
	s_and_saveexec_b64 s[8:9], s[6:7]
	s_xor_b64 s[6:7], exec, s[8:9]
	s_cbranch_execnz .LBB54_2813
; %bb.765:
	s_or_saveexec_b64 s[6:7], s[6:7]
	v_mov_b32_e32 v3, s10
	s_xor_b64 exec, exec, s[6:7]
	s_cbranch_execnz .LBB54_2816
.LBB54_766:
	s_or_b64 exec, exec, s[6:7]
	s_and_saveexec_b64 s[6:7], s[4:5]
	s_cbranch_execz .LBB54_768
.LBB54_767:
	v_bfe_u32 v3, v5, 24, 3
	v_ffbh_u32_e32 v8, v3
	v_min_u32_e32 v8, 32, v8
	v_lshrrev_b32_e32 v6, 27, v5
	v_subrev_u32_e32 v9, 28, v8
	v_and_b32_e32 v4, 0x80000000, v5
	v_and_b32_e32 v6, 15, v6
	v_bfe_u32 v7, v5, 27, 4
	v_lshlrev_b32_sdwa v5, v9, v5 dst_sel:DWORD dst_unused:UNUSED_PAD src0_sel:DWORD src1_sel:BYTE_3
	v_sub_u32_e32 v8, 29, v8
	v_and_b32_e32 v5, 7, v5
	v_cmp_eq_u16_e32 vcc, 0, v6
	v_cndmask_b32_e32 v3, v3, v5, vcc
	v_cndmask_b32_e32 v5, v7, v8, vcc
	v_mov_b32_e32 v6, 0x3b800000
	v_lshlrev_b32_e32 v3, 20, v3
	v_lshl_add_u32 v5, v5, 23, v6
	v_or3_b32 v3, v4, v5, v3
.LBB54_768:
	s_or_b64 exec, exec, s[6:7]
	s_nop 0
	v_mfma_f32_16x16x4f32 a[0:3], v2, v3, a[0:3]
	s_movk_i32 s4, 0x7f
                                        ; implicit-def: $sgpr10
	s_nop 7
	s_nop 1
	flat_store_dwordx4 v[18:19], a[0:3] offset:288
	flat_load_dwordx4 v[20:23], v[0:1] offset:8
	s_nop 0
	flat_load_dwordx2 v[18:19], v[0:1] offset:24
	s_waitcnt vmcnt(0) lgkmcnt(0)
	flat_load_dwordx4 v[14:17], v[20:21]
	flat_load_dwordx4 v[6:9], v[20:21] offset:16
	flat_load_dwordx4 v[10:13], v[22:23] offset:352
	;; [unrolled: 1-line block ×3, first 2 shown]
	s_waitcnt vmcnt(0) lgkmcnt(0)
	v_cmp_gt_i16_sdwa s[6:7], v14, s4 src0_sel:BYTE_0 src1_sel:DWORD
	s_mov_b64 s[4:5], 0
	s_and_saveexec_b64 s[8:9], s[6:7]
	s_xor_b64 s[6:7], exec, s[8:9]
	s_cbranch_execnz .LBB54_2817
; %bb.769:
	s_or_saveexec_b64 s[6:7], s[6:7]
	v_mov_b32_e32 v20, s10
	s_xor_b64 exec, exec, s[6:7]
	s_cbranch_execnz .LBB54_2820
.LBB54_770:
	s_or_b64 exec, exec, s[6:7]
	s_and_saveexec_b64 s[6:7], s[4:5]
	s_cbranch_execz .LBB54_772
.LBB54_771:
	v_and_b32_e32 v20, 7, v14
	v_ffbh_u32_e32 v22, v20
	v_min_u32_e32 v22, 32, v22
	v_lshrrev_b16_e32 v21, 3, v14
	v_subrev_u32_e32 v23, 28, v22
	v_and_b32_e32 v21, 15, v21
	v_lshlrev_b32_e32 v23, v23, v14
	v_sub_u32_e32 v22, 29, v22
	v_and_b32_e32 v23, 7, v23
	v_cmp_eq_u16_e32 vcc, 0, v21
	v_cndmask_b32_e32 v20, v20, v23, vcc
	v_cndmask_b32_e32 v21, v21, v22, vcc
	v_lshlrev_b32_e32 v22, 24, v14
	v_mov_b32_e32 v23, 0x3b800000
	v_lshlrev_b32_e32 v20, 20, v20
	v_and_b32_e32 v22, 0x80000000, v22
	v_lshl_add_u32 v21, v21, 23, v23
	v_or3_b32 v20, v22, v21, v20
.LBB54_772:
	s_or_b64 exec, exec, s[6:7]
	s_movk_i32 s4, 0x7f
	v_cmp_gt_i16_sdwa s[6:7], v10, s4 src0_sel:BYTE_0 src1_sel:DWORD
	s_mov_b64 s[4:5], 0
                                        ; implicit-def: $sgpr10
	s_and_saveexec_b64 s[8:9], s[6:7]
	s_xor_b64 s[6:7], exec, s[8:9]
	s_cbranch_execnz .LBB54_2821
; %bb.773:
	s_or_saveexec_b64 s[6:7], s[6:7]
	v_mov_b32_e32 v21, s10
	s_xor_b64 exec, exec, s[6:7]
	s_cbranch_execnz .LBB54_2824
.LBB54_774:
	s_or_b64 exec, exec, s[6:7]
	s_and_saveexec_b64 s[6:7], s[4:5]
	s_cbranch_execz .LBB54_776
.LBB54_775:
	v_and_b32_e32 v21, 7, v10
	v_ffbh_u32_e32 v23, v21
	v_min_u32_e32 v23, 32, v23
	v_lshrrev_b16_e32 v22, 3, v10
	v_subrev_u32_e32 v24, 28, v23
	v_and_b32_e32 v22, 15, v22
	v_lshlrev_b32_e32 v24, v24, v10
	v_sub_u32_e32 v23, 29, v23
	v_and_b32_e32 v24, 7, v24
	v_cmp_eq_u16_e32 vcc, 0, v22
	v_cndmask_b32_e32 v21, v21, v24, vcc
	v_cndmask_b32_e32 v22, v22, v23, vcc
	v_lshlrev_b32_e32 v23, 24, v10
	v_mov_b32_e32 v24, 0x3b800000
	v_lshlrev_b32_e32 v21, 20, v21
	v_and_b32_e32 v23, 0x80000000, v23
	v_lshl_add_u32 v22, v22, 23, v24
	v_or3_b32 v21, v23, v22, v21
.LBB54_776:
	s_or_b64 exec, exec, s[6:7]
	flat_load_dwordx4 a[0:3], v[18:19] offset:304
	s_movk_i32 s4, 0x7f
                                        ; implicit-def: $sgpr10
	s_waitcnt vmcnt(0) lgkmcnt(0)
	v_mfma_f32_16x16x4f32 a[0:3], v20, v21, a[0:3]
	v_lshrrev_b32_e32 v21, 8, v14
	v_cmp_gt_i16_sdwa s[6:7], v21, s4 src0_sel:BYTE_0 src1_sel:DWORD
	s_mov_b64 s[4:5], 0
	s_and_saveexec_b64 s[8:9], s[6:7]
	s_xor_b64 s[6:7], exec, s[8:9]
	s_cbranch_execnz .LBB54_2825
; %bb.777:
	s_or_saveexec_b64 s[6:7], s[6:7]
	v_mov_b32_e32 v20, s10
	s_xor_b64 exec, exec, s[6:7]
	s_cbranch_execnz .LBB54_2828
.LBB54_778:
	s_or_b64 exec, exec, s[6:7]
	s_and_saveexec_b64 s[6:7], s[4:5]
	s_cbranch_execz .LBB54_780
.LBB54_779:
	v_bfe_u32 v20, v14, 8, 3
	v_ffbh_u32_e32 v23, v20
	v_min_u32_e32 v23, 32, v23
	v_lshrrev_b16_e32 v22, 3, v21
	v_subrev_u32_e32 v24, 28, v23
	v_and_b32_e32 v22, 15, v22
	v_lshlrev_b32_e32 v21, v24, v21
	v_sub_u32_e32 v23, 29, v23
	v_and_b32_e32 v21, 7, v21
	v_cmp_eq_u16_e32 vcc, 0, v22
	v_cndmask_b32_e32 v20, v20, v21, vcc
	v_cndmask_b32_e32 v21, v22, v23, vcc
	v_lshlrev_b32_e32 v22, 16, v14
	v_mov_b32_e32 v23, 0x3b800000
	v_lshlrev_b32_e32 v20, 20, v20
	v_and_b32_e32 v22, 0x80000000, v22
	v_lshl_add_u32 v21, v21, 23, v23
	v_or3_b32 v20, v22, v21, v20
.LBB54_780:
	s_or_b64 exec, exec, s[6:7]
	v_lshrrev_b32_e32 v21, 8, v10
	s_movk_i32 s4, 0x7f
	v_cmp_gt_i16_sdwa s[6:7], v21, s4 src0_sel:BYTE_0 src1_sel:DWORD
	s_mov_b64 s[4:5], 0
                                        ; implicit-def: $sgpr10
	s_and_saveexec_b64 s[8:9], s[6:7]
	s_xor_b64 s[6:7], exec, s[8:9]
	s_cbranch_execnz .LBB54_2829
; %bb.781:
	s_or_saveexec_b64 s[6:7], s[6:7]
	v_mov_b32_e32 v22, s10
	s_xor_b64 exec, exec, s[6:7]
	s_cbranch_execnz .LBB54_2832
.LBB54_782:
	s_or_b64 exec, exec, s[6:7]
	s_and_saveexec_b64 s[6:7], s[4:5]
	s_cbranch_execz .LBB54_784
.LBB54_783:
	v_bfe_u32 v22, v10, 8, 3
	v_ffbh_u32_e32 v24, v22
	v_min_u32_e32 v24, 32, v24
	v_lshrrev_b16_e32 v23, 3, v21
	v_subrev_u32_e32 v25, 28, v24
	v_and_b32_e32 v23, 15, v23
	v_lshlrev_b32_e32 v21, v25, v21
	v_sub_u32_e32 v24, 29, v24
	v_and_b32_e32 v21, 7, v21
	v_cmp_eq_u16_e32 vcc, 0, v23
	v_cndmask_b32_e32 v21, v22, v21, vcc
	v_cndmask_b32_e32 v22, v23, v24, vcc
	v_lshlrev_b32_e32 v23, 16, v10
	v_mov_b32_e32 v24, 0x3b800000
	v_lshlrev_b32_e32 v21, 20, v21
	v_and_b32_e32 v23, 0x80000000, v23
	v_lshl_add_u32 v22, v22, 23, v24
	v_or3_b32 v22, v23, v22, v21
.LBB54_784:
	s_or_b64 exec, exec, s[6:7]
	s_nop 0
	v_mfma_f32_16x16x4f32 a[0:3], v20, v22, a[0:3]
	s_movk_i32 s4, 0xff
	v_and_b32_sdwa v21, v14, s4 dst_sel:DWORD dst_unused:UNUSED_PAD src0_sel:WORD_1 src1_sel:DWORD
	s_movk_i32 s4, 0x7f
	v_cmp_lt_i16_e32 vcc, s4, v21
	s_mov_b64 s[4:5], 0
                                        ; implicit-def: $sgpr10
	s_and_saveexec_b64 s[6:7], vcc
	s_xor_b64 s[6:7], exec, s[6:7]
	s_cbranch_execnz .LBB54_2833
; %bb.785:
	s_or_saveexec_b64 s[6:7], s[6:7]
	v_mov_b32_e32 v20, s10
	s_xor_b64 exec, exec, s[6:7]
	s_cbranch_execnz .LBB54_2836
.LBB54_786:
	s_or_b64 exec, exec, s[6:7]
	s_and_saveexec_b64 s[6:7], s[4:5]
	s_cbranch_execz .LBB54_788
.LBB54_787:
	v_bfe_u32 v20, v14, 16, 3
	v_ffbh_u32_e32 v23, v20
	v_min_u32_e32 v23, 32, v23
	v_lshrrev_b32_e32 v21, 19, v14
	v_subrev_u32_e32 v24, 28, v23
	v_and_b32_e32 v21, 15, v21
	v_lshlrev_b32_sdwa v24, v24, v14 dst_sel:DWORD dst_unused:UNUSED_PAD src0_sel:DWORD src1_sel:WORD_1
	v_bfe_u32 v22, v14, 19, 4
	v_sub_u32_e32 v23, 29, v23
	v_and_b32_e32 v24, 7, v24
	v_cmp_eq_u16_e32 vcc, 0, v21
	v_cndmask_b32_e32 v20, v20, v24, vcc
	v_cndmask_b32_e32 v21, v22, v23, vcc
	v_lshlrev_b32_e32 v22, 8, v14
	v_mov_b32_e32 v23, 0x3b800000
	v_lshlrev_b32_e32 v20, 20, v20
	v_and_b32_e32 v22, 0x80000000, v22
	v_lshl_add_u32 v21, v21, 23, v23
	v_or3_b32 v20, v22, v21, v20
.LBB54_788:
	s_or_b64 exec, exec, s[6:7]
	s_movk_i32 s4, 0xff
	v_and_b32_sdwa v21, v10, s4 dst_sel:DWORD dst_unused:UNUSED_PAD src0_sel:WORD_1 src1_sel:DWORD
	s_movk_i32 s4, 0x7f
	v_cmp_lt_i16_e32 vcc, s4, v21
	s_mov_b64 s[4:5], 0
                                        ; implicit-def: $sgpr10
	s_and_saveexec_b64 s[6:7], vcc
	s_xor_b64 s[6:7], exec, s[6:7]
	s_cbranch_execnz .LBB54_2837
; %bb.789:
	s_or_saveexec_b64 s[6:7], s[6:7]
	v_mov_b32_e32 v22, s10
	s_xor_b64 exec, exec, s[6:7]
	s_cbranch_execnz .LBB54_2840
.LBB54_790:
	s_or_b64 exec, exec, s[6:7]
	s_and_saveexec_b64 s[6:7], s[4:5]
	s_cbranch_execz .LBB54_792
.LBB54_791:
	v_bfe_u32 v21, v10, 16, 3
	v_ffbh_u32_e32 v24, v21
	v_min_u32_e32 v24, 32, v24
	v_lshrrev_b32_e32 v22, 19, v10
	v_subrev_u32_e32 v25, 28, v24
	v_and_b32_e32 v22, 15, v22
	v_lshlrev_b32_sdwa v25, v25, v10 dst_sel:DWORD dst_unused:UNUSED_PAD src0_sel:DWORD src1_sel:WORD_1
	v_bfe_u32 v23, v10, 19, 4
	v_sub_u32_e32 v24, 29, v24
	v_and_b32_e32 v25, 7, v25
	v_cmp_eq_u16_e32 vcc, 0, v22
	v_cndmask_b32_e32 v21, v21, v25, vcc
	v_cndmask_b32_e32 v22, v23, v24, vcc
	v_lshlrev_b32_e32 v23, 8, v10
	v_mov_b32_e32 v24, 0x3b800000
	v_lshlrev_b32_e32 v21, 20, v21
	v_and_b32_e32 v23, 0x80000000, v23
	v_lshl_add_u32 v22, v22, 23, v24
	v_or3_b32 v22, v23, v22, v21
.LBB54_792:
	s_or_b64 exec, exec, s[6:7]
	s_nop 0
	v_mfma_f32_16x16x4f32 a[0:3], v20, v22, a[0:3]
	s_movk_i32 s4, 0x7f
	v_cmp_gt_i16_sdwa s[6:7], v14, s4 src0_sel:BYTE_3 src1_sel:DWORD
	s_mov_b64 s[4:5], 0
                                        ; implicit-def: $sgpr10
	s_and_saveexec_b64 s[8:9], s[6:7]
	s_xor_b64 s[6:7], exec, s[8:9]
	s_cbranch_execnz .LBB54_2841
; %bb.793:
	s_or_saveexec_b64 s[6:7], s[6:7]
	v_mov_b32_e32 v20, s10
	s_xor_b64 exec, exec, s[6:7]
	s_cbranch_execnz .LBB54_2844
.LBB54_794:
	s_or_b64 exec, exec, s[6:7]
	s_and_saveexec_b64 s[6:7], s[4:5]
	s_cbranch_execz .LBB54_796
.LBB54_795:
	v_bfe_u32 v20, v14, 24, 3
	v_ffbh_u32_e32 v24, v20
	v_min_u32_e32 v24, 32, v24
	v_lshrrev_b32_e32 v22, 27, v14
	v_subrev_u32_e32 v25, 28, v24
	v_and_b32_e32 v21, 0x80000000, v14
	v_and_b32_e32 v22, 15, v22
	v_bfe_u32 v23, v14, 27, 4
	v_lshlrev_b32_sdwa v14, v25, v14 dst_sel:DWORD dst_unused:UNUSED_PAD src0_sel:DWORD src1_sel:BYTE_3
	v_sub_u32_e32 v24, 29, v24
	v_and_b32_e32 v14, 7, v14
	v_cmp_eq_u16_e32 vcc, 0, v22
	v_cndmask_b32_e32 v14, v20, v14, vcc
	v_cndmask_b32_e32 v20, v23, v24, vcc
	v_mov_b32_e32 v22, 0x3b800000
	v_lshlrev_b32_e32 v14, 20, v14
	v_lshl_add_u32 v20, v20, 23, v22
	v_or3_b32 v20, v21, v20, v14
.LBB54_796:
	s_or_b64 exec, exec, s[6:7]
	s_movk_i32 s4, 0x7f
	v_cmp_gt_i16_sdwa s[6:7], v10, s4 src0_sel:BYTE_3 src1_sel:DWORD
	s_mov_b64 s[4:5], 0
                                        ; implicit-def: $sgpr10
	s_and_saveexec_b64 s[8:9], s[6:7]
	s_xor_b64 s[6:7], exec, s[8:9]
	s_cbranch_execnz .LBB54_2845
; %bb.797:
	s_or_saveexec_b64 s[6:7], s[6:7]
	v_mov_b32_e32 v14, s10
	s_xor_b64 exec, exec, s[6:7]
	s_cbranch_execnz .LBB54_2848
.LBB54_798:
	s_or_b64 exec, exec, s[6:7]
	s_and_saveexec_b64 s[6:7], s[4:5]
	s_cbranch_execz .LBB54_800
.LBB54_799:
	v_bfe_u32 v14, v10, 24, 3
	v_ffbh_u32_e32 v24, v14
	v_min_u32_e32 v24, 32, v24
	v_lshrrev_b32_e32 v22, 27, v10
	v_subrev_u32_e32 v25, 28, v24
	v_and_b32_e32 v21, 0x80000000, v10
	v_and_b32_e32 v22, 15, v22
	v_bfe_u32 v23, v10, 27, 4
	v_lshlrev_b32_sdwa v10, v25, v10 dst_sel:DWORD dst_unused:UNUSED_PAD src0_sel:DWORD src1_sel:BYTE_3
	v_sub_u32_e32 v24, 29, v24
	v_and_b32_e32 v10, 7, v10
	v_cmp_eq_u16_e32 vcc, 0, v22
	v_cndmask_b32_e32 v10, v14, v10, vcc
	v_cndmask_b32_e32 v14, v23, v24, vcc
	v_mov_b32_e32 v22, 0x3b800000
	v_lshlrev_b32_e32 v10, 20, v10
	v_lshl_add_u32 v14, v14, 23, v22
	v_or3_b32 v14, v21, v14, v10
.LBB54_800:
	s_or_b64 exec, exec, s[6:7]
	s_nop 0
	v_mfma_f32_16x16x4f32 a[0:3], v20, v14, a[0:3]
	s_movk_i32 s4, 0x7f
	v_cmp_gt_i16_sdwa s[6:7], v15, s4 src0_sel:BYTE_0 src1_sel:DWORD
	s_mov_b64 s[4:5], 0
                                        ; implicit-def: $sgpr10
	s_and_saveexec_b64 s[8:9], s[6:7]
	s_xor_b64 s[6:7], exec, s[8:9]
	s_cbranch_execnz .LBB54_2849
; %bb.801:
	s_or_saveexec_b64 s[6:7], s[6:7]
	v_mov_b32_e32 v10, s10
	s_xor_b64 exec, exec, s[6:7]
	s_cbranch_execnz .LBB54_2852
.LBB54_802:
	s_or_b64 exec, exec, s[6:7]
	s_and_saveexec_b64 s[6:7], s[4:5]
	s_cbranch_execz .LBB54_804
.LBB54_803:
	v_and_b32_e32 v10, 7, v15
	v_ffbh_u32_e32 v20, v10
	v_min_u32_e32 v20, 32, v20
	v_lshrrev_b16_e32 v14, 3, v15
	v_subrev_u32_e32 v21, 28, v20
	v_and_b32_e32 v14, 15, v14
	v_lshlrev_b32_e32 v21, v21, v15
	v_sub_u32_e32 v20, 29, v20
	v_and_b32_e32 v21, 7, v21
	v_cmp_eq_u16_e32 vcc, 0, v14
	v_cndmask_b32_e32 v10, v10, v21, vcc
	v_cndmask_b32_e32 v14, v14, v20, vcc
	v_lshlrev_b32_e32 v20, 24, v15
	v_mov_b32_e32 v21, 0x3b800000
	v_lshlrev_b32_e32 v10, 20, v10
	v_and_b32_e32 v20, 0x80000000, v20
	v_lshl_add_u32 v14, v14, 23, v21
	v_or3_b32 v10, v20, v14, v10
.LBB54_804:
	s_or_b64 exec, exec, s[6:7]
	s_movk_i32 s4, 0x7f
	v_cmp_gt_i16_sdwa s[6:7], v11, s4 src0_sel:BYTE_0 src1_sel:DWORD
	s_mov_b64 s[4:5], 0
                                        ; implicit-def: $sgpr10
	s_and_saveexec_b64 s[8:9], s[6:7]
	s_xor_b64 s[6:7], exec, s[8:9]
	s_cbranch_execnz .LBB54_2853
; %bb.805:
	s_or_saveexec_b64 s[6:7], s[6:7]
	v_mov_b32_e32 v14, s10
	s_xor_b64 exec, exec, s[6:7]
	s_cbranch_execnz .LBB54_2856
.LBB54_806:
	s_or_b64 exec, exec, s[6:7]
	s_and_saveexec_b64 s[6:7], s[4:5]
	s_cbranch_execz .LBB54_808
.LBB54_807:
	v_and_b32_e32 v14, 7, v11
	v_ffbh_u32_e32 v21, v14
	v_min_u32_e32 v21, 32, v21
	v_lshrrev_b16_e32 v20, 3, v11
	v_subrev_u32_e32 v22, 28, v21
	v_and_b32_e32 v20, 15, v20
	v_lshlrev_b32_e32 v22, v22, v11
	v_sub_u32_e32 v21, 29, v21
	v_and_b32_e32 v22, 7, v22
	v_cmp_eq_u16_e32 vcc, 0, v20
	v_cndmask_b32_e32 v14, v14, v22, vcc
	v_cndmask_b32_e32 v20, v20, v21, vcc
	v_lshlrev_b32_e32 v21, 24, v11
	v_mov_b32_e32 v22, 0x3b800000
	v_lshlrev_b32_e32 v14, 20, v14
	v_and_b32_e32 v21, 0x80000000, v21
	v_lshl_add_u32 v20, v20, 23, v22
	v_or3_b32 v14, v21, v20, v14
.LBB54_808:
	s_or_b64 exec, exec, s[6:7]
	s_nop 0
	v_mfma_f32_16x16x4f32 a[0:3], v10, v14, a[0:3]
	v_lshrrev_b32_e32 v14, 8, v15
	s_movk_i32 s4, 0x7f
	v_cmp_gt_i16_sdwa s[6:7], v14, s4 src0_sel:BYTE_0 src1_sel:DWORD
	s_mov_b64 s[4:5], 0
                                        ; implicit-def: $sgpr10
	s_and_saveexec_b64 s[8:9], s[6:7]
	s_xor_b64 s[6:7], exec, s[8:9]
	s_cbranch_execnz .LBB54_2857
; %bb.809:
	s_or_saveexec_b64 s[6:7], s[6:7]
	v_mov_b32_e32 v10, s10
	s_xor_b64 exec, exec, s[6:7]
	s_cbranch_execnz .LBB54_2860
.LBB54_810:
	s_or_b64 exec, exec, s[6:7]
	s_and_saveexec_b64 s[6:7], s[4:5]
	s_cbranch_execz .LBB54_812
.LBB54_811:
	v_bfe_u32 v10, v15, 8, 3
	v_ffbh_u32_e32 v21, v10
	v_min_u32_e32 v21, 32, v21
	v_lshrrev_b16_e32 v20, 3, v14
	v_subrev_u32_e32 v22, 28, v21
	v_and_b32_e32 v20, 15, v20
	v_lshlrev_b32_e32 v14, v22, v14
	v_sub_u32_e32 v21, 29, v21
	v_and_b32_e32 v14, 7, v14
	v_cmp_eq_u16_e32 vcc, 0, v20
	v_cndmask_b32_e32 v10, v10, v14, vcc
	v_cndmask_b32_e32 v14, v20, v21, vcc
	v_lshlrev_b32_e32 v20, 16, v15
	v_mov_b32_e32 v21, 0x3b800000
	v_lshlrev_b32_e32 v10, 20, v10
	v_and_b32_e32 v20, 0x80000000, v20
	v_lshl_add_u32 v14, v14, 23, v21
	v_or3_b32 v10, v20, v14, v10
.LBB54_812:
	s_or_b64 exec, exec, s[6:7]
	v_lshrrev_b32_e32 v14, 8, v11
	s_movk_i32 s4, 0x7f
	v_cmp_gt_i16_sdwa s[6:7], v14, s4 src0_sel:BYTE_0 src1_sel:DWORD
	s_mov_b64 s[4:5], 0
                                        ; implicit-def: $sgpr10
	s_and_saveexec_b64 s[8:9], s[6:7]
	s_xor_b64 s[6:7], exec, s[8:9]
	s_cbranch_execnz .LBB54_2861
; %bb.813:
	s_or_saveexec_b64 s[6:7], s[6:7]
	v_mov_b32_e32 v20, s10
	s_xor_b64 exec, exec, s[6:7]
	s_cbranch_execnz .LBB54_2864
.LBB54_814:
	s_or_b64 exec, exec, s[6:7]
	s_and_saveexec_b64 s[6:7], s[4:5]
	s_cbranch_execz .LBB54_816
.LBB54_815:
	v_bfe_u32 v20, v11, 8, 3
	v_ffbh_u32_e32 v22, v20
	v_min_u32_e32 v22, 32, v22
	v_lshrrev_b16_e32 v21, 3, v14
	v_subrev_u32_e32 v23, 28, v22
	v_and_b32_e32 v21, 15, v21
	v_lshlrev_b32_e32 v14, v23, v14
	v_sub_u32_e32 v22, 29, v22
	v_and_b32_e32 v14, 7, v14
	v_cmp_eq_u16_e32 vcc, 0, v21
	v_cndmask_b32_e32 v14, v20, v14, vcc
	v_cndmask_b32_e32 v20, v21, v22, vcc
	v_lshlrev_b32_e32 v21, 16, v11
	v_mov_b32_e32 v22, 0x3b800000
	v_lshlrev_b32_e32 v14, 20, v14
	v_and_b32_e32 v21, 0x80000000, v21
	v_lshl_add_u32 v20, v20, 23, v22
	v_or3_b32 v20, v21, v20, v14
.LBB54_816:
	s_or_b64 exec, exec, s[6:7]
	s_nop 0
	v_mfma_f32_16x16x4f32 a[0:3], v10, v20, a[0:3]
	s_movk_i32 s4, 0xff
	v_and_b32_sdwa v14, v15, s4 dst_sel:DWORD dst_unused:UNUSED_PAD src0_sel:WORD_1 src1_sel:DWORD
	s_movk_i32 s4, 0x7f
	v_cmp_lt_i16_e32 vcc, s4, v14
	s_mov_b64 s[4:5], 0
                                        ; implicit-def: $sgpr10
	s_and_saveexec_b64 s[6:7], vcc
	s_xor_b64 s[6:7], exec, s[6:7]
	s_cbranch_execnz .LBB54_2865
; %bb.817:
	s_or_saveexec_b64 s[6:7], s[6:7]
	v_mov_b32_e32 v10, s10
	s_xor_b64 exec, exec, s[6:7]
	s_cbranch_execnz .LBB54_2868
.LBB54_818:
	s_or_b64 exec, exec, s[6:7]
	s_and_saveexec_b64 s[6:7], s[4:5]
	s_cbranch_execz .LBB54_820
.LBB54_819:
	v_bfe_u32 v10, v15, 16, 3
	v_ffbh_u32_e32 v21, v10
	v_min_u32_e32 v21, 32, v21
	v_lshrrev_b32_e32 v14, 19, v15
	v_subrev_u32_e32 v22, 28, v21
	v_and_b32_e32 v14, 15, v14
	v_lshlrev_b32_sdwa v22, v22, v15 dst_sel:DWORD dst_unused:UNUSED_PAD src0_sel:DWORD src1_sel:WORD_1
	v_bfe_u32 v20, v15, 19, 4
	v_sub_u32_e32 v21, 29, v21
	v_and_b32_e32 v22, 7, v22
	v_cmp_eq_u16_e32 vcc, 0, v14
	v_cndmask_b32_e32 v10, v10, v22, vcc
	v_cndmask_b32_e32 v14, v20, v21, vcc
	v_lshlrev_b32_e32 v20, 8, v15
	v_mov_b32_e32 v21, 0x3b800000
	v_lshlrev_b32_e32 v10, 20, v10
	v_and_b32_e32 v20, 0x80000000, v20
	v_lshl_add_u32 v14, v14, 23, v21
	v_or3_b32 v10, v20, v14, v10
.LBB54_820:
	s_or_b64 exec, exec, s[6:7]
	s_movk_i32 s4, 0xff
	v_and_b32_sdwa v14, v11, s4 dst_sel:DWORD dst_unused:UNUSED_PAD src0_sel:WORD_1 src1_sel:DWORD
	s_movk_i32 s4, 0x7f
	v_cmp_lt_i16_e32 vcc, s4, v14
	s_mov_b64 s[4:5], 0
                                        ; implicit-def: $sgpr10
	s_and_saveexec_b64 s[6:7], vcc
	s_xor_b64 s[6:7], exec, s[6:7]
	s_cbranch_execnz .LBB54_2869
; %bb.821:
	s_or_saveexec_b64 s[6:7], s[6:7]
	v_mov_b32_e32 v20, s10
	s_xor_b64 exec, exec, s[6:7]
	s_cbranch_execnz .LBB54_2872
.LBB54_822:
	s_or_b64 exec, exec, s[6:7]
	s_and_saveexec_b64 s[6:7], s[4:5]
	s_cbranch_execz .LBB54_824
.LBB54_823:
	v_bfe_u32 v14, v11, 16, 3
	v_ffbh_u32_e32 v22, v14
	v_min_u32_e32 v22, 32, v22
	v_lshrrev_b32_e32 v20, 19, v11
	v_subrev_u32_e32 v23, 28, v22
	v_and_b32_e32 v20, 15, v20
	v_lshlrev_b32_sdwa v23, v23, v11 dst_sel:DWORD dst_unused:UNUSED_PAD src0_sel:DWORD src1_sel:WORD_1
	v_bfe_u32 v21, v11, 19, 4
	v_sub_u32_e32 v22, 29, v22
	v_and_b32_e32 v23, 7, v23
	v_cmp_eq_u16_e32 vcc, 0, v20
	v_cndmask_b32_e32 v14, v14, v23, vcc
	v_cndmask_b32_e32 v20, v21, v22, vcc
	v_lshlrev_b32_e32 v21, 8, v11
	v_mov_b32_e32 v22, 0x3b800000
	v_lshlrev_b32_e32 v14, 20, v14
	v_and_b32_e32 v21, 0x80000000, v21
	v_lshl_add_u32 v20, v20, 23, v22
	v_or3_b32 v20, v21, v20, v14
.LBB54_824:
	s_or_b64 exec, exec, s[6:7]
	s_nop 0
	v_mfma_f32_16x16x4f32 a[0:3], v10, v20, a[0:3]
	s_movk_i32 s4, 0x7f
	v_cmp_gt_i16_sdwa s[6:7], v15, s4 src0_sel:BYTE_3 src1_sel:DWORD
	s_mov_b64 s[4:5], 0
                                        ; implicit-def: $sgpr10
	s_and_saveexec_b64 s[8:9], s[6:7]
	s_xor_b64 s[6:7], exec, s[8:9]
	s_cbranch_execnz .LBB54_2873
; %bb.825:
	s_or_saveexec_b64 s[6:7], s[6:7]
	v_mov_b32_e32 v10, s10
	s_xor_b64 exec, exec, s[6:7]
	s_cbranch_execnz .LBB54_2876
.LBB54_826:
	s_or_b64 exec, exec, s[6:7]
	s_and_saveexec_b64 s[6:7], s[4:5]
	s_cbranch_execz .LBB54_828
.LBB54_827:
	v_bfe_u32 v10, v15, 24, 3
	v_ffbh_u32_e32 v22, v10
	v_min_u32_e32 v22, 32, v22
	v_lshrrev_b32_e32 v20, 27, v15
	v_subrev_u32_e32 v23, 28, v22
	v_and_b32_e32 v14, 0x80000000, v15
	v_and_b32_e32 v20, 15, v20
	v_bfe_u32 v21, v15, 27, 4
	v_lshlrev_b32_sdwa v15, v23, v15 dst_sel:DWORD dst_unused:UNUSED_PAD src0_sel:DWORD src1_sel:BYTE_3
	v_sub_u32_e32 v22, 29, v22
	v_and_b32_e32 v15, 7, v15
	v_cmp_eq_u16_e32 vcc, 0, v20
	v_cndmask_b32_e32 v10, v10, v15, vcc
	v_cndmask_b32_e32 v15, v21, v22, vcc
	v_mov_b32_e32 v20, 0x3b800000
	v_lshlrev_b32_e32 v10, 20, v10
	v_lshl_add_u32 v15, v15, 23, v20
	v_or3_b32 v10, v14, v15, v10
.LBB54_828:
	s_or_b64 exec, exec, s[6:7]
	s_movk_i32 s4, 0x7f
	v_cmp_gt_i16_sdwa s[6:7], v11, s4 src0_sel:BYTE_3 src1_sel:DWORD
	s_mov_b64 s[4:5], 0
                                        ; implicit-def: $sgpr10
	s_and_saveexec_b64 s[8:9], s[6:7]
	s_xor_b64 s[6:7], exec, s[8:9]
	s_cbranch_execnz .LBB54_2877
; %bb.829:
	s_or_saveexec_b64 s[6:7], s[6:7]
	v_mov_b32_e32 v14, s10
	s_xor_b64 exec, exec, s[6:7]
	s_cbranch_execnz .LBB54_2880
.LBB54_830:
	s_or_b64 exec, exec, s[6:7]
	s_and_saveexec_b64 s[6:7], s[4:5]
	s_cbranch_execz .LBB54_832
.LBB54_831:
	v_bfe_u32 v14, v11, 24, 3
	v_ffbh_u32_e32 v22, v14
	v_min_u32_e32 v22, 32, v22
	v_lshrrev_b32_e32 v20, 27, v11
	v_subrev_u32_e32 v23, 28, v22
	v_and_b32_e32 v15, 0x80000000, v11
	v_and_b32_e32 v20, 15, v20
	v_bfe_u32 v21, v11, 27, 4
	v_lshlrev_b32_sdwa v11, v23, v11 dst_sel:DWORD dst_unused:UNUSED_PAD src0_sel:DWORD src1_sel:BYTE_3
	v_sub_u32_e32 v22, 29, v22
	v_and_b32_e32 v11, 7, v11
	v_cmp_eq_u16_e32 vcc, 0, v20
	v_cndmask_b32_e32 v11, v14, v11, vcc
	v_cndmask_b32_e32 v14, v21, v22, vcc
	v_mov_b32_e32 v20, 0x3b800000
	v_lshlrev_b32_e32 v11, 20, v11
	v_lshl_add_u32 v14, v14, 23, v20
	v_or3_b32 v14, v15, v14, v11
.LBB54_832:
	s_or_b64 exec, exec, s[6:7]
	s_nop 0
	v_mfma_f32_16x16x4f32 a[0:3], v10, v14, a[0:3]
	s_movk_i32 s4, 0x7f
	v_cmp_gt_i16_sdwa s[6:7], v16, s4 src0_sel:BYTE_0 src1_sel:DWORD
	s_mov_b64 s[4:5], 0
                                        ; implicit-def: $sgpr10
	s_and_saveexec_b64 s[8:9], s[6:7]
	s_xor_b64 s[6:7], exec, s[8:9]
	s_cbranch_execnz .LBB54_2881
; %bb.833:
	s_or_saveexec_b64 s[6:7], s[6:7]
	v_mov_b32_e32 v10, s10
	s_xor_b64 exec, exec, s[6:7]
	s_cbranch_execnz .LBB54_2884
.LBB54_834:
	s_or_b64 exec, exec, s[6:7]
	s_and_saveexec_b64 s[6:7], s[4:5]
	s_cbranch_execz .LBB54_836
.LBB54_835:
	v_and_b32_e32 v10, 7, v16
	v_ffbh_u32_e32 v14, v10
	v_min_u32_e32 v14, 32, v14
	v_lshrrev_b16_e32 v11, 3, v16
	v_subrev_u32_e32 v15, 28, v14
	v_and_b32_e32 v11, 15, v11
	v_lshlrev_b32_e32 v15, v15, v16
	v_sub_u32_e32 v14, 29, v14
	v_and_b32_e32 v15, 7, v15
	v_cmp_eq_u16_e32 vcc, 0, v11
	v_cndmask_b32_e32 v10, v10, v15, vcc
	v_cndmask_b32_e32 v11, v11, v14, vcc
	v_lshlrev_b32_e32 v14, 24, v16
	v_mov_b32_e32 v15, 0x3b800000
	v_lshlrev_b32_e32 v10, 20, v10
	v_and_b32_e32 v14, 0x80000000, v14
	v_lshl_add_u32 v11, v11, 23, v15
	v_or3_b32 v10, v14, v11, v10
.LBB54_836:
	s_or_b64 exec, exec, s[6:7]
	s_movk_i32 s4, 0x7f
	v_cmp_gt_i16_sdwa s[6:7], v12, s4 src0_sel:BYTE_0 src1_sel:DWORD
	s_mov_b64 s[4:5], 0
                                        ; implicit-def: $sgpr10
	s_and_saveexec_b64 s[8:9], s[6:7]
	s_xor_b64 s[6:7], exec, s[8:9]
	s_cbranch_execnz .LBB54_2885
; %bb.837:
	s_or_saveexec_b64 s[6:7], s[6:7]
	v_mov_b32_e32 v11, s10
	s_xor_b64 exec, exec, s[6:7]
	s_cbranch_execnz .LBB54_2888
.LBB54_838:
	s_or_b64 exec, exec, s[6:7]
	s_and_saveexec_b64 s[6:7], s[4:5]
	s_cbranch_execz .LBB54_840
.LBB54_839:
	v_and_b32_e32 v11, 7, v12
	v_ffbh_u32_e32 v15, v11
	v_min_u32_e32 v15, 32, v15
	v_lshrrev_b16_e32 v14, 3, v12
	v_subrev_u32_e32 v20, 28, v15
	v_and_b32_e32 v14, 15, v14
	v_lshlrev_b32_e32 v20, v20, v12
	v_sub_u32_e32 v15, 29, v15
	v_and_b32_e32 v20, 7, v20
	v_cmp_eq_u16_e32 vcc, 0, v14
	v_cndmask_b32_e32 v11, v11, v20, vcc
	v_cndmask_b32_e32 v14, v14, v15, vcc
	v_lshlrev_b32_e32 v15, 24, v12
	v_mov_b32_e32 v20, 0x3b800000
	v_lshlrev_b32_e32 v11, 20, v11
	v_and_b32_e32 v15, 0x80000000, v15
	v_lshl_add_u32 v14, v14, 23, v20
	v_or3_b32 v11, v15, v14, v11
.LBB54_840:
	s_or_b64 exec, exec, s[6:7]
	s_nop 0
	v_mfma_f32_16x16x4f32 a[0:3], v10, v11, a[0:3]
	v_lshrrev_b32_e32 v11, 8, v16
	s_movk_i32 s4, 0x7f
	v_cmp_gt_i16_sdwa s[6:7], v11, s4 src0_sel:BYTE_0 src1_sel:DWORD
	s_mov_b64 s[4:5], 0
                                        ; implicit-def: $sgpr10
	s_and_saveexec_b64 s[8:9], s[6:7]
	s_xor_b64 s[6:7], exec, s[8:9]
	s_cbranch_execnz .LBB54_2889
; %bb.841:
	s_or_saveexec_b64 s[6:7], s[6:7]
	v_mov_b32_e32 v10, s10
	s_xor_b64 exec, exec, s[6:7]
	s_cbranch_execnz .LBB54_2892
.LBB54_842:
	s_or_b64 exec, exec, s[6:7]
	s_and_saveexec_b64 s[6:7], s[4:5]
	s_cbranch_execz .LBB54_844
.LBB54_843:
	v_bfe_u32 v10, v16, 8, 3
	v_ffbh_u32_e32 v15, v10
	v_min_u32_e32 v15, 32, v15
	v_lshrrev_b16_e32 v14, 3, v11
	v_subrev_u32_e32 v20, 28, v15
	v_and_b32_e32 v14, 15, v14
	v_lshlrev_b32_e32 v11, v20, v11
	v_sub_u32_e32 v15, 29, v15
	v_and_b32_e32 v11, 7, v11
	v_cmp_eq_u16_e32 vcc, 0, v14
	v_cndmask_b32_e32 v10, v10, v11, vcc
	v_cndmask_b32_e32 v11, v14, v15, vcc
	v_lshlrev_b32_e32 v14, 16, v16
	v_mov_b32_e32 v15, 0x3b800000
	v_lshlrev_b32_e32 v10, 20, v10
	v_and_b32_e32 v14, 0x80000000, v14
	v_lshl_add_u32 v11, v11, 23, v15
	v_or3_b32 v10, v14, v11, v10
.LBB54_844:
	s_or_b64 exec, exec, s[6:7]
	v_lshrrev_b32_e32 v11, 8, v12
	s_movk_i32 s4, 0x7f
	v_cmp_gt_i16_sdwa s[6:7], v11, s4 src0_sel:BYTE_0 src1_sel:DWORD
	s_mov_b64 s[4:5], 0
                                        ; implicit-def: $sgpr10
	s_and_saveexec_b64 s[8:9], s[6:7]
	s_xor_b64 s[6:7], exec, s[8:9]
	s_cbranch_execnz .LBB54_2893
; %bb.845:
	s_or_saveexec_b64 s[6:7], s[6:7]
	v_mov_b32_e32 v14, s10
	s_xor_b64 exec, exec, s[6:7]
	s_cbranch_execnz .LBB54_2896
.LBB54_846:
	s_or_b64 exec, exec, s[6:7]
	s_and_saveexec_b64 s[6:7], s[4:5]
	s_cbranch_execz .LBB54_848
.LBB54_847:
	v_bfe_u32 v14, v12, 8, 3
	v_ffbh_u32_e32 v20, v14
	v_min_u32_e32 v20, 32, v20
	v_lshrrev_b16_e32 v15, 3, v11
	v_subrev_u32_e32 v21, 28, v20
	v_and_b32_e32 v15, 15, v15
	v_lshlrev_b32_e32 v11, v21, v11
	v_sub_u32_e32 v20, 29, v20
	v_and_b32_e32 v11, 7, v11
	v_cmp_eq_u16_e32 vcc, 0, v15
	v_cndmask_b32_e32 v11, v14, v11, vcc
	v_cndmask_b32_e32 v14, v15, v20, vcc
	v_lshlrev_b32_e32 v15, 16, v12
	v_mov_b32_e32 v20, 0x3b800000
	v_lshlrev_b32_e32 v11, 20, v11
	v_and_b32_e32 v15, 0x80000000, v15
	v_lshl_add_u32 v14, v14, 23, v20
	v_or3_b32 v14, v15, v14, v11
.LBB54_848:
	s_or_b64 exec, exec, s[6:7]
	s_nop 0
	v_mfma_f32_16x16x4f32 a[0:3], v10, v14, a[0:3]
	s_movk_i32 s4, 0xff
	v_and_b32_sdwa v11, v16, s4 dst_sel:DWORD dst_unused:UNUSED_PAD src0_sel:WORD_1 src1_sel:DWORD
	s_movk_i32 s4, 0x7f
	v_cmp_lt_i16_e32 vcc, s4, v11
	s_mov_b64 s[4:5], 0
                                        ; implicit-def: $sgpr10
	s_and_saveexec_b64 s[6:7], vcc
	s_xor_b64 s[6:7], exec, s[6:7]
	s_cbranch_execnz .LBB54_2897
; %bb.849:
	s_or_saveexec_b64 s[6:7], s[6:7]
	v_mov_b32_e32 v10, s10
	s_xor_b64 exec, exec, s[6:7]
	s_cbranch_execnz .LBB54_2900
.LBB54_850:
	s_or_b64 exec, exec, s[6:7]
	s_and_saveexec_b64 s[6:7], s[4:5]
	s_cbranch_execz .LBB54_852
.LBB54_851:
	v_bfe_u32 v10, v16, 16, 3
	v_ffbh_u32_e32 v15, v10
	v_min_u32_e32 v15, 32, v15
	v_lshrrev_b32_e32 v11, 19, v16
	v_subrev_u32_e32 v20, 28, v15
	v_and_b32_e32 v11, 15, v11
	v_lshlrev_b32_sdwa v20, v20, v16 dst_sel:DWORD dst_unused:UNUSED_PAD src0_sel:DWORD src1_sel:WORD_1
	v_bfe_u32 v14, v16, 19, 4
	v_sub_u32_e32 v15, 29, v15
	v_and_b32_e32 v20, 7, v20
	v_cmp_eq_u16_e32 vcc, 0, v11
	v_cndmask_b32_e32 v10, v10, v20, vcc
	v_cndmask_b32_e32 v11, v14, v15, vcc
	v_lshlrev_b32_e32 v14, 8, v16
	v_mov_b32_e32 v15, 0x3b800000
	v_lshlrev_b32_e32 v10, 20, v10
	v_and_b32_e32 v14, 0x80000000, v14
	v_lshl_add_u32 v11, v11, 23, v15
	v_or3_b32 v10, v14, v11, v10
.LBB54_852:
	s_or_b64 exec, exec, s[6:7]
	s_movk_i32 s4, 0xff
	v_and_b32_sdwa v11, v12, s4 dst_sel:DWORD dst_unused:UNUSED_PAD src0_sel:WORD_1 src1_sel:DWORD
	s_movk_i32 s4, 0x7f
	v_cmp_lt_i16_e32 vcc, s4, v11
	s_mov_b64 s[4:5], 0
                                        ; implicit-def: $sgpr10
	s_and_saveexec_b64 s[6:7], vcc
	s_xor_b64 s[6:7], exec, s[6:7]
	s_cbranch_execnz .LBB54_2901
; %bb.853:
	s_or_saveexec_b64 s[6:7], s[6:7]
	v_mov_b32_e32 v14, s10
	s_xor_b64 exec, exec, s[6:7]
	s_cbranch_execnz .LBB54_2904
.LBB54_854:
	s_or_b64 exec, exec, s[6:7]
	s_and_saveexec_b64 s[6:7], s[4:5]
	s_cbranch_execz .LBB54_856
.LBB54_855:
	v_bfe_u32 v11, v12, 16, 3
	v_ffbh_u32_e32 v20, v11
	v_min_u32_e32 v20, 32, v20
	v_lshrrev_b32_e32 v14, 19, v12
	v_subrev_u32_e32 v21, 28, v20
	v_and_b32_e32 v14, 15, v14
	v_lshlrev_b32_sdwa v21, v21, v12 dst_sel:DWORD dst_unused:UNUSED_PAD src0_sel:DWORD src1_sel:WORD_1
	v_bfe_u32 v15, v12, 19, 4
	v_sub_u32_e32 v20, 29, v20
	v_and_b32_e32 v21, 7, v21
	v_cmp_eq_u16_e32 vcc, 0, v14
	v_cndmask_b32_e32 v11, v11, v21, vcc
	v_cndmask_b32_e32 v14, v15, v20, vcc
	v_lshlrev_b32_e32 v15, 8, v12
	v_mov_b32_e32 v20, 0x3b800000
	v_lshlrev_b32_e32 v11, 20, v11
	v_and_b32_e32 v15, 0x80000000, v15
	v_lshl_add_u32 v14, v14, 23, v20
	v_or3_b32 v14, v15, v14, v11
.LBB54_856:
	s_or_b64 exec, exec, s[6:7]
	s_nop 0
	v_mfma_f32_16x16x4f32 a[0:3], v10, v14, a[0:3]
	s_movk_i32 s4, 0x7f
	v_cmp_gt_i16_sdwa s[6:7], v16, s4 src0_sel:BYTE_3 src1_sel:DWORD
	s_mov_b64 s[4:5], 0
                                        ; implicit-def: $sgpr10
	s_and_saveexec_b64 s[8:9], s[6:7]
	s_xor_b64 s[6:7], exec, s[8:9]
	s_cbranch_execnz .LBB54_2905
; %bb.857:
	s_or_saveexec_b64 s[6:7], s[6:7]
	v_mov_b32_e32 v10, s10
	s_xor_b64 exec, exec, s[6:7]
	s_cbranch_execnz .LBB54_2908
.LBB54_858:
	s_or_b64 exec, exec, s[6:7]
	s_and_saveexec_b64 s[6:7], s[4:5]
	s_cbranch_execz .LBB54_860
.LBB54_859:
	v_bfe_u32 v10, v16, 24, 3
	v_ffbh_u32_e32 v20, v10
	v_min_u32_e32 v20, 32, v20
	v_lshrrev_b32_e32 v14, 27, v16
	v_subrev_u32_e32 v21, 28, v20
	v_and_b32_e32 v11, 0x80000000, v16
	v_and_b32_e32 v14, 15, v14
	v_bfe_u32 v15, v16, 27, 4
	v_lshlrev_b32_sdwa v16, v21, v16 dst_sel:DWORD dst_unused:UNUSED_PAD src0_sel:DWORD src1_sel:BYTE_3
	v_sub_u32_e32 v20, 29, v20
	v_and_b32_e32 v16, 7, v16
	v_cmp_eq_u16_e32 vcc, 0, v14
	v_cndmask_b32_e32 v10, v10, v16, vcc
	v_cndmask_b32_e32 v14, v15, v20, vcc
	v_mov_b32_e32 v15, 0x3b800000
	v_lshlrev_b32_e32 v10, 20, v10
	v_lshl_add_u32 v14, v14, 23, v15
	v_or3_b32 v10, v11, v14, v10
.LBB54_860:
	s_or_b64 exec, exec, s[6:7]
	s_movk_i32 s4, 0x7f
	v_cmp_gt_i16_sdwa s[6:7], v12, s4 src0_sel:BYTE_3 src1_sel:DWORD
	s_mov_b64 s[4:5], 0
                                        ; implicit-def: $sgpr10
	s_and_saveexec_b64 s[8:9], s[6:7]
	s_xor_b64 s[6:7], exec, s[8:9]
	s_cbranch_execnz .LBB54_2909
; %bb.861:
	s_or_saveexec_b64 s[6:7], s[6:7]
	v_mov_b32_e32 v11, s10
	s_xor_b64 exec, exec, s[6:7]
	s_cbranch_execnz .LBB54_2912
.LBB54_862:
	s_or_b64 exec, exec, s[6:7]
	s_and_saveexec_b64 s[6:7], s[4:5]
	s_cbranch_execz .LBB54_864
.LBB54_863:
	v_bfe_u32 v11, v12, 24, 3
	v_ffbh_u32_e32 v20, v11
	v_min_u32_e32 v20, 32, v20
	v_lshrrev_b32_e32 v15, 27, v12
	v_subrev_u32_e32 v21, 28, v20
	v_and_b32_e32 v14, 0x80000000, v12
	v_and_b32_e32 v15, 15, v15
	v_bfe_u32 v16, v12, 27, 4
	v_lshlrev_b32_sdwa v12, v21, v12 dst_sel:DWORD dst_unused:UNUSED_PAD src0_sel:DWORD src1_sel:BYTE_3
	v_sub_u32_e32 v20, 29, v20
	v_and_b32_e32 v12, 7, v12
	v_cmp_eq_u16_e32 vcc, 0, v15
	v_cndmask_b32_e32 v11, v11, v12, vcc
	v_cndmask_b32_e32 v12, v16, v20, vcc
	v_mov_b32_e32 v15, 0x3b800000
	v_lshlrev_b32_e32 v11, 20, v11
	v_lshl_add_u32 v12, v12, 23, v15
	v_or3_b32 v11, v14, v12, v11
.LBB54_864:
	s_or_b64 exec, exec, s[6:7]
	s_nop 0
	v_mfma_f32_16x16x4f32 a[0:3], v10, v11, a[0:3]
	s_movk_i32 s4, 0x7f
	v_cmp_gt_i16_sdwa s[6:7], v17, s4 src0_sel:BYTE_0 src1_sel:DWORD
	s_mov_b64 s[4:5], 0
                                        ; implicit-def: $sgpr10
	s_and_saveexec_b64 s[8:9], s[6:7]
	s_xor_b64 s[6:7], exec, s[8:9]
	s_cbranch_execnz .LBB54_2913
; %bb.865:
	s_or_saveexec_b64 s[6:7], s[6:7]
	v_mov_b32_e32 v10, s10
	s_xor_b64 exec, exec, s[6:7]
	s_cbranch_execnz .LBB54_2916
.LBB54_866:
	s_or_b64 exec, exec, s[6:7]
	s_and_saveexec_b64 s[6:7], s[4:5]
	s_cbranch_execz .LBB54_868
.LBB54_867:
	v_and_b32_e32 v10, 7, v17
	v_ffbh_u32_e32 v12, v10
	v_min_u32_e32 v12, 32, v12
	v_lshrrev_b16_e32 v11, 3, v17
	v_subrev_u32_e32 v14, 28, v12
	v_and_b32_e32 v11, 15, v11
	v_lshlrev_b32_e32 v14, v14, v17
	v_sub_u32_e32 v12, 29, v12
	v_and_b32_e32 v14, 7, v14
	v_cmp_eq_u16_e32 vcc, 0, v11
	v_cndmask_b32_e32 v10, v10, v14, vcc
	v_cndmask_b32_e32 v11, v11, v12, vcc
	v_lshlrev_b32_e32 v12, 24, v17
	v_mov_b32_e32 v14, 0x3b800000
	v_lshlrev_b32_e32 v10, 20, v10
	v_and_b32_e32 v12, 0x80000000, v12
	v_lshl_add_u32 v11, v11, 23, v14
	v_or3_b32 v10, v12, v11, v10
.LBB54_868:
	s_or_b64 exec, exec, s[6:7]
	s_movk_i32 s4, 0x7f
	v_cmp_gt_i16_sdwa s[6:7], v13, s4 src0_sel:BYTE_0 src1_sel:DWORD
	s_mov_b64 s[4:5], 0
                                        ; implicit-def: $sgpr10
	s_and_saveexec_b64 s[8:9], s[6:7]
	s_xor_b64 s[6:7], exec, s[8:9]
	s_cbranch_execnz .LBB54_2917
; %bb.869:
	s_or_saveexec_b64 s[6:7], s[6:7]
	v_mov_b32_e32 v11, s10
	s_xor_b64 exec, exec, s[6:7]
	s_cbranch_execnz .LBB54_2920
.LBB54_870:
	s_or_b64 exec, exec, s[6:7]
	s_and_saveexec_b64 s[6:7], s[4:5]
	s_cbranch_execz .LBB54_872
.LBB54_871:
	v_and_b32_e32 v11, 7, v13
	v_ffbh_u32_e32 v14, v11
	v_min_u32_e32 v14, 32, v14
	v_lshrrev_b16_e32 v12, 3, v13
	v_subrev_u32_e32 v15, 28, v14
	v_and_b32_e32 v12, 15, v12
	v_lshlrev_b32_e32 v15, v15, v13
	v_sub_u32_e32 v14, 29, v14
	v_and_b32_e32 v15, 7, v15
	v_cmp_eq_u16_e32 vcc, 0, v12
	v_cndmask_b32_e32 v11, v11, v15, vcc
	v_cndmask_b32_e32 v12, v12, v14, vcc
	v_lshlrev_b32_e32 v14, 24, v13
	v_mov_b32_e32 v15, 0x3b800000
	v_lshlrev_b32_e32 v11, 20, v11
	v_and_b32_e32 v14, 0x80000000, v14
	v_lshl_add_u32 v12, v12, 23, v15
	v_or3_b32 v11, v14, v12, v11
.LBB54_872:
	s_or_b64 exec, exec, s[6:7]
	s_nop 0
	v_mfma_f32_16x16x4f32 a[0:3], v10, v11, a[0:3]
	v_lshrrev_b32_e32 v11, 8, v17
	s_movk_i32 s4, 0x7f
	v_cmp_gt_i16_sdwa s[6:7], v11, s4 src0_sel:BYTE_0 src1_sel:DWORD
	s_mov_b64 s[4:5], 0
                                        ; implicit-def: $sgpr10
	s_and_saveexec_b64 s[8:9], s[6:7]
	s_xor_b64 s[6:7], exec, s[8:9]
	s_cbranch_execnz .LBB54_2921
; %bb.873:
	s_or_saveexec_b64 s[6:7], s[6:7]
	v_mov_b32_e32 v10, s10
	s_xor_b64 exec, exec, s[6:7]
	s_cbranch_execnz .LBB54_2924
.LBB54_874:
	s_or_b64 exec, exec, s[6:7]
	s_and_saveexec_b64 s[6:7], s[4:5]
	s_cbranch_execz .LBB54_876
.LBB54_875:
	v_bfe_u32 v10, v17, 8, 3
	v_ffbh_u32_e32 v14, v10
	v_min_u32_e32 v14, 32, v14
	v_lshrrev_b16_e32 v12, 3, v11
	v_subrev_u32_e32 v15, 28, v14
	v_and_b32_e32 v12, 15, v12
	v_lshlrev_b32_e32 v11, v15, v11
	v_sub_u32_e32 v14, 29, v14
	v_and_b32_e32 v11, 7, v11
	v_cmp_eq_u16_e32 vcc, 0, v12
	v_cndmask_b32_e32 v10, v10, v11, vcc
	v_cndmask_b32_e32 v11, v12, v14, vcc
	v_lshlrev_b32_e32 v12, 16, v17
	v_mov_b32_e32 v14, 0x3b800000
	v_lshlrev_b32_e32 v10, 20, v10
	v_and_b32_e32 v12, 0x80000000, v12
	v_lshl_add_u32 v11, v11, 23, v14
	v_or3_b32 v10, v12, v11, v10
.LBB54_876:
	s_or_b64 exec, exec, s[6:7]
	v_lshrrev_b32_e32 v11, 8, v13
	s_movk_i32 s4, 0x7f
	v_cmp_gt_i16_sdwa s[6:7], v11, s4 src0_sel:BYTE_0 src1_sel:DWORD
	s_mov_b64 s[4:5], 0
                                        ; implicit-def: $sgpr10
	s_and_saveexec_b64 s[8:9], s[6:7]
	s_xor_b64 s[6:7], exec, s[8:9]
	s_cbranch_execnz .LBB54_2925
; %bb.877:
	s_or_saveexec_b64 s[6:7], s[6:7]
	v_mov_b32_e32 v12, s10
	s_xor_b64 exec, exec, s[6:7]
	s_cbranch_execnz .LBB54_2928
.LBB54_878:
	s_or_b64 exec, exec, s[6:7]
	s_and_saveexec_b64 s[6:7], s[4:5]
	s_cbranch_execz .LBB54_880
.LBB54_879:
	v_bfe_u32 v12, v13, 8, 3
	v_ffbh_u32_e32 v15, v12
	v_min_u32_e32 v15, 32, v15
	v_lshrrev_b16_e32 v14, 3, v11
	v_subrev_u32_e32 v16, 28, v15
	v_and_b32_e32 v14, 15, v14
	v_lshlrev_b32_e32 v11, v16, v11
	v_sub_u32_e32 v15, 29, v15
	v_and_b32_e32 v11, 7, v11
	v_cmp_eq_u16_e32 vcc, 0, v14
	v_cndmask_b32_e32 v11, v12, v11, vcc
	v_cndmask_b32_e32 v12, v14, v15, vcc
	v_lshlrev_b32_e32 v14, 16, v13
	v_mov_b32_e32 v15, 0x3b800000
	v_lshlrev_b32_e32 v11, 20, v11
	v_and_b32_e32 v14, 0x80000000, v14
	v_lshl_add_u32 v12, v12, 23, v15
	v_or3_b32 v12, v14, v12, v11
.LBB54_880:
	s_or_b64 exec, exec, s[6:7]
	s_nop 0
	v_mfma_f32_16x16x4f32 a[0:3], v10, v12, a[0:3]
	s_movk_i32 s4, 0xff
	v_and_b32_sdwa v11, v17, s4 dst_sel:DWORD dst_unused:UNUSED_PAD src0_sel:WORD_1 src1_sel:DWORD
	s_movk_i32 s4, 0x7f
	v_cmp_lt_i16_e32 vcc, s4, v11
	s_mov_b64 s[4:5], 0
                                        ; implicit-def: $sgpr10
	s_and_saveexec_b64 s[6:7], vcc
	s_xor_b64 s[6:7], exec, s[6:7]
	s_cbranch_execnz .LBB54_2929
; %bb.881:
	s_or_saveexec_b64 s[6:7], s[6:7]
	v_mov_b32_e32 v10, s10
	s_xor_b64 exec, exec, s[6:7]
	s_cbranch_execnz .LBB54_2932
.LBB54_882:
	s_or_b64 exec, exec, s[6:7]
	s_and_saveexec_b64 s[6:7], s[4:5]
	s_cbranch_execz .LBB54_884
.LBB54_883:
	v_bfe_u32 v10, v17, 16, 3
	v_ffbh_u32_e32 v14, v10
	v_min_u32_e32 v14, 32, v14
	v_lshrrev_b32_e32 v11, 19, v17
	v_subrev_u32_e32 v15, 28, v14
	v_and_b32_e32 v11, 15, v11
	v_lshlrev_b32_sdwa v15, v15, v17 dst_sel:DWORD dst_unused:UNUSED_PAD src0_sel:DWORD src1_sel:WORD_1
	v_bfe_u32 v12, v17, 19, 4
	v_sub_u32_e32 v14, 29, v14
	v_and_b32_e32 v15, 7, v15
	v_cmp_eq_u16_e32 vcc, 0, v11
	v_cndmask_b32_e32 v10, v10, v15, vcc
	v_cndmask_b32_e32 v11, v12, v14, vcc
	v_lshlrev_b32_e32 v12, 8, v17
	v_mov_b32_e32 v14, 0x3b800000
	v_lshlrev_b32_e32 v10, 20, v10
	v_and_b32_e32 v12, 0x80000000, v12
	v_lshl_add_u32 v11, v11, 23, v14
	v_or3_b32 v10, v12, v11, v10
.LBB54_884:
	s_or_b64 exec, exec, s[6:7]
	s_movk_i32 s4, 0xff
	v_and_b32_sdwa v11, v13, s4 dst_sel:DWORD dst_unused:UNUSED_PAD src0_sel:WORD_1 src1_sel:DWORD
	s_movk_i32 s4, 0x7f
	v_cmp_lt_i16_e32 vcc, s4, v11
	s_mov_b64 s[4:5], 0
                                        ; implicit-def: $sgpr10
	s_and_saveexec_b64 s[6:7], vcc
	s_xor_b64 s[6:7], exec, s[6:7]
	s_cbranch_execnz .LBB54_2933
; %bb.885:
	s_or_saveexec_b64 s[6:7], s[6:7]
	v_mov_b32_e32 v12, s10
	s_xor_b64 exec, exec, s[6:7]
	s_cbranch_execnz .LBB54_2936
.LBB54_886:
	s_or_b64 exec, exec, s[6:7]
	s_and_saveexec_b64 s[6:7], s[4:5]
	s_cbranch_execz .LBB54_888
.LBB54_887:
	v_bfe_u32 v11, v13, 16, 3
	v_ffbh_u32_e32 v15, v11
	v_min_u32_e32 v15, 32, v15
	v_lshrrev_b32_e32 v12, 19, v13
	v_subrev_u32_e32 v16, 28, v15
	v_and_b32_e32 v12, 15, v12
	v_lshlrev_b32_sdwa v16, v16, v13 dst_sel:DWORD dst_unused:UNUSED_PAD src0_sel:DWORD src1_sel:WORD_1
	v_bfe_u32 v14, v13, 19, 4
	v_sub_u32_e32 v15, 29, v15
	v_and_b32_e32 v16, 7, v16
	v_cmp_eq_u16_e32 vcc, 0, v12
	v_cndmask_b32_e32 v11, v11, v16, vcc
	v_cndmask_b32_e32 v12, v14, v15, vcc
	v_lshlrev_b32_e32 v14, 8, v13
	v_mov_b32_e32 v15, 0x3b800000
	v_lshlrev_b32_e32 v11, 20, v11
	v_and_b32_e32 v14, 0x80000000, v14
	v_lshl_add_u32 v12, v12, 23, v15
	v_or3_b32 v12, v14, v12, v11
.LBB54_888:
	s_or_b64 exec, exec, s[6:7]
	s_nop 0
	v_mfma_f32_16x16x4f32 a[0:3], v10, v12, a[0:3]
	s_movk_i32 s4, 0x7f
	v_cmp_gt_i16_sdwa s[6:7], v17, s4 src0_sel:BYTE_3 src1_sel:DWORD
	s_mov_b64 s[4:5], 0
                                        ; implicit-def: $sgpr10
	s_and_saveexec_b64 s[8:9], s[6:7]
	s_xor_b64 s[6:7], exec, s[8:9]
	s_cbranch_execnz .LBB54_2937
; %bb.889:
	s_or_saveexec_b64 s[6:7], s[6:7]
	v_mov_b32_e32 v10, s10
	s_xor_b64 exec, exec, s[6:7]
	s_cbranch_execnz .LBB54_2940
.LBB54_890:
	s_or_b64 exec, exec, s[6:7]
	s_and_saveexec_b64 s[6:7], s[4:5]
	s_cbranch_execz .LBB54_892
.LBB54_891:
	v_bfe_u32 v10, v17, 24, 3
	v_ffbh_u32_e32 v15, v10
	v_min_u32_e32 v15, 32, v15
	v_lshrrev_b32_e32 v12, 27, v17
	v_subrev_u32_e32 v16, 28, v15
	v_and_b32_e32 v12, 15, v12
	v_lshlrev_b32_sdwa v16, v16, v17 dst_sel:DWORD dst_unused:UNUSED_PAD src0_sel:DWORD src1_sel:BYTE_3
	v_bfe_u32 v14, v17, 27, 4
	v_sub_u32_e32 v15, 29, v15
	v_and_b32_e32 v16, 7, v16
	v_cmp_eq_u16_e32 vcc, 0, v12
	v_cndmask_b32_e32 v10, v10, v16, vcc
	v_cndmask_b32_e32 v12, v14, v15, vcc
	v_mov_b32_e32 v14, 0x3b800000
	v_and_b32_e32 v11, 0x80000000, v17
	v_lshlrev_b32_e32 v10, 20, v10
	v_lshl_add_u32 v12, v12, 23, v14
	v_or3_b32 v10, v11, v12, v10
.LBB54_892:
	s_or_b64 exec, exec, s[6:7]
	s_movk_i32 s4, 0x7f
	v_cmp_gt_i16_sdwa s[6:7], v13, s4 src0_sel:BYTE_3 src1_sel:DWORD
	s_mov_b64 s[4:5], 0
                                        ; implicit-def: $sgpr10
	s_and_saveexec_b64 s[8:9], s[6:7]
	s_xor_b64 s[6:7], exec, s[8:9]
	s_cbranch_execnz .LBB54_2941
; %bb.893:
	s_or_saveexec_b64 s[6:7], s[6:7]
	v_mov_b32_e32 v11, s10
	s_xor_b64 exec, exec, s[6:7]
	s_cbranch_execnz .LBB54_2944
.LBB54_894:
	s_or_b64 exec, exec, s[6:7]
	s_and_saveexec_b64 s[6:7], s[4:5]
	s_cbranch_execz .LBB54_896
.LBB54_895:
	v_bfe_u32 v11, v13, 24, 3
	v_ffbh_u32_e32 v16, v11
	v_min_u32_e32 v16, 32, v16
	v_lshrrev_b32_e32 v14, 27, v13
	v_subrev_u32_e32 v17, 28, v16
	v_and_b32_e32 v12, 0x80000000, v13
	v_and_b32_e32 v14, 15, v14
	v_bfe_u32 v15, v13, 27, 4
	v_lshlrev_b32_sdwa v13, v17, v13 dst_sel:DWORD dst_unused:UNUSED_PAD src0_sel:DWORD src1_sel:BYTE_3
	v_sub_u32_e32 v16, 29, v16
	v_and_b32_e32 v13, 7, v13
	v_cmp_eq_u16_e32 vcc, 0, v14
	v_cndmask_b32_e32 v11, v11, v13, vcc
	v_cndmask_b32_e32 v13, v15, v16, vcc
	v_mov_b32_e32 v14, 0x3b800000
	v_lshlrev_b32_e32 v11, 20, v11
	v_lshl_add_u32 v13, v13, 23, v14
	v_or3_b32 v11, v12, v13, v11
.LBB54_896:
	s_or_b64 exec, exec, s[6:7]
	s_nop 0
	v_mfma_f32_16x16x4f32 a[0:3], v10, v11, a[0:3]
	s_movk_i32 s4, 0x7f
	v_cmp_gt_i16_sdwa s[6:7], v6, s4 src0_sel:BYTE_0 src1_sel:DWORD
	s_mov_b64 s[4:5], 0
                                        ; implicit-def: $sgpr10
	s_and_saveexec_b64 s[8:9], s[6:7]
	s_xor_b64 s[6:7], exec, s[8:9]
	s_cbranch_execnz .LBB54_2945
; %bb.897:
	s_or_saveexec_b64 s[6:7], s[6:7]
	v_mov_b32_e32 v10, s10
	s_xor_b64 exec, exec, s[6:7]
	s_cbranch_execnz .LBB54_2948
.LBB54_898:
	s_or_b64 exec, exec, s[6:7]
	s_and_saveexec_b64 s[6:7], s[4:5]
	s_cbranch_execz .LBB54_900
.LBB54_899:
	v_and_b32_e32 v10, 7, v6
	v_ffbh_u32_e32 v12, v10
	v_min_u32_e32 v12, 32, v12
	v_lshrrev_b16_e32 v11, 3, v6
	v_subrev_u32_e32 v13, 28, v12
	v_and_b32_e32 v11, 15, v11
	v_lshlrev_b32_e32 v13, v13, v6
	v_sub_u32_e32 v12, 29, v12
	v_and_b32_e32 v13, 7, v13
	v_cmp_eq_u16_e32 vcc, 0, v11
	v_cndmask_b32_e32 v10, v10, v13, vcc
	v_cndmask_b32_e32 v11, v11, v12, vcc
	v_lshlrev_b32_e32 v12, 24, v6
	v_mov_b32_e32 v13, 0x3b800000
	v_lshlrev_b32_e32 v10, 20, v10
	v_and_b32_e32 v12, 0x80000000, v12
	v_lshl_add_u32 v11, v11, 23, v13
	v_or3_b32 v10, v12, v11, v10
.LBB54_900:
	s_or_b64 exec, exec, s[6:7]
	s_movk_i32 s4, 0x7f
	v_cmp_gt_i16_sdwa s[6:7], v2, s4 src0_sel:BYTE_0 src1_sel:DWORD
	s_mov_b64 s[4:5], 0
                                        ; implicit-def: $sgpr10
	s_and_saveexec_b64 s[8:9], s[6:7]
	s_xor_b64 s[6:7], exec, s[8:9]
	s_cbranch_execnz .LBB54_2949
; %bb.901:
	s_or_saveexec_b64 s[6:7], s[6:7]
	v_mov_b32_e32 v11, s10
	s_xor_b64 exec, exec, s[6:7]
	s_cbranch_execnz .LBB54_2952
.LBB54_902:
	s_or_b64 exec, exec, s[6:7]
	s_and_saveexec_b64 s[6:7], s[4:5]
	s_cbranch_execz .LBB54_904
.LBB54_903:
	v_and_b32_e32 v11, 7, v2
	v_ffbh_u32_e32 v13, v11
	v_min_u32_e32 v13, 32, v13
	v_lshrrev_b16_e32 v12, 3, v2
	v_subrev_u32_e32 v14, 28, v13
	v_and_b32_e32 v12, 15, v12
	v_lshlrev_b32_e32 v14, v14, v2
	v_sub_u32_e32 v13, 29, v13
	v_and_b32_e32 v14, 7, v14
	v_cmp_eq_u16_e32 vcc, 0, v12
	v_cndmask_b32_e32 v11, v11, v14, vcc
	v_cndmask_b32_e32 v12, v12, v13, vcc
	v_lshlrev_b32_e32 v13, 24, v2
	v_mov_b32_e32 v14, 0x3b800000
	v_lshlrev_b32_e32 v11, 20, v11
	v_and_b32_e32 v13, 0x80000000, v13
	v_lshl_add_u32 v12, v12, 23, v14
	v_or3_b32 v11, v13, v12, v11
.LBB54_904:
	s_or_b64 exec, exec, s[6:7]
	s_nop 0
	v_mfma_f32_16x16x4f32 a[0:3], v10, v11, a[0:3]
	v_lshrrev_b32_e32 v11, 8, v6
	s_movk_i32 s4, 0x7f
	v_cmp_gt_i16_sdwa s[6:7], v11, s4 src0_sel:BYTE_0 src1_sel:DWORD
	s_mov_b64 s[4:5], 0
                                        ; implicit-def: $sgpr10
	s_and_saveexec_b64 s[8:9], s[6:7]
	s_xor_b64 s[6:7], exec, s[8:9]
	s_cbranch_execnz .LBB54_2953
; %bb.905:
	s_or_saveexec_b64 s[6:7], s[6:7]
	v_mov_b32_e32 v10, s10
	s_xor_b64 exec, exec, s[6:7]
	s_cbranch_execnz .LBB54_2956
.LBB54_906:
	s_or_b64 exec, exec, s[6:7]
	s_and_saveexec_b64 s[6:7], s[4:5]
	s_cbranch_execz .LBB54_908
.LBB54_907:
	v_bfe_u32 v10, v6, 8, 3
	v_ffbh_u32_e32 v13, v10
	v_min_u32_e32 v13, 32, v13
	v_lshrrev_b16_e32 v12, 3, v11
	v_subrev_u32_e32 v14, 28, v13
	v_and_b32_e32 v12, 15, v12
	v_lshlrev_b32_e32 v11, v14, v11
	v_sub_u32_e32 v13, 29, v13
	v_and_b32_e32 v11, 7, v11
	v_cmp_eq_u16_e32 vcc, 0, v12
	v_cndmask_b32_e32 v10, v10, v11, vcc
	v_cndmask_b32_e32 v11, v12, v13, vcc
	v_lshlrev_b32_e32 v12, 16, v6
	v_mov_b32_e32 v13, 0x3b800000
	v_lshlrev_b32_e32 v10, 20, v10
	v_and_b32_e32 v12, 0x80000000, v12
	v_lshl_add_u32 v11, v11, 23, v13
	v_or3_b32 v10, v12, v11, v10
.LBB54_908:
	s_or_b64 exec, exec, s[6:7]
	v_lshrrev_b32_e32 v11, 8, v2
	s_movk_i32 s4, 0x7f
	v_cmp_gt_i16_sdwa s[6:7], v11, s4 src0_sel:BYTE_0 src1_sel:DWORD
	s_mov_b64 s[4:5], 0
                                        ; implicit-def: $sgpr10
	s_and_saveexec_b64 s[8:9], s[6:7]
	s_xor_b64 s[6:7], exec, s[8:9]
	s_cbranch_execnz .LBB54_2957
; %bb.909:
	s_or_saveexec_b64 s[6:7], s[6:7]
	v_mov_b32_e32 v12, s10
	s_xor_b64 exec, exec, s[6:7]
	s_cbranch_execnz .LBB54_2960
.LBB54_910:
	s_or_b64 exec, exec, s[6:7]
	s_and_saveexec_b64 s[6:7], s[4:5]
	s_cbranch_execz .LBB54_912
.LBB54_911:
	v_bfe_u32 v12, v2, 8, 3
	v_ffbh_u32_e32 v14, v12
	v_min_u32_e32 v14, 32, v14
	v_lshrrev_b16_e32 v13, 3, v11
	v_subrev_u32_e32 v15, 28, v14
	v_and_b32_e32 v13, 15, v13
	v_lshlrev_b32_e32 v11, v15, v11
	v_sub_u32_e32 v14, 29, v14
	v_and_b32_e32 v11, 7, v11
	v_cmp_eq_u16_e32 vcc, 0, v13
	v_cndmask_b32_e32 v11, v12, v11, vcc
	v_cndmask_b32_e32 v12, v13, v14, vcc
	v_lshlrev_b32_e32 v13, 16, v2
	v_mov_b32_e32 v14, 0x3b800000
	v_lshlrev_b32_e32 v11, 20, v11
	v_and_b32_e32 v13, 0x80000000, v13
	v_lshl_add_u32 v12, v12, 23, v14
	v_or3_b32 v12, v13, v12, v11
.LBB54_912:
	s_or_b64 exec, exec, s[6:7]
	s_nop 0
	v_mfma_f32_16x16x4f32 a[0:3], v10, v12, a[0:3]
	s_movk_i32 s4, 0xff
	v_and_b32_sdwa v11, v6, s4 dst_sel:DWORD dst_unused:UNUSED_PAD src0_sel:WORD_1 src1_sel:DWORD
	s_movk_i32 s4, 0x7f
	v_cmp_lt_i16_e32 vcc, s4, v11
	s_mov_b64 s[4:5], 0
                                        ; implicit-def: $sgpr10
	s_and_saveexec_b64 s[6:7], vcc
	s_xor_b64 s[6:7], exec, s[6:7]
	s_cbranch_execnz .LBB54_2961
; %bb.913:
	s_or_saveexec_b64 s[6:7], s[6:7]
	v_mov_b32_e32 v10, s10
	s_xor_b64 exec, exec, s[6:7]
	s_cbranch_execnz .LBB54_2964
.LBB54_914:
	s_or_b64 exec, exec, s[6:7]
	s_and_saveexec_b64 s[6:7], s[4:5]
	s_cbranch_execz .LBB54_916
.LBB54_915:
	v_bfe_u32 v10, v6, 16, 3
	v_ffbh_u32_e32 v13, v10
	v_min_u32_e32 v13, 32, v13
	v_lshrrev_b32_e32 v11, 19, v6
	v_subrev_u32_e32 v14, 28, v13
	v_and_b32_e32 v11, 15, v11
	v_lshlrev_b32_sdwa v14, v14, v6 dst_sel:DWORD dst_unused:UNUSED_PAD src0_sel:DWORD src1_sel:WORD_1
	v_bfe_u32 v12, v6, 19, 4
	v_sub_u32_e32 v13, 29, v13
	v_and_b32_e32 v14, 7, v14
	v_cmp_eq_u16_e32 vcc, 0, v11
	v_cndmask_b32_e32 v10, v10, v14, vcc
	v_cndmask_b32_e32 v11, v12, v13, vcc
	v_lshlrev_b32_e32 v12, 8, v6
	v_mov_b32_e32 v13, 0x3b800000
	v_lshlrev_b32_e32 v10, 20, v10
	v_and_b32_e32 v12, 0x80000000, v12
	v_lshl_add_u32 v11, v11, 23, v13
	v_or3_b32 v10, v12, v11, v10
.LBB54_916:
	s_or_b64 exec, exec, s[6:7]
	s_movk_i32 s4, 0xff
	v_and_b32_sdwa v11, v2, s4 dst_sel:DWORD dst_unused:UNUSED_PAD src0_sel:WORD_1 src1_sel:DWORD
	s_movk_i32 s4, 0x7f
	v_cmp_lt_i16_e32 vcc, s4, v11
	s_mov_b64 s[4:5], 0
                                        ; implicit-def: $sgpr10
	s_and_saveexec_b64 s[6:7], vcc
	s_xor_b64 s[6:7], exec, s[6:7]
	s_cbranch_execnz .LBB54_2965
; %bb.917:
	s_or_saveexec_b64 s[6:7], s[6:7]
	v_mov_b32_e32 v12, s10
	s_xor_b64 exec, exec, s[6:7]
	s_cbranch_execnz .LBB54_2968
.LBB54_918:
	s_or_b64 exec, exec, s[6:7]
	s_and_saveexec_b64 s[6:7], s[4:5]
	s_cbranch_execz .LBB54_920
.LBB54_919:
	v_bfe_u32 v11, v2, 16, 3
	v_ffbh_u32_e32 v14, v11
	v_min_u32_e32 v14, 32, v14
	v_lshrrev_b32_e32 v12, 19, v2
	v_subrev_u32_e32 v15, 28, v14
	v_and_b32_e32 v12, 15, v12
	v_lshlrev_b32_sdwa v15, v15, v2 dst_sel:DWORD dst_unused:UNUSED_PAD src0_sel:DWORD src1_sel:WORD_1
	v_bfe_u32 v13, v2, 19, 4
	v_sub_u32_e32 v14, 29, v14
	v_and_b32_e32 v15, 7, v15
	v_cmp_eq_u16_e32 vcc, 0, v12
	v_cndmask_b32_e32 v11, v11, v15, vcc
	v_cndmask_b32_e32 v12, v13, v14, vcc
	v_lshlrev_b32_e32 v13, 8, v2
	v_mov_b32_e32 v14, 0x3b800000
	v_lshlrev_b32_e32 v11, 20, v11
	v_and_b32_e32 v13, 0x80000000, v13
	v_lshl_add_u32 v12, v12, 23, v14
	v_or3_b32 v12, v13, v12, v11
.LBB54_920:
	s_or_b64 exec, exec, s[6:7]
	s_nop 0
	v_mfma_f32_16x16x4f32 a[0:3], v10, v12, a[0:3]
	s_movk_i32 s4, 0x7f
	v_cmp_gt_i16_sdwa s[6:7], v6, s4 src0_sel:BYTE_3 src1_sel:DWORD
	s_mov_b64 s[4:5], 0
                                        ; implicit-def: $sgpr10
	s_and_saveexec_b64 s[8:9], s[6:7]
	s_xor_b64 s[6:7], exec, s[8:9]
	s_cbranch_execnz .LBB54_2969
; %bb.921:
	s_or_saveexec_b64 s[6:7], s[6:7]
	v_mov_b32_e32 v10, s10
	s_xor_b64 exec, exec, s[6:7]
	s_cbranch_execnz .LBB54_2972
.LBB54_922:
	s_or_b64 exec, exec, s[6:7]
	s_and_saveexec_b64 s[6:7], s[4:5]
	s_cbranch_execz .LBB54_924
.LBB54_923:
	v_bfe_u32 v10, v6, 24, 3
	v_ffbh_u32_e32 v14, v10
	v_min_u32_e32 v14, 32, v14
	v_lshrrev_b32_e32 v12, 27, v6
	v_subrev_u32_e32 v15, 28, v14
	v_and_b32_e32 v11, 0x80000000, v6
	v_and_b32_e32 v12, 15, v12
	v_bfe_u32 v13, v6, 27, 4
	v_lshlrev_b32_sdwa v6, v15, v6 dst_sel:DWORD dst_unused:UNUSED_PAD src0_sel:DWORD src1_sel:BYTE_3
	v_sub_u32_e32 v14, 29, v14
	v_and_b32_e32 v6, 7, v6
	v_cmp_eq_u16_e32 vcc, 0, v12
	v_cndmask_b32_e32 v6, v10, v6, vcc
	v_cndmask_b32_e32 v10, v13, v14, vcc
	v_mov_b32_e32 v12, 0x3b800000
	v_lshlrev_b32_e32 v6, 20, v6
	v_lshl_add_u32 v10, v10, 23, v12
	v_or3_b32 v10, v11, v10, v6
.LBB54_924:
	s_or_b64 exec, exec, s[6:7]
	s_movk_i32 s4, 0x7f
	v_cmp_gt_i16_sdwa s[6:7], v2, s4 src0_sel:BYTE_3 src1_sel:DWORD
	s_mov_b64 s[4:5], 0
                                        ; implicit-def: $sgpr10
	s_and_saveexec_b64 s[8:9], s[6:7]
	s_xor_b64 s[6:7], exec, s[8:9]
	s_cbranch_execnz .LBB54_2973
; %bb.925:
	s_or_saveexec_b64 s[6:7], s[6:7]
	v_mov_b32_e32 v6, s10
	s_xor_b64 exec, exec, s[6:7]
	s_cbranch_execnz .LBB54_2976
.LBB54_926:
	s_or_b64 exec, exec, s[6:7]
	s_and_saveexec_b64 s[6:7], s[4:5]
	s_cbranch_execz .LBB54_928
.LBB54_927:
	v_bfe_u32 v6, v2, 24, 3
	v_ffbh_u32_e32 v14, v6
	v_min_u32_e32 v14, 32, v14
	v_lshrrev_b32_e32 v12, 27, v2
	v_subrev_u32_e32 v15, 28, v14
	v_and_b32_e32 v11, 0x80000000, v2
	v_and_b32_e32 v12, 15, v12
	v_bfe_u32 v13, v2, 27, 4
	v_lshlrev_b32_sdwa v2, v15, v2 dst_sel:DWORD dst_unused:UNUSED_PAD src0_sel:DWORD src1_sel:BYTE_3
	v_sub_u32_e32 v14, 29, v14
	v_and_b32_e32 v2, 7, v2
	v_cmp_eq_u16_e32 vcc, 0, v12
	v_cndmask_b32_e32 v2, v6, v2, vcc
	v_cndmask_b32_e32 v6, v13, v14, vcc
	v_mov_b32_e32 v12, 0x3b800000
	v_lshlrev_b32_e32 v2, 20, v2
	v_lshl_add_u32 v6, v6, 23, v12
	v_or3_b32 v6, v11, v6, v2
.LBB54_928:
	s_or_b64 exec, exec, s[6:7]
	s_nop 0
	v_mfma_f32_16x16x4f32 a[0:3], v10, v6, a[0:3]
	s_movk_i32 s4, 0x7f
	v_cmp_gt_i16_sdwa s[6:7], v7, s4 src0_sel:BYTE_0 src1_sel:DWORD
	s_mov_b64 s[4:5], 0
                                        ; implicit-def: $sgpr10
	s_and_saveexec_b64 s[8:9], s[6:7]
	s_xor_b64 s[6:7], exec, s[8:9]
	s_cbranch_execnz .LBB54_2977
; %bb.929:
	s_or_saveexec_b64 s[6:7], s[6:7]
	v_mov_b32_e32 v2, s10
	s_xor_b64 exec, exec, s[6:7]
	s_cbranch_execnz .LBB54_2980
.LBB54_930:
	s_or_b64 exec, exec, s[6:7]
	s_and_saveexec_b64 s[6:7], s[4:5]
	s_cbranch_execz .LBB54_932
.LBB54_931:
	v_and_b32_e32 v2, 7, v7
	v_ffbh_u32_e32 v10, v2
	v_min_u32_e32 v10, 32, v10
	v_lshrrev_b16_e32 v6, 3, v7
	v_subrev_u32_e32 v11, 28, v10
	v_and_b32_e32 v6, 15, v6
	v_lshlrev_b32_e32 v11, v11, v7
	v_sub_u32_e32 v10, 29, v10
	v_and_b32_e32 v11, 7, v11
	v_cmp_eq_u16_e32 vcc, 0, v6
	v_cndmask_b32_e32 v2, v2, v11, vcc
	v_cndmask_b32_e32 v6, v6, v10, vcc
	v_lshlrev_b32_e32 v10, 24, v7
	v_mov_b32_e32 v11, 0x3b800000
	v_lshlrev_b32_e32 v2, 20, v2
	v_and_b32_e32 v10, 0x80000000, v10
	v_lshl_add_u32 v6, v6, 23, v11
	v_or3_b32 v2, v10, v6, v2
.LBB54_932:
	s_or_b64 exec, exec, s[6:7]
	s_movk_i32 s4, 0x7f
	v_cmp_gt_i16_sdwa s[6:7], v3, s4 src0_sel:BYTE_0 src1_sel:DWORD
	s_mov_b64 s[4:5], 0
                                        ; implicit-def: $sgpr10
	s_and_saveexec_b64 s[8:9], s[6:7]
	s_xor_b64 s[6:7], exec, s[8:9]
	s_cbranch_execnz .LBB54_2981
; %bb.933:
	s_or_saveexec_b64 s[6:7], s[6:7]
	v_mov_b32_e32 v6, s10
	s_xor_b64 exec, exec, s[6:7]
	s_cbranch_execnz .LBB54_2984
.LBB54_934:
	s_or_b64 exec, exec, s[6:7]
	s_and_saveexec_b64 s[6:7], s[4:5]
	s_cbranch_execz .LBB54_936
.LBB54_935:
	v_and_b32_e32 v6, 7, v3
	v_ffbh_u32_e32 v11, v6
	v_min_u32_e32 v11, 32, v11
	v_lshrrev_b16_e32 v10, 3, v3
	v_subrev_u32_e32 v12, 28, v11
	v_and_b32_e32 v10, 15, v10
	v_lshlrev_b32_e32 v12, v12, v3
	v_sub_u32_e32 v11, 29, v11
	v_and_b32_e32 v12, 7, v12
	v_cmp_eq_u16_e32 vcc, 0, v10
	v_cndmask_b32_e32 v6, v6, v12, vcc
	v_cndmask_b32_e32 v10, v10, v11, vcc
	v_lshlrev_b32_e32 v11, 24, v3
	v_mov_b32_e32 v12, 0x3b800000
	v_lshlrev_b32_e32 v6, 20, v6
	v_and_b32_e32 v11, 0x80000000, v11
	v_lshl_add_u32 v10, v10, 23, v12
	v_or3_b32 v6, v11, v10, v6
.LBB54_936:
	s_or_b64 exec, exec, s[6:7]
	s_nop 0
	v_mfma_f32_16x16x4f32 a[0:3], v2, v6, a[0:3]
	v_lshrrev_b32_e32 v6, 8, v7
	s_movk_i32 s4, 0x7f
	v_cmp_gt_i16_sdwa s[6:7], v6, s4 src0_sel:BYTE_0 src1_sel:DWORD
	s_mov_b64 s[4:5], 0
                                        ; implicit-def: $sgpr10
	s_and_saveexec_b64 s[8:9], s[6:7]
	s_xor_b64 s[6:7], exec, s[8:9]
	s_cbranch_execnz .LBB54_2985
; %bb.937:
	s_or_saveexec_b64 s[6:7], s[6:7]
	v_mov_b32_e32 v2, s10
	s_xor_b64 exec, exec, s[6:7]
	s_cbranch_execnz .LBB54_2988
.LBB54_938:
	s_or_b64 exec, exec, s[6:7]
	s_and_saveexec_b64 s[6:7], s[4:5]
	s_cbranch_execz .LBB54_940
.LBB54_939:
	v_bfe_u32 v2, v7, 8, 3
	v_ffbh_u32_e32 v11, v2
	v_min_u32_e32 v11, 32, v11
	v_lshrrev_b16_e32 v10, 3, v6
	v_subrev_u32_e32 v12, 28, v11
	v_and_b32_e32 v10, 15, v10
	v_lshlrev_b32_e32 v6, v12, v6
	v_sub_u32_e32 v11, 29, v11
	v_and_b32_e32 v6, 7, v6
	v_cmp_eq_u16_e32 vcc, 0, v10
	v_cndmask_b32_e32 v2, v2, v6, vcc
	v_cndmask_b32_e32 v6, v10, v11, vcc
	v_lshlrev_b32_e32 v10, 16, v7
	v_mov_b32_e32 v11, 0x3b800000
	v_lshlrev_b32_e32 v2, 20, v2
	v_and_b32_e32 v10, 0x80000000, v10
	v_lshl_add_u32 v6, v6, 23, v11
	v_or3_b32 v2, v10, v6, v2
.LBB54_940:
	s_or_b64 exec, exec, s[6:7]
	v_lshrrev_b32_e32 v6, 8, v3
	s_movk_i32 s4, 0x7f
	v_cmp_gt_i16_sdwa s[6:7], v6, s4 src0_sel:BYTE_0 src1_sel:DWORD
	s_mov_b64 s[4:5], 0
                                        ; implicit-def: $sgpr10
	s_and_saveexec_b64 s[8:9], s[6:7]
	s_xor_b64 s[6:7], exec, s[8:9]
	s_cbranch_execnz .LBB54_2989
; %bb.941:
	s_or_saveexec_b64 s[6:7], s[6:7]
	v_mov_b32_e32 v10, s10
	s_xor_b64 exec, exec, s[6:7]
	s_cbranch_execnz .LBB54_2992
.LBB54_942:
	s_or_b64 exec, exec, s[6:7]
	s_and_saveexec_b64 s[6:7], s[4:5]
	s_cbranch_execz .LBB54_944
.LBB54_943:
	v_bfe_u32 v10, v3, 8, 3
	v_ffbh_u32_e32 v12, v10
	v_min_u32_e32 v12, 32, v12
	v_lshrrev_b16_e32 v11, 3, v6
	v_subrev_u32_e32 v13, 28, v12
	v_and_b32_e32 v11, 15, v11
	v_lshlrev_b32_e32 v6, v13, v6
	v_sub_u32_e32 v12, 29, v12
	v_and_b32_e32 v6, 7, v6
	v_cmp_eq_u16_e32 vcc, 0, v11
	v_cndmask_b32_e32 v6, v10, v6, vcc
	v_cndmask_b32_e32 v10, v11, v12, vcc
	v_lshlrev_b32_e32 v11, 16, v3
	v_mov_b32_e32 v12, 0x3b800000
	v_lshlrev_b32_e32 v6, 20, v6
	v_and_b32_e32 v11, 0x80000000, v11
	v_lshl_add_u32 v10, v10, 23, v12
	v_or3_b32 v10, v11, v10, v6
.LBB54_944:
	s_or_b64 exec, exec, s[6:7]
	s_nop 0
	v_mfma_f32_16x16x4f32 a[0:3], v2, v10, a[0:3]
	s_movk_i32 s4, 0xff
	v_and_b32_sdwa v6, v7, s4 dst_sel:DWORD dst_unused:UNUSED_PAD src0_sel:WORD_1 src1_sel:DWORD
	s_movk_i32 s4, 0x7f
	v_cmp_lt_i16_e32 vcc, s4, v6
	s_mov_b64 s[4:5], 0
                                        ; implicit-def: $sgpr10
	s_and_saveexec_b64 s[6:7], vcc
	s_xor_b64 s[6:7], exec, s[6:7]
	s_cbranch_execnz .LBB54_2993
; %bb.945:
	s_or_saveexec_b64 s[6:7], s[6:7]
	v_mov_b32_e32 v2, s10
	s_xor_b64 exec, exec, s[6:7]
	s_cbranch_execnz .LBB54_2996
.LBB54_946:
	s_or_b64 exec, exec, s[6:7]
	s_and_saveexec_b64 s[6:7], s[4:5]
	s_cbranch_execz .LBB54_948
.LBB54_947:
	v_bfe_u32 v2, v7, 16, 3
	v_ffbh_u32_e32 v11, v2
	v_min_u32_e32 v11, 32, v11
	v_lshrrev_b32_e32 v6, 19, v7
	v_subrev_u32_e32 v12, 28, v11
	v_and_b32_e32 v6, 15, v6
	v_lshlrev_b32_sdwa v12, v12, v7 dst_sel:DWORD dst_unused:UNUSED_PAD src0_sel:DWORD src1_sel:WORD_1
	v_bfe_u32 v10, v7, 19, 4
	v_sub_u32_e32 v11, 29, v11
	v_and_b32_e32 v12, 7, v12
	v_cmp_eq_u16_e32 vcc, 0, v6
	v_cndmask_b32_e32 v2, v2, v12, vcc
	v_cndmask_b32_e32 v6, v10, v11, vcc
	v_lshlrev_b32_e32 v10, 8, v7
	v_mov_b32_e32 v11, 0x3b800000
	v_lshlrev_b32_e32 v2, 20, v2
	v_and_b32_e32 v10, 0x80000000, v10
	v_lshl_add_u32 v6, v6, 23, v11
	v_or3_b32 v2, v10, v6, v2
.LBB54_948:
	s_or_b64 exec, exec, s[6:7]
	s_movk_i32 s4, 0xff
	v_and_b32_sdwa v6, v3, s4 dst_sel:DWORD dst_unused:UNUSED_PAD src0_sel:WORD_1 src1_sel:DWORD
	s_movk_i32 s4, 0x7f
	v_cmp_lt_i16_e32 vcc, s4, v6
	s_mov_b64 s[4:5], 0
                                        ; implicit-def: $sgpr10
	s_and_saveexec_b64 s[6:7], vcc
	s_xor_b64 s[6:7], exec, s[6:7]
	s_cbranch_execnz .LBB54_2997
; %bb.949:
	s_or_saveexec_b64 s[6:7], s[6:7]
	v_mov_b32_e32 v10, s10
	s_xor_b64 exec, exec, s[6:7]
	s_cbranch_execnz .LBB54_3000
.LBB54_950:
	s_or_b64 exec, exec, s[6:7]
	s_and_saveexec_b64 s[6:7], s[4:5]
	s_cbranch_execz .LBB54_952
.LBB54_951:
	v_bfe_u32 v6, v3, 16, 3
	v_ffbh_u32_e32 v12, v6
	v_min_u32_e32 v12, 32, v12
	v_lshrrev_b32_e32 v10, 19, v3
	v_subrev_u32_e32 v13, 28, v12
	v_and_b32_e32 v10, 15, v10
	v_lshlrev_b32_sdwa v13, v13, v3 dst_sel:DWORD dst_unused:UNUSED_PAD src0_sel:DWORD src1_sel:WORD_1
	v_bfe_u32 v11, v3, 19, 4
	v_sub_u32_e32 v12, 29, v12
	v_and_b32_e32 v13, 7, v13
	v_cmp_eq_u16_e32 vcc, 0, v10
	v_cndmask_b32_e32 v6, v6, v13, vcc
	v_cndmask_b32_e32 v10, v11, v12, vcc
	v_lshlrev_b32_e32 v11, 8, v3
	v_mov_b32_e32 v12, 0x3b800000
	v_lshlrev_b32_e32 v6, 20, v6
	v_and_b32_e32 v11, 0x80000000, v11
	v_lshl_add_u32 v10, v10, 23, v12
	v_or3_b32 v10, v11, v10, v6
.LBB54_952:
	s_or_b64 exec, exec, s[6:7]
	s_nop 0
	v_mfma_f32_16x16x4f32 a[0:3], v2, v10, a[0:3]
	s_movk_i32 s4, 0x7f
	v_cmp_gt_i16_sdwa s[6:7], v7, s4 src0_sel:BYTE_3 src1_sel:DWORD
	s_mov_b64 s[4:5], 0
                                        ; implicit-def: $sgpr10
	s_and_saveexec_b64 s[8:9], s[6:7]
	s_xor_b64 s[6:7], exec, s[8:9]
	s_cbranch_execnz .LBB54_3001
; %bb.953:
	s_or_saveexec_b64 s[6:7], s[6:7]
	v_mov_b32_e32 v2, s10
	s_xor_b64 exec, exec, s[6:7]
	s_cbranch_execnz .LBB54_3004
.LBB54_954:
	s_or_b64 exec, exec, s[6:7]
	s_and_saveexec_b64 s[6:7], s[4:5]
	s_cbranch_execz .LBB54_956
.LBB54_955:
	v_bfe_u32 v2, v7, 24, 3
	v_ffbh_u32_e32 v12, v2
	v_min_u32_e32 v12, 32, v12
	v_lshrrev_b32_e32 v10, 27, v7
	v_subrev_u32_e32 v13, 28, v12
	v_and_b32_e32 v6, 0x80000000, v7
	v_and_b32_e32 v10, 15, v10
	v_bfe_u32 v11, v7, 27, 4
	v_lshlrev_b32_sdwa v7, v13, v7 dst_sel:DWORD dst_unused:UNUSED_PAD src0_sel:DWORD src1_sel:BYTE_3
	v_sub_u32_e32 v12, 29, v12
	v_and_b32_e32 v7, 7, v7
	v_cmp_eq_u16_e32 vcc, 0, v10
	v_cndmask_b32_e32 v2, v2, v7, vcc
	v_cndmask_b32_e32 v7, v11, v12, vcc
	v_mov_b32_e32 v10, 0x3b800000
	v_lshlrev_b32_e32 v2, 20, v2
	v_lshl_add_u32 v7, v7, 23, v10
	v_or3_b32 v2, v6, v7, v2
.LBB54_956:
	s_or_b64 exec, exec, s[6:7]
	s_movk_i32 s4, 0x7f
	v_cmp_gt_i16_sdwa s[6:7], v3, s4 src0_sel:BYTE_3 src1_sel:DWORD
	s_mov_b64 s[4:5], 0
                                        ; implicit-def: $sgpr10
	s_and_saveexec_b64 s[8:9], s[6:7]
	s_xor_b64 s[6:7], exec, s[8:9]
	s_cbranch_execnz .LBB54_3005
; %bb.957:
	s_or_saveexec_b64 s[6:7], s[6:7]
	v_mov_b32_e32 v6, s10
	s_xor_b64 exec, exec, s[6:7]
	s_cbranch_execnz .LBB54_3008
.LBB54_958:
	s_or_b64 exec, exec, s[6:7]
	s_and_saveexec_b64 s[6:7], s[4:5]
	s_cbranch_execz .LBB54_960
.LBB54_959:
	v_bfe_u32 v6, v3, 24, 3
	v_ffbh_u32_e32 v12, v6
	v_min_u32_e32 v12, 32, v12
	v_lshrrev_b32_e32 v10, 27, v3
	v_subrev_u32_e32 v13, 28, v12
	v_and_b32_e32 v7, 0x80000000, v3
	v_and_b32_e32 v10, 15, v10
	v_bfe_u32 v11, v3, 27, 4
	v_lshlrev_b32_sdwa v3, v13, v3 dst_sel:DWORD dst_unused:UNUSED_PAD src0_sel:DWORD src1_sel:BYTE_3
	v_sub_u32_e32 v12, 29, v12
	v_and_b32_e32 v3, 7, v3
	v_cmp_eq_u16_e32 vcc, 0, v10
	v_cndmask_b32_e32 v3, v6, v3, vcc
	v_cndmask_b32_e32 v6, v11, v12, vcc
	v_mov_b32_e32 v10, 0x3b800000
	v_lshlrev_b32_e32 v3, 20, v3
	v_lshl_add_u32 v6, v6, 23, v10
	v_or3_b32 v6, v7, v6, v3
.LBB54_960:
	s_or_b64 exec, exec, s[6:7]
	s_nop 0
	v_mfma_f32_16x16x4f32 a[0:3], v2, v6, a[0:3]
	s_movk_i32 s4, 0x7f
	v_cmp_gt_i16_sdwa s[6:7], v8, s4 src0_sel:BYTE_0 src1_sel:DWORD
	s_mov_b64 s[4:5], 0
                                        ; implicit-def: $sgpr10
	s_and_saveexec_b64 s[8:9], s[6:7]
	s_xor_b64 s[6:7], exec, s[8:9]
	s_cbranch_execnz .LBB54_3009
; %bb.961:
	s_or_saveexec_b64 s[6:7], s[6:7]
	v_mov_b32_e32 v2, s10
	s_xor_b64 exec, exec, s[6:7]
	s_cbranch_execnz .LBB54_3012
.LBB54_962:
	s_or_b64 exec, exec, s[6:7]
	s_and_saveexec_b64 s[6:7], s[4:5]
	s_cbranch_execz .LBB54_964
.LBB54_963:
	v_and_b32_e32 v2, 7, v8
	v_ffbh_u32_e32 v6, v2
	v_min_u32_e32 v6, 32, v6
	v_lshrrev_b16_e32 v3, 3, v8
	v_subrev_u32_e32 v7, 28, v6
	v_and_b32_e32 v3, 15, v3
	v_lshlrev_b32_e32 v7, v7, v8
	v_sub_u32_e32 v6, 29, v6
	v_and_b32_e32 v7, 7, v7
	v_cmp_eq_u16_e32 vcc, 0, v3
	v_cndmask_b32_e32 v2, v2, v7, vcc
	v_cndmask_b32_e32 v3, v3, v6, vcc
	v_lshlrev_b32_e32 v6, 24, v8
	v_mov_b32_e32 v7, 0x3b800000
	v_lshlrev_b32_e32 v2, 20, v2
	v_and_b32_e32 v6, 0x80000000, v6
	v_lshl_add_u32 v3, v3, 23, v7
	v_or3_b32 v2, v6, v3, v2
.LBB54_964:
	s_or_b64 exec, exec, s[6:7]
	s_movk_i32 s4, 0x7f
	v_cmp_gt_i16_sdwa s[6:7], v4, s4 src0_sel:BYTE_0 src1_sel:DWORD
	s_mov_b64 s[4:5], 0
                                        ; implicit-def: $sgpr10
	s_and_saveexec_b64 s[8:9], s[6:7]
	s_xor_b64 s[6:7], exec, s[8:9]
	s_cbranch_execnz .LBB54_3013
; %bb.965:
	s_or_saveexec_b64 s[6:7], s[6:7]
	v_mov_b32_e32 v3, s10
	s_xor_b64 exec, exec, s[6:7]
	s_cbranch_execnz .LBB54_3016
.LBB54_966:
	s_or_b64 exec, exec, s[6:7]
	s_and_saveexec_b64 s[6:7], s[4:5]
	s_cbranch_execz .LBB54_968
.LBB54_967:
	v_and_b32_e32 v3, 7, v4
	v_ffbh_u32_e32 v7, v3
	v_min_u32_e32 v7, 32, v7
	v_lshrrev_b16_e32 v6, 3, v4
	v_subrev_u32_e32 v10, 28, v7
	v_and_b32_e32 v6, 15, v6
	v_lshlrev_b32_e32 v10, v10, v4
	v_sub_u32_e32 v7, 29, v7
	v_and_b32_e32 v10, 7, v10
	v_cmp_eq_u16_e32 vcc, 0, v6
	v_cndmask_b32_e32 v3, v3, v10, vcc
	v_cndmask_b32_e32 v6, v6, v7, vcc
	v_lshlrev_b32_e32 v7, 24, v4
	v_mov_b32_e32 v10, 0x3b800000
	v_lshlrev_b32_e32 v3, 20, v3
	v_and_b32_e32 v7, 0x80000000, v7
	v_lshl_add_u32 v6, v6, 23, v10
	v_or3_b32 v3, v7, v6, v3
.LBB54_968:
	s_or_b64 exec, exec, s[6:7]
	s_nop 0
	v_mfma_f32_16x16x4f32 a[0:3], v2, v3, a[0:3]
	v_lshrrev_b32_e32 v3, 8, v8
	s_movk_i32 s4, 0x7f
	v_cmp_gt_i16_sdwa s[6:7], v3, s4 src0_sel:BYTE_0 src1_sel:DWORD
	s_mov_b64 s[4:5], 0
                                        ; implicit-def: $sgpr10
	s_and_saveexec_b64 s[8:9], s[6:7]
	s_xor_b64 s[6:7], exec, s[8:9]
	s_cbranch_execnz .LBB54_3017
; %bb.969:
	s_or_saveexec_b64 s[6:7], s[6:7]
	v_mov_b32_e32 v2, s10
	s_xor_b64 exec, exec, s[6:7]
	s_cbranch_execnz .LBB54_3020
.LBB54_970:
	s_or_b64 exec, exec, s[6:7]
	s_and_saveexec_b64 s[6:7], s[4:5]
	s_cbranch_execz .LBB54_972
.LBB54_971:
	v_bfe_u32 v2, v8, 8, 3
	v_ffbh_u32_e32 v7, v2
	v_min_u32_e32 v7, 32, v7
	v_lshrrev_b16_e32 v6, 3, v3
	v_subrev_u32_e32 v10, 28, v7
	v_and_b32_e32 v6, 15, v6
	v_lshlrev_b32_e32 v3, v10, v3
	v_sub_u32_e32 v7, 29, v7
	v_and_b32_e32 v3, 7, v3
	v_cmp_eq_u16_e32 vcc, 0, v6
	v_cndmask_b32_e32 v2, v2, v3, vcc
	v_cndmask_b32_e32 v3, v6, v7, vcc
	v_lshlrev_b32_e32 v6, 16, v8
	v_mov_b32_e32 v7, 0x3b800000
	v_lshlrev_b32_e32 v2, 20, v2
	v_and_b32_e32 v6, 0x80000000, v6
	v_lshl_add_u32 v3, v3, 23, v7
	v_or3_b32 v2, v6, v3, v2
.LBB54_972:
	s_or_b64 exec, exec, s[6:7]
	v_lshrrev_b32_e32 v3, 8, v4
	s_movk_i32 s4, 0x7f
	v_cmp_gt_i16_sdwa s[6:7], v3, s4 src0_sel:BYTE_0 src1_sel:DWORD
	s_mov_b64 s[4:5], 0
                                        ; implicit-def: $sgpr10
	s_and_saveexec_b64 s[8:9], s[6:7]
	s_xor_b64 s[6:7], exec, s[8:9]
	s_cbranch_execnz .LBB54_3021
; %bb.973:
	s_or_saveexec_b64 s[6:7], s[6:7]
	v_mov_b32_e32 v6, s10
	s_xor_b64 exec, exec, s[6:7]
	s_cbranch_execnz .LBB54_3024
.LBB54_974:
	s_or_b64 exec, exec, s[6:7]
	s_and_saveexec_b64 s[6:7], s[4:5]
	s_cbranch_execz .LBB54_976
.LBB54_975:
	v_bfe_u32 v6, v4, 8, 3
	v_ffbh_u32_e32 v10, v6
	v_min_u32_e32 v10, 32, v10
	v_lshrrev_b16_e32 v7, 3, v3
	v_subrev_u32_e32 v11, 28, v10
	v_and_b32_e32 v7, 15, v7
	v_lshlrev_b32_e32 v3, v11, v3
	v_sub_u32_e32 v10, 29, v10
	v_and_b32_e32 v3, 7, v3
	v_cmp_eq_u16_e32 vcc, 0, v7
	v_cndmask_b32_e32 v3, v6, v3, vcc
	v_cndmask_b32_e32 v6, v7, v10, vcc
	v_lshlrev_b32_e32 v7, 16, v4
	v_mov_b32_e32 v10, 0x3b800000
	v_lshlrev_b32_e32 v3, 20, v3
	v_and_b32_e32 v7, 0x80000000, v7
	v_lshl_add_u32 v6, v6, 23, v10
	v_or3_b32 v6, v7, v6, v3
.LBB54_976:
	s_or_b64 exec, exec, s[6:7]
	s_nop 0
	v_mfma_f32_16x16x4f32 a[0:3], v2, v6, a[0:3]
	s_movk_i32 s4, 0xff
	v_and_b32_sdwa v3, v8, s4 dst_sel:DWORD dst_unused:UNUSED_PAD src0_sel:WORD_1 src1_sel:DWORD
	s_movk_i32 s4, 0x7f
	v_cmp_lt_i16_e32 vcc, s4, v3
	s_mov_b64 s[4:5], 0
                                        ; implicit-def: $sgpr10
	s_and_saveexec_b64 s[6:7], vcc
	s_xor_b64 s[6:7], exec, s[6:7]
	s_cbranch_execnz .LBB54_3025
; %bb.977:
	s_or_saveexec_b64 s[6:7], s[6:7]
	v_mov_b32_e32 v2, s10
	s_xor_b64 exec, exec, s[6:7]
	s_cbranch_execnz .LBB54_3028
.LBB54_978:
	s_or_b64 exec, exec, s[6:7]
	s_and_saveexec_b64 s[6:7], s[4:5]
	s_cbranch_execz .LBB54_980
.LBB54_979:
	v_bfe_u32 v2, v8, 16, 3
	v_ffbh_u32_e32 v7, v2
	v_min_u32_e32 v7, 32, v7
	v_lshrrev_b32_e32 v3, 19, v8
	v_subrev_u32_e32 v10, 28, v7
	v_and_b32_e32 v3, 15, v3
	v_lshlrev_b32_sdwa v10, v10, v8 dst_sel:DWORD dst_unused:UNUSED_PAD src0_sel:DWORD src1_sel:WORD_1
	v_bfe_u32 v6, v8, 19, 4
	v_sub_u32_e32 v7, 29, v7
	v_and_b32_e32 v10, 7, v10
	v_cmp_eq_u16_e32 vcc, 0, v3
	v_cndmask_b32_e32 v2, v2, v10, vcc
	v_cndmask_b32_e32 v3, v6, v7, vcc
	v_lshlrev_b32_e32 v6, 8, v8
	v_mov_b32_e32 v7, 0x3b800000
	v_lshlrev_b32_e32 v2, 20, v2
	v_and_b32_e32 v6, 0x80000000, v6
	v_lshl_add_u32 v3, v3, 23, v7
	v_or3_b32 v2, v6, v3, v2
.LBB54_980:
	s_or_b64 exec, exec, s[6:7]
	s_movk_i32 s4, 0xff
	v_and_b32_sdwa v3, v4, s4 dst_sel:DWORD dst_unused:UNUSED_PAD src0_sel:WORD_1 src1_sel:DWORD
	s_movk_i32 s4, 0x7f
	v_cmp_lt_i16_e32 vcc, s4, v3
	s_mov_b64 s[4:5], 0
                                        ; implicit-def: $sgpr10
	s_and_saveexec_b64 s[6:7], vcc
	s_xor_b64 s[6:7], exec, s[6:7]
	s_cbranch_execnz .LBB54_3029
; %bb.981:
	s_or_saveexec_b64 s[6:7], s[6:7]
	v_mov_b32_e32 v6, s10
	s_xor_b64 exec, exec, s[6:7]
	s_cbranch_execnz .LBB54_3032
.LBB54_982:
	s_or_b64 exec, exec, s[6:7]
	s_and_saveexec_b64 s[6:7], s[4:5]
	s_cbranch_execz .LBB54_984
.LBB54_983:
	v_bfe_u32 v3, v4, 16, 3
	v_ffbh_u32_e32 v10, v3
	v_min_u32_e32 v10, 32, v10
	v_lshrrev_b32_e32 v6, 19, v4
	v_subrev_u32_e32 v11, 28, v10
	v_and_b32_e32 v6, 15, v6
	v_lshlrev_b32_sdwa v11, v11, v4 dst_sel:DWORD dst_unused:UNUSED_PAD src0_sel:DWORD src1_sel:WORD_1
	v_bfe_u32 v7, v4, 19, 4
	v_sub_u32_e32 v10, 29, v10
	v_and_b32_e32 v11, 7, v11
	v_cmp_eq_u16_e32 vcc, 0, v6
	v_cndmask_b32_e32 v3, v3, v11, vcc
	v_cndmask_b32_e32 v6, v7, v10, vcc
	v_lshlrev_b32_e32 v7, 8, v4
	v_mov_b32_e32 v10, 0x3b800000
	v_lshlrev_b32_e32 v3, 20, v3
	v_and_b32_e32 v7, 0x80000000, v7
	v_lshl_add_u32 v6, v6, 23, v10
	v_or3_b32 v6, v7, v6, v3
.LBB54_984:
	s_or_b64 exec, exec, s[6:7]
	s_nop 0
	v_mfma_f32_16x16x4f32 a[0:3], v2, v6, a[0:3]
	s_movk_i32 s4, 0x7f
	v_cmp_gt_i16_sdwa s[6:7], v8, s4 src0_sel:BYTE_3 src1_sel:DWORD
	s_mov_b64 s[4:5], 0
                                        ; implicit-def: $sgpr10
	s_and_saveexec_b64 s[8:9], s[6:7]
	s_xor_b64 s[6:7], exec, s[8:9]
	s_cbranch_execnz .LBB54_3033
; %bb.985:
	s_or_saveexec_b64 s[6:7], s[6:7]
	v_mov_b32_e32 v2, s10
	s_xor_b64 exec, exec, s[6:7]
	s_cbranch_execnz .LBB54_3036
.LBB54_986:
	s_or_b64 exec, exec, s[6:7]
	s_and_saveexec_b64 s[6:7], s[4:5]
	s_cbranch_execz .LBB54_988
.LBB54_987:
	v_bfe_u32 v2, v8, 24, 3
	v_ffbh_u32_e32 v10, v2
	v_min_u32_e32 v10, 32, v10
	v_lshrrev_b32_e32 v6, 27, v8
	v_subrev_u32_e32 v11, 28, v10
	v_and_b32_e32 v3, 0x80000000, v8
	v_and_b32_e32 v6, 15, v6
	v_bfe_u32 v7, v8, 27, 4
	v_lshlrev_b32_sdwa v8, v11, v8 dst_sel:DWORD dst_unused:UNUSED_PAD src0_sel:DWORD src1_sel:BYTE_3
	v_sub_u32_e32 v10, 29, v10
	v_and_b32_e32 v8, 7, v8
	v_cmp_eq_u16_e32 vcc, 0, v6
	v_cndmask_b32_e32 v2, v2, v8, vcc
	v_cndmask_b32_e32 v6, v7, v10, vcc
	v_mov_b32_e32 v7, 0x3b800000
	v_lshlrev_b32_e32 v2, 20, v2
	v_lshl_add_u32 v6, v6, 23, v7
	v_or3_b32 v2, v3, v6, v2
.LBB54_988:
	s_or_b64 exec, exec, s[6:7]
	s_movk_i32 s4, 0x7f
	v_cmp_gt_i16_sdwa s[6:7], v4, s4 src0_sel:BYTE_3 src1_sel:DWORD
	s_mov_b64 s[4:5], 0
                                        ; implicit-def: $sgpr10
	s_and_saveexec_b64 s[8:9], s[6:7]
	s_xor_b64 s[6:7], exec, s[8:9]
	s_cbranch_execnz .LBB54_3037
; %bb.989:
	s_or_saveexec_b64 s[6:7], s[6:7]
	v_mov_b32_e32 v3, s10
	s_xor_b64 exec, exec, s[6:7]
	s_cbranch_execnz .LBB54_3040
.LBB54_990:
	s_or_b64 exec, exec, s[6:7]
	s_and_saveexec_b64 s[6:7], s[4:5]
	s_cbranch_execz .LBB54_992
.LBB54_991:
	v_bfe_u32 v3, v4, 24, 3
	v_ffbh_u32_e32 v10, v3
	v_min_u32_e32 v10, 32, v10
	v_lshrrev_b32_e32 v7, 27, v4
	v_subrev_u32_e32 v11, 28, v10
	v_and_b32_e32 v6, 0x80000000, v4
	v_and_b32_e32 v7, 15, v7
	v_bfe_u32 v8, v4, 27, 4
	v_lshlrev_b32_sdwa v4, v11, v4 dst_sel:DWORD dst_unused:UNUSED_PAD src0_sel:DWORD src1_sel:BYTE_3
	v_sub_u32_e32 v10, 29, v10
	v_and_b32_e32 v4, 7, v4
	v_cmp_eq_u16_e32 vcc, 0, v7
	v_cndmask_b32_e32 v3, v3, v4, vcc
	v_cndmask_b32_e32 v4, v8, v10, vcc
	v_mov_b32_e32 v7, 0x3b800000
	v_lshlrev_b32_e32 v3, 20, v3
	v_lshl_add_u32 v4, v4, 23, v7
	v_or3_b32 v3, v6, v4, v3
.LBB54_992:
	s_or_b64 exec, exec, s[6:7]
	s_nop 0
	v_mfma_f32_16x16x4f32 a[0:3], v2, v3, a[0:3]
	s_movk_i32 s4, 0x7f
	v_cmp_gt_i16_sdwa s[6:7], v9, s4 src0_sel:BYTE_0 src1_sel:DWORD
	s_mov_b64 s[4:5], 0
                                        ; implicit-def: $sgpr10
	s_and_saveexec_b64 s[8:9], s[6:7]
	s_xor_b64 s[6:7], exec, s[8:9]
	s_cbranch_execnz .LBB54_3041
; %bb.993:
	s_or_saveexec_b64 s[6:7], s[6:7]
	v_mov_b32_e32 v2, s10
	s_xor_b64 exec, exec, s[6:7]
	s_cbranch_execnz .LBB54_3044
.LBB54_994:
	s_or_b64 exec, exec, s[6:7]
	s_and_saveexec_b64 s[6:7], s[4:5]
	s_cbranch_execz .LBB54_996
.LBB54_995:
	v_mov_b32_e32 v2, 8
	v_and_b32_e32 v3, 7, v9
	v_lshrrev_b32_sdwa v2, v2, v9 dst_sel:BYTE_1 dst_unused:UNUSED_PAD src0_sel:DWORD src1_sel:DWORD
	v_ffbh_u32_e32 v4, v3
	v_or_b32_sdwa v2, v9, v2 dst_sel:DWORD dst_unused:UNUSED_PAD src0_sel:BYTE_0 src1_sel:DWORD
	v_min_u32_e32 v4, 32, v4
	v_lshrrev_b16_e32 v2, 3, v2
	v_subrev_u32_e32 v6, 28, v4
	v_and_b32_e32 v2, 15, v2
	v_lshlrev_b32_e32 v6, v6, v9
	v_sub_u32_e32 v4, 29, v4
	v_and_b32_e32 v6, 7, v6
	v_cmp_eq_u16_e32 vcc, 0, v2
	v_cndmask_b32_e32 v3, v3, v6, vcc
	v_cndmask_b32_e32 v2, v2, v4, vcc
	v_lshlrev_b32_e32 v4, 24, v9
	v_mov_b32_e32 v6, 0x3b800000
	v_lshlrev_b32_e32 v3, 20, v3
	v_and_b32_e32 v4, 0x80000000, v4
	v_lshl_add_u32 v2, v2, 23, v6
	v_or3_b32 v2, v4, v2, v3
.LBB54_996:
	s_or_b64 exec, exec, s[6:7]
	s_movk_i32 s4, 0x7f
	v_cmp_gt_i16_sdwa s[6:7], v5, s4 src0_sel:BYTE_0 src1_sel:DWORD
	s_mov_b64 s[4:5], 0
                                        ; implicit-def: $sgpr10
	s_and_saveexec_b64 s[8:9], s[6:7]
	s_xor_b64 s[6:7], exec, s[8:9]
	s_cbranch_execnz .LBB54_3045
; %bb.997:
	s_or_saveexec_b64 s[6:7], s[6:7]
	v_mov_b32_e32 v3, s10
	s_xor_b64 exec, exec, s[6:7]
	s_cbranch_execnz .LBB54_3048
.LBB54_998:
	s_or_b64 exec, exec, s[6:7]
	s_and_saveexec_b64 s[6:7], s[4:5]
	s_cbranch_execz .LBB54_1000
.LBB54_999:
	v_mov_b32_e32 v3, 8
	v_and_b32_e32 v4, 7, v5
	v_lshrrev_b32_sdwa v3, v3, v5 dst_sel:BYTE_1 dst_unused:UNUSED_PAD src0_sel:DWORD src1_sel:DWORD
	v_ffbh_u32_e32 v6, v4
	v_or_b32_sdwa v3, v5, v3 dst_sel:DWORD dst_unused:UNUSED_PAD src0_sel:BYTE_0 src1_sel:DWORD
	v_min_u32_e32 v6, 32, v6
	v_lshrrev_b16_e32 v3, 3, v3
	v_subrev_u32_e32 v7, 28, v6
	v_and_b32_e32 v3, 15, v3
	v_lshlrev_b32_e32 v7, v7, v5
	v_sub_u32_e32 v6, 29, v6
	v_and_b32_e32 v7, 7, v7
	v_cmp_eq_u16_e32 vcc, 0, v3
	v_cndmask_b32_e32 v4, v4, v7, vcc
	v_cndmask_b32_e32 v3, v3, v6, vcc
	v_lshlrev_b32_e32 v6, 24, v5
	v_mov_b32_e32 v7, 0x3b800000
	v_lshlrev_b32_e32 v4, 20, v4
	v_and_b32_e32 v6, 0x80000000, v6
	v_lshl_add_u32 v3, v3, 23, v7
	v_or3_b32 v3, v6, v3, v4
.LBB54_1000:
	s_or_b64 exec, exec, s[6:7]
	s_nop 0
	v_mfma_f32_16x16x4f32 a[0:3], v2, v3, a[0:3]
	v_lshrrev_b32_e32 v3, 8, v9
	s_movk_i32 s4, 0x7f
	v_cmp_gt_i16_sdwa s[6:7], v3, s4 src0_sel:BYTE_0 src1_sel:DWORD
	s_mov_b64 s[4:5], 0
                                        ; implicit-def: $sgpr10
	s_and_saveexec_b64 s[8:9], s[6:7]
	s_xor_b64 s[6:7], exec, s[8:9]
	s_cbranch_execnz .LBB54_3049
; %bb.1001:
	s_or_saveexec_b64 s[6:7], s[6:7]
	v_mov_b32_e32 v2, s10
	s_xor_b64 exec, exec, s[6:7]
	s_cbranch_execnz .LBB54_3052
.LBB54_1002:
	s_or_b64 exec, exec, s[6:7]
	s_and_saveexec_b64 s[6:7], s[4:5]
	s_cbranch_execz .LBB54_1004
.LBB54_1003:
	v_bfe_u32 v2, v9, 8, 3
	v_ffbh_u32_e32 v6, v2
	v_min_u32_e32 v6, 32, v6
	v_lshrrev_b16_e32 v4, 3, v3
	v_subrev_u32_e32 v7, 28, v6
	v_and_b32_e32 v4, 15, v4
	v_lshlrev_b32_e32 v3, v7, v3
	v_sub_u32_e32 v6, 29, v6
	v_and_b32_e32 v3, 7, v3
	v_cmp_eq_u16_e32 vcc, 0, v4
	v_cndmask_b32_e32 v2, v2, v3, vcc
	v_cndmask_b32_e32 v3, v4, v6, vcc
	v_lshlrev_b32_e32 v4, 16, v9
	v_mov_b32_e32 v6, 0x3b800000
	v_lshlrev_b32_e32 v2, 20, v2
	v_and_b32_e32 v4, 0x80000000, v4
	v_lshl_add_u32 v3, v3, 23, v6
	v_or3_b32 v2, v4, v3, v2
.LBB54_1004:
	s_or_b64 exec, exec, s[6:7]
	v_lshrrev_b32_e32 v3, 8, v5
	s_movk_i32 s4, 0x7f
	v_cmp_gt_i16_sdwa s[6:7], v3, s4 src0_sel:BYTE_0 src1_sel:DWORD
	s_mov_b64 s[4:5], 0
                                        ; implicit-def: $sgpr10
	s_and_saveexec_b64 s[8:9], s[6:7]
	s_xor_b64 s[6:7], exec, s[8:9]
	s_cbranch_execnz .LBB54_3053
; %bb.1005:
	s_or_saveexec_b64 s[6:7], s[6:7]
	v_mov_b32_e32 v4, s10
	s_xor_b64 exec, exec, s[6:7]
	s_cbranch_execnz .LBB54_3056
.LBB54_1006:
	s_or_b64 exec, exec, s[6:7]
	s_and_saveexec_b64 s[6:7], s[4:5]
	s_cbranch_execz .LBB54_1008
.LBB54_1007:
	v_bfe_u32 v4, v5, 8, 3
	v_ffbh_u32_e32 v7, v4
	v_min_u32_e32 v7, 32, v7
	v_lshrrev_b16_e32 v6, 3, v3
	v_subrev_u32_e32 v8, 28, v7
	v_and_b32_e32 v6, 15, v6
	v_lshlrev_b32_e32 v3, v8, v3
	v_sub_u32_e32 v7, 29, v7
	v_and_b32_e32 v3, 7, v3
	v_cmp_eq_u16_e32 vcc, 0, v6
	v_cndmask_b32_e32 v3, v4, v3, vcc
	v_cndmask_b32_e32 v4, v6, v7, vcc
	v_lshlrev_b32_e32 v6, 16, v5
	v_mov_b32_e32 v7, 0x3b800000
	v_lshlrev_b32_e32 v3, 20, v3
	v_and_b32_e32 v6, 0x80000000, v6
	v_lshl_add_u32 v4, v4, 23, v7
	v_or3_b32 v4, v6, v4, v3
.LBB54_1008:
	s_or_b64 exec, exec, s[6:7]
	s_nop 0
	v_mfma_f32_16x16x4f32 a[0:3], v2, v4, a[0:3]
	s_movk_i32 s4, 0xff
	v_and_b32_sdwa v3, v9, s4 dst_sel:DWORD dst_unused:UNUSED_PAD src0_sel:WORD_1 src1_sel:DWORD
	s_movk_i32 s4, 0x7f
	v_cmp_lt_i16_e32 vcc, s4, v3
	s_mov_b64 s[4:5], 0
                                        ; implicit-def: $sgpr10
	s_and_saveexec_b64 s[6:7], vcc
	s_xor_b64 s[6:7], exec, s[6:7]
	s_cbranch_execnz .LBB54_3057
; %bb.1009:
	s_or_saveexec_b64 s[6:7], s[6:7]
	v_mov_b32_e32 v2, s10
	s_xor_b64 exec, exec, s[6:7]
	s_cbranch_execnz .LBB54_3060
.LBB54_1010:
	s_or_b64 exec, exec, s[6:7]
	s_and_saveexec_b64 s[6:7], s[4:5]
	s_cbranch_execz .LBB54_1012
.LBB54_1011:
	v_bfe_u32 v2, v9, 16, 3
	v_ffbh_u32_e32 v6, v2
	v_min_u32_e32 v6, 32, v6
	v_lshrrev_b32_e32 v3, 19, v9
	v_subrev_u32_e32 v7, 28, v6
	v_and_b32_e32 v3, 15, v3
	v_lshlrev_b32_sdwa v7, v7, v9 dst_sel:DWORD dst_unused:UNUSED_PAD src0_sel:DWORD src1_sel:WORD_1
	v_bfe_u32 v4, v9, 19, 4
	v_sub_u32_e32 v6, 29, v6
	v_and_b32_e32 v7, 7, v7
	v_cmp_eq_u16_e32 vcc, 0, v3
	v_cndmask_b32_e32 v2, v2, v7, vcc
	v_cndmask_b32_e32 v3, v4, v6, vcc
	v_lshlrev_b32_e32 v4, 8, v9
	v_mov_b32_e32 v6, 0x3b800000
	v_lshlrev_b32_e32 v2, 20, v2
	v_and_b32_e32 v4, 0x80000000, v4
	v_lshl_add_u32 v3, v3, 23, v6
	v_or3_b32 v2, v4, v3, v2
.LBB54_1012:
	s_or_b64 exec, exec, s[6:7]
	s_movk_i32 s4, 0xff
	v_and_b32_sdwa v3, v5, s4 dst_sel:DWORD dst_unused:UNUSED_PAD src0_sel:WORD_1 src1_sel:DWORD
	s_movk_i32 s4, 0x7f
	v_cmp_lt_i16_e32 vcc, s4, v3
	s_mov_b64 s[4:5], 0
                                        ; implicit-def: $sgpr10
	s_and_saveexec_b64 s[6:7], vcc
	s_xor_b64 s[6:7], exec, s[6:7]
	s_cbranch_execnz .LBB54_3061
; %bb.1013:
	s_or_saveexec_b64 s[6:7], s[6:7]
	v_mov_b32_e32 v4, s10
	s_xor_b64 exec, exec, s[6:7]
	s_cbranch_execnz .LBB54_3064
.LBB54_1014:
	s_or_b64 exec, exec, s[6:7]
	s_and_saveexec_b64 s[6:7], s[4:5]
	s_cbranch_execz .LBB54_1016
.LBB54_1015:
	v_bfe_u32 v3, v5, 16, 3
	v_ffbh_u32_e32 v7, v3
	v_min_u32_e32 v7, 32, v7
	v_lshrrev_b32_e32 v4, 19, v5
	v_subrev_u32_e32 v8, 28, v7
	v_and_b32_e32 v4, 15, v4
	v_lshlrev_b32_sdwa v8, v8, v5 dst_sel:DWORD dst_unused:UNUSED_PAD src0_sel:DWORD src1_sel:WORD_1
	v_bfe_u32 v6, v5, 19, 4
	v_sub_u32_e32 v7, 29, v7
	v_and_b32_e32 v8, 7, v8
	v_cmp_eq_u16_e32 vcc, 0, v4
	v_cndmask_b32_e32 v3, v3, v8, vcc
	v_cndmask_b32_e32 v4, v6, v7, vcc
	v_lshlrev_b32_e32 v6, 8, v5
	v_mov_b32_e32 v7, 0x3b800000
	v_lshlrev_b32_e32 v3, 20, v3
	v_and_b32_e32 v6, 0x80000000, v6
	v_lshl_add_u32 v4, v4, 23, v7
	v_or3_b32 v4, v6, v4, v3
.LBB54_1016:
	s_or_b64 exec, exec, s[6:7]
	s_nop 0
	v_mfma_f32_16x16x4f32 a[0:3], v2, v4, a[0:3]
	s_movk_i32 s4, 0x7f
	v_cmp_gt_i16_sdwa s[6:7], v9, s4 src0_sel:BYTE_3 src1_sel:DWORD
	s_mov_b64 s[4:5], 0
                                        ; implicit-def: $sgpr10
	s_and_saveexec_b64 s[8:9], s[6:7]
	s_xor_b64 s[6:7], exec, s[8:9]
	s_cbranch_execnz .LBB54_3065
; %bb.1017:
	s_or_saveexec_b64 s[6:7], s[6:7]
	v_mov_b32_e32 v2, s10
	s_xor_b64 exec, exec, s[6:7]
	s_cbranch_execnz .LBB54_3068
.LBB54_1018:
	s_or_b64 exec, exec, s[6:7]
	s_and_saveexec_b64 s[6:7], s[4:5]
	s_cbranch_execz .LBB54_1020
.LBB54_1019:
	v_bfe_u32 v2, v9, 24, 3
	v_ffbh_u32_e32 v7, v2
	v_min_u32_e32 v7, 32, v7
	v_lshrrev_b32_e32 v4, 27, v9
	v_subrev_u32_e32 v8, 28, v7
	v_and_b32_e32 v4, 15, v4
	v_lshlrev_b32_sdwa v8, v8, v9 dst_sel:DWORD dst_unused:UNUSED_PAD src0_sel:DWORD src1_sel:BYTE_3
	v_bfe_u32 v6, v9, 27, 4
	v_sub_u32_e32 v7, 29, v7
	v_and_b32_e32 v8, 7, v8
	v_cmp_eq_u16_e32 vcc, 0, v4
	v_cndmask_b32_e32 v2, v2, v8, vcc
	v_cndmask_b32_e32 v4, v6, v7, vcc
	v_mov_b32_e32 v6, 0x3b800000
	v_and_b32_e32 v3, 0x80000000, v9
	v_lshlrev_b32_e32 v2, 20, v2
	v_lshl_add_u32 v4, v4, 23, v6
	v_or3_b32 v2, v3, v4, v2
.LBB54_1020:
	s_or_b64 exec, exec, s[6:7]
	s_movk_i32 s4, 0x7f
	v_cmp_gt_i16_sdwa s[6:7], v5, s4 src0_sel:BYTE_3 src1_sel:DWORD
	s_mov_b64 s[4:5], 0
                                        ; implicit-def: $sgpr10
	s_and_saveexec_b64 s[8:9], s[6:7]
	s_xor_b64 s[6:7], exec, s[8:9]
	s_cbranch_execnz .LBB54_3069
; %bb.1021:
	s_or_saveexec_b64 s[6:7], s[6:7]
	v_mov_b32_e32 v3, s10
	s_xor_b64 exec, exec, s[6:7]
	s_cbranch_execnz .LBB54_3072
.LBB54_1022:
	s_or_b64 exec, exec, s[6:7]
	s_and_saveexec_b64 s[6:7], s[4:5]
	s_cbranch_execz .LBB54_1024
.LBB54_1023:
	v_bfe_u32 v3, v5, 24, 3
	v_ffbh_u32_e32 v8, v3
	v_min_u32_e32 v8, 32, v8
	v_lshrrev_b32_e32 v6, 27, v5
	v_subrev_u32_e32 v9, 28, v8
	v_and_b32_e32 v4, 0x80000000, v5
	v_and_b32_e32 v6, 15, v6
	v_bfe_u32 v7, v5, 27, 4
	v_lshlrev_b32_sdwa v5, v9, v5 dst_sel:DWORD dst_unused:UNUSED_PAD src0_sel:DWORD src1_sel:BYTE_3
	v_sub_u32_e32 v8, 29, v8
	v_and_b32_e32 v5, 7, v5
	v_cmp_eq_u16_e32 vcc, 0, v6
	v_cndmask_b32_e32 v3, v3, v5, vcc
	v_cndmask_b32_e32 v5, v7, v8, vcc
	v_mov_b32_e32 v6, 0x3b800000
	v_lshlrev_b32_e32 v3, 20, v3
	v_lshl_add_u32 v5, v5, 23, v6
	v_or3_b32 v3, v4, v5, v3
.LBB54_1024:
	s_or_b64 exec, exec, s[6:7]
	s_nop 0
	v_mfma_f32_16x16x4f32 a[0:3], v2, v3, a[0:3]
	s_movk_i32 s4, 0x7f
                                        ; implicit-def: $sgpr10
	s_nop 7
	s_nop 1
	flat_store_dwordx4 v[18:19], a[0:3] offset:304
	flat_load_dwordx4 v[20:23], v[0:1] offset:8
	s_nop 0
	flat_load_dwordx2 v[18:19], v[0:1] offset:24
	s_waitcnt vmcnt(0) lgkmcnt(0)
	flat_load_dwordx4 v[14:17], v[20:21]
	flat_load_dwordx4 v[6:9], v[20:21] offset:16
	flat_load_dwordx4 v[10:13], v[22:23] offset:384
	;; [unrolled: 1-line block ×3, first 2 shown]
	s_waitcnt vmcnt(0) lgkmcnt(0)
	v_cmp_gt_i16_sdwa s[6:7], v14, s4 src0_sel:BYTE_0 src1_sel:DWORD
	s_mov_b64 s[4:5], 0
	s_and_saveexec_b64 s[8:9], s[6:7]
	s_xor_b64 s[6:7], exec, s[8:9]
	s_cbranch_execnz .LBB54_3073
; %bb.1025:
	s_or_saveexec_b64 s[6:7], s[6:7]
	v_mov_b32_e32 v20, s10
	s_xor_b64 exec, exec, s[6:7]
	s_cbranch_execnz .LBB54_3076
.LBB54_1026:
	s_or_b64 exec, exec, s[6:7]
	s_and_saveexec_b64 s[6:7], s[4:5]
	s_cbranch_execz .LBB54_1028
.LBB54_1027:
	v_and_b32_e32 v20, 7, v14
	v_ffbh_u32_e32 v22, v20
	v_min_u32_e32 v22, 32, v22
	v_lshrrev_b16_e32 v21, 3, v14
	v_subrev_u32_e32 v23, 28, v22
	v_and_b32_e32 v21, 15, v21
	v_lshlrev_b32_e32 v23, v23, v14
	v_sub_u32_e32 v22, 29, v22
	v_and_b32_e32 v23, 7, v23
	v_cmp_eq_u16_e32 vcc, 0, v21
	v_cndmask_b32_e32 v20, v20, v23, vcc
	v_cndmask_b32_e32 v21, v21, v22, vcc
	v_lshlrev_b32_e32 v22, 24, v14
	v_mov_b32_e32 v23, 0x3b800000
	v_lshlrev_b32_e32 v20, 20, v20
	v_and_b32_e32 v22, 0x80000000, v22
	v_lshl_add_u32 v21, v21, 23, v23
	v_or3_b32 v20, v22, v21, v20
.LBB54_1028:
	s_or_b64 exec, exec, s[6:7]
	s_movk_i32 s4, 0x7f
	v_cmp_gt_i16_sdwa s[6:7], v10, s4 src0_sel:BYTE_0 src1_sel:DWORD
	s_mov_b64 s[4:5], 0
                                        ; implicit-def: $sgpr10
	s_and_saveexec_b64 s[8:9], s[6:7]
	s_xor_b64 s[6:7], exec, s[8:9]
	s_cbranch_execnz .LBB54_3077
; %bb.1029:
	s_or_saveexec_b64 s[6:7], s[6:7]
	v_mov_b32_e32 v21, s10
	s_xor_b64 exec, exec, s[6:7]
	s_cbranch_execnz .LBB54_3080
.LBB54_1030:
	s_or_b64 exec, exec, s[6:7]
	s_and_saveexec_b64 s[6:7], s[4:5]
	s_cbranch_execz .LBB54_1032
.LBB54_1031:
	v_and_b32_e32 v21, 7, v10
	v_ffbh_u32_e32 v23, v21
	v_min_u32_e32 v23, 32, v23
	v_lshrrev_b16_e32 v22, 3, v10
	v_subrev_u32_e32 v24, 28, v23
	v_and_b32_e32 v22, 15, v22
	v_lshlrev_b32_e32 v24, v24, v10
	v_sub_u32_e32 v23, 29, v23
	v_and_b32_e32 v24, 7, v24
	v_cmp_eq_u16_e32 vcc, 0, v22
	v_cndmask_b32_e32 v21, v21, v24, vcc
	v_cndmask_b32_e32 v22, v22, v23, vcc
	v_lshlrev_b32_e32 v23, 24, v10
	v_mov_b32_e32 v24, 0x3b800000
	v_lshlrev_b32_e32 v21, 20, v21
	v_and_b32_e32 v23, 0x80000000, v23
	v_lshl_add_u32 v22, v22, 23, v24
	v_or3_b32 v21, v23, v22, v21
.LBB54_1032:
	s_or_b64 exec, exec, s[6:7]
	flat_load_dwordx4 a[0:3], v[18:19] offset:320
	s_movk_i32 s4, 0x7f
                                        ; implicit-def: $sgpr10
	s_waitcnt vmcnt(0) lgkmcnt(0)
	v_mfma_f32_16x16x4f32 a[0:3], v20, v21, a[0:3]
	v_lshrrev_b32_e32 v21, 8, v14
	v_cmp_gt_i16_sdwa s[6:7], v21, s4 src0_sel:BYTE_0 src1_sel:DWORD
	s_mov_b64 s[4:5], 0
	s_and_saveexec_b64 s[8:9], s[6:7]
	s_xor_b64 s[6:7], exec, s[8:9]
	s_cbranch_execnz .LBB54_3081
; %bb.1033:
	s_or_saveexec_b64 s[6:7], s[6:7]
	v_mov_b32_e32 v20, s10
	s_xor_b64 exec, exec, s[6:7]
	s_cbranch_execnz .LBB54_3084
.LBB54_1034:
	s_or_b64 exec, exec, s[6:7]
	s_and_saveexec_b64 s[6:7], s[4:5]
	s_cbranch_execz .LBB54_1036
.LBB54_1035:
	v_bfe_u32 v20, v14, 8, 3
	v_ffbh_u32_e32 v23, v20
	v_min_u32_e32 v23, 32, v23
	v_lshrrev_b16_e32 v22, 3, v21
	v_subrev_u32_e32 v24, 28, v23
	v_and_b32_e32 v22, 15, v22
	v_lshlrev_b32_e32 v21, v24, v21
	v_sub_u32_e32 v23, 29, v23
	v_and_b32_e32 v21, 7, v21
	v_cmp_eq_u16_e32 vcc, 0, v22
	v_cndmask_b32_e32 v20, v20, v21, vcc
	v_cndmask_b32_e32 v21, v22, v23, vcc
	v_lshlrev_b32_e32 v22, 16, v14
	v_mov_b32_e32 v23, 0x3b800000
	v_lshlrev_b32_e32 v20, 20, v20
	v_and_b32_e32 v22, 0x80000000, v22
	v_lshl_add_u32 v21, v21, 23, v23
	v_or3_b32 v20, v22, v21, v20
.LBB54_1036:
	s_or_b64 exec, exec, s[6:7]
	v_lshrrev_b32_e32 v21, 8, v10
	s_movk_i32 s4, 0x7f
	v_cmp_gt_i16_sdwa s[6:7], v21, s4 src0_sel:BYTE_0 src1_sel:DWORD
	s_mov_b64 s[4:5], 0
                                        ; implicit-def: $sgpr10
	s_and_saveexec_b64 s[8:9], s[6:7]
	s_xor_b64 s[6:7], exec, s[8:9]
	s_cbranch_execnz .LBB54_3085
; %bb.1037:
	s_or_saveexec_b64 s[6:7], s[6:7]
	v_mov_b32_e32 v22, s10
	s_xor_b64 exec, exec, s[6:7]
	s_cbranch_execnz .LBB54_3088
.LBB54_1038:
	s_or_b64 exec, exec, s[6:7]
	s_and_saveexec_b64 s[6:7], s[4:5]
	s_cbranch_execz .LBB54_1040
.LBB54_1039:
	v_bfe_u32 v22, v10, 8, 3
	v_ffbh_u32_e32 v24, v22
	v_min_u32_e32 v24, 32, v24
	v_lshrrev_b16_e32 v23, 3, v21
	v_subrev_u32_e32 v25, 28, v24
	v_and_b32_e32 v23, 15, v23
	v_lshlrev_b32_e32 v21, v25, v21
	v_sub_u32_e32 v24, 29, v24
	v_and_b32_e32 v21, 7, v21
	v_cmp_eq_u16_e32 vcc, 0, v23
	v_cndmask_b32_e32 v21, v22, v21, vcc
	v_cndmask_b32_e32 v22, v23, v24, vcc
	v_lshlrev_b32_e32 v23, 16, v10
	v_mov_b32_e32 v24, 0x3b800000
	v_lshlrev_b32_e32 v21, 20, v21
	v_and_b32_e32 v23, 0x80000000, v23
	v_lshl_add_u32 v22, v22, 23, v24
	v_or3_b32 v22, v23, v22, v21
.LBB54_1040:
	s_or_b64 exec, exec, s[6:7]
	s_nop 0
	v_mfma_f32_16x16x4f32 a[0:3], v20, v22, a[0:3]
	s_movk_i32 s4, 0xff
	v_and_b32_sdwa v21, v14, s4 dst_sel:DWORD dst_unused:UNUSED_PAD src0_sel:WORD_1 src1_sel:DWORD
	s_movk_i32 s4, 0x7f
	v_cmp_lt_i16_e32 vcc, s4, v21
	s_mov_b64 s[4:5], 0
                                        ; implicit-def: $sgpr10
	s_and_saveexec_b64 s[6:7], vcc
	s_xor_b64 s[6:7], exec, s[6:7]
	s_cbranch_execnz .LBB54_3089
; %bb.1041:
	s_or_saveexec_b64 s[6:7], s[6:7]
	v_mov_b32_e32 v20, s10
	s_xor_b64 exec, exec, s[6:7]
	s_cbranch_execnz .LBB54_3092
.LBB54_1042:
	s_or_b64 exec, exec, s[6:7]
	s_and_saveexec_b64 s[6:7], s[4:5]
	s_cbranch_execz .LBB54_1044
.LBB54_1043:
	v_bfe_u32 v20, v14, 16, 3
	v_ffbh_u32_e32 v23, v20
	v_min_u32_e32 v23, 32, v23
	v_lshrrev_b32_e32 v21, 19, v14
	v_subrev_u32_e32 v24, 28, v23
	v_and_b32_e32 v21, 15, v21
	v_lshlrev_b32_sdwa v24, v24, v14 dst_sel:DWORD dst_unused:UNUSED_PAD src0_sel:DWORD src1_sel:WORD_1
	v_bfe_u32 v22, v14, 19, 4
	v_sub_u32_e32 v23, 29, v23
	v_and_b32_e32 v24, 7, v24
	v_cmp_eq_u16_e32 vcc, 0, v21
	v_cndmask_b32_e32 v20, v20, v24, vcc
	v_cndmask_b32_e32 v21, v22, v23, vcc
	v_lshlrev_b32_e32 v22, 8, v14
	v_mov_b32_e32 v23, 0x3b800000
	v_lshlrev_b32_e32 v20, 20, v20
	v_and_b32_e32 v22, 0x80000000, v22
	v_lshl_add_u32 v21, v21, 23, v23
	v_or3_b32 v20, v22, v21, v20
.LBB54_1044:
	s_or_b64 exec, exec, s[6:7]
	s_movk_i32 s4, 0xff
	v_and_b32_sdwa v21, v10, s4 dst_sel:DWORD dst_unused:UNUSED_PAD src0_sel:WORD_1 src1_sel:DWORD
	s_movk_i32 s4, 0x7f
	v_cmp_lt_i16_e32 vcc, s4, v21
	s_mov_b64 s[4:5], 0
                                        ; implicit-def: $sgpr10
	s_and_saveexec_b64 s[6:7], vcc
	s_xor_b64 s[6:7], exec, s[6:7]
	s_cbranch_execnz .LBB54_3093
; %bb.1045:
	s_or_saveexec_b64 s[6:7], s[6:7]
	v_mov_b32_e32 v22, s10
	s_xor_b64 exec, exec, s[6:7]
	s_cbranch_execnz .LBB54_3096
.LBB54_1046:
	s_or_b64 exec, exec, s[6:7]
	s_and_saveexec_b64 s[6:7], s[4:5]
	s_cbranch_execz .LBB54_1048
.LBB54_1047:
	v_bfe_u32 v21, v10, 16, 3
	v_ffbh_u32_e32 v24, v21
	v_min_u32_e32 v24, 32, v24
	v_lshrrev_b32_e32 v22, 19, v10
	v_subrev_u32_e32 v25, 28, v24
	v_and_b32_e32 v22, 15, v22
	v_lshlrev_b32_sdwa v25, v25, v10 dst_sel:DWORD dst_unused:UNUSED_PAD src0_sel:DWORD src1_sel:WORD_1
	v_bfe_u32 v23, v10, 19, 4
	v_sub_u32_e32 v24, 29, v24
	v_and_b32_e32 v25, 7, v25
	v_cmp_eq_u16_e32 vcc, 0, v22
	v_cndmask_b32_e32 v21, v21, v25, vcc
	v_cndmask_b32_e32 v22, v23, v24, vcc
	v_lshlrev_b32_e32 v23, 8, v10
	v_mov_b32_e32 v24, 0x3b800000
	v_lshlrev_b32_e32 v21, 20, v21
	v_and_b32_e32 v23, 0x80000000, v23
	v_lshl_add_u32 v22, v22, 23, v24
	v_or3_b32 v22, v23, v22, v21
.LBB54_1048:
	s_or_b64 exec, exec, s[6:7]
	s_nop 0
	v_mfma_f32_16x16x4f32 a[0:3], v20, v22, a[0:3]
	s_movk_i32 s4, 0x7f
	v_cmp_gt_i16_sdwa s[6:7], v14, s4 src0_sel:BYTE_3 src1_sel:DWORD
	s_mov_b64 s[4:5], 0
                                        ; implicit-def: $sgpr10
	s_and_saveexec_b64 s[8:9], s[6:7]
	s_xor_b64 s[6:7], exec, s[8:9]
	s_cbranch_execnz .LBB54_3097
; %bb.1049:
	s_or_saveexec_b64 s[6:7], s[6:7]
	v_mov_b32_e32 v20, s10
	s_xor_b64 exec, exec, s[6:7]
	s_cbranch_execnz .LBB54_3100
.LBB54_1050:
	s_or_b64 exec, exec, s[6:7]
	s_and_saveexec_b64 s[6:7], s[4:5]
	s_cbranch_execz .LBB54_1052
.LBB54_1051:
	v_bfe_u32 v20, v14, 24, 3
	v_ffbh_u32_e32 v24, v20
	v_min_u32_e32 v24, 32, v24
	v_lshrrev_b32_e32 v22, 27, v14
	v_subrev_u32_e32 v25, 28, v24
	v_and_b32_e32 v21, 0x80000000, v14
	v_and_b32_e32 v22, 15, v22
	v_bfe_u32 v23, v14, 27, 4
	v_lshlrev_b32_sdwa v14, v25, v14 dst_sel:DWORD dst_unused:UNUSED_PAD src0_sel:DWORD src1_sel:BYTE_3
	v_sub_u32_e32 v24, 29, v24
	v_and_b32_e32 v14, 7, v14
	v_cmp_eq_u16_e32 vcc, 0, v22
	v_cndmask_b32_e32 v14, v20, v14, vcc
	v_cndmask_b32_e32 v20, v23, v24, vcc
	v_mov_b32_e32 v22, 0x3b800000
	v_lshlrev_b32_e32 v14, 20, v14
	v_lshl_add_u32 v20, v20, 23, v22
	v_or3_b32 v20, v21, v20, v14
.LBB54_1052:
	s_or_b64 exec, exec, s[6:7]
	s_movk_i32 s4, 0x7f
	v_cmp_gt_i16_sdwa s[6:7], v10, s4 src0_sel:BYTE_3 src1_sel:DWORD
	s_mov_b64 s[4:5], 0
                                        ; implicit-def: $sgpr10
	s_and_saveexec_b64 s[8:9], s[6:7]
	s_xor_b64 s[6:7], exec, s[8:9]
	s_cbranch_execnz .LBB54_3101
; %bb.1053:
	s_or_saveexec_b64 s[6:7], s[6:7]
	v_mov_b32_e32 v14, s10
	s_xor_b64 exec, exec, s[6:7]
	s_cbranch_execnz .LBB54_3104
.LBB54_1054:
	s_or_b64 exec, exec, s[6:7]
	s_and_saveexec_b64 s[6:7], s[4:5]
	s_cbranch_execz .LBB54_1056
.LBB54_1055:
	v_bfe_u32 v14, v10, 24, 3
	v_ffbh_u32_e32 v24, v14
	v_min_u32_e32 v24, 32, v24
	v_lshrrev_b32_e32 v22, 27, v10
	v_subrev_u32_e32 v25, 28, v24
	v_and_b32_e32 v21, 0x80000000, v10
	v_and_b32_e32 v22, 15, v22
	v_bfe_u32 v23, v10, 27, 4
	v_lshlrev_b32_sdwa v10, v25, v10 dst_sel:DWORD dst_unused:UNUSED_PAD src0_sel:DWORD src1_sel:BYTE_3
	v_sub_u32_e32 v24, 29, v24
	v_and_b32_e32 v10, 7, v10
	v_cmp_eq_u16_e32 vcc, 0, v22
	v_cndmask_b32_e32 v10, v14, v10, vcc
	v_cndmask_b32_e32 v14, v23, v24, vcc
	v_mov_b32_e32 v22, 0x3b800000
	v_lshlrev_b32_e32 v10, 20, v10
	v_lshl_add_u32 v14, v14, 23, v22
	v_or3_b32 v14, v21, v14, v10
.LBB54_1056:
	s_or_b64 exec, exec, s[6:7]
	s_nop 0
	v_mfma_f32_16x16x4f32 a[0:3], v20, v14, a[0:3]
	s_movk_i32 s4, 0x7f
	v_cmp_gt_i16_sdwa s[6:7], v15, s4 src0_sel:BYTE_0 src1_sel:DWORD
	s_mov_b64 s[4:5], 0
                                        ; implicit-def: $sgpr10
	s_and_saveexec_b64 s[8:9], s[6:7]
	s_xor_b64 s[6:7], exec, s[8:9]
	s_cbranch_execnz .LBB54_3105
; %bb.1057:
	s_or_saveexec_b64 s[6:7], s[6:7]
	v_mov_b32_e32 v10, s10
	s_xor_b64 exec, exec, s[6:7]
	s_cbranch_execnz .LBB54_3108
.LBB54_1058:
	s_or_b64 exec, exec, s[6:7]
	s_and_saveexec_b64 s[6:7], s[4:5]
	s_cbranch_execz .LBB54_1060
.LBB54_1059:
	v_and_b32_e32 v10, 7, v15
	v_ffbh_u32_e32 v20, v10
	v_min_u32_e32 v20, 32, v20
	v_lshrrev_b16_e32 v14, 3, v15
	v_subrev_u32_e32 v21, 28, v20
	v_and_b32_e32 v14, 15, v14
	v_lshlrev_b32_e32 v21, v21, v15
	v_sub_u32_e32 v20, 29, v20
	v_and_b32_e32 v21, 7, v21
	v_cmp_eq_u16_e32 vcc, 0, v14
	v_cndmask_b32_e32 v10, v10, v21, vcc
	v_cndmask_b32_e32 v14, v14, v20, vcc
	v_lshlrev_b32_e32 v20, 24, v15
	v_mov_b32_e32 v21, 0x3b800000
	v_lshlrev_b32_e32 v10, 20, v10
	v_and_b32_e32 v20, 0x80000000, v20
	v_lshl_add_u32 v14, v14, 23, v21
	v_or3_b32 v10, v20, v14, v10
.LBB54_1060:
	s_or_b64 exec, exec, s[6:7]
	s_movk_i32 s4, 0x7f
	v_cmp_gt_i16_sdwa s[6:7], v11, s4 src0_sel:BYTE_0 src1_sel:DWORD
	s_mov_b64 s[4:5], 0
                                        ; implicit-def: $sgpr10
	s_and_saveexec_b64 s[8:9], s[6:7]
	s_xor_b64 s[6:7], exec, s[8:9]
	s_cbranch_execnz .LBB54_3109
; %bb.1061:
	s_or_saveexec_b64 s[6:7], s[6:7]
	v_mov_b32_e32 v14, s10
	s_xor_b64 exec, exec, s[6:7]
	s_cbranch_execnz .LBB54_3112
.LBB54_1062:
	s_or_b64 exec, exec, s[6:7]
	s_and_saveexec_b64 s[6:7], s[4:5]
	s_cbranch_execz .LBB54_1064
.LBB54_1063:
	v_and_b32_e32 v14, 7, v11
	v_ffbh_u32_e32 v21, v14
	v_min_u32_e32 v21, 32, v21
	v_lshrrev_b16_e32 v20, 3, v11
	v_subrev_u32_e32 v22, 28, v21
	v_and_b32_e32 v20, 15, v20
	v_lshlrev_b32_e32 v22, v22, v11
	v_sub_u32_e32 v21, 29, v21
	v_and_b32_e32 v22, 7, v22
	v_cmp_eq_u16_e32 vcc, 0, v20
	v_cndmask_b32_e32 v14, v14, v22, vcc
	v_cndmask_b32_e32 v20, v20, v21, vcc
	v_lshlrev_b32_e32 v21, 24, v11
	v_mov_b32_e32 v22, 0x3b800000
	v_lshlrev_b32_e32 v14, 20, v14
	v_and_b32_e32 v21, 0x80000000, v21
	v_lshl_add_u32 v20, v20, 23, v22
	v_or3_b32 v14, v21, v20, v14
.LBB54_1064:
	s_or_b64 exec, exec, s[6:7]
	s_nop 0
	v_mfma_f32_16x16x4f32 a[0:3], v10, v14, a[0:3]
	v_lshrrev_b32_e32 v14, 8, v15
	s_movk_i32 s4, 0x7f
	v_cmp_gt_i16_sdwa s[6:7], v14, s4 src0_sel:BYTE_0 src1_sel:DWORD
	s_mov_b64 s[4:5], 0
                                        ; implicit-def: $sgpr10
	s_and_saveexec_b64 s[8:9], s[6:7]
	s_xor_b64 s[6:7], exec, s[8:9]
	s_cbranch_execnz .LBB54_3113
; %bb.1065:
	s_or_saveexec_b64 s[6:7], s[6:7]
	v_mov_b32_e32 v10, s10
	s_xor_b64 exec, exec, s[6:7]
	s_cbranch_execnz .LBB54_3116
.LBB54_1066:
	s_or_b64 exec, exec, s[6:7]
	s_and_saveexec_b64 s[6:7], s[4:5]
	s_cbranch_execz .LBB54_1068
.LBB54_1067:
	v_bfe_u32 v10, v15, 8, 3
	v_ffbh_u32_e32 v21, v10
	v_min_u32_e32 v21, 32, v21
	v_lshrrev_b16_e32 v20, 3, v14
	v_subrev_u32_e32 v22, 28, v21
	v_and_b32_e32 v20, 15, v20
	v_lshlrev_b32_e32 v14, v22, v14
	v_sub_u32_e32 v21, 29, v21
	v_and_b32_e32 v14, 7, v14
	v_cmp_eq_u16_e32 vcc, 0, v20
	v_cndmask_b32_e32 v10, v10, v14, vcc
	v_cndmask_b32_e32 v14, v20, v21, vcc
	v_lshlrev_b32_e32 v20, 16, v15
	v_mov_b32_e32 v21, 0x3b800000
	v_lshlrev_b32_e32 v10, 20, v10
	v_and_b32_e32 v20, 0x80000000, v20
	v_lshl_add_u32 v14, v14, 23, v21
	v_or3_b32 v10, v20, v14, v10
.LBB54_1068:
	s_or_b64 exec, exec, s[6:7]
	v_lshrrev_b32_e32 v14, 8, v11
	s_movk_i32 s4, 0x7f
	v_cmp_gt_i16_sdwa s[6:7], v14, s4 src0_sel:BYTE_0 src1_sel:DWORD
	s_mov_b64 s[4:5], 0
                                        ; implicit-def: $sgpr10
	s_and_saveexec_b64 s[8:9], s[6:7]
	s_xor_b64 s[6:7], exec, s[8:9]
	s_cbranch_execnz .LBB54_3117
; %bb.1069:
	s_or_saveexec_b64 s[6:7], s[6:7]
	v_mov_b32_e32 v20, s10
	s_xor_b64 exec, exec, s[6:7]
	s_cbranch_execnz .LBB54_3120
.LBB54_1070:
	s_or_b64 exec, exec, s[6:7]
	s_and_saveexec_b64 s[6:7], s[4:5]
	s_cbranch_execz .LBB54_1072
.LBB54_1071:
	v_bfe_u32 v20, v11, 8, 3
	v_ffbh_u32_e32 v22, v20
	v_min_u32_e32 v22, 32, v22
	v_lshrrev_b16_e32 v21, 3, v14
	v_subrev_u32_e32 v23, 28, v22
	v_and_b32_e32 v21, 15, v21
	v_lshlrev_b32_e32 v14, v23, v14
	v_sub_u32_e32 v22, 29, v22
	v_and_b32_e32 v14, 7, v14
	v_cmp_eq_u16_e32 vcc, 0, v21
	v_cndmask_b32_e32 v14, v20, v14, vcc
	v_cndmask_b32_e32 v20, v21, v22, vcc
	v_lshlrev_b32_e32 v21, 16, v11
	v_mov_b32_e32 v22, 0x3b800000
	v_lshlrev_b32_e32 v14, 20, v14
	v_and_b32_e32 v21, 0x80000000, v21
	v_lshl_add_u32 v20, v20, 23, v22
	v_or3_b32 v20, v21, v20, v14
.LBB54_1072:
	s_or_b64 exec, exec, s[6:7]
	s_nop 0
	v_mfma_f32_16x16x4f32 a[0:3], v10, v20, a[0:3]
	s_movk_i32 s4, 0xff
	v_and_b32_sdwa v14, v15, s4 dst_sel:DWORD dst_unused:UNUSED_PAD src0_sel:WORD_1 src1_sel:DWORD
	s_movk_i32 s4, 0x7f
	v_cmp_lt_i16_e32 vcc, s4, v14
	s_mov_b64 s[4:5], 0
                                        ; implicit-def: $sgpr10
	s_and_saveexec_b64 s[6:7], vcc
	s_xor_b64 s[6:7], exec, s[6:7]
	s_cbranch_execnz .LBB54_3121
; %bb.1073:
	s_or_saveexec_b64 s[6:7], s[6:7]
	v_mov_b32_e32 v10, s10
	s_xor_b64 exec, exec, s[6:7]
	s_cbranch_execnz .LBB54_3124
.LBB54_1074:
	s_or_b64 exec, exec, s[6:7]
	s_and_saveexec_b64 s[6:7], s[4:5]
	s_cbranch_execz .LBB54_1076
.LBB54_1075:
	v_bfe_u32 v10, v15, 16, 3
	v_ffbh_u32_e32 v21, v10
	v_min_u32_e32 v21, 32, v21
	v_lshrrev_b32_e32 v14, 19, v15
	v_subrev_u32_e32 v22, 28, v21
	v_and_b32_e32 v14, 15, v14
	v_lshlrev_b32_sdwa v22, v22, v15 dst_sel:DWORD dst_unused:UNUSED_PAD src0_sel:DWORD src1_sel:WORD_1
	v_bfe_u32 v20, v15, 19, 4
	v_sub_u32_e32 v21, 29, v21
	v_and_b32_e32 v22, 7, v22
	v_cmp_eq_u16_e32 vcc, 0, v14
	v_cndmask_b32_e32 v10, v10, v22, vcc
	v_cndmask_b32_e32 v14, v20, v21, vcc
	v_lshlrev_b32_e32 v20, 8, v15
	v_mov_b32_e32 v21, 0x3b800000
	v_lshlrev_b32_e32 v10, 20, v10
	v_and_b32_e32 v20, 0x80000000, v20
	v_lshl_add_u32 v14, v14, 23, v21
	v_or3_b32 v10, v20, v14, v10
.LBB54_1076:
	s_or_b64 exec, exec, s[6:7]
	s_movk_i32 s4, 0xff
	v_and_b32_sdwa v14, v11, s4 dst_sel:DWORD dst_unused:UNUSED_PAD src0_sel:WORD_1 src1_sel:DWORD
	s_movk_i32 s4, 0x7f
	v_cmp_lt_i16_e32 vcc, s4, v14
	s_mov_b64 s[4:5], 0
                                        ; implicit-def: $sgpr10
	s_and_saveexec_b64 s[6:7], vcc
	s_xor_b64 s[6:7], exec, s[6:7]
	s_cbranch_execnz .LBB54_3125
; %bb.1077:
	s_or_saveexec_b64 s[6:7], s[6:7]
	v_mov_b32_e32 v20, s10
	s_xor_b64 exec, exec, s[6:7]
	s_cbranch_execnz .LBB54_3128
.LBB54_1078:
	s_or_b64 exec, exec, s[6:7]
	s_and_saveexec_b64 s[6:7], s[4:5]
	s_cbranch_execz .LBB54_1080
.LBB54_1079:
	v_bfe_u32 v14, v11, 16, 3
	v_ffbh_u32_e32 v22, v14
	v_min_u32_e32 v22, 32, v22
	v_lshrrev_b32_e32 v20, 19, v11
	v_subrev_u32_e32 v23, 28, v22
	v_and_b32_e32 v20, 15, v20
	v_lshlrev_b32_sdwa v23, v23, v11 dst_sel:DWORD dst_unused:UNUSED_PAD src0_sel:DWORD src1_sel:WORD_1
	v_bfe_u32 v21, v11, 19, 4
	v_sub_u32_e32 v22, 29, v22
	v_and_b32_e32 v23, 7, v23
	v_cmp_eq_u16_e32 vcc, 0, v20
	v_cndmask_b32_e32 v14, v14, v23, vcc
	v_cndmask_b32_e32 v20, v21, v22, vcc
	v_lshlrev_b32_e32 v21, 8, v11
	v_mov_b32_e32 v22, 0x3b800000
	v_lshlrev_b32_e32 v14, 20, v14
	v_and_b32_e32 v21, 0x80000000, v21
	v_lshl_add_u32 v20, v20, 23, v22
	v_or3_b32 v20, v21, v20, v14
.LBB54_1080:
	s_or_b64 exec, exec, s[6:7]
	s_nop 0
	v_mfma_f32_16x16x4f32 a[0:3], v10, v20, a[0:3]
	s_movk_i32 s4, 0x7f
	v_cmp_gt_i16_sdwa s[6:7], v15, s4 src0_sel:BYTE_3 src1_sel:DWORD
	s_mov_b64 s[4:5], 0
                                        ; implicit-def: $sgpr10
	s_and_saveexec_b64 s[8:9], s[6:7]
	s_xor_b64 s[6:7], exec, s[8:9]
	s_cbranch_execnz .LBB54_3129
; %bb.1081:
	s_or_saveexec_b64 s[6:7], s[6:7]
	v_mov_b32_e32 v10, s10
	s_xor_b64 exec, exec, s[6:7]
	s_cbranch_execnz .LBB54_3132
.LBB54_1082:
	s_or_b64 exec, exec, s[6:7]
	s_and_saveexec_b64 s[6:7], s[4:5]
	s_cbranch_execz .LBB54_1084
.LBB54_1083:
	v_bfe_u32 v10, v15, 24, 3
	v_ffbh_u32_e32 v22, v10
	v_min_u32_e32 v22, 32, v22
	v_lshrrev_b32_e32 v20, 27, v15
	v_subrev_u32_e32 v23, 28, v22
	v_and_b32_e32 v14, 0x80000000, v15
	v_and_b32_e32 v20, 15, v20
	v_bfe_u32 v21, v15, 27, 4
	v_lshlrev_b32_sdwa v15, v23, v15 dst_sel:DWORD dst_unused:UNUSED_PAD src0_sel:DWORD src1_sel:BYTE_3
	v_sub_u32_e32 v22, 29, v22
	v_and_b32_e32 v15, 7, v15
	v_cmp_eq_u16_e32 vcc, 0, v20
	v_cndmask_b32_e32 v10, v10, v15, vcc
	v_cndmask_b32_e32 v15, v21, v22, vcc
	v_mov_b32_e32 v20, 0x3b800000
	v_lshlrev_b32_e32 v10, 20, v10
	v_lshl_add_u32 v15, v15, 23, v20
	v_or3_b32 v10, v14, v15, v10
.LBB54_1084:
	s_or_b64 exec, exec, s[6:7]
	s_movk_i32 s4, 0x7f
	v_cmp_gt_i16_sdwa s[6:7], v11, s4 src0_sel:BYTE_3 src1_sel:DWORD
	s_mov_b64 s[4:5], 0
                                        ; implicit-def: $sgpr10
	s_and_saveexec_b64 s[8:9], s[6:7]
	s_xor_b64 s[6:7], exec, s[8:9]
	s_cbranch_execnz .LBB54_3133
; %bb.1085:
	s_or_saveexec_b64 s[6:7], s[6:7]
	v_mov_b32_e32 v14, s10
	s_xor_b64 exec, exec, s[6:7]
	s_cbranch_execnz .LBB54_3136
.LBB54_1086:
	s_or_b64 exec, exec, s[6:7]
	s_and_saveexec_b64 s[6:7], s[4:5]
	s_cbranch_execz .LBB54_1088
.LBB54_1087:
	v_bfe_u32 v14, v11, 24, 3
	v_ffbh_u32_e32 v22, v14
	v_min_u32_e32 v22, 32, v22
	v_lshrrev_b32_e32 v20, 27, v11
	v_subrev_u32_e32 v23, 28, v22
	v_and_b32_e32 v15, 0x80000000, v11
	v_and_b32_e32 v20, 15, v20
	v_bfe_u32 v21, v11, 27, 4
	v_lshlrev_b32_sdwa v11, v23, v11 dst_sel:DWORD dst_unused:UNUSED_PAD src0_sel:DWORD src1_sel:BYTE_3
	v_sub_u32_e32 v22, 29, v22
	v_and_b32_e32 v11, 7, v11
	v_cmp_eq_u16_e32 vcc, 0, v20
	v_cndmask_b32_e32 v11, v14, v11, vcc
	v_cndmask_b32_e32 v14, v21, v22, vcc
	v_mov_b32_e32 v20, 0x3b800000
	v_lshlrev_b32_e32 v11, 20, v11
	v_lshl_add_u32 v14, v14, 23, v20
	v_or3_b32 v14, v15, v14, v11
.LBB54_1088:
	s_or_b64 exec, exec, s[6:7]
	s_nop 0
	v_mfma_f32_16x16x4f32 a[0:3], v10, v14, a[0:3]
	s_movk_i32 s4, 0x7f
	v_cmp_gt_i16_sdwa s[6:7], v16, s4 src0_sel:BYTE_0 src1_sel:DWORD
	s_mov_b64 s[4:5], 0
                                        ; implicit-def: $sgpr10
	s_and_saveexec_b64 s[8:9], s[6:7]
	s_xor_b64 s[6:7], exec, s[8:9]
	s_cbranch_execnz .LBB54_3137
; %bb.1089:
	s_or_saveexec_b64 s[6:7], s[6:7]
	v_mov_b32_e32 v10, s10
	s_xor_b64 exec, exec, s[6:7]
	s_cbranch_execnz .LBB54_3140
.LBB54_1090:
	s_or_b64 exec, exec, s[6:7]
	s_and_saveexec_b64 s[6:7], s[4:5]
	s_cbranch_execz .LBB54_1092
.LBB54_1091:
	v_and_b32_e32 v10, 7, v16
	v_ffbh_u32_e32 v14, v10
	v_min_u32_e32 v14, 32, v14
	v_lshrrev_b16_e32 v11, 3, v16
	v_subrev_u32_e32 v15, 28, v14
	v_and_b32_e32 v11, 15, v11
	v_lshlrev_b32_e32 v15, v15, v16
	v_sub_u32_e32 v14, 29, v14
	v_and_b32_e32 v15, 7, v15
	v_cmp_eq_u16_e32 vcc, 0, v11
	v_cndmask_b32_e32 v10, v10, v15, vcc
	v_cndmask_b32_e32 v11, v11, v14, vcc
	v_lshlrev_b32_e32 v14, 24, v16
	v_mov_b32_e32 v15, 0x3b800000
	v_lshlrev_b32_e32 v10, 20, v10
	v_and_b32_e32 v14, 0x80000000, v14
	v_lshl_add_u32 v11, v11, 23, v15
	v_or3_b32 v10, v14, v11, v10
.LBB54_1092:
	s_or_b64 exec, exec, s[6:7]
	s_movk_i32 s4, 0x7f
	v_cmp_gt_i16_sdwa s[6:7], v12, s4 src0_sel:BYTE_0 src1_sel:DWORD
	s_mov_b64 s[4:5], 0
                                        ; implicit-def: $sgpr10
	s_and_saveexec_b64 s[8:9], s[6:7]
	s_xor_b64 s[6:7], exec, s[8:9]
	s_cbranch_execnz .LBB54_3141
; %bb.1093:
	s_or_saveexec_b64 s[6:7], s[6:7]
	v_mov_b32_e32 v11, s10
	s_xor_b64 exec, exec, s[6:7]
	s_cbranch_execnz .LBB54_3144
.LBB54_1094:
	s_or_b64 exec, exec, s[6:7]
	s_and_saveexec_b64 s[6:7], s[4:5]
	s_cbranch_execz .LBB54_1096
.LBB54_1095:
	v_and_b32_e32 v11, 7, v12
	v_ffbh_u32_e32 v15, v11
	v_min_u32_e32 v15, 32, v15
	v_lshrrev_b16_e32 v14, 3, v12
	v_subrev_u32_e32 v20, 28, v15
	v_and_b32_e32 v14, 15, v14
	v_lshlrev_b32_e32 v20, v20, v12
	v_sub_u32_e32 v15, 29, v15
	v_and_b32_e32 v20, 7, v20
	v_cmp_eq_u16_e32 vcc, 0, v14
	v_cndmask_b32_e32 v11, v11, v20, vcc
	v_cndmask_b32_e32 v14, v14, v15, vcc
	v_lshlrev_b32_e32 v15, 24, v12
	v_mov_b32_e32 v20, 0x3b800000
	v_lshlrev_b32_e32 v11, 20, v11
	v_and_b32_e32 v15, 0x80000000, v15
	v_lshl_add_u32 v14, v14, 23, v20
	v_or3_b32 v11, v15, v14, v11
.LBB54_1096:
	s_or_b64 exec, exec, s[6:7]
	s_nop 0
	v_mfma_f32_16x16x4f32 a[0:3], v10, v11, a[0:3]
	v_lshrrev_b32_e32 v11, 8, v16
	s_movk_i32 s4, 0x7f
	v_cmp_gt_i16_sdwa s[6:7], v11, s4 src0_sel:BYTE_0 src1_sel:DWORD
	s_mov_b64 s[4:5], 0
                                        ; implicit-def: $sgpr10
	s_and_saveexec_b64 s[8:9], s[6:7]
	s_xor_b64 s[6:7], exec, s[8:9]
	s_cbranch_execnz .LBB54_3145
; %bb.1097:
	s_or_saveexec_b64 s[6:7], s[6:7]
	v_mov_b32_e32 v10, s10
	s_xor_b64 exec, exec, s[6:7]
	s_cbranch_execnz .LBB54_3148
.LBB54_1098:
	s_or_b64 exec, exec, s[6:7]
	s_and_saveexec_b64 s[6:7], s[4:5]
	s_cbranch_execz .LBB54_1100
.LBB54_1099:
	v_bfe_u32 v10, v16, 8, 3
	v_ffbh_u32_e32 v15, v10
	v_min_u32_e32 v15, 32, v15
	v_lshrrev_b16_e32 v14, 3, v11
	v_subrev_u32_e32 v20, 28, v15
	v_and_b32_e32 v14, 15, v14
	v_lshlrev_b32_e32 v11, v20, v11
	v_sub_u32_e32 v15, 29, v15
	v_and_b32_e32 v11, 7, v11
	v_cmp_eq_u16_e32 vcc, 0, v14
	v_cndmask_b32_e32 v10, v10, v11, vcc
	v_cndmask_b32_e32 v11, v14, v15, vcc
	v_lshlrev_b32_e32 v14, 16, v16
	v_mov_b32_e32 v15, 0x3b800000
	v_lshlrev_b32_e32 v10, 20, v10
	v_and_b32_e32 v14, 0x80000000, v14
	v_lshl_add_u32 v11, v11, 23, v15
	v_or3_b32 v10, v14, v11, v10
.LBB54_1100:
	s_or_b64 exec, exec, s[6:7]
	v_lshrrev_b32_e32 v11, 8, v12
	s_movk_i32 s4, 0x7f
	v_cmp_gt_i16_sdwa s[6:7], v11, s4 src0_sel:BYTE_0 src1_sel:DWORD
	s_mov_b64 s[4:5], 0
                                        ; implicit-def: $sgpr10
	s_and_saveexec_b64 s[8:9], s[6:7]
	s_xor_b64 s[6:7], exec, s[8:9]
	s_cbranch_execnz .LBB54_3149
; %bb.1101:
	s_or_saveexec_b64 s[6:7], s[6:7]
	v_mov_b32_e32 v14, s10
	s_xor_b64 exec, exec, s[6:7]
	s_cbranch_execnz .LBB54_3152
.LBB54_1102:
	s_or_b64 exec, exec, s[6:7]
	s_and_saveexec_b64 s[6:7], s[4:5]
	s_cbranch_execz .LBB54_1104
.LBB54_1103:
	v_bfe_u32 v14, v12, 8, 3
	v_ffbh_u32_e32 v20, v14
	v_min_u32_e32 v20, 32, v20
	v_lshrrev_b16_e32 v15, 3, v11
	v_subrev_u32_e32 v21, 28, v20
	v_and_b32_e32 v15, 15, v15
	v_lshlrev_b32_e32 v11, v21, v11
	v_sub_u32_e32 v20, 29, v20
	v_and_b32_e32 v11, 7, v11
	v_cmp_eq_u16_e32 vcc, 0, v15
	v_cndmask_b32_e32 v11, v14, v11, vcc
	v_cndmask_b32_e32 v14, v15, v20, vcc
	v_lshlrev_b32_e32 v15, 16, v12
	v_mov_b32_e32 v20, 0x3b800000
	v_lshlrev_b32_e32 v11, 20, v11
	v_and_b32_e32 v15, 0x80000000, v15
	v_lshl_add_u32 v14, v14, 23, v20
	v_or3_b32 v14, v15, v14, v11
.LBB54_1104:
	s_or_b64 exec, exec, s[6:7]
	s_nop 0
	v_mfma_f32_16x16x4f32 a[0:3], v10, v14, a[0:3]
	s_movk_i32 s4, 0xff
	v_and_b32_sdwa v11, v16, s4 dst_sel:DWORD dst_unused:UNUSED_PAD src0_sel:WORD_1 src1_sel:DWORD
	s_movk_i32 s4, 0x7f
	v_cmp_lt_i16_e32 vcc, s4, v11
	s_mov_b64 s[4:5], 0
                                        ; implicit-def: $sgpr10
	s_and_saveexec_b64 s[6:7], vcc
	s_xor_b64 s[6:7], exec, s[6:7]
	s_cbranch_execnz .LBB54_3153
; %bb.1105:
	s_or_saveexec_b64 s[6:7], s[6:7]
	v_mov_b32_e32 v10, s10
	s_xor_b64 exec, exec, s[6:7]
	s_cbranch_execnz .LBB54_3156
.LBB54_1106:
	s_or_b64 exec, exec, s[6:7]
	s_and_saveexec_b64 s[6:7], s[4:5]
	s_cbranch_execz .LBB54_1108
.LBB54_1107:
	v_bfe_u32 v10, v16, 16, 3
	v_ffbh_u32_e32 v15, v10
	v_min_u32_e32 v15, 32, v15
	v_lshrrev_b32_e32 v11, 19, v16
	v_subrev_u32_e32 v20, 28, v15
	v_and_b32_e32 v11, 15, v11
	v_lshlrev_b32_sdwa v20, v20, v16 dst_sel:DWORD dst_unused:UNUSED_PAD src0_sel:DWORD src1_sel:WORD_1
	v_bfe_u32 v14, v16, 19, 4
	v_sub_u32_e32 v15, 29, v15
	v_and_b32_e32 v20, 7, v20
	v_cmp_eq_u16_e32 vcc, 0, v11
	v_cndmask_b32_e32 v10, v10, v20, vcc
	v_cndmask_b32_e32 v11, v14, v15, vcc
	v_lshlrev_b32_e32 v14, 8, v16
	v_mov_b32_e32 v15, 0x3b800000
	v_lshlrev_b32_e32 v10, 20, v10
	v_and_b32_e32 v14, 0x80000000, v14
	v_lshl_add_u32 v11, v11, 23, v15
	v_or3_b32 v10, v14, v11, v10
.LBB54_1108:
	s_or_b64 exec, exec, s[6:7]
	s_movk_i32 s4, 0xff
	v_and_b32_sdwa v11, v12, s4 dst_sel:DWORD dst_unused:UNUSED_PAD src0_sel:WORD_1 src1_sel:DWORD
	s_movk_i32 s4, 0x7f
	v_cmp_lt_i16_e32 vcc, s4, v11
	s_mov_b64 s[4:5], 0
                                        ; implicit-def: $sgpr10
	s_and_saveexec_b64 s[6:7], vcc
	s_xor_b64 s[6:7], exec, s[6:7]
	s_cbranch_execnz .LBB54_3157
; %bb.1109:
	s_or_saveexec_b64 s[6:7], s[6:7]
	v_mov_b32_e32 v14, s10
	s_xor_b64 exec, exec, s[6:7]
	s_cbranch_execnz .LBB54_3160
.LBB54_1110:
	s_or_b64 exec, exec, s[6:7]
	s_and_saveexec_b64 s[6:7], s[4:5]
	s_cbranch_execz .LBB54_1112
.LBB54_1111:
	v_bfe_u32 v11, v12, 16, 3
	v_ffbh_u32_e32 v20, v11
	v_min_u32_e32 v20, 32, v20
	v_lshrrev_b32_e32 v14, 19, v12
	v_subrev_u32_e32 v21, 28, v20
	v_and_b32_e32 v14, 15, v14
	v_lshlrev_b32_sdwa v21, v21, v12 dst_sel:DWORD dst_unused:UNUSED_PAD src0_sel:DWORD src1_sel:WORD_1
	v_bfe_u32 v15, v12, 19, 4
	v_sub_u32_e32 v20, 29, v20
	v_and_b32_e32 v21, 7, v21
	v_cmp_eq_u16_e32 vcc, 0, v14
	v_cndmask_b32_e32 v11, v11, v21, vcc
	v_cndmask_b32_e32 v14, v15, v20, vcc
	v_lshlrev_b32_e32 v15, 8, v12
	v_mov_b32_e32 v20, 0x3b800000
	v_lshlrev_b32_e32 v11, 20, v11
	v_and_b32_e32 v15, 0x80000000, v15
	v_lshl_add_u32 v14, v14, 23, v20
	v_or3_b32 v14, v15, v14, v11
.LBB54_1112:
	s_or_b64 exec, exec, s[6:7]
	s_nop 0
	v_mfma_f32_16x16x4f32 a[0:3], v10, v14, a[0:3]
	s_movk_i32 s4, 0x7f
	v_cmp_gt_i16_sdwa s[6:7], v16, s4 src0_sel:BYTE_3 src1_sel:DWORD
	s_mov_b64 s[4:5], 0
                                        ; implicit-def: $sgpr10
	s_and_saveexec_b64 s[8:9], s[6:7]
	s_xor_b64 s[6:7], exec, s[8:9]
	s_cbranch_execnz .LBB54_3161
; %bb.1113:
	s_or_saveexec_b64 s[6:7], s[6:7]
	v_mov_b32_e32 v10, s10
	s_xor_b64 exec, exec, s[6:7]
	s_cbranch_execnz .LBB54_3164
.LBB54_1114:
	s_or_b64 exec, exec, s[6:7]
	s_and_saveexec_b64 s[6:7], s[4:5]
	s_cbranch_execz .LBB54_1116
.LBB54_1115:
	v_bfe_u32 v10, v16, 24, 3
	v_ffbh_u32_e32 v20, v10
	v_min_u32_e32 v20, 32, v20
	v_lshrrev_b32_e32 v14, 27, v16
	v_subrev_u32_e32 v21, 28, v20
	v_and_b32_e32 v11, 0x80000000, v16
	v_and_b32_e32 v14, 15, v14
	v_bfe_u32 v15, v16, 27, 4
	v_lshlrev_b32_sdwa v16, v21, v16 dst_sel:DWORD dst_unused:UNUSED_PAD src0_sel:DWORD src1_sel:BYTE_3
	v_sub_u32_e32 v20, 29, v20
	v_and_b32_e32 v16, 7, v16
	v_cmp_eq_u16_e32 vcc, 0, v14
	v_cndmask_b32_e32 v10, v10, v16, vcc
	v_cndmask_b32_e32 v14, v15, v20, vcc
	v_mov_b32_e32 v15, 0x3b800000
	v_lshlrev_b32_e32 v10, 20, v10
	v_lshl_add_u32 v14, v14, 23, v15
	v_or3_b32 v10, v11, v14, v10
.LBB54_1116:
	s_or_b64 exec, exec, s[6:7]
	s_movk_i32 s4, 0x7f
	v_cmp_gt_i16_sdwa s[6:7], v12, s4 src0_sel:BYTE_3 src1_sel:DWORD
	s_mov_b64 s[4:5], 0
                                        ; implicit-def: $sgpr10
	s_and_saveexec_b64 s[8:9], s[6:7]
	s_xor_b64 s[6:7], exec, s[8:9]
	s_cbranch_execnz .LBB54_3165
; %bb.1117:
	s_or_saveexec_b64 s[6:7], s[6:7]
	v_mov_b32_e32 v11, s10
	s_xor_b64 exec, exec, s[6:7]
	s_cbranch_execnz .LBB54_3168
.LBB54_1118:
	s_or_b64 exec, exec, s[6:7]
	s_and_saveexec_b64 s[6:7], s[4:5]
	s_cbranch_execz .LBB54_1120
.LBB54_1119:
	v_bfe_u32 v11, v12, 24, 3
	v_ffbh_u32_e32 v20, v11
	v_min_u32_e32 v20, 32, v20
	v_lshrrev_b32_e32 v15, 27, v12
	v_subrev_u32_e32 v21, 28, v20
	v_and_b32_e32 v14, 0x80000000, v12
	v_and_b32_e32 v15, 15, v15
	v_bfe_u32 v16, v12, 27, 4
	v_lshlrev_b32_sdwa v12, v21, v12 dst_sel:DWORD dst_unused:UNUSED_PAD src0_sel:DWORD src1_sel:BYTE_3
	v_sub_u32_e32 v20, 29, v20
	v_and_b32_e32 v12, 7, v12
	v_cmp_eq_u16_e32 vcc, 0, v15
	v_cndmask_b32_e32 v11, v11, v12, vcc
	v_cndmask_b32_e32 v12, v16, v20, vcc
	v_mov_b32_e32 v15, 0x3b800000
	v_lshlrev_b32_e32 v11, 20, v11
	v_lshl_add_u32 v12, v12, 23, v15
	v_or3_b32 v11, v14, v12, v11
.LBB54_1120:
	s_or_b64 exec, exec, s[6:7]
	s_nop 0
	v_mfma_f32_16x16x4f32 a[0:3], v10, v11, a[0:3]
	s_movk_i32 s4, 0x7f
	v_cmp_gt_i16_sdwa s[6:7], v17, s4 src0_sel:BYTE_0 src1_sel:DWORD
	s_mov_b64 s[4:5], 0
                                        ; implicit-def: $sgpr10
	s_and_saveexec_b64 s[8:9], s[6:7]
	s_xor_b64 s[6:7], exec, s[8:9]
	s_cbranch_execnz .LBB54_3169
; %bb.1121:
	s_or_saveexec_b64 s[6:7], s[6:7]
	v_mov_b32_e32 v10, s10
	s_xor_b64 exec, exec, s[6:7]
	s_cbranch_execnz .LBB54_3172
.LBB54_1122:
	s_or_b64 exec, exec, s[6:7]
	s_and_saveexec_b64 s[6:7], s[4:5]
	s_cbranch_execz .LBB54_1124
.LBB54_1123:
	v_and_b32_e32 v10, 7, v17
	v_ffbh_u32_e32 v12, v10
	v_min_u32_e32 v12, 32, v12
	v_lshrrev_b16_e32 v11, 3, v17
	v_subrev_u32_e32 v14, 28, v12
	v_and_b32_e32 v11, 15, v11
	v_lshlrev_b32_e32 v14, v14, v17
	v_sub_u32_e32 v12, 29, v12
	v_and_b32_e32 v14, 7, v14
	v_cmp_eq_u16_e32 vcc, 0, v11
	v_cndmask_b32_e32 v10, v10, v14, vcc
	v_cndmask_b32_e32 v11, v11, v12, vcc
	v_lshlrev_b32_e32 v12, 24, v17
	v_mov_b32_e32 v14, 0x3b800000
	v_lshlrev_b32_e32 v10, 20, v10
	v_and_b32_e32 v12, 0x80000000, v12
	v_lshl_add_u32 v11, v11, 23, v14
	v_or3_b32 v10, v12, v11, v10
.LBB54_1124:
	s_or_b64 exec, exec, s[6:7]
	s_movk_i32 s4, 0x7f
	v_cmp_gt_i16_sdwa s[6:7], v13, s4 src0_sel:BYTE_0 src1_sel:DWORD
	s_mov_b64 s[4:5], 0
                                        ; implicit-def: $sgpr10
	s_and_saveexec_b64 s[8:9], s[6:7]
	s_xor_b64 s[6:7], exec, s[8:9]
	s_cbranch_execnz .LBB54_3173
; %bb.1125:
	s_or_saveexec_b64 s[6:7], s[6:7]
	v_mov_b32_e32 v11, s10
	s_xor_b64 exec, exec, s[6:7]
	s_cbranch_execnz .LBB54_3176
.LBB54_1126:
	s_or_b64 exec, exec, s[6:7]
	s_and_saveexec_b64 s[6:7], s[4:5]
	s_cbranch_execz .LBB54_1128
.LBB54_1127:
	v_and_b32_e32 v11, 7, v13
	v_ffbh_u32_e32 v14, v11
	v_min_u32_e32 v14, 32, v14
	v_lshrrev_b16_e32 v12, 3, v13
	v_subrev_u32_e32 v15, 28, v14
	v_and_b32_e32 v12, 15, v12
	v_lshlrev_b32_e32 v15, v15, v13
	v_sub_u32_e32 v14, 29, v14
	v_and_b32_e32 v15, 7, v15
	v_cmp_eq_u16_e32 vcc, 0, v12
	v_cndmask_b32_e32 v11, v11, v15, vcc
	v_cndmask_b32_e32 v12, v12, v14, vcc
	v_lshlrev_b32_e32 v14, 24, v13
	v_mov_b32_e32 v15, 0x3b800000
	v_lshlrev_b32_e32 v11, 20, v11
	v_and_b32_e32 v14, 0x80000000, v14
	v_lshl_add_u32 v12, v12, 23, v15
	v_or3_b32 v11, v14, v12, v11
.LBB54_1128:
	s_or_b64 exec, exec, s[6:7]
	s_nop 0
	v_mfma_f32_16x16x4f32 a[0:3], v10, v11, a[0:3]
	v_lshrrev_b32_e32 v11, 8, v17
	s_movk_i32 s4, 0x7f
	v_cmp_gt_i16_sdwa s[6:7], v11, s4 src0_sel:BYTE_0 src1_sel:DWORD
	s_mov_b64 s[4:5], 0
                                        ; implicit-def: $sgpr10
	s_and_saveexec_b64 s[8:9], s[6:7]
	s_xor_b64 s[6:7], exec, s[8:9]
	s_cbranch_execnz .LBB54_3177
; %bb.1129:
	s_or_saveexec_b64 s[6:7], s[6:7]
	v_mov_b32_e32 v10, s10
	s_xor_b64 exec, exec, s[6:7]
	s_cbranch_execnz .LBB54_3180
.LBB54_1130:
	s_or_b64 exec, exec, s[6:7]
	s_and_saveexec_b64 s[6:7], s[4:5]
	s_cbranch_execz .LBB54_1132
.LBB54_1131:
	v_bfe_u32 v10, v17, 8, 3
	v_ffbh_u32_e32 v14, v10
	v_min_u32_e32 v14, 32, v14
	v_lshrrev_b16_e32 v12, 3, v11
	v_subrev_u32_e32 v15, 28, v14
	v_and_b32_e32 v12, 15, v12
	v_lshlrev_b32_e32 v11, v15, v11
	v_sub_u32_e32 v14, 29, v14
	v_and_b32_e32 v11, 7, v11
	v_cmp_eq_u16_e32 vcc, 0, v12
	v_cndmask_b32_e32 v10, v10, v11, vcc
	v_cndmask_b32_e32 v11, v12, v14, vcc
	v_lshlrev_b32_e32 v12, 16, v17
	v_mov_b32_e32 v14, 0x3b800000
	v_lshlrev_b32_e32 v10, 20, v10
	v_and_b32_e32 v12, 0x80000000, v12
	v_lshl_add_u32 v11, v11, 23, v14
	v_or3_b32 v10, v12, v11, v10
.LBB54_1132:
	s_or_b64 exec, exec, s[6:7]
	v_lshrrev_b32_e32 v11, 8, v13
	s_movk_i32 s4, 0x7f
	v_cmp_gt_i16_sdwa s[6:7], v11, s4 src0_sel:BYTE_0 src1_sel:DWORD
	s_mov_b64 s[4:5], 0
                                        ; implicit-def: $sgpr10
	s_and_saveexec_b64 s[8:9], s[6:7]
	s_xor_b64 s[6:7], exec, s[8:9]
	s_cbranch_execnz .LBB54_3181
; %bb.1133:
	s_or_saveexec_b64 s[6:7], s[6:7]
	v_mov_b32_e32 v12, s10
	s_xor_b64 exec, exec, s[6:7]
	s_cbranch_execnz .LBB54_3184
.LBB54_1134:
	s_or_b64 exec, exec, s[6:7]
	s_and_saveexec_b64 s[6:7], s[4:5]
	s_cbranch_execz .LBB54_1136
.LBB54_1135:
	v_bfe_u32 v12, v13, 8, 3
	v_ffbh_u32_e32 v15, v12
	v_min_u32_e32 v15, 32, v15
	v_lshrrev_b16_e32 v14, 3, v11
	v_subrev_u32_e32 v16, 28, v15
	v_and_b32_e32 v14, 15, v14
	v_lshlrev_b32_e32 v11, v16, v11
	v_sub_u32_e32 v15, 29, v15
	v_and_b32_e32 v11, 7, v11
	v_cmp_eq_u16_e32 vcc, 0, v14
	v_cndmask_b32_e32 v11, v12, v11, vcc
	v_cndmask_b32_e32 v12, v14, v15, vcc
	v_lshlrev_b32_e32 v14, 16, v13
	v_mov_b32_e32 v15, 0x3b800000
	v_lshlrev_b32_e32 v11, 20, v11
	v_and_b32_e32 v14, 0x80000000, v14
	v_lshl_add_u32 v12, v12, 23, v15
	v_or3_b32 v12, v14, v12, v11
.LBB54_1136:
	s_or_b64 exec, exec, s[6:7]
	s_nop 0
	v_mfma_f32_16x16x4f32 a[0:3], v10, v12, a[0:3]
	s_movk_i32 s4, 0xff
	v_and_b32_sdwa v11, v17, s4 dst_sel:DWORD dst_unused:UNUSED_PAD src0_sel:WORD_1 src1_sel:DWORD
	s_movk_i32 s4, 0x7f
	v_cmp_lt_i16_e32 vcc, s4, v11
	s_mov_b64 s[4:5], 0
                                        ; implicit-def: $sgpr10
	s_and_saveexec_b64 s[6:7], vcc
	s_xor_b64 s[6:7], exec, s[6:7]
	s_cbranch_execnz .LBB54_3185
; %bb.1137:
	s_or_saveexec_b64 s[6:7], s[6:7]
	v_mov_b32_e32 v10, s10
	s_xor_b64 exec, exec, s[6:7]
	s_cbranch_execnz .LBB54_3188
.LBB54_1138:
	s_or_b64 exec, exec, s[6:7]
	s_and_saveexec_b64 s[6:7], s[4:5]
	s_cbranch_execz .LBB54_1140
.LBB54_1139:
	v_bfe_u32 v10, v17, 16, 3
	v_ffbh_u32_e32 v14, v10
	v_min_u32_e32 v14, 32, v14
	v_lshrrev_b32_e32 v11, 19, v17
	v_subrev_u32_e32 v15, 28, v14
	v_and_b32_e32 v11, 15, v11
	v_lshlrev_b32_sdwa v15, v15, v17 dst_sel:DWORD dst_unused:UNUSED_PAD src0_sel:DWORD src1_sel:WORD_1
	v_bfe_u32 v12, v17, 19, 4
	v_sub_u32_e32 v14, 29, v14
	v_and_b32_e32 v15, 7, v15
	v_cmp_eq_u16_e32 vcc, 0, v11
	v_cndmask_b32_e32 v10, v10, v15, vcc
	v_cndmask_b32_e32 v11, v12, v14, vcc
	v_lshlrev_b32_e32 v12, 8, v17
	v_mov_b32_e32 v14, 0x3b800000
	v_lshlrev_b32_e32 v10, 20, v10
	v_and_b32_e32 v12, 0x80000000, v12
	v_lshl_add_u32 v11, v11, 23, v14
	v_or3_b32 v10, v12, v11, v10
.LBB54_1140:
	s_or_b64 exec, exec, s[6:7]
	s_movk_i32 s4, 0xff
	v_and_b32_sdwa v11, v13, s4 dst_sel:DWORD dst_unused:UNUSED_PAD src0_sel:WORD_1 src1_sel:DWORD
	s_movk_i32 s4, 0x7f
	v_cmp_lt_i16_e32 vcc, s4, v11
	s_mov_b64 s[4:5], 0
                                        ; implicit-def: $sgpr10
	s_and_saveexec_b64 s[6:7], vcc
	s_xor_b64 s[6:7], exec, s[6:7]
	s_cbranch_execnz .LBB54_3189
; %bb.1141:
	s_or_saveexec_b64 s[6:7], s[6:7]
	v_mov_b32_e32 v12, s10
	s_xor_b64 exec, exec, s[6:7]
	s_cbranch_execnz .LBB54_3192
.LBB54_1142:
	s_or_b64 exec, exec, s[6:7]
	s_and_saveexec_b64 s[6:7], s[4:5]
	s_cbranch_execz .LBB54_1144
.LBB54_1143:
	v_bfe_u32 v11, v13, 16, 3
	v_ffbh_u32_e32 v15, v11
	v_min_u32_e32 v15, 32, v15
	v_lshrrev_b32_e32 v12, 19, v13
	v_subrev_u32_e32 v16, 28, v15
	v_and_b32_e32 v12, 15, v12
	v_lshlrev_b32_sdwa v16, v16, v13 dst_sel:DWORD dst_unused:UNUSED_PAD src0_sel:DWORD src1_sel:WORD_1
	v_bfe_u32 v14, v13, 19, 4
	v_sub_u32_e32 v15, 29, v15
	v_and_b32_e32 v16, 7, v16
	v_cmp_eq_u16_e32 vcc, 0, v12
	v_cndmask_b32_e32 v11, v11, v16, vcc
	v_cndmask_b32_e32 v12, v14, v15, vcc
	v_lshlrev_b32_e32 v14, 8, v13
	v_mov_b32_e32 v15, 0x3b800000
	v_lshlrev_b32_e32 v11, 20, v11
	v_and_b32_e32 v14, 0x80000000, v14
	v_lshl_add_u32 v12, v12, 23, v15
	v_or3_b32 v12, v14, v12, v11
.LBB54_1144:
	s_or_b64 exec, exec, s[6:7]
	s_nop 0
	v_mfma_f32_16x16x4f32 a[0:3], v10, v12, a[0:3]
	s_movk_i32 s4, 0x7f
	v_cmp_gt_i16_sdwa s[6:7], v17, s4 src0_sel:BYTE_3 src1_sel:DWORD
	s_mov_b64 s[4:5], 0
                                        ; implicit-def: $sgpr10
	s_and_saveexec_b64 s[8:9], s[6:7]
	s_xor_b64 s[6:7], exec, s[8:9]
	s_cbranch_execnz .LBB54_3193
; %bb.1145:
	s_or_saveexec_b64 s[6:7], s[6:7]
	v_mov_b32_e32 v10, s10
	s_xor_b64 exec, exec, s[6:7]
	s_cbranch_execnz .LBB54_3196
.LBB54_1146:
	s_or_b64 exec, exec, s[6:7]
	s_and_saveexec_b64 s[6:7], s[4:5]
	s_cbranch_execz .LBB54_1148
.LBB54_1147:
	v_bfe_u32 v10, v17, 24, 3
	v_ffbh_u32_e32 v15, v10
	v_min_u32_e32 v15, 32, v15
	v_lshrrev_b32_e32 v12, 27, v17
	v_subrev_u32_e32 v16, 28, v15
	v_and_b32_e32 v12, 15, v12
	v_lshlrev_b32_sdwa v16, v16, v17 dst_sel:DWORD dst_unused:UNUSED_PAD src0_sel:DWORD src1_sel:BYTE_3
	v_bfe_u32 v14, v17, 27, 4
	v_sub_u32_e32 v15, 29, v15
	v_and_b32_e32 v16, 7, v16
	v_cmp_eq_u16_e32 vcc, 0, v12
	v_cndmask_b32_e32 v10, v10, v16, vcc
	v_cndmask_b32_e32 v12, v14, v15, vcc
	v_mov_b32_e32 v14, 0x3b800000
	v_and_b32_e32 v11, 0x80000000, v17
	v_lshlrev_b32_e32 v10, 20, v10
	v_lshl_add_u32 v12, v12, 23, v14
	v_or3_b32 v10, v11, v12, v10
.LBB54_1148:
	s_or_b64 exec, exec, s[6:7]
	s_movk_i32 s4, 0x7f
	v_cmp_gt_i16_sdwa s[6:7], v13, s4 src0_sel:BYTE_3 src1_sel:DWORD
	s_mov_b64 s[4:5], 0
                                        ; implicit-def: $sgpr10
	s_and_saveexec_b64 s[8:9], s[6:7]
	s_xor_b64 s[6:7], exec, s[8:9]
	s_cbranch_execnz .LBB54_3197
; %bb.1149:
	s_or_saveexec_b64 s[6:7], s[6:7]
	v_mov_b32_e32 v11, s10
	s_xor_b64 exec, exec, s[6:7]
	s_cbranch_execnz .LBB54_3200
.LBB54_1150:
	s_or_b64 exec, exec, s[6:7]
	s_and_saveexec_b64 s[6:7], s[4:5]
	s_cbranch_execz .LBB54_1152
.LBB54_1151:
	v_bfe_u32 v11, v13, 24, 3
	v_ffbh_u32_e32 v16, v11
	v_min_u32_e32 v16, 32, v16
	v_lshrrev_b32_e32 v14, 27, v13
	v_subrev_u32_e32 v17, 28, v16
	v_and_b32_e32 v12, 0x80000000, v13
	v_and_b32_e32 v14, 15, v14
	v_bfe_u32 v15, v13, 27, 4
	v_lshlrev_b32_sdwa v13, v17, v13 dst_sel:DWORD dst_unused:UNUSED_PAD src0_sel:DWORD src1_sel:BYTE_3
	v_sub_u32_e32 v16, 29, v16
	v_and_b32_e32 v13, 7, v13
	v_cmp_eq_u16_e32 vcc, 0, v14
	v_cndmask_b32_e32 v11, v11, v13, vcc
	v_cndmask_b32_e32 v13, v15, v16, vcc
	v_mov_b32_e32 v14, 0x3b800000
	v_lshlrev_b32_e32 v11, 20, v11
	v_lshl_add_u32 v13, v13, 23, v14
	v_or3_b32 v11, v12, v13, v11
.LBB54_1152:
	s_or_b64 exec, exec, s[6:7]
	s_nop 0
	v_mfma_f32_16x16x4f32 a[0:3], v10, v11, a[0:3]
	s_movk_i32 s4, 0x7f
	v_cmp_gt_i16_sdwa s[6:7], v6, s4 src0_sel:BYTE_0 src1_sel:DWORD
	s_mov_b64 s[4:5], 0
                                        ; implicit-def: $sgpr10
	s_and_saveexec_b64 s[8:9], s[6:7]
	s_xor_b64 s[6:7], exec, s[8:9]
	s_cbranch_execnz .LBB54_3201
; %bb.1153:
	s_or_saveexec_b64 s[6:7], s[6:7]
	v_mov_b32_e32 v10, s10
	s_xor_b64 exec, exec, s[6:7]
	s_cbranch_execnz .LBB54_3204
.LBB54_1154:
	s_or_b64 exec, exec, s[6:7]
	s_and_saveexec_b64 s[6:7], s[4:5]
	s_cbranch_execz .LBB54_1156
.LBB54_1155:
	v_and_b32_e32 v10, 7, v6
	v_ffbh_u32_e32 v12, v10
	v_min_u32_e32 v12, 32, v12
	v_lshrrev_b16_e32 v11, 3, v6
	v_subrev_u32_e32 v13, 28, v12
	v_and_b32_e32 v11, 15, v11
	v_lshlrev_b32_e32 v13, v13, v6
	v_sub_u32_e32 v12, 29, v12
	v_and_b32_e32 v13, 7, v13
	v_cmp_eq_u16_e32 vcc, 0, v11
	v_cndmask_b32_e32 v10, v10, v13, vcc
	v_cndmask_b32_e32 v11, v11, v12, vcc
	v_lshlrev_b32_e32 v12, 24, v6
	v_mov_b32_e32 v13, 0x3b800000
	v_lshlrev_b32_e32 v10, 20, v10
	v_and_b32_e32 v12, 0x80000000, v12
	v_lshl_add_u32 v11, v11, 23, v13
	v_or3_b32 v10, v12, v11, v10
.LBB54_1156:
	s_or_b64 exec, exec, s[6:7]
	s_movk_i32 s4, 0x7f
	v_cmp_gt_i16_sdwa s[6:7], v2, s4 src0_sel:BYTE_0 src1_sel:DWORD
	s_mov_b64 s[4:5], 0
                                        ; implicit-def: $sgpr10
	s_and_saveexec_b64 s[8:9], s[6:7]
	s_xor_b64 s[6:7], exec, s[8:9]
	s_cbranch_execnz .LBB54_3205
; %bb.1157:
	s_or_saveexec_b64 s[6:7], s[6:7]
	v_mov_b32_e32 v11, s10
	s_xor_b64 exec, exec, s[6:7]
	s_cbranch_execnz .LBB54_3208
.LBB54_1158:
	s_or_b64 exec, exec, s[6:7]
	s_and_saveexec_b64 s[6:7], s[4:5]
	s_cbranch_execz .LBB54_1160
.LBB54_1159:
	v_and_b32_e32 v11, 7, v2
	v_ffbh_u32_e32 v13, v11
	v_min_u32_e32 v13, 32, v13
	v_lshrrev_b16_e32 v12, 3, v2
	v_subrev_u32_e32 v14, 28, v13
	v_and_b32_e32 v12, 15, v12
	v_lshlrev_b32_e32 v14, v14, v2
	v_sub_u32_e32 v13, 29, v13
	v_and_b32_e32 v14, 7, v14
	v_cmp_eq_u16_e32 vcc, 0, v12
	v_cndmask_b32_e32 v11, v11, v14, vcc
	v_cndmask_b32_e32 v12, v12, v13, vcc
	v_lshlrev_b32_e32 v13, 24, v2
	v_mov_b32_e32 v14, 0x3b800000
	v_lshlrev_b32_e32 v11, 20, v11
	v_and_b32_e32 v13, 0x80000000, v13
	v_lshl_add_u32 v12, v12, 23, v14
	v_or3_b32 v11, v13, v12, v11
.LBB54_1160:
	s_or_b64 exec, exec, s[6:7]
	s_nop 0
	v_mfma_f32_16x16x4f32 a[0:3], v10, v11, a[0:3]
	v_lshrrev_b32_e32 v11, 8, v6
	s_movk_i32 s4, 0x7f
	v_cmp_gt_i16_sdwa s[6:7], v11, s4 src0_sel:BYTE_0 src1_sel:DWORD
	s_mov_b64 s[4:5], 0
                                        ; implicit-def: $sgpr10
	s_and_saveexec_b64 s[8:9], s[6:7]
	s_xor_b64 s[6:7], exec, s[8:9]
	s_cbranch_execnz .LBB54_3209
; %bb.1161:
	s_or_saveexec_b64 s[6:7], s[6:7]
	v_mov_b32_e32 v10, s10
	s_xor_b64 exec, exec, s[6:7]
	s_cbranch_execnz .LBB54_3212
.LBB54_1162:
	s_or_b64 exec, exec, s[6:7]
	s_and_saveexec_b64 s[6:7], s[4:5]
	s_cbranch_execz .LBB54_1164
.LBB54_1163:
	v_bfe_u32 v10, v6, 8, 3
	v_ffbh_u32_e32 v13, v10
	v_min_u32_e32 v13, 32, v13
	v_lshrrev_b16_e32 v12, 3, v11
	v_subrev_u32_e32 v14, 28, v13
	v_and_b32_e32 v12, 15, v12
	v_lshlrev_b32_e32 v11, v14, v11
	v_sub_u32_e32 v13, 29, v13
	v_and_b32_e32 v11, 7, v11
	v_cmp_eq_u16_e32 vcc, 0, v12
	v_cndmask_b32_e32 v10, v10, v11, vcc
	v_cndmask_b32_e32 v11, v12, v13, vcc
	v_lshlrev_b32_e32 v12, 16, v6
	v_mov_b32_e32 v13, 0x3b800000
	v_lshlrev_b32_e32 v10, 20, v10
	v_and_b32_e32 v12, 0x80000000, v12
	v_lshl_add_u32 v11, v11, 23, v13
	v_or3_b32 v10, v12, v11, v10
.LBB54_1164:
	s_or_b64 exec, exec, s[6:7]
	v_lshrrev_b32_e32 v11, 8, v2
	s_movk_i32 s4, 0x7f
	v_cmp_gt_i16_sdwa s[6:7], v11, s4 src0_sel:BYTE_0 src1_sel:DWORD
	s_mov_b64 s[4:5], 0
                                        ; implicit-def: $sgpr10
	s_and_saveexec_b64 s[8:9], s[6:7]
	s_xor_b64 s[6:7], exec, s[8:9]
	s_cbranch_execnz .LBB54_3213
; %bb.1165:
	s_or_saveexec_b64 s[6:7], s[6:7]
	v_mov_b32_e32 v12, s10
	s_xor_b64 exec, exec, s[6:7]
	s_cbranch_execnz .LBB54_3216
.LBB54_1166:
	s_or_b64 exec, exec, s[6:7]
	s_and_saveexec_b64 s[6:7], s[4:5]
	s_cbranch_execz .LBB54_1168
.LBB54_1167:
	v_bfe_u32 v12, v2, 8, 3
	v_ffbh_u32_e32 v14, v12
	v_min_u32_e32 v14, 32, v14
	v_lshrrev_b16_e32 v13, 3, v11
	v_subrev_u32_e32 v15, 28, v14
	v_and_b32_e32 v13, 15, v13
	v_lshlrev_b32_e32 v11, v15, v11
	v_sub_u32_e32 v14, 29, v14
	v_and_b32_e32 v11, 7, v11
	v_cmp_eq_u16_e32 vcc, 0, v13
	v_cndmask_b32_e32 v11, v12, v11, vcc
	v_cndmask_b32_e32 v12, v13, v14, vcc
	v_lshlrev_b32_e32 v13, 16, v2
	v_mov_b32_e32 v14, 0x3b800000
	v_lshlrev_b32_e32 v11, 20, v11
	v_and_b32_e32 v13, 0x80000000, v13
	v_lshl_add_u32 v12, v12, 23, v14
	v_or3_b32 v12, v13, v12, v11
.LBB54_1168:
	s_or_b64 exec, exec, s[6:7]
	s_nop 0
	v_mfma_f32_16x16x4f32 a[0:3], v10, v12, a[0:3]
	s_movk_i32 s4, 0xff
	v_and_b32_sdwa v11, v6, s4 dst_sel:DWORD dst_unused:UNUSED_PAD src0_sel:WORD_1 src1_sel:DWORD
	s_movk_i32 s4, 0x7f
	v_cmp_lt_i16_e32 vcc, s4, v11
	s_mov_b64 s[4:5], 0
                                        ; implicit-def: $sgpr10
	s_and_saveexec_b64 s[6:7], vcc
	s_xor_b64 s[6:7], exec, s[6:7]
	s_cbranch_execnz .LBB54_3217
; %bb.1169:
	s_or_saveexec_b64 s[6:7], s[6:7]
	v_mov_b32_e32 v10, s10
	s_xor_b64 exec, exec, s[6:7]
	s_cbranch_execnz .LBB54_3220
.LBB54_1170:
	s_or_b64 exec, exec, s[6:7]
	s_and_saveexec_b64 s[6:7], s[4:5]
	s_cbranch_execz .LBB54_1172
.LBB54_1171:
	v_bfe_u32 v10, v6, 16, 3
	v_ffbh_u32_e32 v13, v10
	v_min_u32_e32 v13, 32, v13
	v_lshrrev_b32_e32 v11, 19, v6
	v_subrev_u32_e32 v14, 28, v13
	v_and_b32_e32 v11, 15, v11
	v_lshlrev_b32_sdwa v14, v14, v6 dst_sel:DWORD dst_unused:UNUSED_PAD src0_sel:DWORD src1_sel:WORD_1
	v_bfe_u32 v12, v6, 19, 4
	v_sub_u32_e32 v13, 29, v13
	v_and_b32_e32 v14, 7, v14
	v_cmp_eq_u16_e32 vcc, 0, v11
	v_cndmask_b32_e32 v10, v10, v14, vcc
	v_cndmask_b32_e32 v11, v12, v13, vcc
	v_lshlrev_b32_e32 v12, 8, v6
	v_mov_b32_e32 v13, 0x3b800000
	v_lshlrev_b32_e32 v10, 20, v10
	v_and_b32_e32 v12, 0x80000000, v12
	v_lshl_add_u32 v11, v11, 23, v13
	v_or3_b32 v10, v12, v11, v10
.LBB54_1172:
	s_or_b64 exec, exec, s[6:7]
	s_movk_i32 s4, 0xff
	v_and_b32_sdwa v11, v2, s4 dst_sel:DWORD dst_unused:UNUSED_PAD src0_sel:WORD_1 src1_sel:DWORD
	s_movk_i32 s4, 0x7f
	v_cmp_lt_i16_e32 vcc, s4, v11
	s_mov_b64 s[4:5], 0
                                        ; implicit-def: $sgpr10
	s_and_saveexec_b64 s[6:7], vcc
	s_xor_b64 s[6:7], exec, s[6:7]
	s_cbranch_execnz .LBB54_3221
; %bb.1173:
	s_or_saveexec_b64 s[6:7], s[6:7]
	v_mov_b32_e32 v12, s10
	s_xor_b64 exec, exec, s[6:7]
	s_cbranch_execnz .LBB54_3224
.LBB54_1174:
	s_or_b64 exec, exec, s[6:7]
	s_and_saveexec_b64 s[6:7], s[4:5]
	s_cbranch_execz .LBB54_1176
.LBB54_1175:
	v_bfe_u32 v11, v2, 16, 3
	v_ffbh_u32_e32 v14, v11
	v_min_u32_e32 v14, 32, v14
	v_lshrrev_b32_e32 v12, 19, v2
	v_subrev_u32_e32 v15, 28, v14
	v_and_b32_e32 v12, 15, v12
	v_lshlrev_b32_sdwa v15, v15, v2 dst_sel:DWORD dst_unused:UNUSED_PAD src0_sel:DWORD src1_sel:WORD_1
	v_bfe_u32 v13, v2, 19, 4
	v_sub_u32_e32 v14, 29, v14
	v_and_b32_e32 v15, 7, v15
	v_cmp_eq_u16_e32 vcc, 0, v12
	v_cndmask_b32_e32 v11, v11, v15, vcc
	v_cndmask_b32_e32 v12, v13, v14, vcc
	v_lshlrev_b32_e32 v13, 8, v2
	v_mov_b32_e32 v14, 0x3b800000
	v_lshlrev_b32_e32 v11, 20, v11
	v_and_b32_e32 v13, 0x80000000, v13
	v_lshl_add_u32 v12, v12, 23, v14
	v_or3_b32 v12, v13, v12, v11
.LBB54_1176:
	s_or_b64 exec, exec, s[6:7]
	s_nop 0
	v_mfma_f32_16x16x4f32 a[0:3], v10, v12, a[0:3]
	s_movk_i32 s4, 0x7f
	v_cmp_gt_i16_sdwa s[6:7], v6, s4 src0_sel:BYTE_3 src1_sel:DWORD
	s_mov_b64 s[4:5], 0
                                        ; implicit-def: $sgpr10
	s_and_saveexec_b64 s[8:9], s[6:7]
	s_xor_b64 s[6:7], exec, s[8:9]
	s_cbranch_execnz .LBB54_3225
; %bb.1177:
	s_or_saveexec_b64 s[6:7], s[6:7]
	v_mov_b32_e32 v10, s10
	s_xor_b64 exec, exec, s[6:7]
	s_cbranch_execnz .LBB54_3228
.LBB54_1178:
	s_or_b64 exec, exec, s[6:7]
	s_and_saveexec_b64 s[6:7], s[4:5]
	s_cbranch_execz .LBB54_1180
.LBB54_1179:
	v_bfe_u32 v10, v6, 24, 3
	v_ffbh_u32_e32 v14, v10
	v_min_u32_e32 v14, 32, v14
	v_lshrrev_b32_e32 v12, 27, v6
	v_subrev_u32_e32 v15, 28, v14
	v_and_b32_e32 v11, 0x80000000, v6
	v_and_b32_e32 v12, 15, v12
	v_bfe_u32 v13, v6, 27, 4
	v_lshlrev_b32_sdwa v6, v15, v6 dst_sel:DWORD dst_unused:UNUSED_PAD src0_sel:DWORD src1_sel:BYTE_3
	v_sub_u32_e32 v14, 29, v14
	v_and_b32_e32 v6, 7, v6
	v_cmp_eq_u16_e32 vcc, 0, v12
	v_cndmask_b32_e32 v6, v10, v6, vcc
	v_cndmask_b32_e32 v10, v13, v14, vcc
	v_mov_b32_e32 v12, 0x3b800000
	v_lshlrev_b32_e32 v6, 20, v6
	v_lshl_add_u32 v10, v10, 23, v12
	v_or3_b32 v10, v11, v10, v6
.LBB54_1180:
	s_or_b64 exec, exec, s[6:7]
	s_movk_i32 s4, 0x7f
	v_cmp_gt_i16_sdwa s[6:7], v2, s4 src0_sel:BYTE_3 src1_sel:DWORD
	s_mov_b64 s[4:5], 0
                                        ; implicit-def: $sgpr10
	s_and_saveexec_b64 s[8:9], s[6:7]
	s_xor_b64 s[6:7], exec, s[8:9]
	s_cbranch_execnz .LBB54_3229
; %bb.1181:
	s_or_saveexec_b64 s[6:7], s[6:7]
	v_mov_b32_e32 v6, s10
	s_xor_b64 exec, exec, s[6:7]
	s_cbranch_execnz .LBB54_3232
.LBB54_1182:
	s_or_b64 exec, exec, s[6:7]
	s_and_saveexec_b64 s[6:7], s[4:5]
	s_cbranch_execz .LBB54_1184
.LBB54_1183:
	v_bfe_u32 v6, v2, 24, 3
	v_ffbh_u32_e32 v14, v6
	v_min_u32_e32 v14, 32, v14
	v_lshrrev_b32_e32 v12, 27, v2
	v_subrev_u32_e32 v15, 28, v14
	v_and_b32_e32 v11, 0x80000000, v2
	v_and_b32_e32 v12, 15, v12
	v_bfe_u32 v13, v2, 27, 4
	v_lshlrev_b32_sdwa v2, v15, v2 dst_sel:DWORD dst_unused:UNUSED_PAD src0_sel:DWORD src1_sel:BYTE_3
	v_sub_u32_e32 v14, 29, v14
	v_and_b32_e32 v2, 7, v2
	v_cmp_eq_u16_e32 vcc, 0, v12
	v_cndmask_b32_e32 v2, v6, v2, vcc
	v_cndmask_b32_e32 v6, v13, v14, vcc
	v_mov_b32_e32 v12, 0x3b800000
	v_lshlrev_b32_e32 v2, 20, v2
	v_lshl_add_u32 v6, v6, 23, v12
	v_or3_b32 v6, v11, v6, v2
.LBB54_1184:
	s_or_b64 exec, exec, s[6:7]
	s_nop 0
	v_mfma_f32_16x16x4f32 a[0:3], v10, v6, a[0:3]
	s_movk_i32 s4, 0x7f
	v_cmp_gt_i16_sdwa s[6:7], v7, s4 src0_sel:BYTE_0 src1_sel:DWORD
	s_mov_b64 s[4:5], 0
                                        ; implicit-def: $sgpr10
	s_and_saveexec_b64 s[8:9], s[6:7]
	s_xor_b64 s[6:7], exec, s[8:9]
	s_cbranch_execnz .LBB54_3233
; %bb.1185:
	s_or_saveexec_b64 s[6:7], s[6:7]
	v_mov_b32_e32 v2, s10
	s_xor_b64 exec, exec, s[6:7]
	s_cbranch_execnz .LBB54_3236
.LBB54_1186:
	s_or_b64 exec, exec, s[6:7]
	s_and_saveexec_b64 s[6:7], s[4:5]
	s_cbranch_execz .LBB54_1188
.LBB54_1187:
	v_and_b32_e32 v2, 7, v7
	v_ffbh_u32_e32 v10, v2
	v_min_u32_e32 v10, 32, v10
	v_lshrrev_b16_e32 v6, 3, v7
	v_subrev_u32_e32 v11, 28, v10
	v_and_b32_e32 v6, 15, v6
	v_lshlrev_b32_e32 v11, v11, v7
	v_sub_u32_e32 v10, 29, v10
	v_and_b32_e32 v11, 7, v11
	v_cmp_eq_u16_e32 vcc, 0, v6
	v_cndmask_b32_e32 v2, v2, v11, vcc
	v_cndmask_b32_e32 v6, v6, v10, vcc
	v_lshlrev_b32_e32 v10, 24, v7
	v_mov_b32_e32 v11, 0x3b800000
	v_lshlrev_b32_e32 v2, 20, v2
	v_and_b32_e32 v10, 0x80000000, v10
	v_lshl_add_u32 v6, v6, 23, v11
	v_or3_b32 v2, v10, v6, v2
.LBB54_1188:
	s_or_b64 exec, exec, s[6:7]
	s_movk_i32 s4, 0x7f
	v_cmp_gt_i16_sdwa s[6:7], v3, s4 src0_sel:BYTE_0 src1_sel:DWORD
	s_mov_b64 s[4:5], 0
                                        ; implicit-def: $sgpr10
	s_and_saveexec_b64 s[8:9], s[6:7]
	s_xor_b64 s[6:7], exec, s[8:9]
	s_cbranch_execnz .LBB54_3237
; %bb.1189:
	s_or_saveexec_b64 s[6:7], s[6:7]
	v_mov_b32_e32 v6, s10
	s_xor_b64 exec, exec, s[6:7]
	s_cbranch_execnz .LBB54_3240
.LBB54_1190:
	s_or_b64 exec, exec, s[6:7]
	s_and_saveexec_b64 s[6:7], s[4:5]
	s_cbranch_execz .LBB54_1192
.LBB54_1191:
	v_and_b32_e32 v6, 7, v3
	v_ffbh_u32_e32 v11, v6
	v_min_u32_e32 v11, 32, v11
	v_lshrrev_b16_e32 v10, 3, v3
	v_subrev_u32_e32 v12, 28, v11
	v_and_b32_e32 v10, 15, v10
	v_lshlrev_b32_e32 v12, v12, v3
	v_sub_u32_e32 v11, 29, v11
	v_and_b32_e32 v12, 7, v12
	v_cmp_eq_u16_e32 vcc, 0, v10
	v_cndmask_b32_e32 v6, v6, v12, vcc
	v_cndmask_b32_e32 v10, v10, v11, vcc
	v_lshlrev_b32_e32 v11, 24, v3
	v_mov_b32_e32 v12, 0x3b800000
	v_lshlrev_b32_e32 v6, 20, v6
	v_and_b32_e32 v11, 0x80000000, v11
	v_lshl_add_u32 v10, v10, 23, v12
	v_or3_b32 v6, v11, v10, v6
.LBB54_1192:
	s_or_b64 exec, exec, s[6:7]
	s_nop 0
	v_mfma_f32_16x16x4f32 a[0:3], v2, v6, a[0:3]
	v_lshrrev_b32_e32 v6, 8, v7
	s_movk_i32 s4, 0x7f
	v_cmp_gt_i16_sdwa s[6:7], v6, s4 src0_sel:BYTE_0 src1_sel:DWORD
	s_mov_b64 s[4:5], 0
                                        ; implicit-def: $sgpr10
	s_and_saveexec_b64 s[8:9], s[6:7]
	s_xor_b64 s[6:7], exec, s[8:9]
	s_cbranch_execnz .LBB54_3241
; %bb.1193:
	s_or_saveexec_b64 s[6:7], s[6:7]
	v_mov_b32_e32 v2, s10
	s_xor_b64 exec, exec, s[6:7]
	s_cbranch_execnz .LBB54_3244
.LBB54_1194:
	s_or_b64 exec, exec, s[6:7]
	s_and_saveexec_b64 s[6:7], s[4:5]
	s_cbranch_execz .LBB54_1196
.LBB54_1195:
	v_bfe_u32 v2, v7, 8, 3
	v_ffbh_u32_e32 v11, v2
	v_min_u32_e32 v11, 32, v11
	v_lshrrev_b16_e32 v10, 3, v6
	v_subrev_u32_e32 v12, 28, v11
	v_and_b32_e32 v10, 15, v10
	v_lshlrev_b32_e32 v6, v12, v6
	v_sub_u32_e32 v11, 29, v11
	v_and_b32_e32 v6, 7, v6
	v_cmp_eq_u16_e32 vcc, 0, v10
	v_cndmask_b32_e32 v2, v2, v6, vcc
	v_cndmask_b32_e32 v6, v10, v11, vcc
	v_lshlrev_b32_e32 v10, 16, v7
	v_mov_b32_e32 v11, 0x3b800000
	v_lshlrev_b32_e32 v2, 20, v2
	v_and_b32_e32 v10, 0x80000000, v10
	v_lshl_add_u32 v6, v6, 23, v11
	v_or3_b32 v2, v10, v6, v2
.LBB54_1196:
	s_or_b64 exec, exec, s[6:7]
	v_lshrrev_b32_e32 v6, 8, v3
	s_movk_i32 s4, 0x7f
	v_cmp_gt_i16_sdwa s[6:7], v6, s4 src0_sel:BYTE_0 src1_sel:DWORD
	s_mov_b64 s[4:5], 0
                                        ; implicit-def: $sgpr10
	s_and_saveexec_b64 s[8:9], s[6:7]
	s_xor_b64 s[6:7], exec, s[8:9]
	s_cbranch_execnz .LBB54_3245
; %bb.1197:
	s_or_saveexec_b64 s[6:7], s[6:7]
	v_mov_b32_e32 v10, s10
	s_xor_b64 exec, exec, s[6:7]
	s_cbranch_execnz .LBB54_3248
.LBB54_1198:
	s_or_b64 exec, exec, s[6:7]
	s_and_saveexec_b64 s[6:7], s[4:5]
	s_cbranch_execz .LBB54_1200
.LBB54_1199:
	v_bfe_u32 v10, v3, 8, 3
	v_ffbh_u32_e32 v12, v10
	v_min_u32_e32 v12, 32, v12
	v_lshrrev_b16_e32 v11, 3, v6
	v_subrev_u32_e32 v13, 28, v12
	v_and_b32_e32 v11, 15, v11
	v_lshlrev_b32_e32 v6, v13, v6
	v_sub_u32_e32 v12, 29, v12
	v_and_b32_e32 v6, 7, v6
	v_cmp_eq_u16_e32 vcc, 0, v11
	v_cndmask_b32_e32 v6, v10, v6, vcc
	v_cndmask_b32_e32 v10, v11, v12, vcc
	v_lshlrev_b32_e32 v11, 16, v3
	v_mov_b32_e32 v12, 0x3b800000
	v_lshlrev_b32_e32 v6, 20, v6
	v_and_b32_e32 v11, 0x80000000, v11
	v_lshl_add_u32 v10, v10, 23, v12
	v_or3_b32 v10, v11, v10, v6
.LBB54_1200:
	s_or_b64 exec, exec, s[6:7]
	s_nop 0
	v_mfma_f32_16x16x4f32 a[0:3], v2, v10, a[0:3]
	s_movk_i32 s4, 0xff
	v_and_b32_sdwa v6, v7, s4 dst_sel:DWORD dst_unused:UNUSED_PAD src0_sel:WORD_1 src1_sel:DWORD
	s_movk_i32 s4, 0x7f
	v_cmp_lt_i16_e32 vcc, s4, v6
	s_mov_b64 s[4:5], 0
                                        ; implicit-def: $sgpr10
	s_and_saveexec_b64 s[6:7], vcc
	s_xor_b64 s[6:7], exec, s[6:7]
	s_cbranch_execnz .LBB54_3249
; %bb.1201:
	s_or_saveexec_b64 s[6:7], s[6:7]
	v_mov_b32_e32 v2, s10
	s_xor_b64 exec, exec, s[6:7]
	s_cbranch_execnz .LBB54_3252
.LBB54_1202:
	s_or_b64 exec, exec, s[6:7]
	s_and_saveexec_b64 s[6:7], s[4:5]
	s_cbranch_execz .LBB54_1204
.LBB54_1203:
	v_bfe_u32 v2, v7, 16, 3
	v_ffbh_u32_e32 v11, v2
	v_min_u32_e32 v11, 32, v11
	v_lshrrev_b32_e32 v6, 19, v7
	v_subrev_u32_e32 v12, 28, v11
	v_and_b32_e32 v6, 15, v6
	v_lshlrev_b32_sdwa v12, v12, v7 dst_sel:DWORD dst_unused:UNUSED_PAD src0_sel:DWORD src1_sel:WORD_1
	v_bfe_u32 v10, v7, 19, 4
	v_sub_u32_e32 v11, 29, v11
	v_and_b32_e32 v12, 7, v12
	v_cmp_eq_u16_e32 vcc, 0, v6
	v_cndmask_b32_e32 v2, v2, v12, vcc
	v_cndmask_b32_e32 v6, v10, v11, vcc
	v_lshlrev_b32_e32 v10, 8, v7
	v_mov_b32_e32 v11, 0x3b800000
	v_lshlrev_b32_e32 v2, 20, v2
	v_and_b32_e32 v10, 0x80000000, v10
	v_lshl_add_u32 v6, v6, 23, v11
	v_or3_b32 v2, v10, v6, v2
.LBB54_1204:
	s_or_b64 exec, exec, s[6:7]
	s_movk_i32 s4, 0xff
	v_and_b32_sdwa v6, v3, s4 dst_sel:DWORD dst_unused:UNUSED_PAD src0_sel:WORD_1 src1_sel:DWORD
	s_movk_i32 s4, 0x7f
	v_cmp_lt_i16_e32 vcc, s4, v6
	s_mov_b64 s[4:5], 0
                                        ; implicit-def: $sgpr10
	s_and_saveexec_b64 s[6:7], vcc
	s_xor_b64 s[6:7], exec, s[6:7]
	s_cbranch_execnz .LBB54_3253
; %bb.1205:
	s_or_saveexec_b64 s[6:7], s[6:7]
	v_mov_b32_e32 v10, s10
	s_xor_b64 exec, exec, s[6:7]
	s_cbranch_execnz .LBB54_3256
.LBB54_1206:
	s_or_b64 exec, exec, s[6:7]
	s_and_saveexec_b64 s[6:7], s[4:5]
	s_cbranch_execz .LBB54_1208
.LBB54_1207:
	v_bfe_u32 v6, v3, 16, 3
	v_ffbh_u32_e32 v12, v6
	v_min_u32_e32 v12, 32, v12
	v_lshrrev_b32_e32 v10, 19, v3
	v_subrev_u32_e32 v13, 28, v12
	v_and_b32_e32 v10, 15, v10
	v_lshlrev_b32_sdwa v13, v13, v3 dst_sel:DWORD dst_unused:UNUSED_PAD src0_sel:DWORD src1_sel:WORD_1
	v_bfe_u32 v11, v3, 19, 4
	v_sub_u32_e32 v12, 29, v12
	v_and_b32_e32 v13, 7, v13
	v_cmp_eq_u16_e32 vcc, 0, v10
	v_cndmask_b32_e32 v6, v6, v13, vcc
	v_cndmask_b32_e32 v10, v11, v12, vcc
	v_lshlrev_b32_e32 v11, 8, v3
	v_mov_b32_e32 v12, 0x3b800000
	v_lshlrev_b32_e32 v6, 20, v6
	v_and_b32_e32 v11, 0x80000000, v11
	v_lshl_add_u32 v10, v10, 23, v12
	v_or3_b32 v10, v11, v10, v6
.LBB54_1208:
	s_or_b64 exec, exec, s[6:7]
	s_nop 0
	v_mfma_f32_16x16x4f32 a[0:3], v2, v10, a[0:3]
	s_movk_i32 s4, 0x7f
	v_cmp_gt_i16_sdwa s[6:7], v7, s4 src0_sel:BYTE_3 src1_sel:DWORD
	s_mov_b64 s[4:5], 0
                                        ; implicit-def: $sgpr10
	s_and_saveexec_b64 s[8:9], s[6:7]
	s_xor_b64 s[6:7], exec, s[8:9]
	s_cbranch_execnz .LBB54_3257
; %bb.1209:
	s_or_saveexec_b64 s[6:7], s[6:7]
	v_mov_b32_e32 v2, s10
	s_xor_b64 exec, exec, s[6:7]
	s_cbranch_execnz .LBB54_3260
.LBB54_1210:
	s_or_b64 exec, exec, s[6:7]
	s_and_saveexec_b64 s[6:7], s[4:5]
	s_cbranch_execz .LBB54_1212
.LBB54_1211:
	v_bfe_u32 v2, v7, 24, 3
	v_ffbh_u32_e32 v12, v2
	v_min_u32_e32 v12, 32, v12
	v_lshrrev_b32_e32 v10, 27, v7
	v_subrev_u32_e32 v13, 28, v12
	v_and_b32_e32 v6, 0x80000000, v7
	v_and_b32_e32 v10, 15, v10
	v_bfe_u32 v11, v7, 27, 4
	v_lshlrev_b32_sdwa v7, v13, v7 dst_sel:DWORD dst_unused:UNUSED_PAD src0_sel:DWORD src1_sel:BYTE_3
	v_sub_u32_e32 v12, 29, v12
	v_and_b32_e32 v7, 7, v7
	v_cmp_eq_u16_e32 vcc, 0, v10
	v_cndmask_b32_e32 v2, v2, v7, vcc
	v_cndmask_b32_e32 v7, v11, v12, vcc
	v_mov_b32_e32 v10, 0x3b800000
	v_lshlrev_b32_e32 v2, 20, v2
	v_lshl_add_u32 v7, v7, 23, v10
	v_or3_b32 v2, v6, v7, v2
.LBB54_1212:
	s_or_b64 exec, exec, s[6:7]
	s_movk_i32 s4, 0x7f
	v_cmp_gt_i16_sdwa s[6:7], v3, s4 src0_sel:BYTE_3 src1_sel:DWORD
	s_mov_b64 s[4:5], 0
                                        ; implicit-def: $sgpr10
	s_and_saveexec_b64 s[8:9], s[6:7]
	s_xor_b64 s[6:7], exec, s[8:9]
	s_cbranch_execnz .LBB54_3261
; %bb.1213:
	s_or_saveexec_b64 s[6:7], s[6:7]
	v_mov_b32_e32 v6, s10
	s_xor_b64 exec, exec, s[6:7]
	s_cbranch_execnz .LBB54_3264
.LBB54_1214:
	s_or_b64 exec, exec, s[6:7]
	s_and_saveexec_b64 s[6:7], s[4:5]
	s_cbranch_execz .LBB54_1216
.LBB54_1215:
	v_bfe_u32 v6, v3, 24, 3
	v_ffbh_u32_e32 v12, v6
	v_min_u32_e32 v12, 32, v12
	v_lshrrev_b32_e32 v10, 27, v3
	v_subrev_u32_e32 v13, 28, v12
	v_and_b32_e32 v7, 0x80000000, v3
	v_and_b32_e32 v10, 15, v10
	v_bfe_u32 v11, v3, 27, 4
	v_lshlrev_b32_sdwa v3, v13, v3 dst_sel:DWORD dst_unused:UNUSED_PAD src0_sel:DWORD src1_sel:BYTE_3
	v_sub_u32_e32 v12, 29, v12
	v_and_b32_e32 v3, 7, v3
	v_cmp_eq_u16_e32 vcc, 0, v10
	v_cndmask_b32_e32 v3, v6, v3, vcc
	v_cndmask_b32_e32 v6, v11, v12, vcc
	v_mov_b32_e32 v10, 0x3b800000
	v_lshlrev_b32_e32 v3, 20, v3
	v_lshl_add_u32 v6, v6, 23, v10
	v_or3_b32 v6, v7, v6, v3
.LBB54_1216:
	s_or_b64 exec, exec, s[6:7]
	s_nop 0
	v_mfma_f32_16x16x4f32 a[0:3], v2, v6, a[0:3]
	s_movk_i32 s4, 0x7f
	v_cmp_gt_i16_sdwa s[6:7], v8, s4 src0_sel:BYTE_0 src1_sel:DWORD
	s_mov_b64 s[4:5], 0
                                        ; implicit-def: $sgpr10
	s_and_saveexec_b64 s[8:9], s[6:7]
	s_xor_b64 s[6:7], exec, s[8:9]
	s_cbranch_execnz .LBB54_3265
; %bb.1217:
	s_or_saveexec_b64 s[6:7], s[6:7]
	v_mov_b32_e32 v2, s10
	s_xor_b64 exec, exec, s[6:7]
	s_cbranch_execnz .LBB54_3268
.LBB54_1218:
	s_or_b64 exec, exec, s[6:7]
	s_and_saveexec_b64 s[6:7], s[4:5]
	s_cbranch_execz .LBB54_1220
.LBB54_1219:
	v_and_b32_e32 v2, 7, v8
	v_ffbh_u32_e32 v6, v2
	v_min_u32_e32 v6, 32, v6
	v_lshrrev_b16_e32 v3, 3, v8
	v_subrev_u32_e32 v7, 28, v6
	v_and_b32_e32 v3, 15, v3
	v_lshlrev_b32_e32 v7, v7, v8
	v_sub_u32_e32 v6, 29, v6
	v_and_b32_e32 v7, 7, v7
	v_cmp_eq_u16_e32 vcc, 0, v3
	v_cndmask_b32_e32 v2, v2, v7, vcc
	v_cndmask_b32_e32 v3, v3, v6, vcc
	v_lshlrev_b32_e32 v6, 24, v8
	v_mov_b32_e32 v7, 0x3b800000
	v_lshlrev_b32_e32 v2, 20, v2
	v_and_b32_e32 v6, 0x80000000, v6
	v_lshl_add_u32 v3, v3, 23, v7
	v_or3_b32 v2, v6, v3, v2
.LBB54_1220:
	s_or_b64 exec, exec, s[6:7]
	s_movk_i32 s4, 0x7f
	v_cmp_gt_i16_sdwa s[6:7], v4, s4 src0_sel:BYTE_0 src1_sel:DWORD
	s_mov_b64 s[4:5], 0
                                        ; implicit-def: $sgpr10
	s_and_saveexec_b64 s[8:9], s[6:7]
	s_xor_b64 s[6:7], exec, s[8:9]
	s_cbranch_execnz .LBB54_3269
; %bb.1221:
	s_or_saveexec_b64 s[6:7], s[6:7]
	v_mov_b32_e32 v3, s10
	s_xor_b64 exec, exec, s[6:7]
	s_cbranch_execnz .LBB54_3272
.LBB54_1222:
	s_or_b64 exec, exec, s[6:7]
	s_and_saveexec_b64 s[6:7], s[4:5]
	s_cbranch_execz .LBB54_1224
.LBB54_1223:
	v_and_b32_e32 v3, 7, v4
	v_ffbh_u32_e32 v7, v3
	v_min_u32_e32 v7, 32, v7
	v_lshrrev_b16_e32 v6, 3, v4
	v_subrev_u32_e32 v10, 28, v7
	v_and_b32_e32 v6, 15, v6
	v_lshlrev_b32_e32 v10, v10, v4
	v_sub_u32_e32 v7, 29, v7
	v_and_b32_e32 v10, 7, v10
	v_cmp_eq_u16_e32 vcc, 0, v6
	v_cndmask_b32_e32 v3, v3, v10, vcc
	v_cndmask_b32_e32 v6, v6, v7, vcc
	v_lshlrev_b32_e32 v7, 24, v4
	v_mov_b32_e32 v10, 0x3b800000
	v_lshlrev_b32_e32 v3, 20, v3
	v_and_b32_e32 v7, 0x80000000, v7
	v_lshl_add_u32 v6, v6, 23, v10
	v_or3_b32 v3, v7, v6, v3
.LBB54_1224:
	s_or_b64 exec, exec, s[6:7]
	s_nop 0
	v_mfma_f32_16x16x4f32 a[0:3], v2, v3, a[0:3]
	v_lshrrev_b32_e32 v3, 8, v8
	s_movk_i32 s4, 0x7f
	v_cmp_gt_i16_sdwa s[6:7], v3, s4 src0_sel:BYTE_0 src1_sel:DWORD
	s_mov_b64 s[4:5], 0
                                        ; implicit-def: $sgpr10
	s_and_saveexec_b64 s[8:9], s[6:7]
	s_xor_b64 s[6:7], exec, s[8:9]
	s_cbranch_execnz .LBB54_3273
; %bb.1225:
	s_or_saveexec_b64 s[6:7], s[6:7]
	v_mov_b32_e32 v2, s10
	s_xor_b64 exec, exec, s[6:7]
	s_cbranch_execnz .LBB54_3276
.LBB54_1226:
	s_or_b64 exec, exec, s[6:7]
	s_and_saveexec_b64 s[6:7], s[4:5]
	s_cbranch_execz .LBB54_1228
.LBB54_1227:
	v_bfe_u32 v2, v8, 8, 3
	v_ffbh_u32_e32 v7, v2
	v_min_u32_e32 v7, 32, v7
	v_lshrrev_b16_e32 v6, 3, v3
	v_subrev_u32_e32 v10, 28, v7
	v_and_b32_e32 v6, 15, v6
	v_lshlrev_b32_e32 v3, v10, v3
	v_sub_u32_e32 v7, 29, v7
	v_and_b32_e32 v3, 7, v3
	v_cmp_eq_u16_e32 vcc, 0, v6
	v_cndmask_b32_e32 v2, v2, v3, vcc
	v_cndmask_b32_e32 v3, v6, v7, vcc
	v_lshlrev_b32_e32 v6, 16, v8
	v_mov_b32_e32 v7, 0x3b800000
	v_lshlrev_b32_e32 v2, 20, v2
	v_and_b32_e32 v6, 0x80000000, v6
	v_lshl_add_u32 v3, v3, 23, v7
	v_or3_b32 v2, v6, v3, v2
.LBB54_1228:
	s_or_b64 exec, exec, s[6:7]
	v_lshrrev_b32_e32 v3, 8, v4
	s_movk_i32 s4, 0x7f
	v_cmp_gt_i16_sdwa s[6:7], v3, s4 src0_sel:BYTE_0 src1_sel:DWORD
	s_mov_b64 s[4:5], 0
                                        ; implicit-def: $sgpr10
	s_and_saveexec_b64 s[8:9], s[6:7]
	s_xor_b64 s[6:7], exec, s[8:9]
	s_cbranch_execnz .LBB54_3277
; %bb.1229:
	s_or_saveexec_b64 s[6:7], s[6:7]
	v_mov_b32_e32 v6, s10
	s_xor_b64 exec, exec, s[6:7]
	s_cbranch_execnz .LBB54_3280
.LBB54_1230:
	s_or_b64 exec, exec, s[6:7]
	s_and_saveexec_b64 s[6:7], s[4:5]
	s_cbranch_execz .LBB54_1232
.LBB54_1231:
	v_bfe_u32 v6, v4, 8, 3
	v_ffbh_u32_e32 v10, v6
	v_min_u32_e32 v10, 32, v10
	v_lshrrev_b16_e32 v7, 3, v3
	v_subrev_u32_e32 v11, 28, v10
	v_and_b32_e32 v7, 15, v7
	v_lshlrev_b32_e32 v3, v11, v3
	v_sub_u32_e32 v10, 29, v10
	v_and_b32_e32 v3, 7, v3
	v_cmp_eq_u16_e32 vcc, 0, v7
	v_cndmask_b32_e32 v3, v6, v3, vcc
	v_cndmask_b32_e32 v6, v7, v10, vcc
	v_lshlrev_b32_e32 v7, 16, v4
	v_mov_b32_e32 v10, 0x3b800000
	v_lshlrev_b32_e32 v3, 20, v3
	v_and_b32_e32 v7, 0x80000000, v7
	v_lshl_add_u32 v6, v6, 23, v10
	v_or3_b32 v6, v7, v6, v3
.LBB54_1232:
	s_or_b64 exec, exec, s[6:7]
	s_nop 0
	v_mfma_f32_16x16x4f32 a[0:3], v2, v6, a[0:3]
	s_movk_i32 s4, 0xff
	v_and_b32_sdwa v3, v8, s4 dst_sel:DWORD dst_unused:UNUSED_PAD src0_sel:WORD_1 src1_sel:DWORD
	s_movk_i32 s4, 0x7f
	v_cmp_lt_i16_e32 vcc, s4, v3
	s_mov_b64 s[4:5], 0
                                        ; implicit-def: $sgpr10
	s_and_saveexec_b64 s[6:7], vcc
	s_xor_b64 s[6:7], exec, s[6:7]
	s_cbranch_execnz .LBB54_3281
; %bb.1233:
	s_or_saveexec_b64 s[6:7], s[6:7]
	v_mov_b32_e32 v2, s10
	s_xor_b64 exec, exec, s[6:7]
	s_cbranch_execnz .LBB54_3284
.LBB54_1234:
	s_or_b64 exec, exec, s[6:7]
	s_and_saveexec_b64 s[6:7], s[4:5]
	s_cbranch_execz .LBB54_1236
.LBB54_1235:
	v_bfe_u32 v2, v8, 16, 3
	v_ffbh_u32_e32 v7, v2
	v_min_u32_e32 v7, 32, v7
	v_lshrrev_b32_e32 v3, 19, v8
	v_subrev_u32_e32 v10, 28, v7
	v_and_b32_e32 v3, 15, v3
	v_lshlrev_b32_sdwa v10, v10, v8 dst_sel:DWORD dst_unused:UNUSED_PAD src0_sel:DWORD src1_sel:WORD_1
	v_bfe_u32 v6, v8, 19, 4
	v_sub_u32_e32 v7, 29, v7
	v_and_b32_e32 v10, 7, v10
	v_cmp_eq_u16_e32 vcc, 0, v3
	v_cndmask_b32_e32 v2, v2, v10, vcc
	v_cndmask_b32_e32 v3, v6, v7, vcc
	v_lshlrev_b32_e32 v6, 8, v8
	v_mov_b32_e32 v7, 0x3b800000
	v_lshlrev_b32_e32 v2, 20, v2
	v_and_b32_e32 v6, 0x80000000, v6
	v_lshl_add_u32 v3, v3, 23, v7
	v_or3_b32 v2, v6, v3, v2
.LBB54_1236:
	s_or_b64 exec, exec, s[6:7]
	s_movk_i32 s4, 0xff
	v_and_b32_sdwa v3, v4, s4 dst_sel:DWORD dst_unused:UNUSED_PAD src0_sel:WORD_1 src1_sel:DWORD
	s_movk_i32 s4, 0x7f
	v_cmp_lt_i16_e32 vcc, s4, v3
	s_mov_b64 s[4:5], 0
                                        ; implicit-def: $sgpr10
	s_and_saveexec_b64 s[6:7], vcc
	s_xor_b64 s[6:7], exec, s[6:7]
	s_cbranch_execnz .LBB54_3285
; %bb.1237:
	s_or_saveexec_b64 s[6:7], s[6:7]
	v_mov_b32_e32 v6, s10
	s_xor_b64 exec, exec, s[6:7]
	s_cbranch_execnz .LBB54_3288
.LBB54_1238:
	s_or_b64 exec, exec, s[6:7]
	s_and_saveexec_b64 s[6:7], s[4:5]
	s_cbranch_execz .LBB54_1240
.LBB54_1239:
	v_bfe_u32 v3, v4, 16, 3
	v_ffbh_u32_e32 v10, v3
	v_min_u32_e32 v10, 32, v10
	v_lshrrev_b32_e32 v6, 19, v4
	v_subrev_u32_e32 v11, 28, v10
	v_and_b32_e32 v6, 15, v6
	v_lshlrev_b32_sdwa v11, v11, v4 dst_sel:DWORD dst_unused:UNUSED_PAD src0_sel:DWORD src1_sel:WORD_1
	v_bfe_u32 v7, v4, 19, 4
	v_sub_u32_e32 v10, 29, v10
	v_and_b32_e32 v11, 7, v11
	v_cmp_eq_u16_e32 vcc, 0, v6
	v_cndmask_b32_e32 v3, v3, v11, vcc
	v_cndmask_b32_e32 v6, v7, v10, vcc
	v_lshlrev_b32_e32 v7, 8, v4
	v_mov_b32_e32 v10, 0x3b800000
	v_lshlrev_b32_e32 v3, 20, v3
	v_and_b32_e32 v7, 0x80000000, v7
	v_lshl_add_u32 v6, v6, 23, v10
	v_or3_b32 v6, v7, v6, v3
.LBB54_1240:
	s_or_b64 exec, exec, s[6:7]
	s_nop 0
	v_mfma_f32_16x16x4f32 a[0:3], v2, v6, a[0:3]
	s_movk_i32 s4, 0x7f
	v_cmp_gt_i16_sdwa s[6:7], v8, s4 src0_sel:BYTE_3 src1_sel:DWORD
	s_mov_b64 s[4:5], 0
                                        ; implicit-def: $sgpr10
	s_and_saveexec_b64 s[8:9], s[6:7]
	s_xor_b64 s[6:7], exec, s[8:9]
	s_cbranch_execnz .LBB54_3289
; %bb.1241:
	s_or_saveexec_b64 s[6:7], s[6:7]
	v_mov_b32_e32 v2, s10
	s_xor_b64 exec, exec, s[6:7]
	s_cbranch_execnz .LBB54_3292
.LBB54_1242:
	s_or_b64 exec, exec, s[6:7]
	s_and_saveexec_b64 s[6:7], s[4:5]
	s_cbranch_execz .LBB54_1244
.LBB54_1243:
	v_bfe_u32 v2, v8, 24, 3
	v_ffbh_u32_e32 v10, v2
	v_min_u32_e32 v10, 32, v10
	v_lshrrev_b32_e32 v6, 27, v8
	v_subrev_u32_e32 v11, 28, v10
	v_and_b32_e32 v3, 0x80000000, v8
	v_and_b32_e32 v6, 15, v6
	v_bfe_u32 v7, v8, 27, 4
	v_lshlrev_b32_sdwa v8, v11, v8 dst_sel:DWORD dst_unused:UNUSED_PAD src0_sel:DWORD src1_sel:BYTE_3
	v_sub_u32_e32 v10, 29, v10
	v_and_b32_e32 v8, 7, v8
	v_cmp_eq_u16_e32 vcc, 0, v6
	v_cndmask_b32_e32 v2, v2, v8, vcc
	v_cndmask_b32_e32 v6, v7, v10, vcc
	v_mov_b32_e32 v7, 0x3b800000
	v_lshlrev_b32_e32 v2, 20, v2
	v_lshl_add_u32 v6, v6, 23, v7
	v_or3_b32 v2, v3, v6, v2
.LBB54_1244:
	s_or_b64 exec, exec, s[6:7]
	s_movk_i32 s4, 0x7f
	v_cmp_gt_i16_sdwa s[6:7], v4, s4 src0_sel:BYTE_3 src1_sel:DWORD
	s_mov_b64 s[4:5], 0
                                        ; implicit-def: $sgpr10
	s_and_saveexec_b64 s[8:9], s[6:7]
	s_xor_b64 s[6:7], exec, s[8:9]
	s_cbranch_execnz .LBB54_3293
; %bb.1245:
	s_or_saveexec_b64 s[6:7], s[6:7]
	v_mov_b32_e32 v3, s10
	s_xor_b64 exec, exec, s[6:7]
	s_cbranch_execnz .LBB54_3296
.LBB54_1246:
	s_or_b64 exec, exec, s[6:7]
	s_and_saveexec_b64 s[6:7], s[4:5]
	s_cbranch_execz .LBB54_1248
.LBB54_1247:
	v_bfe_u32 v3, v4, 24, 3
	v_ffbh_u32_e32 v10, v3
	v_min_u32_e32 v10, 32, v10
	v_lshrrev_b32_e32 v7, 27, v4
	v_subrev_u32_e32 v11, 28, v10
	v_and_b32_e32 v6, 0x80000000, v4
	v_and_b32_e32 v7, 15, v7
	v_bfe_u32 v8, v4, 27, 4
	v_lshlrev_b32_sdwa v4, v11, v4 dst_sel:DWORD dst_unused:UNUSED_PAD src0_sel:DWORD src1_sel:BYTE_3
	v_sub_u32_e32 v10, 29, v10
	v_and_b32_e32 v4, 7, v4
	v_cmp_eq_u16_e32 vcc, 0, v7
	v_cndmask_b32_e32 v3, v3, v4, vcc
	v_cndmask_b32_e32 v4, v8, v10, vcc
	v_mov_b32_e32 v7, 0x3b800000
	v_lshlrev_b32_e32 v3, 20, v3
	v_lshl_add_u32 v4, v4, 23, v7
	v_or3_b32 v3, v6, v4, v3
.LBB54_1248:
	s_or_b64 exec, exec, s[6:7]
	s_nop 0
	v_mfma_f32_16x16x4f32 a[0:3], v2, v3, a[0:3]
	s_movk_i32 s4, 0x7f
	v_cmp_gt_i16_sdwa s[6:7], v9, s4 src0_sel:BYTE_0 src1_sel:DWORD
	s_mov_b64 s[4:5], 0
                                        ; implicit-def: $sgpr10
	s_and_saveexec_b64 s[8:9], s[6:7]
	s_xor_b64 s[6:7], exec, s[8:9]
	s_cbranch_execnz .LBB54_3297
; %bb.1249:
	s_or_saveexec_b64 s[6:7], s[6:7]
	v_mov_b32_e32 v2, s10
	s_xor_b64 exec, exec, s[6:7]
	s_cbranch_execnz .LBB54_3300
.LBB54_1250:
	s_or_b64 exec, exec, s[6:7]
	s_and_saveexec_b64 s[6:7], s[4:5]
	s_cbranch_execz .LBB54_1252
.LBB54_1251:
	v_mov_b32_e32 v2, 8
	v_and_b32_e32 v3, 7, v9
	v_lshrrev_b32_sdwa v2, v2, v9 dst_sel:BYTE_1 dst_unused:UNUSED_PAD src0_sel:DWORD src1_sel:DWORD
	v_ffbh_u32_e32 v4, v3
	v_or_b32_sdwa v2, v9, v2 dst_sel:DWORD dst_unused:UNUSED_PAD src0_sel:BYTE_0 src1_sel:DWORD
	v_min_u32_e32 v4, 32, v4
	v_lshrrev_b16_e32 v2, 3, v2
	v_subrev_u32_e32 v6, 28, v4
	v_and_b32_e32 v2, 15, v2
	v_lshlrev_b32_e32 v6, v6, v9
	v_sub_u32_e32 v4, 29, v4
	v_and_b32_e32 v6, 7, v6
	v_cmp_eq_u16_e32 vcc, 0, v2
	v_cndmask_b32_e32 v3, v3, v6, vcc
	v_cndmask_b32_e32 v2, v2, v4, vcc
	v_lshlrev_b32_e32 v4, 24, v9
	v_mov_b32_e32 v6, 0x3b800000
	v_lshlrev_b32_e32 v3, 20, v3
	v_and_b32_e32 v4, 0x80000000, v4
	v_lshl_add_u32 v2, v2, 23, v6
	v_or3_b32 v2, v4, v2, v3
.LBB54_1252:
	s_or_b64 exec, exec, s[6:7]
	s_movk_i32 s4, 0x7f
	v_cmp_gt_i16_sdwa s[6:7], v5, s4 src0_sel:BYTE_0 src1_sel:DWORD
	s_mov_b64 s[4:5], 0
                                        ; implicit-def: $sgpr10
	s_and_saveexec_b64 s[8:9], s[6:7]
	s_xor_b64 s[6:7], exec, s[8:9]
	s_cbranch_execnz .LBB54_3301
; %bb.1253:
	s_or_saveexec_b64 s[6:7], s[6:7]
	v_mov_b32_e32 v3, s10
	s_xor_b64 exec, exec, s[6:7]
	s_cbranch_execnz .LBB54_3304
.LBB54_1254:
	s_or_b64 exec, exec, s[6:7]
	s_and_saveexec_b64 s[6:7], s[4:5]
	s_cbranch_execz .LBB54_1256
.LBB54_1255:
	v_mov_b32_e32 v3, 8
	v_and_b32_e32 v4, 7, v5
	v_lshrrev_b32_sdwa v3, v3, v5 dst_sel:BYTE_1 dst_unused:UNUSED_PAD src0_sel:DWORD src1_sel:DWORD
	v_ffbh_u32_e32 v6, v4
	v_or_b32_sdwa v3, v5, v3 dst_sel:DWORD dst_unused:UNUSED_PAD src0_sel:BYTE_0 src1_sel:DWORD
	v_min_u32_e32 v6, 32, v6
	v_lshrrev_b16_e32 v3, 3, v3
	v_subrev_u32_e32 v7, 28, v6
	v_and_b32_e32 v3, 15, v3
	v_lshlrev_b32_e32 v7, v7, v5
	v_sub_u32_e32 v6, 29, v6
	v_and_b32_e32 v7, 7, v7
	v_cmp_eq_u16_e32 vcc, 0, v3
	v_cndmask_b32_e32 v4, v4, v7, vcc
	v_cndmask_b32_e32 v3, v3, v6, vcc
	v_lshlrev_b32_e32 v6, 24, v5
	v_mov_b32_e32 v7, 0x3b800000
	v_lshlrev_b32_e32 v4, 20, v4
	v_and_b32_e32 v6, 0x80000000, v6
	v_lshl_add_u32 v3, v3, 23, v7
	v_or3_b32 v3, v6, v3, v4
.LBB54_1256:
	s_or_b64 exec, exec, s[6:7]
	s_nop 0
	v_mfma_f32_16x16x4f32 a[0:3], v2, v3, a[0:3]
	v_lshrrev_b32_e32 v3, 8, v9
	s_movk_i32 s4, 0x7f
	v_cmp_gt_i16_sdwa s[6:7], v3, s4 src0_sel:BYTE_0 src1_sel:DWORD
	s_mov_b64 s[4:5], 0
                                        ; implicit-def: $sgpr10
	s_and_saveexec_b64 s[8:9], s[6:7]
	s_xor_b64 s[6:7], exec, s[8:9]
	s_cbranch_execnz .LBB54_3305
; %bb.1257:
	s_or_saveexec_b64 s[6:7], s[6:7]
	v_mov_b32_e32 v2, s10
	s_xor_b64 exec, exec, s[6:7]
	s_cbranch_execnz .LBB54_3308
.LBB54_1258:
	s_or_b64 exec, exec, s[6:7]
	s_and_saveexec_b64 s[6:7], s[4:5]
	s_cbranch_execz .LBB54_1260
.LBB54_1259:
	v_bfe_u32 v2, v9, 8, 3
	v_ffbh_u32_e32 v6, v2
	v_min_u32_e32 v6, 32, v6
	v_lshrrev_b16_e32 v4, 3, v3
	v_subrev_u32_e32 v7, 28, v6
	v_and_b32_e32 v4, 15, v4
	v_lshlrev_b32_e32 v3, v7, v3
	v_sub_u32_e32 v6, 29, v6
	v_and_b32_e32 v3, 7, v3
	v_cmp_eq_u16_e32 vcc, 0, v4
	v_cndmask_b32_e32 v2, v2, v3, vcc
	v_cndmask_b32_e32 v3, v4, v6, vcc
	v_lshlrev_b32_e32 v4, 16, v9
	v_mov_b32_e32 v6, 0x3b800000
	v_lshlrev_b32_e32 v2, 20, v2
	v_and_b32_e32 v4, 0x80000000, v4
	v_lshl_add_u32 v3, v3, 23, v6
	v_or3_b32 v2, v4, v3, v2
.LBB54_1260:
	s_or_b64 exec, exec, s[6:7]
	v_lshrrev_b32_e32 v3, 8, v5
	s_movk_i32 s4, 0x7f
	v_cmp_gt_i16_sdwa s[6:7], v3, s4 src0_sel:BYTE_0 src1_sel:DWORD
	s_mov_b64 s[4:5], 0
                                        ; implicit-def: $sgpr10
	s_and_saveexec_b64 s[8:9], s[6:7]
	s_xor_b64 s[6:7], exec, s[8:9]
	s_cbranch_execnz .LBB54_3309
; %bb.1261:
	s_or_saveexec_b64 s[6:7], s[6:7]
	v_mov_b32_e32 v4, s10
	s_xor_b64 exec, exec, s[6:7]
	s_cbranch_execnz .LBB54_3312
.LBB54_1262:
	s_or_b64 exec, exec, s[6:7]
	s_and_saveexec_b64 s[6:7], s[4:5]
	s_cbranch_execz .LBB54_1264
.LBB54_1263:
	v_bfe_u32 v4, v5, 8, 3
	v_ffbh_u32_e32 v7, v4
	v_min_u32_e32 v7, 32, v7
	v_lshrrev_b16_e32 v6, 3, v3
	v_subrev_u32_e32 v8, 28, v7
	v_and_b32_e32 v6, 15, v6
	v_lshlrev_b32_e32 v3, v8, v3
	v_sub_u32_e32 v7, 29, v7
	v_and_b32_e32 v3, 7, v3
	v_cmp_eq_u16_e32 vcc, 0, v6
	v_cndmask_b32_e32 v3, v4, v3, vcc
	v_cndmask_b32_e32 v4, v6, v7, vcc
	v_lshlrev_b32_e32 v6, 16, v5
	v_mov_b32_e32 v7, 0x3b800000
	v_lshlrev_b32_e32 v3, 20, v3
	v_and_b32_e32 v6, 0x80000000, v6
	v_lshl_add_u32 v4, v4, 23, v7
	v_or3_b32 v4, v6, v4, v3
.LBB54_1264:
	s_or_b64 exec, exec, s[6:7]
	s_nop 0
	v_mfma_f32_16x16x4f32 a[0:3], v2, v4, a[0:3]
	s_movk_i32 s4, 0xff
	v_and_b32_sdwa v3, v9, s4 dst_sel:DWORD dst_unused:UNUSED_PAD src0_sel:WORD_1 src1_sel:DWORD
	s_movk_i32 s4, 0x7f
	v_cmp_lt_i16_e32 vcc, s4, v3
	s_mov_b64 s[4:5], 0
                                        ; implicit-def: $sgpr10
	s_and_saveexec_b64 s[6:7], vcc
	s_xor_b64 s[6:7], exec, s[6:7]
	s_cbranch_execnz .LBB54_3313
; %bb.1265:
	s_or_saveexec_b64 s[6:7], s[6:7]
	v_mov_b32_e32 v2, s10
	s_xor_b64 exec, exec, s[6:7]
	s_cbranch_execnz .LBB54_3316
.LBB54_1266:
	s_or_b64 exec, exec, s[6:7]
	s_and_saveexec_b64 s[6:7], s[4:5]
	s_cbranch_execz .LBB54_1268
.LBB54_1267:
	v_bfe_u32 v2, v9, 16, 3
	v_ffbh_u32_e32 v6, v2
	v_min_u32_e32 v6, 32, v6
	v_lshrrev_b32_e32 v3, 19, v9
	v_subrev_u32_e32 v7, 28, v6
	v_and_b32_e32 v3, 15, v3
	v_lshlrev_b32_sdwa v7, v7, v9 dst_sel:DWORD dst_unused:UNUSED_PAD src0_sel:DWORD src1_sel:WORD_1
	v_bfe_u32 v4, v9, 19, 4
	v_sub_u32_e32 v6, 29, v6
	v_and_b32_e32 v7, 7, v7
	v_cmp_eq_u16_e32 vcc, 0, v3
	v_cndmask_b32_e32 v2, v2, v7, vcc
	v_cndmask_b32_e32 v3, v4, v6, vcc
	v_lshlrev_b32_e32 v4, 8, v9
	v_mov_b32_e32 v6, 0x3b800000
	v_lshlrev_b32_e32 v2, 20, v2
	v_and_b32_e32 v4, 0x80000000, v4
	v_lshl_add_u32 v3, v3, 23, v6
	v_or3_b32 v2, v4, v3, v2
.LBB54_1268:
	s_or_b64 exec, exec, s[6:7]
	s_movk_i32 s4, 0xff
	v_and_b32_sdwa v3, v5, s4 dst_sel:DWORD dst_unused:UNUSED_PAD src0_sel:WORD_1 src1_sel:DWORD
	s_movk_i32 s4, 0x7f
	v_cmp_lt_i16_e32 vcc, s4, v3
	s_mov_b64 s[4:5], 0
                                        ; implicit-def: $sgpr10
	s_and_saveexec_b64 s[6:7], vcc
	s_xor_b64 s[6:7], exec, s[6:7]
	s_cbranch_execnz .LBB54_3317
; %bb.1269:
	s_or_saveexec_b64 s[6:7], s[6:7]
	v_mov_b32_e32 v4, s10
	s_xor_b64 exec, exec, s[6:7]
	s_cbranch_execnz .LBB54_3320
.LBB54_1270:
	s_or_b64 exec, exec, s[6:7]
	s_and_saveexec_b64 s[6:7], s[4:5]
	s_cbranch_execz .LBB54_1272
.LBB54_1271:
	v_bfe_u32 v3, v5, 16, 3
	v_ffbh_u32_e32 v7, v3
	v_min_u32_e32 v7, 32, v7
	v_lshrrev_b32_e32 v4, 19, v5
	v_subrev_u32_e32 v8, 28, v7
	v_and_b32_e32 v4, 15, v4
	v_lshlrev_b32_sdwa v8, v8, v5 dst_sel:DWORD dst_unused:UNUSED_PAD src0_sel:DWORD src1_sel:WORD_1
	v_bfe_u32 v6, v5, 19, 4
	v_sub_u32_e32 v7, 29, v7
	v_and_b32_e32 v8, 7, v8
	v_cmp_eq_u16_e32 vcc, 0, v4
	v_cndmask_b32_e32 v3, v3, v8, vcc
	v_cndmask_b32_e32 v4, v6, v7, vcc
	v_lshlrev_b32_e32 v6, 8, v5
	v_mov_b32_e32 v7, 0x3b800000
	v_lshlrev_b32_e32 v3, 20, v3
	v_and_b32_e32 v6, 0x80000000, v6
	v_lshl_add_u32 v4, v4, 23, v7
	v_or3_b32 v4, v6, v4, v3
.LBB54_1272:
	s_or_b64 exec, exec, s[6:7]
	s_nop 0
	v_mfma_f32_16x16x4f32 a[0:3], v2, v4, a[0:3]
	s_movk_i32 s4, 0x7f
	v_cmp_gt_i16_sdwa s[6:7], v9, s4 src0_sel:BYTE_3 src1_sel:DWORD
	s_mov_b64 s[4:5], 0
                                        ; implicit-def: $sgpr10
	s_and_saveexec_b64 s[8:9], s[6:7]
	s_xor_b64 s[6:7], exec, s[8:9]
	s_cbranch_execnz .LBB54_3321
; %bb.1273:
	s_or_saveexec_b64 s[6:7], s[6:7]
	v_mov_b32_e32 v2, s10
	s_xor_b64 exec, exec, s[6:7]
	s_cbranch_execnz .LBB54_3324
.LBB54_1274:
	s_or_b64 exec, exec, s[6:7]
	s_and_saveexec_b64 s[6:7], s[4:5]
	s_cbranch_execz .LBB54_1276
.LBB54_1275:
	v_bfe_u32 v2, v9, 24, 3
	v_ffbh_u32_e32 v7, v2
	v_min_u32_e32 v7, 32, v7
	v_lshrrev_b32_e32 v4, 27, v9
	v_subrev_u32_e32 v8, 28, v7
	v_and_b32_e32 v4, 15, v4
	v_lshlrev_b32_sdwa v8, v8, v9 dst_sel:DWORD dst_unused:UNUSED_PAD src0_sel:DWORD src1_sel:BYTE_3
	v_bfe_u32 v6, v9, 27, 4
	v_sub_u32_e32 v7, 29, v7
	v_and_b32_e32 v8, 7, v8
	v_cmp_eq_u16_e32 vcc, 0, v4
	v_cndmask_b32_e32 v2, v2, v8, vcc
	v_cndmask_b32_e32 v4, v6, v7, vcc
	v_mov_b32_e32 v6, 0x3b800000
	v_and_b32_e32 v3, 0x80000000, v9
	v_lshlrev_b32_e32 v2, 20, v2
	v_lshl_add_u32 v4, v4, 23, v6
	v_or3_b32 v2, v3, v4, v2
.LBB54_1276:
	s_or_b64 exec, exec, s[6:7]
	s_movk_i32 s4, 0x7f
	v_cmp_gt_i16_sdwa s[6:7], v5, s4 src0_sel:BYTE_3 src1_sel:DWORD
	s_mov_b64 s[4:5], 0
                                        ; implicit-def: $sgpr10
	s_and_saveexec_b64 s[8:9], s[6:7]
	s_xor_b64 s[6:7], exec, s[8:9]
	s_cbranch_execnz .LBB54_3325
; %bb.1277:
	s_or_saveexec_b64 s[6:7], s[6:7]
	v_mov_b32_e32 v3, s10
	s_xor_b64 exec, exec, s[6:7]
	s_cbranch_execnz .LBB54_3328
.LBB54_1278:
	s_or_b64 exec, exec, s[6:7]
	s_and_saveexec_b64 s[6:7], s[4:5]
	s_cbranch_execz .LBB54_1280
.LBB54_1279:
	v_bfe_u32 v3, v5, 24, 3
	v_ffbh_u32_e32 v8, v3
	v_min_u32_e32 v8, 32, v8
	v_lshrrev_b32_e32 v6, 27, v5
	v_subrev_u32_e32 v9, 28, v8
	v_and_b32_e32 v4, 0x80000000, v5
	v_and_b32_e32 v6, 15, v6
	v_bfe_u32 v7, v5, 27, 4
	v_lshlrev_b32_sdwa v5, v9, v5 dst_sel:DWORD dst_unused:UNUSED_PAD src0_sel:DWORD src1_sel:BYTE_3
	v_sub_u32_e32 v8, 29, v8
	v_and_b32_e32 v5, 7, v5
	v_cmp_eq_u16_e32 vcc, 0, v6
	v_cndmask_b32_e32 v3, v3, v5, vcc
	v_cndmask_b32_e32 v5, v7, v8, vcc
	v_mov_b32_e32 v6, 0x3b800000
	v_lshlrev_b32_e32 v3, 20, v3
	v_lshl_add_u32 v5, v5, 23, v6
	v_or3_b32 v3, v4, v5, v3
.LBB54_1280:
	s_or_b64 exec, exec, s[6:7]
	s_nop 0
	v_mfma_f32_16x16x4f32 a[0:3], v2, v3, a[0:3]
	s_movk_i32 s4, 0x7f
                                        ; implicit-def: $sgpr10
	s_nop 7
	s_nop 1
	flat_store_dwordx4 v[18:19], a[0:3] offset:320
	flat_load_dwordx4 v[20:23], v[0:1] offset:8
	s_nop 0
	flat_load_dwordx2 v[18:19], v[0:1] offset:24
	s_waitcnt vmcnt(0) lgkmcnt(0)
	flat_load_dwordx4 v[14:17], v[20:21]
	flat_load_dwordx4 v[6:9], v[20:21] offset:16
	flat_load_dwordx4 v[10:13], v[22:23] offset:416
	;; [unrolled: 1-line block ×3, first 2 shown]
	s_waitcnt vmcnt(0) lgkmcnt(0)
	v_cmp_gt_i16_sdwa s[6:7], v14, s4 src0_sel:BYTE_0 src1_sel:DWORD
	s_mov_b64 s[4:5], 0
	s_and_saveexec_b64 s[8:9], s[6:7]
	s_xor_b64 s[6:7], exec, s[8:9]
	s_cbranch_execnz .LBB54_3329
; %bb.1281:
	s_or_saveexec_b64 s[6:7], s[6:7]
	v_mov_b32_e32 v20, s10
	s_xor_b64 exec, exec, s[6:7]
	s_cbranch_execnz .LBB54_3332
.LBB54_1282:
	s_or_b64 exec, exec, s[6:7]
	s_and_saveexec_b64 s[6:7], s[4:5]
	s_cbranch_execz .LBB54_1284
.LBB54_1283:
	v_and_b32_e32 v20, 7, v14
	v_ffbh_u32_e32 v22, v20
	v_min_u32_e32 v22, 32, v22
	v_lshrrev_b16_e32 v21, 3, v14
	v_subrev_u32_e32 v23, 28, v22
	v_and_b32_e32 v21, 15, v21
	v_lshlrev_b32_e32 v23, v23, v14
	v_sub_u32_e32 v22, 29, v22
	v_and_b32_e32 v23, 7, v23
	v_cmp_eq_u16_e32 vcc, 0, v21
	v_cndmask_b32_e32 v20, v20, v23, vcc
	v_cndmask_b32_e32 v21, v21, v22, vcc
	v_lshlrev_b32_e32 v22, 24, v14
	v_mov_b32_e32 v23, 0x3b800000
	v_lshlrev_b32_e32 v20, 20, v20
	v_and_b32_e32 v22, 0x80000000, v22
	v_lshl_add_u32 v21, v21, 23, v23
	v_or3_b32 v20, v22, v21, v20
.LBB54_1284:
	s_or_b64 exec, exec, s[6:7]
	s_movk_i32 s4, 0x7f
	v_cmp_gt_i16_sdwa s[6:7], v10, s4 src0_sel:BYTE_0 src1_sel:DWORD
	s_mov_b64 s[4:5], 0
                                        ; implicit-def: $sgpr10
	s_and_saveexec_b64 s[8:9], s[6:7]
	s_xor_b64 s[6:7], exec, s[8:9]
	s_cbranch_execnz .LBB54_3333
; %bb.1285:
	s_or_saveexec_b64 s[6:7], s[6:7]
	v_mov_b32_e32 v21, s10
	s_xor_b64 exec, exec, s[6:7]
	s_cbranch_execnz .LBB54_3336
.LBB54_1286:
	s_or_b64 exec, exec, s[6:7]
	s_and_saveexec_b64 s[6:7], s[4:5]
	s_cbranch_execz .LBB54_1288
.LBB54_1287:
	v_and_b32_e32 v21, 7, v10
	v_ffbh_u32_e32 v23, v21
	v_min_u32_e32 v23, 32, v23
	v_lshrrev_b16_e32 v22, 3, v10
	v_subrev_u32_e32 v24, 28, v23
	v_and_b32_e32 v22, 15, v22
	v_lshlrev_b32_e32 v24, v24, v10
	v_sub_u32_e32 v23, 29, v23
	v_and_b32_e32 v24, 7, v24
	v_cmp_eq_u16_e32 vcc, 0, v22
	v_cndmask_b32_e32 v21, v21, v24, vcc
	v_cndmask_b32_e32 v22, v22, v23, vcc
	v_lshlrev_b32_e32 v23, 24, v10
	v_mov_b32_e32 v24, 0x3b800000
	v_lshlrev_b32_e32 v21, 20, v21
	v_and_b32_e32 v23, 0x80000000, v23
	v_lshl_add_u32 v22, v22, 23, v24
	v_or3_b32 v21, v23, v22, v21
.LBB54_1288:
	s_or_b64 exec, exec, s[6:7]
	flat_load_dwordx4 a[0:3], v[18:19] offset:336
	s_movk_i32 s4, 0x7f
                                        ; implicit-def: $sgpr10
	s_waitcnt vmcnt(0) lgkmcnt(0)
	v_mfma_f32_16x16x4f32 a[0:3], v20, v21, a[0:3]
	v_lshrrev_b32_e32 v21, 8, v14
	v_cmp_gt_i16_sdwa s[6:7], v21, s4 src0_sel:BYTE_0 src1_sel:DWORD
	s_mov_b64 s[4:5], 0
	s_and_saveexec_b64 s[8:9], s[6:7]
	s_xor_b64 s[6:7], exec, s[8:9]
	s_cbranch_execnz .LBB54_3337
; %bb.1289:
	s_or_saveexec_b64 s[6:7], s[6:7]
	v_mov_b32_e32 v20, s10
	s_xor_b64 exec, exec, s[6:7]
	s_cbranch_execnz .LBB54_3340
.LBB54_1290:
	s_or_b64 exec, exec, s[6:7]
	s_and_saveexec_b64 s[6:7], s[4:5]
	s_cbranch_execz .LBB54_1292
.LBB54_1291:
	v_bfe_u32 v20, v14, 8, 3
	v_ffbh_u32_e32 v23, v20
	v_min_u32_e32 v23, 32, v23
	v_lshrrev_b16_e32 v22, 3, v21
	v_subrev_u32_e32 v24, 28, v23
	v_and_b32_e32 v22, 15, v22
	v_lshlrev_b32_e32 v21, v24, v21
	v_sub_u32_e32 v23, 29, v23
	v_and_b32_e32 v21, 7, v21
	v_cmp_eq_u16_e32 vcc, 0, v22
	v_cndmask_b32_e32 v20, v20, v21, vcc
	v_cndmask_b32_e32 v21, v22, v23, vcc
	v_lshlrev_b32_e32 v22, 16, v14
	v_mov_b32_e32 v23, 0x3b800000
	v_lshlrev_b32_e32 v20, 20, v20
	v_and_b32_e32 v22, 0x80000000, v22
	v_lshl_add_u32 v21, v21, 23, v23
	v_or3_b32 v20, v22, v21, v20
.LBB54_1292:
	s_or_b64 exec, exec, s[6:7]
	v_lshrrev_b32_e32 v21, 8, v10
	s_movk_i32 s4, 0x7f
	v_cmp_gt_i16_sdwa s[6:7], v21, s4 src0_sel:BYTE_0 src1_sel:DWORD
	s_mov_b64 s[4:5], 0
                                        ; implicit-def: $sgpr10
	s_and_saveexec_b64 s[8:9], s[6:7]
	s_xor_b64 s[6:7], exec, s[8:9]
	s_cbranch_execnz .LBB54_3341
; %bb.1293:
	s_or_saveexec_b64 s[6:7], s[6:7]
	v_mov_b32_e32 v22, s10
	s_xor_b64 exec, exec, s[6:7]
	s_cbranch_execnz .LBB54_3344
.LBB54_1294:
	s_or_b64 exec, exec, s[6:7]
	s_and_saveexec_b64 s[6:7], s[4:5]
	s_cbranch_execz .LBB54_1296
.LBB54_1295:
	v_bfe_u32 v22, v10, 8, 3
	v_ffbh_u32_e32 v24, v22
	v_min_u32_e32 v24, 32, v24
	v_lshrrev_b16_e32 v23, 3, v21
	v_subrev_u32_e32 v25, 28, v24
	v_and_b32_e32 v23, 15, v23
	v_lshlrev_b32_e32 v21, v25, v21
	v_sub_u32_e32 v24, 29, v24
	v_and_b32_e32 v21, 7, v21
	v_cmp_eq_u16_e32 vcc, 0, v23
	v_cndmask_b32_e32 v21, v22, v21, vcc
	v_cndmask_b32_e32 v22, v23, v24, vcc
	v_lshlrev_b32_e32 v23, 16, v10
	v_mov_b32_e32 v24, 0x3b800000
	v_lshlrev_b32_e32 v21, 20, v21
	v_and_b32_e32 v23, 0x80000000, v23
	v_lshl_add_u32 v22, v22, 23, v24
	v_or3_b32 v22, v23, v22, v21
.LBB54_1296:
	s_or_b64 exec, exec, s[6:7]
	s_nop 0
	v_mfma_f32_16x16x4f32 a[0:3], v20, v22, a[0:3]
	s_movk_i32 s4, 0xff
	v_and_b32_sdwa v21, v14, s4 dst_sel:DWORD dst_unused:UNUSED_PAD src0_sel:WORD_1 src1_sel:DWORD
	s_movk_i32 s4, 0x7f
	v_cmp_lt_i16_e32 vcc, s4, v21
	s_mov_b64 s[4:5], 0
                                        ; implicit-def: $sgpr10
	s_and_saveexec_b64 s[6:7], vcc
	s_xor_b64 s[6:7], exec, s[6:7]
	s_cbranch_execnz .LBB54_3345
; %bb.1297:
	s_or_saveexec_b64 s[6:7], s[6:7]
	v_mov_b32_e32 v20, s10
	s_xor_b64 exec, exec, s[6:7]
	s_cbranch_execnz .LBB54_3348
.LBB54_1298:
	s_or_b64 exec, exec, s[6:7]
	s_and_saveexec_b64 s[6:7], s[4:5]
	s_cbranch_execz .LBB54_1300
.LBB54_1299:
	v_bfe_u32 v20, v14, 16, 3
	v_ffbh_u32_e32 v23, v20
	v_min_u32_e32 v23, 32, v23
	v_lshrrev_b32_e32 v21, 19, v14
	v_subrev_u32_e32 v24, 28, v23
	v_and_b32_e32 v21, 15, v21
	v_lshlrev_b32_sdwa v24, v24, v14 dst_sel:DWORD dst_unused:UNUSED_PAD src0_sel:DWORD src1_sel:WORD_1
	v_bfe_u32 v22, v14, 19, 4
	v_sub_u32_e32 v23, 29, v23
	v_and_b32_e32 v24, 7, v24
	v_cmp_eq_u16_e32 vcc, 0, v21
	v_cndmask_b32_e32 v20, v20, v24, vcc
	v_cndmask_b32_e32 v21, v22, v23, vcc
	v_lshlrev_b32_e32 v22, 8, v14
	v_mov_b32_e32 v23, 0x3b800000
	v_lshlrev_b32_e32 v20, 20, v20
	v_and_b32_e32 v22, 0x80000000, v22
	v_lshl_add_u32 v21, v21, 23, v23
	v_or3_b32 v20, v22, v21, v20
.LBB54_1300:
	s_or_b64 exec, exec, s[6:7]
	s_movk_i32 s4, 0xff
	v_and_b32_sdwa v21, v10, s4 dst_sel:DWORD dst_unused:UNUSED_PAD src0_sel:WORD_1 src1_sel:DWORD
	s_movk_i32 s4, 0x7f
	v_cmp_lt_i16_e32 vcc, s4, v21
	s_mov_b64 s[4:5], 0
                                        ; implicit-def: $sgpr10
	s_and_saveexec_b64 s[6:7], vcc
	s_xor_b64 s[6:7], exec, s[6:7]
	s_cbranch_execnz .LBB54_3349
; %bb.1301:
	s_or_saveexec_b64 s[6:7], s[6:7]
	v_mov_b32_e32 v22, s10
	s_xor_b64 exec, exec, s[6:7]
	s_cbranch_execnz .LBB54_3352
.LBB54_1302:
	s_or_b64 exec, exec, s[6:7]
	s_and_saveexec_b64 s[6:7], s[4:5]
	s_cbranch_execz .LBB54_1304
.LBB54_1303:
	v_bfe_u32 v21, v10, 16, 3
	v_ffbh_u32_e32 v24, v21
	v_min_u32_e32 v24, 32, v24
	v_lshrrev_b32_e32 v22, 19, v10
	v_subrev_u32_e32 v25, 28, v24
	v_and_b32_e32 v22, 15, v22
	v_lshlrev_b32_sdwa v25, v25, v10 dst_sel:DWORD dst_unused:UNUSED_PAD src0_sel:DWORD src1_sel:WORD_1
	v_bfe_u32 v23, v10, 19, 4
	v_sub_u32_e32 v24, 29, v24
	v_and_b32_e32 v25, 7, v25
	v_cmp_eq_u16_e32 vcc, 0, v22
	v_cndmask_b32_e32 v21, v21, v25, vcc
	v_cndmask_b32_e32 v22, v23, v24, vcc
	v_lshlrev_b32_e32 v23, 8, v10
	v_mov_b32_e32 v24, 0x3b800000
	v_lshlrev_b32_e32 v21, 20, v21
	v_and_b32_e32 v23, 0x80000000, v23
	v_lshl_add_u32 v22, v22, 23, v24
	v_or3_b32 v22, v23, v22, v21
.LBB54_1304:
	s_or_b64 exec, exec, s[6:7]
	s_nop 0
	v_mfma_f32_16x16x4f32 a[0:3], v20, v22, a[0:3]
	s_movk_i32 s4, 0x7f
	v_cmp_gt_i16_sdwa s[6:7], v14, s4 src0_sel:BYTE_3 src1_sel:DWORD
	s_mov_b64 s[4:5], 0
                                        ; implicit-def: $sgpr10
	s_and_saveexec_b64 s[8:9], s[6:7]
	s_xor_b64 s[6:7], exec, s[8:9]
	s_cbranch_execnz .LBB54_3353
; %bb.1305:
	s_or_saveexec_b64 s[6:7], s[6:7]
	v_mov_b32_e32 v20, s10
	s_xor_b64 exec, exec, s[6:7]
	s_cbranch_execnz .LBB54_3356
.LBB54_1306:
	s_or_b64 exec, exec, s[6:7]
	s_and_saveexec_b64 s[6:7], s[4:5]
	s_cbranch_execz .LBB54_1308
.LBB54_1307:
	v_bfe_u32 v20, v14, 24, 3
	v_ffbh_u32_e32 v24, v20
	v_min_u32_e32 v24, 32, v24
	v_lshrrev_b32_e32 v22, 27, v14
	v_subrev_u32_e32 v25, 28, v24
	v_and_b32_e32 v21, 0x80000000, v14
	v_and_b32_e32 v22, 15, v22
	v_bfe_u32 v23, v14, 27, 4
	v_lshlrev_b32_sdwa v14, v25, v14 dst_sel:DWORD dst_unused:UNUSED_PAD src0_sel:DWORD src1_sel:BYTE_3
	v_sub_u32_e32 v24, 29, v24
	v_and_b32_e32 v14, 7, v14
	v_cmp_eq_u16_e32 vcc, 0, v22
	v_cndmask_b32_e32 v14, v20, v14, vcc
	v_cndmask_b32_e32 v20, v23, v24, vcc
	v_mov_b32_e32 v22, 0x3b800000
	v_lshlrev_b32_e32 v14, 20, v14
	v_lshl_add_u32 v20, v20, 23, v22
	v_or3_b32 v20, v21, v20, v14
.LBB54_1308:
	s_or_b64 exec, exec, s[6:7]
	s_movk_i32 s4, 0x7f
	v_cmp_gt_i16_sdwa s[6:7], v10, s4 src0_sel:BYTE_3 src1_sel:DWORD
	s_mov_b64 s[4:5], 0
                                        ; implicit-def: $sgpr10
	s_and_saveexec_b64 s[8:9], s[6:7]
	s_xor_b64 s[6:7], exec, s[8:9]
	s_cbranch_execnz .LBB54_3357
; %bb.1309:
	s_or_saveexec_b64 s[6:7], s[6:7]
	v_mov_b32_e32 v14, s10
	s_xor_b64 exec, exec, s[6:7]
	s_cbranch_execnz .LBB54_3360
.LBB54_1310:
	s_or_b64 exec, exec, s[6:7]
	s_and_saveexec_b64 s[6:7], s[4:5]
	s_cbranch_execz .LBB54_1312
.LBB54_1311:
	v_bfe_u32 v14, v10, 24, 3
	v_ffbh_u32_e32 v24, v14
	v_min_u32_e32 v24, 32, v24
	v_lshrrev_b32_e32 v22, 27, v10
	v_subrev_u32_e32 v25, 28, v24
	v_and_b32_e32 v21, 0x80000000, v10
	v_and_b32_e32 v22, 15, v22
	v_bfe_u32 v23, v10, 27, 4
	v_lshlrev_b32_sdwa v10, v25, v10 dst_sel:DWORD dst_unused:UNUSED_PAD src0_sel:DWORD src1_sel:BYTE_3
	v_sub_u32_e32 v24, 29, v24
	v_and_b32_e32 v10, 7, v10
	v_cmp_eq_u16_e32 vcc, 0, v22
	v_cndmask_b32_e32 v10, v14, v10, vcc
	v_cndmask_b32_e32 v14, v23, v24, vcc
	v_mov_b32_e32 v22, 0x3b800000
	v_lshlrev_b32_e32 v10, 20, v10
	v_lshl_add_u32 v14, v14, 23, v22
	v_or3_b32 v14, v21, v14, v10
.LBB54_1312:
	s_or_b64 exec, exec, s[6:7]
	s_nop 0
	v_mfma_f32_16x16x4f32 a[0:3], v20, v14, a[0:3]
	s_movk_i32 s4, 0x7f
	v_cmp_gt_i16_sdwa s[6:7], v15, s4 src0_sel:BYTE_0 src1_sel:DWORD
	s_mov_b64 s[4:5], 0
                                        ; implicit-def: $sgpr10
	s_and_saveexec_b64 s[8:9], s[6:7]
	s_xor_b64 s[6:7], exec, s[8:9]
	s_cbranch_execnz .LBB54_3361
; %bb.1313:
	s_or_saveexec_b64 s[6:7], s[6:7]
	v_mov_b32_e32 v10, s10
	s_xor_b64 exec, exec, s[6:7]
	s_cbranch_execnz .LBB54_3364
.LBB54_1314:
	s_or_b64 exec, exec, s[6:7]
	s_and_saveexec_b64 s[6:7], s[4:5]
	s_cbranch_execz .LBB54_1316
.LBB54_1315:
	v_and_b32_e32 v10, 7, v15
	v_ffbh_u32_e32 v20, v10
	v_min_u32_e32 v20, 32, v20
	v_lshrrev_b16_e32 v14, 3, v15
	v_subrev_u32_e32 v21, 28, v20
	v_and_b32_e32 v14, 15, v14
	v_lshlrev_b32_e32 v21, v21, v15
	v_sub_u32_e32 v20, 29, v20
	v_and_b32_e32 v21, 7, v21
	v_cmp_eq_u16_e32 vcc, 0, v14
	v_cndmask_b32_e32 v10, v10, v21, vcc
	v_cndmask_b32_e32 v14, v14, v20, vcc
	v_lshlrev_b32_e32 v20, 24, v15
	v_mov_b32_e32 v21, 0x3b800000
	v_lshlrev_b32_e32 v10, 20, v10
	v_and_b32_e32 v20, 0x80000000, v20
	v_lshl_add_u32 v14, v14, 23, v21
	v_or3_b32 v10, v20, v14, v10
.LBB54_1316:
	s_or_b64 exec, exec, s[6:7]
	s_movk_i32 s4, 0x7f
	v_cmp_gt_i16_sdwa s[6:7], v11, s4 src0_sel:BYTE_0 src1_sel:DWORD
	s_mov_b64 s[4:5], 0
                                        ; implicit-def: $sgpr10
	s_and_saveexec_b64 s[8:9], s[6:7]
	s_xor_b64 s[6:7], exec, s[8:9]
	s_cbranch_execnz .LBB54_3365
; %bb.1317:
	s_or_saveexec_b64 s[6:7], s[6:7]
	v_mov_b32_e32 v14, s10
	s_xor_b64 exec, exec, s[6:7]
	s_cbranch_execnz .LBB54_3368
.LBB54_1318:
	s_or_b64 exec, exec, s[6:7]
	s_and_saveexec_b64 s[6:7], s[4:5]
	s_cbranch_execz .LBB54_1320
.LBB54_1319:
	v_and_b32_e32 v14, 7, v11
	v_ffbh_u32_e32 v21, v14
	v_min_u32_e32 v21, 32, v21
	v_lshrrev_b16_e32 v20, 3, v11
	v_subrev_u32_e32 v22, 28, v21
	v_and_b32_e32 v20, 15, v20
	v_lshlrev_b32_e32 v22, v22, v11
	v_sub_u32_e32 v21, 29, v21
	v_and_b32_e32 v22, 7, v22
	v_cmp_eq_u16_e32 vcc, 0, v20
	v_cndmask_b32_e32 v14, v14, v22, vcc
	v_cndmask_b32_e32 v20, v20, v21, vcc
	v_lshlrev_b32_e32 v21, 24, v11
	v_mov_b32_e32 v22, 0x3b800000
	v_lshlrev_b32_e32 v14, 20, v14
	v_and_b32_e32 v21, 0x80000000, v21
	v_lshl_add_u32 v20, v20, 23, v22
	v_or3_b32 v14, v21, v20, v14
.LBB54_1320:
	s_or_b64 exec, exec, s[6:7]
	s_nop 0
	v_mfma_f32_16x16x4f32 a[0:3], v10, v14, a[0:3]
	v_lshrrev_b32_e32 v14, 8, v15
	s_movk_i32 s4, 0x7f
	v_cmp_gt_i16_sdwa s[6:7], v14, s4 src0_sel:BYTE_0 src1_sel:DWORD
	s_mov_b64 s[4:5], 0
                                        ; implicit-def: $sgpr10
	s_and_saveexec_b64 s[8:9], s[6:7]
	s_xor_b64 s[6:7], exec, s[8:9]
	s_cbranch_execnz .LBB54_3369
; %bb.1321:
	s_or_saveexec_b64 s[6:7], s[6:7]
	v_mov_b32_e32 v10, s10
	s_xor_b64 exec, exec, s[6:7]
	s_cbranch_execnz .LBB54_3372
.LBB54_1322:
	s_or_b64 exec, exec, s[6:7]
	s_and_saveexec_b64 s[6:7], s[4:5]
	s_cbranch_execz .LBB54_1324
.LBB54_1323:
	v_bfe_u32 v10, v15, 8, 3
	v_ffbh_u32_e32 v21, v10
	v_min_u32_e32 v21, 32, v21
	v_lshrrev_b16_e32 v20, 3, v14
	v_subrev_u32_e32 v22, 28, v21
	v_and_b32_e32 v20, 15, v20
	v_lshlrev_b32_e32 v14, v22, v14
	v_sub_u32_e32 v21, 29, v21
	v_and_b32_e32 v14, 7, v14
	v_cmp_eq_u16_e32 vcc, 0, v20
	v_cndmask_b32_e32 v10, v10, v14, vcc
	v_cndmask_b32_e32 v14, v20, v21, vcc
	v_lshlrev_b32_e32 v20, 16, v15
	v_mov_b32_e32 v21, 0x3b800000
	v_lshlrev_b32_e32 v10, 20, v10
	v_and_b32_e32 v20, 0x80000000, v20
	v_lshl_add_u32 v14, v14, 23, v21
	v_or3_b32 v10, v20, v14, v10
.LBB54_1324:
	s_or_b64 exec, exec, s[6:7]
	v_lshrrev_b32_e32 v14, 8, v11
	s_movk_i32 s4, 0x7f
	v_cmp_gt_i16_sdwa s[6:7], v14, s4 src0_sel:BYTE_0 src1_sel:DWORD
	s_mov_b64 s[4:5], 0
                                        ; implicit-def: $sgpr10
	s_and_saveexec_b64 s[8:9], s[6:7]
	s_xor_b64 s[6:7], exec, s[8:9]
	s_cbranch_execnz .LBB54_3373
; %bb.1325:
	s_or_saveexec_b64 s[6:7], s[6:7]
	v_mov_b32_e32 v20, s10
	s_xor_b64 exec, exec, s[6:7]
	s_cbranch_execnz .LBB54_3376
.LBB54_1326:
	s_or_b64 exec, exec, s[6:7]
	s_and_saveexec_b64 s[6:7], s[4:5]
	s_cbranch_execz .LBB54_1328
.LBB54_1327:
	v_bfe_u32 v20, v11, 8, 3
	v_ffbh_u32_e32 v22, v20
	v_min_u32_e32 v22, 32, v22
	v_lshrrev_b16_e32 v21, 3, v14
	v_subrev_u32_e32 v23, 28, v22
	v_and_b32_e32 v21, 15, v21
	v_lshlrev_b32_e32 v14, v23, v14
	v_sub_u32_e32 v22, 29, v22
	v_and_b32_e32 v14, 7, v14
	v_cmp_eq_u16_e32 vcc, 0, v21
	v_cndmask_b32_e32 v14, v20, v14, vcc
	v_cndmask_b32_e32 v20, v21, v22, vcc
	v_lshlrev_b32_e32 v21, 16, v11
	v_mov_b32_e32 v22, 0x3b800000
	v_lshlrev_b32_e32 v14, 20, v14
	v_and_b32_e32 v21, 0x80000000, v21
	v_lshl_add_u32 v20, v20, 23, v22
	v_or3_b32 v20, v21, v20, v14
.LBB54_1328:
	s_or_b64 exec, exec, s[6:7]
	s_nop 0
	v_mfma_f32_16x16x4f32 a[0:3], v10, v20, a[0:3]
	s_movk_i32 s4, 0xff
	v_and_b32_sdwa v14, v15, s4 dst_sel:DWORD dst_unused:UNUSED_PAD src0_sel:WORD_1 src1_sel:DWORD
	s_movk_i32 s4, 0x7f
	v_cmp_lt_i16_e32 vcc, s4, v14
	s_mov_b64 s[4:5], 0
                                        ; implicit-def: $sgpr10
	s_and_saveexec_b64 s[6:7], vcc
	s_xor_b64 s[6:7], exec, s[6:7]
	s_cbranch_execnz .LBB54_3377
; %bb.1329:
	s_or_saveexec_b64 s[6:7], s[6:7]
	v_mov_b32_e32 v10, s10
	s_xor_b64 exec, exec, s[6:7]
	s_cbranch_execnz .LBB54_3380
.LBB54_1330:
	s_or_b64 exec, exec, s[6:7]
	s_and_saveexec_b64 s[6:7], s[4:5]
	s_cbranch_execz .LBB54_1332
.LBB54_1331:
	v_bfe_u32 v10, v15, 16, 3
	v_ffbh_u32_e32 v21, v10
	v_min_u32_e32 v21, 32, v21
	v_lshrrev_b32_e32 v14, 19, v15
	v_subrev_u32_e32 v22, 28, v21
	v_and_b32_e32 v14, 15, v14
	v_lshlrev_b32_sdwa v22, v22, v15 dst_sel:DWORD dst_unused:UNUSED_PAD src0_sel:DWORD src1_sel:WORD_1
	v_bfe_u32 v20, v15, 19, 4
	v_sub_u32_e32 v21, 29, v21
	v_and_b32_e32 v22, 7, v22
	v_cmp_eq_u16_e32 vcc, 0, v14
	v_cndmask_b32_e32 v10, v10, v22, vcc
	v_cndmask_b32_e32 v14, v20, v21, vcc
	v_lshlrev_b32_e32 v20, 8, v15
	v_mov_b32_e32 v21, 0x3b800000
	v_lshlrev_b32_e32 v10, 20, v10
	v_and_b32_e32 v20, 0x80000000, v20
	v_lshl_add_u32 v14, v14, 23, v21
	v_or3_b32 v10, v20, v14, v10
.LBB54_1332:
	s_or_b64 exec, exec, s[6:7]
	s_movk_i32 s4, 0xff
	v_and_b32_sdwa v14, v11, s4 dst_sel:DWORD dst_unused:UNUSED_PAD src0_sel:WORD_1 src1_sel:DWORD
	s_movk_i32 s4, 0x7f
	v_cmp_lt_i16_e32 vcc, s4, v14
	s_mov_b64 s[4:5], 0
                                        ; implicit-def: $sgpr10
	s_and_saveexec_b64 s[6:7], vcc
	s_xor_b64 s[6:7], exec, s[6:7]
	s_cbranch_execnz .LBB54_3381
; %bb.1333:
	s_or_saveexec_b64 s[6:7], s[6:7]
	v_mov_b32_e32 v20, s10
	s_xor_b64 exec, exec, s[6:7]
	s_cbranch_execnz .LBB54_3384
.LBB54_1334:
	s_or_b64 exec, exec, s[6:7]
	s_and_saveexec_b64 s[6:7], s[4:5]
	s_cbranch_execz .LBB54_1336
.LBB54_1335:
	v_bfe_u32 v14, v11, 16, 3
	v_ffbh_u32_e32 v22, v14
	v_min_u32_e32 v22, 32, v22
	v_lshrrev_b32_e32 v20, 19, v11
	v_subrev_u32_e32 v23, 28, v22
	v_and_b32_e32 v20, 15, v20
	v_lshlrev_b32_sdwa v23, v23, v11 dst_sel:DWORD dst_unused:UNUSED_PAD src0_sel:DWORD src1_sel:WORD_1
	v_bfe_u32 v21, v11, 19, 4
	v_sub_u32_e32 v22, 29, v22
	v_and_b32_e32 v23, 7, v23
	v_cmp_eq_u16_e32 vcc, 0, v20
	v_cndmask_b32_e32 v14, v14, v23, vcc
	v_cndmask_b32_e32 v20, v21, v22, vcc
	v_lshlrev_b32_e32 v21, 8, v11
	v_mov_b32_e32 v22, 0x3b800000
	v_lshlrev_b32_e32 v14, 20, v14
	v_and_b32_e32 v21, 0x80000000, v21
	v_lshl_add_u32 v20, v20, 23, v22
	v_or3_b32 v20, v21, v20, v14
.LBB54_1336:
	s_or_b64 exec, exec, s[6:7]
	s_nop 0
	v_mfma_f32_16x16x4f32 a[0:3], v10, v20, a[0:3]
	s_movk_i32 s4, 0x7f
	v_cmp_gt_i16_sdwa s[6:7], v15, s4 src0_sel:BYTE_3 src1_sel:DWORD
	s_mov_b64 s[4:5], 0
                                        ; implicit-def: $sgpr10
	s_and_saveexec_b64 s[8:9], s[6:7]
	s_xor_b64 s[6:7], exec, s[8:9]
	s_cbranch_execnz .LBB54_3385
; %bb.1337:
	s_or_saveexec_b64 s[6:7], s[6:7]
	v_mov_b32_e32 v10, s10
	s_xor_b64 exec, exec, s[6:7]
	s_cbranch_execnz .LBB54_3388
.LBB54_1338:
	s_or_b64 exec, exec, s[6:7]
	s_and_saveexec_b64 s[6:7], s[4:5]
	s_cbranch_execz .LBB54_1340
.LBB54_1339:
	v_bfe_u32 v10, v15, 24, 3
	v_ffbh_u32_e32 v22, v10
	v_min_u32_e32 v22, 32, v22
	v_lshrrev_b32_e32 v20, 27, v15
	v_subrev_u32_e32 v23, 28, v22
	v_and_b32_e32 v14, 0x80000000, v15
	v_and_b32_e32 v20, 15, v20
	v_bfe_u32 v21, v15, 27, 4
	v_lshlrev_b32_sdwa v15, v23, v15 dst_sel:DWORD dst_unused:UNUSED_PAD src0_sel:DWORD src1_sel:BYTE_3
	v_sub_u32_e32 v22, 29, v22
	v_and_b32_e32 v15, 7, v15
	v_cmp_eq_u16_e32 vcc, 0, v20
	v_cndmask_b32_e32 v10, v10, v15, vcc
	v_cndmask_b32_e32 v15, v21, v22, vcc
	v_mov_b32_e32 v20, 0x3b800000
	v_lshlrev_b32_e32 v10, 20, v10
	v_lshl_add_u32 v15, v15, 23, v20
	v_or3_b32 v10, v14, v15, v10
.LBB54_1340:
	s_or_b64 exec, exec, s[6:7]
	s_movk_i32 s4, 0x7f
	v_cmp_gt_i16_sdwa s[6:7], v11, s4 src0_sel:BYTE_3 src1_sel:DWORD
	s_mov_b64 s[4:5], 0
                                        ; implicit-def: $sgpr10
	s_and_saveexec_b64 s[8:9], s[6:7]
	s_xor_b64 s[6:7], exec, s[8:9]
	s_cbranch_execnz .LBB54_3389
; %bb.1341:
	s_or_saveexec_b64 s[6:7], s[6:7]
	v_mov_b32_e32 v14, s10
	s_xor_b64 exec, exec, s[6:7]
	s_cbranch_execnz .LBB54_3392
.LBB54_1342:
	s_or_b64 exec, exec, s[6:7]
	s_and_saveexec_b64 s[6:7], s[4:5]
	s_cbranch_execz .LBB54_1344
.LBB54_1343:
	v_bfe_u32 v14, v11, 24, 3
	v_ffbh_u32_e32 v22, v14
	v_min_u32_e32 v22, 32, v22
	v_lshrrev_b32_e32 v20, 27, v11
	v_subrev_u32_e32 v23, 28, v22
	v_and_b32_e32 v15, 0x80000000, v11
	v_and_b32_e32 v20, 15, v20
	v_bfe_u32 v21, v11, 27, 4
	v_lshlrev_b32_sdwa v11, v23, v11 dst_sel:DWORD dst_unused:UNUSED_PAD src0_sel:DWORD src1_sel:BYTE_3
	v_sub_u32_e32 v22, 29, v22
	v_and_b32_e32 v11, 7, v11
	v_cmp_eq_u16_e32 vcc, 0, v20
	v_cndmask_b32_e32 v11, v14, v11, vcc
	v_cndmask_b32_e32 v14, v21, v22, vcc
	v_mov_b32_e32 v20, 0x3b800000
	v_lshlrev_b32_e32 v11, 20, v11
	v_lshl_add_u32 v14, v14, 23, v20
	v_or3_b32 v14, v15, v14, v11
.LBB54_1344:
	s_or_b64 exec, exec, s[6:7]
	s_nop 0
	v_mfma_f32_16x16x4f32 a[0:3], v10, v14, a[0:3]
	s_movk_i32 s4, 0x7f
	v_cmp_gt_i16_sdwa s[6:7], v16, s4 src0_sel:BYTE_0 src1_sel:DWORD
	s_mov_b64 s[4:5], 0
                                        ; implicit-def: $sgpr10
	s_and_saveexec_b64 s[8:9], s[6:7]
	s_xor_b64 s[6:7], exec, s[8:9]
	s_cbranch_execnz .LBB54_3393
; %bb.1345:
	s_or_saveexec_b64 s[6:7], s[6:7]
	v_mov_b32_e32 v10, s10
	s_xor_b64 exec, exec, s[6:7]
	s_cbranch_execnz .LBB54_3396
.LBB54_1346:
	s_or_b64 exec, exec, s[6:7]
	s_and_saveexec_b64 s[6:7], s[4:5]
	s_cbranch_execz .LBB54_1348
.LBB54_1347:
	v_and_b32_e32 v10, 7, v16
	v_ffbh_u32_e32 v14, v10
	v_min_u32_e32 v14, 32, v14
	v_lshrrev_b16_e32 v11, 3, v16
	v_subrev_u32_e32 v15, 28, v14
	v_and_b32_e32 v11, 15, v11
	v_lshlrev_b32_e32 v15, v15, v16
	v_sub_u32_e32 v14, 29, v14
	v_and_b32_e32 v15, 7, v15
	v_cmp_eq_u16_e32 vcc, 0, v11
	v_cndmask_b32_e32 v10, v10, v15, vcc
	v_cndmask_b32_e32 v11, v11, v14, vcc
	v_lshlrev_b32_e32 v14, 24, v16
	v_mov_b32_e32 v15, 0x3b800000
	v_lshlrev_b32_e32 v10, 20, v10
	v_and_b32_e32 v14, 0x80000000, v14
	v_lshl_add_u32 v11, v11, 23, v15
	v_or3_b32 v10, v14, v11, v10
.LBB54_1348:
	s_or_b64 exec, exec, s[6:7]
	s_movk_i32 s4, 0x7f
	v_cmp_gt_i16_sdwa s[6:7], v12, s4 src0_sel:BYTE_0 src1_sel:DWORD
	s_mov_b64 s[4:5], 0
                                        ; implicit-def: $sgpr10
	s_and_saveexec_b64 s[8:9], s[6:7]
	s_xor_b64 s[6:7], exec, s[8:9]
	s_cbranch_execnz .LBB54_3397
; %bb.1349:
	s_or_saveexec_b64 s[6:7], s[6:7]
	v_mov_b32_e32 v11, s10
	s_xor_b64 exec, exec, s[6:7]
	s_cbranch_execnz .LBB54_3400
.LBB54_1350:
	s_or_b64 exec, exec, s[6:7]
	s_and_saveexec_b64 s[6:7], s[4:5]
	s_cbranch_execz .LBB54_1352
.LBB54_1351:
	v_and_b32_e32 v11, 7, v12
	v_ffbh_u32_e32 v15, v11
	v_min_u32_e32 v15, 32, v15
	v_lshrrev_b16_e32 v14, 3, v12
	v_subrev_u32_e32 v20, 28, v15
	v_and_b32_e32 v14, 15, v14
	v_lshlrev_b32_e32 v20, v20, v12
	v_sub_u32_e32 v15, 29, v15
	v_and_b32_e32 v20, 7, v20
	v_cmp_eq_u16_e32 vcc, 0, v14
	v_cndmask_b32_e32 v11, v11, v20, vcc
	v_cndmask_b32_e32 v14, v14, v15, vcc
	v_lshlrev_b32_e32 v15, 24, v12
	v_mov_b32_e32 v20, 0x3b800000
	v_lshlrev_b32_e32 v11, 20, v11
	v_and_b32_e32 v15, 0x80000000, v15
	v_lshl_add_u32 v14, v14, 23, v20
	v_or3_b32 v11, v15, v14, v11
.LBB54_1352:
	s_or_b64 exec, exec, s[6:7]
	s_nop 0
	v_mfma_f32_16x16x4f32 a[0:3], v10, v11, a[0:3]
	v_lshrrev_b32_e32 v11, 8, v16
	s_movk_i32 s4, 0x7f
	v_cmp_gt_i16_sdwa s[6:7], v11, s4 src0_sel:BYTE_0 src1_sel:DWORD
	s_mov_b64 s[4:5], 0
                                        ; implicit-def: $sgpr10
	s_and_saveexec_b64 s[8:9], s[6:7]
	s_xor_b64 s[6:7], exec, s[8:9]
	s_cbranch_execnz .LBB54_3401
; %bb.1353:
	s_or_saveexec_b64 s[6:7], s[6:7]
	v_mov_b32_e32 v10, s10
	s_xor_b64 exec, exec, s[6:7]
	s_cbranch_execnz .LBB54_3404
.LBB54_1354:
	s_or_b64 exec, exec, s[6:7]
	s_and_saveexec_b64 s[6:7], s[4:5]
	s_cbranch_execz .LBB54_1356
.LBB54_1355:
	v_bfe_u32 v10, v16, 8, 3
	v_ffbh_u32_e32 v15, v10
	v_min_u32_e32 v15, 32, v15
	v_lshrrev_b16_e32 v14, 3, v11
	v_subrev_u32_e32 v20, 28, v15
	v_and_b32_e32 v14, 15, v14
	v_lshlrev_b32_e32 v11, v20, v11
	v_sub_u32_e32 v15, 29, v15
	v_and_b32_e32 v11, 7, v11
	v_cmp_eq_u16_e32 vcc, 0, v14
	v_cndmask_b32_e32 v10, v10, v11, vcc
	v_cndmask_b32_e32 v11, v14, v15, vcc
	v_lshlrev_b32_e32 v14, 16, v16
	v_mov_b32_e32 v15, 0x3b800000
	v_lshlrev_b32_e32 v10, 20, v10
	v_and_b32_e32 v14, 0x80000000, v14
	v_lshl_add_u32 v11, v11, 23, v15
	v_or3_b32 v10, v14, v11, v10
.LBB54_1356:
	s_or_b64 exec, exec, s[6:7]
	v_lshrrev_b32_e32 v11, 8, v12
	s_movk_i32 s4, 0x7f
	v_cmp_gt_i16_sdwa s[6:7], v11, s4 src0_sel:BYTE_0 src1_sel:DWORD
	s_mov_b64 s[4:5], 0
                                        ; implicit-def: $sgpr10
	s_and_saveexec_b64 s[8:9], s[6:7]
	s_xor_b64 s[6:7], exec, s[8:9]
	s_cbranch_execnz .LBB54_3405
; %bb.1357:
	s_or_saveexec_b64 s[6:7], s[6:7]
	v_mov_b32_e32 v14, s10
	s_xor_b64 exec, exec, s[6:7]
	s_cbranch_execnz .LBB54_3408
.LBB54_1358:
	s_or_b64 exec, exec, s[6:7]
	s_and_saveexec_b64 s[6:7], s[4:5]
	s_cbranch_execz .LBB54_1360
.LBB54_1359:
	v_bfe_u32 v14, v12, 8, 3
	v_ffbh_u32_e32 v20, v14
	v_min_u32_e32 v20, 32, v20
	v_lshrrev_b16_e32 v15, 3, v11
	v_subrev_u32_e32 v21, 28, v20
	v_and_b32_e32 v15, 15, v15
	v_lshlrev_b32_e32 v11, v21, v11
	v_sub_u32_e32 v20, 29, v20
	v_and_b32_e32 v11, 7, v11
	v_cmp_eq_u16_e32 vcc, 0, v15
	v_cndmask_b32_e32 v11, v14, v11, vcc
	v_cndmask_b32_e32 v14, v15, v20, vcc
	v_lshlrev_b32_e32 v15, 16, v12
	v_mov_b32_e32 v20, 0x3b800000
	v_lshlrev_b32_e32 v11, 20, v11
	v_and_b32_e32 v15, 0x80000000, v15
	v_lshl_add_u32 v14, v14, 23, v20
	v_or3_b32 v14, v15, v14, v11
.LBB54_1360:
	s_or_b64 exec, exec, s[6:7]
	s_nop 0
	v_mfma_f32_16x16x4f32 a[0:3], v10, v14, a[0:3]
	s_movk_i32 s4, 0xff
	v_and_b32_sdwa v11, v16, s4 dst_sel:DWORD dst_unused:UNUSED_PAD src0_sel:WORD_1 src1_sel:DWORD
	s_movk_i32 s4, 0x7f
	v_cmp_lt_i16_e32 vcc, s4, v11
	s_mov_b64 s[4:5], 0
                                        ; implicit-def: $sgpr10
	s_and_saveexec_b64 s[6:7], vcc
	s_xor_b64 s[6:7], exec, s[6:7]
	s_cbranch_execnz .LBB54_3409
; %bb.1361:
	s_or_saveexec_b64 s[6:7], s[6:7]
	v_mov_b32_e32 v10, s10
	s_xor_b64 exec, exec, s[6:7]
	s_cbranch_execnz .LBB54_3412
.LBB54_1362:
	s_or_b64 exec, exec, s[6:7]
	s_and_saveexec_b64 s[6:7], s[4:5]
	s_cbranch_execz .LBB54_1364
.LBB54_1363:
	v_bfe_u32 v10, v16, 16, 3
	v_ffbh_u32_e32 v15, v10
	v_min_u32_e32 v15, 32, v15
	v_lshrrev_b32_e32 v11, 19, v16
	v_subrev_u32_e32 v20, 28, v15
	v_and_b32_e32 v11, 15, v11
	v_lshlrev_b32_sdwa v20, v20, v16 dst_sel:DWORD dst_unused:UNUSED_PAD src0_sel:DWORD src1_sel:WORD_1
	v_bfe_u32 v14, v16, 19, 4
	v_sub_u32_e32 v15, 29, v15
	v_and_b32_e32 v20, 7, v20
	v_cmp_eq_u16_e32 vcc, 0, v11
	v_cndmask_b32_e32 v10, v10, v20, vcc
	v_cndmask_b32_e32 v11, v14, v15, vcc
	v_lshlrev_b32_e32 v14, 8, v16
	v_mov_b32_e32 v15, 0x3b800000
	v_lshlrev_b32_e32 v10, 20, v10
	v_and_b32_e32 v14, 0x80000000, v14
	v_lshl_add_u32 v11, v11, 23, v15
	v_or3_b32 v10, v14, v11, v10
.LBB54_1364:
	s_or_b64 exec, exec, s[6:7]
	s_movk_i32 s4, 0xff
	v_and_b32_sdwa v11, v12, s4 dst_sel:DWORD dst_unused:UNUSED_PAD src0_sel:WORD_1 src1_sel:DWORD
	s_movk_i32 s4, 0x7f
	v_cmp_lt_i16_e32 vcc, s4, v11
	s_mov_b64 s[4:5], 0
                                        ; implicit-def: $sgpr10
	s_and_saveexec_b64 s[6:7], vcc
	s_xor_b64 s[6:7], exec, s[6:7]
	s_cbranch_execnz .LBB54_3413
; %bb.1365:
	s_or_saveexec_b64 s[6:7], s[6:7]
	v_mov_b32_e32 v14, s10
	s_xor_b64 exec, exec, s[6:7]
	s_cbranch_execnz .LBB54_3416
.LBB54_1366:
	s_or_b64 exec, exec, s[6:7]
	s_and_saveexec_b64 s[6:7], s[4:5]
	s_cbranch_execz .LBB54_1368
.LBB54_1367:
	v_bfe_u32 v11, v12, 16, 3
	v_ffbh_u32_e32 v20, v11
	v_min_u32_e32 v20, 32, v20
	v_lshrrev_b32_e32 v14, 19, v12
	v_subrev_u32_e32 v21, 28, v20
	v_and_b32_e32 v14, 15, v14
	v_lshlrev_b32_sdwa v21, v21, v12 dst_sel:DWORD dst_unused:UNUSED_PAD src0_sel:DWORD src1_sel:WORD_1
	v_bfe_u32 v15, v12, 19, 4
	v_sub_u32_e32 v20, 29, v20
	v_and_b32_e32 v21, 7, v21
	v_cmp_eq_u16_e32 vcc, 0, v14
	v_cndmask_b32_e32 v11, v11, v21, vcc
	v_cndmask_b32_e32 v14, v15, v20, vcc
	v_lshlrev_b32_e32 v15, 8, v12
	v_mov_b32_e32 v20, 0x3b800000
	v_lshlrev_b32_e32 v11, 20, v11
	v_and_b32_e32 v15, 0x80000000, v15
	v_lshl_add_u32 v14, v14, 23, v20
	v_or3_b32 v14, v15, v14, v11
.LBB54_1368:
	s_or_b64 exec, exec, s[6:7]
	s_nop 0
	v_mfma_f32_16x16x4f32 a[0:3], v10, v14, a[0:3]
	s_movk_i32 s4, 0x7f
	v_cmp_gt_i16_sdwa s[6:7], v16, s4 src0_sel:BYTE_3 src1_sel:DWORD
	s_mov_b64 s[4:5], 0
                                        ; implicit-def: $sgpr10
	s_and_saveexec_b64 s[8:9], s[6:7]
	s_xor_b64 s[6:7], exec, s[8:9]
	s_cbranch_execnz .LBB54_3417
; %bb.1369:
	s_or_saveexec_b64 s[6:7], s[6:7]
	v_mov_b32_e32 v10, s10
	s_xor_b64 exec, exec, s[6:7]
	s_cbranch_execnz .LBB54_3420
.LBB54_1370:
	s_or_b64 exec, exec, s[6:7]
	s_and_saveexec_b64 s[6:7], s[4:5]
	s_cbranch_execz .LBB54_1372
.LBB54_1371:
	v_bfe_u32 v10, v16, 24, 3
	v_ffbh_u32_e32 v20, v10
	v_min_u32_e32 v20, 32, v20
	v_lshrrev_b32_e32 v14, 27, v16
	v_subrev_u32_e32 v21, 28, v20
	v_and_b32_e32 v11, 0x80000000, v16
	v_and_b32_e32 v14, 15, v14
	v_bfe_u32 v15, v16, 27, 4
	v_lshlrev_b32_sdwa v16, v21, v16 dst_sel:DWORD dst_unused:UNUSED_PAD src0_sel:DWORD src1_sel:BYTE_3
	v_sub_u32_e32 v20, 29, v20
	v_and_b32_e32 v16, 7, v16
	v_cmp_eq_u16_e32 vcc, 0, v14
	v_cndmask_b32_e32 v10, v10, v16, vcc
	v_cndmask_b32_e32 v14, v15, v20, vcc
	v_mov_b32_e32 v15, 0x3b800000
	v_lshlrev_b32_e32 v10, 20, v10
	v_lshl_add_u32 v14, v14, 23, v15
	v_or3_b32 v10, v11, v14, v10
.LBB54_1372:
	s_or_b64 exec, exec, s[6:7]
	s_movk_i32 s4, 0x7f
	v_cmp_gt_i16_sdwa s[6:7], v12, s4 src0_sel:BYTE_3 src1_sel:DWORD
	s_mov_b64 s[4:5], 0
                                        ; implicit-def: $sgpr10
	s_and_saveexec_b64 s[8:9], s[6:7]
	s_xor_b64 s[6:7], exec, s[8:9]
	s_cbranch_execnz .LBB54_3421
; %bb.1373:
	s_or_saveexec_b64 s[6:7], s[6:7]
	v_mov_b32_e32 v11, s10
	s_xor_b64 exec, exec, s[6:7]
	s_cbranch_execnz .LBB54_3424
.LBB54_1374:
	s_or_b64 exec, exec, s[6:7]
	s_and_saveexec_b64 s[6:7], s[4:5]
	s_cbranch_execz .LBB54_1376
.LBB54_1375:
	v_bfe_u32 v11, v12, 24, 3
	v_ffbh_u32_e32 v20, v11
	v_min_u32_e32 v20, 32, v20
	v_lshrrev_b32_e32 v15, 27, v12
	v_subrev_u32_e32 v21, 28, v20
	v_and_b32_e32 v14, 0x80000000, v12
	v_and_b32_e32 v15, 15, v15
	v_bfe_u32 v16, v12, 27, 4
	v_lshlrev_b32_sdwa v12, v21, v12 dst_sel:DWORD dst_unused:UNUSED_PAD src0_sel:DWORD src1_sel:BYTE_3
	v_sub_u32_e32 v20, 29, v20
	v_and_b32_e32 v12, 7, v12
	v_cmp_eq_u16_e32 vcc, 0, v15
	v_cndmask_b32_e32 v11, v11, v12, vcc
	v_cndmask_b32_e32 v12, v16, v20, vcc
	v_mov_b32_e32 v15, 0x3b800000
	v_lshlrev_b32_e32 v11, 20, v11
	v_lshl_add_u32 v12, v12, 23, v15
	v_or3_b32 v11, v14, v12, v11
.LBB54_1376:
	s_or_b64 exec, exec, s[6:7]
	s_nop 0
	v_mfma_f32_16x16x4f32 a[0:3], v10, v11, a[0:3]
	s_movk_i32 s4, 0x7f
	v_cmp_gt_i16_sdwa s[6:7], v17, s4 src0_sel:BYTE_0 src1_sel:DWORD
	s_mov_b64 s[4:5], 0
                                        ; implicit-def: $sgpr10
	s_and_saveexec_b64 s[8:9], s[6:7]
	s_xor_b64 s[6:7], exec, s[8:9]
	s_cbranch_execnz .LBB54_3425
; %bb.1377:
	s_or_saveexec_b64 s[6:7], s[6:7]
	v_mov_b32_e32 v10, s10
	s_xor_b64 exec, exec, s[6:7]
	s_cbranch_execnz .LBB54_3428
.LBB54_1378:
	s_or_b64 exec, exec, s[6:7]
	s_and_saveexec_b64 s[6:7], s[4:5]
	s_cbranch_execz .LBB54_1380
.LBB54_1379:
	v_and_b32_e32 v10, 7, v17
	v_ffbh_u32_e32 v12, v10
	v_min_u32_e32 v12, 32, v12
	v_lshrrev_b16_e32 v11, 3, v17
	v_subrev_u32_e32 v14, 28, v12
	v_and_b32_e32 v11, 15, v11
	v_lshlrev_b32_e32 v14, v14, v17
	v_sub_u32_e32 v12, 29, v12
	v_and_b32_e32 v14, 7, v14
	v_cmp_eq_u16_e32 vcc, 0, v11
	v_cndmask_b32_e32 v10, v10, v14, vcc
	v_cndmask_b32_e32 v11, v11, v12, vcc
	v_lshlrev_b32_e32 v12, 24, v17
	v_mov_b32_e32 v14, 0x3b800000
	v_lshlrev_b32_e32 v10, 20, v10
	v_and_b32_e32 v12, 0x80000000, v12
	v_lshl_add_u32 v11, v11, 23, v14
	v_or3_b32 v10, v12, v11, v10
.LBB54_1380:
	s_or_b64 exec, exec, s[6:7]
	s_movk_i32 s4, 0x7f
	v_cmp_gt_i16_sdwa s[6:7], v13, s4 src0_sel:BYTE_0 src1_sel:DWORD
	s_mov_b64 s[4:5], 0
                                        ; implicit-def: $sgpr10
	s_and_saveexec_b64 s[8:9], s[6:7]
	s_xor_b64 s[6:7], exec, s[8:9]
	s_cbranch_execnz .LBB54_3429
; %bb.1381:
	s_or_saveexec_b64 s[6:7], s[6:7]
	v_mov_b32_e32 v11, s10
	s_xor_b64 exec, exec, s[6:7]
	s_cbranch_execnz .LBB54_3432
.LBB54_1382:
	s_or_b64 exec, exec, s[6:7]
	s_and_saveexec_b64 s[6:7], s[4:5]
	s_cbranch_execz .LBB54_1384
.LBB54_1383:
	v_and_b32_e32 v11, 7, v13
	v_ffbh_u32_e32 v14, v11
	v_min_u32_e32 v14, 32, v14
	v_lshrrev_b16_e32 v12, 3, v13
	v_subrev_u32_e32 v15, 28, v14
	v_and_b32_e32 v12, 15, v12
	v_lshlrev_b32_e32 v15, v15, v13
	v_sub_u32_e32 v14, 29, v14
	v_and_b32_e32 v15, 7, v15
	v_cmp_eq_u16_e32 vcc, 0, v12
	v_cndmask_b32_e32 v11, v11, v15, vcc
	v_cndmask_b32_e32 v12, v12, v14, vcc
	v_lshlrev_b32_e32 v14, 24, v13
	v_mov_b32_e32 v15, 0x3b800000
	v_lshlrev_b32_e32 v11, 20, v11
	v_and_b32_e32 v14, 0x80000000, v14
	v_lshl_add_u32 v12, v12, 23, v15
	v_or3_b32 v11, v14, v12, v11
.LBB54_1384:
	s_or_b64 exec, exec, s[6:7]
	s_nop 0
	v_mfma_f32_16x16x4f32 a[0:3], v10, v11, a[0:3]
	v_lshrrev_b32_e32 v11, 8, v17
	s_movk_i32 s4, 0x7f
	v_cmp_gt_i16_sdwa s[6:7], v11, s4 src0_sel:BYTE_0 src1_sel:DWORD
	s_mov_b64 s[4:5], 0
                                        ; implicit-def: $sgpr10
	s_and_saveexec_b64 s[8:9], s[6:7]
	s_xor_b64 s[6:7], exec, s[8:9]
	s_cbranch_execnz .LBB54_3433
; %bb.1385:
	s_or_saveexec_b64 s[6:7], s[6:7]
	v_mov_b32_e32 v10, s10
	s_xor_b64 exec, exec, s[6:7]
	s_cbranch_execnz .LBB54_3436
.LBB54_1386:
	s_or_b64 exec, exec, s[6:7]
	s_and_saveexec_b64 s[6:7], s[4:5]
	s_cbranch_execz .LBB54_1388
.LBB54_1387:
	v_bfe_u32 v10, v17, 8, 3
	v_ffbh_u32_e32 v14, v10
	v_min_u32_e32 v14, 32, v14
	v_lshrrev_b16_e32 v12, 3, v11
	v_subrev_u32_e32 v15, 28, v14
	v_and_b32_e32 v12, 15, v12
	v_lshlrev_b32_e32 v11, v15, v11
	v_sub_u32_e32 v14, 29, v14
	v_and_b32_e32 v11, 7, v11
	v_cmp_eq_u16_e32 vcc, 0, v12
	v_cndmask_b32_e32 v10, v10, v11, vcc
	v_cndmask_b32_e32 v11, v12, v14, vcc
	v_lshlrev_b32_e32 v12, 16, v17
	v_mov_b32_e32 v14, 0x3b800000
	v_lshlrev_b32_e32 v10, 20, v10
	v_and_b32_e32 v12, 0x80000000, v12
	v_lshl_add_u32 v11, v11, 23, v14
	v_or3_b32 v10, v12, v11, v10
.LBB54_1388:
	s_or_b64 exec, exec, s[6:7]
	v_lshrrev_b32_e32 v11, 8, v13
	s_movk_i32 s4, 0x7f
	v_cmp_gt_i16_sdwa s[6:7], v11, s4 src0_sel:BYTE_0 src1_sel:DWORD
	s_mov_b64 s[4:5], 0
                                        ; implicit-def: $sgpr10
	s_and_saveexec_b64 s[8:9], s[6:7]
	s_xor_b64 s[6:7], exec, s[8:9]
	s_cbranch_execnz .LBB54_3437
; %bb.1389:
	s_or_saveexec_b64 s[6:7], s[6:7]
	v_mov_b32_e32 v12, s10
	s_xor_b64 exec, exec, s[6:7]
	s_cbranch_execnz .LBB54_3440
.LBB54_1390:
	s_or_b64 exec, exec, s[6:7]
	s_and_saveexec_b64 s[6:7], s[4:5]
	s_cbranch_execz .LBB54_1392
.LBB54_1391:
	v_bfe_u32 v12, v13, 8, 3
	v_ffbh_u32_e32 v15, v12
	v_min_u32_e32 v15, 32, v15
	v_lshrrev_b16_e32 v14, 3, v11
	v_subrev_u32_e32 v16, 28, v15
	v_and_b32_e32 v14, 15, v14
	v_lshlrev_b32_e32 v11, v16, v11
	v_sub_u32_e32 v15, 29, v15
	v_and_b32_e32 v11, 7, v11
	v_cmp_eq_u16_e32 vcc, 0, v14
	v_cndmask_b32_e32 v11, v12, v11, vcc
	v_cndmask_b32_e32 v12, v14, v15, vcc
	v_lshlrev_b32_e32 v14, 16, v13
	v_mov_b32_e32 v15, 0x3b800000
	v_lshlrev_b32_e32 v11, 20, v11
	v_and_b32_e32 v14, 0x80000000, v14
	v_lshl_add_u32 v12, v12, 23, v15
	v_or3_b32 v12, v14, v12, v11
.LBB54_1392:
	s_or_b64 exec, exec, s[6:7]
	s_nop 0
	v_mfma_f32_16x16x4f32 a[0:3], v10, v12, a[0:3]
	s_movk_i32 s4, 0xff
	v_and_b32_sdwa v11, v17, s4 dst_sel:DWORD dst_unused:UNUSED_PAD src0_sel:WORD_1 src1_sel:DWORD
	s_movk_i32 s4, 0x7f
	v_cmp_lt_i16_e32 vcc, s4, v11
	s_mov_b64 s[4:5], 0
                                        ; implicit-def: $sgpr10
	s_and_saveexec_b64 s[6:7], vcc
	s_xor_b64 s[6:7], exec, s[6:7]
	s_cbranch_execnz .LBB54_3441
; %bb.1393:
	s_or_saveexec_b64 s[6:7], s[6:7]
	v_mov_b32_e32 v10, s10
	s_xor_b64 exec, exec, s[6:7]
	s_cbranch_execnz .LBB54_3444
.LBB54_1394:
	s_or_b64 exec, exec, s[6:7]
	s_and_saveexec_b64 s[6:7], s[4:5]
	s_cbranch_execz .LBB54_1396
.LBB54_1395:
	v_bfe_u32 v10, v17, 16, 3
	v_ffbh_u32_e32 v14, v10
	v_min_u32_e32 v14, 32, v14
	v_lshrrev_b32_e32 v11, 19, v17
	v_subrev_u32_e32 v15, 28, v14
	v_and_b32_e32 v11, 15, v11
	v_lshlrev_b32_sdwa v15, v15, v17 dst_sel:DWORD dst_unused:UNUSED_PAD src0_sel:DWORD src1_sel:WORD_1
	v_bfe_u32 v12, v17, 19, 4
	v_sub_u32_e32 v14, 29, v14
	v_and_b32_e32 v15, 7, v15
	v_cmp_eq_u16_e32 vcc, 0, v11
	v_cndmask_b32_e32 v10, v10, v15, vcc
	v_cndmask_b32_e32 v11, v12, v14, vcc
	v_lshlrev_b32_e32 v12, 8, v17
	v_mov_b32_e32 v14, 0x3b800000
	v_lshlrev_b32_e32 v10, 20, v10
	v_and_b32_e32 v12, 0x80000000, v12
	v_lshl_add_u32 v11, v11, 23, v14
	v_or3_b32 v10, v12, v11, v10
.LBB54_1396:
	s_or_b64 exec, exec, s[6:7]
	s_movk_i32 s4, 0xff
	v_and_b32_sdwa v11, v13, s4 dst_sel:DWORD dst_unused:UNUSED_PAD src0_sel:WORD_1 src1_sel:DWORD
	s_movk_i32 s4, 0x7f
	v_cmp_lt_i16_e32 vcc, s4, v11
	s_mov_b64 s[4:5], 0
                                        ; implicit-def: $sgpr10
	s_and_saveexec_b64 s[6:7], vcc
	s_xor_b64 s[6:7], exec, s[6:7]
	s_cbranch_execnz .LBB54_3445
; %bb.1397:
	s_or_saveexec_b64 s[6:7], s[6:7]
	v_mov_b32_e32 v12, s10
	s_xor_b64 exec, exec, s[6:7]
	s_cbranch_execnz .LBB54_3448
.LBB54_1398:
	s_or_b64 exec, exec, s[6:7]
	s_and_saveexec_b64 s[6:7], s[4:5]
	s_cbranch_execz .LBB54_1400
.LBB54_1399:
	v_bfe_u32 v11, v13, 16, 3
	v_ffbh_u32_e32 v15, v11
	v_min_u32_e32 v15, 32, v15
	v_lshrrev_b32_e32 v12, 19, v13
	v_subrev_u32_e32 v16, 28, v15
	v_and_b32_e32 v12, 15, v12
	v_lshlrev_b32_sdwa v16, v16, v13 dst_sel:DWORD dst_unused:UNUSED_PAD src0_sel:DWORD src1_sel:WORD_1
	v_bfe_u32 v14, v13, 19, 4
	v_sub_u32_e32 v15, 29, v15
	v_and_b32_e32 v16, 7, v16
	v_cmp_eq_u16_e32 vcc, 0, v12
	v_cndmask_b32_e32 v11, v11, v16, vcc
	v_cndmask_b32_e32 v12, v14, v15, vcc
	v_lshlrev_b32_e32 v14, 8, v13
	v_mov_b32_e32 v15, 0x3b800000
	v_lshlrev_b32_e32 v11, 20, v11
	v_and_b32_e32 v14, 0x80000000, v14
	v_lshl_add_u32 v12, v12, 23, v15
	v_or3_b32 v12, v14, v12, v11
.LBB54_1400:
	s_or_b64 exec, exec, s[6:7]
	s_nop 0
	v_mfma_f32_16x16x4f32 a[0:3], v10, v12, a[0:3]
	s_movk_i32 s4, 0x7f
	v_cmp_gt_i16_sdwa s[6:7], v17, s4 src0_sel:BYTE_3 src1_sel:DWORD
	s_mov_b64 s[4:5], 0
                                        ; implicit-def: $sgpr10
	s_and_saveexec_b64 s[8:9], s[6:7]
	s_xor_b64 s[6:7], exec, s[8:9]
	s_cbranch_execnz .LBB54_3449
; %bb.1401:
	s_or_saveexec_b64 s[6:7], s[6:7]
	v_mov_b32_e32 v10, s10
	s_xor_b64 exec, exec, s[6:7]
	s_cbranch_execnz .LBB54_3452
.LBB54_1402:
	s_or_b64 exec, exec, s[6:7]
	s_and_saveexec_b64 s[6:7], s[4:5]
	s_cbranch_execz .LBB54_1404
.LBB54_1403:
	v_bfe_u32 v10, v17, 24, 3
	v_ffbh_u32_e32 v15, v10
	v_min_u32_e32 v15, 32, v15
	v_lshrrev_b32_e32 v12, 27, v17
	v_subrev_u32_e32 v16, 28, v15
	v_and_b32_e32 v12, 15, v12
	v_lshlrev_b32_sdwa v16, v16, v17 dst_sel:DWORD dst_unused:UNUSED_PAD src0_sel:DWORD src1_sel:BYTE_3
	v_bfe_u32 v14, v17, 27, 4
	v_sub_u32_e32 v15, 29, v15
	v_and_b32_e32 v16, 7, v16
	v_cmp_eq_u16_e32 vcc, 0, v12
	v_cndmask_b32_e32 v10, v10, v16, vcc
	v_cndmask_b32_e32 v12, v14, v15, vcc
	v_mov_b32_e32 v14, 0x3b800000
	v_and_b32_e32 v11, 0x80000000, v17
	v_lshlrev_b32_e32 v10, 20, v10
	v_lshl_add_u32 v12, v12, 23, v14
	v_or3_b32 v10, v11, v12, v10
.LBB54_1404:
	s_or_b64 exec, exec, s[6:7]
	s_movk_i32 s4, 0x7f
	v_cmp_gt_i16_sdwa s[6:7], v13, s4 src0_sel:BYTE_3 src1_sel:DWORD
	s_mov_b64 s[4:5], 0
                                        ; implicit-def: $sgpr10
	s_and_saveexec_b64 s[8:9], s[6:7]
	s_xor_b64 s[6:7], exec, s[8:9]
	s_cbranch_execnz .LBB54_3453
; %bb.1405:
	s_or_saveexec_b64 s[6:7], s[6:7]
	v_mov_b32_e32 v11, s10
	s_xor_b64 exec, exec, s[6:7]
	s_cbranch_execnz .LBB54_3456
.LBB54_1406:
	s_or_b64 exec, exec, s[6:7]
	s_and_saveexec_b64 s[6:7], s[4:5]
	s_cbranch_execz .LBB54_1408
.LBB54_1407:
	v_bfe_u32 v11, v13, 24, 3
	v_ffbh_u32_e32 v16, v11
	v_min_u32_e32 v16, 32, v16
	v_lshrrev_b32_e32 v14, 27, v13
	v_subrev_u32_e32 v17, 28, v16
	v_and_b32_e32 v12, 0x80000000, v13
	v_and_b32_e32 v14, 15, v14
	v_bfe_u32 v15, v13, 27, 4
	v_lshlrev_b32_sdwa v13, v17, v13 dst_sel:DWORD dst_unused:UNUSED_PAD src0_sel:DWORD src1_sel:BYTE_3
	v_sub_u32_e32 v16, 29, v16
	v_and_b32_e32 v13, 7, v13
	v_cmp_eq_u16_e32 vcc, 0, v14
	v_cndmask_b32_e32 v11, v11, v13, vcc
	v_cndmask_b32_e32 v13, v15, v16, vcc
	v_mov_b32_e32 v14, 0x3b800000
	v_lshlrev_b32_e32 v11, 20, v11
	v_lshl_add_u32 v13, v13, 23, v14
	v_or3_b32 v11, v12, v13, v11
.LBB54_1408:
	s_or_b64 exec, exec, s[6:7]
	s_nop 0
	v_mfma_f32_16x16x4f32 a[0:3], v10, v11, a[0:3]
	s_movk_i32 s4, 0x7f
	v_cmp_gt_i16_sdwa s[6:7], v6, s4 src0_sel:BYTE_0 src1_sel:DWORD
	s_mov_b64 s[4:5], 0
                                        ; implicit-def: $sgpr10
	s_and_saveexec_b64 s[8:9], s[6:7]
	s_xor_b64 s[6:7], exec, s[8:9]
	s_cbranch_execnz .LBB54_3457
; %bb.1409:
	s_or_saveexec_b64 s[6:7], s[6:7]
	v_mov_b32_e32 v10, s10
	s_xor_b64 exec, exec, s[6:7]
	s_cbranch_execnz .LBB54_3460
.LBB54_1410:
	s_or_b64 exec, exec, s[6:7]
	s_and_saveexec_b64 s[6:7], s[4:5]
	s_cbranch_execz .LBB54_1412
.LBB54_1411:
	v_and_b32_e32 v10, 7, v6
	v_ffbh_u32_e32 v12, v10
	v_min_u32_e32 v12, 32, v12
	v_lshrrev_b16_e32 v11, 3, v6
	v_subrev_u32_e32 v13, 28, v12
	v_and_b32_e32 v11, 15, v11
	v_lshlrev_b32_e32 v13, v13, v6
	v_sub_u32_e32 v12, 29, v12
	v_and_b32_e32 v13, 7, v13
	v_cmp_eq_u16_e32 vcc, 0, v11
	v_cndmask_b32_e32 v10, v10, v13, vcc
	v_cndmask_b32_e32 v11, v11, v12, vcc
	v_lshlrev_b32_e32 v12, 24, v6
	v_mov_b32_e32 v13, 0x3b800000
	v_lshlrev_b32_e32 v10, 20, v10
	v_and_b32_e32 v12, 0x80000000, v12
	v_lshl_add_u32 v11, v11, 23, v13
	v_or3_b32 v10, v12, v11, v10
.LBB54_1412:
	s_or_b64 exec, exec, s[6:7]
	s_movk_i32 s4, 0x7f
	v_cmp_gt_i16_sdwa s[6:7], v2, s4 src0_sel:BYTE_0 src1_sel:DWORD
	s_mov_b64 s[4:5], 0
                                        ; implicit-def: $sgpr10
	s_and_saveexec_b64 s[8:9], s[6:7]
	s_xor_b64 s[6:7], exec, s[8:9]
	s_cbranch_execnz .LBB54_3461
; %bb.1413:
	s_or_saveexec_b64 s[6:7], s[6:7]
	v_mov_b32_e32 v11, s10
	s_xor_b64 exec, exec, s[6:7]
	s_cbranch_execnz .LBB54_3464
.LBB54_1414:
	s_or_b64 exec, exec, s[6:7]
	s_and_saveexec_b64 s[6:7], s[4:5]
	s_cbranch_execz .LBB54_1416
.LBB54_1415:
	v_and_b32_e32 v11, 7, v2
	v_ffbh_u32_e32 v13, v11
	v_min_u32_e32 v13, 32, v13
	v_lshrrev_b16_e32 v12, 3, v2
	v_subrev_u32_e32 v14, 28, v13
	v_and_b32_e32 v12, 15, v12
	v_lshlrev_b32_e32 v14, v14, v2
	v_sub_u32_e32 v13, 29, v13
	v_and_b32_e32 v14, 7, v14
	v_cmp_eq_u16_e32 vcc, 0, v12
	v_cndmask_b32_e32 v11, v11, v14, vcc
	v_cndmask_b32_e32 v12, v12, v13, vcc
	v_lshlrev_b32_e32 v13, 24, v2
	v_mov_b32_e32 v14, 0x3b800000
	v_lshlrev_b32_e32 v11, 20, v11
	v_and_b32_e32 v13, 0x80000000, v13
	v_lshl_add_u32 v12, v12, 23, v14
	v_or3_b32 v11, v13, v12, v11
.LBB54_1416:
	s_or_b64 exec, exec, s[6:7]
	s_nop 0
	v_mfma_f32_16x16x4f32 a[0:3], v10, v11, a[0:3]
	v_lshrrev_b32_e32 v11, 8, v6
	s_movk_i32 s4, 0x7f
	v_cmp_gt_i16_sdwa s[6:7], v11, s4 src0_sel:BYTE_0 src1_sel:DWORD
	s_mov_b64 s[4:5], 0
                                        ; implicit-def: $sgpr10
	s_and_saveexec_b64 s[8:9], s[6:7]
	s_xor_b64 s[6:7], exec, s[8:9]
	s_cbranch_execnz .LBB54_3465
; %bb.1417:
	s_or_saveexec_b64 s[6:7], s[6:7]
	v_mov_b32_e32 v10, s10
	s_xor_b64 exec, exec, s[6:7]
	s_cbranch_execnz .LBB54_3468
.LBB54_1418:
	s_or_b64 exec, exec, s[6:7]
	s_and_saveexec_b64 s[6:7], s[4:5]
	s_cbranch_execz .LBB54_1420
.LBB54_1419:
	v_bfe_u32 v10, v6, 8, 3
	v_ffbh_u32_e32 v13, v10
	v_min_u32_e32 v13, 32, v13
	v_lshrrev_b16_e32 v12, 3, v11
	v_subrev_u32_e32 v14, 28, v13
	v_and_b32_e32 v12, 15, v12
	v_lshlrev_b32_e32 v11, v14, v11
	v_sub_u32_e32 v13, 29, v13
	v_and_b32_e32 v11, 7, v11
	v_cmp_eq_u16_e32 vcc, 0, v12
	v_cndmask_b32_e32 v10, v10, v11, vcc
	v_cndmask_b32_e32 v11, v12, v13, vcc
	v_lshlrev_b32_e32 v12, 16, v6
	v_mov_b32_e32 v13, 0x3b800000
	v_lshlrev_b32_e32 v10, 20, v10
	v_and_b32_e32 v12, 0x80000000, v12
	v_lshl_add_u32 v11, v11, 23, v13
	v_or3_b32 v10, v12, v11, v10
.LBB54_1420:
	s_or_b64 exec, exec, s[6:7]
	v_lshrrev_b32_e32 v11, 8, v2
	s_movk_i32 s4, 0x7f
	v_cmp_gt_i16_sdwa s[6:7], v11, s4 src0_sel:BYTE_0 src1_sel:DWORD
	s_mov_b64 s[4:5], 0
                                        ; implicit-def: $sgpr10
	s_and_saveexec_b64 s[8:9], s[6:7]
	s_xor_b64 s[6:7], exec, s[8:9]
	s_cbranch_execnz .LBB54_3469
; %bb.1421:
	s_or_saveexec_b64 s[6:7], s[6:7]
	v_mov_b32_e32 v12, s10
	s_xor_b64 exec, exec, s[6:7]
	s_cbranch_execnz .LBB54_3472
.LBB54_1422:
	s_or_b64 exec, exec, s[6:7]
	s_and_saveexec_b64 s[6:7], s[4:5]
	s_cbranch_execz .LBB54_1424
.LBB54_1423:
	v_bfe_u32 v12, v2, 8, 3
	v_ffbh_u32_e32 v14, v12
	v_min_u32_e32 v14, 32, v14
	v_lshrrev_b16_e32 v13, 3, v11
	v_subrev_u32_e32 v15, 28, v14
	v_and_b32_e32 v13, 15, v13
	v_lshlrev_b32_e32 v11, v15, v11
	v_sub_u32_e32 v14, 29, v14
	v_and_b32_e32 v11, 7, v11
	v_cmp_eq_u16_e32 vcc, 0, v13
	v_cndmask_b32_e32 v11, v12, v11, vcc
	v_cndmask_b32_e32 v12, v13, v14, vcc
	v_lshlrev_b32_e32 v13, 16, v2
	v_mov_b32_e32 v14, 0x3b800000
	v_lshlrev_b32_e32 v11, 20, v11
	v_and_b32_e32 v13, 0x80000000, v13
	v_lshl_add_u32 v12, v12, 23, v14
	v_or3_b32 v12, v13, v12, v11
.LBB54_1424:
	s_or_b64 exec, exec, s[6:7]
	s_nop 0
	v_mfma_f32_16x16x4f32 a[0:3], v10, v12, a[0:3]
	s_movk_i32 s4, 0xff
	v_and_b32_sdwa v11, v6, s4 dst_sel:DWORD dst_unused:UNUSED_PAD src0_sel:WORD_1 src1_sel:DWORD
	s_movk_i32 s4, 0x7f
	v_cmp_lt_i16_e32 vcc, s4, v11
	s_mov_b64 s[4:5], 0
                                        ; implicit-def: $sgpr10
	s_and_saveexec_b64 s[6:7], vcc
	s_xor_b64 s[6:7], exec, s[6:7]
	s_cbranch_execnz .LBB54_3473
; %bb.1425:
	s_or_saveexec_b64 s[6:7], s[6:7]
	v_mov_b32_e32 v10, s10
	s_xor_b64 exec, exec, s[6:7]
	s_cbranch_execnz .LBB54_3476
.LBB54_1426:
	s_or_b64 exec, exec, s[6:7]
	s_and_saveexec_b64 s[6:7], s[4:5]
	s_cbranch_execz .LBB54_1428
.LBB54_1427:
	v_bfe_u32 v10, v6, 16, 3
	v_ffbh_u32_e32 v13, v10
	v_min_u32_e32 v13, 32, v13
	v_lshrrev_b32_e32 v11, 19, v6
	v_subrev_u32_e32 v14, 28, v13
	v_and_b32_e32 v11, 15, v11
	v_lshlrev_b32_sdwa v14, v14, v6 dst_sel:DWORD dst_unused:UNUSED_PAD src0_sel:DWORD src1_sel:WORD_1
	v_bfe_u32 v12, v6, 19, 4
	v_sub_u32_e32 v13, 29, v13
	v_and_b32_e32 v14, 7, v14
	v_cmp_eq_u16_e32 vcc, 0, v11
	v_cndmask_b32_e32 v10, v10, v14, vcc
	v_cndmask_b32_e32 v11, v12, v13, vcc
	v_lshlrev_b32_e32 v12, 8, v6
	v_mov_b32_e32 v13, 0x3b800000
	v_lshlrev_b32_e32 v10, 20, v10
	v_and_b32_e32 v12, 0x80000000, v12
	v_lshl_add_u32 v11, v11, 23, v13
	v_or3_b32 v10, v12, v11, v10
.LBB54_1428:
	s_or_b64 exec, exec, s[6:7]
	s_movk_i32 s4, 0xff
	v_and_b32_sdwa v11, v2, s4 dst_sel:DWORD dst_unused:UNUSED_PAD src0_sel:WORD_1 src1_sel:DWORD
	s_movk_i32 s4, 0x7f
	v_cmp_lt_i16_e32 vcc, s4, v11
	s_mov_b64 s[4:5], 0
                                        ; implicit-def: $sgpr10
	s_and_saveexec_b64 s[6:7], vcc
	s_xor_b64 s[6:7], exec, s[6:7]
	s_cbranch_execnz .LBB54_3477
; %bb.1429:
	s_or_saveexec_b64 s[6:7], s[6:7]
	v_mov_b32_e32 v12, s10
	s_xor_b64 exec, exec, s[6:7]
	s_cbranch_execnz .LBB54_3480
.LBB54_1430:
	s_or_b64 exec, exec, s[6:7]
	s_and_saveexec_b64 s[6:7], s[4:5]
	s_cbranch_execz .LBB54_1432
.LBB54_1431:
	v_bfe_u32 v11, v2, 16, 3
	v_ffbh_u32_e32 v14, v11
	v_min_u32_e32 v14, 32, v14
	v_lshrrev_b32_e32 v12, 19, v2
	v_subrev_u32_e32 v15, 28, v14
	v_and_b32_e32 v12, 15, v12
	v_lshlrev_b32_sdwa v15, v15, v2 dst_sel:DWORD dst_unused:UNUSED_PAD src0_sel:DWORD src1_sel:WORD_1
	v_bfe_u32 v13, v2, 19, 4
	v_sub_u32_e32 v14, 29, v14
	v_and_b32_e32 v15, 7, v15
	v_cmp_eq_u16_e32 vcc, 0, v12
	v_cndmask_b32_e32 v11, v11, v15, vcc
	v_cndmask_b32_e32 v12, v13, v14, vcc
	v_lshlrev_b32_e32 v13, 8, v2
	v_mov_b32_e32 v14, 0x3b800000
	v_lshlrev_b32_e32 v11, 20, v11
	v_and_b32_e32 v13, 0x80000000, v13
	v_lshl_add_u32 v12, v12, 23, v14
	v_or3_b32 v12, v13, v12, v11
.LBB54_1432:
	s_or_b64 exec, exec, s[6:7]
	s_nop 0
	v_mfma_f32_16x16x4f32 a[0:3], v10, v12, a[0:3]
	s_movk_i32 s4, 0x7f
	v_cmp_gt_i16_sdwa s[6:7], v6, s4 src0_sel:BYTE_3 src1_sel:DWORD
	s_mov_b64 s[4:5], 0
                                        ; implicit-def: $sgpr10
	s_and_saveexec_b64 s[8:9], s[6:7]
	s_xor_b64 s[6:7], exec, s[8:9]
	s_cbranch_execnz .LBB54_3481
; %bb.1433:
	s_or_saveexec_b64 s[6:7], s[6:7]
	v_mov_b32_e32 v10, s10
	s_xor_b64 exec, exec, s[6:7]
	s_cbranch_execnz .LBB54_3484
.LBB54_1434:
	s_or_b64 exec, exec, s[6:7]
	s_and_saveexec_b64 s[6:7], s[4:5]
	s_cbranch_execz .LBB54_1436
.LBB54_1435:
	v_bfe_u32 v10, v6, 24, 3
	v_ffbh_u32_e32 v14, v10
	v_min_u32_e32 v14, 32, v14
	v_lshrrev_b32_e32 v12, 27, v6
	v_subrev_u32_e32 v15, 28, v14
	v_and_b32_e32 v11, 0x80000000, v6
	v_and_b32_e32 v12, 15, v12
	v_bfe_u32 v13, v6, 27, 4
	v_lshlrev_b32_sdwa v6, v15, v6 dst_sel:DWORD dst_unused:UNUSED_PAD src0_sel:DWORD src1_sel:BYTE_3
	v_sub_u32_e32 v14, 29, v14
	v_and_b32_e32 v6, 7, v6
	v_cmp_eq_u16_e32 vcc, 0, v12
	v_cndmask_b32_e32 v6, v10, v6, vcc
	v_cndmask_b32_e32 v10, v13, v14, vcc
	v_mov_b32_e32 v12, 0x3b800000
	v_lshlrev_b32_e32 v6, 20, v6
	v_lshl_add_u32 v10, v10, 23, v12
	v_or3_b32 v10, v11, v10, v6
.LBB54_1436:
	s_or_b64 exec, exec, s[6:7]
	s_movk_i32 s4, 0x7f
	v_cmp_gt_i16_sdwa s[6:7], v2, s4 src0_sel:BYTE_3 src1_sel:DWORD
	s_mov_b64 s[4:5], 0
                                        ; implicit-def: $sgpr10
	s_and_saveexec_b64 s[8:9], s[6:7]
	s_xor_b64 s[6:7], exec, s[8:9]
	s_cbranch_execnz .LBB54_3485
; %bb.1437:
	s_or_saveexec_b64 s[6:7], s[6:7]
	v_mov_b32_e32 v6, s10
	s_xor_b64 exec, exec, s[6:7]
	s_cbranch_execnz .LBB54_3488
.LBB54_1438:
	s_or_b64 exec, exec, s[6:7]
	s_and_saveexec_b64 s[6:7], s[4:5]
	s_cbranch_execz .LBB54_1440
.LBB54_1439:
	v_bfe_u32 v6, v2, 24, 3
	v_ffbh_u32_e32 v14, v6
	v_min_u32_e32 v14, 32, v14
	v_lshrrev_b32_e32 v12, 27, v2
	v_subrev_u32_e32 v15, 28, v14
	v_and_b32_e32 v11, 0x80000000, v2
	v_and_b32_e32 v12, 15, v12
	v_bfe_u32 v13, v2, 27, 4
	v_lshlrev_b32_sdwa v2, v15, v2 dst_sel:DWORD dst_unused:UNUSED_PAD src0_sel:DWORD src1_sel:BYTE_3
	v_sub_u32_e32 v14, 29, v14
	v_and_b32_e32 v2, 7, v2
	v_cmp_eq_u16_e32 vcc, 0, v12
	v_cndmask_b32_e32 v2, v6, v2, vcc
	v_cndmask_b32_e32 v6, v13, v14, vcc
	v_mov_b32_e32 v12, 0x3b800000
	v_lshlrev_b32_e32 v2, 20, v2
	v_lshl_add_u32 v6, v6, 23, v12
	v_or3_b32 v6, v11, v6, v2
.LBB54_1440:
	s_or_b64 exec, exec, s[6:7]
	s_nop 0
	v_mfma_f32_16x16x4f32 a[0:3], v10, v6, a[0:3]
	s_movk_i32 s4, 0x7f
	v_cmp_gt_i16_sdwa s[6:7], v7, s4 src0_sel:BYTE_0 src1_sel:DWORD
	s_mov_b64 s[4:5], 0
                                        ; implicit-def: $sgpr10
	s_and_saveexec_b64 s[8:9], s[6:7]
	s_xor_b64 s[6:7], exec, s[8:9]
	s_cbranch_execnz .LBB54_3489
; %bb.1441:
	s_or_saveexec_b64 s[6:7], s[6:7]
	v_mov_b32_e32 v2, s10
	s_xor_b64 exec, exec, s[6:7]
	s_cbranch_execnz .LBB54_3492
.LBB54_1442:
	s_or_b64 exec, exec, s[6:7]
	s_and_saveexec_b64 s[6:7], s[4:5]
	s_cbranch_execz .LBB54_1444
.LBB54_1443:
	v_and_b32_e32 v2, 7, v7
	v_ffbh_u32_e32 v10, v2
	v_min_u32_e32 v10, 32, v10
	v_lshrrev_b16_e32 v6, 3, v7
	v_subrev_u32_e32 v11, 28, v10
	v_and_b32_e32 v6, 15, v6
	v_lshlrev_b32_e32 v11, v11, v7
	v_sub_u32_e32 v10, 29, v10
	v_and_b32_e32 v11, 7, v11
	v_cmp_eq_u16_e32 vcc, 0, v6
	v_cndmask_b32_e32 v2, v2, v11, vcc
	v_cndmask_b32_e32 v6, v6, v10, vcc
	v_lshlrev_b32_e32 v10, 24, v7
	v_mov_b32_e32 v11, 0x3b800000
	v_lshlrev_b32_e32 v2, 20, v2
	v_and_b32_e32 v10, 0x80000000, v10
	v_lshl_add_u32 v6, v6, 23, v11
	v_or3_b32 v2, v10, v6, v2
.LBB54_1444:
	s_or_b64 exec, exec, s[6:7]
	s_movk_i32 s4, 0x7f
	v_cmp_gt_i16_sdwa s[6:7], v3, s4 src0_sel:BYTE_0 src1_sel:DWORD
	s_mov_b64 s[4:5], 0
                                        ; implicit-def: $sgpr10
	s_and_saveexec_b64 s[8:9], s[6:7]
	s_xor_b64 s[6:7], exec, s[8:9]
	s_cbranch_execnz .LBB54_3493
; %bb.1445:
	s_or_saveexec_b64 s[6:7], s[6:7]
	v_mov_b32_e32 v6, s10
	s_xor_b64 exec, exec, s[6:7]
	s_cbranch_execnz .LBB54_3496
.LBB54_1446:
	s_or_b64 exec, exec, s[6:7]
	s_and_saveexec_b64 s[6:7], s[4:5]
	s_cbranch_execz .LBB54_1448
.LBB54_1447:
	v_and_b32_e32 v6, 7, v3
	v_ffbh_u32_e32 v11, v6
	v_min_u32_e32 v11, 32, v11
	v_lshrrev_b16_e32 v10, 3, v3
	v_subrev_u32_e32 v12, 28, v11
	v_and_b32_e32 v10, 15, v10
	v_lshlrev_b32_e32 v12, v12, v3
	v_sub_u32_e32 v11, 29, v11
	v_and_b32_e32 v12, 7, v12
	v_cmp_eq_u16_e32 vcc, 0, v10
	v_cndmask_b32_e32 v6, v6, v12, vcc
	v_cndmask_b32_e32 v10, v10, v11, vcc
	v_lshlrev_b32_e32 v11, 24, v3
	v_mov_b32_e32 v12, 0x3b800000
	v_lshlrev_b32_e32 v6, 20, v6
	v_and_b32_e32 v11, 0x80000000, v11
	v_lshl_add_u32 v10, v10, 23, v12
	v_or3_b32 v6, v11, v10, v6
.LBB54_1448:
	s_or_b64 exec, exec, s[6:7]
	s_nop 0
	v_mfma_f32_16x16x4f32 a[0:3], v2, v6, a[0:3]
	v_lshrrev_b32_e32 v6, 8, v7
	s_movk_i32 s4, 0x7f
	v_cmp_gt_i16_sdwa s[6:7], v6, s4 src0_sel:BYTE_0 src1_sel:DWORD
	s_mov_b64 s[4:5], 0
                                        ; implicit-def: $sgpr10
	s_and_saveexec_b64 s[8:9], s[6:7]
	s_xor_b64 s[6:7], exec, s[8:9]
	s_cbranch_execnz .LBB54_3497
; %bb.1449:
	s_or_saveexec_b64 s[6:7], s[6:7]
	v_mov_b32_e32 v2, s10
	s_xor_b64 exec, exec, s[6:7]
	s_cbranch_execnz .LBB54_3500
.LBB54_1450:
	s_or_b64 exec, exec, s[6:7]
	s_and_saveexec_b64 s[6:7], s[4:5]
	s_cbranch_execz .LBB54_1452
.LBB54_1451:
	v_bfe_u32 v2, v7, 8, 3
	v_ffbh_u32_e32 v11, v2
	v_min_u32_e32 v11, 32, v11
	v_lshrrev_b16_e32 v10, 3, v6
	v_subrev_u32_e32 v12, 28, v11
	v_and_b32_e32 v10, 15, v10
	v_lshlrev_b32_e32 v6, v12, v6
	v_sub_u32_e32 v11, 29, v11
	v_and_b32_e32 v6, 7, v6
	v_cmp_eq_u16_e32 vcc, 0, v10
	v_cndmask_b32_e32 v2, v2, v6, vcc
	v_cndmask_b32_e32 v6, v10, v11, vcc
	v_lshlrev_b32_e32 v10, 16, v7
	v_mov_b32_e32 v11, 0x3b800000
	v_lshlrev_b32_e32 v2, 20, v2
	v_and_b32_e32 v10, 0x80000000, v10
	v_lshl_add_u32 v6, v6, 23, v11
	v_or3_b32 v2, v10, v6, v2
.LBB54_1452:
	s_or_b64 exec, exec, s[6:7]
	v_lshrrev_b32_e32 v6, 8, v3
	s_movk_i32 s4, 0x7f
	v_cmp_gt_i16_sdwa s[6:7], v6, s4 src0_sel:BYTE_0 src1_sel:DWORD
	s_mov_b64 s[4:5], 0
                                        ; implicit-def: $sgpr10
	s_and_saveexec_b64 s[8:9], s[6:7]
	s_xor_b64 s[6:7], exec, s[8:9]
	s_cbranch_execnz .LBB54_3501
; %bb.1453:
	s_or_saveexec_b64 s[6:7], s[6:7]
	v_mov_b32_e32 v10, s10
	s_xor_b64 exec, exec, s[6:7]
	s_cbranch_execnz .LBB54_3504
.LBB54_1454:
	s_or_b64 exec, exec, s[6:7]
	s_and_saveexec_b64 s[6:7], s[4:5]
	s_cbranch_execz .LBB54_1456
.LBB54_1455:
	v_bfe_u32 v10, v3, 8, 3
	v_ffbh_u32_e32 v12, v10
	v_min_u32_e32 v12, 32, v12
	v_lshrrev_b16_e32 v11, 3, v6
	v_subrev_u32_e32 v13, 28, v12
	v_and_b32_e32 v11, 15, v11
	v_lshlrev_b32_e32 v6, v13, v6
	v_sub_u32_e32 v12, 29, v12
	v_and_b32_e32 v6, 7, v6
	v_cmp_eq_u16_e32 vcc, 0, v11
	v_cndmask_b32_e32 v6, v10, v6, vcc
	v_cndmask_b32_e32 v10, v11, v12, vcc
	v_lshlrev_b32_e32 v11, 16, v3
	v_mov_b32_e32 v12, 0x3b800000
	v_lshlrev_b32_e32 v6, 20, v6
	v_and_b32_e32 v11, 0x80000000, v11
	v_lshl_add_u32 v10, v10, 23, v12
	v_or3_b32 v10, v11, v10, v6
.LBB54_1456:
	s_or_b64 exec, exec, s[6:7]
	s_nop 0
	v_mfma_f32_16x16x4f32 a[0:3], v2, v10, a[0:3]
	s_movk_i32 s4, 0xff
	v_and_b32_sdwa v6, v7, s4 dst_sel:DWORD dst_unused:UNUSED_PAD src0_sel:WORD_1 src1_sel:DWORD
	s_movk_i32 s4, 0x7f
	v_cmp_lt_i16_e32 vcc, s4, v6
	s_mov_b64 s[4:5], 0
                                        ; implicit-def: $sgpr10
	s_and_saveexec_b64 s[6:7], vcc
	s_xor_b64 s[6:7], exec, s[6:7]
	s_cbranch_execnz .LBB54_3505
; %bb.1457:
	s_or_saveexec_b64 s[6:7], s[6:7]
	v_mov_b32_e32 v2, s10
	s_xor_b64 exec, exec, s[6:7]
	s_cbranch_execnz .LBB54_3508
.LBB54_1458:
	s_or_b64 exec, exec, s[6:7]
	s_and_saveexec_b64 s[6:7], s[4:5]
	s_cbranch_execz .LBB54_1460
.LBB54_1459:
	v_bfe_u32 v2, v7, 16, 3
	v_ffbh_u32_e32 v11, v2
	v_min_u32_e32 v11, 32, v11
	v_lshrrev_b32_e32 v6, 19, v7
	v_subrev_u32_e32 v12, 28, v11
	v_and_b32_e32 v6, 15, v6
	v_lshlrev_b32_sdwa v12, v12, v7 dst_sel:DWORD dst_unused:UNUSED_PAD src0_sel:DWORD src1_sel:WORD_1
	v_bfe_u32 v10, v7, 19, 4
	v_sub_u32_e32 v11, 29, v11
	v_and_b32_e32 v12, 7, v12
	v_cmp_eq_u16_e32 vcc, 0, v6
	v_cndmask_b32_e32 v2, v2, v12, vcc
	v_cndmask_b32_e32 v6, v10, v11, vcc
	v_lshlrev_b32_e32 v10, 8, v7
	v_mov_b32_e32 v11, 0x3b800000
	v_lshlrev_b32_e32 v2, 20, v2
	v_and_b32_e32 v10, 0x80000000, v10
	v_lshl_add_u32 v6, v6, 23, v11
	v_or3_b32 v2, v10, v6, v2
.LBB54_1460:
	s_or_b64 exec, exec, s[6:7]
	s_movk_i32 s4, 0xff
	v_and_b32_sdwa v6, v3, s4 dst_sel:DWORD dst_unused:UNUSED_PAD src0_sel:WORD_1 src1_sel:DWORD
	s_movk_i32 s4, 0x7f
	v_cmp_lt_i16_e32 vcc, s4, v6
	s_mov_b64 s[4:5], 0
                                        ; implicit-def: $sgpr10
	s_and_saveexec_b64 s[6:7], vcc
	s_xor_b64 s[6:7], exec, s[6:7]
	s_cbranch_execnz .LBB54_3509
; %bb.1461:
	s_or_saveexec_b64 s[6:7], s[6:7]
	v_mov_b32_e32 v10, s10
	s_xor_b64 exec, exec, s[6:7]
	s_cbranch_execnz .LBB54_3512
.LBB54_1462:
	s_or_b64 exec, exec, s[6:7]
	s_and_saveexec_b64 s[6:7], s[4:5]
	s_cbranch_execz .LBB54_1464
.LBB54_1463:
	v_bfe_u32 v6, v3, 16, 3
	v_ffbh_u32_e32 v12, v6
	v_min_u32_e32 v12, 32, v12
	v_lshrrev_b32_e32 v10, 19, v3
	v_subrev_u32_e32 v13, 28, v12
	v_and_b32_e32 v10, 15, v10
	v_lshlrev_b32_sdwa v13, v13, v3 dst_sel:DWORD dst_unused:UNUSED_PAD src0_sel:DWORD src1_sel:WORD_1
	v_bfe_u32 v11, v3, 19, 4
	v_sub_u32_e32 v12, 29, v12
	v_and_b32_e32 v13, 7, v13
	v_cmp_eq_u16_e32 vcc, 0, v10
	v_cndmask_b32_e32 v6, v6, v13, vcc
	v_cndmask_b32_e32 v10, v11, v12, vcc
	v_lshlrev_b32_e32 v11, 8, v3
	v_mov_b32_e32 v12, 0x3b800000
	v_lshlrev_b32_e32 v6, 20, v6
	v_and_b32_e32 v11, 0x80000000, v11
	v_lshl_add_u32 v10, v10, 23, v12
	v_or3_b32 v10, v11, v10, v6
.LBB54_1464:
	s_or_b64 exec, exec, s[6:7]
	s_nop 0
	v_mfma_f32_16x16x4f32 a[0:3], v2, v10, a[0:3]
	s_movk_i32 s4, 0x7f
	v_cmp_gt_i16_sdwa s[6:7], v7, s4 src0_sel:BYTE_3 src1_sel:DWORD
	s_mov_b64 s[4:5], 0
                                        ; implicit-def: $sgpr10
	s_and_saveexec_b64 s[8:9], s[6:7]
	s_xor_b64 s[6:7], exec, s[8:9]
	s_cbranch_execnz .LBB54_3513
; %bb.1465:
	s_or_saveexec_b64 s[6:7], s[6:7]
	v_mov_b32_e32 v2, s10
	s_xor_b64 exec, exec, s[6:7]
	s_cbranch_execnz .LBB54_3516
.LBB54_1466:
	s_or_b64 exec, exec, s[6:7]
	s_and_saveexec_b64 s[6:7], s[4:5]
	s_cbranch_execz .LBB54_1468
.LBB54_1467:
	v_bfe_u32 v2, v7, 24, 3
	v_ffbh_u32_e32 v12, v2
	v_min_u32_e32 v12, 32, v12
	v_lshrrev_b32_e32 v10, 27, v7
	v_subrev_u32_e32 v13, 28, v12
	v_and_b32_e32 v6, 0x80000000, v7
	v_and_b32_e32 v10, 15, v10
	v_bfe_u32 v11, v7, 27, 4
	v_lshlrev_b32_sdwa v7, v13, v7 dst_sel:DWORD dst_unused:UNUSED_PAD src0_sel:DWORD src1_sel:BYTE_3
	v_sub_u32_e32 v12, 29, v12
	v_and_b32_e32 v7, 7, v7
	v_cmp_eq_u16_e32 vcc, 0, v10
	v_cndmask_b32_e32 v2, v2, v7, vcc
	v_cndmask_b32_e32 v7, v11, v12, vcc
	v_mov_b32_e32 v10, 0x3b800000
	v_lshlrev_b32_e32 v2, 20, v2
	v_lshl_add_u32 v7, v7, 23, v10
	v_or3_b32 v2, v6, v7, v2
.LBB54_1468:
	s_or_b64 exec, exec, s[6:7]
	s_movk_i32 s4, 0x7f
	v_cmp_gt_i16_sdwa s[6:7], v3, s4 src0_sel:BYTE_3 src1_sel:DWORD
	s_mov_b64 s[4:5], 0
                                        ; implicit-def: $sgpr10
	s_and_saveexec_b64 s[8:9], s[6:7]
	s_xor_b64 s[6:7], exec, s[8:9]
	s_cbranch_execnz .LBB54_3517
; %bb.1469:
	s_or_saveexec_b64 s[6:7], s[6:7]
	v_mov_b32_e32 v6, s10
	s_xor_b64 exec, exec, s[6:7]
	s_cbranch_execnz .LBB54_3520
.LBB54_1470:
	s_or_b64 exec, exec, s[6:7]
	s_and_saveexec_b64 s[6:7], s[4:5]
	s_cbranch_execz .LBB54_1472
.LBB54_1471:
	v_bfe_u32 v6, v3, 24, 3
	v_ffbh_u32_e32 v12, v6
	v_min_u32_e32 v12, 32, v12
	v_lshrrev_b32_e32 v10, 27, v3
	v_subrev_u32_e32 v13, 28, v12
	v_and_b32_e32 v7, 0x80000000, v3
	v_and_b32_e32 v10, 15, v10
	v_bfe_u32 v11, v3, 27, 4
	v_lshlrev_b32_sdwa v3, v13, v3 dst_sel:DWORD dst_unused:UNUSED_PAD src0_sel:DWORD src1_sel:BYTE_3
	v_sub_u32_e32 v12, 29, v12
	v_and_b32_e32 v3, 7, v3
	v_cmp_eq_u16_e32 vcc, 0, v10
	v_cndmask_b32_e32 v3, v6, v3, vcc
	v_cndmask_b32_e32 v6, v11, v12, vcc
	v_mov_b32_e32 v10, 0x3b800000
	v_lshlrev_b32_e32 v3, 20, v3
	v_lshl_add_u32 v6, v6, 23, v10
	v_or3_b32 v6, v7, v6, v3
.LBB54_1472:
	s_or_b64 exec, exec, s[6:7]
	s_nop 0
	v_mfma_f32_16x16x4f32 a[0:3], v2, v6, a[0:3]
	s_movk_i32 s4, 0x7f
	v_cmp_gt_i16_sdwa s[6:7], v8, s4 src0_sel:BYTE_0 src1_sel:DWORD
	s_mov_b64 s[4:5], 0
                                        ; implicit-def: $sgpr10
	s_and_saveexec_b64 s[8:9], s[6:7]
	s_xor_b64 s[6:7], exec, s[8:9]
	s_cbranch_execnz .LBB54_3521
; %bb.1473:
	s_or_saveexec_b64 s[6:7], s[6:7]
	v_mov_b32_e32 v2, s10
	s_xor_b64 exec, exec, s[6:7]
	s_cbranch_execnz .LBB54_3524
.LBB54_1474:
	s_or_b64 exec, exec, s[6:7]
	s_and_saveexec_b64 s[6:7], s[4:5]
	s_cbranch_execz .LBB54_1476
.LBB54_1475:
	v_and_b32_e32 v2, 7, v8
	v_ffbh_u32_e32 v6, v2
	v_min_u32_e32 v6, 32, v6
	v_lshrrev_b16_e32 v3, 3, v8
	v_subrev_u32_e32 v7, 28, v6
	v_and_b32_e32 v3, 15, v3
	v_lshlrev_b32_e32 v7, v7, v8
	v_sub_u32_e32 v6, 29, v6
	v_and_b32_e32 v7, 7, v7
	v_cmp_eq_u16_e32 vcc, 0, v3
	v_cndmask_b32_e32 v2, v2, v7, vcc
	v_cndmask_b32_e32 v3, v3, v6, vcc
	v_lshlrev_b32_e32 v6, 24, v8
	v_mov_b32_e32 v7, 0x3b800000
	v_lshlrev_b32_e32 v2, 20, v2
	v_and_b32_e32 v6, 0x80000000, v6
	v_lshl_add_u32 v3, v3, 23, v7
	v_or3_b32 v2, v6, v3, v2
.LBB54_1476:
	s_or_b64 exec, exec, s[6:7]
	s_movk_i32 s4, 0x7f
	v_cmp_gt_i16_sdwa s[6:7], v4, s4 src0_sel:BYTE_0 src1_sel:DWORD
	s_mov_b64 s[4:5], 0
                                        ; implicit-def: $sgpr10
	s_and_saveexec_b64 s[8:9], s[6:7]
	s_xor_b64 s[6:7], exec, s[8:9]
	s_cbranch_execnz .LBB54_3525
; %bb.1477:
	s_or_saveexec_b64 s[6:7], s[6:7]
	v_mov_b32_e32 v3, s10
	s_xor_b64 exec, exec, s[6:7]
	s_cbranch_execnz .LBB54_3528
.LBB54_1478:
	s_or_b64 exec, exec, s[6:7]
	s_and_saveexec_b64 s[6:7], s[4:5]
	s_cbranch_execz .LBB54_1480
.LBB54_1479:
	v_and_b32_e32 v3, 7, v4
	v_ffbh_u32_e32 v7, v3
	v_min_u32_e32 v7, 32, v7
	v_lshrrev_b16_e32 v6, 3, v4
	v_subrev_u32_e32 v10, 28, v7
	v_and_b32_e32 v6, 15, v6
	v_lshlrev_b32_e32 v10, v10, v4
	v_sub_u32_e32 v7, 29, v7
	v_and_b32_e32 v10, 7, v10
	v_cmp_eq_u16_e32 vcc, 0, v6
	v_cndmask_b32_e32 v3, v3, v10, vcc
	v_cndmask_b32_e32 v6, v6, v7, vcc
	v_lshlrev_b32_e32 v7, 24, v4
	v_mov_b32_e32 v10, 0x3b800000
	v_lshlrev_b32_e32 v3, 20, v3
	v_and_b32_e32 v7, 0x80000000, v7
	v_lshl_add_u32 v6, v6, 23, v10
	v_or3_b32 v3, v7, v6, v3
.LBB54_1480:
	s_or_b64 exec, exec, s[6:7]
	s_nop 0
	v_mfma_f32_16x16x4f32 a[0:3], v2, v3, a[0:3]
	v_lshrrev_b32_e32 v3, 8, v8
	s_movk_i32 s4, 0x7f
	v_cmp_gt_i16_sdwa s[6:7], v3, s4 src0_sel:BYTE_0 src1_sel:DWORD
	s_mov_b64 s[4:5], 0
                                        ; implicit-def: $sgpr10
	s_and_saveexec_b64 s[8:9], s[6:7]
	s_xor_b64 s[6:7], exec, s[8:9]
	s_cbranch_execnz .LBB54_3529
; %bb.1481:
	s_or_saveexec_b64 s[6:7], s[6:7]
	v_mov_b32_e32 v2, s10
	s_xor_b64 exec, exec, s[6:7]
	s_cbranch_execnz .LBB54_3532
.LBB54_1482:
	s_or_b64 exec, exec, s[6:7]
	s_and_saveexec_b64 s[6:7], s[4:5]
	s_cbranch_execz .LBB54_1484
.LBB54_1483:
	v_bfe_u32 v2, v8, 8, 3
	v_ffbh_u32_e32 v7, v2
	v_min_u32_e32 v7, 32, v7
	v_lshrrev_b16_e32 v6, 3, v3
	v_subrev_u32_e32 v10, 28, v7
	v_and_b32_e32 v6, 15, v6
	v_lshlrev_b32_e32 v3, v10, v3
	v_sub_u32_e32 v7, 29, v7
	v_and_b32_e32 v3, 7, v3
	v_cmp_eq_u16_e32 vcc, 0, v6
	v_cndmask_b32_e32 v2, v2, v3, vcc
	v_cndmask_b32_e32 v3, v6, v7, vcc
	v_lshlrev_b32_e32 v6, 16, v8
	v_mov_b32_e32 v7, 0x3b800000
	v_lshlrev_b32_e32 v2, 20, v2
	v_and_b32_e32 v6, 0x80000000, v6
	v_lshl_add_u32 v3, v3, 23, v7
	v_or3_b32 v2, v6, v3, v2
.LBB54_1484:
	s_or_b64 exec, exec, s[6:7]
	v_lshrrev_b32_e32 v3, 8, v4
	s_movk_i32 s4, 0x7f
	v_cmp_gt_i16_sdwa s[6:7], v3, s4 src0_sel:BYTE_0 src1_sel:DWORD
	s_mov_b64 s[4:5], 0
                                        ; implicit-def: $sgpr10
	s_and_saveexec_b64 s[8:9], s[6:7]
	s_xor_b64 s[6:7], exec, s[8:9]
	s_cbranch_execnz .LBB54_3533
; %bb.1485:
	s_or_saveexec_b64 s[6:7], s[6:7]
	v_mov_b32_e32 v6, s10
	s_xor_b64 exec, exec, s[6:7]
	s_cbranch_execnz .LBB54_3536
.LBB54_1486:
	s_or_b64 exec, exec, s[6:7]
	s_and_saveexec_b64 s[6:7], s[4:5]
	s_cbranch_execz .LBB54_1488
.LBB54_1487:
	v_bfe_u32 v6, v4, 8, 3
	v_ffbh_u32_e32 v10, v6
	v_min_u32_e32 v10, 32, v10
	v_lshrrev_b16_e32 v7, 3, v3
	v_subrev_u32_e32 v11, 28, v10
	v_and_b32_e32 v7, 15, v7
	v_lshlrev_b32_e32 v3, v11, v3
	v_sub_u32_e32 v10, 29, v10
	v_and_b32_e32 v3, 7, v3
	v_cmp_eq_u16_e32 vcc, 0, v7
	v_cndmask_b32_e32 v3, v6, v3, vcc
	v_cndmask_b32_e32 v6, v7, v10, vcc
	v_lshlrev_b32_e32 v7, 16, v4
	v_mov_b32_e32 v10, 0x3b800000
	v_lshlrev_b32_e32 v3, 20, v3
	v_and_b32_e32 v7, 0x80000000, v7
	v_lshl_add_u32 v6, v6, 23, v10
	v_or3_b32 v6, v7, v6, v3
.LBB54_1488:
	s_or_b64 exec, exec, s[6:7]
	s_nop 0
	v_mfma_f32_16x16x4f32 a[0:3], v2, v6, a[0:3]
	s_movk_i32 s4, 0xff
	v_and_b32_sdwa v3, v8, s4 dst_sel:DWORD dst_unused:UNUSED_PAD src0_sel:WORD_1 src1_sel:DWORD
	s_movk_i32 s4, 0x7f
	v_cmp_lt_i16_e32 vcc, s4, v3
	s_mov_b64 s[4:5], 0
                                        ; implicit-def: $sgpr10
	s_and_saveexec_b64 s[6:7], vcc
	s_xor_b64 s[6:7], exec, s[6:7]
	s_cbranch_execnz .LBB54_3537
; %bb.1489:
	s_or_saveexec_b64 s[6:7], s[6:7]
	v_mov_b32_e32 v2, s10
	s_xor_b64 exec, exec, s[6:7]
	s_cbranch_execnz .LBB54_3540
.LBB54_1490:
	s_or_b64 exec, exec, s[6:7]
	s_and_saveexec_b64 s[6:7], s[4:5]
	s_cbranch_execz .LBB54_1492
.LBB54_1491:
	v_bfe_u32 v2, v8, 16, 3
	v_ffbh_u32_e32 v7, v2
	v_min_u32_e32 v7, 32, v7
	v_lshrrev_b32_e32 v3, 19, v8
	v_subrev_u32_e32 v10, 28, v7
	v_and_b32_e32 v3, 15, v3
	v_lshlrev_b32_sdwa v10, v10, v8 dst_sel:DWORD dst_unused:UNUSED_PAD src0_sel:DWORD src1_sel:WORD_1
	v_bfe_u32 v6, v8, 19, 4
	v_sub_u32_e32 v7, 29, v7
	v_and_b32_e32 v10, 7, v10
	v_cmp_eq_u16_e32 vcc, 0, v3
	v_cndmask_b32_e32 v2, v2, v10, vcc
	v_cndmask_b32_e32 v3, v6, v7, vcc
	v_lshlrev_b32_e32 v6, 8, v8
	v_mov_b32_e32 v7, 0x3b800000
	v_lshlrev_b32_e32 v2, 20, v2
	v_and_b32_e32 v6, 0x80000000, v6
	v_lshl_add_u32 v3, v3, 23, v7
	v_or3_b32 v2, v6, v3, v2
.LBB54_1492:
	s_or_b64 exec, exec, s[6:7]
	s_movk_i32 s4, 0xff
	v_and_b32_sdwa v3, v4, s4 dst_sel:DWORD dst_unused:UNUSED_PAD src0_sel:WORD_1 src1_sel:DWORD
	s_movk_i32 s4, 0x7f
	v_cmp_lt_i16_e32 vcc, s4, v3
	s_mov_b64 s[4:5], 0
                                        ; implicit-def: $sgpr10
	s_and_saveexec_b64 s[6:7], vcc
	s_xor_b64 s[6:7], exec, s[6:7]
	s_cbranch_execnz .LBB54_3541
; %bb.1493:
	s_or_saveexec_b64 s[6:7], s[6:7]
	v_mov_b32_e32 v6, s10
	s_xor_b64 exec, exec, s[6:7]
	s_cbranch_execnz .LBB54_3544
.LBB54_1494:
	s_or_b64 exec, exec, s[6:7]
	s_and_saveexec_b64 s[6:7], s[4:5]
	s_cbranch_execz .LBB54_1496
.LBB54_1495:
	v_bfe_u32 v3, v4, 16, 3
	v_ffbh_u32_e32 v10, v3
	v_min_u32_e32 v10, 32, v10
	v_lshrrev_b32_e32 v6, 19, v4
	v_subrev_u32_e32 v11, 28, v10
	v_and_b32_e32 v6, 15, v6
	v_lshlrev_b32_sdwa v11, v11, v4 dst_sel:DWORD dst_unused:UNUSED_PAD src0_sel:DWORD src1_sel:WORD_1
	v_bfe_u32 v7, v4, 19, 4
	v_sub_u32_e32 v10, 29, v10
	v_and_b32_e32 v11, 7, v11
	v_cmp_eq_u16_e32 vcc, 0, v6
	v_cndmask_b32_e32 v3, v3, v11, vcc
	v_cndmask_b32_e32 v6, v7, v10, vcc
	v_lshlrev_b32_e32 v7, 8, v4
	v_mov_b32_e32 v10, 0x3b800000
	v_lshlrev_b32_e32 v3, 20, v3
	v_and_b32_e32 v7, 0x80000000, v7
	v_lshl_add_u32 v6, v6, 23, v10
	v_or3_b32 v6, v7, v6, v3
.LBB54_1496:
	s_or_b64 exec, exec, s[6:7]
	s_nop 0
	v_mfma_f32_16x16x4f32 a[0:3], v2, v6, a[0:3]
	s_movk_i32 s4, 0x7f
	v_cmp_gt_i16_sdwa s[6:7], v8, s4 src0_sel:BYTE_3 src1_sel:DWORD
	s_mov_b64 s[4:5], 0
                                        ; implicit-def: $sgpr10
	s_and_saveexec_b64 s[8:9], s[6:7]
	s_xor_b64 s[6:7], exec, s[8:9]
	s_cbranch_execnz .LBB54_3545
; %bb.1497:
	s_or_saveexec_b64 s[6:7], s[6:7]
	v_mov_b32_e32 v2, s10
	s_xor_b64 exec, exec, s[6:7]
	s_cbranch_execnz .LBB54_3548
.LBB54_1498:
	s_or_b64 exec, exec, s[6:7]
	s_and_saveexec_b64 s[6:7], s[4:5]
	s_cbranch_execz .LBB54_1500
.LBB54_1499:
	v_bfe_u32 v2, v8, 24, 3
	v_ffbh_u32_e32 v10, v2
	v_min_u32_e32 v10, 32, v10
	v_lshrrev_b32_e32 v6, 27, v8
	v_subrev_u32_e32 v11, 28, v10
	v_and_b32_e32 v3, 0x80000000, v8
	v_and_b32_e32 v6, 15, v6
	v_bfe_u32 v7, v8, 27, 4
	v_lshlrev_b32_sdwa v8, v11, v8 dst_sel:DWORD dst_unused:UNUSED_PAD src0_sel:DWORD src1_sel:BYTE_3
	v_sub_u32_e32 v10, 29, v10
	v_and_b32_e32 v8, 7, v8
	v_cmp_eq_u16_e32 vcc, 0, v6
	v_cndmask_b32_e32 v2, v2, v8, vcc
	v_cndmask_b32_e32 v6, v7, v10, vcc
	v_mov_b32_e32 v7, 0x3b800000
	v_lshlrev_b32_e32 v2, 20, v2
	v_lshl_add_u32 v6, v6, 23, v7
	v_or3_b32 v2, v3, v6, v2
.LBB54_1500:
	s_or_b64 exec, exec, s[6:7]
	s_movk_i32 s4, 0x7f
	v_cmp_gt_i16_sdwa s[6:7], v4, s4 src0_sel:BYTE_3 src1_sel:DWORD
	s_mov_b64 s[4:5], 0
                                        ; implicit-def: $sgpr10
	s_and_saveexec_b64 s[8:9], s[6:7]
	s_xor_b64 s[6:7], exec, s[8:9]
	s_cbranch_execnz .LBB54_3549
; %bb.1501:
	s_or_saveexec_b64 s[6:7], s[6:7]
	v_mov_b32_e32 v3, s10
	s_xor_b64 exec, exec, s[6:7]
	s_cbranch_execnz .LBB54_3552
.LBB54_1502:
	s_or_b64 exec, exec, s[6:7]
	s_and_saveexec_b64 s[6:7], s[4:5]
	s_cbranch_execz .LBB54_1504
.LBB54_1503:
	v_bfe_u32 v3, v4, 24, 3
	v_ffbh_u32_e32 v10, v3
	v_min_u32_e32 v10, 32, v10
	v_lshrrev_b32_e32 v7, 27, v4
	v_subrev_u32_e32 v11, 28, v10
	v_and_b32_e32 v6, 0x80000000, v4
	v_and_b32_e32 v7, 15, v7
	v_bfe_u32 v8, v4, 27, 4
	v_lshlrev_b32_sdwa v4, v11, v4 dst_sel:DWORD dst_unused:UNUSED_PAD src0_sel:DWORD src1_sel:BYTE_3
	v_sub_u32_e32 v10, 29, v10
	v_and_b32_e32 v4, 7, v4
	v_cmp_eq_u16_e32 vcc, 0, v7
	v_cndmask_b32_e32 v3, v3, v4, vcc
	v_cndmask_b32_e32 v4, v8, v10, vcc
	v_mov_b32_e32 v7, 0x3b800000
	v_lshlrev_b32_e32 v3, 20, v3
	v_lshl_add_u32 v4, v4, 23, v7
	v_or3_b32 v3, v6, v4, v3
.LBB54_1504:
	s_or_b64 exec, exec, s[6:7]
	s_nop 0
	v_mfma_f32_16x16x4f32 a[0:3], v2, v3, a[0:3]
	s_movk_i32 s4, 0x7f
	v_cmp_gt_i16_sdwa s[6:7], v9, s4 src0_sel:BYTE_0 src1_sel:DWORD
	s_mov_b64 s[4:5], 0
                                        ; implicit-def: $sgpr10
	s_and_saveexec_b64 s[8:9], s[6:7]
	s_xor_b64 s[6:7], exec, s[8:9]
	s_cbranch_execnz .LBB54_3553
; %bb.1505:
	s_or_saveexec_b64 s[6:7], s[6:7]
	v_mov_b32_e32 v2, s10
	s_xor_b64 exec, exec, s[6:7]
	s_cbranch_execnz .LBB54_3556
.LBB54_1506:
	s_or_b64 exec, exec, s[6:7]
	s_and_saveexec_b64 s[6:7], s[4:5]
	s_cbranch_execz .LBB54_1508
.LBB54_1507:
	v_mov_b32_e32 v2, 8
	v_and_b32_e32 v3, 7, v9
	v_lshrrev_b32_sdwa v2, v2, v9 dst_sel:BYTE_1 dst_unused:UNUSED_PAD src0_sel:DWORD src1_sel:DWORD
	v_ffbh_u32_e32 v4, v3
	v_or_b32_sdwa v2, v9, v2 dst_sel:DWORD dst_unused:UNUSED_PAD src0_sel:BYTE_0 src1_sel:DWORD
	v_min_u32_e32 v4, 32, v4
	v_lshrrev_b16_e32 v2, 3, v2
	v_subrev_u32_e32 v6, 28, v4
	v_and_b32_e32 v2, 15, v2
	v_lshlrev_b32_e32 v6, v6, v9
	v_sub_u32_e32 v4, 29, v4
	v_and_b32_e32 v6, 7, v6
	v_cmp_eq_u16_e32 vcc, 0, v2
	v_cndmask_b32_e32 v3, v3, v6, vcc
	v_cndmask_b32_e32 v2, v2, v4, vcc
	v_lshlrev_b32_e32 v4, 24, v9
	v_mov_b32_e32 v6, 0x3b800000
	v_lshlrev_b32_e32 v3, 20, v3
	v_and_b32_e32 v4, 0x80000000, v4
	v_lshl_add_u32 v2, v2, 23, v6
	v_or3_b32 v2, v4, v2, v3
.LBB54_1508:
	s_or_b64 exec, exec, s[6:7]
	s_movk_i32 s4, 0x7f
	v_cmp_gt_i16_sdwa s[6:7], v5, s4 src0_sel:BYTE_0 src1_sel:DWORD
	s_mov_b64 s[4:5], 0
                                        ; implicit-def: $sgpr10
	s_and_saveexec_b64 s[8:9], s[6:7]
	s_xor_b64 s[6:7], exec, s[8:9]
	s_cbranch_execnz .LBB54_3557
; %bb.1509:
	s_or_saveexec_b64 s[6:7], s[6:7]
	v_mov_b32_e32 v3, s10
	s_xor_b64 exec, exec, s[6:7]
	s_cbranch_execnz .LBB54_3560
.LBB54_1510:
	s_or_b64 exec, exec, s[6:7]
	s_and_saveexec_b64 s[6:7], s[4:5]
	s_cbranch_execz .LBB54_1512
.LBB54_1511:
	v_mov_b32_e32 v3, 8
	v_and_b32_e32 v4, 7, v5
	v_lshrrev_b32_sdwa v3, v3, v5 dst_sel:BYTE_1 dst_unused:UNUSED_PAD src0_sel:DWORD src1_sel:DWORD
	v_ffbh_u32_e32 v6, v4
	v_or_b32_sdwa v3, v5, v3 dst_sel:DWORD dst_unused:UNUSED_PAD src0_sel:BYTE_0 src1_sel:DWORD
	v_min_u32_e32 v6, 32, v6
	v_lshrrev_b16_e32 v3, 3, v3
	v_subrev_u32_e32 v7, 28, v6
	v_and_b32_e32 v3, 15, v3
	v_lshlrev_b32_e32 v7, v7, v5
	v_sub_u32_e32 v6, 29, v6
	v_and_b32_e32 v7, 7, v7
	v_cmp_eq_u16_e32 vcc, 0, v3
	v_cndmask_b32_e32 v4, v4, v7, vcc
	v_cndmask_b32_e32 v3, v3, v6, vcc
	v_lshlrev_b32_e32 v6, 24, v5
	v_mov_b32_e32 v7, 0x3b800000
	v_lshlrev_b32_e32 v4, 20, v4
	v_and_b32_e32 v6, 0x80000000, v6
	v_lshl_add_u32 v3, v3, 23, v7
	v_or3_b32 v3, v6, v3, v4
.LBB54_1512:
	s_or_b64 exec, exec, s[6:7]
	s_nop 0
	v_mfma_f32_16x16x4f32 a[0:3], v2, v3, a[0:3]
	v_lshrrev_b32_e32 v3, 8, v9
	s_movk_i32 s4, 0x7f
	v_cmp_gt_i16_sdwa s[6:7], v3, s4 src0_sel:BYTE_0 src1_sel:DWORD
	s_mov_b64 s[4:5], 0
                                        ; implicit-def: $sgpr10
	s_and_saveexec_b64 s[8:9], s[6:7]
	s_xor_b64 s[6:7], exec, s[8:9]
	s_cbranch_execnz .LBB54_3561
; %bb.1513:
	s_or_saveexec_b64 s[6:7], s[6:7]
	v_mov_b32_e32 v2, s10
	s_xor_b64 exec, exec, s[6:7]
	s_cbranch_execnz .LBB54_3564
.LBB54_1514:
	s_or_b64 exec, exec, s[6:7]
	s_and_saveexec_b64 s[6:7], s[4:5]
	s_cbranch_execz .LBB54_1516
.LBB54_1515:
	v_bfe_u32 v2, v9, 8, 3
	v_ffbh_u32_e32 v6, v2
	v_min_u32_e32 v6, 32, v6
	v_lshrrev_b16_e32 v4, 3, v3
	v_subrev_u32_e32 v7, 28, v6
	v_and_b32_e32 v4, 15, v4
	v_lshlrev_b32_e32 v3, v7, v3
	v_sub_u32_e32 v6, 29, v6
	v_and_b32_e32 v3, 7, v3
	v_cmp_eq_u16_e32 vcc, 0, v4
	v_cndmask_b32_e32 v2, v2, v3, vcc
	v_cndmask_b32_e32 v3, v4, v6, vcc
	v_lshlrev_b32_e32 v4, 16, v9
	v_mov_b32_e32 v6, 0x3b800000
	v_lshlrev_b32_e32 v2, 20, v2
	v_and_b32_e32 v4, 0x80000000, v4
	v_lshl_add_u32 v3, v3, 23, v6
	v_or3_b32 v2, v4, v3, v2
.LBB54_1516:
	s_or_b64 exec, exec, s[6:7]
	v_lshrrev_b32_e32 v3, 8, v5
	s_movk_i32 s4, 0x7f
	v_cmp_gt_i16_sdwa s[6:7], v3, s4 src0_sel:BYTE_0 src1_sel:DWORD
	s_mov_b64 s[4:5], 0
                                        ; implicit-def: $sgpr10
	s_and_saveexec_b64 s[8:9], s[6:7]
	s_xor_b64 s[6:7], exec, s[8:9]
	s_cbranch_execnz .LBB54_3565
; %bb.1517:
	s_or_saveexec_b64 s[6:7], s[6:7]
	v_mov_b32_e32 v4, s10
	s_xor_b64 exec, exec, s[6:7]
	s_cbranch_execnz .LBB54_3568
.LBB54_1518:
	s_or_b64 exec, exec, s[6:7]
	s_and_saveexec_b64 s[6:7], s[4:5]
	s_cbranch_execz .LBB54_1520
.LBB54_1519:
	v_bfe_u32 v4, v5, 8, 3
	v_ffbh_u32_e32 v7, v4
	v_min_u32_e32 v7, 32, v7
	v_lshrrev_b16_e32 v6, 3, v3
	v_subrev_u32_e32 v8, 28, v7
	v_and_b32_e32 v6, 15, v6
	v_lshlrev_b32_e32 v3, v8, v3
	v_sub_u32_e32 v7, 29, v7
	v_and_b32_e32 v3, 7, v3
	v_cmp_eq_u16_e32 vcc, 0, v6
	v_cndmask_b32_e32 v3, v4, v3, vcc
	v_cndmask_b32_e32 v4, v6, v7, vcc
	v_lshlrev_b32_e32 v6, 16, v5
	v_mov_b32_e32 v7, 0x3b800000
	v_lshlrev_b32_e32 v3, 20, v3
	v_and_b32_e32 v6, 0x80000000, v6
	v_lshl_add_u32 v4, v4, 23, v7
	v_or3_b32 v4, v6, v4, v3
.LBB54_1520:
	s_or_b64 exec, exec, s[6:7]
	s_nop 0
	v_mfma_f32_16x16x4f32 a[0:3], v2, v4, a[0:3]
	s_movk_i32 s4, 0xff
	v_and_b32_sdwa v3, v9, s4 dst_sel:DWORD dst_unused:UNUSED_PAD src0_sel:WORD_1 src1_sel:DWORD
	s_movk_i32 s4, 0x7f
	v_cmp_lt_i16_e32 vcc, s4, v3
	s_mov_b64 s[4:5], 0
                                        ; implicit-def: $sgpr10
	s_and_saveexec_b64 s[6:7], vcc
	s_xor_b64 s[6:7], exec, s[6:7]
	s_cbranch_execnz .LBB54_3569
; %bb.1521:
	s_or_saveexec_b64 s[6:7], s[6:7]
	v_mov_b32_e32 v2, s10
	s_xor_b64 exec, exec, s[6:7]
	s_cbranch_execnz .LBB54_3572
.LBB54_1522:
	s_or_b64 exec, exec, s[6:7]
	s_and_saveexec_b64 s[6:7], s[4:5]
	s_cbranch_execz .LBB54_1524
.LBB54_1523:
	v_bfe_u32 v2, v9, 16, 3
	v_ffbh_u32_e32 v6, v2
	v_min_u32_e32 v6, 32, v6
	v_lshrrev_b32_e32 v3, 19, v9
	v_subrev_u32_e32 v7, 28, v6
	v_and_b32_e32 v3, 15, v3
	v_lshlrev_b32_sdwa v7, v7, v9 dst_sel:DWORD dst_unused:UNUSED_PAD src0_sel:DWORD src1_sel:WORD_1
	v_bfe_u32 v4, v9, 19, 4
	v_sub_u32_e32 v6, 29, v6
	v_and_b32_e32 v7, 7, v7
	v_cmp_eq_u16_e32 vcc, 0, v3
	v_cndmask_b32_e32 v2, v2, v7, vcc
	v_cndmask_b32_e32 v3, v4, v6, vcc
	v_lshlrev_b32_e32 v4, 8, v9
	v_mov_b32_e32 v6, 0x3b800000
	v_lshlrev_b32_e32 v2, 20, v2
	v_and_b32_e32 v4, 0x80000000, v4
	v_lshl_add_u32 v3, v3, 23, v6
	v_or3_b32 v2, v4, v3, v2
.LBB54_1524:
	s_or_b64 exec, exec, s[6:7]
	s_movk_i32 s4, 0xff
	v_and_b32_sdwa v3, v5, s4 dst_sel:DWORD dst_unused:UNUSED_PAD src0_sel:WORD_1 src1_sel:DWORD
	s_movk_i32 s4, 0x7f
	v_cmp_lt_i16_e32 vcc, s4, v3
	s_mov_b64 s[4:5], 0
                                        ; implicit-def: $sgpr10
	s_and_saveexec_b64 s[6:7], vcc
	s_xor_b64 s[6:7], exec, s[6:7]
	s_cbranch_execnz .LBB54_3573
; %bb.1525:
	s_or_saveexec_b64 s[6:7], s[6:7]
	v_mov_b32_e32 v4, s10
	s_xor_b64 exec, exec, s[6:7]
	s_cbranch_execnz .LBB54_3576
.LBB54_1526:
	s_or_b64 exec, exec, s[6:7]
	s_and_saveexec_b64 s[6:7], s[4:5]
	s_cbranch_execz .LBB54_1528
.LBB54_1527:
	v_bfe_u32 v3, v5, 16, 3
	v_ffbh_u32_e32 v7, v3
	v_min_u32_e32 v7, 32, v7
	v_lshrrev_b32_e32 v4, 19, v5
	v_subrev_u32_e32 v8, 28, v7
	v_and_b32_e32 v4, 15, v4
	v_lshlrev_b32_sdwa v8, v8, v5 dst_sel:DWORD dst_unused:UNUSED_PAD src0_sel:DWORD src1_sel:WORD_1
	v_bfe_u32 v6, v5, 19, 4
	v_sub_u32_e32 v7, 29, v7
	v_and_b32_e32 v8, 7, v8
	v_cmp_eq_u16_e32 vcc, 0, v4
	v_cndmask_b32_e32 v3, v3, v8, vcc
	v_cndmask_b32_e32 v4, v6, v7, vcc
	v_lshlrev_b32_e32 v6, 8, v5
	v_mov_b32_e32 v7, 0x3b800000
	v_lshlrev_b32_e32 v3, 20, v3
	v_and_b32_e32 v6, 0x80000000, v6
	v_lshl_add_u32 v4, v4, 23, v7
	v_or3_b32 v4, v6, v4, v3
.LBB54_1528:
	s_or_b64 exec, exec, s[6:7]
	s_nop 0
	v_mfma_f32_16x16x4f32 a[0:3], v2, v4, a[0:3]
	s_movk_i32 s4, 0x7f
	v_cmp_gt_i16_sdwa s[6:7], v9, s4 src0_sel:BYTE_3 src1_sel:DWORD
	s_mov_b64 s[4:5], 0
                                        ; implicit-def: $sgpr10
	s_and_saveexec_b64 s[8:9], s[6:7]
	s_xor_b64 s[6:7], exec, s[8:9]
	s_cbranch_execnz .LBB54_3577
; %bb.1529:
	s_or_saveexec_b64 s[6:7], s[6:7]
	v_mov_b32_e32 v2, s10
	s_xor_b64 exec, exec, s[6:7]
	s_cbranch_execnz .LBB54_3580
.LBB54_1530:
	s_or_b64 exec, exec, s[6:7]
	s_and_saveexec_b64 s[6:7], s[4:5]
	s_cbranch_execz .LBB54_1532
.LBB54_1531:
	v_bfe_u32 v2, v9, 24, 3
	v_ffbh_u32_e32 v7, v2
	v_min_u32_e32 v7, 32, v7
	v_lshrrev_b32_e32 v4, 27, v9
	v_subrev_u32_e32 v8, 28, v7
	v_and_b32_e32 v4, 15, v4
	v_lshlrev_b32_sdwa v8, v8, v9 dst_sel:DWORD dst_unused:UNUSED_PAD src0_sel:DWORD src1_sel:BYTE_3
	v_bfe_u32 v6, v9, 27, 4
	v_sub_u32_e32 v7, 29, v7
	v_and_b32_e32 v8, 7, v8
	v_cmp_eq_u16_e32 vcc, 0, v4
	v_cndmask_b32_e32 v2, v2, v8, vcc
	v_cndmask_b32_e32 v4, v6, v7, vcc
	v_mov_b32_e32 v6, 0x3b800000
	v_and_b32_e32 v3, 0x80000000, v9
	v_lshlrev_b32_e32 v2, 20, v2
	v_lshl_add_u32 v4, v4, 23, v6
	v_or3_b32 v2, v3, v4, v2
.LBB54_1532:
	s_or_b64 exec, exec, s[6:7]
	s_movk_i32 s4, 0x7f
	v_cmp_gt_i16_sdwa s[6:7], v5, s4 src0_sel:BYTE_3 src1_sel:DWORD
	s_mov_b64 s[4:5], 0
                                        ; implicit-def: $sgpr10
	s_and_saveexec_b64 s[8:9], s[6:7]
	s_xor_b64 s[6:7], exec, s[8:9]
	s_cbranch_execnz .LBB54_3581
; %bb.1533:
	s_or_saveexec_b64 s[6:7], s[6:7]
	v_mov_b32_e32 v3, s10
	s_xor_b64 exec, exec, s[6:7]
	s_cbranch_execnz .LBB54_3584
.LBB54_1534:
	s_or_b64 exec, exec, s[6:7]
	s_and_saveexec_b64 s[6:7], s[4:5]
	s_cbranch_execz .LBB54_1536
.LBB54_1535:
	v_bfe_u32 v3, v5, 24, 3
	v_ffbh_u32_e32 v8, v3
	v_min_u32_e32 v8, 32, v8
	v_lshrrev_b32_e32 v6, 27, v5
	v_subrev_u32_e32 v9, 28, v8
	v_and_b32_e32 v4, 0x80000000, v5
	v_and_b32_e32 v6, 15, v6
	v_bfe_u32 v7, v5, 27, 4
	v_lshlrev_b32_sdwa v5, v9, v5 dst_sel:DWORD dst_unused:UNUSED_PAD src0_sel:DWORD src1_sel:BYTE_3
	v_sub_u32_e32 v8, 29, v8
	v_and_b32_e32 v5, 7, v5
	v_cmp_eq_u16_e32 vcc, 0, v6
	v_cndmask_b32_e32 v3, v3, v5, vcc
	v_cndmask_b32_e32 v5, v7, v8, vcc
	v_mov_b32_e32 v6, 0x3b800000
	v_lshlrev_b32_e32 v3, 20, v3
	v_lshl_add_u32 v5, v5, 23, v6
	v_or3_b32 v3, v4, v5, v3
.LBB54_1536:
	s_or_b64 exec, exec, s[6:7]
	s_nop 0
	v_mfma_f32_16x16x4f32 a[0:3], v2, v3, a[0:3]
	s_movk_i32 s4, 0x7f
                                        ; implicit-def: $sgpr10
	s_nop 7
	s_nop 1
	flat_store_dwordx4 v[18:19], a[0:3] offset:336
	flat_load_dwordx4 v[20:23], v[0:1] offset:8
	s_nop 0
	flat_load_dwordx2 v[18:19], v[0:1] offset:24
	s_waitcnt vmcnt(0) lgkmcnt(0)
	flat_load_dwordx4 v[14:17], v[20:21]
	flat_load_dwordx4 v[6:9], v[20:21] offset:16
	flat_load_dwordx4 v[10:13], v[22:23] offset:448
	;; [unrolled: 1-line block ×3, first 2 shown]
	s_waitcnt vmcnt(0) lgkmcnt(0)
	v_cmp_gt_i16_sdwa s[6:7], v14, s4 src0_sel:BYTE_0 src1_sel:DWORD
	s_mov_b64 s[4:5], 0
	s_and_saveexec_b64 s[8:9], s[6:7]
	s_xor_b64 s[6:7], exec, s[8:9]
	s_cbranch_execnz .LBB54_3585
; %bb.1537:
	s_or_saveexec_b64 s[6:7], s[6:7]
	v_mov_b32_e32 v20, s10
	s_xor_b64 exec, exec, s[6:7]
	s_cbranch_execnz .LBB54_3588
.LBB54_1538:
	s_or_b64 exec, exec, s[6:7]
	s_and_saveexec_b64 s[6:7], s[4:5]
	s_cbranch_execz .LBB54_1540
.LBB54_1539:
	v_and_b32_e32 v20, 7, v14
	v_ffbh_u32_e32 v22, v20
	v_min_u32_e32 v22, 32, v22
	v_lshrrev_b16_e32 v21, 3, v14
	v_subrev_u32_e32 v23, 28, v22
	v_and_b32_e32 v21, 15, v21
	v_lshlrev_b32_e32 v23, v23, v14
	v_sub_u32_e32 v22, 29, v22
	v_and_b32_e32 v23, 7, v23
	v_cmp_eq_u16_e32 vcc, 0, v21
	v_cndmask_b32_e32 v20, v20, v23, vcc
	v_cndmask_b32_e32 v21, v21, v22, vcc
	v_lshlrev_b32_e32 v22, 24, v14
	v_mov_b32_e32 v23, 0x3b800000
	v_lshlrev_b32_e32 v20, 20, v20
	v_and_b32_e32 v22, 0x80000000, v22
	v_lshl_add_u32 v21, v21, 23, v23
	v_or3_b32 v20, v22, v21, v20
.LBB54_1540:
	s_or_b64 exec, exec, s[6:7]
	s_movk_i32 s4, 0x7f
	v_cmp_gt_i16_sdwa s[6:7], v10, s4 src0_sel:BYTE_0 src1_sel:DWORD
	s_mov_b64 s[4:5], 0
                                        ; implicit-def: $sgpr10
	s_and_saveexec_b64 s[8:9], s[6:7]
	s_xor_b64 s[6:7], exec, s[8:9]
	s_cbranch_execnz .LBB54_3589
; %bb.1541:
	s_or_saveexec_b64 s[6:7], s[6:7]
	v_mov_b32_e32 v21, s10
	s_xor_b64 exec, exec, s[6:7]
	s_cbranch_execnz .LBB54_3592
.LBB54_1542:
	s_or_b64 exec, exec, s[6:7]
	s_and_saveexec_b64 s[6:7], s[4:5]
	s_cbranch_execz .LBB54_1544
.LBB54_1543:
	v_and_b32_e32 v21, 7, v10
	v_ffbh_u32_e32 v23, v21
	v_min_u32_e32 v23, 32, v23
	v_lshrrev_b16_e32 v22, 3, v10
	v_subrev_u32_e32 v24, 28, v23
	v_and_b32_e32 v22, 15, v22
	v_lshlrev_b32_e32 v24, v24, v10
	v_sub_u32_e32 v23, 29, v23
	v_and_b32_e32 v24, 7, v24
	v_cmp_eq_u16_e32 vcc, 0, v22
	v_cndmask_b32_e32 v21, v21, v24, vcc
	v_cndmask_b32_e32 v22, v22, v23, vcc
	v_lshlrev_b32_e32 v23, 24, v10
	v_mov_b32_e32 v24, 0x3b800000
	v_lshlrev_b32_e32 v21, 20, v21
	v_and_b32_e32 v23, 0x80000000, v23
	v_lshl_add_u32 v22, v22, 23, v24
	v_or3_b32 v21, v23, v22, v21
.LBB54_1544:
	s_or_b64 exec, exec, s[6:7]
	flat_load_dwordx4 a[0:3], v[18:19] offset:352
	s_movk_i32 s4, 0x7f
                                        ; implicit-def: $sgpr10
	s_waitcnt vmcnt(0) lgkmcnt(0)
	v_mfma_f32_16x16x4f32 a[0:3], v20, v21, a[0:3]
	v_lshrrev_b32_e32 v21, 8, v14
	v_cmp_gt_i16_sdwa s[6:7], v21, s4 src0_sel:BYTE_0 src1_sel:DWORD
	s_mov_b64 s[4:5], 0
	s_and_saveexec_b64 s[8:9], s[6:7]
	s_xor_b64 s[6:7], exec, s[8:9]
	s_cbranch_execnz .LBB54_3593
; %bb.1545:
	s_or_saveexec_b64 s[6:7], s[6:7]
	v_mov_b32_e32 v20, s10
	s_xor_b64 exec, exec, s[6:7]
	s_cbranch_execnz .LBB54_3596
.LBB54_1546:
	s_or_b64 exec, exec, s[6:7]
	s_and_saveexec_b64 s[6:7], s[4:5]
	s_cbranch_execz .LBB54_1548
.LBB54_1547:
	v_bfe_u32 v20, v14, 8, 3
	v_ffbh_u32_e32 v23, v20
	v_min_u32_e32 v23, 32, v23
	v_lshrrev_b16_e32 v22, 3, v21
	v_subrev_u32_e32 v24, 28, v23
	v_and_b32_e32 v22, 15, v22
	v_lshlrev_b32_e32 v21, v24, v21
	v_sub_u32_e32 v23, 29, v23
	v_and_b32_e32 v21, 7, v21
	v_cmp_eq_u16_e32 vcc, 0, v22
	v_cndmask_b32_e32 v20, v20, v21, vcc
	v_cndmask_b32_e32 v21, v22, v23, vcc
	v_lshlrev_b32_e32 v22, 16, v14
	v_mov_b32_e32 v23, 0x3b800000
	v_lshlrev_b32_e32 v20, 20, v20
	v_and_b32_e32 v22, 0x80000000, v22
	v_lshl_add_u32 v21, v21, 23, v23
	v_or3_b32 v20, v22, v21, v20
.LBB54_1548:
	s_or_b64 exec, exec, s[6:7]
	v_lshrrev_b32_e32 v21, 8, v10
	s_movk_i32 s4, 0x7f
	v_cmp_gt_i16_sdwa s[6:7], v21, s4 src0_sel:BYTE_0 src1_sel:DWORD
	s_mov_b64 s[4:5], 0
                                        ; implicit-def: $sgpr10
	s_and_saveexec_b64 s[8:9], s[6:7]
	s_xor_b64 s[6:7], exec, s[8:9]
	s_cbranch_execnz .LBB54_3597
; %bb.1549:
	s_or_saveexec_b64 s[6:7], s[6:7]
	v_mov_b32_e32 v22, s10
	s_xor_b64 exec, exec, s[6:7]
	s_cbranch_execnz .LBB54_3600
.LBB54_1550:
	s_or_b64 exec, exec, s[6:7]
	s_and_saveexec_b64 s[6:7], s[4:5]
	s_cbranch_execz .LBB54_1552
.LBB54_1551:
	v_bfe_u32 v22, v10, 8, 3
	v_ffbh_u32_e32 v24, v22
	v_min_u32_e32 v24, 32, v24
	v_lshrrev_b16_e32 v23, 3, v21
	v_subrev_u32_e32 v25, 28, v24
	v_and_b32_e32 v23, 15, v23
	v_lshlrev_b32_e32 v21, v25, v21
	v_sub_u32_e32 v24, 29, v24
	v_and_b32_e32 v21, 7, v21
	v_cmp_eq_u16_e32 vcc, 0, v23
	v_cndmask_b32_e32 v21, v22, v21, vcc
	v_cndmask_b32_e32 v22, v23, v24, vcc
	v_lshlrev_b32_e32 v23, 16, v10
	v_mov_b32_e32 v24, 0x3b800000
	v_lshlrev_b32_e32 v21, 20, v21
	v_and_b32_e32 v23, 0x80000000, v23
	v_lshl_add_u32 v22, v22, 23, v24
	v_or3_b32 v22, v23, v22, v21
.LBB54_1552:
	s_or_b64 exec, exec, s[6:7]
	s_nop 0
	v_mfma_f32_16x16x4f32 a[0:3], v20, v22, a[0:3]
	s_movk_i32 s4, 0xff
	v_and_b32_sdwa v21, v14, s4 dst_sel:DWORD dst_unused:UNUSED_PAD src0_sel:WORD_1 src1_sel:DWORD
	s_movk_i32 s4, 0x7f
	v_cmp_lt_i16_e32 vcc, s4, v21
	s_mov_b64 s[4:5], 0
                                        ; implicit-def: $sgpr10
	s_and_saveexec_b64 s[6:7], vcc
	s_xor_b64 s[6:7], exec, s[6:7]
	s_cbranch_execnz .LBB54_3601
; %bb.1553:
	s_or_saveexec_b64 s[6:7], s[6:7]
	v_mov_b32_e32 v20, s10
	s_xor_b64 exec, exec, s[6:7]
	s_cbranch_execnz .LBB54_3604
.LBB54_1554:
	s_or_b64 exec, exec, s[6:7]
	s_and_saveexec_b64 s[6:7], s[4:5]
	s_cbranch_execz .LBB54_1556
.LBB54_1555:
	v_bfe_u32 v20, v14, 16, 3
	v_ffbh_u32_e32 v23, v20
	v_min_u32_e32 v23, 32, v23
	v_lshrrev_b32_e32 v21, 19, v14
	v_subrev_u32_e32 v24, 28, v23
	v_and_b32_e32 v21, 15, v21
	v_lshlrev_b32_sdwa v24, v24, v14 dst_sel:DWORD dst_unused:UNUSED_PAD src0_sel:DWORD src1_sel:WORD_1
	v_bfe_u32 v22, v14, 19, 4
	v_sub_u32_e32 v23, 29, v23
	v_and_b32_e32 v24, 7, v24
	v_cmp_eq_u16_e32 vcc, 0, v21
	v_cndmask_b32_e32 v20, v20, v24, vcc
	v_cndmask_b32_e32 v21, v22, v23, vcc
	v_lshlrev_b32_e32 v22, 8, v14
	v_mov_b32_e32 v23, 0x3b800000
	v_lshlrev_b32_e32 v20, 20, v20
	v_and_b32_e32 v22, 0x80000000, v22
	v_lshl_add_u32 v21, v21, 23, v23
	v_or3_b32 v20, v22, v21, v20
.LBB54_1556:
	s_or_b64 exec, exec, s[6:7]
	s_movk_i32 s4, 0xff
	v_and_b32_sdwa v21, v10, s4 dst_sel:DWORD dst_unused:UNUSED_PAD src0_sel:WORD_1 src1_sel:DWORD
	s_movk_i32 s4, 0x7f
	v_cmp_lt_i16_e32 vcc, s4, v21
	s_mov_b64 s[4:5], 0
                                        ; implicit-def: $sgpr10
	s_and_saveexec_b64 s[6:7], vcc
	s_xor_b64 s[6:7], exec, s[6:7]
	s_cbranch_execnz .LBB54_3605
; %bb.1557:
	s_or_saveexec_b64 s[6:7], s[6:7]
	v_mov_b32_e32 v22, s10
	s_xor_b64 exec, exec, s[6:7]
	s_cbranch_execnz .LBB54_3608
.LBB54_1558:
	s_or_b64 exec, exec, s[6:7]
	s_and_saveexec_b64 s[6:7], s[4:5]
	s_cbranch_execz .LBB54_1560
.LBB54_1559:
	v_bfe_u32 v21, v10, 16, 3
	v_ffbh_u32_e32 v24, v21
	v_min_u32_e32 v24, 32, v24
	v_lshrrev_b32_e32 v22, 19, v10
	v_subrev_u32_e32 v25, 28, v24
	v_and_b32_e32 v22, 15, v22
	v_lshlrev_b32_sdwa v25, v25, v10 dst_sel:DWORD dst_unused:UNUSED_PAD src0_sel:DWORD src1_sel:WORD_1
	v_bfe_u32 v23, v10, 19, 4
	v_sub_u32_e32 v24, 29, v24
	v_and_b32_e32 v25, 7, v25
	v_cmp_eq_u16_e32 vcc, 0, v22
	v_cndmask_b32_e32 v21, v21, v25, vcc
	v_cndmask_b32_e32 v22, v23, v24, vcc
	v_lshlrev_b32_e32 v23, 8, v10
	v_mov_b32_e32 v24, 0x3b800000
	v_lshlrev_b32_e32 v21, 20, v21
	v_and_b32_e32 v23, 0x80000000, v23
	v_lshl_add_u32 v22, v22, 23, v24
	v_or3_b32 v22, v23, v22, v21
.LBB54_1560:
	s_or_b64 exec, exec, s[6:7]
	s_nop 0
	v_mfma_f32_16x16x4f32 a[0:3], v20, v22, a[0:3]
	s_movk_i32 s4, 0x7f
	v_cmp_gt_i16_sdwa s[6:7], v14, s4 src0_sel:BYTE_3 src1_sel:DWORD
	s_mov_b64 s[4:5], 0
                                        ; implicit-def: $sgpr10
	s_and_saveexec_b64 s[8:9], s[6:7]
	s_xor_b64 s[6:7], exec, s[8:9]
	s_cbranch_execnz .LBB54_3609
; %bb.1561:
	s_or_saveexec_b64 s[6:7], s[6:7]
	v_mov_b32_e32 v20, s10
	s_xor_b64 exec, exec, s[6:7]
	s_cbranch_execnz .LBB54_3612
.LBB54_1562:
	s_or_b64 exec, exec, s[6:7]
	s_and_saveexec_b64 s[6:7], s[4:5]
	s_cbranch_execz .LBB54_1564
.LBB54_1563:
	v_bfe_u32 v20, v14, 24, 3
	v_ffbh_u32_e32 v24, v20
	v_min_u32_e32 v24, 32, v24
	v_lshrrev_b32_e32 v22, 27, v14
	v_subrev_u32_e32 v25, 28, v24
	v_and_b32_e32 v21, 0x80000000, v14
	v_and_b32_e32 v22, 15, v22
	v_bfe_u32 v23, v14, 27, 4
	v_lshlrev_b32_sdwa v14, v25, v14 dst_sel:DWORD dst_unused:UNUSED_PAD src0_sel:DWORD src1_sel:BYTE_3
	v_sub_u32_e32 v24, 29, v24
	v_and_b32_e32 v14, 7, v14
	v_cmp_eq_u16_e32 vcc, 0, v22
	v_cndmask_b32_e32 v14, v20, v14, vcc
	v_cndmask_b32_e32 v20, v23, v24, vcc
	v_mov_b32_e32 v22, 0x3b800000
	v_lshlrev_b32_e32 v14, 20, v14
	v_lshl_add_u32 v20, v20, 23, v22
	v_or3_b32 v20, v21, v20, v14
.LBB54_1564:
	s_or_b64 exec, exec, s[6:7]
	s_movk_i32 s4, 0x7f
	v_cmp_gt_i16_sdwa s[6:7], v10, s4 src0_sel:BYTE_3 src1_sel:DWORD
	s_mov_b64 s[4:5], 0
                                        ; implicit-def: $sgpr10
	s_and_saveexec_b64 s[8:9], s[6:7]
	s_xor_b64 s[6:7], exec, s[8:9]
	s_cbranch_execnz .LBB54_3613
; %bb.1565:
	s_or_saveexec_b64 s[6:7], s[6:7]
	v_mov_b32_e32 v14, s10
	s_xor_b64 exec, exec, s[6:7]
	s_cbranch_execnz .LBB54_3616
.LBB54_1566:
	s_or_b64 exec, exec, s[6:7]
	s_and_saveexec_b64 s[6:7], s[4:5]
	s_cbranch_execz .LBB54_1568
.LBB54_1567:
	v_bfe_u32 v14, v10, 24, 3
	v_ffbh_u32_e32 v24, v14
	v_min_u32_e32 v24, 32, v24
	v_lshrrev_b32_e32 v22, 27, v10
	v_subrev_u32_e32 v25, 28, v24
	v_and_b32_e32 v21, 0x80000000, v10
	v_and_b32_e32 v22, 15, v22
	v_bfe_u32 v23, v10, 27, 4
	v_lshlrev_b32_sdwa v10, v25, v10 dst_sel:DWORD dst_unused:UNUSED_PAD src0_sel:DWORD src1_sel:BYTE_3
	v_sub_u32_e32 v24, 29, v24
	v_and_b32_e32 v10, 7, v10
	v_cmp_eq_u16_e32 vcc, 0, v22
	v_cndmask_b32_e32 v10, v14, v10, vcc
	v_cndmask_b32_e32 v14, v23, v24, vcc
	v_mov_b32_e32 v22, 0x3b800000
	v_lshlrev_b32_e32 v10, 20, v10
	v_lshl_add_u32 v14, v14, 23, v22
	v_or3_b32 v14, v21, v14, v10
.LBB54_1568:
	s_or_b64 exec, exec, s[6:7]
	s_nop 0
	v_mfma_f32_16x16x4f32 a[0:3], v20, v14, a[0:3]
	s_movk_i32 s4, 0x7f
	v_cmp_gt_i16_sdwa s[6:7], v15, s4 src0_sel:BYTE_0 src1_sel:DWORD
	s_mov_b64 s[4:5], 0
                                        ; implicit-def: $sgpr10
	s_and_saveexec_b64 s[8:9], s[6:7]
	s_xor_b64 s[6:7], exec, s[8:9]
	s_cbranch_execnz .LBB54_3617
; %bb.1569:
	s_or_saveexec_b64 s[6:7], s[6:7]
	v_mov_b32_e32 v10, s10
	s_xor_b64 exec, exec, s[6:7]
	s_cbranch_execnz .LBB54_3620
.LBB54_1570:
	s_or_b64 exec, exec, s[6:7]
	s_and_saveexec_b64 s[6:7], s[4:5]
	s_cbranch_execz .LBB54_1572
.LBB54_1571:
	v_and_b32_e32 v10, 7, v15
	v_ffbh_u32_e32 v20, v10
	v_min_u32_e32 v20, 32, v20
	v_lshrrev_b16_e32 v14, 3, v15
	v_subrev_u32_e32 v21, 28, v20
	v_and_b32_e32 v14, 15, v14
	v_lshlrev_b32_e32 v21, v21, v15
	v_sub_u32_e32 v20, 29, v20
	v_and_b32_e32 v21, 7, v21
	v_cmp_eq_u16_e32 vcc, 0, v14
	v_cndmask_b32_e32 v10, v10, v21, vcc
	v_cndmask_b32_e32 v14, v14, v20, vcc
	v_lshlrev_b32_e32 v20, 24, v15
	v_mov_b32_e32 v21, 0x3b800000
	v_lshlrev_b32_e32 v10, 20, v10
	v_and_b32_e32 v20, 0x80000000, v20
	v_lshl_add_u32 v14, v14, 23, v21
	v_or3_b32 v10, v20, v14, v10
.LBB54_1572:
	s_or_b64 exec, exec, s[6:7]
	s_movk_i32 s4, 0x7f
	v_cmp_gt_i16_sdwa s[6:7], v11, s4 src0_sel:BYTE_0 src1_sel:DWORD
	s_mov_b64 s[4:5], 0
                                        ; implicit-def: $sgpr10
	s_and_saveexec_b64 s[8:9], s[6:7]
	s_xor_b64 s[6:7], exec, s[8:9]
	s_cbranch_execnz .LBB54_3621
; %bb.1573:
	s_or_saveexec_b64 s[6:7], s[6:7]
	v_mov_b32_e32 v14, s10
	s_xor_b64 exec, exec, s[6:7]
	s_cbranch_execnz .LBB54_3624
.LBB54_1574:
	s_or_b64 exec, exec, s[6:7]
	s_and_saveexec_b64 s[6:7], s[4:5]
	s_cbranch_execz .LBB54_1576
.LBB54_1575:
	v_and_b32_e32 v14, 7, v11
	v_ffbh_u32_e32 v21, v14
	v_min_u32_e32 v21, 32, v21
	v_lshrrev_b16_e32 v20, 3, v11
	v_subrev_u32_e32 v22, 28, v21
	v_and_b32_e32 v20, 15, v20
	v_lshlrev_b32_e32 v22, v22, v11
	v_sub_u32_e32 v21, 29, v21
	v_and_b32_e32 v22, 7, v22
	v_cmp_eq_u16_e32 vcc, 0, v20
	v_cndmask_b32_e32 v14, v14, v22, vcc
	v_cndmask_b32_e32 v20, v20, v21, vcc
	v_lshlrev_b32_e32 v21, 24, v11
	v_mov_b32_e32 v22, 0x3b800000
	v_lshlrev_b32_e32 v14, 20, v14
	v_and_b32_e32 v21, 0x80000000, v21
	v_lshl_add_u32 v20, v20, 23, v22
	v_or3_b32 v14, v21, v20, v14
.LBB54_1576:
	s_or_b64 exec, exec, s[6:7]
	s_nop 0
	v_mfma_f32_16x16x4f32 a[0:3], v10, v14, a[0:3]
	v_lshrrev_b32_e32 v14, 8, v15
	s_movk_i32 s4, 0x7f
	v_cmp_gt_i16_sdwa s[6:7], v14, s4 src0_sel:BYTE_0 src1_sel:DWORD
	s_mov_b64 s[4:5], 0
                                        ; implicit-def: $sgpr10
	s_and_saveexec_b64 s[8:9], s[6:7]
	s_xor_b64 s[6:7], exec, s[8:9]
	s_cbranch_execnz .LBB54_3625
; %bb.1577:
	s_or_saveexec_b64 s[6:7], s[6:7]
	v_mov_b32_e32 v10, s10
	s_xor_b64 exec, exec, s[6:7]
	s_cbranch_execnz .LBB54_3628
.LBB54_1578:
	s_or_b64 exec, exec, s[6:7]
	s_and_saveexec_b64 s[6:7], s[4:5]
	s_cbranch_execz .LBB54_1580
.LBB54_1579:
	v_bfe_u32 v10, v15, 8, 3
	v_ffbh_u32_e32 v21, v10
	v_min_u32_e32 v21, 32, v21
	v_lshrrev_b16_e32 v20, 3, v14
	v_subrev_u32_e32 v22, 28, v21
	v_and_b32_e32 v20, 15, v20
	v_lshlrev_b32_e32 v14, v22, v14
	v_sub_u32_e32 v21, 29, v21
	v_and_b32_e32 v14, 7, v14
	v_cmp_eq_u16_e32 vcc, 0, v20
	v_cndmask_b32_e32 v10, v10, v14, vcc
	v_cndmask_b32_e32 v14, v20, v21, vcc
	v_lshlrev_b32_e32 v20, 16, v15
	v_mov_b32_e32 v21, 0x3b800000
	v_lshlrev_b32_e32 v10, 20, v10
	v_and_b32_e32 v20, 0x80000000, v20
	v_lshl_add_u32 v14, v14, 23, v21
	v_or3_b32 v10, v20, v14, v10
.LBB54_1580:
	s_or_b64 exec, exec, s[6:7]
	v_lshrrev_b32_e32 v14, 8, v11
	s_movk_i32 s4, 0x7f
	v_cmp_gt_i16_sdwa s[6:7], v14, s4 src0_sel:BYTE_0 src1_sel:DWORD
	s_mov_b64 s[4:5], 0
                                        ; implicit-def: $sgpr10
	s_and_saveexec_b64 s[8:9], s[6:7]
	s_xor_b64 s[6:7], exec, s[8:9]
	s_cbranch_execnz .LBB54_3629
; %bb.1581:
	s_or_saveexec_b64 s[6:7], s[6:7]
	v_mov_b32_e32 v20, s10
	s_xor_b64 exec, exec, s[6:7]
	s_cbranch_execnz .LBB54_3632
.LBB54_1582:
	s_or_b64 exec, exec, s[6:7]
	s_and_saveexec_b64 s[6:7], s[4:5]
	s_cbranch_execz .LBB54_1584
.LBB54_1583:
	v_bfe_u32 v20, v11, 8, 3
	v_ffbh_u32_e32 v22, v20
	v_min_u32_e32 v22, 32, v22
	v_lshrrev_b16_e32 v21, 3, v14
	v_subrev_u32_e32 v23, 28, v22
	v_and_b32_e32 v21, 15, v21
	v_lshlrev_b32_e32 v14, v23, v14
	v_sub_u32_e32 v22, 29, v22
	v_and_b32_e32 v14, 7, v14
	v_cmp_eq_u16_e32 vcc, 0, v21
	v_cndmask_b32_e32 v14, v20, v14, vcc
	v_cndmask_b32_e32 v20, v21, v22, vcc
	v_lshlrev_b32_e32 v21, 16, v11
	v_mov_b32_e32 v22, 0x3b800000
	v_lshlrev_b32_e32 v14, 20, v14
	v_and_b32_e32 v21, 0x80000000, v21
	v_lshl_add_u32 v20, v20, 23, v22
	v_or3_b32 v20, v21, v20, v14
.LBB54_1584:
	s_or_b64 exec, exec, s[6:7]
	s_nop 0
	v_mfma_f32_16x16x4f32 a[0:3], v10, v20, a[0:3]
	s_movk_i32 s4, 0xff
	v_and_b32_sdwa v14, v15, s4 dst_sel:DWORD dst_unused:UNUSED_PAD src0_sel:WORD_1 src1_sel:DWORD
	s_movk_i32 s4, 0x7f
	v_cmp_lt_i16_e32 vcc, s4, v14
	s_mov_b64 s[4:5], 0
                                        ; implicit-def: $sgpr10
	s_and_saveexec_b64 s[6:7], vcc
	s_xor_b64 s[6:7], exec, s[6:7]
	s_cbranch_execnz .LBB54_3633
; %bb.1585:
	s_or_saveexec_b64 s[6:7], s[6:7]
	v_mov_b32_e32 v10, s10
	s_xor_b64 exec, exec, s[6:7]
	s_cbranch_execnz .LBB54_3636
.LBB54_1586:
	s_or_b64 exec, exec, s[6:7]
	s_and_saveexec_b64 s[6:7], s[4:5]
	s_cbranch_execz .LBB54_1588
.LBB54_1587:
	v_bfe_u32 v10, v15, 16, 3
	v_ffbh_u32_e32 v21, v10
	v_min_u32_e32 v21, 32, v21
	v_lshrrev_b32_e32 v14, 19, v15
	v_subrev_u32_e32 v22, 28, v21
	v_and_b32_e32 v14, 15, v14
	v_lshlrev_b32_sdwa v22, v22, v15 dst_sel:DWORD dst_unused:UNUSED_PAD src0_sel:DWORD src1_sel:WORD_1
	v_bfe_u32 v20, v15, 19, 4
	v_sub_u32_e32 v21, 29, v21
	v_and_b32_e32 v22, 7, v22
	v_cmp_eq_u16_e32 vcc, 0, v14
	v_cndmask_b32_e32 v10, v10, v22, vcc
	v_cndmask_b32_e32 v14, v20, v21, vcc
	v_lshlrev_b32_e32 v20, 8, v15
	v_mov_b32_e32 v21, 0x3b800000
	v_lshlrev_b32_e32 v10, 20, v10
	v_and_b32_e32 v20, 0x80000000, v20
	v_lshl_add_u32 v14, v14, 23, v21
	v_or3_b32 v10, v20, v14, v10
.LBB54_1588:
	s_or_b64 exec, exec, s[6:7]
	s_movk_i32 s4, 0xff
	v_and_b32_sdwa v14, v11, s4 dst_sel:DWORD dst_unused:UNUSED_PAD src0_sel:WORD_1 src1_sel:DWORD
	s_movk_i32 s4, 0x7f
	v_cmp_lt_i16_e32 vcc, s4, v14
	s_mov_b64 s[4:5], 0
                                        ; implicit-def: $sgpr10
	s_and_saveexec_b64 s[6:7], vcc
	s_xor_b64 s[6:7], exec, s[6:7]
	s_cbranch_execnz .LBB54_3637
; %bb.1589:
	s_or_saveexec_b64 s[6:7], s[6:7]
	v_mov_b32_e32 v20, s10
	s_xor_b64 exec, exec, s[6:7]
	s_cbranch_execnz .LBB54_3640
.LBB54_1590:
	s_or_b64 exec, exec, s[6:7]
	s_and_saveexec_b64 s[6:7], s[4:5]
	s_cbranch_execz .LBB54_1592
.LBB54_1591:
	v_bfe_u32 v14, v11, 16, 3
	v_ffbh_u32_e32 v22, v14
	v_min_u32_e32 v22, 32, v22
	v_lshrrev_b32_e32 v20, 19, v11
	v_subrev_u32_e32 v23, 28, v22
	v_and_b32_e32 v20, 15, v20
	v_lshlrev_b32_sdwa v23, v23, v11 dst_sel:DWORD dst_unused:UNUSED_PAD src0_sel:DWORD src1_sel:WORD_1
	v_bfe_u32 v21, v11, 19, 4
	v_sub_u32_e32 v22, 29, v22
	v_and_b32_e32 v23, 7, v23
	v_cmp_eq_u16_e32 vcc, 0, v20
	v_cndmask_b32_e32 v14, v14, v23, vcc
	v_cndmask_b32_e32 v20, v21, v22, vcc
	v_lshlrev_b32_e32 v21, 8, v11
	v_mov_b32_e32 v22, 0x3b800000
	v_lshlrev_b32_e32 v14, 20, v14
	v_and_b32_e32 v21, 0x80000000, v21
	v_lshl_add_u32 v20, v20, 23, v22
	v_or3_b32 v20, v21, v20, v14
.LBB54_1592:
	s_or_b64 exec, exec, s[6:7]
	s_nop 0
	v_mfma_f32_16x16x4f32 a[0:3], v10, v20, a[0:3]
	s_movk_i32 s4, 0x7f
	v_cmp_gt_i16_sdwa s[6:7], v15, s4 src0_sel:BYTE_3 src1_sel:DWORD
	s_mov_b64 s[4:5], 0
                                        ; implicit-def: $sgpr10
	s_and_saveexec_b64 s[8:9], s[6:7]
	s_xor_b64 s[6:7], exec, s[8:9]
	s_cbranch_execnz .LBB54_3641
; %bb.1593:
	s_or_saveexec_b64 s[6:7], s[6:7]
	v_mov_b32_e32 v10, s10
	s_xor_b64 exec, exec, s[6:7]
	s_cbranch_execnz .LBB54_3644
.LBB54_1594:
	s_or_b64 exec, exec, s[6:7]
	s_and_saveexec_b64 s[6:7], s[4:5]
	s_cbranch_execz .LBB54_1596
.LBB54_1595:
	v_bfe_u32 v10, v15, 24, 3
	v_ffbh_u32_e32 v22, v10
	v_min_u32_e32 v22, 32, v22
	v_lshrrev_b32_e32 v20, 27, v15
	v_subrev_u32_e32 v23, 28, v22
	v_and_b32_e32 v14, 0x80000000, v15
	v_and_b32_e32 v20, 15, v20
	v_bfe_u32 v21, v15, 27, 4
	v_lshlrev_b32_sdwa v15, v23, v15 dst_sel:DWORD dst_unused:UNUSED_PAD src0_sel:DWORD src1_sel:BYTE_3
	v_sub_u32_e32 v22, 29, v22
	v_and_b32_e32 v15, 7, v15
	v_cmp_eq_u16_e32 vcc, 0, v20
	v_cndmask_b32_e32 v10, v10, v15, vcc
	v_cndmask_b32_e32 v15, v21, v22, vcc
	v_mov_b32_e32 v20, 0x3b800000
	v_lshlrev_b32_e32 v10, 20, v10
	v_lshl_add_u32 v15, v15, 23, v20
	v_or3_b32 v10, v14, v15, v10
.LBB54_1596:
	s_or_b64 exec, exec, s[6:7]
	s_movk_i32 s4, 0x7f
	v_cmp_gt_i16_sdwa s[6:7], v11, s4 src0_sel:BYTE_3 src1_sel:DWORD
	s_mov_b64 s[4:5], 0
                                        ; implicit-def: $sgpr10
	s_and_saveexec_b64 s[8:9], s[6:7]
	s_xor_b64 s[6:7], exec, s[8:9]
	s_cbranch_execnz .LBB54_3645
; %bb.1597:
	s_or_saveexec_b64 s[6:7], s[6:7]
	v_mov_b32_e32 v14, s10
	s_xor_b64 exec, exec, s[6:7]
	s_cbranch_execnz .LBB54_3648
.LBB54_1598:
	s_or_b64 exec, exec, s[6:7]
	s_and_saveexec_b64 s[6:7], s[4:5]
	s_cbranch_execz .LBB54_1600
.LBB54_1599:
	v_bfe_u32 v14, v11, 24, 3
	v_ffbh_u32_e32 v22, v14
	v_min_u32_e32 v22, 32, v22
	v_lshrrev_b32_e32 v20, 27, v11
	v_subrev_u32_e32 v23, 28, v22
	v_and_b32_e32 v15, 0x80000000, v11
	v_and_b32_e32 v20, 15, v20
	v_bfe_u32 v21, v11, 27, 4
	v_lshlrev_b32_sdwa v11, v23, v11 dst_sel:DWORD dst_unused:UNUSED_PAD src0_sel:DWORD src1_sel:BYTE_3
	v_sub_u32_e32 v22, 29, v22
	v_and_b32_e32 v11, 7, v11
	v_cmp_eq_u16_e32 vcc, 0, v20
	v_cndmask_b32_e32 v11, v14, v11, vcc
	v_cndmask_b32_e32 v14, v21, v22, vcc
	v_mov_b32_e32 v20, 0x3b800000
	v_lshlrev_b32_e32 v11, 20, v11
	v_lshl_add_u32 v14, v14, 23, v20
	v_or3_b32 v14, v15, v14, v11
.LBB54_1600:
	s_or_b64 exec, exec, s[6:7]
	s_nop 0
	v_mfma_f32_16x16x4f32 a[0:3], v10, v14, a[0:3]
	s_movk_i32 s4, 0x7f
	v_cmp_gt_i16_sdwa s[6:7], v16, s4 src0_sel:BYTE_0 src1_sel:DWORD
	s_mov_b64 s[4:5], 0
                                        ; implicit-def: $sgpr10
	s_and_saveexec_b64 s[8:9], s[6:7]
	s_xor_b64 s[6:7], exec, s[8:9]
	s_cbranch_execnz .LBB54_3649
; %bb.1601:
	s_or_saveexec_b64 s[6:7], s[6:7]
	v_mov_b32_e32 v10, s10
	s_xor_b64 exec, exec, s[6:7]
	s_cbranch_execnz .LBB54_3652
.LBB54_1602:
	s_or_b64 exec, exec, s[6:7]
	s_and_saveexec_b64 s[6:7], s[4:5]
	s_cbranch_execz .LBB54_1604
.LBB54_1603:
	v_and_b32_e32 v10, 7, v16
	v_ffbh_u32_e32 v14, v10
	v_min_u32_e32 v14, 32, v14
	v_lshrrev_b16_e32 v11, 3, v16
	v_subrev_u32_e32 v15, 28, v14
	v_and_b32_e32 v11, 15, v11
	v_lshlrev_b32_e32 v15, v15, v16
	v_sub_u32_e32 v14, 29, v14
	v_and_b32_e32 v15, 7, v15
	v_cmp_eq_u16_e32 vcc, 0, v11
	v_cndmask_b32_e32 v10, v10, v15, vcc
	v_cndmask_b32_e32 v11, v11, v14, vcc
	v_lshlrev_b32_e32 v14, 24, v16
	v_mov_b32_e32 v15, 0x3b800000
	v_lshlrev_b32_e32 v10, 20, v10
	v_and_b32_e32 v14, 0x80000000, v14
	v_lshl_add_u32 v11, v11, 23, v15
	v_or3_b32 v10, v14, v11, v10
.LBB54_1604:
	s_or_b64 exec, exec, s[6:7]
	s_movk_i32 s4, 0x7f
	v_cmp_gt_i16_sdwa s[6:7], v12, s4 src0_sel:BYTE_0 src1_sel:DWORD
	s_mov_b64 s[4:5], 0
                                        ; implicit-def: $sgpr10
	s_and_saveexec_b64 s[8:9], s[6:7]
	s_xor_b64 s[6:7], exec, s[8:9]
	s_cbranch_execnz .LBB54_3653
; %bb.1605:
	s_or_saveexec_b64 s[6:7], s[6:7]
	v_mov_b32_e32 v11, s10
	s_xor_b64 exec, exec, s[6:7]
	s_cbranch_execnz .LBB54_3656
.LBB54_1606:
	s_or_b64 exec, exec, s[6:7]
	s_and_saveexec_b64 s[6:7], s[4:5]
	s_cbranch_execz .LBB54_1608
.LBB54_1607:
	v_and_b32_e32 v11, 7, v12
	v_ffbh_u32_e32 v15, v11
	v_min_u32_e32 v15, 32, v15
	v_lshrrev_b16_e32 v14, 3, v12
	v_subrev_u32_e32 v20, 28, v15
	v_and_b32_e32 v14, 15, v14
	v_lshlrev_b32_e32 v20, v20, v12
	v_sub_u32_e32 v15, 29, v15
	v_and_b32_e32 v20, 7, v20
	v_cmp_eq_u16_e32 vcc, 0, v14
	v_cndmask_b32_e32 v11, v11, v20, vcc
	v_cndmask_b32_e32 v14, v14, v15, vcc
	v_lshlrev_b32_e32 v15, 24, v12
	v_mov_b32_e32 v20, 0x3b800000
	v_lshlrev_b32_e32 v11, 20, v11
	v_and_b32_e32 v15, 0x80000000, v15
	v_lshl_add_u32 v14, v14, 23, v20
	v_or3_b32 v11, v15, v14, v11
.LBB54_1608:
	s_or_b64 exec, exec, s[6:7]
	s_nop 0
	v_mfma_f32_16x16x4f32 a[0:3], v10, v11, a[0:3]
	v_lshrrev_b32_e32 v11, 8, v16
	s_movk_i32 s4, 0x7f
	v_cmp_gt_i16_sdwa s[6:7], v11, s4 src0_sel:BYTE_0 src1_sel:DWORD
	s_mov_b64 s[4:5], 0
                                        ; implicit-def: $sgpr10
	s_and_saveexec_b64 s[8:9], s[6:7]
	s_xor_b64 s[6:7], exec, s[8:9]
	s_cbranch_execnz .LBB54_3657
; %bb.1609:
	s_or_saveexec_b64 s[6:7], s[6:7]
	v_mov_b32_e32 v10, s10
	s_xor_b64 exec, exec, s[6:7]
	s_cbranch_execnz .LBB54_3660
.LBB54_1610:
	s_or_b64 exec, exec, s[6:7]
	s_and_saveexec_b64 s[6:7], s[4:5]
	s_cbranch_execz .LBB54_1612
.LBB54_1611:
	v_bfe_u32 v10, v16, 8, 3
	v_ffbh_u32_e32 v15, v10
	v_min_u32_e32 v15, 32, v15
	v_lshrrev_b16_e32 v14, 3, v11
	v_subrev_u32_e32 v20, 28, v15
	v_and_b32_e32 v14, 15, v14
	v_lshlrev_b32_e32 v11, v20, v11
	v_sub_u32_e32 v15, 29, v15
	v_and_b32_e32 v11, 7, v11
	v_cmp_eq_u16_e32 vcc, 0, v14
	v_cndmask_b32_e32 v10, v10, v11, vcc
	v_cndmask_b32_e32 v11, v14, v15, vcc
	v_lshlrev_b32_e32 v14, 16, v16
	v_mov_b32_e32 v15, 0x3b800000
	v_lshlrev_b32_e32 v10, 20, v10
	v_and_b32_e32 v14, 0x80000000, v14
	v_lshl_add_u32 v11, v11, 23, v15
	v_or3_b32 v10, v14, v11, v10
.LBB54_1612:
	s_or_b64 exec, exec, s[6:7]
	v_lshrrev_b32_e32 v11, 8, v12
	s_movk_i32 s4, 0x7f
	v_cmp_gt_i16_sdwa s[6:7], v11, s4 src0_sel:BYTE_0 src1_sel:DWORD
	s_mov_b64 s[4:5], 0
                                        ; implicit-def: $sgpr10
	s_and_saveexec_b64 s[8:9], s[6:7]
	s_xor_b64 s[6:7], exec, s[8:9]
	s_cbranch_execnz .LBB54_3661
; %bb.1613:
	s_or_saveexec_b64 s[6:7], s[6:7]
	v_mov_b32_e32 v14, s10
	s_xor_b64 exec, exec, s[6:7]
	s_cbranch_execnz .LBB54_3664
.LBB54_1614:
	s_or_b64 exec, exec, s[6:7]
	s_and_saveexec_b64 s[6:7], s[4:5]
	s_cbranch_execz .LBB54_1616
.LBB54_1615:
	v_bfe_u32 v14, v12, 8, 3
	v_ffbh_u32_e32 v20, v14
	v_min_u32_e32 v20, 32, v20
	v_lshrrev_b16_e32 v15, 3, v11
	v_subrev_u32_e32 v21, 28, v20
	v_and_b32_e32 v15, 15, v15
	v_lshlrev_b32_e32 v11, v21, v11
	v_sub_u32_e32 v20, 29, v20
	v_and_b32_e32 v11, 7, v11
	v_cmp_eq_u16_e32 vcc, 0, v15
	v_cndmask_b32_e32 v11, v14, v11, vcc
	v_cndmask_b32_e32 v14, v15, v20, vcc
	v_lshlrev_b32_e32 v15, 16, v12
	v_mov_b32_e32 v20, 0x3b800000
	v_lshlrev_b32_e32 v11, 20, v11
	v_and_b32_e32 v15, 0x80000000, v15
	v_lshl_add_u32 v14, v14, 23, v20
	v_or3_b32 v14, v15, v14, v11
.LBB54_1616:
	s_or_b64 exec, exec, s[6:7]
	s_nop 0
	v_mfma_f32_16x16x4f32 a[0:3], v10, v14, a[0:3]
	s_movk_i32 s4, 0xff
	v_and_b32_sdwa v11, v16, s4 dst_sel:DWORD dst_unused:UNUSED_PAD src0_sel:WORD_1 src1_sel:DWORD
	s_movk_i32 s4, 0x7f
	v_cmp_lt_i16_e32 vcc, s4, v11
	s_mov_b64 s[4:5], 0
                                        ; implicit-def: $sgpr10
	s_and_saveexec_b64 s[6:7], vcc
	s_xor_b64 s[6:7], exec, s[6:7]
	s_cbranch_execnz .LBB54_3665
; %bb.1617:
	s_or_saveexec_b64 s[6:7], s[6:7]
	v_mov_b32_e32 v10, s10
	s_xor_b64 exec, exec, s[6:7]
	s_cbranch_execnz .LBB54_3668
.LBB54_1618:
	s_or_b64 exec, exec, s[6:7]
	s_and_saveexec_b64 s[6:7], s[4:5]
	s_cbranch_execz .LBB54_1620
.LBB54_1619:
	v_bfe_u32 v10, v16, 16, 3
	v_ffbh_u32_e32 v15, v10
	v_min_u32_e32 v15, 32, v15
	v_lshrrev_b32_e32 v11, 19, v16
	v_subrev_u32_e32 v20, 28, v15
	v_and_b32_e32 v11, 15, v11
	v_lshlrev_b32_sdwa v20, v20, v16 dst_sel:DWORD dst_unused:UNUSED_PAD src0_sel:DWORD src1_sel:WORD_1
	v_bfe_u32 v14, v16, 19, 4
	v_sub_u32_e32 v15, 29, v15
	v_and_b32_e32 v20, 7, v20
	v_cmp_eq_u16_e32 vcc, 0, v11
	v_cndmask_b32_e32 v10, v10, v20, vcc
	v_cndmask_b32_e32 v11, v14, v15, vcc
	v_lshlrev_b32_e32 v14, 8, v16
	v_mov_b32_e32 v15, 0x3b800000
	v_lshlrev_b32_e32 v10, 20, v10
	v_and_b32_e32 v14, 0x80000000, v14
	v_lshl_add_u32 v11, v11, 23, v15
	v_or3_b32 v10, v14, v11, v10
.LBB54_1620:
	s_or_b64 exec, exec, s[6:7]
	s_movk_i32 s4, 0xff
	v_and_b32_sdwa v11, v12, s4 dst_sel:DWORD dst_unused:UNUSED_PAD src0_sel:WORD_1 src1_sel:DWORD
	s_movk_i32 s4, 0x7f
	v_cmp_lt_i16_e32 vcc, s4, v11
	s_mov_b64 s[4:5], 0
                                        ; implicit-def: $sgpr10
	s_and_saveexec_b64 s[6:7], vcc
	s_xor_b64 s[6:7], exec, s[6:7]
	s_cbranch_execnz .LBB54_3669
; %bb.1621:
	s_or_saveexec_b64 s[6:7], s[6:7]
	v_mov_b32_e32 v14, s10
	s_xor_b64 exec, exec, s[6:7]
	s_cbranch_execnz .LBB54_3672
.LBB54_1622:
	s_or_b64 exec, exec, s[6:7]
	s_and_saveexec_b64 s[6:7], s[4:5]
	s_cbranch_execz .LBB54_1624
.LBB54_1623:
	v_bfe_u32 v11, v12, 16, 3
	v_ffbh_u32_e32 v20, v11
	v_min_u32_e32 v20, 32, v20
	v_lshrrev_b32_e32 v14, 19, v12
	v_subrev_u32_e32 v21, 28, v20
	v_and_b32_e32 v14, 15, v14
	v_lshlrev_b32_sdwa v21, v21, v12 dst_sel:DWORD dst_unused:UNUSED_PAD src0_sel:DWORD src1_sel:WORD_1
	v_bfe_u32 v15, v12, 19, 4
	v_sub_u32_e32 v20, 29, v20
	v_and_b32_e32 v21, 7, v21
	v_cmp_eq_u16_e32 vcc, 0, v14
	v_cndmask_b32_e32 v11, v11, v21, vcc
	v_cndmask_b32_e32 v14, v15, v20, vcc
	v_lshlrev_b32_e32 v15, 8, v12
	v_mov_b32_e32 v20, 0x3b800000
	v_lshlrev_b32_e32 v11, 20, v11
	v_and_b32_e32 v15, 0x80000000, v15
	v_lshl_add_u32 v14, v14, 23, v20
	v_or3_b32 v14, v15, v14, v11
.LBB54_1624:
	s_or_b64 exec, exec, s[6:7]
	s_nop 0
	v_mfma_f32_16x16x4f32 a[0:3], v10, v14, a[0:3]
	s_movk_i32 s4, 0x7f
	v_cmp_gt_i16_sdwa s[6:7], v16, s4 src0_sel:BYTE_3 src1_sel:DWORD
	s_mov_b64 s[4:5], 0
                                        ; implicit-def: $sgpr10
	s_and_saveexec_b64 s[8:9], s[6:7]
	s_xor_b64 s[6:7], exec, s[8:9]
	s_cbranch_execnz .LBB54_3673
; %bb.1625:
	s_or_saveexec_b64 s[6:7], s[6:7]
	v_mov_b32_e32 v10, s10
	s_xor_b64 exec, exec, s[6:7]
	s_cbranch_execnz .LBB54_3676
.LBB54_1626:
	s_or_b64 exec, exec, s[6:7]
	s_and_saveexec_b64 s[6:7], s[4:5]
	s_cbranch_execz .LBB54_1628
.LBB54_1627:
	v_bfe_u32 v10, v16, 24, 3
	v_ffbh_u32_e32 v20, v10
	v_min_u32_e32 v20, 32, v20
	v_lshrrev_b32_e32 v14, 27, v16
	v_subrev_u32_e32 v21, 28, v20
	v_and_b32_e32 v11, 0x80000000, v16
	v_and_b32_e32 v14, 15, v14
	v_bfe_u32 v15, v16, 27, 4
	v_lshlrev_b32_sdwa v16, v21, v16 dst_sel:DWORD dst_unused:UNUSED_PAD src0_sel:DWORD src1_sel:BYTE_3
	v_sub_u32_e32 v20, 29, v20
	v_and_b32_e32 v16, 7, v16
	v_cmp_eq_u16_e32 vcc, 0, v14
	v_cndmask_b32_e32 v10, v10, v16, vcc
	v_cndmask_b32_e32 v14, v15, v20, vcc
	v_mov_b32_e32 v15, 0x3b800000
	v_lshlrev_b32_e32 v10, 20, v10
	v_lshl_add_u32 v14, v14, 23, v15
	v_or3_b32 v10, v11, v14, v10
.LBB54_1628:
	s_or_b64 exec, exec, s[6:7]
	s_movk_i32 s4, 0x7f
	v_cmp_gt_i16_sdwa s[6:7], v12, s4 src0_sel:BYTE_3 src1_sel:DWORD
	s_mov_b64 s[4:5], 0
                                        ; implicit-def: $sgpr10
	s_and_saveexec_b64 s[8:9], s[6:7]
	s_xor_b64 s[6:7], exec, s[8:9]
	s_cbranch_execnz .LBB54_3677
; %bb.1629:
	s_or_saveexec_b64 s[6:7], s[6:7]
	v_mov_b32_e32 v11, s10
	s_xor_b64 exec, exec, s[6:7]
	s_cbranch_execnz .LBB54_3680
.LBB54_1630:
	s_or_b64 exec, exec, s[6:7]
	s_and_saveexec_b64 s[6:7], s[4:5]
	s_cbranch_execz .LBB54_1632
.LBB54_1631:
	v_bfe_u32 v11, v12, 24, 3
	v_ffbh_u32_e32 v20, v11
	v_min_u32_e32 v20, 32, v20
	v_lshrrev_b32_e32 v15, 27, v12
	v_subrev_u32_e32 v21, 28, v20
	v_and_b32_e32 v14, 0x80000000, v12
	v_and_b32_e32 v15, 15, v15
	v_bfe_u32 v16, v12, 27, 4
	v_lshlrev_b32_sdwa v12, v21, v12 dst_sel:DWORD dst_unused:UNUSED_PAD src0_sel:DWORD src1_sel:BYTE_3
	v_sub_u32_e32 v20, 29, v20
	v_and_b32_e32 v12, 7, v12
	v_cmp_eq_u16_e32 vcc, 0, v15
	v_cndmask_b32_e32 v11, v11, v12, vcc
	v_cndmask_b32_e32 v12, v16, v20, vcc
	v_mov_b32_e32 v15, 0x3b800000
	v_lshlrev_b32_e32 v11, 20, v11
	v_lshl_add_u32 v12, v12, 23, v15
	v_or3_b32 v11, v14, v12, v11
.LBB54_1632:
	s_or_b64 exec, exec, s[6:7]
	s_nop 0
	v_mfma_f32_16x16x4f32 a[0:3], v10, v11, a[0:3]
	s_movk_i32 s4, 0x7f
	v_cmp_gt_i16_sdwa s[6:7], v17, s4 src0_sel:BYTE_0 src1_sel:DWORD
	s_mov_b64 s[4:5], 0
                                        ; implicit-def: $sgpr10
	s_and_saveexec_b64 s[8:9], s[6:7]
	s_xor_b64 s[6:7], exec, s[8:9]
	s_cbranch_execnz .LBB54_3681
; %bb.1633:
	s_or_saveexec_b64 s[6:7], s[6:7]
	v_mov_b32_e32 v10, s10
	s_xor_b64 exec, exec, s[6:7]
	s_cbranch_execnz .LBB54_3684
.LBB54_1634:
	s_or_b64 exec, exec, s[6:7]
	s_and_saveexec_b64 s[6:7], s[4:5]
	s_cbranch_execz .LBB54_1636
.LBB54_1635:
	v_and_b32_e32 v10, 7, v17
	v_ffbh_u32_e32 v12, v10
	v_min_u32_e32 v12, 32, v12
	v_lshrrev_b16_e32 v11, 3, v17
	v_subrev_u32_e32 v14, 28, v12
	v_and_b32_e32 v11, 15, v11
	v_lshlrev_b32_e32 v14, v14, v17
	v_sub_u32_e32 v12, 29, v12
	v_and_b32_e32 v14, 7, v14
	v_cmp_eq_u16_e32 vcc, 0, v11
	v_cndmask_b32_e32 v10, v10, v14, vcc
	v_cndmask_b32_e32 v11, v11, v12, vcc
	v_lshlrev_b32_e32 v12, 24, v17
	v_mov_b32_e32 v14, 0x3b800000
	v_lshlrev_b32_e32 v10, 20, v10
	v_and_b32_e32 v12, 0x80000000, v12
	v_lshl_add_u32 v11, v11, 23, v14
	v_or3_b32 v10, v12, v11, v10
.LBB54_1636:
	s_or_b64 exec, exec, s[6:7]
	s_movk_i32 s4, 0x7f
	v_cmp_gt_i16_sdwa s[6:7], v13, s4 src0_sel:BYTE_0 src1_sel:DWORD
	s_mov_b64 s[4:5], 0
                                        ; implicit-def: $sgpr10
	s_and_saveexec_b64 s[8:9], s[6:7]
	s_xor_b64 s[6:7], exec, s[8:9]
	s_cbranch_execnz .LBB54_3685
; %bb.1637:
	s_or_saveexec_b64 s[6:7], s[6:7]
	v_mov_b32_e32 v11, s10
	s_xor_b64 exec, exec, s[6:7]
	s_cbranch_execnz .LBB54_3688
.LBB54_1638:
	s_or_b64 exec, exec, s[6:7]
	s_and_saveexec_b64 s[6:7], s[4:5]
	s_cbranch_execz .LBB54_1640
.LBB54_1639:
	v_and_b32_e32 v11, 7, v13
	v_ffbh_u32_e32 v14, v11
	v_min_u32_e32 v14, 32, v14
	v_lshrrev_b16_e32 v12, 3, v13
	v_subrev_u32_e32 v15, 28, v14
	v_and_b32_e32 v12, 15, v12
	v_lshlrev_b32_e32 v15, v15, v13
	v_sub_u32_e32 v14, 29, v14
	v_and_b32_e32 v15, 7, v15
	v_cmp_eq_u16_e32 vcc, 0, v12
	v_cndmask_b32_e32 v11, v11, v15, vcc
	v_cndmask_b32_e32 v12, v12, v14, vcc
	v_lshlrev_b32_e32 v14, 24, v13
	v_mov_b32_e32 v15, 0x3b800000
	v_lshlrev_b32_e32 v11, 20, v11
	v_and_b32_e32 v14, 0x80000000, v14
	v_lshl_add_u32 v12, v12, 23, v15
	v_or3_b32 v11, v14, v12, v11
.LBB54_1640:
	s_or_b64 exec, exec, s[6:7]
	s_nop 0
	v_mfma_f32_16x16x4f32 a[0:3], v10, v11, a[0:3]
	v_lshrrev_b32_e32 v11, 8, v17
	s_movk_i32 s4, 0x7f
	v_cmp_gt_i16_sdwa s[6:7], v11, s4 src0_sel:BYTE_0 src1_sel:DWORD
	s_mov_b64 s[4:5], 0
                                        ; implicit-def: $sgpr10
	s_and_saveexec_b64 s[8:9], s[6:7]
	s_xor_b64 s[6:7], exec, s[8:9]
	s_cbranch_execnz .LBB54_3689
; %bb.1641:
	s_or_saveexec_b64 s[6:7], s[6:7]
	v_mov_b32_e32 v10, s10
	s_xor_b64 exec, exec, s[6:7]
	s_cbranch_execnz .LBB54_3692
.LBB54_1642:
	s_or_b64 exec, exec, s[6:7]
	s_and_saveexec_b64 s[6:7], s[4:5]
	s_cbranch_execz .LBB54_1644
.LBB54_1643:
	v_bfe_u32 v10, v17, 8, 3
	v_ffbh_u32_e32 v14, v10
	v_min_u32_e32 v14, 32, v14
	v_lshrrev_b16_e32 v12, 3, v11
	v_subrev_u32_e32 v15, 28, v14
	v_and_b32_e32 v12, 15, v12
	v_lshlrev_b32_e32 v11, v15, v11
	v_sub_u32_e32 v14, 29, v14
	v_and_b32_e32 v11, 7, v11
	v_cmp_eq_u16_e32 vcc, 0, v12
	v_cndmask_b32_e32 v10, v10, v11, vcc
	v_cndmask_b32_e32 v11, v12, v14, vcc
	v_lshlrev_b32_e32 v12, 16, v17
	v_mov_b32_e32 v14, 0x3b800000
	v_lshlrev_b32_e32 v10, 20, v10
	v_and_b32_e32 v12, 0x80000000, v12
	v_lshl_add_u32 v11, v11, 23, v14
	v_or3_b32 v10, v12, v11, v10
.LBB54_1644:
	s_or_b64 exec, exec, s[6:7]
	v_lshrrev_b32_e32 v11, 8, v13
	s_movk_i32 s4, 0x7f
	v_cmp_gt_i16_sdwa s[6:7], v11, s4 src0_sel:BYTE_0 src1_sel:DWORD
	s_mov_b64 s[4:5], 0
                                        ; implicit-def: $sgpr10
	s_and_saveexec_b64 s[8:9], s[6:7]
	s_xor_b64 s[6:7], exec, s[8:9]
	s_cbranch_execnz .LBB54_3693
; %bb.1645:
	s_or_saveexec_b64 s[6:7], s[6:7]
	v_mov_b32_e32 v12, s10
	s_xor_b64 exec, exec, s[6:7]
	s_cbranch_execnz .LBB54_3696
.LBB54_1646:
	s_or_b64 exec, exec, s[6:7]
	s_and_saveexec_b64 s[6:7], s[4:5]
	s_cbranch_execz .LBB54_1648
.LBB54_1647:
	v_bfe_u32 v12, v13, 8, 3
	v_ffbh_u32_e32 v15, v12
	v_min_u32_e32 v15, 32, v15
	v_lshrrev_b16_e32 v14, 3, v11
	v_subrev_u32_e32 v16, 28, v15
	v_and_b32_e32 v14, 15, v14
	v_lshlrev_b32_e32 v11, v16, v11
	v_sub_u32_e32 v15, 29, v15
	v_and_b32_e32 v11, 7, v11
	v_cmp_eq_u16_e32 vcc, 0, v14
	v_cndmask_b32_e32 v11, v12, v11, vcc
	v_cndmask_b32_e32 v12, v14, v15, vcc
	v_lshlrev_b32_e32 v14, 16, v13
	v_mov_b32_e32 v15, 0x3b800000
	v_lshlrev_b32_e32 v11, 20, v11
	v_and_b32_e32 v14, 0x80000000, v14
	v_lshl_add_u32 v12, v12, 23, v15
	v_or3_b32 v12, v14, v12, v11
.LBB54_1648:
	s_or_b64 exec, exec, s[6:7]
	s_nop 0
	v_mfma_f32_16x16x4f32 a[0:3], v10, v12, a[0:3]
	s_movk_i32 s4, 0xff
	v_and_b32_sdwa v11, v17, s4 dst_sel:DWORD dst_unused:UNUSED_PAD src0_sel:WORD_1 src1_sel:DWORD
	s_movk_i32 s4, 0x7f
	v_cmp_lt_i16_e32 vcc, s4, v11
	s_mov_b64 s[4:5], 0
                                        ; implicit-def: $sgpr10
	s_and_saveexec_b64 s[6:7], vcc
	s_xor_b64 s[6:7], exec, s[6:7]
	s_cbranch_execnz .LBB54_3697
; %bb.1649:
	s_or_saveexec_b64 s[6:7], s[6:7]
	v_mov_b32_e32 v10, s10
	s_xor_b64 exec, exec, s[6:7]
	s_cbranch_execnz .LBB54_3700
.LBB54_1650:
	s_or_b64 exec, exec, s[6:7]
	s_and_saveexec_b64 s[6:7], s[4:5]
	s_cbranch_execz .LBB54_1652
.LBB54_1651:
	v_bfe_u32 v10, v17, 16, 3
	v_ffbh_u32_e32 v14, v10
	v_min_u32_e32 v14, 32, v14
	v_lshrrev_b32_e32 v11, 19, v17
	v_subrev_u32_e32 v15, 28, v14
	v_and_b32_e32 v11, 15, v11
	v_lshlrev_b32_sdwa v15, v15, v17 dst_sel:DWORD dst_unused:UNUSED_PAD src0_sel:DWORD src1_sel:WORD_1
	v_bfe_u32 v12, v17, 19, 4
	v_sub_u32_e32 v14, 29, v14
	v_and_b32_e32 v15, 7, v15
	v_cmp_eq_u16_e32 vcc, 0, v11
	v_cndmask_b32_e32 v10, v10, v15, vcc
	v_cndmask_b32_e32 v11, v12, v14, vcc
	v_lshlrev_b32_e32 v12, 8, v17
	v_mov_b32_e32 v14, 0x3b800000
	v_lshlrev_b32_e32 v10, 20, v10
	v_and_b32_e32 v12, 0x80000000, v12
	v_lshl_add_u32 v11, v11, 23, v14
	v_or3_b32 v10, v12, v11, v10
.LBB54_1652:
	s_or_b64 exec, exec, s[6:7]
	s_movk_i32 s4, 0xff
	v_and_b32_sdwa v11, v13, s4 dst_sel:DWORD dst_unused:UNUSED_PAD src0_sel:WORD_1 src1_sel:DWORD
	s_movk_i32 s4, 0x7f
	v_cmp_lt_i16_e32 vcc, s4, v11
	s_mov_b64 s[4:5], 0
                                        ; implicit-def: $sgpr10
	s_and_saveexec_b64 s[6:7], vcc
	s_xor_b64 s[6:7], exec, s[6:7]
	s_cbranch_execnz .LBB54_3701
; %bb.1653:
	s_or_saveexec_b64 s[6:7], s[6:7]
	v_mov_b32_e32 v12, s10
	s_xor_b64 exec, exec, s[6:7]
	s_cbranch_execnz .LBB54_3704
.LBB54_1654:
	s_or_b64 exec, exec, s[6:7]
	s_and_saveexec_b64 s[6:7], s[4:5]
	s_cbranch_execz .LBB54_1656
.LBB54_1655:
	v_bfe_u32 v11, v13, 16, 3
	v_ffbh_u32_e32 v15, v11
	v_min_u32_e32 v15, 32, v15
	v_lshrrev_b32_e32 v12, 19, v13
	v_subrev_u32_e32 v16, 28, v15
	v_and_b32_e32 v12, 15, v12
	v_lshlrev_b32_sdwa v16, v16, v13 dst_sel:DWORD dst_unused:UNUSED_PAD src0_sel:DWORD src1_sel:WORD_1
	v_bfe_u32 v14, v13, 19, 4
	v_sub_u32_e32 v15, 29, v15
	v_and_b32_e32 v16, 7, v16
	v_cmp_eq_u16_e32 vcc, 0, v12
	v_cndmask_b32_e32 v11, v11, v16, vcc
	v_cndmask_b32_e32 v12, v14, v15, vcc
	v_lshlrev_b32_e32 v14, 8, v13
	v_mov_b32_e32 v15, 0x3b800000
	v_lshlrev_b32_e32 v11, 20, v11
	v_and_b32_e32 v14, 0x80000000, v14
	v_lshl_add_u32 v12, v12, 23, v15
	v_or3_b32 v12, v14, v12, v11
.LBB54_1656:
	s_or_b64 exec, exec, s[6:7]
	s_nop 0
	v_mfma_f32_16x16x4f32 a[0:3], v10, v12, a[0:3]
	s_movk_i32 s4, 0x7f
	v_cmp_gt_i16_sdwa s[6:7], v17, s4 src0_sel:BYTE_3 src1_sel:DWORD
	s_mov_b64 s[4:5], 0
                                        ; implicit-def: $sgpr10
	s_and_saveexec_b64 s[8:9], s[6:7]
	s_xor_b64 s[6:7], exec, s[8:9]
	s_cbranch_execnz .LBB54_3705
; %bb.1657:
	s_or_saveexec_b64 s[6:7], s[6:7]
	v_mov_b32_e32 v10, s10
	s_xor_b64 exec, exec, s[6:7]
	s_cbranch_execnz .LBB54_3708
.LBB54_1658:
	s_or_b64 exec, exec, s[6:7]
	s_and_saveexec_b64 s[6:7], s[4:5]
	s_cbranch_execz .LBB54_1660
.LBB54_1659:
	v_bfe_u32 v10, v17, 24, 3
	v_ffbh_u32_e32 v15, v10
	v_min_u32_e32 v15, 32, v15
	v_lshrrev_b32_e32 v12, 27, v17
	v_subrev_u32_e32 v16, 28, v15
	v_and_b32_e32 v12, 15, v12
	v_lshlrev_b32_sdwa v16, v16, v17 dst_sel:DWORD dst_unused:UNUSED_PAD src0_sel:DWORD src1_sel:BYTE_3
	v_bfe_u32 v14, v17, 27, 4
	v_sub_u32_e32 v15, 29, v15
	v_and_b32_e32 v16, 7, v16
	v_cmp_eq_u16_e32 vcc, 0, v12
	v_cndmask_b32_e32 v10, v10, v16, vcc
	v_cndmask_b32_e32 v12, v14, v15, vcc
	v_mov_b32_e32 v14, 0x3b800000
	v_and_b32_e32 v11, 0x80000000, v17
	v_lshlrev_b32_e32 v10, 20, v10
	v_lshl_add_u32 v12, v12, 23, v14
	v_or3_b32 v10, v11, v12, v10
.LBB54_1660:
	s_or_b64 exec, exec, s[6:7]
	s_movk_i32 s4, 0x7f
	v_cmp_gt_i16_sdwa s[6:7], v13, s4 src0_sel:BYTE_3 src1_sel:DWORD
	s_mov_b64 s[4:5], 0
                                        ; implicit-def: $sgpr10
	s_and_saveexec_b64 s[8:9], s[6:7]
	s_xor_b64 s[6:7], exec, s[8:9]
	s_cbranch_execnz .LBB54_3709
; %bb.1661:
	s_or_saveexec_b64 s[6:7], s[6:7]
	v_mov_b32_e32 v11, s10
	s_xor_b64 exec, exec, s[6:7]
	s_cbranch_execnz .LBB54_3712
.LBB54_1662:
	s_or_b64 exec, exec, s[6:7]
	s_and_saveexec_b64 s[6:7], s[4:5]
	s_cbranch_execz .LBB54_1664
.LBB54_1663:
	v_bfe_u32 v11, v13, 24, 3
	v_ffbh_u32_e32 v16, v11
	v_min_u32_e32 v16, 32, v16
	v_lshrrev_b32_e32 v14, 27, v13
	v_subrev_u32_e32 v17, 28, v16
	v_and_b32_e32 v12, 0x80000000, v13
	v_and_b32_e32 v14, 15, v14
	v_bfe_u32 v15, v13, 27, 4
	v_lshlrev_b32_sdwa v13, v17, v13 dst_sel:DWORD dst_unused:UNUSED_PAD src0_sel:DWORD src1_sel:BYTE_3
	v_sub_u32_e32 v16, 29, v16
	v_and_b32_e32 v13, 7, v13
	v_cmp_eq_u16_e32 vcc, 0, v14
	v_cndmask_b32_e32 v11, v11, v13, vcc
	v_cndmask_b32_e32 v13, v15, v16, vcc
	v_mov_b32_e32 v14, 0x3b800000
	v_lshlrev_b32_e32 v11, 20, v11
	v_lshl_add_u32 v13, v13, 23, v14
	v_or3_b32 v11, v12, v13, v11
.LBB54_1664:
	s_or_b64 exec, exec, s[6:7]
	s_nop 0
	v_mfma_f32_16x16x4f32 a[0:3], v10, v11, a[0:3]
	s_movk_i32 s4, 0x7f
	v_cmp_gt_i16_sdwa s[6:7], v6, s4 src0_sel:BYTE_0 src1_sel:DWORD
	s_mov_b64 s[4:5], 0
                                        ; implicit-def: $sgpr10
	s_and_saveexec_b64 s[8:9], s[6:7]
	s_xor_b64 s[6:7], exec, s[8:9]
	s_cbranch_execnz .LBB54_3713
; %bb.1665:
	s_or_saveexec_b64 s[6:7], s[6:7]
	v_mov_b32_e32 v10, s10
	s_xor_b64 exec, exec, s[6:7]
	s_cbranch_execnz .LBB54_3716
.LBB54_1666:
	s_or_b64 exec, exec, s[6:7]
	s_and_saveexec_b64 s[6:7], s[4:5]
	s_cbranch_execz .LBB54_1668
.LBB54_1667:
	v_and_b32_e32 v10, 7, v6
	v_ffbh_u32_e32 v12, v10
	v_min_u32_e32 v12, 32, v12
	v_lshrrev_b16_e32 v11, 3, v6
	v_subrev_u32_e32 v13, 28, v12
	v_and_b32_e32 v11, 15, v11
	v_lshlrev_b32_e32 v13, v13, v6
	v_sub_u32_e32 v12, 29, v12
	v_and_b32_e32 v13, 7, v13
	v_cmp_eq_u16_e32 vcc, 0, v11
	v_cndmask_b32_e32 v10, v10, v13, vcc
	v_cndmask_b32_e32 v11, v11, v12, vcc
	v_lshlrev_b32_e32 v12, 24, v6
	v_mov_b32_e32 v13, 0x3b800000
	v_lshlrev_b32_e32 v10, 20, v10
	v_and_b32_e32 v12, 0x80000000, v12
	v_lshl_add_u32 v11, v11, 23, v13
	v_or3_b32 v10, v12, v11, v10
.LBB54_1668:
	s_or_b64 exec, exec, s[6:7]
	s_movk_i32 s4, 0x7f
	v_cmp_gt_i16_sdwa s[6:7], v2, s4 src0_sel:BYTE_0 src1_sel:DWORD
	s_mov_b64 s[4:5], 0
                                        ; implicit-def: $sgpr10
	s_and_saveexec_b64 s[8:9], s[6:7]
	s_xor_b64 s[6:7], exec, s[8:9]
	s_cbranch_execnz .LBB54_3717
; %bb.1669:
	s_or_saveexec_b64 s[6:7], s[6:7]
	v_mov_b32_e32 v11, s10
	s_xor_b64 exec, exec, s[6:7]
	s_cbranch_execnz .LBB54_3720
.LBB54_1670:
	s_or_b64 exec, exec, s[6:7]
	s_and_saveexec_b64 s[6:7], s[4:5]
	s_cbranch_execz .LBB54_1672
.LBB54_1671:
	v_and_b32_e32 v11, 7, v2
	v_ffbh_u32_e32 v13, v11
	v_min_u32_e32 v13, 32, v13
	v_lshrrev_b16_e32 v12, 3, v2
	v_subrev_u32_e32 v14, 28, v13
	v_and_b32_e32 v12, 15, v12
	v_lshlrev_b32_e32 v14, v14, v2
	v_sub_u32_e32 v13, 29, v13
	v_and_b32_e32 v14, 7, v14
	v_cmp_eq_u16_e32 vcc, 0, v12
	v_cndmask_b32_e32 v11, v11, v14, vcc
	v_cndmask_b32_e32 v12, v12, v13, vcc
	v_lshlrev_b32_e32 v13, 24, v2
	v_mov_b32_e32 v14, 0x3b800000
	v_lshlrev_b32_e32 v11, 20, v11
	v_and_b32_e32 v13, 0x80000000, v13
	v_lshl_add_u32 v12, v12, 23, v14
	v_or3_b32 v11, v13, v12, v11
.LBB54_1672:
	s_or_b64 exec, exec, s[6:7]
	s_nop 0
	v_mfma_f32_16x16x4f32 a[0:3], v10, v11, a[0:3]
	v_lshrrev_b32_e32 v11, 8, v6
	s_movk_i32 s4, 0x7f
	v_cmp_gt_i16_sdwa s[6:7], v11, s4 src0_sel:BYTE_0 src1_sel:DWORD
	s_mov_b64 s[4:5], 0
                                        ; implicit-def: $sgpr10
	s_and_saveexec_b64 s[8:9], s[6:7]
	s_xor_b64 s[6:7], exec, s[8:9]
	s_cbranch_execnz .LBB54_3721
; %bb.1673:
	s_or_saveexec_b64 s[6:7], s[6:7]
	v_mov_b32_e32 v10, s10
	s_xor_b64 exec, exec, s[6:7]
	s_cbranch_execnz .LBB54_3724
.LBB54_1674:
	s_or_b64 exec, exec, s[6:7]
	s_and_saveexec_b64 s[6:7], s[4:5]
	s_cbranch_execz .LBB54_1676
.LBB54_1675:
	v_bfe_u32 v10, v6, 8, 3
	v_ffbh_u32_e32 v13, v10
	v_min_u32_e32 v13, 32, v13
	v_lshrrev_b16_e32 v12, 3, v11
	v_subrev_u32_e32 v14, 28, v13
	v_and_b32_e32 v12, 15, v12
	v_lshlrev_b32_e32 v11, v14, v11
	v_sub_u32_e32 v13, 29, v13
	v_and_b32_e32 v11, 7, v11
	v_cmp_eq_u16_e32 vcc, 0, v12
	v_cndmask_b32_e32 v10, v10, v11, vcc
	v_cndmask_b32_e32 v11, v12, v13, vcc
	v_lshlrev_b32_e32 v12, 16, v6
	v_mov_b32_e32 v13, 0x3b800000
	v_lshlrev_b32_e32 v10, 20, v10
	v_and_b32_e32 v12, 0x80000000, v12
	v_lshl_add_u32 v11, v11, 23, v13
	v_or3_b32 v10, v12, v11, v10
.LBB54_1676:
	s_or_b64 exec, exec, s[6:7]
	v_lshrrev_b32_e32 v11, 8, v2
	s_movk_i32 s4, 0x7f
	v_cmp_gt_i16_sdwa s[6:7], v11, s4 src0_sel:BYTE_0 src1_sel:DWORD
	s_mov_b64 s[4:5], 0
                                        ; implicit-def: $sgpr10
	s_and_saveexec_b64 s[8:9], s[6:7]
	s_xor_b64 s[6:7], exec, s[8:9]
	s_cbranch_execnz .LBB54_3725
; %bb.1677:
	s_or_saveexec_b64 s[6:7], s[6:7]
	v_mov_b32_e32 v12, s10
	s_xor_b64 exec, exec, s[6:7]
	s_cbranch_execnz .LBB54_3728
.LBB54_1678:
	s_or_b64 exec, exec, s[6:7]
	s_and_saveexec_b64 s[6:7], s[4:5]
	s_cbranch_execz .LBB54_1680
.LBB54_1679:
	v_bfe_u32 v12, v2, 8, 3
	v_ffbh_u32_e32 v14, v12
	v_min_u32_e32 v14, 32, v14
	v_lshrrev_b16_e32 v13, 3, v11
	v_subrev_u32_e32 v15, 28, v14
	v_and_b32_e32 v13, 15, v13
	v_lshlrev_b32_e32 v11, v15, v11
	v_sub_u32_e32 v14, 29, v14
	v_and_b32_e32 v11, 7, v11
	v_cmp_eq_u16_e32 vcc, 0, v13
	v_cndmask_b32_e32 v11, v12, v11, vcc
	v_cndmask_b32_e32 v12, v13, v14, vcc
	v_lshlrev_b32_e32 v13, 16, v2
	v_mov_b32_e32 v14, 0x3b800000
	v_lshlrev_b32_e32 v11, 20, v11
	v_and_b32_e32 v13, 0x80000000, v13
	v_lshl_add_u32 v12, v12, 23, v14
	v_or3_b32 v12, v13, v12, v11
.LBB54_1680:
	s_or_b64 exec, exec, s[6:7]
	s_nop 0
	v_mfma_f32_16x16x4f32 a[0:3], v10, v12, a[0:3]
	s_movk_i32 s4, 0xff
	v_and_b32_sdwa v11, v6, s4 dst_sel:DWORD dst_unused:UNUSED_PAD src0_sel:WORD_1 src1_sel:DWORD
	s_movk_i32 s4, 0x7f
	v_cmp_lt_i16_e32 vcc, s4, v11
	s_mov_b64 s[4:5], 0
                                        ; implicit-def: $sgpr10
	s_and_saveexec_b64 s[6:7], vcc
	s_xor_b64 s[6:7], exec, s[6:7]
	s_cbranch_execnz .LBB54_3729
; %bb.1681:
	s_or_saveexec_b64 s[6:7], s[6:7]
	v_mov_b32_e32 v10, s10
	s_xor_b64 exec, exec, s[6:7]
	s_cbranch_execnz .LBB54_3732
.LBB54_1682:
	s_or_b64 exec, exec, s[6:7]
	s_and_saveexec_b64 s[6:7], s[4:5]
	s_cbranch_execz .LBB54_1684
.LBB54_1683:
	v_bfe_u32 v10, v6, 16, 3
	v_ffbh_u32_e32 v13, v10
	v_min_u32_e32 v13, 32, v13
	v_lshrrev_b32_e32 v11, 19, v6
	v_subrev_u32_e32 v14, 28, v13
	v_and_b32_e32 v11, 15, v11
	v_lshlrev_b32_sdwa v14, v14, v6 dst_sel:DWORD dst_unused:UNUSED_PAD src0_sel:DWORD src1_sel:WORD_1
	v_bfe_u32 v12, v6, 19, 4
	v_sub_u32_e32 v13, 29, v13
	v_and_b32_e32 v14, 7, v14
	v_cmp_eq_u16_e32 vcc, 0, v11
	v_cndmask_b32_e32 v10, v10, v14, vcc
	v_cndmask_b32_e32 v11, v12, v13, vcc
	v_lshlrev_b32_e32 v12, 8, v6
	v_mov_b32_e32 v13, 0x3b800000
	v_lshlrev_b32_e32 v10, 20, v10
	v_and_b32_e32 v12, 0x80000000, v12
	v_lshl_add_u32 v11, v11, 23, v13
	v_or3_b32 v10, v12, v11, v10
.LBB54_1684:
	s_or_b64 exec, exec, s[6:7]
	s_movk_i32 s4, 0xff
	v_and_b32_sdwa v11, v2, s4 dst_sel:DWORD dst_unused:UNUSED_PAD src0_sel:WORD_1 src1_sel:DWORD
	s_movk_i32 s4, 0x7f
	v_cmp_lt_i16_e32 vcc, s4, v11
	s_mov_b64 s[4:5], 0
                                        ; implicit-def: $sgpr10
	s_and_saveexec_b64 s[6:7], vcc
	s_xor_b64 s[6:7], exec, s[6:7]
	s_cbranch_execnz .LBB54_3733
; %bb.1685:
	s_or_saveexec_b64 s[6:7], s[6:7]
	v_mov_b32_e32 v12, s10
	s_xor_b64 exec, exec, s[6:7]
	s_cbranch_execnz .LBB54_3736
.LBB54_1686:
	s_or_b64 exec, exec, s[6:7]
	s_and_saveexec_b64 s[6:7], s[4:5]
	s_cbranch_execz .LBB54_1688
.LBB54_1687:
	v_bfe_u32 v11, v2, 16, 3
	v_ffbh_u32_e32 v14, v11
	v_min_u32_e32 v14, 32, v14
	v_lshrrev_b32_e32 v12, 19, v2
	v_subrev_u32_e32 v15, 28, v14
	v_and_b32_e32 v12, 15, v12
	v_lshlrev_b32_sdwa v15, v15, v2 dst_sel:DWORD dst_unused:UNUSED_PAD src0_sel:DWORD src1_sel:WORD_1
	v_bfe_u32 v13, v2, 19, 4
	v_sub_u32_e32 v14, 29, v14
	v_and_b32_e32 v15, 7, v15
	v_cmp_eq_u16_e32 vcc, 0, v12
	v_cndmask_b32_e32 v11, v11, v15, vcc
	v_cndmask_b32_e32 v12, v13, v14, vcc
	v_lshlrev_b32_e32 v13, 8, v2
	v_mov_b32_e32 v14, 0x3b800000
	v_lshlrev_b32_e32 v11, 20, v11
	v_and_b32_e32 v13, 0x80000000, v13
	v_lshl_add_u32 v12, v12, 23, v14
	v_or3_b32 v12, v13, v12, v11
.LBB54_1688:
	s_or_b64 exec, exec, s[6:7]
	s_nop 0
	v_mfma_f32_16x16x4f32 a[0:3], v10, v12, a[0:3]
	s_movk_i32 s4, 0x7f
	v_cmp_gt_i16_sdwa s[6:7], v6, s4 src0_sel:BYTE_3 src1_sel:DWORD
	s_mov_b64 s[4:5], 0
                                        ; implicit-def: $sgpr10
	s_and_saveexec_b64 s[8:9], s[6:7]
	s_xor_b64 s[6:7], exec, s[8:9]
	s_cbranch_execnz .LBB54_3737
; %bb.1689:
	s_or_saveexec_b64 s[6:7], s[6:7]
	v_mov_b32_e32 v10, s10
	s_xor_b64 exec, exec, s[6:7]
	s_cbranch_execnz .LBB54_3740
.LBB54_1690:
	s_or_b64 exec, exec, s[6:7]
	s_and_saveexec_b64 s[6:7], s[4:5]
	s_cbranch_execz .LBB54_1692
.LBB54_1691:
	v_bfe_u32 v10, v6, 24, 3
	v_ffbh_u32_e32 v14, v10
	v_min_u32_e32 v14, 32, v14
	v_lshrrev_b32_e32 v12, 27, v6
	v_subrev_u32_e32 v15, 28, v14
	v_and_b32_e32 v11, 0x80000000, v6
	v_and_b32_e32 v12, 15, v12
	v_bfe_u32 v13, v6, 27, 4
	v_lshlrev_b32_sdwa v6, v15, v6 dst_sel:DWORD dst_unused:UNUSED_PAD src0_sel:DWORD src1_sel:BYTE_3
	v_sub_u32_e32 v14, 29, v14
	v_and_b32_e32 v6, 7, v6
	v_cmp_eq_u16_e32 vcc, 0, v12
	v_cndmask_b32_e32 v6, v10, v6, vcc
	v_cndmask_b32_e32 v10, v13, v14, vcc
	v_mov_b32_e32 v12, 0x3b800000
	v_lshlrev_b32_e32 v6, 20, v6
	v_lshl_add_u32 v10, v10, 23, v12
	v_or3_b32 v10, v11, v10, v6
.LBB54_1692:
	s_or_b64 exec, exec, s[6:7]
	s_movk_i32 s4, 0x7f
	v_cmp_gt_i16_sdwa s[6:7], v2, s4 src0_sel:BYTE_3 src1_sel:DWORD
	s_mov_b64 s[4:5], 0
                                        ; implicit-def: $sgpr10
	s_and_saveexec_b64 s[8:9], s[6:7]
	s_xor_b64 s[6:7], exec, s[8:9]
	s_cbranch_execnz .LBB54_3741
; %bb.1693:
	s_or_saveexec_b64 s[6:7], s[6:7]
	v_mov_b32_e32 v6, s10
	s_xor_b64 exec, exec, s[6:7]
	s_cbranch_execnz .LBB54_3744
.LBB54_1694:
	s_or_b64 exec, exec, s[6:7]
	s_and_saveexec_b64 s[6:7], s[4:5]
	s_cbranch_execz .LBB54_1696
.LBB54_1695:
	v_bfe_u32 v6, v2, 24, 3
	v_ffbh_u32_e32 v14, v6
	v_min_u32_e32 v14, 32, v14
	v_lshrrev_b32_e32 v12, 27, v2
	v_subrev_u32_e32 v15, 28, v14
	v_and_b32_e32 v11, 0x80000000, v2
	v_and_b32_e32 v12, 15, v12
	v_bfe_u32 v13, v2, 27, 4
	v_lshlrev_b32_sdwa v2, v15, v2 dst_sel:DWORD dst_unused:UNUSED_PAD src0_sel:DWORD src1_sel:BYTE_3
	v_sub_u32_e32 v14, 29, v14
	v_and_b32_e32 v2, 7, v2
	v_cmp_eq_u16_e32 vcc, 0, v12
	v_cndmask_b32_e32 v2, v6, v2, vcc
	v_cndmask_b32_e32 v6, v13, v14, vcc
	v_mov_b32_e32 v12, 0x3b800000
	v_lshlrev_b32_e32 v2, 20, v2
	v_lshl_add_u32 v6, v6, 23, v12
	v_or3_b32 v6, v11, v6, v2
.LBB54_1696:
	s_or_b64 exec, exec, s[6:7]
	s_nop 0
	v_mfma_f32_16x16x4f32 a[0:3], v10, v6, a[0:3]
	s_movk_i32 s4, 0x7f
	v_cmp_gt_i16_sdwa s[6:7], v7, s4 src0_sel:BYTE_0 src1_sel:DWORD
	s_mov_b64 s[4:5], 0
                                        ; implicit-def: $sgpr10
	s_and_saveexec_b64 s[8:9], s[6:7]
	s_xor_b64 s[6:7], exec, s[8:9]
	s_cbranch_execnz .LBB54_3745
; %bb.1697:
	s_or_saveexec_b64 s[6:7], s[6:7]
	v_mov_b32_e32 v2, s10
	s_xor_b64 exec, exec, s[6:7]
	s_cbranch_execnz .LBB54_3748
.LBB54_1698:
	s_or_b64 exec, exec, s[6:7]
	s_and_saveexec_b64 s[6:7], s[4:5]
	s_cbranch_execz .LBB54_1700
.LBB54_1699:
	v_and_b32_e32 v2, 7, v7
	v_ffbh_u32_e32 v10, v2
	v_min_u32_e32 v10, 32, v10
	v_lshrrev_b16_e32 v6, 3, v7
	v_subrev_u32_e32 v11, 28, v10
	v_and_b32_e32 v6, 15, v6
	v_lshlrev_b32_e32 v11, v11, v7
	v_sub_u32_e32 v10, 29, v10
	v_and_b32_e32 v11, 7, v11
	v_cmp_eq_u16_e32 vcc, 0, v6
	v_cndmask_b32_e32 v2, v2, v11, vcc
	v_cndmask_b32_e32 v6, v6, v10, vcc
	v_lshlrev_b32_e32 v10, 24, v7
	v_mov_b32_e32 v11, 0x3b800000
	v_lshlrev_b32_e32 v2, 20, v2
	v_and_b32_e32 v10, 0x80000000, v10
	v_lshl_add_u32 v6, v6, 23, v11
	v_or3_b32 v2, v10, v6, v2
.LBB54_1700:
	s_or_b64 exec, exec, s[6:7]
	s_movk_i32 s4, 0x7f
	v_cmp_gt_i16_sdwa s[6:7], v3, s4 src0_sel:BYTE_0 src1_sel:DWORD
	s_mov_b64 s[4:5], 0
                                        ; implicit-def: $sgpr10
	s_and_saveexec_b64 s[8:9], s[6:7]
	s_xor_b64 s[6:7], exec, s[8:9]
	s_cbranch_execnz .LBB54_3749
; %bb.1701:
	s_or_saveexec_b64 s[6:7], s[6:7]
	v_mov_b32_e32 v6, s10
	s_xor_b64 exec, exec, s[6:7]
	s_cbranch_execnz .LBB54_3752
.LBB54_1702:
	s_or_b64 exec, exec, s[6:7]
	s_and_saveexec_b64 s[6:7], s[4:5]
	s_cbranch_execz .LBB54_1704
.LBB54_1703:
	v_and_b32_e32 v6, 7, v3
	v_ffbh_u32_e32 v11, v6
	v_min_u32_e32 v11, 32, v11
	v_lshrrev_b16_e32 v10, 3, v3
	v_subrev_u32_e32 v12, 28, v11
	v_and_b32_e32 v10, 15, v10
	v_lshlrev_b32_e32 v12, v12, v3
	v_sub_u32_e32 v11, 29, v11
	v_and_b32_e32 v12, 7, v12
	v_cmp_eq_u16_e32 vcc, 0, v10
	v_cndmask_b32_e32 v6, v6, v12, vcc
	v_cndmask_b32_e32 v10, v10, v11, vcc
	v_lshlrev_b32_e32 v11, 24, v3
	v_mov_b32_e32 v12, 0x3b800000
	v_lshlrev_b32_e32 v6, 20, v6
	v_and_b32_e32 v11, 0x80000000, v11
	v_lshl_add_u32 v10, v10, 23, v12
	v_or3_b32 v6, v11, v10, v6
.LBB54_1704:
	s_or_b64 exec, exec, s[6:7]
	s_nop 0
	v_mfma_f32_16x16x4f32 a[0:3], v2, v6, a[0:3]
	v_lshrrev_b32_e32 v6, 8, v7
	s_movk_i32 s4, 0x7f
	v_cmp_gt_i16_sdwa s[6:7], v6, s4 src0_sel:BYTE_0 src1_sel:DWORD
	s_mov_b64 s[4:5], 0
                                        ; implicit-def: $sgpr10
	s_and_saveexec_b64 s[8:9], s[6:7]
	s_xor_b64 s[6:7], exec, s[8:9]
	s_cbranch_execnz .LBB54_3753
; %bb.1705:
	s_or_saveexec_b64 s[6:7], s[6:7]
	v_mov_b32_e32 v2, s10
	s_xor_b64 exec, exec, s[6:7]
	s_cbranch_execnz .LBB54_3756
.LBB54_1706:
	s_or_b64 exec, exec, s[6:7]
	s_and_saveexec_b64 s[6:7], s[4:5]
	s_cbranch_execz .LBB54_1708
.LBB54_1707:
	v_bfe_u32 v2, v7, 8, 3
	v_ffbh_u32_e32 v11, v2
	v_min_u32_e32 v11, 32, v11
	v_lshrrev_b16_e32 v10, 3, v6
	v_subrev_u32_e32 v12, 28, v11
	v_and_b32_e32 v10, 15, v10
	v_lshlrev_b32_e32 v6, v12, v6
	v_sub_u32_e32 v11, 29, v11
	v_and_b32_e32 v6, 7, v6
	v_cmp_eq_u16_e32 vcc, 0, v10
	v_cndmask_b32_e32 v2, v2, v6, vcc
	v_cndmask_b32_e32 v6, v10, v11, vcc
	v_lshlrev_b32_e32 v10, 16, v7
	v_mov_b32_e32 v11, 0x3b800000
	v_lshlrev_b32_e32 v2, 20, v2
	v_and_b32_e32 v10, 0x80000000, v10
	v_lshl_add_u32 v6, v6, 23, v11
	v_or3_b32 v2, v10, v6, v2
.LBB54_1708:
	s_or_b64 exec, exec, s[6:7]
	v_lshrrev_b32_e32 v6, 8, v3
	s_movk_i32 s4, 0x7f
	v_cmp_gt_i16_sdwa s[6:7], v6, s4 src0_sel:BYTE_0 src1_sel:DWORD
	s_mov_b64 s[4:5], 0
                                        ; implicit-def: $sgpr10
	s_and_saveexec_b64 s[8:9], s[6:7]
	s_xor_b64 s[6:7], exec, s[8:9]
	s_cbranch_execnz .LBB54_3757
; %bb.1709:
	s_or_saveexec_b64 s[6:7], s[6:7]
	v_mov_b32_e32 v10, s10
	s_xor_b64 exec, exec, s[6:7]
	s_cbranch_execnz .LBB54_3760
.LBB54_1710:
	s_or_b64 exec, exec, s[6:7]
	s_and_saveexec_b64 s[6:7], s[4:5]
	s_cbranch_execz .LBB54_1712
.LBB54_1711:
	v_bfe_u32 v10, v3, 8, 3
	v_ffbh_u32_e32 v12, v10
	v_min_u32_e32 v12, 32, v12
	v_lshrrev_b16_e32 v11, 3, v6
	v_subrev_u32_e32 v13, 28, v12
	v_and_b32_e32 v11, 15, v11
	v_lshlrev_b32_e32 v6, v13, v6
	v_sub_u32_e32 v12, 29, v12
	v_and_b32_e32 v6, 7, v6
	v_cmp_eq_u16_e32 vcc, 0, v11
	v_cndmask_b32_e32 v6, v10, v6, vcc
	v_cndmask_b32_e32 v10, v11, v12, vcc
	v_lshlrev_b32_e32 v11, 16, v3
	v_mov_b32_e32 v12, 0x3b800000
	v_lshlrev_b32_e32 v6, 20, v6
	v_and_b32_e32 v11, 0x80000000, v11
	v_lshl_add_u32 v10, v10, 23, v12
	v_or3_b32 v10, v11, v10, v6
.LBB54_1712:
	s_or_b64 exec, exec, s[6:7]
	s_nop 0
	v_mfma_f32_16x16x4f32 a[0:3], v2, v10, a[0:3]
	s_movk_i32 s4, 0xff
	v_and_b32_sdwa v6, v7, s4 dst_sel:DWORD dst_unused:UNUSED_PAD src0_sel:WORD_1 src1_sel:DWORD
	s_movk_i32 s4, 0x7f
	v_cmp_lt_i16_e32 vcc, s4, v6
	s_mov_b64 s[4:5], 0
                                        ; implicit-def: $sgpr10
	s_and_saveexec_b64 s[6:7], vcc
	s_xor_b64 s[6:7], exec, s[6:7]
	s_cbranch_execnz .LBB54_3761
; %bb.1713:
	s_or_saveexec_b64 s[6:7], s[6:7]
	v_mov_b32_e32 v2, s10
	s_xor_b64 exec, exec, s[6:7]
	s_cbranch_execnz .LBB54_3764
.LBB54_1714:
	s_or_b64 exec, exec, s[6:7]
	s_and_saveexec_b64 s[6:7], s[4:5]
	s_cbranch_execz .LBB54_1716
.LBB54_1715:
	v_bfe_u32 v2, v7, 16, 3
	v_ffbh_u32_e32 v11, v2
	v_min_u32_e32 v11, 32, v11
	v_lshrrev_b32_e32 v6, 19, v7
	v_subrev_u32_e32 v12, 28, v11
	v_and_b32_e32 v6, 15, v6
	v_lshlrev_b32_sdwa v12, v12, v7 dst_sel:DWORD dst_unused:UNUSED_PAD src0_sel:DWORD src1_sel:WORD_1
	v_bfe_u32 v10, v7, 19, 4
	v_sub_u32_e32 v11, 29, v11
	v_and_b32_e32 v12, 7, v12
	v_cmp_eq_u16_e32 vcc, 0, v6
	v_cndmask_b32_e32 v2, v2, v12, vcc
	v_cndmask_b32_e32 v6, v10, v11, vcc
	v_lshlrev_b32_e32 v10, 8, v7
	v_mov_b32_e32 v11, 0x3b800000
	v_lshlrev_b32_e32 v2, 20, v2
	v_and_b32_e32 v10, 0x80000000, v10
	v_lshl_add_u32 v6, v6, 23, v11
	v_or3_b32 v2, v10, v6, v2
.LBB54_1716:
	s_or_b64 exec, exec, s[6:7]
	s_movk_i32 s4, 0xff
	v_and_b32_sdwa v6, v3, s4 dst_sel:DWORD dst_unused:UNUSED_PAD src0_sel:WORD_1 src1_sel:DWORD
	s_movk_i32 s4, 0x7f
	v_cmp_lt_i16_e32 vcc, s4, v6
	s_mov_b64 s[4:5], 0
                                        ; implicit-def: $sgpr10
	s_and_saveexec_b64 s[6:7], vcc
	s_xor_b64 s[6:7], exec, s[6:7]
	s_cbranch_execnz .LBB54_3765
; %bb.1717:
	s_or_saveexec_b64 s[6:7], s[6:7]
	v_mov_b32_e32 v10, s10
	s_xor_b64 exec, exec, s[6:7]
	s_cbranch_execnz .LBB54_3768
.LBB54_1718:
	s_or_b64 exec, exec, s[6:7]
	s_and_saveexec_b64 s[6:7], s[4:5]
	s_cbranch_execz .LBB54_1720
.LBB54_1719:
	v_bfe_u32 v6, v3, 16, 3
	v_ffbh_u32_e32 v12, v6
	v_min_u32_e32 v12, 32, v12
	v_lshrrev_b32_e32 v10, 19, v3
	v_subrev_u32_e32 v13, 28, v12
	v_and_b32_e32 v10, 15, v10
	v_lshlrev_b32_sdwa v13, v13, v3 dst_sel:DWORD dst_unused:UNUSED_PAD src0_sel:DWORD src1_sel:WORD_1
	v_bfe_u32 v11, v3, 19, 4
	v_sub_u32_e32 v12, 29, v12
	v_and_b32_e32 v13, 7, v13
	v_cmp_eq_u16_e32 vcc, 0, v10
	v_cndmask_b32_e32 v6, v6, v13, vcc
	v_cndmask_b32_e32 v10, v11, v12, vcc
	v_lshlrev_b32_e32 v11, 8, v3
	v_mov_b32_e32 v12, 0x3b800000
	v_lshlrev_b32_e32 v6, 20, v6
	v_and_b32_e32 v11, 0x80000000, v11
	v_lshl_add_u32 v10, v10, 23, v12
	v_or3_b32 v10, v11, v10, v6
.LBB54_1720:
	s_or_b64 exec, exec, s[6:7]
	s_nop 0
	v_mfma_f32_16x16x4f32 a[0:3], v2, v10, a[0:3]
	s_movk_i32 s4, 0x7f
	v_cmp_gt_i16_sdwa s[6:7], v7, s4 src0_sel:BYTE_3 src1_sel:DWORD
	s_mov_b64 s[4:5], 0
                                        ; implicit-def: $sgpr10
	s_and_saveexec_b64 s[8:9], s[6:7]
	s_xor_b64 s[6:7], exec, s[8:9]
	s_cbranch_execnz .LBB54_3769
; %bb.1721:
	s_or_saveexec_b64 s[6:7], s[6:7]
	v_mov_b32_e32 v2, s10
	s_xor_b64 exec, exec, s[6:7]
	s_cbranch_execnz .LBB54_3772
.LBB54_1722:
	s_or_b64 exec, exec, s[6:7]
	s_and_saveexec_b64 s[6:7], s[4:5]
	s_cbranch_execz .LBB54_1724
.LBB54_1723:
	v_bfe_u32 v2, v7, 24, 3
	v_ffbh_u32_e32 v12, v2
	v_min_u32_e32 v12, 32, v12
	v_lshrrev_b32_e32 v10, 27, v7
	v_subrev_u32_e32 v13, 28, v12
	v_and_b32_e32 v6, 0x80000000, v7
	v_and_b32_e32 v10, 15, v10
	v_bfe_u32 v11, v7, 27, 4
	v_lshlrev_b32_sdwa v7, v13, v7 dst_sel:DWORD dst_unused:UNUSED_PAD src0_sel:DWORD src1_sel:BYTE_3
	v_sub_u32_e32 v12, 29, v12
	v_and_b32_e32 v7, 7, v7
	v_cmp_eq_u16_e32 vcc, 0, v10
	v_cndmask_b32_e32 v2, v2, v7, vcc
	v_cndmask_b32_e32 v7, v11, v12, vcc
	v_mov_b32_e32 v10, 0x3b800000
	v_lshlrev_b32_e32 v2, 20, v2
	v_lshl_add_u32 v7, v7, 23, v10
	v_or3_b32 v2, v6, v7, v2
.LBB54_1724:
	s_or_b64 exec, exec, s[6:7]
	s_movk_i32 s4, 0x7f
	v_cmp_gt_i16_sdwa s[6:7], v3, s4 src0_sel:BYTE_3 src1_sel:DWORD
	s_mov_b64 s[4:5], 0
                                        ; implicit-def: $sgpr10
	s_and_saveexec_b64 s[8:9], s[6:7]
	s_xor_b64 s[6:7], exec, s[8:9]
	s_cbranch_execnz .LBB54_3773
; %bb.1725:
	s_or_saveexec_b64 s[6:7], s[6:7]
	v_mov_b32_e32 v6, s10
	s_xor_b64 exec, exec, s[6:7]
	s_cbranch_execnz .LBB54_3776
.LBB54_1726:
	s_or_b64 exec, exec, s[6:7]
	s_and_saveexec_b64 s[6:7], s[4:5]
	s_cbranch_execz .LBB54_1728
.LBB54_1727:
	v_bfe_u32 v6, v3, 24, 3
	v_ffbh_u32_e32 v12, v6
	v_min_u32_e32 v12, 32, v12
	v_lshrrev_b32_e32 v10, 27, v3
	v_subrev_u32_e32 v13, 28, v12
	v_and_b32_e32 v7, 0x80000000, v3
	v_and_b32_e32 v10, 15, v10
	v_bfe_u32 v11, v3, 27, 4
	v_lshlrev_b32_sdwa v3, v13, v3 dst_sel:DWORD dst_unused:UNUSED_PAD src0_sel:DWORD src1_sel:BYTE_3
	v_sub_u32_e32 v12, 29, v12
	v_and_b32_e32 v3, 7, v3
	v_cmp_eq_u16_e32 vcc, 0, v10
	v_cndmask_b32_e32 v3, v6, v3, vcc
	v_cndmask_b32_e32 v6, v11, v12, vcc
	v_mov_b32_e32 v10, 0x3b800000
	v_lshlrev_b32_e32 v3, 20, v3
	v_lshl_add_u32 v6, v6, 23, v10
	v_or3_b32 v6, v7, v6, v3
.LBB54_1728:
	s_or_b64 exec, exec, s[6:7]
	s_nop 0
	v_mfma_f32_16x16x4f32 a[0:3], v2, v6, a[0:3]
	s_movk_i32 s4, 0x7f
	v_cmp_gt_i16_sdwa s[6:7], v8, s4 src0_sel:BYTE_0 src1_sel:DWORD
	s_mov_b64 s[4:5], 0
                                        ; implicit-def: $sgpr10
	s_and_saveexec_b64 s[8:9], s[6:7]
	s_xor_b64 s[6:7], exec, s[8:9]
	s_cbranch_execnz .LBB54_3777
; %bb.1729:
	s_or_saveexec_b64 s[6:7], s[6:7]
	v_mov_b32_e32 v2, s10
	s_xor_b64 exec, exec, s[6:7]
	s_cbranch_execnz .LBB54_3780
.LBB54_1730:
	s_or_b64 exec, exec, s[6:7]
	s_and_saveexec_b64 s[6:7], s[4:5]
	s_cbranch_execz .LBB54_1732
.LBB54_1731:
	v_and_b32_e32 v2, 7, v8
	v_ffbh_u32_e32 v6, v2
	v_min_u32_e32 v6, 32, v6
	v_lshrrev_b16_e32 v3, 3, v8
	v_subrev_u32_e32 v7, 28, v6
	v_and_b32_e32 v3, 15, v3
	v_lshlrev_b32_e32 v7, v7, v8
	v_sub_u32_e32 v6, 29, v6
	v_and_b32_e32 v7, 7, v7
	v_cmp_eq_u16_e32 vcc, 0, v3
	v_cndmask_b32_e32 v2, v2, v7, vcc
	v_cndmask_b32_e32 v3, v3, v6, vcc
	v_lshlrev_b32_e32 v6, 24, v8
	v_mov_b32_e32 v7, 0x3b800000
	v_lshlrev_b32_e32 v2, 20, v2
	v_and_b32_e32 v6, 0x80000000, v6
	v_lshl_add_u32 v3, v3, 23, v7
	v_or3_b32 v2, v6, v3, v2
.LBB54_1732:
	s_or_b64 exec, exec, s[6:7]
	s_movk_i32 s4, 0x7f
	v_cmp_gt_i16_sdwa s[6:7], v4, s4 src0_sel:BYTE_0 src1_sel:DWORD
	s_mov_b64 s[4:5], 0
                                        ; implicit-def: $sgpr10
	s_and_saveexec_b64 s[8:9], s[6:7]
	s_xor_b64 s[6:7], exec, s[8:9]
	s_cbranch_execnz .LBB54_3781
; %bb.1733:
	s_or_saveexec_b64 s[6:7], s[6:7]
	v_mov_b32_e32 v3, s10
	s_xor_b64 exec, exec, s[6:7]
	s_cbranch_execnz .LBB54_3784
.LBB54_1734:
	s_or_b64 exec, exec, s[6:7]
	s_and_saveexec_b64 s[6:7], s[4:5]
	s_cbranch_execz .LBB54_1736
.LBB54_1735:
	v_and_b32_e32 v3, 7, v4
	v_ffbh_u32_e32 v7, v3
	v_min_u32_e32 v7, 32, v7
	v_lshrrev_b16_e32 v6, 3, v4
	v_subrev_u32_e32 v10, 28, v7
	v_and_b32_e32 v6, 15, v6
	v_lshlrev_b32_e32 v10, v10, v4
	v_sub_u32_e32 v7, 29, v7
	v_and_b32_e32 v10, 7, v10
	v_cmp_eq_u16_e32 vcc, 0, v6
	v_cndmask_b32_e32 v3, v3, v10, vcc
	v_cndmask_b32_e32 v6, v6, v7, vcc
	v_lshlrev_b32_e32 v7, 24, v4
	v_mov_b32_e32 v10, 0x3b800000
	v_lshlrev_b32_e32 v3, 20, v3
	v_and_b32_e32 v7, 0x80000000, v7
	v_lshl_add_u32 v6, v6, 23, v10
	v_or3_b32 v3, v7, v6, v3
.LBB54_1736:
	s_or_b64 exec, exec, s[6:7]
	s_nop 0
	v_mfma_f32_16x16x4f32 a[0:3], v2, v3, a[0:3]
	v_lshrrev_b32_e32 v3, 8, v8
	s_movk_i32 s4, 0x7f
	v_cmp_gt_i16_sdwa s[6:7], v3, s4 src0_sel:BYTE_0 src1_sel:DWORD
	s_mov_b64 s[4:5], 0
                                        ; implicit-def: $sgpr10
	s_and_saveexec_b64 s[8:9], s[6:7]
	s_xor_b64 s[6:7], exec, s[8:9]
	s_cbranch_execnz .LBB54_3785
; %bb.1737:
	s_or_saveexec_b64 s[6:7], s[6:7]
	v_mov_b32_e32 v2, s10
	s_xor_b64 exec, exec, s[6:7]
	s_cbranch_execnz .LBB54_3788
.LBB54_1738:
	s_or_b64 exec, exec, s[6:7]
	s_and_saveexec_b64 s[6:7], s[4:5]
	s_cbranch_execz .LBB54_1740
.LBB54_1739:
	v_bfe_u32 v2, v8, 8, 3
	v_ffbh_u32_e32 v7, v2
	v_min_u32_e32 v7, 32, v7
	v_lshrrev_b16_e32 v6, 3, v3
	v_subrev_u32_e32 v10, 28, v7
	v_and_b32_e32 v6, 15, v6
	v_lshlrev_b32_e32 v3, v10, v3
	v_sub_u32_e32 v7, 29, v7
	v_and_b32_e32 v3, 7, v3
	v_cmp_eq_u16_e32 vcc, 0, v6
	v_cndmask_b32_e32 v2, v2, v3, vcc
	v_cndmask_b32_e32 v3, v6, v7, vcc
	v_lshlrev_b32_e32 v6, 16, v8
	v_mov_b32_e32 v7, 0x3b800000
	v_lshlrev_b32_e32 v2, 20, v2
	v_and_b32_e32 v6, 0x80000000, v6
	v_lshl_add_u32 v3, v3, 23, v7
	v_or3_b32 v2, v6, v3, v2
.LBB54_1740:
	s_or_b64 exec, exec, s[6:7]
	v_lshrrev_b32_e32 v3, 8, v4
	s_movk_i32 s4, 0x7f
	v_cmp_gt_i16_sdwa s[6:7], v3, s4 src0_sel:BYTE_0 src1_sel:DWORD
	s_mov_b64 s[4:5], 0
                                        ; implicit-def: $sgpr10
	s_and_saveexec_b64 s[8:9], s[6:7]
	s_xor_b64 s[6:7], exec, s[8:9]
	s_cbranch_execnz .LBB54_3789
; %bb.1741:
	s_or_saveexec_b64 s[6:7], s[6:7]
	v_mov_b32_e32 v6, s10
	s_xor_b64 exec, exec, s[6:7]
	s_cbranch_execnz .LBB54_3792
.LBB54_1742:
	s_or_b64 exec, exec, s[6:7]
	s_and_saveexec_b64 s[6:7], s[4:5]
	s_cbranch_execz .LBB54_1744
.LBB54_1743:
	v_bfe_u32 v6, v4, 8, 3
	v_ffbh_u32_e32 v10, v6
	v_min_u32_e32 v10, 32, v10
	v_lshrrev_b16_e32 v7, 3, v3
	v_subrev_u32_e32 v11, 28, v10
	v_and_b32_e32 v7, 15, v7
	v_lshlrev_b32_e32 v3, v11, v3
	v_sub_u32_e32 v10, 29, v10
	v_and_b32_e32 v3, 7, v3
	v_cmp_eq_u16_e32 vcc, 0, v7
	v_cndmask_b32_e32 v3, v6, v3, vcc
	v_cndmask_b32_e32 v6, v7, v10, vcc
	v_lshlrev_b32_e32 v7, 16, v4
	v_mov_b32_e32 v10, 0x3b800000
	v_lshlrev_b32_e32 v3, 20, v3
	v_and_b32_e32 v7, 0x80000000, v7
	v_lshl_add_u32 v6, v6, 23, v10
	v_or3_b32 v6, v7, v6, v3
.LBB54_1744:
	s_or_b64 exec, exec, s[6:7]
	s_nop 0
	v_mfma_f32_16x16x4f32 a[0:3], v2, v6, a[0:3]
	s_movk_i32 s4, 0xff
	v_and_b32_sdwa v3, v8, s4 dst_sel:DWORD dst_unused:UNUSED_PAD src0_sel:WORD_1 src1_sel:DWORD
	s_movk_i32 s4, 0x7f
	v_cmp_lt_i16_e32 vcc, s4, v3
	s_mov_b64 s[4:5], 0
                                        ; implicit-def: $sgpr10
	s_and_saveexec_b64 s[6:7], vcc
	s_xor_b64 s[6:7], exec, s[6:7]
	s_cbranch_execnz .LBB54_3793
; %bb.1745:
	s_or_saveexec_b64 s[6:7], s[6:7]
	v_mov_b32_e32 v2, s10
	s_xor_b64 exec, exec, s[6:7]
	s_cbranch_execnz .LBB54_3796
.LBB54_1746:
	s_or_b64 exec, exec, s[6:7]
	s_and_saveexec_b64 s[6:7], s[4:5]
	s_cbranch_execz .LBB54_1748
.LBB54_1747:
	v_bfe_u32 v2, v8, 16, 3
	v_ffbh_u32_e32 v7, v2
	v_min_u32_e32 v7, 32, v7
	v_lshrrev_b32_e32 v3, 19, v8
	v_subrev_u32_e32 v10, 28, v7
	v_and_b32_e32 v3, 15, v3
	v_lshlrev_b32_sdwa v10, v10, v8 dst_sel:DWORD dst_unused:UNUSED_PAD src0_sel:DWORD src1_sel:WORD_1
	v_bfe_u32 v6, v8, 19, 4
	v_sub_u32_e32 v7, 29, v7
	v_and_b32_e32 v10, 7, v10
	v_cmp_eq_u16_e32 vcc, 0, v3
	v_cndmask_b32_e32 v2, v2, v10, vcc
	v_cndmask_b32_e32 v3, v6, v7, vcc
	v_lshlrev_b32_e32 v6, 8, v8
	v_mov_b32_e32 v7, 0x3b800000
	v_lshlrev_b32_e32 v2, 20, v2
	v_and_b32_e32 v6, 0x80000000, v6
	v_lshl_add_u32 v3, v3, 23, v7
	v_or3_b32 v2, v6, v3, v2
.LBB54_1748:
	s_or_b64 exec, exec, s[6:7]
	s_movk_i32 s4, 0xff
	v_and_b32_sdwa v3, v4, s4 dst_sel:DWORD dst_unused:UNUSED_PAD src0_sel:WORD_1 src1_sel:DWORD
	s_movk_i32 s4, 0x7f
	v_cmp_lt_i16_e32 vcc, s4, v3
	s_mov_b64 s[4:5], 0
                                        ; implicit-def: $sgpr10
	s_and_saveexec_b64 s[6:7], vcc
	s_xor_b64 s[6:7], exec, s[6:7]
	s_cbranch_execnz .LBB54_3797
; %bb.1749:
	s_or_saveexec_b64 s[6:7], s[6:7]
	v_mov_b32_e32 v6, s10
	s_xor_b64 exec, exec, s[6:7]
	s_cbranch_execnz .LBB54_3800
.LBB54_1750:
	s_or_b64 exec, exec, s[6:7]
	s_and_saveexec_b64 s[6:7], s[4:5]
	s_cbranch_execz .LBB54_1752
.LBB54_1751:
	v_bfe_u32 v3, v4, 16, 3
	v_ffbh_u32_e32 v10, v3
	v_min_u32_e32 v10, 32, v10
	v_lshrrev_b32_e32 v6, 19, v4
	v_subrev_u32_e32 v11, 28, v10
	v_and_b32_e32 v6, 15, v6
	v_lshlrev_b32_sdwa v11, v11, v4 dst_sel:DWORD dst_unused:UNUSED_PAD src0_sel:DWORD src1_sel:WORD_1
	v_bfe_u32 v7, v4, 19, 4
	v_sub_u32_e32 v10, 29, v10
	v_and_b32_e32 v11, 7, v11
	v_cmp_eq_u16_e32 vcc, 0, v6
	v_cndmask_b32_e32 v3, v3, v11, vcc
	v_cndmask_b32_e32 v6, v7, v10, vcc
	v_lshlrev_b32_e32 v7, 8, v4
	v_mov_b32_e32 v10, 0x3b800000
	v_lshlrev_b32_e32 v3, 20, v3
	v_and_b32_e32 v7, 0x80000000, v7
	v_lshl_add_u32 v6, v6, 23, v10
	v_or3_b32 v6, v7, v6, v3
.LBB54_1752:
	s_or_b64 exec, exec, s[6:7]
	s_nop 0
	v_mfma_f32_16x16x4f32 a[0:3], v2, v6, a[0:3]
	s_movk_i32 s4, 0x7f
	v_cmp_gt_i16_sdwa s[6:7], v8, s4 src0_sel:BYTE_3 src1_sel:DWORD
	s_mov_b64 s[4:5], 0
                                        ; implicit-def: $sgpr10
	s_and_saveexec_b64 s[8:9], s[6:7]
	s_xor_b64 s[6:7], exec, s[8:9]
	s_cbranch_execnz .LBB54_3801
; %bb.1753:
	s_or_saveexec_b64 s[6:7], s[6:7]
	v_mov_b32_e32 v2, s10
	s_xor_b64 exec, exec, s[6:7]
	s_cbranch_execnz .LBB54_3804
.LBB54_1754:
	s_or_b64 exec, exec, s[6:7]
	s_and_saveexec_b64 s[6:7], s[4:5]
	s_cbranch_execz .LBB54_1756
.LBB54_1755:
	v_bfe_u32 v2, v8, 24, 3
	v_ffbh_u32_e32 v10, v2
	v_min_u32_e32 v10, 32, v10
	v_lshrrev_b32_e32 v6, 27, v8
	v_subrev_u32_e32 v11, 28, v10
	v_and_b32_e32 v3, 0x80000000, v8
	v_and_b32_e32 v6, 15, v6
	v_bfe_u32 v7, v8, 27, 4
	v_lshlrev_b32_sdwa v8, v11, v8 dst_sel:DWORD dst_unused:UNUSED_PAD src0_sel:DWORD src1_sel:BYTE_3
	v_sub_u32_e32 v10, 29, v10
	v_and_b32_e32 v8, 7, v8
	v_cmp_eq_u16_e32 vcc, 0, v6
	v_cndmask_b32_e32 v2, v2, v8, vcc
	v_cndmask_b32_e32 v6, v7, v10, vcc
	v_mov_b32_e32 v7, 0x3b800000
	v_lshlrev_b32_e32 v2, 20, v2
	v_lshl_add_u32 v6, v6, 23, v7
	v_or3_b32 v2, v3, v6, v2
.LBB54_1756:
	s_or_b64 exec, exec, s[6:7]
	s_movk_i32 s4, 0x7f
	v_cmp_gt_i16_sdwa s[6:7], v4, s4 src0_sel:BYTE_3 src1_sel:DWORD
	s_mov_b64 s[4:5], 0
                                        ; implicit-def: $sgpr10
	s_and_saveexec_b64 s[8:9], s[6:7]
	s_xor_b64 s[6:7], exec, s[8:9]
	s_cbranch_execnz .LBB54_3805
; %bb.1757:
	s_or_saveexec_b64 s[6:7], s[6:7]
	v_mov_b32_e32 v3, s10
	s_xor_b64 exec, exec, s[6:7]
	s_cbranch_execnz .LBB54_3808
.LBB54_1758:
	s_or_b64 exec, exec, s[6:7]
	s_and_saveexec_b64 s[6:7], s[4:5]
	s_cbranch_execz .LBB54_1760
.LBB54_1759:
	v_bfe_u32 v3, v4, 24, 3
	v_ffbh_u32_e32 v10, v3
	v_min_u32_e32 v10, 32, v10
	v_lshrrev_b32_e32 v7, 27, v4
	v_subrev_u32_e32 v11, 28, v10
	v_and_b32_e32 v6, 0x80000000, v4
	v_and_b32_e32 v7, 15, v7
	v_bfe_u32 v8, v4, 27, 4
	v_lshlrev_b32_sdwa v4, v11, v4 dst_sel:DWORD dst_unused:UNUSED_PAD src0_sel:DWORD src1_sel:BYTE_3
	v_sub_u32_e32 v10, 29, v10
	v_and_b32_e32 v4, 7, v4
	v_cmp_eq_u16_e32 vcc, 0, v7
	v_cndmask_b32_e32 v3, v3, v4, vcc
	v_cndmask_b32_e32 v4, v8, v10, vcc
	v_mov_b32_e32 v7, 0x3b800000
	v_lshlrev_b32_e32 v3, 20, v3
	v_lshl_add_u32 v4, v4, 23, v7
	v_or3_b32 v3, v6, v4, v3
.LBB54_1760:
	s_or_b64 exec, exec, s[6:7]
	s_nop 0
	v_mfma_f32_16x16x4f32 a[0:3], v2, v3, a[0:3]
	s_movk_i32 s4, 0x7f
	v_cmp_gt_i16_sdwa s[6:7], v9, s4 src0_sel:BYTE_0 src1_sel:DWORD
	s_mov_b64 s[4:5], 0
                                        ; implicit-def: $sgpr10
	s_and_saveexec_b64 s[8:9], s[6:7]
	s_xor_b64 s[6:7], exec, s[8:9]
	s_cbranch_execnz .LBB54_3809
; %bb.1761:
	s_or_saveexec_b64 s[6:7], s[6:7]
	v_mov_b32_e32 v2, s10
	s_xor_b64 exec, exec, s[6:7]
	s_cbranch_execnz .LBB54_3812
.LBB54_1762:
	s_or_b64 exec, exec, s[6:7]
	s_and_saveexec_b64 s[6:7], s[4:5]
	s_cbranch_execz .LBB54_1764
.LBB54_1763:
	v_mov_b32_e32 v2, 8
	v_and_b32_e32 v3, 7, v9
	v_lshrrev_b32_sdwa v2, v2, v9 dst_sel:BYTE_1 dst_unused:UNUSED_PAD src0_sel:DWORD src1_sel:DWORD
	v_ffbh_u32_e32 v4, v3
	v_or_b32_sdwa v2, v9, v2 dst_sel:DWORD dst_unused:UNUSED_PAD src0_sel:BYTE_0 src1_sel:DWORD
	v_min_u32_e32 v4, 32, v4
	v_lshrrev_b16_e32 v2, 3, v2
	v_subrev_u32_e32 v6, 28, v4
	v_and_b32_e32 v2, 15, v2
	v_lshlrev_b32_e32 v6, v6, v9
	v_sub_u32_e32 v4, 29, v4
	v_and_b32_e32 v6, 7, v6
	v_cmp_eq_u16_e32 vcc, 0, v2
	v_cndmask_b32_e32 v3, v3, v6, vcc
	v_cndmask_b32_e32 v2, v2, v4, vcc
	v_lshlrev_b32_e32 v4, 24, v9
	v_mov_b32_e32 v6, 0x3b800000
	v_lshlrev_b32_e32 v3, 20, v3
	v_and_b32_e32 v4, 0x80000000, v4
	v_lshl_add_u32 v2, v2, 23, v6
	v_or3_b32 v2, v4, v2, v3
.LBB54_1764:
	s_or_b64 exec, exec, s[6:7]
	s_movk_i32 s4, 0x7f
	v_cmp_gt_i16_sdwa s[6:7], v5, s4 src0_sel:BYTE_0 src1_sel:DWORD
	s_mov_b64 s[4:5], 0
                                        ; implicit-def: $sgpr10
	s_and_saveexec_b64 s[8:9], s[6:7]
	s_xor_b64 s[6:7], exec, s[8:9]
	s_cbranch_execnz .LBB54_3813
; %bb.1765:
	s_or_saveexec_b64 s[6:7], s[6:7]
	v_mov_b32_e32 v3, s10
	s_xor_b64 exec, exec, s[6:7]
	s_cbranch_execnz .LBB54_3816
.LBB54_1766:
	s_or_b64 exec, exec, s[6:7]
	s_and_saveexec_b64 s[6:7], s[4:5]
	s_cbranch_execz .LBB54_1768
.LBB54_1767:
	v_mov_b32_e32 v3, 8
	v_and_b32_e32 v4, 7, v5
	v_lshrrev_b32_sdwa v3, v3, v5 dst_sel:BYTE_1 dst_unused:UNUSED_PAD src0_sel:DWORD src1_sel:DWORD
	v_ffbh_u32_e32 v6, v4
	v_or_b32_sdwa v3, v5, v3 dst_sel:DWORD dst_unused:UNUSED_PAD src0_sel:BYTE_0 src1_sel:DWORD
	v_min_u32_e32 v6, 32, v6
	v_lshrrev_b16_e32 v3, 3, v3
	v_subrev_u32_e32 v7, 28, v6
	v_and_b32_e32 v3, 15, v3
	v_lshlrev_b32_e32 v7, v7, v5
	v_sub_u32_e32 v6, 29, v6
	v_and_b32_e32 v7, 7, v7
	v_cmp_eq_u16_e32 vcc, 0, v3
	v_cndmask_b32_e32 v4, v4, v7, vcc
	v_cndmask_b32_e32 v3, v3, v6, vcc
	v_lshlrev_b32_e32 v6, 24, v5
	v_mov_b32_e32 v7, 0x3b800000
	v_lshlrev_b32_e32 v4, 20, v4
	v_and_b32_e32 v6, 0x80000000, v6
	v_lshl_add_u32 v3, v3, 23, v7
	v_or3_b32 v3, v6, v3, v4
.LBB54_1768:
	s_or_b64 exec, exec, s[6:7]
	s_nop 0
	v_mfma_f32_16x16x4f32 a[0:3], v2, v3, a[0:3]
	v_lshrrev_b32_e32 v3, 8, v9
	s_movk_i32 s4, 0x7f
	v_cmp_gt_i16_sdwa s[6:7], v3, s4 src0_sel:BYTE_0 src1_sel:DWORD
	s_mov_b64 s[4:5], 0
                                        ; implicit-def: $sgpr10
	s_and_saveexec_b64 s[8:9], s[6:7]
	s_xor_b64 s[6:7], exec, s[8:9]
	s_cbranch_execnz .LBB54_3817
; %bb.1769:
	s_or_saveexec_b64 s[6:7], s[6:7]
	v_mov_b32_e32 v2, s10
	s_xor_b64 exec, exec, s[6:7]
	s_cbranch_execnz .LBB54_3820
.LBB54_1770:
	s_or_b64 exec, exec, s[6:7]
	s_and_saveexec_b64 s[6:7], s[4:5]
	s_cbranch_execz .LBB54_1772
.LBB54_1771:
	v_bfe_u32 v2, v9, 8, 3
	v_ffbh_u32_e32 v6, v2
	v_min_u32_e32 v6, 32, v6
	v_lshrrev_b16_e32 v4, 3, v3
	v_subrev_u32_e32 v7, 28, v6
	v_and_b32_e32 v4, 15, v4
	v_lshlrev_b32_e32 v3, v7, v3
	v_sub_u32_e32 v6, 29, v6
	v_and_b32_e32 v3, 7, v3
	v_cmp_eq_u16_e32 vcc, 0, v4
	v_cndmask_b32_e32 v2, v2, v3, vcc
	v_cndmask_b32_e32 v3, v4, v6, vcc
	v_lshlrev_b32_e32 v4, 16, v9
	v_mov_b32_e32 v6, 0x3b800000
	v_lshlrev_b32_e32 v2, 20, v2
	v_and_b32_e32 v4, 0x80000000, v4
	v_lshl_add_u32 v3, v3, 23, v6
	v_or3_b32 v2, v4, v3, v2
.LBB54_1772:
	s_or_b64 exec, exec, s[6:7]
	v_lshrrev_b32_e32 v3, 8, v5
	s_movk_i32 s4, 0x7f
	v_cmp_gt_i16_sdwa s[6:7], v3, s4 src0_sel:BYTE_0 src1_sel:DWORD
	s_mov_b64 s[4:5], 0
                                        ; implicit-def: $sgpr10
	s_and_saveexec_b64 s[8:9], s[6:7]
	s_xor_b64 s[6:7], exec, s[8:9]
	s_cbranch_execnz .LBB54_3821
; %bb.1773:
	s_or_saveexec_b64 s[6:7], s[6:7]
	v_mov_b32_e32 v4, s10
	s_xor_b64 exec, exec, s[6:7]
	s_cbranch_execnz .LBB54_3824
.LBB54_1774:
	s_or_b64 exec, exec, s[6:7]
	s_and_saveexec_b64 s[6:7], s[4:5]
	s_cbranch_execz .LBB54_1776
.LBB54_1775:
	v_bfe_u32 v4, v5, 8, 3
	v_ffbh_u32_e32 v7, v4
	v_min_u32_e32 v7, 32, v7
	v_lshrrev_b16_e32 v6, 3, v3
	v_subrev_u32_e32 v8, 28, v7
	v_and_b32_e32 v6, 15, v6
	v_lshlrev_b32_e32 v3, v8, v3
	v_sub_u32_e32 v7, 29, v7
	v_and_b32_e32 v3, 7, v3
	v_cmp_eq_u16_e32 vcc, 0, v6
	v_cndmask_b32_e32 v3, v4, v3, vcc
	v_cndmask_b32_e32 v4, v6, v7, vcc
	v_lshlrev_b32_e32 v6, 16, v5
	v_mov_b32_e32 v7, 0x3b800000
	v_lshlrev_b32_e32 v3, 20, v3
	v_and_b32_e32 v6, 0x80000000, v6
	v_lshl_add_u32 v4, v4, 23, v7
	v_or3_b32 v4, v6, v4, v3
.LBB54_1776:
	s_or_b64 exec, exec, s[6:7]
	s_nop 0
	v_mfma_f32_16x16x4f32 a[0:3], v2, v4, a[0:3]
	s_movk_i32 s4, 0xff
	v_and_b32_sdwa v3, v9, s4 dst_sel:DWORD dst_unused:UNUSED_PAD src0_sel:WORD_1 src1_sel:DWORD
	s_movk_i32 s4, 0x7f
	v_cmp_lt_i16_e32 vcc, s4, v3
	s_mov_b64 s[4:5], 0
                                        ; implicit-def: $sgpr10
	s_and_saveexec_b64 s[6:7], vcc
	s_xor_b64 s[6:7], exec, s[6:7]
	s_cbranch_execnz .LBB54_3825
; %bb.1777:
	s_or_saveexec_b64 s[6:7], s[6:7]
	v_mov_b32_e32 v2, s10
	s_xor_b64 exec, exec, s[6:7]
	s_cbranch_execnz .LBB54_3828
.LBB54_1778:
	s_or_b64 exec, exec, s[6:7]
	s_and_saveexec_b64 s[6:7], s[4:5]
	s_cbranch_execz .LBB54_1780
.LBB54_1779:
	v_bfe_u32 v2, v9, 16, 3
	v_ffbh_u32_e32 v6, v2
	v_min_u32_e32 v6, 32, v6
	v_lshrrev_b32_e32 v3, 19, v9
	v_subrev_u32_e32 v7, 28, v6
	v_and_b32_e32 v3, 15, v3
	v_lshlrev_b32_sdwa v7, v7, v9 dst_sel:DWORD dst_unused:UNUSED_PAD src0_sel:DWORD src1_sel:WORD_1
	v_bfe_u32 v4, v9, 19, 4
	v_sub_u32_e32 v6, 29, v6
	v_and_b32_e32 v7, 7, v7
	v_cmp_eq_u16_e32 vcc, 0, v3
	v_cndmask_b32_e32 v2, v2, v7, vcc
	v_cndmask_b32_e32 v3, v4, v6, vcc
	v_lshlrev_b32_e32 v4, 8, v9
	v_mov_b32_e32 v6, 0x3b800000
	v_lshlrev_b32_e32 v2, 20, v2
	v_and_b32_e32 v4, 0x80000000, v4
	v_lshl_add_u32 v3, v3, 23, v6
	v_or3_b32 v2, v4, v3, v2
.LBB54_1780:
	s_or_b64 exec, exec, s[6:7]
	s_movk_i32 s4, 0xff
	v_and_b32_sdwa v3, v5, s4 dst_sel:DWORD dst_unused:UNUSED_PAD src0_sel:WORD_1 src1_sel:DWORD
	s_movk_i32 s4, 0x7f
	v_cmp_lt_i16_e32 vcc, s4, v3
	s_mov_b64 s[4:5], 0
                                        ; implicit-def: $sgpr10
	s_and_saveexec_b64 s[6:7], vcc
	s_xor_b64 s[6:7], exec, s[6:7]
	s_cbranch_execnz .LBB54_3829
; %bb.1781:
	s_or_saveexec_b64 s[6:7], s[6:7]
	v_mov_b32_e32 v4, s10
	s_xor_b64 exec, exec, s[6:7]
	s_cbranch_execnz .LBB54_3832
.LBB54_1782:
	s_or_b64 exec, exec, s[6:7]
	s_and_saveexec_b64 s[6:7], s[4:5]
	s_cbranch_execz .LBB54_1784
.LBB54_1783:
	v_bfe_u32 v3, v5, 16, 3
	v_ffbh_u32_e32 v7, v3
	v_min_u32_e32 v7, 32, v7
	v_lshrrev_b32_e32 v4, 19, v5
	v_subrev_u32_e32 v8, 28, v7
	v_and_b32_e32 v4, 15, v4
	v_lshlrev_b32_sdwa v8, v8, v5 dst_sel:DWORD dst_unused:UNUSED_PAD src0_sel:DWORD src1_sel:WORD_1
	v_bfe_u32 v6, v5, 19, 4
	v_sub_u32_e32 v7, 29, v7
	v_and_b32_e32 v8, 7, v8
	v_cmp_eq_u16_e32 vcc, 0, v4
	v_cndmask_b32_e32 v3, v3, v8, vcc
	v_cndmask_b32_e32 v4, v6, v7, vcc
	v_lshlrev_b32_e32 v6, 8, v5
	v_mov_b32_e32 v7, 0x3b800000
	v_lshlrev_b32_e32 v3, 20, v3
	v_and_b32_e32 v6, 0x80000000, v6
	v_lshl_add_u32 v4, v4, 23, v7
	v_or3_b32 v4, v6, v4, v3
.LBB54_1784:
	s_or_b64 exec, exec, s[6:7]
	s_nop 0
	v_mfma_f32_16x16x4f32 a[0:3], v2, v4, a[0:3]
	s_movk_i32 s4, 0x7f
	v_cmp_gt_i16_sdwa s[6:7], v9, s4 src0_sel:BYTE_3 src1_sel:DWORD
	s_mov_b64 s[4:5], 0
                                        ; implicit-def: $sgpr10
	s_and_saveexec_b64 s[8:9], s[6:7]
	s_xor_b64 s[6:7], exec, s[8:9]
	s_cbranch_execnz .LBB54_3833
; %bb.1785:
	s_or_saveexec_b64 s[6:7], s[6:7]
	v_mov_b32_e32 v2, s10
	s_xor_b64 exec, exec, s[6:7]
	s_cbranch_execnz .LBB54_3836
.LBB54_1786:
	s_or_b64 exec, exec, s[6:7]
	s_and_saveexec_b64 s[6:7], s[4:5]
	s_cbranch_execz .LBB54_1788
.LBB54_1787:
	v_bfe_u32 v2, v9, 24, 3
	v_ffbh_u32_e32 v7, v2
	v_min_u32_e32 v7, 32, v7
	v_lshrrev_b32_e32 v4, 27, v9
	v_subrev_u32_e32 v8, 28, v7
	v_and_b32_e32 v4, 15, v4
	v_lshlrev_b32_sdwa v8, v8, v9 dst_sel:DWORD dst_unused:UNUSED_PAD src0_sel:DWORD src1_sel:BYTE_3
	v_bfe_u32 v6, v9, 27, 4
	v_sub_u32_e32 v7, 29, v7
	v_and_b32_e32 v8, 7, v8
	v_cmp_eq_u16_e32 vcc, 0, v4
	v_cndmask_b32_e32 v2, v2, v8, vcc
	v_cndmask_b32_e32 v4, v6, v7, vcc
	v_mov_b32_e32 v6, 0x3b800000
	v_and_b32_e32 v3, 0x80000000, v9
	v_lshlrev_b32_e32 v2, 20, v2
	v_lshl_add_u32 v4, v4, 23, v6
	v_or3_b32 v2, v3, v4, v2
.LBB54_1788:
	s_or_b64 exec, exec, s[6:7]
	s_movk_i32 s4, 0x7f
	v_cmp_gt_i16_sdwa s[6:7], v5, s4 src0_sel:BYTE_3 src1_sel:DWORD
	s_mov_b64 s[4:5], 0
                                        ; implicit-def: $sgpr10
	s_and_saveexec_b64 s[8:9], s[6:7]
	s_xor_b64 s[6:7], exec, s[8:9]
	s_cbranch_execnz .LBB54_3837
; %bb.1789:
	s_or_saveexec_b64 s[6:7], s[6:7]
	v_mov_b32_e32 v3, s10
	s_xor_b64 exec, exec, s[6:7]
	s_cbranch_execnz .LBB54_3840
.LBB54_1790:
	s_or_b64 exec, exec, s[6:7]
	s_and_saveexec_b64 s[6:7], s[4:5]
	s_cbranch_execz .LBB54_1792
.LBB54_1791:
	v_bfe_u32 v3, v5, 24, 3
	v_ffbh_u32_e32 v8, v3
	v_min_u32_e32 v8, 32, v8
	v_lshrrev_b32_e32 v6, 27, v5
	v_subrev_u32_e32 v9, 28, v8
	v_and_b32_e32 v4, 0x80000000, v5
	v_and_b32_e32 v6, 15, v6
	v_bfe_u32 v7, v5, 27, 4
	v_lshlrev_b32_sdwa v5, v9, v5 dst_sel:DWORD dst_unused:UNUSED_PAD src0_sel:DWORD src1_sel:BYTE_3
	v_sub_u32_e32 v8, 29, v8
	v_and_b32_e32 v5, 7, v5
	v_cmp_eq_u16_e32 vcc, 0, v6
	v_cndmask_b32_e32 v3, v3, v5, vcc
	v_cndmask_b32_e32 v5, v7, v8, vcc
	v_mov_b32_e32 v6, 0x3b800000
	v_lshlrev_b32_e32 v3, 20, v3
	v_lshl_add_u32 v5, v5, 23, v6
	v_or3_b32 v3, v4, v5, v3
.LBB54_1792:
	s_or_b64 exec, exec, s[6:7]
	s_nop 0
	v_mfma_f32_16x16x4f32 a[0:3], v2, v3, a[0:3]
	s_movk_i32 s4, 0x7f
                                        ; implicit-def: $sgpr10
	s_nop 7
	s_nop 1
	flat_store_dwordx4 v[18:19], a[0:3] offset:352
	flat_load_dwordx4 v[18:21], v[0:1] offset:8
	s_nop 0
	flat_load_dwordx2 v[16:17], v[0:1] offset:24
	s_waitcnt vmcnt(0) lgkmcnt(0)
	flat_load_dwordx4 v[12:15], v[18:19]
	flat_load_dwordx4 v[4:7], v[18:19] offset:16
	flat_load_dwordx4 v[8:11], v[20:21] offset:480
	;; [unrolled: 1-line block ×3, first 2 shown]
	s_waitcnt vmcnt(0) lgkmcnt(0)
	v_cmp_gt_i16_sdwa s[6:7], v12, s4 src0_sel:BYTE_0 src1_sel:DWORD
	s_mov_b64 s[4:5], 0
	s_and_saveexec_b64 s[8:9], s[6:7]
	s_xor_b64 s[6:7], exec, s[8:9]
	s_cbranch_execnz .LBB54_3841
; %bb.1793:
	s_or_saveexec_b64 s[6:7], s[6:7]
	v_mov_b32_e32 v18, s10
	s_xor_b64 exec, exec, s[6:7]
	s_cbranch_execnz .LBB54_3844
.LBB54_1794:
	s_or_b64 exec, exec, s[6:7]
	s_and_saveexec_b64 s[6:7], s[4:5]
	s_cbranch_execz .LBB54_1796
.LBB54_1795:
	v_and_b32_e32 v18, 7, v12
	v_ffbh_u32_e32 v20, v18
	v_min_u32_e32 v20, 32, v20
	v_lshrrev_b16_e32 v19, 3, v12
	v_subrev_u32_e32 v21, 28, v20
	v_and_b32_e32 v19, 15, v19
	v_lshlrev_b32_e32 v21, v21, v12
	v_sub_u32_e32 v20, 29, v20
	v_and_b32_e32 v21, 7, v21
	v_cmp_eq_u16_e32 vcc, 0, v19
	v_cndmask_b32_e32 v18, v18, v21, vcc
	v_cndmask_b32_e32 v19, v19, v20, vcc
	v_lshlrev_b32_e32 v20, 24, v12
	v_mov_b32_e32 v21, 0x3b800000
	v_lshlrev_b32_e32 v18, 20, v18
	v_and_b32_e32 v20, 0x80000000, v20
	v_lshl_add_u32 v19, v19, 23, v21
	v_or3_b32 v18, v20, v19, v18
.LBB54_1796:
	s_or_b64 exec, exec, s[6:7]
	s_movk_i32 s4, 0x7f
	v_cmp_gt_i16_sdwa s[6:7], v8, s4 src0_sel:BYTE_0 src1_sel:DWORD
	s_mov_b64 s[4:5], 0
                                        ; implicit-def: $sgpr10
	s_and_saveexec_b64 s[8:9], s[6:7]
	s_xor_b64 s[6:7], exec, s[8:9]
	s_cbranch_execnz .LBB54_3845
; %bb.1797:
	s_or_saveexec_b64 s[6:7], s[6:7]
	v_mov_b32_e32 v19, s10
	s_xor_b64 exec, exec, s[6:7]
	s_cbranch_execnz .LBB54_3848
.LBB54_1798:
	s_or_b64 exec, exec, s[6:7]
	s_and_saveexec_b64 s[6:7], s[4:5]
	s_cbranch_execz .LBB54_1800
.LBB54_1799:
	v_and_b32_e32 v19, 7, v8
	v_ffbh_u32_e32 v21, v19
	v_min_u32_e32 v21, 32, v21
	v_lshrrev_b16_e32 v20, 3, v8
	v_subrev_u32_e32 v22, 28, v21
	v_and_b32_e32 v20, 15, v20
	v_lshlrev_b32_e32 v22, v22, v8
	v_sub_u32_e32 v21, 29, v21
	v_and_b32_e32 v22, 7, v22
	v_cmp_eq_u16_e32 vcc, 0, v20
	v_cndmask_b32_e32 v19, v19, v22, vcc
	v_cndmask_b32_e32 v20, v20, v21, vcc
	v_lshlrev_b32_e32 v21, 24, v8
	v_mov_b32_e32 v22, 0x3b800000
	v_lshlrev_b32_e32 v19, 20, v19
	v_and_b32_e32 v21, 0x80000000, v21
	v_lshl_add_u32 v20, v20, 23, v22
	v_or3_b32 v19, v21, v20, v19
.LBB54_1800:
	s_or_b64 exec, exec, s[6:7]
	flat_load_dwordx4 a[0:3], v[16:17] offset:368
	s_movk_i32 s4, 0x7f
                                        ; implicit-def: $sgpr10
	s_waitcnt vmcnt(0) lgkmcnt(0)
	v_mfma_f32_16x16x4f32 a[0:3], v18, v19, a[0:3]
	v_lshrrev_b32_e32 v19, 8, v12
	v_cmp_gt_i16_sdwa s[6:7], v19, s4 src0_sel:BYTE_0 src1_sel:DWORD
	s_mov_b64 s[4:5], 0
	s_and_saveexec_b64 s[8:9], s[6:7]
	s_xor_b64 s[6:7], exec, s[8:9]
	s_cbranch_execnz .LBB54_3849
; %bb.1801:
	s_or_saveexec_b64 s[6:7], s[6:7]
	v_mov_b32_e32 v18, s10
	s_xor_b64 exec, exec, s[6:7]
	s_cbranch_execnz .LBB54_3852
.LBB54_1802:
	s_or_b64 exec, exec, s[6:7]
	s_and_saveexec_b64 s[6:7], s[4:5]
	s_cbranch_execz .LBB54_1804
.LBB54_1803:
	v_bfe_u32 v18, v12, 8, 3
	v_ffbh_u32_e32 v21, v18
	v_min_u32_e32 v21, 32, v21
	v_lshrrev_b16_e32 v20, 3, v19
	v_subrev_u32_e32 v22, 28, v21
	v_and_b32_e32 v20, 15, v20
	v_lshlrev_b32_e32 v19, v22, v19
	v_sub_u32_e32 v21, 29, v21
	v_and_b32_e32 v19, 7, v19
	v_cmp_eq_u16_e32 vcc, 0, v20
	v_cndmask_b32_e32 v18, v18, v19, vcc
	v_cndmask_b32_e32 v19, v20, v21, vcc
	v_lshlrev_b32_e32 v20, 16, v12
	v_mov_b32_e32 v21, 0x3b800000
	v_lshlrev_b32_e32 v18, 20, v18
	v_and_b32_e32 v20, 0x80000000, v20
	v_lshl_add_u32 v19, v19, 23, v21
	v_or3_b32 v18, v20, v19, v18
.LBB54_1804:
	s_or_b64 exec, exec, s[6:7]
	v_lshrrev_b32_e32 v19, 8, v8
	s_movk_i32 s4, 0x7f
	v_cmp_gt_i16_sdwa s[6:7], v19, s4 src0_sel:BYTE_0 src1_sel:DWORD
	s_mov_b64 s[4:5], 0
                                        ; implicit-def: $sgpr10
	s_and_saveexec_b64 s[8:9], s[6:7]
	s_xor_b64 s[6:7], exec, s[8:9]
	s_cbranch_execnz .LBB54_3853
; %bb.1805:
	s_or_saveexec_b64 s[6:7], s[6:7]
	v_mov_b32_e32 v20, s10
	s_xor_b64 exec, exec, s[6:7]
	s_cbranch_execnz .LBB54_3856
.LBB54_1806:
	s_or_b64 exec, exec, s[6:7]
	s_and_saveexec_b64 s[6:7], s[4:5]
	s_cbranch_execz .LBB54_1808
.LBB54_1807:
	v_bfe_u32 v20, v8, 8, 3
	v_ffbh_u32_e32 v22, v20
	v_min_u32_e32 v22, 32, v22
	v_lshrrev_b16_e32 v21, 3, v19
	v_subrev_u32_e32 v23, 28, v22
	v_and_b32_e32 v21, 15, v21
	v_lshlrev_b32_e32 v19, v23, v19
	v_sub_u32_e32 v22, 29, v22
	v_and_b32_e32 v19, 7, v19
	v_cmp_eq_u16_e32 vcc, 0, v21
	v_cndmask_b32_e32 v19, v20, v19, vcc
	v_cndmask_b32_e32 v20, v21, v22, vcc
	v_lshlrev_b32_e32 v21, 16, v8
	v_mov_b32_e32 v22, 0x3b800000
	v_lshlrev_b32_e32 v19, 20, v19
	v_and_b32_e32 v21, 0x80000000, v21
	v_lshl_add_u32 v20, v20, 23, v22
	v_or3_b32 v20, v21, v20, v19
.LBB54_1808:
	s_or_b64 exec, exec, s[6:7]
	s_nop 0
	v_mfma_f32_16x16x4f32 a[0:3], v18, v20, a[0:3]
	s_movk_i32 s4, 0xff
	v_and_b32_sdwa v19, v12, s4 dst_sel:DWORD dst_unused:UNUSED_PAD src0_sel:WORD_1 src1_sel:DWORD
	s_movk_i32 s4, 0x7f
	v_cmp_lt_i16_e32 vcc, s4, v19
	s_mov_b64 s[4:5], 0
                                        ; implicit-def: $sgpr10
	s_and_saveexec_b64 s[6:7], vcc
	s_xor_b64 s[6:7], exec, s[6:7]
	s_cbranch_execnz .LBB54_3857
; %bb.1809:
	s_or_saveexec_b64 s[6:7], s[6:7]
	v_mov_b32_e32 v18, s10
	s_xor_b64 exec, exec, s[6:7]
	s_cbranch_execnz .LBB54_3860
.LBB54_1810:
	s_or_b64 exec, exec, s[6:7]
	s_and_saveexec_b64 s[6:7], s[4:5]
	s_cbranch_execz .LBB54_1812
.LBB54_1811:
	v_bfe_u32 v18, v12, 16, 3
	v_ffbh_u32_e32 v21, v18
	v_min_u32_e32 v21, 32, v21
	v_lshrrev_b32_e32 v19, 19, v12
	v_subrev_u32_e32 v22, 28, v21
	v_and_b32_e32 v19, 15, v19
	v_lshlrev_b32_sdwa v22, v22, v12 dst_sel:DWORD dst_unused:UNUSED_PAD src0_sel:DWORD src1_sel:WORD_1
	v_bfe_u32 v20, v12, 19, 4
	v_sub_u32_e32 v21, 29, v21
	v_and_b32_e32 v22, 7, v22
	v_cmp_eq_u16_e32 vcc, 0, v19
	v_cndmask_b32_e32 v18, v18, v22, vcc
	v_cndmask_b32_e32 v19, v20, v21, vcc
	v_lshlrev_b32_e32 v20, 8, v12
	v_mov_b32_e32 v21, 0x3b800000
	v_lshlrev_b32_e32 v18, 20, v18
	v_and_b32_e32 v20, 0x80000000, v20
	v_lshl_add_u32 v19, v19, 23, v21
	v_or3_b32 v18, v20, v19, v18
.LBB54_1812:
	s_or_b64 exec, exec, s[6:7]
	s_movk_i32 s4, 0xff
	v_and_b32_sdwa v19, v8, s4 dst_sel:DWORD dst_unused:UNUSED_PAD src0_sel:WORD_1 src1_sel:DWORD
	s_movk_i32 s4, 0x7f
	v_cmp_lt_i16_e32 vcc, s4, v19
	s_mov_b64 s[4:5], 0
                                        ; implicit-def: $sgpr10
	s_and_saveexec_b64 s[6:7], vcc
	s_xor_b64 s[6:7], exec, s[6:7]
	s_cbranch_execnz .LBB54_3861
; %bb.1813:
	s_or_saveexec_b64 s[6:7], s[6:7]
	v_mov_b32_e32 v20, s10
	s_xor_b64 exec, exec, s[6:7]
	s_cbranch_execnz .LBB54_3864
.LBB54_1814:
	s_or_b64 exec, exec, s[6:7]
	s_and_saveexec_b64 s[6:7], s[4:5]
	s_cbranch_execz .LBB54_1816
.LBB54_1815:
	v_bfe_u32 v19, v8, 16, 3
	v_ffbh_u32_e32 v22, v19
	v_min_u32_e32 v22, 32, v22
	v_lshrrev_b32_e32 v20, 19, v8
	v_subrev_u32_e32 v23, 28, v22
	v_and_b32_e32 v20, 15, v20
	v_lshlrev_b32_sdwa v23, v23, v8 dst_sel:DWORD dst_unused:UNUSED_PAD src0_sel:DWORD src1_sel:WORD_1
	v_bfe_u32 v21, v8, 19, 4
	v_sub_u32_e32 v22, 29, v22
	v_and_b32_e32 v23, 7, v23
	v_cmp_eq_u16_e32 vcc, 0, v20
	v_cndmask_b32_e32 v19, v19, v23, vcc
	v_cndmask_b32_e32 v20, v21, v22, vcc
	v_lshlrev_b32_e32 v21, 8, v8
	v_mov_b32_e32 v22, 0x3b800000
	v_lshlrev_b32_e32 v19, 20, v19
	v_and_b32_e32 v21, 0x80000000, v21
	v_lshl_add_u32 v20, v20, 23, v22
	v_or3_b32 v20, v21, v20, v19
.LBB54_1816:
	s_or_b64 exec, exec, s[6:7]
	s_nop 0
	v_mfma_f32_16x16x4f32 a[0:3], v18, v20, a[0:3]
	s_movk_i32 s4, 0x7f
	v_cmp_gt_i16_sdwa s[6:7], v12, s4 src0_sel:BYTE_3 src1_sel:DWORD
	s_mov_b64 s[4:5], 0
                                        ; implicit-def: $sgpr10
	s_and_saveexec_b64 s[8:9], s[6:7]
	s_xor_b64 s[6:7], exec, s[8:9]
	s_cbranch_execnz .LBB54_3865
; %bb.1817:
	s_or_saveexec_b64 s[6:7], s[6:7]
	v_mov_b32_e32 v18, s10
	s_xor_b64 exec, exec, s[6:7]
	s_cbranch_execnz .LBB54_3868
.LBB54_1818:
	s_or_b64 exec, exec, s[6:7]
	s_and_saveexec_b64 s[6:7], s[4:5]
	s_cbranch_execz .LBB54_1820
.LBB54_1819:
	v_bfe_u32 v18, v12, 24, 3
	v_ffbh_u32_e32 v22, v18
	v_min_u32_e32 v22, 32, v22
	v_lshrrev_b32_e32 v20, 27, v12
	v_subrev_u32_e32 v23, 28, v22
	v_and_b32_e32 v19, 0x80000000, v12
	v_and_b32_e32 v20, 15, v20
	v_bfe_u32 v21, v12, 27, 4
	v_lshlrev_b32_sdwa v12, v23, v12 dst_sel:DWORD dst_unused:UNUSED_PAD src0_sel:DWORD src1_sel:BYTE_3
	v_sub_u32_e32 v22, 29, v22
	v_and_b32_e32 v12, 7, v12
	v_cmp_eq_u16_e32 vcc, 0, v20
	v_cndmask_b32_e32 v12, v18, v12, vcc
	v_cndmask_b32_e32 v18, v21, v22, vcc
	v_mov_b32_e32 v20, 0x3b800000
	v_lshlrev_b32_e32 v12, 20, v12
	v_lshl_add_u32 v18, v18, 23, v20
	v_or3_b32 v18, v19, v18, v12
.LBB54_1820:
	s_or_b64 exec, exec, s[6:7]
	s_movk_i32 s4, 0x7f
	v_cmp_gt_i16_sdwa s[6:7], v8, s4 src0_sel:BYTE_3 src1_sel:DWORD
	s_mov_b64 s[4:5], 0
                                        ; implicit-def: $sgpr10
	s_and_saveexec_b64 s[8:9], s[6:7]
	s_xor_b64 s[6:7], exec, s[8:9]
	s_cbranch_execnz .LBB54_3869
; %bb.1821:
	s_or_saveexec_b64 s[6:7], s[6:7]
	v_mov_b32_e32 v12, s10
	s_xor_b64 exec, exec, s[6:7]
	s_cbranch_execnz .LBB54_3872
.LBB54_1822:
	s_or_b64 exec, exec, s[6:7]
	s_and_saveexec_b64 s[6:7], s[4:5]
	s_cbranch_execz .LBB54_1824
.LBB54_1823:
	v_bfe_u32 v12, v8, 24, 3
	v_ffbh_u32_e32 v22, v12
	v_min_u32_e32 v22, 32, v22
	v_lshrrev_b32_e32 v20, 27, v8
	v_subrev_u32_e32 v23, 28, v22
	v_and_b32_e32 v19, 0x80000000, v8
	v_and_b32_e32 v20, 15, v20
	v_bfe_u32 v21, v8, 27, 4
	v_lshlrev_b32_sdwa v8, v23, v8 dst_sel:DWORD dst_unused:UNUSED_PAD src0_sel:DWORD src1_sel:BYTE_3
	v_sub_u32_e32 v22, 29, v22
	v_and_b32_e32 v8, 7, v8
	v_cmp_eq_u16_e32 vcc, 0, v20
	v_cndmask_b32_e32 v8, v12, v8, vcc
	v_cndmask_b32_e32 v12, v21, v22, vcc
	v_mov_b32_e32 v20, 0x3b800000
	v_lshlrev_b32_e32 v8, 20, v8
	v_lshl_add_u32 v12, v12, 23, v20
	v_or3_b32 v12, v19, v12, v8
.LBB54_1824:
	s_or_b64 exec, exec, s[6:7]
	s_nop 0
	v_mfma_f32_16x16x4f32 a[0:3], v18, v12, a[0:3]
	s_movk_i32 s4, 0x7f
	v_cmp_gt_i16_sdwa s[6:7], v13, s4 src0_sel:BYTE_0 src1_sel:DWORD
	s_mov_b64 s[4:5], 0
                                        ; implicit-def: $sgpr10
	s_and_saveexec_b64 s[8:9], s[6:7]
	s_xor_b64 s[6:7], exec, s[8:9]
	s_cbranch_execnz .LBB54_3873
; %bb.1825:
	s_or_saveexec_b64 s[6:7], s[6:7]
	v_mov_b32_e32 v8, s10
	s_xor_b64 exec, exec, s[6:7]
	s_cbranch_execnz .LBB54_3876
.LBB54_1826:
	s_or_b64 exec, exec, s[6:7]
	s_and_saveexec_b64 s[6:7], s[4:5]
	s_cbranch_execz .LBB54_1828
.LBB54_1827:
	v_and_b32_e32 v8, 7, v13
	v_ffbh_u32_e32 v18, v8
	v_min_u32_e32 v18, 32, v18
	v_lshrrev_b16_e32 v12, 3, v13
	v_subrev_u32_e32 v19, 28, v18
	v_and_b32_e32 v12, 15, v12
	v_lshlrev_b32_e32 v19, v19, v13
	v_sub_u32_e32 v18, 29, v18
	v_and_b32_e32 v19, 7, v19
	v_cmp_eq_u16_e32 vcc, 0, v12
	v_cndmask_b32_e32 v8, v8, v19, vcc
	v_cndmask_b32_e32 v12, v12, v18, vcc
	v_lshlrev_b32_e32 v18, 24, v13
	v_mov_b32_e32 v19, 0x3b800000
	v_lshlrev_b32_e32 v8, 20, v8
	v_and_b32_e32 v18, 0x80000000, v18
	v_lshl_add_u32 v12, v12, 23, v19
	v_or3_b32 v8, v18, v12, v8
.LBB54_1828:
	s_or_b64 exec, exec, s[6:7]
	s_movk_i32 s4, 0x7f
	v_cmp_gt_i16_sdwa s[6:7], v9, s4 src0_sel:BYTE_0 src1_sel:DWORD
	s_mov_b64 s[4:5], 0
                                        ; implicit-def: $sgpr10
	s_and_saveexec_b64 s[8:9], s[6:7]
	s_xor_b64 s[6:7], exec, s[8:9]
	s_cbranch_execnz .LBB54_3877
; %bb.1829:
	s_or_saveexec_b64 s[6:7], s[6:7]
	v_mov_b32_e32 v12, s10
	s_xor_b64 exec, exec, s[6:7]
	s_cbranch_execnz .LBB54_3880
.LBB54_1830:
	s_or_b64 exec, exec, s[6:7]
	s_and_saveexec_b64 s[6:7], s[4:5]
	s_cbranch_execz .LBB54_1832
.LBB54_1831:
	v_and_b32_e32 v12, 7, v9
	v_ffbh_u32_e32 v19, v12
	v_min_u32_e32 v19, 32, v19
	v_lshrrev_b16_e32 v18, 3, v9
	v_subrev_u32_e32 v20, 28, v19
	v_and_b32_e32 v18, 15, v18
	v_lshlrev_b32_e32 v20, v20, v9
	v_sub_u32_e32 v19, 29, v19
	v_and_b32_e32 v20, 7, v20
	v_cmp_eq_u16_e32 vcc, 0, v18
	v_cndmask_b32_e32 v12, v12, v20, vcc
	v_cndmask_b32_e32 v18, v18, v19, vcc
	v_lshlrev_b32_e32 v19, 24, v9
	v_mov_b32_e32 v20, 0x3b800000
	v_lshlrev_b32_e32 v12, 20, v12
	v_and_b32_e32 v19, 0x80000000, v19
	v_lshl_add_u32 v18, v18, 23, v20
	v_or3_b32 v12, v19, v18, v12
.LBB54_1832:
	s_or_b64 exec, exec, s[6:7]
	s_nop 0
	v_mfma_f32_16x16x4f32 a[0:3], v8, v12, a[0:3]
	v_lshrrev_b32_e32 v12, 8, v13
	s_movk_i32 s4, 0x7f
	v_cmp_gt_i16_sdwa s[6:7], v12, s4 src0_sel:BYTE_0 src1_sel:DWORD
	s_mov_b64 s[4:5], 0
                                        ; implicit-def: $sgpr10
	s_and_saveexec_b64 s[8:9], s[6:7]
	s_xor_b64 s[6:7], exec, s[8:9]
	s_cbranch_execnz .LBB54_3881
; %bb.1833:
	s_or_saveexec_b64 s[6:7], s[6:7]
	v_mov_b32_e32 v8, s10
	s_xor_b64 exec, exec, s[6:7]
	s_cbranch_execnz .LBB54_3884
.LBB54_1834:
	s_or_b64 exec, exec, s[6:7]
	s_and_saveexec_b64 s[6:7], s[4:5]
	s_cbranch_execz .LBB54_1836
.LBB54_1835:
	v_bfe_u32 v8, v13, 8, 3
	v_ffbh_u32_e32 v19, v8
	v_min_u32_e32 v19, 32, v19
	v_lshrrev_b16_e32 v18, 3, v12
	v_subrev_u32_e32 v20, 28, v19
	v_and_b32_e32 v18, 15, v18
	v_lshlrev_b32_e32 v12, v20, v12
	v_sub_u32_e32 v19, 29, v19
	v_and_b32_e32 v12, 7, v12
	v_cmp_eq_u16_e32 vcc, 0, v18
	v_cndmask_b32_e32 v8, v8, v12, vcc
	v_cndmask_b32_e32 v12, v18, v19, vcc
	v_lshlrev_b32_e32 v18, 16, v13
	v_mov_b32_e32 v19, 0x3b800000
	v_lshlrev_b32_e32 v8, 20, v8
	v_and_b32_e32 v18, 0x80000000, v18
	v_lshl_add_u32 v12, v12, 23, v19
	v_or3_b32 v8, v18, v12, v8
.LBB54_1836:
	s_or_b64 exec, exec, s[6:7]
	v_lshrrev_b32_e32 v12, 8, v9
	s_movk_i32 s4, 0x7f
	v_cmp_gt_i16_sdwa s[6:7], v12, s4 src0_sel:BYTE_0 src1_sel:DWORD
	s_mov_b64 s[4:5], 0
                                        ; implicit-def: $sgpr10
	s_and_saveexec_b64 s[8:9], s[6:7]
	s_xor_b64 s[6:7], exec, s[8:9]
	s_cbranch_execnz .LBB54_3885
; %bb.1837:
	s_or_saveexec_b64 s[6:7], s[6:7]
	v_mov_b32_e32 v18, s10
	s_xor_b64 exec, exec, s[6:7]
	s_cbranch_execnz .LBB54_3888
.LBB54_1838:
	s_or_b64 exec, exec, s[6:7]
	s_and_saveexec_b64 s[6:7], s[4:5]
	s_cbranch_execz .LBB54_1840
.LBB54_1839:
	v_bfe_u32 v18, v9, 8, 3
	v_ffbh_u32_e32 v20, v18
	v_min_u32_e32 v20, 32, v20
	v_lshrrev_b16_e32 v19, 3, v12
	v_subrev_u32_e32 v21, 28, v20
	v_and_b32_e32 v19, 15, v19
	v_lshlrev_b32_e32 v12, v21, v12
	v_sub_u32_e32 v20, 29, v20
	v_and_b32_e32 v12, 7, v12
	v_cmp_eq_u16_e32 vcc, 0, v19
	v_cndmask_b32_e32 v12, v18, v12, vcc
	v_cndmask_b32_e32 v18, v19, v20, vcc
	v_lshlrev_b32_e32 v19, 16, v9
	v_mov_b32_e32 v20, 0x3b800000
	v_lshlrev_b32_e32 v12, 20, v12
	v_and_b32_e32 v19, 0x80000000, v19
	v_lshl_add_u32 v18, v18, 23, v20
	v_or3_b32 v18, v19, v18, v12
.LBB54_1840:
	s_or_b64 exec, exec, s[6:7]
	s_nop 0
	v_mfma_f32_16x16x4f32 a[0:3], v8, v18, a[0:3]
	s_movk_i32 s4, 0xff
	v_and_b32_sdwa v12, v13, s4 dst_sel:DWORD dst_unused:UNUSED_PAD src0_sel:WORD_1 src1_sel:DWORD
	s_movk_i32 s4, 0x7f
	v_cmp_lt_i16_e32 vcc, s4, v12
	s_mov_b64 s[4:5], 0
                                        ; implicit-def: $sgpr10
	s_and_saveexec_b64 s[6:7], vcc
	s_xor_b64 s[6:7], exec, s[6:7]
	s_cbranch_execnz .LBB54_3889
; %bb.1841:
	s_or_saveexec_b64 s[6:7], s[6:7]
	v_mov_b32_e32 v8, s10
	s_xor_b64 exec, exec, s[6:7]
	s_cbranch_execnz .LBB54_3892
.LBB54_1842:
	s_or_b64 exec, exec, s[6:7]
	s_and_saveexec_b64 s[6:7], s[4:5]
	s_cbranch_execz .LBB54_1844
.LBB54_1843:
	v_bfe_u32 v8, v13, 16, 3
	v_ffbh_u32_e32 v19, v8
	v_min_u32_e32 v19, 32, v19
	v_lshrrev_b32_e32 v12, 19, v13
	v_subrev_u32_e32 v20, 28, v19
	v_and_b32_e32 v12, 15, v12
	v_lshlrev_b32_sdwa v20, v20, v13 dst_sel:DWORD dst_unused:UNUSED_PAD src0_sel:DWORD src1_sel:WORD_1
	v_bfe_u32 v18, v13, 19, 4
	v_sub_u32_e32 v19, 29, v19
	v_and_b32_e32 v20, 7, v20
	v_cmp_eq_u16_e32 vcc, 0, v12
	v_cndmask_b32_e32 v8, v8, v20, vcc
	v_cndmask_b32_e32 v12, v18, v19, vcc
	v_lshlrev_b32_e32 v18, 8, v13
	v_mov_b32_e32 v19, 0x3b800000
	v_lshlrev_b32_e32 v8, 20, v8
	v_and_b32_e32 v18, 0x80000000, v18
	v_lshl_add_u32 v12, v12, 23, v19
	v_or3_b32 v8, v18, v12, v8
.LBB54_1844:
	s_or_b64 exec, exec, s[6:7]
	s_movk_i32 s4, 0xff
	v_and_b32_sdwa v12, v9, s4 dst_sel:DWORD dst_unused:UNUSED_PAD src0_sel:WORD_1 src1_sel:DWORD
	s_movk_i32 s4, 0x7f
	v_cmp_lt_i16_e32 vcc, s4, v12
	s_mov_b64 s[4:5], 0
                                        ; implicit-def: $sgpr10
	s_and_saveexec_b64 s[6:7], vcc
	s_xor_b64 s[6:7], exec, s[6:7]
	s_cbranch_execnz .LBB54_3893
; %bb.1845:
	s_or_saveexec_b64 s[6:7], s[6:7]
	v_mov_b32_e32 v18, s10
	s_xor_b64 exec, exec, s[6:7]
	s_cbranch_execnz .LBB54_3896
.LBB54_1846:
	s_or_b64 exec, exec, s[6:7]
	s_and_saveexec_b64 s[6:7], s[4:5]
	s_cbranch_execz .LBB54_1848
.LBB54_1847:
	v_bfe_u32 v12, v9, 16, 3
	v_ffbh_u32_e32 v20, v12
	v_min_u32_e32 v20, 32, v20
	v_lshrrev_b32_e32 v18, 19, v9
	v_subrev_u32_e32 v21, 28, v20
	v_and_b32_e32 v18, 15, v18
	v_lshlrev_b32_sdwa v21, v21, v9 dst_sel:DWORD dst_unused:UNUSED_PAD src0_sel:DWORD src1_sel:WORD_1
	v_bfe_u32 v19, v9, 19, 4
	v_sub_u32_e32 v20, 29, v20
	v_and_b32_e32 v21, 7, v21
	v_cmp_eq_u16_e32 vcc, 0, v18
	v_cndmask_b32_e32 v12, v12, v21, vcc
	v_cndmask_b32_e32 v18, v19, v20, vcc
	v_lshlrev_b32_e32 v19, 8, v9
	v_mov_b32_e32 v20, 0x3b800000
	v_lshlrev_b32_e32 v12, 20, v12
	v_and_b32_e32 v19, 0x80000000, v19
	v_lshl_add_u32 v18, v18, 23, v20
	v_or3_b32 v18, v19, v18, v12
.LBB54_1848:
	s_or_b64 exec, exec, s[6:7]
	s_nop 0
	v_mfma_f32_16x16x4f32 a[0:3], v8, v18, a[0:3]
	s_movk_i32 s4, 0x7f
	v_cmp_gt_i16_sdwa s[6:7], v13, s4 src0_sel:BYTE_3 src1_sel:DWORD
	s_mov_b64 s[4:5], 0
                                        ; implicit-def: $sgpr10
	s_and_saveexec_b64 s[8:9], s[6:7]
	s_xor_b64 s[6:7], exec, s[8:9]
	s_cbranch_execnz .LBB54_3897
; %bb.1849:
	s_or_saveexec_b64 s[6:7], s[6:7]
	v_mov_b32_e32 v8, s10
	s_xor_b64 exec, exec, s[6:7]
	s_cbranch_execnz .LBB54_3900
.LBB54_1850:
	s_or_b64 exec, exec, s[6:7]
	s_and_saveexec_b64 s[6:7], s[4:5]
	s_cbranch_execz .LBB54_1852
.LBB54_1851:
	v_bfe_u32 v8, v13, 24, 3
	v_ffbh_u32_e32 v20, v8
	v_min_u32_e32 v20, 32, v20
	v_lshrrev_b32_e32 v18, 27, v13
	v_subrev_u32_e32 v21, 28, v20
	v_and_b32_e32 v12, 0x80000000, v13
	v_and_b32_e32 v18, 15, v18
	v_bfe_u32 v19, v13, 27, 4
	v_lshlrev_b32_sdwa v13, v21, v13 dst_sel:DWORD dst_unused:UNUSED_PAD src0_sel:DWORD src1_sel:BYTE_3
	v_sub_u32_e32 v20, 29, v20
	v_and_b32_e32 v13, 7, v13
	v_cmp_eq_u16_e32 vcc, 0, v18
	v_cndmask_b32_e32 v8, v8, v13, vcc
	v_cndmask_b32_e32 v13, v19, v20, vcc
	v_mov_b32_e32 v18, 0x3b800000
	v_lshlrev_b32_e32 v8, 20, v8
	v_lshl_add_u32 v13, v13, 23, v18
	v_or3_b32 v8, v12, v13, v8
.LBB54_1852:
	s_or_b64 exec, exec, s[6:7]
	s_movk_i32 s4, 0x7f
	v_cmp_gt_i16_sdwa s[6:7], v9, s4 src0_sel:BYTE_3 src1_sel:DWORD
	s_mov_b64 s[4:5], 0
                                        ; implicit-def: $sgpr10
	s_and_saveexec_b64 s[8:9], s[6:7]
	s_xor_b64 s[6:7], exec, s[8:9]
	s_cbranch_execnz .LBB54_3901
; %bb.1853:
	s_or_saveexec_b64 s[6:7], s[6:7]
	v_mov_b32_e32 v12, s10
	s_xor_b64 exec, exec, s[6:7]
	s_cbranch_execnz .LBB54_3904
.LBB54_1854:
	s_or_b64 exec, exec, s[6:7]
	s_and_saveexec_b64 s[6:7], s[4:5]
	s_cbranch_execz .LBB54_1856
.LBB54_1855:
	v_bfe_u32 v12, v9, 24, 3
	v_ffbh_u32_e32 v20, v12
	v_min_u32_e32 v20, 32, v20
	v_lshrrev_b32_e32 v18, 27, v9
	v_subrev_u32_e32 v21, 28, v20
	v_and_b32_e32 v13, 0x80000000, v9
	v_and_b32_e32 v18, 15, v18
	v_bfe_u32 v19, v9, 27, 4
	v_lshlrev_b32_sdwa v9, v21, v9 dst_sel:DWORD dst_unused:UNUSED_PAD src0_sel:DWORD src1_sel:BYTE_3
	v_sub_u32_e32 v20, 29, v20
	v_and_b32_e32 v9, 7, v9
	v_cmp_eq_u16_e32 vcc, 0, v18
	v_cndmask_b32_e32 v9, v12, v9, vcc
	v_cndmask_b32_e32 v12, v19, v20, vcc
	v_mov_b32_e32 v18, 0x3b800000
	v_lshlrev_b32_e32 v9, 20, v9
	v_lshl_add_u32 v12, v12, 23, v18
	v_or3_b32 v12, v13, v12, v9
.LBB54_1856:
	s_or_b64 exec, exec, s[6:7]
	s_nop 0
	v_mfma_f32_16x16x4f32 a[0:3], v8, v12, a[0:3]
	s_movk_i32 s4, 0x7f
	v_cmp_gt_i16_sdwa s[6:7], v14, s4 src0_sel:BYTE_0 src1_sel:DWORD
	s_mov_b64 s[4:5], 0
                                        ; implicit-def: $sgpr10
	s_and_saveexec_b64 s[8:9], s[6:7]
	s_xor_b64 s[6:7], exec, s[8:9]
	s_cbranch_execnz .LBB54_3905
; %bb.1857:
	s_or_saveexec_b64 s[6:7], s[6:7]
	v_mov_b32_e32 v8, s10
	s_xor_b64 exec, exec, s[6:7]
	s_cbranch_execnz .LBB54_3908
.LBB54_1858:
	s_or_b64 exec, exec, s[6:7]
	s_and_saveexec_b64 s[6:7], s[4:5]
	s_cbranch_execz .LBB54_1860
.LBB54_1859:
	v_and_b32_e32 v8, 7, v14
	v_ffbh_u32_e32 v12, v8
	v_min_u32_e32 v12, 32, v12
	v_lshrrev_b16_e32 v9, 3, v14
	v_subrev_u32_e32 v13, 28, v12
	v_and_b32_e32 v9, 15, v9
	v_lshlrev_b32_e32 v13, v13, v14
	v_sub_u32_e32 v12, 29, v12
	v_and_b32_e32 v13, 7, v13
	v_cmp_eq_u16_e32 vcc, 0, v9
	v_cndmask_b32_e32 v8, v8, v13, vcc
	v_cndmask_b32_e32 v9, v9, v12, vcc
	v_lshlrev_b32_e32 v12, 24, v14
	v_mov_b32_e32 v13, 0x3b800000
	v_lshlrev_b32_e32 v8, 20, v8
	v_and_b32_e32 v12, 0x80000000, v12
	v_lshl_add_u32 v9, v9, 23, v13
	v_or3_b32 v8, v12, v9, v8
.LBB54_1860:
	s_or_b64 exec, exec, s[6:7]
	s_movk_i32 s4, 0x7f
	v_cmp_gt_i16_sdwa s[6:7], v10, s4 src0_sel:BYTE_0 src1_sel:DWORD
	s_mov_b64 s[4:5], 0
                                        ; implicit-def: $sgpr10
	s_and_saveexec_b64 s[8:9], s[6:7]
	s_xor_b64 s[6:7], exec, s[8:9]
	s_cbranch_execnz .LBB54_3909
; %bb.1861:
	s_or_saveexec_b64 s[6:7], s[6:7]
	v_mov_b32_e32 v9, s10
	s_xor_b64 exec, exec, s[6:7]
	s_cbranch_execnz .LBB54_3912
.LBB54_1862:
	s_or_b64 exec, exec, s[6:7]
	s_and_saveexec_b64 s[6:7], s[4:5]
	s_cbranch_execz .LBB54_1864
.LBB54_1863:
	v_and_b32_e32 v9, 7, v10
	v_ffbh_u32_e32 v13, v9
	v_min_u32_e32 v13, 32, v13
	v_lshrrev_b16_e32 v12, 3, v10
	v_subrev_u32_e32 v18, 28, v13
	v_and_b32_e32 v12, 15, v12
	v_lshlrev_b32_e32 v18, v18, v10
	v_sub_u32_e32 v13, 29, v13
	v_and_b32_e32 v18, 7, v18
	v_cmp_eq_u16_e32 vcc, 0, v12
	v_cndmask_b32_e32 v9, v9, v18, vcc
	v_cndmask_b32_e32 v12, v12, v13, vcc
	v_lshlrev_b32_e32 v13, 24, v10
	v_mov_b32_e32 v18, 0x3b800000
	v_lshlrev_b32_e32 v9, 20, v9
	v_and_b32_e32 v13, 0x80000000, v13
	v_lshl_add_u32 v12, v12, 23, v18
	v_or3_b32 v9, v13, v12, v9
.LBB54_1864:
	s_or_b64 exec, exec, s[6:7]
	s_nop 0
	v_mfma_f32_16x16x4f32 a[0:3], v8, v9, a[0:3]
	v_lshrrev_b32_e32 v9, 8, v14
	s_movk_i32 s4, 0x7f
	v_cmp_gt_i16_sdwa s[6:7], v9, s4 src0_sel:BYTE_0 src1_sel:DWORD
	s_mov_b64 s[4:5], 0
                                        ; implicit-def: $sgpr10
	s_and_saveexec_b64 s[8:9], s[6:7]
	s_xor_b64 s[6:7], exec, s[8:9]
	s_cbranch_execnz .LBB54_3913
; %bb.1865:
	s_or_saveexec_b64 s[6:7], s[6:7]
	v_mov_b32_e32 v8, s10
	s_xor_b64 exec, exec, s[6:7]
	s_cbranch_execnz .LBB54_3916
.LBB54_1866:
	s_or_b64 exec, exec, s[6:7]
	s_and_saveexec_b64 s[6:7], s[4:5]
	s_cbranch_execz .LBB54_1868
.LBB54_1867:
	v_bfe_u32 v8, v14, 8, 3
	v_ffbh_u32_e32 v13, v8
	v_min_u32_e32 v13, 32, v13
	v_lshrrev_b16_e32 v12, 3, v9
	v_subrev_u32_e32 v18, 28, v13
	v_and_b32_e32 v12, 15, v12
	v_lshlrev_b32_e32 v9, v18, v9
	v_sub_u32_e32 v13, 29, v13
	v_and_b32_e32 v9, 7, v9
	v_cmp_eq_u16_e32 vcc, 0, v12
	v_cndmask_b32_e32 v8, v8, v9, vcc
	v_cndmask_b32_e32 v9, v12, v13, vcc
	v_lshlrev_b32_e32 v12, 16, v14
	v_mov_b32_e32 v13, 0x3b800000
	v_lshlrev_b32_e32 v8, 20, v8
	v_and_b32_e32 v12, 0x80000000, v12
	v_lshl_add_u32 v9, v9, 23, v13
	v_or3_b32 v8, v12, v9, v8
.LBB54_1868:
	s_or_b64 exec, exec, s[6:7]
	v_lshrrev_b32_e32 v9, 8, v10
	s_movk_i32 s4, 0x7f
	v_cmp_gt_i16_sdwa s[6:7], v9, s4 src0_sel:BYTE_0 src1_sel:DWORD
	s_mov_b64 s[4:5], 0
                                        ; implicit-def: $sgpr10
	s_and_saveexec_b64 s[8:9], s[6:7]
	s_xor_b64 s[6:7], exec, s[8:9]
	s_cbranch_execnz .LBB54_3917
; %bb.1869:
	s_or_saveexec_b64 s[6:7], s[6:7]
	v_mov_b32_e32 v12, s10
	s_xor_b64 exec, exec, s[6:7]
	s_cbranch_execnz .LBB54_3920
.LBB54_1870:
	s_or_b64 exec, exec, s[6:7]
	s_and_saveexec_b64 s[6:7], s[4:5]
	s_cbranch_execz .LBB54_1872
.LBB54_1871:
	v_bfe_u32 v12, v10, 8, 3
	v_ffbh_u32_e32 v18, v12
	v_min_u32_e32 v18, 32, v18
	v_lshrrev_b16_e32 v13, 3, v9
	v_subrev_u32_e32 v19, 28, v18
	v_and_b32_e32 v13, 15, v13
	v_lshlrev_b32_e32 v9, v19, v9
	v_sub_u32_e32 v18, 29, v18
	v_and_b32_e32 v9, 7, v9
	v_cmp_eq_u16_e32 vcc, 0, v13
	v_cndmask_b32_e32 v9, v12, v9, vcc
	v_cndmask_b32_e32 v12, v13, v18, vcc
	v_lshlrev_b32_e32 v13, 16, v10
	v_mov_b32_e32 v18, 0x3b800000
	v_lshlrev_b32_e32 v9, 20, v9
	v_and_b32_e32 v13, 0x80000000, v13
	v_lshl_add_u32 v12, v12, 23, v18
	v_or3_b32 v12, v13, v12, v9
.LBB54_1872:
	s_or_b64 exec, exec, s[6:7]
	s_nop 0
	v_mfma_f32_16x16x4f32 a[0:3], v8, v12, a[0:3]
	s_movk_i32 s4, 0xff
	v_and_b32_sdwa v9, v14, s4 dst_sel:DWORD dst_unused:UNUSED_PAD src0_sel:WORD_1 src1_sel:DWORD
	s_movk_i32 s4, 0x7f
	v_cmp_lt_i16_e32 vcc, s4, v9
	s_mov_b64 s[4:5], 0
                                        ; implicit-def: $sgpr10
	s_and_saveexec_b64 s[6:7], vcc
	s_xor_b64 s[6:7], exec, s[6:7]
	s_cbranch_execnz .LBB54_3921
; %bb.1873:
	s_or_saveexec_b64 s[6:7], s[6:7]
	v_mov_b32_e32 v8, s10
	s_xor_b64 exec, exec, s[6:7]
	s_cbranch_execnz .LBB54_3924
.LBB54_1874:
	s_or_b64 exec, exec, s[6:7]
	s_and_saveexec_b64 s[6:7], s[4:5]
	s_cbranch_execz .LBB54_1876
.LBB54_1875:
	v_bfe_u32 v8, v14, 16, 3
	v_ffbh_u32_e32 v13, v8
	v_min_u32_e32 v13, 32, v13
	v_lshrrev_b32_e32 v9, 19, v14
	v_subrev_u32_e32 v18, 28, v13
	v_and_b32_e32 v9, 15, v9
	v_lshlrev_b32_sdwa v18, v18, v14 dst_sel:DWORD dst_unused:UNUSED_PAD src0_sel:DWORD src1_sel:WORD_1
	v_bfe_u32 v12, v14, 19, 4
	v_sub_u32_e32 v13, 29, v13
	v_and_b32_e32 v18, 7, v18
	v_cmp_eq_u16_e32 vcc, 0, v9
	v_cndmask_b32_e32 v8, v8, v18, vcc
	v_cndmask_b32_e32 v9, v12, v13, vcc
	v_lshlrev_b32_e32 v12, 8, v14
	v_mov_b32_e32 v13, 0x3b800000
	v_lshlrev_b32_e32 v8, 20, v8
	v_and_b32_e32 v12, 0x80000000, v12
	v_lshl_add_u32 v9, v9, 23, v13
	v_or3_b32 v8, v12, v9, v8
.LBB54_1876:
	s_or_b64 exec, exec, s[6:7]
	s_movk_i32 s4, 0xff
	v_and_b32_sdwa v9, v10, s4 dst_sel:DWORD dst_unused:UNUSED_PAD src0_sel:WORD_1 src1_sel:DWORD
	s_movk_i32 s4, 0x7f
	v_cmp_lt_i16_e32 vcc, s4, v9
	s_mov_b64 s[4:5], 0
                                        ; implicit-def: $sgpr10
	s_and_saveexec_b64 s[6:7], vcc
	s_xor_b64 s[6:7], exec, s[6:7]
	s_cbranch_execnz .LBB54_3925
; %bb.1877:
	s_or_saveexec_b64 s[6:7], s[6:7]
	v_mov_b32_e32 v12, s10
	s_xor_b64 exec, exec, s[6:7]
	s_cbranch_execnz .LBB54_3928
.LBB54_1878:
	s_or_b64 exec, exec, s[6:7]
	s_and_saveexec_b64 s[6:7], s[4:5]
	s_cbranch_execz .LBB54_1880
.LBB54_1879:
	v_bfe_u32 v9, v10, 16, 3
	v_ffbh_u32_e32 v18, v9
	v_min_u32_e32 v18, 32, v18
	v_lshrrev_b32_e32 v12, 19, v10
	v_subrev_u32_e32 v19, 28, v18
	v_and_b32_e32 v12, 15, v12
	v_lshlrev_b32_sdwa v19, v19, v10 dst_sel:DWORD dst_unused:UNUSED_PAD src0_sel:DWORD src1_sel:WORD_1
	v_bfe_u32 v13, v10, 19, 4
	v_sub_u32_e32 v18, 29, v18
	v_and_b32_e32 v19, 7, v19
	v_cmp_eq_u16_e32 vcc, 0, v12
	v_cndmask_b32_e32 v9, v9, v19, vcc
	v_cndmask_b32_e32 v12, v13, v18, vcc
	v_lshlrev_b32_e32 v13, 8, v10
	v_mov_b32_e32 v18, 0x3b800000
	v_lshlrev_b32_e32 v9, 20, v9
	v_and_b32_e32 v13, 0x80000000, v13
	v_lshl_add_u32 v12, v12, 23, v18
	v_or3_b32 v12, v13, v12, v9
.LBB54_1880:
	s_or_b64 exec, exec, s[6:7]
	s_nop 0
	v_mfma_f32_16x16x4f32 a[0:3], v8, v12, a[0:3]
	s_movk_i32 s4, 0x7f
	v_cmp_gt_i16_sdwa s[6:7], v14, s4 src0_sel:BYTE_3 src1_sel:DWORD
	s_mov_b64 s[4:5], 0
                                        ; implicit-def: $sgpr10
	s_and_saveexec_b64 s[8:9], s[6:7]
	s_xor_b64 s[6:7], exec, s[8:9]
	s_cbranch_execnz .LBB54_3929
; %bb.1881:
	s_or_saveexec_b64 s[6:7], s[6:7]
	v_mov_b32_e32 v8, s10
	s_xor_b64 exec, exec, s[6:7]
	s_cbranch_execnz .LBB54_3932
.LBB54_1882:
	s_or_b64 exec, exec, s[6:7]
	s_and_saveexec_b64 s[6:7], s[4:5]
	s_cbranch_execz .LBB54_1884
.LBB54_1883:
	v_bfe_u32 v8, v14, 24, 3
	v_ffbh_u32_e32 v18, v8
	v_min_u32_e32 v18, 32, v18
	v_lshrrev_b32_e32 v12, 27, v14
	v_subrev_u32_e32 v19, 28, v18
	v_and_b32_e32 v9, 0x80000000, v14
	v_and_b32_e32 v12, 15, v12
	v_bfe_u32 v13, v14, 27, 4
	v_lshlrev_b32_sdwa v14, v19, v14 dst_sel:DWORD dst_unused:UNUSED_PAD src0_sel:DWORD src1_sel:BYTE_3
	v_sub_u32_e32 v18, 29, v18
	v_and_b32_e32 v14, 7, v14
	v_cmp_eq_u16_e32 vcc, 0, v12
	v_cndmask_b32_e32 v8, v8, v14, vcc
	v_cndmask_b32_e32 v12, v13, v18, vcc
	v_mov_b32_e32 v13, 0x3b800000
	v_lshlrev_b32_e32 v8, 20, v8
	v_lshl_add_u32 v12, v12, 23, v13
	v_or3_b32 v8, v9, v12, v8
.LBB54_1884:
	s_or_b64 exec, exec, s[6:7]
	s_movk_i32 s4, 0x7f
	v_cmp_gt_i16_sdwa s[6:7], v10, s4 src0_sel:BYTE_3 src1_sel:DWORD
	s_mov_b64 s[4:5], 0
                                        ; implicit-def: $sgpr10
	s_and_saveexec_b64 s[8:9], s[6:7]
	s_xor_b64 s[6:7], exec, s[8:9]
	s_cbranch_execnz .LBB54_3933
; %bb.1885:
	s_or_saveexec_b64 s[6:7], s[6:7]
	v_mov_b32_e32 v9, s10
	s_xor_b64 exec, exec, s[6:7]
	s_cbranch_execnz .LBB54_3936
.LBB54_1886:
	s_or_b64 exec, exec, s[6:7]
	s_and_saveexec_b64 s[6:7], s[4:5]
	s_cbranch_execz .LBB54_1888
.LBB54_1887:
	v_bfe_u32 v9, v10, 24, 3
	v_ffbh_u32_e32 v18, v9
	v_min_u32_e32 v18, 32, v18
	v_lshrrev_b32_e32 v13, 27, v10
	v_subrev_u32_e32 v19, 28, v18
	v_and_b32_e32 v12, 0x80000000, v10
	v_and_b32_e32 v13, 15, v13
	v_bfe_u32 v14, v10, 27, 4
	v_lshlrev_b32_sdwa v10, v19, v10 dst_sel:DWORD dst_unused:UNUSED_PAD src0_sel:DWORD src1_sel:BYTE_3
	v_sub_u32_e32 v18, 29, v18
	v_and_b32_e32 v10, 7, v10
	v_cmp_eq_u16_e32 vcc, 0, v13
	v_cndmask_b32_e32 v9, v9, v10, vcc
	v_cndmask_b32_e32 v10, v14, v18, vcc
	v_mov_b32_e32 v13, 0x3b800000
	v_lshlrev_b32_e32 v9, 20, v9
	v_lshl_add_u32 v10, v10, 23, v13
	v_or3_b32 v9, v12, v10, v9
.LBB54_1888:
	s_or_b64 exec, exec, s[6:7]
	s_nop 0
	v_mfma_f32_16x16x4f32 a[0:3], v8, v9, a[0:3]
	s_movk_i32 s4, 0x7f
	v_cmp_gt_i16_sdwa s[6:7], v15, s4 src0_sel:BYTE_0 src1_sel:DWORD
	s_mov_b64 s[4:5], 0
                                        ; implicit-def: $sgpr10
	s_and_saveexec_b64 s[8:9], s[6:7]
	s_xor_b64 s[6:7], exec, s[8:9]
	s_cbranch_execnz .LBB54_3937
; %bb.1889:
	s_or_saveexec_b64 s[6:7], s[6:7]
	v_mov_b32_e32 v8, s10
	s_xor_b64 exec, exec, s[6:7]
	s_cbranch_execnz .LBB54_3940
.LBB54_1890:
	s_or_b64 exec, exec, s[6:7]
	s_and_saveexec_b64 s[6:7], s[4:5]
	s_cbranch_execz .LBB54_1892
.LBB54_1891:
	v_and_b32_e32 v8, 7, v15
	v_ffbh_u32_e32 v10, v8
	v_min_u32_e32 v10, 32, v10
	v_lshrrev_b16_e32 v9, 3, v15
	v_subrev_u32_e32 v12, 28, v10
	v_and_b32_e32 v9, 15, v9
	v_lshlrev_b32_e32 v12, v12, v15
	v_sub_u32_e32 v10, 29, v10
	v_and_b32_e32 v12, 7, v12
	v_cmp_eq_u16_e32 vcc, 0, v9
	v_cndmask_b32_e32 v8, v8, v12, vcc
	v_cndmask_b32_e32 v9, v9, v10, vcc
	v_lshlrev_b32_e32 v10, 24, v15
	v_mov_b32_e32 v12, 0x3b800000
	v_lshlrev_b32_e32 v8, 20, v8
	v_and_b32_e32 v10, 0x80000000, v10
	v_lshl_add_u32 v9, v9, 23, v12
	v_or3_b32 v8, v10, v9, v8
.LBB54_1892:
	s_or_b64 exec, exec, s[6:7]
	s_movk_i32 s4, 0x7f
	v_cmp_gt_i16_sdwa s[6:7], v11, s4 src0_sel:BYTE_0 src1_sel:DWORD
	s_mov_b64 s[4:5], 0
                                        ; implicit-def: $sgpr10
	s_and_saveexec_b64 s[8:9], s[6:7]
	s_xor_b64 s[6:7], exec, s[8:9]
	s_cbranch_execnz .LBB54_3941
; %bb.1893:
	s_or_saveexec_b64 s[6:7], s[6:7]
	v_mov_b32_e32 v9, s10
	s_xor_b64 exec, exec, s[6:7]
	s_cbranch_execnz .LBB54_3944
.LBB54_1894:
	s_or_b64 exec, exec, s[6:7]
	s_and_saveexec_b64 s[6:7], s[4:5]
	s_cbranch_execz .LBB54_1896
.LBB54_1895:
	v_and_b32_e32 v9, 7, v11
	v_ffbh_u32_e32 v12, v9
	v_min_u32_e32 v12, 32, v12
	v_lshrrev_b16_e32 v10, 3, v11
	v_subrev_u32_e32 v13, 28, v12
	v_and_b32_e32 v10, 15, v10
	v_lshlrev_b32_e32 v13, v13, v11
	v_sub_u32_e32 v12, 29, v12
	v_and_b32_e32 v13, 7, v13
	v_cmp_eq_u16_e32 vcc, 0, v10
	v_cndmask_b32_e32 v9, v9, v13, vcc
	v_cndmask_b32_e32 v10, v10, v12, vcc
	v_lshlrev_b32_e32 v12, 24, v11
	v_mov_b32_e32 v13, 0x3b800000
	v_lshlrev_b32_e32 v9, 20, v9
	v_and_b32_e32 v12, 0x80000000, v12
	v_lshl_add_u32 v10, v10, 23, v13
	v_or3_b32 v9, v12, v10, v9
.LBB54_1896:
	s_or_b64 exec, exec, s[6:7]
	s_nop 0
	v_mfma_f32_16x16x4f32 a[0:3], v8, v9, a[0:3]
	v_lshrrev_b32_e32 v9, 8, v15
	s_movk_i32 s4, 0x7f
	v_cmp_gt_i16_sdwa s[6:7], v9, s4 src0_sel:BYTE_0 src1_sel:DWORD
	s_mov_b64 s[4:5], 0
                                        ; implicit-def: $sgpr10
	s_and_saveexec_b64 s[8:9], s[6:7]
	s_xor_b64 s[6:7], exec, s[8:9]
	s_cbranch_execnz .LBB54_3945
; %bb.1897:
	s_or_saveexec_b64 s[6:7], s[6:7]
	v_mov_b32_e32 v8, s10
	s_xor_b64 exec, exec, s[6:7]
	s_cbranch_execnz .LBB54_3948
.LBB54_1898:
	s_or_b64 exec, exec, s[6:7]
	s_and_saveexec_b64 s[6:7], s[4:5]
	s_cbranch_execz .LBB54_1900
.LBB54_1899:
	v_bfe_u32 v8, v15, 8, 3
	v_ffbh_u32_e32 v12, v8
	v_min_u32_e32 v12, 32, v12
	v_lshrrev_b16_e32 v10, 3, v9
	v_subrev_u32_e32 v13, 28, v12
	v_and_b32_e32 v10, 15, v10
	v_lshlrev_b32_e32 v9, v13, v9
	v_sub_u32_e32 v12, 29, v12
	v_and_b32_e32 v9, 7, v9
	v_cmp_eq_u16_e32 vcc, 0, v10
	v_cndmask_b32_e32 v8, v8, v9, vcc
	v_cndmask_b32_e32 v9, v10, v12, vcc
	v_lshlrev_b32_e32 v10, 16, v15
	v_mov_b32_e32 v12, 0x3b800000
	v_lshlrev_b32_e32 v8, 20, v8
	v_and_b32_e32 v10, 0x80000000, v10
	v_lshl_add_u32 v9, v9, 23, v12
	v_or3_b32 v8, v10, v9, v8
.LBB54_1900:
	s_or_b64 exec, exec, s[6:7]
	v_lshrrev_b32_e32 v9, 8, v11
	s_movk_i32 s4, 0x7f
	v_cmp_gt_i16_sdwa s[6:7], v9, s4 src0_sel:BYTE_0 src1_sel:DWORD
	s_mov_b64 s[4:5], 0
                                        ; implicit-def: $sgpr10
	s_and_saveexec_b64 s[8:9], s[6:7]
	s_xor_b64 s[6:7], exec, s[8:9]
	s_cbranch_execnz .LBB54_3949
; %bb.1901:
	s_or_saveexec_b64 s[6:7], s[6:7]
	v_mov_b32_e32 v10, s10
	s_xor_b64 exec, exec, s[6:7]
	s_cbranch_execnz .LBB54_3952
.LBB54_1902:
	s_or_b64 exec, exec, s[6:7]
	s_and_saveexec_b64 s[6:7], s[4:5]
	s_cbranch_execz .LBB54_1904
.LBB54_1903:
	v_bfe_u32 v10, v11, 8, 3
	v_ffbh_u32_e32 v13, v10
	v_min_u32_e32 v13, 32, v13
	v_lshrrev_b16_e32 v12, 3, v9
	v_subrev_u32_e32 v14, 28, v13
	v_and_b32_e32 v12, 15, v12
	v_lshlrev_b32_e32 v9, v14, v9
	v_sub_u32_e32 v13, 29, v13
	v_and_b32_e32 v9, 7, v9
	v_cmp_eq_u16_e32 vcc, 0, v12
	v_cndmask_b32_e32 v9, v10, v9, vcc
	v_cndmask_b32_e32 v10, v12, v13, vcc
	v_lshlrev_b32_e32 v12, 16, v11
	v_mov_b32_e32 v13, 0x3b800000
	v_lshlrev_b32_e32 v9, 20, v9
	v_and_b32_e32 v12, 0x80000000, v12
	v_lshl_add_u32 v10, v10, 23, v13
	v_or3_b32 v10, v12, v10, v9
.LBB54_1904:
	s_or_b64 exec, exec, s[6:7]
	s_nop 0
	v_mfma_f32_16x16x4f32 a[0:3], v8, v10, a[0:3]
	s_movk_i32 s4, 0xff
	v_and_b32_sdwa v9, v15, s4 dst_sel:DWORD dst_unused:UNUSED_PAD src0_sel:WORD_1 src1_sel:DWORD
	s_movk_i32 s4, 0x7f
	v_cmp_lt_i16_e32 vcc, s4, v9
	s_mov_b64 s[4:5], 0
                                        ; implicit-def: $sgpr10
	s_and_saveexec_b64 s[6:7], vcc
	s_xor_b64 s[6:7], exec, s[6:7]
	s_cbranch_execnz .LBB54_3953
; %bb.1905:
	s_or_saveexec_b64 s[6:7], s[6:7]
	v_mov_b32_e32 v8, s10
	s_xor_b64 exec, exec, s[6:7]
	s_cbranch_execnz .LBB54_3956
.LBB54_1906:
	s_or_b64 exec, exec, s[6:7]
	s_and_saveexec_b64 s[6:7], s[4:5]
	s_cbranch_execz .LBB54_1908
.LBB54_1907:
	v_bfe_u32 v8, v15, 16, 3
	v_ffbh_u32_e32 v12, v8
	v_min_u32_e32 v12, 32, v12
	v_lshrrev_b32_e32 v9, 19, v15
	v_subrev_u32_e32 v13, 28, v12
	v_and_b32_e32 v9, 15, v9
	v_lshlrev_b32_sdwa v13, v13, v15 dst_sel:DWORD dst_unused:UNUSED_PAD src0_sel:DWORD src1_sel:WORD_1
	v_bfe_u32 v10, v15, 19, 4
	v_sub_u32_e32 v12, 29, v12
	v_and_b32_e32 v13, 7, v13
	v_cmp_eq_u16_e32 vcc, 0, v9
	v_cndmask_b32_e32 v8, v8, v13, vcc
	v_cndmask_b32_e32 v9, v10, v12, vcc
	v_lshlrev_b32_e32 v10, 8, v15
	v_mov_b32_e32 v12, 0x3b800000
	v_lshlrev_b32_e32 v8, 20, v8
	v_and_b32_e32 v10, 0x80000000, v10
	v_lshl_add_u32 v9, v9, 23, v12
	v_or3_b32 v8, v10, v9, v8
.LBB54_1908:
	s_or_b64 exec, exec, s[6:7]
	s_movk_i32 s4, 0xff
	v_and_b32_sdwa v9, v11, s4 dst_sel:DWORD dst_unused:UNUSED_PAD src0_sel:WORD_1 src1_sel:DWORD
	s_movk_i32 s4, 0x7f
	v_cmp_lt_i16_e32 vcc, s4, v9
	s_mov_b64 s[4:5], 0
                                        ; implicit-def: $sgpr10
	s_and_saveexec_b64 s[6:7], vcc
	s_xor_b64 s[6:7], exec, s[6:7]
	s_cbranch_execnz .LBB54_3957
; %bb.1909:
	s_or_saveexec_b64 s[6:7], s[6:7]
	v_mov_b32_e32 v10, s10
	s_xor_b64 exec, exec, s[6:7]
	s_cbranch_execnz .LBB54_3960
.LBB54_1910:
	s_or_b64 exec, exec, s[6:7]
	s_and_saveexec_b64 s[6:7], s[4:5]
	s_cbranch_execz .LBB54_1912
.LBB54_1911:
	v_bfe_u32 v9, v11, 16, 3
	v_ffbh_u32_e32 v13, v9
	v_min_u32_e32 v13, 32, v13
	v_lshrrev_b32_e32 v10, 19, v11
	v_subrev_u32_e32 v14, 28, v13
	v_and_b32_e32 v10, 15, v10
	v_lshlrev_b32_sdwa v14, v14, v11 dst_sel:DWORD dst_unused:UNUSED_PAD src0_sel:DWORD src1_sel:WORD_1
	v_bfe_u32 v12, v11, 19, 4
	v_sub_u32_e32 v13, 29, v13
	v_and_b32_e32 v14, 7, v14
	v_cmp_eq_u16_e32 vcc, 0, v10
	v_cndmask_b32_e32 v9, v9, v14, vcc
	v_cndmask_b32_e32 v10, v12, v13, vcc
	v_lshlrev_b32_e32 v12, 8, v11
	v_mov_b32_e32 v13, 0x3b800000
	v_lshlrev_b32_e32 v9, 20, v9
	v_and_b32_e32 v12, 0x80000000, v12
	v_lshl_add_u32 v10, v10, 23, v13
	v_or3_b32 v10, v12, v10, v9
.LBB54_1912:
	s_or_b64 exec, exec, s[6:7]
	s_nop 0
	v_mfma_f32_16x16x4f32 a[0:3], v8, v10, a[0:3]
	s_movk_i32 s4, 0x7f
	v_cmp_gt_i16_sdwa s[6:7], v15, s4 src0_sel:BYTE_3 src1_sel:DWORD
	s_mov_b64 s[4:5], 0
                                        ; implicit-def: $sgpr10
	s_and_saveexec_b64 s[8:9], s[6:7]
	s_xor_b64 s[6:7], exec, s[8:9]
	s_cbranch_execnz .LBB54_3961
; %bb.1913:
	s_or_saveexec_b64 s[6:7], s[6:7]
	v_mov_b32_e32 v8, s10
	s_xor_b64 exec, exec, s[6:7]
	s_cbranch_execnz .LBB54_3964
.LBB54_1914:
	s_or_b64 exec, exec, s[6:7]
	s_and_saveexec_b64 s[6:7], s[4:5]
	s_cbranch_execz .LBB54_1916
.LBB54_1915:
	v_bfe_u32 v8, v15, 24, 3
	v_ffbh_u32_e32 v13, v8
	v_min_u32_e32 v13, 32, v13
	v_lshrrev_b32_e32 v10, 27, v15
	v_subrev_u32_e32 v14, 28, v13
	v_and_b32_e32 v10, 15, v10
	v_lshlrev_b32_sdwa v14, v14, v15 dst_sel:DWORD dst_unused:UNUSED_PAD src0_sel:DWORD src1_sel:BYTE_3
	v_bfe_u32 v12, v15, 27, 4
	v_sub_u32_e32 v13, 29, v13
	v_and_b32_e32 v14, 7, v14
	v_cmp_eq_u16_e32 vcc, 0, v10
	v_cndmask_b32_e32 v8, v8, v14, vcc
	v_cndmask_b32_e32 v10, v12, v13, vcc
	v_mov_b32_e32 v12, 0x3b800000
	v_and_b32_e32 v9, 0x80000000, v15
	v_lshlrev_b32_e32 v8, 20, v8
	v_lshl_add_u32 v10, v10, 23, v12
	v_or3_b32 v8, v9, v10, v8
.LBB54_1916:
	s_or_b64 exec, exec, s[6:7]
	s_movk_i32 s4, 0x7f
	v_cmp_gt_i16_sdwa s[6:7], v11, s4 src0_sel:BYTE_3 src1_sel:DWORD
	s_mov_b64 s[4:5], 0
                                        ; implicit-def: $sgpr10
	s_and_saveexec_b64 s[8:9], s[6:7]
	s_xor_b64 s[6:7], exec, s[8:9]
	s_cbranch_execnz .LBB54_3965
; %bb.1917:
	s_or_saveexec_b64 s[6:7], s[6:7]
	v_mov_b32_e32 v9, s10
	s_xor_b64 exec, exec, s[6:7]
	s_cbranch_execnz .LBB54_3968
.LBB54_1918:
	s_or_b64 exec, exec, s[6:7]
	s_and_saveexec_b64 s[6:7], s[4:5]
	s_cbranch_execz .LBB54_1920
.LBB54_1919:
	v_bfe_u32 v9, v11, 24, 3
	v_ffbh_u32_e32 v14, v9
	v_min_u32_e32 v14, 32, v14
	v_lshrrev_b32_e32 v12, 27, v11
	v_subrev_u32_e32 v15, 28, v14
	v_and_b32_e32 v10, 0x80000000, v11
	v_and_b32_e32 v12, 15, v12
	v_bfe_u32 v13, v11, 27, 4
	v_lshlrev_b32_sdwa v11, v15, v11 dst_sel:DWORD dst_unused:UNUSED_PAD src0_sel:DWORD src1_sel:BYTE_3
	v_sub_u32_e32 v14, 29, v14
	v_and_b32_e32 v11, 7, v11
	v_cmp_eq_u16_e32 vcc, 0, v12
	v_cndmask_b32_e32 v9, v9, v11, vcc
	v_cndmask_b32_e32 v11, v13, v14, vcc
	v_mov_b32_e32 v12, 0x3b800000
	v_lshlrev_b32_e32 v9, 20, v9
	v_lshl_add_u32 v11, v11, 23, v12
	v_or3_b32 v9, v10, v11, v9
.LBB54_1920:
	s_or_b64 exec, exec, s[6:7]
	s_nop 0
	v_mfma_f32_16x16x4f32 a[0:3], v8, v9, a[0:3]
	s_movk_i32 s4, 0x7f
	v_cmp_gt_i16_sdwa s[6:7], v4, s4 src0_sel:BYTE_0 src1_sel:DWORD
	s_mov_b64 s[4:5], 0
                                        ; implicit-def: $sgpr10
	s_and_saveexec_b64 s[8:9], s[6:7]
	s_xor_b64 s[6:7], exec, s[8:9]
	s_cbranch_execnz .LBB54_3969
; %bb.1921:
	s_or_saveexec_b64 s[6:7], s[6:7]
	v_mov_b32_e32 v8, s10
	s_xor_b64 exec, exec, s[6:7]
	s_cbranch_execnz .LBB54_3972
.LBB54_1922:
	s_or_b64 exec, exec, s[6:7]
	s_and_saveexec_b64 s[6:7], s[4:5]
	s_cbranch_execz .LBB54_1924
.LBB54_1923:
	v_and_b32_e32 v8, 7, v4
	v_ffbh_u32_e32 v10, v8
	v_min_u32_e32 v10, 32, v10
	v_lshrrev_b16_e32 v9, 3, v4
	v_subrev_u32_e32 v11, 28, v10
	v_and_b32_e32 v9, 15, v9
	v_lshlrev_b32_e32 v11, v11, v4
	v_sub_u32_e32 v10, 29, v10
	v_and_b32_e32 v11, 7, v11
	v_cmp_eq_u16_e32 vcc, 0, v9
	v_cndmask_b32_e32 v8, v8, v11, vcc
	v_cndmask_b32_e32 v9, v9, v10, vcc
	v_lshlrev_b32_e32 v10, 24, v4
	v_mov_b32_e32 v11, 0x3b800000
	v_lshlrev_b32_e32 v8, 20, v8
	v_and_b32_e32 v10, 0x80000000, v10
	v_lshl_add_u32 v9, v9, 23, v11
	v_or3_b32 v8, v10, v9, v8
.LBB54_1924:
	s_or_b64 exec, exec, s[6:7]
	s_movk_i32 s4, 0x7f
	v_cmp_gt_i16_sdwa s[6:7], v0, s4 src0_sel:BYTE_0 src1_sel:DWORD
	s_mov_b64 s[4:5], 0
                                        ; implicit-def: $sgpr10
	s_and_saveexec_b64 s[8:9], s[6:7]
	s_xor_b64 s[6:7], exec, s[8:9]
	s_cbranch_execnz .LBB54_3973
; %bb.1925:
	s_or_saveexec_b64 s[6:7], s[6:7]
	v_mov_b32_e32 v9, s10
	s_xor_b64 exec, exec, s[6:7]
	s_cbranch_execnz .LBB54_3976
.LBB54_1926:
	s_or_b64 exec, exec, s[6:7]
	s_and_saveexec_b64 s[6:7], s[4:5]
	s_cbranch_execz .LBB54_1928
.LBB54_1927:
	v_and_b32_e32 v9, 7, v0
	v_ffbh_u32_e32 v11, v9
	v_min_u32_e32 v11, 32, v11
	v_lshrrev_b16_e32 v10, 3, v0
	v_subrev_u32_e32 v12, 28, v11
	v_and_b32_e32 v10, 15, v10
	v_lshlrev_b32_e32 v12, v12, v0
	v_sub_u32_e32 v11, 29, v11
	v_and_b32_e32 v12, 7, v12
	v_cmp_eq_u16_e32 vcc, 0, v10
	v_cndmask_b32_e32 v9, v9, v12, vcc
	v_cndmask_b32_e32 v10, v10, v11, vcc
	v_lshlrev_b32_e32 v11, 24, v0
	v_mov_b32_e32 v12, 0x3b800000
	v_lshlrev_b32_e32 v9, 20, v9
	v_and_b32_e32 v11, 0x80000000, v11
	v_lshl_add_u32 v10, v10, 23, v12
	v_or3_b32 v9, v11, v10, v9
.LBB54_1928:
	s_or_b64 exec, exec, s[6:7]
	s_nop 0
	v_mfma_f32_16x16x4f32 a[0:3], v8, v9, a[0:3]
	v_lshrrev_b32_e32 v9, 8, v4
	s_movk_i32 s4, 0x7f
	v_cmp_gt_i16_sdwa s[6:7], v9, s4 src0_sel:BYTE_0 src1_sel:DWORD
	s_mov_b64 s[4:5], 0
                                        ; implicit-def: $sgpr10
	s_and_saveexec_b64 s[8:9], s[6:7]
	s_xor_b64 s[6:7], exec, s[8:9]
	s_cbranch_execnz .LBB54_3977
; %bb.1929:
	s_or_saveexec_b64 s[6:7], s[6:7]
	v_mov_b32_e32 v8, s10
	s_xor_b64 exec, exec, s[6:7]
	s_cbranch_execnz .LBB54_3980
.LBB54_1930:
	s_or_b64 exec, exec, s[6:7]
	s_and_saveexec_b64 s[6:7], s[4:5]
	s_cbranch_execz .LBB54_1932
.LBB54_1931:
	v_bfe_u32 v8, v4, 8, 3
	v_ffbh_u32_e32 v11, v8
	v_min_u32_e32 v11, 32, v11
	v_lshrrev_b16_e32 v10, 3, v9
	v_subrev_u32_e32 v12, 28, v11
	v_and_b32_e32 v10, 15, v10
	v_lshlrev_b32_e32 v9, v12, v9
	v_sub_u32_e32 v11, 29, v11
	v_and_b32_e32 v9, 7, v9
	v_cmp_eq_u16_e32 vcc, 0, v10
	v_cndmask_b32_e32 v8, v8, v9, vcc
	v_cndmask_b32_e32 v9, v10, v11, vcc
	v_lshlrev_b32_e32 v10, 16, v4
	v_mov_b32_e32 v11, 0x3b800000
	v_lshlrev_b32_e32 v8, 20, v8
	v_and_b32_e32 v10, 0x80000000, v10
	v_lshl_add_u32 v9, v9, 23, v11
	v_or3_b32 v8, v10, v9, v8
.LBB54_1932:
	s_or_b64 exec, exec, s[6:7]
	v_lshrrev_b32_e32 v9, 8, v0
	s_movk_i32 s4, 0x7f
	v_cmp_gt_i16_sdwa s[6:7], v9, s4 src0_sel:BYTE_0 src1_sel:DWORD
	s_mov_b64 s[4:5], 0
                                        ; implicit-def: $sgpr10
	s_and_saveexec_b64 s[8:9], s[6:7]
	s_xor_b64 s[6:7], exec, s[8:9]
	s_cbranch_execnz .LBB54_3981
; %bb.1933:
	s_or_saveexec_b64 s[6:7], s[6:7]
	v_mov_b32_e32 v10, s10
	s_xor_b64 exec, exec, s[6:7]
	s_cbranch_execnz .LBB54_3984
.LBB54_1934:
	s_or_b64 exec, exec, s[6:7]
	s_and_saveexec_b64 s[6:7], s[4:5]
	s_cbranch_execz .LBB54_1936
.LBB54_1935:
	v_bfe_u32 v10, v0, 8, 3
	v_ffbh_u32_e32 v12, v10
	v_min_u32_e32 v12, 32, v12
	v_lshrrev_b16_e32 v11, 3, v9
	v_subrev_u32_e32 v13, 28, v12
	v_and_b32_e32 v11, 15, v11
	v_lshlrev_b32_e32 v9, v13, v9
	v_sub_u32_e32 v12, 29, v12
	v_and_b32_e32 v9, 7, v9
	v_cmp_eq_u16_e32 vcc, 0, v11
	v_cndmask_b32_e32 v9, v10, v9, vcc
	v_cndmask_b32_e32 v10, v11, v12, vcc
	v_lshlrev_b32_e32 v11, 16, v0
	v_mov_b32_e32 v12, 0x3b800000
	v_lshlrev_b32_e32 v9, 20, v9
	v_and_b32_e32 v11, 0x80000000, v11
	v_lshl_add_u32 v10, v10, 23, v12
	v_or3_b32 v10, v11, v10, v9
.LBB54_1936:
	s_or_b64 exec, exec, s[6:7]
	s_nop 0
	v_mfma_f32_16x16x4f32 a[0:3], v8, v10, a[0:3]
	s_movk_i32 s4, 0xff
	v_and_b32_sdwa v9, v4, s4 dst_sel:DWORD dst_unused:UNUSED_PAD src0_sel:WORD_1 src1_sel:DWORD
	s_movk_i32 s4, 0x7f
	v_cmp_lt_i16_e32 vcc, s4, v9
	s_mov_b64 s[4:5], 0
                                        ; implicit-def: $sgpr10
	s_and_saveexec_b64 s[6:7], vcc
	s_xor_b64 s[6:7], exec, s[6:7]
	s_cbranch_execnz .LBB54_3985
; %bb.1937:
	s_or_saveexec_b64 s[6:7], s[6:7]
	v_mov_b32_e32 v8, s10
	s_xor_b64 exec, exec, s[6:7]
	s_cbranch_execnz .LBB54_3988
.LBB54_1938:
	s_or_b64 exec, exec, s[6:7]
	s_and_saveexec_b64 s[6:7], s[4:5]
	s_cbranch_execz .LBB54_1940
.LBB54_1939:
	v_bfe_u32 v8, v4, 16, 3
	v_ffbh_u32_e32 v11, v8
	v_min_u32_e32 v11, 32, v11
	v_lshrrev_b32_e32 v9, 19, v4
	v_subrev_u32_e32 v12, 28, v11
	v_and_b32_e32 v9, 15, v9
	v_lshlrev_b32_sdwa v12, v12, v4 dst_sel:DWORD dst_unused:UNUSED_PAD src0_sel:DWORD src1_sel:WORD_1
	v_bfe_u32 v10, v4, 19, 4
	v_sub_u32_e32 v11, 29, v11
	v_and_b32_e32 v12, 7, v12
	v_cmp_eq_u16_e32 vcc, 0, v9
	v_cndmask_b32_e32 v8, v8, v12, vcc
	v_cndmask_b32_e32 v9, v10, v11, vcc
	v_lshlrev_b32_e32 v10, 8, v4
	v_mov_b32_e32 v11, 0x3b800000
	v_lshlrev_b32_e32 v8, 20, v8
	v_and_b32_e32 v10, 0x80000000, v10
	v_lshl_add_u32 v9, v9, 23, v11
	v_or3_b32 v8, v10, v9, v8
.LBB54_1940:
	s_or_b64 exec, exec, s[6:7]
	s_movk_i32 s4, 0xff
	v_and_b32_sdwa v9, v0, s4 dst_sel:DWORD dst_unused:UNUSED_PAD src0_sel:WORD_1 src1_sel:DWORD
	s_movk_i32 s4, 0x7f
	v_cmp_lt_i16_e32 vcc, s4, v9
	s_mov_b64 s[4:5], 0
                                        ; implicit-def: $sgpr10
	s_and_saveexec_b64 s[6:7], vcc
	s_xor_b64 s[6:7], exec, s[6:7]
	s_cbranch_execnz .LBB54_3989
; %bb.1941:
	s_or_saveexec_b64 s[6:7], s[6:7]
	v_mov_b32_e32 v10, s10
	s_xor_b64 exec, exec, s[6:7]
	s_cbranch_execnz .LBB54_3992
.LBB54_1942:
	s_or_b64 exec, exec, s[6:7]
	s_and_saveexec_b64 s[6:7], s[4:5]
	s_cbranch_execz .LBB54_1944
.LBB54_1943:
	v_bfe_u32 v9, v0, 16, 3
	v_ffbh_u32_e32 v12, v9
	v_min_u32_e32 v12, 32, v12
	v_lshrrev_b32_e32 v10, 19, v0
	v_subrev_u32_e32 v13, 28, v12
	v_and_b32_e32 v10, 15, v10
	v_lshlrev_b32_sdwa v13, v13, v0 dst_sel:DWORD dst_unused:UNUSED_PAD src0_sel:DWORD src1_sel:WORD_1
	v_bfe_u32 v11, v0, 19, 4
	v_sub_u32_e32 v12, 29, v12
	v_and_b32_e32 v13, 7, v13
	v_cmp_eq_u16_e32 vcc, 0, v10
	v_cndmask_b32_e32 v9, v9, v13, vcc
	v_cndmask_b32_e32 v10, v11, v12, vcc
	v_lshlrev_b32_e32 v11, 8, v0
	v_mov_b32_e32 v12, 0x3b800000
	v_lshlrev_b32_e32 v9, 20, v9
	v_and_b32_e32 v11, 0x80000000, v11
	v_lshl_add_u32 v10, v10, 23, v12
	v_or3_b32 v10, v11, v10, v9
.LBB54_1944:
	s_or_b64 exec, exec, s[6:7]
	s_nop 0
	v_mfma_f32_16x16x4f32 a[0:3], v8, v10, a[0:3]
	s_movk_i32 s4, 0x7f
	v_cmp_gt_i16_sdwa s[6:7], v4, s4 src0_sel:BYTE_3 src1_sel:DWORD
	s_mov_b64 s[4:5], 0
                                        ; implicit-def: $sgpr10
	s_and_saveexec_b64 s[8:9], s[6:7]
	s_xor_b64 s[6:7], exec, s[8:9]
	s_cbranch_execnz .LBB54_3993
; %bb.1945:
	s_or_saveexec_b64 s[6:7], s[6:7]
	v_mov_b32_e32 v8, s10
	s_xor_b64 exec, exec, s[6:7]
	s_cbranch_execnz .LBB54_3996
.LBB54_1946:
	s_or_b64 exec, exec, s[6:7]
	s_and_saveexec_b64 s[6:7], s[4:5]
	s_cbranch_execz .LBB54_1948
.LBB54_1947:
	v_bfe_u32 v8, v4, 24, 3
	v_ffbh_u32_e32 v12, v8
	v_min_u32_e32 v12, 32, v12
	v_lshrrev_b32_e32 v10, 27, v4
	v_subrev_u32_e32 v13, 28, v12
	v_and_b32_e32 v9, 0x80000000, v4
	v_and_b32_e32 v10, 15, v10
	v_bfe_u32 v11, v4, 27, 4
	v_lshlrev_b32_sdwa v4, v13, v4 dst_sel:DWORD dst_unused:UNUSED_PAD src0_sel:DWORD src1_sel:BYTE_3
	v_sub_u32_e32 v12, 29, v12
	v_and_b32_e32 v4, 7, v4
	v_cmp_eq_u16_e32 vcc, 0, v10
	v_cndmask_b32_e32 v4, v8, v4, vcc
	v_cndmask_b32_e32 v8, v11, v12, vcc
	v_mov_b32_e32 v10, 0x3b800000
	v_lshlrev_b32_e32 v4, 20, v4
	v_lshl_add_u32 v8, v8, 23, v10
	v_or3_b32 v8, v9, v8, v4
.LBB54_1948:
	s_or_b64 exec, exec, s[6:7]
	s_movk_i32 s4, 0x7f
	v_cmp_gt_i16_sdwa s[6:7], v0, s4 src0_sel:BYTE_3 src1_sel:DWORD
	s_mov_b64 s[4:5], 0
                                        ; implicit-def: $sgpr10
	s_and_saveexec_b64 s[8:9], s[6:7]
	s_xor_b64 s[6:7], exec, s[8:9]
	s_cbranch_execnz .LBB54_3997
; %bb.1949:
	s_or_saveexec_b64 s[6:7], s[6:7]
	v_mov_b32_e32 v4, s10
	s_xor_b64 exec, exec, s[6:7]
	s_cbranch_execnz .LBB54_4000
.LBB54_1950:
	s_or_b64 exec, exec, s[6:7]
	s_and_saveexec_b64 s[6:7], s[4:5]
	s_cbranch_execz .LBB54_1952
.LBB54_1951:
	v_bfe_u32 v4, v0, 24, 3
	v_ffbh_u32_e32 v12, v4
	v_min_u32_e32 v12, 32, v12
	v_lshrrev_b32_e32 v10, 27, v0
	v_subrev_u32_e32 v13, 28, v12
	v_and_b32_e32 v9, 0x80000000, v0
	v_and_b32_e32 v10, 15, v10
	v_bfe_u32 v11, v0, 27, 4
	v_lshlrev_b32_sdwa v0, v13, v0 dst_sel:DWORD dst_unused:UNUSED_PAD src0_sel:DWORD src1_sel:BYTE_3
	v_sub_u32_e32 v12, 29, v12
	v_and_b32_e32 v0, 7, v0
	v_cmp_eq_u16_e32 vcc, 0, v10
	v_cndmask_b32_e32 v0, v4, v0, vcc
	v_cndmask_b32_e32 v4, v11, v12, vcc
	v_mov_b32_e32 v10, 0x3b800000
	v_lshlrev_b32_e32 v0, 20, v0
	v_lshl_add_u32 v4, v4, 23, v10
	v_or3_b32 v4, v9, v4, v0
.LBB54_1952:
	s_or_b64 exec, exec, s[6:7]
	s_nop 0
	v_mfma_f32_16x16x4f32 a[0:3], v8, v4, a[0:3]
	s_movk_i32 s4, 0x7f
	v_cmp_gt_i16_sdwa s[6:7], v5, s4 src0_sel:BYTE_0 src1_sel:DWORD
	s_mov_b64 s[4:5], 0
                                        ; implicit-def: $sgpr10
	s_and_saveexec_b64 s[8:9], s[6:7]
	s_xor_b64 s[6:7], exec, s[8:9]
	s_cbranch_execnz .LBB54_4001
; %bb.1953:
	s_or_saveexec_b64 s[6:7], s[6:7]
	v_mov_b32_e32 v0, s10
	s_xor_b64 exec, exec, s[6:7]
	s_cbranch_execnz .LBB54_4004
.LBB54_1954:
	s_or_b64 exec, exec, s[6:7]
	s_and_saveexec_b64 s[6:7], s[4:5]
	s_cbranch_execz .LBB54_1956
.LBB54_1955:
	v_and_b32_e32 v0, 7, v5
	v_ffbh_u32_e32 v8, v0
	v_min_u32_e32 v8, 32, v8
	v_lshrrev_b16_e32 v4, 3, v5
	v_subrev_u32_e32 v9, 28, v8
	v_and_b32_e32 v4, 15, v4
	v_lshlrev_b32_e32 v9, v9, v5
	v_sub_u32_e32 v8, 29, v8
	v_and_b32_e32 v9, 7, v9
	v_cmp_eq_u16_e32 vcc, 0, v4
	v_cndmask_b32_e32 v0, v0, v9, vcc
	v_cndmask_b32_e32 v4, v4, v8, vcc
	v_lshlrev_b32_e32 v8, 24, v5
	v_mov_b32_e32 v9, 0x3b800000
	v_lshlrev_b32_e32 v0, 20, v0
	v_and_b32_e32 v8, 0x80000000, v8
	v_lshl_add_u32 v4, v4, 23, v9
	v_or3_b32 v0, v8, v4, v0
.LBB54_1956:
	s_or_b64 exec, exec, s[6:7]
	s_movk_i32 s4, 0x7f
	v_cmp_gt_i16_sdwa s[6:7], v1, s4 src0_sel:BYTE_0 src1_sel:DWORD
	s_mov_b64 s[4:5], 0
                                        ; implicit-def: $sgpr10
	s_and_saveexec_b64 s[8:9], s[6:7]
	s_xor_b64 s[6:7], exec, s[8:9]
	s_cbranch_execnz .LBB54_4005
; %bb.1957:
	s_or_saveexec_b64 s[6:7], s[6:7]
	v_mov_b32_e32 v4, s10
	s_xor_b64 exec, exec, s[6:7]
	s_cbranch_execnz .LBB54_4008
.LBB54_1958:
	s_or_b64 exec, exec, s[6:7]
	s_and_saveexec_b64 s[6:7], s[4:5]
	s_cbranch_execz .LBB54_1960
.LBB54_1959:
	v_and_b32_e32 v4, 7, v1
	v_ffbh_u32_e32 v9, v4
	v_min_u32_e32 v9, 32, v9
	v_lshrrev_b16_e32 v8, 3, v1
	v_subrev_u32_e32 v10, 28, v9
	v_and_b32_e32 v8, 15, v8
	v_lshlrev_b32_e32 v10, v10, v1
	v_sub_u32_e32 v9, 29, v9
	v_and_b32_e32 v10, 7, v10
	v_cmp_eq_u16_e32 vcc, 0, v8
	v_cndmask_b32_e32 v4, v4, v10, vcc
	v_cndmask_b32_e32 v8, v8, v9, vcc
	v_lshlrev_b32_e32 v9, 24, v1
	v_mov_b32_e32 v10, 0x3b800000
	v_lshlrev_b32_e32 v4, 20, v4
	v_and_b32_e32 v9, 0x80000000, v9
	v_lshl_add_u32 v8, v8, 23, v10
	v_or3_b32 v4, v9, v8, v4
.LBB54_1960:
	s_or_b64 exec, exec, s[6:7]
	s_nop 0
	v_mfma_f32_16x16x4f32 a[0:3], v0, v4, a[0:3]
	v_lshrrev_b32_e32 v4, 8, v5
	s_movk_i32 s4, 0x7f
	v_cmp_gt_i16_sdwa s[6:7], v4, s4 src0_sel:BYTE_0 src1_sel:DWORD
	s_mov_b64 s[4:5], 0
                                        ; implicit-def: $sgpr10
	s_and_saveexec_b64 s[8:9], s[6:7]
	s_xor_b64 s[6:7], exec, s[8:9]
	s_cbranch_execnz .LBB54_4009
; %bb.1961:
	s_or_saveexec_b64 s[6:7], s[6:7]
	v_mov_b32_e32 v0, s10
	s_xor_b64 exec, exec, s[6:7]
	s_cbranch_execnz .LBB54_4012
.LBB54_1962:
	s_or_b64 exec, exec, s[6:7]
	s_and_saveexec_b64 s[6:7], s[4:5]
	s_cbranch_execz .LBB54_1964
.LBB54_1963:
	v_bfe_u32 v0, v5, 8, 3
	v_ffbh_u32_e32 v9, v0
	v_min_u32_e32 v9, 32, v9
	v_lshrrev_b16_e32 v8, 3, v4
	v_subrev_u32_e32 v10, 28, v9
	v_and_b32_e32 v8, 15, v8
	v_lshlrev_b32_e32 v4, v10, v4
	v_sub_u32_e32 v9, 29, v9
	v_and_b32_e32 v4, 7, v4
	v_cmp_eq_u16_e32 vcc, 0, v8
	v_cndmask_b32_e32 v0, v0, v4, vcc
	v_cndmask_b32_e32 v4, v8, v9, vcc
	v_lshlrev_b32_e32 v8, 16, v5
	v_mov_b32_e32 v9, 0x3b800000
	v_lshlrev_b32_e32 v0, 20, v0
	v_and_b32_e32 v8, 0x80000000, v8
	v_lshl_add_u32 v4, v4, 23, v9
	v_or3_b32 v0, v8, v4, v0
.LBB54_1964:
	s_or_b64 exec, exec, s[6:7]
	v_lshrrev_b32_e32 v4, 8, v1
	s_movk_i32 s4, 0x7f
	v_cmp_gt_i16_sdwa s[6:7], v4, s4 src0_sel:BYTE_0 src1_sel:DWORD
	s_mov_b64 s[4:5], 0
                                        ; implicit-def: $sgpr10
	s_and_saveexec_b64 s[8:9], s[6:7]
	s_xor_b64 s[6:7], exec, s[8:9]
	s_cbranch_execnz .LBB54_4013
; %bb.1965:
	s_or_saveexec_b64 s[6:7], s[6:7]
	v_mov_b32_e32 v8, s10
	s_xor_b64 exec, exec, s[6:7]
	s_cbranch_execnz .LBB54_4016
.LBB54_1966:
	s_or_b64 exec, exec, s[6:7]
	s_and_saveexec_b64 s[6:7], s[4:5]
	s_cbranch_execz .LBB54_1968
.LBB54_1967:
	v_bfe_u32 v8, v1, 8, 3
	v_ffbh_u32_e32 v10, v8
	v_min_u32_e32 v10, 32, v10
	v_lshrrev_b16_e32 v9, 3, v4
	v_subrev_u32_e32 v11, 28, v10
	v_and_b32_e32 v9, 15, v9
	v_lshlrev_b32_e32 v4, v11, v4
	v_sub_u32_e32 v10, 29, v10
	v_and_b32_e32 v4, 7, v4
	v_cmp_eq_u16_e32 vcc, 0, v9
	v_cndmask_b32_e32 v4, v8, v4, vcc
	v_cndmask_b32_e32 v8, v9, v10, vcc
	v_lshlrev_b32_e32 v9, 16, v1
	v_mov_b32_e32 v10, 0x3b800000
	v_lshlrev_b32_e32 v4, 20, v4
	v_and_b32_e32 v9, 0x80000000, v9
	v_lshl_add_u32 v8, v8, 23, v10
	v_or3_b32 v8, v9, v8, v4
.LBB54_1968:
	s_or_b64 exec, exec, s[6:7]
	s_nop 0
	v_mfma_f32_16x16x4f32 a[0:3], v0, v8, a[0:3]
	s_movk_i32 s4, 0xff
	v_and_b32_sdwa v4, v5, s4 dst_sel:DWORD dst_unused:UNUSED_PAD src0_sel:WORD_1 src1_sel:DWORD
	s_movk_i32 s4, 0x7f
	v_cmp_lt_i16_e32 vcc, s4, v4
	s_mov_b64 s[4:5], 0
                                        ; implicit-def: $sgpr10
	s_and_saveexec_b64 s[6:7], vcc
	s_xor_b64 s[6:7], exec, s[6:7]
	s_cbranch_execnz .LBB54_4017
; %bb.1969:
	s_or_saveexec_b64 s[6:7], s[6:7]
	v_mov_b32_e32 v0, s10
	s_xor_b64 exec, exec, s[6:7]
	s_cbranch_execnz .LBB54_4020
.LBB54_1970:
	s_or_b64 exec, exec, s[6:7]
	s_and_saveexec_b64 s[6:7], s[4:5]
	s_cbranch_execz .LBB54_1972
.LBB54_1971:
	v_bfe_u32 v0, v5, 16, 3
	v_ffbh_u32_e32 v9, v0
	v_min_u32_e32 v9, 32, v9
	v_lshrrev_b32_e32 v4, 19, v5
	v_subrev_u32_e32 v10, 28, v9
	v_and_b32_e32 v4, 15, v4
	v_lshlrev_b32_sdwa v10, v10, v5 dst_sel:DWORD dst_unused:UNUSED_PAD src0_sel:DWORD src1_sel:WORD_1
	v_bfe_u32 v8, v5, 19, 4
	v_sub_u32_e32 v9, 29, v9
	v_and_b32_e32 v10, 7, v10
	v_cmp_eq_u16_e32 vcc, 0, v4
	v_cndmask_b32_e32 v0, v0, v10, vcc
	v_cndmask_b32_e32 v4, v8, v9, vcc
	v_lshlrev_b32_e32 v8, 8, v5
	v_mov_b32_e32 v9, 0x3b800000
	v_lshlrev_b32_e32 v0, 20, v0
	v_and_b32_e32 v8, 0x80000000, v8
	v_lshl_add_u32 v4, v4, 23, v9
	v_or3_b32 v0, v8, v4, v0
.LBB54_1972:
	s_or_b64 exec, exec, s[6:7]
	s_movk_i32 s4, 0xff
	v_and_b32_sdwa v4, v1, s4 dst_sel:DWORD dst_unused:UNUSED_PAD src0_sel:WORD_1 src1_sel:DWORD
	s_movk_i32 s4, 0x7f
	v_cmp_lt_i16_e32 vcc, s4, v4
	s_mov_b64 s[4:5], 0
                                        ; implicit-def: $sgpr10
	s_and_saveexec_b64 s[6:7], vcc
	s_xor_b64 s[6:7], exec, s[6:7]
	s_cbranch_execnz .LBB54_4021
; %bb.1973:
	s_or_saveexec_b64 s[6:7], s[6:7]
	v_mov_b32_e32 v8, s10
	s_xor_b64 exec, exec, s[6:7]
	s_cbranch_execnz .LBB54_4024
.LBB54_1974:
	s_or_b64 exec, exec, s[6:7]
	s_and_saveexec_b64 s[6:7], s[4:5]
	s_cbranch_execz .LBB54_1976
.LBB54_1975:
	v_bfe_u32 v4, v1, 16, 3
	v_ffbh_u32_e32 v10, v4
	v_min_u32_e32 v10, 32, v10
	v_lshrrev_b32_e32 v8, 19, v1
	v_subrev_u32_e32 v11, 28, v10
	v_and_b32_e32 v8, 15, v8
	v_lshlrev_b32_sdwa v11, v11, v1 dst_sel:DWORD dst_unused:UNUSED_PAD src0_sel:DWORD src1_sel:WORD_1
	v_bfe_u32 v9, v1, 19, 4
	v_sub_u32_e32 v10, 29, v10
	v_and_b32_e32 v11, 7, v11
	v_cmp_eq_u16_e32 vcc, 0, v8
	v_cndmask_b32_e32 v4, v4, v11, vcc
	v_cndmask_b32_e32 v8, v9, v10, vcc
	v_lshlrev_b32_e32 v9, 8, v1
	v_mov_b32_e32 v10, 0x3b800000
	v_lshlrev_b32_e32 v4, 20, v4
	v_and_b32_e32 v9, 0x80000000, v9
	v_lshl_add_u32 v8, v8, 23, v10
	v_or3_b32 v8, v9, v8, v4
.LBB54_1976:
	s_or_b64 exec, exec, s[6:7]
	s_nop 0
	v_mfma_f32_16x16x4f32 a[0:3], v0, v8, a[0:3]
	s_movk_i32 s4, 0x7f
	v_cmp_gt_i16_sdwa s[6:7], v5, s4 src0_sel:BYTE_3 src1_sel:DWORD
	s_mov_b64 s[4:5], 0
                                        ; implicit-def: $sgpr10
	s_and_saveexec_b64 s[8:9], s[6:7]
	s_xor_b64 s[6:7], exec, s[8:9]
	s_cbranch_execnz .LBB54_4025
; %bb.1977:
	s_or_saveexec_b64 s[6:7], s[6:7]
	v_mov_b32_e32 v0, s10
	s_xor_b64 exec, exec, s[6:7]
	s_cbranch_execnz .LBB54_4028
.LBB54_1978:
	s_or_b64 exec, exec, s[6:7]
	s_and_saveexec_b64 s[6:7], s[4:5]
	s_cbranch_execz .LBB54_1980
.LBB54_1979:
	v_bfe_u32 v0, v5, 24, 3
	v_ffbh_u32_e32 v10, v0
	v_min_u32_e32 v10, 32, v10
	v_lshrrev_b32_e32 v8, 27, v5
	v_subrev_u32_e32 v11, 28, v10
	v_and_b32_e32 v4, 0x80000000, v5
	v_and_b32_e32 v8, 15, v8
	v_bfe_u32 v9, v5, 27, 4
	v_lshlrev_b32_sdwa v5, v11, v5 dst_sel:DWORD dst_unused:UNUSED_PAD src0_sel:DWORD src1_sel:BYTE_3
	v_sub_u32_e32 v10, 29, v10
	v_and_b32_e32 v5, 7, v5
	v_cmp_eq_u16_e32 vcc, 0, v8
	v_cndmask_b32_e32 v0, v0, v5, vcc
	v_cndmask_b32_e32 v5, v9, v10, vcc
	v_mov_b32_e32 v8, 0x3b800000
	v_lshlrev_b32_e32 v0, 20, v0
	v_lshl_add_u32 v5, v5, 23, v8
	v_or3_b32 v0, v4, v5, v0
.LBB54_1980:
	s_or_b64 exec, exec, s[6:7]
	s_movk_i32 s4, 0x7f
	v_cmp_gt_i16_sdwa s[6:7], v1, s4 src0_sel:BYTE_3 src1_sel:DWORD
	s_mov_b64 s[4:5], 0
                                        ; implicit-def: $sgpr10
	s_and_saveexec_b64 s[8:9], s[6:7]
	s_xor_b64 s[6:7], exec, s[8:9]
	s_cbranch_execnz .LBB54_4029
; %bb.1981:
	s_or_saveexec_b64 s[6:7], s[6:7]
	v_mov_b32_e32 v4, s10
	s_xor_b64 exec, exec, s[6:7]
	s_cbranch_execnz .LBB54_4032
.LBB54_1982:
	s_or_b64 exec, exec, s[6:7]
	s_and_saveexec_b64 s[6:7], s[4:5]
	s_cbranch_execz .LBB54_1984
.LBB54_1983:
	v_bfe_u32 v4, v1, 24, 3
	v_ffbh_u32_e32 v10, v4
	v_min_u32_e32 v10, 32, v10
	v_lshrrev_b32_e32 v8, 27, v1
	v_subrev_u32_e32 v11, 28, v10
	v_and_b32_e32 v5, 0x80000000, v1
	v_and_b32_e32 v8, 15, v8
	v_bfe_u32 v9, v1, 27, 4
	v_lshlrev_b32_sdwa v1, v11, v1 dst_sel:DWORD dst_unused:UNUSED_PAD src0_sel:DWORD src1_sel:BYTE_3
	v_sub_u32_e32 v10, 29, v10
	v_and_b32_e32 v1, 7, v1
	v_cmp_eq_u16_e32 vcc, 0, v8
	v_cndmask_b32_e32 v1, v4, v1, vcc
	v_cndmask_b32_e32 v4, v9, v10, vcc
	v_mov_b32_e32 v8, 0x3b800000
	v_lshlrev_b32_e32 v1, 20, v1
	v_lshl_add_u32 v4, v4, 23, v8
	v_or3_b32 v4, v5, v4, v1
.LBB54_1984:
	s_or_b64 exec, exec, s[6:7]
	s_nop 0
	v_mfma_f32_16x16x4f32 a[0:3], v0, v4, a[0:3]
	s_movk_i32 s4, 0x7f
	v_cmp_gt_i16_sdwa s[6:7], v6, s4 src0_sel:BYTE_0 src1_sel:DWORD
	s_mov_b64 s[4:5], 0
                                        ; implicit-def: $sgpr10
	s_and_saveexec_b64 s[8:9], s[6:7]
	s_xor_b64 s[6:7], exec, s[8:9]
	s_cbranch_execnz .LBB54_4033
; %bb.1985:
	s_or_saveexec_b64 s[6:7], s[6:7]
	v_mov_b32_e32 v0, s10
	s_xor_b64 exec, exec, s[6:7]
	s_cbranch_execnz .LBB54_4036
.LBB54_1986:
	s_or_b64 exec, exec, s[6:7]
	s_and_saveexec_b64 s[6:7], s[4:5]
	s_cbranch_execz .LBB54_1988
.LBB54_1987:
	v_and_b32_e32 v0, 7, v6
	v_ffbh_u32_e32 v4, v0
	v_min_u32_e32 v4, 32, v4
	v_lshrrev_b16_e32 v1, 3, v6
	v_subrev_u32_e32 v5, 28, v4
	v_and_b32_e32 v1, 15, v1
	v_lshlrev_b32_e32 v5, v5, v6
	v_sub_u32_e32 v4, 29, v4
	v_and_b32_e32 v5, 7, v5
	v_cmp_eq_u16_e32 vcc, 0, v1
	v_cndmask_b32_e32 v0, v0, v5, vcc
	v_cndmask_b32_e32 v1, v1, v4, vcc
	v_lshlrev_b32_e32 v4, 24, v6
	v_mov_b32_e32 v5, 0x3b800000
	v_lshlrev_b32_e32 v0, 20, v0
	v_and_b32_e32 v4, 0x80000000, v4
	v_lshl_add_u32 v1, v1, 23, v5
	v_or3_b32 v0, v4, v1, v0
.LBB54_1988:
	s_or_b64 exec, exec, s[6:7]
	s_movk_i32 s4, 0x7f
	v_cmp_gt_i16_sdwa s[6:7], v2, s4 src0_sel:BYTE_0 src1_sel:DWORD
	s_mov_b64 s[4:5], 0
                                        ; implicit-def: $sgpr10
	s_and_saveexec_b64 s[8:9], s[6:7]
	s_xor_b64 s[6:7], exec, s[8:9]
	s_cbranch_execnz .LBB54_4037
; %bb.1989:
	s_or_saveexec_b64 s[6:7], s[6:7]
	v_mov_b32_e32 v1, s10
	s_xor_b64 exec, exec, s[6:7]
	s_cbranch_execnz .LBB54_4040
.LBB54_1990:
	s_or_b64 exec, exec, s[6:7]
	s_and_saveexec_b64 s[6:7], s[4:5]
	s_cbranch_execz .LBB54_1992
.LBB54_1991:
	v_and_b32_e32 v1, 7, v2
	v_ffbh_u32_e32 v5, v1
	v_min_u32_e32 v5, 32, v5
	v_lshrrev_b16_e32 v4, 3, v2
	v_subrev_u32_e32 v8, 28, v5
	v_and_b32_e32 v4, 15, v4
	v_lshlrev_b32_e32 v8, v8, v2
	v_sub_u32_e32 v5, 29, v5
	v_and_b32_e32 v8, 7, v8
	v_cmp_eq_u16_e32 vcc, 0, v4
	v_cndmask_b32_e32 v1, v1, v8, vcc
	v_cndmask_b32_e32 v4, v4, v5, vcc
	v_lshlrev_b32_e32 v5, 24, v2
	v_mov_b32_e32 v8, 0x3b800000
	v_lshlrev_b32_e32 v1, 20, v1
	v_and_b32_e32 v5, 0x80000000, v5
	v_lshl_add_u32 v4, v4, 23, v8
	v_or3_b32 v1, v5, v4, v1
.LBB54_1992:
	s_or_b64 exec, exec, s[6:7]
	s_nop 0
	v_mfma_f32_16x16x4f32 a[0:3], v0, v1, a[0:3]
	v_lshrrev_b32_e32 v1, 8, v6
	s_movk_i32 s4, 0x7f
	v_cmp_gt_i16_sdwa s[6:7], v1, s4 src0_sel:BYTE_0 src1_sel:DWORD
	s_mov_b64 s[4:5], 0
                                        ; implicit-def: $sgpr10
	s_and_saveexec_b64 s[8:9], s[6:7]
	s_xor_b64 s[6:7], exec, s[8:9]
	s_cbranch_execnz .LBB54_4041
; %bb.1993:
	s_or_saveexec_b64 s[6:7], s[6:7]
	v_mov_b32_e32 v0, s10
	s_xor_b64 exec, exec, s[6:7]
	s_cbranch_execnz .LBB54_4044
.LBB54_1994:
	s_or_b64 exec, exec, s[6:7]
	s_and_saveexec_b64 s[6:7], s[4:5]
	s_cbranch_execz .LBB54_1996
.LBB54_1995:
	v_bfe_u32 v0, v6, 8, 3
	v_ffbh_u32_e32 v5, v0
	v_min_u32_e32 v5, 32, v5
	v_lshrrev_b16_e32 v4, 3, v1
	v_subrev_u32_e32 v8, 28, v5
	v_and_b32_e32 v4, 15, v4
	v_lshlrev_b32_e32 v1, v8, v1
	v_sub_u32_e32 v5, 29, v5
	v_and_b32_e32 v1, 7, v1
	v_cmp_eq_u16_e32 vcc, 0, v4
	v_cndmask_b32_e32 v0, v0, v1, vcc
	v_cndmask_b32_e32 v1, v4, v5, vcc
	v_lshlrev_b32_e32 v4, 16, v6
	v_mov_b32_e32 v5, 0x3b800000
	v_lshlrev_b32_e32 v0, 20, v0
	v_and_b32_e32 v4, 0x80000000, v4
	v_lshl_add_u32 v1, v1, 23, v5
	v_or3_b32 v0, v4, v1, v0
.LBB54_1996:
	s_or_b64 exec, exec, s[6:7]
	v_lshrrev_b32_e32 v1, 8, v2
	s_movk_i32 s4, 0x7f
	v_cmp_gt_i16_sdwa s[6:7], v1, s4 src0_sel:BYTE_0 src1_sel:DWORD
	s_mov_b64 s[4:5], 0
                                        ; implicit-def: $sgpr10
	s_and_saveexec_b64 s[8:9], s[6:7]
	s_xor_b64 s[6:7], exec, s[8:9]
	s_cbranch_execnz .LBB54_4045
; %bb.1997:
	s_or_saveexec_b64 s[6:7], s[6:7]
	v_mov_b32_e32 v4, s10
	s_xor_b64 exec, exec, s[6:7]
	s_cbranch_execnz .LBB54_4048
.LBB54_1998:
	s_or_b64 exec, exec, s[6:7]
	s_and_saveexec_b64 s[6:7], s[4:5]
	s_cbranch_execz .LBB54_2000
.LBB54_1999:
	v_bfe_u32 v4, v2, 8, 3
	v_ffbh_u32_e32 v8, v4
	v_min_u32_e32 v8, 32, v8
	v_lshrrev_b16_e32 v5, 3, v1
	v_subrev_u32_e32 v9, 28, v8
	v_and_b32_e32 v5, 15, v5
	v_lshlrev_b32_e32 v1, v9, v1
	v_sub_u32_e32 v8, 29, v8
	v_and_b32_e32 v1, 7, v1
	v_cmp_eq_u16_e32 vcc, 0, v5
	v_cndmask_b32_e32 v1, v4, v1, vcc
	v_cndmask_b32_e32 v4, v5, v8, vcc
	v_lshlrev_b32_e32 v5, 16, v2
	v_mov_b32_e32 v8, 0x3b800000
	v_lshlrev_b32_e32 v1, 20, v1
	v_and_b32_e32 v5, 0x80000000, v5
	v_lshl_add_u32 v4, v4, 23, v8
	v_or3_b32 v4, v5, v4, v1
.LBB54_2000:
	s_or_b64 exec, exec, s[6:7]
	s_nop 0
	v_mfma_f32_16x16x4f32 a[0:3], v0, v4, a[0:3]
	s_movk_i32 s4, 0xff
	v_and_b32_sdwa v1, v6, s4 dst_sel:DWORD dst_unused:UNUSED_PAD src0_sel:WORD_1 src1_sel:DWORD
	s_movk_i32 s4, 0x7f
	v_cmp_lt_i16_e32 vcc, s4, v1
	s_mov_b64 s[4:5], 0
                                        ; implicit-def: $sgpr10
	s_and_saveexec_b64 s[6:7], vcc
	s_xor_b64 s[6:7], exec, s[6:7]
	s_cbranch_execnz .LBB54_4049
; %bb.2001:
	s_or_saveexec_b64 s[6:7], s[6:7]
	v_mov_b32_e32 v0, s10
	s_xor_b64 exec, exec, s[6:7]
	s_cbranch_execnz .LBB54_4052
.LBB54_2002:
	s_or_b64 exec, exec, s[6:7]
	s_and_saveexec_b64 s[6:7], s[4:5]
	s_cbranch_execz .LBB54_2004
.LBB54_2003:
	v_bfe_u32 v0, v6, 16, 3
	v_ffbh_u32_e32 v5, v0
	v_min_u32_e32 v5, 32, v5
	v_lshrrev_b32_e32 v1, 19, v6
	v_subrev_u32_e32 v8, 28, v5
	v_and_b32_e32 v1, 15, v1
	v_lshlrev_b32_sdwa v8, v8, v6 dst_sel:DWORD dst_unused:UNUSED_PAD src0_sel:DWORD src1_sel:WORD_1
	v_bfe_u32 v4, v6, 19, 4
	v_sub_u32_e32 v5, 29, v5
	v_and_b32_e32 v8, 7, v8
	v_cmp_eq_u16_e32 vcc, 0, v1
	v_cndmask_b32_e32 v0, v0, v8, vcc
	v_cndmask_b32_e32 v1, v4, v5, vcc
	v_lshlrev_b32_e32 v4, 8, v6
	v_mov_b32_e32 v5, 0x3b800000
	v_lshlrev_b32_e32 v0, 20, v0
	v_and_b32_e32 v4, 0x80000000, v4
	v_lshl_add_u32 v1, v1, 23, v5
	v_or3_b32 v0, v4, v1, v0
.LBB54_2004:
	s_or_b64 exec, exec, s[6:7]
	s_movk_i32 s4, 0xff
	v_and_b32_sdwa v1, v2, s4 dst_sel:DWORD dst_unused:UNUSED_PAD src0_sel:WORD_1 src1_sel:DWORD
	s_movk_i32 s4, 0x7f
	v_cmp_lt_i16_e32 vcc, s4, v1
	s_mov_b64 s[4:5], 0
                                        ; implicit-def: $sgpr10
	s_and_saveexec_b64 s[6:7], vcc
	s_xor_b64 s[6:7], exec, s[6:7]
	s_cbranch_execnz .LBB54_4053
; %bb.2005:
	s_or_saveexec_b64 s[6:7], s[6:7]
	v_mov_b32_e32 v4, s10
	s_xor_b64 exec, exec, s[6:7]
	s_cbranch_execnz .LBB54_4056
.LBB54_2006:
	s_or_b64 exec, exec, s[6:7]
	s_and_saveexec_b64 s[6:7], s[4:5]
	s_cbranch_execz .LBB54_2008
.LBB54_2007:
	v_bfe_u32 v1, v2, 16, 3
	v_ffbh_u32_e32 v8, v1
	v_min_u32_e32 v8, 32, v8
	v_lshrrev_b32_e32 v4, 19, v2
	v_subrev_u32_e32 v9, 28, v8
	v_and_b32_e32 v4, 15, v4
	v_lshlrev_b32_sdwa v9, v9, v2 dst_sel:DWORD dst_unused:UNUSED_PAD src0_sel:DWORD src1_sel:WORD_1
	v_bfe_u32 v5, v2, 19, 4
	v_sub_u32_e32 v8, 29, v8
	v_and_b32_e32 v9, 7, v9
	v_cmp_eq_u16_e32 vcc, 0, v4
	v_cndmask_b32_e32 v1, v1, v9, vcc
	v_cndmask_b32_e32 v4, v5, v8, vcc
	v_lshlrev_b32_e32 v5, 8, v2
	v_mov_b32_e32 v8, 0x3b800000
	v_lshlrev_b32_e32 v1, 20, v1
	v_and_b32_e32 v5, 0x80000000, v5
	v_lshl_add_u32 v4, v4, 23, v8
	v_or3_b32 v4, v5, v4, v1
.LBB54_2008:
	s_or_b64 exec, exec, s[6:7]
	s_nop 0
	v_mfma_f32_16x16x4f32 a[0:3], v0, v4, a[0:3]
	s_movk_i32 s4, 0x7f
	v_cmp_gt_i16_sdwa s[6:7], v6, s4 src0_sel:BYTE_3 src1_sel:DWORD
	s_mov_b64 s[4:5], 0
                                        ; implicit-def: $sgpr10
	s_and_saveexec_b64 s[8:9], s[6:7]
	s_xor_b64 s[6:7], exec, s[8:9]
	s_cbranch_execnz .LBB54_4057
; %bb.2009:
	s_or_saveexec_b64 s[6:7], s[6:7]
	v_mov_b32_e32 v0, s10
	s_xor_b64 exec, exec, s[6:7]
	s_cbranch_execnz .LBB54_4060
.LBB54_2010:
	s_or_b64 exec, exec, s[6:7]
	s_and_saveexec_b64 s[6:7], s[4:5]
	s_cbranch_execz .LBB54_2012
.LBB54_2011:
	v_bfe_u32 v0, v6, 24, 3
	v_ffbh_u32_e32 v8, v0
	v_min_u32_e32 v8, 32, v8
	v_lshrrev_b32_e32 v4, 27, v6
	v_subrev_u32_e32 v9, 28, v8
	v_and_b32_e32 v1, 0x80000000, v6
	v_and_b32_e32 v4, 15, v4
	v_bfe_u32 v5, v6, 27, 4
	v_lshlrev_b32_sdwa v6, v9, v6 dst_sel:DWORD dst_unused:UNUSED_PAD src0_sel:DWORD src1_sel:BYTE_3
	v_sub_u32_e32 v8, 29, v8
	v_and_b32_e32 v6, 7, v6
	v_cmp_eq_u16_e32 vcc, 0, v4
	v_cndmask_b32_e32 v0, v0, v6, vcc
	v_cndmask_b32_e32 v4, v5, v8, vcc
	v_mov_b32_e32 v5, 0x3b800000
	v_lshlrev_b32_e32 v0, 20, v0
	v_lshl_add_u32 v4, v4, 23, v5
	v_or3_b32 v0, v1, v4, v0
.LBB54_2012:
	s_or_b64 exec, exec, s[6:7]
	s_movk_i32 s4, 0x7f
	v_cmp_gt_i16_sdwa s[6:7], v2, s4 src0_sel:BYTE_3 src1_sel:DWORD
	s_mov_b64 s[4:5], 0
                                        ; implicit-def: $sgpr10
	s_and_saveexec_b64 s[8:9], s[6:7]
	s_xor_b64 s[6:7], exec, s[8:9]
	s_cbranch_execnz .LBB54_4061
; %bb.2013:
	s_or_saveexec_b64 s[6:7], s[6:7]
	v_mov_b32_e32 v1, s10
	s_xor_b64 exec, exec, s[6:7]
	s_cbranch_execnz .LBB54_4064
.LBB54_2014:
	s_or_b64 exec, exec, s[6:7]
	s_and_saveexec_b64 s[6:7], s[4:5]
	s_cbranch_execz .LBB54_2016
.LBB54_2015:
	v_bfe_u32 v1, v2, 24, 3
	v_ffbh_u32_e32 v8, v1
	v_min_u32_e32 v8, 32, v8
	v_lshrrev_b32_e32 v5, 27, v2
	v_subrev_u32_e32 v9, 28, v8
	v_and_b32_e32 v4, 0x80000000, v2
	v_and_b32_e32 v5, 15, v5
	v_bfe_u32 v6, v2, 27, 4
	v_lshlrev_b32_sdwa v2, v9, v2 dst_sel:DWORD dst_unused:UNUSED_PAD src0_sel:DWORD src1_sel:BYTE_3
	v_sub_u32_e32 v8, 29, v8
	v_and_b32_e32 v2, 7, v2
	v_cmp_eq_u16_e32 vcc, 0, v5
	v_cndmask_b32_e32 v1, v1, v2, vcc
	v_cndmask_b32_e32 v2, v6, v8, vcc
	v_mov_b32_e32 v5, 0x3b800000
	v_lshlrev_b32_e32 v1, 20, v1
	v_lshl_add_u32 v2, v2, 23, v5
	v_or3_b32 v1, v4, v2, v1
.LBB54_2016:
	s_or_b64 exec, exec, s[6:7]
	s_nop 0
	v_mfma_f32_16x16x4f32 a[0:3], v0, v1, a[0:3]
	s_movk_i32 s4, 0x7f
	v_cmp_gt_i16_sdwa s[6:7], v7, s4 src0_sel:BYTE_0 src1_sel:DWORD
	s_mov_b64 s[4:5], 0
                                        ; implicit-def: $sgpr10
	s_and_saveexec_b64 s[8:9], s[6:7]
	s_xor_b64 s[6:7], exec, s[8:9]
	s_cbranch_execnz .LBB54_4065
; %bb.2017:
	s_or_saveexec_b64 s[6:7], s[6:7]
	v_mov_b32_e32 v0, s10
	s_xor_b64 exec, exec, s[6:7]
	s_cbranch_execnz .LBB54_4068
.LBB54_2018:
	s_or_b64 exec, exec, s[6:7]
	s_and_saveexec_b64 s[6:7], s[4:5]
	s_cbranch_execz .LBB54_2020
.LBB54_2019:
	v_mov_b32_e32 v0, 8
	v_and_b32_e32 v1, 7, v7
	v_lshrrev_b32_sdwa v0, v0, v7 dst_sel:BYTE_1 dst_unused:UNUSED_PAD src0_sel:DWORD src1_sel:DWORD
	v_ffbh_u32_e32 v2, v1
	v_or_b32_sdwa v0, v7, v0 dst_sel:DWORD dst_unused:UNUSED_PAD src0_sel:BYTE_0 src1_sel:DWORD
	v_min_u32_e32 v2, 32, v2
	v_lshrrev_b16_e32 v0, 3, v0
	v_subrev_u32_e32 v4, 28, v2
	v_and_b32_e32 v0, 15, v0
	v_lshlrev_b32_e32 v4, v4, v7
	v_sub_u32_e32 v2, 29, v2
	v_and_b32_e32 v4, 7, v4
	v_cmp_eq_u16_e32 vcc, 0, v0
	v_cndmask_b32_e32 v1, v1, v4, vcc
	v_cndmask_b32_e32 v0, v0, v2, vcc
	v_lshlrev_b32_e32 v2, 24, v7
	v_mov_b32_e32 v4, 0x3b800000
	v_lshlrev_b32_e32 v1, 20, v1
	v_and_b32_e32 v2, 0x80000000, v2
	v_lshl_add_u32 v0, v0, 23, v4
	v_or3_b32 v0, v2, v0, v1
.LBB54_2020:
	s_or_b64 exec, exec, s[6:7]
	s_movk_i32 s4, 0x7f
	v_cmp_gt_i16_sdwa s[6:7], v3, s4 src0_sel:BYTE_0 src1_sel:DWORD
	s_mov_b64 s[4:5], 0
                                        ; implicit-def: $sgpr10
	s_and_saveexec_b64 s[8:9], s[6:7]
	s_xor_b64 s[6:7], exec, s[8:9]
	s_cbranch_execnz .LBB54_4069
; %bb.2021:
	s_or_saveexec_b64 s[6:7], s[6:7]
	v_mov_b32_e32 v1, s10
	s_xor_b64 exec, exec, s[6:7]
	s_cbranch_execnz .LBB54_4072
.LBB54_2022:
	s_or_b64 exec, exec, s[6:7]
	s_and_saveexec_b64 s[6:7], s[4:5]
	s_cbranch_execz .LBB54_2024
.LBB54_2023:
	v_mov_b32_e32 v1, 8
	v_and_b32_e32 v2, 7, v3
	v_lshrrev_b32_sdwa v1, v1, v3 dst_sel:BYTE_1 dst_unused:UNUSED_PAD src0_sel:DWORD src1_sel:DWORD
	v_ffbh_u32_e32 v4, v2
	v_or_b32_sdwa v1, v3, v1 dst_sel:DWORD dst_unused:UNUSED_PAD src0_sel:BYTE_0 src1_sel:DWORD
	v_min_u32_e32 v4, 32, v4
	v_lshrrev_b16_e32 v1, 3, v1
	v_subrev_u32_e32 v5, 28, v4
	v_and_b32_e32 v1, 15, v1
	v_lshlrev_b32_e32 v5, v5, v3
	v_sub_u32_e32 v4, 29, v4
	v_and_b32_e32 v5, 7, v5
	v_cmp_eq_u16_e32 vcc, 0, v1
	v_cndmask_b32_e32 v2, v2, v5, vcc
	v_cndmask_b32_e32 v1, v1, v4, vcc
	v_lshlrev_b32_e32 v4, 24, v3
	v_mov_b32_e32 v5, 0x3b800000
	v_lshlrev_b32_e32 v2, 20, v2
	v_and_b32_e32 v4, 0x80000000, v4
	v_lshl_add_u32 v1, v1, 23, v5
	v_or3_b32 v1, v4, v1, v2
.LBB54_2024:
	s_or_b64 exec, exec, s[6:7]
	s_nop 0
	v_mfma_f32_16x16x4f32 a[0:3], v0, v1, a[0:3]
	v_lshrrev_b32_e32 v1, 8, v7
	s_movk_i32 s4, 0x7f
	v_cmp_gt_i16_sdwa s[6:7], v1, s4 src0_sel:BYTE_0 src1_sel:DWORD
	s_mov_b64 s[4:5], 0
                                        ; implicit-def: $sgpr10
	s_and_saveexec_b64 s[8:9], s[6:7]
	s_xor_b64 s[6:7], exec, s[8:9]
	s_cbranch_execnz .LBB54_4073
; %bb.2025:
	s_or_saveexec_b64 s[6:7], s[6:7]
	v_mov_b32_e32 v0, s10
	s_xor_b64 exec, exec, s[6:7]
	s_cbranch_execnz .LBB54_4076
.LBB54_2026:
	s_or_b64 exec, exec, s[6:7]
	s_and_saveexec_b64 s[6:7], s[4:5]
	s_cbranch_execz .LBB54_2028
.LBB54_2027:
	v_bfe_u32 v0, v7, 8, 3
	v_ffbh_u32_e32 v4, v0
	v_min_u32_e32 v4, 32, v4
	v_lshrrev_b16_e32 v2, 3, v1
	v_subrev_u32_e32 v5, 28, v4
	v_and_b32_e32 v2, 15, v2
	v_lshlrev_b32_e32 v1, v5, v1
	v_sub_u32_e32 v4, 29, v4
	v_and_b32_e32 v1, 7, v1
	v_cmp_eq_u16_e32 vcc, 0, v2
	v_cndmask_b32_e32 v0, v0, v1, vcc
	v_cndmask_b32_e32 v1, v2, v4, vcc
	v_lshlrev_b32_e32 v2, 16, v7
	v_mov_b32_e32 v4, 0x3b800000
	v_lshlrev_b32_e32 v0, 20, v0
	v_and_b32_e32 v2, 0x80000000, v2
	v_lshl_add_u32 v1, v1, 23, v4
	v_or3_b32 v0, v2, v1, v0
.LBB54_2028:
	s_or_b64 exec, exec, s[6:7]
	v_lshrrev_b32_e32 v1, 8, v3
	s_movk_i32 s4, 0x7f
	v_cmp_gt_i16_sdwa s[6:7], v1, s4 src0_sel:BYTE_0 src1_sel:DWORD
	s_mov_b64 s[4:5], 0
                                        ; implicit-def: $sgpr10
	s_and_saveexec_b64 s[8:9], s[6:7]
	s_xor_b64 s[6:7], exec, s[8:9]
	s_cbranch_execnz .LBB54_4077
; %bb.2029:
	s_or_saveexec_b64 s[6:7], s[6:7]
	v_mov_b32_e32 v2, s10
	s_xor_b64 exec, exec, s[6:7]
	s_cbranch_execnz .LBB54_4080
.LBB54_2030:
	s_or_b64 exec, exec, s[6:7]
	s_and_saveexec_b64 s[6:7], s[4:5]
	s_cbranch_execz .LBB54_2032
.LBB54_2031:
	v_bfe_u32 v2, v3, 8, 3
	v_ffbh_u32_e32 v5, v2
	v_min_u32_e32 v5, 32, v5
	v_lshrrev_b16_e32 v4, 3, v1
	v_subrev_u32_e32 v6, 28, v5
	v_and_b32_e32 v4, 15, v4
	v_lshlrev_b32_e32 v1, v6, v1
	v_sub_u32_e32 v5, 29, v5
	v_and_b32_e32 v1, 7, v1
	v_cmp_eq_u16_e32 vcc, 0, v4
	v_cndmask_b32_e32 v1, v2, v1, vcc
	v_cndmask_b32_e32 v2, v4, v5, vcc
	v_lshlrev_b32_e32 v4, 16, v3
	v_mov_b32_e32 v5, 0x3b800000
	v_lshlrev_b32_e32 v1, 20, v1
	v_and_b32_e32 v4, 0x80000000, v4
	v_lshl_add_u32 v2, v2, 23, v5
	v_or3_b32 v2, v4, v2, v1
.LBB54_2032:
	s_or_b64 exec, exec, s[6:7]
	s_nop 0
	v_mfma_f32_16x16x4f32 a[0:3], v0, v2, a[0:3]
	s_movk_i32 s4, 0xff
	v_and_b32_sdwa v1, v7, s4 dst_sel:DWORD dst_unused:UNUSED_PAD src0_sel:WORD_1 src1_sel:DWORD
	s_movk_i32 s4, 0x7f
	v_cmp_lt_i16_e32 vcc, s4, v1
	s_mov_b64 s[4:5], 0
                                        ; implicit-def: $sgpr10
	s_and_saveexec_b64 s[6:7], vcc
	s_xor_b64 s[6:7], exec, s[6:7]
	s_cbranch_execnz .LBB54_4081
; %bb.2033:
	s_or_saveexec_b64 s[6:7], s[6:7]
	v_mov_b32_e32 v0, s10
	s_xor_b64 exec, exec, s[6:7]
	s_cbranch_execnz .LBB54_4084
.LBB54_2034:
	s_or_b64 exec, exec, s[6:7]
	s_and_saveexec_b64 s[6:7], s[4:5]
	s_cbranch_execz .LBB54_2036
.LBB54_2035:
	v_bfe_u32 v0, v7, 16, 3
	v_ffbh_u32_e32 v4, v0
	v_min_u32_e32 v4, 32, v4
	v_lshrrev_b32_e32 v1, 19, v7
	v_subrev_u32_e32 v5, 28, v4
	v_and_b32_e32 v1, 15, v1
	v_lshlrev_b32_sdwa v5, v5, v7 dst_sel:DWORD dst_unused:UNUSED_PAD src0_sel:DWORD src1_sel:WORD_1
	v_bfe_u32 v2, v7, 19, 4
	v_sub_u32_e32 v4, 29, v4
	v_and_b32_e32 v5, 7, v5
	v_cmp_eq_u16_e32 vcc, 0, v1
	v_cndmask_b32_e32 v0, v0, v5, vcc
	v_cndmask_b32_e32 v1, v2, v4, vcc
	v_lshlrev_b32_e32 v2, 8, v7
	v_mov_b32_e32 v4, 0x3b800000
	v_lshlrev_b32_e32 v0, 20, v0
	v_and_b32_e32 v2, 0x80000000, v2
	v_lshl_add_u32 v1, v1, 23, v4
	v_or3_b32 v0, v2, v1, v0
.LBB54_2036:
	s_or_b64 exec, exec, s[6:7]
	s_movk_i32 s4, 0xff
	v_and_b32_sdwa v1, v3, s4 dst_sel:DWORD dst_unused:UNUSED_PAD src0_sel:WORD_1 src1_sel:DWORD
	s_movk_i32 s4, 0x7f
	v_cmp_lt_i16_e32 vcc, s4, v1
	s_mov_b64 s[4:5], 0
                                        ; implicit-def: $sgpr10
	s_and_saveexec_b64 s[6:7], vcc
	s_xor_b64 s[6:7], exec, s[6:7]
	s_cbranch_execnz .LBB54_4085
; %bb.2037:
	s_or_saveexec_b64 s[6:7], s[6:7]
	v_mov_b32_e32 v2, s10
	s_xor_b64 exec, exec, s[6:7]
	s_cbranch_execnz .LBB54_4088
.LBB54_2038:
	s_or_b64 exec, exec, s[6:7]
	s_and_saveexec_b64 s[6:7], s[4:5]
	s_cbranch_execz .LBB54_2040
.LBB54_2039:
	v_bfe_u32 v1, v3, 16, 3
	v_ffbh_u32_e32 v5, v1
	v_min_u32_e32 v5, 32, v5
	v_lshrrev_b32_e32 v2, 19, v3
	v_subrev_u32_e32 v6, 28, v5
	v_and_b32_e32 v2, 15, v2
	v_lshlrev_b32_sdwa v6, v6, v3 dst_sel:DWORD dst_unused:UNUSED_PAD src0_sel:DWORD src1_sel:WORD_1
	v_bfe_u32 v4, v3, 19, 4
	v_sub_u32_e32 v5, 29, v5
	v_and_b32_e32 v6, 7, v6
	v_cmp_eq_u16_e32 vcc, 0, v2
	v_cndmask_b32_e32 v1, v1, v6, vcc
	v_cndmask_b32_e32 v2, v4, v5, vcc
	v_lshlrev_b32_e32 v4, 8, v3
	v_mov_b32_e32 v5, 0x3b800000
	v_lshlrev_b32_e32 v1, 20, v1
	v_and_b32_e32 v4, 0x80000000, v4
	v_lshl_add_u32 v2, v2, 23, v5
	v_or3_b32 v2, v4, v2, v1
.LBB54_2040:
	s_or_b64 exec, exec, s[6:7]
	s_nop 0
	v_mfma_f32_16x16x4f32 a[0:3], v0, v2, a[0:3]
	s_movk_i32 s4, 0x7f
	v_cmp_gt_i16_sdwa s[6:7], v7, s4 src0_sel:BYTE_3 src1_sel:DWORD
	s_mov_b64 s[4:5], 0
                                        ; implicit-def: $sgpr10
	s_and_saveexec_b64 s[8:9], s[6:7]
	s_xor_b64 s[6:7], exec, s[8:9]
	s_cbranch_execnz .LBB54_4089
; %bb.2041:
	s_or_saveexec_b64 s[6:7], s[6:7]
	v_mov_b32_e32 v0, s10
	s_xor_b64 exec, exec, s[6:7]
	s_cbranch_execnz .LBB54_4092
.LBB54_2042:
	s_or_b64 exec, exec, s[6:7]
	s_and_saveexec_b64 s[6:7], s[4:5]
	s_cbranch_execz .LBB54_2044
.LBB54_2043:
	v_bfe_u32 v0, v7, 24, 3
	v_ffbh_u32_e32 v5, v0
	v_min_u32_e32 v5, 32, v5
	v_lshrrev_b32_e32 v2, 27, v7
	v_subrev_u32_e32 v6, 28, v5
	v_and_b32_e32 v2, 15, v2
	v_lshlrev_b32_sdwa v6, v6, v7 dst_sel:DWORD dst_unused:UNUSED_PAD src0_sel:DWORD src1_sel:BYTE_3
	v_bfe_u32 v4, v7, 27, 4
	v_sub_u32_e32 v5, 29, v5
	v_and_b32_e32 v6, 7, v6
	v_cmp_eq_u16_e32 vcc, 0, v2
	v_cndmask_b32_e32 v0, v0, v6, vcc
	v_cndmask_b32_e32 v2, v4, v5, vcc
	v_mov_b32_e32 v4, 0x3b800000
	v_and_b32_e32 v1, 0x80000000, v7
	v_lshlrev_b32_e32 v0, 20, v0
	v_lshl_add_u32 v2, v2, 23, v4
	v_or3_b32 v0, v1, v2, v0
.LBB54_2044:
	s_or_b64 exec, exec, s[6:7]
	s_movk_i32 s4, 0x7f
	v_cmp_gt_i16_sdwa s[6:7], v3, s4 src0_sel:BYTE_3 src1_sel:DWORD
	s_mov_b64 s[4:5], 0
                                        ; implicit-def: $sgpr10
	s_and_saveexec_b64 s[8:9], s[6:7]
	s_xor_b64 s[6:7], exec, s[8:9]
	s_cbranch_execnz .LBB54_4093
; %bb.2045:
	s_or_saveexec_b64 s[6:7], s[6:7]
	v_mov_b32_e32 v1, s10
	s_xor_b64 exec, exec, s[6:7]
	s_cbranch_execnz .LBB54_4096
.LBB54_2046:
	s_or_b64 exec, exec, s[6:7]
	s_and_saveexec_b64 s[6:7], s[4:5]
	s_cbranch_execz .LBB54_2048
.LBB54_2047:
	v_bfe_u32 v1, v3, 24, 3
	v_ffbh_u32_e32 v6, v1
	v_min_u32_e32 v6, 32, v6
	v_lshrrev_b32_e32 v4, 27, v3
	v_subrev_u32_e32 v7, 28, v6
	v_and_b32_e32 v2, 0x80000000, v3
	v_and_b32_e32 v4, 15, v4
	v_bfe_u32 v5, v3, 27, 4
	v_lshlrev_b32_sdwa v3, v7, v3 dst_sel:DWORD dst_unused:UNUSED_PAD src0_sel:DWORD src1_sel:BYTE_3
	v_sub_u32_e32 v6, 29, v6
	v_and_b32_e32 v3, 7, v3
	v_cmp_eq_u16_e32 vcc, 0, v4
	v_cndmask_b32_e32 v1, v1, v3, vcc
	v_cndmask_b32_e32 v3, v5, v6, vcc
	v_mov_b32_e32 v4, 0x3b800000
	v_lshlrev_b32_e32 v1, 20, v1
	v_lshl_add_u32 v3, v3, 23, v4
	v_or3_b32 v1, v2, v3, v1
.LBB54_2048:
	s_or_b64 exec, exec, s[6:7]
	s_nop 0
	v_mfma_f32_16x16x4f32 a[0:3], v0, v1, a[0:3]
	s_nop 7
	s_nop 2
	flat_store_dwordx4 v[16:17], a[0:3] offset:368
	s_waitcnt vmcnt(0) lgkmcnt(0)
	s_setpc_b64 s[30:31]
.LBB54_2049:
	s_movk_i32 s4, 0x80
	v_cmp_eq_u16_sdwa s[12:13], v14, s4 src0_sel:BYTE_0 src1_sel:DWORD
	s_mov_b64 s[4:5], -1
                                        ; implicit-def: $sgpr10
	s_and_saveexec_b64 s[8:9], s[12:13]
; %bb.2050:
	s_mov_b32 s10, 0x7f800001
	s_xor_b64 s[4:5], exec, -1
; %bb.2051:
	s_or_b64 exec, exec, s[8:9]
	s_and_b64 s[4:5], s[4:5], exec
	s_or_saveexec_b64 s[6:7], s[6:7]
	v_mov_b32_e32 v20, s10
	s_xor_b64 exec, exec, s[6:7]
	s_cbranch_execz .LBB54_2
.LBB54_2052:
	v_mov_b32_e32 v20, 0
	v_cmp_ne_u16_sdwa s[8:9], v14, v20 src0_sel:BYTE_0 src1_sel:DWORD
	s_andn2_b64 s[4:5], s[4:5], exec
	s_and_b64 s[8:9], s[8:9], exec
	s_or_b64 s[4:5], s[4:5], s[8:9]
	s_or_b64 exec, exec, s[6:7]
	s_and_saveexec_b64 s[6:7], s[4:5]
	s_cbranch_execnz .LBB54_3
	s_branch .LBB54_4
.LBB54_2053:
	s_movk_i32 s4, 0x80
	v_cmp_eq_u16_sdwa s[12:13], v10, s4 src0_sel:BYTE_0 src1_sel:DWORD
	s_mov_b64 s[4:5], -1
                                        ; implicit-def: $sgpr10
	s_and_saveexec_b64 s[8:9], s[12:13]
; %bb.2054:
	s_mov_b32 s10, 0x7f800001
	s_xor_b64 s[4:5], exec, -1
; %bb.2055:
	s_or_b64 exec, exec, s[8:9]
	s_and_b64 s[4:5], s[4:5], exec
	s_or_saveexec_b64 s[6:7], s[6:7]
	v_mov_b32_e32 v21, s10
	s_xor_b64 exec, exec, s[6:7]
	s_cbranch_execz .LBB54_6
.LBB54_2056:
	v_mov_b32_e32 v21, 0
	v_cmp_ne_u16_sdwa s[8:9], v10, v21 src0_sel:BYTE_0 src1_sel:DWORD
	s_andn2_b64 s[4:5], s[4:5], exec
	s_and_b64 s[8:9], s[8:9], exec
	s_or_b64 s[4:5], s[4:5], s[8:9]
	s_or_b64 exec, exec, s[6:7]
	s_and_saveexec_b64 s[6:7], s[4:5]
	s_cbranch_execnz .LBB54_7
	s_branch .LBB54_8
.LBB54_2057:
	s_movk_i32 s4, 0x80
	v_cmp_eq_u16_sdwa s[12:13], v21, s4 src0_sel:BYTE_0 src1_sel:DWORD
	s_mov_b64 s[4:5], -1
                                        ; implicit-def: $sgpr10
	s_and_saveexec_b64 s[8:9], s[12:13]
; %bb.2058:
	s_mov_b32 s10, 0x7f800001
	s_xor_b64 s[4:5], exec, -1
; %bb.2059:
	s_or_b64 exec, exec, s[8:9]
	s_and_b64 s[4:5], s[4:5], exec
	s_or_saveexec_b64 s[6:7], s[6:7]
	v_mov_b32_e32 v20, s10
	s_xor_b64 exec, exec, s[6:7]
	s_cbranch_execz .LBB54_10
.LBB54_2060:
	v_mov_b32_e32 v20, 0
	v_cmp_ne_u16_sdwa s[8:9], v21, v20 src0_sel:BYTE_0 src1_sel:DWORD
	s_andn2_b64 s[4:5], s[4:5], exec
	s_and_b64 s[8:9], s[8:9], exec
	s_or_b64 s[4:5], s[4:5], s[8:9]
	s_or_b64 exec, exec, s[6:7]
	s_and_saveexec_b64 s[6:7], s[4:5]
	s_cbranch_execnz .LBB54_11
	s_branch .LBB54_12
.LBB54_2061:
	s_movk_i32 s4, 0x80
	v_cmp_eq_u16_sdwa s[12:13], v21, s4 src0_sel:BYTE_0 src1_sel:DWORD
	s_mov_b64 s[4:5], -1
                                        ; implicit-def: $sgpr10
	s_and_saveexec_b64 s[8:9], s[12:13]
; %bb.2062:
	s_mov_b32 s10, 0x7f800001
	s_xor_b64 s[4:5], exec, -1
; %bb.2063:
	s_or_b64 exec, exec, s[8:9]
	s_and_b64 s[4:5], s[4:5], exec
	s_or_saveexec_b64 s[6:7], s[6:7]
	v_mov_b32_e32 v22, s10
	s_xor_b64 exec, exec, s[6:7]
	s_cbranch_execz .LBB54_14
.LBB54_2064:
	v_mov_b32_e32 v22, 0
	v_cmp_ne_u16_sdwa s[8:9], v21, v22 src0_sel:BYTE_0 src1_sel:DWORD
	s_andn2_b64 s[4:5], s[4:5], exec
	s_and_b64 s[8:9], s[8:9], exec
	s_or_b64 s[4:5], s[4:5], s[8:9]
	s_or_b64 exec, exec, s[6:7]
	s_and_saveexec_b64 s[6:7], s[4:5]
	s_cbranch_execnz .LBB54_15
	s_branch .LBB54_16
.LBB54_2065:
	s_movk_i32 s4, 0x80
	v_cmp_eq_u16_e32 vcc, s4, v21
	s_mov_b64 s[4:5], -1
                                        ; implicit-def: $sgpr10
	s_and_saveexec_b64 s[8:9], vcc
; %bb.2066:
	s_mov_b32 s10, 0x7f800001
	s_xor_b64 s[4:5], exec, -1
; %bb.2067:
	s_or_b64 exec, exec, s[8:9]
	s_and_b64 s[4:5], s[4:5], exec
                                        ; implicit-def: $vgpr21
	s_or_saveexec_b64 s[6:7], s[6:7]
	v_mov_b32_e32 v20, s10
	s_xor_b64 exec, exec, s[6:7]
	s_cbranch_execz .LBB54_18
.LBB54_2068:
	v_cmp_ne_u16_e32 vcc, 0, v21
	s_andn2_b64 s[4:5], s[4:5], exec
	s_and_b64 s[8:9], vcc, exec
	v_mov_b32_e32 v20, 0
	s_or_b64 s[4:5], s[4:5], s[8:9]
	s_or_b64 exec, exec, s[6:7]
	s_and_saveexec_b64 s[6:7], s[4:5]
	s_cbranch_execnz .LBB54_19
	s_branch .LBB54_20
.LBB54_2069:
	s_movk_i32 s4, 0x80
	v_cmp_eq_u16_e32 vcc, s4, v21
	s_mov_b64 s[4:5], -1
                                        ; implicit-def: $sgpr10
	s_and_saveexec_b64 s[8:9], vcc
; %bb.2070:
	s_mov_b32 s10, 0x7f800001
	s_xor_b64 s[4:5], exec, -1
; %bb.2071:
	s_or_b64 exec, exec, s[8:9]
	s_and_b64 s[4:5], s[4:5], exec
                                        ; implicit-def: $vgpr21
	s_or_saveexec_b64 s[6:7], s[6:7]
	v_mov_b32_e32 v22, s10
	s_xor_b64 exec, exec, s[6:7]
	s_cbranch_execz .LBB54_22
.LBB54_2072:
	v_cmp_ne_u16_e32 vcc, 0, v21
	s_andn2_b64 s[4:5], s[4:5], exec
	s_and_b64 s[8:9], vcc, exec
	v_mov_b32_e32 v22, 0
	s_or_b64 s[4:5], s[4:5], s[8:9]
	s_or_b64 exec, exec, s[6:7]
	s_and_saveexec_b64 s[6:7], s[4:5]
	s_cbranch_execnz .LBB54_23
	s_branch .LBB54_24
.LBB54_2073:
	s_movk_i32 s4, 0x80
	v_cmp_eq_u16_sdwa s[12:13], v14, s4 src0_sel:BYTE_3 src1_sel:DWORD
	s_mov_b64 s[4:5], -1
                                        ; implicit-def: $sgpr10
	s_and_saveexec_b64 s[8:9], s[12:13]
; %bb.2074:
	s_mov_b32 s10, 0x7f800001
	s_xor_b64 s[4:5], exec, -1
; %bb.2075:
	s_or_b64 exec, exec, s[8:9]
	s_and_b64 s[4:5], s[4:5], exec
	s_or_saveexec_b64 s[6:7], s[6:7]
	v_mov_b32_e32 v20, s10
	s_xor_b64 exec, exec, s[6:7]
	s_cbranch_execz .LBB54_26
.LBB54_2076:
	v_mov_b32_e32 v20, 0
	v_cmp_ne_u16_sdwa s[8:9], v14, v20 src0_sel:BYTE_3 src1_sel:DWORD
	s_andn2_b64 s[4:5], s[4:5], exec
	s_and_b64 s[8:9], s[8:9], exec
	s_or_b64 s[4:5], s[4:5], s[8:9]
	s_or_b64 exec, exec, s[6:7]
	s_and_saveexec_b64 s[6:7], s[4:5]
	s_cbranch_execnz .LBB54_27
	s_branch .LBB54_28
.LBB54_2077:
	s_movk_i32 s4, 0x80
	v_cmp_eq_u16_sdwa s[12:13], v10, s4 src0_sel:BYTE_3 src1_sel:DWORD
	s_mov_b64 s[4:5], -1
                                        ; implicit-def: $sgpr10
	s_and_saveexec_b64 s[8:9], s[12:13]
; %bb.2078:
	s_mov_b32 s10, 0x7f800001
	s_xor_b64 s[4:5], exec, -1
; %bb.2079:
	s_or_b64 exec, exec, s[8:9]
	s_and_b64 s[4:5], s[4:5], exec
	s_or_saveexec_b64 s[6:7], s[6:7]
	v_mov_b32_e32 v14, s10
	s_xor_b64 exec, exec, s[6:7]
	s_cbranch_execz .LBB54_30
.LBB54_2080:
	v_mov_b32_e32 v14, 0
	v_cmp_ne_u16_sdwa s[8:9], v10, v14 src0_sel:BYTE_3 src1_sel:DWORD
	s_andn2_b64 s[4:5], s[4:5], exec
	s_and_b64 s[8:9], s[8:9], exec
	s_or_b64 s[4:5], s[4:5], s[8:9]
	s_or_b64 exec, exec, s[6:7]
	s_and_saveexec_b64 s[6:7], s[4:5]
	s_cbranch_execnz .LBB54_31
	s_branch .LBB54_32
.LBB54_2081:
	s_movk_i32 s4, 0x80
	v_cmp_eq_u16_sdwa s[12:13], v15, s4 src0_sel:BYTE_0 src1_sel:DWORD
	s_mov_b64 s[4:5], -1
                                        ; implicit-def: $sgpr10
	s_and_saveexec_b64 s[8:9], s[12:13]
; %bb.2082:
	s_mov_b32 s10, 0x7f800001
	s_xor_b64 s[4:5], exec, -1
; %bb.2083:
	s_or_b64 exec, exec, s[8:9]
	s_and_b64 s[4:5], s[4:5], exec
	s_or_saveexec_b64 s[6:7], s[6:7]
	v_mov_b32_e32 v10, s10
	s_xor_b64 exec, exec, s[6:7]
	s_cbranch_execz .LBB54_34
.LBB54_2084:
	v_mov_b32_e32 v10, 0
	v_cmp_ne_u16_sdwa s[8:9], v15, v10 src0_sel:BYTE_0 src1_sel:DWORD
	s_andn2_b64 s[4:5], s[4:5], exec
	s_and_b64 s[8:9], s[8:9], exec
	s_or_b64 s[4:5], s[4:5], s[8:9]
	s_or_b64 exec, exec, s[6:7]
	s_and_saveexec_b64 s[6:7], s[4:5]
	s_cbranch_execnz .LBB54_35
	s_branch .LBB54_36
.LBB54_2085:
	s_movk_i32 s4, 0x80
	v_cmp_eq_u16_sdwa s[12:13], v11, s4 src0_sel:BYTE_0 src1_sel:DWORD
	s_mov_b64 s[4:5], -1
                                        ; implicit-def: $sgpr10
	s_and_saveexec_b64 s[8:9], s[12:13]
; %bb.2086:
	s_mov_b32 s10, 0x7f800001
	s_xor_b64 s[4:5], exec, -1
; %bb.2087:
	s_or_b64 exec, exec, s[8:9]
	s_and_b64 s[4:5], s[4:5], exec
	s_or_saveexec_b64 s[6:7], s[6:7]
	v_mov_b32_e32 v14, s10
	s_xor_b64 exec, exec, s[6:7]
	s_cbranch_execz .LBB54_38
.LBB54_2088:
	v_mov_b32_e32 v14, 0
	v_cmp_ne_u16_sdwa s[8:9], v11, v14 src0_sel:BYTE_0 src1_sel:DWORD
	s_andn2_b64 s[4:5], s[4:5], exec
	s_and_b64 s[8:9], s[8:9], exec
	s_or_b64 s[4:5], s[4:5], s[8:9]
	s_or_b64 exec, exec, s[6:7]
	s_and_saveexec_b64 s[6:7], s[4:5]
	s_cbranch_execnz .LBB54_39
	s_branch .LBB54_40
.LBB54_2089:
	s_movk_i32 s4, 0x80
	v_cmp_eq_u16_sdwa s[12:13], v14, s4 src0_sel:BYTE_0 src1_sel:DWORD
	s_mov_b64 s[4:5], -1
                                        ; implicit-def: $sgpr10
	s_and_saveexec_b64 s[8:9], s[12:13]
; %bb.2090:
	s_mov_b32 s10, 0x7f800001
	s_xor_b64 s[4:5], exec, -1
; %bb.2091:
	s_or_b64 exec, exec, s[8:9]
	s_and_b64 s[4:5], s[4:5], exec
	s_or_saveexec_b64 s[6:7], s[6:7]
	v_mov_b32_e32 v10, s10
	s_xor_b64 exec, exec, s[6:7]
	s_cbranch_execz .LBB54_42
.LBB54_2092:
	v_mov_b32_e32 v10, 0
	v_cmp_ne_u16_sdwa s[8:9], v14, v10 src0_sel:BYTE_0 src1_sel:DWORD
	s_andn2_b64 s[4:5], s[4:5], exec
	s_and_b64 s[8:9], s[8:9], exec
	s_or_b64 s[4:5], s[4:5], s[8:9]
	s_or_b64 exec, exec, s[6:7]
	s_and_saveexec_b64 s[6:7], s[4:5]
	s_cbranch_execnz .LBB54_43
	s_branch .LBB54_44
.LBB54_2093:
	s_movk_i32 s4, 0x80
	v_cmp_eq_u16_sdwa s[12:13], v14, s4 src0_sel:BYTE_0 src1_sel:DWORD
	s_mov_b64 s[4:5], -1
                                        ; implicit-def: $sgpr10
	s_and_saveexec_b64 s[8:9], s[12:13]
; %bb.2094:
	s_mov_b32 s10, 0x7f800001
	s_xor_b64 s[4:5], exec, -1
; %bb.2095:
	s_or_b64 exec, exec, s[8:9]
	s_and_b64 s[4:5], s[4:5], exec
	s_or_saveexec_b64 s[6:7], s[6:7]
	v_mov_b32_e32 v20, s10
	s_xor_b64 exec, exec, s[6:7]
	s_cbranch_execz .LBB54_46
.LBB54_2096:
	v_mov_b32_e32 v20, 0
	v_cmp_ne_u16_sdwa s[8:9], v14, v20 src0_sel:BYTE_0 src1_sel:DWORD
	s_andn2_b64 s[4:5], s[4:5], exec
	s_and_b64 s[8:9], s[8:9], exec
	s_or_b64 s[4:5], s[4:5], s[8:9]
	s_or_b64 exec, exec, s[6:7]
	s_and_saveexec_b64 s[6:7], s[4:5]
	s_cbranch_execnz .LBB54_47
	s_branch .LBB54_48
.LBB54_2097:
	s_movk_i32 s4, 0x80
	v_cmp_eq_u16_e32 vcc, s4, v14
	s_mov_b64 s[4:5], -1
                                        ; implicit-def: $sgpr10
	s_and_saveexec_b64 s[8:9], vcc
; %bb.2098:
	s_mov_b32 s10, 0x7f800001
	s_xor_b64 s[4:5], exec, -1
; %bb.2099:
	s_or_b64 exec, exec, s[8:9]
	s_and_b64 s[4:5], s[4:5], exec
                                        ; implicit-def: $vgpr14
	s_or_saveexec_b64 s[6:7], s[6:7]
	v_mov_b32_e32 v10, s10
	s_xor_b64 exec, exec, s[6:7]
	s_cbranch_execz .LBB54_50
.LBB54_2100:
	v_cmp_ne_u16_e32 vcc, 0, v14
	s_andn2_b64 s[4:5], s[4:5], exec
	s_and_b64 s[8:9], vcc, exec
	v_mov_b32_e32 v10, 0
	s_or_b64 s[4:5], s[4:5], s[8:9]
	s_or_b64 exec, exec, s[6:7]
	s_and_saveexec_b64 s[6:7], s[4:5]
	s_cbranch_execnz .LBB54_51
	s_branch .LBB54_52
.LBB54_2101:
	s_movk_i32 s4, 0x80
	v_cmp_eq_u16_e32 vcc, s4, v14
	s_mov_b64 s[4:5], -1
                                        ; implicit-def: $sgpr10
	s_and_saveexec_b64 s[8:9], vcc
; %bb.2102:
	s_mov_b32 s10, 0x7f800001
	s_xor_b64 s[4:5], exec, -1
; %bb.2103:
	s_or_b64 exec, exec, s[8:9]
	s_and_b64 s[4:5], s[4:5], exec
                                        ; implicit-def: $vgpr14
	s_or_saveexec_b64 s[6:7], s[6:7]
	v_mov_b32_e32 v20, s10
	s_xor_b64 exec, exec, s[6:7]
	s_cbranch_execz .LBB54_54
.LBB54_2104:
	v_cmp_ne_u16_e32 vcc, 0, v14
	s_andn2_b64 s[4:5], s[4:5], exec
	s_and_b64 s[8:9], vcc, exec
	v_mov_b32_e32 v20, 0
	s_or_b64 s[4:5], s[4:5], s[8:9]
	s_or_b64 exec, exec, s[6:7]
	s_and_saveexec_b64 s[6:7], s[4:5]
	s_cbranch_execnz .LBB54_55
	s_branch .LBB54_56
.LBB54_2105:
	s_movk_i32 s4, 0x80
	v_cmp_eq_u16_sdwa s[12:13], v15, s4 src0_sel:BYTE_3 src1_sel:DWORD
	s_mov_b64 s[4:5], -1
                                        ; implicit-def: $sgpr10
	s_and_saveexec_b64 s[8:9], s[12:13]
; %bb.2106:
	s_mov_b32 s10, 0x7f800001
	s_xor_b64 s[4:5], exec, -1
; %bb.2107:
	s_or_b64 exec, exec, s[8:9]
	s_and_b64 s[4:5], s[4:5], exec
	s_or_saveexec_b64 s[6:7], s[6:7]
	v_mov_b32_e32 v10, s10
	s_xor_b64 exec, exec, s[6:7]
	s_cbranch_execz .LBB54_58
.LBB54_2108:
	v_mov_b32_e32 v10, 0
	v_cmp_ne_u16_sdwa s[8:9], v15, v10 src0_sel:BYTE_3 src1_sel:DWORD
	s_andn2_b64 s[4:5], s[4:5], exec
	s_and_b64 s[8:9], s[8:9], exec
	s_or_b64 s[4:5], s[4:5], s[8:9]
	s_or_b64 exec, exec, s[6:7]
	s_and_saveexec_b64 s[6:7], s[4:5]
	s_cbranch_execnz .LBB54_59
	s_branch .LBB54_60
.LBB54_2109:
	s_movk_i32 s4, 0x80
	v_cmp_eq_u16_sdwa s[12:13], v11, s4 src0_sel:BYTE_3 src1_sel:DWORD
	s_mov_b64 s[4:5], -1
                                        ; implicit-def: $sgpr10
	s_and_saveexec_b64 s[8:9], s[12:13]
; %bb.2110:
	s_mov_b32 s10, 0x7f800001
	s_xor_b64 s[4:5], exec, -1
; %bb.2111:
	s_or_b64 exec, exec, s[8:9]
	s_and_b64 s[4:5], s[4:5], exec
	s_or_saveexec_b64 s[6:7], s[6:7]
	v_mov_b32_e32 v14, s10
	s_xor_b64 exec, exec, s[6:7]
	s_cbranch_execz .LBB54_62
.LBB54_2112:
	v_mov_b32_e32 v14, 0
	v_cmp_ne_u16_sdwa s[8:9], v11, v14 src0_sel:BYTE_3 src1_sel:DWORD
	s_andn2_b64 s[4:5], s[4:5], exec
	s_and_b64 s[8:9], s[8:9], exec
	s_or_b64 s[4:5], s[4:5], s[8:9]
	s_or_b64 exec, exec, s[6:7]
	s_and_saveexec_b64 s[6:7], s[4:5]
	s_cbranch_execnz .LBB54_63
	s_branch .LBB54_64
.LBB54_2113:
	s_movk_i32 s4, 0x80
	v_cmp_eq_u16_sdwa s[12:13], v16, s4 src0_sel:BYTE_0 src1_sel:DWORD
	s_mov_b64 s[4:5], -1
                                        ; implicit-def: $sgpr10
	s_and_saveexec_b64 s[8:9], s[12:13]
; %bb.2114:
	s_mov_b32 s10, 0x7f800001
	s_xor_b64 s[4:5], exec, -1
; %bb.2115:
	s_or_b64 exec, exec, s[8:9]
	s_and_b64 s[4:5], s[4:5], exec
	s_or_saveexec_b64 s[6:7], s[6:7]
	v_mov_b32_e32 v10, s10
	s_xor_b64 exec, exec, s[6:7]
	s_cbranch_execz .LBB54_66
.LBB54_2116:
	v_mov_b32_e32 v10, 0
	v_cmp_ne_u16_sdwa s[8:9], v16, v10 src0_sel:BYTE_0 src1_sel:DWORD
	s_andn2_b64 s[4:5], s[4:5], exec
	s_and_b64 s[8:9], s[8:9], exec
	s_or_b64 s[4:5], s[4:5], s[8:9]
	s_or_b64 exec, exec, s[6:7]
	s_and_saveexec_b64 s[6:7], s[4:5]
	s_cbranch_execnz .LBB54_67
	s_branch .LBB54_68
.LBB54_2117:
	s_movk_i32 s4, 0x80
	v_cmp_eq_u16_sdwa s[12:13], v12, s4 src0_sel:BYTE_0 src1_sel:DWORD
	s_mov_b64 s[4:5], -1
                                        ; implicit-def: $sgpr10
	s_and_saveexec_b64 s[8:9], s[12:13]
; %bb.2118:
	s_mov_b32 s10, 0x7f800001
	s_xor_b64 s[4:5], exec, -1
; %bb.2119:
	s_or_b64 exec, exec, s[8:9]
	s_and_b64 s[4:5], s[4:5], exec
	s_or_saveexec_b64 s[6:7], s[6:7]
	v_mov_b32_e32 v11, s10
	s_xor_b64 exec, exec, s[6:7]
	s_cbranch_execz .LBB54_70
.LBB54_2120:
	v_mov_b32_e32 v11, 0
	v_cmp_ne_u16_sdwa s[8:9], v12, v11 src0_sel:BYTE_0 src1_sel:DWORD
	s_andn2_b64 s[4:5], s[4:5], exec
	s_and_b64 s[8:9], s[8:9], exec
	s_or_b64 s[4:5], s[4:5], s[8:9]
	s_or_b64 exec, exec, s[6:7]
	s_and_saveexec_b64 s[6:7], s[4:5]
	s_cbranch_execnz .LBB54_71
	s_branch .LBB54_72
.LBB54_2121:
	s_movk_i32 s4, 0x80
	v_cmp_eq_u16_sdwa s[12:13], v11, s4 src0_sel:BYTE_0 src1_sel:DWORD
	s_mov_b64 s[4:5], -1
                                        ; implicit-def: $sgpr10
	s_and_saveexec_b64 s[8:9], s[12:13]
; %bb.2122:
	s_mov_b32 s10, 0x7f800001
	s_xor_b64 s[4:5], exec, -1
; %bb.2123:
	s_or_b64 exec, exec, s[8:9]
	s_and_b64 s[4:5], s[4:5], exec
	s_or_saveexec_b64 s[6:7], s[6:7]
	v_mov_b32_e32 v10, s10
	s_xor_b64 exec, exec, s[6:7]
	s_cbranch_execz .LBB54_74
.LBB54_2124:
	v_mov_b32_e32 v10, 0
	v_cmp_ne_u16_sdwa s[8:9], v11, v10 src0_sel:BYTE_0 src1_sel:DWORD
	s_andn2_b64 s[4:5], s[4:5], exec
	s_and_b64 s[8:9], s[8:9], exec
	s_or_b64 s[4:5], s[4:5], s[8:9]
	s_or_b64 exec, exec, s[6:7]
	s_and_saveexec_b64 s[6:7], s[4:5]
	s_cbranch_execnz .LBB54_75
	s_branch .LBB54_76
.LBB54_2125:
	s_movk_i32 s4, 0x80
	v_cmp_eq_u16_sdwa s[12:13], v11, s4 src0_sel:BYTE_0 src1_sel:DWORD
	s_mov_b64 s[4:5], -1
                                        ; implicit-def: $sgpr10
	s_and_saveexec_b64 s[8:9], s[12:13]
; %bb.2126:
	s_mov_b32 s10, 0x7f800001
	s_xor_b64 s[4:5], exec, -1
; %bb.2127:
	s_or_b64 exec, exec, s[8:9]
	s_and_b64 s[4:5], s[4:5], exec
	s_or_saveexec_b64 s[6:7], s[6:7]
	v_mov_b32_e32 v14, s10
	s_xor_b64 exec, exec, s[6:7]
	s_cbranch_execz .LBB54_78
.LBB54_2128:
	v_mov_b32_e32 v14, 0
	v_cmp_ne_u16_sdwa s[8:9], v11, v14 src0_sel:BYTE_0 src1_sel:DWORD
	s_andn2_b64 s[4:5], s[4:5], exec
	s_and_b64 s[8:9], s[8:9], exec
	s_or_b64 s[4:5], s[4:5], s[8:9]
	s_or_b64 exec, exec, s[6:7]
	s_and_saveexec_b64 s[6:7], s[4:5]
	s_cbranch_execnz .LBB54_79
	s_branch .LBB54_80
.LBB54_2129:
	s_movk_i32 s4, 0x80
	v_cmp_eq_u16_e32 vcc, s4, v11
	s_mov_b64 s[4:5], -1
                                        ; implicit-def: $sgpr10
	s_and_saveexec_b64 s[8:9], vcc
; %bb.2130:
	s_mov_b32 s10, 0x7f800001
	s_xor_b64 s[4:5], exec, -1
; %bb.2131:
	s_or_b64 exec, exec, s[8:9]
	s_and_b64 s[4:5], s[4:5], exec
                                        ; implicit-def: $vgpr11
	s_or_saveexec_b64 s[6:7], s[6:7]
	v_mov_b32_e32 v10, s10
	s_xor_b64 exec, exec, s[6:7]
	s_cbranch_execz .LBB54_82
.LBB54_2132:
	v_cmp_ne_u16_e32 vcc, 0, v11
	s_andn2_b64 s[4:5], s[4:5], exec
	s_and_b64 s[8:9], vcc, exec
	v_mov_b32_e32 v10, 0
	s_or_b64 s[4:5], s[4:5], s[8:9]
	s_or_b64 exec, exec, s[6:7]
	s_and_saveexec_b64 s[6:7], s[4:5]
	s_cbranch_execnz .LBB54_83
	s_branch .LBB54_84
.LBB54_2133:
	s_movk_i32 s4, 0x80
	v_cmp_eq_u16_e32 vcc, s4, v11
	s_mov_b64 s[4:5], -1
                                        ; implicit-def: $sgpr10
	s_and_saveexec_b64 s[8:9], vcc
; %bb.2134:
	s_mov_b32 s10, 0x7f800001
	s_xor_b64 s[4:5], exec, -1
; %bb.2135:
	s_or_b64 exec, exec, s[8:9]
	s_and_b64 s[4:5], s[4:5], exec
                                        ; implicit-def: $vgpr11
	s_or_saveexec_b64 s[6:7], s[6:7]
	v_mov_b32_e32 v14, s10
	s_xor_b64 exec, exec, s[6:7]
	s_cbranch_execz .LBB54_86
.LBB54_2136:
	v_cmp_ne_u16_e32 vcc, 0, v11
	s_andn2_b64 s[4:5], s[4:5], exec
	s_and_b64 s[8:9], vcc, exec
	v_mov_b32_e32 v14, 0
	s_or_b64 s[4:5], s[4:5], s[8:9]
	s_or_b64 exec, exec, s[6:7]
	s_and_saveexec_b64 s[6:7], s[4:5]
	s_cbranch_execnz .LBB54_87
	s_branch .LBB54_88
.LBB54_2137:
	s_movk_i32 s4, 0x80
	v_cmp_eq_u16_sdwa s[12:13], v16, s4 src0_sel:BYTE_3 src1_sel:DWORD
	s_mov_b64 s[4:5], -1
                                        ; implicit-def: $sgpr10
	s_and_saveexec_b64 s[8:9], s[12:13]
; %bb.2138:
	s_mov_b32 s10, 0x7f800001
	s_xor_b64 s[4:5], exec, -1
; %bb.2139:
	s_or_b64 exec, exec, s[8:9]
	s_and_b64 s[4:5], s[4:5], exec
	s_or_saveexec_b64 s[6:7], s[6:7]
	v_mov_b32_e32 v10, s10
	s_xor_b64 exec, exec, s[6:7]
	s_cbranch_execz .LBB54_90
.LBB54_2140:
	v_mov_b32_e32 v10, 0
	v_cmp_ne_u16_sdwa s[8:9], v16, v10 src0_sel:BYTE_3 src1_sel:DWORD
	s_andn2_b64 s[4:5], s[4:5], exec
	s_and_b64 s[8:9], s[8:9], exec
	s_or_b64 s[4:5], s[4:5], s[8:9]
	s_or_b64 exec, exec, s[6:7]
	s_and_saveexec_b64 s[6:7], s[4:5]
	s_cbranch_execnz .LBB54_91
	s_branch .LBB54_92
.LBB54_2141:
	s_movk_i32 s4, 0x80
	v_cmp_eq_u16_sdwa s[12:13], v12, s4 src0_sel:BYTE_3 src1_sel:DWORD
	s_mov_b64 s[4:5], -1
                                        ; implicit-def: $sgpr10
	s_and_saveexec_b64 s[8:9], s[12:13]
; %bb.2142:
	s_mov_b32 s10, 0x7f800001
	s_xor_b64 s[4:5], exec, -1
; %bb.2143:
	s_or_b64 exec, exec, s[8:9]
	s_and_b64 s[4:5], s[4:5], exec
	s_or_saveexec_b64 s[6:7], s[6:7]
	v_mov_b32_e32 v11, s10
	s_xor_b64 exec, exec, s[6:7]
	s_cbranch_execz .LBB54_94
.LBB54_2144:
	v_mov_b32_e32 v11, 0
	v_cmp_ne_u16_sdwa s[8:9], v12, v11 src0_sel:BYTE_3 src1_sel:DWORD
	s_andn2_b64 s[4:5], s[4:5], exec
	s_and_b64 s[8:9], s[8:9], exec
	s_or_b64 s[4:5], s[4:5], s[8:9]
	s_or_b64 exec, exec, s[6:7]
	s_and_saveexec_b64 s[6:7], s[4:5]
	s_cbranch_execnz .LBB54_95
	s_branch .LBB54_96
.LBB54_2145:
	s_movk_i32 s4, 0x80
	v_cmp_eq_u16_sdwa s[12:13], v17, s4 src0_sel:BYTE_0 src1_sel:DWORD
	s_mov_b64 s[4:5], -1
                                        ; implicit-def: $sgpr10
	s_and_saveexec_b64 s[8:9], s[12:13]
; %bb.2146:
	s_mov_b32 s10, 0x7f800001
	s_xor_b64 s[4:5], exec, -1
; %bb.2147:
	s_or_b64 exec, exec, s[8:9]
	s_and_b64 s[4:5], s[4:5], exec
	s_or_saveexec_b64 s[6:7], s[6:7]
	v_mov_b32_e32 v10, s10
	s_xor_b64 exec, exec, s[6:7]
	s_cbranch_execz .LBB54_98
.LBB54_2148:
	v_mov_b32_e32 v10, 0
	v_cmp_ne_u16_sdwa s[8:9], v17, v10 src0_sel:BYTE_0 src1_sel:DWORD
	s_andn2_b64 s[4:5], s[4:5], exec
	s_and_b64 s[8:9], s[8:9], exec
	s_or_b64 s[4:5], s[4:5], s[8:9]
	s_or_b64 exec, exec, s[6:7]
	s_and_saveexec_b64 s[6:7], s[4:5]
	s_cbranch_execnz .LBB54_99
	s_branch .LBB54_100
.LBB54_2149:
	s_movk_i32 s4, 0x80
	v_cmp_eq_u16_sdwa s[12:13], v13, s4 src0_sel:BYTE_0 src1_sel:DWORD
	s_mov_b64 s[4:5], -1
                                        ; implicit-def: $sgpr10
	s_and_saveexec_b64 s[8:9], s[12:13]
; %bb.2150:
	s_mov_b32 s10, 0x7f800001
	s_xor_b64 s[4:5], exec, -1
; %bb.2151:
	s_or_b64 exec, exec, s[8:9]
	s_and_b64 s[4:5], s[4:5], exec
	s_or_saveexec_b64 s[6:7], s[6:7]
	v_mov_b32_e32 v11, s10
	s_xor_b64 exec, exec, s[6:7]
	s_cbranch_execz .LBB54_102
.LBB54_2152:
	v_mov_b32_e32 v11, 0
	v_cmp_ne_u16_sdwa s[8:9], v13, v11 src0_sel:BYTE_0 src1_sel:DWORD
	s_andn2_b64 s[4:5], s[4:5], exec
	s_and_b64 s[8:9], s[8:9], exec
	s_or_b64 s[4:5], s[4:5], s[8:9]
	s_or_b64 exec, exec, s[6:7]
	s_and_saveexec_b64 s[6:7], s[4:5]
	s_cbranch_execnz .LBB54_103
	s_branch .LBB54_104
.LBB54_2153:
	s_movk_i32 s4, 0x80
	v_cmp_eq_u16_sdwa s[12:13], v11, s4 src0_sel:BYTE_0 src1_sel:DWORD
	s_mov_b64 s[4:5], -1
                                        ; implicit-def: $sgpr10
	s_and_saveexec_b64 s[8:9], s[12:13]
; %bb.2154:
	s_mov_b32 s10, 0x7f800001
	s_xor_b64 s[4:5], exec, -1
; %bb.2155:
	s_or_b64 exec, exec, s[8:9]
	s_and_b64 s[4:5], s[4:5], exec
	s_or_saveexec_b64 s[6:7], s[6:7]
	v_mov_b32_e32 v10, s10
	s_xor_b64 exec, exec, s[6:7]
	s_cbranch_execz .LBB54_106
.LBB54_2156:
	v_mov_b32_e32 v10, 0
	v_cmp_ne_u16_sdwa s[8:9], v11, v10 src0_sel:BYTE_0 src1_sel:DWORD
	s_andn2_b64 s[4:5], s[4:5], exec
	s_and_b64 s[8:9], s[8:9], exec
	s_or_b64 s[4:5], s[4:5], s[8:9]
	s_or_b64 exec, exec, s[6:7]
	s_and_saveexec_b64 s[6:7], s[4:5]
	s_cbranch_execnz .LBB54_107
	s_branch .LBB54_108
.LBB54_2157:
	s_movk_i32 s4, 0x80
	v_cmp_eq_u16_sdwa s[12:13], v11, s4 src0_sel:BYTE_0 src1_sel:DWORD
	s_mov_b64 s[4:5], -1
                                        ; implicit-def: $sgpr10
	s_and_saveexec_b64 s[8:9], s[12:13]
; %bb.2158:
	s_mov_b32 s10, 0x7f800001
	s_xor_b64 s[4:5], exec, -1
; %bb.2159:
	s_or_b64 exec, exec, s[8:9]
	s_and_b64 s[4:5], s[4:5], exec
	s_or_saveexec_b64 s[6:7], s[6:7]
	v_mov_b32_e32 v12, s10
	s_xor_b64 exec, exec, s[6:7]
	s_cbranch_execz .LBB54_110
.LBB54_2160:
	v_mov_b32_e32 v12, 0
	v_cmp_ne_u16_sdwa s[8:9], v11, v12 src0_sel:BYTE_0 src1_sel:DWORD
	s_andn2_b64 s[4:5], s[4:5], exec
	s_and_b64 s[8:9], s[8:9], exec
	s_or_b64 s[4:5], s[4:5], s[8:9]
	s_or_b64 exec, exec, s[6:7]
	s_and_saveexec_b64 s[6:7], s[4:5]
	s_cbranch_execnz .LBB54_111
	s_branch .LBB54_112
.LBB54_2161:
	s_movk_i32 s4, 0x80
	v_cmp_eq_u16_e32 vcc, s4, v11
	s_mov_b64 s[4:5], -1
                                        ; implicit-def: $sgpr10
	s_and_saveexec_b64 s[8:9], vcc
; %bb.2162:
	s_mov_b32 s10, 0x7f800001
	s_xor_b64 s[4:5], exec, -1
; %bb.2163:
	s_or_b64 exec, exec, s[8:9]
	s_and_b64 s[4:5], s[4:5], exec
                                        ; implicit-def: $vgpr11
	s_or_saveexec_b64 s[6:7], s[6:7]
	v_mov_b32_e32 v10, s10
	s_xor_b64 exec, exec, s[6:7]
	s_cbranch_execz .LBB54_114
.LBB54_2164:
	v_cmp_ne_u16_e32 vcc, 0, v11
	s_andn2_b64 s[4:5], s[4:5], exec
	s_and_b64 s[8:9], vcc, exec
	v_mov_b32_e32 v10, 0
	s_or_b64 s[4:5], s[4:5], s[8:9]
	s_or_b64 exec, exec, s[6:7]
	s_and_saveexec_b64 s[6:7], s[4:5]
	s_cbranch_execnz .LBB54_115
	s_branch .LBB54_116
.LBB54_2165:
	s_movk_i32 s4, 0x80
	v_cmp_eq_u16_e32 vcc, s4, v11
	s_mov_b64 s[4:5], -1
                                        ; implicit-def: $sgpr10
	s_and_saveexec_b64 s[8:9], vcc
; %bb.2166:
	s_mov_b32 s10, 0x7f800001
	s_xor_b64 s[4:5], exec, -1
; %bb.2167:
	s_or_b64 exec, exec, s[8:9]
	s_and_b64 s[4:5], s[4:5], exec
                                        ; implicit-def: $vgpr11
	s_or_saveexec_b64 s[6:7], s[6:7]
	v_mov_b32_e32 v12, s10
	s_xor_b64 exec, exec, s[6:7]
	s_cbranch_execz .LBB54_118
.LBB54_2168:
	v_cmp_ne_u16_e32 vcc, 0, v11
	s_andn2_b64 s[4:5], s[4:5], exec
	s_and_b64 s[8:9], vcc, exec
	v_mov_b32_e32 v12, 0
	s_or_b64 s[4:5], s[4:5], s[8:9]
	s_or_b64 exec, exec, s[6:7]
	s_and_saveexec_b64 s[6:7], s[4:5]
	s_cbranch_execnz .LBB54_119
	s_branch .LBB54_120
.LBB54_2169:
	s_movk_i32 s4, 0x80
	v_cmp_eq_u16_sdwa s[12:13], v17, s4 src0_sel:BYTE_3 src1_sel:DWORD
	s_mov_b64 s[4:5], -1
                                        ; implicit-def: $sgpr10
	s_and_saveexec_b64 s[8:9], s[12:13]
; %bb.2170:
	s_mov_b32 s10, 0x7f800001
	s_xor_b64 s[4:5], exec, -1
; %bb.2171:
	s_or_b64 exec, exec, s[8:9]
	s_and_b64 s[4:5], s[4:5], exec
	s_or_saveexec_b64 s[6:7], s[6:7]
	v_mov_b32_e32 v10, s10
	s_xor_b64 exec, exec, s[6:7]
	s_cbranch_execz .LBB54_122
.LBB54_2172:
	v_mov_b32_e32 v10, 0
	v_cmp_ne_u16_sdwa s[8:9], v17, v10 src0_sel:BYTE_3 src1_sel:DWORD
	s_andn2_b64 s[4:5], s[4:5], exec
	s_and_b64 s[8:9], s[8:9], exec
	s_or_b64 s[4:5], s[4:5], s[8:9]
	s_or_b64 exec, exec, s[6:7]
	s_and_saveexec_b64 s[6:7], s[4:5]
	s_cbranch_execnz .LBB54_123
	s_branch .LBB54_124
.LBB54_2173:
	s_movk_i32 s4, 0x80
	v_cmp_eq_u16_sdwa s[12:13], v13, s4 src0_sel:BYTE_3 src1_sel:DWORD
	s_mov_b64 s[4:5], -1
                                        ; implicit-def: $sgpr10
	s_and_saveexec_b64 s[8:9], s[12:13]
; %bb.2174:
	s_mov_b32 s10, 0x7f800001
	s_xor_b64 s[4:5], exec, -1
; %bb.2175:
	s_or_b64 exec, exec, s[8:9]
	s_and_b64 s[4:5], s[4:5], exec
	s_or_saveexec_b64 s[6:7], s[6:7]
	v_mov_b32_e32 v11, s10
	s_xor_b64 exec, exec, s[6:7]
	s_cbranch_execz .LBB54_126
.LBB54_2176:
	v_mov_b32_e32 v11, 0
	v_cmp_ne_u16_sdwa s[8:9], v13, v11 src0_sel:BYTE_3 src1_sel:DWORD
	s_andn2_b64 s[4:5], s[4:5], exec
	s_and_b64 s[8:9], s[8:9], exec
	s_or_b64 s[4:5], s[4:5], s[8:9]
	s_or_b64 exec, exec, s[6:7]
	s_and_saveexec_b64 s[6:7], s[4:5]
	s_cbranch_execnz .LBB54_127
	s_branch .LBB54_128
.LBB54_2177:
	s_movk_i32 s4, 0x80
	v_cmp_eq_u16_sdwa s[12:13], v6, s4 src0_sel:BYTE_0 src1_sel:DWORD
	s_mov_b64 s[4:5], -1
                                        ; implicit-def: $sgpr10
	s_and_saveexec_b64 s[8:9], s[12:13]
; %bb.2178:
	s_mov_b32 s10, 0x7f800001
	s_xor_b64 s[4:5], exec, -1
; %bb.2179:
	s_or_b64 exec, exec, s[8:9]
	s_and_b64 s[4:5], s[4:5], exec
	s_or_saveexec_b64 s[6:7], s[6:7]
	v_mov_b32_e32 v10, s10
	s_xor_b64 exec, exec, s[6:7]
	s_cbranch_execz .LBB54_130
.LBB54_2180:
	v_mov_b32_e32 v10, 0
	v_cmp_ne_u16_sdwa s[8:9], v6, v10 src0_sel:BYTE_0 src1_sel:DWORD
	s_andn2_b64 s[4:5], s[4:5], exec
	s_and_b64 s[8:9], s[8:9], exec
	s_or_b64 s[4:5], s[4:5], s[8:9]
	s_or_b64 exec, exec, s[6:7]
	s_and_saveexec_b64 s[6:7], s[4:5]
	s_cbranch_execnz .LBB54_131
	s_branch .LBB54_132
.LBB54_2181:
	s_movk_i32 s4, 0x80
	v_cmp_eq_u16_sdwa s[12:13], v2, s4 src0_sel:BYTE_0 src1_sel:DWORD
	s_mov_b64 s[4:5], -1
                                        ; implicit-def: $sgpr10
	s_and_saveexec_b64 s[8:9], s[12:13]
; %bb.2182:
	s_mov_b32 s10, 0x7f800001
	s_xor_b64 s[4:5], exec, -1
; %bb.2183:
	s_or_b64 exec, exec, s[8:9]
	s_and_b64 s[4:5], s[4:5], exec
	s_or_saveexec_b64 s[6:7], s[6:7]
	v_mov_b32_e32 v11, s10
	s_xor_b64 exec, exec, s[6:7]
	s_cbranch_execz .LBB54_134
.LBB54_2184:
	v_mov_b32_e32 v11, 0
	v_cmp_ne_u16_sdwa s[8:9], v2, v11 src0_sel:BYTE_0 src1_sel:DWORD
	s_andn2_b64 s[4:5], s[4:5], exec
	s_and_b64 s[8:9], s[8:9], exec
	s_or_b64 s[4:5], s[4:5], s[8:9]
	s_or_b64 exec, exec, s[6:7]
	s_and_saveexec_b64 s[6:7], s[4:5]
	s_cbranch_execnz .LBB54_135
	s_branch .LBB54_136
.LBB54_2185:
	s_movk_i32 s4, 0x80
	v_cmp_eq_u16_sdwa s[12:13], v11, s4 src0_sel:BYTE_0 src1_sel:DWORD
	s_mov_b64 s[4:5], -1
                                        ; implicit-def: $sgpr10
	s_and_saveexec_b64 s[8:9], s[12:13]
; %bb.2186:
	s_mov_b32 s10, 0x7f800001
	s_xor_b64 s[4:5], exec, -1
; %bb.2187:
	s_or_b64 exec, exec, s[8:9]
	s_and_b64 s[4:5], s[4:5], exec
	s_or_saveexec_b64 s[6:7], s[6:7]
	v_mov_b32_e32 v10, s10
	s_xor_b64 exec, exec, s[6:7]
	s_cbranch_execz .LBB54_138
.LBB54_2188:
	v_mov_b32_e32 v10, 0
	v_cmp_ne_u16_sdwa s[8:9], v11, v10 src0_sel:BYTE_0 src1_sel:DWORD
	s_andn2_b64 s[4:5], s[4:5], exec
	s_and_b64 s[8:9], s[8:9], exec
	s_or_b64 s[4:5], s[4:5], s[8:9]
	s_or_b64 exec, exec, s[6:7]
	s_and_saveexec_b64 s[6:7], s[4:5]
	s_cbranch_execnz .LBB54_139
	s_branch .LBB54_140
.LBB54_2189:
	s_movk_i32 s4, 0x80
	v_cmp_eq_u16_sdwa s[12:13], v11, s4 src0_sel:BYTE_0 src1_sel:DWORD
	s_mov_b64 s[4:5], -1
                                        ; implicit-def: $sgpr10
	s_and_saveexec_b64 s[8:9], s[12:13]
; %bb.2190:
	s_mov_b32 s10, 0x7f800001
	s_xor_b64 s[4:5], exec, -1
; %bb.2191:
	s_or_b64 exec, exec, s[8:9]
	s_and_b64 s[4:5], s[4:5], exec
	s_or_saveexec_b64 s[6:7], s[6:7]
	v_mov_b32_e32 v12, s10
	s_xor_b64 exec, exec, s[6:7]
	s_cbranch_execz .LBB54_142
.LBB54_2192:
	v_mov_b32_e32 v12, 0
	v_cmp_ne_u16_sdwa s[8:9], v11, v12 src0_sel:BYTE_0 src1_sel:DWORD
	s_andn2_b64 s[4:5], s[4:5], exec
	s_and_b64 s[8:9], s[8:9], exec
	s_or_b64 s[4:5], s[4:5], s[8:9]
	s_or_b64 exec, exec, s[6:7]
	s_and_saveexec_b64 s[6:7], s[4:5]
	s_cbranch_execnz .LBB54_143
	s_branch .LBB54_144
.LBB54_2193:
	s_movk_i32 s4, 0x80
	v_cmp_eq_u16_e32 vcc, s4, v11
	s_mov_b64 s[4:5], -1
                                        ; implicit-def: $sgpr10
	s_and_saveexec_b64 s[8:9], vcc
; %bb.2194:
	s_mov_b32 s10, 0x7f800001
	s_xor_b64 s[4:5], exec, -1
; %bb.2195:
	s_or_b64 exec, exec, s[8:9]
	s_and_b64 s[4:5], s[4:5], exec
                                        ; implicit-def: $vgpr11
	s_or_saveexec_b64 s[6:7], s[6:7]
	v_mov_b32_e32 v10, s10
	s_xor_b64 exec, exec, s[6:7]
	s_cbranch_execz .LBB54_146
.LBB54_2196:
	v_cmp_ne_u16_e32 vcc, 0, v11
	s_andn2_b64 s[4:5], s[4:5], exec
	s_and_b64 s[8:9], vcc, exec
	v_mov_b32_e32 v10, 0
	s_or_b64 s[4:5], s[4:5], s[8:9]
	s_or_b64 exec, exec, s[6:7]
	s_and_saveexec_b64 s[6:7], s[4:5]
	s_cbranch_execnz .LBB54_147
	s_branch .LBB54_148
.LBB54_2197:
	s_movk_i32 s4, 0x80
	v_cmp_eq_u16_e32 vcc, s4, v11
	s_mov_b64 s[4:5], -1
                                        ; implicit-def: $sgpr10
	s_and_saveexec_b64 s[8:9], vcc
; %bb.2198:
	s_mov_b32 s10, 0x7f800001
	s_xor_b64 s[4:5], exec, -1
; %bb.2199:
	s_or_b64 exec, exec, s[8:9]
	s_and_b64 s[4:5], s[4:5], exec
                                        ; implicit-def: $vgpr11
	s_or_saveexec_b64 s[6:7], s[6:7]
	v_mov_b32_e32 v12, s10
	s_xor_b64 exec, exec, s[6:7]
	s_cbranch_execz .LBB54_150
.LBB54_2200:
	v_cmp_ne_u16_e32 vcc, 0, v11
	s_andn2_b64 s[4:5], s[4:5], exec
	s_and_b64 s[8:9], vcc, exec
	v_mov_b32_e32 v12, 0
	s_or_b64 s[4:5], s[4:5], s[8:9]
	s_or_b64 exec, exec, s[6:7]
	s_and_saveexec_b64 s[6:7], s[4:5]
	s_cbranch_execnz .LBB54_151
	s_branch .LBB54_152
.LBB54_2201:
	s_movk_i32 s4, 0x80
	v_cmp_eq_u16_sdwa s[12:13], v6, s4 src0_sel:BYTE_3 src1_sel:DWORD
	s_mov_b64 s[4:5], -1
                                        ; implicit-def: $sgpr10
	s_and_saveexec_b64 s[8:9], s[12:13]
; %bb.2202:
	s_mov_b32 s10, 0x7f800001
	s_xor_b64 s[4:5], exec, -1
; %bb.2203:
	s_or_b64 exec, exec, s[8:9]
	s_and_b64 s[4:5], s[4:5], exec
	s_or_saveexec_b64 s[6:7], s[6:7]
	v_mov_b32_e32 v10, s10
	s_xor_b64 exec, exec, s[6:7]
	s_cbranch_execz .LBB54_154
.LBB54_2204:
	v_mov_b32_e32 v10, 0
	v_cmp_ne_u16_sdwa s[8:9], v6, v10 src0_sel:BYTE_3 src1_sel:DWORD
	s_andn2_b64 s[4:5], s[4:5], exec
	s_and_b64 s[8:9], s[8:9], exec
	s_or_b64 s[4:5], s[4:5], s[8:9]
	s_or_b64 exec, exec, s[6:7]
	s_and_saveexec_b64 s[6:7], s[4:5]
	s_cbranch_execnz .LBB54_155
	s_branch .LBB54_156
.LBB54_2205:
	s_movk_i32 s4, 0x80
	v_cmp_eq_u16_sdwa s[12:13], v2, s4 src0_sel:BYTE_3 src1_sel:DWORD
	s_mov_b64 s[4:5], -1
                                        ; implicit-def: $sgpr10
	s_and_saveexec_b64 s[8:9], s[12:13]
; %bb.2206:
	s_mov_b32 s10, 0x7f800001
	s_xor_b64 s[4:5], exec, -1
; %bb.2207:
	s_or_b64 exec, exec, s[8:9]
	s_and_b64 s[4:5], s[4:5], exec
	s_or_saveexec_b64 s[6:7], s[6:7]
	v_mov_b32_e32 v6, s10
	s_xor_b64 exec, exec, s[6:7]
	s_cbranch_execz .LBB54_158
.LBB54_2208:
	v_mov_b32_e32 v6, 0
	v_cmp_ne_u16_sdwa s[8:9], v2, v6 src0_sel:BYTE_3 src1_sel:DWORD
	s_andn2_b64 s[4:5], s[4:5], exec
	s_and_b64 s[8:9], s[8:9], exec
	s_or_b64 s[4:5], s[4:5], s[8:9]
	s_or_b64 exec, exec, s[6:7]
	s_and_saveexec_b64 s[6:7], s[4:5]
	s_cbranch_execnz .LBB54_159
	s_branch .LBB54_160
.LBB54_2209:
	s_movk_i32 s4, 0x80
	v_cmp_eq_u16_sdwa s[12:13], v7, s4 src0_sel:BYTE_0 src1_sel:DWORD
	s_mov_b64 s[4:5], -1
                                        ; implicit-def: $sgpr10
	s_and_saveexec_b64 s[8:9], s[12:13]
; %bb.2210:
	s_mov_b32 s10, 0x7f800001
	s_xor_b64 s[4:5], exec, -1
; %bb.2211:
	s_or_b64 exec, exec, s[8:9]
	s_and_b64 s[4:5], s[4:5], exec
	s_or_saveexec_b64 s[6:7], s[6:7]
	v_mov_b32_e32 v2, s10
	s_xor_b64 exec, exec, s[6:7]
	s_cbranch_execz .LBB54_162
.LBB54_2212:
	v_mov_b32_e32 v2, 0
	v_cmp_ne_u16_sdwa s[8:9], v7, v2 src0_sel:BYTE_0 src1_sel:DWORD
	s_andn2_b64 s[4:5], s[4:5], exec
	s_and_b64 s[8:9], s[8:9], exec
	s_or_b64 s[4:5], s[4:5], s[8:9]
	s_or_b64 exec, exec, s[6:7]
	s_and_saveexec_b64 s[6:7], s[4:5]
	s_cbranch_execnz .LBB54_163
	s_branch .LBB54_164
.LBB54_2213:
	s_movk_i32 s4, 0x80
	v_cmp_eq_u16_sdwa s[12:13], v3, s4 src0_sel:BYTE_0 src1_sel:DWORD
	s_mov_b64 s[4:5], -1
                                        ; implicit-def: $sgpr10
	s_and_saveexec_b64 s[8:9], s[12:13]
; %bb.2214:
	s_mov_b32 s10, 0x7f800001
	s_xor_b64 s[4:5], exec, -1
; %bb.2215:
	s_or_b64 exec, exec, s[8:9]
	s_and_b64 s[4:5], s[4:5], exec
	s_or_saveexec_b64 s[6:7], s[6:7]
	v_mov_b32_e32 v6, s10
	s_xor_b64 exec, exec, s[6:7]
	s_cbranch_execz .LBB54_166
.LBB54_2216:
	v_mov_b32_e32 v6, 0
	v_cmp_ne_u16_sdwa s[8:9], v3, v6 src0_sel:BYTE_0 src1_sel:DWORD
	s_andn2_b64 s[4:5], s[4:5], exec
	s_and_b64 s[8:9], s[8:9], exec
	s_or_b64 s[4:5], s[4:5], s[8:9]
	s_or_b64 exec, exec, s[6:7]
	s_and_saveexec_b64 s[6:7], s[4:5]
	s_cbranch_execnz .LBB54_167
	s_branch .LBB54_168
.LBB54_2217:
	s_movk_i32 s4, 0x80
	v_cmp_eq_u16_sdwa s[12:13], v6, s4 src0_sel:BYTE_0 src1_sel:DWORD
	s_mov_b64 s[4:5], -1
                                        ; implicit-def: $sgpr10
	s_and_saveexec_b64 s[8:9], s[12:13]
; %bb.2218:
	s_mov_b32 s10, 0x7f800001
	s_xor_b64 s[4:5], exec, -1
; %bb.2219:
	s_or_b64 exec, exec, s[8:9]
	s_and_b64 s[4:5], s[4:5], exec
	s_or_saveexec_b64 s[6:7], s[6:7]
	v_mov_b32_e32 v2, s10
	s_xor_b64 exec, exec, s[6:7]
	s_cbranch_execz .LBB54_170
.LBB54_2220:
	v_mov_b32_e32 v2, 0
	v_cmp_ne_u16_sdwa s[8:9], v6, v2 src0_sel:BYTE_0 src1_sel:DWORD
	s_andn2_b64 s[4:5], s[4:5], exec
	s_and_b64 s[8:9], s[8:9], exec
	s_or_b64 s[4:5], s[4:5], s[8:9]
	s_or_b64 exec, exec, s[6:7]
	s_and_saveexec_b64 s[6:7], s[4:5]
	s_cbranch_execnz .LBB54_171
	s_branch .LBB54_172
.LBB54_2221:
	s_movk_i32 s4, 0x80
	v_cmp_eq_u16_sdwa s[12:13], v6, s4 src0_sel:BYTE_0 src1_sel:DWORD
	s_mov_b64 s[4:5], -1
                                        ; implicit-def: $sgpr10
	s_and_saveexec_b64 s[8:9], s[12:13]
; %bb.2222:
	s_mov_b32 s10, 0x7f800001
	s_xor_b64 s[4:5], exec, -1
; %bb.2223:
	s_or_b64 exec, exec, s[8:9]
	s_and_b64 s[4:5], s[4:5], exec
	s_or_saveexec_b64 s[6:7], s[6:7]
	v_mov_b32_e32 v10, s10
	s_xor_b64 exec, exec, s[6:7]
	s_cbranch_execz .LBB54_174
.LBB54_2224:
	v_mov_b32_e32 v10, 0
	v_cmp_ne_u16_sdwa s[8:9], v6, v10 src0_sel:BYTE_0 src1_sel:DWORD
	s_andn2_b64 s[4:5], s[4:5], exec
	s_and_b64 s[8:9], s[8:9], exec
	s_or_b64 s[4:5], s[4:5], s[8:9]
	s_or_b64 exec, exec, s[6:7]
	s_and_saveexec_b64 s[6:7], s[4:5]
	s_cbranch_execnz .LBB54_175
	s_branch .LBB54_176
.LBB54_2225:
	s_movk_i32 s4, 0x80
	v_cmp_eq_u16_e32 vcc, s4, v6
	s_mov_b64 s[4:5], -1
                                        ; implicit-def: $sgpr10
	s_and_saveexec_b64 s[8:9], vcc
; %bb.2226:
	s_mov_b32 s10, 0x7f800001
	s_xor_b64 s[4:5], exec, -1
; %bb.2227:
	s_or_b64 exec, exec, s[8:9]
	s_and_b64 s[4:5], s[4:5], exec
                                        ; implicit-def: $vgpr6
	s_or_saveexec_b64 s[6:7], s[6:7]
	v_mov_b32_e32 v2, s10
	s_xor_b64 exec, exec, s[6:7]
	s_cbranch_execz .LBB54_178
.LBB54_2228:
	v_cmp_ne_u16_e32 vcc, 0, v6
	s_andn2_b64 s[4:5], s[4:5], exec
	s_and_b64 s[8:9], vcc, exec
	v_mov_b32_e32 v2, 0
	s_or_b64 s[4:5], s[4:5], s[8:9]
	s_or_b64 exec, exec, s[6:7]
	s_and_saveexec_b64 s[6:7], s[4:5]
	s_cbranch_execnz .LBB54_179
	s_branch .LBB54_180
.LBB54_2229:
	s_movk_i32 s4, 0x80
	v_cmp_eq_u16_e32 vcc, s4, v6
	s_mov_b64 s[4:5], -1
                                        ; implicit-def: $sgpr10
	s_and_saveexec_b64 s[8:9], vcc
; %bb.2230:
	s_mov_b32 s10, 0x7f800001
	s_xor_b64 s[4:5], exec, -1
; %bb.2231:
	s_or_b64 exec, exec, s[8:9]
	s_and_b64 s[4:5], s[4:5], exec
                                        ; implicit-def: $vgpr6
	s_or_saveexec_b64 s[6:7], s[6:7]
	v_mov_b32_e32 v10, s10
	s_xor_b64 exec, exec, s[6:7]
	s_cbranch_execz .LBB54_182
.LBB54_2232:
	v_cmp_ne_u16_e32 vcc, 0, v6
	s_andn2_b64 s[4:5], s[4:5], exec
	s_and_b64 s[8:9], vcc, exec
	v_mov_b32_e32 v10, 0
	s_or_b64 s[4:5], s[4:5], s[8:9]
	s_or_b64 exec, exec, s[6:7]
	s_and_saveexec_b64 s[6:7], s[4:5]
	s_cbranch_execnz .LBB54_183
	s_branch .LBB54_184
.LBB54_2233:
	s_movk_i32 s4, 0x80
	v_cmp_eq_u16_sdwa s[12:13], v7, s4 src0_sel:BYTE_3 src1_sel:DWORD
	s_mov_b64 s[4:5], -1
                                        ; implicit-def: $sgpr10
	s_and_saveexec_b64 s[8:9], s[12:13]
; %bb.2234:
	s_mov_b32 s10, 0x7f800001
	s_xor_b64 s[4:5], exec, -1
; %bb.2235:
	s_or_b64 exec, exec, s[8:9]
	s_and_b64 s[4:5], s[4:5], exec
	s_or_saveexec_b64 s[6:7], s[6:7]
	v_mov_b32_e32 v2, s10
	s_xor_b64 exec, exec, s[6:7]
	s_cbranch_execz .LBB54_186
.LBB54_2236:
	v_mov_b32_e32 v2, 0
	v_cmp_ne_u16_sdwa s[8:9], v7, v2 src0_sel:BYTE_3 src1_sel:DWORD
	s_andn2_b64 s[4:5], s[4:5], exec
	s_and_b64 s[8:9], s[8:9], exec
	s_or_b64 s[4:5], s[4:5], s[8:9]
	s_or_b64 exec, exec, s[6:7]
	s_and_saveexec_b64 s[6:7], s[4:5]
	s_cbranch_execnz .LBB54_187
	s_branch .LBB54_188
.LBB54_2237:
	s_movk_i32 s4, 0x80
	v_cmp_eq_u16_sdwa s[12:13], v3, s4 src0_sel:BYTE_3 src1_sel:DWORD
	s_mov_b64 s[4:5], -1
                                        ; implicit-def: $sgpr10
	s_and_saveexec_b64 s[8:9], s[12:13]
; %bb.2238:
	s_mov_b32 s10, 0x7f800001
	s_xor_b64 s[4:5], exec, -1
; %bb.2239:
	s_or_b64 exec, exec, s[8:9]
	s_and_b64 s[4:5], s[4:5], exec
	s_or_saveexec_b64 s[6:7], s[6:7]
	v_mov_b32_e32 v6, s10
	s_xor_b64 exec, exec, s[6:7]
	s_cbranch_execz .LBB54_190
.LBB54_2240:
	v_mov_b32_e32 v6, 0
	v_cmp_ne_u16_sdwa s[8:9], v3, v6 src0_sel:BYTE_3 src1_sel:DWORD
	s_andn2_b64 s[4:5], s[4:5], exec
	s_and_b64 s[8:9], s[8:9], exec
	s_or_b64 s[4:5], s[4:5], s[8:9]
	s_or_b64 exec, exec, s[6:7]
	s_and_saveexec_b64 s[6:7], s[4:5]
	s_cbranch_execnz .LBB54_191
	s_branch .LBB54_192
.LBB54_2241:
	s_movk_i32 s4, 0x80
	v_cmp_eq_u16_sdwa s[12:13], v8, s4 src0_sel:BYTE_0 src1_sel:DWORD
	s_mov_b64 s[4:5], -1
                                        ; implicit-def: $sgpr10
	s_and_saveexec_b64 s[8:9], s[12:13]
; %bb.2242:
	s_mov_b32 s10, 0x7f800001
	s_xor_b64 s[4:5], exec, -1
; %bb.2243:
	s_or_b64 exec, exec, s[8:9]
	s_and_b64 s[4:5], s[4:5], exec
	s_or_saveexec_b64 s[6:7], s[6:7]
	v_mov_b32_e32 v2, s10
	s_xor_b64 exec, exec, s[6:7]
	s_cbranch_execz .LBB54_194
.LBB54_2244:
	v_mov_b32_e32 v2, 0
	v_cmp_ne_u16_sdwa s[8:9], v8, v2 src0_sel:BYTE_0 src1_sel:DWORD
	s_andn2_b64 s[4:5], s[4:5], exec
	s_and_b64 s[8:9], s[8:9], exec
	s_or_b64 s[4:5], s[4:5], s[8:9]
	s_or_b64 exec, exec, s[6:7]
	s_and_saveexec_b64 s[6:7], s[4:5]
	s_cbranch_execnz .LBB54_195
	s_branch .LBB54_196
.LBB54_2245:
	s_movk_i32 s4, 0x80
	v_cmp_eq_u16_sdwa s[12:13], v4, s4 src0_sel:BYTE_0 src1_sel:DWORD
	s_mov_b64 s[4:5], -1
                                        ; implicit-def: $sgpr10
	s_and_saveexec_b64 s[8:9], s[12:13]
; %bb.2246:
	s_mov_b32 s10, 0x7f800001
	s_xor_b64 s[4:5], exec, -1
; %bb.2247:
	s_or_b64 exec, exec, s[8:9]
	s_and_b64 s[4:5], s[4:5], exec
	s_or_saveexec_b64 s[6:7], s[6:7]
	v_mov_b32_e32 v3, s10
	s_xor_b64 exec, exec, s[6:7]
	s_cbranch_execz .LBB54_198
.LBB54_2248:
	v_mov_b32_e32 v3, 0
	v_cmp_ne_u16_sdwa s[8:9], v4, v3 src0_sel:BYTE_0 src1_sel:DWORD
	s_andn2_b64 s[4:5], s[4:5], exec
	s_and_b64 s[8:9], s[8:9], exec
	s_or_b64 s[4:5], s[4:5], s[8:9]
	s_or_b64 exec, exec, s[6:7]
	s_and_saveexec_b64 s[6:7], s[4:5]
	s_cbranch_execnz .LBB54_199
	s_branch .LBB54_200
.LBB54_2249:
	s_movk_i32 s4, 0x80
	v_cmp_eq_u16_sdwa s[12:13], v3, s4 src0_sel:BYTE_0 src1_sel:DWORD
	s_mov_b64 s[4:5], -1
                                        ; implicit-def: $sgpr10
	s_and_saveexec_b64 s[8:9], s[12:13]
; %bb.2250:
	s_mov_b32 s10, 0x7f800001
	s_xor_b64 s[4:5], exec, -1
; %bb.2251:
	s_or_b64 exec, exec, s[8:9]
	s_and_b64 s[4:5], s[4:5], exec
	s_or_saveexec_b64 s[6:7], s[6:7]
	v_mov_b32_e32 v2, s10
	s_xor_b64 exec, exec, s[6:7]
	s_cbranch_execz .LBB54_202
.LBB54_2252:
	v_mov_b32_e32 v2, 0
	v_cmp_ne_u16_sdwa s[8:9], v3, v2 src0_sel:BYTE_0 src1_sel:DWORD
	s_andn2_b64 s[4:5], s[4:5], exec
	s_and_b64 s[8:9], s[8:9], exec
	s_or_b64 s[4:5], s[4:5], s[8:9]
	s_or_b64 exec, exec, s[6:7]
	s_and_saveexec_b64 s[6:7], s[4:5]
	s_cbranch_execnz .LBB54_203
	s_branch .LBB54_204
.LBB54_2253:
	s_movk_i32 s4, 0x80
	v_cmp_eq_u16_sdwa s[12:13], v3, s4 src0_sel:BYTE_0 src1_sel:DWORD
	s_mov_b64 s[4:5], -1
                                        ; implicit-def: $sgpr10
	s_and_saveexec_b64 s[8:9], s[12:13]
; %bb.2254:
	s_mov_b32 s10, 0x7f800001
	s_xor_b64 s[4:5], exec, -1
; %bb.2255:
	s_or_b64 exec, exec, s[8:9]
	s_and_b64 s[4:5], s[4:5], exec
	s_or_saveexec_b64 s[6:7], s[6:7]
	v_mov_b32_e32 v6, s10
	s_xor_b64 exec, exec, s[6:7]
	s_cbranch_execz .LBB54_206
.LBB54_2256:
	v_mov_b32_e32 v6, 0
	v_cmp_ne_u16_sdwa s[8:9], v3, v6 src0_sel:BYTE_0 src1_sel:DWORD
	s_andn2_b64 s[4:5], s[4:5], exec
	s_and_b64 s[8:9], s[8:9], exec
	s_or_b64 s[4:5], s[4:5], s[8:9]
	s_or_b64 exec, exec, s[6:7]
	s_and_saveexec_b64 s[6:7], s[4:5]
	s_cbranch_execnz .LBB54_207
	s_branch .LBB54_208
.LBB54_2257:
	s_movk_i32 s4, 0x80
	v_cmp_eq_u16_e32 vcc, s4, v3
	s_mov_b64 s[4:5], -1
                                        ; implicit-def: $sgpr10
	s_and_saveexec_b64 s[8:9], vcc
; %bb.2258:
	s_mov_b32 s10, 0x7f800001
	s_xor_b64 s[4:5], exec, -1
; %bb.2259:
	s_or_b64 exec, exec, s[8:9]
	s_and_b64 s[4:5], s[4:5], exec
                                        ; implicit-def: $vgpr3
	s_or_saveexec_b64 s[6:7], s[6:7]
	v_mov_b32_e32 v2, s10
	s_xor_b64 exec, exec, s[6:7]
	s_cbranch_execz .LBB54_210
.LBB54_2260:
	v_cmp_ne_u16_e32 vcc, 0, v3
	s_andn2_b64 s[4:5], s[4:5], exec
	s_and_b64 s[8:9], vcc, exec
	v_mov_b32_e32 v2, 0
	s_or_b64 s[4:5], s[4:5], s[8:9]
	s_or_b64 exec, exec, s[6:7]
	s_and_saveexec_b64 s[6:7], s[4:5]
	s_cbranch_execnz .LBB54_211
	s_branch .LBB54_212
.LBB54_2261:
	s_movk_i32 s4, 0x80
	v_cmp_eq_u16_e32 vcc, s4, v3
	s_mov_b64 s[4:5], -1
                                        ; implicit-def: $sgpr10
	s_and_saveexec_b64 s[8:9], vcc
; %bb.2262:
	s_mov_b32 s10, 0x7f800001
	s_xor_b64 s[4:5], exec, -1
; %bb.2263:
	s_or_b64 exec, exec, s[8:9]
	s_and_b64 s[4:5], s[4:5], exec
                                        ; implicit-def: $vgpr3
	s_or_saveexec_b64 s[6:7], s[6:7]
	v_mov_b32_e32 v6, s10
	s_xor_b64 exec, exec, s[6:7]
	s_cbranch_execz .LBB54_214
.LBB54_2264:
	v_cmp_ne_u16_e32 vcc, 0, v3
	s_andn2_b64 s[4:5], s[4:5], exec
	s_and_b64 s[8:9], vcc, exec
	v_mov_b32_e32 v6, 0
	s_or_b64 s[4:5], s[4:5], s[8:9]
	s_or_b64 exec, exec, s[6:7]
	s_and_saveexec_b64 s[6:7], s[4:5]
	s_cbranch_execnz .LBB54_215
	s_branch .LBB54_216
.LBB54_2265:
	s_movk_i32 s4, 0x80
	v_cmp_eq_u16_sdwa s[12:13], v8, s4 src0_sel:BYTE_3 src1_sel:DWORD
	s_mov_b64 s[4:5], -1
                                        ; implicit-def: $sgpr10
	s_and_saveexec_b64 s[8:9], s[12:13]
; %bb.2266:
	s_mov_b32 s10, 0x7f800001
	s_xor_b64 s[4:5], exec, -1
; %bb.2267:
	s_or_b64 exec, exec, s[8:9]
	s_and_b64 s[4:5], s[4:5], exec
	s_or_saveexec_b64 s[6:7], s[6:7]
	v_mov_b32_e32 v2, s10
	s_xor_b64 exec, exec, s[6:7]
	s_cbranch_execz .LBB54_218
.LBB54_2268:
	v_mov_b32_e32 v2, 0
	v_cmp_ne_u16_sdwa s[8:9], v8, v2 src0_sel:BYTE_3 src1_sel:DWORD
	s_andn2_b64 s[4:5], s[4:5], exec
	s_and_b64 s[8:9], s[8:9], exec
	s_or_b64 s[4:5], s[4:5], s[8:9]
	s_or_b64 exec, exec, s[6:7]
	s_and_saveexec_b64 s[6:7], s[4:5]
	s_cbranch_execnz .LBB54_219
	s_branch .LBB54_220
.LBB54_2269:
	s_movk_i32 s4, 0x80
	v_cmp_eq_u16_sdwa s[12:13], v4, s4 src0_sel:BYTE_3 src1_sel:DWORD
	s_mov_b64 s[4:5], -1
                                        ; implicit-def: $sgpr10
	s_and_saveexec_b64 s[8:9], s[12:13]
; %bb.2270:
	s_mov_b32 s10, 0x7f800001
	s_xor_b64 s[4:5], exec, -1
; %bb.2271:
	s_or_b64 exec, exec, s[8:9]
	s_and_b64 s[4:5], s[4:5], exec
	s_or_saveexec_b64 s[6:7], s[6:7]
	v_mov_b32_e32 v3, s10
	s_xor_b64 exec, exec, s[6:7]
	s_cbranch_execz .LBB54_222
.LBB54_2272:
	v_mov_b32_e32 v3, 0
	v_cmp_ne_u16_sdwa s[8:9], v4, v3 src0_sel:BYTE_3 src1_sel:DWORD
	s_andn2_b64 s[4:5], s[4:5], exec
	s_and_b64 s[8:9], s[8:9], exec
	s_or_b64 s[4:5], s[4:5], s[8:9]
	s_or_b64 exec, exec, s[6:7]
	s_and_saveexec_b64 s[6:7], s[4:5]
	s_cbranch_execnz .LBB54_223
	s_branch .LBB54_224
.LBB54_2273:
	s_movk_i32 s4, 0x80
	v_cmp_eq_u16_sdwa s[12:13], v9, s4 src0_sel:BYTE_0 src1_sel:DWORD
	s_mov_b64 s[4:5], -1
                                        ; implicit-def: $sgpr10
	s_and_saveexec_b64 s[8:9], s[12:13]
; %bb.2274:
	s_mov_b32 s10, 0x7f800001
	s_xor_b64 s[4:5], exec, -1
; %bb.2275:
	s_or_b64 exec, exec, s[8:9]
	s_and_b64 s[4:5], s[4:5], exec
	s_or_saveexec_b64 s[6:7], s[6:7]
	v_mov_b32_e32 v2, s10
	s_xor_b64 exec, exec, s[6:7]
	s_cbranch_execz .LBB54_226
.LBB54_2276:
	v_mov_b32_e32 v2, 0
	v_cmp_ne_u16_sdwa s[8:9], v9, v2 src0_sel:BYTE_0 src1_sel:DWORD
	s_andn2_b64 s[4:5], s[4:5], exec
	s_and_b64 s[8:9], s[8:9], exec
	s_or_b64 s[4:5], s[4:5], s[8:9]
	s_or_b64 exec, exec, s[6:7]
	s_and_saveexec_b64 s[6:7], s[4:5]
	s_cbranch_execnz .LBB54_227
	s_branch .LBB54_228
.LBB54_2277:
	s_movk_i32 s4, 0x80
	v_cmp_eq_u16_sdwa s[12:13], v5, s4 src0_sel:BYTE_0 src1_sel:DWORD
	s_mov_b64 s[4:5], -1
                                        ; implicit-def: $sgpr10
	s_and_saveexec_b64 s[8:9], s[12:13]
; %bb.2278:
	s_mov_b32 s10, 0x7f800001
	s_xor_b64 s[4:5], exec, -1
; %bb.2279:
	s_or_b64 exec, exec, s[8:9]
	s_and_b64 s[4:5], s[4:5], exec
	s_or_saveexec_b64 s[6:7], s[6:7]
	v_mov_b32_e32 v3, s10
	s_xor_b64 exec, exec, s[6:7]
	s_cbranch_execz .LBB54_230
.LBB54_2280:
	v_mov_b32_e32 v3, 0
	v_cmp_ne_u16_sdwa s[8:9], v5, v3 src0_sel:BYTE_0 src1_sel:DWORD
	s_andn2_b64 s[4:5], s[4:5], exec
	s_and_b64 s[8:9], s[8:9], exec
	s_or_b64 s[4:5], s[4:5], s[8:9]
	s_or_b64 exec, exec, s[6:7]
	s_and_saveexec_b64 s[6:7], s[4:5]
	s_cbranch_execnz .LBB54_231
	s_branch .LBB54_232
.LBB54_2281:
	s_movk_i32 s4, 0x80
	v_cmp_eq_u16_sdwa s[12:13], v3, s4 src0_sel:BYTE_0 src1_sel:DWORD
	s_mov_b64 s[4:5], -1
                                        ; implicit-def: $sgpr10
	s_and_saveexec_b64 s[8:9], s[12:13]
; %bb.2282:
	s_mov_b32 s10, 0x7f800001
	s_xor_b64 s[4:5], exec, -1
; %bb.2283:
	s_or_b64 exec, exec, s[8:9]
	s_and_b64 s[4:5], s[4:5], exec
	s_or_saveexec_b64 s[6:7], s[6:7]
	v_mov_b32_e32 v2, s10
	s_xor_b64 exec, exec, s[6:7]
	s_cbranch_execz .LBB54_234
.LBB54_2284:
	v_mov_b32_e32 v2, 0
	v_cmp_ne_u16_sdwa s[8:9], v3, v2 src0_sel:BYTE_0 src1_sel:DWORD
	s_andn2_b64 s[4:5], s[4:5], exec
	s_and_b64 s[8:9], s[8:9], exec
	s_or_b64 s[4:5], s[4:5], s[8:9]
	s_or_b64 exec, exec, s[6:7]
	s_and_saveexec_b64 s[6:7], s[4:5]
	s_cbranch_execnz .LBB54_235
	s_branch .LBB54_236
.LBB54_2285:
	s_movk_i32 s4, 0x80
	v_cmp_eq_u16_sdwa s[12:13], v3, s4 src0_sel:BYTE_0 src1_sel:DWORD
	s_mov_b64 s[4:5], -1
                                        ; implicit-def: $sgpr10
	s_and_saveexec_b64 s[8:9], s[12:13]
; %bb.2286:
	s_mov_b32 s10, 0x7f800001
	s_xor_b64 s[4:5], exec, -1
; %bb.2287:
	s_or_b64 exec, exec, s[8:9]
	s_and_b64 s[4:5], s[4:5], exec
	s_or_saveexec_b64 s[6:7], s[6:7]
	v_mov_b32_e32 v4, s10
	s_xor_b64 exec, exec, s[6:7]
	s_cbranch_execz .LBB54_238
.LBB54_2288:
	v_mov_b32_e32 v4, 0
	v_cmp_ne_u16_sdwa s[8:9], v3, v4 src0_sel:BYTE_0 src1_sel:DWORD
	s_andn2_b64 s[4:5], s[4:5], exec
	s_and_b64 s[8:9], s[8:9], exec
	s_or_b64 s[4:5], s[4:5], s[8:9]
	s_or_b64 exec, exec, s[6:7]
	s_and_saveexec_b64 s[6:7], s[4:5]
	s_cbranch_execnz .LBB54_239
	s_branch .LBB54_240
.LBB54_2289:
	s_movk_i32 s4, 0x80
	v_cmp_eq_u16_e32 vcc, s4, v3
	s_mov_b64 s[4:5], -1
                                        ; implicit-def: $sgpr10
	s_and_saveexec_b64 s[8:9], vcc
; %bb.2290:
	s_mov_b32 s10, 0x7f800001
	s_xor_b64 s[4:5], exec, -1
; %bb.2291:
	s_or_b64 exec, exec, s[8:9]
	s_and_b64 s[4:5], s[4:5], exec
                                        ; implicit-def: $vgpr3
	s_or_saveexec_b64 s[6:7], s[6:7]
	v_mov_b32_e32 v2, s10
	s_xor_b64 exec, exec, s[6:7]
	s_cbranch_execz .LBB54_242
.LBB54_2292:
	v_cmp_ne_u16_e32 vcc, 0, v3
	s_andn2_b64 s[4:5], s[4:5], exec
	s_and_b64 s[8:9], vcc, exec
	v_mov_b32_e32 v2, 0
	s_or_b64 s[4:5], s[4:5], s[8:9]
	s_or_b64 exec, exec, s[6:7]
	s_and_saveexec_b64 s[6:7], s[4:5]
	s_cbranch_execnz .LBB54_243
	s_branch .LBB54_244
.LBB54_2293:
	s_movk_i32 s4, 0x80
	v_cmp_eq_u16_e32 vcc, s4, v3
	s_mov_b64 s[4:5], -1
                                        ; implicit-def: $sgpr10
	s_and_saveexec_b64 s[8:9], vcc
; %bb.2294:
	s_mov_b32 s10, 0x7f800001
	s_xor_b64 s[4:5], exec, -1
; %bb.2295:
	s_or_b64 exec, exec, s[8:9]
	s_and_b64 s[4:5], s[4:5], exec
                                        ; implicit-def: $vgpr3
	s_or_saveexec_b64 s[6:7], s[6:7]
	v_mov_b32_e32 v4, s10
	s_xor_b64 exec, exec, s[6:7]
	s_cbranch_execz .LBB54_246
.LBB54_2296:
	v_cmp_ne_u16_e32 vcc, 0, v3
	s_andn2_b64 s[4:5], s[4:5], exec
	s_and_b64 s[8:9], vcc, exec
	v_mov_b32_e32 v4, 0
	s_or_b64 s[4:5], s[4:5], s[8:9]
	s_or_b64 exec, exec, s[6:7]
	s_and_saveexec_b64 s[6:7], s[4:5]
	s_cbranch_execnz .LBB54_247
	s_branch .LBB54_248
.LBB54_2297:
	s_movk_i32 s4, 0x80
	v_cmp_eq_u16_sdwa s[12:13], v9, s4 src0_sel:BYTE_3 src1_sel:DWORD
	s_mov_b64 s[4:5], -1
                                        ; implicit-def: $sgpr10
	s_and_saveexec_b64 s[8:9], s[12:13]
; %bb.2298:
	s_mov_b32 s10, 0x7f800001
	s_xor_b64 s[4:5], exec, -1
; %bb.2299:
	s_or_b64 exec, exec, s[8:9]
	s_and_b64 s[4:5], s[4:5], exec
	s_or_saveexec_b64 s[6:7], s[6:7]
	v_mov_b32_e32 v2, s10
	s_xor_b64 exec, exec, s[6:7]
	s_cbranch_execz .LBB54_250
.LBB54_2300:
	v_mov_b32_e32 v2, 0
	v_cmp_ne_u16_sdwa s[8:9], v9, v2 src0_sel:BYTE_3 src1_sel:DWORD
	s_andn2_b64 s[4:5], s[4:5], exec
	s_and_b64 s[8:9], s[8:9], exec
	s_or_b64 s[4:5], s[4:5], s[8:9]
	s_or_b64 exec, exec, s[6:7]
	s_and_saveexec_b64 s[6:7], s[4:5]
	s_cbranch_execnz .LBB54_251
	s_branch .LBB54_252
.LBB54_2301:
	s_movk_i32 s4, 0x80
	v_cmp_eq_u16_sdwa s[12:13], v5, s4 src0_sel:BYTE_3 src1_sel:DWORD
	s_mov_b64 s[4:5], -1
                                        ; implicit-def: $sgpr10
	s_and_saveexec_b64 s[8:9], s[12:13]
; %bb.2302:
	s_mov_b32 s10, 0x7f800001
	s_xor_b64 s[4:5], exec, -1
; %bb.2303:
	s_or_b64 exec, exec, s[8:9]
	s_and_b64 s[4:5], s[4:5], exec
	s_or_saveexec_b64 s[6:7], s[6:7]
	v_mov_b32_e32 v3, s10
	s_xor_b64 exec, exec, s[6:7]
	s_cbranch_execz .LBB54_254
.LBB54_2304:
	v_mov_b32_e32 v3, 0
	v_cmp_ne_u16_sdwa s[8:9], v5, v3 src0_sel:BYTE_3 src1_sel:DWORD
	s_andn2_b64 s[4:5], s[4:5], exec
	s_and_b64 s[8:9], s[8:9], exec
	s_or_b64 s[4:5], s[4:5], s[8:9]
	s_or_b64 exec, exec, s[6:7]
	s_and_saveexec_b64 s[6:7], s[4:5]
	s_cbranch_execnz .LBB54_255
	s_branch .LBB54_256
.LBB54_2305:
	s_movk_i32 s4, 0x80
	v_cmp_eq_u16_sdwa s[12:13], v14, s4 src0_sel:BYTE_0 src1_sel:DWORD
	s_mov_b64 s[4:5], -1
                                        ; implicit-def: $sgpr10
	s_and_saveexec_b64 s[8:9], s[12:13]
; %bb.2306:
	s_mov_b32 s10, 0x7f800001
	s_xor_b64 s[4:5], exec, -1
; %bb.2307:
	s_or_b64 exec, exec, s[8:9]
	s_and_b64 s[4:5], s[4:5], exec
	s_or_saveexec_b64 s[6:7], s[6:7]
	v_mov_b32_e32 v20, s10
	s_xor_b64 exec, exec, s[6:7]
	s_cbranch_execz .LBB54_258
.LBB54_2308:
	v_mov_b32_e32 v20, 0
	v_cmp_ne_u16_sdwa s[8:9], v14, v20 src0_sel:BYTE_0 src1_sel:DWORD
	s_andn2_b64 s[4:5], s[4:5], exec
	s_and_b64 s[8:9], s[8:9], exec
	s_or_b64 s[4:5], s[4:5], s[8:9]
	s_or_b64 exec, exec, s[6:7]
	s_and_saveexec_b64 s[6:7], s[4:5]
	s_cbranch_execnz .LBB54_259
	s_branch .LBB54_260
.LBB54_2309:
	s_movk_i32 s4, 0x80
	v_cmp_eq_u16_sdwa s[12:13], v10, s4 src0_sel:BYTE_0 src1_sel:DWORD
	s_mov_b64 s[4:5], -1
                                        ; implicit-def: $sgpr10
	s_and_saveexec_b64 s[8:9], s[12:13]
; %bb.2310:
	s_mov_b32 s10, 0x7f800001
	s_xor_b64 s[4:5], exec, -1
; %bb.2311:
	s_or_b64 exec, exec, s[8:9]
	s_and_b64 s[4:5], s[4:5], exec
	s_or_saveexec_b64 s[6:7], s[6:7]
	v_mov_b32_e32 v21, s10
	s_xor_b64 exec, exec, s[6:7]
	s_cbranch_execz .LBB54_262
.LBB54_2312:
	v_mov_b32_e32 v21, 0
	v_cmp_ne_u16_sdwa s[8:9], v10, v21 src0_sel:BYTE_0 src1_sel:DWORD
	s_andn2_b64 s[4:5], s[4:5], exec
	s_and_b64 s[8:9], s[8:9], exec
	s_or_b64 s[4:5], s[4:5], s[8:9]
	s_or_b64 exec, exec, s[6:7]
	s_and_saveexec_b64 s[6:7], s[4:5]
	s_cbranch_execnz .LBB54_263
	s_branch .LBB54_264
.LBB54_2313:
	s_movk_i32 s4, 0x80
	v_cmp_eq_u16_sdwa s[12:13], v21, s4 src0_sel:BYTE_0 src1_sel:DWORD
	s_mov_b64 s[4:5], -1
                                        ; implicit-def: $sgpr10
	s_and_saveexec_b64 s[8:9], s[12:13]
; %bb.2314:
	s_mov_b32 s10, 0x7f800001
	s_xor_b64 s[4:5], exec, -1
; %bb.2315:
	s_or_b64 exec, exec, s[8:9]
	s_and_b64 s[4:5], s[4:5], exec
	s_or_saveexec_b64 s[6:7], s[6:7]
	v_mov_b32_e32 v20, s10
	s_xor_b64 exec, exec, s[6:7]
	s_cbranch_execz .LBB54_266
.LBB54_2316:
	v_mov_b32_e32 v20, 0
	v_cmp_ne_u16_sdwa s[8:9], v21, v20 src0_sel:BYTE_0 src1_sel:DWORD
	s_andn2_b64 s[4:5], s[4:5], exec
	s_and_b64 s[8:9], s[8:9], exec
	s_or_b64 s[4:5], s[4:5], s[8:9]
	s_or_b64 exec, exec, s[6:7]
	s_and_saveexec_b64 s[6:7], s[4:5]
	s_cbranch_execnz .LBB54_267
	s_branch .LBB54_268
.LBB54_2317:
	s_movk_i32 s4, 0x80
	v_cmp_eq_u16_sdwa s[12:13], v21, s4 src0_sel:BYTE_0 src1_sel:DWORD
	s_mov_b64 s[4:5], -1
                                        ; implicit-def: $sgpr10
	s_and_saveexec_b64 s[8:9], s[12:13]
; %bb.2318:
	s_mov_b32 s10, 0x7f800001
	s_xor_b64 s[4:5], exec, -1
; %bb.2319:
	s_or_b64 exec, exec, s[8:9]
	s_and_b64 s[4:5], s[4:5], exec
	s_or_saveexec_b64 s[6:7], s[6:7]
	v_mov_b32_e32 v22, s10
	s_xor_b64 exec, exec, s[6:7]
	s_cbranch_execz .LBB54_270
.LBB54_2320:
	v_mov_b32_e32 v22, 0
	v_cmp_ne_u16_sdwa s[8:9], v21, v22 src0_sel:BYTE_0 src1_sel:DWORD
	s_andn2_b64 s[4:5], s[4:5], exec
	s_and_b64 s[8:9], s[8:9], exec
	s_or_b64 s[4:5], s[4:5], s[8:9]
	s_or_b64 exec, exec, s[6:7]
	s_and_saveexec_b64 s[6:7], s[4:5]
	s_cbranch_execnz .LBB54_271
	s_branch .LBB54_272
.LBB54_2321:
	s_movk_i32 s4, 0x80
	v_cmp_eq_u16_e32 vcc, s4, v21
	s_mov_b64 s[4:5], -1
                                        ; implicit-def: $sgpr10
	s_and_saveexec_b64 s[8:9], vcc
; %bb.2322:
	s_mov_b32 s10, 0x7f800001
	s_xor_b64 s[4:5], exec, -1
; %bb.2323:
	s_or_b64 exec, exec, s[8:9]
	s_and_b64 s[4:5], s[4:5], exec
                                        ; implicit-def: $vgpr21
	s_or_saveexec_b64 s[6:7], s[6:7]
	v_mov_b32_e32 v20, s10
	s_xor_b64 exec, exec, s[6:7]
	s_cbranch_execz .LBB54_274
.LBB54_2324:
	v_cmp_ne_u16_e32 vcc, 0, v21
	s_andn2_b64 s[4:5], s[4:5], exec
	s_and_b64 s[8:9], vcc, exec
	v_mov_b32_e32 v20, 0
	s_or_b64 s[4:5], s[4:5], s[8:9]
	s_or_b64 exec, exec, s[6:7]
	s_and_saveexec_b64 s[6:7], s[4:5]
	s_cbranch_execnz .LBB54_275
	s_branch .LBB54_276
.LBB54_2325:
	s_movk_i32 s4, 0x80
	v_cmp_eq_u16_e32 vcc, s4, v21
	s_mov_b64 s[4:5], -1
                                        ; implicit-def: $sgpr10
	s_and_saveexec_b64 s[8:9], vcc
; %bb.2326:
	s_mov_b32 s10, 0x7f800001
	s_xor_b64 s[4:5], exec, -1
; %bb.2327:
	s_or_b64 exec, exec, s[8:9]
	s_and_b64 s[4:5], s[4:5], exec
                                        ; implicit-def: $vgpr21
	s_or_saveexec_b64 s[6:7], s[6:7]
	v_mov_b32_e32 v22, s10
	s_xor_b64 exec, exec, s[6:7]
	s_cbranch_execz .LBB54_278
.LBB54_2328:
	v_cmp_ne_u16_e32 vcc, 0, v21
	s_andn2_b64 s[4:5], s[4:5], exec
	s_and_b64 s[8:9], vcc, exec
	v_mov_b32_e32 v22, 0
	s_or_b64 s[4:5], s[4:5], s[8:9]
	s_or_b64 exec, exec, s[6:7]
	s_and_saveexec_b64 s[6:7], s[4:5]
	s_cbranch_execnz .LBB54_279
	s_branch .LBB54_280
.LBB54_2329:
	s_movk_i32 s4, 0x80
	v_cmp_eq_u16_sdwa s[12:13], v14, s4 src0_sel:BYTE_3 src1_sel:DWORD
	s_mov_b64 s[4:5], -1
                                        ; implicit-def: $sgpr10
	s_and_saveexec_b64 s[8:9], s[12:13]
; %bb.2330:
	s_mov_b32 s10, 0x7f800001
	s_xor_b64 s[4:5], exec, -1
; %bb.2331:
	s_or_b64 exec, exec, s[8:9]
	s_and_b64 s[4:5], s[4:5], exec
	s_or_saveexec_b64 s[6:7], s[6:7]
	v_mov_b32_e32 v20, s10
	s_xor_b64 exec, exec, s[6:7]
	s_cbranch_execz .LBB54_282
.LBB54_2332:
	v_mov_b32_e32 v20, 0
	v_cmp_ne_u16_sdwa s[8:9], v14, v20 src0_sel:BYTE_3 src1_sel:DWORD
	s_andn2_b64 s[4:5], s[4:5], exec
	s_and_b64 s[8:9], s[8:9], exec
	s_or_b64 s[4:5], s[4:5], s[8:9]
	s_or_b64 exec, exec, s[6:7]
	s_and_saveexec_b64 s[6:7], s[4:5]
	s_cbranch_execnz .LBB54_283
	s_branch .LBB54_284
.LBB54_2333:
	s_movk_i32 s4, 0x80
	v_cmp_eq_u16_sdwa s[12:13], v10, s4 src0_sel:BYTE_3 src1_sel:DWORD
	s_mov_b64 s[4:5], -1
                                        ; implicit-def: $sgpr10
	s_and_saveexec_b64 s[8:9], s[12:13]
; %bb.2334:
	s_mov_b32 s10, 0x7f800001
	s_xor_b64 s[4:5], exec, -1
; %bb.2335:
	s_or_b64 exec, exec, s[8:9]
	s_and_b64 s[4:5], s[4:5], exec
	s_or_saveexec_b64 s[6:7], s[6:7]
	v_mov_b32_e32 v14, s10
	s_xor_b64 exec, exec, s[6:7]
	s_cbranch_execz .LBB54_286
.LBB54_2336:
	v_mov_b32_e32 v14, 0
	v_cmp_ne_u16_sdwa s[8:9], v10, v14 src0_sel:BYTE_3 src1_sel:DWORD
	s_andn2_b64 s[4:5], s[4:5], exec
	s_and_b64 s[8:9], s[8:9], exec
	s_or_b64 s[4:5], s[4:5], s[8:9]
	s_or_b64 exec, exec, s[6:7]
	s_and_saveexec_b64 s[6:7], s[4:5]
	s_cbranch_execnz .LBB54_287
	s_branch .LBB54_288
.LBB54_2337:
	s_movk_i32 s4, 0x80
	v_cmp_eq_u16_sdwa s[12:13], v15, s4 src0_sel:BYTE_0 src1_sel:DWORD
	s_mov_b64 s[4:5], -1
                                        ; implicit-def: $sgpr10
	s_and_saveexec_b64 s[8:9], s[12:13]
; %bb.2338:
	s_mov_b32 s10, 0x7f800001
	s_xor_b64 s[4:5], exec, -1
; %bb.2339:
	s_or_b64 exec, exec, s[8:9]
	s_and_b64 s[4:5], s[4:5], exec
	s_or_saveexec_b64 s[6:7], s[6:7]
	v_mov_b32_e32 v10, s10
	s_xor_b64 exec, exec, s[6:7]
	s_cbranch_execz .LBB54_290
.LBB54_2340:
	v_mov_b32_e32 v10, 0
	v_cmp_ne_u16_sdwa s[8:9], v15, v10 src0_sel:BYTE_0 src1_sel:DWORD
	s_andn2_b64 s[4:5], s[4:5], exec
	s_and_b64 s[8:9], s[8:9], exec
	s_or_b64 s[4:5], s[4:5], s[8:9]
	s_or_b64 exec, exec, s[6:7]
	s_and_saveexec_b64 s[6:7], s[4:5]
	s_cbranch_execnz .LBB54_291
	s_branch .LBB54_292
.LBB54_2341:
	s_movk_i32 s4, 0x80
	v_cmp_eq_u16_sdwa s[12:13], v11, s4 src0_sel:BYTE_0 src1_sel:DWORD
	s_mov_b64 s[4:5], -1
                                        ; implicit-def: $sgpr10
	s_and_saveexec_b64 s[8:9], s[12:13]
; %bb.2342:
	s_mov_b32 s10, 0x7f800001
	s_xor_b64 s[4:5], exec, -1
; %bb.2343:
	s_or_b64 exec, exec, s[8:9]
	s_and_b64 s[4:5], s[4:5], exec
	s_or_saveexec_b64 s[6:7], s[6:7]
	v_mov_b32_e32 v14, s10
	s_xor_b64 exec, exec, s[6:7]
	s_cbranch_execz .LBB54_294
.LBB54_2344:
	v_mov_b32_e32 v14, 0
	v_cmp_ne_u16_sdwa s[8:9], v11, v14 src0_sel:BYTE_0 src1_sel:DWORD
	s_andn2_b64 s[4:5], s[4:5], exec
	s_and_b64 s[8:9], s[8:9], exec
	s_or_b64 s[4:5], s[4:5], s[8:9]
	s_or_b64 exec, exec, s[6:7]
	s_and_saveexec_b64 s[6:7], s[4:5]
	s_cbranch_execnz .LBB54_295
	s_branch .LBB54_296
.LBB54_2345:
	s_movk_i32 s4, 0x80
	v_cmp_eq_u16_sdwa s[12:13], v14, s4 src0_sel:BYTE_0 src1_sel:DWORD
	s_mov_b64 s[4:5], -1
                                        ; implicit-def: $sgpr10
	s_and_saveexec_b64 s[8:9], s[12:13]
; %bb.2346:
	s_mov_b32 s10, 0x7f800001
	s_xor_b64 s[4:5], exec, -1
; %bb.2347:
	s_or_b64 exec, exec, s[8:9]
	s_and_b64 s[4:5], s[4:5], exec
	s_or_saveexec_b64 s[6:7], s[6:7]
	v_mov_b32_e32 v10, s10
	s_xor_b64 exec, exec, s[6:7]
	s_cbranch_execz .LBB54_298
.LBB54_2348:
	v_mov_b32_e32 v10, 0
	v_cmp_ne_u16_sdwa s[8:9], v14, v10 src0_sel:BYTE_0 src1_sel:DWORD
	s_andn2_b64 s[4:5], s[4:5], exec
	s_and_b64 s[8:9], s[8:9], exec
	s_or_b64 s[4:5], s[4:5], s[8:9]
	s_or_b64 exec, exec, s[6:7]
	s_and_saveexec_b64 s[6:7], s[4:5]
	s_cbranch_execnz .LBB54_299
	s_branch .LBB54_300
.LBB54_2349:
	s_movk_i32 s4, 0x80
	v_cmp_eq_u16_sdwa s[12:13], v14, s4 src0_sel:BYTE_0 src1_sel:DWORD
	s_mov_b64 s[4:5], -1
                                        ; implicit-def: $sgpr10
	s_and_saveexec_b64 s[8:9], s[12:13]
; %bb.2350:
	s_mov_b32 s10, 0x7f800001
	s_xor_b64 s[4:5], exec, -1
; %bb.2351:
	s_or_b64 exec, exec, s[8:9]
	s_and_b64 s[4:5], s[4:5], exec
	s_or_saveexec_b64 s[6:7], s[6:7]
	v_mov_b32_e32 v20, s10
	s_xor_b64 exec, exec, s[6:7]
	s_cbranch_execz .LBB54_302
.LBB54_2352:
	v_mov_b32_e32 v20, 0
	v_cmp_ne_u16_sdwa s[8:9], v14, v20 src0_sel:BYTE_0 src1_sel:DWORD
	s_andn2_b64 s[4:5], s[4:5], exec
	s_and_b64 s[8:9], s[8:9], exec
	s_or_b64 s[4:5], s[4:5], s[8:9]
	s_or_b64 exec, exec, s[6:7]
	s_and_saveexec_b64 s[6:7], s[4:5]
	s_cbranch_execnz .LBB54_303
	s_branch .LBB54_304
.LBB54_2353:
	s_movk_i32 s4, 0x80
	v_cmp_eq_u16_e32 vcc, s4, v14
	s_mov_b64 s[4:5], -1
                                        ; implicit-def: $sgpr10
	s_and_saveexec_b64 s[8:9], vcc
; %bb.2354:
	s_mov_b32 s10, 0x7f800001
	s_xor_b64 s[4:5], exec, -1
; %bb.2355:
	s_or_b64 exec, exec, s[8:9]
	s_and_b64 s[4:5], s[4:5], exec
                                        ; implicit-def: $vgpr14
	s_or_saveexec_b64 s[6:7], s[6:7]
	v_mov_b32_e32 v10, s10
	s_xor_b64 exec, exec, s[6:7]
	s_cbranch_execz .LBB54_306
.LBB54_2356:
	v_cmp_ne_u16_e32 vcc, 0, v14
	s_andn2_b64 s[4:5], s[4:5], exec
	s_and_b64 s[8:9], vcc, exec
	v_mov_b32_e32 v10, 0
	s_or_b64 s[4:5], s[4:5], s[8:9]
	s_or_b64 exec, exec, s[6:7]
	s_and_saveexec_b64 s[6:7], s[4:5]
	s_cbranch_execnz .LBB54_307
	s_branch .LBB54_308
.LBB54_2357:
	s_movk_i32 s4, 0x80
	v_cmp_eq_u16_e32 vcc, s4, v14
	s_mov_b64 s[4:5], -1
                                        ; implicit-def: $sgpr10
	s_and_saveexec_b64 s[8:9], vcc
; %bb.2358:
	s_mov_b32 s10, 0x7f800001
	s_xor_b64 s[4:5], exec, -1
; %bb.2359:
	s_or_b64 exec, exec, s[8:9]
	s_and_b64 s[4:5], s[4:5], exec
                                        ; implicit-def: $vgpr14
	s_or_saveexec_b64 s[6:7], s[6:7]
	v_mov_b32_e32 v20, s10
	s_xor_b64 exec, exec, s[6:7]
	s_cbranch_execz .LBB54_310
.LBB54_2360:
	v_cmp_ne_u16_e32 vcc, 0, v14
	s_andn2_b64 s[4:5], s[4:5], exec
	s_and_b64 s[8:9], vcc, exec
	v_mov_b32_e32 v20, 0
	s_or_b64 s[4:5], s[4:5], s[8:9]
	s_or_b64 exec, exec, s[6:7]
	s_and_saveexec_b64 s[6:7], s[4:5]
	s_cbranch_execnz .LBB54_311
	s_branch .LBB54_312
.LBB54_2361:
	s_movk_i32 s4, 0x80
	v_cmp_eq_u16_sdwa s[12:13], v15, s4 src0_sel:BYTE_3 src1_sel:DWORD
	s_mov_b64 s[4:5], -1
                                        ; implicit-def: $sgpr10
	s_and_saveexec_b64 s[8:9], s[12:13]
; %bb.2362:
	s_mov_b32 s10, 0x7f800001
	s_xor_b64 s[4:5], exec, -1
; %bb.2363:
	s_or_b64 exec, exec, s[8:9]
	s_and_b64 s[4:5], s[4:5], exec
	s_or_saveexec_b64 s[6:7], s[6:7]
	v_mov_b32_e32 v10, s10
	s_xor_b64 exec, exec, s[6:7]
	s_cbranch_execz .LBB54_314
.LBB54_2364:
	v_mov_b32_e32 v10, 0
	v_cmp_ne_u16_sdwa s[8:9], v15, v10 src0_sel:BYTE_3 src1_sel:DWORD
	s_andn2_b64 s[4:5], s[4:5], exec
	s_and_b64 s[8:9], s[8:9], exec
	s_or_b64 s[4:5], s[4:5], s[8:9]
	s_or_b64 exec, exec, s[6:7]
	s_and_saveexec_b64 s[6:7], s[4:5]
	s_cbranch_execnz .LBB54_315
	s_branch .LBB54_316
.LBB54_2365:
	s_movk_i32 s4, 0x80
	v_cmp_eq_u16_sdwa s[12:13], v11, s4 src0_sel:BYTE_3 src1_sel:DWORD
	s_mov_b64 s[4:5], -1
                                        ; implicit-def: $sgpr10
	s_and_saveexec_b64 s[8:9], s[12:13]
; %bb.2366:
	s_mov_b32 s10, 0x7f800001
	s_xor_b64 s[4:5], exec, -1
; %bb.2367:
	s_or_b64 exec, exec, s[8:9]
	s_and_b64 s[4:5], s[4:5], exec
	s_or_saveexec_b64 s[6:7], s[6:7]
	v_mov_b32_e32 v14, s10
	s_xor_b64 exec, exec, s[6:7]
	s_cbranch_execz .LBB54_318
.LBB54_2368:
	v_mov_b32_e32 v14, 0
	v_cmp_ne_u16_sdwa s[8:9], v11, v14 src0_sel:BYTE_3 src1_sel:DWORD
	s_andn2_b64 s[4:5], s[4:5], exec
	s_and_b64 s[8:9], s[8:9], exec
	s_or_b64 s[4:5], s[4:5], s[8:9]
	s_or_b64 exec, exec, s[6:7]
	s_and_saveexec_b64 s[6:7], s[4:5]
	s_cbranch_execnz .LBB54_319
	s_branch .LBB54_320
.LBB54_2369:
	s_movk_i32 s4, 0x80
	v_cmp_eq_u16_sdwa s[12:13], v16, s4 src0_sel:BYTE_0 src1_sel:DWORD
	s_mov_b64 s[4:5], -1
                                        ; implicit-def: $sgpr10
	s_and_saveexec_b64 s[8:9], s[12:13]
; %bb.2370:
	s_mov_b32 s10, 0x7f800001
	s_xor_b64 s[4:5], exec, -1
; %bb.2371:
	s_or_b64 exec, exec, s[8:9]
	s_and_b64 s[4:5], s[4:5], exec
	s_or_saveexec_b64 s[6:7], s[6:7]
	v_mov_b32_e32 v10, s10
	s_xor_b64 exec, exec, s[6:7]
	s_cbranch_execz .LBB54_322
.LBB54_2372:
	v_mov_b32_e32 v10, 0
	v_cmp_ne_u16_sdwa s[8:9], v16, v10 src0_sel:BYTE_0 src1_sel:DWORD
	s_andn2_b64 s[4:5], s[4:5], exec
	s_and_b64 s[8:9], s[8:9], exec
	s_or_b64 s[4:5], s[4:5], s[8:9]
	s_or_b64 exec, exec, s[6:7]
	s_and_saveexec_b64 s[6:7], s[4:5]
	s_cbranch_execnz .LBB54_323
	s_branch .LBB54_324
.LBB54_2373:
	s_movk_i32 s4, 0x80
	v_cmp_eq_u16_sdwa s[12:13], v12, s4 src0_sel:BYTE_0 src1_sel:DWORD
	s_mov_b64 s[4:5], -1
                                        ; implicit-def: $sgpr10
	s_and_saveexec_b64 s[8:9], s[12:13]
; %bb.2374:
	s_mov_b32 s10, 0x7f800001
	s_xor_b64 s[4:5], exec, -1
; %bb.2375:
	s_or_b64 exec, exec, s[8:9]
	s_and_b64 s[4:5], s[4:5], exec
	s_or_saveexec_b64 s[6:7], s[6:7]
	v_mov_b32_e32 v11, s10
	s_xor_b64 exec, exec, s[6:7]
	s_cbranch_execz .LBB54_326
.LBB54_2376:
	v_mov_b32_e32 v11, 0
	v_cmp_ne_u16_sdwa s[8:9], v12, v11 src0_sel:BYTE_0 src1_sel:DWORD
	s_andn2_b64 s[4:5], s[4:5], exec
	s_and_b64 s[8:9], s[8:9], exec
	s_or_b64 s[4:5], s[4:5], s[8:9]
	s_or_b64 exec, exec, s[6:7]
	s_and_saveexec_b64 s[6:7], s[4:5]
	s_cbranch_execnz .LBB54_327
	s_branch .LBB54_328
.LBB54_2377:
	s_movk_i32 s4, 0x80
	v_cmp_eq_u16_sdwa s[12:13], v11, s4 src0_sel:BYTE_0 src1_sel:DWORD
	s_mov_b64 s[4:5], -1
                                        ; implicit-def: $sgpr10
	s_and_saveexec_b64 s[8:9], s[12:13]
; %bb.2378:
	s_mov_b32 s10, 0x7f800001
	s_xor_b64 s[4:5], exec, -1
; %bb.2379:
	s_or_b64 exec, exec, s[8:9]
	s_and_b64 s[4:5], s[4:5], exec
	s_or_saveexec_b64 s[6:7], s[6:7]
	v_mov_b32_e32 v10, s10
	s_xor_b64 exec, exec, s[6:7]
	s_cbranch_execz .LBB54_330
.LBB54_2380:
	v_mov_b32_e32 v10, 0
	v_cmp_ne_u16_sdwa s[8:9], v11, v10 src0_sel:BYTE_0 src1_sel:DWORD
	s_andn2_b64 s[4:5], s[4:5], exec
	s_and_b64 s[8:9], s[8:9], exec
	s_or_b64 s[4:5], s[4:5], s[8:9]
	s_or_b64 exec, exec, s[6:7]
	s_and_saveexec_b64 s[6:7], s[4:5]
	s_cbranch_execnz .LBB54_331
	s_branch .LBB54_332
.LBB54_2381:
	s_movk_i32 s4, 0x80
	v_cmp_eq_u16_sdwa s[12:13], v11, s4 src0_sel:BYTE_0 src1_sel:DWORD
	s_mov_b64 s[4:5], -1
                                        ; implicit-def: $sgpr10
	s_and_saveexec_b64 s[8:9], s[12:13]
; %bb.2382:
	s_mov_b32 s10, 0x7f800001
	s_xor_b64 s[4:5], exec, -1
; %bb.2383:
	s_or_b64 exec, exec, s[8:9]
	s_and_b64 s[4:5], s[4:5], exec
	s_or_saveexec_b64 s[6:7], s[6:7]
	v_mov_b32_e32 v14, s10
	s_xor_b64 exec, exec, s[6:7]
	s_cbranch_execz .LBB54_334
.LBB54_2384:
	v_mov_b32_e32 v14, 0
	v_cmp_ne_u16_sdwa s[8:9], v11, v14 src0_sel:BYTE_0 src1_sel:DWORD
	s_andn2_b64 s[4:5], s[4:5], exec
	s_and_b64 s[8:9], s[8:9], exec
	s_or_b64 s[4:5], s[4:5], s[8:9]
	s_or_b64 exec, exec, s[6:7]
	s_and_saveexec_b64 s[6:7], s[4:5]
	s_cbranch_execnz .LBB54_335
	s_branch .LBB54_336
.LBB54_2385:
	s_movk_i32 s4, 0x80
	v_cmp_eq_u16_e32 vcc, s4, v11
	s_mov_b64 s[4:5], -1
                                        ; implicit-def: $sgpr10
	s_and_saveexec_b64 s[8:9], vcc
; %bb.2386:
	s_mov_b32 s10, 0x7f800001
	s_xor_b64 s[4:5], exec, -1
; %bb.2387:
	s_or_b64 exec, exec, s[8:9]
	s_and_b64 s[4:5], s[4:5], exec
                                        ; implicit-def: $vgpr11
	s_or_saveexec_b64 s[6:7], s[6:7]
	v_mov_b32_e32 v10, s10
	s_xor_b64 exec, exec, s[6:7]
	s_cbranch_execz .LBB54_338
.LBB54_2388:
	v_cmp_ne_u16_e32 vcc, 0, v11
	s_andn2_b64 s[4:5], s[4:5], exec
	s_and_b64 s[8:9], vcc, exec
	v_mov_b32_e32 v10, 0
	s_or_b64 s[4:5], s[4:5], s[8:9]
	s_or_b64 exec, exec, s[6:7]
	s_and_saveexec_b64 s[6:7], s[4:5]
	s_cbranch_execnz .LBB54_339
	s_branch .LBB54_340
.LBB54_2389:
	s_movk_i32 s4, 0x80
	v_cmp_eq_u16_e32 vcc, s4, v11
	s_mov_b64 s[4:5], -1
                                        ; implicit-def: $sgpr10
	s_and_saveexec_b64 s[8:9], vcc
; %bb.2390:
	s_mov_b32 s10, 0x7f800001
	s_xor_b64 s[4:5], exec, -1
; %bb.2391:
	s_or_b64 exec, exec, s[8:9]
	s_and_b64 s[4:5], s[4:5], exec
                                        ; implicit-def: $vgpr11
	s_or_saveexec_b64 s[6:7], s[6:7]
	v_mov_b32_e32 v14, s10
	s_xor_b64 exec, exec, s[6:7]
	s_cbranch_execz .LBB54_342
.LBB54_2392:
	v_cmp_ne_u16_e32 vcc, 0, v11
	s_andn2_b64 s[4:5], s[4:5], exec
	s_and_b64 s[8:9], vcc, exec
	v_mov_b32_e32 v14, 0
	s_or_b64 s[4:5], s[4:5], s[8:9]
	s_or_b64 exec, exec, s[6:7]
	s_and_saveexec_b64 s[6:7], s[4:5]
	s_cbranch_execnz .LBB54_343
	s_branch .LBB54_344
.LBB54_2393:
	s_movk_i32 s4, 0x80
	v_cmp_eq_u16_sdwa s[12:13], v16, s4 src0_sel:BYTE_3 src1_sel:DWORD
	s_mov_b64 s[4:5], -1
                                        ; implicit-def: $sgpr10
	s_and_saveexec_b64 s[8:9], s[12:13]
; %bb.2394:
	s_mov_b32 s10, 0x7f800001
	s_xor_b64 s[4:5], exec, -1
; %bb.2395:
	s_or_b64 exec, exec, s[8:9]
	s_and_b64 s[4:5], s[4:5], exec
	s_or_saveexec_b64 s[6:7], s[6:7]
	v_mov_b32_e32 v10, s10
	s_xor_b64 exec, exec, s[6:7]
	s_cbranch_execz .LBB54_346
.LBB54_2396:
	v_mov_b32_e32 v10, 0
	v_cmp_ne_u16_sdwa s[8:9], v16, v10 src0_sel:BYTE_3 src1_sel:DWORD
	s_andn2_b64 s[4:5], s[4:5], exec
	s_and_b64 s[8:9], s[8:9], exec
	s_or_b64 s[4:5], s[4:5], s[8:9]
	s_or_b64 exec, exec, s[6:7]
	s_and_saveexec_b64 s[6:7], s[4:5]
	s_cbranch_execnz .LBB54_347
	s_branch .LBB54_348
.LBB54_2397:
	s_movk_i32 s4, 0x80
	v_cmp_eq_u16_sdwa s[12:13], v12, s4 src0_sel:BYTE_3 src1_sel:DWORD
	s_mov_b64 s[4:5], -1
                                        ; implicit-def: $sgpr10
	s_and_saveexec_b64 s[8:9], s[12:13]
; %bb.2398:
	s_mov_b32 s10, 0x7f800001
	s_xor_b64 s[4:5], exec, -1
; %bb.2399:
	s_or_b64 exec, exec, s[8:9]
	s_and_b64 s[4:5], s[4:5], exec
	s_or_saveexec_b64 s[6:7], s[6:7]
	v_mov_b32_e32 v11, s10
	s_xor_b64 exec, exec, s[6:7]
	s_cbranch_execz .LBB54_350
.LBB54_2400:
	v_mov_b32_e32 v11, 0
	v_cmp_ne_u16_sdwa s[8:9], v12, v11 src0_sel:BYTE_3 src1_sel:DWORD
	s_andn2_b64 s[4:5], s[4:5], exec
	s_and_b64 s[8:9], s[8:9], exec
	s_or_b64 s[4:5], s[4:5], s[8:9]
	s_or_b64 exec, exec, s[6:7]
	s_and_saveexec_b64 s[6:7], s[4:5]
	s_cbranch_execnz .LBB54_351
	s_branch .LBB54_352
.LBB54_2401:
	s_movk_i32 s4, 0x80
	v_cmp_eq_u16_sdwa s[12:13], v17, s4 src0_sel:BYTE_0 src1_sel:DWORD
	s_mov_b64 s[4:5], -1
                                        ; implicit-def: $sgpr10
	s_and_saveexec_b64 s[8:9], s[12:13]
; %bb.2402:
	s_mov_b32 s10, 0x7f800001
	s_xor_b64 s[4:5], exec, -1
; %bb.2403:
	s_or_b64 exec, exec, s[8:9]
	s_and_b64 s[4:5], s[4:5], exec
	s_or_saveexec_b64 s[6:7], s[6:7]
	v_mov_b32_e32 v10, s10
	s_xor_b64 exec, exec, s[6:7]
	s_cbranch_execz .LBB54_354
.LBB54_2404:
	v_mov_b32_e32 v10, 0
	v_cmp_ne_u16_sdwa s[8:9], v17, v10 src0_sel:BYTE_0 src1_sel:DWORD
	s_andn2_b64 s[4:5], s[4:5], exec
	s_and_b64 s[8:9], s[8:9], exec
	s_or_b64 s[4:5], s[4:5], s[8:9]
	s_or_b64 exec, exec, s[6:7]
	s_and_saveexec_b64 s[6:7], s[4:5]
	s_cbranch_execnz .LBB54_355
	s_branch .LBB54_356
.LBB54_2405:
	s_movk_i32 s4, 0x80
	v_cmp_eq_u16_sdwa s[12:13], v13, s4 src0_sel:BYTE_0 src1_sel:DWORD
	s_mov_b64 s[4:5], -1
                                        ; implicit-def: $sgpr10
	s_and_saveexec_b64 s[8:9], s[12:13]
; %bb.2406:
	s_mov_b32 s10, 0x7f800001
	s_xor_b64 s[4:5], exec, -1
; %bb.2407:
	s_or_b64 exec, exec, s[8:9]
	s_and_b64 s[4:5], s[4:5], exec
	s_or_saveexec_b64 s[6:7], s[6:7]
	v_mov_b32_e32 v11, s10
	s_xor_b64 exec, exec, s[6:7]
	s_cbranch_execz .LBB54_358
.LBB54_2408:
	v_mov_b32_e32 v11, 0
	v_cmp_ne_u16_sdwa s[8:9], v13, v11 src0_sel:BYTE_0 src1_sel:DWORD
	s_andn2_b64 s[4:5], s[4:5], exec
	s_and_b64 s[8:9], s[8:9], exec
	s_or_b64 s[4:5], s[4:5], s[8:9]
	s_or_b64 exec, exec, s[6:7]
	s_and_saveexec_b64 s[6:7], s[4:5]
	s_cbranch_execnz .LBB54_359
	s_branch .LBB54_360
.LBB54_2409:
	s_movk_i32 s4, 0x80
	v_cmp_eq_u16_sdwa s[12:13], v11, s4 src0_sel:BYTE_0 src1_sel:DWORD
	s_mov_b64 s[4:5], -1
                                        ; implicit-def: $sgpr10
	s_and_saveexec_b64 s[8:9], s[12:13]
; %bb.2410:
	s_mov_b32 s10, 0x7f800001
	s_xor_b64 s[4:5], exec, -1
; %bb.2411:
	s_or_b64 exec, exec, s[8:9]
	s_and_b64 s[4:5], s[4:5], exec
	s_or_saveexec_b64 s[6:7], s[6:7]
	v_mov_b32_e32 v10, s10
	s_xor_b64 exec, exec, s[6:7]
	s_cbranch_execz .LBB54_362
.LBB54_2412:
	v_mov_b32_e32 v10, 0
	v_cmp_ne_u16_sdwa s[8:9], v11, v10 src0_sel:BYTE_0 src1_sel:DWORD
	s_andn2_b64 s[4:5], s[4:5], exec
	s_and_b64 s[8:9], s[8:9], exec
	s_or_b64 s[4:5], s[4:5], s[8:9]
	s_or_b64 exec, exec, s[6:7]
	s_and_saveexec_b64 s[6:7], s[4:5]
	s_cbranch_execnz .LBB54_363
	s_branch .LBB54_364
.LBB54_2413:
	s_movk_i32 s4, 0x80
	v_cmp_eq_u16_sdwa s[12:13], v11, s4 src0_sel:BYTE_0 src1_sel:DWORD
	s_mov_b64 s[4:5], -1
                                        ; implicit-def: $sgpr10
	s_and_saveexec_b64 s[8:9], s[12:13]
; %bb.2414:
	s_mov_b32 s10, 0x7f800001
	s_xor_b64 s[4:5], exec, -1
; %bb.2415:
	s_or_b64 exec, exec, s[8:9]
	s_and_b64 s[4:5], s[4:5], exec
	s_or_saveexec_b64 s[6:7], s[6:7]
	v_mov_b32_e32 v12, s10
	s_xor_b64 exec, exec, s[6:7]
	s_cbranch_execz .LBB54_366
.LBB54_2416:
	v_mov_b32_e32 v12, 0
	v_cmp_ne_u16_sdwa s[8:9], v11, v12 src0_sel:BYTE_0 src1_sel:DWORD
	s_andn2_b64 s[4:5], s[4:5], exec
	s_and_b64 s[8:9], s[8:9], exec
	s_or_b64 s[4:5], s[4:5], s[8:9]
	s_or_b64 exec, exec, s[6:7]
	s_and_saveexec_b64 s[6:7], s[4:5]
	s_cbranch_execnz .LBB54_367
	s_branch .LBB54_368
.LBB54_2417:
	s_movk_i32 s4, 0x80
	v_cmp_eq_u16_e32 vcc, s4, v11
	s_mov_b64 s[4:5], -1
                                        ; implicit-def: $sgpr10
	s_and_saveexec_b64 s[8:9], vcc
; %bb.2418:
	s_mov_b32 s10, 0x7f800001
	s_xor_b64 s[4:5], exec, -1
; %bb.2419:
	s_or_b64 exec, exec, s[8:9]
	s_and_b64 s[4:5], s[4:5], exec
                                        ; implicit-def: $vgpr11
	s_or_saveexec_b64 s[6:7], s[6:7]
	v_mov_b32_e32 v10, s10
	s_xor_b64 exec, exec, s[6:7]
	s_cbranch_execz .LBB54_370
.LBB54_2420:
	v_cmp_ne_u16_e32 vcc, 0, v11
	s_andn2_b64 s[4:5], s[4:5], exec
	s_and_b64 s[8:9], vcc, exec
	v_mov_b32_e32 v10, 0
	s_or_b64 s[4:5], s[4:5], s[8:9]
	s_or_b64 exec, exec, s[6:7]
	s_and_saveexec_b64 s[6:7], s[4:5]
	s_cbranch_execnz .LBB54_371
	s_branch .LBB54_372
.LBB54_2421:
	s_movk_i32 s4, 0x80
	v_cmp_eq_u16_e32 vcc, s4, v11
	s_mov_b64 s[4:5], -1
                                        ; implicit-def: $sgpr10
	s_and_saveexec_b64 s[8:9], vcc
; %bb.2422:
	s_mov_b32 s10, 0x7f800001
	s_xor_b64 s[4:5], exec, -1
; %bb.2423:
	s_or_b64 exec, exec, s[8:9]
	s_and_b64 s[4:5], s[4:5], exec
                                        ; implicit-def: $vgpr11
	s_or_saveexec_b64 s[6:7], s[6:7]
	v_mov_b32_e32 v12, s10
	s_xor_b64 exec, exec, s[6:7]
	s_cbranch_execz .LBB54_374
.LBB54_2424:
	v_cmp_ne_u16_e32 vcc, 0, v11
	s_andn2_b64 s[4:5], s[4:5], exec
	s_and_b64 s[8:9], vcc, exec
	v_mov_b32_e32 v12, 0
	s_or_b64 s[4:5], s[4:5], s[8:9]
	s_or_b64 exec, exec, s[6:7]
	s_and_saveexec_b64 s[6:7], s[4:5]
	s_cbranch_execnz .LBB54_375
	s_branch .LBB54_376
.LBB54_2425:
	s_movk_i32 s4, 0x80
	v_cmp_eq_u16_sdwa s[12:13], v17, s4 src0_sel:BYTE_3 src1_sel:DWORD
	s_mov_b64 s[4:5], -1
                                        ; implicit-def: $sgpr10
	s_and_saveexec_b64 s[8:9], s[12:13]
; %bb.2426:
	s_mov_b32 s10, 0x7f800001
	s_xor_b64 s[4:5], exec, -1
; %bb.2427:
	s_or_b64 exec, exec, s[8:9]
	s_and_b64 s[4:5], s[4:5], exec
	s_or_saveexec_b64 s[6:7], s[6:7]
	v_mov_b32_e32 v10, s10
	s_xor_b64 exec, exec, s[6:7]
	s_cbranch_execz .LBB54_378
.LBB54_2428:
	v_mov_b32_e32 v10, 0
	v_cmp_ne_u16_sdwa s[8:9], v17, v10 src0_sel:BYTE_3 src1_sel:DWORD
	s_andn2_b64 s[4:5], s[4:5], exec
	s_and_b64 s[8:9], s[8:9], exec
	s_or_b64 s[4:5], s[4:5], s[8:9]
	s_or_b64 exec, exec, s[6:7]
	s_and_saveexec_b64 s[6:7], s[4:5]
	s_cbranch_execnz .LBB54_379
	s_branch .LBB54_380
.LBB54_2429:
	s_movk_i32 s4, 0x80
	v_cmp_eq_u16_sdwa s[12:13], v13, s4 src0_sel:BYTE_3 src1_sel:DWORD
	s_mov_b64 s[4:5], -1
                                        ; implicit-def: $sgpr10
	s_and_saveexec_b64 s[8:9], s[12:13]
; %bb.2430:
	s_mov_b32 s10, 0x7f800001
	s_xor_b64 s[4:5], exec, -1
; %bb.2431:
	s_or_b64 exec, exec, s[8:9]
	s_and_b64 s[4:5], s[4:5], exec
	s_or_saveexec_b64 s[6:7], s[6:7]
	v_mov_b32_e32 v11, s10
	s_xor_b64 exec, exec, s[6:7]
	s_cbranch_execz .LBB54_382
.LBB54_2432:
	v_mov_b32_e32 v11, 0
	v_cmp_ne_u16_sdwa s[8:9], v13, v11 src0_sel:BYTE_3 src1_sel:DWORD
	s_andn2_b64 s[4:5], s[4:5], exec
	s_and_b64 s[8:9], s[8:9], exec
	s_or_b64 s[4:5], s[4:5], s[8:9]
	s_or_b64 exec, exec, s[6:7]
	s_and_saveexec_b64 s[6:7], s[4:5]
	s_cbranch_execnz .LBB54_383
	s_branch .LBB54_384
.LBB54_2433:
	s_movk_i32 s4, 0x80
	v_cmp_eq_u16_sdwa s[12:13], v6, s4 src0_sel:BYTE_0 src1_sel:DWORD
	s_mov_b64 s[4:5], -1
                                        ; implicit-def: $sgpr10
	s_and_saveexec_b64 s[8:9], s[12:13]
; %bb.2434:
	s_mov_b32 s10, 0x7f800001
	s_xor_b64 s[4:5], exec, -1
; %bb.2435:
	s_or_b64 exec, exec, s[8:9]
	s_and_b64 s[4:5], s[4:5], exec
	s_or_saveexec_b64 s[6:7], s[6:7]
	v_mov_b32_e32 v10, s10
	s_xor_b64 exec, exec, s[6:7]
	s_cbranch_execz .LBB54_386
.LBB54_2436:
	v_mov_b32_e32 v10, 0
	v_cmp_ne_u16_sdwa s[8:9], v6, v10 src0_sel:BYTE_0 src1_sel:DWORD
	s_andn2_b64 s[4:5], s[4:5], exec
	s_and_b64 s[8:9], s[8:9], exec
	s_or_b64 s[4:5], s[4:5], s[8:9]
	s_or_b64 exec, exec, s[6:7]
	s_and_saveexec_b64 s[6:7], s[4:5]
	s_cbranch_execnz .LBB54_387
	s_branch .LBB54_388
.LBB54_2437:
	s_movk_i32 s4, 0x80
	v_cmp_eq_u16_sdwa s[12:13], v2, s4 src0_sel:BYTE_0 src1_sel:DWORD
	s_mov_b64 s[4:5], -1
                                        ; implicit-def: $sgpr10
	s_and_saveexec_b64 s[8:9], s[12:13]
; %bb.2438:
	s_mov_b32 s10, 0x7f800001
	s_xor_b64 s[4:5], exec, -1
; %bb.2439:
	s_or_b64 exec, exec, s[8:9]
	s_and_b64 s[4:5], s[4:5], exec
	s_or_saveexec_b64 s[6:7], s[6:7]
	v_mov_b32_e32 v11, s10
	s_xor_b64 exec, exec, s[6:7]
	s_cbranch_execz .LBB54_390
.LBB54_2440:
	v_mov_b32_e32 v11, 0
	v_cmp_ne_u16_sdwa s[8:9], v2, v11 src0_sel:BYTE_0 src1_sel:DWORD
	s_andn2_b64 s[4:5], s[4:5], exec
	s_and_b64 s[8:9], s[8:9], exec
	s_or_b64 s[4:5], s[4:5], s[8:9]
	s_or_b64 exec, exec, s[6:7]
	s_and_saveexec_b64 s[6:7], s[4:5]
	s_cbranch_execnz .LBB54_391
	s_branch .LBB54_392
.LBB54_2441:
	s_movk_i32 s4, 0x80
	v_cmp_eq_u16_sdwa s[12:13], v11, s4 src0_sel:BYTE_0 src1_sel:DWORD
	s_mov_b64 s[4:5], -1
                                        ; implicit-def: $sgpr10
	s_and_saveexec_b64 s[8:9], s[12:13]
; %bb.2442:
	s_mov_b32 s10, 0x7f800001
	s_xor_b64 s[4:5], exec, -1
; %bb.2443:
	s_or_b64 exec, exec, s[8:9]
	s_and_b64 s[4:5], s[4:5], exec
	s_or_saveexec_b64 s[6:7], s[6:7]
	v_mov_b32_e32 v10, s10
	s_xor_b64 exec, exec, s[6:7]
	s_cbranch_execz .LBB54_394
.LBB54_2444:
	v_mov_b32_e32 v10, 0
	v_cmp_ne_u16_sdwa s[8:9], v11, v10 src0_sel:BYTE_0 src1_sel:DWORD
	s_andn2_b64 s[4:5], s[4:5], exec
	s_and_b64 s[8:9], s[8:9], exec
	s_or_b64 s[4:5], s[4:5], s[8:9]
	s_or_b64 exec, exec, s[6:7]
	s_and_saveexec_b64 s[6:7], s[4:5]
	s_cbranch_execnz .LBB54_395
	s_branch .LBB54_396
.LBB54_2445:
	s_movk_i32 s4, 0x80
	v_cmp_eq_u16_sdwa s[12:13], v11, s4 src0_sel:BYTE_0 src1_sel:DWORD
	s_mov_b64 s[4:5], -1
                                        ; implicit-def: $sgpr10
	s_and_saveexec_b64 s[8:9], s[12:13]
; %bb.2446:
	s_mov_b32 s10, 0x7f800001
	s_xor_b64 s[4:5], exec, -1
; %bb.2447:
	s_or_b64 exec, exec, s[8:9]
	s_and_b64 s[4:5], s[4:5], exec
	s_or_saveexec_b64 s[6:7], s[6:7]
	v_mov_b32_e32 v12, s10
	s_xor_b64 exec, exec, s[6:7]
	s_cbranch_execz .LBB54_398
.LBB54_2448:
	v_mov_b32_e32 v12, 0
	v_cmp_ne_u16_sdwa s[8:9], v11, v12 src0_sel:BYTE_0 src1_sel:DWORD
	s_andn2_b64 s[4:5], s[4:5], exec
	s_and_b64 s[8:9], s[8:9], exec
	s_or_b64 s[4:5], s[4:5], s[8:9]
	s_or_b64 exec, exec, s[6:7]
	s_and_saveexec_b64 s[6:7], s[4:5]
	s_cbranch_execnz .LBB54_399
	s_branch .LBB54_400
.LBB54_2449:
	s_movk_i32 s4, 0x80
	v_cmp_eq_u16_e32 vcc, s4, v11
	s_mov_b64 s[4:5], -1
                                        ; implicit-def: $sgpr10
	s_and_saveexec_b64 s[8:9], vcc
; %bb.2450:
	s_mov_b32 s10, 0x7f800001
	s_xor_b64 s[4:5], exec, -1
; %bb.2451:
	s_or_b64 exec, exec, s[8:9]
	s_and_b64 s[4:5], s[4:5], exec
                                        ; implicit-def: $vgpr11
	s_or_saveexec_b64 s[6:7], s[6:7]
	v_mov_b32_e32 v10, s10
	s_xor_b64 exec, exec, s[6:7]
	s_cbranch_execz .LBB54_402
.LBB54_2452:
	v_cmp_ne_u16_e32 vcc, 0, v11
	s_andn2_b64 s[4:5], s[4:5], exec
	s_and_b64 s[8:9], vcc, exec
	v_mov_b32_e32 v10, 0
	s_or_b64 s[4:5], s[4:5], s[8:9]
	s_or_b64 exec, exec, s[6:7]
	s_and_saveexec_b64 s[6:7], s[4:5]
	s_cbranch_execnz .LBB54_403
	s_branch .LBB54_404
.LBB54_2453:
	s_movk_i32 s4, 0x80
	v_cmp_eq_u16_e32 vcc, s4, v11
	s_mov_b64 s[4:5], -1
                                        ; implicit-def: $sgpr10
	s_and_saveexec_b64 s[8:9], vcc
; %bb.2454:
	s_mov_b32 s10, 0x7f800001
	s_xor_b64 s[4:5], exec, -1
; %bb.2455:
	s_or_b64 exec, exec, s[8:9]
	s_and_b64 s[4:5], s[4:5], exec
                                        ; implicit-def: $vgpr11
	s_or_saveexec_b64 s[6:7], s[6:7]
	v_mov_b32_e32 v12, s10
	s_xor_b64 exec, exec, s[6:7]
	s_cbranch_execz .LBB54_406
.LBB54_2456:
	v_cmp_ne_u16_e32 vcc, 0, v11
	s_andn2_b64 s[4:5], s[4:5], exec
	s_and_b64 s[8:9], vcc, exec
	v_mov_b32_e32 v12, 0
	s_or_b64 s[4:5], s[4:5], s[8:9]
	s_or_b64 exec, exec, s[6:7]
	s_and_saveexec_b64 s[6:7], s[4:5]
	s_cbranch_execnz .LBB54_407
	s_branch .LBB54_408
.LBB54_2457:
	s_movk_i32 s4, 0x80
	v_cmp_eq_u16_sdwa s[12:13], v6, s4 src0_sel:BYTE_3 src1_sel:DWORD
	s_mov_b64 s[4:5], -1
                                        ; implicit-def: $sgpr10
	s_and_saveexec_b64 s[8:9], s[12:13]
; %bb.2458:
	s_mov_b32 s10, 0x7f800001
	s_xor_b64 s[4:5], exec, -1
; %bb.2459:
	s_or_b64 exec, exec, s[8:9]
	s_and_b64 s[4:5], s[4:5], exec
	s_or_saveexec_b64 s[6:7], s[6:7]
	v_mov_b32_e32 v10, s10
	s_xor_b64 exec, exec, s[6:7]
	s_cbranch_execz .LBB54_410
.LBB54_2460:
	v_mov_b32_e32 v10, 0
	v_cmp_ne_u16_sdwa s[8:9], v6, v10 src0_sel:BYTE_3 src1_sel:DWORD
	s_andn2_b64 s[4:5], s[4:5], exec
	s_and_b64 s[8:9], s[8:9], exec
	s_or_b64 s[4:5], s[4:5], s[8:9]
	s_or_b64 exec, exec, s[6:7]
	s_and_saveexec_b64 s[6:7], s[4:5]
	s_cbranch_execnz .LBB54_411
	s_branch .LBB54_412
.LBB54_2461:
	s_movk_i32 s4, 0x80
	v_cmp_eq_u16_sdwa s[12:13], v2, s4 src0_sel:BYTE_3 src1_sel:DWORD
	s_mov_b64 s[4:5], -1
                                        ; implicit-def: $sgpr10
	s_and_saveexec_b64 s[8:9], s[12:13]
; %bb.2462:
	s_mov_b32 s10, 0x7f800001
	s_xor_b64 s[4:5], exec, -1
; %bb.2463:
	s_or_b64 exec, exec, s[8:9]
	s_and_b64 s[4:5], s[4:5], exec
	s_or_saveexec_b64 s[6:7], s[6:7]
	v_mov_b32_e32 v6, s10
	s_xor_b64 exec, exec, s[6:7]
	s_cbranch_execz .LBB54_414
.LBB54_2464:
	v_mov_b32_e32 v6, 0
	v_cmp_ne_u16_sdwa s[8:9], v2, v6 src0_sel:BYTE_3 src1_sel:DWORD
	s_andn2_b64 s[4:5], s[4:5], exec
	s_and_b64 s[8:9], s[8:9], exec
	s_or_b64 s[4:5], s[4:5], s[8:9]
	s_or_b64 exec, exec, s[6:7]
	s_and_saveexec_b64 s[6:7], s[4:5]
	s_cbranch_execnz .LBB54_415
	s_branch .LBB54_416
.LBB54_2465:
	s_movk_i32 s4, 0x80
	v_cmp_eq_u16_sdwa s[12:13], v7, s4 src0_sel:BYTE_0 src1_sel:DWORD
	s_mov_b64 s[4:5], -1
                                        ; implicit-def: $sgpr10
	s_and_saveexec_b64 s[8:9], s[12:13]
; %bb.2466:
	s_mov_b32 s10, 0x7f800001
	s_xor_b64 s[4:5], exec, -1
; %bb.2467:
	s_or_b64 exec, exec, s[8:9]
	s_and_b64 s[4:5], s[4:5], exec
	s_or_saveexec_b64 s[6:7], s[6:7]
	v_mov_b32_e32 v2, s10
	s_xor_b64 exec, exec, s[6:7]
	s_cbranch_execz .LBB54_418
.LBB54_2468:
	v_mov_b32_e32 v2, 0
	v_cmp_ne_u16_sdwa s[8:9], v7, v2 src0_sel:BYTE_0 src1_sel:DWORD
	s_andn2_b64 s[4:5], s[4:5], exec
	s_and_b64 s[8:9], s[8:9], exec
	s_or_b64 s[4:5], s[4:5], s[8:9]
	s_or_b64 exec, exec, s[6:7]
	s_and_saveexec_b64 s[6:7], s[4:5]
	s_cbranch_execnz .LBB54_419
	s_branch .LBB54_420
.LBB54_2469:
	s_movk_i32 s4, 0x80
	v_cmp_eq_u16_sdwa s[12:13], v3, s4 src0_sel:BYTE_0 src1_sel:DWORD
	s_mov_b64 s[4:5], -1
                                        ; implicit-def: $sgpr10
	s_and_saveexec_b64 s[8:9], s[12:13]
; %bb.2470:
	s_mov_b32 s10, 0x7f800001
	s_xor_b64 s[4:5], exec, -1
; %bb.2471:
	s_or_b64 exec, exec, s[8:9]
	s_and_b64 s[4:5], s[4:5], exec
	s_or_saveexec_b64 s[6:7], s[6:7]
	v_mov_b32_e32 v6, s10
	s_xor_b64 exec, exec, s[6:7]
	s_cbranch_execz .LBB54_422
.LBB54_2472:
	v_mov_b32_e32 v6, 0
	v_cmp_ne_u16_sdwa s[8:9], v3, v6 src0_sel:BYTE_0 src1_sel:DWORD
	s_andn2_b64 s[4:5], s[4:5], exec
	s_and_b64 s[8:9], s[8:9], exec
	s_or_b64 s[4:5], s[4:5], s[8:9]
	s_or_b64 exec, exec, s[6:7]
	s_and_saveexec_b64 s[6:7], s[4:5]
	s_cbranch_execnz .LBB54_423
	s_branch .LBB54_424
.LBB54_2473:
	s_movk_i32 s4, 0x80
	v_cmp_eq_u16_sdwa s[12:13], v6, s4 src0_sel:BYTE_0 src1_sel:DWORD
	s_mov_b64 s[4:5], -1
                                        ; implicit-def: $sgpr10
	s_and_saveexec_b64 s[8:9], s[12:13]
; %bb.2474:
	s_mov_b32 s10, 0x7f800001
	s_xor_b64 s[4:5], exec, -1
; %bb.2475:
	s_or_b64 exec, exec, s[8:9]
	s_and_b64 s[4:5], s[4:5], exec
	s_or_saveexec_b64 s[6:7], s[6:7]
	v_mov_b32_e32 v2, s10
	s_xor_b64 exec, exec, s[6:7]
	s_cbranch_execz .LBB54_426
.LBB54_2476:
	v_mov_b32_e32 v2, 0
	v_cmp_ne_u16_sdwa s[8:9], v6, v2 src0_sel:BYTE_0 src1_sel:DWORD
	s_andn2_b64 s[4:5], s[4:5], exec
	s_and_b64 s[8:9], s[8:9], exec
	s_or_b64 s[4:5], s[4:5], s[8:9]
	s_or_b64 exec, exec, s[6:7]
	s_and_saveexec_b64 s[6:7], s[4:5]
	s_cbranch_execnz .LBB54_427
	s_branch .LBB54_428
.LBB54_2477:
	s_movk_i32 s4, 0x80
	v_cmp_eq_u16_sdwa s[12:13], v6, s4 src0_sel:BYTE_0 src1_sel:DWORD
	s_mov_b64 s[4:5], -1
                                        ; implicit-def: $sgpr10
	s_and_saveexec_b64 s[8:9], s[12:13]
; %bb.2478:
	s_mov_b32 s10, 0x7f800001
	s_xor_b64 s[4:5], exec, -1
; %bb.2479:
	s_or_b64 exec, exec, s[8:9]
	s_and_b64 s[4:5], s[4:5], exec
	s_or_saveexec_b64 s[6:7], s[6:7]
	v_mov_b32_e32 v10, s10
	s_xor_b64 exec, exec, s[6:7]
	s_cbranch_execz .LBB54_430
.LBB54_2480:
	v_mov_b32_e32 v10, 0
	v_cmp_ne_u16_sdwa s[8:9], v6, v10 src0_sel:BYTE_0 src1_sel:DWORD
	s_andn2_b64 s[4:5], s[4:5], exec
	s_and_b64 s[8:9], s[8:9], exec
	s_or_b64 s[4:5], s[4:5], s[8:9]
	s_or_b64 exec, exec, s[6:7]
	s_and_saveexec_b64 s[6:7], s[4:5]
	s_cbranch_execnz .LBB54_431
	s_branch .LBB54_432
.LBB54_2481:
	s_movk_i32 s4, 0x80
	v_cmp_eq_u16_e32 vcc, s4, v6
	s_mov_b64 s[4:5], -1
                                        ; implicit-def: $sgpr10
	s_and_saveexec_b64 s[8:9], vcc
; %bb.2482:
	s_mov_b32 s10, 0x7f800001
	s_xor_b64 s[4:5], exec, -1
; %bb.2483:
	s_or_b64 exec, exec, s[8:9]
	s_and_b64 s[4:5], s[4:5], exec
                                        ; implicit-def: $vgpr6
	s_or_saveexec_b64 s[6:7], s[6:7]
	v_mov_b32_e32 v2, s10
	s_xor_b64 exec, exec, s[6:7]
	s_cbranch_execz .LBB54_434
.LBB54_2484:
	v_cmp_ne_u16_e32 vcc, 0, v6
	s_andn2_b64 s[4:5], s[4:5], exec
	s_and_b64 s[8:9], vcc, exec
	v_mov_b32_e32 v2, 0
	s_or_b64 s[4:5], s[4:5], s[8:9]
	s_or_b64 exec, exec, s[6:7]
	s_and_saveexec_b64 s[6:7], s[4:5]
	s_cbranch_execnz .LBB54_435
	s_branch .LBB54_436
.LBB54_2485:
	s_movk_i32 s4, 0x80
	v_cmp_eq_u16_e32 vcc, s4, v6
	s_mov_b64 s[4:5], -1
                                        ; implicit-def: $sgpr10
	s_and_saveexec_b64 s[8:9], vcc
; %bb.2486:
	s_mov_b32 s10, 0x7f800001
	s_xor_b64 s[4:5], exec, -1
; %bb.2487:
	s_or_b64 exec, exec, s[8:9]
	s_and_b64 s[4:5], s[4:5], exec
                                        ; implicit-def: $vgpr6
	s_or_saveexec_b64 s[6:7], s[6:7]
	v_mov_b32_e32 v10, s10
	s_xor_b64 exec, exec, s[6:7]
	s_cbranch_execz .LBB54_438
.LBB54_2488:
	v_cmp_ne_u16_e32 vcc, 0, v6
	s_andn2_b64 s[4:5], s[4:5], exec
	s_and_b64 s[8:9], vcc, exec
	v_mov_b32_e32 v10, 0
	s_or_b64 s[4:5], s[4:5], s[8:9]
	s_or_b64 exec, exec, s[6:7]
	s_and_saveexec_b64 s[6:7], s[4:5]
	s_cbranch_execnz .LBB54_439
	s_branch .LBB54_440
.LBB54_2489:
	s_movk_i32 s4, 0x80
	v_cmp_eq_u16_sdwa s[12:13], v7, s4 src0_sel:BYTE_3 src1_sel:DWORD
	s_mov_b64 s[4:5], -1
                                        ; implicit-def: $sgpr10
	s_and_saveexec_b64 s[8:9], s[12:13]
; %bb.2490:
	s_mov_b32 s10, 0x7f800001
	s_xor_b64 s[4:5], exec, -1
; %bb.2491:
	s_or_b64 exec, exec, s[8:9]
	s_and_b64 s[4:5], s[4:5], exec
	s_or_saveexec_b64 s[6:7], s[6:7]
	v_mov_b32_e32 v2, s10
	s_xor_b64 exec, exec, s[6:7]
	s_cbranch_execz .LBB54_442
.LBB54_2492:
	v_mov_b32_e32 v2, 0
	v_cmp_ne_u16_sdwa s[8:9], v7, v2 src0_sel:BYTE_3 src1_sel:DWORD
	s_andn2_b64 s[4:5], s[4:5], exec
	s_and_b64 s[8:9], s[8:9], exec
	s_or_b64 s[4:5], s[4:5], s[8:9]
	s_or_b64 exec, exec, s[6:7]
	s_and_saveexec_b64 s[6:7], s[4:5]
	s_cbranch_execnz .LBB54_443
	s_branch .LBB54_444
.LBB54_2493:
	s_movk_i32 s4, 0x80
	v_cmp_eq_u16_sdwa s[12:13], v3, s4 src0_sel:BYTE_3 src1_sel:DWORD
	s_mov_b64 s[4:5], -1
                                        ; implicit-def: $sgpr10
	s_and_saveexec_b64 s[8:9], s[12:13]
; %bb.2494:
	s_mov_b32 s10, 0x7f800001
	s_xor_b64 s[4:5], exec, -1
; %bb.2495:
	s_or_b64 exec, exec, s[8:9]
	s_and_b64 s[4:5], s[4:5], exec
	s_or_saveexec_b64 s[6:7], s[6:7]
	v_mov_b32_e32 v6, s10
	s_xor_b64 exec, exec, s[6:7]
	s_cbranch_execz .LBB54_446
.LBB54_2496:
	v_mov_b32_e32 v6, 0
	v_cmp_ne_u16_sdwa s[8:9], v3, v6 src0_sel:BYTE_3 src1_sel:DWORD
	s_andn2_b64 s[4:5], s[4:5], exec
	s_and_b64 s[8:9], s[8:9], exec
	s_or_b64 s[4:5], s[4:5], s[8:9]
	s_or_b64 exec, exec, s[6:7]
	s_and_saveexec_b64 s[6:7], s[4:5]
	s_cbranch_execnz .LBB54_447
	s_branch .LBB54_448
.LBB54_2497:
	s_movk_i32 s4, 0x80
	v_cmp_eq_u16_sdwa s[12:13], v8, s4 src0_sel:BYTE_0 src1_sel:DWORD
	s_mov_b64 s[4:5], -1
                                        ; implicit-def: $sgpr10
	s_and_saveexec_b64 s[8:9], s[12:13]
; %bb.2498:
	s_mov_b32 s10, 0x7f800001
	s_xor_b64 s[4:5], exec, -1
; %bb.2499:
	s_or_b64 exec, exec, s[8:9]
	s_and_b64 s[4:5], s[4:5], exec
	s_or_saveexec_b64 s[6:7], s[6:7]
	v_mov_b32_e32 v2, s10
	s_xor_b64 exec, exec, s[6:7]
	s_cbranch_execz .LBB54_450
.LBB54_2500:
	v_mov_b32_e32 v2, 0
	v_cmp_ne_u16_sdwa s[8:9], v8, v2 src0_sel:BYTE_0 src1_sel:DWORD
	s_andn2_b64 s[4:5], s[4:5], exec
	s_and_b64 s[8:9], s[8:9], exec
	s_or_b64 s[4:5], s[4:5], s[8:9]
	s_or_b64 exec, exec, s[6:7]
	s_and_saveexec_b64 s[6:7], s[4:5]
	s_cbranch_execnz .LBB54_451
	s_branch .LBB54_452
.LBB54_2501:
	s_movk_i32 s4, 0x80
	v_cmp_eq_u16_sdwa s[12:13], v4, s4 src0_sel:BYTE_0 src1_sel:DWORD
	s_mov_b64 s[4:5], -1
                                        ; implicit-def: $sgpr10
	s_and_saveexec_b64 s[8:9], s[12:13]
; %bb.2502:
	s_mov_b32 s10, 0x7f800001
	s_xor_b64 s[4:5], exec, -1
; %bb.2503:
	s_or_b64 exec, exec, s[8:9]
	s_and_b64 s[4:5], s[4:5], exec
	s_or_saveexec_b64 s[6:7], s[6:7]
	v_mov_b32_e32 v3, s10
	s_xor_b64 exec, exec, s[6:7]
	s_cbranch_execz .LBB54_454
.LBB54_2504:
	v_mov_b32_e32 v3, 0
	v_cmp_ne_u16_sdwa s[8:9], v4, v3 src0_sel:BYTE_0 src1_sel:DWORD
	s_andn2_b64 s[4:5], s[4:5], exec
	s_and_b64 s[8:9], s[8:9], exec
	s_or_b64 s[4:5], s[4:5], s[8:9]
	s_or_b64 exec, exec, s[6:7]
	s_and_saveexec_b64 s[6:7], s[4:5]
	s_cbranch_execnz .LBB54_455
	s_branch .LBB54_456
.LBB54_2505:
	s_movk_i32 s4, 0x80
	v_cmp_eq_u16_sdwa s[12:13], v3, s4 src0_sel:BYTE_0 src1_sel:DWORD
	s_mov_b64 s[4:5], -1
                                        ; implicit-def: $sgpr10
	s_and_saveexec_b64 s[8:9], s[12:13]
; %bb.2506:
	s_mov_b32 s10, 0x7f800001
	s_xor_b64 s[4:5], exec, -1
; %bb.2507:
	s_or_b64 exec, exec, s[8:9]
	s_and_b64 s[4:5], s[4:5], exec
	s_or_saveexec_b64 s[6:7], s[6:7]
	v_mov_b32_e32 v2, s10
	s_xor_b64 exec, exec, s[6:7]
	s_cbranch_execz .LBB54_458
.LBB54_2508:
	v_mov_b32_e32 v2, 0
	v_cmp_ne_u16_sdwa s[8:9], v3, v2 src0_sel:BYTE_0 src1_sel:DWORD
	s_andn2_b64 s[4:5], s[4:5], exec
	s_and_b64 s[8:9], s[8:9], exec
	s_or_b64 s[4:5], s[4:5], s[8:9]
	s_or_b64 exec, exec, s[6:7]
	s_and_saveexec_b64 s[6:7], s[4:5]
	s_cbranch_execnz .LBB54_459
	s_branch .LBB54_460
.LBB54_2509:
	s_movk_i32 s4, 0x80
	v_cmp_eq_u16_sdwa s[12:13], v3, s4 src0_sel:BYTE_0 src1_sel:DWORD
	s_mov_b64 s[4:5], -1
                                        ; implicit-def: $sgpr10
	s_and_saveexec_b64 s[8:9], s[12:13]
; %bb.2510:
	s_mov_b32 s10, 0x7f800001
	s_xor_b64 s[4:5], exec, -1
; %bb.2511:
	s_or_b64 exec, exec, s[8:9]
	s_and_b64 s[4:5], s[4:5], exec
	s_or_saveexec_b64 s[6:7], s[6:7]
	v_mov_b32_e32 v6, s10
	s_xor_b64 exec, exec, s[6:7]
	s_cbranch_execz .LBB54_462
.LBB54_2512:
	v_mov_b32_e32 v6, 0
	v_cmp_ne_u16_sdwa s[8:9], v3, v6 src0_sel:BYTE_0 src1_sel:DWORD
	s_andn2_b64 s[4:5], s[4:5], exec
	s_and_b64 s[8:9], s[8:9], exec
	s_or_b64 s[4:5], s[4:5], s[8:9]
	s_or_b64 exec, exec, s[6:7]
	s_and_saveexec_b64 s[6:7], s[4:5]
	s_cbranch_execnz .LBB54_463
	s_branch .LBB54_464
.LBB54_2513:
	s_movk_i32 s4, 0x80
	v_cmp_eq_u16_e32 vcc, s4, v3
	s_mov_b64 s[4:5], -1
                                        ; implicit-def: $sgpr10
	s_and_saveexec_b64 s[8:9], vcc
; %bb.2514:
	s_mov_b32 s10, 0x7f800001
	s_xor_b64 s[4:5], exec, -1
; %bb.2515:
	s_or_b64 exec, exec, s[8:9]
	s_and_b64 s[4:5], s[4:5], exec
                                        ; implicit-def: $vgpr3
	s_or_saveexec_b64 s[6:7], s[6:7]
	v_mov_b32_e32 v2, s10
	s_xor_b64 exec, exec, s[6:7]
	s_cbranch_execz .LBB54_466
.LBB54_2516:
	v_cmp_ne_u16_e32 vcc, 0, v3
	s_andn2_b64 s[4:5], s[4:5], exec
	s_and_b64 s[8:9], vcc, exec
	v_mov_b32_e32 v2, 0
	s_or_b64 s[4:5], s[4:5], s[8:9]
	s_or_b64 exec, exec, s[6:7]
	s_and_saveexec_b64 s[6:7], s[4:5]
	s_cbranch_execnz .LBB54_467
	s_branch .LBB54_468
.LBB54_2517:
	s_movk_i32 s4, 0x80
	v_cmp_eq_u16_e32 vcc, s4, v3
	s_mov_b64 s[4:5], -1
                                        ; implicit-def: $sgpr10
	s_and_saveexec_b64 s[8:9], vcc
; %bb.2518:
	s_mov_b32 s10, 0x7f800001
	s_xor_b64 s[4:5], exec, -1
; %bb.2519:
	s_or_b64 exec, exec, s[8:9]
	s_and_b64 s[4:5], s[4:5], exec
                                        ; implicit-def: $vgpr3
	s_or_saveexec_b64 s[6:7], s[6:7]
	v_mov_b32_e32 v6, s10
	s_xor_b64 exec, exec, s[6:7]
	s_cbranch_execz .LBB54_470
.LBB54_2520:
	v_cmp_ne_u16_e32 vcc, 0, v3
	s_andn2_b64 s[4:5], s[4:5], exec
	s_and_b64 s[8:9], vcc, exec
	v_mov_b32_e32 v6, 0
	s_or_b64 s[4:5], s[4:5], s[8:9]
	s_or_b64 exec, exec, s[6:7]
	s_and_saveexec_b64 s[6:7], s[4:5]
	s_cbranch_execnz .LBB54_471
	s_branch .LBB54_472
.LBB54_2521:
	s_movk_i32 s4, 0x80
	v_cmp_eq_u16_sdwa s[12:13], v8, s4 src0_sel:BYTE_3 src1_sel:DWORD
	s_mov_b64 s[4:5], -1
                                        ; implicit-def: $sgpr10
	s_and_saveexec_b64 s[8:9], s[12:13]
; %bb.2522:
	s_mov_b32 s10, 0x7f800001
	s_xor_b64 s[4:5], exec, -1
; %bb.2523:
	s_or_b64 exec, exec, s[8:9]
	s_and_b64 s[4:5], s[4:5], exec
	s_or_saveexec_b64 s[6:7], s[6:7]
	v_mov_b32_e32 v2, s10
	s_xor_b64 exec, exec, s[6:7]
	s_cbranch_execz .LBB54_474
.LBB54_2524:
	v_mov_b32_e32 v2, 0
	v_cmp_ne_u16_sdwa s[8:9], v8, v2 src0_sel:BYTE_3 src1_sel:DWORD
	s_andn2_b64 s[4:5], s[4:5], exec
	s_and_b64 s[8:9], s[8:9], exec
	s_or_b64 s[4:5], s[4:5], s[8:9]
	s_or_b64 exec, exec, s[6:7]
	s_and_saveexec_b64 s[6:7], s[4:5]
	s_cbranch_execnz .LBB54_475
	s_branch .LBB54_476
.LBB54_2525:
	s_movk_i32 s4, 0x80
	v_cmp_eq_u16_sdwa s[12:13], v4, s4 src0_sel:BYTE_3 src1_sel:DWORD
	s_mov_b64 s[4:5], -1
                                        ; implicit-def: $sgpr10
	s_and_saveexec_b64 s[8:9], s[12:13]
; %bb.2526:
	s_mov_b32 s10, 0x7f800001
	s_xor_b64 s[4:5], exec, -1
; %bb.2527:
	s_or_b64 exec, exec, s[8:9]
	s_and_b64 s[4:5], s[4:5], exec
	s_or_saveexec_b64 s[6:7], s[6:7]
	v_mov_b32_e32 v3, s10
	s_xor_b64 exec, exec, s[6:7]
	s_cbranch_execz .LBB54_478
.LBB54_2528:
	v_mov_b32_e32 v3, 0
	v_cmp_ne_u16_sdwa s[8:9], v4, v3 src0_sel:BYTE_3 src1_sel:DWORD
	s_andn2_b64 s[4:5], s[4:5], exec
	s_and_b64 s[8:9], s[8:9], exec
	s_or_b64 s[4:5], s[4:5], s[8:9]
	s_or_b64 exec, exec, s[6:7]
	s_and_saveexec_b64 s[6:7], s[4:5]
	s_cbranch_execnz .LBB54_479
	s_branch .LBB54_480
.LBB54_2529:
	s_movk_i32 s4, 0x80
	v_cmp_eq_u16_sdwa s[12:13], v9, s4 src0_sel:BYTE_0 src1_sel:DWORD
	s_mov_b64 s[4:5], -1
                                        ; implicit-def: $sgpr10
	s_and_saveexec_b64 s[8:9], s[12:13]
; %bb.2530:
	s_mov_b32 s10, 0x7f800001
	s_xor_b64 s[4:5], exec, -1
; %bb.2531:
	s_or_b64 exec, exec, s[8:9]
	s_and_b64 s[4:5], s[4:5], exec
	s_or_saveexec_b64 s[6:7], s[6:7]
	v_mov_b32_e32 v2, s10
	s_xor_b64 exec, exec, s[6:7]
	s_cbranch_execz .LBB54_482
.LBB54_2532:
	v_mov_b32_e32 v2, 0
	v_cmp_ne_u16_sdwa s[8:9], v9, v2 src0_sel:BYTE_0 src1_sel:DWORD
	s_andn2_b64 s[4:5], s[4:5], exec
	s_and_b64 s[8:9], s[8:9], exec
	s_or_b64 s[4:5], s[4:5], s[8:9]
	s_or_b64 exec, exec, s[6:7]
	s_and_saveexec_b64 s[6:7], s[4:5]
	s_cbranch_execnz .LBB54_483
	s_branch .LBB54_484
.LBB54_2533:
	s_movk_i32 s4, 0x80
	v_cmp_eq_u16_sdwa s[12:13], v5, s4 src0_sel:BYTE_0 src1_sel:DWORD
	s_mov_b64 s[4:5], -1
                                        ; implicit-def: $sgpr10
	s_and_saveexec_b64 s[8:9], s[12:13]
; %bb.2534:
	s_mov_b32 s10, 0x7f800001
	s_xor_b64 s[4:5], exec, -1
; %bb.2535:
	s_or_b64 exec, exec, s[8:9]
	s_and_b64 s[4:5], s[4:5], exec
	s_or_saveexec_b64 s[6:7], s[6:7]
	v_mov_b32_e32 v3, s10
	s_xor_b64 exec, exec, s[6:7]
	s_cbranch_execz .LBB54_486
.LBB54_2536:
	v_mov_b32_e32 v3, 0
	v_cmp_ne_u16_sdwa s[8:9], v5, v3 src0_sel:BYTE_0 src1_sel:DWORD
	s_andn2_b64 s[4:5], s[4:5], exec
	s_and_b64 s[8:9], s[8:9], exec
	s_or_b64 s[4:5], s[4:5], s[8:9]
	s_or_b64 exec, exec, s[6:7]
	s_and_saveexec_b64 s[6:7], s[4:5]
	s_cbranch_execnz .LBB54_487
	s_branch .LBB54_488
.LBB54_2537:
	s_movk_i32 s4, 0x80
	v_cmp_eq_u16_sdwa s[12:13], v3, s4 src0_sel:BYTE_0 src1_sel:DWORD
	s_mov_b64 s[4:5], -1
                                        ; implicit-def: $sgpr10
	s_and_saveexec_b64 s[8:9], s[12:13]
; %bb.2538:
	s_mov_b32 s10, 0x7f800001
	s_xor_b64 s[4:5], exec, -1
; %bb.2539:
	s_or_b64 exec, exec, s[8:9]
	s_and_b64 s[4:5], s[4:5], exec
	s_or_saveexec_b64 s[6:7], s[6:7]
	v_mov_b32_e32 v2, s10
	s_xor_b64 exec, exec, s[6:7]
	s_cbranch_execz .LBB54_490
.LBB54_2540:
	v_mov_b32_e32 v2, 0
	v_cmp_ne_u16_sdwa s[8:9], v3, v2 src0_sel:BYTE_0 src1_sel:DWORD
	s_andn2_b64 s[4:5], s[4:5], exec
	s_and_b64 s[8:9], s[8:9], exec
	s_or_b64 s[4:5], s[4:5], s[8:9]
	s_or_b64 exec, exec, s[6:7]
	s_and_saveexec_b64 s[6:7], s[4:5]
	s_cbranch_execnz .LBB54_491
	s_branch .LBB54_492
.LBB54_2541:
	s_movk_i32 s4, 0x80
	v_cmp_eq_u16_sdwa s[12:13], v3, s4 src0_sel:BYTE_0 src1_sel:DWORD
	s_mov_b64 s[4:5], -1
                                        ; implicit-def: $sgpr10
	s_and_saveexec_b64 s[8:9], s[12:13]
; %bb.2542:
	s_mov_b32 s10, 0x7f800001
	s_xor_b64 s[4:5], exec, -1
; %bb.2543:
	s_or_b64 exec, exec, s[8:9]
	s_and_b64 s[4:5], s[4:5], exec
	s_or_saveexec_b64 s[6:7], s[6:7]
	v_mov_b32_e32 v4, s10
	s_xor_b64 exec, exec, s[6:7]
	s_cbranch_execz .LBB54_494
.LBB54_2544:
	v_mov_b32_e32 v4, 0
	v_cmp_ne_u16_sdwa s[8:9], v3, v4 src0_sel:BYTE_0 src1_sel:DWORD
	s_andn2_b64 s[4:5], s[4:5], exec
	s_and_b64 s[8:9], s[8:9], exec
	s_or_b64 s[4:5], s[4:5], s[8:9]
	s_or_b64 exec, exec, s[6:7]
	s_and_saveexec_b64 s[6:7], s[4:5]
	s_cbranch_execnz .LBB54_495
	s_branch .LBB54_496
.LBB54_2545:
	s_movk_i32 s4, 0x80
	v_cmp_eq_u16_e32 vcc, s4, v3
	s_mov_b64 s[4:5], -1
                                        ; implicit-def: $sgpr10
	s_and_saveexec_b64 s[8:9], vcc
; %bb.2546:
	s_mov_b32 s10, 0x7f800001
	s_xor_b64 s[4:5], exec, -1
; %bb.2547:
	s_or_b64 exec, exec, s[8:9]
	s_and_b64 s[4:5], s[4:5], exec
                                        ; implicit-def: $vgpr3
	s_or_saveexec_b64 s[6:7], s[6:7]
	v_mov_b32_e32 v2, s10
	s_xor_b64 exec, exec, s[6:7]
	s_cbranch_execz .LBB54_498
.LBB54_2548:
	v_cmp_ne_u16_e32 vcc, 0, v3
	s_andn2_b64 s[4:5], s[4:5], exec
	s_and_b64 s[8:9], vcc, exec
	v_mov_b32_e32 v2, 0
	s_or_b64 s[4:5], s[4:5], s[8:9]
	s_or_b64 exec, exec, s[6:7]
	s_and_saveexec_b64 s[6:7], s[4:5]
	s_cbranch_execnz .LBB54_499
	s_branch .LBB54_500
.LBB54_2549:
	s_movk_i32 s4, 0x80
	v_cmp_eq_u16_e32 vcc, s4, v3
	s_mov_b64 s[4:5], -1
                                        ; implicit-def: $sgpr10
	s_and_saveexec_b64 s[8:9], vcc
; %bb.2550:
	s_mov_b32 s10, 0x7f800001
	s_xor_b64 s[4:5], exec, -1
; %bb.2551:
	s_or_b64 exec, exec, s[8:9]
	s_and_b64 s[4:5], s[4:5], exec
                                        ; implicit-def: $vgpr3
	s_or_saveexec_b64 s[6:7], s[6:7]
	v_mov_b32_e32 v4, s10
	s_xor_b64 exec, exec, s[6:7]
	s_cbranch_execz .LBB54_502
.LBB54_2552:
	v_cmp_ne_u16_e32 vcc, 0, v3
	s_andn2_b64 s[4:5], s[4:5], exec
	s_and_b64 s[8:9], vcc, exec
	v_mov_b32_e32 v4, 0
	s_or_b64 s[4:5], s[4:5], s[8:9]
	s_or_b64 exec, exec, s[6:7]
	s_and_saveexec_b64 s[6:7], s[4:5]
	s_cbranch_execnz .LBB54_503
	s_branch .LBB54_504
.LBB54_2553:
	s_movk_i32 s4, 0x80
	v_cmp_eq_u16_sdwa s[12:13], v9, s4 src0_sel:BYTE_3 src1_sel:DWORD
	s_mov_b64 s[4:5], -1
                                        ; implicit-def: $sgpr10
	s_and_saveexec_b64 s[8:9], s[12:13]
; %bb.2554:
	s_mov_b32 s10, 0x7f800001
	s_xor_b64 s[4:5], exec, -1
; %bb.2555:
	s_or_b64 exec, exec, s[8:9]
	s_and_b64 s[4:5], s[4:5], exec
	s_or_saveexec_b64 s[6:7], s[6:7]
	v_mov_b32_e32 v2, s10
	s_xor_b64 exec, exec, s[6:7]
	s_cbranch_execz .LBB54_506
.LBB54_2556:
	v_mov_b32_e32 v2, 0
	v_cmp_ne_u16_sdwa s[8:9], v9, v2 src0_sel:BYTE_3 src1_sel:DWORD
	s_andn2_b64 s[4:5], s[4:5], exec
	s_and_b64 s[8:9], s[8:9], exec
	s_or_b64 s[4:5], s[4:5], s[8:9]
	s_or_b64 exec, exec, s[6:7]
	s_and_saveexec_b64 s[6:7], s[4:5]
	s_cbranch_execnz .LBB54_507
	s_branch .LBB54_508
.LBB54_2557:
	s_movk_i32 s4, 0x80
	v_cmp_eq_u16_sdwa s[12:13], v5, s4 src0_sel:BYTE_3 src1_sel:DWORD
	s_mov_b64 s[4:5], -1
                                        ; implicit-def: $sgpr10
	s_and_saveexec_b64 s[8:9], s[12:13]
; %bb.2558:
	s_mov_b32 s10, 0x7f800001
	s_xor_b64 s[4:5], exec, -1
; %bb.2559:
	s_or_b64 exec, exec, s[8:9]
	s_and_b64 s[4:5], s[4:5], exec
	s_or_saveexec_b64 s[6:7], s[6:7]
	v_mov_b32_e32 v3, s10
	s_xor_b64 exec, exec, s[6:7]
	s_cbranch_execz .LBB54_510
.LBB54_2560:
	v_mov_b32_e32 v3, 0
	v_cmp_ne_u16_sdwa s[8:9], v5, v3 src0_sel:BYTE_3 src1_sel:DWORD
	s_andn2_b64 s[4:5], s[4:5], exec
	s_and_b64 s[8:9], s[8:9], exec
	s_or_b64 s[4:5], s[4:5], s[8:9]
	s_or_b64 exec, exec, s[6:7]
	s_and_saveexec_b64 s[6:7], s[4:5]
	s_cbranch_execnz .LBB54_511
	s_branch .LBB54_512
.LBB54_2561:
	s_movk_i32 s4, 0x80
	v_cmp_eq_u16_sdwa s[12:13], v14, s4 src0_sel:BYTE_0 src1_sel:DWORD
	s_mov_b64 s[4:5], -1
                                        ; implicit-def: $sgpr10
	s_and_saveexec_b64 s[8:9], s[12:13]
; %bb.2562:
	s_mov_b32 s10, 0x7f800001
	s_xor_b64 s[4:5], exec, -1
; %bb.2563:
	s_or_b64 exec, exec, s[8:9]
	s_and_b64 s[4:5], s[4:5], exec
	s_or_saveexec_b64 s[6:7], s[6:7]
	v_mov_b32_e32 v20, s10
	s_xor_b64 exec, exec, s[6:7]
	s_cbranch_execz .LBB54_514
.LBB54_2564:
	v_mov_b32_e32 v20, 0
	v_cmp_ne_u16_sdwa s[8:9], v14, v20 src0_sel:BYTE_0 src1_sel:DWORD
	s_andn2_b64 s[4:5], s[4:5], exec
	s_and_b64 s[8:9], s[8:9], exec
	s_or_b64 s[4:5], s[4:5], s[8:9]
	s_or_b64 exec, exec, s[6:7]
	s_and_saveexec_b64 s[6:7], s[4:5]
	s_cbranch_execnz .LBB54_515
	s_branch .LBB54_516
.LBB54_2565:
	s_movk_i32 s4, 0x80
	v_cmp_eq_u16_sdwa s[12:13], v10, s4 src0_sel:BYTE_0 src1_sel:DWORD
	s_mov_b64 s[4:5], -1
                                        ; implicit-def: $sgpr10
	s_and_saveexec_b64 s[8:9], s[12:13]
; %bb.2566:
	s_mov_b32 s10, 0x7f800001
	s_xor_b64 s[4:5], exec, -1
; %bb.2567:
	s_or_b64 exec, exec, s[8:9]
	s_and_b64 s[4:5], s[4:5], exec
	s_or_saveexec_b64 s[6:7], s[6:7]
	v_mov_b32_e32 v21, s10
	s_xor_b64 exec, exec, s[6:7]
	s_cbranch_execz .LBB54_518
.LBB54_2568:
	v_mov_b32_e32 v21, 0
	v_cmp_ne_u16_sdwa s[8:9], v10, v21 src0_sel:BYTE_0 src1_sel:DWORD
	s_andn2_b64 s[4:5], s[4:5], exec
	s_and_b64 s[8:9], s[8:9], exec
	s_or_b64 s[4:5], s[4:5], s[8:9]
	s_or_b64 exec, exec, s[6:7]
	s_and_saveexec_b64 s[6:7], s[4:5]
	s_cbranch_execnz .LBB54_519
	s_branch .LBB54_520
.LBB54_2569:
	s_movk_i32 s4, 0x80
	v_cmp_eq_u16_sdwa s[12:13], v21, s4 src0_sel:BYTE_0 src1_sel:DWORD
	s_mov_b64 s[4:5], -1
                                        ; implicit-def: $sgpr10
	s_and_saveexec_b64 s[8:9], s[12:13]
; %bb.2570:
	s_mov_b32 s10, 0x7f800001
	s_xor_b64 s[4:5], exec, -1
; %bb.2571:
	s_or_b64 exec, exec, s[8:9]
	s_and_b64 s[4:5], s[4:5], exec
	s_or_saveexec_b64 s[6:7], s[6:7]
	v_mov_b32_e32 v20, s10
	s_xor_b64 exec, exec, s[6:7]
	s_cbranch_execz .LBB54_522
.LBB54_2572:
	v_mov_b32_e32 v20, 0
	v_cmp_ne_u16_sdwa s[8:9], v21, v20 src0_sel:BYTE_0 src1_sel:DWORD
	s_andn2_b64 s[4:5], s[4:5], exec
	s_and_b64 s[8:9], s[8:9], exec
	s_or_b64 s[4:5], s[4:5], s[8:9]
	s_or_b64 exec, exec, s[6:7]
	s_and_saveexec_b64 s[6:7], s[4:5]
	s_cbranch_execnz .LBB54_523
	s_branch .LBB54_524
.LBB54_2573:
	s_movk_i32 s4, 0x80
	v_cmp_eq_u16_sdwa s[12:13], v21, s4 src0_sel:BYTE_0 src1_sel:DWORD
	s_mov_b64 s[4:5], -1
                                        ; implicit-def: $sgpr10
	s_and_saveexec_b64 s[8:9], s[12:13]
; %bb.2574:
	s_mov_b32 s10, 0x7f800001
	s_xor_b64 s[4:5], exec, -1
; %bb.2575:
	s_or_b64 exec, exec, s[8:9]
	s_and_b64 s[4:5], s[4:5], exec
	s_or_saveexec_b64 s[6:7], s[6:7]
	v_mov_b32_e32 v22, s10
	s_xor_b64 exec, exec, s[6:7]
	s_cbranch_execz .LBB54_526
.LBB54_2576:
	v_mov_b32_e32 v22, 0
	v_cmp_ne_u16_sdwa s[8:9], v21, v22 src0_sel:BYTE_0 src1_sel:DWORD
	s_andn2_b64 s[4:5], s[4:5], exec
	s_and_b64 s[8:9], s[8:9], exec
	s_or_b64 s[4:5], s[4:5], s[8:9]
	s_or_b64 exec, exec, s[6:7]
	s_and_saveexec_b64 s[6:7], s[4:5]
	s_cbranch_execnz .LBB54_527
	s_branch .LBB54_528
.LBB54_2577:
	s_movk_i32 s4, 0x80
	v_cmp_eq_u16_e32 vcc, s4, v21
	s_mov_b64 s[4:5], -1
                                        ; implicit-def: $sgpr10
	s_and_saveexec_b64 s[8:9], vcc
; %bb.2578:
	s_mov_b32 s10, 0x7f800001
	s_xor_b64 s[4:5], exec, -1
; %bb.2579:
	s_or_b64 exec, exec, s[8:9]
	s_and_b64 s[4:5], s[4:5], exec
                                        ; implicit-def: $vgpr21
	s_or_saveexec_b64 s[6:7], s[6:7]
	v_mov_b32_e32 v20, s10
	s_xor_b64 exec, exec, s[6:7]
	s_cbranch_execz .LBB54_530
.LBB54_2580:
	v_cmp_ne_u16_e32 vcc, 0, v21
	s_andn2_b64 s[4:5], s[4:5], exec
	s_and_b64 s[8:9], vcc, exec
	v_mov_b32_e32 v20, 0
	s_or_b64 s[4:5], s[4:5], s[8:9]
	s_or_b64 exec, exec, s[6:7]
	s_and_saveexec_b64 s[6:7], s[4:5]
	s_cbranch_execnz .LBB54_531
	s_branch .LBB54_532
.LBB54_2581:
	s_movk_i32 s4, 0x80
	v_cmp_eq_u16_e32 vcc, s4, v21
	s_mov_b64 s[4:5], -1
                                        ; implicit-def: $sgpr10
	s_and_saveexec_b64 s[8:9], vcc
; %bb.2582:
	s_mov_b32 s10, 0x7f800001
	s_xor_b64 s[4:5], exec, -1
; %bb.2583:
	s_or_b64 exec, exec, s[8:9]
	s_and_b64 s[4:5], s[4:5], exec
                                        ; implicit-def: $vgpr21
	s_or_saveexec_b64 s[6:7], s[6:7]
	v_mov_b32_e32 v22, s10
	s_xor_b64 exec, exec, s[6:7]
	s_cbranch_execz .LBB54_534
.LBB54_2584:
	v_cmp_ne_u16_e32 vcc, 0, v21
	s_andn2_b64 s[4:5], s[4:5], exec
	s_and_b64 s[8:9], vcc, exec
	v_mov_b32_e32 v22, 0
	s_or_b64 s[4:5], s[4:5], s[8:9]
	s_or_b64 exec, exec, s[6:7]
	s_and_saveexec_b64 s[6:7], s[4:5]
	s_cbranch_execnz .LBB54_535
	s_branch .LBB54_536
.LBB54_2585:
	s_movk_i32 s4, 0x80
	v_cmp_eq_u16_sdwa s[12:13], v14, s4 src0_sel:BYTE_3 src1_sel:DWORD
	s_mov_b64 s[4:5], -1
                                        ; implicit-def: $sgpr10
	s_and_saveexec_b64 s[8:9], s[12:13]
; %bb.2586:
	s_mov_b32 s10, 0x7f800001
	s_xor_b64 s[4:5], exec, -1
; %bb.2587:
	s_or_b64 exec, exec, s[8:9]
	s_and_b64 s[4:5], s[4:5], exec
	s_or_saveexec_b64 s[6:7], s[6:7]
	v_mov_b32_e32 v20, s10
	s_xor_b64 exec, exec, s[6:7]
	s_cbranch_execz .LBB54_538
.LBB54_2588:
	v_mov_b32_e32 v20, 0
	v_cmp_ne_u16_sdwa s[8:9], v14, v20 src0_sel:BYTE_3 src1_sel:DWORD
	s_andn2_b64 s[4:5], s[4:5], exec
	s_and_b64 s[8:9], s[8:9], exec
	s_or_b64 s[4:5], s[4:5], s[8:9]
	s_or_b64 exec, exec, s[6:7]
	s_and_saveexec_b64 s[6:7], s[4:5]
	s_cbranch_execnz .LBB54_539
	s_branch .LBB54_540
.LBB54_2589:
	s_movk_i32 s4, 0x80
	v_cmp_eq_u16_sdwa s[12:13], v10, s4 src0_sel:BYTE_3 src1_sel:DWORD
	s_mov_b64 s[4:5], -1
                                        ; implicit-def: $sgpr10
	s_and_saveexec_b64 s[8:9], s[12:13]
; %bb.2590:
	s_mov_b32 s10, 0x7f800001
	s_xor_b64 s[4:5], exec, -1
; %bb.2591:
	s_or_b64 exec, exec, s[8:9]
	s_and_b64 s[4:5], s[4:5], exec
	s_or_saveexec_b64 s[6:7], s[6:7]
	v_mov_b32_e32 v14, s10
	s_xor_b64 exec, exec, s[6:7]
	s_cbranch_execz .LBB54_542
.LBB54_2592:
	v_mov_b32_e32 v14, 0
	v_cmp_ne_u16_sdwa s[8:9], v10, v14 src0_sel:BYTE_3 src1_sel:DWORD
	s_andn2_b64 s[4:5], s[4:5], exec
	s_and_b64 s[8:9], s[8:9], exec
	s_or_b64 s[4:5], s[4:5], s[8:9]
	s_or_b64 exec, exec, s[6:7]
	s_and_saveexec_b64 s[6:7], s[4:5]
	s_cbranch_execnz .LBB54_543
	s_branch .LBB54_544
.LBB54_2593:
	s_movk_i32 s4, 0x80
	v_cmp_eq_u16_sdwa s[12:13], v15, s4 src0_sel:BYTE_0 src1_sel:DWORD
	s_mov_b64 s[4:5], -1
                                        ; implicit-def: $sgpr10
	s_and_saveexec_b64 s[8:9], s[12:13]
; %bb.2594:
	s_mov_b32 s10, 0x7f800001
	s_xor_b64 s[4:5], exec, -1
; %bb.2595:
	s_or_b64 exec, exec, s[8:9]
	s_and_b64 s[4:5], s[4:5], exec
	s_or_saveexec_b64 s[6:7], s[6:7]
	v_mov_b32_e32 v10, s10
	s_xor_b64 exec, exec, s[6:7]
	s_cbranch_execz .LBB54_546
.LBB54_2596:
	v_mov_b32_e32 v10, 0
	v_cmp_ne_u16_sdwa s[8:9], v15, v10 src0_sel:BYTE_0 src1_sel:DWORD
	s_andn2_b64 s[4:5], s[4:5], exec
	s_and_b64 s[8:9], s[8:9], exec
	s_or_b64 s[4:5], s[4:5], s[8:9]
	s_or_b64 exec, exec, s[6:7]
	s_and_saveexec_b64 s[6:7], s[4:5]
	s_cbranch_execnz .LBB54_547
	s_branch .LBB54_548
.LBB54_2597:
	s_movk_i32 s4, 0x80
	v_cmp_eq_u16_sdwa s[12:13], v11, s4 src0_sel:BYTE_0 src1_sel:DWORD
	s_mov_b64 s[4:5], -1
                                        ; implicit-def: $sgpr10
	s_and_saveexec_b64 s[8:9], s[12:13]
; %bb.2598:
	s_mov_b32 s10, 0x7f800001
	s_xor_b64 s[4:5], exec, -1
; %bb.2599:
	s_or_b64 exec, exec, s[8:9]
	s_and_b64 s[4:5], s[4:5], exec
	s_or_saveexec_b64 s[6:7], s[6:7]
	v_mov_b32_e32 v14, s10
	s_xor_b64 exec, exec, s[6:7]
	s_cbranch_execz .LBB54_550
.LBB54_2600:
	v_mov_b32_e32 v14, 0
	v_cmp_ne_u16_sdwa s[8:9], v11, v14 src0_sel:BYTE_0 src1_sel:DWORD
	s_andn2_b64 s[4:5], s[4:5], exec
	s_and_b64 s[8:9], s[8:9], exec
	s_or_b64 s[4:5], s[4:5], s[8:9]
	s_or_b64 exec, exec, s[6:7]
	s_and_saveexec_b64 s[6:7], s[4:5]
	s_cbranch_execnz .LBB54_551
	s_branch .LBB54_552
.LBB54_2601:
	s_movk_i32 s4, 0x80
	v_cmp_eq_u16_sdwa s[12:13], v14, s4 src0_sel:BYTE_0 src1_sel:DWORD
	s_mov_b64 s[4:5], -1
                                        ; implicit-def: $sgpr10
	s_and_saveexec_b64 s[8:9], s[12:13]
; %bb.2602:
	s_mov_b32 s10, 0x7f800001
	s_xor_b64 s[4:5], exec, -1
; %bb.2603:
	s_or_b64 exec, exec, s[8:9]
	s_and_b64 s[4:5], s[4:5], exec
	s_or_saveexec_b64 s[6:7], s[6:7]
	v_mov_b32_e32 v10, s10
	s_xor_b64 exec, exec, s[6:7]
	s_cbranch_execz .LBB54_554
.LBB54_2604:
	v_mov_b32_e32 v10, 0
	v_cmp_ne_u16_sdwa s[8:9], v14, v10 src0_sel:BYTE_0 src1_sel:DWORD
	s_andn2_b64 s[4:5], s[4:5], exec
	s_and_b64 s[8:9], s[8:9], exec
	s_or_b64 s[4:5], s[4:5], s[8:9]
	s_or_b64 exec, exec, s[6:7]
	s_and_saveexec_b64 s[6:7], s[4:5]
	s_cbranch_execnz .LBB54_555
	s_branch .LBB54_556
.LBB54_2605:
	s_movk_i32 s4, 0x80
	v_cmp_eq_u16_sdwa s[12:13], v14, s4 src0_sel:BYTE_0 src1_sel:DWORD
	s_mov_b64 s[4:5], -1
                                        ; implicit-def: $sgpr10
	s_and_saveexec_b64 s[8:9], s[12:13]
; %bb.2606:
	s_mov_b32 s10, 0x7f800001
	s_xor_b64 s[4:5], exec, -1
; %bb.2607:
	s_or_b64 exec, exec, s[8:9]
	s_and_b64 s[4:5], s[4:5], exec
	s_or_saveexec_b64 s[6:7], s[6:7]
	v_mov_b32_e32 v20, s10
	s_xor_b64 exec, exec, s[6:7]
	s_cbranch_execz .LBB54_558
.LBB54_2608:
	v_mov_b32_e32 v20, 0
	v_cmp_ne_u16_sdwa s[8:9], v14, v20 src0_sel:BYTE_0 src1_sel:DWORD
	s_andn2_b64 s[4:5], s[4:5], exec
	s_and_b64 s[8:9], s[8:9], exec
	s_or_b64 s[4:5], s[4:5], s[8:9]
	s_or_b64 exec, exec, s[6:7]
	s_and_saveexec_b64 s[6:7], s[4:5]
	s_cbranch_execnz .LBB54_559
	s_branch .LBB54_560
.LBB54_2609:
	s_movk_i32 s4, 0x80
	v_cmp_eq_u16_e32 vcc, s4, v14
	s_mov_b64 s[4:5], -1
                                        ; implicit-def: $sgpr10
	s_and_saveexec_b64 s[8:9], vcc
; %bb.2610:
	s_mov_b32 s10, 0x7f800001
	s_xor_b64 s[4:5], exec, -1
; %bb.2611:
	s_or_b64 exec, exec, s[8:9]
	s_and_b64 s[4:5], s[4:5], exec
                                        ; implicit-def: $vgpr14
	s_or_saveexec_b64 s[6:7], s[6:7]
	v_mov_b32_e32 v10, s10
	s_xor_b64 exec, exec, s[6:7]
	s_cbranch_execz .LBB54_562
.LBB54_2612:
	v_cmp_ne_u16_e32 vcc, 0, v14
	s_andn2_b64 s[4:5], s[4:5], exec
	s_and_b64 s[8:9], vcc, exec
	v_mov_b32_e32 v10, 0
	s_or_b64 s[4:5], s[4:5], s[8:9]
	s_or_b64 exec, exec, s[6:7]
	s_and_saveexec_b64 s[6:7], s[4:5]
	s_cbranch_execnz .LBB54_563
	s_branch .LBB54_564
.LBB54_2613:
	s_movk_i32 s4, 0x80
	v_cmp_eq_u16_e32 vcc, s4, v14
	s_mov_b64 s[4:5], -1
                                        ; implicit-def: $sgpr10
	s_and_saveexec_b64 s[8:9], vcc
; %bb.2614:
	s_mov_b32 s10, 0x7f800001
	s_xor_b64 s[4:5], exec, -1
; %bb.2615:
	s_or_b64 exec, exec, s[8:9]
	s_and_b64 s[4:5], s[4:5], exec
                                        ; implicit-def: $vgpr14
	s_or_saveexec_b64 s[6:7], s[6:7]
	v_mov_b32_e32 v20, s10
	s_xor_b64 exec, exec, s[6:7]
	s_cbranch_execz .LBB54_566
.LBB54_2616:
	v_cmp_ne_u16_e32 vcc, 0, v14
	s_andn2_b64 s[4:5], s[4:5], exec
	s_and_b64 s[8:9], vcc, exec
	v_mov_b32_e32 v20, 0
	s_or_b64 s[4:5], s[4:5], s[8:9]
	s_or_b64 exec, exec, s[6:7]
	s_and_saveexec_b64 s[6:7], s[4:5]
	s_cbranch_execnz .LBB54_567
	s_branch .LBB54_568
.LBB54_2617:
	s_movk_i32 s4, 0x80
	v_cmp_eq_u16_sdwa s[12:13], v15, s4 src0_sel:BYTE_3 src1_sel:DWORD
	s_mov_b64 s[4:5], -1
                                        ; implicit-def: $sgpr10
	s_and_saveexec_b64 s[8:9], s[12:13]
; %bb.2618:
	s_mov_b32 s10, 0x7f800001
	s_xor_b64 s[4:5], exec, -1
; %bb.2619:
	s_or_b64 exec, exec, s[8:9]
	s_and_b64 s[4:5], s[4:5], exec
	s_or_saveexec_b64 s[6:7], s[6:7]
	v_mov_b32_e32 v10, s10
	s_xor_b64 exec, exec, s[6:7]
	s_cbranch_execz .LBB54_570
.LBB54_2620:
	v_mov_b32_e32 v10, 0
	v_cmp_ne_u16_sdwa s[8:9], v15, v10 src0_sel:BYTE_3 src1_sel:DWORD
	s_andn2_b64 s[4:5], s[4:5], exec
	s_and_b64 s[8:9], s[8:9], exec
	s_or_b64 s[4:5], s[4:5], s[8:9]
	s_or_b64 exec, exec, s[6:7]
	s_and_saveexec_b64 s[6:7], s[4:5]
	s_cbranch_execnz .LBB54_571
	s_branch .LBB54_572
.LBB54_2621:
	s_movk_i32 s4, 0x80
	v_cmp_eq_u16_sdwa s[12:13], v11, s4 src0_sel:BYTE_3 src1_sel:DWORD
	s_mov_b64 s[4:5], -1
                                        ; implicit-def: $sgpr10
	s_and_saveexec_b64 s[8:9], s[12:13]
; %bb.2622:
	s_mov_b32 s10, 0x7f800001
	s_xor_b64 s[4:5], exec, -1
; %bb.2623:
	s_or_b64 exec, exec, s[8:9]
	s_and_b64 s[4:5], s[4:5], exec
	s_or_saveexec_b64 s[6:7], s[6:7]
	v_mov_b32_e32 v14, s10
	s_xor_b64 exec, exec, s[6:7]
	s_cbranch_execz .LBB54_574
.LBB54_2624:
	v_mov_b32_e32 v14, 0
	v_cmp_ne_u16_sdwa s[8:9], v11, v14 src0_sel:BYTE_3 src1_sel:DWORD
	s_andn2_b64 s[4:5], s[4:5], exec
	s_and_b64 s[8:9], s[8:9], exec
	s_or_b64 s[4:5], s[4:5], s[8:9]
	s_or_b64 exec, exec, s[6:7]
	s_and_saveexec_b64 s[6:7], s[4:5]
	s_cbranch_execnz .LBB54_575
	s_branch .LBB54_576
.LBB54_2625:
	s_movk_i32 s4, 0x80
	v_cmp_eq_u16_sdwa s[12:13], v16, s4 src0_sel:BYTE_0 src1_sel:DWORD
	s_mov_b64 s[4:5], -1
                                        ; implicit-def: $sgpr10
	s_and_saveexec_b64 s[8:9], s[12:13]
; %bb.2626:
	s_mov_b32 s10, 0x7f800001
	s_xor_b64 s[4:5], exec, -1
; %bb.2627:
	s_or_b64 exec, exec, s[8:9]
	s_and_b64 s[4:5], s[4:5], exec
	s_or_saveexec_b64 s[6:7], s[6:7]
	v_mov_b32_e32 v10, s10
	s_xor_b64 exec, exec, s[6:7]
	s_cbranch_execz .LBB54_578
.LBB54_2628:
	v_mov_b32_e32 v10, 0
	v_cmp_ne_u16_sdwa s[8:9], v16, v10 src0_sel:BYTE_0 src1_sel:DWORD
	s_andn2_b64 s[4:5], s[4:5], exec
	s_and_b64 s[8:9], s[8:9], exec
	s_or_b64 s[4:5], s[4:5], s[8:9]
	s_or_b64 exec, exec, s[6:7]
	s_and_saveexec_b64 s[6:7], s[4:5]
	s_cbranch_execnz .LBB54_579
	s_branch .LBB54_580
.LBB54_2629:
	s_movk_i32 s4, 0x80
	v_cmp_eq_u16_sdwa s[12:13], v12, s4 src0_sel:BYTE_0 src1_sel:DWORD
	s_mov_b64 s[4:5], -1
                                        ; implicit-def: $sgpr10
	s_and_saveexec_b64 s[8:9], s[12:13]
; %bb.2630:
	s_mov_b32 s10, 0x7f800001
	s_xor_b64 s[4:5], exec, -1
; %bb.2631:
	s_or_b64 exec, exec, s[8:9]
	s_and_b64 s[4:5], s[4:5], exec
	s_or_saveexec_b64 s[6:7], s[6:7]
	v_mov_b32_e32 v11, s10
	s_xor_b64 exec, exec, s[6:7]
	s_cbranch_execz .LBB54_582
.LBB54_2632:
	v_mov_b32_e32 v11, 0
	v_cmp_ne_u16_sdwa s[8:9], v12, v11 src0_sel:BYTE_0 src1_sel:DWORD
	s_andn2_b64 s[4:5], s[4:5], exec
	s_and_b64 s[8:9], s[8:9], exec
	s_or_b64 s[4:5], s[4:5], s[8:9]
	s_or_b64 exec, exec, s[6:7]
	s_and_saveexec_b64 s[6:7], s[4:5]
	s_cbranch_execnz .LBB54_583
	s_branch .LBB54_584
.LBB54_2633:
	s_movk_i32 s4, 0x80
	v_cmp_eq_u16_sdwa s[12:13], v11, s4 src0_sel:BYTE_0 src1_sel:DWORD
	s_mov_b64 s[4:5], -1
                                        ; implicit-def: $sgpr10
	s_and_saveexec_b64 s[8:9], s[12:13]
; %bb.2634:
	s_mov_b32 s10, 0x7f800001
	s_xor_b64 s[4:5], exec, -1
; %bb.2635:
	s_or_b64 exec, exec, s[8:9]
	s_and_b64 s[4:5], s[4:5], exec
	s_or_saveexec_b64 s[6:7], s[6:7]
	v_mov_b32_e32 v10, s10
	s_xor_b64 exec, exec, s[6:7]
	s_cbranch_execz .LBB54_586
.LBB54_2636:
	v_mov_b32_e32 v10, 0
	v_cmp_ne_u16_sdwa s[8:9], v11, v10 src0_sel:BYTE_0 src1_sel:DWORD
	s_andn2_b64 s[4:5], s[4:5], exec
	s_and_b64 s[8:9], s[8:9], exec
	s_or_b64 s[4:5], s[4:5], s[8:9]
	s_or_b64 exec, exec, s[6:7]
	s_and_saveexec_b64 s[6:7], s[4:5]
	s_cbranch_execnz .LBB54_587
	s_branch .LBB54_588
.LBB54_2637:
	s_movk_i32 s4, 0x80
	v_cmp_eq_u16_sdwa s[12:13], v11, s4 src0_sel:BYTE_0 src1_sel:DWORD
	s_mov_b64 s[4:5], -1
                                        ; implicit-def: $sgpr10
	s_and_saveexec_b64 s[8:9], s[12:13]
; %bb.2638:
	s_mov_b32 s10, 0x7f800001
	s_xor_b64 s[4:5], exec, -1
; %bb.2639:
	s_or_b64 exec, exec, s[8:9]
	s_and_b64 s[4:5], s[4:5], exec
	s_or_saveexec_b64 s[6:7], s[6:7]
	v_mov_b32_e32 v14, s10
	s_xor_b64 exec, exec, s[6:7]
	s_cbranch_execz .LBB54_590
.LBB54_2640:
	v_mov_b32_e32 v14, 0
	v_cmp_ne_u16_sdwa s[8:9], v11, v14 src0_sel:BYTE_0 src1_sel:DWORD
	s_andn2_b64 s[4:5], s[4:5], exec
	s_and_b64 s[8:9], s[8:9], exec
	s_or_b64 s[4:5], s[4:5], s[8:9]
	s_or_b64 exec, exec, s[6:7]
	s_and_saveexec_b64 s[6:7], s[4:5]
	s_cbranch_execnz .LBB54_591
	s_branch .LBB54_592
.LBB54_2641:
	s_movk_i32 s4, 0x80
	v_cmp_eq_u16_e32 vcc, s4, v11
	s_mov_b64 s[4:5], -1
                                        ; implicit-def: $sgpr10
	s_and_saveexec_b64 s[8:9], vcc
; %bb.2642:
	s_mov_b32 s10, 0x7f800001
	s_xor_b64 s[4:5], exec, -1
; %bb.2643:
	s_or_b64 exec, exec, s[8:9]
	s_and_b64 s[4:5], s[4:5], exec
                                        ; implicit-def: $vgpr11
	s_or_saveexec_b64 s[6:7], s[6:7]
	v_mov_b32_e32 v10, s10
	s_xor_b64 exec, exec, s[6:7]
	s_cbranch_execz .LBB54_594
.LBB54_2644:
	v_cmp_ne_u16_e32 vcc, 0, v11
	s_andn2_b64 s[4:5], s[4:5], exec
	s_and_b64 s[8:9], vcc, exec
	v_mov_b32_e32 v10, 0
	s_or_b64 s[4:5], s[4:5], s[8:9]
	s_or_b64 exec, exec, s[6:7]
	s_and_saveexec_b64 s[6:7], s[4:5]
	s_cbranch_execnz .LBB54_595
	s_branch .LBB54_596
.LBB54_2645:
	s_movk_i32 s4, 0x80
	v_cmp_eq_u16_e32 vcc, s4, v11
	s_mov_b64 s[4:5], -1
                                        ; implicit-def: $sgpr10
	s_and_saveexec_b64 s[8:9], vcc
; %bb.2646:
	s_mov_b32 s10, 0x7f800001
	s_xor_b64 s[4:5], exec, -1
; %bb.2647:
	s_or_b64 exec, exec, s[8:9]
	s_and_b64 s[4:5], s[4:5], exec
                                        ; implicit-def: $vgpr11
	s_or_saveexec_b64 s[6:7], s[6:7]
	v_mov_b32_e32 v14, s10
	s_xor_b64 exec, exec, s[6:7]
	s_cbranch_execz .LBB54_598
.LBB54_2648:
	v_cmp_ne_u16_e32 vcc, 0, v11
	s_andn2_b64 s[4:5], s[4:5], exec
	s_and_b64 s[8:9], vcc, exec
	v_mov_b32_e32 v14, 0
	s_or_b64 s[4:5], s[4:5], s[8:9]
	s_or_b64 exec, exec, s[6:7]
	s_and_saveexec_b64 s[6:7], s[4:5]
	s_cbranch_execnz .LBB54_599
	s_branch .LBB54_600
.LBB54_2649:
	s_movk_i32 s4, 0x80
	v_cmp_eq_u16_sdwa s[12:13], v16, s4 src0_sel:BYTE_3 src1_sel:DWORD
	s_mov_b64 s[4:5], -1
                                        ; implicit-def: $sgpr10
	s_and_saveexec_b64 s[8:9], s[12:13]
; %bb.2650:
	s_mov_b32 s10, 0x7f800001
	s_xor_b64 s[4:5], exec, -1
; %bb.2651:
	s_or_b64 exec, exec, s[8:9]
	s_and_b64 s[4:5], s[4:5], exec
	s_or_saveexec_b64 s[6:7], s[6:7]
	v_mov_b32_e32 v10, s10
	s_xor_b64 exec, exec, s[6:7]
	s_cbranch_execz .LBB54_602
.LBB54_2652:
	v_mov_b32_e32 v10, 0
	v_cmp_ne_u16_sdwa s[8:9], v16, v10 src0_sel:BYTE_3 src1_sel:DWORD
	s_andn2_b64 s[4:5], s[4:5], exec
	s_and_b64 s[8:9], s[8:9], exec
	s_or_b64 s[4:5], s[4:5], s[8:9]
	s_or_b64 exec, exec, s[6:7]
	s_and_saveexec_b64 s[6:7], s[4:5]
	s_cbranch_execnz .LBB54_603
	s_branch .LBB54_604
.LBB54_2653:
	s_movk_i32 s4, 0x80
	v_cmp_eq_u16_sdwa s[12:13], v12, s4 src0_sel:BYTE_3 src1_sel:DWORD
	s_mov_b64 s[4:5], -1
                                        ; implicit-def: $sgpr10
	s_and_saveexec_b64 s[8:9], s[12:13]
; %bb.2654:
	s_mov_b32 s10, 0x7f800001
	s_xor_b64 s[4:5], exec, -1
; %bb.2655:
	s_or_b64 exec, exec, s[8:9]
	s_and_b64 s[4:5], s[4:5], exec
	s_or_saveexec_b64 s[6:7], s[6:7]
	v_mov_b32_e32 v11, s10
	s_xor_b64 exec, exec, s[6:7]
	s_cbranch_execz .LBB54_606
.LBB54_2656:
	v_mov_b32_e32 v11, 0
	v_cmp_ne_u16_sdwa s[8:9], v12, v11 src0_sel:BYTE_3 src1_sel:DWORD
	s_andn2_b64 s[4:5], s[4:5], exec
	s_and_b64 s[8:9], s[8:9], exec
	s_or_b64 s[4:5], s[4:5], s[8:9]
	s_or_b64 exec, exec, s[6:7]
	s_and_saveexec_b64 s[6:7], s[4:5]
	s_cbranch_execnz .LBB54_607
	s_branch .LBB54_608
.LBB54_2657:
	s_movk_i32 s4, 0x80
	v_cmp_eq_u16_sdwa s[12:13], v17, s4 src0_sel:BYTE_0 src1_sel:DWORD
	s_mov_b64 s[4:5], -1
                                        ; implicit-def: $sgpr10
	s_and_saveexec_b64 s[8:9], s[12:13]
; %bb.2658:
	s_mov_b32 s10, 0x7f800001
	s_xor_b64 s[4:5], exec, -1
; %bb.2659:
	s_or_b64 exec, exec, s[8:9]
	s_and_b64 s[4:5], s[4:5], exec
	s_or_saveexec_b64 s[6:7], s[6:7]
	v_mov_b32_e32 v10, s10
	s_xor_b64 exec, exec, s[6:7]
	s_cbranch_execz .LBB54_610
.LBB54_2660:
	v_mov_b32_e32 v10, 0
	v_cmp_ne_u16_sdwa s[8:9], v17, v10 src0_sel:BYTE_0 src1_sel:DWORD
	s_andn2_b64 s[4:5], s[4:5], exec
	s_and_b64 s[8:9], s[8:9], exec
	s_or_b64 s[4:5], s[4:5], s[8:9]
	s_or_b64 exec, exec, s[6:7]
	s_and_saveexec_b64 s[6:7], s[4:5]
	s_cbranch_execnz .LBB54_611
	s_branch .LBB54_612
.LBB54_2661:
	s_movk_i32 s4, 0x80
	v_cmp_eq_u16_sdwa s[12:13], v13, s4 src0_sel:BYTE_0 src1_sel:DWORD
	s_mov_b64 s[4:5], -1
                                        ; implicit-def: $sgpr10
	s_and_saveexec_b64 s[8:9], s[12:13]
; %bb.2662:
	s_mov_b32 s10, 0x7f800001
	s_xor_b64 s[4:5], exec, -1
; %bb.2663:
	s_or_b64 exec, exec, s[8:9]
	s_and_b64 s[4:5], s[4:5], exec
	s_or_saveexec_b64 s[6:7], s[6:7]
	v_mov_b32_e32 v11, s10
	s_xor_b64 exec, exec, s[6:7]
	s_cbranch_execz .LBB54_614
.LBB54_2664:
	v_mov_b32_e32 v11, 0
	v_cmp_ne_u16_sdwa s[8:9], v13, v11 src0_sel:BYTE_0 src1_sel:DWORD
	s_andn2_b64 s[4:5], s[4:5], exec
	s_and_b64 s[8:9], s[8:9], exec
	s_or_b64 s[4:5], s[4:5], s[8:9]
	s_or_b64 exec, exec, s[6:7]
	s_and_saveexec_b64 s[6:7], s[4:5]
	s_cbranch_execnz .LBB54_615
	s_branch .LBB54_616
.LBB54_2665:
	s_movk_i32 s4, 0x80
	v_cmp_eq_u16_sdwa s[12:13], v11, s4 src0_sel:BYTE_0 src1_sel:DWORD
	s_mov_b64 s[4:5], -1
                                        ; implicit-def: $sgpr10
	s_and_saveexec_b64 s[8:9], s[12:13]
; %bb.2666:
	s_mov_b32 s10, 0x7f800001
	s_xor_b64 s[4:5], exec, -1
; %bb.2667:
	s_or_b64 exec, exec, s[8:9]
	s_and_b64 s[4:5], s[4:5], exec
	s_or_saveexec_b64 s[6:7], s[6:7]
	v_mov_b32_e32 v10, s10
	s_xor_b64 exec, exec, s[6:7]
	s_cbranch_execz .LBB54_618
.LBB54_2668:
	v_mov_b32_e32 v10, 0
	v_cmp_ne_u16_sdwa s[8:9], v11, v10 src0_sel:BYTE_0 src1_sel:DWORD
	s_andn2_b64 s[4:5], s[4:5], exec
	s_and_b64 s[8:9], s[8:9], exec
	s_or_b64 s[4:5], s[4:5], s[8:9]
	s_or_b64 exec, exec, s[6:7]
	s_and_saveexec_b64 s[6:7], s[4:5]
	s_cbranch_execnz .LBB54_619
	s_branch .LBB54_620
.LBB54_2669:
	s_movk_i32 s4, 0x80
	v_cmp_eq_u16_sdwa s[12:13], v11, s4 src0_sel:BYTE_0 src1_sel:DWORD
	s_mov_b64 s[4:5], -1
                                        ; implicit-def: $sgpr10
	s_and_saveexec_b64 s[8:9], s[12:13]
; %bb.2670:
	s_mov_b32 s10, 0x7f800001
	s_xor_b64 s[4:5], exec, -1
; %bb.2671:
	s_or_b64 exec, exec, s[8:9]
	s_and_b64 s[4:5], s[4:5], exec
	s_or_saveexec_b64 s[6:7], s[6:7]
	v_mov_b32_e32 v12, s10
	s_xor_b64 exec, exec, s[6:7]
	s_cbranch_execz .LBB54_622
.LBB54_2672:
	v_mov_b32_e32 v12, 0
	v_cmp_ne_u16_sdwa s[8:9], v11, v12 src0_sel:BYTE_0 src1_sel:DWORD
	s_andn2_b64 s[4:5], s[4:5], exec
	s_and_b64 s[8:9], s[8:9], exec
	s_or_b64 s[4:5], s[4:5], s[8:9]
	s_or_b64 exec, exec, s[6:7]
	s_and_saveexec_b64 s[6:7], s[4:5]
	s_cbranch_execnz .LBB54_623
	s_branch .LBB54_624
.LBB54_2673:
	s_movk_i32 s4, 0x80
	v_cmp_eq_u16_e32 vcc, s4, v11
	s_mov_b64 s[4:5], -1
                                        ; implicit-def: $sgpr10
	s_and_saveexec_b64 s[8:9], vcc
; %bb.2674:
	s_mov_b32 s10, 0x7f800001
	s_xor_b64 s[4:5], exec, -1
; %bb.2675:
	s_or_b64 exec, exec, s[8:9]
	s_and_b64 s[4:5], s[4:5], exec
                                        ; implicit-def: $vgpr11
	s_or_saveexec_b64 s[6:7], s[6:7]
	v_mov_b32_e32 v10, s10
	s_xor_b64 exec, exec, s[6:7]
	s_cbranch_execz .LBB54_626
.LBB54_2676:
	v_cmp_ne_u16_e32 vcc, 0, v11
	s_andn2_b64 s[4:5], s[4:5], exec
	s_and_b64 s[8:9], vcc, exec
	v_mov_b32_e32 v10, 0
	s_or_b64 s[4:5], s[4:5], s[8:9]
	s_or_b64 exec, exec, s[6:7]
	s_and_saveexec_b64 s[6:7], s[4:5]
	s_cbranch_execnz .LBB54_627
	s_branch .LBB54_628
.LBB54_2677:
	s_movk_i32 s4, 0x80
	v_cmp_eq_u16_e32 vcc, s4, v11
	s_mov_b64 s[4:5], -1
                                        ; implicit-def: $sgpr10
	s_and_saveexec_b64 s[8:9], vcc
; %bb.2678:
	s_mov_b32 s10, 0x7f800001
	s_xor_b64 s[4:5], exec, -1
; %bb.2679:
	s_or_b64 exec, exec, s[8:9]
	s_and_b64 s[4:5], s[4:5], exec
                                        ; implicit-def: $vgpr11
	s_or_saveexec_b64 s[6:7], s[6:7]
	v_mov_b32_e32 v12, s10
	s_xor_b64 exec, exec, s[6:7]
	s_cbranch_execz .LBB54_630
.LBB54_2680:
	v_cmp_ne_u16_e32 vcc, 0, v11
	s_andn2_b64 s[4:5], s[4:5], exec
	s_and_b64 s[8:9], vcc, exec
	v_mov_b32_e32 v12, 0
	s_or_b64 s[4:5], s[4:5], s[8:9]
	s_or_b64 exec, exec, s[6:7]
	s_and_saveexec_b64 s[6:7], s[4:5]
	s_cbranch_execnz .LBB54_631
	s_branch .LBB54_632
.LBB54_2681:
	s_movk_i32 s4, 0x80
	v_cmp_eq_u16_sdwa s[12:13], v17, s4 src0_sel:BYTE_3 src1_sel:DWORD
	s_mov_b64 s[4:5], -1
                                        ; implicit-def: $sgpr10
	s_and_saveexec_b64 s[8:9], s[12:13]
; %bb.2682:
	s_mov_b32 s10, 0x7f800001
	s_xor_b64 s[4:5], exec, -1
; %bb.2683:
	s_or_b64 exec, exec, s[8:9]
	s_and_b64 s[4:5], s[4:5], exec
	s_or_saveexec_b64 s[6:7], s[6:7]
	v_mov_b32_e32 v10, s10
	s_xor_b64 exec, exec, s[6:7]
	s_cbranch_execz .LBB54_634
.LBB54_2684:
	v_mov_b32_e32 v10, 0
	v_cmp_ne_u16_sdwa s[8:9], v17, v10 src0_sel:BYTE_3 src1_sel:DWORD
	s_andn2_b64 s[4:5], s[4:5], exec
	s_and_b64 s[8:9], s[8:9], exec
	s_or_b64 s[4:5], s[4:5], s[8:9]
	s_or_b64 exec, exec, s[6:7]
	s_and_saveexec_b64 s[6:7], s[4:5]
	s_cbranch_execnz .LBB54_635
	s_branch .LBB54_636
.LBB54_2685:
	s_movk_i32 s4, 0x80
	v_cmp_eq_u16_sdwa s[12:13], v13, s4 src0_sel:BYTE_3 src1_sel:DWORD
	s_mov_b64 s[4:5], -1
                                        ; implicit-def: $sgpr10
	s_and_saveexec_b64 s[8:9], s[12:13]
; %bb.2686:
	s_mov_b32 s10, 0x7f800001
	s_xor_b64 s[4:5], exec, -1
; %bb.2687:
	s_or_b64 exec, exec, s[8:9]
	s_and_b64 s[4:5], s[4:5], exec
	s_or_saveexec_b64 s[6:7], s[6:7]
	v_mov_b32_e32 v11, s10
	s_xor_b64 exec, exec, s[6:7]
	s_cbranch_execz .LBB54_638
.LBB54_2688:
	v_mov_b32_e32 v11, 0
	v_cmp_ne_u16_sdwa s[8:9], v13, v11 src0_sel:BYTE_3 src1_sel:DWORD
	s_andn2_b64 s[4:5], s[4:5], exec
	s_and_b64 s[8:9], s[8:9], exec
	s_or_b64 s[4:5], s[4:5], s[8:9]
	s_or_b64 exec, exec, s[6:7]
	s_and_saveexec_b64 s[6:7], s[4:5]
	s_cbranch_execnz .LBB54_639
	s_branch .LBB54_640
.LBB54_2689:
	s_movk_i32 s4, 0x80
	v_cmp_eq_u16_sdwa s[12:13], v6, s4 src0_sel:BYTE_0 src1_sel:DWORD
	s_mov_b64 s[4:5], -1
                                        ; implicit-def: $sgpr10
	s_and_saveexec_b64 s[8:9], s[12:13]
; %bb.2690:
	s_mov_b32 s10, 0x7f800001
	s_xor_b64 s[4:5], exec, -1
; %bb.2691:
	s_or_b64 exec, exec, s[8:9]
	s_and_b64 s[4:5], s[4:5], exec
	s_or_saveexec_b64 s[6:7], s[6:7]
	v_mov_b32_e32 v10, s10
	s_xor_b64 exec, exec, s[6:7]
	s_cbranch_execz .LBB54_642
.LBB54_2692:
	v_mov_b32_e32 v10, 0
	v_cmp_ne_u16_sdwa s[8:9], v6, v10 src0_sel:BYTE_0 src1_sel:DWORD
	s_andn2_b64 s[4:5], s[4:5], exec
	s_and_b64 s[8:9], s[8:9], exec
	s_or_b64 s[4:5], s[4:5], s[8:9]
	s_or_b64 exec, exec, s[6:7]
	s_and_saveexec_b64 s[6:7], s[4:5]
	s_cbranch_execnz .LBB54_643
	s_branch .LBB54_644
.LBB54_2693:
	s_movk_i32 s4, 0x80
	v_cmp_eq_u16_sdwa s[12:13], v2, s4 src0_sel:BYTE_0 src1_sel:DWORD
	s_mov_b64 s[4:5], -1
                                        ; implicit-def: $sgpr10
	s_and_saveexec_b64 s[8:9], s[12:13]
; %bb.2694:
	s_mov_b32 s10, 0x7f800001
	s_xor_b64 s[4:5], exec, -1
; %bb.2695:
	s_or_b64 exec, exec, s[8:9]
	s_and_b64 s[4:5], s[4:5], exec
	s_or_saveexec_b64 s[6:7], s[6:7]
	v_mov_b32_e32 v11, s10
	s_xor_b64 exec, exec, s[6:7]
	s_cbranch_execz .LBB54_646
.LBB54_2696:
	v_mov_b32_e32 v11, 0
	v_cmp_ne_u16_sdwa s[8:9], v2, v11 src0_sel:BYTE_0 src1_sel:DWORD
	s_andn2_b64 s[4:5], s[4:5], exec
	s_and_b64 s[8:9], s[8:9], exec
	s_or_b64 s[4:5], s[4:5], s[8:9]
	s_or_b64 exec, exec, s[6:7]
	s_and_saveexec_b64 s[6:7], s[4:5]
	s_cbranch_execnz .LBB54_647
	s_branch .LBB54_648
.LBB54_2697:
	s_movk_i32 s4, 0x80
	v_cmp_eq_u16_sdwa s[12:13], v11, s4 src0_sel:BYTE_0 src1_sel:DWORD
	s_mov_b64 s[4:5], -1
                                        ; implicit-def: $sgpr10
	s_and_saveexec_b64 s[8:9], s[12:13]
; %bb.2698:
	s_mov_b32 s10, 0x7f800001
	s_xor_b64 s[4:5], exec, -1
; %bb.2699:
	s_or_b64 exec, exec, s[8:9]
	s_and_b64 s[4:5], s[4:5], exec
	s_or_saveexec_b64 s[6:7], s[6:7]
	v_mov_b32_e32 v10, s10
	s_xor_b64 exec, exec, s[6:7]
	s_cbranch_execz .LBB54_650
.LBB54_2700:
	v_mov_b32_e32 v10, 0
	v_cmp_ne_u16_sdwa s[8:9], v11, v10 src0_sel:BYTE_0 src1_sel:DWORD
	s_andn2_b64 s[4:5], s[4:5], exec
	s_and_b64 s[8:9], s[8:9], exec
	s_or_b64 s[4:5], s[4:5], s[8:9]
	s_or_b64 exec, exec, s[6:7]
	s_and_saveexec_b64 s[6:7], s[4:5]
	s_cbranch_execnz .LBB54_651
	s_branch .LBB54_652
.LBB54_2701:
	s_movk_i32 s4, 0x80
	v_cmp_eq_u16_sdwa s[12:13], v11, s4 src0_sel:BYTE_0 src1_sel:DWORD
	s_mov_b64 s[4:5], -1
                                        ; implicit-def: $sgpr10
	s_and_saveexec_b64 s[8:9], s[12:13]
; %bb.2702:
	s_mov_b32 s10, 0x7f800001
	s_xor_b64 s[4:5], exec, -1
; %bb.2703:
	s_or_b64 exec, exec, s[8:9]
	s_and_b64 s[4:5], s[4:5], exec
	s_or_saveexec_b64 s[6:7], s[6:7]
	v_mov_b32_e32 v12, s10
	s_xor_b64 exec, exec, s[6:7]
	s_cbranch_execz .LBB54_654
.LBB54_2704:
	v_mov_b32_e32 v12, 0
	v_cmp_ne_u16_sdwa s[8:9], v11, v12 src0_sel:BYTE_0 src1_sel:DWORD
	s_andn2_b64 s[4:5], s[4:5], exec
	s_and_b64 s[8:9], s[8:9], exec
	s_or_b64 s[4:5], s[4:5], s[8:9]
	s_or_b64 exec, exec, s[6:7]
	s_and_saveexec_b64 s[6:7], s[4:5]
	s_cbranch_execnz .LBB54_655
	s_branch .LBB54_656
.LBB54_2705:
	s_movk_i32 s4, 0x80
	v_cmp_eq_u16_e32 vcc, s4, v11
	s_mov_b64 s[4:5], -1
                                        ; implicit-def: $sgpr10
	s_and_saveexec_b64 s[8:9], vcc
; %bb.2706:
	s_mov_b32 s10, 0x7f800001
	s_xor_b64 s[4:5], exec, -1
; %bb.2707:
	s_or_b64 exec, exec, s[8:9]
	s_and_b64 s[4:5], s[4:5], exec
                                        ; implicit-def: $vgpr11
	s_or_saveexec_b64 s[6:7], s[6:7]
	v_mov_b32_e32 v10, s10
	s_xor_b64 exec, exec, s[6:7]
	s_cbranch_execz .LBB54_658
.LBB54_2708:
	v_cmp_ne_u16_e32 vcc, 0, v11
	s_andn2_b64 s[4:5], s[4:5], exec
	s_and_b64 s[8:9], vcc, exec
	v_mov_b32_e32 v10, 0
	s_or_b64 s[4:5], s[4:5], s[8:9]
	s_or_b64 exec, exec, s[6:7]
	s_and_saveexec_b64 s[6:7], s[4:5]
	s_cbranch_execnz .LBB54_659
	s_branch .LBB54_660
.LBB54_2709:
	s_movk_i32 s4, 0x80
	v_cmp_eq_u16_e32 vcc, s4, v11
	s_mov_b64 s[4:5], -1
                                        ; implicit-def: $sgpr10
	s_and_saveexec_b64 s[8:9], vcc
; %bb.2710:
	s_mov_b32 s10, 0x7f800001
	s_xor_b64 s[4:5], exec, -1
; %bb.2711:
	s_or_b64 exec, exec, s[8:9]
	s_and_b64 s[4:5], s[4:5], exec
                                        ; implicit-def: $vgpr11
	s_or_saveexec_b64 s[6:7], s[6:7]
	v_mov_b32_e32 v12, s10
	s_xor_b64 exec, exec, s[6:7]
	s_cbranch_execz .LBB54_662
.LBB54_2712:
	v_cmp_ne_u16_e32 vcc, 0, v11
	s_andn2_b64 s[4:5], s[4:5], exec
	s_and_b64 s[8:9], vcc, exec
	v_mov_b32_e32 v12, 0
	s_or_b64 s[4:5], s[4:5], s[8:9]
	s_or_b64 exec, exec, s[6:7]
	s_and_saveexec_b64 s[6:7], s[4:5]
	s_cbranch_execnz .LBB54_663
	s_branch .LBB54_664
.LBB54_2713:
	s_movk_i32 s4, 0x80
	v_cmp_eq_u16_sdwa s[12:13], v6, s4 src0_sel:BYTE_3 src1_sel:DWORD
	s_mov_b64 s[4:5], -1
                                        ; implicit-def: $sgpr10
	s_and_saveexec_b64 s[8:9], s[12:13]
; %bb.2714:
	s_mov_b32 s10, 0x7f800001
	s_xor_b64 s[4:5], exec, -1
; %bb.2715:
	s_or_b64 exec, exec, s[8:9]
	s_and_b64 s[4:5], s[4:5], exec
	s_or_saveexec_b64 s[6:7], s[6:7]
	v_mov_b32_e32 v10, s10
	s_xor_b64 exec, exec, s[6:7]
	s_cbranch_execz .LBB54_666
.LBB54_2716:
	v_mov_b32_e32 v10, 0
	v_cmp_ne_u16_sdwa s[8:9], v6, v10 src0_sel:BYTE_3 src1_sel:DWORD
	s_andn2_b64 s[4:5], s[4:5], exec
	s_and_b64 s[8:9], s[8:9], exec
	s_or_b64 s[4:5], s[4:5], s[8:9]
	s_or_b64 exec, exec, s[6:7]
	s_and_saveexec_b64 s[6:7], s[4:5]
	s_cbranch_execnz .LBB54_667
	s_branch .LBB54_668
.LBB54_2717:
	s_movk_i32 s4, 0x80
	v_cmp_eq_u16_sdwa s[12:13], v2, s4 src0_sel:BYTE_3 src1_sel:DWORD
	s_mov_b64 s[4:5], -1
                                        ; implicit-def: $sgpr10
	s_and_saveexec_b64 s[8:9], s[12:13]
; %bb.2718:
	s_mov_b32 s10, 0x7f800001
	s_xor_b64 s[4:5], exec, -1
; %bb.2719:
	s_or_b64 exec, exec, s[8:9]
	s_and_b64 s[4:5], s[4:5], exec
	s_or_saveexec_b64 s[6:7], s[6:7]
	v_mov_b32_e32 v6, s10
	s_xor_b64 exec, exec, s[6:7]
	s_cbranch_execz .LBB54_670
.LBB54_2720:
	v_mov_b32_e32 v6, 0
	v_cmp_ne_u16_sdwa s[8:9], v2, v6 src0_sel:BYTE_3 src1_sel:DWORD
	s_andn2_b64 s[4:5], s[4:5], exec
	s_and_b64 s[8:9], s[8:9], exec
	s_or_b64 s[4:5], s[4:5], s[8:9]
	s_or_b64 exec, exec, s[6:7]
	s_and_saveexec_b64 s[6:7], s[4:5]
	s_cbranch_execnz .LBB54_671
	s_branch .LBB54_672
.LBB54_2721:
	s_movk_i32 s4, 0x80
	v_cmp_eq_u16_sdwa s[12:13], v7, s4 src0_sel:BYTE_0 src1_sel:DWORD
	s_mov_b64 s[4:5], -1
                                        ; implicit-def: $sgpr10
	s_and_saveexec_b64 s[8:9], s[12:13]
; %bb.2722:
	s_mov_b32 s10, 0x7f800001
	s_xor_b64 s[4:5], exec, -1
; %bb.2723:
	s_or_b64 exec, exec, s[8:9]
	s_and_b64 s[4:5], s[4:5], exec
	s_or_saveexec_b64 s[6:7], s[6:7]
	v_mov_b32_e32 v2, s10
	s_xor_b64 exec, exec, s[6:7]
	s_cbranch_execz .LBB54_674
.LBB54_2724:
	v_mov_b32_e32 v2, 0
	v_cmp_ne_u16_sdwa s[8:9], v7, v2 src0_sel:BYTE_0 src1_sel:DWORD
	s_andn2_b64 s[4:5], s[4:5], exec
	s_and_b64 s[8:9], s[8:9], exec
	s_or_b64 s[4:5], s[4:5], s[8:9]
	s_or_b64 exec, exec, s[6:7]
	s_and_saveexec_b64 s[6:7], s[4:5]
	s_cbranch_execnz .LBB54_675
	s_branch .LBB54_676
.LBB54_2725:
	s_movk_i32 s4, 0x80
	v_cmp_eq_u16_sdwa s[12:13], v3, s4 src0_sel:BYTE_0 src1_sel:DWORD
	s_mov_b64 s[4:5], -1
                                        ; implicit-def: $sgpr10
	s_and_saveexec_b64 s[8:9], s[12:13]
; %bb.2726:
	s_mov_b32 s10, 0x7f800001
	s_xor_b64 s[4:5], exec, -1
; %bb.2727:
	s_or_b64 exec, exec, s[8:9]
	s_and_b64 s[4:5], s[4:5], exec
	s_or_saveexec_b64 s[6:7], s[6:7]
	v_mov_b32_e32 v6, s10
	s_xor_b64 exec, exec, s[6:7]
	s_cbranch_execz .LBB54_678
.LBB54_2728:
	v_mov_b32_e32 v6, 0
	v_cmp_ne_u16_sdwa s[8:9], v3, v6 src0_sel:BYTE_0 src1_sel:DWORD
	s_andn2_b64 s[4:5], s[4:5], exec
	s_and_b64 s[8:9], s[8:9], exec
	s_or_b64 s[4:5], s[4:5], s[8:9]
	s_or_b64 exec, exec, s[6:7]
	s_and_saveexec_b64 s[6:7], s[4:5]
	s_cbranch_execnz .LBB54_679
	s_branch .LBB54_680
.LBB54_2729:
	s_movk_i32 s4, 0x80
	v_cmp_eq_u16_sdwa s[12:13], v6, s4 src0_sel:BYTE_0 src1_sel:DWORD
	s_mov_b64 s[4:5], -1
                                        ; implicit-def: $sgpr10
	s_and_saveexec_b64 s[8:9], s[12:13]
; %bb.2730:
	s_mov_b32 s10, 0x7f800001
	s_xor_b64 s[4:5], exec, -1
; %bb.2731:
	s_or_b64 exec, exec, s[8:9]
	s_and_b64 s[4:5], s[4:5], exec
	s_or_saveexec_b64 s[6:7], s[6:7]
	v_mov_b32_e32 v2, s10
	s_xor_b64 exec, exec, s[6:7]
	s_cbranch_execz .LBB54_682
.LBB54_2732:
	v_mov_b32_e32 v2, 0
	v_cmp_ne_u16_sdwa s[8:9], v6, v2 src0_sel:BYTE_0 src1_sel:DWORD
	s_andn2_b64 s[4:5], s[4:5], exec
	s_and_b64 s[8:9], s[8:9], exec
	s_or_b64 s[4:5], s[4:5], s[8:9]
	s_or_b64 exec, exec, s[6:7]
	s_and_saveexec_b64 s[6:7], s[4:5]
	s_cbranch_execnz .LBB54_683
	s_branch .LBB54_684
.LBB54_2733:
	s_movk_i32 s4, 0x80
	v_cmp_eq_u16_sdwa s[12:13], v6, s4 src0_sel:BYTE_0 src1_sel:DWORD
	s_mov_b64 s[4:5], -1
                                        ; implicit-def: $sgpr10
	s_and_saveexec_b64 s[8:9], s[12:13]
; %bb.2734:
	s_mov_b32 s10, 0x7f800001
	s_xor_b64 s[4:5], exec, -1
; %bb.2735:
	s_or_b64 exec, exec, s[8:9]
	s_and_b64 s[4:5], s[4:5], exec
	s_or_saveexec_b64 s[6:7], s[6:7]
	v_mov_b32_e32 v10, s10
	s_xor_b64 exec, exec, s[6:7]
	s_cbranch_execz .LBB54_686
.LBB54_2736:
	v_mov_b32_e32 v10, 0
	v_cmp_ne_u16_sdwa s[8:9], v6, v10 src0_sel:BYTE_0 src1_sel:DWORD
	s_andn2_b64 s[4:5], s[4:5], exec
	s_and_b64 s[8:9], s[8:9], exec
	s_or_b64 s[4:5], s[4:5], s[8:9]
	s_or_b64 exec, exec, s[6:7]
	s_and_saveexec_b64 s[6:7], s[4:5]
	s_cbranch_execnz .LBB54_687
	s_branch .LBB54_688
.LBB54_2737:
	s_movk_i32 s4, 0x80
	v_cmp_eq_u16_e32 vcc, s4, v6
	s_mov_b64 s[4:5], -1
                                        ; implicit-def: $sgpr10
	s_and_saveexec_b64 s[8:9], vcc
; %bb.2738:
	s_mov_b32 s10, 0x7f800001
	s_xor_b64 s[4:5], exec, -1
; %bb.2739:
	s_or_b64 exec, exec, s[8:9]
	s_and_b64 s[4:5], s[4:5], exec
                                        ; implicit-def: $vgpr6
	s_or_saveexec_b64 s[6:7], s[6:7]
	v_mov_b32_e32 v2, s10
	s_xor_b64 exec, exec, s[6:7]
	s_cbranch_execz .LBB54_690
.LBB54_2740:
	v_cmp_ne_u16_e32 vcc, 0, v6
	s_andn2_b64 s[4:5], s[4:5], exec
	s_and_b64 s[8:9], vcc, exec
	v_mov_b32_e32 v2, 0
	s_or_b64 s[4:5], s[4:5], s[8:9]
	s_or_b64 exec, exec, s[6:7]
	s_and_saveexec_b64 s[6:7], s[4:5]
	s_cbranch_execnz .LBB54_691
	s_branch .LBB54_692
.LBB54_2741:
	s_movk_i32 s4, 0x80
	v_cmp_eq_u16_e32 vcc, s4, v6
	s_mov_b64 s[4:5], -1
                                        ; implicit-def: $sgpr10
	s_and_saveexec_b64 s[8:9], vcc
; %bb.2742:
	s_mov_b32 s10, 0x7f800001
	s_xor_b64 s[4:5], exec, -1
; %bb.2743:
	s_or_b64 exec, exec, s[8:9]
	s_and_b64 s[4:5], s[4:5], exec
                                        ; implicit-def: $vgpr6
	s_or_saveexec_b64 s[6:7], s[6:7]
	v_mov_b32_e32 v10, s10
	s_xor_b64 exec, exec, s[6:7]
	s_cbranch_execz .LBB54_694
.LBB54_2744:
	v_cmp_ne_u16_e32 vcc, 0, v6
	s_andn2_b64 s[4:5], s[4:5], exec
	s_and_b64 s[8:9], vcc, exec
	v_mov_b32_e32 v10, 0
	s_or_b64 s[4:5], s[4:5], s[8:9]
	s_or_b64 exec, exec, s[6:7]
	s_and_saveexec_b64 s[6:7], s[4:5]
	s_cbranch_execnz .LBB54_695
	s_branch .LBB54_696
.LBB54_2745:
	s_movk_i32 s4, 0x80
	v_cmp_eq_u16_sdwa s[12:13], v7, s4 src0_sel:BYTE_3 src1_sel:DWORD
	s_mov_b64 s[4:5], -1
                                        ; implicit-def: $sgpr10
	s_and_saveexec_b64 s[8:9], s[12:13]
; %bb.2746:
	s_mov_b32 s10, 0x7f800001
	s_xor_b64 s[4:5], exec, -1
; %bb.2747:
	s_or_b64 exec, exec, s[8:9]
	s_and_b64 s[4:5], s[4:5], exec
	s_or_saveexec_b64 s[6:7], s[6:7]
	v_mov_b32_e32 v2, s10
	s_xor_b64 exec, exec, s[6:7]
	s_cbranch_execz .LBB54_698
.LBB54_2748:
	v_mov_b32_e32 v2, 0
	v_cmp_ne_u16_sdwa s[8:9], v7, v2 src0_sel:BYTE_3 src1_sel:DWORD
	s_andn2_b64 s[4:5], s[4:5], exec
	s_and_b64 s[8:9], s[8:9], exec
	s_or_b64 s[4:5], s[4:5], s[8:9]
	s_or_b64 exec, exec, s[6:7]
	s_and_saveexec_b64 s[6:7], s[4:5]
	s_cbranch_execnz .LBB54_699
	s_branch .LBB54_700
.LBB54_2749:
	s_movk_i32 s4, 0x80
	v_cmp_eq_u16_sdwa s[12:13], v3, s4 src0_sel:BYTE_3 src1_sel:DWORD
	s_mov_b64 s[4:5], -1
                                        ; implicit-def: $sgpr10
	s_and_saveexec_b64 s[8:9], s[12:13]
; %bb.2750:
	s_mov_b32 s10, 0x7f800001
	s_xor_b64 s[4:5], exec, -1
; %bb.2751:
	s_or_b64 exec, exec, s[8:9]
	s_and_b64 s[4:5], s[4:5], exec
	s_or_saveexec_b64 s[6:7], s[6:7]
	v_mov_b32_e32 v6, s10
	s_xor_b64 exec, exec, s[6:7]
	s_cbranch_execz .LBB54_702
.LBB54_2752:
	v_mov_b32_e32 v6, 0
	v_cmp_ne_u16_sdwa s[8:9], v3, v6 src0_sel:BYTE_3 src1_sel:DWORD
	s_andn2_b64 s[4:5], s[4:5], exec
	s_and_b64 s[8:9], s[8:9], exec
	s_or_b64 s[4:5], s[4:5], s[8:9]
	s_or_b64 exec, exec, s[6:7]
	s_and_saveexec_b64 s[6:7], s[4:5]
	s_cbranch_execnz .LBB54_703
	s_branch .LBB54_704
.LBB54_2753:
	s_movk_i32 s4, 0x80
	v_cmp_eq_u16_sdwa s[12:13], v8, s4 src0_sel:BYTE_0 src1_sel:DWORD
	s_mov_b64 s[4:5], -1
                                        ; implicit-def: $sgpr10
	s_and_saveexec_b64 s[8:9], s[12:13]
; %bb.2754:
	s_mov_b32 s10, 0x7f800001
	s_xor_b64 s[4:5], exec, -1
; %bb.2755:
	s_or_b64 exec, exec, s[8:9]
	s_and_b64 s[4:5], s[4:5], exec
	s_or_saveexec_b64 s[6:7], s[6:7]
	v_mov_b32_e32 v2, s10
	s_xor_b64 exec, exec, s[6:7]
	s_cbranch_execz .LBB54_706
.LBB54_2756:
	v_mov_b32_e32 v2, 0
	v_cmp_ne_u16_sdwa s[8:9], v8, v2 src0_sel:BYTE_0 src1_sel:DWORD
	s_andn2_b64 s[4:5], s[4:5], exec
	s_and_b64 s[8:9], s[8:9], exec
	s_or_b64 s[4:5], s[4:5], s[8:9]
	s_or_b64 exec, exec, s[6:7]
	s_and_saveexec_b64 s[6:7], s[4:5]
	s_cbranch_execnz .LBB54_707
	s_branch .LBB54_708
.LBB54_2757:
	s_movk_i32 s4, 0x80
	v_cmp_eq_u16_sdwa s[12:13], v4, s4 src0_sel:BYTE_0 src1_sel:DWORD
	s_mov_b64 s[4:5], -1
                                        ; implicit-def: $sgpr10
	s_and_saveexec_b64 s[8:9], s[12:13]
; %bb.2758:
	s_mov_b32 s10, 0x7f800001
	s_xor_b64 s[4:5], exec, -1
; %bb.2759:
	s_or_b64 exec, exec, s[8:9]
	s_and_b64 s[4:5], s[4:5], exec
	s_or_saveexec_b64 s[6:7], s[6:7]
	v_mov_b32_e32 v3, s10
	s_xor_b64 exec, exec, s[6:7]
	s_cbranch_execz .LBB54_710
.LBB54_2760:
	v_mov_b32_e32 v3, 0
	v_cmp_ne_u16_sdwa s[8:9], v4, v3 src0_sel:BYTE_0 src1_sel:DWORD
	s_andn2_b64 s[4:5], s[4:5], exec
	s_and_b64 s[8:9], s[8:9], exec
	s_or_b64 s[4:5], s[4:5], s[8:9]
	s_or_b64 exec, exec, s[6:7]
	s_and_saveexec_b64 s[6:7], s[4:5]
	s_cbranch_execnz .LBB54_711
	s_branch .LBB54_712
.LBB54_2761:
	s_movk_i32 s4, 0x80
	v_cmp_eq_u16_sdwa s[12:13], v3, s4 src0_sel:BYTE_0 src1_sel:DWORD
	s_mov_b64 s[4:5], -1
                                        ; implicit-def: $sgpr10
	s_and_saveexec_b64 s[8:9], s[12:13]
; %bb.2762:
	s_mov_b32 s10, 0x7f800001
	s_xor_b64 s[4:5], exec, -1
; %bb.2763:
	s_or_b64 exec, exec, s[8:9]
	s_and_b64 s[4:5], s[4:5], exec
	s_or_saveexec_b64 s[6:7], s[6:7]
	v_mov_b32_e32 v2, s10
	s_xor_b64 exec, exec, s[6:7]
	s_cbranch_execz .LBB54_714
.LBB54_2764:
	v_mov_b32_e32 v2, 0
	v_cmp_ne_u16_sdwa s[8:9], v3, v2 src0_sel:BYTE_0 src1_sel:DWORD
	s_andn2_b64 s[4:5], s[4:5], exec
	s_and_b64 s[8:9], s[8:9], exec
	s_or_b64 s[4:5], s[4:5], s[8:9]
	s_or_b64 exec, exec, s[6:7]
	s_and_saveexec_b64 s[6:7], s[4:5]
	s_cbranch_execnz .LBB54_715
	s_branch .LBB54_716
.LBB54_2765:
	s_movk_i32 s4, 0x80
	v_cmp_eq_u16_sdwa s[12:13], v3, s4 src0_sel:BYTE_0 src1_sel:DWORD
	s_mov_b64 s[4:5], -1
                                        ; implicit-def: $sgpr10
	s_and_saveexec_b64 s[8:9], s[12:13]
; %bb.2766:
	s_mov_b32 s10, 0x7f800001
	s_xor_b64 s[4:5], exec, -1
; %bb.2767:
	s_or_b64 exec, exec, s[8:9]
	s_and_b64 s[4:5], s[4:5], exec
	s_or_saveexec_b64 s[6:7], s[6:7]
	v_mov_b32_e32 v6, s10
	s_xor_b64 exec, exec, s[6:7]
	s_cbranch_execz .LBB54_718
.LBB54_2768:
	v_mov_b32_e32 v6, 0
	v_cmp_ne_u16_sdwa s[8:9], v3, v6 src0_sel:BYTE_0 src1_sel:DWORD
	s_andn2_b64 s[4:5], s[4:5], exec
	s_and_b64 s[8:9], s[8:9], exec
	s_or_b64 s[4:5], s[4:5], s[8:9]
	s_or_b64 exec, exec, s[6:7]
	s_and_saveexec_b64 s[6:7], s[4:5]
	s_cbranch_execnz .LBB54_719
	s_branch .LBB54_720
.LBB54_2769:
	s_movk_i32 s4, 0x80
	v_cmp_eq_u16_e32 vcc, s4, v3
	s_mov_b64 s[4:5], -1
                                        ; implicit-def: $sgpr10
	s_and_saveexec_b64 s[8:9], vcc
; %bb.2770:
	s_mov_b32 s10, 0x7f800001
	s_xor_b64 s[4:5], exec, -1
; %bb.2771:
	s_or_b64 exec, exec, s[8:9]
	s_and_b64 s[4:5], s[4:5], exec
                                        ; implicit-def: $vgpr3
	s_or_saveexec_b64 s[6:7], s[6:7]
	v_mov_b32_e32 v2, s10
	s_xor_b64 exec, exec, s[6:7]
	s_cbranch_execz .LBB54_722
.LBB54_2772:
	v_cmp_ne_u16_e32 vcc, 0, v3
	s_andn2_b64 s[4:5], s[4:5], exec
	s_and_b64 s[8:9], vcc, exec
	v_mov_b32_e32 v2, 0
	s_or_b64 s[4:5], s[4:5], s[8:9]
	s_or_b64 exec, exec, s[6:7]
	s_and_saveexec_b64 s[6:7], s[4:5]
	s_cbranch_execnz .LBB54_723
	s_branch .LBB54_724
.LBB54_2773:
	s_movk_i32 s4, 0x80
	v_cmp_eq_u16_e32 vcc, s4, v3
	s_mov_b64 s[4:5], -1
                                        ; implicit-def: $sgpr10
	s_and_saveexec_b64 s[8:9], vcc
; %bb.2774:
	s_mov_b32 s10, 0x7f800001
	s_xor_b64 s[4:5], exec, -1
; %bb.2775:
	s_or_b64 exec, exec, s[8:9]
	s_and_b64 s[4:5], s[4:5], exec
                                        ; implicit-def: $vgpr3
	s_or_saveexec_b64 s[6:7], s[6:7]
	v_mov_b32_e32 v6, s10
	s_xor_b64 exec, exec, s[6:7]
	s_cbranch_execz .LBB54_726
.LBB54_2776:
	v_cmp_ne_u16_e32 vcc, 0, v3
	s_andn2_b64 s[4:5], s[4:5], exec
	s_and_b64 s[8:9], vcc, exec
	v_mov_b32_e32 v6, 0
	s_or_b64 s[4:5], s[4:5], s[8:9]
	s_or_b64 exec, exec, s[6:7]
	s_and_saveexec_b64 s[6:7], s[4:5]
	s_cbranch_execnz .LBB54_727
	s_branch .LBB54_728
.LBB54_2777:
	s_movk_i32 s4, 0x80
	v_cmp_eq_u16_sdwa s[12:13], v8, s4 src0_sel:BYTE_3 src1_sel:DWORD
	s_mov_b64 s[4:5], -1
                                        ; implicit-def: $sgpr10
	s_and_saveexec_b64 s[8:9], s[12:13]
; %bb.2778:
	s_mov_b32 s10, 0x7f800001
	s_xor_b64 s[4:5], exec, -1
; %bb.2779:
	s_or_b64 exec, exec, s[8:9]
	s_and_b64 s[4:5], s[4:5], exec
	s_or_saveexec_b64 s[6:7], s[6:7]
	v_mov_b32_e32 v2, s10
	s_xor_b64 exec, exec, s[6:7]
	s_cbranch_execz .LBB54_730
.LBB54_2780:
	v_mov_b32_e32 v2, 0
	v_cmp_ne_u16_sdwa s[8:9], v8, v2 src0_sel:BYTE_3 src1_sel:DWORD
	s_andn2_b64 s[4:5], s[4:5], exec
	s_and_b64 s[8:9], s[8:9], exec
	s_or_b64 s[4:5], s[4:5], s[8:9]
	s_or_b64 exec, exec, s[6:7]
	s_and_saveexec_b64 s[6:7], s[4:5]
	s_cbranch_execnz .LBB54_731
	s_branch .LBB54_732
.LBB54_2781:
	s_movk_i32 s4, 0x80
	v_cmp_eq_u16_sdwa s[12:13], v4, s4 src0_sel:BYTE_3 src1_sel:DWORD
	s_mov_b64 s[4:5], -1
                                        ; implicit-def: $sgpr10
	s_and_saveexec_b64 s[8:9], s[12:13]
; %bb.2782:
	s_mov_b32 s10, 0x7f800001
	s_xor_b64 s[4:5], exec, -1
; %bb.2783:
	s_or_b64 exec, exec, s[8:9]
	s_and_b64 s[4:5], s[4:5], exec
	s_or_saveexec_b64 s[6:7], s[6:7]
	v_mov_b32_e32 v3, s10
	s_xor_b64 exec, exec, s[6:7]
	s_cbranch_execz .LBB54_734
.LBB54_2784:
	v_mov_b32_e32 v3, 0
	v_cmp_ne_u16_sdwa s[8:9], v4, v3 src0_sel:BYTE_3 src1_sel:DWORD
	s_andn2_b64 s[4:5], s[4:5], exec
	s_and_b64 s[8:9], s[8:9], exec
	s_or_b64 s[4:5], s[4:5], s[8:9]
	s_or_b64 exec, exec, s[6:7]
	s_and_saveexec_b64 s[6:7], s[4:5]
	s_cbranch_execnz .LBB54_735
	s_branch .LBB54_736
.LBB54_2785:
	s_movk_i32 s4, 0x80
	v_cmp_eq_u16_sdwa s[12:13], v9, s4 src0_sel:BYTE_0 src1_sel:DWORD
	s_mov_b64 s[4:5], -1
                                        ; implicit-def: $sgpr10
	s_and_saveexec_b64 s[8:9], s[12:13]
; %bb.2786:
	s_mov_b32 s10, 0x7f800001
	s_xor_b64 s[4:5], exec, -1
; %bb.2787:
	s_or_b64 exec, exec, s[8:9]
	s_and_b64 s[4:5], s[4:5], exec
	s_or_saveexec_b64 s[6:7], s[6:7]
	v_mov_b32_e32 v2, s10
	s_xor_b64 exec, exec, s[6:7]
	s_cbranch_execz .LBB54_738
.LBB54_2788:
	v_mov_b32_e32 v2, 0
	v_cmp_ne_u16_sdwa s[8:9], v9, v2 src0_sel:BYTE_0 src1_sel:DWORD
	s_andn2_b64 s[4:5], s[4:5], exec
	s_and_b64 s[8:9], s[8:9], exec
	s_or_b64 s[4:5], s[4:5], s[8:9]
	s_or_b64 exec, exec, s[6:7]
	s_and_saveexec_b64 s[6:7], s[4:5]
	s_cbranch_execnz .LBB54_739
	s_branch .LBB54_740
.LBB54_2789:
	s_movk_i32 s4, 0x80
	v_cmp_eq_u16_sdwa s[12:13], v5, s4 src0_sel:BYTE_0 src1_sel:DWORD
	s_mov_b64 s[4:5], -1
                                        ; implicit-def: $sgpr10
	s_and_saveexec_b64 s[8:9], s[12:13]
; %bb.2790:
	s_mov_b32 s10, 0x7f800001
	s_xor_b64 s[4:5], exec, -1
; %bb.2791:
	s_or_b64 exec, exec, s[8:9]
	s_and_b64 s[4:5], s[4:5], exec
	s_or_saveexec_b64 s[6:7], s[6:7]
	v_mov_b32_e32 v3, s10
	s_xor_b64 exec, exec, s[6:7]
	s_cbranch_execz .LBB54_742
.LBB54_2792:
	v_mov_b32_e32 v3, 0
	v_cmp_ne_u16_sdwa s[8:9], v5, v3 src0_sel:BYTE_0 src1_sel:DWORD
	s_andn2_b64 s[4:5], s[4:5], exec
	s_and_b64 s[8:9], s[8:9], exec
	s_or_b64 s[4:5], s[4:5], s[8:9]
	s_or_b64 exec, exec, s[6:7]
	s_and_saveexec_b64 s[6:7], s[4:5]
	s_cbranch_execnz .LBB54_743
	s_branch .LBB54_744
.LBB54_2793:
	s_movk_i32 s4, 0x80
	v_cmp_eq_u16_sdwa s[12:13], v3, s4 src0_sel:BYTE_0 src1_sel:DWORD
	s_mov_b64 s[4:5], -1
                                        ; implicit-def: $sgpr10
	s_and_saveexec_b64 s[8:9], s[12:13]
; %bb.2794:
	s_mov_b32 s10, 0x7f800001
	s_xor_b64 s[4:5], exec, -1
; %bb.2795:
	s_or_b64 exec, exec, s[8:9]
	s_and_b64 s[4:5], s[4:5], exec
	s_or_saveexec_b64 s[6:7], s[6:7]
	v_mov_b32_e32 v2, s10
	s_xor_b64 exec, exec, s[6:7]
	s_cbranch_execz .LBB54_746
.LBB54_2796:
	v_mov_b32_e32 v2, 0
	v_cmp_ne_u16_sdwa s[8:9], v3, v2 src0_sel:BYTE_0 src1_sel:DWORD
	s_andn2_b64 s[4:5], s[4:5], exec
	s_and_b64 s[8:9], s[8:9], exec
	s_or_b64 s[4:5], s[4:5], s[8:9]
	s_or_b64 exec, exec, s[6:7]
	s_and_saveexec_b64 s[6:7], s[4:5]
	s_cbranch_execnz .LBB54_747
	s_branch .LBB54_748
.LBB54_2797:
	s_movk_i32 s4, 0x80
	v_cmp_eq_u16_sdwa s[12:13], v3, s4 src0_sel:BYTE_0 src1_sel:DWORD
	s_mov_b64 s[4:5], -1
                                        ; implicit-def: $sgpr10
	s_and_saveexec_b64 s[8:9], s[12:13]
; %bb.2798:
	s_mov_b32 s10, 0x7f800001
	s_xor_b64 s[4:5], exec, -1
; %bb.2799:
	s_or_b64 exec, exec, s[8:9]
	s_and_b64 s[4:5], s[4:5], exec
	s_or_saveexec_b64 s[6:7], s[6:7]
	v_mov_b32_e32 v4, s10
	s_xor_b64 exec, exec, s[6:7]
	s_cbranch_execz .LBB54_750
.LBB54_2800:
	v_mov_b32_e32 v4, 0
	v_cmp_ne_u16_sdwa s[8:9], v3, v4 src0_sel:BYTE_0 src1_sel:DWORD
	s_andn2_b64 s[4:5], s[4:5], exec
	s_and_b64 s[8:9], s[8:9], exec
	s_or_b64 s[4:5], s[4:5], s[8:9]
	s_or_b64 exec, exec, s[6:7]
	s_and_saveexec_b64 s[6:7], s[4:5]
	s_cbranch_execnz .LBB54_751
	s_branch .LBB54_752
.LBB54_2801:
	s_movk_i32 s4, 0x80
	v_cmp_eq_u16_e32 vcc, s4, v3
	s_mov_b64 s[4:5], -1
                                        ; implicit-def: $sgpr10
	s_and_saveexec_b64 s[8:9], vcc
; %bb.2802:
	s_mov_b32 s10, 0x7f800001
	s_xor_b64 s[4:5], exec, -1
; %bb.2803:
	s_or_b64 exec, exec, s[8:9]
	s_and_b64 s[4:5], s[4:5], exec
                                        ; implicit-def: $vgpr3
	s_or_saveexec_b64 s[6:7], s[6:7]
	v_mov_b32_e32 v2, s10
	s_xor_b64 exec, exec, s[6:7]
	s_cbranch_execz .LBB54_754
.LBB54_2804:
	v_cmp_ne_u16_e32 vcc, 0, v3
	s_andn2_b64 s[4:5], s[4:5], exec
	s_and_b64 s[8:9], vcc, exec
	v_mov_b32_e32 v2, 0
	s_or_b64 s[4:5], s[4:5], s[8:9]
	s_or_b64 exec, exec, s[6:7]
	s_and_saveexec_b64 s[6:7], s[4:5]
	s_cbranch_execnz .LBB54_755
	s_branch .LBB54_756
.LBB54_2805:
	s_movk_i32 s4, 0x80
	v_cmp_eq_u16_e32 vcc, s4, v3
	s_mov_b64 s[4:5], -1
                                        ; implicit-def: $sgpr10
	s_and_saveexec_b64 s[8:9], vcc
; %bb.2806:
	s_mov_b32 s10, 0x7f800001
	s_xor_b64 s[4:5], exec, -1
; %bb.2807:
	s_or_b64 exec, exec, s[8:9]
	s_and_b64 s[4:5], s[4:5], exec
                                        ; implicit-def: $vgpr3
	s_or_saveexec_b64 s[6:7], s[6:7]
	v_mov_b32_e32 v4, s10
	s_xor_b64 exec, exec, s[6:7]
	s_cbranch_execz .LBB54_758
.LBB54_2808:
	v_cmp_ne_u16_e32 vcc, 0, v3
	s_andn2_b64 s[4:5], s[4:5], exec
	s_and_b64 s[8:9], vcc, exec
	v_mov_b32_e32 v4, 0
	s_or_b64 s[4:5], s[4:5], s[8:9]
	s_or_b64 exec, exec, s[6:7]
	s_and_saveexec_b64 s[6:7], s[4:5]
	s_cbranch_execnz .LBB54_759
	s_branch .LBB54_760
.LBB54_2809:
	s_movk_i32 s4, 0x80
	v_cmp_eq_u16_sdwa s[12:13], v9, s4 src0_sel:BYTE_3 src1_sel:DWORD
	s_mov_b64 s[4:5], -1
                                        ; implicit-def: $sgpr10
	s_and_saveexec_b64 s[8:9], s[12:13]
; %bb.2810:
	s_mov_b32 s10, 0x7f800001
	s_xor_b64 s[4:5], exec, -1
; %bb.2811:
	s_or_b64 exec, exec, s[8:9]
	s_and_b64 s[4:5], s[4:5], exec
	s_or_saveexec_b64 s[6:7], s[6:7]
	v_mov_b32_e32 v2, s10
	s_xor_b64 exec, exec, s[6:7]
	s_cbranch_execz .LBB54_762
.LBB54_2812:
	v_mov_b32_e32 v2, 0
	v_cmp_ne_u16_sdwa s[8:9], v9, v2 src0_sel:BYTE_3 src1_sel:DWORD
	s_andn2_b64 s[4:5], s[4:5], exec
	s_and_b64 s[8:9], s[8:9], exec
	s_or_b64 s[4:5], s[4:5], s[8:9]
	s_or_b64 exec, exec, s[6:7]
	s_and_saveexec_b64 s[6:7], s[4:5]
	s_cbranch_execnz .LBB54_763
	s_branch .LBB54_764
.LBB54_2813:
	s_movk_i32 s4, 0x80
	v_cmp_eq_u16_sdwa s[12:13], v5, s4 src0_sel:BYTE_3 src1_sel:DWORD
	s_mov_b64 s[4:5], -1
                                        ; implicit-def: $sgpr10
	s_and_saveexec_b64 s[8:9], s[12:13]
; %bb.2814:
	s_mov_b32 s10, 0x7f800001
	s_xor_b64 s[4:5], exec, -1
; %bb.2815:
	s_or_b64 exec, exec, s[8:9]
	s_and_b64 s[4:5], s[4:5], exec
	s_or_saveexec_b64 s[6:7], s[6:7]
	v_mov_b32_e32 v3, s10
	s_xor_b64 exec, exec, s[6:7]
	s_cbranch_execz .LBB54_766
.LBB54_2816:
	v_mov_b32_e32 v3, 0
	v_cmp_ne_u16_sdwa s[8:9], v5, v3 src0_sel:BYTE_3 src1_sel:DWORD
	s_andn2_b64 s[4:5], s[4:5], exec
	s_and_b64 s[8:9], s[8:9], exec
	s_or_b64 s[4:5], s[4:5], s[8:9]
	s_or_b64 exec, exec, s[6:7]
	s_and_saveexec_b64 s[6:7], s[4:5]
	s_cbranch_execnz .LBB54_767
	s_branch .LBB54_768
.LBB54_2817:
	s_movk_i32 s4, 0x80
	v_cmp_eq_u16_sdwa s[12:13], v14, s4 src0_sel:BYTE_0 src1_sel:DWORD
	s_mov_b64 s[4:5], -1
                                        ; implicit-def: $sgpr10
	s_and_saveexec_b64 s[8:9], s[12:13]
; %bb.2818:
	s_mov_b32 s10, 0x7f800001
	s_xor_b64 s[4:5], exec, -1
; %bb.2819:
	s_or_b64 exec, exec, s[8:9]
	s_and_b64 s[4:5], s[4:5], exec
	s_or_saveexec_b64 s[6:7], s[6:7]
	v_mov_b32_e32 v20, s10
	s_xor_b64 exec, exec, s[6:7]
	s_cbranch_execz .LBB54_770
.LBB54_2820:
	v_mov_b32_e32 v20, 0
	v_cmp_ne_u16_sdwa s[8:9], v14, v20 src0_sel:BYTE_0 src1_sel:DWORD
	s_andn2_b64 s[4:5], s[4:5], exec
	s_and_b64 s[8:9], s[8:9], exec
	s_or_b64 s[4:5], s[4:5], s[8:9]
	s_or_b64 exec, exec, s[6:7]
	s_and_saveexec_b64 s[6:7], s[4:5]
	s_cbranch_execnz .LBB54_771
	s_branch .LBB54_772
.LBB54_2821:
	s_movk_i32 s4, 0x80
	v_cmp_eq_u16_sdwa s[12:13], v10, s4 src0_sel:BYTE_0 src1_sel:DWORD
	s_mov_b64 s[4:5], -1
                                        ; implicit-def: $sgpr10
	s_and_saveexec_b64 s[8:9], s[12:13]
; %bb.2822:
	s_mov_b32 s10, 0x7f800001
	s_xor_b64 s[4:5], exec, -1
; %bb.2823:
	s_or_b64 exec, exec, s[8:9]
	s_and_b64 s[4:5], s[4:5], exec
	s_or_saveexec_b64 s[6:7], s[6:7]
	v_mov_b32_e32 v21, s10
	s_xor_b64 exec, exec, s[6:7]
	s_cbranch_execz .LBB54_774
.LBB54_2824:
	v_mov_b32_e32 v21, 0
	v_cmp_ne_u16_sdwa s[8:9], v10, v21 src0_sel:BYTE_0 src1_sel:DWORD
	s_andn2_b64 s[4:5], s[4:5], exec
	s_and_b64 s[8:9], s[8:9], exec
	s_or_b64 s[4:5], s[4:5], s[8:9]
	s_or_b64 exec, exec, s[6:7]
	s_and_saveexec_b64 s[6:7], s[4:5]
	s_cbranch_execnz .LBB54_775
	s_branch .LBB54_776
.LBB54_2825:
	s_movk_i32 s4, 0x80
	v_cmp_eq_u16_sdwa s[12:13], v21, s4 src0_sel:BYTE_0 src1_sel:DWORD
	s_mov_b64 s[4:5], -1
                                        ; implicit-def: $sgpr10
	s_and_saveexec_b64 s[8:9], s[12:13]
; %bb.2826:
	s_mov_b32 s10, 0x7f800001
	s_xor_b64 s[4:5], exec, -1
; %bb.2827:
	s_or_b64 exec, exec, s[8:9]
	s_and_b64 s[4:5], s[4:5], exec
	s_or_saveexec_b64 s[6:7], s[6:7]
	v_mov_b32_e32 v20, s10
	s_xor_b64 exec, exec, s[6:7]
	s_cbranch_execz .LBB54_778
.LBB54_2828:
	v_mov_b32_e32 v20, 0
	v_cmp_ne_u16_sdwa s[8:9], v21, v20 src0_sel:BYTE_0 src1_sel:DWORD
	s_andn2_b64 s[4:5], s[4:5], exec
	s_and_b64 s[8:9], s[8:9], exec
	s_or_b64 s[4:5], s[4:5], s[8:9]
	s_or_b64 exec, exec, s[6:7]
	s_and_saveexec_b64 s[6:7], s[4:5]
	s_cbranch_execnz .LBB54_779
	s_branch .LBB54_780
.LBB54_2829:
	s_movk_i32 s4, 0x80
	v_cmp_eq_u16_sdwa s[12:13], v21, s4 src0_sel:BYTE_0 src1_sel:DWORD
	s_mov_b64 s[4:5], -1
                                        ; implicit-def: $sgpr10
	s_and_saveexec_b64 s[8:9], s[12:13]
; %bb.2830:
	s_mov_b32 s10, 0x7f800001
	s_xor_b64 s[4:5], exec, -1
; %bb.2831:
	s_or_b64 exec, exec, s[8:9]
	s_and_b64 s[4:5], s[4:5], exec
	s_or_saveexec_b64 s[6:7], s[6:7]
	v_mov_b32_e32 v22, s10
	s_xor_b64 exec, exec, s[6:7]
	s_cbranch_execz .LBB54_782
.LBB54_2832:
	v_mov_b32_e32 v22, 0
	v_cmp_ne_u16_sdwa s[8:9], v21, v22 src0_sel:BYTE_0 src1_sel:DWORD
	s_andn2_b64 s[4:5], s[4:5], exec
	s_and_b64 s[8:9], s[8:9], exec
	s_or_b64 s[4:5], s[4:5], s[8:9]
	s_or_b64 exec, exec, s[6:7]
	s_and_saveexec_b64 s[6:7], s[4:5]
	s_cbranch_execnz .LBB54_783
	s_branch .LBB54_784
.LBB54_2833:
	s_movk_i32 s4, 0x80
	v_cmp_eq_u16_e32 vcc, s4, v21
	s_mov_b64 s[4:5], -1
                                        ; implicit-def: $sgpr10
	s_and_saveexec_b64 s[8:9], vcc
; %bb.2834:
	s_mov_b32 s10, 0x7f800001
	s_xor_b64 s[4:5], exec, -1
; %bb.2835:
	s_or_b64 exec, exec, s[8:9]
	s_and_b64 s[4:5], s[4:5], exec
                                        ; implicit-def: $vgpr21
	s_or_saveexec_b64 s[6:7], s[6:7]
	v_mov_b32_e32 v20, s10
	s_xor_b64 exec, exec, s[6:7]
	s_cbranch_execz .LBB54_786
.LBB54_2836:
	v_cmp_ne_u16_e32 vcc, 0, v21
	s_andn2_b64 s[4:5], s[4:5], exec
	s_and_b64 s[8:9], vcc, exec
	v_mov_b32_e32 v20, 0
	s_or_b64 s[4:5], s[4:5], s[8:9]
	s_or_b64 exec, exec, s[6:7]
	s_and_saveexec_b64 s[6:7], s[4:5]
	s_cbranch_execnz .LBB54_787
	s_branch .LBB54_788
.LBB54_2837:
	s_movk_i32 s4, 0x80
	v_cmp_eq_u16_e32 vcc, s4, v21
	s_mov_b64 s[4:5], -1
                                        ; implicit-def: $sgpr10
	s_and_saveexec_b64 s[8:9], vcc
; %bb.2838:
	s_mov_b32 s10, 0x7f800001
	s_xor_b64 s[4:5], exec, -1
; %bb.2839:
	s_or_b64 exec, exec, s[8:9]
	s_and_b64 s[4:5], s[4:5], exec
                                        ; implicit-def: $vgpr21
	s_or_saveexec_b64 s[6:7], s[6:7]
	v_mov_b32_e32 v22, s10
	s_xor_b64 exec, exec, s[6:7]
	s_cbranch_execz .LBB54_790
.LBB54_2840:
	v_cmp_ne_u16_e32 vcc, 0, v21
	s_andn2_b64 s[4:5], s[4:5], exec
	s_and_b64 s[8:9], vcc, exec
	v_mov_b32_e32 v22, 0
	s_or_b64 s[4:5], s[4:5], s[8:9]
	s_or_b64 exec, exec, s[6:7]
	s_and_saveexec_b64 s[6:7], s[4:5]
	s_cbranch_execnz .LBB54_791
	s_branch .LBB54_792
.LBB54_2841:
	s_movk_i32 s4, 0x80
	v_cmp_eq_u16_sdwa s[12:13], v14, s4 src0_sel:BYTE_3 src1_sel:DWORD
	s_mov_b64 s[4:5], -1
                                        ; implicit-def: $sgpr10
	s_and_saveexec_b64 s[8:9], s[12:13]
; %bb.2842:
	s_mov_b32 s10, 0x7f800001
	s_xor_b64 s[4:5], exec, -1
; %bb.2843:
	s_or_b64 exec, exec, s[8:9]
	s_and_b64 s[4:5], s[4:5], exec
	s_or_saveexec_b64 s[6:7], s[6:7]
	v_mov_b32_e32 v20, s10
	s_xor_b64 exec, exec, s[6:7]
	s_cbranch_execz .LBB54_794
.LBB54_2844:
	v_mov_b32_e32 v20, 0
	v_cmp_ne_u16_sdwa s[8:9], v14, v20 src0_sel:BYTE_3 src1_sel:DWORD
	s_andn2_b64 s[4:5], s[4:5], exec
	s_and_b64 s[8:9], s[8:9], exec
	s_or_b64 s[4:5], s[4:5], s[8:9]
	s_or_b64 exec, exec, s[6:7]
	s_and_saveexec_b64 s[6:7], s[4:5]
	s_cbranch_execnz .LBB54_795
	s_branch .LBB54_796
.LBB54_2845:
	s_movk_i32 s4, 0x80
	v_cmp_eq_u16_sdwa s[12:13], v10, s4 src0_sel:BYTE_3 src1_sel:DWORD
	s_mov_b64 s[4:5], -1
                                        ; implicit-def: $sgpr10
	s_and_saveexec_b64 s[8:9], s[12:13]
; %bb.2846:
	s_mov_b32 s10, 0x7f800001
	s_xor_b64 s[4:5], exec, -1
; %bb.2847:
	s_or_b64 exec, exec, s[8:9]
	s_and_b64 s[4:5], s[4:5], exec
	s_or_saveexec_b64 s[6:7], s[6:7]
	v_mov_b32_e32 v14, s10
	s_xor_b64 exec, exec, s[6:7]
	s_cbranch_execz .LBB54_798
.LBB54_2848:
	v_mov_b32_e32 v14, 0
	v_cmp_ne_u16_sdwa s[8:9], v10, v14 src0_sel:BYTE_3 src1_sel:DWORD
	s_andn2_b64 s[4:5], s[4:5], exec
	s_and_b64 s[8:9], s[8:9], exec
	s_or_b64 s[4:5], s[4:5], s[8:9]
	s_or_b64 exec, exec, s[6:7]
	s_and_saveexec_b64 s[6:7], s[4:5]
	s_cbranch_execnz .LBB54_799
	s_branch .LBB54_800
.LBB54_2849:
	s_movk_i32 s4, 0x80
	v_cmp_eq_u16_sdwa s[12:13], v15, s4 src0_sel:BYTE_0 src1_sel:DWORD
	s_mov_b64 s[4:5], -1
                                        ; implicit-def: $sgpr10
	s_and_saveexec_b64 s[8:9], s[12:13]
; %bb.2850:
	s_mov_b32 s10, 0x7f800001
	s_xor_b64 s[4:5], exec, -1
; %bb.2851:
	s_or_b64 exec, exec, s[8:9]
	s_and_b64 s[4:5], s[4:5], exec
	s_or_saveexec_b64 s[6:7], s[6:7]
	v_mov_b32_e32 v10, s10
	s_xor_b64 exec, exec, s[6:7]
	s_cbranch_execz .LBB54_802
.LBB54_2852:
	v_mov_b32_e32 v10, 0
	v_cmp_ne_u16_sdwa s[8:9], v15, v10 src0_sel:BYTE_0 src1_sel:DWORD
	s_andn2_b64 s[4:5], s[4:5], exec
	s_and_b64 s[8:9], s[8:9], exec
	s_or_b64 s[4:5], s[4:5], s[8:9]
	s_or_b64 exec, exec, s[6:7]
	s_and_saveexec_b64 s[6:7], s[4:5]
	s_cbranch_execnz .LBB54_803
	s_branch .LBB54_804
.LBB54_2853:
	s_movk_i32 s4, 0x80
	v_cmp_eq_u16_sdwa s[12:13], v11, s4 src0_sel:BYTE_0 src1_sel:DWORD
	s_mov_b64 s[4:5], -1
                                        ; implicit-def: $sgpr10
	s_and_saveexec_b64 s[8:9], s[12:13]
; %bb.2854:
	s_mov_b32 s10, 0x7f800001
	s_xor_b64 s[4:5], exec, -1
; %bb.2855:
	s_or_b64 exec, exec, s[8:9]
	s_and_b64 s[4:5], s[4:5], exec
	s_or_saveexec_b64 s[6:7], s[6:7]
	v_mov_b32_e32 v14, s10
	s_xor_b64 exec, exec, s[6:7]
	s_cbranch_execz .LBB54_806
.LBB54_2856:
	v_mov_b32_e32 v14, 0
	v_cmp_ne_u16_sdwa s[8:9], v11, v14 src0_sel:BYTE_0 src1_sel:DWORD
	s_andn2_b64 s[4:5], s[4:5], exec
	s_and_b64 s[8:9], s[8:9], exec
	s_or_b64 s[4:5], s[4:5], s[8:9]
	s_or_b64 exec, exec, s[6:7]
	s_and_saveexec_b64 s[6:7], s[4:5]
	s_cbranch_execnz .LBB54_807
	s_branch .LBB54_808
.LBB54_2857:
	s_movk_i32 s4, 0x80
	v_cmp_eq_u16_sdwa s[12:13], v14, s4 src0_sel:BYTE_0 src1_sel:DWORD
	s_mov_b64 s[4:5], -1
                                        ; implicit-def: $sgpr10
	s_and_saveexec_b64 s[8:9], s[12:13]
; %bb.2858:
	s_mov_b32 s10, 0x7f800001
	s_xor_b64 s[4:5], exec, -1
; %bb.2859:
	s_or_b64 exec, exec, s[8:9]
	s_and_b64 s[4:5], s[4:5], exec
	s_or_saveexec_b64 s[6:7], s[6:7]
	v_mov_b32_e32 v10, s10
	s_xor_b64 exec, exec, s[6:7]
	s_cbranch_execz .LBB54_810
.LBB54_2860:
	v_mov_b32_e32 v10, 0
	v_cmp_ne_u16_sdwa s[8:9], v14, v10 src0_sel:BYTE_0 src1_sel:DWORD
	s_andn2_b64 s[4:5], s[4:5], exec
	s_and_b64 s[8:9], s[8:9], exec
	s_or_b64 s[4:5], s[4:5], s[8:9]
	s_or_b64 exec, exec, s[6:7]
	s_and_saveexec_b64 s[6:7], s[4:5]
	s_cbranch_execnz .LBB54_811
	s_branch .LBB54_812
.LBB54_2861:
	s_movk_i32 s4, 0x80
	v_cmp_eq_u16_sdwa s[12:13], v14, s4 src0_sel:BYTE_0 src1_sel:DWORD
	s_mov_b64 s[4:5], -1
                                        ; implicit-def: $sgpr10
	s_and_saveexec_b64 s[8:9], s[12:13]
; %bb.2862:
	s_mov_b32 s10, 0x7f800001
	s_xor_b64 s[4:5], exec, -1
; %bb.2863:
	s_or_b64 exec, exec, s[8:9]
	s_and_b64 s[4:5], s[4:5], exec
	s_or_saveexec_b64 s[6:7], s[6:7]
	v_mov_b32_e32 v20, s10
	s_xor_b64 exec, exec, s[6:7]
	s_cbranch_execz .LBB54_814
.LBB54_2864:
	v_mov_b32_e32 v20, 0
	v_cmp_ne_u16_sdwa s[8:9], v14, v20 src0_sel:BYTE_0 src1_sel:DWORD
	s_andn2_b64 s[4:5], s[4:5], exec
	s_and_b64 s[8:9], s[8:9], exec
	s_or_b64 s[4:5], s[4:5], s[8:9]
	s_or_b64 exec, exec, s[6:7]
	s_and_saveexec_b64 s[6:7], s[4:5]
	s_cbranch_execnz .LBB54_815
	s_branch .LBB54_816
.LBB54_2865:
	s_movk_i32 s4, 0x80
	v_cmp_eq_u16_e32 vcc, s4, v14
	s_mov_b64 s[4:5], -1
                                        ; implicit-def: $sgpr10
	s_and_saveexec_b64 s[8:9], vcc
; %bb.2866:
	s_mov_b32 s10, 0x7f800001
	s_xor_b64 s[4:5], exec, -1
; %bb.2867:
	s_or_b64 exec, exec, s[8:9]
	s_and_b64 s[4:5], s[4:5], exec
                                        ; implicit-def: $vgpr14
	s_or_saveexec_b64 s[6:7], s[6:7]
	v_mov_b32_e32 v10, s10
	s_xor_b64 exec, exec, s[6:7]
	s_cbranch_execz .LBB54_818
.LBB54_2868:
	v_cmp_ne_u16_e32 vcc, 0, v14
	s_andn2_b64 s[4:5], s[4:5], exec
	s_and_b64 s[8:9], vcc, exec
	v_mov_b32_e32 v10, 0
	s_or_b64 s[4:5], s[4:5], s[8:9]
	s_or_b64 exec, exec, s[6:7]
	s_and_saveexec_b64 s[6:7], s[4:5]
	s_cbranch_execnz .LBB54_819
	s_branch .LBB54_820
.LBB54_2869:
	s_movk_i32 s4, 0x80
	v_cmp_eq_u16_e32 vcc, s4, v14
	s_mov_b64 s[4:5], -1
                                        ; implicit-def: $sgpr10
	s_and_saveexec_b64 s[8:9], vcc
; %bb.2870:
	s_mov_b32 s10, 0x7f800001
	s_xor_b64 s[4:5], exec, -1
; %bb.2871:
	s_or_b64 exec, exec, s[8:9]
	s_and_b64 s[4:5], s[4:5], exec
                                        ; implicit-def: $vgpr14
	s_or_saveexec_b64 s[6:7], s[6:7]
	v_mov_b32_e32 v20, s10
	s_xor_b64 exec, exec, s[6:7]
	s_cbranch_execz .LBB54_822
.LBB54_2872:
	v_cmp_ne_u16_e32 vcc, 0, v14
	s_andn2_b64 s[4:5], s[4:5], exec
	s_and_b64 s[8:9], vcc, exec
	v_mov_b32_e32 v20, 0
	s_or_b64 s[4:5], s[4:5], s[8:9]
	s_or_b64 exec, exec, s[6:7]
	s_and_saveexec_b64 s[6:7], s[4:5]
	s_cbranch_execnz .LBB54_823
	s_branch .LBB54_824
.LBB54_2873:
	s_movk_i32 s4, 0x80
	v_cmp_eq_u16_sdwa s[12:13], v15, s4 src0_sel:BYTE_3 src1_sel:DWORD
	s_mov_b64 s[4:5], -1
                                        ; implicit-def: $sgpr10
	s_and_saveexec_b64 s[8:9], s[12:13]
; %bb.2874:
	s_mov_b32 s10, 0x7f800001
	s_xor_b64 s[4:5], exec, -1
; %bb.2875:
	s_or_b64 exec, exec, s[8:9]
	s_and_b64 s[4:5], s[4:5], exec
	s_or_saveexec_b64 s[6:7], s[6:7]
	v_mov_b32_e32 v10, s10
	s_xor_b64 exec, exec, s[6:7]
	s_cbranch_execz .LBB54_826
.LBB54_2876:
	v_mov_b32_e32 v10, 0
	v_cmp_ne_u16_sdwa s[8:9], v15, v10 src0_sel:BYTE_3 src1_sel:DWORD
	s_andn2_b64 s[4:5], s[4:5], exec
	s_and_b64 s[8:9], s[8:9], exec
	s_or_b64 s[4:5], s[4:5], s[8:9]
	s_or_b64 exec, exec, s[6:7]
	s_and_saveexec_b64 s[6:7], s[4:5]
	s_cbranch_execnz .LBB54_827
	s_branch .LBB54_828
.LBB54_2877:
	s_movk_i32 s4, 0x80
	v_cmp_eq_u16_sdwa s[12:13], v11, s4 src0_sel:BYTE_3 src1_sel:DWORD
	s_mov_b64 s[4:5], -1
                                        ; implicit-def: $sgpr10
	s_and_saveexec_b64 s[8:9], s[12:13]
; %bb.2878:
	s_mov_b32 s10, 0x7f800001
	s_xor_b64 s[4:5], exec, -1
; %bb.2879:
	s_or_b64 exec, exec, s[8:9]
	s_and_b64 s[4:5], s[4:5], exec
	s_or_saveexec_b64 s[6:7], s[6:7]
	v_mov_b32_e32 v14, s10
	s_xor_b64 exec, exec, s[6:7]
	s_cbranch_execz .LBB54_830
.LBB54_2880:
	v_mov_b32_e32 v14, 0
	v_cmp_ne_u16_sdwa s[8:9], v11, v14 src0_sel:BYTE_3 src1_sel:DWORD
	s_andn2_b64 s[4:5], s[4:5], exec
	s_and_b64 s[8:9], s[8:9], exec
	s_or_b64 s[4:5], s[4:5], s[8:9]
	s_or_b64 exec, exec, s[6:7]
	s_and_saveexec_b64 s[6:7], s[4:5]
	s_cbranch_execnz .LBB54_831
	s_branch .LBB54_832
.LBB54_2881:
	s_movk_i32 s4, 0x80
	v_cmp_eq_u16_sdwa s[12:13], v16, s4 src0_sel:BYTE_0 src1_sel:DWORD
	s_mov_b64 s[4:5], -1
                                        ; implicit-def: $sgpr10
	s_and_saveexec_b64 s[8:9], s[12:13]
; %bb.2882:
	s_mov_b32 s10, 0x7f800001
	s_xor_b64 s[4:5], exec, -1
; %bb.2883:
	s_or_b64 exec, exec, s[8:9]
	s_and_b64 s[4:5], s[4:5], exec
	s_or_saveexec_b64 s[6:7], s[6:7]
	v_mov_b32_e32 v10, s10
	s_xor_b64 exec, exec, s[6:7]
	s_cbranch_execz .LBB54_834
.LBB54_2884:
	v_mov_b32_e32 v10, 0
	v_cmp_ne_u16_sdwa s[8:9], v16, v10 src0_sel:BYTE_0 src1_sel:DWORD
	s_andn2_b64 s[4:5], s[4:5], exec
	s_and_b64 s[8:9], s[8:9], exec
	s_or_b64 s[4:5], s[4:5], s[8:9]
	s_or_b64 exec, exec, s[6:7]
	s_and_saveexec_b64 s[6:7], s[4:5]
	s_cbranch_execnz .LBB54_835
	s_branch .LBB54_836
.LBB54_2885:
	s_movk_i32 s4, 0x80
	v_cmp_eq_u16_sdwa s[12:13], v12, s4 src0_sel:BYTE_0 src1_sel:DWORD
	s_mov_b64 s[4:5], -1
                                        ; implicit-def: $sgpr10
	s_and_saveexec_b64 s[8:9], s[12:13]
; %bb.2886:
	s_mov_b32 s10, 0x7f800001
	s_xor_b64 s[4:5], exec, -1
; %bb.2887:
	s_or_b64 exec, exec, s[8:9]
	s_and_b64 s[4:5], s[4:5], exec
	s_or_saveexec_b64 s[6:7], s[6:7]
	v_mov_b32_e32 v11, s10
	s_xor_b64 exec, exec, s[6:7]
	s_cbranch_execz .LBB54_838
.LBB54_2888:
	v_mov_b32_e32 v11, 0
	v_cmp_ne_u16_sdwa s[8:9], v12, v11 src0_sel:BYTE_0 src1_sel:DWORD
	s_andn2_b64 s[4:5], s[4:5], exec
	s_and_b64 s[8:9], s[8:9], exec
	s_or_b64 s[4:5], s[4:5], s[8:9]
	s_or_b64 exec, exec, s[6:7]
	s_and_saveexec_b64 s[6:7], s[4:5]
	s_cbranch_execnz .LBB54_839
	s_branch .LBB54_840
.LBB54_2889:
	s_movk_i32 s4, 0x80
	v_cmp_eq_u16_sdwa s[12:13], v11, s4 src0_sel:BYTE_0 src1_sel:DWORD
	s_mov_b64 s[4:5], -1
                                        ; implicit-def: $sgpr10
	s_and_saveexec_b64 s[8:9], s[12:13]
; %bb.2890:
	s_mov_b32 s10, 0x7f800001
	s_xor_b64 s[4:5], exec, -1
; %bb.2891:
	s_or_b64 exec, exec, s[8:9]
	s_and_b64 s[4:5], s[4:5], exec
	s_or_saveexec_b64 s[6:7], s[6:7]
	v_mov_b32_e32 v10, s10
	s_xor_b64 exec, exec, s[6:7]
	s_cbranch_execz .LBB54_842
.LBB54_2892:
	v_mov_b32_e32 v10, 0
	v_cmp_ne_u16_sdwa s[8:9], v11, v10 src0_sel:BYTE_0 src1_sel:DWORD
	s_andn2_b64 s[4:5], s[4:5], exec
	s_and_b64 s[8:9], s[8:9], exec
	s_or_b64 s[4:5], s[4:5], s[8:9]
	s_or_b64 exec, exec, s[6:7]
	s_and_saveexec_b64 s[6:7], s[4:5]
	s_cbranch_execnz .LBB54_843
	s_branch .LBB54_844
.LBB54_2893:
	s_movk_i32 s4, 0x80
	v_cmp_eq_u16_sdwa s[12:13], v11, s4 src0_sel:BYTE_0 src1_sel:DWORD
	s_mov_b64 s[4:5], -1
                                        ; implicit-def: $sgpr10
	s_and_saveexec_b64 s[8:9], s[12:13]
; %bb.2894:
	s_mov_b32 s10, 0x7f800001
	s_xor_b64 s[4:5], exec, -1
; %bb.2895:
	s_or_b64 exec, exec, s[8:9]
	s_and_b64 s[4:5], s[4:5], exec
	s_or_saveexec_b64 s[6:7], s[6:7]
	v_mov_b32_e32 v14, s10
	s_xor_b64 exec, exec, s[6:7]
	s_cbranch_execz .LBB54_846
.LBB54_2896:
	v_mov_b32_e32 v14, 0
	v_cmp_ne_u16_sdwa s[8:9], v11, v14 src0_sel:BYTE_0 src1_sel:DWORD
	s_andn2_b64 s[4:5], s[4:5], exec
	s_and_b64 s[8:9], s[8:9], exec
	s_or_b64 s[4:5], s[4:5], s[8:9]
	s_or_b64 exec, exec, s[6:7]
	s_and_saveexec_b64 s[6:7], s[4:5]
	s_cbranch_execnz .LBB54_847
	s_branch .LBB54_848
.LBB54_2897:
	s_movk_i32 s4, 0x80
	v_cmp_eq_u16_e32 vcc, s4, v11
	s_mov_b64 s[4:5], -1
                                        ; implicit-def: $sgpr10
	s_and_saveexec_b64 s[8:9], vcc
; %bb.2898:
	s_mov_b32 s10, 0x7f800001
	s_xor_b64 s[4:5], exec, -1
; %bb.2899:
	s_or_b64 exec, exec, s[8:9]
	s_and_b64 s[4:5], s[4:5], exec
                                        ; implicit-def: $vgpr11
	s_or_saveexec_b64 s[6:7], s[6:7]
	v_mov_b32_e32 v10, s10
	s_xor_b64 exec, exec, s[6:7]
	s_cbranch_execz .LBB54_850
.LBB54_2900:
	v_cmp_ne_u16_e32 vcc, 0, v11
	s_andn2_b64 s[4:5], s[4:5], exec
	s_and_b64 s[8:9], vcc, exec
	v_mov_b32_e32 v10, 0
	s_or_b64 s[4:5], s[4:5], s[8:9]
	s_or_b64 exec, exec, s[6:7]
	s_and_saveexec_b64 s[6:7], s[4:5]
	s_cbranch_execnz .LBB54_851
	s_branch .LBB54_852
.LBB54_2901:
	s_movk_i32 s4, 0x80
	v_cmp_eq_u16_e32 vcc, s4, v11
	s_mov_b64 s[4:5], -1
                                        ; implicit-def: $sgpr10
	s_and_saveexec_b64 s[8:9], vcc
; %bb.2902:
	s_mov_b32 s10, 0x7f800001
	s_xor_b64 s[4:5], exec, -1
; %bb.2903:
	s_or_b64 exec, exec, s[8:9]
	s_and_b64 s[4:5], s[4:5], exec
                                        ; implicit-def: $vgpr11
	s_or_saveexec_b64 s[6:7], s[6:7]
	v_mov_b32_e32 v14, s10
	s_xor_b64 exec, exec, s[6:7]
	s_cbranch_execz .LBB54_854
.LBB54_2904:
	v_cmp_ne_u16_e32 vcc, 0, v11
	s_andn2_b64 s[4:5], s[4:5], exec
	s_and_b64 s[8:9], vcc, exec
	v_mov_b32_e32 v14, 0
	s_or_b64 s[4:5], s[4:5], s[8:9]
	s_or_b64 exec, exec, s[6:7]
	s_and_saveexec_b64 s[6:7], s[4:5]
	s_cbranch_execnz .LBB54_855
	s_branch .LBB54_856
.LBB54_2905:
	s_movk_i32 s4, 0x80
	v_cmp_eq_u16_sdwa s[12:13], v16, s4 src0_sel:BYTE_3 src1_sel:DWORD
	s_mov_b64 s[4:5], -1
                                        ; implicit-def: $sgpr10
	s_and_saveexec_b64 s[8:9], s[12:13]
; %bb.2906:
	s_mov_b32 s10, 0x7f800001
	s_xor_b64 s[4:5], exec, -1
; %bb.2907:
	s_or_b64 exec, exec, s[8:9]
	s_and_b64 s[4:5], s[4:5], exec
	s_or_saveexec_b64 s[6:7], s[6:7]
	v_mov_b32_e32 v10, s10
	s_xor_b64 exec, exec, s[6:7]
	s_cbranch_execz .LBB54_858
.LBB54_2908:
	v_mov_b32_e32 v10, 0
	v_cmp_ne_u16_sdwa s[8:9], v16, v10 src0_sel:BYTE_3 src1_sel:DWORD
	s_andn2_b64 s[4:5], s[4:5], exec
	s_and_b64 s[8:9], s[8:9], exec
	s_or_b64 s[4:5], s[4:5], s[8:9]
	s_or_b64 exec, exec, s[6:7]
	s_and_saveexec_b64 s[6:7], s[4:5]
	s_cbranch_execnz .LBB54_859
	s_branch .LBB54_860
.LBB54_2909:
	s_movk_i32 s4, 0x80
	v_cmp_eq_u16_sdwa s[12:13], v12, s4 src0_sel:BYTE_3 src1_sel:DWORD
	s_mov_b64 s[4:5], -1
                                        ; implicit-def: $sgpr10
	s_and_saveexec_b64 s[8:9], s[12:13]
; %bb.2910:
	s_mov_b32 s10, 0x7f800001
	s_xor_b64 s[4:5], exec, -1
; %bb.2911:
	s_or_b64 exec, exec, s[8:9]
	s_and_b64 s[4:5], s[4:5], exec
	s_or_saveexec_b64 s[6:7], s[6:7]
	v_mov_b32_e32 v11, s10
	s_xor_b64 exec, exec, s[6:7]
	s_cbranch_execz .LBB54_862
.LBB54_2912:
	v_mov_b32_e32 v11, 0
	v_cmp_ne_u16_sdwa s[8:9], v12, v11 src0_sel:BYTE_3 src1_sel:DWORD
	s_andn2_b64 s[4:5], s[4:5], exec
	s_and_b64 s[8:9], s[8:9], exec
	s_or_b64 s[4:5], s[4:5], s[8:9]
	s_or_b64 exec, exec, s[6:7]
	s_and_saveexec_b64 s[6:7], s[4:5]
	s_cbranch_execnz .LBB54_863
	s_branch .LBB54_864
.LBB54_2913:
	s_movk_i32 s4, 0x80
	v_cmp_eq_u16_sdwa s[12:13], v17, s4 src0_sel:BYTE_0 src1_sel:DWORD
	s_mov_b64 s[4:5], -1
                                        ; implicit-def: $sgpr10
	s_and_saveexec_b64 s[8:9], s[12:13]
; %bb.2914:
	s_mov_b32 s10, 0x7f800001
	s_xor_b64 s[4:5], exec, -1
; %bb.2915:
	s_or_b64 exec, exec, s[8:9]
	s_and_b64 s[4:5], s[4:5], exec
	s_or_saveexec_b64 s[6:7], s[6:7]
	v_mov_b32_e32 v10, s10
	s_xor_b64 exec, exec, s[6:7]
	s_cbranch_execz .LBB54_866
.LBB54_2916:
	v_mov_b32_e32 v10, 0
	v_cmp_ne_u16_sdwa s[8:9], v17, v10 src0_sel:BYTE_0 src1_sel:DWORD
	s_andn2_b64 s[4:5], s[4:5], exec
	s_and_b64 s[8:9], s[8:9], exec
	s_or_b64 s[4:5], s[4:5], s[8:9]
	s_or_b64 exec, exec, s[6:7]
	s_and_saveexec_b64 s[6:7], s[4:5]
	s_cbranch_execnz .LBB54_867
	s_branch .LBB54_868
.LBB54_2917:
	s_movk_i32 s4, 0x80
	v_cmp_eq_u16_sdwa s[12:13], v13, s4 src0_sel:BYTE_0 src1_sel:DWORD
	s_mov_b64 s[4:5], -1
                                        ; implicit-def: $sgpr10
	s_and_saveexec_b64 s[8:9], s[12:13]
; %bb.2918:
	s_mov_b32 s10, 0x7f800001
	s_xor_b64 s[4:5], exec, -1
; %bb.2919:
	s_or_b64 exec, exec, s[8:9]
	s_and_b64 s[4:5], s[4:5], exec
	s_or_saveexec_b64 s[6:7], s[6:7]
	v_mov_b32_e32 v11, s10
	s_xor_b64 exec, exec, s[6:7]
	s_cbranch_execz .LBB54_870
.LBB54_2920:
	v_mov_b32_e32 v11, 0
	v_cmp_ne_u16_sdwa s[8:9], v13, v11 src0_sel:BYTE_0 src1_sel:DWORD
	s_andn2_b64 s[4:5], s[4:5], exec
	s_and_b64 s[8:9], s[8:9], exec
	s_or_b64 s[4:5], s[4:5], s[8:9]
	s_or_b64 exec, exec, s[6:7]
	s_and_saveexec_b64 s[6:7], s[4:5]
	s_cbranch_execnz .LBB54_871
	s_branch .LBB54_872
.LBB54_2921:
	s_movk_i32 s4, 0x80
	v_cmp_eq_u16_sdwa s[12:13], v11, s4 src0_sel:BYTE_0 src1_sel:DWORD
	s_mov_b64 s[4:5], -1
                                        ; implicit-def: $sgpr10
	s_and_saveexec_b64 s[8:9], s[12:13]
; %bb.2922:
	s_mov_b32 s10, 0x7f800001
	s_xor_b64 s[4:5], exec, -1
; %bb.2923:
	s_or_b64 exec, exec, s[8:9]
	s_and_b64 s[4:5], s[4:5], exec
	s_or_saveexec_b64 s[6:7], s[6:7]
	v_mov_b32_e32 v10, s10
	s_xor_b64 exec, exec, s[6:7]
	s_cbranch_execz .LBB54_874
.LBB54_2924:
	v_mov_b32_e32 v10, 0
	v_cmp_ne_u16_sdwa s[8:9], v11, v10 src0_sel:BYTE_0 src1_sel:DWORD
	s_andn2_b64 s[4:5], s[4:5], exec
	s_and_b64 s[8:9], s[8:9], exec
	s_or_b64 s[4:5], s[4:5], s[8:9]
	s_or_b64 exec, exec, s[6:7]
	s_and_saveexec_b64 s[6:7], s[4:5]
	s_cbranch_execnz .LBB54_875
	s_branch .LBB54_876
.LBB54_2925:
	s_movk_i32 s4, 0x80
	v_cmp_eq_u16_sdwa s[12:13], v11, s4 src0_sel:BYTE_0 src1_sel:DWORD
	s_mov_b64 s[4:5], -1
                                        ; implicit-def: $sgpr10
	s_and_saveexec_b64 s[8:9], s[12:13]
; %bb.2926:
	s_mov_b32 s10, 0x7f800001
	s_xor_b64 s[4:5], exec, -1
; %bb.2927:
	s_or_b64 exec, exec, s[8:9]
	s_and_b64 s[4:5], s[4:5], exec
	s_or_saveexec_b64 s[6:7], s[6:7]
	v_mov_b32_e32 v12, s10
	s_xor_b64 exec, exec, s[6:7]
	s_cbranch_execz .LBB54_878
.LBB54_2928:
	v_mov_b32_e32 v12, 0
	v_cmp_ne_u16_sdwa s[8:9], v11, v12 src0_sel:BYTE_0 src1_sel:DWORD
	s_andn2_b64 s[4:5], s[4:5], exec
	s_and_b64 s[8:9], s[8:9], exec
	s_or_b64 s[4:5], s[4:5], s[8:9]
	s_or_b64 exec, exec, s[6:7]
	s_and_saveexec_b64 s[6:7], s[4:5]
	s_cbranch_execnz .LBB54_879
	s_branch .LBB54_880
.LBB54_2929:
	s_movk_i32 s4, 0x80
	v_cmp_eq_u16_e32 vcc, s4, v11
	s_mov_b64 s[4:5], -1
                                        ; implicit-def: $sgpr10
	s_and_saveexec_b64 s[8:9], vcc
; %bb.2930:
	s_mov_b32 s10, 0x7f800001
	s_xor_b64 s[4:5], exec, -1
; %bb.2931:
	s_or_b64 exec, exec, s[8:9]
	s_and_b64 s[4:5], s[4:5], exec
                                        ; implicit-def: $vgpr11
	s_or_saveexec_b64 s[6:7], s[6:7]
	v_mov_b32_e32 v10, s10
	s_xor_b64 exec, exec, s[6:7]
	s_cbranch_execz .LBB54_882
.LBB54_2932:
	v_cmp_ne_u16_e32 vcc, 0, v11
	s_andn2_b64 s[4:5], s[4:5], exec
	s_and_b64 s[8:9], vcc, exec
	v_mov_b32_e32 v10, 0
	s_or_b64 s[4:5], s[4:5], s[8:9]
	s_or_b64 exec, exec, s[6:7]
	s_and_saveexec_b64 s[6:7], s[4:5]
	s_cbranch_execnz .LBB54_883
	s_branch .LBB54_884
.LBB54_2933:
	s_movk_i32 s4, 0x80
	v_cmp_eq_u16_e32 vcc, s4, v11
	s_mov_b64 s[4:5], -1
                                        ; implicit-def: $sgpr10
	s_and_saveexec_b64 s[8:9], vcc
; %bb.2934:
	s_mov_b32 s10, 0x7f800001
	s_xor_b64 s[4:5], exec, -1
; %bb.2935:
	s_or_b64 exec, exec, s[8:9]
	s_and_b64 s[4:5], s[4:5], exec
                                        ; implicit-def: $vgpr11
	s_or_saveexec_b64 s[6:7], s[6:7]
	v_mov_b32_e32 v12, s10
	s_xor_b64 exec, exec, s[6:7]
	s_cbranch_execz .LBB54_886
.LBB54_2936:
	v_cmp_ne_u16_e32 vcc, 0, v11
	s_andn2_b64 s[4:5], s[4:5], exec
	s_and_b64 s[8:9], vcc, exec
	v_mov_b32_e32 v12, 0
	s_or_b64 s[4:5], s[4:5], s[8:9]
	s_or_b64 exec, exec, s[6:7]
	s_and_saveexec_b64 s[6:7], s[4:5]
	s_cbranch_execnz .LBB54_887
	s_branch .LBB54_888
.LBB54_2937:
	s_movk_i32 s4, 0x80
	v_cmp_eq_u16_sdwa s[12:13], v17, s4 src0_sel:BYTE_3 src1_sel:DWORD
	s_mov_b64 s[4:5], -1
                                        ; implicit-def: $sgpr10
	s_and_saveexec_b64 s[8:9], s[12:13]
; %bb.2938:
	s_mov_b32 s10, 0x7f800001
	s_xor_b64 s[4:5], exec, -1
; %bb.2939:
	s_or_b64 exec, exec, s[8:9]
	s_and_b64 s[4:5], s[4:5], exec
	s_or_saveexec_b64 s[6:7], s[6:7]
	v_mov_b32_e32 v10, s10
	s_xor_b64 exec, exec, s[6:7]
	s_cbranch_execz .LBB54_890
.LBB54_2940:
	v_mov_b32_e32 v10, 0
	v_cmp_ne_u16_sdwa s[8:9], v17, v10 src0_sel:BYTE_3 src1_sel:DWORD
	s_andn2_b64 s[4:5], s[4:5], exec
	s_and_b64 s[8:9], s[8:9], exec
	s_or_b64 s[4:5], s[4:5], s[8:9]
	s_or_b64 exec, exec, s[6:7]
	s_and_saveexec_b64 s[6:7], s[4:5]
	s_cbranch_execnz .LBB54_891
	s_branch .LBB54_892
.LBB54_2941:
	s_movk_i32 s4, 0x80
	v_cmp_eq_u16_sdwa s[12:13], v13, s4 src0_sel:BYTE_3 src1_sel:DWORD
	s_mov_b64 s[4:5], -1
                                        ; implicit-def: $sgpr10
	s_and_saveexec_b64 s[8:9], s[12:13]
; %bb.2942:
	s_mov_b32 s10, 0x7f800001
	s_xor_b64 s[4:5], exec, -1
; %bb.2943:
	s_or_b64 exec, exec, s[8:9]
	s_and_b64 s[4:5], s[4:5], exec
	s_or_saveexec_b64 s[6:7], s[6:7]
	v_mov_b32_e32 v11, s10
	s_xor_b64 exec, exec, s[6:7]
	s_cbranch_execz .LBB54_894
.LBB54_2944:
	v_mov_b32_e32 v11, 0
	v_cmp_ne_u16_sdwa s[8:9], v13, v11 src0_sel:BYTE_3 src1_sel:DWORD
	s_andn2_b64 s[4:5], s[4:5], exec
	s_and_b64 s[8:9], s[8:9], exec
	s_or_b64 s[4:5], s[4:5], s[8:9]
	s_or_b64 exec, exec, s[6:7]
	s_and_saveexec_b64 s[6:7], s[4:5]
	s_cbranch_execnz .LBB54_895
	s_branch .LBB54_896
.LBB54_2945:
	s_movk_i32 s4, 0x80
	v_cmp_eq_u16_sdwa s[12:13], v6, s4 src0_sel:BYTE_0 src1_sel:DWORD
	s_mov_b64 s[4:5], -1
                                        ; implicit-def: $sgpr10
	s_and_saveexec_b64 s[8:9], s[12:13]
; %bb.2946:
	s_mov_b32 s10, 0x7f800001
	s_xor_b64 s[4:5], exec, -1
; %bb.2947:
	s_or_b64 exec, exec, s[8:9]
	s_and_b64 s[4:5], s[4:5], exec
	s_or_saveexec_b64 s[6:7], s[6:7]
	v_mov_b32_e32 v10, s10
	s_xor_b64 exec, exec, s[6:7]
	s_cbranch_execz .LBB54_898
.LBB54_2948:
	v_mov_b32_e32 v10, 0
	v_cmp_ne_u16_sdwa s[8:9], v6, v10 src0_sel:BYTE_0 src1_sel:DWORD
	s_andn2_b64 s[4:5], s[4:5], exec
	s_and_b64 s[8:9], s[8:9], exec
	s_or_b64 s[4:5], s[4:5], s[8:9]
	s_or_b64 exec, exec, s[6:7]
	s_and_saveexec_b64 s[6:7], s[4:5]
	s_cbranch_execnz .LBB54_899
	s_branch .LBB54_900
.LBB54_2949:
	s_movk_i32 s4, 0x80
	v_cmp_eq_u16_sdwa s[12:13], v2, s4 src0_sel:BYTE_0 src1_sel:DWORD
	s_mov_b64 s[4:5], -1
                                        ; implicit-def: $sgpr10
	s_and_saveexec_b64 s[8:9], s[12:13]
; %bb.2950:
	s_mov_b32 s10, 0x7f800001
	s_xor_b64 s[4:5], exec, -1
; %bb.2951:
	s_or_b64 exec, exec, s[8:9]
	s_and_b64 s[4:5], s[4:5], exec
	s_or_saveexec_b64 s[6:7], s[6:7]
	v_mov_b32_e32 v11, s10
	s_xor_b64 exec, exec, s[6:7]
	s_cbranch_execz .LBB54_902
.LBB54_2952:
	v_mov_b32_e32 v11, 0
	v_cmp_ne_u16_sdwa s[8:9], v2, v11 src0_sel:BYTE_0 src1_sel:DWORD
	s_andn2_b64 s[4:5], s[4:5], exec
	s_and_b64 s[8:9], s[8:9], exec
	s_or_b64 s[4:5], s[4:5], s[8:9]
	s_or_b64 exec, exec, s[6:7]
	s_and_saveexec_b64 s[6:7], s[4:5]
	s_cbranch_execnz .LBB54_903
	s_branch .LBB54_904
.LBB54_2953:
	s_movk_i32 s4, 0x80
	v_cmp_eq_u16_sdwa s[12:13], v11, s4 src0_sel:BYTE_0 src1_sel:DWORD
	s_mov_b64 s[4:5], -1
                                        ; implicit-def: $sgpr10
	s_and_saveexec_b64 s[8:9], s[12:13]
; %bb.2954:
	s_mov_b32 s10, 0x7f800001
	s_xor_b64 s[4:5], exec, -1
; %bb.2955:
	s_or_b64 exec, exec, s[8:9]
	s_and_b64 s[4:5], s[4:5], exec
	s_or_saveexec_b64 s[6:7], s[6:7]
	v_mov_b32_e32 v10, s10
	s_xor_b64 exec, exec, s[6:7]
	s_cbranch_execz .LBB54_906
.LBB54_2956:
	v_mov_b32_e32 v10, 0
	v_cmp_ne_u16_sdwa s[8:9], v11, v10 src0_sel:BYTE_0 src1_sel:DWORD
	s_andn2_b64 s[4:5], s[4:5], exec
	s_and_b64 s[8:9], s[8:9], exec
	s_or_b64 s[4:5], s[4:5], s[8:9]
	s_or_b64 exec, exec, s[6:7]
	s_and_saveexec_b64 s[6:7], s[4:5]
	s_cbranch_execnz .LBB54_907
	s_branch .LBB54_908
.LBB54_2957:
	s_movk_i32 s4, 0x80
	v_cmp_eq_u16_sdwa s[12:13], v11, s4 src0_sel:BYTE_0 src1_sel:DWORD
	s_mov_b64 s[4:5], -1
                                        ; implicit-def: $sgpr10
	s_and_saveexec_b64 s[8:9], s[12:13]
; %bb.2958:
	s_mov_b32 s10, 0x7f800001
	s_xor_b64 s[4:5], exec, -1
; %bb.2959:
	s_or_b64 exec, exec, s[8:9]
	s_and_b64 s[4:5], s[4:5], exec
	s_or_saveexec_b64 s[6:7], s[6:7]
	v_mov_b32_e32 v12, s10
	s_xor_b64 exec, exec, s[6:7]
	s_cbranch_execz .LBB54_910
.LBB54_2960:
	v_mov_b32_e32 v12, 0
	v_cmp_ne_u16_sdwa s[8:9], v11, v12 src0_sel:BYTE_0 src1_sel:DWORD
	s_andn2_b64 s[4:5], s[4:5], exec
	s_and_b64 s[8:9], s[8:9], exec
	s_or_b64 s[4:5], s[4:5], s[8:9]
	s_or_b64 exec, exec, s[6:7]
	s_and_saveexec_b64 s[6:7], s[4:5]
	s_cbranch_execnz .LBB54_911
	s_branch .LBB54_912
.LBB54_2961:
	s_movk_i32 s4, 0x80
	v_cmp_eq_u16_e32 vcc, s4, v11
	s_mov_b64 s[4:5], -1
                                        ; implicit-def: $sgpr10
	s_and_saveexec_b64 s[8:9], vcc
; %bb.2962:
	s_mov_b32 s10, 0x7f800001
	s_xor_b64 s[4:5], exec, -1
; %bb.2963:
	s_or_b64 exec, exec, s[8:9]
	s_and_b64 s[4:5], s[4:5], exec
                                        ; implicit-def: $vgpr11
	s_or_saveexec_b64 s[6:7], s[6:7]
	v_mov_b32_e32 v10, s10
	s_xor_b64 exec, exec, s[6:7]
	s_cbranch_execz .LBB54_914
.LBB54_2964:
	v_cmp_ne_u16_e32 vcc, 0, v11
	s_andn2_b64 s[4:5], s[4:5], exec
	s_and_b64 s[8:9], vcc, exec
	v_mov_b32_e32 v10, 0
	s_or_b64 s[4:5], s[4:5], s[8:9]
	s_or_b64 exec, exec, s[6:7]
	s_and_saveexec_b64 s[6:7], s[4:5]
	s_cbranch_execnz .LBB54_915
	s_branch .LBB54_916
.LBB54_2965:
	s_movk_i32 s4, 0x80
	v_cmp_eq_u16_e32 vcc, s4, v11
	s_mov_b64 s[4:5], -1
                                        ; implicit-def: $sgpr10
	s_and_saveexec_b64 s[8:9], vcc
; %bb.2966:
	s_mov_b32 s10, 0x7f800001
	s_xor_b64 s[4:5], exec, -1
; %bb.2967:
	s_or_b64 exec, exec, s[8:9]
	s_and_b64 s[4:5], s[4:5], exec
                                        ; implicit-def: $vgpr11
	s_or_saveexec_b64 s[6:7], s[6:7]
	v_mov_b32_e32 v12, s10
	s_xor_b64 exec, exec, s[6:7]
	s_cbranch_execz .LBB54_918
.LBB54_2968:
	v_cmp_ne_u16_e32 vcc, 0, v11
	s_andn2_b64 s[4:5], s[4:5], exec
	s_and_b64 s[8:9], vcc, exec
	v_mov_b32_e32 v12, 0
	s_or_b64 s[4:5], s[4:5], s[8:9]
	s_or_b64 exec, exec, s[6:7]
	s_and_saveexec_b64 s[6:7], s[4:5]
	s_cbranch_execnz .LBB54_919
	s_branch .LBB54_920
.LBB54_2969:
	s_movk_i32 s4, 0x80
	v_cmp_eq_u16_sdwa s[12:13], v6, s4 src0_sel:BYTE_3 src1_sel:DWORD
	s_mov_b64 s[4:5], -1
                                        ; implicit-def: $sgpr10
	s_and_saveexec_b64 s[8:9], s[12:13]
; %bb.2970:
	s_mov_b32 s10, 0x7f800001
	s_xor_b64 s[4:5], exec, -1
; %bb.2971:
	s_or_b64 exec, exec, s[8:9]
	s_and_b64 s[4:5], s[4:5], exec
	s_or_saveexec_b64 s[6:7], s[6:7]
	v_mov_b32_e32 v10, s10
	s_xor_b64 exec, exec, s[6:7]
	s_cbranch_execz .LBB54_922
.LBB54_2972:
	v_mov_b32_e32 v10, 0
	v_cmp_ne_u16_sdwa s[8:9], v6, v10 src0_sel:BYTE_3 src1_sel:DWORD
	s_andn2_b64 s[4:5], s[4:5], exec
	s_and_b64 s[8:9], s[8:9], exec
	s_or_b64 s[4:5], s[4:5], s[8:9]
	s_or_b64 exec, exec, s[6:7]
	s_and_saveexec_b64 s[6:7], s[4:5]
	s_cbranch_execnz .LBB54_923
	s_branch .LBB54_924
.LBB54_2973:
	s_movk_i32 s4, 0x80
	v_cmp_eq_u16_sdwa s[12:13], v2, s4 src0_sel:BYTE_3 src1_sel:DWORD
	s_mov_b64 s[4:5], -1
                                        ; implicit-def: $sgpr10
	s_and_saveexec_b64 s[8:9], s[12:13]
; %bb.2974:
	s_mov_b32 s10, 0x7f800001
	s_xor_b64 s[4:5], exec, -1
; %bb.2975:
	s_or_b64 exec, exec, s[8:9]
	s_and_b64 s[4:5], s[4:5], exec
	s_or_saveexec_b64 s[6:7], s[6:7]
	v_mov_b32_e32 v6, s10
	s_xor_b64 exec, exec, s[6:7]
	s_cbranch_execz .LBB54_926
.LBB54_2976:
	v_mov_b32_e32 v6, 0
	v_cmp_ne_u16_sdwa s[8:9], v2, v6 src0_sel:BYTE_3 src1_sel:DWORD
	s_andn2_b64 s[4:5], s[4:5], exec
	s_and_b64 s[8:9], s[8:9], exec
	s_or_b64 s[4:5], s[4:5], s[8:9]
	s_or_b64 exec, exec, s[6:7]
	s_and_saveexec_b64 s[6:7], s[4:5]
	s_cbranch_execnz .LBB54_927
	s_branch .LBB54_928
.LBB54_2977:
	s_movk_i32 s4, 0x80
	v_cmp_eq_u16_sdwa s[12:13], v7, s4 src0_sel:BYTE_0 src1_sel:DWORD
	s_mov_b64 s[4:5], -1
                                        ; implicit-def: $sgpr10
	s_and_saveexec_b64 s[8:9], s[12:13]
; %bb.2978:
	s_mov_b32 s10, 0x7f800001
	s_xor_b64 s[4:5], exec, -1
; %bb.2979:
	s_or_b64 exec, exec, s[8:9]
	s_and_b64 s[4:5], s[4:5], exec
	s_or_saveexec_b64 s[6:7], s[6:7]
	v_mov_b32_e32 v2, s10
	s_xor_b64 exec, exec, s[6:7]
	s_cbranch_execz .LBB54_930
.LBB54_2980:
	v_mov_b32_e32 v2, 0
	v_cmp_ne_u16_sdwa s[8:9], v7, v2 src0_sel:BYTE_0 src1_sel:DWORD
	s_andn2_b64 s[4:5], s[4:5], exec
	s_and_b64 s[8:9], s[8:9], exec
	s_or_b64 s[4:5], s[4:5], s[8:9]
	s_or_b64 exec, exec, s[6:7]
	s_and_saveexec_b64 s[6:7], s[4:5]
	s_cbranch_execnz .LBB54_931
	s_branch .LBB54_932
.LBB54_2981:
	s_movk_i32 s4, 0x80
	v_cmp_eq_u16_sdwa s[12:13], v3, s4 src0_sel:BYTE_0 src1_sel:DWORD
	s_mov_b64 s[4:5], -1
                                        ; implicit-def: $sgpr10
	s_and_saveexec_b64 s[8:9], s[12:13]
; %bb.2982:
	s_mov_b32 s10, 0x7f800001
	s_xor_b64 s[4:5], exec, -1
; %bb.2983:
	s_or_b64 exec, exec, s[8:9]
	s_and_b64 s[4:5], s[4:5], exec
	s_or_saveexec_b64 s[6:7], s[6:7]
	v_mov_b32_e32 v6, s10
	s_xor_b64 exec, exec, s[6:7]
	s_cbranch_execz .LBB54_934
.LBB54_2984:
	v_mov_b32_e32 v6, 0
	v_cmp_ne_u16_sdwa s[8:9], v3, v6 src0_sel:BYTE_0 src1_sel:DWORD
	s_andn2_b64 s[4:5], s[4:5], exec
	s_and_b64 s[8:9], s[8:9], exec
	s_or_b64 s[4:5], s[4:5], s[8:9]
	s_or_b64 exec, exec, s[6:7]
	s_and_saveexec_b64 s[6:7], s[4:5]
	s_cbranch_execnz .LBB54_935
	s_branch .LBB54_936
.LBB54_2985:
	s_movk_i32 s4, 0x80
	v_cmp_eq_u16_sdwa s[12:13], v6, s4 src0_sel:BYTE_0 src1_sel:DWORD
	s_mov_b64 s[4:5], -1
                                        ; implicit-def: $sgpr10
	s_and_saveexec_b64 s[8:9], s[12:13]
; %bb.2986:
	s_mov_b32 s10, 0x7f800001
	s_xor_b64 s[4:5], exec, -1
; %bb.2987:
	s_or_b64 exec, exec, s[8:9]
	s_and_b64 s[4:5], s[4:5], exec
	s_or_saveexec_b64 s[6:7], s[6:7]
	v_mov_b32_e32 v2, s10
	s_xor_b64 exec, exec, s[6:7]
	s_cbranch_execz .LBB54_938
.LBB54_2988:
	v_mov_b32_e32 v2, 0
	v_cmp_ne_u16_sdwa s[8:9], v6, v2 src0_sel:BYTE_0 src1_sel:DWORD
	s_andn2_b64 s[4:5], s[4:5], exec
	s_and_b64 s[8:9], s[8:9], exec
	s_or_b64 s[4:5], s[4:5], s[8:9]
	s_or_b64 exec, exec, s[6:7]
	s_and_saveexec_b64 s[6:7], s[4:5]
	s_cbranch_execnz .LBB54_939
	s_branch .LBB54_940
.LBB54_2989:
	s_movk_i32 s4, 0x80
	v_cmp_eq_u16_sdwa s[12:13], v6, s4 src0_sel:BYTE_0 src1_sel:DWORD
	s_mov_b64 s[4:5], -1
                                        ; implicit-def: $sgpr10
	s_and_saveexec_b64 s[8:9], s[12:13]
; %bb.2990:
	s_mov_b32 s10, 0x7f800001
	s_xor_b64 s[4:5], exec, -1
; %bb.2991:
	s_or_b64 exec, exec, s[8:9]
	s_and_b64 s[4:5], s[4:5], exec
	s_or_saveexec_b64 s[6:7], s[6:7]
	v_mov_b32_e32 v10, s10
	s_xor_b64 exec, exec, s[6:7]
	s_cbranch_execz .LBB54_942
.LBB54_2992:
	v_mov_b32_e32 v10, 0
	v_cmp_ne_u16_sdwa s[8:9], v6, v10 src0_sel:BYTE_0 src1_sel:DWORD
	s_andn2_b64 s[4:5], s[4:5], exec
	s_and_b64 s[8:9], s[8:9], exec
	s_or_b64 s[4:5], s[4:5], s[8:9]
	s_or_b64 exec, exec, s[6:7]
	s_and_saveexec_b64 s[6:7], s[4:5]
	s_cbranch_execnz .LBB54_943
	s_branch .LBB54_944
.LBB54_2993:
	s_movk_i32 s4, 0x80
	v_cmp_eq_u16_e32 vcc, s4, v6
	s_mov_b64 s[4:5], -1
                                        ; implicit-def: $sgpr10
	s_and_saveexec_b64 s[8:9], vcc
; %bb.2994:
	s_mov_b32 s10, 0x7f800001
	s_xor_b64 s[4:5], exec, -1
; %bb.2995:
	s_or_b64 exec, exec, s[8:9]
	s_and_b64 s[4:5], s[4:5], exec
                                        ; implicit-def: $vgpr6
	s_or_saveexec_b64 s[6:7], s[6:7]
	v_mov_b32_e32 v2, s10
	s_xor_b64 exec, exec, s[6:7]
	s_cbranch_execz .LBB54_946
.LBB54_2996:
	v_cmp_ne_u16_e32 vcc, 0, v6
	s_andn2_b64 s[4:5], s[4:5], exec
	s_and_b64 s[8:9], vcc, exec
	v_mov_b32_e32 v2, 0
	s_or_b64 s[4:5], s[4:5], s[8:9]
	s_or_b64 exec, exec, s[6:7]
	s_and_saveexec_b64 s[6:7], s[4:5]
	s_cbranch_execnz .LBB54_947
	s_branch .LBB54_948
.LBB54_2997:
	s_movk_i32 s4, 0x80
	v_cmp_eq_u16_e32 vcc, s4, v6
	s_mov_b64 s[4:5], -1
                                        ; implicit-def: $sgpr10
	s_and_saveexec_b64 s[8:9], vcc
; %bb.2998:
	s_mov_b32 s10, 0x7f800001
	s_xor_b64 s[4:5], exec, -1
; %bb.2999:
	s_or_b64 exec, exec, s[8:9]
	s_and_b64 s[4:5], s[4:5], exec
                                        ; implicit-def: $vgpr6
	s_or_saveexec_b64 s[6:7], s[6:7]
	v_mov_b32_e32 v10, s10
	s_xor_b64 exec, exec, s[6:7]
	s_cbranch_execz .LBB54_950
.LBB54_3000:
	v_cmp_ne_u16_e32 vcc, 0, v6
	s_andn2_b64 s[4:5], s[4:5], exec
	s_and_b64 s[8:9], vcc, exec
	v_mov_b32_e32 v10, 0
	s_or_b64 s[4:5], s[4:5], s[8:9]
	s_or_b64 exec, exec, s[6:7]
	s_and_saveexec_b64 s[6:7], s[4:5]
	s_cbranch_execnz .LBB54_951
	s_branch .LBB54_952
.LBB54_3001:
	s_movk_i32 s4, 0x80
	v_cmp_eq_u16_sdwa s[12:13], v7, s4 src0_sel:BYTE_3 src1_sel:DWORD
	s_mov_b64 s[4:5], -1
                                        ; implicit-def: $sgpr10
	s_and_saveexec_b64 s[8:9], s[12:13]
; %bb.3002:
	s_mov_b32 s10, 0x7f800001
	s_xor_b64 s[4:5], exec, -1
; %bb.3003:
	s_or_b64 exec, exec, s[8:9]
	s_and_b64 s[4:5], s[4:5], exec
	s_or_saveexec_b64 s[6:7], s[6:7]
	v_mov_b32_e32 v2, s10
	s_xor_b64 exec, exec, s[6:7]
	s_cbranch_execz .LBB54_954
.LBB54_3004:
	v_mov_b32_e32 v2, 0
	v_cmp_ne_u16_sdwa s[8:9], v7, v2 src0_sel:BYTE_3 src1_sel:DWORD
	s_andn2_b64 s[4:5], s[4:5], exec
	s_and_b64 s[8:9], s[8:9], exec
	s_or_b64 s[4:5], s[4:5], s[8:9]
	s_or_b64 exec, exec, s[6:7]
	s_and_saveexec_b64 s[6:7], s[4:5]
	s_cbranch_execnz .LBB54_955
	s_branch .LBB54_956
.LBB54_3005:
	s_movk_i32 s4, 0x80
	v_cmp_eq_u16_sdwa s[12:13], v3, s4 src0_sel:BYTE_3 src1_sel:DWORD
	s_mov_b64 s[4:5], -1
                                        ; implicit-def: $sgpr10
	s_and_saveexec_b64 s[8:9], s[12:13]
; %bb.3006:
	s_mov_b32 s10, 0x7f800001
	s_xor_b64 s[4:5], exec, -1
; %bb.3007:
	s_or_b64 exec, exec, s[8:9]
	s_and_b64 s[4:5], s[4:5], exec
	s_or_saveexec_b64 s[6:7], s[6:7]
	v_mov_b32_e32 v6, s10
	s_xor_b64 exec, exec, s[6:7]
	s_cbranch_execz .LBB54_958
.LBB54_3008:
	v_mov_b32_e32 v6, 0
	v_cmp_ne_u16_sdwa s[8:9], v3, v6 src0_sel:BYTE_3 src1_sel:DWORD
	s_andn2_b64 s[4:5], s[4:5], exec
	s_and_b64 s[8:9], s[8:9], exec
	s_or_b64 s[4:5], s[4:5], s[8:9]
	s_or_b64 exec, exec, s[6:7]
	s_and_saveexec_b64 s[6:7], s[4:5]
	s_cbranch_execnz .LBB54_959
	s_branch .LBB54_960
.LBB54_3009:
	s_movk_i32 s4, 0x80
	v_cmp_eq_u16_sdwa s[12:13], v8, s4 src0_sel:BYTE_0 src1_sel:DWORD
	s_mov_b64 s[4:5], -1
                                        ; implicit-def: $sgpr10
	s_and_saveexec_b64 s[8:9], s[12:13]
; %bb.3010:
	s_mov_b32 s10, 0x7f800001
	s_xor_b64 s[4:5], exec, -1
; %bb.3011:
	s_or_b64 exec, exec, s[8:9]
	s_and_b64 s[4:5], s[4:5], exec
	s_or_saveexec_b64 s[6:7], s[6:7]
	v_mov_b32_e32 v2, s10
	s_xor_b64 exec, exec, s[6:7]
	s_cbranch_execz .LBB54_962
.LBB54_3012:
	v_mov_b32_e32 v2, 0
	v_cmp_ne_u16_sdwa s[8:9], v8, v2 src0_sel:BYTE_0 src1_sel:DWORD
	s_andn2_b64 s[4:5], s[4:5], exec
	s_and_b64 s[8:9], s[8:9], exec
	s_or_b64 s[4:5], s[4:5], s[8:9]
	s_or_b64 exec, exec, s[6:7]
	s_and_saveexec_b64 s[6:7], s[4:5]
	s_cbranch_execnz .LBB54_963
	s_branch .LBB54_964
.LBB54_3013:
	s_movk_i32 s4, 0x80
	v_cmp_eq_u16_sdwa s[12:13], v4, s4 src0_sel:BYTE_0 src1_sel:DWORD
	s_mov_b64 s[4:5], -1
                                        ; implicit-def: $sgpr10
	s_and_saveexec_b64 s[8:9], s[12:13]
; %bb.3014:
	s_mov_b32 s10, 0x7f800001
	s_xor_b64 s[4:5], exec, -1
; %bb.3015:
	s_or_b64 exec, exec, s[8:9]
	s_and_b64 s[4:5], s[4:5], exec
	s_or_saveexec_b64 s[6:7], s[6:7]
	v_mov_b32_e32 v3, s10
	s_xor_b64 exec, exec, s[6:7]
	s_cbranch_execz .LBB54_966
.LBB54_3016:
	v_mov_b32_e32 v3, 0
	v_cmp_ne_u16_sdwa s[8:9], v4, v3 src0_sel:BYTE_0 src1_sel:DWORD
	s_andn2_b64 s[4:5], s[4:5], exec
	s_and_b64 s[8:9], s[8:9], exec
	s_or_b64 s[4:5], s[4:5], s[8:9]
	s_or_b64 exec, exec, s[6:7]
	s_and_saveexec_b64 s[6:7], s[4:5]
	s_cbranch_execnz .LBB54_967
	s_branch .LBB54_968
.LBB54_3017:
	s_movk_i32 s4, 0x80
	v_cmp_eq_u16_sdwa s[12:13], v3, s4 src0_sel:BYTE_0 src1_sel:DWORD
	s_mov_b64 s[4:5], -1
                                        ; implicit-def: $sgpr10
	s_and_saveexec_b64 s[8:9], s[12:13]
; %bb.3018:
	s_mov_b32 s10, 0x7f800001
	s_xor_b64 s[4:5], exec, -1
; %bb.3019:
	s_or_b64 exec, exec, s[8:9]
	s_and_b64 s[4:5], s[4:5], exec
	s_or_saveexec_b64 s[6:7], s[6:7]
	v_mov_b32_e32 v2, s10
	s_xor_b64 exec, exec, s[6:7]
	s_cbranch_execz .LBB54_970
.LBB54_3020:
	v_mov_b32_e32 v2, 0
	v_cmp_ne_u16_sdwa s[8:9], v3, v2 src0_sel:BYTE_0 src1_sel:DWORD
	s_andn2_b64 s[4:5], s[4:5], exec
	s_and_b64 s[8:9], s[8:9], exec
	s_or_b64 s[4:5], s[4:5], s[8:9]
	s_or_b64 exec, exec, s[6:7]
	s_and_saveexec_b64 s[6:7], s[4:5]
	s_cbranch_execnz .LBB54_971
	s_branch .LBB54_972
.LBB54_3021:
	s_movk_i32 s4, 0x80
	v_cmp_eq_u16_sdwa s[12:13], v3, s4 src0_sel:BYTE_0 src1_sel:DWORD
	s_mov_b64 s[4:5], -1
                                        ; implicit-def: $sgpr10
	s_and_saveexec_b64 s[8:9], s[12:13]
; %bb.3022:
	s_mov_b32 s10, 0x7f800001
	s_xor_b64 s[4:5], exec, -1
; %bb.3023:
	s_or_b64 exec, exec, s[8:9]
	s_and_b64 s[4:5], s[4:5], exec
	s_or_saveexec_b64 s[6:7], s[6:7]
	v_mov_b32_e32 v6, s10
	s_xor_b64 exec, exec, s[6:7]
	s_cbranch_execz .LBB54_974
.LBB54_3024:
	v_mov_b32_e32 v6, 0
	v_cmp_ne_u16_sdwa s[8:9], v3, v6 src0_sel:BYTE_0 src1_sel:DWORD
	s_andn2_b64 s[4:5], s[4:5], exec
	s_and_b64 s[8:9], s[8:9], exec
	s_or_b64 s[4:5], s[4:5], s[8:9]
	s_or_b64 exec, exec, s[6:7]
	s_and_saveexec_b64 s[6:7], s[4:5]
	s_cbranch_execnz .LBB54_975
	s_branch .LBB54_976
.LBB54_3025:
	s_movk_i32 s4, 0x80
	v_cmp_eq_u16_e32 vcc, s4, v3
	s_mov_b64 s[4:5], -1
                                        ; implicit-def: $sgpr10
	s_and_saveexec_b64 s[8:9], vcc
; %bb.3026:
	s_mov_b32 s10, 0x7f800001
	s_xor_b64 s[4:5], exec, -1
; %bb.3027:
	s_or_b64 exec, exec, s[8:9]
	s_and_b64 s[4:5], s[4:5], exec
                                        ; implicit-def: $vgpr3
	s_or_saveexec_b64 s[6:7], s[6:7]
	v_mov_b32_e32 v2, s10
	s_xor_b64 exec, exec, s[6:7]
	s_cbranch_execz .LBB54_978
.LBB54_3028:
	v_cmp_ne_u16_e32 vcc, 0, v3
	s_andn2_b64 s[4:5], s[4:5], exec
	s_and_b64 s[8:9], vcc, exec
	v_mov_b32_e32 v2, 0
	s_or_b64 s[4:5], s[4:5], s[8:9]
	s_or_b64 exec, exec, s[6:7]
	s_and_saveexec_b64 s[6:7], s[4:5]
	s_cbranch_execnz .LBB54_979
	s_branch .LBB54_980
.LBB54_3029:
	s_movk_i32 s4, 0x80
	v_cmp_eq_u16_e32 vcc, s4, v3
	s_mov_b64 s[4:5], -1
                                        ; implicit-def: $sgpr10
	s_and_saveexec_b64 s[8:9], vcc
; %bb.3030:
	s_mov_b32 s10, 0x7f800001
	s_xor_b64 s[4:5], exec, -1
; %bb.3031:
	s_or_b64 exec, exec, s[8:9]
	s_and_b64 s[4:5], s[4:5], exec
                                        ; implicit-def: $vgpr3
	s_or_saveexec_b64 s[6:7], s[6:7]
	v_mov_b32_e32 v6, s10
	s_xor_b64 exec, exec, s[6:7]
	s_cbranch_execz .LBB54_982
.LBB54_3032:
	v_cmp_ne_u16_e32 vcc, 0, v3
	s_andn2_b64 s[4:5], s[4:5], exec
	s_and_b64 s[8:9], vcc, exec
	v_mov_b32_e32 v6, 0
	s_or_b64 s[4:5], s[4:5], s[8:9]
	s_or_b64 exec, exec, s[6:7]
	s_and_saveexec_b64 s[6:7], s[4:5]
	s_cbranch_execnz .LBB54_983
	s_branch .LBB54_984
.LBB54_3033:
	s_movk_i32 s4, 0x80
	v_cmp_eq_u16_sdwa s[12:13], v8, s4 src0_sel:BYTE_3 src1_sel:DWORD
	s_mov_b64 s[4:5], -1
                                        ; implicit-def: $sgpr10
	s_and_saveexec_b64 s[8:9], s[12:13]
; %bb.3034:
	s_mov_b32 s10, 0x7f800001
	s_xor_b64 s[4:5], exec, -1
; %bb.3035:
	s_or_b64 exec, exec, s[8:9]
	s_and_b64 s[4:5], s[4:5], exec
	s_or_saveexec_b64 s[6:7], s[6:7]
	v_mov_b32_e32 v2, s10
	s_xor_b64 exec, exec, s[6:7]
	s_cbranch_execz .LBB54_986
.LBB54_3036:
	v_mov_b32_e32 v2, 0
	v_cmp_ne_u16_sdwa s[8:9], v8, v2 src0_sel:BYTE_3 src1_sel:DWORD
	s_andn2_b64 s[4:5], s[4:5], exec
	s_and_b64 s[8:9], s[8:9], exec
	s_or_b64 s[4:5], s[4:5], s[8:9]
	s_or_b64 exec, exec, s[6:7]
	s_and_saveexec_b64 s[6:7], s[4:5]
	s_cbranch_execnz .LBB54_987
	s_branch .LBB54_988
.LBB54_3037:
	s_movk_i32 s4, 0x80
	v_cmp_eq_u16_sdwa s[12:13], v4, s4 src0_sel:BYTE_3 src1_sel:DWORD
	s_mov_b64 s[4:5], -1
                                        ; implicit-def: $sgpr10
	s_and_saveexec_b64 s[8:9], s[12:13]
; %bb.3038:
	s_mov_b32 s10, 0x7f800001
	s_xor_b64 s[4:5], exec, -1
; %bb.3039:
	s_or_b64 exec, exec, s[8:9]
	s_and_b64 s[4:5], s[4:5], exec
	s_or_saveexec_b64 s[6:7], s[6:7]
	v_mov_b32_e32 v3, s10
	s_xor_b64 exec, exec, s[6:7]
	s_cbranch_execz .LBB54_990
.LBB54_3040:
	v_mov_b32_e32 v3, 0
	v_cmp_ne_u16_sdwa s[8:9], v4, v3 src0_sel:BYTE_3 src1_sel:DWORD
	s_andn2_b64 s[4:5], s[4:5], exec
	s_and_b64 s[8:9], s[8:9], exec
	s_or_b64 s[4:5], s[4:5], s[8:9]
	s_or_b64 exec, exec, s[6:7]
	s_and_saveexec_b64 s[6:7], s[4:5]
	s_cbranch_execnz .LBB54_991
	s_branch .LBB54_992
.LBB54_3041:
	s_movk_i32 s4, 0x80
	v_cmp_eq_u16_sdwa s[12:13], v9, s4 src0_sel:BYTE_0 src1_sel:DWORD
	s_mov_b64 s[4:5], -1
                                        ; implicit-def: $sgpr10
	s_and_saveexec_b64 s[8:9], s[12:13]
; %bb.3042:
	s_mov_b32 s10, 0x7f800001
	s_xor_b64 s[4:5], exec, -1
; %bb.3043:
	s_or_b64 exec, exec, s[8:9]
	s_and_b64 s[4:5], s[4:5], exec
	s_or_saveexec_b64 s[6:7], s[6:7]
	v_mov_b32_e32 v2, s10
	s_xor_b64 exec, exec, s[6:7]
	s_cbranch_execz .LBB54_994
.LBB54_3044:
	v_mov_b32_e32 v2, 0
	v_cmp_ne_u16_sdwa s[8:9], v9, v2 src0_sel:BYTE_0 src1_sel:DWORD
	s_andn2_b64 s[4:5], s[4:5], exec
	s_and_b64 s[8:9], s[8:9], exec
	s_or_b64 s[4:5], s[4:5], s[8:9]
	s_or_b64 exec, exec, s[6:7]
	s_and_saveexec_b64 s[6:7], s[4:5]
	s_cbranch_execnz .LBB54_995
	s_branch .LBB54_996
.LBB54_3045:
	s_movk_i32 s4, 0x80
	v_cmp_eq_u16_sdwa s[12:13], v5, s4 src0_sel:BYTE_0 src1_sel:DWORD
	s_mov_b64 s[4:5], -1
                                        ; implicit-def: $sgpr10
	s_and_saveexec_b64 s[8:9], s[12:13]
; %bb.3046:
	s_mov_b32 s10, 0x7f800001
	s_xor_b64 s[4:5], exec, -1
; %bb.3047:
	s_or_b64 exec, exec, s[8:9]
	s_and_b64 s[4:5], s[4:5], exec
	s_or_saveexec_b64 s[6:7], s[6:7]
	v_mov_b32_e32 v3, s10
	s_xor_b64 exec, exec, s[6:7]
	s_cbranch_execz .LBB54_998
.LBB54_3048:
	v_mov_b32_e32 v3, 0
	v_cmp_ne_u16_sdwa s[8:9], v5, v3 src0_sel:BYTE_0 src1_sel:DWORD
	s_andn2_b64 s[4:5], s[4:5], exec
	s_and_b64 s[8:9], s[8:9], exec
	s_or_b64 s[4:5], s[4:5], s[8:9]
	s_or_b64 exec, exec, s[6:7]
	s_and_saveexec_b64 s[6:7], s[4:5]
	s_cbranch_execnz .LBB54_999
	s_branch .LBB54_1000
.LBB54_3049:
	s_movk_i32 s4, 0x80
	v_cmp_eq_u16_sdwa s[12:13], v3, s4 src0_sel:BYTE_0 src1_sel:DWORD
	s_mov_b64 s[4:5], -1
                                        ; implicit-def: $sgpr10
	s_and_saveexec_b64 s[8:9], s[12:13]
; %bb.3050:
	s_mov_b32 s10, 0x7f800001
	s_xor_b64 s[4:5], exec, -1
; %bb.3051:
	s_or_b64 exec, exec, s[8:9]
	s_and_b64 s[4:5], s[4:5], exec
	s_or_saveexec_b64 s[6:7], s[6:7]
	v_mov_b32_e32 v2, s10
	s_xor_b64 exec, exec, s[6:7]
	s_cbranch_execz .LBB54_1002
.LBB54_3052:
	v_mov_b32_e32 v2, 0
	v_cmp_ne_u16_sdwa s[8:9], v3, v2 src0_sel:BYTE_0 src1_sel:DWORD
	s_andn2_b64 s[4:5], s[4:5], exec
	s_and_b64 s[8:9], s[8:9], exec
	s_or_b64 s[4:5], s[4:5], s[8:9]
	s_or_b64 exec, exec, s[6:7]
	s_and_saveexec_b64 s[6:7], s[4:5]
	s_cbranch_execnz .LBB54_1003
	s_branch .LBB54_1004
.LBB54_3053:
	s_movk_i32 s4, 0x80
	v_cmp_eq_u16_sdwa s[12:13], v3, s4 src0_sel:BYTE_0 src1_sel:DWORD
	s_mov_b64 s[4:5], -1
                                        ; implicit-def: $sgpr10
	s_and_saveexec_b64 s[8:9], s[12:13]
; %bb.3054:
	s_mov_b32 s10, 0x7f800001
	s_xor_b64 s[4:5], exec, -1
; %bb.3055:
	s_or_b64 exec, exec, s[8:9]
	s_and_b64 s[4:5], s[4:5], exec
	s_or_saveexec_b64 s[6:7], s[6:7]
	v_mov_b32_e32 v4, s10
	s_xor_b64 exec, exec, s[6:7]
	s_cbranch_execz .LBB54_1006
.LBB54_3056:
	v_mov_b32_e32 v4, 0
	v_cmp_ne_u16_sdwa s[8:9], v3, v4 src0_sel:BYTE_0 src1_sel:DWORD
	s_andn2_b64 s[4:5], s[4:5], exec
	s_and_b64 s[8:9], s[8:9], exec
	s_or_b64 s[4:5], s[4:5], s[8:9]
	s_or_b64 exec, exec, s[6:7]
	s_and_saveexec_b64 s[6:7], s[4:5]
	s_cbranch_execnz .LBB54_1007
	s_branch .LBB54_1008
.LBB54_3057:
	s_movk_i32 s4, 0x80
	v_cmp_eq_u16_e32 vcc, s4, v3
	s_mov_b64 s[4:5], -1
                                        ; implicit-def: $sgpr10
	s_and_saveexec_b64 s[8:9], vcc
; %bb.3058:
	s_mov_b32 s10, 0x7f800001
	s_xor_b64 s[4:5], exec, -1
; %bb.3059:
	s_or_b64 exec, exec, s[8:9]
	s_and_b64 s[4:5], s[4:5], exec
                                        ; implicit-def: $vgpr3
	s_or_saveexec_b64 s[6:7], s[6:7]
	v_mov_b32_e32 v2, s10
	s_xor_b64 exec, exec, s[6:7]
	s_cbranch_execz .LBB54_1010
.LBB54_3060:
	v_cmp_ne_u16_e32 vcc, 0, v3
	s_andn2_b64 s[4:5], s[4:5], exec
	s_and_b64 s[8:9], vcc, exec
	v_mov_b32_e32 v2, 0
	s_or_b64 s[4:5], s[4:5], s[8:9]
	s_or_b64 exec, exec, s[6:7]
	s_and_saveexec_b64 s[6:7], s[4:5]
	s_cbranch_execnz .LBB54_1011
	s_branch .LBB54_1012
.LBB54_3061:
	s_movk_i32 s4, 0x80
	v_cmp_eq_u16_e32 vcc, s4, v3
	s_mov_b64 s[4:5], -1
                                        ; implicit-def: $sgpr10
	s_and_saveexec_b64 s[8:9], vcc
; %bb.3062:
	s_mov_b32 s10, 0x7f800001
	s_xor_b64 s[4:5], exec, -1
; %bb.3063:
	s_or_b64 exec, exec, s[8:9]
	s_and_b64 s[4:5], s[4:5], exec
                                        ; implicit-def: $vgpr3
	s_or_saveexec_b64 s[6:7], s[6:7]
	v_mov_b32_e32 v4, s10
	s_xor_b64 exec, exec, s[6:7]
	s_cbranch_execz .LBB54_1014
.LBB54_3064:
	v_cmp_ne_u16_e32 vcc, 0, v3
	s_andn2_b64 s[4:5], s[4:5], exec
	s_and_b64 s[8:9], vcc, exec
	v_mov_b32_e32 v4, 0
	s_or_b64 s[4:5], s[4:5], s[8:9]
	s_or_b64 exec, exec, s[6:7]
	s_and_saveexec_b64 s[6:7], s[4:5]
	s_cbranch_execnz .LBB54_1015
	s_branch .LBB54_1016
.LBB54_3065:
	s_movk_i32 s4, 0x80
	v_cmp_eq_u16_sdwa s[12:13], v9, s4 src0_sel:BYTE_3 src1_sel:DWORD
	s_mov_b64 s[4:5], -1
                                        ; implicit-def: $sgpr10
	s_and_saveexec_b64 s[8:9], s[12:13]
; %bb.3066:
	s_mov_b32 s10, 0x7f800001
	s_xor_b64 s[4:5], exec, -1
; %bb.3067:
	s_or_b64 exec, exec, s[8:9]
	s_and_b64 s[4:5], s[4:5], exec
	s_or_saveexec_b64 s[6:7], s[6:7]
	v_mov_b32_e32 v2, s10
	s_xor_b64 exec, exec, s[6:7]
	s_cbranch_execz .LBB54_1018
.LBB54_3068:
	v_mov_b32_e32 v2, 0
	v_cmp_ne_u16_sdwa s[8:9], v9, v2 src0_sel:BYTE_3 src1_sel:DWORD
	s_andn2_b64 s[4:5], s[4:5], exec
	s_and_b64 s[8:9], s[8:9], exec
	s_or_b64 s[4:5], s[4:5], s[8:9]
	s_or_b64 exec, exec, s[6:7]
	s_and_saveexec_b64 s[6:7], s[4:5]
	s_cbranch_execnz .LBB54_1019
	s_branch .LBB54_1020
.LBB54_3069:
	s_movk_i32 s4, 0x80
	v_cmp_eq_u16_sdwa s[12:13], v5, s4 src0_sel:BYTE_3 src1_sel:DWORD
	s_mov_b64 s[4:5], -1
                                        ; implicit-def: $sgpr10
	s_and_saveexec_b64 s[8:9], s[12:13]
; %bb.3070:
	s_mov_b32 s10, 0x7f800001
	s_xor_b64 s[4:5], exec, -1
; %bb.3071:
	s_or_b64 exec, exec, s[8:9]
	s_and_b64 s[4:5], s[4:5], exec
	s_or_saveexec_b64 s[6:7], s[6:7]
	v_mov_b32_e32 v3, s10
	s_xor_b64 exec, exec, s[6:7]
	s_cbranch_execz .LBB54_1022
.LBB54_3072:
	v_mov_b32_e32 v3, 0
	v_cmp_ne_u16_sdwa s[8:9], v5, v3 src0_sel:BYTE_3 src1_sel:DWORD
	s_andn2_b64 s[4:5], s[4:5], exec
	s_and_b64 s[8:9], s[8:9], exec
	s_or_b64 s[4:5], s[4:5], s[8:9]
	s_or_b64 exec, exec, s[6:7]
	s_and_saveexec_b64 s[6:7], s[4:5]
	s_cbranch_execnz .LBB54_1023
	s_branch .LBB54_1024
.LBB54_3073:
	s_movk_i32 s4, 0x80
	v_cmp_eq_u16_sdwa s[12:13], v14, s4 src0_sel:BYTE_0 src1_sel:DWORD
	s_mov_b64 s[4:5], -1
                                        ; implicit-def: $sgpr10
	s_and_saveexec_b64 s[8:9], s[12:13]
; %bb.3074:
	s_mov_b32 s10, 0x7f800001
	s_xor_b64 s[4:5], exec, -1
; %bb.3075:
	s_or_b64 exec, exec, s[8:9]
	s_and_b64 s[4:5], s[4:5], exec
	s_or_saveexec_b64 s[6:7], s[6:7]
	v_mov_b32_e32 v20, s10
	s_xor_b64 exec, exec, s[6:7]
	s_cbranch_execz .LBB54_1026
.LBB54_3076:
	v_mov_b32_e32 v20, 0
	v_cmp_ne_u16_sdwa s[8:9], v14, v20 src0_sel:BYTE_0 src1_sel:DWORD
	s_andn2_b64 s[4:5], s[4:5], exec
	s_and_b64 s[8:9], s[8:9], exec
	s_or_b64 s[4:5], s[4:5], s[8:9]
	s_or_b64 exec, exec, s[6:7]
	s_and_saveexec_b64 s[6:7], s[4:5]
	s_cbranch_execnz .LBB54_1027
	s_branch .LBB54_1028
.LBB54_3077:
	s_movk_i32 s4, 0x80
	v_cmp_eq_u16_sdwa s[12:13], v10, s4 src0_sel:BYTE_0 src1_sel:DWORD
	s_mov_b64 s[4:5], -1
                                        ; implicit-def: $sgpr10
	s_and_saveexec_b64 s[8:9], s[12:13]
; %bb.3078:
	s_mov_b32 s10, 0x7f800001
	s_xor_b64 s[4:5], exec, -1
; %bb.3079:
	s_or_b64 exec, exec, s[8:9]
	s_and_b64 s[4:5], s[4:5], exec
	s_or_saveexec_b64 s[6:7], s[6:7]
	v_mov_b32_e32 v21, s10
	s_xor_b64 exec, exec, s[6:7]
	s_cbranch_execz .LBB54_1030
.LBB54_3080:
	v_mov_b32_e32 v21, 0
	v_cmp_ne_u16_sdwa s[8:9], v10, v21 src0_sel:BYTE_0 src1_sel:DWORD
	s_andn2_b64 s[4:5], s[4:5], exec
	s_and_b64 s[8:9], s[8:9], exec
	s_or_b64 s[4:5], s[4:5], s[8:9]
	s_or_b64 exec, exec, s[6:7]
	s_and_saveexec_b64 s[6:7], s[4:5]
	s_cbranch_execnz .LBB54_1031
	s_branch .LBB54_1032
.LBB54_3081:
	s_movk_i32 s4, 0x80
	v_cmp_eq_u16_sdwa s[12:13], v21, s4 src0_sel:BYTE_0 src1_sel:DWORD
	s_mov_b64 s[4:5], -1
                                        ; implicit-def: $sgpr10
	s_and_saveexec_b64 s[8:9], s[12:13]
; %bb.3082:
	s_mov_b32 s10, 0x7f800001
	s_xor_b64 s[4:5], exec, -1
; %bb.3083:
	s_or_b64 exec, exec, s[8:9]
	s_and_b64 s[4:5], s[4:5], exec
	s_or_saveexec_b64 s[6:7], s[6:7]
	v_mov_b32_e32 v20, s10
	s_xor_b64 exec, exec, s[6:7]
	s_cbranch_execz .LBB54_1034
.LBB54_3084:
	v_mov_b32_e32 v20, 0
	v_cmp_ne_u16_sdwa s[8:9], v21, v20 src0_sel:BYTE_0 src1_sel:DWORD
	s_andn2_b64 s[4:5], s[4:5], exec
	s_and_b64 s[8:9], s[8:9], exec
	s_or_b64 s[4:5], s[4:5], s[8:9]
	s_or_b64 exec, exec, s[6:7]
	s_and_saveexec_b64 s[6:7], s[4:5]
	s_cbranch_execnz .LBB54_1035
	s_branch .LBB54_1036
.LBB54_3085:
	s_movk_i32 s4, 0x80
	v_cmp_eq_u16_sdwa s[12:13], v21, s4 src0_sel:BYTE_0 src1_sel:DWORD
	s_mov_b64 s[4:5], -1
                                        ; implicit-def: $sgpr10
	s_and_saveexec_b64 s[8:9], s[12:13]
; %bb.3086:
	s_mov_b32 s10, 0x7f800001
	s_xor_b64 s[4:5], exec, -1
; %bb.3087:
	s_or_b64 exec, exec, s[8:9]
	s_and_b64 s[4:5], s[4:5], exec
	s_or_saveexec_b64 s[6:7], s[6:7]
	v_mov_b32_e32 v22, s10
	s_xor_b64 exec, exec, s[6:7]
	s_cbranch_execz .LBB54_1038
.LBB54_3088:
	v_mov_b32_e32 v22, 0
	v_cmp_ne_u16_sdwa s[8:9], v21, v22 src0_sel:BYTE_0 src1_sel:DWORD
	s_andn2_b64 s[4:5], s[4:5], exec
	s_and_b64 s[8:9], s[8:9], exec
	s_or_b64 s[4:5], s[4:5], s[8:9]
	s_or_b64 exec, exec, s[6:7]
	s_and_saveexec_b64 s[6:7], s[4:5]
	s_cbranch_execnz .LBB54_1039
	s_branch .LBB54_1040
.LBB54_3089:
	s_movk_i32 s4, 0x80
	v_cmp_eq_u16_e32 vcc, s4, v21
	s_mov_b64 s[4:5], -1
                                        ; implicit-def: $sgpr10
	s_and_saveexec_b64 s[8:9], vcc
; %bb.3090:
	s_mov_b32 s10, 0x7f800001
	s_xor_b64 s[4:5], exec, -1
; %bb.3091:
	s_or_b64 exec, exec, s[8:9]
	s_and_b64 s[4:5], s[4:5], exec
                                        ; implicit-def: $vgpr21
	s_or_saveexec_b64 s[6:7], s[6:7]
	v_mov_b32_e32 v20, s10
	s_xor_b64 exec, exec, s[6:7]
	s_cbranch_execz .LBB54_1042
.LBB54_3092:
	v_cmp_ne_u16_e32 vcc, 0, v21
	s_andn2_b64 s[4:5], s[4:5], exec
	s_and_b64 s[8:9], vcc, exec
	v_mov_b32_e32 v20, 0
	s_or_b64 s[4:5], s[4:5], s[8:9]
	s_or_b64 exec, exec, s[6:7]
	s_and_saveexec_b64 s[6:7], s[4:5]
	s_cbranch_execnz .LBB54_1043
	s_branch .LBB54_1044
.LBB54_3093:
	s_movk_i32 s4, 0x80
	v_cmp_eq_u16_e32 vcc, s4, v21
	s_mov_b64 s[4:5], -1
                                        ; implicit-def: $sgpr10
	s_and_saveexec_b64 s[8:9], vcc
; %bb.3094:
	s_mov_b32 s10, 0x7f800001
	s_xor_b64 s[4:5], exec, -1
; %bb.3095:
	s_or_b64 exec, exec, s[8:9]
	s_and_b64 s[4:5], s[4:5], exec
                                        ; implicit-def: $vgpr21
	s_or_saveexec_b64 s[6:7], s[6:7]
	v_mov_b32_e32 v22, s10
	s_xor_b64 exec, exec, s[6:7]
	s_cbranch_execz .LBB54_1046
.LBB54_3096:
	v_cmp_ne_u16_e32 vcc, 0, v21
	s_andn2_b64 s[4:5], s[4:5], exec
	s_and_b64 s[8:9], vcc, exec
	v_mov_b32_e32 v22, 0
	s_or_b64 s[4:5], s[4:5], s[8:9]
	s_or_b64 exec, exec, s[6:7]
	s_and_saveexec_b64 s[6:7], s[4:5]
	s_cbranch_execnz .LBB54_1047
	s_branch .LBB54_1048
.LBB54_3097:
	s_movk_i32 s4, 0x80
	v_cmp_eq_u16_sdwa s[12:13], v14, s4 src0_sel:BYTE_3 src1_sel:DWORD
	s_mov_b64 s[4:5], -1
                                        ; implicit-def: $sgpr10
	s_and_saveexec_b64 s[8:9], s[12:13]
; %bb.3098:
	s_mov_b32 s10, 0x7f800001
	s_xor_b64 s[4:5], exec, -1
; %bb.3099:
	s_or_b64 exec, exec, s[8:9]
	s_and_b64 s[4:5], s[4:5], exec
	s_or_saveexec_b64 s[6:7], s[6:7]
	v_mov_b32_e32 v20, s10
	s_xor_b64 exec, exec, s[6:7]
	s_cbranch_execz .LBB54_1050
.LBB54_3100:
	v_mov_b32_e32 v20, 0
	v_cmp_ne_u16_sdwa s[8:9], v14, v20 src0_sel:BYTE_3 src1_sel:DWORD
	s_andn2_b64 s[4:5], s[4:5], exec
	s_and_b64 s[8:9], s[8:9], exec
	s_or_b64 s[4:5], s[4:5], s[8:9]
	s_or_b64 exec, exec, s[6:7]
	s_and_saveexec_b64 s[6:7], s[4:5]
	s_cbranch_execnz .LBB54_1051
	s_branch .LBB54_1052
.LBB54_3101:
	s_movk_i32 s4, 0x80
	v_cmp_eq_u16_sdwa s[12:13], v10, s4 src0_sel:BYTE_3 src1_sel:DWORD
	s_mov_b64 s[4:5], -1
                                        ; implicit-def: $sgpr10
	s_and_saveexec_b64 s[8:9], s[12:13]
; %bb.3102:
	s_mov_b32 s10, 0x7f800001
	s_xor_b64 s[4:5], exec, -1
; %bb.3103:
	s_or_b64 exec, exec, s[8:9]
	s_and_b64 s[4:5], s[4:5], exec
	s_or_saveexec_b64 s[6:7], s[6:7]
	v_mov_b32_e32 v14, s10
	s_xor_b64 exec, exec, s[6:7]
	s_cbranch_execz .LBB54_1054
.LBB54_3104:
	v_mov_b32_e32 v14, 0
	v_cmp_ne_u16_sdwa s[8:9], v10, v14 src0_sel:BYTE_3 src1_sel:DWORD
	s_andn2_b64 s[4:5], s[4:5], exec
	s_and_b64 s[8:9], s[8:9], exec
	s_or_b64 s[4:5], s[4:5], s[8:9]
	s_or_b64 exec, exec, s[6:7]
	s_and_saveexec_b64 s[6:7], s[4:5]
	s_cbranch_execnz .LBB54_1055
	s_branch .LBB54_1056
.LBB54_3105:
	s_movk_i32 s4, 0x80
	v_cmp_eq_u16_sdwa s[12:13], v15, s4 src0_sel:BYTE_0 src1_sel:DWORD
	s_mov_b64 s[4:5], -1
                                        ; implicit-def: $sgpr10
	s_and_saveexec_b64 s[8:9], s[12:13]
; %bb.3106:
	s_mov_b32 s10, 0x7f800001
	s_xor_b64 s[4:5], exec, -1
; %bb.3107:
	s_or_b64 exec, exec, s[8:9]
	s_and_b64 s[4:5], s[4:5], exec
	s_or_saveexec_b64 s[6:7], s[6:7]
	v_mov_b32_e32 v10, s10
	s_xor_b64 exec, exec, s[6:7]
	s_cbranch_execz .LBB54_1058
.LBB54_3108:
	v_mov_b32_e32 v10, 0
	v_cmp_ne_u16_sdwa s[8:9], v15, v10 src0_sel:BYTE_0 src1_sel:DWORD
	s_andn2_b64 s[4:5], s[4:5], exec
	s_and_b64 s[8:9], s[8:9], exec
	s_or_b64 s[4:5], s[4:5], s[8:9]
	s_or_b64 exec, exec, s[6:7]
	s_and_saveexec_b64 s[6:7], s[4:5]
	s_cbranch_execnz .LBB54_1059
	s_branch .LBB54_1060
.LBB54_3109:
	s_movk_i32 s4, 0x80
	v_cmp_eq_u16_sdwa s[12:13], v11, s4 src0_sel:BYTE_0 src1_sel:DWORD
	s_mov_b64 s[4:5], -1
                                        ; implicit-def: $sgpr10
	s_and_saveexec_b64 s[8:9], s[12:13]
; %bb.3110:
	s_mov_b32 s10, 0x7f800001
	s_xor_b64 s[4:5], exec, -1
; %bb.3111:
	s_or_b64 exec, exec, s[8:9]
	s_and_b64 s[4:5], s[4:5], exec
	s_or_saveexec_b64 s[6:7], s[6:7]
	v_mov_b32_e32 v14, s10
	s_xor_b64 exec, exec, s[6:7]
	s_cbranch_execz .LBB54_1062
.LBB54_3112:
	v_mov_b32_e32 v14, 0
	v_cmp_ne_u16_sdwa s[8:9], v11, v14 src0_sel:BYTE_0 src1_sel:DWORD
	s_andn2_b64 s[4:5], s[4:5], exec
	s_and_b64 s[8:9], s[8:9], exec
	s_or_b64 s[4:5], s[4:5], s[8:9]
	s_or_b64 exec, exec, s[6:7]
	s_and_saveexec_b64 s[6:7], s[4:5]
	s_cbranch_execnz .LBB54_1063
	s_branch .LBB54_1064
.LBB54_3113:
	s_movk_i32 s4, 0x80
	v_cmp_eq_u16_sdwa s[12:13], v14, s4 src0_sel:BYTE_0 src1_sel:DWORD
	s_mov_b64 s[4:5], -1
                                        ; implicit-def: $sgpr10
	s_and_saveexec_b64 s[8:9], s[12:13]
; %bb.3114:
	s_mov_b32 s10, 0x7f800001
	s_xor_b64 s[4:5], exec, -1
; %bb.3115:
	s_or_b64 exec, exec, s[8:9]
	s_and_b64 s[4:5], s[4:5], exec
	s_or_saveexec_b64 s[6:7], s[6:7]
	v_mov_b32_e32 v10, s10
	s_xor_b64 exec, exec, s[6:7]
	s_cbranch_execz .LBB54_1066
.LBB54_3116:
	v_mov_b32_e32 v10, 0
	v_cmp_ne_u16_sdwa s[8:9], v14, v10 src0_sel:BYTE_0 src1_sel:DWORD
	s_andn2_b64 s[4:5], s[4:5], exec
	s_and_b64 s[8:9], s[8:9], exec
	s_or_b64 s[4:5], s[4:5], s[8:9]
	s_or_b64 exec, exec, s[6:7]
	s_and_saveexec_b64 s[6:7], s[4:5]
	s_cbranch_execnz .LBB54_1067
	s_branch .LBB54_1068
.LBB54_3117:
	s_movk_i32 s4, 0x80
	v_cmp_eq_u16_sdwa s[12:13], v14, s4 src0_sel:BYTE_0 src1_sel:DWORD
	s_mov_b64 s[4:5], -1
                                        ; implicit-def: $sgpr10
	s_and_saveexec_b64 s[8:9], s[12:13]
; %bb.3118:
	s_mov_b32 s10, 0x7f800001
	s_xor_b64 s[4:5], exec, -1
; %bb.3119:
	s_or_b64 exec, exec, s[8:9]
	s_and_b64 s[4:5], s[4:5], exec
	s_or_saveexec_b64 s[6:7], s[6:7]
	v_mov_b32_e32 v20, s10
	s_xor_b64 exec, exec, s[6:7]
	s_cbranch_execz .LBB54_1070
.LBB54_3120:
	v_mov_b32_e32 v20, 0
	v_cmp_ne_u16_sdwa s[8:9], v14, v20 src0_sel:BYTE_0 src1_sel:DWORD
	s_andn2_b64 s[4:5], s[4:5], exec
	s_and_b64 s[8:9], s[8:9], exec
	s_or_b64 s[4:5], s[4:5], s[8:9]
	s_or_b64 exec, exec, s[6:7]
	s_and_saveexec_b64 s[6:7], s[4:5]
	s_cbranch_execnz .LBB54_1071
	s_branch .LBB54_1072
.LBB54_3121:
	s_movk_i32 s4, 0x80
	v_cmp_eq_u16_e32 vcc, s4, v14
	s_mov_b64 s[4:5], -1
                                        ; implicit-def: $sgpr10
	s_and_saveexec_b64 s[8:9], vcc
; %bb.3122:
	s_mov_b32 s10, 0x7f800001
	s_xor_b64 s[4:5], exec, -1
; %bb.3123:
	s_or_b64 exec, exec, s[8:9]
	s_and_b64 s[4:5], s[4:5], exec
                                        ; implicit-def: $vgpr14
	s_or_saveexec_b64 s[6:7], s[6:7]
	v_mov_b32_e32 v10, s10
	s_xor_b64 exec, exec, s[6:7]
	s_cbranch_execz .LBB54_1074
.LBB54_3124:
	v_cmp_ne_u16_e32 vcc, 0, v14
	s_andn2_b64 s[4:5], s[4:5], exec
	s_and_b64 s[8:9], vcc, exec
	v_mov_b32_e32 v10, 0
	s_or_b64 s[4:5], s[4:5], s[8:9]
	s_or_b64 exec, exec, s[6:7]
	s_and_saveexec_b64 s[6:7], s[4:5]
	s_cbranch_execnz .LBB54_1075
	s_branch .LBB54_1076
.LBB54_3125:
	s_movk_i32 s4, 0x80
	v_cmp_eq_u16_e32 vcc, s4, v14
	s_mov_b64 s[4:5], -1
                                        ; implicit-def: $sgpr10
	s_and_saveexec_b64 s[8:9], vcc
; %bb.3126:
	s_mov_b32 s10, 0x7f800001
	s_xor_b64 s[4:5], exec, -1
; %bb.3127:
	s_or_b64 exec, exec, s[8:9]
	s_and_b64 s[4:5], s[4:5], exec
                                        ; implicit-def: $vgpr14
	s_or_saveexec_b64 s[6:7], s[6:7]
	v_mov_b32_e32 v20, s10
	s_xor_b64 exec, exec, s[6:7]
	s_cbranch_execz .LBB54_1078
.LBB54_3128:
	v_cmp_ne_u16_e32 vcc, 0, v14
	s_andn2_b64 s[4:5], s[4:5], exec
	s_and_b64 s[8:9], vcc, exec
	v_mov_b32_e32 v20, 0
	s_or_b64 s[4:5], s[4:5], s[8:9]
	s_or_b64 exec, exec, s[6:7]
	s_and_saveexec_b64 s[6:7], s[4:5]
	s_cbranch_execnz .LBB54_1079
	s_branch .LBB54_1080
.LBB54_3129:
	s_movk_i32 s4, 0x80
	v_cmp_eq_u16_sdwa s[12:13], v15, s4 src0_sel:BYTE_3 src1_sel:DWORD
	s_mov_b64 s[4:5], -1
                                        ; implicit-def: $sgpr10
	s_and_saveexec_b64 s[8:9], s[12:13]
; %bb.3130:
	s_mov_b32 s10, 0x7f800001
	s_xor_b64 s[4:5], exec, -1
; %bb.3131:
	s_or_b64 exec, exec, s[8:9]
	s_and_b64 s[4:5], s[4:5], exec
	s_or_saveexec_b64 s[6:7], s[6:7]
	v_mov_b32_e32 v10, s10
	s_xor_b64 exec, exec, s[6:7]
	s_cbranch_execz .LBB54_1082
.LBB54_3132:
	v_mov_b32_e32 v10, 0
	v_cmp_ne_u16_sdwa s[8:9], v15, v10 src0_sel:BYTE_3 src1_sel:DWORD
	s_andn2_b64 s[4:5], s[4:5], exec
	s_and_b64 s[8:9], s[8:9], exec
	s_or_b64 s[4:5], s[4:5], s[8:9]
	s_or_b64 exec, exec, s[6:7]
	s_and_saveexec_b64 s[6:7], s[4:5]
	s_cbranch_execnz .LBB54_1083
	s_branch .LBB54_1084
.LBB54_3133:
	s_movk_i32 s4, 0x80
	v_cmp_eq_u16_sdwa s[12:13], v11, s4 src0_sel:BYTE_3 src1_sel:DWORD
	s_mov_b64 s[4:5], -1
                                        ; implicit-def: $sgpr10
	s_and_saveexec_b64 s[8:9], s[12:13]
; %bb.3134:
	s_mov_b32 s10, 0x7f800001
	s_xor_b64 s[4:5], exec, -1
; %bb.3135:
	s_or_b64 exec, exec, s[8:9]
	s_and_b64 s[4:5], s[4:5], exec
	s_or_saveexec_b64 s[6:7], s[6:7]
	v_mov_b32_e32 v14, s10
	s_xor_b64 exec, exec, s[6:7]
	s_cbranch_execz .LBB54_1086
.LBB54_3136:
	v_mov_b32_e32 v14, 0
	v_cmp_ne_u16_sdwa s[8:9], v11, v14 src0_sel:BYTE_3 src1_sel:DWORD
	s_andn2_b64 s[4:5], s[4:5], exec
	s_and_b64 s[8:9], s[8:9], exec
	s_or_b64 s[4:5], s[4:5], s[8:9]
	s_or_b64 exec, exec, s[6:7]
	s_and_saveexec_b64 s[6:7], s[4:5]
	s_cbranch_execnz .LBB54_1087
	s_branch .LBB54_1088
.LBB54_3137:
	s_movk_i32 s4, 0x80
	v_cmp_eq_u16_sdwa s[12:13], v16, s4 src0_sel:BYTE_0 src1_sel:DWORD
	s_mov_b64 s[4:5], -1
                                        ; implicit-def: $sgpr10
	s_and_saveexec_b64 s[8:9], s[12:13]
; %bb.3138:
	s_mov_b32 s10, 0x7f800001
	s_xor_b64 s[4:5], exec, -1
; %bb.3139:
	s_or_b64 exec, exec, s[8:9]
	s_and_b64 s[4:5], s[4:5], exec
	s_or_saveexec_b64 s[6:7], s[6:7]
	v_mov_b32_e32 v10, s10
	s_xor_b64 exec, exec, s[6:7]
	s_cbranch_execz .LBB54_1090
.LBB54_3140:
	v_mov_b32_e32 v10, 0
	v_cmp_ne_u16_sdwa s[8:9], v16, v10 src0_sel:BYTE_0 src1_sel:DWORD
	s_andn2_b64 s[4:5], s[4:5], exec
	s_and_b64 s[8:9], s[8:9], exec
	s_or_b64 s[4:5], s[4:5], s[8:9]
	s_or_b64 exec, exec, s[6:7]
	s_and_saveexec_b64 s[6:7], s[4:5]
	s_cbranch_execnz .LBB54_1091
	s_branch .LBB54_1092
.LBB54_3141:
	s_movk_i32 s4, 0x80
	v_cmp_eq_u16_sdwa s[12:13], v12, s4 src0_sel:BYTE_0 src1_sel:DWORD
	s_mov_b64 s[4:5], -1
                                        ; implicit-def: $sgpr10
	s_and_saveexec_b64 s[8:9], s[12:13]
; %bb.3142:
	s_mov_b32 s10, 0x7f800001
	s_xor_b64 s[4:5], exec, -1
; %bb.3143:
	s_or_b64 exec, exec, s[8:9]
	s_and_b64 s[4:5], s[4:5], exec
	s_or_saveexec_b64 s[6:7], s[6:7]
	v_mov_b32_e32 v11, s10
	s_xor_b64 exec, exec, s[6:7]
	s_cbranch_execz .LBB54_1094
.LBB54_3144:
	v_mov_b32_e32 v11, 0
	v_cmp_ne_u16_sdwa s[8:9], v12, v11 src0_sel:BYTE_0 src1_sel:DWORD
	s_andn2_b64 s[4:5], s[4:5], exec
	s_and_b64 s[8:9], s[8:9], exec
	s_or_b64 s[4:5], s[4:5], s[8:9]
	s_or_b64 exec, exec, s[6:7]
	s_and_saveexec_b64 s[6:7], s[4:5]
	s_cbranch_execnz .LBB54_1095
	s_branch .LBB54_1096
.LBB54_3145:
	s_movk_i32 s4, 0x80
	v_cmp_eq_u16_sdwa s[12:13], v11, s4 src0_sel:BYTE_0 src1_sel:DWORD
	s_mov_b64 s[4:5], -1
                                        ; implicit-def: $sgpr10
	s_and_saveexec_b64 s[8:9], s[12:13]
; %bb.3146:
	s_mov_b32 s10, 0x7f800001
	s_xor_b64 s[4:5], exec, -1
; %bb.3147:
	s_or_b64 exec, exec, s[8:9]
	s_and_b64 s[4:5], s[4:5], exec
	s_or_saveexec_b64 s[6:7], s[6:7]
	v_mov_b32_e32 v10, s10
	s_xor_b64 exec, exec, s[6:7]
	s_cbranch_execz .LBB54_1098
.LBB54_3148:
	v_mov_b32_e32 v10, 0
	v_cmp_ne_u16_sdwa s[8:9], v11, v10 src0_sel:BYTE_0 src1_sel:DWORD
	s_andn2_b64 s[4:5], s[4:5], exec
	s_and_b64 s[8:9], s[8:9], exec
	s_or_b64 s[4:5], s[4:5], s[8:9]
	s_or_b64 exec, exec, s[6:7]
	s_and_saveexec_b64 s[6:7], s[4:5]
	s_cbranch_execnz .LBB54_1099
	s_branch .LBB54_1100
.LBB54_3149:
	s_movk_i32 s4, 0x80
	v_cmp_eq_u16_sdwa s[12:13], v11, s4 src0_sel:BYTE_0 src1_sel:DWORD
	s_mov_b64 s[4:5], -1
                                        ; implicit-def: $sgpr10
	s_and_saveexec_b64 s[8:9], s[12:13]
; %bb.3150:
	s_mov_b32 s10, 0x7f800001
	s_xor_b64 s[4:5], exec, -1
; %bb.3151:
	s_or_b64 exec, exec, s[8:9]
	s_and_b64 s[4:5], s[4:5], exec
	s_or_saveexec_b64 s[6:7], s[6:7]
	v_mov_b32_e32 v14, s10
	s_xor_b64 exec, exec, s[6:7]
	s_cbranch_execz .LBB54_1102
.LBB54_3152:
	v_mov_b32_e32 v14, 0
	v_cmp_ne_u16_sdwa s[8:9], v11, v14 src0_sel:BYTE_0 src1_sel:DWORD
	s_andn2_b64 s[4:5], s[4:5], exec
	s_and_b64 s[8:9], s[8:9], exec
	s_or_b64 s[4:5], s[4:5], s[8:9]
	s_or_b64 exec, exec, s[6:7]
	s_and_saveexec_b64 s[6:7], s[4:5]
	s_cbranch_execnz .LBB54_1103
	s_branch .LBB54_1104
.LBB54_3153:
	s_movk_i32 s4, 0x80
	v_cmp_eq_u16_e32 vcc, s4, v11
	s_mov_b64 s[4:5], -1
                                        ; implicit-def: $sgpr10
	s_and_saveexec_b64 s[8:9], vcc
; %bb.3154:
	s_mov_b32 s10, 0x7f800001
	s_xor_b64 s[4:5], exec, -1
; %bb.3155:
	s_or_b64 exec, exec, s[8:9]
	s_and_b64 s[4:5], s[4:5], exec
                                        ; implicit-def: $vgpr11
	s_or_saveexec_b64 s[6:7], s[6:7]
	v_mov_b32_e32 v10, s10
	s_xor_b64 exec, exec, s[6:7]
	s_cbranch_execz .LBB54_1106
.LBB54_3156:
	v_cmp_ne_u16_e32 vcc, 0, v11
	s_andn2_b64 s[4:5], s[4:5], exec
	s_and_b64 s[8:9], vcc, exec
	v_mov_b32_e32 v10, 0
	s_or_b64 s[4:5], s[4:5], s[8:9]
	s_or_b64 exec, exec, s[6:7]
	s_and_saveexec_b64 s[6:7], s[4:5]
	s_cbranch_execnz .LBB54_1107
	s_branch .LBB54_1108
.LBB54_3157:
	s_movk_i32 s4, 0x80
	v_cmp_eq_u16_e32 vcc, s4, v11
	s_mov_b64 s[4:5], -1
                                        ; implicit-def: $sgpr10
	s_and_saveexec_b64 s[8:9], vcc
; %bb.3158:
	s_mov_b32 s10, 0x7f800001
	s_xor_b64 s[4:5], exec, -1
; %bb.3159:
	s_or_b64 exec, exec, s[8:9]
	s_and_b64 s[4:5], s[4:5], exec
                                        ; implicit-def: $vgpr11
	s_or_saveexec_b64 s[6:7], s[6:7]
	v_mov_b32_e32 v14, s10
	s_xor_b64 exec, exec, s[6:7]
	s_cbranch_execz .LBB54_1110
.LBB54_3160:
	v_cmp_ne_u16_e32 vcc, 0, v11
	s_andn2_b64 s[4:5], s[4:5], exec
	s_and_b64 s[8:9], vcc, exec
	v_mov_b32_e32 v14, 0
	s_or_b64 s[4:5], s[4:5], s[8:9]
	s_or_b64 exec, exec, s[6:7]
	s_and_saveexec_b64 s[6:7], s[4:5]
	s_cbranch_execnz .LBB54_1111
	s_branch .LBB54_1112
.LBB54_3161:
	s_movk_i32 s4, 0x80
	v_cmp_eq_u16_sdwa s[12:13], v16, s4 src0_sel:BYTE_3 src1_sel:DWORD
	s_mov_b64 s[4:5], -1
                                        ; implicit-def: $sgpr10
	s_and_saveexec_b64 s[8:9], s[12:13]
; %bb.3162:
	s_mov_b32 s10, 0x7f800001
	s_xor_b64 s[4:5], exec, -1
; %bb.3163:
	s_or_b64 exec, exec, s[8:9]
	s_and_b64 s[4:5], s[4:5], exec
	s_or_saveexec_b64 s[6:7], s[6:7]
	v_mov_b32_e32 v10, s10
	s_xor_b64 exec, exec, s[6:7]
	s_cbranch_execz .LBB54_1114
.LBB54_3164:
	v_mov_b32_e32 v10, 0
	v_cmp_ne_u16_sdwa s[8:9], v16, v10 src0_sel:BYTE_3 src1_sel:DWORD
	s_andn2_b64 s[4:5], s[4:5], exec
	s_and_b64 s[8:9], s[8:9], exec
	s_or_b64 s[4:5], s[4:5], s[8:9]
	s_or_b64 exec, exec, s[6:7]
	s_and_saveexec_b64 s[6:7], s[4:5]
	s_cbranch_execnz .LBB54_1115
	s_branch .LBB54_1116
.LBB54_3165:
	s_movk_i32 s4, 0x80
	v_cmp_eq_u16_sdwa s[12:13], v12, s4 src0_sel:BYTE_3 src1_sel:DWORD
	s_mov_b64 s[4:5], -1
                                        ; implicit-def: $sgpr10
	s_and_saveexec_b64 s[8:9], s[12:13]
; %bb.3166:
	s_mov_b32 s10, 0x7f800001
	s_xor_b64 s[4:5], exec, -1
; %bb.3167:
	s_or_b64 exec, exec, s[8:9]
	s_and_b64 s[4:5], s[4:5], exec
	s_or_saveexec_b64 s[6:7], s[6:7]
	v_mov_b32_e32 v11, s10
	s_xor_b64 exec, exec, s[6:7]
	s_cbranch_execz .LBB54_1118
.LBB54_3168:
	v_mov_b32_e32 v11, 0
	v_cmp_ne_u16_sdwa s[8:9], v12, v11 src0_sel:BYTE_3 src1_sel:DWORD
	s_andn2_b64 s[4:5], s[4:5], exec
	s_and_b64 s[8:9], s[8:9], exec
	s_or_b64 s[4:5], s[4:5], s[8:9]
	s_or_b64 exec, exec, s[6:7]
	s_and_saveexec_b64 s[6:7], s[4:5]
	s_cbranch_execnz .LBB54_1119
	s_branch .LBB54_1120
.LBB54_3169:
	s_movk_i32 s4, 0x80
	v_cmp_eq_u16_sdwa s[12:13], v17, s4 src0_sel:BYTE_0 src1_sel:DWORD
	s_mov_b64 s[4:5], -1
                                        ; implicit-def: $sgpr10
	s_and_saveexec_b64 s[8:9], s[12:13]
; %bb.3170:
	s_mov_b32 s10, 0x7f800001
	s_xor_b64 s[4:5], exec, -1
; %bb.3171:
	s_or_b64 exec, exec, s[8:9]
	s_and_b64 s[4:5], s[4:5], exec
	s_or_saveexec_b64 s[6:7], s[6:7]
	v_mov_b32_e32 v10, s10
	s_xor_b64 exec, exec, s[6:7]
	s_cbranch_execz .LBB54_1122
.LBB54_3172:
	v_mov_b32_e32 v10, 0
	v_cmp_ne_u16_sdwa s[8:9], v17, v10 src0_sel:BYTE_0 src1_sel:DWORD
	s_andn2_b64 s[4:5], s[4:5], exec
	s_and_b64 s[8:9], s[8:9], exec
	s_or_b64 s[4:5], s[4:5], s[8:9]
	s_or_b64 exec, exec, s[6:7]
	s_and_saveexec_b64 s[6:7], s[4:5]
	s_cbranch_execnz .LBB54_1123
	s_branch .LBB54_1124
.LBB54_3173:
	s_movk_i32 s4, 0x80
	v_cmp_eq_u16_sdwa s[12:13], v13, s4 src0_sel:BYTE_0 src1_sel:DWORD
	s_mov_b64 s[4:5], -1
                                        ; implicit-def: $sgpr10
	s_and_saveexec_b64 s[8:9], s[12:13]
; %bb.3174:
	s_mov_b32 s10, 0x7f800001
	s_xor_b64 s[4:5], exec, -1
; %bb.3175:
	s_or_b64 exec, exec, s[8:9]
	s_and_b64 s[4:5], s[4:5], exec
	s_or_saveexec_b64 s[6:7], s[6:7]
	v_mov_b32_e32 v11, s10
	s_xor_b64 exec, exec, s[6:7]
	s_cbranch_execz .LBB54_1126
.LBB54_3176:
	v_mov_b32_e32 v11, 0
	v_cmp_ne_u16_sdwa s[8:9], v13, v11 src0_sel:BYTE_0 src1_sel:DWORD
	s_andn2_b64 s[4:5], s[4:5], exec
	s_and_b64 s[8:9], s[8:9], exec
	s_or_b64 s[4:5], s[4:5], s[8:9]
	s_or_b64 exec, exec, s[6:7]
	s_and_saveexec_b64 s[6:7], s[4:5]
	s_cbranch_execnz .LBB54_1127
	s_branch .LBB54_1128
.LBB54_3177:
	s_movk_i32 s4, 0x80
	v_cmp_eq_u16_sdwa s[12:13], v11, s4 src0_sel:BYTE_0 src1_sel:DWORD
	s_mov_b64 s[4:5], -1
                                        ; implicit-def: $sgpr10
	s_and_saveexec_b64 s[8:9], s[12:13]
; %bb.3178:
	s_mov_b32 s10, 0x7f800001
	s_xor_b64 s[4:5], exec, -1
; %bb.3179:
	s_or_b64 exec, exec, s[8:9]
	s_and_b64 s[4:5], s[4:5], exec
	s_or_saveexec_b64 s[6:7], s[6:7]
	v_mov_b32_e32 v10, s10
	s_xor_b64 exec, exec, s[6:7]
	s_cbranch_execz .LBB54_1130
.LBB54_3180:
	v_mov_b32_e32 v10, 0
	v_cmp_ne_u16_sdwa s[8:9], v11, v10 src0_sel:BYTE_0 src1_sel:DWORD
	s_andn2_b64 s[4:5], s[4:5], exec
	s_and_b64 s[8:9], s[8:9], exec
	s_or_b64 s[4:5], s[4:5], s[8:9]
	s_or_b64 exec, exec, s[6:7]
	s_and_saveexec_b64 s[6:7], s[4:5]
	s_cbranch_execnz .LBB54_1131
	s_branch .LBB54_1132
.LBB54_3181:
	s_movk_i32 s4, 0x80
	v_cmp_eq_u16_sdwa s[12:13], v11, s4 src0_sel:BYTE_0 src1_sel:DWORD
	s_mov_b64 s[4:5], -1
                                        ; implicit-def: $sgpr10
	s_and_saveexec_b64 s[8:9], s[12:13]
; %bb.3182:
	s_mov_b32 s10, 0x7f800001
	s_xor_b64 s[4:5], exec, -1
; %bb.3183:
	s_or_b64 exec, exec, s[8:9]
	s_and_b64 s[4:5], s[4:5], exec
	s_or_saveexec_b64 s[6:7], s[6:7]
	v_mov_b32_e32 v12, s10
	s_xor_b64 exec, exec, s[6:7]
	s_cbranch_execz .LBB54_1134
.LBB54_3184:
	v_mov_b32_e32 v12, 0
	v_cmp_ne_u16_sdwa s[8:9], v11, v12 src0_sel:BYTE_0 src1_sel:DWORD
	s_andn2_b64 s[4:5], s[4:5], exec
	s_and_b64 s[8:9], s[8:9], exec
	s_or_b64 s[4:5], s[4:5], s[8:9]
	s_or_b64 exec, exec, s[6:7]
	s_and_saveexec_b64 s[6:7], s[4:5]
	s_cbranch_execnz .LBB54_1135
	s_branch .LBB54_1136
.LBB54_3185:
	s_movk_i32 s4, 0x80
	v_cmp_eq_u16_e32 vcc, s4, v11
	s_mov_b64 s[4:5], -1
                                        ; implicit-def: $sgpr10
	s_and_saveexec_b64 s[8:9], vcc
; %bb.3186:
	s_mov_b32 s10, 0x7f800001
	s_xor_b64 s[4:5], exec, -1
; %bb.3187:
	s_or_b64 exec, exec, s[8:9]
	s_and_b64 s[4:5], s[4:5], exec
                                        ; implicit-def: $vgpr11
	s_or_saveexec_b64 s[6:7], s[6:7]
	v_mov_b32_e32 v10, s10
	s_xor_b64 exec, exec, s[6:7]
	s_cbranch_execz .LBB54_1138
.LBB54_3188:
	v_cmp_ne_u16_e32 vcc, 0, v11
	s_andn2_b64 s[4:5], s[4:5], exec
	s_and_b64 s[8:9], vcc, exec
	v_mov_b32_e32 v10, 0
	s_or_b64 s[4:5], s[4:5], s[8:9]
	s_or_b64 exec, exec, s[6:7]
	s_and_saveexec_b64 s[6:7], s[4:5]
	s_cbranch_execnz .LBB54_1139
	s_branch .LBB54_1140
.LBB54_3189:
	s_movk_i32 s4, 0x80
	v_cmp_eq_u16_e32 vcc, s4, v11
	s_mov_b64 s[4:5], -1
                                        ; implicit-def: $sgpr10
	s_and_saveexec_b64 s[8:9], vcc
; %bb.3190:
	s_mov_b32 s10, 0x7f800001
	s_xor_b64 s[4:5], exec, -1
; %bb.3191:
	s_or_b64 exec, exec, s[8:9]
	s_and_b64 s[4:5], s[4:5], exec
                                        ; implicit-def: $vgpr11
	s_or_saveexec_b64 s[6:7], s[6:7]
	v_mov_b32_e32 v12, s10
	s_xor_b64 exec, exec, s[6:7]
	s_cbranch_execz .LBB54_1142
.LBB54_3192:
	v_cmp_ne_u16_e32 vcc, 0, v11
	s_andn2_b64 s[4:5], s[4:5], exec
	s_and_b64 s[8:9], vcc, exec
	v_mov_b32_e32 v12, 0
	s_or_b64 s[4:5], s[4:5], s[8:9]
	s_or_b64 exec, exec, s[6:7]
	s_and_saveexec_b64 s[6:7], s[4:5]
	s_cbranch_execnz .LBB54_1143
	s_branch .LBB54_1144
.LBB54_3193:
	s_movk_i32 s4, 0x80
	v_cmp_eq_u16_sdwa s[12:13], v17, s4 src0_sel:BYTE_3 src1_sel:DWORD
	s_mov_b64 s[4:5], -1
                                        ; implicit-def: $sgpr10
	s_and_saveexec_b64 s[8:9], s[12:13]
; %bb.3194:
	s_mov_b32 s10, 0x7f800001
	s_xor_b64 s[4:5], exec, -1
; %bb.3195:
	s_or_b64 exec, exec, s[8:9]
	s_and_b64 s[4:5], s[4:5], exec
	s_or_saveexec_b64 s[6:7], s[6:7]
	v_mov_b32_e32 v10, s10
	s_xor_b64 exec, exec, s[6:7]
	s_cbranch_execz .LBB54_1146
.LBB54_3196:
	v_mov_b32_e32 v10, 0
	v_cmp_ne_u16_sdwa s[8:9], v17, v10 src0_sel:BYTE_3 src1_sel:DWORD
	s_andn2_b64 s[4:5], s[4:5], exec
	s_and_b64 s[8:9], s[8:9], exec
	s_or_b64 s[4:5], s[4:5], s[8:9]
	s_or_b64 exec, exec, s[6:7]
	s_and_saveexec_b64 s[6:7], s[4:5]
	s_cbranch_execnz .LBB54_1147
	s_branch .LBB54_1148
.LBB54_3197:
	s_movk_i32 s4, 0x80
	v_cmp_eq_u16_sdwa s[12:13], v13, s4 src0_sel:BYTE_3 src1_sel:DWORD
	s_mov_b64 s[4:5], -1
                                        ; implicit-def: $sgpr10
	s_and_saveexec_b64 s[8:9], s[12:13]
; %bb.3198:
	s_mov_b32 s10, 0x7f800001
	s_xor_b64 s[4:5], exec, -1
; %bb.3199:
	s_or_b64 exec, exec, s[8:9]
	s_and_b64 s[4:5], s[4:5], exec
	s_or_saveexec_b64 s[6:7], s[6:7]
	v_mov_b32_e32 v11, s10
	s_xor_b64 exec, exec, s[6:7]
	s_cbranch_execz .LBB54_1150
.LBB54_3200:
	v_mov_b32_e32 v11, 0
	v_cmp_ne_u16_sdwa s[8:9], v13, v11 src0_sel:BYTE_3 src1_sel:DWORD
	s_andn2_b64 s[4:5], s[4:5], exec
	s_and_b64 s[8:9], s[8:9], exec
	s_or_b64 s[4:5], s[4:5], s[8:9]
	s_or_b64 exec, exec, s[6:7]
	s_and_saveexec_b64 s[6:7], s[4:5]
	s_cbranch_execnz .LBB54_1151
	s_branch .LBB54_1152
.LBB54_3201:
	s_movk_i32 s4, 0x80
	v_cmp_eq_u16_sdwa s[12:13], v6, s4 src0_sel:BYTE_0 src1_sel:DWORD
	s_mov_b64 s[4:5], -1
                                        ; implicit-def: $sgpr10
	s_and_saveexec_b64 s[8:9], s[12:13]
; %bb.3202:
	s_mov_b32 s10, 0x7f800001
	s_xor_b64 s[4:5], exec, -1
; %bb.3203:
	s_or_b64 exec, exec, s[8:9]
	s_and_b64 s[4:5], s[4:5], exec
	s_or_saveexec_b64 s[6:7], s[6:7]
	v_mov_b32_e32 v10, s10
	s_xor_b64 exec, exec, s[6:7]
	s_cbranch_execz .LBB54_1154
.LBB54_3204:
	v_mov_b32_e32 v10, 0
	v_cmp_ne_u16_sdwa s[8:9], v6, v10 src0_sel:BYTE_0 src1_sel:DWORD
	s_andn2_b64 s[4:5], s[4:5], exec
	s_and_b64 s[8:9], s[8:9], exec
	s_or_b64 s[4:5], s[4:5], s[8:9]
	s_or_b64 exec, exec, s[6:7]
	s_and_saveexec_b64 s[6:7], s[4:5]
	s_cbranch_execnz .LBB54_1155
	s_branch .LBB54_1156
.LBB54_3205:
	s_movk_i32 s4, 0x80
	v_cmp_eq_u16_sdwa s[12:13], v2, s4 src0_sel:BYTE_0 src1_sel:DWORD
	s_mov_b64 s[4:5], -1
                                        ; implicit-def: $sgpr10
	s_and_saveexec_b64 s[8:9], s[12:13]
; %bb.3206:
	s_mov_b32 s10, 0x7f800001
	s_xor_b64 s[4:5], exec, -1
; %bb.3207:
	s_or_b64 exec, exec, s[8:9]
	s_and_b64 s[4:5], s[4:5], exec
	s_or_saveexec_b64 s[6:7], s[6:7]
	v_mov_b32_e32 v11, s10
	s_xor_b64 exec, exec, s[6:7]
	s_cbranch_execz .LBB54_1158
.LBB54_3208:
	v_mov_b32_e32 v11, 0
	v_cmp_ne_u16_sdwa s[8:9], v2, v11 src0_sel:BYTE_0 src1_sel:DWORD
	s_andn2_b64 s[4:5], s[4:5], exec
	s_and_b64 s[8:9], s[8:9], exec
	s_or_b64 s[4:5], s[4:5], s[8:9]
	s_or_b64 exec, exec, s[6:7]
	s_and_saveexec_b64 s[6:7], s[4:5]
	s_cbranch_execnz .LBB54_1159
	s_branch .LBB54_1160
.LBB54_3209:
	s_movk_i32 s4, 0x80
	v_cmp_eq_u16_sdwa s[12:13], v11, s4 src0_sel:BYTE_0 src1_sel:DWORD
	s_mov_b64 s[4:5], -1
                                        ; implicit-def: $sgpr10
	s_and_saveexec_b64 s[8:9], s[12:13]
; %bb.3210:
	s_mov_b32 s10, 0x7f800001
	s_xor_b64 s[4:5], exec, -1
; %bb.3211:
	s_or_b64 exec, exec, s[8:9]
	s_and_b64 s[4:5], s[4:5], exec
	s_or_saveexec_b64 s[6:7], s[6:7]
	v_mov_b32_e32 v10, s10
	s_xor_b64 exec, exec, s[6:7]
	s_cbranch_execz .LBB54_1162
.LBB54_3212:
	v_mov_b32_e32 v10, 0
	v_cmp_ne_u16_sdwa s[8:9], v11, v10 src0_sel:BYTE_0 src1_sel:DWORD
	s_andn2_b64 s[4:5], s[4:5], exec
	s_and_b64 s[8:9], s[8:9], exec
	s_or_b64 s[4:5], s[4:5], s[8:9]
	s_or_b64 exec, exec, s[6:7]
	s_and_saveexec_b64 s[6:7], s[4:5]
	s_cbranch_execnz .LBB54_1163
	s_branch .LBB54_1164
.LBB54_3213:
	s_movk_i32 s4, 0x80
	v_cmp_eq_u16_sdwa s[12:13], v11, s4 src0_sel:BYTE_0 src1_sel:DWORD
	s_mov_b64 s[4:5], -1
                                        ; implicit-def: $sgpr10
	s_and_saveexec_b64 s[8:9], s[12:13]
; %bb.3214:
	s_mov_b32 s10, 0x7f800001
	s_xor_b64 s[4:5], exec, -1
; %bb.3215:
	s_or_b64 exec, exec, s[8:9]
	s_and_b64 s[4:5], s[4:5], exec
	s_or_saveexec_b64 s[6:7], s[6:7]
	v_mov_b32_e32 v12, s10
	s_xor_b64 exec, exec, s[6:7]
	s_cbranch_execz .LBB54_1166
.LBB54_3216:
	v_mov_b32_e32 v12, 0
	v_cmp_ne_u16_sdwa s[8:9], v11, v12 src0_sel:BYTE_0 src1_sel:DWORD
	s_andn2_b64 s[4:5], s[4:5], exec
	s_and_b64 s[8:9], s[8:9], exec
	s_or_b64 s[4:5], s[4:5], s[8:9]
	s_or_b64 exec, exec, s[6:7]
	s_and_saveexec_b64 s[6:7], s[4:5]
	s_cbranch_execnz .LBB54_1167
	s_branch .LBB54_1168
.LBB54_3217:
	s_movk_i32 s4, 0x80
	v_cmp_eq_u16_e32 vcc, s4, v11
	s_mov_b64 s[4:5], -1
                                        ; implicit-def: $sgpr10
	s_and_saveexec_b64 s[8:9], vcc
; %bb.3218:
	s_mov_b32 s10, 0x7f800001
	s_xor_b64 s[4:5], exec, -1
; %bb.3219:
	s_or_b64 exec, exec, s[8:9]
	s_and_b64 s[4:5], s[4:5], exec
                                        ; implicit-def: $vgpr11
	s_or_saveexec_b64 s[6:7], s[6:7]
	v_mov_b32_e32 v10, s10
	s_xor_b64 exec, exec, s[6:7]
	s_cbranch_execz .LBB54_1170
.LBB54_3220:
	v_cmp_ne_u16_e32 vcc, 0, v11
	s_andn2_b64 s[4:5], s[4:5], exec
	s_and_b64 s[8:9], vcc, exec
	v_mov_b32_e32 v10, 0
	s_or_b64 s[4:5], s[4:5], s[8:9]
	s_or_b64 exec, exec, s[6:7]
	s_and_saveexec_b64 s[6:7], s[4:5]
	s_cbranch_execnz .LBB54_1171
	s_branch .LBB54_1172
.LBB54_3221:
	s_movk_i32 s4, 0x80
	v_cmp_eq_u16_e32 vcc, s4, v11
	s_mov_b64 s[4:5], -1
                                        ; implicit-def: $sgpr10
	s_and_saveexec_b64 s[8:9], vcc
; %bb.3222:
	s_mov_b32 s10, 0x7f800001
	s_xor_b64 s[4:5], exec, -1
; %bb.3223:
	s_or_b64 exec, exec, s[8:9]
	s_and_b64 s[4:5], s[4:5], exec
                                        ; implicit-def: $vgpr11
	s_or_saveexec_b64 s[6:7], s[6:7]
	v_mov_b32_e32 v12, s10
	s_xor_b64 exec, exec, s[6:7]
	s_cbranch_execz .LBB54_1174
.LBB54_3224:
	v_cmp_ne_u16_e32 vcc, 0, v11
	s_andn2_b64 s[4:5], s[4:5], exec
	s_and_b64 s[8:9], vcc, exec
	v_mov_b32_e32 v12, 0
	s_or_b64 s[4:5], s[4:5], s[8:9]
	s_or_b64 exec, exec, s[6:7]
	s_and_saveexec_b64 s[6:7], s[4:5]
	s_cbranch_execnz .LBB54_1175
	s_branch .LBB54_1176
.LBB54_3225:
	s_movk_i32 s4, 0x80
	v_cmp_eq_u16_sdwa s[12:13], v6, s4 src0_sel:BYTE_3 src1_sel:DWORD
	s_mov_b64 s[4:5], -1
                                        ; implicit-def: $sgpr10
	s_and_saveexec_b64 s[8:9], s[12:13]
; %bb.3226:
	s_mov_b32 s10, 0x7f800001
	s_xor_b64 s[4:5], exec, -1
; %bb.3227:
	s_or_b64 exec, exec, s[8:9]
	s_and_b64 s[4:5], s[4:5], exec
	s_or_saveexec_b64 s[6:7], s[6:7]
	v_mov_b32_e32 v10, s10
	s_xor_b64 exec, exec, s[6:7]
	s_cbranch_execz .LBB54_1178
.LBB54_3228:
	v_mov_b32_e32 v10, 0
	v_cmp_ne_u16_sdwa s[8:9], v6, v10 src0_sel:BYTE_3 src1_sel:DWORD
	s_andn2_b64 s[4:5], s[4:5], exec
	s_and_b64 s[8:9], s[8:9], exec
	s_or_b64 s[4:5], s[4:5], s[8:9]
	s_or_b64 exec, exec, s[6:7]
	s_and_saveexec_b64 s[6:7], s[4:5]
	s_cbranch_execnz .LBB54_1179
	s_branch .LBB54_1180
.LBB54_3229:
	s_movk_i32 s4, 0x80
	v_cmp_eq_u16_sdwa s[12:13], v2, s4 src0_sel:BYTE_3 src1_sel:DWORD
	s_mov_b64 s[4:5], -1
                                        ; implicit-def: $sgpr10
	s_and_saveexec_b64 s[8:9], s[12:13]
; %bb.3230:
	s_mov_b32 s10, 0x7f800001
	s_xor_b64 s[4:5], exec, -1
; %bb.3231:
	s_or_b64 exec, exec, s[8:9]
	s_and_b64 s[4:5], s[4:5], exec
	s_or_saveexec_b64 s[6:7], s[6:7]
	v_mov_b32_e32 v6, s10
	s_xor_b64 exec, exec, s[6:7]
	s_cbranch_execz .LBB54_1182
.LBB54_3232:
	v_mov_b32_e32 v6, 0
	v_cmp_ne_u16_sdwa s[8:9], v2, v6 src0_sel:BYTE_3 src1_sel:DWORD
	s_andn2_b64 s[4:5], s[4:5], exec
	s_and_b64 s[8:9], s[8:9], exec
	s_or_b64 s[4:5], s[4:5], s[8:9]
	s_or_b64 exec, exec, s[6:7]
	s_and_saveexec_b64 s[6:7], s[4:5]
	s_cbranch_execnz .LBB54_1183
	s_branch .LBB54_1184
.LBB54_3233:
	s_movk_i32 s4, 0x80
	v_cmp_eq_u16_sdwa s[12:13], v7, s4 src0_sel:BYTE_0 src1_sel:DWORD
	s_mov_b64 s[4:5], -1
                                        ; implicit-def: $sgpr10
	s_and_saveexec_b64 s[8:9], s[12:13]
; %bb.3234:
	s_mov_b32 s10, 0x7f800001
	s_xor_b64 s[4:5], exec, -1
; %bb.3235:
	s_or_b64 exec, exec, s[8:9]
	s_and_b64 s[4:5], s[4:5], exec
	s_or_saveexec_b64 s[6:7], s[6:7]
	v_mov_b32_e32 v2, s10
	s_xor_b64 exec, exec, s[6:7]
	s_cbranch_execz .LBB54_1186
.LBB54_3236:
	v_mov_b32_e32 v2, 0
	v_cmp_ne_u16_sdwa s[8:9], v7, v2 src0_sel:BYTE_0 src1_sel:DWORD
	s_andn2_b64 s[4:5], s[4:5], exec
	s_and_b64 s[8:9], s[8:9], exec
	s_or_b64 s[4:5], s[4:5], s[8:9]
	s_or_b64 exec, exec, s[6:7]
	s_and_saveexec_b64 s[6:7], s[4:5]
	s_cbranch_execnz .LBB54_1187
	s_branch .LBB54_1188
.LBB54_3237:
	s_movk_i32 s4, 0x80
	v_cmp_eq_u16_sdwa s[12:13], v3, s4 src0_sel:BYTE_0 src1_sel:DWORD
	s_mov_b64 s[4:5], -1
                                        ; implicit-def: $sgpr10
	s_and_saveexec_b64 s[8:9], s[12:13]
; %bb.3238:
	s_mov_b32 s10, 0x7f800001
	s_xor_b64 s[4:5], exec, -1
; %bb.3239:
	s_or_b64 exec, exec, s[8:9]
	s_and_b64 s[4:5], s[4:5], exec
	s_or_saveexec_b64 s[6:7], s[6:7]
	v_mov_b32_e32 v6, s10
	s_xor_b64 exec, exec, s[6:7]
	s_cbranch_execz .LBB54_1190
.LBB54_3240:
	v_mov_b32_e32 v6, 0
	v_cmp_ne_u16_sdwa s[8:9], v3, v6 src0_sel:BYTE_0 src1_sel:DWORD
	s_andn2_b64 s[4:5], s[4:5], exec
	s_and_b64 s[8:9], s[8:9], exec
	s_or_b64 s[4:5], s[4:5], s[8:9]
	s_or_b64 exec, exec, s[6:7]
	s_and_saveexec_b64 s[6:7], s[4:5]
	s_cbranch_execnz .LBB54_1191
	s_branch .LBB54_1192
.LBB54_3241:
	s_movk_i32 s4, 0x80
	v_cmp_eq_u16_sdwa s[12:13], v6, s4 src0_sel:BYTE_0 src1_sel:DWORD
	s_mov_b64 s[4:5], -1
                                        ; implicit-def: $sgpr10
	s_and_saveexec_b64 s[8:9], s[12:13]
; %bb.3242:
	s_mov_b32 s10, 0x7f800001
	s_xor_b64 s[4:5], exec, -1
; %bb.3243:
	s_or_b64 exec, exec, s[8:9]
	s_and_b64 s[4:5], s[4:5], exec
	s_or_saveexec_b64 s[6:7], s[6:7]
	v_mov_b32_e32 v2, s10
	s_xor_b64 exec, exec, s[6:7]
	s_cbranch_execz .LBB54_1194
.LBB54_3244:
	v_mov_b32_e32 v2, 0
	v_cmp_ne_u16_sdwa s[8:9], v6, v2 src0_sel:BYTE_0 src1_sel:DWORD
	s_andn2_b64 s[4:5], s[4:5], exec
	s_and_b64 s[8:9], s[8:9], exec
	s_or_b64 s[4:5], s[4:5], s[8:9]
	s_or_b64 exec, exec, s[6:7]
	s_and_saveexec_b64 s[6:7], s[4:5]
	s_cbranch_execnz .LBB54_1195
	s_branch .LBB54_1196
.LBB54_3245:
	s_movk_i32 s4, 0x80
	v_cmp_eq_u16_sdwa s[12:13], v6, s4 src0_sel:BYTE_0 src1_sel:DWORD
	s_mov_b64 s[4:5], -1
                                        ; implicit-def: $sgpr10
	s_and_saveexec_b64 s[8:9], s[12:13]
; %bb.3246:
	s_mov_b32 s10, 0x7f800001
	s_xor_b64 s[4:5], exec, -1
; %bb.3247:
	s_or_b64 exec, exec, s[8:9]
	s_and_b64 s[4:5], s[4:5], exec
	s_or_saveexec_b64 s[6:7], s[6:7]
	v_mov_b32_e32 v10, s10
	s_xor_b64 exec, exec, s[6:7]
	s_cbranch_execz .LBB54_1198
.LBB54_3248:
	v_mov_b32_e32 v10, 0
	v_cmp_ne_u16_sdwa s[8:9], v6, v10 src0_sel:BYTE_0 src1_sel:DWORD
	s_andn2_b64 s[4:5], s[4:5], exec
	s_and_b64 s[8:9], s[8:9], exec
	s_or_b64 s[4:5], s[4:5], s[8:9]
	s_or_b64 exec, exec, s[6:7]
	s_and_saveexec_b64 s[6:7], s[4:5]
	s_cbranch_execnz .LBB54_1199
	s_branch .LBB54_1200
.LBB54_3249:
	s_movk_i32 s4, 0x80
	v_cmp_eq_u16_e32 vcc, s4, v6
	s_mov_b64 s[4:5], -1
                                        ; implicit-def: $sgpr10
	s_and_saveexec_b64 s[8:9], vcc
; %bb.3250:
	s_mov_b32 s10, 0x7f800001
	s_xor_b64 s[4:5], exec, -1
; %bb.3251:
	s_or_b64 exec, exec, s[8:9]
	s_and_b64 s[4:5], s[4:5], exec
                                        ; implicit-def: $vgpr6
	s_or_saveexec_b64 s[6:7], s[6:7]
	v_mov_b32_e32 v2, s10
	s_xor_b64 exec, exec, s[6:7]
	s_cbranch_execz .LBB54_1202
.LBB54_3252:
	v_cmp_ne_u16_e32 vcc, 0, v6
	s_andn2_b64 s[4:5], s[4:5], exec
	s_and_b64 s[8:9], vcc, exec
	v_mov_b32_e32 v2, 0
	s_or_b64 s[4:5], s[4:5], s[8:9]
	s_or_b64 exec, exec, s[6:7]
	s_and_saveexec_b64 s[6:7], s[4:5]
	s_cbranch_execnz .LBB54_1203
	s_branch .LBB54_1204
.LBB54_3253:
	s_movk_i32 s4, 0x80
	v_cmp_eq_u16_e32 vcc, s4, v6
	s_mov_b64 s[4:5], -1
                                        ; implicit-def: $sgpr10
	s_and_saveexec_b64 s[8:9], vcc
; %bb.3254:
	s_mov_b32 s10, 0x7f800001
	s_xor_b64 s[4:5], exec, -1
; %bb.3255:
	s_or_b64 exec, exec, s[8:9]
	s_and_b64 s[4:5], s[4:5], exec
                                        ; implicit-def: $vgpr6
	s_or_saveexec_b64 s[6:7], s[6:7]
	v_mov_b32_e32 v10, s10
	s_xor_b64 exec, exec, s[6:7]
	s_cbranch_execz .LBB54_1206
.LBB54_3256:
	v_cmp_ne_u16_e32 vcc, 0, v6
	s_andn2_b64 s[4:5], s[4:5], exec
	s_and_b64 s[8:9], vcc, exec
	v_mov_b32_e32 v10, 0
	s_or_b64 s[4:5], s[4:5], s[8:9]
	s_or_b64 exec, exec, s[6:7]
	s_and_saveexec_b64 s[6:7], s[4:5]
	s_cbranch_execnz .LBB54_1207
	s_branch .LBB54_1208
.LBB54_3257:
	s_movk_i32 s4, 0x80
	v_cmp_eq_u16_sdwa s[12:13], v7, s4 src0_sel:BYTE_3 src1_sel:DWORD
	s_mov_b64 s[4:5], -1
                                        ; implicit-def: $sgpr10
	s_and_saveexec_b64 s[8:9], s[12:13]
; %bb.3258:
	s_mov_b32 s10, 0x7f800001
	s_xor_b64 s[4:5], exec, -1
; %bb.3259:
	s_or_b64 exec, exec, s[8:9]
	s_and_b64 s[4:5], s[4:5], exec
	s_or_saveexec_b64 s[6:7], s[6:7]
	v_mov_b32_e32 v2, s10
	s_xor_b64 exec, exec, s[6:7]
	s_cbranch_execz .LBB54_1210
.LBB54_3260:
	v_mov_b32_e32 v2, 0
	v_cmp_ne_u16_sdwa s[8:9], v7, v2 src0_sel:BYTE_3 src1_sel:DWORD
	s_andn2_b64 s[4:5], s[4:5], exec
	s_and_b64 s[8:9], s[8:9], exec
	s_or_b64 s[4:5], s[4:5], s[8:9]
	s_or_b64 exec, exec, s[6:7]
	s_and_saveexec_b64 s[6:7], s[4:5]
	s_cbranch_execnz .LBB54_1211
	s_branch .LBB54_1212
.LBB54_3261:
	s_movk_i32 s4, 0x80
	v_cmp_eq_u16_sdwa s[12:13], v3, s4 src0_sel:BYTE_3 src1_sel:DWORD
	s_mov_b64 s[4:5], -1
                                        ; implicit-def: $sgpr10
	s_and_saveexec_b64 s[8:9], s[12:13]
; %bb.3262:
	s_mov_b32 s10, 0x7f800001
	s_xor_b64 s[4:5], exec, -1
; %bb.3263:
	s_or_b64 exec, exec, s[8:9]
	s_and_b64 s[4:5], s[4:5], exec
	s_or_saveexec_b64 s[6:7], s[6:7]
	v_mov_b32_e32 v6, s10
	s_xor_b64 exec, exec, s[6:7]
	s_cbranch_execz .LBB54_1214
.LBB54_3264:
	v_mov_b32_e32 v6, 0
	v_cmp_ne_u16_sdwa s[8:9], v3, v6 src0_sel:BYTE_3 src1_sel:DWORD
	s_andn2_b64 s[4:5], s[4:5], exec
	s_and_b64 s[8:9], s[8:9], exec
	s_or_b64 s[4:5], s[4:5], s[8:9]
	s_or_b64 exec, exec, s[6:7]
	s_and_saveexec_b64 s[6:7], s[4:5]
	s_cbranch_execnz .LBB54_1215
	s_branch .LBB54_1216
.LBB54_3265:
	s_movk_i32 s4, 0x80
	v_cmp_eq_u16_sdwa s[12:13], v8, s4 src0_sel:BYTE_0 src1_sel:DWORD
	s_mov_b64 s[4:5], -1
                                        ; implicit-def: $sgpr10
	s_and_saveexec_b64 s[8:9], s[12:13]
; %bb.3266:
	s_mov_b32 s10, 0x7f800001
	s_xor_b64 s[4:5], exec, -1
; %bb.3267:
	s_or_b64 exec, exec, s[8:9]
	s_and_b64 s[4:5], s[4:5], exec
	s_or_saveexec_b64 s[6:7], s[6:7]
	v_mov_b32_e32 v2, s10
	s_xor_b64 exec, exec, s[6:7]
	s_cbranch_execz .LBB54_1218
.LBB54_3268:
	v_mov_b32_e32 v2, 0
	v_cmp_ne_u16_sdwa s[8:9], v8, v2 src0_sel:BYTE_0 src1_sel:DWORD
	s_andn2_b64 s[4:5], s[4:5], exec
	s_and_b64 s[8:9], s[8:9], exec
	s_or_b64 s[4:5], s[4:5], s[8:9]
	s_or_b64 exec, exec, s[6:7]
	s_and_saveexec_b64 s[6:7], s[4:5]
	s_cbranch_execnz .LBB54_1219
	s_branch .LBB54_1220
.LBB54_3269:
	s_movk_i32 s4, 0x80
	v_cmp_eq_u16_sdwa s[12:13], v4, s4 src0_sel:BYTE_0 src1_sel:DWORD
	s_mov_b64 s[4:5], -1
                                        ; implicit-def: $sgpr10
	s_and_saveexec_b64 s[8:9], s[12:13]
; %bb.3270:
	s_mov_b32 s10, 0x7f800001
	s_xor_b64 s[4:5], exec, -1
; %bb.3271:
	s_or_b64 exec, exec, s[8:9]
	s_and_b64 s[4:5], s[4:5], exec
	s_or_saveexec_b64 s[6:7], s[6:7]
	v_mov_b32_e32 v3, s10
	s_xor_b64 exec, exec, s[6:7]
	s_cbranch_execz .LBB54_1222
.LBB54_3272:
	v_mov_b32_e32 v3, 0
	v_cmp_ne_u16_sdwa s[8:9], v4, v3 src0_sel:BYTE_0 src1_sel:DWORD
	s_andn2_b64 s[4:5], s[4:5], exec
	s_and_b64 s[8:9], s[8:9], exec
	s_or_b64 s[4:5], s[4:5], s[8:9]
	s_or_b64 exec, exec, s[6:7]
	s_and_saveexec_b64 s[6:7], s[4:5]
	s_cbranch_execnz .LBB54_1223
	s_branch .LBB54_1224
.LBB54_3273:
	s_movk_i32 s4, 0x80
	v_cmp_eq_u16_sdwa s[12:13], v3, s4 src0_sel:BYTE_0 src1_sel:DWORD
	s_mov_b64 s[4:5], -1
                                        ; implicit-def: $sgpr10
	s_and_saveexec_b64 s[8:9], s[12:13]
; %bb.3274:
	s_mov_b32 s10, 0x7f800001
	s_xor_b64 s[4:5], exec, -1
; %bb.3275:
	s_or_b64 exec, exec, s[8:9]
	s_and_b64 s[4:5], s[4:5], exec
	s_or_saveexec_b64 s[6:7], s[6:7]
	v_mov_b32_e32 v2, s10
	s_xor_b64 exec, exec, s[6:7]
	s_cbranch_execz .LBB54_1226
.LBB54_3276:
	v_mov_b32_e32 v2, 0
	v_cmp_ne_u16_sdwa s[8:9], v3, v2 src0_sel:BYTE_0 src1_sel:DWORD
	s_andn2_b64 s[4:5], s[4:5], exec
	s_and_b64 s[8:9], s[8:9], exec
	s_or_b64 s[4:5], s[4:5], s[8:9]
	s_or_b64 exec, exec, s[6:7]
	s_and_saveexec_b64 s[6:7], s[4:5]
	s_cbranch_execnz .LBB54_1227
	s_branch .LBB54_1228
.LBB54_3277:
	s_movk_i32 s4, 0x80
	v_cmp_eq_u16_sdwa s[12:13], v3, s4 src0_sel:BYTE_0 src1_sel:DWORD
	s_mov_b64 s[4:5], -1
                                        ; implicit-def: $sgpr10
	s_and_saveexec_b64 s[8:9], s[12:13]
; %bb.3278:
	s_mov_b32 s10, 0x7f800001
	s_xor_b64 s[4:5], exec, -1
; %bb.3279:
	s_or_b64 exec, exec, s[8:9]
	s_and_b64 s[4:5], s[4:5], exec
	s_or_saveexec_b64 s[6:7], s[6:7]
	v_mov_b32_e32 v6, s10
	s_xor_b64 exec, exec, s[6:7]
	s_cbranch_execz .LBB54_1230
.LBB54_3280:
	v_mov_b32_e32 v6, 0
	v_cmp_ne_u16_sdwa s[8:9], v3, v6 src0_sel:BYTE_0 src1_sel:DWORD
	s_andn2_b64 s[4:5], s[4:5], exec
	s_and_b64 s[8:9], s[8:9], exec
	s_or_b64 s[4:5], s[4:5], s[8:9]
	s_or_b64 exec, exec, s[6:7]
	s_and_saveexec_b64 s[6:7], s[4:5]
	s_cbranch_execnz .LBB54_1231
	s_branch .LBB54_1232
.LBB54_3281:
	s_movk_i32 s4, 0x80
	v_cmp_eq_u16_e32 vcc, s4, v3
	s_mov_b64 s[4:5], -1
                                        ; implicit-def: $sgpr10
	s_and_saveexec_b64 s[8:9], vcc
; %bb.3282:
	s_mov_b32 s10, 0x7f800001
	s_xor_b64 s[4:5], exec, -1
; %bb.3283:
	s_or_b64 exec, exec, s[8:9]
	s_and_b64 s[4:5], s[4:5], exec
                                        ; implicit-def: $vgpr3
	s_or_saveexec_b64 s[6:7], s[6:7]
	v_mov_b32_e32 v2, s10
	s_xor_b64 exec, exec, s[6:7]
	s_cbranch_execz .LBB54_1234
.LBB54_3284:
	v_cmp_ne_u16_e32 vcc, 0, v3
	s_andn2_b64 s[4:5], s[4:5], exec
	s_and_b64 s[8:9], vcc, exec
	v_mov_b32_e32 v2, 0
	s_or_b64 s[4:5], s[4:5], s[8:9]
	s_or_b64 exec, exec, s[6:7]
	s_and_saveexec_b64 s[6:7], s[4:5]
	s_cbranch_execnz .LBB54_1235
	s_branch .LBB54_1236
.LBB54_3285:
	s_movk_i32 s4, 0x80
	v_cmp_eq_u16_e32 vcc, s4, v3
	s_mov_b64 s[4:5], -1
                                        ; implicit-def: $sgpr10
	s_and_saveexec_b64 s[8:9], vcc
; %bb.3286:
	s_mov_b32 s10, 0x7f800001
	s_xor_b64 s[4:5], exec, -1
; %bb.3287:
	s_or_b64 exec, exec, s[8:9]
	s_and_b64 s[4:5], s[4:5], exec
                                        ; implicit-def: $vgpr3
	s_or_saveexec_b64 s[6:7], s[6:7]
	v_mov_b32_e32 v6, s10
	s_xor_b64 exec, exec, s[6:7]
	s_cbranch_execz .LBB54_1238
.LBB54_3288:
	v_cmp_ne_u16_e32 vcc, 0, v3
	s_andn2_b64 s[4:5], s[4:5], exec
	s_and_b64 s[8:9], vcc, exec
	v_mov_b32_e32 v6, 0
	s_or_b64 s[4:5], s[4:5], s[8:9]
	s_or_b64 exec, exec, s[6:7]
	s_and_saveexec_b64 s[6:7], s[4:5]
	s_cbranch_execnz .LBB54_1239
	s_branch .LBB54_1240
.LBB54_3289:
	s_movk_i32 s4, 0x80
	v_cmp_eq_u16_sdwa s[12:13], v8, s4 src0_sel:BYTE_3 src1_sel:DWORD
	s_mov_b64 s[4:5], -1
                                        ; implicit-def: $sgpr10
	s_and_saveexec_b64 s[8:9], s[12:13]
; %bb.3290:
	s_mov_b32 s10, 0x7f800001
	s_xor_b64 s[4:5], exec, -1
; %bb.3291:
	s_or_b64 exec, exec, s[8:9]
	s_and_b64 s[4:5], s[4:5], exec
	s_or_saveexec_b64 s[6:7], s[6:7]
	v_mov_b32_e32 v2, s10
	s_xor_b64 exec, exec, s[6:7]
	s_cbranch_execz .LBB54_1242
.LBB54_3292:
	v_mov_b32_e32 v2, 0
	v_cmp_ne_u16_sdwa s[8:9], v8, v2 src0_sel:BYTE_3 src1_sel:DWORD
	s_andn2_b64 s[4:5], s[4:5], exec
	s_and_b64 s[8:9], s[8:9], exec
	s_or_b64 s[4:5], s[4:5], s[8:9]
	s_or_b64 exec, exec, s[6:7]
	s_and_saveexec_b64 s[6:7], s[4:5]
	s_cbranch_execnz .LBB54_1243
	s_branch .LBB54_1244
.LBB54_3293:
	s_movk_i32 s4, 0x80
	v_cmp_eq_u16_sdwa s[12:13], v4, s4 src0_sel:BYTE_3 src1_sel:DWORD
	s_mov_b64 s[4:5], -1
                                        ; implicit-def: $sgpr10
	s_and_saveexec_b64 s[8:9], s[12:13]
; %bb.3294:
	s_mov_b32 s10, 0x7f800001
	s_xor_b64 s[4:5], exec, -1
; %bb.3295:
	s_or_b64 exec, exec, s[8:9]
	s_and_b64 s[4:5], s[4:5], exec
	s_or_saveexec_b64 s[6:7], s[6:7]
	v_mov_b32_e32 v3, s10
	s_xor_b64 exec, exec, s[6:7]
	s_cbranch_execz .LBB54_1246
.LBB54_3296:
	v_mov_b32_e32 v3, 0
	v_cmp_ne_u16_sdwa s[8:9], v4, v3 src0_sel:BYTE_3 src1_sel:DWORD
	s_andn2_b64 s[4:5], s[4:5], exec
	s_and_b64 s[8:9], s[8:9], exec
	s_or_b64 s[4:5], s[4:5], s[8:9]
	s_or_b64 exec, exec, s[6:7]
	s_and_saveexec_b64 s[6:7], s[4:5]
	s_cbranch_execnz .LBB54_1247
	s_branch .LBB54_1248
.LBB54_3297:
	s_movk_i32 s4, 0x80
	v_cmp_eq_u16_sdwa s[12:13], v9, s4 src0_sel:BYTE_0 src1_sel:DWORD
	s_mov_b64 s[4:5], -1
                                        ; implicit-def: $sgpr10
	s_and_saveexec_b64 s[8:9], s[12:13]
; %bb.3298:
	s_mov_b32 s10, 0x7f800001
	s_xor_b64 s[4:5], exec, -1
; %bb.3299:
	s_or_b64 exec, exec, s[8:9]
	s_and_b64 s[4:5], s[4:5], exec
	s_or_saveexec_b64 s[6:7], s[6:7]
	v_mov_b32_e32 v2, s10
	s_xor_b64 exec, exec, s[6:7]
	s_cbranch_execz .LBB54_1250
.LBB54_3300:
	v_mov_b32_e32 v2, 0
	v_cmp_ne_u16_sdwa s[8:9], v9, v2 src0_sel:BYTE_0 src1_sel:DWORD
	s_andn2_b64 s[4:5], s[4:5], exec
	s_and_b64 s[8:9], s[8:9], exec
	s_or_b64 s[4:5], s[4:5], s[8:9]
	s_or_b64 exec, exec, s[6:7]
	s_and_saveexec_b64 s[6:7], s[4:5]
	s_cbranch_execnz .LBB54_1251
	s_branch .LBB54_1252
.LBB54_3301:
	s_movk_i32 s4, 0x80
	v_cmp_eq_u16_sdwa s[12:13], v5, s4 src0_sel:BYTE_0 src1_sel:DWORD
	s_mov_b64 s[4:5], -1
                                        ; implicit-def: $sgpr10
	s_and_saveexec_b64 s[8:9], s[12:13]
; %bb.3302:
	s_mov_b32 s10, 0x7f800001
	s_xor_b64 s[4:5], exec, -1
; %bb.3303:
	s_or_b64 exec, exec, s[8:9]
	s_and_b64 s[4:5], s[4:5], exec
	s_or_saveexec_b64 s[6:7], s[6:7]
	v_mov_b32_e32 v3, s10
	s_xor_b64 exec, exec, s[6:7]
	s_cbranch_execz .LBB54_1254
.LBB54_3304:
	v_mov_b32_e32 v3, 0
	v_cmp_ne_u16_sdwa s[8:9], v5, v3 src0_sel:BYTE_0 src1_sel:DWORD
	s_andn2_b64 s[4:5], s[4:5], exec
	s_and_b64 s[8:9], s[8:9], exec
	s_or_b64 s[4:5], s[4:5], s[8:9]
	s_or_b64 exec, exec, s[6:7]
	s_and_saveexec_b64 s[6:7], s[4:5]
	s_cbranch_execnz .LBB54_1255
	s_branch .LBB54_1256
.LBB54_3305:
	s_movk_i32 s4, 0x80
	v_cmp_eq_u16_sdwa s[12:13], v3, s4 src0_sel:BYTE_0 src1_sel:DWORD
	s_mov_b64 s[4:5], -1
                                        ; implicit-def: $sgpr10
	s_and_saveexec_b64 s[8:9], s[12:13]
; %bb.3306:
	s_mov_b32 s10, 0x7f800001
	s_xor_b64 s[4:5], exec, -1
; %bb.3307:
	s_or_b64 exec, exec, s[8:9]
	s_and_b64 s[4:5], s[4:5], exec
	s_or_saveexec_b64 s[6:7], s[6:7]
	v_mov_b32_e32 v2, s10
	s_xor_b64 exec, exec, s[6:7]
	s_cbranch_execz .LBB54_1258
.LBB54_3308:
	v_mov_b32_e32 v2, 0
	v_cmp_ne_u16_sdwa s[8:9], v3, v2 src0_sel:BYTE_0 src1_sel:DWORD
	s_andn2_b64 s[4:5], s[4:5], exec
	s_and_b64 s[8:9], s[8:9], exec
	s_or_b64 s[4:5], s[4:5], s[8:9]
	s_or_b64 exec, exec, s[6:7]
	s_and_saveexec_b64 s[6:7], s[4:5]
	s_cbranch_execnz .LBB54_1259
	s_branch .LBB54_1260
.LBB54_3309:
	s_movk_i32 s4, 0x80
	v_cmp_eq_u16_sdwa s[12:13], v3, s4 src0_sel:BYTE_0 src1_sel:DWORD
	s_mov_b64 s[4:5], -1
                                        ; implicit-def: $sgpr10
	s_and_saveexec_b64 s[8:9], s[12:13]
; %bb.3310:
	s_mov_b32 s10, 0x7f800001
	s_xor_b64 s[4:5], exec, -1
; %bb.3311:
	s_or_b64 exec, exec, s[8:9]
	s_and_b64 s[4:5], s[4:5], exec
	s_or_saveexec_b64 s[6:7], s[6:7]
	v_mov_b32_e32 v4, s10
	s_xor_b64 exec, exec, s[6:7]
	s_cbranch_execz .LBB54_1262
.LBB54_3312:
	v_mov_b32_e32 v4, 0
	v_cmp_ne_u16_sdwa s[8:9], v3, v4 src0_sel:BYTE_0 src1_sel:DWORD
	s_andn2_b64 s[4:5], s[4:5], exec
	s_and_b64 s[8:9], s[8:9], exec
	s_or_b64 s[4:5], s[4:5], s[8:9]
	s_or_b64 exec, exec, s[6:7]
	s_and_saveexec_b64 s[6:7], s[4:5]
	s_cbranch_execnz .LBB54_1263
	s_branch .LBB54_1264
.LBB54_3313:
	s_movk_i32 s4, 0x80
	v_cmp_eq_u16_e32 vcc, s4, v3
	s_mov_b64 s[4:5], -1
                                        ; implicit-def: $sgpr10
	s_and_saveexec_b64 s[8:9], vcc
; %bb.3314:
	s_mov_b32 s10, 0x7f800001
	s_xor_b64 s[4:5], exec, -1
; %bb.3315:
	s_or_b64 exec, exec, s[8:9]
	s_and_b64 s[4:5], s[4:5], exec
                                        ; implicit-def: $vgpr3
	s_or_saveexec_b64 s[6:7], s[6:7]
	v_mov_b32_e32 v2, s10
	s_xor_b64 exec, exec, s[6:7]
	s_cbranch_execz .LBB54_1266
.LBB54_3316:
	v_cmp_ne_u16_e32 vcc, 0, v3
	s_andn2_b64 s[4:5], s[4:5], exec
	s_and_b64 s[8:9], vcc, exec
	v_mov_b32_e32 v2, 0
	s_or_b64 s[4:5], s[4:5], s[8:9]
	s_or_b64 exec, exec, s[6:7]
	s_and_saveexec_b64 s[6:7], s[4:5]
	s_cbranch_execnz .LBB54_1267
	s_branch .LBB54_1268
.LBB54_3317:
	s_movk_i32 s4, 0x80
	v_cmp_eq_u16_e32 vcc, s4, v3
	s_mov_b64 s[4:5], -1
                                        ; implicit-def: $sgpr10
	s_and_saveexec_b64 s[8:9], vcc
; %bb.3318:
	s_mov_b32 s10, 0x7f800001
	s_xor_b64 s[4:5], exec, -1
; %bb.3319:
	s_or_b64 exec, exec, s[8:9]
	s_and_b64 s[4:5], s[4:5], exec
                                        ; implicit-def: $vgpr3
	s_or_saveexec_b64 s[6:7], s[6:7]
	v_mov_b32_e32 v4, s10
	s_xor_b64 exec, exec, s[6:7]
	s_cbranch_execz .LBB54_1270
.LBB54_3320:
	v_cmp_ne_u16_e32 vcc, 0, v3
	s_andn2_b64 s[4:5], s[4:5], exec
	s_and_b64 s[8:9], vcc, exec
	v_mov_b32_e32 v4, 0
	s_or_b64 s[4:5], s[4:5], s[8:9]
	s_or_b64 exec, exec, s[6:7]
	s_and_saveexec_b64 s[6:7], s[4:5]
	s_cbranch_execnz .LBB54_1271
	s_branch .LBB54_1272
.LBB54_3321:
	s_movk_i32 s4, 0x80
	v_cmp_eq_u16_sdwa s[12:13], v9, s4 src0_sel:BYTE_3 src1_sel:DWORD
	s_mov_b64 s[4:5], -1
                                        ; implicit-def: $sgpr10
	s_and_saveexec_b64 s[8:9], s[12:13]
; %bb.3322:
	s_mov_b32 s10, 0x7f800001
	s_xor_b64 s[4:5], exec, -1
; %bb.3323:
	s_or_b64 exec, exec, s[8:9]
	s_and_b64 s[4:5], s[4:5], exec
	s_or_saveexec_b64 s[6:7], s[6:7]
	v_mov_b32_e32 v2, s10
	s_xor_b64 exec, exec, s[6:7]
	s_cbranch_execz .LBB54_1274
.LBB54_3324:
	v_mov_b32_e32 v2, 0
	v_cmp_ne_u16_sdwa s[8:9], v9, v2 src0_sel:BYTE_3 src1_sel:DWORD
	s_andn2_b64 s[4:5], s[4:5], exec
	s_and_b64 s[8:9], s[8:9], exec
	s_or_b64 s[4:5], s[4:5], s[8:9]
	s_or_b64 exec, exec, s[6:7]
	s_and_saveexec_b64 s[6:7], s[4:5]
	s_cbranch_execnz .LBB54_1275
	s_branch .LBB54_1276
.LBB54_3325:
	s_movk_i32 s4, 0x80
	v_cmp_eq_u16_sdwa s[12:13], v5, s4 src0_sel:BYTE_3 src1_sel:DWORD
	s_mov_b64 s[4:5], -1
                                        ; implicit-def: $sgpr10
	s_and_saveexec_b64 s[8:9], s[12:13]
; %bb.3326:
	s_mov_b32 s10, 0x7f800001
	s_xor_b64 s[4:5], exec, -1
; %bb.3327:
	s_or_b64 exec, exec, s[8:9]
	s_and_b64 s[4:5], s[4:5], exec
	s_or_saveexec_b64 s[6:7], s[6:7]
	v_mov_b32_e32 v3, s10
	s_xor_b64 exec, exec, s[6:7]
	s_cbranch_execz .LBB54_1278
.LBB54_3328:
	v_mov_b32_e32 v3, 0
	v_cmp_ne_u16_sdwa s[8:9], v5, v3 src0_sel:BYTE_3 src1_sel:DWORD
	s_andn2_b64 s[4:5], s[4:5], exec
	s_and_b64 s[8:9], s[8:9], exec
	s_or_b64 s[4:5], s[4:5], s[8:9]
	s_or_b64 exec, exec, s[6:7]
	s_and_saveexec_b64 s[6:7], s[4:5]
	s_cbranch_execnz .LBB54_1279
	s_branch .LBB54_1280
.LBB54_3329:
	s_movk_i32 s4, 0x80
	v_cmp_eq_u16_sdwa s[12:13], v14, s4 src0_sel:BYTE_0 src1_sel:DWORD
	s_mov_b64 s[4:5], -1
                                        ; implicit-def: $sgpr10
	s_and_saveexec_b64 s[8:9], s[12:13]
; %bb.3330:
	s_mov_b32 s10, 0x7f800001
	s_xor_b64 s[4:5], exec, -1
; %bb.3331:
	s_or_b64 exec, exec, s[8:9]
	s_and_b64 s[4:5], s[4:5], exec
	s_or_saveexec_b64 s[6:7], s[6:7]
	v_mov_b32_e32 v20, s10
	s_xor_b64 exec, exec, s[6:7]
	s_cbranch_execz .LBB54_1282
.LBB54_3332:
	v_mov_b32_e32 v20, 0
	v_cmp_ne_u16_sdwa s[8:9], v14, v20 src0_sel:BYTE_0 src1_sel:DWORD
	s_andn2_b64 s[4:5], s[4:5], exec
	s_and_b64 s[8:9], s[8:9], exec
	s_or_b64 s[4:5], s[4:5], s[8:9]
	s_or_b64 exec, exec, s[6:7]
	s_and_saveexec_b64 s[6:7], s[4:5]
	s_cbranch_execnz .LBB54_1283
	s_branch .LBB54_1284
.LBB54_3333:
	s_movk_i32 s4, 0x80
	v_cmp_eq_u16_sdwa s[12:13], v10, s4 src0_sel:BYTE_0 src1_sel:DWORD
	s_mov_b64 s[4:5], -1
                                        ; implicit-def: $sgpr10
	s_and_saveexec_b64 s[8:9], s[12:13]
; %bb.3334:
	s_mov_b32 s10, 0x7f800001
	s_xor_b64 s[4:5], exec, -1
; %bb.3335:
	s_or_b64 exec, exec, s[8:9]
	s_and_b64 s[4:5], s[4:5], exec
	s_or_saveexec_b64 s[6:7], s[6:7]
	v_mov_b32_e32 v21, s10
	s_xor_b64 exec, exec, s[6:7]
	s_cbranch_execz .LBB54_1286
.LBB54_3336:
	v_mov_b32_e32 v21, 0
	v_cmp_ne_u16_sdwa s[8:9], v10, v21 src0_sel:BYTE_0 src1_sel:DWORD
	s_andn2_b64 s[4:5], s[4:5], exec
	s_and_b64 s[8:9], s[8:9], exec
	s_or_b64 s[4:5], s[4:5], s[8:9]
	s_or_b64 exec, exec, s[6:7]
	s_and_saveexec_b64 s[6:7], s[4:5]
	s_cbranch_execnz .LBB54_1287
	s_branch .LBB54_1288
.LBB54_3337:
	s_movk_i32 s4, 0x80
	v_cmp_eq_u16_sdwa s[12:13], v21, s4 src0_sel:BYTE_0 src1_sel:DWORD
	s_mov_b64 s[4:5], -1
                                        ; implicit-def: $sgpr10
	s_and_saveexec_b64 s[8:9], s[12:13]
; %bb.3338:
	s_mov_b32 s10, 0x7f800001
	s_xor_b64 s[4:5], exec, -1
; %bb.3339:
	s_or_b64 exec, exec, s[8:9]
	s_and_b64 s[4:5], s[4:5], exec
	s_or_saveexec_b64 s[6:7], s[6:7]
	v_mov_b32_e32 v20, s10
	s_xor_b64 exec, exec, s[6:7]
	s_cbranch_execz .LBB54_1290
.LBB54_3340:
	v_mov_b32_e32 v20, 0
	v_cmp_ne_u16_sdwa s[8:9], v21, v20 src0_sel:BYTE_0 src1_sel:DWORD
	s_andn2_b64 s[4:5], s[4:5], exec
	s_and_b64 s[8:9], s[8:9], exec
	s_or_b64 s[4:5], s[4:5], s[8:9]
	s_or_b64 exec, exec, s[6:7]
	s_and_saveexec_b64 s[6:7], s[4:5]
	s_cbranch_execnz .LBB54_1291
	s_branch .LBB54_1292
.LBB54_3341:
	s_movk_i32 s4, 0x80
	v_cmp_eq_u16_sdwa s[12:13], v21, s4 src0_sel:BYTE_0 src1_sel:DWORD
	s_mov_b64 s[4:5], -1
                                        ; implicit-def: $sgpr10
	s_and_saveexec_b64 s[8:9], s[12:13]
; %bb.3342:
	s_mov_b32 s10, 0x7f800001
	s_xor_b64 s[4:5], exec, -1
; %bb.3343:
	s_or_b64 exec, exec, s[8:9]
	s_and_b64 s[4:5], s[4:5], exec
	s_or_saveexec_b64 s[6:7], s[6:7]
	v_mov_b32_e32 v22, s10
	s_xor_b64 exec, exec, s[6:7]
	s_cbranch_execz .LBB54_1294
.LBB54_3344:
	v_mov_b32_e32 v22, 0
	v_cmp_ne_u16_sdwa s[8:9], v21, v22 src0_sel:BYTE_0 src1_sel:DWORD
	s_andn2_b64 s[4:5], s[4:5], exec
	s_and_b64 s[8:9], s[8:9], exec
	s_or_b64 s[4:5], s[4:5], s[8:9]
	s_or_b64 exec, exec, s[6:7]
	s_and_saveexec_b64 s[6:7], s[4:5]
	s_cbranch_execnz .LBB54_1295
	s_branch .LBB54_1296
.LBB54_3345:
	s_movk_i32 s4, 0x80
	v_cmp_eq_u16_e32 vcc, s4, v21
	s_mov_b64 s[4:5], -1
                                        ; implicit-def: $sgpr10
	s_and_saveexec_b64 s[8:9], vcc
; %bb.3346:
	s_mov_b32 s10, 0x7f800001
	s_xor_b64 s[4:5], exec, -1
; %bb.3347:
	s_or_b64 exec, exec, s[8:9]
	s_and_b64 s[4:5], s[4:5], exec
                                        ; implicit-def: $vgpr21
	s_or_saveexec_b64 s[6:7], s[6:7]
	v_mov_b32_e32 v20, s10
	s_xor_b64 exec, exec, s[6:7]
	s_cbranch_execz .LBB54_1298
.LBB54_3348:
	v_cmp_ne_u16_e32 vcc, 0, v21
	s_andn2_b64 s[4:5], s[4:5], exec
	s_and_b64 s[8:9], vcc, exec
	v_mov_b32_e32 v20, 0
	s_or_b64 s[4:5], s[4:5], s[8:9]
	s_or_b64 exec, exec, s[6:7]
	s_and_saveexec_b64 s[6:7], s[4:5]
	s_cbranch_execnz .LBB54_1299
	s_branch .LBB54_1300
.LBB54_3349:
	s_movk_i32 s4, 0x80
	v_cmp_eq_u16_e32 vcc, s4, v21
	s_mov_b64 s[4:5], -1
                                        ; implicit-def: $sgpr10
	s_and_saveexec_b64 s[8:9], vcc
; %bb.3350:
	s_mov_b32 s10, 0x7f800001
	s_xor_b64 s[4:5], exec, -1
; %bb.3351:
	s_or_b64 exec, exec, s[8:9]
	s_and_b64 s[4:5], s[4:5], exec
                                        ; implicit-def: $vgpr21
	s_or_saveexec_b64 s[6:7], s[6:7]
	v_mov_b32_e32 v22, s10
	s_xor_b64 exec, exec, s[6:7]
	s_cbranch_execz .LBB54_1302
.LBB54_3352:
	v_cmp_ne_u16_e32 vcc, 0, v21
	s_andn2_b64 s[4:5], s[4:5], exec
	s_and_b64 s[8:9], vcc, exec
	v_mov_b32_e32 v22, 0
	s_or_b64 s[4:5], s[4:5], s[8:9]
	s_or_b64 exec, exec, s[6:7]
	s_and_saveexec_b64 s[6:7], s[4:5]
	s_cbranch_execnz .LBB54_1303
	s_branch .LBB54_1304
.LBB54_3353:
	s_movk_i32 s4, 0x80
	v_cmp_eq_u16_sdwa s[12:13], v14, s4 src0_sel:BYTE_3 src1_sel:DWORD
	s_mov_b64 s[4:5], -1
                                        ; implicit-def: $sgpr10
	s_and_saveexec_b64 s[8:9], s[12:13]
; %bb.3354:
	s_mov_b32 s10, 0x7f800001
	s_xor_b64 s[4:5], exec, -1
; %bb.3355:
	s_or_b64 exec, exec, s[8:9]
	s_and_b64 s[4:5], s[4:5], exec
	s_or_saveexec_b64 s[6:7], s[6:7]
	v_mov_b32_e32 v20, s10
	s_xor_b64 exec, exec, s[6:7]
	s_cbranch_execz .LBB54_1306
.LBB54_3356:
	v_mov_b32_e32 v20, 0
	v_cmp_ne_u16_sdwa s[8:9], v14, v20 src0_sel:BYTE_3 src1_sel:DWORD
	s_andn2_b64 s[4:5], s[4:5], exec
	s_and_b64 s[8:9], s[8:9], exec
	s_or_b64 s[4:5], s[4:5], s[8:9]
	s_or_b64 exec, exec, s[6:7]
	s_and_saveexec_b64 s[6:7], s[4:5]
	s_cbranch_execnz .LBB54_1307
	s_branch .LBB54_1308
.LBB54_3357:
	s_movk_i32 s4, 0x80
	v_cmp_eq_u16_sdwa s[12:13], v10, s4 src0_sel:BYTE_3 src1_sel:DWORD
	s_mov_b64 s[4:5], -1
                                        ; implicit-def: $sgpr10
	s_and_saveexec_b64 s[8:9], s[12:13]
; %bb.3358:
	s_mov_b32 s10, 0x7f800001
	s_xor_b64 s[4:5], exec, -1
; %bb.3359:
	s_or_b64 exec, exec, s[8:9]
	s_and_b64 s[4:5], s[4:5], exec
	s_or_saveexec_b64 s[6:7], s[6:7]
	v_mov_b32_e32 v14, s10
	s_xor_b64 exec, exec, s[6:7]
	s_cbranch_execz .LBB54_1310
.LBB54_3360:
	v_mov_b32_e32 v14, 0
	v_cmp_ne_u16_sdwa s[8:9], v10, v14 src0_sel:BYTE_3 src1_sel:DWORD
	s_andn2_b64 s[4:5], s[4:5], exec
	s_and_b64 s[8:9], s[8:9], exec
	s_or_b64 s[4:5], s[4:5], s[8:9]
	s_or_b64 exec, exec, s[6:7]
	s_and_saveexec_b64 s[6:7], s[4:5]
	s_cbranch_execnz .LBB54_1311
	s_branch .LBB54_1312
.LBB54_3361:
	s_movk_i32 s4, 0x80
	v_cmp_eq_u16_sdwa s[12:13], v15, s4 src0_sel:BYTE_0 src1_sel:DWORD
	s_mov_b64 s[4:5], -1
                                        ; implicit-def: $sgpr10
	s_and_saveexec_b64 s[8:9], s[12:13]
; %bb.3362:
	s_mov_b32 s10, 0x7f800001
	s_xor_b64 s[4:5], exec, -1
; %bb.3363:
	s_or_b64 exec, exec, s[8:9]
	s_and_b64 s[4:5], s[4:5], exec
	s_or_saveexec_b64 s[6:7], s[6:7]
	v_mov_b32_e32 v10, s10
	s_xor_b64 exec, exec, s[6:7]
	s_cbranch_execz .LBB54_1314
.LBB54_3364:
	v_mov_b32_e32 v10, 0
	v_cmp_ne_u16_sdwa s[8:9], v15, v10 src0_sel:BYTE_0 src1_sel:DWORD
	s_andn2_b64 s[4:5], s[4:5], exec
	s_and_b64 s[8:9], s[8:9], exec
	s_or_b64 s[4:5], s[4:5], s[8:9]
	s_or_b64 exec, exec, s[6:7]
	s_and_saveexec_b64 s[6:7], s[4:5]
	s_cbranch_execnz .LBB54_1315
	s_branch .LBB54_1316
.LBB54_3365:
	s_movk_i32 s4, 0x80
	v_cmp_eq_u16_sdwa s[12:13], v11, s4 src0_sel:BYTE_0 src1_sel:DWORD
	s_mov_b64 s[4:5], -1
                                        ; implicit-def: $sgpr10
	s_and_saveexec_b64 s[8:9], s[12:13]
; %bb.3366:
	s_mov_b32 s10, 0x7f800001
	s_xor_b64 s[4:5], exec, -1
; %bb.3367:
	s_or_b64 exec, exec, s[8:9]
	s_and_b64 s[4:5], s[4:5], exec
	s_or_saveexec_b64 s[6:7], s[6:7]
	v_mov_b32_e32 v14, s10
	s_xor_b64 exec, exec, s[6:7]
	s_cbranch_execz .LBB54_1318
.LBB54_3368:
	v_mov_b32_e32 v14, 0
	v_cmp_ne_u16_sdwa s[8:9], v11, v14 src0_sel:BYTE_0 src1_sel:DWORD
	s_andn2_b64 s[4:5], s[4:5], exec
	s_and_b64 s[8:9], s[8:9], exec
	s_or_b64 s[4:5], s[4:5], s[8:9]
	s_or_b64 exec, exec, s[6:7]
	s_and_saveexec_b64 s[6:7], s[4:5]
	s_cbranch_execnz .LBB54_1319
	s_branch .LBB54_1320
.LBB54_3369:
	s_movk_i32 s4, 0x80
	v_cmp_eq_u16_sdwa s[12:13], v14, s4 src0_sel:BYTE_0 src1_sel:DWORD
	s_mov_b64 s[4:5], -1
                                        ; implicit-def: $sgpr10
	s_and_saveexec_b64 s[8:9], s[12:13]
; %bb.3370:
	s_mov_b32 s10, 0x7f800001
	s_xor_b64 s[4:5], exec, -1
; %bb.3371:
	s_or_b64 exec, exec, s[8:9]
	s_and_b64 s[4:5], s[4:5], exec
	s_or_saveexec_b64 s[6:7], s[6:7]
	v_mov_b32_e32 v10, s10
	s_xor_b64 exec, exec, s[6:7]
	s_cbranch_execz .LBB54_1322
.LBB54_3372:
	v_mov_b32_e32 v10, 0
	v_cmp_ne_u16_sdwa s[8:9], v14, v10 src0_sel:BYTE_0 src1_sel:DWORD
	s_andn2_b64 s[4:5], s[4:5], exec
	s_and_b64 s[8:9], s[8:9], exec
	s_or_b64 s[4:5], s[4:5], s[8:9]
	s_or_b64 exec, exec, s[6:7]
	s_and_saveexec_b64 s[6:7], s[4:5]
	s_cbranch_execnz .LBB54_1323
	s_branch .LBB54_1324
.LBB54_3373:
	s_movk_i32 s4, 0x80
	v_cmp_eq_u16_sdwa s[12:13], v14, s4 src0_sel:BYTE_0 src1_sel:DWORD
	s_mov_b64 s[4:5], -1
                                        ; implicit-def: $sgpr10
	s_and_saveexec_b64 s[8:9], s[12:13]
; %bb.3374:
	s_mov_b32 s10, 0x7f800001
	s_xor_b64 s[4:5], exec, -1
; %bb.3375:
	s_or_b64 exec, exec, s[8:9]
	s_and_b64 s[4:5], s[4:5], exec
	s_or_saveexec_b64 s[6:7], s[6:7]
	v_mov_b32_e32 v20, s10
	s_xor_b64 exec, exec, s[6:7]
	s_cbranch_execz .LBB54_1326
.LBB54_3376:
	v_mov_b32_e32 v20, 0
	v_cmp_ne_u16_sdwa s[8:9], v14, v20 src0_sel:BYTE_0 src1_sel:DWORD
	s_andn2_b64 s[4:5], s[4:5], exec
	s_and_b64 s[8:9], s[8:9], exec
	s_or_b64 s[4:5], s[4:5], s[8:9]
	s_or_b64 exec, exec, s[6:7]
	s_and_saveexec_b64 s[6:7], s[4:5]
	s_cbranch_execnz .LBB54_1327
	s_branch .LBB54_1328
.LBB54_3377:
	s_movk_i32 s4, 0x80
	v_cmp_eq_u16_e32 vcc, s4, v14
	s_mov_b64 s[4:5], -1
                                        ; implicit-def: $sgpr10
	s_and_saveexec_b64 s[8:9], vcc
; %bb.3378:
	s_mov_b32 s10, 0x7f800001
	s_xor_b64 s[4:5], exec, -1
; %bb.3379:
	s_or_b64 exec, exec, s[8:9]
	s_and_b64 s[4:5], s[4:5], exec
                                        ; implicit-def: $vgpr14
	s_or_saveexec_b64 s[6:7], s[6:7]
	v_mov_b32_e32 v10, s10
	s_xor_b64 exec, exec, s[6:7]
	s_cbranch_execz .LBB54_1330
.LBB54_3380:
	v_cmp_ne_u16_e32 vcc, 0, v14
	s_andn2_b64 s[4:5], s[4:5], exec
	s_and_b64 s[8:9], vcc, exec
	v_mov_b32_e32 v10, 0
	s_or_b64 s[4:5], s[4:5], s[8:9]
	s_or_b64 exec, exec, s[6:7]
	s_and_saveexec_b64 s[6:7], s[4:5]
	s_cbranch_execnz .LBB54_1331
	s_branch .LBB54_1332
.LBB54_3381:
	s_movk_i32 s4, 0x80
	v_cmp_eq_u16_e32 vcc, s4, v14
	s_mov_b64 s[4:5], -1
                                        ; implicit-def: $sgpr10
	s_and_saveexec_b64 s[8:9], vcc
; %bb.3382:
	s_mov_b32 s10, 0x7f800001
	s_xor_b64 s[4:5], exec, -1
; %bb.3383:
	s_or_b64 exec, exec, s[8:9]
	s_and_b64 s[4:5], s[4:5], exec
                                        ; implicit-def: $vgpr14
	s_or_saveexec_b64 s[6:7], s[6:7]
	v_mov_b32_e32 v20, s10
	s_xor_b64 exec, exec, s[6:7]
	s_cbranch_execz .LBB54_1334
.LBB54_3384:
	v_cmp_ne_u16_e32 vcc, 0, v14
	s_andn2_b64 s[4:5], s[4:5], exec
	s_and_b64 s[8:9], vcc, exec
	v_mov_b32_e32 v20, 0
	s_or_b64 s[4:5], s[4:5], s[8:9]
	s_or_b64 exec, exec, s[6:7]
	s_and_saveexec_b64 s[6:7], s[4:5]
	s_cbranch_execnz .LBB54_1335
	s_branch .LBB54_1336
.LBB54_3385:
	s_movk_i32 s4, 0x80
	v_cmp_eq_u16_sdwa s[12:13], v15, s4 src0_sel:BYTE_3 src1_sel:DWORD
	s_mov_b64 s[4:5], -1
                                        ; implicit-def: $sgpr10
	s_and_saveexec_b64 s[8:9], s[12:13]
; %bb.3386:
	s_mov_b32 s10, 0x7f800001
	s_xor_b64 s[4:5], exec, -1
; %bb.3387:
	s_or_b64 exec, exec, s[8:9]
	s_and_b64 s[4:5], s[4:5], exec
	s_or_saveexec_b64 s[6:7], s[6:7]
	v_mov_b32_e32 v10, s10
	s_xor_b64 exec, exec, s[6:7]
	s_cbranch_execz .LBB54_1338
.LBB54_3388:
	v_mov_b32_e32 v10, 0
	v_cmp_ne_u16_sdwa s[8:9], v15, v10 src0_sel:BYTE_3 src1_sel:DWORD
	s_andn2_b64 s[4:5], s[4:5], exec
	s_and_b64 s[8:9], s[8:9], exec
	s_or_b64 s[4:5], s[4:5], s[8:9]
	s_or_b64 exec, exec, s[6:7]
	s_and_saveexec_b64 s[6:7], s[4:5]
	s_cbranch_execnz .LBB54_1339
	s_branch .LBB54_1340
.LBB54_3389:
	s_movk_i32 s4, 0x80
	v_cmp_eq_u16_sdwa s[12:13], v11, s4 src0_sel:BYTE_3 src1_sel:DWORD
	s_mov_b64 s[4:5], -1
                                        ; implicit-def: $sgpr10
	s_and_saveexec_b64 s[8:9], s[12:13]
; %bb.3390:
	s_mov_b32 s10, 0x7f800001
	s_xor_b64 s[4:5], exec, -1
; %bb.3391:
	s_or_b64 exec, exec, s[8:9]
	s_and_b64 s[4:5], s[4:5], exec
	s_or_saveexec_b64 s[6:7], s[6:7]
	v_mov_b32_e32 v14, s10
	s_xor_b64 exec, exec, s[6:7]
	s_cbranch_execz .LBB54_1342
.LBB54_3392:
	v_mov_b32_e32 v14, 0
	v_cmp_ne_u16_sdwa s[8:9], v11, v14 src0_sel:BYTE_3 src1_sel:DWORD
	s_andn2_b64 s[4:5], s[4:5], exec
	s_and_b64 s[8:9], s[8:9], exec
	s_or_b64 s[4:5], s[4:5], s[8:9]
	s_or_b64 exec, exec, s[6:7]
	s_and_saveexec_b64 s[6:7], s[4:5]
	s_cbranch_execnz .LBB54_1343
	s_branch .LBB54_1344
.LBB54_3393:
	s_movk_i32 s4, 0x80
	v_cmp_eq_u16_sdwa s[12:13], v16, s4 src0_sel:BYTE_0 src1_sel:DWORD
	s_mov_b64 s[4:5], -1
                                        ; implicit-def: $sgpr10
	s_and_saveexec_b64 s[8:9], s[12:13]
; %bb.3394:
	s_mov_b32 s10, 0x7f800001
	s_xor_b64 s[4:5], exec, -1
; %bb.3395:
	s_or_b64 exec, exec, s[8:9]
	s_and_b64 s[4:5], s[4:5], exec
	s_or_saveexec_b64 s[6:7], s[6:7]
	v_mov_b32_e32 v10, s10
	s_xor_b64 exec, exec, s[6:7]
	s_cbranch_execz .LBB54_1346
.LBB54_3396:
	v_mov_b32_e32 v10, 0
	v_cmp_ne_u16_sdwa s[8:9], v16, v10 src0_sel:BYTE_0 src1_sel:DWORD
	s_andn2_b64 s[4:5], s[4:5], exec
	s_and_b64 s[8:9], s[8:9], exec
	s_or_b64 s[4:5], s[4:5], s[8:9]
	s_or_b64 exec, exec, s[6:7]
	s_and_saveexec_b64 s[6:7], s[4:5]
	s_cbranch_execnz .LBB54_1347
	s_branch .LBB54_1348
.LBB54_3397:
	s_movk_i32 s4, 0x80
	v_cmp_eq_u16_sdwa s[12:13], v12, s4 src0_sel:BYTE_0 src1_sel:DWORD
	s_mov_b64 s[4:5], -1
                                        ; implicit-def: $sgpr10
	s_and_saveexec_b64 s[8:9], s[12:13]
; %bb.3398:
	s_mov_b32 s10, 0x7f800001
	s_xor_b64 s[4:5], exec, -1
; %bb.3399:
	s_or_b64 exec, exec, s[8:9]
	s_and_b64 s[4:5], s[4:5], exec
	s_or_saveexec_b64 s[6:7], s[6:7]
	v_mov_b32_e32 v11, s10
	s_xor_b64 exec, exec, s[6:7]
	s_cbranch_execz .LBB54_1350
.LBB54_3400:
	v_mov_b32_e32 v11, 0
	v_cmp_ne_u16_sdwa s[8:9], v12, v11 src0_sel:BYTE_0 src1_sel:DWORD
	s_andn2_b64 s[4:5], s[4:5], exec
	s_and_b64 s[8:9], s[8:9], exec
	s_or_b64 s[4:5], s[4:5], s[8:9]
	s_or_b64 exec, exec, s[6:7]
	s_and_saveexec_b64 s[6:7], s[4:5]
	s_cbranch_execnz .LBB54_1351
	s_branch .LBB54_1352
.LBB54_3401:
	s_movk_i32 s4, 0x80
	v_cmp_eq_u16_sdwa s[12:13], v11, s4 src0_sel:BYTE_0 src1_sel:DWORD
	s_mov_b64 s[4:5], -1
                                        ; implicit-def: $sgpr10
	s_and_saveexec_b64 s[8:9], s[12:13]
; %bb.3402:
	s_mov_b32 s10, 0x7f800001
	s_xor_b64 s[4:5], exec, -1
; %bb.3403:
	s_or_b64 exec, exec, s[8:9]
	s_and_b64 s[4:5], s[4:5], exec
	s_or_saveexec_b64 s[6:7], s[6:7]
	v_mov_b32_e32 v10, s10
	s_xor_b64 exec, exec, s[6:7]
	s_cbranch_execz .LBB54_1354
.LBB54_3404:
	v_mov_b32_e32 v10, 0
	v_cmp_ne_u16_sdwa s[8:9], v11, v10 src0_sel:BYTE_0 src1_sel:DWORD
	s_andn2_b64 s[4:5], s[4:5], exec
	s_and_b64 s[8:9], s[8:9], exec
	s_or_b64 s[4:5], s[4:5], s[8:9]
	s_or_b64 exec, exec, s[6:7]
	s_and_saveexec_b64 s[6:7], s[4:5]
	s_cbranch_execnz .LBB54_1355
	s_branch .LBB54_1356
.LBB54_3405:
	s_movk_i32 s4, 0x80
	v_cmp_eq_u16_sdwa s[12:13], v11, s4 src0_sel:BYTE_0 src1_sel:DWORD
	s_mov_b64 s[4:5], -1
                                        ; implicit-def: $sgpr10
	s_and_saveexec_b64 s[8:9], s[12:13]
; %bb.3406:
	s_mov_b32 s10, 0x7f800001
	s_xor_b64 s[4:5], exec, -1
; %bb.3407:
	s_or_b64 exec, exec, s[8:9]
	s_and_b64 s[4:5], s[4:5], exec
	s_or_saveexec_b64 s[6:7], s[6:7]
	v_mov_b32_e32 v14, s10
	s_xor_b64 exec, exec, s[6:7]
	s_cbranch_execz .LBB54_1358
.LBB54_3408:
	v_mov_b32_e32 v14, 0
	v_cmp_ne_u16_sdwa s[8:9], v11, v14 src0_sel:BYTE_0 src1_sel:DWORD
	s_andn2_b64 s[4:5], s[4:5], exec
	s_and_b64 s[8:9], s[8:9], exec
	s_or_b64 s[4:5], s[4:5], s[8:9]
	s_or_b64 exec, exec, s[6:7]
	s_and_saveexec_b64 s[6:7], s[4:5]
	s_cbranch_execnz .LBB54_1359
	s_branch .LBB54_1360
.LBB54_3409:
	s_movk_i32 s4, 0x80
	v_cmp_eq_u16_e32 vcc, s4, v11
	s_mov_b64 s[4:5], -1
                                        ; implicit-def: $sgpr10
	s_and_saveexec_b64 s[8:9], vcc
; %bb.3410:
	s_mov_b32 s10, 0x7f800001
	s_xor_b64 s[4:5], exec, -1
; %bb.3411:
	s_or_b64 exec, exec, s[8:9]
	s_and_b64 s[4:5], s[4:5], exec
                                        ; implicit-def: $vgpr11
	s_or_saveexec_b64 s[6:7], s[6:7]
	v_mov_b32_e32 v10, s10
	s_xor_b64 exec, exec, s[6:7]
	s_cbranch_execz .LBB54_1362
.LBB54_3412:
	v_cmp_ne_u16_e32 vcc, 0, v11
	s_andn2_b64 s[4:5], s[4:5], exec
	s_and_b64 s[8:9], vcc, exec
	v_mov_b32_e32 v10, 0
	s_or_b64 s[4:5], s[4:5], s[8:9]
	s_or_b64 exec, exec, s[6:7]
	s_and_saveexec_b64 s[6:7], s[4:5]
	s_cbranch_execnz .LBB54_1363
	s_branch .LBB54_1364
.LBB54_3413:
	s_movk_i32 s4, 0x80
	v_cmp_eq_u16_e32 vcc, s4, v11
	s_mov_b64 s[4:5], -1
                                        ; implicit-def: $sgpr10
	s_and_saveexec_b64 s[8:9], vcc
; %bb.3414:
	s_mov_b32 s10, 0x7f800001
	s_xor_b64 s[4:5], exec, -1
; %bb.3415:
	s_or_b64 exec, exec, s[8:9]
	s_and_b64 s[4:5], s[4:5], exec
                                        ; implicit-def: $vgpr11
	s_or_saveexec_b64 s[6:7], s[6:7]
	v_mov_b32_e32 v14, s10
	s_xor_b64 exec, exec, s[6:7]
	s_cbranch_execz .LBB54_1366
.LBB54_3416:
	v_cmp_ne_u16_e32 vcc, 0, v11
	s_andn2_b64 s[4:5], s[4:5], exec
	s_and_b64 s[8:9], vcc, exec
	v_mov_b32_e32 v14, 0
	s_or_b64 s[4:5], s[4:5], s[8:9]
	s_or_b64 exec, exec, s[6:7]
	s_and_saveexec_b64 s[6:7], s[4:5]
	s_cbranch_execnz .LBB54_1367
	s_branch .LBB54_1368
.LBB54_3417:
	s_movk_i32 s4, 0x80
	v_cmp_eq_u16_sdwa s[12:13], v16, s4 src0_sel:BYTE_3 src1_sel:DWORD
	s_mov_b64 s[4:5], -1
                                        ; implicit-def: $sgpr10
	s_and_saveexec_b64 s[8:9], s[12:13]
; %bb.3418:
	s_mov_b32 s10, 0x7f800001
	s_xor_b64 s[4:5], exec, -1
; %bb.3419:
	s_or_b64 exec, exec, s[8:9]
	s_and_b64 s[4:5], s[4:5], exec
	s_or_saveexec_b64 s[6:7], s[6:7]
	v_mov_b32_e32 v10, s10
	s_xor_b64 exec, exec, s[6:7]
	s_cbranch_execz .LBB54_1370
.LBB54_3420:
	v_mov_b32_e32 v10, 0
	v_cmp_ne_u16_sdwa s[8:9], v16, v10 src0_sel:BYTE_3 src1_sel:DWORD
	s_andn2_b64 s[4:5], s[4:5], exec
	s_and_b64 s[8:9], s[8:9], exec
	s_or_b64 s[4:5], s[4:5], s[8:9]
	s_or_b64 exec, exec, s[6:7]
	s_and_saveexec_b64 s[6:7], s[4:5]
	s_cbranch_execnz .LBB54_1371
	s_branch .LBB54_1372
.LBB54_3421:
	s_movk_i32 s4, 0x80
	v_cmp_eq_u16_sdwa s[12:13], v12, s4 src0_sel:BYTE_3 src1_sel:DWORD
	s_mov_b64 s[4:5], -1
                                        ; implicit-def: $sgpr10
	s_and_saveexec_b64 s[8:9], s[12:13]
; %bb.3422:
	s_mov_b32 s10, 0x7f800001
	s_xor_b64 s[4:5], exec, -1
; %bb.3423:
	s_or_b64 exec, exec, s[8:9]
	s_and_b64 s[4:5], s[4:5], exec
	s_or_saveexec_b64 s[6:7], s[6:7]
	v_mov_b32_e32 v11, s10
	s_xor_b64 exec, exec, s[6:7]
	s_cbranch_execz .LBB54_1374
.LBB54_3424:
	v_mov_b32_e32 v11, 0
	v_cmp_ne_u16_sdwa s[8:9], v12, v11 src0_sel:BYTE_3 src1_sel:DWORD
	s_andn2_b64 s[4:5], s[4:5], exec
	s_and_b64 s[8:9], s[8:9], exec
	s_or_b64 s[4:5], s[4:5], s[8:9]
	s_or_b64 exec, exec, s[6:7]
	s_and_saveexec_b64 s[6:7], s[4:5]
	s_cbranch_execnz .LBB54_1375
	s_branch .LBB54_1376
.LBB54_3425:
	s_movk_i32 s4, 0x80
	v_cmp_eq_u16_sdwa s[12:13], v17, s4 src0_sel:BYTE_0 src1_sel:DWORD
	s_mov_b64 s[4:5], -1
                                        ; implicit-def: $sgpr10
	s_and_saveexec_b64 s[8:9], s[12:13]
; %bb.3426:
	s_mov_b32 s10, 0x7f800001
	s_xor_b64 s[4:5], exec, -1
; %bb.3427:
	s_or_b64 exec, exec, s[8:9]
	s_and_b64 s[4:5], s[4:5], exec
	s_or_saveexec_b64 s[6:7], s[6:7]
	v_mov_b32_e32 v10, s10
	s_xor_b64 exec, exec, s[6:7]
	s_cbranch_execz .LBB54_1378
.LBB54_3428:
	v_mov_b32_e32 v10, 0
	v_cmp_ne_u16_sdwa s[8:9], v17, v10 src0_sel:BYTE_0 src1_sel:DWORD
	s_andn2_b64 s[4:5], s[4:5], exec
	s_and_b64 s[8:9], s[8:9], exec
	s_or_b64 s[4:5], s[4:5], s[8:9]
	s_or_b64 exec, exec, s[6:7]
	s_and_saveexec_b64 s[6:7], s[4:5]
	s_cbranch_execnz .LBB54_1379
	s_branch .LBB54_1380
.LBB54_3429:
	s_movk_i32 s4, 0x80
	v_cmp_eq_u16_sdwa s[12:13], v13, s4 src0_sel:BYTE_0 src1_sel:DWORD
	s_mov_b64 s[4:5], -1
                                        ; implicit-def: $sgpr10
	s_and_saveexec_b64 s[8:9], s[12:13]
; %bb.3430:
	s_mov_b32 s10, 0x7f800001
	s_xor_b64 s[4:5], exec, -1
; %bb.3431:
	s_or_b64 exec, exec, s[8:9]
	s_and_b64 s[4:5], s[4:5], exec
	s_or_saveexec_b64 s[6:7], s[6:7]
	v_mov_b32_e32 v11, s10
	s_xor_b64 exec, exec, s[6:7]
	s_cbranch_execz .LBB54_1382
.LBB54_3432:
	v_mov_b32_e32 v11, 0
	v_cmp_ne_u16_sdwa s[8:9], v13, v11 src0_sel:BYTE_0 src1_sel:DWORD
	s_andn2_b64 s[4:5], s[4:5], exec
	s_and_b64 s[8:9], s[8:9], exec
	s_or_b64 s[4:5], s[4:5], s[8:9]
	s_or_b64 exec, exec, s[6:7]
	s_and_saveexec_b64 s[6:7], s[4:5]
	s_cbranch_execnz .LBB54_1383
	s_branch .LBB54_1384
.LBB54_3433:
	s_movk_i32 s4, 0x80
	v_cmp_eq_u16_sdwa s[12:13], v11, s4 src0_sel:BYTE_0 src1_sel:DWORD
	s_mov_b64 s[4:5], -1
                                        ; implicit-def: $sgpr10
	s_and_saveexec_b64 s[8:9], s[12:13]
; %bb.3434:
	s_mov_b32 s10, 0x7f800001
	s_xor_b64 s[4:5], exec, -1
; %bb.3435:
	s_or_b64 exec, exec, s[8:9]
	s_and_b64 s[4:5], s[4:5], exec
	s_or_saveexec_b64 s[6:7], s[6:7]
	v_mov_b32_e32 v10, s10
	s_xor_b64 exec, exec, s[6:7]
	s_cbranch_execz .LBB54_1386
.LBB54_3436:
	v_mov_b32_e32 v10, 0
	v_cmp_ne_u16_sdwa s[8:9], v11, v10 src0_sel:BYTE_0 src1_sel:DWORD
	s_andn2_b64 s[4:5], s[4:5], exec
	s_and_b64 s[8:9], s[8:9], exec
	s_or_b64 s[4:5], s[4:5], s[8:9]
	s_or_b64 exec, exec, s[6:7]
	s_and_saveexec_b64 s[6:7], s[4:5]
	s_cbranch_execnz .LBB54_1387
	s_branch .LBB54_1388
.LBB54_3437:
	s_movk_i32 s4, 0x80
	v_cmp_eq_u16_sdwa s[12:13], v11, s4 src0_sel:BYTE_0 src1_sel:DWORD
	s_mov_b64 s[4:5], -1
                                        ; implicit-def: $sgpr10
	s_and_saveexec_b64 s[8:9], s[12:13]
; %bb.3438:
	s_mov_b32 s10, 0x7f800001
	s_xor_b64 s[4:5], exec, -1
; %bb.3439:
	s_or_b64 exec, exec, s[8:9]
	s_and_b64 s[4:5], s[4:5], exec
	s_or_saveexec_b64 s[6:7], s[6:7]
	v_mov_b32_e32 v12, s10
	s_xor_b64 exec, exec, s[6:7]
	s_cbranch_execz .LBB54_1390
.LBB54_3440:
	v_mov_b32_e32 v12, 0
	v_cmp_ne_u16_sdwa s[8:9], v11, v12 src0_sel:BYTE_0 src1_sel:DWORD
	s_andn2_b64 s[4:5], s[4:5], exec
	s_and_b64 s[8:9], s[8:9], exec
	s_or_b64 s[4:5], s[4:5], s[8:9]
	s_or_b64 exec, exec, s[6:7]
	s_and_saveexec_b64 s[6:7], s[4:5]
	s_cbranch_execnz .LBB54_1391
	s_branch .LBB54_1392
.LBB54_3441:
	s_movk_i32 s4, 0x80
	v_cmp_eq_u16_e32 vcc, s4, v11
	s_mov_b64 s[4:5], -1
                                        ; implicit-def: $sgpr10
	s_and_saveexec_b64 s[8:9], vcc
; %bb.3442:
	s_mov_b32 s10, 0x7f800001
	s_xor_b64 s[4:5], exec, -1
; %bb.3443:
	s_or_b64 exec, exec, s[8:9]
	s_and_b64 s[4:5], s[4:5], exec
                                        ; implicit-def: $vgpr11
	s_or_saveexec_b64 s[6:7], s[6:7]
	v_mov_b32_e32 v10, s10
	s_xor_b64 exec, exec, s[6:7]
	s_cbranch_execz .LBB54_1394
.LBB54_3444:
	v_cmp_ne_u16_e32 vcc, 0, v11
	s_andn2_b64 s[4:5], s[4:5], exec
	s_and_b64 s[8:9], vcc, exec
	v_mov_b32_e32 v10, 0
	s_or_b64 s[4:5], s[4:5], s[8:9]
	s_or_b64 exec, exec, s[6:7]
	s_and_saveexec_b64 s[6:7], s[4:5]
	s_cbranch_execnz .LBB54_1395
	s_branch .LBB54_1396
.LBB54_3445:
	s_movk_i32 s4, 0x80
	v_cmp_eq_u16_e32 vcc, s4, v11
	s_mov_b64 s[4:5], -1
                                        ; implicit-def: $sgpr10
	s_and_saveexec_b64 s[8:9], vcc
; %bb.3446:
	s_mov_b32 s10, 0x7f800001
	s_xor_b64 s[4:5], exec, -1
; %bb.3447:
	s_or_b64 exec, exec, s[8:9]
	s_and_b64 s[4:5], s[4:5], exec
                                        ; implicit-def: $vgpr11
	s_or_saveexec_b64 s[6:7], s[6:7]
	v_mov_b32_e32 v12, s10
	s_xor_b64 exec, exec, s[6:7]
	s_cbranch_execz .LBB54_1398
.LBB54_3448:
	v_cmp_ne_u16_e32 vcc, 0, v11
	s_andn2_b64 s[4:5], s[4:5], exec
	s_and_b64 s[8:9], vcc, exec
	v_mov_b32_e32 v12, 0
	s_or_b64 s[4:5], s[4:5], s[8:9]
	s_or_b64 exec, exec, s[6:7]
	s_and_saveexec_b64 s[6:7], s[4:5]
	s_cbranch_execnz .LBB54_1399
	s_branch .LBB54_1400
.LBB54_3449:
	s_movk_i32 s4, 0x80
	v_cmp_eq_u16_sdwa s[12:13], v17, s4 src0_sel:BYTE_3 src1_sel:DWORD
	s_mov_b64 s[4:5], -1
                                        ; implicit-def: $sgpr10
	s_and_saveexec_b64 s[8:9], s[12:13]
; %bb.3450:
	s_mov_b32 s10, 0x7f800001
	s_xor_b64 s[4:5], exec, -1
; %bb.3451:
	s_or_b64 exec, exec, s[8:9]
	s_and_b64 s[4:5], s[4:5], exec
	s_or_saveexec_b64 s[6:7], s[6:7]
	v_mov_b32_e32 v10, s10
	s_xor_b64 exec, exec, s[6:7]
	s_cbranch_execz .LBB54_1402
.LBB54_3452:
	v_mov_b32_e32 v10, 0
	v_cmp_ne_u16_sdwa s[8:9], v17, v10 src0_sel:BYTE_3 src1_sel:DWORD
	s_andn2_b64 s[4:5], s[4:5], exec
	s_and_b64 s[8:9], s[8:9], exec
	s_or_b64 s[4:5], s[4:5], s[8:9]
	s_or_b64 exec, exec, s[6:7]
	s_and_saveexec_b64 s[6:7], s[4:5]
	s_cbranch_execnz .LBB54_1403
	s_branch .LBB54_1404
.LBB54_3453:
	s_movk_i32 s4, 0x80
	v_cmp_eq_u16_sdwa s[12:13], v13, s4 src0_sel:BYTE_3 src1_sel:DWORD
	s_mov_b64 s[4:5], -1
                                        ; implicit-def: $sgpr10
	s_and_saveexec_b64 s[8:9], s[12:13]
; %bb.3454:
	s_mov_b32 s10, 0x7f800001
	s_xor_b64 s[4:5], exec, -1
; %bb.3455:
	s_or_b64 exec, exec, s[8:9]
	s_and_b64 s[4:5], s[4:5], exec
	s_or_saveexec_b64 s[6:7], s[6:7]
	v_mov_b32_e32 v11, s10
	s_xor_b64 exec, exec, s[6:7]
	s_cbranch_execz .LBB54_1406
.LBB54_3456:
	v_mov_b32_e32 v11, 0
	v_cmp_ne_u16_sdwa s[8:9], v13, v11 src0_sel:BYTE_3 src1_sel:DWORD
	s_andn2_b64 s[4:5], s[4:5], exec
	s_and_b64 s[8:9], s[8:9], exec
	s_or_b64 s[4:5], s[4:5], s[8:9]
	s_or_b64 exec, exec, s[6:7]
	s_and_saveexec_b64 s[6:7], s[4:5]
	s_cbranch_execnz .LBB54_1407
	s_branch .LBB54_1408
.LBB54_3457:
	s_movk_i32 s4, 0x80
	v_cmp_eq_u16_sdwa s[12:13], v6, s4 src0_sel:BYTE_0 src1_sel:DWORD
	s_mov_b64 s[4:5], -1
                                        ; implicit-def: $sgpr10
	s_and_saveexec_b64 s[8:9], s[12:13]
; %bb.3458:
	s_mov_b32 s10, 0x7f800001
	s_xor_b64 s[4:5], exec, -1
; %bb.3459:
	s_or_b64 exec, exec, s[8:9]
	s_and_b64 s[4:5], s[4:5], exec
	s_or_saveexec_b64 s[6:7], s[6:7]
	v_mov_b32_e32 v10, s10
	s_xor_b64 exec, exec, s[6:7]
	s_cbranch_execz .LBB54_1410
.LBB54_3460:
	v_mov_b32_e32 v10, 0
	v_cmp_ne_u16_sdwa s[8:9], v6, v10 src0_sel:BYTE_0 src1_sel:DWORD
	s_andn2_b64 s[4:5], s[4:5], exec
	s_and_b64 s[8:9], s[8:9], exec
	s_or_b64 s[4:5], s[4:5], s[8:9]
	s_or_b64 exec, exec, s[6:7]
	s_and_saveexec_b64 s[6:7], s[4:5]
	s_cbranch_execnz .LBB54_1411
	s_branch .LBB54_1412
.LBB54_3461:
	s_movk_i32 s4, 0x80
	v_cmp_eq_u16_sdwa s[12:13], v2, s4 src0_sel:BYTE_0 src1_sel:DWORD
	s_mov_b64 s[4:5], -1
                                        ; implicit-def: $sgpr10
	s_and_saveexec_b64 s[8:9], s[12:13]
; %bb.3462:
	s_mov_b32 s10, 0x7f800001
	s_xor_b64 s[4:5], exec, -1
; %bb.3463:
	s_or_b64 exec, exec, s[8:9]
	s_and_b64 s[4:5], s[4:5], exec
	s_or_saveexec_b64 s[6:7], s[6:7]
	v_mov_b32_e32 v11, s10
	s_xor_b64 exec, exec, s[6:7]
	s_cbranch_execz .LBB54_1414
.LBB54_3464:
	v_mov_b32_e32 v11, 0
	v_cmp_ne_u16_sdwa s[8:9], v2, v11 src0_sel:BYTE_0 src1_sel:DWORD
	s_andn2_b64 s[4:5], s[4:5], exec
	s_and_b64 s[8:9], s[8:9], exec
	s_or_b64 s[4:5], s[4:5], s[8:9]
	s_or_b64 exec, exec, s[6:7]
	s_and_saveexec_b64 s[6:7], s[4:5]
	s_cbranch_execnz .LBB54_1415
	s_branch .LBB54_1416
.LBB54_3465:
	s_movk_i32 s4, 0x80
	v_cmp_eq_u16_sdwa s[12:13], v11, s4 src0_sel:BYTE_0 src1_sel:DWORD
	s_mov_b64 s[4:5], -1
                                        ; implicit-def: $sgpr10
	s_and_saveexec_b64 s[8:9], s[12:13]
; %bb.3466:
	s_mov_b32 s10, 0x7f800001
	s_xor_b64 s[4:5], exec, -1
; %bb.3467:
	s_or_b64 exec, exec, s[8:9]
	s_and_b64 s[4:5], s[4:5], exec
	s_or_saveexec_b64 s[6:7], s[6:7]
	v_mov_b32_e32 v10, s10
	s_xor_b64 exec, exec, s[6:7]
	s_cbranch_execz .LBB54_1418
.LBB54_3468:
	v_mov_b32_e32 v10, 0
	v_cmp_ne_u16_sdwa s[8:9], v11, v10 src0_sel:BYTE_0 src1_sel:DWORD
	s_andn2_b64 s[4:5], s[4:5], exec
	s_and_b64 s[8:9], s[8:9], exec
	s_or_b64 s[4:5], s[4:5], s[8:9]
	s_or_b64 exec, exec, s[6:7]
	s_and_saveexec_b64 s[6:7], s[4:5]
	s_cbranch_execnz .LBB54_1419
	s_branch .LBB54_1420
.LBB54_3469:
	s_movk_i32 s4, 0x80
	v_cmp_eq_u16_sdwa s[12:13], v11, s4 src0_sel:BYTE_0 src1_sel:DWORD
	s_mov_b64 s[4:5], -1
                                        ; implicit-def: $sgpr10
	s_and_saveexec_b64 s[8:9], s[12:13]
; %bb.3470:
	s_mov_b32 s10, 0x7f800001
	s_xor_b64 s[4:5], exec, -1
; %bb.3471:
	s_or_b64 exec, exec, s[8:9]
	s_and_b64 s[4:5], s[4:5], exec
	s_or_saveexec_b64 s[6:7], s[6:7]
	v_mov_b32_e32 v12, s10
	s_xor_b64 exec, exec, s[6:7]
	s_cbranch_execz .LBB54_1422
.LBB54_3472:
	v_mov_b32_e32 v12, 0
	v_cmp_ne_u16_sdwa s[8:9], v11, v12 src0_sel:BYTE_0 src1_sel:DWORD
	s_andn2_b64 s[4:5], s[4:5], exec
	s_and_b64 s[8:9], s[8:9], exec
	s_or_b64 s[4:5], s[4:5], s[8:9]
	s_or_b64 exec, exec, s[6:7]
	s_and_saveexec_b64 s[6:7], s[4:5]
	s_cbranch_execnz .LBB54_1423
	s_branch .LBB54_1424
.LBB54_3473:
	s_movk_i32 s4, 0x80
	v_cmp_eq_u16_e32 vcc, s4, v11
	s_mov_b64 s[4:5], -1
                                        ; implicit-def: $sgpr10
	s_and_saveexec_b64 s[8:9], vcc
; %bb.3474:
	s_mov_b32 s10, 0x7f800001
	s_xor_b64 s[4:5], exec, -1
; %bb.3475:
	s_or_b64 exec, exec, s[8:9]
	s_and_b64 s[4:5], s[4:5], exec
                                        ; implicit-def: $vgpr11
	s_or_saveexec_b64 s[6:7], s[6:7]
	v_mov_b32_e32 v10, s10
	s_xor_b64 exec, exec, s[6:7]
	s_cbranch_execz .LBB54_1426
.LBB54_3476:
	v_cmp_ne_u16_e32 vcc, 0, v11
	s_andn2_b64 s[4:5], s[4:5], exec
	s_and_b64 s[8:9], vcc, exec
	v_mov_b32_e32 v10, 0
	s_or_b64 s[4:5], s[4:5], s[8:9]
	s_or_b64 exec, exec, s[6:7]
	s_and_saveexec_b64 s[6:7], s[4:5]
	s_cbranch_execnz .LBB54_1427
	s_branch .LBB54_1428
.LBB54_3477:
	s_movk_i32 s4, 0x80
	v_cmp_eq_u16_e32 vcc, s4, v11
	s_mov_b64 s[4:5], -1
                                        ; implicit-def: $sgpr10
	s_and_saveexec_b64 s[8:9], vcc
; %bb.3478:
	s_mov_b32 s10, 0x7f800001
	s_xor_b64 s[4:5], exec, -1
; %bb.3479:
	s_or_b64 exec, exec, s[8:9]
	s_and_b64 s[4:5], s[4:5], exec
                                        ; implicit-def: $vgpr11
	s_or_saveexec_b64 s[6:7], s[6:7]
	v_mov_b32_e32 v12, s10
	s_xor_b64 exec, exec, s[6:7]
	s_cbranch_execz .LBB54_1430
.LBB54_3480:
	v_cmp_ne_u16_e32 vcc, 0, v11
	s_andn2_b64 s[4:5], s[4:5], exec
	s_and_b64 s[8:9], vcc, exec
	v_mov_b32_e32 v12, 0
	s_or_b64 s[4:5], s[4:5], s[8:9]
	s_or_b64 exec, exec, s[6:7]
	s_and_saveexec_b64 s[6:7], s[4:5]
	s_cbranch_execnz .LBB54_1431
	s_branch .LBB54_1432
.LBB54_3481:
	s_movk_i32 s4, 0x80
	v_cmp_eq_u16_sdwa s[12:13], v6, s4 src0_sel:BYTE_3 src1_sel:DWORD
	s_mov_b64 s[4:5], -1
                                        ; implicit-def: $sgpr10
	s_and_saveexec_b64 s[8:9], s[12:13]
; %bb.3482:
	s_mov_b32 s10, 0x7f800001
	s_xor_b64 s[4:5], exec, -1
; %bb.3483:
	s_or_b64 exec, exec, s[8:9]
	s_and_b64 s[4:5], s[4:5], exec
	s_or_saveexec_b64 s[6:7], s[6:7]
	v_mov_b32_e32 v10, s10
	s_xor_b64 exec, exec, s[6:7]
	s_cbranch_execz .LBB54_1434
.LBB54_3484:
	v_mov_b32_e32 v10, 0
	v_cmp_ne_u16_sdwa s[8:9], v6, v10 src0_sel:BYTE_3 src1_sel:DWORD
	s_andn2_b64 s[4:5], s[4:5], exec
	s_and_b64 s[8:9], s[8:9], exec
	s_or_b64 s[4:5], s[4:5], s[8:9]
	s_or_b64 exec, exec, s[6:7]
	s_and_saveexec_b64 s[6:7], s[4:5]
	s_cbranch_execnz .LBB54_1435
	s_branch .LBB54_1436
.LBB54_3485:
	s_movk_i32 s4, 0x80
	v_cmp_eq_u16_sdwa s[12:13], v2, s4 src0_sel:BYTE_3 src1_sel:DWORD
	s_mov_b64 s[4:5], -1
                                        ; implicit-def: $sgpr10
	s_and_saveexec_b64 s[8:9], s[12:13]
; %bb.3486:
	s_mov_b32 s10, 0x7f800001
	s_xor_b64 s[4:5], exec, -1
; %bb.3487:
	s_or_b64 exec, exec, s[8:9]
	s_and_b64 s[4:5], s[4:5], exec
	s_or_saveexec_b64 s[6:7], s[6:7]
	v_mov_b32_e32 v6, s10
	s_xor_b64 exec, exec, s[6:7]
	s_cbranch_execz .LBB54_1438
.LBB54_3488:
	v_mov_b32_e32 v6, 0
	v_cmp_ne_u16_sdwa s[8:9], v2, v6 src0_sel:BYTE_3 src1_sel:DWORD
	s_andn2_b64 s[4:5], s[4:5], exec
	s_and_b64 s[8:9], s[8:9], exec
	s_or_b64 s[4:5], s[4:5], s[8:9]
	s_or_b64 exec, exec, s[6:7]
	s_and_saveexec_b64 s[6:7], s[4:5]
	s_cbranch_execnz .LBB54_1439
	s_branch .LBB54_1440
.LBB54_3489:
	s_movk_i32 s4, 0x80
	v_cmp_eq_u16_sdwa s[12:13], v7, s4 src0_sel:BYTE_0 src1_sel:DWORD
	s_mov_b64 s[4:5], -1
                                        ; implicit-def: $sgpr10
	s_and_saveexec_b64 s[8:9], s[12:13]
; %bb.3490:
	s_mov_b32 s10, 0x7f800001
	s_xor_b64 s[4:5], exec, -1
; %bb.3491:
	s_or_b64 exec, exec, s[8:9]
	s_and_b64 s[4:5], s[4:5], exec
	s_or_saveexec_b64 s[6:7], s[6:7]
	v_mov_b32_e32 v2, s10
	s_xor_b64 exec, exec, s[6:7]
	s_cbranch_execz .LBB54_1442
.LBB54_3492:
	v_mov_b32_e32 v2, 0
	v_cmp_ne_u16_sdwa s[8:9], v7, v2 src0_sel:BYTE_0 src1_sel:DWORD
	s_andn2_b64 s[4:5], s[4:5], exec
	s_and_b64 s[8:9], s[8:9], exec
	s_or_b64 s[4:5], s[4:5], s[8:9]
	s_or_b64 exec, exec, s[6:7]
	s_and_saveexec_b64 s[6:7], s[4:5]
	s_cbranch_execnz .LBB54_1443
	s_branch .LBB54_1444
.LBB54_3493:
	s_movk_i32 s4, 0x80
	v_cmp_eq_u16_sdwa s[12:13], v3, s4 src0_sel:BYTE_0 src1_sel:DWORD
	s_mov_b64 s[4:5], -1
                                        ; implicit-def: $sgpr10
	s_and_saveexec_b64 s[8:9], s[12:13]
; %bb.3494:
	s_mov_b32 s10, 0x7f800001
	s_xor_b64 s[4:5], exec, -1
; %bb.3495:
	s_or_b64 exec, exec, s[8:9]
	s_and_b64 s[4:5], s[4:5], exec
	s_or_saveexec_b64 s[6:7], s[6:7]
	v_mov_b32_e32 v6, s10
	s_xor_b64 exec, exec, s[6:7]
	s_cbranch_execz .LBB54_1446
.LBB54_3496:
	v_mov_b32_e32 v6, 0
	v_cmp_ne_u16_sdwa s[8:9], v3, v6 src0_sel:BYTE_0 src1_sel:DWORD
	s_andn2_b64 s[4:5], s[4:5], exec
	s_and_b64 s[8:9], s[8:9], exec
	s_or_b64 s[4:5], s[4:5], s[8:9]
	s_or_b64 exec, exec, s[6:7]
	s_and_saveexec_b64 s[6:7], s[4:5]
	s_cbranch_execnz .LBB54_1447
	s_branch .LBB54_1448
.LBB54_3497:
	s_movk_i32 s4, 0x80
	v_cmp_eq_u16_sdwa s[12:13], v6, s4 src0_sel:BYTE_0 src1_sel:DWORD
	s_mov_b64 s[4:5], -1
                                        ; implicit-def: $sgpr10
	s_and_saveexec_b64 s[8:9], s[12:13]
; %bb.3498:
	s_mov_b32 s10, 0x7f800001
	s_xor_b64 s[4:5], exec, -1
; %bb.3499:
	s_or_b64 exec, exec, s[8:9]
	s_and_b64 s[4:5], s[4:5], exec
	s_or_saveexec_b64 s[6:7], s[6:7]
	v_mov_b32_e32 v2, s10
	s_xor_b64 exec, exec, s[6:7]
	s_cbranch_execz .LBB54_1450
.LBB54_3500:
	v_mov_b32_e32 v2, 0
	v_cmp_ne_u16_sdwa s[8:9], v6, v2 src0_sel:BYTE_0 src1_sel:DWORD
	s_andn2_b64 s[4:5], s[4:5], exec
	s_and_b64 s[8:9], s[8:9], exec
	s_or_b64 s[4:5], s[4:5], s[8:9]
	s_or_b64 exec, exec, s[6:7]
	s_and_saveexec_b64 s[6:7], s[4:5]
	s_cbranch_execnz .LBB54_1451
	s_branch .LBB54_1452
.LBB54_3501:
	s_movk_i32 s4, 0x80
	v_cmp_eq_u16_sdwa s[12:13], v6, s4 src0_sel:BYTE_0 src1_sel:DWORD
	s_mov_b64 s[4:5], -1
                                        ; implicit-def: $sgpr10
	s_and_saveexec_b64 s[8:9], s[12:13]
; %bb.3502:
	s_mov_b32 s10, 0x7f800001
	s_xor_b64 s[4:5], exec, -1
; %bb.3503:
	s_or_b64 exec, exec, s[8:9]
	s_and_b64 s[4:5], s[4:5], exec
	s_or_saveexec_b64 s[6:7], s[6:7]
	v_mov_b32_e32 v10, s10
	s_xor_b64 exec, exec, s[6:7]
	s_cbranch_execz .LBB54_1454
.LBB54_3504:
	v_mov_b32_e32 v10, 0
	v_cmp_ne_u16_sdwa s[8:9], v6, v10 src0_sel:BYTE_0 src1_sel:DWORD
	s_andn2_b64 s[4:5], s[4:5], exec
	s_and_b64 s[8:9], s[8:9], exec
	s_or_b64 s[4:5], s[4:5], s[8:9]
	s_or_b64 exec, exec, s[6:7]
	s_and_saveexec_b64 s[6:7], s[4:5]
	s_cbranch_execnz .LBB54_1455
	s_branch .LBB54_1456
.LBB54_3505:
	s_movk_i32 s4, 0x80
	v_cmp_eq_u16_e32 vcc, s4, v6
	s_mov_b64 s[4:5], -1
                                        ; implicit-def: $sgpr10
	s_and_saveexec_b64 s[8:9], vcc
; %bb.3506:
	s_mov_b32 s10, 0x7f800001
	s_xor_b64 s[4:5], exec, -1
; %bb.3507:
	s_or_b64 exec, exec, s[8:9]
	s_and_b64 s[4:5], s[4:5], exec
                                        ; implicit-def: $vgpr6
	s_or_saveexec_b64 s[6:7], s[6:7]
	v_mov_b32_e32 v2, s10
	s_xor_b64 exec, exec, s[6:7]
	s_cbranch_execz .LBB54_1458
.LBB54_3508:
	v_cmp_ne_u16_e32 vcc, 0, v6
	s_andn2_b64 s[4:5], s[4:5], exec
	s_and_b64 s[8:9], vcc, exec
	v_mov_b32_e32 v2, 0
	s_or_b64 s[4:5], s[4:5], s[8:9]
	s_or_b64 exec, exec, s[6:7]
	s_and_saveexec_b64 s[6:7], s[4:5]
	s_cbranch_execnz .LBB54_1459
	s_branch .LBB54_1460
.LBB54_3509:
	s_movk_i32 s4, 0x80
	v_cmp_eq_u16_e32 vcc, s4, v6
	s_mov_b64 s[4:5], -1
                                        ; implicit-def: $sgpr10
	s_and_saveexec_b64 s[8:9], vcc
; %bb.3510:
	s_mov_b32 s10, 0x7f800001
	s_xor_b64 s[4:5], exec, -1
; %bb.3511:
	s_or_b64 exec, exec, s[8:9]
	s_and_b64 s[4:5], s[4:5], exec
                                        ; implicit-def: $vgpr6
	s_or_saveexec_b64 s[6:7], s[6:7]
	v_mov_b32_e32 v10, s10
	s_xor_b64 exec, exec, s[6:7]
	s_cbranch_execz .LBB54_1462
.LBB54_3512:
	v_cmp_ne_u16_e32 vcc, 0, v6
	s_andn2_b64 s[4:5], s[4:5], exec
	s_and_b64 s[8:9], vcc, exec
	v_mov_b32_e32 v10, 0
	s_or_b64 s[4:5], s[4:5], s[8:9]
	s_or_b64 exec, exec, s[6:7]
	s_and_saveexec_b64 s[6:7], s[4:5]
	s_cbranch_execnz .LBB54_1463
	s_branch .LBB54_1464
.LBB54_3513:
	s_movk_i32 s4, 0x80
	v_cmp_eq_u16_sdwa s[12:13], v7, s4 src0_sel:BYTE_3 src1_sel:DWORD
	s_mov_b64 s[4:5], -1
                                        ; implicit-def: $sgpr10
	s_and_saveexec_b64 s[8:9], s[12:13]
; %bb.3514:
	s_mov_b32 s10, 0x7f800001
	s_xor_b64 s[4:5], exec, -1
; %bb.3515:
	s_or_b64 exec, exec, s[8:9]
	s_and_b64 s[4:5], s[4:5], exec
	s_or_saveexec_b64 s[6:7], s[6:7]
	v_mov_b32_e32 v2, s10
	s_xor_b64 exec, exec, s[6:7]
	s_cbranch_execz .LBB54_1466
.LBB54_3516:
	v_mov_b32_e32 v2, 0
	v_cmp_ne_u16_sdwa s[8:9], v7, v2 src0_sel:BYTE_3 src1_sel:DWORD
	s_andn2_b64 s[4:5], s[4:5], exec
	s_and_b64 s[8:9], s[8:9], exec
	s_or_b64 s[4:5], s[4:5], s[8:9]
	s_or_b64 exec, exec, s[6:7]
	s_and_saveexec_b64 s[6:7], s[4:5]
	s_cbranch_execnz .LBB54_1467
	s_branch .LBB54_1468
.LBB54_3517:
	s_movk_i32 s4, 0x80
	v_cmp_eq_u16_sdwa s[12:13], v3, s4 src0_sel:BYTE_3 src1_sel:DWORD
	s_mov_b64 s[4:5], -1
                                        ; implicit-def: $sgpr10
	s_and_saveexec_b64 s[8:9], s[12:13]
; %bb.3518:
	s_mov_b32 s10, 0x7f800001
	s_xor_b64 s[4:5], exec, -1
; %bb.3519:
	s_or_b64 exec, exec, s[8:9]
	s_and_b64 s[4:5], s[4:5], exec
	s_or_saveexec_b64 s[6:7], s[6:7]
	v_mov_b32_e32 v6, s10
	s_xor_b64 exec, exec, s[6:7]
	s_cbranch_execz .LBB54_1470
.LBB54_3520:
	v_mov_b32_e32 v6, 0
	v_cmp_ne_u16_sdwa s[8:9], v3, v6 src0_sel:BYTE_3 src1_sel:DWORD
	s_andn2_b64 s[4:5], s[4:5], exec
	s_and_b64 s[8:9], s[8:9], exec
	s_or_b64 s[4:5], s[4:5], s[8:9]
	s_or_b64 exec, exec, s[6:7]
	s_and_saveexec_b64 s[6:7], s[4:5]
	s_cbranch_execnz .LBB54_1471
	s_branch .LBB54_1472
.LBB54_3521:
	s_movk_i32 s4, 0x80
	v_cmp_eq_u16_sdwa s[12:13], v8, s4 src0_sel:BYTE_0 src1_sel:DWORD
	s_mov_b64 s[4:5], -1
                                        ; implicit-def: $sgpr10
	s_and_saveexec_b64 s[8:9], s[12:13]
; %bb.3522:
	s_mov_b32 s10, 0x7f800001
	s_xor_b64 s[4:5], exec, -1
; %bb.3523:
	s_or_b64 exec, exec, s[8:9]
	s_and_b64 s[4:5], s[4:5], exec
	s_or_saveexec_b64 s[6:7], s[6:7]
	v_mov_b32_e32 v2, s10
	s_xor_b64 exec, exec, s[6:7]
	s_cbranch_execz .LBB54_1474
.LBB54_3524:
	v_mov_b32_e32 v2, 0
	v_cmp_ne_u16_sdwa s[8:9], v8, v2 src0_sel:BYTE_0 src1_sel:DWORD
	s_andn2_b64 s[4:5], s[4:5], exec
	s_and_b64 s[8:9], s[8:9], exec
	s_or_b64 s[4:5], s[4:5], s[8:9]
	s_or_b64 exec, exec, s[6:7]
	s_and_saveexec_b64 s[6:7], s[4:5]
	s_cbranch_execnz .LBB54_1475
	s_branch .LBB54_1476
.LBB54_3525:
	s_movk_i32 s4, 0x80
	v_cmp_eq_u16_sdwa s[12:13], v4, s4 src0_sel:BYTE_0 src1_sel:DWORD
	s_mov_b64 s[4:5], -1
                                        ; implicit-def: $sgpr10
	s_and_saveexec_b64 s[8:9], s[12:13]
; %bb.3526:
	s_mov_b32 s10, 0x7f800001
	s_xor_b64 s[4:5], exec, -1
; %bb.3527:
	s_or_b64 exec, exec, s[8:9]
	s_and_b64 s[4:5], s[4:5], exec
	s_or_saveexec_b64 s[6:7], s[6:7]
	v_mov_b32_e32 v3, s10
	s_xor_b64 exec, exec, s[6:7]
	s_cbranch_execz .LBB54_1478
.LBB54_3528:
	v_mov_b32_e32 v3, 0
	v_cmp_ne_u16_sdwa s[8:9], v4, v3 src0_sel:BYTE_0 src1_sel:DWORD
	s_andn2_b64 s[4:5], s[4:5], exec
	s_and_b64 s[8:9], s[8:9], exec
	s_or_b64 s[4:5], s[4:5], s[8:9]
	s_or_b64 exec, exec, s[6:7]
	s_and_saveexec_b64 s[6:7], s[4:5]
	s_cbranch_execnz .LBB54_1479
	s_branch .LBB54_1480
.LBB54_3529:
	s_movk_i32 s4, 0x80
	v_cmp_eq_u16_sdwa s[12:13], v3, s4 src0_sel:BYTE_0 src1_sel:DWORD
	s_mov_b64 s[4:5], -1
                                        ; implicit-def: $sgpr10
	s_and_saveexec_b64 s[8:9], s[12:13]
; %bb.3530:
	s_mov_b32 s10, 0x7f800001
	s_xor_b64 s[4:5], exec, -1
; %bb.3531:
	s_or_b64 exec, exec, s[8:9]
	s_and_b64 s[4:5], s[4:5], exec
	s_or_saveexec_b64 s[6:7], s[6:7]
	v_mov_b32_e32 v2, s10
	s_xor_b64 exec, exec, s[6:7]
	s_cbranch_execz .LBB54_1482
.LBB54_3532:
	v_mov_b32_e32 v2, 0
	v_cmp_ne_u16_sdwa s[8:9], v3, v2 src0_sel:BYTE_0 src1_sel:DWORD
	s_andn2_b64 s[4:5], s[4:5], exec
	s_and_b64 s[8:9], s[8:9], exec
	s_or_b64 s[4:5], s[4:5], s[8:9]
	s_or_b64 exec, exec, s[6:7]
	s_and_saveexec_b64 s[6:7], s[4:5]
	s_cbranch_execnz .LBB54_1483
	s_branch .LBB54_1484
.LBB54_3533:
	s_movk_i32 s4, 0x80
	v_cmp_eq_u16_sdwa s[12:13], v3, s4 src0_sel:BYTE_0 src1_sel:DWORD
	s_mov_b64 s[4:5], -1
                                        ; implicit-def: $sgpr10
	s_and_saveexec_b64 s[8:9], s[12:13]
; %bb.3534:
	s_mov_b32 s10, 0x7f800001
	s_xor_b64 s[4:5], exec, -1
; %bb.3535:
	s_or_b64 exec, exec, s[8:9]
	s_and_b64 s[4:5], s[4:5], exec
	s_or_saveexec_b64 s[6:7], s[6:7]
	v_mov_b32_e32 v6, s10
	s_xor_b64 exec, exec, s[6:7]
	s_cbranch_execz .LBB54_1486
.LBB54_3536:
	v_mov_b32_e32 v6, 0
	v_cmp_ne_u16_sdwa s[8:9], v3, v6 src0_sel:BYTE_0 src1_sel:DWORD
	s_andn2_b64 s[4:5], s[4:5], exec
	s_and_b64 s[8:9], s[8:9], exec
	s_or_b64 s[4:5], s[4:5], s[8:9]
	s_or_b64 exec, exec, s[6:7]
	s_and_saveexec_b64 s[6:7], s[4:5]
	s_cbranch_execnz .LBB54_1487
	s_branch .LBB54_1488
.LBB54_3537:
	s_movk_i32 s4, 0x80
	v_cmp_eq_u16_e32 vcc, s4, v3
	s_mov_b64 s[4:5], -1
                                        ; implicit-def: $sgpr10
	s_and_saveexec_b64 s[8:9], vcc
; %bb.3538:
	s_mov_b32 s10, 0x7f800001
	s_xor_b64 s[4:5], exec, -1
; %bb.3539:
	s_or_b64 exec, exec, s[8:9]
	s_and_b64 s[4:5], s[4:5], exec
                                        ; implicit-def: $vgpr3
	s_or_saveexec_b64 s[6:7], s[6:7]
	v_mov_b32_e32 v2, s10
	s_xor_b64 exec, exec, s[6:7]
	s_cbranch_execz .LBB54_1490
.LBB54_3540:
	v_cmp_ne_u16_e32 vcc, 0, v3
	s_andn2_b64 s[4:5], s[4:5], exec
	s_and_b64 s[8:9], vcc, exec
	v_mov_b32_e32 v2, 0
	s_or_b64 s[4:5], s[4:5], s[8:9]
	s_or_b64 exec, exec, s[6:7]
	s_and_saveexec_b64 s[6:7], s[4:5]
	s_cbranch_execnz .LBB54_1491
	s_branch .LBB54_1492
.LBB54_3541:
	s_movk_i32 s4, 0x80
	v_cmp_eq_u16_e32 vcc, s4, v3
	s_mov_b64 s[4:5], -1
                                        ; implicit-def: $sgpr10
	s_and_saveexec_b64 s[8:9], vcc
; %bb.3542:
	s_mov_b32 s10, 0x7f800001
	s_xor_b64 s[4:5], exec, -1
; %bb.3543:
	s_or_b64 exec, exec, s[8:9]
	s_and_b64 s[4:5], s[4:5], exec
                                        ; implicit-def: $vgpr3
	s_or_saveexec_b64 s[6:7], s[6:7]
	v_mov_b32_e32 v6, s10
	s_xor_b64 exec, exec, s[6:7]
	s_cbranch_execz .LBB54_1494
.LBB54_3544:
	v_cmp_ne_u16_e32 vcc, 0, v3
	s_andn2_b64 s[4:5], s[4:5], exec
	s_and_b64 s[8:9], vcc, exec
	v_mov_b32_e32 v6, 0
	s_or_b64 s[4:5], s[4:5], s[8:9]
	s_or_b64 exec, exec, s[6:7]
	s_and_saveexec_b64 s[6:7], s[4:5]
	s_cbranch_execnz .LBB54_1495
	s_branch .LBB54_1496
.LBB54_3545:
	s_movk_i32 s4, 0x80
	v_cmp_eq_u16_sdwa s[12:13], v8, s4 src0_sel:BYTE_3 src1_sel:DWORD
	s_mov_b64 s[4:5], -1
                                        ; implicit-def: $sgpr10
	s_and_saveexec_b64 s[8:9], s[12:13]
; %bb.3546:
	s_mov_b32 s10, 0x7f800001
	s_xor_b64 s[4:5], exec, -1
; %bb.3547:
	s_or_b64 exec, exec, s[8:9]
	s_and_b64 s[4:5], s[4:5], exec
	s_or_saveexec_b64 s[6:7], s[6:7]
	v_mov_b32_e32 v2, s10
	s_xor_b64 exec, exec, s[6:7]
	s_cbranch_execz .LBB54_1498
.LBB54_3548:
	v_mov_b32_e32 v2, 0
	v_cmp_ne_u16_sdwa s[8:9], v8, v2 src0_sel:BYTE_3 src1_sel:DWORD
	s_andn2_b64 s[4:5], s[4:5], exec
	s_and_b64 s[8:9], s[8:9], exec
	s_or_b64 s[4:5], s[4:5], s[8:9]
	s_or_b64 exec, exec, s[6:7]
	s_and_saveexec_b64 s[6:7], s[4:5]
	s_cbranch_execnz .LBB54_1499
	s_branch .LBB54_1500
.LBB54_3549:
	s_movk_i32 s4, 0x80
	v_cmp_eq_u16_sdwa s[12:13], v4, s4 src0_sel:BYTE_3 src1_sel:DWORD
	s_mov_b64 s[4:5], -1
                                        ; implicit-def: $sgpr10
	s_and_saveexec_b64 s[8:9], s[12:13]
; %bb.3550:
	s_mov_b32 s10, 0x7f800001
	s_xor_b64 s[4:5], exec, -1
; %bb.3551:
	s_or_b64 exec, exec, s[8:9]
	s_and_b64 s[4:5], s[4:5], exec
	s_or_saveexec_b64 s[6:7], s[6:7]
	v_mov_b32_e32 v3, s10
	s_xor_b64 exec, exec, s[6:7]
	s_cbranch_execz .LBB54_1502
.LBB54_3552:
	v_mov_b32_e32 v3, 0
	v_cmp_ne_u16_sdwa s[8:9], v4, v3 src0_sel:BYTE_3 src1_sel:DWORD
	s_andn2_b64 s[4:5], s[4:5], exec
	s_and_b64 s[8:9], s[8:9], exec
	s_or_b64 s[4:5], s[4:5], s[8:9]
	s_or_b64 exec, exec, s[6:7]
	s_and_saveexec_b64 s[6:7], s[4:5]
	s_cbranch_execnz .LBB54_1503
	s_branch .LBB54_1504
.LBB54_3553:
	s_movk_i32 s4, 0x80
	v_cmp_eq_u16_sdwa s[12:13], v9, s4 src0_sel:BYTE_0 src1_sel:DWORD
	s_mov_b64 s[4:5], -1
                                        ; implicit-def: $sgpr10
	s_and_saveexec_b64 s[8:9], s[12:13]
; %bb.3554:
	s_mov_b32 s10, 0x7f800001
	s_xor_b64 s[4:5], exec, -1
; %bb.3555:
	s_or_b64 exec, exec, s[8:9]
	s_and_b64 s[4:5], s[4:5], exec
	s_or_saveexec_b64 s[6:7], s[6:7]
	v_mov_b32_e32 v2, s10
	s_xor_b64 exec, exec, s[6:7]
	s_cbranch_execz .LBB54_1506
.LBB54_3556:
	v_mov_b32_e32 v2, 0
	v_cmp_ne_u16_sdwa s[8:9], v9, v2 src0_sel:BYTE_0 src1_sel:DWORD
	s_andn2_b64 s[4:5], s[4:5], exec
	s_and_b64 s[8:9], s[8:9], exec
	s_or_b64 s[4:5], s[4:5], s[8:9]
	s_or_b64 exec, exec, s[6:7]
	s_and_saveexec_b64 s[6:7], s[4:5]
	s_cbranch_execnz .LBB54_1507
	s_branch .LBB54_1508
.LBB54_3557:
	s_movk_i32 s4, 0x80
	v_cmp_eq_u16_sdwa s[12:13], v5, s4 src0_sel:BYTE_0 src1_sel:DWORD
	s_mov_b64 s[4:5], -1
                                        ; implicit-def: $sgpr10
	s_and_saveexec_b64 s[8:9], s[12:13]
; %bb.3558:
	s_mov_b32 s10, 0x7f800001
	s_xor_b64 s[4:5], exec, -1
; %bb.3559:
	s_or_b64 exec, exec, s[8:9]
	s_and_b64 s[4:5], s[4:5], exec
	s_or_saveexec_b64 s[6:7], s[6:7]
	v_mov_b32_e32 v3, s10
	s_xor_b64 exec, exec, s[6:7]
	s_cbranch_execz .LBB54_1510
.LBB54_3560:
	v_mov_b32_e32 v3, 0
	v_cmp_ne_u16_sdwa s[8:9], v5, v3 src0_sel:BYTE_0 src1_sel:DWORD
	s_andn2_b64 s[4:5], s[4:5], exec
	s_and_b64 s[8:9], s[8:9], exec
	s_or_b64 s[4:5], s[4:5], s[8:9]
	s_or_b64 exec, exec, s[6:7]
	s_and_saveexec_b64 s[6:7], s[4:5]
	s_cbranch_execnz .LBB54_1511
	s_branch .LBB54_1512
.LBB54_3561:
	s_movk_i32 s4, 0x80
	v_cmp_eq_u16_sdwa s[12:13], v3, s4 src0_sel:BYTE_0 src1_sel:DWORD
	s_mov_b64 s[4:5], -1
                                        ; implicit-def: $sgpr10
	s_and_saveexec_b64 s[8:9], s[12:13]
; %bb.3562:
	s_mov_b32 s10, 0x7f800001
	s_xor_b64 s[4:5], exec, -1
; %bb.3563:
	s_or_b64 exec, exec, s[8:9]
	s_and_b64 s[4:5], s[4:5], exec
	s_or_saveexec_b64 s[6:7], s[6:7]
	v_mov_b32_e32 v2, s10
	s_xor_b64 exec, exec, s[6:7]
	s_cbranch_execz .LBB54_1514
.LBB54_3564:
	v_mov_b32_e32 v2, 0
	v_cmp_ne_u16_sdwa s[8:9], v3, v2 src0_sel:BYTE_0 src1_sel:DWORD
	s_andn2_b64 s[4:5], s[4:5], exec
	s_and_b64 s[8:9], s[8:9], exec
	s_or_b64 s[4:5], s[4:5], s[8:9]
	s_or_b64 exec, exec, s[6:7]
	s_and_saveexec_b64 s[6:7], s[4:5]
	s_cbranch_execnz .LBB54_1515
	s_branch .LBB54_1516
.LBB54_3565:
	s_movk_i32 s4, 0x80
	v_cmp_eq_u16_sdwa s[12:13], v3, s4 src0_sel:BYTE_0 src1_sel:DWORD
	s_mov_b64 s[4:5], -1
                                        ; implicit-def: $sgpr10
	s_and_saveexec_b64 s[8:9], s[12:13]
; %bb.3566:
	s_mov_b32 s10, 0x7f800001
	s_xor_b64 s[4:5], exec, -1
; %bb.3567:
	s_or_b64 exec, exec, s[8:9]
	s_and_b64 s[4:5], s[4:5], exec
	s_or_saveexec_b64 s[6:7], s[6:7]
	v_mov_b32_e32 v4, s10
	s_xor_b64 exec, exec, s[6:7]
	s_cbranch_execz .LBB54_1518
.LBB54_3568:
	v_mov_b32_e32 v4, 0
	v_cmp_ne_u16_sdwa s[8:9], v3, v4 src0_sel:BYTE_0 src1_sel:DWORD
	s_andn2_b64 s[4:5], s[4:5], exec
	s_and_b64 s[8:9], s[8:9], exec
	s_or_b64 s[4:5], s[4:5], s[8:9]
	s_or_b64 exec, exec, s[6:7]
	s_and_saveexec_b64 s[6:7], s[4:5]
	s_cbranch_execnz .LBB54_1519
	s_branch .LBB54_1520
.LBB54_3569:
	s_movk_i32 s4, 0x80
	v_cmp_eq_u16_e32 vcc, s4, v3
	s_mov_b64 s[4:5], -1
                                        ; implicit-def: $sgpr10
	s_and_saveexec_b64 s[8:9], vcc
; %bb.3570:
	s_mov_b32 s10, 0x7f800001
	s_xor_b64 s[4:5], exec, -1
; %bb.3571:
	s_or_b64 exec, exec, s[8:9]
	s_and_b64 s[4:5], s[4:5], exec
                                        ; implicit-def: $vgpr3
	s_or_saveexec_b64 s[6:7], s[6:7]
	v_mov_b32_e32 v2, s10
	s_xor_b64 exec, exec, s[6:7]
	s_cbranch_execz .LBB54_1522
.LBB54_3572:
	v_cmp_ne_u16_e32 vcc, 0, v3
	s_andn2_b64 s[4:5], s[4:5], exec
	s_and_b64 s[8:9], vcc, exec
	v_mov_b32_e32 v2, 0
	s_or_b64 s[4:5], s[4:5], s[8:9]
	s_or_b64 exec, exec, s[6:7]
	s_and_saveexec_b64 s[6:7], s[4:5]
	s_cbranch_execnz .LBB54_1523
	s_branch .LBB54_1524
.LBB54_3573:
	s_movk_i32 s4, 0x80
	v_cmp_eq_u16_e32 vcc, s4, v3
	s_mov_b64 s[4:5], -1
                                        ; implicit-def: $sgpr10
	s_and_saveexec_b64 s[8:9], vcc
; %bb.3574:
	s_mov_b32 s10, 0x7f800001
	s_xor_b64 s[4:5], exec, -1
; %bb.3575:
	s_or_b64 exec, exec, s[8:9]
	s_and_b64 s[4:5], s[4:5], exec
                                        ; implicit-def: $vgpr3
	s_or_saveexec_b64 s[6:7], s[6:7]
	v_mov_b32_e32 v4, s10
	s_xor_b64 exec, exec, s[6:7]
	s_cbranch_execz .LBB54_1526
.LBB54_3576:
	v_cmp_ne_u16_e32 vcc, 0, v3
	s_andn2_b64 s[4:5], s[4:5], exec
	s_and_b64 s[8:9], vcc, exec
	v_mov_b32_e32 v4, 0
	s_or_b64 s[4:5], s[4:5], s[8:9]
	s_or_b64 exec, exec, s[6:7]
	s_and_saveexec_b64 s[6:7], s[4:5]
	s_cbranch_execnz .LBB54_1527
	s_branch .LBB54_1528
.LBB54_3577:
	s_movk_i32 s4, 0x80
	v_cmp_eq_u16_sdwa s[12:13], v9, s4 src0_sel:BYTE_3 src1_sel:DWORD
	s_mov_b64 s[4:5], -1
                                        ; implicit-def: $sgpr10
	s_and_saveexec_b64 s[8:9], s[12:13]
; %bb.3578:
	s_mov_b32 s10, 0x7f800001
	s_xor_b64 s[4:5], exec, -1
; %bb.3579:
	s_or_b64 exec, exec, s[8:9]
	s_and_b64 s[4:5], s[4:5], exec
	s_or_saveexec_b64 s[6:7], s[6:7]
	v_mov_b32_e32 v2, s10
	s_xor_b64 exec, exec, s[6:7]
	s_cbranch_execz .LBB54_1530
.LBB54_3580:
	v_mov_b32_e32 v2, 0
	v_cmp_ne_u16_sdwa s[8:9], v9, v2 src0_sel:BYTE_3 src1_sel:DWORD
	s_andn2_b64 s[4:5], s[4:5], exec
	s_and_b64 s[8:9], s[8:9], exec
	s_or_b64 s[4:5], s[4:5], s[8:9]
	s_or_b64 exec, exec, s[6:7]
	s_and_saveexec_b64 s[6:7], s[4:5]
	s_cbranch_execnz .LBB54_1531
	s_branch .LBB54_1532
.LBB54_3581:
	s_movk_i32 s4, 0x80
	v_cmp_eq_u16_sdwa s[12:13], v5, s4 src0_sel:BYTE_3 src1_sel:DWORD
	s_mov_b64 s[4:5], -1
                                        ; implicit-def: $sgpr10
	s_and_saveexec_b64 s[8:9], s[12:13]
; %bb.3582:
	s_mov_b32 s10, 0x7f800001
	s_xor_b64 s[4:5], exec, -1
; %bb.3583:
	s_or_b64 exec, exec, s[8:9]
	s_and_b64 s[4:5], s[4:5], exec
	s_or_saveexec_b64 s[6:7], s[6:7]
	v_mov_b32_e32 v3, s10
	s_xor_b64 exec, exec, s[6:7]
	s_cbranch_execz .LBB54_1534
.LBB54_3584:
	v_mov_b32_e32 v3, 0
	v_cmp_ne_u16_sdwa s[8:9], v5, v3 src0_sel:BYTE_3 src1_sel:DWORD
	s_andn2_b64 s[4:5], s[4:5], exec
	s_and_b64 s[8:9], s[8:9], exec
	s_or_b64 s[4:5], s[4:5], s[8:9]
	s_or_b64 exec, exec, s[6:7]
	s_and_saveexec_b64 s[6:7], s[4:5]
	s_cbranch_execnz .LBB54_1535
	s_branch .LBB54_1536
.LBB54_3585:
	s_movk_i32 s4, 0x80
	v_cmp_eq_u16_sdwa s[12:13], v14, s4 src0_sel:BYTE_0 src1_sel:DWORD
	s_mov_b64 s[4:5], -1
                                        ; implicit-def: $sgpr10
	s_and_saveexec_b64 s[8:9], s[12:13]
; %bb.3586:
	s_mov_b32 s10, 0x7f800001
	s_xor_b64 s[4:5], exec, -1
; %bb.3587:
	s_or_b64 exec, exec, s[8:9]
	s_and_b64 s[4:5], s[4:5], exec
	s_or_saveexec_b64 s[6:7], s[6:7]
	v_mov_b32_e32 v20, s10
	s_xor_b64 exec, exec, s[6:7]
	s_cbranch_execz .LBB54_1538
.LBB54_3588:
	v_mov_b32_e32 v20, 0
	v_cmp_ne_u16_sdwa s[8:9], v14, v20 src0_sel:BYTE_0 src1_sel:DWORD
	s_andn2_b64 s[4:5], s[4:5], exec
	s_and_b64 s[8:9], s[8:9], exec
	s_or_b64 s[4:5], s[4:5], s[8:9]
	s_or_b64 exec, exec, s[6:7]
	s_and_saveexec_b64 s[6:7], s[4:5]
	s_cbranch_execnz .LBB54_1539
	s_branch .LBB54_1540
.LBB54_3589:
	s_movk_i32 s4, 0x80
	v_cmp_eq_u16_sdwa s[12:13], v10, s4 src0_sel:BYTE_0 src1_sel:DWORD
	s_mov_b64 s[4:5], -1
                                        ; implicit-def: $sgpr10
	s_and_saveexec_b64 s[8:9], s[12:13]
; %bb.3590:
	s_mov_b32 s10, 0x7f800001
	s_xor_b64 s[4:5], exec, -1
; %bb.3591:
	s_or_b64 exec, exec, s[8:9]
	s_and_b64 s[4:5], s[4:5], exec
	s_or_saveexec_b64 s[6:7], s[6:7]
	v_mov_b32_e32 v21, s10
	s_xor_b64 exec, exec, s[6:7]
	s_cbranch_execz .LBB54_1542
.LBB54_3592:
	v_mov_b32_e32 v21, 0
	v_cmp_ne_u16_sdwa s[8:9], v10, v21 src0_sel:BYTE_0 src1_sel:DWORD
	s_andn2_b64 s[4:5], s[4:5], exec
	s_and_b64 s[8:9], s[8:9], exec
	s_or_b64 s[4:5], s[4:5], s[8:9]
	s_or_b64 exec, exec, s[6:7]
	s_and_saveexec_b64 s[6:7], s[4:5]
	s_cbranch_execnz .LBB54_1543
	s_branch .LBB54_1544
.LBB54_3593:
	s_movk_i32 s4, 0x80
	v_cmp_eq_u16_sdwa s[12:13], v21, s4 src0_sel:BYTE_0 src1_sel:DWORD
	s_mov_b64 s[4:5], -1
                                        ; implicit-def: $sgpr10
	s_and_saveexec_b64 s[8:9], s[12:13]
; %bb.3594:
	s_mov_b32 s10, 0x7f800001
	s_xor_b64 s[4:5], exec, -1
; %bb.3595:
	s_or_b64 exec, exec, s[8:9]
	s_and_b64 s[4:5], s[4:5], exec
	s_or_saveexec_b64 s[6:7], s[6:7]
	v_mov_b32_e32 v20, s10
	s_xor_b64 exec, exec, s[6:7]
	s_cbranch_execz .LBB54_1546
.LBB54_3596:
	v_mov_b32_e32 v20, 0
	v_cmp_ne_u16_sdwa s[8:9], v21, v20 src0_sel:BYTE_0 src1_sel:DWORD
	s_andn2_b64 s[4:5], s[4:5], exec
	s_and_b64 s[8:9], s[8:9], exec
	s_or_b64 s[4:5], s[4:5], s[8:9]
	s_or_b64 exec, exec, s[6:7]
	s_and_saveexec_b64 s[6:7], s[4:5]
	s_cbranch_execnz .LBB54_1547
	s_branch .LBB54_1548
.LBB54_3597:
	s_movk_i32 s4, 0x80
	v_cmp_eq_u16_sdwa s[12:13], v21, s4 src0_sel:BYTE_0 src1_sel:DWORD
	s_mov_b64 s[4:5], -1
                                        ; implicit-def: $sgpr10
	s_and_saveexec_b64 s[8:9], s[12:13]
; %bb.3598:
	s_mov_b32 s10, 0x7f800001
	s_xor_b64 s[4:5], exec, -1
; %bb.3599:
	s_or_b64 exec, exec, s[8:9]
	s_and_b64 s[4:5], s[4:5], exec
	s_or_saveexec_b64 s[6:7], s[6:7]
	v_mov_b32_e32 v22, s10
	s_xor_b64 exec, exec, s[6:7]
	s_cbranch_execz .LBB54_1550
.LBB54_3600:
	v_mov_b32_e32 v22, 0
	v_cmp_ne_u16_sdwa s[8:9], v21, v22 src0_sel:BYTE_0 src1_sel:DWORD
	s_andn2_b64 s[4:5], s[4:5], exec
	s_and_b64 s[8:9], s[8:9], exec
	s_or_b64 s[4:5], s[4:5], s[8:9]
	s_or_b64 exec, exec, s[6:7]
	s_and_saveexec_b64 s[6:7], s[4:5]
	s_cbranch_execnz .LBB54_1551
	s_branch .LBB54_1552
.LBB54_3601:
	s_movk_i32 s4, 0x80
	v_cmp_eq_u16_e32 vcc, s4, v21
	s_mov_b64 s[4:5], -1
                                        ; implicit-def: $sgpr10
	s_and_saveexec_b64 s[8:9], vcc
; %bb.3602:
	s_mov_b32 s10, 0x7f800001
	s_xor_b64 s[4:5], exec, -1
; %bb.3603:
	s_or_b64 exec, exec, s[8:9]
	s_and_b64 s[4:5], s[4:5], exec
                                        ; implicit-def: $vgpr21
	s_or_saveexec_b64 s[6:7], s[6:7]
	v_mov_b32_e32 v20, s10
	s_xor_b64 exec, exec, s[6:7]
	s_cbranch_execz .LBB54_1554
.LBB54_3604:
	v_cmp_ne_u16_e32 vcc, 0, v21
	s_andn2_b64 s[4:5], s[4:5], exec
	s_and_b64 s[8:9], vcc, exec
	v_mov_b32_e32 v20, 0
	s_or_b64 s[4:5], s[4:5], s[8:9]
	s_or_b64 exec, exec, s[6:7]
	s_and_saveexec_b64 s[6:7], s[4:5]
	s_cbranch_execnz .LBB54_1555
	s_branch .LBB54_1556
.LBB54_3605:
	s_movk_i32 s4, 0x80
	v_cmp_eq_u16_e32 vcc, s4, v21
	s_mov_b64 s[4:5], -1
                                        ; implicit-def: $sgpr10
	s_and_saveexec_b64 s[8:9], vcc
; %bb.3606:
	s_mov_b32 s10, 0x7f800001
	s_xor_b64 s[4:5], exec, -1
; %bb.3607:
	s_or_b64 exec, exec, s[8:9]
	s_and_b64 s[4:5], s[4:5], exec
                                        ; implicit-def: $vgpr21
	s_or_saveexec_b64 s[6:7], s[6:7]
	v_mov_b32_e32 v22, s10
	s_xor_b64 exec, exec, s[6:7]
	s_cbranch_execz .LBB54_1558
.LBB54_3608:
	v_cmp_ne_u16_e32 vcc, 0, v21
	s_andn2_b64 s[4:5], s[4:5], exec
	s_and_b64 s[8:9], vcc, exec
	v_mov_b32_e32 v22, 0
	s_or_b64 s[4:5], s[4:5], s[8:9]
	s_or_b64 exec, exec, s[6:7]
	s_and_saveexec_b64 s[6:7], s[4:5]
	s_cbranch_execnz .LBB54_1559
	s_branch .LBB54_1560
.LBB54_3609:
	s_movk_i32 s4, 0x80
	v_cmp_eq_u16_sdwa s[12:13], v14, s4 src0_sel:BYTE_3 src1_sel:DWORD
	s_mov_b64 s[4:5], -1
                                        ; implicit-def: $sgpr10
	s_and_saveexec_b64 s[8:9], s[12:13]
; %bb.3610:
	s_mov_b32 s10, 0x7f800001
	s_xor_b64 s[4:5], exec, -1
; %bb.3611:
	s_or_b64 exec, exec, s[8:9]
	s_and_b64 s[4:5], s[4:5], exec
	s_or_saveexec_b64 s[6:7], s[6:7]
	v_mov_b32_e32 v20, s10
	s_xor_b64 exec, exec, s[6:7]
	s_cbranch_execz .LBB54_1562
.LBB54_3612:
	v_mov_b32_e32 v20, 0
	v_cmp_ne_u16_sdwa s[8:9], v14, v20 src0_sel:BYTE_3 src1_sel:DWORD
	s_andn2_b64 s[4:5], s[4:5], exec
	s_and_b64 s[8:9], s[8:9], exec
	s_or_b64 s[4:5], s[4:5], s[8:9]
	s_or_b64 exec, exec, s[6:7]
	s_and_saveexec_b64 s[6:7], s[4:5]
	s_cbranch_execnz .LBB54_1563
	s_branch .LBB54_1564
.LBB54_3613:
	s_movk_i32 s4, 0x80
	v_cmp_eq_u16_sdwa s[12:13], v10, s4 src0_sel:BYTE_3 src1_sel:DWORD
	s_mov_b64 s[4:5], -1
                                        ; implicit-def: $sgpr10
	s_and_saveexec_b64 s[8:9], s[12:13]
; %bb.3614:
	s_mov_b32 s10, 0x7f800001
	s_xor_b64 s[4:5], exec, -1
; %bb.3615:
	s_or_b64 exec, exec, s[8:9]
	s_and_b64 s[4:5], s[4:5], exec
	s_or_saveexec_b64 s[6:7], s[6:7]
	v_mov_b32_e32 v14, s10
	s_xor_b64 exec, exec, s[6:7]
	s_cbranch_execz .LBB54_1566
.LBB54_3616:
	v_mov_b32_e32 v14, 0
	v_cmp_ne_u16_sdwa s[8:9], v10, v14 src0_sel:BYTE_3 src1_sel:DWORD
	s_andn2_b64 s[4:5], s[4:5], exec
	s_and_b64 s[8:9], s[8:9], exec
	s_or_b64 s[4:5], s[4:5], s[8:9]
	s_or_b64 exec, exec, s[6:7]
	s_and_saveexec_b64 s[6:7], s[4:5]
	s_cbranch_execnz .LBB54_1567
	s_branch .LBB54_1568
.LBB54_3617:
	s_movk_i32 s4, 0x80
	v_cmp_eq_u16_sdwa s[12:13], v15, s4 src0_sel:BYTE_0 src1_sel:DWORD
	s_mov_b64 s[4:5], -1
                                        ; implicit-def: $sgpr10
	s_and_saveexec_b64 s[8:9], s[12:13]
; %bb.3618:
	s_mov_b32 s10, 0x7f800001
	s_xor_b64 s[4:5], exec, -1
; %bb.3619:
	s_or_b64 exec, exec, s[8:9]
	s_and_b64 s[4:5], s[4:5], exec
	s_or_saveexec_b64 s[6:7], s[6:7]
	v_mov_b32_e32 v10, s10
	s_xor_b64 exec, exec, s[6:7]
	s_cbranch_execz .LBB54_1570
.LBB54_3620:
	v_mov_b32_e32 v10, 0
	v_cmp_ne_u16_sdwa s[8:9], v15, v10 src0_sel:BYTE_0 src1_sel:DWORD
	s_andn2_b64 s[4:5], s[4:5], exec
	s_and_b64 s[8:9], s[8:9], exec
	s_or_b64 s[4:5], s[4:5], s[8:9]
	s_or_b64 exec, exec, s[6:7]
	s_and_saveexec_b64 s[6:7], s[4:5]
	s_cbranch_execnz .LBB54_1571
	s_branch .LBB54_1572
.LBB54_3621:
	s_movk_i32 s4, 0x80
	v_cmp_eq_u16_sdwa s[12:13], v11, s4 src0_sel:BYTE_0 src1_sel:DWORD
	s_mov_b64 s[4:5], -1
                                        ; implicit-def: $sgpr10
	s_and_saveexec_b64 s[8:9], s[12:13]
; %bb.3622:
	s_mov_b32 s10, 0x7f800001
	s_xor_b64 s[4:5], exec, -1
; %bb.3623:
	s_or_b64 exec, exec, s[8:9]
	s_and_b64 s[4:5], s[4:5], exec
	s_or_saveexec_b64 s[6:7], s[6:7]
	v_mov_b32_e32 v14, s10
	s_xor_b64 exec, exec, s[6:7]
	s_cbranch_execz .LBB54_1574
.LBB54_3624:
	v_mov_b32_e32 v14, 0
	v_cmp_ne_u16_sdwa s[8:9], v11, v14 src0_sel:BYTE_0 src1_sel:DWORD
	s_andn2_b64 s[4:5], s[4:5], exec
	s_and_b64 s[8:9], s[8:9], exec
	s_or_b64 s[4:5], s[4:5], s[8:9]
	s_or_b64 exec, exec, s[6:7]
	s_and_saveexec_b64 s[6:7], s[4:5]
	s_cbranch_execnz .LBB54_1575
	s_branch .LBB54_1576
.LBB54_3625:
	s_movk_i32 s4, 0x80
	v_cmp_eq_u16_sdwa s[12:13], v14, s4 src0_sel:BYTE_0 src1_sel:DWORD
	s_mov_b64 s[4:5], -1
                                        ; implicit-def: $sgpr10
	s_and_saveexec_b64 s[8:9], s[12:13]
; %bb.3626:
	s_mov_b32 s10, 0x7f800001
	s_xor_b64 s[4:5], exec, -1
; %bb.3627:
	s_or_b64 exec, exec, s[8:9]
	s_and_b64 s[4:5], s[4:5], exec
	s_or_saveexec_b64 s[6:7], s[6:7]
	v_mov_b32_e32 v10, s10
	s_xor_b64 exec, exec, s[6:7]
	s_cbranch_execz .LBB54_1578
.LBB54_3628:
	v_mov_b32_e32 v10, 0
	v_cmp_ne_u16_sdwa s[8:9], v14, v10 src0_sel:BYTE_0 src1_sel:DWORD
	s_andn2_b64 s[4:5], s[4:5], exec
	s_and_b64 s[8:9], s[8:9], exec
	s_or_b64 s[4:5], s[4:5], s[8:9]
	s_or_b64 exec, exec, s[6:7]
	s_and_saveexec_b64 s[6:7], s[4:5]
	s_cbranch_execnz .LBB54_1579
	s_branch .LBB54_1580
.LBB54_3629:
	s_movk_i32 s4, 0x80
	v_cmp_eq_u16_sdwa s[12:13], v14, s4 src0_sel:BYTE_0 src1_sel:DWORD
	s_mov_b64 s[4:5], -1
                                        ; implicit-def: $sgpr10
	s_and_saveexec_b64 s[8:9], s[12:13]
; %bb.3630:
	s_mov_b32 s10, 0x7f800001
	s_xor_b64 s[4:5], exec, -1
; %bb.3631:
	s_or_b64 exec, exec, s[8:9]
	s_and_b64 s[4:5], s[4:5], exec
	s_or_saveexec_b64 s[6:7], s[6:7]
	v_mov_b32_e32 v20, s10
	s_xor_b64 exec, exec, s[6:7]
	s_cbranch_execz .LBB54_1582
.LBB54_3632:
	v_mov_b32_e32 v20, 0
	v_cmp_ne_u16_sdwa s[8:9], v14, v20 src0_sel:BYTE_0 src1_sel:DWORD
	s_andn2_b64 s[4:5], s[4:5], exec
	s_and_b64 s[8:9], s[8:9], exec
	s_or_b64 s[4:5], s[4:5], s[8:9]
	s_or_b64 exec, exec, s[6:7]
	s_and_saveexec_b64 s[6:7], s[4:5]
	s_cbranch_execnz .LBB54_1583
	s_branch .LBB54_1584
.LBB54_3633:
	s_movk_i32 s4, 0x80
	v_cmp_eq_u16_e32 vcc, s4, v14
	s_mov_b64 s[4:5], -1
                                        ; implicit-def: $sgpr10
	s_and_saveexec_b64 s[8:9], vcc
; %bb.3634:
	s_mov_b32 s10, 0x7f800001
	s_xor_b64 s[4:5], exec, -1
; %bb.3635:
	s_or_b64 exec, exec, s[8:9]
	s_and_b64 s[4:5], s[4:5], exec
                                        ; implicit-def: $vgpr14
	s_or_saveexec_b64 s[6:7], s[6:7]
	v_mov_b32_e32 v10, s10
	s_xor_b64 exec, exec, s[6:7]
	s_cbranch_execz .LBB54_1586
.LBB54_3636:
	v_cmp_ne_u16_e32 vcc, 0, v14
	s_andn2_b64 s[4:5], s[4:5], exec
	s_and_b64 s[8:9], vcc, exec
	v_mov_b32_e32 v10, 0
	s_or_b64 s[4:5], s[4:5], s[8:9]
	s_or_b64 exec, exec, s[6:7]
	s_and_saveexec_b64 s[6:7], s[4:5]
	s_cbranch_execnz .LBB54_1587
	s_branch .LBB54_1588
.LBB54_3637:
	s_movk_i32 s4, 0x80
	v_cmp_eq_u16_e32 vcc, s4, v14
	s_mov_b64 s[4:5], -1
                                        ; implicit-def: $sgpr10
	s_and_saveexec_b64 s[8:9], vcc
; %bb.3638:
	s_mov_b32 s10, 0x7f800001
	s_xor_b64 s[4:5], exec, -1
; %bb.3639:
	s_or_b64 exec, exec, s[8:9]
	s_and_b64 s[4:5], s[4:5], exec
                                        ; implicit-def: $vgpr14
	s_or_saveexec_b64 s[6:7], s[6:7]
	v_mov_b32_e32 v20, s10
	s_xor_b64 exec, exec, s[6:7]
	s_cbranch_execz .LBB54_1590
.LBB54_3640:
	v_cmp_ne_u16_e32 vcc, 0, v14
	s_andn2_b64 s[4:5], s[4:5], exec
	s_and_b64 s[8:9], vcc, exec
	v_mov_b32_e32 v20, 0
	s_or_b64 s[4:5], s[4:5], s[8:9]
	s_or_b64 exec, exec, s[6:7]
	s_and_saveexec_b64 s[6:7], s[4:5]
	s_cbranch_execnz .LBB54_1591
	s_branch .LBB54_1592
.LBB54_3641:
	s_movk_i32 s4, 0x80
	v_cmp_eq_u16_sdwa s[12:13], v15, s4 src0_sel:BYTE_3 src1_sel:DWORD
	s_mov_b64 s[4:5], -1
                                        ; implicit-def: $sgpr10
	s_and_saveexec_b64 s[8:9], s[12:13]
; %bb.3642:
	s_mov_b32 s10, 0x7f800001
	s_xor_b64 s[4:5], exec, -1
; %bb.3643:
	s_or_b64 exec, exec, s[8:9]
	s_and_b64 s[4:5], s[4:5], exec
	s_or_saveexec_b64 s[6:7], s[6:7]
	v_mov_b32_e32 v10, s10
	s_xor_b64 exec, exec, s[6:7]
	s_cbranch_execz .LBB54_1594
.LBB54_3644:
	v_mov_b32_e32 v10, 0
	v_cmp_ne_u16_sdwa s[8:9], v15, v10 src0_sel:BYTE_3 src1_sel:DWORD
	s_andn2_b64 s[4:5], s[4:5], exec
	s_and_b64 s[8:9], s[8:9], exec
	s_or_b64 s[4:5], s[4:5], s[8:9]
	s_or_b64 exec, exec, s[6:7]
	s_and_saveexec_b64 s[6:7], s[4:5]
	s_cbranch_execnz .LBB54_1595
	s_branch .LBB54_1596
.LBB54_3645:
	s_movk_i32 s4, 0x80
	v_cmp_eq_u16_sdwa s[12:13], v11, s4 src0_sel:BYTE_3 src1_sel:DWORD
	s_mov_b64 s[4:5], -1
                                        ; implicit-def: $sgpr10
	s_and_saveexec_b64 s[8:9], s[12:13]
; %bb.3646:
	s_mov_b32 s10, 0x7f800001
	s_xor_b64 s[4:5], exec, -1
; %bb.3647:
	s_or_b64 exec, exec, s[8:9]
	s_and_b64 s[4:5], s[4:5], exec
	s_or_saveexec_b64 s[6:7], s[6:7]
	v_mov_b32_e32 v14, s10
	s_xor_b64 exec, exec, s[6:7]
	s_cbranch_execz .LBB54_1598
.LBB54_3648:
	v_mov_b32_e32 v14, 0
	v_cmp_ne_u16_sdwa s[8:9], v11, v14 src0_sel:BYTE_3 src1_sel:DWORD
	s_andn2_b64 s[4:5], s[4:5], exec
	s_and_b64 s[8:9], s[8:9], exec
	s_or_b64 s[4:5], s[4:5], s[8:9]
	s_or_b64 exec, exec, s[6:7]
	s_and_saveexec_b64 s[6:7], s[4:5]
	s_cbranch_execnz .LBB54_1599
	s_branch .LBB54_1600
.LBB54_3649:
	s_movk_i32 s4, 0x80
	v_cmp_eq_u16_sdwa s[12:13], v16, s4 src0_sel:BYTE_0 src1_sel:DWORD
	s_mov_b64 s[4:5], -1
                                        ; implicit-def: $sgpr10
	s_and_saveexec_b64 s[8:9], s[12:13]
; %bb.3650:
	s_mov_b32 s10, 0x7f800001
	s_xor_b64 s[4:5], exec, -1
; %bb.3651:
	s_or_b64 exec, exec, s[8:9]
	s_and_b64 s[4:5], s[4:5], exec
	s_or_saveexec_b64 s[6:7], s[6:7]
	v_mov_b32_e32 v10, s10
	s_xor_b64 exec, exec, s[6:7]
	s_cbranch_execz .LBB54_1602
.LBB54_3652:
	v_mov_b32_e32 v10, 0
	v_cmp_ne_u16_sdwa s[8:9], v16, v10 src0_sel:BYTE_0 src1_sel:DWORD
	s_andn2_b64 s[4:5], s[4:5], exec
	s_and_b64 s[8:9], s[8:9], exec
	s_or_b64 s[4:5], s[4:5], s[8:9]
	s_or_b64 exec, exec, s[6:7]
	s_and_saveexec_b64 s[6:7], s[4:5]
	s_cbranch_execnz .LBB54_1603
	s_branch .LBB54_1604
.LBB54_3653:
	s_movk_i32 s4, 0x80
	v_cmp_eq_u16_sdwa s[12:13], v12, s4 src0_sel:BYTE_0 src1_sel:DWORD
	s_mov_b64 s[4:5], -1
                                        ; implicit-def: $sgpr10
	s_and_saveexec_b64 s[8:9], s[12:13]
; %bb.3654:
	s_mov_b32 s10, 0x7f800001
	s_xor_b64 s[4:5], exec, -1
; %bb.3655:
	s_or_b64 exec, exec, s[8:9]
	s_and_b64 s[4:5], s[4:5], exec
	s_or_saveexec_b64 s[6:7], s[6:7]
	v_mov_b32_e32 v11, s10
	s_xor_b64 exec, exec, s[6:7]
	s_cbranch_execz .LBB54_1606
.LBB54_3656:
	v_mov_b32_e32 v11, 0
	v_cmp_ne_u16_sdwa s[8:9], v12, v11 src0_sel:BYTE_0 src1_sel:DWORD
	s_andn2_b64 s[4:5], s[4:5], exec
	s_and_b64 s[8:9], s[8:9], exec
	s_or_b64 s[4:5], s[4:5], s[8:9]
	s_or_b64 exec, exec, s[6:7]
	s_and_saveexec_b64 s[6:7], s[4:5]
	s_cbranch_execnz .LBB54_1607
	s_branch .LBB54_1608
.LBB54_3657:
	s_movk_i32 s4, 0x80
	v_cmp_eq_u16_sdwa s[12:13], v11, s4 src0_sel:BYTE_0 src1_sel:DWORD
	s_mov_b64 s[4:5], -1
                                        ; implicit-def: $sgpr10
	s_and_saveexec_b64 s[8:9], s[12:13]
; %bb.3658:
	s_mov_b32 s10, 0x7f800001
	s_xor_b64 s[4:5], exec, -1
; %bb.3659:
	s_or_b64 exec, exec, s[8:9]
	s_and_b64 s[4:5], s[4:5], exec
	s_or_saveexec_b64 s[6:7], s[6:7]
	v_mov_b32_e32 v10, s10
	s_xor_b64 exec, exec, s[6:7]
	s_cbranch_execz .LBB54_1610
.LBB54_3660:
	v_mov_b32_e32 v10, 0
	v_cmp_ne_u16_sdwa s[8:9], v11, v10 src0_sel:BYTE_0 src1_sel:DWORD
	s_andn2_b64 s[4:5], s[4:5], exec
	s_and_b64 s[8:9], s[8:9], exec
	s_or_b64 s[4:5], s[4:5], s[8:9]
	s_or_b64 exec, exec, s[6:7]
	s_and_saveexec_b64 s[6:7], s[4:5]
	s_cbranch_execnz .LBB54_1611
	s_branch .LBB54_1612
.LBB54_3661:
	s_movk_i32 s4, 0x80
	v_cmp_eq_u16_sdwa s[12:13], v11, s4 src0_sel:BYTE_0 src1_sel:DWORD
	s_mov_b64 s[4:5], -1
                                        ; implicit-def: $sgpr10
	s_and_saveexec_b64 s[8:9], s[12:13]
; %bb.3662:
	s_mov_b32 s10, 0x7f800001
	s_xor_b64 s[4:5], exec, -1
; %bb.3663:
	s_or_b64 exec, exec, s[8:9]
	s_and_b64 s[4:5], s[4:5], exec
	s_or_saveexec_b64 s[6:7], s[6:7]
	v_mov_b32_e32 v14, s10
	s_xor_b64 exec, exec, s[6:7]
	s_cbranch_execz .LBB54_1614
.LBB54_3664:
	v_mov_b32_e32 v14, 0
	v_cmp_ne_u16_sdwa s[8:9], v11, v14 src0_sel:BYTE_0 src1_sel:DWORD
	s_andn2_b64 s[4:5], s[4:5], exec
	s_and_b64 s[8:9], s[8:9], exec
	s_or_b64 s[4:5], s[4:5], s[8:9]
	s_or_b64 exec, exec, s[6:7]
	s_and_saveexec_b64 s[6:7], s[4:5]
	s_cbranch_execnz .LBB54_1615
	s_branch .LBB54_1616
.LBB54_3665:
	s_movk_i32 s4, 0x80
	v_cmp_eq_u16_e32 vcc, s4, v11
	s_mov_b64 s[4:5], -1
                                        ; implicit-def: $sgpr10
	s_and_saveexec_b64 s[8:9], vcc
; %bb.3666:
	s_mov_b32 s10, 0x7f800001
	s_xor_b64 s[4:5], exec, -1
; %bb.3667:
	s_or_b64 exec, exec, s[8:9]
	s_and_b64 s[4:5], s[4:5], exec
                                        ; implicit-def: $vgpr11
	s_or_saveexec_b64 s[6:7], s[6:7]
	v_mov_b32_e32 v10, s10
	s_xor_b64 exec, exec, s[6:7]
	s_cbranch_execz .LBB54_1618
.LBB54_3668:
	v_cmp_ne_u16_e32 vcc, 0, v11
	s_andn2_b64 s[4:5], s[4:5], exec
	s_and_b64 s[8:9], vcc, exec
	v_mov_b32_e32 v10, 0
	s_or_b64 s[4:5], s[4:5], s[8:9]
	s_or_b64 exec, exec, s[6:7]
	s_and_saveexec_b64 s[6:7], s[4:5]
	s_cbranch_execnz .LBB54_1619
	s_branch .LBB54_1620
.LBB54_3669:
	s_movk_i32 s4, 0x80
	v_cmp_eq_u16_e32 vcc, s4, v11
	s_mov_b64 s[4:5], -1
                                        ; implicit-def: $sgpr10
	s_and_saveexec_b64 s[8:9], vcc
; %bb.3670:
	s_mov_b32 s10, 0x7f800001
	s_xor_b64 s[4:5], exec, -1
; %bb.3671:
	s_or_b64 exec, exec, s[8:9]
	s_and_b64 s[4:5], s[4:5], exec
                                        ; implicit-def: $vgpr11
	s_or_saveexec_b64 s[6:7], s[6:7]
	v_mov_b32_e32 v14, s10
	s_xor_b64 exec, exec, s[6:7]
	s_cbranch_execz .LBB54_1622
.LBB54_3672:
	v_cmp_ne_u16_e32 vcc, 0, v11
	s_andn2_b64 s[4:5], s[4:5], exec
	s_and_b64 s[8:9], vcc, exec
	v_mov_b32_e32 v14, 0
	s_or_b64 s[4:5], s[4:5], s[8:9]
	s_or_b64 exec, exec, s[6:7]
	s_and_saveexec_b64 s[6:7], s[4:5]
	s_cbranch_execnz .LBB54_1623
	s_branch .LBB54_1624
.LBB54_3673:
	s_movk_i32 s4, 0x80
	v_cmp_eq_u16_sdwa s[12:13], v16, s4 src0_sel:BYTE_3 src1_sel:DWORD
	s_mov_b64 s[4:5], -1
                                        ; implicit-def: $sgpr10
	s_and_saveexec_b64 s[8:9], s[12:13]
; %bb.3674:
	s_mov_b32 s10, 0x7f800001
	s_xor_b64 s[4:5], exec, -1
; %bb.3675:
	s_or_b64 exec, exec, s[8:9]
	s_and_b64 s[4:5], s[4:5], exec
	s_or_saveexec_b64 s[6:7], s[6:7]
	v_mov_b32_e32 v10, s10
	s_xor_b64 exec, exec, s[6:7]
	s_cbranch_execz .LBB54_1626
.LBB54_3676:
	v_mov_b32_e32 v10, 0
	v_cmp_ne_u16_sdwa s[8:9], v16, v10 src0_sel:BYTE_3 src1_sel:DWORD
	s_andn2_b64 s[4:5], s[4:5], exec
	s_and_b64 s[8:9], s[8:9], exec
	s_or_b64 s[4:5], s[4:5], s[8:9]
	s_or_b64 exec, exec, s[6:7]
	s_and_saveexec_b64 s[6:7], s[4:5]
	s_cbranch_execnz .LBB54_1627
	s_branch .LBB54_1628
.LBB54_3677:
	s_movk_i32 s4, 0x80
	v_cmp_eq_u16_sdwa s[12:13], v12, s4 src0_sel:BYTE_3 src1_sel:DWORD
	s_mov_b64 s[4:5], -1
                                        ; implicit-def: $sgpr10
	s_and_saveexec_b64 s[8:9], s[12:13]
; %bb.3678:
	s_mov_b32 s10, 0x7f800001
	s_xor_b64 s[4:5], exec, -1
; %bb.3679:
	s_or_b64 exec, exec, s[8:9]
	s_and_b64 s[4:5], s[4:5], exec
	s_or_saveexec_b64 s[6:7], s[6:7]
	v_mov_b32_e32 v11, s10
	s_xor_b64 exec, exec, s[6:7]
	s_cbranch_execz .LBB54_1630
.LBB54_3680:
	v_mov_b32_e32 v11, 0
	v_cmp_ne_u16_sdwa s[8:9], v12, v11 src0_sel:BYTE_3 src1_sel:DWORD
	s_andn2_b64 s[4:5], s[4:5], exec
	s_and_b64 s[8:9], s[8:9], exec
	s_or_b64 s[4:5], s[4:5], s[8:9]
	s_or_b64 exec, exec, s[6:7]
	s_and_saveexec_b64 s[6:7], s[4:5]
	s_cbranch_execnz .LBB54_1631
	s_branch .LBB54_1632
.LBB54_3681:
	s_movk_i32 s4, 0x80
	v_cmp_eq_u16_sdwa s[12:13], v17, s4 src0_sel:BYTE_0 src1_sel:DWORD
	s_mov_b64 s[4:5], -1
                                        ; implicit-def: $sgpr10
	s_and_saveexec_b64 s[8:9], s[12:13]
; %bb.3682:
	s_mov_b32 s10, 0x7f800001
	s_xor_b64 s[4:5], exec, -1
; %bb.3683:
	s_or_b64 exec, exec, s[8:9]
	s_and_b64 s[4:5], s[4:5], exec
	s_or_saveexec_b64 s[6:7], s[6:7]
	v_mov_b32_e32 v10, s10
	s_xor_b64 exec, exec, s[6:7]
	s_cbranch_execz .LBB54_1634
.LBB54_3684:
	v_mov_b32_e32 v10, 0
	v_cmp_ne_u16_sdwa s[8:9], v17, v10 src0_sel:BYTE_0 src1_sel:DWORD
	s_andn2_b64 s[4:5], s[4:5], exec
	s_and_b64 s[8:9], s[8:9], exec
	s_or_b64 s[4:5], s[4:5], s[8:9]
	s_or_b64 exec, exec, s[6:7]
	s_and_saveexec_b64 s[6:7], s[4:5]
	s_cbranch_execnz .LBB54_1635
	s_branch .LBB54_1636
.LBB54_3685:
	s_movk_i32 s4, 0x80
	v_cmp_eq_u16_sdwa s[12:13], v13, s4 src0_sel:BYTE_0 src1_sel:DWORD
	s_mov_b64 s[4:5], -1
                                        ; implicit-def: $sgpr10
	s_and_saveexec_b64 s[8:9], s[12:13]
; %bb.3686:
	s_mov_b32 s10, 0x7f800001
	s_xor_b64 s[4:5], exec, -1
; %bb.3687:
	s_or_b64 exec, exec, s[8:9]
	s_and_b64 s[4:5], s[4:5], exec
	s_or_saveexec_b64 s[6:7], s[6:7]
	v_mov_b32_e32 v11, s10
	s_xor_b64 exec, exec, s[6:7]
	s_cbranch_execz .LBB54_1638
.LBB54_3688:
	v_mov_b32_e32 v11, 0
	v_cmp_ne_u16_sdwa s[8:9], v13, v11 src0_sel:BYTE_0 src1_sel:DWORD
	s_andn2_b64 s[4:5], s[4:5], exec
	s_and_b64 s[8:9], s[8:9], exec
	s_or_b64 s[4:5], s[4:5], s[8:9]
	s_or_b64 exec, exec, s[6:7]
	s_and_saveexec_b64 s[6:7], s[4:5]
	s_cbranch_execnz .LBB54_1639
	s_branch .LBB54_1640
.LBB54_3689:
	s_movk_i32 s4, 0x80
	v_cmp_eq_u16_sdwa s[12:13], v11, s4 src0_sel:BYTE_0 src1_sel:DWORD
	s_mov_b64 s[4:5], -1
                                        ; implicit-def: $sgpr10
	s_and_saveexec_b64 s[8:9], s[12:13]
; %bb.3690:
	s_mov_b32 s10, 0x7f800001
	s_xor_b64 s[4:5], exec, -1
; %bb.3691:
	s_or_b64 exec, exec, s[8:9]
	s_and_b64 s[4:5], s[4:5], exec
	s_or_saveexec_b64 s[6:7], s[6:7]
	v_mov_b32_e32 v10, s10
	s_xor_b64 exec, exec, s[6:7]
	s_cbranch_execz .LBB54_1642
.LBB54_3692:
	v_mov_b32_e32 v10, 0
	v_cmp_ne_u16_sdwa s[8:9], v11, v10 src0_sel:BYTE_0 src1_sel:DWORD
	s_andn2_b64 s[4:5], s[4:5], exec
	s_and_b64 s[8:9], s[8:9], exec
	s_or_b64 s[4:5], s[4:5], s[8:9]
	s_or_b64 exec, exec, s[6:7]
	s_and_saveexec_b64 s[6:7], s[4:5]
	s_cbranch_execnz .LBB54_1643
	s_branch .LBB54_1644
.LBB54_3693:
	s_movk_i32 s4, 0x80
	v_cmp_eq_u16_sdwa s[12:13], v11, s4 src0_sel:BYTE_0 src1_sel:DWORD
	s_mov_b64 s[4:5], -1
                                        ; implicit-def: $sgpr10
	s_and_saveexec_b64 s[8:9], s[12:13]
; %bb.3694:
	s_mov_b32 s10, 0x7f800001
	s_xor_b64 s[4:5], exec, -1
; %bb.3695:
	s_or_b64 exec, exec, s[8:9]
	s_and_b64 s[4:5], s[4:5], exec
	s_or_saveexec_b64 s[6:7], s[6:7]
	v_mov_b32_e32 v12, s10
	s_xor_b64 exec, exec, s[6:7]
	s_cbranch_execz .LBB54_1646
.LBB54_3696:
	v_mov_b32_e32 v12, 0
	v_cmp_ne_u16_sdwa s[8:9], v11, v12 src0_sel:BYTE_0 src1_sel:DWORD
	s_andn2_b64 s[4:5], s[4:5], exec
	s_and_b64 s[8:9], s[8:9], exec
	s_or_b64 s[4:5], s[4:5], s[8:9]
	s_or_b64 exec, exec, s[6:7]
	s_and_saveexec_b64 s[6:7], s[4:5]
	s_cbranch_execnz .LBB54_1647
	s_branch .LBB54_1648
.LBB54_3697:
	s_movk_i32 s4, 0x80
	v_cmp_eq_u16_e32 vcc, s4, v11
	s_mov_b64 s[4:5], -1
                                        ; implicit-def: $sgpr10
	s_and_saveexec_b64 s[8:9], vcc
; %bb.3698:
	s_mov_b32 s10, 0x7f800001
	s_xor_b64 s[4:5], exec, -1
; %bb.3699:
	s_or_b64 exec, exec, s[8:9]
	s_and_b64 s[4:5], s[4:5], exec
                                        ; implicit-def: $vgpr11
	s_or_saveexec_b64 s[6:7], s[6:7]
	v_mov_b32_e32 v10, s10
	s_xor_b64 exec, exec, s[6:7]
	s_cbranch_execz .LBB54_1650
.LBB54_3700:
	v_cmp_ne_u16_e32 vcc, 0, v11
	s_andn2_b64 s[4:5], s[4:5], exec
	s_and_b64 s[8:9], vcc, exec
	v_mov_b32_e32 v10, 0
	s_or_b64 s[4:5], s[4:5], s[8:9]
	s_or_b64 exec, exec, s[6:7]
	s_and_saveexec_b64 s[6:7], s[4:5]
	s_cbranch_execnz .LBB54_1651
	s_branch .LBB54_1652
.LBB54_3701:
	s_movk_i32 s4, 0x80
	v_cmp_eq_u16_e32 vcc, s4, v11
	s_mov_b64 s[4:5], -1
                                        ; implicit-def: $sgpr10
	s_and_saveexec_b64 s[8:9], vcc
; %bb.3702:
	s_mov_b32 s10, 0x7f800001
	s_xor_b64 s[4:5], exec, -1
; %bb.3703:
	s_or_b64 exec, exec, s[8:9]
	s_and_b64 s[4:5], s[4:5], exec
                                        ; implicit-def: $vgpr11
	s_or_saveexec_b64 s[6:7], s[6:7]
	v_mov_b32_e32 v12, s10
	s_xor_b64 exec, exec, s[6:7]
	s_cbranch_execz .LBB54_1654
.LBB54_3704:
	v_cmp_ne_u16_e32 vcc, 0, v11
	s_andn2_b64 s[4:5], s[4:5], exec
	s_and_b64 s[8:9], vcc, exec
	v_mov_b32_e32 v12, 0
	s_or_b64 s[4:5], s[4:5], s[8:9]
	s_or_b64 exec, exec, s[6:7]
	s_and_saveexec_b64 s[6:7], s[4:5]
	s_cbranch_execnz .LBB54_1655
	s_branch .LBB54_1656
.LBB54_3705:
	s_movk_i32 s4, 0x80
	v_cmp_eq_u16_sdwa s[12:13], v17, s4 src0_sel:BYTE_3 src1_sel:DWORD
	s_mov_b64 s[4:5], -1
                                        ; implicit-def: $sgpr10
	s_and_saveexec_b64 s[8:9], s[12:13]
; %bb.3706:
	s_mov_b32 s10, 0x7f800001
	s_xor_b64 s[4:5], exec, -1
; %bb.3707:
	s_or_b64 exec, exec, s[8:9]
	s_and_b64 s[4:5], s[4:5], exec
	s_or_saveexec_b64 s[6:7], s[6:7]
	v_mov_b32_e32 v10, s10
	s_xor_b64 exec, exec, s[6:7]
	s_cbranch_execz .LBB54_1658
.LBB54_3708:
	v_mov_b32_e32 v10, 0
	v_cmp_ne_u16_sdwa s[8:9], v17, v10 src0_sel:BYTE_3 src1_sel:DWORD
	s_andn2_b64 s[4:5], s[4:5], exec
	s_and_b64 s[8:9], s[8:9], exec
	s_or_b64 s[4:5], s[4:5], s[8:9]
	s_or_b64 exec, exec, s[6:7]
	s_and_saveexec_b64 s[6:7], s[4:5]
	s_cbranch_execnz .LBB54_1659
	s_branch .LBB54_1660
.LBB54_3709:
	s_movk_i32 s4, 0x80
	v_cmp_eq_u16_sdwa s[12:13], v13, s4 src0_sel:BYTE_3 src1_sel:DWORD
	s_mov_b64 s[4:5], -1
                                        ; implicit-def: $sgpr10
	s_and_saveexec_b64 s[8:9], s[12:13]
; %bb.3710:
	s_mov_b32 s10, 0x7f800001
	s_xor_b64 s[4:5], exec, -1
; %bb.3711:
	s_or_b64 exec, exec, s[8:9]
	s_and_b64 s[4:5], s[4:5], exec
	s_or_saveexec_b64 s[6:7], s[6:7]
	v_mov_b32_e32 v11, s10
	s_xor_b64 exec, exec, s[6:7]
	s_cbranch_execz .LBB54_1662
.LBB54_3712:
	v_mov_b32_e32 v11, 0
	v_cmp_ne_u16_sdwa s[8:9], v13, v11 src0_sel:BYTE_3 src1_sel:DWORD
	s_andn2_b64 s[4:5], s[4:5], exec
	s_and_b64 s[8:9], s[8:9], exec
	s_or_b64 s[4:5], s[4:5], s[8:9]
	s_or_b64 exec, exec, s[6:7]
	s_and_saveexec_b64 s[6:7], s[4:5]
	s_cbranch_execnz .LBB54_1663
	s_branch .LBB54_1664
.LBB54_3713:
	s_movk_i32 s4, 0x80
	v_cmp_eq_u16_sdwa s[12:13], v6, s4 src0_sel:BYTE_0 src1_sel:DWORD
	s_mov_b64 s[4:5], -1
                                        ; implicit-def: $sgpr10
	s_and_saveexec_b64 s[8:9], s[12:13]
; %bb.3714:
	s_mov_b32 s10, 0x7f800001
	s_xor_b64 s[4:5], exec, -1
; %bb.3715:
	s_or_b64 exec, exec, s[8:9]
	s_and_b64 s[4:5], s[4:5], exec
	s_or_saveexec_b64 s[6:7], s[6:7]
	v_mov_b32_e32 v10, s10
	s_xor_b64 exec, exec, s[6:7]
	s_cbranch_execz .LBB54_1666
.LBB54_3716:
	v_mov_b32_e32 v10, 0
	v_cmp_ne_u16_sdwa s[8:9], v6, v10 src0_sel:BYTE_0 src1_sel:DWORD
	s_andn2_b64 s[4:5], s[4:5], exec
	s_and_b64 s[8:9], s[8:9], exec
	s_or_b64 s[4:5], s[4:5], s[8:9]
	s_or_b64 exec, exec, s[6:7]
	s_and_saveexec_b64 s[6:7], s[4:5]
	s_cbranch_execnz .LBB54_1667
	s_branch .LBB54_1668
.LBB54_3717:
	s_movk_i32 s4, 0x80
	v_cmp_eq_u16_sdwa s[12:13], v2, s4 src0_sel:BYTE_0 src1_sel:DWORD
	s_mov_b64 s[4:5], -1
                                        ; implicit-def: $sgpr10
	s_and_saveexec_b64 s[8:9], s[12:13]
; %bb.3718:
	s_mov_b32 s10, 0x7f800001
	s_xor_b64 s[4:5], exec, -1
; %bb.3719:
	s_or_b64 exec, exec, s[8:9]
	s_and_b64 s[4:5], s[4:5], exec
	s_or_saveexec_b64 s[6:7], s[6:7]
	v_mov_b32_e32 v11, s10
	s_xor_b64 exec, exec, s[6:7]
	s_cbranch_execz .LBB54_1670
.LBB54_3720:
	v_mov_b32_e32 v11, 0
	v_cmp_ne_u16_sdwa s[8:9], v2, v11 src0_sel:BYTE_0 src1_sel:DWORD
	s_andn2_b64 s[4:5], s[4:5], exec
	s_and_b64 s[8:9], s[8:9], exec
	s_or_b64 s[4:5], s[4:5], s[8:9]
	s_or_b64 exec, exec, s[6:7]
	s_and_saveexec_b64 s[6:7], s[4:5]
	s_cbranch_execnz .LBB54_1671
	s_branch .LBB54_1672
.LBB54_3721:
	s_movk_i32 s4, 0x80
	v_cmp_eq_u16_sdwa s[12:13], v11, s4 src0_sel:BYTE_0 src1_sel:DWORD
	s_mov_b64 s[4:5], -1
                                        ; implicit-def: $sgpr10
	s_and_saveexec_b64 s[8:9], s[12:13]
; %bb.3722:
	s_mov_b32 s10, 0x7f800001
	s_xor_b64 s[4:5], exec, -1
; %bb.3723:
	s_or_b64 exec, exec, s[8:9]
	s_and_b64 s[4:5], s[4:5], exec
	s_or_saveexec_b64 s[6:7], s[6:7]
	v_mov_b32_e32 v10, s10
	s_xor_b64 exec, exec, s[6:7]
	s_cbranch_execz .LBB54_1674
.LBB54_3724:
	v_mov_b32_e32 v10, 0
	v_cmp_ne_u16_sdwa s[8:9], v11, v10 src0_sel:BYTE_0 src1_sel:DWORD
	s_andn2_b64 s[4:5], s[4:5], exec
	s_and_b64 s[8:9], s[8:9], exec
	s_or_b64 s[4:5], s[4:5], s[8:9]
	s_or_b64 exec, exec, s[6:7]
	s_and_saveexec_b64 s[6:7], s[4:5]
	s_cbranch_execnz .LBB54_1675
	s_branch .LBB54_1676
.LBB54_3725:
	s_movk_i32 s4, 0x80
	v_cmp_eq_u16_sdwa s[12:13], v11, s4 src0_sel:BYTE_0 src1_sel:DWORD
	s_mov_b64 s[4:5], -1
                                        ; implicit-def: $sgpr10
	s_and_saveexec_b64 s[8:9], s[12:13]
; %bb.3726:
	s_mov_b32 s10, 0x7f800001
	s_xor_b64 s[4:5], exec, -1
; %bb.3727:
	s_or_b64 exec, exec, s[8:9]
	s_and_b64 s[4:5], s[4:5], exec
	s_or_saveexec_b64 s[6:7], s[6:7]
	v_mov_b32_e32 v12, s10
	s_xor_b64 exec, exec, s[6:7]
	s_cbranch_execz .LBB54_1678
.LBB54_3728:
	v_mov_b32_e32 v12, 0
	v_cmp_ne_u16_sdwa s[8:9], v11, v12 src0_sel:BYTE_0 src1_sel:DWORD
	s_andn2_b64 s[4:5], s[4:5], exec
	s_and_b64 s[8:9], s[8:9], exec
	s_or_b64 s[4:5], s[4:5], s[8:9]
	s_or_b64 exec, exec, s[6:7]
	s_and_saveexec_b64 s[6:7], s[4:5]
	s_cbranch_execnz .LBB54_1679
	s_branch .LBB54_1680
.LBB54_3729:
	s_movk_i32 s4, 0x80
	v_cmp_eq_u16_e32 vcc, s4, v11
	s_mov_b64 s[4:5], -1
                                        ; implicit-def: $sgpr10
	s_and_saveexec_b64 s[8:9], vcc
; %bb.3730:
	s_mov_b32 s10, 0x7f800001
	s_xor_b64 s[4:5], exec, -1
; %bb.3731:
	s_or_b64 exec, exec, s[8:9]
	s_and_b64 s[4:5], s[4:5], exec
                                        ; implicit-def: $vgpr11
	s_or_saveexec_b64 s[6:7], s[6:7]
	v_mov_b32_e32 v10, s10
	s_xor_b64 exec, exec, s[6:7]
	s_cbranch_execz .LBB54_1682
.LBB54_3732:
	v_cmp_ne_u16_e32 vcc, 0, v11
	s_andn2_b64 s[4:5], s[4:5], exec
	s_and_b64 s[8:9], vcc, exec
	v_mov_b32_e32 v10, 0
	s_or_b64 s[4:5], s[4:5], s[8:9]
	s_or_b64 exec, exec, s[6:7]
	s_and_saveexec_b64 s[6:7], s[4:5]
	s_cbranch_execnz .LBB54_1683
	s_branch .LBB54_1684
.LBB54_3733:
	s_movk_i32 s4, 0x80
	v_cmp_eq_u16_e32 vcc, s4, v11
	s_mov_b64 s[4:5], -1
                                        ; implicit-def: $sgpr10
	s_and_saveexec_b64 s[8:9], vcc
; %bb.3734:
	s_mov_b32 s10, 0x7f800001
	s_xor_b64 s[4:5], exec, -1
; %bb.3735:
	s_or_b64 exec, exec, s[8:9]
	s_and_b64 s[4:5], s[4:5], exec
                                        ; implicit-def: $vgpr11
	s_or_saveexec_b64 s[6:7], s[6:7]
	v_mov_b32_e32 v12, s10
	s_xor_b64 exec, exec, s[6:7]
	s_cbranch_execz .LBB54_1686
.LBB54_3736:
	v_cmp_ne_u16_e32 vcc, 0, v11
	s_andn2_b64 s[4:5], s[4:5], exec
	s_and_b64 s[8:9], vcc, exec
	v_mov_b32_e32 v12, 0
	s_or_b64 s[4:5], s[4:5], s[8:9]
	s_or_b64 exec, exec, s[6:7]
	s_and_saveexec_b64 s[6:7], s[4:5]
	s_cbranch_execnz .LBB54_1687
	s_branch .LBB54_1688
.LBB54_3737:
	s_movk_i32 s4, 0x80
	v_cmp_eq_u16_sdwa s[12:13], v6, s4 src0_sel:BYTE_3 src1_sel:DWORD
	s_mov_b64 s[4:5], -1
                                        ; implicit-def: $sgpr10
	s_and_saveexec_b64 s[8:9], s[12:13]
; %bb.3738:
	s_mov_b32 s10, 0x7f800001
	s_xor_b64 s[4:5], exec, -1
; %bb.3739:
	s_or_b64 exec, exec, s[8:9]
	s_and_b64 s[4:5], s[4:5], exec
	s_or_saveexec_b64 s[6:7], s[6:7]
	v_mov_b32_e32 v10, s10
	s_xor_b64 exec, exec, s[6:7]
	s_cbranch_execz .LBB54_1690
.LBB54_3740:
	v_mov_b32_e32 v10, 0
	v_cmp_ne_u16_sdwa s[8:9], v6, v10 src0_sel:BYTE_3 src1_sel:DWORD
	s_andn2_b64 s[4:5], s[4:5], exec
	s_and_b64 s[8:9], s[8:9], exec
	s_or_b64 s[4:5], s[4:5], s[8:9]
	s_or_b64 exec, exec, s[6:7]
	s_and_saveexec_b64 s[6:7], s[4:5]
	s_cbranch_execnz .LBB54_1691
	s_branch .LBB54_1692
.LBB54_3741:
	s_movk_i32 s4, 0x80
	v_cmp_eq_u16_sdwa s[12:13], v2, s4 src0_sel:BYTE_3 src1_sel:DWORD
	s_mov_b64 s[4:5], -1
                                        ; implicit-def: $sgpr10
	s_and_saveexec_b64 s[8:9], s[12:13]
; %bb.3742:
	s_mov_b32 s10, 0x7f800001
	s_xor_b64 s[4:5], exec, -1
; %bb.3743:
	s_or_b64 exec, exec, s[8:9]
	s_and_b64 s[4:5], s[4:5], exec
	s_or_saveexec_b64 s[6:7], s[6:7]
	v_mov_b32_e32 v6, s10
	s_xor_b64 exec, exec, s[6:7]
	s_cbranch_execz .LBB54_1694
.LBB54_3744:
	v_mov_b32_e32 v6, 0
	v_cmp_ne_u16_sdwa s[8:9], v2, v6 src0_sel:BYTE_3 src1_sel:DWORD
	s_andn2_b64 s[4:5], s[4:5], exec
	s_and_b64 s[8:9], s[8:9], exec
	s_or_b64 s[4:5], s[4:5], s[8:9]
	s_or_b64 exec, exec, s[6:7]
	s_and_saveexec_b64 s[6:7], s[4:5]
	s_cbranch_execnz .LBB54_1695
	s_branch .LBB54_1696
.LBB54_3745:
	s_movk_i32 s4, 0x80
	v_cmp_eq_u16_sdwa s[12:13], v7, s4 src0_sel:BYTE_0 src1_sel:DWORD
	s_mov_b64 s[4:5], -1
                                        ; implicit-def: $sgpr10
	s_and_saveexec_b64 s[8:9], s[12:13]
; %bb.3746:
	s_mov_b32 s10, 0x7f800001
	s_xor_b64 s[4:5], exec, -1
; %bb.3747:
	s_or_b64 exec, exec, s[8:9]
	s_and_b64 s[4:5], s[4:5], exec
	s_or_saveexec_b64 s[6:7], s[6:7]
	v_mov_b32_e32 v2, s10
	s_xor_b64 exec, exec, s[6:7]
	s_cbranch_execz .LBB54_1698
.LBB54_3748:
	v_mov_b32_e32 v2, 0
	v_cmp_ne_u16_sdwa s[8:9], v7, v2 src0_sel:BYTE_0 src1_sel:DWORD
	s_andn2_b64 s[4:5], s[4:5], exec
	s_and_b64 s[8:9], s[8:9], exec
	s_or_b64 s[4:5], s[4:5], s[8:9]
	s_or_b64 exec, exec, s[6:7]
	s_and_saveexec_b64 s[6:7], s[4:5]
	s_cbranch_execnz .LBB54_1699
	s_branch .LBB54_1700
.LBB54_3749:
	s_movk_i32 s4, 0x80
	v_cmp_eq_u16_sdwa s[12:13], v3, s4 src0_sel:BYTE_0 src1_sel:DWORD
	s_mov_b64 s[4:5], -1
                                        ; implicit-def: $sgpr10
	s_and_saveexec_b64 s[8:9], s[12:13]
; %bb.3750:
	s_mov_b32 s10, 0x7f800001
	s_xor_b64 s[4:5], exec, -1
; %bb.3751:
	s_or_b64 exec, exec, s[8:9]
	s_and_b64 s[4:5], s[4:5], exec
	s_or_saveexec_b64 s[6:7], s[6:7]
	v_mov_b32_e32 v6, s10
	s_xor_b64 exec, exec, s[6:7]
	s_cbranch_execz .LBB54_1702
.LBB54_3752:
	v_mov_b32_e32 v6, 0
	v_cmp_ne_u16_sdwa s[8:9], v3, v6 src0_sel:BYTE_0 src1_sel:DWORD
	s_andn2_b64 s[4:5], s[4:5], exec
	s_and_b64 s[8:9], s[8:9], exec
	s_or_b64 s[4:5], s[4:5], s[8:9]
	s_or_b64 exec, exec, s[6:7]
	s_and_saveexec_b64 s[6:7], s[4:5]
	s_cbranch_execnz .LBB54_1703
	s_branch .LBB54_1704
.LBB54_3753:
	s_movk_i32 s4, 0x80
	v_cmp_eq_u16_sdwa s[12:13], v6, s4 src0_sel:BYTE_0 src1_sel:DWORD
	s_mov_b64 s[4:5], -1
                                        ; implicit-def: $sgpr10
	s_and_saveexec_b64 s[8:9], s[12:13]
; %bb.3754:
	s_mov_b32 s10, 0x7f800001
	s_xor_b64 s[4:5], exec, -1
; %bb.3755:
	s_or_b64 exec, exec, s[8:9]
	s_and_b64 s[4:5], s[4:5], exec
	s_or_saveexec_b64 s[6:7], s[6:7]
	v_mov_b32_e32 v2, s10
	s_xor_b64 exec, exec, s[6:7]
	s_cbranch_execz .LBB54_1706
.LBB54_3756:
	v_mov_b32_e32 v2, 0
	v_cmp_ne_u16_sdwa s[8:9], v6, v2 src0_sel:BYTE_0 src1_sel:DWORD
	s_andn2_b64 s[4:5], s[4:5], exec
	s_and_b64 s[8:9], s[8:9], exec
	s_or_b64 s[4:5], s[4:5], s[8:9]
	s_or_b64 exec, exec, s[6:7]
	s_and_saveexec_b64 s[6:7], s[4:5]
	s_cbranch_execnz .LBB54_1707
	s_branch .LBB54_1708
.LBB54_3757:
	s_movk_i32 s4, 0x80
	v_cmp_eq_u16_sdwa s[12:13], v6, s4 src0_sel:BYTE_0 src1_sel:DWORD
	s_mov_b64 s[4:5], -1
                                        ; implicit-def: $sgpr10
	s_and_saveexec_b64 s[8:9], s[12:13]
; %bb.3758:
	s_mov_b32 s10, 0x7f800001
	s_xor_b64 s[4:5], exec, -1
; %bb.3759:
	s_or_b64 exec, exec, s[8:9]
	s_and_b64 s[4:5], s[4:5], exec
	s_or_saveexec_b64 s[6:7], s[6:7]
	v_mov_b32_e32 v10, s10
	s_xor_b64 exec, exec, s[6:7]
	s_cbranch_execz .LBB54_1710
.LBB54_3760:
	v_mov_b32_e32 v10, 0
	v_cmp_ne_u16_sdwa s[8:9], v6, v10 src0_sel:BYTE_0 src1_sel:DWORD
	s_andn2_b64 s[4:5], s[4:5], exec
	s_and_b64 s[8:9], s[8:9], exec
	s_or_b64 s[4:5], s[4:5], s[8:9]
	s_or_b64 exec, exec, s[6:7]
	s_and_saveexec_b64 s[6:7], s[4:5]
	s_cbranch_execnz .LBB54_1711
	s_branch .LBB54_1712
.LBB54_3761:
	s_movk_i32 s4, 0x80
	v_cmp_eq_u16_e32 vcc, s4, v6
	s_mov_b64 s[4:5], -1
                                        ; implicit-def: $sgpr10
	s_and_saveexec_b64 s[8:9], vcc
; %bb.3762:
	s_mov_b32 s10, 0x7f800001
	s_xor_b64 s[4:5], exec, -1
; %bb.3763:
	s_or_b64 exec, exec, s[8:9]
	s_and_b64 s[4:5], s[4:5], exec
                                        ; implicit-def: $vgpr6
	s_or_saveexec_b64 s[6:7], s[6:7]
	v_mov_b32_e32 v2, s10
	s_xor_b64 exec, exec, s[6:7]
	s_cbranch_execz .LBB54_1714
.LBB54_3764:
	v_cmp_ne_u16_e32 vcc, 0, v6
	s_andn2_b64 s[4:5], s[4:5], exec
	s_and_b64 s[8:9], vcc, exec
	v_mov_b32_e32 v2, 0
	s_or_b64 s[4:5], s[4:5], s[8:9]
	s_or_b64 exec, exec, s[6:7]
	s_and_saveexec_b64 s[6:7], s[4:5]
	s_cbranch_execnz .LBB54_1715
	s_branch .LBB54_1716
.LBB54_3765:
	s_movk_i32 s4, 0x80
	v_cmp_eq_u16_e32 vcc, s4, v6
	s_mov_b64 s[4:5], -1
                                        ; implicit-def: $sgpr10
	s_and_saveexec_b64 s[8:9], vcc
; %bb.3766:
	s_mov_b32 s10, 0x7f800001
	s_xor_b64 s[4:5], exec, -1
; %bb.3767:
	s_or_b64 exec, exec, s[8:9]
	s_and_b64 s[4:5], s[4:5], exec
                                        ; implicit-def: $vgpr6
	s_or_saveexec_b64 s[6:7], s[6:7]
	v_mov_b32_e32 v10, s10
	s_xor_b64 exec, exec, s[6:7]
	s_cbranch_execz .LBB54_1718
.LBB54_3768:
	v_cmp_ne_u16_e32 vcc, 0, v6
	s_andn2_b64 s[4:5], s[4:5], exec
	s_and_b64 s[8:9], vcc, exec
	v_mov_b32_e32 v10, 0
	s_or_b64 s[4:5], s[4:5], s[8:9]
	s_or_b64 exec, exec, s[6:7]
	s_and_saveexec_b64 s[6:7], s[4:5]
	s_cbranch_execnz .LBB54_1719
	s_branch .LBB54_1720
.LBB54_3769:
	s_movk_i32 s4, 0x80
	v_cmp_eq_u16_sdwa s[12:13], v7, s4 src0_sel:BYTE_3 src1_sel:DWORD
	s_mov_b64 s[4:5], -1
                                        ; implicit-def: $sgpr10
	s_and_saveexec_b64 s[8:9], s[12:13]
; %bb.3770:
	s_mov_b32 s10, 0x7f800001
	s_xor_b64 s[4:5], exec, -1
; %bb.3771:
	s_or_b64 exec, exec, s[8:9]
	s_and_b64 s[4:5], s[4:5], exec
	s_or_saveexec_b64 s[6:7], s[6:7]
	v_mov_b32_e32 v2, s10
	s_xor_b64 exec, exec, s[6:7]
	s_cbranch_execz .LBB54_1722
.LBB54_3772:
	v_mov_b32_e32 v2, 0
	v_cmp_ne_u16_sdwa s[8:9], v7, v2 src0_sel:BYTE_3 src1_sel:DWORD
	s_andn2_b64 s[4:5], s[4:5], exec
	s_and_b64 s[8:9], s[8:9], exec
	s_or_b64 s[4:5], s[4:5], s[8:9]
	s_or_b64 exec, exec, s[6:7]
	s_and_saveexec_b64 s[6:7], s[4:5]
	s_cbranch_execnz .LBB54_1723
	s_branch .LBB54_1724
.LBB54_3773:
	s_movk_i32 s4, 0x80
	v_cmp_eq_u16_sdwa s[12:13], v3, s4 src0_sel:BYTE_3 src1_sel:DWORD
	s_mov_b64 s[4:5], -1
                                        ; implicit-def: $sgpr10
	s_and_saveexec_b64 s[8:9], s[12:13]
; %bb.3774:
	s_mov_b32 s10, 0x7f800001
	s_xor_b64 s[4:5], exec, -1
; %bb.3775:
	s_or_b64 exec, exec, s[8:9]
	s_and_b64 s[4:5], s[4:5], exec
	s_or_saveexec_b64 s[6:7], s[6:7]
	v_mov_b32_e32 v6, s10
	s_xor_b64 exec, exec, s[6:7]
	s_cbranch_execz .LBB54_1726
.LBB54_3776:
	v_mov_b32_e32 v6, 0
	v_cmp_ne_u16_sdwa s[8:9], v3, v6 src0_sel:BYTE_3 src1_sel:DWORD
	s_andn2_b64 s[4:5], s[4:5], exec
	s_and_b64 s[8:9], s[8:9], exec
	s_or_b64 s[4:5], s[4:5], s[8:9]
	s_or_b64 exec, exec, s[6:7]
	s_and_saveexec_b64 s[6:7], s[4:5]
	s_cbranch_execnz .LBB54_1727
	s_branch .LBB54_1728
.LBB54_3777:
	s_movk_i32 s4, 0x80
	v_cmp_eq_u16_sdwa s[12:13], v8, s4 src0_sel:BYTE_0 src1_sel:DWORD
	s_mov_b64 s[4:5], -1
                                        ; implicit-def: $sgpr10
	s_and_saveexec_b64 s[8:9], s[12:13]
; %bb.3778:
	s_mov_b32 s10, 0x7f800001
	s_xor_b64 s[4:5], exec, -1
; %bb.3779:
	s_or_b64 exec, exec, s[8:9]
	s_and_b64 s[4:5], s[4:5], exec
	s_or_saveexec_b64 s[6:7], s[6:7]
	v_mov_b32_e32 v2, s10
	s_xor_b64 exec, exec, s[6:7]
	s_cbranch_execz .LBB54_1730
.LBB54_3780:
	v_mov_b32_e32 v2, 0
	v_cmp_ne_u16_sdwa s[8:9], v8, v2 src0_sel:BYTE_0 src1_sel:DWORD
	s_andn2_b64 s[4:5], s[4:5], exec
	s_and_b64 s[8:9], s[8:9], exec
	s_or_b64 s[4:5], s[4:5], s[8:9]
	s_or_b64 exec, exec, s[6:7]
	s_and_saveexec_b64 s[6:7], s[4:5]
	s_cbranch_execnz .LBB54_1731
	s_branch .LBB54_1732
.LBB54_3781:
	s_movk_i32 s4, 0x80
	v_cmp_eq_u16_sdwa s[12:13], v4, s4 src0_sel:BYTE_0 src1_sel:DWORD
	s_mov_b64 s[4:5], -1
                                        ; implicit-def: $sgpr10
	s_and_saveexec_b64 s[8:9], s[12:13]
; %bb.3782:
	s_mov_b32 s10, 0x7f800001
	s_xor_b64 s[4:5], exec, -1
; %bb.3783:
	s_or_b64 exec, exec, s[8:9]
	s_and_b64 s[4:5], s[4:5], exec
	s_or_saveexec_b64 s[6:7], s[6:7]
	v_mov_b32_e32 v3, s10
	s_xor_b64 exec, exec, s[6:7]
	s_cbranch_execz .LBB54_1734
.LBB54_3784:
	v_mov_b32_e32 v3, 0
	v_cmp_ne_u16_sdwa s[8:9], v4, v3 src0_sel:BYTE_0 src1_sel:DWORD
	s_andn2_b64 s[4:5], s[4:5], exec
	s_and_b64 s[8:9], s[8:9], exec
	s_or_b64 s[4:5], s[4:5], s[8:9]
	s_or_b64 exec, exec, s[6:7]
	s_and_saveexec_b64 s[6:7], s[4:5]
	s_cbranch_execnz .LBB54_1735
	s_branch .LBB54_1736
.LBB54_3785:
	s_movk_i32 s4, 0x80
	v_cmp_eq_u16_sdwa s[12:13], v3, s4 src0_sel:BYTE_0 src1_sel:DWORD
	s_mov_b64 s[4:5], -1
                                        ; implicit-def: $sgpr10
	s_and_saveexec_b64 s[8:9], s[12:13]
; %bb.3786:
	s_mov_b32 s10, 0x7f800001
	s_xor_b64 s[4:5], exec, -1
; %bb.3787:
	s_or_b64 exec, exec, s[8:9]
	s_and_b64 s[4:5], s[4:5], exec
	s_or_saveexec_b64 s[6:7], s[6:7]
	v_mov_b32_e32 v2, s10
	s_xor_b64 exec, exec, s[6:7]
	s_cbranch_execz .LBB54_1738
.LBB54_3788:
	v_mov_b32_e32 v2, 0
	v_cmp_ne_u16_sdwa s[8:9], v3, v2 src0_sel:BYTE_0 src1_sel:DWORD
	s_andn2_b64 s[4:5], s[4:5], exec
	s_and_b64 s[8:9], s[8:9], exec
	s_or_b64 s[4:5], s[4:5], s[8:9]
	s_or_b64 exec, exec, s[6:7]
	s_and_saveexec_b64 s[6:7], s[4:5]
	s_cbranch_execnz .LBB54_1739
	s_branch .LBB54_1740
.LBB54_3789:
	s_movk_i32 s4, 0x80
	v_cmp_eq_u16_sdwa s[12:13], v3, s4 src0_sel:BYTE_0 src1_sel:DWORD
	s_mov_b64 s[4:5], -1
                                        ; implicit-def: $sgpr10
	s_and_saveexec_b64 s[8:9], s[12:13]
; %bb.3790:
	s_mov_b32 s10, 0x7f800001
	s_xor_b64 s[4:5], exec, -1
; %bb.3791:
	s_or_b64 exec, exec, s[8:9]
	s_and_b64 s[4:5], s[4:5], exec
	s_or_saveexec_b64 s[6:7], s[6:7]
	v_mov_b32_e32 v6, s10
	s_xor_b64 exec, exec, s[6:7]
	s_cbranch_execz .LBB54_1742
.LBB54_3792:
	v_mov_b32_e32 v6, 0
	v_cmp_ne_u16_sdwa s[8:9], v3, v6 src0_sel:BYTE_0 src1_sel:DWORD
	s_andn2_b64 s[4:5], s[4:5], exec
	s_and_b64 s[8:9], s[8:9], exec
	s_or_b64 s[4:5], s[4:5], s[8:9]
	s_or_b64 exec, exec, s[6:7]
	s_and_saveexec_b64 s[6:7], s[4:5]
	s_cbranch_execnz .LBB54_1743
	s_branch .LBB54_1744
.LBB54_3793:
	s_movk_i32 s4, 0x80
	v_cmp_eq_u16_e32 vcc, s4, v3
	s_mov_b64 s[4:5], -1
                                        ; implicit-def: $sgpr10
	s_and_saveexec_b64 s[8:9], vcc
; %bb.3794:
	s_mov_b32 s10, 0x7f800001
	s_xor_b64 s[4:5], exec, -1
; %bb.3795:
	s_or_b64 exec, exec, s[8:9]
	s_and_b64 s[4:5], s[4:5], exec
                                        ; implicit-def: $vgpr3
	s_or_saveexec_b64 s[6:7], s[6:7]
	v_mov_b32_e32 v2, s10
	s_xor_b64 exec, exec, s[6:7]
	s_cbranch_execz .LBB54_1746
.LBB54_3796:
	v_cmp_ne_u16_e32 vcc, 0, v3
	s_andn2_b64 s[4:5], s[4:5], exec
	s_and_b64 s[8:9], vcc, exec
	v_mov_b32_e32 v2, 0
	s_or_b64 s[4:5], s[4:5], s[8:9]
	s_or_b64 exec, exec, s[6:7]
	s_and_saveexec_b64 s[6:7], s[4:5]
	s_cbranch_execnz .LBB54_1747
	s_branch .LBB54_1748
.LBB54_3797:
	s_movk_i32 s4, 0x80
	v_cmp_eq_u16_e32 vcc, s4, v3
	s_mov_b64 s[4:5], -1
                                        ; implicit-def: $sgpr10
	s_and_saveexec_b64 s[8:9], vcc
; %bb.3798:
	s_mov_b32 s10, 0x7f800001
	s_xor_b64 s[4:5], exec, -1
; %bb.3799:
	s_or_b64 exec, exec, s[8:9]
	s_and_b64 s[4:5], s[4:5], exec
                                        ; implicit-def: $vgpr3
	s_or_saveexec_b64 s[6:7], s[6:7]
	v_mov_b32_e32 v6, s10
	s_xor_b64 exec, exec, s[6:7]
	s_cbranch_execz .LBB54_1750
.LBB54_3800:
	v_cmp_ne_u16_e32 vcc, 0, v3
	s_andn2_b64 s[4:5], s[4:5], exec
	s_and_b64 s[8:9], vcc, exec
	v_mov_b32_e32 v6, 0
	s_or_b64 s[4:5], s[4:5], s[8:9]
	s_or_b64 exec, exec, s[6:7]
	s_and_saveexec_b64 s[6:7], s[4:5]
	s_cbranch_execnz .LBB54_1751
	s_branch .LBB54_1752
.LBB54_3801:
	s_movk_i32 s4, 0x80
	v_cmp_eq_u16_sdwa s[12:13], v8, s4 src0_sel:BYTE_3 src1_sel:DWORD
	s_mov_b64 s[4:5], -1
                                        ; implicit-def: $sgpr10
	s_and_saveexec_b64 s[8:9], s[12:13]
; %bb.3802:
	s_mov_b32 s10, 0x7f800001
	s_xor_b64 s[4:5], exec, -1
; %bb.3803:
	s_or_b64 exec, exec, s[8:9]
	s_and_b64 s[4:5], s[4:5], exec
	s_or_saveexec_b64 s[6:7], s[6:7]
	v_mov_b32_e32 v2, s10
	s_xor_b64 exec, exec, s[6:7]
	s_cbranch_execz .LBB54_1754
.LBB54_3804:
	v_mov_b32_e32 v2, 0
	v_cmp_ne_u16_sdwa s[8:9], v8, v2 src0_sel:BYTE_3 src1_sel:DWORD
	s_andn2_b64 s[4:5], s[4:5], exec
	s_and_b64 s[8:9], s[8:9], exec
	s_or_b64 s[4:5], s[4:5], s[8:9]
	s_or_b64 exec, exec, s[6:7]
	s_and_saveexec_b64 s[6:7], s[4:5]
	s_cbranch_execnz .LBB54_1755
	s_branch .LBB54_1756
.LBB54_3805:
	s_movk_i32 s4, 0x80
	v_cmp_eq_u16_sdwa s[12:13], v4, s4 src0_sel:BYTE_3 src1_sel:DWORD
	s_mov_b64 s[4:5], -1
                                        ; implicit-def: $sgpr10
	s_and_saveexec_b64 s[8:9], s[12:13]
; %bb.3806:
	s_mov_b32 s10, 0x7f800001
	s_xor_b64 s[4:5], exec, -1
; %bb.3807:
	s_or_b64 exec, exec, s[8:9]
	s_and_b64 s[4:5], s[4:5], exec
	s_or_saveexec_b64 s[6:7], s[6:7]
	v_mov_b32_e32 v3, s10
	s_xor_b64 exec, exec, s[6:7]
	s_cbranch_execz .LBB54_1758
.LBB54_3808:
	v_mov_b32_e32 v3, 0
	v_cmp_ne_u16_sdwa s[8:9], v4, v3 src0_sel:BYTE_3 src1_sel:DWORD
	s_andn2_b64 s[4:5], s[4:5], exec
	s_and_b64 s[8:9], s[8:9], exec
	s_or_b64 s[4:5], s[4:5], s[8:9]
	s_or_b64 exec, exec, s[6:7]
	s_and_saveexec_b64 s[6:7], s[4:5]
	s_cbranch_execnz .LBB54_1759
	s_branch .LBB54_1760
.LBB54_3809:
	s_movk_i32 s4, 0x80
	v_cmp_eq_u16_sdwa s[12:13], v9, s4 src0_sel:BYTE_0 src1_sel:DWORD
	s_mov_b64 s[4:5], -1
                                        ; implicit-def: $sgpr10
	s_and_saveexec_b64 s[8:9], s[12:13]
; %bb.3810:
	s_mov_b32 s10, 0x7f800001
	s_xor_b64 s[4:5], exec, -1
; %bb.3811:
	s_or_b64 exec, exec, s[8:9]
	s_and_b64 s[4:5], s[4:5], exec
	s_or_saveexec_b64 s[6:7], s[6:7]
	v_mov_b32_e32 v2, s10
	s_xor_b64 exec, exec, s[6:7]
	s_cbranch_execz .LBB54_1762
.LBB54_3812:
	v_mov_b32_e32 v2, 0
	v_cmp_ne_u16_sdwa s[8:9], v9, v2 src0_sel:BYTE_0 src1_sel:DWORD
	s_andn2_b64 s[4:5], s[4:5], exec
	s_and_b64 s[8:9], s[8:9], exec
	s_or_b64 s[4:5], s[4:5], s[8:9]
	s_or_b64 exec, exec, s[6:7]
	s_and_saveexec_b64 s[6:7], s[4:5]
	s_cbranch_execnz .LBB54_1763
	s_branch .LBB54_1764
.LBB54_3813:
	s_movk_i32 s4, 0x80
	v_cmp_eq_u16_sdwa s[12:13], v5, s4 src0_sel:BYTE_0 src1_sel:DWORD
	s_mov_b64 s[4:5], -1
                                        ; implicit-def: $sgpr10
	s_and_saveexec_b64 s[8:9], s[12:13]
; %bb.3814:
	s_mov_b32 s10, 0x7f800001
	s_xor_b64 s[4:5], exec, -1
; %bb.3815:
	s_or_b64 exec, exec, s[8:9]
	s_and_b64 s[4:5], s[4:5], exec
	s_or_saveexec_b64 s[6:7], s[6:7]
	v_mov_b32_e32 v3, s10
	s_xor_b64 exec, exec, s[6:7]
	s_cbranch_execz .LBB54_1766
.LBB54_3816:
	v_mov_b32_e32 v3, 0
	v_cmp_ne_u16_sdwa s[8:9], v5, v3 src0_sel:BYTE_0 src1_sel:DWORD
	s_andn2_b64 s[4:5], s[4:5], exec
	s_and_b64 s[8:9], s[8:9], exec
	s_or_b64 s[4:5], s[4:5], s[8:9]
	s_or_b64 exec, exec, s[6:7]
	s_and_saveexec_b64 s[6:7], s[4:5]
	s_cbranch_execnz .LBB54_1767
	s_branch .LBB54_1768
.LBB54_3817:
	s_movk_i32 s4, 0x80
	v_cmp_eq_u16_sdwa s[12:13], v3, s4 src0_sel:BYTE_0 src1_sel:DWORD
	s_mov_b64 s[4:5], -1
                                        ; implicit-def: $sgpr10
	s_and_saveexec_b64 s[8:9], s[12:13]
; %bb.3818:
	s_mov_b32 s10, 0x7f800001
	s_xor_b64 s[4:5], exec, -1
; %bb.3819:
	s_or_b64 exec, exec, s[8:9]
	s_and_b64 s[4:5], s[4:5], exec
	s_or_saveexec_b64 s[6:7], s[6:7]
	v_mov_b32_e32 v2, s10
	s_xor_b64 exec, exec, s[6:7]
	s_cbranch_execz .LBB54_1770
.LBB54_3820:
	v_mov_b32_e32 v2, 0
	v_cmp_ne_u16_sdwa s[8:9], v3, v2 src0_sel:BYTE_0 src1_sel:DWORD
	s_andn2_b64 s[4:5], s[4:5], exec
	s_and_b64 s[8:9], s[8:9], exec
	s_or_b64 s[4:5], s[4:5], s[8:9]
	s_or_b64 exec, exec, s[6:7]
	s_and_saveexec_b64 s[6:7], s[4:5]
	s_cbranch_execnz .LBB54_1771
	s_branch .LBB54_1772
.LBB54_3821:
	s_movk_i32 s4, 0x80
	v_cmp_eq_u16_sdwa s[12:13], v3, s4 src0_sel:BYTE_0 src1_sel:DWORD
	s_mov_b64 s[4:5], -1
                                        ; implicit-def: $sgpr10
	s_and_saveexec_b64 s[8:9], s[12:13]
; %bb.3822:
	s_mov_b32 s10, 0x7f800001
	s_xor_b64 s[4:5], exec, -1
; %bb.3823:
	s_or_b64 exec, exec, s[8:9]
	s_and_b64 s[4:5], s[4:5], exec
	s_or_saveexec_b64 s[6:7], s[6:7]
	v_mov_b32_e32 v4, s10
	s_xor_b64 exec, exec, s[6:7]
	s_cbranch_execz .LBB54_1774
.LBB54_3824:
	v_mov_b32_e32 v4, 0
	v_cmp_ne_u16_sdwa s[8:9], v3, v4 src0_sel:BYTE_0 src1_sel:DWORD
	s_andn2_b64 s[4:5], s[4:5], exec
	s_and_b64 s[8:9], s[8:9], exec
	s_or_b64 s[4:5], s[4:5], s[8:9]
	s_or_b64 exec, exec, s[6:7]
	s_and_saveexec_b64 s[6:7], s[4:5]
	s_cbranch_execnz .LBB54_1775
	s_branch .LBB54_1776
.LBB54_3825:
	s_movk_i32 s4, 0x80
	v_cmp_eq_u16_e32 vcc, s4, v3
	s_mov_b64 s[4:5], -1
                                        ; implicit-def: $sgpr10
	s_and_saveexec_b64 s[8:9], vcc
; %bb.3826:
	s_mov_b32 s10, 0x7f800001
	s_xor_b64 s[4:5], exec, -1
; %bb.3827:
	s_or_b64 exec, exec, s[8:9]
	s_and_b64 s[4:5], s[4:5], exec
                                        ; implicit-def: $vgpr3
	s_or_saveexec_b64 s[6:7], s[6:7]
	v_mov_b32_e32 v2, s10
	s_xor_b64 exec, exec, s[6:7]
	s_cbranch_execz .LBB54_1778
.LBB54_3828:
	v_cmp_ne_u16_e32 vcc, 0, v3
	s_andn2_b64 s[4:5], s[4:5], exec
	s_and_b64 s[8:9], vcc, exec
	v_mov_b32_e32 v2, 0
	s_or_b64 s[4:5], s[4:5], s[8:9]
	s_or_b64 exec, exec, s[6:7]
	s_and_saveexec_b64 s[6:7], s[4:5]
	s_cbranch_execnz .LBB54_1779
	s_branch .LBB54_1780
.LBB54_3829:
	s_movk_i32 s4, 0x80
	v_cmp_eq_u16_e32 vcc, s4, v3
	s_mov_b64 s[4:5], -1
                                        ; implicit-def: $sgpr10
	s_and_saveexec_b64 s[8:9], vcc
; %bb.3830:
	s_mov_b32 s10, 0x7f800001
	s_xor_b64 s[4:5], exec, -1
; %bb.3831:
	s_or_b64 exec, exec, s[8:9]
	s_and_b64 s[4:5], s[4:5], exec
                                        ; implicit-def: $vgpr3
	s_or_saveexec_b64 s[6:7], s[6:7]
	v_mov_b32_e32 v4, s10
	s_xor_b64 exec, exec, s[6:7]
	s_cbranch_execz .LBB54_1782
.LBB54_3832:
	v_cmp_ne_u16_e32 vcc, 0, v3
	s_andn2_b64 s[4:5], s[4:5], exec
	s_and_b64 s[8:9], vcc, exec
	v_mov_b32_e32 v4, 0
	s_or_b64 s[4:5], s[4:5], s[8:9]
	s_or_b64 exec, exec, s[6:7]
	s_and_saveexec_b64 s[6:7], s[4:5]
	s_cbranch_execnz .LBB54_1783
	s_branch .LBB54_1784
.LBB54_3833:
	s_movk_i32 s4, 0x80
	v_cmp_eq_u16_sdwa s[12:13], v9, s4 src0_sel:BYTE_3 src1_sel:DWORD
	s_mov_b64 s[4:5], -1
                                        ; implicit-def: $sgpr10
	s_and_saveexec_b64 s[8:9], s[12:13]
; %bb.3834:
	s_mov_b32 s10, 0x7f800001
	s_xor_b64 s[4:5], exec, -1
; %bb.3835:
	s_or_b64 exec, exec, s[8:9]
	s_and_b64 s[4:5], s[4:5], exec
	s_or_saveexec_b64 s[6:7], s[6:7]
	v_mov_b32_e32 v2, s10
	s_xor_b64 exec, exec, s[6:7]
	s_cbranch_execz .LBB54_1786
.LBB54_3836:
	v_mov_b32_e32 v2, 0
	v_cmp_ne_u16_sdwa s[8:9], v9, v2 src0_sel:BYTE_3 src1_sel:DWORD
	s_andn2_b64 s[4:5], s[4:5], exec
	s_and_b64 s[8:9], s[8:9], exec
	s_or_b64 s[4:5], s[4:5], s[8:9]
	s_or_b64 exec, exec, s[6:7]
	s_and_saveexec_b64 s[6:7], s[4:5]
	s_cbranch_execnz .LBB54_1787
	s_branch .LBB54_1788
.LBB54_3837:
	s_movk_i32 s4, 0x80
	v_cmp_eq_u16_sdwa s[12:13], v5, s4 src0_sel:BYTE_3 src1_sel:DWORD
	s_mov_b64 s[4:5], -1
                                        ; implicit-def: $sgpr10
	s_and_saveexec_b64 s[8:9], s[12:13]
; %bb.3838:
	s_mov_b32 s10, 0x7f800001
	s_xor_b64 s[4:5], exec, -1
; %bb.3839:
	s_or_b64 exec, exec, s[8:9]
	s_and_b64 s[4:5], s[4:5], exec
	s_or_saveexec_b64 s[6:7], s[6:7]
	v_mov_b32_e32 v3, s10
	s_xor_b64 exec, exec, s[6:7]
	s_cbranch_execz .LBB54_1790
.LBB54_3840:
	v_mov_b32_e32 v3, 0
	v_cmp_ne_u16_sdwa s[8:9], v5, v3 src0_sel:BYTE_3 src1_sel:DWORD
	s_andn2_b64 s[4:5], s[4:5], exec
	s_and_b64 s[8:9], s[8:9], exec
	s_or_b64 s[4:5], s[4:5], s[8:9]
	s_or_b64 exec, exec, s[6:7]
	s_and_saveexec_b64 s[6:7], s[4:5]
	s_cbranch_execnz .LBB54_1791
	s_branch .LBB54_1792
.LBB54_3841:
	s_movk_i32 s4, 0x80
	v_cmp_eq_u16_sdwa s[12:13], v12, s4 src0_sel:BYTE_0 src1_sel:DWORD
	s_mov_b64 s[4:5], -1
                                        ; implicit-def: $sgpr10
	s_and_saveexec_b64 s[8:9], s[12:13]
; %bb.3842:
	s_mov_b32 s10, 0x7f800001
	s_xor_b64 s[4:5], exec, -1
; %bb.3843:
	s_or_b64 exec, exec, s[8:9]
	s_and_b64 s[4:5], s[4:5], exec
	s_or_saveexec_b64 s[6:7], s[6:7]
	v_mov_b32_e32 v18, s10
	s_xor_b64 exec, exec, s[6:7]
	s_cbranch_execz .LBB54_1794
.LBB54_3844:
	v_mov_b32_e32 v18, 0
	v_cmp_ne_u16_sdwa s[8:9], v12, v18 src0_sel:BYTE_0 src1_sel:DWORD
	s_andn2_b64 s[4:5], s[4:5], exec
	s_and_b64 s[8:9], s[8:9], exec
	s_or_b64 s[4:5], s[4:5], s[8:9]
	s_or_b64 exec, exec, s[6:7]
	s_and_saveexec_b64 s[6:7], s[4:5]
	s_cbranch_execnz .LBB54_1795
	s_branch .LBB54_1796
.LBB54_3845:
	s_movk_i32 s4, 0x80
	v_cmp_eq_u16_sdwa s[12:13], v8, s4 src0_sel:BYTE_0 src1_sel:DWORD
	s_mov_b64 s[4:5], -1
                                        ; implicit-def: $sgpr10
	s_and_saveexec_b64 s[8:9], s[12:13]
; %bb.3846:
	s_mov_b32 s10, 0x7f800001
	s_xor_b64 s[4:5], exec, -1
; %bb.3847:
	s_or_b64 exec, exec, s[8:9]
	s_and_b64 s[4:5], s[4:5], exec
	s_or_saveexec_b64 s[6:7], s[6:7]
	v_mov_b32_e32 v19, s10
	s_xor_b64 exec, exec, s[6:7]
	s_cbranch_execz .LBB54_1798
.LBB54_3848:
	v_mov_b32_e32 v19, 0
	v_cmp_ne_u16_sdwa s[8:9], v8, v19 src0_sel:BYTE_0 src1_sel:DWORD
	s_andn2_b64 s[4:5], s[4:5], exec
	s_and_b64 s[8:9], s[8:9], exec
	s_or_b64 s[4:5], s[4:5], s[8:9]
	s_or_b64 exec, exec, s[6:7]
	s_and_saveexec_b64 s[6:7], s[4:5]
	s_cbranch_execnz .LBB54_1799
	s_branch .LBB54_1800
.LBB54_3849:
	s_movk_i32 s4, 0x80
	v_cmp_eq_u16_sdwa s[12:13], v19, s4 src0_sel:BYTE_0 src1_sel:DWORD
	s_mov_b64 s[4:5], -1
                                        ; implicit-def: $sgpr10
	s_and_saveexec_b64 s[8:9], s[12:13]
; %bb.3850:
	s_mov_b32 s10, 0x7f800001
	s_xor_b64 s[4:5], exec, -1
; %bb.3851:
	s_or_b64 exec, exec, s[8:9]
	s_and_b64 s[4:5], s[4:5], exec
	s_or_saveexec_b64 s[6:7], s[6:7]
	v_mov_b32_e32 v18, s10
	s_xor_b64 exec, exec, s[6:7]
	s_cbranch_execz .LBB54_1802
.LBB54_3852:
	v_mov_b32_e32 v18, 0
	v_cmp_ne_u16_sdwa s[8:9], v19, v18 src0_sel:BYTE_0 src1_sel:DWORD
	s_andn2_b64 s[4:5], s[4:5], exec
	s_and_b64 s[8:9], s[8:9], exec
	s_or_b64 s[4:5], s[4:5], s[8:9]
	s_or_b64 exec, exec, s[6:7]
	s_and_saveexec_b64 s[6:7], s[4:5]
	s_cbranch_execnz .LBB54_1803
	s_branch .LBB54_1804
.LBB54_3853:
	s_movk_i32 s4, 0x80
	v_cmp_eq_u16_sdwa s[12:13], v19, s4 src0_sel:BYTE_0 src1_sel:DWORD
	s_mov_b64 s[4:5], -1
                                        ; implicit-def: $sgpr10
	s_and_saveexec_b64 s[8:9], s[12:13]
; %bb.3854:
	s_mov_b32 s10, 0x7f800001
	s_xor_b64 s[4:5], exec, -1
; %bb.3855:
	s_or_b64 exec, exec, s[8:9]
	s_and_b64 s[4:5], s[4:5], exec
	s_or_saveexec_b64 s[6:7], s[6:7]
	v_mov_b32_e32 v20, s10
	s_xor_b64 exec, exec, s[6:7]
	s_cbranch_execz .LBB54_1806
.LBB54_3856:
	v_mov_b32_e32 v20, 0
	v_cmp_ne_u16_sdwa s[8:9], v19, v20 src0_sel:BYTE_0 src1_sel:DWORD
	s_andn2_b64 s[4:5], s[4:5], exec
	s_and_b64 s[8:9], s[8:9], exec
	s_or_b64 s[4:5], s[4:5], s[8:9]
	s_or_b64 exec, exec, s[6:7]
	s_and_saveexec_b64 s[6:7], s[4:5]
	s_cbranch_execnz .LBB54_1807
	s_branch .LBB54_1808
.LBB54_3857:
	s_movk_i32 s4, 0x80
	v_cmp_eq_u16_e32 vcc, s4, v19
	s_mov_b64 s[4:5], -1
                                        ; implicit-def: $sgpr10
	s_and_saveexec_b64 s[8:9], vcc
; %bb.3858:
	s_mov_b32 s10, 0x7f800001
	s_xor_b64 s[4:5], exec, -1
; %bb.3859:
	s_or_b64 exec, exec, s[8:9]
	s_and_b64 s[4:5], s[4:5], exec
                                        ; implicit-def: $vgpr19
	s_or_saveexec_b64 s[6:7], s[6:7]
	v_mov_b32_e32 v18, s10
	s_xor_b64 exec, exec, s[6:7]
	s_cbranch_execz .LBB54_1810
.LBB54_3860:
	v_cmp_ne_u16_e32 vcc, 0, v19
	s_andn2_b64 s[4:5], s[4:5], exec
	s_and_b64 s[8:9], vcc, exec
	v_mov_b32_e32 v18, 0
	s_or_b64 s[4:5], s[4:5], s[8:9]
	s_or_b64 exec, exec, s[6:7]
	s_and_saveexec_b64 s[6:7], s[4:5]
	s_cbranch_execnz .LBB54_1811
	s_branch .LBB54_1812
.LBB54_3861:
	s_movk_i32 s4, 0x80
	v_cmp_eq_u16_e32 vcc, s4, v19
	s_mov_b64 s[4:5], -1
                                        ; implicit-def: $sgpr10
	s_and_saveexec_b64 s[8:9], vcc
; %bb.3862:
	s_mov_b32 s10, 0x7f800001
	s_xor_b64 s[4:5], exec, -1
; %bb.3863:
	s_or_b64 exec, exec, s[8:9]
	s_and_b64 s[4:5], s[4:5], exec
                                        ; implicit-def: $vgpr19
	s_or_saveexec_b64 s[6:7], s[6:7]
	v_mov_b32_e32 v20, s10
	s_xor_b64 exec, exec, s[6:7]
	s_cbranch_execz .LBB54_1814
.LBB54_3864:
	v_cmp_ne_u16_e32 vcc, 0, v19
	s_andn2_b64 s[4:5], s[4:5], exec
	s_and_b64 s[8:9], vcc, exec
	v_mov_b32_e32 v20, 0
	s_or_b64 s[4:5], s[4:5], s[8:9]
	s_or_b64 exec, exec, s[6:7]
	s_and_saveexec_b64 s[6:7], s[4:5]
	s_cbranch_execnz .LBB54_1815
	s_branch .LBB54_1816
.LBB54_3865:
	s_movk_i32 s4, 0x80
	v_cmp_eq_u16_sdwa s[12:13], v12, s4 src0_sel:BYTE_3 src1_sel:DWORD
	s_mov_b64 s[4:5], -1
                                        ; implicit-def: $sgpr10
	s_and_saveexec_b64 s[8:9], s[12:13]
; %bb.3866:
	s_mov_b32 s10, 0x7f800001
	s_xor_b64 s[4:5], exec, -1
; %bb.3867:
	s_or_b64 exec, exec, s[8:9]
	s_and_b64 s[4:5], s[4:5], exec
	s_or_saveexec_b64 s[6:7], s[6:7]
	v_mov_b32_e32 v18, s10
	s_xor_b64 exec, exec, s[6:7]
	s_cbranch_execz .LBB54_1818
.LBB54_3868:
	v_mov_b32_e32 v18, 0
	v_cmp_ne_u16_sdwa s[8:9], v12, v18 src0_sel:BYTE_3 src1_sel:DWORD
	s_andn2_b64 s[4:5], s[4:5], exec
	s_and_b64 s[8:9], s[8:9], exec
	s_or_b64 s[4:5], s[4:5], s[8:9]
	s_or_b64 exec, exec, s[6:7]
	s_and_saveexec_b64 s[6:7], s[4:5]
	s_cbranch_execnz .LBB54_1819
	s_branch .LBB54_1820
.LBB54_3869:
	s_movk_i32 s4, 0x80
	v_cmp_eq_u16_sdwa s[12:13], v8, s4 src0_sel:BYTE_3 src1_sel:DWORD
	s_mov_b64 s[4:5], -1
                                        ; implicit-def: $sgpr10
	s_and_saveexec_b64 s[8:9], s[12:13]
; %bb.3870:
	s_mov_b32 s10, 0x7f800001
	s_xor_b64 s[4:5], exec, -1
; %bb.3871:
	s_or_b64 exec, exec, s[8:9]
	s_and_b64 s[4:5], s[4:5], exec
	s_or_saveexec_b64 s[6:7], s[6:7]
	v_mov_b32_e32 v12, s10
	s_xor_b64 exec, exec, s[6:7]
	s_cbranch_execz .LBB54_1822
.LBB54_3872:
	v_mov_b32_e32 v12, 0
	v_cmp_ne_u16_sdwa s[8:9], v8, v12 src0_sel:BYTE_3 src1_sel:DWORD
	s_andn2_b64 s[4:5], s[4:5], exec
	s_and_b64 s[8:9], s[8:9], exec
	s_or_b64 s[4:5], s[4:5], s[8:9]
	s_or_b64 exec, exec, s[6:7]
	s_and_saveexec_b64 s[6:7], s[4:5]
	s_cbranch_execnz .LBB54_1823
	s_branch .LBB54_1824
.LBB54_3873:
	s_movk_i32 s4, 0x80
	v_cmp_eq_u16_sdwa s[12:13], v13, s4 src0_sel:BYTE_0 src1_sel:DWORD
	s_mov_b64 s[4:5], -1
                                        ; implicit-def: $sgpr10
	s_and_saveexec_b64 s[8:9], s[12:13]
; %bb.3874:
	s_mov_b32 s10, 0x7f800001
	s_xor_b64 s[4:5], exec, -1
; %bb.3875:
	s_or_b64 exec, exec, s[8:9]
	s_and_b64 s[4:5], s[4:5], exec
	s_or_saveexec_b64 s[6:7], s[6:7]
	v_mov_b32_e32 v8, s10
	s_xor_b64 exec, exec, s[6:7]
	s_cbranch_execz .LBB54_1826
.LBB54_3876:
	v_mov_b32_e32 v8, 0
	v_cmp_ne_u16_sdwa s[8:9], v13, v8 src0_sel:BYTE_0 src1_sel:DWORD
	s_andn2_b64 s[4:5], s[4:5], exec
	s_and_b64 s[8:9], s[8:9], exec
	s_or_b64 s[4:5], s[4:5], s[8:9]
	s_or_b64 exec, exec, s[6:7]
	s_and_saveexec_b64 s[6:7], s[4:5]
	s_cbranch_execnz .LBB54_1827
	s_branch .LBB54_1828
.LBB54_3877:
	s_movk_i32 s4, 0x80
	v_cmp_eq_u16_sdwa s[12:13], v9, s4 src0_sel:BYTE_0 src1_sel:DWORD
	s_mov_b64 s[4:5], -1
                                        ; implicit-def: $sgpr10
	s_and_saveexec_b64 s[8:9], s[12:13]
; %bb.3878:
	s_mov_b32 s10, 0x7f800001
	s_xor_b64 s[4:5], exec, -1
; %bb.3879:
	s_or_b64 exec, exec, s[8:9]
	s_and_b64 s[4:5], s[4:5], exec
	s_or_saveexec_b64 s[6:7], s[6:7]
	v_mov_b32_e32 v12, s10
	s_xor_b64 exec, exec, s[6:7]
	s_cbranch_execz .LBB54_1830
.LBB54_3880:
	v_mov_b32_e32 v12, 0
	v_cmp_ne_u16_sdwa s[8:9], v9, v12 src0_sel:BYTE_0 src1_sel:DWORD
	s_andn2_b64 s[4:5], s[4:5], exec
	s_and_b64 s[8:9], s[8:9], exec
	s_or_b64 s[4:5], s[4:5], s[8:9]
	s_or_b64 exec, exec, s[6:7]
	s_and_saveexec_b64 s[6:7], s[4:5]
	s_cbranch_execnz .LBB54_1831
	s_branch .LBB54_1832
.LBB54_3881:
	s_movk_i32 s4, 0x80
	v_cmp_eq_u16_sdwa s[12:13], v12, s4 src0_sel:BYTE_0 src1_sel:DWORD
	s_mov_b64 s[4:5], -1
                                        ; implicit-def: $sgpr10
	s_and_saveexec_b64 s[8:9], s[12:13]
; %bb.3882:
	s_mov_b32 s10, 0x7f800001
	s_xor_b64 s[4:5], exec, -1
; %bb.3883:
	s_or_b64 exec, exec, s[8:9]
	s_and_b64 s[4:5], s[4:5], exec
	s_or_saveexec_b64 s[6:7], s[6:7]
	v_mov_b32_e32 v8, s10
	s_xor_b64 exec, exec, s[6:7]
	s_cbranch_execz .LBB54_1834
.LBB54_3884:
	v_mov_b32_e32 v8, 0
	v_cmp_ne_u16_sdwa s[8:9], v12, v8 src0_sel:BYTE_0 src1_sel:DWORD
	s_andn2_b64 s[4:5], s[4:5], exec
	s_and_b64 s[8:9], s[8:9], exec
	s_or_b64 s[4:5], s[4:5], s[8:9]
	s_or_b64 exec, exec, s[6:7]
	s_and_saveexec_b64 s[6:7], s[4:5]
	s_cbranch_execnz .LBB54_1835
	s_branch .LBB54_1836
.LBB54_3885:
	s_movk_i32 s4, 0x80
	v_cmp_eq_u16_sdwa s[12:13], v12, s4 src0_sel:BYTE_0 src1_sel:DWORD
	s_mov_b64 s[4:5], -1
                                        ; implicit-def: $sgpr10
	s_and_saveexec_b64 s[8:9], s[12:13]
; %bb.3886:
	s_mov_b32 s10, 0x7f800001
	s_xor_b64 s[4:5], exec, -1
; %bb.3887:
	s_or_b64 exec, exec, s[8:9]
	s_and_b64 s[4:5], s[4:5], exec
	s_or_saveexec_b64 s[6:7], s[6:7]
	v_mov_b32_e32 v18, s10
	s_xor_b64 exec, exec, s[6:7]
	s_cbranch_execz .LBB54_1838
.LBB54_3888:
	v_mov_b32_e32 v18, 0
	v_cmp_ne_u16_sdwa s[8:9], v12, v18 src0_sel:BYTE_0 src1_sel:DWORD
	s_andn2_b64 s[4:5], s[4:5], exec
	s_and_b64 s[8:9], s[8:9], exec
	s_or_b64 s[4:5], s[4:5], s[8:9]
	s_or_b64 exec, exec, s[6:7]
	s_and_saveexec_b64 s[6:7], s[4:5]
	s_cbranch_execnz .LBB54_1839
	s_branch .LBB54_1840
.LBB54_3889:
	s_movk_i32 s4, 0x80
	v_cmp_eq_u16_e32 vcc, s4, v12
	s_mov_b64 s[4:5], -1
                                        ; implicit-def: $sgpr10
	s_and_saveexec_b64 s[8:9], vcc
; %bb.3890:
	s_mov_b32 s10, 0x7f800001
	s_xor_b64 s[4:5], exec, -1
; %bb.3891:
	s_or_b64 exec, exec, s[8:9]
	s_and_b64 s[4:5], s[4:5], exec
                                        ; implicit-def: $vgpr12
	s_or_saveexec_b64 s[6:7], s[6:7]
	v_mov_b32_e32 v8, s10
	s_xor_b64 exec, exec, s[6:7]
	s_cbranch_execz .LBB54_1842
.LBB54_3892:
	v_cmp_ne_u16_e32 vcc, 0, v12
	s_andn2_b64 s[4:5], s[4:5], exec
	s_and_b64 s[8:9], vcc, exec
	v_mov_b32_e32 v8, 0
	s_or_b64 s[4:5], s[4:5], s[8:9]
	s_or_b64 exec, exec, s[6:7]
	s_and_saveexec_b64 s[6:7], s[4:5]
	s_cbranch_execnz .LBB54_1843
	s_branch .LBB54_1844
.LBB54_3893:
	s_movk_i32 s4, 0x80
	v_cmp_eq_u16_e32 vcc, s4, v12
	s_mov_b64 s[4:5], -1
                                        ; implicit-def: $sgpr10
	s_and_saveexec_b64 s[8:9], vcc
; %bb.3894:
	s_mov_b32 s10, 0x7f800001
	s_xor_b64 s[4:5], exec, -1
; %bb.3895:
	s_or_b64 exec, exec, s[8:9]
	s_and_b64 s[4:5], s[4:5], exec
                                        ; implicit-def: $vgpr12
	s_or_saveexec_b64 s[6:7], s[6:7]
	v_mov_b32_e32 v18, s10
	s_xor_b64 exec, exec, s[6:7]
	s_cbranch_execz .LBB54_1846
.LBB54_3896:
	v_cmp_ne_u16_e32 vcc, 0, v12
	s_andn2_b64 s[4:5], s[4:5], exec
	s_and_b64 s[8:9], vcc, exec
	v_mov_b32_e32 v18, 0
	s_or_b64 s[4:5], s[4:5], s[8:9]
	s_or_b64 exec, exec, s[6:7]
	s_and_saveexec_b64 s[6:7], s[4:5]
	s_cbranch_execnz .LBB54_1847
	s_branch .LBB54_1848
.LBB54_3897:
	s_movk_i32 s4, 0x80
	v_cmp_eq_u16_sdwa s[12:13], v13, s4 src0_sel:BYTE_3 src1_sel:DWORD
	s_mov_b64 s[4:5], -1
                                        ; implicit-def: $sgpr10
	s_and_saveexec_b64 s[8:9], s[12:13]
; %bb.3898:
	s_mov_b32 s10, 0x7f800001
	s_xor_b64 s[4:5], exec, -1
; %bb.3899:
	s_or_b64 exec, exec, s[8:9]
	s_and_b64 s[4:5], s[4:5], exec
	s_or_saveexec_b64 s[6:7], s[6:7]
	v_mov_b32_e32 v8, s10
	s_xor_b64 exec, exec, s[6:7]
	s_cbranch_execz .LBB54_1850
.LBB54_3900:
	v_mov_b32_e32 v8, 0
	v_cmp_ne_u16_sdwa s[8:9], v13, v8 src0_sel:BYTE_3 src1_sel:DWORD
	s_andn2_b64 s[4:5], s[4:5], exec
	s_and_b64 s[8:9], s[8:9], exec
	s_or_b64 s[4:5], s[4:5], s[8:9]
	s_or_b64 exec, exec, s[6:7]
	s_and_saveexec_b64 s[6:7], s[4:5]
	s_cbranch_execnz .LBB54_1851
	s_branch .LBB54_1852
.LBB54_3901:
	s_movk_i32 s4, 0x80
	v_cmp_eq_u16_sdwa s[12:13], v9, s4 src0_sel:BYTE_3 src1_sel:DWORD
	s_mov_b64 s[4:5], -1
                                        ; implicit-def: $sgpr10
	s_and_saveexec_b64 s[8:9], s[12:13]
; %bb.3902:
	s_mov_b32 s10, 0x7f800001
	s_xor_b64 s[4:5], exec, -1
; %bb.3903:
	s_or_b64 exec, exec, s[8:9]
	s_and_b64 s[4:5], s[4:5], exec
	s_or_saveexec_b64 s[6:7], s[6:7]
	v_mov_b32_e32 v12, s10
	s_xor_b64 exec, exec, s[6:7]
	s_cbranch_execz .LBB54_1854
.LBB54_3904:
	v_mov_b32_e32 v12, 0
	v_cmp_ne_u16_sdwa s[8:9], v9, v12 src0_sel:BYTE_3 src1_sel:DWORD
	s_andn2_b64 s[4:5], s[4:5], exec
	s_and_b64 s[8:9], s[8:9], exec
	s_or_b64 s[4:5], s[4:5], s[8:9]
	s_or_b64 exec, exec, s[6:7]
	s_and_saveexec_b64 s[6:7], s[4:5]
	s_cbranch_execnz .LBB54_1855
	s_branch .LBB54_1856
.LBB54_3905:
	s_movk_i32 s4, 0x80
	v_cmp_eq_u16_sdwa s[12:13], v14, s4 src0_sel:BYTE_0 src1_sel:DWORD
	s_mov_b64 s[4:5], -1
                                        ; implicit-def: $sgpr10
	s_and_saveexec_b64 s[8:9], s[12:13]
; %bb.3906:
	s_mov_b32 s10, 0x7f800001
	s_xor_b64 s[4:5], exec, -1
; %bb.3907:
	s_or_b64 exec, exec, s[8:9]
	s_and_b64 s[4:5], s[4:5], exec
	s_or_saveexec_b64 s[6:7], s[6:7]
	v_mov_b32_e32 v8, s10
	s_xor_b64 exec, exec, s[6:7]
	s_cbranch_execz .LBB54_1858
.LBB54_3908:
	v_mov_b32_e32 v8, 0
	v_cmp_ne_u16_sdwa s[8:9], v14, v8 src0_sel:BYTE_0 src1_sel:DWORD
	s_andn2_b64 s[4:5], s[4:5], exec
	s_and_b64 s[8:9], s[8:9], exec
	s_or_b64 s[4:5], s[4:5], s[8:9]
	s_or_b64 exec, exec, s[6:7]
	s_and_saveexec_b64 s[6:7], s[4:5]
	s_cbranch_execnz .LBB54_1859
	s_branch .LBB54_1860
.LBB54_3909:
	s_movk_i32 s4, 0x80
	v_cmp_eq_u16_sdwa s[12:13], v10, s4 src0_sel:BYTE_0 src1_sel:DWORD
	s_mov_b64 s[4:5], -1
                                        ; implicit-def: $sgpr10
	s_and_saveexec_b64 s[8:9], s[12:13]
; %bb.3910:
	s_mov_b32 s10, 0x7f800001
	s_xor_b64 s[4:5], exec, -1
; %bb.3911:
	s_or_b64 exec, exec, s[8:9]
	s_and_b64 s[4:5], s[4:5], exec
	s_or_saveexec_b64 s[6:7], s[6:7]
	v_mov_b32_e32 v9, s10
	s_xor_b64 exec, exec, s[6:7]
	s_cbranch_execz .LBB54_1862
.LBB54_3912:
	v_mov_b32_e32 v9, 0
	v_cmp_ne_u16_sdwa s[8:9], v10, v9 src0_sel:BYTE_0 src1_sel:DWORD
	s_andn2_b64 s[4:5], s[4:5], exec
	s_and_b64 s[8:9], s[8:9], exec
	s_or_b64 s[4:5], s[4:5], s[8:9]
	s_or_b64 exec, exec, s[6:7]
	s_and_saveexec_b64 s[6:7], s[4:5]
	s_cbranch_execnz .LBB54_1863
	s_branch .LBB54_1864
.LBB54_3913:
	s_movk_i32 s4, 0x80
	v_cmp_eq_u16_sdwa s[12:13], v9, s4 src0_sel:BYTE_0 src1_sel:DWORD
	s_mov_b64 s[4:5], -1
                                        ; implicit-def: $sgpr10
	s_and_saveexec_b64 s[8:9], s[12:13]
; %bb.3914:
	s_mov_b32 s10, 0x7f800001
	s_xor_b64 s[4:5], exec, -1
; %bb.3915:
	s_or_b64 exec, exec, s[8:9]
	s_and_b64 s[4:5], s[4:5], exec
	s_or_saveexec_b64 s[6:7], s[6:7]
	v_mov_b32_e32 v8, s10
	s_xor_b64 exec, exec, s[6:7]
	s_cbranch_execz .LBB54_1866
.LBB54_3916:
	v_mov_b32_e32 v8, 0
	v_cmp_ne_u16_sdwa s[8:9], v9, v8 src0_sel:BYTE_0 src1_sel:DWORD
	s_andn2_b64 s[4:5], s[4:5], exec
	s_and_b64 s[8:9], s[8:9], exec
	s_or_b64 s[4:5], s[4:5], s[8:9]
	s_or_b64 exec, exec, s[6:7]
	s_and_saveexec_b64 s[6:7], s[4:5]
	s_cbranch_execnz .LBB54_1867
	s_branch .LBB54_1868
.LBB54_3917:
	s_movk_i32 s4, 0x80
	v_cmp_eq_u16_sdwa s[12:13], v9, s4 src0_sel:BYTE_0 src1_sel:DWORD
	s_mov_b64 s[4:5], -1
                                        ; implicit-def: $sgpr10
	s_and_saveexec_b64 s[8:9], s[12:13]
; %bb.3918:
	s_mov_b32 s10, 0x7f800001
	s_xor_b64 s[4:5], exec, -1
; %bb.3919:
	s_or_b64 exec, exec, s[8:9]
	s_and_b64 s[4:5], s[4:5], exec
	s_or_saveexec_b64 s[6:7], s[6:7]
	v_mov_b32_e32 v12, s10
	s_xor_b64 exec, exec, s[6:7]
	s_cbranch_execz .LBB54_1870
.LBB54_3920:
	v_mov_b32_e32 v12, 0
	v_cmp_ne_u16_sdwa s[8:9], v9, v12 src0_sel:BYTE_0 src1_sel:DWORD
	s_andn2_b64 s[4:5], s[4:5], exec
	s_and_b64 s[8:9], s[8:9], exec
	s_or_b64 s[4:5], s[4:5], s[8:9]
	s_or_b64 exec, exec, s[6:7]
	s_and_saveexec_b64 s[6:7], s[4:5]
	s_cbranch_execnz .LBB54_1871
	s_branch .LBB54_1872
.LBB54_3921:
	s_movk_i32 s4, 0x80
	v_cmp_eq_u16_e32 vcc, s4, v9
	s_mov_b64 s[4:5], -1
                                        ; implicit-def: $sgpr10
	s_and_saveexec_b64 s[8:9], vcc
; %bb.3922:
	s_mov_b32 s10, 0x7f800001
	s_xor_b64 s[4:5], exec, -1
; %bb.3923:
	s_or_b64 exec, exec, s[8:9]
	s_and_b64 s[4:5], s[4:5], exec
                                        ; implicit-def: $vgpr9
	s_or_saveexec_b64 s[6:7], s[6:7]
	v_mov_b32_e32 v8, s10
	s_xor_b64 exec, exec, s[6:7]
	s_cbranch_execz .LBB54_1874
.LBB54_3924:
	v_cmp_ne_u16_e32 vcc, 0, v9
	s_andn2_b64 s[4:5], s[4:5], exec
	s_and_b64 s[8:9], vcc, exec
	v_mov_b32_e32 v8, 0
	s_or_b64 s[4:5], s[4:5], s[8:9]
	s_or_b64 exec, exec, s[6:7]
	s_and_saveexec_b64 s[6:7], s[4:5]
	s_cbranch_execnz .LBB54_1875
	s_branch .LBB54_1876
.LBB54_3925:
	s_movk_i32 s4, 0x80
	v_cmp_eq_u16_e32 vcc, s4, v9
	s_mov_b64 s[4:5], -1
                                        ; implicit-def: $sgpr10
	s_and_saveexec_b64 s[8:9], vcc
; %bb.3926:
	s_mov_b32 s10, 0x7f800001
	s_xor_b64 s[4:5], exec, -1
; %bb.3927:
	s_or_b64 exec, exec, s[8:9]
	s_and_b64 s[4:5], s[4:5], exec
                                        ; implicit-def: $vgpr9
	s_or_saveexec_b64 s[6:7], s[6:7]
	v_mov_b32_e32 v12, s10
	s_xor_b64 exec, exec, s[6:7]
	s_cbranch_execz .LBB54_1878
.LBB54_3928:
	v_cmp_ne_u16_e32 vcc, 0, v9
	s_andn2_b64 s[4:5], s[4:5], exec
	s_and_b64 s[8:9], vcc, exec
	v_mov_b32_e32 v12, 0
	s_or_b64 s[4:5], s[4:5], s[8:9]
	s_or_b64 exec, exec, s[6:7]
	s_and_saveexec_b64 s[6:7], s[4:5]
	s_cbranch_execnz .LBB54_1879
	s_branch .LBB54_1880
.LBB54_3929:
	s_movk_i32 s4, 0x80
	v_cmp_eq_u16_sdwa s[12:13], v14, s4 src0_sel:BYTE_3 src1_sel:DWORD
	s_mov_b64 s[4:5], -1
                                        ; implicit-def: $sgpr10
	s_and_saveexec_b64 s[8:9], s[12:13]
; %bb.3930:
	s_mov_b32 s10, 0x7f800001
	s_xor_b64 s[4:5], exec, -1
; %bb.3931:
	s_or_b64 exec, exec, s[8:9]
	s_and_b64 s[4:5], s[4:5], exec
	s_or_saveexec_b64 s[6:7], s[6:7]
	v_mov_b32_e32 v8, s10
	s_xor_b64 exec, exec, s[6:7]
	s_cbranch_execz .LBB54_1882
.LBB54_3932:
	v_mov_b32_e32 v8, 0
	v_cmp_ne_u16_sdwa s[8:9], v14, v8 src0_sel:BYTE_3 src1_sel:DWORD
	s_andn2_b64 s[4:5], s[4:5], exec
	s_and_b64 s[8:9], s[8:9], exec
	s_or_b64 s[4:5], s[4:5], s[8:9]
	s_or_b64 exec, exec, s[6:7]
	s_and_saveexec_b64 s[6:7], s[4:5]
	s_cbranch_execnz .LBB54_1883
	s_branch .LBB54_1884
.LBB54_3933:
	s_movk_i32 s4, 0x80
	v_cmp_eq_u16_sdwa s[12:13], v10, s4 src0_sel:BYTE_3 src1_sel:DWORD
	s_mov_b64 s[4:5], -1
                                        ; implicit-def: $sgpr10
	s_and_saveexec_b64 s[8:9], s[12:13]
; %bb.3934:
	s_mov_b32 s10, 0x7f800001
	s_xor_b64 s[4:5], exec, -1
; %bb.3935:
	s_or_b64 exec, exec, s[8:9]
	s_and_b64 s[4:5], s[4:5], exec
	s_or_saveexec_b64 s[6:7], s[6:7]
	v_mov_b32_e32 v9, s10
	s_xor_b64 exec, exec, s[6:7]
	s_cbranch_execz .LBB54_1886
.LBB54_3936:
	v_mov_b32_e32 v9, 0
	v_cmp_ne_u16_sdwa s[8:9], v10, v9 src0_sel:BYTE_3 src1_sel:DWORD
	s_andn2_b64 s[4:5], s[4:5], exec
	s_and_b64 s[8:9], s[8:9], exec
	s_or_b64 s[4:5], s[4:5], s[8:9]
	s_or_b64 exec, exec, s[6:7]
	s_and_saveexec_b64 s[6:7], s[4:5]
	s_cbranch_execnz .LBB54_1887
	s_branch .LBB54_1888
.LBB54_3937:
	s_movk_i32 s4, 0x80
	v_cmp_eq_u16_sdwa s[12:13], v15, s4 src0_sel:BYTE_0 src1_sel:DWORD
	s_mov_b64 s[4:5], -1
                                        ; implicit-def: $sgpr10
	s_and_saveexec_b64 s[8:9], s[12:13]
; %bb.3938:
	s_mov_b32 s10, 0x7f800001
	s_xor_b64 s[4:5], exec, -1
; %bb.3939:
	s_or_b64 exec, exec, s[8:9]
	s_and_b64 s[4:5], s[4:5], exec
	s_or_saveexec_b64 s[6:7], s[6:7]
	v_mov_b32_e32 v8, s10
	s_xor_b64 exec, exec, s[6:7]
	s_cbranch_execz .LBB54_1890
.LBB54_3940:
	v_mov_b32_e32 v8, 0
	v_cmp_ne_u16_sdwa s[8:9], v15, v8 src0_sel:BYTE_0 src1_sel:DWORD
	s_andn2_b64 s[4:5], s[4:5], exec
	s_and_b64 s[8:9], s[8:9], exec
	s_or_b64 s[4:5], s[4:5], s[8:9]
	s_or_b64 exec, exec, s[6:7]
	s_and_saveexec_b64 s[6:7], s[4:5]
	s_cbranch_execnz .LBB54_1891
	s_branch .LBB54_1892
.LBB54_3941:
	s_movk_i32 s4, 0x80
	v_cmp_eq_u16_sdwa s[12:13], v11, s4 src0_sel:BYTE_0 src1_sel:DWORD
	s_mov_b64 s[4:5], -1
                                        ; implicit-def: $sgpr10
	s_and_saveexec_b64 s[8:9], s[12:13]
; %bb.3942:
	s_mov_b32 s10, 0x7f800001
	s_xor_b64 s[4:5], exec, -1
; %bb.3943:
	s_or_b64 exec, exec, s[8:9]
	s_and_b64 s[4:5], s[4:5], exec
	s_or_saveexec_b64 s[6:7], s[6:7]
	v_mov_b32_e32 v9, s10
	s_xor_b64 exec, exec, s[6:7]
	s_cbranch_execz .LBB54_1894
.LBB54_3944:
	v_mov_b32_e32 v9, 0
	v_cmp_ne_u16_sdwa s[8:9], v11, v9 src0_sel:BYTE_0 src1_sel:DWORD
	s_andn2_b64 s[4:5], s[4:5], exec
	s_and_b64 s[8:9], s[8:9], exec
	s_or_b64 s[4:5], s[4:5], s[8:9]
	s_or_b64 exec, exec, s[6:7]
	s_and_saveexec_b64 s[6:7], s[4:5]
	s_cbranch_execnz .LBB54_1895
	s_branch .LBB54_1896
.LBB54_3945:
	s_movk_i32 s4, 0x80
	v_cmp_eq_u16_sdwa s[12:13], v9, s4 src0_sel:BYTE_0 src1_sel:DWORD
	s_mov_b64 s[4:5], -1
                                        ; implicit-def: $sgpr10
	s_and_saveexec_b64 s[8:9], s[12:13]
; %bb.3946:
	s_mov_b32 s10, 0x7f800001
	s_xor_b64 s[4:5], exec, -1
; %bb.3947:
	s_or_b64 exec, exec, s[8:9]
	s_and_b64 s[4:5], s[4:5], exec
	s_or_saveexec_b64 s[6:7], s[6:7]
	v_mov_b32_e32 v8, s10
	s_xor_b64 exec, exec, s[6:7]
	s_cbranch_execz .LBB54_1898
.LBB54_3948:
	v_mov_b32_e32 v8, 0
	v_cmp_ne_u16_sdwa s[8:9], v9, v8 src0_sel:BYTE_0 src1_sel:DWORD
	s_andn2_b64 s[4:5], s[4:5], exec
	s_and_b64 s[8:9], s[8:9], exec
	s_or_b64 s[4:5], s[4:5], s[8:9]
	s_or_b64 exec, exec, s[6:7]
	s_and_saveexec_b64 s[6:7], s[4:5]
	s_cbranch_execnz .LBB54_1899
	s_branch .LBB54_1900
.LBB54_3949:
	s_movk_i32 s4, 0x80
	v_cmp_eq_u16_sdwa s[12:13], v9, s4 src0_sel:BYTE_0 src1_sel:DWORD
	s_mov_b64 s[4:5], -1
                                        ; implicit-def: $sgpr10
	s_and_saveexec_b64 s[8:9], s[12:13]
; %bb.3950:
	s_mov_b32 s10, 0x7f800001
	s_xor_b64 s[4:5], exec, -1
; %bb.3951:
	s_or_b64 exec, exec, s[8:9]
	s_and_b64 s[4:5], s[4:5], exec
	s_or_saveexec_b64 s[6:7], s[6:7]
	v_mov_b32_e32 v10, s10
	s_xor_b64 exec, exec, s[6:7]
	s_cbranch_execz .LBB54_1902
.LBB54_3952:
	v_mov_b32_e32 v10, 0
	v_cmp_ne_u16_sdwa s[8:9], v9, v10 src0_sel:BYTE_0 src1_sel:DWORD
	s_andn2_b64 s[4:5], s[4:5], exec
	s_and_b64 s[8:9], s[8:9], exec
	s_or_b64 s[4:5], s[4:5], s[8:9]
	s_or_b64 exec, exec, s[6:7]
	s_and_saveexec_b64 s[6:7], s[4:5]
	s_cbranch_execnz .LBB54_1903
	s_branch .LBB54_1904
.LBB54_3953:
	s_movk_i32 s4, 0x80
	v_cmp_eq_u16_e32 vcc, s4, v9
	s_mov_b64 s[4:5], -1
                                        ; implicit-def: $sgpr10
	s_and_saveexec_b64 s[8:9], vcc
; %bb.3954:
	s_mov_b32 s10, 0x7f800001
	s_xor_b64 s[4:5], exec, -1
; %bb.3955:
	s_or_b64 exec, exec, s[8:9]
	s_and_b64 s[4:5], s[4:5], exec
                                        ; implicit-def: $vgpr9
	s_or_saveexec_b64 s[6:7], s[6:7]
	v_mov_b32_e32 v8, s10
	s_xor_b64 exec, exec, s[6:7]
	s_cbranch_execz .LBB54_1906
.LBB54_3956:
	v_cmp_ne_u16_e32 vcc, 0, v9
	s_andn2_b64 s[4:5], s[4:5], exec
	s_and_b64 s[8:9], vcc, exec
	v_mov_b32_e32 v8, 0
	s_or_b64 s[4:5], s[4:5], s[8:9]
	s_or_b64 exec, exec, s[6:7]
	s_and_saveexec_b64 s[6:7], s[4:5]
	s_cbranch_execnz .LBB54_1907
	s_branch .LBB54_1908
.LBB54_3957:
	s_movk_i32 s4, 0x80
	v_cmp_eq_u16_e32 vcc, s4, v9
	s_mov_b64 s[4:5], -1
                                        ; implicit-def: $sgpr10
	s_and_saveexec_b64 s[8:9], vcc
; %bb.3958:
	s_mov_b32 s10, 0x7f800001
	s_xor_b64 s[4:5], exec, -1
; %bb.3959:
	s_or_b64 exec, exec, s[8:9]
	s_and_b64 s[4:5], s[4:5], exec
                                        ; implicit-def: $vgpr9
	s_or_saveexec_b64 s[6:7], s[6:7]
	v_mov_b32_e32 v10, s10
	s_xor_b64 exec, exec, s[6:7]
	s_cbranch_execz .LBB54_1910
.LBB54_3960:
	v_cmp_ne_u16_e32 vcc, 0, v9
	s_andn2_b64 s[4:5], s[4:5], exec
	s_and_b64 s[8:9], vcc, exec
	v_mov_b32_e32 v10, 0
	s_or_b64 s[4:5], s[4:5], s[8:9]
	s_or_b64 exec, exec, s[6:7]
	s_and_saveexec_b64 s[6:7], s[4:5]
	s_cbranch_execnz .LBB54_1911
	s_branch .LBB54_1912
.LBB54_3961:
	s_movk_i32 s4, 0x80
	v_cmp_eq_u16_sdwa s[12:13], v15, s4 src0_sel:BYTE_3 src1_sel:DWORD
	s_mov_b64 s[4:5], -1
                                        ; implicit-def: $sgpr10
	s_and_saveexec_b64 s[8:9], s[12:13]
; %bb.3962:
	s_mov_b32 s10, 0x7f800001
	s_xor_b64 s[4:5], exec, -1
; %bb.3963:
	s_or_b64 exec, exec, s[8:9]
	s_and_b64 s[4:5], s[4:5], exec
	s_or_saveexec_b64 s[6:7], s[6:7]
	v_mov_b32_e32 v8, s10
	s_xor_b64 exec, exec, s[6:7]
	s_cbranch_execz .LBB54_1914
.LBB54_3964:
	v_mov_b32_e32 v8, 0
	v_cmp_ne_u16_sdwa s[8:9], v15, v8 src0_sel:BYTE_3 src1_sel:DWORD
	s_andn2_b64 s[4:5], s[4:5], exec
	s_and_b64 s[8:9], s[8:9], exec
	s_or_b64 s[4:5], s[4:5], s[8:9]
	s_or_b64 exec, exec, s[6:7]
	s_and_saveexec_b64 s[6:7], s[4:5]
	s_cbranch_execnz .LBB54_1915
	s_branch .LBB54_1916
.LBB54_3965:
	s_movk_i32 s4, 0x80
	v_cmp_eq_u16_sdwa s[12:13], v11, s4 src0_sel:BYTE_3 src1_sel:DWORD
	s_mov_b64 s[4:5], -1
                                        ; implicit-def: $sgpr10
	s_and_saveexec_b64 s[8:9], s[12:13]
; %bb.3966:
	s_mov_b32 s10, 0x7f800001
	s_xor_b64 s[4:5], exec, -1
; %bb.3967:
	s_or_b64 exec, exec, s[8:9]
	s_and_b64 s[4:5], s[4:5], exec
	s_or_saveexec_b64 s[6:7], s[6:7]
	v_mov_b32_e32 v9, s10
	s_xor_b64 exec, exec, s[6:7]
	s_cbranch_execz .LBB54_1918
.LBB54_3968:
	v_mov_b32_e32 v9, 0
	v_cmp_ne_u16_sdwa s[8:9], v11, v9 src0_sel:BYTE_3 src1_sel:DWORD
	s_andn2_b64 s[4:5], s[4:5], exec
	s_and_b64 s[8:9], s[8:9], exec
	s_or_b64 s[4:5], s[4:5], s[8:9]
	s_or_b64 exec, exec, s[6:7]
	s_and_saveexec_b64 s[6:7], s[4:5]
	s_cbranch_execnz .LBB54_1919
	s_branch .LBB54_1920
.LBB54_3969:
	s_movk_i32 s4, 0x80
	v_cmp_eq_u16_sdwa s[12:13], v4, s4 src0_sel:BYTE_0 src1_sel:DWORD
	s_mov_b64 s[4:5], -1
                                        ; implicit-def: $sgpr10
	s_and_saveexec_b64 s[8:9], s[12:13]
; %bb.3970:
	s_mov_b32 s10, 0x7f800001
	s_xor_b64 s[4:5], exec, -1
; %bb.3971:
	s_or_b64 exec, exec, s[8:9]
	s_and_b64 s[4:5], s[4:5], exec
	s_or_saveexec_b64 s[6:7], s[6:7]
	v_mov_b32_e32 v8, s10
	s_xor_b64 exec, exec, s[6:7]
	s_cbranch_execz .LBB54_1922
.LBB54_3972:
	v_mov_b32_e32 v8, 0
	v_cmp_ne_u16_sdwa s[8:9], v4, v8 src0_sel:BYTE_0 src1_sel:DWORD
	s_andn2_b64 s[4:5], s[4:5], exec
	s_and_b64 s[8:9], s[8:9], exec
	s_or_b64 s[4:5], s[4:5], s[8:9]
	s_or_b64 exec, exec, s[6:7]
	s_and_saveexec_b64 s[6:7], s[4:5]
	s_cbranch_execnz .LBB54_1923
	s_branch .LBB54_1924
.LBB54_3973:
	s_movk_i32 s4, 0x80
	v_cmp_eq_u16_sdwa s[12:13], v0, s4 src0_sel:BYTE_0 src1_sel:DWORD
	s_mov_b64 s[4:5], -1
                                        ; implicit-def: $sgpr10
	s_and_saveexec_b64 s[8:9], s[12:13]
; %bb.3974:
	s_mov_b32 s10, 0x7f800001
	s_xor_b64 s[4:5], exec, -1
; %bb.3975:
	s_or_b64 exec, exec, s[8:9]
	s_and_b64 s[4:5], s[4:5], exec
	s_or_saveexec_b64 s[6:7], s[6:7]
	v_mov_b32_e32 v9, s10
	s_xor_b64 exec, exec, s[6:7]
	s_cbranch_execz .LBB54_1926
.LBB54_3976:
	v_mov_b32_e32 v9, 0
	v_cmp_ne_u16_sdwa s[8:9], v0, v9 src0_sel:BYTE_0 src1_sel:DWORD
	s_andn2_b64 s[4:5], s[4:5], exec
	s_and_b64 s[8:9], s[8:9], exec
	s_or_b64 s[4:5], s[4:5], s[8:9]
	s_or_b64 exec, exec, s[6:7]
	s_and_saveexec_b64 s[6:7], s[4:5]
	s_cbranch_execnz .LBB54_1927
	s_branch .LBB54_1928
.LBB54_3977:
	s_movk_i32 s4, 0x80
	v_cmp_eq_u16_sdwa s[12:13], v9, s4 src0_sel:BYTE_0 src1_sel:DWORD
	s_mov_b64 s[4:5], -1
                                        ; implicit-def: $sgpr10
	s_and_saveexec_b64 s[8:9], s[12:13]
; %bb.3978:
	s_mov_b32 s10, 0x7f800001
	s_xor_b64 s[4:5], exec, -1
; %bb.3979:
	s_or_b64 exec, exec, s[8:9]
	s_and_b64 s[4:5], s[4:5], exec
	s_or_saveexec_b64 s[6:7], s[6:7]
	v_mov_b32_e32 v8, s10
	s_xor_b64 exec, exec, s[6:7]
	s_cbranch_execz .LBB54_1930
.LBB54_3980:
	v_mov_b32_e32 v8, 0
	v_cmp_ne_u16_sdwa s[8:9], v9, v8 src0_sel:BYTE_0 src1_sel:DWORD
	s_andn2_b64 s[4:5], s[4:5], exec
	s_and_b64 s[8:9], s[8:9], exec
	s_or_b64 s[4:5], s[4:5], s[8:9]
	s_or_b64 exec, exec, s[6:7]
	s_and_saveexec_b64 s[6:7], s[4:5]
	s_cbranch_execnz .LBB54_1931
	s_branch .LBB54_1932
.LBB54_3981:
	s_movk_i32 s4, 0x80
	v_cmp_eq_u16_sdwa s[12:13], v9, s4 src0_sel:BYTE_0 src1_sel:DWORD
	s_mov_b64 s[4:5], -1
                                        ; implicit-def: $sgpr10
	s_and_saveexec_b64 s[8:9], s[12:13]
; %bb.3982:
	s_mov_b32 s10, 0x7f800001
	s_xor_b64 s[4:5], exec, -1
; %bb.3983:
	s_or_b64 exec, exec, s[8:9]
	s_and_b64 s[4:5], s[4:5], exec
	s_or_saveexec_b64 s[6:7], s[6:7]
	v_mov_b32_e32 v10, s10
	s_xor_b64 exec, exec, s[6:7]
	s_cbranch_execz .LBB54_1934
.LBB54_3984:
	v_mov_b32_e32 v10, 0
	v_cmp_ne_u16_sdwa s[8:9], v9, v10 src0_sel:BYTE_0 src1_sel:DWORD
	s_andn2_b64 s[4:5], s[4:5], exec
	s_and_b64 s[8:9], s[8:9], exec
	s_or_b64 s[4:5], s[4:5], s[8:9]
	s_or_b64 exec, exec, s[6:7]
	s_and_saveexec_b64 s[6:7], s[4:5]
	s_cbranch_execnz .LBB54_1935
	s_branch .LBB54_1936
.LBB54_3985:
	s_movk_i32 s4, 0x80
	v_cmp_eq_u16_e32 vcc, s4, v9
	s_mov_b64 s[4:5], -1
                                        ; implicit-def: $sgpr10
	s_and_saveexec_b64 s[8:9], vcc
; %bb.3986:
	s_mov_b32 s10, 0x7f800001
	s_xor_b64 s[4:5], exec, -1
; %bb.3987:
	s_or_b64 exec, exec, s[8:9]
	s_and_b64 s[4:5], s[4:5], exec
                                        ; implicit-def: $vgpr9
	s_or_saveexec_b64 s[6:7], s[6:7]
	v_mov_b32_e32 v8, s10
	s_xor_b64 exec, exec, s[6:7]
	s_cbranch_execz .LBB54_1938
.LBB54_3988:
	v_cmp_ne_u16_e32 vcc, 0, v9
	s_andn2_b64 s[4:5], s[4:5], exec
	s_and_b64 s[8:9], vcc, exec
	v_mov_b32_e32 v8, 0
	s_or_b64 s[4:5], s[4:5], s[8:9]
	s_or_b64 exec, exec, s[6:7]
	s_and_saveexec_b64 s[6:7], s[4:5]
	s_cbranch_execnz .LBB54_1939
	s_branch .LBB54_1940
.LBB54_3989:
	s_movk_i32 s4, 0x80
	v_cmp_eq_u16_e32 vcc, s4, v9
	s_mov_b64 s[4:5], -1
                                        ; implicit-def: $sgpr10
	s_and_saveexec_b64 s[8:9], vcc
; %bb.3990:
	s_mov_b32 s10, 0x7f800001
	s_xor_b64 s[4:5], exec, -1
; %bb.3991:
	s_or_b64 exec, exec, s[8:9]
	s_and_b64 s[4:5], s[4:5], exec
                                        ; implicit-def: $vgpr9
	s_or_saveexec_b64 s[6:7], s[6:7]
	v_mov_b32_e32 v10, s10
	s_xor_b64 exec, exec, s[6:7]
	s_cbranch_execz .LBB54_1942
.LBB54_3992:
	v_cmp_ne_u16_e32 vcc, 0, v9
	s_andn2_b64 s[4:5], s[4:5], exec
	s_and_b64 s[8:9], vcc, exec
	v_mov_b32_e32 v10, 0
	s_or_b64 s[4:5], s[4:5], s[8:9]
	s_or_b64 exec, exec, s[6:7]
	s_and_saveexec_b64 s[6:7], s[4:5]
	s_cbranch_execnz .LBB54_1943
	s_branch .LBB54_1944
.LBB54_3993:
	s_movk_i32 s4, 0x80
	v_cmp_eq_u16_sdwa s[12:13], v4, s4 src0_sel:BYTE_3 src1_sel:DWORD
	s_mov_b64 s[4:5], -1
                                        ; implicit-def: $sgpr10
	s_and_saveexec_b64 s[8:9], s[12:13]
; %bb.3994:
	s_mov_b32 s10, 0x7f800001
	s_xor_b64 s[4:5], exec, -1
; %bb.3995:
	s_or_b64 exec, exec, s[8:9]
	s_and_b64 s[4:5], s[4:5], exec
	s_or_saveexec_b64 s[6:7], s[6:7]
	v_mov_b32_e32 v8, s10
	s_xor_b64 exec, exec, s[6:7]
	s_cbranch_execz .LBB54_1946
.LBB54_3996:
	v_mov_b32_e32 v8, 0
	v_cmp_ne_u16_sdwa s[8:9], v4, v8 src0_sel:BYTE_3 src1_sel:DWORD
	s_andn2_b64 s[4:5], s[4:5], exec
	s_and_b64 s[8:9], s[8:9], exec
	s_or_b64 s[4:5], s[4:5], s[8:9]
	s_or_b64 exec, exec, s[6:7]
	s_and_saveexec_b64 s[6:7], s[4:5]
	s_cbranch_execnz .LBB54_1947
	s_branch .LBB54_1948
.LBB54_3997:
	s_movk_i32 s4, 0x80
	v_cmp_eq_u16_sdwa s[12:13], v0, s4 src0_sel:BYTE_3 src1_sel:DWORD
	s_mov_b64 s[4:5], -1
                                        ; implicit-def: $sgpr10
	s_and_saveexec_b64 s[8:9], s[12:13]
; %bb.3998:
	s_mov_b32 s10, 0x7f800001
	s_xor_b64 s[4:5], exec, -1
; %bb.3999:
	s_or_b64 exec, exec, s[8:9]
	s_and_b64 s[4:5], s[4:5], exec
	s_or_saveexec_b64 s[6:7], s[6:7]
	v_mov_b32_e32 v4, s10
	s_xor_b64 exec, exec, s[6:7]
	s_cbranch_execz .LBB54_1950
.LBB54_4000:
	v_mov_b32_e32 v4, 0
	v_cmp_ne_u16_sdwa s[8:9], v0, v4 src0_sel:BYTE_3 src1_sel:DWORD
	s_andn2_b64 s[4:5], s[4:5], exec
	s_and_b64 s[8:9], s[8:9], exec
	s_or_b64 s[4:5], s[4:5], s[8:9]
	s_or_b64 exec, exec, s[6:7]
	s_and_saveexec_b64 s[6:7], s[4:5]
	s_cbranch_execnz .LBB54_1951
	s_branch .LBB54_1952
.LBB54_4001:
	s_movk_i32 s4, 0x80
	v_cmp_eq_u16_sdwa s[12:13], v5, s4 src0_sel:BYTE_0 src1_sel:DWORD
	s_mov_b64 s[4:5], -1
                                        ; implicit-def: $sgpr10
	s_and_saveexec_b64 s[8:9], s[12:13]
; %bb.4002:
	s_mov_b32 s10, 0x7f800001
	s_xor_b64 s[4:5], exec, -1
; %bb.4003:
	s_or_b64 exec, exec, s[8:9]
	s_and_b64 s[4:5], s[4:5], exec
	s_or_saveexec_b64 s[6:7], s[6:7]
	v_mov_b32_e32 v0, s10
	s_xor_b64 exec, exec, s[6:7]
	s_cbranch_execz .LBB54_1954
.LBB54_4004:
	v_mov_b32_e32 v0, 0
	v_cmp_ne_u16_sdwa s[8:9], v5, v0 src0_sel:BYTE_0 src1_sel:DWORD
	s_andn2_b64 s[4:5], s[4:5], exec
	s_and_b64 s[8:9], s[8:9], exec
	s_or_b64 s[4:5], s[4:5], s[8:9]
	s_or_b64 exec, exec, s[6:7]
	s_and_saveexec_b64 s[6:7], s[4:5]
	s_cbranch_execnz .LBB54_1955
	s_branch .LBB54_1956
.LBB54_4005:
	s_movk_i32 s4, 0x80
	v_cmp_eq_u16_sdwa s[12:13], v1, s4 src0_sel:BYTE_0 src1_sel:DWORD
	s_mov_b64 s[4:5], -1
                                        ; implicit-def: $sgpr10
	s_and_saveexec_b64 s[8:9], s[12:13]
; %bb.4006:
	s_mov_b32 s10, 0x7f800001
	s_xor_b64 s[4:5], exec, -1
; %bb.4007:
	s_or_b64 exec, exec, s[8:9]
	s_and_b64 s[4:5], s[4:5], exec
	s_or_saveexec_b64 s[6:7], s[6:7]
	v_mov_b32_e32 v4, s10
	s_xor_b64 exec, exec, s[6:7]
	s_cbranch_execz .LBB54_1958
.LBB54_4008:
	v_mov_b32_e32 v4, 0
	v_cmp_ne_u16_sdwa s[8:9], v1, v4 src0_sel:BYTE_0 src1_sel:DWORD
	s_andn2_b64 s[4:5], s[4:5], exec
	s_and_b64 s[8:9], s[8:9], exec
	s_or_b64 s[4:5], s[4:5], s[8:9]
	s_or_b64 exec, exec, s[6:7]
	s_and_saveexec_b64 s[6:7], s[4:5]
	s_cbranch_execnz .LBB54_1959
	s_branch .LBB54_1960
.LBB54_4009:
	s_movk_i32 s4, 0x80
	v_cmp_eq_u16_sdwa s[12:13], v4, s4 src0_sel:BYTE_0 src1_sel:DWORD
	s_mov_b64 s[4:5], -1
                                        ; implicit-def: $sgpr10
	s_and_saveexec_b64 s[8:9], s[12:13]
; %bb.4010:
	s_mov_b32 s10, 0x7f800001
	s_xor_b64 s[4:5], exec, -1
; %bb.4011:
	s_or_b64 exec, exec, s[8:9]
	s_and_b64 s[4:5], s[4:5], exec
	s_or_saveexec_b64 s[6:7], s[6:7]
	v_mov_b32_e32 v0, s10
	s_xor_b64 exec, exec, s[6:7]
	s_cbranch_execz .LBB54_1962
.LBB54_4012:
	v_mov_b32_e32 v0, 0
	v_cmp_ne_u16_sdwa s[8:9], v4, v0 src0_sel:BYTE_0 src1_sel:DWORD
	s_andn2_b64 s[4:5], s[4:5], exec
	s_and_b64 s[8:9], s[8:9], exec
	s_or_b64 s[4:5], s[4:5], s[8:9]
	s_or_b64 exec, exec, s[6:7]
	s_and_saveexec_b64 s[6:7], s[4:5]
	s_cbranch_execnz .LBB54_1963
	s_branch .LBB54_1964
.LBB54_4013:
	s_movk_i32 s4, 0x80
	v_cmp_eq_u16_sdwa s[12:13], v4, s4 src0_sel:BYTE_0 src1_sel:DWORD
	s_mov_b64 s[4:5], -1
                                        ; implicit-def: $sgpr10
	s_and_saveexec_b64 s[8:9], s[12:13]
; %bb.4014:
	s_mov_b32 s10, 0x7f800001
	s_xor_b64 s[4:5], exec, -1
; %bb.4015:
	s_or_b64 exec, exec, s[8:9]
	s_and_b64 s[4:5], s[4:5], exec
	s_or_saveexec_b64 s[6:7], s[6:7]
	v_mov_b32_e32 v8, s10
	s_xor_b64 exec, exec, s[6:7]
	s_cbranch_execz .LBB54_1966
.LBB54_4016:
	v_mov_b32_e32 v8, 0
	v_cmp_ne_u16_sdwa s[8:9], v4, v8 src0_sel:BYTE_0 src1_sel:DWORD
	s_andn2_b64 s[4:5], s[4:5], exec
	s_and_b64 s[8:9], s[8:9], exec
	s_or_b64 s[4:5], s[4:5], s[8:9]
	s_or_b64 exec, exec, s[6:7]
	s_and_saveexec_b64 s[6:7], s[4:5]
	s_cbranch_execnz .LBB54_1967
	s_branch .LBB54_1968
.LBB54_4017:
	s_movk_i32 s4, 0x80
	v_cmp_eq_u16_e32 vcc, s4, v4
	s_mov_b64 s[4:5], -1
                                        ; implicit-def: $sgpr10
	s_and_saveexec_b64 s[8:9], vcc
; %bb.4018:
	s_mov_b32 s10, 0x7f800001
	s_xor_b64 s[4:5], exec, -1
; %bb.4019:
	s_or_b64 exec, exec, s[8:9]
	s_and_b64 s[4:5], s[4:5], exec
                                        ; implicit-def: $vgpr4
	s_or_saveexec_b64 s[6:7], s[6:7]
	v_mov_b32_e32 v0, s10
	s_xor_b64 exec, exec, s[6:7]
	s_cbranch_execz .LBB54_1970
.LBB54_4020:
	v_cmp_ne_u16_e32 vcc, 0, v4
	s_andn2_b64 s[4:5], s[4:5], exec
	s_and_b64 s[8:9], vcc, exec
	v_mov_b32_e32 v0, 0
	s_or_b64 s[4:5], s[4:5], s[8:9]
	s_or_b64 exec, exec, s[6:7]
	s_and_saveexec_b64 s[6:7], s[4:5]
	s_cbranch_execnz .LBB54_1971
	s_branch .LBB54_1972
.LBB54_4021:
	s_movk_i32 s4, 0x80
	v_cmp_eq_u16_e32 vcc, s4, v4
	s_mov_b64 s[4:5], -1
                                        ; implicit-def: $sgpr10
	s_and_saveexec_b64 s[8:9], vcc
; %bb.4022:
	s_mov_b32 s10, 0x7f800001
	s_xor_b64 s[4:5], exec, -1
; %bb.4023:
	s_or_b64 exec, exec, s[8:9]
	s_and_b64 s[4:5], s[4:5], exec
                                        ; implicit-def: $vgpr4
	s_or_saveexec_b64 s[6:7], s[6:7]
	v_mov_b32_e32 v8, s10
	s_xor_b64 exec, exec, s[6:7]
	s_cbranch_execz .LBB54_1974
.LBB54_4024:
	v_cmp_ne_u16_e32 vcc, 0, v4
	s_andn2_b64 s[4:5], s[4:5], exec
	s_and_b64 s[8:9], vcc, exec
	v_mov_b32_e32 v8, 0
	s_or_b64 s[4:5], s[4:5], s[8:9]
	s_or_b64 exec, exec, s[6:7]
	s_and_saveexec_b64 s[6:7], s[4:5]
	s_cbranch_execnz .LBB54_1975
	s_branch .LBB54_1976
.LBB54_4025:
	s_movk_i32 s4, 0x80
	v_cmp_eq_u16_sdwa s[12:13], v5, s4 src0_sel:BYTE_3 src1_sel:DWORD
	s_mov_b64 s[4:5], -1
                                        ; implicit-def: $sgpr10
	s_and_saveexec_b64 s[8:9], s[12:13]
; %bb.4026:
	s_mov_b32 s10, 0x7f800001
	s_xor_b64 s[4:5], exec, -1
; %bb.4027:
	s_or_b64 exec, exec, s[8:9]
	s_and_b64 s[4:5], s[4:5], exec
	s_or_saveexec_b64 s[6:7], s[6:7]
	v_mov_b32_e32 v0, s10
	s_xor_b64 exec, exec, s[6:7]
	s_cbranch_execz .LBB54_1978
.LBB54_4028:
	v_mov_b32_e32 v0, 0
	v_cmp_ne_u16_sdwa s[8:9], v5, v0 src0_sel:BYTE_3 src1_sel:DWORD
	s_andn2_b64 s[4:5], s[4:5], exec
	s_and_b64 s[8:9], s[8:9], exec
	s_or_b64 s[4:5], s[4:5], s[8:9]
	s_or_b64 exec, exec, s[6:7]
	s_and_saveexec_b64 s[6:7], s[4:5]
	s_cbranch_execnz .LBB54_1979
	s_branch .LBB54_1980
.LBB54_4029:
	s_movk_i32 s4, 0x80
	v_cmp_eq_u16_sdwa s[12:13], v1, s4 src0_sel:BYTE_3 src1_sel:DWORD
	s_mov_b64 s[4:5], -1
                                        ; implicit-def: $sgpr10
	s_and_saveexec_b64 s[8:9], s[12:13]
; %bb.4030:
	s_mov_b32 s10, 0x7f800001
	s_xor_b64 s[4:5], exec, -1
; %bb.4031:
	s_or_b64 exec, exec, s[8:9]
	s_and_b64 s[4:5], s[4:5], exec
	s_or_saveexec_b64 s[6:7], s[6:7]
	v_mov_b32_e32 v4, s10
	s_xor_b64 exec, exec, s[6:7]
	s_cbranch_execz .LBB54_1982
.LBB54_4032:
	v_mov_b32_e32 v4, 0
	v_cmp_ne_u16_sdwa s[8:9], v1, v4 src0_sel:BYTE_3 src1_sel:DWORD
	s_andn2_b64 s[4:5], s[4:5], exec
	s_and_b64 s[8:9], s[8:9], exec
	s_or_b64 s[4:5], s[4:5], s[8:9]
	s_or_b64 exec, exec, s[6:7]
	s_and_saveexec_b64 s[6:7], s[4:5]
	s_cbranch_execnz .LBB54_1983
	s_branch .LBB54_1984
.LBB54_4033:
	s_movk_i32 s4, 0x80
	v_cmp_eq_u16_sdwa s[12:13], v6, s4 src0_sel:BYTE_0 src1_sel:DWORD
	s_mov_b64 s[4:5], -1
                                        ; implicit-def: $sgpr10
	s_and_saveexec_b64 s[8:9], s[12:13]
; %bb.4034:
	s_mov_b32 s10, 0x7f800001
	s_xor_b64 s[4:5], exec, -1
; %bb.4035:
	s_or_b64 exec, exec, s[8:9]
	s_and_b64 s[4:5], s[4:5], exec
	s_or_saveexec_b64 s[6:7], s[6:7]
	v_mov_b32_e32 v0, s10
	s_xor_b64 exec, exec, s[6:7]
	s_cbranch_execz .LBB54_1986
.LBB54_4036:
	v_mov_b32_e32 v0, 0
	v_cmp_ne_u16_sdwa s[8:9], v6, v0 src0_sel:BYTE_0 src1_sel:DWORD
	s_andn2_b64 s[4:5], s[4:5], exec
	s_and_b64 s[8:9], s[8:9], exec
	s_or_b64 s[4:5], s[4:5], s[8:9]
	s_or_b64 exec, exec, s[6:7]
	s_and_saveexec_b64 s[6:7], s[4:5]
	s_cbranch_execnz .LBB54_1987
	s_branch .LBB54_1988
.LBB54_4037:
	s_movk_i32 s4, 0x80
	v_cmp_eq_u16_sdwa s[12:13], v2, s4 src0_sel:BYTE_0 src1_sel:DWORD
	s_mov_b64 s[4:5], -1
                                        ; implicit-def: $sgpr10
	s_and_saveexec_b64 s[8:9], s[12:13]
; %bb.4038:
	s_mov_b32 s10, 0x7f800001
	s_xor_b64 s[4:5], exec, -1
; %bb.4039:
	s_or_b64 exec, exec, s[8:9]
	s_and_b64 s[4:5], s[4:5], exec
	s_or_saveexec_b64 s[6:7], s[6:7]
	v_mov_b32_e32 v1, s10
	s_xor_b64 exec, exec, s[6:7]
	s_cbranch_execz .LBB54_1990
.LBB54_4040:
	v_mov_b32_e32 v1, 0
	v_cmp_ne_u16_sdwa s[8:9], v2, v1 src0_sel:BYTE_0 src1_sel:DWORD
	s_andn2_b64 s[4:5], s[4:5], exec
	s_and_b64 s[8:9], s[8:9], exec
	s_or_b64 s[4:5], s[4:5], s[8:9]
	s_or_b64 exec, exec, s[6:7]
	s_and_saveexec_b64 s[6:7], s[4:5]
	s_cbranch_execnz .LBB54_1991
	s_branch .LBB54_1992
.LBB54_4041:
	s_movk_i32 s4, 0x80
	v_cmp_eq_u16_sdwa s[12:13], v1, s4 src0_sel:BYTE_0 src1_sel:DWORD
	s_mov_b64 s[4:5], -1
                                        ; implicit-def: $sgpr10
	s_and_saveexec_b64 s[8:9], s[12:13]
; %bb.4042:
	s_mov_b32 s10, 0x7f800001
	s_xor_b64 s[4:5], exec, -1
; %bb.4043:
	s_or_b64 exec, exec, s[8:9]
	s_and_b64 s[4:5], s[4:5], exec
	s_or_saveexec_b64 s[6:7], s[6:7]
	v_mov_b32_e32 v0, s10
	s_xor_b64 exec, exec, s[6:7]
	s_cbranch_execz .LBB54_1994
.LBB54_4044:
	v_mov_b32_e32 v0, 0
	v_cmp_ne_u16_sdwa s[8:9], v1, v0 src0_sel:BYTE_0 src1_sel:DWORD
	s_andn2_b64 s[4:5], s[4:5], exec
	s_and_b64 s[8:9], s[8:9], exec
	s_or_b64 s[4:5], s[4:5], s[8:9]
	s_or_b64 exec, exec, s[6:7]
	s_and_saveexec_b64 s[6:7], s[4:5]
	s_cbranch_execnz .LBB54_1995
	s_branch .LBB54_1996
.LBB54_4045:
	s_movk_i32 s4, 0x80
	v_cmp_eq_u16_sdwa s[12:13], v1, s4 src0_sel:BYTE_0 src1_sel:DWORD
	s_mov_b64 s[4:5], -1
                                        ; implicit-def: $sgpr10
	s_and_saveexec_b64 s[8:9], s[12:13]
; %bb.4046:
	s_mov_b32 s10, 0x7f800001
	s_xor_b64 s[4:5], exec, -1
; %bb.4047:
	s_or_b64 exec, exec, s[8:9]
	s_and_b64 s[4:5], s[4:5], exec
	s_or_saveexec_b64 s[6:7], s[6:7]
	v_mov_b32_e32 v4, s10
	s_xor_b64 exec, exec, s[6:7]
	s_cbranch_execz .LBB54_1998
.LBB54_4048:
	v_mov_b32_e32 v4, 0
	v_cmp_ne_u16_sdwa s[8:9], v1, v4 src0_sel:BYTE_0 src1_sel:DWORD
	s_andn2_b64 s[4:5], s[4:5], exec
	s_and_b64 s[8:9], s[8:9], exec
	s_or_b64 s[4:5], s[4:5], s[8:9]
	s_or_b64 exec, exec, s[6:7]
	s_and_saveexec_b64 s[6:7], s[4:5]
	s_cbranch_execnz .LBB54_1999
	s_branch .LBB54_2000
.LBB54_4049:
	s_movk_i32 s4, 0x80
	v_cmp_eq_u16_e32 vcc, s4, v1
	s_mov_b64 s[4:5], -1
                                        ; implicit-def: $sgpr10
	s_and_saveexec_b64 s[8:9], vcc
; %bb.4050:
	s_mov_b32 s10, 0x7f800001
	s_xor_b64 s[4:5], exec, -1
; %bb.4051:
	s_or_b64 exec, exec, s[8:9]
	s_and_b64 s[4:5], s[4:5], exec
                                        ; implicit-def: $vgpr1
	s_or_saveexec_b64 s[6:7], s[6:7]
	v_mov_b32_e32 v0, s10
	s_xor_b64 exec, exec, s[6:7]
	s_cbranch_execz .LBB54_2002
.LBB54_4052:
	v_cmp_ne_u16_e32 vcc, 0, v1
	s_andn2_b64 s[4:5], s[4:5], exec
	s_and_b64 s[8:9], vcc, exec
	v_mov_b32_e32 v0, 0
	s_or_b64 s[4:5], s[4:5], s[8:9]
	s_or_b64 exec, exec, s[6:7]
	s_and_saveexec_b64 s[6:7], s[4:5]
	s_cbranch_execnz .LBB54_2003
	s_branch .LBB54_2004
.LBB54_4053:
	s_movk_i32 s4, 0x80
	v_cmp_eq_u16_e32 vcc, s4, v1
	s_mov_b64 s[4:5], -1
                                        ; implicit-def: $sgpr10
	s_and_saveexec_b64 s[8:9], vcc
; %bb.4054:
	s_mov_b32 s10, 0x7f800001
	s_xor_b64 s[4:5], exec, -1
; %bb.4055:
	s_or_b64 exec, exec, s[8:9]
	s_and_b64 s[4:5], s[4:5], exec
                                        ; implicit-def: $vgpr1
	s_or_saveexec_b64 s[6:7], s[6:7]
	v_mov_b32_e32 v4, s10
	s_xor_b64 exec, exec, s[6:7]
	s_cbranch_execz .LBB54_2006
.LBB54_4056:
	v_cmp_ne_u16_e32 vcc, 0, v1
	s_andn2_b64 s[4:5], s[4:5], exec
	s_and_b64 s[8:9], vcc, exec
	v_mov_b32_e32 v4, 0
	s_or_b64 s[4:5], s[4:5], s[8:9]
	s_or_b64 exec, exec, s[6:7]
	s_and_saveexec_b64 s[6:7], s[4:5]
	s_cbranch_execnz .LBB54_2007
	s_branch .LBB54_2008
.LBB54_4057:
	s_movk_i32 s4, 0x80
	v_cmp_eq_u16_sdwa s[12:13], v6, s4 src0_sel:BYTE_3 src1_sel:DWORD
	s_mov_b64 s[4:5], -1
                                        ; implicit-def: $sgpr10
	s_and_saveexec_b64 s[8:9], s[12:13]
; %bb.4058:
	s_mov_b32 s10, 0x7f800001
	s_xor_b64 s[4:5], exec, -1
; %bb.4059:
	s_or_b64 exec, exec, s[8:9]
	s_and_b64 s[4:5], s[4:5], exec
	s_or_saveexec_b64 s[6:7], s[6:7]
	v_mov_b32_e32 v0, s10
	s_xor_b64 exec, exec, s[6:7]
	s_cbranch_execz .LBB54_2010
.LBB54_4060:
	v_mov_b32_e32 v0, 0
	v_cmp_ne_u16_sdwa s[8:9], v6, v0 src0_sel:BYTE_3 src1_sel:DWORD
	s_andn2_b64 s[4:5], s[4:5], exec
	s_and_b64 s[8:9], s[8:9], exec
	s_or_b64 s[4:5], s[4:5], s[8:9]
	s_or_b64 exec, exec, s[6:7]
	s_and_saveexec_b64 s[6:7], s[4:5]
	s_cbranch_execnz .LBB54_2011
	s_branch .LBB54_2012
.LBB54_4061:
	s_movk_i32 s4, 0x80
	v_cmp_eq_u16_sdwa s[12:13], v2, s4 src0_sel:BYTE_3 src1_sel:DWORD
	s_mov_b64 s[4:5], -1
                                        ; implicit-def: $sgpr10
	s_and_saveexec_b64 s[8:9], s[12:13]
; %bb.4062:
	s_mov_b32 s10, 0x7f800001
	s_xor_b64 s[4:5], exec, -1
; %bb.4063:
	s_or_b64 exec, exec, s[8:9]
	s_and_b64 s[4:5], s[4:5], exec
	s_or_saveexec_b64 s[6:7], s[6:7]
	v_mov_b32_e32 v1, s10
	s_xor_b64 exec, exec, s[6:7]
	s_cbranch_execz .LBB54_2014
.LBB54_4064:
	v_mov_b32_e32 v1, 0
	v_cmp_ne_u16_sdwa s[8:9], v2, v1 src0_sel:BYTE_3 src1_sel:DWORD
	s_andn2_b64 s[4:5], s[4:5], exec
	s_and_b64 s[8:9], s[8:9], exec
	s_or_b64 s[4:5], s[4:5], s[8:9]
	s_or_b64 exec, exec, s[6:7]
	s_and_saveexec_b64 s[6:7], s[4:5]
	s_cbranch_execnz .LBB54_2015
	s_branch .LBB54_2016
.LBB54_4065:
	s_movk_i32 s4, 0x80
	v_cmp_eq_u16_sdwa s[12:13], v7, s4 src0_sel:BYTE_0 src1_sel:DWORD
	s_mov_b64 s[4:5], -1
                                        ; implicit-def: $sgpr10
	s_and_saveexec_b64 s[8:9], s[12:13]
; %bb.4066:
	s_mov_b32 s10, 0x7f800001
	s_xor_b64 s[4:5], exec, -1
; %bb.4067:
	s_or_b64 exec, exec, s[8:9]
	s_and_b64 s[4:5], s[4:5], exec
	s_or_saveexec_b64 s[6:7], s[6:7]
	v_mov_b32_e32 v0, s10
	s_xor_b64 exec, exec, s[6:7]
	s_cbranch_execz .LBB54_2018
.LBB54_4068:
	v_mov_b32_e32 v0, 0
	v_cmp_ne_u16_sdwa s[8:9], v7, v0 src0_sel:BYTE_0 src1_sel:DWORD
	s_andn2_b64 s[4:5], s[4:5], exec
	s_and_b64 s[8:9], s[8:9], exec
	s_or_b64 s[4:5], s[4:5], s[8:9]
	s_or_b64 exec, exec, s[6:7]
	s_and_saveexec_b64 s[6:7], s[4:5]
	s_cbranch_execnz .LBB54_2019
	s_branch .LBB54_2020
.LBB54_4069:
	s_movk_i32 s4, 0x80
	v_cmp_eq_u16_sdwa s[12:13], v3, s4 src0_sel:BYTE_0 src1_sel:DWORD
	s_mov_b64 s[4:5], -1
                                        ; implicit-def: $sgpr10
	s_and_saveexec_b64 s[8:9], s[12:13]
; %bb.4070:
	s_mov_b32 s10, 0x7f800001
	s_xor_b64 s[4:5], exec, -1
; %bb.4071:
	s_or_b64 exec, exec, s[8:9]
	s_and_b64 s[4:5], s[4:5], exec
	s_or_saveexec_b64 s[6:7], s[6:7]
	v_mov_b32_e32 v1, s10
	s_xor_b64 exec, exec, s[6:7]
	s_cbranch_execz .LBB54_2022
.LBB54_4072:
	v_mov_b32_e32 v1, 0
	v_cmp_ne_u16_sdwa s[8:9], v3, v1 src0_sel:BYTE_0 src1_sel:DWORD
	s_andn2_b64 s[4:5], s[4:5], exec
	s_and_b64 s[8:9], s[8:9], exec
	s_or_b64 s[4:5], s[4:5], s[8:9]
	s_or_b64 exec, exec, s[6:7]
	s_and_saveexec_b64 s[6:7], s[4:5]
	s_cbranch_execnz .LBB54_2023
	s_branch .LBB54_2024
.LBB54_4073:
	s_movk_i32 s4, 0x80
	v_cmp_eq_u16_sdwa s[12:13], v1, s4 src0_sel:BYTE_0 src1_sel:DWORD
	s_mov_b64 s[4:5], -1
                                        ; implicit-def: $sgpr10
	s_and_saveexec_b64 s[8:9], s[12:13]
; %bb.4074:
	s_mov_b32 s10, 0x7f800001
	s_xor_b64 s[4:5], exec, -1
; %bb.4075:
	s_or_b64 exec, exec, s[8:9]
	s_and_b64 s[4:5], s[4:5], exec
	s_or_saveexec_b64 s[6:7], s[6:7]
	v_mov_b32_e32 v0, s10
	s_xor_b64 exec, exec, s[6:7]
	s_cbranch_execz .LBB54_2026
.LBB54_4076:
	v_mov_b32_e32 v0, 0
	v_cmp_ne_u16_sdwa s[8:9], v1, v0 src0_sel:BYTE_0 src1_sel:DWORD
	s_andn2_b64 s[4:5], s[4:5], exec
	s_and_b64 s[8:9], s[8:9], exec
	s_or_b64 s[4:5], s[4:5], s[8:9]
	s_or_b64 exec, exec, s[6:7]
	s_and_saveexec_b64 s[6:7], s[4:5]
	s_cbranch_execnz .LBB54_2027
	s_branch .LBB54_2028
.LBB54_4077:
	s_movk_i32 s4, 0x80
	v_cmp_eq_u16_sdwa s[12:13], v1, s4 src0_sel:BYTE_0 src1_sel:DWORD
	s_mov_b64 s[4:5], -1
                                        ; implicit-def: $sgpr10
	s_and_saveexec_b64 s[8:9], s[12:13]
; %bb.4078:
	s_mov_b32 s10, 0x7f800001
	s_xor_b64 s[4:5], exec, -1
; %bb.4079:
	s_or_b64 exec, exec, s[8:9]
	s_and_b64 s[4:5], s[4:5], exec
	s_or_saveexec_b64 s[6:7], s[6:7]
	v_mov_b32_e32 v2, s10
	s_xor_b64 exec, exec, s[6:7]
	s_cbranch_execz .LBB54_2030
.LBB54_4080:
	v_mov_b32_e32 v2, 0
	v_cmp_ne_u16_sdwa s[8:9], v1, v2 src0_sel:BYTE_0 src1_sel:DWORD
	s_andn2_b64 s[4:5], s[4:5], exec
	s_and_b64 s[8:9], s[8:9], exec
	s_or_b64 s[4:5], s[4:5], s[8:9]
	s_or_b64 exec, exec, s[6:7]
	s_and_saveexec_b64 s[6:7], s[4:5]
	s_cbranch_execnz .LBB54_2031
	s_branch .LBB54_2032
.LBB54_4081:
	s_movk_i32 s4, 0x80
	v_cmp_eq_u16_e32 vcc, s4, v1
	s_mov_b64 s[4:5], -1
                                        ; implicit-def: $sgpr10
	s_and_saveexec_b64 s[8:9], vcc
; %bb.4082:
	s_mov_b32 s10, 0x7f800001
	s_xor_b64 s[4:5], exec, -1
; %bb.4083:
	s_or_b64 exec, exec, s[8:9]
	s_and_b64 s[4:5], s[4:5], exec
                                        ; implicit-def: $vgpr1
	s_or_saveexec_b64 s[6:7], s[6:7]
	v_mov_b32_e32 v0, s10
	s_xor_b64 exec, exec, s[6:7]
	s_cbranch_execz .LBB54_2034
.LBB54_4084:
	v_cmp_ne_u16_e32 vcc, 0, v1
	s_andn2_b64 s[4:5], s[4:5], exec
	s_and_b64 s[8:9], vcc, exec
	v_mov_b32_e32 v0, 0
	s_or_b64 s[4:5], s[4:5], s[8:9]
	s_or_b64 exec, exec, s[6:7]
	s_and_saveexec_b64 s[6:7], s[4:5]
	s_cbranch_execnz .LBB54_2035
	s_branch .LBB54_2036
.LBB54_4085:
	s_movk_i32 s4, 0x80
	v_cmp_eq_u16_e32 vcc, s4, v1
	s_mov_b64 s[4:5], -1
                                        ; implicit-def: $sgpr10
	s_and_saveexec_b64 s[8:9], vcc
; %bb.4086:
	s_mov_b32 s10, 0x7f800001
	s_xor_b64 s[4:5], exec, -1
; %bb.4087:
	s_or_b64 exec, exec, s[8:9]
	s_and_b64 s[4:5], s[4:5], exec
                                        ; implicit-def: $vgpr1
	s_or_saveexec_b64 s[6:7], s[6:7]
	v_mov_b32_e32 v2, s10
	s_xor_b64 exec, exec, s[6:7]
	s_cbranch_execz .LBB54_2038
.LBB54_4088:
	v_cmp_ne_u16_e32 vcc, 0, v1
	s_andn2_b64 s[4:5], s[4:5], exec
	s_and_b64 s[8:9], vcc, exec
	v_mov_b32_e32 v2, 0
	s_or_b64 s[4:5], s[4:5], s[8:9]
	s_or_b64 exec, exec, s[6:7]
	s_and_saveexec_b64 s[6:7], s[4:5]
	s_cbranch_execnz .LBB54_2039
	s_branch .LBB54_2040
.LBB54_4089:
	s_movk_i32 s4, 0x80
	v_cmp_eq_u16_sdwa s[12:13], v7, s4 src0_sel:BYTE_3 src1_sel:DWORD
	s_mov_b64 s[4:5], -1
                                        ; implicit-def: $sgpr10
	s_and_saveexec_b64 s[8:9], s[12:13]
; %bb.4090:
	s_mov_b32 s10, 0x7f800001
	s_xor_b64 s[4:5], exec, -1
; %bb.4091:
	s_or_b64 exec, exec, s[8:9]
	s_and_b64 s[4:5], s[4:5], exec
	s_or_saveexec_b64 s[6:7], s[6:7]
	v_mov_b32_e32 v0, s10
	s_xor_b64 exec, exec, s[6:7]
	s_cbranch_execz .LBB54_2042
.LBB54_4092:
	v_mov_b32_e32 v0, 0
	v_cmp_ne_u16_sdwa s[8:9], v7, v0 src0_sel:BYTE_3 src1_sel:DWORD
	s_andn2_b64 s[4:5], s[4:5], exec
	s_and_b64 s[8:9], s[8:9], exec
	s_or_b64 s[4:5], s[4:5], s[8:9]
	s_or_b64 exec, exec, s[6:7]
	s_and_saveexec_b64 s[6:7], s[4:5]
	s_cbranch_execnz .LBB54_2043
	s_branch .LBB54_2044
.LBB54_4093:
	s_movk_i32 s4, 0x80
	v_cmp_eq_u16_sdwa s[12:13], v3, s4 src0_sel:BYTE_3 src1_sel:DWORD
	s_mov_b64 s[4:5], -1
                                        ; implicit-def: $sgpr10
	s_and_saveexec_b64 s[8:9], s[12:13]
; %bb.4094:
	s_mov_b32 s10, 0x7f800001
	s_xor_b64 s[4:5], exec, -1
; %bb.4095:
	s_or_b64 exec, exec, s[8:9]
	s_and_b64 s[4:5], s[4:5], exec
	s_or_saveexec_b64 s[6:7], s[6:7]
	v_mov_b32_e32 v1, s10
	s_xor_b64 exec, exec, s[6:7]
	s_cbranch_execz .LBB54_2046
.LBB54_4096:
	v_mov_b32_e32 v1, 0
	v_cmp_ne_u16_sdwa s[8:9], v3, v1 src0_sel:BYTE_3 src1_sel:DWORD
	s_andn2_b64 s[4:5], s[4:5], exec
	s_and_b64 s[8:9], s[8:9], exec
	s_or_b64 s[4:5], s[4:5], s[8:9]
	s_or_b64 exec, exec, s[6:7]
	s_and_saveexec_b64 s[6:7], s[4:5]
	s_cbranch_execnz .LBB54_2047
	s_branch .LBB54_2048
.Lfunc_end54:
	.size	_ZNK2ck6detail7applierIiJLi0ELi1ELi2ELi3ELi4ELi5ELi6ELi7EEEclIZNKS_11static_fordINS_8SequenceIJLi1ELi8EEEENS5_IJLi0ELi1EEEEEclIZZNKS_52BlockwiseGemmXdlops_pipeline_bpreshuffle_bdequant_v3ILNS_26BlockGemmPipelineSchedulerE0ELi256ENS_9f8_fnuz_tENS_7pk_i4_tESC_fNS_16TensorDescriptorINS_5TupleIJNS_5EmbedINSF_IJNS_17integral_constantIiLi8EEENSH_IiLi256EEENSH_IiLi16EEEEEENSF_IJSK_NSH_IiLi128EEENSH_IiLi1EEEEEELb0EEENS_3XorINSF_IJSJ_SI_EEELb1EEENS_11PassThroughISK_EENS_7UnMergeINSF_IJSI_SN_EEELb0EEENST_ISJ_EESU_NST_ISI_EENS_21Merge_v3_division_modINSF_IJSJ_SN_EEEEESU_EEENSF_IJNS5_IJLi0EEEENS5_IJLi2ELi1EEEENS5_IJLi3EEEENS5_IJLi5EEEENS5_IJLi4EEEENS5_IJLi6EEEENS5_IJLi7EEEENS5_IJLi9ELi8EEEENS5_IJLi10EEEEEEENSF_IJNS5_IJLi1ELi2ELi3EEEENS5_IJLi4ELi5EEEES19_NS5_IJLi7ELi8EEEENS5_IJLi9EEEES1C_NS5_IJLi11EEEENS5_IJLi12EEEENS5_IJLi13EEEEEEENS5_IJLi11ELi12ELi13EEEENSH_IlLl32768EEEEENSE_INSF_IJNSV_INSF_IJSI_SN_SN_NSH_IiLi32EEEEEELb0EEEEEENSF_IJS14_EEENSF_IJNS5_IJLi1ELi2ELi3ELi4EEEEEEES1U_NSH_IlLl256EEEEENSE_INSF_IJSP_SS_SU_SX_SY_SU_SZ_S12_SU_NS10_INSF_IJSI_SK_EEEEENSV_INSF_IJSI_NSH_IiLi2EEESK_EEELb0EEEEEENSF_IJS14_S15_S16_S17_S18_S19_S1A_S1B_S1C_NS5_IJLi11ELi13EEEES1J_EEENSF_IJS1E_S1F_S19_S1G_S1H_S1C_S1I_S1J_S1K_NS5_IJLi14EEEENS5_IJLi15ELi16ELi17EEEEEEENS5_IJLi15ELi16ELi17ELi14EEEES1N_EENSE_INSF_IJS1R_NS10_ISW_EES22_EEENSF_IJS14_NS5_IJLi1ELi3EEEENS5_IJLi2EEEEEEENSF_IJS1U_S17_NS5_IJLi6ELi7ELi8EEEEEEENS5_IJLi6ELi7ELi8ELi5EEEES1W_EELi16ELi32ELi256ELi256ELi128ELi16ELi16ELi8ELi8ELi32ELb0EE3RunILb1ELNS_10TailNumberE1ENSE_INSF_IJNSG_INSF_IJiiEEENSF_IJiSN_EEELb0EEENSV_IS2N_Lb0EEENST_IiEEEEENSF_IJS14_S2E_NS5_IJLi1EEEEEEENSF_IJNS5_IJLi1ELi2EEEENS5_IJLi3ELi4EEEES17_EEENS5_IJLi3ELi5ELi4EEEElEES1O_NS_35ThreadGroupTensorSliceTransfer_v4r1INS_15ThisThreadBlockILi256EEENS_16tensor_operation12element_wise11PassThroughES35_LNS_25InMemoryDataOperationEnumE0ENS5_IJLi8ELi256ELi16EEEENS5_IJLi8ELi32ELi1EEEENS5_IJLi1ELi0ELi2EEEESC_SC_RKS2Z_KS1O_S39_NS5_IJLi0ELi1ELi2EEEELi2ELi2ELi16ELi16ELi1ELi1ELb0ELb1ELi2EiEENS_13DynamicBufferILNS_16AddressSpaceEnumE1EKSC_lLb1ELNS_22AmdBufferCoherenceEnumE0EiEENSF_IJNS3F_ILS3G_2ESC_S1N_Lb1ELS3I_0EiEES3K_EEENSF_IJiiiEEENSE_INSF_IJNSG_INSF_IJiiiiEEENSF_IJiiiSN_EEELb0EEEEEES1T_S1V_S1U_lEENS_32ThreadwiseTensorSliceTransfer_v2ISD_SD_RKS3R_KS1X_NS5_IJLi8ELi1ELi1ELi32EEEENS5_IJLi1ELi2ELi0ELi3EEEELi3ELi32ELi0ELb1ELb0ELb0EEENS3F_ILS3G_1EKSD_lLb1ELS3I_0EiEENSF_IJNS_12StaticBufferILS3G_4ESD_Li256ELb1EEES42_EEES3N_NS_25StaticBufferTupleOfVectorILS3G_4EfLi64ELi4ELb1ELb0EEEEEvRKT1_RKT2_RT3_RKT4_RT5_RKT6_RKT7_RT8_RKT9_RT10_RKT11_RT12_iENKUlT_E1_clIS20_EEDaS51_EUlS51_E_EEvS51_EUlS51_E_EEvS51_, .Lfunc_end54-_ZNK2ck6detail7applierIiJLi0ELi1ELi2ELi3ELi4ELi5ELi6ELi7EEEclIZNKS_11static_fordINS_8SequenceIJLi1ELi8EEEENS5_IJLi0ELi1EEEEEclIZZNKS_52BlockwiseGemmXdlops_pipeline_bpreshuffle_bdequant_v3ILNS_26BlockGemmPipelineSchedulerE0ELi256ENS_9f8_fnuz_tENS_7pk_i4_tESC_fNS_16TensorDescriptorINS_5TupleIJNS_5EmbedINSF_IJNS_17integral_constantIiLi8EEENSH_IiLi256EEENSH_IiLi16EEEEEENSF_IJSK_NSH_IiLi128EEENSH_IiLi1EEEEEELb0EEENS_3XorINSF_IJSJ_SI_EEELb1EEENS_11PassThroughISK_EENS_7UnMergeINSF_IJSI_SN_EEELb0EEENST_ISJ_EESU_NST_ISI_EENS_21Merge_v3_division_modINSF_IJSJ_SN_EEEEESU_EEENSF_IJNS5_IJLi0EEEENS5_IJLi2ELi1EEEENS5_IJLi3EEEENS5_IJLi5EEEENS5_IJLi4EEEENS5_IJLi6EEEENS5_IJLi7EEEENS5_IJLi9ELi8EEEENS5_IJLi10EEEEEEENSF_IJNS5_IJLi1ELi2ELi3EEEENS5_IJLi4ELi5EEEES19_NS5_IJLi7ELi8EEEENS5_IJLi9EEEES1C_NS5_IJLi11EEEENS5_IJLi12EEEENS5_IJLi13EEEEEEENS5_IJLi11ELi12ELi13EEEENSH_IlLl32768EEEEENSE_INSF_IJNSV_INSF_IJSI_SN_SN_NSH_IiLi32EEEEEELb0EEEEEENSF_IJS14_EEENSF_IJNS5_IJLi1ELi2ELi3ELi4EEEEEEES1U_NSH_IlLl256EEEEENSE_INSF_IJSP_SS_SU_SX_SY_SU_SZ_S12_SU_NS10_INSF_IJSI_SK_EEEEENSV_INSF_IJSI_NSH_IiLi2EEESK_EEELb0EEEEEENSF_IJS14_S15_S16_S17_S18_S19_S1A_S1B_S1C_NS5_IJLi11ELi13EEEES1J_EEENSF_IJS1E_S1F_S19_S1G_S1H_S1C_S1I_S1J_S1K_NS5_IJLi14EEEENS5_IJLi15ELi16ELi17EEEEEEENS5_IJLi15ELi16ELi17ELi14EEEES1N_EENSE_INSF_IJS1R_NS10_ISW_EES22_EEENSF_IJS14_NS5_IJLi1ELi3EEEENS5_IJLi2EEEEEEENSF_IJS1U_S17_NS5_IJLi6ELi7ELi8EEEEEEENS5_IJLi6ELi7ELi8ELi5EEEES1W_EELi16ELi32ELi256ELi256ELi128ELi16ELi16ELi8ELi8ELi32ELb0EE3RunILb1ELNS_10TailNumberE1ENSE_INSF_IJNSG_INSF_IJiiEEENSF_IJiSN_EEELb0EEENSV_IS2N_Lb0EEENST_IiEEEEENSF_IJS14_S2E_NS5_IJLi1EEEEEEENSF_IJNS5_IJLi1ELi2EEEENS5_IJLi3ELi4EEEES17_EEENS5_IJLi3ELi5ELi4EEEElEES1O_NS_35ThreadGroupTensorSliceTransfer_v4r1INS_15ThisThreadBlockILi256EEENS_16tensor_operation12element_wise11PassThroughES35_LNS_25InMemoryDataOperationEnumE0ENS5_IJLi8ELi256ELi16EEEENS5_IJLi8ELi32ELi1EEEENS5_IJLi1ELi0ELi2EEEESC_SC_RKS2Z_KS1O_S39_NS5_IJLi0ELi1ELi2EEEELi2ELi2ELi16ELi16ELi1ELi1ELb0ELb1ELi2EiEENS_13DynamicBufferILNS_16AddressSpaceEnumE1EKSC_lLb1ELNS_22AmdBufferCoherenceEnumE0EiEENSF_IJNS3F_ILS3G_2ESC_S1N_Lb1ELS3I_0EiEES3K_EEENSF_IJiiiEEENSE_INSF_IJNSG_INSF_IJiiiiEEENSF_IJiiiSN_EEELb0EEEEEES1T_S1V_S1U_lEENS_32ThreadwiseTensorSliceTransfer_v2ISD_SD_RKS3R_KS1X_NS5_IJLi8ELi1ELi1ELi32EEEENS5_IJLi1ELi2ELi0ELi3EEEELi3ELi32ELi0ELb1ELb0ELb0EEENS3F_ILS3G_1EKSD_lLb1ELS3I_0EiEENSF_IJNS_12StaticBufferILS3G_4ESD_Li256ELb1EEES42_EEES3N_NS_25StaticBufferTupleOfVectorILS3G_4EfLi64ELi4ELb1ELb0EEEEEvRKT1_RKT2_RT3_RKT4_RT5_RKT6_RKT7_RT8_RKT9_RT10_RKT11_RT12_iENKUlT_E1_clIS20_EEDaS51_EUlS51_E_EEvS51_EUlS51_E_EEvS51_
                                        ; -- End function
	.section	.AMDGPU.csdata,"",@progbits
; Function info:
; codeLenInByte = 133608
; NumSgprs: 36
; NumVgprs: 26
; NumAgprs: 4
; TotalNumVgprs: 32
; ScratchSize: 0
; MemoryBound: 1
	.text
	.p2align	2                               ; -- Begin function _ZNK2ck6detail7applierIiJLi0ELi1ELi2ELi3ELi4ELi5ELi6ELi7EEEclIZNKS_11static_fordINS_8SequenceIJLi1ELi8EEEENS5_IJLi0ELi1EEEEEclIZZNKS_52BlockwiseGemmXdlops_pipeline_bpreshuffle_bdequant_v3ILNS_26BlockGemmPipelineSchedulerE0ELi256ENS_9f8_fnuz_tENS_7pk_i4_tESC_fNS_16TensorDescriptorINS_5TupleIJNS_5EmbedINSF_IJNS_17integral_constantIiLi8EEENSH_IiLi256EEENSH_IiLi16EEEEEENSF_IJSK_NSH_IiLi128EEENSH_IiLi1EEEEEELb0EEENS_3XorINSF_IJSJ_SI_EEELb1EEENS_11PassThroughISK_EENS_7UnMergeINSF_IJSI_SN_EEELb0EEENST_ISJ_EESU_NST_ISI_EENS_21Merge_v3_division_modINSF_IJSJ_SN_EEEEESU_EEENSF_IJNS5_IJLi0EEEENS5_IJLi2ELi1EEEENS5_IJLi3EEEENS5_IJLi5EEEENS5_IJLi4EEEENS5_IJLi6EEEENS5_IJLi7EEEENS5_IJLi9ELi8EEEENS5_IJLi10EEEEEEENSF_IJNS5_IJLi1ELi2ELi3EEEENS5_IJLi4ELi5EEEES19_NS5_IJLi7ELi8EEEENS5_IJLi9EEEES1C_NS5_IJLi11EEEENS5_IJLi12EEEENS5_IJLi13EEEEEEENS5_IJLi11ELi12ELi13EEEENSH_IlLl32768EEEEENSE_INSF_IJNSV_INSF_IJSI_SN_SN_NSH_IiLi32EEEEEELb0EEEEEENSF_IJS14_EEENSF_IJNS5_IJLi1ELi2ELi3ELi4EEEEEEES1U_NSH_IlLl256EEEEENSE_INSF_IJSP_SS_SU_SX_SY_SU_SZ_S12_SU_NS10_INSF_IJSI_SK_EEEEENSV_INSF_IJSI_NSH_IiLi2EEESK_EEELb0EEEEEENSF_IJS14_S15_S16_S17_S18_S19_S1A_S1B_S1C_NS5_IJLi11ELi13EEEES1J_EEENSF_IJS1E_S1F_S19_S1G_S1H_S1C_S1I_S1J_S1K_NS5_IJLi14EEEENS5_IJLi15ELi16ELi17EEEEEEENS5_IJLi15ELi16ELi17ELi14EEEES1N_EENSE_INSF_IJS1R_NS10_ISW_EES22_EEENSF_IJS14_NS5_IJLi1ELi3EEEENS5_IJLi2EEEEEEENSF_IJS1U_S17_NS5_IJLi6ELi7ELi8EEEEEEENS5_IJLi6ELi7ELi8ELi5EEEES1W_EELi16ELi32ELi256ELi256ELi128ELi16ELi16ELi8ELi8ELi32ELb0EE3RunILb1ELNS_10TailNumberE1ENSE_INSF_IJNSG_INSF_IJiiEEENSF_IJiSN_EEELb0EEENSV_IS2N_Lb0EEENST_IiEEEEENSF_IJS14_S2E_NS5_IJLi1EEEEEEENSF_IJNS5_IJLi1ELi2EEEENS5_IJLi3ELi4EEEES17_EEENS5_IJLi3ELi5ELi4EEEElEES1O_NS_35ThreadGroupTensorSliceTransfer_v4r1INS_15ThisThreadBlockILi256EEENS_16tensor_operation12element_wise11PassThroughES35_LNS_25InMemoryDataOperationEnumE0ENS5_IJLi8ELi256ELi16EEEENS5_IJLi8ELi32ELi1EEEENS5_IJLi1ELi0ELi2EEEESC_SC_RKS2Z_KS1O_S39_NS5_IJLi0ELi1ELi2EEEELi2ELi2ELi16ELi16ELi1ELi1ELb0ELb1ELi2EiEENS_13DynamicBufferILNS_16AddressSpaceEnumE1EKSC_lLb1ELNS_22AmdBufferCoherenceEnumE0EiEENSF_IJNS3F_ILS3G_2ESC_S1N_Lb1ELS3I_0EiEES3K_EEENSF_IJiiiEEENSE_INSF_IJNSG_INSF_IJiiiiEEENSF_IJiiiSN_EEELb0EEEEEES1T_S1V_S1U_lEENS_32ThreadwiseTensorSliceTransfer_v2ISD_SD_RKS3R_KS1X_NS5_IJLi8ELi1ELi1ELi32EEEENS5_IJLi1ELi2ELi0ELi3EEEELi3ELi32ELi0ELb1ELb0ELb0EEENS3F_ILS3G_1EKSD_lLb1ELS3I_0EiEENSF_IJNS_12StaticBufferILS3G_4ESD_Li256ELb1EEES42_EEES3N_NS_25StaticBufferTupleOfVectorILS3G_4EfLi64ELi4ELb1ELb0EEEEEvRKT1_RKT2_RT3_RKT4_RT5_RKT6_RKT7_RT8_RKT9_RT10_RKT11_RT12_iENKUlT_E1_clINSH_IiLi3EEEEEDaS51_EUlS51_E_EEvS51_EUlS51_E_EEvS51_
	.type	_ZNK2ck6detail7applierIiJLi0ELi1ELi2ELi3ELi4ELi5ELi6ELi7EEEclIZNKS_11static_fordINS_8SequenceIJLi1ELi8EEEENS5_IJLi0ELi1EEEEEclIZZNKS_52BlockwiseGemmXdlops_pipeline_bpreshuffle_bdequant_v3ILNS_26BlockGemmPipelineSchedulerE0ELi256ENS_9f8_fnuz_tENS_7pk_i4_tESC_fNS_16TensorDescriptorINS_5TupleIJNS_5EmbedINSF_IJNS_17integral_constantIiLi8EEENSH_IiLi256EEENSH_IiLi16EEEEEENSF_IJSK_NSH_IiLi128EEENSH_IiLi1EEEEEELb0EEENS_3XorINSF_IJSJ_SI_EEELb1EEENS_11PassThroughISK_EENS_7UnMergeINSF_IJSI_SN_EEELb0EEENST_ISJ_EESU_NST_ISI_EENS_21Merge_v3_division_modINSF_IJSJ_SN_EEEEESU_EEENSF_IJNS5_IJLi0EEEENS5_IJLi2ELi1EEEENS5_IJLi3EEEENS5_IJLi5EEEENS5_IJLi4EEEENS5_IJLi6EEEENS5_IJLi7EEEENS5_IJLi9ELi8EEEENS5_IJLi10EEEEEEENSF_IJNS5_IJLi1ELi2ELi3EEEENS5_IJLi4ELi5EEEES19_NS5_IJLi7ELi8EEEENS5_IJLi9EEEES1C_NS5_IJLi11EEEENS5_IJLi12EEEENS5_IJLi13EEEEEEENS5_IJLi11ELi12ELi13EEEENSH_IlLl32768EEEEENSE_INSF_IJNSV_INSF_IJSI_SN_SN_NSH_IiLi32EEEEEELb0EEEEEENSF_IJS14_EEENSF_IJNS5_IJLi1ELi2ELi3ELi4EEEEEEES1U_NSH_IlLl256EEEEENSE_INSF_IJSP_SS_SU_SX_SY_SU_SZ_S12_SU_NS10_INSF_IJSI_SK_EEEEENSV_INSF_IJSI_NSH_IiLi2EEESK_EEELb0EEEEEENSF_IJS14_S15_S16_S17_S18_S19_S1A_S1B_S1C_NS5_IJLi11ELi13EEEES1J_EEENSF_IJS1E_S1F_S19_S1G_S1H_S1C_S1I_S1J_S1K_NS5_IJLi14EEEENS5_IJLi15ELi16ELi17EEEEEEENS5_IJLi15ELi16ELi17ELi14EEEES1N_EENSE_INSF_IJS1R_NS10_ISW_EES22_EEENSF_IJS14_NS5_IJLi1ELi3EEEENS5_IJLi2EEEEEEENSF_IJS1U_S17_NS5_IJLi6ELi7ELi8EEEEEEENS5_IJLi6ELi7ELi8ELi5EEEES1W_EELi16ELi32ELi256ELi256ELi128ELi16ELi16ELi8ELi8ELi32ELb0EE3RunILb1ELNS_10TailNumberE1ENSE_INSF_IJNSG_INSF_IJiiEEENSF_IJiSN_EEELb0EEENSV_IS2N_Lb0EEENST_IiEEEEENSF_IJS14_S2E_NS5_IJLi1EEEEEEENSF_IJNS5_IJLi1ELi2EEEENS5_IJLi3ELi4EEEES17_EEENS5_IJLi3ELi5ELi4EEEElEES1O_NS_35ThreadGroupTensorSliceTransfer_v4r1INS_15ThisThreadBlockILi256EEENS_16tensor_operation12element_wise11PassThroughES35_LNS_25InMemoryDataOperationEnumE0ENS5_IJLi8ELi256ELi16EEEENS5_IJLi8ELi32ELi1EEEENS5_IJLi1ELi0ELi2EEEESC_SC_RKS2Z_KS1O_S39_NS5_IJLi0ELi1ELi2EEEELi2ELi2ELi16ELi16ELi1ELi1ELb0ELb1ELi2EiEENS_13DynamicBufferILNS_16AddressSpaceEnumE1EKSC_lLb1ELNS_22AmdBufferCoherenceEnumE0EiEENSF_IJNS3F_ILS3G_2ESC_S1N_Lb1ELS3I_0EiEES3K_EEENSF_IJiiiEEENSE_INSF_IJNSG_INSF_IJiiiiEEENSF_IJiiiSN_EEELb0EEEEEES1T_S1V_S1U_lEENS_32ThreadwiseTensorSliceTransfer_v2ISD_SD_RKS3R_KS1X_NS5_IJLi8ELi1ELi1ELi32EEEENS5_IJLi1ELi2ELi0ELi3EEEELi3ELi32ELi0ELb1ELb0ELb0EEENS3F_ILS3G_1EKSD_lLb1ELS3I_0EiEENSF_IJNS_12StaticBufferILS3G_4ESD_Li256ELb1EEES42_EEES3N_NS_25StaticBufferTupleOfVectorILS3G_4EfLi64ELi4ELb1ELb0EEEEEvRKT1_RKT2_RT3_RKT4_RT5_RKT6_RKT7_RT8_RKT9_RT10_RKT11_RT12_iENKUlT_E1_clINSH_IiLi3EEEEEDaS51_EUlS51_E_EEvS51_EUlS51_E_EEvS51_,@function
_ZNK2ck6detail7applierIiJLi0ELi1ELi2ELi3ELi4ELi5ELi6ELi7EEEclIZNKS_11static_fordINS_8SequenceIJLi1ELi8EEEENS5_IJLi0ELi1EEEEEclIZZNKS_52BlockwiseGemmXdlops_pipeline_bpreshuffle_bdequant_v3ILNS_26BlockGemmPipelineSchedulerE0ELi256ENS_9f8_fnuz_tENS_7pk_i4_tESC_fNS_16TensorDescriptorINS_5TupleIJNS_5EmbedINSF_IJNS_17integral_constantIiLi8EEENSH_IiLi256EEENSH_IiLi16EEEEEENSF_IJSK_NSH_IiLi128EEENSH_IiLi1EEEEEELb0EEENS_3XorINSF_IJSJ_SI_EEELb1EEENS_11PassThroughISK_EENS_7UnMergeINSF_IJSI_SN_EEELb0EEENST_ISJ_EESU_NST_ISI_EENS_21Merge_v3_division_modINSF_IJSJ_SN_EEEEESU_EEENSF_IJNS5_IJLi0EEEENS5_IJLi2ELi1EEEENS5_IJLi3EEEENS5_IJLi5EEEENS5_IJLi4EEEENS5_IJLi6EEEENS5_IJLi7EEEENS5_IJLi9ELi8EEEENS5_IJLi10EEEEEEENSF_IJNS5_IJLi1ELi2ELi3EEEENS5_IJLi4ELi5EEEES19_NS5_IJLi7ELi8EEEENS5_IJLi9EEEES1C_NS5_IJLi11EEEENS5_IJLi12EEEENS5_IJLi13EEEEEEENS5_IJLi11ELi12ELi13EEEENSH_IlLl32768EEEEENSE_INSF_IJNSV_INSF_IJSI_SN_SN_NSH_IiLi32EEEEEELb0EEEEEENSF_IJS14_EEENSF_IJNS5_IJLi1ELi2ELi3ELi4EEEEEEES1U_NSH_IlLl256EEEEENSE_INSF_IJSP_SS_SU_SX_SY_SU_SZ_S12_SU_NS10_INSF_IJSI_SK_EEEEENSV_INSF_IJSI_NSH_IiLi2EEESK_EEELb0EEEEEENSF_IJS14_S15_S16_S17_S18_S19_S1A_S1B_S1C_NS5_IJLi11ELi13EEEES1J_EEENSF_IJS1E_S1F_S19_S1G_S1H_S1C_S1I_S1J_S1K_NS5_IJLi14EEEENS5_IJLi15ELi16ELi17EEEEEEENS5_IJLi15ELi16ELi17ELi14EEEES1N_EENSE_INSF_IJS1R_NS10_ISW_EES22_EEENSF_IJS14_NS5_IJLi1ELi3EEEENS5_IJLi2EEEEEEENSF_IJS1U_S17_NS5_IJLi6ELi7ELi8EEEEEEENS5_IJLi6ELi7ELi8ELi5EEEES1W_EELi16ELi32ELi256ELi256ELi128ELi16ELi16ELi8ELi8ELi32ELb0EE3RunILb1ELNS_10TailNumberE1ENSE_INSF_IJNSG_INSF_IJiiEEENSF_IJiSN_EEELb0EEENSV_IS2N_Lb0EEENST_IiEEEEENSF_IJS14_S2E_NS5_IJLi1EEEEEEENSF_IJNS5_IJLi1ELi2EEEENS5_IJLi3ELi4EEEES17_EEENS5_IJLi3ELi5ELi4EEEElEES1O_NS_35ThreadGroupTensorSliceTransfer_v4r1INS_15ThisThreadBlockILi256EEENS_16tensor_operation12element_wise11PassThroughES35_LNS_25InMemoryDataOperationEnumE0ENS5_IJLi8ELi256ELi16EEEENS5_IJLi8ELi32ELi1EEEENS5_IJLi1ELi0ELi2EEEESC_SC_RKS2Z_KS1O_S39_NS5_IJLi0ELi1ELi2EEEELi2ELi2ELi16ELi16ELi1ELi1ELb0ELb1ELi2EiEENS_13DynamicBufferILNS_16AddressSpaceEnumE1EKSC_lLb1ELNS_22AmdBufferCoherenceEnumE0EiEENSF_IJNS3F_ILS3G_2ESC_S1N_Lb1ELS3I_0EiEES3K_EEENSF_IJiiiEEENSE_INSF_IJNSG_INSF_IJiiiiEEENSF_IJiiiSN_EEELb0EEEEEES1T_S1V_S1U_lEENS_32ThreadwiseTensorSliceTransfer_v2ISD_SD_RKS3R_KS1X_NS5_IJLi8ELi1ELi1ELi32EEEENS5_IJLi1ELi2ELi0ELi3EEEELi3ELi32ELi0ELb1ELb0ELb0EEENS3F_ILS3G_1EKSD_lLb1ELS3I_0EiEENSF_IJNS_12StaticBufferILS3G_4ESD_Li256ELb1EEES42_EEES3N_NS_25StaticBufferTupleOfVectorILS3G_4EfLi64ELi4ELb1ELb0EEEEEvRKT1_RKT2_RT3_RKT4_RT5_RKT6_RKT7_RT8_RKT9_RT10_RKT11_RT12_iENKUlT_E1_clINSH_IiLi3EEEEEDaS51_EUlS51_E_EEvS51_EUlS51_E_EEvS51_: ; @_ZNK2ck6detail7applierIiJLi0ELi1ELi2ELi3ELi4ELi5ELi6ELi7EEEclIZNKS_11static_fordINS_8SequenceIJLi1ELi8EEEENS5_IJLi0ELi1EEEEEclIZZNKS_52BlockwiseGemmXdlops_pipeline_bpreshuffle_bdequant_v3ILNS_26BlockGemmPipelineSchedulerE0ELi256ENS_9f8_fnuz_tENS_7pk_i4_tESC_fNS_16TensorDescriptorINS_5TupleIJNS_5EmbedINSF_IJNS_17integral_constantIiLi8EEENSH_IiLi256EEENSH_IiLi16EEEEEENSF_IJSK_NSH_IiLi128EEENSH_IiLi1EEEEEELb0EEENS_3XorINSF_IJSJ_SI_EEELb1EEENS_11PassThroughISK_EENS_7UnMergeINSF_IJSI_SN_EEELb0EEENST_ISJ_EESU_NST_ISI_EENS_21Merge_v3_division_modINSF_IJSJ_SN_EEEEESU_EEENSF_IJNS5_IJLi0EEEENS5_IJLi2ELi1EEEENS5_IJLi3EEEENS5_IJLi5EEEENS5_IJLi4EEEENS5_IJLi6EEEENS5_IJLi7EEEENS5_IJLi9ELi8EEEENS5_IJLi10EEEEEEENSF_IJNS5_IJLi1ELi2ELi3EEEENS5_IJLi4ELi5EEEES19_NS5_IJLi7ELi8EEEENS5_IJLi9EEEES1C_NS5_IJLi11EEEENS5_IJLi12EEEENS5_IJLi13EEEEEEENS5_IJLi11ELi12ELi13EEEENSH_IlLl32768EEEEENSE_INSF_IJNSV_INSF_IJSI_SN_SN_NSH_IiLi32EEEEEELb0EEEEEENSF_IJS14_EEENSF_IJNS5_IJLi1ELi2ELi3ELi4EEEEEEES1U_NSH_IlLl256EEEEENSE_INSF_IJSP_SS_SU_SX_SY_SU_SZ_S12_SU_NS10_INSF_IJSI_SK_EEEEENSV_INSF_IJSI_NSH_IiLi2EEESK_EEELb0EEEEEENSF_IJS14_S15_S16_S17_S18_S19_S1A_S1B_S1C_NS5_IJLi11ELi13EEEES1J_EEENSF_IJS1E_S1F_S19_S1G_S1H_S1C_S1I_S1J_S1K_NS5_IJLi14EEEENS5_IJLi15ELi16ELi17EEEEEEENS5_IJLi15ELi16ELi17ELi14EEEES1N_EENSE_INSF_IJS1R_NS10_ISW_EES22_EEENSF_IJS14_NS5_IJLi1ELi3EEEENS5_IJLi2EEEEEEENSF_IJS1U_S17_NS5_IJLi6ELi7ELi8EEEEEEENS5_IJLi6ELi7ELi8ELi5EEEES1W_EELi16ELi32ELi256ELi256ELi128ELi16ELi16ELi8ELi8ELi32ELb0EE3RunILb1ELNS_10TailNumberE1ENSE_INSF_IJNSG_INSF_IJiiEEENSF_IJiSN_EEELb0EEENSV_IS2N_Lb0EEENST_IiEEEEENSF_IJS14_S2E_NS5_IJLi1EEEEEEENSF_IJNS5_IJLi1ELi2EEEENS5_IJLi3ELi4EEEES17_EEENS5_IJLi3ELi5ELi4EEEElEES1O_NS_35ThreadGroupTensorSliceTransfer_v4r1INS_15ThisThreadBlockILi256EEENS_16tensor_operation12element_wise11PassThroughES35_LNS_25InMemoryDataOperationEnumE0ENS5_IJLi8ELi256ELi16EEEENS5_IJLi8ELi32ELi1EEEENS5_IJLi1ELi0ELi2EEEESC_SC_RKS2Z_KS1O_S39_NS5_IJLi0ELi1ELi2EEEELi2ELi2ELi16ELi16ELi1ELi1ELb0ELb1ELi2EiEENS_13DynamicBufferILNS_16AddressSpaceEnumE1EKSC_lLb1ELNS_22AmdBufferCoherenceEnumE0EiEENSF_IJNS3F_ILS3G_2ESC_S1N_Lb1ELS3I_0EiEES3K_EEENSF_IJiiiEEENSE_INSF_IJNSG_INSF_IJiiiiEEENSF_IJiiiSN_EEELb0EEEEEES1T_S1V_S1U_lEENS_32ThreadwiseTensorSliceTransfer_v2ISD_SD_RKS3R_KS1X_NS5_IJLi8ELi1ELi1ELi32EEEENS5_IJLi1ELi2ELi0ELi3EEEELi3ELi32ELi0ELb1ELb0ELb0EEENS3F_ILS3G_1EKSD_lLb1ELS3I_0EiEENSF_IJNS_12StaticBufferILS3G_4ESD_Li256ELb1EEES42_EEES3N_NS_25StaticBufferTupleOfVectorILS3G_4EfLi64ELi4ELb1ELb0EEEEEvRKT1_RKT2_RT3_RKT4_RT5_RKT6_RKT7_RT8_RKT9_RT10_RKT11_RT12_iENKUlT_E1_clINSH_IiLi3EEEEEDaS51_EUlS51_E_EEvS51_EUlS51_E_EEvS51_
; %bb.0:
	s_waitcnt vmcnt(0) expcnt(0) lgkmcnt(0)
	flat_load_dwordx4 v[20:23], v[0:1] offset:8
	flat_load_dwordx2 v[18:19], v[0:1] offset:24
	s_movk_i32 s4, 0x7f
                                        ; implicit-def: $sgpr10
	s_waitcnt vmcnt(0) lgkmcnt(0)
	flat_load_dwordx4 v[14:17], v[20:21] offset:32
	flat_load_dwordx4 v[6:9], v[20:21] offset:48
	;; [unrolled: 1-line block ×4, first 2 shown]
	s_waitcnt vmcnt(0) lgkmcnt(0)
	v_cmp_gt_i16_sdwa s[6:7], v14, s4 src0_sel:BYTE_0 src1_sel:DWORD
	s_mov_b64 s[4:5], 0
	s_and_saveexec_b64 s[8:9], s[6:7]
	s_xor_b64 s[6:7], exec, s[8:9]
	s_cbranch_execnz .LBB55_2049
; %bb.1:
	s_or_saveexec_b64 s[6:7], s[6:7]
	v_mov_b32_e32 v20, s10
	s_xor_b64 exec, exec, s[6:7]
	s_cbranch_execnz .LBB55_2052
.LBB55_2:
	s_or_b64 exec, exec, s[6:7]
	s_and_saveexec_b64 s[6:7], s[4:5]
	s_cbranch_execz .LBB55_4
.LBB55_3:
	v_and_b32_e32 v20, 7, v14
	v_ffbh_u32_e32 v22, v20
	v_min_u32_e32 v22, 32, v22
	v_lshrrev_b16_e32 v21, 3, v14
	v_subrev_u32_e32 v23, 28, v22
	v_and_b32_e32 v21, 15, v21
	v_lshlrev_b32_e32 v23, v23, v14
	v_sub_u32_e32 v22, 29, v22
	v_and_b32_e32 v23, 7, v23
	v_cmp_eq_u16_e32 vcc, 0, v21
	v_cndmask_b32_e32 v20, v20, v23, vcc
	v_cndmask_b32_e32 v21, v21, v22, vcc
	v_lshlrev_b32_e32 v22, 24, v14
	v_mov_b32_e32 v23, 0x3b800000
	v_lshlrev_b32_e32 v20, 20, v20
	v_and_b32_e32 v22, 0x80000000, v22
	v_lshl_add_u32 v21, v21, 23, v23
	v_or3_b32 v20, v22, v21, v20
.LBB55_4:
	s_or_b64 exec, exec, s[6:7]
	s_movk_i32 s4, 0x7f
	v_cmp_gt_i16_sdwa s[6:7], v10, s4 src0_sel:BYTE_0 src1_sel:DWORD
	s_mov_b64 s[4:5], 0
                                        ; implicit-def: $sgpr10
	s_and_saveexec_b64 s[8:9], s[6:7]
	s_xor_b64 s[6:7], exec, s[8:9]
	s_cbranch_execnz .LBB55_2053
; %bb.5:
	s_or_saveexec_b64 s[6:7], s[6:7]
	v_mov_b32_e32 v21, s10
	s_xor_b64 exec, exec, s[6:7]
	s_cbranch_execnz .LBB55_2056
.LBB55_6:
	s_or_b64 exec, exec, s[6:7]
	s_and_saveexec_b64 s[6:7], s[4:5]
	s_cbranch_execz .LBB55_8
.LBB55_7:
	v_and_b32_e32 v21, 7, v10
	v_ffbh_u32_e32 v23, v21
	v_min_u32_e32 v23, 32, v23
	v_lshrrev_b16_e32 v22, 3, v10
	v_subrev_u32_e32 v24, 28, v23
	v_and_b32_e32 v22, 15, v22
	v_lshlrev_b32_e32 v24, v24, v10
	v_sub_u32_e32 v23, 29, v23
	v_and_b32_e32 v24, 7, v24
	v_cmp_eq_u16_e32 vcc, 0, v22
	v_cndmask_b32_e32 v21, v21, v24, vcc
	v_cndmask_b32_e32 v22, v22, v23, vcc
	v_lshlrev_b32_e32 v23, 24, v10
	v_mov_b32_e32 v24, 0x3b800000
	v_lshlrev_b32_e32 v21, 20, v21
	v_and_b32_e32 v23, 0x80000000, v23
	v_lshl_add_u32 v22, v22, 23, v24
	v_or3_b32 v21, v23, v22, v21
.LBB55_8:
	s_or_b64 exec, exec, s[6:7]
	flat_load_dwordx4 a[0:3], v[18:19] offset:384
	s_movk_i32 s4, 0x7f
                                        ; implicit-def: $sgpr10
	s_waitcnt vmcnt(0) lgkmcnt(0)
	v_mfma_f32_16x16x4f32 a[0:3], v20, v21, a[0:3]
	v_lshrrev_b32_e32 v21, 8, v14
	v_cmp_gt_i16_sdwa s[6:7], v21, s4 src0_sel:BYTE_0 src1_sel:DWORD
	s_mov_b64 s[4:5], 0
	s_and_saveexec_b64 s[8:9], s[6:7]
	s_xor_b64 s[6:7], exec, s[8:9]
	s_cbranch_execnz .LBB55_2057
; %bb.9:
	s_or_saveexec_b64 s[6:7], s[6:7]
	v_mov_b32_e32 v20, s10
	s_xor_b64 exec, exec, s[6:7]
	s_cbranch_execnz .LBB55_2060
.LBB55_10:
	s_or_b64 exec, exec, s[6:7]
	s_and_saveexec_b64 s[6:7], s[4:5]
	s_cbranch_execz .LBB55_12
.LBB55_11:
	v_bfe_u32 v20, v14, 8, 3
	v_ffbh_u32_e32 v23, v20
	v_min_u32_e32 v23, 32, v23
	v_lshrrev_b16_e32 v22, 3, v21
	v_subrev_u32_e32 v24, 28, v23
	v_and_b32_e32 v22, 15, v22
	v_lshlrev_b32_e32 v21, v24, v21
	v_sub_u32_e32 v23, 29, v23
	v_and_b32_e32 v21, 7, v21
	v_cmp_eq_u16_e32 vcc, 0, v22
	v_cndmask_b32_e32 v20, v20, v21, vcc
	v_cndmask_b32_e32 v21, v22, v23, vcc
	v_lshlrev_b32_e32 v22, 16, v14
	v_mov_b32_e32 v23, 0x3b800000
	v_lshlrev_b32_e32 v20, 20, v20
	v_and_b32_e32 v22, 0x80000000, v22
	v_lshl_add_u32 v21, v21, 23, v23
	v_or3_b32 v20, v22, v21, v20
.LBB55_12:
	s_or_b64 exec, exec, s[6:7]
	v_lshrrev_b32_e32 v21, 8, v10
	s_movk_i32 s4, 0x7f
	v_cmp_gt_i16_sdwa s[6:7], v21, s4 src0_sel:BYTE_0 src1_sel:DWORD
	s_mov_b64 s[4:5], 0
                                        ; implicit-def: $sgpr10
	s_and_saveexec_b64 s[8:9], s[6:7]
	s_xor_b64 s[6:7], exec, s[8:9]
	s_cbranch_execnz .LBB55_2061
; %bb.13:
	s_or_saveexec_b64 s[6:7], s[6:7]
	v_mov_b32_e32 v22, s10
	s_xor_b64 exec, exec, s[6:7]
	s_cbranch_execnz .LBB55_2064
.LBB55_14:
	s_or_b64 exec, exec, s[6:7]
	s_and_saveexec_b64 s[6:7], s[4:5]
	s_cbranch_execz .LBB55_16
.LBB55_15:
	v_bfe_u32 v22, v10, 8, 3
	v_ffbh_u32_e32 v24, v22
	v_min_u32_e32 v24, 32, v24
	v_lshrrev_b16_e32 v23, 3, v21
	v_subrev_u32_e32 v25, 28, v24
	v_and_b32_e32 v23, 15, v23
	v_lshlrev_b32_e32 v21, v25, v21
	v_sub_u32_e32 v24, 29, v24
	v_and_b32_e32 v21, 7, v21
	v_cmp_eq_u16_e32 vcc, 0, v23
	v_cndmask_b32_e32 v21, v22, v21, vcc
	v_cndmask_b32_e32 v22, v23, v24, vcc
	v_lshlrev_b32_e32 v23, 16, v10
	v_mov_b32_e32 v24, 0x3b800000
	v_lshlrev_b32_e32 v21, 20, v21
	v_and_b32_e32 v23, 0x80000000, v23
	v_lshl_add_u32 v22, v22, 23, v24
	v_or3_b32 v22, v23, v22, v21
.LBB55_16:
	s_or_b64 exec, exec, s[6:7]
	s_nop 0
	v_mfma_f32_16x16x4f32 a[0:3], v20, v22, a[0:3]
	s_movk_i32 s4, 0xff
	v_and_b32_sdwa v21, v14, s4 dst_sel:DWORD dst_unused:UNUSED_PAD src0_sel:WORD_1 src1_sel:DWORD
	s_movk_i32 s4, 0x7f
	v_cmp_lt_i16_e32 vcc, s4, v21
	s_mov_b64 s[4:5], 0
                                        ; implicit-def: $sgpr10
	s_and_saveexec_b64 s[6:7], vcc
	s_xor_b64 s[6:7], exec, s[6:7]
	s_cbranch_execnz .LBB55_2065
; %bb.17:
	s_or_saveexec_b64 s[6:7], s[6:7]
	v_mov_b32_e32 v20, s10
	s_xor_b64 exec, exec, s[6:7]
	s_cbranch_execnz .LBB55_2068
.LBB55_18:
	s_or_b64 exec, exec, s[6:7]
	s_and_saveexec_b64 s[6:7], s[4:5]
	s_cbranch_execz .LBB55_20
.LBB55_19:
	v_bfe_u32 v20, v14, 16, 3
	v_ffbh_u32_e32 v23, v20
	v_min_u32_e32 v23, 32, v23
	v_lshrrev_b32_e32 v21, 19, v14
	v_subrev_u32_e32 v24, 28, v23
	v_and_b32_e32 v21, 15, v21
	v_lshlrev_b32_sdwa v24, v24, v14 dst_sel:DWORD dst_unused:UNUSED_PAD src0_sel:DWORD src1_sel:WORD_1
	v_bfe_u32 v22, v14, 19, 4
	v_sub_u32_e32 v23, 29, v23
	v_and_b32_e32 v24, 7, v24
	v_cmp_eq_u16_e32 vcc, 0, v21
	v_cndmask_b32_e32 v20, v20, v24, vcc
	v_cndmask_b32_e32 v21, v22, v23, vcc
	v_lshlrev_b32_e32 v22, 8, v14
	v_mov_b32_e32 v23, 0x3b800000
	v_lshlrev_b32_e32 v20, 20, v20
	v_and_b32_e32 v22, 0x80000000, v22
	v_lshl_add_u32 v21, v21, 23, v23
	v_or3_b32 v20, v22, v21, v20
.LBB55_20:
	s_or_b64 exec, exec, s[6:7]
	s_movk_i32 s4, 0xff
	v_and_b32_sdwa v21, v10, s4 dst_sel:DWORD dst_unused:UNUSED_PAD src0_sel:WORD_1 src1_sel:DWORD
	s_movk_i32 s4, 0x7f
	v_cmp_lt_i16_e32 vcc, s4, v21
	s_mov_b64 s[4:5], 0
                                        ; implicit-def: $sgpr10
	s_and_saveexec_b64 s[6:7], vcc
	s_xor_b64 s[6:7], exec, s[6:7]
	s_cbranch_execnz .LBB55_2069
; %bb.21:
	s_or_saveexec_b64 s[6:7], s[6:7]
	v_mov_b32_e32 v22, s10
	s_xor_b64 exec, exec, s[6:7]
	s_cbranch_execnz .LBB55_2072
.LBB55_22:
	s_or_b64 exec, exec, s[6:7]
	s_and_saveexec_b64 s[6:7], s[4:5]
	s_cbranch_execz .LBB55_24
.LBB55_23:
	v_bfe_u32 v21, v10, 16, 3
	v_ffbh_u32_e32 v24, v21
	v_min_u32_e32 v24, 32, v24
	v_lshrrev_b32_e32 v22, 19, v10
	v_subrev_u32_e32 v25, 28, v24
	v_and_b32_e32 v22, 15, v22
	v_lshlrev_b32_sdwa v25, v25, v10 dst_sel:DWORD dst_unused:UNUSED_PAD src0_sel:DWORD src1_sel:WORD_1
	v_bfe_u32 v23, v10, 19, 4
	v_sub_u32_e32 v24, 29, v24
	v_and_b32_e32 v25, 7, v25
	v_cmp_eq_u16_e32 vcc, 0, v22
	v_cndmask_b32_e32 v21, v21, v25, vcc
	v_cndmask_b32_e32 v22, v23, v24, vcc
	v_lshlrev_b32_e32 v23, 8, v10
	v_mov_b32_e32 v24, 0x3b800000
	v_lshlrev_b32_e32 v21, 20, v21
	v_and_b32_e32 v23, 0x80000000, v23
	v_lshl_add_u32 v22, v22, 23, v24
	v_or3_b32 v22, v23, v22, v21
.LBB55_24:
	s_or_b64 exec, exec, s[6:7]
	s_nop 0
	v_mfma_f32_16x16x4f32 a[0:3], v20, v22, a[0:3]
	s_movk_i32 s4, 0x7f
	v_cmp_gt_i16_sdwa s[6:7], v14, s4 src0_sel:BYTE_3 src1_sel:DWORD
	s_mov_b64 s[4:5], 0
                                        ; implicit-def: $sgpr10
	s_and_saveexec_b64 s[8:9], s[6:7]
	s_xor_b64 s[6:7], exec, s[8:9]
	s_cbranch_execnz .LBB55_2073
; %bb.25:
	s_or_saveexec_b64 s[6:7], s[6:7]
	v_mov_b32_e32 v20, s10
	s_xor_b64 exec, exec, s[6:7]
	s_cbranch_execnz .LBB55_2076
.LBB55_26:
	s_or_b64 exec, exec, s[6:7]
	s_and_saveexec_b64 s[6:7], s[4:5]
	s_cbranch_execz .LBB55_28
.LBB55_27:
	v_bfe_u32 v20, v14, 24, 3
	v_ffbh_u32_e32 v24, v20
	v_min_u32_e32 v24, 32, v24
	v_lshrrev_b32_e32 v22, 27, v14
	v_subrev_u32_e32 v25, 28, v24
	v_and_b32_e32 v21, 0x80000000, v14
	v_and_b32_e32 v22, 15, v22
	v_bfe_u32 v23, v14, 27, 4
	v_lshlrev_b32_sdwa v14, v25, v14 dst_sel:DWORD dst_unused:UNUSED_PAD src0_sel:DWORD src1_sel:BYTE_3
	v_sub_u32_e32 v24, 29, v24
	v_and_b32_e32 v14, 7, v14
	v_cmp_eq_u16_e32 vcc, 0, v22
	v_cndmask_b32_e32 v14, v20, v14, vcc
	v_cndmask_b32_e32 v20, v23, v24, vcc
	v_mov_b32_e32 v22, 0x3b800000
	v_lshlrev_b32_e32 v14, 20, v14
	v_lshl_add_u32 v20, v20, 23, v22
	v_or3_b32 v20, v21, v20, v14
.LBB55_28:
	s_or_b64 exec, exec, s[6:7]
	s_movk_i32 s4, 0x7f
	v_cmp_gt_i16_sdwa s[6:7], v10, s4 src0_sel:BYTE_3 src1_sel:DWORD
	s_mov_b64 s[4:5], 0
                                        ; implicit-def: $sgpr10
	s_and_saveexec_b64 s[8:9], s[6:7]
	s_xor_b64 s[6:7], exec, s[8:9]
	s_cbranch_execnz .LBB55_2077
; %bb.29:
	s_or_saveexec_b64 s[6:7], s[6:7]
	v_mov_b32_e32 v14, s10
	s_xor_b64 exec, exec, s[6:7]
	s_cbranch_execnz .LBB55_2080
.LBB55_30:
	s_or_b64 exec, exec, s[6:7]
	s_and_saveexec_b64 s[6:7], s[4:5]
	s_cbranch_execz .LBB55_32
.LBB55_31:
	v_bfe_u32 v14, v10, 24, 3
	v_ffbh_u32_e32 v24, v14
	v_min_u32_e32 v24, 32, v24
	v_lshrrev_b32_e32 v22, 27, v10
	v_subrev_u32_e32 v25, 28, v24
	v_and_b32_e32 v21, 0x80000000, v10
	v_and_b32_e32 v22, 15, v22
	v_bfe_u32 v23, v10, 27, 4
	v_lshlrev_b32_sdwa v10, v25, v10 dst_sel:DWORD dst_unused:UNUSED_PAD src0_sel:DWORD src1_sel:BYTE_3
	v_sub_u32_e32 v24, 29, v24
	v_and_b32_e32 v10, 7, v10
	v_cmp_eq_u16_e32 vcc, 0, v22
	v_cndmask_b32_e32 v10, v14, v10, vcc
	v_cndmask_b32_e32 v14, v23, v24, vcc
	v_mov_b32_e32 v22, 0x3b800000
	v_lshlrev_b32_e32 v10, 20, v10
	v_lshl_add_u32 v14, v14, 23, v22
	v_or3_b32 v14, v21, v14, v10
.LBB55_32:
	s_or_b64 exec, exec, s[6:7]
	s_nop 0
	v_mfma_f32_16x16x4f32 a[0:3], v20, v14, a[0:3]
	s_movk_i32 s4, 0x7f
	v_cmp_gt_i16_sdwa s[6:7], v15, s4 src0_sel:BYTE_0 src1_sel:DWORD
	s_mov_b64 s[4:5], 0
                                        ; implicit-def: $sgpr10
	s_and_saveexec_b64 s[8:9], s[6:7]
	s_xor_b64 s[6:7], exec, s[8:9]
	s_cbranch_execnz .LBB55_2081
; %bb.33:
	s_or_saveexec_b64 s[6:7], s[6:7]
	v_mov_b32_e32 v10, s10
	s_xor_b64 exec, exec, s[6:7]
	s_cbranch_execnz .LBB55_2084
.LBB55_34:
	s_or_b64 exec, exec, s[6:7]
	s_and_saveexec_b64 s[6:7], s[4:5]
	s_cbranch_execz .LBB55_36
.LBB55_35:
	v_and_b32_e32 v10, 7, v15
	v_ffbh_u32_e32 v20, v10
	v_min_u32_e32 v20, 32, v20
	v_lshrrev_b16_e32 v14, 3, v15
	v_subrev_u32_e32 v21, 28, v20
	v_and_b32_e32 v14, 15, v14
	v_lshlrev_b32_e32 v21, v21, v15
	v_sub_u32_e32 v20, 29, v20
	v_and_b32_e32 v21, 7, v21
	v_cmp_eq_u16_e32 vcc, 0, v14
	v_cndmask_b32_e32 v10, v10, v21, vcc
	v_cndmask_b32_e32 v14, v14, v20, vcc
	v_lshlrev_b32_e32 v20, 24, v15
	v_mov_b32_e32 v21, 0x3b800000
	v_lshlrev_b32_e32 v10, 20, v10
	v_and_b32_e32 v20, 0x80000000, v20
	v_lshl_add_u32 v14, v14, 23, v21
	v_or3_b32 v10, v20, v14, v10
.LBB55_36:
	s_or_b64 exec, exec, s[6:7]
	s_movk_i32 s4, 0x7f
	v_cmp_gt_i16_sdwa s[6:7], v11, s4 src0_sel:BYTE_0 src1_sel:DWORD
	s_mov_b64 s[4:5], 0
                                        ; implicit-def: $sgpr10
	s_and_saveexec_b64 s[8:9], s[6:7]
	s_xor_b64 s[6:7], exec, s[8:9]
	s_cbranch_execnz .LBB55_2085
; %bb.37:
	s_or_saveexec_b64 s[6:7], s[6:7]
	v_mov_b32_e32 v14, s10
	s_xor_b64 exec, exec, s[6:7]
	s_cbranch_execnz .LBB55_2088
.LBB55_38:
	s_or_b64 exec, exec, s[6:7]
	s_and_saveexec_b64 s[6:7], s[4:5]
	s_cbranch_execz .LBB55_40
.LBB55_39:
	v_and_b32_e32 v14, 7, v11
	v_ffbh_u32_e32 v21, v14
	v_min_u32_e32 v21, 32, v21
	v_lshrrev_b16_e32 v20, 3, v11
	v_subrev_u32_e32 v22, 28, v21
	v_and_b32_e32 v20, 15, v20
	v_lshlrev_b32_e32 v22, v22, v11
	v_sub_u32_e32 v21, 29, v21
	v_and_b32_e32 v22, 7, v22
	v_cmp_eq_u16_e32 vcc, 0, v20
	v_cndmask_b32_e32 v14, v14, v22, vcc
	v_cndmask_b32_e32 v20, v20, v21, vcc
	v_lshlrev_b32_e32 v21, 24, v11
	v_mov_b32_e32 v22, 0x3b800000
	v_lshlrev_b32_e32 v14, 20, v14
	v_and_b32_e32 v21, 0x80000000, v21
	v_lshl_add_u32 v20, v20, 23, v22
	v_or3_b32 v14, v21, v20, v14
.LBB55_40:
	s_or_b64 exec, exec, s[6:7]
	s_nop 0
	v_mfma_f32_16x16x4f32 a[0:3], v10, v14, a[0:3]
	v_lshrrev_b32_e32 v14, 8, v15
	s_movk_i32 s4, 0x7f
	v_cmp_gt_i16_sdwa s[6:7], v14, s4 src0_sel:BYTE_0 src1_sel:DWORD
	s_mov_b64 s[4:5], 0
                                        ; implicit-def: $sgpr10
	s_and_saveexec_b64 s[8:9], s[6:7]
	s_xor_b64 s[6:7], exec, s[8:9]
	s_cbranch_execnz .LBB55_2089
; %bb.41:
	s_or_saveexec_b64 s[6:7], s[6:7]
	v_mov_b32_e32 v10, s10
	s_xor_b64 exec, exec, s[6:7]
	s_cbranch_execnz .LBB55_2092
.LBB55_42:
	s_or_b64 exec, exec, s[6:7]
	s_and_saveexec_b64 s[6:7], s[4:5]
	s_cbranch_execz .LBB55_44
.LBB55_43:
	v_bfe_u32 v10, v15, 8, 3
	v_ffbh_u32_e32 v21, v10
	v_min_u32_e32 v21, 32, v21
	v_lshrrev_b16_e32 v20, 3, v14
	v_subrev_u32_e32 v22, 28, v21
	v_and_b32_e32 v20, 15, v20
	v_lshlrev_b32_e32 v14, v22, v14
	v_sub_u32_e32 v21, 29, v21
	v_and_b32_e32 v14, 7, v14
	v_cmp_eq_u16_e32 vcc, 0, v20
	v_cndmask_b32_e32 v10, v10, v14, vcc
	v_cndmask_b32_e32 v14, v20, v21, vcc
	v_lshlrev_b32_e32 v20, 16, v15
	v_mov_b32_e32 v21, 0x3b800000
	v_lshlrev_b32_e32 v10, 20, v10
	v_and_b32_e32 v20, 0x80000000, v20
	v_lshl_add_u32 v14, v14, 23, v21
	v_or3_b32 v10, v20, v14, v10
.LBB55_44:
	s_or_b64 exec, exec, s[6:7]
	v_lshrrev_b32_e32 v14, 8, v11
	s_movk_i32 s4, 0x7f
	v_cmp_gt_i16_sdwa s[6:7], v14, s4 src0_sel:BYTE_0 src1_sel:DWORD
	s_mov_b64 s[4:5], 0
                                        ; implicit-def: $sgpr10
	s_and_saveexec_b64 s[8:9], s[6:7]
	s_xor_b64 s[6:7], exec, s[8:9]
	s_cbranch_execnz .LBB55_2093
; %bb.45:
	s_or_saveexec_b64 s[6:7], s[6:7]
	v_mov_b32_e32 v20, s10
	s_xor_b64 exec, exec, s[6:7]
	s_cbranch_execnz .LBB55_2096
.LBB55_46:
	s_or_b64 exec, exec, s[6:7]
	s_and_saveexec_b64 s[6:7], s[4:5]
	s_cbranch_execz .LBB55_48
.LBB55_47:
	v_bfe_u32 v20, v11, 8, 3
	v_ffbh_u32_e32 v22, v20
	v_min_u32_e32 v22, 32, v22
	v_lshrrev_b16_e32 v21, 3, v14
	v_subrev_u32_e32 v23, 28, v22
	v_and_b32_e32 v21, 15, v21
	v_lshlrev_b32_e32 v14, v23, v14
	v_sub_u32_e32 v22, 29, v22
	v_and_b32_e32 v14, 7, v14
	v_cmp_eq_u16_e32 vcc, 0, v21
	v_cndmask_b32_e32 v14, v20, v14, vcc
	v_cndmask_b32_e32 v20, v21, v22, vcc
	v_lshlrev_b32_e32 v21, 16, v11
	v_mov_b32_e32 v22, 0x3b800000
	v_lshlrev_b32_e32 v14, 20, v14
	v_and_b32_e32 v21, 0x80000000, v21
	v_lshl_add_u32 v20, v20, 23, v22
	v_or3_b32 v20, v21, v20, v14
.LBB55_48:
	s_or_b64 exec, exec, s[6:7]
	s_nop 0
	v_mfma_f32_16x16x4f32 a[0:3], v10, v20, a[0:3]
	s_movk_i32 s4, 0xff
	v_and_b32_sdwa v14, v15, s4 dst_sel:DWORD dst_unused:UNUSED_PAD src0_sel:WORD_1 src1_sel:DWORD
	s_movk_i32 s4, 0x7f
	v_cmp_lt_i16_e32 vcc, s4, v14
	s_mov_b64 s[4:5], 0
                                        ; implicit-def: $sgpr10
	s_and_saveexec_b64 s[6:7], vcc
	s_xor_b64 s[6:7], exec, s[6:7]
	s_cbranch_execnz .LBB55_2097
; %bb.49:
	s_or_saveexec_b64 s[6:7], s[6:7]
	v_mov_b32_e32 v10, s10
	s_xor_b64 exec, exec, s[6:7]
	s_cbranch_execnz .LBB55_2100
.LBB55_50:
	s_or_b64 exec, exec, s[6:7]
	s_and_saveexec_b64 s[6:7], s[4:5]
	s_cbranch_execz .LBB55_52
.LBB55_51:
	v_bfe_u32 v10, v15, 16, 3
	v_ffbh_u32_e32 v21, v10
	v_min_u32_e32 v21, 32, v21
	v_lshrrev_b32_e32 v14, 19, v15
	v_subrev_u32_e32 v22, 28, v21
	v_and_b32_e32 v14, 15, v14
	v_lshlrev_b32_sdwa v22, v22, v15 dst_sel:DWORD dst_unused:UNUSED_PAD src0_sel:DWORD src1_sel:WORD_1
	v_bfe_u32 v20, v15, 19, 4
	v_sub_u32_e32 v21, 29, v21
	v_and_b32_e32 v22, 7, v22
	v_cmp_eq_u16_e32 vcc, 0, v14
	v_cndmask_b32_e32 v10, v10, v22, vcc
	v_cndmask_b32_e32 v14, v20, v21, vcc
	v_lshlrev_b32_e32 v20, 8, v15
	v_mov_b32_e32 v21, 0x3b800000
	v_lshlrev_b32_e32 v10, 20, v10
	v_and_b32_e32 v20, 0x80000000, v20
	v_lshl_add_u32 v14, v14, 23, v21
	v_or3_b32 v10, v20, v14, v10
.LBB55_52:
	s_or_b64 exec, exec, s[6:7]
	s_movk_i32 s4, 0xff
	v_and_b32_sdwa v14, v11, s4 dst_sel:DWORD dst_unused:UNUSED_PAD src0_sel:WORD_1 src1_sel:DWORD
	s_movk_i32 s4, 0x7f
	v_cmp_lt_i16_e32 vcc, s4, v14
	s_mov_b64 s[4:5], 0
                                        ; implicit-def: $sgpr10
	s_and_saveexec_b64 s[6:7], vcc
	s_xor_b64 s[6:7], exec, s[6:7]
	s_cbranch_execnz .LBB55_2101
; %bb.53:
	s_or_saveexec_b64 s[6:7], s[6:7]
	v_mov_b32_e32 v20, s10
	s_xor_b64 exec, exec, s[6:7]
	s_cbranch_execnz .LBB55_2104
.LBB55_54:
	s_or_b64 exec, exec, s[6:7]
	s_and_saveexec_b64 s[6:7], s[4:5]
	s_cbranch_execz .LBB55_56
.LBB55_55:
	v_bfe_u32 v14, v11, 16, 3
	v_ffbh_u32_e32 v22, v14
	v_min_u32_e32 v22, 32, v22
	v_lshrrev_b32_e32 v20, 19, v11
	v_subrev_u32_e32 v23, 28, v22
	v_and_b32_e32 v20, 15, v20
	v_lshlrev_b32_sdwa v23, v23, v11 dst_sel:DWORD dst_unused:UNUSED_PAD src0_sel:DWORD src1_sel:WORD_1
	v_bfe_u32 v21, v11, 19, 4
	v_sub_u32_e32 v22, 29, v22
	v_and_b32_e32 v23, 7, v23
	v_cmp_eq_u16_e32 vcc, 0, v20
	v_cndmask_b32_e32 v14, v14, v23, vcc
	v_cndmask_b32_e32 v20, v21, v22, vcc
	v_lshlrev_b32_e32 v21, 8, v11
	v_mov_b32_e32 v22, 0x3b800000
	v_lshlrev_b32_e32 v14, 20, v14
	v_and_b32_e32 v21, 0x80000000, v21
	v_lshl_add_u32 v20, v20, 23, v22
	v_or3_b32 v20, v21, v20, v14
.LBB55_56:
	s_or_b64 exec, exec, s[6:7]
	s_nop 0
	v_mfma_f32_16x16x4f32 a[0:3], v10, v20, a[0:3]
	s_movk_i32 s4, 0x7f
	v_cmp_gt_i16_sdwa s[6:7], v15, s4 src0_sel:BYTE_3 src1_sel:DWORD
	s_mov_b64 s[4:5], 0
                                        ; implicit-def: $sgpr10
	s_and_saveexec_b64 s[8:9], s[6:7]
	s_xor_b64 s[6:7], exec, s[8:9]
	s_cbranch_execnz .LBB55_2105
; %bb.57:
	s_or_saveexec_b64 s[6:7], s[6:7]
	v_mov_b32_e32 v10, s10
	s_xor_b64 exec, exec, s[6:7]
	s_cbranch_execnz .LBB55_2108
.LBB55_58:
	s_or_b64 exec, exec, s[6:7]
	s_and_saveexec_b64 s[6:7], s[4:5]
	s_cbranch_execz .LBB55_60
.LBB55_59:
	v_bfe_u32 v10, v15, 24, 3
	v_ffbh_u32_e32 v22, v10
	v_min_u32_e32 v22, 32, v22
	v_lshrrev_b32_e32 v20, 27, v15
	v_subrev_u32_e32 v23, 28, v22
	v_and_b32_e32 v14, 0x80000000, v15
	v_and_b32_e32 v20, 15, v20
	v_bfe_u32 v21, v15, 27, 4
	v_lshlrev_b32_sdwa v15, v23, v15 dst_sel:DWORD dst_unused:UNUSED_PAD src0_sel:DWORD src1_sel:BYTE_3
	v_sub_u32_e32 v22, 29, v22
	v_and_b32_e32 v15, 7, v15
	v_cmp_eq_u16_e32 vcc, 0, v20
	v_cndmask_b32_e32 v10, v10, v15, vcc
	v_cndmask_b32_e32 v15, v21, v22, vcc
	v_mov_b32_e32 v20, 0x3b800000
	v_lshlrev_b32_e32 v10, 20, v10
	v_lshl_add_u32 v15, v15, 23, v20
	v_or3_b32 v10, v14, v15, v10
.LBB55_60:
	s_or_b64 exec, exec, s[6:7]
	s_movk_i32 s4, 0x7f
	v_cmp_gt_i16_sdwa s[6:7], v11, s4 src0_sel:BYTE_3 src1_sel:DWORD
	s_mov_b64 s[4:5], 0
                                        ; implicit-def: $sgpr10
	s_and_saveexec_b64 s[8:9], s[6:7]
	s_xor_b64 s[6:7], exec, s[8:9]
	s_cbranch_execnz .LBB55_2109
; %bb.61:
	s_or_saveexec_b64 s[6:7], s[6:7]
	v_mov_b32_e32 v14, s10
	s_xor_b64 exec, exec, s[6:7]
	s_cbranch_execnz .LBB55_2112
.LBB55_62:
	s_or_b64 exec, exec, s[6:7]
	s_and_saveexec_b64 s[6:7], s[4:5]
	s_cbranch_execz .LBB55_64
.LBB55_63:
	v_bfe_u32 v14, v11, 24, 3
	v_ffbh_u32_e32 v22, v14
	v_min_u32_e32 v22, 32, v22
	v_lshrrev_b32_e32 v20, 27, v11
	v_subrev_u32_e32 v23, 28, v22
	v_and_b32_e32 v15, 0x80000000, v11
	v_and_b32_e32 v20, 15, v20
	v_bfe_u32 v21, v11, 27, 4
	v_lshlrev_b32_sdwa v11, v23, v11 dst_sel:DWORD dst_unused:UNUSED_PAD src0_sel:DWORD src1_sel:BYTE_3
	v_sub_u32_e32 v22, 29, v22
	v_and_b32_e32 v11, 7, v11
	v_cmp_eq_u16_e32 vcc, 0, v20
	v_cndmask_b32_e32 v11, v14, v11, vcc
	v_cndmask_b32_e32 v14, v21, v22, vcc
	v_mov_b32_e32 v20, 0x3b800000
	v_lshlrev_b32_e32 v11, 20, v11
	v_lshl_add_u32 v14, v14, 23, v20
	v_or3_b32 v14, v15, v14, v11
.LBB55_64:
	s_or_b64 exec, exec, s[6:7]
	s_nop 0
	v_mfma_f32_16x16x4f32 a[0:3], v10, v14, a[0:3]
	s_movk_i32 s4, 0x7f
	v_cmp_gt_i16_sdwa s[6:7], v16, s4 src0_sel:BYTE_0 src1_sel:DWORD
	s_mov_b64 s[4:5], 0
                                        ; implicit-def: $sgpr10
	s_and_saveexec_b64 s[8:9], s[6:7]
	s_xor_b64 s[6:7], exec, s[8:9]
	s_cbranch_execnz .LBB55_2113
; %bb.65:
	s_or_saveexec_b64 s[6:7], s[6:7]
	v_mov_b32_e32 v10, s10
	s_xor_b64 exec, exec, s[6:7]
	s_cbranch_execnz .LBB55_2116
.LBB55_66:
	s_or_b64 exec, exec, s[6:7]
	s_and_saveexec_b64 s[6:7], s[4:5]
	s_cbranch_execz .LBB55_68
.LBB55_67:
	v_and_b32_e32 v10, 7, v16
	v_ffbh_u32_e32 v14, v10
	v_min_u32_e32 v14, 32, v14
	v_lshrrev_b16_e32 v11, 3, v16
	v_subrev_u32_e32 v15, 28, v14
	v_and_b32_e32 v11, 15, v11
	v_lshlrev_b32_e32 v15, v15, v16
	v_sub_u32_e32 v14, 29, v14
	v_and_b32_e32 v15, 7, v15
	v_cmp_eq_u16_e32 vcc, 0, v11
	v_cndmask_b32_e32 v10, v10, v15, vcc
	v_cndmask_b32_e32 v11, v11, v14, vcc
	v_lshlrev_b32_e32 v14, 24, v16
	v_mov_b32_e32 v15, 0x3b800000
	v_lshlrev_b32_e32 v10, 20, v10
	v_and_b32_e32 v14, 0x80000000, v14
	v_lshl_add_u32 v11, v11, 23, v15
	v_or3_b32 v10, v14, v11, v10
.LBB55_68:
	s_or_b64 exec, exec, s[6:7]
	s_movk_i32 s4, 0x7f
	v_cmp_gt_i16_sdwa s[6:7], v12, s4 src0_sel:BYTE_0 src1_sel:DWORD
	s_mov_b64 s[4:5], 0
                                        ; implicit-def: $sgpr10
	s_and_saveexec_b64 s[8:9], s[6:7]
	s_xor_b64 s[6:7], exec, s[8:9]
	s_cbranch_execnz .LBB55_2117
; %bb.69:
	s_or_saveexec_b64 s[6:7], s[6:7]
	v_mov_b32_e32 v11, s10
	s_xor_b64 exec, exec, s[6:7]
	s_cbranch_execnz .LBB55_2120
.LBB55_70:
	s_or_b64 exec, exec, s[6:7]
	s_and_saveexec_b64 s[6:7], s[4:5]
	s_cbranch_execz .LBB55_72
.LBB55_71:
	v_and_b32_e32 v11, 7, v12
	v_ffbh_u32_e32 v15, v11
	v_min_u32_e32 v15, 32, v15
	v_lshrrev_b16_e32 v14, 3, v12
	v_subrev_u32_e32 v20, 28, v15
	v_and_b32_e32 v14, 15, v14
	v_lshlrev_b32_e32 v20, v20, v12
	v_sub_u32_e32 v15, 29, v15
	v_and_b32_e32 v20, 7, v20
	v_cmp_eq_u16_e32 vcc, 0, v14
	v_cndmask_b32_e32 v11, v11, v20, vcc
	v_cndmask_b32_e32 v14, v14, v15, vcc
	v_lshlrev_b32_e32 v15, 24, v12
	v_mov_b32_e32 v20, 0x3b800000
	v_lshlrev_b32_e32 v11, 20, v11
	v_and_b32_e32 v15, 0x80000000, v15
	v_lshl_add_u32 v14, v14, 23, v20
	v_or3_b32 v11, v15, v14, v11
.LBB55_72:
	s_or_b64 exec, exec, s[6:7]
	s_nop 0
	v_mfma_f32_16x16x4f32 a[0:3], v10, v11, a[0:3]
	v_lshrrev_b32_e32 v11, 8, v16
	s_movk_i32 s4, 0x7f
	v_cmp_gt_i16_sdwa s[6:7], v11, s4 src0_sel:BYTE_0 src1_sel:DWORD
	s_mov_b64 s[4:5], 0
                                        ; implicit-def: $sgpr10
	s_and_saveexec_b64 s[8:9], s[6:7]
	s_xor_b64 s[6:7], exec, s[8:9]
	s_cbranch_execnz .LBB55_2121
; %bb.73:
	s_or_saveexec_b64 s[6:7], s[6:7]
	v_mov_b32_e32 v10, s10
	s_xor_b64 exec, exec, s[6:7]
	s_cbranch_execnz .LBB55_2124
.LBB55_74:
	s_or_b64 exec, exec, s[6:7]
	s_and_saveexec_b64 s[6:7], s[4:5]
	s_cbranch_execz .LBB55_76
.LBB55_75:
	v_bfe_u32 v10, v16, 8, 3
	v_ffbh_u32_e32 v15, v10
	v_min_u32_e32 v15, 32, v15
	v_lshrrev_b16_e32 v14, 3, v11
	v_subrev_u32_e32 v20, 28, v15
	v_and_b32_e32 v14, 15, v14
	v_lshlrev_b32_e32 v11, v20, v11
	v_sub_u32_e32 v15, 29, v15
	v_and_b32_e32 v11, 7, v11
	v_cmp_eq_u16_e32 vcc, 0, v14
	v_cndmask_b32_e32 v10, v10, v11, vcc
	v_cndmask_b32_e32 v11, v14, v15, vcc
	v_lshlrev_b32_e32 v14, 16, v16
	v_mov_b32_e32 v15, 0x3b800000
	v_lshlrev_b32_e32 v10, 20, v10
	v_and_b32_e32 v14, 0x80000000, v14
	v_lshl_add_u32 v11, v11, 23, v15
	v_or3_b32 v10, v14, v11, v10
.LBB55_76:
	s_or_b64 exec, exec, s[6:7]
	v_lshrrev_b32_e32 v11, 8, v12
	s_movk_i32 s4, 0x7f
	v_cmp_gt_i16_sdwa s[6:7], v11, s4 src0_sel:BYTE_0 src1_sel:DWORD
	s_mov_b64 s[4:5], 0
                                        ; implicit-def: $sgpr10
	s_and_saveexec_b64 s[8:9], s[6:7]
	s_xor_b64 s[6:7], exec, s[8:9]
	s_cbranch_execnz .LBB55_2125
; %bb.77:
	s_or_saveexec_b64 s[6:7], s[6:7]
	v_mov_b32_e32 v14, s10
	s_xor_b64 exec, exec, s[6:7]
	s_cbranch_execnz .LBB55_2128
.LBB55_78:
	s_or_b64 exec, exec, s[6:7]
	s_and_saveexec_b64 s[6:7], s[4:5]
	s_cbranch_execz .LBB55_80
.LBB55_79:
	v_bfe_u32 v14, v12, 8, 3
	v_ffbh_u32_e32 v20, v14
	v_min_u32_e32 v20, 32, v20
	v_lshrrev_b16_e32 v15, 3, v11
	v_subrev_u32_e32 v21, 28, v20
	v_and_b32_e32 v15, 15, v15
	v_lshlrev_b32_e32 v11, v21, v11
	v_sub_u32_e32 v20, 29, v20
	v_and_b32_e32 v11, 7, v11
	v_cmp_eq_u16_e32 vcc, 0, v15
	v_cndmask_b32_e32 v11, v14, v11, vcc
	v_cndmask_b32_e32 v14, v15, v20, vcc
	v_lshlrev_b32_e32 v15, 16, v12
	v_mov_b32_e32 v20, 0x3b800000
	v_lshlrev_b32_e32 v11, 20, v11
	v_and_b32_e32 v15, 0x80000000, v15
	v_lshl_add_u32 v14, v14, 23, v20
	v_or3_b32 v14, v15, v14, v11
.LBB55_80:
	s_or_b64 exec, exec, s[6:7]
	s_nop 0
	v_mfma_f32_16x16x4f32 a[0:3], v10, v14, a[0:3]
	s_movk_i32 s4, 0xff
	v_and_b32_sdwa v11, v16, s4 dst_sel:DWORD dst_unused:UNUSED_PAD src0_sel:WORD_1 src1_sel:DWORD
	s_movk_i32 s4, 0x7f
	v_cmp_lt_i16_e32 vcc, s4, v11
	s_mov_b64 s[4:5], 0
                                        ; implicit-def: $sgpr10
	s_and_saveexec_b64 s[6:7], vcc
	s_xor_b64 s[6:7], exec, s[6:7]
	s_cbranch_execnz .LBB55_2129
; %bb.81:
	s_or_saveexec_b64 s[6:7], s[6:7]
	v_mov_b32_e32 v10, s10
	s_xor_b64 exec, exec, s[6:7]
	s_cbranch_execnz .LBB55_2132
.LBB55_82:
	s_or_b64 exec, exec, s[6:7]
	s_and_saveexec_b64 s[6:7], s[4:5]
	s_cbranch_execz .LBB55_84
.LBB55_83:
	v_bfe_u32 v10, v16, 16, 3
	v_ffbh_u32_e32 v15, v10
	v_min_u32_e32 v15, 32, v15
	v_lshrrev_b32_e32 v11, 19, v16
	v_subrev_u32_e32 v20, 28, v15
	v_and_b32_e32 v11, 15, v11
	v_lshlrev_b32_sdwa v20, v20, v16 dst_sel:DWORD dst_unused:UNUSED_PAD src0_sel:DWORD src1_sel:WORD_1
	v_bfe_u32 v14, v16, 19, 4
	v_sub_u32_e32 v15, 29, v15
	v_and_b32_e32 v20, 7, v20
	v_cmp_eq_u16_e32 vcc, 0, v11
	v_cndmask_b32_e32 v10, v10, v20, vcc
	v_cndmask_b32_e32 v11, v14, v15, vcc
	v_lshlrev_b32_e32 v14, 8, v16
	v_mov_b32_e32 v15, 0x3b800000
	v_lshlrev_b32_e32 v10, 20, v10
	v_and_b32_e32 v14, 0x80000000, v14
	v_lshl_add_u32 v11, v11, 23, v15
	v_or3_b32 v10, v14, v11, v10
.LBB55_84:
	s_or_b64 exec, exec, s[6:7]
	s_movk_i32 s4, 0xff
	v_and_b32_sdwa v11, v12, s4 dst_sel:DWORD dst_unused:UNUSED_PAD src0_sel:WORD_1 src1_sel:DWORD
	s_movk_i32 s4, 0x7f
	v_cmp_lt_i16_e32 vcc, s4, v11
	s_mov_b64 s[4:5], 0
                                        ; implicit-def: $sgpr10
	s_and_saveexec_b64 s[6:7], vcc
	s_xor_b64 s[6:7], exec, s[6:7]
	s_cbranch_execnz .LBB55_2133
; %bb.85:
	s_or_saveexec_b64 s[6:7], s[6:7]
	v_mov_b32_e32 v14, s10
	s_xor_b64 exec, exec, s[6:7]
	s_cbranch_execnz .LBB55_2136
.LBB55_86:
	s_or_b64 exec, exec, s[6:7]
	s_and_saveexec_b64 s[6:7], s[4:5]
	s_cbranch_execz .LBB55_88
.LBB55_87:
	v_bfe_u32 v11, v12, 16, 3
	v_ffbh_u32_e32 v20, v11
	v_min_u32_e32 v20, 32, v20
	v_lshrrev_b32_e32 v14, 19, v12
	v_subrev_u32_e32 v21, 28, v20
	v_and_b32_e32 v14, 15, v14
	v_lshlrev_b32_sdwa v21, v21, v12 dst_sel:DWORD dst_unused:UNUSED_PAD src0_sel:DWORD src1_sel:WORD_1
	v_bfe_u32 v15, v12, 19, 4
	v_sub_u32_e32 v20, 29, v20
	v_and_b32_e32 v21, 7, v21
	v_cmp_eq_u16_e32 vcc, 0, v14
	v_cndmask_b32_e32 v11, v11, v21, vcc
	v_cndmask_b32_e32 v14, v15, v20, vcc
	v_lshlrev_b32_e32 v15, 8, v12
	v_mov_b32_e32 v20, 0x3b800000
	v_lshlrev_b32_e32 v11, 20, v11
	v_and_b32_e32 v15, 0x80000000, v15
	v_lshl_add_u32 v14, v14, 23, v20
	v_or3_b32 v14, v15, v14, v11
.LBB55_88:
	s_or_b64 exec, exec, s[6:7]
	s_nop 0
	v_mfma_f32_16x16x4f32 a[0:3], v10, v14, a[0:3]
	s_movk_i32 s4, 0x7f
	v_cmp_gt_i16_sdwa s[6:7], v16, s4 src0_sel:BYTE_3 src1_sel:DWORD
	s_mov_b64 s[4:5], 0
                                        ; implicit-def: $sgpr10
	s_and_saveexec_b64 s[8:9], s[6:7]
	s_xor_b64 s[6:7], exec, s[8:9]
	s_cbranch_execnz .LBB55_2137
; %bb.89:
	s_or_saveexec_b64 s[6:7], s[6:7]
	v_mov_b32_e32 v10, s10
	s_xor_b64 exec, exec, s[6:7]
	s_cbranch_execnz .LBB55_2140
.LBB55_90:
	s_or_b64 exec, exec, s[6:7]
	s_and_saveexec_b64 s[6:7], s[4:5]
	s_cbranch_execz .LBB55_92
.LBB55_91:
	v_bfe_u32 v10, v16, 24, 3
	v_ffbh_u32_e32 v20, v10
	v_min_u32_e32 v20, 32, v20
	v_lshrrev_b32_e32 v14, 27, v16
	v_subrev_u32_e32 v21, 28, v20
	v_and_b32_e32 v11, 0x80000000, v16
	v_and_b32_e32 v14, 15, v14
	v_bfe_u32 v15, v16, 27, 4
	v_lshlrev_b32_sdwa v16, v21, v16 dst_sel:DWORD dst_unused:UNUSED_PAD src0_sel:DWORD src1_sel:BYTE_3
	v_sub_u32_e32 v20, 29, v20
	v_and_b32_e32 v16, 7, v16
	v_cmp_eq_u16_e32 vcc, 0, v14
	v_cndmask_b32_e32 v10, v10, v16, vcc
	v_cndmask_b32_e32 v14, v15, v20, vcc
	v_mov_b32_e32 v15, 0x3b800000
	v_lshlrev_b32_e32 v10, 20, v10
	v_lshl_add_u32 v14, v14, 23, v15
	v_or3_b32 v10, v11, v14, v10
.LBB55_92:
	s_or_b64 exec, exec, s[6:7]
	s_movk_i32 s4, 0x7f
	v_cmp_gt_i16_sdwa s[6:7], v12, s4 src0_sel:BYTE_3 src1_sel:DWORD
	s_mov_b64 s[4:5], 0
                                        ; implicit-def: $sgpr10
	s_and_saveexec_b64 s[8:9], s[6:7]
	s_xor_b64 s[6:7], exec, s[8:9]
	s_cbranch_execnz .LBB55_2141
; %bb.93:
	s_or_saveexec_b64 s[6:7], s[6:7]
	v_mov_b32_e32 v11, s10
	s_xor_b64 exec, exec, s[6:7]
	s_cbranch_execnz .LBB55_2144
.LBB55_94:
	s_or_b64 exec, exec, s[6:7]
	s_and_saveexec_b64 s[6:7], s[4:5]
	s_cbranch_execz .LBB55_96
.LBB55_95:
	v_bfe_u32 v11, v12, 24, 3
	v_ffbh_u32_e32 v20, v11
	v_min_u32_e32 v20, 32, v20
	v_lshrrev_b32_e32 v15, 27, v12
	v_subrev_u32_e32 v21, 28, v20
	v_and_b32_e32 v14, 0x80000000, v12
	v_and_b32_e32 v15, 15, v15
	v_bfe_u32 v16, v12, 27, 4
	v_lshlrev_b32_sdwa v12, v21, v12 dst_sel:DWORD dst_unused:UNUSED_PAD src0_sel:DWORD src1_sel:BYTE_3
	v_sub_u32_e32 v20, 29, v20
	v_and_b32_e32 v12, 7, v12
	v_cmp_eq_u16_e32 vcc, 0, v15
	v_cndmask_b32_e32 v11, v11, v12, vcc
	v_cndmask_b32_e32 v12, v16, v20, vcc
	v_mov_b32_e32 v15, 0x3b800000
	v_lshlrev_b32_e32 v11, 20, v11
	v_lshl_add_u32 v12, v12, 23, v15
	v_or3_b32 v11, v14, v12, v11
.LBB55_96:
	s_or_b64 exec, exec, s[6:7]
	s_nop 0
	v_mfma_f32_16x16x4f32 a[0:3], v10, v11, a[0:3]
	s_movk_i32 s4, 0x7f
	v_cmp_gt_i16_sdwa s[6:7], v17, s4 src0_sel:BYTE_0 src1_sel:DWORD
	s_mov_b64 s[4:5], 0
                                        ; implicit-def: $sgpr10
	s_and_saveexec_b64 s[8:9], s[6:7]
	s_xor_b64 s[6:7], exec, s[8:9]
	s_cbranch_execnz .LBB55_2145
; %bb.97:
	s_or_saveexec_b64 s[6:7], s[6:7]
	v_mov_b32_e32 v10, s10
	s_xor_b64 exec, exec, s[6:7]
	s_cbranch_execnz .LBB55_2148
.LBB55_98:
	s_or_b64 exec, exec, s[6:7]
	s_and_saveexec_b64 s[6:7], s[4:5]
	s_cbranch_execz .LBB55_100
.LBB55_99:
	v_and_b32_e32 v10, 7, v17
	v_ffbh_u32_e32 v12, v10
	v_min_u32_e32 v12, 32, v12
	v_lshrrev_b16_e32 v11, 3, v17
	v_subrev_u32_e32 v14, 28, v12
	v_and_b32_e32 v11, 15, v11
	v_lshlrev_b32_e32 v14, v14, v17
	v_sub_u32_e32 v12, 29, v12
	v_and_b32_e32 v14, 7, v14
	v_cmp_eq_u16_e32 vcc, 0, v11
	v_cndmask_b32_e32 v10, v10, v14, vcc
	v_cndmask_b32_e32 v11, v11, v12, vcc
	v_lshlrev_b32_e32 v12, 24, v17
	v_mov_b32_e32 v14, 0x3b800000
	v_lshlrev_b32_e32 v10, 20, v10
	v_and_b32_e32 v12, 0x80000000, v12
	v_lshl_add_u32 v11, v11, 23, v14
	v_or3_b32 v10, v12, v11, v10
.LBB55_100:
	s_or_b64 exec, exec, s[6:7]
	s_movk_i32 s4, 0x7f
	v_cmp_gt_i16_sdwa s[6:7], v13, s4 src0_sel:BYTE_0 src1_sel:DWORD
	s_mov_b64 s[4:5], 0
                                        ; implicit-def: $sgpr10
	s_and_saveexec_b64 s[8:9], s[6:7]
	s_xor_b64 s[6:7], exec, s[8:9]
	s_cbranch_execnz .LBB55_2149
; %bb.101:
	s_or_saveexec_b64 s[6:7], s[6:7]
	v_mov_b32_e32 v11, s10
	s_xor_b64 exec, exec, s[6:7]
	s_cbranch_execnz .LBB55_2152
.LBB55_102:
	s_or_b64 exec, exec, s[6:7]
	s_and_saveexec_b64 s[6:7], s[4:5]
	s_cbranch_execz .LBB55_104
.LBB55_103:
	v_and_b32_e32 v11, 7, v13
	v_ffbh_u32_e32 v14, v11
	v_min_u32_e32 v14, 32, v14
	v_lshrrev_b16_e32 v12, 3, v13
	v_subrev_u32_e32 v15, 28, v14
	v_and_b32_e32 v12, 15, v12
	v_lshlrev_b32_e32 v15, v15, v13
	v_sub_u32_e32 v14, 29, v14
	v_and_b32_e32 v15, 7, v15
	v_cmp_eq_u16_e32 vcc, 0, v12
	v_cndmask_b32_e32 v11, v11, v15, vcc
	v_cndmask_b32_e32 v12, v12, v14, vcc
	v_lshlrev_b32_e32 v14, 24, v13
	v_mov_b32_e32 v15, 0x3b800000
	v_lshlrev_b32_e32 v11, 20, v11
	v_and_b32_e32 v14, 0x80000000, v14
	v_lshl_add_u32 v12, v12, 23, v15
	v_or3_b32 v11, v14, v12, v11
.LBB55_104:
	s_or_b64 exec, exec, s[6:7]
	s_nop 0
	v_mfma_f32_16x16x4f32 a[0:3], v10, v11, a[0:3]
	v_lshrrev_b32_e32 v11, 8, v17
	s_movk_i32 s4, 0x7f
	v_cmp_gt_i16_sdwa s[6:7], v11, s4 src0_sel:BYTE_0 src1_sel:DWORD
	s_mov_b64 s[4:5], 0
                                        ; implicit-def: $sgpr10
	s_and_saveexec_b64 s[8:9], s[6:7]
	s_xor_b64 s[6:7], exec, s[8:9]
	s_cbranch_execnz .LBB55_2153
; %bb.105:
	s_or_saveexec_b64 s[6:7], s[6:7]
	v_mov_b32_e32 v10, s10
	s_xor_b64 exec, exec, s[6:7]
	s_cbranch_execnz .LBB55_2156
.LBB55_106:
	s_or_b64 exec, exec, s[6:7]
	s_and_saveexec_b64 s[6:7], s[4:5]
	s_cbranch_execz .LBB55_108
.LBB55_107:
	v_bfe_u32 v10, v17, 8, 3
	v_ffbh_u32_e32 v14, v10
	v_min_u32_e32 v14, 32, v14
	v_lshrrev_b16_e32 v12, 3, v11
	v_subrev_u32_e32 v15, 28, v14
	v_and_b32_e32 v12, 15, v12
	v_lshlrev_b32_e32 v11, v15, v11
	v_sub_u32_e32 v14, 29, v14
	v_and_b32_e32 v11, 7, v11
	v_cmp_eq_u16_e32 vcc, 0, v12
	v_cndmask_b32_e32 v10, v10, v11, vcc
	v_cndmask_b32_e32 v11, v12, v14, vcc
	v_lshlrev_b32_e32 v12, 16, v17
	v_mov_b32_e32 v14, 0x3b800000
	v_lshlrev_b32_e32 v10, 20, v10
	v_and_b32_e32 v12, 0x80000000, v12
	v_lshl_add_u32 v11, v11, 23, v14
	v_or3_b32 v10, v12, v11, v10
.LBB55_108:
	s_or_b64 exec, exec, s[6:7]
	v_lshrrev_b32_e32 v11, 8, v13
	s_movk_i32 s4, 0x7f
	v_cmp_gt_i16_sdwa s[6:7], v11, s4 src0_sel:BYTE_0 src1_sel:DWORD
	s_mov_b64 s[4:5], 0
                                        ; implicit-def: $sgpr10
	s_and_saveexec_b64 s[8:9], s[6:7]
	s_xor_b64 s[6:7], exec, s[8:9]
	s_cbranch_execnz .LBB55_2157
; %bb.109:
	s_or_saveexec_b64 s[6:7], s[6:7]
	v_mov_b32_e32 v12, s10
	s_xor_b64 exec, exec, s[6:7]
	s_cbranch_execnz .LBB55_2160
.LBB55_110:
	s_or_b64 exec, exec, s[6:7]
	s_and_saveexec_b64 s[6:7], s[4:5]
	s_cbranch_execz .LBB55_112
.LBB55_111:
	v_bfe_u32 v12, v13, 8, 3
	v_ffbh_u32_e32 v15, v12
	v_min_u32_e32 v15, 32, v15
	v_lshrrev_b16_e32 v14, 3, v11
	v_subrev_u32_e32 v16, 28, v15
	v_and_b32_e32 v14, 15, v14
	v_lshlrev_b32_e32 v11, v16, v11
	v_sub_u32_e32 v15, 29, v15
	v_and_b32_e32 v11, 7, v11
	v_cmp_eq_u16_e32 vcc, 0, v14
	v_cndmask_b32_e32 v11, v12, v11, vcc
	v_cndmask_b32_e32 v12, v14, v15, vcc
	v_lshlrev_b32_e32 v14, 16, v13
	v_mov_b32_e32 v15, 0x3b800000
	v_lshlrev_b32_e32 v11, 20, v11
	v_and_b32_e32 v14, 0x80000000, v14
	v_lshl_add_u32 v12, v12, 23, v15
	v_or3_b32 v12, v14, v12, v11
.LBB55_112:
	s_or_b64 exec, exec, s[6:7]
	s_nop 0
	v_mfma_f32_16x16x4f32 a[0:3], v10, v12, a[0:3]
	s_movk_i32 s4, 0xff
	v_and_b32_sdwa v11, v17, s4 dst_sel:DWORD dst_unused:UNUSED_PAD src0_sel:WORD_1 src1_sel:DWORD
	s_movk_i32 s4, 0x7f
	v_cmp_lt_i16_e32 vcc, s4, v11
	s_mov_b64 s[4:5], 0
                                        ; implicit-def: $sgpr10
	s_and_saveexec_b64 s[6:7], vcc
	s_xor_b64 s[6:7], exec, s[6:7]
	s_cbranch_execnz .LBB55_2161
; %bb.113:
	s_or_saveexec_b64 s[6:7], s[6:7]
	v_mov_b32_e32 v10, s10
	s_xor_b64 exec, exec, s[6:7]
	s_cbranch_execnz .LBB55_2164
.LBB55_114:
	s_or_b64 exec, exec, s[6:7]
	s_and_saveexec_b64 s[6:7], s[4:5]
	s_cbranch_execz .LBB55_116
.LBB55_115:
	v_bfe_u32 v10, v17, 16, 3
	v_ffbh_u32_e32 v14, v10
	v_min_u32_e32 v14, 32, v14
	v_lshrrev_b32_e32 v11, 19, v17
	v_subrev_u32_e32 v15, 28, v14
	v_and_b32_e32 v11, 15, v11
	v_lshlrev_b32_sdwa v15, v15, v17 dst_sel:DWORD dst_unused:UNUSED_PAD src0_sel:DWORD src1_sel:WORD_1
	v_bfe_u32 v12, v17, 19, 4
	v_sub_u32_e32 v14, 29, v14
	v_and_b32_e32 v15, 7, v15
	v_cmp_eq_u16_e32 vcc, 0, v11
	v_cndmask_b32_e32 v10, v10, v15, vcc
	v_cndmask_b32_e32 v11, v12, v14, vcc
	v_lshlrev_b32_e32 v12, 8, v17
	v_mov_b32_e32 v14, 0x3b800000
	v_lshlrev_b32_e32 v10, 20, v10
	v_and_b32_e32 v12, 0x80000000, v12
	v_lshl_add_u32 v11, v11, 23, v14
	v_or3_b32 v10, v12, v11, v10
.LBB55_116:
	s_or_b64 exec, exec, s[6:7]
	s_movk_i32 s4, 0xff
	v_and_b32_sdwa v11, v13, s4 dst_sel:DWORD dst_unused:UNUSED_PAD src0_sel:WORD_1 src1_sel:DWORD
	s_movk_i32 s4, 0x7f
	v_cmp_lt_i16_e32 vcc, s4, v11
	s_mov_b64 s[4:5], 0
                                        ; implicit-def: $sgpr10
	s_and_saveexec_b64 s[6:7], vcc
	s_xor_b64 s[6:7], exec, s[6:7]
	s_cbranch_execnz .LBB55_2165
; %bb.117:
	s_or_saveexec_b64 s[6:7], s[6:7]
	v_mov_b32_e32 v12, s10
	s_xor_b64 exec, exec, s[6:7]
	s_cbranch_execnz .LBB55_2168
.LBB55_118:
	s_or_b64 exec, exec, s[6:7]
	s_and_saveexec_b64 s[6:7], s[4:5]
	s_cbranch_execz .LBB55_120
.LBB55_119:
	v_bfe_u32 v11, v13, 16, 3
	v_ffbh_u32_e32 v15, v11
	v_min_u32_e32 v15, 32, v15
	v_lshrrev_b32_e32 v12, 19, v13
	v_subrev_u32_e32 v16, 28, v15
	v_and_b32_e32 v12, 15, v12
	v_lshlrev_b32_sdwa v16, v16, v13 dst_sel:DWORD dst_unused:UNUSED_PAD src0_sel:DWORD src1_sel:WORD_1
	v_bfe_u32 v14, v13, 19, 4
	v_sub_u32_e32 v15, 29, v15
	v_and_b32_e32 v16, 7, v16
	v_cmp_eq_u16_e32 vcc, 0, v12
	v_cndmask_b32_e32 v11, v11, v16, vcc
	v_cndmask_b32_e32 v12, v14, v15, vcc
	v_lshlrev_b32_e32 v14, 8, v13
	v_mov_b32_e32 v15, 0x3b800000
	v_lshlrev_b32_e32 v11, 20, v11
	v_and_b32_e32 v14, 0x80000000, v14
	v_lshl_add_u32 v12, v12, 23, v15
	v_or3_b32 v12, v14, v12, v11
.LBB55_120:
	s_or_b64 exec, exec, s[6:7]
	s_nop 0
	v_mfma_f32_16x16x4f32 a[0:3], v10, v12, a[0:3]
	s_movk_i32 s4, 0x7f
	v_cmp_gt_i16_sdwa s[6:7], v17, s4 src0_sel:BYTE_3 src1_sel:DWORD
	s_mov_b64 s[4:5], 0
                                        ; implicit-def: $sgpr10
	s_and_saveexec_b64 s[8:9], s[6:7]
	s_xor_b64 s[6:7], exec, s[8:9]
	s_cbranch_execnz .LBB55_2169
; %bb.121:
	s_or_saveexec_b64 s[6:7], s[6:7]
	v_mov_b32_e32 v10, s10
	s_xor_b64 exec, exec, s[6:7]
	s_cbranch_execnz .LBB55_2172
.LBB55_122:
	s_or_b64 exec, exec, s[6:7]
	s_and_saveexec_b64 s[6:7], s[4:5]
	s_cbranch_execz .LBB55_124
.LBB55_123:
	v_bfe_u32 v10, v17, 24, 3
	v_ffbh_u32_e32 v15, v10
	v_min_u32_e32 v15, 32, v15
	v_lshrrev_b32_e32 v12, 27, v17
	v_subrev_u32_e32 v16, 28, v15
	v_and_b32_e32 v12, 15, v12
	v_lshlrev_b32_sdwa v16, v16, v17 dst_sel:DWORD dst_unused:UNUSED_PAD src0_sel:DWORD src1_sel:BYTE_3
	v_bfe_u32 v14, v17, 27, 4
	v_sub_u32_e32 v15, 29, v15
	v_and_b32_e32 v16, 7, v16
	v_cmp_eq_u16_e32 vcc, 0, v12
	v_cndmask_b32_e32 v10, v10, v16, vcc
	v_cndmask_b32_e32 v12, v14, v15, vcc
	v_mov_b32_e32 v14, 0x3b800000
	v_and_b32_e32 v11, 0x80000000, v17
	v_lshlrev_b32_e32 v10, 20, v10
	v_lshl_add_u32 v12, v12, 23, v14
	v_or3_b32 v10, v11, v12, v10
.LBB55_124:
	s_or_b64 exec, exec, s[6:7]
	s_movk_i32 s4, 0x7f
	v_cmp_gt_i16_sdwa s[6:7], v13, s4 src0_sel:BYTE_3 src1_sel:DWORD
	s_mov_b64 s[4:5], 0
                                        ; implicit-def: $sgpr10
	s_and_saveexec_b64 s[8:9], s[6:7]
	s_xor_b64 s[6:7], exec, s[8:9]
	s_cbranch_execnz .LBB55_2173
; %bb.125:
	s_or_saveexec_b64 s[6:7], s[6:7]
	v_mov_b32_e32 v11, s10
	s_xor_b64 exec, exec, s[6:7]
	s_cbranch_execnz .LBB55_2176
.LBB55_126:
	s_or_b64 exec, exec, s[6:7]
	s_and_saveexec_b64 s[6:7], s[4:5]
	s_cbranch_execz .LBB55_128
.LBB55_127:
	v_bfe_u32 v11, v13, 24, 3
	v_ffbh_u32_e32 v16, v11
	v_min_u32_e32 v16, 32, v16
	v_lshrrev_b32_e32 v14, 27, v13
	v_subrev_u32_e32 v17, 28, v16
	v_and_b32_e32 v12, 0x80000000, v13
	v_and_b32_e32 v14, 15, v14
	v_bfe_u32 v15, v13, 27, 4
	v_lshlrev_b32_sdwa v13, v17, v13 dst_sel:DWORD dst_unused:UNUSED_PAD src0_sel:DWORD src1_sel:BYTE_3
	v_sub_u32_e32 v16, 29, v16
	v_and_b32_e32 v13, 7, v13
	v_cmp_eq_u16_e32 vcc, 0, v14
	v_cndmask_b32_e32 v11, v11, v13, vcc
	v_cndmask_b32_e32 v13, v15, v16, vcc
	v_mov_b32_e32 v14, 0x3b800000
	v_lshlrev_b32_e32 v11, 20, v11
	v_lshl_add_u32 v13, v13, 23, v14
	v_or3_b32 v11, v12, v13, v11
.LBB55_128:
	s_or_b64 exec, exec, s[6:7]
	s_nop 0
	v_mfma_f32_16x16x4f32 a[0:3], v10, v11, a[0:3]
	s_movk_i32 s4, 0x7f
	v_cmp_gt_i16_sdwa s[6:7], v6, s4 src0_sel:BYTE_0 src1_sel:DWORD
	s_mov_b64 s[4:5], 0
                                        ; implicit-def: $sgpr10
	s_and_saveexec_b64 s[8:9], s[6:7]
	s_xor_b64 s[6:7], exec, s[8:9]
	s_cbranch_execnz .LBB55_2177
; %bb.129:
	s_or_saveexec_b64 s[6:7], s[6:7]
	v_mov_b32_e32 v10, s10
	s_xor_b64 exec, exec, s[6:7]
	s_cbranch_execnz .LBB55_2180
.LBB55_130:
	s_or_b64 exec, exec, s[6:7]
	s_and_saveexec_b64 s[6:7], s[4:5]
	s_cbranch_execz .LBB55_132
.LBB55_131:
	v_and_b32_e32 v10, 7, v6
	v_ffbh_u32_e32 v12, v10
	v_min_u32_e32 v12, 32, v12
	v_lshrrev_b16_e32 v11, 3, v6
	v_subrev_u32_e32 v13, 28, v12
	v_and_b32_e32 v11, 15, v11
	v_lshlrev_b32_e32 v13, v13, v6
	v_sub_u32_e32 v12, 29, v12
	v_and_b32_e32 v13, 7, v13
	v_cmp_eq_u16_e32 vcc, 0, v11
	v_cndmask_b32_e32 v10, v10, v13, vcc
	v_cndmask_b32_e32 v11, v11, v12, vcc
	v_lshlrev_b32_e32 v12, 24, v6
	v_mov_b32_e32 v13, 0x3b800000
	v_lshlrev_b32_e32 v10, 20, v10
	v_and_b32_e32 v12, 0x80000000, v12
	v_lshl_add_u32 v11, v11, 23, v13
	v_or3_b32 v10, v12, v11, v10
.LBB55_132:
	s_or_b64 exec, exec, s[6:7]
	s_movk_i32 s4, 0x7f
	v_cmp_gt_i16_sdwa s[6:7], v2, s4 src0_sel:BYTE_0 src1_sel:DWORD
	s_mov_b64 s[4:5], 0
                                        ; implicit-def: $sgpr10
	s_and_saveexec_b64 s[8:9], s[6:7]
	s_xor_b64 s[6:7], exec, s[8:9]
	s_cbranch_execnz .LBB55_2181
; %bb.133:
	s_or_saveexec_b64 s[6:7], s[6:7]
	v_mov_b32_e32 v11, s10
	s_xor_b64 exec, exec, s[6:7]
	s_cbranch_execnz .LBB55_2184
.LBB55_134:
	s_or_b64 exec, exec, s[6:7]
	s_and_saveexec_b64 s[6:7], s[4:5]
	s_cbranch_execz .LBB55_136
.LBB55_135:
	v_and_b32_e32 v11, 7, v2
	v_ffbh_u32_e32 v13, v11
	v_min_u32_e32 v13, 32, v13
	v_lshrrev_b16_e32 v12, 3, v2
	v_subrev_u32_e32 v14, 28, v13
	v_and_b32_e32 v12, 15, v12
	v_lshlrev_b32_e32 v14, v14, v2
	v_sub_u32_e32 v13, 29, v13
	v_and_b32_e32 v14, 7, v14
	v_cmp_eq_u16_e32 vcc, 0, v12
	v_cndmask_b32_e32 v11, v11, v14, vcc
	v_cndmask_b32_e32 v12, v12, v13, vcc
	v_lshlrev_b32_e32 v13, 24, v2
	v_mov_b32_e32 v14, 0x3b800000
	v_lshlrev_b32_e32 v11, 20, v11
	v_and_b32_e32 v13, 0x80000000, v13
	v_lshl_add_u32 v12, v12, 23, v14
	v_or3_b32 v11, v13, v12, v11
.LBB55_136:
	s_or_b64 exec, exec, s[6:7]
	s_nop 0
	v_mfma_f32_16x16x4f32 a[0:3], v10, v11, a[0:3]
	v_lshrrev_b32_e32 v11, 8, v6
	s_movk_i32 s4, 0x7f
	v_cmp_gt_i16_sdwa s[6:7], v11, s4 src0_sel:BYTE_0 src1_sel:DWORD
	s_mov_b64 s[4:5], 0
                                        ; implicit-def: $sgpr10
	s_and_saveexec_b64 s[8:9], s[6:7]
	s_xor_b64 s[6:7], exec, s[8:9]
	s_cbranch_execnz .LBB55_2185
; %bb.137:
	s_or_saveexec_b64 s[6:7], s[6:7]
	v_mov_b32_e32 v10, s10
	s_xor_b64 exec, exec, s[6:7]
	s_cbranch_execnz .LBB55_2188
.LBB55_138:
	s_or_b64 exec, exec, s[6:7]
	s_and_saveexec_b64 s[6:7], s[4:5]
	s_cbranch_execz .LBB55_140
.LBB55_139:
	v_bfe_u32 v10, v6, 8, 3
	v_ffbh_u32_e32 v13, v10
	v_min_u32_e32 v13, 32, v13
	v_lshrrev_b16_e32 v12, 3, v11
	v_subrev_u32_e32 v14, 28, v13
	v_and_b32_e32 v12, 15, v12
	v_lshlrev_b32_e32 v11, v14, v11
	v_sub_u32_e32 v13, 29, v13
	v_and_b32_e32 v11, 7, v11
	v_cmp_eq_u16_e32 vcc, 0, v12
	v_cndmask_b32_e32 v10, v10, v11, vcc
	v_cndmask_b32_e32 v11, v12, v13, vcc
	v_lshlrev_b32_e32 v12, 16, v6
	v_mov_b32_e32 v13, 0x3b800000
	v_lshlrev_b32_e32 v10, 20, v10
	v_and_b32_e32 v12, 0x80000000, v12
	v_lshl_add_u32 v11, v11, 23, v13
	v_or3_b32 v10, v12, v11, v10
.LBB55_140:
	s_or_b64 exec, exec, s[6:7]
	v_lshrrev_b32_e32 v11, 8, v2
	s_movk_i32 s4, 0x7f
	v_cmp_gt_i16_sdwa s[6:7], v11, s4 src0_sel:BYTE_0 src1_sel:DWORD
	s_mov_b64 s[4:5], 0
                                        ; implicit-def: $sgpr10
	s_and_saveexec_b64 s[8:9], s[6:7]
	s_xor_b64 s[6:7], exec, s[8:9]
	s_cbranch_execnz .LBB55_2189
; %bb.141:
	s_or_saveexec_b64 s[6:7], s[6:7]
	v_mov_b32_e32 v12, s10
	s_xor_b64 exec, exec, s[6:7]
	s_cbranch_execnz .LBB55_2192
.LBB55_142:
	s_or_b64 exec, exec, s[6:7]
	s_and_saveexec_b64 s[6:7], s[4:5]
	s_cbranch_execz .LBB55_144
.LBB55_143:
	v_bfe_u32 v12, v2, 8, 3
	v_ffbh_u32_e32 v14, v12
	v_min_u32_e32 v14, 32, v14
	v_lshrrev_b16_e32 v13, 3, v11
	v_subrev_u32_e32 v15, 28, v14
	v_and_b32_e32 v13, 15, v13
	v_lshlrev_b32_e32 v11, v15, v11
	v_sub_u32_e32 v14, 29, v14
	v_and_b32_e32 v11, 7, v11
	v_cmp_eq_u16_e32 vcc, 0, v13
	v_cndmask_b32_e32 v11, v12, v11, vcc
	v_cndmask_b32_e32 v12, v13, v14, vcc
	v_lshlrev_b32_e32 v13, 16, v2
	v_mov_b32_e32 v14, 0x3b800000
	v_lshlrev_b32_e32 v11, 20, v11
	v_and_b32_e32 v13, 0x80000000, v13
	v_lshl_add_u32 v12, v12, 23, v14
	v_or3_b32 v12, v13, v12, v11
.LBB55_144:
	s_or_b64 exec, exec, s[6:7]
	s_nop 0
	v_mfma_f32_16x16x4f32 a[0:3], v10, v12, a[0:3]
	s_movk_i32 s4, 0xff
	v_and_b32_sdwa v11, v6, s4 dst_sel:DWORD dst_unused:UNUSED_PAD src0_sel:WORD_1 src1_sel:DWORD
	s_movk_i32 s4, 0x7f
	v_cmp_lt_i16_e32 vcc, s4, v11
	s_mov_b64 s[4:5], 0
                                        ; implicit-def: $sgpr10
	s_and_saveexec_b64 s[6:7], vcc
	s_xor_b64 s[6:7], exec, s[6:7]
	s_cbranch_execnz .LBB55_2193
; %bb.145:
	s_or_saveexec_b64 s[6:7], s[6:7]
	v_mov_b32_e32 v10, s10
	s_xor_b64 exec, exec, s[6:7]
	s_cbranch_execnz .LBB55_2196
.LBB55_146:
	s_or_b64 exec, exec, s[6:7]
	s_and_saveexec_b64 s[6:7], s[4:5]
	s_cbranch_execz .LBB55_148
.LBB55_147:
	v_bfe_u32 v10, v6, 16, 3
	v_ffbh_u32_e32 v13, v10
	v_min_u32_e32 v13, 32, v13
	v_lshrrev_b32_e32 v11, 19, v6
	v_subrev_u32_e32 v14, 28, v13
	v_and_b32_e32 v11, 15, v11
	v_lshlrev_b32_sdwa v14, v14, v6 dst_sel:DWORD dst_unused:UNUSED_PAD src0_sel:DWORD src1_sel:WORD_1
	v_bfe_u32 v12, v6, 19, 4
	v_sub_u32_e32 v13, 29, v13
	v_and_b32_e32 v14, 7, v14
	v_cmp_eq_u16_e32 vcc, 0, v11
	v_cndmask_b32_e32 v10, v10, v14, vcc
	v_cndmask_b32_e32 v11, v12, v13, vcc
	v_lshlrev_b32_e32 v12, 8, v6
	v_mov_b32_e32 v13, 0x3b800000
	v_lshlrev_b32_e32 v10, 20, v10
	v_and_b32_e32 v12, 0x80000000, v12
	v_lshl_add_u32 v11, v11, 23, v13
	v_or3_b32 v10, v12, v11, v10
.LBB55_148:
	s_or_b64 exec, exec, s[6:7]
	s_movk_i32 s4, 0xff
	v_and_b32_sdwa v11, v2, s4 dst_sel:DWORD dst_unused:UNUSED_PAD src0_sel:WORD_1 src1_sel:DWORD
	s_movk_i32 s4, 0x7f
	v_cmp_lt_i16_e32 vcc, s4, v11
	s_mov_b64 s[4:5], 0
                                        ; implicit-def: $sgpr10
	s_and_saveexec_b64 s[6:7], vcc
	s_xor_b64 s[6:7], exec, s[6:7]
	s_cbranch_execnz .LBB55_2197
; %bb.149:
	s_or_saveexec_b64 s[6:7], s[6:7]
	v_mov_b32_e32 v12, s10
	s_xor_b64 exec, exec, s[6:7]
	s_cbranch_execnz .LBB55_2200
.LBB55_150:
	s_or_b64 exec, exec, s[6:7]
	s_and_saveexec_b64 s[6:7], s[4:5]
	s_cbranch_execz .LBB55_152
.LBB55_151:
	v_bfe_u32 v11, v2, 16, 3
	v_ffbh_u32_e32 v14, v11
	v_min_u32_e32 v14, 32, v14
	v_lshrrev_b32_e32 v12, 19, v2
	v_subrev_u32_e32 v15, 28, v14
	v_and_b32_e32 v12, 15, v12
	v_lshlrev_b32_sdwa v15, v15, v2 dst_sel:DWORD dst_unused:UNUSED_PAD src0_sel:DWORD src1_sel:WORD_1
	v_bfe_u32 v13, v2, 19, 4
	v_sub_u32_e32 v14, 29, v14
	v_and_b32_e32 v15, 7, v15
	v_cmp_eq_u16_e32 vcc, 0, v12
	v_cndmask_b32_e32 v11, v11, v15, vcc
	v_cndmask_b32_e32 v12, v13, v14, vcc
	v_lshlrev_b32_e32 v13, 8, v2
	v_mov_b32_e32 v14, 0x3b800000
	v_lshlrev_b32_e32 v11, 20, v11
	v_and_b32_e32 v13, 0x80000000, v13
	v_lshl_add_u32 v12, v12, 23, v14
	v_or3_b32 v12, v13, v12, v11
.LBB55_152:
	s_or_b64 exec, exec, s[6:7]
	s_nop 0
	v_mfma_f32_16x16x4f32 a[0:3], v10, v12, a[0:3]
	s_movk_i32 s4, 0x7f
	v_cmp_gt_i16_sdwa s[6:7], v6, s4 src0_sel:BYTE_3 src1_sel:DWORD
	s_mov_b64 s[4:5], 0
                                        ; implicit-def: $sgpr10
	s_and_saveexec_b64 s[8:9], s[6:7]
	s_xor_b64 s[6:7], exec, s[8:9]
	s_cbranch_execnz .LBB55_2201
; %bb.153:
	s_or_saveexec_b64 s[6:7], s[6:7]
	v_mov_b32_e32 v10, s10
	s_xor_b64 exec, exec, s[6:7]
	s_cbranch_execnz .LBB55_2204
.LBB55_154:
	s_or_b64 exec, exec, s[6:7]
	s_and_saveexec_b64 s[6:7], s[4:5]
	s_cbranch_execz .LBB55_156
.LBB55_155:
	v_bfe_u32 v10, v6, 24, 3
	v_ffbh_u32_e32 v14, v10
	v_min_u32_e32 v14, 32, v14
	v_lshrrev_b32_e32 v12, 27, v6
	v_subrev_u32_e32 v15, 28, v14
	v_and_b32_e32 v11, 0x80000000, v6
	v_and_b32_e32 v12, 15, v12
	v_bfe_u32 v13, v6, 27, 4
	v_lshlrev_b32_sdwa v6, v15, v6 dst_sel:DWORD dst_unused:UNUSED_PAD src0_sel:DWORD src1_sel:BYTE_3
	v_sub_u32_e32 v14, 29, v14
	v_and_b32_e32 v6, 7, v6
	v_cmp_eq_u16_e32 vcc, 0, v12
	v_cndmask_b32_e32 v6, v10, v6, vcc
	v_cndmask_b32_e32 v10, v13, v14, vcc
	v_mov_b32_e32 v12, 0x3b800000
	v_lshlrev_b32_e32 v6, 20, v6
	v_lshl_add_u32 v10, v10, 23, v12
	v_or3_b32 v10, v11, v10, v6
.LBB55_156:
	s_or_b64 exec, exec, s[6:7]
	s_movk_i32 s4, 0x7f
	v_cmp_gt_i16_sdwa s[6:7], v2, s4 src0_sel:BYTE_3 src1_sel:DWORD
	s_mov_b64 s[4:5], 0
                                        ; implicit-def: $sgpr10
	s_and_saveexec_b64 s[8:9], s[6:7]
	s_xor_b64 s[6:7], exec, s[8:9]
	s_cbranch_execnz .LBB55_2205
; %bb.157:
	s_or_saveexec_b64 s[6:7], s[6:7]
	v_mov_b32_e32 v6, s10
	s_xor_b64 exec, exec, s[6:7]
	s_cbranch_execnz .LBB55_2208
.LBB55_158:
	s_or_b64 exec, exec, s[6:7]
	s_and_saveexec_b64 s[6:7], s[4:5]
	s_cbranch_execz .LBB55_160
.LBB55_159:
	v_bfe_u32 v6, v2, 24, 3
	v_ffbh_u32_e32 v14, v6
	v_min_u32_e32 v14, 32, v14
	v_lshrrev_b32_e32 v12, 27, v2
	v_subrev_u32_e32 v15, 28, v14
	v_and_b32_e32 v11, 0x80000000, v2
	v_and_b32_e32 v12, 15, v12
	v_bfe_u32 v13, v2, 27, 4
	v_lshlrev_b32_sdwa v2, v15, v2 dst_sel:DWORD dst_unused:UNUSED_PAD src0_sel:DWORD src1_sel:BYTE_3
	v_sub_u32_e32 v14, 29, v14
	v_and_b32_e32 v2, 7, v2
	v_cmp_eq_u16_e32 vcc, 0, v12
	v_cndmask_b32_e32 v2, v6, v2, vcc
	v_cndmask_b32_e32 v6, v13, v14, vcc
	v_mov_b32_e32 v12, 0x3b800000
	v_lshlrev_b32_e32 v2, 20, v2
	v_lshl_add_u32 v6, v6, 23, v12
	v_or3_b32 v6, v11, v6, v2
.LBB55_160:
	s_or_b64 exec, exec, s[6:7]
	s_nop 0
	v_mfma_f32_16x16x4f32 a[0:3], v10, v6, a[0:3]
	s_movk_i32 s4, 0x7f
	v_cmp_gt_i16_sdwa s[6:7], v7, s4 src0_sel:BYTE_0 src1_sel:DWORD
	s_mov_b64 s[4:5], 0
                                        ; implicit-def: $sgpr10
	s_and_saveexec_b64 s[8:9], s[6:7]
	s_xor_b64 s[6:7], exec, s[8:9]
	s_cbranch_execnz .LBB55_2209
; %bb.161:
	s_or_saveexec_b64 s[6:7], s[6:7]
	v_mov_b32_e32 v2, s10
	s_xor_b64 exec, exec, s[6:7]
	s_cbranch_execnz .LBB55_2212
.LBB55_162:
	s_or_b64 exec, exec, s[6:7]
	s_and_saveexec_b64 s[6:7], s[4:5]
	s_cbranch_execz .LBB55_164
.LBB55_163:
	v_and_b32_e32 v2, 7, v7
	v_ffbh_u32_e32 v10, v2
	v_min_u32_e32 v10, 32, v10
	v_lshrrev_b16_e32 v6, 3, v7
	v_subrev_u32_e32 v11, 28, v10
	v_and_b32_e32 v6, 15, v6
	v_lshlrev_b32_e32 v11, v11, v7
	v_sub_u32_e32 v10, 29, v10
	v_and_b32_e32 v11, 7, v11
	v_cmp_eq_u16_e32 vcc, 0, v6
	v_cndmask_b32_e32 v2, v2, v11, vcc
	v_cndmask_b32_e32 v6, v6, v10, vcc
	v_lshlrev_b32_e32 v10, 24, v7
	v_mov_b32_e32 v11, 0x3b800000
	v_lshlrev_b32_e32 v2, 20, v2
	v_and_b32_e32 v10, 0x80000000, v10
	v_lshl_add_u32 v6, v6, 23, v11
	v_or3_b32 v2, v10, v6, v2
.LBB55_164:
	s_or_b64 exec, exec, s[6:7]
	s_movk_i32 s4, 0x7f
	v_cmp_gt_i16_sdwa s[6:7], v3, s4 src0_sel:BYTE_0 src1_sel:DWORD
	s_mov_b64 s[4:5], 0
                                        ; implicit-def: $sgpr10
	s_and_saveexec_b64 s[8:9], s[6:7]
	s_xor_b64 s[6:7], exec, s[8:9]
	s_cbranch_execnz .LBB55_2213
; %bb.165:
	s_or_saveexec_b64 s[6:7], s[6:7]
	v_mov_b32_e32 v6, s10
	s_xor_b64 exec, exec, s[6:7]
	s_cbranch_execnz .LBB55_2216
.LBB55_166:
	s_or_b64 exec, exec, s[6:7]
	s_and_saveexec_b64 s[6:7], s[4:5]
	s_cbranch_execz .LBB55_168
.LBB55_167:
	v_and_b32_e32 v6, 7, v3
	v_ffbh_u32_e32 v11, v6
	v_min_u32_e32 v11, 32, v11
	v_lshrrev_b16_e32 v10, 3, v3
	v_subrev_u32_e32 v12, 28, v11
	v_and_b32_e32 v10, 15, v10
	v_lshlrev_b32_e32 v12, v12, v3
	v_sub_u32_e32 v11, 29, v11
	v_and_b32_e32 v12, 7, v12
	v_cmp_eq_u16_e32 vcc, 0, v10
	v_cndmask_b32_e32 v6, v6, v12, vcc
	v_cndmask_b32_e32 v10, v10, v11, vcc
	v_lshlrev_b32_e32 v11, 24, v3
	v_mov_b32_e32 v12, 0x3b800000
	v_lshlrev_b32_e32 v6, 20, v6
	v_and_b32_e32 v11, 0x80000000, v11
	v_lshl_add_u32 v10, v10, 23, v12
	v_or3_b32 v6, v11, v10, v6
.LBB55_168:
	s_or_b64 exec, exec, s[6:7]
	s_nop 0
	v_mfma_f32_16x16x4f32 a[0:3], v2, v6, a[0:3]
	v_lshrrev_b32_e32 v6, 8, v7
	s_movk_i32 s4, 0x7f
	v_cmp_gt_i16_sdwa s[6:7], v6, s4 src0_sel:BYTE_0 src1_sel:DWORD
	s_mov_b64 s[4:5], 0
                                        ; implicit-def: $sgpr10
	s_and_saveexec_b64 s[8:9], s[6:7]
	s_xor_b64 s[6:7], exec, s[8:9]
	s_cbranch_execnz .LBB55_2217
; %bb.169:
	s_or_saveexec_b64 s[6:7], s[6:7]
	v_mov_b32_e32 v2, s10
	s_xor_b64 exec, exec, s[6:7]
	s_cbranch_execnz .LBB55_2220
.LBB55_170:
	s_or_b64 exec, exec, s[6:7]
	s_and_saveexec_b64 s[6:7], s[4:5]
	s_cbranch_execz .LBB55_172
.LBB55_171:
	v_bfe_u32 v2, v7, 8, 3
	v_ffbh_u32_e32 v11, v2
	v_min_u32_e32 v11, 32, v11
	v_lshrrev_b16_e32 v10, 3, v6
	v_subrev_u32_e32 v12, 28, v11
	v_and_b32_e32 v10, 15, v10
	v_lshlrev_b32_e32 v6, v12, v6
	v_sub_u32_e32 v11, 29, v11
	v_and_b32_e32 v6, 7, v6
	v_cmp_eq_u16_e32 vcc, 0, v10
	v_cndmask_b32_e32 v2, v2, v6, vcc
	v_cndmask_b32_e32 v6, v10, v11, vcc
	v_lshlrev_b32_e32 v10, 16, v7
	v_mov_b32_e32 v11, 0x3b800000
	v_lshlrev_b32_e32 v2, 20, v2
	v_and_b32_e32 v10, 0x80000000, v10
	v_lshl_add_u32 v6, v6, 23, v11
	v_or3_b32 v2, v10, v6, v2
.LBB55_172:
	s_or_b64 exec, exec, s[6:7]
	v_lshrrev_b32_e32 v6, 8, v3
	s_movk_i32 s4, 0x7f
	v_cmp_gt_i16_sdwa s[6:7], v6, s4 src0_sel:BYTE_0 src1_sel:DWORD
	s_mov_b64 s[4:5], 0
                                        ; implicit-def: $sgpr10
	s_and_saveexec_b64 s[8:9], s[6:7]
	s_xor_b64 s[6:7], exec, s[8:9]
	s_cbranch_execnz .LBB55_2221
; %bb.173:
	s_or_saveexec_b64 s[6:7], s[6:7]
	v_mov_b32_e32 v10, s10
	s_xor_b64 exec, exec, s[6:7]
	s_cbranch_execnz .LBB55_2224
.LBB55_174:
	s_or_b64 exec, exec, s[6:7]
	s_and_saveexec_b64 s[6:7], s[4:5]
	s_cbranch_execz .LBB55_176
.LBB55_175:
	v_bfe_u32 v10, v3, 8, 3
	v_ffbh_u32_e32 v12, v10
	v_min_u32_e32 v12, 32, v12
	v_lshrrev_b16_e32 v11, 3, v6
	v_subrev_u32_e32 v13, 28, v12
	v_and_b32_e32 v11, 15, v11
	v_lshlrev_b32_e32 v6, v13, v6
	v_sub_u32_e32 v12, 29, v12
	v_and_b32_e32 v6, 7, v6
	v_cmp_eq_u16_e32 vcc, 0, v11
	v_cndmask_b32_e32 v6, v10, v6, vcc
	v_cndmask_b32_e32 v10, v11, v12, vcc
	v_lshlrev_b32_e32 v11, 16, v3
	v_mov_b32_e32 v12, 0x3b800000
	v_lshlrev_b32_e32 v6, 20, v6
	v_and_b32_e32 v11, 0x80000000, v11
	v_lshl_add_u32 v10, v10, 23, v12
	v_or3_b32 v10, v11, v10, v6
.LBB55_176:
	s_or_b64 exec, exec, s[6:7]
	s_nop 0
	v_mfma_f32_16x16x4f32 a[0:3], v2, v10, a[0:3]
	s_movk_i32 s4, 0xff
	v_and_b32_sdwa v6, v7, s4 dst_sel:DWORD dst_unused:UNUSED_PAD src0_sel:WORD_1 src1_sel:DWORD
	s_movk_i32 s4, 0x7f
	v_cmp_lt_i16_e32 vcc, s4, v6
	s_mov_b64 s[4:5], 0
                                        ; implicit-def: $sgpr10
	s_and_saveexec_b64 s[6:7], vcc
	s_xor_b64 s[6:7], exec, s[6:7]
	s_cbranch_execnz .LBB55_2225
; %bb.177:
	s_or_saveexec_b64 s[6:7], s[6:7]
	v_mov_b32_e32 v2, s10
	s_xor_b64 exec, exec, s[6:7]
	s_cbranch_execnz .LBB55_2228
.LBB55_178:
	s_or_b64 exec, exec, s[6:7]
	s_and_saveexec_b64 s[6:7], s[4:5]
	s_cbranch_execz .LBB55_180
.LBB55_179:
	v_bfe_u32 v2, v7, 16, 3
	v_ffbh_u32_e32 v11, v2
	v_min_u32_e32 v11, 32, v11
	v_lshrrev_b32_e32 v6, 19, v7
	v_subrev_u32_e32 v12, 28, v11
	v_and_b32_e32 v6, 15, v6
	v_lshlrev_b32_sdwa v12, v12, v7 dst_sel:DWORD dst_unused:UNUSED_PAD src0_sel:DWORD src1_sel:WORD_1
	v_bfe_u32 v10, v7, 19, 4
	v_sub_u32_e32 v11, 29, v11
	v_and_b32_e32 v12, 7, v12
	v_cmp_eq_u16_e32 vcc, 0, v6
	v_cndmask_b32_e32 v2, v2, v12, vcc
	v_cndmask_b32_e32 v6, v10, v11, vcc
	v_lshlrev_b32_e32 v10, 8, v7
	v_mov_b32_e32 v11, 0x3b800000
	v_lshlrev_b32_e32 v2, 20, v2
	v_and_b32_e32 v10, 0x80000000, v10
	v_lshl_add_u32 v6, v6, 23, v11
	v_or3_b32 v2, v10, v6, v2
.LBB55_180:
	s_or_b64 exec, exec, s[6:7]
	s_movk_i32 s4, 0xff
	v_and_b32_sdwa v6, v3, s4 dst_sel:DWORD dst_unused:UNUSED_PAD src0_sel:WORD_1 src1_sel:DWORD
	s_movk_i32 s4, 0x7f
	v_cmp_lt_i16_e32 vcc, s4, v6
	s_mov_b64 s[4:5], 0
                                        ; implicit-def: $sgpr10
	s_and_saveexec_b64 s[6:7], vcc
	s_xor_b64 s[6:7], exec, s[6:7]
	s_cbranch_execnz .LBB55_2229
; %bb.181:
	s_or_saveexec_b64 s[6:7], s[6:7]
	v_mov_b32_e32 v10, s10
	s_xor_b64 exec, exec, s[6:7]
	s_cbranch_execnz .LBB55_2232
.LBB55_182:
	s_or_b64 exec, exec, s[6:7]
	s_and_saveexec_b64 s[6:7], s[4:5]
	s_cbranch_execz .LBB55_184
.LBB55_183:
	v_bfe_u32 v6, v3, 16, 3
	v_ffbh_u32_e32 v12, v6
	v_min_u32_e32 v12, 32, v12
	v_lshrrev_b32_e32 v10, 19, v3
	v_subrev_u32_e32 v13, 28, v12
	v_and_b32_e32 v10, 15, v10
	v_lshlrev_b32_sdwa v13, v13, v3 dst_sel:DWORD dst_unused:UNUSED_PAD src0_sel:DWORD src1_sel:WORD_1
	v_bfe_u32 v11, v3, 19, 4
	v_sub_u32_e32 v12, 29, v12
	v_and_b32_e32 v13, 7, v13
	v_cmp_eq_u16_e32 vcc, 0, v10
	v_cndmask_b32_e32 v6, v6, v13, vcc
	v_cndmask_b32_e32 v10, v11, v12, vcc
	v_lshlrev_b32_e32 v11, 8, v3
	v_mov_b32_e32 v12, 0x3b800000
	v_lshlrev_b32_e32 v6, 20, v6
	v_and_b32_e32 v11, 0x80000000, v11
	v_lshl_add_u32 v10, v10, 23, v12
	v_or3_b32 v10, v11, v10, v6
.LBB55_184:
	s_or_b64 exec, exec, s[6:7]
	s_nop 0
	v_mfma_f32_16x16x4f32 a[0:3], v2, v10, a[0:3]
	s_movk_i32 s4, 0x7f
	v_cmp_gt_i16_sdwa s[6:7], v7, s4 src0_sel:BYTE_3 src1_sel:DWORD
	s_mov_b64 s[4:5], 0
                                        ; implicit-def: $sgpr10
	s_and_saveexec_b64 s[8:9], s[6:7]
	s_xor_b64 s[6:7], exec, s[8:9]
	s_cbranch_execnz .LBB55_2233
; %bb.185:
	s_or_saveexec_b64 s[6:7], s[6:7]
	v_mov_b32_e32 v2, s10
	s_xor_b64 exec, exec, s[6:7]
	s_cbranch_execnz .LBB55_2236
.LBB55_186:
	s_or_b64 exec, exec, s[6:7]
	s_and_saveexec_b64 s[6:7], s[4:5]
	s_cbranch_execz .LBB55_188
.LBB55_187:
	v_bfe_u32 v2, v7, 24, 3
	v_ffbh_u32_e32 v12, v2
	v_min_u32_e32 v12, 32, v12
	v_lshrrev_b32_e32 v10, 27, v7
	v_subrev_u32_e32 v13, 28, v12
	v_and_b32_e32 v6, 0x80000000, v7
	v_and_b32_e32 v10, 15, v10
	v_bfe_u32 v11, v7, 27, 4
	v_lshlrev_b32_sdwa v7, v13, v7 dst_sel:DWORD dst_unused:UNUSED_PAD src0_sel:DWORD src1_sel:BYTE_3
	v_sub_u32_e32 v12, 29, v12
	v_and_b32_e32 v7, 7, v7
	v_cmp_eq_u16_e32 vcc, 0, v10
	v_cndmask_b32_e32 v2, v2, v7, vcc
	v_cndmask_b32_e32 v7, v11, v12, vcc
	v_mov_b32_e32 v10, 0x3b800000
	v_lshlrev_b32_e32 v2, 20, v2
	v_lshl_add_u32 v7, v7, 23, v10
	v_or3_b32 v2, v6, v7, v2
.LBB55_188:
	s_or_b64 exec, exec, s[6:7]
	s_movk_i32 s4, 0x7f
	v_cmp_gt_i16_sdwa s[6:7], v3, s4 src0_sel:BYTE_3 src1_sel:DWORD
	s_mov_b64 s[4:5], 0
                                        ; implicit-def: $sgpr10
	s_and_saveexec_b64 s[8:9], s[6:7]
	s_xor_b64 s[6:7], exec, s[8:9]
	s_cbranch_execnz .LBB55_2237
; %bb.189:
	s_or_saveexec_b64 s[6:7], s[6:7]
	v_mov_b32_e32 v6, s10
	s_xor_b64 exec, exec, s[6:7]
	s_cbranch_execnz .LBB55_2240
.LBB55_190:
	s_or_b64 exec, exec, s[6:7]
	s_and_saveexec_b64 s[6:7], s[4:5]
	s_cbranch_execz .LBB55_192
.LBB55_191:
	v_bfe_u32 v6, v3, 24, 3
	v_ffbh_u32_e32 v12, v6
	v_min_u32_e32 v12, 32, v12
	v_lshrrev_b32_e32 v10, 27, v3
	v_subrev_u32_e32 v13, 28, v12
	v_and_b32_e32 v7, 0x80000000, v3
	v_and_b32_e32 v10, 15, v10
	v_bfe_u32 v11, v3, 27, 4
	v_lshlrev_b32_sdwa v3, v13, v3 dst_sel:DWORD dst_unused:UNUSED_PAD src0_sel:DWORD src1_sel:BYTE_3
	v_sub_u32_e32 v12, 29, v12
	v_and_b32_e32 v3, 7, v3
	v_cmp_eq_u16_e32 vcc, 0, v10
	v_cndmask_b32_e32 v3, v6, v3, vcc
	v_cndmask_b32_e32 v6, v11, v12, vcc
	v_mov_b32_e32 v10, 0x3b800000
	v_lshlrev_b32_e32 v3, 20, v3
	v_lshl_add_u32 v6, v6, 23, v10
	v_or3_b32 v6, v7, v6, v3
.LBB55_192:
	s_or_b64 exec, exec, s[6:7]
	s_nop 0
	v_mfma_f32_16x16x4f32 a[0:3], v2, v6, a[0:3]
	s_movk_i32 s4, 0x7f
	v_cmp_gt_i16_sdwa s[6:7], v8, s4 src0_sel:BYTE_0 src1_sel:DWORD
	s_mov_b64 s[4:5], 0
                                        ; implicit-def: $sgpr10
	s_and_saveexec_b64 s[8:9], s[6:7]
	s_xor_b64 s[6:7], exec, s[8:9]
	s_cbranch_execnz .LBB55_2241
; %bb.193:
	s_or_saveexec_b64 s[6:7], s[6:7]
	v_mov_b32_e32 v2, s10
	s_xor_b64 exec, exec, s[6:7]
	s_cbranch_execnz .LBB55_2244
.LBB55_194:
	s_or_b64 exec, exec, s[6:7]
	s_and_saveexec_b64 s[6:7], s[4:5]
	s_cbranch_execz .LBB55_196
.LBB55_195:
	v_and_b32_e32 v2, 7, v8
	v_ffbh_u32_e32 v6, v2
	v_min_u32_e32 v6, 32, v6
	v_lshrrev_b16_e32 v3, 3, v8
	v_subrev_u32_e32 v7, 28, v6
	v_and_b32_e32 v3, 15, v3
	v_lshlrev_b32_e32 v7, v7, v8
	v_sub_u32_e32 v6, 29, v6
	v_and_b32_e32 v7, 7, v7
	v_cmp_eq_u16_e32 vcc, 0, v3
	v_cndmask_b32_e32 v2, v2, v7, vcc
	v_cndmask_b32_e32 v3, v3, v6, vcc
	v_lshlrev_b32_e32 v6, 24, v8
	v_mov_b32_e32 v7, 0x3b800000
	v_lshlrev_b32_e32 v2, 20, v2
	v_and_b32_e32 v6, 0x80000000, v6
	v_lshl_add_u32 v3, v3, 23, v7
	v_or3_b32 v2, v6, v3, v2
.LBB55_196:
	s_or_b64 exec, exec, s[6:7]
	s_movk_i32 s4, 0x7f
	v_cmp_gt_i16_sdwa s[6:7], v4, s4 src0_sel:BYTE_0 src1_sel:DWORD
	s_mov_b64 s[4:5], 0
                                        ; implicit-def: $sgpr10
	s_and_saveexec_b64 s[8:9], s[6:7]
	s_xor_b64 s[6:7], exec, s[8:9]
	s_cbranch_execnz .LBB55_2245
; %bb.197:
	s_or_saveexec_b64 s[6:7], s[6:7]
	v_mov_b32_e32 v3, s10
	s_xor_b64 exec, exec, s[6:7]
	s_cbranch_execnz .LBB55_2248
.LBB55_198:
	s_or_b64 exec, exec, s[6:7]
	s_and_saveexec_b64 s[6:7], s[4:5]
	s_cbranch_execz .LBB55_200
.LBB55_199:
	v_and_b32_e32 v3, 7, v4
	v_ffbh_u32_e32 v7, v3
	v_min_u32_e32 v7, 32, v7
	v_lshrrev_b16_e32 v6, 3, v4
	v_subrev_u32_e32 v10, 28, v7
	v_and_b32_e32 v6, 15, v6
	v_lshlrev_b32_e32 v10, v10, v4
	v_sub_u32_e32 v7, 29, v7
	v_and_b32_e32 v10, 7, v10
	v_cmp_eq_u16_e32 vcc, 0, v6
	v_cndmask_b32_e32 v3, v3, v10, vcc
	v_cndmask_b32_e32 v6, v6, v7, vcc
	v_lshlrev_b32_e32 v7, 24, v4
	v_mov_b32_e32 v10, 0x3b800000
	v_lshlrev_b32_e32 v3, 20, v3
	v_and_b32_e32 v7, 0x80000000, v7
	v_lshl_add_u32 v6, v6, 23, v10
	v_or3_b32 v3, v7, v6, v3
.LBB55_200:
	s_or_b64 exec, exec, s[6:7]
	s_nop 0
	v_mfma_f32_16x16x4f32 a[0:3], v2, v3, a[0:3]
	v_lshrrev_b32_e32 v3, 8, v8
	s_movk_i32 s4, 0x7f
	v_cmp_gt_i16_sdwa s[6:7], v3, s4 src0_sel:BYTE_0 src1_sel:DWORD
	s_mov_b64 s[4:5], 0
                                        ; implicit-def: $sgpr10
	s_and_saveexec_b64 s[8:9], s[6:7]
	s_xor_b64 s[6:7], exec, s[8:9]
	s_cbranch_execnz .LBB55_2249
; %bb.201:
	s_or_saveexec_b64 s[6:7], s[6:7]
	v_mov_b32_e32 v2, s10
	s_xor_b64 exec, exec, s[6:7]
	s_cbranch_execnz .LBB55_2252
.LBB55_202:
	s_or_b64 exec, exec, s[6:7]
	s_and_saveexec_b64 s[6:7], s[4:5]
	s_cbranch_execz .LBB55_204
.LBB55_203:
	v_bfe_u32 v2, v8, 8, 3
	v_ffbh_u32_e32 v7, v2
	v_min_u32_e32 v7, 32, v7
	v_lshrrev_b16_e32 v6, 3, v3
	v_subrev_u32_e32 v10, 28, v7
	v_and_b32_e32 v6, 15, v6
	v_lshlrev_b32_e32 v3, v10, v3
	v_sub_u32_e32 v7, 29, v7
	v_and_b32_e32 v3, 7, v3
	v_cmp_eq_u16_e32 vcc, 0, v6
	v_cndmask_b32_e32 v2, v2, v3, vcc
	v_cndmask_b32_e32 v3, v6, v7, vcc
	v_lshlrev_b32_e32 v6, 16, v8
	v_mov_b32_e32 v7, 0x3b800000
	v_lshlrev_b32_e32 v2, 20, v2
	v_and_b32_e32 v6, 0x80000000, v6
	v_lshl_add_u32 v3, v3, 23, v7
	v_or3_b32 v2, v6, v3, v2
.LBB55_204:
	s_or_b64 exec, exec, s[6:7]
	v_lshrrev_b32_e32 v3, 8, v4
	s_movk_i32 s4, 0x7f
	v_cmp_gt_i16_sdwa s[6:7], v3, s4 src0_sel:BYTE_0 src1_sel:DWORD
	s_mov_b64 s[4:5], 0
                                        ; implicit-def: $sgpr10
	s_and_saveexec_b64 s[8:9], s[6:7]
	s_xor_b64 s[6:7], exec, s[8:9]
	s_cbranch_execnz .LBB55_2253
; %bb.205:
	s_or_saveexec_b64 s[6:7], s[6:7]
	v_mov_b32_e32 v6, s10
	s_xor_b64 exec, exec, s[6:7]
	s_cbranch_execnz .LBB55_2256
.LBB55_206:
	s_or_b64 exec, exec, s[6:7]
	s_and_saveexec_b64 s[6:7], s[4:5]
	s_cbranch_execz .LBB55_208
.LBB55_207:
	v_bfe_u32 v6, v4, 8, 3
	v_ffbh_u32_e32 v10, v6
	v_min_u32_e32 v10, 32, v10
	v_lshrrev_b16_e32 v7, 3, v3
	v_subrev_u32_e32 v11, 28, v10
	v_and_b32_e32 v7, 15, v7
	v_lshlrev_b32_e32 v3, v11, v3
	v_sub_u32_e32 v10, 29, v10
	v_and_b32_e32 v3, 7, v3
	v_cmp_eq_u16_e32 vcc, 0, v7
	v_cndmask_b32_e32 v3, v6, v3, vcc
	v_cndmask_b32_e32 v6, v7, v10, vcc
	v_lshlrev_b32_e32 v7, 16, v4
	v_mov_b32_e32 v10, 0x3b800000
	v_lshlrev_b32_e32 v3, 20, v3
	v_and_b32_e32 v7, 0x80000000, v7
	v_lshl_add_u32 v6, v6, 23, v10
	v_or3_b32 v6, v7, v6, v3
.LBB55_208:
	s_or_b64 exec, exec, s[6:7]
	s_nop 0
	v_mfma_f32_16x16x4f32 a[0:3], v2, v6, a[0:3]
	s_movk_i32 s4, 0xff
	v_and_b32_sdwa v3, v8, s4 dst_sel:DWORD dst_unused:UNUSED_PAD src0_sel:WORD_1 src1_sel:DWORD
	s_movk_i32 s4, 0x7f
	v_cmp_lt_i16_e32 vcc, s4, v3
	s_mov_b64 s[4:5], 0
                                        ; implicit-def: $sgpr10
	s_and_saveexec_b64 s[6:7], vcc
	s_xor_b64 s[6:7], exec, s[6:7]
	s_cbranch_execnz .LBB55_2257
; %bb.209:
	s_or_saveexec_b64 s[6:7], s[6:7]
	v_mov_b32_e32 v2, s10
	s_xor_b64 exec, exec, s[6:7]
	s_cbranch_execnz .LBB55_2260
.LBB55_210:
	s_or_b64 exec, exec, s[6:7]
	s_and_saveexec_b64 s[6:7], s[4:5]
	s_cbranch_execz .LBB55_212
.LBB55_211:
	v_bfe_u32 v2, v8, 16, 3
	v_ffbh_u32_e32 v7, v2
	v_min_u32_e32 v7, 32, v7
	v_lshrrev_b32_e32 v3, 19, v8
	v_subrev_u32_e32 v10, 28, v7
	v_and_b32_e32 v3, 15, v3
	v_lshlrev_b32_sdwa v10, v10, v8 dst_sel:DWORD dst_unused:UNUSED_PAD src0_sel:DWORD src1_sel:WORD_1
	v_bfe_u32 v6, v8, 19, 4
	v_sub_u32_e32 v7, 29, v7
	v_and_b32_e32 v10, 7, v10
	v_cmp_eq_u16_e32 vcc, 0, v3
	v_cndmask_b32_e32 v2, v2, v10, vcc
	v_cndmask_b32_e32 v3, v6, v7, vcc
	v_lshlrev_b32_e32 v6, 8, v8
	v_mov_b32_e32 v7, 0x3b800000
	v_lshlrev_b32_e32 v2, 20, v2
	v_and_b32_e32 v6, 0x80000000, v6
	v_lshl_add_u32 v3, v3, 23, v7
	v_or3_b32 v2, v6, v3, v2
.LBB55_212:
	s_or_b64 exec, exec, s[6:7]
	s_movk_i32 s4, 0xff
	v_and_b32_sdwa v3, v4, s4 dst_sel:DWORD dst_unused:UNUSED_PAD src0_sel:WORD_1 src1_sel:DWORD
	s_movk_i32 s4, 0x7f
	v_cmp_lt_i16_e32 vcc, s4, v3
	s_mov_b64 s[4:5], 0
                                        ; implicit-def: $sgpr10
	s_and_saveexec_b64 s[6:7], vcc
	s_xor_b64 s[6:7], exec, s[6:7]
	s_cbranch_execnz .LBB55_2261
; %bb.213:
	s_or_saveexec_b64 s[6:7], s[6:7]
	v_mov_b32_e32 v6, s10
	s_xor_b64 exec, exec, s[6:7]
	s_cbranch_execnz .LBB55_2264
.LBB55_214:
	s_or_b64 exec, exec, s[6:7]
	s_and_saveexec_b64 s[6:7], s[4:5]
	s_cbranch_execz .LBB55_216
.LBB55_215:
	v_bfe_u32 v3, v4, 16, 3
	v_ffbh_u32_e32 v10, v3
	v_min_u32_e32 v10, 32, v10
	v_lshrrev_b32_e32 v6, 19, v4
	v_subrev_u32_e32 v11, 28, v10
	v_and_b32_e32 v6, 15, v6
	v_lshlrev_b32_sdwa v11, v11, v4 dst_sel:DWORD dst_unused:UNUSED_PAD src0_sel:DWORD src1_sel:WORD_1
	v_bfe_u32 v7, v4, 19, 4
	v_sub_u32_e32 v10, 29, v10
	v_and_b32_e32 v11, 7, v11
	v_cmp_eq_u16_e32 vcc, 0, v6
	v_cndmask_b32_e32 v3, v3, v11, vcc
	v_cndmask_b32_e32 v6, v7, v10, vcc
	v_lshlrev_b32_e32 v7, 8, v4
	v_mov_b32_e32 v10, 0x3b800000
	v_lshlrev_b32_e32 v3, 20, v3
	v_and_b32_e32 v7, 0x80000000, v7
	v_lshl_add_u32 v6, v6, 23, v10
	v_or3_b32 v6, v7, v6, v3
.LBB55_216:
	s_or_b64 exec, exec, s[6:7]
	s_nop 0
	v_mfma_f32_16x16x4f32 a[0:3], v2, v6, a[0:3]
	s_movk_i32 s4, 0x7f
	v_cmp_gt_i16_sdwa s[6:7], v8, s4 src0_sel:BYTE_3 src1_sel:DWORD
	s_mov_b64 s[4:5], 0
                                        ; implicit-def: $sgpr10
	s_and_saveexec_b64 s[8:9], s[6:7]
	s_xor_b64 s[6:7], exec, s[8:9]
	s_cbranch_execnz .LBB55_2265
; %bb.217:
	s_or_saveexec_b64 s[6:7], s[6:7]
	v_mov_b32_e32 v2, s10
	s_xor_b64 exec, exec, s[6:7]
	s_cbranch_execnz .LBB55_2268
.LBB55_218:
	s_or_b64 exec, exec, s[6:7]
	s_and_saveexec_b64 s[6:7], s[4:5]
	s_cbranch_execz .LBB55_220
.LBB55_219:
	v_bfe_u32 v2, v8, 24, 3
	v_ffbh_u32_e32 v10, v2
	v_min_u32_e32 v10, 32, v10
	v_lshrrev_b32_e32 v6, 27, v8
	v_subrev_u32_e32 v11, 28, v10
	v_and_b32_e32 v3, 0x80000000, v8
	v_and_b32_e32 v6, 15, v6
	v_bfe_u32 v7, v8, 27, 4
	v_lshlrev_b32_sdwa v8, v11, v8 dst_sel:DWORD dst_unused:UNUSED_PAD src0_sel:DWORD src1_sel:BYTE_3
	v_sub_u32_e32 v10, 29, v10
	v_and_b32_e32 v8, 7, v8
	v_cmp_eq_u16_e32 vcc, 0, v6
	v_cndmask_b32_e32 v2, v2, v8, vcc
	v_cndmask_b32_e32 v6, v7, v10, vcc
	v_mov_b32_e32 v7, 0x3b800000
	v_lshlrev_b32_e32 v2, 20, v2
	v_lshl_add_u32 v6, v6, 23, v7
	v_or3_b32 v2, v3, v6, v2
.LBB55_220:
	s_or_b64 exec, exec, s[6:7]
	s_movk_i32 s4, 0x7f
	v_cmp_gt_i16_sdwa s[6:7], v4, s4 src0_sel:BYTE_3 src1_sel:DWORD
	s_mov_b64 s[4:5], 0
                                        ; implicit-def: $sgpr10
	s_and_saveexec_b64 s[8:9], s[6:7]
	s_xor_b64 s[6:7], exec, s[8:9]
	s_cbranch_execnz .LBB55_2269
; %bb.221:
	s_or_saveexec_b64 s[6:7], s[6:7]
	v_mov_b32_e32 v3, s10
	s_xor_b64 exec, exec, s[6:7]
	s_cbranch_execnz .LBB55_2272
.LBB55_222:
	s_or_b64 exec, exec, s[6:7]
	s_and_saveexec_b64 s[6:7], s[4:5]
	s_cbranch_execz .LBB55_224
.LBB55_223:
	v_bfe_u32 v3, v4, 24, 3
	v_ffbh_u32_e32 v10, v3
	v_min_u32_e32 v10, 32, v10
	v_lshrrev_b32_e32 v7, 27, v4
	v_subrev_u32_e32 v11, 28, v10
	v_and_b32_e32 v6, 0x80000000, v4
	v_and_b32_e32 v7, 15, v7
	v_bfe_u32 v8, v4, 27, 4
	v_lshlrev_b32_sdwa v4, v11, v4 dst_sel:DWORD dst_unused:UNUSED_PAD src0_sel:DWORD src1_sel:BYTE_3
	v_sub_u32_e32 v10, 29, v10
	v_and_b32_e32 v4, 7, v4
	v_cmp_eq_u16_e32 vcc, 0, v7
	v_cndmask_b32_e32 v3, v3, v4, vcc
	v_cndmask_b32_e32 v4, v8, v10, vcc
	v_mov_b32_e32 v7, 0x3b800000
	v_lshlrev_b32_e32 v3, 20, v3
	v_lshl_add_u32 v4, v4, 23, v7
	v_or3_b32 v3, v6, v4, v3
.LBB55_224:
	s_or_b64 exec, exec, s[6:7]
	s_nop 0
	v_mfma_f32_16x16x4f32 a[0:3], v2, v3, a[0:3]
	s_movk_i32 s4, 0x7f
	v_cmp_gt_i16_sdwa s[6:7], v9, s4 src0_sel:BYTE_0 src1_sel:DWORD
	s_mov_b64 s[4:5], 0
                                        ; implicit-def: $sgpr10
	s_and_saveexec_b64 s[8:9], s[6:7]
	s_xor_b64 s[6:7], exec, s[8:9]
	s_cbranch_execnz .LBB55_2273
; %bb.225:
	s_or_saveexec_b64 s[6:7], s[6:7]
	v_mov_b32_e32 v2, s10
	s_xor_b64 exec, exec, s[6:7]
	s_cbranch_execnz .LBB55_2276
.LBB55_226:
	s_or_b64 exec, exec, s[6:7]
	s_and_saveexec_b64 s[6:7], s[4:5]
	s_cbranch_execz .LBB55_228
.LBB55_227:
	v_mov_b32_e32 v2, 8
	v_and_b32_e32 v3, 7, v9
	v_lshrrev_b32_sdwa v2, v2, v9 dst_sel:BYTE_1 dst_unused:UNUSED_PAD src0_sel:DWORD src1_sel:DWORD
	v_ffbh_u32_e32 v4, v3
	v_or_b32_sdwa v2, v9, v2 dst_sel:DWORD dst_unused:UNUSED_PAD src0_sel:BYTE_0 src1_sel:DWORD
	v_min_u32_e32 v4, 32, v4
	v_lshrrev_b16_e32 v2, 3, v2
	v_subrev_u32_e32 v6, 28, v4
	v_and_b32_e32 v2, 15, v2
	v_lshlrev_b32_e32 v6, v6, v9
	v_sub_u32_e32 v4, 29, v4
	v_and_b32_e32 v6, 7, v6
	v_cmp_eq_u16_e32 vcc, 0, v2
	v_cndmask_b32_e32 v3, v3, v6, vcc
	v_cndmask_b32_e32 v2, v2, v4, vcc
	v_lshlrev_b32_e32 v4, 24, v9
	v_mov_b32_e32 v6, 0x3b800000
	v_lshlrev_b32_e32 v3, 20, v3
	v_and_b32_e32 v4, 0x80000000, v4
	v_lshl_add_u32 v2, v2, 23, v6
	v_or3_b32 v2, v4, v2, v3
.LBB55_228:
	s_or_b64 exec, exec, s[6:7]
	s_movk_i32 s4, 0x7f
	v_cmp_gt_i16_sdwa s[6:7], v5, s4 src0_sel:BYTE_0 src1_sel:DWORD
	s_mov_b64 s[4:5], 0
                                        ; implicit-def: $sgpr10
	s_and_saveexec_b64 s[8:9], s[6:7]
	s_xor_b64 s[6:7], exec, s[8:9]
	s_cbranch_execnz .LBB55_2277
; %bb.229:
	s_or_saveexec_b64 s[6:7], s[6:7]
	v_mov_b32_e32 v3, s10
	s_xor_b64 exec, exec, s[6:7]
	s_cbranch_execnz .LBB55_2280
.LBB55_230:
	s_or_b64 exec, exec, s[6:7]
	s_and_saveexec_b64 s[6:7], s[4:5]
	s_cbranch_execz .LBB55_232
.LBB55_231:
	v_mov_b32_e32 v3, 8
	v_and_b32_e32 v4, 7, v5
	v_lshrrev_b32_sdwa v3, v3, v5 dst_sel:BYTE_1 dst_unused:UNUSED_PAD src0_sel:DWORD src1_sel:DWORD
	v_ffbh_u32_e32 v6, v4
	v_or_b32_sdwa v3, v5, v3 dst_sel:DWORD dst_unused:UNUSED_PAD src0_sel:BYTE_0 src1_sel:DWORD
	v_min_u32_e32 v6, 32, v6
	v_lshrrev_b16_e32 v3, 3, v3
	v_subrev_u32_e32 v7, 28, v6
	v_and_b32_e32 v3, 15, v3
	v_lshlrev_b32_e32 v7, v7, v5
	v_sub_u32_e32 v6, 29, v6
	v_and_b32_e32 v7, 7, v7
	v_cmp_eq_u16_e32 vcc, 0, v3
	v_cndmask_b32_e32 v4, v4, v7, vcc
	v_cndmask_b32_e32 v3, v3, v6, vcc
	v_lshlrev_b32_e32 v6, 24, v5
	v_mov_b32_e32 v7, 0x3b800000
	v_lshlrev_b32_e32 v4, 20, v4
	v_and_b32_e32 v6, 0x80000000, v6
	v_lshl_add_u32 v3, v3, 23, v7
	v_or3_b32 v3, v6, v3, v4
.LBB55_232:
	s_or_b64 exec, exec, s[6:7]
	s_nop 0
	v_mfma_f32_16x16x4f32 a[0:3], v2, v3, a[0:3]
	v_lshrrev_b32_e32 v3, 8, v9
	s_movk_i32 s4, 0x7f
	v_cmp_gt_i16_sdwa s[6:7], v3, s4 src0_sel:BYTE_0 src1_sel:DWORD
	s_mov_b64 s[4:5], 0
                                        ; implicit-def: $sgpr10
	s_and_saveexec_b64 s[8:9], s[6:7]
	s_xor_b64 s[6:7], exec, s[8:9]
	s_cbranch_execnz .LBB55_2281
; %bb.233:
	s_or_saveexec_b64 s[6:7], s[6:7]
	v_mov_b32_e32 v2, s10
	s_xor_b64 exec, exec, s[6:7]
	s_cbranch_execnz .LBB55_2284
.LBB55_234:
	s_or_b64 exec, exec, s[6:7]
	s_and_saveexec_b64 s[6:7], s[4:5]
	s_cbranch_execz .LBB55_236
.LBB55_235:
	v_bfe_u32 v2, v9, 8, 3
	v_ffbh_u32_e32 v6, v2
	v_min_u32_e32 v6, 32, v6
	v_lshrrev_b16_e32 v4, 3, v3
	v_subrev_u32_e32 v7, 28, v6
	v_and_b32_e32 v4, 15, v4
	v_lshlrev_b32_e32 v3, v7, v3
	v_sub_u32_e32 v6, 29, v6
	v_and_b32_e32 v3, 7, v3
	v_cmp_eq_u16_e32 vcc, 0, v4
	v_cndmask_b32_e32 v2, v2, v3, vcc
	v_cndmask_b32_e32 v3, v4, v6, vcc
	v_lshlrev_b32_e32 v4, 16, v9
	v_mov_b32_e32 v6, 0x3b800000
	v_lshlrev_b32_e32 v2, 20, v2
	v_and_b32_e32 v4, 0x80000000, v4
	v_lshl_add_u32 v3, v3, 23, v6
	v_or3_b32 v2, v4, v3, v2
.LBB55_236:
	s_or_b64 exec, exec, s[6:7]
	v_lshrrev_b32_e32 v3, 8, v5
	s_movk_i32 s4, 0x7f
	v_cmp_gt_i16_sdwa s[6:7], v3, s4 src0_sel:BYTE_0 src1_sel:DWORD
	s_mov_b64 s[4:5], 0
                                        ; implicit-def: $sgpr10
	s_and_saveexec_b64 s[8:9], s[6:7]
	s_xor_b64 s[6:7], exec, s[8:9]
	s_cbranch_execnz .LBB55_2285
; %bb.237:
	s_or_saveexec_b64 s[6:7], s[6:7]
	v_mov_b32_e32 v4, s10
	s_xor_b64 exec, exec, s[6:7]
	s_cbranch_execnz .LBB55_2288
.LBB55_238:
	s_or_b64 exec, exec, s[6:7]
	s_and_saveexec_b64 s[6:7], s[4:5]
	s_cbranch_execz .LBB55_240
.LBB55_239:
	v_bfe_u32 v4, v5, 8, 3
	v_ffbh_u32_e32 v7, v4
	v_min_u32_e32 v7, 32, v7
	v_lshrrev_b16_e32 v6, 3, v3
	v_subrev_u32_e32 v8, 28, v7
	v_and_b32_e32 v6, 15, v6
	v_lshlrev_b32_e32 v3, v8, v3
	v_sub_u32_e32 v7, 29, v7
	v_and_b32_e32 v3, 7, v3
	v_cmp_eq_u16_e32 vcc, 0, v6
	v_cndmask_b32_e32 v3, v4, v3, vcc
	v_cndmask_b32_e32 v4, v6, v7, vcc
	v_lshlrev_b32_e32 v6, 16, v5
	v_mov_b32_e32 v7, 0x3b800000
	v_lshlrev_b32_e32 v3, 20, v3
	v_and_b32_e32 v6, 0x80000000, v6
	v_lshl_add_u32 v4, v4, 23, v7
	v_or3_b32 v4, v6, v4, v3
.LBB55_240:
	s_or_b64 exec, exec, s[6:7]
	s_nop 0
	v_mfma_f32_16x16x4f32 a[0:3], v2, v4, a[0:3]
	s_movk_i32 s4, 0xff
	v_and_b32_sdwa v3, v9, s4 dst_sel:DWORD dst_unused:UNUSED_PAD src0_sel:WORD_1 src1_sel:DWORD
	s_movk_i32 s4, 0x7f
	v_cmp_lt_i16_e32 vcc, s4, v3
	s_mov_b64 s[4:5], 0
                                        ; implicit-def: $sgpr10
	s_and_saveexec_b64 s[6:7], vcc
	s_xor_b64 s[6:7], exec, s[6:7]
	s_cbranch_execnz .LBB55_2289
; %bb.241:
	s_or_saveexec_b64 s[6:7], s[6:7]
	v_mov_b32_e32 v2, s10
	s_xor_b64 exec, exec, s[6:7]
	s_cbranch_execnz .LBB55_2292
.LBB55_242:
	s_or_b64 exec, exec, s[6:7]
	s_and_saveexec_b64 s[6:7], s[4:5]
	s_cbranch_execz .LBB55_244
.LBB55_243:
	v_bfe_u32 v2, v9, 16, 3
	v_ffbh_u32_e32 v6, v2
	v_min_u32_e32 v6, 32, v6
	v_lshrrev_b32_e32 v3, 19, v9
	v_subrev_u32_e32 v7, 28, v6
	v_and_b32_e32 v3, 15, v3
	v_lshlrev_b32_sdwa v7, v7, v9 dst_sel:DWORD dst_unused:UNUSED_PAD src0_sel:DWORD src1_sel:WORD_1
	v_bfe_u32 v4, v9, 19, 4
	v_sub_u32_e32 v6, 29, v6
	v_and_b32_e32 v7, 7, v7
	v_cmp_eq_u16_e32 vcc, 0, v3
	v_cndmask_b32_e32 v2, v2, v7, vcc
	v_cndmask_b32_e32 v3, v4, v6, vcc
	v_lshlrev_b32_e32 v4, 8, v9
	v_mov_b32_e32 v6, 0x3b800000
	v_lshlrev_b32_e32 v2, 20, v2
	v_and_b32_e32 v4, 0x80000000, v4
	v_lshl_add_u32 v3, v3, 23, v6
	v_or3_b32 v2, v4, v3, v2
.LBB55_244:
	s_or_b64 exec, exec, s[6:7]
	s_movk_i32 s4, 0xff
	v_and_b32_sdwa v3, v5, s4 dst_sel:DWORD dst_unused:UNUSED_PAD src0_sel:WORD_1 src1_sel:DWORD
	s_movk_i32 s4, 0x7f
	v_cmp_lt_i16_e32 vcc, s4, v3
	s_mov_b64 s[4:5], 0
                                        ; implicit-def: $sgpr10
	s_and_saveexec_b64 s[6:7], vcc
	s_xor_b64 s[6:7], exec, s[6:7]
	s_cbranch_execnz .LBB55_2293
; %bb.245:
	s_or_saveexec_b64 s[6:7], s[6:7]
	v_mov_b32_e32 v4, s10
	s_xor_b64 exec, exec, s[6:7]
	s_cbranch_execnz .LBB55_2296
.LBB55_246:
	s_or_b64 exec, exec, s[6:7]
	s_and_saveexec_b64 s[6:7], s[4:5]
	s_cbranch_execz .LBB55_248
.LBB55_247:
	v_bfe_u32 v3, v5, 16, 3
	v_ffbh_u32_e32 v7, v3
	v_min_u32_e32 v7, 32, v7
	v_lshrrev_b32_e32 v4, 19, v5
	v_subrev_u32_e32 v8, 28, v7
	v_and_b32_e32 v4, 15, v4
	v_lshlrev_b32_sdwa v8, v8, v5 dst_sel:DWORD dst_unused:UNUSED_PAD src0_sel:DWORD src1_sel:WORD_1
	v_bfe_u32 v6, v5, 19, 4
	v_sub_u32_e32 v7, 29, v7
	v_and_b32_e32 v8, 7, v8
	v_cmp_eq_u16_e32 vcc, 0, v4
	v_cndmask_b32_e32 v3, v3, v8, vcc
	v_cndmask_b32_e32 v4, v6, v7, vcc
	v_lshlrev_b32_e32 v6, 8, v5
	v_mov_b32_e32 v7, 0x3b800000
	v_lshlrev_b32_e32 v3, 20, v3
	v_and_b32_e32 v6, 0x80000000, v6
	v_lshl_add_u32 v4, v4, 23, v7
	v_or3_b32 v4, v6, v4, v3
.LBB55_248:
	s_or_b64 exec, exec, s[6:7]
	s_nop 0
	v_mfma_f32_16x16x4f32 a[0:3], v2, v4, a[0:3]
	s_movk_i32 s4, 0x7f
	v_cmp_gt_i16_sdwa s[6:7], v9, s4 src0_sel:BYTE_3 src1_sel:DWORD
	s_mov_b64 s[4:5], 0
                                        ; implicit-def: $sgpr10
	s_and_saveexec_b64 s[8:9], s[6:7]
	s_xor_b64 s[6:7], exec, s[8:9]
	s_cbranch_execnz .LBB55_2297
; %bb.249:
	s_or_saveexec_b64 s[6:7], s[6:7]
	v_mov_b32_e32 v2, s10
	s_xor_b64 exec, exec, s[6:7]
	s_cbranch_execnz .LBB55_2300
.LBB55_250:
	s_or_b64 exec, exec, s[6:7]
	s_and_saveexec_b64 s[6:7], s[4:5]
	s_cbranch_execz .LBB55_252
.LBB55_251:
	v_bfe_u32 v2, v9, 24, 3
	v_ffbh_u32_e32 v7, v2
	v_min_u32_e32 v7, 32, v7
	v_lshrrev_b32_e32 v4, 27, v9
	v_subrev_u32_e32 v8, 28, v7
	v_and_b32_e32 v4, 15, v4
	v_lshlrev_b32_sdwa v8, v8, v9 dst_sel:DWORD dst_unused:UNUSED_PAD src0_sel:DWORD src1_sel:BYTE_3
	v_bfe_u32 v6, v9, 27, 4
	v_sub_u32_e32 v7, 29, v7
	v_and_b32_e32 v8, 7, v8
	v_cmp_eq_u16_e32 vcc, 0, v4
	v_cndmask_b32_e32 v2, v2, v8, vcc
	v_cndmask_b32_e32 v4, v6, v7, vcc
	v_mov_b32_e32 v6, 0x3b800000
	v_and_b32_e32 v3, 0x80000000, v9
	v_lshlrev_b32_e32 v2, 20, v2
	v_lshl_add_u32 v4, v4, 23, v6
	v_or3_b32 v2, v3, v4, v2
.LBB55_252:
	s_or_b64 exec, exec, s[6:7]
	s_movk_i32 s4, 0x7f
	v_cmp_gt_i16_sdwa s[6:7], v5, s4 src0_sel:BYTE_3 src1_sel:DWORD
	s_mov_b64 s[4:5], 0
                                        ; implicit-def: $sgpr10
	s_and_saveexec_b64 s[8:9], s[6:7]
	s_xor_b64 s[6:7], exec, s[8:9]
	s_cbranch_execnz .LBB55_2301
; %bb.253:
	s_or_saveexec_b64 s[6:7], s[6:7]
	v_mov_b32_e32 v3, s10
	s_xor_b64 exec, exec, s[6:7]
	s_cbranch_execnz .LBB55_2304
.LBB55_254:
	s_or_b64 exec, exec, s[6:7]
	s_and_saveexec_b64 s[6:7], s[4:5]
	s_cbranch_execz .LBB55_256
.LBB55_255:
	v_bfe_u32 v3, v5, 24, 3
	v_ffbh_u32_e32 v8, v3
	v_min_u32_e32 v8, 32, v8
	v_lshrrev_b32_e32 v6, 27, v5
	v_subrev_u32_e32 v9, 28, v8
	v_and_b32_e32 v4, 0x80000000, v5
	v_and_b32_e32 v6, 15, v6
	v_bfe_u32 v7, v5, 27, 4
	v_lshlrev_b32_sdwa v5, v9, v5 dst_sel:DWORD dst_unused:UNUSED_PAD src0_sel:DWORD src1_sel:BYTE_3
	v_sub_u32_e32 v8, 29, v8
	v_and_b32_e32 v5, 7, v5
	v_cmp_eq_u16_e32 vcc, 0, v6
	v_cndmask_b32_e32 v3, v3, v5, vcc
	v_cndmask_b32_e32 v5, v7, v8, vcc
	v_mov_b32_e32 v6, 0x3b800000
	v_lshlrev_b32_e32 v3, 20, v3
	v_lshl_add_u32 v5, v5, 23, v6
	v_or3_b32 v3, v4, v5, v3
.LBB55_256:
	s_or_b64 exec, exec, s[6:7]
	s_nop 0
	v_mfma_f32_16x16x4f32 a[0:3], v2, v3, a[0:3]
	s_movk_i32 s4, 0x7f
                                        ; implicit-def: $sgpr10
	s_nop 7
	s_nop 1
	flat_store_dwordx4 v[18:19], a[0:3] offset:384
	flat_load_dwordx4 v[20:23], v[0:1] offset:8
	s_nop 0
	flat_load_dwordx2 v[18:19], v[0:1] offset:24
	s_waitcnt vmcnt(0) lgkmcnt(0)
	flat_load_dwordx4 v[14:17], v[20:21] offset:32
	flat_load_dwordx4 v[6:9], v[20:21] offset:48
	;; [unrolled: 1-line block ×4, first 2 shown]
	s_waitcnt vmcnt(0) lgkmcnt(0)
	v_cmp_gt_i16_sdwa s[6:7], v14, s4 src0_sel:BYTE_0 src1_sel:DWORD
	s_mov_b64 s[4:5], 0
	s_and_saveexec_b64 s[8:9], s[6:7]
	s_xor_b64 s[6:7], exec, s[8:9]
	s_cbranch_execnz .LBB55_2305
; %bb.257:
	s_or_saveexec_b64 s[6:7], s[6:7]
	v_mov_b32_e32 v20, s10
	s_xor_b64 exec, exec, s[6:7]
	s_cbranch_execnz .LBB55_2308
.LBB55_258:
	s_or_b64 exec, exec, s[6:7]
	s_and_saveexec_b64 s[6:7], s[4:5]
	s_cbranch_execz .LBB55_260
.LBB55_259:
	v_and_b32_e32 v20, 7, v14
	v_ffbh_u32_e32 v22, v20
	v_min_u32_e32 v22, 32, v22
	v_lshrrev_b16_e32 v21, 3, v14
	v_subrev_u32_e32 v23, 28, v22
	v_and_b32_e32 v21, 15, v21
	v_lshlrev_b32_e32 v23, v23, v14
	v_sub_u32_e32 v22, 29, v22
	v_and_b32_e32 v23, 7, v23
	v_cmp_eq_u16_e32 vcc, 0, v21
	v_cndmask_b32_e32 v20, v20, v23, vcc
	v_cndmask_b32_e32 v21, v21, v22, vcc
	v_lshlrev_b32_e32 v22, 24, v14
	v_mov_b32_e32 v23, 0x3b800000
	v_lshlrev_b32_e32 v20, 20, v20
	v_and_b32_e32 v22, 0x80000000, v22
	v_lshl_add_u32 v21, v21, 23, v23
	v_or3_b32 v20, v22, v21, v20
.LBB55_260:
	s_or_b64 exec, exec, s[6:7]
	s_movk_i32 s4, 0x7f
	v_cmp_gt_i16_sdwa s[6:7], v10, s4 src0_sel:BYTE_0 src1_sel:DWORD
	s_mov_b64 s[4:5], 0
                                        ; implicit-def: $sgpr10
	s_and_saveexec_b64 s[8:9], s[6:7]
	s_xor_b64 s[6:7], exec, s[8:9]
	s_cbranch_execnz .LBB55_2309
; %bb.261:
	s_or_saveexec_b64 s[6:7], s[6:7]
	v_mov_b32_e32 v21, s10
	s_xor_b64 exec, exec, s[6:7]
	s_cbranch_execnz .LBB55_2312
.LBB55_262:
	s_or_b64 exec, exec, s[6:7]
	s_and_saveexec_b64 s[6:7], s[4:5]
	s_cbranch_execz .LBB55_264
.LBB55_263:
	v_and_b32_e32 v21, 7, v10
	v_ffbh_u32_e32 v23, v21
	v_min_u32_e32 v23, 32, v23
	v_lshrrev_b16_e32 v22, 3, v10
	v_subrev_u32_e32 v24, 28, v23
	v_and_b32_e32 v22, 15, v22
	v_lshlrev_b32_e32 v24, v24, v10
	v_sub_u32_e32 v23, 29, v23
	v_and_b32_e32 v24, 7, v24
	v_cmp_eq_u16_e32 vcc, 0, v22
	v_cndmask_b32_e32 v21, v21, v24, vcc
	v_cndmask_b32_e32 v22, v22, v23, vcc
	v_lshlrev_b32_e32 v23, 24, v10
	v_mov_b32_e32 v24, 0x3b800000
	v_lshlrev_b32_e32 v21, 20, v21
	v_and_b32_e32 v23, 0x80000000, v23
	v_lshl_add_u32 v22, v22, 23, v24
	v_or3_b32 v21, v23, v22, v21
.LBB55_264:
	s_or_b64 exec, exec, s[6:7]
	flat_load_dwordx4 a[0:3], v[18:19] offset:400
	s_movk_i32 s4, 0x7f
                                        ; implicit-def: $sgpr10
	s_waitcnt vmcnt(0) lgkmcnt(0)
	v_mfma_f32_16x16x4f32 a[0:3], v20, v21, a[0:3]
	v_lshrrev_b32_e32 v21, 8, v14
	v_cmp_gt_i16_sdwa s[6:7], v21, s4 src0_sel:BYTE_0 src1_sel:DWORD
	s_mov_b64 s[4:5], 0
	s_and_saveexec_b64 s[8:9], s[6:7]
	s_xor_b64 s[6:7], exec, s[8:9]
	s_cbranch_execnz .LBB55_2313
; %bb.265:
	s_or_saveexec_b64 s[6:7], s[6:7]
	v_mov_b32_e32 v20, s10
	s_xor_b64 exec, exec, s[6:7]
	s_cbranch_execnz .LBB55_2316
.LBB55_266:
	s_or_b64 exec, exec, s[6:7]
	s_and_saveexec_b64 s[6:7], s[4:5]
	s_cbranch_execz .LBB55_268
.LBB55_267:
	v_bfe_u32 v20, v14, 8, 3
	v_ffbh_u32_e32 v23, v20
	v_min_u32_e32 v23, 32, v23
	v_lshrrev_b16_e32 v22, 3, v21
	v_subrev_u32_e32 v24, 28, v23
	v_and_b32_e32 v22, 15, v22
	v_lshlrev_b32_e32 v21, v24, v21
	v_sub_u32_e32 v23, 29, v23
	v_and_b32_e32 v21, 7, v21
	v_cmp_eq_u16_e32 vcc, 0, v22
	v_cndmask_b32_e32 v20, v20, v21, vcc
	v_cndmask_b32_e32 v21, v22, v23, vcc
	v_lshlrev_b32_e32 v22, 16, v14
	v_mov_b32_e32 v23, 0x3b800000
	v_lshlrev_b32_e32 v20, 20, v20
	v_and_b32_e32 v22, 0x80000000, v22
	v_lshl_add_u32 v21, v21, 23, v23
	v_or3_b32 v20, v22, v21, v20
.LBB55_268:
	s_or_b64 exec, exec, s[6:7]
	v_lshrrev_b32_e32 v21, 8, v10
	s_movk_i32 s4, 0x7f
	v_cmp_gt_i16_sdwa s[6:7], v21, s4 src0_sel:BYTE_0 src1_sel:DWORD
	s_mov_b64 s[4:5], 0
                                        ; implicit-def: $sgpr10
	s_and_saveexec_b64 s[8:9], s[6:7]
	s_xor_b64 s[6:7], exec, s[8:9]
	s_cbranch_execnz .LBB55_2317
; %bb.269:
	s_or_saveexec_b64 s[6:7], s[6:7]
	v_mov_b32_e32 v22, s10
	s_xor_b64 exec, exec, s[6:7]
	s_cbranch_execnz .LBB55_2320
.LBB55_270:
	s_or_b64 exec, exec, s[6:7]
	s_and_saveexec_b64 s[6:7], s[4:5]
	s_cbranch_execz .LBB55_272
.LBB55_271:
	v_bfe_u32 v22, v10, 8, 3
	v_ffbh_u32_e32 v24, v22
	v_min_u32_e32 v24, 32, v24
	v_lshrrev_b16_e32 v23, 3, v21
	v_subrev_u32_e32 v25, 28, v24
	v_and_b32_e32 v23, 15, v23
	v_lshlrev_b32_e32 v21, v25, v21
	v_sub_u32_e32 v24, 29, v24
	v_and_b32_e32 v21, 7, v21
	v_cmp_eq_u16_e32 vcc, 0, v23
	v_cndmask_b32_e32 v21, v22, v21, vcc
	v_cndmask_b32_e32 v22, v23, v24, vcc
	v_lshlrev_b32_e32 v23, 16, v10
	v_mov_b32_e32 v24, 0x3b800000
	v_lshlrev_b32_e32 v21, 20, v21
	v_and_b32_e32 v23, 0x80000000, v23
	v_lshl_add_u32 v22, v22, 23, v24
	v_or3_b32 v22, v23, v22, v21
.LBB55_272:
	s_or_b64 exec, exec, s[6:7]
	s_nop 0
	v_mfma_f32_16x16x4f32 a[0:3], v20, v22, a[0:3]
	s_movk_i32 s4, 0xff
	v_and_b32_sdwa v21, v14, s4 dst_sel:DWORD dst_unused:UNUSED_PAD src0_sel:WORD_1 src1_sel:DWORD
	s_movk_i32 s4, 0x7f
	v_cmp_lt_i16_e32 vcc, s4, v21
	s_mov_b64 s[4:5], 0
                                        ; implicit-def: $sgpr10
	s_and_saveexec_b64 s[6:7], vcc
	s_xor_b64 s[6:7], exec, s[6:7]
	s_cbranch_execnz .LBB55_2321
; %bb.273:
	s_or_saveexec_b64 s[6:7], s[6:7]
	v_mov_b32_e32 v20, s10
	s_xor_b64 exec, exec, s[6:7]
	s_cbranch_execnz .LBB55_2324
.LBB55_274:
	s_or_b64 exec, exec, s[6:7]
	s_and_saveexec_b64 s[6:7], s[4:5]
	s_cbranch_execz .LBB55_276
.LBB55_275:
	v_bfe_u32 v20, v14, 16, 3
	v_ffbh_u32_e32 v23, v20
	v_min_u32_e32 v23, 32, v23
	v_lshrrev_b32_e32 v21, 19, v14
	v_subrev_u32_e32 v24, 28, v23
	v_and_b32_e32 v21, 15, v21
	v_lshlrev_b32_sdwa v24, v24, v14 dst_sel:DWORD dst_unused:UNUSED_PAD src0_sel:DWORD src1_sel:WORD_1
	v_bfe_u32 v22, v14, 19, 4
	v_sub_u32_e32 v23, 29, v23
	v_and_b32_e32 v24, 7, v24
	v_cmp_eq_u16_e32 vcc, 0, v21
	v_cndmask_b32_e32 v20, v20, v24, vcc
	v_cndmask_b32_e32 v21, v22, v23, vcc
	v_lshlrev_b32_e32 v22, 8, v14
	v_mov_b32_e32 v23, 0x3b800000
	v_lshlrev_b32_e32 v20, 20, v20
	v_and_b32_e32 v22, 0x80000000, v22
	v_lshl_add_u32 v21, v21, 23, v23
	v_or3_b32 v20, v22, v21, v20
.LBB55_276:
	s_or_b64 exec, exec, s[6:7]
	s_movk_i32 s4, 0xff
	v_and_b32_sdwa v21, v10, s4 dst_sel:DWORD dst_unused:UNUSED_PAD src0_sel:WORD_1 src1_sel:DWORD
	s_movk_i32 s4, 0x7f
	v_cmp_lt_i16_e32 vcc, s4, v21
	s_mov_b64 s[4:5], 0
                                        ; implicit-def: $sgpr10
	s_and_saveexec_b64 s[6:7], vcc
	s_xor_b64 s[6:7], exec, s[6:7]
	s_cbranch_execnz .LBB55_2325
; %bb.277:
	s_or_saveexec_b64 s[6:7], s[6:7]
	v_mov_b32_e32 v22, s10
	s_xor_b64 exec, exec, s[6:7]
	s_cbranch_execnz .LBB55_2328
.LBB55_278:
	s_or_b64 exec, exec, s[6:7]
	s_and_saveexec_b64 s[6:7], s[4:5]
	s_cbranch_execz .LBB55_280
.LBB55_279:
	v_bfe_u32 v21, v10, 16, 3
	v_ffbh_u32_e32 v24, v21
	v_min_u32_e32 v24, 32, v24
	v_lshrrev_b32_e32 v22, 19, v10
	v_subrev_u32_e32 v25, 28, v24
	v_and_b32_e32 v22, 15, v22
	v_lshlrev_b32_sdwa v25, v25, v10 dst_sel:DWORD dst_unused:UNUSED_PAD src0_sel:DWORD src1_sel:WORD_1
	v_bfe_u32 v23, v10, 19, 4
	v_sub_u32_e32 v24, 29, v24
	v_and_b32_e32 v25, 7, v25
	v_cmp_eq_u16_e32 vcc, 0, v22
	v_cndmask_b32_e32 v21, v21, v25, vcc
	v_cndmask_b32_e32 v22, v23, v24, vcc
	v_lshlrev_b32_e32 v23, 8, v10
	v_mov_b32_e32 v24, 0x3b800000
	v_lshlrev_b32_e32 v21, 20, v21
	v_and_b32_e32 v23, 0x80000000, v23
	v_lshl_add_u32 v22, v22, 23, v24
	v_or3_b32 v22, v23, v22, v21
.LBB55_280:
	s_or_b64 exec, exec, s[6:7]
	s_nop 0
	v_mfma_f32_16x16x4f32 a[0:3], v20, v22, a[0:3]
	s_movk_i32 s4, 0x7f
	v_cmp_gt_i16_sdwa s[6:7], v14, s4 src0_sel:BYTE_3 src1_sel:DWORD
	s_mov_b64 s[4:5], 0
                                        ; implicit-def: $sgpr10
	s_and_saveexec_b64 s[8:9], s[6:7]
	s_xor_b64 s[6:7], exec, s[8:9]
	s_cbranch_execnz .LBB55_2329
; %bb.281:
	s_or_saveexec_b64 s[6:7], s[6:7]
	v_mov_b32_e32 v20, s10
	s_xor_b64 exec, exec, s[6:7]
	s_cbranch_execnz .LBB55_2332
.LBB55_282:
	s_or_b64 exec, exec, s[6:7]
	s_and_saveexec_b64 s[6:7], s[4:5]
	s_cbranch_execz .LBB55_284
.LBB55_283:
	v_bfe_u32 v20, v14, 24, 3
	v_ffbh_u32_e32 v24, v20
	v_min_u32_e32 v24, 32, v24
	v_lshrrev_b32_e32 v22, 27, v14
	v_subrev_u32_e32 v25, 28, v24
	v_and_b32_e32 v21, 0x80000000, v14
	v_and_b32_e32 v22, 15, v22
	v_bfe_u32 v23, v14, 27, 4
	v_lshlrev_b32_sdwa v14, v25, v14 dst_sel:DWORD dst_unused:UNUSED_PAD src0_sel:DWORD src1_sel:BYTE_3
	v_sub_u32_e32 v24, 29, v24
	v_and_b32_e32 v14, 7, v14
	v_cmp_eq_u16_e32 vcc, 0, v22
	v_cndmask_b32_e32 v14, v20, v14, vcc
	v_cndmask_b32_e32 v20, v23, v24, vcc
	v_mov_b32_e32 v22, 0x3b800000
	v_lshlrev_b32_e32 v14, 20, v14
	v_lshl_add_u32 v20, v20, 23, v22
	v_or3_b32 v20, v21, v20, v14
.LBB55_284:
	s_or_b64 exec, exec, s[6:7]
	s_movk_i32 s4, 0x7f
	v_cmp_gt_i16_sdwa s[6:7], v10, s4 src0_sel:BYTE_3 src1_sel:DWORD
	s_mov_b64 s[4:5], 0
                                        ; implicit-def: $sgpr10
	s_and_saveexec_b64 s[8:9], s[6:7]
	s_xor_b64 s[6:7], exec, s[8:9]
	s_cbranch_execnz .LBB55_2333
; %bb.285:
	s_or_saveexec_b64 s[6:7], s[6:7]
	v_mov_b32_e32 v14, s10
	s_xor_b64 exec, exec, s[6:7]
	s_cbranch_execnz .LBB55_2336
.LBB55_286:
	s_or_b64 exec, exec, s[6:7]
	s_and_saveexec_b64 s[6:7], s[4:5]
	s_cbranch_execz .LBB55_288
.LBB55_287:
	v_bfe_u32 v14, v10, 24, 3
	v_ffbh_u32_e32 v24, v14
	v_min_u32_e32 v24, 32, v24
	v_lshrrev_b32_e32 v22, 27, v10
	v_subrev_u32_e32 v25, 28, v24
	v_and_b32_e32 v21, 0x80000000, v10
	v_and_b32_e32 v22, 15, v22
	v_bfe_u32 v23, v10, 27, 4
	v_lshlrev_b32_sdwa v10, v25, v10 dst_sel:DWORD dst_unused:UNUSED_PAD src0_sel:DWORD src1_sel:BYTE_3
	v_sub_u32_e32 v24, 29, v24
	v_and_b32_e32 v10, 7, v10
	v_cmp_eq_u16_e32 vcc, 0, v22
	v_cndmask_b32_e32 v10, v14, v10, vcc
	v_cndmask_b32_e32 v14, v23, v24, vcc
	v_mov_b32_e32 v22, 0x3b800000
	v_lshlrev_b32_e32 v10, 20, v10
	v_lshl_add_u32 v14, v14, 23, v22
	v_or3_b32 v14, v21, v14, v10
.LBB55_288:
	s_or_b64 exec, exec, s[6:7]
	s_nop 0
	v_mfma_f32_16x16x4f32 a[0:3], v20, v14, a[0:3]
	s_movk_i32 s4, 0x7f
	v_cmp_gt_i16_sdwa s[6:7], v15, s4 src0_sel:BYTE_0 src1_sel:DWORD
	s_mov_b64 s[4:5], 0
                                        ; implicit-def: $sgpr10
	s_and_saveexec_b64 s[8:9], s[6:7]
	s_xor_b64 s[6:7], exec, s[8:9]
	s_cbranch_execnz .LBB55_2337
; %bb.289:
	s_or_saveexec_b64 s[6:7], s[6:7]
	v_mov_b32_e32 v10, s10
	s_xor_b64 exec, exec, s[6:7]
	s_cbranch_execnz .LBB55_2340
.LBB55_290:
	s_or_b64 exec, exec, s[6:7]
	s_and_saveexec_b64 s[6:7], s[4:5]
	s_cbranch_execz .LBB55_292
.LBB55_291:
	v_and_b32_e32 v10, 7, v15
	v_ffbh_u32_e32 v20, v10
	v_min_u32_e32 v20, 32, v20
	v_lshrrev_b16_e32 v14, 3, v15
	v_subrev_u32_e32 v21, 28, v20
	v_and_b32_e32 v14, 15, v14
	v_lshlrev_b32_e32 v21, v21, v15
	v_sub_u32_e32 v20, 29, v20
	v_and_b32_e32 v21, 7, v21
	v_cmp_eq_u16_e32 vcc, 0, v14
	v_cndmask_b32_e32 v10, v10, v21, vcc
	v_cndmask_b32_e32 v14, v14, v20, vcc
	v_lshlrev_b32_e32 v20, 24, v15
	v_mov_b32_e32 v21, 0x3b800000
	v_lshlrev_b32_e32 v10, 20, v10
	v_and_b32_e32 v20, 0x80000000, v20
	v_lshl_add_u32 v14, v14, 23, v21
	v_or3_b32 v10, v20, v14, v10
.LBB55_292:
	s_or_b64 exec, exec, s[6:7]
	s_movk_i32 s4, 0x7f
	v_cmp_gt_i16_sdwa s[6:7], v11, s4 src0_sel:BYTE_0 src1_sel:DWORD
	s_mov_b64 s[4:5], 0
                                        ; implicit-def: $sgpr10
	s_and_saveexec_b64 s[8:9], s[6:7]
	s_xor_b64 s[6:7], exec, s[8:9]
	s_cbranch_execnz .LBB55_2341
; %bb.293:
	s_or_saveexec_b64 s[6:7], s[6:7]
	v_mov_b32_e32 v14, s10
	s_xor_b64 exec, exec, s[6:7]
	s_cbranch_execnz .LBB55_2344
.LBB55_294:
	s_or_b64 exec, exec, s[6:7]
	s_and_saveexec_b64 s[6:7], s[4:5]
	s_cbranch_execz .LBB55_296
.LBB55_295:
	v_and_b32_e32 v14, 7, v11
	v_ffbh_u32_e32 v21, v14
	v_min_u32_e32 v21, 32, v21
	v_lshrrev_b16_e32 v20, 3, v11
	v_subrev_u32_e32 v22, 28, v21
	v_and_b32_e32 v20, 15, v20
	v_lshlrev_b32_e32 v22, v22, v11
	v_sub_u32_e32 v21, 29, v21
	v_and_b32_e32 v22, 7, v22
	v_cmp_eq_u16_e32 vcc, 0, v20
	v_cndmask_b32_e32 v14, v14, v22, vcc
	v_cndmask_b32_e32 v20, v20, v21, vcc
	v_lshlrev_b32_e32 v21, 24, v11
	v_mov_b32_e32 v22, 0x3b800000
	v_lshlrev_b32_e32 v14, 20, v14
	v_and_b32_e32 v21, 0x80000000, v21
	v_lshl_add_u32 v20, v20, 23, v22
	v_or3_b32 v14, v21, v20, v14
.LBB55_296:
	s_or_b64 exec, exec, s[6:7]
	s_nop 0
	v_mfma_f32_16x16x4f32 a[0:3], v10, v14, a[0:3]
	v_lshrrev_b32_e32 v14, 8, v15
	s_movk_i32 s4, 0x7f
	v_cmp_gt_i16_sdwa s[6:7], v14, s4 src0_sel:BYTE_0 src1_sel:DWORD
	s_mov_b64 s[4:5], 0
                                        ; implicit-def: $sgpr10
	s_and_saveexec_b64 s[8:9], s[6:7]
	s_xor_b64 s[6:7], exec, s[8:9]
	s_cbranch_execnz .LBB55_2345
; %bb.297:
	s_or_saveexec_b64 s[6:7], s[6:7]
	v_mov_b32_e32 v10, s10
	s_xor_b64 exec, exec, s[6:7]
	s_cbranch_execnz .LBB55_2348
.LBB55_298:
	s_or_b64 exec, exec, s[6:7]
	s_and_saveexec_b64 s[6:7], s[4:5]
	s_cbranch_execz .LBB55_300
.LBB55_299:
	v_bfe_u32 v10, v15, 8, 3
	v_ffbh_u32_e32 v21, v10
	v_min_u32_e32 v21, 32, v21
	v_lshrrev_b16_e32 v20, 3, v14
	v_subrev_u32_e32 v22, 28, v21
	v_and_b32_e32 v20, 15, v20
	v_lshlrev_b32_e32 v14, v22, v14
	v_sub_u32_e32 v21, 29, v21
	v_and_b32_e32 v14, 7, v14
	v_cmp_eq_u16_e32 vcc, 0, v20
	v_cndmask_b32_e32 v10, v10, v14, vcc
	v_cndmask_b32_e32 v14, v20, v21, vcc
	v_lshlrev_b32_e32 v20, 16, v15
	v_mov_b32_e32 v21, 0x3b800000
	v_lshlrev_b32_e32 v10, 20, v10
	v_and_b32_e32 v20, 0x80000000, v20
	v_lshl_add_u32 v14, v14, 23, v21
	v_or3_b32 v10, v20, v14, v10
.LBB55_300:
	s_or_b64 exec, exec, s[6:7]
	v_lshrrev_b32_e32 v14, 8, v11
	s_movk_i32 s4, 0x7f
	v_cmp_gt_i16_sdwa s[6:7], v14, s4 src0_sel:BYTE_0 src1_sel:DWORD
	s_mov_b64 s[4:5], 0
                                        ; implicit-def: $sgpr10
	s_and_saveexec_b64 s[8:9], s[6:7]
	s_xor_b64 s[6:7], exec, s[8:9]
	s_cbranch_execnz .LBB55_2349
; %bb.301:
	s_or_saveexec_b64 s[6:7], s[6:7]
	v_mov_b32_e32 v20, s10
	s_xor_b64 exec, exec, s[6:7]
	s_cbranch_execnz .LBB55_2352
.LBB55_302:
	s_or_b64 exec, exec, s[6:7]
	s_and_saveexec_b64 s[6:7], s[4:5]
	s_cbranch_execz .LBB55_304
.LBB55_303:
	v_bfe_u32 v20, v11, 8, 3
	v_ffbh_u32_e32 v22, v20
	v_min_u32_e32 v22, 32, v22
	v_lshrrev_b16_e32 v21, 3, v14
	v_subrev_u32_e32 v23, 28, v22
	v_and_b32_e32 v21, 15, v21
	v_lshlrev_b32_e32 v14, v23, v14
	v_sub_u32_e32 v22, 29, v22
	v_and_b32_e32 v14, 7, v14
	v_cmp_eq_u16_e32 vcc, 0, v21
	v_cndmask_b32_e32 v14, v20, v14, vcc
	v_cndmask_b32_e32 v20, v21, v22, vcc
	v_lshlrev_b32_e32 v21, 16, v11
	v_mov_b32_e32 v22, 0x3b800000
	v_lshlrev_b32_e32 v14, 20, v14
	v_and_b32_e32 v21, 0x80000000, v21
	v_lshl_add_u32 v20, v20, 23, v22
	v_or3_b32 v20, v21, v20, v14
.LBB55_304:
	s_or_b64 exec, exec, s[6:7]
	s_nop 0
	v_mfma_f32_16x16x4f32 a[0:3], v10, v20, a[0:3]
	s_movk_i32 s4, 0xff
	v_and_b32_sdwa v14, v15, s4 dst_sel:DWORD dst_unused:UNUSED_PAD src0_sel:WORD_1 src1_sel:DWORD
	s_movk_i32 s4, 0x7f
	v_cmp_lt_i16_e32 vcc, s4, v14
	s_mov_b64 s[4:5], 0
                                        ; implicit-def: $sgpr10
	s_and_saveexec_b64 s[6:7], vcc
	s_xor_b64 s[6:7], exec, s[6:7]
	s_cbranch_execnz .LBB55_2353
; %bb.305:
	s_or_saveexec_b64 s[6:7], s[6:7]
	v_mov_b32_e32 v10, s10
	s_xor_b64 exec, exec, s[6:7]
	s_cbranch_execnz .LBB55_2356
.LBB55_306:
	s_or_b64 exec, exec, s[6:7]
	s_and_saveexec_b64 s[6:7], s[4:5]
	s_cbranch_execz .LBB55_308
.LBB55_307:
	v_bfe_u32 v10, v15, 16, 3
	v_ffbh_u32_e32 v21, v10
	v_min_u32_e32 v21, 32, v21
	v_lshrrev_b32_e32 v14, 19, v15
	v_subrev_u32_e32 v22, 28, v21
	v_and_b32_e32 v14, 15, v14
	v_lshlrev_b32_sdwa v22, v22, v15 dst_sel:DWORD dst_unused:UNUSED_PAD src0_sel:DWORD src1_sel:WORD_1
	v_bfe_u32 v20, v15, 19, 4
	v_sub_u32_e32 v21, 29, v21
	v_and_b32_e32 v22, 7, v22
	v_cmp_eq_u16_e32 vcc, 0, v14
	v_cndmask_b32_e32 v10, v10, v22, vcc
	v_cndmask_b32_e32 v14, v20, v21, vcc
	v_lshlrev_b32_e32 v20, 8, v15
	v_mov_b32_e32 v21, 0x3b800000
	v_lshlrev_b32_e32 v10, 20, v10
	v_and_b32_e32 v20, 0x80000000, v20
	v_lshl_add_u32 v14, v14, 23, v21
	v_or3_b32 v10, v20, v14, v10
.LBB55_308:
	s_or_b64 exec, exec, s[6:7]
	s_movk_i32 s4, 0xff
	v_and_b32_sdwa v14, v11, s4 dst_sel:DWORD dst_unused:UNUSED_PAD src0_sel:WORD_1 src1_sel:DWORD
	s_movk_i32 s4, 0x7f
	v_cmp_lt_i16_e32 vcc, s4, v14
	s_mov_b64 s[4:5], 0
                                        ; implicit-def: $sgpr10
	s_and_saveexec_b64 s[6:7], vcc
	s_xor_b64 s[6:7], exec, s[6:7]
	s_cbranch_execnz .LBB55_2357
; %bb.309:
	s_or_saveexec_b64 s[6:7], s[6:7]
	v_mov_b32_e32 v20, s10
	s_xor_b64 exec, exec, s[6:7]
	s_cbranch_execnz .LBB55_2360
.LBB55_310:
	s_or_b64 exec, exec, s[6:7]
	s_and_saveexec_b64 s[6:7], s[4:5]
	s_cbranch_execz .LBB55_312
.LBB55_311:
	v_bfe_u32 v14, v11, 16, 3
	v_ffbh_u32_e32 v22, v14
	v_min_u32_e32 v22, 32, v22
	v_lshrrev_b32_e32 v20, 19, v11
	v_subrev_u32_e32 v23, 28, v22
	v_and_b32_e32 v20, 15, v20
	v_lshlrev_b32_sdwa v23, v23, v11 dst_sel:DWORD dst_unused:UNUSED_PAD src0_sel:DWORD src1_sel:WORD_1
	v_bfe_u32 v21, v11, 19, 4
	v_sub_u32_e32 v22, 29, v22
	v_and_b32_e32 v23, 7, v23
	v_cmp_eq_u16_e32 vcc, 0, v20
	v_cndmask_b32_e32 v14, v14, v23, vcc
	v_cndmask_b32_e32 v20, v21, v22, vcc
	v_lshlrev_b32_e32 v21, 8, v11
	v_mov_b32_e32 v22, 0x3b800000
	v_lshlrev_b32_e32 v14, 20, v14
	v_and_b32_e32 v21, 0x80000000, v21
	v_lshl_add_u32 v20, v20, 23, v22
	v_or3_b32 v20, v21, v20, v14
.LBB55_312:
	s_or_b64 exec, exec, s[6:7]
	s_nop 0
	v_mfma_f32_16x16x4f32 a[0:3], v10, v20, a[0:3]
	s_movk_i32 s4, 0x7f
	v_cmp_gt_i16_sdwa s[6:7], v15, s4 src0_sel:BYTE_3 src1_sel:DWORD
	s_mov_b64 s[4:5], 0
                                        ; implicit-def: $sgpr10
	s_and_saveexec_b64 s[8:9], s[6:7]
	s_xor_b64 s[6:7], exec, s[8:9]
	s_cbranch_execnz .LBB55_2361
; %bb.313:
	s_or_saveexec_b64 s[6:7], s[6:7]
	v_mov_b32_e32 v10, s10
	s_xor_b64 exec, exec, s[6:7]
	s_cbranch_execnz .LBB55_2364
.LBB55_314:
	s_or_b64 exec, exec, s[6:7]
	s_and_saveexec_b64 s[6:7], s[4:5]
	s_cbranch_execz .LBB55_316
.LBB55_315:
	v_bfe_u32 v10, v15, 24, 3
	v_ffbh_u32_e32 v22, v10
	v_min_u32_e32 v22, 32, v22
	v_lshrrev_b32_e32 v20, 27, v15
	v_subrev_u32_e32 v23, 28, v22
	v_and_b32_e32 v14, 0x80000000, v15
	v_and_b32_e32 v20, 15, v20
	v_bfe_u32 v21, v15, 27, 4
	v_lshlrev_b32_sdwa v15, v23, v15 dst_sel:DWORD dst_unused:UNUSED_PAD src0_sel:DWORD src1_sel:BYTE_3
	v_sub_u32_e32 v22, 29, v22
	v_and_b32_e32 v15, 7, v15
	v_cmp_eq_u16_e32 vcc, 0, v20
	v_cndmask_b32_e32 v10, v10, v15, vcc
	v_cndmask_b32_e32 v15, v21, v22, vcc
	v_mov_b32_e32 v20, 0x3b800000
	v_lshlrev_b32_e32 v10, 20, v10
	v_lshl_add_u32 v15, v15, 23, v20
	v_or3_b32 v10, v14, v15, v10
.LBB55_316:
	s_or_b64 exec, exec, s[6:7]
	s_movk_i32 s4, 0x7f
	v_cmp_gt_i16_sdwa s[6:7], v11, s4 src0_sel:BYTE_3 src1_sel:DWORD
	s_mov_b64 s[4:5], 0
                                        ; implicit-def: $sgpr10
	s_and_saveexec_b64 s[8:9], s[6:7]
	s_xor_b64 s[6:7], exec, s[8:9]
	s_cbranch_execnz .LBB55_2365
; %bb.317:
	s_or_saveexec_b64 s[6:7], s[6:7]
	v_mov_b32_e32 v14, s10
	s_xor_b64 exec, exec, s[6:7]
	s_cbranch_execnz .LBB55_2368
.LBB55_318:
	s_or_b64 exec, exec, s[6:7]
	s_and_saveexec_b64 s[6:7], s[4:5]
	s_cbranch_execz .LBB55_320
.LBB55_319:
	v_bfe_u32 v14, v11, 24, 3
	v_ffbh_u32_e32 v22, v14
	v_min_u32_e32 v22, 32, v22
	v_lshrrev_b32_e32 v20, 27, v11
	v_subrev_u32_e32 v23, 28, v22
	v_and_b32_e32 v15, 0x80000000, v11
	v_and_b32_e32 v20, 15, v20
	v_bfe_u32 v21, v11, 27, 4
	v_lshlrev_b32_sdwa v11, v23, v11 dst_sel:DWORD dst_unused:UNUSED_PAD src0_sel:DWORD src1_sel:BYTE_3
	v_sub_u32_e32 v22, 29, v22
	v_and_b32_e32 v11, 7, v11
	v_cmp_eq_u16_e32 vcc, 0, v20
	v_cndmask_b32_e32 v11, v14, v11, vcc
	v_cndmask_b32_e32 v14, v21, v22, vcc
	v_mov_b32_e32 v20, 0x3b800000
	v_lshlrev_b32_e32 v11, 20, v11
	v_lshl_add_u32 v14, v14, 23, v20
	v_or3_b32 v14, v15, v14, v11
.LBB55_320:
	s_or_b64 exec, exec, s[6:7]
	s_nop 0
	v_mfma_f32_16x16x4f32 a[0:3], v10, v14, a[0:3]
	s_movk_i32 s4, 0x7f
	v_cmp_gt_i16_sdwa s[6:7], v16, s4 src0_sel:BYTE_0 src1_sel:DWORD
	s_mov_b64 s[4:5], 0
                                        ; implicit-def: $sgpr10
	s_and_saveexec_b64 s[8:9], s[6:7]
	s_xor_b64 s[6:7], exec, s[8:9]
	s_cbranch_execnz .LBB55_2369
; %bb.321:
	s_or_saveexec_b64 s[6:7], s[6:7]
	v_mov_b32_e32 v10, s10
	s_xor_b64 exec, exec, s[6:7]
	s_cbranch_execnz .LBB55_2372
.LBB55_322:
	s_or_b64 exec, exec, s[6:7]
	s_and_saveexec_b64 s[6:7], s[4:5]
	s_cbranch_execz .LBB55_324
.LBB55_323:
	v_and_b32_e32 v10, 7, v16
	v_ffbh_u32_e32 v14, v10
	v_min_u32_e32 v14, 32, v14
	v_lshrrev_b16_e32 v11, 3, v16
	v_subrev_u32_e32 v15, 28, v14
	v_and_b32_e32 v11, 15, v11
	v_lshlrev_b32_e32 v15, v15, v16
	v_sub_u32_e32 v14, 29, v14
	v_and_b32_e32 v15, 7, v15
	v_cmp_eq_u16_e32 vcc, 0, v11
	v_cndmask_b32_e32 v10, v10, v15, vcc
	v_cndmask_b32_e32 v11, v11, v14, vcc
	v_lshlrev_b32_e32 v14, 24, v16
	v_mov_b32_e32 v15, 0x3b800000
	v_lshlrev_b32_e32 v10, 20, v10
	v_and_b32_e32 v14, 0x80000000, v14
	v_lshl_add_u32 v11, v11, 23, v15
	v_or3_b32 v10, v14, v11, v10
.LBB55_324:
	s_or_b64 exec, exec, s[6:7]
	s_movk_i32 s4, 0x7f
	v_cmp_gt_i16_sdwa s[6:7], v12, s4 src0_sel:BYTE_0 src1_sel:DWORD
	s_mov_b64 s[4:5], 0
                                        ; implicit-def: $sgpr10
	s_and_saveexec_b64 s[8:9], s[6:7]
	s_xor_b64 s[6:7], exec, s[8:9]
	s_cbranch_execnz .LBB55_2373
; %bb.325:
	s_or_saveexec_b64 s[6:7], s[6:7]
	v_mov_b32_e32 v11, s10
	s_xor_b64 exec, exec, s[6:7]
	s_cbranch_execnz .LBB55_2376
.LBB55_326:
	s_or_b64 exec, exec, s[6:7]
	s_and_saveexec_b64 s[6:7], s[4:5]
	s_cbranch_execz .LBB55_328
.LBB55_327:
	v_and_b32_e32 v11, 7, v12
	v_ffbh_u32_e32 v15, v11
	v_min_u32_e32 v15, 32, v15
	v_lshrrev_b16_e32 v14, 3, v12
	v_subrev_u32_e32 v20, 28, v15
	v_and_b32_e32 v14, 15, v14
	v_lshlrev_b32_e32 v20, v20, v12
	v_sub_u32_e32 v15, 29, v15
	v_and_b32_e32 v20, 7, v20
	v_cmp_eq_u16_e32 vcc, 0, v14
	v_cndmask_b32_e32 v11, v11, v20, vcc
	v_cndmask_b32_e32 v14, v14, v15, vcc
	v_lshlrev_b32_e32 v15, 24, v12
	v_mov_b32_e32 v20, 0x3b800000
	v_lshlrev_b32_e32 v11, 20, v11
	v_and_b32_e32 v15, 0x80000000, v15
	v_lshl_add_u32 v14, v14, 23, v20
	v_or3_b32 v11, v15, v14, v11
.LBB55_328:
	s_or_b64 exec, exec, s[6:7]
	s_nop 0
	v_mfma_f32_16x16x4f32 a[0:3], v10, v11, a[0:3]
	v_lshrrev_b32_e32 v11, 8, v16
	s_movk_i32 s4, 0x7f
	v_cmp_gt_i16_sdwa s[6:7], v11, s4 src0_sel:BYTE_0 src1_sel:DWORD
	s_mov_b64 s[4:5], 0
                                        ; implicit-def: $sgpr10
	s_and_saveexec_b64 s[8:9], s[6:7]
	s_xor_b64 s[6:7], exec, s[8:9]
	s_cbranch_execnz .LBB55_2377
; %bb.329:
	s_or_saveexec_b64 s[6:7], s[6:7]
	v_mov_b32_e32 v10, s10
	s_xor_b64 exec, exec, s[6:7]
	s_cbranch_execnz .LBB55_2380
.LBB55_330:
	s_or_b64 exec, exec, s[6:7]
	s_and_saveexec_b64 s[6:7], s[4:5]
	s_cbranch_execz .LBB55_332
.LBB55_331:
	v_bfe_u32 v10, v16, 8, 3
	v_ffbh_u32_e32 v15, v10
	v_min_u32_e32 v15, 32, v15
	v_lshrrev_b16_e32 v14, 3, v11
	v_subrev_u32_e32 v20, 28, v15
	v_and_b32_e32 v14, 15, v14
	v_lshlrev_b32_e32 v11, v20, v11
	v_sub_u32_e32 v15, 29, v15
	v_and_b32_e32 v11, 7, v11
	v_cmp_eq_u16_e32 vcc, 0, v14
	v_cndmask_b32_e32 v10, v10, v11, vcc
	v_cndmask_b32_e32 v11, v14, v15, vcc
	v_lshlrev_b32_e32 v14, 16, v16
	v_mov_b32_e32 v15, 0x3b800000
	v_lshlrev_b32_e32 v10, 20, v10
	v_and_b32_e32 v14, 0x80000000, v14
	v_lshl_add_u32 v11, v11, 23, v15
	v_or3_b32 v10, v14, v11, v10
.LBB55_332:
	s_or_b64 exec, exec, s[6:7]
	v_lshrrev_b32_e32 v11, 8, v12
	s_movk_i32 s4, 0x7f
	v_cmp_gt_i16_sdwa s[6:7], v11, s4 src0_sel:BYTE_0 src1_sel:DWORD
	s_mov_b64 s[4:5], 0
                                        ; implicit-def: $sgpr10
	s_and_saveexec_b64 s[8:9], s[6:7]
	s_xor_b64 s[6:7], exec, s[8:9]
	s_cbranch_execnz .LBB55_2381
; %bb.333:
	s_or_saveexec_b64 s[6:7], s[6:7]
	v_mov_b32_e32 v14, s10
	s_xor_b64 exec, exec, s[6:7]
	s_cbranch_execnz .LBB55_2384
.LBB55_334:
	s_or_b64 exec, exec, s[6:7]
	s_and_saveexec_b64 s[6:7], s[4:5]
	s_cbranch_execz .LBB55_336
.LBB55_335:
	v_bfe_u32 v14, v12, 8, 3
	v_ffbh_u32_e32 v20, v14
	v_min_u32_e32 v20, 32, v20
	v_lshrrev_b16_e32 v15, 3, v11
	v_subrev_u32_e32 v21, 28, v20
	v_and_b32_e32 v15, 15, v15
	v_lshlrev_b32_e32 v11, v21, v11
	v_sub_u32_e32 v20, 29, v20
	v_and_b32_e32 v11, 7, v11
	v_cmp_eq_u16_e32 vcc, 0, v15
	v_cndmask_b32_e32 v11, v14, v11, vcc
	v_cndmask_b32_e32 v14, v15, v20, vcc
	v_lshlrev_b32_e32 v15, 16, v12
	v_mov_b32_e32 v20, 0x3b800000
	v_lshlrev_b32_e32 v11, 20, v11
	v_and_b32_e32 v15, 0x80000000, v15
	v_lshl_add_u32 v14, v14, 23, v20
	v_or3_b32 v14, v15, v14, v11
.LBB55_336:
	s_or_b64 exec, exec, s[6:7]
	s_nop 0
	v_mfma_f32_16x16x4f32 a[0:3], v10, v14, a[0:3]
	s_movk_i32 s4, 0xff
	v_and_b32_sdwa v11, v16, s4 dst_sel:DWORD dst_unused:UNUSED_PAD src0_sel:WORD_1 src1_sel:DWORD
	s_movk_i32 s4, 0x7f
	v_cmp_lt_i16_e32 vcc, s4, v11
	s_mov_b64 s[4:5], 0
                                        ; implicit-def: $sgpr10
	s_and_saveexec_b64 s[6:7], vcc
	s_xor_b64 s[6:7], exec, s[6:7]
	s_cbranch_execnz .LBB55_2385
; %bb.337:
	s_or_saveexec_b64 s[6:7], s[6:7]
	v_mov_b32_e32 v10, s10
	s_xor_b64 exec, exec, s[6:7]
	s_cbranch_execnz .LBB55_2388
.LBB55_338:
	s_or_b64 exec, exec, s[6:7]
	s_and_saveexec_b64 s[6:7], s[4:5]
	s_cbranch_execz .LBB55_340
.LBB55_339:
	v_bfe_u32 v10, v16, 16, 3
	v_ffbh_u32_e32 v15, v10
	v_min_u32_e32 v15, 32, v15
	v_lshrrev_b32_e32 v11, 19, v16
	v_subrev_u32_e32 v20, 28, v15
	v_and_b32_e32 v11, 15, v11
	v_lshlrev_b32_sdwa v20, v20, v16 dst_sel:DWORD dst_unused:UNUSED_PAD src0_sel:DWORD src1_sel:WORD_1
	v_bfe_u32 v14, v16, 19, 4
	v_sub_u32_e32 v15, 29, v15
	v_and_b32_e32 v20, 7, v20
	v_cmp_eq_u16_e32 vcc, 0, v11
	v_cndmask_b32_e32 v10, v10, v20, vcc
	v_cndmask_b32_e32 v11, v14, v15, vcc
	v_lshlrev_b32_e32 v14, 8, v16
	v_mov_b32_e32 v15, 0x3b800000
	v_lshlrev_b32_e32 v10, 20, v10
	v_and_b32_e32 v14, 0x80000000, v14
	v_lshl_add_u32 v11, v11, 23, v15
	v_or3_b32 v10, v14, v11, v10
.LBB55_340:
	s_or_b64 exec, exec, s[6:7]
	s_movk_i32 s4, 0xff
	v_and_b32_sdwa v11, v12, s4 dst_sel:DWORD dst_unused:UNUSED_PAD src0_sel:WORD_1 src1_sel:DWORD
	s_movk_i32 s4, 0x7f
	v_cmp_lt_i16_e32 vcc, s4, v11
	s_mov_b64 s[4:5], 0
                                        ; implicit-def: $sgpr10
	s_and_saveexec_b64 s[6:7], vcc
	s_xor_b64 s[6:7], exec, s[6:7]
	s_cbranch_execnz .LBB55_2389
; %bb.341:
	s_or_saveexec_b64 s[6:7], s[6:7]
	v_mov_b32_e32 v14, s10
	s_xor_b64 exec, exec, s[6:7]
	s_cbranch_execnz .LBB55_2392
.LBB55_342:
	s_or_b64 exec, exec, s[6:7]
	s_and_saveexec_b64 s[6:7], s[4:5]
	s_cbranch_execz .LBB55_344
.LBB55_343:
	v_bfe_u32 v11, v12, 16, 3
	v_ffbh_u32_e32 v20, v11
	v_min_u32_e32 v20, 32, v20
	v_lshrrev_b32_e32 v14, 19, v12
	v_subrev_u32_e32 v21, 28, v20
	v_and_b32_e32 v14, 15, v14
	v_lshlrev_b32_sdwa v21, v21, v12 dst_sel:DWORD dst_unused:UNUSED_PAD src0_sel:DWORD src1_sel:WORD_1
	v_bfe_u32 v15, v12, 19, 4
	v_sub_u32_e32 v20, 29, v20
	v_and_b32_e32 v21, 7, v21
	v_cmp_eq_u16_e32 vcc, 0, v14
	v_cndmask_b32_e32 v11, v11, v21, vcc
	v_cndmask_b32_e32 v14, v15, v20, vcc
	v_lshlrev_b32_e32 v15, 8, v12
	v_mov_b32_e32 v20, 0x3b800000
	v_lshlrev_b32_e32 v11, 20, v11
	v_and_b32_e32 v15, 0x80000000, v15
	v_lshl_add_u32 v14, v14, 23, v20
	v_or3_b32 v14, v15, v14, v11
.LBB55_344:
	s_or_b64 exec, exec, s[6:7]
	s_nop 0
	v_mfma_f32_16x16x4f32 a[0:3], v10, v14, a[0:3]
	s_movk_i32 s4, 0x7f
	v_cmp_gt_i16_sdwa s[6:7], v16, s4 src0_sel:BYTE_3 src1_sel:DWORD
	s_mov_b64 s[4:5], 0
                                        ; implicit-def: $sgpr10
	s_and_saveexec_b64 s[8:9], s[6:7]
	s_xor_b64 s[6:7], exec, s[8:9]
	s_cbranch_execnz .LBB55_2393
; %bb.345:
	s_or_saveexec_b64 s[6:7], s[6:7]
	v_mov_b32_e32 v10, s10
	s_xor_b64 exec, exec, s[6:7]
	s_cbranch_execnz .LBB55_2396
.LBB55_346:
	s_or_b64 exec, exec, s[6:7]
	s_and_saveexec_b64 s[6:7], s[4:5]
	s_cbranch_execz .LBB55_348
.LBB55_347:
	v_bfe_u32 v10, v16, 24, 3
	v_ffbh_u32_e32 v20, v10
	v_min_u32_e32 v20, 32, v20
	v_lshrrev_b32_e32 v14, 27, v16
	v_subrev_u32_e32 v21, 28, v20
	v_and_b32_e32 v11, 0x80000000, v16
	v_and_b32_e32 v14, 15, v14
	v_bfe_u32 v15, v16, 27, 4
	v_lshlrev_b32_sdwa v16, v21, v16 dst_sel:DWORD dst_unused:UNUSED_PAD src0_sel:DWORD src1_sel:BYTE_3
	v_sub_u32_e32 v20, 29, v20
	v_and_b32_e32 v16, 7, v16
	v_cmp_eq_u16_e32 vcc, 0, v14
	v_cndmask_b32_e32 v10, v10, v16, vcc
	v_cndmask_b32_e32 v14, v15, v20, vcc
	v_mov_b32_e32 v15, 0x3b800000
	v_lshlrev_b32_e32 v10, 20, v10
	v_lshl_add_u32 v14, v14, 23, v15
	v_or3_b32 v10, v11, v14, v10
.LBB55_348:
	s_or_b64 exec, exec, s[6:7]
	s_movk_i32 s4, 0x7f
	v_cmp_gt_i16_sdwa s[6:7], v12, s4 src0_sel:BYTE_3 src1_sel:DWORD
	s_mov_b64 s[4:5], 0
                                        ; implicit-def: $sgpr10
	s_and_saveexec_b64 s[8:9], s[6:7]
	s_xor_b64 s[6:7], exec, s[8:9]
	s_cbranch_execnz .LBB55_2397
; %bb.349:
	s_or_saveexec_b64 s[6:7], s[6:7]
	v_mov_b32_e32 v11, s10
	s_xor_b64 exec, exec, s[6:7]
	s_cbranch_execnz .LBB55_2400
.LBB55_350:
	s_or_b64 exec, exec, s[6:7]
	s_and_saveexec_b64 s[6:7], s[4:5]
	s_cbranch_execz .LBB55_352
.LBB55_351:
	v_bfe_u32 v11, v12, 24, 3
	v_ffbh_u32_e32 v20, v11
	v_min_u32_e32 v20, 32, v20
	v_lshrrev_b32_e32 v15, 27, v12
	v_subrev_u32_e32 v21, 28, v20
	v_and_b32_e32 v14, 0x80000000, v12
	v_and_b32_e32 v15, 15, v15
	v_bfe_u32 v16, v12, 27, 4
	v_lshlrev_b32_sdwa v12, v21, v12 dst_sel:DWORD dst_unused:UNUSED_PAD src0_sel:DWORD src1_sel:BYTE_3
	v_sub_u32_e32 v20, 29, v20
	v_and_b32_e32 v12, 7, v12
	v_cmp_eq_u16_e32 vcc, 0, v15
	v_cndmask_b32_e32 v11, v11, v12, vcc
	v_cndmask_b32_e32 v12, v16, v20, vcc
	v_mov_b32_e32 v15, 0x3b800000
	v_lshlrev_b32_e32 v11, 20, v11
	v_lshl_add_u32 v12, v12, 23, v15
	v_or3_b32 v11, v14, v12, v11
.LBB55_352:
	s_or_b64 exec, exec, s[6:7]
	s_nop 0
	v_mfma_f32_16x16x4f32 a[0:3], v10, v11, a[0:3]
	s_movk_i32 s4, 0x7f
	v_cmp_gt_i16_sdwa s[6:7], v17, s4 src0_sel:BYTE_0 src1_sel:DWORD
	s_mov_b64 s[4:5], 0
                                        ; implicit-def: $sgpr10
	s_and_saveexec_b64 s[8:9], s[6:7]
	s_xor_b64 s[6:7], exec, s[8:9]
	s_cbranch_execnz .LBB55_2401
; %bb.353:
	s_or_saveexec_b64 s[6:7], s[6:7]
	v_mov_b32_e32 v10, s10
	s_xor_b64 exec, exec, s[6:7]
	s_cbranch_execnz .LBB55_2404
.LBB55_354:
	s_or_b64 exec, exec, s[6:7]
	s_and_saveexec_b64 s[6:7], s[4:5]
	s_cbranch_execz .LBB55_356
.LBB55_355:
	v_and_b32_e32 v10, 7, v17
	v_ffbh_u32_e32 v12, v10
	v_min_u32_e32 v12, 32, v12
	v_lshrrev_b16_e32 v11, 3, v17
	v_subrev_u32_e32 v14, 28, v12
	v_and_b32_e32 v11, 15, v11
	v_lshlrev_b32_e32 v14, v14, v17
	v_sub_u32_e32 v12, 29, v12
	v_and_b32_e32 v14, 7, v14
	v_cmp_eq_u16_e32 vcc, 0, v11
	v_cndmask_b32_e32 v10, v10, v14, vcc
	v_cndmask_b32_e32 v11, v11, v12, vcc
	v_lshlrev_b32_e32 v12, 24, v17
	v_mov_b32_e32 v14, 0x3b800000
	v_lshlrev_b32_e32 v10, 20, v10
	v_and_b32_e32 v12, 0x80000000, v12
	v_lshl_add_u32 v11, v11, 23, v14
	v_or3_b32 v10, v12, v11, v10
.LBB55_356:
	s_or_b64 exec, exec, s[6:7]
	s_movk_i32 s4, 0x7f
	v_cmp_gt_i16_sdwa s[6:7], v13, s4 src0_sel:BYTE_0 src1_sel:DWORD
	s_mov_b64 s[4:5], 0
                                        ; implicit-def: $sgpr10
	s_and_saveexec_b64 s[8:9], s[6:7]
	s_xor_b64 s[6:7], exec, s[8:9]
	s_cbranch_execnz .LBB55_2405
; %bb.357:
	s_or_saveexec_b64 s[6:7], s[6:7]
	v_mov_b32_e32 v11, s10
	s_xor_b64 exec, exec, s[6:7]
	s_cbranch_execnz .LBB55_2408
.LBB55_358:
	s_or_b64 exec, exec, s[6:7]
	s_and_saveexec_b64 s[6:7], s[4:5]
	s_cbranch_execz .LBB55_360
.LBB55_359:
	v_and_b32_e32 v11, 7, v13
	v_ffbh_u32_e32 v14, v11
	v_min_u32_e32 v14, 32, v14
	v_lshrrev_b16_e32 v12, 3, v13
	v_subrev_u32_e32 v15, 28, v14
	v_and_b32_e32 v12, 15, v12
	v_lshlrev_b32_e32 v15, v15, v13
	v_sub_u32_e32 v14, 29, v14
	v_and_b32_e32 v15, 7, v15
	v_cmp_eq_u16_e32 vcc, 0, v12
	v_cndmask_b32_e32 v11, v11, v15, vcc
	v_cndmask_b32_e32 v12, v12, v14, vcc
	v_lshlrev_b32_e32 v14, 24, v13
	v_mov_b32_e32 v15, 0x3b800000
	v_lshlrev_b32_e32 v11, 20, v11
	v_and_b32_e32 v14, 0x80000000, v14
	v_lshl_add_u32 v12, v12, 23, v15
	v_or3_b32 v11, v14, v12, v11
.LBB55_360:
	s_or_b64 exec, exec, s[6:7]
	s_nop 0
	v_mfma_f32_16x16x4f32 a[0:3], v10, v11, a[0:3]
	v_lshrrev_b32_e32 v11, 8, v17
	s_movk_i32 s4, 0x7f
	v_cmp_gt_i16_sdwa s[6:7], v11, s4 src0_sel:BYTE_0 src1_sel:DWORD
	s_mov_b64 s[4:5], 0
                                        ; implicit-def: $sgpr10
	s_and_saveexec_b64 s[8:9], s[6:7]
	s_xor_b64 s[6:7], exec, s[8:9]
	s_cbranch_execnz .LBB55_2409
; %bb.361:
	s_or_saveexec_b64 s[6:7], s[6:7]
	v_mov_b32_e32 v10, s10
	s_xor_b64 exec, exec, s[6:7]
	s_cbranch_execnz .LBB55_2412
.LBB55_362:
	s_or_b64 exec, exec, s[6:7]
	s_and_saveexec_b64 s[6:7], s[4:5]
	s_cbranch_execz .LBB55_364
.LBB55_363:
	v_bfe_u32 v10, v17, 8, 3
	v_ffbh_u32_e32 v14, v10
	v_min_u32_e32 v14, 32, v14
	v_lshrrev_b16_e32 v12, 3, v11
	v_subrev_u32_e32 v15, 28, v14
	v_and_b32_e32 v12, 15, v12
	v_lshlrev_b32_e32 v11, v15, v11
	v_sub_u32_e32 v14, 29, v14
	v_and_b32_e32 v11, 7, v11
	v_cmp_eq_u16_e32 vcc, 0, v12
	v_cndmask_b32_e32 v10, v10, v11, vcc
	v_cndmask_b32_e32 v11, v12, v14, vcc
	v_lshlrev_b32_e32 v12, 16, v17
	v_mov_b32_e32 v14, 0x3b800000
	v_lshlrev_b32_e32 v10, 20, v10
	v_and_b32_e32 v12, 0x80000000, v12
	v_lshl_add_u32 v11, v11, 23, v14
	v_or3_b32 v10, v12, v11, v10
.LBB55_364:
	s_or_b64 exec, exec, s[6:7]
	v_lshrrev_b32_e32 v11, 8, v13
	s_movk_i32 s4, 0x7f
	v_cmp_gt_i16_sdwa s[6:7], v11, s4 src0_sel:BYTE_0 src1_sel:DWORD
	s_mov_b64 s[4:5], 0
                                        ; implicit-def: $sgpr10
	s_and_saveexec_b64 s[8:9], s[6:7]
	s_xor_b64 s[6:7], exec, s[8:9]
	s_cbranch_execnz .LBB55_2413
; %bb.365:
	s_or_saveexec_b64 s[6:7], s[6:7]
	v_mov_b32_e32 v12, s10
	s_xor_b64 exec, exec, s[6:7]
	s_cbranch_execnz .LBB55_2416
.LBB55_366:
	s_or_b64 exec, exec, s[6:7]
	s_and_saveexec_b64 s[6:7], s[4:5]
	s_cbranch_execz .LBB55_368
.LBB55_367:
	v_bfe_u32 v12, v13, 8, 3
	v_ffbh_u32_e32 v15, v12
	v_min_u32_e32 v15, 32, v15
	v_lshrrev_b16_e32 v14, 3, v11
	v_subrev_u32_e32 v16, 28, v15
	v_and_b32_e32 v14, 15, v14
	v_lshlrev_b32_e32 v11, v16, v11
	v_sub_u32_e32 v15, 29, v15
	v_and_b32_e32 v11, 7, v11
	v_cmp_eq_u16_e32 vcc, 0, v14
	v_cndmask_b32_e32 v11, v12, v11, vcc
	v_cndmask_b32_e32 v12, v14, v15, vcc
	v_lshlrev_b32_e32 v14, 16, v13
	v_mov_b32_e32 v15, 0x3b800000
	v_lshlrev_b32_e32 v11, 20, v11
	v_and_b32_e32 v14, 0x80000000, v14
	v_lshl_add_u32 v12, v12, 23, v15
	v_or3_b32 v12, v14, v12, v11
.LBB55_368:
	s_or_b64 exec, exec, s[6:7]
	s_nop 0
	v_mfma_f32_16x16x4f32 a[0:3], v10, v12, a[0:3]
	s_movk_i32 s4, 0xff
	v_and_b32_sdwa v11, v17, s4 dst_sel:DWORD dst_unused:UNUSED_PAD src0_sel:WORD_1 src1_sel:DWORD
	s_movk_i32 s4, 0x7f
	v_cmp_lt_i16_e32 vcc, s4, v11
	s_mov_b64 s[4:5], 0
                                        ; implicit-def: $sgpr10
	s_and_saveexec_b64 s[6:7], vcc
	s_xor_b64 s[6:7], exec, s[6:7]
	s_cbranch_execnz .LBB55_2417
; %bb.369:
	s_or_saveexec_b64 s[6:7], s[6:7]
	v_mov_b32_e32 v10, s10
	s_xor_b64 exec, exec, s[6:7]
	s_cbranch_execnz .LBB55_2420
.LBB55_370:
	s_or_b64 exec, exec, s[6:7]
	s_and_saveexec_b64 s[6:7], s[4:5]
	s_cbranch_execz .LBB55_372
.LBB55_371:
	v_bfe_u32 v10, v17, 16, 3
	v_ffbh_u32_e32 v14, v10
	v_min_u32_e32 v14, 32, v14
	v_lshrrev_b32_e32 v11, 19, v17
	v_subrev_u32_e32 v15, 28, v14
	v_and_b32_e32 v11, 15, v11
	v_lshlrev_b32_sdwa v15, v15, v17 dst_sel:DWORD dst_unused:UNUSED_PAD src0_sel:DWORD src1_sel:WORD_1
	v_bfe_u32 v12, v17, 19, 4
	v_sub_u32_e32 v14, 29, v14
	v_and_b32_e32 v15, 7, v15
	v_cmp_eq_u16_e32 vcc, 0, v11
	v_cndmask_b32_e32 v10, v10, v15, vcc
	v_cndmask_b32_e32 v11, v12, v14, vcc
	v_lshlrev_b32_e32 v12, 8, v17
	v_mov_b32_e32 v14, 0x3b800000
	v_lshlrev_b32_e32 v10, 20, v10
	v_and_b32_e32 v12, 0x80000000, v12
	v_lshl_add_u32 v11, v11, 23, v14
	v_or3_b32 v10, v12, v11, v10
.LBB55_372:
	s_or_b64 exec, exec, s[6:7]
	s_movk_i32 s4, 0xff
	v_and_b32_sdwa v11, v13, s4 dst_sel:DWORD dst_unused:UNUSED_PAD src0_sel:WORD_1 src1_sel:DWORD
	s_movk_i32 s4, 0x7f
	v_cmp_lt_i16_e32 vcc, s4, v11
	s_mov_b64 s[4:5], 0
                                        ; implicit-def: $sgpr10
	s_and_saveexec_b64 s[6:7], vcc
	s_xor_b64 s[6:7], exec, s[6:7]
	s_cbranch_execnz .LBB55_2421
; %bb.373:
	s_or_saveexec_b64 s[6:7], s[6:7]
	v_mov_b32_e32 v12, s10
	s_xor_b64 exec, exec, s[6:7]
	s_cbranch_execnz .LBB55_2424
.LBB55_374:
	s_or_b64 exec, exec, s[6:7]
	s_and_saveexec_b64 s[6:7], s[4:5]
	s_cbranch_execz .LBB55_376
.LBB55_375:
	v_bfe_u32 v11, v13, 16, 3
	v_ffbh_u32_e32 v15, v11
	v_min_u32_e32 v15, 32, v15
	v_lshrrev_b32_e32 v12, 19, v13
	v_subrev_u32_e32 v16, 28, v15
	v_and_b32_e32 v12, 15, v12
	v_lshlrev_b32_sdwa v16, v16, v13 dst_sel:DWORD dst_unused:UNUSED_PAD src0_sel:DWORD src1_sel:WORD_1
	v_bfe_u32 v14, v13, 19, 4
	v_sub_u32_e32 v15, 29, v15
	v_and_b32_e32 v16, 7, v16
	v_cmp_eq_u16_e32 vcc, 0, v12
	v_cndmask_b32_e32 v11, v11, v16, vcc
	v_cndmask_b32_e32 v12, v14, v15, vcc
	v_lshlrev_b32_e32 v14, 8, v13
	v_mov_b32_e32 v15, 0x3b800000
	v_lshlrev_b32_e32 v11, 20, v11
	v_and_b32_e32 v14, 0x80000000, v14
	v_lshl_add_u32 v12, v12, 23, v15
	v_or3_b32 v12, v14, v12, v11
.LBB55_376:
	s_or_b64 exec, exec, s[6:7]
	s_nop 0
	v_mfma_f32_16x16x4f32 a[0:3], v10, v12, a[0:3]
	s_movk_i32 s4, 0x7f
	v_cmp_gt_i16_sdwa s[6:7], v17, s4 src0_sel:BYTE_3 src1_sel:DWORD
	s_mov_b64 s[4:5], 0
                                        ; implicit-def: $sgpr10
	s_and_saveexec_b64 s[8:9], s[6:7]
	s_xor_b64 s[6:7], exec, s[8:9]
	s_cbranch_execnz .LBB55_2425
; %bb.377:
	s_or_saveexec_b64 s[6:7], s[6:7]
	v_mov_b32_e32 v10, s10
	s_xor_b64 exec, exec, s[6:7]
	s_cbranch_execnz .LBB55_2428
.LBB55_378:
	s_or_b64 exec, exec, s[6:7]
	s_and_saveexec_b64 s[6:7], s[4:5]
	s_cbranch_execz .LBB55_380
.LBB55_379:
	v_bfe_u32 v10, v17, 24, 3
	v_ffbh_u32_e32 v15, v10
	v_min_u32_e32 v15, 32, v15
	v_lshrrev_b32_e32 v12, 27, v17
	v_subrev_u32_e32 v16, 28, v15
	v_and_b32_e32 v12, 15, v12
	v_lshlrev_b32_sdwa v16, v16, v17 dst_sel:DWORD dst_unused:UNUSED_PAD src0_sel:DWORD src1_sel:BYTE_3
	v_bfe_u32 v14, v17, 27, 4
	v_sub_u32_e32 v15, 29, v15
	v_and_b32_e32 v16, 7, v16
	v_cmp_eq_u16_e32 vcc, 0, v12
	v_cndmask_b32_e32 v10, v10, v16, vcc
	v_cndmask_b32_e32 v12, v14, v15, vcc
	v_mov_b32_e32 v14, 0x3b800000
	v_and_b32_e32 v11, 0x80000000, v17
	v_lshlrev_b32_e32 v10, 20, v10
	v_lshl_add_u32 v12, v12, 23, v14
	v_or3_b32 v10, v11, v12, v10
.LBB55_380:
	s_or_b64 exec, exec, s[6:7]
	s_movk_i32 s4, 0x7f
	v_cmp_gt_i16_sdwa s[6:7], v13, s4 src0_sel:BYTE_3 src1_sel:DWORD
	s_mov_b64 s[4:5], 0
                                        ; implicit-def: $sgpr10
	s_and_saveexec_b64 s[8:9], s[6:7]
	s_xor_b64 s[6:7], exec, s[8:9]
	s_cbranch_execnz .LBB55_2429
; %bb.381:
	s_or_saveexec_b64 s[6:7], s[6:7]
	v_mov_b32_e32 v11, s10
	s_xor_b64 exec, exec, s[6:7]
	s_cbranch_execnz .LBB55_2432
.LBB55_382:
	s_or_b64 exec, exec, s[6:7]
	s_and_saveexec_b64 s[6:7], s[4:5]
	s_cbranch_execz .LBB55_384
.LBB55_383:
	v_bfe_u32 v11, v13, 24, 3
	v_ffbh_u32_e32 v16, v11
	v_min_u32_e32 v16, 32, v16
	v_lshrrev_b32_e32 v14, 27, v13
	v_subrev_u32_e32 v17, 28, v16
	v_and_b32_e32 v12, 0x80000000, v13
	v_and_b32_e32 v14, 15, v14
	v_bfe_u32 v15, v13, 27, 4
	v_lshlrev_b32_sdwa v13, v17, v13 dst_sel:DWORD dst_unused:UNUSED_PAD src0_sel:DWORD src1_sel:BYTE_3
	v_sub_u32_e32 v16, 29, v16
	v_and_b32_e32 v13, 7, v13
	v_cmp_eq_u16_e32 vcc, 0, v14
	v_cndmask_b32_e32 v11, v11, v13, vcc
	v_cndmask_b32_e32 v13, v15, v16, vcc
	v_mov_b32_e32 v14, 0x3b800000
	v_lshlrev_b32_e32 v11, 20, v11
	v_lshl_add_u32 v13, v13, 23, v14
	v_or3_b32 v11, v12, v13, v11
.LBB55_384:
	s_or_b64 exec, exec, s[6:7]
	s_nop 0
	v_mfma_f32_16x16x4f32 a[0:3], v10, v11, a[0:3]
	s_movk_i32 s4, 0x7f
	v_cmp_gt_i16_sdwa s[6:7], v6, s4 src0_sel:BYTE_0 src1_sel:DWORD
	s_mov_b64 s[4:5], 0
                                        ; implicit-def: $sgpr10
	s_and_saveexec_b64 s[8:9], s[6:7]
	s_xor_b64 s[6:7], exec, s[8:9]
	s_cbranch_execnz .LBB55_2433
; %bb.385:
	s_or_saveexec_b64 s[6:7], s[6:7]
	v_mov_b32_e32 v10, s10
	s_xor_b64 exec, exec, s[6:7]
	s_cbranch_execnz .LBB55_2436
.LBB55_386:
	s_or_b64 exec, exec, s[6:7]
	s_and_saveexec_b64 s[6:7], s[4:5]
	s_cbranch_execz .LBB55_388
.LBB55_387:
	v_and_b32_e32 v10, 7, v6
	v_ffbh_u32_e32 v12, v10
	v_min_u32_e32 v12, 32, v12
	v_lshrrev_b16_e32 v11, 3, v6
	v_subrev_u32_e32 v13, 28, v12
	v_and_b32_e32 v11, 15, v11
	v_lshlrev_b32_e32 v13, v13, v6
	v_sub_u32_e32 v12, 29, v12
	v_and_b32_e32 v13, 7, v13
	v_cmp_eq_u16_e32 vcc, 0, v11
	v_cndmask_b32_e32 v10, v10, v13, vcc
	v_cndmask_b32_e32 v11, v11, v12, vcc
	v_lshlrev_b32_e32 v12, 24, v6
	v_mov_b32_e32 v13, 0x3b800000
	v_lshlrev_b32_e32 v10, 20, v10
	v_and_b32_e32 v12, 0x80000000, v12
	v_lshl_add_u32 v11, v11, 23, v13
	v_or3_b32 v10, v12, v11, v10
.LBB55_388:
	s_or_b64 exec, exec, s[6:7]
	s_movk_i32 s4, 0x7f
	v_cmp_gt_i16_sdwa s[6:7], v2, s4 src0_sel:BYTE_0 src1_sel:DWORD
	s_mov_b64 s[4:5], 0
                                        ; implicit-def: $sgpr10
	s_and_saveexec_b64 s[8:9], s[6:7]
	s_xor_b64 s[6:7], exec, s[8:9]
	s_cbranch_execnz .LBB55_2437
; %bb.389:
	s_or_saveexec_b64 s[6:7], s[6:7]
	v_mov_b32_e32 v11, s10
	s_xor_b64 exec, exec, s[6:7]
	s_cbranch_execnz .LBB55_2440
.LBB55_390:
	s_or_b64 exec, exec, s[6:7]
	s_and_saveexec_b64 s[6:7], s[4:5]
	s_cbranch_execz .LBB55_392
.LBB55_391:
	v_and_b32_e32 v11, 7, v2
	v_ffbh_u32_e32 v13, v11
	v_min_u32_e32 v13, 32, v13
	v_lshrrev_b16_e32 v12, 3, v2
	v_subrev_u32_e32 v14, 28, v13
	v_and_b32_e32 v12, 15, v12
	v_lshlrev_b32_e32 v14, v14, v2
	v_sub_u32_e32 v13, 29, v13
	v_and_b32_e32 v14, 7, v14
	v_cmp_eq_u16_e32 vcc, 0, v12
	v_cndmask_b32_e32 v11, v11, v14, vcc
	v_cndmask_b32_e32 v12, v12, v13, vcc
	v_lshlrev_b32_e32 v13, 24, v2
	v_mov_b32_e32 v14, 0x3b800000
	v_lshlrev_b32_e32 v11, 20, v11
	v_and_b32_e32 v13, 0x80000000, v13
	v_lshl_add_u32 v12, v12, 23, v14
	v_or3_b32 v11, v13, v12, v11
.LBB55_392:
	s_or_b64 exec, exec, s[6:7]
	s_nop 0
	v_mfma_f32_16x16x4f32 a[0:3], v10, v11, a[0:3]
	v_lshrrev_b32_e32 v11, 8, v6
	s_movk_i32 s4, 0x7f
	v_cmp_gt_i16_sdwa s[6:7], v11, s4 src0_sel:BYTE_0 src1_sel:DWORD
	s_mov_b64 s[4:5], 0
                                        ; implicit-def: $sgpr10
	s_and_saveexec_b64 s[8:9], s[6:7]
	s_xor_b64 s[6:7], exec, s[8:9]
	s_cbranch_execnz .LBB55_2441
; %bb.393:
	s_or_saveexec_b64 s[6:7], s[6:7]
	v_mov_b32_e32 v10, s10
	s_xor_b64 exec, exec, s[6:7]
	s_cbranch_execnz .LBB55_2444
.LBB55_394:
	s_or_b64 exec, exec, s[6:7]
	s_and_saveexec_b64 s[6:7], s[4:5]
	s_cbranch_execz .LBB55_396
.LBB55_395:
	v_bfe_u32 v10, v6, 8, 3
	v_ffbh_u32_e32 v13, v10
	v_min_u32_e32 v13, 32, v13
	v_lshrrev_b16_e32 v12, 3, v11
	v_subrev_u32_e32 v14, 28, v13
	v_and_b32_e32 v12, 15, v12
	v_lshlrev_b32_e32 v11, v14, v11
	v_sub_u32_e32 v13, 29, v13
	v_and_b32_e32 v11, 7, v11
	v_cmp_eq_u16_e32 vcc, 0, v12
	v_cndmask_b32_e32 v10, v10, v11, vcc
	v_cndmask_b32_e32 v11, v12, v13, vcc
	v_lshlrev_b32_e32 v12, 16, v6
	v_mov_b32_e32 v13, 0x3b800000
	v_lshlrev_b32_e32 v10, 20, v10
	v_and_b32_e32 v12, 0x80000000, v12
	v_lshl_add_u32 v11, v11, 23, v13
	v_or3_b32 v10, v12, v11, v10
.LBB55_396:
	s_or_b64 exec, exec, s[6:7]
	v_lshrrev_b32_e32 v11, 8, v2
	s_movk_i32 s4, 0x7f
	v_cmp_gt_i16_sdwa s[6:7], v11, s4 src0_sel:BYTE_0 src1_sel:DWORD
	s_mov_b64 s[4:5], 0
                                        ; implicit-def: $sgpr10
	s_and_saveexec_b64 s[8:9], s[6:7]
	s_xor_b64 s[6:7], exec, s[8:9]
	s_cbranch_execnz .LBB55_2445
; %bb.397:
	s_or_saveexec_b64 s[6:7], s[6:7]
	v_mov_b32_e32 v12, s10
	s_xor_b64 exec, exec, s[6:7]
	s_cbranch_execnz .LBB55_2448
.LBB55_398:
	s_or_b64 exec, exec, s[6:7]
	s_and_saveexec_b64 s[6:7], s[4:5]
	s_cbranch_execz .LBB55_400
.LBB55_399:
	v_bfe_u32 v12, v2, 8, 3
	v_ffbh_u32_e32 v14, v12
	v_min_u32_e32 v14, 32, v14
	v_lshrrev_b16_e32 v13, 3, v11
	v_subrev_u32_e32 v15, 28, v14
	v_and_b32_e32 v13, 15, v13
	v_lshlrev_b32_e32 v11, v15, v11
	v_sub_u32_e32 v14, 29, v14
	v_and_b32_e32 v11, 7, v11
	v_cmp_eq_u16_e32 vcc, 0, v13
	v_cndmask_b32_e32 v11, v12, v11, vcc
	v_cndmask_b32_e32 v12, v13, v14, vcc
	v_lshlrev_b32_e32 v13, 16, v2
	v_mov_b32_e32 v14, 0x3b800000
	v_lshlrev_b32_e32 v11, 20, v11
	v_and_b32_e32 v13, 0x80000000, v13
	v_lshl_add_u32 v12, v12, 23, v14
	v_or3_b32 v12, v13, v12, v11
.LBB55_400:
	s_or_b64 exec, exec, s[6:7]
	s_nop 0
	v_mfma_f32_16x16x4f32 a[0:3], v10, v12, a[0:3]
	s_movk_i32 s4, 0xff
	v_and_b32_sdwa v11, v6, s4 dst_sel:DWORD dst_unused:UNUSED_PAD src0_sel:WORD_1 src1_sel:DWORD
	s_movk_i32 s4, 0x7f
	v_cmp_lt_i16_e32 vcc, s4, v11
	s_mov_b64 s[4:5], 0
                                        ; implicit-def: $sgpr10
	s_and_saveexec_b64 s[6:7], vcc
	s_xor_b64 s[6:7], exec, s[6:7]
	s_cbranch_execnz .LBB55_2449
; %bb.401:
	s_or_saveexec_b64 s[6:7], s[6:7]
	v_mov_b32_e32 v10, s10
	s_xor_b64 exec, exec, s[6:7]
	s_cbranch_execnz .LBB55_2452
.LBB55_402:
	s_or_b64 exec, exec, s[6:7]
	s_and_saveexec_b64 s[6:7], s[4:5]
	s_cbranch_execz .LBB55_404
.LBB55_403:
	v_bfe_u32 v10, v6, 16, 3
	v_ffbh_u32_e32 v13, v10
	v_min_u32_e32 v13, 32, v13
	v_lshrrev_b32_e32 v11, 19, v6
	v_subrev_u32_e32 v14, 28, v13
	v_and_b32_e32 v11, 15, v11
	v_lshlrev_b32_sdwa v14, v14, v6 dst_sel:DWORD dst_unused:UNUSED_PAD src0_sel:DWORD src1_sel:WORD_1
	v_bfe_u32 v12, v6, 19, 4
	v_sub_u32_e32 v13, 29, v13
	v_and_b32_e32 v14, 7, v14
	v_cmp_eq_u16_e32 vcc, 0, v11
	v_cndmask_b32_e32 v10, v10, v14, vcc
	v_cndmask_b32_e32 v11, v12, v13, vcc
	v_lshlrev_b32_e32 v12, 8, v6
	v_mov_b32_e32 v13, 0x3b800000
	v_lshlrev_b32_e32 v10, 20, v10
	v_and_b32_e32 v12, 0x80000000, v12
	v_lshl_add_u32 v11, v11, 23, v13
	v_or3_b32 v10, v12, v11, v10
.LBB55_404:
	s_or_b64 exec, exec, s[6:7]
	s_movk_i32 s4, 0xff
	v_and_b32_sdwa v11, v2, s4 dst_sel:DWORD dst_unused:UNUSED_PAD src0_sel:WORD_1 src1_sel:DWORD
	s_movk_i32 s4, 0x7f
	v_cmp_lt_i16_e32 vcc, s4, v11
	s_mov_b64 s[4:5], 0
                                        ; implicit-def: $sgpr10
	s_and_saveexec_b64 s[6:7], vcc
	s_xor_b64 s[6:7], exec, s[6:7]
	s_cbranch_execnz .LBB55_2453
; %bb.405:
	s_or_saveexec_b64 s[6:7], s[6:7]
	v_mov_b32_e32 v12, s10
	s_xor_b64 exec, exec, s[6:7]
	s_cbranch_execnz .LBB55_2456
.LBB55_406:
	s_or_b64 exec, exec, s[6:7]
	s_and_saveexec_b64 s[6:7], s[4:5]
	s_cbranch_execz .LBB55_408
.LBB55_407:
	v_bfe_u32 v11, v2, 16, 3
	v_ffbh_u32_e32 v14, v11
	v_min_u32_e32 v14, 32, v14
	v_lshrrev_b32_e32 v12, 19, v2
	v_subrev_u32_e32 v15, 28, v14
	v_and_b32_e32 v12, 15, v12
	v_lshlrev_b32_sdwa v15, v15, v2 dst_sel:DWORD dst_unused:UNUSED_PAD src0_sel:DWORD src1_sel:WORD_1
	v_bfe_u32 v13, v2, 19, 4
	v_sub_u32_e32 v14, 29, v14
	v_and_b32_e32 v15, 7, v15
	v_cmp_eq_u16_e32 vcc, 0, v12
	v_cndmask_b32_e32 v11, v11, v15, vcc
	v_cndmask_b32_e32 v12, v13, v14, vcc
	v_lshlrev_b32_e32 v13, 8, v2
	v_mov_b32_e32 v14, 0x3b800000
	v_lshlrev_b32_e32 v11, 20, v11
	v_and_b32_e32 v13, 0x80000000, v13
	v_lshl_add_u32 v12, v12, 23, v14
	v_or3_b32 v12, v13, v12, v11
.LBB55_408:
	s_or_b64 exec, exec, s[6:7]
	s_nop 0
	v_mfma_f32_16x16x4f32 a[0:3], v10, v12, a[0:3]
	s_movk_i32 s4, 0x7f
	v_cmp_gt_i16_sdwa s[6:7], v6, s4 src0_sel:BYTE_3 src1_sel:DWORD
	s_mov_b64 s[4:5], 0
                                        ; implicit-def: $sgpr10
	s_and_saveexec_b64 s[8:9], s[6:7]
	s_xor_b64 s[6:7], exec, s[8:9]
	s_cbranch_execnz .LBB55_2457
; %bb.409:
	s_or_saveexec_b64 s[6:7], s[6:7]
	v_mov_b32_e32 v10, s10
	s_xor_b64 exec, exec, s[6:7]
	s_cbranch_execnz .LBB55_2460
.LBB55_410:
	s_or_b64 exec, exec, s[6:7]
	s_and_saveexec_b64 s[6:7], s[4:5]
	s_cbranch_execz .LBB55_412
.LBB55_411:
	v_bfe_u32 v10, v6, 24, 3
	v_ffbh_u32_e32 v14, v10
	v_min_u32_e32 v14, 32, v14
	v_lshrrev_b32_e32 v12, 27, v6
	v_subrev_u32_e32 v15, 28, v14
	v_and_b32_e32 v11, 0x80000000, v6
	v_and_b32_e32 v12, 15, v12
	v_bfe_u32 v13, v6, 27, 4
	v_lshlrev_b32_sdwa v6, v15, v6 dst_sel:DWORD dst_unused:UNUSED_PAD src0_sel:DWORD src1_sel:BYTE_3
	v_sub_u32_e32 v14, 29, v14
	v_and_b32_e32 v6, 7, v6
	v_cmp_eq_u16_e32 vcc, 0, v12
	v_cndmask_b32_e32 v6, v10, v6, vcc
	v_cndmask_b32_e32 v10, v13, v14, vcc
	v_mov_b32_e32 v12, 0x3b800000
	v_lshlrev_b32_e32 v6, 20, v6
	v_lshl_add_u32 v10, v10, 23, v12
	v_or3_b32 v10, v11, v10, v6
.LBB55_412:
	s_or_b64 exec, exec, s[6:7]
	s_movk_i32 s4, 0x7f
	v_cmp_gt_i16_sdwa s[6:7], v2, s4 src0_sel:BYTE_3 src1_sel:DWORD
	s_mov_b64 s[4:5], 0
                                        ; implicit-def: $sgpr10
	s_and_saveexec_b64 s[8:9], s[6:7]
	s_xor_b64 s[6:7], exec, s[8:9]
	s_cbranch_execnz .LBB55_2461
; %bb.413:
	s_or_saveexec_b64 s[6:7], s[6:7]
	v_mov_b32_e32 v6, s10
	s_xor_b64 exec, exec, s[6:7]
	s_cbranch_execnz .LBB55_2464
.LBB55_414:
	s_or_b64 exec, exec, s[6:7]
	s_and_saveexec_b64 s[6:7], s[4:5]
	s_cbranch_execz .LBB55_416
.LBB55_415:
	v_bfe_u32 v6, v2, 24, 3
	v_ffbh_u32_e32 v14, v6
	v_min_u32_e32 v14, 32, v14
	v_lshrrev_b32_e32 v12, 27, v2
	v_subrev_u32_e32 v15, 28, v14
	v_and_b32_e32 v11, 0x80000000, v2
	v_and_b32_e32 v12, 15, v12
	v_bfe_u32 v13, v2, 27, 4
	v_lshlrev_b32_sdwa v2, v15, v2 dst_sel:DWORD dst_unused:UNUSED_PAD src0_sel:DWORD src1_sel:BYTE_3
	v_sub_u32_e32 v14, 29, v14
	v_and_b32_e32 v2, 7, v2
	v_cmp_eq_u16_e32 vcc, 0, v12
	v_cndmask_b32_e32 v2, v6, v2, vcc
	v_cndmask_b32_e32 v6, v13, v14, vcc
	v_mov_b32_e32 v12, 0x3b800000
	v_lshlrev_b32_e32 v2, 20, v2
	v_lshl_add_u32 v6, v6, 23, v12
	v_or3_b32 v6, v11, v6, v2
.LBB55_416:
	s_or_b64 exec, exec, s[6:7]
	s_nop 0
	v_mfma_f32_16x16x4f32 a[0:3], v10, v6, a[0:3]
	s_movk_i32 s4, 0x7f
	v_cmp_gt_i16_sdwa s[6:7], v7, s4 src0_sel:BYTE_0 src1_sel:DWORD
	s_mov_b64 s[4:5], 0
                                        ; implicit-def: $sgpr10
	s_and_saveexec_b64 s[8:9], s[6:7]
	s_xor_b64 s[6:7], exec, s[8:9]
	s_cbranch_execnz .LBB55_2465
; %bb.417:
	s_or_saveexec_b64 s[6:7], s[6:7]
	v_mov_b32_e32 v2, s10
	s_xor_b64 exec, exec, s[6:7]
	s_cbranch_execnz .LBB55_2468
.LBB55_418:
	s_or_b64 exec, exec, s[6:7]
	s_and_saveexec_b64 s[6:7], s[4:5]
	s_cbranch_execz .LBB55_420
.LBB55_419:
	v_and_b32_e32 v2, 7, v7
	v_ffbh_u32_e32 v10, v2
	v_min_u32_e32 v10, 32, v10
	v_lshrrev_b16_e32 v6, 3, v7
	v_subrev_u32_e32 v11, 28, v10
	v_and_b32_e32 v6, 15, v6
	v_lshlrev_b32_e32 v11, v11, v7
	v_sub_u32_e32 v10, 29, v10
	v_and_b32_e32 v11, 7, v11
	v_cmp_eq_u16_e32 vcc, 0, v6
	v_cndmask_b32_e32 v2, v2, v11, vcc
	v_cndmask_b32_e32 v6, v6, v10, vcc
	v_lshlrev_b32_e32 v10, 24, v7
	v_mov_b32_e32 v11, 0x3b800000
	v_lshlrev_b32_e32 v2, 20, v2
	v_and_b32_e32 v10, 0x80000000, v10
	v_lshl_add_u32 v6, v6, 23, v11
	v_or3_b32 v2, v10, v6, v2
.LBB55_420:
	s_or_b64 exec, exec, s[6:7]
	s_movk_i32 s4, 0x7f
	v_cmp_gt_i16_sdwa s[6:7], v3, s4 src0_sel:BYTE_0 src1_sel:DWORD
	s_mov_b64 s[4:5], 0
                                        ; implicit-def: $sgpr10
	s_and_saveexec_b64 s[8:9], s[6:7]
	s_xor_b64 s[6:7], exec, s[8:9]
	s_cbranch_execnz .LBB55_2469
; %bb.421:
	s_or_saveexec_b64 s[6:7], s[6:7]
	v_mov_b32_e32 v6, s10
	s_xor_b64 exec, exec, s[6:7]
	s_cbranch_execnz .LBB55_2472
.LBB55_422:
	s_or_b64 exec, exec, s[6:7]
	s_and_saveexec_b64 s[6:7], s[4:5]
	s_cbranch_execz .LBB55_424
.LBB55_423:
	v_and_b32_e32 v6, 7, v3
	v_ffbh_u32_e32 v11, v6
	v_min_u32_e32 v11, 32, v11
	v_lshrrev_b16_e32 v10, 3, v3
	v_subrev_u32_e32 v12, 28, v11
	v_and_b32_e32 v10, 15, v10
	v_lshlrev_b32_e32 v12, v12, v3
	v_sub_u32_e32 v11, 29, v11
	v_and_b32_e32 v12, 7, v12
	v_cmp_eq_u16_e32 vcc, 0, v10
	v_cndmask_b32_e32 v6, v6, v12, vcc
	v_cndmask_b32_e32 v10, v10, v11, vcc
	v_lshlrev_b32_e32 v11, 24, v3
	v_mov_b32_e32 v12, 0x3b800000
	v_lshlrev_b32_e32 v6, 20, v6
	v_and_b32_e32 v11, 0x80000000, v11
	v_lshl_add_u32 v10, v10, 23, v12
	v_or3_b32 v6, v11, v10, v6
.LBB55_424:
	s_or_b64 exec, exec, s[6:7]
	s_nop 0
	v_mfma_f32_16x16x4f32 a[0:3], v2, v6, a[0:3]
	v_lshrrev_b32_e32 v6, 8, v7
	s_movk_i32 s4, 0x7f
	v_cmp_gt_i16_sdwa s[6:7], v6, s4 src0_sel:BYTE_0 src1_sel:DWORD
	s_mov_b64 s[4:5], 0
                                        ; implicit-def: $sgpr10
	s_and_saveexec_b64 s[8:9], s[6:7]
	s_xor_b64 s[6:7], exec, s[8:9]
	s_cbranch_execnz .LBB55_2473
; %bb.425:
	s_or_saveexec_b64 s[6:7], s[6:7]
	v_mov_b32_e32 v2, s10
	s_xor_b64 exec, exec, s[6:7]
	s_cbranch_execnz .LBB55_2476
.LBB55_426:
	s_or_b64 exec, exec, s[6:7]
	s_and_saveexec_b64 s[6:7], s[4:5]
	s_cbranch_execz .LBB55_428
.LBB55_427:
	v_bfe_u32 v2, v7, 8, 3
	v_ffbh_u32_e32 v11, v2
	v_min_u32_e32 v11, 32, v11
	v_lshrrev_b16_e32 v10, 3, v6
	v_subrev_u32_e32 v12, 28, v11
	v_and_b32_e32 v10, 15, v10
	v_lshlrev_b32_e32 v6, v12, v6
	v_sub_u32_e32 v11, 29, v11
	v_and_b32_e32 v6, 7, v6
	v_cmp_eq_u16_e32 vcc, 0, v10
	v_cndmask_b32_e32 v2, v2, v6, vcc
	v_cndmask_b32_e32 v6, v10, v11, vcc
	v_lshlrev_b32_e32 v10, 16, v7
	v_mov_b32_e32 v11, 0x3b800000
	v_lshlrev_b32_e32 v2, 20, v2
	v_and_b32_e32 v10, 0x80000000, v10
	v_lshl_add_u32 v6, v6, 23, v11
	v_or3_b32 v2, v10, v6, v2
.LBB55_428:
	s_or_b64 exec, exec, s[6:7]
	v_lshrrev_b32_e32 v6, 8, v3
	s_movk_i32 s4, 0x7f
	v_cmp_gt_i16_sdwa s[6:7], v6, s4 src0_sel:BYTE_0 src1_sel:DWORD
	s_mov_b64 s[4:5], 0
                                        ; implicit-def: $sgpr10
	s_and_saveexec_b64 s[8:9], s[6:7]
	s_xor_b64 s[6:7], exec, s[8:9]
	s_cbranch_execnz .LBB55_2477
; %bb.429:
	s_or_saveexec_b64 s[6:7], s[6:7]
	v_mov_b32_e32 v10, s10
	s_xor_b64 exec, exec, s[6:7]
	s_cbranch_execnz .LBB55_2480
.LBB55_430:
	s_or_b64 exec, exec, s[6:7]
	s_and_saveexec_b64 s[6:7], s[4:5]
	s_cbranch_execz .LBB55_432
.LBB55_431:
	v_bfe_u32 v10, v3, 8, 3
	v_ffbh_u32_e32 v12, v10
	v_min_u32_e32 v12, 32, v12
	v_lshrrev_b16_e32 v11, 3, v6
	v_subrev_u32_e32 v13, 28, v12
	v_and_b32_e32 v11, 15, v11
	v_lshlrev_b32_e32 v6, v13, v6
	v_sub_u32_e32 v12, 29, v12
	v_and_b32_e32 v6, 7, v6
	v_cmp_eq_u16_e32 vcc, 0, v11
	v_cndmask_b32_e32 v6, v10, v6, vcc
	v_cndmask_b32_e32 v10, v11, v12, vcc
	v_lshlrev_b32_e32 v11, 16, v3
	v_mov_b32_e32 v12, 0x3b800000
	v_lshlrev_b32_e32 v6, 20, v6
	v_and_b32_e32 v11, 0x80000000, v11
	v_lshl_add_u32 v10, v10, 23, v12
	v_or3_b32 v10, v11, v10, v6
.LBB55_432:
	s_or_b64 exec, exec, s[6:7]
	s_nop 0
	v_mfma_f32_16x16x4f32 a[0:3], v2, v10, a[0:3]
	s_movk_i32 s4, 0xff
	v_and_b32_sdwa v6, v7, s4 dst_sel:DWORD dst_unused:UNUSED_PAD src0_sel:WORD_1 src1_sel:DWORD
	s_movk_i32 s4, 0x7f
	v_cmp_lt_i16_e32 vcc, s4, v6
	s_mov_b64 s[4:5], 0
                                        ; implicit-def: $sgpr10
	s_and_saveexec_b64 s[6:7], vcc
	s_xor_b64 s[6:7], exec, s[6:7]
	s_cbranch_execnz .LBB55_2481
; %bb.433:
	s_or_saveexec_b64 s[6:7], s[6:7]
	v_mov_b32_e32 v2, s10
	s_xor_b64 exec, exec, s[6:7]
	s_cbranch_execnz .LBB55_2484
.LBB55_434:
	s_or_b64 exec, exec, s[6:7]
	s_and_saveexec_b64 s[6:7], s[4:5]
	s_cbranch_execz .LBB55_436
.LBB55_435:
	v_bfe_u32 v2, v7, 16, 3
	v_ffbh_u32_e32 v11, v2
	v_min_u32_e32 v11, 32, v11
	v_lshrrev_b32_e32 v6, 19, v7
	v_subrev_u32_e32 v12, 28, v11
	v_and_b32_e32 v6, 15, v6
	v_lshlrev_b32_sdwa v12, v12, v7 dst_sel:DWORD dst_unused:UNUSED_PAD src0_sel:DWORD src1_sel:WORD_1
	v_bfe_u32 v10, v7, 19, 4
	v_sub_u32_e32 v11, 29, v11
	v_and_b32_e32 v12, 7, v12
	v_cmp_eq_u16_e32 vcc, 0, v6
	v_cndmask_b32_e32 v2, v2, v12, vcc
	v_cndmask_b32_e32 v6, v10, v11, vcc
	v_lshlrev_b32_e32 v10, 8, v7
	v_mov_b32_e32 v11, 0x3b800000
	v_lshlrev_b32_e32 v2, 20, v2
	v_and_b32_e32 v10, 0x80000000, v10
	v_lshl_add_u32 v6, v6, 23, v11
	v_or3_b32 v2, v10, v6, v2
.LBB55_436:
	s_or_b64 exec, exec, s[6:7]
	s_movk_i32 s4, 0xff
	v_and_b32_sdwa v6, v3, s4 dst_sel:DWORD dst_unused:UNUSED_PAD src0_sel:WORD_1 src1_sel:DWORD
	s_movk_i32 s4, 0x7f
	v_cmp_lt_i16_e32 vcc, s4, v6
	s_mov_b64 s[4:5], 0
                                        ; implicit-def: $sgpr10
	s_and_saveexec_b64 s[6:7], vcc
	s_xor_b64 s[6:7], exec, s[6:7]
	s_cbranch_execnz .LBB55_2485
; %bb.437:
	s_or_saveexec_b64 s[6:7], s[6:7]
	v_mov_b32_e32 v10, s10
	s_xor_b64 exec, exec, s[6:7]
	s_cbranch_execnz .LBB55_2488
.LBB55_438:
	s_or_b64 exec, exec, s[6:7]
	s_and_saveexec_b64 s[6:7], s[4:5]
	s_cbranch_execz .LBB55_440
.LBB55_439:
	v_bfe_u32 v6, v3, 16, 3
	v_ffbh_u32_e32 v12, v6
	v_min_u32_e32 v12, 32, v12
	v_lshrrev_b32_e32 v10, 19, v3
	v_subrev_u32_e32 v13, 28, v12
	v_and_b32_e32 v10, 15, v10
	v_lshlrev_b32_sdwa v13, v13, v3 dst_sel:DWORD dst_unused:UNUSED_PAD src0_sel:DWORD src1_sel:WORD_1
	v_bfe_u32 v11, v3, 19, 4
	v_sub_u32_e32 v12, 29, v12
	v_and_b32_e32 v13, 7, v13
	v_cmp_eq_u16_e32 vcc, 0, v10
	v_cndmask_b32_e32 v6, v6, v13, vcc
	v_cndmask_b32_e32 v10, v11, v12, vcc
	v_lshlrev_b32_e32 v11, 8, v3
	v_mov_b32_e32 v12, 0x3b800000
	v_lshlrev_b32_e32 v6, 20, v6
	v_and_b32_e32 v11, 0x80000000, v11
	v_lshl_add_u32 v10, v10, 23, v12
	v_or3_b32 v10, v11, v10, v6
.LBB55_440:
	s_or_b64 exec, exec, s[6:7]
	s_nop 0
	v_mfma_f32_16x16x4f32 a[0:3], v2, v10, a[0:3]
	s_movk_i32 s4, 0x7f
	v_cmp_gt_i16_sdwa s[6:7], v7, s4 src0_sel:BYTE_3 src1_sel:DWORD
	s_mov_b64 s[4:5], 0
                                        ; implicit-def: $sgpr10
	s_and_saveexec_b64 s[8:9], s[6:7]
	s_xor_b64 s[6:7], exec, s[8:9]
	s_cbranch_execnz .LBB55_2489
; %bb.441:
	s_or_saveexec_b64 s[6:7], s[6:7]
	v_mov_b32_e32 v2, s10
	s_xor_b64 exec, exec, s[6:7]
	s_cbranch_execnz .LBB55_2492
.LBB55_442:
	s_or_b64 exec, exec, s[6:7]
	s_and_saveexec_b64 s[6:7], s[4:5]
	s_cbranch_execz .LBB55_444
.LBB55_443:
	v_bfe_u32 v2, v7, 24, 3
	v_ffbh_u32_e32 v12, v2
	v_min_u32_e32 v12, 32, v12
	v_lshrrev_b32_e32 v10, 27, v7
	v_subrev_u32_e32 v13, 28, v12
	v_and_b32_e32 v6, 0x80000000, v7
	v_and_b32_e32 v10, 15, v10
	v_bfe_u32 v11, v7, 27, 4
	v_lshlrev_b32_sdwa v7, v13, v7 dst_sel:DWORD dst_unused:UNUSED_PAD src0_sel:DWORD src1_sel:BYTE_3
	v_sub_u32_e32 v12, 29, v12
	v_and_b32_e32 v7, 7, v7
	v_cmp_eq_u16_e32 vcc, 0, v10
	v_cndmask_b32_e32 v2, v2, v7, vcc
	v_cndmask_b32_e32 v7, v11, v12, vcc
	v_mov_b32_e32 v10, 0x3b800000
	v_lshlrev_b32_e32 v2, 20, v2
	v_lshl_add_u32 v7, v7, 23, v10
	v_or3_b32 v2, v6, v7, v2
.LBB55_444:
	s_or_b64 exec, exec, s[6:7]
	s_movk_i32 s4, 0x7f
	v_cmp_gt_i16_sdwa s[6:7], v3, s4 src0_sel:BYTE_3 src1_sel:DWORD
	s_mov_b64 s[4:5], 0
                                        ; implicit-def: $sgpr10
	s_and_saveexec_b64 s[8:9], s[6:7]
	s_xor_b64 s[6:7], exec, s[8:9]
	s_cbranch_execnz .LBB55_2493
; %bb.445:
	s_or_saveexec_b64 s[6:7], s[6:7]
	v_mov_b32_e32 v6, s10
	s_xor_b64 exec, exec, s[6:7]
	s_cbranch_execnz .LBB55_2496
.LBB55_446:
	s_or_b64 exec, exec, s[6:7]
	s_and_saveexec_b64 s[6:7], s[4:5]
	s_cbranch_execz .LBB55_448
.LBB55_447:
	v_bfe_u32 v6, v3, 24, 3
	v_ffbh_u32_e32 v12, v6
	v_min_u32_e32 v12, 32, v12
	v_lshrrev_b32_e32 v10, 27, v3
	v_subrev_u32_e32 v13, 28, v12
	v_and_b32_e32 v7, 0x80000000, v3
	v_and_b32_e32 v10, 15, v10
	v_bfe_u32 v11, v3, 27, 4
	v_lshlrev_b32_sdwa v3, v13, v3 dst_sel:DWORD dst_unused:UNUSED_PAD src0_sel:DWORD src1_sel:BYTE_3
	v_sub_u32_e32 v12, 29, v12
	v_and_b32_e32 v3, 7, v3
	v_cmp_eq_u16_e32 vcc, 0, v10
	v_cndmask_b32_e32 v3, v6, v3, vcc
	v_cndmask_b32_e32 v6, v11, v12, vcc
	v_mov_b32_e32 v10, 0x3b800000
	v_lshlrev_b32_e32 v3, 20, v3
	v_lshl_add_u32 v6, v6, 23, v10
	v_or3_b32 v6, v7, v6, v3
.LBB55_448:
	s_or_b64 exec, exec, s[6:7]
	s_nop 0
	v_mfma_f32_16x16x4f32 a[0:3], v2, v6, a[0:3]
	s_movk_i32 s4, 0x7f
	v_cmp_gt_i16_sdwa s[6:7], v8, s4 src0_sel:BYTE_0 src1_sel:DWORD
	s_mov_b64 s[4:5], 0
                                        ; implicit-def: $sgpr10
	s_and_saveexec_b64 s[8:9], s[6:7]
	s_xor_b64 s[6:7], exec, s[8:9]
	s_cbranch_execnz .LBB55_2497
; %bb.449:
	s_or_saveexec_b64 s[6:7], s[6:7]
	v_mov_b32_e32 v2, s10
	s_xor_b64 exec, exec, s[6:7]
	s_cbranch_execnz .LBB55_2500
.LBB55_450:
	s_or_b64 exec, exec, s[6:7]
	s_and_saveexec_b64 s[6:7], s[4:5]
	s_cbranch_execz .LBB55_452
.LBB55_451:
	v_and_b32_e32 v2, 7, v8
	v_ffbh_u32_e32 v6, v2
	v_min_u32_e32 v6, 32, v6
	v_lshrrev_b16_e32 v3, 3, v8
	v_subrev_u32_e32 v7, 28, v6
	v_and_b32_e32 v3, 15, v3
	v_lshlrev_b32_e32 v7, v7, v8
	v_sub_u32_e32 v6, 29, v6
	v_and_b32_e32 v7, 7, v7
	v_cmp_eq_u16_e32 vcc, 0, v3
	v_cndmask_b32_e32 v2, v2, v7, vcc
	v_cndmask_b32_e32 v3, v3, v6, vcc
	v_lshlrev_b32_e32 v6, 24, v8
	v_mov_b32_e32 v7, 0x3b800000
	v_lshlrev_b32_e32 v2, 20, v2
	v_and_b32_e32 v6, 0x80000000, v6
	v_lshl_add_u32 v3, v3, 23, v7
	v_or3_b32 v2, v6, v3, v2
.LBB55_452:
	s_or_b64 exec, exec, s[6:7]
	s_movk_i32 s4, 0x7f
	v_cmp_gt_i16_sdwa s[6:7], v4, s4 src0_sel:BYTE_0 src1_sel:DWORD
	s_mov_b64 s[4:5], 0
                                        ; implicit-def: $sgpr10
	s_and_saveexec_b64 s[8:9], s[6:7]
	s_xor_b64 s[6:7], exec, s[8:9]
	s_cbranch_execnz .LBB55_2501
; %bb.453:
	s_or_saveexec_b64 s[6:7], s[6:7]
	v_mov_b32_e32 v3, s10
	s_xor_b64 exec, exec, s[6:7]
	s_cbranch_execnz .LBB55_2504
.LBB55_454:
	s_or_b64 exec, exec, s[6:7]
	s_and_saveexec_b64 s[6:7], s[4:5]
	s_cbranch_execz .LBB55_456
.LBB55_455:
	v_and_b32_e32 v3, 7, v4
	v_ffbh_u32_e32 v7, v3
	v_min_u32_e32 v7, 32, v7
	v_lshrrev_b16_e32 v6, 3, v4
	v_subrev_u32_e32 v10, 28, v7
	v_and_b32_e32 v6, 15, v6
	v_lshlrev_b32_e32 v10, v10, v4
	v_sub_u32_e32 v7, 29, v7
	v_and_b32_e32 v10, 7, v10
	v_cmp_eq_u16_e32 vcc, 0, v6
	v_cndmask_b32_e32 v3, v3, v10, vcc
	v_cndmask_b32_e32 v6, v6, v7, vcc
	v_lshlrev_b32_e32 v7, 24, v4
	v_mov_b32_e32 v10, 0x3b800000
	v_lshlrev_b32_e32 v3, 20, v3
	v_and_b32_e32 v7, 0x80000000, v7
	v_lshl_add_u32 v6, v6, 23, v10
	v_or3_b32 v3, v7, v6, v3
.LBB55_456:
	s_or_b64 exec, exec, s[6:7]
	s_nop 0
	v_mfma_f32_16x16x4f32 a[0:3], v2, v3, a[0:3]
	v_lshrrev_b32_e32 v3, 8, v8
	s_movk_i32 s4, 0x7f
	v_cmp_gt_i16_sdwa s[6:7], v3, s4 src0_sel:BYTE_0 src1_sel:DWORD
	s_mov_b64 s[4:5], 0
                                        ; implicit-def: $sgpr10
	s_and_saveexec_b64 s[8:9], s[6:7]
	s_xor_b64 s[6:7], exec, s[8:9]
	s_cbranch_execnz .LBB55_2505
; %bb.457:
	s_or_saveexec_b64 s[6:7], s[6:7]
	v_mov_b32_e32 v2, s10
	s_xor_b64 exec, exec, s[6:7]
	s_cbranch_execnz .LBB55_2508
.LBB55_458:
	s_or_b64 exec, exec, s[6:7]
	s_and_saveexec_b64 s[6:7], s[4:5]
	s_cbranch_execz .LBB55_460
.LBB55_459:
	v_bfe_u32 v2, v8, 8, 3
	v_ffbh_u32_e32 v7, v2
	v_min_u32_e32 v7, 32, v7
	v_lshrrev_b16_e32 v6, 3, v3
	v_subrev_u32_e32 v10, 28, v7
	v_and_b32_e32 v6, 15, v6
	v_lshlrev_b32_e32 v3, v10, v3
	v_sub_u32_e32 v7, 29, v7
	v_and_b32_e32 v3, 7, v3
	v_cmp_eq_u16_e32 vcc, 0, v6
	v_cndmask_b32_e32 v2, v2, v3, vcc
	v_cndmask_b32_e32 v3, v6, v7, vcc
	v_lshlrev_b32_e32 v6, 16, v8
	v_mov_b32_e32 v7, 0x3b800000
	v_lshlrev_b32_e32 v2, 20, v2
	v_and_b32_e32 v6, 0x80000000, v6
	v_lshl_add_u32 v3, v3, 23, v7
	v_or3_b32 v2, v6, v3, v2
.LBB55_460:
	s_or_b64 exec, exec, s[6:7]
	v_lshrrev_b32_e32 v3, 8, v4
	s_movk_i32 s4, 0x7f
	v_cmp_gt_i16_sdwa s[6:7], v3, s4 src0_sel:BYTE_0 src1_sel:DWORD
	s_mov_b64 s[4:5], 0
                                        ; implicit-def: $sgpr10
	s_and_saveexec_b64 s[8:9], s[6:7]
	s_xor_b64 s[6:7], exec, s[8:9]
	s_cbranch_execnz .LBB55_2509
; %bb.461:
	s_or_saveexec_b64 s[6:7], s[6:7]
	v_mov_b32_e32 v6, s10
	s_xor_b64 exec, exec, s[6:7]
	s_cbranch_execnz .LBB55_2512
.LBB55_462:
	s_or_b64 exec, exec, s[6:7]
	s_and_saveexec_b64 s[6:7], s[4:5]
	s_cbranch_execz .LBB55_464
.LBB55_463:
	v_bfe_u32 v6, v4, 8, 3
	v_ffbh_u32_e32 v10, v6
	v_min_u32_e32 v10, 32, v10
	v_lshrrev_b16_e32 v7, 3, v3
	v_subrev_u32_e32 v11, 28, v10
	v_and_b32_e32 v7, 15, v7
	v_lshlrev_b32_e32 v3, v11, v3
	v_sub_u32_e32 v10, 29, v10
	v_and_b32_e32 v3, 7, v3
	v_cmp_eq_u16_e32 vcc, 0, v7
	v_cndmask_b32_e32 v3, v6, v3, vcc
	v_cndmask_b32_e32 v6, v7, v10, vcc
	v_lshlrev_b32_e32 v7, 16, v4
	v_mov_b32_e32 v10, 0x3b800000
	v_lshlrev_b32_e32 v3, 20, v3
	v_and_b32_e32 v7, 0x80000000, v7
	v_lshl_add_u32 v6, v6, 23, v10
	v_or3_b32 v6, v7, v6, v3
.LBB55_464:
	s_or_b64 exec, exec, s[6:7]
	s_nop 0
	v_mfma_f32_16x16x4f32 a[0:3], v2, v6, a[0:3]
	s_movk_i32 s4, 0xff
	v_and_b32_sdwa v3, v8, s4 dst_sel:DWORD dst_unused:UNUSED_PAD src0_sel:WORD_1 src1_sel:DWORD
	s_movk_i32 s4, 0x7f
	v_cmp_lt_i16_e32 vcc, s4, v3
	s_mov_b64 s[4:5], 0
                                        ; implicit-def: $sgpr10
	s_and_saveexec_b64 s[6:7], vcc
	s_xor_b64 s[6:7], exec, s[6:7]
	s_cbranch_execnz .LBB55_2513
; %bb.465:
	s_or_saveexec_b64 s[6:7], s[6:7]
	v_mov_b32_e32 v2, s10
	s_xor_b64 exec, exec, s[6:7]
	s_cbranch_execnz .LBB55_2516
.LBB55_466:
	s_or_b64 exec, exec, s[6:7]
	s_and_saveexec_b64 s[6:7], s[4:5]
	s_cbranch_execz .LBB55_468
.LBB55_467:
	v_bfe_u32 v2, v8, 16, 3
	v_ffbh_u32_e32 v7, v2
	v_min_u32_e32 v7, 32, v7
	v_lshrrev_b32_e32 v3, 19, v8
	v_subrev_u32_e32 v10, 28, v7
	v_and_b32_e32 v3, 15, v3
	v_lshlrev_b32_sdwa v10, v10, v8 dst_sel:DWORD dst_unused:UNUSED_PAD src0_sel:DWORD src1_sel:WORD_1
	v_bfe_u32 v6, v8, 19, 4
	v_sub_u32_e32 v7, 29, v7
	v_and_b32_e32 v10, 7, v10
	v_cmp_eq_u16_e32 vcc, 0, v3
	v_cndmask_b32_e32 v2, v2, v10, vcc
	v_cndmask_b32_e32 v3, v6, v7, vcc
	v_lshlrev_b32_e32 v6, 8, v8
	v_mov_b32_e32 v7, 0x3b800000
	v_lshlrev_b32_e32 v2, 20, v2
	v_and_b32_e32 v6, 0x80000000, v6
	v_lshl_add_u32 v3, v3, 23, v7
	v_or3_b32 v2, v6, v3, v2
.LBB55_468:
	s_or_b64 exec, exec, s[6:7]
	s_movk_i32 s4, 0xff
	v_and_b32_sdwa v3, v4, s4 dst_sel:DWORD dst_unused:UNUSED_PAD src0_sel:WORD_1 src1_sel:DWORD
	s_movk_i32 s4, 0x7f
	v_cmp_lt_i16_e32 vcc, s4, v3
	s_mov_b64 s[4:5], 0
                                        ; implicit-def: $sgpr10
	s_and_saveexec_b64 s[6:7], vcc
	s_xor_b64 s[6:7], exec, s[6:7]
	s_cbranch_execnz .LBB55_2517
; %bb.469:
	s_or_saveexec_b64 s[6:7], s[6:7]
	v_mov_b32_e32 v6, s10
	s_xor_b64 exec, exec, s[6:7]
	s_cbranch_execnz .LBB55_2520
.LBB55_470:
	s_or_b64 exec, exec, s[6:7]
	s_and_saveexec_b64 s[6:7], s[4:5]
	s_cbranch_execz .LBB55_472
.LBB55_471:
	v_bfe_u32 v3, v4, 16, 3
	v_ffbh_u32_e32 v10, v3
	v_min_u32_e32 v10, 32, v10
	v_lshrrev_b32_e32 v6, 19, v4
	v_subrev_u32_e32 v11, 28, v10
	v_and_b32_e32 v6, 15, v6
	v_lshlrev_b32_sdwa v11, v11, v4 dst_sel:DWORD dst_unused:UNUSED_PAD src0_sel:DWORD src1_sel:WORD_1
	v_bfe_u32 v7, v4, 19, 4
	v_sub_u32_e32 v10, 29, v10
	v_and_b32_e32 v11, 7, v11
	v_cmp_eq_u16_e32 vcc, 0, v6
	v_cndmask_b32_e32 v3, v3, v11, vcc
	v_cndmask_b32_e32 v6, v7, v10, vcc
	v_lshlrev_b32_e32 v7, 8, v4
	v_mov_b32_e32 v10, 0x3b800000
	v_lshlrev_b32_e32 v3, 20, v3
	v_and_b32_e32 v7, 0x80000000, v7
	v_lshl_add_u32 v6, v6, 23, v10
	v_or3_b32 v6, v7, v6, v3
.LBB55_472:
	s_or_b64 exec, exec, s[6:7]
	s_nop 0
	v_mfma_f32_16x16x4f32 a[0:3], v2, v6, a[0:3]
	s_movk_i32 s4, 0x7f
	v_cmp_gt_i16_sdwa s[6:7], v8, s4 src0_sel:BYTE_3 src1_sel:DWORD
	s_mov_b64 s[4:5], 0
                                        ; implicit-def: $sgpr10
	s_and_saveexec_b64 s[8:9], s[6:7]
	s_xor_b64 s[6:7], exec, s[8:9]
	s_cbranch_execnz .LBB55_2521
; %bb.473:
	s_or_saveexec_b64 s[6:7], s[6:7]
	v_mov_b32_e32 v2, s10
	s_xor_b64 exec, exec, s[6:7]
	s_cbranch_execnz .LBB55_2524
.LBB55_474:
	s_or_b64 exec, exec, s[6:7]
	s_and_saveexec_b64 s[6:7], s[4:5]
	s_cbranch_execz .LBB55_476
.LBB55_475:
	v_bfe_u32 v2, v8, 24, 3
	v_ffbh_u32_e32 v10, v2
	v_min_u32_e32 v10, 32, v10
	v_lshrrev_b32_e32 v6, 27, v8
	v_subrev_u32_e32 v11, 28, v10
	v_and_b32_e32 v3, 0x80000000, v8
	v_and_b32_e32 v6, 15, v6
	v_bfe_u32 v7, v8, 27, 4
	v_lshlrev_b32_sdwa v8, v11, v8 dst_sel:DWORD dst_unused:UNUSED_PAD src0_sel:DWORD src1_sel:BYTE_3
	v_sub_u32_e32 v10, 29, v10
	v_and_b32_e32 v8, 7, v8
	v_cmp_eq_u16_e32 vcc, 0, v6
	v_cndmask_b32_e32 v2, v2, v8, vcc
	v_cndmask_b32_e32 v6, v7, v10, vcc
	v_mov_b32_e32 v7, 0x3b800000
	v_lshlrev_b32_e32 v2, 20, v2
	v_lshl_add_u32 v6, v6, 23, v7
	v_or3_b32 v2, v3, v6, v2
.LBB55_476:
	s_or_b64 exec, exec, s[6:7]
	s_movk_i32 s4, 0x7f
	v_cmp_gt_i16_sdwa s[6:7], v4, s4 src0_sel:BYTE_3 src1_sel:DWORD
	s_mov_b64 s[4:5], 0
                                        ; implicit-def: $sgpr10
	s_and_saveexec_b64 s[8:9], s[6:7]
	s_xor_b64 s[6:7], exec, s[8:9]
	s_cbranch_execnz .LBB55_2525
; %bb.477:
	s_or_saveexec_b64 s[6:7], s[6:7]
	v_mov_b32_e32 v3, s10
	s_xor_b64 exec, exec, s[6:7]
	s_cbranch_execnz .LBB55_2528
.LBB55_478:
	s_or_b64 exec, exec, s[6:7]
	s_and_saveexec_b64 s[6:7], s[4:5]
	s_cbranch_execz .LBB55_480
.LBB55_479:
	v_bfe_u32 v3, v4, 24, 3
	v_ffbh_u32_e32 v10, v3
	v_min_u32_e32 v10, 32, v10
	v_lshrrev_b32_e32 v7, 27, v4
	v_subrev_u32_e32 v11, 28, v10
	v_and_b32_e32 v6, 0x80000000, v4
	v_and_b32_e32 v7, 15, v7
	v_bfe_u32 v8, v4, 27, 4
	v_lshlrev_b32_sdwa v4, v11, v4 dst_sel:DWORD dst_unused:UNUSED_PAD src0_sel:DWORD src1_sel:BYTE_3
	v_sub_u32_e32 v10, 29, v10
	v_and_b32_e32 v4, 7, v4
	v_cmp_eq_u16_e32 vcc, 0, v7
	v_cndmask_b32_e32 v3, v3, v4, vcc
	v_cndmask_b32_e32 v4, v8, v10, vcc
	v_mov_b32_e32 v7, 0x3b800000
	v_lshlrev_b32_e32 v3, 20, v3
	v_lshl_add_u32 v4, v4, 23, v7
	v_or3_b32 v3, v6, v4, v3
.LBB55_480:
	s_or_b64 exec, exec, s[6:7]
	s_nop 0
	v_mfma_f32_16x16x4f32 a[0:3], v2, v3, a[0:3]
	s_movk_i32 s4, 0x7f
	v_cmp_gt_i16_sdwa s[6:7], v9, s4 src0_sel:BYTE_0 src1_sel:DWORD
	s_mov_b64 s[4:5], 0
                                        ; implicit-def: $sgpr10
	s_and_saveexec_b64 s[8:9], s[6:7]
	s_xor_b64 s[6:7], exec, s[8:9]
	s_cbranch_execnz .LBB55_2529
; %bb.481:
	s_or_saveexec_b64 s[6:7], s[6:7]
	v_mov_b32_e32 v2, s10
	s_xor_b64 exec, exec, s[6:7]
	s_cbranch_execnz .LBB55_2532
.LBB55_482:
	s_or_b64 exec, exec, s[6:7]
	s_and_saveexec_b64 s[6:7], s[4:5]
	s_cbranch_execz .LBB55_484
.LBB55_483:
	v_mov_b32_e32 v2, 8
	v_and_b32_e32 v3, 7, v9
	v_lshrrev_b32_sdwa v2, v2, v9 dst_sel:BYTE_1 dst_unused:UNUSED_PAD src0_sel:DWORD src1_sel:DWORD
	v_ffbh_u32_e32 v4, v3
	v_or_b32_sdwa v2, v9, v2 dst_sel:DWORD dst_unused:UNUSED_PAD src0_sel:BYTE_0 src1_sel:DWORD
	v_min_u32_e32 v4, 32, v4
	v_lshrrev_b16_e32 v2, 3, v2
	v_subrev_u32_e32 v6, 28, v4
	v_and_b32_e32 v2, 15, v2
	v_lshlrev_b32_e32 v6, v6, v9
	v_sub_u32_e32 v4, 29, v4
	v_and_b32_e32 v6, 7, v6
	v_cmp_eq_u16_e32 vcc, 0, v2
	v_cndmask_b32_e32 v3, v3, v6, vcc
	v_cndmask_b32_e32 v2, v2, v4, vcc
	v_lshlrev_b32_e32 v4, 24, v9
	v_mov_b32_e32 v6, 0x3b800000
	v_lshlrev_b32_e32 v3, 20, v3
	v_and_b32_e32 v4, 0x80000000, v4
	v_lshl_add_u32 v2, v2, 23, v6
	v_or3_b32 v2, v4, v2, v3
.LBB55_484:
	s_or_b64 exec, exec, s[6:7]
	s_movk_i32 s4, 0x7f
	v_cmp_gt_i16_sdwa s[6:7], v5, s4 src0_sel:BYTE_0 src1_sel:DWORD
	s_mov_b64 s[4:5], 0
                                        ; implicit-def: $sgpr10
	s_and_saveexec_b64 s[8:9], s[6:7]
	s_xor_b64 s[6:7], exec, s[8:9]
	s_cbranch_execnz .LBB55_2533
; %bb.485:
	s_or_saveexec_b64 s[6:7], s[6:7]
	v_mov_b32_e32 v3, s10
	s_xor_b64 exec, exec, s[6:7]
	s_cbranch_execnz .LBB55_2536
.LBB55_486:
	s_or_b64 exec, exec, s[6:7]
	s_and_saveexec_b64 s[6:7], s[4:5]
	s_cbranch_execz .LBB55_488
.LBB55_487:
	v_mov_b32_e32 v3, 8
	v_and_b32_e32 v4, 7, v5
	v_lshrrev_b32_sdwa v3, v3, v5 dst_sel:BYTE_1 dst_unused:UNUSED_PAD src0_sel:DWORD src1_sel:DWORD
	v_ffbh_u32_e32 v6, v4
	v_or_b32_sdwa v3, v5, v3 dst_sel:DWORD dst_unused:UNUSED_PAD src0_sel:BYTE_0 src1_sel:DWORD
	v_min_u32_e32 v6, 32, v6
	v_lshrrev_b16_e32 v3, 3, v3
	v_subrev_u32_e32 v7, 28, v6
	v_and_b32_e32 v3, 15, v3
	v_lshlrev_b32_e32 v7, v7, v5
	v_sub_u32_e32 v6, 29, v6
	v_and_b32_e32 v7, 7, v7
	v_cmp_eq_u16_e32 vcc, 0, v3
	v_cndmask_b32_e32 v4, v4, v7, vcc
	v_cndmask_b32_e32 v3, v3, v6, vcc
	v_lshlrev_b32_e32 v6, 24, v5
	v_mov_b32_e32 v7, 0x3b800000
	v_lshlrev_b32_e32 v4, 20, v4
	v_and_b32_e32 v6, 0x80000000, v6
	v_lshl_add_u32 v3, v3, 23, v7
	v_or3_b32 v3, v6, v3, v4
.LBB55_488:
	s_or_b64 exec, exec, s[6:7]
	s_nop 0
	v_mfma_f32_16x16x4f32 a[0:3], v2, v3, a[0:3]
	v_lshrrev_b32_e32 v3, 8, v9
	s_movk_i32 s4, 0x7f
	v_cmp_gt_i16_sdwa s[6:7], v3, s4 src0_sel:BYTE_0 src1_sel:DWORD
	s_mov_b64 s[4:5], 0
                                        ; implicit-def: $sgpr10
	s_and_saveexec_b64 s[8:9], s[6:7]
	s_xor_b64 s[6:7], exec, s[8:9]
	s_cbranch_execnz .LBB55_2537
; %bb.489:
	s_or_saveexec_b64 s[6:7], s[6:7]
	v_mov_b32_e32 v2, s10
	s_xor_b64 exec, exec, s[6:7]
	s_cbranch_execnz .LBB55_2540
.LBB55_490:
	s_or_b64 exec, exec, s[6:7]
	s_and_saveexec_b64 s[6:7], s[4:5]
	s_cbranch_execz .LBB55_492
.LBB55_491:
	v_bfe_u32 v2, v9, 8, 3
	v_ffbh_u32_e32 v6, v2
	v_min_u32_e32 v6, 32, v6
	v_lshrrev_b16_e32 v4, 3, v3
	v_subrev_u32_e32 v7, 28, v6
	v_and_b32_e32 v4, 15, v4
	v_lshlrev_b32_e32 v3, v7, v3
	v_sub_u32_e32 v6, 29, v6
	v_and_b32_e32 v3, 7, v3
	v_cmp_eq_u16_e32 vcc, 0, v4
	v_cndmask_b32_e32 v2, v2, v3, vcc
	v_cndmask_b32_e32 v3, v4, v6, vcc
	v_lshlrev_b32_e32 v4, 16, v9
	v_mov_b32_e32 v6, 0x3b800000
	v_lshlrev_b32_e32 v2, 20, v2
	v_and_b32_e32 v4, 0x80000000, v4
	v_lshl_add_u32 v3, v3, 23, v6
	v_or3_b32 v2, v4, v3, v2
.LBB55_492:
	s_or_b64 exec, exec, s[6:7]
	v_lshrrev_b32_e32 v3, 8, v5
	s_movk_i32 s4, 0x7f
	v_cmp_gt_i16_sdwa s[6:7], v3, s4 src0_sel:BYTE_0 src1_sel:DWORD
	s_mov_b64 s[4:5], 0
                                        ; implicit-def: $sgpr10
	s_and_saveexec_b64 s[8:9], s[6:7]
	s_xor_b64 s[6:7], exec, s[8:9]
	s_cbranch_execnz .LBB55_2541
; %bb.493:
	s_or_saveexec_b64 s[6:7], s[6:7]
	v_mov_b32_e32 v4, s10
	s_xor_b64 exec, exec, s[6:7]
	s_cbranch_execnz .LBB55_2544
.LBB55_494:
	s_or_b64 exec, exec, s[6:7]
	s_and_saveexec_b64 s[6:7], s[4:5]
	s_cbranch_execz .LBB55_496
.LBB55_495:
	v_bfe_u32 v4, v5, 8, 3
	v_ffbh_u32_e32 v7, v4
	v_min_u32_e32 v7, 32, v7
	v_lshrrev_b16_e32 v6, 3, v3
	v_subrev_u32_e32 v8, 28, v7
	v_and_b32_e32 v6, 15, v6
	v_lshlrev_b32_e32 v3, v8, v3
	v_sub_u32_e32 v7, 29, v7
	v_and_b32_e32 v3, 7, v3
	v_cmp_eq_u16_e32 vcc, 0, v6
	v_cndmask_b32_e32 v3, v4, v3, vcc
	v_cndmask_b32_e32 v4, v6, v7, vcc
	v_lshlrev_b32_e32 v6, 16, v5
	v_mov_b32_e32 v7, 0x3b800000
	v_lshlrev_b32_e32 v3, 20, v3
	v_and_b32_e32 v6, 0x80000000, v6
	v_lshl_add_u32 v4, v4, 23, v7
	v_or3_b32 v4, v6, v4, v3
.LBB55_496:
	s_or_b64 exec, exec, s[6:7]
	s_nop 0
	v_mfma_f32_16x16x4f32 a[0:3], v2, v4, a[0:3]
	s_movk_i32 s4, 0xff
	v_and_b32_sdwa v3, v9, s4 dst_sel:DWORD dst_unused:UNUSED_PAD src0_sel:WORD_1 src1_sel:DWORD
	s_movk_i32 s4, 0x7f
	v_cmp_lt_i16_e32 vcc, s4, v3
	s_mov_b64 s[4:5], 0
                                        ; implicit-def: $sgpr10
	s_and_saveexec_b64 s[6:7], vcc
	s_xor_b64 s[6:7], exec, s[6:7]
	s_cbranch_execnz .LBB55_2545
; %bb.497:
	s_or_saveexec_b64 s[6:7], s[6:7]
	v_mov_b32_e32 v2, s10
	s_xor_b64 exec, exec, s[6:7]
	s_cbranch_execnz .LBB55_2548
.LBB55_498:
	s_or_b64 exec, exec, s[6:7]
	s_and_saveexec_b64 s[6:7], s[4:5]
	s_cbranch_execz .LBB55_500
.LBB55_499:
	v_bfe_u32 v2, v9, 16, 3
	v_ffbh_u32_e32 v6, v2
	v_min_u32_e32 v6, 32, v6
	v_lshrrev_b32_e32 v3, 19, v9
	v_subrev_u32_e32 v7, 28, v6
	v_and_b32_e32 v3, 15, v3
	v_lshlrev_b32_sdwa v7, v7, v9 dst_sel:DWORD dst_unused:UNUSED_PAD src0_sel:DWORD src1_sel:WORD_1
	v_bfe_u32 v4, v9, 19, 4
	v_sub_u32_e32 v6, 29, v6
	v_and_b32_e32 v7, 7, v7
	v_cmp_eq_u16_e32 vcc, 0, v3
	v_cndmask_b32_e32 v2, v2, v7, vcc
	v_cndmask_b32_e32 v3, v4, v6, vcc
	v_lshlrev_b32_e32 v4, 8, v9
	v_mov_b32_e32 v6, 0x3b800000
	v_lshlrev_b32_e32 v2, 20, v2
	v_and_b32_e32 v4, 0x80000000, v4
	v_lshl_add_u32 v3, v3, 23, v6
	v_or3_b32 v2, v4, v3, v2
.LBB55_500:
	s_or_b64 exec, exec, s[6:7]
	s_movk_i32 s4, 0xff
	v_and_b32_sdwa v3, v5, s4 dst_sel:DWORD dst_unused:UNUSED_PAD src0_sel:WORD_1 src1_sel:DWORD
	s_movk_i32 s4, 0x7f
	v_cmp_lt_i16_e32 vcc, s4, v3
	s_mov_b64 s[4:5], 0
                                        ; implicit-def: $sgpr10
	s_and_saveexec_b64 s[6:7], vcc
	s_xor_b64 s[6:7], exec, s[6:7]
	s_cbranch_execnz .LBB55_2549
; %bb.501:
	s_or_saveexec_b64 s[6:7], s[6:7]
	v_mov_b32_e32 v4, s10
	s_xor_b64 exec, exec, s[6:7]
	s_cbranch_execnz .LBB55_2552
.LBB55_502:
	s_or_b64 exec, exec, s[6:7]
	s_and_saveexec_b64 s[6:7], s[4:5]
	s_cbranch_execz .LBB55_504
.LBB55_503:
	v_bfe_u32 v3, v5, 16, 3
	v_ffbh_u32_e32 v7, v3
	v_min_u32_e32 v7, 32, v7
	v_lshrrev_b32_e32 v4, 19, v5
	v_subrev_u32_e32 v8, 28, v7
	v_and_b32_e32 v4, 15, v4
	v_lshlrev_b32_sdwa v8, v8, v5 dst_sel:DWORD dst_unused:UNUSED_PAD src0_sel:DWORD src1_sel:WORD_1
	v_bfe_u32 v6, v5, 19, 4
	v_sub_u32_e32 v7, 29, v7
	v_and_b32_e32 v8, 7, v8
	v_cmp_eq_u16_e32 vcc, 0, v4
	v_cndmask_b32_e32 v3, v3, v8, vcc
	v_cndmask_b32_e32 v4, v6, v7, vcc
	v_lshlrev_b32_e32 v6, 8, v5
	v_mov_b32_e32 v7, 0x3b800000
	v_lshlrev_b32_e32 v3, 20, v3
	v_and_b32_e32 v6, 0x80000000, v6
	v_lshl_add_u32 v4, v4, 23, v7
	v_or3_b32 v4, v6, v4, v3
.LBB55_504:
	s_or_b64 exec, exec, s[6:7]
	s_nop 0
	v_mfma_f32_16x16x4f32 a[0:3], v2, v4, a[0:3]
	s_movk_i32 s4, 0x7f
	v_cmp_gt_i16_sdwa s[6:7], v9, s4 src0_sel:BYTE_3 src1_sel:DWORD
	s_mov_b64 s[4:5], 0
                                        ; implicit-def: $sgpr10
	s_and_saveexec_b64 s[8:9], s[6:7]
	s_xor_b64 s[6:7], exec, s[8:9]
	s_cbranch_execnz .LBB55_2553
; %bb.505:
	s_or_saveexec_b64 s[6:7], s[6:7]
	v_mov_b32_e32 v2, s10
	s_xor_b64 exec, exec, s[6:7]
	s_cbranch_execnz .LBB55_2556
.LBB55_506:
	s_or_b64 exec, exec, s[6:7]
	s_and_saveexec_b64 s[6:7], s[4:5]
	s_cbranch_execz .LBB55_508
.LBB55_507:
	v_bfe_u32 v2, v9, 24, 3
	v_ffbh_u32_e32 v7, v2
	v_min_u32_e32 v7, 32, v7
	v_lshrrev_b32_e32 v4, 27, v9
	v_subrev_u32_e32 v8, 28, v7
	v_and_b32_e32 v4, 15, v4
	v_lshlrev_b32_sdwa v8, v8, v9 dst_sel:DWORD dst_unused:UNUSED_PAD src0_sel:DWORD src1_sel:BYTE_3
	v_bfe_u32 v6, v9, 27, 4
	v_sub_u32_e32 v7, 29, v7
	v_and_b32_e32 v8, 7, v8
	v_cmp_eq_u16_e32 vcc, 0, v4
	v_cndmask_b32_e32 v2, v2, v8, vcc
	v_cndmask_b32_e32 v4, v6, v7, vcc
	v_mov_b32_e32 v6, 0x3b800000
	v_and_b32_e32 v3, 0x80000000, v9
	v_lshlrev_b32_e32 v2, 20, v2
	v_lshl_add_u32 v4, v4, 23, v6
	v_or3_b32 v2, v3, v4, v2
.LBB55_508:
	s_or_b64 exec, exec, s[6:7]
	s_movk_i32 s4, 0x7f
	v_cmp_gt_i16_sdwa s[6:7], v5, s4 src0_sel:BYTE_3 src1_sel:DWORD
	s_mov_b64 s[4:5], 0
                                        ; implicit-def: $sgpr10
	s_and_saveexec_b64 s[8:9], s[6:7]
	s_xor_b64 s[6:7], exec, s[8:9]
	s_cbranch_execnz .LBB55_2557
; %bb.509:
	s_or_saveexec_b64 s[6:7], s[6:7]
	v_mov_b32_e32 v3, s10
	s_xor_b64 exec, exec, s[6:7]
	s_cbranch_execnz .LBB55_2560
.LBB55_510:
	s_or_b64 exec, exec, s[6:7]
	s_and_saveexec_b64 s[6:7], s[4:5]
	s_cbranch_execz .LBB55_512
.LBB55_511:
	v_bfe_u32 v3, v5, 24, 3
	v_ffbh_u32_e32 v8, v3
	v_min_u32_e32 v8, 32, v8
	v_lshrrev_b32_e32 v6, 27, v5
	v_subrev_u32_e32 v9, 28, v8
	v_and_b32_e32 v4, 0x80000000, v5
	v_and_b32_e32 v6, 15, v6
	v_bfe_u32 v7, v5, 27, 4
	v_lshlrev_b32_sdwa v5, v9, v5 dst_sel:DWORD dst_unused:UNUSED_PAD src0_sel:DWORD src1_sel:BYTE_3
	v_sub_u32_e32 v8, 29, v8
	v_and_b32_e32 v5, 7, v5
	v_cmp_eq_u16_e32 vcc, 0, v6
	v_cndmask_b32_e32 v3, v3, v5, vcc
	v_cndmask_b32_e32 v5, v7, v8, vcc
	v_mov_b32_e32 v6, 0x3b800000
	v_lshlrev_b32_e32 v3, 20, v3
	v_lshl_add_u32 v5, v5, 23, v6
	v_or3_b32 v3, v4, v5, v3
.LBB55_512:
	s_or_b64 exec, exec, s[6:7]
	s_nop 0
	v_mfma_f32_16x16x4f32 a[0:3], v2, v3, a[0:3]
	s_movk_i32 s4, 0x7f
                                        ; implicit-def: $sgpr10
	s_nop 7
	s_nop 1
	flat_store_dwordx4 v[18:19], a[0:3] offset:400
	flat_load_dwordx4 v[20:23], v[0:1] offset:8
	s_nop 0
	flat_load_dwordx2 v[18:19], v[0:1] offset:24
	s_waitcnt vmcnt(0) lgkmcnt(0)
	flat_load_dwordx4 v[14:17], v[20:21] offset:32
	flat_load_dwordx4 v[6:9], v[20:21] offset:48
	;; [unrolled: 1-line block ×4, first 2 shown]
	s_waitcnt vmcnt(0) lgkmcnt(0)
	v_cmp_gt_i16_sdwa s[6:7], v14, s4 src0_sel:BYTE_0 src1_sel:DWORD
	s_mov_b64 s[4:5], 0
	s_and_saveexec_b64 s[8:9], s[6:7]
	s_xor_b64 s[6:7], exec, s[8:9]
	s_cbranch_execnz .LBB55_2561
; %bb.513:
	s_or_saveexec_b64 s[6:7], s[6:7]
	v_mov_b32_e32 v20, s10
	s_xor_b64 exec, exec, s[6:7]
	s_cbranch_execnz .LBB55_2564
.LBB55_514:
	s_or_b64 exec, exec, s[6:7]
	s_and_saveexec_b64 s[6:7], s[4:5]
	s_cbranch_execz .LBB55_516
.LBB55_515:
	v_and_b32_e32 v20, 7, v14
	v_ffbh_u32_e32 v22, v20
	v_min_u32_e32 v22, 32, v22
	v_lshrrev_b16_e32 v21, 3, v14
	v_subrev_u32_e32 v23, 28, v22
	v_and_b32_e32 v21, 15, v21
	v_lshlrev_b32_e32 v23, v23, v14
	v_sub_u32_e32 v22, 29, v22
	v_and_b32_e32 v23, 7, v23
	v_cmp_eq_u16_e32 vcc, 0, v21
	v_cndmask_b32_e32 v20, v20, v23, vcc
	v_cndmask_b32_e32 v21, v21, v22, vcc
	v_lshlrev_b32_e32 v22, 24, v14
	v_mov_b32_e32 v23, 0x3b800000
	v_lshlrev_b32_e32 v20, 20, v20
	v_and_b32_e32 v22, 0x80000000, v22
	v_lshl_add_u32 v21, v21, 23, v23
	v_or3_b32 v20, v22, v21, v20
.LBB55_516:
	s_or_b64 exec, exec, s[6:7]
	s_movk_i32 s4, 0x7f
	v_cmp_gt_i16_sdwa s[6:7], v10, s4 src0_sel:BYTE_0 src1_sel:DWORD
	s_mov_b64 s[4:5], 0
                                        ; implicit-def: $sgpr10
	s_and_saveexec_b64 s[8:9], s[6:7]
	s_xor_b64 s[6:7], exec, s[8:9]
	s_cbranch_execnz .LBB55_2565
; %bb.517:
	s_or_saveexec_b64 s[6:7], s[6:7]
	v_mov_b32_e32 v21, s10
	s_xor_b64 exec, exec, s[6:7]
	s_cbranch_execnz .LBB55_2568
.LBB55_518:
	s_or_b64 exec, exec, s[6:7]
	s_and_saveexec_b64 s[6:7], s[4:5]
	s_cbranch_execz .LBB55_520
.LBB55_519:
	v_and_b32_e32 v21, 7, v10
	v_ffbh_u32_e32 v23, v21
	v_min_u32_e32 v23, 32, v23
	v_lshrrev_b16_e32 v22, 3, v10
	v_subrev_u32_e32 v24, 28, v23
	v_and_b32_e32 v22, 15, v22
	v_lshlrev_b32_e32 v24, v24, v10
	v_sub_u32_e32 v23, 29, v23
	v_and_b32_e32 v24, 7, v24
	v_cmp_eq_u16_e32 vcc, 0, v22
	v_cndmask_b32_e32 v21, v21, v24, vcc
	v_cndmask_b32_e32 v22, v22, v23, vcc
	v_lshlrev_b32_e32 v23, 24, v10
	v_mov_b32_e32 v24, 0x3b800000
	v_lshlrev_b32_e32 v21, 20, v21
	v_and_b32_e32 v23, 0x80000000, v23
	v_lshl_add_u32 v22, v22, 23, v24
	v_or3_b32 v21, v23, v22, v21
.LBB55_520:
	s_or_b64 exec, exec, s[6:7]
	flat_load_dwordx4 a[0:3], v[18:19] offset:416
	s_movk_i32 s4, 0x7f
                                        ; implicit-def: $sgpr10
	s_waitcnt vmcnt(0) lgkmcnt(0)
	v_mfma_f32_16x16x4f32 a[0:3], v20, v21, a[0:3]
	v_lshrrev_b32_e32 v21, 8, v14
	v_cmp_gt_i16_sdwa s[6:7], v21, s4 src0_sel:BYTE_0 src1_sel:DWORD
	s_mov_b64 s[4:5], 0
	s_and_saveexec_b64 s[8:9], s[6:7]
	s_xor_b64 s[6:7], exec, s[8:9]
	s_cbranch_execnz .LBB55_2569
; %bb.521:
	s_or_saveexec_b64 s[6:7], s[6:7]
	v_mov_b32_e32 v20, s10
	s_xor_b64 exec, exec, s[6:7]
	s_cbranch_execnz .LBB55_2572
.LBB55_522:
	s_or_b64 exec, exec, s[6:7]
	s_and_saveexec_b64 s[6:7], s[4:5]
	s_cbranch_execz .LBB55_524
.LBB55_523:
	v_bfe_u32 v20, v14, 8, 3
	v_ffbh_u32_e32 v23, v20
	v_min_u32_e32 v23, 32, v23
	v_lshrrev_b16_e32 v22, 3, v21
	v_subrev_u32_e32 v24, 28, v23
	v_and_b32_e32 v22, 15, v22
	v_lshlrev_b32_e32 v21, v24, v21
	v_sub_u32_e32 v23, 29, v23
	v_and_b32_e32 v21, 7, v21
	v_cmp_eq_u16_e32 vcc, 0, v22
	v_cndmask_b32_e32 v20, v20, v21, vcc
	v_cndmask_b32_e32 v21, v22, v23, vcc
	v_lshlrev_b32_e32 v22, 16, v14
	v_mov_b32_e32 v23, 0x3b800000
	v_lshlrev_b32_e32 v20, 20, v20
	v_and_b32_e32 v22, 0x80000000, v22
	v_lshl_add_u32 v21, v21, 23, v23
	v_or3_b32 v20, v22, v21, v20
.LBB55_524:
	s_or_b64 exec, exec, s[6:7]
	v_lshrrev_b32_e32 v21, 8, v10
	s_movk_i32 s4, 0x7f
	v_cmp_gt_i16_sdwa s[6:7], v21, s4 src0_sel:BYTE_0 src1_sel:DWORD
	s_mov_b64 s[4:5], 0
                                        ; implicit-def: $sgpr10
	s_and_saveexec_b64 s[8:9], s[6:7]
	s_xor_b64 s[6:7], exec, s[8:9]
	s_cbranch_execnz .LBB55_2573
; %bb.525:
	s_or_saveexec_b64 s[6:7], s[6:7]
	v_mov_b32_e32 v22, s10
	s_xor_b64 exec, exec, s[6:7]
	s_cbranch_execnz .LBB55_2576
.LBB55_526:
	s_or_b64 exec, exec, s[6:7]
	s_and_saveexec_b64 s[6:7], s[4:5]
	s_cbranch_execz .LBB55_528
.LBB55_527:
	v_bfe_u32 v22, v10, 8, 3
	v_ffbh_u32_e32 v24, v22
	v_min_u32_e32 v24, 32, v24
	v_lshrrev_b16_e32 v23, 3, v21
	v_subrev_u32_e32 v25, 28, v24
	v_and_b32_e32 v23, 15, v23
	v_lshlrev_b32_e32 v21, v25, v21
	v_sub_u32_e32 v24, 29, v24
	v_and_b32_e32 v21, 7, v21
	v_cmp_eq_u16_e32 vcc, 0, v23
	v_cndmask_b32_e32 v21, v22, v21, vcc
	v_cndmask_b32_e32 v22, v23, v24, vcc
	v_lshlrev_b32_e32 v23, 16, v10
	v_mov_b32_e32 v24, 0x3b800000
	v_lshlrev_b32_e32 v21, 20, v21
	v_and_b32_e32 v23, 0x80000000, v23
	v_lshl_add_u32 v22, v22, 23, v24
	v_or3_b32 v22, v23, v22, v21
.LBB55_528:
	s_or_b64 exec, exec, s[6:7]
	s_nop 0
	v_mfma_f32_16x16x4f32 a[0:3], v20, v22, a[0:3]
	s_movk_i32 s4, 0xff
	v_and_b32_sdwa v21, v14, s4 dst_sel:DWORD dst_unused:UNUSED_PAD src0_sel:WORD_1 src1_sel:DWORD
	s_movk_i32 s4, 0x7f
	v_cmp_lt_i16_e32 vcc, s4, v21
	s_mov_b64 s[4:5], 0
                                        ; implicit-def: $sgpr10
	s_and_saveexec_b64 s[6:7], vcc
	s_xor_b64 s[6:7], exec, s[6:7]
	s_cbranch_execnz .LBB55_2577
; %bb.529:
	s_or_saveexec_b64 s[6:7], s[6:7]
	v_mov_b32_e32 v20, s10
	s_xor_b64 exec, exec, s[6:7]
	s_cbranch_execnz .LBB55_2580
.LBB55_530:
	s_or_b64 exec, exec, s[6:7]
	s_and_saveexec_b64 s[6:7], s[4:5]
	s_cbranch_execz .LBB55_532
.LBB55_531:
	v_bfe_u32 v20, v14, 16, 3
	v_ffbh_u32_e32 v23, v20
	v_min_u32_e32 v23, 32, v23
	v_lshrrev_b32_e32 v21, 19, v14
	v_subrev_u32_e32 v24, 28, v23
	v_and_b32_e32 v21, 15, v21
	v_lshlrev_b32_sdwa v24, v24, v14 dst_sel:DWORD dst_unused:UNUSED_PAD src0_sel:DWORD src1_sel:WORD_1
	v_bfe_u32 v22, v14, 19, 4
	v_sub_u32_e32 v23, 29, v23
	v_and_b32_e32 v24, 7, v24
	v_cmp_eq_u16_e32 vcc, 0, v21
	v_cndmask_b32_e32 v20, v20, v24, vcc
	v_cndmask_b32_e32 v21, v22, v23, vcc
	v_lshlrev_b32_e32 v22, 8, v14
	v_mov_b32_e32 v23, 0x3b800000
	v_lshlrev_b32_e32 v20, 20, v20
	v_and_b32_e32 v22, 0x80000000, v22
	v_lshl_add_u32 v21, v21, 23, v23
	v_or3_b32 v20, v22, v21, v20
.LBB55_532:
	s_or_b64 exec, exec, s[6:7]
	s_movk_i32 s4, 0xff
	v_and_b32_sdwa v21, v10, s4 dst_sel:DWORD dst_unused:UNUSED_PAD src0_sel:WORD_1 src1_sel:DWORD
	s_movk_i32 s4, 0x7f
	v_cmp_lt_i16_e32 vcc, s4, v21
	s_mov_b64 s[4:5], 0
                                        ; implicit-def: $sgpr10
	s_and_saveexec_b64 s[6:7], vcc
	s_xor_b64 s[6:7], exec, s[6:7]
	s_cbranch_execnz .LBB55_2581
; %bb.533:
	s_or_saveexec_b64 s[6:7], s[6:7]
	v_mov_b32_e32 v22, s10
	s_xor_b64 exec, exec, s[6:7]
	s_cbranch_execnz .LBB55_2584
.LBB55_534:
	s_or_b64 exec, exec, s[6:7]
	s_and_saveexec_b64 s[6:7], s[4:5]
	s_cbranch_execz .LBB55_536
.LBB55_535:
	v_bfe_u32 v21, v10, 16, 3
	v_ffbh_u32_e32 v24, v21
	v_min_u32_e32 v24, 32, v24
	v_lshrrev_b32_e32 v22, 19, v10
	v_subrev_u32_e32 v25, 28, v24
	v_and_b32_e32 v22, 15, v22
	v_lshlrev_b32_sdwa v25, v25, v10 dst_sel:DWORD dst_unused:UNUSED_PAD src0_sel:DWORD src1_sel:WORD_1
	v_bfe_u32 v23, v10, 19, 4
	v_sub_u32_e32 v24, 29, v24
	v_and_b32_e32 v25, 7, v25
	v_cmp_eq_u16_e32 vcc, 0, v22
	v_cndmask_b32_e32 v21, v21, v25, vcc
	v_cndmask_b32_e32 v22, v23, v24, vcc
	v_lshlrev_b32_e32 v23, 8, v10
	v_mov_b32_e32 v24, 0x3b800000
	v_lshlrev_b32_e32 v21, 20, v21
	v_and_b32_e32 v23, 0x80000000, v23
	v_lshl_add_u32 v22, v22, 23, v24
	v_or3_b32 v22, v23, v22, v21
.LBB55_536:
	s_or_b64 exec, exec, s[6:7]
	s_nop 0
	v_mfma_f32_16x16x4f32 a[0:3], v20, v22, a[0:3]
	s_movk_i32 s4, 0x7f
	v_cmp_gt_i16_sdwa s[6:7], v14, s4 src0_sel:BYTE_3 src1_sel:DWORD
	s_mov_b64 s[4:5], 0
                                        ; implicit-def: $sgpr10
	s_and_saveexec_b64 s[8:9], s[6:7]
	s_xor_b64 s[6:7], exec, s[8:9]
	s_cbranch_execnz .LBB55_2585
; %bb.537:
	s_or_saveexec_b64 s[6:7], s[6:7]
	v_mov_b32_e32 v20, s10
	s_xor_b64 exec, exec, s[6:7]
	s_cbranch_execnz .LBB55_2588
.LBB55_538:
	s_or_b64 exec, exec, s[6:7]
	s_and_saveexec_b64 s[6:7], s[4:5]
	s_cbranch_execz .LBB55_540
.LBB55_539:
	v_bfe_u32 v20, v14, 24, 3
	v_ffbh_u32_e32 v24, v20
	v_min_u32_e32 v24, 32, v24
	v_lshrrev_b32_e32 v22, 27, v14
	v_subrev_u32_e32 v25, 28, v24
	v_and_b32_e32 v21, 0x80000000, v14
	v_and_b32_e32 v22, 15, v22
	v_bfe_u32 v23, v14, 27, 4
	v_lshlrev_b32_sdwa v14, v25, v14 dst_sel:DWORD dst_unused:UNUSED_PAD src0_sel:DWORD src1_sel:BYTE_3
	v_sub_u32_e32 v24, 29, v24
	v_and_b32_e32 v14, 7, v14
	v_cmp_eq_u16_e32 vcc, 0, v22
	v_cndmask_b32_e32 v14, v20, v14, vcc
	v_cndmask_b32_e32 v20, v23, v24, vcc
	v_mov_b32_e32 v22, 0x3b800000
	v_lshlrev_b32_e32 v14, 20, v14
	v_lshl_add_u32 v20, v20, 23, v22
	v_or3_b32 v20, v21, v20, v14
.LBB55_540:
	s_or_b64 exec, exec, s[6:7]
	s_movk_i32 s4, 0x7f
	v_cmp_gt_i16_sdwa s[6:7], v10, s4 src0_sel:BYTE_3 src1_sel:DWORD
	s_mov_b64 s[4:5], 0
                                        ; implicit-def: $sgpr10
	s_and_saveexec_b64 s[8:9], s[6:7]
	s_xor_b64 s[6:7], exec, s[8:9]
	s_cbranch_execnz .LBB55_2589
; %bb.541:
	s_or_saveexec_b64 s[6:7], s[6:7]
	v_mov_b32_e32 v14, s10
	s_xor_b64 exec, exec, s[6:7]
	s_cbranch_execnz .LBB55_2592
.LBB55_542:
	s_or_b64 exec, exec, s[6:7]
	s_and_saveexec_b64 s[6:7], s[4:5]
	s_cbranch_execz .LBB55_544
.LBB55_543:
	v_bfe_u32 v14, v10, 24, 3
	v_ffbh_u32_e32 v24, v14
	v_min_u32_e32 v24, 32, v24
	v_lshrrev_b32_e32 v22, 27, v10
	v_subrev_u32_e32 v25, 28, v24
	v_and_b32_e32 v21, 0x80000000, v10
	v_and_b32_e32 v22, 15, v22
	v_bfe_u32 v23, v10, 27, 4
	v_lshlrev_b32_sdwa v10, v25, v10 dst_sel:DWORD dst_unused:UNUSED_PAD src0_sel:DWORD src1_sel:BYTE_3
	v_sub_u32_e32 v24, 29, v24
	v_and_b32_e32 v10, 7, v10
	v_cmp_eq_u16_e32 vcc, 0, v22
	v_cndmask_b32_e32 v10, v14, v10, vcc
	v_cndmask_b32_e32 v14, v23, v24, vcc
	v_mov_b32_e32 v22, 0x3b800000
	v_lshlrev_b32_e32 v10, 20, v10
	v_lshl_add_u32 v14, v14, 23, v22
	v_or3_b32 v14, v21, v14, v10
.LBB55_544:
	s_or_b64 exec, exec, s[6:7]
	s_nop 0
	v_mfma_f32_16x16x4f32 a[0:3], v20, v14, a[0:3]
	s_movk_i32 s4, 0x7f
	v_cmp_gt_i16_sdwa s[6:7], v15, s4 src0_sel:BYTE_0 src1_sel:DWORD
	s_mov_b64 s[4:5], 0
                                        ; implicit-def: $sgpr10
	s_and_saveexec_b64 s[8:9], s[6:7]
	s_xor_b64 s[6:7], exec, s[8:9]
	s_cbranch_execnz .LBB55_2593
; %bb.545:
	s_or_saveexec_b64 s[6:7], s[6:7]
	v_mov_b32_e32 v10, s10
	s_xor_b64 exec, exec, s[6:7]
	s_cbranch_execnz .LBB55_2596
.LBB55_546:
	s_or_b64 exec, exec, s[6:7]
	s_and_saveexec_b64 s[6:7], s[4:5]
	s_cbranch_execz .LBB55_548
.LBB55_547:
	v_and_b32_e32 v10, 7, v15
	v_ffbh_u32_e32 v20, v10
	v_min_u32_e32 v20, 32, v20
	v_lshrrev_b16_e32 v14, 3, v15
	v_subrev_u32_e32 v21, 28, v20
	v_and_b32_e32 v14, 15, v14
	v_lshlrev_b32_e32 v21, v21, v15
	v_sub_u32_e32 v20, 29, v20
	v_and_b32_e32 v21, 7, v21
	v_cmp_eq_u16_e32 vcc, 0, v14
	v_cndmask_b32_e32 v10, v10, v21, vcc
	v_cndmask_b32_e32 v14, v14, v20, vcc
	v_lshlrev_b32_e32 v20, 24, v15
	v_mov_b32_e32 v21, 0x3b800000
	v_lshlrev_b32_e32 v10, 20, v10
	v_and_b32_e32 v20, 0x80000000, v20
	v_lshl_add_u32 v14, v14, 23, v21
	v_or3_b32 v10, v20, v14, v10
.LBB55_548:
	s_or_b64 exec, exec, s[6:7]
	s_movk_i32 s4, 0x7f
	v_cmp_gt_i16_sdwa s[6:7], v11, s4 src0_sel:BYTE_0 src1_sel:DWORD
	s_mov_b64 s[4:5], 0
                                        ; implicit-def: $sgpr10
	s_and_saveexec_b64 s[8:9], s[6:7]
	s_xor_b64 s[6:7], exec, s[8:9]
	s_cbranch_execnz .LBB55_2597
; %bb.549:
	s_or_saveexec_b64 s[6:7], s[6:7]
	v_mov_b32_e32 v14, s10
	s_xor_b64 exec, exec, s[6:7]
	s_cbranch_execnz .LBB55_2600
.LBB55_550:
	s_or_b64 exec, exec, s[6:7]
	s_and_saveexec_b64 s[6:7], s[4:5]
	s_cbranch_execz .LBB55_552
.LBB55_551:
	v_and_b32_e32 v14, 7, v11
	v_ffbh_u32_e32 v21, v14
	v_min_u32_e32 v21, 32, v21
	v_lshrrev_b16_e32 v20, 3, v11
	v_subrev_u32_e32 v22, 28, v21
	v_and_b32_e32 v20, 15, v20
	v_lshlrev_b32_e32 v22, v22, v11
	v_sub_u32_e32 v21, 29, v21
	v_and_b32_e32 v22, 7, v22
	v_cmp_eq_u16_e32 vcc, 0, v20
	v_cndmask_b32_e32 v14, v14, v22, vcc
	v_cndmask_b32_e32 v20, v20, v21, vcc
	v_lshlrev_b32_e32 v21, 24, v11
	v_mov_b32_e32 v22, 0x3b800000
	v_lshlrev_b32_e32 v14, 20, v14
	v_and_b32_e32 v21, 0x80000000, v21
	v_lshl_add_u32 v20, v20, 23, v22
	v_or3_b32 v14, v21, v20, v14
.LBB55_552:
	s_or_b64 exec, exec, s[6:7]
	s_nop 0
	v_mfma_f32_16x16x4f32 a[0:3], v10, v14, a[0:3]
	v_lshrrev_b32_e32 v14, 8, v15
	s_movk_i32 s4, 0x7f
	v_cmp_gt_i16_sdwa s[6:7], v14, s4 src0_sel:BYTE_0 src1_sel:DWORD
	s_mov_b64 s[4:5], 0
                                        ; implicit-def: $sgpr10
	s_and_saveexec_b64 s[8:9], s[6:7]
	s_xor_b64 s[6:7], exec, s[8:9]
	s_cbranch_execnz .LBB55_2601
; %bb.553:
	s_or_saveexec_b64 s[6:7], s[6:7]
	v_mov_b32_e32 v10, s10
	s_xor_b64 exec, exec, s[6:7]
	s_cbranch_execnz .LBB55_2604
.LBB55_554:
	s_or_b64 exec, exec, s[6:7]
	s_and_saveexec_b64 s[6:7], s[4:5]
	s_cbranch_execz .LBB55_556
.LBB55_555:
	v_bfe_u32 v10, v15, 8, 3
	v_ffbh_u32_e32 v21, v10
	v_min_u32_e32 v21, 32, v21
	v_lshrrev_b16_e32 v20, 3, v14
	v_subrev_u32_e32 v22, 28, v21
	v_and_b32_e32 v20, 15, v20
	v_lshlrev_b32_e32 v14, v22, v14
	v_sub_u32_e32 v21, 29, v21
	v_and_b32_e32 v14, 7, v14
	v_cmp_eq_u16_e32 vcc, 0, v20
	v_cndmask_b32_e32 v10, v10, v14, vcc
	v_cndmask_b32_e32 v14, v20, v21, vcc
	v_lshlrev_b32_e32 v20, 16, v15
	v_mov_b32_e32 v21, 0x3b800000
	v_lshlrev_b32_e32 v10, 20, v10
	v_and_b32_e32 v20, 0x80000000, v20
	v_lshl_add_u32 v14, v14, 23, v21
	v_or3_b32 v10, v20, v14, v10
.LBB55_556:
	s_or_b64 exec, exec, s[6:7]
	v_lshrrev_b32_e32 v14, 8, v11
	s_movk_i32 s4, 0x7f
	v_cmp_gt_i16_sdwa s[6:7], v14, s4 src0_sel:BYTE_0 src1_sel:DWORD
	s_mov_b64 s[4:5], 0
                                        ; implicit-def: $sgpr10
	s_and_saveexec_b64 s[8:9], s[6:7]
	s_xor_b64 s[6:7], exec, s[8:9]
	s_cbranch_execnz .LBB55_2605
; %bb.557:
	s_or_saveexec_b64 s[6:7], s[6:7]
	v_mov_b32_e32 v20, s10
	s_xor_b64 exec, exec, s[6:7]
	s_cbranch_execnz .LBB55_2608
.LBB55_558:
	s_or_b64 exec, exec, s[6:7]
	s_and_saveexec_b64 s[6:7], s[4:5]
	s_cbranch_execz .LBB55_560
.LBB55_559:
	v_bfe_u32 v20, v11, 8, 3
	v_ffbh_u32_e32 v22, v20
	v_min_u32_e32 v22, 32, v22
	v_lshrrev_b16_e32 v21, 3, v14
	v_subrev_u32_e32 v23, 28, v22
	v_and_b32_e32 v21, 15, v21
	v_lshlrev_b32_e32 v14, v23, v14
	v_sub_u32_e32 v22, 29, v22
	v_and_b32_e32 v14, 7, v14
	v_cmp_eq_u16_e32 vcc, 0, v21
	v_cndmask_b32_e32 v14, v20, v14, vcc
	v_cndmask_b32_e32 v20, v21, v22, vcc
	v_lshlrev_b32_e32 v21, 16, v11
	v_mov_b32_e32 v22, 0x3b800000
	v_lshlrev_b32_e32 v14, 20, v14
	v_and_b32_e32 v21, 0x80000000, v21
	v_lshl_add_u32 v20, v20, 23, v22
	v_or3_b32 v20, v21, v20, v14
.LBB55_560:
	s_or_b64 exec, exec, s[6:7]
	s_nop 0
	v_mfma_f32_16x16x4f32 a[0:3], v10, v20, a[0:3]
	s_movk_i32 s4, 0xff
	v_and_b32_sdwa v14, v15, s4 dst_sel:DWORD dst_unused:UNUSED_PAD src0_sel:WORD_1 src1_sel:DWORD
	s_movk_i32 s4, 0x7f
	v_cmp_lt_i16_e32 vcc, s4, v14
	s_mov_b64 s[4:5], 0
                                        ; implicit-def: $sgpr10
	s_and_saveexec_b64 s[6:7], vcc
	s_xor_b64 s[6:7], exec, s[6:7]
	s_cbranch_execnz .LBB55_2609
; %bb.561:
	s_or_saveexec_b64 s[6:7], s[6:7]
	v_mov_b32_e32 v10, s10
	s_xor_b64 exec, exec, s[6:7]
	s_cbranch_execnz .LBB55_2612
.LBB55_562:
	s_or_b64 exec, exec, s[6:7]
	s_and_saveexec_b64 s[6:7], s[4:5]
	s_cbranch_execz .LBB55_564
.LBB55_563:
	v_bfe_u32 v10, v15, 16, 3
	v_ffbh_u32_e32 v21, v10
	v_min_u32_e32 v21, 32, v21
	v_lshrrev_b32_e32 v14, 19, v15
	v_subrev_u32_e32 v22, 28, v21
	v_and_b32_e32 v14, 15, v14
	v_lshlrev_b32_sdwa v22, v22, v15 dst_sel:DWORD dst_unused:UNUSED_PAD src0_sel:DWORD src1_sel:WORD_1
	v_bfe_u32 v20, v15, 19, 4
	v_sub_u32_e32 v21, 29, v21
	v_and_b32_e32 v22, 7, v22
	v_cmp_eq_u16_e32 vcc, 0, v14
	v_cndmask_b32_e32 v10, v10, v22, vcc
	v_cndmask_b32_e32 v14, v20, v21, vcc
	v_lshlrev_b32_e32 v20, 8, v15
	v_mov_b32_e32 v21, 0x3b800000
	v_lshlrev_b32_e32 v10, 20, v10
	v_and_b32_e32 v20, 0x80000000, v20
	v_lshl_add_u32 v14, v14, 23, v21
	v_or3_b32 v10, v20, v14, v10
.LBB55_564:
	s_or_b64 exec, exec, s[6:7]
	s_movk_i32 s4, 0xff
	v_and_b32_sdwa v14, v11, s4 dst_sel:DWORD dst_unused:UNUSED_PAD src0_sel:WORD_1 src1_sel:DWORD
	s_movk_i32 s4, 0x7f
	v_cmp_lt_i16_e32 vcc, s4, v14
	s_mov_b64 s[4:5], 0
                                        ; implicit-def: $sgpr10
	s_and_saveexec_b64 s[6:7], vcc
	s_xor_b64 s[6:7], exec, s[6:7]
	s_cbranch_execnz .LBB55_2613
; %bb.565:
	s_or_saveexec_b64 s[6:7], s[6:7]
	v_mov_b32_e32 v20, s10
	s_xor_b64 exec, exec, s[6:7]
	s_cbranch_execnz .LBB55_2616
.LBB55_566:
	s_or_b64 exec, exec, s[6:7]
	s_and_saveexec_b64 s[6:7], s[4:5]
	s_cbranch_execz .LBB55_568
.LBB55_567:
	v_bfe_u32 v14, v11, 16, 3
	v_ffbh_u32_e32 v22, v14
	v_min_u32_e32 v22, 32, v22
	v_lshrrev_b32_e32 v20, 19, v11
	v_subrev_u32_e32 v23, 28, v22
	v_and_b32_e32 v20, 15, v20
	v_lshlrev_b32_sdwa v23, v23, v11 dst_sel:DWORD dst_unused:UNUSED_PAD src0_sel:DWORD src1_sel:WORD_1
	v_bfe_u32 v21, v11, 19, 4
	v_sub_u32_e32 v22, 29, v22
	v_and_b32_e32 v23, 7, v23
	v_cmp_eq_u16_e32 vcc, 0, v20
	v_cndmask_b32_e32 v14, v14, v23, vcc
	v_cndmask_b32_e32 v20, v21, v22, vcc
	v_lshlrev_b32_e32 v21, 8, v11
	v_mov_b32_e32 v22, 0x3b800000
	v_lshlrev_b32_e32 v14, 20, v14
	v_and_b32_e32 v21, 0x80000000, v21
	v_lshl_add_u32 v20, v20, 23, v22
	v_or3_b32 v20, v21, v20, v14
.LBB55_568:
	s_or_b64 exec, exec, s[6:7]
	s_nop 0
	v_mfma_f32_16x16x4f32 a[0:3], v10, v20, a[0:3]
	s_movk_i32 s4, 0x7f
	v_cmp_gt_i16_sdwa s[6:7], v15, s4 src0_sel:BYTE_3 src1_sel:DWORD
	s_mov_b64 s[4:5], 0
                                        ; implicit-def: $sgpr10
	s_and_saveexec_b64 s[8:9], s[6:7]
	s_xor_b64 s[6:7], exec, s[8:9]
	s_cbranch_execnz .LBB55_2617
; %bb.569:
	s_or_saveexec_b64 s[6:7], s[6:7]
	v_mov_b32_e32 v10, s10
	s_xor_b64 exec, exec, s[6:7]
	s_cbranch_execnz .LBB55_2620
.LBB55_570:
	s_or_b64 exec, exec, s[6:7]
	s_and_saveexec_b64 s[6:7], s[4:5]
	s_cbranch_execz .LBB55_572
.LBB55_571:
	v_bfe_u32 v10, v15, 24, 3
	v_ffbh_u32_e32 v22, v10
	v_min_u32_e32 v22, 32, v22
	v_lshrrev_b32_e32 v20, 27, v15
	v_subrev_u32_e32 v23, 28, v22
	v_and_b32_e32 v14, 0x80000000, v15
	v_and_b32_e32 v20, 15, v20
	v_bfe_u32 v21, v15, 27, 4
	v_lshlrev_b32_sdwa v15, v23, v15 dst_sel:DWORD dst_unused:UNUSED_PAD src0_sel:DWORD src1_sel:BYTE_3
	v_sub_u32_e32 v22, 29, v22
	v_and_b32_e32 v15, 7, v15
	v_cmp_eq_u16_e32 vcc, 0, v20
	v_cndmask_b32_e32 v10, v10, v15, vcc
	v_cndmask_b32_e32 v15, v21, v22, vcc
	v_mov_b32_e32 v20, 0x3b800000
	v_lshlrev_b32_e32 v10, 20, v10
	v_lshl_add_u32 v15, v15, 23, v20
	v_or3_b32 v10, v14, v15, v10
.LBB55_572:
	s_or_b64 exec, exec, s[6:7]
	s_movk_i32 s4, 0x7f
	v_cmp_gt_i16_sdwa s[6:7], v11, s4 src0_sel:BYTE_3 src1_sel:DWORD
	s_mov_b64 s[4:5], 0
                                        ; implicit-def: $sgpr10
	s_and_saveexec_b64 s[8:9], s[6:7]
	s_xor_b64 s[6:7], exec, s[8:9]
	s_cbranch_execnz .LBB55_2621
; %bb.573:
	s_or_saveexec_b64 s[6:7], s[6:7]
	v_mov_b32_e32 v14, s10
	s_xor_b64 exec, exec, s[6:7]
	s_cbranch_execnz .LBB55_2624
.LBB55_574:
	s_or_b64 exec, exec, s[6:7]
	s_and_saveexec_b64 s[6:7], s[4:5]
	s_cbranch_execz .LBB55_576
.LBB55_575:
	v_bfe_u32 v14, v11, 24, 3
	v_ffbh_u32_e32 v22, v14
	v_min_u32_e32 v22, 32, v22
	v_lshrrev_b32_e32 v20, 27, v11
	v_subrev_u32_e32 v23, 28, v22
	v_and_b32_e32 v15, 0x80000000, v11
	v_and_b32_e32 v20, 15, v20
	v_bfe_u32 v21, v11, 27, 4
	v_lshlrev_b32_sdwa v11, v23, v11 dst_sel:DWORD dst_unused:UNUSED_PAD src0_sel:DWORD src1_sel:BYTE_3
	v_sub_u32_e32 v22, 29, v22
	v_and_b32_e32 v11, 7, v11
	v_cmp_eq_u16_e32 vcc, 0, v20
	v_cndmask_b32_e32 v11, v14, v11, vcc
	v_cndmask_b32_e32 v14, v21, v22, vcc
	v_mov_b32_e32 v20, 0x3b800000
	v_lshlrev_b32_e32 v11, 20, v11
	v_lshl_add_u32 v14, v14, 23, v20
	v_or3_b32 v14, v15, v14, v11
.LBB55_576:
	s_or_b64 exec, exec, s[6:7]
	s_nop 0
	v_mfma_f32_16x16x4f32 a[0:3], v10, v14, a[0:3]
	s_movk_i32 s4, 0x7f
	v_cmp_gt_i16_sdwa s[6:7], v16, s4 src0_sel:BYTE_0 src1_sel:DWORD
	s_mov_b64 s[4:5], 0
                                        ; implicit-def: $sgpr10
	s_and_saveexec_b64 s[8:9], s[6:7]
	s_xor_b64 s[6:7], exec, s[8:9]
	s_cbranch_execnz .LBB55_2625
; %bb.577:
	s_or_saveexec_b64 s[6:7], s[6:7]
	v_mov_b32_e32 v10, s10
	s_xor_b64 exec, exec, s[6:7]
	s_cbranch_execnz .LBB55_2628
.LBB55_578:
	s_or_b64 exec, exec, s[6:7]
	s_and_saveexec_b64 s[6:7], s[4:5]
	s_cbranch_execz .LBB55_580
.LBB55_579:
	v_and_b32_e32 v10, 7, v16
	v_ffbh_u32_e32 v14, v10
	v_min_u32_e32 v14, 32, v14
	v_lshrrev_b16_e32 v11, 3, v16
	v_subrev_u32_e32 v15, 28, v14
	v_and_b32_e32 v11, 15, v11
	v_lshlrev_b32_e32 v15, v15, v16
	v_sub_u32_e32 v14, 29, v14
	v_and_b32_e32 v15, 7, v15
	v_cmp_eq_u16_e32 vcc, 0, v11
	v_cndmask_b32_e32 v10, v10, v15, vcc
	v_cndmask_b32_e32 v11, v11, v14, vcc
	v_lshlrev_b32_e32 v14, 24, v16
	v_mov_b32_e32 v15, 0x3b800000
	v_lshlrev_b32_e32 v10, 20, v10
	v_and_b32_e32 v14, 0x80000000, v14
	v_lshl_add_u32 v11, v11, 23, v15
	v_or3_b32 v10, v14, v11, v10
.LBB55_580:
	s_or_b64 exec, exec, s[6:7]
	s_movk_i32 s4, 0x7f
	v_cmp_gt_i16_sdwa s[6:7], v12, s4 src0_sel:BYTE_0 src1_sel:DWORD
	s_mov_b64 s[4:5], 0
                                        ; implicit-def: $sgpr10
	s_and_saveexec_b64 s[8:9], s[6:7]
	s_xor_b64 s[6:7], exec, s[8:9]
	s_cbranch_execnz .LBB55_2629
; %bb.581:
	s_or_saveexec_b64 s[6:7], s[6:7]
	v_mov_b32_e32 v11, s10
	s_xor_b64 exec, exec, s[6:7]
	s_cbranch_execnz .LBB55_2632
.LBB55_582:
	s_or_b64 exec, exec, s[6:7]
	s_and_saveexec_b64 s[6:7], s[4:5]
	s_cbranch_execz .LBB55_584
.LBB55_583:
	v_and_b32_e32 v11, 7, v12
	v_ffbh_u32_e32 v15, v11
	v_min_u32_e32 v15, 32, v15
	v_lshrrev_b16_e32 v14, 3, v12
	v_subrev_u32_e32 v20, 28, v15
	v_and_b32_e32 v14, 15, v14
	v_lshlrev_b32_e32 v20, v20, v12
	v_sub_u32_e32 v15, 29, v15
	v_and_b32_e32 v20, 7, v20
	v_cmp_eq_u16_e32 vcc, 0, v14
	v_cndmask_b32_e32 v11, v11, v20, vcc
	v_cndmask_b32_e32 v14, v14, v15, vcc
	v_lshlrev_b32_e32 v15, 24, v12
	v_mov_b32_e32 v20, 0x3b800000
	v_lshlrev_b32_e32 v11, 20, v11
	v_and_b32_e32 v15, 0x80000000, v15
	v_lshl_add_u32 v14, v14, 23, v20
	v_or3_b32 v11, v15, v14, v11
.LBB55_584:
	s_or_b64 exec, exec, s[6:7]
	s_nop 0
	v_mfma_f32_16x16x4f32 a[0:3], v10, v11, a[0:3]
	v_lshrrev_b32_e32 v11, 8, v16
	s_movk_i32 s4, 0x7f
	v_cmp_gt_i16_sdwa s[6:7], v11, s4 src0_sel:BYTE_0 src1_sel:DWORD
	s_mov_b64 s[4:5], 0
                                        ; implicit-def: $sgpr10
	s_and_saveexec_b64 s[8:9], s[6:7]
	s_xor_b64 s[6:7], exec, s[8:9]
	s_cbranch_execnz .LBB55_2633
; %bb.585:
	s_or_saveexec_b64 s[6:7], s[6:7]
	v_mov_b32_e32 v10, s10
	s_xor_b64 exec, exec, s[6:7]
	s_cbranch_execnz .LBB55_2636
.LBB55_586:
	s_or_b64 exec, exec, s[6:7]
	s_and_saveexec_b64 s[6:7], s[4:5]
	s_cbranch_execz .LBB55_588
.LBB55_587:
	v_bfe_u32 v10, v16, 8, 3
	v_ffbh_u32_e32 v15, v10
	v_min_u32_e32 v15, 32, v15
	v_lshrrev_b16_e32 v14, 3, v11
	v_subrev_u32_e32 v20, 28, v15
	v_and_b32_e32 v14, 15, v14
	v_lshlrev_b32_e32 v11, v20, v11
	v_sub_u32_e32 v15, 29, v15
	v_and_b32_e32 v11, 7, v11
	v_cmp_eq_u16_e32 vcc, 0, v14
	v_cndmask_b32_e32 v10, v10, v11, vcc
	v_cndmask_b32_e32 v11, v14, v15, vcc
	v_lshlrev_b32_e32 v14, 16, v16
	v_mov_b32_e32 v15, 0x3b800000
	v_lshlrev_b32_e32 v10, 20, v10
	v_and_b32_e32 v14, 0x80000000, v14
	v_lshl_add_u32 v11, v11, 23, v15
	v_or3_b32 v10, v14, v11, v10
.LBB55_588:
	s_or_b64 exec, exec, s[6:7]
	v_lshrrev_b32_e32 v11, 8, v12
	s_movk_i32 s4, 0x7f
	v_cmp_gt_i16_sdwa s[6:7], v11, s4 src0_sel:BYTE_0 src1_sel:DWORD
	s_mov_b64 s[4:5], 0
                                        ; implicit-def: $sgpr10
	s_and_saveexec_b64 s[8:9], s[6:7]
	s_xor_b64 s[6:7], exec, s[8:9]
	s_cbranch_execnz .LBB55_2637
; %bb.589:
	s_or_saveexec_b64 s[6:7], s[6:7]
	v_mov_b32_e32 v14, s10
	s_xor_b64 exec, exec, s[6:7]
	s_cbranch_execnz .LBB55_2640
.LBB55_590:
	s_or_b64 exec, exec, s[6:7]
	s_and_saveexec_b64 s[6:7], s[4:5]
	s_cbranch_execz .LBB55_592
.LBB55_591:
	v_bfe_u32 v14, v12, 8, 3
	v_ffbh_u32_e32 v20, v14
	v_min_u32_e32 v20, 32, v20
	v_lshrrev_b16_e32 v15, 3, v11
	v_subrev_u32_e32 v21, 28, v20
	v_and_b32_e32 v15, 15, v15
	v_lshlrev_b32_e32 v11, v21, v11
	v_sub_u32_e32 v20, 29, v20
	v_and_b32_e32 v11, 7, v11
	v_cmp_eq_u16_e32 vcc, 0, v15
	v_cndmask_b32_e32 v11, v14, v11, vcc
	v_cndmask_b32_e32 v14, v15, v20, vcc
	v_lshlrev_b32_e32 v15, 16, v12
	v_mov_b32_e32 v20, 0x3b800000
	v_lshlrev_b32_e32 v11, 20, v11
	v_and_b32_e32 v15, 0x80000000, v15
	v_lshl_add_u32 v14, v14, 23, v20
	v_or3_b32 v14, v15, v14, v11
.LBB55_592:
	s_or_b64 exec, exec, s[6:7]
	s_nop 0
	v_mfma_f32_16x16x4f32 a[0:3], v10, v14, a[0:3]
	s_movk_i32 s4, 0xff
	v_and_b32_sdwa v11, v16, s4 dst_sel:DWORD dst_unused:UNUSED_PAD src0_sel:WORD_1 src1_sel:DWORD
	s_movk_i32 s4, 0x7f
	v_cmp_lt_i16_e32 vcc, s4, v11
	s_mov_b64 s[4:5], 0
                                        ; implicit-def: $sgpr10
	s_and_saveexec_b64 s[6:7], vcc
	s_xor_b64 s[6:7], exec, s[6:7]
	s_cbranch_execnz .LBB55_2641
; %bb.593:
	s_or_saveexec_b64 s[6:7], s[6:7]
	v_mov_b32_e32 v10, s10
	s_xor_b64 exec, exec, s[6:7]
	s_cbranch_execnz .LBB55_2644
.LBB55_594:
	s_or_b64 exec, exec, s[6:7]
	s_and_saveexec_b64 s[6:7], s[4:5]
	s_cbranch_execz .LBB55_596
.LBB55_595:
	v_bfe_u32 v10, v16, 16, 3
	v_ffbh_u32_e32 v15, v10
	v_min_u32_e32 v15, 32, v15
	v_lshrrev_b32_e32 v11, 19, v16
	v_subrev_u32_e32 v20, 28, v15
	v_and_b32_e32 v11, 15, v11
	v_lshlrev_b32_sdwa v20, v20, v16 dst_sel:DWORD dst_unused:UNUSED_PAD src0_sel:DWORD src1_sel:WORD_1
	v_bfe_u32 v14, v16, 19, 4
	v_sub_u32_e32 v15, 29, v15
	v_and_b32_e32 v20, 7, v20
	v_cmp_eq_u16_e32 vcc, 0, v11
	v_cndmask_b32_e32 v10, v10, v20, vcc
	v_cndmask_b32_e32 v11, v14, v15, vcc
	v_lshlrev_b32_e32 v14, 8, v16
	v_mov_b32_e32 v15, 0x3b800000
	v_lshlrev_b32_e32 v10, 20, v10
	v_and_b32_e32 v14, 0x80000000, v14
	v_lshl_add_u32 v11, v11, 23, v15
	v_or3_b32 v10, v14, v11, v10
.LBB55_596:
	s_or_b64 exec, exec, s[6:7]
	s_movk_i32 s4, 0xff
	v_and_b32_sdwa v11, v12, s4 dst_sel:DWORD dst_unused:UNUSED_PAD src0_sel:WORD_1 src1_sel:DWORD
	s_movk_i32 s4, 0x7f
	v_cmp_lt_i16_e32 vcc, s4, v11
	s_mov_b64 s[4:5], 0
                                        ; implicit-def: $sgpr10
	s_and_saveexec_b64 s[6:7], vcc
	s_xor_b64 s[6:7], exec, s[6:7]
	s_cbranch_execnz .LBB55_2645
; %bb.597:
	s_or_saveexec_b64 s[6:7], s[6:7]
	v_mov_b32_e32 v14, s10
	s_xor_b64 exec, exec, s[6:7]
	s_cbranch_execnz .LBB55_2648
.LBB55_598:
	s_or_b64 exec, exec, s[6:7]
	s_and_saveexec_b64 s[6:7], s[4:5]
	s_cbranch_execz .LBB55_600
.LBB55_599:
	v_bfe_u32 v11, v12, 16, 3
	v_ffbh_u32_e32 v20, v11
	v_min_u32_e32 v20, 32, v20
	v_lshrrev_b32_e32 v14, 19, v12
	v_subrev_u32_e32 v21, 28, v20
	v_and_b32_e32 v14, 15, v14
	v_lshlrev_b32_sdwa v21, v21, v12 dst_sel:DWORD dst_unused:UNUSED_PAD src0_sel:DWORD src1_sel:WORD_1
	v_bfe_u32 v15, v12, 19, 4
	v_sub_u32_e32 v20, 29, v20
	v_and_b32_e32 v21, 7, v21
	v_cmp_eq_u16_e32 vcc, 0, v14
	v_cndmask_b32_e32 v11, v11, v21, vcc
	v_cndmask_b32_e32 v14, v15, v20, vcc
	v_lshlrev_b32_e32 v15, 8, v12
	v_mov_b32_e32 v20, 0x3b800000
	v_lshlrev_b32_e32 v11, 20, v11
	v_and_b32_e32 v15, 0x80000000, v15
	v_lshl_add_u32 v14, v14, 23, v20
	v_or3_b32 v14, v15, v14, v11
.LBB55_600:
	s_or_b64 exec, exec, s[6:7]
	s_nop 0
	v_mfma_f32_16x16x4f32 a[0:3], v10, v14, a[0:3]
	s_movk_i32 s4, 0x7f
	v_cmp_gt_i16_sdwa s[6:7], v16, s4 src0_sel:BYTE_3 src1_sel:DWORD
	s_mov_b64 s[4:5], 0
                                        ; implicit-def: $sgpr10
	s_and_saveexec_b64 s[8:9], s[6:7]
	s_xor_b64 s[6:7], exec, s[8:9]
	s_cbranch_execnz .LBB55_2649
; %bb.601:
	s_or_saveexec_b64 s[6:7], s[6:7]
	v_mov_b32_e32 v10, s10
	s_xor_b64 exec, exec, s[6:7]
	s_cbranch_execnz .LBB55_2652
.LBB55_602:
	s_or_b64 exec, exec, s[6:7]
	s_and_saveexec_b64 s[6:7], s[4:5]
	s_cbranch_execz .LBB55_604
.LBB55_603:
	v_bfe_u32 v10, v16, 24, 3
	v_ffbh_u32_e32 v20, v10
	v_min_u32_e32 v20, 32, v20
	v_lshrrev_b32_e32 v14, 27, v16
	v_subrev_u32_e32 v21, 28, v20
	v_and_b32_e32 v11, 0x80000000, v16
	v_and_b32_e32 v14, 15, v14
	v_bfe_u32 v15, v16, 27, 4
	v_lshlrev_b32_sdwa v16, v21, v16 dst_sel:DWORD dst_unused:UNUSED_PAD src0_sel:DWORD src1_sel:BYTE_3
	v_sub_u32_e32 v20, 29, v20
	v_and_b32_e32 v16, 7, v16
	v_cmp_eq_u16_e32 vcc, 0, v14
	v_cndmask_b32_e32 v10, v10, v16, vcc
	v_cndmask_b32_e32 v14, v15, v20, vcc
	v_mov_b32_e32 v15, 0x3b800000
	v_lshlrev_b32_e32 v10, 20, v10
	v_lshl_add_u32 v14, v14, 23, v15
	v_or3_b32 v10, v11, v14, v10
.LBB55_604:
	s_or_b64 exec, exec, s[6:7]
	s_movk_i32 s4, 0x7f
	v_cmp_gt_i16_sdwa s[6:7], v12, s4 src0_sel:BYTE_3 src1_sel:DWORD
	s_mov_b64 s[4:5], 0
                                        ; implicit-def: $sgpr10
	s_and_saveexec_b64 s[8:9], s[6:7]
	s_xor_b64 s[6:7], exec, s[8:9]
	s_cbranch_execnz .LBB55_2653
; %bb.605:
	s_or_saveexec_b64 s[6:7], s[6:7]
	v_mov_b32_e32 v11, s10
	s_xor_b64 exec, exec, s[6:7]
	s_cbranch_execnz .LBB55_2656
.LBB55_606:
	s_or_b64 exec, exec, s[6:7]
	s_and_saveexec_b64 s[6:7], s[4:5]
	s_cbranch_execz .LBB55_608
.LBB55_607:
	v_bfe_u32 v11, v12, 24, 3
	v_ffbh_u32_e32 v20, v11
	v_min_u32_e32 v20, 32, v20
	v_lshrrev_b32_e32 v15, 27, v12
	v_subrev_u32_e32 v21, 28, v20
	v_and_b32_e32 v14, 0x80000000, v12
	v_and_b32_e32 v15, 15, v15
	v_bfe_u32 v16, v12, 27, 4
	v_lshlrev_b32_sdwa v12, v21, v12 dst_sel:DWORD dst_unused:UNUSED_PAD src0_sel:DWORD src1_sel:BYTE_3
	v_sub_u32_e32 v20, 29, v20
	v_and_b32_e32 v12, 7, v12
	v_cmp_eq_u16_e32 vcc, 0, v15
	v_cndmask_b32_e32 v11, v11, v12, vcc
	v_cndmask_b32_e32 v12, v16, v20, vcc
	v_mov_b32_e32 v15, 0x3b800000
	v_lshlrev_b32_e32 v11, 20, v11
	v_lshl_add_u32 v12, v12, 23, v15
	v_or3_b32 v11, v14, v12, v11
.LBB55_608:
	s_or_b64 exec, exec, s[6:7]
	s_nop 0
	v_mfma_f32_16x16x4f32 a[0:3], v10, v11, a[0:3]
	s_movk_i32 s4, 0x7f
	v_cmp_gt_i16_sdwa s[6:7], v17, s4 src0_sel:BYTE_0 src1_sel:DWORD
	s_mov_b64 s[4:5], 0
                                        ; implicit-def: $sgpr10
	s_and_saveexec_b64 s[8:9], s[6:7]
	s_xor_b64 s[6:7], exec, s[8:9]
	s_cbranch_execnz .LBB55_2657
; %bb.609:
	s_or_saveexec_b64 s[6:7], s[6:7]
	v_mov_b32_e32 v10, s10
	s_xor_b64 exec, exec, s[6:7]
	s_cbranch_execnz .LBB55_2660
.LBB55_610:
	s_or_b64 exec, exec, s[6:7]
	s_and_saveexec_b64 s[6:7], s[4:5]
	s_cbranch_execz .LBB55_612
.LBB55_611:
	v_and_b32_e32 v10, 7, v17
	v_ffbh_u32_e32 v12, v10
	v_min_u32_e32 v12, 32, v12
	v_lshrrev_b16_e32 v11, 3, v17
	v_subrev_u32_e32 v14, 28, v12
	v_and_b32_e32 v11, 15, v11
	v_lshlrev_b32_e32 v14, v14, v17
	v_sub_u32_e32 v12, 29, v12
	v_and_b32_e32 v14, 7, v14
	v_cmp_eq_u16_e32 vcc, 0, v11
	v_cndmask_b32_e32 v10, v10, v14, vcc
	v_cndmask_b32_e32 v11, v11, v12, vcc
	v_lshlrev_b32_e32 v12, 24, v17
	v_mov_b32_e32 v14, 0x3b800000
	v_lshlrev_b32_e32 v10, 20, v10
	v_and_b32_e32 v12, 0x80000000, v12
	v_lshl_add_u32 v11, v11, 23, v14
	v_or3_b32 v10, v12, v11, v10
.LBB55_612:
	s_or_b64 exec, exec, s[6:7]
	s_movk_i32 s4, 0x7f
	v_cmp_gt_i16_sdwa s[6:7], v13, s4 src0_sel:BYTE_0 src1_sel:DWORD
	s_mov_b64 s[4:5], 0
                                        ; implicit-def: $sgpr10
	s_and_saveexec_b64 s[8:9], s[6:7]
	s_xor_b64 s[6:7], exec, s[8:9]
	s_cbranch_execnz .LBB55_2661
; %bb.613:
	s_or_saveexec_b64 s[6:7], s[6:7]
	v_mov_b32_e32 v11, s10
	s_xor_b64 exec, exec, s[6:7]
	s_cbranch_execnz .LBB55_2664
.LBB55_614:
	s_or_b64 exec, exec, s[6:7]
	s_and_saveexec_b64 s[6:7], s[4:5]
	s_cbranch_execz .LBB55_616
.LBB55_615:
	v_and_b32_e32 v11, 7, v13
	v_ffbh_u32_e32 v14, v11
	v_min_u32_e32 v14, 32, v14
	v_lshrrev_b16_e32 v12, 3, v13
	v_subrev_u32_e32 v15, 28, v14
	v_and_b32_e32 v12, 15, v12
	v_lshlrev_b32_e32 v15, v15, v13
	v_sub_u32_e32 v14, 29, v14
	v_and_b32_e32 v15, 7, v15
	v_cmp_eq_u16_e32 vcc, 0, v12
	v_cndmask_b32_e32 v11, v11, v15, vcc
	v_cndmask_b32_e32 v12, v12, v14, vcc
	v_lshlrev_b32_e32 v14, 24, v13
	v_mov_b32_e32 v15, 0x3b800000
	v_lshlrev_b32_e32 v11, 20, v11
	v_and_b32_e32 v14, 0x80000000, v14
	v_lshl_add_u32 v12, v12, 23, v15
	v_or3_b32 v11, v14, v12, v11
.LBB55_616:
	s_or_b64 exec, exec, s[6:7]
	s_nop 0
	v_mfma_f32_16x16x4f32 a[0:3], v10, v11, a[0:3]
	v_lshrrev_b32_e32 v11, 8, v17
	s_movk_i32 s4, 0x7f
	v_cmp_gt_i16_sdwa s[6:7], v11, s4 src0_sel:BYTE_0 src1_sel:DWORD
	s_mov_b64 s[4:5], 0
                                        ; implicit-def: $sgpr10
	s_and_saveexec_b64 s[8:9], s[6:7]
	s_xor_b64 s[6:7], exec, s[8:9]
	s_cbranch_execnz .LBB55_2665
; %bb.617:
	s_or_saveexec_b64 s[6:7], s[6:7]
	v_mov_b32_e32 v10, s10
	s_xor_b64 exec, exec, s[6:7]
	s_cbranch_execnz .LBB55_2668
.LBB55_618:
	s_or_b64 exec, exec, s[6:7]
	s_and_saveexec_b64 s[6:7], s[4:5]
	s_cbranch_execz .LBB55_620
.LBB55_619:
	v_bfe_u32 v10, v17, 8, 3
	v_ffbh_u32_e32 v14, v10
	v_min_u32_e32 v14, 32, v14
	v_lshrrev_b16_e32 v12, 3, v11
	v_subrev_u32_e32 v15, 28, v14
	v_and_b32_e32 v12, 15, v12
	v_lshlrev_b32_e32 v11, v15, v11
	v_sub_u32_e32 v14, 29, v14
	v_and_b32_e32 v11, 7, v11
	v_cmp_eq_u16_e32 vcc, 0, v12
	v_cndmask_b32_e32 v10, v10, v11, vcc
	v_cndmask_b32_e32 v11, v12, v14, vcc
	v_lshlrev_b32_e32 v12, 16, v17
	v_mov_b32_e32 v14, 0x3b800000
	v_lshlrev_b32_e32 v10, 20, v10
	v_and_b32_e32 v12, 0x80000000, v12
	v_lshl_add_u32 v11, v11, 23, v14
	v_or3_b32 v10, v12, v11, v10
.LBB55_620:
	s_or_b64 exec, exec, s[6:7]
	v_lshrrev_b32_e32 v11, 8, v13
	s_movk_i32 s4, 0x7f
	v_cmp_gt_i16_sdwa s[6:7], v11, s4 src0_sel:BYTE_0 src1_sel:DWORD
	s_mov_b64 s[4:5], 0
                                        ; implicit-def: $sgpr10
	s_and_saveexec_b64 s[8:9], s[6:7]
	s_xor_b64 s[6:7], exec, s[8:9]
	s_cbranch_execnz .LBB55_2669
; %bb.621:
	s_or_saveexec_b64 s[6:7], s[6:7]
	v_mov_b32_e32 v12, s10
	s_xor_b64 exec, exec, s[6:7]
	s_cbranch_execnz .LBB55_2672
.LBB55_622:
	s_or_b64 exec, exec, s[6:7]
	s_and_saveexec_b64 s[6:7], s[4:5]
	s_cbranch_execz .LBB55_624
.LBB55_623:
	v_bfe_u32 v12, v13, 8, 3
	v_ffbh_u32_e32 v15, v12
	v_min_u32_e32 v15, 32, v15
	v_lshrrev_b16_e32 v14, 3, v11
	v_subrev_u32_e32 v16, 28, v15
	v_and_b32_e32 v14, 15, v14
	v_lshlrev_b32_e32 v11, v16, v11
	v_sub_u32_e32 v15, 29, v15
	v_and_b32_e32 v11, 7, v11
	v_cmp_eq_u16_e32 vcc, 0, v14
	v_cndmask_b32_e32 v11, v12, v11, vcc
	v_cndmask_b32_e32 v12, v14, v15, vcc
	v_lshlrev_b32_e32 v14, 16, v13
	v_mov_b32_e32 v15, 0x3b800000
	v_lshlrev_b32_e32 v11, 20, v11
	v_and_b32_e32 v14, 0x80000000, v14
	v_lshl_add_u32 v12, v12, 23, v15
	v_or3_b32 v12, v14, v12, v11
.LBB55_624:
	s_or_b64 exec, exec, s[6:7]
	s_nop 0
	v_mfma_f32_16x16x4f32 a[0:3], v10, v12, a[0:3]
	s_movk_i32 s4, 0xff
	v_and_b32_sdwa v11, v17, s4 dst_sel:DWORD dst_unused:UNUSED_PAD src0_sel:WORD_1 src1_sel:DWORD
	s_movk_i32 s4, 0x7f
	v_cmp_lt_i16_e32 vcc, s4, v11
	s_mov_b64 s[4:5], 0
                                        ; implicit-def: $sgpr10
	s_and_saveexec_b64 s[6:7], vcc
	s_xor_b64 s[6:7], exec, s[6:7]
	s_cbranch_execnz .LBB55_2673
; %bb.625:
	s_or_saveexec_b64 s[6:7], s[6:7]
	v_mov_b32_e32 v10, s10
	s_xor_b64 exec, exec, s[6:7]
	s_cbranch_execnz .LBB55_2676
.LBB55_626:
	s_or_b64 exec, exec, s[6:7]
	s_and_saveexec_b64 s[6:7], s[4:5]
	s_cbranch_execz .LBB55_628
.LBB55_627:
	v_bfe_u32 v10, v17, 16, 3
	v_ffbh_u32_e32 v14, v10
	v_min_u32_e32 v14, 32, v14
	v_lshrrev_b32_e32 v11, 19, v17
	v_subrev_u32_e32 v15, 28, v14
	v_and_b32_e32 v11, 15, v11
	v_lshlrev_b32_sdwa v15, v15, v17 dst_sel:DWORD dst_unused:UNUSED_PAD src0_sel:DWORD src1_sel:WORD_1
	v_bfe_u32 v12, v17, 19, 4
	v_sub_u32_e32 v14, 29, v14
	v_and_b32_e32 v15, 7, v15
	v_cmp_eq_u16_e32 vcc, 0, v11
	v_cndmask_b32_e32 v10, v10, v15, vcc
	v_cndmask_b32_e32 v11, v12, v14, vcc
	v_lshlrev_b32_e32 v12, 8, v17
	v_mov_b32_e32 v14, 0x3b800000
	v_lshlrev_b32_e32 v10, 20, v10
	v_and_b32_e32 v12, 0x80000000, v12
	v_lshl_add_u32 v11, v11, 23, v14
	v_or3_b32 v10, v12, v11, v10
.LBB55_628:
	s_or_b64 exec, exec, s[6:7]
	s_movk_i32 s4, 0xff
	v_and_b32_sdwa v11, v13, s4 dst_sel:DWORD dst_unused:UNUSED_PAD src0_sel:WORD_1 src1_sel:DWORD
	s_movk_i32 s4, 0x7f
	v_cmp_lt_i16_e32 vcc, s4, v11
	s_mov_b64 s[4:5], 0
                                        ; implicit-def: $sgpr10
	s_and_saveexec_b64 s[6:7], vcc
	s_xor_b64 s[6:7], exec, s[6:7]
	s_cbranch_execnz .LBB55_2677
; %bb.629:
	s_or_saveexec_b64 s[6:7], s[6:7]
	v_mov_b32_e32 v12, s10
	s_xor_b64 exec, exec, s[6:7]
	s_cbranch_execnz .LBB55_2680
.LBB55_630:
	s_or_b64 exec, exec, s[6:7]
	s_and_saveexec_b64 s[6:7], s[4:5]
	s_cbranch_execz .LBB55_632
.LBB55_631:
	v_bfe_u32 v11, v13, 16, 3
	v_ffbh_u32_e32 v15, v11
	v_min_u32_e32 v15, 32, v15
	v_lshrrev_b32_e32 v12, 19, v13
	v_subrev_u32_e32 v16, 28, v15
	v_and_b32_e32 v12, 15, v12
	v_lshlrev_b32_sdwa v16, v16, v13 dst_sel:DWORD dst_unused:UNUSED_PAD src0_sel:DWORD src1_sel:WORD_1
	v_bfe_u32 v14, v13, 19, 4
	v_sub_u32_e32 v15, 29, v15
	v_and_b32_e32 v16, 7, v16
	v_cmp_eq_u16_e32 vcc, 0, v12
	v_cndmask_b32_e32 v11, v11, v16, vcc
	v_cndmask_b32_e32 v12, v14, v15, vcc
	v_lshlrev_b32_e32 v14, 8, v13
	v_mov_b32_e32 v15, 0x3b800000
	v_lshlrev_b32_e32 v11, 20, v11
	v_and_b32_e32 v14, 0x80000000, v14
	v_lshl_add_u32 v12, v12, 23, v15
	v_or3_b32 v12, v14, v12, v11
.LBB55_632:
	s_or_b64 exec, exec, s[6:7]
	s_nop 0
	v_mfma_f32_16x16x4f32 a[0:3], v10, v12, a[0:3]
	s_movk_i32 s4, 0x7f
	v_cmp_gt_i16_sdwa s[6:7], v17, s4 src0_sel:BYTE_3 src1_sel:DWORD
	s_mov_b64 s[4:5], 0
                                        ; implicit-def: $sgpr10
	s_and_saveexec_b64 s[8:9], s[6:7]
	s_xor_b64 s[6:7], exec, s[8:9]
	s_cbranch_execnz .LBB55_2681
; %bb.633:
	s_or_saveexec_b64 s[6:7], s[6:7]
	v_mov_b32_e32 v10, s10
	s_xor_b64 exec, exec, s[6:7]
	s_cbranch_execnz .LBB55_2684
.LBB55_634:
	s_or_b64 exec, exec, s[6:7]
	s_and_saveexec_b64 s[6:7], s[4:5]
	s_cbranch_execz .LBB55_636
.LBB55_635:
	v_bfe_u32 v10, v17, 24, 3
	v_ffbh_u32_e32 v15, v10
	v_min_u32_e32 v15, 32, v15
	v_lshrrev_b32_e32 v12, 27, v17
	v_subrev_u32_e32 v16, 28, v15
	v_and_b32_e32 v12, 15, v12
	v_lshlrev_b32_sdwa v16, v16, v17 dst_sel:DWORD dst_unused:UNUSED_PAD src0_sel:DWORD src1_sel:BYTE_3
	v_bfe_u32 v14, v17, 27, 4
	v_sub_u32_e32 v15, 29, v15
	v_and_b32_e32 v16, 7, v16
	v_cmp_eq_u16_e32 vcc, 0, v12
	v_cndmask_b32_e32 v10, v10, v16, vcc
	v_cndmask_b32_e32 v12, v14, v15, vcc
	v_mov_b32_e32 v14, 0x3b800000
	v_and_b32_e32 v11, 0x80000000, v17
	v_lshlrev_b32_e32 v10, 20, v10
	v_lshl_add_u32 v12, v12, 23, v14
	v_or3_b32 v10, v11, v12, v10
.LBB55_636:
	s_or_b64 exec, exec, s[6:7]
	s_movk_i32 s4, 0x7f
	v_cmp_gt_i16_sdwa s[6:7], v13, s4 src0_sel:BYTE_3 src1_sel:DWORD
	s_mov_b64 s[4:5], 0
                                        ; implicit-def: $sgpr10
	s_and_saveexec_b64 s[8:9], s[6:7]
	s_xor_b64 s[6:7], exec, s[8:9]
	s_cbranch_execnz .LBB55_2685
; %bb.637:
	s_or_saveexec_b64 s[6:7], s[6:7]
	v_mov_b32_e32 v11, s10
	s_xor_b64 exec, exec, s[6:7]
	s_cbranch_execnz .LBB55_2688
.LBB55_638:
	s_or_b64 exec, exec, s[6:7]
	s_and_saveexec_b64 s[6:7], s[4:5]
	s_cbranch_execz .LBB55_640
.LBB55_639:
	v_bfe_u32 v11, v13, 24, 3
	v_ffbh_u32_e32 v16, v11
	v_min_u32_e32 v16, 32, v16
	v_lshrrev_b32_e32 v14, 27, v13
	v_subrev_u32_e32 v17, 28, v16
	v_and_b32_e32 v12, 0x80000000, v13
	v_and_b32_e32 v14, 15, v14
	v_bfe_u32 v15, v13, 27, 4
	v_lshlrev_b32_sdwa v13, v17, v13 dst_sel:DWORD dst_unused:UNUSED_PAD src0_sel:DWORD src1_sel:BYTE_3
	v_sub_u32_e32 v16, 29, v16
	v_and_b32_e32 v13, 7, v13
	v_cmp_eq_u16_e32 vcc, 0, v14
	v_cndmask_b32_e32 v11, v11, v13, vcc
	v_cndmask_b32_e32 v13, v15, v16, vcc
	v_mov_b32_e32 v14, 0x3b800000
	v_lshlrev_b32_e32 v11, 20, v11
	v_lshl_add_u32 v13, v13, 23, v14
	v_or3_b32 v11, v12, v13, v11
.LBB55_640:
	s_or_b64 exec, exec, s[6:7]
	s_nop 0
	v_mfma_f32_16x16x4f32 a[0:3], v10, v11, a[0:3]
	s_movk_i32 s4, 0x7f
	v_cmp_gt_i16_sdwa s[6:7], v6, s4 src0_sel:BYTE_0 src1_sel:DWORD
	s_mov_b64 s[4:5], 0
                                        ; implicit-def: $sgpr10
	s_and_saveexec_b64 s[8:9], s[6:7]
	s_xor_b64 s[6:7], exec, s[8:9]
	s_cbranch_execnz .LBB55_2689
; %bb.641:
	s_or_saveexec_b64 s[6:7], s[6:7]
	v_mov_b32_e32 v10, s10
	s_xor_b64 exec, exec, s[6:7]
	s_cbranch_execnz .LBB55_2692
.LBB55_642:
	s_or_b64 exec, exec, s[6:7]
	s_and_saveexec_b64 s[6:7], s[4:5]
	s_cbranch_execz .LBB55_644
.LBB55_643:
	v_and_b32_e32 v10, 7, v6
	v_ffbh_u32_e32 v12, v10
	v_min_u32_e32 v12, 32, v12
	v_lshrrev_b16_e32 v11, 3, v6
	v_subrev_u32_e32 v13, 28, v12
	v_and_b32_e32 v11, 15, v11
	v_lshlrev_b32_e32 v13, v13, v6
	v_sub_u32_e32 v12, 29, v12
	v_and_b32_e32 v13, 7, v13
	v_cmp_eq_u16_e32 vcc, 0, v11
	v_cndmask_b32_e32 v10, v10, v13, vcc
	v_cndmask_b32_e32 v11, v11, v12, vcc
	v_lshlrev_b32_e32 v12, 24, v6
	v_mov_b32_e32 v13, 0x3b800000
	v_lshlrev_b32_e32 v10, 20, v10
	v_and_b32_e32 v12, 0x80000000, v12
	v_lshl_add_u32 v11, v11, 23, v13
	v_or3_b32 v10, v12, v11, v10
.LBB55_644:
	s_or_b64 exec, exec, s[6:7]
	s_movk_i32 s4, 0x7f
	v_cmp_gt_i16_sdwa s[6:7], v2, s4 src0_sel:BYTE_0 src1_sel:DWORD
	s_mov_b64 s[4:5], 0
                                        ; implicit-def: $sgpr10
	s_and_saveexec_b64 s[8:9], s[6:7]
	s_xor_b64 s[6:7], exec, s[8:9]
	s_cbranch_execnz .LBB55_2693
; %bb.645:
	s_or_saveexec_b64 s[6:7], s[6:7]
	v_mov_b32_e32 v11, s10
	s_xor_b64 exec, exec, s[6:7]
	s_cbranch_execnz .LBB55_2696
.LBB55_646:
	s_or_b64 exec, exec, s[6:7]
	s_and_saveexec_b64 s[6:7], s[4:5]
	s_cbranch_execz .LBB55_648
.LBB55_647:
	v_and_b32_e32 v11, 7, v2
	v_ffbh_u32_e32 v13, v11
	v_min_u32_e32 v13, 32, v13
	v_lshrrev_b16_e32 v12, 3, v2
	v_subrev_u32_e32 v14, 28, v13
	v_and_b32_e32 v12, 15, v12
	v_lshlrev_b32_e32 v14, v14, v2
	v_sub_u32_e32 v13, 29, v13
	v_and_b32_e32 v14, 7, v14
	v_cmp_eq_u16_e32 vcc, 0, v12
	v_cndmask_b32_e32 v11, v11, v14, vcc
	v_cndmask_b32_e32 v12, v12, v13, vcc
	v_lshlrev_b32_e32 v13, 24, v2
	v_mov_b32_e32 v14, 0x3b800000
	v_lshlrev_b32_e32 v11, 20, v11
	v_and_b32_e32 v13, 0x80000000, v13
	v_lshl_add_u32 v12, v12, 23, v14
	v_or3_b32 v11, v13, v12, v11
.LBB55_648:
	s_or_b64 exec, exec, s[6:7]
	s_nop 0
	v_mfma_f32_16x16x4f32 a[0:3], v10, v11, a[0:3]
	v_lshrrev_b32_e32 v11, 8, v6
	s_movk_i32 s4, 0x7f
	v_cmp_gt_i16_sdwa s[6:7], v11, s4 src0_sel:BYTE_0 src1_sel:DWORD
	s_mov_b64 s[4:5], 0
                                        ; implicit-def: $sgpr10
	s_and_saveexec_b64 s[8:9], s[6:7]
	s_xor_b64 s[6:7], exec, s[8:9]
	s_cbranch_execnz .LBB55_2697
; %bb.649:
	s_or_saveexec_b64 s[6:7], s[6:7]
	v_mov_b32_e32 v10, s10
	s_xor_b64 exec, exec, s[6:7]
	s_cbranch_execnz .LBB55_2700
.LBB55_650:
	s_or_b64 exec, exec, s[6:7]
	s_and_saveexec_b64 s[6:7], s[4:5]
	s_cbranch_execz .LBB55_652
.LBB55_651:
	v_bfe_u32 v10, v6, 8, 3
	v_ffbh_u32_e32 v13, v10
	v_min_u32_e32 v13, 32, v13
	v_lshrrev_b16_e32 v12, 3, v11
	v_subrev_u32_e32 v14, 28, v13
	v_and_b32_e32 v12, 15, v12
	v_lshlrev_b32_e32 v11, v14, v11
	v_sub_u32_e32 v13, 29, v13
	v_and_b32_e32 v11, 7, v11
	v_cmp_eq_u16_e32 vcc, 0, v12
	v_cndmask_b32_e32 v10, v10, v11, vcc
	v_cndmask_b32_e32 v11, v12, v13, vcc
	v_lshlrev_b32_e32 v12, 16, v6
	v_mov_b32_e32 v13, 0x3b800000
	v_lshlrev_b32_e32 v10, 20, v10
	v_and_b32_e32 v12, 0x80000000, v12
	v_lshl_add_u32 v11, v11, 23, v13
	v_or3_b32 v10, v12, v11, v10
.LBB55_652:
	s_or_b64 exec, exec, s[6:7]
	v_lshrrev_b32_e32 v11, 8, v2
	s_movk_i32 s4, 0x7f
	v_cmp_gt_i16_sdwa s[6:7], v11, s4 src0_sel:BYTE_0 src1_sel:DWORD
	s_mov_b64 s[4:5], 0
                                        ; implicit-def: $sgpr10
	s_and_saveexec_b64 s[8:9], s[6:7]
	s_xor_b64 s[6:7], exec, s[8:9]
	s_cbranch_execnz .LBB55_2701
; %bb.653:
	s_or_saveexec_b64 s[6:7], s[6:7]
	v_mov_b32_e32 v12, s10
	s_xor_b64 exec, exec, s[6:7]
	s_cbranch_execnz .LBB55_2704
.LBB55_654:
	s_or_b64 exec, exec, s[6:7]
	s_and_saveexec_b64 s[6:7], s[4:5]
	s_cbranch_execz .LBB55_656
.LBB55_655:
	v_bfe_u32 v12, v2, 8, 3
	v_ffbh_u32_e32 v14, v12
	v_min_u32_e32 v14, 32, v14
	v_lshrrev_b16_e32 v13, 3, v11
	v_subrev_u32_e32 v15, 28, v14
	v_and_b32_e32 v13, 15, v13
	v_lshlrev_b32_e32 v11, v15, v11
	v_sub_u32_e32 v14, 29, v14
	v_and_b32_e32 v11, 7, v11
	v_cmp_eq_u16_e32 vcc, 0, v13
	v_cndmask_b32_e32 v11, v12, v11, vcc
	v_cndmask_b32_e32 v12, v13, v14, vcc
	v_lshlrev_b32_e32 v13, 16, v2
	v_mov_b32_e32 v14, 0x3b800000
	v_lshlrev_b32_e32 v11, 20, v11
	v_and_b32_e32 v13, 0x80000000, v13
	v_lshl_add_u32 v12, v12, 23, v14
	v_or3_b32 v12, v13, v12, v11
.LBB55_656:
	s_or_b64 exec, exec, s[6:7]
	s_nop 0
	v_mfma_f32_16x16x4f32 a[0:3], v10, v12, a[0:3]
	s_movk_i32 s4, 0xff
	v_and_b32_sdwa v11, v6, s4 dst_sel:DWORD dst_unused:UNUSED_PAD src0_sel:WORD_1 src1_sel:DWORD
	s_movk_i32 s4, 0x7f
	v_cmp_lt_i16_e32 vcc, s4, v11
	s_mov_b64 s[4:5], 0
                                        ; implicit-def: $sgpr10
	s_and_saveexec_b64 s[6:7], vcc
	s_xor_b64 s[6:7], exec, s[6:7]
	s_cbranch_execnz .LBB55_2705
; %bb.657:
	s_or_saveexec_b64 s[6:7], s[6:7]
	v_mov_b32_e32 v10, s10
	s_xor_b64 exec, exec, s[6:7]
	s_cbranch_execnz .LBB55_2708
.LBB55_658:
	s_or_b64 exec, exec, s[6:7]
	s_and_saveexec_b64 s[6:7], s[4:5]
	s_cbranch_execz .LBB55_660
.LBB55_659:
	v_bfe_u32 v10, v6, 16, 3
	v_ffbh_u32_e32 v13, v10
	v_min_u32_e32 v13, 32, v13
	v_lshrrev_b32_e32 v11, 19, v6
	v_subrev_u32_e32 v14, 28, v13
	v_and_b32_e32 v11, 15, v11
	v_lshlrev_b32_sdwa v14, v14, v6 dst_sel:DWORD dst_unused:UNUSED_PAD src0_sel:DWORD src1_sel:WORD_1
	v_bfe_u32 v12, v6, 19, 4
	v_sub_u32_e32 v13, 29, v13
	v_and_b32_e32 v14, 7, v14
	v_cmp_eq_u16_e32 vcc, 0, v11
	v_cndmask_b32_e32 v10, v10, v14, vcc
	v_cndmask_b32_e32 v11, v12, v13, vcc
	v_lshlrev_b32_e32 v12, 8, v6
	v_mov_b32_e32 v13, 0x3b800000
	v_lshlrev_b32_e32 v10, 20, v10
	v_and_b32_e32 v12, 0x80000000, v12
	v_lshl_add_u32 v11, v11, 23, v13
	v_or3_b32 v10, v12, v11, v10
.LBB55_660:
	s_or_b64 exec, exec, s[6:7]
	s_movk_i32 s4, 0xff
	v_and_b32_sdwa v11, v2, s4 dst_sel:DWORD dst_unused:UNUSED_PAD src0_sel:WORD_1 src1_sel:DWORD
	s_movk_i32 s4, 0x7f
	v_cmp_lt_i16_e32 vcc, s4, v11
	s_mov_b64 s[4:5], 0
                                        ; implicit-def: $sgpr10
	s_and_saveexec_b64 s[6:7], vcc
	s_xor_b64 s[6:7], exec, s[6:7]
	s_cbranch_execnz .LBB55_2709
; %bb.661:
	s_or_saveexec_b64 s[6:7], s[6:7]
	v_mov_b32_e32 v12, s10
	s_xor_b64 exec, exec, s[6:7]
	s_cbranch_execnz .LBB55_2712
.LBB55_662:
	s_or_b64 exec, exec, s[6:7]
	s_and_saveexec_b64 s[6:7], s[4:5]
	s_cbranch_execz .LBB55_664
.LBB55_663:
	v_bfe_u32 v11, v2, 16, 3
	v_ffbh_u32_e32 v14, v11
	v_min_u32_e32 v14, 32, v14
	v_lshrrev_b32_e32 v12, 19, v2
	v_subrev_u32_e32 v15, 28, v14
	v_and_b32_e32 v12, 15, v12
	v_lshlrev_b32_sdwa v15, v15, v2 dst_sel:DWORD dst_unused:UNUSED_PAD src0_sel:DWORD src1_sel:WORD_1
	v_bfe_u32 v13, v2, 19, 4
	v_sub_u32_e32 v14, 29, v14
	v_and_b32_e32 v15, 7, v15
	v_cmp_eq_u16_e32 vcc, 0, v12
	v_cndmask_b32_e32 v11, v11, v15, vcc
	v_cndmask_b32_e32 v12, v13, v14, vcc
	v_lshlrev_b32_e32 v13, 8, v2
	v_mov_b32_e32 v14, 0x3b800000
	v_lshlrev_b32_e32 v11, 20, v11
	v_and_b32_e32 v13, 0x80000000, v13
	v_lshl_add_u32 v12, v12, 23, v14
	v_or3_b32 v12, v13, v12, v11
.LBB55_664:
	s_or_b64 exec, exec, s[6:7]
	s_nop 0
	v_mfma_f32_16x16x4f32 a[0:3], v10, v12, a[0:3]
	s_movk_i32 s4, 0x7f
	v_cmp_gt_i16_sdwa s[6:7], v6, s4 src0_sel:BYTE_3 src1_sel:DWORD
	s_mov_b64 s[4:5], 0
                                        ; implicit-def: $sgpr10
	s_and_saveexec_b64 s[8:9], s[6:7]
	s_xor_b64 s[6:7], exec, s[8:9]
	s_cbranch_execnz .LBB55_2713
; %bb.665:
	s_or_saveexec_b64 s[6:7], s[6:7]
	v_mov_b32_e32 v10, s10
	s_xor_b64 exec, exec, s[6:7]
	s_cbranch_execnz .LBB55_2716
.LBB55_666:
	s_or_b64 exec, exec, s[6:7]
	s_and_saveexec_b64 s[6:7], s[4:5]
	s_cbranch_execz .LBB55_668
.LBB55_667:
	v_bfe_u32 v10, v6, 24, 3
	v_ffbh_u32_e32 v14, v10
	v_min_u32_e32 v14, 32, v14
	v_lshrrev_b32_e32 v12, 27, v6
	v_subrev_u32_e32 v15, 28, v14
	v_and_b32_e32 v11, 0x80000000, v6
	v_and_b32_e32 v12, 15, v12
	v_bfe_u32 v13, v6, 27, 4
	v_lshlrev_b32_sdwa v6, v15, v6 dst_sel:DWORD dst_unused:UNUSED_PAD src0_sel:DWORD src1_sel:BYTE_3
	v_sub_u32_e32 v14, 29, v14
	v_and_b32_e32 v6, 7, v6
	v_cmp_eq_u16_e32 vcc, 0, v12
	v_cndmask_b32_e32 v6, v10, v6, vcc
	v_cndmask_b32_e32 v10, v13, v14, vcc
	v_mov_b32_e32 v12, 0x3b800000
	v_lshlrev_b32_e32 v6, 20, v6
	v_lshl_add_u32 v10, v10, 23, v12
	v_or3_b32 v10, v11, v10, v6
.LBB55_668:
	s_or_b64 exec, exec, s[6:7]
	s_movk_i32 s4, 0x7f
	v_cmp_gt_i16_sdwa s[6:7], v2, s4 src0_sel:BYTE_3 src1_sel:DWORD
	s_mov_b64 s[4:5], 0
                                        ; implicit-def: $sgpr10
	s_and_saveexec_b64 s[8:9], s[6:7]
	s_xor_b64 s[6:7], exec, s[8:9]
	s_cbranch_execnz .LBB55_2717
; %bb.669:
	s_or_saveexec_b64 s[6:7], s[6:7]
	v_mov_b32_e32 v6, s10
	s_xor_b64 exec, exec, s[6:7]
	s_cbranch_execnz .LBB55_2720
.LBB55_670:
	s_or_b64 exec, exec, s[6:7]
	s_and_saveexec_b64 s[6:7], s[4:5]
	s_cbranch_execz .LBB55_672
.LBB55_671:
	v_bfe_u32 v6, v2, 24, 3
	v_ffbh_u32_e32 v14, v6
	v_min_u32_e32 v14, 32, v14
	v_lshrrev_b32_e32 v12, 27, v2
	v_subrev_u32_e32 v15, 28, v14
	v_and_b32_e32 v11, 0x80000000, v2
	v_and_b32_e32 v12, 15, v12
	v_bfe_u32 v13, v2, 27, 4
	v_lshlrev_b32_sdwa v2, v15, v2 dst_sel:DWORD dst_unused:UNUSED_PAD src0_sel:DWORD src1_sel:BYTE_3
	v_sub_u32_e32 v14, 29, v14
	v_and_b32_e32 v2, 7, v2
	v_cmp_eq_u16_e32 vcc, 0, v12
	v_cndmask_b32_e32 v2, v6, v2, vcc
	v_cndmask_b32_e32 v6, v13, v14, vcc
	v_mov_b32_e32 v12, 0x3b800000
	v_lshlrev_b32_e32 v2, 20, v2
	v_lshl_add_u32 v6, v6, 23, v12
	v_or3_b32 v6, v11, v6, v2
.LBB55_672:
	s_or_b64 exec, exec, s[6:7]
	s_nop 0
	v_mfma_f32_16x16x4f32 a[0:3], v10, v6, a[0:3]
	s_movk_i32 s4, 0x7f
	v_cmp_gt_i16_sdwa s[6:7], v7, s4 src0_sel:BYTE_0 src1_sel:DWORD
	s_mov_b64 s[4:5], 0
                                        ; implicit-def: $sgpr10
	s_and_saveexec_b64 s[8:9], s[6:7]
	s_xor_b64 s[6:7], exec, s[8:9]
	s_cbranch_execnz .LBB55_2721
; %bb.673:
	s_or_saveexec_b64 s[6:7], s[6:7]
	v_mov_b32_e32 v2, s10
	s_xor_b64 exec, exec, s[6:7]
	s_cbranch_execnz .LBB55_2724
.LBB55_674:
	s_or_b64 exec, exec, s[6:7]
	s_and_saveexec_b64 s[6:7], s[4:5]
	s_cbranch_execz .LBB55_676
.LBB55_675:
	v_and_b32_e32 v2, 7, v7
	v_ffbh_u32_e32 v10, v2
	v_min_u32_e32 v10, 32, v10
	v_lshrrev_b16_e32 v6, 3, v7
	v_subrev_u32_e32 v11, 28, v10
	v_and_b32_e32 v6, 15, v6
	v_lshlrev_b32_e32 v11, v11, v7
	v_sub_u32_e32 v10, 29, v10
	v_and_b32_e32 v11, 7, v11
	v_cmp_eq_u16_e32 vcc, 0, v6
	v_cndmask_b32_e32 v2, v2, v11, vcc
	v_cndmask_b32_e32 v6, v6, v10, vcc
	v_lshlrev_b32_e32 v10, 24, v7
	v_mov_b32_e32 v11, 0x3b800000
	v_lshlrev_b32_e32 v2, 20, v2
	v_and_b32_e32 v10, 0x80000000, v10
	v_lshl_add_u32 v6, v6, 23, v11
	v_or3_b32 v2, v10, v6, v2
.LBB55_676:
	s_or_b64 exec, exec, s[6:7]
	s_movk_i32 s4, 0x7f
	v_cmp_gt_i16_sdwa s[6:7], v3, s4 src0_sel:BYTE_0 src1_sel:DWORD
	s_mov_b64 s[4:5], 0
                                        ; implicit-def: $sgpr10
	s_and_saveexec_b64 s[8:9], s[6:7]
	s_xor_b64 s[6:7], exec, s[8:9]
	s_cbranch_execnz .LBB55_2725
; %bb.677:
	s_or_saveexec_b64 s[6:7], s[6:7]
	v_mov_b32_e32 v6, s10
	s_xor_b64 exec, exec, s[6:7]
	s_cbranch_execnz .LBB55_2728
.LBB55_678:
	s_or_b64 exec, exec, s[6:7]
	s_and_saveexec_b64 s[6:7], s[4:5]
	s_cbranch_execz .LBB55_680
.LBB55_679:
	v_and_b32_e32 v6, 7, v3
	v_ffbh_u32_e32 v11, v6
	v_min_u32_e32 v11, 32, v11
	v_lshrrev_b16_e32 v10, 3, v3
	v_subrev_u32_e32 v12, 28, v11
	v_and_b32_e32 v10, 15, v10
	v_lshlrev_b32_e32 v12, v12, v3
	v_sub_u32_e32 v11, 29, v11
	v_and_b32_e32 v12, 7, v12
	v_cmp_eq_u16_e32 vcc, 0, v10
	v_cndmask_b32_e32 v6, v6, v12, vcc
	v_cndmask_b32_e32 v10, v10, v11, vcc
	v_lshlrev_b32_e32 v11, 24, v3
	v_mov_b32_e32 v12, 0x3b800000
	v_lshlrev_b32_e32 v6, 20, v6
	v_and_b32_e32 v11, 0x80000000, v11
	v_lshl_add_u32 v10, v10, 23, v12
	v_or3_b32 v6, v11, v10, v6
.LBB55_680:
	s_or_b64 exec, exec, s[6:7]
	s_nop 0
	v_mfma_f32_16x16x4f32 a[0:3], v2, v6, a[0:3]
	v_lshrrev_b32_e32 v6, 8, v7
	s_movk_i32 s4, 0x7f
	v_cmp_gt_i16_sdwa s[6:7], v6, s4 src0_sel:BYTE_0 src1_sel:DWORD
	s_mov_b64 s[4:5], 0
                                        ; implicit-def: $sgpr10
	s_and_saveexec_b64 s[8:9], s[6:7]
	s_xor_b64 s[6:7], exec, s[8:9]
	s_cbranch_execnz .LBB55_2729
; %bb.681:
	s_or_saveexec_b64 s[6:7], s[6:7]
	v_mov_b32_e32 v2, s10
	s_xor_b64 exec, exec, s[6:7]
	s_cbranch_execnz .LBB55_2732
.LBB55_682:
	s_or_b64 exec, exec, s[6:7]
	s_and_saveexec_b64 s[6:7], s[4:5]
	s_cbranch_execz .LBB55_684
.LBB55_683:
	v_bfe_u32 v2, v7, 8, 3
	v_ffbh_u32_e32 v11, v2
	v_min_u32_e32 v11, 32, v11
	v_lshrrev_b16_e32 v10, 3, v6
	v_subrev_u32_e32 v12, 28, v11
	v_and_b32_e32 v10, 15, v10
	v_lshlrev_b32_e32 v6, v12, v6
	v_sub_u32_e32 v11, 29, v11
	v_and_b32_e32 v6, 7, v6
	v_cmp_eq_u16_e32 vcc, 0, v10
	v_cndmask_b32_e32 v2, v2, v6, vcc
	v_cndmask_b32_e32 v6, v10, v11, vcc
	v_lshlrev_b32_e32 v10, 16, v7
	v_mov_b32_e32 v11, 0x3b800000
	v_lshlrev_b32_e32 v2, 20, v2
	v_and_b32_e32 v10, 0x80000000, v10
	v_lshl_add_u32 v6, v6, 23, v11
	v_or3_b32 v2, v10, v6, v2
.LBB55_684:
	s_or_b64 exec, exec, s[6:7]
	v_lshrrev_b32_e32 v6, 8, v3
	s_movk_i32 s4, 0x7f
	v_cmp_gt_i16_sdwa s[6:7], v6, s4 src0_sel:BYTE_0 src1_sel:DWORD
	s_mov_b64 s[4:5], 0
                                        ; implicit-def: $sgpr10
	s_and_saveexec_b64 s[8:9], s[6:7]
	s_xor_b64 s[6:7], exec, s[8:9]
	s_cbranch_execnz .LBB55_2733
; %bb.685:
	s_or_saveexec_b64 s[6:7], s[6:7]
	v_mov_b32_e32 v10, s10
	s_xor_b64 exec, exec, s[6:7]
	s_cbranch_execnz .LBB55_2736
.LBB55_686:
	s_or_b64 exec, exec, s[6:7]
	s_and_saveexec_b64 s[6:7], s[4:5]
	s_cbranch_execz .LBB55_688
.LBB55_687:
	v_bfe_u32 v10, v3, 8, 3
	v_ffbh_u32_e32 v12, v10
	v_min_u32_e32 v12, 32, v12
	v_lshrrev_b16_e32 v11, 3, v6
	v_subrev_u32_e32 v13, 28, v12
	v_and_b32_e32 v11, 15, v11
	v_lshlrev_b32_e32 v6, v13, v6
	v_sub_u32_e32 v12, 29, v12
	v_and_b32_e32 v6, 7, v6
	v_cmp_eq_u16_e32 vcc, 0, v11
	v_cndmask_b32_e32 v6, v10, v6, vcc
	v_cndmask_b32_e32 v10, v11, v12, vcc
	v_lshlrev_b32_e32 v11, 16, v3
	v_mov_b32_e32 v12, 0x3b800000
	v_lshlrev_b32_e32 v6, 20, v6
	v_and_b32_e32 v11, 0x80000000, v11
	v_lshl_add_u32 v10, v10, 23, v12
	v_or3_b32 v10, v11, v10, v6
.LBB55_688:
	s_or_b64 exec, exec, s[6:7]
	s_nop 0
	v_mfma_f32_16x16x4f32 a[0:3], v2, v10, a[0:3]
	s_movk_i32 s4, 0xff
	v_and_b32_sdwa v6, v7, s4 dst_sel:DWORD dst_unused:UNUSED_PAD src0_sel:WORD_1 src1_sel:DWORD
	s_movk_i32 s4, 0x7f
	v_cmp_lt_i16_e32 vcc, s4, v6
	s_mov_b64 s[4:5], 0
                                        ; implicit-def: $sgpr10
	s_and_saveexec_b64 s[6:7], vcc
	s_xor_b64 s[6:7], exec, s[6:7]
	s_cbranch_execnz .LBB55_2737
; %bb.689:
	s_or_saveexec_b64 s[6:7], s[6:7]
	v_mov_b32_e32 v2, s10
	s_xor_b64 exec, exec, s[6:7]
	s_cbranch_execnz .LBB55_2740
.LBB55_690:
	s_or_b64 exec, exec, s[6:7]
	s_and_saveexec_b64 s[6:7], s[4:5]
	s_cbranch_execz .LBB55_692
.LBB55_691:
	v_bfe_u32 v2, v7, 16, 3
	v_ffbh_u32_e32 v11, v2
	v_min_u32_e32 v11, 32, v11
	v_lshrrev_b32_e32 v6, 19, v7
	v_subrev_u32_e32 v12, 28, v11
	v_and_b32_e32 v6, 15, v6
	v_lshlrev_b32_sdwa v12, v12, v7 dst_sel:DWORD dst_unused:UNUSED_PAD src0_sel:DWORD src1_sel:WORD_1
	v_bfe_u32 v10, v7, 19, 4
	v_sub_u32_e32 v11, 29, v11
	v_and_b32_e32 v12, 7, v12
	v_cmp_eq_u16_e32 vcc, 0, v6
	v_cndmask_b32_e32 v2, v2, v12, vcc
	v_cndmask_b32_e32 v6, v10, v11, vcc
	v_lshlrev_b32_e32 v10, 8, v7
	v_mov_b32_e32 v11, 0x3b800000
	v_lshlrev_b32_e32 v2, 20, v2
	v_and_b32_e32 v10, 0x80000000, v10
	v_lshl_add_u32 v6, v6, 23, v11
	v_or3_b32 v2, v10, v6, v2
.LBB55_692:
	s_or_b64 exec, exec, s[6:7]
	s_movk_i32 s4, 0xff
	v_and_b32_sdwa v6, v3, s4 dst_sel:DWORD dst_unused:UNUSED_PAD src0_sel:WORD_1 src1_sel:DWORD
	s_movk_i32 s4, 0x7f
	v_cmp_lt_i16_e32 vcc, s4, v6
	s_mov_b64 s[4:5], 0
                                        ; implicit-def: $sgpr10
	s_and_saveexec_b64 s[6:7], vcc
	s_xor_b64 s[6:7], exec, s[6:7]
	s_cbranch_execnz .LBB55_2741
; %bb.693:
	s_or_saveexec_b64 s[6:7], s[6:7]
	v_mov_b32_e32 v10, s10
	s_xor_b64 exec, exec, s[6:7]
	s_cbranch_execnz .LBB55_2744
.LBB55_694:
	s_or_b64 exec, exec, s[6:7]
	s_and_saveexec_b64 s[6:7], s[4:5]
	s_cbranch_execz .LBB55_696
.LBB55_695:
	v_bfe_u32 v6, v3, 16, 3
	v_ffbh_u32_e32 v12, v6
	v_min_u32_e32 v12, 32, v12
	v_lshrrev_b32_e32 v10, 19, v3
	v_subrev_u32_e32 v13, 28, v12
	v_and_b32_e32 v10, 15, v10
	v_lshlrev_b32_sdwa v13, v13, v3 dst_sel:DWORD dst_unused:UNUSED_PAD src0_sel:DWORD src1_sel:WORD_1
	v_bfe_u32 v11, v3, 19, 4
	v_sub_u32_e32 v12, 29, v12
	v_and_b32_e32 v13, 7, v13
	v_cmp_eq_u16_e32 vcc, 0, v10
	v_cndmask_b32_e32 v6, v6, v13, vcc
	v_cndmask_b32_e32 v10, v11, v12, vcc
	v_lshlrev_b32_e32 v11, 8, v3
	v_mov_b32_e32 v12, 0x3b800000
	v_lshlrev_b32_e32 v6, 20, v6
	v_and_b32_e32 v11, 0x80000000, v11
	v_lshl_add_u32 v10, v10, 23, v12
	v_or3_b32 v10, v11, v10, v6
.LBB55_696:
	s_or_b64 exec, exec, s[6:7]
	s_nop 0
	v_mfma_f32_16x16x4f32 a[0:3], v2, v10, a[0:3]
	s_movk_i32 s4, 0x7f
	v_cmp_gt_i16_sdwa s[6:7], v7, s4 src0_sel:BYTE_3 src1_sel:DWORD
	s_mov_b64 s[4:5], 0
                                        ; implicit-def: $sgpr10
	s_and_saveexec_b64 s[8:9], s[6:7]
	s_xor_b64 s[6:7], exec, s[8:9]
	s_cbranch_execnz .LBB55_2745
; %bb.697:
	s_or_saveexec_b64 s[6:7], s[6:7]
	v_mov_b32_e32 v2, s10
	s_xor_b64 exec, exec, s[6:7]
	s_cbranch_execnz .LBB55_2748
.LBB55_698:
	s_or_b64 exec, exec, s[6:7]
	s_and_saveexec_b64 s[6:7], s[4:5]
	s_cbranch_execz .LBB55_700
.LBB55_699:
	v_bfe_u32 v2, v7, 24, 3
	v_ffbh_u32_e32 v12, v2
	v_min_u32_e32 v12, 32, v12
	v_lshrrev_b32_e32 v10, 27, v7
	v_subrev_u32_e32 v13, 28, v12
	v_and_b32_e32 v6, 0x80000000, v7
	v_and_b32_e32 v10, 15, v10
	v_bfe_u32 v11, v7, 27, 4
	v_lshlrev_b32_sdwa v7, v13, v7 dst_sel:DWORD dst_unused:UNUSED_PAD src0_sel:DWORD src1_sel:BYTE_3
	v_sub_u32_e32 v12, 29, v12
	v_and_b32_e32 v7, 7, v7
	v_cmp_eq_u16_e32 vcc, 0, v10
	v_cndmask_b32_e32 v2, v2, v7, vcc
	v_cndmask_b32_e32 v7, v11, v12, vcc
	v_mov_b32_e32 v10, 0x3b800000
	v_lshlrev_b32_e32 v2, 20, v2
	v_lshl_add_u32 v7, v7, 23, v10
	v_or3_b32 v2, v6, v7, v2
.LBB55_700:
	s_or_b64 exec, exec, s[6:7]
	s_movk_i32 s4, 0x7f
	v_cmp_gt_i16_sdwa s[6:7], v3, s4 src0_sel:BYTE_3 src1_sel:DWORD
	s_mov_b64 s[4:5], 0
                                        ; implicit-def: $sgpr10
	s_and_saveexec_b64 s[8:9], s[6:7]
	s_xor_b64 s[6:7], exec, s[8:9]
	s_cbranch_execnz .LBB55_2749
; %bb.701:
	s_or_saveexec_b64 s[6:7], s[6:7]
	v_mov_b32_e32 v6, s10
	s_xor_b64 exec, exec, s[6:7]
	s_cbranch_execnz .LBB55_2752
.LBB55_702:
	s_or_b64 exec, exec, s[6:7]
	s_and_saveexec_b64 s[6:7], s[4:5]
	s_cbranch_execz .LBB55_704
.LBB55_703:
	v_bfe_u32 v6, v3, 24, 3
	v_ffbh_u32_e32 v12, v6
	v_min_u32_e32 v12, 32, v12
	v_lshrrev_b32_e32 v10, 27, v3
	v_subrev_u32_e32 v13, 28, v12
	v_and_b32_e32 v7, 0x80000000, v3
	v_and_b32_e32 v10, 15, v10
	v_bfe_u32 v11, v3, 27, 4
	v_lshlrev_b32_sdwa v3, v13, v3 dst_sel:DWORD dst_unused:UNUSED_PAD src0_sel:DWORD src1_sel:BYTE_3
	v_sub_u32_e32 v12, 29, v12
	v_and_b32_e32 v3, 7, v3
	v_cmp_eq_u16_e32 vcc, 0, v10
	v_cndmask_b32_e32 v3, v6, v3, vcc
	v_cndmask_b32_e32 v6, v11, v12, vcc
	v_mov_b32_e32 v10, 0x3b800000
	v_lshlrev_b32_e32 v3, 20, v3
	v_lshl_add_u32 v6, v6, 23, v10
	v_or3_b32 v6, v7, v6, v3
.LBB55_704:
	s_or_b64 exec, exec, s[6:7]
	s_nop 0
	v_mfma_f32_16x16x4f32 a[0:3], v2, v6, a[0:3]
	s_movk_i32 s4, 0x7f
	v_cmp_gt_i16_sdwa s[6:7], v8, s4 src0_sel:BYTE_0 src1_sel:DWORD
	s_mov_b64 s[4:5], 0
                                        ; implicit-def: $sgpr10
	s_and_saveexec_b64 s[8:9], s[6:7]
	s_xor_b64 s[6:7], exec, s[8:9]
	s_cbranch_execnz .LBB55_2753
; %bb.705:
	s_or_saveexec_b64 s[6:7], s[6:7]
	v_mov_b32_e32 v2, s10
	s_xor_b64 exec, exec, s[6:7]
	s_cbranch_execnz .LBB55_2756
.LBB55_706:
	s_or_b64 exec, exec, s[6:7]
	s_and_saveexec_b64 s[6:7], s[4:5]
	s_cbranch_execz .LBB55_708
.LBB55_707:
	v_and_b32_e32 v2, 7, v8
	v_ffbh_u32_e32 v6, v2
	v_min_u32_e32 v6, 32, v6
	v_lshrrev_b16_e32 v3, 3, v8
	v_subrev_u32_e32 v7, 28, v6
	v_and_b32_e32 v3, 15, v3
	v_lshlrev_b32_e32 v7, v7, v8
	v_sub_u32_e32 v6, 29, v6
	v_and_b32_e32 v7, 7, v7
	v_cmp_eq_u16_e32 vcc, 0, v3
	v_cndmask_b32_e32 v2, v2, v7, vcc
	v_cndmask_b32_e32 v3, v3, v6, vcc
	v_lshlrev_b32_e32 v6, 24, v8
	v_mov_b32_e32 v7, 0x3b800000
	v_lshlrev_b32_e32 v2, 20, v2
	v_and_b32_e32 v6, 0x80000000, v6
	v_lshl_add_u32 v3, v3, 23, v7
	v_or3_b32 v2, v6, v3, v2
.LBB55_708:
	s_or_b64 exec, exec, s[6:7]
	s_movk_i32 s4, 0x7f
	v_cmp_gt_i16_sdwa s[6:7], v4, s4 src0_sel:BYTE_0 src1_sel:DWORD
	s_mov_b64 s[4:5], 0
                                        ; implicit-def: $sgpr10
	s_and_saveexec_b64 s[8:9], s[6:7]
	s_xor_b64 s[6:7], exec, s[8:9]
	s_cbranch_execnz .LBB55_2757
; %bb.709:
	s_or_saveexec_b64 s[6:7], s[6:7]
	v_mov_b32_e32 v3, s10
	s_xor_b64 exec, exec, s[6:7]
	s_cbranch_execnz .LBB55_2760
.LBB55_710:
	s_or_b64 exec, exec, s[6:7]
	s_and_saveexec_b64 s[6:7], s[4:5]
	s_cbranch_execz .LBB55_712
.LBB55_711:
	v_and_b32_e32 v3, 7, v4
	v_ffbh_u32_e32 v7, v3
	v_min_u32_e32 v7, 32, v7
	v_lshrrev_b16_e32 v6, 3, v4
	v_subrev_u32_e32 v10, 28, v7
	v_and_b32_e32 v6, 15, v6
	v_lshlrev_b32_e32 v10, v10, v4
	v_sub_u32_e32 v7, 29, v7
	v_and_b32_e32 v10, 7, v10
	v_cmp_eq_u16_e32 vcc, 0, v6
	v_cndmask_b32_e32 v3, v3, v10, vcc
	v_cndmask_b32_e32 v6, v6, v7, vcc
	v_lshlrev_b32_e32 v7, 24, v4
	v_mov_b32_e32 v10, 0x3b800000
	v_lshlrev_b32_e32 v3, 20, v3
	v_and_b32_e32 v7, 0x80000000, v7
	v_lshl_add_u32 v6, v6, 23, v10
	v_or3_b32 v3, v7, v6, v3
.LBB55_712:
	s_or_b64 exec, exec, s[6:7]
	s_nop 0
	v_mfma_f32_16x16x4f32 a[0:3], v2, v3, a[0:3]
	v_lshrrev_b32_e32 v3, 8, v8
	s_movk_i32 s4, 0x7f
	v_cmp_gt_i16_sdwa s[6:7], v3, s4 src0_sel:BYTE_0 src1_sel:DWORD
	s_mov_b64 s[4:5], 0
                                        ; implicit-def: $sgpr10
	s_and_saveexec_b64 s[8:9], s[6:7]
	s_xor_b64 s[6:7], exec, s[8:9]
	s_cbranch_execnz .LBB55_2761
; %bb.713:
	s_or_saveexec_b64 s[6:7], s[6:7]
	v_mov_b32_e32 v2, s10
	s_xor_b64 exec, exec, s[6:7]
	s_cbranch_execnz .LBB55_2764
.LBB55_714:
	s_or_b64 exec, exec, s[6:7]
	s_and_saveexec_b64 s[6:7], s[4:5]
	s_cbranch_execz .LBB55_716
.LBB55_715:
	v_bfe_u32 v2, v8, 8, 3
	v_ffbh_u32_e32 v7, v2
	v_min_u32_e32 v7, 32, v7
	v_lshrrev_b16_e32 v6, 3, v3
	v_subrev_u32_e32 v10, 28, v7
	v_and_b32_e32 v6, 15, v6
	v_lshlrev_b32_e32 v3, v10, v3
	v_sub_u32_e32 v7, 29, v7
	v_and_b32_e32 v3, 7, v3
	v_cmp_eq_u16_e32 vcc, 0, v6
	v_cndmask_b32_e32 v2, v2, v3, vcc
	v_cndmask_b32_e32 v3, v6, v7, vcc
	v_lshlrev_b32_e32 v6, 16, v8
	v_mov_b32_e32 v7, 0x3b800000
	v_lshlrev_b32_e32 v2, 20, v2
	v_and_b32_e32 v6, 0x80000000, v6
	v_lshl_add_u32 v3, v3, 23, v7
	v_or3_b32 v2, v6, v3, v2
.LBB55_716:
	s_or_b64 exec, exec, s[6:7]
	v_lshrrev_b32_e32 v3, 8, v4
	s_movk_i32 s4, 0x7f
	v_cmp_gt_i16_sdwa s[6:7], v3, s4 src0_sel:BYTE_0 src1_sel:DWORD
	s_mov_b64 s[4:5], 0
                                        ; implicit-def: $sgpr10
	s_and_saveexec_b64 s[8:9], s[6:7]
	s_xor_b64 s[6:7], exec, s[8:9]
	s_cbranch_execnz .LBB55_2765
; %bb.717:
	s_or_saveexec_b64 s[6:7], s[6:7]
	v_mov_b32_e32 v6, s10
	s_xor_b64 exec, exec, s[6:7]
	s_cbranch_execnz .LBB55_2768
.LBB55_718:
	s_or_b64 exec, exec, s[6:7]
	s_and_saveexec_b64 s[6:7], s[4:5]
	s_cbranch_execz .LBB55_720
.LBB55_719:
	v_bfe_u32 v6, v4, 8, 3
	v_ffbh_u32_e32 v10, v6
	v_min_u32_e32 v10, 32, v10
	v_lshrrev_b16_e32 v7, 3, v3
	v_subrev_u32_e32 v11, 28, v10
	v_and_b32_e32 v7, 15, v7
	v_lshlrev_b32_e32 v3, v11, v3
	v_sub_u32_e32 v10, 29, v10
	v_and_b32_e32 v3, 7, v3
	v_cmp_eq_u16_e32 vcc, 0, v7
	v_cndmask_b32_e32 v3, v6, v3, vcc
	v_cndmask_b32_e32 v6, v7, v10, vcc
	v_lshlrev_b32_e32 v7, 16, v4
	v_mov_b32_e32 v10, 0x3b800000
	v_lshlrev_b32_e32 v3, 20, v3
	v_and_b32_e32 v7, 0x80000000, v7
	v_lshl_add_u32 v6, v6, 23, v10
	v_or3_b32 v6, v7, v6, v3
.LBB55_720:
	s_or_b64 exec, exec, s[6:7]
	s_nop 0
	v_mfma_f32_16x16x4f32 a[0:3], v2, v6, a[0:3]
	s_movk_i32 s4, 0xff
	v_and_b32_sdwa v3, v8, s4 dst_sel:DWORD dst_unused:UNUSED_PAD src0_sel:WORD_1 src1_sel:DWORD
	s_movk_i32 s4, 0x7f
	v_cmp_lt_i16_e32 vcc, s4, v3
	s_mov_b64 s[4:5], 0
                                        ; implicit-def: $sgpr10
	s_and_saveexec_b64 s[6:7], vcc
	s_xor_b64 s[6:7], exec, s[6:7]
	s_cbranch_execnz .LBB55_2769
; %bb.721:
	s_or_saveexec_b64 s[6:7], s[6:7]
	v_mov_b32_e32 v2, s10
	s_xor_b64 exec, exec, s[6:7]
	s_cbranch_execnz .LBB55_2772
.LBB55_722:
	s_or_b64 exec, exec, s[6:7]
	s_and_saveexec_b64 s[6:7], s[4:5]
	s_cbranch_execz .LBB55_724
.LBB55_723:
	v_bfe_u32 v2, v8, 16, 3
	v_ffbh_u32_e32 v7, v2
	v_min_u32_e32 v7, 32, v7
	v_lshrrev_b32_e32 v3, 19, v8
	v_subrev_u32_e32 v10, 28, v7
	v_and_b32_e32 v3, 15, v3
	v_lshlrev_b32_sdwa v10, v10, v8 dst_sel:DWORD dst_unused:UNUSED_PAD src0_sel:DWORD src1_sel:WORD_1
	v_bfe_u32 v6, v8, 19, 4
	v_sub_u32_e32 v7, 29, v7
	v_and_b32_e32 v10, 7, v10
	v_cmp_eq_u16_e32 vcc, 0, v3
	v_cndmask_b32_e32 v2, v2, v10, vcc
	v_cndmask_b32_e32 v3, v6, v7, vcc
	v_lshlrev_b32_e32 v6, 8, v8
	v_mov_b32_e32 v7, 0x3b800000
	v_lshlrev_b32_e32 v2, 20, v2
	v_and_b32_e32 v6, 0x80000000, v6
	v_lshl_add_u32 v3, v3, 23, v7
	v_or3_b32 v2, v6, v3, v2
.LBB55_724:
	s_or_b64 exec, exec, s[6:7]
	s_movk_i32 s4, 0xff
	v_and_b32_sdwa v3, v4, s4 dst_sel:DWORD dst_unused:UNUSED_PAD src0_sel:WORD_1 src1_sel:DWORD
	s_movk_i32 s4, 0x7f
	v_cmp_lt_i16_e32 vcc, s4, v3
	s_mov_b64 s[4:5], 0
                                        ; implicit-def: $sgpr10
	s_and_saveexec_b64 s[6:7], vcc
	s_xor_b64 s[6:7], exec, s[6:7]
	s_cbranch_execnz .LBB55_2773
; %bb.725:
	s_or_saveexec_b64 s[6:7], s[6:7]
	v_mov_b32_e32 v6, s10
	s_xor_b64 exec, exec, s[6:7]
	s_cbranch_execnz .LBB55_2776
.LBB55_726:
	s_or_b64 exec, exec, s[6:7]
	s_and_saveexec_b64 s[6:7], s[4:5]
	s_cbranch_execz .LBB55_728
.LBB55_727:
	v_bfe_u32 v3, v4, 16, 3
	v_ffbh_u32_e32 v10, v3
	v_min_u32_e32 v10, 32, v10
	v_lshrrev_b32_e32 v6, 19, v4
	v_subrev_u32_e32 v11, 28, v10
	v_and_b32_e32 v6, 15, v6
	v_lshlrev_b32_sdwa v11, v11, v4 dst_sel:DWORD dst_unused:UNUSED_PAD src0_sel:DWORD src1_sel:WORD_1
	v_bfe_u32 v7, v4, 19, 4
	v_sub_u32_e32 v10, 29, v10
	v_and_b32_e32 v11, 7, v11
	v_cmp_eq_u16_e32 vcc, 0, v6
	v_cndmask_b32_e32 v3, v3, v11, vcc
	v_cndmask_b32_e32 v6, v7, v10, vcc
	v_lshlrev_b32_e32 v7, 8, v4
	v_mov_b32_e32 v10, 0x3b800000
	v_lshlrev_b32_e32 v3, 20, v3
	v_and_b32_e32 v7, 0x80000000, v7
	v_lshl_add_u32 v6, v6, 23, v10
	v_or3_b32 v6, v7, v6, v3
.LBB55_728:
	s_or_b64 exec, exec, s[6:7]
	s_nop 0
	v_mfma_f32_16x16x4f32 a[0:3], v2, v6, a[0:3]
	s_movk_i32 s4, 0x7f
	v_cmp_gt_i16_sdwa s[6:7], v8, s4 src0_sel:BYTE_3 src1_sel:DWORD
	s_mov_b64 s[4:5], 0
                                        ; implicit-def: $sgpr10
	s_and_saveexec_b64 s[8:9], s[6:7]
	s_xor_b64 s[6:7], exec, s[8:9]
	s_cbranch_execnz .LBB55_2777
; %bb.729:
	s_or_saveexec_b64 s[6:7], s[6:7]
	v_mov_b32_e32 v2, s10
	s_xor_b64 exec, exec, s[6:7]
	s_cbranch_execnz .LBB55_2780
.LBB55_730:
	s_or_b64 exec, exec, s[6:7]
	s_and_saveexec_b64 s[6:7], s[4:5]
	s_cbranch_execz .LBB55_732
.LBB55_731:
	v_bfe_u32 v2, v8, 24, 3
	v_ffbh_u32_e32 v10, v2
	v_min_u32_e32 v10, 32, v10
	v_lshrrev_b32_e32 v6, 27, v8
	v_subrev_u32_e32 v11, 28, v10
	v_and_b32_e32 v3, 0x80000000, v8
	v_and_b32_e32 v6, 15, v6
	v_bfe_u32 v7, v8, 27, 4
	v_lshlrev_b32_sdwa v8, v11, v8 dst_sel:DWORD dst_unused:UNUSED_PAD src0_sel:DWORD src1_sel:BYTE_3
	v_sub_u32_e32 v10, 29, v10
	v_and_b32_e32 v8, 7, v8
	v_cmp_eq_u16_e32 vcc, 0, v6
	v_cndmask_b32_e32 v2, v2, v8, vcc
	v_cndmask_b32_e32 v6, v7, v10, vcc
	v_mov_b32_e32 v7, 0x3b800000
	v_lshlrev_b32_e32 v2, 20, v2
	v_lshl_add_u32 v6, v6, 23, v7
	v_or3_b32 v2, v3, v6, v2
.LBB55_732:
	s_or_b64 exec, exec, s[6:7]
	s_movk_i32 s4, 0x7f
	v_cmp_gt_i16_sdwa s[6:7], v4, s4 src0_sel:BYTE_3 src1_sel:DWORD
	s_mov_b64 s[4:5], 0
                                        ; implicit-def: $sgpr10
	s_and_saveexec_b64 s[8:9], s[6:7]
	s_xor_b64 s[6:7], exec, s[8:9]
	s_cbranch_execnz .LBB55_2781
; %bb.733:
	s_or_saveexec_b64 s[6:7], s[6:7]
	v_mov_b32_e32 v3, s10
	s_xor_b64 exec, exec, s[6:7]
	s_cbranch_execnz .LBB55_2784
.LBB55_734:
	s_or_b64 exec, exec, s[6:7]
	s_and_saveexec_b64 s[6:7], s[4:5]
	s_cbranch_execz .LBB55_736
.LBB55_735:
	v_bfe_u32 v3, v4, 24, 3
	v_ffbh_u32_e32 v10, v3
	v_min_u32_e32 v10, 32, v10
	v_lshrrev_b32_e32 v7, 27, v4
	v_subrev_u32_e32 v11, 28, v10
	v_and_b32_e32 v6, 0x80000000, v4
	v_and_b32_e32 v7, 15, v7
	v_bfe_u32 v8, v4, 27, 4
	v_lshlrev_b32_sdwa v4, v11, v4 dst_sel:DWORD dst_unused:UNUSED_PAD src0_sel:DWORD src1_sel:BYTE_3
	v_sub_u32_e32 v10, 29, v10
	v_and_b32_e32 v4, 7, v4
	v_cmp_eq_u16_e32 vcc, 0, v7
	v_cndmask_b32_e32 v3, v3, v4, vcc
	v_cndmask_b32_e32 v4, v8, v10, vcc
	v_mov_b32_e32 v7, 0x3b800000
	v_lshlrev_b32_e32 v3, 20, v3
	v_lshl_add_u32 v4, v4, 23, v7
	v_or3_b32 v3, v6, v4, v3
.LBB55_736:
	s_or_b64 exec, exec, s[6:7]
	s_nop 0
	v_mfma_f32_16x16x4f32 a[0:3], v2, v3, a[0:3]
	s_movk_i32 s4, 0x7f
	v_cmp_gt_i16_sdwa s[6:7], v9, s4 src0_sel:BYTE_0 src1_sel:DWORD
	s_mov_b64 s[4:5], 0
                                        ; implicit-def: $sgpr10
	s_and_saveexec_b64 s[8:9], s[6:7]
	s_xor_b64 s[6:7], exec, s[8:9]
	s_cbranch_execnz .LBB55_2785
; %bb.737:
	s_or_saveexec_b64 s[6:7], s[6:7]
	v_mov_b32_e32 v2, s10
	s_xor_b64 exec, exec, s[6:7]
	s_cbranch_execnz .LBB55_2788
.LBB55_738:
	s_or_b64 exec, exec, s[6:7]
	s_and_saveexec_b64 s[6:7], s[4:5]
	s_cbranch_execz .LBB55_740
.LBB55_739:
	v_mov_b32_e32 v2, 8
	v_and_b32_e32 v3, 7, v9
	v_lshrrev_b32_sdwa v2, v2, v9 dst_sel:BYTE_1 dst_unused:UNUSED_PAD src0_sel:DWORD src1_sel:DWORD
	v_ffbh_u32_e32 v4, v3
	v_or_b32_sdwa v2, v9, v2 dst_sel:DWORD dst_unused:UNUSED_PAD src0_sel:BYTE_0 src1_sel:DWORD
	v_min_u32_e32 v4, 32, v4
	v_lshrrev_b16_e32 v2, 3, v2
	v_subrev_u32_e32 v6, 28, v4
	v_and_b32_e32 v2, 15, v2
	v_lshlrev_b32_e32 v6, v6, v9
	v_sub_u32_e32 v4, 29, v4
	v_and_b32_e32 v6, 7, v6
	v_cmp_eq_u16_e32 vcc, 0, v2
	v_cndmask_b32_e32 v3, v3, v6, vcc
	v_cndmask_b32_e32 v2, v2, v4, vcc
	v_lshlrev_b32_e32 v4, 24, v9
	v_mov_b32_e32 v6, 0x3b800000
	v_lshlrev_b32_e32 v3, 20, v3
	v_and_b32_e32 v4, 0x80000000, v4
	v_lshl_add_u32 v2, v2, 23, v6
	v_or3_b32 v2, v4, v2, v3
.LBB55_740:
	s_or_b64 exec, exec, s[6:7]
	s_movk_i32 s4, 0x7f
	v_cmp_gt_i16_sdwa s[6:7], v5, s4 src0_sel:BYTE_0 src1_sel:DWORD
	s_mov_b64 s[4:5], 0
                                        ; implicit-def: $sgpr10
	s_and_saveexec_b64 s[8:9], s[6:7]
	s_xor_b64 s[6:7], exec, s[8:9]
	s_cbranch_execnz .LBB55_2789
; %bb.741:
	s_or_saveexec_b64 s[6:7], s[6:7]
	v_mov_b32_e32 v3, s10
	s_xor_b64 exec, exec, s[6:7]
	s_cbranch_execnz .LBB55_2792
.LBB55_742:
	s_or_b64 exec, exec, s[6:7]
	s_and_saveexec_b64 s[6:7], s[4:5]
	s_cbranch_execz .LBB55_744
.LBB55_743:
	v_mov_b32_e32 v3, 8
	v_and_b32_e32 v4, 7, v5
	v_lshrrev_b32_sdwa v3, v3, v5 dst_sel:BYTE_1 dst_unused:UNUSED_PAD src0_sel:DWORD src1_sel:DWORD
	v_ffbh_u32_e32 v6, v4
	v_or_b32_sdwa v3, v5, v3 dst_sel:DWORD dst_unused:UNUSED_PAD src0_sel:BYTE_0 src1_sel:DWORD
	v_min_u32_e32 v6, 32, v6
	v_lshrrev_b16_e32 v3, 3, v3
	v_subrev_u32_e32 v7, 28, v6
	v_and_b32_e32 v3, 15, v3
	v_lshlrev_b32_e32 v7, v7, v5
	v_sub_u32_e32 v6, 29, v6
	v_and_b32_e32 v7, 7, v7
	v_cmp_eq_u16_e32 vcc, 0, v3
	v_cndmask_b32_e32 v4, v4, v7, vcc
	v_cndmask_b32_e32 v3, v3, v6, vcc
	v_lshlrev_b32_e32 v6, 24, v5
	v_mov_b32_e32 v7, 0x3b800000
	v_lshlrev_b32_e32 v4, 20, v4
	v_and_b32_e32 v6, 0x80000000, v6
	v_lshl_add_u32 v3, v3, 23, v7
	v_or3_b32 v3, v6, v3, v4
.LBB55_744:
	s_or_b64 exec, exec, s[6:7]
	s_nop 0
	v_mfma_f32_16x16x4f32 a[0:3], v2, v3, a[0:3]
	v_lshrrev_b32_e32 v3, 8, v9
	s_movk_i32 s4, 0x7f
	v_cmp_gt_i16_sdwa s[6:7], v3, s4 src0_sel:BYTE_0 src1_sel:DWORD
	s_mov_b64 s[4:5], 0
                                        ; implicit-def: $sgpr10
	s_and_saveexec_b64 s[8:9], s[6:7]
	s_xor_b64 s[6:7], exec, s[8:9]
	s_cbranch_execnz .LBB55_2793
; %bb.745:
	s_or_saveexec_b64 s[6:7], s[6:7]
	v_mov_b32_e32 v2, s10
	s_xor_b64 exec, exec, s[6:7]
	s_cbranch_execnz .LBB55_2796
.LBB55_746:
	s_or_b64 exec, exec, s[6:7]
	s_and_saveexec_b64 s[6:7], s[4:5]
	s_cbranch_execz .LBB55_748
.LBB55_747:
	v_bfe_u32 v2, v9, 8, 3
	v_ffbh_u32_e32 v6, v2
	v_min_u32_e32 v6, 32, v6
	v_lshrrev_b16_e32 v4, 3, v3
	v_subrev_u32_e32 v7, 28, v6
	v_and_b32_e32 v4, 15, v4
	v_lshlrev_b32_e32 v3, v7, v3
	v_sub_u32_e32 v6, 29, v6
	v_and_b32_e32 v3, 7, v3
	v_cmp_eq_u16_e32 vcc, 0, v4
	v_cndmask_b32_e32 v2, v2, v3, vcc
	v_cndmask_b32_e32 v3, v4, v6, vcc
	v_lshlrev_b32_e32 v4, 16, v9
	v_mov_b32_e32 v6, 0x3b800000
	v_lshlrev_b32_e32 v2, 20, v2
	v_and_b32_e32 v4, 0x80000000, v4
	v_lshl_add_u32 v3, v3, 23, v6
	v_or3_b32 v2, v4, v3, v2
.LBB55_748:
	s_or_b64 exec, exec, s[6:7]
	v_lshrrev_b32_e32 v3, 8, v5
	s_movk_i32 s4, 0x7f
	v_cmp_gt_i16_sdwa s[6:7], v3, s4 src0_sel:BYTE_0 src1_sel:DWORD
	s_mov_b64 s[4:5], 0
                                        ; implicit-def: $sgpr10
	s_and_saveexec_b64 s[8:9], s[6:7]
	s_xor_b64 s[6:7], exec, s[8:9]
	s_cbranch_execnz .LBB55_2797
; %bb.749:
	s_or_saveexec_b64 s[6:7], s[6:7]
	v_mov_b32_e32 v4, s10
	s_xor_b64 exec, exec, s[6:7]
	s_cbranch_execnz .LBB55_2800
.LBB55_750:
	s_or_b64 exec, exec, s[6:7]
	s_and_saveexec_b64 s[6:7], s[4:5]
	s_cbranch_execz .LBB55_752
.LBB55_751:
	v_bfe_u32 v4, v5, 8, 3
	v_ffbh_u32_e32 v7, v4
	v_min_u32_e32 v7, 32, v7
	v_lshrrev_b16_e32 v6, 3, v3
	v_subrev_u32_e32 v8, 28, v7
	v_and_b32_e32 v6, 15, v6
	v_lshlrev_b32_e32 v3, v8, v3
	v_sub_u32_e32 v7, 29, v7
	v_and_b32_e32 v3, 7, v3
	v_cmp_eq_u16_e32 vcc, 0, v6
	v_cndmask_b32_e32 v3, v4, v3, vcc
	v_cndmask_b32_e32 v4, v6, v7, vcc
	v_lshlrev_b32_e32 v6, 16, v5
	v_mov_b32_e32 v7, 0x3b800000
	v_lshlrev_b32_e32 v3, 20, v3
	v_and_b32_e32 v6, 0x80000000, v6
	v_lshl_add_u32 v4, v4, 23, v7
	v_or3_b32 v4, v6, v4, v3
.LBB55_752:
	s_or_b64 exec, exec, s[6:7]
	s_nop 0
	v_mfma_f32_16x16x4f32 a[0:3], v2, v4, a[0:3]
	s_movk_i32 s4, 0xff
	v_and_b32_sdwa v3, v9, s4 dst_sel:DWORD dst_unused:UNUSED_PAD src0_sel:WORD_1 src1_sel:DWORD
	s_movk_i32 s4, 0x7f
	v_cmp_lt_i16_e32 vcc, s4, v3
	s_mov_b64 s[4:5], 0
                                        ; implicit-def: $sgpr10
	s_and_saveexec_b64 s[6:7], vcc
	s_xor_b64 s[6:7], exec, s[6:7]
	s_cbranch_execnz .LBB55_2801
; %bb.753:
	s_or_saveexec_b64 s[6:7], s[6:7]
	v_mov_b32_e32 v2, s10
	s_xor_b64 exec, exec, s[6:7]
	s_cbranch_execnz .LBB55_2804
.LBB55_754:
	s_or_b64 exec, exec, s[6:7]
	s_and_saveexec_b64 s[6:7], s[4:5]
	s_cbranch_execz .LBB55_756
.LBB55_755:
	v_bfe_u32 v2, v9, 16, 3
	v_ffbh_u32_e32 v6, v2
	v_min_u32_e32 v6, 32, v6
	v_lshrrev_b32_e32 v3, 19, v9
	v_subrev_u32_e32 v7, 28, v6
	v_and_b32_e32 v3, 15, v3
	v_lshlrev_b32_sdwa v7, v7, v9 dst_sel:DWORD dst_unused:UNUSED_PAD src0_sel:DWORD src1_sel:WORD_1
	v_bfe_u32 v4, v9, 19, 4
	v_sub_u32_e32 v6, 29, v6
	v_and_b32_e32 v7, 7, v7
	v_cmp_eq_u16_e32 vcc, 0, v3
	v_cndmask_b32_e32 v2, v2, v7, vcc
	v_cndmask_b32_e32 v3, v4, v6, vcc
	v_lshlrev_b32_e32 v4, 8, v9
	v_mov_b32_e32 v6, 0x3b800000
	v_lshlrev_b32_e32 v2, 20, v2
	v_and_b32_e32 v4, 0x80000000, v4
	v_lshl_add_u32 v3, v3, 23, v6
	v_or3_b32 v2, v4, v3, v2
.LBB55_756:
	s_or_b64 exec, exec, s[6:7]
	s_movk_i32 s4, 0xff
	v_and_b32_sdwa v3, v5, s4 dst_sel:DWORD dst_unused:UNUSED_PAD src0_sel:WORD_1 src1_sel:DWORD
	s_movk_i32 s4, 0x7f
	v_cmp_lt_i16_e32 vcc, s4, v3
	s_mov_b64 s[4:5], 0
                                        ; implicit-def: $sgpr10
	s_and_saveexec_b64 s[6:7], vcc
	s_xor_b64 s[6:7], exec, s[6:7]
	s_cbranch_execnz .LBB55_2805
; %bb.757:
	s_or_saveexec_b64 s[6:7], s[6:7]
	v_mov_b32_e32 v4, s10
	s_xor_b64 exec, exec, s[6:7]
	s_cbranch_execnz .LBB55_2808
.LBB55_758:
	s_or_b64 exec, exec, s[6:7]
	s_and_saveexec_b64 s[6:7], s[4:5]
	s_cbranch_execz .LBB55_760
.LBB55_759:
	v_bfe_u32 v3, v5, 16, 3
	v_ffbh_u32_e32 v7, v3
	v_min_u32_e32 v7, 32, v7
	v_lshrrev_b32_e32 v4, 19, v5
	v_subrev_u32_e32 v8, 28, v7
	v_and_b32_e32 v4, 15, v4
	v_lshlrev_b32_sdwa v8, v8, v5 dst_sel:DWORD dst_unused:UNUSED_PAD src0_sel:DWORD src1_sel:WORD_1
	v_bfe_u32 v6, v5, 19, 4
	v_sub_u32_e32 v7, 29, v7
	v_and_b32_e32 v8, 7, v8
	v_cmp_eq_u16_e32 vcc, 0, v4
	v_cndmask_b32_e32 v3, v3, v8, vcc
	v_cndmask_b32_e32 v4, v6, v7, vcc
	v_lshlrev_b32_e32 v6, 8, v5
	v_mov_b32_e32 v7, 0x3b800000
	v_lshlrev_b32_e32 v3, 20, v3
	v_and_b32_e32 v6, 0x80000000, v6
	v_lshl_add_u32 v4, v4, 23, v7
	v_or3_b32 v4, v6, v4, v3
.LBB55_760:
	s_or_b64 exec, exec, s[6:7]
	s_nop 0
	v_mfma_f32_16x16x4f32 a[0:3], v2, v4, a[0:3]
	s_movk_i32 s4, 0x7f
	v_cmp_gt_i16_sdwa s[6:7], v9, s4 src0_sel:BYTE_3 src1_sel:DWORD
	s_mov_b64 s[4:5], 0
                                        ; implicit-def: $sgpr10
	s_and_saveexec_b64 s[8:9], s[6:7]
	s_xor_b64 s[6:7], exec, s[8:9]
	s_cbranch_execnz .LBB55_2809
; %bb.761:
	s_or_saveexec_b64 s[6:7], s[6:7]
	v_mov_b32_e32 v2, s10
	s_xor_b64 exec, exec, s[6:7]
	s_cbranch_execnz .LBB55_2812
.LBB55_762:
	s_or_b64 exec, exec, s[6:7]
	s_and_saveexec_b64 s[6:7], s[4:5]
	s_cbranch_execz .LBB55_764
.LBB55_763:
	v_bfe_u32 v2, v9, 24, 3
	v_ffbh_u32_e32 v7, v2
	v_min_u32_e32 v7, 32, v7
	v_lshrrev_b32_e32 v4, 27, v9
	v_subrev_u32_e32 v8, 28, v7
	v_and_b32_e32 v4, 15, v4
	v_lshlrev_b32_sdwa v8, v8, v9 dst_sel:DWORD dst_unused:UNUSED_PAD src0_sel:DWORD src1_sel:BYTE_3
	v_bfe_u32 v6, v9, 27, 4
	v_sub_u32_e32 v7, 29, v7
	v_and_b32_e32 v8, 7, v8
	v_cmp_eq_u16_e32 vcc, 0, v4
	v_cndmask_b32_e32 v2, v2, v8, vcc
	v_cndmask_b32_e32 v4, v6, v7, vcc
	v_mov_b32_e32 v6, 0x3b800000
	v_and_b32_e32 v3, 0x80000000, v9
	v_lshlrev_b32_e32 v2, 20, v2
	v_lshl_add_u32 v4, v4, 23, v6
	v_or3_b32 v2, v3, v4, v2
.LBB55_764:
	s_or_b64 exec, exec, s[6:7]
	s_movk_i32 s4, 0x7f
	v_cmp_gt_i16_sdwa s[6:7], v5, s4 src0_sel:BYTE_3 src1_sel:DWORD
	s_mov_b64 s[4:5], 0
                                        ; implicit-def: $sgpr10
	s_and_saveexec_b64 s[8:9], s[6:7]
	s_xor_b64 s[6:7], exec, s[8:9]
	s_cbranch_execnz .LBB55_2813
; %bb.765:
	s_or_saveexec_b64 s[6:7], s[6:7]
	v_mov_b32_e32 v3, s10
	s_xor_b64 exec, exec, s[6:7]
	s_cbranch_execnz .LBB55_2816
.LBB55_766:
	s_or_b64 exec, exec, s[6:7]
	s_and_saveexec_b64 s[6:7], s[4:5]
	s_cbranch_execz .LBB55_768
.LBB55_767:
	v_bfe_u32 v3, v5, 24, 3
	v_ffbh_u32_e32 v8, v3
	v_min_u32_e32 v8, 32, v8
	v_lshrrev_b32_e32 v6, 27, v5
	v_subrev_u32_e32 v9, 28, v8
	v_and_b32_e32 v4, 0x80000000, v5
	v_and_b32_e32 v6, 15, v6
	v_bfe_u32 v7, v5, 27, 4
	v_lshlrev_b32_sdwa v5, v9, v5 dst_sel:DWORD dst_unused:UNUSED_PAD src0_sel:DWORD src1_sel:BYTE_3
	v_sub_u32_e32 v8, 29, v8
	v_and_b32_e32 v5, 7, v5
	v_cmp_eq_u16_e32 vcc, 0, v6
	v_cndmask_b32_e32 v3, v3, v5, vcc
	v_cndmask_b32_e32 v5, v7, v8, vcc
	v_mov_b32_e32 v6, 0x3b800000
	v_lshlrev_b32_e32 v3, 20, v3
	v_lshl_add_u32 v5, v5, 23, v6
	v_or3_b32 v3, v4, v5, v3
.LBB55_768:
	s_or_b64 exec, exec, s[6:7]
	s_nop 0
	v_mfma_f32_16x16x4f32 a[0:3], v2, v3, a[0:3]
	s_movk_i32 s4, 0x7f
                                        ; implicit-def: $sgpr10
	s_nop 7
	s_nop 1
	flat_store_dwordx4 v[18:19], a[0:3] offset:416
	flat_load_dwordx4 v[20:23], v[0:1] offset:8
	s_nop 0
	flat_load_dwordx2 v[18:19], v[0:1] offset:24
	s_waitcnt vmcnt(0) lgkmcnt(0)
	flat_load_dwordx4 v[14:17], v[20:21] offset:32
	flat_load_dwordx4 v[6:9], v[20:21] offset:48
	;; [unrolled: 1-line block ×4, first 2 shown]
	s_waitcnt vmcnt(0) lgkmcnt(0)
	v_cmp_gt_i16_sdwa s[6:7], v14, s4 src0_sel:BYTE_0 src1_sel:DWORD
	s_mov_b64 s[4:5], 0
	s_and_saveexec_b64 s[8:9], s[6:7]
	s_xor_b64 s[6:7], exec, s[8:9]
	s_cbranch_execnz .LBB55_2817
; %bb.769:
	s_or_saveexec_b64 s[6:7], s[6:7]
	v_mov_b32_e32 v20, s10
	s_xor_b64 exec, exec, s[6:7]
	s_cbranch_execnz .LBB55_2820
.LBB55_770:
	s_or_b64 exec, exec, s[6:7]
	s_and_saveexec_b64 s[6:7], s[4:5]
	s_cbranch_execz .LBB55_772
.LBB55_771:
	v_and_b32_e32 v20, 7, v14
	v_ffbh_u32_e32 v22, v20
	v_min_u32_e32 v22, 32, v22
	v_lshrrev_b16_e32 v21, 3, v14
	v_subrev_u32_e32 v23, 28, v22
	v_and_b32_e32 v21, 15, v21
	v_lshlrev_b32_e32 v23, v23, v14
	v_sub_u32_e32 v22, 29, v22
	v_and_b32_e32 v23, 7, v23
	v_cmp_eq_u16_e32 vcc, 0, v21
	v_cndmask_b32_e32 v20, v20, v23, vcc
	v_cndmask_b32_e32 v21, v21, v22, vcc
	v_lshlrev_b32_e32 v22, 24, v14
	v_mov_b32_e32 v23, 0x3b800000
	v_lshlrev_b32_e32 v20, 20, v20
	v_and_b32_e32 v22, 0x80000000, v22
	v_lshl_add_u32 v21, v21, 23, v23
	v_or3_b32 v20, v22, v21, v20
.LBB55_772:
	s_or_b64 exec, exec, s[6:7]
	s_movk_i32 s4, 0x7f
	v_cmp_gt_i16_sdwa s[6:7], v10, s4 src0_sel:BYTE_0 src1_sel:DWORD
	s_mov_b64 s[4:5], 0
                                        ; implicit-def: $sgpr10
	s_and_saveexec_b64 s[8:9], s[6:7]
	s_xor_b64 s[6:7], exec, s[8:9]
	s_cbranch_execnz .LBB55_2821
; %bb.773:
	s_or_saveexec_b64 s[6:7], s[6:7]
	v_mov_b32_e32 v21, s10
	s_xor_b64 exec, exec, s[6:7]
	s_cbranch_execnz .LBB55_2824
.LBB55_774:
	s_or_b64 exec, exec, s[6:7]
	s_and_saveexec_b64 s[6:7], s[4:5]
	s_cbranch_execz .LBB55_776
.LBB55_775:
	v_and_b32_e32 v21, 7, v10
	v_ffbh_u32_e32 v23, v21
	v_min_u32_e32 v23, 32, v23
	v_lshrrev_b16_e32 v22, 3, v10
	v_subrev_u32_e32 v24, 28, v23
	v_and_b32_e32 v22, 15, v22
	v_lshlrev_b32_e32 v24, v24, v10
	v_sub_u32_e32 v23, 29, v23
	v_and_b32_e32 v24, 7, v24
	v_cmp_eq_u16_e32 vcc, 0, v22
	v_cndmask_b32_e32 v21, v21, v24, vcc
	v_cndmask_b32_e32 v22, v22, v23, vcc
	v_lshlrev_b32_e32 v23, 24, v10
	v_mov_b32_e32 v24, 0x3b800000
	v_lshlrev_b32_e32 v21, 20, v21
	v_and_b32_e32 v23, 0x80000000, v23
	v_lshl_add_u32 v22, v22, 23, v24
	v_or3_b32 v21, v23, v22, v21
.LBB55_776:
	s_or_b64 exec, exec, s[6:7]
	flat_load_dwordx4 a[0:3], v[18:19] offset:432
	s_movk_i32 s4, 0x7f
                                        ; implicit-def: $sgpr10
	s_waitcnt vmcnt(0) lgkmcnt(0)
	v_mfma_f32_16x16x4f32 a[0:3], v20, v21, a[0:3]
	v_lshrrev_b32_e32 v21, 8, v14
	v_cmp_gt_i16_sdwa s[6:7], v21, s4 src0_sel:BYTE_0 src1_sel:DWORD
	s_mov_b64 s[4:5], 0
	s_and_saveexec_b64 s[8:9], s[6:7]
	s_xor_b64 s[6:7], exec, s[8:9]
	s_cbranch_execnz .LBB55_2825
; %bb.777:
	s_or_saveexec_b64 s[6:7], s[6:7]
	v_mov_b32_e32 v20, s10
	s_xor_b64 exec, exec, s[6:7]
	s_cbranch_execnz .LBB55_2828
.LBB55_778:
	s_or_b64 exec, exec, s[6:7]
	s_and_saveexec_b64 s[6:7], s[4:5]
	s_cbranch_execz .LBB55_780
.LBB55_779:
	v_bfe_u32 v20, v14, 8, 3
	v_ffbh_u32_e32 v23, v20
	v_min_u32_e32 v23, 32, v23
	v_lshrrev_b16_e32 v22, 3, v21
	v_subrev_u32_e32 v24, 28, v23
	v_and_b32_e32 v22, 15, v22
	v_lshlrev_b32_e32 v21, v24, v21
	v_sub_u32_e32 v23, 29, v23
	v_and_b32_e32 v21, 7, v21
	v_cmp_eq_u16_e32 vcc, 0, v22
	v_cndmask_b32_e32 v20, v20, v21, vcc
	v_cndmask_b32_e32 v21, v22, v23, vcc
	v_lshlrev_b32_e32 v22, 16, v14
	v_mov_b32_e32 v23, 0x3b800000
	v_lshlrev_b32_e32 v20, 20, v20
	v_and_b32_e32 v22, 0x80000000, v22
	v_lshl_add_u32 v21, v21, 23, v23
	v_or3_b32 v20, v22, v21, v20
.LBB55_780:
	s_or_b64 exec, exec, s[6:7]
	v_lshrrev_b32_e32 v21, 8, v10
	s_movk_i32 s4, 0x7f
	v_cmp_gt_i16_sdwa s[6:7], v21, s4 src0_sel:BYTE_0 src1_sel:DWORD
	s_mov_b64 s[4:5], 0
                                        ; implicit-def: $sgpr10
	s_and_saveexec_b64 s[8:9], s[6:7]
	s_xor_b64 s[6:7], exec, s[8:9]
	s_cbranch_execnz .LBB55_2829
; %bb.781:
	s_or_saveexec_b64 s[6:7], s[6:7]
	v_mov_b32_e32 v22, s10
	s_xor_b64 exec, exec, s[6:7]
	s_cbranch_execnz .LBB55_2832
.LBB55_782:
	s_or_b64 exec, exec, s[6:7]
	s_and_saveexec_b64 s[6:7], s[4:5]
	s_cbranch_execz .LBB55_784
.LBB55_783:
	v_bfe_u32 v22, v10, 8, 3
	v_ffbh_u32_e32 v24, v22
	v_min_u32_e32 v24, 32, v24
	v_lshrrev_b16_e32 v23, 3, v21
	v_subrev_u32_e32 v25, 28, v24
	v_and_b32_e32 v23, 15, v23
	v_lshlrev_b32_e32 v21, v25, v21
	v_sub_u32_e32 v24, 29, v24
	v_and_b32_e32 v21, 7, v21
	v_cmp_eq_u16_e32 vcc, 0, v23
	v_cndmask_b32_e32 v21, v22, v21, vcc
	v_cndmask_b32_e32 v22, v23, v24, vcc
	v_lshlrev_b32_e32 v23, 16, v10
	v_mov_b32_e32 v24, 0x3b800000
	v_lshlrev_b32_e32 v21, 20, v21
	v_and_b32_e32 v23, 0x80000000, v23
	v_lshl_add_u32 v22, v22, 23, v24
	v_or3_b32 v22, v23, v22, v21
.LBB55_784:
	s_or_b64 exec, exec, s[6:7]
	s_nop 0
	v_mfma_f32_16x16x4f32 a[0:3], v20, v22, a[0:3]
	s_movk_i32 s4, 0xff
	v_and_b32_sdwa v21, v14, s4 dst_sel:DWORD dst_unused:UNUSED_PAD src0_sel:WORD_1 src1_sel:DWORD
	s_movk_i32 s4, 0x7f
	v_cmp_lt_i16_e32 vcc, s4, v21
	s_mov_b64 s[4:5], 0
                                        ; implicit-def: $sgpr10
	s_and_saveexec_b64 s[6:7], vcc
	s_xor_b64 s[6:7], exec, s[6:7]
	s_cbranch_execnz .LBB55_2833
; %bb.785:
	s_or_saveexec_b64 s[6:7], s[6:7]
	v_mov_b32_e32 v20, s10
	s_xor_b64 exec, exec, s[6:7]
	s_cbranch_execnz .LBB55_2836
.LBB55_786:
	s_or_b64 exec, exec, s[6:7]
	s_and_saveexec_b64 s[6:7], s[4:5]
	s_cbranch_execz .LBB55_788
.LBB55_787:
	v_bfe_u32 v20, v14, 16, 3
	v_ffbh_u32_e32 v23, v20
	v_min_u32_e32 v23, 32, v23
	v_lshrrev_b32_e32 v21, 19, v14
	v_subrev_u32_e32 v24, 28, v23
	v_and_b32_e32 v21, 15, v21
	v_lshlrev_b32_sdwa v24, v24, v14 dst_sel:DWORD dst_unused:UNUSED_PAD src0_sel:DWORD src1_sel:WORD_1
	v_bfe_u32 v22, v14, 19, 4
	v_sub_u32_e32 v23, 29, v23
	v_and_b32_e32 v24, 7, v24
	v_cmp_eq_u16_e32 vcc, 0, v21
	v_cndmask_b32_e32 v20, v20, v24, vcc
	v_cndmask_b32_e32 v21, v22, v23, vcc
	v_lshlrev_b32_e32 v22, 8, v14
	v_mov_b32_e32 v23, 0x3b800000
	v_lshlrev_b32_e32 v20, 20, v20
	v_and_b32_e32 v22, 0x80000000, v22
	v_lshl_add_u32 v21, v21, 23, v23
	v_or3_b32 v20, v22, v21, v20
.LBB55_788:
	s_or_b64 exec, exec, s[6:7]
	s_movk_i32 s4, 0xff
	v_and_b32_sdwa v21, v10, s4 dst_sel:DWORD dst_unused:UNUSED_PAD src0_sel:WORD_1 src1_sel:DWORD
	s_movk_i32 s4, 0x7f
	v_cmp_lt_i16_e32 vcc, s4, v21
	s_mov_b64 s[4:5], 0
                                        ; implicit-def: $sgpr10
	s_and_saveexec_b64 s[6:7], vcc
	s_xor_b64 s[6:7], exec, s[6:7]
	s_cbranch_execnz .LBB55_2837
; %bb.789:
	s_or_saveexec_b64 s[6:7], s[6:7]
	v_mov_b32_e32 v22, s10
	s_xor_b64 exec, exec, s[6:7]
	s_cbranch_execnz .LBB55_2840
.LBB55_790:
	s_or_b64 exec, exec, s[6:7]
	s_and_saveexec_b64 s[6:7], s[4:5]
	s_cbranch_execz .LBB55_792
.LBB55_791:
	v_bfe_u32 v21, v10, 16, 3
	v_ffbh_u32_e32 v24, v21
	v_min_u32_e32 v24, 32, v24
	v_lshrrev_b32_e32 v22, 19, v10
	v_subrev_u32_e32 v25, 28, v24
	v_and_b32_e32 v22, 15, v22
	v_lshlrev_b32_sdwa v25, v25, v10 dst_sel:DWORD dst_unused:UNUSED_PAD src0_sel:DWORD src1_sel:WORD_1
	v_bfe_u32 v23, v10, 19, 4
	v_sub_u32_e32 v24, 29, v24
	v_and_b32_e32 v25, 7, v25
	v_cmp_eq_u16_e32 vcc, 0, v22
	v_cndmask_b32_e32 v21, v21, v25, vcc
	v_cndmask_b32_e32 v22, v23, v24, vcc
	v_lshlrev_b32_e32 v23, 8, v10
	v_mov_b32_e32 v24, 0x3b800000
	v_lshlrev_b32_e32 v21, 20, v21
	v_and_b32_e32 v23, 0x80000000, v23
	v_lshl_add_u32 v22, v22, 23, v24
	v_or3_b32 v22, v23, v22, v21
.LBB55_792:
	s_or_b64 exec, exec, s[6:7]
	s_nop 0
	v_mfma_f32_16x16x4f32 a[0:3], v20, v22, a[0:3]
	s_movk_i32 s4, 0x7f
	v_cmp_gt_i16_sdwa s[6:7], v14, s4 src0_sel:BYTE_3 src1_sel:DWORD
	s_mov_b64 s[4:5], 0
                                        ; implicit-def: $sgpr10
	s_and_saveexec_b64 s[8:9], s[6:7]
	s_xor_b64 s[6:7], exec, s[8:9]
	s_cbranch_execnz .LBB55_2841
; %bb.793:
	s_or_saveexec_b64 s[6:7], s[6:7]
	v_mov_b32_e32 v20, s10
	s_xor_b64 exec, exec, s[6:7]
	s_cbranch_execnz .LBB55_2844
.LBB55_794:
	s_or_b64 exec, exec, s[6:7]
	s_and_saveexec_b64 s[6:7], s[4:5]
	s_cbranch_execz .LBB55_796
.LBB55_795:
	v_bfe_u32 v20, v14, 24, 3
	v_ffbh_u32_e32 v24, v20
	v_min_u32_e32 v24, 32, v24
	v_lshrrev_b32_e32 v22, 27, v14
	v_subrev_u32_e32 v25, 28, v24
	v_and_b32_e32 v21, 0x80000000, v14
	v_and_b32_e32 v22, 15, v22
	v_bfe_u32 v23, v14, 27, 4
	v_lshlrev_b32_sdwa v14, v25, v14 dst_sel:DWORD dst_unused:UNUSED_PAD src0_sel:DWORD src1_sel:BYTE_3
	v_sub_u32_e32 v24, 29, v24
	v_and_b32_e32 v14, 7, v14
	v_cmp_eq_u16_e32 vcc, 0, v22
	v_cndmask_b32_e32 v14, v20, v14, vcc
	v_cndmask_b32_e32 v20, v23, v24, vcc
	v_mov_b32_e32 v22, 0x3b800000
	v_lshlrev_b32_e32 v14, 20, v14
	v_lshl_add_u32 v20, v20, 23, v22
	v_or3_b32 v20, v21, v20, v14
.LBB55_796:
	s_or_b64 exec, exec, s[6:7]
	s_movk_i32 s4, 0x7f
	v_cmp_gt_i16_sdwa s[6:7], v10, s4 src0_sel:BYTE_3 src1_sel:DWORD
	s_mov_b64 s[4:5], 0
                                        ; implicit-def: $sgpr10
	s_and_saveexec_b64 s[8:9], s[6:7]
	s_xor_b64 s[6:7], exec, s[8:9]
	s_cbranch_execnz .LBB55_2845
; %bb.797:
	s_or_saveexec_b64 s[6:7], s[6:7]
	v_mov_b32_e32 v14, s10
	s_xor_b64 exec, exec, s[6:7]
	s_cbranch_execnz .LBB55_2848
.LBB55_798:
	s_or_b64 exec, exec, s[6:7]
	s_and_saveexec_b64 s[6:7], s[4:5]
	s_cbranch_execz .LBB55_800
.LBB55_799:
	v_bfe_u32 v14, v10, 24, 3
	v_ffbh_u32_e32 v24, v14
	v_min_u32_e32 v24, 32, v24
	v_lshrrev_b32_e32 v22, 27, v10
	v_subrev_u32_e32 v25, 28, v24
	v_and_b32_e32 v21, 0x80000000, v10
	v_and_b32_e32 v22, 15, v22
	v_bfe_u32 v23, v10, 27, 4
	v_lshlrev_b32_sdwa v10, v25, v10 dst_sel:DWORD dst_unused:UNUSED_PAD src0_sel:DWORD src1_sel:BYTE_3
	v_sub_u32_e32 v24, 29, v24
	v_and_b32_e32 v10, 7, v10
	v_cmp_eq_u16_e32 vcc, 0, v22
	v_cndmask_b32_e32 v10, v14, v10, vcc
	v_cndmask_b32_e32 v14, v23, v24, vcc
	v_mov_b32_e32 v22, 0x3b800000
	v_lshlrev_b32_e32 v10, 20, v10
	v_lshl_add_u32 v14, v14, 23, v22
	v_or3_b32 v14, v21, v14, v10
.LBB55_800:
	s_or_b64 exec, exec, s[6:7]
	s_nop 0
	v_mfma_f32_16x16x4f32 a[0:3], v20, v14, a[0:3]
	s_movk_i32 s4, 0x7f
	v_cmp_gt_i16_sdwa s[6:7], v15, s4 src0_sel:BYTE_0 src1_sel:DWORD
	s_mov_b64 s[4:5], 0
                                        ; implicit-def: $sgpr10
	s_and_saveexec_b64 s[8:9], s[6:7]
	s_xor_b64 s[6:7], exec, s[8:9]
	s_cbranch_execnz .LBB55_2849
; %bb.801:
	s_or_saveexec_b64 s[6:7], s[6:7]
	v_mov_b32_e32 v10, s10
	s_xor_b64 exec, exec, s[6:7]
	s_cbranch_execnz .LBB55_2852
.LBB55_802:
	s_or_b64 exec, exec, s[6:7]
	s_and_saveexec_b64 s[6:7], s[4:5]
	s_cbranch_execz .LBB55_804
.LBB55_803:
	v_and_b32_e32 v10, 7, v15
	v_ffbh_u32_e32 v20, v10
	v_min_u32_e32 v20, 32, v20
	v_lshrrev_b16_e32 v14, 3, v15
	v_subrev_u32_e32 v21, 28, v20
	v_and_b32_e32 v14, 15, v14
	v_lshlrev_b32_e32 v21, v21, v15
	v_sub_u32_e32 v20, 29, v20
	v_and_b32_e32 v21, 7, v21
	v_cmp_eq_u16_e32 vcc, 0, v14
	v_cndmask_b32_e32 v10, v10, v21, vcc
	v_cndmask_b32_e32 v14, v14, v20, vcc
	v_lshlrev_b32_e32 v20, 24, v15
	v_mov_b32_e32 v21, 0x3b800000
	v_lshlrev_b32_e32 v10, 20, v10
	v_and_b32_e32 v20, 0x80000000, v20
	v_lshl_add_u32 v14, v14, 23, v21
	v_or3_b32 v10, v20, v14, v10
.LBB55_804:
	s_or_b64 exec, exec, s[6:7]
	s_movk_i32 s4, 0x7f
	v_cmp_gt_i16_sdwa s[6:7], v11, s4 src0_sel:BYTE_0 src1_sel:DWORD
	s_mov_b64 s[4:5], 0
                                        ; implicit-def: $sgpr10
	s_and_saveexec_b64 s[8:9], s[6:7]
	s_xor_b64 s[6:7], exec, s[8:9]
	s_cbranch_execnz .LBB55_2853
; %bb.805:
	s_or_saveexec_b64 s[6:7], s[6:7]
	v_mov_b32_e32 v14, s10
	s_xor_b64 exec, exec, s[6:7]
	s_cbranch_execnz .LBB55_2856
.LBB55_806:
	s_or_b64 exec, exec, s[6:7]
	s_and_saveexec_b64 s[6:7], s[4:5]
	s_cbranch_execz .LBB55_808
.LBB55_807:
	v_and_b32_e32 v14, 7, v11
	v_ffbh_u32_e32 v21, v14
	v_min_u32_e32 v21, 32, v21
	v_lshrrev_b16_e32 v20, 3, v11
	v_subrev_u32_e32 v22, 28, v21
	v_and_b32_e32 v20, 15, v20
	v_lshlrev_b32_e32 v22, v22, v11
	v_sub_u32_e32 v21, 29, v21
	v_and_b32_e32 v22, 7, v22
	v_cmp_eq_u16_e32 vcc, 0, v20
	v_cndmask_b32_e32 v14, v14, v22, vcc
	v_cndmask_b32_e32 v20, v20, v21, vcc
	v_lshlrev_b32_e32 v21, 24, v11
	v_mov_b32_e32 v22, 0x3b800000
	v_lshlrev_b32_e32 v14, 20, v14
	v_and_b32_e32 v21, 0x80000000, v21
	v_lshl_add_u32 v20, v20, 23, v22
	v_or3_b32 v14, v21, v20, v14
.LBB55_808:
	s_or_b64 exec, exec, s[6:7]
	s_nop 0
	v_mfma_f32_16x16x4f32 a[0:3], v10, v14, a[0:3]
	v_lshrrev_b32_e32 v14, 8, v15
	s_movk_i32 s4, 0x7f
	v_cmp_gt_i16_sdwa s[6:7], v14, s4 src0_sel:BYTE_0 src1_sel:DWORD
	s_mov_b64 s[4:5], 0
                                        ; implicit-def: $sgpr10
	s_and_saveexec_b64 s[8:9], s[6:7]
	s_xor_b64 s[6:7], exec, s[8:9]
	s_cbranch_execnz .LBB55_2857
; %bb.809:
	s_or_saveexec_b64 s[6:7], s[6:7]
	v_mov_b32_e32 v10, s10
	s_xor_b64 exec, exec, s[6:7]
	s_cbranch_execnz .LBB55_2860
.LBB55_810:
	s_or_b64 exec, exec, s[6:7]
	s_and_saveexec_b64 s[6:7], s[4:5]
	s_cbranch_execz .LBB55_812
.LBB55_811:
	v_bfe_u32 v10, v15, 8, 3
	v_ffbh_u32_e32 v21, v10
	v_min_u32_e32 v21, 32, v21
	v_lshrrev_b16_e32 v20, 3, v14
	v_subrev_u32_e32 v22, 28, v21
	v_and_b32_e32 v20, 15, v20
	v_lshlrev_b32_e32 v14, v22, v14
	v_sub_u32_e32 v21, 29, v21
	v_and_b32_e32 v14, 7, v14
	v_cmp_eq_u16_e32 vcc, 0, v20
	v_cndmask_b32_e32 v10, v10, v14, vcc
	v_cndmask_b32_e32 v14, v20, v21, vcc
	v_lshlrev_b32_e32 v20, 16, v15
	v_mov_b32_e32 v21, 0x3b800000
	v_lshlrev_b32_e32 v10, 20, v10
	v_and_b32_e32 v20, 0x80000000, v20
	v_lshl_add_u32 v14, v14, 23, v21
	v_or3_b32 v10, v20, v14, v10
.LBB55_812:
	s_or_b64 exec, exec, s[6:7]
	v_lshrrev_b32_e32 v14, 8, v11
	s_movk_i32 s4, 0x7f
	v_cmp_gt_i16_sdwa s[6:7], v14, s4 src0_sel:BYTE_0 src1_sel:DWORD
	s_mov_b64 s[4:5], 0
                                        ; implicit-def: $sgpr10
	s_and_saveexec_b64 s[8:9], s[6:7]
	s_xor_b64 s[6:7], exec, s[8:9]
	s_cbranch_execnz .LBB55_2861
; %bb.813:
	s_or_saveexec_b64 s[6:7], s[6:7]
	v_mov_b32_e32 v20, s10
	s_xor_b64 exec, exec, s[6:7]
	s_cbranch_execnz .LBB55_2864
.LBB55_814:
	s_or_b64 exec, exec, s[6:7]
	s_and_saveexec_b64 s[6:7], s[4:5]
	s_cbranch_execz .LBB55_816
.LBB55_815:
	v_bfe_u32 v20, v11, 8, 3
	v_ffbh_u32_e32 v22, v20
	v_min_u32_e32 v22, 32, v22
	v_lshrrev_b16_e32 v21, 3, v14
	v_subrev_u32_e32 v23, 28, v22
	v_and_b32_e32 v21, 15, v21
	v_lshlrev_b32_e32 v14, v23, v14
	v_sub_u32_e32 v22, 29, v22
	v_and_b32_e32 v14, 7, v14
	v_cmp_eq_u16_e32 vcc, 0, v21
	v_cndmask_b32_e32 v14, v20, v14, vcc
	v_cndmask_b32_e32 v20, v21, v22, vcc
	v_lshlrev_b32_e32 v21, 16, v11
	v_mov_b32_e32 v22, 0x3b800000
	v_lshlrev_b32_e32 v14, 20, v14
	v_and_b32_e32 v21, 0x80000000, v21
	v_lshl_add_u32 v20, v20, 23, v22
	v_or3_b32 v20, v21, v20, v14
.LBB55_816:
	s_or_b64 exec, exec, s[6:7]
	s_nop 0
	v_mfma_f32_16x16x4f32 a[0:3], v10, v20, a[0:3]
	s_movk_i32 s4, 0xff
	v_and_b32_sdwa v14, v15, s4 dst_sel:DWORD dst_unused:UNUSED_PAD src0_sel:WORD_1 src1_sel:DWORD
	s_movk_i32 s4, 0x7f
	v_cmp_lt_i16_e32 vcc, s4, v14
	s_mov_b64 s[4:5], 0
                                        ; implicit-def: $sgpr10
	s_and_saveexec_b64 s[6:7], vcc
	s_xor_b64 s[6:7], exec, s[6:7]
	s_cbranch_execnz .LBB55_2865
; %bb.817:
	s_or_saveexec_b64 s[6:7], s[6:7]
	v_mov_b32_e32 v10, s10
	s_xor_b64 exec, exec, s[6:7]
	s_cbranch_execnz .LBB55_2868
.LBB55_818:
	s_or_b64 exec, exec, s[6:7]
	s_and_saveexec_b64 s[6:7], s[4:5]
	s_cbranch_execz .LBB55_820
.LBB55_819:
	v_bfe_u32 v10, v15, 16, 3
	v_ffbh_u32_e32 v21, v10
	v_min_u32_e32 v21, 32, v21
	v_lshrrev_b32_e32 v14, 19, v15
	v_subrev_u32_e32 v22, 28, v21
	v_and_b32_e32 v14, 15, v14
	v_lshlrev_b32_sdwa v22, v22, v15 dst_sel:DWORD dst_unused:UNUSED_PAD src0_sel:DWORD src1_sel:WORD_1
	v_bfe_u32 v20, v15, 19, 4
	v_sub_u32_e32 v21, 29, v21
	v_and_b32_e32 v22, 7, v22
	v_cmp_eq_u16_e32 vcc, 0, v14
	v_cndmask_b32_e32 v10, v10, v22, vcc
	v_cndmask_b32_e32 v14, v20, v21, vcc
	v_lshlrev_b32_e32 v20, 8, v15
	v_mov_b32_e32 v21, 0x3b800000
	v_lshlrev_b32_e32 v10, 20, v10
	v_and_b32_e32 v20, 0x80000000, v20
	v_lshl_add_u32 v14, v14, 23, v21
	v_or3_b32 v10, v20, v14, v10
.LBB55_820:
	s_or_b64 exec, exec, s[6:7]
	s_movk_i32 s4, 0xff
	v_and_b32_sdwa v14, v11, s4 dst_sel:DWORD dst_unused:UNUSED_PAD src0_sel:WORD_1 src1_sel:DWORD
	s_movk_i32 s4, 0x7f
	v_cmp_lt_i16_e32 vcc, s4, v14
	s_mov_b64 s[4:5], 0
                                        ; implicit-def: $sgpr10
	s_and_saveexec_b64 s[6:7], vcc
	s_xor_b64 s[6:7], exec, s[6:7]
	s_cbranch_execnz .LBB55_2869
; %bb.821:
	s_or_saveexec_b64 s[6:7], s[6:7]
	v_mov_b32_e32 v20, s10
	s_xor_b64 exec, exec, s[6:7]
	s_cbranch_execnz .LBB55_2872
.LBB55_822:
	s_or_b64 exec, exec, s[6:7]
	s_and_saveexec_b64 s[6:7], s[4:5]
	s_cbranch_execz .LBB55_824
.LBB55_823:
	v_bfe_u32 v14, v11, 16, 3
	v_ffbh_u32_e32 v22, v14
	v_min_u32_e32 v22, 32, v22
	v_lshrrev_b32_e32 v20, 19, v11
	v_subrev_u32_e32 v23, 28, v22
	v_and_b32_e32 v20, 15, v20
	v_lshlrev_b32_sdwa v23, v23, v11 dst_sel:DWORD dst_unused:UNUSED_PAD src0_sel:DWORD src1_sel:WORD_1
	v_bfe_u32 v21, v11, 19, 4
	v_sub_u32_e32 v22, 29, v22
	v_and_b32_e32 v23, 7, v23
	v_cmp_eq_u16_e32 vcc, 0, v20
	v_cndmask_b32_e32 v14, v14, v23, vcc
	v_cndmask_b32_e32 v20, v21, v22, vcc
	v_lshlrev_b32_e32 v21, 8, v11
	v_mov_b32_e32 v22, 0x3b800000
	v_lshlrev_b32_e32 v14, 20, v14
	v_and_b32_e32 v21, 0x80000000, v21
	v_lshl_add_u32 v20, v20, 23, v22
	v_or3_b32 v20, v21, v20, v14
.LBB55_824:
	s_or_b64 exec, exec, s[6:7]
	s_nop 0
	v_mfma_f32_16x16x4f32 a[0:3], v10, v20, a[0:3]
	s_movk_i32 s4, 0x7f
	v_cmp_gt_i16_sdwa s[6:7], v15, s4 src0_sel:BYTE_3 src1_sel:DWORD
	s_mov_b64 s[4:5], 0
                                        ; implicit-def: $sgpr10
	s_and_saveexec_b64 s[8:9], s[6:7]
	s_xor_b64 s[6:7], exec, s[8:9]
	s_cbranch_execnz .LBB55_2873
; %bb.825:
	s_or_saveexec_b64 s[6:7], s[6:7]
	v_mov_b32_e32 v10, s10
	s_xor_b64 exec, exec, s[6:7]
	s_cbranch_execnz .LBB55_2876
.LBB55_826:
	s_or_b64 exec, exec, s[6:7]
	s_and_saveexec_b64 s[6:7], s[4:5]
	s_cbranch_execz .LBB55_828
.LBB55_827:
	v_bfe_u32 v10, v15, 24, 3
	v_ffbh_u32_e32 v22, v10
	v_min_u32_e32 v22, 32, v22
	v_lshrrev_b32_e32 v20, 27, v15
	v_subrev_u32_e32 v23, 28, v22
	v_and_b32_e32 v14, 0x80000000, v15
	v_and_b32_e32 v20, 15, v20
	v_bfe_u32 v21, v15, 27, 4
	v_lshlrev_b32_sdwa v15, v23, v15 dst_sel:DWORD dst_unused:UNUSED_PAD src0_sel:DWORD src1_sel:BYTE_3
	v_sub_u32_e32 v22, 29, v22
	v_and_b32_e32 v15, 7, v15
	v_cmp_eq_u16_e32 vcc, 0, v20
	v_cndmask_b32_e32 v10, v10, v15, vcc
	v_cndmask_b32_e32 v15, v21, v22, vcc
	v_mov_b32_e32 v20, 0x3b800000
	v_lshlrev_b32_e32 v10, 20, v10
	v_lshl_add_u32 v15, v15, 23, v20
	v_or3_b32 v10, v14, v15, v10
.LBB55_828:
	s_or_b64 exec, exec, s[6:7]
	s_movk_i32 s4, 0x7f
	v_cmp_gt_i16_sdwa s[6:7], v11, s4 src0_sel:BYTE_3 src1_sel:DWORD
	s_mov_b64 s[4:5], 0
                                        ; implicit-def: $sgpr10
	s_and_saveexec_b64 s[8:9], s[6:7]
	s_xor_b64 s[6:7], exec, s[8:9]
	s_cbranch_execnz .LBB55_2877
; %bb.829:
	s_or_saveexec_b64 s[6:7], s[6:7]
	v_mov_b32_e32 v14, s10
	s_xor_b64 exec, exec, s[6:7]
	s_cbranch_execnz .LBB55_2880
.LBB55_830:
	s_or_b64 exec, exec, s[6:7]
	s_and_saveexec_b64 s[6:7], s[4:5]
	s_cbranch_execz .LBB55_832
.LBB55_831:
	v_bfe_u32 v14, v11, 24, 3
	v_ffbh_u32_e32 v22, v14
	v_min_u32_e32 v22, 32, v22
	v_lshrrev_b32_e32 v20, 27, v11
	v_subrev_u32_e32 v23, 28, v22
	v_and_b32_e32 v15, 0x80000000, v11
	v_and_b32_e32 v20, 15, v20
	v_bfe_u32 v21, v11, 27, 4
	v_lshlrev_b32_sdwa v11, v23, v11 dst_sel:DWORD dst_unused:UNUSED_PAD src0_sel:DWORD src1_sel:BYTE_3
	v_sub_u32_e32 v22, 29, v22
	v_and_b32_e32 v11, 7, v11
	v_cmp_eq_u16_e32 vcc, 0, v20
	v_cndmask_b32_e32 v11, v14, v11, vcc
	v_cndmask_b32_e32 v14, v21, v22, vcc
	v_mov_b32_e32 v20, 0x3b800000
	v_lshlrev_b32_e32 v11, 20, v11
	v_lshl_add_u32 v14, v14, 23, v20
	v_or3_b32 v14, v15, v14, v11
.LBB55_832:
	s_or_b64 exec, exec, s[6:7]
	s_nop 0
	v_mfma_f32_16x16x4f32 a[0:3], v10, v14, a[0:3]
	s_movk_i32 s4, 0x7f
	v_cmp_gt_i16_sdwa s[6:7], v16, s4 src0_sel:BYTE_0 src1_sel:DWORD
	s_mov_b64 s[4:5], 0
                                        ; implicit-def: $sgpr10
	s_and_saveexec_b64 s[8:9], s[6:7]
	s_xor_b64 s[6:7], exec, s[8:9]
	s_cbranch_execnz .LBB55_2881
; %bb.833:
	s_or_saveexec_b64 s[6:7], s[6:7]
	v_mov_b32_e32 v10, s10
	s_xor_b64 exec, exec, s[6:7]
	s_cbranch_execnz .LBB55_2884
.LBB55_834:
	s_or_b64 exec, exec, s[6:7]
	s_and_saveexec_b64 s[6:7], s[4:5]
	s_cbranch_execz .LBB55_836
.LBB55_835:
	v_and_b32_e32 v10, 7, v16
	v_ffbh_u32_e32 v14, v10
	v_min_u32_e32 v14, 32, v14
	v_lshrrev_b16_e32 v11, 3, v16
	v_subrev_u32_e32 v15, 28, v14
	v_and_b32_e32 v11, 15, v11
	v_lshlrev_b32_e32 v15, v15, v16
	v_sub_u32_e32 v14, 29, v14
	v_and_b32_e32 v15, 7, v15
	v_cmp_eq_u16_e32 vcc, 0, v11
	v_cndmask_b32_e32 v10, v10, v15, vcc
	v_cndmask_b32_e32 v11, v11, v14, vcc
	v_lshlrev_b32_e32 v14, 24, v16
	v_mov_b32_e32 v15, 0x3b800000
	v_lshlrev_b32_e32 v10, 20, v10
	v_and_b32_e32 v14, 0x80000000, v14
	v_lshl_add_u32 v11, v11, 23, v15
	v_or3_b32 v10, v14, v11, v10
.LBB55_836:
	s_or_b64 exec, exec, s[6:7]
	s_movk_i32 s4, 0x7f
	v_cmp_gt_i16_sdwa s[6:7], v12, s4 src0_sel:BYTE_0 src1_sel:DWORD
	s_mov_b64 s[4:5], 0
                                        ; implicit-def: $sgpr10
	s_and_saveexec_b64 s[8:9], s[6:7]
	s_xor_b64 s[6:7], exec, s[8:9]
	s_cbranch_execnz .LBB55_2885
; %bb.837:
	s_or_saveexec_b64 s[6:7], s[6:7]
	v_mov_b32_e32 v11, s10
	s_xor_b64 exec, exec, s[6:7]
	s_cbranch_execnz .LBB55_2888
.LBB55_838:
	s_or_b64 exec, exec, s[6:7]
	s_and_saveexec_b64 s[6:7], s[4:5]
	s_cbranch_execz .LBB55_840
.LBB55_839:
	v_and_b32_e32 v11, 7, v12
	v_ffbh_u32_e32 v15, v11
	v_min_u32_e32 v15, 32, v15
	v_lshrrev_b16_e32 v14, 3, v12
	v_subrev_u32_e32 v20, 28, v15
	v_and_b32_e32 v14, 15, v14
	v_lshlrev_b32_e32 v20, v20, v12
	v_sub_u32_e32 v15, 29, v15
	v_and_b32_e32 v20, 7, v20
	v_cmp_eq_u16_e32 vcc, 0, v14
	v_cndmask_b32_e32 v11, v11, v20, vcc
	v_cndmask_b32_e32 v14, v14, v15, vcc
	v_lshlrev_b32_e32 v15, 24, v12
	v_mov_b32_e32 v20, 0x3b800000
	v_lshlrev_b32_e32 v11, 20, v11
	v_and_b32_e32 v15, 0x80000000, v15
	v_lshl_add_u32 v14, v14, 23, v20
	v_or3_b32 v11, v15, v14, v11
.LBB55_840:
	s_or_b64 exec, exec, s[6:7]
	s_nop 0
	v_mfma_f32_16x16x4f32 a[0:3], v10, v11, a[0:3]
	v_lshrrev_b32_e32 v11, 8, v16
	s_movk_i32 s4, 0x7f
	v_cmp_gt_i16_sdwa s[6:7], v11, s4 src0_sel:BYTE_0 src1_sel:DWORD
	s_mov_b64 s[4:5], 0
                                        ; implicit-def: $sgpr10
	s_and_saveexec_b64 s[8:9], s[6:7]
	s_xor_b64 s[6:7], exec, s[8:9]
	s_cbranch_execnz .LBB55_2889
; %bb.841:
	s_or_saveexec_b64 s[6:7], s[6:7]
	v_mov_b32_e32 v10, s10
	s_xor_b64 exec, exec, s[6:7]
	s_cbranch_execnz .LBB55_2892
.LBB55_842:
	s_or_b64 exec, exec, s[6:7]
	s_and_saveexec_b64 s[6:7], s[4:5]
	s_cbranch_execz .LBB55_844
.LBB55_843:
	v_bfe_u32 v10, v16, 8, 3
	v_ffbh_u32_e32 v15, v10
	v_min_u32_e32 v15, 32, v15
	v_lshrrev_b16_e32 v14, 3, v11
	v_subrev_u32_e32 v20, 28, v15
	v_and_b32_e32 v14, 15, v14
	v_lshlrev_b32_e32 v11, v20, v11
	v_sub_u32_e32 v15, 29, v15
	v_and_b32_e32 v11, 7, v11
	v_cmp_eq_u16_e32 vcc, 0, v14
	v_cndmask_b32_e32 v10, v10, v11, vcc
	v_cndmask_b32_e32 v11, v14, v15, vcc
	v_lshlrev_b32_e32 v14, 16, v16
	v_mov_b32_e32 v15, 0x3b800000
	v_lshlrev_b32_e32 v10, 20, v10
	v_and_b32_e32 v14, 0x80000000, v14
	v_lshl_add_u32 v11, v11, 23, v15
	v_or3_b32 v10, v14, v11, v10
.LBB55_844:
	s_or_b64 exec, exec, s[6:7]
	v_lshrrev_b32_e32 v11, 8, v12
	s_movk_i32 s4, 0x7f
	v_cmp_gt_i16_sdwa s[6:7], v11, s4 src0_sel:BYTE_0 src1_sel:DWORD
	s_mov_b64 s[4:5], 0
                                        ; implicit-def: $sgpr10
	s_and_saveexec_b64 s[8:9], s[6:7]
	s_xor_b64 s[6:7], exec, s[8:9]
	s_cbranch_execnz .LBB55_2893
; %bb.845:
	s_or_saveexec_b64 s[6:7], s[6:7]
	v_mov_b32_e32 v14, s10
	s_xor_b64 exec, exec, s[6:7]
	s_cbranch_execnz .LBB55_2896
.LBB55_846:
	s_or_b64 exec, exec, s[6:7]
	s_and_saveexec_b64 s[6:7], s[4:5]
	s_cbranch_execz .LBB55_848
.LBB55_847:
	v_bfe_u32 v14, v12, 8, 3
	v_ffbh_u32_e32 v20, v14
	v_min_u32_e32 v20, 32, v20
	v_lshrrev_b16_e32 v15, 3, v11
	v_subrev_u32_e32 v21, 28, v20
	v_and_b32_e32 v15, 15, v15
	v_lshlrev_b32_e32 v11, v21, v11
	v_sub_u32_e32 v20, 29, v20
	v_and_b32_e32 v11, 7, v11
	v_cmp_eq_u16_e32 vcc, 0, v15
	v_cndmask_b32_e32 v11, v14, v11, vcc
	v_cndmask_b32_e32 v14, v15, v20, vcc
	v_lshlrev_b32_e32 v15, 16, v12
	v_mov_b32_e32 v20, 0x3b800000
	v_lshlrev_b32_e32 v11, 20, v11
	v_and_b32_e32 v15, 0x80000000, v15
	v_lshl_add_u32 v14, v14, 23, v20
	v_or3_b32 v14, v15, v14, v11
.LBB55_848:
	s_or_b64 exec, exec, s[6:7]
	s_nop 0
	v_mfma_f32_16x16x4f32 a[0:3], v10, v14, a[0:3]
	s_movk_i32 s4, 0xff
	v_and_b32_sdwa v11, v16, s4 dst_sel:DWORD dst_unused:UNUSED_PAD src0_sel:WORD_1 src1_sel:DWORD
	s_movk_i32 s4, 0x7f
	v_cmp_lt_i16_e32 vcc, s4, v11
	s_mov_b64 s[4:5], 0
                                        ; implicit-def: $sgpr10
	s_and_saveexec_b64 s[6:7], vcc
	s_xor_b64 s[6:7], exec, s[6:7]
	s_cbranch_execnz .LBB55_2897
; %bb.849:
	s_or_saveexec_b64 s[6:7], s[6:7]
	v_mov_b32_e32 v10, s10
	s_xor_b64 exec, exec, s[6:7]
	s_cbranch_execnz .LBB55_2900
.LBB55_850:
	s_or_b64 exec, exec, s[6:7]
	s_and_saveexec_b64 s[6:7], s[4:5]
	s_cbranch_execz .LBB55_852
.LBB55_851:
	v_bfe_u32 v10, v16, 16, 3
	v_ffbh_u32_e32 v15, v10
	v_min_u32_e32 v15, 32, v15
	v_lshrrev_b32_e32 v11, 19, v16
	v_subrev_u32_e32 v20, 28, v15
	v_and_b32_e32 v11, 15, v11
	v_lshlrev_b32_sdwa v20, v20, v16 dst_sel:DWORD dst_unused:UNUSED_PAD src0_sel:DWORD src1_sel:WORD_1
	v_bfe_u32 v14, v16, 19, 4
	v_sub_u32_e32 v15, 29, v15
	v_and_b32_e32 v20, 7, v20
	v_cmp_eq_u16_e32 vcc, 0, v11
	v_cndmask_b32_e32 v10, v10, v20, vcc
	v_cndmask_b32_e32 v11, v14, v15, vcc
	v_lshlrev_b32_e32 v14, 8, v16
	v_mov_b32_e32 v15, 0x3b800000
	v_lshlrev_b32_e32 v10, 20, v10
	v_and_b32_e32 v14, 0x80000000, v14
	v_lshl_add_u32 v11, v11, 23, v15
	v_or3_b32 v10, v14, v11, v10
.LBB55_852:
	s_or_b64 exec, exec, s[6:7]
	s_movk_i32 s4, 0xff
	v_and_b32_sdwa v11, v12, s4 dst_sel:DWORD dst_unused:UNUSED_PAD src0_sel:WORD_1 src1_sel:DWORD
	s_movk_i32 s4, 0x7f
	v_cmp_lt_i16_e32 vcc, s4, v11
	s_mov_b64 s[4:5], 0
                                        ; implicit-def: $sgpr10
	s_and_saveexec_b64 s[6:7], vcc
	s_xor_b64 s[6:7], exec, s[6:7]
	s_cbranch_execnz .LBB55_2901
; %bb.853:
	s_or_saveexec_b64 s[6:7], s[6:7]
	v_mov_b32_e32 v14, s10
	s_xor_b64 exec, exec, s[6:7]
	s_cbranch_execnz .LBB55_2904
.LBB55_854:
	s_or_b64 exec, exec, s[6:7]
	s_and_saveexec_b64 s[6:7], s[4:5]
	s_cbranch_execz .LBB55_856
.LBB55_855:
	v_bfe_u32 v11, v12, 16, 3
	v_ffbh_u32_e32 v20, v11
	v_min_u32_e32 v20, 32, v20
	v_lshrrev_b32_e32 v14, 19, v12
	v_subrev_u32_e32 v21, 28, v20
	v_and_b32_e32 v14, 15, v14
	v_lshlrev_b32_sdwa v21, v21, v12 dst_sel:DWORD dst_unused:UNUSED_PAD src0_sel:DWORD src1_sel:WORD_1
	v_bfe_u32 v15, v12, 19, 4
	v_sub_u32_e32 v20, 29, v20
	v_and_b32_e32 v21, 7, v21
	v_cmp_eq_u16_e32 vcc, 0, v14
	v_cndmask_b32_e32 v11, v11, v21, vcc
	v_cndmask_b32_e32 v14, v15, v20, vcc
	v_lshlrev_b32_e32 v15, 8, v12
	v_mov_b32_e32 v20, 0x3b800000
	v_lshlrev_b32_e32 v11, 20, v11
	v_and_b32_e32 v15, 0x80000000, v15
	v_lshl_add_u32 v14, v14, 23, v20
	v_or3_b32 v14, v15, v14, v11
.LBB55_856:
	s_or_b64 exec, exec, s[6:7]
	s_nop 0
	v_mfma_f32_16x16x4f32 a[0:3], v10, v14, a[0:3]
	s_movk_i32 s4, 0x7f
	v_cmp_gt_i16_sdwa s[6:7], v16, s4 src0_sel:BYTE_3 src1_sel:DWORD
	s_mov_b64 s[4:5], 0
                                        ; implicit-def: $sgpr10
	s_and_saveexec_b64 s[8:9], s[6:7]
	s_xor_b64 s[6:7], exec, s[8:9]
	s_cbranch_execnz .LBB55_2905
; %bb.857:
	s_or_saveexec_b64 s[6:7], s[6:7]
	v_mov_b32_e32 v10, s10
	s_xor_b64 exec, exec, s[6:7]
	s_cbranch_execnz .LBB55_2908
.LBB55_858:
	s_or_b64 exec, exec, s[6:7]
	s_and_saveexec_b64 s[6:7], s[4:5]
	s_cbranch_execz .LBB55_860
.LBB55_859:
	v_bfe_u32 v10, v16, 24, 3
	v_ffbh_u32_e32 v20, v10
	v_min_u32_e32 v20, 32, v20
	v_lshrrev_b32_e32 v14, 27, v16
	v_subrev_u32_e32 v21, 28, v20
	v_and_b32_e32 v11, 0x80000000, v16
	v_and_b32_e32 v14, 15, v14
	v_bfe_u32 v15, v16, 27, 4
	v_lshlrev_b32_sdwa v16, v21, v16 dst_sel:DWORD dst_unused:UNUSED_PAD src0_sel:DWORD src1_sel:BYTE_3
	v_sub_u32_e32 v20, 29, v20
	v_and_b32_e32 v16, 7, v16
	v_cmp_eq_u16_e32 vcc, 0, v14
	v_cndmask_b32_e32 v10, v10, v16, vcc
	v_cndmask_b32_e32 v14, v15, v20, vcc
	v_mov_b32_e32 v15, 0x3b800000
	v_lshlrev_b32_e32 v10, 20, v10
	v_lshl_add_u32 v14, v14, 23, v15
	v_or3_b32 v10, v11, v14, v10
.LBB55_860:
	s_or_b64 exec, exec, s[6:7]
	s_movk_i32 s4, 0x7f
	v_cmp_gt_i16_sdwa s[6:7], v12, s4 src0_sel:BYTE_3 src1_sel:DWORD
	s_mov_b64 s[4:5], 0
                                        ; implicit-def: $sgpr10
	s_and_saveexec_b64 s[8:9], s[6:7]
	s_xor_b64 s[6:7], exec, s[8:9]
	s_cbranch_execnz .LBB55_2909
; %bb.861:
	s_or_saveexec_b64 s[6:7], s[6:7]
	v_mov_b32_e32 v11, s10
	s_xor_b64 exec, exec, s[6:7]
	s_cbranch_execnz .LBB55_2912
.LBB55_862:
	s_or_b64 exec, exec, s[6:7]
	s_and_saveexec_b64 s[6:7], s[4:5]
	s_cbranch_execz .LBB55_864
.LBB55_863:
	v_bfe_u32 v11, v12, 24, 3
	v_ffbh_u32_e32 v20, v11
	v_min_u32_e32 v20, 32, v20
	v_lshrrev_b32_e32 v15, 27, v12
	v_subrev_u32_e32 v21, 28, v20
	v_and_b32_e32 v14, 0x80000000, v12
	v_and_b32_e32 v15, 15, v15
	v_bfe_u32 v16, v12, 27, 4
	v_lshlrev_b32_sdwa v12, v21, v12 dst_sel:DWORD dst_unused:UNUSED_PAD src0_sel:DWORD src1_sel:BYTE_3
	v_sub_u32_e32 v20, 29, v20
	v_and_b32_e32 v12, 7, v12
	v_cmp_eq_u16_e32 vcc, 0, v15
	v_cndmask_b32_e32 v11, v11, v12, vcc
	v_cndmask_b32_e32 v12, v16, v20, vcc
	v_mov_b32_e32 v15, 0x3b800000
	v_lshlrev_b32_e32 v11, 20, v11
	v_lshl_add_u32 v12, v12, 23, v15
	v_or3_b32 v11, v14, v12, v11
.LBB55_864:
	s_or_b64 exec, exec, s[6:7]
	s_nop 0
	v_mfma_f32_16x16x4f32 a[0:3], v10, v11, a[0:3]
	s_movk_i32 s4, 0x7f
	v_cmp_gt_i16_sdwa s[6:7], v17, s4 src0_sel:BYTE_0 src1_sel:DWORD
	s_mov_b64 s[4:5], 0
                                        ; implicit-def: $sgpr10
	s_and_saveexec_b64 s[8:9], s[6:7]
	s_xor_b64 s[6:7], exec, s[8:9]
	s_cbranch_execnz .LBB55_2913
; %bb.865:
	s_or_saveexec_b64 s[6:7], s[6:7]
	v_mov_b32_e32 v10, s10
	s_xor_b64 exec, exec, s[6:7]
	s_cbranch_execnz .LBB55_2916
.LBB55_866:
	s_or_b64 exec, exec, s[6:7]
	s_and_saveexec_b64 s[6:7], s[4:5]
	s_cbranch_execz .LBB55_868
.LBB55_867:
	v_and_b32_e32 v10, 7, v17
	v_ffbh_u32_e32 v12, v10
	v_min_u32_e32 v12, 32, v12
	v_lshrrev_b16_e32 v11, 3, v17
	v_subrev_u32_e32 v14, 28, v12
	v_and_b32_e32 v11, 15, v11
	v_lshlrev_b32_e32 v14, v14, v17
	v_sub_u32_e32 v12, 29, v12
	v_and_b32_e32 v14, 7, v14
	v_cmp_eq_u16_e32 vcc, 0, v11
	v_cndmask_b32_e32 v10, v10, v14, vcc
	v_cndmask_b32_e32 v11, v11, v12, vcc
	v_lshlrev_b32_e32 v12, 24, v17
	v_mov_b32_e32 v14, 0x3b800000
	v_lshlrev_b32_e32 v10, 20, v10
	v_and_b32_e32 v12, 0x80000000, v12
	v_lshl_add_u32 v11, v11, 23, v14
	v_or3_b32 v10, v12, v11, v10
.LBB55_868:
	s_or_b64 exec, exec, s[6:7]
	s_movk_i32 s4, 0x7f
	v_cmp_gt_i16_sdwa s[6:7], v13, s4 src0_sel:BYTE_0 src1_sel:DWORD
	s_mov_b64 s[4:5], 0
                                        ; implicit-def: $sgpr10
	s_and_saveexec_b64 s[8:9], s[6:7]
	s_xor_b64 s[6:7], exec, s[8:9]
	s_cbranch_execnz .LBB55_2917
; %bb.869:
	s_or_saveexec_b64 s[6:7], s[6:7]
	v_mov_b32_e32 v11, s10
	s_xor_b64 exec, exec, s[6:7]
	s_cbranch_execnz .LBB55_2920
.LBB55_870:
	s_or_b64 exec, exec, s[6:7]
	s_and_saveexec_b64 s[6:7], s[4:5]
	s_cbranch_execz .LBB55_872
.LBB55_871:
	v_and_b32_e32 v11, 7, v13
	v_ffbh_u32_e32 v14, v11
	v_min_u32_e32 v14, 32, v14
	v_lshrrev_b16_e32 v12, 3, v13
	v_subrev_u32_e32 v15, 28, v14
	v_and_b32_e32 v12, 15, v12
	v_lshlrev_b32_e32 v15, v15, v13
	v_sub_u32_e32 v14, 29, v14
	v_and_b32_e32 v15, 7, v15
	v_cmp_eq_u16_e32 vcc, 0, v12
	v_cndmask_b32_e32 v11, v11, v15, vcc
	v_cndmask_b32_e32 v12, v12, v14, vcc
	v_lshlrev_b32_e32 v14, 24, v13
	v_mov_b32_e32 v15, 0x3b800000
	v_lshlrev_b32_e32 v11, 20, v11
	v_and_b32_e32 v14, 0x80000000, v14
	v_lshl_add_u32 v12, v12, 23, v15
	v_or3_b32 v11, v14, v12, v11
.LBB55_872:
	s_or_b64 exec, exec, s[6:7]
	s_nop 0
	v_mfma_f32_16x16x4f32 a[0:3], v10, v11, a[0:3]
	v_lshrrev_b32_e32 v11, 8, v17
	s_movk_i32 s4, 0x7f
	v_cmp_gt_i16_sdwa s[6:7], v11, s4 src0_sel:BYTE_0 src1_sel:DWORD
	s_mov_b64 s[4:5], 0
                                        ; implicit-def: $sgpr10
	s_and_saveexec_b64 s[8:9], s[6:7]
	s_xor_b64 s[6:7], exec, s[8:9]
	s_cbranch_execnz .LBB55_2921
; %bb.873:
	s_or_saveexec_b64 s[6:7], s[6:7]
	v_mov_b32_e32 v10, s10
	s_xor_b64 exec, exec, s[6:7]
	s_cbranch_execnz .LBB55_2924
.LBB55_874:
	s_or_b64 exec, exec, s[6:7]
	s_and_saveexec_b64 s[6:7], s[4:5]
	s_cbranch_execz .LBB55_876
.LBB55_875:
	v_bfe_u32 v10, v17, 8, 3
	v_ffbh_u32_e32 v14, v10
	v_min_u32_e32 v14, 32, v14
	v_lshrrev_b16_e32 v12, 3, v11
	v_subrev_u32_e32 v15, 28, v14
	v_and_b32_e32 v12, 15, v12
	v_lshlrev_b32_e32 v11, v15, v11
	v_sub_u32_e32 v14, 29, v14
	v_and_b32_e32 v11, 7, v11
	v_cmp_eq_u16_e32 vcc, 0, v12
	v_cndmask_b32_e32 v10, v10, v11, vcc
	v_cndmask_b32_e32 v11, v12, v14, vcc
	v_lshlrev_b32_e32 v12, 16, v17
	v_mov_b32_e32 v14, 0x3b800000
	v_lshlrev_b32_e32 v10, 20, v10
	v_and_b32_e32 v12, 0x80000000, v12
	v_lshl_add_u32 v11, v11, 23, v14
	v_or3_b32 v10, v12, v11, v10
.LBB55_876:
	s_or_b64 exec, exec, s[6:7]
	v_lshrrev_b32_e32 v11, 8, v13
	s_movk_i32 s4, 0x7f
	v_cmp_gt_i16_sdwa s[6:7], v11, s4 src0_sel:BYTE_0 src1_sel:DWORD
	s_mov_b64 s[4:5], 0
                                        ; implicit-def: $sgpr10
	s_and_saveexec_b64 s[8:9], s[6:7]
	s_xor_b64 s[6:7], exec, s[8:9]
	s_cbranch_execnz .LBB55_2925
; %bb.877:
	s_or_saveexec_b64 s[6:7], s[6:7]
	v_mov_b32_e32 v12, s10
	s_xor_b64 exec, exec, s[6:7]
	s_cbranch_execnz .LBB55_2928
.LBB55_878:
	s_or_b64 exec, exec, s[6:7]
	s_and_saveexec_b64 s[6:7], s[4:5]
	s_cbranch_execz .LBB55_880
.LBB55_879:
	v_bfe_u32 v12, v13, 8, 3
	v_ffbh_u32_e32 v15, v12
	v_min_u32_e32 v15, 32, v15
	v_lshrrev_b16_e32 v14, 3, v11
	v_subrev_u32_e32 v16, 28, v15
	v_and_b32_e32 v14, 15, v14
	v_lshlrev_b32_e32 v11, v16, v11
	v_sub_u32_e32 v15, 29, v15
	v_and_b32_e32 v11, 7, v11
	v_cmp_eq_u16_e32 vcc, 0, v14
	v_cndmask_b32_e32 v11, v12, v11, vcc
	v_cndmask_b32_e32 v12, v14, v15, vcc
	v_lshlrev_b32_e32 v14, 16, v13
	v_mov_b32_e32 v15, 0x3b800000
	v_lshlrev_b32_e32 v11, 20, v11
	v_and_b32_e32 v14, 0x80000000, v14
	v_lshl_add_u32 v12, v12, 23, v15
	v_or3_b32 v12, v14, v12, v11
.LBB55_880:
	s_or_b64 exec, exec, s[6:7]
	s_nop 0
	v_mfma_f32_16x16x4f32 a[0:3], v10, v12, a[0:3]
	s_movk_i32 s4, 0xff
	v_and_b32_sdwa v11, v17, s4 dst_sel:DWORD dst_unused:UNUSED_PAD src0_sel:WORD_1 src1_sel:DWORD
	s_movk_i32 s4, 0x7f
	v_cmp_lt_i16_e32 vcc, s4, v11
	s_mov_b64 s[4:5], 0
                                        ; implicit-def: $sgpr10
	s_and_saveexec_b64 s[6:7], vcc
	s_xor_b64 s[6:7], exec, s[6:7]
	s_cbranch_execnz .LBB55_2929
; %bb.881:
	s_or_saveexec_b64 s[6:7], s[6:7]
	v_mov_b32_e32 v10, s10
	s_xor_b64 exec, exec, s[6:7]
	s_cbranch_execnz .LBB55_2932
.LBB55_882:
	s_or_b64 exec, exec, s[6:7]
	s_and_saveexec_b64 s[6:7], s[4:5]
	s_cbranch_execz .LBB55_884
.LBB55_883:
	v_bfe_u32 v10, v17, 16, 3
	v_ffbh_u32_e32 v14, v10
	v_min_u32_e32 v14, 32, v14
	v_lshrrev_b32_e32 v11, 19, v17
	v_subrev_u32_e32 v15, 28, v14
	v_and_b32_e32 v11, 15, v11
	v_lshlrev_b32_sdwa v15, v15, v17 dst_sel:DWORD dst_unused:UNUSED_PAD src0_sel:DWORD src1_sel:WORD_1
	v_bfe_u32 v12, v17, 19, 4
	v_sub_u32_e32 v14, 29, v14
	v_and_b32_e32 v15, 7, v15
	v_cmp_eq_u16_e32 vcc, 0, v11
	v_cndmask_b32_e32 v10, v10, v15, vcc
	v_cndmask_b32_e32 v11, v12, v14, vcc
	v_lshlrev_b32_e32 v12, 8, v17
	v_mov_b32_e32 v14, 0x3b800000
	v_lshlrev_b32_e32 v10, 20, v10
	v_and_b32_e32 v12, 0x80000000, v12
	v_lshl_add_u32 v11, v11, 23, v14
	v_or3_b32 v10, v12, v11, v10
.LBB55_884:
	s_or_b64 exec, exec, s[6:7]
	s_movk_i32 s4, 0xff
	v_and_b32_sdwa v11, v13, s4 dst_sel:DWORD dst_unused:UNUSED_PAD src0_sel:WORD_1 src1_sel:DWORD
	s_movk_i32 s4, 0x7f
	v_cmp_lt_i16_e32 vcc, s4, v11
	s_mov_b64 s[4:5], 0
                                        ; implicit-def: $sgpr10
	s_and_saveexec_b64 s[6:7], vcc
	s_xor_b64 s[6:7], exec, s[6:7]
	s_cbranch_execnz .LBB55_2933
; %bb.885:
	s_or_saveexec_b64 s[6:7], s[6:7]
	v_mov_b32_e32 v12, s10
	s_xor_b64 exec, exec, s[6:7]
	s_cbranch_execnz .LBB55_2936
.LBB55_886:
	s_or_b64 exec, exec, s[6:7]
	s_and_saveexec_b64 s[6:7], s[4:5]
	s_cbranch_execz .LBB55_888
.LBB55_887:
	v_bfe_u32 v11, v13, 16, 3
	v_ffbh_u32_e32 v15, v11
	v_min_u32_e32 v15, 32, v15
	v_lshrrev_b32_e32 v12, 19, v13
	v_subrev_u32_e32 v16, 28, v15
	v_and_b32_e32 v12, 15, v12
	v_lshlrev_b32_sdwa v16, v16, v13 dst_sel:DWORD dst_unused:UNUSED_PAD src0_sel:DWORD src1_sel:WORD_1
	v_bfe_u32 v14, v13, 19, 4
	v_sub_u32_e32 v15, 29, v15
	v_and_b32_e32 v16, 7, v16
	v_cmp_eq_u16_e32 vcc, 0, v12
	v_cndmask_b32_e32 v11, v11, v16, vcc
	v_cndmask_b32_e32 v12, v14, v15, vcc
	v_lshlrev_b32_e32 v14, 8, v13
	v_mov_b32_e32 v15, 0x3b800000
	v_lshlrev_b32_e32 v11, 20, v11
	v_and_b32_e32 v14, 0x80000000, v14
	v_lshl_add_u32 v12, v12, 23, v15
	v_or3_b32 v12, v14, v12, v11
.LBB55_888:
	s_or_b64 exec, exec, s[6:7]
	s_nop 0
	v_mfma_f32_16x16x4f32 a[0:3], v10, v12, a[0:3]
	s_movk_i32 s4, 0x7f
	v_cmp_gt_i16_sdwa s[6:7], v17, s4 src0_sel:BYTE_3 src1_sel:DWORD
	s_mov_b64 s[4:5], 0
                                        ; implicit-def: $sgpr10
	s_and_saveexec_b64 s[8:9], s[6:7]
	s_xor_b64 s[6:7], exec, s[8:9]
	s_cbranch_execnz .LBB55_2937
; %bb.889:
	s_or_saveexec_b64 s[6:7], s[6:7]
	v_mov_b32_e32 v10, s10
	s_xor_b64 exec, exec, s[6:7]
	s_cbranch_execnz .LBB55_2940
.LBB55_890:
	s_or_b64 exec, exec, s[6:7]
	s_and_saveexec_b64 s[6:7], s[4:5]
	s_cbranch_execz .LBB55_892
.LBB55_891:
	v_bfe_u32 v10, v17, 24, 3
	v_ffbh_u32_e32 v15, v10
	v_min_u32_e32 v15, 32, v15
	v_lshrrev_b32_e32 v12, 27, v17
	v_subrev_u32_e32 v16, 28, v15
	v_and_b32_e32 v12, 15, v12
	v_lshlrev_b32_sdwa v16, v16, v17 dst_sel:DWORD dst_unused:UNUSED_PAD src0_sel:DWORD src1_sel:BYTE_3
	v_bfe_u32 v14, v17, 27, 4
	v_sub_u32_e32 v15, 29, v15
	v_and_b32_e32 v16, 7, v16
	v_cmp_eq_u16_e32 vcc, 0, v12
	v_cndmask_b32_e32 v10, v10, v16, vcc
	v_cndmask_b32_e32 v12, v14, v15, vcc
	v_mov_b32_e32 v14, 0x3b800000
	v_and_b32_e32 v11, 0x80000000, v17
	v_lshlrev_b32_e32 v10, 20, v10
	v_lshl_add_u32 v12, v12, 23, v14
	v_or3_b32 v10, v11, v12, v10
.LBB55_892:
	s_or_b64 exec, exec, s[6:7]
	s_movk_i32 s4, 0x7f
	v_cmp_gt_i16_sdwa s[6:7], v13, s4 src0_sel:BYTE_3 src1_sel:DWORD
	s_mov_b64 s[4:5], 0
                                        ; implicit-def: $sgpr10
	s_and_saveexec_b64 s[8:9], s[6:7]
	s_xor_b64 s[6:7], exec, s[8:9]
	s_cbranch_execnz .LBB55_2941
; %bb.893:
	s_or_saveexec_b64 s[6:7], s[6:7]
	v_mov_b32_e32 v11, s10
	s_xor_b64 exec, exec, s[6:7]
	s_cbranch_execnz .LBB55_2944
.LBB55_894:
	s_or_b64 exec, exec, s[6:7]
	s_and_saveexec_b64 s[6:7], s[4:5]
	s_cbranch_execz .LBB55_896
.LBB55_895:
	v_bfe_u32 v11, v13, 24, 3
	v_ffbh_u32_e32 v16, v11
	v_min_u32_e32 v16, 32, v16
	v_lshrrev_b32_e32 v14, 27, v13
	v_subrev_u32_e32 v17, 28, v16
	v_and_b32_e32 v12, 0x80000000, v13
	v_and_b32_e32 v14, 15, v14
	v_bfe_u32 v15, v13, 27, 4
	v_lshlrev_b32_sdwa v13, v17, v13 dst_sel:DWORD dst_unused:UNUSED_PAD src0_sel:DWORD src1_sel:BYTE_3
	v_sub_u32_e32 v16, 29, v16
	v_and_b32_e32 v13, 7, v13
	v_cmp_eq_u16_e32 vcc, 0, v14
	v_cndmask_b32_e32 v11, v11, v13, vcc
	v_cndmask_b32_e32 v13, v15, v16, vcc
	v_mov_b32_e32 v14, 0x3b800000
	v_lshlrev_b32_e32 v11, 20, v11
	v_lshl_add_u32 v13, v13, 23, v14
	v_or3_b32 v11, v12, v13, v11
.LBB55_896:
	s_or_b64 exec, exec, s[6:7]
	s_nop 0
	v_mfma_f32_16x16x4f32 a[0:3], v10, v11, a[0:3]
	s_movk_i32 s4, 0x7f
	v_cmp_gt_i16_sdwa s[6:7], v6, s4 src0_sel:BYTE_0 src1_sel:DWORD
	s_mov_b64 s[4:5], 0
                                        ; implicit-def: $sgpr10
	s_and_saveexec_b64 s[8:9], s[6:7]
	s_xor_b64 s[6:7], exec, s[8:9]
	s_cbranch_execnz .LBB55_2945
; %bb.897:
	s_or_saveexec_b64 s[6:7], s[6:7]
	v_mov_b32_e32 v10, s10
	s_xor_b64 exec, exec, s[6:7]
	s_cbranch_execnz .LBB55_2948
.LBB55_898:
	s_or_b64 exec, exec, s[6:7]
	s_and_saveexec_b64 s[6:7], s[4:5]
	s_cbranch_execz .LBB55_900
.LBB55_899:
	v_and_b32_e32 v10, 7, v6
	v_ffbh_u32_e32 v12, v10
	v_min_u32_e32 v12, 32, v12
	v_lshrrev_b16_e32 v11, 3, v6
	v_subrev_u32_e32 v13, 28, v12
	v_and_b32_e32 v11, 15, v11
	v_lshlrev_b32_e32 v13, v13, v6
	v_sub_u32_e32 v12, 29, v12
	v_and_b32_e32 v13, 7, v13
	v_cmp_eq_u16_e32 vcc, 0, v11
	v_cndmask_b32_e32 v10, v10, v13, vcc
	v_cndmask_b32_e32 v11, v11, v12, vcc
	v_lshlrev_b32_e32 v12, 24, v6
	v_mov_b32_e32 v13, 0x3b800000
	v_lshlrev_b32_e32 v10, 20, v10
	v_and_b32_e32 v12, 0x80000000, v12
	v_lshl_add_u32 v11, v11, 23, v13
	v_or3_b32 v10, v12, v11, v10
.LBB55_900:
	s_or_b64 exec, exec, s[6:7]
	s_movk_i32 s4, 0x7f
	v_cmp_gt_i16_sdwa s[6:7], v2, s4 src0_sel:BYTE_0 src1_sel:DWORD
	s_mov_b64 s[4:5], 0
                                        ; implicit-def: $sgpr10
	s_and_saveexec_b64 s[8:9], s[6:7]
	s_xor_b64 s[6:7], exec, s[8:9]
	s_cbranch_execnz .LBB55_2949
; %bb.901:
	s_or_saveexec_b64 s[6:7], s[6:7]
	v_mov_b32_e32 v11, s10
	s_xor_b64 exec, exec, s[6:7]
	s_cbranch_execnz .LBB55_2952
.LBB55_902:
	s_or_b64 exec, exec, s[6:7]
	s_and_saveexec_b64 s[6:7], s[4:5]
	s_cbranch_execz .LBB55_904
.LBB55_903:
	v_and_b32_e32 v11, 7, v2
	v_ffbh_u32_e32 v13, v11
	v_min_u32_e32 v13, 32, v13
	v_lshrrev_b16_e32 v12, 3, v2
	v_subrev_u32_e32 v14, 28, v13
	v_and_b32_e32 v12, 15, v12
	v_lshlrev_b32_e32 v14, v14, v2
	v_sub_u32_e32 v13, 29, v13
	v_and_b32_e32 v14, 7, v14
	v_cmp_eq_u16_e32 vcc, 0, v12
	v_cndmask_b32_e32 v11, v11, v14, vcc
	v_cndmask_b32_e32 v12, v12, v13, vcc
	v_lshlrev_b32_e32 v13, 24, v2
	v_mov_b32_e32 v14, 0x3b800000
	v_lshlrev_b32_e32 v11, 20, v11
	v_and_b32_e32 v13, 0x80000000, v13
	v_lshl_add_u32 v12, v12, 23, v14
	v_or3_b32 v11, v13, v12, v11
.LBB55_904:
	s_or_b64 exec, exec, s[6:7]
	s_nop 0
	v_mfma_f32_16x16x4f32 a[0:3], v10, v11, a[0:3]
	v_lshrrev_b32_e32 v11, 8, v6
	s_movk_i32 s4, 0x7f
	v_cmp_gt_i16_sdwa s[6:7], v11, s4 src0_sel:BYTE_0 src1_sel:DWORD
	s_mov_b64 s[4:5], 0
                                        ; implicit-def: $sgpr10
	s_and_saveexec_b64 s[8:9], s[6:7]
	s_xor_b64 s[6:7], exec, s[8:9]
	s_cbranch_execnz .LBB55_2953
; %bb.905:
	s_or_saveexec_b64 s[6:7], s[6:7]
	v_mov_b32_e32 v10, s10
	s_xor_b64 exec, exec, s[6:7]
	s_cbranch_execnz .LBB55_2956
.LBB55_906:
	s_or_b64 exec, exec, s[6:7]
	s_and_saveexec_b64 s[6:7], s[4:5]
	s_cbranch_execz .LBB55_908
.LBB55_907:
	v_bfe_u32 v10, v6, 8, 3
	v_ffbh_u32_e32 v13, v10
	v_min_u32_e32 v13, 32, v13
	v_lshrrev_b16_e32 v12, 3, v11
	v_subrev_u32_e32 v14, 28, v13
	v_and_b32_e32 v12, 15, v12
	v_lshlrev_b32_e32 v11, v14, v11
	v_sub_u32_e32 v13, 29, v13
	v_and_b32_e32 v11, 7, v11
	v_cmp_eq_u16_e32 vcc, 0, v12
	v_cndmask_b32_e32 v10, v10, v11, vcc
	v_cndmask_b32_e32 v11, v12, v13, vcc
	v_lshlrev_b32_e32 v12, 16, v6
	v_mov_b32_e32 v13, 0x3b800000
	v_lshlrev_b32_e32 v10, 20, v10
	v_and_b32_e32 v12, 0x80000000, v12
	v_lshl_add_u32 v11, v11, 23, v13
	v_or3_b32 v10, v12, v11, v10
.LBB55_908:
	s_or_b64 exec, exec, s[6:7]
	v_lshrrev_b32_e32 v11, 8, v2
	s_movk_i32 s4, 0x7f
	v_cmp_gt_i16_sdwa s[6:7], v11, s4 src0_sel:BYTE_0 src1_sel:DWORD
	s_mov_b64 s[4:5], 0
                                        ; implicit-def: $sgpr10
	s_and_saveexec_b64 s[8:9], s[6:7]
	s_xor_b64 s[6:7], exec, s[8:9]
	s_cbranch_execnz .LBB55_2957
; %bb.909:
	s_or_saveexec_b64 s[6:7], s[6:7]
	v_mov_b32_e32 v12, s10
	s_xor_b64 exec, exec, s[6:7]
	s_cbranch_execnz .LBB55_2960
.LBB55_910:
	s_or_b64 exec, exec, s[6:7]
	s_and_saveexec_b64 s[6:7], s[4:5]
	s_cbranch_execz .LBB55_912
.LBB55_911:
	v_bfe_u32 v12, v2, 8, 3
	v_ffbh_u32_e32 v14, v12
	v_min_u32_e32 v14, 32, v14
	v_lshrrev_b16_e32 v13, 3, v11
	v_subrev_u32_e32 v15, 28, v14
	v_and_b32_e32 v13, 15, v13
	v_lshlrev_b32_e32 v11, v15, v11
	v_sub_u32_e32 v14, 29, v14
	v_and_b32_e32 v11, 7, v11
	v_cmp_eq_u16_e32 vcc, 0, v13
	v_cndmask_b32_e32 v11, v12, v11, vcc
	v_cndmask_b32_e32 v12, v13, v14, vcc
	v_lshlrev_b32_e32 v13, 16, v2
	v_mov_b32_e32 v14, 0x3b800000
	v_lshlrev_b32_e32 v11, 20, v11
	v_and_b32_e32 v13, 0x80000000, v13
	v_lshl_add_u32 v12, v12, 23, v14
	v_or3_b32 v12, v13, v12, v11
.LBB55_912:
	s_or_b64 exec, exec, s[6:7]
	s_nop 0
	v_mfma_f32_16x16x4f32 a[0:3], v10, v12, a[0:3]
	s_movk_i32 s4, 0xff
	v_and_b32_sdwa v11, v6, s4 dst_sel:DWORD dst_unused:UNUSED_PAD src0_sel:WORD_1 src1_sel:DWORD
	s_movk_i32 s4, 0x7f
	v_cmp_lt_i16_e32 vcc, s4, v11
	s_mov_b64 s[4:5], 0
                                        ; implicit-def: $sgpr10
	s_and_saveexec_b64 s[6:7], vcc
	s_xor_b64 s[6:7], exec, s[6:7]
	s_cbranch_execnz .LBB55_2961
; %bb.913:
	s_or_saveexec_b64 s[6:7], s[6:7]
	v_mov_b32_e32 v10, s10
	s_xor_b64 exec, exec, s[6:7]
	s_cbranch_execnz .LBB55_2964
.LBB55_914:
	s_or_b64 exec, exec, s[6:7]
	s_and_saveexec_b64 s[6:7], s[4:5]
	s_cbranch_execz .LBB55_916
.LBB55_915:
	v_bfe_u32 v10, v6, 16, 3
	v_ffbh_u32_e32 v13, v10
	v_min_u32_e32 v13, 32, v13
	v_lshrrev_b32_e32 v11, 19, v6
	v_subrev_u32_e32 v14, 28, v13
	v_and_b32_e32 v11, 15, v11
	v_lshlrev_b32_sdwa v14, v14, v6 dst_sel:DWORD dst_unused:UNUSED_PAD src0_sel:DWORD src1_sel:WORD_1
	v_bfe_u32 v12, v6, 19, 4
	v_sub_u32_e32 v13, 29, v13
	v_and_b32_e32 v14, 7, v14
	v_cmp_eq_u16_e32 vcc, 0, v11
	v_cndmask_b32_e32 v10, v10, v14, vcc
	v_cndmask_b32_e32 v11, v12, v13, vcc
	v_lshlrev_b32_e32 v12, 8, v6
	v_mov_b32_e32 v13, 0x3b800000
	v_lshlrev_b32_e32 v10, 20, v10
	v_and_b32_e32 v12, 0x80000000, v12
	v_lshl_add_u32 v11, v11, 23, v13
	v_or3_b32 v10, v12, v11, v10
.LBB55_916:
	s_or_b64 exec, exec, s[6:7]
	s_movk_i32 s4, 0xff
	v_and_b32_sdwa v11, v2, s4 dst_sel:DWORD dst_unused:UNUSED_PAD src0_sel:WORD_1 src1_sel:DWORD
	s_movk_i32 s4, 0x7f
	v_cmp_lt_i16_e32 vcc, s4, v11
	s_mov_b64 s[4:5], 0
                                        ; implicit-def: $sgpr10
	s_and_saveexec_b64 s[6:7], vcc
	s_xor_b64 s[6:7], exec, s[6:7]
	s_cbranch_execnz .LBB55_2965
; %bb.917:
	s_or_saveexec_b64 s[6:7], s[6:7]
	v_mov_b32_e32 v12, s10
	s_xor_b64 exec, exec, s[6:7]
	s_cbranch_execnz .LBB55_2968
.LBB55_918:
	s_or_b64 exec, exec, s[6:7]
	s_and_saveexec_b64 s[6:7], s[4:5]
	s_cbranch_execz .LBB55_920
.LBB55_919:
	v_bfe_u32 v11, v2, 16, 3
	v_ffbh_u32_e32 v14, v11
	v_min_u32_e32 v14, 32, v14
	v_lshrrev_b32_e32 v12, 19, v2
	v_subrev_u32_e32 v15, 28, v14
	v_and_b32_e32 v12, 15, v12
	v_lshlrev_b32_sdwa v15, v15, v2 dst_sel:DWORD dst_unused:UNUSED_PAD src0_sel:DWORD src1_sel:WORD_1
	v_bfe_u32 v13, v2, 19, 4
	v_sub_u32_e32 v14, 29, v14
	v_and_b32_e32 v15, 7, v15
	v_cmp_eq_u16_e32 vcc, 0, v12
	v_cndmask_b32_e32 v11, v11, v15, vcc
	v_cndmask_b32_e32 v12, v13, v14, vcc
	v_lshlrev_b32_e32 v13, 8, v2
	v_mov_b32_e32 v14, 0x3b800000
	v_lshlrev_b32_e32 v11, 20, v11
	v_and_b32_e32 v13, 0x80000000, v13
	v_lshl_add_u32 v12, v12, 23, v14
	v_or3_b32 v12, v13, v12, v11
.LBB55_920:
	s_or_b64 exec, exec, s[6:7]
	s_nop 0
	v_mfma_f32_16x16x4f32 a[0:3], v10, v12, a[0:3]
	s_movk_i32 s4, 0x7f
	v_cmp_gt_i16_sdwa s[6:7], v6, s4 src0_sel:BYTE_3 src1_sel:DWORD
	s_mov_b64 s[4:5], 0
                                        ; implicit-def: $sgpr10
	s_and_saveexec_b64 s[8:9], s[6:7]
	s_xor_b64 s[6:7], exec, s[8:9]
	s_cbranch_execnz .LBB55_2969
; %bb.921:
	s_or_saveexec_b64 s[6:7], s[6:7]
	v_mov_b32_e32 v10, s10
	s_xor_b64 exec, exec, s[6:7]
	s_cbranch_execnz .LBB55_2972
.LBB55_922:
	s_or_b64 exec, exec, s[6:7]
	s_and_saveexec_b64 s[6:7], s[4:5]
	s_cbranch_execz .LBB55_924
.LBB55_923:
	v_bfe_u32 v10, v6, 24, 3
	v_ffbh_u32_e32 v14, v10
	v_min_u32_e32 v14, 32, v14
	v_lshrrev_b32_e32 v12, 27, v6
	v_subrev_u32_e32 v15, 28, v14
	v_and_b32_e32 v11, 0x80000000, v6
	v_and_b32_e32 v12, 15, v12
	v_bfe_u32 v13, v6, 27, 4
	v_lshlrev_b32_sdwa v6, v15, v6 dst_sel:DWORD dst_unused:UNUSED_PAD src0_sel:DWORD src1_sel:BYTE_3
	v_sub_u32_e32 v14, 29, v14
	v_and_b32_e32 v6, 7, v6
	v_cmp_eq_u16_e32 vcc, 0, v12
	v_cndmask_b32_e32 v6, v10, v6, vcc
	v_cndmask_b32_e32 v10, v13, v14, vcc
	v_mov_b32_e32 v12, 0x3b800000
	v_lshlrev_b32_e32 v6, 20, v6
	v_lshl_add_u32 v10, v10, 23, v12
	v_or3_b32 v10, v11, v10, v6
.LBB55_924:
	s_or_b64 exec, exec, s[6:7]
	s_movk_i32 s4, 0x7f
	v_cmp_gt_i16_sdwa s[6:7], v2, s4 src0_sel:BYTE_3 src1_sel:DWORD
	s_mov_b64 s[4:5], 0
                                        ; implicit-def: $sgpr10
	s_and_saveexec_b64 s[8:9], s[6:7]
	s_xor_b64 s[6:7], exec, s[8:9]
	s_cbranch_execnz .LBB55_2973
; %bb.925:
	s_or_saveexec_b64 s[6:7], s[6:7]
	v_mov_b32_e32 v6, s10
	s_xor_b64 exec, exec, s[6:7]
	s_cbranch_execnz .LBB55_2976
.LBB55_926:
	s_or_b64 exec, exec, s[6:7]
	s_and_saveexec_b64 s[6:7], s[4:5]
	s_cbranch_execz .LBB55_928
.LBB55_927:
	v_bfe_u32 v6, v2, 24, 3
	v_ffbh_u32_e32 v14, v6
	v_min_u32_e32 v14, 32, v14
	v_lshrrev_b32_e32 v12, 27, v2
	v_subrev_u32_e32 v15, 28, v14
	v_and_b32_e32 v11, 0x80000000, v2
	v_and_b32_e32 v12, 15, v12
	v_bfe_u32 v13, v2, 27, 4
	v_lshlrev_b32_sdwa v2, v15, v2 dst_sel:DWORD dst_unused:UNUSED_PAD src0_sel:DWORD src1_sel:BYTE_3
	v_sub_u32_e32 v14, 29, v14
	v_and_b32_e32 v2, 7, v2
	v_cmp_eq_u16_e32 vcc, 0, v12
	v_cndmask_b32_e32 v2, v6, v2, vcc
	v_cndmask_b32_e32 v6, v13, v14, vcc
	v_mov_b32_e32 v12, 0x3b800000
	v_lshlrev_b32_e32 v2, 20, v2
	v_lshl_add_u32 v6, v6, 23, v12
	v_or3_b32 v6, v11, v6, v2
.LBB55_928:
	s_or_b64 exec, exec, s[6:7]
	s_nop 0
	v_mfma_f32_16x16x4f32 a[0:3], v10, v6, a[0:3]
	s_movk_i32 s4, 0x7f
	v_cmp_gt_i16_sdwa s[6:7], v7, s4 src0_sel:BYTE_0 src1_sel:DWORD
	s_mov_b64 s[4:5], 0
                                        ; implicit-def: $sgpr10
	s_and_saveexec_b64 s[8:9], s[6:7]
	s_xor_b64 s[6:7], exec, s[8:9]
	s_cbranch_execnz .LBB55_2977
; %bb.929:
	s_or_saveexec_b64 s[6:7], s[6:7]
	v_mov_b32_e32 v2, s10
	s_xor_b64 exec, exec, s[6:7]
	s_cbranch_execnz .LBB55_2980
.LBB55_930:
	s_or_b64 exec, exec, s[6:7]
	s_and_saveexec_b64 s[6:7], s[4:5]
	s_cbranch_execz .LBB55_932
.LBB55_931:
	v_and_b32_e32 v2, 7, v7
	v_ffbh_u32_e32 v10, v2
	v_min_u32_e32 v10, 32, v10
	v_lshrrev_b16_e32 v6, 3, v7
	v_subrev_u32_e32 v11, 28, v10
	v_and_b32_e32 v6, 15, v6
	v_lshlrev_b32_e32 v11, v11, v7
	v_sub_u32_e32 v10, 29, v10
	v_and_b32_e32 v11, 7, v11
	v_cmp_eq_u16_e32 vcc, 0, v6
	v_cndmask_b32_e32 v2, v2, v11, vcc
	v_cndmask_b32_e32 v6, v6, v10, vcc
	v_lshlrev_b32_e32 v10, 24, v7
	v_mov_b32_e32 v11, 0x3b800000
	v_lshlrev_b32_e32 v2, 20, v2
	v_and_b32_e32 v10, 0x80000000, v10
	v_lshl_add_u32 v6, v6, 23, v11
	v_or3_b32 v2, v10, v6, v2
.LBB55_932:
	s_or_b64 exec, exec, s[6:7]
	s_movk_i32 s4, 0x7f
	v_cmp_gt_i16_sdwa s[6:7], v3, s4 src0_sel:BYTE_0 src1_sel:DWORD
	s_mov_b64 s[4:5], 0
                                        ; implicit-def: $sgpr10
	s_and_saveexec_b64 s[8:9], s[6:7]
	s_xor_b64 s[6:7], exec, s[8:9]
	s_cbranch_execnz .LBB55_2981
; %bb.933:
	s_or_saveexec_b64 s[6:7], s[6:7]
	v_mov_b32_e32 v6, s10
	s_xor_b64 exec, exec, s[6:7]
	s_cbranch_execnz .LBB55_2984
.LBB55_934:
	s_or_b64 exec, exec, s[6:7]
	s_and_saveexec_b64 s[6:7], s[4:5]
	s_cbranch_execz .LBB55_936
.LBB55_935:
	v_and_b32_e32 v6, 7, v3
	v_ffbh_u32_e32 v11, v6
	v_min_u32_e32 v11, 32, v11
	v_lshrrev_b16_e32 v10, 3, v3
	v_subrev_u32_e32 v12, 28, v11
	v_and_b32_e32 v10, 15, v10
	v_lshlrev_b32_e32 v12, v12, v3
	v_sub_u32_e32 v11, 29, v11
	v_and_b32_e32 v12, 7, v12
	v_cmp_eq_u16_e32 vcc, 0, v10
	v_cndmask_b32_e32 v6, v6, v12, vcc
	v_cndmask_b32_e32 v10, v10, v11, vcc
	v_lshlrev_b32_e32 v11, 24, v3
	v_mov_b32_e32 v12, 0x3b800000
	v_lshlrev_b32_e32 v6, 20, v6
	v_and_b32_e32 v11, 0x80000000, v11
	v_lshl_add_u32 v10, v10, 23, v12
	v_or3_b32 v6, v11, v10, v6
.LBB55_936:
	s_or_b64 exec, exec, s[6:7]
	s_nop 0
	v_mfma_f32_16x16x4f32 a[0:3], v2, v6, a[0:3]
	v_lshrrev_b32_e32 v6, 8, v7
	s_movk_i32 s4, 0x7f
	v_cmp_gt_i16_sdwa s[6:7], v6, s4 src0_sel:BYTE_0 src1_sel:DWORD
	s_mov_b64 s[4:5], 0
                                        ; implicit-def: $sgpr10
	s_and_saveexec_b64 s[8:9], s[6:7]
	s_xor_b64 s[6:7], exec, s[8:9]
	s_cbranch_execnz .LBB55_2985
; %bb.937:
	s_or_saveexec_b64 s[6:7], s[6:7]
	v_mov_b32_e32 v2, s10
	s_xor_b64 exec, exec, s[6:7]
	s_cbranch_execnz .LBB55_2988
.LBB55_938:
	s_or_b64 exec, exec, s[6:7]
	s_and_saveexec_b64 s[6:7], s[4:5]
	s_cbranch_execz .LBB55_940
.LBB55_939:
	v_bfe_u32 v2, v7, 8, 3
	v_ffbh_u32_e32 v11, v2
	v_min_u32_e32 v11, 32, v11
	v_lshrrev_b16_e32 v10, 3, v6
	v_subrev_u32_e32 v12, 28, v11
	v_and_b32_e32 v10, 15, v10
	v_lshlrev_b32_e32 v6, v12, v6
	v_sub_u32_e32 v11, 29, v11
	v_and_b32_e32 v6, 7, v6
	v_cmp_eq_u16_e32 vcc, 0, v10
	v_cndmask_b32_e32 v2, v2, v6, vcc
	v_cndmask_b32_e32 v6, v10, v11, vcc
	v_lshlrev_b32_e32 v10, 16, v7
	v_mov_b32_e32 v11, 0x3b800000
	v_lshlrev_b32_e32 v2, 20, v2
	v_and_b32_e32 v10, 0x80000000, v10
	v_lshl_add_u32 v6, v6, 23, v11
	v_or3_b32 v2, v10, v6, v2
.LBB55_940:
	s_or_b64 exec, exec, s[6:7]
	v_lshrrev_b32_e32 v6, 8, v3
	s_movk_i32 s4, 0x7f
	v_cmp_gt_i16_sdwa s[6:7], v6, s4 src0_sel:BYTE_0 src1_sel:DWORD
	s_mov_b64 s[4:5], 0
                                        ; implicit-def: $sgpr10
	s_and_saveexec_b64 s[8:9], s[6:7]
	s_xor_b64 s[6:7], exec, s[8:9]
	s_cbranch_execnz .LBB55_2989
; %bb.941:
	s_or_saveexec_b64 s[6:7], s[6:7]
	v_mov_b32_e32 v10, s10
	s_xor_b64 exec, exec, s[6:7]
	s_cbranch_execnz .LBB55_2992
.LBB55_942:
	s_or_b64 exec, exec, s[6:7]
	s_and_saveexec_b64 s[6:7], s[4:5]
	s_cbranch_execz .LBB55_944
.LBB55_943:
	v_bfe_u32 v10, v3, 8, 3
	v_ffbh_u32_e32 v12, v10
	v_min_u32_e32 v12, 32, v12
	v_lshrrev_b16_e32 v11, 3, v6
	v_subrev_u32_e32 v13, 28, v12
	v_and_b32_e32 v11, 15, v11
	v_lshlrev_b32_e32 v6, v13, v6
	v_sub_u32_e32 v12, 29, v12
	v_and_b32_e32 v6, 7, v6
	v_cmp_eq_u16_e32 vcc, 0, v11
	v_cndmask_b32_e32 v6, v10, v6, vcc
	v_cndmask_b32_e32 v10, v11, v12, vcc
	v_lshlrev_b32_e32 v11, 16, v3
	v_mov_b32_e32 v12, 0x3b800000
	v_lshlrev_b32_e32 v6, 20, v6
	v_and_b32_e32 v11, 0x80000000, v11
	v_lshl_add_u32 v10, v10, 23, v12
	v_or3_b32 v10, v11, v10, v6
.LBB55_944:
	s_or_b64 exec, exec, s[6:7]
	s_nop 0
	v_mfma_f32_16x16x4f32 a[0:3], v2, v10, a[0:3]
	s_movk_i32 s4, 0xff
	v_and_b32_sdwa v6, v7, s4 dst_sel:DWORD dst_unused:UNUSED_PAD src0_sel:WORD_1 src1_sel:DWORD
	s_movk_i32 s4, 0x7f
	v_cmp_lt_i16_e32 vcc, s4, v6
	s_mov_b64 s[4:5], 0
                                        ; implicit-def: $sgpr10
	s_and_saveexec_b64 s[6:7], vcc
	s_xor_b64 s[6:7], exec, s[6:7]
	s_cbranch_execnz .LBB55_2993
; %bb.945:
	s_or_saveexec_b64 s[6:7], s[6:7]
	v_mov_b32_e32 v2, s10
	s_xor_b64 exec, exec, s[6:7]
	s_cbranch_execnz .LBB55_2996
.LBB55_946:
	s_or_b64 exec, exec, s[6:7]
	s_and_saveexec_b64 s[6:7], s[4:5]
	s_cbranch_execz .LBB55_948
.LBB55_947:
	v_bfe_u32 v2, v7, 16, 3
	v_ffbh_u32_e32 v11, v2
	v_min_u32_e32 v11, 32, v11
	v_lshrrev_b32_e32 v6, 19, v7
	v_subrev_u32_e32 v12, 28, v11
	v_and_b32_e32 v6, 15, v6
	v_lshlrev_b32_sdwa v12, v12, v7 dst_sel:DWORD dst_unused:UNUSED_PAD src0_sel:DWORD src1_sel:WORD_1
	v_bfe_u32 v10, v7, 19, 4
	v_sub_u32_e32 v11, 29, v11
	v_and_b32_e32 v12, 7, v12
	v_cmp_eq_u16_e32 vcc, 0, v6
	v_cndmask_b32_e32 v2, v2, v12, vcc
	v_cndmask_b32_e32 v6, v10, v11, vcc
	v_lshlrev_b32_e32 v10, 8, v7
	v_mov_b32_e32 v11, 0x3b800000
	v_lshlrev_b32_e32 v2, 20, v2
	v_and_b32_e32 v10, 0x80000000, v10
	v_lshl_add_u32 v6, v6, 23, v11
	v_or3_b32 v2, v10, v6, v2
.LBB55_948:
	s_or_b64 exec, exec, s[6:7]
	s_movk_i32 s4, 0xff
	v_and_b32_sdwa v6, v3, s4 dst_sel:DWORD dst_unused:UNUSED_PAD src0_sel:WORD_1 src1_sel:DWORD
	s_movk_i32 s4, 0x7f
	v_cmp_lt_i16_e32 vcc, s4, v6
	s_mov_b64 s[4:5], 0
                                        ; implicit-def: $sgpr10
	s_and_saveexec_b64 s[6:7], vcc
	s_xor_b64 s[6:7], exec, s[6:7]
	s_cbranch_execnz .LBB55_2997
; %bb.949:
	s_or_saveexec_b64 s[6:7], s[6:7]
	v_mov_b32_e32 v10, s10
	s_xor_b64 exec, exec, s[6:7]
	s_cbranch_execnz .LBB55_3000
.LBB55_950:
	s_or_b64 exec, exec, s[6:7]
	s_and_saveexec_b64 s[6:7], s[4:5]
	s_cbranch_execz .LBB55_952
.LBB55_951:
	v_bfe_u32 v6, v3, 16, 3
	v_ffbh_u32_e32 v12, v6
	v_min_u32_e32 v12, 32, v12
	v_lshrrev_b32_e32 v10, 19, v3
	v_subrev_u32_e32 v13, 28, v12
	v_and_b32_e32 v10, 15, v10
	v_lshlrev_b32_sdwa v13, v13, v3 dst_sel:DWORD dst_unused:UNUSED_PAD src0_sel:DWORD src1_sel:WORD_1
	v_bfe_u32 v11, v3, 19, 4
	v_sub_u32_e32 v12, 29, v12
	v_and_b32_e32 v13, 7, v13
	v_cmp_eq_u16_e32 vcc, 0, v10
	v_cndmask_b32_e32 v6, v6, v13, vcc
	v_cndmask_b32_e32 v10, v11, v12, vcc
	v_lshlrev_b32_e32 v11, 8, v3
	v_mov_b32_e32 v12, 0x3b800000
	v_lshlrev_b32_e32 v6, 20, v6
	v_and_b32_e32 v11, 0x80000000, v11
	v_lshl_add_u32 v10, v10, 23, v12
	v_or3_b32 v10, v11, v10, v6
.LBB55_952:
	s_or_b64 exec, exec, s[6:7]
	s_nop 0
	v_mfma_f32_16x16x4f32 a[0:3], v2, v10, a[0:3]
	s_movk_i32 s4, 0x7f
	v_cmp_gt_i16_sdwa s[6:7], v7, s4 src0_sel:BYTE_3 src1_sel:DWORD
	s_mov_b64 s[4:5], 0
                                        ; implicit-def: $sgpr10
	s_and_saveexec_b64 s[8:9], s[6:7]
	s_xor_b64 s[6:7], exec, s[8:9]
	s_cbranch_execnz .LBB55_3001
; %bb.953:
	s_or_saveexec_b64 s[6:7], s[6:7]
	v_mov_b32_e32 v2, s10
	s_xor_b64 exec, exec, s[6:7]
	s_cbranch_execnz .LBB55_3004
.LBB55_954:
	s_or_b64 exec, exec, s[6:7]
	s_and_saveexec_b64 s[6:7], s[4:5]
	s_cbranch_execz .LBB55_956
.LBB55_955:
	v_bfe_u32 v2, v7, 24, 3
	v_ffbh_u32_e32 v12, v2
	v_min_u32_e32 v12, 32, v12
	v_lshrrev_b32_e32 v10, 27, v7
	v_subrev_u32_e32 v13, 28, v12
	v_and_b32_e32 v6, 0x80000000, v7
	v_and_b32_e32 v10, 15, v10
	v_bfe_u32 v11, v7, 27, 4
	v_lshlrev_b32_sdwa v7, v13, v7 dst_sel:DWORD dst_unused:UNUSED_PAD src0_sel:DWORD src1_sel:BYTE_3
	v_sub_u32_e32 v12, 29, v12
	v_and_b32_e32 v7, 7, v7
	v_cmp_eq_u16_e32 vcc, 0, v10
	v_cndmask_b32_e32 v2, v2, v7, vcc
	v_cndmask_b32_e32 v7, v11, v12, vcc
	v_mov_b32_e32 v10, 0x3b800000
	v_lshlrev_b32_e32 v2, 20, v2
	v_lshl_add_u32 v7, v7, 23, v10
	v_or3_b32 v2, v6, v7, v2
.LBB55_956:
	s_or_b64 exec, exec, s[6:7]
	s_movk_i32 s4, 0x7f
	v_cmp_gt_i16_sdwa s[6:7], v3, s4 src0_sel:BYTE_3 src1_sel:DWORD
	s_mov_b64 s[4:5], 0
                                        ; implicit-def: $sgpr10
	s_and_saveexec_b64 s[8:9], s[6:7]
	s_xor_b64 s[6:7], exec, s[8:9]
	s_cbranch_execnz .LBB55_3005
; %bb.957:
	s_or_saveexec_b64 s[6:7], s[6:7]
	v_mov_b32_e32 v6, s10
	s_xor_b64 exec, exec, s[6:7]
	s_cbranch_execnz .LBB55_3008
.LBB55_958:
	s_or_b64 exec, exec, s[6:7]
	s_and_saveexec_b64 s[6:7], s[4:5]
	s_cbranch_execz .LBB55_960
.LBB55_959:
	v_bfe_u32 v6, v3, 24, 3
	v_ffbh_u32_e32 v12, v6
	v_min_u32_e32 v12, 32, v12
	v_lshrrev_b32_e32 v10, 27, v3
	v_subrev_u32_e32 v13, 28, v12
	v_and_b32_e32 v7, 0x80000000, v3
	v_and_b32_e32 v10, 15, v10
	v_bfe_u32 v11, v3, 27, 4
	v_lshlrev_b32_sdwa v3, v13, v3 dst_sel:DWORD dst_unused:UNUSED_PAD src0_sel:DWORD src1_sel:BYTE_3
	v_sub_u32_e32 v12, 29, v12
	v_and_b32_e32 v3, 7, v3
	v_cmp_eq_u16_e32 vcc, 0, v10
	v_cndmask_b32_e32 v3, v6, v3, vcc
	v_cndmask_b32_e32 v6, v11, v12, vcc
	v_mov_b32_e32 v10, 0x3b800000
	v_lshlrev_b32_e32 v3, 20, v3
	v_lshl_add_u32 v6, v6, 23, v10
	v_or3_b32 v6, v7, v6, v3
.LBB55_960:
	s_or_b64 exec, exec, s[6:7]
	s_nop 0
	v_mfma_f32_16x16x4f32 a[0:3], v2, v6, a[0:3]
	s_movk_i32 s4, 0x7f
	v_cmp_gt_i16_sdwa s[6:7], v8, s4 src0_sel:BYTE_0 src1_sel:DWORD
	s_mov_b64 s[4:5], 0
                                        ; implicit-def: $sgpr10
	s_and_saveexec_b64 s[8:9], s[6:7]
	s_xor_b64 s[6:7], exec, s[8:9]
	s_cbranch_execnz .LBB55_3009
; %bb.961:
	s_or_saveexec_b64 s[6:7], s[6:7]
	v_mov_b32_e32 v2, s10
	s_xor_b64 exec, exec, s[6:7]
	s_cbranch_execnz .LBB55_3012
.LBB55_962:
	s_or_b64 exec, exec, s[6:7]
	s_and_saveexec_b64 s[6:7], s[4:5]
	s_cbranch_execz .LBB55_964
.LBB55_963:
	v_and_b32_e32 v2, 7, v8
	v_ffbh_u32_e32 v6, v2
	v_min_u32_e32 v6, 32, v6
	v_lshrrev_b16_e32 v3, 3, v8
	v_subrev_u32_e32 v7, 28, v6
	v_and_b32_e32 v3, 15, v3
	v_lshlrev_b32_e32 v7, v7, v8
	v_sub_u32_e32 v6, 29, v6
	v_and_b32_e32 v7, 7, v7
	v_cmp_eq_u16_e32 vcc, 0, v3
	v_cndmask_b32_e32 v2, v2, v7, vcc
	v_cndmask_b32_e32 v3, v3, v6, vcc
	v_lshlrev_b32_e32 v6, 24, v8
	v_mov_b32_e32 v7, 0x3b800000
	v_lshlrev_b32_e32 v2, 20, v2
	v_and_b32_e32 v6, 0x80000000, v6
	v_lshl_add_u32 v3, v3, 23, v7
	v_or3_b32 v2, v6, v3, v2
.LBB55_964:
	s_or_b64 exec, exec, s[6:7]
	s_movk_i32 s4, 0x7f
	v_cmp_gt_i16_sdwa s[6:7], v4, s4 src0_sel:BYTE_0 src1_sel:DWORD
	s_mov_b64 s[4:5], 0
                                        ; implicit-def: $sgpr10
	s_and_saveexec_b64 s[8:9], s[6:7]
	s_xor_b64 s[6:7], exec, s[8:9]
	s_cbranch_execnz .LBB55_3013
; %bb.965:
	s_or_saveexec_b64 s[6:7], s[6:7]
	v_mov_b32_e32 v3, s10
	s_xor_b64 exec, exec, s[6:7]
	s_cbranch_execnz .LBB55_3016
.LBB55_966:
	s_or_b64 exec, exec, s[6:7]
	s_and_saveexec_b64 s[6:7], s[4:5]
	s_cbranch_execz .LBB55_968
.LBB55_967:
	v_and_b32_e32 v3, 7, v4
	v_ffbh_u32_e32 v7, v3
	v_min_u32_e32 v7, 32, v7
	v_lshrrev_b16_e32 v6, 3, v4
	v_subrev_u32_e32 v10, 28, v7
	v_and_b32_e32 v6, 15, v6
	v_lshlrev_b32_e32 v10, v10, v4
	v_sub_u32_e32 v7, 29, v7
	v_and_b32_e32 v10, 7, v10
	v_cmp_eq_u16_e32 vcc, 0, v6
	v_cndmask_b32_e32 v3, v3, v10, vcc
	v_cndmask_b32_e32 v6, v6, v7, vcc
	v_lshlrev_b32_e32 v7, 24, v4
	v_mov_b32_e32 v10, 0x3b800000
	v_lshlrev_b32_e32 v3, 20, v3
	v_and_b32_e32 v7, 0x80000000, v7
	v_lshl_add_u32 v6, v6, 23, v10
	v_or3_b32 v3, v7, v6, v3
.LBB55_968:
	s_or_b64 exec, exec, s[6:7]
	s_nop 0
	v_mfma_f32_16x16x4f32 a[0:3], v2, v3, a[0:3]
	v_lshrrev_b32_e32 v3, 8, v8
	s_movk_i32 s4, 0x7f
	v_cmp_gt_i16_sdwa s[6:7], v3, s4 src0_sel:BYTE_0 src1_sel:DWORD
	s_mov_b64 s[4:5], 0
                                        ; implicit-def: $sgpr10
	s_and_saveexec_b64 s[8:9], s[6:7]
	s_xor_b64 s[6:7], exec, s[8:9]
	s_cbranch_execnz .LBB55_3017
; %bb.969:
	s_or_saveexec_b64 s[6:7], s[6:7]
	v_mov_b32_e32 v2, s10
	s_xor_b64 exec, exec, s[6:7]
	s_cbranch_execnz .LBB55_3020
.LBB55_970:
	s_or_b64 exec, exec, s[6:7]
	s_and_saveexec_b64 s[6:7], s[4:5]
	s_cbranch_execz .LBB55_972
.LBB55_971:
	v_bfe_u32 v2, v8, 8, 3
	v_ffbh_u32_e32 v7, v2
	v_min_u32_e32 v7, 32, v7
	v_lshrrev_b16_e32 v6, 3, v3
	v_subrev_u32_e32 v10, 28, v7
	v_and_b32_e32 v6, 15, v6
	v_lshlrev_b32_e32 v3, v10, v3
	v_sub_u32_e32 v7, 29, v7
	v_and_b32_e32 v3, 7, v3
	v_cmp_eq_u16_e32 vcc, 0, v6
	v_cndmask_b32_e32 v2, v2, v3, vcc
	v_cndmask_b32_e32 v3, v6, v7, vcc
	v_lshlrev_b32_e32 v6, 16, v8
	v_mov_b32_e32 v7, 0x3b800000
	v_lshlrev_b32_e32 v2, 20, v2
	v_and_b32_e32 v6, 0x80000000, v6
	v_lshl_add_u32 v3, v3, 23, v7
	v_or3_b32 v2, v6, v3, v2
.LBB55_972:
	s_or_b64 exec, exec, s[6:7]
	v_lshrrev_b32_e32 v3, 8, v4
	s_movk_i32 s4, 0x7f
	v_cmp_gt_i16_sdwa s[6:7], v3, s4 src0_sel:BYTE_0 src1_sel:DWORD
	s_mov_b64 s[4:5], 0
                                        ; implicit-def: $sgpr10
	s_and_saveexec_b64 s[8:9], s[6:7]
	s_xor_b64 s[6:7], exec, s[8:9]
	s_cbranch_execnz .LBB55_3021
; %bb.973:
	s_or_saveexec_b64 s[6:7], s[6:7]
	v_mov_b32_e32 v6, s10
	s_xor_b64 exec, exec, s[6:7]
	s_cbranch_execnz .LBB55_3024
.LBB55_974:
	s_or_b64 exec, exec, s[6:7]
	s_and_saveexec_b64 s[6:7], s[4:5]
	s_cbranch_execz .LBB55_976
.LBB55_975:
	v_bfe_u32 v6, v4, 8, 3
	v_ffbh_u32_e32 v10, v6
	v_min_u32_e32 v10, 32, v10
	v_lshrrev_b16_e32 v7, 3, v3
	v_subrev_u32_e32 v11, 28, v10
	v_and_b32_e32 v7, 15, v7
	v_lshlrev_b32_e32 v3, v11, v3
	v_sub_u32_e32 v10, 29, v10
	v_and_b32_e32 v3, 7, v3
	v_cmp_eq_u16_e32 vcc, 0, v7
	v_cndmask_b32_e32 v3, v6, v3, vcc
	v_cndmask_b32_e32 v6, v7, v10, vcc
	v_lshlrev_b32_e32 v7, 16, v4
	v_mov_b32_e32 v10, 0x3b800000
	v_lshlrev_b32_e32 v3, 20, v3
	v_and_b32_e32 v7, 0x80000000, v7
	v_lshl_add_u32 v6, v6, 23, v10
	v_or3_b32 v6, v7, v6, v3
.LBB55_976:
	s_or_b64 exec, exec, s[6:7]
	s_nop 0
	v_mfma_f32_16x16x4f32 a[0:3], v2, v6, a[0:3]
	s_movk_i32 s4, 0xff
	v_and_b32_sdwa v3, v8, s4 dst_sel:DWORD dst_unused:UNUSED_PAD src0_sel:WORD_1 src1_sel:DWORD
	s_movk_i32 s4, 0x7f
	v_cmp_lt_i16_e32 vcc, s4, v3
	s_mov_b64 s[4:5], 0
                                        ; implicit-def: $sgpr10
	s_and_saveexec_b64 s[6:7], vcc
	s_xor_b64 s[6:7], exec, s[6:7]
	s_cbranch_execnz .LBB55_3025
; %bb.977:
	s_or_saveexec_b64 s[6:7], s[6:7]
	v_mov_b32_e32 v2, s10
	s_xor_b64 exec, exec, s[6:7]
	s_cbranch_execnz .LBB55_3028
.LBB55_978:
	s_or_b64 exec, exec, s[6:7]
	s_and_saveexec_b64 s[6:7], s[4:5]
	s_cbranch_execz .LBB55_980
.LBB55_979:
	v_bfe_u32 v2, v8, 16, 3
	v_ffbh_u32_e32 v7, v2
	v_min_u32_e32 v7, 32, v7
	v_lshrrev_b32_e32 v3, 19, v8
	v_subrev_u32_e32 v10, 28, v7
	v_and_b32_e32 v3, 15, v3
	v_lshlrev_b32_sdwa v10, v10, v8 dst_sel:DWORD dst_unused:UNUSED_PAD src0_sel:DWORD src1_sel:WORD_1
	v_bfe_u32 v6, v8, 19, 4
	v_sub_u32_e32 v7, 29, v7
	v_and_b32_e32 v10, 7, v10
	v_cmp_eq_u16_e32 vcc, 0, v3
	v_cndmask_b32_e32 v2, v2, v10, vcc
	v_cndmask_b32_e32 v3, v6, v7, vcc
	v_lshlrev_b32_e32 v6, 8, v8
	v_mov_b32_e32 v7, 0x3b800000
	v_lshlrev_b32_e32 v2, 20, v2
	v_and_b32_e32 v6, 0x80000000, v6
	v_lshl_add_u32 v3, v3, 23, v7
	v_or3_b32 v2, v6, v3, v2
.LBB55_980:
	s_or_b64 exec, exec, s[6:7]
	s_movk_i32 s4, 0xff
	v_and_b32_sdwa v3, v4, s4 dst_sel:DWORD dst_unused:UNUSED_PAD src0_sel:WORD_1 src1_sel:DWORD
	s_movk_i32 s4, 0x7f
	v_cmp_lt_i16_e32 vcc, s4, v3
	s_mov_b64 s[4:5], 0
                                        ; implicit-def: $sgpr10
	s_and_saveexec_b64 s[6:7], vcc
	s_xor_b64 s[6:7], exec, s[6:7]
	s_cbranch_execnz .LBB55_3029
; %bb.981:
	s_or_saveexec_b64 s[6:7], s[6:7]
	v_mov_b32_e32 v6, s10
	s_xor_b64 exec, exec, s[6:7]
	s_cbranch_execnz .LBB55_3032
.LBB55_982:
	s_or_b64 exec, exec, s[6:7]
	s_and_saveexec_b64 s[6:7], s[4:5]
	s_cbranch_execz .LBB55_984
.LBB55_983:
	v_bfe_u32 v3, v4, 16, 3
	v_ffbh_u32_e32 v10, v3
	v_min_u32_e32 v10, 32, v10
	v_lshrrev_b32_e32 v6, 19, v4
	v_subrev_u32_e32 v11, 28, v10
	v_and_b32_e32 v6, 15, v6
	v_lshlrev_b32_sdwa v11, v11, v4 dst_sel:DWORD dst_unused:UNUSED_PAD src0_sel:DWORD src1_sel:WORD_1
	v_bfe_u32 v7, v4, 19, 4
	v_sub_u32_e32 v10, 29, v10
	v_and_b32_e32 v11, 7, v11
	v_cmp_eq_u16_e32 vcc, 0, v6
	v_cndmask_b32_e32 v3, v3, v11, vcc
	v_cndmask_b32_e32 v6, v7, v10, vcc
	v_lshlrev_b32_e32 v7, 8, v4
	v_mov_b32_e32 v10, 0x3b800000
	v_lshlrev_b32_e32 v3, 20, v3
	v_and_b32_e32 v7, 0x80000000, v7
	v_lshl_add_u32 v6, v6, 23, v10
	v_or3_b32 v6, v7, v6, v3
.LBB55_984:
	s_or_b64 exec, exec, s[6:7]
	s_nop 0
	v_mfma_f32_16x16x4f32 a[0:3], v2, v6, a[0:3]
	s_movk_i32 s4, 0x7f
	v_cmp_gt_i16_sdwa s[6:7], v8, s4 src0_sel:BYTE_3 src1_sel:DWORD
	s_mov_b64 s[4:5], 0
                                        ; implicit-def: $sgpr10
	s_and_saveexec_b64 s[8:9], s[6:7]
	s_xor_b64 s[6:7], exec, s[8:9]
	s_cbranch_execnz .LBB55_3033
; %bb.985:
	s_or_saveexec_b64 s[6:7], s[6:7]
	v_mov_b32_e32 v2, s10
	s_xor_b64 exec, exec, s[6:7]
	s_cbranch_execnz .LBB55_3036
.LBB55_986:
	s_or_b64 exec, exec, s[6:7]
	s_and_saveexec_b64 s[6:7], s[4:5]
	s_cbranch_execz .LBB55_988
.LBB55_987:
	v_bfe_u32 v2, v8, 24, 3
	v_ffbh_u32_e32 v10, v2
	v_min_u32_e32 v10, 32, v10
	v_lshrrev_b32_e32 v6, 27, v8
	v_subrev_u32_e32 v11, 28, v10
	v_and_b32_e32 v3, 0x80000000, v8
	v_and_b32_e32 v6, 15, v6
	v_bfe_u32 v7, v8, 27, 4
	v_lshlrev_b32_sdwa v8, v11, v8 dst_sel:DWORD dst_unused:UNUSED_PAD src0_sel:DWORD src1_sel:BYTE_3
	v_sub_u32_e32 v10, 29, v10
	v_and_b32_e32 v8, 7, v8
	v_cmp_eq_u16_e32 vcc, 0, v6
	v_cndmask_b32_e32 v2, v2, v8, vcc
	v_cndmask_b32_e32 v6, v7, v10, vcc
	v_mov_b32_e32 v7, 0x3b800000
	v_lshlrev_b32_e32 v2, 20, v2
	v_lshl_add_u32 v6, v6, 23, v7
	v_or3_b32 v2, v3, v6, v2
.LBB55_988:
	s_or_b64 exec, exec, s[6:7]
	s_movk_i32 s4, 0x7f
	v_cmp_gt_i16_sdwa s[6:7], v4, s4 src0_sel:BYTE_3 src1_sel:DWORD
	s_mov_b64 s[4:5], 0
                                        ; implicit-def: $sgpr10
	s_and_saveexec_b64 s[8:9], s[6:7]
	s_xor_b64 s[6:7], exec, s[8:9]
	s_cbranch_execnz .LBB55_3037
; %bb.989:
	s_or_saveexec_b64 s[6:7], s[6:7]
	v_mov_b32_e32 v3, s10
	s_xor_b64 exec, exec, s[6:7]
	s_cbranch_execnz .LBB55_3040
.LBB55_990:
	s_or_b64 exec, exec, s[6:7]
	s_and_saveexec_b64 s[6:7], s[4:5]
	s_cbranch_execz .LBB55_992
.LBB55_991:
	v_bfe_u32 v3, v4, 24, 3
	v_ffbh_u32_e32 v10, v3
	v_min_u32_e32 v10, 32, v10
	v_lshrrev_b32_e32 v7, 27, v4
	v_subrev_u32_e32 v11, 28, v10
	v_and_b32_e32 v6, 0x80000000, v4
	v_and_b32_e32 v7, 15, v7
	v_bfe_u32 v8, v4, 27, 4
	v_lshlrev_b32_sdwa v4, v11, v4 dst_sel:DWORD dst_unused:UNUSED_PAD src0_sel:DWORD src1_sel:BYTE_3
	v_sub_u32_e32 v10, 29, v10
	v_and_b32_e32 v4, 7, v4
	v_cmp_eq_u16_e32 vcc, 0, v7
	v_cndmask_b32_e32 v3, v3, v4, vcc
	v_cndmask_b32_e32 v4, v8, v10, vcc
	v_mov_b32_e32 v7, 0x3b800000
	v_lshlrev_b32_e32 v3, 20, v3
	v_lshl_add_u32 v4, v4, 23, v7
	v_or3_b32 v3, v6, v4, v3
.LBB55_992:
	s_or_b64 exec, exec, s[6:7]
	s_nop 0
	v_mfma_f32_16x16x4f32 a[0:3], v2, v3, a[0:3]
	s_movk_i32 s4, 0x7f
	v_cmp_gt_i16_sdwa s[6:7], v9, s4 src0_sel:BYTE_0 src1_sel:DWORD
	s_mov_b64 s[4:5], 0
                                        ; implicit-def: $sgpr10
	s_and_saveexec_b64 s[8:9], s[6:7]
	s_xor_b64 s[6:7], exec, s[8:9]
	s_cbranch_execnz .LBB55_3041
; %bb.993:
	s_or_saveexec_b64 s[6:7], s[6:7]
	v_mov_b32_e32 v2, s10
	s_xor_b64 exec, exec, s[6:7]
	s_cbranch_execnz .LBB55_3044
.LBB55_994:
	s_or_b64 exec, exec, s[6:7]
	s_and_saveexec_b64 s[6:7], s[4:5]
	s_cbranch_execz .LBB55_996
.LBB55_995:
	v_mov_b32_e32 v2, 8
	v_and_b32_e32 v3, 7, v9
	v_lshrrev_b32_sdwa v2, v2, v9 dst_sel:BYTE_1 dst_unused:UNUSED_PAD src0_sel:DWORD src1_sel:DWORD
	v_ffbh_u32_e32 v4, v3
	v_or_b32_sdwa v2, v9, v2 dst_sel:DWORD dst_unused:UNUSED_PAD src0_sel:BYTE_0 src1_sel:DWORD
	v_min_u32_e32 v4, 32, v4
	v_lshrrev_b16_e32 v2, 3, v2
	v_subrev_u32_e32 v6, 28, v4
	v_and_b32_e32 v2, 15, v2
	v_lshlrev_b32_e32 v6, v6, v9
	v_sub_u32_e32 v4, 29, v4
	v_and_b32_e32 v6, 7, v6
	v_cmp_eq_u16_e32 vcc, 0, v2
	v_cndmask_b32_e32 v3, v3, v6, vcc
	v_cndmask_b32_e32 v2, v2, v4, vcc
	v_lshlrev_b32_e32 v4, 24, v9
	v_mov_b32_e32 v6, 0x3b800000
	v_lshlrev_b32_e32 v3, 20, v3
	v_and_b32_e32 v4, 0x80000000, v4
	v_lshl_add_u32 v2, v2, 23, v6
	v_or3_b32 v2, v4, v2, v3
.LBB55_996:
	s_or_b64 exec, exec, s[6:7]
	s_movk_i32 s4, 0x7f
	v_cmp_gt_i16_sdwa s[6:7], v5, s4 src0_sel:BYTE_0 src1_sel:DWORD
	s_mov_b64 s[4:5], 0
                                        ; implicit-def: $sgpr10
	s_and_saveexec_b64 s[8:9], s[6:7]
	s_xor_b64 s[6:7], exec, s[8:9]
	s_cbranch_execnz .LBB55_3045
; %bb.997:
	s_or_saveexec_b64 s[6:7], s[6:7]
	v_mov_b32_e32 v3, s10
	s_xor_b64 exec, exec, s[6:7]
	s_cbranch_execnz .LBB55_3048
.LBB55_998:
	s_or_b64 exec, exec, s[6:7]
	s_and_saveexec_b64 s[6:7], s[4:5]
	s_cbranch_execz .LBB55_1000
.LBB55_999:
	v_mov_b32_e32 v3, 8
	v_and_b32_e32 v4, 7, v5
	v_lshrrev_b32_sdwa v3, v3, v5 dst_sel:BYTE_1 dst_unused:UNUSED_PAD src0_sel:DWORD src1_sel:DWORD
	v_ffbh_u32_e32 v6, v4
	v_or_b32_sdwa v3, v5, v3 dst_sel:DWORD dst_unused:UNUSED_PAD src0_sel:BYTE_0 src1_sel:DWORD
	v_min_u32_e32 v6, 32, v6
	v_lshrrev_b16_e32 v3, 3, v3
	v_subrev_u32_e32 v7, 28, v6
	v_and_b32_e32 v3, 15, v3
	v_lshlrev_b32_e32 v7, v7, v5
	v_sub_u32_e32 v6, 29, v6
	v_and_b32_e32 v7, 7, v7
	v_cmp_eq_u16_e32 vcc, 0, v3
	v_cndmask_b32_e32 v4, v4, v7, vcc
	v_cndmask_b32_e32 v3, v3, v6, vcc
	v_lshlrev_b32_e32 v6, 24, v5
	v_mov_b32_e32 v7, 0x3b800000
	v_lshlrev_b32_e32 v4, 20, v4
	v_and_b32_e32 v6, 0x80000000, v6
	v_lshl_add_u32 v3, v3, 23, v7
	v_or3_b32 v3, v6, v3, v4
.LBB55_1000:
	s_or_b64 exec, exec, s[6:7]
	s_nop 0
	v_mfma_f32_16x16x4f32 a[0:3], v2, v3, a[0:3]
	v_lshrrev_b32_e32 v3, 8, v9
	s_movk_i32 s4, 0x7f
	v_cmp_gt_i16_sdwa s[6:7], v3, s4 src0_sel:BYTE_0 src1_sel:DWORD
	s_mov_b64 s[4:5], 0
                                        ; implicit-def: $sgpr10
	s_and_saveexec_b64 s[8:9], s[6:7]
	s_xor_b64 s[6:7], exec, s[8:9]
	s_cbranch_execnz .LBB55_3049
; %bb.1001:
	s_or_saveexec_b64 s[6:7], s[6:7]
	v_mov_b32_e32 v2, s10
	s_xor_b64 exec, exec, s[6:7]
	s_cbranch_execnz .LBB55_3052
.LBB55_1002:
	s_or_b64 exec, exec, s[6:7]
	s_and_saveexec_b64 s[6:7], s[4:5]
	s_cbranch_execz .LBB55_1004
.LBB55_1003:
	v_bfe_u32 v2, v9, 8, 3
	v_ffbh_u32_e32 v6, v2
	v_min_u32_e32 v6, 32, v6
	v_lshrrev_b16_e32 v4, 3, v3
	v_subrev_u32_e32 v7, 28, v6
	v_and_b32_e32 v4, 15, v4
	v_lshlrev_b32_e32 v3, v7, v3
	v_sub_u32_e32 v6, 29, v6
	v_and_b32_e32 v3, 7, v3
	v_cmp_eq_u16_e32 vcc, 0, v4
	v_cndmask_b32_e32 v2, v2, v3, vcc
	v_cndmask_b32_e32 v3, v4, v6, vcc
	v_lshlrev_b32_e32 v4, 16, v9
	v_mov_b32_e32 v6, 0x3b800000
	v_lshlrev_b32_e32 v2, 20, v2
	v_and_b32_e32 v4, 0x80000000, v4
	v_lshl_add_u32 v3, v3, 23, v6
	v_or3_b32 v2, v4, v3, v2
.LBB55_1004:
	s_or_b64 exec, exec, s[6:7]
	v_lshrrev_b32_e32 v3, 8, v5
	s_movk_i32 s4, 0x7f
	v_cmp_gt_i16_sdwa s[6:7], v3, s4 src0_sel:BYTE_0 src1_sel:DWORD
	s_mov_b64 s[4:5], 0
                                        ; implicit-def: $sgpr10
	s_and_saveexec_b64 s[8:9], s[6:7]
	s_xor_b64 s[6:7], exec, s[8:9]
	s_cbranch_execnz .LBB55_3053
; %bb.1005:
	s_or_saveexec_b64 s[6:7], s[6:7]
	v_mov_b32_e32 v4, s10
	s_xor_b64 exec, exec, s[6:7]
	s_cbranch_execnz .LBB55_3056
.LBB55_1006:
	s_or_b64 exec, exec, s[6:7]
	s_and_saveexec_b64 s[6:7], s[4:5]
	s_cbranch_execz .LBB55_1008
.LBB55_1007:
	v_bfe_u32 v4, v5, 8, 3
	v_ffbh_u32_e32 v7, v4
	v_min_u32_e32 v7, 32, v7
	v_lshrrev_b16_e32 v6, 3, v3
	v_subrev_u32_e32 v8, 28, v7
	v_and_b32_e32 v6, 15, v6
	v_lshlrev_b32_e32 v3, v8, v3
	v_sub_u32_e32 v7, 29, v7
	v_and_b32_e32 v3, 7, v3
	v_cmp_eq_u16_e32 vcc, 0, v6
	v_cndmask_b32_e32 v3, v4, v3, vcc
	v_cndmask_b32_e32 v4, v6, v7, vcc
	v_lshlrev_b32_e32 v6, 16, v5
	v_mov_b32_e32 v7, 0x3b800000
	v_lshlrev_b32_e32 v3, 20, v3
	v_and_b32_e32 v6, 0x80000000, v6
	v_lshl_add_u32 v4, v4, 23, v7
	v_or3_b32 v4, v6, v4, v3
.LBB55_1008:
	s_or_b64 exec, exec, s[6:7]
	s_nop 0
	v_mfma_f32_16x16x4f32 a[0:3], v2, v4, a[0:3]
	s_movk_i32 s4, 0xff
	v_and_b32_sdwa v3, v9, s4 dst_sel:DWORD dst_unused:UNUSED_PAD src0_sel:WORD_1 src1_sel:DWORD
	s_movk_i32 s4, 0x7f
	v_cmp_lt_i16_e32 vcc, s4, v3
	s_mov_b64 s[4:5], 0
                                        ; implicit-def: $sgpr10
	s_and_saveexec_b64 s[6:7], vcc
	s_xor_b64 s[6:7], exec, s[6:7]
	s_cbranch_execnz .LBB55_3057
; %bb.1009:
	s_or_saveexec_b64 s[6:7], s[6:7]
	v_mov_b32_e32 v2, s10
	s_xor_b64 exec, exec, s[6:7]
	s_cbranch_execnz .LBB55_3060
.LBB55_1010:
	s_or_b64 exec, exec, s[6:7]
	s_and_saveexec_b64 s[6:7], s[4:5]
	s_cbranch_execz .LBB55_1012
.LBB55_1011:
	v_bfe_u32 v2, v9, 16, 3
	v_ffbh_u32_e32 v6, v2
	v_min_u32_e32 v6, 32, v6
	v_lshrrev_b32_e32 v3, 19, v9
	v_subrev_u32_e32 v7, 28, v6
	v_and_b32_e32 v3, 15, v3
	v_lshlrev_b32_sdwa v7, v7, v9 dst_sel:DWORD dst_unused:UNUSED_PAD src0_sel:DWORD src1_sel:WORD_1
	v_bfe_u32 v4, v9, 19, 4
	v_sub_u32_e32 v6, 29, v6
	v_and_b32_e32 v7, 7, v7
	v_cmp_eq_u16_e32 vcc, 0, v3
	v_cndmask_b32_e32 v2, v2, v7, vcc
	v_cndmask_b32_e32 v3, v4, v6, vcc
	v_lshlrev_b32_e32 v4, 8, v9
	v_mov_b32_e32 v6, 0x3b800000
	v_lshlrev_b32_e32 v2, 20, v2
	v_and_b32_e32 v4, 0x80000000, v4
	v_lshl_add_u32 v3, v3, 23, v6
	v_or3_b32 v2, v4, v3, v2
.LBB55_1012:
	s_or_b64 exec, exec, s[6:7]
	s_movk_i32 s4, 0xff
	v_and_b32_sdwa v3, v5, s4 dst_sel:DWORD dst_unused:UNUSED_PAD src0_sel:WORD_1 src1_sel:DWORD
	s_movk_i32 s4, 0x7f
	v_cmp_lt_i16_e32 vcc, s4, v3
	s_mov_b64 s[4:5], 0
                                        ; implicit-def: $sgpr10
	s_and_saveexec_b64 s[6:7], vcc
	s_xor_b64 s[6:7], exec, s[6:7]
	s_cbranch_execnz .LBB55_3061
; %bb.1013:
	s_or_saveexec_b64 s[6:7], s[6:7]
	v_mov_b32_e32 v4, s10
	s_xor_b64 exec, exec, s[6:7]
	s_cbranch_execnz .LBB55_3064
.LBB55_1014:
	s_or_b64 exec, exec, s[6:7]
	s_and_saveexec_b64 s[6:7], s[4:5]
	s_cbranch_execz .LBB55_1016
.LBB55_1015:
	v_bfe_u32 v3, v5, 16, 3
	v_ffbh_u32_e32 v7, v3
	v_min_u32_e32 v7, 32, v7
	v_lshrrev_b32_e32 v4, 19, v5
	v_subrev_u32_e32 v8, 28, v7
	v_and_b32_e32 v4, 15, v4
	v_lshlrev_b32_sdwa v8, v8, v5 dst_sel:DWORD dst_unused:UNUSED_PAD src0_sel:DWORD src1_sel:WORD_1
	v_bfe_u32 v6, v5, 19, 4
	v_sub_u32_e32 v7, 29, v7
	v_and_b32_e32 v8, 7, v8
	v_cmp_eq_u16_e32 vcc, 0, v4
	v_cndmask_b32_e32 v3, v3, v8, vcc
	v_cndmask_b32_e32 v4, v6, v7, vcc
	v_lshlrev_b32_e32 v6, 8, v5
	v_mov_b32_e32 v7, 0x3b800000
	v_lshlrev_b32_e32 v3, 20, v3
	v_and_b32_e32 v6, 0x80000000, v6
	v_lshl_add_u32 v4, v4, 23, v7
	v_or3_b32 v4, v6, v4, v3
.LBB55_1016:
	s_or_b64 exec, exec, s[6:7]
	s_nop 0
	v_mfma_f32_16x16x4f32 a[0:3], v2, v4, a[0:3]
	s_movk_i32 s4, 0x7f
	v_cmp_gt_i16_sdwa s[6:7], v9, s4 src0_sel:BYTE_3 src1_sel:DWORD
	s_mov_b64 s[4:5], 0
                                        ; implicit-def: $sgpr10
	s_and_saveexec_b64 s[8:9], s[6:7]
	s_xor_b64 s[6:7], exec, s[8:9]
	s_cbranch_execnz .LBB55_3065
; %bb.1017:
	s_or_saveexec_b64 s[6:7], s[6:7]
	v_mov_b32_e32 v2, s10
	s_xor_b64 exec, exec, s[6:7]
	s_cbranch_execnz .LBB55_3068
.LBB55_1018:
	s_or_b64 exec, exec, s[6:7]
	s_and_saveexec_b64 s[6:7], s[4:5]
	s_cbranch_execz .LBB55_1020
.LBB55_1019:
	v_bfe_u32 v2, v9, 24, 3
	v_ffbh_u32_e32 v7, v2
	v_min_u32_e32 v7, 32, v7
	v_lshrrev_b32_e32 v4, 27, v9
	v_subrev_u32_e32 v8, 28, v7
	v_and_b32_e32 v4, 15, v4
	v_lshlrev_b32_sdwa v8, v8, v9 dst_sel:DWORD dst_unused:UNUSED_PAD src0_sel:DWORD src1_sel:BYTE_3
	v_bfe_u32 v6, v9, 27, 4
	v_sub_u32_e32 v7, 29, v7
	v_and_b32_e32 v8, 7, v8
	v_cmp_eq_u16_e32 vcc, 0, v4
	v_cndmask_b32_e32 v2, v2, v8, vcc
	v_cndmask_b32_e32 v4, v6, v7, vcc
	v_mov_b32_e32 v6, 0x3b800000
	v_and_b32_e32 v3, 0x80000000, v9
	v_lshlrev_b32_e32 v2, 20, v2
	v_lshl_add_u32 v4, v4, 23, v6
	v_or3_b32 v2, v3, v4, v2
.LBB55_1020:
	s_or_b64 exec, exec, s[6:7]
	s_movk_i32 s4, 0x7f
	v_cmp_gt_i16_sdwa s[6:7], v5, s4 src0_sel:BYTE_3 src1_sel:DWORD
	s_mov_b64 s[4:5], 0
                                        ; implicit-def: $sgpr10
	s_and_saveexec_b64 s[8:9], s[6:7]
	s_xor_b64 s[6:7], exec, s[8:9]
	s_cbranch_execnz .LBB55_3069
; %bb.1021:
	s_or_saveexec_b64 s[6:7], s[6:7]
	v_mov_b32_e32 v3, s10
	s_xor_b64 exec, exec, s[6:7]
	s_cbranch_execnz .LBB55_3072
.LBB55_1022:
	s_or_b64 exec, exec, s[6:7]
	s_and_saveexec_b64 s[6:7], s[4:5]
	s_cbranch_execz .LBB55_1024
.LBB55_1023:
	v_bfe_u32 v3, v5, 24, 3
	v_ffbh_u32_e32 v8, v3
	v_min_u32_e32 v8, 32, v8
	v_lshrrev_b32_e32 v6, 27, v5
	v_subrev_u32_e32 v9, 28, v8
	v_and_b32_e32 v4, 0x80000000, v5
	v_and_b32_e32 v6, 15, v6
	v_bfe_u32 v7, v5, 27, 4
	v_lshlrev_b32_sdwa v5, v9, v5 dst_sel:DWORD dst_unused:UNUSED_PAD src0_sel:DWORD src1_sel:BYTE_3
	v_sub_u32_e32 v8, 29, v8
	v_and_b32_e32 v5, 7, v5
	v_cmp_eq_u16_e32 vcc, 0, v6
	v_cndmask_b32_e32 v3, v3, v5, vcc
	v_cndmask_b32_e32 v5, v7, v8, vcc
	v_mov_b32_e32 v6, 0x3b800000
	v_lshlrev_b32_e32 v3, 20, v3
	v_lshl_add_u32 v5, v5, 23, v6
	v_or3_b32 v3, v4, v5, v3
.LBB55_1024:
	s_or_b64 exec, exec, s[6:7]
	s_nop 0
	v_mfma_f32_16x16x4f32 a[0:3], v2, v3, a[0:3]
	s_movk_i32 s4, 0x7f
                                        ; implicit-def: $sgpr10
	s_nop 7
	s_nop 1
	flat_store_dwordx4 v[18:19], a[0:3] offset:432
	flat_load_dwordx4 v[20:23], v[0:1] offset:8
	s_nop 0
	flat_load_dwordx2 v[18:19], v[0:1] offset:24
	s_waitcnt vmcnt(0) lgkmcnt(0)
	flat_load_dwordx4 v[14:17], v[20:21] offset:32
	flat_load_dwordx4 v[6:9], v[20:21] offset:48
	;; [unrolled: 1-line block ×4, first 2 shown]
	s_waitcnt vmcnt(0) lgkmcnt(0)
	v_cmp_gt_i16_sdwa s[6:7], v14, s4 src0_sel:BYTE_0 src1_sel:DWORD
	s_mov_b64 s[4:5], 0
	s_and_saveexec_b64 s[8:9], s[6:7]
	s_xor_b64 s[6:7], exec, s[8:9]
	s_cbranch_execnz .LBB55_3073
; %bb.1025:
	s_or_saveexec_b64 s[6:7], s[6:7]
	v_mov_b32_e32 v20, s10
	s_xor_b64 exec, exec, s[6:7]
	s_cbranch_execnz .LBB55_3076
.LBB55_1026:
	s_or_b64 exec, exec, s[6:7]
	s_and_saveexec_b64 s[6:7], s[4:5]
	s_cbranch_execz .LBB55_1028
.LBB55_1027:
	v_and_b32_e32 v20, 7, v14
	v_ffbh_u32_e32 v22, v20
	v_min_u32_e32 v22, 32, v22
	v_lshrrev_b16_e32 v21, 3, v14
	v_subrev_u32_e32 v23, 28, v22
	v_and_b32_e32 v21, 15, v21
	v_lshlrev_b32_e32 v23, v23, v14
	v_sub_u32_e32 v22, 29, v22
	v_and_b32_e32 v23, 7, v23
	v_cmp_eq_u16_e32 vcc, 0, v21
	v_cndmask_b32_e32 v20, v20, v23, vcc
	v_cndmask_b32_e32 v21, v21, v22, vcc
	v_lshlrev_b32_e32 v22, 24, v14
	v_mov_b32_e32 v23, 0x3b800000
	v_lshlrev_b32_e32 v20, 20, v20
	v_and_b32_e32 v22, 0x80000000, v22
	v_lshl_add_u32 v21, v21, 23, v23
	v_or3_b32 v20, v22, v21, v20
.LBB55_1028:
	s_or_b64 exec, exec, s[6:7]
	s_movk_i32 s4, 0x7f
	v_cmp_gt_i16_sdwa s[6:7], v10, s4 src0_sel:BYTE_0 src1_sel:DWORD
	s_mov_b64 s[4:5], 0
                                        ; implicit-def: $sgpr10
	s_and_saveexec_b64 s[8:9], s[6:7]
	s_xor_b64 s[6:7], exec, s[8:9]
	s_cbranch_execnz .LBB55_3077
; %bb.1029:
	s_or_saveexec_b64 s[6:7], s[6:7]
	v_mov_b32_e32 v21, s10
	s_xor_b64 exec, exec, s[6:7]
	s_cbranch_execnz .LBB55_3080
.LBB55_1030:
	s_or_b64 exec, exec, s[6:7]
	s_and_saveexec_b64 s[6:7], s[4:5]
	s_cbranch_execz .LBB55_1032
.LBB55_1031:
	v_and_b32_e32 v21, 7, v10
	v_ffbh_u32_e32 v23, v21
	v_min_u32_e32 v23, 32, v23
	v_lshrrev_b16_e32 v22, 3, v10
	v_subrev_u32_e32 v24, 28, v23
	v_and_b32_e32 v22, 15, v22
	v_lshlrev_b32_e32 v24, v24, v10
	v_sub_u32_e32 v23, 29, v23
	v_and_b32_e32 v24, 7, v24
	v_cmp_eq_u16_e32 vcc, 0, v22
	v_cndmask_b32_e32 v21, v21, v24, vcc
	v_cndmask_b32_e32 v22, v22, v23, vcc
	v_lshlrev_b32_e32 v23, 24, v10
	v_mov_b32_e32 v24, 0x3b800000
	v_lshlrev_b32_e32 v21, 20, v21
	v_and_b32_e32 v23, 0x80000000, v23
	v_lshl_add_u32 v22, v22, 23, v24
	v_or3_b32 v21, v23, v22, v21
.LBB55_1032:
	s_or_b64 exec, exec, s[6:7]
	flat_load_dwordx4 a[0:3], v[18:19] offset:448
	s_movk_i32 s4, 0x7f
                                        ; implicit-def: $sgpr10
	s_waitcnt vmcnt(0) lgkmcnt(0)
	v_mfma_f32_16x16x4f32 a[0:3], v20, v21, a[0:3]
	v_lshrrev_b32_e32 v21, 8, v14
	v_cmp_gt_i16_sdwa s[6:7], v21, s4 src0_sel:BYTE_0 src1_sel:DWORD
	s_mov_b64 s[4:5], 0
	s_and_saveexec_b64 s[8:9], s[6:7]
	s_xor_b64 s[6:7], exec, s[8:9]
	s_cbranch_execnz .LBB55_3081
; %bb.1033:
	s_or_saveexec_b64 s[6:7], s[6:7]
	v_mov_b32_e32 v20, s10
	s_xor_b64 exec, exec, s[6:7]
	s_cbranch_execnz .LBB55_3084
.LBB55_1034:
	s_or_b64 exec, exec, s[6:7]
	s_and_saveexec_b64 s[6:7], s[4:5]
	s_cbranch_execz .LBB55_1036
.LBB55_1035:
	v_bfe_u32 v20, v14, 8, 3
	v_ffbh_u32_e32 v23, v20
	v_min_u32_e32 v23, 32, v23
	v_lshrrev_b16_e32 v22, 3, v21
	v_subrev_u32_e32 v24, 28, v23
	v_and_b32_e32 v22, 15, v22
	v_lshlrev_b32_e32 v21, v24, v21
	v_sub_u32_e32 v23, 29, v23
	v_and_b32_e32 v21, 7, v21
	v_cmp_eq_u16_e32 vcc, 0, v22
	v_cndmask_b32_e32 v20, v20, v21, vcc
	v_cndmask_b32_e32 v21, v22, v23, vcc
	v_lshlrev_b32_e32 v22, 16, v14
	v_mov_b32_e32 v23, 0x3b800000
	v_lshlrev_b32_e32 v20, 20, v20
	v_and_b32_e32 v22, 0x80000000, v22
	v_lshl_add_u32 v21, v21, 23, v23
	v_or3_b32 v20, v22, v21, v20
.LBB55_1036:
	s_or_b64 exec, exec, s[6:7]
	v_lshrrev_b32_e32 v21, 8, v10
	s_movk_i32 s4, 0x7f
	v_cmp_gt_i16_sdwa s[6:7], v21, s4 src0_sel:BYTE_0 src1_sel:DWORD
	s_mov_b64 s[4:5], 0
                                        ; implicit-def: $sgpr10
	s_and_saveexec_b64 s[8:9], s[6:7]
	s_xor_b64 s[6:7], exec, s[8:9]
	s_cbranch_execnz .LBB55_3085
; %bb.1037:
	s_or_saveexec_b64 s[6:7], s[6:7]
	v_mov_b32_e32 v22, s10
	s_xor_b64 exec, exec, s[6:7]
	s_cbranch_execnz .LBB55_3088
.LBB55_1038:
	s_or_b64 exec, exec, s[6:7]
	s_and_saveexec_b64 s[6:7], s[4:5]
	s_cbranch_execz .LBB55_1040
.LBB55_1039:
	v_bfe_u32 v22, v10, 8, 3
	v_ffbh_u32_e32 v24, v22
	v_min_u32_e32 v24, 32, v24
	v_lshrrev_b16_e32 v23, 3, v21
	v_subrev_u32_e32 v25, 28, v24
	v_and_b32_e32 v23, 15, v23
	v_lshlrev_b32_e32 v21, v25, v21
	v_sub_u32_e32 v24, 29, v24
	v_and_b32_e32 v21, 7, v21
	v_cmp_eq_u16_e32 vcc, 0, v23
	v_cndmask_b32_e32 v21, v22, v21, vcc
	v_cndmask_b32_e32 v22, v23, v24, vcc
	v_lshlrev_b32_e32 v23, 16, v10
	v_mov_b32_e32 v24, 0x3b800000
	v_lshlrev_b32_e32 v21, 20, v21
	v_and_b32_e32 v23, 0x80000000, v23
	v_lshl_add_u32 v22, v22, 23, v24
	v_or3_b32 v22, v23, v22, v21
.LBB55_1040:
	s_or_b64 exec, exec, s[6:7]
	s_nop 0
	v_mfma_f32_16x16x4f32 a[0:3], v20, v22, a[0:3]
	s_movk_i32 s4, 0xff
	v_and_b32_sdwa v21, v14, s4 dst_sel:DWORD dst_unused:UNUSED_PAD src0_sel:WORD_1 src1_sel:DWORD
	s_movk_i32 s4, 0x7f
	v_cmp_lt_i16_e32 vcc, s4, v21
	s_mov_b64 s[4:5], 0
                                        ; implicit-def: $sgpr10
	s_and_saveexec_b64 s[6:7], vcc
	s_xor_b64 s[6:7], exec, s[6:7]
	s_cbranch_execnz .LBB55_3089
; %bb.1041:
	s_or_saveexec_b64 s[6:7], s[6:7]
	v_mov_b32_e32 v20, s10
	s_xor_b64 exec, exec, s[6:7]
	s_cbranch_execnz .LBB55_3092
.LBB55_1042:
	s_or_b64 exec, exec, s[6:7]
	s_and_saveexec_b64 s[6:7], s[4:5]
	s_cbranch_execz .LBB55_1044
.LBB55_1043:
	v_bfe_u32 v20, v14, 16, 3
	v_ffbh_u32_e32 v23, v20
	v_min_u32_e32 v23, 32, v23
	v_lshrrev_b32_e32 v21, 19, v14
	v_subrev_u32_e32 v24, 28, v23
	v_and_b32_e32 v21, 15, v21
	v_lshlrev_b32_sdwa v24, v24, v14 dst_sel:DWORD dst_unused:UNUSED_PAD src0_sel:DWORD src1_sel:WORD_1
	v_bfe_u32 v22, v14, 19, 4
	v_sub_u32_e32 v23, 29, v23
	v_and_b32_e32 v24, 7, v24
	v_cmp_eq_u16_e32 vcc, 0, v21
	v_cndmask_b32_e32 v20, v20, v24, vcc
	v_cndmask_b32_e32 v21, v22, v23, vcc
	v_lshlrev_b32_e32 v22, 8, v14
	v_mov_b32_e32 v23, 0x3b800000
	v_lshlrev_b32_e32 v20, 20, v20
	v_and_b32_e32 v22, 0x80000000, v22
	v_lshl_add_u32 v21, v21, 23, v23
	v_or3_b32 v20, v22, v21, v20
.LBB55_1044:
	s_or_b64 exec, exec, s[6:7]
	s_movk_i32 s4, 0xff
	v_and_b32_sdwa v21, v10, s4 dst_sel:DWORD dst_unused:UNUSED_PAD src0_sel:WORD_1 src1_sel:DWORD
	s_movk_i32 s4, 0x7f
	v_cmp_lt_i16_e32 vcc, s4, v21
	s_mov_b64 s[4:5], 0
                                        ; implicit-def: $sgpr10
	s_and_saveexec_b64 s[6:7], vcc
	s_xor_b64 s[6:7], exec, s[6:7]
	s_cbranch_execnz .LBB55_3093
; %bb.1045:
	s_or_saveexec_b64 s[6:7], s[6:7]
	v_mov_b32_e32 v22, s10
	s_xor_b64 exec, exec, s[6:7]
	s_cbranch_execnz .LBB55_3096
.LBB55_1046:
	s_or_b64 exec, exec, s[6:7]
	s_and_saveexec_b64 s[6:7], s[4:5]
	s_cbranch_execz .LBB55_1048
.LBB55_1047:
	v_bfe_u32 v21, v10, 16, 3
	v_ffbh_u32_e32 v24, v21
	v_min_u32_e32 v24, 32, v24
	v_lshrrev_b32_e32 v22, 19, v10
	v_subrev_u32_e32 v25, 28, v24
	v_and_b32_e32 v22, 15, v22
	v_lshlrev_b32_sdwa v25, v25, v10 dst_sel:DWORD dst_unused:UNUSED_PAD src0_sel:DWORD src1_sel:WORD_1
	v_bfe_u32 v23, v10, 19, 4
	v_sub_u32_e32 v24, 29, v24
	v_and_b32_e32 v25, 7, v25
	v_cmp_eq_u16_e32 vcc, 0, v22
	v_cndmask_b32_e32 v21, v21, v25, vcc
	v_cndmask_b32_e32 v22, v23, v24, vcc
	v_lshlrev_b32_e32 v23, 8, v10
	v_mov_b32_e32 v24, 0x3b800000
	v_lshlrev_b32_e32 v21, 20, v21
	v_and_b32_e32 v23, 0x80000000, v23
	v_lshl_add_u32 v22, v22, 23, v24
	v_or3_b32 v22, v23, v22, v21
.LBB55_1048:
	s_or_b64 exec, exec, s[6:7]
	s_nop 0
	v_mfma_f32_16x16x4f32 a[0:3], v20, v22, a[0:3]
	s_movk_i32 s4, 0x7f
	v_cmp_gt_i16_sdwa s[6:7], v14, s4 src0_sel:BYTE_3 src1_sel:DWORD
	s_mov_b64 s[4:5], 0
                                        ; implicit-def: $sgpr10
	s_and_saveexec_b64 s[8:9], s[6:7]
	s_xor_b64 s[6:7], exec, s[8:9]
	s_cbranch_execnz .LBB55_3097
; %bb.1049:
	s_or_saveexec_b64 s[6:7], s[6:7]
	v_mov_b32_e32 v20, s10
	s_xor_b64 exec, exec, s[6:7]
	s_cbranch_execnz .LBB55_3100
.LBB55_1050:
	s_or_b64 exec, exec, s[6:7]
	s_and_saveexec_b64 s[6:7], s[4:5]
	s_cbranch_execz .LBB55_1052
.LBB55_1051:
	v_bfe_u32 v20, v14, 24, 3
	v_ffbh_u32_e32 v24, v20
	v_min_u32_e32 v24, 32, v24
	v_lshrrev_b32_e32 v22, 27, v14
	v_subrev_u32_e32 v25, 28, v24
	v_and_b32_e32 v21, 0x80000000, v14
	v_and_b32_e32 v22, 15, v22
	v_bfe_u32 v23, v14, 27, 4
	v_lshlrev_b32_sdwa v14, v25, v14 dst_sel:DWORD dst_unused:UNUSED_PAD src0_sel:DWORD src1_sel:BYTE_3
	v_sub_u32_e32 v24, 29, v24
	v_and_b32_e32 v14, 7, v14
	v_cmp_eq_u16_e32 vcc, 0, v22
	v_cndmask_b32_e32 v14, v20, v14, vcc
	v_cndmask_b32_e32 v20, v23, v24, vcc
	v_mov_b32_e32 v22, 0x3b800000
	v_lshlrev_b32_e32 v14, 20, v14
	v_lshl_add_u32 v20, v20, 23, v22
	v_or3_b32 v20, v21, v20, v14
.LBB55_1052:
	s_or_b64 exec, exec, s[6:7]
	s_movk_i32 s4, 0x7f
	v_cmp_gt_i16_sdwa s[6:7], v10, s4 src0_sel:BYTE_3 src1_sel:DWORD
	s_mov_b64 s[4:5], 0
                                        ; implicit-def: $sgpr10
	s_and_saveexec_b64 s[8:9], s[6:7]
	s_xor_b64 s[6:7], exec, s[8:9]
	s_cbranch_execnz .LBB55_3101
; %bb.1053:
	s_or_saveexec_b64 s[6:7], s[6:7]
	v_mov_b32_e32 v14, s10
	s_xor_b64 exec, exec, s[6:7]
	s_cbranch_execnz .LBB55_3104
.LBB55_1054:
	s_or_b64 exec, exec, s[6:7]
	s_and_saveexec_b64 s[6:7], s[4:5]
	s_cbranch_execz .LBB55_1056
.LBB55_1055:
	v_bfe_u32 v14, v10, 24, 3
	v_ffbh_u32_e32 v24, v14
	v_min_u32_e32 v24, 32, v24
	v_lshrrev_b32_e32 v22, 27, v10
	v_subrev_u32_e32 v25, 28, v24
	v_and_b32_e32 v21, 0x80000000, v10
	v_and_b32_e32 v22, 15, v22
	v_bfe_u32 v23, v10, 27, 4
	v_lshlrev_b32_sdwa v10, v25, v10 dst_sel:DWORD dst_unused:UNUSED_PAD src0_sel:DWORD src1_sel:BYTE_3
	v_sub_u32_e32 v24, 29, v24
	v_and_b32_e32 v10, 7, v10
	v_cmp_eq_u16_e32 vcc, 0, v22
	v_cndmask_b32_e32 v10, v14, v10, vcc
	v_cndmask_b32_e32 v14, v23, v24, vcc
	v_mov_b32_e32 v22, 0x3b800000
	v_lshlrev_b32_e32 v10, 20, v10
	v_lshl_add_u32 v14, v14, 23, v22
	v_or3_b32 v14, v21, v14, v10
.LBB55_1056:
	s_or_b64 exec, exec, s[6:7]
	s_nop 0
	v_mfma_f32_16x16x4f32 a[0:3], v20, v14, a[0:3]
	s_movk_i32 s4, 0x7f
	v_cmp_gt_i16_sdwa s[6:7], v15, s4 src0_sel:BYTE_0 src1_sel:DWORD
	s_mov_b64 s[4:5], 0
                                        ; implicit-def: $sgpr10
	s_and_saveexec_b64 s[8:9], s[6:7]
	s_xor_b64 s[6:7], exec, s[8:9]
	s_cbranch_execnz .LBB55_3105
; %bb.1057:
	s_or_saveexec_b64 s[6:7], s[6:7]
	v_mov_b32_e32 v10, s10
	s_xor_b64 exec, exec, s[6:7]
	s_cbranch_execnz .LBB55_3108
.LBB55_1058:
	s_or_b64 exec, exec, s[6:7]
	s_and_saveexec_b64 s[6:7], s[4:5]
	s_cbranch_execz .LBB55_1060
.LBB55_1059:
	v_and_b32_e32 v10, 7, v15
	v_ffbh_u32_e32 v20, v10
	v_min_u32_e32 v20, 32, v20
	v_lshrrev_b16_e32 v14, 3, v15
	v_subrev_u32_e32 v21, 28, v20
	v_and_b32_e32 v14, 15, v14
	v_lshlrev_b32_e32 v21, v21, v15
	v_sub_u32_e32 v20, 29, v20
	v_and_b32_e32 v21, 7, v21
	v_cmp_eq_u16_e32 vcc, 0, v14
	v_cndmask_b32_e32 v10, v10, v21, vcc
	v_cndmask_b32_e32 v14, v14, v20, vcc
	v_lshlrev_b32_e32 v20, 24, v15
	v_mov_b32_e32 v21, 0x3b800000
	v_lshlrev_b32_e32 v10, 20, v10
	v_and_b32_e32 v20, 0x80000000, v20
	v_lshl_add_u32 v14, v14, 23, v21
	v_or3_b32 v10, v20, v14, v10
.LBB55_1060:
	s_or_b64 exec, exec, s[6:7]
	s_movk_i32 s4, 0x7f
	v_cmp_gt_i16_sdwa s[6:7], v11, s4 src0_sel:BYTE_0 src1_sel:DWORD
	s_mov_b64 s[4:5], 0
                                        ; implicit-def: $sgpr10
	s_and_saveexec_b64 s[8:9], s[6:7]
	s_xor_b64 s[6:7], exec, s[8:9]
	s_cbranch_execnz .LBB55_3109
; %bb.1061:
	s_or_saveexec_b64 s[6:7], s[6:7]
	v_mov_b32_e32 v14, s10
	s_xor_b64 exec, exec, s[6:7]
	s_cbranch_execnz .LBB55_3112
.LBB55_1062:
	s_or_b64 exec, exec, s[6:7]
	s_and_saveexec_b64 s[6:7], s[4:5]
	s_cbranch_execz .LBB55_1064
.LBB55_1063:
	v_and_b32_e32 v14, 7, v11
	v_ffbh_u32_e32 v21, v14
	v_min_u32_e32 v21, 32, v21
	v_lshrrev_b16_e32 v20, 3, v11
	v_subrev_u32_e32 v22, 28, v21
	v_and_b32_e32 v20, 15, v20
	v_lshlrev_b32_e32 v22, v22, v11
	v_sub_u32_e32 v21, 29, v21
	v_and_b32_e32 v22, 7, v22
	v_cmp_eq_u16_e32 vcc, 0, v20
	v_cndmask_b32_e32 v14, v14, v22, vcc
	v_cndmask_b32_e32 v20, v20, v21, vcc
	v_lshlrev_b32_e32 v21, 24, v11
	v_mov_b32_e32 v22, 0x3b800000
	v_lshlrev_b32_e32 v14, 20, v14
	v_and_b32_e32 v21, 0x80000000, v21
	v_lshl_add_u32 v20, v20, 23, v22
	v_or3_b32 v14, v21, v20, v14
.LBB55_1064:
	s_or_b64 exec, exec, s[6:7]
	s_nop 0
	v_mfma_f32_16x16x4f32 a[0:3], v10, v14, a[0:3]
	v_lshrrev_b32_e32 v14, 8, v15
	s_movk_i32 s4, 0x7f
	v_cmp_gt_i16_sdwa s[6:7], v14, s4 src0_sel:BYTE_0 src1_sel:DWORD
	s_mov_b64 s[4:5], 0
                                        ; implicit-def: $sgpr10
	s_and_saveexec_b64 s[8:9], s[6:7]
	s_xor_b64 s[6:7], exec, s[8:9]
	s_cbranch_execnz .LBB55_3113
; %bb.1065:
	s_or_saveexec_b64 s[6:7], s[6:7]
	v_mov_b32_e32 v10, s10
	s_xor_b64 exec, exec, s[6:7]
	s_cbranch_execnz .LBB55_3116
.LBB55_1066:
	s_or_b64 exec, exec, s[6:7]
	s_and_saveexec_b64 s[6:7], s[4:5]
	s_cbranch_execz .LBB55_1068
.LBB55_1067:
	v_bfe_u32 v10, v15, 8, 3
	v_ffbh_u32_e32 v21, v10
	v_min_u32_e32 v21, 32, v21
	v_lshrrev_b16_e32 v20, 3, v14
	v_subrev_u32_e32 v22, 28, v21
	v_and_b32_e32 v20, 15, v20
	v_lshlrev_b32_e32 v14, v22, v14
	v_sub_u32_e32 v21, 29, v21
	v_and_b32_e32 v14, 7, v14
	v_cmp_eq_u16_e32 vcc, 0, v20
	v_cndmask_b32_e32 v10, v10, v14, vcc
	v_cndmask_b32_e32 v14, v20, v21, vcc
	v_lshlrev_b32_e32 v20, 16, v15
	v_mov_b32_e32 v21, 0x3b800000
	v_lshlrev_b32_e32 v10, 20, v10
	v_and_b32_e32 v20, 0x80000000, v20
	v_lshl_add_u32 v14, v14, 23, v21
	v_or3_b32 v10, v20, v14, v10
.LBB55_1068:
	s_or_b64 exec, exec, s[6:7]
	v_lshrrev_b32_e32 v14, 8, v11
	s_movk_i32 s4, 0x7f
	v_cmp_gt_i16_sdwa s[6:7], v14, s4 src0_sel:BYTE_0 src1_sel:DWORD
	s_mov_b64 s[4:5], 0
                                        ; implicit-def: $sgpr10
	s_and_saveexec_b64 s[8:9], s[6:7]
	s_xor_b64 s[6:7], exec, s[8:9]
	s_cbranch_execnz .LBB55_3117
; %bb.1069:
	s_or_saveexec_b64 s[6:7], s[6:7]
	v_mov_b32_e32 v20, s10
	s_xor_b64 exec, exec, s[6:7]
	s_cbranch_execnz .LBB55_3120
.LBB55_1070:
	s_or_b64 exec, exec, s[6:7]
	s_and_saveexec_b64 s[6:7], s[4:5]
	s_cbranch_execz .LBB55_1072
.LBB55_1071:
	v_bfe_u32 v20, v11, 8, 3
	v_ffbh_u32_e32 v22, v20
	v_min_u32_e32 v22, 32, v22
	v_lshrrev_b16_e32 v21, 3, v14
	v_subrev_u32_e32 v23, 28, v22
	v_and_b32_e32 v21, 15, v21
	v_lshlrev_b32_e32 v14, v23, v14
	v_sub_u32_e32 v22, 29, v22
	v_and_b32_e32 v14, 7, v14
	v_cmp_eq_u16_e32 vcc, 0, v21
	v_cndmask_b32_e32 v14, v20, v14, vcc
	v_cndmask_b32_e32 v20, v21, v22, vcc
	v_lshlrev_b32_e32 v21, 16, v11
	v_mov_b32_e32 v22, 0x3b800000
	v_lshlrev_b32_e32 v14, 20, v14
	v_and_b32_e32 v21, 0x80000000, v21
	v_lshl_add_u32 v20, v20, 23, v22
	v_or3_b32 v20, v21, v20, v14
.LBB55_1072:
	s_or_b64 exec, exec, s[6:7]
	s_nop 0
	v_mfma_f32_16x16x4f32 a[0:3], v10, v20, a[0:3]
	s_movk_i32 s4, 0xff
	v_and_b32_sdwa v14, v15, s4 dst_sel:DWORD dst_unused:UNUSED_PAD src0_sel:WORD_1 src1_sel:DWORD
	s_movk_i32 s4, 0x7f
	v_cmp_lt_i16_e32 vcc, s4, v14
	s_mov_b64 s[4:5], 0
                                        ; implicit-def: $sgpr10
	s_and_saveexec_b64 s[6:7], vcc
	s_xor_b64 s[6:7], exec, s[6:7]
	s_cbranch_execnz .LBB55_3121
; %bb.1073:
	s_or_saveexec_b64 s[6:7], s[6:7]
	v_mov_b32_e32 v10, s10
	s_xor_b64 exec, exec, s[6:7]
	s_cbranch_execnz .LBB55_3124
.LBB55_1074:
	s_or_b64 exec, exec, s[6:7]
	s_and_saveexec_b64 s[6:7], s[4:5]
	s_cbranch_execz .LBB55_1076
.LBB55_1075:
	v_bfe_u32 v10, v15, 16, 3
	v_ffbh_u32_e32 v21, v10
	v_min_u32_e32 v21, 32, v21
	v_lshrrev_b32_e32 v14, 19, v15
	v_subrev_u32_e32 v22, 28, v21
	v_and_b32_e32 v14, 15, v14
	v_lshlrev_b32_sdwa v22, v22, v15 dst_sel:DWORD dst_unused:UNUSED_PAD src0_sel:DWORD src1_sel:WORD_1
	v_bfe_u32 v20, v15, 19, 4
	v_sub_u32_e32 v21, 29, v21
	v_and_b32_e32 v22, 7, v22
	v_cmp_eq_u16_e32 vcc, 0, v14
	v_cndmask_b32_e32 v10, v10, v22, vcc
	v_cndmask_b32_e32 v14, v20, v21, vcc
	v_lshlrev_b32_e32 v20, 8, v15
	v_mov_b32_e32 v21, 0x3b800000
	v_lshlrev_b32_e32 v10, 20, v10
	v_and_b32_e32 v20, 0x80000000, v20
	v_lshl_add_u32 v14, v14, 23, v21
	v_or3_b32 v10, v20, v14, v10
.LBB55_1076:
	s_or_b64 exec, exec, s[6:7]
	s_movk_i32 s4, 0xff
	v_and_b32_sdwa v14, v11, s4 dst_sel:DWORD dst_unused:UNUSED_PAD src0_sel:WORD_1 src1_sel:DWORD
	s_movk_i32 s4, 0x7f
	v_cmp_lt_i16_e32 vcc, s4, v14
	s_mov_b64 s[4:5], 0
                                        ; implicit-def: $sgpr10
	s_and_saveexec_b64 s[6:7], vcc
	s_xor_b64 s[6:7], exec, s[6:7]
	s_cbranch_execnz .LBB55_3125
; %bb.1077:
	s_or_saveexec_b64 s[6:7], s[6:7]
	v_mov_b32_e32 v20, s10
	s_xor_b64 exec, exec, s[6:7]
	s_cbranch_execnz .LBB55_3128
.LBB55_1078:
	s_or_b64 exec, exec, s[6:7]
	s_and_saveexec_b64 s[6:7], s[4:5]
	s_cbranch_execz .LBB55_1080
.LBB55_1079:
	v_bfe_u32 v14, v11, 16, 3
	v_ffbh_u32_e32 v22, v14
	v_min_u32_e32 v22, 32, v22
	v_lshrrev_b32_e32 v20, 19, v11
	v_subrev_u32_e32 v23, 28, v22
	v_and_b32_e32 v20, 15, v20
	v_lshlrev_b32_sdwa v23, v23, v11 dst_sel:DWORD dst_unused:UNUSED_PAD src0_sel:DWORD src1_sel:WORD_1
	v_bfe_u32 v21, v11, 19, 4
	v_sub_u32_e32 v22, 29, v22
	v_and_b32_e32 v23, 7, v23
	v_cmp_eq_u16_e32 vcc, 0, v20
	v_cndmask_b32_e32 v14, v14, v23, vcc
	v_cndmask_b32_e32 v20, v21, v22, vcc
	v_lshlrev_b32_e32 v21, 8, v11
	v_mov_b32_e32 v22, 0x3b800000
	v_lshlrev_b32_e32 v14, 20, v14
	v_and_b32_e32 v21, 0x80000000, v21
	v_lshl_add_u32 v20, v20, 23, v22
	v_or3_b32 v20, v21, v20, v14
.LBB55_1080:
	s_or_b64 exec, exec, s[6:7]
	s_nop 0
	v_mfma_f32_16x16x4f32 a[0:3], v10, v20, a[0:3]
	s_movk_i32 s4, 0x7f
	v_cmp_gt_i16_sdwa s[6:7], v15, s4 src0_sel:BYTE_3 src1_sel:DWORD
	s_mov_b64 s[4:5], 0
                                        ; implicit-def: $sgpr10
	s_and_saveexec_b64 s[8:9], s[6:7]
	s_xor_b64 s[6:7], exec, s[8:9]
	s_cbranch_execnz .LBB55_3129
; %bb.1081:
	s_or_saveexec_b64 s[6:7], s[6:7]
	v_mov_b32_e32 v10, s10
	s_xor_b64 exec, exec, s[6:7]
	s_cbranch_execnz .LBB55_3132
.LBB55_1082:
	s_or_b64 exec, exec, s[6:7]
	s_and_saveexec_b64 s[6:7], s[4:5]
	s_cbranch_execz .LBB55_1084
.LBB55_1083:
	v_bfe_u32 v10, v15, 24, 3
	v_ffbh_u32_e32 v22, v10
	v_min_u32_e32 v22, 32, v22
	v_lshrrev_b32_e32 v20, 27, v15
	v_subrev_u32_e32 v23, 28, v22
	v_and_b32_e32 v14, 0x80000000, v15
	v_and_b32_e32 v20, 15, v20
	v_bfe_u32 v21, v15, 27, 4
	v_lshlrev_b32_sdwa v15, v23, v15 dst_sel:DWORD dst_unused:UNUSED_PAD src0_sel:DWORD src1_sel:BYTE_3
	v_sub_u32_e32 v22, 29, v22
	v_and_b32_e32 v15, 7, v15
	v_cmp_eq_u16_e32 vcc, 0, v20
	v_cndmask_b32_e32 v10, v10, v15, vcc
	v_cndmask_b32_e32 v15, v21, v22, vcc
	v_mov_b32_e32 v20, 0x3b800000
	v_lshlrev_b32_e32 v10, 20, v10
	v_lshl_add_u32 v15, v15, 23, v20
	v_or3_b32 v10, v14, v15, v10
.LBB55_1084:
	s_or_b64 exec, exec, s[6:7]
	s_movk_i32 s4, 0x7f
	v_cmp_gt_i16_sdwa s[6:7], v11, s4 src0_sel:BYTE_3 src1_sel:DWORD
	s_mov_b64 s[4:5], 0
                                        ; implicit-def: $sgpr10
	s_and_saveexec_b64 s[8:9], s[6:7]
	s_xor_b64 s[6:7], exec, s[8:9]
	s_cbranch_execnz .LBB55_3133
; %bb.1085:
	s_or_saveexec_b64 s[6:7], s[6:7]
	v_mov_b32_e32 v14, s10
	s_xor_b64 exec, exec, s[6:7]
	s_cbranch_execnz .LBB55_3136
.LBB55_1086:
	s_or_b64 exec, exec, s[6:7]
	s_and_saveexec_b64 s[6:7], s[4:5]
	s_cbranch_execz .LBB55_1088
.LBB55_1087:
	v_bfe_u32 v14, v11, 24, 3
	v_ffbh_u32_e32 v22, v14
	v_min_u32_e32 v22, 32, v22
	v_lshrrev_b32_e32 v20, 27, v11
	v_subrev_u32_e32 v23, 28, v22
	v_and_b32_e32 v15, 0x80000000, v11
	v_and_b32_e32 v20, 15, v20
	v_bfe_u32 v21, v11, 27, 4
	v_lshlrev_b32_sdwa v11, v23, v11 dst_sel:DWORD dst_unused:UNUSED_PAD src0_sel:DWORD src1_sel:BYTE_3
	v_sub_u32_e32 v22, 29, v22
	v_and_b32_e32 v11, 7, v11
	v_cmp_eq_u16_e32 vcc, 0, v20
	v_cndmask_b32_e32 v11, v14, v11, vcc
	v_cndmask_b32_e32 v14, v21, v22, vcc
	v_mov_b32_e32 v20, 0x3b800000
	v_lshlrev_b32_e32 v11, 20, v11
	v_lshl_add_u32 v14, v14, 23, v20
	v_or3_b32 v14, v15, v14, v11
.LBB55_1088:
	s_or_b64 exec, exec, s[6:7]
	s_nop 0
	v_mfma_f32_16x16x4f32 a[0:3], v10, v14, a[0:3]
	s_movk_i32 s4, 0x7f
	v_cmp_gt_i16_sdwa s[6:7], v16, s4 src0_sel:BYTE_0 src1_sel:DWORD
	s_mov_b64 s[4:5], 0
                                        ; implicit-def: $sgpr10
	s_and_saveexec_b64 s[8:9], s[6:7]
	s_xor_b64 s[6:7], exec, s[8:9]
	s_cbranch_execnz .LBB55_3137
; %bb.1089:
	s_or_saveexec_b64 s[6:7], s[6:7]
	v_mov_b32_e32 v10, s10
	s_xor_b64 exec, exec, s[6:7]
	s_cbranch_execnz .LBB55_3140
.LBB55_1090:
	s_or_b64 exec, exec, s[6:7]
	s_and_saveexec_b64 s[6:7], s[4:5]
	s_cbranch_execz .LBB55_1092
.LBB55_1091:
	v_and_b32_e32 v10, 7, v16
	v_ffbh_u32_e32 v14, v10
	v_min_u32_e32 v14, 32, v14
	v_lshrrev_b16_e32 v11, 3, v16
	v_subrev_u32_e32 v15, 28, v14
	v_and_b32_e32 v11, 15, v11
	v_lshlrev_b32_e32 v15, v15, v16
	v_sub_u32_e32 v14, 29, v14
	v_and_b32_e32 v15, 7, v15
	v_cmp_eq_u16_e32 vcc, 0, v11
	v_cndmask_b32_e32 v10, v10, v15, vcc
	v_cndmask_b32_e32 v11, v11, v14, vcc
	v_lshlrev_b32_e32 v14, 24, v16
	v_mov_b32_e32 v15, 0x3b800000
	v_lshlrev_b32_e32 v10, 20, v10
	v_and_b32_e32 v14, 0x80000000, v14
	v_lshl_add_u32 v11, v11, 23, v15
	v_or3_b32 v10, v14, v11, v10
.LBB55_1092:
	s_or_b64 exec, exec, s[6:7]
	s_movk_i32 s4, 0x7f
	v_cmp_gt_i16_sdwa s[6:7], v12, s4 src0_sel:BYTE_0 src1_sel:DWORD
	s_mov_b64 s[4:5], 0
                                        ; implicit-def: $sgpr10
	s_and_saveexec_b64 s[8:9], s[6:7]
	s_xor_b64 s[6:7], exec, s[8:9]
	s_cbranch_execnz .LBB55_3141
; %bb.1093:
	s_or_saveexec_b64 s[6:7], s[6:7]
	v_mov_b32_e32 v11, s10
	s_xor_b64 exec, exec, s[6:7]
	s_cbranch_execnz .LBB55_3144
.LBB55_1094:
	s_or_b64 exec, exec, s[6:7]
	s_and_saveexec_b64 s[6:7], s[4:5]
	s_cbranch_execz .LBB55_1096
.LBB55_1095:
	v_and_b32_e32 v11, 7, v12
	v_ffbh_u32_e32 v15, v11
	v_min_u32_e32 v15, 32, v15
	v_lshrrev_b16_e32 v14, 3, v12
	v_subrev_u32_e32 v20, 28, v15
	v_and_b32_e32 v14, 15, v14
	v_lshlrev_b32_e32 v20, v20, v12
	v_sub_u32_e32 v15, 29, v15
	v_and_b32_e32 v20, 7, v20
	v_cmp_eq_u16_e32 vcc, 0, v14
	v_cndmask_b32_e32 v11, v11, v20, vcc
	v_cndmask_b32_e32 v14, v14, v15, vcc
	v_lshlrev_b32_e32 v15, 24, v12
	v_mov_b32_e32 v20, 0x3b800000
	v_lshlrev_b32_e32 v11, 20, v11
	v_and_b32_e32 v15, 0x80000000, v15
	v_lshl_add_u32 v14, v14, 23, v20
	v_or3_b32 v11, v15, v14, v11
.LBB55_1096:
	s_or_b64 exec, exec, s[6:7]
	s_nop 0
	v_mfma_f32_16x16x4f32 a[0:3], v10, v11, a[0:3]
	v_lshrrev_b32_e32 v11, 8, v16
	s_movk_i32 s4, 0x7f
	v_cmp_gt_i16_sdwa s[6:7], v11, s4 src0_sel:BYTE_0 src1_sel:DWORD
	s_mov_b64 s[4:5], 0
                                        ; implicit-def: $sgpr10
	s_and_saveexec_b64 s[8:9], s[6:7]
	s_xor_b64 s[6:7], exec, s[8:9]
	s_cbranch_execnz .LBB55_3145
; %bb.1097:
	s_or_saveexec_b64 s[6:7], s[6:7]
	v_mov_b32_e32 v10, s10
	s_xor_b64 exec, exec, s[6:7]
	s_cbranch_execnz .LBB55_3148
.LBB55_1098:
	s_or_b64 exec, exec, s[6:7]
	s_and_saveexec_b64 s[6:7], s[4:5]
	s_cbranch_execz .LBB55_1100
.LBB55_1099:
	v_bfe_u32 v10, v16, 8, 3
	v_ffbh_u32_e32 v15, v10
	v_min_u32_e32 v15, 32, v15
	v_lshrrev_b16_e32 v14, 3, v11
	v_subrev_u32_e32 v20, 28, v15
	v_and_b32_e32 v14, 15, v14
	v_lshlrev_b32_e32 v11, v20, v11
	v_sub_u32_e32 v15, 29, v15
	v_and_b32_e32 v11, 7, v11
	v_cmp_eq_u16_e32 vcc, 0, v14
	v_cndmask_b32_e32 v10, v10, v11, vcc
	v_cndmask_b32_e32 v11, v14, v15, vcc
	v_lshlrev_b32_e32 v14, 16, v16
	v_mov_b32_e32 v15, 0x3b800000
	v_lshlrev_b32_e32 v10, 20, v10
	v_and_b32_e32 v14, 0x80000000, v14
	v_lshl_add_u32 v11, v11, 23, v15
	v_or3_b32 v10, v14, v11, v10
.LBB55_1100:
	s_or_b64 exec, exec, s[6:7]
	v_lshrrev_b32_e32 v11, 8, v12
	s_movk_i32 s4, 0x7f
	v_cmp_gt_i16_sdwa s[6:7], v11, s4 src0_sel:BYTE_0 src1_sel:DWORD
	s_mov_b64 s[4:5], 0
                                        ; implicit-def: $sgpr10
	s_and_saveexec_b64 s[8:9], s[6:7]
	s_xor_b64 s[6:7], exec, s[8:9]
	s_cbranch_execnz .LBB55_3149
; %bb.1101:
	s_or_saveexec_b64 s[6:7], s[6:7]
	v_mov_b32_e32 v14, s10
	s_xor_b64 exec, exec, s[6:7]
	s_cbranch_execnz .LBB55_3152
.LBB55_1102:
	s_or_b64 exec, exec, s[6:7]
	s_and_saveexec_b64 s[6:7], s[4:5]
	s_cbranch_execz .LBB55_1104
.LBB55_1103:
	v_bfe_u32 v14, v12, 8, 3
	v_ffbh_u32_e32 v20, v14
	v_min_u32_e32 v20, 32, v20
	v_lshrrev_b16_e32 v15, 3, v11
	v_subrev_u32_e32 v21, 28, v20
	v_and_b32_e32 v15, 15, v15
	v_lshlrev_b32_e32 v11, v21, v11
	v_sub_u32_e32 v20, 29, v20
	v_and_b32_e32 v11, 7, v11
	v_cmp_eq_u16_e32 vcc, 0, v15
	v_cndmask_b32_e32 v11, v14, v11, vcc
	v_cndmask_b32_e32 v14, v15, v20, vcc
	v_lshlrev_b32_e32 v15, 16, v12
	v_mov_b32_e32 v20, 0x3b800000
	v_lshlrev_b32_e32 v11, 20, v11
	v_and_b32_e32 v15, 0x80000000, v15
	v_lshl_add_u32 v14, v14, 23, v20
	v_or3_b32 v14, v15, v14, v11
.LBB55_1104:
	s_or_b64 exec, exec, s[6:7]
	s_nop 0
	v_mfma_f32_16x16x4f32 a[0:3], v10, v14, a[0:3]
	s_movk_i32 s4, 0xff
	v_and_b32_sdwa v11, v16, s4 dst_sel:DWORD dst_unused:UNUSED_PAD src0_sel:WORD_1 src1_sel:DWORD
	s_movk_i32 s4, 0x7f
	v_cmp_lt_i16_e32 vcc, s4, v11
	s_mov_b64 s[4:5], 0
                                        ; implicit-def: $sgpr10
	s_and_saveexec_b64 s[6:7], vcc
	s_xor_b64 s[6:7], exec, s[6:7]
	s_cbranch_execnz .LBB55_3153
; %bb.1105:
	s_or_saveexec_b64 s[6:7], s[6:7]
	v_mov_b32_e32 v10, s10
	s_xor_b64 exec, exec, s[6:7]
	s_cbranch_execnz .LBB55_3156
.LBB55_1106:
	s_or_b64 exec, exec, s[6:7]
	s_and_saveexec_b64 s[6:7], s[4:5]
	s_cbranch_execz .LBB55_1108
.LBB55_1107:
	v_bfe_u32 v10, v16, 16, 3
	v_ffbh_u32_e32 v15, v10
	v_min_u32_e32 v15, 32, v15
	v_lshrrev_b32_e32 v11, 19, v16
	v_subrev_u32_e32 v20, 28, v15
	v_and_b32_e32 v11, 15, v11
	v_lshlrev_b32_sdwa v20, v20, v16 dst_sel:DWORD dst_unused:UNUSED_PAD src0_sel:DWORD src1_sel:WORD_1
	v_bfe_u32 v14, v16, 19, 4
	v_sub_u32_e32 v15, 29, v15
	v_and_b32_e32 v20, 7, v20
	v_cmp_eq_u16_e32 vcc, 0, v11
	v_cndmask_b32_e32 v10, v10, v20, vcc
	v_cndmask_b32_e32 v11, v14, v15, vcc
	v_lshlrev_b32_e32 v14, 8, v16
	v_mov_b32_e32 v15, 0x3b800000
	v_lshlrev_b32_e32 v10, 20, v10
	v_and_b32_e32 v14, 0x80000000, v14
	v_lshl_add_u32 v11, v11, 23, v15
	v_or3_b32 v10, v14, v11, v10
.LBB55_1108:
	s_or_b64 exec, exec, s[6:7]
	s_movk_i32 s4, 0xff
	v_and_b32_sdwa v11, v12, s4 dst_sel:DWORD dst_unused:UNUSED_PAD src0_sel:WORD_1 src1_sel:DWORD
	s_movk_i32 s4, 0x7f
	v_cmp_lt_i16_e32 vcc, s4, v11
	s_mov_b64 s[4:5], 0
                                        ; implicit-def: $sgpr10
	s_and_saveexec_b64 s[6:7], vcc
	s_xor_b64 s[6:7], exec, s[6:7]
	s_cbranch_execnz .LBB55_3157
; %bb.1109:
	s_or_saveexec_b64 s[6:7], s[6:7]
	v_mov_b32_e32 v14, s10
	s_xor_b64 exec, exec, s[6:7]
	s_cbranch_execnz .LBB55_3160
.LBB55_1110:
	s_or_b64 exec, exec, s[6:7]
	s_and_saveexec_b64 s[6:7], s[4:5]
	s_cbranch_execz .LBB55_1112
.LBB55_1111:
	v_bfe_u32 v11, v12, 16, 3
	v_ffbh_u32_e32 v20, v11
	v_min_u32_e32 v20, 32, v20
	v_lshrrev_b32_e32 v14, 19, v12
	v_subrev_u32_e32 v21, 28, v20
	v_and_b32_e32 v14, 15, v14
	v_lshlrev_b32_sdwa v21, v21, v12 dst_sel:DWORD dst_unused:UNUSED_PAD src0_sel:DWORD src1_sel:WORD_1
	v_bfe_u32 v15, v12, 19, 4
	v_sub_u32_e32 v20, 29, v20
	v_and_b32_e32 v21, 7, v21
	v_cmp_eq_u16_e32 vcc, 0, v14
	v_cndmask_b32_e32 v11, v11, v21, vcc
	v_cndmask_b32_e32 v14, v15, v20, vcc
	v_lshlrev_b32_e32 v15, 8, v12
	v_mov_b32_e32 v20, 0x3b800000
	v_lshlrev_b32_e32 v11, 20, v11
	v_and_b32_e32 v15, 0x80000000, v15
	v_lshl_add_u32 v14, v14, 23, v20
	v_or3_b32 v14, v15, v14, v11
.LBB55_1112:
	s_or_b64 exec, exec, s[6:7]
	s_nop 0
	v_mfma_f32_16x16x4f32 a[0:3], v10, v14, a[0:3]
	s_movk_i32 s4, 0x7f
	v_cmp_gt_i16_sdwa s[6:7], v16, s4 src0_sel:BYTE_3 src1_sel:DWORD
	s_mov_b64 s[4:5], 0
                                        ; implicit-def: $sgpr10
	s_and_saveexec_b64 s[8:9], s[6:7]
	s_xor_b64 s[6:7], exec, s[8:9]
	s_cbranch_execnz .LBB55_3161
; %bb.1113:
	s_or_saveexec_b64 s[6:7], s[6:7]
	v_mov_b32_e32 v10, s10
	s_xor_b64 exec, exec, s[6:7]
	s_cbranch_execnz .LBB55_3164
.LBB55_1114:
	s_or_b64 exec, exec, s[6:7]
	s_and_saveexec_b64 s[6:7], s[4:5]
	s_cbranch_execz .LBB55_1116
.LBB55_1115:
	v_bfe_u32 v10, v16, 24, 3
	v_ffbh_u32_e32 v20, v10
	v_min_u32_e32 v20, 32, v20
	v_lshrrev_b32_e32 v14, 27, v16
	v_subrev_u32_e32 v21, 28, v20
	v_and_b32_e32 v11, 0x80000000, v16
	v_and_b32_e32 v14, 15, v14
	v_bfe_u32 v15, v16, 27, 4
	v_lshlrev_b32_sdwa v16, v21, v16 dst_sel:DWORD dst_unused:UNUSED_PAD src0_sel:DWORD src1_sel:BYTE_3
	v_sub_u32_e32 v20, 29, v20
	v_and_b32_e32 v16, 7, v16
	v_cmp_eq_u16_e32 vcc, 0, v14
	v_cndmask_b32_e32 v10, v10, v16, vcc
	v_cndmask_b32_e32 v14, v15, v20, vcc
	v_mov_b32_e32 v15, 0x3b800000
	v_lshlrev_b32_e32 v10, 20, v10
	v_lshl_add_u32 v14, v14, 23, v15
	v_or3_b32 v10, v11, v14, v10
.LBB55_1116:
	s_or_b64 exec, exec, s[6:7]
	s_movk_i32 s4, 0x7f
	v_cmp_gt_i16_sdwa s[6:7], v12, s4 src0_sel:BYTE_3 src1_sel:DWORD
	s_mov_b64 s[4:5], 0
                                        ; implicit-def: $sgpr10
	s_and_saveexec_b64 s[8:9], s[6:7]
	s_xor_b64 s[6:7], exec, s[8:9]
	s_cbranch_execnz .LBB55_3165
; %bb.1117:
	s_or_saveexec_b64 s[6:7], s[6:7]
	v_mov_b32_e32 v11, s10
	s_xor_b64 exec, exec, s[6:7]
	s_cbranch_execnz .LBB55_3168
.LBB55_1118:
	s_or_b64 exec, exec, s[6:7]
	s_and_saveexec_b64 s[6:7], s[4:5]
	s_cbranch_execz .LBB55_1120
.LBB55_1119:
	v_bfe_u32 v11, v12, 24, 3
	v_ffbh_u32_e32 v20, v11
	v_min_u32_e32 v20, 32, v20
	v_lshrrev_b32_e32 v15, 27, v12
	v_subrev_u32_e32 v21, 28, v20
	v_and_b32_e32 v14, 0x80000000, v12
	v_and_b32_e32 v15, 15, v15
	v_bfe_u32 v16, v12, 27, 4
	v_lshlrev_b32_sdwa v12, v21, v12 dst_sel:DWORD dst_unused:UNUSED_PAD src0_sel:DWORD src1_sel:BYTE_3
	v_sub_u32_e32 v20, 29, v20
	v_and_b32_e32 v12, 7, v12
	v_cmp_eq_u16_e32 vcc, 0, v15
	v_cndmask_b32_e32 v11, v11, v12, vcc
	v_cndmask_b32_e32 v12, v16, v20, vcc
	v_mov_b32_e32 v15, 0x3b800000
	v_lshlrev_b32_e32 v11, 20, v11
	v_lshl_add_u32 v12, v12, 23, v15
	v_or3_b32 v11, v14, v12, v11
.LBB55_1120:
	s_or_b64 exec, exec, s[6:7]
	s_nop 0
	v_mfma_f32_16x16x4f32 a[0:3], v10, v11, a[0:3]
	s_movk_i32 s4, 0x7f
	v_cmp_gt_i16_sdwa s[6:7], v17, s4 src0_sel:BYTE_0 src1_sel:DWORD
	s_mov_b64 s[4:5], 0
                                        ; implicit-def: $sgpr10
	s_and_saveexec_b64 s[8:9], s[6:7]
	s_xor_b64 s[6:7], exec, s[8:9]
	s_cbranch_execnz .LBB55_3169
; %bb.1121:
	s_or_saveexec_b64 s[6:7], s[6:7]
	v_mov_b32_e32 v10, s10
	s_xor_b64 exec, exec, s[6:7]
	s_cbranch_execnz .LBB55_3172
.LBB55_1122:
	s_or_b64 exec, exec, s[6:7]
	s_and_saveexec_b64 s[6:7], s[4:5]
	s_cbranch_execz .LBB55_1124
.LBB55_1123:
	v_and_b32_e32 v10, 7, v17
	v_ffbh_u32_e32 v12, v10
	v_min_u32_e32 v12, 32, v12
	v_lshrrev_b16_e32 v11, 3, v17
	v_subrev_u32_e32 v14, 28, v12
	v_and_b32_e32 v11, 15, v11
	v_lshlrev_b32_e32 v14, v14, v17
	v_sub_u32_e32 v12, 29, v12
	v_and_b32_e32 v14, 7, v14
	v_cmp_eq_u16_e32 vcc, 0, v11
	v_cndmask_b32_e32 v10, v10, v14, vcc
	v_cndmask_b32_e32 v11, v11, v12, vcc
	v_lshlrev_b32_e32 v12, 24, v17
	v_mov_b32_e32 v14, 0x3b800000
	v_lshlrev_b32_e32 v10, 20, v10
	v_and_b32_e32 v12, 0x80000000, v12
	v_lshl_add_u32 v11, v11, 23, v14
	v_or3_b32 v10, v12, v11, v10
.LBB55_1124:
	s_or_b64 exec, exec, s[6:7]
	s_movk_i32 s4, 0x7f
	v_cmp_gt_i16_sdwa s[6:7], v13, s4 src0_sel:BYTE_0 src1_sel:DWORD
	s_mov_b64 s[4:5], 0
                                        ; implicit-def: $sgpr10
	s_and_saveexec_b64 s[8:9], s[6:7]
	s_xor_b64 s[6:7], exec, s[8:9]
	s_cbranch_execnz .LBB55_3173
; %bb.1125:
	s_or_saveexec_b64 s[6:7], s[6:7]
	v_mov_b32_e32 v11, s10
	s_xor_b64 exec, exec, s[6:7]
	s_cbranch_execnz .LBB55_3176
.LBB55_1126:
	s_or_b64 exec, exec, s[6:7]
	s_and_saveexec_b64 s[6:7], s[4:5]
	s_cbranch_execz .LBB55_1128
.LBB55_1127:
	v_and_b32_e32 v11, 7, v13
	v_ffbh_u32_e32 v14, v11
	v_min_u32_e32 v14, 32, v14
	v_lshrrev_b16_e32 v12, 3, v13
	v_subrev_u32_e32 v15, 28, v14
	v_and_b32_e32 v12, 15, v12
	v_lshlrev_b32_e32 v15, v15, v13
	v_sub_u32_e32 v14, 29, v14
	v_and_b32_e32 v15, 7, v15
	v_cmp_eq_u16_e32 vcc, 0, v12
	v_cndmask_b32_e32 v11, v11, v15, vcc
	v_cndmask_b32_e32 v12, v12, v14, vcc
	v_lshlrev_b32_e32 v14, 24, v13
	v_mov_b32_e32 v15, 0x3b800000
	v_lshlrev_b32_e32 v11, 20, v11
	v_and_b32_e32 v14, 0x80000000, v14
	v_lshl_add_u32 v12, v12, 23, v15
	v_or3_b32 v11, v14, v12, v11
.LBB55_1128:
	s_or_b64 exec, exec, s[6:7]
	s_nop 0
	v_mfma_f32_16x16x4f32 a[0:3], v10, v11, a[0:3]
	v_lshrrev_b32_e32 v11, 8, v17
	s_movk_i32 s4, 0x7f
	v_cmp_gt_i16_sdwa s[6:7], v11, s4 src0_sel:BYTE_0 src1_sel:DWORD
	s_mov_b64 s[4:5], 0
                                        ; implicit-def: $sgpr10
	s_and_saveexec_b64 s[8:9], s[6:7]
	s_xor_b64 s[6:7], exec, s[8:9]
	s_cbranch_execnz .LBB55_3177
; %bb.1129:
	s_or_saveexec_b64 s[6:7], s[6:7]
	v_mov_b32_e32 v10, s10
	s_xor_b64 exec, exec, s[6:7]
	s_cbranch_execnz .LBB55_3180
.LBB55_1130:
	s_or_b64 exec, exec, s[6:7]
	s_and_saveexec_b64 s[6:7], s[4:5]
	s_cbranch_execz .LBB55_1132
.LBB55_1131:
	v_bfe_u32 v10, v17, 8, 3
	v_ffbh_u32_e32 v14, v10
	v_min_u32_e32 v14, 32, v14
	v_lshrrev_b16_e32 v12, 3, v11
	v_subrev_u32_e32 v15, 28, v14
	v_and_b32_e32 v12, 15, v12
	v_lshlrev_b32_e32 v11, v15, v11
	v_sub_u32_e32 v14, 29, v14
	v_and_b32_e32 v11, 7, v11
	v_cmp_eq_u16_e32 vcc, 0, v12
	v_cndmask_b32_e32 v10, v10, v11, vcc
	v_cndmask_b32_e32 v11, v12, v14, vcc
	v_lshlrev_b32_e32 v12, 16, v17
	v_mov_b32_e32 v14, 0x3b800000
	v_lshlrev_b32_e32 v10, 20, v10
	v_and_b32_e32 v12, 0x80000000, v12
	v_lshl_add_u32 v11, v11, 23, v14
	v_or3_b32 v10, v12, v11, v10
.LBB55_1132:
	s_or_b64 exec, exec, s[6:7]
	v_lshrrev_b32_e32 v11, 8, v13
	s_movk_i32 s4, 0x7f
	v_cmp_gt_i16_sdwa s[6:7], v11, s4 src0_sel:BYTE_0 src1_sel:DWORD
	s_mov_b64 s[4:5], 0
                                        ; implicit-def: $sgpr10
	s_and_saveexec_b64 s[8:9], s[6:7]
	s_xor_b64 s[6:7], exec, s[8:9]
	s_cbranch_execnz .LBB55_3181
; %bb.1133:
	s_or_saveexec_b64 s[6:7], s[6:7]
	v_mov_b32_e32 v12, s10
	s_xor_b64 exec, exec, s[6:7]
	s_cbranch_execnz .LBB55_3184
.LBB55_1134:
	s_or_b64 exec, exec, s[6:7]
	s_and_saveexec_b64 s[6:7], s[4:5]
	s_cbranch_execz .LBB55_1136
.LBB55_1135:
	v_bfe_u32 v12, v13, 8, 3
	v_ffbh_u32_e32 v15, v12
	v_min_u32_e32 v15, 32, v15
	v_lshrrev_b16_e32 v14, 3, v11
	v_subrev_u32_e32 v16, 28, v15
	v_and_b32_e32 v14, 15, v14
	v_lshlrev_b32_e32 v11, v16, v11
	v_sub_u32_e32 v15, 29, v15
	v_and_b32_e32 v11, 7, v11
	v_cmp_eq_u16_e32 vcc, 0, v14
	v_cndmask_b32_e32 v11, v12, v11, vcc
	v_cndmask_b32_e32 v12, v14, v15, vcc
	v_lshlrev_b32_e32 v14, 16, v13
	v_mov_b32_e32 v15, 0x3b800000
	v_lshlrev_b32_e32 v11, 20, v11
	v_and_b32_e32 v14, 0x80000000, v14
	v_lshl_add_u32 v12, v12, 23, v15
	v_or3_b32 v12, v14, v12, v11
.LBB55_1136:
	s_or_b64 exec, exec, s[6:7]
	s_nop 0
	v_mfma_f32_16x16x4f32 a[0:3], v10, v12, a[0:3]
	s_movk_i32 s4, 0xff
	v_and_b32_sdwa v11, v17, s4 dst_sel:DWORD dst_unused:UNUSED_PAD src0_sel:WORD_1 src1_sel:DWORD
	s_movk_i32 s4, 0x7f
	v_cmp_lt_i16_e32 vcc, s4, v11
	s_mov_b64 s[4:5], 0
                                        ; implicit-def: $sgpr10
	s_and_saveexec_b64 s[6:7], vcc
	s_xor_b64 s[6:7], exec, s[6:7]
	s_cbranch_execnz .LBB55_3185
; %bb.1137:
	s_or_saveexec_b64 s[6:7], s[6:7]
	v_mov_b32_e32 v10, s10
	s_xor_b64 exec, exec, s[6:7]
	s_cbranch_execnz .LBB55_3188
.LBB55_1138:
	s_or_b64 exec, exec, s[6:7]
	s_and_saveexec_b64 s[6:7], s[4:5]
	s_cbranch_execz .LBB55_1140
.LBB55_1139:
	v_bfe_u32 v10, v17, 16, 3
	v_ffbh_u32_e32 v14, v10
	v_min_u32_e32 v14, 32, v14
	v_lshrrev_b32_e32 v11, 19, v17
	v_subrev_u32_e32 v15, 28, v14
	v_and_b32_e32 v11, 15, v11
	v_lshlrev_b32_sdwa v15, v15, v17 dst_sel:DWORD dst_unused:UNUSED_PAD src0_sel:DWORD src1_sel:WORD_1
	v_bfe_u32 v12, v17, 19, 4
	v_sub_u32_e32 v14, 29, v14
	v_and_b32_e32 v15, 7, v15
	v_cmp_eq_u16_e32 vcc, 0, v11
	v_cndmask_b32_e32 v10, v10, v15, vcc
	v_cndmask_b32_e32 v11, v12, v14, vcc
	v_lshlrev_b32_e32 v12, 8, v17
	v_mov_b32_e32 v14, 0x3b800000
	v_lshlrev_b32_e32 v10, 20, v10
	v_and_b32_e32 v12, 0x80000000, v12
	v_lshl_add_u32 v11, v11, 23, v14
	v_or3_b32 v10, v12, v11, v10
.LBB55_1140:
	s_or_b64 exec, exec, s[6:7]
	s_movk_i32 s4, 0xff
	v_and_b32_sdwa v11, v13, s4 dst_sel:DWORD dst_unused:UNUSED_PAD src0_sel:WORD_1 src1_sel:DWORD
	s_movk_i32 s4, 0x7f
	v_cmp_lt_i16_e32 vcc, s4, v11
	s_mov_b64 s[4:5], 0
                                        ; implicit-def: $sgpr10
	s_and_saveexec_b64 s[6:7], vcc
	s_xor_b64 s[6:7], exec, s[6:7]
	s_cbranch_execnz .LBB55_3189
; %bb.1141:
	s_or_saveexec_b64 s[6:7], s[6:7]
	v_mov_b32_e32 v12, s10
	s_xor_b64 exec, exec, s[6:7]
	s_cbranch_execnz .LBB55_3192
.LBB55_1142:
	s_or_b64 exec, exec, s[6:7]
	s_and_saveexec_b64 s[6:7], s[4:5]
	s_cbranch_execz .LBB55_1144
.LBB55_1143:
	v_bfe_u32 v11, v13, 16, 3
	v_ffbh_u32_e32 v15, v11
	v_min_u32_e32 v15, 32, v15
	v_lshrrev_b32_e32 v12, 19, v13
	v_subrev_u32_e32 v16, 28, v15
	v_and_b32_e32 v12, 15, v12
	v_lshlrev_b32_sdwa v16, v16, v13 dst_sel:DWORD dst_unused:UNUSED_PAD src0_sel:DWORD src1_sel:WORD_1
	v_bfe_u32 v14, v13, 19, 4
	v_sub_u32_e32 v15, 29, v15
	v_and_b32_e32 v16, 7, v16
	v_cmp_eq_u16_e32 vcc, 0, v12
	v_cndmask_b32_e32 v11, v11, v16, vcc
	v_cndmask_b32_e32 v12, v14, v15, vcc
	v_lshlrev_b32_e32 v14, 8, v13
	v_mov_b32_e32 v15, 0x3b800000
	v_lshlrev_b32_e32 v11, 20, v11
	v_and_b32_e32 v14, 0x80000000, v14
	v_lshl_add_u32 v12, v12, 23, v15
	v_or3_b32 v12, v14, v12, v11
.LBB55_1144:
	s_or_b64 exec, exec, s[6:7]
	s_nop 0
	v_mfma_f32_16x16x4f32 a[0:3], v10, v12, a[0:3]
	s_movk_i32 s4, 0x7f
	v_cmp_gt_i16_sdwa s[6:7], v17, s4 src0_sel:BYTE_3 src1_sel:DWORD
	s_mov_b64 s[4:5], 0
                                        ; implicit-def: $sgpr10
	s_and_saveexec_b64 s[8:9], s[6:7]
	s_xor_b64 s[6:7], exec, s[8:9]
	s_cbranch_execnz .LBB55_3193
; %bb.1145:
	s_or_saveexec_b64 s[6:7], s[6:7]
	v_mov_b32_e32 v10, s10
	s_xor_b64 exec, exec, s[6:7]
	s_cbranch_execnz .LBB55_3196
.LBB55_1146:
	s_or_b64 exec, exec, s[6:7]
	s_and_saveexec_b64 s[6:7], s[4:5]
	s_cbranch_execz .LBB55_1148
.LBB55_1147:
	v_bfe_u32 v10, v17, 24, 3
	v_ffbh_u32_e32 v15, v10
	v_min_u32_e32 v15, 32, v15
	v_lshrrev_b32_e32 v12, 27, v17
	v_subrev_u32_e32 v16, 28, v15
	v_and_b32_e32 v12, 15, v12
	v_lshlrev_b32_sdwa v16, v16, v17 dst_sel:DWORD dst_unused:UNUSED_PAD src0_sel:DWORD src1_sel:BYTE_3
	v_bfe_u32 v14, v17, 27, 4
	v_sub_u32_e32 v15, 29, v15
	v_and_b32_e32 v16, 7, v16
	v_cmp_eq_u16_e32 vcc, 0, v12
	v_cndmask_b32_e32 v10, v10, v16, vcc
	v_cndmask_b32_e32 v12, v14, v15, vcc
	v_mov_b32_e32 v14, 0x3b800000
	v_and_b32_e32 v11, 0x80000000, v17
	v_lshlrev_b32_e32 v10, 20, v10
	v_lshl_add_u32 v12, v12, 23, v14
	v_or3_b32 v10, v11, v12, v10
.LBB55_1148:
	s_or_b64 exec, exec, s[6:7]
	s_movk_i32 s4, 0x7f
	v_cmp_gt_i16_sdwa s[6:7], v13, s4 src0_sel:BYTE_3 src1_sel:DWORD
	s_mov_b64 s[4:5], 0
                                        ; implicit-def: $sgpr10
	s_and_saveexec_b64 s[8:9], s[6:7]
	s_xor_b64 s[6:7], exec, s[8:9]
	s_cbranch_execnz .LBB55_3197
; %bb.1149:
	s_or_saveexec_b64 s[6:7], s[6:7]
	v_mov_b32_e32 v11, s10
	s_xor_b64 exec, exec, s[6:7]
	s_cbranch_execnz .LBB55_3200
.LBB55_1150:
	s_or_b64 exec, exec, s[6:7]
	s_and_saveexec_b64 s[6:7], s[4:5]
	s_cbranch_execz .LBB55_1152
.LBB55_1151:
	v_bfe_u32 v11, v13, 24, 3
	v_ffbh_u32_e32 v16, v11
	v_min_u32_e32 v16, 32, v16
	v_lshrrev_b32_e32 v14, 27, v13
	v_subrev_u32_e32 v17, 28, v16
	v_and_b32_e32 v12, 0x80000000, v13
	v_and_b32_e32 v14, 15, v14
	v_bfe_u32 v15, v13, 27, 4
	v_lshlrev_b32_sdwa v13, v17, v13 dst_sel:DWORD dst_unused:UNUSED_PAD src0_sel:DWORD src1_sel:BYTE_3
	v_sub_u32_e32 v16, 29, v16
	v_and_b32_e32 v13, 7, v13
	v_cmp_eq_u16_e32 vcc, 0, v14
	v_cndmask_b32_e32 v11, v11, v13, vcc
	v_cndmask_b32_e32 v13, v15, v16, vcc
	v_mov_b32_e32 v14, 0x3b800000
	v_lshlrev_b32_e32 v11, 20, v11
	v_lshl_add_u32 v13, v13, 23, v14
	v_or3_b32 v11, v12, v13, v11
.LBB55_1152:
	s_or_b64 exec, exec, s[6:7]
	s_nop 0
	v_mfma_f32_16x16x4f32 a[0:3], v10, v11, a[0:3]
	s_movk_i32 s4, 0x7f
	v_cmp_gt_i16_sdwa s[6:7], v6, s4 src0_sel:BYTE_0 src1_sel:DWORD
	s_mov_b64 s[4:5], 0
                                        ; implicit-def: $sgpr10
	s_and_saveexec_b64 s[8:9], s[6:7]
	s_xor_b64 s[6:7], exec, s[8:9]
	s_cbranch_execnz .LBB55_3201
; %bb.1153:
	s_or_saveexec_b64 s[6:7], s[6:7]
	v_mov_b32_e32 v10, s10
	s_xor_b64 exec, exec, s[6:7]
	s_cbranch_execnz .LBB55_3204
.LBB55_1154:
	s_or_b64 exec, exec, s[6:7]
	s_and_saveexec_b64 s[6:7], s[4:5]
	s_cbranch_execz .LBB55_1156
.LBB55_1155:
	v_and_b32_e32 v10, 7, v6
	v_ffbh_u32_e32 v12, v10
	v_min_u32_e32 v12, 32, v12
	v_lshrrev_b16_e32 v11, 3, v6
	v_subrev_u32_e32 v13, 28, v12
	v_and_b32_e32 v11, 15, v11
	v_lshlrev_b32_e32 v13, v13, v6
	v_sub_u32_e32 v12, 29, v12
	v_and_b32_e32 v13, 7, v13
	v_cmp_eq_u16_e32 vcc, 0, v11
	v_cndmask_b32_e32 v10, v10, v13, vcc
	v_cndmask_b32_e32 v11, v11, v12, vcc
	v_lshlrev_b32_e32 v12, 24, v6
	v_mov_b32_e32 v13, 0x3b800000
	v_lshlrev_b32_e32 v10, 20, v10
	v_and_b32_e32 v12, 0x80000000, v12
	v_lshl_add_u32 v11, v11, 23, v13
	v_or3_b32 v10, v12, v11, v10
.LBB55_1156:
	s_or_b64 exec, exec, s[6:7]
	s_movk_i32 s4, 0x7f
	v_cmp_gt_i16_sdwa s[6:7], v2, s4 src0_sel:BYTE_0 src1_sel:DWORD
	s_mov_b64 s[4:5], 0
                                        ; implicit-def: $sgpr10
	s_and_saveexec_b64 s[8:9], s[6:7]
	s_xor_b64 s[6:7], exec, s[8:9]
	s_cbranch_execnz .LBB55_3205
; %bb.1157:
	s_or_saveexec_b64 s[6:7], s[6:7]
	v_mov_b32_e32 v11, s10
	s_xor_b64 exec, exec, s[6:7]
	s_cbranch_execnz .LBB55_3208
.LBB55_1158:
	s_or_b64 exec, exec, s[6:7]
	s_and_saveexec_b64 s[6:7], s[4:5]
	s_cbranch_execz .LBB55_1160
.LBB55_1159:
	v_and_b32_e32 v11, 7, v2
	v_ffbh_u32_e32 v13, v11
	v_min_u32_e32 v13, 32, v13
	v_lshrrev_b16_e32 v12, 3, v2
	v_subrev_u32_e32 v14, 28, v13
	v_and_b32_e32 v12, 15, v12
	v_lshlrev_b32_e32 v14, v14, v2
	v_sub_u32_e32 v13, 29, v13
	v_and_b32_e32 v14, 7, v14
	v_cmp_eq_u16_e32 vcc, 0, v12
	v_cndmask_b32_e32 v11, v11, v14, vcc
	v_cndmask_b32_e32 v12, v12, v13, vcc
	v_lshlrev_b32_e32 v13, 24, v2
	v_mov_b32_e32 v14, 0x3b800000
	v_lshlrev_b32_e32 v11, 20, v11
	v_and_b32_e32 v13, 0x80000000, v13
	v_lshl_add_u32 v12, v12, 23, v14
	v_or3_b32 v11, v13, v12, v11
.LBB55_1160:
	s_or_b64 exec, exec, s[6:7]
	s_nop 0
	v_mfma_f32_16x16x4f32 a[0:3], v10, v11, a[0:3]
	v_lshrrev_b32_e32 v11, 8, v6
	s_movk_i32 s4, 0x7f
	v_cmp_gt_i16_sdwa s[6:7], v11, s4 src0_sel:BYTE_0 src1_sel:DWORD
	s_mov_b64 s[4:5], 0
                                        ; implicit-def: $sgpr10
	s_and_saveexec_b64 s[8:9], s[6:7]
	s_xor_b64 s[6:7], exec, s[8:9]
	s_cbranch_execnz .LBB55_3209
; %bb.1161:
	s_or_saveexec_b64 s[6:7], s[6:7]
	v_mov_b32_e32 v10, s10
	s_xor_b64 exec, exec, s[6:7]
	s_cbranch_execnz .LBB55_3212
.LBB55_1162:
	s_or_b64 exec, exec, s[6:7]
	s_and_saveexec_b64 s[6:7], s[4:5]
	s_cbranch_execz .LBB55_1164
.LBB55_1163:
	v_bfe_u32 v10, v6, 8, 3
	v_ffbh_u32_e32 v13, v10
	v_min_u32_e32 v13, 32, v13
	v_lshrrev_b16_e32 v12, 3, v11
	v_subrev_u32_e32 v14, 28, v13
	v_and_b32_e32 v12, 15, v12
	v_lshlrev_b32_e32 v11, v14, v11
	v_sub_u32_e32 v13, 29, v13
	v_and_b32_e32 v11, 7, v11
	v_cmp_eq_u16_e32 vcc, 0, v12
	v_cndmask_b32_e32 v10, v10, v11, vcc
	v_cndmask_b32_e32 v11, v12, v13, vcc
	v_lshlrev_b32_e32 v12, 16, v6
	v_mov_b32_e32 v13, 0x3b800000
	v_lshlrev_b32_e32 v10, 20, v10
	v_and_b32_e32 v12, 0x80000000, v12
	v_lshl_add_u32 v11, v11, 23, v13
	v_or3_b32 v10, v12, v11, v10
.LBB55_1164:
	s_or_b64 exec, exec, s[6:7]
	v_lshrrev_b32_e32 v11, 8, v2
	s_movk_i32 s4, 0x7f
	v_cmp_gt_i16_sdwa s[6:7], v11, s4 src0_sel:BYTE_0 src1_sel:DWORD
	s_mov_b64 s[4:5], 0
                                        ; implicit-def: $sgpr10
	s_and_saveexec_b64 s[8:9], s[6:7]
	s_xor_b64 s[6:7], exec, s[8:9]
	s_cbranch_execnz .LBB55_3213
; %bb.1165:
	s_or_saveexec_b64 s[6:7], s[6:7]
	v_mov_b32_e32 v12, s10
	s_xor_b64 exec, exec, s[6:7]
	s_cbranch_execnz .LBB55_3216
.LBB55_1166:
	s_or_b64 exec, exec, s[6:7]
	s_and_saveexec_b64 s[6:7], s[4:5]
	s_cbranch_execz .LBB55_1168
.LBB55_1167:
	v_bfe_u32 v12, v2, 8, 3
	v_ffbh_u32_e32 v14, v12
	v_min_u32_e32 v14, 32, v14
	v_lshrrev_b16_e32 v13, 3, v11
	v_subrev_u32_e32 v15, 28, v14
	v_and_b32_e32 v13, 15, v13
	v_lshlrev_b32_e32 v11, v15, v11
	v_sub_u32_e32 v14, 29, v14
	v_and_b32_e32 v11, 7, v11
	v_cmp_eq_u16_e32 vcc, 0, v13
	v_cndmask_b32_e32 v11, v12, v11, vcc
	v_cndmask_b32_e32 v12, v13, v14, vcc
	v_lshlrev_b32_e32 v13, 16, v2
	v_mov_b32_e32 v14, 0x3b800000
	v_lshlrev_b32_e32 v11, 20, v11
	v_and_b32_e32 v13, 0x80000000, v13
	v_lshl_add_u32 v12, v12, 23, v14
	v_or3_b32 v12, v13, v12, v11
.LBB55_1168:
	s_or_b64 exec, exec, s[6:7]
	s_nop 0
	v_mfma_f32_16x16x4f32 a[0:3], v10, v12, a[0:3]
	s_movk_i32 s4, 0xff
	v_and_b32_sdwa v11, v6, s4 dst_sel:DWORD dst_unused:UNUSED_PAD src0_sel:WORD_1 src1_sel:DWORD
	s_movk_i32 s4, 0x7f
	v_cmp_lt_i16_e32 vcc, s4, v11
	s_mov_b64 s[4:5], 0
                                        ; implicit-def: $sgpr10
	s_and_saveexec_b64 s[6:7], vcc
	s_xor_b64 s[6:7], exec, s[6:7]
	s_cbranch_execnz .LBB55_3217
; %bb.1169:
	s_or_saveexec_b64 s[6:7], s[6:7]
	v_mov_b32_e32 v10, s10
	s_xor_b64 exec, exec, s[6:7]
	s_cbranch_execnz .LBB55_3220
.LBB55_1170:
	s_or_b64 exec, exec, s[6:7]
	s_and_saveexec_b64 s[6:7], s[4:5]
	s_cbranch_execz .LBB55_1172
.LBB55_1171:
	v_bfe_u32 v10, v6, 16, 3
	v_ffbh_u32_e32 v13, v10
	v_min_u32_e32 v13, 32, v13
	v_lshrrev_b32_e32 v11, 19, v6
	v_subrev_u32_e32 v14, 28, v13
	v_and_b32_e32 v11, 15, v11
	v_lshlrev_b32_sdwa v14, v14, v6 dst_sel:DWORD dst_unused:UNUSED_PAD src0_sel:DWORD src1_sel:WORD_1
	v_bfe_u32 v12, v6, 19, 4
	v_sub_u32_e32 v13, 29, v13
	v_and_b32_e32 v14, 7, v14
	v_cmp_eq_u16_e32 vcc, 0, v11
	v_cndmask_b32_e32 v10, v10, v14, vcc
	v_cndmask_b32_e32 v11, v12, v13, vcc
	v_lshlrev_b32_e32 v12, 8, v6
	v_mov_b32_e32 v13, 0x3b800000
	v_lshlrev_b32_e32 v10, 20, v10
	v_and_b32_e32 v12, 0x80000000, v12
	v_lshl_add_u32 v11, v11, 23, v13
	v_or3_b32 v10, v12, v11, v10
.LBB55_1172:
	s_or_b64 exec, exec, s[6:7]
	s_movk_i32 s4, 0xff
	v_and_b32_sdwa v11, v2, s4 dst_sel:DWORD dst_unused:UNUSED_PAD src0_sel:WORD_1 src1_sel:DWORD
	s_movk_i32 s4, 0x7f
	v_cmp_lt_i16_e32 vcc, s4, v11
	s_mov_b64 s[4:5], 0
                                        ; implicit-def: $sgpr10
	s_and_saveexec_b64 s[6:7], vcc
	s_xor_b64 s[6:7], exec, s[6:7]
	s_cbranch_execnz .LBB55_3221
; %bb.1173:
	s_or_saveexec_b64 s[6:7], s[6:7]
	v_mov_b32_e32 v12, s10
	s_xor_b64 exec, exec, s[6:7]
	s_cbranch_execnz .LBB55_3224
.LBB55_1174:
	s_or_b64 exec, exec, s[6:7]
	s_and_saveexec_b64 s[6:7], s[4:5]
	s_cbranch_execz .LBB55_1176
.LBB55_1175:
	v_bfe_u32 v11, v2, 16, 3
	v_ffbh_u32_e32 v14, v11
	v_min_u32_e32 v14, 32, v14
	v_lshrrev_b32_e32 v12, 19, v2
	v_subrev_u32_e32 v15, 28, v14
	v_and_b32_e32 v12, 15, v12
	v_lshlrev_b32_sdwa v15, v15, v2 dst_sel:DWORD dst_unused:UNUSED_PAD src0_sel:DWORD src1_sel:WORD_1
	v_bfe_u32 v13, v2, 19, 4
	v_sub_u32_e32 v14, 29, v14
	v_and_b32_e32 v15, 7, v15
	v_cmp_eq_u16_e32 vcc, 0, v12
	v_cndmask_b32_e32 v11, v11, v15, vcc
	v_cndmask_b32_e32 v12, v13, v14, vcc
	v_lshlrev_b32_e32 v13, 8, v2
	v_mov_b32_e32 v14, 0x3b800000
	v_lshlrev_b32_e32 v11, 20, v11
	v_and_b32_e32 v13, 0x80000000, v13
	v_lshl_add_u32 v12, v12, 23, v14
	v_or3_b32 v12, v13, v12, v11
.LBB55_1176:
	s_or_b64 exec, exec, s[6:7]
	s_nop 0
	v_mfma_f32_16x16x4f32 a[0:3], v10, v12, a[0:3]
	s_movk_i32 s4, 0x7f
	v_cmp_gt_i16_sdwa s[6:7], v6, s4 src0_sel:BYTE_3 src1_sel:DWORD
	s_mov_b64 s[4:5], 0
                                        ; implicit-def: $sgpr10
	s_and_saveexec_b64 s[8:9], s[6:7]
	s_xor_b64 s[6:7], exec, s[8:9]
	s_cbranch_execnz .LBB55_3225
; %bb.1177:
	s_or_saveexec_b64 s[6:7], s[6:7]
	v_mov_b32_e32 v10, s10
	s_xor_b64 exec, exec, s[6:7]
	s_cbranch_execnz .LBB55_3228
.LBB55_1178:
	s_or_b64 exec, exec, s[6:7]
	s_and_saveexec_b64 s[6:7], s[4:5]
	s_cbranch_execz .LBB55_1180
.LBB55_1179:
	v_bfe_u32 v10, v6, 24, 3
	v_ffbh_u32_e32 v14, v10
	v_min_u32_e32 v14, 32, v14
	v_lshrrev_b32_e32 v12, 27, v6
	v_subrev_u32_e32 v15, 28, v14
	v_and_b32_e32 v11, 0x80000000, v6
	v_and_b32_e32 v12, 15, v12
	v_bfe_u32 v13, v6, 27, 4
	v_lshlrev_b32_sdwa v6, v15, v6 dst_sel:DWORD dst_unused:UNUSED_PAD src0_sel:DWORD src1_sel:BYTE_3
	v_sub_u32_e32 v14, 29, v14
	v_and_b32_e32 v6, 7, v6
	v_cmp_eq_u16_e32 vcc, 0, v12
	v_cndmask_b32_e32 v6, v10, v6, vcc
	v_cndmask_b32_e32 v10, v13, v14, vcc
	v_mov_b32_e32 v12, 0x3b800000
	v_lshlrev_b32_e32 v6, 20, v6
	v_lshl_add_u32 v10, v10, 23, v12
	v_or3_b32 v10, v11, v10, v6
.LBB55_1180:
	s_or_b64 exec, exec, s[6:7]
	s_movk_i32 s4, 0x7f
	v_cmp_gt_i16_sdwa s[6:7], v2, s4 src0_sel:BYTE_3 src1_sel:DWORD
	s_mov_b64 s[4:5], 0
                                        ; implicit-def: $sgpr10
	s_and_saveexec_b64 s[8:9], s[6:7]
	s_xor_b64 s[6:7], exec, s[8:9]
	s_cbranch_execnz .LBB55_3229
; %bb.1181:
	s_or_saveexec_b64 s[6:7], s[6:7]
	v_mov_b32_e32 v6, s10
	s_xor_b64 exec, exec, s[6:7]
	s_cbranch_execnz .LBB55_3232
.LBB55_1182:
	s_or_b64 exec, exec, s[6:7]
	s_and_saveexec_b64 s[6:7], s[4:5]
	s_cbranch_execz .LBB55_1184
.LBB55_1183:
	v_bfe_u32 v6, v2, 24, 3
	v_ffbh_u32_e32 v14, v6
	v_min_u32_e32 v14, 32, v14
	v_lshrrev_b32_e32 v12, 27, v2
	v_subrev_u32_e32 v15, 28, v14
	v_and_b32_e32 v11, 0x80000000, v2
	v_and_b32_e32 v12, 15, v12
	v_bfe_u32 v13, v2, 27, 4
	v_lshlrev_b32_sdwa v2, v15, v2 dst_sel:DWORD dst_unused:UNUSED_PAD src0_sel:DWORD src1_sel:BYTE_3
	v_sub_u32_e32 v14, 29, v14
	v_and_b32_e32 v2, 7, v2
	v_cmp_eq_u16_e32 vcc, 0, v12
	v_cndmask_b32_e32 v2, v6, v2, vcc
	v_cndmask_b32_e32 v6, v13, v14, vcc
	v_mov_b32_e32 v12, 0x3b800000
	v_lshlrev_b32_e32 v2, 20, v2
	v_lshl_add_u32 v6, v6, 23, v12
	v_or3_b32 v6, v11, v6, v2
.LBB55_1184:
	s_or_b64 exec, exec, s[6:7]
	s_nop 0
	v_mfma_f32_16x16x4f32 a[0:3], v10, v6, a[0:3]
	s_movk_i32 s4, 0x7f
	v_cmp_gt_i16_sdwa s[6:7], v7, s4 src0_sel:BYTE_0 src1_sel:DWORD
	s_mov_b64 s[4:5], 0
                                        ; implicit-def: $sgpr10
	s_and_saveexec_b64 s[8:9], s[6:7]
	s_xor_b64 s[6:7], exec, s[8:9]
	s_cbranch_execnz .LBB55_3233
; %bb.1185:
	s_or_saveexec_b64 s[6:7], s[6:7]
	v_mov_b32_e32 v2, s10
	s_xor_b64 exec, exec, s[6:7]
	s_cbranch_execnz .LBB55_3236
.LBB55_1186:
	s_or_b64 exec, exec, s[6:7]
	s_and_saveexec_b64 s[6:7], s[4:5]
	s_cbranch_execz .LBB55_1188
.LBB55_1187:
	v_and_b32_e32 v2, 7, v7
	v_ffbh_u32_e32 v10, v2
	v_min_u32_e32 v10, 32, v10
	v_lshrrev_b16_e32 v6, 3, v7
	v_subrev_u32_e32 v11, 28, v10
	v_and_b32_e32 v6, 15, v6
	v_lshlrev_b32_e32 v11, v11, v7
	v_sub_u32_e32 v10, 29, v10
	v_and_b32_e32 v11, 7, v11
	v_cmp_eq_u16_e32 vcc, 0, v6
	v_cndmask_b32_e32 v2, v2, v11, vcc
	v_cndmask_b32_e32 v6, v6, v10, vcc
	v_lshlrev_b32_e32 v10, 24, v7
	v_mov_b32_e32 v11, 0x3b800000
	v_lshlrev_b32_e32 v2, 20, v2
	v_and_b32_e32 v10, 0x80000000, v10
	v_lshl_add_u32 v6, v6, 23, v11
	v_or3_b32 v2, v10, v6, v2
.LBB55_1188:
	s_or_b64 exec, exec, s[6:7]
	s_movk_i32 s4, 0x7f
	v_cmp_gt_i16_sdwa s[6:7], v3, s4 src0_sel:BYTE_0 src1_sel:DWORD
	s_mov_b64 s[4:5], 0
                                        ; implicit-def: $sgpr10
	s_and_saveexec_b64 s[8:9], s[6:7]
	s_xor_b64 s[6:7], exec, s[8:9]
	s_cbranch_execnz .LBB55_3237
; %bb.1189:
	s_or_saveexec_b64 s[6:7], s[6:7]
	v_mov_b32_e32 v6, s10
	s_xor_b64 exec, exec, s[6:7]
	s_cbranch_execnz .LBB55_3240
.LBB55_1190:
	s_or_b64 exec, exec, s[6:7]
	s_and_saveexec_b64 s[6:7], s[4:5]
	s_cbranch_execz .LBB55_1192
.LBB55_1191:
	v_and_b32_e32 v6, 7, v3
	v_ffbh_u32_e32 v11, v6
	v_min_u32_e32 v11, 32, v11
	v_lshrrev_b16_e32 v10, 3, v3
	v_subrev_u32_e32 v12, 28, v11
	v_and_b32_e32 v10, 15, v10
	v_lshlrev_b32_e32 v12, v12, v3
	v_sub_u32_e32 v11, 29, v11
	v_and_b32_e32 v12, 7, v12
	v_cmp_eq_u16_e32 vcc, 0, v10
	v_cndmask_b32_e32 v6, v6, v12, vcc
	v_cndmask_b32_e32 v10, v10, v11, vcc
	v_lshlrev_b32_e32 v11, 24, v3
	v_mov_b32_e32 v12, 0x3b800000
	v_lshlrev_b32_e32 v6, 20, v6
	v_and_b32_e32 v11, 0x80000000, v11
	v_lshl_add_u32 v10, v10, 23, v12
	v_or3_b32 v6, v11, v10, v6
.LBB55_1192:
	s_or_b64 exec, exec, s[6:7]
	s_nop 0
	v_mfma_f32_16x16x4f32 a[0:3], v2, v6, a[0:3]
	v_lshrrev_b32_e32 v6, 8, v7
	s_movk_i32 s4, 0x7f
	v_cmp_gt_i16_sdwa s[6:7], v6, s4 src0_sel:BYTE_0 src1_sel:DWORD
	s_mov_b64 s[4:5], 0
                                        ; implicit-def: $sgpr10
	s_and_saveexec_b64 s[8:9], s[6:7]
	s_xor_b64 s[6:7], exec, s[8:9]
	s_cbranch_execnz .LBB55_3241
; %bb.1193:
	s_or_saveexec_b64 s[6:7], s[6:7]
	v_mov_b32_e32 v2, s10
	s_xor_b64 exec, exec, s[6:7]
	s_cbranch_execnz .LBB55_3244
.LBB55_1194:
	s_or_b64 exec, exec, s[6:7]
	s_and_saveexec_b64 s[6:7], s[4:5]
	s_cbranch_execz .LBB55_1196
.LBB55_1195:
	v_bfe_u32 v2, v7, 8, 3
	v_ffbh_u32_e32 v11, v2
	v_min_u32_e32 v11, 32, v11
	v_lshrrev_b16_e32 v10, 3, v6
	v_subrev_u32_e32 v12, 28, v11
	v_and_b32_e32 v10, 15, v10
	v_lshlrev_b32_e32 v6, v12, v6
	v_sub_u32_e32 v11, 29, v11
	v_and_b32_e32 v6, 7, v6
	v_cmp_eq_u16_e32 vcc, 0, v10
	v_cndmask_b32_e32 v2, v2, v6, vcc
	v_cndmask_b32_e32 v6, v10, v11, vcc
	v_lshlrev_b32_e32 v10, 16, v7
	v_mov_b32_e32 v11, 0x3b800000
	v_lshlrev_b32_e32 v2, 20, v2
	v_and_b32_e32 v10, 0x80000000, v10
	v_lshl_add_u32 v6, v6, 23, v11
	v_or3_b32 v2, v10, v6, v2
.LBB55_1196:
	s_or_b64 exec, exec, s[6:7]
	v_lshrrev_b32_e32 v6, 8, v3
	s_movk_i32 s4, 0x7f
	v_cmp_gt_i16_sdwa s[6:7], v6, s4 src0_sel:BYTE_0 src1_sel:DWORD
	s_mov_b64 s[4:5], 0
                                        ; implicit-def: $sgpr10
	s_and_saveexec_b64 s[8:9], s[6:7]
	s_xor_b64 s[6:7], exec, s[8:9]
	s_cbranch_execnz .LBB55_3245
; %bb.1197:
	s_or_saveexec_b64 s[6:7], s[6:7]
	v_mov_b32_e32 v10, s10
	s_xor_b64 exec, exec, s[6:7]
	s_cbranch_execnz .LBB55_3248
.LBB55_1198:
	s_or_b64 exec, exec, s[6:7]
	s_and_saveexec_b64 s[6:7], s[4:5]
	s_cbranch_execz .LBB55_1200
.LBB55_1199:
	v_bfe_u32 v10, v3, 8, 3
	v_ffbh_u32_e32 v12, v10
	v_min_u32_e32 v12, 32, v12
	v_lshrrev_b16_e32 v11, 3, v6
	v_subrev_u32_e32 v13, 28, v12
	v_and_b32_e32 v11, 15, v11
	v_lshlrev_b32_e32 v6, v13, v6
	v_sub_u32_e32 v12, 29, v12
	v_and_b32_e32 v6, 7, v6
	v_cmp_eq_u16_e32 vcc, 0, v11
	v_cndmask_b32_e32 v6, v10, v6, vcc
	v_cndmask_b32_e32 v10, v11, v12, vcc
	v_lshlrev_b32_e32 v11, 16, v3
	v_mov_b32_e32 v12, 0x3b800000
	v_lshlrev_b32_e32 v6, 20, v6
	v_and_b32_e32 v11, 0x80000000, v11
	v_lshl_add_u32 v10, v10, 23, v12
	v_or3_b32 v10, v11, v10, v6
.LBB55_1200:
	s_or_b64 exec, exec, s[6:7]
	s_nop 0
	v_mfma_f32_16x16x4f32 a[0:3], v2, v10, a[0:3]
	s_movk_i32 s4, 0xff
	v_and_b32_sdwa v6, v7, s4 dst_sel:DWORD dst_unused:UNUSED_PAD src0_sel:WORD_1 src1_sel:DWORD
	s_movk_i32 s4, 0x7f
	v_cmp_lt_i16_e32 vcc, s4, v6
	s_mov_b64 s[4:5], 0
                                        ; implicit-def: $sgpr10
	s_and_saveexec_b64 s[6:7], vcc
	s_xor_b64 s[6:7], exec, s[6:7]
	s_cbranch_execnz .LBB55_3249
; %bb.1201:
	s_or_saveexec_b64 s[6:7], s[6:7]
	v_mov_b32_e32 v2, s10
	s_xor_b64 exec, exec, s[6:7]
	s_cbranch_execnz .LBB55_3252
.LBB55_1202:
	s_or_b64 exec, exec, s[6:7]
	s_and_saveexec_b64 s[6:7], s[4:5]
	s_cbranch_execz .LBB55_1204
.LBB55_1203:
	v_bfe_u32 v2, v7, 16, 3
	v_ffbh_u32_e32 v11, v2
	v_min_u32_e32 v11, 32, v11
	v_lshrrev_b32_e32 v6, 19, v7
	v_subrev_u32_e32 v12, 28, v11
	v_and_b32_e32 v6, 15, v6
	v_lshlrev_b32_sdwa v12, v12, v7 dst_sel:DWORD dst_unused:UNUSED_PAD src0_sel:DWORD src1_sel:WORD_1
	v_bfe_u32 v10, v7, 19, 4
	v_sub_u32_e32 v11, 29, v11
	v_and_b32_e32 v12, 7, v12
	v_cmp_eq_u16_e32 vcc, 0, v6
	v_cndmask_b32_e32 v2, v2, v12, vcc
	v_cndmask_b32_e32 v6, v10, v11, vcc
	v_lshlrev_b32_e32 v10, 8, v7
	v_mov_b32_e32 v11, 0x3b800000
	v_lshlrev_b32_e32 v2, 20, v2
	v_and_b32_e32 v10, 0x80000000, v10
	v_lshl_add_u32 v6, v6, 23, v11
	v_or3_b32 v2, v10, v6, v2
.LBB55_1204:
	s_or_b64 exec, exec, s[6:7]
	s_movk_i32 s4, 0xff
	v_and_b32_sdwa v6, v3, s4 dst_sel:DWORD dst_unused:UNUSED_PAD src0_sel:WORD_1 src1_sel:DWORD
	s_movk_i32 s4, 0x7f
	v_cmp_lt_i16_e32 vcc, s4, v6
	s_mov_b64 s[4:5], 0
                                        ; implicit-def: $sgpr10
	s_and_saveexec_b64 s[6:7], vcc
	s_xor_b64 s[6:7], exec, s[6:7]
	s_cbranch_execnz .LBB55_3253
; %bb.1205:
	s_or_saveexec_b64 s[6:7], s[6:7]
	v_mov_b32_e32 v10, s10
	s_xor_b64 exec, exec, s[6:7]
	s_cbranch_execnz .LBB55_3256
.LBB55_1206:
	s_or_b64 exec, exec, s[6:7]
	s_and_saveexec_b64 s[6:7], s[4:5]
	s_cbranch_execz .LBB55_1208
.LBB55_1207:
	v_bfe_u32 v6, v3, 16, 3
	v_ffbh_u32_e32 v12, v6
	v_min_u32_e32 v12, 32, v12
	v_lshrrev_b32_e32 v10, 19, v3
	v_subrev_u32_e32 v13, 28, v12
	v_and_b32_e32 v10, 15, v10
	v_lshlrev_b32_sdwa v13, v13, v3 dst_sel:DWORD dst_unused:UNUSED_PAD src0_sel:DWORD src1_sel:WORD_1
	v_bfe_u32 v11, v3, 19, 4
	v_sub_u32_e32 v12, 29, v12
	v_and_b32_e32 v13, 7, v13
	v_cmp_eq_u16_e32 vcc, 0, v10
	v_cndmask_b32_e32 v6, v6, v13, vcc
	v_cndmask_b32_e32 v10, v11, v12, vcc
	v_lshlrev_b32_e32 v11, 8, v3
	v_mov_b32_e32 v12, 0x3b800000
	v_lshlrev_b32_e32 v6, 20, v6
	v_and_b32_e32 v11, 0x80000000, v11
	v_lshl_add_u32 v10, v10, 23, v12
	v_or3_b32 v10, v11, v10, v6
.LBB55_1208:
	s_or_b64 exec, exec, s[6:7]
	s_nop 0
	v_mfma_f32_16x16x4f32 a[0:3], v2, v10, a[0:3]
	s_movk_i32 s4, 0x7f
	v_cmp_gt_i16_sdwa s[6:7], v7, s4 src0_sel:BYTE_3 src1_sel:DWORD
	s_mov_b64 s[4:5], 0
                                        ; implicit-def: $sgpr10
	s_and_saveexec_b64 s[8:9], s[6:7]
	s_xor_b64 s[6:7], exec, s[8:9]
	s_cbranch_execnz .LBB55_3257
; %bb.1209:
	s_or_saveexec_b64 s[6:7], s[6:7]
	v_mov_b32_e32 v2, s10
	s_xor_b64 exec, exec, s[6:7]
	s_cbranch_execnz .LBB55_3260
.LBB55_1210:
	s_or_b64 exec, exec, s[6:7]
	s_and_saveexec_b64 s[6:7], s[4:5]
	s_cbranch_execz .LBB55_1212
.LBB55_1211:
	v_bfe_u32 v2, v7, 24, 3
	v_ffbh_u32_e32 v12, v2
	v_min_u32_e32 v12, 32, v12
	v_lshrrev_b32_e32 v10, 27, v7
	v_subrev_u32_e32 v13, 28, v12
	v_and_b32_e32 v6, 0x80000000, v7
	v_and_b32_e32 v10, 15, v10
	v_bfe_u32 v11, v7, 27, 4
	v_lshlrev_b32_sdwa v7, v13, v7 dst_sel:DWORD dst_unused:UNUSED_PAD src0_sel:DWORD src1_sel:BYTE_3
	v_sub_u32_e32 v12, 29, v12
	v_and_b32_e32 v7, 7, v7
	v_cmp_eq_u16_e32 vcc, 0, v10
	v_cndmask_b32_e32 v2, v2, v7, vcc
	v_cndmask_b32_e32 v7, v11, v12, vcc
	v_mov_b32_e32 v10, 0x3b800000
	v_lshlrev_b32_e32 v2, 20, v2
	v_lshl_add_u32 v7, v7, 23, v10
	v_or3_b32 v2, v6, v7, v2
.LBB55_1212:
	s_or_b64 exec, exec, s[6:7]
	s_movk_i32 s4, 0x7f
	v_cmp_gt_i16_sdwa s[6:7], v3, s4 src0_sel:BYTE_3 src1_sel:DWORD
	s_mov_b64 s[4:5], 0
                                        ; implicit-def: $sgpr10
	s_and_saveexec_b64 s[8:9], s[6:7]
	s_xor_b64 s[6:7], exec, s[8:9]
	s_cbranch_execnz .LBB55_3261
; %bb.1213:
	s_or_saveexec_b64 s[6:7], s[6:7]
	v_mov_b32_e32 v6, s10
	s_xor_b64 exec, exec, s[6:7]
	s_cbranch_execnz .LBB55_3264
.LBB55_1214:
	s_or_b64 exec, exec, s[6:7]
	s_and_saveexec_b64 s[6:7], s[4:5]
	s_cbranch_execz .LBB55_1216
.LBB55_1215:
	v_bfe_u32 v6, v3, 24, 3
	v_ffbh_u32_e32 v12, v6
	v_min_u32_e32 v12, 32, v12
	v_lshrrev_b32_e32 v10, 27, v3
	v_subrev_u32_e32 v13, 28, v12
	v_and_b32_e32 v7, 0x80000000, v3
	v_and_b32_e32 v10, 15, v10
	v_bfe_u32 v11, v3, 27, 4
	v_lshlrev_b32_sdwa v3, v13, v3 dst_sel:DWORD dst_unused:UNUSED_PAD src0_sel:DWORD src1_sel:BYTE_3
	v_sub_u32_e32 v12, 29, v12
	v_and_b32_e32 v3, 7, v3
	v_cmp_eq_u16_e32 vcc, 0, v10
	v_cndmask_b32_e32 v3, v6, v3, vcc
	v_cndmask_b32_e32 v6, v11, v12, vcc
	v_mov_b32_e32 v10, 0x3b800000
	v_lshlrev_b32_e32 v3, 20, v3
	v_lshl_add_u32 v6, v6, 23, v10
	v_or3_b32 v6, v7, v6, v3
.LBB55_1216:
	s_or_b64 exec, exec, s[6:7]
	s_nop 0
	v_mfma_f32_16x16x4f32 a[0:3], v2, v6, a[0:3]
	s_movk_i32 s4, 0x7f
	v_cmp_gt_i16_sdwa s[6:7], v8, s4 src0_sel:BYTE_0 src1_sel:DWORD
	s_mov_b64 s[4:5], 0
                                        ; implicit-def: $sgpr10
	s_and_saveexec_b64 s[8:9], s[6:7]
	s_xor_b64 s[6:7], exec, s[8:9]
	s_cbranch_execnz .LBB55_3265
; %bb.1217:
	s_or_saveexec_b64 s[6:7], s[6:7]
	v_mov_b32_e32 v2, s10
	s_xor_b64 exec, exec, s[6:7]
	s_cbranch_execnz .LBB55_3268
.LBB55_1218:
	s_or_b64 exec, exec, s[6:7]
	s_and_saveexec_b64 s[6:7], s[4:5]
	s_cbranch_execz .LBB55_1220
.LBB55_1219:
	v_and_b32_e32 v2, 7, v8
	v_ffbh_u32_e32 v6, v2
	v_min_u32_e32 v6, 32, v6
	v_lshrrev_b16_e32 v3, 3, v8
	v_subrev_u32_e32 v7, 28, v6
	v_and_b32_e32 v3, 15, v3
	v_lshlrev_b32_e32 v7, v7, v8
	v_sub_u32_e32 v6, 29, v6
	v_and_b32_e32 v7, 7, v7
	v_cmp_eq_u16_e32 vcc, 0, v3
	v_cndmask_b32_e32 v2, v2, v7, vcc
	v_cndmask_b32_e32 v3, v3, v6, vcc
	v_lshlrev_b32_e32 v6, 24, v8
	v_mov_b32_e32 v7, 0x3b800000
	v_lshlrev_b32_e32 v2, 20, v2
	v_and_b32_e32 v6, 0x80000000, v6
	v_lshl_add_u32 v3, v3, 23, v7
	v_or3_b32 v2, v6, v3, v2
.LBB55_1220:
	s_or_b64 exec, exec, s[6:7]
	s_movk_i32 s4, 0x7f
	v_cmp_gt_i16_sdwa s[6:7], v4, s4 src0_sel:BYTE_0 src1_sel:DWORD
	s_mov_b64 s[4:5], 0
                                        ; implicit-def: $sgpr10
	s_and_saveexec_b64 s[8:9], s[6:7]
	s_xor_b64 s[6:7], exec, s[8:9]
	s_cbranch_execnz .LBB55_3269
; %bb.1221:
	s_or_saveexec_b64 s[6:7], s[6:7]
	v_mov_b32_e32 v3, s10
	s_xor_b64 exec, exec, s[6:7]
	s_cbranch_execnz .LBB55_3272
.LBB55_1222:
	s_or_b64 exec, exec, s[6:7]
	s_and_saveexec_b64 s[6:7], s[4:5]
	s_cbranch_execz .LBB55_1224
.LBB55_1223:
	v_and_b32_e32 v3, 7, v4
	v_ffbh_u32_e32 v7, v3
	v_min_u32_e32 v7, 32, v7
	v_lshrrev_b16_e32 v6, 3, v4
	v_subrev_u32_e32 v10, 28, v7
	v_and_b32_e32 v6, 15, v6
	v_lshlrev_b32_e32 v10, v10, v4
	v_sub_u32_e32 v7, 29, v7
	v_and_b32_e32 v10, 7, v10
	v_cmp_eq_u16_e32 vcc, 0, v6
	v_cndmask_b32_e32 v3, v3, v10, vcc
	v_cndmask_b32_e32 v6, v6, v7, vcc
	v_lshlrev_b32_e32 v7, 24, v4
	v_mov_b32_e32 v10, 0x3b800000
	v_lshlrev_b32_e32 v3, 20, v3
	v_and_b32_e32 v7, 0x80000000, v7
	v_lshl_add_u32 v6, v6, 23, v10
	v_or3_b32 v3, v7, v6, v3
.LBB55_1224:
	s_or_b64 exec, exec, s[6:7]
	s_nop 0
	v_mfma_f32_16x16x4f32 a[0:3], v2, v3, a[0:3]
	v_lshrrev_b32_e32 v3, 8, v8
	s_movk_i32 s4, 0x7f
	v_cmp_gt_i16_sdwa s[6:7], v3, s4 src0_sel:BYTE_0 src1_sel:DWORD
	s_mov_b64 s[4:5], 0
                                        ; implicit-def: $sgpr10
	s_and_saveexec_b64 s[8:9], s[6:7]
	s_xor_b64 s[6:7], exec, s[8:9]
	s_cbranch_execnz .LBB55_3273
; %bb.1225:
	s_or_saveexec_b64 s[6:7], s[6:7]
	v_mov_b32_e32 v2, s10
	s_xor_b64 exec, exec, s[6:7]
	s_cbranch_execnz .LBB55_3276
.LBB55_1226:
	s_or_b64 exec, exec, s[6:7]
	s_and_saveexec_b64 s[6:7], s[4:5]
	s_cbranch_execz .LBB55_1228
.LBB55_1227:
	v_bfe_u32 v2, v8, 8, 3
	v_ffbh_u32_e32 v7, v2
	v_min_u32_e32 v7, 32, v7
	v_lshrrev_b16_e32 v6, 3, v3
	v_subrev_u32_e32 v10, 28, v7
	v_and_b32_e32 v6, 15, v6
	v_lshlrev_b32_e32 v3, v10, v3
	v_sub_u32_e32 v7, 29, v7
	v_and_b32_e32 v3, 7, v3
	v_cmp_eq_u16_e32 vcc, 0, v6
	v_cndmask_b32_e32 v2, v2, v3, vcc
	v_cndmask_b32_e32 v3, v6, v7, vcc
	v_lshlrev_b32_e32 v6, 16, v8
	v_mov_b32_e32 v7, 0x3b800000
	v_lshlrev_b32_e32 v2, 20, v2
	v_and_b32_e32 v6, 0x80000000, v6
	v_lshl_add_u32 v3, v3, 23, v7
	v_or3_b32 v2, v6, v3, v2
.LBB55_1228:
	s_or_b64 exec, exec, s[6:7]
	v_lshrrev_b32_e32 v3, 8, v4
	s_movk_i32 s4, 0x7f
	v_cmp_gt_i16_sdwa s[6:7], v3, s4 src0_sel:BYTE_0 src1_sel:DWORD
	s_mov_b64 s[4:5], 0
                                        ; implicit-def: $sgpr10
	s_and_saveexec_b64 s[8:9], s[6:7]
	s_xor_b64 s[6:7], exec, s[8:9]
	s_cbranch_execnz .LBB55_3277
; %bb.1229:
	s_or_saveexec_b64 s[6:7], s[6:7]
	v_mov_b32_e32 v6, s10
	s_xor_b64 exec, exec, s[6:7]
	s_cbranch_execnz .LBB55_3280
.LBB55_1230:
	s_or_b64 exec, exec, s[6:7]
	s_and_saveexec_b64 s[6:7], s[4:5]
	s_cbranch_execz .LBB55_1232
.LBB55_1231:
	v_bfe_u32 v6, v4, 8, 3
	v_ffbh_u32_e32 v10, v6
	v_min_u32_e32 v10, 32, v10
	v_lshrrev_b16_e32 v7, 3, v3
	v_subrev_u32_e32 v11, 28, v10
	v_and_b32_e32 v7, 15, v7
	v_lshlrev_b32_e32 v3, v11, v3
	v_sub_u32_e32 v10, 29, v10
	v_and_b32_e32 v3, 7, v3
	v_cmp_eq_u16_e32 vcc, 0, v7
	v_cndmask_b32_e32 v3, v6, v3, vcc
	v_cndmask_b32_e32 v6, v7, v10, vcc
	v_lshlrev_b32_e32 v7, 16, v4
	v_mov_b32_e32 v10, 0x3b800000
	v_lshlrev_b32_e32 v3, 20, v3
	v_and_b32_e32 v7, 0x80000000, v7
	v_lshl_add_u32 v6, v6, 23, v10
	v_or3_b32 v6, v7, v6, v3
.LBB55_1232:
	s_or_b64 exec, exec, s[6:7]
	s_nop 0
	v_mfma_f32_16x16x4f32 a[0:3], v2, v6, a[0:3]
	s_movk_i32 s4, 0xff
	v_and_b32_sdwa v3, v8, s4 dst_sel:DWORD dst_unused:UNUSED_PAD src0_sel:WORD_1 src1_sel:DWORD
	s_movk_i32 s4, 0x7f
	v_cmp_lt_i16_e32 vcc, s4, v3
	s_mov_b64 s[4:5], 0
                                        ; implicit-def: $sgpr10
	s_and_saveexec_b64 s[6:7], vcc
	s_xor_b64 s[6:7], exec, s[6:7]
	s_cbranch_execnz .LBB55_3281
; %bb.1233:
	s_or_saveexec_b64 s[6:7], s[6:7]
	v_mov_b32_e32 v2, s10
	s_xor_b64 exec, exec, s[6:7]
	s_cbranch_execnz .LBB55_3284
.LBB55_1234:
	s_or_b64 exec, exec, s[6:7]
	s_and_saveexec_b64 s[6:7], s[4:5]
	s_cbranch_execz .LBB55_1236
.LBB55_1235:
	v_bfe_u32 v2, v8, 16, 3
	v_ffbh_u32_e32 v7, v2
	v_min_u32_e32 v7, 32, v7
	v_lshrrev_b32_e32 v3, 19, v8
	v_subrev_u32_e32 v10, 28, v7
	v_and_b32_e32 v3, 15, v3
	v_lshlrev_b32_sdwa v10, v10, v8 dst_sel:DWORD dst_unused:UNUSED_PAD src0_sel:DWORD src1_sel:WORD_1
	v_bfe_u32 v6, v8, 19, 4
	v_sub_u32_e32 v7, 29, v7
	v_and_b32_e32 v10, 7, v10
	v_cmp_eq_u16_e32 vcc, 0, v3
	v_cndmask_b32_e32 v2, v2, v10, vcc
	v_cndmask_b32_e32 v3, v6, v7, vcc
	v_lshlrev_b32_e32 v6, 8, v8
	v_mov_b32_e32 v7, 0x3b800000
	v_lshlrev_b32_e32 v2, 20, v2
	v_and_b32_e32 v6, 0x80000000, v6
	v_lshl_add_u32 v3, v3, 23, v7
	v_or3_b32 v2, v6, v3, v2
.LBB55_1236:
	s_or_b64 exec, exec, s[6:7]
	s_movk_i32 s4, 0xff
	v_and_b32_sdwa v3, v4, s4 dst_sel:DWORD dst_unused:UNUSED_PAD src0_sel:WORD_1 src1_sel:DWORD
	s_movk_i32 s4, 0x7f
	v_cmp_lt_i16_e32 vcc, s4, v3
	s_mov_b64 s[4:5], 0
                                        ; implicit-def: $sgpr10
	s_and_saveexec_b64 s[6:7], vcc
	s_xor_b64 s[6:7], exec, s[6:7]
	s_cbranch_execnz .LBB55_3285
; %bb.1237:
	s_or_saveexec_b64 s[6:7], s[6:7]
	v_mov_b32_e32 v6, s10
	s_xor_b64 exec, exec, s[6:7]
	s_cbranch_execnz .LBB55_3288
.LBB55_1238:
	s_or_b64 exec, exec, s[6:7]
	s_and_saveexec_b64 s[6:7], s[4:5]
	s_cbranch_execz .LBB55_1240
.LBB55_1239:
	v_bfe_u32 v3, v4, 16, 3
	v_ffbh_u32_e32 v10, v3
	v_min_u32_e32 v10, 32, v10
	v_lshrrev_b32_e32 v6, 19, v4
	v_subrev_u32_e32 v11, 28, v10
	v_and_b32_e32 v6, 15, v6
	v_lshlrev_b32_sdwa v11, v11, v4 dst_sel:DWORD dst_unused:UNUSED_PAD src0_sel:DWORD src1_sel:WORD_1
	v_bfe_u32 v7, v4, 19, 4
	v_sub_u32_e32 v10, 29, v10
	v_and_b32_e32 v11, 7, v11
	v_cmp_eq_u16_e32 vcc, 0, v6
	v_cndmask_b32_e32 v3, v3, v11, vcc
	v_cndmask_b32_e32 v6, v7, v10, vcc
	v_lshlrev_b32_e32 v7, 8, v4
	v_mov_b32_e32 v10, 0x3b800000
	v_lshlrev_b32_e32 v3, 20, v3
	v_and_b32_e32 v7, 0x80000000, v7
	v_lshl_add_u32 v6, v6, 23, v10
	v_or3_b32 v6, v7, v6, v3
.LBB55_1240:
	s_or_b64 exec, exec, s[6:7]
	s_nop 0
	v_mfma_f32_16x16x4f32 a[0:3], v2, v6, a[0:3]
	s_movk_i32 s4, 0x7f
	v_cmp_gt_i16_sdwa s[6:7], v8, s4 src0_sel:BYTE_3 src1_sel:DWORD
	s_mov_b64 s[4:5], 0
                                        ; implicit-def: $sgpr10
	s_and_saveexec_b64 s[8:9], s[6:7]
	s_xor_b64 s[6:7], exec, s[8:9]
	s_cbranch_execnz .LBB55_3289
; %bb.1241:
	s_or_saveexec_b64 s[6:7], s[6:7]
	v_mov_b32_e32 v2, s10
	s_xor_b64 exec, exec, s[6:7]
	s_cbranch_execnz .LBB55_3292
.LBB55_1242:
	s_or_b64 exec, exec, s[6:7]
	s_and_saveexec_b64 s[6:7], s[4:5]
	s_cbranch_execz .LBB55_1244
.LBB55_1243:
	v_bfe_u32 v2, v8, 24, 3
	v_ffbh_u32_e32 v10, v2
	v_min_u32_e32 v10, 32, v10
	v_lshrrev_b32_e32 v6, 27, v8
	v_subrev_u32_e32 v11, 28, v10
	v_and_b32_e32 v3, 0x80000000, v8
	v_and_b32_e32 v6, 15, v6
	v_bfe_u32 v7, v8, 27, 4
	v_lshlrev_b32_sdwa v8, v11, v8 dst_sel:DWORD dst_unused:UNUSED_PAD src0_sel:DWORD src1_sel:BYTE_3
	v_sub_u32_e32 v10, 29, v10
	v_and_b32_e32 v8, 7, v8
	v_cmp_eq_u16_e32 vcc, 0, v6
	v_cndmask_b32_e32 v2, v2, v8, vcc
	v_cndmask_b32_e32 v6, v7, v10, vcc
	v_mov_b32_e32 v7, 0x3b800000
	v_lshlrev_b32_e32 v2, 20, v2
	v_lshl_add_u32 v6, v6, 23, v7
	v_or3_b32 v2, v3, v6, v2
.LBB55_1244:
	s_or_b64 exec, exec, s[6:7]
	s_movk_i32 s4, 0x7f
	v_cmp_gt_i16_sdwa s[6:7], v4, s4 src0_sel:BYTE_3 src1_sel:DWORD
	s_mov_b64 s[4:5], 0
                                        ; implicit-def: $sgpr10
	s_and_saveexec_b64 s[8:9], s[6:7]
	s_xor_b64 s[6:7], exec, s[8:9]
	s_cbranch_execnz .LBB55_3293
; %bb.1245:
	s_or_saveexec_b64 s[6:7], s[6:7]
	v_mov_b32_e32 v3, s10
	s_xor_b64 exec, exec, s[6:7]
	s_cbranch_execnz .LBB55_3296
.LBB55_1246:
	s_or_b64 exec, exec, s[6:7]
	s_and_saveexec_b64 s[6:7], s[4:5]
	s_cbranch_execz .LBB55_1248
.LBB55_1247:
	v_bfe_u32 v3, v4, 24, 3
	v_ffbh_u32_e32 v10, v3
	v_min_u32_e32 v10, 32, v10
	v_lshrrev_b32_e32 v7, 27, v4
	v_subrev_u32_e32 v11, 28, v10
	v_and_b32_e32 v6, 0x80000000, v4
	v_and_b32_e32 v7, 15, v7
	v_bfe_u32 v8, v4, 27, 4
	v_lshlrev_b32_sdwa v4, v11, v4 dst_sel:DWORD dst_unused:UNUSED_PAD src0_sel:DWORD src1_sel:BYTE_3
	v_sub_u32_e32 v10, 29, v10
	v_and_b32_e32 v4, 7, v4
	v_cmp_eq_u16_e32 vcc, 0, v7
	v_cndmask_b32_e32 v3, v3, v4, vcc
	v_cndmask_b32_e32 v4, v8, v10, vcc
	v_mov_b32_e32 v7, 0x3b800000
	v_lshlrev_b32_e32 v3, 20, v3
	v_lshl_add_u32 v4, v4, 23, v7
	v_or3_b32 v3, v6, v4, v3
.LBB55_1248:
	s_or_b64 exec, exec, s[6:7]
	s_nop 0
	v_mfma_f32_16x16x4f32 a[0:3], v2, v3, a[0:3]
	s_movk_i32 s4, 0x7f
	v_cmp_gt_i16_sdwa s[6:7], v9, s4 src0_sel:BYTE_0 src1_sel:DWORD
	s_mov_b64 s[4:5], 0
                                        ; implicit-def: $sgpr10
	s_and_saveexec_b64 s[8:9], s[6:7]
	s_xor_b64 s[6:7], exec, s[8:9]
	s_cbranch_execnz .LBB55_3297
; %bb.1249:
	s_or_saveexec_b64 s[6:7], s[6:7]
	v_mov_b32_e32 v2, s10
	s_xor_b64 exec, exec, s[6:7]
	s_cbranch_execnz .LBB55_3300
.LBB55_1250:
	s_or_b64 exec, exec, s[6:7]
	s_and_saveexec_b64 s[6:7], s[4:5]
	s_cbranch_execz .LBB55_1252
.LBB55_1251:
	v_mov_b32_e32 v2, 8
	v_and_b32_e32 v3, 7, v9
	v_lshrrev_b32_sdwa v2, v2, v9 dst_sel:BYTE_1 dst_unused:UNUSED_PAD src0_sel:DWORD src1_sel:DWORD
	v_ffbh_u32_e32 v4, v3
	v_or_b32_sdwa v2, v9, v2 dst_sel:DWORD dst_unused:UNUSED_PAD src0_sel:BYTE_0 src1_sel:DWORD
	v_min_u32_e32 v4, 32, v4
	v_lshrrev_b16_e32 v2, 3, v2
	v_subrev_u32_e32 v6, 28, v4
	v_and_b32_e32 v2, 15, v2
	v_lshlrev_b32_e32 v6, v6, v9
	v_sub_u32_e32 v4, 29, v4
	v_and_b32_e32 v6, 7, v6
	v_cmp_eq_u16_e32 vcc, 0, v2
	v_cndmask_b32_e32 v3, v3, v6, vcc
	v_cndmask_b32_e32 v2, v2, v4, vcc
	v_lshlrev_b32_e32 v4, 24, v9
	v_mov_b32_e32 v6, 0x3b800000
	v_lshlrev_b32_e32 v3, 20, v3
	v_and_b32_e32 v4, 0x80000000, v4
	v_lshl_add_u32 v2, v2, 23, v6
	v_or3_b32 v2, v4, v2, v3
.LBB55_1252:
	s_or_b64 exec, exec, s[6:7]
	s_movk_i32 s4, 0x7f
	v_cmp_gt_i16_sdwa s[6:7], v5, s4 src0_sel:BYTE_0 src1_sel:DWORD
	s_mov_b64 s[4:5], 0
                                        ; implicit-def: $sgpr10
	s_and_saveexec_b64 s[8:9], s[6:7]
	s_xor_b64 s[6:7], exec, s[8:9]
	s_cbranch_execnz .LBB55_3301
; %bb.1253:
	s_or_saveexec_b64 s[6:7], s[6:7]
	v_mov_b32_e32 v3, s10
	s_xor_b64 exec, exec, s[6:7]
	s_cbranch_execnz .LBB55_3304
.LBB55_1254:
	s_or_b64 exec, exec, s[6:7]
	s_and_saveexec_b64 s[6:7], s[4:5]
	s_cbranch_execz .LBB55_1256
.LBB55_1255:
	v_mov_b32_e32 v3, 8
	v_and_b32_e32 v4, 7, v5
	v_lshrrev_b32_sdwa v3, v3, v5 dst_sel:BYTE_1 dst_unused:UNUSED_PAD src0_sel:DWORD src1_sel:DWORD
	v_ffbh_u32_e32 v6, v4
	v_or_b32_sdwa v3, v5, v3 dst_sel:DWORD dst_unused:UNUSED_PAD src0_sel:BYTE_0 src1_sel:DWORD
	v_min_u32_e32 v6, 32, v6
	v_lshrrev_b16_e32 v3, 3, v3
	v_subrev_u32_e32 v7, 28, v6
	v_and_b32_e32 v3, 15, v3
	v_lshlrev_b32_e32 v7, v7, v5
	v_sub_u32_e32 v6, 29, v6
	v_and_b32_e32 v7, 7, v7
	v_cmp_eq_u16_e32 vcc, 0, v3
	v_cndmask_b32_e32 v4, v4, v7, vcc
	v_cndmask_b32_e32 v3, v3, v6, vcc
	v_lshlrev_b32_e32 v6, 24, v5
	v_mov_b32_e32 v7, 0x3b800000
	v_lshlrev_b32_e32 v4, 20, v4
	v_and_b32_e32 v6, 0x80000000, v6
	v_lshl_add_u32 v3, v3, 23, v7
	v_or3_b32 v3, v6, v3, v4
.LBB55_1256:
	s_or_b64 exec, exec, s[6:7]
	s_nop 0
	v_mfma_f32_16x16x4f32 a[0:3], v2, v3, a[0:3]
	v_lshrrev_b32_e32 v3, 8, v9
	s_movk_i32 s4, 0x7f
	v_cmp_gt_i16_sdwa s[6:7], v3, s4 src0_sel:BYTE_0 src1_sel:DWORD
	s_mov_b64 s[4:5], 0
                                        ; implicit-def: $sgpr10
	s_and_saveexec_b64 s[8:9], s[6:7]
	s_xor_b64 s[6:7], exec, s[8:9]
	s_cbranch_execnz .LBB55_3305
; %bb.1257:
	s_or_saveexec_b64 s[6:7], s[6:7]
	v_mov_b32_e32 v2, s10
	s_xor_b64 exec, exec, s[6:7]
	s_cbranch_execnz .LBB55_3308
.LBB55_1258:
	s_or_b64 exec, exec, s[6:7]
	s_and_saveexec_b64 s[6:7], s[4:5]
	s_cbranch_execz .LBB55_1260
.LBB55_1259:
	v_bfe_u32 v2, v9, 8, 3
	v_ffbh_u32_e32 v6, v2
	v_min_u32_e32 v6, 32, v6
	v_lshrrev_b16_e32 v4, 3, v3
	v_subrev_u32_e32 v7, 28, v6
	v_and_b32_e32 v4, 15, v4
	v_lshlrev_b32_e32 v3, v7, v3
	v_sub_u32_e32 v6, 29, v6
	v_and_b32_e32 v3, 7, v3
	v_cmp_eq_u16_e32 vcc, 0, v4
	v_cndmask_b32_e32 v2, v2, v3, vcc
	v_cndmask_b32_e32 v3, v4, v6, vcc
	v_lshlrev_b32_e32 v4, 16, v9
	v_mov_b32_e32 v6, 0x3b800000
	v_lshlrev_b32_e32 v2, 20, v2
	v_and_b32_e32 v4, 0x80000000, v4
	v_lshl_add_u32 v3, v3, 23, v6
	v_or3_b32 v2, v4, v3, v2
.LBB55_1260:
	s_or_b64 exec, exec, s[6:7]
	v_lshrrev_b32_e32 v3, 8, v5
	s_movk_i32 s4, 0x7f
	v_cmp_gt_i16_sdwa s[6:7], v3, s4 src0_sel:BYTE_0 src1_sel:DWORD
	s_mov_b64 s[4:5], 0
                                        ; implicit-def: $sgpr10
	s_and_saveexec_b64 s[8:9], s[6:7]
	s_xor_b64 s[6:7], exec, s[8:9]
	s_cbranch_execnz .LBB55_3309
; %bb.1261:
	s_or_saveexec_b64 s[6:7], s[6:7]
	v_mov_b32_e32 v4, s10
	s_xor_b64 exec, exec, s[6:7]
	s_cbranch_execnz .LBB55_3312
.LBB55_1262:
	s_or_b64 exec, exec, s[6:7]
	s_and_saveexec_b64 s[6:7], s[4:5]
	s_cbranch_execz .LBB55_1264
.LBB55_1263:
	v_bfe_u32 v4, v5, 8, 3
	v_ffbh_u32_e32 v7, v4
	v_min_u32_e32 v7, 32, v7
	v_lshrrev_b16_e32 v6, 3, v3
	v_subrev_u32_e32 v8, 28, v7
	v_and_b32_e32 v6, 15, v6
	v_lshlrev_b32_e32 v3, v8, v3
	v_sub_u32_e32 v7, 29, v7
	v_and_b32_e32 v3, 7, v3
	v_cmp_eq_u16_e32 vcc, 0, v6
	v_cndmask_b32_e32 v3, v4, v3, vcc
	v_cndmask_b32_e32 v4, v6, v7, vcc
	v_lshlrev_b32_e32 v6, 16, v5
	v_mov_b32_e32 v7, 0x3b800000
	v_lshlrev_b32_e32 v3, 20, v3
	v_and_b32_e32 v6, 0x80000000, v6
	v_lshl_add_u32 v4, v4, 23, v7
	v_or3_b32 v4, v6, v4, v3
.LBB55_1264:
	s_or_b64 exec, exec, s[6:7]
	s_nop 0
	v_mfma_f32_16x16x4f32 a[0:3], v2, v4, a[0:3]
	s_movk_i32 s4, 0xff
	v_and_b32_sdwa v3, v9, s4 dst_sel:DWORD dst_unused:UNUSED_PAD src0_sel:WORD_1 src1_sel:DWORD
	s_movk_i32 s4, 0x7f
	v_cmp_lt_i16_e32 vcc, s4, v3
	s_mov_b64 s[4:5], 0
                                        ; implicit-def: $sgpr10
	s_and_saveexec_b64 s[6:7], vcc
	s_xor_b64 s[6:7], exec, s[6:7]
	s_cbranch_execnz .LBB55_3313
; %bb.1265:
	s_or_saveexec_b64 s[6:7], s[6:7]
	v_mov_b32_e32 v2, s10
	s_xor_b64 exec, exec, s[6:7]
	s_cbranch_execnz .LBB55_3316
.LBB55_1266:
	s_or_b64 exec, exec, s[6:7]
	s_and_saveexec_b64 s[6:7], s[4:5]
	s_cbranch_execz .LBB55_1268
.LBB55_1267:
	v_bfe_u32 v2, v9, 16, 3
	v_ffbh_u32_e32 v6, v2
	v_min_u32_e32 v6, 32, v6
	v_lshrrev_b32_e32 v3, 19, v9
	v_subrev_u32_e32 v7, 28, v6
	v_and_b32_e32 v3, 15, v3
	v_lshlrev_b32_sdwa v7, v7, v9 dst_sel:DWORD dst_unused:UNUSED_PAD src0_sel:DWORD src1_sel:WORD_1
	v_bfe_u32 v4, v9, 19, 4
	v_sub_u32_e32 v6, 29, v6
	v_and_b32_e32 v7, 7, v7
	v_cmp_eq_u16_e32 vcc, 0, v3
	v_cndmask_b32_e32 v2, v2, v7, vcc
	v_cndmask_b32_e32 v3, v4, v6, vcc
	v_lshlrev_b32_e32 v4, 8, v9
	v_mov_b32_e32 v6, 0x3b800000
	v_lshlrev_b32_e32 v2, 20, v2
	v_and_b32_e32 v4, 0x80000000, v4
	v_lshl_add_u32 v3, v3, 23, v6
	v_or3_b32 v2, v4, v3, v2
.LBB55_1268:
	s_or_b64 exec, exec, s[6:7]
	s_movk_i32 s4, 0xff
	v_and_b32_sdwa v3, v5, s4 dst_sel:DWORD dst_unused:UNUSED_PAD src0_sel:WORD_1 src1_sel:DWORD
	s_movk_i32 s4, 0x7f
	v_cmp_lt_i16_e32 vcc, s4, v3
	s_mov_b64 s[4:5], 0
                                        ; implicit-def: $sgpr10
	s_and_saveexec_b64 s[6:7], vcc
	s_xor_b64 s[6:7], exec, s[6:7]
	s_cbranch_execnz .LBB55_3317
; %bb.1269:
	s_or_saveexec_b64 s[6:7], s[6:7]
	v_mov_b32_e32 v4, s10
	s_xor_b64 exec, exec, s[6:7]
	s_cbranch_execnz .LBB55_3320
.LBB55_1270:
	s_or_b64 exec, exec, s[6:7]
	s_and_saveexec_b64 s[6:7], s[4:5]
	s_cbranch_execz .LBB55_1272
.LBB55_1271:
	v_bfe_u32 v3, v5, 16, 3
	v_ffbh_u32_e32 v7, v3
	v_min_u32_e32 v7, 32, v7
	v_lshrrev_b32_e32 v4, 19, v5
	v_subrev_u32_e32 v8, 28, v7
	v_and_b32_e32 v4, 15, v4
	v_lshlrev_b32_sdwa v8, v8, v5 dst_sel:DWORD dst_unused:UNUSED_PAD src0_sel:DWORD src1_sel:WORD_1
	v_bfe_u32 v6, v5, 19, 4
	v_sub_u32_e32 v7, 29, v7
	v_and_b32_e32 v8, 7, v8
	v_cmp_eq_u16_e32 vcc, 0, v4
	v_cndmask_b32_e32 v3, v3, v8, vcc
	v_cndmask_b32_e32 v4, v6, v7, vcc
	v_lshlrev_b32_e32 v6, 8, v5
	v_mov_b32_e32 v7, 0x3b800000
	v_lshlrev_b32_e32 v3, 20, v3
	v_and_b32_e32 v6, 0x80000000, v6
	v_lshl_add_u32 v4, v4, 23, v7
	v_or3_b32 v4, v6, v4, v3
.LBB55_1272:
	s_or_b64 exec, exec, s[6:7]
	s_nop 0
	v_mfma_f32_16x16x4f32 a[0:3], v2, v4, a[0:3]
	s_movk_i32 s4, 0x7f
	v_cmp_gt_i16_sdwa s[6:7], v9, s4 src0_sel:BYTE_3 src1_sel:DWORD
	s_mov_b64 s[4:5], 0
                                        ; implicit-def: $sgpr10
	s_and_saveexec_b64 s[8:9], s[6:7]
	s_xor_b64 s[6:7], exec, s[8:9]
	s_cbranch_execnz .LBB55_3321
; %bb.1273:
	s_or_saveexec_b64 s[6:7], s[6:7]
	v_mov_b32_e32 v2, s10
	s_xor_b64 exec, exec, s[6:7]
	s_cbranch_execnz .LBB55_3324
.LBB55_1274:
	s_or_b64 exec, exec, s[6:7]
	s_and_saveexec_b64 s[6:7], s[4:5]
	s_cbranch_execz .LBB55_1276
.LBB55_1275:
	v_bfe_u32 v2, v9, 24, 3
	v_ffbh_u32_e32 v7, v2
	v_min_u32_e32 v7, 32, v7
	v_lshrrev_b32_e32 v4, 27, v9
	v_subrev_u32_e32 v8, 28, v7
	v_and_b32_e32 v4, 15, v4
	v_lshlrev_b32_sdwa v8, v8, v9 dst_sel:DWORD dst_unused:UNUSED_PAD src0_sel:DWORD src1_sel:BYTE_3
	v_bfe_u32 v6, v9, 27, 4
	v_sub_u32_e32 v7, 29, v7
	v_and_b32_e32 v8, 7, v8
	v_cmp_eq_u16_e32 vcc, 0, v4
	v_cndmask_b32_e32 v2, v2, v8, vcc
	v_cndmask_b32_e32 v4, v6, v7, vcc
	v_mov_b32_e32 v6, 0x3b800000
	v_and_b32_e32 v3, 0x80000000, v9
	v_lshlrev_b32_e32 v2, 20, v2
	v_lshl_add_u32 v4, v4, 23, v6
	v_or3_b32 v2, v3, v4, v2
.LBB55_1276:
	s_or_b64 exec, exec, s[6:7]
	s_movk_i32 s4, 0x7f
	v_cmp_gt_i16_sdwa s[6:7], v5, s4 src0_sel:BYTE_3 src1_sel:DWORD
	s_mov_b64 s[4:5], 0
                                        ; implicit-def: $sgpr10
	s_and_saveexec_b64 s[8:9], s[6:7]
	s_xor_b64 s[6:7], exec, s[8:9]
	s_cbranch_execnz .LBB55_3325
; %bb.1277:
	s_or_saveexec_b64 s[6:7], s[6:7]
	v_mov_b32_e32 v3, s10
	s_xor_b64 exec, exec, s[6:7]
	s_cbranch_execnz .LBB55_3328
.LBB55_1278:
	s_or_b64 exec, exec, s[6:7]
	s_and_saveexec_b64 s[6:7], s[4:5]
	s_cbranch_execz .LBB55_1280
.LBB55_1279:
	v_bfe_u32 v3, v5, 24, 3
	v_ffbh_u32_e32 v8, v3
	v_min_u32_e32 v8, 32, v8
	v_lshrrev_b32_e32 v6, 27, v5
	v_subrev_u32_e32 v9, 28, v8
	v_and_b32_e32 v4, 0x80000000, v5
	v_and_b32_e32 v6, 15, v6
	v_bfe_u32 v7, v5, 27, 4
	v_lshlrev_b32_sdwa v5, v9, v5 dst_sel:DWORD dst_unused:UNUSED_PAD src0_sel:DWORD src1_sel:BYTE_3
	v_sub_u32_e32 v8, 29, v8
	v_and_b32_e32 v5, 7, v5
	v_cmp_eq_u16_e32 vcc, 0, v6
	v_cndmask_b32_e32 v3, v3, v5, vcc
	v_cndmask_b32_e32 v5, v7, v8, vcc
	v_mov_b32_e32 v6, 0x3b800000
	v_lshlrev_b32_e32 v3, 20, v3
	v_lshl_add_u32 v5, v5, 23, v6
	v_or3_b32 v3, v4, v5, v3
.LBB55_1280:
	s_or_b64 exec, exec, s[6:7]
	s_nop 0
	v_mfma_f32_16x16x4f32 a[0:3], v2, v3, a[0:3]
	s_movk_i32 s4, 0x7f
                                        ; implicit-def: $sgpr10
	s_nop 7
	s_nop 1
	flat_store_dwordx4 v[18:19], a[0:3] offset:448
	flat_load_dwordx4 v[20:23], v[0:1] offset:8
	s_nop 0
	flat_load_dwordx2 v[18:19], v[0:1] offset:24
	s_waitcnt vmcnt(0) lgkmcnt(0)
	flat_load_dwordx4 v[14:17], v[20:21] offset:32
	flat_load_dwordx4 v[6:9], v[20:21] offset:48
	;; [unrolled: 1-line block ×4, first 2 shown]
	s_waitcnt vmcnt(0) lgkmcnt(0)
	v_cmp_gt_i16_sdwa s[6:7], v14, s4 src0_sel:BYTE_0 src1_sel:DWORD
	s_mov_b64 s[4:5], 0
	s_and_saveexec_b64 s[8:9], s[6:7]
	s_xor_b64 s[6:7], exec, s[8:9]
	s_cbranch_execnz .LBB55_3329
; %bb.1281:
	s_or_saveexec_b64 s[6:7], s[6:7]
	v_mov_b32_e32 v20, s10
	s_xor_b64 exec, exec, s[6:7]
	s_cbranch_execnz .LBB55_3332
.LBB55_1282:
	s_or_b64 exec, exec, s[6:7]
	s_and_saveexec_b64 s[6:7], s[4:5]
	s_cbranch_execz .LBB55_1284
.LBB55_1283:
	v_and_b32_e32 v20, 7, v14
	v_ffbh_u32_e32 v22, v20
	v_min_u32_e32 v22, 32, v22
	v_lshrrev_b16_e32 v21, 3, v14
	v_subrev_u32_e32 v23, 28, v22
	v_and_b32_e32 v21, 15, v21
	v_lshlrev_b32_e32 v23, v23, v14
	v_sub_u32_e32 v22, 29, v22
	v_and_b32_e32 v23, 7, v23
	v_cmp_eq_u16_e32 vcc, 0, v21
	v_cndmask_b32_e32 v20, v20, v23, vcc
	v_cndmask_b32_e32 v21, v21, v22, vcc
	v_lshlrev_b32_e32 v22, 24, v14
	v_mov_b32_e32 v23, 0x3b800000
	v_lshlrev_b32_e32 v20, 20, v20
	v_and_b32_e32 v22, 0x80000000, v22
	v_lshl_add_u32 v21, v21, 23, v23
	v_or3_b32 v20, v22, v21, v20
.LBB55_1284:
	s_or_b64 exec, exec, s[6:7]
	s_movk_i32 s4, 0x7f
	v_cmp_gt_i16_sdwa s[6:7], v10, s4 src0_sel:BYTE_0 src1_sel:DWORD
	s_mov_b64 s[4:5], 0
                                        ; implicit-def: $sgpr10
	s_and_saveexec_b64 s[8:9], s[6:7]
	s_xor_b64 s[6:7], exec, s[8:9]
	s_cbranch_execnz .LBB55_3333
; %bb.1285:
	s_or_saveexec_b64 s[6:7], s[6:7]
	v_mov_b32_e32 v21, s10
	s_xor_b64 exec, exec, s[6:7]
	s_cbranch_execnz .LBB55_3336
.LBB55_1286:
	s_or_b64 exec, exec, s[6:7]
	s_and_saveexec_b64 s[6:7], s[4:5]
	s_cbranch_execz .LBB55_1288
.LBB55_1287:
	v_and_b32_e32 v21, 7, v10
	v_ffbh_u32_e32 v23, v21
	v_min_u32_e32 v23, 32, v23
	v_lshrrev_b16_e32 v22, 3, v10
	v_subrev_u32_e32 v24, 28, v23
	v_and_b32_e32 v22, 15, v22
	v_lshlrev_b32_e32 v24, v24, v10
	v_sub_u32_e32 v23, 29, v23
	v_and_b32_e32 v24, 7, v24
	v_cmp_eq_u16_e32 vcc, 0, v22
	v_cndmask_b32_e32 v21, v21, v24, vcc
	v_cndmask_b32_e32 v22, v22, v23, vcc
	v_lshlrev_b32_e32 v23, 24, v10
	v_mov_b32_e32 v24, 0x3b800000
	v_lshlrev_b32_e32 v21, 20, v21
	v_and_b32_e32 v23, 0x80000000, v23
	v_lshl_add_u32 v22, v22, 23, v24
	v_or3_b32 v21, v23, v22, v21
.LBB55_1288:
	s_or_b64 exec, exec, s[6:7]
	flat_load_dwordx4 a[0:3], v[18:19] offset:464
	s_movk_i32 s4, 0x7f
                                        ; implicit-def: $sgpr10
	s_waitcnt vmcnt(0) lgkmcnt(0)
	v_mfma_f32_16x16x4f32 a[0:3], v20, v21, a[0:3]
	v_lshrrev_b32_e32 v21, 8, v14
	v_cmp_gt_i16_sdwa s[6:7], v21, s4 src0_sel:BYTE_0 src1_sel:DWORD
	s_mov_b64 s[4:5], 0
	s_and_saveexec_b64 s[8:9], s[6:7]
	s_xor_b64 s[6:7], exec, s[8:9]
	s_cbranch_execnz .LBB55_3337
; %bb.1289:
	s_or_saveexec_b64 s[6:7], s[6:7]
	v_mov_b32_e32 v20, s10
	s_xor_b64 exec, exec, s[6:7]
	s_cbranch_execnz .LBB55_3340
.LBB55_1290:
	s_or_b64 exec, exec, s[6:7]
	s_and_saveexec_b64 s[6:7], s[4:5]
	s_cbranch_execz .LBB55_1292
.LBB55_1291:
	v_bfe_u32 v20, v14, 8, 3
	v_ffbh_u32_e32 v23, v20
	v_min_u32_e32 v23, 32, v23
	v_lshrrev_b16_e32 v22, 3, v21
	v_subrev_u32_e32 v24, 28, v23
	v_and_b32_e32 v22, 15, v22
	v_lshlrev_b32_e32 v21, v24, v21
	v_sub_u32_e32 v23, 29, v23
	v_and_b32_e32 v21, 7, v21
	v_cmp_eq_u16_e32 vcc, 0, v22
	v_cndmask_b32_e32 v20, v20, v21, vcc
	v_cndmask_b32_e32 v21, v22, v23, vcc
	v_lshlrev_b32_e32 v22, 16, v14
	v_mov_b32_e32 v23, 0x3b800000
	v_lshlrev_b32_e32 v20, 20, v20
	v_and_b32_e32 v22, 0x80000000, v22
	v_lshl_add_u32 v21, v21, 23, v23
	v_or3_b32 v20, v22, v21, v20
.LBB55_1292:
	s_or_b64 exec, exec, s[6:7]
	v_lshrrev_b32_e32 v21, 8, v10
	s_movk_i32 s4, 0x7f
	v_cmp_gt_i16_sdwa s[6:7], v21, s4 src0_sel:BYTE_0 src1_sel:DWORD
	s_mov_b64 s[4:5], 0
                                        ; implicit-def: $sgpr10
	s_and_saveexec_b64 s[8:9], s[6:7]
	s_xor_b64 s[6:7], exec, s[8:9]
	s_cbranch_execnz .LBB55_3341
; %bb.1293:
	s_or_saveexec_b64 s[6:7], s[6:7]
	v_mov_b32_e32 v22, s10
	s_xor_b64 exec, exec, s[6:7]
	s_cbranch_execnz .LBB55_3344
.LBB55_1294:
	s_or_b64 exec, exec, s[6:7]
	s_and_saveexec_b64 s[6:7], s[4:5]
	s_cbranch_execz .LBB55_1296
.LBB55_1295:
	v_bfe_u32 v22, v10, 8, 3
	v_ffbh_u32_e32 v24, v22
	v_min_u32_e32 v24, 32, v24
	v_lshrrev_b16_e32 v23, 3, v21
	v_subrev_u32_e32 v25, 28, v24
	v_and_b32_e32 v23, 15, v23
	v_lshlrev_b32_e32 v21, v25, v21
	v_sub_u32_e32 v24, 29, v24
	v_and_b32_e32 v21, 7, v21
	v_cmp_eq_u16_e32 vcc, 0, v23
	v_cndmask_b32_e32 v21, v22, v21, vcc
	v_cndmask_b32_e32 v22, v23, v24, vcc
	v_lshlrev_b32_e32 v23, 16, v10
	v_mov_b32_e32 v24, 0x3b800000
	v_lshlrev_b32_e32 v21, 20, v21
	v_and_b32_e32 v23, 0x80000000, v23
	v_lshl_add_u32 v22, v22, 23, v24
	v_or3_b32 v22, v23, v22, v21
.LBB55_1296:
	s_or_b64 exec, exec, s[6:7]
	s_nop 0
	v_mfma_f32_16x16x4f32 a[0:3], v20, v22, a[0:3]
	s_movk_i32 s4, 0xff
	v_and_b32_sdwa v21, v14, s4 dst_sel:DWORD dst_unused:UNUSED_PAD src0_sel:WORD_1 src1_sel:DWORD
	s_movk_i32 s4, 0x7f
	v_cmp_lt_i16_e32 vcc, s4, v21
	s_mov_b64 s[4:5], 0
                                        ; implicit-def: $sgpr10
	s_and_saveexec_b64 s[6:7], vcc
	s_xor_b64 s[6:7], exec, s[6:7]
	s_cbranch_execnz .LBB55_3345
; %bb.1297:
	s_or_saveexec_b64 s[6:7], s[6:7]
	v_mov_b32_e32 v20, s10
	s_xor_b64 exec, exec, s[6:7]
	s_cbranch_execnz .LBB55_3348
.LBB55_1298:
	s_or_b64 exec, exec, s[6:7]
	s_and_saveexec_b64 s[6:7], s[4:5]
	s_cbranch_execz .LBB55_1300
.LBB55_1299:
	v_bfe_u32 v20, v14, 16, 3
	v_ffbh_u32_e32 v23, v20
	v_min_u32_e32 v23, 32, v23
	v_lshrrev_b32_e32 v21, 19, v14
	v_subrev_u32_e32 v24, 28, v23
	v_and_b32_e32 v21, 15, v21
	v_lshlrev_b32_sdwa v24, v24, v14 dst_sel:DWORD dst_unused:UNUSED_PAD src0_sel:DWORD src1_sel:WORD_1
	v_bfe_u32 v22, v14, 19, 4
	v_sub_u32_e32 v23, 29, v23
	v_and_b32_e32 v24, 7, v24
	v_cmp_eq_u16_e32 vcc, 0, v21
	v_cndmask_b32_e32 v20, v20, v24, vcc
	v_cndmask_b32_e32 v21, v22, v23, vcc
	v_lshlrev_b32_e32 v22, 8, v14
	v_mov_b32_e32 v23, 0x3b800000
	v_lshlrev_b32_e32 v20, 20, v20
	v_and_b32_e32 v22, 0x80000000, v22
	v_lshl_add_u32 v21, v21, 23, v23
	v_or3_b32 v20, v22, v21, v20
.LBB55_1300:
	s_or_b64 exec, exec, s[6:7]
	s_movk_i32 s4, 0xff
	v_and_b32_sdwa v21, v10, s4 dst_sel:DWORD dst_unused:UNUSED_PAD src0_sel:WORD_1 src1_sel:DWORD
	s_movk_i32 s4, 0x7f
	v_cmp_lt_i16_e32 vcc, s4, v21
	s_mov_b64 s[4:5], 0
                                        ; implicit-def: $sgpr10
	s_and_saveexec_b64 s[6:7], vcc
	s_xor_b64 s[6:7], exec, s[6:7]
	s_cbranch_execnz .LBB55_3349
; %bb.1301:
	s_or_saveexec_b64 s[6:7], s[6:7]
	v_mov_b32_e32 v22, s10
	s_xor_b64 exec, exec, s[6:7]
	s_cbranch_execnz .LBB55_3352
.LBB55_1302:
	s_or_b64 exec, exec, s[6:7]
	s_and_saveexec_b64 s[6:7], s[4:5]
	s_cbranch_execz .LBB55_1304
.LBB55_1303:
	v_bfe_u32 v21, v10, 16, 3
	v_ffbh_u32_e32 v24, v21
	v_min_u32_e32 v24, 32, v24
	v_lshrrev_b32_e32 v22, 19, v10
	v_subrev_u32_e32 v25, 28, v24
	v_and_b32_e32 v22, 15, v22
	v_lshlrev_b32_sdwa v25, v25, v10 dst_sel:DWORD dst_unused:UNUSED_PAD src0_sel:DWORD src1_sel:WORD_1
	v_bfe_u32 v23, v10, 19, 4
	v_sub_u32_e32 v24, 29, v24
	v_and_b32_e32 v25, 7, v25
	v_cmp_eq_u16_e32 vcc, 0, v22
	v_cndmask_b32_e32 v21, v21, v25, vcc
	v_cndmask_b32_e32 v22, v23, v24, vcc
	v_lshlrev_b32_e32 v23, 8, v10
	v_mov_b32_e32 v24, 0x3b800000
	v_lshlrev_b32_e32 v21, 20, v21
	v_and_b32_e32 v23, 0x80000000, v23
	v_lshl_add_u32 v22, v22, 23, v24
	v_or3_b32 v22, v23, v22, v21
.LBB55_1304:
	s_or_b64 exec, exec, s[6:7]
	s_nop 0
	v_mfma_f32_16x16x4f32 a[0:3], v20, v22, a[0:3]
	s_movk_i32 s4, 0x7f
	v_cmp_gt_i16_sdwa s[6:7], v14, s4 src0_sel:BYTE_3 src1_sel:DWORD
	s_mov_b64 s[4:5], 0
                                        ; implicit-def: $sgpr10
	s_and_saveexec_b64 s[8:9], s[6:7]
	s_xor_b64 s[6:7], exec, s[8:9]
	s_cbranch_execnz .LBB55_3353
; %bb.1305:
	s_or_saveexec_b64 s[6:7], s[6:7]
	v_mov_b32_e32 v20, s10
	s_xor_b64 exec, exec, s[6:7]
	s_cbranch_execnz .LBB55_3356
.LBB55_1306:
	s_or_b64 exec, exec, s[6:7]
	s_and_saveexec_b64 s[6:7], s[4:5]
	s_cbranch_execz .LBB55_1308
.LBB55_1307:
	v_bfe_u32 v20, v14, 24, 3
	v_ffbh_u32_e32 v24, v20
	v_min_u32_e32 v24, 32, v24
	v_lshrrev_b32_e32 v22, 27, v14
	v_subrev_u32_e32 v25, 28, v24
	v_and_b32_e32 v21, 0x80000000, v14
	v_and_b32_e32 v22, 15, v22
	v_bfe_u32 v23, v14, 27, 4
	v_lshlrev_b32_sdwa v14, v25, v14 dst_sel:DWORD dst_unused:UNUSED_PAD src0_sel:DWORD src1_sel:BYTE_3
	v_sub_u32_e32 v24, 29, v24
	v_and_b32_e32 v14, 7, v14
	v_cmp_eq_u16_e32 vcc, 0, v22
	v_cndmask_b32_e32 v14, v20, v14, vcc
	v_cndmask_b32_e32 v20, v23, v24, vcc
	v_mov_b32_e32 v22, 0x3b800000
	v_lshlrev_b32_e32 v14, 20, v14
	v_lshl_add_u32 v20, v20, 23, v22
	v_or3_b32 v20, v21, v20, v14
.LBB55_1308:
	s_or_b64 exec, exec, s[6:7]
	s_movk_i32 s4, 0x7f
	v_cmp_gt_i16_sdwa s[6:7], v10, s4 src0_sel:BYTE_3 src1_sel:DWORD
	s_mov_b64 s[4:5], 0
                                        ; implicit-def: $sgpr10
	s_and_saveexec_b64 s[8:9], s[6:7]
	s_xor_b64 s[6:7], exec, s[8:9]
	s_cbranch_execnz .LBB55_3357
; %bb.1309:
	s_or_saveexec_b64 s[6:7], s[6:7]
	v_mov_b32_e32 v14, s10
	s_xor_b64 exec, exec, s[6:7]
	s_cbranch_execnz .LBB55_3360
.LBB55_1310:
	s_or_b64 exec, exec, s[6:7]
	s_and_saveexec_b64 s[6:7], s[4:5]
	s_cbranch_execz .LBB55_1312
.LBB55_1311:
	v_bfe_u32 v14, v10, 24, 3
	v_ffbh_u32_e32 v24, v14
	v_min_u32_e32 v24, 32, v24
	v_lshrrev_b32_e32 v22, 27, v10
	v_subrev_u32_e32 v25, 28, v24
	v_and_b32_e32 v21, 0x80000000, v10
	v_and_b32_e32 v22, 15, v22
	v_bfe_u32 v23, v10, 27, 4
	v_lshlrev_b32_sdwa v10, v25, v10 dst_sel:DWORD dst_unused:UNUSED_PAD src0_sel:DWORD src1_sel:BYTE_3
	v_sub_u32_e32 v24, 29, v24
	v_and_b32_e32 v10, 7, v10
	v_cmp_eq_u16_e32 vcc, 0, v22
	v_cndmask_b32_e32 v10, v14, v10, vcc
	v_cndmask_b32_e32 v14, v23, v24, vcc
	v_mov_b32_e32 v22, 0x3b800000
	v_lshlrev_b32_e32 v10, 20, v10
	v_lshl_add_u32 v14, v14, 23, v22
	v_or3_b32 v14, v21, v14, v10
.LBB55_1312:
	s_or_b64 exec, exec, s[6:7]
	s_nop 0
	v_mfma_f32_16x16x4f32 a[0:3], v20, v14, a[0:3]
	s_movk_i32 s4, 0x7f
	v_cmp_gt_i16_sdwa s[6:7], v15, s4 src0_sel:BYTE_0 src1_sel:DWORD
	s_mov_b64 s[4:5], 0
                                        ; implicit-def: $sgpr10
	s_and_saveexec_b64 s[8:9], s[6:7]
	s_xor_b64 s[6:7], exec, s[8:9]
	s_cbranch_execnz .LBB55_3361
; %bb.1313:
	s_or_saveexec_b64 s[6:7], s[6:7]
	v_mov_b32_e32 v10, s10
	s_xor_b64 exec, exec, s[6:7]
	s_cbranch_execnz .LBB55_3364
.LBB55_1314:
	s_or_b64 exec, exec, s[6:7]
	s_and_saveexec_b64 s[6:7], s[4:5]
	s_cbranch_execz .LBB55_1316
.LBB55_1315:
	v_and_b32_e32 v10, 7, v15
	v_ffbh_u32_e32 v20, v10
	v_min_u32_e32 v20, 32, v20
	v_lshrrev_b16_e32 v14, 3, v15
	v_subrev_u32_e32 v21, 28, v20
	v_and_b32_e32 v14, 15, v14
	v_lshlrev_b32_e32 v21, v21, v15
	v_sub_u32_e32 v20, 29, v20
	v_and_b32_e32 v21, 7, v21
	v_cmp_eq_u16_e32 vcc, 0, v14
	v_cndmask_b32_e32 v10, v10, v21, vcc
	v_cndmask_b32_e32 v14, v14, v20, vcc
	v_lshlrev_b32_e32 v20, 24, v15
	v_mov_b32_e32 v21, 0x3b800000
	v_lshlrev_b32_e32 v10, 20, v10
	v_and_b32_e32 v20, 0x80000000, v20
	v_lshl_add_u32 v14, v14, 23, v21
	v_or3_b32 v10, v20, v14, v10
.LBB55_1316:
	s_or_b64 exec, exec, s[6:7]
	s_movk_i32 s4, 0x7f
	v_cmp_gt_i16_sdwa s[6:7], v11, s4 src0_sel:BYTE_0 src1_sel:DWORD
	s_mov_b64 s[4:5], 0
                                        ; implicit-def: $sgpr10
	s_and_saveexec_b64 s[8:9], s[6:7]
	s_xor_b64 s[6:7], exec, s[8:9]
	s_cbranch_execnz .LBB55_3365
; %bb.1317:
	s_or_saveexec_b64 s[6:7], s[6:7]
	v_mov_b32_e32 v14, s10
	s_xor_b64 exec, exec, s[6:7]
	s_cbranch_execnz .LBB55_3368
.LBB55_1318:
	s_or_b64 exec, exec, s[6:7]
	s_and_saveexec_b64 s[6:7], s[4:5]
	s_cbranch_execz .LBB55_1320
.LBB55_1319:
	v_and_b32_e32 v14, 7, v11
	v_ffbh_u32_e32 v21, v14
	v_min_u32_e32 v21, 32, v21
	v_lshrrev_b16_e32 v20, 3, v11
	v_subrev_u32_e32 v22, 28, v21
	v_and_b32_e32 v20, 15, v20
	v_lshlrev_b32_e32 v22, v22, v11
	v_sub_u32_e32 v21, 29, v21
	v_and_b32_e32 v22, 7, v22
	v_cmp_eq_u16_e32 vcc, 0, v20
	v_cndmask_b32_e32 v14, v14, v22, vcc
	v_cndmask_b32_e32 v20, v20, v21, vcc
	v_lshlrev_b32_e32 v21, 24, v11
	v_mov_b32_e32 v22, 0x3b800000
	v_lshlrev_b32_e32 v14, 20, v14
	v_and_b32_e32 v21, 0x80000000, v21
	v_lshl_add_u32 v20, v20, 23, v22
	v_or3_b32 v14, v21, v20, v14
.LBB55_1320:
	s_or_b64 exec, exec, s[6:7]
	s_nop 0
	v_mfma_f32_16x16x4f32 a[0:3], v10, v14, a[0:3]
	v_lshrrev_b32_e32 v14, 8, v15
	s_movk_i32 s4, 0x7f
	v_cmp_gt_i16_sdwa s[6:7], v14, s4 src0_sel:BYTE_0 src1_sel:DWORD
	s_mov_b64 s[4:5], 0
                                        ; implicit-def: $sgpr10
	s_and_saveexec_b64 s[8:9], s[6:7]
	s_xor_b64 s[6:7], exec, s[8:9]
	s_cbranch_execnz .LBB55_3369
; %bb.1321:
	s_or_saveexec_b64 s[6:7], s[6:7]
	v_mov_b32_e32 v10, s10
	s_xor_b64 exec, exec, s[6:7]
	s_cbranch_execnz .LBB55_3372
.LBB55_1322:
	s_or_b64 exec, exec, s[6:7]
	s_and_saveexec_b64 s[6:7], s[4:5]
	s_cbranch_execz .LBB55_1324
.LBB55_1323:
	v_bfe_u32 v10, v15, 8, 3
	v_ffbh_u32_e32 v21, v10
	v_min_u32_e32 v21, 32, v21
	v_lshrrev_b16_e32 v20, 3, v14
	v_subrev_u32_e32 v22, 28, v21
	v_and_b32_e32 v20, 15, v20
	v_lshlrev_b32_e32 v14, v22, v14
	v_sub_u32_e32 v21, 29, v21
	v_and_b32_e32 v14, 7, v14
	v_cmp_eq_u16_e32 vcc, 0, v20
	v_cndmask_b32_e32 v10, v10, v14, vcc
	v_cndmask_b32_e32 v14, v20, v21, vcc
	v_lshlrev_b32_e32 v20, 16, v15
	v_mov_b32_e32 v21, 0x3b800000
	v_lshlrev_b32_e32 v10, 20, v10
	v_and_b32_e32 v20, 0x80000000, v20
	v_lshl_add_u32 v14, v14, 23, v21
	v_or3_b32 v10, v20, v14, v10
.LBB55_1324:
	s_or_b64 exec, exec, s[6:7]
	v_lshrrev_b32_e32 v14, 8, v11
	s_movk_i32 s4, 0x7f
	v_cmp_gt_i16_sdwa s[6:7], v14, s4 src0_sel:BYTE_0 src1_sel:DWORD
	s_mov_b64 s[4:5], 0
                                        ; implicit-def: $sgpr10
	s_and_saveexec_b64 s[8:9], s[6:7]
	s_xor_b64 s[6:7], exec, s[8:9]
	s_cbranch_execnz .LBB55_3373
; %bb.1325:
	s_or_saveexec_b64 s[6:7], s[6:7]
	v_mov_b32_e32 v20, s10
	s_xor_b64 exec, exec, s[6:7]
	s_cbranch_execnz .LBB55_3376
.LBB55_1326:
	s_or_b64 exec, exec, s[6:7]
	s_and_saveexec_b64 s[6:7], s[4:5]
	s_cbranch_execz .LBB55_1328
.LBB55_1327:
	v_bfe_u32 v20, v11, 8, 3
	v_ffbh_u32_e32 v22, v20
	v_min_u32_e32 v22, 32, v22
	v_lshrrev_b16_e32 v21, 3, v14
	v_subrev_u32_e32 v23, 28, v22
	v_and_b32_e32 v21, 15, v21
	v_lshlrev_b32_e32 v14, v23, v14
	v_sub_u32_e32 v22, 29, v22
	v_and_b32_e32 v14, 7, v14
	v_cmp_eq_u16_e32 vcc, 0, v21
	v_cndmask_b32_e32 v14, v20, v14, vcc
	v_cndmask_b32_e32 v20, v21, v22, vcc
	v_lshlrev_b32_e32 v21, 16, v11
	v_mov_b32_e32 v22, 0x3b800000
	v_lshlrev_b32_e32 v14, 20, v14
	v_and_b32_e32 v21, 0x80000000, v21
	v_lshl_add_u32 v20, v20, 23, v22
	v_or3_b32 v20, v21, v20, v14
.LBB55_1328:
	s_or_b64 exec, exec, s[6:7]
	s_nop 0
	v_mfma_f32_16x16x4f32 a[0:3], v10, v20, a[0:3]
	s_movk_i32 s4, 0xff
	v_and_b32_sdwa v14, v15, s4 dst_sel:DWORD dst_unused:UNUSED_PAD src0_sel:WORD_1 src1_sel:DWORD
	s_movk_i32 s4, 0x7f
	v_cmp_lt_i16_e32 vcc, s4, v14
	s_mov_b64 s[4:5], 0
                                        ; implicit-def: $sgpr10
	s_and_saveexec_b64 s[6:7], vcc
	s_xor_b64 s[6:7], exec, s[6:7]
	s_cbranch_execnz .LBB55_3377
; %bb.1329:
	s_or_saveexec_b64 s[6:7], s[6:7]
	v_mov_b32_e32 v10, s10
	s_xor_b64 exec, exec, s[6:7]
	s_cbranch_execnz .LBB55_3380
.LBB55_1330:
	s_or_b64 exec, exec, s[6:7]
	s_and_saveexec_b64 s[6:7], s[4:5]
	s_cbranch_execz .LBB55_1332
.LBB55_1331:
	v_bfe_u32 v10, v15, 16, 3
	v_ffbh_u32_e32 v21, v10
	v_min_u32_e32 v21, 32, v21
	v_lshrrev_b32_e32 v14, 19, v15
	v_subrev_u32_e32 v22, 28, v21
	v_and_b32_e32 v14, 15, v14
	v_lshlrev_b32_sdwa v22, v22, v15 dst_sel:DWORD dst_unused:UNUSED_PAD src0_sel:DWORD src1_sel:WORD_1
	v_bfe_u32 v20, v15, 19, 4
	v_sub_u32_e32 v21, 29, v21
	v_and_b32_e32 v22, 7, v22
	v_cmp_eq_u16_e32 vcc, 0, v14
	v_cndmask_b32_e32 v10, v10, v22, vcc
	v_cndmask_b32_e32 v14, v20, v21, vcc
	v_lshlrev_b32_e32 v20, 8, v15
	v_mov_b32_e32 v21, 0x3b800000
	v_lshlrev_b32_e32 v10, 20, v10
	v_and_b32_e32 v20, 0x80000000, v20
	v_lshl_add_u32 v14, v14, 23, v21
	v_or3_b32 v10, v20, v14, v10
.LBB55_1332:
	s_or_b64 exec, exec, s[6:7]
	s_movk_i32 s4, 0xff
	v_and_b32_sdwa v14, v11, s4 dst_sel:DWORD dst_unused:UNUSED_PAD src0_sel:WORD_1 src1_sel:DWORD
	s_movk_i32 s4, 0x7f
	v_cmp_lt_i16_e32 vcc, s4, v14
	s_mov_b64 s[4:5], 0
                                        ; implicit-def: $sgpr10
	s_and_saveexec_b64 s[6:7], vcc
	s_xor_b64 s[6:7], exec, s[6:7]
	s_cbranch_execnz .LBB55_3381
; %bb.1333:
	s_or_saveexec_b64 s[6:7], s[6:7]
	v_mov_b32_e32 v20, s10
	s_xor_b64 exec, exec, s[6:7]
	s_cbranch_execnz .LBB55_3384
.LBB55_1334:
	s_or_b64 exec, exec, s[6:7]
	s_and_saveexec_b64 s[6:7], s[4:5]
	s_cbranch_execz .LBB55_1336
.LBB55_1335:
	v_bfe_u32 v14, v11, 16, 3
	v_ffbh_u32_e32 v22, v14
	v_min_u32_e32 v22, 32, v22
	v_lshrrev_b32_e32 v20, 19, v11
	v_subrev_u32_e32 v23, 28, v22
	v_and_b32_e32 v20, 15, v20
	v_lshlrev_b32_sdwa v23, v23, v11 dst_sel:DWORD dst_unused:UNUSED_PAD src0_sel:DWORD src1_sel:WORD_1
	v_bfe_u32 v21, v11, 19, 4
	v_sub_u32_e32 v22, 29, v22
	v_and_b32_e32 v23, 7, v23
	v_cmp_eq_u16_e32 vcc, 0, v20
	v_cndmask_b32_e32 v14, v14, v23, vcc
	v_cndmask_b32_e32 v20, v21, v22, vcc
	v_lshlrev_b32_e32 v21, 8, v11
	v_mov_b32_e32 v22, 0x3b800000
	v_lshlrev_b32_e32 v14, 20, v14
	v_and_b32_e32 v21, 0x80000000, v21
	v_lshl_add_u32 v20, v20, 23, v22
	v_or3_b32 v20, v21, v20, v14
.LBB55_1336:
	s_or_b64 exec, exec, s[6:7]
	s_nop 0
	v_mfma_f32_16x16x4f32 a[0:3], v10, v20, a[0:3]
	s_movk_i32 s4, 0x7f
	v_cmp_gt_i16_sdwa s[6:7], v15, s4 src0_sel:BYTE_3 src1_sel:DWORD
	s_mov_b64 s[4:5], 0
                                        ; implicit-def: $sgpr10
	s_and_saveexec_b64 s[8:9], s[6:7]
	s_xor_b64 s[6:7], exec, s[8:9]
	s_cbranch_execnz .LBB55_3385
; %bb.1337:
	s_or_saveexec_b64 s[6:7], s[6:7]
	v_mov_b32_e32 v10, s10
	s_xor_b64 exec, exec, s[6:7]
	s_cbranch_execnz .LBB55_3388
.LBB55_1338:
	s_or_b64 exec, exec, s[6:7]
	s_and_saveexec_b64 s[6:7], s[4:5]
	s_cbranch_execz .LBB55_1340
.LBB55_1339:
	v_bfe_u32 v10, v15, 24, 3
	v_ffbh_u32_e32 v22, v10
	v_min_u32_e32 v22, 32, v22
	v_lshrrev_b32_e32 v20, 27, v15
	v_subrev_u32_e32 v23, 28, v22
	v_and_b32_e32 v14, 0x80000000, v15
	v_and_b32_e32 v20, 15, v20
	v_bfe_u32 v21, v15, 27, 4
	v_lshlrev_b32_sdwa v15, v23, v15 dst_sel:DWORD dst_unused:UNUSED_PAD src0_sel:DWORD src1_sel:BYTE_3
	v_sub_u32_e32 v22, 29, v22
	v_and_b32_e32 v15, 7, v15
	v_cmp_eq_u16_e32 vcc, 0, v20
	v_cndmask_b32_e32 v10, v10, v15, vcc
	v_cndmask_b32_e32 v15, v21, v22, vcc
	v_mov_b32_e32 v20, 0x3b800000
	v_lshlrev_b32_e32 v10, 20, v10
	v_lshl_add_u32 v15, v15, 23, v20
	v_or3_b32 v10, v14, v15, v10
.LBB55_1340:
	s_or_b64 exec, exec, s[6:7]
	s_movk_i32 s4, 0x7f
	v_cmp_gt_i16_sdwa s[6:7], v11, s4 src0_sel:BYTE_3 src1_sel:DWORD
	s_mov_b64 s[4:5], 0
                                        ; implicit-def: $sgpr10
	s_and_saveexec_b64 s[8:9], s[6:7]
	s_xor_b64 s[6:7], exec, s[8:9]
	s_cbranch_execnz .LBB55_3389
; %bb.1341:
	s_or_saveexec_b64 s[6:7], s[6:7]
	v_mov_b32_e32 v14, s10
	s_xor_b64 exec, exec, s[6:7]
	s_cbranch_execnz .LBB55_3392
.LBB55_1342:
	s_or_b64 exec, exec, s[6:7]
	s_and_saveexec_b64 s[6:7], s[4:5]
	s_cbranch_execz .LBB55_1344
.LBB55_1343:
	v_bfe_u32 v14, v11, 24, 3
	v_ffbh_u32_e32 v22, v14
	v_min_u32_e32 v22, 32, v22
	v_lshrrev_b32_e32 v20, 27, v11
	v_subrev_u32_e32 v23, 28, v22
	v_and_b32_e32 v15, 0x80000000, v11
	v_and_b32_e32 v20, 15, v20
	v_bfe_u32 v21, v11, 27, 4
	v_lshlrev_b32_sdwa v11, v23, v11 dst_sel:DWORD dst_unused:UNUSED_PAD src0_sel:DWORD src1_sel:BYTE_3
	v_sub_u32_e32 v22, 29, v22
	v_and_b32_e32 v11, 7, v11
	v_cmp_eq_u16_e32 vcc, 0, v20
	v_cndmask_b32_e32 v11, v14, v11, vcc
	v_cndmask_b32_e32 v14, v21, v22, vcc
	v_mov_b32_e32 v20, 0x3b800000
	v_lshlrev_b32_e32 v11, 20, v11
	v_lshl_add_u32 v14, v14, 23, v20
	v_or3_b32 v14, v15, v14, v11
.LBB55_1344:
	s_or_b64 exec, exec, s[6:7]
	s_nop 0
	v_mfma_f32_16x16x4f32 a[0:3], v10, v14, a[0:3]
	s_movk_i32 s4, 0x7f
	v_cmp_gt_i16_sdwa s[6:7], v16, s4 src0_sel:BYTE_0 src1_sel:DWORD
	s_mov_b64 s[4:5], 0
                                        ; implicit-def: $sgpr10
	s_and_saveexec_b64 s[8:9], s[6:7]
	s_xor_b64 s[6:7], exec, s[8:9]
	s_cbranch_execnz .LBB55_3393
; %bb.1345:
	s_or_saveexec_b64 s[6:7], s[6:7]
	v_mov_b32_e32 v10, s10
	s_xor_b64 exec, exec, s[6:7]
	s_cbranch_execnz .LBB55_3396
.LBB55_1346:
	s_or_b64 exec, exec, s[6:7]
	s_and_saveexec_b64 s[6:7], s[4:5]
	s_cbranch_execz .LBB55_1348
.LBB55_1347:
	v_and_b32_e32 v10, 7, v16
	v_ffbh_u32_e32 v14, v10
	v_min_u32_e32 v14, 32, v14
	v_lshrrev_b16_e32 v11, 3, v16
	v_subrev_u32_e32 v15, 28, v14
	v_and_b32_e32 v11, 15, v11
	v_lshlrev_b32_e32 v15, v15, v16
	v_sub_u32_e32 v14, 29, v14
	v_and_b32_e32 v15, 7, v15
	v_cmp_eq_u16_e32 vcc, 0, v11
	v_cndmask_b32_e32 v10, v10, v15, vcc
	v_cndmask_b32_e32 v11, v11, v14, vcc
	v_lshlrev_b32_e32 v14, 24, v16
	v_mov_b32_e32 v15, 0x3b800000
	v_lshlrev_b32_e32 v10, 20, v10
	v_and_b32_e32 v14, 0x80000000, v14
	v_lshl_add_u32 v11, v11, 23, v15
	v_or3_b32 v10, v14, v11, v10
.LBB55_1348:
	s_or_b64 exec, exec, s[6:7]
	s_movk_i32 s4, 0x7f
	v_cmp_gt_i16_sdwa s[6:7], v12, s4 src0_sel:BYTE_0 src1_sel:DWORD
	s_mov_b64 s[4:5], 0
                                        ; implicit-def: $sgpr10
	s_and_saveexec_b64 s[8:9], s[6:7]
	s_xor_b64 s[6:7], exec, s[8:9]
	s_cbranch_execnz .LBB55_3397
; %bb.1349:
	s_or_saveexec_b64 s[6:7], s[6:7]
	v_mov_b32_e32 v11, s10
	s_xor_b64 exec, exec, s[6:7]
	s_cbranch_execnz .LBB55_3400
.LBB55_1350:
	s_or_b64 exec, exec, s[6:7]
	s_and_saveexec_b64 s[6:7], s[4:5]
	s_cbranch_execz .LBB55_1352
.LBB55_1351:
	v_and_b32_e32 v11, 7, v12
	v_ffbh_u32_e32 v15, v11
	v_min_u32_e32 v15, 32, v15
	v_lshrrev_b16_e32 v14, 3, v12
	v_subrev_u32_e32 v20, 28, v15
	v_and_b32_e32 v14, 15, v14
	v_lshlrev_b32_e32 v20, v20, v12
	v_sub_u32_e32 v15, 29, v15
	v_and_b32_e32 v20, 7, v20
	v_cmp_eq_u16_e32 vcc, 0, v14
	v_cndmask_b32_e32 v11, v11, v20, vcc
	v_cndmask_b32_e32 v14, v14, v15, vcc
	v_lshlrev_b32_e32 v15, 24, v12
	v_mov_b32_e32 v20, 0x3b800000
	v_lshlrev_b32_e32 v11, 20, v11
	v_and_b32_e32 v15, 0x80000000, v15
	v_lshl_add_u32 v14, v14, 23, v20
	v_or3_b32 v11, v15, v14, v11
.LBB55_1352:
	s_or_b64 exec, exec, s[6:7]
	s_nop 0
	v_mfma_f32_16x16x4f32 a[0:3], v10, v11, a[0:3]
	v_lshrrev_b32_e32 v11, 8, v16
	s_movk_i32 s4, 0x7f
	v_cmp_gt_i16_sdwa s[6:7], v11, s4 src0_sel:BYTE_0 src1_sel:DWORD
	s_mov_b64 s[4:5], 0
                                        ; implicit-def: $sgpr10
	s_and_saveexec_b64 s[8:9], s[6:7]
	s_xor_b64 s[6:7], exec, s[8:9]
	s_cbranch_execnz .LBB55_3401
; %bb.1353:
	s_or_saveexec_b64 s[6:7], s[6:7]
	v_mov_b32_e32 v10, s10
	s_xor_b64 exec, exec, s[6:7]
	s_cbranch_execnz .LBB55_3404
.LBB55_1354:
	s_or_b64 exec, exec, s[6:7]
	s_and_saveexec_b64 s[6:7], s[4:5]
	s_cbranch_execz .LBB55_1356
.LBB55_1355:
	v_bfe_u32 v10, v16, 8, 3
	v_ffbh_u32_e32 v15, v10
	v_min_u32_e32 v15, 32, v15
	v_lshrrev_b16_e32 v14, 3, v11
	v_subrev_u32_e32 v20, 28, v15
	v_and_b32_e32 v14, 15, v14
	v_lshlrev_b32_e32 v11, v20, v11
	v_sub_u32_e32 v15, 29, v15
	v_and_b32_e32 v11, 7, v11
	v_cmp_eq_u16_e32 vcc, 0, v14
	v_cndmask_b32_e32 v10, v10, v11, vcc
	v_cndmask_b32_e32 v11, v14, v15, vcc
	v_lshlrev_b32_e32 v14, 16, v16
	v_mov_b32_e32 v15, 0x3b800000
	v_lshlrev_b32_e32 v10, 20, v10
	v_and_b32_e32 v14, 0x80000000, v14
	v_lshl_add_u32 v11, v11, 23, v15
	v_or3_b32 v10, v14, v11, v10
.LBB55_1356:
	s_or_b64 exec, exec, s[6:7]
	v_lshrrev_b32_e32 v11, 8, v12
	s_movk_i32 s4, 0x7f
	v_cmp_gt_i16_sdwa s[6:7], v11, s4 src0_sel:BYTE_0 src1_sel:DWORD
	s_mov_b64 s[4:5], 0
                                        ; implicit-def: $sgpr10
	s_and_saveexec_b64 s[8:9], s[6:7]
	s_xor_b64 s[6:7], exec, s[8:9]
	s_cbranch_execnz .LBB55_3405
; %bb.1357:
	s_or_saveexec_b64 s[6:7], s[6:7]
	v_mov_b32_e32 v14, s10
	s_xor_b64 exec, exec, s[6:7]
	s_cbranch_execnz .LBB55_3408
.LBB55_1358:
	s_or_b64 exec, exec, s[6:7]
	s_and_saveexec_b64 s[6:7], s[4:5]
	s_cbranch_execz .LBB55_1360
.LBB55_1359:
	v_bfe_u32 v14, v12, 8, 3
	v_ffbh_u32_e32 v20, v14
	v_min_u32_e32 v20, 32, v20
	v_lshrrev_b16_e32 v15, 3, v11
	v_subrev_u32_e32 v21, 28, v20
	v_and_b32_e32 v15, 15, v15
	v_lshlrev_b32_e32 v11, v21, v11
	v_sub_u32_e32 v20, 29, v20
	v_and_b32_e32 v11, 7, v11
	v_cmp_eq_u16_e32 vcc, 0, v15
	v_cndmask_b32_e32 v11, v14, v11, vcc
	v_cndmask_b32_e32 v14, v15, v20, vcc
	v_lshlrev_b32_e32 v15, 16, v12
	v_mov_b32_e32 v20, 0x3b800000
	v_lshlrev_b32_e32 v11, 20, v11
	v_and_b32_e32 v15, 0x80000000, v15
	v_lshl_add_u32 v14, v14, 23, v20
	v_or3_b32 v14, v15, v14, v11
.LBB55_1360:
	s_or_b64 exec, exec, s[6:7]
	s_nop 0
	v_mfma_f32_16x16x4f32 a[0:3], v10, v14, a[0:3]
	s_movk_i32 s4, 0xff
	v_and_b32_sdwa v11, v16, s4 dst_sel:DWORD dst_unused:UNUSED_PAD src0_sel:WORD_1 src1_sel:DWORD
	s_movk_i32 s4, 0x7f
	v_cmp_lt_i16_e32 vcc, s4, v11
	s_mov_b64 s[4:5], 0
                                        ; implicit-def: $sgpr10
	s_and_saveexec_b64 s[6:7], vcc
	s_xor_b64 s[6:7], exec, s[6:7]
	s_cbranch_execnz .LBB55_3409
; %bb.1361:
	s_or_saveexec_b64 s[6:7], s[6:7]
	v_mov_b32_e32 v10, s10
	s_xor_b64 exec, exec, s[6:7]
	s_cbranch_execnz .LBB55_3412
.LBB55_1362:
	s_or_b64 exec, exec, s[6:7]
	s_and_saveexec_b64 s[6:7], s[4:5]
	s_cbranch_execz .LBB55_1364
.LBB55_1363:
	v_bfe_u32 v10, v16, 16, 3
	v_ffbh_u32_e32 v15, v10
	v_min_u32_e32 v15, 32, v15
	v_lshrrev_b32_e32 v11, 19, v16
	v_subrev_u32_e32 v20, 28, v15
	v_and_b32_e32 v11, 15, v11
	v_lshlrev_b32_sdwa v20, v20, v16 dst_sel:DWORD dst_unused:UNUSED_PAD src0_sel:DWORD src1_sel:WORD_1
	v_bfe_u32 v14, v16, 19, 4
	v_sub_u32_e32 v15, 29, v15
	v_and_b32_e32 v20, 7, v20
	v_cmp_eq_u16_e32 vcc, 0, v11
	v_cndmask_b32_e32 v10, v10, v20, vcc
	v_cndmask_b32_e32 v11, v14, v15, vcc
	v_lshlrev_b32_e32 v14, 8, v16
	v_mov_b32_e32 v15, 0x3b800000
	v_lshlrev_b32_e32 v10, 20, v10
	v_and_b32_e32 v14, 0x80000000, v14
	v_lshl_add_u32 v11, v11, 23, v15
	v_or3_b32 v10, v14, v11, v10
.LBB55_1364:
	s_or_b64 exec, exec, s[6:7]
	s_movk_i32 s4, 0xff
	v_and_b32_sdwa v11, v12, s4 dst_sel:DWORD dst_unused:UNUSED_PAD src0_sel:WORD_1 src1_sel:DWORD
	s_movk_i32 s4, 0x7f
	v_cmp_lt_i16_e32 vcc, s4, v11
	s_mov_b64 s[4:5], 0
                                        ; implicit-def: $sgpr10
	s_and_saveexec_b64 s[6:7], vcc
	s_xor_b64 s[6:7], exec, s[6:7]
	s_cbranch_execnz .LBB55_3413
; %bb.1365:
	s_or_saveexec_b64 s[6:7], s[6:7]
	v_mov_b32_e32 v14, s10
	s_xor_b64 exec, exec, s[6:7]
	s_cbranch_execnz .LBB55_3416
.LBB55_1366:
	s_or_b64 exec, exec, s[6:7]
	s_and_saveexec_b64 s[6:7], s[4:5]
	s_cbranch_execz .LBB55_1368
.LBB55_1367:
	v_bfe_u32 v11, v12, 16, 3
	v_ffbh_u32_e32 v20, v11
	v_min_u32_e32 v20, 32, v20
	v_lshrrev_b32_e32 v14, 19, v12
	v_subrev_u32_e32 v21, 28, v20
	v_and_b32_e32 v14, 15, v14
	v_lshlrev_b32_sdwa v21, v21, v12 dst_sel:DWORD dst_unused:UNUSED_PAD src0_sel:DWORD src1_sel:WORD_1
	v_bfe_u32 v15, v12, 19, 4
	v_sub_u32_e32 v20, 29, v20
	v_and_b32_e32 v21, 7, v21
	v_cmp_eq_u16_e32 vcc, 0, v14
	v_cndmask_b32_e32 v11, v11, v21, vcc
	v_cndmask_b32_e32 v14, v15, v20, vcc
	v_lshlrev_b32_e32 v15, 8, v12
	v_mov_b32_e32 v20, 0x3b800000
	v_lshlrev_b32_e32 v11, 20, v11
	v_and_b32_e32 v15, 0x80000000, v15
	v_lshl_add_u32 v14, v14, 23, v20
	v_or3_b32 v14, v15, v14, v11
.LBB55_1368:
	s_or_b64 exec, exec, s[6:7]
	s_nop 0
	v_mfma_f32_16x16x4f32 a[0:3], v10, v14, a[0:3]
	s_movk_i32 s4, 0x7f
	v_cmp_gt_i16_sdwa s[6:7], v16, s4 src0_sel:BYTE_3 src1_sel:DWORD
	s_mov_b64 s[4:5], 0
                                        ; implicit-def: $sgpr10
	s_and_saveexec_b64 s[8:9], s[6:7]
	s_xor_b64 s[6:7], exec, s[8:9]
	s_cbranch_execnz .LBB55_3417
; %bb.1369:
	s_or_saveexec_b64 s[6:7], s[6:7]
	v_mov_b32_e32 v10, s10
	s_xor_b64 exec, exec, s[6:7]
	s_cbranch_execnz .LBB55_3420
.LBB55_1370:
	s_or_b64 exec, exec, s[6:7]
	s_and_saveexec_b64 s[6:7], s[4:5]
	s_cbranch_execz .LBB55_1372
.LBB55_1371:
	v_bfe_u32 v10, v16, 24, 3
	v_ffbh_u32_e32 v20, v10
	v_min_u32_e32 v20, 32, v20
	v_lshrrev_b32_e32 v14, 27, v16
	v_subrev_u32_e32 v21, 28, v20
	v_and_b32_e32 v11, 0x80000000, v16
	v_and_b32_e32 v14, 15, v14
	v_bfe_u32 v15, v16, 27, 4
	v_lshlrev_b32_sdwa v16, v21, v16 dst_sel:DWORD dst_unused:UNUSED_PAD src0_sel:DWORD src1_sel:BYTE_3
	v_sub_u32_e32 v20, 29, v20
	v_and_b32_e32 v16, 7, v16
	v_cmp_eq_u16_e32 vcc, 0, v14
	v_cndmask_b32_e32 v10, v10, v16, vcc
	v_cndmask_b32_e32 v14, v15, v20, vcc
	v_mov_b32_e32 v15, 0x3b800000
	v_lshlrev_b32_e32 v10, 20, v10
	v_lshl_add_u32 v14, v14, 23, v15
	v_or3_b32 v10, v11, v14, v10
.LBB55_1372:
	s_or_b64 exec, exec, s[6:7]
	s_movk_i32 s4, 0x7f
	v_cmp_gt_i16_sdwa s[6:7], v12, s4 src0_sel:BYTE_3 src1_sel:DWORD
	s_mov_b64 s[4:5], 0
                                        ; implicit-def: $sgpr10
	s_and_saveexec_b64 s[8:9], s[6:7]
	s_xor_b64 s[6:7], exec, s[8:9]
	s_cbranch_execnz .LBB55_3421
; %bb.1373:
	s_or_saveexec_b64 s[6:7], s[6:7]
	v_mov_b32_e32 v11, s10
	s_xor_b64 exec, exec, s[6:7]
	s_cbranch_execnz .LBB55_3424
.LBB55_1374:
	s_or_b64 exec, exec, s[6:7]
	s_and_saveexec_b64 s[6:7], s[4:5]
	s_cbranch_execz .LBB55_1376
.LBB55_1375:
	v_bfe_u32 v11, v12, 24, 3
	v_ffbh_u32_e32 v20, v11
	v_min_u32_e32 v20, 32, v20
	v_lshrrev_b32_e32 v15, 27, v12
	v_subrev_u32_e32 v21, 28, v20
	v_and_b32_e32 v14, 0x80000000, v12
	v_and_b32_e32 v15, 15, v15
	v_bfe_u32 v16, v12, 27, 4
	v_lshlrev_b32_sdwa v12, v21, v12 dst_sel:DWORD dst_unused:UNUSED_PAD src0_sel:DWORD src1_sel:BYTE_3
	v_sub_u32_e32 v20, 29, v20
	v_and_b32_e32 v12, 7, v12
	v_cmp_eq_u16_e32 vcc, 0, v15
	v_cndmask_b32_e32 v11, v11, v12, vcc
	v_cndmask_b32_e32 v12, v16, v20, vcc
	v_mov_b32_e32 v15, 0x3b800000
	v_lshlrev_b32_e32 v11, 20, v11
	v_lshl_add_u32 v12, v12, 23, v15
	v_or3_b32 v11, v14, v12, v11
.LBB55_1376:
	s_or_b64 exec, exec, s[6:7]
	s_nop 0
	v_mfma_f32_16x16x4f32 a[0:3], v10, v11, a[0:3]
	s_movk_i32 s4, 0x7f
	v_cmp_gt_i16_sdwa s[6:7], v17, s4 src0_sel:BYTE_0 src1_sel:DWORD
	s_mov_b64 s[4:5], 0
                                        ; implicit-def: $sgpr10
	s_and_saveexec_b64 s[8:9], s[6:7]
	s_xor_b64 s[6:7], exec, s[8:9]
	s_cbranch_execnz .LBB55_3425
; %bb.1377:
	s_or_saveexec_b64 s[6:7], s[6:7]
	v_mov_b32_e32 v10, s10
	s_xor_b64 exec, exec, s[6:7]
	s_cbranch_execnz .LBB55_3428
.LBB55_1378:
	s_or_b64 exec, exec, s[6:7]
	s_and_saveexec_b64 s[6:7], s[4:5]
	s_cbranch_execz .LBB55_1380
.LBB55_1379:
	v_and_b32_e32 v10, 7, v17
	v_ffbh_u32_e32 v12, v10
	v_min_u32_e32 v12, 32, v12
	v_lshrrev_b16_e32 v11, 3, v17
	v_subrev_u32_e32 v14, 28, v12
	v_and_b32_e32 v11, 15, v11
	v_lshlrev_b32_e32 v14, v14, v17
	v_sub_u32_e32 v12, 29, v12
	v_and_b32_e32 v14, 7, v14
	v_cmp_eq_u16_e32 vcc, 0, v11
	v_cndmask_b32_e32 v10, v10, v14, vcc
	v_cndmask_b32_e32 v11, v11, v12, vcc
	v_lshlrev_b32_e32 v12, 24, v17
	v_mov_b32_e32 v14, 0x3b800000
	v_lshlrev_b32_e32 v10, 20, v10
	v_and_b32_e32 v12, 0x80000000, v12
	v_lshl_add_u32 v11, v11, 23, v14
	v_or3_b32 v10, v12, v11, v10
.LBB55_1380:
	s_or_b64 exec, exec, s[6:7]
	s_movk_i32 s4, 0x7f
	v_cmp_gt_i16_sdwa s[6:7], v13, s4 src0_sel:BYTE_0 src1_sel:DWORD
	s_mov_b64 s[4:5], 0
                                        ; implicit-def: $sgpr10
	s_and_saveexec_b64 s[8:9], s[6:7]
	s_xor_b64 s[6:7], exec, s[8:9]
	s_cbranch_execnz .LBB55_3429
; %bb.1381:
	s_or_saveexec_b64 s[6:7], s[6:7]
	v_mov_b32_e32 v11, s10
	s_xor_b64 exec, exec, s[6:7]
	s_cbranch_execnz .LBB55_3432
.LBB55_1382:
	s_or_b64 exec, exec, s[6:7]
	s_and_saveexec_b64 s[6:7], s[4:5]
	s_cbranch_execz .LBB55_1384
.LBB55_1383:
	v_and_b32_e32 v11, 7, v13
	v_ffbh_u32_e32 v14, v11
	v_min_u32_e32 v14, 32, v14
	v_lshrrev_b16_e32 v12, 3, v13
	v_subrev_u32_e32 v15, 28, v14
	v_and_b32_e32 v12, 15, v12
	v_lshlrev_b32_e32 v15, v15, v13
	v_sub_u32_e32 v14, 29, v14
	v_and_b32_e32 v15, 7, v15
	v_cmp_eq_u16_e32 vcc, 0, v12
	v_cndmask_b32_e32 v11, v11, v15, vcc
	v_cndmask_b32_e32 v12, v12, v14, vcc
	v_lshlrev_b32_e32 v14, 24, v13
	v_mov_b32_e32 v15, 0x3b800000
	v_lshlrev_b32_e32 v11, 20, v11
	v_and_b32_e32 v14, 0x80000000, v14
	v_lshl_add_u32 v12, v12, 23, v15
	v_or3_b32 v11, v14, v12, v11
.LBB55_1384:
	s_or_b64 exec, exec, s[6:7]
	s_nop 0
	v_mfma_f32_16x16x4f32 a[0:3], v10, v11, a[0:3]
	v_lshrrev_b32_e32 v11, 8, v17
	s_movk_i32 s4, 0x7f
	v_cmp_gt_i16_sdwa s[6:7], v11, s4 src0_sel:BYTE_0 src1_sel:DWORD
	s_mov_b64 s[4:5], 0
                                        ; implicit-def: $sgpr10
	s_and_saveexec_b64 s[8:9], s[6:7]
	s_xor_b64 s[6:7], exec, s[8:9]
	s_cbranch_execnz .LBB55_3433
; %bb.1385:
	s_or_saveexec_b64 s[6:7], s[6:7]
	v_mov_b32_e32 v10, s10
	s_xor_b64 exec, exec, s[6:7]
	s_cbranch_execnz .LBB55_3436
.LBB55_1386:
	s_or_b64 exec, exec, s[6:7]
	s_and_saveexec_b64 s[6:7], s[4:5]
	s_cbranch_execz .LBB55_1388
.LBB55_1387:
	v_bfe_u32 v10, v17, 8, 3
	v_ffbh_u32_e32 v14, v10
	v_min_u32_e32 v14, 32, v14
	v_lshrrev_b16_e32 v12, 3, v11
	v_subrev_u32_e32 v15, 28, v14
	v_and_b32_e32 v12, 15, v12
	v_lshlrev_b32_e32 v11, v15, v11
	v_sub_u32_e32 v14, 29, v14
	v_and_b32_e32 v11, 7, v11
	v_cmp_eq_u16_e32 vcc, 0, v12
	v_cndmask_b32_e32 v10, v10, v11, vcc
	v_cndmask_b32_e32 v11, v12, v14, vcc
	v_lshlrev_b32_e32 v12, 16, v17
	v_mov_b32_e32 v14, 0x3b800000
	v_lshlrev_b32_e32 v10, 20, v10
	v_and_b32_e32 v12, 0x80000000, v12
	v_lshl_add_u32 v11, v11, 23, v14
	v_or3_b32 v10, v12, v11, v10
.LBB55_1388:
	s_or_b64 exec, exec, s[6:7]
	v_lshrrev_b32_e32 v11, 8, v13
	s_movk_i32 s4, 0x7f
	v_cmp_gt_i16_sdwa s[6:7], v11, s4 src0_sel:BYTE_0 src1_sel:DWORD
	s_mov_b64 s[4:5], 0
                                        ; implicit-def: $sgpr10
	s_and_saveexec_b64 s[8:9], s[6:7]
	s_xor_b64 s[6:7], exec, s[8:9]
	s_cbranch_execnz .LBB55_3437
; %bb.1389:
	s_or_saveexec_b64 s[6:7], s[6:7]
	v_mov_b32_e32 v12, s10
	s_xor_b64 exec, exec, s[6:7]
	s_cbranch_execnz .LBB55_3440
.LBB55_1390:
	s_or_b64 exec, exec, s[6:7]
	s_and_saveexec_b64 s[6:7], s[4:5]
	s_cbranch_execz .LBB55_1392
.LBB55_1391:
	v_bfe_u32 v12, v13, 8, 3
	v_ffbh_u32_e32 v15, v12
	v_min_u32_e32 v15, 32, v15
	v_lshrrev_b16_e32 v14, 3, v11
	v_subrev_u32_e32 v16, 28, v15
	v_and_b32_e32 v14, 15, v14
	v_lshlrev_b32_e32 v11, v16, v11
	v_sub_u32_e32 v15, 29, v15
	v_and_b32_e32 v11, 7, v11
	v_cmp_eq_u16_e32 vcc, 0, v14
	v_cndmask_b32_e32 v11, v12, v11, vcc
	v_cndmask_b32_e32 v12, v14, v15, vcc
	v_lshlrev_b32_e32 v14, 16, v13
	v_mov_b32_e32 v15, 0x3b800000
	v_lshlrev_b32_e32 v11, 20, v11
	v_and_b32_e32 v14, 0x80000000, v14
	v_lshl_add_u32 v12, v12, 23, v15
	v_or3_b32 v12, v14, v12, v11
.LBB55_1392:
	s_or_b64 exec, exec, s[6:7]
	s_nop 0
	v_mfma_f32_16x16x4f32 a[0:3], v10, v12, a[0:3]
	s_movk_i32 s4, 0xff
	v_and_b32_sdwa v11, v17, s4 dst_sel:DWORD dst_unused:UNUSED_PAD src0_sel:WORD_1 src1_sel:DWORD
	s_movk_i32 s4, 0x7f
	v_cmp_lt_i16_e32 vcc, s4, v11
	s_mov_b64 s[4:5], 0
                                        ; implicit-def: $sgpr10
	s_and_saveexec_b64 s[6:7], vcc
	s_xor_b64 s[6:7], exec, s[6:7]
	s_cbranch_execnz .LBB55_3441
; %bb.1393:
	s_or_saveexec_b64 s[6:7], s[6:7]
	v_mov_b32_e32 v10, s10
	s_xor_b64 exec, exec, s[6:7]
	s_cbranch_execnz .LBB55_3444
.LBB55_1394:
	s_or_b64 exec, exec, s[6:7]
	s_and_saveexec_b64 s[6:7], s[4:5]
	s_cbranch_execz .LBB55_1396
.LBB55_1395:
	v_bfe_u32 v10, v17, 16, 3
	v_ffbh_u32_e32 v14, v10
	v_min_u32_e32 v14, 32, v14
	v_lshrrev_b32_e32 v11, 19, v17
	v_subrev_u32_e32 v15, 28, v14
	v_and_b32_e32 v11, 15, v11
	v_lshlrev_b32_sdwa v15, v15, v17 dst_sel:DWORD dst_unused:UNUSED_PAD src0_sel:DWORD src1_sel:WORD_1
	v_bfe_u32 v12, v17, 19, 4
	v_sub_u32_e32 v14, 29, v14
	v_and_b32_e32 v15, 7, v15
	v_cmp_eq_u16_e32 vcc, 0, v11
	v_cndmask_b32_e32 v10, v10, v15, vcc
	v_cndmask_b32_e32 v11, v12, v14, vcc
	v_lshlrev_b32_e32 v12, 8, v17
	v_mov_b32_e32 v14, 0x3b800000
	v_lshlrev_b32_e32 v10, 20, v10
	v_and_b32_e32 v12, 0x80000000, v12
	v_lshl_add_u32 v11, v11, 23, v14
	v_or3_b32 v10, v12, v11, v10
.LBB55_1396:
	s_or_b64 exec, exec, s[6:7]
	s_movk_i32 s4, 0xff
	v_and_b32_sdwa v11, v13, s4 dst_sel:DWORD dst_unused:UNUSED_PAD src0_sel:WORD_1 src1_sel:DWORD
	s_movk_i32 s4, 0x7f
	v_cmp_lt_i16_e32 vcc, s4, v11
	s_mov_b64 s[4:5], 0
                                        ; implicit-def: $sgpr10
	s_and_saveexec_b64 s[6:7], vcc
	s_xor_b64 s[6:7], exec, s[6:7]
	s_cbranch_execnz .LBB55_3445
; %bb.1397:
	s_or_saveexec_b64 s[6:7], s[6:7]
	v_mov_b32_e32 v12, s10
	s_xor_b64 exec, exec, s[6:7]
	s_cbranch_execnz .LBB55_3448
.LBB55_1398:
	s_or_b64 exec, exec, s[6:7]
	s_and_saveexec_b64 s[6:7], s[4:5]
	s_cbranch_execz .LBB55_1400
.LBB55_1399:
	v_bfe_u32 v11, v13, 16, 3
	v_ffbh_u32_e32 v15, v11
	v_min_u32_e32 v15, 32, v15
	v_lshrrev_b32_e32 v12, 19, v13
	v_subrev_u32_e32 v16, 28, v15
	v_and_b32_e32 v12, 15, v12
	v_lshlrev_b32_sdwa v16, v16, v13 dst_sel:DWORD dst_unused:UNUSED_PAD src0_sel:DWORD src1_sel:WORD_1
	v_bfe_u32 v14, v13, 19, 4
	v_sub_u32_e32 v15, 29, v15
	v_and_b32_e32 v16, 7, v16
	v_cmp_eq_u16_e32 vcc, 0, v12
	v_cndmask_b32_e32 v11, v11, v16, vcc
	v_cndmask_b32_e32 v12, v14, v15, vcc
	v_lshlrev_b32_e32 v14, 8, v13
	v_mov_b32_e32 v15, 0x3b800000
	v_lshlrev_b32_e32 v11, 20, v11
	v_and_b32_e32 v14, 0x80000000, v14
	v_lshl_add_u32 v12, v12, 23, v15
	v_or3_b32 v12, v14, v12, v11
.LBB55_1400:
	s_or_b64 exec, exec, s[6:7]
	s_nop 0
	v_mfma_f32_16x16x4f32 a[0:3], v10, v12, a[0:3]
	s_movk_i32 s4, 0x7f
	v_cmp_gt_i16_sdwa s[6:7], v17, s4 src0_sel:BYTE_3 src1_sel:DWORD
	s_mov_b64 s[4:5], 0
                                        ; implicit-def: $sgpr10
	s_and_saveexec_b64 s[8:9], s[6:7]
	s_xor_b64 s[6:7], exec, s[8:9]
	s_cbranch_execnz .LBB55_3449
; %bb.1401:
	s_or_saveexec_b64 s[6:7], s[6:7]
	v_mov_b32_e32 v10, s10
	s_xor_b64 exec, exec, s[6:7]
	s_cbranch_execnz .LBB55_3452
.LBB55_1402:
	s_or_b64 exec, exec, s[6:7]
	s_and_saveexec_b64 s[6:7], s[4:5]
	s_cbranch_execz .LBB55_1404
.LBB55_1403:
	v_bfe_u32 v10, v17, 24, 3
	v_ffbh_u32_e32 v15, v10
	v_min_u32_e32 v15, 32, v15
	v_lshrrev_b32_e32 v12, 27, v17
	v_subrev_u32_e32 v16, 28, v15
	v_and_b32_e32 v12, 15, v12
	v_lshlrev_b32_sdwa v16, v16, v17 dst_sel:DWORD dst_unused:UNUSED_PAD src0_sel:DWORD src1_sel:BYTE_3
	v_bfe_u32 v14, v17, 27, 4
	v_sub_u32_e32 v15, 29, v15
	v_and_b32_e32 v16, 7, v16
	v_cmp_eq_u16_e32 vcc, 0, v12
	v_cndmask_b32_e32 v10, v10, v16, vcc
	v_cndmask_b32_e32 v12, v14, v15, vcc
	v_mov_b32_e32 v14, 0x3b800000
	v_and_b32_e32 v11, 0x80000000, v17
	v_lshlrev_b32_e32 v10, 20, v10
	v_lshl_add_u32 v12, v12, 23, v14
	v_or3_b32 v10, v11, v12, v10
.LBB55_1404:
	s_or_b64 exec, exec, s[6:7]
	s_movk_i32 s4, 0x7f
	v_cmp_gt_i16_sdwa s[6:7], v13, s4 src0_sel:BYTE_3 src1_sel:DWORD
	s_mov_b64 s[4:5], 0
                                        ; implicit-def: $sgpr10
	s_and_saveexec_b64 s[8:9], s[6:7]
	s_xor_b64 s[6:7], exec, s[8:9]
	s_cbranch_execnz .LBB55_3453
; %bb.1405:
	s_or_saveexec_b64 s[6:7], s[6:7]
	v_mov_b32_e32 v11, s10
	s_xor_b64 exec, exec, s[6:7]
	s_cbranch_execnz .LBB55_3456
.LBB55_1406:
	s_or_b64 exec, exec, s[6:7]
	s_and_saveexec_b64 s[6:7], s[4:5]
	s_cbranch_execz .LBB55_1408
.LBB55_1407:
	v_bfe_u32 v11, v13, 24, 3
	v_ffbh_u32_e32 v16, v11
	v_min_u32_e32 v16, 32, v16
	v_lshrrev_b32_e32 v14, 27, v13
	v_subrev_u32_e32 v17, 28, v16
	v_and_b32_e32 v12, 0x80000000, v13
	v_and_b32_e32 v14, 15, v14
	v_bfe_u32 v15, v13, 27, 4
	v_lshlrev_b32_sdwa v13, v17, v13 dst_sel:DWORD dst_unused:UNUSED_PAD src0_sel:DWORD src1_sel:BYTE_3
	v_sub_u32_e32 v16, 29, v16
	v_and_b32_e32 v13, 7, v13
	v_cmp_eq_u16_e32 vcc, 0, v14
	v_cndmask_b32_e32 v11, v11, v13, vcc
	v_cndmask_b32_e32 v13, v15, v16, vcc
	v_mov_b32_e32 v14, 0x3b800000
	v_lshlrev_b32_e32 v11, 20, v11
	v_lshl_add_u32 v13, v13, 23, v14
	v_or3_b32 v11, v12, v13, v11
.LBB55_1408:
	s_or_b64 exec, exec, s[6:7]
	s_nop 0
	v_mfma_f32_16x16x4f32 a[0:3], v10, v11, a[0:3]
	s_movk_i32 s4, 0x7f
	v_cmp_gt_i16_sdwa s[6:7], v6, s4 src0_sel:BYTE_0 src1_sel:DWORD
	s_mov_b64 s[4:5], 0
                                        ; implicit-def: $sgpr10
	s_and_saveexec_b64 s[8:9], s[6:7]
	s_xor_b64 s[6:7], exec, s[8:9]
	s_cbranch_execnz .LBB55_3457
; %bb.1409:
	s_or_saveexec_b64 s[6:7], s[6:7]
	v_mov_b32_e32 v10, s10
	s_xor_b64 exec, exec, s[6:7]
	s_cbranch_execnz .LBB55_3460
.LBB55_1410:
	s_or_b64 exec, exec, s[6:7]
	s_and_saveexec_b64 s[6:7], s[4:5]
	s_cbranch_execz .LBB55_1412
.LBB55_1411:
	v_and_b32_e32 v10, 7, v6
	v_ffbh_u32_e32 v12, v10
	v_min_u32_e32 v12, 32, v12
	v_lshrrev_b16_e32 v11, 3, v6
	v_subrev_u32_e32 v13, 28, v12
	v_and_b32_e32 v11, 15, v11
	v_lshlrev_b32_e32 v13, v13, v6
	v_sub_u32_e32 v12, 29, v12
	v_and_b32_e32 v13, 7, v13
	v_cmp_eq_u16_e32 vcc, 0, v11
	v_cndmask_b32_e32 v10, v10, v13, vcc
	v_cndmask_b32_e32 v11, v11, v12, vcc
	v_lshlrev_b32_e32 v12, 24, v6
	v_mov_b32_e32 v13, 0x3b800000
	v_lshlrev_b32_e32 v10, 20, v10
	v_and_b32_e32 v12, 0x80000000, v12
	v_lshl_add_u32 v11, v11, 23, v13
	v_or3_b32 v10, v12, v11, v10
.LBB55_1412:
	s_or_b64 exec, exec, s[6:7]
	s_movk_i32 s4, 0x7f
	v_cmp_gt_i16_sdwa s[6:7], v2, s4 src0_sel:BYTE_0 src1_sel:DWORD
	s_mov_b64 s[4:5], 0
                                        ; implicit-def: $sgpr10
	s_and_saveexec_b64 s[8:9], s[6:7]
	s_xor_b64 s[6:7], exec, s[8:9]
	s_cbranch_execnz .LBB55_3461
; %bb.1413:
	s_or_saveexec_b64 s[6:7], s[6:7]
	v_mov_b32_e32 v11, s10
	s_xor_b64 exec, exec, s[6:7]
	s_cbranch_execnz .LBB55_3464
.LBB55_1414:
	s_or_b64 exec, exec, s[6:7]
	s_and_saveexec_b64 s[6:7], s[4:5]
	s_cbranch_execz .LBB55_1416
.LBB55_1415:
	v_and_b32_e32 v11, 7, v2
	v_ffbh_u32_e32 v13, v11
	v_min_u32_e32 v13, 32, v13
	v_lshrrev_b16_e32 v12, 3, v2
	v_subrev_u32_e32 v14, 28, v13
	v_and_b32_e32 v12, 15, v12
	v_lshlrev_b32_e32 v14, v14, v2
	v_sub_u32_e32 v13, 29, v13
	v_and_b32_e32 v14, 7, v14
	v_cmp_eq_u16_e32 vcc, 0, v12
	v_cndmask_b32_e32 v11, v11, v14, vcc
	v_cndmask_b32_e32 v12, v12, v13, vcc
	v_lshlrev_b32_e32 v13, 24, v2
	v_mov_b32_e32 v14, 0x3b800000
	v_lshlrev_b32_e32 v11, 20, v11
	v_and_b32_e32 v13, 0x80000000, v13
	v_lshl_add_u32 v12, v12, 23, v14
	v_or3_b32 v11, v13, v12, v11
.LBB55_1416:
	s_or_b64 exec, exec, s[6:7]
	s_nop 0
	v_mfma_f32_16x16x4f32 a[0:3], v10, v11, a[0:3]
	v_lshrrev_b32_e32 v11, 8, v6
	s_movk_i32 s4, 0x7f
	v_cmp_gt_i16_sdwa s[6:7], v11, s4 src0_sel:BYTE_0 src1_sel:DWORD
	s_mov_b64 s[4:5], 0
                                        ; implicit-def: $sgpr10
	s_and_saveexec_b64 s[8:9], s[6:7]
	s_xor_b64 s[6:7], exec, s[8:9]
	s_cbranch_execnz .LBB55_3465
; %bb.1417:
	s_or_saveexec_b64 s[6:7], s[6:7]
	v_mov_b32_e32 v10, s10
	s_xor_b64 exec, exec, s[6:7]
	s_cbranch_execnz .LBB55_3468
.LBB55_1418:
	s_or_b64 exec, exec, s[6:7]
	s_and_saveexec_b64 s[6:7], s[4:5]
	s_cbranch_execz .LBB55_1420
.LBB55_1419:
	v_bfe_u32 v10, v6, 8, 3
	v_ffbh_u32_e32 v13, v10
	v_min_u32_e32 v13, 32, v13
	v_lshrrev_b16_e32 v12, 3, v11
	v_subrev_u32_e32 v14, 28, v13
	v_and_b32_e32 v12, 15, v12
	v_lshlrev_b32_e32 v11, v14, v11
	v_sub_u32_e32 v13, 29, v13
	v_and_b32_e32 v11, 7, v11
	v_cmp_eq_u16_e32 vcc, 0, v12
	v_cndmask_b32_e32 v10, v10, v11, vcc
	v_cndmask_b32_e32 v11, v12, v13, vcc
	v_lshlrev_b32_e32 v12, 16, v6
	v_mov_b32_e32 v13, 0x3b800000
	v_lshlrev_b32_e32 v10, 20, v10
	v_and_b32_e32 v12, 0x80000000, v12
	v_lshl_add_u32 v11, v11, 23, v13
	v_or3_b32 v10, v12, v11, v10
.LBB55_1420:
	s_or_b64 exec, exec, s[6:7]
	v_lshrrev_b32_e32 v11, 8, v2
	s_movk_i32 s4, 0x7f
	v_cmp_gt_i16_sdwa s[6:7], v11, s4 src0_sel:BYTE_0 src1_sel:DWORD
	s_mov_b64 s[4:5], 0
                                        ; implicit-def: $sgpr10
	s_and_saveexec_b64 s[8:9], s[6:7]
	s_xor_b64 s[6:7], exec, s[8:9]
	s_cbranch_execnz .LBB55_3469
; %bb.1421:
	s_or_saveexec_b64 s[6:7], s[6:7]
	v_mov_b32_e32 v12, s10
	s_xor_b64 exec, exec, s[6:7]
	s_cbranch_execnz .LBB55_3472
.LBB55_1422:
	s_or_b64 exec, exec, s[6:7]
	s_and_saveexec_b64 s[6:7], s[4:5]
	s_cbranch_execz .LBB55_1424
.LBB55_1423:
	v_bfe_u32 v12, v2, 8, 3
	v_ffbh_u32_e32 v14, v12
	v_min_u32_e32 v14, 32, v14
	v_lshrrev_b16_e32 v13, 3, v11
	v_subrev_u32_e32 v15, 28, v14
	v_and_b32_e32 v13, 15, v13
	v_lshlrev_b32_e32 v11, v15, v11
	v_sub_u32_e32 v14, 29, v14
	v_and_b32_e32 v11, 7, v11
	v_cmp_eq_u16_e32 vcc, 0, v13
	v_cndmask_b32_e32 v11, v12, v11, vcc
	v_cndmask_b32_e32 v12, v13, v14, vcc
	v_lshlrev_b32_e32 v13, 16, v2
	v_mov_b32_e32 v14, 0x3b800000
	v_lshlrev_b32_e32 v11, 20, v11
	v_and_b32_e32 v13, 0x80000000, v13
	v_lshl_add_u32 v12, v12, 23, v14
	v_or3_b32 v12, v13, v12, v11
.LBB55_1424:
	s_or_b64 exec, exec, s[6:7]
	s_nop 0
	v_mfma_f32_16x16x4f32 a[0:3], v10, v12, a[0:3]
	s_movk_i32 s4, 0xff
	v_and_b32_sdwa v11, v6, s4 dst_sel:DWORD dst_unused:UNUSED_PAD src0_sel:WORD_1 src1_sel:DWORD
	s_movk_i32 s4, 0x7f
	v_cmp_lt_i16_e32 vcc, s4, v11
	s_mov_b64 s[4:5], 0
                                        ; implicit-def: $sgpr10
	s_and_saveexec_b64 s[6:7], vcc
	s_xor_b64 s[6:7], exec, s[6:7]
	s_cbranch_execnz .LBB55_3473
; %bb.1425:
	s_or_saveexec_b64 s[6:7], s[6:7]
	v_mov_b32_e32 v10, s10
	s_xor_b64 exec, exec, s[6:7]
	s_cbranch_execnz .LBB55_3476
.LBB55_1426:
	s_or_b64 exec, exec, s[6:7]
	s_and_saveexec_b64 s[6:7], s[4:5]
	s_cbranch_execz .LBB55_1428
.LBB55_1427:
	v_bfe_u32 v10, v6, 16, 3
	v_ffbh_u32_e32 v13, v10
	v_min_u32_e32 v13, 32, v13
	v_lshrrev_b32_e32 v11, 19, v6
	v_subrev_u32_e32 v14, 28, v13
	v_and_b32_e32 v11, 15, v11
	v_lshlrev_b32_sdwa v14, v14, v6 dst_sel:DWORD dst_unused:UNUSED_PAD src0_sel:DWORD src1_sel:WORD_1
	v_bfe_u32 v12, v6, 19, 4
	v_sub_u32_e32 v13, 29, v13
	v_and_b32_e32 v14, 7, v14
	v_cmp_eq_u16_e32 vcc, 0, v11
	v_cndmask_b32_e32 v10, v10, v14, vcc
	v_cndmask_b32_e32 v11, v12, v13, vcc
	v_lshlrev_b32_e32 v12, 8, v6
	v_mov_b32_e32 v13, 0x3b800000
	v_lshlrev_b32_e32 v10, 20, v10
	v_and_b32_e32 v12, 0x80000000, v12
	v_lshl_add_u32 v11, v11, 23, v13
	v_or3_b32 v10, v12, v11, v10
.LBB55_1428:
	s_or_b64 exec, exec, s[6:7]
	s_movk_i32 s4, 0xff
	v_and_b32_sdwa v11, v2, s4 dst_sel:DWORD dst_unused:UNUSED_PAD src0_sel:WORD_1 src1_sel:DWORD
	s_movk_i32 s4, 0x7f
	v_cmp_lt_i16_e32 vcc, s4, v11
	s_mov_b64 s[4:5], 0
                                        ; implicit-def: $sgpr10
	s_and_saveexec_b64 s[6:7], vcc
	s_xor_b64 s[6:7], exec, s[6:7]
	s_cbranch_execnz .LBB55_3477
; %bb.1429:
	s_or_saveexec_b64 s[6:7], s[6:7]
	v_mov_b32_e32 v12, s10
	s_xor_b64 exec, exec, s[6:7]
	s_cbranch_execnz .LBB55_3480
.LBB55_1430:
	s_or_b64 exec, exec, s[6:7]
	s_and_saveexec_b64 s[6:7], s[4:5]
	s_cbranch_execz .LBB55_1432
.LBB55_1431:
	v_bfe_u32 v11, v2, 16, 3
	v_ffbh_u32_e32 v14, v11
	v_min_u32_e32 v14, 32, v14
	v_lshrrev_b32_e32 v12, 19, v2
	v_subrev_u32_e32 v15, 28, v14
	v_and_b32_e32 v12, 15, v12
	v_lshlrev_b32_sdwa v15, v15, v2 dst_sel:DWORD dst_unused:UNUSED_PAD src0_sel:DWORD src1_sel:WORD_1
	v_bfe_u32 v13, v2, 19, 4
	v_sub_u32_e32 v14, 29, v14
	v_and_b32_e32 v15, 7, v15
	v_cmp_eq_u16_e32 vcc, 0, v12
	v_cndmask_b32_e32 v11, v11, v15, vcc
	v_cndmask_b32_e32 v12, v13, v14, vcc
	v_lshlrev_b32_e32 v13, 8, v2
	v_mov_b32_e32 v14, 0x3b800000
	v_lshlrev_b32_e32 v11, 20, v11
	v_and_b32_e32 v13, 0x80000000, v13
	v_lshl_add_u32 v12, v12, 23, v14
	v_or3_b32 v12, v13, v12, v11
.LBB55_1432:
	s_or_b64 exec, exec, s[6:7]
	s_nop 0
	v_mfma_f32_16x16x4f32 a[0:3], v10, v12, a[0:3]
	s_movk_i32 s4, 0x7f
	v_cmp_gt_i16_sdwa s[6:7], v6, s4 src0_sel:BYTE_3 src1_sel:DWORD
	s_mov_b64 s[4:5], 0
                                        ; implicit-def: $sgpr10
	s_and_saveexec_b64 s[8:9], s[6:7]
	s_xor_b64 s[6:7], exec, s[8:9]
	s_cbranch_execnz .LBB55_3481
; %bb.1433:
	s_or_saveexec_b64 s[6:7], s[6:7]
	v_mov_b32_e32 v10, s10
	s_xor_b64 exec, exec, s[6:7]
	s_cbranch_execnz .LBB55_3484
.LBB55_1434:
	s_or_b64 exec, exec, s[6:7]
	s_and_saveexec_b64 s[6:7], s[4:5]
	s_cbranch_execz .LBB55_1436
.LBB55_1435:
	v_bfe_u32 v10, v6, 24, 3
	v_ffbh_u32_e32 v14, v10
	v_min_u32_e32 v14, 32, v14
	v_lshrrev_b32_e32 v12, 27, v6
	v_subrev_u32_e32 v15, 28, v14
	v_and_b32_e32 v11, 0x80000000, v6
	v_and_b32_e32 v12, 15, v12
	v_bfe_u32 v13, v6, 27, 4
	v_lshlrev_b32_sdwa v6, v15, v6 dst_sel:DWORD dst_unused:UNUSED_PAD src0_sel:DWORD src1_sel:BYTE_3
	v_sub_u32_e32 v14, 29, v14
	v_and_b32_e32 v6, 7, v6
	v_cmp_eq_u16_e32 vcc, 0, v12
	v_cndmask_b32_e32 v6, v10, v6, vcc
	v_cndmask_b32_e32 v10, v13, v14, vcc
	v_mov_b32_e32 v12, 0x3b800000
	v_lshlrev_b32_e32 v6, 20, v6
	v_lshl_add_u32 v10, v10, 23, v12
	v_or3_b32 v10, v11, v10, v6
.LBB55_1436:
	s_or_b64 exec, exec, s[6:7]
	s_movk_i32 s4, 0x7f
	v_cmp_gt_i16_sdwa s[6:7], v2, s4 src0_sel:BYTE_3 src1_sel:DWORD
	s_mov_b64 s[4:5], 0
                                        ; implicit-def: $sgpr10
	s_and_saveexec_b64 s[8:9], s[6:7]
	s_xor_b64 s[6:7], exec, s[8:9]
	s_cbranch_execnz .LBB55_3485
; %bb.1437:
	s_or_saveexec_b64 s[6:7], s[6:7]
	v_mov_b32_e32 v6, s10
	s_xor_b64 exec, exec, s[6:7]
	s_cbranch_execnz .LBB55_3488
.LBB55_1438:
	s_or_b64 exec, exec, s[6:7]
	s_and_saveexec_b64 s[6:7], s[4:5]
	s_cbranch_execz .LBB55_1440
.LBB55_1439:
	v_bfe_u32 v6, v2, 24, 3
	v_ffbh_u32_e32 v14, v6
	v_min_u32_e32 v14, 32, v14
	v_lshrrev_b32_e32 v12, 27, v2
	v_subrev_u32_e32 v15, 28, v14
	v_and_b32_e32 v11, 0x80000000, v2
	v_and_b32_e32 v12, 15, v12
	v_bfe_u32 v13, v2, 27, 4
	v_lshlrev_b32_sdwa v2, v15, v2 dst_sel:DWORD dst_unused:UNUSED_PAD src0_sel:DWORD src1_sel:BYTE_3
	v_sub_u32_e32 v14, 29, v14
	v_and_b32_e32 v2, 7, v2
	v_cmp_eq_u16_e32 vcc, 0, v12
	v_cndmask_b32_e32 v2, v6, v2, vcc
	v_cndmask_b32_e32 v6, v13, v14, vcc
	v_mov_b32_e32 v12, 0x3b800000
	v_lshlrev_b32_e32 v2, 20, v2
	v_lshl_add_u32 v6, v6, 23, v12
	v_or3_b32 v6, v11, v6, v2
.LBB55_1440:
	s_or_b64 exec, exec, s[6:7]
	s_nop 0
	v_mfma_f32_16x16x4f32 a[0:3], v10, v6, a[0:3]
	s_movk_i32 s4, 0x7f
	v_cmp_gt_i16_sdwa s[6:7], v7, s4 src0_sel:BYTE_0 src1_sel:DWORD
	s_mov_b64 s[4:5], 0
                                        ; implicit-def: $sgpr10
	s_and_saveexec_b64 s[8:9], s[6:7]
	s_xor_b64 s[6:7], exec, s[8:9]
	s_cbranch_execnz .LBB55_3489
; %bb.1441:
	s_or_saveexec_b64 s[6:7], s[6:7]
	v_mov_b32_e32 v2, s10
	s_xor_b64 exec, exec, s[6:7]
	s_cbranch_execnz .LBB55_3492
.LBB55_1442:
	s_or_b64 exec, exec, s[6:7]
	s_and_saveexec_b64 s[6:7], s[4:5]
	s_cbranch_execz .LBB55_1444
.LBB55_1443:
	v_and_b32_e32 v2, 7, v7
	v_ffbh_u32_e32 v10, v2
	v_min_u32_e32 v10, 32, v10
	v_lshrrev_b16_e32 v6, 3, v7
	v_subrev_u32_e32 v11, 28, v10
	v_and_b32_e32 v6, 15, v6
	v_lshlrev_b32_e32 v11, v11, v7
	v_sub_u32_e32 v10, 29, v10
	v_and_b32_e32 v11, 7, v11
	v_cmp_eq_u16_e32 vcc, 0, v6
	v_cndmask_b32_e32 v2, v2, v11, vcc
	v_cndmask_b32_e32 v6, v6, v10, vcc
	v_lshlrev_b32_e32 v10, 24, v7
	v_mov_b32_e32 v11, 0x3b800000
	v_lshlrev_b32_e32 v2, 20, v2
	v_and_b32_e32 v10, 0x80000000, v10
	v_lshl_add_u32 v6, v6, 23, v11
	v_or3_b32 v2, v10, v6, v2
.LBB55_1444:
	s_or_b64 exec, exec, s[6:7]
	s_movk_i32 s4, 0x7f
	v_cmp_gt_i16_sdwa s[6:7], v3, s4 src0_sel:BYTE_0 src1_sel:DWORD
	s_mov_b64 s[4:5], 0
                                        ; implicit-def: $sgpr10
	s_and_saveexec_b64 s[8:9], s[6:7]
	s_xor_b64 s[6:7], exec, s[8:9]
	s_cbranch_execnz .LBB55_3493
; %bb.1445:
	s_or_saveexec_b64 s[6:7], s[6:7]
	v_mov_b32_e32 v6, s10
	s_xor_b64 exec, exec, s[6:7]
	s_cbranch_execnz .LBB55_3496
.LBB55_1446:
	s_or_b64 exec, exec, s[6:7]
	s_and_saveexec_b64 s[6:7], s[4:5]
	s_cbranch_execz .LBB55_1448
.LBB55_1447:
	v_and_b32_e32 v6, 7, v3
	v_ffbh_u32_e32 v11, v6
	v_min_u32_e32 v11, 32, v11
	v_lshrrev_b16_e32 v10, 3, v3
	v_subrev_u32_e32 v12, 28, v11
	v_and_b32_e32 v10, 15, v10
	v_lshlrev_b32_e32 v12, v12, v3
	v_sub_u32_e32 v11, 29, v11
	v_and_b32_e32 v12, 7, v12
	v_cmp_eq_u16_e32 vcc, 0, v10
	v_cndmask_b32_e32 v6, v6, v12, vcc
	v_cndmask_b32_e32 v10, v10, v11, vcc
	v_lshlrev_b32_e32 v11, 24, v3
	v_mov_b32_e32 v12, 0x3b800000
	v_lshlrev_b32_e32 v6, 20, v6
	v_and_b32_e32 v11, 0x80000000, v11
	v_lshl_add_u32 v10, v10, 23, v12
	v_or3_b32 v6, v11, v10, v6
.LBB55_1448:
	s_or_b64 exec, exec, s[6:7]
	s_nop 0
	v_mfma_f32_16x16x4f32 a[0:3], v2, v6, a[0:3]
	v_lshrrev_b32_e32 v6, 8, v7
	s_movk_i32 s4, 0x7f
	v_cmp_gt_i16_sdwa s[6:7], v6, s4 src0_sel:BYTE_0 src1_sel:DWORD
	s_mov_b64 s[4:5], 0
                                        ; implicit-def: $sgpr10
	s_and_saveexec_b64 s[8:9], s[6:7]
	s_xor_b64 s[6:7], exec, s[8:9]
	s_cbranch_execnz .LBB55_3497
; %bb.1449:
	s_or_saveexec_b64 s[6:7], s[6:7]
	v_mov_b32_e32 v2, s10
	s_xor_b64 exec, exec, s[6:7]
	s_cbranch_execnz .LBB55_3500
.LBB55_1450:
	s_or_b64 exec, exec, s[6:7]
	s_and_saveexec_b64 s[6:7], s[4:5]
	s_cbranch_execz .LBB55_1452
.LBB55_1451:
	v_bfe_u32 v2, v7, 8, 3
	v_ffbh_u32_e32 v11, v2
	v_min_u32_e32 v11, 32, v11
	v_lshrrev_b16_e32 v10, 3, v6
	v_subrev_u32_e32 v12, 28, v11
	v_and_b32_e32 v10, 15, v10
	v_lshlrev_b32_e32 v6, v12, v6
	v_sub_u32_e32 v11, 29, v11
	v_and_b32_e32 v6, 7, v6
	v_cmp_eq_u16_e32 vcc, 0, v10
	v_cndmask_b32_e32 v2, v2, v6, vcc
	v_cndmask_b32_e32 v6, v10, v11, vcc
	v_lshlrev_b32_e32 v10, 16, v7
	v_mov_b32_e32 v11, 0x3b800000
	v_lshlrev_b32_e32 v2, 20, v2
	v_and_b32_e32 v10, 0x80000000, v10
	v_lshl_add_u32 v6, v6, 23, v11
	v_or3_b32 v2, v10, v6, v2
.LBB55_1452:
	s_or_b64 exec, exec, s[6:7]
	v_lshrrev_b32_e32 v6, 8, v3
	s_movk_i32 s4, 0x7f
	v_cmp_gt_i16_sdwa s[6:7], v6, s4 src0_sel:BYTE_0 src1_sel:DWORD
	s_mov_b64 s[4:5], 0
                                        ; implicit-def: $sgpr10
	s_and_saveexec_b64 s[8:9], s[6:7]
	s_xor_b64 s[6:7], exec, s[8:9]
	s_cbranch_execnz .LBB55_3501
; %bb.1453:
	s_or_saveexec_b64 s[6:7], s[6:7]
	v_mov_b32_e32 v10, s10
	s_xor_b64 exec, exec, s[6:7]
	s_cbranch_execnz .LBB55_3504
.LBB55_1454:
	s_or_b64 exec, exec, s[6:7]
	s_and_saveexec_b64 s[6:7], s[4:5]
	s_cbranch_execz .LBB55_1456
.LBB55_1455:
	v_bfe_u32 v10, v3, 8, 3
	v_ffbh_u32_e32 v12, v10
	v_min_u32_e32 v12, 32, v12
	v_lshrrev_b16_e32 v11, 3, v6
	v_subrev_u32_e32 v13, 28, v12
	v_and_b32_e32 v11, 15, v11
	v_lshlrev_b32_e32 v6, v13, v6
	v_sub_u32_e32 v12, 29, v12
	v_and_b32_e32 v6, 7, v6
	v_cmp_eq_u16_e32 vcc, 0, v11
	v_cndmask_b32_e32 v6, v10, v6, vcc
	v_cndmask_b32_e32 v10, v11, v12, vcc
	v_lshlrev_b32_e32 v11, 16, v3
	v_mov_b32_e32 v12, 0x3b800000
	v_lshlrev_b32_e32 v6, 20, v6
	v_and_b32_e32 v11, 0x80000000, v11
	v_lshl_add_u32 v10, v10, 23, v12
	v_or3_b32 v10, v11, v10, v6
.LBB55_1456:
	s_or_b64 exec, exec, s[6:7]
	s_nop 0
	v_mfma_f32_16x16x4f32 a[0:3], v2, v10, a[0:3]
	s_movk_i32 s4, 0xff
	v_and_b32_sdwa v6, v7, s4 dst_sel:DWORD dst_unused:UNUSED_PAD src0_sel:WORD_1 src1_sel:DWORD
	s_movk_i32 s4, 0x7f
	v_cmp_lt_i16_e32 vcc, s4, v6
	s_mov_b64 s[4:5], 0
                                        ; implicit-def: $sgpr10
	s_and_saveexec_b64 s[6:7], vcc
	s_xor_b64 s[6:7], exec, s[6:7]
	s_cbranch_execnz .LBB55_3505
; %bb.1457:
	s_or_saveexec_b64 s[6:7], s[6:7]
	v_mov_b32_e32 v2, s10
	s_xor_b64 exec, exec, s[6:7]
	s_cbranch_execnz .LBB55_3508
.LBB55_1458:
	s_or_b64 exec, exec, s[6:7]
	s_and_saveexec_b64 s[6:7], s[4:5]
	s_cbranch_execz .LBB55_1460
.LBB55_1459:
	v_bfe_u32 v2, v7, 16, 3
	v_ffbh_u32_e32 v11, v2
	v_min_u32_e32 v11, 32, v11
	v_lshrrev_b32_e32 v6, 19, v7
	v_subrev_u32_e32 v12, 28, v11
	v_and_b32_e32 v6, 15, v6
	v_lshlrev_b32_sdwa v12, v12, v7 dst_sel:DWORD dst_unused:UNUSED_PAD src0_sel:DWORD src1_sel:WORD_1
	v_bfe_u32 v10, v7, 19, 4
	v_sub_u32_e32 v11, 29, v11
	v_and_b32_e32 v12, 7, v12
	v_cmp_eq_u16_e32 vcc, 0, v6
	v_cndmask_b32_e32 v2, v2, v12, vcc
	v_cndmask_b32_e32 v6, v10, v11, vcc
	v_lshlrev_b32_e32 v10, 8, v7
	v_mov_b32_e32 v11, 0x3b800000
	v_lshlrev_b32_e32 v2, 20, v2
	v_and_b32_e32 v10, 0x80000000, v10
	v_lshl_add_u32 v6, v6, 23, v11
	v_or3_b32 v2, v10, v6, v2
.LBB55_1460:
	s_or_b64 exec, exec, s[6:7]
	s_movk_i32 s4, 0xff
	v_and_b32_sdwa v6, v3, s4 dst_sel:DWORD dst_unused:UNUSED_PAD src0_sel:WORD_1 src1_sel:DWORD
	s_movk_i32 s4, 0x7f
	v_cmp_lt_i16_e32 vcc, s4, v6
	s_mov_b64 s[4:5], 0
                                        ; implicit-def: $sgpr10
	s_and_saveexec_b64 s[6:7], vcc
	s_xor_b64 s[6:7], exec, s[6:7]
	s_cbranch_execnz .LBB55_3509
; %bb.1461:
	s_or_saveexec_b64 s[6:7], s[6:7]
	v_mov_b32_e32 v10, s10
	s_xor_b64 exec, exec, s[6:7]
	s_cbranch_execnz .LBB55_3512
.LBB55_1462:
	s_or_b64 exec, exec, s[6:7]
	s_and_saveexec_b64 s[6:7], s[4:5]
	s_cbranch_execz .LBB55_1464
.LBB55_1463:
	v_bfe_u32 v6, v3, 16, 3
	v_ffbh_u32_e32 v12, v6
	v_min_u32_e32 v12, 32, v12
	v_lshrrev_b32_e32 v10, 19, v3
	v_subrev_u32_e32 v13, 28, v12
	v_and_b32_e32 v10, 15, v10
	v_lshlrev_b32_sdwa v13, v13, v3 dst_sel:DWORD dst_unused:UNUSED_PAD src0_sel:DWORD src1_sel:WORD_1
	v_bfe_u32 v11, v3, 19, 4
	v_sub_u32_e32 v12, 29, v12
	v_and_b32_e32 v13, 7, v13
	v_cmp_eq_u16_e32 vcc, 0, v10
	v_cndmask_b32_e32 v6, v6, v13, vcc
	v_cndmask_b32_e32 v10, v11, v12, vcc
	v_lshlrev_b32_e32 v11, 8, v3
	v_mov_b32_e32 v12, 0x3b800000
	v_lshlrev_b32_e32 v6, 20, v6
	v_and_b32_e32 v11, 0x80000000, v11
	v_lshl_add_u32 v10, v10, 23, v12
	v_or3_b32 v10, v11, v10, v6
.LBB55_1464:
	s_or_b64 exec, exec, s[6:7]
	s_nop 0
	v_mfma_f32_16x16x4f32 a[0:3], v2, v10, a[0:3]
	s_movk_i32 s4, 0x7f
	v_cmp_gt_i16_sdwa s[6:7], v7, s4 src0_sel:BYTE_3 src1_sel:DWORD
	s_mov_b64 s[4:5], 0
                                        ; implicit-def: $sgpr10
	s_and_saveexec_b64 s[8:9], s[6:7]
	s_xor_b64 s[6:7], exec, s[8:9]
	s_cbranch_execnz .LBB55_3513
; %bb.1465:
	s_or_saveexec_b64 s[6:7], s[6:7]
	v_mov_b32_e32 v2, s10
	s_xor_b64 exec, exec, s[6:7]
	s_cbranch_execnz .LBB55_3516
.LBB55_1466:
	s_or_b64 exec, exec, s[6:7]
	s_and_saveexec_b64 s[6:7], s[4:5]
	s_cbranch_execz .LBB55_1468
.LBB55_1467:
	v_bfe_u32 v2, v7, 24, 3
	v_ffbh_u32_e32 v12, v2
	v_min_u32_e32 v12, 32, v12
	v_lshrrev_b32_e32 v10, 27, v7
	v_subrev_u32_e32 v13, 28, v12
	v_and_b32_e32 v6, 0x80000000, v7
	v_and_b32_e32 v10, 15, v10
	v_bfe_u32 v11, v7, 27, 4
	v_lshlrev_b32_sdwa v7, v13, v7 dst_sel:DWORD dst_unused:UNUSED_PAD src0_sel:DWORD src1_sel:BYTE_3
	v_sub_u32_e32 v12, 29, v12
	v_and_b32_e32 v7, 7, v7
	v_cmp_eq_u16_e32 vcc, 0, v10
	v_cndmask_b32_e32 v2, v2, v7, vcc
	v_cndmask_b32_e32 v7, v11, v12, vcc
	v_mov_b32_e32 v10, 0x3b800000
	v_lshlrev_b32_e32 v2, 20, v2
	v_lshl_add_u32 v7, v7, 23, v10
	v_or3_b32 v2, v6, v7, v2
.LBB55_1468:
	s_or_b64 exec, exec, s[6:7]
	s_movk_i32 s4, 0x7f
	v_cmp_gt_i16_sdwa s[6:7], v3, s4 src0_sel:BYTE_3 src1_sel:DWORD
	s_mov_b64 s[4:5], 0
                                        ; implicit-def: $sgpr10
	s_and_saveexec_b64 s[8:9], s[6:7]
	s_xor_b64 s[6:7], exec, s[8:9]
	s_cbranch_execnz .LBB55_3517
; %bb.1469:
	s_or_saveexec_b64 s[6:7], s[6:7]
	v_mov_b32_e32 v6, s10
	s_xor_b64 exec, exec, s[6:7]
	s_cbranch_execnz .LBB55_3520
.LBB55_1470:
	s_or_b64 exec, exec, s[6:7]
	s_and_saveexec_b64 s[6:7], s[4:5]
	s_cbranch_execz .LBB55_1472
.LBB55_1471:
	v_bfe_u32 v6, v3, 24, 3
	v_ffbh_u32_e32 v12, v6
	v_min_u32_e32 v12, 32, v12
	v_lshrrev_b32_e32 v10, 27, v3
	v_subrev_u32_e32 v13, 28, v12
	v_and_b32_e32 v7, 0x80000000, v3
	v_and_b32_e32 v10, 15, v10
	v_bfe_u32 v11, v3, 27, 4
	v_lshlrev_b32_sdwa v3, v13, v3 dst_sel:DWORD dst_unused:UNUSED_PAD src0_sel:DWORD src1_sel:BYTE_3
	v_sub_u32_e32 v12, 29, v12
	v_and_b32_e32 v3, 7, v3
	v_cmp_eq_u16_e32 vcc, 0, v10
	v_cndmask_b32_e32 v3, v6, v3, vcc
	v_cndmask_b32_e32 v6, v11, v12, vcc
	v_mov_b32_e32 v10, 0x3b800000
	v_lshlrev_b32_e32 v3, 20, v3
	v_lshl_add_u32 v6, v6, 23, v10
	v_or3_b32 v6, v7, v6, v3
.LBB55_1472:
	s_or_b64 exec, exec, s[6:7]
	s_nop 0
	v_mfma_f32_16x16x4f32 a[0:3], v2, v6, a[0:3]
	s_movk_i32 s4, 0x7f
	v_cmp_gt_i16_sdwa s[6:7], v8, s4 src0_sel:BYTE_0 src1_sel:DWORD
	s_mov_b64 s[4:5], 0
                                        ; implicit-def: $sgpr10
	s_and_saveexec_b64 s[8:9], s[6:7]
	s_xor_b64 s[6:7], exec, s[8:9]
	s_cbranch_execnz .LBB55_3521
; %bb.1473:
	s_or_saveexec_b64 s[6:7], s[6:7]
	v_mov_b32_e32 v2, s10
	s_xor_b64 exec, exec, s[6:7]
	s_cbranch_execnz .LBB55_3524
.LBB55_1474:
	s_or_b64 exec, exec, s[6:7]
	s_and_saveexec_b64 s[6:7], s[4:5]
	s_cbranch_execz .LBB55_1476
.LBB55_1475:
	v_and_b32_e32 v2, 7, v8
	v_ffbh_u32_e32 v6, v2
	v_min_u32_e32 v6, 32, v6
	v_lshrrev_b16_e32 v3, 3, v8
	v_subrev_u32_e32 v7, 28, v6
	v_and_b32_e32 v3, 15, v3
	v_lshlrev_b32_e32 v7, v7, v8
	v_sub_u32_e32 v6, 29, v6
	v_and_b32_e32 v7, 7, v7
	v_cmp_eq_u16_e32 vcc, 0, v3
	v_cndmask_b32_e32 v2, v2, v7, vcc
	v_cndmask_b32_e32 v3, v3, v6, vcc
	v_lshlrev_b32_e32 v6, 24, v8
	v_mov_b32_e32 v7, 0x3b800000
	v_lshlrev_b32_e32 v2, 20, v2
	v_and_b32_e32 v6, 0x80000000, v6
	v_lshl_add_u32 v3, v3, 23, v7
	v_or3_b32 v2, v6, v3, v2
.LBB55_1476:
	s_or_b64 exec, exec, s[6:7]
	s_movk_i32 s4, 0x7f
	v_cmp_gt_i16_sdwa s[6:7], v4, s4 src0_sel:BYTE_0 src1_sel:DWORD
	s_mov_b64 s[4:5], 0
                                        ; implicit-def: $sgpr10
	s_and_saveexec_b64 s[8:9], s[6:7]
	s_xor_b64 s[6:7], exec, s[8:9]
	s_cbranch_execnz .LBB55_3525
; %bb.1477:
	s_or_saveexec_b64 s[6:7], s[6:7]
	v_mov_b32_e32 v3, s10
	s_xor_b64 exec, exec, s[6:7]
	s_cbranch_execnz .LBB55_3528
.LBB55_1478:
	s_or_b64 exec, exec, s[6:7]
	s_and_saveexec_b64 s[6:7], s[4:5]
	s_cbranch_execz .LBB55_1480
.LBB55_1479:
	v_and_b32_e32 v3, 7, v4
	v_ffbh_u32_e32 v7, v3
	v_min_u32_e32 v7, 32, v7
	v_lshrrev_b16_e32 v6, 3, v4
	v_subrev_u32_e32 v10, 28, v7
	v_and_b32_e32 v6, 15, v6
	v_lshlrev_b32_e32 v10, v10, v4
	v_sub_u32_e32 v7, 29, v7
	v_and_b32_e32 v10, 7, v10
	v_cmp_eq_u16_e32 vcc, 0, v6
	v_cndmask_b32_e32 v3, v3, v10, vcc
	v_cndmask_b32_e32 v6, v6, v7, vcc
	v_lshlrev_b32_e32 v7, 24, v4
	v_mov_b32_e32 v10, 0x3b800000
	v_lshlrev_b32_e32 v3, 20, v3
	v_and_b32_e32 v7, 0x80000000, v7
	v_lshl_add_u32 v6, v6, 23, v10
	v_or3_b32 v3, v7, v6, v3
.LBB55_1480:
	s_or_b64 exec, exec, s[6:7]
	s_nop 0
	v_mfma_f32_16x16x4f32 a[0:3], v2, v3, a[0:3]
	v_lshrrev_b32_e32 v3, 8, v8
	s_movk_i32 s4, 0x7f
	v_cmp_gt_i16_sdwa s[6:7], v3, s4 src0_sel:BYTE_0 src1_sel:DWORD
	s_mov_b64 s[4:5], 0
                                        ; implicit-def: $sgpr10
	s_and_saveexec_b64 s[8:9], s[6:7]
	s_xor_b64 s[6:7], exec, s[8:9]
	s_cbranch_execnz .LBB55_3529
; %bb.1481:
	s_or_saveexec_b64 s[6:7], s[6:7]
	v_mov_b32_e32 v2, s10
	s_xor_b64 exec, exec, s[6:7]
	s_cbranch_execnz .LBB55_3532
.LBB55_1482:
	s_or_b64 exec, exec, s[6:7]
	s_and_saveexec_b64 s[6:7], s[4:5]
	s_cbranch_execz .LBB55_1484
.LBB55_1483:
	v_bfe_u32 v2, v8, 8, 3
	v_ffbh_u32_e32 v7, v2
	v_min_u32_e32 v7, 32, v7
	v_lshrrev_b16_e32 v6, 3, v3
	v_subrev_u32_e32 v10, 28, v7
	v_and_b32_e32 v6, 15, v6
	v_lshlrev_b32_e32 v3, v10, v3
	v_sub_u32_e32 v7, 29, v7
	v_and_b32_e32 v3, 7, v3
	v_cmp_eq_u16_e32 vcc, 0, v6
	v_cndmask_b32_e32 v2, v2, v3, vcc
	v_cndmask_b32_e32 v3, v6, v7, vcc
	v_lshlrev_b32_e32 v6, 16, v8
	v_mov_b32_e32 v7, 0x3b800000
	v_lshlrev_b32_e32 v2, 20, v2
	v_and_b32_e32 v6, 0x80000000, v6
	v_lshl_add_u32 v3, v3, 23, v7
	v_or3_b32 v2, v6, v3, v2
.LBB55_1484:
	s_or_b64 exec, exec, s[6:7]
	v_lshrrev_b32_e32 v3, 8, v4
	s_movk_i32 s4, 0x7f
	v_cmp_gt_i16_sdwa s[6:7], v3, s4 src0_sel:BYTE_0 src1_sel:DWORD
	s_mov_b64 s[4:5], 0
                                        ; implicit-def: $sgpr10
	s_and_saveexec_b64 s[8:9], s[6:7]
	s_xor_b64 s[6:7], exec, s[8:9]
	s_cbranch_execnz .LBB55_3533
; %bb.1485:
	s_or_saveexec_b64 s[6:7], s[6:7]
	v_mov_b32_e32 v6, s10
	s_xor_b64 exec, exec, s[6:7]
	s_cbranch_execnz .LBB55_3536
.LBB55_1486:
	s_or_b64 exec, exec, s[6:7]
	s_and_saveexec_b64 s[6:7], s[4:5]
	s_cbranch_execz .LBB55_1488
.LBB55_1487:
	v_bfe_u32 v6, v4, 8, 3
	v_ffbh_u32_e32 v10, v6
	v_min_u32_e32 v10, 32, v10
	v_lshrrev_b16_e32 v7, 3, v3
	v_subrev_u32_e32 v11, 28, v10
	v_and_b32_e32 v7, 15, v7
	v_lshlrev_b32_e32 v3, v11, v3
	v_sub_u32_e32 v10, 29, v10
	v_and_b32_e32 v3, 7, v3
	v_cmp_eq_u16_e32 vcc, 0, v7
	v_cndmask_b32_e32 v3, v6, v3, vcc
	v_cndmask_b32_e32 v6, v7, v10, vcc
	v_lshlrev_b32_e32 v7, 16, v4
	v_mov_b32_e32 v10, 0x3b800000
	v_lshlrev_b32_e32 v3, 20, v3
	v_and_b32_e32 v7, 0x80000000, v7
	v_lshl_add_u32 v6, v6, 23, v10
	v_or3_b32 v6, v7, v6, v3
.LBB55_1488:
	s_or_b64 exec, exec, s[6:7]
	s_nop 0
	v_mfma_f32_16x16x4f32 a[0:3], v2, v6, a[0:3]
	s_movk_i32 s4, 0xff
	v_and_b32_sdwa v3, v8, s4 dst_sel:DWORD dst_unused:UNUSED_PAD src0_sel:WORD_1 src1_sel:DWORD
	s_movk_i32 s4, 0x7f
	v_cmp_lt_i16_e32 vcc, s4, v3
	s_mov_b64 s[4:5], 0
                                        ; implicit-def: $sgpr10
	s_and_saveexec_b64 s[6:7], vcc
	s_xor_b64 s[6:7], exec, s[6:7]
	s_cbranch_execnz .LBB55_3537
; %bb.1489:
	s_or_saveexec_b64 s[6:7], s[6:7]
	v_mov_b32_e32 v2, s10
	s_xor_b64 exec, exec, s[6:7]
	s_cbranch_execnz .LBB55_3540
.LBB55_1490:
	s_or_b64 exec, exec, s[6:7]
	s_and_saveexec_b64 s[6:7], s[4:5]
	s_cbranch_execz .LBB55_1492
.LBB55_1491:
	v_bfe_u32 v2, v8, 16, 3
	v_ffbh_u32_e32 v7, v2
	v_min_u32_e32 v7, 32, v7
	v_lshrrev_b32_e32 v3, 19, v8
	v_subrev_u32_e32 v10, 28, v7
	v_and_b32_e32 v3, 15, v3
	v_lshlrev_b32_sdwa v10, v10, v8 dst_sel:DWORD dst_unused:UNUSED_PAD src0_sel:DWORD src1_sel:WORD_1
	v_bfe_u32 v6, v8, 19, 4
	v_sub_u32_e32 v7, 29, v7
	v_and_b32_e32 v10, 7, v10
	v_cmp_eq_u16_e32 vcc, 0, v3
	v_cndmask_b32_e32 v2, v2, v10, vcc
	v_cndmask_b32_e32 v3, v6, v7, vcc
	v_lshlrev_b32_e32 v6, 8, v8
	v_mov_b32_e32 v7, 0x3b800000
	v_lshlrev_b32_e32 v2, 20, v2
	v_and_b32_e32 v6, 0x80000000, v6
	v_lshl_add_u32 v3, v3, 23, v7
	v_or3_b32 v2, v6, v3, v2
.LBB55_1492:
	s_or_b64 exec, exec, s[6:7]
	s_movk_i32 s4, 0xff
	v_and_b32_sdwa v3, v4, s4 dst_sel:DWORD dst_unused:UNUSED_PAD src0_sel:WORD_1 src1_sel:DWORD
	s_movk_i32 s4, 0x7f
	v_cmp_lt_i16_e32 vcc, s4, v3
	s_mov_b64 s[4:5], 0
                                        ; implicit-def: $sgpr10
	s_and_saveexec_b64 s[6:7], vcc
	s_xor_b64 s[6:7], exec, s[6:7]
	s_cbranch_execnz .LBB55_3541
; %bb.1493:
	s_or_saveexec_b64 s[6:7], s[6:7]
	v_mov_b32_e32 v6, s10
	s_xor_b64 exec, exec, s[6:7]
	s_cbranch_execnz .LBB55_3544
.LBB55_1494:
	s_or_b64 exec, exec, s[6:7]
	s_and_saveexec_b64 s[6:7], s[4:5]
	s_cbranch_execz .LBB55_1496
.LBB55_1495:
	v_bfe_u32 v3, v4, 16, 3
	v_ffbh_u32_e32 v10, v3
	v_min_u32_e32 v10, 32, v10
	v_lshrrev_b32_e32 v6, 19, v4
	v_subrev_u32_e32 v11, 28, v10
	v_and_b32_e32 v6, 15, v6
	v_lshlrev_b32_sdwa v11, v11, v4 dst_sel:DWORD dst_unused:UNUSED_PAD src0_sel:DWORD src1_sel:WORD_1
	v_bfe_u32 v7, v4, 19, 4
	v_sub_u32_e32 v10, 29, v10
	v_and_b32_e32 v11, 7, v11
	v_cmp_eq_u16_e32 vcc, 0, v6
	v_cndmask_b32_e32 v3, v3, v11, vcc
	v_cndmask_b32_e32 v6, v7, v10, vcc
	v_lshlrev_b32_e32 v7, 8, v4
	v_mov_b32_e32 v10, 0x3b800000
	v_lshlrev_b32_e32 v3, 20, v3
	v_and_b32_e32 v7, 0x80000000, v7
	v_lshl_add_u32 v6, v6, 23, v10
	v_or3_b32 v6, v7, v6, v3
.LBB55_1496:
	s_or_b64 exec, exec, s[6:7]
	s_nop 0
	v_mfma_f32_16x16x4f32 a[0:3], v2, v6, a[0:3]
	s_movk_i32 s4, 0x7f
	v_cmp_gt_i16_sdwa s[6:7], v8, s4 src0_sel:BYTE_3 src1_sel:DWORD
	s_mov_b64 s[4:5], 0
                                        ; implicit-def: $sgpr10
	s_and_saveexec_b64 s[8:9], s[6:7]
	s_xor_b64 s[6:7], exec, s[8:9]
	s_cbranch_execnz .LBB55_3545
; %bb.1497:
	s_or_saveexec_b64 s[6:7], s[6:7]
	v_mov_b32_e32 v2, s10
	s_xor_b64 exec, exec, s[6:7]
	s_cbranch_execnz .LBB55_3548
.LBB55_1498:
	s_or_b64 exec, exec, s[6:7]
	s_and_saveexec_b64 s[6:7], s[4:5]
	s_cbranch_execz .LBB55_1500
.LBB55_1499:
	v_bfe_u32 v2, v8, 24, 3
	v_ffbh_u32_e32 v10, v2
	v_min_u32_e32 v10, 32, v10
	v_lshrrev_b32_e32 v6, 27, v8
	v_subrev_u32_e32 v11, 28, v10
	v_and_b32_e32 v3, 0x80000000, v8
	v_and_b32_e32 v6, 15, v6
	v_bfe_u32 v7, v8, 27, 4
	v_lshlrev_b32_sdwa v8, v11, v8 dst_sel:DWORD dst_unused:UNUSED_PAD src0_sel:DWORD src1_sel:BYTE_3
	v_sub_u32_e32 v10, 29, v10
	v_and_b32_e32 v8, 7, v8
	v_cmp_eq_u16_e32 vcc, 0, v6
	v_cndmask_b32_e32 v2, v2, v8, vcc
	v_cndmask_b32_e32 v6, v7, v10, vcc
	v_mov_b32_e32 v7, 0x3b800000
	v_lshlrev_b32_e32 v2, 20, v2
	v_lshl_add_u32 v6, v6, 23, v7
	v_or3_b32 v2, v3, v6, v2
.LBB55_1500:
	s_or_b64 exec, exec, s[6:7]
	s_movk_i32 s4, 0x7f
	v_cmp_gt_i16_sdwa s[6:7], v4, s4 src0_sel:BYTE_3 src1_sel:DWORD
	s_mov_b64 s[4:5], 0
                                        ; implicit-def: $sgpr10
	s_and_saveexec_b64 s[8:9], s[6:7]
	s_xor_b64 s[6:7], exec, s[8:9]
	s_cbranch_execnz .LBB55_3549
; %bb.1501:
	s_or_saveexec_b64 s[6:7], s[6:7]
	v_mov_b32_e32 v3, s10
	s_xor_b64 exec, exec, s[6:7]
	s_cbranch_execnz .LBB55_3552
.LBB55_1502:
	s_or_b64 exec, exec, s[6:7]
	s_and_saveexec_b64 s[6:7], s[4:5]
	s_cbranch_execz .LBB55_1504
.LBB55_1503:
	v_bfe_u32 v3, v4, 24, 3
	v_ffbh_u32_e32 v10, v3
	v_min_u32_e32 v10, 32, v10
	v_lshrrev_b32_e32 v7, 27, v4
	v_subrev_u32_e32 v11, 28, v10
	v_and_b32_e32 v6, 0x80000000, v4
	v_and_b32_e32 v7, 15, v7
	v_bfe_u32 v8, v4, 27, 4
	v_lshlrev_b32_sdwa v4, v11, v4 dst_sel:DWORD dst_unused:UNUSED_PAD src0_sel:DWORD src1_sel:BYTE_3
	v_sub_u32_e32 v10, 29, v10
	v_and_b32_e32 v4, 7, v4
	v_cmp_eq_u16_e32 vcc, 0, v7
	v_cndmask_b32_e32 v3, v3, v4, vcc
	v_cndmask_b32_e32 v4, v8, v10, vcc
	v_mov_b32_e32 v7, 0x3b800000
	v_lshlrev_b32_e32 v3, 20, v3
	v_lshl_add_u32 v4, v4, 23, v7
	v_or3_b32 v3, v6, v4, v3
.LBB55_1504:
	s_or_b64 exec, exec, s[6:7]
	s_nop 0
	v_mfma_f32_16x16x4f32 a[0:3], v2, v3, a[0:3]
	s_movk_i32 s4, 0x7f
	v_cmp_gt_i16_sdwa s[6:7], v9, s4 src0_sel:BYTE_0 src1_sel:DWORD
	s_mov_b64 s[4:5], 0
                                        ; implicit-def: $sgpr10
	s_and_saveexec_b64 s[8:9], s[6:7]
	s_xor_b64 s[6:7], exec, s[8:9]
	s_cbranch_execnz .LBB55_3553
; %bb.1505:
	s_or_saveexec_b64 s[6:7], s[6:7]
	v_mov_b32_e32 v2, s10
	s_xor_b64 exec, exec, s[6:7]
	s_cbranch_execnz .LBB55_3556
.LBB55_1506:
	s_or_b64 exec, exec, s[6:7]
	s_and_saveexec_b64 s[6:7], s[4:5]
	s_cbranch_execz .LBB55_1508
.LBB55_1507:
	v_mov_b32_e32 v2, 8
	v_and_b32_e32 v3, 7, v9
	v_lshrrev_b32_sdwa v2, v2, v9 dst_sel:BYTE_1 dst_unused:UNUSED_PAD src0_sel:DWORD src1_sel:DWORD
	v_ffbh_u32_e32 v4, v3
	v_or_b32_sdwa v2, v9, v2 dst_sel:DWORD dst_unused:UNUSED_PAD src0_sel:BYTE_0 src1_sel:DWORD
	v_min_u32_e32 v4, 32, v4
	v_lshrrev_b16_e32 v2, 3, v2
	v_subrev_u32_e32 v6, 28, v4
	v_and_b32_e32 v2, 15, v2
	v_lshlrev_b32_e32 v6, v6, v9
	v_sub_u32_e32 v4, 29, v4
	v_and_b32_e32 v6, 7, v6
	v_cmp_eq_u16_e32 vcc, 0, v2
	v_cndmask_b32_e32 v3, v3, v6, vcc
	v_cndmask_b32_e32 v2, v2, v4, vcc
	v_lshlrev_b32_e32 v4, 24, v9
	v_mov_b32_e32 v6, 0x3b800000
	v_lshlrev_b32_e32 v3, 20, v3
	v_and_b32_e32 v4, 0x80000000, v4
	v_lshl_add_u32 v2, v2, 23, v6
	v_or3_b32 v2, v4, v2, v3
.LBB55_1508:
	s_or_b64 exec, exec, s[6:7]
	s_movk_i32 s4, 0x7f
	v_cmp_gt_i16_sdwa s[6:7], v5, s4 src0_sel:BYTE_0 src1_sel:DWORD
	s_mov_b64 s[4:5], 0
                                        ; implicit-def: $sgpr10
	s_and_saveexec_b64 s[8:9], s[6:7]
	s_xor_b64 s[6:7], exec, s[8:9]
	s_cbranch_execnz .LBB55_3557
; %bb.1509:
	s_or_saveexec_b64 s[6:7], s[6:7]
	v_mov_b32_e32 v3, s10
	s_xor_b64 exec, exec, s[6:7]
	s_cbranch_execnz .LBB55_3560
.LBB55_1510:
	s_or_b64 exec, exec, s[6:7]
	s_and_saveexec_b64 s[6:7], s[4:5]
	s_cbranch_execz .LBB55_1512
.LBB55_1511:
	v_mov_b32_e32 v3, 8
	v_and_b32_e32 v4, 7, v5
	v_lshrrev_b32_sdwa v3, v3, v5 dst_sel:BYTE_1 dst_unused:UNUSED_PAD src0_sel:DWORD src1_sel:DWORD
	v_ffbh_u32_e32 v6, v4
	v_or_b32_sdwa v3, v5, v3 dst_sel:DWORD dst_unused:UNUSED_PAD src0_sel:BYTE_0 src1_sel:DWORD
	v_min_u32_e32 v6, 32, v6
	v_lshrrev_b16_e32 v3, 3, v3
	v_subrev_u32_e32 v7, 28, v6
	v_and_b32_e32 v3, 15, v3
	v_lshlrev_b32_e32 v7, v7, v5
	v_sub_u32_e32 v6, 29, v6
	v_and_b32_e32 v7, 7, v7
	v_cmp_eq_u16_e32 vcc, 0, v3
	v_cndmask_b32_e32 v4, v4, v7, vcc
	v_cndmask_b32_e32 v3, v3, v6, vcc
	v_lshlrev_b32_e32 v6, 24, v5
	v_mov_b32_e32 v7, 0x3b800000
	v_lshlrev_b32_e32 v4, 20, v4
	v_and_b32_e32 v6, 0x80000000, v6
	v_lshl_add_u32 v3, v3, 23, v7
	v_or3_b32 v3, v6, v3, v4
.LBB55_1512:
	s_or_b64 exec, exec, s[6:7]
	s_nop 0
	v_mfma_f32_16x16x4f32 a[0:3], v2, v3, a[0:3]
	v_lshrrev_b32_e32 v3, 8, v9
	s_movk_i32 s4, 0x7f
	v_cmp_gt_i16_sdwa s[6:7], v3, s4 src0_sel:BYTE_0 src1_sel:DWORD
	s_mov_b64 s[4:5], 0
                                        ; implicit-def: $sgpr10
	s_and_saveexec_b64 s[8:9], s[6:7]
	s_xor_b64 s[6:7], exec, s[8:9]
	s_cbranch_execnz .LBB55_3561
; %bb.1513:
	s_or_saveexec_b64 s[6:7], s[6:7]
	v_mov_b32_e32 v2, s10
	s_xor_b64 exec, exec, s[6:7]
	s_cbranch_execnz .LBB55_3564
.LBB55_1514:
	s_or_b64 exec, exec, s[6:7]
	s_and_saveexec_b64 s[6:7], s[4:5]
	s_cbranch_execz .LBB55_1516
.LBB55_1515:
	v_bfe_u32 v2, v9, 8, 3
	v_ffbh_u32_e32 v6, v2
	v_min_u32_e32 v6, 32, v6
	v_lshrrev_b16_e32 v4, 3, v3
	v_subrev_u32_e32 v7, 28, v6
	v_and_b32_e32 v4, 15, v4
	v_lshlrev_b32_e32 v3, v7, v3
	v_sub_u32_e32 v6, 29, v6
	v_and_b32_e32 v3, 7, v3
	v_cmp_eq_u16_e32 vcc, 0, v4
	v_cndmask_b32_e32 v2, v2, v3, vcc
	v_cndmask_b32_e32 v3, v4, v6, vcc
	v_lshlrev_b32_e32 v4, 16, v9
	v_mov_b32_e32 v6, 0x3b800000
	v_lshlrev_b32_e32 v2, 20, v2
	v_and_b32_e32 v4, 0x80000000, v4
	v_lshl_add_u32 v3, v3, 23, v6
	v_or3_b32 v2, v4, v3, v2
.LBB55_1516:
	s_or_b64 exec, exec, s[6:7]
	v_lshrrev_b32_e32 v3, 8, v5
	s_movk_i32 s4, 0x7f
	v_cmp_gt_i16_sdwa s[6:7], v3, s4 src0_sel:BYTE_0 src1_sel:DWORD
	s_mov_b64 s[4:5], 0
                                        ; implicit-def: $sgpr10
	s_and_saveexec_b64 s[8:9], s[6:7]
	s_xor_b64 s[6:7], exec, s[8:9]
	s_cbranch_execnz .LBB55_3565
; %bb.1517:
	s_or_saveexec_b64 s[6:7], s[6:7]
	v_mov_b32_e32 v4, s10
	s_xor_b64 exec, exec, s[6:7]
	s_cbranch_execnz .LBB55_3568
.LBB55_1518:
	s_or_b64 exec, exec, s[6:7]
	s_and_saveexec_b64 s[6:7], s[4:5]
	s_cbranch_execz .LBB55_1520
.LBB55_1519:
	v_bfe_u32 v4, v5, 8, 3
	v_ffbh_u32_e32 v7, v4
	v_min_u32_e32 v7, 32, v7
	v_lshrrev_b16_e32 v6, 3, v3
	v_subrev_u32_e32 v8, 28, v7
	v_and_b32_e32 v6, 15, v6
	v_lshlrev_b32_e32 v3, v8, v3
	v_sub_u32_e32 v7, 29, v7
	v_and_b32_e32 v3, 7, v3
	v_cmp_eq_u16_e32 vcc, 0, v6
	v_cndmask_b32_e32 v3, v4, v3, vcc
	v_cndmask_b32_e32 v4, v6, v7, vcc
	v_lshlrev_b32_e32 v6, 16, v5
	v_mov_b32_e32 v7, 0x3b800000
	v_lshlrev_b32_e32 v3, 20, v3
	v_and_b32_e32 v6, 0x80000000, v6
	v_lshl_add_u32 v4, v4, 23, v7
	v_or3_b32 v4, v6, v4, v3
.LBB55_1520:
	s_or_b64 exec, exec, s[6:7]
	s_nop 0
	v_mfma_f32_16x16x4f32 a[0:3], v2, v4, a[0:3]
	s_movk_i32 s4, 0xff
	v_and_b32_sdwa v3, v9, s4 dst_sel:DWORD dst_unused:UNUSED_PAD src0_sel:WORD_1 src1_sel:DWORD
	s_movk_i32 s4, 0x7f
	v_cmp_lt_i16_e32 vcc, s4, v3
	s_mov_b64 s[4:5], 0
                                        ; implicit-def: $sgpr10
	s_and_saveexec_b64 s[6:7], vcc
	s_xor_b64 s[6:7], exec, s[6:7]
	s_cbranch_execnz .LBB55_3569
; %bb.1521:
	s_or_saveexec_b64 s[6:7], s[6:7]
	v_mov_b32_e32 v2, s10
	s_xor_b64 exec, exec, s[6:7]
	s_cbranch_execnz .LBB55_3572
.LBB55_1522:
	s_or_b64 exec, exec, s[6:7]
	s_and_saveexec_b64 s[6:7], s[4:5]
	s_cbranch_execz .LBB55_1524
.LBB55_1523:
	v_bfe_u32 v2, v9, 16, 3
	v_ffbh_u32_e32 v6, v2
	v_min_u32_e32 v6, 32, v6
	v_lshrrev_b32_e32 v3, 19, v9
	v_subrev_u32_e32 v7, 28, v6
	v_and_b32_e32 v3, 15, v3
	v_lshlrev_b32_sdwa v7, v7, v9 dst_sel:DWORD dst_unused:UNUSED_PAD src0_sel:DWORD src1_sel:WORD_1
	v_bfe_u32 v4, v9, 19, 4
	v_sub_u32_e32 v6, 29, v6
	v_and_b32_e32 v7, 7, v7
	v_cmp_eq_u16_e32 vcc, 0, v3
	v_cndmask_b32_e32 v2, v2, v7, vcc
	v_cndmask_b32_e32 v3, v4, v6, vcc
	v_lshlrev_b32_e32 v4, 8, v9
	v_mov_b32_e32 v6, 0x3b800000
	v_lshlrev_b32_e32 v2, 20, v2
	v_and_b32_e32 v4, 0x80000000, v4
	v_lshl_add_u32 v3, v3, 23, v6
	v_or3_b32 v2, v4, v3, v2
.LBB55_1524:
	s_or_b64 exec, exec, s[6:7]
	s_movk_i32 s4, 0xff
	v_and_b32_sdwa v3, v5, s4 dst_sel:DWORD dst_unused:UNUSED_PAD src0_sel:WORD_1 src1_sel:DWORD
	s_movk_i32 s4, 0x7f
	v_cmp_lt_i16_e32 vcc, s4, v3
	s_mov_b64 s[4:5], 0
                                        ; implicit-def: $sgpr10
	s_and_saveexec_b64 s[6:7], vcc
	s_xor_b64 s[6:7], exec, s[6:7]
	s_cbranch_execnz .LBB55_3573
; %bb.1525:
	s_or_saveexec_b64 s[6:7], s[6:7]
	v_mov_b32_e32 v4, s10
	s_xor_b64 exec, exec, s[6:7]
	s_cbranch_execnz .LBB55_3576
.LBB55_1526:
	s_or_b64 exec, exec, s[6:7]
	s_and_saveexec_b64 s[6:7], s[4:5]
	s_cbranch_execz .LBB55_1528
.LBB55_1527:
	v_bfe_u32 v3, v5, 16, 3
	v_ffbh_u32_e32 v7, v3
	v_min_u32_e32 v7, 32, v7
	v_lshrrev_b32_e32 v4, 19, v5
	v_subrev_u32_e32 v8, 28, v7
	v_and_b32_e32 v4, 15, v4
	v_lshlrev_b32_sdwa v8, v8, v5 dst_sel:DWORD dst_unused:UNUSED_PAD src0_sel:DWORD src1_sel:WORD_1
	v_bfe_u32 v6, v5, 19, 4
	v_sub_u32_e32 v7, 29, v7
	v_and_b32_e32 v8, 7, v8
	v_cmp_eq_u16_e32 vcc, 0, v4
	v_cndmask_b32_e32 v3, v3, v8, vcc
	v_cndmask_b32_e32 v4, v6, v7, vcc
	v_lshlrev_b32_e32 v6, 8, v5
	v_mov_b32_e32 v7, 0x3b800000
	v_lshlrev_b32_e32 v3, 20, v3
	v_and_b32_e32 v6, 0x80000000, v6
	v_lshl_add_u32 v4, v4, 23, v7
	v_or3_b32 v4, v6, v4, v3
.LBB55_1528:
	s_or_b64 exec, exec, s[6:7]
	s_nop 0
	v_mfma_f32_16x16x4f32 a[0:3], v2, v4, a[0:3]
	s_movk_i32 s4, 0x7f
	v_cmp_gt_i16_sdwa s[6:7], v9, s4 src0_sel:BYTE_3 src1_sel:DWORD
	s_mov_b64 s[4:5], 0
                                        ; implicit-def: $sgpr10
	s_and_saveexec_b64 s[8:9], s[6:7]
	s_xor_b64 s[6:7], exec, s[8:9]
	s_cbranch_execnz .LBB55_3577
; %bb.1529:
	s_or_saveexec_b64 s[6:7], s[6:7]
	v_mov_b32_e32 v2, s10
	s_xor_b64 exec, exec, s[6:7]
	s_cbranch_execnz .LBB55_3580
.LBB55_1530:
	s_or_b64 exec, exec, s[6:7]
	s_and_saveexec_b64 s[6:7], s[4:5]
	s_cbranch_execz .LBB55_1532
.LBB55_1531:
	v_bfe_u32 v2, v9, 24, 3
	v_ffbh_u32_e32 v7, v2
	v_min_u32_e32 v7, 32, v7
	v_lshrrev_b32_e32 v4, 27, v9
	v_subrev_u32_e32 v8, 28, v7
	v_and_b32_e32 v4, 15, v4
	v_lshlrev_b32_sdwa v8, v8, v9 dst_sel:DWORD dst_unused:UNUSED_PAD src0_sel:DWORD src1_sel:BYTE_3
	v_bfe_u32 v6, v9, 27, 4
	v_sub_u32_e32 v7, 29, v7
	v_and_b32_e32 v8, 7, v8
	v_cmp_eq_u16_e32 vcc, 0, v4
	v_cndmask_b32_e32 v2, v2, v8, vcc
	v_cndmask_b32_e32 v4, v6, v7, vcc
	v_mov_b32_e32 v6, 0x3b800000
	v_and_b32_e32 v3, 0x80000000, v9
	v_lshlrev_b32_e32 v2, 20, v2
	v_lshl_add_u32 v4, v4, 23, v6
	v_or3_b32 v2, v3, v4, v2
.LBB55_1532:
	s_or_b64 exec, exec, s[6:7]
	s_movk_i32 s4, 0x7f
	v_cmp_gt_i16_sdwa s[6:7], v5, s4 src0_sel:BYTE_3 src1_sel:DWORD
	s_mov_b64 s[4:5], 0
                                        ; implicit-def: $sgpr10
	s_and_saveexec_b64 s[8:9], s[6:7]
	s_xor_b64 s[6:7], exec, s[8:9]
	s_cbranch_execnz .LBB55_3581
; %bb.1533:
	s_or_saveexec_b64 s[6:7], s[6:7]
	v_mov_b32_e32 v3, s10
	s_xor_b64 exec, exec, s[6:7]
	s_cbranch_execnz .LBB55_3584
.LBB55_1534:
	s_or_b64 exec, exec, s[6:7]
	s_and_saveexec_b64 s[6:7], s[4:5]
	s_cbranch_execz .LBB55_1536
.LBB55_1535:
	v_bfe_u32 v3, v5, 24, 3
	v_ffbh_u32_e32 v8, v3
	v_min_u32_e32 v8, 32, v8
	v_lshrrev_b32_e32 v6, 27, v5
	v_subrev_u32_e32 v9, 28, v8
	v_and_b32_e32 v4, 0x80000000, v5
	v_and_b32_e32 v6, 15, v6
	v_bfe_u32 v7, v5, 27, 4
	v_lshlrev_b32_sdwa v5, v9, v5 dst_sel:DWORD dst_unused:UNUSED_PAD src0_sel:DWORD src1_sel:BYTE_3
	v_sub_u32_e32 v8, 29, v8
	v_and_b32_e32 v5, 7, v5
	v_cmp_eq_u16_e32 vcc, 0, v6
	v_cndmask_b32_e32 v3, v3, v5, vcc
	v_cndmask_b32_e32 v5, v7, v8, vcc
	v_mov_b32_e32 v6, 0x3b800000
	v_lshlrev_b32_e32 v3, 20, v3
	v_lshl_add_u32 v5, v5, 23, v6
	v_or3_b32 v3, v4, v5, v3
.LBB55_1536:
	s_or_b64 exec, exec, s[6:7]
	s_nop 0
	v_mfma_f32_16x16x4f32 a[0:3], v2, v3, a[0:3]
	s_movk_i32 s4, 0x7f
                                        ; implicit-def: $sgpr10
	s_nop 7
	s_nop 1
	flat_store_dwordx4 v[18:19], a[0:3] offset:464
	flat_load_dwordx4 v[20:23], v[0:1] offset:8
	s_nop 0
	flat_load_dwordx2 v[18:19], v[0:1] offset:24
	s_waitcnt vmcnt(0) lgkmcnt(0)
	flat_load_dwordx4 v[14:17], v[20:21] offset:32
	flat_load_dwordx4 v[6:9], v[20:21] offset:48
	;; [unrolled: 1-line block ×4, first 2 shown]
	s_waitcnt vmcnt(0) lgkmcnt(0)
	v_cmp_gt_i16_sdwa s[6:7], v14, s4 src0_sel:BYTE_0 src1_sel:DWORD
	s_mov_b64 s[4:5], 0
	s_and_saveexec_b64 s[8:9], s[6:7]
	s_xor_b64 s[6:7], exec, s[8:9]
	s_cbranch_execnz .LBB55_3585
; %bb.1537:
	s_or_saveexec_b64 s[6:7], s[6:7]
	v_mov_b32_e32 v20, s10
	s_xor_b64 exec, exec, s[6:7]
	s_cbranch_execnz .LBB55_3588
.LBB55_1538:
	s_or_b64 exec, exec, s[6:7]
	s_and_saveexec_b64 s[6:7], s[4:5]
	s_cbranch_execz .LBB55_1540
.LBB55_1539:
	v_and_b32_e32 v20, 7, v14
	v_ffbh_u32_e32 v22, v20
	v_min_u32_e32 v22, 32, v22
	v_lshrrev_b16_e32 v21, 3, v14
	v_subrev_u32_e32 v23, 28, v22
	v_and_b32_e32 v21, 15, v21
	v_lshlrev_b32_e32 v23, v23, v14
	v_sub_u32_e32 v22, 29, v22
	v_and_b32_e32 v23, 7, v23
	v_cmp_eq_u16_e32 vcc, 0, v21
	v_cndmask_b32_e32 v20, v20, v23, vcc
	v_cndmask_b32_e32 v21, v21, v22, vcc
	v_lshlrev_b32_e32 v22, 24, v14
	v_mov_b32_e32 v23, 0x3b800000
	v_lshlrev_b32_e32 v20, 20, v20
	v_and_b32_e32 v22, 0x80000000, v22
	v_lshl_add_u32 v21, v21, 23, v23
	v_or3_b32 v20, v22, v21, v20
.LBB55_1540:
	s_or_b64 exec, exec, s[6:7]
	s_movk_i32 s4, 0x7f
	v_cmp_gt_i16_sdwa s[6:7], v10, s4 src0_sel:BYTE_0 src1_sel:DWORD
	s_mov_b64 s[4:5], 0
                                        ; implicit-def: $sgpr10
	s_and_saveexec_b64 s[8:9], s[6:7]
	s_xor_b64 s[6:7], exec, s[8:9]
	s_cbranch_execnz .LBB55_3589
; %bb.1541:
	s_or_saveexec_b64 s[6:7], s[6:7]
	v_mov_b32_e32 v21, s10
	s_xor_b64 exec, exec, s[6:7]
	s_cbranch_execnz .LBB55_3592
.LBB55_1542:
	s_or_b64 exec, exec, s[6:7]
	s_and_saveexec_b64 s[6:7], s[4:5]
	s_cbranch_execz .LBB55_1544
.LBB55_1543:
	v_and_b32_e32 v21, 7, v10
	v_ffbh_u32_e32 v23, v21
	v_min_u32_e32 v23, 32, v23
	v_lshrrev_b16_e32 v22, 3, v10
	v_subrev_u32_e32 v24, 28, v23
	v_and_b32_e32 v22, 15, v22
	v_lshlrev_b32_e32 v24, v24, v10
	v_sub_u32_e32 v23, 29, v23
	v_and_b32_e32 v24, 7, v24
	v_cmp_eq_u16_e32 vcc, 0, v22
	v_cndmask_b32_e32 v21, v21, v24, vcc
	v_cndmask_b32_e32 v22, v22, v23, vcc
	v_lshlrev_b32_e32 v23, 24, v10
	v_mov_b32_e32 v24, 0x3b800000
	v_lshlrev_b32_e32 v21, 20, v21
	v_and_b32_e32 v23, 0x80000000, v23
	v_lshl_add_u32 v22, v22, 23, v24
	v_or3_b32 v21, v23, v22, v21
.LBB55_1544:
	s_or_b64 exec, exec, s[6:7]
	flat_load_dwordx4 a[0:3], v[18:19] offset:480
	s_movk_i32 s4, 0x7f
                                        ; implicit-def: $sgpr10
	s_waitcnt vmcnt(0) lgkmcnt(0)
	v_mfma_f32_16x16x4f32 a[0:3], v20, v21, a[0:3]
	v_lshrrev_b32_e32 v21, 8, v14
	v_cmp_gt_i16_sdwa s[6:7], v21, s4 src0_sel:BYTE_0 src1_sel:DWORD
	s_mov_b64 s[4:5], 0
	s_and_saveexec_b64 s[8:9], s[6:7]
	s_xor_b64 s[6:7], exec, s[8:9]
	s_cbranch_execnz .LBB55_3593
; %bb.1545:
	s_or_saveexec_b64 s[6:7], s[6:7]
	v_mov_b32_e32 v20, s10
	s_xor_b64 exec, exec, s[6:7]
	s_cbranch_execnz .LBB55_3596
.LBB55_1546:
	s_or_b64 exec, exec, s[6:7]
	s_and_saveexec_b64 s[6:7], s[4:5]
	s_cbranch_execz .LBB55_1548
.LBB55_1547:
	v_bfe_u32 v20, v14, 8, 3
	v_ffbh_u32_e32 v23, v20
	v_min_u32_e32 v23, 32, v23
	v_lshrrev_b16_e32 v22, 3, v21
	v_subrev_u32_e32 v24, 28, v23
	v_and_b32_e32 v22, 15, v22
	v_lshlrev_b32_e32 v21, v24, v21
	v_sub_u32_e32 v23, 29, v23
	v_and_b32_e32 v21, 7, v21
	v_cmp_eq_u16_e32 vcc, 0, v22
	v_cndmask_b32_e32 v20, v20, v21, vcc
	v_cndmask_b32_e32 v21, v22, v23, vcc
	v_lshlrev_b32_e32 v22, 16, v14
	v_mov_b32_e32 v23, 0x3b800000
	v_lshlrev_b32_e32 v20, 20, v20
	v_and_b32_e32 v22, 0x80000000, v22
	v_lshl_add_u32 v21, v21, 23, v23
	v_or3_b32 v20, v22, v21, v20
.LBB55_1548:
	s_or_b64 exec, exec, s[6:7]
	v_lshrrev_b32_e32 v21, 8, v10
	s_movk_i32 s4, 0x7f
	v_cmp_gt_i16_sdwa s[6:7], v21, s4 src0_sel:BYTE_0 src1_sel:DWORD
	s_mov_b64 s[4:5], 0
                                        ; implicit-def: $sgpr10
	s_and_saveexec_b64 s[8:9], s[6:7]
	s_xor_b64 s[6:7], exec, s[8:9]
	s_cbranch_execnz .LBB55_3597
; %bb.1549:
	s_or_saveexec_b64 s[6:7], s[6:7]
	v_mov_b32_e32 v22, s10
	s_xor_b64 exec, exec, s[6:7]
	s_cbranch_execnz .LBB55_3600
.LBB55_1550:
	s_or_b64 exec, exec, s[6:7]
	s_and_saveexec_b64 s[6:7], s[4:5]
	s_cbranch_execz .LBB55_1552
.LBB55_1551:
	v_bfe_u32 v22, v10, 8, 3
	v_ffbh_u32_e32 v24, v22
	v_min_u32_e32 v24, 32, v24
	v_lshrrev_b16_e32 v23, 3, v21
	v_subrev_u32_e32 v25, 28, v24
	v_and_b32_e32 v23, 15, v23
	v_lshlrev_b32_e32 v21, v25, v21
	v_sub_u32_e32 v24, 29, v24
	v_and_b32_e32 v21, 7, v21
	v_cmp_eq_u16_e32 vcc, 0, v23
	v_cndmask_b32_e32 v21, v22, v21, vcc
	v_cndmask_b32_e32 v22, v23, v24, vcc
	v_lshlrev_b32_e32 v23, 16, v10
	v_mov_b32_e32 v24, 0x3b800000
	v_lshlrev_b32_e32 v21, 20, v21
	v_and_b32_e32 v23, 0x80000000, v23
	v_lshl_add_u32 v22, v22, 23, v24
	v_or3_b32 v22, v23, v22, v21
.LBB55_1552:
	s_or_b64 exec, exec, s[6:7]
	s_nop 0
	v_mfma_f32_16x16x4f32 a[0:3], v20, v22, a[0:3]
	s_movk_i32 s4, 0xff
	v_and_b32_sdwa v21, v14, s4 dst_sel:DWORD dst_unused:UNUSED_PAD src0_sel:WORD_1 src1_sel:DWORD
	s_movk_i32 s4, 0x7f
	v_cmp_lt_i16_e32 vcc, s4, v21
	s_mov_b64 s[4:5], 0
                                        ; implicit-def: $sgpr10
	s_and_saveexec_b64 s[6:7], vcc
	s_xor_b64 s[6:7], exec, s[6:7]
	s_cbranch_execnz .LBB55_3601
; %bb.1553:
	s_or_saveexec_b64 s[6:7], s[6:7]
	v_mov_b32_e32 v20, s10
	s_xor_b64 exec, exec, s[6:7]
	s_cbranch_execnz .LBB55_3604
.LBB55_1554:
	s_or_b64 exec, exec, s[6:7]
	s_and_saveexec_b64 s[6:7], s[4:5]
	s_cbranch_execz .LBB55_1556
.LBB55_1555:
	v_bfe_u32 v20, v14, 16, 3
	v_ffbh_u32_e32 v23, v20
	v_min_u32_e32 v23, 32, v23
	v_lshrrev_b32_e32 v21, 19, v14
	v_subrev_u32_e32 v24, 28, v23
	v_and_b32_e32 v21, 15, v21
	v_lshlrev_b32_sdwa v24, v24, v14 dst_sel:DWORD dst_unused:UNUSED_PAD src0_sel:DWORD src1_sel:WORD_1
	v_bfe_u32 v22, v14, 19, 4
	v_sub_u32_e32 v23, 29, v23
	v_and_b32_e32 v24, 7, v24
	v_cmp_eq_u16_e32 vcc, 0, v21
	v_cndmask_b32_e32 v20, v20, v24, vcc
	v_cndmask_b32_e32 v21, v22, v23, vcc
	v_lshlrev_b32_e32 v22, 8, v14
	v_mov_b32_e32 v23, 0x3b800000
	v_lshlrev_b32_e32 v20, 20, v20
	v_and_b32_e32 v22, 0x80000000, v22
	v_lshl_add_u32 v21, v21, 23, v23
	v_or3_b32 v20, v22, v21, v20
.LBB55_1556:
	s_or_b64 exec, exec, s[6:7]
	s_movk_i32 s4, 0xff
	v_and_b32_sdwa v21, v10, s4 dst_sel:DWORD dst_unused:UNUSED_PAD src0_sel:WORD_1 src1_sel:DWORD
	s_movk_i32 s4, 0x7f
	v_cmp_lt_i16_e32 vcc, s4, v21
	s_mov_b64 s[4:5], 0
                                        ; implicit-def: $sgpr10
	s_and_saveexec_b64 s[6:7], vcc
	s_xor_b64 s[6:7], exec, s[6:7]
	s_cbranch_execnz .LBB55_3605
; %bb.1557:
	s_or_saveexec_b64 s[6:7], s[6:7]
	v_mov_b32_e32 v22, s10
	s_xor_b64 exec, exec, s[6:7]
	s_cbranch_execnz .LBB55_3608
.LBB55_1558:
	s_or_b64 exec, exec, s[6:7]
	s_and_saveexec_b64 s[6:7], s[4:5]
	s_cbranch_execz .LBB55_1560
.LBB55_1559:
	v_bfe_u32 v21, v10, 16, 3
	v_ffbh_u32_e32 v24, v21
	v_min_u32_e32 v24, 32, v24
	v_lshrrev_b32_e32 v22, 19, v10
	v_subrev_u32_e32 v25, 28, v24
	v_and_b32_e32 v22, 15, v22
	v_lshlrev_b32_sdwa v25, v25, v10 dst_sel:DWORD dst_unused:UNUSED_PAD src0_sel:DWORD src1_sel:WORD_1
	v_bfe_u32 v23, v10, 19, 4
	v_sub_u32_e32 v24, 29, v24
	v_and_b32_e32 v25, 7, v25
	v_cmp_eq_u16_e32 vcc, 0, v22
	v_cndmask_b32_e32 v21, v21, v25, vcc
	v_cndmask_b32_e32 v22, v23, v24, vcc
	v_lshlrev_b32_e32 v23, 8, v10
	v_mov_b32_e32 v24, 0x3b800000
	v_lshlrev_b32_e32 v21, 20, v21
	v_and_b32_e32 v23, 0x80000000, v23
	v_lshl_add_u32 v22, v22, 23, v24
	v_or3_b32 v22, v23, v22, v21
.LBB55_1560:
	s_or_b64 exec, exec, s[6:7]
	s_nop 0
	v_mfma_f32_16x16x4f32 a[0:3], v20, v22, a[0:3]
	s_movk_i32 s4, 0x7f
	v_cmp_gt_i16_sdwa s[6:7], v14, s4 src0_sel:BYTE_3 src1_sel:DWORD
	s_mov_b64 s[4:5], 0
                                        ; implicit-def: $sgpr10
	s_and_saveexec_b64 s[8:9], s[6:7]
	s_xor_b64 s[6:7], exec, s[8:9]
	s_cbranch_execnz .LBB55_3609
; %bb.1561:
	s_or_saveexec_b64 s[6:7], s[6:7]
	v_mov_b32_e32 v20, s10
	s_xor_b64 exec, exec, s[6:7]
	s_cbranch_execnz .LBB55_3612
.LBB55_1562:
	s_or_b64 exec, exec, s[6:7]
	s_and_saveexec_b64 s[6:7], s[4:5]
	s_cbranch_execz .LBB55_1564
.LBB55_1563:
	v_bfe_u32 v20, v14, 24, 3
	v_ffbh_u32_e32 v24, v20
	v_min_u32_e32 v24, 32, v24
	v_lshrrev_b32_e32 v22, 27, v14
	v_subrev_u32_e32 v25, 28, v24
	v_and_b32_e32 v21, 0x80000000, v14
	v_and_b32_e32 v22, 15, v22
	v_bfe_u32 v23, v14, 27, 4
	v_lshlrev_b32_sdwa v14, v25, v14 dst_sel:DWORD dst_unused:UNUSED_PAD src0_sel:DWORD src1_sel:BYTE_3
	v_sub_u32_e32 v24, 29, v24
	v_and_b32_e32 v14, 7, v14
	v_cmp_eq_u16_e32 vcc, 0, v22
	v_cndmask_b32_e32 v14, v20, v14, vcc
	v_cndmask_b32_e32 v20, v23, v24, vcc
	v_mov_b32_e32 v22, 0x3b800000
	v_lshlrev_b32_e32 v14, 20, v14
	v_lshl_add_u32 v20, v20, 23, v22
	v_or3_b32 v20, v21, v20, v14
.LBB55_1564:
	s_or_b64 exec, exec, s[6:7]
	s_movk_i32 s4, 0x7f
	v_cmp_gt_i16_sdwa s[6:7], v10, s4 src0_sel:BYTE_3 src1_sel:DWORD
	s_mov_b64 s[4:5], 0
                                        ; implicit-def: $sgpr10
	s_and_saveexec_b64 s[8:9], s[6:7]
	s_xor_b64 s[6:7], exec, s[8:9]
	s_cbranch_execnz .LBB55_3613
; %bb.1565:
	s_or_saveexec_b64 s[6:7], s[6:7]
	v_mov_b32_e32 v14, s10
	s_xor_b64 exec, exec, s[6:7]
	s_cbranch_execnz .LBB55_3616
.LBB55_1566:
	s_or_b64 exec, exec, s[6:7]
	s_and_saveexec_b64 s[6:7], s[4:5]
	s_cbranch_execz .LBB55_1568
.LBB55_1567:
	v_bfe_u32 v14, v10, 24, 3
	v_ffbh_u32_e32 v24, v14
	v_min_u32_e32 v24, 32, v24
	v_lshrrev_b32_e32 v22, 27, v10
	v_subrev_u32_e32 v25, 28, v24
	v_and_b32_e32 v21, 0x80000000, v10
	v_and_b32_e32 v22, 15, v22
	v_bfe_u32 v23, v10, 27, 4
	v_lshlrev_b32_sdwa v10, v25, v10 dst_sel:DWORD dst_unused:UNUSED_PAD src0_sel:DWORD src1_sel:BYTE_3
	v_sub_u32_e32 v24, 29, v24
	v_and_b32_e32 v10, 7, v10
	v_cmp_eq_u16_e32 vcc, 0, v22
	v_cndmask_b32_e32 v10, v14, v10, vcc
	v_cndmask_b32_e32 v14, v23, v24, vcc
	v_mov_b32_e32 v22, 0x3b800000
	v_lshlrev_b32_e32 v10, 20, v10
	v_lshl_add_u32 v14, v14, 23, v22
	v_or3_b32 v14, v21, v14, v10
.LBB55_1568:
	s_or_b64 exec, exec, s[6:7]
	s_nop 0
	v_mfma_f32_16x16x4f32 a[0:3], v20, v14, a[0:3]
	s_movk_i32 s4, 0x7f
	v_cmp_gt_i16_sdwa s[6:7], v15, s4 src0_sel:BYTE_0 src1_sel:DWORD
	s_mov_b64 s[4:5], 0
                                        ; implicit-def: $sgpr10
	s_and_saveexec_b64 s[8:9], s[6:7]
	s_xor_b64 s[6:7], exec, s[8:9]
	s_cbranch_execnz .LBB55_3617
; %bb.1569:
	s_or_saveexec_b64 s[6:7], s[6:7]
	v_mov_b32_e32 v10, s10
	s_xor_b64 exec, exec, s[6:7]
	s_cbranch_execnz .LBB55_3620
.LBB55_1570:
	s_or_b64 exec, exec, s[6:7]
	s_and_saveexec_b64 s[6:7], s[4:5]
	s_cbranch_execz .LBB55_1572
.LBB55_1571:
	v_and_b32_e32 v10, 7, v15
	v_ffbh_u32_e32 v20, v10
	v_min_u32_e32 v20, 32, v20
	v_lshrrev_b16_e32 v14, 3, v15
	v_subrev_u32_e32 v21, 28, v20
	v_and_b32_e32 v14, 15, v14
	v_lshlrev_b32_e32 v21, v21, v15
	v_sub_u32_e32 v20, 29, v20
	v_and_b32_e32 v21, 7, v21
	v_cmp_eq_u16_e32 vcc, 0, v14
	v_cndmask_b32_e32 v10, v10, v21, vcc
	v_cndmask_b32_e32 v14, v14, v20, vcc
	v_lshlrev_b32_e32 v20, 24, v15
	v_mov_b32_e32 v21, 0x3b800000
	v_lshlrev_b32_e32 v10, 20, v10
	v_and_b32_e32 v20, 0x80000000, v20
	v_lshl_add_u32 v14, v14, 23, v21
	v_or3_b32 v10, v20, v14, v10
.LBB55_1572:
	s_or_b64 exec, exec, s[6:7]
	s_movk_i32 s4, 0x7f
	v_cmp_gt_i16_sdwa s[6:7], v11, s4 src0_sel:BYTE_0 src1_sel:DWORD
	s_mov_b64 s[4:5], 0
                                        ; implicit-def: $sgpr10
	s_and_saveexec_b64 s[8:9], s[6:7]
	s_xor_b64 s[6:7], exec, s[8:9]
	s_cbranch_execnz .LBB55_3621
; %bb.1573:
	s_or_saveexec_b64 s[6:7], s[6:7]
	v_mov_b32_e32 v14, s10
	s_xor_b64 exec, exec, s[6:7]
	s_cbranch_execnz .LBB55_3624
.LBB55_1574:
	s_or_b64 exec, exec, s[6:7]
	s_and_saveexec_b64 s[6:7], s[4:5]
	s_cbranch_execz .LBB55_1576
.LBB55_1575:
	v_and_b32_e32 v14, 7, v11
	v_ffbh_u32_e32 v21, v14
	v_min_u32_e32 v21, 32, v21
	v_lshrrev_b16_e32 v20, 3, v11
	v_subrev_u32_e32 v22, 28, v21
	v_and_b32_e32 v20, 15, v20
	v_lshlrev_b32_e32 v22, v22, v11
	v_sub_u32_e32 v21, 29, v21
	v_and_b32_e32 v22, 7, v22
	v_cmp_eq_u16_e32 vcc, 0, v20
	v_cndmask_b32_e32 v14, v14, v22, vcc
	v_cndmask_b32_e32 v20, v20, v21, vcc
	v_lshlrev_b32_e32 v21, 24, v11
	v_mov_b32_e32 v22, 0x3b800000
	v_lshlrev_b32_e32 v14, 20, v14
	v_and_b32_e32 v21, 0x80000000, v21
	v_lshl_add_u32 v20, v20, 23, v22
	v_or3_b32 v14, v21, v20, v14
.LBB55_1576:
	s_or_b64 exec, exec, s[6:7]
	s_nop 0
	v_mfma_f32_16x16x4f32 a[0:3], v10, v14, a[0:3]
	v_lshrrev_b32_e32 v14, 8, v15
	s_movk_i32 s4, 0x7f
	v_cmp_gt_i16_sdwa s[6:7], v14, s4 src0_sel:BYTE_0 src1_sel:DWORD
	s_mov_b64 s[4:5], 0
                                        ; implicit-def: $sgpr10
	s_and_saveexec_b64 s[8:9], s[6:7]
	s_xor_b64 s[6:7], exec, s[8:9]
	s_cbranch_execnz .LBB55_3625
; %bb.1577:
	s_or_saveexec_b64 s[6:7], s[6:7]
	v_mov_b32_e32 v10, s10
	s_xor_b64 exec, exec, s[6:7]
	s_cbranch_execnz .LBB55_3628
.LBB55_1578:
	s_or_b64 exec, exec, s[6:7]
	s_and_saveexec_b64 s[6:7], s[4:5]
	s_cbranch_execz .LBB55_1580
.LBB55_1579:
	v_bfe_u32 v10, v15, 8, 3
	v_ffbh_u32_e32 v21, v10
	v_min_u32_e32 v21, 32, v21
	v_lshrrev_b16_e32 v20, 3, v14
	v_subrev_u32_e32 v22, 28, v21
	v_and_b32_e32 v20, 15, v20
	v_lshlrev_b32_e32 v14, v22, v14
	v_sub_u32_e32 v21, 29, v21
	v_and_b32_e32 v14, 7, v14
	v_cmp_eq_u16_e32 vcc, 0, v20
	v_cndmask_b32_e32 v10, v10, v14, vcc
	v_cndmask_b32_e32 v14, v20, v21, vcc
	v_lshlrev_b32_e32 v20, 16, v15
	v_mov_b32_e32 v21, 0x3b800000
	v_lshlrev_b32_e32 v10, 20, v10
	v_and_b32_e32 v20, 0x80000000, v20
	v_lshl_add_u32 v14, v14, 23, v21
	v_or3_b32 v10, v20, v14, v10
.LBB55_1580:
	s_or_b64 exec, exec, s[6:7]
	v_lshrrev_b32_e32 v14, 8, v11
	s_movk_i32 s4, 0x7f
	v_cmp_gt_i16_sdwa s[6:7], v14, s4 src0_sel:BYTE_0 src1_sel:DWORD
	s_mov_b64 s[4:5], 0
                                        ; implicit-def: $sgpr10
	s_and_saveexec_b64 s[8:9], s[6:7]
	s_xor_b64 s[6:7], exec, s[8:9]
	s_cbranch_execnz .LBB55_3629
; %bb.1581:
	s_or_saveexec_b64 s[6:7], s[6:7]
	v_mov_b32_e32 v20, s10
	s_xor_b64 exec, exec, s[6:7]
	s_cbranch_execnz .LBB55_3632
.LBB55_1582:
	s_or_b64 exec, exec, s[6:7]
	s_and_saveexec_b64 s[6:7], s[4:5]
	s_cbranch_execz .LBB55_1584
.LBB55_1583:
	v_bfe_u32 v20, v11, 8, 3
	v_ffbh_u32_e32 v22, v20
	v_min_u32_e32 v22, 32, v22
	v_lshrrev_b16_e32 v21, 3, v14
	v_subrev_u32_e32 v23, 28, v22
	v_and_b32_e32 v21, 15, v21
	v_lshlrev_b32_e32 v14, v23, v14
	v_sub_u32_e32 v22, 29, v22
	v_and_b32_e32 v14, 7, v14
	v_cmp_eq_u16_e32 vcc, 0, v21
	v_cndmask_b32_e32 v14, v20, v14, vcc
	v_cndmask_b32_e32 v20, v21, v22, vcc
	v_lshlrev_b32_e32 v21, 16, v11
	v_mov_b32_e32 v22, 0x3b800000
	v_lshlrev_b32_e32 v14, 20, v14
	v_and_b32_e32 v21, 0x80000000, v21
	v_lshl_add_u32 v20, v20, 23, v22
	v_or3_b32 v20, v21, v20, v14
.LBB55_1584:
	s_or_b64 exec, exec, s[6:7]
	s_nop 0
	v_mfma_f32_16x16x4f32 a[0:3], v10, v20, a[0:3]
	s_movk_i32 s4, 0xff
	v_and_b32_sdwa v14, v15, s4 dst_sel:DWORD dst_unused:UNUSED_PAD src0_sel:WORD_1 src1_sel:DWORD
	s_movk_i32 s4, 0x7f
	v_cmp_lt_i16_e32 vcc, s4, v14
	s_mov_b64 s[4:5], 0
                                        ; implicit-def: $sgpr10
	s_and_saveexec_b64 s[6:7], vcc
	s_xor_b64 s[6:7], exec, s[6:7]
	s_cbranch_execnz .LBB55_3633
; %bb.1585:
	s_or_saveexec_b64 s[6:7], s[6:7]
	v_mov_b32_e32 v10, s10
	s_xor_b64 exec, exec, s[6:7]
	s_cbranch_execnz .LBB55_3636
.LBB55_1586:
	s_or_b64 exec, exec, s[6:7]
	s_and_saveexec_b64 s[6:7], s[4:5]
	s_cbranch_execz .LBB55_1588
.LBB55_1587:
	v_bfe_u32 v10, v15, 16, 3
	v_ffbh_u32_e32 v21, v10
	v_min_u32_e32 v21, 32, v21
	v_lshrrev_b32_e32 v14, 19, v15
	v_subrev_u32_e32 v22, 28, v21
	v_and_b32_e32 v14, 15, v14
	v_lshlrev_b32_sdwa v22, v22, v15 dst_sel:DWORD dst_unused:UNUSED_PAD src0_sel:DWORD src1_sel:WORD_1
	v_bfe_u32 v20, v15, 19, 4
	v_sub_u32_e32 v21, 29, v21
	v_and_b32_e32 v22, 7, v22
	v_cmp_eq_u16_e32 vcc, 0, v14
	v_cndmask_b32_e32 v10, v10, v22, vcc
	v_cndmask_b32_e32 v14, v20, v21, vcc
	v_lshlrev_b32_e32 v20, 8, v15
	v_mov_b32_e32 v21, 0x3b800000
	v_lshlrev_b32_e32 v10, 20, v10
	v_and_b32_e32 v20, 0x80000000, v20
	v_lshl_add_u32 v14, v14, 23, v21
	v_or3_b32 v10, v20, v14, v10
.LBB55_1588:
	s_or_b64 exec, exec, s[6:7]
	s_movk_i32 s4, 0xff
	v_and_b32_sdwa v14, v11, s4 dst_sel:DWORD dst_unused:UNUSED_PAD src0_sel:WORD_1 src1_sel:DWORD
	s_movk_i32 s4, 0x7f
	v_cmp_lt_i16_e32 vcc, s4, v14
	s_mov_b64 s[4:5], 0
                                        ; implicit-def: $sgpr10
	s_and_saveexec_b64 s[6:7], vcc
	s_xor_b64 s[6:7], exec, s[6:7]
	s_cbranch_execnz .LBB55_3637
; %bb.1589:
	s_or_saveexec_b64 s[6:7], s[6:7]
	v_mov_b32_e32 v20, s10
	s_xor_b64 exec, exec, s[6:7]
	s_cbranch_execnz .LBB55_3640
.LBB55_1590:
	s_or_b64 exec, exec, s[6:7]
	s_and_saveexec_b64 s[6:7], s[4:5]
	s_cbranch_execz .LBB55_1592
.LBB55_1591:
	v_bfe_u32 v14, v11, 16, 3
	v_ffbh_u32_e32 v22, v14
	v_min_u32_e32 v22, 32, v22
	v_lshrrev_b32_e32 v20, 19, v11
	v_subrev_u32_e32 v23, 28, v22
	v_and_b32_e32 v20, 15, v20
	v_lshlrev_b32_sdwa v23, v23, v11 dst_sel:DWORD dst_unused:UNUSED_PAD src0_sel:DWORD src1_sel:WORD_1
	v_bfe_u32 v21, v11, 19, 4
	v_sub_u32_e32 v22, 29, v22
	v_and_b32_e32 v23, 7, v23
	v_cmp_eq_u16_e32 vcc, 0, v20
	v_cndmask_b32_e32 v14, v14, v23, vcc
	v_cndmask_b32_e32 v20, v21, v22, vcc
	v_lshlrev_b32_e32 v21, 8, v11
	v_mov_b32_e32 v22, 0x3b800000
	v_lshlrev_b32_e32 v14, 20, v14
	v_and_b32_e32 v21, 0x80000000, v21
	v_lshl_add_u32 v20, v20, 23, v22
	v_or3_b32 v20, v21, v20, v14
.LBB55_1592:
	s_or_b64 exec, exec, s[6:7]
	s_nop 0
	v_mfma_f32_16x16x4f32 a[0:3], v10, v20, a[0:3]
	s_movk_i32 s4, 0x7f
	v_cmp_gt_i16_sdwa s[6:7], v15, s4 src0_sel:BYTE_3 src1_sel:DWORD
	s_mov_b64 s[4:5], 0
                                        ; implicit-def: $sgpr10
	s_and_saveexec_b64 s[8:9], s[6:7]
	s_xor_b64 s[6:7], exec, s[8:9]
	s_cbranch_execnz .LBB55_3641
; %bb.1593:
	s_or_saveexec_b64 s[6:7], s[6:7]
	v_mov_b32_e32 v10, s10
	s_xor_b64 exec, exec, s[6:7]
	s_cbranch_execnz .LBB55_3644
.LBB55_1594:
	s_or_b64 exec, exec, s[6:7]
	s_and_saveexec_b64 s[6:7], s[4:5]
	s_cbranch_execz .LBB55_1596
.LBB55_1595:
	v_bfe_u32 v10, v15, 24, 3
	v_ffbh_u32_e32 v22, v10
	v_min_u32_e32 v22, 32, v22
	v_lshrrev_b32_e32 v20, 27, v15
	v_subrev_u32_e32 v23, 28, v22
	v_and_b32_e32 v14, 0x80000000, v15
	v_and_b32_e32 v20, 15, v20
	v_bfe_u32 v21, v15, 27, 4
	v_lshlrev_b32_sdwa v15, v23, v15 dst_sel:DWORD dst_unused:UNUSED_PAD src0_sel:DWORD src1_sel:BYTE_3
	v_sub_u32_e32 v22, 29, v22
	v_and_b32_e32 v15, 7, v15
	v_cmp_eq_u16_e32 vcc, 0, v20
	v_cndmask_b32_e32 v10, v10, v15, vcc
	v_cndmask_b32_e32 v15, v21, v22, vcc
	v_mov_b32_e32 v20, 0x3b800000
	v_lshlrev_b32_e32 v10, 20, v10
	v_lshl_add_u32 v15, v15, 23, v20
	v_or3_b32 v10, v14, v15, v10
.LBB55_1596:
	s_or_b64 exec, exec, s[6:7]
	s_movk_i32 s4, 0x7f
	v_cmp_gt_i16_sdwa s[6:7], v11, s4 src0_sel:BYTE_3 src1_sel:DWORD
	s_mov_b64 s[4:5], 0
                                        ; implicit-def: $sgpr10
	s_and_saveexec_b64 s[8:9], s[6:7]
	s_xor_b64 s[6:7], exec, s[8:9]
	s_cbranch_execnz .LBB55_3645
; %bb.1597:
	s_or_saveexec_b64 s[6:7], s[6:7]
	v_mov_b32_e32 v14, s10
	s_xor_b64 exec, exec, s[6:7]
	s_cbranch_execnz .LBB55_3648
.LBB55_1598:
	s_or_b64 exec, exec, s[6:7]
	s_and_saveexec_b64 s[6:7], s[4:5]
	s_cbranch_execz .LBB55_1600
.LBB55_1599:
	v_bfe_u32 v14, v11, 24, 3
	v_ffbh_u32_e32 v22, v14
	v_min_u32_e32 v22, 32, v22
	v_lshrrev_b32_e32 v20, 27, v11
	v_subrev_u32_e32 v23, 28, v22
	v_and_b32_e32 v15, 0x80000000, v11
	v_and_b32_e32 v20, 15, v20
	v_bfe_u32 v21, v11, 27, 4
	v_lshlrev_b32_sdwa v11, v23, v11 dst_sel:DWORD dst_unused:UNUSED_PAD src0_sel:DWORD src1_sel:BYTE_3
	v_sub_u32_e32 v22, 29, v22
	v_and_b32_e32 v11, 7, v11
	v_cmp_eq_u16_e32 vcc, 0, v20
	v_cndmask_b32_e32 v11, v14, v11, vcc
	v_cndmask_b32_e32 v14, v21, v22, vcc
	v_mov_b32_e32 v20, 0x3b800000
	v_lshlrev_b32_e32 v11, 20, v11
	v_lshl_add_u32 v14, v14, 23, v20
	v_or3_b32 v14, v15, v14, v11
.LBB55_1600:
	s_or_b64 exec, exec, s[6:7]
	s_nop 0
	v_mfma_f32_16x16x4f32 a[0:3], v10, v14, a[0:3]
	s_movk_i32 s4, 0x7f
	v_cmp_gt_i16_sdwa s[6:7], v16, s4 src0_sel:BYTE_0 src1_sel:DWORD
	s_mov_b64 s[4:5], 0
                                        ; implicit-def: $sgpr10
	s_and_saveexec_b64 s[8:9], s[6:7]
	s_xor_b64 s[6:7], exec, s[8:9]
	s_cbranch_execnz .LBB55_3649
; %bb.1601:
	s_or_saveexec_b64 s[6:7], s[6:7]
	v_mov_b32_e32 v10, s10
	s_xor_b64 exec, exec, s[6:7]
	s_cbranch_execnz .LBB55_3652
.LBB55_1602:
	s_or_b64 exec, exec, s[6:7]
	s_and_saveexec_b64 s[6:7], s[4:5]
	s_cbranch_execz .LBB55_1604
.LBB55_1603:
	v_and_b32_e32 v10, 7, v16
	v_ffbh_u32_e32 v14, v10
	v_min_u32_e32 v14, 32, v14
	v_lshrrev_b16_e32 v11, 3, v16
	v_subrev_u32_e32 v15, 28, v14
	v_and_b32_e32 v11, 15, v11
	v_lshlrev_b32_e32 v15, v15, v16
	v_sub_u32_e32 v14, 29, v14
	v_and_b32_e32 v15, 7, v15
	v_cmp_eq_u16_e32 vcc, 0, v11
	v_cndmask_b32_e32 v10, v10, v15, vcc
	v_cndmask_b32_e32 v11, v11, v14, vcc
	v_lshlrev_b32_e32 v14, 24, v16
	v_mov_b32_e32 v15, 0x3b800000
	v_lshlrev_b32_e32 v10, 20, v10
	v_and_b32_e32 v14, 0x80000000, v14
	v_lshl_add_u32 v11, v11, 23, v15
	v_or3_b32 v10, v14, v11, v10
.LBB55_1604:
	s_or_b64 exec, exec, s[6:7]
	s_movk_i32 s4, 0x7f
	v_cmp_gt_i16_sdwa s[6:7], v12, s4 src0_sel:BYTE_0 src1_sel:DWORD
	s_mov_b64 s[4:5], 0
                                        ; implicit-def: $sgpr10
	s_and_saveexec_b64 s[8:9], s[6:7]
	s_xor_b64 s[6:7], exec, s[8:9]
	s_cbranch_execnz .LBB55_3653
; %bb.1605:
	s_or_saveexec_b64 s[6:7], s[6:7]
	v_mov_b32_e32 v11, s10
	s_xor_b64 exec, exec, s[6:7]
	s_cbranch_execnz .LBB55_3656
.LBB55_1606:
	s_or_b64 exec, exec, s[6:7]
	s_and_saveexec_b64 s[6:7], s[4:5]
	s_cbranch_execz .LBB55_1608
.LBB55_1607:
	v_and_b32_e32 v11, 7, v12
	v_ffbh_u32_e32 v15, v11
	v_min_u32_e32 v15, 32, v15
	v_lshrrev_b16_e32 v14, 3, v12
	v_subrev_u32_e32 v20, 28, v15
	v_and_b32_e32 v14, 15, v14
	v_lshlrev_b32_e32 v20, v20, v12
	v_sub_u32_e32 v15, 29, v15
	v_and_b32_e32 v20, 7, v20
	v_cmp_eq_u16_e32 vcc, 0, v14
	v_cndmask_b32_e32 v11, v11, v20, vcc
	v_cndmask_b32_e32 v14, v14, v15, vcc
	v_lshlrev_b32_e32 v15, 24, v12
	v_mov_b32_e32 v20, 0x3b800000
	v_lshlrev_b32_e32 v11, 20, v11
	v_and_b32_e32 v15, 0x80000000, v15
	v_lshl_add_u32 v14, v14, 23, v20
	v_or3_b32 v11, v15, v14, v11
.LBB55_1608:
	s_or_b64 exec, exec, s[6:7]
	s_nop 0
	v_mfma_f32_16x16x4f32 a[0:3], v10, v11, a[0:3]
	v_lshrrev_b32_e32 v11, 8, v16
	s_movk_i32 s4, 0x7f
	v_cmp_gt_i16_sdwa s[6:7], v11, s4 src0_sel:BYTE_0 src1_sel:DWORD
	s_mov_b64 s[4:5], 0
                                        ; implicit-def: $sgpr10
	s_and_saveexec_b64 s[8:9], s[6:7]
	s_xor_b64 s[6:7], exec, s[8:9]
	s_cbranch_execnz .LBB55_3657
; %bb.1609:
	s_or_saveexec_b64 s[6:7], s[6:7]
	v_mov_b32_e32 v10, s10
	s_xor_b64 exec, exec, s[6:7]
	s_cbranch_execnz .LBB55_3660
.LBB55_1610:
	s_or_b64 exec, exec, s[6:7]
	s_and_saveexec_b64 s[6:7], s[4:5]
	s_cbranch_execz .LBB55_1612
.LBB55_1611:
	v_bfe_u32 v10, v16, 8, 3
	v_ffbh_u32_e32 v15, v10
	v_min_u32_e32 v15, 32, v15
	v_lshrrev_b16_e32 v14, 3, v11
	v_subrev_u32_e32 v20, 28, v15
	v_and_b32_e32 v14, 15, v14
	v_lshlrev_b32_e32 v11, v20, v11
	v_sub_u32_e32 v15, 29, v15
	v_and_b32_e32 v11, 7, v11
	v_cmp_eq_u16_e32 vcc, 0, v14
	v_cndmask_b32_e32 v10, v10, v11, vcc
	v_cndmask_b32_e32 v11, v14, v15, vcc
	v_lshlrev_b32_e32 v14, 16, v16
	v_mov_b32_e32 v15, 0x3b800000
	v_lshlrev_b32_e32 v10, 20, v10
	v_and_b32_e32 v14, 0x80000000, v14
	v_lshl_add_u32 v11, v11, 23, v15
	v_or3_b32 v10, v14, v11, v10
.LBB55_1612:
	s_or_b64 exec, exec, s[6:7]
	v_lshrrev_b32_e32 v11, 8, v12
	s_movk_i32 s4, 0x7f
	v_cmp_gt_i16_sdwa s[6:7], v11, s4 src0_sel:BYTE_0 src1_sel:DWORD
	s_mov_b64 s[4:5], 0
                                        ; implicit-def: $sgpr10
	s_and_saveexec_b64 s[8:9], s[6:7]
	s_xor_b64 s[6:7], exec, s[8:9]
	s_cbranch_execnz .LBB55_3661
; %bb.1613:
	s_or_saveexec_b64 s[6:7], s[6:7]
	v_mov_b32_e32 v14, s10
	s_xor_b64 exec, exec, s[6:7]
	s_cbranch_execnz .LBB55_3664
.LBB55_1614:
	s_or_b64 exec, exec, s[6:7]
	s_and_saveexec_b64 s[6:7], s[4:5]
	s_cbranch_execz .LBB55_1616
.LBB55_1615:
	v_bfe_u32 v14, v12, 8, 3
	v_ffbh_u32_e32 v20, v14
	v_min_u32_e32 v20, 32, v20
	v_lshrrev_b16_e32 v15, 3, v11
	v_subrev_u32_e32 v21, 28, v20
	v_and_b32_e32 v15, 15, v15
	v_lshlrev_b32_e32 v11, v21, v11
	v_sub_u32_e32 v20, 29, v20
	v_and_b32_e32 v11, 7, v11
	v_cmp_eq_u16_e32 vcc, 0, v15
	v_cndmask_b32_e32 v11, v14, v11, vcc
	v_cndmask_b32_e32 v14, v15, v20, vcc
	v_lshlrev_b32_e32 v15, 16, v12
	v_mov_b32_e32 v20, 0x3b800000
	v_lshlrev_b32_e32 v11, 20, v11
	v_and_b32_e32 v15, 0x80000000, v15
	v_lshl_add_u32 v14, v14, 23, v20
	v_or3_b32 v14, v15, v14, v11
.LBB55_1616:
	s_or_b64 exec, exec, s[6:7]
	s_nop 0
	v_mfma_f32_16x16x4f32 a[0:3], v10, v14, a[0:3]
	s_movk_i32 s4, 0xff
	v_and_b32_sdwa v11, v16, s4 dst_sel:DWORD dst_unused:UNUSED_PAD src0_sel:WORD_1 src1_sel:DWORD
	s_movk_i32 s4, 0x7f
	v_cmp_lt_i16_e32 vcc, s4, v11
	s_mov_b64 s[4:5], 0
                                        ; implicit-def: $sgpr10
	s_and_saveexec_b64 s[6:7], vcc
	s_xor_b64 s[6:7], exec, s[6:7]
	s_cbranch_execnz .LBB55_3665
; %bb.1617:
	s_or_saveexec_b64 s[6:7], s[6:7]
	v_mov_b32_e32 v10, s10
	s_xor_b64 exec, exec, s[6:7]
	s_cbranch_execnz .LBB55_3668
.LBB55_1618:
	s_or_b64 exec, exec, s[6:7]
	s_and_saveexec_b64 s[6:7], s[4:5]
	s_cbranch_execz .LBB55_1620
.LBB55_1619:
	v_bfe_u32 v10, v16, 16, 3
	v_ffbh_u32_e32 v15, v10
	v_min_u32_e32 v15, 32, v15
	v_lshrrev_b32_e32 v11, 19, v16
	v_subrev_u32_e32 v20, 28, v15
	v_and_b32_e32 v11, 15, v11
	v_lshlrev_b32_sdwa v20, v20, v16 dst_sel:DWORD dst_unused:UNUSED_PAD src0_sel:DWORD src1_sel:WORD_1
	v_bfe_u32 v14, v16, 19, 4
	v_sub_u32_e32 v15, 29, v15
	v_and_b32_e32 v20, 7, v20
	v_cmp_eq_u16_e32 vcc, 0, v11
	v_cndmask_b32_e32 v10, v10, v20, vcc
	v_cndmask_b32_e32 v11, v14, v15, vcc
	v_lshlrev_b32_e32 v14, 8, v16
	v_mov_b32_e32 v15, 0x3b800000
	v_lshlrev_b32_e32 v10, 20, v10
	v_and_b32_e32 v14, 0x80000000, v14
	v_lshl_add_u32 v11, v11, 23, v15
	v_or3_b32 v10, v14, v11, v10
.LBB55_1620:
	s_or_b64 exec, exec, s[6:7]
	s_movk_i32 s4, 0xff
	v_and_b32_sdwa v11, v12, s4 dst_sel:DWORD dst_unused:UNUSED_PAD src0_sel:WORD_1 src1_sel:DWORD
	s_movk_i32 s4, 0x7f
	v_cmp_lt_i16_e32 vcc, s4, v11
	s_mov_b64 s[4:5], 0
                                        ; implicit-def: $sgpr10
	s_and_saveexec_b64 s[6:7], vcc
	s_xor_b64 s[6:7], exec, s[6:7]
	s_cbranch_execnz .LBB55_3669
; %bb.1621:
	s_or_saveexec_b64 s[6:7], s[6:7]
	v_mov_b32_e32 v14, s10
	s_xor_b64 exec, exec, s[6:7]
	s_cbranch_execnz .LBB55_3672
.LBB55_1622:
	s_or_b64 exec, exec, s[6:7]
	s_and_saveexec_b64 s[6:7], s[4:5]
	s_cbranch_execz .LBB55_1624
.LBB55_1623:
	v_bfe_u32 v11, v12, 16, 3
	v_ffbh_u32_e32 v20, v11
	v_min_u32_e32 v20, 32, v20
	v_lshrrev_b32_e32 v14, 19, v12
	v_subrev_u32_e32 v21, 28, v20
	v_and_b32_e32 v14, 15, v14
	v_lshlrev_b32_sdwa v21, v21, v12 dst_sel:DWORD dst_unused:UNUSED_PAD src0_sel:DWORD src1_sel:WORD_1
	v_bfe_u32 v15, v12, 19, 4
	v_sub_u32_e32 v20, 29, v20
	v_and_b32_e32 v21, 7, v21
	v_cmp_eq_u16_e32 vcc, 0, v14
	v_cndmask_b32_e32 v11, v11, v21, vcc
	v_cndmask_b32_e32 v14, v15, v20, vcc
	v_lshlrev_b32_e32 v15, 8, v12
	v_mov_b32_e32 v20, 0x3b800000
	v_lshlrev_b32_e32 v11, 20, v11
	v_and_b32_e32 v15, 0x80000000, v15
	v_lshl_add_u32 v14, v14, 23, v20
	v_or3_b32 v14, v15, v14, v11
.LBB55_1624:
	s_or_b64 exec, exec, s[6:7]
	s_nop 0
	v_mfma_f32_16x16x4f32 a[0:3], v10, v14, a[0:3]
	s_movk_i32 s4, 0x7f
	v_cmp_gt_i16_sdwa s[6:7], v16, s4 src0_sel:BYTE_3 src1_sel:DWORD
	s_mov_b64 s[4:5], 0
                                        ; implicit-def: $sgpr10
	s_and_saveexec_b64 s[8:9], s[6:7]
	s_xor_b64 s[6:7], exec, s[8:9]
	s_cbranch_execnz .LBB55_3673
; %bb.1625:
	s_or_saveexec_b64 s[6:7], s[6:7]
	v_mov_b32_e32 v10, s10
	s_xor_b64 exec, exec, s[6:7]
	s_cbranch_execnz .LBB55_3676
.LBB55_1626:
	s_or_b64 exec, exec, s[6:7]
	s_and_saveexec_b64 s[6:7], s[4:5]
	s_cbranch_execz .LBB55_1628
.LBB55_1627:
	v_bfe_u32 v10, v16, 24, 3
	v_ffbh_u32_e32 v20, v10
	v_min_u32_e32 v20, 32, v20
	v_lshrrev_b32_e32 v14, 27, v16
	v_subrev_u32_e32 v21, 28, v20
	v_and_b32_e32 v11, 0x80000000, v16
	v_and_b32_e32 v14, 15, v14
	v_bfe_u32 v15, v16, 27, 4
	v_lshlrev_b32_sdwa v16, v21, v16 dst_sel:DWORD dst_unused:UNUSED_PAD src0_sel:DWORD src1_sel:BYTE_3
	v_sub_u32_e32 v20, 29, v20
	v_and_b32_e32 v16, 7, v16
	v_cmp_eq_u16_e32 vcc, 0, v14
	v_cndmask_b32_e32 v10, v10, v16, vcc
	v_cndmask_b32_e32 v14, v15, v20, vcc
	v_mov_b32_e32 v15, 0x3b800000
	v_lshlrev_b32_e32 v10, 20, v10
	v_lshl_add_u32 v14, v14, 23, v15
	v_or3_b32 v10, v11, v14, v10
.LBB55_1628:
	s_or_b64 exec, exec, s[6:7]
	s_movk_i32 s4, 0x7f
	v_cmp_gt_i16_sdwa s[6:7], v12, s4 src0_sel:BYTE_3 src1_sel:DWORD
	s_mov_b64 s[4:5], 0
                                        ; implicit-def: $sgpr10
	s_and_saveexec_b64 s[8:9], s[6:7]
	s_xor_b64 s[6:7], exec, s[8:9]
	s_cbranch_execnz .LBB55_3677
; %bb.1629:
	s_or_saveexec_b64 s[6:7], s[6:7]
	v_mov_b32_e32 v11, s10
	s_xor_b64 exec, exec, s[6:7]
	s_cbranch_execnz .LBB55_3680
.LBB55_1630:
	s_or_b64 exec, exec, s[6:7]
	s_and_saveexec_b64 s[6:7], s[4:5]
	s_cbranch_execz .LBB55_1632
.LBB55_1631:
	v_bfe_u32 v11, v12, 24, 3
	v_ffbh_u32_e32 v20, v11
	v_min_u32_e32 v20, 32, v20
	v_lshrrev_b32_e32 v15, 27, v12
	v_subrev_u32_e32 v21, 28, v20
	v_and_b32_e32 v14, 0x80000000, v12
	v_and_b32_e32 v15, 15, v15
	v_bfe_u32 v16, v12, 27, 4
	v_lshlrev_b32_sdwa v12, v21, v12 dst_sel:DWORD dst_unused:UNUSED_PAD src0_sel:DWORD src1_sel:BYTE_3
	v_sub_u32_e32 v20, 29, v20
	v_and_b32_e32 v12, 7, v12
	v_cmp_eq_u16_e32 vcc, 0, v15
	v_cndmask_b32_e32 v11, v11, v12, vcc
	v_cndmask_b32_e32 v12, v16, v20, vcc
	v_mov_b32_e32 v15, 0x3b800000
	v_lshlrev_b32_e32 v11, 20, v11
	v_lshl_add_u32 v12, v12, 23, v15
	v_or3_b32 v11, v14, v12, v11
.LBB55_1632:
	s_or_b64 exec, exec, s[6:7]
	s_nop 0
	v_mfma_f32_16x16x4f32 a[0:3], v10, v11, a[0:3]
	s_movk_i32 s4, 0x7f
	v_cmp_gt_i16_sdwa s[6:7], v17, s4 src0_sel:BYTE_0 src1_sel:DWORD
	s_mov_b64 s[4:5], 0
                                        ; implicit-def: $sgpr10
	s_and_saveexec_b64 s[8:9], s[6:7]
	s_xor_b64 s[6:7], exec, s[8:9]
	s_cbranch_execnz .LBB55_3681
; %bb.1633:
	s_or_saveexec_b64 s[6:7], s[6:7]
	v_mov_b32_e32 v10, s10
	s_xor_b64 exec, exec, s[6:7]
	s_cbranch_execnz .LBB55_3684
.LBB55_1634:
	s_or_b64 exec, exec, s[6:7]
	s_and_saveexec_b64 s[6:7], s[4:5]
	s_cbranch_execz .LBB55_1636
.LBB55_1635:
	v_and_b32_e32 v10, 7, v17
	v_ffbh_u32_e32 v12, v10
	v_min_u32_e32 v12, 32, v12
	v_lshrrev_b16_e32 v11, 3, v17
	v_subrev_u32_e32 v14, 28, v12
	v_and_b32_e32 v11, 15, v11
	v_lshlrev_b32_e32 v14, v14, v17
	v_sub_u32_e32 v12, 29, v12
	v_and_b32_e32 v14, 7, v14
	v_cmp_eq_u16_e32 vcc, 0, v11
	v_cndmask_b32_e32 v10, v10, v14, vcc
	v_cndmask_b32_e32 v11, v11, v12, vcc
	v_lshlrev_b32_e32 v12, 24, v17
	v_mov_b32_e32 v14, 0x3b800000
	v_lshlrev_b32_e32 v10, 20, v10
	v_and_b32_e32 v12, 0x80000000, v12
	v_lshl_add_u32 v11, v11, 23, v14
	v_or3_b32 v10, v12, v11, v10
.LBB55_1636:
	s_or_b64 exec, exec, s[6:7]
	s_movk_i32 s4, 0x7f
	v_cmp_gt_i16_sdwa s[6:7], v13, s4 src0_sel:BYTE_0 src1_sel:DWORD
	s_mov_b64 s[4:5], 0
                                        ; implicit-def: $sgpr10
	s_and_saveexec_b64 s[8:9], s[6:7]
	s_xor_b64 s[6:7], exec, s[8:9]
	s_cbranch_execnz .LBB55_3685
; %bb.1637:
	s_or_saveexec_b64 s[6:7], s[6:7]
	v_mov_b32_e32 v11, s10
	s_xor_b64 exec, exec, s[6:7]
	s_cbranch_execnz .LBB55_3688
.LBB55_1638:
	s_or_b64 exec, exec, s[6:7]
	s_and_saveexec_b64 s[6:7], s[4:5]
	s_cbranch_execz .LBB55_1640
.LBB55_1639:
	v_and_b32_e32 v11, 7, v13
	v_ffbh_u32_e32 v14, v11
	v_min_u32_e32 v14, 32, v14
	v_lshrrev_b16_e32 v12, 3, v13
	v_subrev_u32_e32 v15, 28, v14
	v_and_b32_e32 v12, 15, v12
	v_lshlrev_b32_e32 v15, v15, v13
	v_sub_u32_e32 v14, 29, v14
	v_and_b32_e32 v15, 7, v15
	v_cmp_eq_u16_e32 vcc, 0, v12
	v_cndmask_b32_e32 v11, v11, v15, vcc
	v_cndmask_b32_e32 v12, v12, v14, vcc
	v_lshlrev_b32_e32 v14, 24, v13
	v_mov_b32_e32 v15, 0x3b800000
	v_lshlrev_b32_e32 v11, 20, v11
	v_and_b32_e32 v14, 0x80000000, v14
	v_lshl_add_u32 v12, v12, 23, v15
	v_or3_b32 v11, v14, v12, v11
.LBB55_1640:
	s_or_b64 exec, exec, s[6:7]
	s_nop 0
	v_mfma_f32_16x16x4f32 a[0:3], v10, v11, a[0:3]
	v_lshrrev_b32_e32 v11, 8, v17
	s_movk_i32 s4, 0x7f
	v_cmp_gt_i16_sdwa s[6:7], v11, s4 src0_sel:BYTE_0 src1_sel:DWORD
	s_mov_b64 s[4:5], 0
                                        ; implicit-def: $sgpr10
	s_and_saveexec_b64 s[8:9], s[6:7]
	s_xor_b64 s[6:7], exec, s[8:9]
	s_cbranch_execnz .LBB55_3689
; %bb.1641:
	s_or_saveexec_b64 s[6:7], s[6:7]
	v_mov_b32_e32 v10, s10
	s_xor_b64 exec, exec, s[6:7]
	s_cbranch_execnz .LBB55_3692
.LBB55_1642:
	s_or_b64 exec, exec, s[6:7]
	s_and_saveexec_b64 s[6:7], s[4:5]
	s_cbranch_execz .LBB55_1644
.LBB55_1643:
	v_bfe_u32 v10, v17, 8, 3
	v_ffbh_u32_e32 v14, v10
	v_min_u32_e32 v14, 32, v14
	v_lshrrev_b16_e32 v12, 3, v11
	v_subrev_u32_e32 v15, 28, v14
	v_and_b32_e32 v12, 15, v12
	v_lshlrev_b32_e32 v11, v15, v11
	v_sub_u32_e32 v14, 29, v14
	v_and_b32_e32 v11, 7, v11
	v_cmp_eq_u16_e32 vcc, 0, v12
	v_cndmask_b32_e32 v10, v10, v11, vcc
	v_cndmask_b32_e32 v11, v12, v14, vcc
	v_lshlrev_b32_e32 v12, 16, v17
	v_mov_b32_e32 v14, 0x3b800000
	v_lshlrev_b32_e32 v10, 20, v10
	v_and_b32_e32 v12, 0x80000000, v12
	v_lshl_add_u32 v11, v11, 23, v14
	v_or3_b32 v10, v12, v11, v10
.LBB55_1644:
	s_or_b64 exec, exec, s[6:7]
	v_lshrrev_b32_e32 v11, 8, v13
	s_movk_i32 s4, 0x7f
	v_cmp_gt_i16_sdwa s[6:7], v11, s4 src0_sel:BYTE_0 src1_sel:DWORD
	s_mov_b64 s[4:5], 0
                                        ; implicit-def: $sgpr10
	s_and_saveexec_b64 s[8:9], s[6:7]
	s_xor_b64 s[6:7], exec, s[8:9]
	s_cbranch_execnz .LBB55_3693
; %bb.1645:
	s_or_saveexec_b64 s[6:7], s[6:7]
	v_mov_b32_e32 v12, s10
	s_xor_b64 exec, exec, s[6:7]
	s_cbranch_execnz .LBB55_3696
.LBB55_1646:
	s_or_b64 exec, exec, s[6:7]
	s_and_saveexec_b64 s[6:7], s[4:5]
	s_cbranch_execz .LBB55_1648
.LBB55_1647:
	v_bfe_u32 v12, v13, 8, 3
	v_ffbh_u32_e32 v15, v12
	v_min_u32_e32 v15, 32, v15
	v_lshrrev_b16_e32 v14, 3, v11
	v_subrev_u32_e32 v16, 28, v15
	v_and_b32_e32 v14, 15, v14
	v_lshlrev_b32_e32 v11, v16, v11
	v_sub_u32_e32 v15, 29, v15
	v_and_b32_e32 v11, 7, v11
	v_cmp_eq_u16_e32 vcc, 0, v14
	v_cndmask_b32_e32 v11, v12, v11, vcc
	v_cndmask_b32_e32 v12, v14, v15, vcc
	v_lshlrev_b32_e32 v14, 16, v13
	v_mov_b32_e32 v15, 0x3b800000
	v_lshlrev_b32_e32 v11, 20, v11
	v_and_b32_e32 v14, 0x80000000, v14
	v_lshl_add_u32 v12, v12, 23, v15
	v_or3_b32 v12, v14, v12, v11
.LBB55_1648:
	s_or_b64 exec, exec, s[6:7]
	s_nop 0
	v_mfma_f32_16x16x4f32 a[0:3], v10, v12, a[0:3]
	s_movk_i32 s4, 0xff
	v_and_b32_sdwa v11, v17, s4 dst_sel:DWORD dst_unused:UNUSED_PAD src0_sel:WORD_1 src1_sel:DWORD
	s_movk_i32 s4, 0x7f
	v_cmp_lt_i16_e32 vcc, s4, v11
	s_mov_b64 s[4:5], 0
                                        ; implicit-def: $sgpr10
	s_and_saveexec_b64 s[6:7], vcc
	s_xor_b64 s[6:7], exec, s[6:7]
	s_cbranch_execnz .LBB55_3697
; %bb.1649:
	s_or_saveexec_b64 s[6:7], s[6:7]
	v_mov_b32_e32 v10, s10
	s_xor_b64 exec, exec, s[6:7]
	s_cbranch_execnz .LBB55_3700
.LBB55_1650:
	s_or_b64 exec, exec, s[6:7]
	s_and_saveexec_b64 s[6:7], s[4:5]
	s_cbranch_execz .LBB55_1652
.LBB55_1651:
	v_bfe_u32 v10, v17, 16, 3
	v_ffbh_u32_e32 v14, v10
	v_min_u32_e32 v14, 32, v14
	v_lshrrev_b32_e32 v11, 19, v17
	v_subrev_u32_e32 v15, 28, v14
	v_and_b32_e32 v11, 15, v11
	v_lshlrev_b32_sdwa v15, v15, v17 dst_sel:DWORD dst_unused:UNUSED_PAD src0_sel:DWORD src1_sel:WORD_1
	v_bfe_u32 v12, v17, 19, 4
	v_sub_u32_e32 v14, 29, v14
	v_and_b32_e32 v15, 7, v15
	v_cmp_eq_u16_e32 vcc, 0, v11
	v_cndmask_b32_e32 v10, v10, v15, vcc
	v_cndmask_b32_e32 v11, v12, v14, vcc
	v_lshlrev_b32_e32 v12, 8, v17
	v_mov_b32_e32 v14, 0x3b800000
	v_lshlrev_b32_e32 v10, 20, v10
	v_and_b32_e32 v12, 0x80000000, v12
	v_lshl_add_u32 v11, v11, 23, v14
	v_or3_b32 v10, v12, v11, v10
.LBB55_1652:
	s_or_b64 exec, exec, s[6:7]
	s_movk_i32 s4, 0xff
	v_and_b32_sdwa v11, v13, s4 dst_sel:DWORD dst_unused:UNUSED_PAD src0_sel:WORD_1 src1_sel:DWORD
	s_movk_i32 s4, 0x7f
	v_cmp_lt_i16_e32 vcc, s4, v11
	s_mov_b64 s[4:5], 0
                                        ; implicit-def: $sgpr10
	s_and_saveexec_b64 s[6:7], vcc
	s_xor_b64 s[6:7], exec, s[6:7]
	s_cbranch_execnz .LBB55_3701
; %bb.1653:
	s_or_saveexec_b64 s[6:7], s[6:7]
	v_mov_b32_e32 v12, s10
	s_xor_b64 exec, exec, s[6:7]
	s_cbranch_execnz .LBB55_3704
.LBB55_1654:
	s_or_b64 exec, exec, s[6:7]
	s_and_saveexec_b64 s[6:7], s[4:5]
	s_cbranch_execz .LBB55_1656
.LBB55_1655:
	v_bfe_u32 v11, v13, 16, 3
	v_ffbh_u32_e32 v15, v11
	v_min_u32_e32 v15, 32, v15
	v_lshrrev_b32_e32 v12, 19, v13
	v_subrev_u32_e32 v16, 28, v15
	v_and_b32_e32 v12, 15, v12
	v_lshlrev_b32_sdwa v16, v16, v13 dst_sel:DWORD dst_unused:UNUSED_PAD src0_sel:DWORD src1_sel:WORD_1
	v_bfe_u32 v14, v13, 19, 4
	v_sub_u32_e32 v15, 29, v15
	v_and_b32_e32 v16, 7, v16
	v_cmp_eq_u16_e32 vcc, 0, v12
	v_cndmask_b32_e32 v11, v11, v16, vcc
	v_cndmask_b32_e32 v12, v14, v15, vcc
	v_lshlrev_b32_e32 v14, 8, v13
	v_mov_b32_e32 v15, 0x3b800000
	v_lshlrev_b32_e32 v11, 20, v11
	v_and_b32_e32 v14, 0x80000000, v14
	v_lshl_add_u32 v12, v12, 23, v15
	v_or3_b32 v12, v14, v12, v11
.LBB55_1656:
	s_or_b64 exec, exec, s[6:7]
	s_nop 0
	v_mfma_f32_16x16x4f32 a[0:3], v10, v12, a[0:3]
	s_movk_i32 s4, 0x7f
	v_cmp_gt_i16_sdwa s[6:7], v17, s4 src0_sel:BYTE_3 src1_sel:DWORD
	s_mov_b64 s[4:5], 0
                                        ; implicit-def: $sgpr10
	s_and_saveexec_b64 s[8:9], s[6:7]
	s_xor_b64 s[6:7], exec, s[8:9]
	s_cbranch_execnz .LBB55_3705
; %bb.1657:
	s_or_saveexec_b64 s[6:7], s[6:7]
	v_mov_b32_e32 v10, s10
	s_xor_b64 exec, exec, s[6:7]
	s_cbranch_execnz .LBB55_3708
.LBB55_1658:
	s_or_b64 exec, exec, s[6:7]
	s_and_saveexec_b64 s[6:7], s[4:5]
	s_cbranch_execz .LBB55_1660
.LBB55_1659:
	v_bfe_u32 v10, v17, 24, 3
	v_ffbh_u32_e32 v15, v10
	v_min_u32_e32 v15, 32, v15
	v_lshrrev_b32_e32 v12, 27, v17
	v_subrev_u32_e32 v16, 28, v15
	v_and_b32_e32 v12, 15, v12
	v_lshlrev_b32_sdwa v16, v16, v17 dst_sel:DWORD dst_unused:UNUSED_PAD src0_sel:DWORD src1_sel:BYTE_3
	v_bfe_u32 v14, v17, 27, 4
	v_sub_u32_e32 v15, 29, v15
	v_and_b32_e32 v16, 7, v16
	v_cmp_eq_u16_e32 vcc, 0, v12
	v_cndmask_b32_e32 v10, v10, v16, vcc
	v_cndmask_b32_e32 v12, v14, v15, vcc
	v_mov_b32_e32 v14, 0x3b800000
	v_and_b32_e32 v11, 0x80000000, v17
	v_lshlrev_b32_e32 v10, 20, v10
	v_lshl_add_u32 v12, v12, 23, v14
	v_or3_b32 v10, v11, v12, v10
.LBB55_1660:
	s_or_b64 exec, exec, s[6:7]
	s_movk_i32 s4, 0x7f
	v_cmp_gt_i16_sdwa s[6:7], v13, s4 src0_sel:BYTE_3 src1_sel:DWORD
	s_mov_b64 s[4:5], 0
                                        ; implicit-def: $sgpr10
	s_and_saveexec_b64 s[8:9], s[6:7]
	s_xor_b64 s[6:7], exec, s[8:9]
	s_cbranch_execnz .LBB55_3709
; %bb.1661:
	s_or_saveexec_b64 s[6:7], s[6:7]
	v_mov_b32_e32 v11, s10
	s_xor_b64 exec, exec, s[6:7]
	s_cbranch_execnz .LBB55_3712
.LBB55_1662:
	s_or_b64 exec, exec, s[6:7]
	s_and_saveexec_b64 s[6:7], s[4:5]
	s_cbranch_execz .LBB55_1664
.LBB55_1663:
	v_bfe_u32 v11, v13, 24, 3
	v_ffbh_u32_e32 v16, v11
	v_min_u32_e32 v16, 32, v16
	v_lshrrev_b32_e32 v14, 27, v13
	v_subrev_u32_e32 v17, 28, v16
	v_and_b32_e32 v12, 0x80000000, v13
	v_and_b32_e32 v14, 15, v14
	v_bfe_u32 v15, v13, 27, 4
	v_lshlrev_b32_sdwa v13, v17, v13 dst_sel:DWORD dst_unused:UNUSED_PAD src0_sel:DWORD src1_sel:BYTE_3
	v_sub_u32_e32 v16, 29, v16
	v_and_b32_e32 v13, 7, v13
	v_cmp_eq_u16_e32 vcc, 0, v14
	v_cndmask_b32_e32 v11, v11, v13, vcc
	v_cndmask_b32_e32 v13, v15, v16, vcc
	v_mov_b32_e32 v14, 0x3b800000
	v_lshlrev_b32_e32 v11, 20, v11
	v_lshl_add_u32 v13, v13, 23, v14
	v_or3_b32 v11, v12, v13, v11
.LBB55_1664:
	s_or_b64 exec, exec, s[6:7]
	s_nop 0
	v_mfma_f32_16x16x4f32 a[0:3], v10, v11, a[0:3]
	s_movk_i32 s4, 0x7f
	v_cmp_gt_i16_sdwa s[6:7], v6, s4 src0_sel:BYTE_0 src1_sel:DWORD
	s_mov_b64 s[4:5], 0
                                        ; implicit-def: $sgpr10
	s_and_saveexec_b64 s[8:9], s[6:7]
	s_xor_b64 s[6:7], exec, s[8:9]
	s_cbranch_execnz .LBB55_3713
; %bb.1665:
	s_or_saveexec_b64 s[6:7], s[6:7]
	v_mov_b32_e32 v10, s10
	s_xor_b64 exec, exec, s[6:7]
	s_cbranch_execnz .LBB55_3716
.LBB55_1666:
	s_or_b64 exec, exec, s[6:7]
	s_and_saveexec_b64 s[6:7], s[4:5]
	s_cbranch_execz .LBB55_1668
.LBB55_1667:
	v_and_b32_e32 v10, 7, v6
	v_ffbh_u32_e32 v12, v10
	v_min_u32_e32 v12, 32, v12
	v_lshrrev_b16_e32 v11, 3, v6
	v_subrev_u32_e32 v13, 28, v12
	v_and_b32_e32 v11, 15, v11
	v_lshlrev_b32_e32 v13, v13, v6
	v_sub_u32_e32 v12, 29, v12
	v_and_b32_e32 v13, 7, v13
	v_cmp_eq_u16_e32 vcc, 0, v11
	v_cndmask_b32_e32 v10, v10, v13, vcc
	v_cndmask_b32_e32 v11, v11, v12, vcc
	v_lshlrev_b32_e32 v12, 24, v6
	v_mov_b32_e32 v13, 0x3b800000
	v_lshlrev_b32_e32 v10, 20, v10
	v_and_b32_e32 v12, 0x80000000, v12
	v_lshl_add_u32 v11, v11, 23, v13
	v_or3_b32 v10, v12, v11, v10
.LBB55_1668:
	s_or_b64 exec, exec, s[6:7]
	s_movk_i32 s4, 0x7f
	v_cmp_gt_i16_sdwa s[6:7], v2, s4 src0_sel:BYTE_0 src1_sel:DWORD
	s_mov_b64 s[4:5], 0
                                        ; implicit-def: $sgpr10
	s_and_saveexec_b64 s[8:9], s[6:7]
	s_xor_b64 s[6:7], exec, s[8:9]
	s_cbranch_execnz .LBB55_3717
; %bb.1669:
	s_or_saveexec_b64 s[6:7], s[6:7]
	v_mov_b32_e32 v11, s10
	s_xor_b64 exec, exec, s[6:7]
	s_cbranch_execnz .LBB55_3720
.LBB55_1670:
	s_or_b64 exec, exec, s[6:7]
	s_and_saveexec_b64 s[6:7], s[4:5]
	s_cbranch_execz .LBB55_1672
.LBB55_1671:
	v_and_b32_e32 v11, 7, v2
	v_ffbh_u32_e32 v13, v11
	v_min_u32_e32 v13, 32, v13
	v_lshrrev_b16_e32 v12, 3, v2
	v_subrev_u32_e32 v14, 28, v13
	v_and_b32_e32 v12, 15, v12
	v_lshlrev_b32_e32 v14, v14, v2
	v_sub_u32_e32 v13, 29, v13
	v_and_b32_e32 v14, 7, v14
	v_cmp_eq_u16_e32 vcc, 0, v12
	v_cndmask_b32_e32 v11, v11, v14, vcc
	v_cndmask_b32_e32 v12, v12, v13, vcc
	v_lshlrev_b32_e32 v13, 24, v2
	v_mov_b32_e32 v14, 0x3b800000
	v_lshlrev_b32_e32 v11, 20, v11
	v_and_b32_e32 v13, 0x80000000, v13
	v_lshl_add_u32 v12, v12, 23, v14
	v_or3_b32 v11, v13, v12, v11
.LBB55_1672:
	s_or_b64 exec, exec, s[6:7]
	s_nop 0
	v_mfma_f32_16x16x4f32 a[0:3], v10, v11, a[0:3]
	v_lshrrev_b32_e32 v11, 8, v6
	s_movk_i32 s4, 0x7f
	v_cmp_gt_i16_sdwa s[6:7], v11, s4 src0_sel:BYTE_0 src1_sel:DWORD
	s_mov_b64 s[4:5], 0
                                        ; implicit-def: $sgpr10
	s_and_saveexec_b64 s[8:9], s[6:7]
	s_xor_b64 s[6:7], exec, s[8:9]
	s_cbranch_execnz .LBB55_3721
; %bb.1673:
	s_or_saveexec_b64 s[6:7], s[6:7]
	v_mov_b32_e32 v10, s10
	s_xor_b64 exec, exec, s[6:7]
	s_cbranch_execnz .LBB55_3724
.LBB55_1674:
	s_or_b64 exec, exec, s[6:7]
	s_and_saveexec_b64 s[6:7], s[4:5]
	s_cbranch_execz .LBB55_1676
.LBB55_1675:
	v_bfe_u32 v10, v6, 8, 3
	v_ffbh_u32_e32 v13, v10
	v_min_u32_e32 v13, 32, v13
	v_lshrrev_b16_e32 v12, 3, v11
	v_subrev_u32_e32 v14, 28, v13
	v_and_b32_e32 v12, 15, v12
	v_lshlrev_b32_e32 v11, v14, v11
	v_sub_u32_e32 v13, 29, v13
	v_and_b32_e32 v11, 7, v11
	v_cmp_eq_u16_e32 vcc, 0, v12
	v_cndmask_b32_e32 v10, v10, v11, vcc
	v_cndmask_b32_e32 v11, v12, v13, vcc
	v_lshlrev_b32_e32 v12, 16, v6
	v_mov_b32_e32 v13, 0x3b800000
	v_lshlrev_b32_e32 v10, 20, v10
	v_and_b32_e32 v12, 0x80000000, v12
	v_lshl_add_u32 v11, v11, 23, v13
	v_or3_b32 v10, v12, v11, v10
.LBB55_1676:
	s_or_b64 exec, exec, s[6:7]
	v_lshrrev_b32_e32 v11, 8, v2
	s_movk_i32 s4, 0x7f
	v_cmp_gt_i16_sdwa s[6:7], v11, s4 src0_sel:BYTE_0 src1_sel:DWORD
	s_mov_b64 s[4:5], 0
                                        ; implicit-def: $sgpr10
	s_and_saveexec_b64 s[8:9], s[6:7]
	s_xor_b64 s[6:7], exec, s[8:9]
	s_cbranch_execnz .LBB55_3725
; %bb.1677:
	s_or_saveexec_b64 s[6:7], s[6:7]
	v_mov_b32_e32 v12, s10
	s_xor_b64 exec, exec, s[6:7]
	s_cbranch_execnz .LBB55_3728
.LBB55_1678:
	s_or_b64 exec, exec, s[6:7]
	s_and_saveexec_b64 s[6:7], s[4:5]
	s_cbranch_execz .LBB55_1680
.LBB55_1679:
	v_bfe_u32 v12, v2, 8, 3
	v_ffbh_u32_e32 v14, v12
	v_min_u32_e32 v14, 32, v14
	v_lshrrev_b16_e32 v13, 3, v11
	v_subrev_u32_e32 v15, 28, v14
	v_and_b32_e32 v13, 15, v13
	v_lshlrev_b32_e32 v11, v15, v11
	v_sub_u32_e32 v14, 29, v14
	v_and_b32_e32 v11, 7, v11
	v_cmp_eq_u16_e32 vcc, 0, v13
	v_cndmask_b32_e32 v11, v12, v11, vcc
	v_cndmask_b32_e32 v12, v13, v14, vcc
	v_lshlrev_b32_e32 v13, 16, v2
	v_mov_b32_e32 v14, 0x3b800000
	v_lshlrev_b32_e32 v11, 20, v11
	v_and_b32_e32 v13, 0x80000000, v13
	v_lshl_add_u32 v12, v12, 23, v14
	v_or3_b32 v12, v13, v12, v11
.LBB55_1680:
	s_or_b64 exec, exec, s[6:7]
	s_nop 0
	v_mfma_f32_16x16x4f32 a[0:3], v10, v12, a[0:3]
	s_movk_i32 s4, 0xff
	v_and_b32_sdwa v11, v6, s4 dst_sel:DWORD dst_unused:UNUSED_PAD src0_sel:WORD_1 src1_sel:DWORD
	s_movk_i32 s4, 0x7f
	v_cmp_lt_i16_e32 vcc, s4, v11
	s_mov_b64 s[4:5], 0
                                        ; implicit-def: $sgpr10
	s_and_saveexec_b64 s[6:7], vcc
	s_xor_b64 s[6:7], exec, s[6:7]
	s_cbranch_execnz .LBB55_3729
; %bb.1681:
	s_or_saveexec_b64 s[6:7], s[6:7]
	v_mov_b32_e32 v10, s10
	s_xor_b64 exec, exec, s[6:7]
	s_cbranch_execnz .LBB55_3732
.LBB55_1682:
	s_or_b64 exec, exec, s[6:7]
	s_and_saveexec_b64 s[6:7], s[4:5]
	s_cbranch_execz .LBB55_1684
.LBB55_1683:
	v_bfe_u32 v10, v6, 16, 3
	v_ffbh_u32_e32 v13, v10
	v_min_u32_e32 v13, 32, v13
	v_lshrrev_b32_e32 v11, 19, v6
	v_subrev_u32_e32 v14, 28, v13
	v_and_b32_e32 v11, 15, v11
	v_lshlrev_b32_sdwa v14, v14, v6 dst_sel:DWORD dst_unused:UNUSED_PAD src0_sel:DWORD src1_sel:WORD_1
	v_bfe_u32 v12, v6, 19, 4
	v_sub_u32_e32 v13, 29, v13
	v_and_b32_e32 v14, 7, v14
	v_cmp_eq_u16_e32 vcc, 0, v11
	v_cndmask_b32_e32 v10, v10, v14, vcc
	v_cndmask_b32_e32 v11, v12, v13, vcc
	v_lshlrev_b32_e32 v12, 8, v6
	v_mov_b32_e32 v13, 0x3b800000
	v_lshlrev_b32_e32 v10, 20, v10
	v_and_b32_e32 v12, 0x80000000, v12
	v_lshl_add_u32 v11, v11, 23, v13
	v_or3_b32 v10, v12, v11, v10
.LBB55_1684:
	s_or_b64 exec, exec, s[6:7]
	s_movk_i32 s4, 0xff
	v_and_b32_sdwa v11, v2, s4 dst_sel:DWORD dst_unused:UNUSED_PAD src0_sel:WORD_1 src1_sel:DWORD
	s_movk_i32 s4, 0x7f
	v_cmp_lt_i16_e32 vcc, s4, v11
	s_mov_b64 s[4:5], 0
                                        ; implicit-def: $sgpr10
	s_and_saveexec_b64 s[6:7], vcc
	s_xor_b64 s[6:7], exec, s[6:7]
	s_cbranch_execnz .LBB55_3733
; %bb.1685:
	s_or_saveexec_b64 s[6:7], s[6:7]
	v_mov_b32_e32 v12, s10
	s_xor_b64 exec, exec, s[6:7]
	s_cbranch_execnz .LBB55_3736
.LBB55_1686:
	s_or_b64 exec, exec, s[6:7]
	s_and_saveexec_b64 s[6:7], s[4:5]
	s_cbranch_execz .LBB55_1688
.LBB55_1687:
	v_bfe_u32 v11, v2, 16, 3
	v_ffbh_u32_e32 v14, v11
	v_min_u32_e32 v14, 32, v14
	v_lshrrev_b32_e32 v12, 19, v2
	v_subrev_u32_e32 v15, 28, v14
	v_and_b32_e32 v12, 15, v12
	v_lshlrev_b32_sdwa v15, v15, v2 dst_sel:DWORD dst_unused:UNUSED_PAD src0_sel:DWORD src1_sel:WORD_1
	v_bfe_u32 v13, v2, 19, 4
	v_sub_u32_e32 v14, 29, v14
	v_and_b32_e32 v15, 7, v15
	v_cmp_eq_u16_e32 vcc, 0, v12
	v_cndmask_b32_e32 v11, v11, v15, vcc
	v_cndmask_b32_e32 v12, v13, v14, vcc
	v_lshlrev_b32_e32 v13, 8, v2
	v_mov_b32_e32 v14, 0x3b800000
	v_lshlrev_b32_e32 v11, 20, v11
	v_and_b32_e32 v13, 0x80000000, v13
	v_lshl_add_u32 v12, v12, 23, v14
	v_or3_b32 v12, v13, v12, v11
.LBB55_1688:
	s_or_b64 exec, exec, s[6:7]
	s_nop 0
	v_mfma_f32_16x16x4f32 a[0:3], v10, v12, a[0:3]
	s_movk_i32 s4, 0x7f
	v_cmp_gt_i16_sdwa s[6:7], v6, s4 src0_sel:BYTE_3 src1_sel:DWORD
	s_mov_b64 s[4:5], 0
                                        ; implicit-def: $sgpr10
	s_and_saveexec_b64 s[8:9], s[6:7]
	s_xor_b64 s[6:7], exec, s[8:9]
	s_cbranch_execnz .LBB55_3737
; %bb.1689:
	s_or_saveexec_b64 s[6:7], s[6:7]
	v_mov_b32_e32 v10, s10
	s_xor_b64 exec, exec, s[6:7]
	s_cbranch_execnz .LBB55_3740
.LBB55_1690:
	s_or_b64 exec, exec, s[6:7]
	s_and_saveexec_b64 s[6:7], s[4:5]
	s_cbranch_execz .LBB55_1692
.LBB55_1691:
	v_bfe_u32 v10, v6, 24, 3
	v_ffbh_u32_e32 v14, v10
	v_min_u32_e32 v14, 32, v14
	v_lshrrev_b32_e32 v12, 27, v6
	v_subrev_u32_e32 v15, 28, v14
	v_and_b32_e32 v11, 0x80000000, v6
	v_and_b32_e32 v12, 15, v12
	v_bfe_u32 v13, v6, 27, 4
	v_lshlrev_b32_sdwa v6, v15, v6 dst_sel:DWORD dst_unused:UNUSED_PAD src0_sel:DWORD src1_sel:BYTE_3
	v_sub_u32_e32 v14, 29, v14
	v_and_b32_e32 v6, 7, v6
	v_cmp_eq_u16_e32 vcc, 0, v12
	v_cndmask_b32_e32 v6, v10, v6, vcc
	v_cndmask_b32_e32 v10, v13, v14, vcc
	v_mov_b32_e32 v12, 0x3b800000
	v_lshlrev_b32_e32 v6, 20, v6
	v_lshl_add_u32 v10, v10, 23, v12
	v_or3_b32 v10, v11, v10, v6
.LBB55_1692:
	s_or_b64 exec, exec, s[6:7]
	s_movk_i32 s4, 0x7f
	v_cmp_gt_i16_sdwa s[6:7], v2, s4 src0_sel:BYTE_3 src1_sel:DWORD
	s_mov_b64 s[4:5], 0
                                        ; implicit-def: $sgpr10
	s_and_saveexec_b64 s[8:9], s[6:7]
	s_xor_b64 s[6:7], exec, s[8:9]
	s_cbranch_execnz .LBB55_3741
; %bb.1693:
	s_or_saveexec_b64 s[6:7], s[6:7]
	v_mov_b32_e32 v6, s10
	s_xor_b64 exec, exec, s[6:7]
	s_cbranch_execnz .LBB55_3744
.LBB55_1694:
	s_or_b64 exec, exec, s[6:7]
	s_and_saveexec_b64 s[6:7], s[4:5]
	s_cbranch_execz .LBB55_1696
.LBB55_1695:
	v_bfe_u32 v6, v2, 24, 3
	v_ffbh_u32_e32 v14, v6
	v_min_u32_e32 v14, 32, v14
	v_lshrrev_b32_e32 v12, 27, v2
	v_subrev_u32_e32 v15, 28, v14
	v_and_b32_e32 v11, 0x80000000, v2
	v_and_b32_e32 v12, 15, v12
	v_bfe_u32 v13, v2, 27, 4
	v_lshlrev_b32_sdwa v2, v15, v2 dst_sel:DWORD dst_unused:UNUSED_PAD src0_sel:DWORD src1_sel:BYTE_3
	v_sub_u32_e32 v14, 29, v14
	v_and_b32_e32 v2, 7, v2
	v_cmp_eq_u16_e32 vcc, 0, v12
	v_cndmask_b32_e32 v2, v6, v2, vcc
	v_cndmask_b32_e32 v6, v13, v14, vcc
	v_mov_b32_e32 v12, 0x3b800000
	v_lshlrev_b32_e32 v2, 20, v2
	v_lshl_add_u32 v6, v6, 23, v12
	v_or3_b32 v6, v11, v6, v2
.LBB55_1696:
	s_or_b64 exec, exec, s[6:7]
	s_nop 0
	v_mfma_f32_16x16x4f32 a[0:3], v10, v6, a[0:3]
	s_movk_i32 s4, 0x7f
	v_cmp_gt_i16_sdwa s[6:7], v7, s4 src0_sel:BYTE_0 src1_sel:DWORD
	s_mov_b64 s[4:5], 0
                                        ; implicit-def: $sgpr10
	s_and_saveexec_b64 s[8:9], s[6:7]
	s_xor_b64 s[6:7], exec, s[8:9]
	s_cbranch_execnz .LBB55_3745
; %bb.1697:
	s_or_saveexec_b64 s[6:7], s[6:7]
	v_mov_b32_e32 v2, s10
	s_xor_b64 exec, exec, s[6:7]
	s_cbranch_execnz .LBB55_3748
.LBB55_1698:
	s_or_b64 exec, exec, s[6:7]
	s_and_saveexec_b64 s[6:7], s[4:5]
	s_cbranch_execz .LBB55_1700
.LBB55_1699:
	v_and_b32_e32 v2, 7, v7
	v_ffbh_u32_e32 v10, v2
	v_min_u32_e32 v10, 32, v10
	v_lshrrev_b16_e32 v6, 3, v7
	v_subrev_u32_e32 v11, 28, v10
	v_and_b32_e32 v6, 15, v6
	v_lshlrev_b32_e32 v11, v11, v7
	v_sub_u32_e32 v10, 29, v10
	v_and_b32_e32 v11, 7, v11
	v_cmp_eq_u16_e32 vcc, 0, v6
	v_cndmask_b32_e32 v2, v2, v11, vcc
	v_cndmask_b32_e32 v6, v6, v10, vcc
	v_lshlrev_b32_e32 v10, 24, v7
	v_mov_b32_e32 v11, 0x3b800000
	v_lshlrev_b32_e32 v2, 20, v2
	v_and_b32_e32 v10, 0x80000000, v10
	v_lshl_add_u32 v6, v6, 23, v11
	v_or3_b32 v2, v10, v6, v2
.LBB55_1700:
	s_or_b64 exec, exec, s[6:7]
	s_movk_i32 s4, 0x7f
	v_cmp_gt_i16_sdwa s[6:7], v3, s4 src0_sel:BYTE_0 src1_sel:DWORD
	s_mov_b64 s[4:5], 0
                                        ; implicit-def: $sgpr10
	s_and_saveexec_b64 s[8:9], s[6:7]
	s_xor_b64 s[6:7], exec, s[8:9]
	s_cbranch_execnz .LBB55_3749
; %bb.1701:
	s_or_saveexec_b64 s[6:7], s[6:7]
	v_mov_b32_e32 v6, s10
	s_xor_b64 exec, exec, s[6:7]
	s_cbranch_execnz .LBB55_3752
.LBB55_1702:
	s_or_b64 exec, exec, s[6:7]
	s_and_saveexec_b64 s[6:7], s[4:5]
	s_cbranch_execz .LBB55_1704
.LBB55_1703:
	v_and_b32_e32 v6, 7, v3
	v_ffbh_u32_e32 v11, v6
	v_min_u32_e32 v11, 32, v11
	v_lshrrev_b16_e32 v10, 3, v3
	v_subrev_u32_e32 v12, 28, v11
	v_and_b32_e32 v10, 15, v10
	v_lshlrev_b32_e32 v12, v12, v3
	v_sub_u32_e32 v11, 29, v11
	v_and_b32_e32 v12, 7, v12
	v_cmp_eq_u16_e32 vcc, 0, v10
	v_cndmask_b32_e32 v6, v6, v12, vcc
	v_cndmask_b32_e32 v10, v10, v11, vcc
	v_lshlrev_b32_e32 v11, 24, v3
	v_mov_b32_e32 v12, 0x3b800000
	v_lshlrev_b32_e32 v6, 20, v6
	v_and_b32_e32 v11, 0x80000000, v11
	v_lshl_add_u32 v10, v10, 23, v12
	v_or3_b32 v6, v11, v10, v6
.LBB55_1704:
	s_or_b64 exec, exec, s[6:7]
	s_nop 0
	v_mfma_f32_16x16x4f32 a[0:3], v2, v6, a[0:3]
	v_lshrrev_b32_e32 v6, 8, v7
	s_movk_i32 s4, 0x7f
	v_cmp_gt_i16_sdwa s[6:7], v6, s4 src0_sel:BYTE_0 src1_sel:DWORD
	s_mov_b64 s[4:5], 0
                                        ; implicit-def: $sgpr10
	s_and_saveexec_b64 s[8:9], s[6:7]
	s_xor_b64 s[6:7], exec, s[8:9]
	s_cbranch_execnz .LBB55_3753
; %bb.1705:
	s_or_saveexec_b64 s[6:7], s[6:7]
	v_mov_b32_e32 v2, s10
	s_xor_b64 exec, exec, s[6:7]
	s_cbranch_execnz .LBB55_3756
.LBB55_1706:
	s_or_b64 exec, exec, s[6:7]
	s_and_saveexec_b64 s[6:7], s[4:5]
	s_cbranch_execz .LBB55_1708
.LBB55_1707:
	v_bfe_u32 v2, v7, 8, 3
	v_ffbh_u32_e32 v11, v2
	v_min_u32_e32 v11, 32, v11
	v_lshrrev_b16_e32 v10, 3, v6
	v_subrev_u32_e32 v12, 28, v11
	v_and_b32_e32 v10, 15, v10
	v_lshlrev_b32_e32 v6, v12, v6
	v_sub_u32_e32 v11, 29, v11
	v_and_b32_e32 v6, 7, v6
	v_cmp_eq_u16_e32 vcc, 0, v10
	v_cndmask_b32_e32 v2, v2, v6, vcc
	v_cndmask_b32_e32 v6, v10, v11, vcc
	v_lshlrev_b32_e32 v10, 16, v7
	v_mov_b32_e32 v11, 0x3b800000
	v_lshlrev_b32_e32 v2, 20, v2
	v_and_b32_e32 v10, 0x80000000, v10
	v_lshl_add_u32 v6, v6, 23, v11
	v_or3_b32 v2, v10, v6, v2
.LBB55_1708:
	s_or_b64 exec, exec, s[6:7]
	v_lshrrev_b32_e32 v6, 8, v3
	s_movk_i32 s4, 0x7f
	v_cmp_gt_i16_sdwa s[6:7], v6, s4 src0_sel:BYTE_0 src1_sel:DWORD
	s_mov_b64 s[4:5], 0
                                        ; implicit-def: $sgpr10
	s_and_saveexec_b64 s[8:9], s[6:7]
	s_xor_b64 s[6:7], exec, s[8:9]
	s_cbranch_execnz .LBB55_3757
; %bb.1709:
	s_or_saveexec_b64 s[6:7], s[6:7]
	v_mov_b32_e32 v10, s10
	s_xor_b64 exec, exec, s[6:7]
	s_cbranch_execnz .LBB55_3760
.LBB55_1710:
	s_or_b64 exec, exec, s[6:7]
	s_and_saveexec_b64 s[6:7], s[4:5]
	s_cbranch_execz .LBB55_1712
.LBB55_1711:
	v_bfe_u32 v10, v3, 8, 3
	v_ffbh_u32_e32 v12, v10
	v_min_u32_e32 v12, 32, v12
	v_lshrrev_b16_e32 v11, 3, v6
	v_subrev_u32_e32 v13, 28, v12
	v_and_b32_e32 v11, 15, v11
	v_lshlrev_b32_e32 v6, v13, v6
	v_sub_u32_e32 v12, 29, v12
	v_and_b32_e32 v6, 7, v6
	v_cmp_eq_u16_e32 vcc, 0, v11
	v_cndmask_b32_e32 v6, v10, v6, vcc
	v_cndmask_b32_e32 v10, v11, v12, vcc
	v_lshlrev_b32_e32 v11, 16, v3
	v_mov_b32_e32 v12, 0x3b800000
	v_lshlrev_b32_e32 v6, 20, v6
	v_and_b32_e32 v11, 0x80000000, v11
	v_lshl_add_u32 v10, v10, 23, v12
	v_or3_b32 v10, v11, v10, v6
.LBB55_1712:
	s_or_b64 exec, exec, s[6:7]
	s_nop 0
	v_mfma_f32_16x16x4f32 a[0:3], v2, v10, a[0:3]
	s_movk_i32 s4, 0xff
	v_and_b32_sdwa v6, v7, s4 dst_sel:DWORD dst_unused:UNUSED_PAD src0_sel:WORD_1 src1_sel:DWORD
	s_movk_i32 s4, 0x7f
	v_cmp_lt_i16_e32 vcc, s4, v6
	s_mov_b64 s[4:5], 0
                                        ; implicit-def: $sgpr10
	s_and_saveexec_b64 s[6:7], vcc
	s_xor_b64 s[6:7], exec, s[6:7]
	s_cbranch_execnz .LBB55_3761
; %bb.1713:
	s_or_saveexec_b64 s[6:7], s[6:7]
	v_mov_b32_e32 v2, s10
	s_xor_b64 exec, exec, s[6:7]
	s_cbranch_execnz .LBB55_3764
.LBB55_1714:
	s_or_b64 exec, exec, s[6:7]
	s_and_saveexec_b64 s[6:7], s[4:5]
	s_cbranch_execz .LBB55_1716
.LBB55_1715:
	v_bfe_u32 v2, v7, 16, 3
	v_ffbh_u32_e32 v11, v2
	v_min_u32_e32 v11, 32, v11
	v_lshrrev_b32_e32 v6, 19, v7
	v_subrev_u32_e32 v12, 28, v11
	v_and_b32_e32 v6, 15, v6
	v_lshlrev_b32_sdwa v12, v12, v7 dst_sel:DWORD dst_unused:UNUSED_PAD src0_sel:DWORD src1_sel:WORD_1
	v_bfe_u32 v10, v7, 19, 4
	v_sub_u32_e32 v11, 29, v11
	v_and_b32_e32 v12, 7, v12
	v_cmp_eq_u16_e32 vcc, 0, v6
	v_cndmask_b32_e32 v2, v2, v12, vcc
	v_cndmask_b32_e32 v6, v10, v11, vcc
	v_lshlrev_b32_e32 v10, 8, v7
	v_mov_b32_e32 v11, 0x3b800000
	v_lshlrev_b32_e32 v2, 20, v2
	v_and_b32_e32 v10, 0x80000000, v10
	v_lshl_add_u32 v6, v6, 23, v11
	v_or3_b32 v2, v10, v6, v2
.LBB55_1716:
	s_or_b64 exec, exec, s[6:7]
	s_movk_i32 s4, 0xff
	v_and_b32_sdwa v6, v3, s4 dst_sel:DWORD dst_unused:UNUSED_PAD src0_sel:WORD_1 src1_sel:DWORD
	s_movk_i32 s4, 0x7f
	v_cmp_lt_i16_e32 vcc, s4, v6
	s_mov_b64 s[4:5], 0
                                        ; implicit-def: $sgpr10
	s_and_saveexec_b64 s[6:7], vcc
	s_xor_b64 s[6:7], exec, s[6:7]
	s_cbranch_execnz .LBB55_3765
; %bb.1717:
	s_or_saveexec_b64 s[6:7], s[6:7]
	v_mov_b32_e32 v10, s10
	s_xor_b64 exec, exec, s[6:7]
	s_cbranch_execnz .LBB55_3768
.LBB55_1718:
	s_or_b64 exec, exec, s[6:7]
	s_and_saveexec_b64 s[6:7], s[4:5]
	s_cbranch_execz .LBB55_1720
.LBB55_1719:
	v_bfe_u32 v6, v3, 16, 3
	v_ffbh_u32_e32 v12, v6
	v_min_u32_e32 v12, 32, v12
	v_lshrrev_b32_e32 v10, 19, v3
	v_subrev_u32_e32 v13, 28, v12
	v_and_b32_e32 v10, 15, v10
	v_lshlrev_b32_sdwa v13, v13, v3 dst_sel:DWORD dst_unused:UNUSED_PAD src0_sel:DWORD src1_sel:WORD_1
	v_bfe_u32 v11, v3, 19, 4
	v_sub_u32_e32 v12, 29, v12
	v_and_b32_e32 v13, 7, v13
	v_cmp_eq_u16_e32 vcc, 0, v10
	v_cndmask_b32_e32 v6, v6, v13, vcc
	v_cndmask_b32_e32 v10, v11, v12, vcc
	v_lshlrev_b32_e32 v11, 8, v3
	v_mov_b32_e32 v12, 0x3b800000
	v_lshlrev_b32_e32 v6, 20, v6
	v_and_b32_e32 v11, 0x80000000, v11
	v_lshl_add_u32 v10, v10, 23, v12
	v_or3_b32 v10, v11, v10, v6
.LBB55_1720:
	s_or_b64 exec, exec, s[6:7]
	s_nop 0
	v_mfma_f32_16x16x4f32 a[0:3], v2, v10, a[0:3]
	s_movk_i32 s4, 0x7f
	v_cmp_gt_i16_sdwa s[6:7], v7, s4 src0_sel:BYTE_3 src1_sel:DWORD
	s_mov_b64 s[4:5], 0
                                        ; implicit-def: $sgpr10
	s_and_saveexec_b64 s[8:9], s[6:7]
	s_xor_b64 s[6:7], exec, s[8:9]
	s_cbranch_execnz .LBB55_3769
; %bb.1721:
	s_or_saveexec_b64 s[6:7], s[6:7]
	v_mov_b32_e32 v2, s10
	s_xor_b64 exec, exec, s[6:7]
	s_cbranch_execnz .LBB55_3772
.LBB55_1722:
	s_or_b64 exec, exec, s[6:7]
	s_and_saveexec_b64 s[6:7], s[4:5]
	s_cbranch_execz .LBB55_1724
.LBB55_1723:
	v_bfe_u32 v2, v7, 24, 3
	v_ffbh_u32_e32 v12, v2
	v_min_u32_e32 v12, 32, v12
	v_lshrrev_b32_e32 v10, 27, v7
	v_subrev_u32_e32 v13, 28, v12
	v_and_b32_e32 v6, 0x80000000, v7
	v_and_b32_e32 v10, 15, v10
	v_bfe_u32 v11, v7, 27, 4
	v_lshlrev_b32_sdwa v7, v13, v7 dst_sel:DWORD dst_unused:UNUSED_PAD src0_sel:DWORD src1_sel:BYTE_3
	v_sub_u32_e32 v12, 29, v12
	v_and_b32_e32 v7, 7, v7
	v_cmp_eq_u16_e32 vcc, 0, v10
	v_cndmask_b32_e32 v2, v2, v7, vcc
	v_cndmask_b32_e32 v7, v11, v12, vcc
	v_mov_b32_e32 v10, 0x3b800000
	v_lshlrev_b32_e32 v2, 20, v2
	v_lshl_add_u32 v7, v7, 23, v10
	v_or3_b32 v2, v6, v7, v2
.LBB55_1724:
	s_or_b64 exec, exec, s[6:7]
	s_movk_i32 s4, 0x7f
	v_cmp_gt_i16_sdwa s[6:7], v3, s4 src0_sel:BYTE_3 src1_sel:DWORD
	s_mov_b64 s[4:5], 0
                                        ; implicit-def: $sgpr10
	s_and_saveexec_b64 s[8:9], s[6:7]
	s_xor_b64 s[6:7], exec, s[8:9]
	s_cbranch_execnz .LBB55_3773
; %bb.1725:
	s_or_saveexec_b64 s[6:7], s[6:7]
	v_mov_b32_e32 v6, s10
	s_xor_b64 exec, exec, s[6:7]
	s_cbranch_execnz .LBB55_3776
.LBB55_1726:
	s_or_b64 exec, exec, s[6:7]
	s_and_saveexec_b64 s[6:7], s[4:5]
	s_cbranch_execz .LBB55_1728
.LBB55_1727:
	v_bfe_u32 v6, v3, 24, 3
	v_ffbh_u32_e32 v12, v6
	v_min_u32_e32 v12, 32, v12
	v_lshrrev_b32_e32 v10, 27, v3
	v_subrev_u32_e32 v13, 28, v12
	v_and_b32_e32 v7, 0x80000000, v3
	v_and_b32_e32 v10, 15, v10
	v_bfe_u32 v11, v3, 27, 4
	v_lshlrev_b32_sdwa v3, v13, v3 dst_sel:DWORD dst_unused:UNUSED_PAD src0_sel:DWORD src1_sel:BYTE_3
	v_sub_u32_e32 v12, 29, v12
	v_and_b32_e32 v3, 7, v3
	v_cmp_eq_u16_e32 vcc, 0, v10
	v_cndmask_b32_e32 v3, v6, v3, vcc
	v_cndmask_b32_e32 v6, v11, v12, vcc
	v_mov_b32_e32 v10, 0x3b800000
	v_lshlrev_b32_e32 v3, 20, v3
	v_lshl_add_u32 v6, v6, 23, v10
	v_or3_b32 v6, v7, v6, v3
.LBB55_1728:
	s_or_b64 exec, exec, s[6:7]
	s_nop 0
	v_mfma_f32_16x16x4f32 a[0:3], v2, v6, a[0:3]
	s_movk_i32 s4, 0x7f
	v_cmp_gt_i16_sdwa s[6:7], v8, s4 src0_sel:BYTE_0 src1_sel:DWORD
	s_mov_b64 s[4:5], 0
                                        ; implicit-def: $sgpr10
	s_and_saveexec_b64 s[8:9], s[6:7]
	s_xor_b64 s[6:7], exec, s[8:9]
	s_cbranch_execnz .LBB55_3777
; %bb.1729:
	s_or_saveexec_b64 s[6:7], s[6:7]
	v_mov_b32_e32 v2, s10
	s_xor_b64 exec, exec, s[6:7]
	s_cbranch_execnz .LBB55_3780
.LBB55_1730:
	s_or_b64 exec, exec, s[6:7]
	s_and_saveexec_b64 s[6:7], s[4:5]
	s_cbranch_execz .LBB55_1732
.LBB55_1731:
	v_and_b32_e32 v2, 7, v8
	v_ffbh_u32_e32 v6, v2
	v_min_u32_e32 v6, 32, v6
	v_lshrrev_b16_e32 v3, 3, v8
	v_subrev_u32_e32 v7, 28, v6
	v_and_b32_e32 v3, 15, v3
	v_lshlrev_b32_e32 v7, v7, v8
	v_sub_u32_e32 v6, 29, v6
	v_and_b32_e32 v7, 7, v7
	v_cmp_eq_u16_e32 vcc, 0, v3
	v_cndmask_b32_e32 v2, v2, v7, vcc
	v_cndmask_b32_e32 v3, v3, v6, vcc
	v_lshlrev_b32_e32 v6, 24, v8
	v_mov_b32_e32 v7, 0x3b800000
	v_lshlrev_b32_e32 v2, 20, v2
	v_and_b32_e32 v6, 0x80000000, v6
	v_lshl_add_u32 v3, v3, 23, v7
	v_or3_b32 v2, v6, v3, v2
.LBB55_1732:
	s_or_b64 exec, exec, s[6:7]
	s_movk_i32 s4, 0x7f
	v_cmp_gt_i16_sdwa s[6:7], v4, s4 src0_sel:BYTE_0 src1_sel:DWORD
	s_mov_b64 s[4:5], 0
                                        ; implicit-def: $sgpr10
	s_and_saveexec_b64 s[8:9], s[6:7]
	s_xor_b64 s[6:7], exec, s[8:9]
	s_cbranch_execnz .LBB55_3781
; %bb.1733:
	s_or_saveexec_b64 s[6:7], s[6:7]
	v_mov_b32_e32 v3, s10
	s_xor_b64 exec, exec, s[6:7]
	s_cbranch_execnz .LBB55_3784
.LBB55_1734:
	s_or_b64 exec, exec, s[6:7]
	s_and_saveexec_b64 s[6:7], s[4:5]
	s_cbranch_execz .LBB55_1736
.LBB55_1735:
	v_and_b32_e32 v3, 7, v4
	v_ffbh_u32_e32 v7, v3
	v_min_u32_e32 v7, 32, v7
	v_lshrrev_b16_e32 v6, 3, v4
	v_subrev_u32_e32 v10, 28, v7
	v_and_b32_e32 v6, 15, v6
	v_lshlrev_b32_e32 v10, v10, v4
	v_sub_u32_e32 v7, 29, v7
	v_and_b32_e32 v10, 7, v10
	v_cmp_eq_u16_e32 vcc, 0, v6
	v_cndmask_b32_e32 v3, v3, v10, vcc
	v_cndmask_b32_e32 v6, v6, v7, vcc
	v_lshlrev_b32_e32 v7, 24, v4
	v_mov_b32_e32 v10, 0x3b800000
	v_lshlrev_b32_e32 v3, 20, v3
	v_and_b32_e32 v7, 0x80000000, v7
	v_lshl_add_u32 v6, v6, 23, v10
	v_or3_b32 v3, v7, v6, v3
.LBB55_1736:
	s_or_b64 exec, exec, s[6:7]
	s_nop 0
	v_mfma_f32_16x16x4f32 a[0:3], v2, v3, a[0:3]
	v_lshrrev_b32_e32 v3, 8, v8
	s_movk_i32 s4, 0x7f
	v_cmp_gt_i16_sdwa s[6:7], v3, s4 src0_sel:BYTE_0 src1_sel:DWORD
	s_mov_b64 s[4:5], 0
                                        ; implicit-def: $sgpr10
	s_and_saveexec_b64 s[8:9], s[6:7]
	s_xor_b64 s[6:7], exec, s[8:9]
	s_cbranch_execnz .LBB55_3785
; %bb.1737:
	s_or_saveexec_b64 s[6:7], s[6:7]
	v_mov_b32_e32 v2, s10
	s_xor_b64 exec, exec, s[6:7]
	s_cbranch_execnz .LBB55_3788
.LBB55_1738:
	s_or_b64 exec, exec, s[6:7]
	s_and_saveexec_b64 s[6:7], s[4:5]
	s_cbranch_execz .LBB55_1740
.LBB55_1739:
	v_bfe_u32 v2, v8, 8, 3
	v_ffbh_u32_e32 v7, v2
	v_min_u32_e32 v7, 32, v7
	v_lshrrev_b16_e32 v6, 3, v3
	v_subrev_u32_e32 v10, 28, v7
	v_and_b32_e32 v6, 15, v6
	v_lshlrev_b32_e32 v3, v10, v3
	v_sub_u32_e32 v7, 29, v7
	v_and_b32_e32 v3, 7, v3
	v_cmp_eq_u16_e32 vcc, 0, v6
	v_cndmask_b32_e32 v2, v2, v3, vcc
	v_cndmask_b32_e32 v3, v6, v7, vcc
	v_lshlrev_b32_e32 v6, 16, v8
	v_mov_b32_e32 v7, 0x3b800000
	v_lshlrev_b32_e32 v2, 20, v2
	v_and_b32_e32 v6, 0x80000000, v6
	v_lshl_add_u32 v3, v3, 23, v7
	v_or3_b32 v2, v6, v3, v2
.LBB55_1740:
	s_or_b64 exec, exec, s[6:7]
	v_lshrrev_b32_e32 v3, 8, v4
	s_movk_i32 s4, 0x7f
	v_cmp_gt_i16_sdwa s[6:7], v3, s4 src0_sel:BYTE_0 src1_sel:DWORD
	s_mov_b64 s[4:5], 0
                                        ; implicit-def: $sgpr10
	s_and_saveexec_b64 s[8:9], s[6:7]
	s_xor_b64 s[6:7], exec, s[8:9]
	s_cbranch_execnz .LBB55_3789
; %bb.1741:
	s_or_saveexec_b64 s[6:7], s[6:7]
	v_mov_b32_e32 v6, s10
	s_xor_b64 exec, exec, s[6:7]
	s_cbranch_execnz .LBB55_3792
.LBB55_1742:
	s_or_b64 exec, exec, s[6:7]
	s_and_saveexec_b64 s[6:7], s[4:5]
	s_cbranch_execz .LBB55_1744
.LBB55_1743:
	v_bfe_u32 v6, v4, 8, 3
	v_ffbh_u32_e32 v10, v6
	v_min_u32_e32 v10, 32, v10
	v_lshrrev_b16_e32 v7, 3, v3
	v_subrev_u32_e32 v11, 28, v10
	v_and_b32_e32 v7, 15, v7
	v_lshlrev_b32_e32 v3, v11, v3
	v_sub_u32_e32 v10, 29, v10
	v_and_b32_e32 v3, 7, v3
	v_cmp_eq_u16_e32 vcc, 0, v7
	v_cndmask_b32_e32 v3, v6, v3, vcc
	v_cndmask_b32_e32 v6, v7, v10, vcc
	v_lshlrev_b32_e32 v7, 16, v4
	v_mov_b32_e32 v10, 0x3b800000
	v_lshlrev_b32_e32 v3, 20, v3
	v_and_b32_e32 v7, 0x80000000, v7
	v_lshl_add_u32 v6, v6, 23, v10
	v_or3_b32 v6, v7, v6, v3
.LBB55_1744:
	s_or_b64 exec, exec, s[6:7]
	s_nop 0
	v_mfma_f32_16x16x4f32 a[0:3], v2, v6, a[0:3]
	s_movk_i32 s4, 0xff
	v_and_b32_sdwa v3, v8, s4 dst_sel:DWORD dst_unused:UNUSED_PAD src0_sel:WORD_1 src1_sel:DWORD
	s_movk_i32 s4, 0x7f
	v_cmp_lt_i16_e32 vcc, s4, v3
	s_mov_b64 s[4:5], 0
                                        ; implicit-def: $sgpr10
	s_and_saveexec_b64 s[6:7], vcc
	s_xor_b64 s[6:7], exec, s[6:7]
	s_cbranch_execnz .LBB55_3793
; %bb.1745:
	s_or_saveexec_b64 s[6:7], s[6:7]
	v_mov_b32_e32 v2, s10
	s_xor_b64 exec, exec, s[6:7]
	s_cbranch_execnz .LBB55_3796
.LBB55_1746:
	s_or_b64 exec, exec, s[6:7]
	s_and_saveexec_b64 s[6:7], s[4:5]
	s_cbranch_execz .LBB55_1748
.LBB55_1747:
	v_bfe_u32 v2, v8, 16, 3
	v_ffbh_u32_e32 v7, v2
	v_min_u32_e32 v7, 32, v7
	v_lshrrev_b32_e32 v3, 19, v8
	v_subrev_u32_e32 v10, 28, v7
	v_and_b32_e32 v3, 15, v3
	v_lshlrev_b32_sdwa v10, v10, v8 dst_sel:DWORD dst_unused:UNUSED_PAD src0_sel:DWORD src1_sel:WORD_1
	v_bfe_u32 v6, v8, 19, 4
	v_sub_u32_e32 v7, 29, v7
	v_and_b32_e32 v10, 7, v10
	v_cmp_eq_u16_e32 vcc, 0, v3
	v_cndmask_b32_e32 v2, v2, v10, vcc
	v_cndmask_b32_e32 v3, v6, v7, vcc
	v_lshlrev_b32_e32 v6, 8, v8
	v_mov_b32_e32 v7, 0x3b800000
	v_lshlrev_b32_e32 v2, 20, v2
	v_and_b32_e32 v6, 0x80000000, v6
	v_lshl_add_u32 v3, v3, 23, v7
	v_or3_b32 v2, v6, v3, v2
.LBB55_1748:
	s_or_b64 exec, exec, s[6:7]
	s_movk_i32 s4, 0xff
	v_and_b32_sdwa v3, v4, s4 dst_sel:DWORD dst_unused:UNUSED_PAD src0_sel:WORD_1 src1_sel:DWORD
	s_movk_i32 s4, 0x7f
	v_cmp_lt_i16_e32 vcc, s4, v3
	s_mov_b64 s[4:5], 0
                                        ; implicit-def: $sgpr10
	s_and_saveexec_b64 s[6:7], vcc
	s_xor_b64 s[6:7], exec, s[6:7]
	s_cbranch_execnz .LBB55_3797
; %bb.1749:
	s_or_saveexec_b64 s[6:7], s[6:7]
	v_mov_b32_e32 v6, s10
	s_xor_b64 exec, exec, s[6:7]
	s_cbranch_execnz .LBB55_3800
.LBB55_1750:
	s_or_b64 exec, exec, s[6:7]
	s_and_saveexec_b64 s[6:7], s[4:5]
	s_cbranch_execz .LBB55_1752
.LBB55_1751:
	v_bfe_u32 v3, v4, 16, 3
	v_ffbh_u32_e32 v10, v3
	v_min_u32_e32 v10, 32, v10
	v_lshrrev_b32_e32 v6, 19, v4
	v_subrev_u32_e32 v11, 28, v10
	v_and_b32_e32 v6, 15, v6
	v_lshlrev_b32_sdwa v11, v11, v4 dst_sel:DWORD dst_unused:UNUSED_PAD src0_sel:DWORD src1_sel:WORD_1
	v_bfe_u32 v7, v4, 19, 4
	v_sub_u32_e32 v10, 29, v10
	v_and_b32_e32 v11, 7, v11
	v_cmp_eq_u16_e32 vcc, 0, v6
	v_cndmask_b32_e32 v3, v3, v11, vcc
	v_cndmask_b32_e32 v6, v7, v10, vcc
	v_lshlrev_b32_e32 v7, 8, v4
	v_mov_b32_e32 v10, 0x3b800000
	v_lshlrev_b32_e32 v3, 20, v3
	v_and_b32_e32 v7, 0x80000000, v7
	v_lshl_add_u32 v6, v6, 23, v10
	v_or3_b32 v6, v7, v6, v3
.LBB55_1752:
	s_or_b64 exec, exec, s[6:7]
	s_nop 0
	v_mfma_f32_16x16x4f32 a[0:3], v2, v6, a[0:3]
	s_movk_i32 s4, 0x7f
	v_cmp_gt_i16_sdwa s[6:7], v8, s4 src0_sel:BYTE_3 src1_sel:DWORD
	s_mov_b64 s[4:5], 0
                                        ; implicit-def: $sgpr10
	s_and_saveexec_b64 s[8:9], s[6:7]
	s_xor_b64 s[6:7], exec, s[8:9]
	s_cbranch_execnz .LBB55_3801
; %bb.1753:
	s_or_saveexec_b64 s[6:7], s[6:7]
	v_mov_b32_e32 v2, s10
	s_xor_b64 exec, exec, s[6:7]
	s_cbranch_execnz .LBB55_3804
.LBB55_1754:
	s_or_b64 exec, exec, s[6:7]
	s_and_saveexec_b64 s[6:7], s[4:5]
	s_cbranch_execz .LBB55_1756
.LBB55_1755:
	v_bfe_u32 v2, v8, 24, 3
	v_ffbh_u32_e32 v10, v2
	v_min_u32_e32 v10, 32, v10
	v_lshrrev_b32_e32 v6, 27, v8
	v_subrev_u32_e32 v11, 28, v10
	v_and_b32_e32 v3, 0x80000000, v8
	v_and_b32_e32 v6, 15, v6
	v_bfe_u32 v7, v8, 27, 4
	v_lshlrev_b32_sdwa v8, v11, v8 dst_sel:DWORD dst_unused:UNUSED_PAD src0_sel:DWORD src1_sel:BYTE_3
	v_sub_u32_e32 v10, 29, v10
	v_and_b32_e32 v8, 7, v8
	v_cmp_eq_u16_e32 vcc, 0, v6
	v_cndmask_b32_e32 v2, v2, v8, vcc
	v_cndmask_b32_e32 v6, v7, v10, vcc
	v_mov_b32_e32 v7, 0x3b800000
	v_lshlrev_b32_e32 v2, 20, v2
	v_lshl_add_u32 v6, v6, 23, v7
	v_or3_b32 v2, v3, v6, v2
.LBB55_1756:
	s_or_b64 exec, exec, s[6:7]
	s_movk_i32 s4, 0x7f
	v_cmp_gt_i16_sdwa s[6:7], v4, s4 src0_sel:BYTE_3 src1_sel:DWORD
	s_mov_b64 s[4:5], 0
                                        ; implicit-def: $sgpr10
	s_and_saveexec_b64 s[8:9], s[6:7]
	s_xor_b64 s[6:7], exec, s[8:9]
	s_cbranch_execnz .LBB55_3805
; %bb.1757:
	s_or_saveexec_b64 s[6:7], s[6:7]
	v_mov_b32_e32 v3, s10
	s_xor_b64 exec, exec, s[6:7]
	s_cbranch_execnz .LBB55_3808
.LBB55_1758:
	s_or_b64 exec, exec, s[6:7]
	s_and_saveexec_b64 s[6:7], s[4:5]
	s_cbranch_execz .LBB55_1760
.LBB55_1759:
	v_bfe_u32 v3, v4, 24, 3
	v_ffbh_u32_e32 v10, v3
	v_min_u32_e32 v10, 32, v10
	v_lshrrev_b32_e32 v7, 27, v4
	v_subrev_u32_e32 v11, 28, v10
	v_and_b32_e32 v6, 0x80000000, v4
	v_and_b32_e32 v7, 15, v7
	v_bfe_u32 v8, v4, 27, 4
	v_lshlrev_b32_sdwa v4, v11, v4 dst_sel:DWORD dst_unused:UNUSED_PAD src0_sel:DWORD src1_sel:BYTE_3
	v_sub_u32_e32 v10, 29, v10
	v_and_b32_e32 v4, 7, v4
	v_cmp_eq_u16_e32 vcc, 0, v7
	v_cndmask_b32_e32 v3, v3, v4, vcc
	v_cndmask_b32_e32 v4, v8, v10, vcc
	v_mov_b32_e32 v7, 0x3b800000
	v_lshlrev_b32_e32 v3, 20, v3
	v_lshl_add_u32 v4, v4, 23, v7
	v_or3_b32 v3, v6, v4, v3
.LBB55_1760:
	s_or_b64 exec, exec, s[6:7]
	s_nop 0
	v_mfma_f32_16x16x4f32 a[0:3], v2, v3, a[0:3]
	s_movk_i32 s4, 0x7f
	v_cmp_gt_i16_sdwa s[6:7], v9, s4 src0_sel:BYTE_0 src1_sel:DWORD
	s_mov_b64 s[4:5], 0
                                        ; implicit-def: $sgpr10
	s_and_saveexec_b64 s[8:9], s[6:7]
	s_xor_b64 s[6:7], exec, s[8:9]
	s_cbranch_execnz .LBB55_3809
; %bb.1761:
	s_or_saveexec_b64 s[6:7], s[6:7]
	v_mov_b32_e32 v2, s10
	s_xor_b64 exec, exec, s[6:7]
	s_cbranch_execnz .LBB55_3812
.LBB55_1762:
	s_or_b64 exec, exec, s[6:7]
	s_and_saveexec_b64 s[6:7], s[4:5]
	s_cbranch_execz .LBB55_1764
.LBB55_1763:
	v_mov_b32_e32 v2, 8
	v_and_b32_e32 v3, 7, v9
	v_lshrrev_b32_sdwa v2, v2, v9 dst_sel:BYTE_1 dst_unused:UNUSED_PAD src0_sel:DWORD src1_sel:DWORD
	v_ffbh_u32_e32 v4, v3
	v_or_b32_sdwa v2, v9, v2 dst_sel:DWORD dst_unused:UNUSED_PAD src0_sel:BYTE_0 src1_sel:DWORD
	v_min_u32_e32 v4, 32, v4
	v_lshrrev_b16_e32 v2, 3, v2
	v_subrev_u32_e32 v6, 28, v4
	v_and_b32_e32 v2, 15, v2
	v_lshlrev_b32_e32 v6, v6, v9
	v_sub_u32_e32 v4, 29, v4
	v_and_b32_e32 v6, 7, v6
	v_cmp_eq_u16_e32 vcc, 0, v2
	v_cndmask_b32_e32 v3, v3, v6, vcc
	v_cndmask_b32_e32 v2, v2, v4, vcc
	v_lshlrev_b32_e32 v4, 24, v9
	v_mov_b32_e32 v6, 0x3b800000
	v_lshlrev_b32_e32 v3, 20, v3
	v_and_b32_e32 v4, 0x80000000, v4
	v_lshl_add_u32 v2, v2, 23, v6
	v_or3_b32 v2, v4, v2, v3
.LBB55_1764:
	s_or_b64 exec, exec, s[6:7]
	s_movk_i32 s4, 0x7f
	v_cmp_gt_i16_sdwa s[6:7], v5, s4 src0_sel:BYTE_0 src1_sel:DWORD
	s_mov_b64 s[4:5], 0
                                        ; implicit-def: $sgpr10
	s_and_saveexec_b64 s[8:9], s[6:7]
	s_xor_b64 s[6:7], exec, s[8:9]
	s_cbranch_execnz .LBB55_3813
; %bb.1765:
	s_or_saveexec_b64 s[6:7], s[6:7]
	v_mov_b32_e32 v3, s10
	s_xor_b64 exec, exec, s[6:7]
	s_cbranch_execnz .LBB55_3816
.LBB55_1766:
	s_or_b64 exec, exec, s[6:7]
	s_and_saveexec_b64 s[6:7], s[4:5]
	s_cbranch_execz .LBB55_1768
.LBB55_1767:
	v_mov_b32_e32 v3, 8
	v_and_b32_e32 v4, 7, v5
	v_lshrrev_b32_sdwa v3, v3, v5 dst_sel:BYTE_1 dst_unused:UNUSED_PAD src0_sel:DWORD src1_sel:DWORD
	v_ffbh_u32_e32 v6, v4
	v_or_b32_sdwa v3, v5, v3 dst_sel:DWORD dst_unused:UNUSED_PAD src0_sel:BYTE_0 src1_sel:DWORD
	v_min_u32_e32 v6, 32, v6
	v_lshrrev_b16_e32 v3, 3, v3
	v_subrev_u32_e32 v7, 28, v6
	v_and_b32_e32 v3, 15, v3
	v_lshlrev_b32_e32 v7, v7, v5
	v_sub_u32_e32 v6, 29, v6
	v_and_b32_e32 v7, 7, v7
	v_cmp_eq_u16_e32 vcc, 0, v3
	v_cndmask_b32_e32 v4, v4, v7, vcc
	v_cndmask_b32_e32 v3, v3, v6, vcc
	v_lshlrev_b32_e32 v6, 24, v5
	v_mov_b32_e32 v7, 0x3b800000
	v_lshlrev_b32_e32 v4, 20, v4
	v_and_b32_e32 v6, 0x80000000, v6
	v_lshl_add_u32 v3, v3, 23, v7
	v_or3_b32 v3, v6, v3, v4
.LBB55_1768:
	s_or_b64 exec, exec, s[6:7]
	s_nop 0
	v_mfma_f32_16x16x4f32 a[0:3], v2, v3, a[0:3]
	v_lshrrev_b32_e32 v3, 8, v9
	s_movk_i32 s4, 0x7f
	v_cmp_gt_i16_sdwa s[6:7], v3, s4 src0_sel:BYTE_0 src1_sel:DWORD
	s_mov_b64 s[4:5], 0
                                        ; implicit-def: $sgpr10
	s_and_saveexec_b64 s[8:9], s[6:7]
	s_xor_b64 s[6:7], exec, s[8:9]
	s_cbranch_execnz .LBB55_3817
; %bb.1769:
	s_or_saveexec_b64 s[6:7], s[6:7]
	v_mov_b32_e32 v2, s10
	s_xor_b64 exec, exec, s[6:7]
	s_cbranch_execnz .LBB55_3820
.LBB55_1770:
	s_or_b64 exec, exec, s[6:7]
	s_and_saveexec_b64 s[6:7], s[4:5]
	s_cbranch_execz .LBB55_1772
.LBB55_1771:
	v_bfe_u32 v2, v9, 8, 3
	v_ffbh_u32_e32 v6, v2
	v_min_u32_e32 v6, 32, v6
	v_lshrrev_b16_e32 v4, 3, v3
	v_subrev_u32_e32 v7, 28, v6
	v_and_b32_e32 v4, 15, v4
	v_lshlrev_b32_e32 v3, v7, v3
	v_sub_u32_e32 v6, 29, v6
	v_and_b32_e32 v3, 7, v3
	v_cmp_eq_u16_e32 vcc, 0, v4
	v_cndmask_b32_e32 v2, v2, v3, vcc
	v_cndmask_b32_e32 v3, v4, v6, vcc
	v_lshlrev_b32_e32 v4, 16, v9
	v_mov_b32_e32 v6, 0x3b800000
	v_lshlrev_b32_e32 v2, 20, v2
	v_and_b32_e32 v4, 0x80000000, v4
	v_lshl_add_u32 v3, v3, 23, v6
	v_or3_b32 v2, v4, v3, v2
.LBB55_1772:
	s_or_b64 exec, exec, s[6:7]
	v_lshrrev_b32_e32 v3, 8, v5
	s_movk_i32 s4, 0x7f
	v_cmp_gt_i16_sdwa s[6:7], v3, s4 src0_sel:BYTE_0 src1_sel:DWORD
	s_mov_b64 s[4:5], 0
                                        ; implicit-def: $sgpr10
	s_and_saveexec_b64 s[8:9], s[6:7]
	s_xor_b64 s[6:7], exec, s[8:9]
	s_cbranch_execnz .LBB55_3821
; %bb.1773:
	s_or_saveexec_b64 s[6:7], s[6:7]
	v_mov_b32_e32 v4, s10
	s_xor_b64 exec, exec, s[6:7]
	s_cbranch_execnz .LBB55_3824
.LBB55_1774:
	s_or_b64 exec, exec, s[6:7]
	s_and_saveexec_b64 s[6:7], s[4:5]
	s_cbranch_execz .LBB55_1776
.LBB55_1775:
	v_bfe_u32 v4, v5, 8, 3
	v_ffbh_u32_e32 v7, v4
	v_min_u32_e32 v7, 32, v7
	v_lshrrev_b16_e32 v6, 3, v3
	v_subrev_u32_e32 v8, 28, v7
	v_and_b32_e32 v6, 15, v6
	v_lshlrev_b32_e32 v3, v8, v3
	v_sub_u32_e32 v7, 29, v7
	v_and_b32_e32 v3, 7, v3
	v_cmp_eq_u16_e32 vcc, 0, v6
	v_cndmask_b32_e32 v3, v4, v3, vcc
	v_cndmask_b32_e32 v4, v6, v7, vcc
	v_lshlrev_b32_e32 v6, 16, v5
	v_mov_b32_e32 v7, 0x3b800000
	v_lshlrev_b32_e32 v3, 20, v3
	v_and_b32_e32 v6, 0x80000000, v6
	v_lshl_add_u32 v4, v4, 23, v7
	v_or3_b32 v4, v6, v4, v3
.LBB55_1776:
	s_or_b64 exec, exec, s[6:7]
	s_nop 0
	v_mfma_f32_16x16x4f32 a[0:3], v2, v4, a[0:3]
	s_movk_i32 s4, 0xff
	v_and_b32_sdwa v3, v9, s4 dst_sel:DWORD dst_unused:UNUSED_PAD src0_sel:WORD_1 src1_sel:DWORD
	s_movk_i32 s4, 0x7f
	v_cmp_lt_i16_e32 vcc, s4, v3
	s_mov_b64 s[4:5], 0
                                        ; implicit-def: $sgpr10
	s_and_saveexec_b64 s[6:7], vcc
	s_xor_b64 s[6:7], exec, s[6:7]
	s_cbranch_execnz .LBB55_3825
; %bb.1777:
	s_or_saveexec_b64 s[6:7], s[6:7]
	v_mov_b32_e32 v2, s10
	s_xor_b64 exec, exec, s[6:7]
	s_cbranch_execnz .LBB55_3828
.LBB55_1778:
	s_or_b64 exec, exec, s[6:7]
	s_and_saveexec_b64 s[6:7], s[4:5]
	s_cbranch_execz .LBB55_1780
.LBB55_1779:
	v_bfe_u32 v2, v9, 16, 3
	v_ffbh_u32_e32 v6, v2
	v_min_u32_e32 v6, 32, v6
	v_lshrrev_b32_e32 v3, 19, v9
	v_subrev_u32_e32 v7, 28, v6
	v_and_b32_e32 v3, 15, v3
	v_lshlrev_b32_sdwa v7, v7, v9 dst_sel:DWORD dst_unused:UNUSED_PAD src0_sel:DWORD src1_sel:WORD_1
	v_bfe_u32 v4, v9, 19, 4
	v_sub_u32_e32 v6, 29, v6
	v_and_b32_e32 v7, 7, v7
	v_cmp_eq_u16_e32 vcc, 0, v3
	v_cndmask_b32_e32 v2, v2, v7, vcc
	v_cndmask_b32_e32 v3, v4, v6, vcc
	v_lshlrev_b32_e32 v4, 8, v9
	v_mov_b32_e32 v6, 0x3b800000
	v_lshlrev_b32_e32 v2, 20, v2
	v_and_b32_e32 v4, 0x80000000, v4
	v_lshl_add_u32 v3, v3, 23, v6
	v_or3_b32 v2, v4, v3, v2
.LBB55_1780:
	s_or_b64 exec, exec, s[6:7]
	s_movk_i32 s4, 0xff
	v_and_b32_sdwa v3, v5, s4 dst_sel:DWORD dst_unused:UNUSED_PAD src0_sel:WORD_1 src1_sel:DWORD
	s_movk_i32 s4, 0x7f
	v_cmp_lt_i16_e32 vcc, s4, v3
	s_mov_b64 s[4:5], 0
                                        ; implicit-def: $sgpr10
	s_and_saveexec_b64 s[6:7], vcc
	s_xor_b64 s[6:7], exec, s[6:7]
	s_cbranch_execnz .LBB55_3829
; %bb.1781:
	s_or_saveexec_b64 s[6:7], s[6:7]
	v_mov_b32_e32 v4, s10
	s_xor_b64 exec, exec, s[6:7]
	s_cbranch_execnz .LBB55_3832
.LBB55_1782:
	s_or_b64 exec, exec, s[6:7]
	s_and_saveexec_b64 s[6:7], s[4:5]
	s_cbranch_execz .LBB55_1784
.LBB55_1783:
	v_bfe_u32 v3, v5, 16, 3
	v_ffbh_u32_e32 v7, v3
	v_min_u32_e32 v7, 32, v7
	v_lshrrev_b32_e32 v4, 19, v5
	v_subrev_u32_e32 v8, 28, v7
	v_and_b32_e32 v4, 15, v4
	v_lshlrev_b32_sdwa v8, v8, v5 dst_sel:DWORD dst_unused:UNUSED_PAD src0_sel:DWORD src1_sel:WORD_1
	v_bfe_u32 v6, v5, 19, 4
	v_sub_u32_e32 v7, 29, v7
	v_and_b32_e32 v8, 7, v8
	v_cmp_eq_u16_e32 vcc, 0, v4
	v_cndmask_b32_e32 v3, v3, v8, vcc
	v_cndmask_b32_e32 v4, v6, v7, vcc
	v_lshlrev_b32_e32 v6, 8, v5
	v_mov_b32_e32 v7, 0x3b800000
	v_lshlrev_b32_e32 v3, 20, v3
	v_and_b32_e32 v6, 0x80000000, v6
	v_lshl_add_u32 v4, v4, 23, v7
	v_or3_b32 v4, v6, v4, v3
.LBB55_1784:
	s_or_b64 exec, exec, s[6:7]
	s_nop 0
	v_mfma_f32_16x16x4f32 a[0:3], v2, v4, a[0:3]
	s_movk_i32 s4, 0x7f
	v_cmp_gt_i16_sdwa s[6:7], v9, s4 src0_sel:BYTE_3 src1_sel:DWORD
	s_mov_b64 s[4:5], 0
                                        ; implicit-def: $sgpr10
	s_and_saveexec_b64 s[8:9], s[6:7]
	s_xor_b64 s[6:7], exec, s[8:9]
	s_cbranch_execnz .LBB55_3833
; %bb.1785:
	s_or_saveexec_b64 s[6:7], s[6:7]
	v_mov_b32_e32 v2, s10
	s_xor_b64 exec, exec, s[6:7]
	s_cbranch_execnz .LBB55_3836
.LBB55_1786:
	s_or_b64 exec, exec, s[6:7]
	s_and_saveexec_b64 s[6:7], s[4:5]
	s_cbranch_execz .LBB55_1788
.LBB55_1787:
	v_bfe_u32 v2, v9, 24, 3
	v_ffbh_u32_e32 v7, v2
	v_min_u32_e32 v7, 32, v7
	v_lshrrev_b32_e32 v4, 27, v9
	v_subrev_u32_e32 v8, 28, v7
	v_and_b32_e32 v4, 15, v4
	v_lshlrev_b32_sdwa v8, v8, v9 dst_sel:DWORD dst_unused:UNUSED_PAD src0_sel:DWORD src1_sel:BYTE_3
	v_bfe_u32 v6, v9, 27, 4
	v_sub_u32_e32 v7, 29, v7
	v_and_b32_e32 v8, 7, v8
	v_cmp_eq_u16_e32 vcc, 0, v4
	v_cndmask_b32_e32 v2, v2, v8, vcc
	v_cndmask_b32_e32 v4, v6, v7, vcc
	v_mov_b32_e32 v6, 0x3b800000
	v_and_b32_e32 v3, 0x80000000, v9
	v_lshlrev_b32_e32 v2, 20, v2
	v_lshl_add_u32 v4, v4, 23, v6
	v_or3_b32 v2, v3, v4, v2
.LBB55_1788:
	s_or_b64 exec, exec, s[6:7]
	s_movk_i32 s4, 0x7f
	v_cmp_gt_i16_sdwa s[6:7], v5, s4 src0_sel:BYTE_3 src1_sel:DWORD
	s_mov_b64 s[4:5], 0
                                        ; implicit-def: $sgpr10
	s_and_saveexec_b64 s[8:9], s[6:7]
	s_xor_b64 s[6:7], exec, s[8:9]
	s_cbranch_execnz .LBB55_3837
; %bb.1789:
	s_or_saveexec_b64 s[6:7], s[6:7]
	v_mov_b32_e32 v3, s10
	s_xor_b64 exec, exec, s[6:7]
	s_cbranch_execnz .LBB55_3840
.LBB55_1790:
	s_or_b64 exec, exec, s[6:7]
	s_and_saveexec_b64 s[6:7], s[4:5]
	s_cbranch_execz .LBB55_1792
.LBB55_1791:
	v_bfe_u32 v3, v5, 24, 3
	v_ffbh_u32_e32 v8, v3
	v_min_u32_e32 v8, 32, v8
	v_lshrrev_b32_e32 v6, 27, v5
	v_subrev_u32_e32 v9, 28, v8
	v_and_b32_e32 v4, 0x80000000, v5
	v_and_b32_e32 v6, 15, v6
	v_bfe_u32 v7, v5, 27, 4
	v_lshlrev_b32_sdwa v5, v9, v5 dst_sel:DWORD dst_unused:UNUSED_PAD src0_sel:DWORD src1_sel:BYTE_3
	v_sub_u32_e32 v8, 29, v8
	v_and_b32_e32 v5, 7, v5
	v_cmp_eq_u16_e32 vcc, 0, v6
	v_cndmask_b32_e32 v3, v3, v5, vcc
	v_cndmask_b32_e32 v5, v7, v8, vcc
	v_mov_b32_e32 v6, 0x3b800000
	v_lshlrev_b32_e32 v3, 20, v3
	v_lshl_add_u32 v5, v5, 23, v6
	v_or3_b32 v3, v4, v5, v3
.LBB55_1792:
	s_or_b64 exec, exec, s[6:7]
	s_nop 0
	v_mfma_f32_16x16x4f32 a[0:3], v2, v3, a[0:3]
	s_movk_i32 s4, 0x7f
                                        ; implicit-def: $sgpr10
	s_nop 7
	s_nop 1
	flat_store_dwordx4 v[18:19], a[0:3] offset:480
	flat_load_dwordx4 v[18:21], v[0:1] offset:8
	s_nop 0
	flat_load_dwordx2 v[16:17], v[0:1] offset:24
	s_waitcnt vmcnt(0) lgkmcnt(0)
	flat_load_dwordx4 v[12:15], v[18:19] offset:32
	flat_load_dwordx4 v[4:7], v[18:19] offset:48
	;; [unrolled: 1-line block ×4, first 2 shown]
	s_waitcnt vmcnt(0) lgkmcnt(0)
	v_cmp_gt_i16_sdwa s[6:7], v12, s4 src0_sel:BYTE_0 src1_sel:DWORD
	s_mov_b64 s[4:5], 0
	s_and_saveexec_b64 s[8:9], s[6:7]
	s_xor_b64 s[6:7], exec, s[8:9]
	s_cbranch_execnz .LBB55_3841
; %bb.1793:
	s_or_saveexec_b64 s[6:7], s[6:7]
	v_mov_b32_e32 v18, s10
	s_xor_b64 exec, exec, s[6:7]
	s_cbranch_execnz .LBB55_3844
.LBB55_1794:
	s_or_b64 exec, exec, s[6:7]
	s_and_saveexec_b64 s[6:7], s[4:5]
	s_cbranch_execz .LBB55_1796
.LBB55_1795:
	v_and_b32_e32 v18, 7, v12
	v_ffbh_u32_e32 v20, v18
	v_min_u32_e32 v20, 32, v20
	v_lshrrev_b16_e32 v19, 3, v12
	v_subrev_u32_e32 v21, 28, v20
	v_and_b32_e32 v19, 15, v19
	v_lshlrev_b32_e32 v21, v21, v12
	v_sub_u32_e32 v20, 29, v20
	v_and_b32_e32 v21, 7, v21
	v_cmp_eq_u16_e32 vcc, 0, v19
	v_cndmask_b32_e32 v18, v18, v21, vcc
	v_cndmask_b32_e32 v19, v19, v20, vcc
	v_lshlrev_b32_e32 v20, 24, v12
	v_mov_b32_e32 v21, 0x3b800000
	v_lshlrev_b32_e32 v18, 20, v18
	v_and_b32_e32 v20, 0x80000000, v20
	v_lshl_add_u32 v19, v19, 23, v21
	v_or3_b32 v18, v20, v19, v18
.LBB55_1796:
	s_or_b64 exec, exec, s[6:7]
	s_movk_i32 s4, 0x7f
	v_cmp_gt_i16_sdwa s[6:7], v8, s4 src0_sel:BYTE_0 src1_sel:DWORD
	s_mov_b64 s[4:5], 0
                                        ; implicit-def: $sgpr10
	s_and_saveexec_b64 s[8:9], s[6:7]
	s_xor_b64 s[6:7], exec, s[8:9]
	s_cbranch_execnz .LBB55_3845
; %bb.1797:
	s_or_saveexec_b64 s[6:7], s[6:7]
	v_mov_b32_e32 v19, s10
	s_xor_b64 exec, exec, s[6:7]
	s_cbranch_execnz .LBB55_3848
.LBB55_1798:
	s_or_b64 exec, exec, s[6:7]
	s_and_saveexec_b64 s[6:7], s[4:5]
	s_cbranch_execz .LBB55_1800
.LBB55_1799:
	v_and_b32_e32 v19, 7, v8
	v_ffbh_u32_e32 v21, v19
	v_min_u32_e32 v21, 32, v21
	v_lshrrev_b16_e32 v20, 3, v8
	v_subrev_u32_e32 v22, 28, v21
	v_and_b32_e32 v20, 15, v20
	v_lshlrev_b32_e32 v22, v22, v8
	v_sub_u32_e32 v21, 29, v21
	v_and_b32_e32 v22, 7, v22
	v_cmp_eq_u16_e32 vcc, 0, v20
	v_cndmask_b32_e32 v19, v19, v22, vcc
	v_cndmask_b32_e32 v20, v20, v21, vcc
	v_lshlrev_b32_e32 v21, 24, v8
	v_mov_b32_e32 v22, 0x3b800000
	v_lshlrev_b32_e32 v19, 20, v19
	v_and_b32_e32 v21, 0x80000000, v21
	v_lshl_add_u32 v20, v20, 23, v22
	v_or3_b32 v19, v21, v20, v19
.LBB55_1800:
	s_or_b64 exec, exec, s[6:7]
	flat_load_dwordx4 a[0:3], v[16:17] offset:496
	s_movk_i32 s4, 0x7f
                                        ; implicit-def: $sgpr10
	s_waitcnt vmcnt(0) lgkmcnt(0)
	v_mfma_f32_16x16x4f32 a[0:3], v18, v19, a[0:3]
	v_lshrrev_b32_e32 v19, 8, v12
	v_cmp_gt_i16_sdwa s[6:7], v19, s4 src0_sel:BYTE_0 src1_sel:DWORD
	s_mov_b64 s[4:5], 0
	s_and_saveexec_b64 s[8:9], s[6:7]
	s_xor_b64 s[6:7], exec, s[8:9]
	s_cbranch_execnz .LBB55_3849
; %bb.1801:
	s_or_saveexec_b64 s[6:7], s[6:7]
	v_mov_b32_e32 v18, s10
	s_xor_b64 exec, exec, s[6:7]
	s_cbranch_execnz .LBB55_3852
.LBB55_1802:
	s_or_b64 exec, exec, s[6:7]
	s_and_saveexec_b64 s[6:7], s[4:5]
	s_cbranch_execz .LBB55_1804
.LBB55_1803:
	v_bfe_u32 v18, v12, 8, 3
	v_ffbh_u32_e32 v21, v18
	v_min_u32_e32 v21, 32, v21
	v_lshrrev_b16_e32 v20, 3, v19
	v_subrev_u32_e32 v22, 28, v21
	v_and_b32_e32 v20, 15, v20
	v_lshlrev_b32_e32 v19, v22, v19
	v_sub_u32_e32 v21, 29, v21
	v_and_b32_e32 v19, 7, v19
	v_cmp_eq_u16_e32 vcc, 0, v20
	v_cndmask_b32_e32 v18, v18, v19, vcc
	v_cndmask_b32_e32 v19, v20, v21, vcc
	v_lshlrev_b32_e32 v20, 16, v12
	v_mov_b32_e32 v21, 0x3b800000
	v_lshlrev_b32_e32 v18, 20, v18
	v_and_b32_e32 v20, 0x80000000, v20
	v_lshl_add_u32 v19, v19, 23, v21
	v_or3_b32 v18, v20, v19, v18
.LBB55_1804:
	s_or_b64 exec, exec, s[6:7]
	v_lshrrev_b32_e32 v19, 8, v8
	s_movk_i32 s4, 0x7f
	v_cmp_gt_i16_sdwa s[6:7], v19, s4 src0_sel:BYTE_0 src1_sel:DWORD
	s_mov_b64 s[4:5], 0
                                        ; implicit-def: $sgpr10
	s_and_saveexec_b64 s[8:9], s[6:7]
	s_xor_b64 s[6:7], exec, s[8:9]
	s_cbranch_execnz .LBB55_3853
; %bb.1805:
	s_or_saveexec_b64 s[6:7], s[6:7]
	v_mov_b32_e32 v20, s10
	s_xor_b64 exec, exec, s[6:7]
	s_cbranch_execnz .LBB55_3856
.LBB55_1806:
	s_or_b64 exec, exec, s[6:7]
	s_and_saveexec_b64 s[6:7], s[4:5]
	s_cbranch_execz .LBB55_1808
.LBB55_1807:
	v_bfe_u32 v20, v8, 8, 3
	v_ffbh_u32_e32 v22, v20
	v_min_u32_e32 v22, 32, v22
	v_lshrrev_b16_e32 v21, 3, v19
	v_subrev_u32_e32 v23, 28, v22
	v_and_b32_e32 v21, 15, v21
	v_lshlrev_b32_e32 v19, v23, v19
	v_sub_u32_e32 v22, 29, v22
	v_and_b32_e32 v19, 7, v19
	v_cmp_eq_u16_e32 vcc, 0, v21
	v_cndmask_b32_e32 v19, v20, v19, vcc
	v_cndmask_b32_e32 v20, v21, v22, vcc
	v_lshlrev_b32_e32 v21, 16, v8
	v_mov_b32_e32 v22, 0x3b800000
	v_lshlrev_b32_e32 v19, 20, v19
	v_and_b32_e32 v21, 0x80000000, v21
	v_lshl_add_u32 v20, v20, 23, v22
	v_or3_b32 v20, v21, v20, v19
.LBB55_1808:
	s_or_b64 exec, exec, s[6:7]
	s_nop 0
	v_mfma_f32_16x16x4f32 a[0:3], v18, v20, a[0:3]
	s_movk_i32 s4, 0xff
	v_and_b32_sdwa v19, v12, s4 dst_sel:DWORD dst_unused:UNUSED_PAD src0_sel:WORD_1 src1_sel:DWORD
	s_movk_i32 s4, 0x7f
	v_cmp_lt_i16_e32 vcc, s4, v19
	s_mov_b64 s[4:5], 0
                                        ; implicit-def: $sgpr10
	s_and_saveexec_b64 s[6:7], vcc
	s_xor_b64 s[6:7], exec, s[6:7]
	s_cbranch_execnz .LBB55_3857
; %bb.1809:
	s_or_saveexec_b64 s[6:7], s[6:7]
	v_mov_b32_e32 v18, s10
	s_xor_b64 exec, exec, s[6:7]
	s_cbranch_execnz .LBB55_3860
.LBB55_1810:
	s_or_b64 exec, exec, s[6:7]
	s_and_saveexec_b64 s[6:7], s[4:5]
	s_cbranch_execz .LBB55_1812
.LBB55_1811:
	v_bfe_u32 v18, v12, 16, 3
	v_ffbh_u32_e32 v21, v18
	v_min_u32_e32 v21, 32, v21
	v_lshrrev_b32_e32 v19, 19, v12
	v_subrev_u32_e32 v22, 28, v21
	v_and_b32_e32 v19, 15, v19
	v_lshlrev_b32_sdwa v22, v22, v12 dst_sel:DWORD dst_unused:UNUSED_PAD src0_sel:DWORD src1_sel:WORD_1
	v_bfe_u32 v20, v12, 19, 4
	v_sub_u32_e32 v21, 29, v21
	v_and_b32_e32 v22, 7, v22
	v_cmp_eq_u16_e32 vcc, 0, v19
	v_cndmask_b32_e32 v18, v18, v22, vcc
	v_cndmask_b32_e32 v19, v20, v21, vcc
	v_lshlrev_b32_e32 v20, 8, v12
	v_mov_b32_e32 v21, 0x3b800000
	v_lshlrev_b32_e32 v18, 20, v18
	v_and_b32_e32 v20, 0x80000000, v20
	v_lshl_add_u32 v19, v19, 23, v21
	v_or3_b32 v18, v20, v19, v18
.LBB55_1812:
	s_or_b64 exec, exec, s[6:7]
	s_movk_i32 s4, 0xff
	v_and_b32_sdwa v19, v8, s4 dst_sel:DWORD dst_unused:UNUSED_PAD src0_sel:WORD_1 src1_sel:DWORD
	s_movk_i32 s4, 0x7f
	v_cmp_lt_i16_e32 vcc, s4, v19
	s_mov_b64 s[4:5], 0
                                        ; implicit-def: $sgpr10
	s_and_saveexec_b64 s[6:7], vcc
	s_xor_b64 s[6:7], exec, s[6:7]
	s_cbranch_execnz .LBB55_3861
; %bb.1813:
	s_or_saveexec_b64 s[6:7], s[6:7]
	v_mov_b32_e32 v20, s10
	s_xor_b64 exec, exec, s[6:7]
	s_cbranch_execnz .LBB55_3864
.LBB55_1814:
	s_or_b64 exec, exec, s[6:7]
	s_and_saveexec_b64 s[6:7], s[4:5]
	s_cbranch_execz .LBB55_1816
.LBB55_1815:
	v_bfe_u32 v19, v8, 16, 3
	v_ffbh_u32_e32 v22, v19
	v_min_u32_e32 v22, 32, v22
	v_lshrrev_b32_e32 v20, 19, v8
	v_subrev_u32_e32 v23, 28, v22
	v_and_b32_e32 v20, 15, v20
	v_lshlrev_b32_sdwa v23, v23, v8 dst_sel:DWORD dst_unused:UNUSED_PAD src0_sel:DWORD src1_sel:WORD_1
	v_bfe_u32 v21, v8, 19, 4
	v_sub_u32_e32 v22, 29, v22
	v_and_b32_e32 v23, 7, v23
	v_cmp_eq_u16_e32 vcc, 0, v20
	v_cndmask_b32_e32 v19, v19, v23, vcc
	v_cndmask_b32_e32 v20, v21, v22, vcc
	v_lshlrev_b32_e32 v21, 8, v8
	v_mov_b32_e32 v22, 0x3b800000
	v_lshlrev_b32_e32 v19, 20, v19
	v_and_b32_e32 v21, 0x80000000, v21
	v_lshl_add_u32 v20, v20, 23, v22
	v_or3_b32 v20, v21, v20, v19
.LBB55_1816:
	s_or_b64 exec, exec, s[6:7]
	s_nop 0
	v_mfma_f32_16x16x4f32 a[0:3], v18, v20, a[0:3]
	s_movk_i32 s4, 0x7f
	v_cmp_gt_i16_sdwa s[6:7], v12, s4 src0_sel:BYTE_3 src1_sel:DWORD
	s_mov_b64 s[4:5], 0
                                        ; implicit-def: $sgpr10
	s_and_saveexec_b64 s[8:9], s[6:7]
	s_xor_b64 s[6:7], exec, s[8:9]
	s_cbranch_execnz .LBB55_3865
; %bb.1817:
	s_or_saveexec_b64 s[6:7], s[6:7]
	v_mov_b32_e32 v18, s10
	s_xor_b64 exec, exec, s[6:7]
	s_cbranch_execnz .LBB55_3868
.LBB55_1818:
	s_or_b64 exec, exec, s[6:7]
	s_and_saveexec_b64 s[6:7], s[4:5]
	s_cbranch_execz .LBB55_1820
.LBB55_1819:
	v_bfe_u32 v18, v12, 24, 3
	v_ffbh_u32_e32 v22, v18
	v_min_u32_e32 v22, 32, v22
	v_lshrrev_b32_e32 v20, 27, v12
	v_subrev_u32_e32 v23, 28, v22
	v_and_b32_e32 v19, 0x80000000, v12
	v_and_b32_e32 v20, 15, v20
	v_bfe_u32 v21, v12, 27, 4
	v_lshlrev_b32_sdwa v12, v23, v12 dst_sel:DWORD dst_unused:UNUSED_PAD src0_sel:DWORD src1_sel:BYTE_3
	v_sub_u32_e32 v22, 29, v22
	v_and_b32_e32 v12, 7, v12
	v_cmp_eq_u16_e32 vcc, 0, v20
	v_cndmask_b32_e32 v12, v18, v12, vcc
	v_cndmask_b32_e32 v18, v21, v22, vcc
	v_mov_b32_e32 v20, 0x3b800000
	v_lshlrev_b32_e32 v12, 20, v12
	v_lshl_add_u32 v18, v18, 23, v20
	v_or3_b32 v18, v19, v18, v12
.LBB55_1820:
	s_or_b64 exec, exec, s[6:7]
	s_movk_i32 s4, 0x7f
	v_cmp_gt_i16_sdwa s[6:7], v8, s4 src0_sel:BYTE_3 src1_sel:DWORD
	s_mov_b64 s[4:5], 0
                                        ; implicit-def: $sgpr10
	s_and_saveexec_b64 s[8:9], s[6:7]
	s_xor_b64 s[6:7], exec, s[8:9]
	s_cbranch_execnz .LBB55_3869
; %bb.1821:
	s_or_saveexec_b64 s[6:7], s[6:7]
	v_mov_b32_e32 v12, s10
	s_xor_b64 exec, exec, s[6:7]
	s_cbranch_execnz .LBB55_3872
.LBB55_1822:
	s_or_b64 exec, exec, s[6:7]
	s_and_saveexec_b64 s[6:7], s[4:5]
	s_cbranch_execz .LBB55_1824
.LBB55_1823:
	v_bfe_u32 v12, v8, 24, 3
	v_ffbh_u32_e32 v22, v12
	v_min_u32_e32 v22, 32, v22
	v_lshrrev_b32_e32 v20, 27, v8
	v_subrev_u32_e32 v23, 28, v22
	v_and_b32_e32 v19, 0x80000000, v8
	v_and_b32_e32 v20, 15, v20
	v_bfe_u32 v21, v8, 27, 4
	v_lshlrev_b32_sdwa v8, v23, v8 dst_sel:DWORD dst_unused:UNUSED_PAD src0_sel:DWORD src1_sel:BYTE_3
	v_sub_u32_e32 v22, 29, v22
	v_and_b32_e32 v8, 7, v8
	v_cmp_eq_u16_e32 vcc, 0, v20
	v_cndmask_b32_e32 v8, v12, v8, vcc
	v_cndmask_b32_e32 v12, v21, v22, vcc
	v_mov_b32_e32 v20, 0x3b800000
	v_lshlrev_b32_e32 v8, 20, v8
	v_lshl_add_u32 v12, v12, 23, v20
	v_or3_b32 v12, v19, v12, v8
.LBB55_1824:
	s_or_b64 exec, exec, s[6:7]
	s_nop 0
	v_mfma_f32_16x16x4f32 a[0:3], v18, v12, a[0:3]
	s_movk_i32 s4, 0x7f
	v_cmp_gt_i16_sdwa s[6:7], v13, s4 src0_sel:BYTE_0 src1_sel:DWORD
	s_mov_b64 s[4:5], 0
                                        ; implicit-def: $sgpr10
	s_and_saveexec_b64 s[8:9], s[6:7]
	s_xor_b64 s[6:7], exec, s[8:9]
	s_cbranch_execnz .LBB55_3873
; %bb.1825:
	s_or_saveexec_b64 s[6:7], s[6:7]
	v_mov_b32_e32 v8, s10
	s_xor_b64 exec, exec, s[6:7]
	s_cbranch_execnz .LBB55_3876
.LBB55_1826:
	s_or_b64 exec, exec, s[6:7]
	s_and_saveexec_b64 s[6:7], s[4:5]
	s_cbranch_execz .LBB55_1828
.LBB55_1827:
	v_and_b32_e32 v8, 7, v13
	v_ffbh_u32_e32 v18, v8
	v_min_u32_e32 v18, 32, v18
	v_lshrrev_b16_e32 v12, 3, v13
	v_subrev_u32_e32 v19, 28, v18
	v_and_b32_e32 v12, 15, v12
	v_lshlrev_b32_e32 v19, v19, v13
	v_sub_u32_e32 v18, 29, v18
	v_and_b32_e32 v19, 7, v19
	v_cmp_eq_u16_e32 vcc, 0, v12
	v_cndmask_b32_e32 v8, v8, v19, vcc
	v_cndmask_b32_e32 v12, v12, v18, vcc
	v_lshlrev_b32_e32 v18, 24, v13
	v_mov_b32_e32 v19, 0x3b800000
	v_lshlrev_b32_e32 v8, 20, v8
	v_and_b32_e32 v18, 0x80000000, v18
	v_lshl_add_u32 v12, v12, 23, v19
	v_or3_b32 v8, v18, v12, v8
.LBB55_1828:
	s_or_b64 exec, exec, s[6:7]
	s_movk_i32 s4, 0x7f
	v_cmp_gt_i16_sdwa s[6:7], v9, s4 src0_sel:BYTE_0 src1_sel:DWORD
	s_mov_b64 s[4:5], 0
                                        ; implicit-def: $sgpr10
	s_and_saveexec_b64 s[8:9], s[6:7]
	s_xor_b64 s[6:7], exec, s[8:9]
	s_cbranch_execnz .LBB55_3877
; %bb.1829:
	s_or_saveexec_b64 s[6:7], s[6:7]
	v_mov_b32_e32 v12, s10
	s_xor_b64 exec, exec, s[6:7]
	s_cbranch_execnz .LBB55_3880
.LBB55_1830:
	s_or_b64 exec, exec, s[6:7]
	s_and_saveexec_b64 s[6:7], s[4:5]
	s_cbranch_execz .LBB55_1832
.LBB55_1831:
	v_and_b32_e32 v12, 7, v9
	v_ffbh_u32_e32 v19, v12
	v_min_u32_e32 v19, 32, v19
	v_lshrrev_b16_e32 v18, 3, v9
	v_subrev_u32_e32 v20, 28, v19
	v_and_b32_e32 v18, 15, v18
	v_lshlrev_b32_e32 v20, v20, v9
	v_sub_u32_e32 v19, 29, v19
	v_and_b32_e32 v20, 7, v20
	v_cmp_eq_u16_e32 vcc, 0, v18
	v_cndmask_b32_e32 v12, v12, v20, vcc
	v_cndmask_b32_e32 v18, v18, v19, vcc
	v_lshlrev_b32_e32 v19, 24, v9
	v_mov_b32_e32 v20, 0x3b800000
	v_lshlrev_b32_e32 v12, 20, v12
	v_and_b32_e32 v19, 0x80000000, v19
	v_lshl_add_u32 v18, v18, 23, v20
	v_or3_b32 v12, v19, v18, v12
.LBB55_1832:
	s_or_b64 exec, exec, s[6:7]
	s_nop 0
	v_mfma_f32_16x16x4f32 a[0:3], v8, v12, a[0:3]
	v_lshrrev_b32_e32 v12, 8, v13
	s_movk_i32 s4, 0x7f
	v_cmp_gt_i16_sdwa s[6:7], v12, s4 src0_sel:BYTE_0 src1_sel:DWORD
	s_mov_b64 s[4:5], 0
                                        ; implicit-def: $sgpr10
	s_and_saveexec_b64 s[8:9], s[6:7]
	s_xor_b64 s[6:7], exec, s[8:9]
	s_cbranch_execnz .LBB55_3881
; %bb.1833:
	s_or_saveexec_b64 s[6:7], s[6:7]
	v_mov_b32_e32 v8, s10
	s_xor_b64 exec, exec, s[6:7]
	s_cbranch_execnz .LBB55_3884
.LBB55_1834:
	s_or_b64 exec, exec, s[6:7]
	s_and_saveexec_b64 s[6:7], s[4:5]
	s_cbranch_execz .LBB55_1836
.LBB55_1835:
	v_bfe_u32 v8, v13, 8, 3
	v_ffbh_u32_e32 v19, v8
	v_min_u32_e32 v19, 32, v19
	v_lshrrev_b16_e32 v18, 3, v12
	v_subrev_u32_e32 v20, 28, v19
	v_and_b32_e32 v18, 15, v18
	v_lshlrev_b32_e32 v12, v20, v12
	v_sub_u32_e32 v19, 29, v19
	v_and_b32_e32 v12, 7, v12
	v_cmp_eq_u16_e32 vcc, 0, v18
	v_cndmask_b32_e32 v8, v8, v12, vcc
	v_cndmask_b32_e32 v12, v18, v19, vcc
	v_lshlrev_b32_e32 v18, 16, v13
	v_mov_b32_e32 v19, 0x3b800000
	v_lshlrev_b32_e32 v8, 20, v8
	v_and_b32_e32 v18, 0x80000000, v18
	v_lshl_add_u32 v12, v12, 23, v19
	v_or3_b32 v8, v18, v12, v8
.LBB55_1836:
	s_or_b64 exec, exec, s[6:7]
	v_lshrrev_b32_e32 v12, 8, v9
	s_movk_i32 s4, 0x7f
	v_cmp_gt_i16_sdwa s[6:7], v12, s4 src0_sel:BYTE_0 src1_sel:DWORD
	s_mov_b64 s[4:5], 0
                                        ; implicit-def: $sgpr10
	s_and_saveexec_b64 s[8:9], s[6:7]
	s_xor_b64 s[6:7], exec, s[8:9]
	s_cbranch_execnz .LBB55_3885
; %bb.1837:
	s_or_saveexec_b64 s[6:7], s[6:7]
	v_mov_b32_e32 v18, s10
	s_xor_b64 exec, exec, s[6:7]
	s_cbranch_execnz .LBB55_3888
.LBB55_1838:
	s_or_b64 exec, exec, s[6:7]
	s_and_saveexec_b64 s[6:7], s[4:5]
	s_cbranch_execz .LBB55_1840
.LBB55_1839:
	v_bfe_u32 v18, v9, 8, 3
	v_ffbh_u32_e32 v20, v18
	v_min_u32_e32 v20, 32, v20
	v_lshrrev_b16_e32 v19, 3, v12
	v_subrev_u32_e32 v21, 28, v20
	v_and_b32_e32 v19, 15, v19
	v_lshlrev_b32_e32 v12, v21, v12
	v_sub_u32_e32 v20, 29, v20
	v_and_b32_e32 v12, 7, v12
	v_cmp_eq_u16_e32 vcc, 0, v19
	v_cndmask_b32_e32 v12, v18, v12, vcc
	v_cndmask_b32_e32 v18, v19, v20, vcc
	v_lshlrev_b32_e32 v19, 16, v9
	v_mov_b32_e32 v20, 0x3b800000
	v_lshlrev_b32_e32 v12, 20, v12
	v_and_b32_e32 v19, 0x80000000, v19
	v_lshl_add_u32 v18, v18, 23, v20
	v_or3_b32 v18, v19, v18, v12
.LBB55_1840:
	s_or_b64 exec, exec, s[6:7]
	s_nop 0
	v_mfma_f32_16x16x4f32 a[0:3], v8, v18, a[0:3]
	s_movk_i32 s4, 0xff
	v_and_b32_sdwa v12, v13, s4 dst_sel:DWORD dst_unused:UNUSED_PAD src0_sel:WORD_1 src1_sel:DWORD
	s_movk_i32 s4, 0x7f
	v_cmp_lt_i16_e32 vcc, s4, v12
	s_mov_b64 s[4:5], 0
                                        ; implicit-def: $sgpr10
	s_and_saveexec_b64 s[6:7], vcc
	s_xor_b64 s[6:7], exec, s[6:7]
	s_cbranch_execnz .LBB55_3889
; %bb.1841:
	s_or_saveexec_b64 s[6:7], s[6:7]
	v_mov_b32_e32 v8, s10
	s_xor_b64 exec, exec, s[6:7]
	s_cbranch_execnz .LBB55_3892
.LBB55_1842:
	s_or_b64 exec, exec, s[6:7]
	s_and_saveexec_b64 s[6:7], s[4:5]
	s_cbranch_execz .LBB55_1844
.LBB55_1843:
	v_bfe_u32 v8, v13, 16, 3
	v_ffbh_u32_e32 v19, v8
	v_min_u32_e32 v19, 32, v19
	v_lshrrev_b32_e32 v12, 19, v13
	v_subrev_u32_e32 v20, 28, v19
	v_and_b32_e32 v12, 15, v12
	v_lshlrev_b32_sdwa v20, v20, v13 dst_sel:DWORD dst_unused:UNUSED_PAD src0_sel:DWORD src1_sel:WORD_1
	v_bfe_u32 v18, v13, 19, 4
	v_sub_u32_e32 v19, 29, v19
	v_and_b32_e32 v20, 7, v20
	v_cmp_eq_u16_e32 vcc, 0, v12
	v_cndmask_b32_e32 v8, v8, v20, vcc
	v_cndmask_b32_e32 v12, v18, v19, vcc
	v_lshlrev_b32_e32 v18, 8, v13
	v_mov_b32_e32 v19, 0x3b800000
	v_lshlrev_b32_e32 v8, 20, v8
	v_and_b32_e32 v18, 0x80000000, v18
	v_lshl_add_u32 v12, v12, 23, v19
	v_or3_b32 v8, v18, v12, v8
.LBB55_1844:
	s_or_b64 exec, exec, s[6:7]
	s_movk_i32 s4, 0xff
	v_and_b32_sdwa v12, v9, s4 dst_sel:DWORD dst_unused:UNUSED_PAD src0_sel:WORD_1 src1_sel:DWORD
	s_movk_i32 s4, 0x7f
	v_cmp_lt_i16_e32 vcc, s4, v12
	s_mov_b64 s[4:5], 0
                                        ; implicit-def: $sgpr10
	s_and_saveexec_b64 s[6:7], vcc
	s_xor_b64 s[6:7], exec, s[6:7]
	s_cbranch_execnz .LBB55_3893
; %bb.1845:
	s_or_saveexec_b64 s[6:7], s[6:7]
	v_mov_b32_e32 v18, s10
	s_xor_b64 exec, exec, s[6:7]
	s_cbranch_execnz .LBB55_3896
.LBB55_1846:
	s_or_b64 exec, exec, s[6:7]
	s_and_saveexec_b64 s[6:7], s[4:5]
	s_cbranch_execz .LBB55_1848
.LBB55_1847:
	v_bfe_u32 v12, v9, 16, 3
	v_ffbh_u32_e32 v20, v12
	v_min_u32_e32 v20, 32, v20
	v_lshrrev_b32_e32 v18, 19, v9
	v_subrev_u32_e32 v21, 28, v20
	v_and_b32_e32 v18, 15, v18
	v_lshlrev_b32_sdwa v21, v21, v9 dst_sel:DWORD dst_unused:UNUSED_PAD src0_sel:DWORD src1_sel:WORD_1
	v_bfe_u32 v19, v9, 19, 4
	v_sub_u32_e32 v20, 29, v20
	v_and_b32_e32 v21, 7, v21
	v_cmp_eq_u16_e32 vcc, 0, v18
	v_cndmask_b32_e32 v12, v12, v21, vcc
	v_cndmask_b32_e32 v18, v19, v20, vcc
	v_lshlrev_b32_e32 v19, 8, v9
	v_mov_b32_e32 v20, 0x3b800000
	v_lshlrev_b32_e32 v12, 20, v12
	v_and_b32_e32 v19, 0x80000000, v19
	v_lshl_add_u32 v18, v18, 23, v20
	v_or3_b32 v18, v19, v18, v12
.LBB55_1848:
	s_or_b64 exec, exec, s[6:7]
	s_nop 0
	v_mfma_f32_16x16x4f32 a[0:3], v8, v18, a[0:3]
	s_movk_i32 s4, 0x7f
	v_cmp_gt_i16_sdwa s[6:7], v13, s4 src0_sel:BYTE_3 src1_sel:DWORD
	s_mov_b64 s[4:5], 0
                                        ; implicit-def: $sgpr10
	s_and_saveexec_b64 s[8:9], s[6:7]
	s_xor_b64 s[6:7], exec, s[8:9]
	s_cbranch_execnz .LBB55_3897
; %bb.1849:
	s_or_saveexec_b64 s[6:7], s[6:7]
	v_mov_b32_e32 v8, s10
	s_xor_b64 exec, exec, s[6:7]
	s_cbranch_execnz .LBB55_3900
.LBB55_1850:
	s_or_b64 exec, exec, s[6:7]
	s_and_saveexec_b64 s[6:7], s[4:5]
	s_cbranch_execz .LBB55_1852
.LBB55_1851:
	v_bfe_u32 v8, v13, 24, 3
	v_ffbh_u32_e32 v20, v8
	v_min_u32_e32 v20, 32, v20
	v_lshrrev_b32_e32 v18, 27, v13
	v_subrev_u32_e32 v21, 28, v20
	v_and_b32_e32 v12, 0x80000000, v13
	v_and_b32_e32 v18, 15, v18
	v_bfe_u32 v19, v13, 27, 4
	v_lshlrev_b32_sdwa v13, v21, v13 dst_sel:DWORD dst_unused:UNUSED_PAD src0_sel:DWORD src1_sel:BYTE_3
	v_sub_u32_e32 v20, 29, v20
	v_and_b32_e32 v13, 7, v13
	v_cmp_eq_u16_e32 vcc, 0, v18
	v_cndmask_b32_e32 v8, v8, v13, vcc
	v_cndmask_b32_e32 v13, v19, v20, vcc
	v_mov_b32_e32 v18, 0x3b800000
	v_lshlrev_b32_e32 v8, 20, v8
	v_lshl_add_u32 v13, v13, 23, v18
	v_or3_b32 v8, v12, v13, v8
.LBB55_1852:
	s_or_b64 exec, exec, s[6:7]
	s_movk_i32 s4, 0x7f
	v_cmp_gt_i16_sdwa s[6:7], v9, s4 src0_sel:BYTE_3 src1_sel:DWORD
	s_mov_b64 s[4:5], 0
                                        ; implicit-def: $sgpr10
	s_and_saveexec_b64 s[8:9], s[6:7]
	s_xor_b64 s[6:7], exec, s[8:9]
	s_cbranch_execnz .LBB55_3901
; %bb.1853:
	s_or_saveexec_b64 s[6:7], s[6:7]
	v_mov_b32_e32 v12, s10
	s_xor_b64 exec, exec, s[6:7]
	s_cbranch_execnz .LBB55_3904
.LBB55_1854:
	s_or_b64 exec, exec, s[6:7]
	s_and_saveexec_b64 s[6:7], s[4:5]
	s_cbranch_execz .LBB55_1856
.LBB55_1855:
	v_bfe_u32 v12, v9, 24, 3
	v_ffbh_u32_e32 v20, v12
	v_min_u32_e32 v20, 32, v20
	v_lshrrev_b32_e32 v18, 27, v9
	v_subrev_u32_e32 v21, 28, v20
	v_and_b32_e32 v13, 0x80000000, v9
	v_and_b32_e32 v18, 15, v18
	v_bfe_u32 v19, v9, 27, 4
	v_lshlrev_b32_sdwa v9, v21, v9 dst_sel:DWORD dst_unused:UNUSED_PAD src0_sel:DWORD src1_sel:BYTE_3
	v_sub_u32_e32 v20, 29, v20
	v_and_b32_e32 v9, 7, v9
	v_cmp_eq_u16_e32 vcc, 0, v18
	v_cndmask_b32_e32 v9, v12, v9, vcc
	v_cndmask_b32_e32 v12, v19, v20, vcc
	v_mov_b32_e32 v18, 0x3b800000
	v_lshlrev_b32_e32 v9, 20, v9
	v_lshl_add_u32 v12, v12, 23, v18
	v_or3_b32 v12, v13, v12, v9
.LBB55_1856:
	s_or_b64 exec, exec, s[6:7]
	s_nop 0
	v_mfma_f32_16x16x4f32 a[0:3], v8, v12, a[0:3]
	s_movk_i32 s4, 0x7f
	v_cmp_gt_i16_sdwa s[6:7], v14, s4 src0_sel:BYTE_0 src1_sel:DWORD
	s_mov_b64 s[4:5], 0
                                        ; implicit-def: $sgpr10
	s_and_saveexec_b64 s[8:9], s[6:7]
	s_xor_b64 s[6:7], exec, s[8:9]
	s_cbranch_execnz .LBB55_3905
; %bb.1857:
	s_or_saveexec_b64 s[6:7], s[6:7]
	v_mov_b32_e32 v8, s10
	s_xor_b64 exec, exec, s[6:7]
	s_cbranch_execnz .LBB55_3908
.LBB55_1858:
	s_or_b64 exec, exec, s[6:7]
	s_and_saveexec_b64 s[6:7], s[4:5]
	s_cbranch_execz .LBB55_1860
.LBB55_1859:
	v_and_b32_e32 v8, 7, v14
	v_ffbh_u32_e32 v12, v8
	v_min_u32_e32 v12, 32, v12
	v_lshrrev_b16_e32 v9, 3, v14
	v_subrev_u32_e32 v13, 28, v12
	v_and_b32_e32 v9, 15, v9
	v_lshlrev_b32_e32 v13, v13, v14
	v_sub_u32_e32 v12, 29, v12
	v_and_b32_e32 v13, 7, v13
	v_cmp_eq_u16_e32 vcc, 0, v9
	v_cndmask_b32_e32 v8, v8, v13, vcc
	v_cndmask_b32_e32 v9, v9, v12, vcc
	v_lshlrev_b32_e32 v12, 24, v14
	v_mov_b32_e32 v13, 0x3b800000
	v_lshlrev_b32_e32 v8, 20, v8
	v_and_b32_e32 v12, 0x80000000, v12
	v_lshl_add_u32 v9, v9, 23, v13
	v_or3_b32 v8, v12, v9, v8
.LBB55_1860:
	s_or_b64 exec, exec, s[6:7]
	s_movk_i32 s4, 0x7f
	v_cmp_gt_i16_sdwa s[6:7], v10, s4 src0_sel:BYTE_0 src1_sel:DWORD
	s_mov_b64 s[4:5], 0
                                        ; implicit-def: $sgpr10
	s_and_saveexec_b64 s[8:9], s[6:7]
	s_xor_b64 s[6:7], exec, s[8:9]
	s_cbranch_execnz .LBB55_3909
; %bb.1861:
	s_or_saveexec_b64 s[6:7], s[6:7]
	v_mov_b32_e32 v9, s10
	s_xor_b64 exec, exec, s[6:7]
	s_cbranch_execnz .LBB55_3912
.LBB55_1862:
	s_or_b64 exec, exec, s[6:7]
	s_and_saveexec_b64 s[6:7], s[4:5]
	s_cbranch_execz .LBB55_1864
.LBB55_1863:
	v_and_b32_e32 v9, 7, v10
	v_ffbh_u32_e32 v13, v9
	v_min_u32_e32 v13, 32, v13
	v_lshrrev_b16_e32 v12, 3, v10
	v_subrev_u32_e32 v18, 28, v13
	v_and_b32_e32 v12, 15, v12
	v_lshlrev_b32_e32 v18, v18, v10
	v_sub_u32_e32 v13, 29, v13
	v_and_b32_e32 v18, 7, v18
	v_cmp_eq_u16_e32 vcc, 0, v12
	v_cndmask_b32_e32 v9, v9, v18, vcc
	v_cndmask_b32_e32 v12, v12, v13, vcc
	v_lshlrev_b32_e32 v13, 24, v10
	v_mov_b32_e32 v18, 0x3b800000
	v_lshlrev_b32_e32 v9, 20, v9
	v_and_b32_e32 v13, 0x80000000, v13
	v_lshl_add_u32 v12, v12, 23, v18
	v_or3_b32 v9, v13, v12, v9
.LBB55_1864:
	s_or_b64 exec, exec, s[6:7]
	s_nop 0
	v_mfma_f32_16x16x4f32 a[0:3], v8, v9, a[0:3]
	v_lshrrev_b32_e32 v9, 8, v14
	s_movk_i32 s4, 0x7f
	v_cmp_gt_i16_sdwa s[6:7], v9, s4 src0_sel:BYTE_0 src1_sel:DWORD
	s_mov_b64 s[4:5], 0
                                        ; implicit-def: $sgpr10
	s_and_saveexec_b64 s[8:9], s[6:7]
	s_xor_b64 s[6:7], exec, s[8:9]
	s_cbranch_execnz .LBB55_3913
; %bb.1865:
	s_or_saveexec_b64 s[6:7], s[6:7]
	v_mov_b32_e32 v8, s10
	s_xor_b64 exec, exec, s[6:7]
	s_cbranch_execnz .LBB55_3916
.LBB55_1866:
	s_or_b64 exec, exec, s[6:7]
	s_and_saveexec_b64 s[6:7], s[4:5]
	s_cbranch_execz .LBB55_1868
.LBB55_1867:
	v_bfe_u32 v8, v14, 8, 3
	v_ffbh_u32_e32 v13, v8
	v_min_u32_e32 v13, 32, v13
	v_lshrrev_b16_e32 v12, 3, v9
	v_subrev_u32_e32 v18, 28, v13
	v_and_b32_e32 v12, 15, v12
	v_lshlrev_b32_e32 v9, v18, v9
	v_sub_u32_e32 v13, 29, v13
	v_and_b32_e32 v9, 7, v9
	v_cmp_eq_u16_e32 vcc, 0, v12
	v_cndmask_b32_e32 v8, v8, v9, vcc
	v_cndmask_b32_e32 v9, v12, v13, vcc
	v_lshlrev_b32_e32 v12, 16, v14
	v_mov_b32_e32 v13, 0x3b800000
	v_lshlrev_b32_e32 v8, 20, v8
	v_and_b32_e32 v12, 0x80000000, v12
	v_lshl_add_u32 v9, v9, 23, v13
	v_or3_b32 v8, v12, v9, v8
.LBB55_1868:
	s_or_b64 exec, exec, s[6:7]
	v_lshrrev_b32_e32 v9, 8, v10
	s_movk_i32 s4, 0x7f
	v_cmp_gt_i16_sdwa s[6:7], v9, s4 src0_sel:BYTE_0 src1_sel:DWORD
	s_mov_b64 s[4:5], 0
                                        ; implicit-def: $sgpr10
	s_and_saveexec_b64 s[8:9], s[6:7]
	s_xor_b64 s[6:7], exec, s[8:9]
	s_cbranch_execnz .LBB55_3917
; %bb.1869:
	s_or_saveexec_b64 s[6:7], s[6:7]
	v_mov_b32_e32 v12, s10
	s_xor_b64 exec, exec, s[6:7]
	s_cbranch_execnz .LBB55_3920
.LBB55_1870:
	s_or_b64 exec, exec, s[6:7]
	s_and_saveexec_b64 s[6:7], s[4:5]
	s_cbranch_execz .LBB55_1872
.LBB55_1871:
	v_bfe_u32 v12, v10, 8, 3
	v_ffbh_u32_e32 v18, v12
	v_min_u32_e32 v18, 32, v18
	v_lshrrev_b16_e32 v13, 3, v9
	v_subrev_u32_e32 v19, 28, v18
	v_and_b32_e32 v13, 15, v13
	v_lshlrev_b32_e32 v9, v19, v9
	v_sub_u32_e32 v18, 29, v18
	v_and_b32_e32 v9, 7, v9
	v_cmp_eq_u16_e32 vcc, 0, v13
	v_cndmask_b32_e32 v9, v12, v9, vcc
	v_cndmask_b32_e32 v12, v13, v18, vcc
	v_lshlrev_b32_e32 v13, 16, v10
	v_mov_b32_e32 v18, 0x3b800000
	v_lshlrev_b32_e32 v9, 20, v9
	v_and_b32_e32 v13, 0x80000000, v13
	v_lshl_add_u32 v12, v12, 23, v18
	v_or3_b32 v12, v13, v12, v9
.LBB55_1872:
	s_or_b64 exec, exec, s[6:7]
	s_nop 0
	v_mfma_f32_16x16x4f32 a[0:3], v8, v12, a[0:3]
	s_movk_i32 s4, 0xff
	v_and_b32_sdwa v9, v14, s4 dst_sel:DWORD dst_unused:UNUSED_PAD src0_sel:WORD_1 src1_sel:DWORD
	s_movk_i32 s4, 0x7f
	v_cmp_lt_i16_e32 vcc, s4, v9
	s_mov_b64 s[4:5], 0
                                        ; implicit-def: $sgpr10
	s_and_saveexec_b64 s[6:7], vcc
	s_xor_b64 s[6:7], exec, s[6:7]
	s_cbranch_execnz .LBB55_3921
; %bb.1873:
	s_or_saveexec_b64 s[6:7], s[6:7]
	v_mov_b32_e32 v8, s10
	s_xor_b64 exec, exec, s[6:7]
	s_cbranch_execnz .LBB55_3924
.LBB55_1874:
	s_or_b64 exec, exec, s[6:7]
	s_and_saveexec_b64 s[6:7], s[4:5]
	s_cbranch_execz .LBB55_1876
.LBB55_1875:
	v_bfe_u32 v8, v14, 16, 3
	v_ffbh_u32_e32 v13, v8
	v_min_u32_e32 v13, 32, v13
	v_lshrrev_b32_e32 v9, 19, v14
	v_subrev_u32_e32 v18, 28, v13
	v_and_b32_e32 v9, 15, v9
	v_lshlrev_b32_sdwa v18, v18, v14 dst_sel:DWORD dst_unused:UNUSED_PAD src0_sel:DWORD src1_sel:WORD_1
	v_bfe_u32 v12, v14, 19, 4
	v_sub_u32_e32 v13, 29, v13
	v_and_b32_e32 v18, 7, v18
	v_cmp_eq_u16_e32 vcc, 0, v9
	v_cndmask_b32_e32 v8, v8, v18, vcc
	v_cndmask_b32_e32 v9, v12, v13, vcc
	v_lshlrev_b32_e32 v12, 8, v14
	v_mov_b32_e32 v13, 0x3b800000
	v_lshlrev_b32_e32 v8, 20, v8
	v_and_b32_e32 v12, 0x80000000, v12
	v_lshl_add_u32 v9, v9, 23, v13
	v_or3_b32 v8, v12, v9, v8
.LBB55_1876:
	s_or_b64 exec, exec, s[6:7]
	s_movk_i32 s4, 0xff
	v_and_b32_sdwa v9, v10, s4 dst_sel:DWORD dst_unused:UNUSED_PAD src0_sel:WORD_1 src1_sel:DWORD
	s_movk_i32 s4, 0x7f
	v_cmp_lt_i16_e32 vcc, s4, v9
	s_mov_b64 s[4:5], 0
                                        ; implicit-def: $sgpr10
	s_and_saveexec_b64 s[6:7], vcc
	s_xor_b64 s[6:7], exec, s[6:7]
	s_cbranch_execnz .LBB55_3925
; %bb.1877:
	s_or_saveexec_b64 s[6:7], s[6:7]
	v_mov_b32_e32 v12, s10
	s_xor_b64 exec, exec, s[6:7]
	s_cbranch_execnz .LBB55_3928
.LBB55_1878:
	s_or_b64 exec, exec, s[6:7]
	s_and_saveexec_b64 s[6:7], s[4:5]
	s_cbranch_execz .LBB55_1880
.LBB55_1879:
	v_bfe_u32 v9, v10, 16, 3
	v_ffbh_u32_e32 v18, v9
	v_min_u32_e32 v18, 32, v18
	v_lshrrev_b32_e32 v12, 19, v10
	v_subrev_u32_e32 v19, 28, v18
	v_and_b32_e32 v12, 15, v12
	v_lshlrev_b32_sdwa v19, v19, v10 dst_sel:DWORD dst_unused:UNUSED_PAD src0_sel:DWORD src1_sel:WORD_1
	v_bfe_u32 v13, v10, 19, 4
	v_sub_u32_e32 v18, 29, v18
	v_and_b32_e32 v19, 7, v19
	v_cmp_eq_u16_e32 vcc, 0, v12
	v_cndmask_b32_e32 v9, v9, v19, vcc
	v_cndmask_b32_e32 v12, v13, v18, vcc
	v_lshlrev_b32_e32 v13, 8, v10
	v_mov_b32_e32 v18, 0x3b800000
	v_lshlrev_b32_e32 v9, 20, v9
	v_and_b32_e32 v13, 0x80000000, v13
	v_lshl_add_u32 v12, v12, 23, v18
	v_or3_b32 v12, v13, v12, v9
.LBB55_1880:
	s_or_b64 exec, exec, s[6:7]
	s_nop 0
	v_mfma_f32_16x16x4f32 a[0:3], v8, v12, a[0:3]
	s_movk_i32 s4, 0x7f
	v_cmp_gt_i16_sdwa s[6:7], v14, s4 src0_sel:BYTE_3 src1_sel:DWORD
	s_mov_b64 s[4:5], 0
                                        ; implicit-def: $sgpr10
	s_and_saveexec_b64 s[8:9], s[6:7]
	s_xor_b64 s[6:7], exec, s[8:9]
	s_cbranch_execnz .LBB55_3929
; %bb.1881:
	s_or_saveexec_b64 s[6:7], s[6:7]
	v_mov_b32_e32 v8, s10
	s_xor_b64 exec, exec, s[6:7]
	s_cbranch_execnz .LBB55_3932
.LBB55_1882:
	s_or_b64 exec, exec, s[6:7]
	s_and_saveexec_b64 s[6:7], s[4:5]
	s_cbranch_execz .LBB55_1884
.LBB55_1883:
	v_bfe_u32 v8, v14, 24, 3
	v_ffbh_u32_e32 v18, v8
	v_min_u32_e32 v18, 32, v18
	v_lshrrev_b32_e32 v12, 27, v14
	v_subrev_u32_e32 v19, 28, v18
	v_and_b32_e32 v9, 0x80000000, v14
	v_and_b32_e32 v12, 15, v12
	v_bfe_u32 v13, v14, 27, 4
	v_lshlrev_b32_sdwa v14, v19, v14 dst_sel:DWORD dst_unused:UNUSED_PAD src0_sel:DWORD src1_sel:BYTE_3
	v_sub_u32_e32 v18, 29, v18
	v_and_b32_e32 v14, 7, v14
	v_cmp_eq_u16_e32 vcc, 0, v12
	v_cndmask_b32_e32 v8, v8, v14, vcc
	v_cndmask_b32_e32 v12, v13, v18, vcc
	v_mov_b32_e32 v13, 0x3b800000
	v_lshlrev_b32_e32 v8, 20, v8
	v_lshl_add_u32 v12, v12, 23, v13
	v_or3_b32 v8, v9, v12, v8
.LBB55_1884:
	s_or_b64 exec, exec, s[6:7]
	s_movk_i32 s4, 0x7f
	v_cmp_gt_i16_sdwa s[6:7], v10, s4 src0_sel:BYTE_3 src1_sel:DWORD
	s_mov_b64 s[4:5], 0
                                        ; implicit-def: $sgpr10
	s_and_saveexec_b64 s[8:9], s[6:7]
	s_xor_b64 s[6:7], exec, s[8:9]
	s_cbranch_execnz .LBB55_3933
; %bb.1885:
	s_or_saveexec_b64 s[6:7], s[6:7]
	v_mov_b32_e32 v9, s10
	s_xor_b64 exec, exec, s[6:7]
	s_cbranch_execnz .LBB55_3936
.LBB55_1886:
	s_or_b64 exec, exec, s[6:7]
	s_and_saveexec_b64 s[6:7], s[4:5]
	s_cbranch_execz .LBB55_1888
.LBB55_1887:
	v_bfe_u32 v9, v10, 24, 3
	v_ffbh_u32_e32 v18, v9
	v_min_u32_e32 v18, 32, v18
	v_lshrrev_b32_e32 v13, 27, v10
	v_subrev_u32_e32 v19, 28, v18
	v_and_b32_e32 v12, 0x80000000, v10
	v_and_b32_e32 v13, 15, v13
	v_bfe_u32 v14, v10, 27, 4
	v_lshlrev_b32_sdwa v10, v19, v10 dst_sel:DWORD dst_unused:UNUSED_PAD src0_sel:DWORD src1_sel:BYTE_3
	v_sub_u32_e32 v18, 29, v18
	v_and_b32_e32 v10, 7, v10
	v_cmp_eq_u16_e32 vcc, 0, v13
	v_cndmask_b32_e32 v9, v9, v10, vcc
	v_cndmask_b32_e32 v10, v14, v18, vcc
	v_mov_b32_e32 v13, 0x3b800000
	v_lshlrev_b32_e32 v9, 20, v9
	v_lshl_add_u32 v10, v10, 23, v13
	v_or3_b32 v9, v12, v10, v9
.LBB55_1888:
	s_or_b64 exec, exec, s[6:7]
	s_nop 0
	v_mfma_f32_16x16x4f32 a[0:3], v8, v9, a[0:3]
	s_movk_i32 s4, 0x7f
	v_cmp_gt_i16_sdwa s[6:7], v15, s4 src0_sel:BYTE_0 src1_sel:DWORD
	s_mov_b64 s[4:5], 0
                                        ; implicit-def: $sgpr10
	s_and_saveexec_b64 s[8:9], s[6:7]
	s_xor_b64 s[6:7], exec, s[8:9]
	s_cbranch_execnz .LBB55_3937
; %bb.1889:
	s_or_saveexec_b64 s[6:7], s[6:7]
	v_mov_b32_e32 v8, s10
	s_xor_b64 exec, exec, s[6:7]
	s_cbranch_execnz .LBB55_3940
.LBB55_1890:
	s_or_b64 exec, exec, s[6:7]
	s_and_saveexec_b64 s[6:7], s[4:5]
	s_cbranch_execz .LBB55_1892
.LBB55_1891:
	v_and_b32_e32 v8, 7, v15
	v_ffbh_u32_e32 v10, v8
	v_min_u32_e32 v10, 32, v10
	v_lshrrev_b16_e32 v9, 3, v15
	v_subrev_u32_e32 v12, 28, v10
	v_and_b32_e32 v9, 15, v9
	v_lshlrev_b32_e32 v12, v12, v15
	v_sub_u32_e32 v10, 29, v10
	v_and_b32_e32 v12, 7, v12
	v_cmp_eq_u16_e32 vcc, 0, v9
	v_cndmask_b32_e32 v8, v8, v12, vcc
	v_cndmask_b32_e32 v9, v9, v10, vcc
	v_lshlrev_b32_e32 v10, 24, v15
	v_mov_b32_e32 v12, 0x3b800000
	v_lshlrev_b32_e32 v8, 20, v8
	v_and_b32_e32 v10, 0x80000000, v10
	v_lshl_add_u32 v9, v9, 23, v12
	v_or3_b32 v8, v10, v9, v8
.LBB55_1892:
	s_or_b64 exec, exec, s[6:7]
	s_movk_i32 s4, 0x7f
	v_cmp_gt_i16_sdwa s[6:7], v11, s4 src0_sel:BYTE_0 src1_sel:DWORD
	s_mov_b64 s[4:5], 0
                                        ; implicit-def: $sgpr10
	s_and_saveexec_b64 s[8:9], s[6:7]
	s_xor_b64 s[6:7], exec, s[8:9]
	s_cbranch_execnz .LBB55_3941
; %bb.1893:
	s_or_saveexec_b64 s[6:7], s[6:7]
	v_mov_b32_e32 v9, s10
	s_xor_b64 exec, exec, s[6:7]
	s_cbranch_execnz .LBB55_3944
.LBB55_1894:
	s_or_b64 exec, exec, s[6:7]
	s_and_saveexec_b64 s[6:7], s[4:5]
	s_cbranch_execz .LBB55_1896
.LBB55_1895:
	v_and_b32_e32 v9, 7, v11
	v_ffbh_u32_e32 v12, v9
	v_min_u32_e32 v12, 32, v12
	v_lshrrev_b16_e32 v10, 3, v11
	v_subrev_u32_e32 v13, 28, v12
	v_and_b32_e32 v10, 15, v10
	v_lshlrev_b32_e32 v13, v13, v11
	v_sub_u32_e32 v12, 29, v12
	v_and_b32_e32 v13, 7, v13
	v_cmp_eq_u16_e32 vcc, 0, v10
	v_cndmask_b32_e32 v9, v9, v13, vcc
	v_cndmask_b32_e32 v10, v10, v12, vcc
	v_lshlrev_b32_e32 v12, 24, v11
	v_mov_b32_e32 v13, 0x3b800000
	v_lshlrev_b32_e32 v9, 20, v9
	v_and_b32_e32 v12, 0x80000000, v12
	v_lshl_add_u32 v10, v10, 23, v13
	v_or3_b32 v9, v12, v10, v9
.LBB55_1896:
	s_or_b64 exec, exec, s[6:7]
	s_nop 0
	v_mfma_f32_16x16x4f32 a[0:3], v8, v9, a[0:3]
	v_lshrrev_b32_e32 v9, 8, v15
	s_movk_i32 s4, 0x7f
	v_cmp_gt_i16_sdwa s[6:7], v9, s4 src0_sel:BYTE_0 src1_sel:DWORD
	s_mov_b64 s[4:5], 0
                                        ; implicit-def: $sgpr10
	s_and_saveexec_b64 s[8:9], s[6:7]
	s_xor_b64 s[6:7], exec, s[8:9]
	s_cbranch_execnz .LBB55_3945
; %bb.1897:
	s_or_saveexec_b64 s[6:7], s[6:7]
	v_mov_b32_e32 v8, s10
	s_xor_b64 exec, exec, s[6:7]
	s_cbranch_execnz .LBB55_3948
.LBB55_1898:
	s_or_b64 exec, exec, s[6:7]
	s_and_saveexec_b64 s[6:7], s[4:5]
	s_cbranch_execz .LBB55_1900
.LBB55_1899:
	v_bfe_u32 v8, v15, 8, 3
	v_ffbh_u32_e32 v12, v8
	v_min_u32_e32 v12, 32, v12
	v_lshrrev_b16_e32 v10, 3, v9
	v_subrev_u32_e32 v13, 28, v12
	v_and_b32_e32 v10, 15, v10
	v_lshlrev_b32_e32 v9, v13, v9
	v_sub_u32_e32 v12, 29, v12
	v_and_b32_e32 v9, 7, v9
	v_cmp_eq_u16_e32 vcc, 0, v10
	v_cndmask_b32_e32 v8, v8, v9, vcc
	v_cndmask_b32_e32 v9, v10, v12, vcc
	v_lshlrev_b32_e32 v10, 16, v15
	v_mov_b32_e32 v12, 0x3b800000
	v_lshlrev_b32_e32 v8, 20, v8
	v_and_b32_e32 v10, 0x80000000, v10
	v_lshl_add_u32 v9, v9, 23, v12
	v_or3_b32 v8, v10, v9, v8
.LBB55_1900:
	s_or_b64 exec, exec, s[6:7]
	v_lshrrev_b32_e32 v9, 8, v11
	s_movk_i32 s4, 0x7f
	v_cmp_gt_i16_sdwa s[6:7], v9, s4 src0_sel:BYTE_0 src1_sel:DWORD
	s_mov_b64 s[4:5], 0
                                        ; implicit-def: $sgpr10
	s_and_saveexec_b64 s[8:9], s[6:7]
	s_xor_b64 s[6:7], exec, s[8:9]
	s_cbranch_execnz .LBB55_3949
; %bb.1901:
	s_or_saveexec_b64 s[6:7], s[6:7]
	v_mov_b32_e32 v10, s10
	s_xor_b64 exec, exec, s[6:7]
	s_cbranch_execnz .LBB55_3952
.LBB55_1902:
	s_or_b64 exec, exec, s[6:7]
	s_and_saveexec_b64 s[6:7], s[4:5]
	s_cbranch_execz .LBB55_1904
.LBB55_1903:
	v_bfe_u32 v10, v11, 8, 3
	v_ffbh_u32_e32 v13, v10
	v_min_u32_e32 v13, 32, v13
	v_lshrrev_b16_e32 v12, 3, v9
	v_subrev_u32_e32 v14, 28, v13
	v_and_b32_e32 v12, 15, v12
	v_lshlrev_b32_e32 v9, v14, v9
	v_sub_u32_e32 v13, 29, v13
	v_and_b32_e32 v9, 7, v9
	v_cmp_eq_u16_e32 vcc, 0, v12
	v_cndmask_b32_e32 v9, v10, v9, vcc
	v_cndmask_b32_e32 v10, v12, v13, vcc
	v_lshlrev_b32_e32 v12, 16, v11
	v_mov_b32_e32 v13, 0x3b800000
	v_lshlrev_b32_e32 v9, 20, v9
	v_and_b32_e32 v12, 0x80000000, v12
	v_lshl_add_u32 v10, v10, 23, v13
	v_or3_b32 v10, v12, v10, v9
.LBB55_1904:
	s_or_b64 exec, exec, s[6:7]
	s_nop 0
	v_mfma_f32_16x16x4f32 a[0:3], v8, v10, a[0:3]
	s_movk_i32 s4, 0xff
	v_and_b32_sdwa v9, v15, s4 dst_sel:DWORD dst_unused:UNUSED_PAD src0_sel:WORD_1 src1_sel:DWORD
	s_movk_i32 s4, 0x7f
	v_cmp_lt_i16_e32 vcc, s4, v9
	s_mov_b64 s[4:5], 0
                                        ; implicit-def: $sgpr10
	s_and_saveexec_b64 s[6:7], vcc
	s_xor_b64 s[6:7], exec, s[6:7]
	s_cbranch_execnz .LBB55_3953
; %bb.1905:
	s_or_saveexec_b64 s[6:7], s[6:7]
	v_mov_b32_e32 v8, s10
	s_xor_b64 exec, exec, s[6:7]
	s_cbranch_execnz .LBB55_3956
.LBB55_1906:
	s_or_b64 exec, exec, s[6:7]
	s_and_saveexec_b64 s[6:7], s[4:5]
	s_cbranch_execz .LBB55_1908
.LBB55_1907:
	v_bfe_u32 v8, v15, 16, 3
	v_ffbh_u32_e32 v12, v8
	v_min_u32_e32 v12, 32, v12
	v_lshrrev_b32_e32 v9, 19, v15
	v_subrev_u32_e32 v13, 28, v12
	v_and_b32_e32 v9, 15, v9
	v_lshlrev_b32_sdwa v13, v13, v15 dst_sel:DWORD dst_unused:UNUSED_PAD src0_sel:DWORD src1_sel:WORD_1
	v_bfe_u32 v10, v15, 19, 4
	v_sub_u32_e32 v12, 29, v12
	v_and_b32_e32 v13, 7, v13
	v_cmp_eq_u16_e32 vcc, 0, v9
	v_cndmask_b32_e32 v8, v8, v13, vcc
	v_cndmask_b32_e32 v9, v10, v12, vcc
	v_lshlrev_b32_e32 v10, 8, v15
	v_mov_b32_e32 v12, 0x3b800000
	v_lshlrev_b32_e32 v8, 20, v8
	v_and_b32_e32 v10, 0x80000000, v10
	v_lshl_add_u32 v9, v9, 23, v12
	v_or3_b32 v8, v10, v9, v8
.LBB55_1908:
	s_or_b64 exec, exec, s[6:7]
	s_movk_i32 s4, 0xff
	v_and_b32_sdwa v9, v11, s4 dst_sel:DWORD dst_unused:UNUSED_PAD src0_sel:WORD_1 src1_sel:DWORD
	s_movk_i32 s4, 0x7f
	v_cmp_lt_i16_e32 vcc, s4, v9
	s_mov_b64 s[4:5], 0
                                        ; implicit-def: $sgpr10
	s_and_saveexec_b64 s[6:7], vcc
	s_xor_b64 s[6:7], exec, s[6:7]
	s_cbranch_execnz .LBB55_3957
; %bb.1909:
	s_or_saveexec_b64 s[6:7], s[6:7]
	v_mov_b32_e32 v10, s10
	s_xor_b64 exec, exec, s[6:7]
	s_cbranch_execnz .LBB55_3960
.LBB55_1910:
	s_or_b64 exec, exec, s[6:7]
	s_and_saveexec_b64 s[6:7], s[4:5]
	s_cbranch_execz .LBB55_1912
.LBB55_1911:
	v_bfe_u32 v9, v11, 16, 3
	v_ffbh_u32_e32 v13, v9
	v_min_u32_e32 v13, 32, v13
	v_lshrrev_b32_e32 v10, 19, v11
	v_subrev_u32_e32 v14, 28, v13
	v_and_b32_e32 v10, 15, v10
	v_lshlrev_b32_sdwa v14, v14, v11 dst_sel:DWORD dst_unused:UNUSED_PAD src0_sel:DWORD src1_sel:WORD_1
	v_bfe_u32 v12, v11, 19, 4
	v_sub_u32_e32 v13, 29, v13
	v_and_b32_e32 v14, 7, v14
	v_cmp_eq_u16_e32 vcc, 0, v10
	v_cndmask_b32_e32 v9, v9, v14, vcc
	v_cndmask_b32_e32 v10, v12, v13, vcc
	v_lshlrev_b32_e32 v12, 8, v11
	v_mov_b32_e32 v13, 0x3b800000
	v_lshlrev_b32_e32 v9, 20, v9
	v_and_b32_e32 v12, 0x80000000, v12
	v_lshl_add_u32 v10, v10, 23, v13
	v_or3_b32 v10, v12, v10, v9
.LBB55_1912:
	s_or_b64 exec, exec, s[6:7]
	s_nop 0
	v_mfma_f32_16x16x4f32 a[0:3], v8, v10, a[0:3]
	s_movk_i32 s4, 0x7f
	v_cmp_gt_i16_sdwa s[6:7], v15, s4 src0_sel:BYTE_3 src1_sel:DWORD
	s_mov_b64 s[4:5], 0
                                        ; implicit-def: $sgpr10
	s_and_saveexec_b64 s[8:9], s[6:7]
	s_xor_b64 s[6:7], exec, s[8:9]
	s_cbranch_execnz .LBB55_3961
; %bb.1913:
	s_or_saveexec_b64 s[6:7], s[6:7]
	v_mov_b32_e32 v8, s10
	s_xor_b64 exec, exec, s[6:7]
	s_cbranch_execnz .LBB55_3964
.LBB55_1914:
	s_or_b64 exec, exec, s[6:7]
	s_and_saveexec_b64 s[6:7], s[4:5]
	s_cbranch_execz .LBB55_1916
.LBB55_1915:
	v_bfe_u32 v8, v15, 24, 3
	v_ffbh_u32_e32 v13, v8
	v_min_u32_e32 v13, 32, v13
	v_lshrrev_b32_e32 v10, 27, v15
	v_subrev_u32_e32 v14, 28, v13
	v_and_b32_e32 v10, 15, v10
	v_lshlrev_b32_sdwa v14, v14, v15 dst_sel:DWORD dst_unused:UNUSED_PAD src0_sel:DWORD src1_sel:BYTE_3
	v_bfe_u32 v12, v15, 27, 4
	v_sub_u32_e32 v13, 29, v13
	v_and_b32_e32 v14, 7, v14
	v_cmp_eq_u16_e32 vcc, 0, v10
	v_cndmask_b32_e32 v8, v8, v14, vcc
	v_cndmask_b32_e32 v10, v12, v13, vcc
	v_mov_b32_e32 v12, 0x3b800000
	v_and_b32_e32 v9, 0x80000000, v15
	v_lshlrev_b32_e32 v8, 20, v8
	v_lshl_add_u32 v10, v10, 23, v12
	v_or3_b32 v8, v9, v10, v8
.LBB55_1916:
	s_or_b64 exec, exec, s[6:7]
	s_movk_i32 s4, 0x7f
	v_cmp_gt_i16_sdwa s[6:7], v11, s4 src0_sel:BYTE_3 src1_sel:DWORD
	s_mov_b64 s[4:5], 0
                                        ; implicit-def: $sgpr10
	s_and_saveexec_b64 s[8:9], s[6:7]
	s_xor_b64 s[6:7], exec, s[8:9]
	s_cbranch_execnz .LBB55_3965
; %bb.1917:
	s_or_saveexec_b64 s[6:7], s[6:7]
	v_mov_b32_e32 v9, s10
	s_xor_b64 exec, exec, s[6:7]
	s_cbranch_execnz .LBB55_3968
.LBB55_1918:
	s_or_b64 exec, exec, s[6:7]
	s_and_saveexec_b64 s[6:7], s[4:5]
	s_cbranch_execz .LBB55_1920
.LBB55_1919:
	v_bfe_u32 v9, v11, 24, 3
	v_ffbh_u32_e32 v14, v9
	v_min_u32_e32 v14, 32, v14
	v_lshrrev_b32_e32 v12, 27, v11
	v_subrev_u32_e32 v15, 28, v14
	v_and_b32_e32 v10, 0x80000000, v11
	v_and_b32_e32 v12, 15, v12
	v_bfe_u32 v13, v11, 27, 4
	v_lshlrev_b32_sdwa v11, v15, v11 dst_sel:DWORD dst_unused:UNUSED_PAD src0_sel:DWORD src1_sel:BYTE_3
	v_sub_u32_e32 v14, 29, v14
	v_and_b32_e32 v11, 7, v11
	v_cmp_eq_u16_e32 vcc, 0, v12
	v_cndmask_b32_e32 v9, v9, v11, vcc
	v_cndmask_b32_e32 v11, v13, v14, vcc
	v_mov_b32_e32 v12, 0x3b800000
	v_lshlrev_b32_e32 v9, 20, v9
	v_lshl_add_u32 v11, v11, 23, v12
	v_or3_b32 v9, v10, v11, v9
.LBB55_1920:
	s_or_b64 exec, exec, s[6:7]
	s_nop 0
	v_mfma_f32_16x16x4f32 a[0:3], v8, v9, a[0:3]
	s_movk_i32 s4, 0x7f
	v_cmp_gt_i16_sdwa s[6:7], v4, s4 src0_sel:BYTE_0 src1_sel:DWORD
	s_mov_b64 s[4:5], 0
                                        ; implicit-def: $sgpr10
	s_and_saveexec_b64 s[8:9], s[6:7]
	s_xor_b64 s[6:7], exec, s[8:9]
	s_cbranch_execnz .LBB55_3969
; %bb.1921:
	s_or_saveexec_b64 s[6:7], s[6:7]
	v_mov_b32_e32 v8, s10
	s_xor_b64 exec, exec, s[6:7]
	s_cbranch_execnz .LBB55_3972
.LBB55_1922:
	s_or_b64 exec, exec, s[6:7]
	s_and_saveexec_b64 s[6:7], s[4:5]
	s_cbranch_execz .LBB55_1924
.LBB55_1923:
	v_and_b32_e32 v8, 7, v4
	v_ffbh_u32_e32 v10, v8
	v_min_u32_e32 v10, 32, v10
	v_lshrrev_b16_e32 v9, 3, v4
	v_subrev_u32_e32 v11, 28, v10
	v_and_b32_e32 v9, 15, v9
	v_lshlrev_b32_e32 v11, v11, v4
	v_sub_u32_e32 v10, 29, v10
	v_and_b32_e32 v11, 7, v11
	v_cmp_eq_u16_e32 vcc, 0, v9
	v_cndmask_b32_e32 v8, v8, v11, vcc
	v_cndmask_b32_e32 v9, v9, v10, vcc
	v_lshlrev_b32_e32 v10, 24, v4
	v_mov_b32_e32 v11, 0x3b800000
	v_lshlrev_b32_e32 v8, 20, v8
	v_and_b32_e32 v10, 0x80000000, v10
	v_lshl_add_u32 v9, v9, 23, v11
	v_or3_b32 v8, v10, v9, v8
.LBB55_1924:
	s_or_b64 exec, exec, s[6:7]
	s_movk_i32 s4, 0x7f
	v_cmp_gt_i16_sdwa s[6:7], v0, s4 src0_sel:BYTE_0 src1_sel:DWORD
	s_mov_b64 s[4:5], 0
                                        ; implicit-def: $sgpr10
	s_and_saveexec_b64 s[8:9], s[6:7]
	s_xor_b64 s[6:7], exec, s[8:9]
	s_cbranch_execnz .LBB55_3973
; %bb.1925:
	s_or_saveexec_b64 s[6:7], s[6:7]
	v_mov_b32_e32 v9, s10
	s_xor_b64 exec, exec, s[6:7]
	s_cbranch_execnz .LBB55_3976
.LBB55_1926:
	s_or_b64 exec, exec, s[6:7]
	s_and_saveexec_b64 s[6:7], s[4:5]
	s_cbranch_execz .LBB55_1928
.LBB55_1927:
	v_and_b32_e32 v9, 7, v0
	v_ffbh_u32_e32 v11, v9
	v_min_u32_e32 v11, 32, v11
	v_lshrrev_b16_e32 v10, 3, v0
	v_subrev_u32_e32 v12, 28, v11
	v_and_b32_e32 v10, 15, v10
	v_lshlrev_b32_e32 v12, v12, v0
	v_sub_u32_e32 v11, 29, v11
	v_and_b32_e32 v12, 7, v12
	v_cmp_eq_u16_e32 vcc, 0, v10
	v_cndmask_b32_e32 v9, v9, v12, vcc
	v_cndmask_b32_e32 v10, v10, v11, vcc
	v_lshlrev_b32_e32 v11, 24, v0
	v_mov_b32_e32 v12, 0x3b800000
	v_lshlrev_b32_e32 v9, 20, v9
	v_and_b32_e32 v11, 0x80000000, v11
	v_lshl_add_u32 v10, v10, 23, v12
	v_or3_b32 v9, v11, v10, v9
.LBB55_1928:
	s_or_b64 exec, exec, s[6:7]
	s_nop 0
	v_mfma_f32_16x16x4f32 a[0:3], v8, v9, a[0:3]
	v_lshrrev_b32_e32 v9, 8, v4
	s_movk_i32 s4, 0x7f
	v_cmp_gt_i16_sdwa s[6:7], v9, s4 src0_sel:BYTE_0 src1_sel:DWORD
	s_mov_b64 s[4:5], 0
                                        ; implicit-def: $sgpr10
	s_and_saveexec_b64 s[8:9], s[6:7]
	s_xor_b64 s[6:7], exec, s[8:9]
	s_cbranch_execnz .LBB55_3977
; %bb.1929:
	s_or_saveexec_b64 s[6:7], s[6:7]
	v_mov_b32_e32 v8, s10
	s_xor_b64 exec, exec, s[6:7]
	s_cbranch_execnz .LBB55_3980
.LBB55_1930:
	s_or_b64 exec, exec, s[6:7]
	s_and_saveexec_b64 s[6:7], s[4:5]
	s_cbranch_execz .LBB55_1932
.LBB55_1931:
	v_bfe_u32 v8, v4, 8, 3
	v_ffbh_u32_e32 v11, v8
	v_min_u32_e32 v11, 32, v11
	v_lshrrev_b16_e32 v10, 3, v9
	v_subrev_u32_e32 v12, 28, v11
	v_and_b32_e32 v10, 15, v10
	v_lshlrev_b32_e32 v9, v12, v9
	v_sub_u32_e32 v11, 29, v11
	v_and_b32_e32 v9, 7, v9
	v_cmp_eq_u16_e32 vcc, 0, v10
	v_cndmask_b32_e32 v8, v8, v9, vcc
	v_cndmask_b32_e32 v9, v10, v11, vcc
	v_lshlrev_b32_e32 v10, 16, v4
	v_mov_b32_e32 v11, 0x3b800000
	v_lshlrev_b32_e32 v8, 20, v8
	v_and_b32_e32 v10, 0x80000000, v10
	v_lshl_add_u32 v9, v9, 23, v11
	v_or3_b32 v8, v10, v9, v8
.LBB55_1932:
	s_or_b64 exec, exec, s[6:7]
	v_lshrrev_b32_e32 v9, 8, v0
	s_movk_i32 s4, 0x7f
	v_cmp_gt_i16_sdwa s[6:7], v9, s4 src0_sel:BYTE_0 src1_sel:DWORD
	s_mov_b64 s[4:5], 0
                                        ; implicit-def: $sgpr10
	s_and_saveexec_b64 s[8:9], s[6:7]
	s_xor_b64 s[6:7], exec, s[8:9]
	s_cbranch_execnz .LBB55_3981
; %bb.1933:
	s_or_saveexec_b64 s[6:7], s[6:7]
	v_mov_b32_e32 v10, s10
	s_xor_b64 exec, exec, s[6:7]
	s_cbranch_execnz .LBB55_3984
.LBB55_1934:
	s_or_b64 exec, exec, s[6:7]
	s_and_saveexec_b64 s[6:7], s[4:5]
	s_cbranch_execz .LBB55_1936
.LBB55_1935:
	v_bfe_u32 v10, v0, 8, 3
	v_ffbh_u32_e32 v12, v10
	v_min_u32_e32 v12, 32, v12
	v_lshrrev_b16_e32 v11, 3, v9
	v_subrev_u32_e32 v13, 28, v12
	v_and_b32_e32 v11, 15, v11
	v_lshlrev_b32_e32 v9, v13, v9
	v_sub_u32_e32 v12, 29, v12
	v_and_b32_e32 v9, 7, v9
	v_cmp_eq_u16_e32 vcc, 0, v11
	v_cndmask_b32_e32 v9, v10, v9, vcc
	v_cndmask_b32_e32 v10, v11, v12, vcc
	v_lshlrev_b32_e32 v11, 16, v0
	v_mov_b32_e32 v12, 0x3b800000
	v_lshlrev_b32_e32 v9, 20, v9
	v_and_b32_e32 v11, 0x80000000, v11
	v_lshl_add_u32 v10, v10, 23, v12
	v_or3_b32 v10, v11, v10, v9
.LBB55_1936:
	s_or_b64 exec, exec, s[6:7]
	s_nop 0
	v_mfma_f32_16x16x4f32 a[0:3], v8, v10, a[0:3]
	s_movk_i32 s4, 0xff
	v_and_b32_sdwa v9, v4, s4 dst_sel:DWORD dst_unused:UNUSED_PAD src0_sel:WORD_1 src1_sel:DWORD
	s_movk_i32 s4, 0x7f
	v_cmp_lt_i16_e32 vcc, s4, v9
	s_mov_b64 s[4:5], 0
                                        ; implicit-def: $sgpr10
	s_and_saveexec_b64 s[6:7], vcc
	s_xor_b64 s[6:7], exec, s[6:7]
	s_cbranch_execnz .LBB55_3985
; %bb.1937:
	s_or_saveexec_b64 s[6:7], s[6:7]
	v_mov_b32_e32 v8, s10
	s_xor_b64 exec, exec, s[6:7]
	s_cbranch_execnz .LBB55_3988
.LBB55_1938:
	s_or_b64 exec, exec, s[6:7]
	s_and_saveexec_b64 s[6:7], s[4:5]
	s_cbranch_execz .LBB55_1940
.LBB55_1939:
	v_bfe_u32 v8, v4, 16, 3
	v_ffbh_u32_e32 v11, v8
	v_min_u32_e32 v11, 32, v11
	v_lshrrev_b32_e32 v9, 19, v4
	v_subrev_u32_e32 v12, 28, v11
	v_and_b32_e32 v9, 15, v9
	v_lshlrev_b32_sdwa v12, v12, v4 dst_sel:DWORD dst_unused:UNUSED_PAD src0_sel:DWORD src1_sel:WORD_1
	v_bfe_u32 v10, v4, 19, 4
	v_sub_u32_e32 v11, 29, v11
	v_and_b32_e32 v12, 7, v12
	v_cmp_eq_u16_e32 vcc, 0, v9
	v_cndmask_b32_e32 v8, v8, v12, vcc
	v_cndmask_b32_e32 v9, v10, v11, vcc
	v_lshlrev_b32_e32 v10, 8, v4
	v_mov_b32_e32 v11, 0x3b800000
	v_lshlrev_b32_e32 v8, 20, v8
	v_and_b32_e32 v10, 0x80000000, v10
	v_lshl_add_u32 v9, v9, 23, v11
	v_or3_b32 v8, v10, v9, v8
.LBB55_1940:
	s_or_b64 exec, exec, s[6:7]
	s_movk_i32 s4, 0xff
	v_and_b32_sdwa v9, v0, s4 dst_sel:DWORD dst_unused:UNUSED_PAD src0_sel:WORD_1 src1_sel:DWORD
	s_movk_i32 s4, 0x7f
	v_cmp_lt_i16_e32 vcc, s4, v9
	s_mov_b64 s[4:5], 0
                                        ; implicit-def: $sgpr10
	s_and_saveexec_b64 s[6:7], vcc
	s_xor_b64 s[6:7], exec, s[6:7]
	s_cbranch_execnz .LBB55_3989
; %bb.1941:
	s_or_saveexec_b64 s[6:7], s[6:7]
	v_mov_b32_e32 v10, s10
	s_xor_b64 exec, exec, s[6:7]
	s_cbranch_execnz .LBB55_3992
.LBB55_1942:
	s_or_b64 exec, exec, s[6:7]
	s_and_saveexec_b64 s[6:7], s[4:5]
	s_cbranch_execz .LBB55_1944
.LBB55_1943:
	v_bfe_u32 v9, v0, 16, 3
	v_ffbh_u32_e32 v12, v9
	v_min_u32_e32 v12, 32, v12
	v_lshrrev_b32_e32 v10, 19, v0
	v_subrev_u32_e32 v13, 28, v12
	v_and_b32_e32 v10, 15, v10
	v_lshlrev_b32_sdwa v13, v13, v0 dst_sel:DWORD dst_unused:UNUSED_PAD src0_sel:DWORD src1_sel:WORD_1
	v_bfe_u32 v11, v0, 19, 4
	v_sub_u32_e32 v12, 29, v12
	v_and_b32_e32 v13, 7, v13
	v_cmp_eq_u16_e32 vcc, 0, v10
	v_cndmask_b32_e32 v9, v9, v13, vcc
	v_cndmask_b32_e32 v10, v11, v12, vcc
	v_lshlrev_b32_e32 v11, 8, v0
	v_mov_b32_e32 v12, 0x3b800000
	v_lshlrev_b32_e32 v9, 20, v9
	v_and_b32_e32 v11, 0x80000000, v11
	v_lshl_add_u32 v10, v10, 23, v12
	v_or3_b32 v10, v11, v10, v9
.LBB55_1944:
	s_or_b64 exec, exec, s[6:7]
	s_nop 0
	v_mfma_f32_16x16x4f32 a[0:3], v8, v10, a[0:3]
	s_movk_i32 s4, 0x7f
	v_cmp_gt_i16_sdwa s[6:7], v4, s4 src0_sel:BYTE_3 src1_sel:DWORD
	s_mov_b64 s[4:5], 0
                                        ; implicit-def: $sgpr10
	s_and_saveexec_b64 s[8:9], s[6:7]
	s_xor_b64 s[6:7], exec, s[8:9]
	s_cbranch_execnz .LBB55_3993
; %bb.1945:
	s_or_saveexec_b64 s[6:7], s[6:7]
	v_mov_b32_e32 v8, s10
	s_xor_b64 exec, exec, s[6:7]
	s_cbranch_execnz .LBB55_3996
.LBB55_1946:
	s_or_b64 exec, exec, s[6:7]
	s_and_saveexec_b64 s[6:7], s[4:5]
	s_cbranch_execz .LBB55_1948
.LBB55_1947:
	v_bfe_u32 v8, v4, 24, 3
	v_ffbh_u32_e32 v12, v8
	v_min_u32_e32 v12, 32, v12
	v_lshrrev_b32_e32 v10, 27, v4
	v_subrev_u32_e32 v13, 28, v12
	v_and_b32_e32 v9, 0x80000000, v4
	v_and_b32_e32 v10, 15, v10
	v_bfe_u32 v11, v4, 27, 4
	v_lshlrev_b32_sdwa v4, v13, v4 dst_sel:DWORD dst_unused:UNUSED_PAD src0_sel:DWORD src1_sel:BYTE_3
	v_sub_u32_e32 v12, 29, v12
	v_and_b32_e32 v4, 7, v4
	v_cmp_eq_u16_e32 vcc, 0, v10
	v_cndmask_b32_e32 v4, v8, v4, vcc
	v_cndmask_b32_e32 v8, v11, v12, vcc
	v_mov_b32_e32 v10, 0x3b800000
	v_lshlrev_b32_e32 v4, 20, v4
	v_lshl_add_u32 v8, v8, 23, v10
	v_or3_b32 v8, v9, v8, v4
.LBB55_1948:
	s_or_b64 exec, exec, s[6:7]
	s_movk_i32 s4, 0x7f
	v_cmp_gt_i16_sdwa s[6:7], v0, s4 src0_sel:BYTE_3 src1_sel:DWORD
	s_mov_b64 s[4:5], 0
                                        ; implicit-def: $sgpr10
	s_and_saveexec_b64 s[8:9], s[6:7]
	s_xor_b64 s[6:7], exec, s[8:9]
	s_cbranch_execnz .LBB55_3997
; %bb.1949:
	s_or_saveexec_b64 s[6:7], s[6:7]
	v_mov_b32_e32 v4, s10
	s_xor_b64 exec, exec, s[6:7]
	s_cbranch_execnz .LBB55_4000
.LBB55_1950:
	s_or_b64 exec, exec, s[6:7]
	s_and_saveexec_b64 s[6:7], s[4:5]
	s_cbranch_execz .LBB55_1952
.LBB55_1951:
	v_bfe_u32 v4, v0, 24, 3
	v_ffbh_u32_e32 v12, v4
	v_min_u32_e32 v12, 32, v12
	v_lshrrev_b32_e32 v10, 27, v0
	v_subrev_u32_e32 v13, 28, v12
	v_and_b32_e32 v9, 0x80000000, v0
	v_and_b32_e32 v10, 15, v10
	v_bfe_u32 v11, v0, 27, 4
	v_lshlrev_b32_sdwa v0, v13, v0 dst_sel:DWORD dst_unused:UNUSED_PAD src0_sel:DWORD src1_sel:BYTE_3
	v_sub_u32_e32 v12, 29, v12
	v_and_b32_e32 v0, 7, v0
	v_cmp_eq_u16_e32 vcc, 0, v10
	v_cndmask_b32_e32 v0, v4, v0, vcc
	v_cndmask_b32_e32 v4, v11, v12, vcc
	v_mov_b32_e32 v10, 0x3b800000
	v_lshlrev_b32_e32 v0, 20, v0
	v_lshl_add_u32 v4, v4, 23, v10
	v_or3_b32 v4, v9, v4, v0
.LBB55_1952:
	s_or_b64 exec, exec, s[6:7]
	s_nop 0
	v_mfma_f32_16x16x4f32 a[0:3], v8, v4, a[0:3]
	s_movk_i32 s4, 0x7f
	v_cmp_gt_i16_sdwa s[6:7], v5, s4 src0_sel:BYTE_0 src1_sel:DWORD
	s_mov_b64 s[4:5], 0
                                        ; implicit-def: $sgpr10
	s_and_saveexec_b64 s[8:9], s[6:7]
	s_xor_b64 s[6:7], exec, s[8:9]
	s_cbranch_execnz .LBB55_4001
; %bb.1953:
	s_or_saveexec_b64 s[6:7], s[6:7]
	v_mov_b32_e32 v0, s10
	s_xor_b64 exec, exec, s[6:7]
	s_cbranch_execnz .LBB55_4004
.LBB55_1954:
	s_or_b64 exec, exec, s[6:7]
	s_and_saveexec_b64 s[6:7], s[4:5]
	s_cbranch_execz .LBB55_1956
.LBB55_1955:
	v_and_b32_e32 v0, 7, v5
	v_ffbh_u32_e32 v8, v0
	v_min_u32_e32 v8, 32, v8
	v_lshrrev_b16_e32 v4, 3, v5
	v_subrev_u32_e32 v9, 28, v8
	v_and_b32_e32 v4, 15, v4
	v_lshlrev_b32_e32 v9, v9, v5
	v_sub_u32_e32 v8, 29, v8
	v_and_b32_e32 v9, 7, v9
	v_cmp_eq_u16_e32 vcc, 0, v4
	v_cndmask_b32_e32 v0, v0, v9, vcc
	v_cndmask_b32_e32 v4, v4, v8, vcc
	v_lshlrev_b32_e32 v8, 24, v5
	v_mov_b32_e32 v9, 0x3b800000
	v_lshlrev_b32_e32 v0, 20, v0
	v_and_b32_e32 v8, 0x80000000, v8
	v_lshl_add_u32 v4, v4, 23, v9
	v_or3_b32 v0, v8, v4, v0
.LBB55_1956:
	s_or_b64 exec, exec, s[6:7]
	s_movk_i32 s4, 0x7f
	v_cmp_gt_i16_sdwa s[6:7], v1, s4 src0_sel:BYTE_0 src1_sel:DWORD
	s_mov_b64 s[4:5], 0
                                        ; implicit-def: $sgpr10
	s_and_saveexec_b64 s[8:9], s[6:7]
	s_xor_b64 s[6:7], exec, s[8:9]
	s_cbranch_execnz .LBB55_4005
; %bb.1957:
	s_or_saveexec_b64 s[6:7], s[6:7]
	v_mov_b32_e32 v4, s10
	s_xor_b64 exec, exec, s[6:7]
	s_cbranch_execnz .LBB55_4008
.LBB55_1958:
	s_or_b64 exec, exec, s[6:7]
	s_and_saveexec_b64 s[6:7], s[4:5]
	s_cbranch_execz .LBB55_1960
.LBB55_1959:
	v_and_b32_e32 v4, 7, v1
	v_ffbh_u32_e32 v9, v4
	v_min_u32_e32 v9, 32, v9
	v_lshrrev_b16_e32 v8, 3, v1
	v_subrev_u32_e32 v10, 28, v9
	v_and_b32_e32 v8, 15, v8
	v_lshlrev_b32_e32 v10, v10, v1
	v_sub_u32_e32 v9, 29, v9
	v_and_b32_e32 v10, 7, v10
	v_cmp_eq_u16_e32 vcc, 0, v8
	v_cndmask_b32_e32 v4, v4, v10, vcc
	v_cndmask_b32_e32 v8, v8, v9, vcc
	v_lshlrev_b32_e32 v9, 24, v1
	v_mov_b32_e32 v10, 0x3b800000
	v_lshlrev_b32_e32 v4, 20, v4
	v_and_b32_e32 v9, 0x80000000, v9
	v_lshl_add_u32 v8, v8, 23, v10
	v_or3_b32 v4, v9, v8, v4
.LBB55_1960:
	s_or_b64 exec, exec, s[6:7]
	s_nop 0
	v_mfma_f32_16x16x4f32 a[0:3], v0, v4, a[0:3]
	v_lshrrev_b32_e32 v4, 8, v5
	s_movk_i32 s4, 0x7f
	v_cmp_gt_i16_sdwa s[6:7], v4, s4 src0_sel:BYTE_0 src1_sel:DWORD
	s_mov_b64 s[4:5], 0
                                        ; implicit-def: $sgpr10
	s_and_saveexec_b64 s[8:9], s[6:7]
	s_xor_b64 s[6:7], exec, s[8:9]
	s_cbranch_execnz .LBB55_4009
; %bb.1961:
	s_or_saveexec_b64 s[6:7], s[6:7]
	v_mov_b32_e32 v0, s10
	s_xor_b64 exec, exec, s[6:7]
	s_cbranch_execnz .LBB55_4012
.LBB55_1962:
	s_or_b64 exec, exec, s[6:7]
	s_and_saveexec_b64 s[6:7], s[4:5]
	s_cbranch_execz .LBB55_1964
.LBB55_1963:
	v_bfe_u32 v0, v5, 8, 3
	v_ffbh_u32_e32 v9, v0
	v_min_u32_e32 v9, 32, v9
	v_lshrrev_b16_e32 v8, 3, v4
	v_subrev_u32_e32 v10, 28, v9
	v_and_b32_e32 v8, 15, v8
	v_lshlrev_b32_e32 v4, v10, v4
	v_sub_u32_e32 v9, 29, v9
	v_and_b32_e32 v4, 7, v4
	v_cmp_eq_u16_e32 vcc, 0, v8
	v_cndmask_b32_e32 v0, v0, v4, vcc
	v_cndmask_b32_e32 v4, v8, v9, vcc
	v_lshlrev_b32_e32 v8, 16, v5
	v_mov_b32_e32 v9, 0x3b800000
	v_lshlrev_b32_e32 v0, 20, v0
	v_and_b32_e32 v8, 0x80000000, v8
	v_lshl_add_u32 v4, v4, 23, v9
	v_or3_b32 v0, v8, v4, v0
.LBB55_1964:
	s_or_b64 exec, exec, s[6:7]
	v_lshrrev_b32_e32 v4, 8, v1
	s_movk_i32 s4, 0x7f
	v_cmp_gt_i16_sdwa s[6:7], v4, s4 src0_sel:BYTE_0 src1_sel:DWORD
	s_mov_b64 s[4:5], 0
                                        ; implicit-def: $sgpr10
	s_and_saveexec_b64 s[8:9], s[6:7]
	s_xor_b64 s[6:7], exec, s[8:9]
	s_cbranch_execnz .LBB55_4013
; %bb.1965:
	s_or_saveexec_b64 s[6:7], s[6:7]
	v_mov_b32_e32 v8, s10
	s_xor_b64 exec, exec, s[6:7]
	s_cbranch_execnz .LBB55_4016
.LBB55_1966:
	s_or_b64 exec, exec, s[6:7]
	s_and_saveexec_b64 s[6:7], s[4:5]
	s_cbranch_execz .LBB55_1968
.LBB55_1967:
	v_bfe_u32 v8, v1, 8, 3
	v_ffbh_u32_e32 v10, v8
	v_min_u32_e32 v10, 32, v10
	v_lshrrev_b16_e32 v9, 3, v4
	v_subrev_u32_e32 v11, 28, v10
	v_and_b32_e32 v9, 15, v9
	v_lshlrev_b32_e32 v4, v11, v4
	v_sub_u32_e32 v10, 29, v10
	v_and_b32_e32 v4, 7, v4
	v_cmp_eq_u16_e32 vcc, 0, v9
	v_cndmask_b32_e32 v4, v8, v4, vcc
	v_cndmask_b32_e32 v8, v9, v10, vcc
	v_lshlrev_b32_e32 v9, 16, v1
	v_mov_b32_e32 v10, 0x3b800000
	v_lshlrev_b32_e32 v4, 20, v4
	v_and_b32_e32 v9, 0x80000000, v9
	v_lshl_add_u32 v8, v8, 23, v10
	v_or3_b32 v8, v9, v8, v4
.LBB55_1968:
	s_or_b64 exec, exec, s[6:7]
	s_nop 0
	v_mfma_f32_16x16x4f32 a[0:3], v0, v8, a[0:3]
	s_movk_i32 s4, 0xff
	v_and_b32_sdwa v4, v5, s4 dst_sel:DWORD dst_unused:UNUSED_PAD src0_sel:WORD_1 src1_sel:DWORD
	s_movk_i32 s4, 0x7f
	v_cmp_lt_i16_e32 vcc, s4, v4
	s_mov_b64 s[4:5], 0
                                        ; implicit-def: $sgpr10
	s_and_saveexec_b64 s[6:7], vcc
	s_xor_b64 s[6:7], exec, s[6:7]
	s_cbranch_execnz .LBB55_4017
; %bb.1969:
	s_or_saveexec_b64 s[6:7], s[6:7]
	v_mov_b32_e32 v0, s10
	s_xor_b64 exec, exec, s[6:7]
	s_cbranch_execnz .LBB55_4020
.LBB55_1970:
	s_or_b64 exec, exec, s[6:7]
	s_and_saveexec_b64 s[6:7], s[4:5]
	s_cbranch_execz .LBB55_1972
.LBB55_1971:
	v_bfe_u32 v0, v5, 16, 3
	v_ffbh_u32_e32 v9, v0
	v_min_u32_e32 v9, 32, v9
	v_lshrrev_b32_e32 v4, 19, v5
	v_subrev_u32_e32 v10, 28, v9
	v_and_b32_e32 v4, 15, v4
	v_lshlrev_b32_sdwa v10, v10, v5 dst_sel:DWORD dst_unused:UNUSED_PAD src0_sel:DWORD src1_sel:WORD_1
	v_bfe_u32 v8, v5, 19, 4
	v_sub_u32_e32 v9, 29, v9
	v_and_b32_e32 v10, 7, v10
	v_cmp_eq_u16_e32 vcc, 0, v4
	v_cndmask_b32_e32 v0, v0, v10, vcc
	v_cndmask_b32_e32 v4, v8, v9, vcc
	v_lshlrev_b32_e32 v8, 8, v5
	v_mov_b32_e32 v9, 0x3b800000
	v_lshlrev_b32_e32 v0, 20, v0
	v_and_b32_e32 v8, 0x80000000, v8
	v_lshl_add_u32 v4, v4, 23, v9
	v_or3_b32 v0, v8, v4, v0
.LBB55_1972:
	s_or_b64 exec, exec, s[6:7]
	s_movk_i32 s4, 0xff
	v_and_b32_sdwa v4, v1, s4 dst_sel:DWORD dst_unused:UNUSED_PAD src0_sel:WORD_1 src1_sel:DWORD
	s_movk_i32 s4, 0x7f
	v_cmp_lt_i16_e32 vcc, s4, v4
	s_mov_b64 s[4:5], 0
                                        ; implicit-def: $sgpr10
	s_and_saveexec_b64 s[6:7], vcc
	s_xor_b64 s[6:7], exec, s[6:7]
	s_cbranch_execnz .LBB55_4021
; %bb.1973:
	s_or_saveexec_b64 s[6:7], s[6:7]
	v_mov_b32_e32 v8, s10
	s_xor_b64 exec, exec, s[6:7]
	s_cbranch_execnz .LBB55_4024
.LBB55_1974:
	s_or_b64 exec, exec, s[6:7]
	s_and_saveexec_b64 s[6:7], s[4:5]
	s_cbranch_execz .LBB55_1976
.LBB55_1975:
	v_bfe_u32 v4, v1, 16, 3
	v_ffbh_u32_e32 v10, v4
	v_min_u32_e32 v10, 32, v10
	v_lshrrev_b32_e32 v8, 19, v1
	v_subrev_u32_e32 v11, 28, v10
	v_and_b32_e32 v8, 15, v8
	v_lshlrev_b32_sdwa v11, v11, v1 dst_sel:DWORD dst_unused:UNUSED_PAD src0_sel:DWORD src1_sel:WORD_1
	v_bfe_u32 v9, v1, 19, 4
	v_sub_u32_e32 v10, 29, v10
	v_and_b32_e32 v11, 7, v11
	v_cmp_eq_u16_e32 vcc, 0, v8
	v_cndmask_b32_e32 v4, v4, v11, vcc
	v_cndmask_b32_e32 v8, v9, v10, vcc
	v_lshlrev_b32_e32 v9, 8, v1
	v_mov_b32_e32 v10, 0x3b800000
	v_lshlrev_b32_e32 v4, 20, v4
	v_and_b32_e32 v9, 0x80000000, v9
	v_lshl_add_u32 v8, v8, 23, v10
	v_or3_b32 v8, v9, v8, v4
.LBB55_1976:
	s_or_b64 exec, exec, s[6:7]
	s_nop 0
	v_mfma_f32_16x16x4f32 a[0:3], v0, v8, a[0:3]
	s_movk_i32 s4, 0x7f
	v_cmp_gt_i16_sdwa s[6:7], v5, s4 src0_sel:BYTE_3 src1_sel:DWORD
	s_mov_b64 s[4:5], 0
                                        ; implicit-def: $sgpr10
	s_and_saveexec_b64 s[8:9], s[6:7]
	s_xor_b64 s[6:7], exec, s[8:9]
	s_cbranch_execnz .LBB55_4025
; %bb.1977:
	s_or_saveexec_b64 s[6:7], s[6:7]
	v_mov_b32_e32 v0, s10
	s_xor_b64 exec, exec, s[6:7]
	s_cbranch_execnz .LBB55_4028
.LBB55_1978:
	s_or_b64 exec, exec, s[6:7]
	s_and_saveexec_b64 s[6:7], s[4:5]
	s_cbranch_execz .LBB55_1980
.LBB55_1979:
	v_bfe_u32 v0, v5, 24, 3
	v_ffbh_u32_e32 v10, v0
	v_min_u32_e32 v10, 32, v10
	v_lshrrev_b32_e32 v8, 27, v5
	v_subrev_u32_e32 v11, 28, v10
	v_and_b32_e32 v4, 0x80000000, v5
	v_and_b32_e32 v8, 15, v8
	v_bfe_u32 v9, v5, 27, 4
	v_lshlrev_b32_sdwa v5, v11, v5 dst_sel:DWORD dst_unused:UNUSED_PAD src0_sel:DWORD src1_sel:BYTE_3
	v_sub_u32_e32 v10, 29, v10
	v_and_b32_e32 v5, 7, v5
	v_cmp_eq_u16_e32 vcc, 0, v8
	v_cndmask_b32_e32 v0, v0, v5, vcc
	v_cndmask_b32_e32 v5, v9, v10, vcc
	v_mov_b32_e32 v8, 0x3b800000
	v_lshlrev_b32_e32 v0, 20, v0
	v_lshl_add_u32 v5, v5, 23, v8
	v_or3_b32 v0, v4, v5, v0
.LBB55_1980:
	s_or_b64 exec, exec, s[6:7]
	s_movk_i32 s4, 0x7f
	v_cmp_gt_i16_sdwa s[6:7], v1, s4 src0_sel:BYTE_3 src1_sel:DWORD
	s_mov_b64 s[4:5], 0
                                        ; implicit-def: $sgpr10
	s_and_saveexec_b64 s[8:9], s[6:7]
	s_xor_b64 s[6:7], exec, s[8:9]
	s_cbranch_execnz .LBB55_4029
; %bb.1981:
	s_or_saveexec_b64 s[6:7], s[6:7]
	v_mov_b32_e32 v4, s10
	s_xor_b64 exec, exec, s[6:7]
	s_cbranch_execnz .LBB55_4032
.LBB55_1982:
	s_or_b64 exec, exec, s[6:7]
	s_and_saveexec_b64 s[6:7], s[4:5]
	s_cbranch_execz .LBB55_1984
.LBB55_1983:
	v_bfe_u32 v4, v1, 24, 3
	v_ffbh_u32_e32 v10, v4
	v_min_u32_e32 v10, 32, v10
	v_lshrrev_b32_e32 v8, 27, v1
	v_subrev_u32_e32 v11, 28, v10
	v_and_b32_e32 v5, 0x80000000, v1
	v_and_b32_e32 v8, 15, v8
	v_bfe_u32 v9, v1, 27, 4
	v_lshlrev_b32_sdwa v1, v11, v1 dst_sel:DWORD dst_unused:UNUSED_PAD src0_sel:DWORD src1_sel:BYTE_3
	v_sub_u32_e32 v10, 29, v10
	v_and_b32_e32 v1, 7, v1
	v_cmp_eq_u16_e32 vcc, 0, v8
	v_cndmask_b32_e32 v1, v4, v1, vcc
	v_cndmask_b32_e32 v4, v9, v10, vcc
	v_mov_b32_e32 v8, 0x3b800000
	v_lshlrev_b32_e32 v1, 20, v1
	v_lshl_add_u32 v4, v4, 23, v8
	v_or3_b32 v4, v5, v4, v1
.LBB55_1984:
	s_or_b64 exec, exec, s[6:7]
	s_nop 0
	v_mfma_f32_16x16x4f32 a[0:3], v0, v4, a[0:3]
	s_movk_i32 s4, 0x7f
	v_cmp_gt_i16_sdwa s[6:7], v6, s4 src0_sel:BYTE_0 src1_sel:DWORD
	s_mov_b64 s[4:5], 0
                                        ; implicit-def: $sgpr10
	s_and_saveexec_b64 s[8:9], s[6:7]
	s_xor_b64 s[6:7], exec, s[8:9]
	s_cbranch_execnz .LBB55_4033
; %bb.1985:
	s_or_saveexec_b64 s[6:7], s[6:7]
	v_mov_b32_e32 v0, s10
	s_xor_b64 exec, exec, s[6:7]
	s_cbranch_execnz .LBB55_4036
.LBB55_1986:
	s_or_b64 exec, exec, s[6:7]
	s_and_saveexec_b64 s[6:7], s[4:5]
	s_cbranch_execz .LBB55_1988
.LBB55_1987:
	v_and_b32_e32 v0, 7, v6
	v_ffbh_u32_e32 v4, v0
	v_min_u32_e32 v4, 32, v4
	v_lshrrev_b16_e32 v1, 3, v6
	v_subrev_u32_e32 v5, 28, v4
	v_and_b32_e32 v1, 15, v1
	v_lshlrev_b32_e32 v5, v5, v6
	v_sub_u32_e32 v4, 29, v4
	v_and_b32_e32 v5, 7, v5
	v_cmp_eq_u16_e32 vcc, 0, v1
	v_cndmask_b32_e32 v0, v0, v5, vcc
	v_cndmask_b32_e32 v1, v1, v4, vcc
	v_lshlrev_b32_e32 v4, 24, v6
	v_mov_b32_e32 v5, 0x3b800000
	v_lshlrev_b32_e32 v0, 20, v0
	v_and_b32_e32 v4, 0x80000000, v4
	v_lshl_add_u32 v1, v1, 23, v5
	v_or3_b32 v0, v4, v1, v0
.LBB55_1988:
	s_or_b64 exec, exec, s[6:7]
	s_movk_i32 s4, 0x7f
	v_cmp_gt_i16_sdwa s[6:7], v2, s4 src0_sel:BYTE_0 src1_sel:DWORD
	s_mov_b64 s[4:5], 0
                                        ; implicit-def: $sgpr10
	s_and_saveexec_b64 s[8:9], s[6:7]
	s_xor_b64 s[6:7], exec, s[8:9]
	s_cbranch_execnz .LBB55_4037
; %bb.1989:
	s_or_saveexec_b64 s[6:7], s[6:7]
	v_mov_b32_e32 v1, s10
	s_xor_b64 exec, exec, s[6:7]
	s_cbranch_execnz .LBB55_4040
.LBB55_1990:
	s_or_b64 exec, exec, s[6:7]
	s_and_saveexec_b64 s[6:7], s[4:5]
	s_cbranch_execz .LBB55_1992
.LBB55_1991:
	v_and_b32_e32 v1, 7, v2
	v_ffbh_u32_e32 v5, v1
	v_min_u32_e32 v5, 32, v5
	v_lshrrev_b16_e32 v4, 3, v2
	v_subrev_u32_e32 v8, 28, v5
	v_and_b32_e32 v4, 15, v4
	v_lshlrev_b32_e32 v8, v8, v2
	v_sub_u32_e32 v5, 29, v5
	v_and_b32_e32 v8, 7, v8
	v_cmp_eq_u16_e32 vcc, 0, v4
	v_cndmask_b32_e32 v1, v1, v8, vcc
	v_cndmask_b32_e32 v4, v4, v5, vcc
	v_lshlrev_b32_e32 v5, 24, v2
	v_mov_b32_e32 v8, 0x3b800000
	v_lshlrev_b32_e32 v1, 20, v1
	v_and_b32_e32 v5, 0x80000000, v5
	v_lshl_add_u32 v4, v4, 23, v8
	v_or3_b32 v1, v5, v4, v1
.LBB55_1992:
	s_or_b64 exec, exec, s[6:7]
	s_nop 0
	v_mfma_f32_16x16x4f32 a[0:3], v0, v1, a[0:3]
	v_lshrrev_b32_e32 v1, 8, v6
	s_movk_i32 s4, 0x7f
	v_cmp_gt_i16_sdwa s[6:7], v1, s4 src0_sel:BYTE_0 src1_sel:DWORD
	s_mov_b64 s[4:5], 0
                                        ; implicit-def: $sgpr10
	s_and_saveexec_b64 s[8:9], s[6:7]
	s_xor_b64 s[6:7], exec, s[8:9]
	s_cbranch_execnz .LBB55_4041
; %bb.1993:
	s_or_saveexec_b64 s[6:7], s[6:7]
	v_mov_b32_e32 v0, s10
	s_xor_b64 exec, exec, s[6:7]
	s_cbranch_execnz .LBB55_4044
.LBB55_1994:
	s_or_b64 exec, exec, s[6:7]
	s_and_saveexec_b64 s[6:7], s[4:5]
	s_cbranch_execz .LBB55_1996
.LBB55_1995:
	v_bfe_u32 v0, v6, 8, 3
	v_ffbh_u32_e32 v5, v0
	v_min_u32_e32 v5, 32, v5
	v_lshrrev_b16_e32 v4, 3, v1
	v_subrev_u32_e32 v8, 28, v5
	v_and_b32_e32 v4, 15, v4
	v_lshlrev_b32_e32 v1, v8, v1
	v_sub_u32_e32 v5, 29, v5
	v_and_b32_e32 v1, 7, v1
	v_cmp_eq_u16_e32 vcc, 0, v4
	v_cndmask_b32_e32 v0, v0, v1, vcc
	v_cndmask_b32_e32 v1, v4, v5, vcc
	v_lshlrev_b32_e32 v4, 16, v6
	v_mov_b32_e32 v5, 0x3b800000
	v_lshlrev_b32_e32 v0, 20, v0
	v_and_b32_e32 v4, 0x80000000, v4
	v_lshl_add_u32 v1, v1, 23, v5
	v_or3_b32 v0, v4, v1, v0
.LBB55_1996:
	s_or_b64 exec, exec, s[6:7]
	v_lshrrev_b32_e32 v1, 8, v2
	s_movk_i32 s4, 0x7f
	v_cmp_gt_i16_sdwa s[6:7], v1, s4 src0_sel:BYTE_0 src1_sel:DWORD
	s_mov_b64 s[4:5], 0
                                        ; implicit-def: $sgpr10
	s_and_saveexec_b64 s[8:9], s[6:7]
	s_xor_b64 s[6:7], exec, s[8:9]
	s_cbranch_execnz .LBB55_4045
; %bb.1997:
	s_or_saveexec_b64 s[6:7], s[6:7]
	v_mov_b32_e32 v4, s10
	s_xor_b64 exec, exec, s[6:7]
	s_cbranch_execnz .LBB55_4048
.LBB55_1998:
	s_or_b64 exec, exec, s[6:7]
	s_and_saveexec_b64 s[6:7], s[4:5]
	s_cbranch_execz .LBB55_2000
.LBB55_1999:
	v_bfe_u32 v4, v2, 8, 3
	v_ffbh_u32_e32 v8, v4
	v_min_u32_e32 v8, 32, v8
	v_lshrrev_b16_e32 v5, 3, v1
	v_subrev_u32_e32 v9, 28, v8
	v_and_b32_e32 v5, 15, v5
	v_lshlrev_b32_e32 v1, v9, v1
	v_sub_u32_e32 v8, 29, v8
	v_and_b32_e32 v1, 7, v1
	v_cmp_eq_u16_e32 vcc, 0, v5
	v_cndmask_b32_e32 v1, v4, v1, vcc
	v_cndmask_b32_e32 v4, v5, v8, vcc
	v_lshlrev_b32_e32 v5, 16, v2
	v_mov_b32_e32 v8, 0x3b800000
	v_lshlrev_b32_e32 v1, 20, v1
	v_and_b32_e32 v5, 0x80000000, v5
	v_lshl_add_u32 v4, v4, 23, v8
	v_or3_b32 v4, v5, v4, v1
.LBB55_2000:
	s_or_b64 exec, exec, s[6:7]
	s_nop 0
	v_mfma_f32_16x16x4f32 a[0:3], v0, v4, a[0:3]
	s_movk_i32 s4, 0xff
	v_and_b32_sdwa v1, v6, s4 dst_sel:DWORD dst_unused:UNUSED_PAD src0_sel:WORD_1 src1_sel:DWORD
	s_movk_i32 s4, 0x7f
	v_cmp_lt_i16_e32 vcc, s4, v1
	s_mov_b64 s[4:5], 0
                                        ; implicit-def: $sgpr10
	s_and_saveexec_b64 s[6:7], vcc
	s_xor_b64 s[6:7], exec, s[6:7]
	s_cbranch_execnz .LBB55_4049
; %bb.2001:
	s_or_saveexec_b64 s[6:7], s[6:7]
	v_mov_b32_e32 v0, s10
	s_xor_b64 exec, exec, s[6:7]
	s_cbranch_execnz .LBB55_4052
.LBB55_2002:
	s_or_b64 exec, exec, s[6:7]
	s_and_saveexec_b64 s[6:7], s[4:5]
	s_cbranch_execz .LBB55_2004
.LBB55_2003:
	v_bfe_u32 v0, v6, 16, 3
	v_ffbh_u32_e32 v5, v0
	v_min_u32_e32 v5, 32, v5
	v_lshrrev_b32_e32 v1, 19, v6
	v_subrev_u32_e32 v8, 28, v5
	v_and_b32_e32 v1, 15, v1
	v_lshlrev_b32_sdwa v8, v8, v6 dst_sel:DWORD dst_unused:UNUSED_PAD src0_sel:DWORD src1_sel:WORD_1
	v_bfe_u32 v4, v6, 19, 4
	v_sub_u32_e32 v5, 29, v5
	v_and_b32_e32 v8, 7, v8
	v_cmp_eq_u16_e32 vcc, 0, v1
	v_cndmask_b32_e32 v0, v0, v8, vcc
	v_cndmask_b32_e32 v1, v4, v5, vcc
	v_lshlrev_b32_e32 v4, 8, v6
	v_mov_b32_e32 v5, 0x3b800000
	v_lshlrev_b32_e32 v0, 20, v0
	v_and_b32_e32 v4, 0x80000000, v4
	v_lshl_add_u32 v1, v1, 23, v5
	v_or3_b32 v0, v4, v1, v0
.LBB55_2004:
	s_or_b64 exec, exec, s[6:7]
	s_movk_i32 s4, 0xff
	v_and_b32_sdwa v1, v2, s4 dst_sel:DWORD dst_unused:UNUSED_PAD src0_sel:WORD_1 src1_sel:DWORD
	s_movk_i32 s4, 0x7f
	v_cmp_lt_i16_e32 vcc, s4, v1
	s_mov_b64 s[4:5], 0
                                        ; implicit-def: $sgpr10
	s_and_saveexec_b64 s[6:7], vcc
	s_xor_b64 s[6:7], exec, s[6:7]
	s_cbranch_execnz .LBB55_4053
; %bb.2005:
	s_or_saveexec_b64 s[6:7], s[6:7]
	v_mov_b32_e32 v4, s10
	s_xor_b64 exec, exec, s[6:7]
	s_cbranch_execnz .LBB55_4056
.LBB55_2006:
	s_or_b64 exec, exec, s[6:7]
	s_and_saveexec_b64 s[6:7], s[4:5]
	s_cbranch_execz .LBB55_2008
.LBB55_2007:
	v_bfe_u32 v1, v2, 16, 3
	v_ffbh_u32_e32 v8, v1
	v_min_u32_e32 v8, 32, v8
	v_lshrrev_b32_e32 v4, 19, v2
	v_subrev_u32_e32 v9, 28, v8
	v_and_b32_e32 v4, 15, v4
	v_lshlrev_b32_sdwa v9, v9, v2 dst_sel:DWORD dst_unused:UNUSED_PAD src0_sel:DWORD src1_sel:WORD_1
	v_bfe_u32 v5, v2, 19, 4
	v_sub_u32_e32 v8, 29, v8
	v_and_b32_e32 v9, 7, v9
	v_cmp_eq_u16_e32 vcc, 0, v4
	v_cndmask_b32_e32 v1, v1, v9, vcc
	v_cndmask_b32_e32 v4, v5, v8, vcc
	v_lshlrev_b32_e32 v5, 8, v2
	v_mov_b32_e32 v8, 0x3b800000
	v_lshlrev_b32_e32 v1, 20, v1
	v_and_b32_e32 v5, 0x80000000, v5
	v_lshl_add_u32 v4, v4, 23, v8
	v_or3_b32 v4, v5, v4, v1
.LBB55_2008:
	s_or_b64 exec, exec, s[6:7]
	s_nop 0
	v_mfma_f32_16x16x4f32 a[0:3], v0, v4, a[0:3]
	s_movk_i32 s4, 0x7f
	v_cmp_gt_i16_sdwa s[6:7], v6, s4 src0_sel:BYTE_3 src1_sel:DWORD
	s_mov_b64 s[4:5], 0
                                        ; implicit-def: $sgpr10
	s_and_saveexec_b64 s[8:9], s[6:7]
	s_xor_b64 s[6:7], exec, s[8:9]
	s_cbranch_execnz .LBB55_4057
; %bb.2009:
	s_or_saveexec_b64 s[6:7], s[6:7]
	v_mov_b32_e32 v0, s10
	s_xor_b64 exec, exec, s[6:7]
	s_cbranch_execnz .LBB55_4060
.LBB55_2010:
	s_or_b64 exec, exec, s[6:7]
	s_and_saveexec_b64 s[6:7], s[4:5]
	s_cbranch_execz .LBB55_2012
.LBB55_2011:
	v_bfe_u32 v0, v6, 24, 3
	v_ffbh_u32_e32 v8, v0
	v_min_u32_e32 v8, 32, v8
	v_lshrrev_b32_e32 v4, 27, v6
	v_subrev_u32_e32 v9, 28, v8
	v_and_b32_e32 v1, 0x80000000, v6
	v_and_b32_e32 v4, 15, v4
	v_bfe_u32 v5, v6, 27, 4
	v_lshlrev_b32_sdwa v6, v9, v6 dst_sel:DWORD dst_unused:UNUSED_PAD src0_sel:DWORD src1_sel:BYTE_3
	v_sub_u32_e32 v8, 29, v8
	v_and_b32_e32 v6, 7, v6
	v_cmp_eq_u16_e32 vcc, 0, v4
	v_cndmask_b32_e32 v0, v0, v6, vcc
	v_cndmask_b32_e32 v4, v5, v8, vcc
	v_mov_b32_e32 v5, 0x3b800000
	v_lshlrev_b32_e32 v0, 20, v0
	v_lshl_add_u32 v4, v4, 23, v5
	v_or3_b32 v0, v1, v4, v0
.LBB55_2012:
	s_or_b64 exec, exec, s[6:7]
	s_movk_i32 s4, 0x7f
	v_cmp_gt_i16_sdwa s[6:7], v2, s4 src0_sel:BYTE_3 src1_sel:DWORD
	s_mov_b64 s[4:5], 0
                                        ; implicit-def: $sgpr10
	s_and_saveexec_b64 s[8:9], s[6:7]
	s_xor_b64 s[6:7], exec, s[8:9]
	s_cbranch_execnz .LBB55_4061
; %bb.2013:
	s_or_saveexec_b64 s[6:7], s[6:7]
	v_mov_b32_e32 v1, s10
	s_xor_b64 exec, exec, s[6:7]
	s_cbranch_execnz .LBB55_4064
.LBB55_2014:
	s_or_b64 exec, exec, s[6:7]
	s_and_saveexec_b64 s[6:7], s[4:5]
	s_cbranch_execz .LBB55_2016
.LBB55_2015:
	v_bfe_u32 v1, v2, 24, 3
	v_ffbh_u32_e32 v8, v1
	v_min_u32_e32 v8, 32, v8
	v_lshrrev_b32_e32 v5, 27, v2
	v_subrev_u32_e32 v9, 28, v8
	v_and_b32_e32 v4, 0x80000000, v2
	v_and_b32_e32 v5, 15, v5
	v_bfe_u32 v6, v2, 27, 4
	v_lshlrev_b32_sdwa v2, v9, v2 dst_sel:DWORD dst_unused:UNUSED_PAD src0_sel:DWORD src1_sel:BYTE_3
	v_sub_u32_e32 v8, 29, v8
	v_and_b32_e32 v2, 7, v2
	v_cmp_eq_u16_e32 vcc, 0, v5
	v_cndmask_b32_e32 v1, v1, v2, vcc
	v_cndmask_b32_e32 v2, v6, v8, vcc
	v_mov_b32_e32 v5, 0x3b800000
	v_lshlrev_b32_e32 v1, 20, v1
	v_lshl_add_u32 v2, v2, 23, v5
	v_or3_b32 v1, v4, v2, v1
.LBB55_2016:
	s_or_b64 exec, exec, s[6:7]
	s_nop 0
	v_mfma_f32_16x16x4f32 a[0:3], v0, v1, a[0:3]
	s_movk_i32 s4, 0x7f
	v_cmp_gt_i16_sdwa s[6:7], v7, s4 src0_sel:BYTE_0 src1_sel:DWORD
	s_mov_b64 s[4:5], 0
                                        ; implicit-def: $sgpr10
	s_and_saveexec_b64 s[8:9], s[6:7]
	s_xor_b64 s[6:7], exec, s[8:9]
	s_cbranch_execnz .LBB55_4065
; %bb.2017:
	s_or_saveexec_b64 s[6:7], s[6:7]
	v_mov_b32_e32 v0, s10
	s_xor_b64 exec, exec, s[6:7]
	s_cbranch_execnz .LBB55_4068
.LBB55_2018:
	s_or_b64 exec, exec, s[6:7]
	s_and_saveexec_b64 s[6:7], s[4:5]
	s_cbranch_execz .LBB55_2020
.LBB55_2019:
	v_mov_b32_e32 v0, 8
	v_and_b32_e32 v1, 7, v7
	v_lshrrev_b32_sdwa v0, v0, v7 dst_sel:BYTE_1 dst_unused:UNUSED_PAD src0_sel:DWORD src1_sel:DWORD
	v_ffbh_u32_e32 v2, v1
	v_or_b32_sdwa v0, v7, v0 dst_sel:DWORD dst_unused:UNUSED_PAD src0_sel:BYTE_0 src1_sel:DWORD
	v_min_u32_e32 v2, 32, v2
	v_lshrrev_b16_e32 v0, 3, v0
	v_subrev_u32_e32 v4, 28, v2
	v_and_b32_e32 v0, 15, v0
	v_lshlrev_b32_e32 v4, v4, v7
	v_sub_u32_e32 v2, 29, v2
	v_and_b32_e32 v4, 7, v4
	v_cmp_eq_u16_e32 vcc, 0, v0
	v_cndmask_b32_e32 v1, v1, v4, vcc
	v_cndmask_b32_e32 v0, v0, v2, vcc
	v_lshlrev_b32_e32 v2, 24, v7
	v_mov_b32_e32 v4, 0x3b800000
	v_lshlrev_b32_e32 v1, 20, v1
	v_and_b32_e32 v2, 0x80000000, v2
	v_lshl_add_u32 v0, v0, 23, v4
	v_or3_b32 v0, v2, v0, v1
.LBB55_2020:
	s_or_b64 exec, exec, s[6:7]
	s_movk_i32 s4, 0x7f
	v_cmp_gt_i16_sdwa s[6:7], v3, s4 src0_sel:BYTE_0 src1_sel:DWORD
	s_mov_b64 s[4:5], 0
                                        ; implicit-def: $sgpr10
	s_and_saveexec_b64 s[8:9], s[6:7]
	s_xor_b64 s[6:7], exec, s[8:9]
	s_cbranch_execnz .LBB55_4069
; %bb.2021:
	s_or_saveexec_b64 s[6:7], s[6:7]
	v_mov_b32_e32 v1, s10
	s_xor_b64 exec, exec, s[6:7]
	s_cbranch_execnz .LBB55_4072
.LBB55_2022:
	s_or_b64 exec, exec, s[6:7]
	s_and_saveexec_b64 s[6:7], s[4:5]
	s_cbranch_execz .LBB55_2024
.LBB55_2023:
	v_mov_b32_e32 v1, 8
	v_and_b32_e32 v2, 7, v3
	v_lshrrev_b32_sdwa v1, v1, v3 dst_sel:BYTE_1 dst_unused:UNUSED_PAD src0_sel:DWORD src1_sel:DWORD
	v_ffbh_u32_e32 v4, v2
	v_or_b32_sdwa v1, v3, v1 dst_sel:DWORD dst_unused:UNUSED_PAD src0_sel:BYTE_0 src1_sel:DWORD
	v_min_u32_e32 v4, 32, v4
	v_lshrrev_b16_e32 v1, 3, v1
	v_subrev_u32_e32 v5, 28, v4
	v_and_b32_e32 v1, 15, v1
	v_lshlrev_b32_e32 v5, v5, v3
	v_sub_u32_e32 v4, 29, v4
	v_and_b32_e32 v5, 7, v5
	v_cmp_eq_u16_e32 vcc, 0, v1
	v_cndmask_b32_e32 v2, v2, v5, vcc
	v_cndmask_b32_e32 v1, v1, v4, vcc
	v_lshlrev_b32_e32 v4, 24, v3
	v_mov_b32_e32 v5, 0x3b800000
	v_lshlrev_b32_e32 v2, 20, v2
	v_and_b32_e32 v4, 0x80000000, v4
	v_lshl_add_u32 v1, v1, 23, v5
	v_or3_b32 v1, v4, v1, v2
.LBB55_2024:
	s_or_b64 exec, exec, s[6:7]
	s_nop 0
	v_mfma_f32_16x16x4f32 a[0:3], v0, v1, a[0:3]
	v_lshrrev_b32_e32 v1, 8, v7
	s_movk_i32 s4, 0x7f
	v_cmp_gt_i16_sdwa s[6:7], v1, s4 src0_sel:BYTE_0 src1_sel:DWORD
	s_mov_b64 s[4:5], 0
                                        ; implicit-def: $sgpr10
	s_and_saveexec_b64 s[8:9], s[6:7]
	s_xor_b64 s[6:7], exec, s[8:9]
	s_cbranch_execnz .LBB55_4073
; %bb.2025:
	s_or_saveexec_b64 s[6:7], s[6:7]
	v_mov_b32_e32 v0, s10
	s_xor_b64 exec, exec, s[6:7]
	s_cbranch_execnz .LBB55_4076
.LBB55_2026:
	s_or_b64 exec, exec, s[6:7]
	s_and_saveexec_b64 s[6:7], s[4:5]
	s_cbranch_execz .LBB55_2028
.LBB55_2027:
	v_bfe_u32 v0, v7, 8, 3
	v_ffbh_u32_e32 v4, v0
	v_min_u32_e32 v4, 32, v4
	v_lshrrev_b16_e32 v2, 3, v1
	v_subrev_u32_e32 v5, 28, v4
	v_and_b32_e32 v2, 15, v2
	v_lshlrev_b32_e32 v1, v5, v1
	v_sub_u32_e32 v4, 29, v4
	v_and_b32_e32 v1, 7, v1
	v_cmp_eq_u16_e32 vcc, 0, v2
	v_cndmask_b32_e32 v0, v0, v1, vcc
	v_cndmask_b32_e32 v1, v2, v4, vcc
	v_lshlrev_b32_e32 v2, 16, v7
	v_mov_b32_e32 v4, 0x3b800000
	v_lshlrev_b32_e32 v0, 20, v0
	v_and_b32_e32 v2, 0x80000000, v2
	v_lshl_add_u32 v1, v1, 23, v4
	v_or3_b32 v0, v2, v1, v0
.LBB55_2028:
	s_or_b64 exec, exec, s[6:7]
	v_lshrrev_b32_e32 v1, 8, v3
	s_movk_i32 s4, 0x7f
	v_cmp_gt_i16_sdwa s[6:7], v1, s4 src0_sel:BYTE_0 src1_sel:DWORD
	s_mov_b64 s[4:5], 0
                                        ; implicit-def: $sgpr10
	s_and_saveexec_b64 s[8:9], s[6:7]
	s_xor_b64 s[6:7], exec, s[8:9]
	s_cbranch_execnz .LBB55_4077
; %bb.2029:
	s_or_saveexec_b64 s[6:7], s[6:7]
	v_mov_b32_e32 v2, s10
	s_xor_b64 exec, exec, s[6:7]
	s_cbranch_execnz .LBB55_4080
.LBB55_2030:
	s_or_b64 exec, exec, s[6:7]
	s_and_saveexec_b64 s[6:7], s[4:5]
	s_cbranch_execz .LBB55_2032
.LBB55_2031:
	v_bfe_u32 v2, v3, 8, 3
	v_ffbh_u32_e32 v5, v2
	v_min_u32_e32 v5, 32, v5
	v_lshrrev_b16_e32 v4, 3, v1
	v_subrev_u32_e32 v6, 28, v5
	v_and_b32_e32 v4, 15, v4
	v_lshlrev_b32_e32 v1, v6, v1
	v_sub_u32_e32 v5, 29, v5
	v_and_b32_e32 v1, 7, v1
	v_cmp_eq_u16_e32 vcc, 0, v4
	v_cndmask_b32_e32 v1, v2, v1, vcc
	v_cndmask_b32_e32 v2, v4, v5, vcc
	v_lshlrev_b32_e32 v4, 16, v3
	v_mov_b32_e32 v5, 0x3b800000
	v_lshlrev_b32_e32 v1, 20, v1
	v_and_b32_e32 v4, 0x80000000, v4
	v_lshl_add_u32 v2, v2, 23, v5
	v_or3_b32 v2, v4, v2, v1
.LBB55_2032:
	s_or_b64 exec, exec, s[6:7]
	s_nop 0
	v_mfma_f32_16x16x4f32 a[0:3], v0, v2, a[0:3]
	s_movk_i32 s4, 0xff
	v_and_b32_sdwa v1, v7, s4 dst_sel:DWORD dst_unused:UNUSED_PAD src0_sel:WORD_1 src1_sel:DWORD
	s_movk_i32 s4, 0x7f
	v_cmp_lt_i16_e32 vcc, s4, v1
	s_mov_b64 s[4:5], 0
                                        ; implicit-def: $sgpr10
	s_and_saveexec_b64 s[6:7], vcc
	s_xor_b64 s[6:7], exec, s[6:7]
	s_cbranch_execnz .LBB55_4081
; %bb.2033:
	s_or_saveexec_b64 s[6:7], s[6:7]
	v_mov_b32_e32 v0, s10
	s_xor_b64 exec, exec, s[6:7]
	s_cbranch_execnz .LBB55_4084
.LBB55_2034:
	s_or_b64 exec, exec, s[6:7]
	s_and_saveexec_b64 s[6:7], s[4:5]
	s_cbranch_execz .LBB55_2036
.LBB55_2035:
	v_bfe_u32 v0, v7, 16, 3
	v_ffbh_u32_e32 v4, v0
	v_min_u32_e32 v4, 32, v4
	v_lshrrev_b32_e32 v1, 19, v7
	v_subrev_u32_e32 v5, 28, v4
	v_and_b32_e32 v1, 15, v1
	v_lshlrev_b32_sdwa v5, v5, v7 dst_sel:DWORD dst_unused:UNUSED_PAD src0_sel:DWORD src1_sel:WORD_1
	v_bfe_u32 v2, v7, 19, 4
	v_sub_u32_e32 v4, 29, v4
	v_and_b32_e32 v5, 7, v5
	v_cmp_eq_u16_e32 vcc, 0, v1
	v_cndmask_b32_e32 v0, v0, v5, vcc
	v_cndmask_b32_e32 v1, v2, v4, vcc
	v_lshlrev_b32_e32 v2, 8, v7
	v_mov_b32_e32 v4, 0x3b800000
	v_lshlrev_b32_e32 v0, 20, v0
	v_and_b32_e32 v2, 0x80000000, v2
	v_lshl_add_u32 v1, v1, 23, v4
	v_or3_b32 v0, v2, v1, v0
.LBB55_2036:
	s_or_b64 exec, exec, s[6:7]
	s_movk_i32 s4, 0xff
	v_and_b32_sdwa v1, v3, s4 dst_sel:DWORD dst_unused:UNUSED_PAD src0_sel:WORD_1 src1_sel:DWORD
	s_movk_i32 s4, 0x7f
	v_cmp_lt_i16_e32 vcc, s4, v1
	s_mov_b64 s[4:5], 0
                                        ; implicit-def: $sgpr10
	s_and_saveexec_b64 s[6:7], vcc
	s_xor_b64 s[6:7], exec, s[6:7]
	s_cbranch_execnz .LBB55_4085
; %bb.2037:
	s_or_saveexec_b64 s[6:7], s[6:7]
	v_mov_b32_e32 v2, s10
	s_xor_b64 exec, exec, s[6:7]
	s_cbranch_execnz .LBB55_4088
.LBB55_2038:
	s_or_b64 exec, exec, s[6:7]
	s_and_saveexec_b64 s[6:7], s[4:5]
	s_cbranch_execz .LBB55_2040
.LBB55_2039:
	v_bfe_u32 v1, v3, 16, 3
	v_ffbh_u32_e32 v5, v1
	v_min_u32_e32 v5, 32, v5
	v_lshrrev_b32_e32 v2, 19, v3
	v_subrev_u32_e32 v6, 28, v5
	v_and_b32_e32 v2, 15, v2
	v_lshlrev_b32_sdwa v6, v6, v3 dst_sel:DWORD dst_unused:UNUSED_PAD src0_sel:DWORD src1_sel:WORD_1
	v_bfe_u32 v4, v3, 19, 4
	v_sub_u32_e32 v5, 29, v5
	v_and_b32_e32 v6, 7, v6
	v_cmp_eq_u16_e32 vcc, 0, v2
	v_cndmask_b32_e32 v1, v1, v6, vcc
	v_cndmask_b32_e32 v2, v4, v5, vcc
	v_lshlrev_b32_e32 v4, 8, v3
	v_mov_b32_e32 v5, 0x3b800000
	v_lshlrev_b32_e32 v1, 20, v1
	v_and_b32_e32 v4, 0x80000000, v4
	v_lshl_add_u32 v2, v2, 23, v5
	v_or3_b32 v2, v4, v2, v1
.LBB55_2040:
	s_or_b64 exec, exec, s[6:7]
	s_nop 0
	v_mfma_f32_16x16x4f32 a[0:3], v0, v2, a[0:3]
	s_movk_i32 s4, 0x7f
	v_cmp_gt_i16_sdwa s[6:7], v7, s4 src0_sel:BYTE_3 src1_sel:DWORD
	s_mov_b64 s[4:5], 0
                                        ; implicit-def: $sgpr10
	s_and_saveexec_b64 s[8:9], s[6:7]
	s_xor_b64 s[6:7], exec, s[8:9]
	s_cbranch_execnz .LBB55_4089
; %bb.2041:
	s_or_saveexec_b64 s[6:7], s[6:7]
	v_mov_b32_e32 v0, s10
	s_xor_b64 exec, exec, s[6:7]
	s_cbranch_execnz .LBB55_4092
.LBB55_2042:
	s_or_b64 exec, exec, s[6:7]
	s_and_saveexec_b64 s[6:7], s[4:5]
	s_cbranch_execz .LBB55_2044
.LBB55_2043:
	v_bfe_u32 v0, v7, 24, 3
	v_ffbh_u32_e32 v5, v0
	v_min_u32_e32 v5, 32, v5
	v_lshrrev_b32_e32 v2, 27, v7
	v_subrev_u32_e32 v6, 28, v5
	v_and_b32_e32 v2, 15, v2
	v_lshlrev_b32_sdwa v6, v6, v7 dst_sel:DWORD dst_unused:UNUSED_PAD src0_sel:DWORD src1_sel:BYTE_3
	v_bfe_u32 v4, v7, 27, 4
	v_sub_u32_e32 v5, 29, v5
	v_and_b32_e32 v6, 7, v6
	v_cmp_eq_u16_e32 vcc, 0, v2
	v_cndmask_b32_e32 v0, v0, v6, vcc
	v_cndmask_b32_e32 v2, v4, v5, vcc
	v_mov_b32_e32 v4, 0x3b800000
	v_and_b32_e32 v1, 0x80000000, v7
	v_lshlrev_b32_e32 v0, 20, v0
	v_lshl_add_u32 v2, v2, 23, v4
	v_or3_b32 v0, v1, v2, v0
.LBB55_2044:
	s_or_b64 exec, exec, s[6:7]
	s_movk_i32 s4, 0x7f
	v_cmp_gt_i16_sdwa s[6:7], v3, s4 src0_sel:BYTE_3 src1_sel:DWORD
	s_mov_b64 s[4:5], 0
                                        ; implicit-def: $sgpr10
	s_and_saveexec_b64 s[8:9], s[6:7]
	s_xor_b64 s[6:7], exec, s[8:9]
	s_cbranch_execnz .LBB55_4093
; %bb.2045:
	s_or_saveexec_b64 s[6:7], s[6:7]
	v_mov_b32_e32 v1, s10
	s_xor_b64 exec, exec, s[6:7]
	s_cbranch_execnz .LBB55_4096
.LBB55_2046:
	s_or_b64 exec, exec, s[6:7]
	s_and_saveexec_b64 s[6:7], s[4:5]
	s_cbranch_execz .LBB55_2048
.LBB55_2047:
	v_bfe_u32 v1, v3, 24, 3
	v_ffbh_u32_e32 v6, v1
	v_min_u32_e32 v6, 32, v6
	v_lshrrev_b32_e32 v4, 27, v3
	v_subrev_u32_e32 v7, 28, v6
	v_and_b32_e32 v2, 0x80000000, v3
	v_and_b32_e32 v4, 15, v4
	v_bfe_u32 v5, v3, 27, 4
	v_lshlrev_b32_sdwa v3, v7, v3 dst_sel:DWORD dst_unused:UNUSED_PAD src0_sel:DWORD src1_sel:BYTE_3
	v_sub_u32_e32 v6, 29, v6
	v_and_b32_e32 v3, 7, v3
	v_cmp_eq_u16_e32 vcc, 0, v4
	v_cndmask_b32_e32 v1, v1, v3, vcc
	v_cndmask_b32_e32 v3, v5, v6, vcc
	v_mov_b32_e32 v4, 0x3b800000
	v_lshlrev_b32_e32 v1, 20, v1
	v_lshl_add_u32 v3, v3, 23, v4
	v_or3_b32 v1, v2, v3, v1
.LBB55_2048:
	s_or_b64 exec, exec, s[6:7]
	s_nop 0
	v_mfma_f32_16x16x4f32 a[0:3], v0, v1, a[0:3]
	s_nop 7
	s_nop 2
	flat_store_dwordx4 v[16:17], a[0:3] offset:496
	s_waitcnt vmcnt(0) lgkmcnt(0)
	s_setpc_b64 s[30:31]
.LBB55_2049:
	s_movk_i32 s4, 0x80
	v_cmp_eq_u16_sdwa s[12:13], v14, s4 src0_sel:BYTE_0 src1_sel:DWORD
	s_mov_b64 s[4:5], -1
                                        ; implicit-def: $sgpr10
	s_and_saveexec_b64 s[8:9], s[12:13]
; %bb.2050:
	s_mov_b32 s10, 0x7f800001
	s_xor_b64 s[4:5], exec, -1
; %bb.2051:
	s_or_b64 exec, exec, s[8:9]
	s_and_b64 s[4:5], s[4:5], exec
	s_or_saveexec_b64 s[6:7], s[6:7]
	v_mov_b32_e32 v20, s10
	s_xor_b64 exec, exec, s[6:7]
	s_cbranch_execz .LBB55_2
.LBB55_2052:
	v_mov_b32_e32 v20, 0
	v_cmp_ne_u16_sdwa s[8:9], v14, v20 src0_sel:BYTE_0 src1_sel:DWORD
	s_andn2_b64 s[4:5], s[4:5], exec
	s_and_b64 s[8:9], s[8:9], exec
	s_or_b64 s[4:5], s[4:5], s[8:9]
	s_or_b64 exec, exec, s[6:7]
	s_and_saveexec_b64 s[6:7], s[4:5]
	s_cbranch_execnz .LBB55_3
	s_branch .LBB55_4
.LBB55_2053:
	s_movk_i32 s4, 0x80
	v_cmp_eq_u16_sdwa s[12:13], v10, s4 src0_sel:BYTE_0 src1_sel:DWORD
	s_mov_b64 s[4:5], -1
                                        ; implicit-def: $sgpr10
	s_and_saveexec_b64 s[8:9], s[12:13]
; %bb.2054:
	s_mov_b32 s10, 0x7f800001
	s_xor_b64 s[4:5], exec, -1
; %bb.2055:
	s_or_b64 exec, exec, s[8:9]
	s_and_b64 s[4:5], s[4:5], exec
	s_or_saveexec_b64 s[6:7], s[6:7]
	v_mov_b32_e32 v21, s10
	s_xor_b64 exec, exec, s[6:7]
	s_cbranch_execz .LBB55_6
.LBB55_2056:
	v_mov_b32_e32 v21, 0
	v_cmp_ne_u16_sdwa s[8:9], v10, v21 src0_sel:BYTE_0 src1_sel:DWORD
	s_andn2_b64 s[4:5], s[4:5], exec
	s_and_b64 s[8:9], s[8:9], exec
	s_or_b64 s[4:5], s[4:5], s[8:9]
	s_or_b64 exec, exec, s[6:7]
	s_and_saveexec_b64 s[6:7], s[4:5]
	s_cbranch_execnz .LBB55_7
	s_branch .LBB55_8
.LBB55_2057:
	s_movk_i32 s4, 0x80
	v_cmp_eq_u16_sdwa s[12:13], v21, s4 src0_sel:BYTE_0 src1_sel:DWORD
	s_mov_b64 s[4:5], -1
                                        ; implicit-def: $sgpr10
	s_and_saveexec_b64 s[8:9], s[12:13]
; %bb.2058:
	s_mov_b32 s10, 0x7f800001
	s_xor_b64 s[4:5], exec, -1
; %bb.2059:
	s_or_b64 exec, exec, s[8:9]
	s_and_b64 s[4:5], s[4:5], exec
	s_or_saveexec_b64 s[6:7], s[6:7]
	v_mov_b32_e32 v20, s10
	s_xor_b64 exec, exec, s[6:7]
	s_cbranch_execz .LBB55_10
.LBB55_2060:
	v_mov_b32_e32 v20, 0
	v_cmp_ne_u16_sdwa s[8:9], v21, v20 src0_sel:BYTE_0 src1_sel:DWORD
	s_andn2_b64 s[4:5], s[4:5], exec
	s_and_b64 s[8:9], s[8:9], exec
	s_or_b64 s[4:5], s[4:5], s[8:9]
	s_or_b64 exec, exec, s[6:7]
	s_and_saveexec_b64 s[6:7], s[4:5]
	s_cbranch_execnz .LBB55_11
	s_branch .LBB55_12
.LBB55_2061:
	s_movk_i32 s4, 0x80
	v_cmp_eq_u16_sdwa s[12:13], v21, s4 src0_sel:BYTE_0 src1_sel:DWORD
	s_mov_b64 s[4:5], -1
                                        ; implicit-def: $sgpr10
	s_and_saveexec_b64 s[8:9], s[12:13]
; %bb.2062:
	s_mov_b32 s10, 0x7f800001
	s_xor_b64 s[4:5], exec, -1
; %bb.2063:
	s_or_b64 exec, exec, s[8:9]
	s_and_b64 s[4:5], s[4:5], exec
	s_or_saveexec_b64 s[6:7], s[6:7]
	v_mov_b32_e32 v22, s10
	s_xor_b64 exec, exec, s[6:7]
	s_cbranch_execz .LBB55_14
.LBB55_2064:
	v_mov_b32_e32 v22, 0
	v_cmp_ne_u16_sdwa s[8:9], v21, v22 src0_sel:BYTE_0 src1_sel:DWORD
	s_andn2_b64 s[4:5], s[4:5], exec
	s_and_b64 s[8:9], s[8:9], exec
	s_or_b64 s[4:5], s[4:5], s[8:9]
	s_or_b64 exec, exec, s[6:7]
	s_and_saveexec_b64 s[6:7], s[4:5]
	s_cbranch_execnz .LBB55_15
	s_branch .LBB55_16
.LBB55_2065:
	s_movk_i32 s4, 0x80
	v_cmp_eq_u16_e32 vcc, s4, v21
	s_mov_b64 s[4:5], -1
                                        ; implicit-def: $sgpr10
	s_and_saveexec_b64 s[8:9], vcc
; %bb.2066:
	s_mov_b32 s10, 0x7f800001
	s_xor_b64 s[4:5], exec, -1
; %bb.2067:
	s_or_b64 exec, exec, s[8:9]
	s_and_b64 s[4:5], s[4:5], exec
                                        ; implicit-def: $vgpr21
	s_or_saveexec_b64 s[6:7], s[6:7]
	v_mov_b32_e32 v20, s10
	s_xor_b64 exec, exec, s[6:7]
	s_cbranch_execz .LBB55_18
.LBB55_2068:
	v_cmp_ne_u16_e32 vcc, 0, v21
	s_andn2_b64 s[4:5], s[4:5], exec
	s_and_b64 s[8:9], vcc, exec
	v_mov_b32_e32 v20, 0
	s_or_b64 s[4:5], s[4:5], s[8:9]
	s_or_b64 exec, exec, s[6:7]
	s_and_saveexec_b64 s[6:7], s[4:5]
	s_cbranch_execnz .LBB55_19
	s_branch .LBB55_20
.LBB55_2069:
	s_movk_i32 s4, 0x80
	v_cmp_eq_u16_e32 vcc, s4, v21
	s_mov_b64 s[4:5], -1
                                        ; implicit-def: $sgpr10
	s_and_saveexec_b64 s[8:9], vcc
; %bb.2070:
	s_mov_b32 s10, 0x7f800001
	s_xor_b64 s[4:5], exec, -1
; %bb.2071:
	s_or_b64 exec, exec, s[8:9]
	s_and_b64 s[4:5], s[4:5], exec
                                        ; implicit-def: $vgpr21
	s_or_saveexec_b64 s[6:7], s[6:7]
	v_mov_b32_e32 v22, s10
	s_xor_b64 exec, exec, s[6:7]
	s_cbranch_execz .LBB55_22
.LBB55_2072:
	v_cmp_ne_u16_e32 vcc, 0, v21
	s_andn2_b64 s[4:5], s[4:5], exec
	s_and_b64 s[8:9], vcc, exec
	v_mov_b32_e32 v22, 0
	s_or_b64 s[4:5], s[4:5], s[8:9]
	s_or_b64 exec, exec, s[6:7]
	s_and_saveexec_b64 s[6:7], s[4:5]
	s_cbranch_execnz .LBB55_23
	s_branch .LBB55_24
.LBB55_2073:
	s_movk_i32 s4, 0x80
	v_cmp_eq_u16_sdwa s[12:13], v14, s4 src0_sel:BYTE_3 src1_sel:DWORD
	s_mov_b64 s[4:5], -1
                                        ; implicit-def: $sgpr10
	s_and_saveexec_b64 s[8:9], s[12:13]
; %bb.2074:
	s_mov_b32 s10, 0x7f800001
	s_xor_b64 s[4:5], exec, -1
; %bb.2075:
	s_or_b64 exec, exec, s[8:9]
	s_and_b64 s[4:5], s[4:5], exec
	s_or_saveexec_b64 s[6:7], s[6:7]
	v_mov_b32_e32 v20, s10
	s_xor_b64 exec, exec, s[6:7]
	s_cbranch_execz .LBB55_26
.LBB55_2076:
	v_mov_b32_e32 v20, 0
	v_cmp_ne_u16_sdwa s[8:9], v14, v20 src0_sel:BYTE_3 src1_sel:DWORD
	s_andn2_b64 s[4:5], s[4:5], exec
	s_and_b64 s[8:9], s[8:9], exec
	s_or_b64 s[4:5], s[4:5], s[8:9]
	s_or_b64 exec, exec, s[6:7]
	s_and_saveexec_b64 s[6:7], s[4:5]
	s_cbranch_execnz .LBB55_27
	s_branch .LBB55_28
.LBB55_2077:
	s_movk_i32 s4, 0x80
	v_cmp_eq_u16_sdwa s[12:13], v10, s4 src0_sel:BYTE_3 src1_sel:DWORD
	s_mov_b64 s[4:5], -1
                                        ; implicit-def: $sgpr10
	s_and_saveexec_b64 s[8:9], s[12:13]
; %bb.2078:
	s_mov_b32 s10, 0x7f800001
	s_xor_b64 s[4:5], exec, -1
; %bb.2079:
	s_or_b64 exec, exec, s[8:9]
	s_and_b64 s[4:5], s[4:5], exec
	s_or_saveexec_b64 s[6:7], s[6:7]
	v_mov_b32_e32 v14, s10
	s_xor_b64 exec, exec, s[6:7]
	s_cbranch_execz .LBB55_30
.LBB55_2080:
	v_mov_b32_e32 v14, 0
	v_cmp_ne_u16_sdwa s[8:9], v10, v14 src0_sel:BYTE_3 src1_sel:DWORD
	s_andn2_b64 s[4:5], s[4:5], exec
	s_and_b64 s[8:9], s[8:9], exec
	s_or_b64 s[4:5], s[4:5], s[8:9]
	s_or_b64 exec, exec, s[6:7]
	s_and_saveexec_b64 s[6:7], s[4:5]
	s_cbranch_execnz .LBB55_31
	s_branch .LBB55_32
.LBB55_2081:
	s_movk_i32 s4, 0x80
	v_cmp_eq_u16_sdwa s[12:13], v15, s4 src0_sel:BYTE_0 src1_sel:DWORD
	s_mov_b64 s[4:5], -1
                                        ; implicit-def: $sgpr10
	s_and_saveexec_b64 s[8:9], s[12:13]
; %bb.2082:
	s_mov_b32 s10, 0x7f800001
	s_xor_b64 s[4:5], exec, -1
; %bb.2083:
	s_or_b64 exec, exec, s[8:9]
	s_and_b64 s[4:5], s[4:5], exec
	s_or_saveexec_b64 s[6:7], s[6:7]
	v_mov_b32_e32 v10, s10
	s_xor_b64 exec, exec, s[6:7]
	s_cbranch_execz .LBB55_34
.LBB55_2084:
	v_mov_b32_e32 v10, 0
	v_cmp_ne_u16_sdwa s[8:9], v15, v10 src0_sel:BYTE_0 src1_sel:DWORD
	s_andn2_b64 s[4:5], s[4:5], exec
	s_and_b64 s[8:9], s[8:9], exec
	s_or_b64 s[4:5], s[4:5], s[8:9]
	s_or_b64 exec, exec, s[6:7]
	s_and_saveexec_b64 s[6:7], s[4:5]
	s_cbranch_execnz .LBB55_35
	s_branch .LBB55_36
.LBB55_2085:
	s_movk_i32 s4, 0x80
	v_cmp_eq_u16_sdwa s[12:13], v11, s4 src0_sel:BYTE_0 src1_sel:DWORD
	s_mov_b64 s[4:5], -1
                                        ; implicit-def: $sgpr10
	s_and_saveexec_b64 s[8:9], s[12:13]
; %bb.2086:
	s_mov_b32 s10, 0x7f800001
	s_xor_b64 s[4:5], exec, -1
; %bb.2087:
	s_or_b64 exec, exec, s[8:9]
	s_and_b64 s[4:5], s[4:5], exec
	s_or_saveexec_b64 s[6:7], s[6:7]
	v_mov_b32_e32 v14, s10
	s_xor_b64 exec, exec, s[6:7]
	s_cbranch_execz .LBB55_38
.LBB55_2088:
	v_mov_b32_e32 v14, 0
	v_cmp_ne_u16_sdwa s[8:9], v11, v14 src0_sel:BYTE_0 src1_sel:DWORD
	s_andn2_b64 s[4:5], s[4:5], exec
	s_and_b64 s[8:9], s[8:9], exec
	s_or_b64 s[4:5], s[4:5], s[8:9]
	s_or_b64 exec, exec, s[6:7]
	s_and_saveexec_b64 s[6:7], s[4:5]
	s_cbranch_execnz .LBB55_39
	s_branch .LBB55_40
.LBB55_2089:
	s_movk_i32 s4, 0x80
	v_cmp_eq_u16_sdwa s[12:13], v14, s4 src0_sel:BYTE_0 src1_sel:DWORD
	s_mov_b64 s[4:5], -1
                                        ; implicit-def: $sgpr10
	s_and_saveexec_b64 s[8:9], s[12:13]
; %bb.2090:
	s_mov_b32 s10, 0x7f800001
	s_xor_b64 s[4:5], exec, -1
; %bb.2091:
	s_or_b64 exec, exec, s[8:9]
	s_and_b64 s[4:5], s[4:5], exec
	s_or_saveexec_b64 s[6:7], s[6:7]
	v_mov_b32_e32 v10, s10
	s_xor_b64 exec, exec, s[6:7]
	s_cbranch_execz .LBB55_42
.LBB55_2092:
	v_mov_b32_e32 v10, 0
	v_cmp_ne_u16_sdwa s[8:9], v14, v10 src0_sel:BYTE_0 src1_sel:DWORD
	s_andn2_b64 s[4:5], s[4:5], exec
	s_and_b64 s[8:9], s[8:9], exec
	s_or_b64 s[4:5], s[4:5], s[8:9]
	s_or_b64 exec, exec, s[6:7]
	s_and_saveexec_b64 s[6:7], s[4:5]
	s_cbranch_execnz .LBB55_43
	s_branch .LBB55_44
.LBB55_2093:
	s_movk_i32 s4, 0x80
	v_cmp_eq_u16_sdwa s[12:13], v14, s4 src0_sel:BYTE_0 src1_sel:DWORD
	s_mov_b64 s[4:5], -1
                                        ; implicit-def: $sgpr10
	s_and_saveexec_b64 s[8:9], s[12:13]
; %bb.2094:
	s_mov_b32 s10, 0x7f800001
	s_xor_b64 s[4:5], exec, -1
; %bb.2095:
	s_or_b64 exec, exec, s[8:9]
	s_and_b64 s[4:5], s[4:5], exec
	s_or_saveexec_b64 s[6:7], s[6:7]
	v_mov_b32_e32 v20, s10
	s_xor_b64 exec, exec, s[6:7]
	s_cbranch_execz .LBB55_46
.LBB55_2096:
	v_mov_b32_e32 v20, 0
	v_cmp_ne_u16_sdwa s[8:9], v14, v20 src0_sel:BYTE_0 src1_sel:DWORD
	s_andn2_b64 s[4:5], s[4:5], exec
	s_and_b64 s[8:9], s[8:9], exec
	s_or_b64 s[4:5], s[4:5], s[8:9]
	s_or_b64 exec, exec, s[6:7]
	s_and_saveexec_b64 s[6:7], s[4:5]
	s_cbranch_execnz .LBB55_47
	s_branch .LBB55_48
.LBB55_2097:
	s_movk_i32 s4, 0x80
	v_cmp_eq_u16_e32 vcc, s4, v14
	s_mov_b64 s[4:5], -1
                                        ; implicit-def: $sgpr10
	s_and_saveexec_b64 s[8:9], vcc
; %bb.2098:
	s_mov_b32 s10, 0x7f800001
	s_xor_b64 s[4:5], exec, -1
; %bb.2099:
	s_or_b64 exec, exec, s[8:9]
	s_and_b64 s[4:5], s[4:5], exec
                                        ; implicit-def: $vgpr14
	s_or_saveexec_b64 s[6:7], s[6:7]
	v_mov_b32_e32 v10, s10
	s_xor_b64 exec, exec, s[6:7]
	s_cbranch_execz .LBB55_50
.LBB55_2100:
	v_cmp_ne_u16_e32 vcc, 0, v14
	s_andn2_b64 s[4:5], s[4:5], exec
	s_and_b64 s[8:9], vcc, exec
	v_mov_b32_e32 v10, 0
	s_or_b64 s[4:5], s[4:5], s[8:9]
	s_or_b64 exec, exec, s[6:7]
	s_and_saveexec_b64 s[6:7], s[4:5]
	s_cbranch_execnz .LBB55_51
	s_branch .LBB55_52
.LBB55_2101:
	s_movk_i32 s4, 0x80
	v_cmp_eq_u16_e32 vcc, s4, v14
	s_mov_b64 s[4:5], -1
                                        ; implicit-def: $sgpr10
	s_and_saveexec_b64 s[8:9], vcc
; %bb.2102:
	s_mov_b32 s10, 0x7f800001
	s_xor_b64 s[4:5], exec, -1
; %bb.2103:
	s_or_b64 exec, exec, s[8:9]
	s_and_b64 s[4:5], s[4:5], exec
                                        ; implicit-def: $vgpr14
	s_or_saveexec_b64 s[6:7], s[6:7]
	v_mov_b32_e32 v20, s10
	s_xor_b64 exec, exec, s[6:7]
	s_cbranch_execz .LBB55_54
.LBB55_2104:
	v_cmp_ne_u16_e32 vcc, 0, v14
	s_andn2_b64 s[4:5], s[4:5], exec
	s_and_b64 s[8:9], vcc, exec
	v_mov_b32_e32 v20, 0
	s_or_b64 s[4:5], s[4:5], s[8:9]
	s_or_b64 exec, exec, s[6:7]
	s_and_saveexec_b64 s[6:7], s[4:5]
	s_cbranch_execnz .LBB55_55
	s_branch .LBB55_56
.LBB55_2105:
	s_movk_i32 s4, 0x80
	v_cmp_eq_u16_sdwa s[12:13], v15, s4 src0_sel:BYTE_3 src1_sel:DWORD
	s_mov_b64 s[4:5], -1
                                        ; implicit-def: $sgpr10
	s_and_saveexec_b64 s[8:9], s[12:13]
; %bb.2106:
	s_mov_b32 s10, 0x7f800001
	s_xor_b64 s[4:5], exec, -1
; %bb.2107:
	s_or_b64 exec, exec, s[8:9]
	s_and_b64 s[4:5], s[4:5], exec
	s_or_saveexec_b64 s[6:7], s[6:7]
	v_mov_b32_e32 v10, s10
	s_xor_b64 exec, exec, s[6:7]
	s_cbranch_execz .LBB55_58
.LBB55_2108:
	v_mov_b32_e32 v10, 0
	v_cmp_ne_u16_sdwa s[8:9], v15, v10 src0_sel:BYTE_3 src1_sel:DWORD
	s_andn2_b64 s[4:5], s[4:5], exec
	s_and_b64 s[8:9], s[8:9], exec
	s_or_b64 s[4:5], s[4:5], s[8:9]
	s_or_b64 exec, exec, s[6:7]
	s_and_saveexec_b64 s[6:7], s[4:5]
	s_cbranch_execnz .LBB55_59
	s_branch .LBB55_60
.LBB55_2109:
	s_movk_i32 s4, 0x80
	v_cmp_eq_u16_sdwa s[12:13], v11, s4 src0_sel:BYTE_3 src1_sel:DWORD
	s_mov_b64 s[4:5], -1
                                        ; implicit-def: $sgpr10
	s_and_saveexec_b64 s[8:9], s[12:13]
; %bb.2110:
	s_mov_b32 s10, 0x7f800001
	s_xor_b64 s[4:5], exec, -1
; %bb.2111:
	s_or_b64 exec, exec, s[8:9]
	s_and_b64 s[4:5], s[4:5], exec
	s_or_saveexec_b64 s[6:7], s[6:7]
	v_mov_b32_e32 v14, s10
	s_xor_b64 exec, exec, s[6:7]
	s_cbranch_execz .LBB55_62
.LBB55_2112:
	v_mov_b32_e32 v14, 0
	v_cmp_ne_u16_sdwa s[8:9], v11, v14 src0_sel:BYTE_3 src1_sel:DWORD
	s_andn2_b64 s[4:5], s[4:5], exec
	s_and_b64 s[8:9], s[8:9], exec
	s_or_b64 s[4:5], s[4:5], s[8:9]
	s_or_b64 exec, exec, s[6:7]
	s_and_saveexec_b64 s[6:7], s[4:5]
	s_cbranch_execnz .LBB55_63
	s_branch .LBB55_64
.LBB55_2113:
	s_movk_i32 s4, 0x80
	v_cmp_eq_u16_sdwa s[12:13], v16, s4 src0_sel:BYTE_0 src1_sel:DWORD
	s_mov_b64 s[4:5], -1
                                        ; implicit-def: $sgpr10
	s_and_saveexec_b64 s[8:9], s[12:13]
; %bb.2114:
	s_mov_b32 s10, 0x7f800001
	s_xor_b64 s[4:5], exec, -1
; %bb.2115:
	s_or_b64 exec, exec, s[8:9]
	s_and_b64 s[4:5], s[4:5], exec
	s_or_saveexec_b64 s[6:7], s[6:7]
	v_mov_b32_e32 v10, s10
	s_xor_b64 exec, exec, s[6:7]
	s_cbranch_execz .LBB55_66
.LBB55_2116:
	v_mov_b32_e32 v10, 0
	v_cmp_ne_u16_sdwa s[8:9], v16, v10 src0_sel:BYTE_0 src1_sel:DWORD
	s_andn2_b64 s[4:5], s[4:5], exec
	s_and_b64 s[8:9], s[8:9], exec
	s_or_b64 s[4:5], s[4:5], s[8:9]
	s_or_b64 exec, exec, s[6:7]
	s_and_saveexec_b64 s[6:7], s[4:5]
	s_cbranch_execnz .LBB55_67
	s_branch .LBB55_68
.LBB55_2117:
	s_movk_i32 s4, 0x80
	v_cmp_eq_u16_sdwa s[12:13], v12, s4 src0_sel:BYTE_0 src1_sel:DWORD
	s_mov_b64 s[4:5], -1
                                        ; implicit-def: $sgpr10
	s_and_saveexec_b64 s[8:9], s[12:13]
; %bb.2118:
	s_mov_b32 s10, 0x7f800001
	s_xor_b64 s[4:5], exec, -1
; %bb.2119:
	s_or_b64 exec, exec, s[8:9]
	s_and_b64 s[4:5], s[4:5], exec
	s_or_saveexec_b64 s[6:7], s[6:7]
	v_mov_b32_e32 v11, s10
	s_xor_b64 exec, exec, s[6:7]
	s_cbranch_execz .LBB55_70
.LBB55_2120:
	v_mov_b32_e32 v11, 0
	v_cmp_ne_u16_sdwa s[8:9], v12, v11 src0_sel:BYTE_0 src1_sel:DWORD
	s_andn2_b64 s[4:5], s[4:5], exec
	s_and_b64 s[8:9], s[8:9], exec
	s_or_b64 s[4:5], s[4:5], s[8:9]
	s_or_b64 exec, exec, s[6:7]
	s_and_saveexec_b64 s[6:7], s[4:5]
	s_cbranch_execnz .LBB55_71
	s_branch .LBB55_72
.LBB55_2121:
	s_movk_i32 s4, 0x80
	v_cmp_eq_u16_sdwa s[12:13], v11, s4 src0_sel:BYTE_0 src1_sel:DWORD
	s_mov_b64 s[4:5], -1
                                        ; implicit-def: $sgpr10
	s_and_saveexec_b64 s[8:9], s[12:13]
; %bb.2122:
	s_mov_b32 s10, 0x7f800001
	s_xor_b64 s[4:5], exec, -1
; %bb.2123:
	s_or_b64 exec, exec, s[8:9]
	s_and_b64 s[4:5], s[4:5], exec
	s_or_saveexec_b64 s[6:7], s[6:7]
	v_mov_b32_e32 v10, s10
	s_xor_b64 exec, exec, s[6:7]
	s_cbranch_execz .LBB55_74
.LBB55_2124:
	v_mov_b32_e32 v10, 0
	v_cmp_ne_u16_sdwa s[8:9], v11, v10 src0_sel:BYTE_0 src1_sel:DWORD
	s_andn2_b64 s[4:5], s[4:5], exec
	s_and_b64 s[8:9], s[8:9], exec
	s_or_b64 s[4:5], s[4:5], s[8:9]
	s_or_b64 exec, exec, s[6:7]
	s_and_saveexec_b64 s[6:7], s[4:5]
	s_cbranch_execnz .LBB55_75
	s_branch .LBB55_76
.LBB55_2125:
	s_movk_i32 s4, 0x80
	v_cmp_eq_u16_sdwa s[12:13], v11, s4 src0_sel:BYTE_0 src1_sel:DWORD
	s_mov_b64 s[4:5], -1
                                        ; implicit-def: $sgpr10
	s_and_saveexec_b64 s[8:9], s[12:13]
; %bb.2126:
	s_mov_b32 s10, 0x7f800001
	s_xor_b64 s[4:5], exec, -1
; %bb.2127:
	s_or_b64 exec, exec, s[8:9]
	s_and_b64 s[4:5], s[4:5], exec
	s_or_saveexec_b64 s[6:7], s[6:7]
	v_mov_b32_e32 v14, s10
	s_xor_b64 exec, exec, s[6:7]
	s_cbranch_execz .LBB55_78
.LBB55_2128:
	v_mov_b32_e32 v14, 0
	v_cmp_ne_u16_sdwa s[8:9], v11, v14 src0_sel:BYTE_0 src1_sel:DWORD
	s_andn2_b64 s[4:5], s[4:5], exec
	s_and_b64 s[8:9], s[8:9], exec
	s_or_b64 s[4:5], s[4:5], s[8:9]
	s_or_b64 exec, exec, s[6:7]
	s_and_saveexec_b64 s[6:7], s[4:5]
	s_cbranch_execnz .LBB55_79
	s_branch .LBB55_80
.LBB55_2129:
	s_movk_i32 s4, 0x80
	v_cmp_eq_u16_e32 vcc, s4, v11
	s_mov_b64 s[4:5], -1
                                        ; implicit-def: $sgpr10
	s_and_saveexec_b64 s[8:9], vcc
; %bb.2130:
	s_mov_b32 s10, 0x7f800001
	s_xor_b64 s[4:5], exec, -1
; %bb.2131:
	s_or_b64 exec, exec, s[8:9]
	s_and_b64 s[4:5], s[4:5], exec
                                        ; implicit-def: $vgpr11
	s_or_saveexec_b64 s[6:7], s[6:7]
	v_mov_b32_e32 v10, s10
	s_xor_b64 exec, exec, s[6:7]
	s_cbranch_execz .LBB55_82
.LBB55_2132:
	v_cmp_ne_u16_e32 vcc, 0, v11
	s_andn2_b64 s[4:5], s[4:5], exec
	s_and_b64 s[8:9], vcc, exec
	v_mov_b32_e32 v10, 0
	s_or_b64 s[4:5], s[4:5], s[8:9]
	s_or_b64 exec, exec, s[6:7]
	s_and_saveexec_b64 s[6:7], s[4:5]
	s_cbranch_execnz .LBB55_83
	s_branch .LBB55_84
.LBB55_2133:
	s_movk_i32 s4, 0x80
	v_cmp_eq_u16_e32 vcc, s4, v11
	s_mov_b64 s[4:5], -1
                                        ; implicit-def: $sgpr10
	s_and_saveexec_b64 s[8:9], vcc
; %bb.2134:
	s_mov_b32 s10, 0x7f800001
	s_xor_b64 s[4:5], exec, -1
; %bb.2135:
	s_or_b64 exec, exec, s[8:9]
	s_and_b64 s[4:5], s[4:5], exec
                                        ; implicit-def: $vgpr11
	s_or_saveexec_b64 s[6:7], s[6:7]
	v_mov_b32_e32 v14, s10
	s_xor_b64 exec, exec, s[6:7]
	s_cbranch_execz .LBB55_86
.LBB55_2136:
	v_cmp_ne_u16_e32 vcc, 0, v11
	s_andn2_b64 s[4:5], s[4:5], exec
	s_and_b64 s[8:9], vcc, exec
	v_mov_b32_e32 v14, 0
	s_or_b64 s[4:5], s[4:5], s[8:9]
	s_or_b64 exec, exec, s[6:7]
	s_and_saveexec_b64 s[6:7], s[4:5]
	s_cbranch_execnz .LBB55_87
	s_branch .LBB55_88
.LBB55_2137:
	s_movk_i32 s4, 0x80
	v_cmp_eq_u16_sdwa s[12:13], v16, s4 src0_sel:BYTE_3 src1_sel:DWORD
	s_mov_b64 s[4:5], -1
                                        ; implicit-def: $sgpr10
	s_and_saveexec_b64 s[8:9], s[12:13]
; %bb.2138:
	s_mov_b32 s10, 0x7f800001
	s_xor_b64 s[4:5], exec, -1
; %bb.2139:
	s_or_b64 exec, exec, s[8:9]
	s_and_b64 s[4:5], s[4:5], exec
	s_or_saveexec_b64 s[6:7], s[6:7]
	v_mov_b32_e32 v10, s10
	s_xor_b64 exec, exec, s[6:7]
	s_cbranch_execz .LBB55_90
.LBB55_2140:
	v_mov_b32_e32 v10, 0
	v_cmp_ne_u16_sdwa s[8:9], v16, v10 src0_sel:BYTE_3 src1_sel:DWORD
	s_andn2_b64 s[4:5], s[4:5], exec
	s_and_b64 s[8:9], s[8:9], exec
	s_or_b64 s[4:5], s[4:5], s[8:9]
	s_or_b64 exec, exec, s[6:7]
	s_and_saveexec_b64 s[6:7], s[4:5]
	s_cbranch_execnz .LBB55_91
	s_branch .LBB55_92
.LBB55_2141:
	s_movk_i32 s4, 0x80
	v_cmp_eq_u16_sdwa s[12:13], v12, s4 src0_sel:BYTE_3 src1_sel:DWORD
	s_mov_b64 s[4:5], -1
                                        ; implicit-def: $sgpr10
	s_and_saveexec_b64 s[8:9], s[12:13]
; %bb.2142:
	s_mov_b32 s10, 0x7f800001
	s_xor_b64 s[4:5], exec, -1
; %bb.2143:
	s_or_b64 exec, exec, s[8:9]
	s_and_b64 s[4:5], s[4:5], exec
	s_or_saveexec_b64 s[6:7], s[6:7]
	v_mov_b32_e32 v11, s10
	s_xor_b64 exec, exec, s[6:7]
	s_cbranch_execz .LBB55_94
.LBB55_2144:
	v_mov_b32_e32 v11, 0
	v_cmp_ne_u16_sdwa s[8:9], v12, v11 src0_sel:BYTE_3 src1_sel:DWORD
	s_andn2_b64 s[4:5], s[4:5], exec
	s_and_b64 s[8:9], s[8:9], exec
	s_or_b64 s[4:5], s[4:5], s[8:9]
	s_or_b64 exec, exec, s[6:7]
	s_and_saveexec_b64 s[6:7], s[4:5]
	s_cbranch_execnz .LBB55_95
	s_branch .LBB55_96
.LBB55_2145:
	s_movk_i32 s4, 0x80
	v_cmp_eq_u16_sdwa s[12:13], v17, s4 src0_sel:BYTE_0 src1_sel:DWORD
	s_mov_b64 s[4:5], -1
                                        ; implicit-def: $sgpr10
	s_and_saveexec_b64 s[8:9], s[12:13]
; %bb.2146:
	s_mov_b32 s10, 0x7f800001
	s_xor_b64 s[4:5], exec, -1
; %bb.2147:
	s_or_b64 exec, exec, s[8:9]
	s_and_b64 s[4:5], s[4:5], exec
	s_or_saveexec_b64 s[6:7], s[6:7]
	v_mov_b32_e32 v10, s10
	s_xor_b64 exec, exec, s[6:7]
	s_cbranch_execz .LBB55_98
.LBB55_2148:
	v_mov_b32_e32 v10, 0
	v_cmp_ne_u16_sdwa s[8:9], v17, v10 src0_sel:BYTE_0 src1_sel:DWORD
	s_andn2_b64 s[4:5], s[4:5], exec
	s_and_b64 s[8:9], s[8:9], exec
	s_or_b64 s[4:5], s[4:5], s[8:9]
	s_or_b64 exec, exec, s[6:7]
	s_and_saveexec_b64 s[6:7], s[4:5]
	s_cbranch_execnz .LBB55_99
	s_branch .LBB55_100
.LBB55_2149:
	s_movk_i32 s4, 0x80
	v_cmp_eq_u16_sdwa s[12:13], v13, s4 src0_sel:BYTE_0 src1_sel:DWORD
	s_mov_b64 s[4:5], -1
                                        ; implicit-def: $sgpr10
	s_and_saveexec_b64 s[8:9], s[12:13]
; %bb.2150:
	s_mov_b32 s10, 0x7f800001
	s_xor_b64 s[4:5], exec, -1
; %bb.2151:
	s_or_b64 exec, exec, s[8:9]
	s_and_b64 s[4:5], s[4:5], exec
	s_or_saveexec_b64 s[6:7], s[6:7]
	v_mov_b32_e32 v11, s10
	s_xor_b64 exec, exec, s[6:7]
	s_cbranch_execz .LBB55_102
.LBB55_2152:
	v_mov_b32_e32 v11, 0
	v_cmp_ne_u16_sdwa s[8:9], v13, v11 src0_sel:BYTE_0 src1_sel:DWORD
	s_andn2_b64 s[4:5], s[4:5], exec
	s_and_b64 s[8:9], s[8:9], exec
	s_or_b64 s[4:5], s[4:5], s[8:9]
	s_or_b64 exec, exec, s[6:7]
	s_and_saveexec_b64 s[6:7], s[4:5]
	s_cbranch_execnz .LBB55_103
	s_branch .LBB55_104
.LBB55_2153:
	s_movk_i32 s4, 0x80
	v_cmp_eq_u16_sdwa s[12:13], v11, s4 src0_sel:BYTE_0 src1_sel:DWORD
	s_mov_b64 s[4:5], -1
                                        ; implicit-def: $sgpr10
	s_and_saveexec_b64 s[8:9], s[12:13]
; %bb.2154:
	s_mov_b32 s10, 0x7f800001
	s_xor_b64 s[4:5], exec, -1
; %bb.2155:
	s_or_b64 exec, exec, s[8:9]
	s_and_b64 s[4:5], s[4:5], exec
	s_or_saveexec_b64 s[6:7], s[6:7]
	v_mov_b32_e32 v10, s10
	s_xor_b64 exec, exec, s[6:7]
	s_cbranch_execz .LBB55_106
.LBB55_2156:
	v_mov_b32_e32 v10, 0
	v_cmp_ne_u16_sdwa s[8:9], v11, v10 src0_sel:BYTE_0 src1_sel:DWORD
	s_andn2_b64 s[4:5], s[4:5], exec
	s_and_b64 s[8:9], s[8:9], exec
	s_or_b64 s[4:5], s[4:5], s[8:9]
	s_or_b64 exec, exec, s[6:7]
	s_and_saveexec_b64 s[6:7], s[4:5]
	s_cbranch_execnz .LBB55_107
	s_branch .LBB55_108
.LBB55_2157:
	s_movk_i32 s4, 0x80
	v_cmp_eq_u16_sdwa s[12:13], v11, s4 src0_sel:BYTE_0 src1_sel:DWORD
	s_mov_b64 s[4:5], -1
                                        ; implicit-def: $sgpr10
	s_and_saveexec_b64 s[8:9], s[12:13]
; %bb.2158:
	s_mov_b32 s10, 0x7f800001
	s_xor_b64 s[4:5], exec, -1
; %bb.2159:
	s_or_b64 exec, exec, s[8:9]
	s_and_b64 s[4:5], s[4:5], exec
	s_or_saveexec_b64 s[6:7], s[6:7]
	v_mov_b32_e32 v12, s10
	s_xor_b64 exec, exec, s[6:7]
	s_cbranch_execz .LBB55_110
.LBB55_2160:
	v_mov_b32_e32 v12, 0
	v_cmp_ne_u16_sdwa s[8:9], v11, v12 src0_sel:BYTE_0 src1_sel:DWORD
	s_andn2_b64 s[4:5], s[4:5], exec
	s_and_b64 s[8:9], s[8:9], exec
	s_or_b64 s[4:5], s[4:5], s[8:9]
	s_or_b64 exec, exec, s[6:7]
	s_and_saveexec_b64 s[6:7], s[4:5]
	s_cbranch_execnz .LBB55_111
	s_branch .LBB55_112
.LBB55_2161:
	s_movk_i32 s4, 0x80
	v_cmp_eq_u16_e32 vcc, s4, v11
	s_mov_b64 s[4:5], -1
                                        ; implicit-def: $sgpr10
	s_and_saveexec_b64 s[8:9], vcc
; %bb.2162:
	s_mov_b32 s10, 0x7f800001
	s_xor_b64 s[4:5], exec, -1
; %bb.2163:
	s_or_b64 exec, exec, s[8:9]
	s_and_b64 s[4:5], s[4:5], exec
                                        ; implicit-def: $vgpr11
	s_or_saveexec_b64 s[6:7], s[6:7]
	v_mov_b32_e32 v10, s10
	s_xor_b64 exec, exec, s[6:7]
	s_cbranch_execz .LBB55_114
.LBB55_2164:
	v_cmp_ne_u16_e32 vcc, 0, v11
	s_andn2_b64 s[4:5], s[4:5], exec
	s_and_b64 s[8:9], vcc, exec
	v_mov_b32_e32 v10, 0
	s_or_b64 s[4:5], s[4:5], s[8:9]
	s_or_b64 exec, exec, s[6:7]
	s_and_saveexec_b64 s[6:7], s[4:5]
	s_cbranch_execnz .LBB55_115
	s_branch .LBB55_116
.LBB55_2165:
	s_movk_i32 s4, 0x80
	v_cmp_eq_u16_e32 vcc, s4, v11
	s_mov_b64 s[4:5], -1
                                        ; implicit-def: $sgpr10
	s_and_saveexec_b64 s[8:9], vcc
; %bb.2166:
	s_mov_b32 s10, 0x7f800001
	s_xor_b64 s[4:5], exec, -1
; %bb.2167:
	s_or_b64 exec, exec, s[8:9]
	s_and_b64 s[4:5], s[4:5], exec
                                        ; implicit-def: $vgpr11
	s_or_saveexec_b64 s[6:7], s[6:7]
	v_mov_b32_e32 v12, s10
	s_xor_b64 exec, exec, s[6:7]
	s_cbranch_execz .LBB55_118
.LBB55_2168:
	v_cmp_ne_u16_e32 vcc, 0, v11
	s_andn2_b64 s[4:5], s[4:5], exec
	s_and_b64 s[8:9], vcc, exec
	v_mov_b32_e32 v12, 0
	s_or_b64 s[4:5], s[4:5], s[8:9]
	s_or_b64 exec, exec, s[6:7]
	s_and_saveexec_b64 s[6:7], s[4:5]
	s_cbranch_execnz .LBB55_119
	s_branch .LBB55_120
.LBB55_2169:
	s_movk_i32 s4, 0x80
	v_cmp_eq_u16_sdwa s[12:13], v17, s4 src0_sel:BYTE_3 src1_sel:DWORD
	s_mov_b64 s[4:5], -1
                                        ; implicit-def: $sgpr10
	s_and_saveexec_b64 s[8:9], s[12:13]
; %bb.2170:
	s_mov_b32 s10, 0x7f800001
	s_xor_b64 s[4:5], exec, -1
; %bb.2171:
	s_or_b64 exec, exec, s[8:9]
	s_and_b64 s[4:5], s[4:5], exec
	s_or_saveexec_b64 s[6:7], s[6:7]
	v_mov_b32_e32 v10, s10
	s_xor_b64 exec, exec, s[6:7]
	s_cbranch_execz .LBB55_122
.LBB55_2172:
	v_mov_b32_e32 v10, 0
	v_cmp_ne_u16_sdwa s[8:9], v17, v10 src0_sel:BYTE_3 src1_sel:DWORD
	s_andn2_b64 s[4:5], s[4:5], exec
	s_and_b64 s[8:9], s[8:9], exec
	s_or_b64 s[4:5], s[4:5], s[8:9]
	s_or_b64 exec, exec, s[6:7]
	s_and_saveexec_b64 s[6:7], s[4:5]
	s_cbranch_execnz .LBB55_123
	s_branch .LBB55_124
.LBB55_2173:
	s_movk_i32 s4, 0x80
	v_cmp_eq_u16_sdwa s[12:13], v13, s4 src0_sel:BYTE_3 src1_sel:DWORD
	s_mov_b64 s[4:5], -1
                                        ; implicit-def: $sgpr10
	s_and_saveexec_b64 s[8:9], s[12:13]
; %bb.2174:
	s_mov_b32 s10, 0x7f800001
	s_xor_b64 s[4:5], exec, -1
; %bb.2175:
	s_or_b64 exec, exec, s[8:9]
	s_and_b64 s[4:5], s[4:5], exec
	s_or_saveexec_b64 s[6:7], s[6:7]
	v_mov_b32_e32 v11, s10
	s_xor_b64 exec, exec, s[6:7]
	s_cbranch_execz .LBB55_126
.LBB55_2176:
	v_mov_b32_e32 v11, 0
	v_cmp_ne_u16_sdwa s[8:9], v13, v11 src0_sel:BYTE_3 src1_sel:DWORD
	s_andn2_b64 s[4:5], s[4:5], exec
	s_and_b64 s[8:9], s[8:9], exec
	s_or_b64 s[4:5], s[4:5], s[8:9]
	s_or_b64 exec, exec, s[6:7]
	s_and_saveexec_b64 s[6:7], s[4:5]
	s_cbranch_execnz .LBB55_127
	s_branch .LBB55_128
.LBB55_2177:
	s_movk_i32 s4, 0x80
	v_cmp_eq_u16_sdwa s[12:13], v6, s4 src0_sel:BYTE_0 src1_sel:DWORD
	s_mov_b64 s[4:5], -1
                                        ; implicit-def: $sgpr10
	s_and_saveexec_b64 s[8:9], s[12:13]
; %bb.2178:
	s_mov_b32 s10, 0x7f800001
	s_xor_b64 s[4:5], exec, -1
; %bb.2179:
	s_or_b64 exec, exec, s[8:9]
	s_and_b64 s[4:5], s[4:5], exec
	s_or_saveexec_b64 s[6:7], s[6:7]
	v_mov_b32_e32 v10, s10
	s_xor_b64 exec, exec, s[6:7]
	s_cbranch_execz .LBB55_130
.LBB55_2180:
	v_mov_b32_e32 v10, 0
	v_cmp_ne_u16_sdwa s[8:9], v6, v10 src0_sel:BYTE_0 src1_sel:DWORD
	s_andn2_b64 s[4:5], s[4:5], exec
	s_and_b64 s[8:9], s[8:9], exec
	s_or_b64 s[4:5], s[4:5], s[8:9]
	s_or_b64 exec, exec, s[6:7]
	s_and_saveexec_b64 s[6:7], s[4:5]
	s_cbranch_execnz .LBB55_131
	s_branch .LBB55_132
.LBB55_2181:
	s_movk_i32 s4, 0x80
	v_cmp_eq_u16_sdwa s[12:13], v2, s4 src0_sel:BYTE_0 src1_sel:DWORD
	s_mov_b64 s[4:5], -1
                                        ; implicit-def: $sgpr10
	s_and_saveexec_b64 s[8:9], s[12:13]
; %bb.2182:
	s_mov_b32 s10, 0x7f800001
	s_xor_b64 s[4:5], exec, -1
; %bb.2183:
	s_or_b64 exec, exec, s[8:9]
	s_and_b64 s[4:5], s[4:5], exec
	s_or_saveexec_b64 s[6:7], s[6:7]
	v_mov_b32_e32 v11, s10
	s_xor_b64 exec, exec, s[6:7]
	s_cbranch_execz .LBB55_134
.LBB55_2184:
	v_mov_b32_e32 v11, 0
	v_cmp_ne_u16_sdwa s[8:9], v2, v11 src0_sel:BYTE_0 src1_sel:DWORD
	s_andn2_b64 s[4:5], s[4:5], exec
	s_and_b64 s[8:9], s[8:9], exec
	s_or_b64 s[4:5], s[4:5], s[8:9]
	s_or_b64 exec, exec, s[6:7]
	s_and_saveexec_b64 s[6:7], s[4:5]
	s_cbranch_execnz .LBB55_135
	s_branch .LBB55_136
.LBB55_2185:
	s_movk_i32 s4, 0x80
	v_cmp_eq_u16_sdwa s[12:13], v11, s4 src0_sel:BYTE_0 src1_sel:DWORD
	s_mov_b64 s[4:5], -1
                                        ; implicit-def: $sgpr10
	s_and_saveexec_b64 s[8:9], s[12:13]
; %bb.2186:
	s_mov_b32 s10, 0x7f800001
	s_xor_b64 s[4:5], exec, -1
; %bb.2187:
	s_or_b64 exec, exec, s[8:9]
	s_and_b64 s[4:5], s[4:5], exec
	s_or_saveexec_b64 s[6:7], s[6:7]
	v_mov_b32_e32 v10, s10
	s_xor_b64 exec, exec, s[6:7]
	s_cbranch_execz .LBB55_138
.LBB55_2188:
	v_mov_b32_e32 v10, 0
	v_cmp_ne_u16_sdwa s[8:9], v11, v10 src0_sel:BYTE_0 src1_sel:DWORD
	s_andn2_b64 s[4:5], s[4:5], exec
	s_and_b64 s[8:9], s[8:9], exec
	s_or_b64 s[4:5], s[4:5], s[8:9]
	s_or_b64 exec, exec, s[6:7]
	s_and_saveexec_b64 s[6:7], s[4:5]
	s_cbranch_execnz .LBB55_139
	s_branch .LBB55_140
.LBB55_2189:
	s_movk_i32 s4, 0x80
	v_cmp_eq_u16_sdwa s[12:13], v11, s4 src0_sel:BYTE_0 src1_sel:DWORD
	s_mov_b64 s[4:5], -1
                                        ; implicit-def: $sgpr10
	s_and_saveexec_b64 s[8:9], s[12:13]
; %bb.2190:
	s_mov_b32 s10, 0x7f800001
	s_xor_b64 s[4:5], exec, -1
; %bb.2191:
	s_or_b64 exec, exec, s[8:9]
	s_and_b64 s[4:5], s[4:5], exec
	s_or_saveexec_b64 s[6:7], s[6:7]
	v_mov_b32_e32 v12, s10
	s_xor_b64 exec, exec, s[6:7]
	s_cbranch_execz .LBB55_142
.LBB55_2192:
	v_mov_b32_e32 v12, 0
	v_cmp_ne_u16_sdwa s[8:9], v11, v12 src0_sel:BYTE_0 src1_sel:DWORD
	s_andn2_b64 s[4:5], s[4:5], exec
	s_and_b64 s[8:9], s[8:9], exec
	s_or_b64 s[4:5], s[4:5], s[8:9]
	s_or_b64 exec, exec, s[6:7]
	s_and_saveexec_b64 s[6:7], s[4:5]
	s_cbranch_execnz .LBB55_143
	s_branch .LBB55_144
.LBB55_2193:
	s_movk_i32 s4, 0x80
	v_cmp_eq_u16_e32 vcc, s4, v11
	s_mov_b64 s[4:5], -1
                                        ; implicit-def: $sgpr10
	s_and_saveexec_b64 s[8:9], vcc
; %bb.2194:
	s_mov_b32 s10, 0x7f800001
	s_xor_b64 s[4:5], exec, -1
; %bb.2195:
	s_or_b64 exec, exec, s[8:9]
	s_and_b64 s[4:5], s[4:5], exec
                                        ; implicit-def: $vgpr11
	s_or_saveexec_b64 s[6:7], s[6:7]
	v_mov_b32_e32 v10, s10
	s_xor_b64 exec, exec, s[6:7]
	s_cbranch_execz .LBB55_146
.LBB55_2196:
	v_cmp_ne_u16_e32 vcc, 0, v11
	s_andn2_b64 s[4:5], s[4:5], exec
	s_and_b64 s[8:9], vcc, exec
	v_mov_b32_e32 v10, 0
	s_or_b64 s[4:5], s[4:5], s[8:9]
	s_or_b64 exec, exec, s[6:7]
	s_and_saveexec_b64 s[6:7], s[4:5]
	s_cbranch_execnz .LBB55_147
	s_branch .LBB55_148
.LBB55_2197:
	s_movk_i32 s4, 0x80
	v_cmp_eq_u16_e32 vcc, s4, v11
	s_mov_b64 s[4:5], -1
                                        ; implicit-def: $sgpr10
	s_and_saveexec_b64 s[8:9], vcc
; %bb.2198:
	s_mov_b32 s10, 0x7f800001
	s_xor_b64 s[4:5], exec, -1
; %bb.2199:
	s_or_b64 exec, exec, s[8:9]
	s_and_b64 s[4:5], s[4:5], exec
                                        ; implicit-def: $vgpr11
	s_or_saveexec_b64 s[6:7], s[6:7]
	v_mov_b32_e32 v12, s10
	s_xor_b64 exec, exec, s[6:7]
	s_cbranch_execz .LBB55_150
.LBB55_2200:
	v_cmp_ne_u16_e32 vcc, 0, v11
	s_andn2_b64 s[4:5], s[4:5], exec
	s_and_b64 s[8:9], vcc, exec
	v_mov_b32_e32 v12, 0
	s_or_b64 s[4:5], s[4:5], s[8:9]
	s_or_b64 exec, exec, s[6:7]
	s_and_saveexec_b64 s[6:7], s[4:5]
	s_cbranch_execnz .LBB55_151
	s_branch .LBB55_152
.LBB55_2201:
	s_movk_i32 s4, 0x80
	v_cmp_eq_u16_sdwa s[12:13], v6, s4 src0_sel:BYTE_3 src1_sel:DWORD
	s_mov_b64 s[4:5], -1
                                        ; implicit-def: $sgpr10
	s_and_saveexec_b64 s[8:9], s[12:13]
; %bb.2202:
	s_mov_b32 s10, 0x7f800001
	s_xor_b64 s[4:5], exec, -1
; %bb.2203:
	s_or_b64 exec, exec, s[8:9]
	s_and_b64 s[4:5], s[4:5], exec
	s_or_saveexec_b64 s[6:7], s[6:7]
	v_mov_b32_e32 v10, s10
	s_xor_b64 exec, exec, s[6:7]
	s_cbranch_execz .LBB55_154
.LBB55_2204:
	v_mov_b32_e32 v10, 0
	v_cmp_ne_u16_sdwa s[8:9], v6, v10 src0_sel:BYTE_3 src1_sel:DWORD
	s_andn2_b64 s[4:5], s[4:5], exec
	s_and_b64 s[8:9], s[8:9], exec
	s_or_b64 s[4:5], s[4:5], s[8:9]
	s_or_b64 exec, exec, s[6:7]
	s_and_saveexec_b64 s[6:7], s[4:5]
	s_cbranch_execnz .LBB55_155
	s_branch .LBB55_156
.LBB55_2205:
	s_movk_i32 s4, 0x80
	v_cmp_eq_u16_sdwa s[12:13], v2, s4 src0_sel:BYTE_3 src1_sel:DWORD
	s_mov_b64 s[4:5], -1
                                        ; implicit-def: $sgpr10
	s_and_saveexec_b64 s[8:9], s[12:13]
; %bb.2206:
	s_mov_b32 s10, 0x7f800001
	s_xor_b64 s[4:5], exec, -1
; %bb.2207:
	s_or_b64 exec, exec, s[8:9]
	s_and_b64 s[4:5], s[4:5], exec
	s_or_saveexec_b64 s[6:7], s[6:7]
	v_mov_b32_e32 v6, s10
	s_xor_b64 exec, exec, s[6:7]
	s_cbranch_execz .LBB55_158
.LBB55_2208:
	v_mov_b32_e32 v6, 0
	v_cmp_ne_u16_sdwa s[8:9], v2, v6 src0_sel:BYTE_3 src1_sel:DWORD
	s_andn2_b64 s[4:5], s[4:5], exec
	s_and_b64 s[8:9], s[8:9], exec
	s_or_b64 s[4:5], s[4:5], s[8:9]
	s_or_b64 exec, exec, s[6:7]
	s_and_saveexec_b64 s[6:7], s[4:5]
	s_cbranch_execnz .LBB55_159
	s_branch .LBB55_160
.LBB55_2209:
	s_movk_i32 s4, 0x80
	v_cmp_eq_u16_sdwa s[12:13], v7, s4 src0_sel:BYTE_0 src1_sel:DWORD
	s_mov_b64 s[4:5], -1
                                        ; implicit-def: $sgpr10
	s_and_saveexec_b64 s[8:9], s[12:13]
; %bb.2210:
	s_mov_b32 s10, 0x7f800001
	s_xor_b64 s[4:5], exec, -1
; %bb.2211:
	s_or_b64 exec, exec, s[8:9]
	s_and_b64 s[4:5], s[4:5], exec
	s_or_saveexec_b64 s[6:7], s[6:7]
	v_mov_b32_e32 v2, s10
	s_xor_b64 exec, exec, s[6:7]
	s_cbranch_execz .LBB55_162
.LBB55_2212:
	v_mov_b32_e32 v2, 0
	v_cmp_ne_u16_sdwa s[8:9], v7, v2 src0_sel:BYTE_0 src1_sel:DWORD
	s_andn2_b64 s[4:5], s[4:5], exec
	s_and_b64 s[8:9], s[8:9], exec
	s_or_b64 s[4:5], s[4:5], s[8:9]
	s_or_b64 exec, exec, s[6:7]
	s_and_saveexec_b64 s[6:7], s[4:5]
	s_cbranch_execnz .LBB55_163
	s_branch .LBB55_164
.LBB55_2213:
	s_movk_i32 s4, 0x80
	v_cmp_eq_u16_sdwa s[12:13], v3, s4 src0_sel:BYTE_0 src1_sel:DWORD
	s_mov_b64 s[4:5], -1
                                        ; implicit-def: $sgpr10
	s_and_saveexec_b64 s[8:9], s[12:13]
; %bb.2214:
	s_mov_b32 s10, 0x7f800001
	s_xor_b64 s[4:5], exec, -1
; %bb.2215:
	s_or_b64 exec, exec, s[8:9]
	s_and_b64 s[4:5], s[4:5], exec
	s_or_saveexec_b64 s[6:7], s[6:7]
	v_mov_b32_e32 v6, s10
	s_xor_b64 exec, exec, s[6:7]
	s_cbranch_execz .LBB55_166
.LBB55_2216:
	v_mov_b32_e32 v6, 0
	v_cmp_ne_u16_sdwa s[8:9], v3, v6 src0_sel:BYTE_0 src1_sel:DWORD
	s_andn2_b64 s[4:5], s[4:5], exec
	s_and_b64 s[8:9], s[8:9], exec
	s_or_b64 s[4:5], s[4:5], s[8:9]
	s_or_b64 exec, exec, s[6:7]
	s_and_saveexec_b64 s[6:7], s[4:5]
	s_cbranch_execnz .LBB55_167
	s_branch .LBB55_168
.LBB55_2217:
	s_movk_i32 s4, 0x80
	v_cmp_eq_u16_sdwa s[12:13], v6, s4 src0_sel:BYTE_0 src1_sel:DWORD
	s_mov_b64 s[4:5], -1
                                        ; implicit-def: $sgpr10
	s_and_saveexec_b64 s[8:9], s[12:13]
; %bb.2218:
	s_mov_b32 s10, 0x7f800001
	s_xor_b64 s[4:5], exec, -1
; %bb.2219:
	s_or_b64 exec, exec, s[8:9]
	s_and_b64 s[4:5], s[4:5], exec
	s_or_saveexec_b64 s[6:7], s[6:7]
	v_mov_b32_e32 v2, s10
	s_xor_b64 exec, exec, s[6:7]
	s_cbranch_execz .LBB55_170
.LBB55_2220:
	v_mov_b32_e32 v2, 0
	v_cmp_ne_u16_sdwa s[8:9], v6, v2 src0_sel:BYTE_0 src1_sel:DWORD
	s_andn2_b64 s[4:5], s[4:5], exec
	s_and_b64 s[8:9], s[8:9], exec
	s_or_b64 s[4:5], s[4:5], s[8:9]
	s_or_b64 exec, exec, s[6:7]
	s_and_saveexec_b64 s[6:7], s[4:5]
	s_cbranch_execnz .LBB55_171
	s_branch .LBB55_172
.LBB55_2221:
	s_movk_i32 s4, 0x80
	v_cmp_eq_u16_sdwa s[12:13], v6, s4 src0_sel:BYTE_0 src1_sel:DWORD
	s_mov_b64 s[4:5], -1
                                        ; implicit-def: $sgpr10
	s_and_saveexec_b64 s[8:9], s[12:13]
; %bb.2222:
	s_mov_b32 s10, 0x7f800001
	s_xor_b64 s[4:5], exec, -1
; %bb.2223:
	s_or_b64 exec, exec, s[8:9]
	s_and_b64 s[4:5], s[4:5], exec
	s_or_saveexec_b64 s[6:7], s[6:7]
	v_mov_b32_e32 v10, s10
	s_xor_b64 exec, exec, s[6:7]
	s_cbranch_execz .LBB55_174
.LBB55_2224:
	v_mov_b32_e32 v10, 0
	v_cmp_ne_u16_sdwa s[8:9], v6, v10 src0_sel:BYTE_0 src1_sel:DWORD
	s_andn2_b64 s[4:5], s[4:5], exec
	s_and_b64 s[8:9], s[8:9], exec
	s_or_b64 s[4:5], s[4:5], s[8:9]
	s_or_b64 exec, exec, s[6:7]
	s_and_saveexec_b64 s[6:7], s[4:5]
	s_cbranch_execnz .LBB55_175
	s_branch .LBB55_176
.LBB55_2225:
	s_movk_i32 s4, 0x80
	v_cmp_eq_u16_e32 vcc, s4, v6
	s_mov_b64 s[4:5], -1
                                        ; implicit-def: $sgpr10
	s_and_saveexec_b64 s[8:9], vcc
; %bb.2226:
	s_mov_b32 s10, 0x7f800001
	s_xor_b64 s[4:5], exec, -1
; %bb.2227:
	s_or_b64 exec, exec, s[8:9]
	s_and_b64 s[4:5], s[4:5], exec
                                        ; implicit-def: $vgpr6
	s_or_saveexec_b64 s[6:7], s[6:7]
	v_mov_b32_e32 v2, s10
	s_xor_b64 exec, exec, s[6:7]
	s_cbranch_execz .LBB55_178
.LBB55_2228:
	v_cmp_ne_u16_e32 vcc, 0, v6
	s_andn2_b64 s[4:5], s[4:5], exec
	s_and_b64 s[8:9], vcc, exec
	v_mov_b32_e32 v2, 0
	s_or_b64 s[4:5], s[4:5], s[8:9]
	s_or_b64 exec, exec, s[6:7]
	s_and_saveexec_b64 s[6:7], s[4:5]
	s_cbranch_execnz .LBB55_179
	s_branch .LBB55_180
.LBB55_2229:
	s_movk_i32 s4, 0x80
	v_cmp_eq_u16_e32 vcc, s4, v6
	s_mov_b64 s[4:5], -1
                                        ; implicit-def: $sgpr10
	s_and_saveexec_b64 s[8:9], vcc
; %bb.2230:
	s_mov_b32 s10, 0x7f800001
	s_xor_b64 s[4:5], exec, -1
; %bb.2231:
	s_or_b64 exec, exec, s[8:9]
	s_and_b64 s[4:5], s[4:5], exec
                                        ; implicit-def: $vgpr6
	s_or_saveexec_b64 s[6:7], s[6:7]
	v_mov_b32_e32 v10, s10
	s_xor_b64 exec, exec, s[6:7]
	s_cbranch_execz .LBB55_182
.LBB55_2232:
	v_cmp_ne_u16_e32 vcc, 0, v6
	s_andn2_b64 s[4:5], s[4:5], exec
	s_and_b64 s[8:9], vcc, exec
	v_mov_b32_e32 v10, 0
	s_or_b64 s[4:5], s[4:5], s[8:9]
	s_or_b64 exec, exec, s[6:7]
	s_and_saveexec_b64 s[6:7], s[4:5]
	s_cbranch_execnz .LBB55_183
	s_branch .LBB55_184
.LBB55_2233:
	s_movk_i32 s4, 0x80
	v_cmp_eq_u16_sdwa s[12:13], v7, s4 src0_sel:BYTE_3 src1_sel:DWORD
	s_mov_b64 s[4:5], -1
                                        ; implicit-def: $sgpr10
	s_and_saveexec_b64 s[8:9], s[12:13]
; %bb.2234:
	s_mov_b32 s10, 0x7f800001
	s_xor_b64 s[4:5], exec, -1
; %bb.2235:
	s_or_b64 exec, exec, s[8:9]
	s_and_b64 s[4:5], s[4:5], exec
	s_or_saveexec_b64 s[6:7], s[6:7]
	v_mov_b32_e32 v2, s10
	s_xor_b64 exec, exec, s[6:7]
	s_cbranch_execz .LBB55_186
.LBB55_2236:
	v_mov_b32_e32 v2, 0
	v_cmp_ne_u16_sdwa s[8:9], v7, v2 src0_sel:BYTE_3 src1_sel:DWORD
	s_andn2_b64 s[4:5], s[4:5], exec
	s_and_b64 s[8:9], s[8:9], exec
	s_or_b64 s[4:5], s[4:5], s[8:9]
	s_or_b64 exec, exec, s[6:7]
	s_and_saveexec_b64 s[6:7], s[4:5]
	s_cbranch_execnz .LBB55_187
	s_branch .LBB55_188
.LBB55_2237:
	s_movk_i32 s4, 0x80
	v_cmp_eq_u16_sdwa s[12:13], v3, s4 src0_sel:BYTE_3 src1_sel:DWORD
	s_mov_b64 s[4:5], -1
                                        ; implicit-def: $sgpr10
	s_and_saveexec_b64 s[8:9], s[12:13]
; %bb.2238:
	s_mov_b32 s10, 0x7f800001
	s_xor_b64 s[4:5], exec, -1
; %bb.2239:
	s_or_b64 exec, exec, s[8:9]
	s_and_b64 s[4:5], s[4:5], exec
	s_or_saveexec_b64 s[6:7], s[6:7]
	v_mov_b32_e32 v6, s10
	s_xor_b64 exec, exec, s[6:7]
	s_cbranch_execz .LBB55_190
.LBB55_2240:
	v_mov_b32_e32 v6, 0
	v_cmp_ne_u16_sdwa s[8:9], v3, v6 src0_sel:BYTE_3 src1_sel:DWORD
	s_andn2_b64 s[4:5], s[4:5], exec
	s_and_b64 s[8:9], s[8:9], exec
	s_or_b64 s[4:5], s[4:5], s[8:9]
	s_or_b64 exec, exec, s[6:7]
	s_and_saveexec_b64 s[6:7], s[4:5]
	s_cbranch_execnz .LBB55_191
	s_branch .LBB55_192
.LBB55_2241:
	s_movk_i32 s4, 0x80
	v_cmp_eq_u16_sdwa s[12:13], v8, s4 src0_sel:BYTE_0 src1_sel:DWORD
	s_mov_b64 s[4:5], -1
                                        ; implicit-def: $sgpr10
	s_and_saveexec_b64 s[8:9], s[12:13]
; %bb.2242:
	s_mov_b32 s10, 0x7f800001
	s_xor_b64 s[4:5], exec, -1
; %bb.2243:
	s_or_b64 exec, exec, s[8:9]
	s_and_b64 s[4:5], s[4:5], exec
	s_or_saveexec_b64 s[6:7], s[6:7]
	v_mov_b32_e32 v2, s10
	s_xor_b64 exec, exec, s[6:7]
	s_cbranch_execz .LBB55_194
.LBB55_2244:
	v_mov_b32_e32 v2, 0
	v_cmp_ne_u16_sdwa s[8:9], v8, v2 src0_sel:BYTE_0 src1_sel:DWORD
	s_andn2_b64 s[4:5], s[4:5], exec
	s_and_b64 s[8:9], s[8:9], exec
	s_or_b64 s[4:5], s[4:5], s[8:9]
	s_or_b64 exec, exec, s[6:7]
	s_and_saveexec_b64 s[6:7], s[4:5]
	s_cbranch_execnz .LBB55_195
	s_branch .LBB55_196
.LBB55_2245:
	s_movk_i32 s4, 0x80
	v_cmp_eq_u16_sdwa s[12:13], v4, s4 src0_sel:BYTE_0 src1_sel:DWORD
	s_mov_b64 s[4:5], -1
                                        ; implicit-def: $sgpr10
	s_and_saveexec_b64 s[8:9], s[12:13]
; %bb.2246:
	s_mov_b32 s10, 0x7f800001
	s_xor_b64 s[4:5], exec, -1
; %bb.2247:
	s_or_b64 exec, exec, s[8:9]
	s_and_b64 s[4:5], s[4:5], exec
	s_or_saveexec_b64 s[6:7], s[6:7]
	v_mov_b32_e32 v3, s10
	s_xor_b64 exec, exec, s[6:7]
	s_cbranch_execz .LBB55_198
.LBB55_2248:
	v_mov_b32_e32 v3, 0
	v_cmp_ne_u16_sdwa s[8:9], v4, v3 src0_sel:BYTE_0 src1_sel:DWORD
	s_andn2_b64 s[4:5], s[4:5], exec
	s_and_b64 s[8:9], s[8:9], exec
	s_or_b64 s[4:5], s[4:5], s[8:9]
	s_or_b64 exec, exec, s[6:7]
	s_and_saveexec_b64 s[6:7], s[4:5]
	s_cbranch_execnz .LBB55_199
	s_branch .LBB55_200
.LBB55_2249:
	s_movk_i32 s4, 0x80
	v_cmp_eq_u16_sdwa s[12:13], v3, s4 src0_sel:BYTE_0 src1_sel:DWORD
	s_mov_b64 s[4:5], -1
                                        ; implicit-def: $sgpr10
	s_and_saveexec_b64 s[8:9], s[12:13]
; %bb.2250:
	s_mov_b32 s10, 0x7f800001
	s_xor_b64 s[4:5], exec, -1
; %bb.2251:
	s_or_b64 exec, exec, s[8:9]
	s_and_b64 s[4:5], s[4:5], exec
	s_or_saveexec_b64 s[6:7], s[6:7]
	v_mov_b32_e32 v2, s10
	s_xor_b64 exec, exec, s[6:7]
	s_cbranch_execz .LBB55_202
.LBB55_2252:
	v_mov_b32_e32 v2, 0
	v_cmp_ne_u16_sdwa s[8:9], v3, v2 src0_sel:BYTE_0 src1_sel:DWORD
	s_andn2_b64 s[4:5], s[4:5], exec
	s_and_b64 s[8:9], s[8:9], exec
	s_or_b64 s[4:5], s[4:5], s[8:9]
	s_or_b64 exec, exec, s[6:7]
	s_and_saveexec_b64 s[6:7], s[4:5]
	s_cbranch_execnz .LBB55_203
	s_branch .LBB55_204
.LBB55_2253:
	s_movk_i32 s4, 0x80
	v_cmp_eq_u16_sdwa s[12:13], v3, s4 src0_sel:BYTE_0 src1_sel:DWORD
	s_mov_b64 s[4:5], -1
                                        ; implicit-def: $sgpr10
	s_and_saveexec_b64 s[8:9], s[12:13]
; %bb.2254:
	s_mov_b32 s10, 0x7f800001
	s_xor_b64 s[4:5], exec, -1
; %bb.2255:
	s_or_b64 exec, exec, s[8:9]
	s_and_b64 s[4:5], s[4:5], exec
	s_or_saveexec_b64 s[6:7], s[6:7]
	v_mov_b32_e32 v6, s10
	s_xor_b64 exec, exec, s[6:7]
	s_cbranch_execz .LBB55_206
.LBB55_2256:
	v_mov_b32_e32 v6, 0
	v_cmp_ne_u16_sdwa s[8:9], v3, v6 src0_sel:BYTE_0 src1_sel:DWORD
	s_andn2_b64 s[4:5], s[4:5], exec
	s_and_b64 s[8:9], s[8:9], exec
	s_or_b64 s[4:5], s[4:5], s[8:9]
	s_or_b64 exec, exec, s[6:7]
	s_and_saveexec_b64 s[6:7], s[4:5]
	s_cbranch_execnz .LBB55_207
	s_branch .LBB55_208
.LBB55_2257:
	s_movk_i32 s4, 0x80
	v_cmp_eq_u16_e32 vcc, s4, v3
	s_mov_b64 s[4:5], -1
                                        ; implicit-def: $sgpr10
	s_and_saveexec_b64 s[8:9], vcc
; %bb.2258:
	s_mov_b32 s10, 0x7f800001
	s_xor_b64 s[4:5], exec, -1
; %bb.2259:
	s_or_b64 exec, exec, s[8:9]
	s_and_b64 s[4:5], s[4:5], exec
                                        ; implicit-def: $vgpr3
	s_or_saveexec_b64 s[6:7], s[6:7]
	v_mov_b32_e32 v2, s10
	s_xor_b64 exec, exec, s[6:7]
	s_cbranch_execz .LBB55_210
.LBB55_2260:
	v_cmp_ne_u16_e32 vcc, 0, v3
	s_andn2_b64 s[4:5], s[4:5], exec
	s_and_b64 s[8:9], vcc, exec
	v_mov_b32_e32 v2, 0
	s_or_b64 s[4:5], s[4:5], s[8:9]
	s_or_b64 exec, exec, s[6:7]
	s_and_saveexec_b64 s[6:7], s[4:5]
	s_cbranch_execnz .LBB55_211
	s_branch .LBB55_212
.LBB55_2261:
	s_movk_i32 s4, 0x80
	v_cmp_eq_u16_e32 vcc, s4, v3
	s_mov_b64 s[4:5], -1
                                        ; implicit-def: $sgpr10
	s_and_saveexec_b64 s[8:9], vcc
; %bb.2262:
	s_mov_b32 s10, 0x7f800001
	s_xor_b64 s[4:5], exec, -1
; %bb.2263:
	s_or_b64 exec, exec, s[8:9]
	s_and_b64 s[4:5], s[4:5], exec
                                        ; implicit-def: $vgpr3
	s_or_saveexec_b64 s[6:7], s[6:7]
	v_mov_b32_e32 v6, s10
	s_xor_b64 exec, exec, s[6:7]
	s_cbranch_execz .LBB55_214
.LBB55_2264:
	v_cmp_ne_u16_e32 vcc, 0, v3
	s_andn2_b64 s[4:5], s[4:5], exec
	s_and_b64 s[8:9], vcc, exec
	v_mov_b32_e32 v6, 0
	s_or_b64 s[4:5], s[4:5], s[8:9]
	s_or_b64 exec, exec, s[6:7]
	s_and_saveexec_b64 s[6:7], s[4:5]
	s_cbranch_execnz .LBB55_215
	s_branch .LBB55_216
.LBB55_2265:
	s_movk_i32 s4, 0x80
	v_cmp_eq_u16_sdwa s[12:13], v8, s4 src0_sel:BYTE_3 src1_sel:DWORD
	s_mov_b64 s[4:5], -1
                                        ; implicit-def: $sgpr10
	s_and_saveexec_b64 s[8:9], s[12:13]
; %bb.2266:
	s_mov_b32 s10, 0x7f800001
	s_xor_b64 s[4:5], exec, -1
; %bb.2267:
	s_or_b64 exec, exec, s[8:9]
	s_and_b64 s[4:5], s[4:5], exec
	s_or_saveexec_b64 s[6:7], s[6:7]
	v_mov_b32_e32 v2, s10
	s_xor_b64 exec, exec, s[6:7]
	s_cbranch_execz .LBB55_218
.LBB55_2268:
	v_mov_b32_e32 v2, 0
	v_cmp_ne_u16_sdwa s[8:9], v8, v2 src0_sel:BYTE_3 src1_sel:DWORD
	s_andn2_b64 s[4:5], s[4:5], exec
	s_and_b64 s[8:9], s[8:9], exec
	s_or_b64 s[4:5], s[4:5], s[8:9]
	s_or_b64 exec, exec, s[6:7]
	s_and_saveexec_b64 s[6:7], s[4:5]
	s_cbranch_execnz .LBB55_219
	s_branch .LBB55_220
.LBB55_2269:
	s_movk_i32 s4, 0x80
	v_cmp_eq_u16_sdwa s[12:13], v4, s4 src0_sel:BYTE_3 src1_sel:DWORD
	s_mov_b64 s[4:5], -1
                                        ; implicit-def: $sgpr10
	s_and_saveexec_b64 s[8:9], s[12:13]
; %bb.2270:
	s_mov_b32 s10, 0x7f800001
	s_xor_b64 s[4:5], exec, -1
; %bb.2271:
	s_or_b64 exec, exec, s[8:9]
	s_and_b64 s[4:5], s[4:5], exec
	s_or_saveexec_b64 s[6:7], s[6:7]
	v_mov_b32_e32 v3, s10
	s_xor_b64 exec, exec, s[6:7]
	s_cbranch_execz .LBB55_222
.LBB55_2272:
	v_mov_b32_e32 v3, 0
	v_cmp_ne_u16_sdwa s[8:9], v4, v3 src0_sel:BYTE_3 src1_sel:DWORD
	s_andn2_b64 s[4:5], s[4:5], exec
	s_and_b64 s[8:9], s[8:9], exec
	s_or_b64 s[4:5], s[4:5], s[8:9]
	s_or_b64 exec, exec, s[6:7]
	s_and_saveexec_b64 s[6:7], s[4:5]
	s_cbranch_execnz .LBB55_223
	s_branch .LBB55_224
.LBB55_2273:
	s_movk_i32 s4, 0x80
	v_cmp_eq_u16_sdwa s[12:13], v9, s4 src0_sel:BYTE_0 src1_sel:DWORD
	s_mov_b64 s[4:5], -1
                                        ; implicit-def: $sgpr10
	s_and_saveexec_b64 s[8:9], s[12:13]
; %bb.2274:
	s_mov_b32 s10, 0x7f800001
	s_xor_b64 s[4:5], exec, -1
; %bb.2275:
	s_or_b64 exec, exec, s[8:9]
	s_and_b64 s[4:5], s[4:5], exec
	s_or_saveexec_b64 s[6:7], s[6:7]
	v_mov_b32_e32 v2, s10
	s_xor_b64 exec, exec, s[6:7]
	s_cbranch_execz .LBB55_226
.LBB55_2276:
	v_mov_b32_e32 v2, 0
	v_cmp_ne_u16_sdwa s[8:9], v9, v2 src0_sel:BYTE_0 src1_sel:DWORD
	s_andn2_b64 s[4:5], s[4:5], exec
	s_and_b64 s[8:9], s[8:9], exec
	s_or_b64 s[4:5], s[4:5], s[8:9]
	s_or_b64 exec, exec, s[6:7]
	s_and_saveexec_b64 s[6:7], s[4:5]
	s_cbranch_execnz .LBB55_227
	s_branch .LBB55_228
.LBB55_2277:
	s_movk_i32 s4, 0x80
	v_cmp_eq_u16_sdwa s[12:13], v5, s4 src0_sel:BYTE_0 src1_sel:DWORD
	s_mov_b64 s[4:5], -1
                                        ; implicit-def: $sgpr10
	s_and_saveexec_b64 s[8:9], s[12:13]
; %bb.2278:
	s_mov_b32 s10, 0x7f800001
	s_xor_b64 s[4:5], exec, -1
; %bb.2279:
	s_or_b64 exec, exec, s[8:9]
	s_and_b64 s[4:5], s[4:5], exec
	s_or_saveexec_b64 s[6:7], s[6:7]
	v_mov_b32_e32 v3, s10
	s_xor_b64 exec, exec, s[6:7]
	s_cbranch_execz .LBB55_230
.LBB55_2280:
	v_mov_b32_e32 v3, 0
	v_cmp_ne_u16_sdwa s[8:9], v5, v3 src0_sel:BYTE_0 src1_sel:DWORD
	s_andn2_b64 s[4:5], s[4:5], exec
	s_and_b64 s[8:9], s[8:9], exec
	s_or_b64 s[4:5], s[4:5], s[8:9]
	s_or_b64 exec, exec, s[6:7]
	s_and_saveexec_b64 s[6:7], s[4:5]
	s_cbranch_execnz .LBB55_231
	s_branch .LBB55_232
.LBB55_2281:
	s_movk_i32 s4, 0x80
	v_cmp_eq_u16_sdwa s[12:13], v3, s4 src0_sel:BYTE_0 src1_sel:DWORD
	s_mov_b64 s[4:5], -1
                                        ; implicit-def: $sgpr10
	s_and_saveexec_b64 s[8:9], s[12:13]
; %bb.2282:
	s_mov_b32 s10, 0x7f800001
	s_xor_b64 s[4:5], exec, -1
; %bb.2283:
	s_or_b64 exec, exec, s[8:9]
	s_and_b64 s[4:5], s[4:5], exec
	s_or_saveexec_b64 s[6:7], s[6:7]
	v_mov_b32_e32 v2, s10
	s_xor_b64 exec, exec, s[6:7]
	s_cbranch_execz .LBB55_234
.LBB55_2284:
	v_mov_b32_e32 v2, 0
	v_cmp_ne_u16_sdwa s[8:9], v3, v2 src0_sel:BYTE_0 src1_sel:DWORD
	s_andn2_b64 s[4:5], s[4:5], exec
	s_and_b64 s[8:9], s[8:9], exec
	s_or_b64 s[4:5], s[4:5], s[8:9]
	s_or_b64 exec, exec, s[6:7]
	s_and_saveexec_b64 s[6:7], s[4:5]
	s_cbranch_execnz .LBB55_235
	s_branch .LBB55_236
.LBB55_2285:
	s_movk_i32 s4, 0x80
	v_cmp_eq_u16_sdwa s[12:13], v3, s4 src0_sel:BYTE_0 src1_sel:DWORD
	s_mov_b64 s[4:5], -1
                                        ; implicit-def: $sgpr10
	s_and_saveexec_b64 s[8:9], s[12:13]
; %bb.2286:
	s_mov_b32 s10, 0x7f800001
	s_xor_b64 s[4:5], exec, -1
; %bb.2287:
	s_or_b64 exec, exec, s[8:9]
	s_and_b64 s[4:5], s[4:5], exec
	s_or_saveexec_b64 s[6:7], s[6:7]
	v_mov_b32_e32 v4, s10
	s_xor_b64 exec, exec, s[6:7]
	s_cbranch_execz .LBB55_238
.LBB55_2288:
	v_mov_b32_e32 v4, 0
	v_cmp_ne_u16_sdwa s[8:9], v3, v4 src0_sel:BYTE_0 src1_sel:DWORD
	s_andn2_b64 s[4:5], s[4:5], exec
	s_and_b64 s[8:9], s[8:9], exec
	s_or_b64 s[4:5], s[4:5], s[8:9]
	s_or_b64 exec, exec, s[6:7]
	s_and_saveexec_b64 s[6:7], s[4:5]
	s_cbranch_execnz .LBB55_239
	s_branch .LBB55_240
.LBB55_2289:
	s_movk_i32 s4, 0x80
	v_cmp_eq_u16_e32 vcc, s4, v3
	s_mov_b64 s[4:5], -1
                                        ; implicit-def: $sgpr10
	s_and_saveexec_b64 s[8:9], vcc
; %bb.2290:
	s_mov_b32 s10, 0x7f800001
	s_xor_b64 s[4:5], exec, -1
; %bb.2291:
	s_or_b64 exec, exec, s[8:9]
	s_and_b64 s[4:5], s[4:5], exec
                                        ; implicit-def: $vgpr3
	s_or_saveexec_b64 s[6:7], s[6:7]
	v_mov_b32_e32 v2, s10
	s_xor_b64 exec, exec, s[6:7]
	s_cbranch_execz .LBB55_242
.LBB55_2292:
	v_cmp_ne_u16_e32 vcc, 0, v3
	s_andn2_b64 s[4:5], s[4:5], exec
	s_and_b64 s[8:9], vcc, exec
	v_mov_b32_e32 v2, 0
	s_or_b64 s[4:5], s[4:5], s[8:9]
	s_or_b64 exec, exec, s[6:7]
	s_and_saveexec_b64 s[6:7], s[4:5]
	s_cbranch_execnz .LBB55_243
	s_branch .LBB55_244
.LBB55_2293:
	s_movk_i32 s4, 0x80
	v_cmp_eq_u16_e32 vcc, s4, v3
	s_mov_b64 s[4:5], -1
                                        ; implicit-def: $sgpr10
	s_and_saveexec_b64 s[8:9], vcc
; %bb.2294:
	s_mov_b32 s10, 0x7f800001
	s_xor_b64 s[4:5], exec, -1
; %bb.2295:
	s_or_b64 exec, exec, s[8:9]
	s_and_b64 s[4:5], s[4:5], exec
                                        ; implicit-def: $vgpr3
	s_or_saveexec_b64 s[6:7], s[6:7]
	v_mov_b32_e32 v4, s10
	s_xor_b64 exec, exec, s[6:7]
	s_cbranch_execz .LBB55_246
.LBB55_2296:
	v_cmp_ne_u16_e32 vcc, 0, v3
	s_andn2_b64 s[4:5], s[4:5], exec
	s_and_b64 s[8:9], vcc, exec
	v_mov_b32_e32 v4, 0
	s_or_b64 s[4:5], s[4:5], s[8:9]
	s_or_b64 exec, exec, s[6:7]
	s_and_saveexec_b64 s[6:7], s[4:5]
	s_cbranch_execnz .LBB55_247
	s_branch .LBB55_248
.LBB55_2297:
	s_movk_i32 s4, 0x80
	v_cmp_eq_u16_sdwa s[12:13], v9, s4 src0_sel:BYTE_3 src1_sel:DWORD
	s_mov_b64 s[4:5], -1
                                        ; implicit-def: $sgpr10
	s_and_saveexec_b64 s[8:9], s[12:13]
; %bb.2298:
	s_mov_b32 s10, 0x7f800001
	s_xor_b64 s[4:5], exec, -1
; %bb.2299:
	s_or_b64 exec, exec, s[8:9]
	s_and_b64 s[4:5], s[4:5], exec
	s_or_saveexec_b64 s[6:7], s[6:7]
	v_mov_b32_e32 v2, s10
	s_xor_b64 exec, exec, s[6:7]
	s_cbranch_execz .LBB55_250
.LBB55_2300:
	v_mov_b32_e32 v2, 0
	v_cmp_ne_u16_sdwa s[8:9], v9, v2 src0_sel:BYTE_3 src1_sel:DWORD
	s_andn2_b64 s[4:5], s[4:5], exec
	s_and_b64 s[8:9], s[8:9], exec
	s_or_b64 s[4:5], s[4:5], s[8:9]
	s_or_b64 exec, exec, s[6:7]
	s_and_saveexec_b64 s[6:7], s[4:5]
	s_cbranch_execnz .LBB55_251
	s_branch .LBB55_252
.LBB55_2301:
	s_movk_i32 s4, 0x80
	v_cmp_eq_u16_sdwa s[12:13], v5, s4 src0_sel:BYTE_3 src1_sel:DWORD
	s_mov_b64 s[4:5], -1
                                        ; implicit-def: $sgpr10
	s_and_saveexec_b64 s[8:9], s[12:13]
; %bb.2302:
	s_mov_b32 s10, 0x7f800001
	s_xor_b64 s[4:5], exec, -1
; %bb.2303:
	s_or_b64 exec, exec, s[8:9]
	s_and_b64 s[4:5], s[4:5], exec
	s_or_saveexec_b64 s[6:7], s[6:7]
	v_mov_b32_e32 v3, s10
	s_xor_b64 exec, exec, s[6:7]
	s_cbranch_execz .LBB55_254
.LBB55_2304:
	v_mov_b32_e32 v3, 0
	v_cmp_ne_u16_sdwa s[8:9], v5, v3 src0_sel:BYTE_3 src1_sel:DWORD
	s_andn2_b64 s[4:5], s[4:5], exec
	s_and_b64 s[8:9], s[8:9], exec
	s_or_b64 s[4:5], s[4:5], s[8:9]
	s_or_b64 exec, exec, s[6:7]
	s_and_saveexec_b64 s[6:7], s[4:5]
	s_cbranch_execnz .LBB55_255
	s_branch .LBB55_256
.LBB55_2305:
	s_movk_i32 s4, 0x80
	v_cmp_eq_u16_sdwa s[12:13], v14, s4 src0_sel:BYTE_0 src1_sel:DWORD
	s_mov_b64 s[4:5], -1
                                        ; implicit-def: $sgpr10
	s_and_saveexec_b64 s[8:9], s[12:13]
; %bb.2306:
	s_mov_b32 s10, 0x7f800001
	s_xor_b64 s[4:5], exec, -1
; %bb.2307:
	s_or_b64 exec, exec, s[8:9]
	s_and_b64 s[4:5], s[4:5], exec
	s_or_saveexec_b64 s[6:7], s[6:7]
	v_mov_b32_e32 v20, s10
	s_xor_b64 exec, exec, s[6:7]
	s_cbranch_execz .LBB55_258
.LBB55_2308:
	v_mov_b32_e32 v20, 0
	v_cmp_ne_u16_sdwa s[8:9], v14, v20 src0_sel:BYTE_0 src1_sel:DWORD
	s_andn2_b64 s[4:5], s[4:5], exec
	s_and_b64 s[8:9], s[8:9], exec
	s_or_b64 s[4:5], s[4:5], s[8:9]
	s_or_b64 exec, exec, s[6:7]
	s_and_saveexec_b64 s[6:7], s[4:5]
	s_cbranch_execnz .LBB55_259
	s_branch .LBB55_260
.LBB55_2309:
	s_movk_i32 s4, 0x80
	v_cmp_eq_u16_sdwa s[12:13], v10, s4 src0_sel:BYTE_0 src1_sel:DWORD
	s_mov_b64 s[4:5], -1
                                        ; implicit-def: $sgpr10
	s_and_saveexec_b64 s[8:9], s[12:13]
; %bb.2310:
	s_mov_b32 s10, 0x7f800001
	s_xor_b64 s[4:5], exec, -1
; %bb.2311:
	s_or_b64 exec, exec, s[8:9]
	s_and_b64 s[4:5], s[4:5], exec
	s_or_saveexec_b64 s[6:7], s[6:7]
	v_mov_b32_e32 v21, s10
	s_xor_b64 exec, exec, s[6:7]
	s_cbranch_execz .LBB55_262
.LBB55_2312:
	v_mov_b32_e32 v21, 0
	v_cmp_ne_u16_sdwa s[8:9], v10, v21 src0_sel:BYTE_0 src1_sel:DWORD
	s_andn2_b64 s[4:5], s[4:5], exec
	s_and_b64 s[8:9], s[8:9], exec
	s_or_b64 s[4:5], s[4:5], s[8:9]
	s_or_b64 exec, exec, s[6:7]
	s_and_saveexec_b64 s[6:7], s[4:5]
	s_cbranch_execnz .LBB55_263
	s_branch .LBB55_264
.LBB55_2313:
	s_movk_i32 s4, 0x80
	v_cmp_eq_u16_sdwa s[12:13], v21, s4 src0_sel:BYTE_0 src1_sel:DWORD
	s_mov_b64 s[4:5], -1
                                        ; implicit-def: $sgpr10
	s_and_saveexec_b64 s[8:9], s[12:13]
; %bb.2314:
	s_mov_b32 s10, 0x7f800001
	s_xor_b64 s[4:5], exec, -1
; %bb.2315:
	s_or_b64 exec, exec, s[8:9]
	s_and_b64 s[4:5], s[4:5], exec
	s_or_saveexec_b64 s[6:7], s[6:7]
	v_mov_b32_e32 v20, s10
	s_xor_b64 exec, exec, s[6:7]
	s_cbranch_execz .LBB55_266
.LBB55_2316:
	v_mov_b32_e32 v20, 0
	v_cmp_ne_u16_sdwa s[8:9], v21, v20 src0_sel:BYTE_0 src1_sel:DWORD
	s_andn2_b64 s[4:5], s[4:5], exec
	s_and_b64 s[8:9], s[8:9], exec
	s_or_b64 s[4:5], s[4:5], s[8:9]
	s_or_b64 exec, exec, s[6:7]
	s_and_saveexec_b64 s[6:7], s[4:5]
	s_cbranch_execnz .LBB55_267
	s_branch .LBB55_268
.LBB55_2317:
	s_movk_i32 s4, 0x80
	v_cmp_eq_u16_sdwa s[12:13], v21, s4 src0_sel:BYTE_0 src1_sel:DWORD
	s_mov_b64 s[4:5], -1
                                        ; implicit-def: $sgpr10
	s_and_saveexec_b64 s[8:9], s[12:13]
; %bb.2318:
	s_mov_b32 s10, 0x7f800001
	s_xor_b64 s[4:5], exec, -1
; %bb.2319:
	s_or_b64 exec, exec, s[8:9]
	s_and_b64 s[4:5], s[4:5], exec
	s_or_saveexec_b64 s[6:7], s[6:7]
	v_mov_b32_e32 v22, s10
	s_xor_b64 exec, exec, s[6:7]
	s_cbranch_execz .LBB55_270
.LBB55_2320:
	v_mov_b32_e32 v22, 0
	v_cmp_ne_u16_sdwa s[8:9], v21, v22 src0_sel:BYTE_0 src1_sel:DWORD
	s_andn2_b64 s[4:5], s[4:5], exec
	s_and_b64 s[8:9], s[8:9], exec
	s_or_b64 s[4:5], s[4:5], s[8:9]
	s_or_b64 exec, exec, s[6:7]
	s_and_saveexec_b64 s[6:7], s[4:5]
	s_cbranch_execnz .LBB55_271
	s_branch .LBB55_272
.LBB55_2321:
	s_movk_i32 s4, 0x80
	v_cmp_eq_u16_e32 vcc, s4, v21
	s_mov_b64 s[4:5], -1
                                        ; implicit-def: $sgpr10
	s_and_saveexec_b64 s[8:9], vcc
; %bb.2322:
	s_mov_b32 s10, 0x7f800001
	s_xor_b64 s[4:5], exec, -1
; %bb.2323:
	s_or_b64 exec, exec, s[8:9]
	s_and_b64 s[4:5], s[4:5], exec
                                        ; implicit-def: $vgpr21
	s_or_saveexec_b64 s[6:7], s[6:7]
	v_mov_b32_e32 v20, s10
	s_xor_b64 exec, exec, s[6:7]
	s_cbranch_execz .LBB55_274
.LBB55_2324:
	v_cmp_ne_u16_e32 vcc, 0, v21
	s_andn2_b64 s[4:5], s[4:5], exec
	s_and_b64 s[8:9], vcc, exec
	v_mov_b32_e32 v20, 0
	s_or_b64 s[4:5], s[4:5], s[8:9]
	s_or_b64 exec, exec, s[6:7]
	s_and_saveexec_b64 s[6:7], s[4:5]
	s_cbranch_execnz .LBB55_275
	s_branch .LBB55_276
.LBB55_2325:
	s_movk_i32 s4, 0x80
	v_cmp_eq_u16_e32 vcc, s4, v21
	s_mov_b64 s[4:5], -1
                                        ; implicit-def: $sgpr10
	s_and_saveexec_b64 s[8:9], vcc
; %bb.2326:
	s_mov_b32 s10, 0x7f800001
	s_xor_b64 s[4:5], exec, -1
; %bb.2327:
	s_or_b64 exec, exec, s[8:9]
	s_and_b64 s[4:5], s[4:5], exec
                                        ; implicit-def: $vgpr21
	s_or_saveexec_b64 s[6:7], s[6:7]
	v_mov_b32_e32 v22, s10
	s_xor_b64 exec, exec, s[6:7]
	s_cbranch_execz .LBB55_278
.LBB55_2328:
	v_cmp_ne_u16_e32 vcc, 0, v21
	s_andn2_b64 s[4:5], s[4:5], exec
	s_and_b64 s[8:9], vcc, exec
	v_mov_b32_e32 v22, 0
	s_or_b64 s[4:5], s[4:5], s[8:9]
	s_or_b64 exec, exec, s[6:7]
	s_and_saveexec_b64 s[6:7], s[4:5]
	s_cbranch_execnz .LBB55_279
	s_branch .LBB55_280
.LBB55_2329:
	s_movk_i32 s4, 0x80
	v_cmp_eq_u16_sdwa s[12:13], v14, s4 src0_sel:BYTE_3 src1_sel:DWORD
	s_mov_b64 s[4:5], -1
                                        ; implicit-def: $sgpr10
	s_and_saveexec_b64 s[8:9], s[12:13]
; %bb.2330:
	s_mov_b32 s10, 0x7f800001
	s_xor_b64 s[4:5], exec, -1
; %bb.2331:
	s_or_b64 exec, exec, s[8:9]
	s_and_b64 s[4:5], s[4:5], exec
	s_or_saveexec_b64 s[6:7], s[6:7]
	v_mov_b32_e32 v20, s10
	s_xor_b64 exec, exec, s[6:7]
	s_cbranch_execz .LBB55_282
.LBB55_2332:
	v_mov_b32_e32 v20, 0
	v_cmp_ne_u16_sdwa s[8:9], v14, v20 src0_sel:BYTE_3 src1_sel:DWORD
	s_andn2_b64 s[4:5], s[4:5], exec
	s_and_b64 s[8:9], s[8:9], exec
	s_or_b64 s[4:5], s[4:5], s[8:9]
	s_or_b64 exec, exec, s[6:7]
	s_and_saveexec_b64 s[6:7], s[4:5]
	s_cbranch_execnz .LBB55_283
	s_branch .LBB55_284
.LBB55_2333:
	s_movk_i32 s4, 0x80
	v_cmp_eq_u16_sdwa s[12:13], v10, s4 src0_sel:BYTE_3 src1_sel:DWORD
	s_mov_b64 s[4:5], -1
                                        ; implicit-def: $sgpr10
	s_and_saveexec_b64 s[8:9], s[12:13]
; %bb.2334:
	s_mov_b32 s10, 0x7f800001
	s_xor_b64 s[4:5], exec, -1
; %bb.2335:
	s_or_b64 exec, exec, s[8:9]
	s_and_b64 s[4:5], s[4:5], exec
	s_or_saveexec_b64 s[6:7], s[6:7]
	v_mov_b32_e32 v14, s10
	s_xor_b64 exec, exec, s[6:7]
	s_cbranch_execz .LBB55_286
.LBB55_2336:
	v_mov_b32_e32 v14, 0
	v_cmp_ne_u16_sdwa s[8:9], v10, v14 src0_sel:BYTE_3 src1_sel:DWORD
	s_andn2_b64 s[4:5], s[4:5], exec
	s_and_b64 s[8:9], s[8:9], exec
	s_or_b64 s[4:5], s[4:5], s[8:9]
	s_or_b64 exec, exec, s[6:7]
	s_and_saveexec_b64 s[6:7], s[4:5]
	s_cbranch_execnz .LBB55_287
	s_branch .LBB55_288
.LBB55_2337:
	s_movk_i32 s4, 0x80
	v_cmp_eq_u16_sdwa s[12:13], v15, s4 src0_sel:BYTE_0 src1_sel:DWORD
	s_mov_b64 s[4:5], -1
                                        ; implicit-def: $sgpr10
	s_and_saveexec_b64 s[8:9], s[12:13]
; %bb.2338:
	s_mov_b32 s10, 0x7f800001
	s_xor_b64 s[4:5], exec, -1
; %bb.2339:
	s_or_b64 exec, exec, s[8:9]
	s_and_b64 s[4:5], s[4:5], exec
	s_or_saveexec_b64 s[6:7], s[6:7]
	v_mov_b32_e32 v10, s10
	s_xor_b64 exec, exec, s[6:7]
	s_cbranch_execz .LBB55_290
.LBB55_2340:
	v_mov_b32_e32 v10, 0
	v_cmp_ne_u16_sdwa s[8:9], v15, v10 src0_sel:BYTE_0 src1_sel:DWORD
	s_andn2_b64 s[4:5], s[4:5], exec
	s_and_b64 s[8:9], s[8:9], exec
	s_or_b64 s[4:5], s[4:5], s[8:9]
	s_or_b64 exec, exec, s[6:7]
	s_and_saveexec_b64 s[6:7], s[4:5]
	s_cbranch_execnz .LBB55_291
	s_branch .LBB55_292
.LBB55_2341:
	s_movk_i32 s4, 0x80
	v_cmp_eq_u16_sdwa s[12:13], v11, s4 src0_sel:BYTE_0 src1_sel:DWORD
	s_mov_b64 s[4:5], -1
                                        ; implicit-def: $sgpr10
	s_and_saveexec_b64 s[8:9], s[12:13]
; %bb.2342:
	s_mov_b32 s10, 0x7f800001
	s_xor_b64 s[4:5], exec, -1
; %bb.2343:
	s_or_b64 exec, exec, s[8:9]
	s_and_b64 s[4:5], s[4:5], exec
	s_or_saveexec_b64 s[6:7], s[6:7]
	v_mov_b32_e32 v14, s10
	s_xor_b64 exec, exec, s[6:7]
	s_cbranch_execz .LBB55_294
.LBB55_2344:
	v_mov_b32_e32 v14, 0
	v_cmp_ne_u16_sdwa s[8:9], v11, v14 src0_sel:BYTE_0 src1_sel:DWORD
	s_andn2_b64 s[4:5], s[4:5], exec
	s_and_b64 s[8:9], s[8:9], exec
	s_or_b64 s[4:5], s[4:5], s[8:9]
	s_or_b64 exec, exec, s[6:7]
	s_and_saveexec_b64 s[6:7], s[4:5]
	s_cbranch_execnz .LBB55_295
	s_branch .LBB55_296
.LBB55_2345:
	s_movk_i32 s4, 0x80
	v_cmp_eq_u16_sdwa s[12:13], v14, s4 src0_sel:BYTE_0 src1_sel:DWORD
	s_mov_b64 s[4:5], -1
                                        ; implicit-def: $sgpr10
	s_and_saveexec_b64 s[8:9], s[12:13]
; %bb.2346:
	s_mov_b32 s10, 0x7f800001
	s_xor_b64 s[4:5], exec, -1
; %bb.2347:
	s_or_b64 exec, exec, s[8:9]
	s_and_b64 s[4:5], s[4:5], exec
	s_or_saveexec_b64 s[6:7], s[6:7]
	v_mov_b32_e32 v10, s10
	s_xor_b64 exec, exec, s[6:7]
	s_cbranch_execz .LBB55_298
.LBB55_2348:
	v_mov_b32_e32 v10, 0
	v_cmp_ne_u16_sdwa s[8:9], v14, v10 src0_sel:BYTE_0 src1_sel:DWORD
	s_andn2_b64 s[4:5], s[4:5], exec
	s_and_b64 s[8:9], s[8:9], exec
	s_or_b64 s[4:5], s[4:5], s[8:9]
	s_or_b64 exec, exec, s[6:7]
	s_and_saveexec_b64 s[6:7], s[4:5]
	s_cbranch_execnz .LBB55_299
	s_branch .LBB55_300
.LBB55_2349:
	s_movk_i32 s4, 0x80
	v_cmp_eq_u16_sdwa s[12:13], v14, s4 src0_sel:BYTE_0 src1_sel:DWORD
	s_mov_b64 s[4:5], -1
                                        ; implicit-def: $sgpr10
	s_and_saveexec_b64 s[8:9], s[12:13]
; %bb.2350:
	s_mov_b32 s10, 0x7f800001
	s_xor_b64 s[4:5], exec, -1
; %bb.2351:
	s_or_b64 exec, exec, s[8:9]
	s_and_b64 s[4:5], s[4:5], exec
	s_or_saveexec_b64 s[6:7], s[6:7]
	v_mov_b32_e32 v20, s10
	s_xor_b64 exec, exec, s[6:7]
	s_cbranch_execz .LBB55_302
.LBB55_2352:
	v_mov_b32_e32 v20, 0
	v_cmp_ne_u16_sdwa s[8:9], v14, v20 src0_sel:BYTE_0 src1_sel:DWORD
	s_andn2_b64 s[4:5], s[4:5], exec
	s_and_b64 s[8:9], s[8:9], exec
	s_or_b64 s[4:5], s[4:5], s[8:9]
	s_or_b64 exec, exec, s[6:7]
	s_and_saveexec_b64 s[6:7], s[4:5]
	s_cbranch_execnz .LBB55_303
	s_branch .LBB55_304
.LBB55_2353:
	s_movk_i32 s4, 0x80
	v_cmp_eq_u16_e32 vcc, s4, v14
	s_mov_b64 s[4:5], -1
                                        ; implicit-def: $sgpr10
	s_and_saveexec_b64 s[8:9], vcc
; %bb.2354:
	s_mov_b32 s10, 0x7f800001
	s_xor_b64 s[4:5], exec, -1
; %bb.2355:
	s_or_b64 exec, exec, s[8:9]
	s_and_b64 s[4:5], s[4:5], exec
                                        ; implicit-def: $vgpr14
	s_or_saveexec_b64 s[6:7], s[6:7]
	v_mov_b32_e32 v10, s10
	s_xor_b64 exec, exec, s[6:7]
	s_cbranch_execz .LBB55_306
.LBB55_2356:
	v_cmp_ne_u16_e32 vcc, 0, v14
	s_andn2_b64 s[4:5], s[4:5], exec
	s_and_b64 s[8:9], vcc, exec
	v_mov_b32_e32 v10, 0
	s_or_b64 s[4:5], s[4:5], s[8:9]
	s_or_b64 exec, exec, s[6:7]
	s_and_saveexec_b64 s[6:7], s[4:5]
	s_cbranch_execnz .LBB55_307
	s_branch .LBB55_308
.LBB55_2357:
	s_movk_i32 s4, 0x80
	v_cmp_eq_u16_e32 vcc, s4, v14
	s_mov_b64 s[4:5], -1
                                        ; implicit-def: $sgpr10
	s_and_saveexec_b64 s[8:9], vcc
; %bb.2358:
	s_mov_b32 s10, 0x7f800001
	s_xor_b64 s[4:5], exec, -1
; %bb.2359:
	s_or_b64 exec, exec, s[8:9]
	s_and_b64 s[4:5], s[4:5], exec
                                        ; implicit-def: $vgpr14
	s_or_saveexec_b64 s[6:7], s[6:7]
	v_mov_b32_e32 v20, s10
	s_xor_b64 exec, exec, s[6:7]
	s_cbranch_execz .LBB55_310
.LBB55_2360:
	v_cmp_ne_u16_e32 vcc, 0, v14
	s_andn2_b64 s[4:5], s[4:5], exec
	s_and_b64 s[8:9], vcc, exec
	v_mov_b32_e32 v20, 0
	s_or_b64 s[4:5], s[4:5], s[8:9]
	s_or_b64 exec, exec, s[6:7]
	s_and_saveexec_b64 s[6:7], s[4:5]
	s_cbranch_execnz .LBB55_311
	s_branch .LBB55_312
.LBB55_2361:
	s_movk_i32 s4, 0x80
	v_cmp_eq_u16_sdwa s[12:13], v15, s4 src0_sel:BYTE_3 src1_sel:DWORD
	s_mov_b64 s[4:5], -1
                                        ; implicit-def: $sgpr10
	s_and_saveexec_b64 s[8:9], s[12:13]
; %bb.2362:
	s_mov_b32 s10, 0x7f800001
	s_xor_b64 s[4:5], exec, -1
; %bb.2363:
	s_or_b64 exec, exec, s[8:9]
	s_and_b64 s[4:5], s[4:5], exec
	s_or_saveexec_b64 s[6:7], s[6:7]
	v_mov_b32_e32 v10, s10
	s_xor_b64 exec, exec, s[6:7]
	s_cbranch_execz .LBB55_314
.LBB55_2364:
	v_mov_b32_e32 v10, 0
	v_cmp_ne_u16_sdwa s[8:9], v15, v10 src0_sel:BYTE_3 src1_sel:DWORD
	s_andn2_b64 s[4:5], s[4:5], exec
	s_and_b64 s[8:9], s[8:9], exec
	s_or_b64 s[4:5], s[4:5], s[8:9]
	s_or_b64 exec, exec, s[6:7]
	s_and_saveexec_b64 s[6:7], s[4:5]
	s_cbranch_execnz .LBB55_315
	s_branch .LBB55_316
.LBB55_2365:
	s_movk_i32 s4, 0x80
	v_cmp_eq_u16_sdwa s[12:13], v11, s4 src0_sel:BYTE_3 src1_sel:DWORD
	s_mov_b64 s[4:5], -1
                                        ; implicit-def: $sgpr10
	s_and_saveexec_b64 s[8:9], s[12:13]
; %bb.2366:
	s_mov_b32 s10, 0x7f800001
	s_xor_b64 s[4:5], exec, -1
; %bb.2367:
	s_or_b64 exec, exec, s[8:9]
	s_and_b64 s[4:5], s[4:5], exec
	s_or_saveexec_b64 s[6:7], s[6:7]
	v_mov_b32_e32 v14, s10
	s_xor_b64 exec, exec, s[6:7]
	s_cbranch_execz .LBB55_318
.LBB55_2368:
	v_mov_b32_e32 v14, 0
	v_cmp_ne_u16_sdwa s[8:9], v11, v14 src0_sel:BYTE_3 src1_sel:DWORD
	s_andn2_b64 s[4:5], s[4:5], exec
	s_and_b64 s[8:9], s[8:9], exec
	s_or_b64 s[4:5], s[4:5], s[8:9]
	s_or_b64 exec, exec, s[6:7]
	s_and_saveexec_b64 s[6:7], s[4:5]
	s_cbranch_execnz .LBB55_319
	s_branch .LBB55_320
.LBB55_2369:
	s_movk_i32 s4, 0x80
	v_cmp_eq_u16_sdwa s[12:13], v16, s4 src0_sel:BYTE_0 src1_sel:DWORD
	s_mov_b64 s[4:5], -1
                                        ; implicit-def: $sgpr10
	s_and_saveexec_b64 s[8:9], s[12:13]
; %bb.2370:
	s_mov_b32 s10, 0x7f800001
	s_xor_b64 s[4:5], exec, -1
; %bb.2371:
	s_or_b64 exec, exec, s[8:9]
	s_and_b64 s[4:5], s[4:5], exec
	s_or_saveexec_b64 s[6:7], s[6:7]
	v_mov_b32_e32 v10, s10
	s_xor_b64 exec, exec, s[6:7]
	s_cbranch_execz .LBB55_322
.LBB55_2372:
	v_mov_b32_e32 v10, 0
	v_cmp_ne_u16_sdwa s[8:9], v16, v10 src0_sel:BYTE_0 src1_sel:DWORD
	s_andn2_b64 s[4:5], s[4:5], exec
	s_and_b64 s[8:9], s[8:9], exec
	s_or_b64 s[4:5], s[4:5], s[8:9]
	s_or_b64 exec, exec, s[6:7]
	s_and_saveexec_b64 s[6:7], s[4:5]
	s_cbranch_execnz .LBB55_323
	s_branch .LBB55_324
.LBB55_2373:
	s_movk_i32 s4, 0x80
	v_cmp_eq_u16_sdwa s[12:13], v12, s4 src0_sel:BYTE_0 src1_sel:DWORD
	s_mov_b64 s[4:5], -1
                                        ; implicit-def: $sgpr10
	s_and_saveexec_b64 s[8:9], s[12:13]
; %bb.2374:
	s_mov_b32 s10, 0x7f800001
	s_xor_b64 s[4:5], exec, -1
; %bb.2375:
	s_or_b64 exec, exec, s[8:9]
	s_and_b64 s[4:5], s[4:5], exec
	s_or_saveexec_b64 s[6:7], s[6:7]
	v_mov_b32_e32 v11, s10
	s_xor_b64 exec, exec, s[6:7]
	s_cbranch_execz .LBB55_326
.LBB55_2376:
	v_mov_b32_e32 v11, 0
	v_cmp_ne_u16_sdwa s[8:9], v12, v11 src0_sel:BYTE_0 src1_sel:DWORD
	s_andn2_b64 s[4:5], s[4:5], exec
	s_and_b64 s[8:9], s[8:9], exec
	s_or_b64 s[4:5], s[4:5], s[8:9]
	s_or_b64 exec, exec, s[6:7]
	s_and_saveexec_b64 s[6:7], s[4:5]
	s_cbranch_execnz .LBB55_327
	s_branch .LBB55_328
.LBB55_2377:
	s_movk_i32 s4, 0x80
	v_cmp_eq_u16_sdwa s[12:13], v11, s4 src0_sel:BYTE_0 src1_sel:DWORD
	s_mov_b64 s[4:5], -1
                                        ; implicit-def: $sgpr10
	s_and_saveexec_b64 s[8:9], s[12:13]
; %bb.2378:
	s_mov_b32 s10, 0x7f800001
	s_xor_b64 s[4:5], exec, -1
; %bb.2379:
	s_or_b64 exec, exec, s[8:9]
	s_and_b64 s[4:5], s[4:5], exec
	s_or_saveexec_b64 s[6:7], s[6:7]
	v_mov_b32_e32 v10, s10
	s_xor_b64 exec, exec, s[6:7]
	s_cbranch_execz .LBB55_330
.LBB55_2380:
	v_mov_b32_e32 v10, 0
	v_cmp_ne_u16_sdwa s[8:9], v11, v10 src0_sel:BYTE_0 src1_sel:DWORD
	s_andn2_b64 s[4:5], s[4:5], exec
	s_and_b64 s[8:9], s[8:9], exec
	s_or_b64 s[4:5], s[4:5], s[8:9]
	s_or_b64 exec, exec, s[6:7]
	s_and_saveexec_b64 s[6:7], s[4:5]
	s_cbranch_execnz .LBB55_331
	s_branch .LBB55_332
.LBB55_2381:
	s_movk_i32 s4, 0x80
	v_cmp_eq_u16_sdwa s[12:13], v11, s4 src0_sel:BYTE_0 src1_sel:DWORD
	s_mov_b64 s[4:5], -1
                                        ; implicit-def: $sgpr10
	s_and_saveexec_b64 s[8:9], s[12:13]
; %bb.2382:
	s_mov_b32 s10, 0x7f800001
	s_xor_b64 s[4:5], exec, -1
; %bb.2383:
	s_or_b64 exec, exec, s[8:9]
	s_and_b64 s[4:5], s[4:5], exec
	s_or_saveexec_b64 s[6:7], s[6:7]
	v_mov_b32_e32 v14, s10
	s_xor_b64 exec, exec, s[6:7]
	s_cbranch_execz .LBB55_334
.LBB55_2384:
	v_mov_b32_e32 v14, 0
	v_cmp_ne_u16_sdwa s[8:9], v11, v14 src0_sel:BYTE_0 src1_sel:DWORD
	s_andn2_b64 s[4:5], s[4:5], exec
	s_and_b64 s[8:9], s[8:9], exec
	s_or_b64 s[4:5], s[4:5], s[8:9]
	s_or_b64 exec, exec, s[6:7]
	s_and_saveexec_b64 s[6:7], s[4:5]
	s_cbranch_execnz .LBB55_335
	s_branch .LBB55_336
.LBB55_2385:
	s_movk_i32 s4, 0x80
	v_cmp_eq_u16_e32 vcc, s4, v11
	s_mov_b64 s[4:5], -1
                                        ; implicit-def: $sgpr10
	s_and_saveexec_b64 s[8:9], vcc
; %bb.2386:
	s_mov_b32 s10, 0x7f800001
	s_xor_b64 s[4:5], exec, -1
; %bb.2387:
	s_or_b64 exec, exec, s[8:9]
	s_and_b64 s[4:5], s[4:5], exec
                                        ; implicit-def: $vgpr11
	s_or_saveexec_b64 s[6:7], s[6:7]
	v_mov_b32_e32 v10, s10
	s_xor_b64 exec, exec, s[6:7]
	s_cbranch_execz .LBB55_338
.LBB55_2388:
	v_cmp_ne_u16_e32 vcc, 0, v11
	s_andn2_b64 s[4:5], s[4:5], exec
	s_and_b64 s[8:9], vcc, exec
	v_mov_b32_e32 v10, 0
	s_or_b64 s[4:5], s[4:5], s[8:9]
	s_or_b64 exec, exec, s[6:7]
	s_and_saveexec_b64 s[6:7], s[4:5]
	s_cbranch_execnz .LBB55_339
	s_branch .LBB55_340
.LBB55_2389:
	s_movk_i32 s4, 0x80
	v_cmp_eq_u16_e32 vcc, s4, v11
	s_mov_b64 s[4:5], -1
                                        ; implicit-def: $sgpr10
	s_and_saveexec_b64 s[8:9], vcc
; %bb.2390:
	s_mov_b32 s10, 0x7f800001
	s_xor_b64 s[4:5], exec, -1
; %bb.2391:
	s_or_b64 exec, exec, s[8:9]
	s_and_b64 s[4:5], s[4:5], exec
                                        ; implicit-def: $vgpr11
	s_or_saveexec_b64 s[6:7], s[6:7]
	v_mov_b32_e32 v14, s10
	s_xor_b64 exec, exec, s[6:7]
	s_cbranch_execz .LBB55_342
.LBB55_2392:
	v_cmp_ne_u16_e32 vcc, 0, v11
	s_andn2_b64 s[4:5], s[4:5], exec
	s_and_b64 s[8:9], vcc, exec
	v_mov_b32_e32 v14, 0
	s_or_b64 s[4:5], s[4:5], s[8:9]
	s_or_b64 exec, exec, s[6:7]
	s_and_saveexec_b64 s[6:7], s[4:5]
	s_cbranch_execnz .LBB55_343
	s_branch .LBB55_344
.LBB55_2393:
	s_movk_i32 s4, 0x80
	v_cmp_eq_u16_sdwa s[12:13], v16, s4 src0_sel:BYTE_3 src1_sel:DWORD
	s_mov_b64 s[4:5], -1
                                        ; implicit-def: $sgpr10
	s_and_saveexec_b64 s[8:9], s[12:13]
; %bb.2394:
	s_mov_b32 s10, 0x7f800001
	s_xor_b64 s[4:5], exec, -1
; %bb.2395:
	s_or_b64 exec, exec, s[8:9]
	s_and_b64 s[4:5], s[4:5], exec
	s_or_saveexec_b64 s[6:7], s[6:7]
	v_mov_b32_e32 v10, s10
	s_xor_b64 exec, exec, s[6:7]
	s_cbranch_execz .LBB55_346
.LBB55_2396:
	v_mov_b32_e32 v10, 0
	v_cmp_ne_u16_sdwa s[8:9], v16, v10 src0_sel:BYTE_3 src1_sel:DWORD
	s_andn2_b64 s[4:5], s[4:5], exec
	s_and_b64 s[8:9], s[8:9], exec
	s_or_b64 s[4:5], s[4:5], s[8:9]
	s_or_b64 exec, exec, s[6:7]
	s_and_saveexec_b64 s[6:7], s[4:5]
	s_cbranch_execnz .LBB55_347
	s_branch .LBB55_348
.LBB55_2397:
	s_movk_i32 s4, 0x80
	v_cmp_eq_u16_sdwa s[12:13], v12, s4 src0_sel:BYTE_3 src1_sel:DWORD
	s_mov_b64 s[4:5], -1
                                        ; implicit-def: $sgpr10
	s_and_saveexec_b64 s[8:9], s[12:13]
; %bb.2398:
	s_mov_b32 s10, 0x7f800001
	s_xor_b64 s[4:5], exec, -1
; %bb.2399:
	s_or_b64 exec, exec, s[8:9]
	s_and_b64 s[4:5], s[4:5], exec
	s_or_saveexec_b64 s[6:7], s[6:7]
	v_mov_b32_e32 v11, s10
	s_xor_b64 exec, exec, s[6:7]
	s_cbranch_execz .LBB55_350
.LBB55_2400:
	v_mov_b32_e32 v11, 0
	v_cmp_ne_u16_sdwa s[8:9], v12, v11 src0_sel:BYTE_3 src1_sel:DWORD
	s_andn2_b64 s[4:5], s[4:5], exec
	s_and_b64 s[8:9], s[8:9], exec
	s_or_b64 s[4:5], s[4:5], s[8:9]
	s_or_b64 exec, exec, s[6:7]
	s_and_saveexec_b64 s[6:7], s[4:5]
	s_cbranch_execnz .LBB55_351
	s_branch .LBB55_352
.LBB55_2401:
	s_movk_i32 s4, 0x80
	v_cmp_eq_u16_sdwa s[12:13], v17, s4 src0_sel:BYTE_0 src1_sel:DWORD
	s_mov_b64 s[4:5], -1
                                        ; implicit-def: $sgpr10
	s_and_saveexec_b64 s[8:9], s[12:13]
; %bb.2402:
	s_mov_b32 s10, 0x7f800001
	s_xor_b64 s[4:5], exec, -1
; %bb.2403:
	s_or_b64 exec, exec, s[8:9]
	s_and_b64 s[4:5], s[4:5], exec
	s_or_saveexec_b64 s[6:7], s[6:7]
	v_mov_b32_e32 v10, s10
	s_xor_b64 exec, exec, s[6:7]
	s_cbranch_execz .LBB55_354
.LBB55_2404:
	v_mov_b32_e32 v10, 0
	v_cmp_ne_u16_sdwa s[8:9], v17, v10 src0_sel:BYTE_0 src1_sel:DWORD
	s_andn2_b64 s[4:5], s[4:5], exec
	s_and_b64 s[8:9], s[8:9], exec
	s_or_b64 s[4:5], s[4:5], s[8:9]
	s_or_b64 exec, exec, s[6:7]
	s_and_saveexec_b64 s[6:7], s[4:5]
	s_cbranch_execnz .LBB55_355
	s_branch .LBB55_356
.LBB55_2405:
	s_movk_i32 s4, 0x80
	v_cmp_eq_u16_sdwa s[12:13], v13, s4 src0_sel:BYTE_0 src1_sel:DWORD
	s_mov_b64 s[4:5], -1
                                        ; implicit-def: $sgpr10
	s_and_saveexec_b64 s[8:9], s[12:13]
; %bb.2406:
	s_mov_b32 s10, 0x7f800001
	s_xor_b64 s[4:5], exec, -1
; %bb.2407:
	s_or_b64 exec, exec, s[8:9]
	s_and_b64 s[4:5], s[4:5], exec
	s_or_saveexec_b64 s[6:7], s[6:7]
	v_mov_b32_e32 v11, s10
	s_xor_b64 exec, exec, s[6:7]
	s_cbranch_execz .LBB55_358
.LBB55_2408:
	v_mov_b32_e32 v11, 0
	v_cmp_ne_u16_sdwa s[8:9], v13, v11 src0_sel:BYTE_0 src1_sel:DWORD
	s_andn2_b64 s[4:5], s[4:5], exec
	s_and_b64 s[8:9], s[8:9], exec
	s_or_b64 s[4:5], s[4:5], s[8:9]
	s_or_b64 exec, exec, s[6:7]
	s_and_saveexec_b64 s[6:7], s[4:5]
	s_cbranch_execnz .LBB55_359
	s_branch .LBB55_360
.LBB55_2409:
	s_movk_i32 s4, 0x80
	v_cmp_eq_u16_sdwa s[12:13], v11, s4 src0_sel:BYTE_0 src1_sel:DWORD
	s_mov_b64 s[4:5], -1
                                        ; implicit-def: $sgpr10
	s_and_saveexec_b64 s[8:9], s[12:13]
; %bb.2410:
	s_mov_b32 s10, 0x7f800001
	s_xor_b64 s[4:5], exec, -1
; %bb.2411:
	s_or_b64 exec, exec, s[8:9]
	s_and_b64 s[4:5], s[4:5], exec
	s_or_saveexec_b64 s[6:7], s[6:7]
	v_mov_b32_e32 v10, s10
	s_xor_b64 exec, exec, s[6:7]
	s_cbranch_execz .LBB55_362
.LBB55_2412:
	v_mov_b32_e32 v10, 0
	v_cmp_ne_u16_sdwa s[8:9], v11, v10 src0_sel:BYTE_0 src1_sel:DWORD
	s_andn2_b64 s[4:5], s[4:5], exec
	s_and_b64 s[8:9], s[8:9], exec
	s_or_b64 s[4:5], s[4:5], s[8:9]
	s_or_b64 exec, exec, s[6:7]
	s_and_saveexec_b64 s[6:7], s[4:5]
	s_cbranch_execnz .LBB55_363
	s_branch .LBB55_364
.LBB55_2413:
	s_movk_i32 s4, 0x80
	v_cmp_eq_u16_sdwa s[12:13], v11, s4 src0_sel:BYTE_0 src1_sel:DWORD
	s_mov_b64 s[4:5], -1
                                        ; implicit-def: $sgpr10
	s_and_saveexec_b64 s[8:9], s[12:13]
; %bb.2414:
	s_mov_b32 s10, 0x7f800001
	s_xor_b64 s[4:5], exec, -1
; %bb.2415:
	s_or_b64 exec, exec, s[8:9]
	s_and_b64 s[4:5], s[4:5], exec
	s_or_saveexec_b64 s[6:7], s[6:7]
	v_mov_b32_e32 v12, s10
	s_xor_b64 exec, exec, s[6:7]
	s_cbranch_execz .LBB55_366
.LBB55_2416:
	v_mov_b32_e32 v12, 0
	v_cmp_ne_u16_sdwa s[8:9], v11, v12 src0_sel:BYTE_0 src1_sel:DWORD
	s_andn2_b64 s[4:5], s[4:5], exec
	s_and_b64 s[8:9], s[8:9], exec
	s_or_b64 s[4:5], s[4:5], s[8:9]
	s_or_b64 exec, exec, s[6:7]
	s_and_saveexec_b64 s[6:7], s[4:5]
	s_cbranch_execnz .LBB55_367
	s_branch .LBB55_368
.LBB55_2417:
	s_movk_i32 s4, 0x80
	v_cmp_eq_u16_e32 vcc, s4, v11
	s_mov_b64 s[4:5], -1
                                        ; implicit-def: $sgpr10
	s_and_saveexec_b64 s[8:9], vcc
; %bb.2418:
	s_mov_b32 s10, 0x7f800001
	s_xor_b64 s[4:5], exec, -1
; %bb.2419:
	s_or_b64 exec, exec, s[8:9]
	s_and_b64 s[4:5], s[4:5], exec
                                        ; implicit-def: $vgpr11
	s_or_saveexec_b64 s[6:7], s[6:7]
	v_mov_b32_e32 v10, s10
	s_xor_b64 exec, exec, s[6:7]
	s_cbranch_execz .LBB55_370
.LBB55_2420:
	v_cmp_ne_u16_e32 vcc, 0, v11
	s_andn2_b64 s[4:5], s[4:5], exec
	s_and_b64 s[8:9], vcc, exec
	v_mov_b32_e32 v10, 0
	s_or_b64 s[4:5], s[4:5], s[8:9]
	s_or_b64 exec, exec, s[6:7]
	s_and_saveexec_b64 s[6:7], s[4:5]
	s_cbranch_execnz .LBB55_371
	s_branch .LBB55_372
.LBB55_2421:
	s_movk_i32 s4, 0x80
	v_cmp_eq_u16_e32 vcc, s4, v11
	s_mov_b64 s[4:5], -1
                                        ; implicit-def: $sgpr10
	s_and_saveexec_b64 s[8:9], vcc
; %bb.2422:
	s_mov_b32 s10, 0x7f800001
	s_xor_b64 s[4:5], exec, -1
; %bb.2423:
	s_or_b64 exec, exec, s[8:9]
	s_and_b64 s[4:5], s[4:5], exec
                                        ; implicit-def: $vgpr11
	s_or_saveexec_b64 s[6:7], s[6:7]
	v_mov_b32_e32 v12, s10
	s_xor_b64 exec, exec, s[6:7]
	s_cbranch_execz .LBB55_374
.LBB55_2424:
	v_cmp_ne_u16_e32 vcc, 0, v11
	s_andn2_b64 s[4:5], s[4:5], exec
	s_and_b64 s[8:9], vcc, exec
	v_mov_b32_e32 v12, 0
	s_or_b64 s[4:5], s[4:5], s[8:9]
	s_or_b64 exec, exec, s[6:7]
	s_and_saveexec_b64 s[6:7], s[4:5]
	s_cbranch_execnz .LBB55_375
	s_branch .LBB55_376
.LBB55_2425:
	s_movk_i32 s4, 0x80
	v_cmp_eq_u16_sdwa s[12:13], v17, s4 src0_sel:BYTE_3 src1_sel:DWORD
	s_mov_b64 s[4:5], -1
                                        ; implicit-def: $sgpr10
	s_and_saveexec_b64 s[8:9], s[12:13]
; %bb.2426:
	s_mov_b32 s10, 0x7f800001
	s_xor_b64 s[4:5], exec, -1
; %bb.2427:
	s_or_b64 exec, exec, s[8:9]
	s_and_b64 s[4:5], s[4:5], exec
	s_or_saveexec_b64 s[6:7], s[6:7]
	v_mov_b32_e32 v10, s10
	s_xor_b64 exec, exec, s[6:7]
	s_cbranch_execz .LBB55_378
.LBB55_2428:
	v_mov_b32_e32 v10, 0
	v_cmp_ne_u16_sdwa s[8:9], v17, v10 src0_sel:BYTE_3 src1_sel:DWORD
	s_andn2_b64 s[4:5], s[4:5], exec
	s_and_b64 s[8:9], s[8:9], exec
	s_or_b64 s[4:5], s[4:5], s[8:9]
	s_or_b64 exec, exec, s[6:7]
	s_and_saveexec_b64 s[6:7], s[4:5]
	s_cbranch_execnz .LBB55_379
	s_branch .LBB55_380
.LBB55_2429:
	s_movk_i32 s4, 0x80
	v_cmp_eq_u16_sdwa s[12:13], v13, s4 src0_sel:BYTE_3 src1_sel:DWORD
	s_mov_b64 s[4:5], -1
                                        ; implicit-def: $sgpr10
	s_and_saveexec_b64 s[8:9], s[12:13]
; %bb.2430:
	s_mov_b32 s10, 0x7f800001
	s_xor_b64 s[4:5], exec, -1
; %bb.2431:
	s_or_b64 exec, exec, s[8:9]
	s_and_b64 s[4:5], s[4:5], exec
	s_or_saveexec_b64 s[6:7], s[6:7]
	v_mov_b32_e32 v11, s10
	s_xor_b64 exec, exec, s[6:7]
	s_cbranch_execz .LBB55_382
.LBB55_2432:
	v_mov_b32_e32 v11, 0
	v_cmp_ne_u16_sdwa s[8:9], v13, v11 src0_sel:BYTE_3 src1_sel:DWORD
	s_andn2_b64 s[4:5], s[4:5], exec
	s_and_b64 s[8:9], s[8:9], exec
	s_or_b64 s[4:5], s[4:5], s[8:9]
	s_or_b64 exec, exec, s[6:7]
	s_and_saveexec_b64 s[6:7], s[4:5]
	s_cbranch_execnz .LBB55_383
	s_branch .LBB55_384
.LBB55_2433:
	s_movk_i32 s4, 0x80
	v_cmp_eq_u16_sdwa s[12:13], v6, s4 src0_sel:BYTE_0 src1_sel:DWORD
	s_mov_b64 s[4:5], -1
                                        ; implicit-def: $sgpr10
	s_and_saveexec_b64 s[8:9], s[12:13]
; %bb.2434:
	s_mov_b32 s10, 0x7f800001
	s_xor_b64 s[4:5], exec, -1
; %bb.2435:
	s_or_b64 exec, exec, s[8:9]
	s_and_b64 s[4:5], s[4:5], exec
	s_or_saveexec_b64 s[6:7], s[6:7]
	v_mov_b32_e32 v10, s10
	s_xor_b64 exec, exec, s[6:7]
	s_cbranch_execz .LBB55_386
.LBB55_2436:
	v_mov_b32_e32 v10, 0
	v_cmp_ne_u16_sdwa s[8:9], v6, v10 src0_sel:BYTE_0 src1_sel:DWORD
	s_andn2_b64 s[4:5], s[4:5], exec
	s_and_b64 s[8:9], s[8:9], exec
	s_or_b64 s[4:5], s[4:5], s[8:9]
	s_or_b64 exec, exec, s[6:7]
	s_and_saveexec_b64 s[6:7], s[4:5]
	s_cbranch_execnz .LBB55_387
	s_branch .LBB55_388
.LBB55_2437:
	s_movk_i32 s4, 0x80
	v_cmp_eq_u16_sdwa s[12:13], v2, s4 src0_sel:BYTE_0 src1_sel:DWORD
	s_mov_b64 s[4:5], -1
                                        ; implicit-def: $sgpr10
	s_and_saveexec_b64 s[8:9], s[12:13]
; %bb.2438:
	s_mov_b32 s10, 0x7f800001
	s_xor_b64 s[4:5], exec, -1
; %bb.2439:
	s_or_b64 exec, exec, s[8:9]
	s_and_b64 s[4:5], s[4:5], exec
	s_or_saveexec_b64 s[6:7], s[6:7]
	v_mov_b32_e32 v11, s10
	s_xor_b64 exec, exec, s[6:7]
	s_cbranch_execz .LBB55_390
.LBB55_2440:
	v_mov_b32_e32 v11, 0
	v_cmp_ne_u16_sdwa s[8:9], v2, v11 src0_sel:BYTE_0 src1_sel:DWORD
	s_andn2_b64 s[4:5], s[4:5], exec
	s_and_b64 s[8:9], s[8:9], exec
	s_or_b64 s[4:5], s[4:5], s[8:9]
	s_or_b64 exec, exec, s[6:7]
	s_and_saveexec_b64 s[6:7], s[4:5]
	s_cbranch_execnz .LBB55_391
	s_branch .LBB55_392
.LBB55_2441:
	s_movk_i32 s4, 0x80
	v_cmp_eq_u16_sdwa s[12:13], v11, s4 src0_sel:BYTE_0 src1_sel:DWORD
	s_mov_b64 s[4:5], -1
                                        ; implicit-def: $sgpr10
	s_and_saveexec_b64 s[8:9], s[12:13]
; %bb.2442:
	s_mov_b32 s10, 0x7f800001
	s_xor_b64 s[4:5], exec, -1
; %bb.2443:
	s_or_b64 exec, exec, s[8:9]
	s_and_b64 s[4:5], s[4:5], exec
	s_or_saveexec_b64 s[6:7], s[6:7]
	v_mov_b32_e32 v10, s10
	s_xor_b64 exec, exec, s[6:7]
	s_cbranch_execz .LBB55_394
.LBB55_2444:
	v_mov_b32_e32 v10, 0
	v_cmp_ne_u16_sdwa s[8:9], v11, v10 src0_sel:BYTE_0 src1_sel:DWORD
	s_andn2_b64 s[4:5], s[4:5], exec
	s_and_b64 s[8:9], s[8:9], exec
	s_or_b64 s[4:5], s[4:5], s[8:9]
	s_or_b64 exec, exec, s[6:7]
	s_and_saveexec_b64 s[6:7], s[4:5]
	s_cbranch_execnz .LBB55_395
	s_branch .LBB55_396
.LBB55_2445:
	s_movk_i32 s4, 0x80
	v_cmp_eq_u16_sdwa s[12:13], v11, s4 src0_sel:BYTE_0 src1_sel:DWORD
	s_mov_b64 s[4:5], -1
                                        ; implicit-def: $sgpr10
	s_and_saveexec_b64 s[8:9], s[12:13]
; %bb.2446:
	s_mov_b32 s10, 0x7f800001
	s_xor_b64 s[4:5], exec, -1
; %bb.2447:
	s_or_b64 exec, exec, s[8:9]
	s_and_b64 s[4:5], s[4:5], exec
	s_or_saveexec_b64 s[6:7], s[6:7]
	v_mov_b32_e32 v12, s10
	s_xor_b64 exec, exec, s[6:7]
	s_cbranch_execz .LBB55_398
.LBB55_2448:
	v_mov_b32_e32 v12, 0
	v_cmp_ne_u16_sdwa s[8:9], v11, v12 src0_sel:BYTE_0 src1_sel:DWORD
	s_andn2_b64 s[4:5], s[4:5], exec
	s_and_b64 s[8:9], s[8:9], exec
	s_or_b64 s[4:5], s[4:5], s[8:9]
	s_or_b64 exec, exec, s[6:7]
	s_and_saveexec_b64 s[6:7], s[4:5]
	s_cbranch_execnz .LBB55_399
	s_branch .LBB55_400
.LBB55_2449:
	s_movk_i32 s4, 0x80
	v_cmp_eq_u16_e32 vcc, s4, v11
	s_mov_b64 s[4:5], -1
                                        ; implicit-def: $sgpr10
	s_and_saveexec_b64 s[8:9], vcc
; %bb.2450:
	s_mov_b32 s10, 0x7f800001
	s_xor_b64 s[4:5], exec, -1
; %bb.2451:
	s_or_b64 exec, exec, s[8:9]
	s_and_b64 s[4:5], s[4:5], exec
                                        ; implicit-def: $vgpr11
	s_or_saveexec_b64 s[6:7], s[6:7]
	v_mov_b32_e32 v10, s10
	s_xor_b64 exec, exec, s[6:7]
	s_cbranch_execz .LBB55_402
.LBB55_2452:
	v_cmp_ne_u16_e32 vcc, 0, v11
	s_andn2_b64 s[4:5], s[4:5], exec
	s_and_b64 s[8:9], vcc, exec
	v_mov_b32_e32 v10, 0
	s_or_b64 s[4:5], s[4:5], s[8:9]
	s_or_b64 exec, exec, s[6:7]
	s_and_saveexec_b64 s[6:7], s[4:5]
	s_cbranch_execnz .LBB55_403
	s_branch .LBB55_404
.LBB55_2453:
	s_movk_i32 s4, 0x80
	v_cmp_eq_u16_e32 vcc, s4, v11
	s_mov_b64 s[4:5], -1
                                        ; implicit-def: $sgpr10
	s_and_saveexec_b64 s[8:9], vcc
; %bb.2454:
	s_mov_b32 s10, 0x7f800001
	s_xor_b64 s[4:5], exec, -1
; %bb.2455:
	s_or_b64 exec, exec, s[8:9]
	s_and_b64 s[4:5], s[4:5], exec
                                        ; implicit-def: $vgpr11
	s_or_saveexec_b64 s[6:7], s[6:7]
	v_mov_b32_e32 v12, s10
	s_xor_b64 exec, exec, s[6:7]
	s_cbranch_execz .LBB55_406
.LBB55_2456:
	v_cmp_ne_u16_e32 vcc, 0, v11
	s_andn2_b64 s[4:5], s[4:5], exec
	s_and_b64 s[8:9], vcc, exec
	v_mov_b32_e32 v12, 0
	s_or_b64 s[4:5], s[4:5], s[8:9]
	s_or_b64 exec, exec, s[6:7]
	s_and_saveexec_b64 s[6:7], s[4:5]
	s_cbranch_execnz .LBB55_407
	s_branch .LBB55_408
.LBB55_2457:
	s_movk_i32 s4, 0x80
	v_cmp_eq_u16_sdwa s[12:13], v6, s4 src0_sel:BYTE_3 src1_sel:DWORD
	s_mov_b64 s[4:5], -1
                                        ; implicit-def: $sgpr10
	s_and_saveexec_b64 s[8:9], s[12:13]
; %bb.2458:
	s_mov_b32 s10, 0x7f800001
	s_xor_b64 s[4:5], exec, -1
; %bb.2459:
	s_or_b64 exec, exec, s[8:9]
	s_and_b64 s[4:5], s[4:5], exec
	s_or_saveexec_b64 s[6:7], s[6:7]
	v_mov_b32_e32 v10, s10
	s_xor_b64 exec, exec, s[6:7]
	s_cbranch_execz .LBB55_410
.LBB55_2460:
	v_mov_b32_e32 v10, 0
	v_cmp_ne_u16_sdwa s[8:9], v6, v10 src0_sel:BYTE_3 src1_sel:DWORD
	s_andn2_b64 s[4:5], s[4:5], exec
	s_and_b64 s[8:9], s[8:9], exec
	s_or_b64 s[4:5], s[4:5], s[8:9]
	s_or_b64 exec, exec, s[6:7]
	s_and_saveexec_b64 s[6:7], s[4:5]
	s_cbranch_execnz .LBB55_411
	s_branch .LBB55_412
.LBB55_2461:
	s_movk_i32 s4, 0x80
	v_cmp_eq_u16_sdwa s[12:13], v2, s4 src0_sel:BYTE_3 src1_sel:DWORD
	s_mov_b64 s[4:5], -1
                                        ; implicit-def: $sgpr10
	s_and_saveexec_b64 s[8:9], s[12:13]
; %bb.2462:
	s_mov_b32 s10, 0x7f800001
	s_xor_b64 s[4:5], exec, -1
; %bb.2463:
	s_or_b64 exec, exec, s[8:9]
	s_and_b64 s[4:5], s[4:5], exec
	s_or_saveexec_b64 s[6:7], s[6:7]
	v_mov_b32_e32 v6, s10
	s_xor_b64 exec, exec, s[6:7]
	s_cbranch_execz .LBB55_414
.LBB55_2464:
	v_mov_b32_e32 v6, 0
	v_cmp_ne_u16_sdwa s[8:9], v2, v6 src0_sel:BYTE_3 src1_sel:DWORD
	s_andn2_b64 s[4:5], s[4:5], exec
	s_and_b64 s[8:9], s[8:9], exec
	s_or_b64 s[4:5], s[4:5], s[8:9]
	s_or_b64 exec, exec, s[6:7]
	s_and_saveexec_b64 s[6:7], s[4:5]
	s_cbranch_execnz .LBB55_415
	s_branch .LBB55_416
.LBB55_2465:
	s_movk_i32 s4, 0x80
	v_cmp_eq_u16_sdwa s[12:13], v7, s4 src0_sel:BYTE_0 src1_sel:DWORD
	s_mov_b64 s[4:5], -1
                                        ; implicit-def: $sgpr10
	s_and_saveexec_b64 s[8:9], s[12:13]
; %bb.2466:
	s_mov_b32 s10, 0x7f800001
	s_xor_b64 s[4:5], exec, -1
; %bb.2467:
	s_or_b64 exec, exec, s[8:9]
	s_and_b64 s[4:5], s[4:5], exec
	s_or_saveexec_b64 s[6:7], s[6:7]
	v_mov_b32_e32 v2, s10
	s_xor_b64 exec, exec, s[6:7]
	s_cbranch_execz .LBB55_418
.LBB55_2468:
	v_mov_b32_e32 v2, 0
	v_cmp_ne_u16_sdwa s[8:9], v7, v2 src0_sel:BYTE_0 src1_sel:DWORD
	s_andn2_b64 s[4:5], s[4:5], exec
	s_and_b64 s[8:9], s[8:9], exec
	s_or_b64 s[4:5], s[4:5], s[8:9]
	s_or_b64 exec, exec, s[6:7]
	s_and_saveexec_b64 s[6:7], s[4:5]
	s_cbranch_execnz .LBB55_419
	s_branch .LBB55_420
.LBB55_2469:
	s_movk_i32 s4, 0x80
	v_cmp_eq_u16_sdwa s[12:13], v3, s4 src0_sel:BYTE_0 src1_sel:DWORD
	s_mov_b64 s[4:5], -1
                                        ; implicit-def: $sgpr10
	s_and_saveexec_b64 s[8:9], s[12:13]
; %bb.2470:
	s_mov_b32 s10, 0x7f800001
	s_xor_b64 s[4:5], exec, -1
; %bb.2471:
	s_or_b64 exec, exec, s[8:9]
	s_and_b64 s[4:5], s[4:5], exec
	s_or_saveexec_b64 s[6:7], s[6:7]
	v_mov_b32_e32 v6, s10
	s_xor_b64 exec, exec, s[6:7]
	s_cbranch_execz .LBB55_422
.LBB55_2472:
	v_mov_b32_e32 v6, 0
	v_cmp_ne_u16_sdwa s[8:9], v3, v6 src0_sel:BYTE_0 src1_sel:DWORD
	s_andn2_b64 s[4:5], s[4:5], exec
	s_and_b64 s[8:9], s[8:9], exec
	s_or_b64 s[4:5], s[4:5], s[8:9]
	s_or_b64 exec, exec, s[6:7]
	s_and_saveexec_b64 s[6:7], s[4:5]
	s_cbranch_execnz .LBB55_423
	s_branch .LBB55_424
.LBB55_2473:
	s_movk_i32 s4, 0x80
	v_cmp_eq_u16_sdwa s[12:13], v6, s4 src0_sel:BYTE_0 src1_sel:DWORD
	s_mov_b64 s[4:5], -1
                                        ; implicit-def: $sgpr10
	s_and_saveexec_b64 s[8:9], s[12:13]
; %bb.2474:
	s_mov_b32 s10, 0x7f800001
	s_xor_b64 s[4:5], exec, -1
; %bb.2475:
	s_or_b64 exec, exec, s[8:9]
	s_and_b64 s[4:5], s[4:5], exec
	s_or_saveexec_b64 s[6:7], s[6:7]
	v_mov_b32_e32 v2, s10
	s_xor_b64 exec, exec, s[6:7]
	s_cbranch_execz .LBB55_426
.LBB55_2476:
	v_mov_b32_e32 v2, 0
	v_cmp_ne_u16_sdwa s[8:9], v6, v2 src0_sel:BYTE_0 src1_sel:DWORD
	s_andn2_b64 s[4:5], s[4:5], exec
	s_and_b64 s[8:9], s[8:9], exec
	s_or_b64 s[4:5], s[4:5], s[8:9]
	s_or_b64 exec, exec, s[6:7]
	s_and_saveexec_b64 s[6:7], s[4:5]
	s_cbranch_execnz .LBB55_427
	s_branch .LBB55_428
.LBB55_2477:
	s_movk_i32 s4, 0x80
	v_cmp_eq_u16_sdwa s[12:13], v6, s4 src0_sel:BYTE_0 src1_sel:DWORD
	s_mov_b64 s[4:5], -1
                                        ; implicit-def: $sgpr10
	s_and_saveexec_b64 s[8:9], s[12:13]
; %bb.2478:
	s_mov_b32 s10, 0x7f800001
	s_xor_b64 s[4:5], exec, -1
; %bb.2479:
	s_or_b64 exec, exec, s[8:9]
	s_and_b64 s[4:5], s[4:5], exec
	s_or_saveexec_b64 s[6:7], s[6:7]
	v_mov_b32_e32 v10, s10
	s_xor_b64 exec, exec, s[6:7]
	s_cbranch_execz .LBB55_430
.LBB55_2480:
	v_mov_b32_e32 v10, 0
	v_cmp_ne_u16_sdwa s[8:9], v6, v10 src0_sel:BYTE_0 src1_sel:DWORD
	s_andn2_b64 s[4:5], s[4:5], exec
	s_and_b64 s[8:9], s[8:9], exec
	s_or_b64 s[4:5], s[4:5], s[8:9]
	s_or_b64 exec, exec, s[6:7]
	s_and_saveexec_b64 s[6:7], s[4:5]
	s_cbranch_execnz .LBB55_431
	s_branch .LBB55_432
.LBB55_2481:
	s_movk_i32 s4, 0x80
	v_cmp_eq_u16_e32 vcc, s4, v6
	s_mov_b64 s[4:5], -1
                                        ; implicit-def: $sgpr10
	s_and_saveexec_b64 s[8:9], vcc
; %bb.2482:
	s_mov_b32 s10, 0x7f800001
	s_xor_b64 s[4:5], exec, -1
; %bb.2483:
	s_or_b64 exec, exec, s[8:9]
	s_and_b64 s[4:5], s[4:5], exec
                                        ; implicit-def: $vgpr6
	s_or_saveexec_b64 s[6:7], s[6:7]
	v_mov_b32_e32 v2, s10
	s_xor_b64 exec, exec, s[6:7]
	s_cbranch_execz .LBB55_434
.LBB55_2484:
	v_cmp_ne_u16_e32 vcc, 0, v6
	s_andn2_b64 s[4:5], s[4:5], exec
	s_and_b64 s[8:9], vcc, exec
	v_mov_b32_e32 v2, 0
	s_or_b64 s[4:5], s[4:5], s[8:9]
	s_or_b64 exec, exec, s[6:7]
	s_and_saveexec_b64 s[6:7], s[4:5]
	s_cbranch_execnz .LBB55_435
	s_branch .LBB55_436
.LBB55_2485:
	s_movk_i32 s4, 0x80
	v_cmp_eq_u16_e32 vcc, s4, v6
	s_mov_b64 s[4:5], -1
                                        ; implicit-def: $sgpr10
	s_and_saveexec_b64 s[8:9], vcc
; %bb.2486:
	s_mov_b32 s10, 0x7f800001
	s_xor_b64 s[4:5], exec, -1
; %bb.2487:
	s_or_b64 exec, exec, s[8:9]
	s_and_b64 s[4:5], s[4:5], exec
                                        ; implicit-def: $vgpr6
	s_or_saveexec_b64 s[6:7], s[6:7]
	v_mov_b32_e32 v10, s10
	s_xor_b64 exec, exec, s[6:7]
	s_cbranch_execz .LBB55_438
.LBB55_2488:
	v_cmp_ne_u16_e32 vcc, 0, v6
	s_andn2_b64 s[4:5], s[4:5], exec
	s_and_b64 s[8:9], vcc, exec
	v_mov_b32_e32 v10, 0
	s_or_b64 s[4:5], s[4:5], s[8:9]
	s_or_b64 exec, exec, s[6:7]
	s_and_saveexec_b64 s[6:7], s[4:5]
	s_cbranch_execnz .LBB55_439
	s_branch .LBB55_440
.LBB55_2489:
	s_movk_i32 s4, 0x80
	v_cmp_eq_u16_sdwa s[12:13], v7, s4 src0_sel:BYTE_3 src1_sel:DWORD
	s_mov_b64 s[4:5], -1
                                        ; implicit-def: $sgpr10
	s_and_saveexec_b64 s[8:9], s[12:13]
; %bb.2490:
	s_mov_b32 s10, 0x7f800001
	s_xor_b64 s[4:5], exec, -1
; %bb.2491:
	s_or_b64 exec, exec, s[8:9]
	s_and_b64 s[4:5], s[4:5], exec
	s_or_saveexec_b64 s[6:7], s[6:7]
	v_mov_b32_e32 v2, s10
	s_xor_b64 exec, exec, s[6:7]
	s_cbranch_execz .LBB55_442
.LBB55_2492:
	v_mov_b32_e32 v2, 0
	v_cmp_ne_u16_sdwa s[8:9], v7, v2 src0_sel:BYTE_3 src1_sel:DWORD
	s_andn2_b64 s[4:5], s[4:5], exec
	s_and_b64 s[8:9], s[8:9], exec
	s_or_b64 s[4:5], s[4:5], s[8:9]
	s_or_b64 exec, exec, s[6:7]
	s_and_saveexec_b64 s[6:7], s[4:5]
	s_cbranch_execnz .LBB55_443
	s_branch .LBB55_444
.LBB55_2493:
	s_movk_i32 s4, 0x80
	v_cmp_eq_u16_sdwa s[12:13], v3, s4 src0_sel:BYTE_3 src1_sel:DWORD
	s_mov_b64 s[4:5], -1
                                        ; implicit-def: $sgpr10
	s_and_saveexec_b64 s[8:9], s[12:13]
; %bb.2494:
	s_mov_b32 s10, 0x7f800001
	s_xor_b64 s[4:5], exec, -1
; %bb.2495:
	s_or_b64 exec, exec, s[8:9]
	s_and_b64 s[4:5], s[4:5], exec
	s_or_saveexec_b64 s[6:7], s[6:7]
	v_mov_b32_e32 v6, s10
	s_xor_b64 exec, exec, s[6:7]
	s_cbranch_execz .LBB55_446
.LBB55_2496:
	v_mov_b32_e32 v6, 0
	v_cmp_ne_u16_sdwa s[8:9], v3, v6 src0_sel:BYTE_3 src1_sel:DWORD
	s_andn2_b64 s[4:5], s[4:5], exec
	s_and_b64 s[8:9], s[8:9], exec
	s_or_b64 s[4:5], s[4:5], s[8:9]
	s_or_b64 exec, exec, s[6:7]
	s_and_saveexec_b64 s[6:7], s[4:5]
	s_cbranch_execnz .LBB55_447
	s_branch .LBB55_448
.LBB55_2497:
	s_movk_i32 s4, 0x80
	v_cmp_eq_u16_sdwa s[12:13], v8, s4 src0_sel:BYTE_0 src1_sel:DWORD
	s_mov_b64 s[4:5], -1
                                        ; implicit-def: $sgpr10
	s_and_saveexec_b64 s[8:9], s[12:13]
; %bb.2498:
	s_mov_b32 s10, 0x7f800001
	s_xor_b64 s[4:5], exec, -1
; %bb.2499:
	s_or_b64 exec, exec, s[8:9]
	s_and_b64 s[4:5], s[4:5], exec
	s_or_saveexec_b64 s[6:7], s[6:7]
	v_mov_b32_e32 v2, s10
	s_xor_b64 exec, exec, s[6:7]
	s_cbranch_execz .LBB55_450
.LBB55_2500:
	v_mov_b32_e32 v2, 0
	v_cmp_ne_u16_sdwa s[8:9], v8, v2 src0_sel:BYTE_0 src1_sel:DWORD
	s_andn2_b64 s[4:5], s[4:5], exec
	s_and_b64 s[8:9], s[8:9], exec
	s_or_b64 s[4:5], s[4:5], s[8:9]
	s_or_b64 exec, exec, s[6:7]
	s_and_saveexec_b64 s[6:7], s[4:5]
	s_cbranch_execnz .LBB55_451
	s_branch .LBB55_452
.LBB55_2501:
	s_movk_i32 s4, 0x80
	v_cmp_eq_u16_sdwa s[12:13], v4, s4 src0_sel:BYTE_0 src1_sel:DWORD
	s_mov_b64 s[4:5], -1
                                        ; implicit-def: $sgpr10
	s_and_saveexec_b64 s[8:9], s[12:13]
; %bb.2502:
	s_mov_b32 s10, 0x7f800001
	s_xor_b64 s[4:5], exec, -1
; %bb.2503:
	s_or_b64 exec, exec, s[8:9]
	s_and_b64 s[4:5], s[4:5], exec
	s_or_saveexec_b64 s[6:7], s[6:7]
	v_mov_b32_e32 v3, s10
	s_xor_b64 exec, exec, s[6:7]
	s_cbranch_execz .LBB55_454
.LBB55_2504:
	v_mov_b32_e32 v3, 0
	v_cmp_ne_u16_sdwa s[8:9], v4, v3 src0_sel:BYTE_0 src1_sel:DWORD
	s_andn2_b64 s[4:5], s[4:5], exec
	s_and_b64 s[8:9], s[8:9], exec
	s_or_b64 s[4:5], s[4:5], s[8:9]
	s_or_b64 exec, exec, s[6:7]
	s_and_saveexec_b64 s[6:7], s[4:5]
	s_cbranch_execnz .LBB55_455
	s_branch .LBB55_456
.LBB55_2505:
	s_movk_i32 s4, 0x80
	v_cmp_eq_u16_sdwa s[12:13], v3, s4 src0_sel:BYTE_0 src1_sel:DWORD
	s_mov_b64 s[4:5], -1
                                        ; implicit-def: $sgpr10
	s_and_saveexec_b64 s[8:9], s[12:13]
; %bb.2506:
	s_mov_b32 s10, 0x7f800001
	s_xor_b64 s[4:5], exec, -1
; %bb.2507:
	s_or_b64 exec, exec, s[8:9]
	s_and_b64 s[4:5], s[4:5], exec
	s_or_saveexec_b64 s[6:7], s[6:7]
	v_mov_b32_e32 v2, s10
	s_xor_b64 exec, exec, s[6:7]
	s_cbranch_execz .LBB55_458
.LBB55_2508:
	v_mov_b32_e32 v2, 0
	v_cmp_ne_u16_sdwa s[8:9], v3, v2 src0_sel:BYTE_0 src1_sel:DWORD
	s_andn2_b64 s[4:5], s[4:5], exec
	s_and_b64 s[8:9], s[8:9], exec
	s_or_b64 s[4:5], s[4:5], s[8:9]
	s_or_b64 exec, exec, s[6:7]
	s_and_saveexec_b64 s[6:7], s[4:5]
	s_cbranch_execnz .LBB55_459
	s_branch .LBB55_460
.LBB55_2509:
	s_movk_i32 s4, 0x80
	v_cmp_eq_u16_sdwa s[12:13], v3, s4 src0_sel:BYTE_0 src1_sel:DWORD
	s_mov_b64 s[4:5], -1
                                        ; implicit-def: $sgpr10
	s_and_saveexec_b64 s[8:9], s[12:13]
; %bb.2510:
	s_mov_b32 s10, 0x7f800001
	s_xor_b64 s[4:5], exec, -1
; %bb.2511:
	s_or_b64 exec, exec, s[8:9]
	s_and_b64 s[4:5], s[4:5], exec
	s_or_saveexec_b64 s[6:7], s[6:7]
	v_mov_b32_e32 v6, s10
	s_xor_b64 exec, exec, s[6:7]
	s_cbranch_execz .LBB55_462
.LBB55_2512:
	v_mov_b32_e32 v6, 0
	v_cmp_ne_u16_sdwa s[8:9], v3, v6 src0_sel:BYTE_0 src1_sel:DWORD
	s_andn2_b64 s[4:5], s[4:5], exec
	s_and_b64 s[8:9], s[8:9], exec
	s_or_b64 s[4:5], s[4:5], s[8:9]
	s_or_b64 exec, exec, s[6:7]
	s_and_saveexec_b64 s[6:7], s[4:5]
	s_cbranch_execnz .LBB55_463
	s_branch .LBB55_464
.LBB55_2513:
	s_movk_i32 s4, 0x80
	v_cmp_eq_u16_e32 vcc, s4, v3
	s_mov_b64 s[4:5], -1
                                        ; implicit-def: $sgpr10
	s_and_saveexec_b64 s[8:9], vcc
; %bb.2514:
	s_mov_b32 s10, 0x7f800001
	s_xor_b64 s[4:5], exec, -1
; %bb.2515:
	s_or_b64 exec, exec, s[8:9]
	s_and_b64 s[4:5], s[4:5], exec
                                        ; implicit-def: $vgpr3
	s_or_saveexec_b64 s[6:7], s[6:7]
	v_mov_b32_e32 v2, s10
	s_xor_b64 exec, exec, s[6:7]
	s_cbranch_execz .LBB55_466
.LBB55_2516:
	v_cmp_ne_u16_e32 vcc, 0, v3
	s_andn2_b64 s[4:5], s[4:5], exec
	s_and_b64 s[8:9], vcc, exec
	v_mov_b32_e32 v2, 0
	s_or_b64 s[4:5], s[4:5], s[8:9]
	s_or_b64 exec, exec, s[6:7]
	s_and_saveexec_b64 s[6:7], s[4:5]
	s_cbranch_execnz .LBB55_467
	s_branch .LBB55_468
.LBB55_2517:
	s_movk_i32 s4, 0x80
	v_cmp_eq_u16_e32 vcc, s4, v3
	s_mov_b64 s[4:5], -1
                                        ; implicit-def: $sgpr10
	s_and_saveexec_b64 s[8:9], vcc
; %bb.2518:
	s_mov_b32 s10, 0x7f800001
	s_xor_b64 s[4:5], exec, -1
; %bb.2519:
	s_or_b64 exec, exec, s[8:9]
	s_and_b64 s[4:5], s[4:5], exec
                                        ; implicit-def: $vgpr3
	s_or_saveexec_b64 s[6:7], s[6:7]
	v_mov_b32_e32 v6, s10
	s_xor_b64 exec, exec, s[6:7]
	s_cbranch_execz .LBB55_470
.LBB55_2520:
	v_cmp_ne_u16_e32 vcc, 0, v3
	s_andn2_b64 s[4:5], s[4:5], exec
	s_and_b64 s[8:9], vcc, exec
	v_mov_b32_e32 v6, 0
	s_or_b64 s[4:5], s[4:5], s[8:9]
	s_or_b64 exec, exec, s[6:7]
	s_and_saveexec_b64 s[6:7], s[4:5]
	s_cbranch_execnz .LBB55_471
	s_branch .LBB55_472
.LBB55_2521:
	s_movk_i32 s4, 0x80
	v_cmp_eq_u16_sdwa s[12:13], v8, s4 src0_sel:BYTE_3 src1_sel:DWORD
	s_mov_b64 s[4:5], -1
                                        ; implicit-def: $sgpr10
	s_and_saveexec_b64 s[8:9], s[12:13]
; %bb.2522:
	s_mov_b32 s10, 0x7f800001
	s_xor_b64 s[4:5], exec, -1
; %bb.2523:
	s_or_b64 exec, exec, s[8:9]
	s_and_b64 s[4:5], s[4:5], exec
	s_or_saveexec_b64 s[6:7], s[6:7]
	v_mov_b32_e32 v2, s10
	s_xor_b64 exec, exec, s[6:7]
	s_cbranch_execz .LBB55_474
.LBB55_2524:
	v_mov_b32_e32 v2, 0
	v_cmp_ne_u16_sdwa s[8:9], v8, v2 src0_sel:BYTE_3 src1_sel:DWORD
	s_andn2_b64 s[4:5], s[4:5], exec
	s_and_b64 s[8:9], s[8:9], exec
	s_or_b64 s[4:5], s[4:5], s[8:9]
	s_or_b64 exec, exec, s[6:7]
	s_and_saveexec_b64 s[6:7], s[4:5]
	s_cbranch_execnz .LBB55_475
	s_branch .LBB55_476
.LBB55_2525:
	s_movk_i32 s4, 0x80
	v_cmp_eq_u16_sdwa s[12:13], v4, s4 src0_sel:BYTE_3 src1_sel:DWORD
	s_mov_b64 s[4:5], -1
                                        ; implicit-def: $sgpr10
	s_and_saveexec_b64 s[8:9], s[12:13]
; %bb.2526:
	s_mov_b32 s10, 0x7f800001
	s_xor_b64 s[4:5], exec, -1
; %bb.2527:
	s_or_b64 exec, exec, s[8:9]
	s_and_b64 s[4:5], s[4:5], exec
	s_or_saveexec_b64 s[6:7], s[6:7]
	v_mov_b32_e32 v3, s10
	s_xor_b64 exec, exec, s[6:7]
	s_cbranch_execz .LBB55_478
.LBB55_2528:
	v_mov_b32_e32 v3, 0
	v_cmp_ne_u16_sdwa s[8:9], v4, v3 src0_sel:BYTE_3 src1_sel:DWORD
	s_andn2_b64 s[4:5], s[4:5], exec
	s_and_b64 s[8:9], s[8:9], exec
	s_or_b64 s[4:5], s[4:5], s[8:9]
	s_or_b64 exec, exec, s[6:7]
	s_and_saveexec_b64 s[6:7], s[4:5]
	s_cbranch_execnz .LBB55_479
	s_branch .LBB55_480
.LBB55_2529:
	s_movk_i32 s4, 0x80
	v_cmp_eq_u16_sdwa s[12:13], v9, s4 src0_sel:BYTE_0 src1_sel:DWORD
	s_mov_b64 s[4:5], -1
                                        ; implicit-def: $sgpr10
	s_and_saveexec_b64 s[8:9], s[12:13]
; %bb.2530:
	s_mov_b32 s10, 0x7f800001
	s_xor_b64 s[4:5], exec, -1
; %bb.2531:
	s_or_b64 exec, exec, s[8:9]
	s_and_b64 s[4:5], s[4:5], exec
	s_or_saveexec_b64 s[6:7], s[6:7]
	v_mov_b32_e32 v2, s10
	s_xor_b64 exec, exec, s[6:7]
	s_cbranch_execz .LBB55_482
.LBB55_2532:
	v_mov_b32_e32 v2, 0
	v_cmp_ne_u16_sdwa s[8:9], v9, v2 src0_sel:BYTE_0 src1_sel:DWORD
	s_andn2_b64 s[4:5], s[4:5], exec
	s_and_b64 s[8:9], s[8:9], exec
	s_or_b64 s[4:5], s[4:5], s[8:9]
	s_or_b64 exec, exec, s[6:7]
	s_and_saveexec_b64 s[6:7], s[4:5]
	s_cbranch_execnz .LBB55_483
	s_branch .LBB55_484
.LBB55_2533:
	s_movk_i32 s4, 0x80
	v_cmp_eq_u16_sdwa s[12:13], v5, s4 src0_sel:BYTE_0 src1_sel:DWORD
	s_mov_b64 s[4:5], -1
                                        ; implicit-def: $sgpr10
	s_and_saveexec_b64 s[8:9], s[12:13]
; %bb.2534:
	s_mov_b32 s10, 0x7f800001
	s_xor_b64 s[4:5], exec, -1
; %bb.2535:
	s_or_b64 exec, exec, s[8:9]
	s_and_b64 s[4:5], s[4:5], exec
	s_or_saveexec_b64 s[6:7], s[6:7]
	v_mov_b32_e32 v3, s10
	s_xor_b64 exec, exec, s[6:7]
	s_cbranch_execz .LBB55_486
.LBB55_2536:
	v_mov_b32_e32 v3, 0
	v_cmp_ne_u16_sdwa s[8:9], v5, v3 src0_sel:BYTE_0 src1_sel:DWORD
	s_andn2_b64 s[4:5], s[4:5], exec
	s_and_b64 s[8:9], s[8:9], exec
	s_or_b64 s[4:5], s[4:5], s[8:9]
	s_or_b64 exec, exec, s[6:7]
	s_and_saveexec_b64 s[6:7], s[4:5]
	s_cbranch_execnz .LBB55_487
	s_branch .LBB55_488
.LBB55_2537:
	s_movk_i32 s4, 0x80
	v_cmp_eq_u16_sdwa s[12:13], v3, s4 src0_sel:BYTE_0 src1_sel:DWORD
	s_mov_b64 s[4:5], -1
                                        ; implicit-def: $sgpr10
	s_and_saveexec_b64 s[8:9], s[12:13]
; %bb.2538:
	s_mov_b32 s10, 0x7f800001
	s_xor_b64 s[4:5], exec, -1
; %bb.2539:
	s_or_b64 exec, exec, s[8:9]
	s_and_b64 s[4:5], s[4:5], exec
	s_or_saveexec_b64 s[6:7], s[6:7]
	v_mov_b32_e32 v2, s10
	s_xor_b64 exec, exec, s[6:7]
	s_cbranch_execz .LBB55_490
.LBB55_2540:
	v_mov_b32_e32 v2, 0
	v_cmp_ne_u16_sdwa s[8:9], v3, v2 src0_sel:BYTE_0 src1_sel:DWORD
	s_andn2_b64 s[4:5], s[4:5], exec
	s_and_b64 s[8:9], s[8:9], exec
	s_or_b64 s[4:5], s[4:5], s[8:9]
	s_or_b64 exec, exec, s[6:7]
	s_and_saveexec_b64 s[6:7], s[4:5]
	s_cbranch_execnz .LBB55_491
	s_branch .LBB55_492
.LBB55_2541:
	s_movk_i32 s4, 0x80
	v_cmp_eq_u16_sdwa s[12:13], v3, s4 src0_sel:BYTE_0 src1_sel:DWORD
	s_mov_b64 s[4:5], -1
                                        ; implicit-def: $sgpr10
	s_and_saveexec_b64 s[8:9], s[12:13]
; %bb.2542:
	s_mov_b32 s10, 0x7f800001
	s_xor_b64 s[4:5], exec, -1
; %bb.2543:
	s_or_b64 exec, exec, s[8:9]
	s_and_b64 s[4:5], s[4:5], exec
	s_or_saveexec_b64 s[6:7], s[6:7]
	v_mov_b32_e32 v4, s10
	s_xor_b64 exec, exec, s[6:7]
	s_cbranch_execz .LBB55_494
.LBB55_2544:
	v_mov_b32_e32 v4, 0
	v_cmp_ne_u16_sdwa s[8:9], v3, v4 src0_sel:BYTE_0 src1_sel:DWORD
	s_andn2_b64 s[4:5], s[4:5], exec
	s_and_b64 s[8:9], s[8:9], exec
	s_or_b64 s[4:5], s[4:5], s[8:9]
	s_or_b64 exec, exec, s[6:7]
	s_and_saveexec_b64 s[6:7], s[4:5]
	s_cbranch_execnz .LBB55_495
	s_branch .LBB55_496
.LBB55_2545:
	s_movk_i32 s4, 0x80
	v_cmp_eq_u16_e32 vcc, s4, v3
	s_mov_b64 s[4:5], -1
                                        ; implicit-def: $sgpr10
	s_and_saveexec_b64 s[8:9], vcc
; %bb.2546:
	s_mov_b32 s10, 0x7f800001
	s_xor_b64 s[4:5], exec, -1
; %bb.2547:
	s_or_b64 exec, exec, s[8:9]
	s_and_b64 s[4:5], s[4:5], exec
                                        ; implicit-def: $vgpr3
	s_or_saveexec_b64 s[6:7], s[6:7]
	v_mov_b32_e32 v2, s10
	s_xor_b64 exec, exec, s[6:7]
	s_cbranch_execz .LBB55_498
.LBB55_2548:
	v_cmp_ne_u16_e32 vcc, 0, v3
	s_andn2_b64 s[4:5], s[4:5], exec
	s_and_b64 s[8:9], vcc, exec
	v_mov_b32_e32 v2, 0
	s_or_b64 s[4:5], s[4:5], s[8:9]
	s_or_b64 exec, exec, s[6:7]
	s_and_saveexec_b64 s[6:7], s[4:5]
	s_cbranch_execnz .LBB55_499
	s_branch .LBB55_500
.LBB55_2549:
	s_movk_i32 s4, 0x80
	v_cmp_eq_u16_e32 vcc, s4, v3
	s_mov_b64 s[4:5], -1
                                        ; implicit-def: $sgpr10
	s_and_saveexec_b64 s[8:9], vcc
; %bb.2550:
	s_mov_b32 s10, 0x7f800001
	s_xor_b64 s[4:5], exec, -1
; %bb.2551:
	s_or_b64 exec, exec, s[8:9]
	s_and_b64 s[4:5], s[4:5], exec
                                        ; implicit-def: $vgpr3
	s_or_saveexec_b64 s[6:7], s[6:7]
	v_mov_b32_e32 v4, s10
	s_xor_b64 exec, exec, s[6:7]
	s_cbranch_execz .LBB55_502
.LBB55_2552:
	v_cmp_ne_u16_e32 vcc, 0, v3
	s_andn2_b64 s[4:5], s[4:5], exec
	s_and_b64 s[8:9], vcc, exec
	v_mov_b32_e32 v4, 0
	s_or_b64 s[4:5], s[4:5], s[8:9]
	s_or_b64 exec, exec, s[6:7]
	s_and_saveexec_b64 s[6:7], s[4:5]
	s_cbranch_execnz .LBB55_503
	s_branch .LBB55_504
.LBB55_2553:
	s_movk_i32 s4, 0x80
	v_cmp_eq_u16_sdwa s[12:13], v9, s4 src0_sel:BYTE_3 src1_sel:DWORD
	s_mov_b64 s[4:5], -1
                                        ; implicit-def: $sgpr10
	s_and_saveexec_b64 s[8:9], s[12:13]
; %bb.2554:
	s_mov_b32 s10, 0x7f800001
	s_xor_b64 s[4:5], exec, -1
; %bb.2555:
	s_or_b64 exec, exec, s[8:9]
	s_and_b64 s[4:5], s[4:5], exec
	s_or_saveexec_b64 s[6:7], s[6:7]
	v_mov_b32_e32 v2, s10
	s_xor_b64 exec, exec, s[6:7]
	s_cbranch_execz .LBB55_506
.LBB55_2556:
	v_mov_b32_e32 v2, 0
	v_cmp_ne_u16_sdwa s[8:9], v9, v2 src0_sel:BYTE_3 src1_sel:DWORD
	s_andn2_b64 s[4:5], s[4:5], exec
	s_and_b64 s[8:9], s[8:9], exec
	s_or_b64 s[4:5], s[4:5], s[8:9]
	s_or_b64 exec, exec, s[6:7]
	s_and_saveexec_b64 s[6:7], s[4:5]
	s_cbranch_execnz .LBB55_507
	s_branch .LBB55_508
.LBB55_2557:
	s_movk_i32 s4, 0x80
	v_cmp_eq_u16_sdwa s[12:13], v5, s4 src0_sel:BYTE_3 src1_sel:DWORD
	s_mov_b64 s[4:5], -1
                                        ; implicit-def: $sgpr10
	s_and_saveexec_b64 s[8:9], s[12:13]
; %bb.2558:
	s_mov_b32 s10, 0x7f800001
	s_xor_b64 s[4:5], exec, -1
; %bb.2559:
	s_or_b64 exec, exec, s[8:9]
	s_and_b64 s[4:5], s[4:5], exec
	s_or_saveexec_b64 s[6:7], s[6:7]
	v_mov_b32_e32 v3, s10
	s_xor_b64 exec, exec, s[6:7]
	s_cbranch_execz .LBB55_510
.LBB55_2560:
	v_mov_b32_e32 v3, 0
	v_cmp_ne_u16_sdwa s[8:9], v5, v3 src0_sel:BYTE_3 src1_sel:DWORD
	s_andn2_b64 s[4:5], s[4:5], exec
	s_and_b64 s[8:9], s[8:9], exec
	s_or_b64 s[4:5], s[4:5], s[8:9]
	s_or_b64 exec, exec, s[6:7]
	s_and_saveexec_b64 s[6:7], s[4:5]
	s_cbranch_execnz .LBB55_511
	s_branch .LBB55_512
.LBB55_2561:
	s_movk_i32 s4, 0x80
	v_cmp_eq_u16_sdwa s[12:13], v14, s4 src0_sel:BYTE_0 src1_sel:DWORD
	s_mov_b64 s[4:5], -1
                                        ; implicit-def: $sgpr10
	s_and_saveexec_b64 s[8:9], s[12:13]
; %bb.2562:
	s_mov_b32 s10, 0x7f800001
	s_xor_b64 s[4:5], exec, -1
; %bb.2563:
	s_or_b64 exec, exec, s[8:9]
	s_and_b64 s[4:5], s[4:5], exec
	s_or_saveexec_b64 s[6:7], s[6:7]
	v_mov_b32_e32 v20, s10
	s_xor_b64 exec, exec, s[6:7]
	s_cbranch_execz .LBB55_514
.LBB55_2564:
	v_mov_b32_e32 v20, 0
	v_cmp_ne_u16_sdwa s[8:9], v14, v20 src0_sel:BYTE_0 src1_sel:DWORD
	s_andn2_b64 s[4:5], s[4:5], exec
	s_and_b64 s[8:9], s[8:9], exec
	s_or_b64 s[4:5], s[4:5], s[8:9]
	s_or_b64 exec, exec, s[6:7]
	s_and_saveexec_b64 s[6:7], s[4:5]
	s_cbranch_execnz .LBB55_515
	s_branch .LBB55_516
.LBB55_2565:
	s_movk_i32 s4, 0x80
	v_cmp_eq_u16_sdwa s[12:13], v10, s4 src0_sel:BYTE_0 src1_sel:DWORD
	s_mov_b64 s[4:5], -1
                                        ; implicit-def: $sgpr10
	s_and_saveexec_b64 s[8:9], s[12:13]
; %bb.2566:
	s_mov_b32 s10, 0x7f800001
	s_xor_b64 s[4:5], exec, -1
; %bb.2567:
	s_or_b64 exec, exec, s[8:9]
	s_and_b64 s[4:5], s[4:5], exec
	s_or_saveexec_b64 s[6:7], s[6:7]
	v_mov_b32_e32 v21, s10
	s_xor_b64 exec, exec, s[6:7]
	s_cbranch_execz .LBB55_518
.LBB55_2568:
	v_mov_b32_e32 v21, 0
	v_cmp_ne_u16_sdwa s[8:9], v10, v21 src0_sel:BYTE_0 src1_sel:DWORD
	s_andn2_b64 s[4:5], s[4:5], exec
	s_and_b64 s[8:9], s[8:9], exec
	s_or_b64 s[4:5], s[4:5], s[8:9]
	s_or_b64 exec, exec, s[6:7]
	s_and_saveexec_b64 s[6:7], s[4:5]
	s_cbranch_execnz .LBB55_519
	s_branch .LBB55_520
.LBB55_2569:
	s_movk_i32 s4, 0x80
	v_cmp_eq_u16_sdwa s[12:13], v21, s4 src0_sel:BYTE_0 src1_sel:DWORD
	s_mov_b64 s[4:5], -1
                                        ; implicit-def: $sgpr10
	s_and_saveexec_b64 s[8:9], s[12:13]
; %bb.2570:
	s_mov_b32 s10, 0x7f800001
	s_xor_b64 s[4:5], exec, -1
; %bb.2571:
	s_or_b64 exec, exec, s[8:9]
	s_and_b64 s[4:5], s[4:5], exec
	s_or_saveexec_b64 s[6:7], s[6:7]
	v_mov_b32_e32 v20, s10
	s_xor_b64 exec, exec, s[6:7]
	s_cbranch_execz .LBB55_522
.LBB55_2572:
	v_mov_b32_e32 v20, 0
	v_cmp_ne_u16_sdwa s[8:9], v21, v20 src0_sel:BYTE_0 src1_sel:DWORD
	s_andn2_b64 s[4:5], s[4:5], exec
	s_and_b64 s[8:9], s[8:9], exec
	s_or_b64 s[4:5], s[4:5], s[8:9]
	s_or_b64 exec, exec, s[6:7]
	s_and_saveexec_b64 s[6:7], s[4:5]
	s_cbranch_execnz .LBB55_523
	s_branch .LBB55_524
.LBB55_2573:
	s_movk_i32 s4, 0x80
	v_cmp_eq_u16_sdwa s[12:13], v21, s4 src0_sel:BYTE_0 src1_sel:DWORD
	s_mov_b64 s[4:5], -1
                                        ; implicit-def: $sgpr10
	s_and_saveexec_b64 s[8:9], s[12:13]
; %bb.2574:
	s_mov_b32 s10, 0x7f800001
	s_xor_b64 s[4:5], exec, -1
; %bb.2575:
	s_or_b64 exec, exec, s[8:9]
	s_and_b64 s[4:5], s[4:5], exec
	s_or_saveexec_b64 s[6:7], s[6:7]
	v_mov_b32_e32 v22, s10
	s_xor_b64 exec, exec, s[6:7]
	s_cbranch_execz .LBB55_526
.LBB55_2576:
	v_mov_b32_e32 v22, 0
	v_cmp_ne_u16_sdwa s[8:9], v21, v22 src0_sel:BYTE_0 src1_sel:DWORD
	s_andn2_b64 s[4:5], s[4:5], exec
	s_and_b64 s[8:9], s[8:9], exec
	s_or_b64 s[4:5], s[4:5], s[8:9]
	s_or_b64 exec, exec, s[6:7]
	s_and_saveexec_b64 s[6:7], s[4:5]
	s_cbranch_execnz .LBB55_527
	s_branch .LBB55_528
.LBB55_2577:
	s_movk_i32 s4, 0x80
	v_cmp_eq_u16_e32 vcc, s4, v21
	s_mov_b64 s[4:5], -1
                                        ; implicit-def: $sgpr10
	s_and_saveexec_b64 s[8:9], vcc
; %bb.2578:
	s_mov_b32 s10, 0x7f800001
	s_xor_b64 s[4:5], exec, -1
; %bb.2579:
	s_or_b64 exec, exec, s[8:9]
	s_and_b64 s[4:5], s[4:5], exec
                                        ; implicit-def: $vgpr21
	s_or_saveexec_b64 s[6:7], s[6:7]
	v_mov_b32_e32 v20, s10
	s_xor_b64 exec, exec, s[6:7]
	s_cbranch_execz .LBB55_530
.LBB55_2580:
	v_cmp_ne_u16_e32 vcc, 0, v21
	s_andn2_b64 s[4:5], s[4:5], exec
	s_and_b64 s[8:9], vcc, exec
	v_mov_b32_e32 v20, 0
	s_or_b64 s[4:5], s[4:5], s[8:9]
	s_or_b64 exec, exec, s[6:7]
	s_and_saveexec_b64 s[6:7], s[4:5]
	s_cbranch_execnz .LBB55_531
	s_branch .LBB55_532
.LBB55_2581:
	s_movk_i32 s4, 0x80
	v_cmp_eq_u16_e32 vcc, s4, v21
	s_mov_b64 s[4:5], -1
                                        ; implicit-def: $sgpr10
	s_and_saveexec_b64 s[8:9], vcc
; %bb.2582:
	s_mov_b32 s10, 0x7f800001
	s_xor_b64 s[4:5], exec, -1
; %bb.2583:
	s_or_b64 exec, exec, s[8:9]
	s_and_b64 s[4:5], s[4:5], exec
                                        ; implicit-def: $vgpr21
	s_or_saveexec_b64 s[6:7], s[6:7]
	v_mov_b32_e32 v22, s10
	s_xor_b64 exec, exec, s[6:7]
	s_cbranch_execz .LBB55_534
.LBB55_2584:
	v_cmp_ne_u16_e32 vcc, 0, v21
	s_andn2_b64 s[4:5], s[4:5], exec
	s_and_b64 s[8:9], vcc, exec
	v_mov_b32_e32 v22, 0
	s_or_b64 s[4:5], s[4:5], s[8:9]
	s_or_b64 exec, exec, s[6:7]
	s_and_saveexec_b64 s[6:7], s[4:5]
	s_cbranch_execnz .LBB55_535
	s_branch .LBB55_536
.LBB55_2585:
	s_movk_i32 s4, 0x80
	v_cmp_eq_u16_sdwa s[12:13], v14, s4 src0_sel:BYTE_3 src1_sel:DWORD
	s_mov_b64 s[4:5], -1
                                        ; implicit-def: $sgpr10
	s_and_saveexec_b64 s[8:9], s[12:13]
; %bb.2586:
	s_mov_b32 s10, 0x7f800001
	s_xor_b64 s[4:5], exec, -1
; %bb.2587:
	s_or_b64 exec, exec, s[8:9]
	s_and_b64 s[4:5], s[4:5], exec
	s_or_saveexec_b64 s[6:7], s[6:7]
	v_mov_b32_e32 v20, s10
	s_xor_b64 exec, exec, s[6:7]
	s_cbranch_execz .LBB55_538
.LBB55_2588:
	v_mov_b32_e32 v20, 0
	v_cmp_ne_u16_sdwa s[8:9], v14, v20 src0_sel:BYTE_3 src1_sel:DWORD
	s_andn2_b64 s[4:5], s[4:5], exec
	s_and_b64 s[8:9], s[8:9], exec
	s_or_b64 s[4:5], s[4:5], s[8:9]
	s_or_b64 exec, exec, s[6:7]
	s_and_saveexec_b64 s[6:7], s[4:5]
	s_cbranch_execnz .LBB55_539
	s_branch .LBB55_540
.LBB55_2589:
	s_movk_i32 s4, 0x80
	v_cmp_eq_u16_sdwa s[12:13], v10, s4 src0_sel:BYTE_3 src1_sel:DWORD
	s_mov_b64 s[4:5], -1
                                        ; implicit-def: $sgpr10
	s_and_saveexec_b64 s[8:9], s[12:13]
; %bb.2590:
	s_mov_b32 s10, 0x7f800001
	s_xor_b64 s[4:5], exec, -1
; %bb.2591:
	s_or_b64 exec, exec, s[8:9]
	s_and_b64 s[4:5], s[4:5], exec
	s_or_saveexec_b64 s[6:7], s[6:7]
	v_mov_b32_e32 v14, s10
	s_xor_b64 exec, exec, s[6:7]
	s_cbranch_execz .LBB55_542
.LBB55_2592:
	v_mov_b32_e32 v14, 0
	v_cmp_ne_u16_sdwa s[8:9], v10, v14 src0_sel:BYTE_3 src1_sel:DWORD
	s_andn2_b64 s[4:5], s[4:5], exec
	s_and_b64 s[8:9], s[8:9], exec
	s_or_b64 s[4:5], s[4:5], s[8:9]
	s_or_b64 exec, exec, s[6:7]
	s_and_saveexec_b64 s[6:7], s[4:5]
	s_cbranch_execnz .LBB55_543
	s_branch .LBB55_544
.LBB55_2593:
	s_movk_i32 s4, 0x80
	v_cmp_eq_u16_sdwa s[12:13], v15, s4 src0_sel:BYTE_0 src1_sel:DWORD
	s_mov_b64 s[4:5], -1
                                        ; implicit-def: $sgpr10
	s_and_saveexec_b64 s[8:9], s[12:13]
; %bb.2594:
	s_mov_b32 s10, 0x7f800001
	s_xor_b64 s[4:5], exec, -1
; %bb.2595:
	s_or_b64 exec, exec, s[8:9]
	s_and_b64 s[4:5], s[4:5], exec
	s_or_saveexec_b64 s[6:7], s[6:7]
	v_mov_b32_e32 v10, s10
	s_xor_b64 exec, exec, s[6:7]
	s_cbranch_execz .LBB55_546
.LBB55_2596:
	v_mov_b32_e32 v10, 0
	v_cmp_ne_u16_sdwa s[8:9], v15, v10 src0_sel:BYTE_0 src1_sel:DWORD
	s_andn2_b64 s[4:5], s[4:5], exec
	s_and_b64 s[8:9], s[8:9], exec
	s_or_b64 s[4:5], s[4:5], s[8:9]
	s_or_b64 exec, exec, s[6:7]
	s_and_saveexec_b64 s[6:7], s[4:5]
	s_cbranch_execnz .LBB55_547
	s_branch .LBB55_548
.LBB55_2597:
	s_movk_i32 s4, 0x80
	v_cmp_eq_u16_sdwa s[12:13], v11, s4 src0_sel:BYTE_0 src1_sel:DWORD
	s_mov_b64 s[4:5], -1
                                        ; implicit-def: $sgpr10
	s_and_saveexec_b64 s[8:9], s[12:13]
; %bb.2598:
	s_mov_b32 s10, 0x7f800001
	s_xor_b64 s[4:5], exec, -1
; %bb.2599:
	s_or_b64 exec, exec, s[8:9]
	s_and_b64 s[4:5], s[4:5], exec
	s_or_saveexec_b64 s[6:7], s[6:7]
	v_mov_b32_e32 v14, s10
	s_xor_b64 exec, exec, s[6:7]
	s_cbranch_execz .LBB55_550
.LBB55_2600:
	v_mov_b32_e32 v14, 0
	v_cmp_ne_u16_sdwa s[8:9], v11, v14 src0_sel:BYTE_0 src1_sel:DWORD
	s_andn2_b64 s[4:5], s[4:5], exec
	s_and_b64 s[8:9], s[8:9], exec
	s_or_b64 s[4:5], s[4:5], s[8:9]
	s_or_b64 exec, exec, s[6:7]
	s_and_saveexec_b64 s[6:7], s[4:5]
	s_cbranch_execnz .LBB55_551
	s_branch .LBB55_552
.LBB55_2601:
	s_movk_i32 s4, 0x80
	v_cmp_eq_u16_sdwa s[12:13], v14, s4 src0_sel:BYTE_0 src1_sel:DWORD
	s_mov_b64 s[4:5], -1
                                        ; implicit-def: $sgpr10
	s_and_saveexec_b64 s[8:9], s[12:13]
; %bb.2602:
	s_mov_b32 s10, 0x7f800001
	s_xor_b64 s[4:5], exec, -1
; %bb.2603:
	s_or_b64 exec, exec, s[8:9]
	s_and_b64 s[4:5], s[4:5], exec
	s_or_saveexec_b64 s[6:7], s[6:7]
	v_mov_b32_e32 v10, s10
	s_xor_b64 exec, exec, s[6:7]
	s_cbranch_execz .LBB55_554
.LBB55_2604:
	v_mov_b32_e32 v10, 0
	v_cmp_ne_u16_sdwa s[8:9], v14, v10 src0_sel:BYTE_0 src1_sel:DWORD
	s_andn2_b64 s[4:5], s[4:5], exec
	s_and_b64 s[8:9], s[8:9], exec
	s_or_b64 s[4:5], s[4:5], s[8:9]
	s_or_b64 exec, exec, s[6:7]
	s_and_saveexec_b64 s[6:7], s[4:5]
	s_cbranch_execnz .LBB55_555
	s_branch .LBB55_556
.LBB55_2605:
	s_movk_i32 s4, 0x80
	v_cmp_eq_u16_sdwa s[12:13], v14, s4 src0_sel:BYTE_0 src1_sel:DWORD
	s_mov_b64 s[4:5], -1
                                        ; implicit-def: $sgpr10
	s_and_saveexec_b64 s[8:9], s[12:13]
; %bb.2606:
	s_mov_b32 s10, 0x7f800001
	s_xor_b64 s[4:5], exec, -1
; %bb.2607:
	s_or_b64 exec, exec, s[8:9]
	s_and_b64 s[4:5], s[4:5], exec
	s_or_saveexec_b64 s[6:7], s[6:7]
	v_mov_b32_e32 v20, s10
	s_xor_b64 exec, exec, s[6:7]
	s_cbranch_execz .LBB55_558
.LBB55_2608:
	v_mov_b32_e32 v20, 0
	v_cmp_ne_u16_sdwa s[8:9], v14, v20 src0_sel:BYTE_0 src1_sel:DWORD
	s_andn2_b64 s[4:5], s[4:5], exec
	s_and_b64 s[8:9], s[8:9], exec
	s_or_b64 s[4:5], s[4:5], s[8:9]
	s_or_b64 exec, exec, s[6:7]
	s_and_saveexec_b64 s[6:7], s[4:5]
	s_cbranch_execnz .LBB55_559
	s_branch .LBB55_560
.LBB55_2609:
	s_movk_i32 s4, 0x80
	v_cmp_eq_u16_e32 vcc, s4, v14
	s_mov_b64 s[4:5], -1
                                        ; implicit-def: $sgpr10
	s_and_saveexec_b64 s[8:9], vcc
; %bb.2610:
	s_mov_b32 s10, 0x7f800001
	s_xor_b64 s[4:5], exec, -1
; %bb.2611:
	s_or_b64 exec, exec, s[8:9]
	s_and_b64 s[4:5], s[4:5], exec
                                        ; implicit-def: $vgpr14
	s_or_saveexec_b64 s[6:7], s[6:7]
	v_mov_b32_e32 v10, s10
	s_xor_b64 exec, exec, s[6:7]
	s_cbranch_execz .LBB55_562
.LBB55_2612:
	v_cmp_ne_u16_e32 vcc, 0, v14
	s_andn2_b64 s[4:5], s[4:5], exec
	s_and_b64 s[8:9], vcc, exec
	v_mov_b32_e32 v10, 0
	s_or_b64 s[4:5], s[4:5], s[8:9]
	s_or_b64 exec, exec, s[6:7]
	s_and_saveexec_b64 s[6:7], s[4:5]
	s_cbranch_execnz .LBB55_563
	s_branch .LBB55_564
.LBB55_2613:
	s_movk_i32 s4, 0x80
	v_cmp_eq_u16_e32 vcc, s4, v14
	s_mov_b64 s[4:5], -1
                                        ; implicit-def: $sgpr10
	s_and_saveexec_b64 s[8:9], vcc
; %bb.2614:
	s_mov_b32 s10, 0x7f800001
	s_xor_b64 s[4:5], exec, -1
; %bb.2615:
	s_or_b64 exec, exec, s[8:9]
	s_and_b64 s[4:5], s[4:5], exec
                                        ; implicit-def: $vgpr14
	s_or_saveexec_b64 s[6:7], s[6:7]
	v_mov_b32_e32 v20, s10
	s_xor_b64 exec, exec, s[6:7]
	s_cbranch_execz .LBB55_566
.LBB55_2616:
	v_cmp_ne_u16_e32 vcc, 0, v14
	s_andn2_b64 s[4:5], s[4:5], exec
	s_and_b64 s[8:9], vcc, exec
	v_mov_b32_e32 v20, 0
	s_or_b64 s[4:5], s[4:5], s[8:9]
	s_or_b64 exec, exec, s[6:7]
	s_and_saveexec_b64 s[6:7], s[4:5]
	s_cbranch_execnz .LBB55_567
	s_branch .LBB55_568
.LBB55_2617:
	s_movk_i32 s4, 0x80
	v_cmp_eq_u16_sdwa s[12:13], v15, s4 src0_sel:BYTE_3 src1_sel:DWORD
	s_mov_b64 s[4:5], -1
                                        ; implicit-def: $sgpr10
	s_and_saveexec_b64 s[8:9], s[12:13]
; %bb.2618:
	s_mov_b32 s10, 0x7f800001
	s_xor_b64 s[4:5], exec, -1
; %bb.2619:
	s_or_b64 exec, exec, s[8:9]
	s_and_b64 s[4:5], s[4:5], exec
	s_or_saveexec_b64 s[6:7], s[6:7]
	v_mov_b32_e32 v10, s10
	s_xor_b64 exec, exec, s[6:7]
	s_cbranch_execz .LBB55_570
.LBB55_2620:
	v_mov_b32_e32 v10, 0
	v_cmp_ne_u16_sdwa s[8:9], v15, v10 src0_sel:BYTE_3 src1_sel:DWORD
	s_andn2_b64 s[4:5], s[4:5], exec
	s_and_b64 s[8:9], s[8:9], exec
	s_or_b64 s[4:5], s[4:5], s[8:9]
	s_or_b64 exec, exec, s[6:7]
	s_and_saveexec_b64 s[6:7], s[4:5]
	s_cbranch_execnz .LBB55_571
	s_branch .LBB55_572
.LBB55_2621:
	s_movk_i32 s4, 0x80
	v_cmp_eq_u16_sdwa s[12:13], v11, s4 src0_sel:BYTE_3 src1_sel:DWORD
	s_mov_b64 s[4:5], -1
                                        ; implicit-def: $sgpr10
	s_and_saveexec_b64 s[8:9], s[12:13]
; %bb.2622:
	s_mov_b32 s10, 0x7f800001
	s_xor_b64 s[4:5], exec, -1
; %bb.2623:
	s_or_b64 exec, exec, s[8:9]
	s_and_b64 s[4:5], s[4:5], exec
	s_or_saveexec_b64 s[6:7], s[6:7]
	v_mov_b32_e32 v14, s10
	s_xor_b64 exec, exec, s[6:7]
	s_cbranch_execz .LBB55_574
.LBB55_2624:
	v_mov_b32_e32 v14, 0
	v_cmp_ne_u16_sdwa s[8:9], v11, v14 src0_sel:BYTE_3 src1_sel:DWORD
	s_andn2_b64 s[4:5], s[4:5], exec
	s_and_b64 s[8:9], s[8:9], exec
	s_or_b64 s[4:5], s[4:5], s[8:9]
	s_or_b64 exec, exec, s[6:7]
	s_and_saveexec_b64 s[6:7], s[4:5]
	s_cbranch_execnz .LBB55_575
	s_branch .LBB55_576
.LBB55_2625:
	s_movk_i32 s4, 0x80
	v_cmp_eq_u16_sdwa s[12:13], v16, s4 src0_sel:BYTE_0 src1_sel:DWORD
	s_mov_b64 s[4:5], -1
                                        ; implicit-def: $sgpr10
	s_and_saveexec_b64 s[8:9], s[12:13]
; %bb.2626:
	s_mov_b32 s10, 0x7f800001
	s_xor_b64 s[4:5], exec, -1
; %bb.2627:
	s_or_b64 exec, exec, s[8:9]
	s_and_b64 s[4:5], s[4:5], exec
	s_or_saveexec_b64 s[6:7], s[6:7]
	v_mov_b32_e32 v10, s10
	s_xor_b64 exec, exec, s[6:7]
	s_cbranch_execz .LBB55_578
.LBB55_2628:
	v_mov_b32_e32 v10, 0
	v_cmp_ne_u16_sdwa s[8:9], v16, v10 src0_sel:BYTE_0 src1_sel:DWORD
	s_andn2_b64 s[4:5], s[4:5], exec
	s_and_b64 s[8:9], s[8:9], exec
	s_or_b64 s[4:5], s[4:5], s[8:9]
	s_or_b64 exec, exec, s[6:7]
	s_and_saveexec_b64 s[6:7], s[4:5]
	s_cbranch_execnz .LBB55_579
	s_branch .LBB55_580
.LBB55_2629:
	s_movk_i32 s4, 0x80
	v_cmp_eq_u16_sdwa s[12:13], v12, s4 src0_sel:BYTE_0 src1_sel:DWORD
	s_mov_b64 s[4:5], -1
                                        ; implicit-def: $sgpr10
	s_and_saveexec_b64 s[8:9], s[12:13]
; %bb.2630:
	s_mov_b32 s10, 0x7f800001
	s_xor_b64 s[4:5], exec, -1
; %bb.2631:
	s_or_b64 exec, exec, s[8:9]
	s_and_b64 s[4:5], s[4:5], exec
	s_or_saveexec_b64 s[6:7], s[6:7]
	v_mov_b32_e32 v11, s10
	s_xor_b64 exec, exec, s[6:7]
	s_cbranch_execz .LBB55_582
.LBB55_2632:
	v_mov_b32_e32 v11, 0
	v_cmp_ne_u16_sdwa s[8:9], v12, v11 src0_sel:BYTE_0 src1_sel:DWORD
	s_andn2_b64 s[4:5], s[4:5], exec
	s_and_b64 s[8:9], s[8:9], exec
	s_or_b64 s[4:5], s[4:5], s[8:9]
	s_or_b64 exec, exec, s[6:7]
	s_and_saveexec_b64 s[6:7], s[4:5]
	s_cbranch_execnz .LBB55_583
	s_branch .LBB55_584
.LBB55_2633:
	s_movk_i32 s4, 0x80
	v_cmp_eq_u16_sdwa s[12:13], v11, s4 src0_sel:BYTE_0 src1_sel:DWORD
	s_mov_b64 s[4:5], -1
                                        ; implicit-def: $sgpr10
	s_and_saveexec_b64 s[8:9], s[12:13]
; %bb.2634:
	s_mov_b32 s10, 0x7f800001
	s_xor_b64 s[4:5], exec, -1
; %bb.2635:
	s_or_b64 exec, exec, s[8:9]
	s_and_b64 s[4:5], s[4:5], exec
	s_or_saveexec_b64 s[6:7], s[6:7]
	v_mov_b32_e32 v10, s10
	s_xor_b64 exec, exec, s[6:7]
	s_cbranch_execz .LBB55_586
.LBB55_2636:
	v_mov_b32_e32 v10, 0
	v_cmp_ne_u16_sdwa s[8:9], v11, v10 src0_sel:BYTE_0 src1_sel:DWORD
	s_andn2_b64 s[4:5], s[4:5], exec
	s_and_b64 s[8:9], s[8:9], exec
	s_or_b64 s[4:5], s[4:5], s[8:9]
	s_or_b64 exec, exec, s[6:7]
	s_and_saveexec_b64 s[6:7], s[4:5]
	s_cbranch_execnz .LBB55_587
	s_branch .LBB55_588
.LBB55_2637:
	s_movk_i32 s4, 0x80
	v_cmp_eq_u16_sdwa s[12:13], v11, s4 src0_sel:BYTE_0 src1_sel:DWORD
	s_mov_b64 s[4:5], -1
                                        ; implicit-def: $sgpr10
	s_and_saveexec_b64 s[8:9], s[12:13]
; %bb.2638:
	s_mov_b32 s10, 0x7f800001
	s_xor_b64 s[4:5], exec, -1
; %bb.2639:
	s_or_b64 exec, exec, s[8:9]
	s_and_b64 s[4:5], s[4:5], exec
	s_or_saveexec_b64 s[6:7], s[6:7]
	v_mov_b32_e32 v14, s10
	s_xor_b64 exec, exec, s[6:7]
	s_cbranch_execz .LBB55_590
.LBB55_2640:
	v_mov_b32_e32 v14, 0
	v_cmp_ne_u16_sdwa s[8:9], v11, v14 src0_sel:BYTE_0 src1_sel:DWORD
	s_andn2_b64 s[4:5], s[4:5], exec
	s_and_b64 s[8:9], s[8:9], exec
	s_or_b64 s[4:5], s[4:5], s[8:9]
	s_or_b64 exec, exec, s[6:7]
	s_and_saveexec_b64 s[6:7], s[4:5]
	s_cbranch_execnz .LBB55_591
	s_branch .LBB55_592
.LBB55_2641:
	s_movk_i32 s4, 0x80
	v_cmp_eq_u16_e32 vcc, s4, v11
	s_mov_b64 s[4:5], -1
                                        ; implicit-def: $sgpr10
	s_and_saveexec_b64 s[8:9], vcc
; %bb.2642:
	s_mov_b32 s10, 0x7f800001
	s_xor_b64 s[4:5], exec, -1
; %bb.2643:
	s_or_b64 exec, exec, s[8:9]
	s_and_b64 s[4:5], s[4:5], exec
                                        ; implicit-def: $vgpr11
	s_or_saveexec_b64 s[6:7], s[6:7]
	v_mov_b32_e32 v10, s10
	s_xor_b64 exec, exec, s[6:7]
	s_cbranch_execz .LBB55_594
.LBB55_2644:
	v_cmp_ne_u16_e32 vcc, 0, v11
	s_andn2_b64 s[4:5], s[4:5], exec
	s_and_b64 s[8:9], vcc, exec
	v_mov_b32_e32 v10, 0
	s_or_b64 s[4:5], s[4:5], s[8:9]
	s_or_b64 exec, exec, s[6:7]
	s_and_saveexec_b64 s[6:7], s[4:5]
	s_cbranch_execnz .LBB55_595
	s_branch .LBB55_596
.LBB55_2645:
	s_movk_i32 s4, 0x80
	v_cmp_eq_u16_e32 vcc, s4, v11
	s_mov_b64 s[4:5], -1
                                        ; implicit-def: $sgpr10
	s_and_saveexec_b64 s[8:9], vcc
; %bb.2646:
	s_mov_b32 s10, 0x7f800001
	s_xor_b64 s[4:5], exec, -1
; %bb.2647:
	s_or_b64 exec, exec, s[8:9]
	s_and_b64 s[4:5], s[4:5], exec
                                        ; implicit-def: $vgpr11
	s_or_saveexec_b64 s[6:7], s[6:7]
	v_mov_b32_e32 v14, s10
	s_xor_b64 exec, exec, s[6:7]
	s_cbranch_execz .LBB55_598
.LBB55_2648:
	v_cmp_ne_u16_e32 vcc, 0, v11
	s_andn2_b64 s[4:5], s[4:5], exec
	s_and_b64 s[8:9], vcc, exec
	v_mov_b32_e32 v14, 0
	s_or_b64 s[4:5], s[4:5], s[8:9]
	s_or_b64 exec, exec, s[6:7]
	s_and_saveexec_b64 s[6:7], s[4:5]
	s_cbranch_execnz .LBB55_599
	s_branch .LBB55_600
.LBB55_2649:
	s_movk_i32 s4, 0x80
	v_cmp_eq_u16_sdwa s[12:13], v16, s4 src0_sel:BYTE_3 src1_sel:DWORD
	s_mov_b64 s[4:5], -1
                                        ; implicit-def: $sgpr10
	s_and_saveexec_b64 s[8:9], s[12:13]
; %bb.2650:
	s_mov_b32 s10, 0x7f800001
	s_xor_b64 s[4:5], exec, -1
; %bb.2651:
	s_or_b64 exec, exec, s[8:9]
	s_and_b64 s[4:5], s[4:5], exec
	s_or_saveexec_b64 s[6:7], s[6:7]
	v_mov_b32_e32 v10, s10
	s_xor_b64 exec, exec, s[6:7]
	s_cbranch_execz .LBB55_602
.LBB55_2652:
	v_mov_b32_e32 v10, 0
	v_cmp_ne_u16_sdwa s[8:9], v16, v10 src0_sel:BYTE_3 src1_sel:DWORD
	s_andn2_b64 s[4:5], s[4:5], exec
	s_and_b64 s[8:9], s[8:9], exec
	s_or_b64 s[4:5], s[4:5], s[8:9]
	s_or_b64 exec, exec, s[6:7]
	s_and_saveexec_b64 s[6:7], s[4:5]
	s_cbranch_execnz .LBB55_603
	s_branch .LBB55_604
.LBB55_2653:
	s_movk_i32 s4, 0x80
	v_cmp_eq_u16_sdwa s[12:13], v12, s4 src0_sel:BYTE_3 src1_sel:DWORD
	s_mov_b64 s[4:5], -1
                                        ; implicit-def: $sgpr10
	s_and_saveexec_b64 s[8:9], s[12:13]
; %bb.2654:
	s_mov_b32 s10, 0x7f800001
	s_xor_b64 s[4:5], exec, -1
; %bb.2655:
	s_or_b64 exec, exec, s[8:9]
	s_and_b64 s[4:5], s[4:5], exec
	s_or_saveexec_b64 s[6:7], s[6:7]
	v_mov_b32_e32 v11, s10
	s_xor_b64 exec, exec, s[6:7]
	s_cbranch_execz .LBB55_606
.LBB55_2656:
	v_mov_b32_e32 v11, 0
	v_cmp_ne_u16_sdwa s[8:9], v12, v11 src0_sel:BYTE_3 src1_sel:DWORD
	s_andn2_b64 s[4:5], s[4:5], exec
	s_and_b64 s[8:9], s[8:9], exec
	s_or_b64 s[4:5], s[4:5], s[8:9]
	s_or_b64 exec, exec, s[6:7]
	s_and_saveexec_b64 s[6:7], s[4:5]
	s_cbranch_execnz .LBB55_607
	s_branch .LBB55_608
.LBB55_2657:
	s_movk_i32 s4, 0x80
	v_cmp_eq_u16_sdwa s[12:13], v17, s4 src0_sel:BYTE_0 src1_sel:DWORD
	s_mov_b64 s[4:5], -1
                                        ; implicit-def: $sgpr10
	s_and_saveexec_b64 s[8:9], s[12:13]
; %bb.2658:
	s_mov_b32 s10, 0x7f800001
	s_xor_b64 s[4:5], exec, -1
; %bb.2659:
	s_or_b64 exec, exec, s[8:9]
	s_and_b64 s[4:5], s[4:5], exec
	s_or_saveexec_b64 s[6:7], s[6:7]
	v_mov_b32_e32 v10, s10
	s_xor_b64 exec, exec, s[6:7]
	s_cbranch_execz .LBB55_610
.LBB55_2660:
	v_mov_b32_e32 v10, 0
	v_cmp_ne_u16_sdwa s[8:9], v17, v10 src0_sel:BYTE_0 src1_sel:DWORD
	s_andn2_b64 s[4:5], s[4:5], exec
	s_and_b64 s[8:9], s[8:9], exec
	s_or_b64 s[4:5], s[4:5], s[8:9]
	s_or_b64 exec, exec, s[6:7]
	s_and_saveexec_b64 s[6:7], s[4:5]
	s_cbranch_execnz .LBB55_611
	s_branch .LBB55_612
.LBB55_2661:
	s_movk_i32 s4, 0x80
	v_cmp_eq_u16_sdwa s[12:13], v13, s4 src0_sel:BYTE_0 src1_sel:DWORD
	s_mov_b64 s[4:5], -1
                                        ; implicit-def: $sgpr10
	s_and_saveexec_b64 s[8:9], s[12:13]
; %bb.2662:
	s_mov_b32 s10, 0x7f800001
	s_xor_b64 s[4:5], exec, -1
; %bb.2663:
	s_or_b64 exec, exec, s[8:9]
	s_and_b64 s[4:5], s[4:5], exec
	s_or_saveexec_b64 s[6:7], s[6:7]
	v_mov_b32_e32 v11, s10
	s_xor_b64 exec, exec, s[6:7]
	s_cbranch_execz .LBB55_614
.LBB55_2664:
	v_mov_b32_e32 v11, 0
	v_cmp_ne_u16_sdwa s[8:9], v13, v11 src0_sel:BYTE_0 src1_sel:DWORD
	s_andn2_b64 s[4:5], s[4:5], exec
	s_and_b64 s[8:9], s[8:9], exec
	s_or_b64 s[4:5], s[4:5], s[8:9]
	s_or_b64 exec, exec, s[6:7]
	s_and_saveexec_b64 s[6:7], s[4:5]
	s_cbranch_execnz .LBB55_615
	s_branch .LBB55_616
.LBB55_2665:
	s_movk_i32 s4, 0x80
	v_cmp_eq_u16_sdwa s[12:13], v11, s4 src0_sel:BYTE_0 src1_sel:DWORD
	s_mov_b64 s[4:5], -1
                                        ; implicit-def: $sgpr10
	s_and_saveexec_b64 s[8:9], s[12:13]
; %bb.2666:
	s_mov_b32 s10, 0x7f800001
	s_xor_b64 s[4:5], exec, -1
; %bb.2667:
	s_or_b64 exec, exec, s[8:9]
	s_and_b64 s[4:5], s[4:5], exec
	s_or_saveexec_b64 s[6:7], s[6:7]
	v_mov_b32_e32 v10, s10
	s_xor_b64 exec, exec, s[6:7]
	s_cbranch_execz .LBB55_618
.LBB55_2668:
	v_mov_b32_e32 v10, 0
	v_cmp_ne_u16_sdwa s[8:9], v11, v10 src0_sel:BYTE_0 src1_sel:DWORD
	s_andn2_b64 s[4:5], s[4:5], exec
	s_and_b64 s[8:9], s[8:9], exec
	s_or_b64 s[4:5], s[4:5], s[8:9]
	s_or_b64 exec, exec, s[6:7]
	s_and_saveexec_b64 s[6:7], s[4:5]
	s_cbranch_execnz .LBB55_619
	s_branch .LBB55_620
.LBB55_2669:
	s_movk_i32 s4, 0x80
	v_cmp_eq_u16_sdwa s[12:13], v11, s4 src0_sel:BYTE_0 src1_sel:DWORD
	s_mov_b64 s[4:5], -1
                                        ; implicit-def: $sgpr10
	s_and_saveexec_b64 s[8:9], s[12:13]
; %bb.2670:
	s_mov_b32 s10, 0x7f800001
	s_xor_b64 s[4:5], exec, -1
; %bb.2671:
	s_or_b64 exec, exec, s[8:9]
	s_and_b64 s[4:5], s[4:5], exec
	s_or_saveexec_b64 s[6:7], s[6:7]
	v_mov_b32_e32 v12, s10
	s_xor_b64 exec, exec, s[6:7]
	s_cbranch_execz .LBB55_622
.LBB55_2672:
	v_mov_b32_e32 v12, 0
	v_cmp_ne_u16_sdwa s[8:9], v11, v12 src0_sel:BYTE_0 src1_sel:DWORD
	s_andn2_b64 s[4:5], s[4:5], exec
	s_and_b64 s[8:9], s[8:9], exec
	s_or_b64 s[4:5], s[4:5], s[8:9]
	s_or_b64 exec, exec, s[6:7]
	s_and_saveexec_b64 s[6:7], s[4:5]
	s_cbranch_execnz .LBB55_623
	s_branch .LBB55_624
.LBB55_2673:
	s_movk_i32 s4, 0x80
	v_cmp_eq_u16_e32 vcc, s4, v11
	s_mov_b64 s[4:5], -1
                                        ; implicit-def: $sgpr10
	s_and_saveexec_b64 s[8:9], vcc
; %bb.2674:
	s_mov_b32 s10, 0x7f800001
	s_xor_b64 s[4:5], exec, -1
; %bb.2675:
	s_or_b64 exec, exec, s[8:9]
	s_and_b64 s[4:5], s[4:5], exec
                                        ; implicit-def: $vgpr11
	s_or_saveexec_b64 s[6:7], s[6:7]
	v_mov_b32_e32 v10, s10
	s_xor_b64 exec, exec, s[6:7]
	s_cbranch_execz .LBB55_626
.LBB55_2676:
	v_cmp_ne_u16_e32 vcc, 0, v11
	s_andn2_b64 s[4:5], s[4:5], exec
	s_and_b64 s[8:9], vcc, exec
	v_mov_b32_e32 v10, 0
	s_or_b64 s[4:5], s[4:5], s[8:9]
	s_or_b64 exec, exec, s[6:7]
	s_and_saveexec_b64 s[6:7], s[4:5]
	s_cbranch_execnz .LBB55_627
	s_branch .LBB55_628
.LBB55_2677:
	s_movk_i32 s4, 0x80
	v_cmp_eq_u16_e32 vcc, s4, v11
	s_mov_b64 s[4:5], -1
                                        ; implicit-def: $sgpr10
	s_and_saveexec_b64 s[8:9], vcc
; %bb.2678:
	s_mov_b32 s10, 0x7f800001
	s_xor_b64 s[4:5], exec, -1
; %bb.2679:
	s_or_b64 exec, exec, s[8:9]
	s_and_b64 s[4:5], s[4:5], exec
                                        ; implicit-def: $vgpr11
	s_or_saveexec_b64 s[6:7], s[6:7]
	v_mov_b32_e32 v12, s10
	s_xor_b64 exec, exec, s[6:7]
	s_cbranch_execz .LBB55_630
.LBB55_2680:
	v_cmp_ne_u16_e32 vcc, 0, v11
	s_andn2_b64 s[4:5], s[4:5], exec
	s_and_b64 s[8:9], vcc, exec
	v_mov_b32_e32 v12, 0
	s_or_b64 s[4:5], s[4:5], s[8:9]
	s_or_b64 exec, exec, s[6:7]
	s_and_saveexec_b64 s[6:7], s[4:5]
	s_cbranch_execnz .LBB55_631
	s_branch .LBB55_632
.LBB55_2681:
	s_movk_i32 s4, 0x80
	v_cmp_eq_u16_sdwa s[12:13], v17, s4 src0_sel:BYTE_3 src1_sel:DWORD
	s_mov_b64 s[4:5], -1
                                        ; implicit-def: $sgpr10
	s_and_saveexec_b64 s[8:9], s[12:13]
; %bb.2682:
	s_mov_b32 s10, 0x7f800001
	s_xor_b64 s[4:5], exec, -1
; %bb.2683:
	s_or_b64 exec, exec, s[8:9]
	s_and_b64 s[4:5], s[4:5], exec
	s_or_saveexec_b64 s[6:7], s[6:7]
	v_mov_b32_e32 v10, s10
	s_xor_b64 exec, exec, s[6:7]
	s_cbranch_execz .LBB55_634
.LBB55_2684:
	v_mov_b32_e32 v10, 0
	v_cmp_ne_u16_sdwa s[8:9], v17, v10 src0_sel:BYTE_3 src1_sel:DWORD
	s_andn2_b64 s[4:5], s[4:5], exec
	s_and_b64 s[8:9], s[8:9], exec
	s_or_b64 s[4:5], s[4:5], s[8:9]
	s_or_b64 exec, exec, s[6:7]
	s_and_saveexec_b64 s[6:7], s[4:5]
	s_cbranch_execnz .LBB55_635
	s_branch .LBB55_636
.LBB55_2685:
	s_movk_i32 s4, 0x80
	v_cmp_eq_u16_sdwa s[12:13], v13, s4 src0_sel:BYTE_3 src1_sel:DWORD
	s_mov_b64 s[4:5], -1
                                        ; implicit-def: $sgpr10
	s_and_saveexec_b64 s[8:9], s[12:13]
; %bb.2686:
	s_mov_b32 s10, 0x7f800001
	s_xor_b64 s[4:5], exec, -1
; %bb.2687:
	s_or_b64 exec, exec, s[8:9]
	s_and_b64 s[4:5], s[4:5], exec
	s_or_saveexec_b64 s[6:7], s[6:7]
	v_mov_b32_e32 v11, s10
	s_xor_b64 exec, exec, s[6:7]
	s_cbranch_execz .LBB55_638
.LBB55_2688:
	v_mov_b32_e32 v11, 0
	v_cmp_ne_u16_sdwa s[8:9], v13, v11 src0_sel:BYTE_3 src1_sel:DWORD
	s_andn2_b64 s[4:5], s[4:5], exec
	s_and_b64 s[8:9], s[8:9], exec
	s_or_b64 s[4:5], s[4:5], s[8:9]
	s_or_b64 exec, exec, s[6:7]
	s_and_saveexec_b64 s[6:7], s[4:5]
	s_cbranch_execnz .LBB55_639
	s_branch .LBB55_640
.LBB55_2689:
	s_movk_i32 s4, 0x80
	v_cmp_eq_u16_sdwa s[12:13], v6, s4 src0_sel:BYTE_0 src1_sel:DWORD
	s_mov_b64 s[4:5], -1
                                        ; implicit-def: $sgpr10
	s_and_saveexec_b64 s[8:9], s[12:13]
; %bb.2690:
	s_mov_b32 s10, 0x7f800001
	s_xor_b64 s[4:5], exec, -1
; %bb.2691:
	s_or_b64 exec, exec, s[8:9]
	s_and_b64 s[4:5], s[4:5], exec
	s_or_saveexec_b64 s[6:7], s[6:7]
	v_mov_b32_e32 v10, s10
	s_xor_b64 exec, exec, s[6:7]
	s_cbranch_execz .LBB55_642
.LBB55_2692:
	v_mov_b32_e32 v10, 0
	v_cmp_ne_u16_sdwa s[8:9], v6, v10 src0_sel:BYTE_0 src1_sel:DWORD
	s_andn2_b64 s[4:5], s[4:5], exec
	s_and_b64 s[8:9], s[8:9], exec
	s_or_b64 s[4:5], s[4:5], s[8:9]
	s_or_b64 exec, exec, s[6:7]
	s_and_saveexec_b64 s[6:7], s[4:5]
	s_cbranch_execnz .LBB55_643
	s_branch .LBB55_644
.LBB55_2693:
	s_movk_i32 s4, 0x80
	v_cmp_eq_u16_sdwa s[12:13], v2, s4 src0_sel:BYTE_0 src1_sel:DWORD
	s_mov_b64 s[4:5], -1
                                        ; implicit-def: $sgpr10
	s_and_saveexec_b64 s[8:9], s[12:13]
; %bb.2694:
	s_mov_b32 s10, 0x7f800001
	s_xor_b64 s[4:5], exec, -1
; %bb.2695:
	s_or_b64 exec, exec, s[8:9]
	s_and_b64 s[4:5], s[4:5], exec
	s_or_saveexec_b64 s[6:7], s[6:7]
	v_mov_b32_e32 v11, s10
	s_xor_b64 exec, exec, s[6:7]
	s_cbranch_execz .LBB55_646
.LBB55_2696:
	v_mov_b32_e32 v11, 0
	v_cmp_ne_u16_sdwa s[8:9], v2, v11 src0_sel:BYTE_0 src1_sel:DWORD
	s_andn2_b64 s[4:5], s[4:5], exec
	s_and_b64 s[8:9], s[8:9], exec
	s_or_b64 s[4:5], s[4:5], s[8:9]
	s_or_b64 exec, exec, s[6:7]
	s_and_saveexec_b64 s[6:7], s[4:5]
	s_cbranch_execnz .LBB55_647
	s_branch .LBB55_648
.LBB55_2697:
	s_movk_i32 s4, 0x80
	v_cmp_eq_u16_sdwa s[12:13], v11, s4 src0_sel:BYTE_0 src1_sel:DWORD
	s_mov_b64 s[4:5], -1
                                        ; implicit-def: $sgpr10
	s_and_saveexec_b64 s[8:9], s[12:13]
; %bb.2698:
	s_mov_b32 s10, 0x7f800001
	s_xor_b64 s[4:5], exec, -1
; %bb.2699:
	s_or_b64 exec, exec, s[8:9]
	s_and_b64 s[4:5], s[4:5], exec
	s_or_saveexec_b64 s[6:7], s[6:7]
	v_mov_b32_e32 v10, s10
	s_xor_b64 exec, exec, s[6:7]
	s_cbranch_execz .LBB55_650
.LBB55_2700:
	v_mov_b32_e32 v10, 0
	v_cmp_ne_u16_sdwa s[8:9], v11, v10 src0_sel:BYTE_0 src1_sel:DWORD
	s_andn2_b64 s[4:5], s[4:5], exec
	s_and_b64 s[8:9], s[8:9], exec
	s_or_b64 s[4:5], s[4:5], s[8:9]
	s_or_b64 exec, exec, s[6:7]
	s_and_saveexec_b64 s[6:7], s[4:5]
	s_cbranch_execnz .LBB55_651
	s_branch .LBB55_652
.LBB55_2701:
	s_movk_i32 s4, 0x80
	v_cmp_eq_u16_sdwa s[12:13], v11, s4 src0_sel:BYTE_0 src1_sel:DWORD
	s_mov_b64 s[4:5], -1
                                        ; implicit-def: $sgpr10
	s_and_saveexec_b64 s[8:9], s[12:13]
; %bb.2702:
	s_mov_b32 s10, 0x7f800001
	s_xor_b64 s[4:5], exec, -1
; %bb.2703:
	s_or_b64 exec, exec, s[8:9]
	s_and_b64 s[4:5], s[4:5], exec
	s_or_saveexec_b64 s[6:7], s[6:7]
	v_mov_b32_e32 v12, s10
	s_xor_b64 exec, exec, s[6:7]
	s_cbranch_execz .LBB55_654
.LBB55_2704:
	v_mov_b32_e32 v12, 0
	v_cmp_ne_u16_sdwa s[8:9], v11, v12 src0_sel:BYTE_0 src1_sel:DWORD
	s_andn2_b64 s[4:5], s[4:5], exec
	s_and_b64 s[8:9], s[8:9], exec
	s_or_b64 s[4:5], s[4:5], s[8:9]
	s_or_b64 exec, exec, s[6:7]
	s_and_saveexec_b64 s[6:7], s[4:5]
	s_cbranch_execnz .LBB55_655
	s_branch .LBB55_656
.LBB55_2705:
	s_movk_i32 s4, 0x80
	v_cmp_eq_u16_e32 vcc, s4, v11
	s_mov_b64 s[4:5], -1
                                        ; implicit-def: $sgpr10
	s_and_saveexec_b64 s[8:9], vcc
; %bb.2706:
	s_mov_b32 s10, 0x7f800001
	s_xor_b64 s[4:5], exec, -1
; %bb.2707:
	s_or_b64 exec, exec, s[8:9]
	s_and_b64 s[4:5], s[4:5], exec
                                        ; implicit-def: $vgpr11
	s_or_saveexec_b64 s[6:7], s[6:7]
	v_mov_b32_e32 v10, s10
	s_xor_b64 exec, exec, s[6:7]
	s_cbranch_execz .LBB55_658
.LBB55_2708:
	v_cmp_ne_u16_e32 vcc, 0, v11
	s_andn2_b64 s[4:5], s[4:5], exec
	s_and_b64 s[8:9], vcc, exec
	v_mov_b32_e32 v10, 0
	s_or_b64 s[4:5], s[4:5], s[8:9]
	s_or_b64 exec, exec, s[6:7]
	s_and_saveexec_b64 s[6:7], s[4:5]
	s_cbranch_execnz .LBB55_659
	s_branch .LBB55_660
.LBB55_2709:
	s_movk_i32 s4, 0x80
	v_cmp_eq_u16_e32 vcc, s4, v11
	s_mov_b64 s[4:5], -1
                                        ; implicit-def: $sgpr10
	s_and_saveexec_b64 s[8:9], vcc
; %bb.2710:
	s_mov_b32 s10, 0x7f800001
	s_xor_b64 s[4:5], exec, -1
; %bb.2711:
	s_or_b64 exec, exec, s[8:9]
	s_and_b64 s[4:5], s[4:5], exec
                                        ; implicit-def: $vgpr11
	s_or_saveexec_b64 s[6:7], s[6:7]
	v_mov_b32_e32 v12, s10
	s_xor_b64 exec, exec, s[6:7]
	s_cbranch_execz .LBB55_662
.LBB55_2712:
	v_cmp_ne_u16_e32 vcc, 0, v11
	s_andn2_b64 s[4:5], s[4:5], exec
	s_and_b64 s[8:9], vcc, exec
	v_mov_b32_e32 v12, 0
	s_or_b64 s[4:5], s[4:5], s[8:9]
	s_or_b64 exec, exec, s[6:7]
	s_and_saveexec_b64 s[6:7], s[4:5]
	s_cbranch_execnz .LBB55_663
	s_branch .LBB55_664
.LBB55_2713:
	s_movk_i32 s4, 0x80
	v_cmp_eq_u16_sdwa s[12:13], v6, s4 src0_sel:BYTE_3 src1_sel:DWORD
	s_mov_b64 s[4:5], -1
                                        ; implicit-def: $sgpr10
	s_and_saveexec_b64 s[8:9], s[12:13]
; %bb.2714:
	s_mov_b32 s10, 0x7f800001
	s_xor_b64 s[4:5], exec, -1
; %bb.2715:
	s_or_b64 exec, exec, s[8:9]
	s_and_b64 s[4:5], s[4:5], exec
	s_or_saveexec_b64 s[6:7], s[6:7]
	v_mov_b32_e32 v10, s10
	s_xor_b64 exec, exec, s[6:7]
	s_cbranch_execz .LBB55_666
.LBB55_2716:
	v_mov_b32_e32 v10, 0
	v_cmp_ne_u16_sdwa s[8:9], v6, v10 src0_sel:BYTE_3 src1_sel:DWORD
	s_andn2_b64 s[4:5], s[4:5], exec
	s_and_b64 s[8:9], s[8:9], exec
	s_or_b64 s[4:5], s[4:5], s[8:9]
	s_or_b64 exec, exec, s[6:7]
	s_and_saveexec_b64 s[6:7], s[4:5]
	s_cbranch_execnz .LBB55_667
	s_branch .LBB55_668
.LBB55_2717:
	s_movk_i32 s4, 0x80
	v_cmp_eq_u16_sdwa s[12:13], v2, s4 src0_sel:BYTE_3 src1_sel:DWORD
	s_mov_b64 s[4:5], -1
                                        ; implicit-def: $sgpr10
	s_and_saveexec_b64 s[8:9], s[12:13]
; %bb.2718:
	s_mov_b32 s10, 0x7f800001
	s_xor_b64 s[4:5], exec, -1
; %bb.2719:
	s_or_b64 exec, exec, s[8:9]
	s_and_b64 s[4:5], s[4:5], exec
	s_or_saveexec_b64 s[6:7], s[6:7]
	v_mov_b32_e32 v6, s10
	s_xor_b64 exec, exec, s[6:7]
	s_cbranch_execz .LBB55_670
.LBB55_2720:
	v_mov_b32_e32 v6, 0
	v_cmp_ne_u16_sdwa s[8:9], v2, v6 src0_sel:BYTE_3 src1_sel:DWORD
	s_andn2_b64 s[4:5], s[4:5], exec
	s_and_b64 s[8:9], s[8:9], exec
	s_or_b64 s[4:5], s[4:5], s[8:9]
	s_or_b64 exec, exec, s[6:7]
	s_and_saveexec_b64 s[6:7], s[4:5]
	s_cbranch_execnz .LBB55_671
	s_branch .LBB55_672
.LBB55_2721:
	s_movk_i32 s4, 0x80
	v_cmp_eq_u16_sdwa s[12:13], v7, s4 src0_sel:BYTE_0 src1_sel:DWORD
	s_mov_b64 s[4:5], -1
                                        ; implicit-def: $sgpr10
	s_and_saveexec_b64 s[8:9], s[12:13]
; %bb.2722:
	s_mov_b32 s10, 0x7f800001
	s_xor_b64 s[4:5], exec, -1
; %bb.2723:
	s_or_b64 exec, exec, s[8:9]
	s_and_b64 s[4:5], s[4:5], exec
	s_or_saveexec_b64 s[6:7], s[6:7]
	v_mov_b32_e32 v2, s10
	s_xor_b64 exec, exec, s[6:7]
	s_cbranch_execz .LBB55_674
.LBB55_2724:
	v_mov_b32_e32 v2, 0
	v_cmp_ne_u16_sdwa s[8:9], v7, v2 src0_sel:BYTE_0 src1_sel:DWORD
	s_andn2_b64 s[4:5], s[4:5], exec
	s_and_b64 s[8:9], s[8:9], exec
	s_or_b64 s[4:5], s[4:5], s[8:9]
	s_or_b64 exec, exec, s[6:7]
	s_and_saveexec_b64 s[6:7], s[4:5]
	s_cbranch_execnz .LBB55_675
	s_branch .LBB55_676
.LBB55_2725:
	s_movk_i32 s4, 0x80
	v_cmp_eq_u16_sdwa s[12:13], v3, s4 src0_sel:BYTE_0 src1_sel:DWORD
	s_mov_b64 s[4:5], -1
                                        ; implicit-def: $sgpr10
	s_and_saveexec_b64 s[8:9], s[12:13]
; %bb.2726:
	s_mov_b32 s10, 0x7f800001
	s_xor_b64 s[4:5], exec, -1
; %bb.2727:
	s_or_b64 exec, exec, s[8:9]
	s_and_b64 s[4:5], s[4:5], exec
	s_or_saveexec_b64 s[6:7], s[6:7]
	v_mov_b32_e32 v6, s10
	s_xor_b64 exec, exec, s[6:7]
	s_cbranch_execz .LBB55_678
.LBB55_2728:
	v_mov_b32_e32 v6, 0
	v_cmp_ne_u16_sdwa s[8:9], v3, v6 src0_sel:BYTE_0 src1_sel:DWORD
	s_andn2_b64 s[4:5], s[4:5], exec
	s_and_b64 s[8:9], s[8:9], exec
	s_or_b64 s[4:5], s[4:5], s[8:9]
	s_or_b64 exec, exec, s[6:7]
	s_and_saveexec_b64 s[6:7], s[4:5]
	s_cbranch_execnz .LBB55_679
	s_branch .LBB55_680
.LBB55_2729:
	s_movk_i32 s4, 0x80
	v_cmp_eq_u16_sdwa s[12:13], v6, s4 src0_sel:BYTE_0 src1_sel:DWORD
	s_mov_b64 s[4:5], -1
                                        ; implicit-def: $sgpr10
	s_and_saveexec_b64 s[8:9], s[12:13]
; %bb.2730:
	s_mov_b32 s10, 0x7f800001
	s_xor_b64 s[4:5], exec, -1
; %bb.2731:
	s_or_b64 exec, exec, s[8:9]
	s_and_b64 s[4:5], s[4:5], exec
	s_or_saveexec_b64 s[6:7], s[6:7]
	v_mov_b32_e32 v2, s10
	s_xor_b64 exec, exec, s[6:7]
	s_cbranch_execz .LBB55_682
.LBB55_2732:
	v_mov_b32_e32 v2, 0
	v_cmp_ne_u16_sdwa s[8:9], v6, v2 src0_sel:BYTE_0 src1_sel:DWORD
	s_andn2_b64 s[4:5], s[4:5], exec
	s_and_b64 s[8:9], s[8:9], exec
	s_or_b64 s[4:5], s[4:5], s[8:9]
	s_or_b64 exec, exec, s[6:7]
	s_and_saveexec_b64 s[6:7], s[4:5]
	s_cbranch_execnz .LBB55_683
	s_branch .LBB55_684
.LBB55_2733:
	s_movk_i32 s4, 0x80
	v_cmp_eq_u16_sdwa s[12:13], v6, s4 src0_sel:BYTE_0 src1_sel:DWORD
	s_mov_b64 s[4:5], -1
                                        ; implicit-def: $sgpr10
	s_and_saveexec_b64 s[8:9], s[12:13]
; %bb.2734:
	s_mov_b32 s10, 0x7f800001
	s_xor_b64 s[4:5], exec, -1
; %bb.2735:
	s_or_b64 exec, exec, s[8:9]
	s_and_b64 s[4:5], s[4:5], exec
	s_or_saveexec_b64 s[6:7], s[6:7]
	v_mov_b32_e32 v10, s10
	s_xor_b64 exec, exec, s[6:7]
	s_cbranch_execz .LBB55_686
.LBB55_2736:
	v_mov_b32_e32 v10, 0
	v_cmp_ne_u16_sdwa s[8:9], v6, v10 src0_sel:BYTE_0 src1_sel:DWORD
	s_andn2_b64 s[4:5], s[4:5], exec
	s_and_b64 s[8:9], s[8:9], exec
	s_or_b64 s[4:5], s[4:5], s[8:9]
	s_or_b64 exec, exec, s[6:7]
	s_and_saveexec_b64 s[6:7], s[4:5]
	s_cbranch_execnz .LBB55_687
	s_branch .LBB55_688
.LBB55_2737:
	s_movk_i32 s4, 0x80
	v_cmp_eq_u16_e32 vcc, s4, v6
	s_mov_b64 s[4:5], -1
                                        ; implicit-def: $sgpr10
	s_and_saveexec_b64 s[8:9], vcc
; %bb.2738:
	s_mov_b32 s10, 0x7f800001
	s_xor_b64 s[4:5], exec, -1
; %bb.2739:
	s_or_b64 exec, exec, s[8:9]
	s_and_b64 s[4:5], s[4:5], exec
                                        ; implicit-def: $vgpr6
	s_or_saveexec_b64 s[6:7], s[6:7]
	v_mov_b32_e32 v2, s10
	s_xor_b64 exec, exec, s[6:7]
	s_cbranch_execz .LBB55_690
.LBB55_2740:
	v_cmp_ne_u16_e32 vcc, 0, v6
	s_andn2_b64 s[4:5], s[4:5], exec
	s_and_b64 s[8:9], vcc, exec
	v_mov_b32_e32 v2, 0
	s_or_b64 s[4:5], s[4:5], s[8:9]
	s_or_b64 exec, exec, s[6:7]
	s_and_saveexec_b64 s[6:7], s[4:5]
	s_cbranch_execnz .LBB55_691
	s_branch .LBB55_692
.LBB55_2741:
	s_movk_i32 s4, 0x80
	v_cmp_eq_u16_e32 vcc, s4, v6
	s_mov_b64 s[4:5], -1
                                        ; implicit-def: $sgpr10
	s_and_saveexec_b64 s[8:9], vcc
; %bb.2742:
	s_mov_b32 s10, 0x7f800001
	s_xor_b64 s[4:5], exec, -1
; %bb.2743:
	s_or_b64 exec, exec, s[8:9]
	s_and_b64 s[4:5], s[4:5], exec
                                        ; implicit-def: $vgpr6
	s_or_saveexec_b64 s[6:7], s[6:7]
	v_mov_b32_e32 v10, s10
	s_xor_b64 exec, exec, s[6:7]
	s_cbranch_execz .LBB55_694
.LBB55_2744:
	v_cmp_ne_u16_e32 vcc, 0, v6
	s_andn2_b64 s[4:5], s[4:5], exec
	s_and_b64 s[8:9], vcc, exec
	v_mov_b32_e32 v10, 0
	s_or_b64 s[4:5], s[4:5], s[8:9]
	s_or_b64 exec, exec, s[6:7]
	s_and_saveexec_b64 s[6:7], s[4:5]
	s_cbranch_execnz .LBB55_695
	s_branch .LBB55_696
.LBB55_2745:
	s_movk_i32 s4, 0x80
	v_cmp_eq_u16_sdwa s[12:13], v7, s4 src0_sel:BYTE_3 src1_sel:DWORD
	s_mov_b64 s[4:5], -1
                                        ; implicit-def: $sgpr10
	s_and_saveexec_b64 s[8:9], s[12:13]
; %bb.2746:
	s_mov_b32 s10, 0x7f800001
	s_xor_b64 s[4:5], exec, -1
; %bb.2747:
	s_or_b64 exec, exec, s[8:9]
	s_and_b64 s[4:5], s[4:5], exec
	s_or_saveexec_b64 s[6:7], s[6:7]
	v_mov_b32_e32 v2, s10
	s_xor_b64 exec, exec, s[6:7]
	s_cbranch_execz .LBB55_698
.LBB55_2748:
	v_mov_b32_e32 v2, 0
	v_cmp_ne_u16_sdwa s[8:9], v7, v2 src0_sel:BYTE_3 src1_sel:DWORD
	s_andn2_b64 s[4:5], s[4:5], exec
	s_and_b64 s[8:9], s[8:9], exec
	s_or_b64 s[4:5], s[4:5], s[8:9]
	s_or_b64 exec, exec, s[6:7]
	s_and_saveexec_b64 s[6:7], s[4:5]
	s_cbranch_execnz .LBB55_699
	s_branch .LBB55_700
.LBB55_2749:
	s_movk_i32 s4, 0x80
	v_cmp_eq_u16_sdwa s[12:13], v3, s4 src0_sel:BYTE_3 src1_sel:DWORD
	s_mov_b64 s[4:5], -1
                                        ; implicit-def: $sgpr10
	s_and_saveexec_b64 s[8:9], s[12:13]
; %bb.2750:
	s_mov_b32 s10, 0x7f800001
	s_xor_b64 s[4:5], exec, -1
; %bb.2751:
	s_or_b64 exec, exec, s[8:9]
	s_and_b64 s[4:5], s[4:5], exec
	s_or_saveexec_b64 s[6:7], s[6:7]
	v_mov_b32_e32 v6, s10
	s_xor_b64 exec, exec, s[6:7]
	s_cbranch_execz .LBB55_702
.LBB55_2752:
	v_mov_b32_e32 v6, 0
	v_cmp_ne_u16_sdwa s[8:9], v3, v6 src0_sel:BYTE_3 src1_sel:DWORD
	s_andn2_b64 s[4:5], s[4:5], exec
	s_and_b64 s[8:9], s[8:9], exec
	s_or_b64 s[4:5], s[4:5], s[8:9]
	s_or_b64 exec, exec, s[6:7]
	s_and_saveexec_b64 s[6:7], s[4:5]
	s_cbranch_execnz .LBB55_703
	s_branch .LBB55_704
.LBB55_2753:
	s_movk_i32 s4, 0x80
	v_cmp_eq_u16_sdwa s[12:13], v8, s4 src0_sel:BYTE_0 src1_sel:DWORD
	s_mov_b64 s[4:5], -1
                                        ; implicit-def: $sgpr10
	s_and_saveexec_b64 s[8:9], s[12:13]
; %bb.2754:
	s_mov_b32 s10, 0x7f800001
	s_xor_b64 s[4:5], exec, -1
; %bb.2755:
	s_or_b64 exec, exec, s[8:9]
	s_and_b64 s[4:5], s[4:5], exec
	s_or_saveexec_b64 s[6:7], s[6:7]
	v_mov_b32_e32 v2, s10
	s_xor_b64 exec, exec, s[6:7]
	s_cbranch_execz .LBB55_706
.LBB55_2756:
	v_mov_b32_e32 v2, 0
	v_cmp_ne_u16_sdwa s[8:9], v8, v2 src0_sel:BYTE_0 src1_sel:DWORD
	s_andn2_b64 s[4:5], s[4:5], exec
	s_and_b64 s[8:9], s[8:9], exec
	s_or_b64 s[4:5], s[4:5], s[8:9]
	s_or_b64 exec, exec, s[6:7]
	s_and_saveexec_b64 s[6:7], s[4:5]
	s_cbranch_execnz .LBB55_707
	s_branch .LBB55_708
.LBB55_2757:
	s_movk_i32 s4, 0x80
	v_cmp_eq_u16_sdwa s[12:13], v4, s4 src0_sel:BYTE_0 src1_sel:DWORD
	s_mov_b64 s[4:5], -1
                                        ; implicit-def: $sgpr10
	s_and_saveexec_b64 s[8:9], s[12:13]
; %bb.2758:
	s_mov_b32 s10, 0x7f800001
	s_xor_b64 s[4:5], exec, -1
; %bb.2759:
	s_or_b64 exec, exec, s[8:9]
	s_and_b64 s[4:5], s[4:5], exec
	s_or_saveexec_b64 s[6:7], s[6:7]
	v_mov_b32_e32 v3, s10
	s_xor_b64 exec, exec, s[6:7]
	s_cbranch_execz .LBB55_710
.LBB55_2760:
	v_mov_b32_e32 v3, 0
	v_cmp_ne_u16_sdwa s[8:9], v4, v3 src0_sel:BYTE_0 src1_sel:DWORD
	s_andn2_b64 s[4:5], s[4:5], exec
	s_and_b64 s[8:9], s[8:9], exec
	s_or_b64 s[4:5], s[4:5], s[8:9]
	s_or_b64 exec, exec, s[6:7]
	s_and_saveexec_b64 s[6:7], s[4:5]
	s_cbranch_execnz .LBB55_711
	s_branch .LBB55_712
.LBB55_2761:
	s_movk_i32 s4, 0x80
	v_cmp_eq_u16_sdwa s[12:13], v3, s4 src0_sel:BYTE_0 src1_sel:DWORD
	s_mov_b64 s[4:5], -1
                                        ; implicit-def: $sgpr10
	s_and_saveexec_b64 s[8:9], s[12:13]
; %bb.2762:
	s_mov_b32 s10, 0x7f800001
	s_xor_b64 s[4:5], exec, -1
; %bb.2763:
	s_or_b64 exec, exec, s[8:9]
	s_and_b64 s[4:5], s[4:5], exec
	s_or_saveexec_b64 s[6:7], s[6:7]
	v_mov_b32_e32 v2, s10
	s_xor_b64 exec, exec, s[6:7]
	s_cbranch_execz .LBB55_714
.LBB55_2764:
	v_mov_b32_e32 v2, 0
	v_cmp_ne_u16_sdwa s[8:9], v3, v2 src0_sel:BYTE_0 src1_sel:DWORD
	s_andn2_b64 s[4:5], s[4:5], exec
	s_and_b64 s[8:9], s[8:9], exec
	s_or_b64 s[4:5], s[4:5], s[8:9]
	s_or_b64 exec, exec, s[6:7]
	s_and_saveexec_b64 s[6:7], s[4:5]
	s_cbranch_execnz .LBB55_715
	s_branch .LBB55_716
.LBB55_2765:
	s_movk_i32 s4, 0x80
	v_cmp_eq_u16_sdwa s[12:13], v3, s4 src0_sel:BYTE_0 src1_sel:DWORD
	s_mov_b64 s[4:5], -1
                                        ; implicit-def: $sgpr10
	s_and_saveexec_b64 s[8:9], s[12:13]
; %bb.2766:
	s_mov_b32 s10, 0x7f800001
	s_xor_b64 s[4:5], exec, -1
; %bb.2767:
	s_or_b64 exec, exec, s[8:9]
	s_and_b64 s[4:5], s[4:5], exec
	s_or_saveexec_b64 s[6:7], s[6:7]
	v_mov_b32_e32 v6, s10
	s_xor_b64 exec, exec, s[6:7]
	s_cbranch_execz .LBB55_718
.LBB55_2768:
	v_mov_b32_e32 v6, 0
	v_cmp_ne_u16_sdwa s[8:9], v3, v6 src0_sel:BYTE_0 src1_sel:DWORD
	s_andn2_b64 s[4:5], s[4:5], exec
	s_and_b64 s[8:9], s[8:9], exec
	s_or_b64 s[4:5], s[4:5], s[8:9]
	s_or_b64 exec, exec, s[6:7]
	s_and_saveexec_b64 s[6:7], s[4:5]
	s_cbranch_execnz .LBB55_719
	s_branch .LBB55_720
.LBB55_2769:
	s_movk_i32 s4, 0x80
	v_cmp_eq_u16_e32 vcc, s4, v3
	s_mov_b64 s[4:5], -1
                                        ; implicit-def: $sgpr10
	s_and_saveexec_b64 s[8:9], vcc
; %bb.2770:
	s_mov_b32 s10, 0x7f800001
	s_xor_b64 s[4:5], exec, -1
; %bb.2771:
	s_or_b64 exec, exec, s[8:9]
	s_and_b64 s[4:5], s[4:5], exec
                                        ; implicit-def: $vgpr3
	s_or_saveexec_b64 s[6:7], s[6:7]
	v_mov_b32_e32 v2, s10
	s_xor_b64 exec, exec, s[6:7]
	s_cbranch_execz .LBB55_722
.LBB55_2772:
	v_cmp_ne_u16_e32 vcc, 0, v3
	s_andn2_b64 s[4:5], s[4:5], exec
	s_and_b64 s[8:9], vcc, exec
	v_mov_b32_e32 v2, 0
	s_or_b64 s[4:5], s[4:5], s[8:9]
	s_or_b64 exec, exec, s[6:7]
	s_and_saveexec_b64 s[6:7], s[4:5]
	s_cbranch_execnz .LBB55_723
	s_branch .LBB55_724
.LBB55_2773:
	s_movk_i32 s4, 0x80
	v_cmp_eq_u16_e32 vcc, s4, v3
	s_mov_b64 s[4:5], -1
                                        ; implicit-def: $sgpr10
	s_and_saveexec_b64 s[8:9], vcc
; %bb.2774:
	s_mov_b32 s10, 0x7f800001
	s_xor_b64 s[4:5], exec, -1
; %bb.2775:
	s_or_b64 exec, exec, s[8:9]
	s_and_b64 s[4:5], s[4:5], exec
                                        ; implicit-def: $vgpr3
	s_or_saveexec_b64 s[6:7], s[6:7]
	v_mov_b32_e32 v6, s10
	s_xor_b64 exec, exec, s[6:7]
	s_cbranch_execz .LBB55_726
.LBB55_2776:
	v_cmp_ne_u16_e32 vcc, 0, v3
	s_andn2_b64 s[4:5], s[4:5], exec
	s_and_b64 s[8:9], vcc, exec
	v_mov_b32_e32 v6, 0
	s_or_b64 s[4:5], s[4:5], s[8:9]
	s_or_b64 exec, exec, s[6:7]
	s_and_saveexec_b64 s[6:7], s[4:5]
	s_cbranch_execnz .LBB55_727
	s_branch .LBB55_728
.LBB55_2777:
	s_movk_i32 s4, 0x80
	v_cmp_eq_u16_sdwa s[12:13], v8, s4 src0_sel:BYTE_3 src1_sel:DWORD
	s_mov_b64 s[4:5], -1
                                        ; implicit-def: $sgpr10
	s_and_saveexec_b64 s[8:9], s[12:13]
; %bb.2778:
	s_mov_b32 s10, 0x7f800001
	s_xor_b64 s[4:5], exec, -1
; %bb.2779:
	s_or_b64 exec, exec, s[8:9]
	s_and_b64 s[4:5], s[4:5], exec
	s_or_saveexec_b64 s[6:7], s[6:7]
	v_mov_b32_e32 v2, s10
	s_xor_b64 exec, exec, s[6:7]
	s_cbranch_execz .LBB55_730
.LBB55_2780:
	v_mov_b32_e32 v2, 0
	v_cmp_ne_u16_sdwa s[8:9], v8, v2 src0_sel:BYTE_3 src1_sel:DWORD
	s_andn2_b64 s[4:5], s[4:5], exec
	s_and_b64 s[8:9], s[8:9], exec
	s_or_b64 s[4:5], s[4:5], s[8:9]
	s_or_b64 exec, exec, s[6:7]
	s_and_saveexec_b64 s[6:7], s[4:5]
	s_cbranch_execnz .LBB55_731
	s_branch .LBB55_732
.LBB55_2781:
	s_movk_i32 s4, 0x80
	v_cmp_eq_u16_sdwa s[12:13], v4, s4 src0_sel:BYTE_3 src1_sel:DWORD
	s_mov_b64 s[4:5], -1
                                        ; implicit-def: $sgpr10
	s_and_saveexec_b64 s[8:9], s[12:13]
; %bb.2782:
	s_mov_b32 s10, 0x7f800001
	s_xor_b64 s[4:5], exec, -1
; %bb.2783:
	s_or_b64 exec, exec, s[8:9]
	s_and_b64 s[4:5], s[4:5], exec
	s_or_saveexec_b64 s[6:7], s[6:7]
	v_mov_b32_e32 v3, s10
	s_xor_b64 exec, exec, s[6:7]
	s_cbranch_execz .LBB55_734
.LBB55_2784:
	v_mov_b32_e32 v3, 0
	v_cmp_ne_u16_sdwa s[8:9], v4, v3 src0_sel:BYTE_3 src1_sel:DWORD
	s_andn2_b64 s[4:5], s[4:5], exec
	s_and_b64 s[8:9], s[8:9], exec
	s_or_b64 s[4:5], s[4:5], s[8:9]
	s_or_b64 exec, exec, s[6:7]
	s_and_saveexec_b64 s[6:7], s[4:5]
	s_cbranch_execnz .LBB55_735
	s_branch .LBB55_736
.LBB55_2785:
	s_movk_i32 s4, 0x80
	v_cmp_eq_u16_sdwa s[12:13], v9, s4 src0_sel:BYTE_0 src1_sel:DWORD
	s_mov_b64 s[4:5], -1
                                        ; implicit-def: $sgpr10
	s_and_saveexec_b64 s[8:9], s[12:13]
; %bb.2786:
	s_mov_b32 s10, 0x7f800001
	s_xor_b64 s[4:5], exec, -1
; %bb.2787:
	s_or_b64 exec, exec, s[8:9]
	s_and_b64 s[4:5], s[4:5], exec
	s_or_saveexec_b64 s[6:7], s[6:7]
	v_mov_b32_e32 v2, s10
	s_xor_b64 exec, exec, s[6:7]
	s_cbranch_execz .LBB55_738
.LBB55_2788:
	v_mov_b32_e32 v2, 0
	v_cmp_ne_u16_sdwa s[8:9], v9, v2 src0_sel:BYTE_0 src1_sel:DWORD
	s_andn2_b64 s[4:5], s[4:5], exec
	s_and_b64 s[8:9], s[8:9], exec
	s_or_b64 s[4:5], s[4:5], s[8:9]
	s_or_b64 exec, exec, s[6:7]
	s_and_saveexec_b64 s[6:7], s[4:5]
	s_cbranch_execnz .LBB55_739
	s_branch .LBB55_740
.LBB55_2789:
	s_movk_i32 s4, 0x80
	v_cmp_eq_u16_sdwa s[12:13], v5, s4 src0_sel:BYTE_0 src1_sel:DWORD
	s_mov_b64 s[4:5], -1
                                        ; implicit-def: $sgpr10
	s_and_saveexec_b64 s[8:9], s[12:13]
; %bb.2790:
	s_mov_b32 s10, 0x7f800001
	s_xor_b64 s[4:5], exec, -1
; %bb.2791:
	s_or_b64 exec, exec, s[8:9]
	s_and_b64 s[4:5], s[4:5], exec
	s_or_saveexec_b64 s[6:7], s[6:7]
	v_mov_b32_e32 v3, s10
	s_xor_b64 exec, exec, s[6:7]
	s_cbranch_execz .LBB55_742
.LBB55_2792:
	v_mov_b32_e32 v3, 0
	v_cmp_ne_u16_sdwa s[8:9], v5, v3 src0_sel:BYTE_0 src1_sel:DWORD
	s_andn2_b64 s[4:5], s[4:5], exec
	s_and_b64 s[8:9], s[8:9], exec
	s_or_b64 s[4:5], s[4:5], s[8:9]
	s_or_b64 exec, exec, s[6:7]
	s_and_saveexec_b64 s[6:7], s[4:5]
	s_cbranch_execnz .LBB55_743
	s_branch .LBB55_744
.LBB55_2793:
	s_movk_i32 s4, 0x80
	v_cmp_eq_u16_sdwa s[12:13], v3, s4 src0_sel:BYTE_0 src1_sel:DWORD
	s_mov_b64 s[4:5], -1
                                        ; implicit-def: $sgpr10
	s_and_saveexec_b64 s[8:9], s[12:13]
; %bb.2794:
	s_mov_b32 s10, 0x7f800001
	s_xor_b64 s[4:5], exec, -1
; %bb.2795:
	s_or_b64 exec, exec, s[8:9]
	s_and_b64 s[4:5], s[4:5], exec
	s_or_saveexec_b64 s[6:7], s[6:7]
	v_mov_b32_e32 v2, s10
	s_xor_b64 exec, exec, s[6:7]
	s_cbranch_execz .LBB55_746
.LBB55_2796:
	v_mov_b32_e32 v2, 0
	v_cmp_ne_u16_sdwa s[8:9], v3, v2 src0_sel:BYTE_0 src1_sel:DWORD
	s_andn2_b64 s[4:5], s[4:5], exec
	s_and_b64 s[8:9], s[8:9], exec
	s_or_b64 s[4:5], s[4:5], s[8:9]
	s_or_b64 exec, exec, s[6:7]
	s_and_saveexec_b64 s[6:7], s[4:5]
	s_cbranch_execnz .LBB55_747
	s_branch .LBB55_748
.LBB55_2797:
	s_movk_i32 s4, 0x80
	v_cmp_eq_u16_sdwa s[12:13], v3, s4 src0_sel:BYTE_0 src1_sel:DWORD
	s_mov_b64 s[4:5], -1
                                        ; implicit-def: $sgpr10
	s_and_saveexec_b64 s[8:9], s[12:13]
; %bb.2798:
	s_mov_b32 s10, 0x7f800001
	s_xor_b64 s[4:5], exec, -1
; %bb.2799:
	s_or_b64 exec, exec, s[8:9]
	s_and_b64 s[4:5], s[4:5], exec
	s_or_saveexec_b64 s[6:7], s[6:7]
	v_mov_b32_e32 v4, s10
	s_xor_b64 exec, exec, s[6:7]
	s_cbranch_execz .LBB55_750
.LBB55_2800:
	v_mov_b32_e32 v4, 0
	v_cmp_ne_u16_sdwa s[8:9], v3, v4 src0_sel:BYTE_0 src1_sel:DWORD
	s_andn2_b64 s[4:5], s[4:5], exec
	s_and_b64 s[8:9], s[8:9], exec
	s_or_b64 s[4:5], s[4:5], s[8:9]
	s_or_b64 exec, exec, s[6:7]
	s_and_saveexec_b64 s[6:7], s[4:5]
	s_cbranch_execnz .LBB55_751
	s_branch .LBB55_752
.LBB55_2801:
	s_movk_i32 s4, 0x80
	v_cmp_eq_u16_e32 vcc, s4, v3
	s_mov_b64 s[4:5], -1
                                        ; implicit-def: $sgpr10
	s_and_saveexec_b64 s[8:9], vcc
; %bb.2802:
	s_mov_b32 s10, 0x7f800001
	s_xor_b64 s[4:5], exec, -1
; %bb.2803:
	s_or_b64 exec, exec, s[8:9]
	s_and_b64 s[4:5], s[4:5], exec
                                        ; implicit-def: $vgpr3
	s_or_saveexec_b64 s[6:7], s[6:7]
	v_mov_b32_e32 v2, s10
	s_xor_b64 exec, exec, s[6:7]
	s_cbranch_execz .LBB55_754
.LBB55_2804:
	v_cmp_ne_u16_e32 vcc, 0, v3
	s_andn2_b64 s[4:5], s[4:5], exec
	s_and_b64 s[8:9], vcc, exec
	v_mov_b32_e32 v2, 0
	s_or_b64 s[4:5], s[4:5], s[8:9]
	s_or_b64 exec, exec, s[6:7]
	s_and_saveexec_b64 s[6:7], s[4:5]
	s_cbranch_execnz .LBB55_755
	s_branch .LBB55_756
.LBB55_2805:
	s_movk_i32 s4, 0x80
	v_cmp_eq_u16_e32 vcc, s4, v3
	s_mov_b64 s[4:5], -1
                                        ; implicit-def: $sgpr10
	s_and_saveexec_b64 s[8:9], vcc
; %bb.2806:
	s_mov_b32 s10, 0x7f800001
	s_xor_b64 s[4:5], exec, -1
; %bb.2807:
	s_or_b64 exec, exec, s[8:9]
	s_and_b64 s[4:5], s[4:5], exec
                                        ; implicit-def: $vgpr3
	s_or_saveexec_b64 s[6:7], s[6:7]
	v_mov_b32_e32 v4, s10
	s_xor_b64 exec, exec, s[6:7]
	s_cbranch_execz .LBB55_758
.LBB55_2808:
	v_cmp_ne_u16_e32 vcc, 0, v3
	s_andn2_b64 s[4:5], s[4:5], exec
	s_and_b64 s[8:9], vcc, exec
	v_mov_b32_e32 v4, 0
	s_or_b64 s[4:5], s[4:5], s[8:9]
	s_or_b64 exec, exec, s[6:7]
	s_and_saveexec_b64 s[6:7], s[4:5]
	s_cbranch_execnz .LBB55_759
	s_branch .LBB55_760
.LBB55_2809:
	s_movk_i32 s4, 0x80
	v_cmp_eq_u16_sdwa s[12:13], v9, s4 src0_sel:BYTE_3 src1_sel:DWORD
	s_mov_b64 s[4:5], -1
                                        ; implicit-def: $sgpr10
	s_and_saveexec_b64 s[8:9], s[12:13]
; %bb.2810:
	s_mov_b32 s10, 0x7f800001
	s_xor_b64 s[4:5], exec, -1
; %bb.2811:
	s_or_b64 exec, exec, s[8:9]
	s_and_b64 s[4:5], s[4:5], exec
	s_or_saveexec_b64 s[6:7], s[6:7]
	v_mov_b32_e32 v2, s10
	s_xor_b64 exec, exec, s[6:7]
	s_cbranch_execz .LBB55_762
.LBB55_2812:
	v_mov_b32_e32 v2, 0
	v_cmp_ne_u16_sdwa s[8:9], v9, v2 src0_sel:BYTE_3 src1_sel:DWORD
	s_andn2_b64 s[4:5], s[4:5], exec
	s_and_b64 s[8:9], s[8:9], exec
	s_or_b64 s[4:5], s[4:5], s[8:9]
	s_or_b64 exec, exec, s[6:7]
	s_and_saveexec_b64 s[6:7], s[4:5]
	s_cbranch_execnz .LBB55_763
	s_branch .LBB55_764
.LBB55_2813:
	s_movk_i32 s4, 0x80
	v_cmp_eq_u16_sdwa s[12:13], v5, s4 src0_sel:BYTE_3 src1_sel:DWORD
	s_mov_b64 s[4:5], -1
                                        ; implicit-def: $sgpr10
	s_and_saveexec_b64 s[8:9], s[12:13]
; %bb.2814:
	s_mov_b32 s10, 0x7f800001
	s_xor_b64 s[4:5], exec, -1
; %bb.2815:
	s_or_b64 exec, exec, s[8:9]
	s_and_b64 s[4:5], s[4:5], exec
	s_or_saveexec_b64 s[6:7], s[6:7]
	v_mov_b32_e32 v3, s10
	s_xor_b64 exec, exec, s[6:7]
	s_cbranch_execz .LBB55_766
.LBB55_2816:
	v_mov_b32_e32 v3, 0
	v_cmp_ne_u16_sdwa s[8:9], v5, v3 src0_sel:BYTE_3 src1_sel:DWORD
	s_andn2_b64 s[4:5], s[4:5], exec
	s_and_b64 s[8:9], s[8:9], exec
	s_or_b64 s[4:5], s[4:5], s[8:9]
	s_or_b64 exec, exec, s[6:7]
	s_and_saveexec_b64 s[6:7], s[4:5]
	s_cbranch_execnz .LBB55_767
	s_branch .LBB55_768
.LBB55_2817:
	s_movk_i32 s4, 0x80
	v_cmp_eq_u16_sdwa s[12:13], v14, s4 src0_sel:BYTE_0 src1_sel:DWORD
	s_mov_b64 s[4:5], -1
                                        ; implicit-def: $sgpr10
	s_and_saveexec_b64 s[8:9], s[12:13]
; %bb.2818:
	s_mov_b32 s10, 0x7f800001
	s_xor_b64 s[4:5], exec, -1
; %bb.2819:
	s_or_b64 exec, exec, s[8:9]
	s_and_b64 s[4:5], s[4:5], exec
	s_or_saveexec_b64 s[6:7], s[6:7]
	v_mov_b32_e32 v20, s10
	s_xor_b64 exec, exec, s[6:7]
	s_cbranch_execz .LBB55_770
.LBB55_2820:
	v_mov_b32_e32 v20, 0
	v_cmp_ne_u16_sdwa s[8:9], v14, v20 src0_sel:BYTE_0 src1_sel:DWORD
	s_andn2_b64 s[4:5], s[4:5], exec
	s_and_b64 s[8:9], s[8:9], exec
	s_or_b64 s[4:5], s[4:5], s[8:9]
	s_or_b64 exec, exec, s[6:7]
	s_and_saveexec_b64 s[6:7], s[4:5]
	s_cbranch_execnz .LBB55_771
	s_branch .LBB55_772
.LBB55_2821:
	s_movk_i32 s4, 0x80
	v_cmp_eq_u16_sdwa s[12:13], v10, s4 src0_sel:BYTE_0 src1_sel:DWORD
	s_mov_b64 s[4:5], -1
                                        ; implicit-def: $sgpr10
	s_and_saveexec_b64 s[8:9], s[12:13]
; %bb.2822:
	s_mov_b32 s10, 0x7f800001
	s_xor_b64 s[4:5], exec, -1
; %bb.2823:
	s_or_b64 exec, exec, s[8:9]
	s_and_b64 s[4:5], s[4:5], exec
	s_or_saveexec_b64 s[6:7], s[6:7]
	v_mov_b32_e32 v21, s10
	s_xor_b64 exec, exec, s[6:7]
	s_cbranch_execz .LBB55_774
.LBB55_2824:
	v_mov_b32_e32 v21, 0
	v_cmp_ne_u16_sdwa s[8:9], v10, v21 src0_sel:BYTE_0 src1_sel:DWORD
	s_andn2_b64 s[4:5], s[4:5], exec
	s_and_b64 s[8:9], s[8:9], exec
	s_or_b64 s[4:5], s[4:5], s[8:9]
	s_or_b64 exec, exec, s[6:7]
	s_and_saveexec_b64 s[6:7], s[4:5]
	s_cbranch_execnz .LBB55_775
	s_branch .LBB55_776
.LBB55_2825:
	s_movk_i32 s4, 0x80
	v_cmp_eq_u16_sdwa s[12:13], v21, s4 src0_sel:BYTE_0 src1_sel:DWORD
	s_mov_b64 s[4:5], -1
                                        ; implicit-def: $sgpr10
	s_and_saveexec_b64 s[8:9], s[12:13]
; %bb.2826:
	s_mov_b32 s10, 0x7f800001
	s_xor_b64 s[4:5], exec, -1
; %bb.2827:
	s_or_b64 exec, exec, s[8:9]
	s_and_b64 s[4:5], s[4:5], exec
	s_or_saveexec_b64 s[6:7], s[6:7]
	v_mov_b32_e32 v20, s10
	s_xor_b64 exec, exec, s[6:7]
	s_cbranch_execz .LBB55_778
.LBB55_2828:
	v_mov_b32_e32 v20, 0
	v_cmp_ne_u16_sdwa s[8:9], v21, v20 src0_sel:BYTE_0 src1_sel:DWORD
	s_andn2_b64 s[4:5], s[4:5], exec
	s_and_b64 s[8:9], s[8:9], exec
	s_or_b64 s[4:5], s[4:5], s[8:9]
	s_or_b64 exec, exec, s[6:7]
	s_and_saveexec_b64 s[6:7], s[4:5]
	s_cbranch_execnz .LBB55_779
	s_branch .LBB55_780
.LBB55_2829:
	s_movk_i32 s4, 0x80
	v_cmp_eq_u16_sdwa s[12:13], v21, s4 src0_sel:BYTE_0 src1_sel:DWORD
	s_mov_b64 s[4:5], -1
                                        ; implicit-def: $sgpr10
	s_and_saveexec_b64 s[8:9], s[12:13]
; %bb.2830:
	s_mov_b32 s10, 0x7f800001
	s_xor_b64 s[4:5], exec, -1
; %bb.2831:
	s_or_b64 exec, exec, s[8:9]
	s_and_b64 s[4:5], s[4:5], exec
	s_or_saveexec_b64 s[6:7], s[6:7]
	v_mov_b32_e32 v22, s10
	s_xor_b64 exec, exec, s[6:7]
	s_cbranch_execz .LBB55_782
.LBB55_2832:
	v_mov_b32_e32 v22, 0
	v_cmp_ne_u16_sdwa s[8:9], v21, v22 src0_sel:BYTE_0 src1_sel:DWORD
	s_andn2_b64 s[4:5], s[4:5], exec
	s_and_b64 s[8:9], s[8:9], exec
	s_or_b64 s[4:5], s[4:5], s[8:9]
	s_or_b64 exec, exec, s[6:7]
	s_and_saveexec_b64 s[6:7], s[4:5]
	s_cbranch_execnz .LBB55_783
	s_branch .LBB55_784
.LBB55_2833:
	s_movk_i32 s4, 0x80
	v_cmp_eq_u16_e32 vcc, s4, v21
	s_mov_b64 s[4:5], -1
                                        ; implicit-def: $sgpr10
	s_and_saveexec_b64 s[8:9], vcc
; %bb.2834:
	s_mov_b32 s10, 0x7f800001
	s_xor_b64 s[4:5], exec, -1
; %bb.2835:
	s_or_b64 exec, exec, s[8:9]
	s_and_b64 s[4:5], s[4:5], exec
                                        ; implicit-def: $vgpr21
	s_or_saveexec_b64 s[6:7], s[6:7]
	v_mov_b32_e32 v20, s10
	s_xor_b64 exec, exec, s[6:7]
	s_cbranch_execz .LBB55_786
.LBB55_2836:
	v_cmp_ne_u16_e32 vcc, 0, v21
	s_andn2_b64 s[4:5], s[4:5], exec
	s_and_b64 s[8:9], vcc, exec
	v_mov_b32_e32 v20, 0
	s_or_b64 s[4:5], s[4:5], s[8:9]
	s_or_b64 exec, exec, s[6:7]
	s_and_saveexec_b64 s[6:7], s[4:5]
	s_cbranch_execnz .LBB55_787
	s_branch .LBB55_788
.LBB55_2837:
	s_movk_i32 s4, 0x80
	v_cmp_eq_u16_e32 vcc, s4, v21
	s_mov_b64 s[4:5], -1
                                        ; implicit-def: $sgpr10
	s_and_saveexec_b64 s[8:9], vcc
; %bb.2838:
	s_mov_b32 s10, 0x7f800001
	s_xor_b64 s[4:5], exec, -1
; %bb.2839:
	s_or_b64 exec, exec, s[8:9]
	s_and_b64 s[4:5], s[4:5], exec
                                        ; implicit-def: $vgpr21
	s_or_saveexec_b64 s[6:7], s[6:7]
	v_mov_b32_e32 v22, s10
	s_xor_b64 exec, exec, s[6:7]
	s_cbranch_execz .LBB55_790
.LBB55_2840:
	v_cmp_ne_u16_e32 vcc, 0, v21
	s_andn2_b64 s[4:5], s[4:5], exec
	s_and_b64 s[8:9], vcc, exec
	v_mov_b32_e32 v22, 0
	s_or_b64 s[4:5], s[4:5], s[8:9]
	s_or_b64 exec, exec, s[6:7]
	s_and_saveexec_b64 s[6:7], s[4:5]
	s_cbranch_execnz .LBB55_791
	s_branch .LBB55_792
.LBB55_2841:
	s_movk_i32 s4, 0x80
	v_cmp_eq_u16_sdwa s[12:13], v14, s4 src0_sel:BYTE_3 src1_sel:DWORD
	s_mov_b64 s[4:5], -1
                                        ; implicit-def: $sgpr10
	s_and_saveexec_b64 s[8:9], s[12:13]
; %bb.2842:
	s_mov_b32 s10, 0x7f800001
	s_xor_b64 s[4:5], exec, -1
; %bb.2843:
	s_or_b64 exec, exec, s[8:9]
	s_and_b64 s[4:5], s[4:5], exec
	s_or_saveexec_b64 s[6:7], s[6:7]
	v_mov_b32_e32 v20, s10
	s_xor_b64 exec, exec, s[6:7]
	s_cbranch_execz .LBB55_794
.LBB55_2844:
	v_mov_b32_e32 v20, 0
	v_cmp_ne_u16_sdwa s[8:9], v14, v20 src0_sel:BYTE_3 src1_sel:DWORD
	s_andn2_b64 s[4:5], s[4:5], exec
	s_and_b64 s[8:9], s[8:9], exec
	s_or_b64 s[4:5], s[4:5], s[8:9]
	s_or_b64 exec, exec, s[6:7]
	s_and_saveexec_b64 s[6:7], s[4:5]
	s_cbranch_execnz .LBB55_795
	s_branch .LBB55_796
.LBB55_2845:
	s_movk_i32 s4, 0x80
	v_cmp_eq_u16_sdwa s[12:13], v10, s4 src0_sel:BYTE_3 src1_sel:DWORD
	s_mov_b64 s[4:5], -1
                                        ; implicit-def: $sgpr10
	s_and_saveexec_b64 s[8:9], s[12:13]
; %bb.2846:
	s_mov_b32 s10, 0x7f800001
	s_xor_b64 s[4:5], exec, -1
; %bb.2847:
	s_or_b64 exec, exec, s[8:9]
	s_and_b64 s[4:5], s[4:5], exec
	s_or_saveexec_b64 s[6:7], s[6:7]
	v_mov_b32_e32 v14, s10
	s_xor_b64 exec, exec, s[6:7]
	s_cbranch_execz .LBB55_798
.LBB55_2848:
	v_mov_b32_e32 v14, 0
	v_cmp_ne_u16_sdwa s[8:9], v10, v14 src0_sel:BYTE_3 src1_sel:DWORD
	s_andn2_b64 s[4:5], s[4:5], exec
	s_and_b64 s[8:9], s[8:9], exec
	s_or_b64 s[4:5], s[4:5], s[8:9]
	s_or_b64 exec, exec, s[6:7]
	s_and_saveexec_b64 s[6:7], s[4:5]
	s_cbranch_execnz .LBB55_799
	s_branch .LBB55_800
.LBB55_2849:
	s_movk_i32 s4, 0x80
	v_cmp_eq_u16_sdwa s[12:13], v15, s4 src0_sel:BYTE_0 src1_sel:DWORD
	s_mov_b64 s[4:5], -1
                                        ; implicit-def: $sgpr10
	s_and_saveexec_b64 s[8:9], s[12:13]
; %bb.2850:
	s_mov_b32 s10, 0x7f800001
	s_xor_b64 s[4:5], exec, -1
; %bb.2851:
	s_or_b64 exec, exec, s[8:9]
	s_and_b64 s[4:5], s[4:5], exec
	s_or_saveexec_b64 s[6:7], s[6:7]
	v_mov_b32_e32 v10, s10
	s_xor_b64 exec, exec, s[6:7]
	s_cbranch_execz .LBB55_802
.LBB55_2852:
	v_mov_b32_e32 v10, 0
	v_cmp_ne_u16_sdwa s[8:9], v15, v10 src0_sel:BYTE_0 src1_sel:DWORD
	s_andn2_b64 s[4:5], s[4:5], exec
	s_and_b64 s[8:9], s[8:9], exec
	s_or_b64 s[4:5], s[4:5], s[8:9]
	s_or_b64 exec, exec, s[6:7]
	s_and_saveexec_b64 s[6:7], s[4:5]
	s_cbranch_execnz .LBB55_803
	s_branch .LBB55_804
.LBB55_2853:
	s_movk_i32 s4, 0x80
	v_cmp_eq_u16_sdwa s[12:13], v11, s4 src0_sel:BYTE_0 src1_sel:DWORD
	s_mov_b64 s[4:5], -1
                                        ; implicit-def: $sgpr10
	s_and_saveexec_b64 s[8:9], s[12:13]
; %bb.2854:
	s_mov_b32 s10, 0x7f800001
	s_xor_b64 s[4:5], exec, -1
; %bb.2855:
	s_or_b64 exec, exec, s[8:9]
	s_and_b64 s[4:5], s[4:5], exec
	s_or_saveexec_b64 s[6:7], s[6:7]
	v_mov_b32_e32 v14, s10
	s_xor_b64 exec, exec, s[6:7]
	s_cbranch_execz .LBB55_806
.LBB55_2856:
	v_mov_b32_e32 v14, 0
	v_cmp_ne_u16_sdwa s[8:9], v11, v14 src0_sel:BYTE_0 src1_sel:DWORD
	s_andn2_b64 s[4:5], s[4:5], exec
	s_and_b64 s[8:9], s[8:9], exec
	s_or_b64 s[4:5], s[4:5], s[8:9]
	s_or_b64 exec, exec, s[6:7]
	s_and_saveexec_b64 s[6:7], s[4:5]
	s_cbranch_execnz .LBB55_807
	s_branch .LBB55_808
.LBB55_2857:
	s_movk_i32 s4, 0x80
	v_cmp_eq_u16_sdwa s[12:13], v14, s4 src0_sel:BYTE_0 src1_sel:DWORD
	s_mov_b64 s[4:5], -1
                                        ; implicit-def: $sgpr10
	s_and_saveexec_b64 s[8:9], s[12:13]
; %bb.2858:
	s_mov_b32 s10, 0x7f800001
	s_xor_b64 s[4:5], exec, -1
; %bb.2859:
	s_or_b64 exec, exec, s[8:9]
	s_and_b64 s[4:5], s[4:5], exec
	s_or_saveexec_b64 s[6:7], s[6:7]
	v_mov_b32_e32 v10, s10
	s_xor_b64 exec, exec, s[6:7]
	s_cbranch_execz .LBB55_810
.LBB55_2860:
	v_mov_b32_e32 v10, 0
	v_cmp_ne_u16_sdwa s[8:9], v14, v10 src0_sel:BYTE_0 src1_sel:DWORD
	s_andn2_b64 s[4:5], s[4:5], exec
	s_and_b64 s[8:9], s[8:9], exec
	s_or_b64 s[4:5], s[4:5], s[8:9]
	s_or_b64 exec, exec, s[6:7]
	s_and_saveexec_b64 s[6:7], s[4:5]
	s_cbranch_execnz .LBB55_811
	s_branch .LBB55_812
.LBB55_2861:
	s_movk_i32 s4, 0x80
	v_cmp_eq_u16_sdwa s[12:13], v14, s4 src0_sel:BYTE_0 src1_sel:DWORD
	s_mov_b64 s[4:5], -1
                                        ; implicit-def: $sgpr10
	s_and_saveexec_b64 s[8:9], s[12:13]
; %bb.2862:
	s_mov_b32 s10, 0x7f800001
	s_xor_b64 s[4:5], exec, -1
; %bb.2863:
	s_or_b64 exec, exec, s[8:9]
	s_and_b64 s[4:5], s[4:5], exec
	s_or_saveexec_b64 s[6:7], s[6:7]
	v_mov_b32_e32 v20, s10
	s_xor_b64 exec, exec, s[6:7]
	s_cbranch_execz .LBB55_814
.LBB55_2864:
	v_mov_b32_e32 v20, 0
	v_cmp_ne_u16_sdwa s[8:9], v14, v20 src0_sel:BYTE_0 src1_sel:DWORD
	s_andn2_b64 s[4:5], s[4:5], exec
	s_and_b64 s[8:9], s[8:9], exec
	s_or_b64 s[4:5], s[4:5], s[8:9]
	s_or_b64 exec, exec, s[6:7]
	s_and_saveexec_b64 s[6:7], s[4:5]
	s_cbranch_execnz .LBB55_815
	s_branch .LBB55_816
.LBB55_2865:
	s_movk_i32 s4, 0x80
	v_cmp_eq_u16_e32 vcc, s4, v14
	s_mov_b64 s[4:5], -1
                                        ; implicit-def: $sgpr10
	s_and_saveexec_b64 s[8:9], vcc
; %bb.2866:
	s_mov_b32 s10, 0x7f800001
	s_xor_b64 s[4:5], exec, -1
; %bb.2867:
	s_or_b64 exec, exec, s[8:9]
	s_and_b64 s[4:5], s[4:5], exec
                                        ; implicit-def: $vgpr14
	s_or_saveexec_b64 s[6:7], s[6:7]
	v_mov_b32_e32 v10, s10
	s_xor_b64 exec, exec, s[6:7]
	s_cbranch_execz .LBB55_818
.LBB55_2868:
	v_cmp_ne_u16_e32 vcc, 0, v14
	s_andn2_b64 s[4:5], s[4:5], exec
	s_and_b64 s[8:9], vcc, exec
	v_mov_b32_e32 v10, 0
	s_or_b64 s[4:5], s[4:5], s[8:9]
	s_or_b64 exec, exec, s[6:7]
	s_and_saveexec_b64 s[6:7], s[4:5]
	s_cbranch_execnz .LBB55_819
	s_branch .LBB55_820
.LBB55_2869:
	s_movk_i32 s4, 0x80
	v_cmp_eq_u16_e32 vcc, s4, v14
	s_mov_b64 s[4:5], -1
                                        ; implicit-def: $sgpr10
	s_and_saveexec_b64 s[8:9], vcc
; %bb.2870:
	s_mov_b32 s10, 0x7f800001
	s_xor_b64 s[4:5], exec, -1
; %bb.2871:
	s_or_b64 exec, exec, s[8:9]
	s_and_b64 s[4:5], s[4:5], exec
                                        ; implicit-def: $vgpr14
	s_or_saveexec_b64 s[6:7], s[6:7]
	v_mov_b32_e32 v20, s10
	s_xor_b64 exec, exec, s[6:7]
	s_cbranch_execz .LBB55_822
.LBB55_2872:
	v_cmp_ne_u16_e32 vcc, 0, v14
	s_andn2_b64 s[4:5], s[4:5], exec
	s_and_b64 s[8:9], vcc, exec
	v_mov_b32_e32 v20, 0
	s_or_b64 s[4:5], s[4:5], s[8:9]
	s_or_b64 exec, exec, s[6:7]
	s_and_saveexec_b64 s[6:7], s[4:5]
	s_cbranch_execnz .LBB55_823
	s_branch .LBB55_824
.LBB55_2873:
	s_movk_i32 s4, 0x80
	v_cmp_eq_u16_sdwa s[12:13], v15, s4 src0_sel:BYTE_3 src1_sel:DWORD
	s_mov_b64 s[4:5], -1
                                        ; implicit-def: $sgpr10
	s_and_saveexec_b64 s[8:9], s[12:13]
; %bb.2874:
	s_mov_b32 s10, 0x7f800001
	s_xor_b64 s[4:5], exec, -1
; %bb.2875:
	s_or_b64 exec, exec, s[8:9]
	s_and_b64 s[4:5], s[4:5], exec
	s_or_saveexec_b64 s[6:7], s[6:7]
	v_mov_b32_e32 v10, s10
	s_xor_b64 exec, exec, s[6:7]
	s_cbranch_execz .LBB55_826
.LBB55_2876:
	v_mov_b32_e32 v10, 0
	v_cmp_ne_u16_sdwa s[8:9], v15, v10 src0_sel:BYTE_3 src1_sel:DWORD
	s_andn2_b64 s[4:5], s[4:5], exec
	s_and_b64 s[8:9], s[8:9], exec
	s_or_b64 s[4:5], s[4:5], s[8:9]
	s_or_b64 exec, exec, s[6:7]
	s_and_saveexec_b64 s[6:7], s[4:5]
	s_cbranch_execnz .LBB55_827
	s_branch .LBB55_828
.LBB55_2877:
	s_movk_i32 s4, 0x80
	v_cmp_eq_u16_sdwa s[12:13], v11, s4 src0_sel:BYTE_3 src1_sel:DWORD
	s_mov_b64 s[4:5], -1
                                        ; implicit-def: $sgpr10
	s_and_saveexec_b64 s[8:9], s[12:13]
; %bb.2878:
	s_mov_b32 s10, 0x7f800001
	s_xor_b64 s[4:5], exec, -1
; %bb.2879:
	s_or_b64 exec, exec, s[8:9]
	s_and_b64 s[4:5], s[4:5], exec
	s_or_saveexec_b64 s[6:7], s[6:7]
	v_mov_b32_e32 v14, s10
	s_xor_b64 exec, exec, s[6:7]
	s_cbranch_execz .LBB55_830
.LBB55_2880:
	v_mov_b32_e32 v14, 0
	v_cmp_ne_u16_sdwa s[8:9], v11, v14 src0_sel:BYTE_3 src1_sel:DWORD
	s_andn2_b64 s[4:5], s[4:5], exec
	s_and_b64 s[8:9], s[8:9], exec
	s_or_b64 s[4:5], s[4:5], s[8:9]
	s_or_b64 exec, exec, s[6:7]
	s_and_saveexec_b64 s[6:7], s[4:5]
	s_cbranch_execnz .LBB55_831
	s_branch .LBB55_832
.LBB55_2881:
	s_movk_i32 s4, 0x80
	v_cmp_eq_u16_sdwa s[12:13], v16, s4 src0_sel:BYTE_0 src1_sel:DWORD
	s_mov_b64 s[4:5], -1
                                        ; implicit-def: $sgpr10
	s_and_saveexec_b64 s[8:9], s[12:13]
; %bb.2882:
	s_mov_b32 s10, 0x7f800001
	s_xor_b64 s[4:5], exec, -1
; %bb.2883:
	s_or_b64 exec, exec, s[8:9]
	s_and_b64 s[4:5], s[4:5], exec
	s_or_saveexec_b64 s[6:7], s[6:7]
	v_mov_b32_e32 v10, s10
	s_xor_b64 exec, exec, s[6:7]
	s_cbranch_execz .LBB55_834
.LBB55_2884:
	v_mov_b32_e32 v10, 0
	v_cmp_ne_u16_sdwa s[8:9], v16, v10 src0_sel:BYTE_0 src1_sel:DWORD
	s_andn2_b64 s[4:5], s[4:5], exec
	s_and_b64 s[8:9], s[8:9], exec
	s_or_b64 s[4:5], s[4:5], s[8:9]
	s_or_b64 exec, exec, s[6:7]
	s_and_saveexec_b64 s[6:7], s[4:5]
	s_cbranch_execnz .LBB55_835
	s_branch .LBB55_836
.LBB55_2885:
	s_movk_i32 s4, 0x80
	v_cmp_eq_u16_sdwa s[12:13], v12, s4 src0_sel:BYTE_0 src1_sel:DWORD
	s_mov_b64 s[4:5], -1
                                        ; implicit-def: $sgpr10
	s_and_saveexec_b64 s[8:9], s[12:13]
; %bb.2886:
	s_mov_b32 s10, 0x7f800001
	s_xor_b64 s[4:5], exec, -1
; %bb.2887:
	s_or_b64 exec, exec, s[8:9]
	s_and_b64 s[4:5], s[4:5], exec
	s_or_saveexec_b64 s[6:7], s[6:7]
	v_mov_b32_e32 v11, s10
	s_xor_b64 exec, exec, s[6:7]
	s_cbranch_execz .LBB55_838
.LBB55_2888:
	v_mov_b32_e32 v11, 0
	v_cmp_ne_u16_sdwa s[8:9], v12, v11 src0_sel:BYTE_0 src1_sel:DWORD
	s_andn2_b64 s[4:5], s[4:5], exec
	s_and_b64 s[8:9], s[8:9], exec
	s_or_b64 s[4:5], s[4:5], s[8:9]
	s_or_b64 exec, exec, s[6:7]
	s_and_saveexec_b64 s[6:7], s[4:5]
	s_cbranch_execnz .LBB55_839
	s_branch .LBB55_840
.LBB55_2889:
	s_movk_i32 s4, 0x80
	v_cmp_eq_u16_sdwa s[12:13], v11, s4 src0_sel:BYTE_0 src1_sel:DWORD
	s_mov_b64 s[4:5], -1
                                        ; implicit-def: $sgpr10
	s_and_saveexec_b64 s[8:9], s[12:13]
; %bb.2890:
	s_mov_b32 s10, 0x7f800001
	s_xor_b64 s[4:5], exec, -1
; %bb.2891:
	s_or_b64 exec, exec, s[8:9]
	s_and_b64 s[4:5], s[4:5], exec
	s_or_saveexec_b64 s[6:7], s[6:7]
	v_mov_b32_e32 v10, s10
	s_xor_b64 exec, exec, s[6:7]
	s_cbranch_execz .LBB55_842
.LBB55_2892:
	v_mov_b32_e32 v10, 0
	v_cmp_ne_u16_sdwa s[8:9], v11, v10 src0_sel:BYTE_0 src1_sel:DWORD
	s_andn2_b64 s[4:5], s[4:5], exec
	s_and_b64 s[8:9], s[8:9], exec
	s_or_b64 s[4:5], s[4:5], s[8:9]
	s_or_b64 exec, exec, s[6:7]
	s_and_saveexec_b64 s[6:7], s[4:5]
	s_cbranch_execnz .LBB55_843
	s_branch .LBB55_844
.LBB55_2893:
	s_movk_i32 s4, 0x80
	v_cmp_eq_u16_sdwa s[12:13], v11, s4 src0_sel:BYTE_0 src1_sel:DWORD
	s_mov_b64 s[4:5], -1
                                        ; implicit-def: $sgpr10
	s_and_saveexec_b64 s[8:9], s[12:13]
; %bb.2894:
	s_mov_b32 s10, 0x7f800001
	s_xor_b64 s[4:5], exec, -1
; %bb.2895:
	s_or_b64 exec, exec, s[8:9]
	s_and_b64 s[4:5], s[4:5], exec
	s_or_saveexec_b64 s[6:7], s[6:7]
	v_mov_b32_e32 v14, s10
	s_xor_b64 exec, exec, s[6:7]
	s_cbranch_execz .LBB55_846
.LBB55_2896:
	v_mov_b32_e32 v14, 0
	v_cmp_ne_u16_sdwa s[8:9], v11, v14 src0_sel:BYTE_0 src1_sel:DWORD
	s_andn2_b64 s[4:5], s[4:5], exec
	s_and_b64 s[8:9], s[8:9], exec
	s_or_b64 s[4:5], s[4:5], s[8:9]
	s_or_b64 exec, exec, s[6:7]
	s_and_saveexec_b64 s[6:7], s[4:5]
	s_cbranch_execnz .LBB55_847
	s_branch .LBB55_848
.LBB55_2897:
	s_movk_i32 s4, 0x80
	v_cmp_eq_u16_e32 vcc, s4, v11
	s_mov_b64 s[4:5], -1
                                        ; implicit-def: $sgpr10
	s_and_saveexec_b64 s[8:9], vcc
; %bb.2898:
	s_mov_b32 s10, 0x7f800001
	s_xor_b64 s[4:5], exec, -1
; %bb.2899:
	s_or_b64 exec, exec, s[8:9]
	s_and_b64 s[4:5], s[4:5], exec
                                        ; implicit-def: $vgpr11
	s_or_saveexec_b64 s[6:7], s[6:7]
	v_mov_b32_e32 v10, s10
	s_xor_b64 exec, exec, s[6:7]
	s_cbranch_execz .LBB55_850
.LBB55_2900:
	v_cmp_ne_u16_e32 vcc, 0, v11
	s_andn2_b64 s[4:5], s[4:5], exec
	s_and_b64 s[8:9], vcc, exec
	v_mov_b32_e32 v10, 0
	s_or_b64 s[4:5], s[4:5], s[8:9]
	s_or_b64 exec, exec, s[6:7]
	s_and_saveexec_b64 s[6:7], s[4:5]
	s_cbranch_execnz .LBB55_851
	s_branch .LBB55_852
.LBB55_2901:
	s_movk_i32 s4, 0x80
	v_cmp_eq_u16_e32 vcc, s4, v11
	s_mov_b64 s[4:5], -1
                                        ; implicit-def: $sgpr10
	s_and_saveexec_b64 s[8:9], vcc
; %bb.2902:
	s_mov_b32 s10, 0x7f800001
	s_xor_b64 s[4:5], exec, -1
; %bb.2903:
	s_or_b64 exec, exec, s[8:9]
	s_and_b64 s[4:5], s[4:5], exec
                                        ; implicit-def: $vgpr11
	s_or_saveexec_b64 s[6:7], s[6:7]
	v_mov_b32_e32 v14, s10
	s_xor_b64 exec, exec, s[6:7]
	s_cbranch_execz .LBB55_854
.LBB55_2904:
	v_cmp_ne_u16_e32 vcc, 0, v11
	s_andn2_b64 s[4:5], s[4:5], exec
	s_and_b64 s[8:9], vcc, exec
	v_mov_b32_e32 v14, 0
	s_or_b64 s[4:5], s[4:5], s[8:9]
	s_or_b64 exec, exec, s[6:7]
	s_and_saveexec_b64 s[6:7], s[4:5]
	s_cbranch_execnz .LBB55_855
	s_branch .LBB55_856
.LBB55_2905:
	s_movk_i32 s4, 0x80
	v_cmp_eq_u16_sdwa s[12:13], v16, s4 src0_sel:BYTE_3 src1_sel:DWORD
	s_mov_b64 s[4:5], -1
                                        ; implicit-def: $sgpr10
	s_and_saveexec_b64 s[8:9], s[12:13]
; %bb.2906:
	s_mov_b32 s10, 0x7f800001
	s_xor_b64 s[4:5], exec, -1
; %bb.2907:
	s_or_b64 exec, exec, s[8:9]
	s_and_b64 s[4:5], s[4:5], exec
	s_or_saveexec_b64 s[6:7], s[6:7]
	v_mov_b32_e32 v10, s10
	s_xor_b64 exec, exec, s[6:7]
	s_cbranch_execz .LBB55_858
.LBB55_2908:
	v_mov_b32_e32 v10, 0
	v_cmp_ne_u16_sdwa s[8:9], v16, v10 src0_sel:BYTE_3 src1_sel:DWORD
	s_andn2_b64 s[4:5], s[4:5], exec
	s_and_b64 s[8:9], s[8:9], exec
	s_or_b64 s[4:5], s[4:5], s[8:9]
	s_or_b64 exec, exec, s[6:7]
	s_and_saveexec_b64 s[6:7], s[4:5]
	s_cbranch_execnz .LBB55_859
	s_branch .LBB55_860
.LBB55_2909:
	s_movk_i32 s4, 0x80
	v_cmp_eq_u16_sdwa s[12:13], v12, s4 src0_sel:BYTE_3 src1_sel:DWORD
	s_mov_b64 s[4:5], -1
                                        ; implicit-def: $sgpr10
	s_and_saveexec_b64 s[8:9], s[12:13]
; %bb.2910:
	s_mov_b32 s10, 0x7f800001
	s_xor_b64 s[4:5], exec, -1
; %bb.2911:
	s_or_b64 exec, exec, s[8:9]
	s_and_b64 s[4:5], s[4:5], exec
	s_or_saveexec_b64 s[6:7], s[6:7]
	v_mov_b32_e32 v11, s10
	s_xor_b64 exec, exec, s[6:7]
	s_cbranch_execz .LBB55_862
.LBB55_2912:
	v_mov_b32_e32 v11, 0
	v_cmp_ne_u16_sdwa s[8:9], v12, v11 src0_sel:BYTE_3 src1_sel:DWORD
	s_andn2_b64 s[4:5], s[4:5], exec
	s_and_b64 s[8:9], s[8:9], exec
	s_or_b64 s[4:5], s[4:5], s[8:9]
	s_or_b64 exec, exec, s[6:7]
	s_and_saveexec_b64 s[6:7], s[4:5]
	s_cbranch_execnz .LBB55_863
	s_branch .LBB55_864
.LBB55_2913:
	s_movk_i32 s4, 0x80
	v_cmp_eq_u16_sdwa s[12:13], v17, s4 src0_sel:BYTE_0 src1_sel:DWORD
	s_mov_b64 s[4:5], -1
                                        ; implicit-def: $sgpr10
	s_and_saveexec_b64 s[8:9], s[12:13]
; %bb.2914:
	s_mov_b32 s10, 0x7f800001
	s_xor_b64 s[4:5], exec, -1
; %bb.2915:
	s_or_b64 exec, exec, s[8:9]
	s_and_b64 s[4:5], s[4:5], exec
	s_or_saveexec_b64 s[6:7], s[6:7]
	v_mov_b32_e32 v10, s10
	s_xor_b64 exec, exec, s[6:7]
	s_cbranch_execz .LBB55_866
.LBB55_2916:
	v_mov_b32_e32 v10, 0
	v_cmp_ne_u16_sdwa s[8:9], v17, v10 src0_sel:BYTE_0 src1_sel:DWORD
	s_andn2_b64 s[4:5], s[4:5], exec
	s_and_b64 s[8:9], s[8:9], exec
	s_or_b64 s[4:5], s[4:5], s[8:9]
	s_or_b64 exec, exec, s[6:7]
	s_and_saveexec_b64 s[6:7], s[4:5]
	s_cbranch_execnz .LBB55_867
	s_branch .LBB55_868
.LBB55_2917:
	s_movk_i32 s4, 0x80
	v_cmp_eq_u16_sdwa s[12:13], v13, s4 src0_sel:BYTE_0 src1_sel:DWORD
	s_mov_b64 s[4:5], -1
                                        ; implicit-def: $sgpr10
	s_and_saveexec_b64 s[8:9], s[12:13]
; %bb.2918:
	s_mov_b32 s10, 0x7f800001
	s_xor_b64 s[4:5], exec, -1
; %bb.2919:
	s_or_b64 exec, exec, s[8:9]
	s_and_b64 s[4:5], s[4:5], exec
	s_or_saveexec_b64 s[6:7], s[6:7]
	v_mov_b32_e32 v11, s10
	s_xor_b64 exec, exec, s[6:7]
	s_cbranch_execz .LBB55_870
.LBB55_2920:
	v_mov_b32_e32 v11, 0
	v_cmp_ne_u16_sdwa s[8:9], v13, v11 src0_sel:BYTE_0 src1_sel:DWORD
	s_andn2_b64 s[4:5], s[4:5], exec
	s_and_b64 s[8:9], s[8:9], exec
	s_or_b64 s[4:5], s[4:5], s[8:9]
	s_or_b64 exec, exec, s[6:7]
	s_and_saveexec_b64 s[6:7], s[4:5]
	s_cbranch_execnz .LBB55_871
	s_branch .LBB55_872
.LBB55_2921:
	s_movk_i32 s4, 0x80
	v_cmp_eq_u16_sdwa s[12:13], v11, s4 src0_sel:BYTE_0 src1_sel:DWORD
	s_mov_b64 s[4:5], -1
                                        ; implicit-def: $sgpr10
	s_and_saveexec_b64 s[8:9], s[12:13]
; %bb.2922:
	s_mov_b32 s10, 0x7f800001
	s_xor_b64 s[4:5], exec, -1
; %bb.2923:
	s_or_b64 exec, exec, s[8:9]
	s_and_b64 s[4:5], s[4:5], exec
	s_or_saveexec_b64 s[6:7], s[6:7]
	v_mov_b32_e32 v10, s10
	s_xor_b64 exec, exec, s[6:7]
	s_cbranch_execz .LBB55_874
.LBB55_2924:
	v_mov_b32_e32 v10, 0
	v_cmp_ne_u16_sdwa s[8:9], v11, v10 src0_sel:BYTE_0 src1_sel:DWORD
	s_andn2_b64 s[4:5], s[4:5], exec
	s_and_b64 s[8:9], s[8:9], exec
	s_or_b64 s[4:5], s[4:5], s[8:9]
	s_or_b64 exec, exec, s[6:7]
	s_and_saveexec_b64 s[6:7], s[4:5]
	s_cbranch_execnz .LBB55_875
	s_branch .LBB55_876
.LBB55_2925:
	s_movk_i32 s4, 0x80
	v_cmp_eq_u16_sdwa s[12:13], v11, s4 src0_sel:BYTE_0 src1_sel:DWORD
	s_mov_b64 s[4:5], -1
                                        ; implicit-def: $sgpr10
	s_and_saveexec_b64 s[8:9], s[12:13]
; %bb.2926:
	s_mov_b32 s10, 0x7f800001
	s_xor_b64 s[4:5], exec, -1
; %bb.2927:
	s_or_b64 exec, exec, s[8:9]
	s_and_b64 s[4:5], s[4:5], exec
	s_or_saveexec_b64 s[6:7], s[6:7]
	v_mov_b32_e32 v12, s10
	s_xor_b64 exec, exec, s[6:7]
	s_cbranch_execz .LBB55_878
.LBB55_2928:
	v_mov_b32_e32 v12, 0
	v_cmp_ne_u16_sdwa s[8:9], v11, v12 src0_sel:BYTE_0 src1_sel:DWORD
	s_andn2_b64 s[4:5], s[4:5], exec
	s_and_b64 s[8:9], s[8:9], exec
	s_or_b64 s[4:5], s[4:5], s[8:9]
	s_or_b64 exec, exec, s[6:7]
	s_and_saveexec_b64 s[6:7], s[4:5]
	s_cbranch_execnz .LBB55_879
	s_branch .LBB55_880
.LBB55_2929:
	s_movk_i32 s4, 0x80
	v_cmp_eq_u16_e32 vcc, s4, v11
	s_mov_b64 s[4:5], -1
                                        ; implicit-def: $sgpr10
	s_and_saveexec_b64 s[8:9], vcc
; %bb.2930:
	s_mov_b32 s10, 0x7f800001
	s_xor_b64 s[4:5], exec, -1
; %bb.2931:
	s_or_b64 exec, exec, s[8:9]
	s_and_b64 s[4:5], s[4:5], exec
                                        ; implicit-def: $vgpr11
	s_or_saveexec_b64 s[6:7], s[6:7]
	v_mov_b32_e32 v10, s10
	s_xor_b64 exec, exec, s[6:7]
	s_cbranch_execz .LBB55_882
.LBB55_2932:
	v_cmp_ne_u16_e32 vcc, 0, v11
	s_andn2_b64 s[4:5], s[4:5], exec
	s_and_b64 s[8:9], vcc, exec
	v_mov_b32_e32 v10, 0
	s_or_b64 s[4:5], s[4:5], s[8:9]
	s_or_b64 exec, exec, s[6:7]
	s_and_saveexec_b64 s[6:7], s[4:5]
	s_cbranch_execnz .LBB55_883
	s_branch .LBB55_884
.LBB55_2933:
	s_movk_i32 s4, 0x80
	v_cmp_eq_u16_e32 vcc, s4, v11
	s_mov_b64 s[4:5], -1
                                        ; implicit-def: $sgpr10
	s_and_saveexec_b64 s[8:9], vcc
; %bb.2934:
	s_mov_b32 s10, 0x7f800001
	s_xor_b64 s[4:5], exec, -1
; %bb.2935:
	s_or_b64 exec, exec, s[8:9]
	s_and_b64 s[4:5], s[4:5], exec
                                        ; implicit-def: $vgpr11
	s_or_saveexec_b64 s[6:7], s[6:7]
	v_mov_b32_e32 v12, s10
	s_xor_b64 exec, exec, s[6:7]
	s_cbranch_execz .LBB55_886
.LBB55_2936:
	v_cmp_ne_u16_e32 vcc, 0, v11
	s_andn2_b64 s[4:5], s[4:5], exec
	s_and_b64 s[8:9], vcc, exec
	v_mov_b32_e32 v12, 0
	s_or_b64 s[4:5], s[4:5], s[8:9]
	s_or_b64 exec, exec, s[6:7]
	s_and_saveexec_b64 s[6:7], s[4:5]
	s_cbranch_execnz .LBB55_887
	s_branch .LBB55_888
.LBB55_2937:
	s_movk_i32 s4, 0x80
	v_cmp_eq_u16_sdwa s[12:13], v17, s4 src0_sel:BYTE_3 src1_sel:DWORD
	s_mov_b64 s[4:5], -1
                                        ; implicit-def: $sgpr10
	s_and_saveexec_b64 s[8:9], s[12:13]
; %bb.2938:
	s_mov_b32 s10, 0x7f800001
	s_xor_b64 s[4:5], exec, -1
; %bb.2939:
	s_or_b64 exec, exec, s[8:9]
	s_and_b64 s[4:5], s[4:5], exec
	s_or_saveexec_b64 s[6:7], s[6:7]
	v_mov_b32_e32 v10, s10
	s_xor_b64 exec, exec, s[6:7]
	s_cbranch_execz .LBB55_890
.LBB55_2940:
	v_mov_b32_e32 v10, 0
	v_cmp_ne_u16_sdwa s[8:9], v17, v10 src0_sel:BYTE_3 src1_sel:DWORD
	s_andn2_b64 s[4:5], s[4:5], exec
	s_and_b64 s[8:9], s[8:9], exec
	s_or_b64 s[4:5], s[4:5], s[8:9]
	s_or_b64 exec, exec, s[6:7]
	s_and_saveexec_b64 s[6:7], s[4:5]
	s_cbranch_execnz .LBB55_891
	s_branch .LBB55_892
.LBB55_2941:
	s_movk_i32 s4, 0x80
	v_cmp_eq_u16_sdwa s[12:13], v13, s4 src0_sel:BYTE_3 src1_sel:DWORD
	s_mov_b64 s[4:5], -1
                                        ; implicit-def: $sgpr10
	s_and_saveexec_b64 s[8:9], s[12:13]
; %bb.2942:
	s_mov_b32 s10, 0x7f800001
	s_xor_b64 s[4:5], exec, -1
; %bb.2943:
	s_or_b64 exec, exec, s[8:9]
	s_and_b64 s[4:5], s[4:5], exec
	s_or_saveexec_b64 s[6:7], s[6:7]
	v_mov_b32_e32 v11, s10
	s_xor_b64 exec, exec, s[6:7]
	s_cbranch_execz .LBB55_894
.LBB55_2944:
	v_mov_b32_e32 v11, 0
	v_cmp_ne_u16_sdwa s[8:9], v13, v11 src0_sel:BYTE_3 src1_sel:DWORD
	s_andn2_b64 s[4:5], s[4:5], exec
	s_and_b64 s[8:9], s[8:9], exec
	s_or_b64 s[4:5], s[4:5], s[8:9]
	s_or_b64 exec, exec, s[6:7]
	s_and_saveexec_b64 s[6:7], s[4:5]
	s_cbranch_execnz .LBB55_895
	s_branch .LBB55_896
.LBB55_2945:
	s_movk_i32 s4, 0x80
	v_cmp_eq_u16_sdwa s[12:13], v6, s4 src0_sel:BYTE_0 src1_sel:DWORD
	s_mov_b64 s[4:5], -1
                                        ; implicit-def: $sgpr10
	s_and_saveexec_b64 s[8:9], s[12:13]
; %bb.2946:
	s_mov_b32 s10, 0x7f800001
	s_xor_b64 s[4:5], exec, -1
; %bb.2947:
	s_or_b64 exec, exec, s[8:9]
	s_and_b64 s[4:5], s[4:5], exec
	s_or_saveexec_b64 s[6:7], s[6:7]
	v_mov_b32_e32 v10, s10
	s_xor_b64 exec, exec, s[6:7]
	s_cbranch_execz .LBB55_898
.LBB55_2948:
	v_mov_b32_e32 v10, 0
	v_cmp_ne_u16_sdwa s[8:9], v6, v10 src0_sel:BYTE_0 src1_sel:DWORD
	s_andn2_b64 s[4:5], s[4:5], exec
	s_and_b64 s[8:9], s[8:9], exec
	s_or_b64 s[4:5], s[4:5], s[8:9]
	s_or_b64 exec, exec, s[6:7]
	s_and_saveexec_b64 s[6:7], s[4:5]
	s_cbranch_execnz .LBB55_899
	s_branch .LBB55_900
.LBB55_2949:
	s_movk_i32 s4, 0x80
	v_cmp_eq_u16_sdwa s[12:13], v2, s4 src0_sel:BYTE_0 src1_sel:DWORD
	s_mov_b64 s[4:5], -1
                                        ; implicit-def: $sgpr10
	s_and_saveexec_b64 s[8:9], s[12:13]
; %bb.2950:
	s_mov_b32 s10, 0x7f800001
	s_xor_b64 s[4:5], exec, -1
; %bb.2951:
	s_or_b64 exec, exec, s[8:9]
	s_and_b64 s[4:5], s[4:5], exec
	s_or_saveexec_b64 s[6:7], s[6:7]
	v_mov_b32_e32 v11, s10
	s_xor_b64 exec, exec, s[6:7]
	s_cbranch_execz .LBB55_902
.LBB55_2952:
	v_mov_b32_e32 v11, 0
	v_cmp_ne_u16_sdwa s[8:9], v2, v11 src0_sel:BYTE_0 src1_sel:DWORD
	s_andn2_b64 s[4:5], s[4:5], exec
	s_and_b64 s[8:9], s[8:9], exec
	s_or_b64 s[4:5], s[4:5], s[8:9]
	s_or_b64 exec, exec, s[6:7]
	s_and_saveexec_b64 s[6:7], s[4:5]
	s_cbranch_execnz .LBB55_903
	s_branch .LBB55_904
.LBB55_2953:
	s_movk_i32 s4, 0x80
	v_cmp_eq_u16_sdwa s[12:13], v11, s4 src0_sel:BYTE_0 src1_sel:DWORD
	s_mov_b64 s[4:5], -1
                                        ; implicit-def: $sgpr10
	s_and_saveexec_b64 s[8:9], s[12:13]
; %bb.2954:
	s_mov_b32 s10, 0x7f800001
	s_xor_b64 s[4:5], exec, -1
; %bb.2955:
	s_or_b64 exec, exec, s[8:9]
	s_and_b64 s[4:5], s[4:5], exec
	s_or_saveexec_b64 s[6:7], s[6:7]
	v_mov_b32_e32 v10, s10
	s_xor_b64 exec, exec, s[6:7]
	s_cbranch_execz .LBB55_906
.LBB55_2956:
	v_mov_b32_e32 v10, 0
	v_cmp_ne_u16_sdwa s[8:9], v11, v10 src0_sel:BYTE_0 src1_sel:DWORD
	s_andn2_b64 s[4:5], s[4:5], exec
	s_and_b64 s[8:9], s[8:9], exec
	s_or_b64 s[4:5], s[4:5], s[8:9]
	s_or_b64 exec, exec, s[6:7]
	s_and_saveexec_b64 s[6:7], s[4:5]
	s_cbranch_execnz .LBB55_907
	s_branch .LBB55_908
.LBB55_2957:
	s_movk_i32 s4, 0x80
	v_cmp_eq_u16_sdwa s[12:13], v11, s4 src0_sel:BYTE_0 src1_sel:DWORD
	s_mov_b64 s[4:5], -1
                                        ; implicit-def: $sgpr10
	s_and_saveexec_b64 s[8:9], s[12:13]
; %bb.2958:
	s_mov_b32 s10, 0x7f800001
	s_xor_b64 s[4:5], exec, -1
; %bb.2959:
	s_or_b64 exec, exec, s[8:9]
	s_and_b64 s[4:5], s[4:5], exec
	s_or_saveexec_b64 s[6:7], s[6:7]
	v_mov_b32_e32 v12, s10
	s_xor_b64 exec, exec, s[6:7]
	s_cbranch_execz .LBB55_910
.LBB55_2960:
	v_mov_b32_e32 v12, 0
	v_cmp_ne_u16_sdwa s[8:9], v11, v12 src0_sel:BYTE_0 src1_sel:DWORD
	s_andn2_b64 s[4:5], s[4:5], exec
	s_and_b64 s[8:9], s[8:9], exec
	s_or_b64 s[4:5], s[4:5], s[8:9]
	s_or_b64 exec, exec, s[6:7]
	s_and_saveexec_b64 s[6:7], s[4:5]
	s_cbranch_execnz .LBB55_911
	s_branch .LBB55_912
.LBB55_2961:
	s_movk_i32 s4, 0x80
	v_cmp_eq_u16_e32 vcc, s4, v11
	s_mov_b64 s[4:5], -1
                                        ; implicit-def: $sgpr10
	s_and_saveexec_b64 s[8:9], vcc
; %bb.2962:
	s_mov_b32 s10, 0x7f800001
	s_xor_b64 s[4:5], exec, -1
; %bb.2963:
	s_or_b64 exec, exec, s[8:9]
	s_and_b64 s[4:5], s[4:5], exec
                                        ; implicit-def: $vgpr11
	s_or_saveexec_b64 s[6:7], s[6:7]
	v_mov_b32_e32 v10, s10
	s_xor_b64 exec, exec, s[6:7]
	s_cbranch_execz .LBB55_914
.LBB55_2964:
	v_cmp_ne_u16_e32 vcc, 0, v11
	s_andn2_b64 s[4:5], s[4:5], exec
	s_and_b64 s[8:9], vcc, exec
	v_mov_b32_e32 v10, 0
	s_or_b64 s[4:5], s[4:5], s[8:9]
	s_or_b64 exec, exec, s[6:7]
	s_and_saveexec_b64 s[6:7], s[4:5]
	s_cbranch_execnz .LBB55_915
	s_branch .LBB55_916
.LBB55_2965:
	s_movk_i32 s4, 0x80
	v_cmp_eq_u16_e32 vcc, s4, v11
	s_mov_b64 s[4:5], -1
                                        ; implicit-def: $sgpr10
	s_and_saveexec_b64 s[8:9], vcc
; %bb.2966:
	s_mov_b32 s10, 0x7f800001
	s_xor_b64 s[4:5], exec, -1
; %bb.2967:
	s_or_b64 exec, exec, s[8:9]
	s_and_b64 s[4:5], s[4:5], exec
                                        ; implicit-def: $vgpr11
	s_or_saveexec_b64 s[6:7], s[6:7]
	v_mov_b32_e32 v12, s10
	s_xor_b64 exec, exec, s[6:7]
	s_cbranch_execz .LBB55_918
.LBB55_2968:
	v_cmp_ne_u16_e32 vcc, 0, v11
	s_andn2_b64 s[4:5], s[4:5], exec
	s_and_b64 s[8:9], vcc, exec
	v_mov_b32_e32 v12, 0
	s_or_b64 s[4:5], s[4:5], s[8:9]
	s_or_b64 exec, exec, s[6:7]
	s_and_saveexec_b64 s[6:7], s[4:5]
	s_cbranch_execnz .LBB55_919
	s_branch .LBB55_920
.LBB55_2969:
	s_movk_i32 s4, 0x80
	v_cmp_eq_u16_sdwa s[12:13], v6, s4 src0_sel:BYTE_3 src1_sel:DWORD
	s_mov_b64 s[4:5], -1
                                        ; implicit-def: $sgpr10
	s_and_saveexec_b64 s[8:9], s[12:13]
; %bb.2970:
	s_mov_b32 s10, 0x7f800001
	s_xor_b64 s[4:5], exec, -1
; %bb.2971:
	s_or_b64 exec, exec, s[8:9]
	s_and_b64 s[4:5], s[4:5], exec
	s_or_saveexec_b64 s[6:7], s[6:7]
	v_mov_b32_e32 v10, s10
	s_xor_b64 exec, exec, s[6:7]
	s_cbranch_execz .LBB55_922
.LBB55_2972:
	v_mov_b32_e32 v10, 0
	v_cmp_ne_u16_sdwa s[8:9], v6, v10 src0_sel:BYTE_3 src1_sel:DWORD
	s_andn2_b64 s[4:5], s[4:5], exec
	s_and_b64 s[8:9], s[8:9], exec
	s_or_b64 s[4:5], s[4:5], s[8:9]
	s_or_b64 exec, exec, s[6:7]
	s_and_saveexec_b64 s[6:7], s[4:5]
	s_cbranch_execnz .LBB55_923
	s_branch .LBB55_924
.LBB55_2973:
	s_movk_i32 s4, 0x80
	v_cmp_eq_u16_sdwa s[12:13], v2, s4 src0_sel:BYTE_3 src1_sel:DWORD
	s_mov_b64 s[4:5], -1
                                        ; implicit-def: $sgpr10
	s_and_saveexec_b64 s[8:9], s[12:13]
; %bb.2974:
	s_mov_b32 s10, 0x7f800001
	s_xor_b64 s[4:5], exec, -1
; %bb.2975:
	s_or_b64 exec, exec, s[8:9]
	s_and_b64 s[4:5], s[4:5], exec
	s_or_saveexec_b64 s[6:7], s[6:7]
	v_mov_b32_e32 v6, s10
	s_xor_b64 exec, exec, s[6:7]
	s_cbranch_execz .LBB55_926
.LBB55_2976:
	v_mov_b32_e32 v6, 0
	v_cmp_ne_u16_sdwa s[8:9], v2, v6 src0_sel:BYTE_3 src1_sel:DWORD
	s_andn2_b64 s[4:5], s[4:5], exec
	s_and_b64 s[8:9], s[8:9], exec
	s_or_b64 s[4:5], s[4:5], s[8:9]
	s_or_b64 exec, exec, s[6:7]
	s_and_saveexec_b64 s[6:7], s[4:5]
	s_cbranch_execnz .LBB55_927
	s_branch .LBB55_928
.LBB55_2977:
	s_movk_i32 s4, 0x80
	v_cmp_eq_u16_sdwa s[12:13], v7, s4 src0_sel:BYTE_0 src1_sel:DWORD
	s_mov_b64 s[4:5], -1
                                        ; implicit-def: $sgpr10
	s_and_saveexec_b64 s[8:9], s[12:13]
; %bb.2978:
	s_mov_b32 s10, 0x7f800001
	s_xor_b64 s[4:5], exec, -1
; %bb.2979:
	s_or_b64 exec, exec, s[8:9]
	s_and_b64 s[4:5], s[4:5], exec
	s_or_saveexec_b64 s[6:7], s[6:7]
	v_mov_b32_e32 v2, s10
	s_xor_b64 exec, exec, s[6:7]
	s_cbranch_execz .LBB55_930
.LBB55_2980:
	v_mov_b32_e32 v2, 0
	v_cmp_ne_u16_sdwa s[8:9], v7, v2 src0_sel:BYTE_0 src1_sel:DWORD
	s_andn2_b64 s[4:5], s[4:5], exec
	s_and_b64 s[8:9], s[8:9], exec
	s_or_b64 s[4:5], s[4:5], s[8:9]
	s_or_b64 exec, exec, s[6:7]
	s_and_saveexec_b64 s[6:7], s[4:5]
	s_cbranch_execnz .LBB55_931
	s_branch .LBB55_932
.LBB55_2981:
	s_movk_i32 s4, 0x80
	v_cmp_eq_u16_sdwa s[12:13], v3, s4 src0_sel:BYTE_0 src1_sel:DWORD
	s_mov_b64 s[4:5], -1
                                        ; implicit-def: $sgpr10
	s_and_saveexec_b64 s[8:9], s[12:13]
; %bb.2982:
	s_mov_b32 s10, 0x7f800001
	s_xor_b64 s[4:5], exec, -1
; %bb.2983:
	s_or_b64 exec, exec, s[8:9]
	s_and_b64 s[4:5], s[4:5], exec
	s_or_saveexec_b64 s[6:7], s[6:7]
	v_mov_b32_e32 v6, s10
	s_xor_b64 exec, exec, s[6:7]
	s_cbranch_execz .LBB55_934
.LBB55_2984:
	v_mov_b32_e32 v6, 0
	v_cmp_ne_u16_sdwa s[8:9], v3, v6 src0_sel:BYTE_0 src1_sel:DWORD
	s_andn2_b64 s[4:5], s[4:5], exec
	s_and_b64 s[8:9], s[8:9], exec
	s_or_b64 s[4:5], s[4:5], s[8:9]
	s_or_b64 exec, exec, s[6:7]
	s_and_saveexec_b64 s[6:7], s[4:5]
	s_cbranch_execnz .LBB55_935
	s_branch .LBB55_936
.LBB55_2985:
	s_movk_i32 s4, 0x80
	v_cmp_eq_u16_sdwa s[12:13], v6, s4 src0_sel:BYTE_0 src1_sel:DWORD
	s_mov_b64 s[4:5], -1
                                        ; implicit-def: $sgpr10
	s_and_saveexec_b64 s[8:9], s[12:13]
; %bb.2986:
	s_mov_b32 s10, 0x7f800001
	s_xor_b64 s[4:5], exec, -1
; %bb.2987:
	s_or_b64 exec, exec, s[8:9]
	s_and_b64 s[4:5], s[4:5], exec
	s_or_saveexec_b64 s[6:7], s[6:7]
	v_mov_b32_e32 v2, s10
	s_xor_b64 exec, exec, s[6:7]
	s_cbranch_execz .LBB55_938
.LBB55_2988:
	v_mov_b32_e32 v2, 0
	v_cmp_ne_u16_sdwa s[8:9], v6, v2 src0_sel:BYTE_0 src1_sel:DWORD
	s_andn2_b64 s[4:5], s[4:5], exec
	s_and_b64 s[8:9], s[8:9], exec
	s_or_b64 s[4:5], s[4:5], s[8:9]
	s_or_b64 exec, exec, s[6:7]
	s_and_saveexec_b64 s[6:7], s[4:5]
	s_cbranch_execnz .LBB55_939
	s_branch .LBB55_940
.LBB55_2989:
	s_movk_i32 s4, 0x80
	v_cmp_eq_u16_sdwa s[12:13], v6, s4 src0_sel:BYTE_0 src1_sel:DWORD
	s_mov_b64 s[4:5], -1
                                        ; implicit-def: $sgpr10
	s_and_saveexec_b64 s[8:9], s[12:13]
; %bb.2990:
	s_mov_b32 s10, 0x7f800001
	s_xor_b64 s[4:5], exec, -1
; %bb.2991:
	s_or_b64 exec, exec, s[8:9]
	s_and_b64 s[4:5], s[4:5], exec
	s_or_saveexec_b64 s[6:7], s[6:7]
	v_mov_b32_e32 v10, s10
	s_xor_b64 exec, exec, s[6:7]
	s_cbranch_execz .LBB55_942
.LBB55_2992:
	v_mov_b32_e32 v10, 0
	v_cmp_ne_u16_sdwa s[8:9], v6, v10 src0_sel:BYTE_0 src1_sel:DWORD
	s_andn2_b64 s[4:5], s[4:5], exec
	s_and_b64 s[8:9], s[8:9], exec
	s_or_b64 s[4:5], s[4:5], s[8:9]
	s_or_b64 exec, exec, s[6:7]
	s_and_saveexec_b64 s[6:7], s[4:5]
	s_cbranch_execnz .LBB55_943
	s_branch .LBB55_944
.LBB55_2993:
	s_movk_i32 s4, 0x80
	v_cmp_eq_u16_e32 vcc, s4, v6
	s_mov_b64 s[4:5], -1
                                        ; implicit-def: $sgpr10
	s_and_saveexec_b64 s[8:9], vcc
; %bb.2994:
	s_mov_b32 s10, 0x7f800001
	s_xor_b64 s[4:5], exec, -1
; %bb.2995:
	s_or_b64 exec, exec, s[8:9]
	s_and_b64 s[4:5], s[4:5], exec
                                        ; implicit-def: $vgpr6
	s_or_saveexec_b64 s[6:7], s[6:7]
	v_mov_b32_e32 v2, s10
	s_xor_b64 exec, exec, s[6:7]
	s_cbranch_execz .LBB55_946
.LBB55_2996:
	v_cmp_ne_u16_e32 vcc, 0, v6
	s_andn2_b64 s[4:5], s[4:5], exec
	s_and_b64 s[8:9], vcc, exec
	v_mov_b32_e32 v2, 0
	s_or_b64 s[4:5], s[4:5], s[8:9]
	s_or_b64 exec, exec, s[6:7]
	s_and_saveexec_b64 s[6:7], s[4:5]
	s_cbranch_execnz .LBB55_947
	s_branch .LBB55_948
.LBB55_2997:
	s_movk_i32 s4, 0x80
	v_cmp_eq_u16_e32 vcc, s4, v6
	s_mov_b64 s[4:5], -1
                                        ; implicit-def: $sgpr10
	s_and_saveexec_b64 s[8:9], vcc
; %bb.2998:
	s_mov_b32 s10, 0x7f800001
	s_xor_b64 s[4:5], exec, -1
; %bb.2999:
	s_or_b64 exec, exec, s[8:9]
	s_and_b64 s[4:5], s[4:5], exec
                                        ; implicit-def: $vgpr6
	s_or_saveexec_b64 s[6:7], s[6:7]
	v_mov_b32_e32 v10, s10
	s_xor_b64 exec, exec, s[6:7]
	s_cbranch_execz .LBB55_950
.LBB55_3000:
	v_cmp_ne_u16_e32 vcc, 0, v6
	s_andn2_b64 s[4:5], s[4:5], exec
	s_and_b64 s[8:9], vcc, exec
	v_mov_b32_e32 v10, 0
	s_or_b64 s[4:5], s[4:5], s[8:9]
	s_or_b64 exec, exec, s[6:7]
	s_and_saveexec_b64 s[6:7], s[4:5]
	s_cbranch_execnz .LBB55_951
	s_branch .LBB55_952
.LBB55_3001:
	s_movk_i32 s4, 0x80
	v_cmp_eq_u16_sdwa s[12:13], v7, s4 src0_sel:BYTE_3 src1_sel:DWORD
	s_mov_b64 s[4:5], -1
                                        ; implicit-def: $sgpr10
	s_and_saveexec_b64 s[8:9], s[12:13]
; %bb.3002:
	s_mov_b32 s10, 0x7f800001
	s_xor_b64 s[4:5], exec, -1
; %bb.3003:
	s_or_b64 exec, exec, s[8:9]
	s_and_b64 s[4:5], s[4:5], exec
	s_or_saveexec_b64 s[6:7], s[6:7]
	v_mov_b32_e32 v2, s10
	s_xor_b64 exec, exec, s[6:7]
	s_cbranch_execz .LBB55_954
.LBB55_3004:
	v_mov_b32_e32 v2, 0
	v_cmp_ne_u16_sdwa s[8:9], v7, v2 src0_sel:BYTE_3 src1_sel:DWORD
	s_andn2_b64 s[4:5], s[4:5], exec
	s_and_b64 s[8:9], s[8:9], exec
	s_or_b64 s[4:5], s[4:5], s[8:9]
	s_or_b64 exec, exec, s[6:7]
	s_and_saveexec_b64 s[6:7], s[4:5]
	s_cbranch_execnz .LBB55_955
	s_branch .LBB55_956
.LBB55_3005:
	s_movk_i32 s4, 0x80
	v_cmp_eq_u16_sdwa s[12:13], v3, s4 src0_sel:BYTE_3 src1_sel:DWORD
	s_mov_b64 s[4:5], -1
                                        ; implicit-def: $sgpr10
	s_and_saveexec_b64 s[8:9], s[12:13]
; %bb.3006:
	s_mov_b32 s10, 0x7f800001
	s_xor_b64 s[4:5], exec, -1
; %bb.3007:
	s_or_b64 exec, exec, s[8:9]
	s_and_b64 s[4:5], s[4:5], exec
	s_or_saveexec_b64 s[6:7], s[6:7]
	v_mov_b32_e32 v6, s10
	s_xor_b64 exec, exec, s[6:7]
	s_cbranch_execz .LBB55_958
.LBB55_3008:
	v_mov_b32_e32 v6, 0
	v_cmp_ne_u16_sdwa s[8:9], v3, v6 src0_sel:BYTE_3 src1_sel:DWORD
	s_andn2_b64 s[4:5], s[4:5], exec
	s_and_b64 s[8:9], s[8:9], exec
	s_or_b64 s[4:5], s[4:5], s[8:9]
	s_or_b64 exec, exec, s[6:7]
	s_and_saveexec_b64 s[6:7], s[4:5]
	s_cbranch_execnz .LBB55_959
	s_branch .LBB55_960
.LBB55_3009:
	s_movk_i32 s4, 0x80
	v_cmp_eq_u16_sdwa s[12:13], v8, s4 src0_sel:BYTE_0 src1_sel:DWORD
	s_mov_b64 s[4:5], -1
                                        ; implicit-def: $sgpr10
	s_and_saveexec_b64 s[8:9], s[12:13]
; %bb.3010:
	s_mov_b32 s10, 0x7f800001
	s_xor_b64 s[4:5], exec, -1
; %bb.3011:
	s_or_b64 exec, exec, s[8:9]
	s_and_b64 s[4:5], s[4:5], exec
	s_or_saveexec_b64 s[6:7], s[6:7]
	v_mov_b32_e32 v2, s10
	s_xor_b64 exec, exec, s[6:7]
	s_cbranch_execz .LBB55_962
.LBB55_3012:
	v_mov_b32_e32 v2, 0
	v_cmp_ne_u16_sdwa s[8:9], v8, v2 src0_sel:BYTE_0 src1_sel:DWORD
	s_andn2_b64 s[4:5], s[4:5], exec
	s_and_b64 s[8:9], s[8:9], exec
	s_or_b64 s[4:5], s[4:5], s[8:9]
	s_or_b64 exec, exec, s[6:7]
	s_and_saveexec_b64 s[6:7], s[4:5]
	s_cbranch_execnz .LBB55_963
	s_branch .LBB55_964
.LBB55_3013:
	s_movk_i32 s4, 0x80
	v_cmp_eq_u16_sdwa s[12:13], v4, s4 src0_sel:BYTE_0 src1_sel:DWORD
	s_mov_b64 s[4:5], -1
                                        ; implicit-def: $sgpr10
	s_and_saveexec_b64 s[8:9], s[12:13]
; %bb.3014:
	s_mov_b32 s10, 0x7f800001
	s_xor_b64 s[4:5], exec, -1
; %bb.3015:
	s_or_b64 exec, exec, s[8:9]
	s_and_b64 s[4:5], s[4:5], exec
	s_or_saveexec_b64 s[6:7], s[6:7]
	v_mov_b32_e32 v3, s10
	s_xor_b64 exec, exec, s[6:7]
	s_cbranch_execz .LBB55_966
.LBB55_3016:
	v_mov_b32_e32 v3, 0
	v_cmp_ne_u16_sdwa s[8:9], v4, v3 src0_sel:BYTE_0 src1_sel:DWORD
	s_andn2_b64 s[4:5], s[4:5], exec
	s_and_b64 s[8:9], s[8:9], exec
	s_or_b64 s[4:5], s[4:5], s[8:9]
	s_or_b64 exec, exec, s[6:7]
	s_and_saveexec_b64 s[6:7], s[4:5]
	s_cbranch_execnz .LBB55_967
	s_branch .LBB55_968
.LBB55_3017:
	s_movk_i32 s4, 0x80
	v_cmp_eq_u16_sdwa s[12:13], v3, s4 src0_sel:BYTE_0 src1_sel:DWORD
	s_mov_b64 s[4:5], -1
                                        ; implicit-def: $sgpr10
	s_and_saveexec_b64 s[8:9], s[12:13]
; %bb.3018:
	s_mov_b32 s10, 0x7f800001
	s_xor_b64 s[4:5], exec, -1
; %bb.3019:
	s_or_b64 exec, exec, s[8:9]
	s_and_b64 s[4:5], s[4:5], exec
	s_or_saveexec_b64 s[6:7], s[6:7]
	v_mov_b32_e32 v2, s10
	s_xor_b64 exec, exec, s[6:7]
	s_cbranch_execz .LBB55_970
.LBB55_3020:
	v_mov_b32_e32 v2, 0
	v_cmp_ne_u16_sdwa s[8:9], v3, v2 src0_sel:BYTE_0 src1_sel:DWORD
	s_andn2_b64 s[4:5], s[4:5], exec
	s_and_b64 s[8:9], s[8:9], exec
	s_or_b64 s[4:5], s[4:5], s[8:9]
	s_or_b64 exec, exec, s[6:7]
	s_and_saveexec_b64 s[6:7], s[4:5]
	s_cbranch_execnz .LBB55_971
	s_branch .LBB55_972
.LBB55_3021:
	s_movk_i32 s4, 0x80
	v_cmp_eq_u16_sdwa s[12:13], v3, s4 src0_sel:BYTE_0 src1_sel:DWORD
	s_mov_b64 s[4:5], -1
                                        ; implicit-def: $sgpr10
	s_and_saveexec_b64 s[8:9], s[12:13]
; %bb.3022:
	s_mov_b32 s10, 0x7f800001
	s_xor_b64 s[4:5], exec, -1
; %bb.3023:
	s_or_b64 exec, exec, s[8:9]
	s_and_b64 s[4:5], s[4:5], exec
	s_or_saveexec_b64 s[6:7], s[6:7]
	v_mov_b32_e32 v6, s10
	s_xor_b64 exec, exec, s[6:7]
	s_cbranch_execz .LBB55_974
.LBB55_3024:
	v_mov_b32_e32 v6, 0
	v_cmp_ne_u16_sdwa s[8:9], v3, v6 src0_sel:BYTE_0 src1_sel:DWORD
	s_andn2_b64 s[4:5], s[4:5], exec
	s_and_b64 s[8:9], s[8:9], exec
	s_or_b64 s[4:5], s[4:5], s[8:9]
	s_or_b64 exec, exec, s[6:7]
	s_and_saveexec_b64 s[6:7], s[4:5]
	s_cbranch_execnz .LBB55_975
	s_branch .LBB55_976
.LBB55_3025:
	s_movk_i32 s4, 0x80
	v_cmp_eq_u16_e32 vcc, s4, v3
	s_mov_b64 s[4:5], -1
                                        ; implicit-def: $sgpr10
	s_and_saveexec_b64 s[8:9], vcc
; %bb.3026:
	s_mov_b32 s10, 0x7f800001
	s_xor_b64 s[4:5], exec, -1
; %bb.3027:
	s_or_b64 exec, exec, s[8:9]
	s_and_b64 s[4:5], s[4:5], exec
                                        ; implicit-def: $vgpr3
	s_or_saveexec_b64 s[6:7], s[6:7]
	v_mov_b32_e32 v2, s10
	s_xor_b64 exec, exec, s[6:7]
	s_cbranch_execz .LBB55_978
.LBB55_3028:
	v_cmp_ne_u16_e32 vcc, 0, v3
	s_andn2_b64 s[4:5], s[4:5], exec
	s_and_b64 s[8:9], vcc, exec
	v_mov_b32_e32 v2, 0
	s_or_b64 s[4:5], s[4:5], s[8:9]
	s_or_b64 exec, exec, s[6:7]
	s_and_saveexec_b64 s[6:7], s[4:5]
	s_cbranch_execnz .LBB55_979
	s_branch .LBB55_980
.LBB55_3029:
	s_movk_i32 s4, 0x80
	v_cmp_eq_u16_e32 vcc, s4, v3
	s_mov_b64 s[4:5], -1
                                        ; implicit-def: $sgpr10
	s_and_saveexec_b64 s[8:9], vcc
; %bb.3030:
	s_mov_b32 s10, 0x7f800001
	s_xor_b64 s[4:5], exec, -1
; %bb.3031:
	s_or_b64 exec, exec, s[8:9]
	s_and_b64 s[4:5], s[4:5], exec
                                        ; implicit-def: $vgpr3
	s_or_saveexec_b64 s[6:7], s[6:7]
	v_mov_b32_e32 v6, s10
	s_xor_b64 exec, exec, s[6:7]
	s_cbranch_execz .LBB55_982
.LBB55_3032:
	v_cmp_ne_u16_e32 vcc, 0, v3
	s_andn2_b64 s[4:5], s[4:5], exec
	s_and_b64 s[8:9], vcc, exec
	v_mov_b32_e32 v6, 0
	s_or_b64 s[4:5], s[4:5], s[8:9]
	s_or_b64 exec, exec, s[6:7]
	s_and_saveexec_b64 s[6:7], s[4:5]
	s_cbranch_execnz .LBB55_983
	s_branch .LBB55_984
.LBB55_3033:
	s_movk_i32 s4, 0x80
	v_cmp_eq_u16_sdwa s[12:13], v8, s4 src0_sel:BYTE_3 src1_sel:DWORD
	s_mov_b64 s[4:5], -1
                                        ; implicit-def: $sgpr10
	s_and_saveexec_b64 s[8:9], s[12:13]
; %bb.3034:
	s_mov_b32 s10, 0x7f800001
	s_xor_b64 s[4:5], exec, -1
; %bb.3035:
	s_or_b64 exec, exec, s[8:9]
	s_and_b64 s[4:5], s[4:5], exec
	s_or_saveexec_b64 s[6:7], s[6:7]
	v_mov_b32_e32 v2, s10
	s_xor_b64 exec, exec, s[6:7]
	s_cbranch_execz .LBB55_986
.LBB55_3036:
	v_mov_b32_e32 v2, 0
	v_cmp_ne_u16_sdwa s[8:9], v8, v2 src0_sel:BYTE_3 src1_sel:DWORD
	s_andn2_b64 s[4:5], s[4:5], exec
	s_and_b64 s[8:9], s[8:9], exec
	s_or_b64 s[4:5], s[4:5], s[8:9]
	s_or_b64 exec, exec, s[6:7]
	s_and_saveexec_b64 s[6:7], s[4:5]
	s_cbranch_execnz .LBB55_987
	s_branch .LBB55_988
.LBB55_3037:
	s_movk_i32 s4, 0x80
	v_cmp_eq_u16_sdwa s[12:13], v4, s4 src0_sel:BYTE_3 src1_sel:DWORD
	s_mov_b64 s[4:5], -1
                                        ; implicit-def: $sgpr10
	s_and_saveexec_b64 s[8:9], s[12:13]
; %bb.3038:
	s_mov_b32 s10, 0x7f800001
	s_xor_b64 s[4:5], exec, -1
; %bb.3039:
	s_or_b64 exec, exec, s[8:9]
	s_and_b64 s[4:5], s[4:5], exec
	s_or_saveexec_b64 s[6:7], s[6:7]
	v_mov_b32_e32 v3, s10
	s_xor_b64 exec, exec, s[6:7]
	s_cbranch_execz .LBB55_990
.LBB55_3040:
	v_mov_b32_e32 v3, 0
	v_cmp_ne_u16_sdwa s[8:9], v4, v3 src0_sel:BYTE_3 src1_sel:DWORD
	s_andn2_b64 s[4:5], s[4:5], exec
	s_and_b64 s[8:9], s[8:9], exec
	s_or_b64 s[4:5], s[4:5], s[8:9]
	s_or_b64 exec, exec, s[6:7]
	s_and_saveexec_b64 s[6:7], s[4:5]
	s_cbranch_execnz .LBB55_991
	s_branch .LBB55_992
.LBB55_3041:
	s_movk_i32 s4, 0x80
	v_cmp_eq_u16_sdwa s[12:13], v9, s4 src0_sel:BYTE_0 src1_sel:DWORD
	s_mov_b64 s[4:5], -1
                                        ; implicit-def: $sgpr10
	s_and_saveexec_b64 s[8:9], s[12:13]
; %bb.3042:
	s_mov_b32 s10, 0x7f800001
	s_xor_b64 s[4:5], exec, -1
; %bb.3043:
	s_or_b64 exec, exec, s[8:9]
	s_and_b64 s[4:5], s[4:5], exec
	s_or_saveexec_b64 s[6:7], s[6:7]
	v_mov_b32_e32 v2, s10
	s_xor_b64 exec, exec, s[6:7]
	s_cbranch_execz .LBB55_994
.LBB55_3044:
	v_mov_b32_e32 v2, 0
	v_cmp_ne_u16_sdwa s[8:9], v9, v2 src0_sel:BYTE_0 src1_sel:DWORD
	s_andn2_b64 s[4:5], s[4:5], exec
	s_and_b64 s[8:9], s[8:9], exec
	s_or_b64 s[4:5], s[4:5], s[8:9]
	s_or_b64 exec, exec, s[6:7]
	s_and_saveexec_b64 s[6:7], s[4:5]
	s_cbranch_execnz .LBB55_995
	s_branch .LBB55_996
.LBB55_3045:
	s_movk_i32 s4, 0x80
	v_cmp_eq_u16_sdwa s[12:13], v5, s4 src0_sel:BYTE_0 src1_sel:DWORD
	s_mov_b64 s[4:5], -1
                                        ; implicit-def: $sgpr10
	s_and_saveexec_b64 s[8:9], s[12:13]
; %bb.3046:
	s_mov_b32 s10, 0x7f800001
	s_xor_b64 s[4:5], exec, -1
; %bb.3047:
	s_or_b64 exec, exec, s[8:9]
	s_and_b64 s[4:5], s[4:5], exec
	s_or_saveexec_b64 s[6:7], s[6:7]
	v_mov_b32_e32 v3, s10
	s_xor_b64 exec, exec, s[6:7]
	s_cbranch_execz .LBB55_998
.LBB55_3048:
	v_mov_b32_e32 v3, 0
	v_cmp_ne_u16_sdwa s[8:9], v5, v3 src0_sel:BYTE_0 src1_sel:DWORD
	s_andn2_b64 s[4:5], s[4:5], exec
	s_and_b64 s[8:9], s[8:9], exec
	s_or_b64 s[4:5], s[4:5], s[8:9]
	s_or_b64 exec, exec, s[6:7]
	s_and_saveexec_b64 s[6:7], s[4:5]
	s_cbranch_execnz .LBB55_999
	s_branch .LBB55_1000
.LBB55_3049:
	s_movk_i32 s4, 0x80
	v_cmp_eq_u16_sdwa s[12:13], v3, s4 src0_sel:BYTE_0 src1_sel:DWORD
	s_mov_b64 s[4:5], -1
                                        ; implicit-def: $sgpr10
	s_and_saveexec_b64 s[8:9], s[12:13]
; %bb.3050:
	s_mov_b32 s10, 0x7f800001
	s_xor_b64 s[4:5], exec, -1
; %bb.3051:
	s_or_b64 exec, exec, s[8:9]
	s_and_b64 s[4:5], s[4:5], exec
	s_or_saveexec_b64 s[6:7], s[6:7]
	v_mov_b32_e32 v2, s10
	s_xor_b64 exec, exec, s[6:7]
	s_cbranch_execz .LBB55_1002
.LBB55_3052:
	v_mov_b32_e32 v2, 0
	v_cmp_ne_u16_sdwa s[8:9], v3, v2 src0_sel:BYTE_0 src1_sel:DWORD
	s_andn2_b64 s[4:5], s[4:5], exec
	s_and_b64 s[8:9], s[8:9], exec
	s_or_b64 s[4:5], s[4:5], s[8:9]
	s_or_b64 exec, exec, s[6:7]
	s_and_saveexec_b64 s[6:7], s[4:5]
	s_cbranch_execnz .LBB55_1003
	s_branch .LBB55_1004
.LBB55_3053:
	s_movk_i32 s4, 0x80
	v_cmp_eq_u16_sdwa s[12:13], v3, s4 src0_sel:BYTE_0 src1_sel:DWORD
	s_mov_b64 s[4:5], -1
                                        ; implicit-def: $sgpr10
	s_and_saveexec_b64 s[8:9], s[12:13]
; %bb.3054:
	s_mov_b32 s10, 0x7f800001
	s_xor_b64 s[4:5], exec, -1
; %bb.3055:
	s_or_b64 exec, exec, s[8:9]
	s_and_b64 s[4:5], s[4:5], exec
	s_or_saveexec_b64 s[6:7], s[6:7]
	v_mov_b32_e32 v4, s10
	s_xor_b64 exec, exec, s[6:7]
	s_cbranch_execz .LBB55_1006
.LBB55_3056:
	v_mov_b32_e32 v4, 0
	v_cmp_ne_u16_sdwa s[8:9], v3, v4 src0_sel:BYTE_0 src1_sel:DWORD
	s_andn2_b64 s[4:5], s[4:5], exec
	s_and_b64 s[8:9], s[8:9], exec
	s_or_b64 s[4:5], s[4:5], s[8:9]
	s_or_b64 exec, exec, s[6:7]
	s_and_saveexec_b64 s[6:7], s[4:5]
	s_cbranch_execnz .LBB55_1007
	s_branch .LBB55_1008
.LBB55_3057:
	s_movk_i32 s4, 0x80
	v_cmp_eq_u16_e32 vcc, s4, v3
	s_mov_b64 s[4:5], -1
                                        ; implicit-def: $sgpr10
	s_and_saveexec_b64 s[8:9], vcc
; %bb.3058:
	s_mov_b32 s10, 0x7f800001
	s_xor_b64 s[4:5], exec, -1
; %bb.3059:
	s_or_b64 exec, exec, s[8:9]
	s_and_b64 s[4:5], s[4:5], exec
                                        ; implicit-def: $vgpr3
	s_or_saveexec_b64 s[6:7], s[6:7]
	v_mov_b32_e32 v2, s10
	s_xor_b64 exec, exec, s[6:7]
	s_cbranch_execz .LBB55_1010
.LBB55_3060:
	v_cmp_ne_u16_e32 vcc, 0, v3
	s_andn2_b64 s[4:5], s[4:5], exec
	s_and_b64 s[8:9], vcc, exec
	v_mov_b32_e32 v2, 0
	s_or_b64 s[4:5], s[4:5], s[8:9]
	s_or_b64 exec, exec, s[6:7]
	s_and_saveexec_b64 s[6:7], s[4:5]
	s_cbranch_execnz .LBB55_1011
	s_branch .LBB55_1012
.LBB55_3061:
	s_movk_i32 s4, 0x80
	v_cmp_eq_u16_e32 vcc, s4, v3
	s_mov_b64 s[4:5], -1
                                        ; implicit-def: $sgpr10
	s_and_saveexec_b64 s[8:9], vcc
; %bb.3062:
	s_mov_b32 s10, 0x7f800001
	s_xor_b64 s[4:5], exec, -1
; %bb.3063:
	s_or_b64 exec, exec, s[8:9]
	s_and_b64 s[4:5], s[4:5], exec
                                        ; implicit-def: $vgpr3
	s_or_saveexec_b64 s[6:7], s[6:7]
	v_mov_b32_e32 v4, s10
	s_xor_b64 exec, exec, s[6:7]
	s_cbranch_execz .LBB55_1014
.LBB55_3064:
	v_cmp_ne_u16_e32 vcc, 0, v3
	s_andn2_b64 s[4:5], s[4:5], exec
	s_and_b64 s[8:9], vcc, exec
	v_mov_b32_e32 v4, 0
	s_or_b64 s[4:5], s[4:5], s[8:9]
	s_or_b64 exec, exec, s[6:7]
	s_and_saveexec_b64 s[6:7], s[4:5]
	s_cbranch_execnz .LBB55_1015
	s_branch .LBB55_1016
.LBB55_3065:
	s_movk_i32 s4, 0x80
	v_cmp_eq_u16_sdwa s[12:13], v9, s4 src0_sel:BYTE_3 src1_sel:DWORD
	s_mov_b64 s[4:5], -1
                                        ; implicit-def: $sgpr10
	s_and_saveexec_b64 s[8:9], s[12:13]
; %bb.3066:
	s_mov_b32 s10, 0x7f800001
	s_xor_b64 s[4:5], exec, -1
; %bb.3067:
	s_or_b64 exec, exec, s[8:9]
	s_and_b64 s[4:5], s[4:5], exec
	s_or_saveexec_b64 s[6:7], s[6:7]
	v_mov_b32_e32 v2, s10
	s_xor_b64 exec, exec, s[6:7]
	s_cbranch_execz .LBB55_1018
.LBB55_3068:
	v_mov_b32_e32 v2, 0
	v_cmp_ne_u16_sdwa s[8:9], v9, v2 src0_sel:BYTE_3 src1_sel:DWORD
	s_andn2_b64 s[4:5], s[4:5], exec
	s_and_b64 s[8:9], s[8:9], exec
	s_or_b64 s[4:5], s[4:5], s[8:9]
	s_or_b64 exec, exec, s[6:7]
	s_and_saveexec_b64 s[6:7], s[4:5]
	s_cbranch_execnz .LBB55_1019
	s_branch .LBB55_1020
.LBB55_3069:
	s_movk_i32 s4, 0x80
	v_cmp_eq_u16_sdwa s[12:13], v5, s4 src0_sel:BYTE_3 src1_sel:DWORD
	s_mov_b64 s[4:5], -1
                                        ; implicit-def: $sgpr10
	s_and_saveexec_b64 s[8:9], s[12:13]
; %bb.3070:
	s_mov_b32 s10, 0x7f800001
	s_xor_b64 s[4:5], exec, -1
; %bb.3071:
	s_or_b64 exec, exec, s[8:9]
	s_and_b64 s[4:5], s[4:5], exec
	s_or_saveexec_b64 s[6:7], s[6:7]
	v_mov_b32_e32 v3, s10
	s_xor_b64 exec, exec, s[6:7]
	s_cbranch_execz .LBB55_1022
.LBB55_3072:
	v_mov_b32_e32 v3, 0
	v_cmp_ne_u16_sdwa s[8:9], v5, v3 src0_sel:BYTE_3 src1_sel:DWORD
	s_andn2_b64 s[4:5], s[4:5], exec
	s_and_b64 s[8:9], s[8:9], exec
	s_or_b64 s[4:5], s[4:5], s[8:9]
	s_or_b64 exec, exec, s[6:7]
	s_and_saveexec_b64 s[6:7], s[4:5]
	s_cbranch_execnz .LBB55_1023
	s_branch .LBB55_1024
.LBB55_3073:
	s_movk_i32 s4, 0x80
	v_cmp_eq_u16_sdwa s[12:13], v14, s4 src0_sel:BYTE_0 src1_sel:DWORD
	s_mov_b64 s[4:5], -1
                                        ; implicit-def: $sgpr10
	s_and_saveexec_b64 s[8:9], s[12:13]
; %bb.3074:
	s_mov_b32 s10, 0x7f800001
	s_xor_b64 s[4:5], exec, -1
; %bb.3075:
	s_or_b64 exec, exec, s[8:9]
	s_and_b64 s[4:5], s[4:5], exec
	s_or_saveexec_b64 s[6:7], s[6:7]
	v_mov_b32_e32 v20, s10
	s_xor_b64 exec, exec, s[6:7]
	s_cbranch_execz .LBB55_1026
.LBB55_3076:
	v_mov_b32_e32 v20, 0
	v_cmp_ne_u16_sdwa s[8:9], v14, v20 src0_sel:BYTE_0 src1_sel:DWORD
	s_andn2_b64 s[4:5], s[4:5], exec
	s_and_b64 s[8:9], s[8:9], exec
	s_or_b64 s[4:5], s[4:5], s[8:9]
	s_or_b64 exec, exec, s[6:7]
	s_and_saveexec_b64 s[6:7], s[4:5]
	s_cbranch_execnz .LBB55_1027
	s_branch .LBB55_1028
.LBB55_3077:
	s_movk_i32 s4, 0x80
	v_cmp_eq_u16_sdwa s[12:13], v10, s4 src0_sel:BYTE_0 src1_sel:DWORD
	s_mov_b64 s[4:5], -1
                                        ; implicit-def: $sgpr10
	s_and_saveexec_b64 s[8:9], s[12:13]
; %bb.3078:
	s_mov_b32 s10, 0x7f800001
	s_xor_b64 s[4:5], exec, -1
; %bb.3079:
	s_or_b64 exec, exec, s[8:9]
	s_and_b64 s[4:5], s[4:5], exec
	s_or_saveexec_b64 s[6:7], s[6:7]
	v_mov_b32_e32 v21, s10
	s_xor_b64 exec, exec, s[6:7]
	s_cbranch_execz .LBB55_1030
.LBB55_3080:
	v_mov_b32_e32 v21, 0
	v_cmp_ne_u16_sdwa s[8:9], v10, v21 src0_sel:BYTE_0 src1_sel:DWORD
	s_andn2_b64 s[4:5], s[4:5], exec
	s_and_b64 s[8:9], s[8:9], exec
	s_or_b64 s[4:5], s[4:5], s[8:9]
	s_or_b64 exec, exec, s[6:7]
	s_and_saveexec_b64 s[6:7], s[4:5]
	s_cbranch_execnz .LBB55_1031
	s_branch .LBB55_1032
.LBB55_3081:
	s_movk_i32 s4, 0x80
	v_cmp_eq_u16_sdwa s[12:13], v21, s4 src0_sel:BYTE_0 src1_sel:DWORD
	s_mov_b64 s[4:5], -1
                                        ; implicit-def: $sgpr10
	s_and_saveexec_b64 s[8:9], s[12:13]
; %bb.3082:
	s_mov_b32 s10, 0x7f800001
	s_xor_b64 s[4:5], exec, -1
; %bb.3083:
	s_or_b64 exec, exec, s[8:9]
	s_and_b64 s[4:5], s[4:5], exec
	s_or_saveexec_b64 s[6:7], s[6:7]
	v_mov_b32_e32 v20, s10
	s_xor_b64 exec, exec, s[6:7]
	s_cbranch_execz .LBB55_1034
.LBB55_3084:
	v_mov_b32_e32 v20, 0
	v_cmp_ne_u16_sdwa s[8:9], v21, v20 src0_sel:BYTE_0 src1_sel:DWORD
	s_andn2_b64 s[4:5], s[4:5], exec
	s_and_b64 s[8:9], s[8:9], exec
	s_or_b64 s[4:5], s[4:5], s[8:9]
	s_or_b64 exec, exec, s[6:7]
	s_and_saveexec_b64 s[6:7], s[4:5]
	s_cbranch_execnz .LBB55_1035
	s_branch .LBB55_1036
.LBB55_3085:
	s_movk_i32 s4, 0x80
	v_cmp_eq_u16_sdwa s[12:13], v21, s4 src0_sel:BYTE_0 src1_sel:DWORD
	s_mov_b64 s[4:5], -1
                                        ; implicit-def: $sgpr10
	s_and_saveexec_b64 s[8:9], s[12:13]
; %bb.3086:
	s_mov_b32 s10, 0x7f800001
	s_xor_b64 s[4:5], exec, -1
; %bb.3087:
	s_or_b64 exec, exec, s[8:9]
	s_and_b64 s[4:5], s[4:5], exec
	s_or_saveexec_b64 s[6:7], s[6:7]
	v_mov_b32_e32 v22, s10
	s_xor_b64 exec, exec, s[6:7]
	s_cbranch_execz .LBB55_1038
.LBB55_3088:
	v_mov_b32_e32 v22, 0
	v_cmp_ne_u16_sdwa s[8:9], v21, v22 src0_sel:BYTE_0 src1_sel:DWORD
	s_andn2_b64 s[4:5], s[4:5], exec
	s_and_b64 s[8:9], s[8:9], exec
	s_or_b64 s[4:5], s[4:5], s[8:9]
	s_or_b64 exec, exec, s[6:7]
	s_and_saveexec_b64 s[6:7], s[4:5]
	s_cbranch_execnz .LBB55_1039
	s_branch .LBB55_1040
.LBB55_3089:
	s_movk_i32 s4, 0x80
	v_cmp_eq_u16_e32 vcc, s4, v21
	s_mov_b64 s[4:5], -1
                                        ; implicit-def: $sgpr10
	s_and_saveexec_b64 s[8:9], vcc
; %bb.3090:
	s_mov_b32 s10, 0x7f800001
	s_xor_b64 s[4:5], exec, -1
; %bb.3091:
	s_or_b64 exec, exec, s[8:9]
	s_and_b64 s[4:5], s[4:5], exec
                                        ; implicit-def: $vgpr21
	s_or_saveexec_b64 s[6:7], s[6:7]
	v_mov_b32_e32 v20, s10
	s_xor_b64 exec, exec, s[6:7]
	s_cbranch_execz .LBB55_1042
.LBB55_3092:
	v_cmp_ne_u16_e32 vcc, 0, v21
	s_andn2_b64 s[4:5], s[4:5], exec
	s_and_b64 s[8:9], vcc, exec
	v_mov_b32_e32 v20, 0
	s_or_b64 s[4:5], s[4:5], s[8:9]
	s_or_b64 exec, exec, s[6:7]
	s_and_saveexec_b64 s[6:7], s[4:5]
	s_cbranch_execnz .LBB55_1043
	s_branch .LBB55_1044
.LBB55_3093:
	s_movk_i32 s4, 0x80
	v_cmp_eq_u16_e32 vcc, s4, v21
	s_mov_b64 s[4:5], -1
                                        ; implicit-def: $sgpr10
	s_and_saveexec_b64 s[8:9], vcc
; %bb.3094:
	s_mov_b32 s10, 0x7f800001
	s_xor_b64 s[4:5], exec, -1
; %bb.3095:
	s_or_b64 exec, exec, s[8:9]
	s_and_b64 s[4:5], s[4:5], exec
                                        ; implicit-def: $vgpr21
	s_or_saveexec_b64 s[6:7], s[6:7]
	v_mov_b32_e32 v22, s10
	s_xor_b64 exec, exec, s[6:7]
	s_cbranch_execz .LBB55_1046
.LBB55_3096:
	v_cmp_ne_u16_e32 vcc, 0, v21
	s_andn2_b64 s[4:5], s[4:5], exec
	s_and_b64 s[8:9], vcc, exec
	v_mov_b32_e32 v22, 0
	s_or_b64 s[4:5], s[4:5], s[8:9]
	s_or_b64 exec, exec, s[6:7]
	s_and_saveexec_b64 s[6:7], s[4:5]
	s_cbranch_execnz .LBB55_1047
	s_branch .LBB55_1048
.LBB55_3097:
	s_movk_i32 s4, 0x80
	v_cmp_eq_u16_sdwa s[12:13], v14, s4 src0_sel:BYTE_3 src1_sel:DWORD
	s_mov_b64 s[4:5], -1
                                        ; implicit-def: $sgpr10
	s_and_saveexec_b64 s[8:9], s[12:13]
; %bb.3098:
	s_mov_b32 s10, 0x7f800001
	s_xor_b64 s[4:5], exec, -1
; %bb.3099:
	s_or_b64 exec, exec, s[8:9]
	s_and_b64 s[4:5], s[4:5], exec
	s_or_saveexec_b64 s[6:7], s[6:7]
	v_mov_b32_e32 v20, s10
	s_xor_b64 exec, exec, s[6:7]
	s_cbranch_execz .LBB55_1050
.LBB55_3100:
	v_mov_b32_e32 v20, 0
	v_cmp_ne_u16_sdwa s[8:9], v14, v20 src0_sel:BYTE_3 src1_sel:DWORD
	s_andn2_b64 s[4:5], s[4:5], exec
	s_and_b64 s[8:9], s[8:9], exec
	s_or_b64 s[4:5], s[4:5], s[8:9]
	s_or_b64 exec, exec, s[6:7]
	s_and_saveexec_b64 s[6:7], s[4:5]
	s_cbranch_execnz .LBB55_1051
	s_branch .LBB55_1052
.LBB55_3101:
	s_movk_i32 s4, 0x80
	v_cmp_eq_u16_sdwa s[12:13], v10, s4 src0_sel:BYTE_3 src1_sel:DWORD
	s_mov_b64 s[4:5], -1
                                        ; implicit-def: $sgpr10
	s_and_saveexec_b64 s[8:9], s[12:13]
; %bb.3102:
	s_mov_b32 s10, 0x7f800001
	s_xor_b64 s[4:5], exec, -1
; %bb.3103:
	s_or_b64 exec, exec, s[8:9]
	s_and_b64 s[4:5], s[4:5], exec
	s_or_saveexec_b64 s[6:7], s[6:7]
	v_mov_b32_e32 v14, s10
	s_xor_b64 exec, exec, s[6:7]
	s_cbranch_execz .LBB55_1054
.LBB55_3104:
	v_mov_b32_e32 v14, 0
	v_cmp_ne_u16_sdwa s[8:9], v10, v14 src0_sel:BYTE_3 src1_sel:DWORD
	s_andn2_b64 s[4:5], s[4:5], exec
	s_and_b64 s[8:9], s[8:9], exec
	s_or_b64 s[4:5], s[4:5], s[8:9]
	s_or_b64 exec, exec, s[6:7]
	s_and_saveexec_b64 s[6:7], s[4:5]
	s_cbranch_execnz .LBB55_1055
	s_branch .LBB55_1056
.LBB55_3105:
	s_movk_i32 s4, 0x80
	v_cmp_eq_u16_sdwa s[12:13], v15, s4 src0_sel:BYTE_0 src1_sel:DWORD
	s_mov_b64 s[4:5], -1
                                        ; implicit-def: $sgpr10
	s_and_saveexec_b64 s[8:9], s[12:13]
; %bb.3106:
	s_mov_b32 s10, 0x7f800001
	s_xor_b64 s[4:5], exec, -1
; %bb.3107:
	s_or_b64 exec, exec, s[8:9]
	s_and_b64 s[4:5], s[4:5], exec
	s_or_saveexec_b64 s[6:7], s[6:7]
	v_mov_b32_e32 v10, s10
	s_xor_b64 exec, exec, s[6:7]
	s_cbranch_execz .LBB55_1058
.LBB55_3108:
	v_mov_b32_e32 v10, 0
	v_cmp_ne_u16_sdwa s[8:9], v15, v10 src0_sel:BYTE_0 src1_sel:DWORD
	s_andn2_b64 s[4:5], s[4:5], exec
	s_and_b64 s[8:9], s[8:9], exec
	s_or_b64 s[4:5], s[4:5], s[8:9]
	s_or_b64 exec, exec, s[6:7]
	s_and_saveexec_b64 s[6:7], s[4:5]
	s_cbranch_execnz .LBB55_1059
	s_branch .LBB55_1060
.LBB55_3109:
	s_movk_i32 s4, 0x80
	v_cmp_eq_u16_sdwa s[12:13], v11, s4 src0_sel:BYTE_0 src1_sel:DWORD
	s_mov_b64 s[4:5], -1
                                        ; implicit-def: $sgpr10
	s_and_saveexec_b64 s[8:9], s[12:13]
; %bb.3110:
	s_mov_b32 s10, 0x7f800001
	s_xor_b64 s[4:5], exec, -1
; %bb.3111:
	s_or_b64 exec, exec, s[8:9]
	s_and_b64 s[4:5], s[4:5], exec
	s_or_saveexec_b64 s[6:7], s[6:7]
	v_mov_b32_e32 v14, s10
	s_xor_b64 exec, exec, s[6:7]
	s_cbranch_execz .LBB55_1062
.LBB55_3112:
	v_mov_b32_e32 v14, 0
	v_cmp_ne_u16_sdwa s[8:9], v11, v14 src0_sel:BYTE_0 src1_sel:DWORD
	s_andn2_b64 s[4:5], s[4:5], exec
	s_and_b64 s[8:9], s[8:9], exec
	s_or_b64 s[4:5], s[4:5], s[8:9]
	s_or_b64 exec, exec, s[6:7]
	s_and_saveexec_b64 s[6:7], s[4:5]
	s_cbranch_execnz .LBB55_1063
	s_branch .LBB55_1064
.LBB55_3113:
	s_movk_i32 s4, 0x80
	v_cmp_eq_u16_sdwa s[12:13], v14, s4 src0_sel:BYTE_0 src1_sel:DWORD
	s_mov_b64 s[4:5], -1
                                        ; implicit-def: $sgpr10
	s_and_saveexec_b64 s[8:9], s[12:13]
; %bb.3114:
	s_mov_b32 s10, 0x7f800001
	s_xor_b64 s[4:5], exec, -1
; %bb.3115:
	s_or_b64 exec, exec, s[8:9]
	s_and_b64 s[4:5], s[4:5], exec
	s_or_saveexec_b64 s[6:7], s[6:7]
	v_mov_b32_e32 v10, s10
	s_xor_b64 exec, exec, s[6:7]
	s_cbranch_execz .LBB55_1066
.LBB55_3116:
	v_mov_b32_e32 v10, 0
	v_cmp_ne_u16_sdwa s[8:9], v14, v10 src0_sel:BYTE_0 src1_sel:DWORD
	s_andn2_b64 s[4:5], s[4:5], exec
	s_and_b64 s[8:9], s[8:9], exec
	s_or_b64 s[4:5], s[4:5], s[8:9]
	s_or_b64 exec, exec, s[6:7]
	s_and_saveexec_b64 s[6:7], s[4:5]
	s_cbranch_execnz .LBB55_1067
	s_branch .LBB55_1068
.LBB55_3117:
	s_movk_i32 s4, 0x80
	v_cmp_eq_u16_sdwa s[12:13], v14, s4 src0_sel:BYTE_0 src1_sel:DWORD
	s_mov_b64 s[4:5], -1
                                        ; implicit-def: $sgpr10
	s_and_saveexec_b64 s[8:9], s[12:13]
; %bb.3118:
	s_mov_b32 s10, 0x7f800001
	s_xor_b64 s[4:5], exec, -1
; %bb.3119:
	s_or_b64 exec, exec, s[8:9]
	s_and_b64 s[4:5], s[4:5], exec
	s_or_saveexec_b64 s[6:7], s[6:7]
	v_mov_b32_e32 v20, s10
	s_xor_b64 exec, exec, s[6:7]
	s_cbranch_execz .LBB55_1070
.LBB55_3120:
	v_mov_b32_e32 v20, 0
	v_cmp_ne_u16_sdwa s[8:9], v14, v20 src0_sel:BYTE_0 src1_sel:DWORD
	s_andn2_b64 s[4:5], s[4:5], exec
	s_and_b64 s[8:9], s[8:9], exec
	s_or_b64 s[4:5], s[4:5], s[8:9]
	s_or_b64 exec, exec, s[6:7]
	s_and_saveexec_b64 s[6:7], s[4:5]
	s_cbranch_execnz .LBB55_1071
	s_branch .LBB55_1072
.LBB55_3121:
	s_movk_i32 s4, 0x80
	v_cmp_eq_u16_e32 vcc, s4, v14
	s_mov_b64 s[4:5], -1
                                        ; implicit-def: $sgpr10
	s_and_saveexec_b64 s[8:9], vcc
; %bb.3122:
	s_mov_b32 s10, 0x7f800001
	s_xor_b64 s[4:5], exec, -1
; %bb.3123:
	s_or_b64 exec, exec, s[8:9]
	s_and_b64 s[4:5], s[4:5], exec
                                        ; implicit-def: $vgpr14
	s_or_saveexec_b64 s[6:7], s[6:7]
	v_mov_b32_e32 v10, s10
	s_xor_b64 exec, exec, s[6:7]
	s_cbranch_execz .LBB55_1074
.LBB55_3124:
	v_cmp_ne_u16_e32 vcc, 0, v14
	s_andn2_b64 s[4:5], s[4:5], exec
	s_and_b64 s[8:9], vcc, exec
	v_mov_b32_e32 v10, 0
	s_or_b64 s[4:5], s[4:5], s[8:9]
	s_or_b64 exec, exec, s[6:7]
	s_and_saveexec_b64 s[6:7], s[4:5]
	s_cbranch_execnz .LBB55_1075
	s_branch .LBB55_1076
.LBB55_3125:
	s_movk_i32 s4, 0x80
	v_cmp_eq_u16_e32 vcc, s4, v14
	s_mov_b64 s[4:5], -1
                                        ; implicit-def: $sgpr10
	s_and_saveexec_b64 s[8:9], vcc
; %bb.3126:
	s_mov_b32 s10, 0x7f800001
	s_xor_b64 s[4:5], exec, -1
; %bb.3127:
	s_or_b64 exec, exec, s[8:9]
	s_and_b64 s[4:5], s[4:5], exec
                                        ; implicit-def: $vgpr14
	s_or_saveexec_b64 s[6:7], s[6:7]
	v_mov_b32_e32 v20, s10
	s_xor_b64 exec, exec, s[6:7]
	s_cbranch_execz .LBB55_1078
.LBB55_3128:
	v_cmp_ne_u16_e32 vcc, 0, v14
	s_andn2_b64 s[4:5], s[4:5], exec
	s_and_b64 s[8:9], vcc, exec
	v_mov_b32_e32 v20, 0
	s_or_b64 s[4:5], s[4:5], s[8:9]
	s_or_b64 exec, exec, s[6:7]
	s_and_saveexec_b64 s[6:7], s[4:5]
	s_cbranch_execnz .LBB55_1079
	s_branch .LBB55_1080
.LBB55_3129:
	s_movk_i32 s4, 0x80
	v_cmp_eq_u16_sdwa s[12:13], v15, s4 src0_sel:BYTE_3 src1_sel:DWORD
	s_mov_b64 s[4:5], -1
                                        ; implicit-def: $sgpr10
	s_and_saveexec_b64 s[8:9], s[12:13]
; %bb.3130:
	s_mov_b32 s10, 0x7f800001
	s_xor_b64 s[4:5], exec, -1
; %bb.3131:
	s_or_b64 exec, exec, s[8:9]
	s_and_b64 s[4:5], s[4:5], exec
	s_or_saveexec_b64 s[6:7], s[6:7]
	v_mov_b32_e32 v10, s10
	s_xor_b64 exec, exec, s[6:7]
	s_cbranch_execz .LBB55_1082
.LBB55_3132:
	v_mov_b32_e32 v10, 0
	v_cmp_ne_u16_sdwa s[8:9], v15, v10 src0_sel:BYTE_3 src1_sel:DWORD
	s_andn2_b64 s[4:5], s[4:5], exec
	s_and_b64 s[8:9], s[8:9], exec
	s_or_b64 s[4:5], s[4:5], s[8:9]
	s_or_b64 exec, exec, s[6:7]
	s_and_saveexec_b64 s[6:7], s[4:5]
	s_cbranch_execnz .LBB55_1083
	s_branch .LBB55_1084
.LBB55_3133:
	s_movk_i32 s4, 0x80
	v_cmp_eq_u16_sdwa s[12:13], v11, s4 src0_sel:BYTE_3 src1_sel:DWORD
	s_mov_b64 s[4:5], -1
                                        ; implicit-def: $sgpr10
	s_and_saveexec_b64 s[8:9], s[12:13]
; %bb.3134:
	s_mov_b32 s10, 0x7f800001
	s_xor_b64 s[4:5], exec, -1
; %bb.3135:
	s_or_b64 exec, exec, s[8:9]
	s_and_b64 s[4:5], s[4:5], exec
	s_or_saveexec_b64 s[6:7], s[6:7]
	v_mov_b32_e32 v14, s10
	s_xor_b64 exec, exec, s[6:7]
	s_cbranch_execz .LBB55_1086
.LBB55_3136:
	v_mov_b32_e32 v14, 0
	v_cmp_ne_u16_sdwa s[8:9], v11, v14 src0_sel:BYTE_3 src1_sel:DWORD
	s_andn2_b64 s[4:5], s[4:5], exec
	s_and_b64 s[8:9], s[8:9], exec
	s_or_b64 s[4:5], s[4:5], s[8:9]
	s_or_b64 exec, exec, s[6:7]
	s_and_saveexec_b64 s[6:7], s[4:5]
	s_cbranch_execnz .LBB55_1087
	s_branch .LBB55_1088
.LBB55_3137:
	s_movk_i32 s4, 0x80
	v_cmp_eq_u16_sdwa s[12:13], v16, s4 src0_sel:BYTE_0 src1_sel:DWORD
	s_mov_b64 s[4:5], -1
                                        ; implicit-def: $sgpr10
	s_and_saveexec_b64 s[8:9], s[12:13]
; %bb.3138:
	s_mov_b32 s10, 0x7f800001
	s_xor_b64 s[4:5], exec, -1
; %bb.3139:
	s_or_b64 exec, exec, s[8:9]
	s_and_b64 s[4:5], s[4:5], exec
	s_or_saveexec_b64 s[6:7], s[6:7]
	v_mov_b32_e32 v10, s10
	s_xor_b64 exec, exec, s[6:7]
	s_cbranch_execz .LBB55_1090
.LBB55_3140:
	v_mov_b32_e32 v10, 0
	v_cmp_ne_u16_sdwa s[8:9], v16, v10 src0_sel:BYTE_0 src1_sel:DWORD
	s_andn2_b64 s[4:5], s[4:5], exec
	s_and_b64 s[8:9], s[8:9], exec
	s_or_b64 s[4:5], s[4:5], s[8:9]
	s_or_b64 exec, exec, s[6:7]
	s_and_saveexec_b64 s[6:7], s[4:5]
	s_cbranch_execnz .LBB55_1091
	s_branch .LBB55_1092
.LBB55_3141:
	s_movk_i32 s4, 0x80
	v_cmp_eq_u16_sdwa s[12:13], v12, s4 src0_sel:BYTE_0 src1_sel:DWORD
	s_mov_b64 s[4:5], -1
                                        ; implicit-def: $sgpr10
	s_and_saveexec_b64 s[8:9], s[12:13]
; %bb.3142:
	s_mov_b32 s10, 0x7f800001
	s_xor_b64 s[4:5], exec, -1
; %bb.3143:
	s_or_b64 exec, exec, s[8:9]
	s_and_b64 s[4:5], s[4:5], exec
	s_or_saveexec_b64 s[6:7], s[6:7]
	v_mov_b32_e32 v11, s10
	s_xor_b64 exec, exec, s[6:7]
	s_cbranch_execz .LBB55_1094
.LBB55_3144:
	v_mov_b32_e32 v11, 0
	v_cmp_ne_u16_sdwa s[8:9], v12, v11 src0_sel:BYTE_0 src1_sel:DWORD
	s_andn2_b64 s[4:5], s[4:5], exec
	s_and_b64 s[8:9], s[8:9], exec
	s_or_b64 s[4:5], s[4:5], s[8:9]
	s_or_b64 exec, exec, s[6:7]
	s_and_saveexec_b64 s[6:7], s[4:5]
	s_cbranch_execnz .LBB55_1095
	s_branch .LBB55_1096
.LBB55_3145:
	s_movk_i32 s4, 0x80
	v_cmp_eq_u16_sdwa s[12:13], v11, s4 src0_sel:BYTE_0 src1_sel:DWORD
	s_mov_b64 s[4:5], -1
                                        ; implicit-def: $sgpr10
	s_and_saveexec_b64 s[8:9], s[12:13]
; %bb.3146:
	s_mov_b32 s10, 0x7f800001
	s_xor_b64 s[4:5], exec, -1
; %bb.3147:
	s_or_b64 exec, exec, s[8:9]
	s_and_b64 s[4:5], s[4:5], exec
	s_or_saveexec_b64 s[6:7], s[6:7]
	v_mov_b32_e32 v10, s10
	s_xor_b64 exec, exec, s[6:7]
	s_cbranch_execz .LBB55_1098
.LBB55_3148:
	v_mov_b32_e32 v10, 0
	v_cmp_ne_u16_sdwa s[8:9], v11, v10 src0_sel:BYTE_0 src1_sel:DWORD
	s_andn2_b64 s[4:5], s[4:5], exec
	s_and_b64 s[8:9], s[8:9], exec
	s_or_b64 s[4:5], s[4:5], s[8:9]
	s_or_b64 exec, exec, s[6:7]
	s_and_saveexec_b64 s[6:7], s[4:5]
	s_cbranch_execnz .LBB55_1099
	s_branch .LBB55_1100
.LBB55_3149:
	s_movk_i32 s4, 0x80
	v_cmp_eq_u16_sdwa s[12:13], v11, s4 src0_sel:BYTE_0 src1_sel:DWORD
	s_mov_b64 s[4:5], -1
                                        ; implicit-def: $sgpr10
	s_and_saveexec_b64 s[8:9], s[12:13]
; %bb.3150:
	s_mov_b32 s10, 0x7f800001
	s_xor_b64 s[4:5], exec, -1
; %bb.3151:
	s_or_b64 exec, exec, s[8:9]
	s_and_b64 s[4:5], s[4:5], exec
	s_or_saveexec_b64 s[6:7], s[6:7]
	v_mov_b32_e32 v14, s10
	s_xor_b64 exec, exec, s[6:7]
	s_cbranch_execz .LBB55_1102
.LBB55_3152:
	v_mov_b32_e32 v14, 0
	v_cmp_ne_u16_sdwa s[8:9], v11, v14 src0_sel:BYTE_0 src1_sel:DWORD
	s_andn2_b64 s[4:5], s[4:5], exec
	s_and_b64 s[8:9], s[8:9], exec
	s_or_b64 s[4:5], s[4:5], s[8:9]
	s_or_b64 exec, exec, s[6:7]
	s_and_saveexec_b64 s[6:7], s[4:5]
	s_cbranch_execnz .LBB55_1103
	s_branch .LBB55_1104
.LBB55_3153:
	s_movk_i32 s4, 0x80
	v_cmp_eq_u16_e32 vcc, s4, v11
	s_mov_b64 s[4:5], -1
                                        ; implicit-def: $sgpr10
	s_and_saveexec_b64 s[8:9], vcc
; %bb.3154:
	s_mov_b32 s10, 0x7f800001
	s_xor_b64 s[4:5], exec, -1
; %bb.3155:
	s_or_b64 exec, exec, s[8:9]
	s_and_b64 s[4:5], s[4:5], exec
                                        ; implicit-def: $vgpr11
	s_or_saveexec_b64 s[6:7], s[6:7]
	v_mov_b32_e32 v10, s10
	s_xor_b64 exec, exec, s[6:7]
	s_cbranch_execz .LBB55_1106
.LBB55_3156:
	v_cmp_ne_u16_e32 vcc, 0, v11
	s_andn2_b64 s[4:5], s[4:5], exec
	s_and_b64 s[8:9], vcc, exec
	v_mov_b32_e32 v10, 0
	s_or_b64 s[4:5], s[4:5], s[8:9]
	s_or_b64 exec, exec, s[6:7]
	s_and_saveexec_b64 s[6:7], s[4:5]
	s_cbranch_execnz .LBB55_1107
	s_branch .LBB55_1108
.LBB55_3157:
	s_movk_i32 s4, 0x80
	v_cmp_eq_u16_e32 vcc, s4, v11
	s_mov_b64 s[4:5], -1
                                        ; implicit-def: $sgpr10
	s_and_saveexec_b64 s[8:9], vcc
; %bb.3158:
	s_mov_b32 s10, 0x7f800001
	s_xor_b64 s[4:5], exec, -1
; %bb.3159:
	s_or_b64 exec, exec, s[8:9]
	s_and_b64 s[4:5], s[4:5], exec
                                        ; implicit-def: $vgpr11
	s_or_saveexec_b64 s[6:7], s[6:7]
	v_mov_b32_e32 v14, s10
	s_xor_b64 exec, exec, s[6:7]
	s_cbranch_execz .LBB55_1110
.LBB55_3160:
	v_cmp_ne_u16_e32 vcc, 0, v11
	s_andn2_b64 s[4:5], s[4:5], exec
	s_and_b64 s[8:9], vcc, exec
	v_mov_b32_e32 v14, 0
	s_or_b64 s[4:5], s[4:5], s[8:9]
	s_or_b64 exec, exec, s[6:7]
	s_and_saveexec_b64 s[6:7], s[4:5]
	s_cbranch_execnz .LBB55_1111
	s_branch .LBB55_1112
.LBB55_3161:
	s_movk_i32 s4, 0x80
	v_cmp_eq_u16_sdwa s[12:13], v16, s4 src0_sel:BYTE_3 src1_sel:DWORD
	s_mov_b64 s[4:5], -1
                                        ; implicit-def: $sgpr10
	s_and_saveexec_b64 s[8:9], s[12:13]
; %bb.3162:
	s_mov_b32 s10, 0x7f800001
	s_xor_b64 s[4:5], exec, -1
; %bb.3163:
	s_or_b64 exec, exec, s[8:9]
	s_and_b64 s[4:5], s[4:5], exec
	s_or_saveexec_b64 s[6:7], s[6:7]
	v_mov_b32_e32 v10, s10
	s_xor_b64 exec, exec, s[6:7]
	s_cbranch_execz .LBB55_1114
.LBB55_3164:
	v_mov_b32_e32 v10, 0
	v_cmp_ne_u16_sdwa s[8:9], v16, v10 src0_sel:BYTE_3 src1_sel:DWORD
	s_andn2_b64 s[4:5], s[4:5], exec
	s_and_b64 s[8:9], s[8:9], exec
	s_or_b64 s[4:5], s[4:5], s[8:9]
	s_or_b64 exec, exec, s[6:7]
	s_and_saveexec_b64 s[6:7], s[4:5]
	s_cbranch_execnz .LBB55_1115
	s_branch .LBB55_1116
.LBB55_3165:
	s_movk_i32 s4, 0x80
	v_cmp_eq_u16_sdwa s[12:13], v12, s4 src0_sel:BYTE_3 src1_sel:DWORD
	s_mov_b64 s[4:5], -1
                                        ; implicit-def: $sgpr10
	s_and_saveexec_b64 s[8:9], s[12:13]
; %bb.3166:
	s_mov_b32 s10, 0x7f800001
	s_xor_b64 s[4:5], exec, -1
; %bb.3167:
	s_or_b64 exec, exec, s[8:9]
	s_and_b64 s[4:5], s[4:5], exec
	s_or_saveexec_b64 s[6:7], s[6:7]
	v_mov_b32_e32 v11, s10
	s_xor_b64 exec, exec, s[6:7]
	s_cbranch_execz .LBB55_1118
.LBB55_3168:
	v_mov_b32_e32 v11, 0
	v_cmp_ne_u16_sdwa s[8:9], v12, v11 src0_sel:BYTE_3 src1_sel:DWORD
	s_andn2_b64 s[4:5], s[4:5], exec
	s_and_b64 s[8:9], s[8:9], exec
	s_or_b64 s[4:5], s[4:5], s[8:9]
	s_or_b64 exec, exec, s[6:7]
	s_and_saveexec_b64 s[6:7], s[4:5]
	s_cbranch_execnz .LBB55_1119
	s_branch .LBB55_1120
.LBB55_3169:
	s_movk_i32 s4, 0x80
	v_cmp_eq_u16_sdwa s[12:13], v17, s4 src0_sel:BYTE_0 src1_sel:DWORD
	s_mov_b64 s[4:5], -1
                                        ; implicit-def: $sgpr10
	s_and_saveexec_b64 s[8:9], s[12:13]
; %bb.3170:
	s_mov_b32 s10, 0x7f800001
	s_xor_b64 s[4:5], exec, -1
; %bb.3171:
	s_or_b64 exec, exec, s[8:9]
	s_and_b64 s[4:5], s[4:5], exec
	s_or_saveexec_b64 s[6:7], s[6:7]
	v_mov_b32_e32 v10, s10
	s_xor_b64 exec, exec, s[6:7]
	s_cbranch_execz .LBB55_1122
.LBB55_3172:
	v_mov_b32_e32 v10, 0
	v_cmp_ne_u16_sdwa s[8:9], v17, v10 src0_sel:BYTE_0 src1_sel:DWORD
	s_andn2_b64 s[4:5], s[4:5], exec
	s_and_b64 s[8:9], s[8:9], exec
	s_or_b64 s[4:5], s[4:5], s[8:9]
	s_or_b64 exec, exec, s[6:7]
	s_and_saveexec_b64 s[6:7], s[4:5]
	s_cbranch_execnz .LBB55_1123
	s_branch .LBB55_1124
.LBB55_3173:
	s_movk_i32 s4, 0x80
	v_cmp_eq_u16_sdwa s[12:13], v13, s4 src0_sel:BYTE_0 src1_sel:DWORD
	s_mov_b64 s[4:5], -1
                                        ; implicit-def: $sgpr10
	s_and_saveexec_b64 s[8:9], s[12:13]
; %bb.3174:
	s_mov_b32 s10, 0x7f800001
	s_xor_b64 s[4:5], exec, -1
; %bb.3175:
	s_or_b64 exec, exec, s[8:9]
	s_and_b64 s[4:5], s[4:5], exec
	s_or_saveexec_b64 s[6:7], s[6:7]
	v_mov_b32_e32 v11, s10
	s_xor_b64 exec, exec, s[6:7]
	s_cbranch_execz .LBB55_1126
.LBB55_3176:
	v_mov_b32_e32 v11, 0
	v_cmp_ne_u16_sdwa s[8:9], v13, v11 src0_sel:BYTE_0 src1_sel:DWORD
	s_andn2_b64 s[4:5], s[4:5], exec
	s_and_b64 s[8:9], s[8:9], exec
	s_or_b64 s[4:5], s[4:5], s[8:9]
	s_or_b64 exec, exec, s[6:7]
	s_and_saveexec_b64 s[6:7], s[4:5]
	s_cbranch_execnz .LBB55_1127
	s_branch .LBB55_1128
.LBB55_3177:
	s_movk_i32 s4, 0x80
	v_cmp_eq_u16_sdwa s[12:13], v11, s4 src0_sel:BYTE_0 src1_sel:DWORD
	s_mov_b64 s[4:5], -1
                                        ; implicit-def: $sgpr10
	s_and_saveexec_b64 s[8:9], s[12:13]
; %bb.3178:
	s_mov_b32 s10, 0x7f800001
	s_xor_b64 s[4:5], exec, -1
; %bb.3179:
	s_or_b64 exec, exec, s[8:9]
	s_and_b64 s[4:5], s[4:5], exec
	s_or_saveexec_b64 s[6:7], s[6:7]
	v_mov_b32_e32 v10, s10
	s_xor_b64 exec, exec, s[6:7]
	s_cbranch_execz .LBB55_1130
.LBB55_3180:
	v_mov_b32_e32 v10, 0
	v_cmp_ne_u16_sdwa s[8:9], v11, v10 src0_sel:BYTE_0 src1_sel:DWORD
	s_andn2_b64 s[4:5], s[4:5], exec
	s_and_b64 s[8:9], s[8:9], exec
	s_or_b64 s[4:5], s[4:5], s[8:9]
	s_or_b64 exec, exec, s[6:7]
	s_and_saveexec_b64 s[6:7], s[4:5]
	s_cbranch_execnz .LBB55_1131
	s_branch .LBB55_1132
.LBB55_3181:
	s_movk_i32 s4, 0x80
	v_cmp_eq_u16_sdwa s[12:13], v11, s4 src0_sel:BYTE_0 src1_sel:DWORD
	s_mov_b64 s[4:5], -1
                                        ; implicit-def: $sgpr10
	s_and_saveexec_b64 s[8:9], s[12:13]
; %bb.3182:
	s_mov_b32 s10, 0x7f800001
	s_xor_b64 s[4:5], exec, -1
; %bb.3183:
	s_or_b64 exec, exec, s[8:9]
	s_and_b64 s[4:5], s[4:5], exec
	s_or_saveexec_b64 s[6:7], s[6:7]
	v_mov_b32_e32 v12, s10
	s_xor_b64 exec, exec, s[6:7]
	s_cbranch_execz .LBB55_1134
.LBB55_3184:
	v_mov_b32_e32 v12, 0
	v_cmp_ne_u16_sdwa s[8:9], v11, v12 src0_sel:BYTE_0 src1_sel:DWORD
	s_andn2_b64 s[4:5], s[4:5], exec
	s_and_b64 s[8:9], s[8:9], exec
	s_or_b64 s[4:5], s[4:5], s[8:9]
	s_or_b64 exec, exec, s[6:7]
	s_and_saveexec_b64 s[6:7], s[4:5]
	s_cbranch_execnz .LBB55_1135
	s_branch .LBB55_1136
.LBB55_3185:
	s_movk_i32 s4, 0x80
	v_cmp_eq_u16_e32 vcc, s4, v11
	s_mov_b64 s[4:5], -1
                                        ; implicit-def: $sgpr10
	s_and_saveexec_b64 s[8:9], vcc
; %bb.3186:
	s_mov_b32 s10, 0x7f800001
	s_xor_b64 s[4:5], exec, -1
; %bb.3187:
	s_or_b64 exec, exec, s[8:9]
	s_and_b64 s[4:5], s[4:5], exec
                                        ; implicit-def: $vgpr11
	s_or_saveexec_b64 s[6:7], s[6:7]
	v_mov_b32_e32 v10, s10
	s_xor_b64 exec, exec, s[6:7]
	s_cbranch_execz .LBB55_1138
.LBB55_3188:
	v_cmp_ne_u16_e32 vcc, 0, v11
	s_andn2_b64 s[4:5], s[4:5], exec
	s_and_b64 s[8:9], vcc, exec
	v_mov_b32_e32 v10, 0
	s_or_b64 s[4:5], s[4:5], s[8:9]
	s_or_b64 exec, exec, s[6:7]
	s_and_saveexec_b64 s[6:7], s[4:5]
	s_cbranch_execnz .LBB55_1139
	s_branch .LBB55_1140
.LBB55_3189:
	s_movk_i32 s4, 0x80
	v_cmp_eq_u16_e32 vcc, s4, v11
	s_mov_b64 s[4:5], -1
                                        ; implicit-def: $sgpr10
	s_and_saveexec_b64 s[8:9], vcc
; %bb.3190:
	s_mov_b32 s10, 0x7f800001
	s_xor_b64 s[4:5], exec, -1
; %bb.3191:
	s_or_b64 exec, exec, s[8:9]
	s_and_b64 s[4:5], s[4:5], exec
                                        ; implicit-def: $vgpr11
	s_or_saveexec_b64 s[6:7], s[6:7]
	v_mov_b32_e32 v12, s10
	s_xor_b64 exec, exec, s[6:7]
	s_cbranch_execz .LBB55_1142
.LBB55_3192:
	v_cmp_ne_u16_e32 vcc, 0, v11
	s_andn2_b64 s[4:5], s[4:5], exec
	s_and_b64 s[8:9], vcc, exec
	v_mov_b32_e32 v12, 0
	s_or_b64 s[4:5], s[4:5], s[8:9]
	s_or_b64 exec, exec, s[6:7]
	s_and_saveexec_b64 s[6:7], s[4:5]
	s_cbranch_execnz .LBB55_1143
	s_branch .LBB55_1144
.LBB55_3193:
	s_movk_i32 s4, 0x80
	v_cmp_eq_u16_sdwa s[12:13], v17, s4 src0_sel:BYTE_3 src1_sel:DWORD
	s_mov_b64 s[4:5], -1
                                        ; implicit-def: $sgpr10
	s_and_saveexec_b64 s[8:9], s[12:13]
; %bb.3194:
	s_mov_b32 s10, 0x7f800001
	s_xor_b64 s[4:5], exec, -1
; %bb.3195:
	s_or_b64 exec, exec, s[8:9]
	s_and_b64 s[4:5], s[4:5], exec
	s_or_saveexec_b64 s[6:7], s[6:7]
	v_mov_b32_e32 v10, s10
	s_xor_b64 exec, exec, s[6:7]
	s_cbranch_execz .LBB55_1146
.LBB55_3196:
	v_mov_b32_e32 v10, 0
	v_cmp_ne_u16_sdwa s[8:9], v17, v10 src0_sel:BYTE_3 src1_sel:DWORD
	s_andn2_b64 s[4:5], s[4:5], exec
	s_and_b64 s[8:9], s[8:9], exec
	s_or_b64 s[4:5], s[4:5], s[8:9]
	s_or_b64 exec, exec, s[6:7]
	s_and_saveexec_b64 s[6:7], s[4:5]
	s_cbranch_execnz .LBB55_1147
	s_branch .LBB55_1148
.LBB55_3197:
	s_movk_i32 s4, 0x80
	v_cmp_eq_u16_sdwa s[12:13], v13, s4 src0_sel:BYTE_3 src1_sel:DWORD
	s_mov_b64 s[4:5], -1
                                        ; implicit-def: $sgpr10
	s_and_saveexec_b64 s[8:9], s[12:13]
; %bb.3198:
	s_mov_b32 s10, 0x7f800001
	s_xor_b64 s[4:5], exec, -1
; %bb.3199:
	s_or_b64 exec, exec, s[8:9]
	s_and_b64 s[4:5], s[4:5], exec
	s_or_saveexec_b64 s[6:7], s[6:7]
	v_mov_b32_e32 v11, s10
	s_xor_b64 exec, exec, s[6:7]
	s_cbranch_execz .LBB55_1150
.LBB55_3200:
	v_mov_b32_e32 v11, 0
	v_cmp_ne_u16_sdwa s[8:9], v13, v11 src0_sel:BYTE_3 src1_sel:DWORD
	s_andn2_b64 s[4:5], s[4:5], exec
	s_and_b64 s[8:9], s[8:9], exec
	s_or_b64 s[4:5], s[4:5], s[8:9]
	s_or_b64 exec, exec, s[6:7]
	s_and_saveexec_b64 s[6:7], s[4:5]
	s_cbranch_execnz .LBB55_1151
	s_branch .LBB55_1152
.LBB55_3201:
	s_movk_i32 s4, 0x80
	v_cmp_eq_u16_sdwa s[12:13], v6, s4 src0_sel:BYTE_0 src1_sel:DWORD
	s_mov_b64 s[4:5], -1
                                        ; implicit-def: $sgpr10
	s_and_saveexec_b64 s[8:9], s[12:13]
; %bb.3202:
	s_mov_b32 s10, 0x7f800001
	s_xor_b64 s[4:5], exec, -1
; %bb.3203:
	s_or_b64 exec, exec, s[8:9]
	s_and_b64 s[4:5], s[4:5], exec
	s_or_saveexec_b64 s[6:7], s[6:7]
	v_mov_b32_e32 v10, s10
	s_xor_b64 exec, exec, s[6:7]
	s_cbranch_execz .LBB55_1154
.LBB55_3204:
	v_mov_b32_e32 v10, 0
	v_cmp_ne_u16_sdwa s[8:9], v6, v10 src0_sel:BYTE_0 src1_sel:DWORD
	s_andn2_b64 s[4:5], s[4:5], exec
	s_and_b64 s[8:9], s[8:9], exec
	s_or_b64 s[4:5], s[4:5], s[8:9]
	s_or_b64 exec, exec, s[6:7]
	s_and_saveexec_b64 s[6:7], s[4:5]
	s_cbranch_execnz .LBB55_1155
	s_branch .LBB55_1156
.LBB55_3205:
	s_movk_i32 s4, 0x80
	v_cmp_eq_u16_sdwa s[12:13], v2, s4 src0_sel:BYTE_0 src1_sel:DWORD
	s_mov_b64 s[4:5], -1
                                        ; implicit-def: $sgpr10
	s_and_saveexec_b64 s[8:9], s[12:13]
; %bb.3206:
	s_mov_b32 s10, 0x7f800001
	s_xor_b64 s[4:5], exec, -1
; %bb.3207:
	s_or_b64 exec, exec, s[8:9]
	s_and_b64 s[4:5], s[4:5], exec
	s_or_saveexec_b64 s[6:7], s[6:7]
	v_mov_b32_e32 v11, s10
	s_xor_b64 exec, exec, s[6:7]
	s_cbranch_execz .LBB55_1158
.LBB55_3208:
	v_mov_b32_e32 v11, 0
	v_cmp_ne_u16_sdwa s[8:9], v2, v11 src0_sel:BYTE_0 src1_sel:DWORD
	s_andn2_b64 s[4:5], s[4:5], exec
	s_and_b64 s[8:9], s[8:9], exec
	s_or_b64 s[4:5], s[4:5], s[8:9]
	s_or_b64 exec, exec, s[6:7]
	s_and_saveexec_b64 s[6:7], s[4:5]
	s_cbranch_execnz .LBB55_1159
	s_branch .LBB55_1160
.LBB55_3209:
	s_movk_i32 s4, 0x80
	v_cmp_eq_u16_sdwa s[12:13], v11, s4 src0_sel:BYTE_0 src1_sel:DWORD
	s_mov_b64 s[4:5], -1
                                        ; implicit-def: $sgpr10
	s_and_saveexec_b64 s[8:9], s[12:13]
; %bb.3210:
	s_mov_b32 s10, 0x7f800001
	s_xor_b64 s[4:5], exec, -1
; %bb.3211:
	s_or_b64 exec, exec, s[8:9]
	s_and_b64 s[4:5], s[4:5], exec
	s_or_saveexec_b64 s[6:7], s[6:7]
	v_mov_b32_e32 v10, s10
	s_xor_b64 exec, exec, s[6:7]
	s_cbranch_execz .LBB55_1162
.LBB55_3212:
	v_mov_b32_e32 v10, 0
	v_cmp_ne_u16_sdwa s[8:9], v11, v10 src0_sel:BYTE_0 src1_sel:DWORD
	s_andn2_b64 s[4:5], s[4:5], exec
	s_and_b64 s[8:9], s[8:9], exec
	s_or_b64 s[4:5], s[4:5], s[8:9]
	s_or_b64 exec, exec, s[6:7]
	s_and_saveexec_b64 s[6:7], s[4:5]
	s_cbranch_execnz .LBB55_1163
	s_branch .LBB55_1164
.LBB55_3213:
	s_movk_i32 s4, 0x80
	v_cmp_eq_u16_sdwa s[12:13], v11, s4 src0_sel:BYTE_0 src1_sel:DWORD
	s_mov_b64 s[4:5], -1
                                        ; implicit-def: $sgpr10
	s_and_saveexec_b64 s[8:9], s[12:13]
; %bb.3214:
	s_mov_b32 s10, 0x7f800001
	s_xor_b64 s[4:5], exec, -1
; %bb.3215:
	s_or_b64 exec, exec, s[8:9]
	s_and_b64 s[4:5], s[4:5], exec
	s_or_saveexec_b64 s[6:7], s[6:7]
	v_mov_b32_e32 v12, s10
	s_xor_b64 exec, exec, s[6:7]
	s_cbranch_execz .LBB55_1166
.LBB55_3216:
	v_mov_b32_e32 v12, 0
	v_cmp_ne_u16_sdwa s[8:9], v11, v12 src0_sel:BYTE_0 src1_sel:DWORD
	s_andn2_b64 s[4:5], s[4:5], exec
	s_and_b64 s[8:9], s[8:9], exec
	s_or_b64 s[4:5], s[4:5], s[8:9]
	s_or_b64 exec, exec, s[6:7]
	s_and_saveexec_b64 s[6:7], s[4:5]
	s_cbranch_execnz .LBB55_1167
	s_branch .LBB55_1168
.LBB55_3217:
	s_movk_i32 s4, 0x80
	v_cmp_eq_u16_e32 vcc, s4, v11
	s_mov_b64 s[4:5], -1
                                        ; implicit-def: $sgpr10
	s_and_saveexec_b64 s[8:9], vcc
; %bb.3218:
	s_mov_b32 s10, 0x7f800001
	s_xor_b64 s[4:5], exec, -1
; %bb.3219:
	s_or_b64 exec, exec, s[8:9]
	s_and_b64 s[4:5], s[4:5], exec
                                        ; implicit-def: $vgpr11
	s_or_saveexec_b64 s[6:7], s[6:7]
	v_mov_b32_e32 v10, s10
	s_xor_b64 exec, exec, s[6:7]
	s_cbranch_execz .LBB55_1170
.LBB55_3220:
	v_cmp_ne_u16_e32 vcc, 0, v11
	s_andn2_b64 s[4:5], s[4:5], exec
	s_and_b64 s[8:9], vcc, exec
	v_mov_b32_e32 v10, 0
	s_or_b64 s[4:5], s[4:5], s[8:9]
	s_or_b64 exec, exec, s[6:7]
	s_and_saveexec_b64 s[6:7], s[4:5]
	s_cbranch_execnz .LBB55_1171
	s_branch .LBB55_1172
.LBB55_3221:
	s_movk_i32 s4, 0x80
	v_cmp_eq_u16_e32 vcc, s4, v11
	s_mov_b64 s[4:5], -1
                                        ; implicit-def: $sgpr10
	s_and_saveexec_b64 s[8:9], vcc
; %bb.3222:
	s_mov_b32 s10, 0x7f800001
	s_xor_b64 s[4:5], exec, -1
; %bb.3223:
	s_or_b64 exec, exec, s[8:9]
	s_and_b64 s[4:5], s[4:5], exec
                                        ; implicit-def: $vgpr11
	s_or_saveexec_b64 s[6:7], s[6:7]
	v_mov_b32_e32 v12, s10
	s_xor_b64 exec, exec, s[6:7]
	s_cbranch_execz .LBB55_1174
.LBB55_3224:
	v_cmp_ne_u16_e32 vcc, 0, v11
	s_andn2_b64 s[4:5], s[4:5], exec
	s_and_b64 s[8:9], vcc, exec
	v_mov_b32_e32 v12, 0
	s_or_b64 s[4:5], s[4:5], s[8:9]
	s_or_b64 exec, exec, s[6:7]
	s_and_saveexec_b64 s[6:7], s[4:5]
	s_cbranch_execnz .LBB55_1175
	s_branch .LBB55_1176
.LBB55_3225:
	s_movk_i32 s4, 0x80
	v_cmp_eq_u16_sdwa s[12:13], v6, s4 src0_sel:BYTE_3 src1_sel:DWORD
	s_mov_b64 s[4:5], -1
                                        ; implicit-def: $sgpr10
	s_and_saveexec_b64 s[8:9], s[12:13]
; %bb.3226:
	s_mov_b32 s10, 0x7f800001
	s_xor_b64 s[4:5], exec, -1
; %bb.3227:
	s_or_b64 exec, exec, s[8:9]
	s_and_b64 s[4:5], s[4:5], exec
	s_or_saveexec_b64 s[6:7], s[6:7]
	v_mov_b32_e32 v10, s10
	s_xor_b64 exec, exec, s[6:7]
	s_cbranch_execz .LBB55_1178
.LBB55_3228:
	v_mov_b32_e32 v10, 0
	v_cmp_ne_u16_sdwa s[8:9], v6, v10 src0_sel:BYTE_3 src1_sel:DWORD
	s_andn2_b64 s[4:5], s[4:5], exec
	s_and_b64 s[8:9], s[8:9], exec
	s_or_b64 s[4:5], s[4:5], s[8:9]
	s_or_b64 exec, exec, s[6:7]
	s_and_saveexec_b64 s[6:7], s[4:5]
	s_cbranch_execnz .LBB55_1179
	s_branch .LBB55_1180
.LBB55_3229:
	s_movk_i32 s4, 0x80
	v_cmp_eq_u16_sdwa s[12:13], v2, s4 src0_sel:BYTE_3 src1_sel:DWORD
	s_mov_b64 s[4:5], -1
                                        ; implicit-def: $sgpr10
	s_and_saveexec_b64 s[8:9], s[12:13]
; %bb.3230:
	s_mov_b32 s10, 0x7f800001
	s_xor_b64 s[4:5], exec, -1
; %bb.3231:
	s_or_b64 exec, exec, s[8:9]
	s_and_b64 s[4:5], s[4:5], exec
	s_or_saveexec_b64 s[6:7], s[6:7]
	v_mov_b32_e32 v6, s10
	s_xor_b64 exec, exec, s[6:7]
	s_cbranch_execz .LBB55_1182
.LBB55_3232:
	v_mov_b32_e32 v6, 0
	v_cmp_ne_u16_sdwa s[8:9], v2, v6 src0_sel:BYTE_3 src1_sel:DWORD
	s_andn2_b64 s[4:5], s[4:5], exec
	s_and_b64 s[8:9], s[8:9], exec
	s_or_b64 s[4:5], s[4:5], s[8:9]
	s_or_b64 exec, exec, s[6:7]
	s_and_saveexec_b64 s[6:7], s[4:5]
	s_cbranch_execnz .LBB55_1183
	s_branch .LBB55_1184
.LBB55_3233:
	s_movk_i32 s4, 0x80
	v_cmp_eq_u16_sdwa s[12:13], v7, s4 src0_sel:BYTE_0 src1_sel:DWORD
	s_mov_b64 s[4:5], -1
                                        ; implicit-def: $sgpr10
	s_and_saveexec_b64 s[8:9], s[12:13]
; %bb.3234:
	s_mov_b32 s10, 0x7f800001
	s_xor_b64 s[4:5], exec, -1
; %bb.3235:
	s_or_b64 exec, exec, s[8:9]
	s_and_b64 s[4:5], s[4:5], exec
	s_or_saveexec_b64 s[6:7], s[6:7]
	v_mov_b32_e32 v2, s10
	s_xor_b64 exec, exec, s[6:7]
	s_cbranch_execz .LBB55_1186
.LBB55_3236:
	v_mov_b32_e32 v2, 0
	v_cmp_ne_u16_sdwa s[8:9], v7, v2 src0_sel:BYTE_0 src1_sel:DWORD
	s_andn2_b64 s[4:5], s[4:5], exec
	s_and_b64 s[8:9], s[8:9], exec
	s_or_b64 s[4:5], s[4:5], s[8:9]
	s_or_b64 exec, exec, s[6:7]
	s_and_saveexec_b64 s[6:7], s[4:5]
	s_cbranch_execnz .LBB55_1187
	s_branch .LBB55_1188
.LBB55_3237:
	s_movk_i32 s4, 0x80
	v_cmp_eq_u16_sdwa s[12:13], v3, s4 src0_sel:BYTE_0 src1_sel:DWORD
	s_mov_b64 s[4:5], -1
                                        ; implicit-def: $sgpr10
	s_and_saveexec_b64 s[8:9], s[12:13]
; %bb.3238:
	s_mov_b32 s10, 0x7f800001
	s_xor_b64 s[4:5], exec, -1
; %bb.3239:
	s_or_b64 exec, exec, s[8:9]
	s_and_b64 s[4:5], s[4:5], exec
	s_or_saveexec_b64 s[6:7], s[6:7]
	v_mov_b32_e32 v6, s10
	s_xor_b64 exec, exec, s[6:7]
	s_cbranch_execz .LBB55_1190
.LBB55_3240:
	v_mov_b32_e32 v6, 0
	v_cmp_ne_u16_sdwa s[8:9], v3, v6 src0_sel:BYTE_0 src1_sel:DWORD
	s_andn2_b64 s[4:5], s[4:5], exec
	s_and_b64 s[8:9], s[8:9], exec
	s_or_b64 s[4:5], s[4:5], s[8:9]
	s_or_b64 exec, exec, s[6:7]
	s_and_saveexec_b64 s[6:7], s[4:5]
	s_cbranch_execnz .LBB55_1191
	s_branch .LBB55_1192
.LBB55_3241:
	s_movk_i32 s4, 0x80
	v_cmp_eq_u16_sdwa s[12:13], v6, s4 src0_sel:BYTE_0 src1_sel:DWORD
	s_mov_b64 s[4:5], -1
                                        ; implicit-def: $sgpr10
	s_and_saveexec_b64 s[8:9], s[12:13]
; %bb.3242:
	s_mov_b32 s10, 0x7f800001
	s_xor_b64 s[4:5], exec, -1
; %bb.3243:
	s_or_b64 exec, exec, s[8:9]
	s_and_b64 s[4:5], s[4:5], exec
	s_or_saveexec_b64 s[6:7], s[6:7]
	v_mov_b32_e32 v2, s10
	s_xor_b64 exec, exec, s[6:7]
	s_cbranch_execz .LBB55_1194
.LBB55_3244:
	v_mov_b32_e32 v2, 0
	v_cmp_ne_u16_sdwa s[8:9], v6, v2 src0_sel:BYTE_0 src1_sel:DWORD
	s_andn2_b64 s[4:5], s[4:5], exec
	s_and_b64 s[8:9], s[8:9], exec
	s_or_b64 s[4:5], s[4:5], s[8:9]
	s_or_b64 exec, exec, s[6:7]
	s_and_saveexec_b64 s[6:7], s[4:5]
	s_cbranch_execnz .LBB55_1195
	s_branch .LBB55_1196
.LBB55_3245:
	s_movk_i32 s4, 0x80
	v_cmp_eq_u16_sdwa s[12:13], v6, s4 src0_sel:BYTE_0 src1_sel:DWORD
	s_mov_b64 s[4:5], -1
                                        ; implicit-def: $sgpr10
	s_and_saveexec_b64 s[8:9], s[12:13]
; %bb.3246:
	s_mov_b32 s10, 0x7f800001
	s_xor_b64 s[4:5], exec, -1
; %bb.3247:
	s_or_b64 exec, exec, s[8:9]
	s_and_b64 s[4:5], s[4:5], exec
	s_or_saveexec_b64 s[6:7], s[6:7]
	v_mov_b32_e32 v10, s10
	s_xor_b64 exec, exec, s[6:7]
	s_cbranch_execz .LBB55_1198
.LBB55_3248:
	v_mov_b32_e32 v10, 0
	v_cmp_ne_u16_sdwa s[8:9], v6, v10 src0_sel:BYTE_0 src1_sel:DWORD
	s_andn2_b64 s[4:5], s[4:5], exec
	s_and_b64 s[8:9], s[8:9], exec
	s_or_b64 s[4:5], s[4:5], s[8:9]
	s_or_b64 exec, exec, s[6:7]
	s_and_saveexec_b64 s[6:7], s[4:5]
	s_cbranch_execnz .LBB55_1199
	s_branch .LBB55_1200
.LBB55_3249:
	s_movk_i32 s4, 0x80
	v_cmp_eq_u16_e32 vcc, s4, v6
	s_mov_b64 s[4:5], -1
                                        ; implicit-def: $sgpr10
	s_and_saveexec_b64 s[8:9], vcc
; %bb.3250:
	s_mov_b32 s10, 0x7f800001
	s_xor_b64 s[4:5], exec, -1
; %bb.3251:
	s_or_b64 exec, exec, s[8:9]
	s_and_b64 s[4:5], s[4:5], exec
                                        ; implicit-def: $vgpr6
	s_or_saveexec_b64 s[6:7], s[6:7]
	v_mov_b32_e32 v2, s10
	s_xor_b64 exec, exec, s[6:7]
	s_cbranch_execz .LBB55_1202
.LBB55_3252:
	v_cmp_ne_u16_e32 vcc, 0, v6
	s_andn2_b64 s[4:5], s[4:5], exec
	s_and_b64 s[8:9], vcc, exec
	v_mov_b32_e32 v2, 0
	s_or_b64 s[4:5], s[4:5], s[8:9]
	s_or_b64 exec, exec, s[6:7]
	s_and_saveexec_b64 s[6:7], s[4:5]
	s_cbranch_execnz .LBB55_1203
	s_branch .LBB55_1204
.LBB55_3253:
	s_movk_i32 s4, 0x80
	v_cmp_eq_u16_e32 vcc, s4, v6
	s_mov_b64 s[4:5], -1
                                        ; implicit-def: $sgpr10
	s_and_saveexec_b64 s[8:9], vcc
; %bb.3254:
	s_mov_b32 s10, 0x7f800001
	s_xor_b64 s[4:5], exec, -1
; %bb.3255:
	s_or_b64 exec, exec, s[8:9]
	s_and_b64 s[4:5], s[4:5], exec
                                        ; implicit-def: $vgpr6
	s_or_saveexec_b64 s[6:7], s[6:7]
	v_mov_b32_e32 v10, s10
	s_xor_b64 exec, exec, s[6:7]
	s_cbranch_execz .LBB55_1206
.LBB55_3256:
	v_cmp_ne_u16_e32 vcc, 0, v6
	s_andn2_b64 s[4:5], s[4:5], exec
	s_and_b64 s[8:9], vcc, exec
	v_mov_b32_e32 v10, 0
	s_or_b64 s[4:5], s[4:5], s[8:9]
	s_or_b64 exec, exec, s[6:7]
	s_and_saveexec_b64 s[6:7], s[4:5]
	s_cbranch_execnz .LBB55_1207
	s_branch .LBB55_1208
.LBB55_3257:
	s_movk_i32 s4, 0x80
	v_cmp_eq_u16_sdwa s[12:13], v7, s4 src0_sel:BYTE_3 src1_sel:DWORD
	s_mov_b64 s[4:5], -1
                                        ; implicit-def: $sgpr10
	s_and_saveexec_b64 s[8:9], s[12:13]
; %bb.3258:
	s_mov_b32 s10, 0x7f800001
	s_xor_b64 s[4:5], exec, -1
; %bb.3259:
	s_or_b64 exec, exec, s[8:9]
	s_and_b64 s[4:5], s[4:5], exec
	s_or_saveexec_b64 s[6:7], s[6:7]
	v_mov_b32_e32 v2, s10
	s_xor_b64 exec, exec, s[6:7]
	s_cbranch_execz .LBB55_1210
.LBB55_3260:
	v_mov_b32_e32 v2, 0
	v_cmp_ne_u16_sdwa s[8:9], v7, v2 src0_sel:BYTE_3 src1_sel:DWORD
	s_andn2_b64 s[4:5], s[4:5], exec
	s_and_b64 s[8:9], s[8:9], exec
	s_or_b64 s[4:5], s[4:5], s[8:9]
	s_or_b64 exec, exec, s[6:7]
	s_and_saveexec_b64 s[6:7], s[4:5]
	s_cbranch_execnz .LBB55_1211
	s_branch .LBB55_1212
.LBB55_3261:
	s_movk_i32 s4, 0x80
	v_cmp_eq_u16_sdwa s[12:13], v3, s4 src0_sel:BYTE_3 src1_sel:DWORD
	s_mov_b64 s[4:5], -1
                                        ; implicit-def: $sgpr10
	s_and_saveexec_b64 s[8:9], s[12:13]
; %bb.3262:
	s_mov_b32 s10, 0x7f800001
	s_xor_b64 s[4:5], exec, -1
; %bb.3263:
	s_or_b64 exec, exec, s[8:9]
	s_and_b64 s[4:5], s[4:5], exec
	s_or_saveexec_b64 s[6:7], s[6:7]
	v_mov_b32_e32 v6, s10
	s_xor_b64 exec, exec, s[6:7]
	s_cbranch_execz .LBB55_1214
.LBB55_3264:
	v_mov_b32_e32 v6, 0
	v_cmp_ne_u16_sdwa s[8:9], v3, v6 src0_sel:BYTE_3 src1_sel:DWORD
	s_andn2_b64 s[4:5], s[4:5], exec
	s_and_b64 s[8:9], s[8:9], exec
	s_or_b64 s[4:5], s[4:5], s[8:9]
	s_or_b64 exec, exec, s[6:7]
	s_and_saveexec_b64 s[6:7], s[4:5]
	s_cbranch_execnz .LBB55_1215
	s_branch .LBB55_1216
.LBB55_3265:
	s_movk_i32 s4, 0x80
	v_cmp_eq_u16_sdwa s[12:13], v8, s4 src0_sel:BYTE_0 src1_sel:DWORD
	s_mov_b64 s[4:5], -1
                                        ; implicit-def: $sgpr10
	s_and_saveexec_b64 s[8:9], s[12:13]
; %bb.3266:
	s_mov_b32 s10, 0x7f800001
	s_xor_b64 s[4:5], exec, -1
; %bb.3267:
	s_or_b64 exec, exec, s[8:9]
	s_and_b64 s[4:5], s[4:5], exec
	s_or_saveexec_b64 s[6:7], s[6:7]
	v_mov_b32_e32 v2, s10
	s_xor_b64 exec, exec, s[6:7]
	s_cbranch_execz .LBB55_1218
.LBB55_3268:
	v_mov_b32_e32 v2, 0
	v_cmp_ne_u16_sdwa s[8:9], v8, v2 src0_sel:BYTE_0 src1_sel:DWORD
	s_andn2_b64 s[4:5], s[4:5], exec
	s_and_b64 s[8:9], s[8:9], exec
	s_or_b64 s[4:5], s[4:5], s[8:9]
	s_or_b64 exec, exec, s[6:7]
	s_and_saveexec_b64 s[6:7], s[4:5]
	s_cbranch_execnz .LBB55_1219
	s_branch .LBB55_1220
.LBB55_3269:
	s_movk_i32 s4, 0x80
	v_cmp_eq_u16_sdwa s[12:13], v4, s4 src0_sel:BYTE_0 src1_sel:DWORD
	s_mov_b64 s[4:5], -1
                                        ; implicit-def: $sgpr10
	s_and_saveexec_b64 s[8:9], s[12:13]
; %bb.3270:
	s_mov_b32 s10, 0x7f800001
	s_xor_b64 s[4:5], exec, -1
; %bb.3271:
	s_or_b64 exec, exec, s[8:9]
	s_and_b64 s[4:5], s[4:5], exec
	s_or_saveexec_b64 s[6:7], s[6:7]
	v_mov_b32_e32 v3, s10
	s_xor_b64 exec, exec, s[6:7]
	s_cbranch_execz .LBB55_1222
.LBB55_3272:
	v_mov_b32_e32 v3, 0
	v_cmp_ne_u16_sdwa s[8:9], v4, v3 src0_sel:BYTE_0 src1_sel:DWORD
	s_andn2_b64 s[4:5], s[4:5], exec
	s_and_b64 s[8:9], s[8:9], exec
	s_or_b64 s[4:5], s[4:5], s[8:9]
	s_or_b64 exec, exec, s[6:7]
	s_and_saveexec_b64 s[6:7], s[4:5]
	s_cbranch_execnz .LBB55_1223
	s_branch .LBB55_1224
.LBB55_3273:
	s_movk_i32 s4, 0x80
	v_cmp_eq_u16_sdwa s[12:13], v3, s4 src0_sel:BYTE_0 src1_sel:DWORD
	s_mov_b64 s[4:5], -1
                                        ; implicit-def: $sgpr10
	s_and_saveexec_b64 s[8:9], s[12:13]
; %bb.3274:
	s_mov_b32 s10, 0x7f800001
	s_xor_b64 s[4:5], exec, -1
; %bb.3275:
	s_or_b64 exec, exec, s[8:9]
	s_and_b64 s[4:5], s[4:5], exec
	s_or_saveexec_b64 s[6:7], s[6:7]
	v_mov_b32_e32 v2, s10
	s_xor_b64 exec, exec, s[6:7]
	s_cbranch_execz .LBB55_1226
.LBB55_3276:
	v_mov_b32_e32 v2, 0
	v_cmp_ne_u16_sdwa s[8:9], v3, v2 src0_sel:BYTE_0 src1_sel:DWORD
	s_andn2_b64 s[4:5], s[4:5], exec
	s_and_b64 s[8:9], s[8:9], exec
	s_or_b64 s[4:5], s[4:5], s[8:9]
	s_or_b64 exec, exec, s[6:7]
	s_and_saveexec_b64 s[6:7], s[4:5]
	s_cbranch_execnz .LBB55_1227
	s_branch .LBB55_1228
.LBB55_3277:
	s_movk_i32 s4, 0x80
	v_cmp_eq_u16_sdwa s[12:13], v3, s4 src0_sel:BYTE_0 src1_sel:DWORD
	s_mov_b64 s[4:5], -1
                                        ; implicit-def: $sgpr10
	s_and_saveexec_b64 s[8:9], s[12:13]
; %bb.3278:
	s_mov_b32 s10, 0x7f800001
	s_xor_b64 s[4:5], exec, -1
; %bb.3279:
	s_or_b64 exec, exec, s[8:9]
	s_and_b64 s[4:5], s[4:5], exec
	s_or_saveexec_b64 s[6:7], s[6:7]
	v_mov_b32_e32 v6, s10
	s_xor_b64 exec, exec, s[6:7]
	s_cbranch_execz .LBB55_1230
.LBB55_3280:
	v_mov_b32_e32 v6, 0
	v_cmp_ne_u16_sdwa s[8:9], v3, v6 src0_sel:BYTE_0 src1_sel:DWORD
	s_andn2_b64 s[4:5], s[4:5], exec
	s_and_b64 s[8:9], s[8:9], exec
	s_or_b64 s[4:5], s[4:5], s[8:9]
	s_or_b64 exec, exec, s[6:7]
	s_and_saveexec_b64 s[6:7], s[4:5]
	s_cbranch_execnz .LBB55_1231
	s_branch .LBB55_1232
.LBB55_3281:
	s_movk_i32 s4, 0x80
	v_cmp_eq_u16_e32 vcc, s4, v3
	s_mov_b64 s[4:5], -1
                                        ; implicit-def: $sgpr10
	s_and_saveexec_b64 s[8:9], vcc
; %bb.3282:
	s_mov_b32 s10, 0x7f800001
	s_xor_b64 s[4:5], exec, -1
; %bb.3283:
	s_or_b64 exec, exec, s[8:9]
	s_and_b64 s[4:5], s[4:5], exec
                                        ; implicit-def: $vgpr3
	s_or_saveexec_b64 s[6:7], s[6:7]
	v_mov_b32_e32 v2, s10
	s_xor_b64 exec, exec, s[6:7]
	s_cbranch_execz .LBB55_1234
.LBB55_3284:
	v_cmp_ne_u16_e32 vcc, 0, v3
	s_andn2_b64 s[4:5], s[4:5], exec
	s_and_b64 s[8:9], vcc, exec
	v_mov_b32_e32 v2, 0
	s_or_b64 s[4:5], s[4:5], s[8:9]
	s_or_b64 exec, exec, s[6:7]
	s_and_saveexec_b64 s[6:7], s[4:5]
	s_cbranch_execnz .LBB55_1235
	s_branch .LBB55_1236
.LBB55_3285:
	s_movk_i32 s4, 0x80
	v_cmp_eq_u16_e32 vcc, s4, v3
	s_mov_b64 s[4:5], -1
                                        ; implicit-def: $sgpr10
	s_and_saveexec_b64 s[8:9], vcc
; %bb.3286:
	s_mov_b32 s10, 0x7f800001
	s_xor_b64 s[4:5], exec, -1
; %bb.3287:
	s_or_b64 exec, exec, s[8:9]
	s_and_b64 s[4:5], s[4:5], exec
                                        ; implicit-def: $vgpr3
	s_or_saveexec_b64 s[6:7], s[6:7]
	v_mov_b32_e32 v6, s10
	s_xor_b64 exec, exec, s[6:7]
	s_cbranch_execz .LBB55_1238
.LBB55_3288:
	v_cmp_ne_u16_e32 vcc, 0, v3
	s_andn2_b64 s[4:5], s[4:5], exec
	s_and_b64 s[8:9], vcc, exec
	v_mov_b32_e32 v6, 0
	s_or_b64 s[4:5], s[4:5], s[8:9]
	s_or_b64 exec, exec, s[6:7]
	s_and_saveexec_b64 s[6:7], s[4:5]
	s_cbranch_execnz .LBB55_1239
	s_branch .LBB55_1240
.LBB55_3289:
	s_movk_i32 s4, 0x80
	v_cmp_eq_u16_sdwa s[12:13], v8, s4 src0_sel:BYTE_3 src1_sel:DWORD
	s_mov_b64 s[4:5], -1
                                        ; implicit-def: $sgpr10
	s_and_saveexec_b64 s[8:9], s[12:13]
; %bb.3290:
	s_mov_b32 s10, 0x7f800001
	s_xor_b64 s[4:5], exec, -1
; %bb.3291:
	s_or_b64 exec, exec, s[8:9]
	s_and_b64 s[4:5], s[4:5], exec
	s_or_saveexec_b64 s[6:7], s[6:7]
	v_mov_b32_e32 v2, s10
	s_xor_b64 exec, exec, s[6:7]
	s_cbranch_execz .LBB55_1242
.LBB55_3292:
	v_mov_b32_e32 v2, 0
	v_cmp_ne_u16_sdwa s[8:9], v8, v2 src0_sel:BYTE_3 src1_sel:DWORD
	s_andn2_b64 s[4:5], s[4:5], exec
	s_and_b64 s[8:9], s[8:9], exec
	s_or_b64 s[4:5], s[4:5], s[8:9]
	s_or_b64 exec, exec, s[6:7]
	s_and_saveexec_b64 s[6:7], s[4:5]
	s_cbranch_execnz .LBB55_1243
	s_branch .LBB55_1244
.LBB55_3293:
	s_movk_i32 s4, 0x80
	v_cmp_eq_u16_sdwa s[12:13], v4, s4 src0_sel:BYTE_3 src1_sel:DWORD
	s_mov_b64 s[4:5], -1
                                        ; implicit-def: $sgpr10
	s_and_saveexec_b64 s[8:9], s[12:13]
; %bb.3294:
	s_mov_b32 s10, 0x7f800001
	s_xor_b64 s[4:5], exec, -1
; %bb.3295:
	s_or_b64 exec, exec, s[8:9]
	s_and_b64 s[4:5], s[4:5], exec
	s_or_saveexec_b64 s[6:7], s[6:7]
	v_mov_b32_e32 v3, s10
	s_xor_b64 exec, exec, s[6:7]
	s_cbranch_execz .LBB55_1246
.LBB55_3296:
	v_mov_b32_e32 v3, 0
	v_cmp_ne_u16_sdwa s[8:9], v4, v3 src0_sel:BYTE_3 src1_sel:DWORD
	s_andn2_b64 s[4:5], s[4:5], exec
	s_and_b64 s[8:9], s[8:9], exec
	s_or_b64 s[4:5], s[4:5], s[8:9]
	s_or_b64 exec, exec, s[6:7]
	s_and_saveexec_b64 s[6:7], s[4:5]
	s_cbranch_execnz .LBB55_1247
	s_branch .LBB55_1248
.LBB55_3297:
	s_movk_i32 s4, 0x80
	v_cmp_eq_u16_sdwa s[12:13], v9, s4 src0_sel:BYTE_0 src1_sel:DWORD
	s_mov_b64 s[4:5], -1
                                        ; implicit-def: $sgpr10
	s_and_saveexec_b64 s[8:9], s[12:13]
; %bb.3298:
	s_mov_b32 s10, 0x7f800001
	s_xor_b64 s[4:5], exec, -1
; %bb.3299:
	s_or_b64 exec, exec, s[8:9]
	s_and_b64 s[4:5], s[4:5], exec
	s_or_saveexec_b64 s[6:7], s[6:7]
	v_mov_b32_e32 v2, s10
	s_xor_b64 exec, exec, s[6:7]
	s_cbranch_execz .LBB55_1250
.LBB55_3300:
	v_mov_b32_e32 v2, 0
	v_cmp_ne_u16_sdwa s[8:9], v9, v2 src0_sel:BYTE_0 src1_sel:DWORD
	s_andn2_b64 s[4:5], s[4:5], exec
	s_and_b64 s[8:9], s[8:9], exec
	s_or_b64 s[4:5], s[4:5], s[8:9]
	s_or_b64 exec, exec, s[6:7]
	s_and_saveexec_b64 s[6:7], s[4:5]
	s_cbranch_execnz .LBB55_1251
	s_branch .LBB55_1252
.LBB55_3301:
	s_movk_i32 s4, 0x80
	v_cmp_eq_u16_sdwa s[12:13], v5, s4 src0_sel:BYTE_0 src1_sel:DWORD
	s_mov_b64 s[4:5], -1
                                        ; implicit-def: $sgpr10
	s_and_saveexec_b64 s[8:9], s[12:13]
; %bb.3302:
	s_mov_b32 s10, 0x7f800001
	s_xor_b64 s[4:5], exec, -1
; %bb.3303:
	s_or_b64 exec, exec, s[8:9]
	s_and_b64 s[4:5], s[4:5], exec
	s_or_saveexec_b64 s[6:7], s[6:7]
	v_mov_b32_e32 v3, s10
	s_xor_b64 exec, exec, s[6:7]
	s_cbranch_execz .LBB55_1254
.LBB55_3304:
	v_mov_b32_e32 v3, 0
	v_cmp_ne_u16_sdwa s[8:9], v5, v3 src0_sel:BYTE_0 src1_sel:DWORD
	s_andn2_b64 s[4:5], s[4:5], exec
	s_and_b64 s[8:9], s[8:9], exec
	s_or_b64 s[4:5], s[4:5], s[8:9]
	s_or_b64 exec, exec, s[6:7]
	s_and_saveexec_b64 s[6:7], s[4:5]
	s_cbranch_execnz .LBB55_1255
	s_branch .LBB55_1256
.LBB55_3305:
	s_movk_i32 s4, 0x80
	v_cmp_eq_u16_sdwa s[12:13], v3, s4 src0_sel:BYTE_0 src1_sel:DWORD
	s_mov_b64 s[4:5], -1
                                        ; implicit-def: $sgpr10
	s_and_saveexec_b64 s[8:9], s[12:13]
; %bb.3306:
	s_mov_b32 s10, 0x7f800001
	s_xor_b64 s[4:5], exec, -1
; %bb.3307:
	s_or_b64 exec, exec, s[8:9]
	s_and_b64 s[4:5], s[4:5], exec
	s_or_saveexec_b64 s[6:7], s[6:7]
	v_mov_b32_e32 v2, s10
	s_xor_b64 exec, exec, s[6:7]
	s_cbranch_execz .LBB55_1258
.LBB55_3308:
	v_mov_b32_e32 v2, 0
	v_cmp_ne_u16_sdwa s[8:9], v3, v2 src0_sel:BYTE_0 src1_sel:DWORD
	s_andn2_b64 s[4:5], s[4:5], exec
	s_and_b64 s[8:9], s[8:9], exec
	s_or_b64 s[4:5], s[4:5], s[8:9]
	s_or_b64 exec, exec, s[6:7]
	s_and_saveexec_b64 s[6:7], s[4:5]
	s_cbranch_execnz .LBB55_1259
	s_branch .LBB55_1260
.LBB55_3309:
	s_movk_i32 s4, 0x80
	v_cmp_eq_u16_sdwa s[12:13], v3, s4 src0_sel:BYTE_0 src1_sel:DWORD
	s_mov_b64 s[4:5], -1
                                        ; implicit-def: $sgpr10
	s_and_saveexec_b64 s[8:9], s[12:13]
; %bb.3310:
	s_mov_b32 s10, 0x7f800001
	s_xor_b64 s[4:5], exec, -1
; %bb.3311:
	s_or_b64 exec, exec, s[8:9]
	s_and_b64 s[4:5], s[4:5], exec
	s_or_saveexec_b64 s[6:7], s[6:7]
	v_mov_b32_e32 v4, s10
	s_xor_b64 exec, exec, s[6:7]
	s_cbranch_execz .LBB55_1262
.LBB55_3312:
	v_mov_b32_e32 v4, 0
	v_cmp_ne_u16_sdwa s[8:9], v3, v4 src0_sel:BYTE_0 src1_sel:DWORD
	s_andn2_b64 s[4:5], s[4:5], exec
	s_and_b64 s[8:9], s[8:9], exec
	s_or_b64 s[4:5], s[4:5], s[8:9]
	s_or_b64 exec, exec, s[6:7]
	s_and_saveexec_b64 s[6:7], s[4:5]
	s_cbranch_execnz .LBB55_1263
	s_branch .LBB55_1264
.LBB55_3313:
	s_movk_i32 s4, 0x80
	v_cmp_eq_u16_e32 vcc, s4, v3
	s_mov_b64 s[4:5], -1
                                        ; implicit-def: $sgpr10
	s_and_saveexec_b64 s[8:9], vcc
; %bb.3314:
	s_mov_b32 s10, 0x7f800001
	s_xor_b64 s[4:5], exec, -1
; %bb.3315:
	s_or_b64 exec, exec, s[8:9]
	s_and_b64 s[4:5], s[4:5], exec
                                        ; implicit-def: $vgpr3
	s_or_saveexec_b64 s[6:7], s[6:7]
	v_mov_b32_e32 v2, s10
	s_xor_b64 exec, exec, s[6:7]
	s_cbranch_execz .LBB55_1266
.LBB55_3316:
	v_cmp_ne_u16_e32 vcc, 0, v3
	s_andn2_b64 s[4:5], s[4:5], exec
	s_and_b64 s[8:9], vcc, exec
	v_mov_b32_e32 v2, 0
	s_or_b64 s[4:5], s[4:5], s[8:9]
	s_or_b64 exec, exec, s[6:7]
	s_and_saveexec_b64 s[6:7], s[4:5]
	s_cbranch_execnz .LBB55_1267
	s_branch .LBB55_1268
.LBB55_3317:
	s_movk_i32 s4, 0x80
	v_cmp_eq_u16_e32 vcc, s4, v3
	s_mov_b64 s[4:5], -1
                                        ; implicit-def: $sgpr10
	s_and_saveexec_b64 s[8:9], vcc
; %bb.3318:
	s_mov_b32 s10, 0x7f800001
	s_xor_b64 s[4:5], exec, -1
; %bb.3319:
	s_or_b64 exec, exec, s[8:9]
	s_and_b64 s[4:5], s[4:5], exec
                                        ; implicit-def: $vgpr3
	s_or_saveexec_b64 s[6:7], s[6:7]
	v_mov_b32_e32 v4, s10
	s_xor_b64 exec, exec, s[6:7]
	s_cbranch_execz .LBB55_1270
.LBB55_3320:
	v_cmp_ne_u16_e32 vcc, 0, v3
	s_andn2_b64 s[4:5], s[4:5], exec
	s_and_b64 s[8:9], vcc, exec
	v_mov_b32_e32 v4, 0
	s_or_b64 s[4:5], s[4:5], s[8:9]
	s_or_b64 exec, exec, s[6:7]
	s_and_saveexec_b64 s[6:7], s[4:5]
	s_cbranch_execnz .LBB55_1271
	s_branch .LBB55_1272
.LBB55_3321:
	s_movk_i32 s4, 0x80
	v_cmp_eq_u16_sdwa s[12:13], v9, s4 src0_sel:BYTE_3 src1_sel:DWORD
	s_mov_b64 s[4:5], -1
                                        ; implicit-def: $sgpr10
	s_and_saveexec_b64 s[8:9], s[12:13]
; %bb.3322:
	s_mov_b32 s10, 0x7f800001
	s_xor_b64 s[4:5], exec, -1
; %bb.3323:
	s_or_b64 exec, exec, s[8:9]
	s_and_b64 s[4:5], s[4:5], exec
	s_or_saveexec_b64 s[6:7], s[6:7]
	v_mov_b32_e32 v2, s10
	s_xor_b64 exec, exec, s[6:7]
	s_cbranch_execz .LBB55_1274
.LBB55_3324:
	v_mov_b32_e32 v2, 0
	v_cmp_ne_u16_sdwa s[8:9], v9, v2 src0_sel:BYTE_3 src1_sel:DWORD
	s_andn2_b64 s[4:5], s[4:5], exec
	s_and_b64 s[8:9], s[8:9], exec
	s_or_b64 s[4:5], s[4:5], s[8:9]
	s_or_b64 exec, exec, s[6:7]
	s_and_saveexec_b64 s[6:7], s[4:5]
	s_cbranch_execnz .LBB55_1275
	s_branch .LBB55_1276
.LBB55_3325:
	s_movk_i32 s4, 0x80
	v_cmp_eq_u16_sdwa s[12:13], v5, s4 src0_sel:BYTE_3 src1_sel:DWORD
	s_mov_b64 s[4:5], -1
                                        ; implicit-def: $sgpr10
	s_and_saveexec_b64 s[8:9], s[12:13]
; %bb.3326:
	s_mov_b32 s10, 0x7f800001
	s_xor_b64 s[4:5], exec, -1
; %bb.3327:
	s_or_b64 exec, exec, s[8:9]
	s_and_b64 s[4:5], s[4:5], exec
	s_or_saveexec_b64 s[6:7], s[6:7]
	v_mov_b32_e32 v3, s10
	s_xor_b64 exec, exec, s[6:7]
	s_cbranch_execz .LBB55_1278
.LBB55_3328:
	v_mov_b32_e32 v3, 0
	v_cmp_ne_u16_sdwa s[8:9], v5, v3 src0_sel:BYTE_3 src1_sel:DWORD
	s_andn2_b64 s[4:5], s[4:5], exec
	s_and_b64 s[8:9], s[8:9], exec
	s_or_b64 s[4:5], s[4:5], s[8:9]
	s_or_b64 exec, exec, s[6:7]
	s_and_saveexec_b64 s[6:7], s[4:5]
	s_cbranch_execnz .LBB55_1279
	s_branch .LBB55_1280
.LBB55_3329:
	s_movk_i32 s4, 0x80
	v_cmp_eq_u16_sdwa s[12:13], v14, s4 src0_sel:BYTE_0 src1_sel:DWORD
	s_mov_b64 s[4:5], -1
                                        ; implicit-def: $sgpr10
	s_and_saveexec_b64 s[8:9], s[12:13]
; %bb.3330:
	s_mov_b32 s10, 0x7f800001
	s_xor_b64 s[4:5], exec, -1
; %bb.3331:
	s_or_b64 exec, exec, s[8:9]
	s_and_b64 s[4:5], s[4:5], exec
	s_or_saveexec_b64 s[6:7], s[6:7]
	v_mov_b32_e32 v20, s10
	s_xor_b64 exec, exec, s[6:7]
	s_cbranch_execz .LBB55_1282
.LBB55_3332:
	v_mov_b32_e32 v20, 0
	v_cmp_ne_u16_sdwa s[8:9], v14, v20 src0_sel:BYTE_0 src1_sel:DWORD
	s_andn2_b64 s[4:5], s[4:5], exec
	s_and_b64 s[8:9], s[8:9], exec
	s_or_b64 s[4:5], s[4:5], s[8:9]
	s_or_b64 exec, exec, s[6:7]
	s_and_saveexec_b64 s[6:7], s[4:5]
	s_cbranch_execnz .LBB55_1283
	s_branch .LBB55_1284
.LBB55_3333:
	s_movk_i32 s4, 0x80
	v_cmp_eq_u16_sdwa s[12:13], v10, s4 src0_sel:BYTE_0 src1_sel:DWORD
	s_mov_b64 s[4:5], -1
                                        ; implicit-def: $sgpr10
	s_and_saveexec_b64 s[8:9], s[12:13]
; %bb.3334:
	s_mov_b32 s10, 0x7f800001
	s_xor_b64 s[4:5], exec, -1
; %bb.3335:
	s_or_b64 exec, exec, s[8:9]
	s_and_b64 s[4:5], s[4:5], exec
	s_or_saveexec_b64 s[6:7], s[6:7]
	v_mov_b32_e32 v21, s10
	s_xor_b64 exec, exec, s[6:7]
	s_cbranch_execz .LBB55_1286
.LBB55_3336:
	v_mov_b32_e32 v21, 0
	v_cmp_ne_u16_sdwa s[8:9], v10, v21 src0_sel:BYTE_0 src1_sel:DWORD
	s_andn2_b64 s[4:5], s[4:5], exec
	s_and_b64 s[8:9], s[8:9], exec
	s_or_b64 s[4:5], s[4:5], s[8:9]
	s_or_b64 exec, exec, s[6:7]
	s_and_saveexec_b64 s[6:7], s[4:5]
	s_cbranch_execnz .LBB55_1287
	s_branch .LBB55_1288
.LBB55_3337:
	s_movk_i32 s4, 0x80
	v_cmp_eq_u16_sdwa s[12:13], v21, s4 src0_sel:BYTE_0 src1_sel:DWORD
	s_mov_b64 s[4:5], -1
                                        ; implicit-def: $sgpr10
	s_and_saveexec_b64 s[8:9], s[12:13]
; %bb.3338:
	s_mov_b32 s10, 0x7f800001
	s_xor_b64 s[4:5], exec, -1
; %bb.3339:
	s_or_b64 exec, exec, s[8:9]
	s_and_b64 s[4:5], s[4:5], exec
	s_or_saveexec_b64 s[6:7], s[6:7]
	v_mov_b32_e32 v20, s10
	s_xor_b64 exec, exec, s[6:7]
	s_cbranch_execz .LBB55_1290
.LBB55_3340:
	v_mov_b32_e32 v20, 0
	v_cmp_ne_u16_sdwa s[8:9], v21, v20 src0_sel:BYTE_0 src1_sel:DWORD
	s_andn2_b64 s[4:5], s[4:5], exec
	s_and_b64 s[8:9], s[8:9], exec
	s_or_b64 s[4:5], s[4:5], s[8:9]
	s_or_b64 exec, exec, s[6:7]
	s_and_saveexec_b64 s[6:7], s[4:5]
	s_cbranch_execnz .LBB55_1291
	s_branch .LBB55_1292
.LBB55_3341:
	s_movk_i32 s4, 0x80
	v_cmp_eq_u16_sdwa s[12:13], v21, s4 src0_sel:BYTE_0 src1_sel:DWORD
	s_mov_b64 s[4:5], -1
                                        ; implicit-def: $sgpr10
	s_and_saveexec_b64 s[8:9], s[12:13]
; %bb.3342:
	s_mov_b32 s10, 0x7f800001
	s_xor_b64 s[4:5], exec, -1
; %bb.3343:
	s_or_b64 exec, exec, s[8:9]
	s_and_b64 s[4:5], s[4:5], exec
	s_or_saveexec_b64 s[6:7], s[6:7]
	v_mov_b32_e32 v22, s10
	s_xor_b64 exec, exec, s[6:7]
	s_cbranch_execz .LBB55_1294
.LBB55_3344:
	v_mov_b32_e32 v22, 0
	v_cmp_ne_u16_sdwa s[8:9], v21, v22 src0_sel:BYTE_0 src1_sel:DWORD
	s_andn2_b64 s[4:5], s[4:5], exec
	s_and_b64 s[8:9], s[8:9], exec
	s_or_b64 s[4:5], s[4:5], s[8:9]
	s_or_b64 exec, exec, s[6:7]
	s_and_saveexec_b64 s[6:7], s[4:5]
	s_cbranch_execnz .LBB55_1295
	s_branch .LBB55_1296
.LBB55_3345:
	s_movk_i32 s4, 0x80
	v_cmp_eq_u16_e32 vcc, s4, v21
	s_mov_b64 s[4:5], -1
                                        ; implicit-def: $sgpr10
	s_and_saveexec_b64 s[8:9], vcc
; %bb.3346:
	s_mov_b32 s10, 0x7f800001
	s_xor_b64 s[4:5], exec, -1
; %bb.3347:
	s_or_b64 exec, exec, s[8:9]
	s_and_b64 s[4:5], s[4:5], exec
                                        ; implicit-def: $vgpr21
	s_or_saveexec_b64 s[6:7], s[6:7]
	v_mov_b32_e32 v20, s10
	s_xor_b64 exec, exec, s[6:7]
	s_cbranch_execz .LBB55_1298
.LBB55_3348:
	v_cmp_ne_u16_e32 vcc, 0, v21
	s_andn2_b64 s[4:5], s[4:5], exec
	s_and_b64 s[8:9], vcc, exec
	v_mov_b32_e32 v20, 0
	s_or_b64 s[4:5], s[4:5], s[8:9]
	s_or_b64 exec, exec, s[6:7]
	s_and_saveexec_b64 s[6:7], s[4:5]
	s_cbranch_execnz .LBB55_1299
	s_branch .LBB55_1300
.LBB55_3349:
	s_movk_i32 s4, 0x80
	v_cmp_eq_u16_e32 vcc, s4, v21
	s_mov_b64 s[4:5], -1
                                        ; implicit-def: $sgpr10
	s_and_saveexec_b64 s[8:9], vcc
; %bb.3350:
	s_mov_b32 s10, 0x7f800001
	s_xor_b64 s[4:5], exec, -1
; %bb.3351:
	s_or_b64 exec, exec, s[8:9]
	s_and_b64 s[4:5], s[4:5], exec
                                        ; implicit-def: $vgpr21
	s_or_saveexec_b64 s[6:7], s[6:7]
	v_mov_b32_e32 v22, s10
	s_xor_b64 exec, exec, s[6:7]
	s_cbranch_execz .LBB55_1302
.LBB55_3352:
	v_cmp_ne_u16_e32 vcc, 0, v21
	s_andn2_b64 s[4:5], s[4:5], exec
	s_and_b64 s[8:9], vcc, exec
	v_mov_b32_e32 v22, 0
	s_or_b64 s[4:5], s[4:5], s[8:9]
	s_or_b64 exec, exec, s[6:7]
	s_and_saveexec_b64 s[6:7], s[4:5]
	s_cbranch_execnz .LBB55_1303
	s_branch .LBB55_1304
.LBB55_3353:
	s_movk_i32 s4, 0x80
	v_cmp_eq_u16_sdwa s[12:13], v14, s4 src0_sel:BYTE_3 src1_sel:DWORD
	s_mov_b64 s[4:5], -1
                                        ; implicit-def: $sgpr10
	s_and_saveexec_b64 s[8:9], s[12:13]
; %bb.3354:
	s_mov_b32 s10, 0x7f800001
	s_xor_b64 s[4:5], exec, -1
; %bb.3355:
	s_or_b64 exec, exec, s[8:9]
	s_and_b64 s[4:5], s[4:5], exec
	s_or_saveexec_b64 s[6:7], s[6:7]
	v_mov_b32_e32 v20, s10
	s_xor_b64 exec, exec, s[6:7]
	s_cbranch_execz .LBB55_1306
.LBB55_3356:
	v_mov_b32_e32 v20, 0
	v_cmp_ne_u16_sdwa s[8:9], v14, v20 src0_sel:BYTE_3 src1_sel:DWORD
	s_andn2_b64 s[4:5], s[4:5], exec
	s_and_b64 s[8:9], s[8:9], exec
	s_or_b64 s[4:5], s[4:5], s[8:9]
	s_or_b64 exec, exec, s[6:7]
	s_and_saveexec_b64 s[6:7], s[4:5]
	s_cbranch_execnz .LBB55_1307
	s_branch .LBB55_1308
.LBB55_3357:
	s_movk_i32 s4, 0x80
	v_cmp_eq_u16_sdwa s[12:13], v10, s4 src0_sel:BYTE_3 src1_sel:DWORD
	s_mov_b64 s[4:5], -1
                                        ; implicit-def: $sgpr10
	s_and_saveexec_b64 s[8:9], s[12:13]
; %bb.3358:
	s_mov_b32 s10, 0x7f800001
	s_xor_b64 s[4:5], exec, -1
; %bb.3359:
	s_or_b64 exec, exec, s[8:9]
	s_and_b64 s[4:5], s[4:5], exec
	s_or_saveexec_b64 s[6:7], s[6:7]
	v_mov_b32_e32 v14, s10
	s_xor_b64 exec, exec, s[6:7]
	s_cbranch_execz .LBB55_1310
.LBB55_3360:
	v_mov_b32_e32 v14, 0
	v_cmp_ne_u16_sdwa s[8:9], v10, v14 src0_sel:BYTE_3 src1_sel:DWORD
	s_andn2_b64 s[4:5], s[4:5], exec
	s_and_b64 s[8:9], s[8:9], exec
	s_or_b64 s[4:5], s[4:5], s[8:9]
	s_or_b64 exec, exec, s[6:7]
	s_and_saveexec_b64 s[6:7], s[4:5]
	s_cbranch_execnz .LBB55_1311
	s_branch .LBB55_1312
.LBB55_3361:
	s_movk_i32 s4, 0x80
	v_cmp_eq_u16_sdwa s[12:13], v15, s4 src0_sel:BYTE_0 src1_sel:DWORD
	s_mov_b64 s[4:5], -1
                                        ; implicit-def: $sgpr10
	s_and_saveexec_b64 s[8:9], s[12:13]
; %bb.3362:
	s_mov_b32 s10, 0x7f800001
	s_xor_b64 s[4:5], exec, -1
; %bb.3363:
	s_or_b64 exec, exec, s[8:9]
	s_and_b64 s[4:5], s[4:5], exec
	s_or_saveexec_b64 s[6:7], s[6:7]
	v_mov_b32_e32 v10, s10
	s_xor_b64 exec, exec, s[6:7]
	s_cbranch_execz .LBB55_1314
.LBB55_3364:
	v_mov_b32_e32 v10, 0
	v_cmp_ne_u16_sdwa s[8:9], v15, v10 src0_sel:BYTE_0 src1_sel:DWORD
	s_andn2_b64 s[4:5], s[4:5], exec
	s_and_b64 s[8:9], s[8:9], exec
	s_or_b64 s[4:5], s[4:5], s[8:9]
	s_or_b64 exec, exec, s[6:7]
	s_and_saveexec_b64 s[6:7], s[4:5]
	s_cbranch_execnz .LBB55_1315
	s_branch .LBB55_1316
.LBB55_3365:
	s_movk_i32 s4, 0x80
	v_cmp_eq_u16_sdwa s[12:13], v11, s4 src0_sel:BYTE_0 src1_sel:DWORD
	s_mov_b64 s[4:5], -1
                                        ; implicit-def: $sgpr10
	s_and_saveexec_b64 s[8:9], s[12:13]
; %bb.3366:
	s_mov_b32 s10, 0x7f800001
	s_xor_b64 s[4:5], exec, -1
; %bb.3367:
	s_or_b64 exec, exec, s[8:9]
	s_and_b64 s[4:5], s[4:5], exec
	s_or_saveexec_b64 s[6:7], s[6:7]
	v_mov_b32_e32 v14, s10
	s_xor_b64 exec, exec, s[6:7]
	s_cbranch_execz .LBB55_1318
.LBB55_3368:
	v_mov_b32_e32 v14, 0
	v_cmp_ne_u16_sdwa s[8:9], v11, v14 src0_sel:BYTE_0 src1_sel:DWORD
	s_andn2_b64 s[4:5], s[4:5], exec
	s_and_b64 s[8:9], s[8:9], exec
	s_or_b64 s[4:5], s[4:5], s[8:9]
	s_or_b64 exec, exec, s[6:7]
	s_and_saveexec_b64 s[6:7], s[4:5]
	s_cbranch_execnz .LBB55_1319
	s_branch .LBB55_1320
.LBB55_3369:
	s_movk_i32 s4, 0x80
	v_cmp_eq_u16_sdwa s[12:13], v14, s4 src0_sel:BYTE_0 src1_sel:DWORD
	s_mov_b64 s[4:5], -1
                                        ; implicit-def: $sgpr10
	s_and_saveexec_b64 s[8:9], s[12:13]
; %bb.3370:
	s_mov_b32 s10, 0x7f800001
	s_xor_b64 s[4:5], exec, -1
; %bb.3371:
	s_or_b64 exec, exec, s[8:9]
	s_and_b64 s[4:5], s[4:5], exec
	s_or_saveexec_b64 s[6:7], s[6:7]
	v_mov_b32_e32 v10, s10
	s_xor_b64 exec, exec, s[6:7]
	s_cbranch_execz .LBB55_1322
.LBB55_3372:
	v_mov_b32_e32 v10, 0
	v_cmp_ne_u16_sdwa s[8:9], v14, v10 src0_sel:BYTE_0 src1_sel:DWORD
	s_andn2_b64 s[4:5], s[4:5], exec
	s_and_b64 s[8:9], s[8:9], exec
	s_or_b64 s[4:5], s[4:5], s[8:9]
	s_or_b64 exec, exec, s[6:7]
	s_and_saveexec_b64 s[6:7], s[4:5]
	s_cbranch_execnz .LBB55_1323
	s_branch .LBB55_1324
.LBB55_3373:
	s_movk_i32 s4, 0x80
	v_cmp_eq_u16_sdwa s[12:13], v14, s4 src0_sel:BYTE_0 src1_sel:DWORD
	s_mov_b64 s[4:5], -1
                                        ; implicit-def: $sgpr10
	s_and_saveexec_b64 s[8:9], s[12:13]
; %bb.3374:
	s_mov_b32 s10, 0x7f800001
	s_xor_b64 s[4:5], exec, -1
; %bb.3375:
	s_or_b64 exec, exec, s[8:9]
	s_and_b64 s[4:5], s[4:5], exec
	s_or_saveexec_b64 s[6:7], s[6:7]
	v_mov_b32_e32 v20, s10
	s_xor_b64 exec, exec, s[6:7]
	s_cbranch_execz .LBB55_1326
.LBB55_3376:
	v_mov_b32_e32 v20, 0
	v_cmp_ne_u16_sdwa s[8:9], v14, v20 src0_sel:BYTE_0 src1_sel:DWORD
	s_andn2_b64 s[4:5], s[4:5], exec
	s_and_b64 s[8:9], s[8:9], exec
	s_or_b64 s[4:5], s[4:5], s[8:9]
	s_or_b64 exec, exec, s[6:7]
	s_and_saveexec_b64 s[6:7], s[4:5]
	s_cbranch_execnz .LBB55_1327
	s_branch .LBB55_1328
.LBB55_3377:
	s_movk_i32 s4, 0x80
	v_cmp_eq_u16_e32 vcc, s4, v14
	s_mov_b64 s[4:5], -1
                                        ; implicit-def: $sgpr10
	s_and_saveexec_b64 s[8:9], vcc
; %bb.3378:
	s_mov_b32 s10, 0x7f800001
	s_xor_b64 s[4:5], exec, -1
; %bb.3379:
	s_or_b64 exec, exec, s[8:9]
	s_and_b64 s[4:5], s[4:5], exec
                                        ; implicit-def: $vgpr14
	s_or_saveexec_b64 s[6:7], s[6:7]
	v_mov_b32_e32 v10, s10
	s_xor_b64 exec, exec, s[6:7]
	s_cbranch_execz .LBB55_1330
.LBB55_3380:
	v_cmp_ne_u16_e32 vcc, 0, v14
	s_andn2_b64 s[4:5], s[4:5], exec
	s_and_b64 s[8:9], vcc, exec
	v_mov_b32_e32 v10, 0
	s_or_b64 s[4:5], s[4:5], s[8:9]
	s_or_b64 exec, exec, s[6:7]
	s_and_saveexec_b64 s[6:7], s[4:5]
	s_cbranch_execnz .LBB55_1331
	s_branch .LBB55_1332
.LBB55_3381:
	s_movk_i32 s4, 0x80
	v_cmp_eq_u16_e32 vcc, s4, v14
	s_mov_b64 s[4:5], -1
                                        ; implicit-def: $sgpr10
	s_and_saveexec_b64 s[8:9], vcc
; %bb.3382:
	s_mov_b32 s10, 0x7f800001
	s_xor_b64 s[4:5], exec, -1
; %bb.3383:
	s_or_b64 exec, exec, s[8:9]
	s_and_b64 s[4:5], s[4:5], exec
                                        ; implicit-def: $vgpr14
	s_or_saveexec_b64 s[6:7], s[6:7]
	v_mov_b32_e32 v20, s10
	s_xor_b64 exec, exec, s[6:7]
	s_cbranch_execz .LBB55_1334
.LBB55_3384:
	v_cmp_ne_u16_e32 vcc, 0, v14
	s_andn2_b64 s[4:5], s[4:5], exec
	s_and_b64 s[8:9], vcc, exec
	v_mov_b32_e32 v20, 0
	s_or_b64 s[4:5], s[4:5], s[8:9]
	s_or_b64 exec, exec, s[6:7]
	s_and_saveexec_b64 s[6:7], s[4:5]
	s_cbranch_execnz .LBB55_1335
	s_branch .LBB55_1336
.LBB55_3385:
	s_movk_i32 s4, 0x80
	v_cmp_eq_u16_sdwa s[12:13], v15, s4 src0_sel:BYTE_3 src1_sel:DWORD
	s_mov_b64 s[4:5], -1
                                        ; implicit-def: $sgpr10
	s_and_saveexec_b64 s[8:9], s[12:13]
; %bb.3386:
	s_mov_b32 s10, 0x7f800001
	s_xor_b64 s[4:5], exec, -1
; %bb.3387:
	s_or_b64 exec, exec, s[8:9]
	s_and_b64 s[4:5], s[4:5], exec
	s_or_saveexec_b64 s[6:7], s[6:7]
	v_mov_b32_e32 v10, s10
	s_xor_b64 exec, exec, s[6:7]
	s_cbranch_execz .LBB55_1338
.LBB55_3388:
	v_mov_b32_e32 v10, 0
	v_cmp_ne_u16_sdwa s[8:9], v15, v10 src0_sel:BYTE_3 src1_sel:DWORD
	s_andn2_b64 s[4:5], s[4:5], exec
	s_and_b64 s[8:9], s[8:9], exec
	s_or_b64 s[4:5], s[4:5], s[8:9]
	s_or_b64 exec, exec, s[6:7]
	s_and_saveexec_b64 s[6:7], s[4:5]
	s_cbranch_execnz .LBB55_1339
	s_branch .LBB55_1340
.LBB55_3389:
	s_movk_i32 s4, 0x80
	v_cmp_eq_u16_sdwa s[12:13], v11, s4 src0_sel:BYTE_3 src1_sel:DWORD
	s_mov_b64 s[4:5], -1
                                        ; implicit-def: $sgpr10
	s_and_saveexec_b64 s[8:9], s[12:13]
; %bb.3390:
	s_mov_b32 s10, 0x7f800001
	s_xor_b64 s[4:5], exec, -1
; %bb.3391:
	s_or_b64 exec, exec, s[8:9]
	s_and_b64 s[4:5], s[4:5], exec
	s_or_saveexec_b64 s[6:7], s[6:7]
	v_mov_b32_e32 v14, s10
	s_xor_b64 exec, exec, s[6:7]
	s_cbranch_execz .LBB55_1342
.LBB55_3392:
	v_mov_b32_e32 v14, 0
	v_cmp_ne_u16_sdwa s[8:9], v11, v14 src0_sel:BYTE_3 src1_sel:DWORD
	s_andn2_b64 s[4:5], s[4:5], exec
	s_and_b64 s[8:9], s[8:9], exec
	s_or_b64 s[4:5], s[4:5], s[8:9]
	s_or_b64 exec, exec, s[6:7]
	s_and_saveexec_b64 s[6:7], s[4:5]
	s_cbranch_execnz .LBB55_1343
	s_branch .LBB55_1344
.LBB55_3393:
	s_movk_i32 s4, 0x80
	v_cmp_eq_u16_sdwa s[12:13], v16, s4 src0_sel:BYTE_0 src1_sel:DWORD
	s_mov_b64 s[4:5], -1
                                        ; implicit-def: $sgpr10
	s_and_saveexec_b64 s[8:9], s[12:13]
; %bb.3394:
	s_mov_b32 s10, 0x7f800001
	s_xor_b64 s[4:5], exec, -1
; %bb.3395:
	s_or_b64 exec, exec, s[8:9]
	s_and_b64 s[4:5], s[4:5], exec
	s_or_saveexec_b64 s[6:7], s[6:7]
	v_mov_b32_e32 v10, s10
	s_xor_b64 exec, exec, s[6:7]
	s_cbranch_execz .LBB55_1346
.LBB55_3396:
	v_mov_b32_e32 v10, 0
	v_cmp_ne_u16_sdwa s[8:9], v16, v10 src0_sel:BYTE_0 src1_sel:DWORD
	s_andn2_b64 s[4:5], s[4:5], exec
	s_and_b64 s[8:9], s[8:9], exec
	s_or_b64 s[4:5], s[4:5], s[8:9]
	s_or_b64 exec, exec, s[6:7]
	s_and_saveexec_b64 s[6:7], s[4:5]
	s_cbranch_execnz .LBB55_1347
	s_branch .LBB55_1348
.LBB55_3397:
	s_movk_i32 s4, 0x80
	v_cmp_eq_u16_sdwa s[12:13], v12, s4 src0_sel:BYTE_0 src1_sel:DWORD
	s_mov_b64 s[4:5], -1
                                        ; implicit-def: $sgpr10
	s_and_saveexec_b64 s[8:9], s[12:13]
; %bb.3398:
	s_mov_b32 s10, 0x7f800001
	s_xor_b64 s[4:5], exec, -1
; %bb.3399:
	s_or_b64 exec, exec, s[8:9]
	s_and_b64 s[4:5], s[4:5], exec
	s_or_saveexec_b64 s[6:7], s[6:7]
	v_mov_b32_e32 v11, s10
	s_xor_b64 exec, exec, s[6:7]
	s_cbranch_execz .LBB55_1350
.LBB55_3400:
	v_mov_b32_e32 v11, 0
	v_cmp_ne_u16_sdwa s[8:9], v12, v11 src0_sel:BYTE_0 src1_sel:DWORD
	s_andn2_b64 s[4:5], s[4:5], exec
	s_and_b64 s[8:9], s[8:9], exec
	s_or_b64 s[4:5], s[4:5], s[8:9]
	s_or_b64 exec, exec, s[6:7]
	s_and_saveexec_b64 s[6:7], s[4:5]
	s_cbranch_execnz .LBB55_1351
	s_branch .LBB55_1352
.LBB55_3401:
	s_movk_i32 s4, 0x80
	v_cmp_eq_u16_sdwa s[12:13], v11, s4 src0_sel:BYTE_0 src1_sel:DWORD
	s_mov_b64 s[4:5], -1
                                        ; implicit-def: $sgpr10
	s_and_saveexec_b64 s[8:9], s[12:13]
; %bb.3402:
	s_mov_b32 s10, 0x7f800001
	s_xor_b64 s[4:5], exec, -1
; %bb.3403:
	s_or_b64 exec, exec, s[8:9]
	s_and_b64 s[4:5], s[4:5], exec
	s_or_saveexec_b64 s[6:7], s[6:7]
	v_mov_b32_e32 v10, s10
	s_xor_b64 exec, exec, s[6:7]
	s_cbranch_execz .LBB55_1354
.LBB55_3404:
	v_mov_b32_e32 v10, 0
	v_cmp_ne_u16_sdwa s[8:9], v11, v10 src0_sel:BYTE_0 src1_sel:DWORD
	s_andn2_b64 s[4:5], s[4:5], exec
	s_and_b64 s[8:9], s[8:9], exec
	s_or_b64 s[4:5], s[4:5], s[8:9]
	s_or_b64 exec, exec, s[6:7]
	s_and_saveexec_b64 s[6:7], s[4:5]
	s_cbranch_execnz .LBB55_1355
	s_branch .LBB55_1356
.LBB55_3405:
	s_movk_i32 s4, 0x80
	v_cmp_eq_u16_sdwa s[12:13], v11, s4 src0_sel:BYTE_0 src1_sel:DWORD
	s_mov_b64 s[4:5], -1
                                        ; implicit-def: $sgpr10
	s_and_saveexec_b64 s[8:9], s[12:13]
; %bb.3406:
	s_mov_b32 s10, 0x7f800001
	s_xor_b64 s[4:5], exec, -1
; %bb.3407:
	s_or_b64 exec, exec, s[8:9]
	s_and_b64 s[4:5], s[4:5], exec
	s_or_saveexec_b64 s[6:7], s[6:7]
	v_mov_b32_e32 v14, s10
	s_xor_b64 exec, exec, s[6:7]
	s_cbranch_execz .LBB55_1358
.LBB55_3408:
	v_mov_b32_e32 v14, 0
	v_cmp_ne_u16_sdwa s[8:9], v11, v14 src0_sel:BYTE_0 src1_sel:DWORD
	s_andn2_b64 s[4:5], s[4:5], exec
	s_and_b64 s[8:9], s[8:9], exec
	s_or_b64 s[4:5], s[4:5], s[8:9]
	s_or_b64 exec, exec, s[6:7]
	s_and_saveexec_b64 s[6:7], s[4:5]
	s_cbranch_execnz .LBB55_1359
	s_branch .LBB55_1360
.LBB55_3409:
	s_movk_i32 s4, 0x80
	v_cmp_eq_u16_e32 vcc, s4, v11
	s_mov_b64 s[4:5], -1
                                        ; implicit-def: $sgpr10
	s_and_saveexec_b64 s[8:9], vcc
; %bb.3410:
	s_mov_b32 s10, 0x7f800001
	s_xor_b64 s[4:5], exec, -1
; %bb.3411:
	s_or_b64 exec, exec, s[8:9]
	s_and_b64 s[4:5], s[4:5], exec
                                        ; implicit-def: $vgpr11
	s_or_saveexec_b64 s[6:7], s[6:7]
	v_mov_b32_e32 v10, s10
	s_xor_b64 exec, exec, s[6:7]
	s_cbranch_execz .LBB55_1362
.LBB55_3412:
	v_cmp_ne_u16_e32 vcc, 0, v11
	s_andn2_b64 s[4:5], s[4:5], exec
	s_and_b64 s[8:9], vcc, exec
	v_mov_b32_e32 v10, 0
	s_or_b64 s[4:5], s[4:5], s[8:9]
	s_or_b64 exec, exec, s[6:7]
	s_and_saveexec_b64 s[6:7], s[4:5]
	s_cbranch_execnz .LBB55_1363
	s_branch .LBB55_1364
.LBB55_3413:
	s_movk_i32 s4, 0x80
	v_cmp_eq_u16_e32 vcc, s4, v11
	s_mov_b64 s[4:5], -1
                                        ; implicit-def: $sgpr10
	s_and_saveexec_b64 s[8:9], vcc
; %bb.3414:
	s_mov_b32 s10, 0x7f800001
	s_xor_b64 s[4:5], exec, -1
; %bb.3415:
	s_or_b64 exec, exec, s[8:9]
	s_and_b64 s[4:5], s[4:5], exec
                                        ; implicit-def: $vgpr11
	s_or_saveexec_b64 s[6:7], s[6:7]
	v_mov_b32_e32 v14, s10
	s_xor_b64 exec, exec, s[6:7]
	s_cbranch_execz .LBB55_1366
.LBB55_3416:
	v_cmp_ne_u16_e32 vcc, 0, v11
	s_andn2_b64 s[4:5], s[4:5], exec
	s_and_b64 s[8:9], vcc, exec
	v_mov_b32_e32 v14, 0
	s_or_b64 s[4:5], s[4:5], s[8:9]
	s_or_b64 exec, exec, s[6:7]
	s_and_saveexec_b64 s[6:7], s[4:5]
	s_cbranch_execnz .LBB55_1367
	s_branch .LBB55_1368
.LBB55_3417:
	s_movk_i32 s4, 0x80
	v_cmp_eq_u16_sdwa s[12:13], v16, s4 src0_sel:BYTE_3 src1_sel:DWORD
	s_mov_b64 s[4:5], -1
                                        ; implicit-def: $sgpr10
	s_and_saveexec_b64 s[8:9], s[12:13]
; %bb.3418:
	s_mov_b32 s10, 0x7f800001
	s_xor_b64 s[4:5], exec, -1
; %bb.3419:
	s_or_b64 exec, exec, s[8:9]
	s_and_b64 s[4:5], s[4:5], exec
	s_or_saveexec_b64 s[6:7], s[6:7]
	v_mov_b32_e32 v10, s10
	s_xor_b64 exec, exec, s[6:7]
	s_cbranch_execz .LBB55_1370
.LBB55_3420:
	v_mov_b32_e32 v10, 0
	v_cmp_ne_u16_sdwa s[8:9], v16, v10 src0_sel:BYTE_3 src1_sel:DWORD
	s_andn2_b64 s[4:5], s[4:5], exec
	s_and_b64 s[8:9], s[8:9], exec
	s_or_b64 s[4:5], s[4:5], s[8:9]
	s_or_b64 exec, exec, s[6:7]
	s_and_saveexec_b64 s[6:7], s[4:5]
	s_cbranch_execnz .LBB55_1371
	s_branch .LBB55_1372
.LBB55_3421:
	s_movk_i32 s4, 0x80
	v_cmp_eq_u16_sdwa s[12:13], v12, s4 src0_sel:BYTE_3 src1_sel:DWORD
	s_mov_b64 s[4:5], -1
                                        ; implicit-def: $sgpr10
	s_and_saveexec_b64 s[8:9], s[12:13]
; %bb.3422:
	s_mov_b32 s10, 0x7f800001
	s_xor_b64 s[4:5], exec, -1
; %bb.3423:
	s_or_b64 exec, exec, s[8:9]
	s_and_b64 s[4:5], s[4:5], exec
	s_or_saveexec_b64 s[6:7], s[6:7]
	v_mov_b32_e32 v11, s10
	s_xor_b64 exec, exec, s[6:7]
	s_cbranch_execz .LBB55_1374
.LBB55_3424:
	v_mov_b32_e32 v11, 0
	v_cmp_ne_u16_sdwa s[8:9], v12, v11 src0_sel:BYTE_3 src1_sel:DWORD
	s_andn2_b64 s[4:5], s[4:5], exec
	s_and_b64 s[8:9], s[8:9], exec
	s_or_b64 s[4:5], s[4:5], s[8:9]
	s_or_b64 exec, exec, s[6:7]
	s_and_saveexec_b64 s[6:7], s[4:5]
	s_cbranch_execnz .LBB55_1375
	s_branch .LBB55_1376
.LBB55_3425:
	s_movk_i32 s4, 0x80
	v_cmp_eq_u16_sdwa s[12:13], v17, s4 src0_sel:BYTE_0 src1_sel:DWORD
	s_mov_b64 s[4:5], -1
                                        ; implicit-def: $sgpr10
	s_and_saveexec_b64 s[8:9], s[12:13]
; %bb.3426:
	s_mov_b32 s10, 0x7f800001
	s_xor_b64 s[4:5], exec, -1
; %bb.3427:
	s_or_b64 exec, exec, s[8:9]
	s_and_b64 s[4:5], s[4:5], exec
	s_or_saveexec_b64 s[6:7], s[6:7]
	v_mov_b32_e32 v10, s10
	s_xor_b64 exec, exec, s[6:7]
	s_cbranch_execz .LBB55_1378
.LBB55_3428:
	v_mov_b32_e32 v10, 0
	v_cmp_ne_u16_sdwa s[8:9], v17, v10 src0_sel:BYTE_0 src1_sel:DWORD
	s_andn2_b64 s[4:5], s[4:5], exec
	s_and_b64 s[8:9], s[8:9], exec
	s_or_b64 s[4:5], s[4:5], s[8:9]
	s_or_b64 exec, exec, s[6:7]
	s_and_saveexec_b64 s[6:7], s[4:5]
	s_cbranch_execnz .LBB55_1379
	s_branch .LBB55_1380
.LBB55_3429:
	s_movk_i32 s4, 0x80
	v_cmp_eq_u16_sdwa s[12:13], v13, s4 src0_sel:BYTE_0 src1_sel:DWORD
	s_mov_b64 s[4:5], -1
                                        ; implicit-def: $sgpr10
	s_and_saveexec_b64 s[8:9], s[12:13]
; %bb.3430:
	s_mov_b32 s10, 0x7f800001
	s_xor_b64 s[4:5], exec, -1
; %bb.3431:
	s_or_b64 exec, exec, s[8:9]
	s_and_b64 s[4:5], s[4:5], exec
	s_or_saveexec_b64 s[6:7], s[6:7]
	v_mov_b32_e32 v11, s10
	s_xor_b64 exec, exec, s[6:7]
	s_cbranch_execz .LBB55_1382
.LBB55_3432:
	v_mov_b32_e32 v11, 0
	v_cmp_ne_u16_sdwa s[8:9], v13, v11 src0_sel:BYTE_0 src1_sel:DWORD
	s_andn2_b64 s[4:5], s[4:5], exec
	s_and_b64 s[8:9], s[8:9], exec
	s_or_b64 s[4:5], s[4:5], s[8:9]
	s_or_b64 exec, exec, s[6:7]
	s_and_saveexec_b64 s[6:7], s[4:5]
	s_cbranch_execnz .LBB55_1383
	s_branch .LBB55_1384
.LBB55_3433:
	s_movk_i32 s4, 0x80
	v_cmp_eq_u16_sdwa s[12:13], v11, s4 src0_sel:BYTE_0 src1_sel:DWORD
	s_mov_b64 s[4:5], -1
                                        ; implicit-def: $sgpr10
	s_and_saveexec_b64 s[8:9], s[12:13]
; %bb.3434:
	s_mov_b32 s10, 0x7f800001
	s_xor_b64 s[4:5], exec, -1
; %bb.3435:
	s_or_b64 exec, exec, s[8:9]
	s_and_b64 s[4:5], s[4:5], exec
	s_or_saveexec_b64 s[6:7], s[6:7]
	v_mov_b32_e32 v10, s10
	s_xor_b64 exec, exec, s[6:7]
	s_cbranch_execz .LBB55_1386
.LBB55_3436:
	v_mov_b32_e32 v10, 0
	v_cmp_ne_u16_sdwa s[8:9], v11, v10 src0_sel:BYTE_0 src1_sel:DWORD
	s_andn2_b64 s[4:5], s[4:5], exec
	s_and_b64 s[8:9], s[8:9], exec
	s_or_b64 s[4:5], s[4:5], s[8:9]
	s_or_b64 exec, exec, s[6:7]
	s_and_saveexec_b64 s[6:7], s[4:5]
	s_cbranch_execnz .LBB55_1387
	s_branch .LBB55_1388
.LBB55_3437:
	s_movk_i32 s4, 0x80
	v_cmp_eq_u16_sdwa s[12:13], v11, s4 src0_sel:BYTE_0 src1_sel:DWORD
	s_mov_b64 s[4:5], -1
                                        ; implicit-def: $sgpr10
	s_and_saveexec_b64 s[8:9], s[12:13]
; %bb.3438:
	s_mov_b32 s10, 0x7f800001
	s_xor_b64 s[4:5], exec, -1
; %bb.3439:
	s_or_b64 exec, exec, s[8:9]
	s_and_b64 s[4:5], s[4:5], exec
	s_or_saveexec_b64 s[6:7], s[6:7]
	v_mov_b32_e32 v12, s10
	s_xor_b64 exec, exec, s[6:7]
	s_cbranch_execz .LBB55_1390
.LBB55_3440:
	v_mov_b32_e32 v12, 0
	v_cmp_ne_u16_sdwa s[8:9], v11, v12 src0_sel:BYTE_0 src1_sel:DWORD
	s_andn2_b64 s[4:5], s[4:5], exec
	s_and_b64 s[8:9], s[8:9], exec
	s_or_b64 s[4:5], s[4:5], s[8:9]
	s_or_b64 exec, exec, s[6:7]
	s_and_saveexec_b64 s[6:7], s[4:5]
	s_cbranch_execnz .LBB55_1391
	s_branch .LBB55_1392
.LBB55_3441:
	s_movk_i32 s4, 0x80
	v_cmp_eq_u16_e32 vcc, s4, v11
	s_mov_b64 s[4:5], -1
                                        ; implicit-def: $sgpr10
	s_and_saveexec_b64 s[8:9], vcc
; %bb.3442:
	s_mov_b32 s10, 0x7f800001
	s_xor_b64 s[4:5], exec, -1
; %bb.3443:
	s_or_b64 exec, exec, s[8:9]
	s_and_b64 s[4:5], s[4:5], exec
                                        ; implicit-def: $vgpr11
	s_or_saveexec_b64 s[6:7], s[6:7]
	v_mov_b32_e32 v10, s10
	s_xor_b64 exec, exec, s[6:7]
	s_cbranch_execz .LBB55_1394
.LBB55_3444:
	v_cmp_ne_u16_e32 vcc, 0, v11
	s_andn2_b64 s[4:5], s[4:5], exec
	s_and_b64 s[8:9], vcc, exec
	v_mov_b32_e32 v10, 0
	s_or_b64 s[4:5], s[4:5], s[8:9]
	s_or_b64 exec, exec, s[6:7]
	s_and_saveexec_b64 s[6:7], s[4:5]
	s_cbranch_execnz .LBB55_1395
	s_branch .LBB55_1396
.LBB55_3445:
	s_movk_i32 s4, 0x80
	v_cmp_eq_u16_e32 vcc, s4, v11
	s_mov_b64 s[4:5], -1
                                        ; implicit-def: $sgpr10
	s_and_saveexec_b64 s[8:9], vcc
; %bb.3446:
	s_mov_b32 s10, 0x7f800001
	s_xor_b64 s[4:5], exec, -1
; %bb.3447:
	s_or_b64 exec, exec, s[8:9]
	s_and_b64 s[4:5], s[4:5], exec
                                        ; implicit-def: $vgpr11
	s_or_saveexec_b64 s[6:7], s[6:7]
	v_mov_b32_e32 v12, s10
	s_xor_b64 exec, exec, s[6:7]
	s_cbranch_execz .LBB55_1398
.LBB55_3448:
	v_cmp_ne_u16_e32 vcc, 0, v11
	s_andn2_b64 s[4:5], s[4:5], exec
	s_and_b64 s[8:9], vcc, exec
	v_mov_b32_e32 v12, 0
	s_or_b64 s[4:5], s[4:5], s[8:9]
	s_or_b64 exec, exec, s[6:7]
	s_and_saveexec_b64 s[6:7], s[4:5]
	s_cbranch_execnz .LBB55_1399
	s_branch .LBB55_1400
.LBB55_3449:
	s_movk_i32 s4, 0x80
	v_cmp_eq_u16_sdwa s[12:13], v17, s4 src0_sel:BYTE_3 src1_sel:DWORD
	s_mov_b64 s[4:5], -1
                                        ; implicit-def: $sgpr10
	s_and_saveexec_b64 s[8:9], s[12:13]
; %bb.3450:
	s_mov_b32 s10, 0x7f800001
	s_xor_b64 s[4:5], exec, -1
; %bb.3451:
	s_or_b64 exec, exec, s[8:9]
	s_and_b64 s[4:5], s[4:5], exec
	s_or_saveexec_b64 s[6:7], s[6:7]
	v_mov_b32_e32 v10, s10
	s_xor_b64 exec, exec, s[6:7]
	s_cbranch_execz .LBB55_1402
.LBB55_3452:
	v_mov_b32_e32 v10, 0
	v_cmp_ne_u16_sdwa s[8:9], v17, v10 src0_sel:BYTE_3 src1_sel:DWORD
	s_andn2_b64 s[4:5], s[4:5], exec
	s_and_b64 s[8:9], s[8:9], exec
	s_or_b64 s[4:5], s[4:5], s[8:9]
	s_or_b64 exec, exec, s[6:7]
	s_and_saveexec_b64 s[6:7], s[4:5]
	s_cbranch_execnz .LBB55_1403
	s_branch .LBB55_1404
.LBB55_3453:
	s_movk_i32 s4, 0x80
	v_cmp_eq_u16_sdwa s[12:13], v13, s4 src0_sel:BYTE_3 src1_sel:DWORD
	s_mov_b64 s[4:5], -1
                                        ; implicit-def: $sgpr10
	s_and_saveexec_b64 s[8:9], s[12:13]
; %bb.3454:
	s_mov_b32 s10, 0x7f800001
	s_xor_b64 s[4:5], exec, -1
; %bb.3455:
	s_or_b64 exec, exec, s[8:9]
	s_and_b64 s[4:5], s[4:5], exec
	s_or_saveexec_b64 s[6:7], s[6:7]
	v_mov_b32_e32 v11, s10
	s_xor_b64 exec, exec, s[6:7]
	s_cbranch_execz .LBB55_1406
.LBB55_3456:
	v_mov_b32_e32 v11, 0
	v_cmp_ne_u16_sdwa s[8:9], v13, v11 src0_sel:BYTE_3 src1_sel:DWORD
	s_andn2_b64 s[4:5], s[4:5], exec
	s_and_b64 s[8:9], s[8:9], exec
	s_or_b64 s[4:5], s[4:5], s[8:9]
	s_or_b64 exec, exec, s[6:7]
	s_and_saveexec_b64 s[6:7], s[4:5]
	s_cbranch_execnz .LBB55_1407
	s_branch .LBB55_1408
.LBB55_3457:
	s_movk_i32 s4, 0x80
	v_cmp_eq_u16_sdwa s[12:13], v6, s4 src0_sel:BYTE_0 src1_sel:DWORD
	s_mov_b64 s[4:5], -1
                                        ; implicit-def: $sgpr10
	s_and_saveexec_b64 s[8:9], s[12:13]
; %bb.3458:
	s_mov_b32 s10, 0x7f800001
	s_xor_b64 s[4:5], exec, -1
; %bb.3459:
	s_or_b64 exec, exec, s[8:9]
	s_and_b64 s[4:5], s[4:5], exec
	s_or_saveexec_b64 s[6:7], s[6:7]
	v_mov_b32_e32 v10, s10
	s_xor_b64 exec, exec, s[6:7]
	s_cbranch_execz .LBB55_1410
.LBB55_3460:
	v_mov_b32_e32 v10, 0
	v_cmp_ne_u16_sdwa s[8:9], v6, v10 src0_sel:BYTE_0 src1_sel:DWORD
	s_andn2_b64 s[4:5], s[4:5], exec
	s_and_b64 s[8:9], s[8:9], exec
	s_or_b64 s[4:5], s[4:5], s[8:9]
	s_or_b64 exec, exec, s[6:7]
	s_and_saveexec_b64 s[6:7], s[4:5]
	s_cbranch_execnz .LBB55_1411
	s_branch .LBB55_1412
.LBB55_3461:
	s_movk_i32 s4, 0x80
	v_cmp_eq_u16_sdwa s[12:13], v2, s4 src0_sel:BYTE_0 src1_sel:DWORD
	s_mov_b64 s[4:5], -1
                                        ; implicit-def: $sgpr10
	s_and_saveexec_b64 s[8:9], s[12:13]
; %bb.3462:
	s_mov_b32 s10, 0x7f800001
	s_xor_b64 s[4:5], exec, -1
; %bb.3463:
	s_or_b64 exec, exec, s[8:9]
	s_and_b64 s[4:5], s[4:5], exec
	s_or_saveexec_b64 s[6:7], s[6:7]
	v_mov_b32_e32 v11, s10
	s_xor_b64 exec, exec, s[6:7]
	s_cbranch_execz .LBB55_1414
.LBB55_3464:
	v_mov_b32_e32 v11, 0
	v_cmp_ne_u16_sdwa s[8:9], v2, v11 src0_sel:BYTE_0 src1_sel:DWORD
	s_andn2_b64 s[4:5], s[4:5], exec
	s_and_b64 s[8:9], s[8:9], exec
	s_or_b64 s[4:5], s[4:5], s[8:9]
	s_or_b64 exec, exec, s[6:7]
	s_and_saveexec_b64 s[6:7], s[4:5]
	s_cbranch_execnz .LBB55_1415
	s_branch .LBB55_1416
.LBB55_3465:
	s_movk_i32 s4, 0x80
	v_cmp_eq_u16_sdwa s[12:13], v11, s4 src0_sel:BYTE_0 src1_sel:DWORD
	s_mov_b64 s[4:5], -1
                                        ; implicit-def: $sgpr10
	s_and_saveexec_b64 s[8:9], s[12:13]
; %bb.3466:
	s_mov_b32 s10, 0x7f800001
	s_xor_b64 s[4:5], exec, -1
; %bb.3467:
	s_or_b64 exec, exec, s[8:9]
	s_and_b64 s[4:5], s[4:5], exec
	s_or_saveexec_b64 s[6:7], s[6:7]
	v_mov_b32_e32 v10, s10
	s_xor_b64 exec, exec, s[6:7]
	s_cbranch_execz .LBB55_1418
.LBB55_3468:
	v_mov_b32_e32 v10, 0
	v_cmp_ne_u16_sdwa s[8:9], v11, v10 src0_sel:BYTE_0 src1_sel:DWORD
	s_andn2_b64 s[4:5], s[4:5], exec
	s_and_b64 s[8:9], s[8:9], exec
	s_or_b64 s[4:5], s[4:5], s[8:9]
	s_or_b64 exec, exec, s[6:7]
	s_and_saveexec_b64 s[6:7], s[4:5]
	s_cbranch_execnz .LBB55_1419
	s_branch .LBB55_1420
.LBB55_3469:
	s_movk_i32 s4, 0x80
	v_cmp_eq_u16_sdwa s[12:13], v11, s4 src0_sel:BYTE_0 src1_sel:DWORD
	s_mov_b64 s[4:5], -1
                                        ; implicit-def: $sgpr10
	s_and_saveexec_b64 s[8:9], s[12:13]
; %bb.3470:
	s_mov_b32 s10, 0x7f800001
	s_xor_b64 s[4:5], exec, -1
; %bb.3471:
	s_or_b64 exec, exec, s[8:9]
	s_and_b64 s[4:5], s[4:5], exec
	s_or_saveexec_b64 s[6:7], s[6:7]
	v_mov_b32_e32 v12, s10
	s_xor_b64 exec, exec, s[6:7]
	s_cbranch_execz .LBB55_1422
.LBB55_3472:
	v_mov_b32_e32 v12, 0
	v_cmp_ne_u16_sdwa s[8:9], v11, v12 src0_sel:BYTE_0 src1_sel:DWORD
	s_andn2_b64 s[4:5], s[4:5], exec
	s_and_b64 s[8:9], s[8:9], exec
	s_or_b64 s[4:5], s[4:5], s[8:9]
	s_or_b64 exec, exec, s[6:7]
	s_and_saveexec_b64 s[6:7], s[4:5]
	s_cbranch_execnz .LBB55_1423
	s_branch .LBB55_1424
.LBB55_3473:
	s_movk_i32 s4, 0x80
	v_cmp_eq_u16_e32 vcc, s4, v11
	s_mov_b64 s[4:5], -1
                                        ; implicit-def: $sgpr10
	s_and_saveexec_b64 s[8:9], vcc
; %bb.3474:
	s_mov_b32 s10, 0x7f800001
	s_xor_b64 s[4:5], exec, -1
; %bb.3475:
	s_or_b64 exec, exec, s[8:9]
	s_and_b64 s[4:5], s[4:5], exec
                                        ; implicit-def: $vgpr11
	s_or_saveexec_b64 s[6:7], s[6:7]
	v_mov_b32_e32 v10, s10
	s_xor_b64 exec, exec, s[6:7]
	s_cbranch_execz .LBB55_1426
.LBB55_3476:
	v_cmp_ne_u16_e32 vcc, 0, v11
	s_andn2_b64 s[4:5], s[4:5], exec
	s_and_b64 s[8:9], vcc, exec
	v_mov_b32_e32 v10, 0
	s_or_b64 s[4:5], s[4:5], s[8:9]
	s_or_b64 exec, exec, s[6:7]
	s_and_saveexec_b64 s[6:7], s[4:5]
	s_cbranch_execnz .LBB55_1427
	s_branch .LBB55_1428
.LBB55_3477:
	s_movk_i32 s4, 0x80
	v_cmp_eq_u16_e32 vcc, s4, v11
	s_mov_b64 s[4:5], -1
                                        ; implicit-def: $sgpr10
	s_and_saveexec_b64 s[8:9], vcc
; %bb.3478:
	s_mov_b32 s10, 0x7f800001
	s_xor_b64 s[4:5], exec, -1
; %bb.3479:
	s_or_b64 exec, exec, s[8:9]
	s_and_b64 s[4:5], s[4:5], exec
                                        ; implicit-def: $vgpr11
	s_or_saveexec_b64 s[6:7], s[6:7]
	v_mov_b32_e32 v12, s10
	s_xor_b64 exec, exec, s[6:7]
	s_cbranch_execz .LBB55_1430
.LBB55_3480:
	v_cmp_ne_u16_e32 vcc, 0, v11
	s_andn2_b64 s[4:5], s[4:5], exec
	s_and_b64 s[8:9], vcc, exec
	v_mov_b32_e32 v12, 0
	s_or_b64 s[4:5], s[4:5], s[8:9]
	s_or_b64 exec, exec, s[6:7]
	s_and_saveexec_b64 s[6:7], s[4:5]
	s_cbranch_execnz .LBB55_1431
	s_branch .LBB55_1432
.LBB55_3481:
	s_movk_i32 s4, 0x80
	v_cmp_eq_u16_sdwa s[12:13], v6, s4 src0_sel:BYTE_3 src1_sel:DWORD
	s_mov_b64 s[4:5], -1
                                        ; implicit-def: $sgpr10
	s_and_saveexec_b64 s[8:9], s[12:13]
; %bb.3482:
	s_mov_b32 s10, 0x7f800001
	s_xor_b64 s[4:5], exec, -1
; %bb.3483:
	s_or_b64 exec, exec, s[8:9]
	s_and_b64 s[4:5], s[4:5], exec
	s_or_saveexec_b64 s[6:7], s[6:7]
	v_mov_b32_e32 v10, s10
	s_xor_b64 exec, exec, s[6:7]
	s_cbranch_execz .LBB55_1434
.LBB55_3484:
	v_mov_b32_e32 v10, 0
	v_cmp_ne_u16_sdwa s[8:9], v6, v10 src0_sel:BYTE_3 src1_sel:DWORD
	s_andn2_b64 s[4:5], s[4:5], exec
	s_and_b64 s[8:9], s[8:9], exec
	s_or_b64 s[4:5], s[4:5], s[8:9]
	s_or_b64 exec, exec, s[6:7]
	s_and_saveexec_b64 s[6:7], s[4:5]
	s_cbranch_execnz .LBB55_1435
	s_branch .LBB55_1436
.LBB55_3485:
	s_movk_i32 s4, 0x80
	v_cmp_eq_u16_sdwa s[12:13], v2, s4 src0_sel:BYTE_3 src1_sel:DWORD
	s_mov_b64 s[4:5], -1
                                        ; implicit-def: $sgpr10
	s_and_saveexec_b64 s[8:9], s[12:13]
; %bb.3486:
	s_mov_b32 s10, 0x7f800001
	s_xor_b64 s[4:5], exec, -1
; %bb.3487:
	s_or_b64 exec, exec, s[8:9]
	s_and_b64 s[4:5], s[4:5], exec
	s_or_saveexec_b64 s[6:7], s[6:7]
	v_mov_b32_e32 v6, s10
	s_xor_b64 exec, exec, s[6:7]
	s_cbranch_execz .LBB55_1438
.LBB55_3488:
	v_mov_b32_e32 v6, 0
	v_cmp_ne_u16_sdwa s[8:9], v2, v6 src0_sel:BYTE_3 src1_sel:DWORD
	s_andn2_b64 s[4:5], s[4:5], exec
	s_and_b64 s[8:9], s[8:9], exec
	s_or_b64 s[4:5], s[4:5], s[8:9]
	s_or_b64 exec, exec, s[6:7]
	s_and_saveexec_b64 s[6:7], s[4:5]
	s_cbranch_execnz .LBB55_1439
	s_branch .LBB55_1440
.LBB55_3489:
	s_movk_i32 s4, 0x80
	v_cmp_eq_u16_sdwa s[12:13], v7, s4 src0_sel:BYTE_0 src1_sel:DWORD
	s_mov_b64 s[4:5], -1
                                        ; implicit-def: $sgpr10
	s_and_saveexec_b64 s[8:9], s[12:13]
; %bb.3490:
	s_mov_b32 s10, 0x7f800001
	s_xor_b64 s[4:5], exec, -1
; %bb.3491:
	s_or_b64 exec, exec, s[8:9]
	s_and_b64 s[4:5], s[4:5], exec
	s_or_saveexec_b64 s[6:7], s[6:7]
	v_mov_b32_e32 v2, s10
	s_xor_b64 exec, exec, s[6:7]
	s_cbranch_execz .LBB55_1442
.LBB55_3492:
	v_mov_b32_e32 v2, 0
	v_cmp_ne_u16_sdwa s[8:9], v7, v2 src0_sel:BYTE_0 src1_sel:DWORD
	s_andn2_b64 s[4:5], s[4:5], exec
	s_and_b64 s[8:9], s[8:9], exec
	s_or_b64 s[4:5], s[4:5], s[8:9]
	s_or_b64 exec, exec, s[6:7]
	s_and_saveexec_b64 s[6:7], s[4:5]
	s_cbranch_execnz .LBB55_1443
	s_branch .LBB55_1444
.LBB55_3493:
	s_movk_i32 s4, 0x80
	v_cmp_eq_u16_sdwa s[12:13], v3, s4 src0_sel:BYTE_0 src1_sel:DWORD
	s_mov_b64 s[4:5], -1
                                        ; implicit-def: $sgpr10
	s_and_saveexec_b64 s[8:9], s[12:13]
; %bb.3494:
	s_mov_b32 s10, 0x7f800001
	s_xor_b64 s[4:5], exec, -1
; %bb.3495:
	s_or_b64 exec, exec, s[8:9]
	s_and_b64 s[4:5], s[4:5], exec
	s_or_saveexec_b64 s[6:7], s[6:7]
	v_mov_b32_e32 v6, s10
	s_xor_b64 exec, exec, s[6:7]
	s_cbranch_execz .LBB55_1446
.LBB55_3496:
	v_mov_b32_e32 v6, 0
	v_cmp_ne_u16_sdwa s[8:9], v3, v6 src0_sel:BYTE_0 src1_sel:DWORD
	s_andn2_b64 s[4:5], s[4:5], exec
	s_and_b64 s[8:9], s[8:9], exec
	s_or_b64 s[4:5], s[4:5], s[8:9]
	s_or_b64 exec, exec, s[6:7]
	s_and_saveexec_b64 s[6:7], s[4:5]
	s_cbranch_execnz .LBB55_1447
	s_branch .LBB55_1448
.LBB55_3497:
	s_movk_i32 s4, 0x80
	v_cmp_eq_u16_sdwa s[12:13], v6, s4 src0_sel:BYTE_0 src1_sel:DWORD
	s_mov_b64 s[4:5], -1
                                        ; implicit-def: $sgpr10
	s_and_saveexec_b64 s[8:9], s[12:13]
; %bb.3498:
	s_mov_b32 s10, 0x7f800001
	s_xor_b64 s[4:5], exec, -1
; %bb.3499:
	s_or_b64 exec, exec, s[8:9]
	s_and_b64 s[4:5], s[4:5], exec
	s_or_saveexec_b64 s[6:7], s[6:7]
	v_mov_b32_e32 v2, s10
	s_xor_b64 exec, exec, s[6:7]
	s_cbranch_execz .LBB55_1450
.LBB55_3500:
	v_mov_b32_e32 v2, 0
	v_cmp_ne_u16_sdwa s[8:9], v6, v2 src0_sel:BYTE_0 src1_sel:DWORD
	s_andn2_b64 s[4:5], s[4:5], exec
	s_and_b64 s[8:9], s[8:9], exec
	s_or_b64 s[4:5], s[4:5], s[8:9]
	s_or_b64 exec, exec, s[6:7]
	s_and_saveexec_b64 s[6:7], s[4:5]
	s_cbranch_execnz .LBB55_1451
	s_branch .LBB55_1452
.LBB55_3501:
	s_movk_i32 s4, 0x80
	v_cmp_eq_u16_sdwa s[12:13], v6, s4 src0_sel:BYTE_0 src1_sel:DWORD
	s_mov_b64 s[4:5], -1
                                        ; implicit-def: $sgpr10
	s_and_saveexec_b64 s[8:9], s[12:13]
; %bb.3502:
	s_mov_b32 s10, 0x7f800001
	s_xor_b64 s[4:5], exec, -1
; %bb.3503:
	s_or_b64 exec, exec, s[8:9]
	s_and_b64 s[4:5], s[4:5], exec
	s_or_saveexec_b64 s[6:7], s[6:7]
	v_mov_b32_e32 v10, s10
	s_xor_b64 exec, exec, s[6:7]
	s_cbranch_execz .LBB55_1454
.LBB55_3504:
	v_mov_b32_e32 v10, 0
	v_cmp_ne_u16_sdwa s[8:9], v6, v10 src0_sel:BYTE_0 src1_sel:DWORD
	s_andn2_b64 s[4:5], s[4:5], exec
	s_and_b64 s[8:9], s[8:9], exec
	s_or_b64 s[4:5], s[4:5], s[8:9]
	s_or_b64 exec, exec, s[6:7]
	s_and_saveexec_b64 s[6:7], s[4:5]
	s_cbranch_execnz .LBB55_1455
	s_branch .LBB55_1456
.LBB55_3505:
	s_movk_i32 s4, 0x80
	v_cmp_eq_u16_e32 vcc, s4, v6
	s_mov_b64 s[4:5], -1
                                        ; implicit-def: $sgpr10
	s_and_saveexec_b64 s[8:9], vcc
; %bb.3506:
	s_mov_b32 s10, 0x7f800001
	s_xor_b64 s[4:5], exec, -1
; %bb.3507:
	s_or_b64 exec, exec, s[8:9]
	s_and_b64 s[4:5], s[4:5], exec
                                        ; implicit-def: $vgpr6
	s_or_saveexec_b64 s[6:7], s[6:7]
	v_mov_b32_e32 v2, s10
	s_xor_b64 exec, exec, s[6:7]
	s_cbranch_execz .LBB55_1458
.LBB55_3508:
	v_cmp_ne_u16_e32 vcc, 0, v6
	s_andn2_b64 s[4:5], s[4:5], exec
	s_and_b64 s[8:9], vcc, exec
	v_mov_b32_e32 v2, 0
	s_or_b64 s[4:5], s[4:5], s[8:9]
	s_or_b64 exec, exec, s[6:7]
	s_and_saveexec_b64 s[6:7], s[4:5]
	s_cbranch_execnz .LBB55_1459
	s_branch .LBB55_1460
.LBB55_3509:
	s_movk_i32 s4, 0x80
	v_cmp_eq_u16_e32 vcc, s4, v6
	s_mov_b64 s[4:5], -1
                                        ; implicit-def: $sgpr10
	s_and_saveexec_b64 s[8:9], vcc
; %bb.3510:
	s_mov_b32 s10, 0x7f800001
	s_xor_b64 s[4:5], exec, -1
; %bb.3511:
	s_or_b64 exec, exec, s[8:9]
	s_and_b64 s[4:5], s[4:5], exec
                                        ; implicit-def: $vgpr6
	s_or_saveexec_b64 s[6:7], s[6:7]
	v_mov_b32_e32 v10, s10
	s_xor_b64 exec, exec, s[6:7]
	s_cbranch_execz .LBB55_1462
.LBB55_3512:
	v_cmp_ne_u16_e32 vcc, 0, v6
	s_andn2_b64 s[4:5], s[4:5], exec
	s_and_b64 s[8:9], vcc, exec
	v_mov_b32_e32 v10, 0
	s_or_b64 s[4:5], s[4:5], s[8:9]
	s_or_b64 exec, exec, s[6:7]
	s_and_saveexec_b64 s[6:7], s[4:5]
	s_cbranch_execnz .LBB55_1463
	s_branch .LBB55_1464
.LBB55_3513:
	s_movk_i32 s4, 0x80
	v_cmp_eq_u16_sdwa s[12:13], v7, s4 src0_sel:BYTE_3 src1_sel:DWORD
	s_mov_b64 s[4:5], -1
                                        ; implicit-def: $sgpr10
	s_and_saveexec_b64 s[8:9], s[12:13]
; %bb.3514:
	s_mov_b32 s10, 0x7f800001
	s_xor_b64 s[4:5], exec, -1
; %bb.3515:
	s_or_b64 exec, exec, s[8:9]
	s_and_b64 s[4:5], s[4:5], exec
	s_or_saveexec_b64 s[6:7], s[6:7]
	v_mov_b32_e32 v2, s10
	s_xor_b64 exec, exec, s[6:7]
	s_cbranch_execz .LBB55_1466
.LBB55_3516:
	v_mov_b32_e32 v2, 0
	v_cmp_ne_u16_sdwa s[8:9], v7, v2 src0_sel:BYTE_3 src1_sel:DWORD
	s_andn2_b64 s[4:5], s[4:5], exec
	s_and_b64 s[8:9], s[8:9], exec
	s_or_b64 s[4:5], s[4:5], s[8:9]
	s_or_b64 exec, exec, s[6:7]
	s_and_saveexec_b64 s[6:7], s[4:5]
	s_cbranch_execnz .LBB55_1467
	s_branch .LBB55_1468
.LBB55_3517:
	s_movk_i32 s4, 0x80
	v_cmp_eq_u16_sdwa s[12:13], v3, s4 src0_sel:BYTE_3 src1_sel:DWORD
	s_mov_b64 s[4:5], -1
                                        ; implicit-def: $sgpr10
	s_and_saveexec_b64 s[8:9], s[12:13]
; %bb.3518:
	s_mov_b32 s10, 0x7f800001
	s_xor_b64 s[4:5], exec, -1
; %bb.3519:
	s_or_b64 exec, exec, s[8:9]
	s_and_b64 s[4:5], s[4:5], exec
	s_or_saveexec_b64 s[6:7], s[6:7]
	v_mov_b32_e32 v6, s10
	s_xor_b64 exec, exec, s[6:7]
	s_cbranch_execz .LBB55_1470
.LBB55_3520:
	v_mov_b32_e32 v6, 0
	v_cmp_ne_u16_sdwa s[8:9], v3, v6 src0_sel:BYTE_3 src1_sel:DWORD
	s_andn2_b64 s[4:5], s[4:5], exec
	s_and_b64 s[8:9], s[8:9], exec
	s_or_b64 s[4:5], s[4:5], s[8:9]
	s_or_b64 exec, exec, s[6:7]
	s_and_saveexec_b64 s[6:7], s[4:5]
	s_cbranch_execnz .LBB55_1471
	s_branch .LBB55_1472
.LBB55_3521:
	s_movk_i32 s4, 0x80
	v_cmp_eq_u16_sdwa s[12:13], v8, s4 src0_sel:BYTE_0 src1_sel:DWORD
	s_mov_b64 s[4:5], -1
                                        ; implicit-def: $sgpr10
	s_and_saveexec_b64 s[8:9], s[12:13]
; %bb.3522:
	s_mov_b32 s10, 0x7f800001
	s_xor_b64 s[4:5], exec, -1
; %bb.3523:
	s_or_b64 exec, exec, s[8:9]
	s_and_b64 s[4:5], s[4:5], exec
	s_or_saveexec_b64 s[6:7], s[6:7]
	v_mov_b32_e32 v2, s10
	s_xor_b64 exec, exec, s[6:7]
	s_cbranch_execz .LBB55_1474
.LBB55_3524:
	v_mov_b32_e32 v2, 0
	v_cmp_ne_u16_sdwa s[8:9], v8, v2 src0_sel:BYTE_0 src1_sel:DWORD
	s_andn2_b64 s[4:5], s[4:5], exec
	s_and_b64 s[8:9], s[8:9], exec
	s_or_b64 s[4:5], s[4:5], s[8:9]
	s_or_b64 exec, exec, s[6:7]
	s_and_saveexec_b64 s[6:7], s[4:5]
	s_cbranch_execnz .LBB55_1475
	s_branch .LBB55_1476
.LBB55_3525:
	s_movk_i32 s4, 0x80
	v_cmp_eq_u16_sdwa s[12:13], v4, s4 src0_sel:BYTE_0 src1_sel:DWORD
	s_mov_b64 s[4:5], -1
                                        ; implicit-def: $sgpr10
	s_and_saveexec_b64 s[8:9], s[12:13]
; %bb.3526:
	s_mov_b32 s10, 0x7f800001
	s_xor_b64 s[4:5], exec, -1
; %bb.3527:
	s_or_b64 exec, exec, s[8:9]
	s_and_b64 s[4:5], s[4:5], exec
	s_or_saveexec_b64 s[6:7], s[6:7]
	v_mov_b32_e32 v3, s10
	s_xor_b64 exec, exec, s[6:7]
	s_cbranch_execz .LBB55_1478
.LBB55_3528:
	v_mov_b32_e32 v3, 0
	v_cmp_ne_u16_sdwa s[8:9], v4, v3 src0_sel:BYTE_0 src1_sel:DWORD
	s_andn2_b64 s[4:5], s[4:5], exec
	s_and_b64 s[8:9], s[8:9], exec
	s_or_b64 s[4:5], s[4:5], s[8:9]
	s_or_b64 exec, exec, s[6:7]
	s_and_saveexec_b64 s[6:7], s[4:5]
	s_cbranch_execnz .LBB55_1479
	s_branch .LBB55_1480
.LBB55_3529:
	s_movk_i32 s4, 0x80
	v_cmp_eq_u16_sdwa s[12:13], v3, s4 src0_sel:BYTE_0 src1_sel:DWORD
	s_mov_b64 s[4:5], -1
                                        ; implicit-def: $sgpr10
	s_and_saveexec_b64 s[8:9], s[12:13]
; %bb.3530:
	s_mov_b32 s10, 0x7f800001
	s_xor_b64 s[4:5], exec, -1
; %bb.3531:
	s_or_b64 exec, exec, s[8:9]
	s_and_b64 s[4:5], s[4:5], exec
	s_or_saveexec_b64 s[6:7], s[6:7]
	v_mov_b32_e32 v2, s10
	s_xor_b64 exec, exec, s[6:7]
	s_cbranch_execz .LBB55_1482
.LBB55_3532:
	v_mov_b32_e32 v2, 0
	v_cmp_ne_u16_sdwa s[8:9], v3, v2 src0_sel:BYTE_0 src1_sel:DWORD
	s_andn2_b64 s[4:5], s[4:5], exec
	s_and_b64 s[8:9], s[8:9], exec
	s_or_b64 s[4:5], s[4:5], s[8:9]
	s_or_b64 exec, exec, s[6:7]
	s_and_saveexec_b64 s[6:7], s[4:5]
	s_cbranch_execnz .LBB55_1483
	s_branch .LBB55_1484
.LBB55_3533:
	s_movk_i32 s4, 0x80
	v_cmp_eq_u16_sdwa s[12:13], v3, s4 src0_sel:BYTE_0 src1_sel:DWORD
	s_mov_b64 s[4:5], -1
                                        ; implicit-def: $sgpr10
	s_and_saveexec_b64 s[8:9], s[12:13]
; %bb.3534:
	s_mov_b32 s10, 0x7f800001
	s_xor_b64 s[4:5], exec, -1
; %bb.3535:
	s_or_b64 exec, exec, s[8:9]
	s_and_b64 s[4:5], s[4:5], exec
	s_or_saveexec_b64 s[6:7], s[6:7]
	v_mov_b32_e32 v6, s10
	s_xor_b64 exec, exec, s[6:7]
	s_cbranch_execz .LBB55_1486
.LBB55_3536:
	v_mov_b32_e32 v6, 0
	v_cmp_ne_u16_sdwa s[8:9], v3, v6 src0_sel:BYTE_0 src1_sel:DWORD
	s_andn2_b64 s[4:5], s[4:5], exec
	s_and_b64 s[8:9], s[8:9], exec
	s_or_b64 s[4:5], s[4:5], s[8:9]
	s_or_b64 exec, exec, s[6:7]
	s_and_saveexec_b64 s[6:7], s[4:5]
	s_cbranch_execnz .LBB55_1487
	s_branch .LBB55_1488
.LBB55_3537:
	s_movk_i32 s4, 0x80
	v_cmp_eq_u16_e32 vcc, s4, v3
	s_mov_b64 s[4:5], -1
                                        ; implicit-def: $sgpr10
	s_and_saveexec_b64 s[8:9], vcc
; %bb.3538:
	s_mov_b32 s10, 0x7f800001
	s_xor_b64 s[4:5], exec, -1
; %bb.3539:
	s_or_b64 exec, exec, s[8:9]
	s_and_b64 s[4:5], s[4:5], exec
                                        ; implicit-def: $vgpr3
	s_or_saveexec_b64 s[6:7], s[6:7]
	v_mov_b32_e32 v2, s10
	s_xor_b64 exec, exec, s[6:7]
	s_cbranch_execz .LBB55_1490
.LBB55_3540:
	v_cmp_ne_u16_e32 vcc, 0, v3
	s_andn2_b64 s[4:5], s[4:5], exec
	s_and_b64 s[8:9], vcc, exec
	v_mov_b32_e32 v2, 0
	s_or_b64 s[4:5], s[4:5], s[8:9]
	s_or_b64 exec, exec, s[6:7]
	s_and_saveexec_b64 s[6:7], s[4:5]
	s_cbranch_execnz .LBB55_1491
	s_branch .LBB55_1492
.LBB55_3541:
	s_movk_i32 s4, 0x80
	v_cmp_eq_u16_e32 vcc, s4, v3
	s_mov_b64 s[4:5], -1
                                        ; implicit-def: $sgpr10
	s_and_saveexec_b64 s[8:9], vcc
; %bb.3542:
	s_mov_b32 s10, 0x7f800001
	s_xor_b64 s[4:5], exec, -1
; %bb.3543:
	s_or_b64 exec, exec, s[8:9]
	s_and_b64 s[4:5], s[4:5], exec
                                        ; implicit-def: $vgpr3
	s_or_saveexec_b64 s[6:7], s[6:7]
	v_mov_b32_e32 v6, s10
	s_xor_b64 exec, exec, s[6:7]
	s_cbranch_execz .LBB55_1494
.LBB55_3544:
	v_cmp_ne_u16_e32 vcc, 0, v3
	s_andn2_b64 s[4:5], s[4:5], exec
	s_and_b64 s[8:9], vcc, exec
	v_mov_b32_e32 v6, 0
	s_or_b64 s[4:5], s[4:5], s[8:9]
	s_or_b64 exec, exec, s[6:7]
	s_and_saveexec_b64 s[6:7], s[4:5]
	s_cbranch_execnz .LBB55_1495
	s_branch .LBB55_1496
.LBB55_3545:
	s_movk_i32 s4, 0x80
	v_cmp_eq_u16_sdwa s[12:13], v8, s4 src0_sel:BYTE_3 src1_sel:DWORD
	s_mov_b64 s[4:5], -1
                                        ; implicit-def: $sgpr10
	s_and_saveexec_b64 s[8:9], s[12:13]
; %bb.3546:
	s_mov_b32 s10, 0x7f800001
	s_xor_b64 s[4:5], exec, -1
; %bb.3547:
	s_or_b64 exec, exec, s[8:9]
	s_and_b64 s[4:5], s[4:5], exec
	s_or_saveexec_b64 s[6:7], s[6:7]
	v_mov_b32_e32 v2, s10
	s_xor_b64 exec, exec, s[6:7]
	s_cbranch_execz .LBB55_1498
.LBB55_3548:
	v_mov_b32_e32 v2, 0
	v_cmp_ne_u16_sdwa s[8:9], v8, v2 src0_sel:BYTE_3 src1_sel:DWORD
	s_andn2_b64 s[4:5], s[4:5], exec
	s_and_b64 s[8:9], s[8:9], exec
	s_or_b64 s[4:5], s[4:5], s[8:9]
	s_or_b64 exec, exec, s[6:7]
	s_and_saveexec_b64 s[6:7], s[4:5]
	s_cbranch_execnz .LBB55_1499
	s_branch .LBB55_1500
.LBB55_3549:
	s_movk_i32 s4, 0x80
	v_cmp_eq_u16_sdwa s[12:13], v4, s4 src0_sel:BYTE_3 src1_sel:DWORD
	s_mov_b64 s[4:5], -1
                                        ; implicit-def: $sgpr10
	s_and_saveexec_b64 s[8:9], s[12:13]
; %bb.3550:
	s_mov_b32 s10, 0x7f800001
	s_xor_b64 s[4:5], exec, -1
; %bb.3551:
	s_or_b64 exec, exec, s[8:9]
	s_and_b64 s[4:5], s[4:5], exec
	s_or_saveexec_b64 s[6:7], s[6:7]
	v_mov_b32_e32 v3, s10
	s_xor_b64 exec, exec, s[6:7]
	s_cbranch_execz .LBB55_1502
.LBB55_3552:
	v_mov_b32_e32 v3, 0
	v_cmp_ne_u16_sdwa s[8:9], v4, v3 src0_sel:BYTE_3 src1_sel:DWORD
	s_andn2_b64 s[4:5], s[4:5], exec
	s_and_b64 s[8:9], s[8:9], exec
	s_or_b64 s[4:5], s[4:5], s[8:9]
	s_or_b64 exec, exec, s[6:7]
	s_and_saveexec_b64 s[6:7], s[4:5]
	s_cbranch_execnz .LBB55_1503
	s_branch .LBB55_1504
.LBB55_3553:
	s_movk_i32 s4, 0x80
	v_cmp_eq_u16_sdwa s[12:13], v9, s4 src0_sel:BYTE_0 src1_sel:DWORD
	s_mov_b64 s[4:5], -1
                                        ; implicit-def: $sgpr10
	s_and_saveexec_b64 s[8:9], s[12:13]
; %bb.3554:
	s_mov_b32 s10, 0x7f800001
	s_xor_b64 s[4:5], exec, -1
; %bb.3555:
	s_or_b64 exec, exec, s[8:9]
	s_and_b64 s[4:5], s[4:5], exec
	s_or_saveexec_b64 s[6:7], s[6:7]
	v_mov_b32_e32 v2, s10
	s_xor_b64 exec, exec, s[6:7]
	s_cbranch_execz .LBB55_1506
.LBB55_3556:
	v_mov_b32_e32 v2, 0
	v_cmp_ne_u16_sdwa s[8:9], v9, v2 src0_sel:BYTE_0 src1_sel:DWORD
	s_andn2_b64 s[4:5], s[4:5], exec
	s_and_b64 s[8:9], s[8:9], exec
	s_or_b64 s[4:5], s[4:5], s[8:9]
	s_or_b64 exec, exec, s[6:7]
	s_and_saveexec_b64 s[6:7], s[4:5]
	s_cbranch_execnz .LBB55_1507
	s_branch .LBB55_1508
.LBB55_3557:
	s_movk_i32 s4, 0x80
	v_cmp_eq_u16_sdwa s[12:13], v5, s4 src0_sel:BYTE_0 src1_sel:DWORD
	s_mov_b64 s[4:5], -1
                                        ; implicit-def: $sgpr10
	s_and_saveexec_b64 s[8:9], s[12:13]
; %bb.3558:
	s_mov_b32 s10, 0x7f800001
	s_xor_b64 s[4:5], exec, -1
; %bb.3559:
	s_or_b64 exec, exec, s[8:9]
	s_and_b64 s[4:5], s[4:5], exec
	s_or_saveexec_b64 s[6:7], s[6:7]
	v_mov_b32_e32 v3, s10
	s_xor_b64 exec, exec, s[6:7]
	s_cbranch_execz .LBB55_1510
.LBB55_3560:
	v_mov_b32_e32 v3, 0
	v_cmp_ne_u16_sdwa s[8:9], v5, v3 src0_sel:BYTE_0 src1_sel:DWORD
	s_andn2_b64 s[4:5], s[4:5], exec
	s_and_b64 s[8:9], s[8:9], exec
	s_or_b64 s[4:5], s[4:5], s[8:9]
	s_or_b64 exec, exec, s[6:7]
	s_and_saveexec_b64 s[6:7], s[4:5]
	s_cbranch_execnz .LBB55_1511
	s_branch .LBB55_1512
.LBB55_3561:
	s_movk_i32 s4, 0x80
	v_cmp_eq_u16_sdwa s[12:13], v3, s4 src0_sel:BYTE_0 src1_sel:DWORD
	s_mov_b64 s[4:5], -1
                                        ; implicit-def: $sgpr10
	s_and_saveexec_b64 s[8:9], s[12:13]
; %bb.3562:
	s_mov_b32 s10, 0x7f800001
	s_xor_b64 s[4:5], exec, -1
; %bb.3563:
	s_or_b64 exec, exec, s[8:9]
	s_and_b64 s[4:5], s[4:5], exec
	s_or_saveexec_b64 s[6:7], s[6:7]
	v_mov_b32_e32 v2, s10
	s_xor_b64 exec, exec, s[6:7]
	s_cbranch_execz .LBB55_1514
.LBB55_3564:
	v_mov_b32_e32 v2, 0
	v_cmp_ne_u16_sdwa s[8:9], v3, v2 src0_sel:BYTE_0 src1_sel:DWORD
	s_andn2_b64 s[4:5], s[4:5], exec
	s_and_b64 s[8:9], s[8:9], exec
	s_or_b64 s[4:5], s[4:5], s[8:9]
	s_or_b64 exec, exec, s[6:7]
	s_and_saveexec_b64 s[6:7], s[4:5]
	s_cbranch_execnz .LBB55_1515
	s_branch .LBB55_1516
.LBB55_3565:
	s_movk_i32 s4, 0x80
	v_cmp_eq_u16_sdwa s[12:13], v3, s4 src0_sel:BYTE_0 src1_sel:DWORD
	s_mov_b64 s[4:5], -1
                                        ; implicit-def: $sgpr10
	s_and_saveexec_b64 s[8:9], s[12:13]
; %bb.3566:
	s_mov_b32 s10, 0x7f800001
	s_xor_b64 s[4:5], exec, -1
; %bb.3567:
	s_or_b64 exec, exec, s[8:9]
	s_and_b64 s[4:5], s[4:5], exec
	s_or_saveexec_b64 s[6:7], s[6:7]
	v_mov_b32_e32 v4, s10
	s_xor_b64 exec, exec, s[6:7]
	s_cbranch_execz .LBB55_1518
.LBB55_3568:
	v_mov_b32_e32 v4, 0
	v_cmp_ne_u16_sdwa s[8:9], v3, v4 src0_sel:BYTE_0 src1_sel:DWORD
	s_andn2_b64 s[4:5], s[4:5], exec
	s_and_b64 s[8:9], s[8:9], exec
	s_or_b64 s[4:5], s[4:5], s[8:9]
	s_or_b64 exec, exec, s[6:7]
	s_and_saveexec_b64 s[6:7], s[4:5]
	s_cbranch_execnz .LBB55_1519
	s_branch .LBB55_1520
.LBB55_3569:
	s_movk_i32 s4, 0x80
	v_cmp_eq_u16_e32 vcc, s4, v3
	s_mov_b64 s[4:5], -1
                                        ; implicit-def: $sgpr10
	s_and_saveexec_b64 s[8:9], vcc
; %bb.3570:
	s_mov_b32 s10, 0x7f800001
	s_xor_b64 s[4:5], exec, -1
; %bb.3571:
	s_or_b64 exec, exec, s[8:9]
	s_and_b64 s[4:5], s[4:5], exec
                                        ; implicit-def: $vgpr3
	s_or_saveexec_b64 s[6:7], s[6:7]
	v_mov_b32_e32 v2, s10
	s_xor_b64 exec, exec, s[6:7]
	s_cbranch_execz .LBB55_1522
.LBB55_3572:
	v_cmp_ne_u16_e32 vcc, 0, v3
	s_andn2_b64 s[4:5], s[4:5], exec
	s_and_b64 s[8:9], vcc, exec
	v_mov_b32_e32 v2, 0
	s_or_b64 s[4:5], s[4:5], s[8:9]
	s_or_b64 exec, exec, s[6:7]
	s_and_saveexec_b64 s[6:7], s[4:5]
	s_cbranch_execnz .LBB55_1523
	s_branch .LBB55_1524
.LBB55_3573:
	s_movk_i32 s4, 0x80
	v_cmp_eq_u16_e32 vcc, s4, v3
	s_mov_b64 s[4:5], -1
                                        ; implicit-def: $sgpr10
	s_and_saveexec_b64 s[8:9], vcc
; %bb.3574:
	s_mov_b32 s10, 0x7f800001
	s_xor_b64 s[4:5], exec, -1
; %bb.3575:
	s_or_b64 exec, exec, s[8:9]
	s_and_b64 s[4:5], s[4:5], exec
                                        ; implicit-def: $vgpr3
	s_or_saveexec_b64 s[6:7], s[6:7]
	v_mov_b32_e32 v4, s10
	s_xor_b64 exec, exec, s[6:7]
	s_cbranch_execz .LBB55_1526
.LBB55_3576:
	v_cmp_ne_u16_e32 vcc, 0, v3
	s_andn2_b64 s[4:5], s[4:5], exec
	s_and_b64 s[8:9], vcc, exec
	v_mov_b32_e32 v4, 0
	s_or_b64 s[4:5], s[4:5], s[8:9]
	s_or_b64 exec, exec, s[6:7]
	s_and_saveexec_b64 s[6:7], s[4:5]
	s_cbranch_execnz .LBB55_1527
	s_branch .LBB55_1528
.LBB55_3577:
	s_movk_i32 s4, 0x80
	v_cmp_eq_u16_sdwa s[12:13], v9, s4 src0_sel:BYTE_3 src1_sel:DWORD
	s_mov_b64 s[4:5], -1
                                        ; implicit-def: $sgpr10
	s_and_saveexec_b64 s[8:9], s[12:13]
; %bb.3578:
	s_mov_b32 s10, 0x7f800001
	s_xor_b64 s[4:5], exec, -1
; %bb.3579:
	s_or_b64 exec, exec, s[8:9]
	s_and_b64 s[4:5], s[4:5], exec
	s_or_saveexec_b64 s[6:7], s[6:7]
	v_mov_b32_e32 v2, s10
	s_xor_b64 exec, exec, s[6:7]
	s_cbranch_execz .LBB55_1530
.LBB55_3580:
	v_mov_b32_e32 v2, 0
	v_cmp_ne_u16_sdwa s[8:9], v9, v2 src0_sel:BYTE_3 src1_sel:DWORD
	s_andn2_b64 s[4:5], s[4:5], exec
	s_and_b64 s[8:9], s[8:9], exec
	s_or_b64 s[4:5], s[4:5], s[8:9]
	s_or_b64 exec, exec, s[6:7]
	s_and_saveexec_b64 s[6:7], s[4:5]
	s_cbranch_execnz .LBB55_1531
	s_branch .LBB55_1532
.LBB55_3581:
	s_movk_i32 s4, 0x80
	v_cmp_eq_u16_sdwa s[12:13], v5, s4 src0_sel:BYTE_3 src1_sel:DWORD
	s_mov_b64 s[4:5], -1
                                        ; implicit-def: $sgpr10
	s_and_saveexec_b64 s[8:9], s[12:13]
; %bb.3582:
	s_mov_b32 s10, 0x7f800001
	s_xor_b64 s[4:5], exec, -1
; %bb.3583:
	s_or_b64 exec, exec, s[8:9]
	s_and_b64 s[4:5], s[4:5], exec
	s_or_saveexec_b64 s[6:7], s[6:7]
	v_mov_b32_e32 v3, s10
	s_xor_b64 exec, exec, s[6:7]
	s_cbranch_execz .LBB55_1534
.LBB55_3584:
	v_mov_b32_e32 v3, 0
	v_cmp_ne_u16_sdwa s[8:9], v5, v3 src0_sel:BYTE_3 src1_sel:DWORD
	s_andn2_b64 s[4:5], s[4:5], exec
	s_and_b64 s[8:9], s[8:9], exec
	s_or_b64 s[4:5], s[4:5], s[8:9]
	s_or_b64 exec, exec, s[6:7]
	s_and_saveexec_b64 s[6:7], s[4:5]
	s_cbranch_execnz .LBB55_1535
	s_branch .LBB55_1536
.LBB55_3585:
	s_movk_i32 s4, 0x80
	v_cmp_eq_u16_sdwa s[12:13], v14, s4 src0_sel:BYTE_0 src1_sel:DWORD
	s_mov_b64 s[4:5], -1
                                        ; implicit-def: $sgpr10
	s_and_saveexec_b64 s[8:9], s[12:13]
; %bb.3586:
	s_mov_b32 s10, 0x7f800001
	s_xor_b64 s[4:5], exec, -1
; %bb.3587:
	s_or_b64 exec, exec, s[8:9]
	s_and_b64 s[4:5], s[4:5], exec
	s_or_saveexec_b64 s[6:7], s[6:7]
	v_mov_b32_e32 v20, s10
	s_xor_b64 exec, exec, s[6:7]
	s_cbranch_execz .LBB55_1538
.LBB55_3588:
	v_mov_b32_e32 v20, 0
	v_cmp_ne_u16_sdwa s[8:9], v14, v20 src0_sel:BYTE_0 src1_sel:DWORD
	s_andn2_b64 s[4:5], s[4:5], exec
	s_and_b64 s[8:9], s[8:9], exec
	s_or_b64 s[4:5], s[4:5], s[8:9]
	s_or_b64 exec, exec, s[6:7]
	s_and_saveexec_b64 s[6:7], s[4:5]
	s_cbranch_execnz .LBB55_1539
	s_branch .LBB55_1540
.LBB55_3589:
	s_movk_i32 s4, 0x80
	v_cmp_eq_u16_sdwa s[12:13], v10, s4 src0_sel:BYTE_0 src1_sel:DWORD
	s_mov_b64 s[4:5], -1
                                        ; implicit-def: $sgpr10
	s_and_saveexec_b64 s[8:9], s[12:13]
; %bb.3590:
	s_mov_b32 s10, 0x7f800001
	s_xor_b64 s[4:5], exec, -1
; %bb.3591:
	s_or_b64 exec, exec, s[8:9]
	s_and_b64 s[4:5], s[4:5], exec
	s_or_saveexec_b64 s[6:7], s[6:7]
	v_mov_b32_e32 v21, s10
	s_xor_b64 exec, exec, s[6:7]
	s_cbranch_execz .LBB55_1542
.LBB55_3592:
	v_mov_b32_e32 v21, 0
	v_cmp_ne_u16_sdwa s[8:9], v10, v21 src0_sel:BYTE_0 src1_sel:DWORD
	s_andn2_b64 s[4:5], s[4:5], exec
	s_and_b64 s[8:9], s[8:9], exec
	s_or_b64 s[4:5], s[4:5], s[8:9]
	s_or_b64 exec, exec, s[6:7]
	s_and_saveexec_b64 s[6:7], s[4:5]
	s_cbranch_execnz .LBB55_1543
	s_branch .LBB55_1544
.LBB55_3593:
	s_movk_i32 s4, 0x80
	v_cmp_eq_u16_sdwa s[12:13], v21, s4 src0_sel:BYTE_0 src1_sel:DWORD
	s_mov_b64 s[4:5], -1
                                        ; implicit-def: $sgpr10
	s_and_saveexec_b64 s[8:9], s[12:13]
; %bb.3594:
	s_mov_b32 s10, 0x7f800001
	s_xor_b64 s[4:5], exec, -1
; %bb.3595:
	s_or_b64 exec, exec, s[8:9]
	s_and_b64 s[4:5], s[4:5], exec
	s_or_saveexec_b64 s[6:7], s[6:7]
	v_mov_b32_e32 v20, s10
	s_xor_b64 exec, exec, s[6:7]
	s_cbranch_execz .LBB55_1546
.LBB55_3596:
	v_mov_b32_e32 v20, 0
	v_cmp_ne_u16_sdwa s[8:9], v21, v20 src0_sel:BYTE_0 src1_sel:DWORD
	s_andn2_b64 s[4:5], s[4:5], exec
	s_and_b64 s[8:9], s[8:9], exec
	s_or_b64 s[4:5], s[4:5], s[8:9]
	s_or_b64 exec, exec, s[6:7]
	s_and_saveexec_b64 s[6:7], s[4:5]
	s_cbranch_execnz .LBB55_1547
	s_branch .LBB55_1548
.LBB55_3597:
	s_movk_i32 s4, 0x80
	v_cmp_eq_u16_sdwa s[12:13], v21, s4 src0_sel:BYTE_0 src1_sel:DWORD
	s_mov_b64 s[4:5], -1
                                        ; implicit-def: $sgpr10
	s_and_saveexec_b64 s[8:9], s[12:13]
; %bb.3598:
	s_mov_b32 s10, 0x7f800001
	s_xor_b64 s[4:5], exec, -1
; %bb.3599:
	s_or_b64 exec, exec, s[8:9]
	s_and_b64 s[4:5], s[4:5], exec
	s_or_saveexec_b64 s[6:7], s[6:7]
	v_mov_b32_e32 v22, s10
	s_xor_b64 exec, exec, s[6:7]
	s_cbranch_execz .LBB55_1550
.LBB55_3600:
	v_mov_b32_e32 v22, 0
	v_cmp_ne_u16_sdwa s[8:9], v21, v22 src0_sel:BYTE_0 src1_sel:DWORD
	s_andn2_b64 s[4:5], s[4:5], exec
	s_and_b64 s[8:9], s[8:9], exec
	s_or_b64 s[4:5], s[4:5], s[8:9]
	s_or_b64 exec, exec, s[6:7]
	s_and_saveexec_b64 s[6:7], s[4:5]
	s_cbranch_execnz .LBB55_1551
	s_branch .LBB55_1552
.LBB55_3601:
	s_movk_i32 s4, 0x80
	v_cmp_eq_u16_e32 vcc, s4, v21
	s_mov_b64 s[4:5], -1
                                        ; implicit-def: $sgpr10
	s_and_saveexec_b64 s[8:9], vcc
; %bb.3602:
	s_mov_b32 s10, 0x7f800001
	s_xor_b64 s[4:5], exec, -1
; %bb.3603:
	s_or_b64 exec, exec, s[8:9]
	s_and_b64 s[4:5], s[4:5], exec
                                        ; implicit-def: $vgpr21
	s_or_saveexec_b64 s[6:7], s[6:7]
	v_mov_b32_e32 v20, s10
	s_xor_b64 exec, exec, s[6:7]
	s_cbranch_execz .LBB55_1554
.LBB55_3604:
	v_cmp_ne_u16_e32 vcc, 0, v21
	s_andn2_b64 s[4:5], s[4:5], exec
	s_and_b64 s[8:9], vcc, exec
	v_mov_b32_e32 v20, 0
	s_or_b64 s[4:5], s[4:5], s[8:9]
	s_or_b64 exec, exec, s[6:7]
	s_and_saveexec_b64 s[6:7], s[4:5]
	s_cbranch_execnz .LBB55_1555
	s_branch .LBB55_1556
.LBB55_3605:
	s_movk_i32 s4, 0x80
	v_cmp_eq_u16_e32 vcc, s4, v21
	s_mov_b64 s[4:5], -1
                                        ; implicit-def: $sgpr10
	s_and_saveexec_b64 s[8:9], vcc
; %bb.3606:
	s_mov_b32 s10, 0x7f800001
	s_xor_b64 s[4:5], exec, -1
; %bb.3607:
	s_or_b64 exec, exec, s[8:9]
	s_and_b64 s[4:5], s[4:5], exec
                                        ; implicit-def: $vgpr21
	s_or_saveexec_b64 s[6:7], s[6:7]
	v_mov_b32_e32 v22, s10
	s_xor_b64 exec, exec, s[6:7]
	s_cbranch_execz .LBB55_1558
.LBB55_3608:
	v_cmp_ne_u16_e32 vcc, 0, v21
	s_andn2_b64 s[4:5], s[4:5], exec
	s_and_b64 s[8:9], vcc, exec
	v_mov_b32_e32 v22, 0
	s_or_b64 s[4:5], s[4:5], s[8:9]
	s_or_b64 exec, exec, s[6:7]
	s_and_saveexec_b64 s[6:7], s[4:5]
	s_cbranch_execnz .LBB55_1559
	s_branch .LBB55_1560
.LBB55_3609:
	s_movk_i32 s4, 0x80
	v_cmp_eq_u16_sdwa s[12:13], v14, s4 src0_sel:BYTE_3 src1_sel:DWORD
	s_mov_b64 s[4:5], -1
                                        ; implicit-def: $sgpr10
	s_and_saveexec_b64 s[8:9], s[12:13]
; %bb.3610:
	s_mov_b32 s10, 0x7f800001
	s_xor_b64 s[4:5], exec, -1
; %bb.3611:
	s_or_b64 exec, exec, s[8:9]
	s_and_b64 s[4:5], s[4:5], exec
	s_or_saveexec_b64 s[6:7], s[6:7]
	v_mov_b32_e32 v20, s10
	s_xor_b64 exec, exec, s[6:7]
	s_cbranch_execz .LBB55_1562
.LBB55_3612:
	v_mov_b32_e32 v20, 0
	v_cmp_ne_u16_sdwa s[8:9], v14, v20 src0_sel:BYTE_3 src1_sel:DWORD
	s_andn2_b64 s[4:5], s[4:5], exec
	s_and_b64 s[8:9], s[8:9], exec
	s_or_b64 s[4:5], s[4:5], s[8:9]
	s_or_b64 exec, exec, s[6:7]
	s_and_saveexec_b64 s[6:7], s[4:5]
	s_cbranch_execnz .LBB55_1563
	s_branch .LBB55_1564
.LBB55_3613:
	s_movk_i32 s4, 0x80
	v_cmp_eq_u16_sdwa s[12:13], v10, s4 src0_sel:BYTE_3 src1_sel:DWORD
	s_mov_b64 s[4:5], -1
                                        ; implicit-def: $sgpr10
	s_and_saveexec_b64 s[8:9], s[12:13]
; %bb.3614:
	s_mov_b32 s10, 0x7f800001
	s_xor_b64 s[4:5], exec, -1
; %bb.3615:
	s_or_b64 exec, exec, s[8:9]
	s_and_b64 s[4:5], s[4:5], exec
	s_or_saveexec_b64 s[6:7], s[6:7]
	v_mov_b32_e32 v14, s10
	s_xor_b64 exec, exec, s[6:7]
	s_cbranch_execz .LBB55_1566
.LBB55_3616:
	v_mov_b32_e32 v14, 0
	v_cmp_ne_u16_sdwa s[8:9], v10, v14 src0_sel:BYTE_3 src1_sel:DWORD
	s_andn2_b64 s[4:5], s[4:5], exec
	s_and_b64 s[8:9], s[8:9], exec
	s_or_b64 s[4:5], s[4:5], s[8:9]
	s_or_b64 exec, exec, s[6:7]
	s_and_saveexec_b64 s[6:7], s[4:5]
	s_cbranch_execnz .LBB55_1567
	s_branch .LBB55_1568
.LBB55_3617:
	s_movk_i32 s4, 0x80
	v_cmp_eq_u16_sdwa s[12:13], v15, s4 src0_sel:BYTE_0 src1_sel:DWORD
	s_mov_b64 s[4:5], -1
                                        ; implicit-def: $sgpr10
	s_and_saveexec_b64 s[8:9], s[12:13]
; %bb.3618:
	s_mov_b32 s10, 0x7f800001
	s_xor_b64 s[4:5], exec, -1
; %bb.3619:
	s_or_b64 exec, exec, s[8:9]
	s_and_b64 s[4:5], s[4:5], exec
	s_or_saveexec_b64 s[6:7], s[6:7]
	v_mov_b32_e32 v10, s10
	s_xor_b64 exec, exec, s[6:7]
	s_cbranch_execz .LBB55_1570
.LBB55_3620:
	v_mov_b32_e32 v10, 0
	v_cmp_ne_u16_sdwa s[8:9], v15, v10 src0_sel:BYTE_0 src1_sel:DWORD
	s_andn2_b64 s[4:5], s[4:5], exec
	s_and_b64 s[8:9], s[8:9], exec
	s_or_b64 s[4:5], s[4:5], s[8:9]
	s_or_b64 exec, exec, s[6:7]
	s_and_saveexec_b64 s[6:7], s[4:5]
	s_cbranch_execnz .LBB55_1571
	s_branch .LBB55_1572
.LBB55_3621:
	s_movk_i32 s4, 0x80
	v_cmp_eq_u16_sdwa s[12:13], v11, s4 src0_sel:BYTE_0 src1_sel:DWORD
	s_mov_b64 s[4:5], -1
                                        ; implicit-def: $sgpr10
	s_and_saveexec_b64 s[8:9], s[12:13]
; %bb.3622:
	s_mov_b32 s10, 0x7f800001
	s_xor_b64 s[4:5], exec, -1
; %bb.3623:
	s_or_b64 exec, exec, s[8:9]
	s_and_b64 s[4:5], s[4:5], exec
	s_or_saveexec_b64 s[6:7], s[6:7]
	v_mov_b32_e32 v14, s10
	s_xor_b64 exec, exec, s[6:7]
	s_cbranch_execz .LBB55_1574
.LBB55_3624:
	v_mov_b32_e32 v14, 0
	v_cmp_ne_u16_sdwa s[8:9], v11, v14 src0_sel:BYTE_0 src1_sel:DWORD
	s_andn2_b64 s[4:5], s[4:5], exec
	s_and_b64 s[8:9], s[8:9], exec
	s_or_b64 s[4:5], s[4:5], s[8:9]
	s_or_b64 exec, exec, s[6:7]
	s_and_saveexec_b64 s[6:7], s[4:5]
	s_cbranch_execnz .LBB55_1575
	s_branch .LBB55_1576
.LBB55_3625:
	s_movk_i32 s4, 0x80
	v_cmp_eq_u16_sdwa s[12:13], v14, s4 src0_sel:BYTE_0 src1_sel:DWORD
	s_mov_b64 s[4:5], -1
                                        ; implicit-def: $sgpr10
	s_and_saveexec_b64 s[8:9], s[12:13]
; %bb.3626:
	s_mov_b32 s10, 0x7f800001
	s_xor_b64 s[4:5], exec, -1
; %bb.3627:
	s_or_b64 exec, exec, s[8:9]
	s_and_b64 s[4:5], s[4:5], exec
	s_or_saveexec_b64 s[6:7], s[6:7]
	v_mov_b32_e32 v10, s10
	s_xor_b64 exec, exec, s[6:7]
	s_cbranch_execz .LBB55_1578
.LBB55_3628:
	v_mov_b32_e32 v10, 0
	v_cmp_ne_u16_sdwa s[8:9], v14, v10 src0_sel:BYTE_0 src1_sel:DWORD
	s_andn2_b64 s[4:5], s[4:5], exec
	s_and_b64 s[8:9], s[8:9], exec
	s_or_b64 s[4:5], s[4:5], s[8:9]
	s_or_b64 exec, exec, s[6:7]
	s_and_saveexec_b64 s[6:7], s[4:5]
	s_cbranch_execnz .LBB55_1579
	s_branch .LBB55_1580
.LBB55_3629:
	s_movk_i32 s4, 0x80
	v_cmp_eq_u16_sdwa s[12:13], v14, s4 src0_sel:BYTE_0 src1_sel:DWORD
	s_mov_b64 s[4:5], -1
                                        ; implicit-def: $sgpr10
	s_and_saveexec_b64 s[8:9], s[12:13]
; %bb.3630:
	s_mov_b32 s10, 0x7f800001
	s_xor_b64 s[4:5], exec, -1
; %bb.3631:
	s_or_b64 exec, exec, s[8:9]
	s_and_b64 s[4:5], s[4:5], exec
	s_or_saveexec_b64 s[6:7], s[6:7]
	v_mov_b32_e32 v20, s10
	s_xor_b64 exec, exec, s[6:7]
	s_cbranch_execz .LBB55_1582
.LBB55_3632:
	v_mov_b32_e32 v20, 0
	v_cmp_ne_u16_sdwa s[8:9], v14, v20 src0_sel:BYTE_0 src1_sel:DWORD
	s_andn2_b64 s[4:5], s[4:5], exec
	s_and_b64 s[8:9], s[8:9], exec
	s_or_b64 s[4:5], s[4:5], s[8:9]
	s_or_b64 exec, exec, s[6:7]
	s_and_saveexec_b64 s[6:7], s[4:5]
	s_cbranch_execnz .LBB55_1583
	s_branch .LBB55_1584
.LBB55_3633:
	s_movk_i32 s4, 0x80
	v_cmp_eq_u16_e32 vcc, s4, v14
	s_mov_b64 s[4:5], -1
                                        ; implicit-def: $sgpr10
	s_and_saveexec_b64 s[8:9], vcc
; %bb.3634:
	s_mov_b32 s10, 0x7f800001
	s_xor_b64 s[4:5], exec, -1
; %bb.3635:
	s_or_b64 exec, exec, s[8:9]
	s_and_b64 s[4:5], s[4:5], exec
                                        ; implicit-def: $vgpr14
	s_or_saveexec_b64 s[6:7], s[6:7]
	v_mov_b32_e32 v10, s10
	s_xor_b64 exec, exec, s[6:7]
	s_cbranch_execz .LBB55_1586
.LBB55_3636:
	v_cmp_ne_u16_e32 vcc, 0, v14
	s_andn2_b64 s[4:5], s[4:5], exec
	s_and_b64 s[8:9], vcc, exec
	v_mov_b32_e32 v10, 0
	s_or_b64 s[4:5], s[4:5], s[8:9]
	s_or_b64 exec, exec, s[6:7]
	s_and_saveexec_b64 s[6:7], s[4:5]
	s_cbranch_execnz .LBB55_1587
	s_branch .LBB55_1588
.LBB55_3637:
	s_movk_i32 s4, 0x80
	v_cmp_eq_u16_e32 vcc, s4, v14
	s_mov_b64 s[4:5], -1
                                        ; implicit-def: $sgpr10
	s_and_saveexec_b64 s[8:9], vcc
; %bb.3638:
	s_mov_b32 s10, 0x7f800001
	s_xor_b64 s[4:5], exec, -1
; %bb.3639:
	s_or_b64 exec, exec, s[8:9]
	s_and_b64 s[4:5], s[4:5], exec
                                        ; implicit-def: $vgpr14
	s_or_saveexec_b64 s[6:7], s[6:7]
	v_mov_b32_e32 v20, s10
	s_xor_b64 exec, exec, s[6:7]
	s_cbranch_execz .LBB55_1590
.LBB55_3640:
	v_cmp_ne_u16_e32 vcc, 0, v14
	s_andn2_b64 s[4:5], s[4:5], exec
	s_and_b64 s[8:9], vcc, exec
	v_mov_b32_e32 v20, 0
	s_or_b64 s[4:5], s[4:5], s[8:9]
	s_or_b64 exec, exec, s[6:7]
	s_and_saveexec_b64 s[6:7], s[4:5]
	s_cbranch_execnz .LBB55_1591
	s_branch .LBB55_1592
.LBB55_3641:
	s_movk_i32 s4, 0x80
	v_cmp_eq_u16_sdwa s[12:13], v15, s4 src0_sel:BYTE_3 src1_sel:DWORD
	s_mov_b64 s[4:5], -1
                                        ; implicit-def: $sgpr10
	s_and_saveexec_b64 s[8:9], s[12:13]
; %bb.3642:
	s_mov_b32 s10, 0x7f800001
	s_xor_b64 s[4:5], exec, -1
; %bb.3643:
	s_or_b64 exec, exec, s[8:9]
	s_and_b64 s[4:5], s[4:5], exec
	s_or_saveexec_b64 s[6:7], s[6:7]
	v_mov_b32_e32 v10, s10
	s_xor_b64 exec, exec, s[6:7]
	s_cbranch_execz .LBB55_1594
.LBB55_3644:
	v_mov_b32_e32 v10, 0
	v_cmp_ne_u16_sdwa s[8:9], v15, v10 src0_sel:BYTE_3 src1_sel:DWORD
	s_andn2_b64 s[4:5], s[4:5], exec
	s_and_b64 s[8:9], s[8:9], exec
	s_or_b64 s[4:5], s[4:5], s[8:9]
	s_or_b64 exec, exec, s[6:7]
	s_and_saveexec_b64 s[6:7], s[4:5]
	s_cbranch_execnz .LBB55_1595
	s_branch .LBB55_1596
.LBB55_3645:
	s_movk_i32 s4, 0x80
	v_cmp_eq_u16_sdwa s[12:13], v11, s4 src0_sel:BYTE_3 src1_sel:DWORD
	s_mov_b64 s[4:5], -1
                                        ; implicit-def: $sgpr10
	s_and_saveexec_b64 s[8:9], s[12:13]
; %bb.3646:
	s_mov_b32 s10, 0x7f800001
	s_xor_b64 s[4:5], exec, -1
; %bb.3647:
	s_or_b64 exec, exec, s[8:9]
	s_and_b64 s[4:5], s[4:5], exec
	s_or_saveexec_b64 s[6:7], s[6:7]
	v_mov_b32_e32 v14, s10
	s_xor_b64 exec, exec, s[6:7]
	s_cbranch_execz .LBB55_1598
.LBB55_3648:
	v_mov_b32_e32 v14, 0
	v_cmp_ne_u16_sdwa s[8:9], v11, v14 src0_sel:BYTE_3 src1_sel:DWORD
	s_andn2_b64 s[4:5], s[4:5], exec
	s_and_b64 s[8:9], s[8:9], exec
	s_or_b64 s[4:5], s[4:5], s[8:9]
	s_or_b64 exec, exec, s[6:7]
	s_and_saveexec_b64 s[6:7], s[4:5]
	s_cbranch_execnz .LBB55_1599
	s_branch .LBB55_1600
.LBB55_3649:
	s_movk_i32 s4, 0x80
	v_cmp_eq_u16_sdwa s[12:13], v16, s4 src0_sel:BYTE_0 src1_sel:DWORD
	s_mov_b64 s[4:5], -1
                                        ; implicit-def: $sgpr10
	s_and_saveexec_b64 s[8:9], s[12:13]
; %bb.3650:
	s_mov_b32 s10, 0x7f800001
	s_xor_b64 s[4:5], exec, -1
; %bb.3651:
	s_or_b64 exec, exec, s[8:9]
	s_and_b64 s[4:5], s[4:5], exec
	s_or_saveexec_b64 s[6:7], s[6:7]
	v_mov_b32_e32 v10, s10
	s_xor_b64 exec, exec, s[6:7]
	s_cbranch_execz .LBB55_1602
.LBB55_3652:
	v_mov_b32_e32 v10, 0
	v_cmp_ne_u16_sdwa s[8:9], v16, v10 src0_sel:BYTE_0 src1_sel:DWORD
	s_andn2_b64 s[4:5], s[4:5], exec
	s_and_b64 s[8:9], s[8:9], exec
	s_or_b64 s[4:5], s[4:5], s[8:9]
	s_or_b64 exec, exec, s[6:7]
	s_and_saveexec_b64 s[6:7], s[4:5]
	s_cbranch_execnz .LBB55_1603
	s_branch .LBB55_1604
.LBB55_3653:
	s_movk_i32 s4, 0x80
	v_cmp_eq_u16_sdwa s[12:13], v12, s4 src0_sel:BYTE_0 src1_sel:DWORD
	s_mov_b64 s[4:5], -1
                                        ; implicit-def: $sgpr10
	s_and_saveexec_b64 s[8:9], s[12:13]
; %bb.3654:
	s_mov_b32 s10, 0x7f800001
	s_xor_b64 s[4:5], exec, -1
; %bb.3655:
	s_or_b64 exec, exec, s[8:9]
	s_and_b64 s[4:5], s[4:5], exec
	s_or_saveexec_b64 s[6:7], s[6:7]
	v_mov_b32_e32 v11, s10
	s_xor_b64 exec, exec, s[6:7]
	s_cbranch_execz .LBB55_1606
.LBB55_3656:
	v_mov_b32_e32 v11, 0
	v_cmp_ne_u16_sdwa s[8:9], v12, v11 src0_sel:BYTE_0 src1_sel:DWORD
	s_andn2_b64 s[4:5], s[4:5], exec
	s_and_b64 s[8:9], s[8:9], exec
	s_or_b64 s[4:5], s[4:5], s[8:9]
	s_or_b64 exec, exec, s[6:7]
	s_and_saveexec_b64 s[6:7], s[4:5]
	s_cbranch_execnz .LBB55_1607
	s_branch .LBB55_1608
.LBB55_3657:
	s_movk_i32 s4, 0x80
	v_cmp_eq_u16_sdwa s[12:13], v11, s4 src0_sel:BYTE_0 src1_sel:DWORD
	s_mov_b64 s[4:5], -1
                                        ; implicit-def: $sgpr10
	s_and_saveexec_b64 s[8:9], s[12:13]
; %bb.3658:
	s_mov_b32 s10, 0x7f800001
	s_xor_b64 s[4:5], exec, -1
; %bb.3659:
	s_or_b64 exec, exec, s[8:9]
	s_and_b64 s[4:5], s[4:5], exec
	s_or_saveexec_b64 s[6:7], s[6:7]
	v_mov_b32_e32 v10, s10
	s_xor_b64 exec, exec, s[6:7]
	s_cbranch_execz .LBB55_1610
.LBB55_3660:
	v_mov_b32_e32 v10, 0
	v_cmp_ne_u16_sdwa s[8:9], v11, v10 src0_sel:BYTE_0 src1_sel:DWORD
	s_andn2_b64 s[4:5], s[4:5], exec
	s_and_b64 s[8:9], s[8:9], exec
	s_or_b64 s[4:5], s[4:5], s[8:9]
	s_or_b64 exec, exec, s[6:7]
	s_and_saveexec_b64 s[6:7], s[4:5]
	s_cbranch_execnz .LBB55_1611
	s_branch .LBB55_1612
.LBB55_3661:
	s_movk_i32 s4, 0x80
	v_cmp_eq_u16_sdwa s[12:13], v11, s4 src0_sel:BYTE_0 src1_sel:DWORD
	s_mov_b64 s[4:5], -1
                                        ; implicit-def: $sgpr10
	s_and_saveexec_b64 s[8:9], s[12:13]
; %bb.3662:
	s_mov_b32 s10, 0x7f800001
	s_xor_b64 s[4:5], exec, -1
; %bb.3663:
	s_or_b64 exec, exec, s[8:9]
	s_and_b64 s[4:5], s[4:5], exec
	s_or_saveexec_b64 s[6:7], s[6:7]
	v_mov_b32_e32 v14, s10
	s_xor_b64 exec, exec, s[6:7]
	s_cbranch_execz .LBB55_1614
.LBB55_3664:
	v_mov_b32_e32 v14, 0
	v_cmp_ne_u16_sdwa s[8:9], v11, v14 src0_sel:BYTE_0 src1_sel:DWORD
	s_andn2_b64 s[4:5], s[4:5], exec
	s_and_b64 s[8:9], s[8:9], exec
	s_or_b64 s[4:5], s[4:5], s[8:9]
	s_or_b64 exec, exec, s[6:7]
	s_and_saveexec_b64 s[6:7], s[4:5]
	s_cbranch_execnz .LBB55_1615
	s_branch .LBB55_1616
.LBB55_3665:
	s_movk_i32 s4, 0x80
	v_cmp_eq_u16_e32 vcc, s4, v11
	s_mov_b64 s[4:5], -1
                                        ; implicit-def: $sgpr10
	s_and_saveexec_b64 s[8:9], vcc
; %bb.3666:
	s_mov_b32 s10, 0x7f800001
	s_xor_b64 s[4:5], exec, -1
; %bb.3667:
	s_or_b64 exec, exec, s[8:9]
	s_and_b64 s[4:5], s[4:5], exec
                                        ; implicit-def: $vgpr11
	s_or_saveexec_b64 s[6:7], s[6:7]
	v_mov_b32_e32 v10, s10
	s_xor_b64 exec, exec, s[6:7]
	s_cbranch_execz .LBB55_1618
.LBB55_3668:
	v_cmp_ne_u16_e32 vcc, 0, v11
	s_andn2_b64 s[4:5], s[4:5], exec
	s_and_b64 s[8:9], vcc, exec
	v_mov_b32_e32 v10, 0
	s_or_b64 s[4:5], s[4:5], s[8:9]
	s_or_b64 exec, exec, s[6:7]
	s_and_saveexec_b64 s[6:7], s[4:5]
	s_cbranch_execnz .LBB55_1619
	s_branch .LBB55_1620
.LBB55_3669:
	s_movk_i32 s4, 0x80
	v_cmp_eq_u16_e32 vcc, s4, v11
	s_mov_b64 s[4:5], -1
                                        ; implicit-def: $sgpr10
	s_and_saveexec_b64 s[8:9], vcc
; %bb.3670:
	s_mov_b32 s10, 0x7f800001
	s_xor_b64 s[4:5], exec, -1
; %bb.3671:
	s_or_b64 exec, exec, s[8:9]
	s_and_b64 s[4:5], s[4:5], exec
                                        ; implicit-def: $vgpr11
	s_or_saveexec_b64 s[6:7], s[6:7]
	v_mov_b32_e32 v14, s10
	s_xor_b64 exec, exec, s[6:7]
	s_cbranch_execz .LBB55_1622
.LBB55_3672:
	v_cmp_ne_u16_e32 vcc, 0, v11
	s_andn2_b64 s[4:5], s[4:5], exec
	s_and_b64 s[8:9], vcc, exec
	v_mov_b32_e32 v14, 0
	s_or_b64 s[4:5], s[4:5], s[8:9]
	s_or_b64 exec, exec, s[6:7]
	s_and_saveexec_b64 s[6:7], s[4:5]
	s_cbranch_execnz .LBB55_1623
	s_branch .LBB55_1624
.LBB55_3673:
	s_movk_i32 s4, 0x80
	v_cmp_eq_u16_sdwa s[12:13], v16, s4 src0_sel:BYTE_3 src1_sel:DWORD
	s_mov_b64 s[4:5], -1
                                        ; implicit-def: $sgpr10
	s_and_saveexec_b64 s[8:9], s[12:13]
; %bb.3674:
	s_mov_b32 s10, 0x7f800001
	s_xor_b64 s[4:5], exec, -1
; %bb.3675:
	s_or_b64 exec, exec, s[8:9]
	s_and_b64 s[4:5], s[4:5], exec
	s_or_saveexec_b64 s[6:7], s[6:7]
	v_mov_b32_e32 v10, s10
	s_xor_b64 exec, exec, s[6:7]
	s_cbranch_execz .LBB55_1626
.LBB55_3676:
	v_mov_b32_e32 v10, 0
	v_cmp_ne_u16_sdwa s[8:9], v16, v10 src0_sel:BYTE_3 src1_sel:DWORD
	s_andn2_b64 s[4:5], s[4:5], exec
	s_and_b64 s[8:9], s[8:9], exec
	s_or_b64 s[4:5], s[4:5], s[8:9]
	s_or_b64 exec, exec, s[6:7]
	s_and_saveexec_b64 s[6:7], s[4:5]
	s_cbranch_execnz .LBB55_1627
	s_branch .LBB55_1628
.LBB55_3677:
	s_movk_i32 s4, 0x80
	v_cmp_eq_u16_sdwa s[12:13], v12, s4 src0_sel:BYTE_3 src1_sel:DWORD
	s_mov_b64 s[4:5], -1
                                        ; implicit-def: $sgpr10
	s_and_saveexec_b64 s[8:9], s[12:13]
; %bb.3678:
	s_mov_b32 s10, 0x7f800001
	s_xor_b64 s[4:5], exec, -1
; %bb.3679:
	s_or_b64 exec, exec, s[8:9]
	s_and_b64 s[4:5], s[4:5], exec
	s_or_saveexec_b64 s[6:7], s[6:7]
	v_mov_b32_e32 v11, s10
	s_xor_b64 exec, exec, s[6:7]
	s_cbranch_execz .LBB55_1630
.LBB55_3680:
	v_mov_b32_e32 v11, 0
	v_cmp_ne_u16_sdwa s[8:9], v12, v11 src0_sel:BYTE_3 src1_sel:DWORD
	s_andn2_b64 s[4:5], s[4:5], exec
	s_and_b64 s[8:9], s[8:9], exec
	s_or_b64 s[4:5], s[4:5], s[8:9]
	s_or_b64 exec, exec, s[6:7]
	s_and_saveexec_b64 s[6:7], s[4:5]
	s_cbranch_execnz .LBB55_1631
	s_branch .LBB55_1632
.LBB55_3681:
	s_movk_i32 s4, 0x80
	v_cmp_eq_u16_sdwa s[12:13], v17, s4 src0_sel:BYTE_0 src1_sel:DWORD
	s_mov_b64 s[4:5], -1
                                        ; implicit-def: $sgpr10
	s_and_saveexec_b64 s[8:9], s[12:13]
; %bb.3682:
	s_mov_b32 s10, 0x7f800001
	s_xor_b64 s[4:5], exec, -1
; %bb.3683:
	s_or_b64 exec, exec, s[8:9]
	s_and_b64 s[4:5], s[4:5], exec
	s_or_saveexec_b64 s[6:7], s[6:7]
	v_mov_b32_e32 v10, s10
	s_xor_b64 exec, exec, s[6:7]
	s_cbranch_execz .LBB55_1634
.LBB55_3684:
	v_mov_b32_e32 v10, 0
	v_cmp_ne_u16_sdwa s[8:9], v17, v10 src0_sel:BYTE_0 src1_sel:DWORD
	s_andn2_b64 s[4:5], s[4:5], exec
	s_and_b64 s[8:9], s[8:9], exec
	s_or_b64 s[4:5], s[4:5], s[8:9]
	s_or_b64 exec, exec, s[6:7]
	s_and_saveexec_b64 s[6:7], s[4:5]
	s_cbranch_execnz .LBB55_1635
	s_branch .LBB55_1636
.LBB55_3685:
	s_movk_i32 s4, 0x80
	v_cmp_eq_u16_sdwa s[12:13], v13, s4 src0_sel:BYTE_0 src1_sel:DWORD
	s_mov_b64 s[4:5], -1
                                        ; implicit-def: $sgpr10
	s_and_saveexec_b64 s[8:9], s[12:13]
; %bb.3686:
	s_mov_b32 s10, 0x7f800001
	s_xor_b64 s[4:5], exec, -1
; %bb.3687:
	s_or_b64 exec, exec, s[8:9]
	s_and_b64 s[4:5], s[4:5], exec
	s_or_saveexec_b64 s[6:7], s[6:7]
	v_mov_b32_e32 v11, s10
	s_xor_b64 exec, exec, s[6:7]
	s_cbranch_execz .LBB55_1638
.LBB55_3688:
	v_mov_b32_e32 v11, 0
	v_cmp_ne_u16_sdwa s[8:9], v13, v11 src0_sel:BYTE_0 src1_sel:DWORD
	s_andn2_b64 s[4:5], s[4:5], exec
	s_and_b64 s[8:9], s[8:9], exec
	s_or_b64 s[4:5], s[4:5], s[8:9]
	s_or_b64 exec, exec, s[6:7]
	s_and_saveexec_b64 s[6:7], s[4:5]
	s_cbranch_execnz .LBB55_1639
	s_branch .LBB55_1640
.LBB55_3689:
	s_movk_i32 s4, 0x80
	v_cmp_eq_u16_sdwa s[12:13], v11, s4 src0_sel:BYTE_0 src1_sel:DWORD
	s_mov_b64 s[4:5], -1
                                        ; implicit-def: $sgpr10
	s_and_saveexec_b64 s[8:9], s[12:13]
; %bb.3690:
	s_mov_b32 s10, 0x7f800001
	s_xor_b64 s[4:5], exec, -1
; %bb.3691:
	s_or_b64 exec, exec, s[8:9]
	s_and_b64 s[4:5], s[4:5], exec
	s_or_saveexec_b64 s[6:7], s[6:7]
	v_mov_b32_e32 v10, s10
	s_xor_b64 exec, exec, s[6:7]
	s_cbranch_execz .LBB55_1642
.LBB55_3692:
	v_mov_b32_e32 v10, 0
	v_cmp_ne_u16_sdwa s[8:9], v11, v10 src0_sel:BYTE_0 src1_sel:DWORD
	s_andn2_b64 s[4:5], s[4:5], exec
	s_and_b64 s[8:9], s[8:9], exec
	s_or_b64 s[4:5], s[4:5], s[8:9]
	s_or_b64 exec, exec, s[6:7]
	s_and_saveexec_b64 s[6:7], s[4:5]
	s_cbranch_execnz .LBB55_1643
	s_branch .LBB55_1644
.LBB55_3693:
	s_movk_i32 s4, 0x80
	v_cmp_eq_u16_sdwa s[12:13], v11, s4 src0_sel:BYTE_0 src1_sel:DWORD
	s_mov_b64 s[4:5], -1
                                        ; implicit-def: $sgpr10
	s_and_saveexec_b64 s[8:9], s[12:13]
; %bb.3694:
	s_mov_b32 s10, 0x7f800001
	s_xor_b64 s[4:5], exec, -1
; %bb.3695:
	s_or_b64 exec, exec, s[8:9]
	s_and_b64 s[4:5], s[4:5], exec
	s_or_saveexec_b64 s[6:7], s[6:7]
	v_mov_b32_e32 v12, s10
	s_xor_b64 exec, exec, s[6:7]
	s_cbranch_execz .LBB55_1646
.LBB55_3696:
	v_mov_b32_e32 v12, 0
	v_cmp_ne_u16_sdwa s[8:9], v11, v12 src0_sel:BYTE_0 src1_sel:DWORD
	s_andn2_b64 s[4:5], s[4:5], exec
	s_and_b64 s[8:9], s[8:9], exec
	s_or_b64 s[4:5], s[4:5], s[8:9]
	s_or_b64 exec, exec, s[6:7]
	s_and_saveexec_b64 s[6:7], s[4:5]
	s_cbranch_execnz .LBB55_1647
	s_branch .LBB55_1648
.LBB55_3697:
	s_movk_i32 s4, 0x80
	v_cmp_eq_u16_e32 vcc, s4, v11
	s_mov_b64 s[4:5], -1
                                        ; implicit-def: $sgpr10
	s_and_saveexec_b64 s[8:9], vcc
; %bb.3698:
	s_mov_b32 s10, 0x7f800001
	s_xor_b64 s[4:5], exec, -1
; %bb.3699:
	s_or_b64 exec, exec, s[8:9]
	s_and_b64 s[4:5], s[4:5], exec
                                        ; implicit-def: $vgpr11
	s_or_saveexec_b64 s[6:7], s[6:7]
	v_mov_b32_e32 v10, s10
	s_xor_b64 exec, exec, s[6:7]
	s_cbranch_execz .LBB55_1650
.LBB55_3700:
	v_cmp_ne_u16_e32 vcc, 0, v11
	s_andn2_b64 s[4:5], s[4:5], exec
	s_and_b64 s[8:9], vcc, exec
	v_mov_b32_e32 v10, 0
	s_or_b64 s[4:5], s[4:5], s[8:9]
	s_or_b64 exec, exec, s[6:7]
	s_and_saveexec_b64 s[6:7], s[4:5]
	s_cbranch_execnz .LBB55_1651
	s_branch .LBB55_1652
.LBB55_3701:
	s_movk_i32 s4, 0x80
	v_cmp_eq_u16_e32 vcc, s4, v11
	s_mov_b64 s[4:5], -1
                                        ; implicit-def: $sgpr10
	s_and_saveexec_b64 s[8:9], vcc
; %bb.3702:
	s_mov_b32 s10, 0x7f800001
	s_xor_b64 s[4:5], exec, -1
; %bb.3703:
	s_or_b64 exec, exec, s[8:9]
	s_and_b64 s[4:5], s[4:5], exec
                                        ; implicit-def: $vgpr11
	s_or_saveexec_b64 s[6:7], s[6:7]
	v_mov_b32_e32 v12, s10
	s_xor_b64 exec, exec, s[6:7]
	s_cbranch_execz .LBB55_1654
.LBB55_3704:
	v_cmp_ne_u16_e32 vcc, 0, v11
	s_andn2_b64 s[4:5], s[4:5], exec
	s_and_b64 s[8:9], vcc, exec
	v_mov_b32_e32 v12, 0
	s_or_b64 s[4:5], s[4:5], s[8:9]
	s_or_b64 exec, exec, s[6:7]
	s_and_saveexec_b64 s[6:7], s[4:5]
	s_cbranch_execnz .LBB55_1655
	s_branch .LBB55_1656
.LBB55_3705:
	s_movk_i32 s4, 0x80
	v_cmp_eq_u16_sdwa s[12:13], v17, s4 src0_sel:BYTE_3 src1_sel:DWORD
	s_mov_b64 s[4:5], -1
                                        ; implicit-def: $sgpr10
	s_and_saveexec_b64 s[8:9], s[12:13]
; %bb.3706:
	s_mov_b32 s10, 0x7f800001
	s_xor_b64 s[4:5], exec, -1
; %bb.3707:
	s_or_b64 exec, exec, s[8:9]
	s_and_b64 s[4:5], s[4:5], exec
	s_or_saveexec_b64 s[6:7], s[6:7]
	v_mov_b32_e32 v10, s10
	s_xor_b64 exec, exec, s[6:7]
	s_cbranch_execz .LBB55_1658
.LBB55_3708:
	v_mov_b32_e32 v10, 0
	v_cmp_ne_u16_sdwa s[8:9], v17, v10 src0_sel:BYTE_3 src1_sel:DWORD
	s_andn2_b64 s[4:5], s[4:5], exec
	s_and_b64 s[8:9], s[8:9], exec
	s_or_b64 s[4:5], s[4:5], s[8:9]
	s_or_b64 exec, exec, s[6:7]
	s_and_saveexec_b64 s[6:7], s[4:5]
	s_cbranch_execnz .LBB55_1659
	s_branch .LBB55_1660
.LBB55_3709:
	s_movk_i32 s4, 0x80
	v_cmp_eq_u16_sdwa s[12:13], v13, s4 src0_sel:BYTE_3 src1_sel:DWORD
	s_mov_b64 s[4:5], -1
                                        ; implicit-def: $sgpr10
	s_and_saveexec_b64 s[8:9], s[12:13]
; %bb.3710:
	s_mov_b32 s10, 0x7f800001
	s_xor_b64 s[4:5], exec, -1
; %bb.3711:
	s_or_b64 exec, exec, s[8:9]
	s_and_b64 s[4:5], s[4:5], exec
	s_or_saveexec_b64 s[6:7], s[6:7]
	v_mov_b32_e32 v11, s10
	s_xor_b64 exec, exec, s[6:7]
	s_cbranch_execz .LBB55_1662
.LBB55_3712:
	v_mov_b32_e32 v11, 0
	v_cmp_ne_u16_sdwa s[8:9], v13, v11 src0_sel:BYTE_3 src1_sel:DWORD
	s_andn2_b64 s[4:5], s[4:5], exec
	s_and_b64 s[8:9], s[8:9], exec
	s_or_b64 s[4:5], s[4:5], s[8:9]
	s_or_b64 exec, exec, s[6:7]
	s_and_saveexec_b64 s[6:7], s[4:5]
	s_cbranch_execnz .LBB55_1663
	s_branch .LBB55_1664
.LBB55_3713:
	s_movk_i32 s4, 0x80
	v_cmp_eq_u16_sdwa s[12:13], v6, s4 src0_sel:BYTE_0 src1_sel:DWORD
	s_mov_b64 s[4:5], -1
                                        ; implicit-def: $sgpr10
	s_and_saveexec_b64 s[8:9], s[12:13]
; %bb.3714:
	s_mov_b32 s10, 0x7f800001
	s_xor_b64 s[4:5], exec, -1
; %bb.3715:
	s_or_b64 exec, exec, s[8:9]
	s_and_b64 s[4:5], s[4:5], exec
	s_or_saveexec_b64 s[6:7], s[6:7]
	v_mov_b32_e32 v10, s10
	s_xor_b64 exec, exec, s[6:7]
	s_cbranch_execz .LBB55_1666
.LBB55_3716:
	v_mov_b32_e32 v10, 0
	v_cmp_ne_u16_sdwa s[8:9], v6, v10 src0_sel:BYTE_0 src1_sel:DWORD
	s_andn2_b64 s[4:5], s[4:5], exec
	s_and_b64 s[8:9], s[8:9], exec
	s_or_b64 s[4:5], s[4:5], s[8:9]
	s_or_b64 exec, exec, s[6:7]
	s_and_saveexec_b64 s[6:7], s[4:5]
	s_cbranch_execnz .LBB55_1667
	s_branch .LBB55_1668
.LBB55_3717:
	s_movk_i32 s4, 0x80
	v_cmp_eq_u16_sdwa s[12:13], v2, s4 src0_sel:BYTE_0 src1_sel:DWORD
	s_mov_b64 s[4:5], -1
                                        ; implicit-def: $sgpr10
	s_and_saveexec_b64 s[8:9], s[12:13]
; %bb.3718:
	s_mov_b32 s10, 0x7f800001
	s_xor_b64 s[4:5], exec, -1
; %bb.3719:
	s_or_b64 exec, exec, s[8:9]
	s_and_b64 s[4:5], s[4:5], exec
	s_or_saveexec_b64 s[6:7], s[6:7]
	v_mov_b32_e32 v11, s10
	s_xor_b64 exec, exec, s[6:7]
	s_cbranch_execz .LBB55_1670
.LBB55_3720:
	v_mov_b32_e32 v11, 0
	v_cmp_ne_u16_sdwa s[8:9], v2, v11 src0_sel:BYTE_0 src1_sel:DWORD
	s_andn2_b64 s[4:5], s[4:5], exec
	s_and_b64 s[8:9], s[8:9], exec
	s_or_b64 s[4:5], s[4:5], s[8:9]
	s_or_b64 exec, exec, s[6:7]
	s_and_saveexec_b64 s[6:7], s[4:5]
	s_cbranch_execnz .LBB55_1671
	s_branch .LBB55_1672
.LBB55_3721:
	s_movk_i32 s4, 0x80
	v_cmp_eq_u16_sdwa s[12:13], v11, s4 src0_sel:BYTE_0 src1_sel:DWORD
	s_mov_b64 s[4:5], -1
                                        ; implicit-def: $sgpr10
	s_and_saveexec_b64 s[8:9], s[12:13]
; %bb.3722:
	s_mov_b32 s10, 0x7f800001
	s_xor_b64 s[4:5], exec, -1
; %bb.3723:
	s_or_b64 exec, exec, s[8:9]
	s_and_b64 s[4:5], s[4:5], exec
	s_or_saveexec_b64 s[6:7], s[6:7]
	v_mov_b32_e32 v10, s10
	s_xor_b64 exec, exec, s[6:7]
	s_cbranch_execz .LBB55_1674
.LBB55_3724:
	v_mov_b32_e32 v10, 0
	v_cmp_ne_u16_sdwa s[8:9], v11, v10 src0_sel:BYTE_0 src1_sel:DWORD
	s_andn2_b64 s[4:5], s[4:5], exec
	s_and_b64 s[8:9], s[8:9], exec
	s_or_b64 s[4:5], s[4:5], s[8:9]
	s_or_b64 exec, exec, s[6:7]
	s_and_saveexec_b64 s[6:7], s[4:5]
	s_cbranch_execnz .LBB55_1675
	s_branch .LBB55_1676
.LBB55_3725:
	s_movk_i32 s4, 0x80
	v_cmp_eq_u16_sdwa s[12:13], v11, s4 src0_sel:BYTE_0 src1_sel:DWORD
	s_mov_b64 s[4:5], -1
                                        ; implicit-def: $sgpr10
	s_and_saveexec_b64 s[8:9], s[12:13]
; %bb.3726:
	s_mov_b32 s10, 0x7f800001
	s_xor_b64 s[4:5], exec, -1
; %bb.3727:
	s_or_b64 exec, exec, s[8:9]
	s_and_b64 s[4:5], s[4:5], exec
	s_or_saveexec_b64 s[6:7], s[6:7]
	v_mov_b32_e32 v12, s10
	s_xor_b64 exec, exec, s[6:7]
	s_cbranch_execz .LBB55_1678
.LBB55_3728:
	v_mov_b32_e32 v12, 0
	v_cmp_ne_u16_sdwa s[8:9], v11, v12 src0_sel:BYTE_0 src1_sel:DWORD
	s_andn2_b64 s[4:5], s[4:5], exec
	s_and_b64 s[8:9], s[8:9], exec
	s_or_b64 s[4:5], s[4:5], s[8:9]
	s_or_b64 exec, exec, s[6:7]
	s_and_saveexec_b64 s[6:7], s[4:5]
	s_cbranch_execnz .LBB55_1679
	s_branch .LBB55_1680
.LBB55_3729:
	s_movk_i32 s4, 0x80
	v_cmp_eq_u16_e32 vcc, s4, v11
	s_mov_b64 s[4:5], -1
                                        ; implicit-def: $sgpr10
	s_and_saveexec_b64 s[8:9], vcc
; %bb.3730:
	s_mov_b32 s10, 0x7f800001
	s_xor_b64 s[4:5], exec, -1
; %bb.3731:
	s_or_b64 exec, exec, s[8:9]
	s_and_b64 s[4:5], s[4:5], exec
                                        ; implicit-def: $vgpr11
	s_or_saveexec_b64 s[6:7], s[6:7]
	v_mov_b32_e32 v10, s10
	s_xor_b64 exec, exec, s[6:7]
	s_cbranch_execz .LBB55_1682
.LBB55_3732:
	v_cmp_ne_u16_e32 vcc, 0, v11
	s_andn2_b64 s[4:5], s[4:5], exec
	s_and_b64 s[8:9], vcc, exec
	v_mov_b32_e32 v10, 0
	s_or_b64 s[4:5], s[4:5], s[8:9]
	s_or_b64 exec, exec, s[6:7]
	s_and_saveexec_b64 s[6:7], s[4:5]
	s_cbranch_execnz .LBB55_1683
	s_branch .LBB55_1684
.LBB55_3733:
	s_movk_i32 s4, 0x80
	v_cmp_eq_u16_e32 vcc, s4, v11
	s_mov_b64 s[4:5], -1
                                        ; implicit-def: $sgpr10
	s_and_saveexec_b64 s[8:9], vcc
; %bb.3734:
	s_mov_b32 s10, 0x7f800001
	s_xor_b64 s[4:5], exec, -1
; %bb.3735:
	s_or_b64 exec, exec, s[8:9]
	s_and_b64 s[4:5], s[4:5], exec
                                        ; implicit-def: $vgpr11
	s_or_saveexec_b64 s[6:7], s[6:7]
	v_mov_b32_e32 v12, s10
	s_xor_b64 exec, exec, s[6:7]
	s_cbranch_execz .LBB55_1686
.LBB55_3736:
	v_cmp_ne_u16_e32 vcc, 0, v11
	s_andn2_b64 s[4:5], s[4:5], exec
	s_and_b64 s[8:9], vcc, exec
	v_mov_b32_e32 v12, 0
	s_or_b64 s[4:5], s[4:5], s[8:9]
	s_or_b64 exec, exec, s[6:7]
	s_and_saveexec_b64 s[6:7], s[4:5]
	s_cbranch_execnz .LBB55_1687
	s_branch .LBB55_1688
.LBB55_3737:
	s_movk_i32 s4, 0x80
	v_cmp_eq_u16_sdwa s[12:13], v6, s4 src0_sel:BYTE_3 src1_sel:DWORD
	s_mov_b64 s[4:5], -1
                                        ; implicit-def: $sgpr10
	s_and_saveexec_b64 s[8:9], s[12:13]
; %bb.3738:
	s_mov_b32 s10, 0x7f800001
	s_xor_b64 s[4:5], exec, -1
; %bb.3739:
	s_or_b64 exec, exec, s[8:9]
	s_and_b64 s[4:5], s[4:5], exec
	s_or_saveexec_b64 s[6:7], s[6:7]
	v_mov_b32_e32 v10, s10
	s_xor_b64 exec, exec, s[6:7]
	s_cbranch_execz .LBB55_1690
.LBB55_3740:
	v_mov_b32_e32 v10, 0
	v_cmp_ne_u16_sdwa s[8:9], v6, v10 src0_sel:BYTE_3 src1_sel:DWORD
	s_andn2_b64 s[4:5], s[4:5], exec
	s_and_b64 s[8:9], s[8:9], exec
	s_or_b64 s[4:5], s[4:5], s[8:9]
	s_or_b64 exec, exec, s[6:7]
	s_and_saveexec_b64 s[6:7], s[4:5]
	s_cbranch_execnz .LBB55_1691
	s_branch .LBB55_1692
.LBB55_3741:
	s_movk_i32 s4, 0x80
	v_cmp_eq_u16_sdwa s[12:13], v2, s4 src0_sel:BYTE_3 src1_sel:DWORD
	s_mov_b64 s[4:5], -1
                                        ; implicit-def: $sgpr10
	s_and_saveexec_b64 s[8:9], s[12:13]
; %bb.3742:
	s_mov_b32 s10, 0x7f800001
	s_xor_b64 s[4:5], exec, -1
; %bb.3743:
	s_or_b64 exec, exec, s[8:9]
	s_and_b64 s[4:5], s[4:5], exec
	s_or_saveexec_b64 s[6:7], s[6:7]
	v_mov_b32_e32 v6, s10
	s_xor_b64 exec, exec, s[6:7]
	s_cbranch_execz .LBB55_1694
.LBB55_3744:
	v_mov_b32_e32 v6, 0
	v_cmp_ne_u16_sdwa s[8:9], v2, v6 src0_sel:BYTE_3 src1_sel:DWORD
	s_andn2_b64 s[4:5], s[4:5], exec
	s_and_b64 s[8:9], s[8:9], exec
	s_or_b64 s[4:5], s[4:5], s[8:9]
	s_or_b64 exec, exec, s[6:7]
	s_and_saveexec_b64 s[6:7], s[4:5]
	s_cbranch_execnz .LBB55_1695
	s_branch .LBB55_1696
.LBB55_3745:
	s_movk_i32 s4, 0x80
	v_cmp_eq_u16_sdwa s[12:13], v7, s4 src0_sel:BYTE_0 src1_sel:DWORD
	s_mov_b64 s[4:5], -1
                                        ; implicit-def: $sgpr10
	s_and_saveexec_b64 s[8:9], s[12:13]
; %bb.3746:
	s_mov_b32 s10, 0x7f800001
	s_xor_b64 s[4:5], exec, -1
; %bb.3747:
	s_or_b64 exec, exec, s[8:9]
	s_and_b64 s[4:5], s[4:5], exec
	s_or_saveexec_b64 s[6:7], s[6:7]
	v_mov_b32_e32 v2, s10
	s_xor_b64 exec, exec, s[6:7]
	s_cbranch_execz .LBB55_1698
.LBB55_3748:
	v_mov_b32_e32 v2, 0
	v_cmp_ne_u16_sdwa s[8:9], v7, v2 src0_sel:BYTE_0 src1_sel:DWORD
	s_andn2_b64 s[4:5], s[4:5], exec
	s_and_b64 s[8:9], s[8:9], exec
	s_or_b64 s[4:5], s[4:5], s[8:9]
	s_or_b64 exec, exec, s[6:7]
	s_and_saveexec_b64 s[6:7], s[4:5]
	s_cbranch_execnz .LBB55_1699
	s_branch .LBB55_1700
.LBB55_3749:
	s_movk_i32 s4, 0x80
	v_cmp_eq_u16_sdwa s[12:13], v3, s4 src0_sel:BYTE_0 src1_sel:DWORD
	s_mov_b64 s[4:5], -1
                                        ; implicit-def: $sgpr10
	s_and_saveexec_b64 s[8:9], s[12:13]
; %bb.3750:
	s_mov_b32 s10, 0x7f800001
	s_xor_b64 s[4:5], exec, -1
; %bb.3751:
	s_or_b64 exec, exec, s[8:9]
	s_and_b64 s[4:5], s[4:5], exec
	s_or_saveexec_b64 s[6:7], s[6:7]
	v_mov_b32_e32 v6, s10
	s_xor_b64 exec, exec, s[6:7]
	s_cbranch_execz .LBB55_1702
.LBB55_3752:
	v_mov_b32_e32 v6, 0
	v_cmp_ne_u16_sdwa s[8:9], v3, v6 src0_sel:BYTE_0 src1_sel:DWORD
	s_andn2_b64 s[4:5], s[4:5], exec
	s_and_b64 s[8:9], s[8:9], exec
	s_or_b64 s[4:5], s[4:5], s[8:9]
	s_or_b64 exec, exec, s[6:7]
	s_and_saveexec_b64 s[6:7], s[4:5]
	s_cbranch_execnz .LBB55_1703
	s_branch .LBB55_1704
.LBB55_3753:
	s_movk_i32 s4, 0x80
	v_cmp_eq_u16_sdwa s[12:13], v6, s4 src0_sel:BYTE_0 src1_sel:DWORD
	s_mov_b64 s[4:5], -1
                                        ; implicit-def: $sgpr10
	s_and_saveexec_b64 s[8:9], s[12:13]
; %bb.3754:
	s_mov_b32 s10, 0x7f800001
	s_xor_b64 s[4:5], exec, -1
; %bb.3755:
	s_or_b64 exec, exec, s[8:9]
	s_and_b64 s[4:5], s[4:5], exec
	s_or_saveexec_b64 s[6:7], s[6:7]
	v_mov_b32_e32 v2, s10
	s_xor_b64 exec, exec, s[6:7]
	s_cbranch_execz .LBB55_1706
.LBB55_3756:
	v_mov_b32_e32 v2, 0
	v_cmp_ne_u16_sdwa s[8:9], v6, v2 src0_sel:BYTE_0 src1_sel:DWORD
	s_andn2_b64 s[4:5], s[4:5], exec
	s_and_b64 s[8:9], s[8:9], exec
	s_or_b64 s[4:5], s[4:5], s[8:9]
	s_or_b64 exec, exec, s[6:7]
	s_and_saveexec_b64 s[6:7], s[4:5]
	s_cbranch_execnz .LBB55_1707
	s_branch .LBB55_1708
.LBB55_3757:
	s_movk_i32 s4, 0x80
	v_cmp_eq_u16_sdwa s[12:13], v6, s4 src0_sel:BYTE_0 src1_sel:DWORD
	s_mov_b64 s[4:5], -1
                                        ; implicit-def: $sgpr10
	s_and_saveexec_b64 s[8:9], s[12:13]
; %bb.3758:
	s_mov_b32 s10, 0x7f800001
	s_xor_b64 s[4:5], exec, -1
; %bb.3759:
	s_or_b64 exec, exec, s[8:9]
	s_and_b64 s[4:5], s[4:5], exec
	s_or_saveexec_b64 s[6:7], s[6:7]
	v_mov_b32_e32 v10, s10
	s_xor_b64 exec, exec, s[6:7]
	s_cbranch_execz .LBB55_1710
.LBB55_3760:
	v_mov_b32_e32 v10, 0
	v_cmp_ne_u16_sdwa s[8:9], v6, v10 src0_sel:BYTE_0 src1_sel:DWORD
	s_andn2_b64 s[4:5], s[4:5], exec
	s_and_b64 s[8:9], s[8:9], exec
	s_or_b64 s[4:5], s[4:5], s[8:9]
	s_or_b64 exec, exec, s[6:7]
	s_and_saveexec_b64 s[6:7], s[4:5]
	s_cbranch_execnz .LBB55_1711
	s_branch .LBB55_1712
.LBB55_3761:
	s_movk_i32 s4, 0x80
	v_cmp_eq_u16_e32 vcc, s4, v6
	s_mov_b64 s[4:5], -1
                                        ; implicit-def: $sgpr10
	s_and_saveexec_b64 s[8:9], vcc
; %bb.3762:
	s_mov_b32 s10, 0x7f800001
	s_xor_b64 s[4:5], exec, -1
; %bb.3763:
	s_or_b64 exec, exec, s[8:9]
	s_and_b64 s[4:5], s[4:5], exec
                                        ; implicit-def: $vgpr6
	s_or_saveexec_b64 s[6:7], s[6:7]
	v_mov_b32_e32 v2, s10
	s_xor_b64 exec, exec, s[6:7]
	s_cbranch_execz .LBB55_1714
.LBB55_3764:
	v_cmp_ne_u16_e32 vcc, 0, v6
	s_andn2_b64 s[4:5], s[4:5], exec
	s_and_b64 s[8:9], vcc, exec
	v_mov_b32_e32 v2, 0
	s_or_b64 s[4:5], s[4:5], s[8:9]
	s_or_b64 exec, exec, s[6:7]
	s_and_saveexec_b64 s[6:7], s[4:5]
	s_cbranch_execnz .LBB55_1715
	s_branch .LBB55_1716
.LBB55_3765:
	s_movk_i32 s4, 0x80
	v_cmp_eq_u16_e32 vcc, s4, v6
	s_mov_b64 s[4:5], -1
                                        ; implicit-def: $sgpr10
	s_and_saveexec_b64 s[8:9], vcc
; %bb.3766:
	s_mov_b32 s10, 0x7f800001
	s_xor_b64 s[4:5], exec, -1
; %bb.3767:
	s_or_b64 exec, exec, s[8:9]
	s_and_b64 s[4:5], s[4:5], exec
                                        ; implicit-def: $vgpr6
	s_or_saveexec_b64 s[6:7], s[6:7]
	v_mov_b32_e32 v10, s10
	s_xor_b64 exec, exec, s[6:7]
	s_cbranch_execz .LBB55_1718
.LBB55_3768:
	v_cmp_ne_u16_e32 vcc, 0, v6
	s_andn2_b64 s[4:5], s[4:5], exec
	s_and_b64 s[8:9], vcc, exec
	v_mov_b32_e32 v10, 0
	s_or_b64 s[4:5], s[4:5], s[8:9]
	s_or_b64 exec, exec, s[6:7]
	s_and_saveexec_b64 s[6:7], s[4:5]
	s_cbranch_execnz .LBB55_1719
	s_branch .LBB55_1720
.LBB55_3769:
	s_movk_i32 s4, 0x80
	v_cmp_eq_u16_sdwa s[12:13], v7, s4 src0_sel:BYTE_3 src1_sel:DWORD
	s_mov_b64 s[4:5], -1
                                        ; implicit-def: $sgpr10
	s_and_saveexec_b64 s[8:9], s[12:13]
; %bb.3770:
	s_mov_b32 s10, 0x7f800001
	s_xor_b64 s[4:5], exec, -1
; %bb.3771:
	s_or_b64 exec, exec, s[8:9]
	s_and_b64 s[4:5], s[4:5], exec
	s_or_saveexec_b64 s[6:7], s[6:7]
	v_mov_b32_e32 v2, s10
	s_xor_b64 exec, exec, s[6:7]
	s_cbranch_execz .LBB55_1722
.LBB55_3772:
	v_mov_b32_e32 v2, 0
	v_cmp_ne_u16_sdwa s[8:9], v7, v2 src0_sel:BYTE_3 src1_sel:DWORD
	s_andn2_b64 s[4:5], s[4:5], exec
	s_and_b64 s[8:9], s[8:9], exec
	s_or_b64 s[4:5], s[4:5], s[8:9]
	s_or_b64 exec, exec, s[6:7]
	s_and_saveexec_b64 s[6:7], s[4:5]
	s_cbranch_execnz .LBB55_1723
	s_branch .LBB55_1724
.LBB55_3773:
	s_movk_i32 s4, 0x80
	v_cmp_eq_u16_sdwa s[12:13], v3, s4 src0_sel:BYTE_3 src1_sel:DWORD
	s_mov_b64 s[4:5], -1
                                        ; implicit-def: $sgpr10
	s_and_saveexec_b64 s[8:9], s[12:13]
; %bb.3774:
	s_mov_b32 s10, 0x7f800001
	s_xor_b64 s[4:5], exec, -1
; %bb.3775:
	s_or_b64 exec, exec, s[8:9]
	s_and_b64 s[4:5], s[4:5], exec
	s_or_saveexec_b64 s[6:7], s[6:7]
	v_mov_b32_e32 v6, s10
	s_xor_b64 exec, exec, s[6:7]
	s_cbranch_execz .LBB55_1726
.LBB55_3776:
	v_mov_b32_e32 v6, 0
	v_cmp_ne_u16_sdwa s[8:9], v3, v6 src0_sel:BYTE_3 src1_sel:DWORD
	s_andn2_b64 s[4:5], s[4:5], exec
	s_and_b64 s[8:9], s[8:9], exec
	s_or_b64 s[4:5], s[4:5], s[8:9]
	s_or_b64 exec, exec, s[6:7]
	s_and_saveexec_b64 s[6:7], s[4:5]
	s_cbranch_execnz .LBB55_1727
	s_branch .LBB55_1728
.LBB55_3777:
	s_movk_i32 s4, 0x80
	v_cmp_eq_u16_sdwa s[12:13], v8, s4 src0_sel:BYTE_0 src1_sel:DWORD
	s_mov_b64 s[4:5], -1
                                        ; implicit-def: $sgpr10
	s_and_saveexec_b64 s[8:9], s[12:13]
; %bb.3778:
	s_mov_b32 s10, 0x7f800001
	s_xor_b64 s[4:5], exec, -1
; %bb.3779:
	s_or_b64 exec, exec, s[8:9]
	s_and_b64 s[4:5], s[4:5], exec
	s_or_saveexec_b64 s[6:7], s[6:7]
	v_mov_b32_e32 v2, s10
	s_xor_b64 exec, exec, s[6:7]
	s_cbranch_execz .LBB55_1730
.LBB55_3780:
	v_mov_b32_e32 v2, 0
	v_cmp_ne_u16_sdwa s[8:9], v8, v2 src0_sel:BYTE_0 src1_sel:DWORD
	s_andn2_b64 s[4:5], s[4:5], exec
	s_and_b64 s[8:9], s[8:9], exec
	s_or_b64 s[4:5], s[4:5], s[8:9]
	s_or_b64 exec, exec, s[6:7]
	s_and_saveexec_b64 s[6:7], s[4:5]
	s_cbranch_execnz .LBB55_1731
	s_branch .LBB55_1732
.LBB55_3781:
	s_movk_i32 s4, 0x80
	v_cmp_eq_u16_sdwa s[12:13], v4, s4 src0_sel:BYTE_0 src1_sel:DWORD
	s_mov_b64 s[4:5], -1
                                        ; implicit-def: $sgpr10
	s_and_saveexec_b64 s[8:9], s[12:13]
; %bb.3782:
	s_mov_b32 s10, 0x7f800001
	s_xor_b64 s[4:5], exec, -1
; %bb.3783:
	s_or_b64 exec, exec, s[8:9]
	s_and_b64 s[4:5], s[4:5], exec
	s_or_saveexec_b64 s[6:7], s[6:7]
	v_mov_b32_e32 v3, s10
	s_xor_b64 exec, exec, s[6:7]
	s_cbranch_execz .LBB55_1734
.LBB55_3784:
	v_mov_b32_e32 v3, 0
	v_cmp_ne_u16_sdwa s[8:9], v4, v3 src0_sel:BYTE_0 src1_sel:DWORD
	s_andn2_b64 s[4:5], s[4:5], exec
	s_and_b64 s[8:9], s[8:9], exec
	s_or_b64 s[4:5], s[4:5], s[8:9]
	s_or_b64 exec, exec, s[6:7]
	s_and_saveexec_b64 s[6:7], s[4:5]
	s_cbranch_execnz .LBB55_1735
	s_branch .LBB55_1736
.LBB55_3785:
	s_movk_i32 s4, 0x80
	v_cmp_eq_u16_sdwa s[12:13], v3, s4 src0_sel:BYTE_0 src1_sel:DWORD
	s_mov_b64 s[4:5], -1
                                        ; implicit-def: $sgpr10
	s_and_saveexec_b64 s[8:9], s[12:13]
; %bb.3786:
	s_mov_b32 s10, 0x7f800001
	s_xor_b64 s[4:5], exec, -1
; %bb.3787:
	s_or_b64 exec, exec, s[8:9]
	s_and_b64 s[4:5], s[4:5], exec
	s_or_saveexec_b64 s[6:7], s[6:7]
	v_mov_b32_e32 v2, s10
	s_xor_b64 exec, exec, s[6:7]
	s_cbranch_execz .LBB55_1738
.LBB55_3788:
	v_mov_b32_e32 v2, 0
	v_cmp_ne_u16_sdwa s[8:9], v3, v2 src0_sel:BYTE_0 src1_sel:DWORD
	s_andn2_b64 s[4:5], s[4:5], exec
	s_and_b64 s[8:9], s[8:9], exec
	s_or_b64 s[4:5], s[4:5], s[8:9]
	s_or_b64 exec, exec, s[6:7]
	s_and_saveexec_b64 s[6:7], s[4:5]
	s_cbranch_execnz .LBB55_1739
	s_branch .LBB55_1740
.LBB55_3789:
	s_movk_i32 s4, 0x80
	v_cmp_eq_u16_sdwa s[12:13], v3, s4 src0_sel:BYTE_0 src1_sel:DWORD
	s_mov_b64 s[4:5], -1
                                        ; implicit-def: $sgpr10
	s_and_saveexec_b64 s[8:9], s[12:13]
; %bb.3790:
	s_mov_b32 s10, 0x7f800001
	s_xor_b64 s[4:5], exec, -1
; %bb.3791:
	s_or_b64 exec, exec, s[8:9]
	s_and_b64 s[4:5], s[4:5], exec
	s_or_saveexec_b64 s[6:7], s[6:7]
	v_mov_b32_e32 v6, s10
	s_xor_b64 exec, exec, s[6:7]
	s_cbranch_execz .LBB55_1742
.LBB55_3792:
	v_mov_b32_e32 v6, 0
	v_cmp_ne_u16_sdwa s[8:9], v3, v6 src0_sel:BYTE_0 src1_sel:DWORD
	s_andn2_b64 s[4:5], s[4:5], exec
	s_and_b64 s[8:9], s[8:9], exec
	s_or_b64 s[4:5], s[4:5], s[8:9]
	s_or_b64 exec, exec, s[6:7]
	s_and_saveexec_b64 s[6:7], s[4:5]
	s_cbranch_execnz .LBB55_1743
	s_branch .LBB55_1744
.LBB55_3793:
	s_movk_i32 s4, 0x80
	v_cmp_eq_u16_e32 vcc, s4, v3
	s_mov_b64 s[4:5], -1
                                        ; implicit-def: $sgpr10
	s_and_saveexec_b64 s[8:9], vcc
; %bb.3794:
	s_mov_b32 s10, 0x7f800001
	s_xor_b64 s[4:5], exec, -1
; %bb.3795:
	s_or_b64 exec, exec, s[8:9]
	s_and_b64 s[4:5], s[4:5], exec
                                        ; implicit-def: $vgpr3
	s_or_saveexec_b64 s[6:7], s[6:7]
	v_mov_b32_e32 v2, s10
	s_xor_b64 exec, exec, s[6:7]
	s_cbranch_execz .LBB55_1746
.LBB55_3796:
	v_cmp_ne_u16_e32 vcc, 0, v3
	s_andn2_b64 s[4:5], s[4:5], exec
	s_and_b64 s[8:9], vcc, exec
	v_mov_b32_e32 v2, 0
	s_or_b64 s[4:5], s[4:5], s[8:9]
	s_or_b64 exec, exec, s[6:7]
	s_and_saveexec_b64 s[6:7], s[4:5]
	s_cbranch_execnz .LBB55_1747
	s_branch .LBB55_1748
.LBB55_3797:
	s_movk_i32 s4, 0x80
	v_cmp_eq_u16_e32 vcc, s4, v3
	s_mov_b64 s[4:5], -1
                                        ; implicit-def: $sgpr10
	s_and_saveexec_b64 s[8:9], vcc
; %bb.3798:
	s_mov_b32 s10, 0x7f800001
	s_xor_b64 s[4:5], exec, -1
; %bb.3799:
	s_or_b64 exec, exec, s[8:9]
	s_and_b64 s[4:5], s[4:5], exec
                                        ; implicit-def: $vgpr3
	s_or_saveexec_b64 s[6:7], s[6:7]
	v_mov_b32_e32 v6, s10
	s_xor_b64 exec, exec, s[6:7]
	s_cbranch_execz .LBB55_1750
.LBB55_3800:
	v_cmp_ne_u16_e32 vcc, 0, v3
	s_andn2_b64 s[4:5], s[4:5], exec
	s_and_b64 s[8:9], vcc, exec
	v_mov_b32_e32 v6, 0
	s_or_b64 s[4:5], s[4:5], s[8:9]
	s_or_b64 exec, exec, s[6:7]
	s_and_saveexec_b64 s[6:7], s[4:5]
	s_cbranch_execnz .LBB55_1751
	s_branch .LBB55_1752
.LBB55_3801:
	s_movk_i32 s4, 0x80
	v_cmp_eq_u16_sdwa s[12:13], v8, s4 src0_sel:BYTE_3 src1_sel:DWORD
	s_mov_b64 s[4:5], -1
                                        ; implicit-def: $sgpr10
	s_and_saveexec_b64 s[8:9], s[12:13]
; %bb.3802:
	s_mov_b32 s10, 0x7f800001
	s_xor_b64 s[4:5], exec, -1
; %bb.3803:
	s_or_b64 exec, exec, s[8:9]
	s_and_b64 s[4:5], s[4:5], exec
	s_or_saveexec_b64 s[6:7], s[6:7]
	v_mov_b32_e32 v2, s10
	s_xor_b64 exec, exec, s[6:7]
	s_cbranch_execz .LBB55_1754
.LBB55_3804:
	v_mov_b32_e32 v2, 0
	v_cmp_ne_u16_sdwa s[8:9], v8, v2 src0_sel:BYTE_3 src1_sel:DWORD
	s_andn2_b64 s[4:5], s[4:5], exec
	s_and_b64 s[8:9], s[8:9], exec
	s_or_b64 s[4:5], s[4:5], s[8:9]
	s_or_b64 exec, exec, s[6:7]
	s_and_saveexec_b64 s[6:7], s[4:5]
	s_cbranch_execnz .LBB55_1755
	s_branch .LBB55_1756
.LBB55_3805:
	s_movk_i32 s4, 0x80
	v_cmp_eq_u16_sdwa s[12:13], v4, s4 src0_sel:BYTE_3 src1_sel:DWORD
	s_mov_b64 s[4:5], -1
                                        ; implicit-def: $sgpr10
	s_and_saveexec_b64 s[8:9], s[12:13]
; %bb.3806:
	s_mov_b32 s10, 0x7f800001
	s_xor_b64 s[4:5], exec, -1
; %bb.3807:
	s_or_b64 exec, exec, s[8:9]
	s_and_b64 s[4:5], s[4:5], exec
	s_or_saveexec_b64 s[6:7], s[6:7]
	v_mov_b32_e32 v3, s10
	s_xor_b64 exec, exec, s[6:7]
	s_cbranch_execz .LBB55_1758
.LBB55_3808:
	v_mov_b32_e32 v3, 0
	v_cmp_ne_u16_sdwa s[8:9], v4, v3 src0_sel:BYTE_3 src1_sel:DWORD
	s_andn2_b64 s[4:5], s[4:5], exec
	s_and_b64 s[8:9], s[8:9], exec
	s_or_b64 s[4:5], s[4:5], s[8:9]
	s_or_b64 exec, exec, s[6:7]
	s_and_saveexec_b64 s[6:7], s[4:5]
	s_cbranch_execnz .LBB55_1759
	s_branch .LBB55_1760
.LBB55_3809:
	s_movk_i32 s4, 0x80
	v_cmp_eq_u16_sdwa s[12:13], v9, s4 src0_sel:BYTE_0 src1_sel:DWORD
	s_mov_b64 s[4:5], -1
                                        ; implicit-def: $sgpr10
	s_and_saveexec_b64 s[8:9], s[12:13]
; %bb.3810:
	s_mov_b32 s10, 0x7f800001
	s_xor_b64 s[4:5], exec, -1
; %bb.3811:
	s_or_b64 exec, exec, s[8:9]
	s_and_b64 s[4:5], s[4:5], exec
	s_or_saveexec_b64 s[6:7], s[6:7]
	v_mov_b32_e32 v2, s10
	s_xor_b64 exec, exec, s[6:7]
	s_cbranch_execz .LBB55_1762
.LBB55_3812:
	v_mov_b32_e32 v2, 0
	v_cmp_ne_u16_sdwa s[8:9], v9, v2 src0_sel:BYTE_0 src1_sel:DWORD
	s_andn2_b64 s[4:5], s[4:5], exec
	s_and_b64 s[8:9], s[8:9], exec
	s_or_b64 s[4:5], s[4:5], s[8:9]
	s_or_b64 exec, exec, s[6:7]
	s_and_saveexec_b64 s[6:7], s[4:5]
	s_cbranch_execnz .LBB55_1763
	s_branch .LBB55_1764
.LBB55_3813:
	s_movk_i32 s4, 0x80
	v_cmp_eq_u16_sdwa s[12:13], v5, s4 src0_sel:BYTE_0 src1_sel:DWORD
	s_mov_b64 s[4:5], -1
                                        ; implicit-def: $sgpr10
	s_and_saveexec_b64 s[8:9], s[12:13]
; %bb.3814:
	s_mov_b32 s10, 0x7f800001
	s_xor_b64 s[4:5], exec, -1
; %bb.3815:
	s_or_b64 exec, exec, s[8:9]
	s_and_b64 s[4:5], s[4:5], exec
	s_or_saveexec_b64 s[6:7], s[6:7]
	v_mov_b32_e32 v3, s10
	s_xor_b64 exec, exec, s[6:7]
	s_cbranch_execz .LBB55_1766
.LBB55_3816:
	v_mov_b32_e32 v3, 0
	v_cmp_ne_u16_sdwa s[8:9], v5, v3 src0_sel:BYTE_0 src1_sel:DWORD
	s_andn2_b64 s[4:5], s[4:5], exec
	s_and_b64 s[8:9], s[8:9], exec
	s_or_b64 s[4:5], s[4:5], s[8:9]
	s_or_b64 exec, exec, s[6:7]
	s_and_saveexec_b64 s[6:7], s[4:5]
	s_cbranch_execnz .LBB55_1767
	s_branch .LBB55_1768
.LBB55_3817:
	s_movk_i32 s4, 0x80
	v_cmp_eq_u16_sdwa s[12:13], v3, s4 src0_sel:BYTE_0 src1_sel:DWORD
	s_mov_b64 s[4:5], -1
                                        ; implicit-def: $sgpr10
	s_and_saveexec_b64 s[8:9], s[12:13]
; %bb.3818:
	s_mov_b32 s10, 0x7f800001
	s_xor_b64 s[4:5], exec, -1
; %bb.3819:
	s_or_b64 exec, exec, s[8:9]
	s_and_b64 s[4:5], s[4:5], exec
	s_or_saveexec_b64 s[6:7], s[6:7]
	v_mov_b32_e32 v2, s10
	s_xor_b64 exec, exec, s[6:7]
	s_cbranch_execz .LBB55_1770
.LBB55_3820:
	v_mov_b32_e32 v2, 0
	v_cmp_ne_u16_sdwa s[8:9], v3, v2 src0_sel:BYTE_0 src1_sel:DWORD
	s_andn2_b64 s[4:5], s[4:5], exec
	s_and_b64 s[8:9], s[8:9], exec
	s_or_b64 s[4:5], s[4:5], s[8:9]
	s_or_b64 exec, exec, s[6:7]
	s_and_saveexec_b64 s[6:7], s[4:5]
	s_cbranch_execnz .LBB55_1771
	s_branch .LBB55_1772
.LBB55_3821:
	s_movk_i32 s4, 0x80
	v_cmp_eq_u16_sdwa s[12:13], v3, s4 src0_sel:BYTE_0 src1_sel:DWORD
	s_mov_b64 s[4:5], -1
                                        ; implicit-def: $sgpr10
	s_and_saveexec_b64 s[8:9], s[12:13]
; %bb.3822:
	s_mov_b32 s10, 0x7f800001
	s_xor_b64 s[4:5], exec, -1
; %bb.3823:
	s_or_b64 exec, exec, s[8:9]
	s_and_b64 s[4:5], s[4:5], exec
	s_or_saveexec_b64 s[6:7], s[6:7]
	v_mov_b32_e32 v4, s10
	s_xor_b64 exec, exec, s[6:7]
	s_cbranch_execz .LBB55_1774
.LBB55_3824:
	v_mov_b32_e32 v4, 0
	v_cmp_ne_u16_sdwa s[8:9], v3, v4 src0_sel:BYTE_0 src1_sel:DWORD
	s_andn2_b64 s[4:5], s[4:5], exec
	s_and_b64 s[8:9], s[8:9], exec
	s_or_b64 s[4:5], s[4:5], s[8:9]
	s_or_b64 exec, exec, s[6:7]
	s_and_saveexec_b64 s[6:7], s[4:5]
	s_cbranch_execnz .LBB55_1775
	s_branch .LBB55_1776
.LBB55_3825:
	s_movk_i32 s4, 0x80
	v_cmp_eq_u16_e32 vcc, s4, v3
	s_mov_b64 s[4:5], -1
                                        ; implicit-def: $sgpr10
	s_and_saveexec_b64 s[8:9], vcc
; %bb.3826:
	s_mov_b32 s10, 0x7f800001
	s_xor_b64 s[4:5], exec, -1
; %bb.3827:
	s_or_b64 exec, exec, s[8:9]
	s_and_b64 s[4:5], s[4:5], exec
                                        ; implicit-def: $vgpr3
	s_or_saveexec_b64 s[6:7], s[6:7]
	v_mov_b32_e32 v2, s10
	s_xor_b64 exec, exec, s[6:7]
	s_cbranch_execz .LBB55_1778
.LBB55_3828:
	v_cmp_ne_u16_e32 vcc, 0, v3
	s_andn2_b64 s[4:5], s[4:5], exec
	s_and_b64 s[8:9], vcc, exec
	v_mov_b32_e32 v2, 0
	s_or_b64 s[4:5], s[4:5], s[8:9]
	s_or_b64 exec, exec, s[6:7]
	s_and_saveexec_b64 s[6:7], s[4:5]
	s_cbranch_execnz .LBB55_1779
	s_branch .LBB55_1780
.LBB55_3829:
	s_movk_i32 s4, 0x80
	v_cmp_eq_u16_e32 vcc, s4, v3
	s_mov_b64 s[4:5], -1
                                        ; implicit-def: $sgpr10
	s_and_saveexec_b64 s[8:9], vcc
; %bb.3830:
	s_mov_b32 s10, 0x7f800001
	s_xor_b64 s[4:5], exec, -1
; %bb.3831:
	s_or_b64 exec, exec, s[8:9]
	s_and_b64 s[4:5], s[4:5], exec
                                        ; implicit-def: $vgpr3
	s_or_saveexec_b64 s[6:7], s[6:7]
	v_mov_b32_e32 v4, s10
	s_xor_b64 exec, exec, s[6:7]
	s_cbranch_execz .LBB55_1782
.LBB55_3832:
	v_cmp_ne_u16_e32 vcc, 0, v3
	s_andn2_b64 s[4:5], s[4:5], exec
	s_and_b64 s[8:9], vcc, exec
	v_mov_b32_e32 v4, 0
	s_or_b64 s[4:5], s[4:5], s[8:9]
	s_or_b64 exec, exec, s[6:7]
	s_and_saveexec_b64 s[6:7], s[4:5]
	s_cbranch_execnz .LBB55_1783
	s_branch .LBB55_1784
.LBB55_3833:
	s_movk_i32 s4, 0x80
	v_cmp_eq_u16_sdwa s[12:13], v9, s4 src0_sel:BYTE_3 src1_sel:DWORD
	s_mov_b64 s[4:5], -1
                                        ; implicit-def: $sgpr10
	s_and_saveexec_b64 s[8:9], s[12:13]
; %bb.3834:
	s_mov_b32 s10, 0x7f800001
	s_xor_b64 s[4:5], exec, -1
; %bb.3835:
	s_or_b64 exec, exec, s[8:9]
	s_and_b64 s[4:5], s[4:5], exec
	s_or_saveexec_b64 s[6:7], s[6:7]
	v_mov_b32_e32 v2, s10
	s_xor_b64 exec, exec, s[6:7]
	s_cbranch_execz .LBB55_1786
.LBB55_3836:
	v_mov_b32_e32 v2, 0
	v_cmp_ne_u16_sdwa s[8:9], v9, v2 src0_sel:BYTE_3 src1_sel:DWORD
	s_andn2_b64 s[4:5], s[4:5], exec
	s_and_b64 s[8:9], s[8:9], exec
	s_or_b64 s[4:5], s[4:5], s[8:9]
	s_or_b64 exec, exec, s[6:7]
	s_and_saveexec_b64 s[6:7], s[4:5]
	s_cbranch_execnz .LBB55_1787
	s_branch .LBB55_1788
.LBB55_3837:
	s_movk_i32 s4, 0x80
	v_cmp_eq_u16_sdwa s[12:13], v5, s4 src0_sel:BYTE_3 src1_sel:DWORD
	s_mov_b64 s[4:5], -1
                                        ; implicit-def: $sgpr10
	s_and_saveexec_b64 s[8:9], s[12:13]
; %bb.3838:
	s_mov_b32 s10, 0x7f800001
	s_xor_b64 s[4:5], exec, -1
; %bb.3839:
	s_or_b64 exec, exec, s[8:9]
	s_and_b64 s[4:5], s[4:5], exec
	s_or_saveexec_b64 s[6:7], s[6:7]
	v_mov_b32_e32 v3, s10
	s_xor_b64 exec, exec, s[6:7]
	s_cbranch_execz .LBB55_1790
.LBB55_3840:
	v_mov_b32_e32 v3, 0
	v_cmp_ne_u16_sdwa s[8:9], v5, v3 src0_sel:BYTE_3 src1_sel:DWORD
	s_andn2_b64 s[4:5], s[4:5], exec
	s_and_b64 s[8:9], s[8:9], exec
	s_or_b64 s[4:5], s[4:5], s[8:9]
	s_or_b64 exec, exec, s[6:7]
	s_and_saveexec_b64 s[6:7], s[4:5]
	s_cbranch_execnz .LBB55_1791
	s_branch .LBB55_1792
.LBB55_3841:
	s_movk_i32 s4, 0x80
	v_cmp_eq_u16_sdwa s[12:13], v12, s4 src0_sel:BYTE_0 src1_sel:DWORD
	s_mov_b64 s[4:5], -1
                                        ; implicit-def: $sgpr10
	s_and_saveexec_b64 s[8:9], s[12:13]
; %bb.3842:
	s_mov_b32 s10, 0x7f800001
	s_xor_b64 s[4:5], exec, -1
; %bb.3843:
	s_or_b64 exec, exec, s[8:9]
	s_and_b64 s[4:5], s[4:5], exec
	s_or_saveexec_b64 s[6:7], s[6:7]
	v_mov_b32_e32 v18, s10
	s_xor_b64 exec, exec, s[6:7]
	s_cbranch_execz .LBB55_1794
.LBB55_3844:
	v_mov_b32_e32 v18, 0
	v_cmp_ne_u16_sdwa s[8:9], v12, v18 src0_sel:BYTE_0 src1_sel:DWORD
	s_andn2_b64 s[4:5], s[4:5], exec
	s_and_b64 s[8:9], s[8:9], exec
	s_or_b64 s[4:5], s[4:5], s[8:9]
	s_or_b64 exec, exec, s[6:7]
	s_and_saveexec_b64 s[6:7], s[4:5]
	s_cbranch_execnz .LBB55_1795
	s_branch .LBB55_1796
.LBB55_3845:
	s_movk_i32 s4, 0x80
	v_cmp_eq_u16_sdwa s[12:13], v8, s4 src0_sel:BYTE_0 src1_sel:DWORD
	s_mov_b64 s[4:5], -1
                                        ; implicit-def: $sgpr10
	s_and_saveexec_b64 s[8:9], s[12:13]
; %bb.3846:
	s_mov_b32 s10, 0x7f800001
	s_xor_b64 s[4:5], exec, -1
; %bb.3847:
	s_or_b64 exec, exec, s[8:9]
	s_and_b64 s[4:5], s[4:5], exec
	s_or_saveexec_b64 s[6:7], s[6:7]
	v_mov_b32_e32 v19, s10
	s_xor_b64 exec, exec, s[6:7]
	s_cbranch_execz .LBB55_1798
.LBB55_3848:
	v_mov_b32_e32 v19, 0
	v_cmp_ne_u16_sdwa s[8:9], v8, v19 src0_sel:BYTE_0 src1_sel:DWORD
	s_andn2_b64 s[4:5], s[4:5], exec
	s_and_b64 s[8:9], s[8:9], exec
	s_or_b64 s[4:5], s[4:5], s[8:9]
	s_or_b64 exec, exec, s[6:7]
	s_and_saveexec_b64 s[6:7], s[4:5]
	s_cbranch_execnz .LBB55_1799
	s_branch .LBB55_1800
.LBB55_3849:
	s_movk_i32 s4, 0x80
	v_cmp_eq_u16_sdwa s[12:13], v19, s4 src0_sel:BYTE_0 src1_sel:DWORD
	s_mov_b64 s[4:5], -1
                                        ; implicit-def: $sgpr10
	s_and_saveexec_b64 s[8:9], s[12:13]
; %bb.3850:
	s_mov_b32 s10, 0x7f800001
	s_xor_b64 s[4:5], exec, -1
; %bb.3851:
	s_or_b64 exec, exec, s[8:9]
	s_and_b64 s[4:5], s[4:5], exec
	s_or_saveexec_b64 s[6:7], s[6:7]
	v_mov_b32_e32 v18, s10
	s_xor_b64 exec, exec, s[6:7]
	s_cbranch_execz .LBB55_1802
.LBB55_3852:
	v_mov_b32_e32 v18, 0
	v_cmp_ne_u16_sdwa s[8:9], v19, v18 src0_sel:BYTE_0 src1_sel:DWORD
	s_andn2_b64 s[4:5], s[4:5], exec
	s_and_b64 s[8:9], s[8:9], exec
	s_or_b64 s[4:5], s[4:5], s[8:9]
	s_or_b64 exec, exec, s[6:7]
	s_and_saveexec_b64 s[6:7], s[4:5]
	s_cbranch_execnz .LBB55_1803
	s_branch .LBB55_1804
.LBB55_3853:
	s_movk_i32 s4, 0x80
	v_cmp_eq_u16_sdwa s[12:13], v19, s4 src0_sel:BYTE_0 src1_sel:DWORD
	s_mov_b64 s[4:5], -1
                                        ; implicit-def: $sgpr10
	s_and_saveexec_b64 s[8:9], s[12:13]
; %bb.3854:
	s_mov_b32 s10, 0x7f800001
	s_xor_b64 s[4:5], exec, -1
; %bb.3855:
	s_or_b64 exec, exec, s[8:9]
	s_and_b64 s[4:5], s[4:5], exec
	s_or_saveexec_b64 s[6:7], s[6:7]
	v_mov_b32_e32 v20, s10
	s_xor_b64 exec, exec, s[6:7]
	s_cbranch_execz .LBB55_1806
.LBB55_3856:
	v_mov_b32_e32 v20, 0
	v_cmp_ne_u16_sdwa s[8:9], v19, v20 src0_sel:BYTE_0 src1_sel:DWORD
	s_andn2_b64 s[4:5], s[4:5], exec
	s_and_b64 s[8:9], s[8:9], exec
	s_or_b64 s[4:5], s[4:5], s[8:9]
	s_or_b64 exec, exec, s[6:7]
	s_and_saveexec_b64 s[6:7], s[4:5]
	s_cbranch_execnz .LBB55_1807
	s_branch .LBB55_1808
.LBB55_3857:
	s_movk_i32 s4, 0x80
	v_cmp_eq_u16_e32 vcc, s4, v19
	s_mov_b64 s[4:5], -1
                                        ; implicit-def: $sgpr10
	s_and_saveexec_b64 s[8:9], vcc
; %bb.3858:
	s_mov_b32 s10, 0x7f800001
	s_xor_b64 s[4:5], exec, -1
; %bb.3859:
	s_or_b64 exec, exec, s[8:9]
	s_and_b64 s[4:5], s[4:5], exec
                                        ; implicit-def: $vgpr19
	s_or_saveexec_b64 s[6:7], s[6:7]
	v_mov_b32_e32 v18, s10
	s_xor_b64 exec, exec, s[6:7]
	s_cbranch_execz .LBB55_1810
.LBB55_3860:
	v_cmp_ne_u16_e32 vcc, 0, v19
	s_andn2_b64 s[4:5], s[4:5], exec
	s_and_b64 s[8:9], vcc, exec
	v_mov_b32_e32 v18, 0
	s_or_b64 s[4:5], s[4:5], s[8:9]
	s_or_b64 exec, exec, s[6:7]
	s_and_saveexec_b64 s[6:7], s[4:5]
	s_cbranch_execnz .LBB55_1811
	s_branch .LBB55_1812
.LBB55_3861:
	s_movk_i32 s4, 0x80
	v_cmp_eq_u16_e32 vcc, s4, v19
	s_mov_b64 s[4:5], -1
                                        ; implicit-def: $sgpr10
	s_and_saveexec_b64 s[8:9], vcc
; %bb.3862:
	s_mov_b32 s10, 0x7f800001
	s_xor_b64 s[4:5], exec, -1
; %bb.3863:
	s_or_b64 exec, exec, s[8:9]
	s_and_b64 s[4:5], s[4:5], exec
                                        ; implicit-def: $vgpr19
	s_or_saveexec_b64 s[6:7], s[6:7]
	v_mov_b32_e32 v20, s10
	s_xor_b64 exec, exec, s[6:7]
	s_cbranch_execz .LBB55_1814
.LBB55_3864:
	v_cmp_ne_u16_e32 vcc, 0, v19
	s_andn2_b64 s[4:5], s[4:5], exec
	s_and_b64 s[8:9], vcc, exec
	v_mov_b32_e32 v20, 0
	s_or_b64 s[4:5], s[4:5], s[8:9]
	s_or_b64 exec, exec, s[6:7]
	s_and_saveexec_b64 s[6:7], s[4:5]
	s_cbranch_execnz .LBB55_1815
	s_branch .LBB55_1816
.LBB55_3865:
	s_movk_i32 s4, 0x80
	v_cmp_eq_u16_sdwa s[12:13], v12, s4 src0_sel:BYTE_3 src1_sel:DWORD
	s_mov_b64 s[4:5], -1
                                        ; implicit-def: $sgpr10
	s_and_saveexec_b64 s[8:9], s[12:13]
; %bb.3866:
	s_mov_b32 s10, 0x7f800001
	s_xor_b64 s[4:5], exec, -1
; %bb.3867:
	s_or_b64 exec, exec, s[8:9]
	s_and_b64 s[4:5], s[4:5], exec
	s_or_saveexec_b64 s[6:7], s[6:7]
	v_mov_b32_e32 v18, s10
	s_xor_b64 exec, exec, s[6:7]
	s_cbranch_execz .LBB55_1818
.LBB55_3868:
	v_mov_b32_e32 v18, 0
	v_cmp_ne_u16_sdwa s[8:9], v12, v18 src0_sel:BYTE_3 src1_sel:DWORD
	s_andn2_b64 s[4:5], s[4:5], exec
	s_and_b64 s[8:9], s[8:9], exec
	s_or_b64 s[4:5], s[4:5], s[8:9]
	s_or_b64 exec, exec, s[6:7]
	s_and_saveexec_b64 s[6:7], s[4:5]
	s_cbranch_execnz .LBB55_1819
	s_branch .LBB55_1820
.LBB55_3869:
	s_movk_i32 s4, 0x80
	v_cmp_eq_u16_sdwa s[12:13], v8, s4 src0_sel:BYTE_3 src1_sel:DWORD
	s_mov_b64 s[4:5], -1
                                        ; implicit-def: $sgpr10
	s_and_saveexec_b64 s[8:9], s[12:13]
; %bb.3870:
	s_mov_b32 s10, 0x7f800001
	s_xor_b64 s[4:5], exec, -1
; %bb.3871:
	s_or_b64 exec, exec, s[8:9]
	s_and_b64 s[4:5], s[4:5], exec
	s_or_saveexec_b64 s[6:7], s[6:7]
	v_mov_b32_e32 v12, s10
	s_xor_b64 exec, exec, s[6:7]
	s_cbranch_execz .LBB55_1822
.LBB55_3872:
	v_mov_b32_e32 v12, 0
	v_cmp_ne_u16_sdwa s[8:9], v8, v12 src0_sel:BYTE_3 src1_sel:DWORD
	s_andn2_b64 s[4:5], s[4:5], exec
	s_and_b64 s[8:9], s[8:9], exec
	s_or_b64 s[4:5], s[4:5], s[8:9]
	s_or_b64 exec, exec, s[6:7]
	s_and_saveexec_b64 s[6:7], s[4:5]
	s_cbranch_execnz .LBB55_1823
	s_branch .LBB55_1824
.LBB55_3873:
	s_movk_i32 s4, 0x80
	v_cmp_eq_u16_sdwa s[12:13], v13, s4 src0_sel:BYTE_0 src1_sel:DWORD
	s_mov_b64 s[4:5], -1
                                        ; implicit-def: $sgpr10
	s_and_saveexec_b64 s[8:9], s[12:13]
; %bb.3874:
	s_mov_b32 s10, 0x7f800001
	s_xor_b64 s[4:5], exec, -1
; %bb.3875:
	s_or_b64 exec, exec, s[8:9]
	s_and_b64 s[4:5], s[4:5], exec
	s_or_saveexec_b64 s[6:7], s[6:7]
	v_mov_b32_e32 v8, s10
	s_xor_b64 exec, exec, s[6:7]
	s_cbranch_execz .LBB55_1826
.LBB55_3876:
	v_mov_b32_e32 v8, 0
	v_cmp_ne_u16_sdwa s[8:9], v13, v8 src0_sel:BYTE_0 src1_sel:DWORD
	s_andn2_b64 s[4:5], s[4:5], exec
	s_and_b64 s[8:9], s[8:9], exec
	s_or_b64 s[4:5], s[4:5], s[8:9]
	s_or_b64 exec, exec, s[6:7]
	s_and_saveexec_b64 s[6:7], s[4:5]
	s_cbranch_execnz .LBB55_1827
	s_branch .LBB55_1828
.LBB55_3877:
	s_movk_i32 s4, 0x80
	v_cmp_eq_u16_sdwa s[12:13], v9, s4 src0_sel:BYTE_0 src1_sel:DWORD
	s_mov_b64 s[4:5], -1
                                        ; implicit-def: $sgpr10
	s_and_saveexec_b64 s[8:9], s[12:13]
; %bb.3878:
	s_mov_b32 s10, 0x7f800001
	s_xor_b64 s[4:5], exec, -1
; %bb.3879:
	s_or_b64 exec, exec, s[8:9]
	s_and_b64 s[4:5], s[4:5], exec
	s_or_saveexec_b64 s[6:7], s[6:7]
	v_mov_b32_e32 v12, s10
	s_xor_b64 exec, exec, s[6:7]
	s_cbranch_execz .LBB55_1830
.LBB55_3880:
	v_mov_b32_e32 v12, 0
	v_cmp_ne_u16_sdwa s[8:9], v9, v12 src0_sel:BYTE_0 src1_sel:DWORD
	s_andn2_b64 s[4:5], s[4:5], exec
	s_and_b64 s[8:9], s[8:9], exec
	s_or_b64 s[4:5], s[4:5], s[8:9]
	s_or_b64 exec, exec, s[6:7]
	s_and_saveexec_b64 s[6:7], s[4:5]
	s_cbranch_execnz .LBB55_1831
	s_branch .LBB55_1832
.LBB55_3881:
	s_movk_i32 s4, 0x80
	v_cmp_eq_u16_sdwa s[12:13], v12, s4 src0_sel:BYTE_0 src1_sel:DWORD
	s_mov_b64 s[4:5], -1
                                        ; implicit-def: $sgpr10
	s_and_saveexec_b64 s[8:9], s[12:13]
; %bb.3882:
	s_mov_b32 s10, 0x7f800001
	s_xor_b64 s[4:5], exec, -1
; %bb.3883:
	s_or_b64 exec, exec, s[8:9]
	s_and_b64 s[4:5], s[4:5], exec
	s_or_saveexec_b64 s[6:7], s[6:7]
	v_mov_b32_e32 v8, s10
	s_xor_b64 exec, exec, s[6:7]
	s_cbranch_execz .LBB55_1834
.LBB55_3884:
	v_mov_b32_e32 v8, 0
	v_cmp_ne_u16_sdwa s[8:9], v12, v8 src0_sel:BYTE_0 src1_sel:DWORD
	s_andn2_b64 s[4:5], s[4:5], exec
	s_and_b64 s[8:9], s[8:9], exec
	s_or_b64 s[4:5], s[4:5], s[8:9]
	s_or_b64 exec, exec, s[6:7]
	s_and_saveexec_b64 s[6:7], s[4:5]
	s_cbranch_execnz .LBB55_1835
	s_branch .LBB55_1836
.LBB55_3885:
	s_movk_i32 s4, 0x80
	v_cmp_eq_u16_sdwa s[12:13], v12, s4 src0_sel:BYTE_0 src1_sel:DWORD
	s_mov_b64 s[4:5], -1
                                        ; implicit-def: $sgpr10
	s_and_saveexec_b64 s[8:9], s[12:13]
; %bb.3886:
	s_mov_b32 s10, 0x7f800001
	s_xor_b64 s[4:5], exec, -1
; %bb.3887:
	s_or_b64 exec, exec, s[8:9]
	s_and_b64 s[4:5], s[4:5], exec
	s_or_saveexec_b64 s[6:7], s[6:7]
	v_mov_b32_e32 v18, s10
	s_xor_b64 exec, exec, s[6:7]
	s_cbranch_execz .LBB55_1838
.LBB55_3888:
	v_mov_b32_e32 v18, 0
	v_cmp_ne_u16_sdwa s[8:9], v12, v18 src0_sel:BYTE_0 src1_sel:DWORD
	s_andn2_b64 s[4:5], s[4:5], exec
	s_and_b64 s[8:9], s[8:9], exec
	s_or_b64 s[4:5], s[4:5], s[8:9]
	s_or_b64 exec, exec, s[6:7]
	s_and_saveexec_b64 s[6:7], s[4:5]
	s_cbranch_execnz .LBB55_1839
	s_branch .LBB55_1840
.LBB55_3889:
	s_movk_i32 s4, 0x80
	v_cmp_eq_u16_e32 vcc, s4, v12
	s_mov_b64 s[4:5], -1
                                        ; implicit-def: $sgpr10
	s_and_saveexec_b64 s[8:9], vcc
; %bb.3890:
	s_mov_b32 s10, 0x7f800001
	s_xor_b64 s[4:5], exec, -1
; %bb.3891:
	s_or_b64 exec, exec, s[8:9]
	s_and_b64 s[4:5], s[4:5], exec
                                        ; implicit-def: $vgpr12
	s_or_saveexec_b64 s[6:7], s[6:7]
	v_mov_b32_e32 v8, s10
	s_xor_b64 exec, exec, s[6:7]
	s_cbranch_execz .LBB55_1842
.LBB55_3892:
	v_cmp_ne_u16_e32 vcc, 0, v12
	s_andn2_b64 s[4:5], s[4:5], exec
	s_and_b64 s[8:9], vcc, exec
	v_mov_b32_e32 v8, 0
	s_or_b64 s[4:5], s[4:5], s[8:9]
	s_or_b64 exec, exec, s[6:7]
	s_and_saveexec_b64 s[6:7], s[4:5]
	s_cbranch_execnz .LBB55_1843
	s_branch .LBB55_1844
.LBB55_3893:
	s_movk_i32 s4, 0x80
	v_cmp_eq_u16_e32 vcc, s4, v12
	s_mov_b64 s[4:5], -1
                                        ; implicit-def: $sgpr10
	s_and_saveexec_b64 s[8:9], vcc
; %bb.3894:
	s_mov_b32 s10, 0x7f800001
	s_xor_b64 s[4:5], exec, -1
; %bb.3895:
	s_or_b64 exec, exec, s[8:9]
	s_and_b64 s[4:5], s[4:5], exec
                                        ; implicit-def: $vgpr12
	s_or_saveexec_b64 s[6:7], s[6:7]
	v_mov_b32_e32 v18, s10
	s_xor_b64 exec, exec, s[6:7]
	s_cbranch_execz .LBB55_1846
.LBB55_3896:
	v_cmp_ne_u16_e32 vcc, 0, v12
	s_andn2_b64 s[4:5], s[4:5], exec
	s_and_b64 s[8:9], vcc, exec
	v_mov_b32_e32 v18, 0
	s_or_b64 s[4:5], s[4:5], s[8:9]
	s_or_b64 exec, exec, s[6:7]
	s_and_saveexec_b64 s[6:7], s[4:5]
	s_cbranch_execnz .LBB55_1847
	s_branch .LBB55_1848
.LBB55_3897:
	s_movk_i32 s4, 0x80
	v_cmp_eq_u16_sdwa s[12:13], v13, s4 src0_sel:BYTE_3 src1_sel:DWORD
	s_mov_b64 s[4:5], -1
                                        ; implicit-def: $sgpr10
	s_and_saveexec_b64 s[8:9], s[12:13]
; %bb.3898:
	s_mov_b32 s10, 0x7f800001
	s_xor_b64 s[4:5], exec, -1
; %bb.3899:
	s_or_b64 exec, exec, s[8:9]
	s_and_b64 s[4:5], s[4:5], exec
	s_or_saveexec_b64 s[6:7], s[6:7]
	v_mov_b32_e32 v8, s10
	s_xor_b64 exec, exec, s[6:7]
	s_cbranch_execz .LBB55_1850
.LBB55_3900:
	v_mov_b32_e32 v8, 0
	v_cmp_ne_u16_sdwa s[8:9], v13, v8 src0_sel:BYTE_3 src1_sel:DWORD
	s_andn2_b64 s[4:5], s[4:5], exec
	s_and_b64 s[8:9], s[8:9], exec
	s_or_b64 s[4:5], s[4:5], s[8:9]
	s_or_b64 exec, exec, s[6:7]
	s_and_saveexec_b64 s[6:7], s[4:5]
	s_cbranch_execnz .LBB55_1851
	s_branch .LBB55_1852
.LBB55_3901:
	s_movk_i32 s4, 0x80
	v_cmp_eq_u16_sdwa s[12:13], v9, s4 src0_sel:BYTE_3 src1_sel:DWORD
	s_mov_b64 s[4:5], -1
                                        ; implicit-def: $sgpr10
	s_and_saveexec_b64 s[8:9], s[12:13]
; %bb.3902:
	s_mov_b32 s10, 0x7f800001
	s_xor_b64 s[4:5], exec, -1
; %bb.3903:
	s_or_b64 exec, exec, s[8:9]
	s_and_b64 s[4:5], s[4:5], exec
	s_or_saveexec_b64 s[6:7], s[6:7]
	v_mov_b32_e32 v12, s10
	s_xor_b64 exec, exec, s[6:7]
	s_cbranch_execz .LBB55_1854
.LBB55_3904:
	v_mov_b32_e32 v12, 0
	v_cmp_ne_u16_sdwa s[8:9], v9, v12 src0_sel:BYTE_3 src1_sel:DWORD
	s_andn2_b64 s[4:5], s[4:5], exec
	s_and_b64 s[8:9], s[8:9], exec
	s_or_b64 s[4:5], s[4:5], s[8:9]
	s_or_b64 exec, exec, s[6:7]
	s_and_saveexec_b64 s[6:7], s[4:5]
	s_cbranch_execnz .LBB55_1855
	s_branch .LBB55_1856
.LBB55_3905:
	s_movk_i32 s4, 0x80
	v_cmp_eq_u16_sdwa s[12:13], v14, s4 src0_sel:BYTE_0 src1_sel:DWORD
	s_mov_b64 s[4:5], -1
                                        ; implicit-def: $sgpr10
	s_and_saveexec_b64 s[8:9], s[12:13]
; %bb.3906:
	s_mov_b32 s10, 0x7f800001
	s_xor_b64 s[4:5], exec, -1
; %bb.3907:
	s_or_b64 exec, exec, s[8:9]
	s_and_b64 s[4:5], s[4:5], exec
	s_or_saveexec_b64 s[6:7], s[6:7]
	v_mov_b32_e32 v8, s10
	s_xor_b64 exec, exec, s[6:7]
	s_cbranch_execz .LBB55_1858
.LBB55_3908:
	v_mov_b32_e32 v8, 0
	v_cmp_ne_u16_sdwa s[8:9], v14, v8 src0_sel:BYTE_0 src1_sel:DWORD
	s_andn2_b64 s[4:5], s[4:5], exec
	s_and_b64 s[8:9], s[8:9], exec
	s_or_b64 s[4:5], s[4:5], s[8:9]
	s_or_b64 exec, exec, s[6:7]
	s_and_saveexec_b64 s[6:7], s[4:5]
	s_cbranch_execnz .LBB55_1859
	s_branch .LBB55_1860
.LBB55_3909:
	s_movk_i32 s4, 0x80
	v_cmp_eq_u16_sdwa s[12:13], v10, s4 src0_sel:BYTE_0 src1_sel:DWORD
	s_mov_b64 s[4:5], -1
                                        ; implicit-def: $sgpr10
	s_and_saveexec_b64 s[8:9], s[12:13]
; %bb.3910:
	s_mov_b32 s10, 0x7f800001
	s_xor_b64 s[4:5], exec, -1
; %bb.3911:
	s_or_b64 exec, exec, s[8:9]
	s_and_b64 s[4:5], s[4:5], exec
	s_or_saveexec_b64 s[6:7], s[6:7]
	v_mov_b32_e32 v9, s10
	s_xor_b64 exec, exec, s[6:7]
	s_cbranch_execz .LBB55_1862
.LBB55_3912:
	v_mov_b32_e32 v9, 0
	v_cmp_ne_u16_sdwa s[8:9], v10, v9 src0_sel:BYTE_0 src1_sel:DWORD
	s_andn2_b64 s[4:5], s[4:5], exec
	s_and_b64 s[8:9], s[8:9], exec
	s_or_b64 s[4:5], s[4:5], s[8:9]
	s_or_b64 exec, exec, s[6:7]
	s_and_saveexec_b64 s[6:7], s[4:5]
	s_cbranch_execnz .LBB55_1863
	s_branch .LBB55_1864
.LBB55_3913:
	s_movk_i32 s4, 0x80
	v_cmp_eq_u16_sdwa s[12:13], v9, s4 src0_sel:BYTE_0 src1_sel:DWORD
	s_mov_b64 s[4:5], -1
                                        ; implicit-def: $sgpr10
	s_and_saveexec_b64 s[8:9], s[12:13]
; %bb.3914:
	s_mov_b32 s10, 0x7f800001
	s_xor_b64 s[4:5], exec, -1
; %bb.3915:
	s_or_b64 exec, exec, s[8:9]
	s_and_b64 s[4:5], s[4:5], exec
	s_or_saveexec_b64 s[6:7], s[6:7]
	v_mov_b32_e32 v8, s10
	s_xor_b64 exec, exec, s[6:7]
	s_cbranch_execz .LBB55_1866
.LBB55_3916:
	v_mov_b32_e32 v8, 0
	v_cmp_ne_u16_sdwa s[8:9], v9, v8 src0_sel:BYTE_0 src1_sel:DWORD
	s_andn2_b64 s[4:5], s[4:5], exec
	s_and_b64 s[8:9], s[8:9], exec
	s_or_b64 s[4:5], s[4:5], s[8:9]
	s_or_b64 exec, exec, s[6:7]
	s_and_saveexec_b64 s[6:7], s[4:5]
	s_cbranch_execnz .LBB55_1867
	s_branch .LBB55_1868
.LBB55_3917:
	s_movk_i32 s4, 0x80
	v_cmp_eq_u16_sdwa s[12:13], v9, s4 src0_sel:BYTE_0 src1_sel:DWORD
	s_mov_b64 s[4:5], -1
                                        ; implicit-def: $sgpr10
	s_and_saveexec_b64 s[8:9], s[12:13]
; %bb.3918:
	s_mov_b32 s10, 0x7f800001
	s_xor_b64 s[4:5], exec, -1
; %bb.3919:
	s_or_b64 exec, exec, s[8:9]
	s_and_b64 s[4:5], s[4:5], exec
	s_or_saveexec_b64 s[6:7], s[6:7]
	v_mov_b32_e32 v12, s10
	s_xor_b64 exec, exec, s[6:7]
	s_cbranch_execz .LBB55_1870
.LBB55_3920:
	v_mov_b32_e32 v12, 0
	v_cmp_ne_u16_sdwa s[8:9], v9, v12 src0_sel:BYTE_0 src1_sel:DWORD
	s_andn2_b64 s[4:5], s[4:5], exec
	s_and_b64 s[8:9], s[8:9], exec
	s_or_b64 s[4:5], s[4:5], s[8:9]
	s_or_b64 exec, exec, s[6:7]
	s_and_saveexec_b64 s[6:7], s[4:5]
	s_cbranch_execnz .LBB55_1871
	s_branch .LBB55_1872
.LBB55_3921:
	s_movk_i32 s4, 0x80
	v_cmp_eq_u16_e32 vcc, s4, v9
	s_mov_b64 s[4:5], -1
                                        ; implicit-def: $sgpr10
	s_and_saveexec_b64 s[8:9], vcc
; %bb.3922:
	s_mov_b32 s10, 0x7f800001
	s_xor_b64 s[4:5], exec, -1
; %bb.3923:
	s_or_b64 exec, exec, s[8:9]
	s_and_b64 s[4:5], s[4:5], exec
                                        ; implicit-def: $vgpr9
	s_or_saveexec_b64 s[6:7], s[6:7]
	v_mov_b32_e32 v8, s10
	s_xor_b64 exec, exec, s[6:7]
	s_cbranch_execz .LBB55_1874
.LBB55_3924:
	v_cmp_ne_u16_e32 vcc, 0, v9
	s_andn2_b64 s[4:5], s[4:5], exec
	s_and_b64 s[8:9], vcc, exec
	v_mov_b32_e32 v8, 0
	s_or_b64 s[4:5], s[4:5], s[8:9]
	s_or_b64 exec, exec, s[6:7]
	s_and_saveexec_b64 s[6:7], s[4:5]
	s_cbranch_execnz .LBB55_1875
	s_branch .LBB55_1876
.LBB55_3925:
	s_movk_i32 s4, 0x80
	v_cmp_eq_u16_e32 vcc, s4, v9
	s_mov_b64 s[4:5], -1
                                        ; implicit-def: $sgpr10
	s_and_saveexec_b64 s[8:9], vcc
; %bb.3926:
	s_mov_b32 s10, 0x7f800001
	s_xor_b64 s[4:5], exec, -1
; %bb.3927:
	s_or_b64 exec, exec, s[8:9]
	s_and_b64 s[4:5], s[4:5], exec
                                        ; implicit-def: $vgpr9
	s_or_saveexec_b64 s[6:7], s[6:7]
	v_mov_b32_e32 v12, s10
	s_xor_b64 exec, exec, s[6:7]
	s_cbranch_execz .LBB55_1878
.LBB55_3928:
	v_cmp_ne_u16_e32 vcc, 0, v9
	s_andn2_b64 s[4:5], s[4:5], exec
	s_and_b64 s[8:9], vcc, exec
	v_mov_b32_e32 v12, 0
	s_or_b64 s[4:5], s[4:5], s[8:9]
	s_or_b64 exec, exec, s[6:7]
	s_and_saveexec_b64 s[6:7], s[4:5]
	s_cbranch_execnz .LBB55_1879
	s_branch .LBB55_1880
.LBB55_3929:
	s_movk_i32 s4, 0x80
	v_cmp_eq_u16_sdwa s[12:13], v14, s4 src0_sel:BYTE_3 src1_sel:DWORD
	s_mov_b64 s[4:5], -1
                                        ; implicit-def: $sgpr10
	s_and_saveexec_b64 s[8:9], s[12:13]
; %bb.3930:
	s_mov_b32 s10, 0x7f800001
	s_xor_b64 s[4:5], exec, -1
; %bb.3931:
	s_or_b64 exec, exec, s[8:9]
	s_and_b64 s[4:5], s[4:5], exec
	s_or_saveexec_b64 s[6:7], s[6:7]
	v_mov_b32_e32 v8, s10
	s_xor_b64 exec, exec, s[6:7]
	s_cbranch_execz .LBB55_1882
.LBB55_3932:
	v_mov_b32_e32 v8, 0
	v_cmp_ne_u16_sdwa s[8:9], v14, v8 src0_sel:BYTE_3 src1_sel:DWORD
	s_andn2_b64 s[4:5], s[4:5], exec
	s_and_b64 s[8:9], s[8:9], exec
	s_or_b64 s[4:5], s[4:5], s[8:9]
	s_or_b64 exec, exec, s[6:7]
	s_and_saveexec_b64 s[6:7], s[4:5]
	s_cbranch_execnz .LBB55_1883
	s_branch .LBB55_1884
.LBB55_3933:
	s_movk_i32 s4, 0x80
	v_cmp_eq_u16_sdwa s[12:13], v10, s4 src0_sel:BYTE_3 src1_sel:DWORD
	s_mov_b64 s[4:5], -1
                                        ; implicit-def: $sgpr10
	s_and_saveexec_b64 s[8:9], s[12:13]
; %bb.3934:
	s_mov_b32 s10, 0x7f800001
	s_xor_b64 s[4:5], exec, -1
; %bb.3935:
	s_or_b64 exec, exec, s[8:9]
	s_and_b64 s[4:5], s[4:5], exec
	s_or_saveexec_b64 s[6:7], s[6:7]
	v_mov_b32_e32 v9, s10
	s_xor_b64 exec, exec, s[6:7]
	s_cbranch_execz .LBB55_1886
.LBB55_3936:
	v_mov_b32_e32 v9, 0
	v_cmp_ne_u16_sdwa s[8:9], v10, v9 src0_sel:BYTE_3 src1_sel:DWORD
	s_andn2_b64 s[4:5], s[4:5], exec
	s_and_b64 s[8:9], s[8:9], exec
	s_or_b64 s[4:5], s[4:5], s[8:9]
	s_or_b64 exec, exec, s[6:7]
	s_and_saveexec_b64 s[6:7], s[4:5]
	s_cbranch_execnz .LBB55_1887
	s_branch .LBB55_1888
.LBB55_3937:
	s_movk_i32 s4, 0x80
	v_cmp_eq_u16_sdwa s[12:13], v15, s4 src0_sel:BYTE_0 src1_sel:DWORD
	s_mov_b64 s[4:5], -1
                                        ; implicit-def: $sgpr10
	s_and_saveexec_b64 s[8:9], s[12:13]
; %bb.3938:
	s_mov_b32 s10, 0x7f800001
	s_xor_b64 s[4:5], exec, -1
; %bb.3939:
	s_or_b64 exec, exec, s[8:9]
	s_and_b64 s[4:5], s[4:5], exec
	s_or_saveexec_b64 s[6:7], s[6:7]
	v_mov_b32_e32 v8, s10
	s_xor_b64 exec, exec, s[6:7]
	s_cbranch_execz .LBB55_1890
.LBB55_3940:
	v_mov_b32_e32 v8, 0
	v_cmp_ne_u16_sdwa s[8:9], v15, v8 src0_sel:BYTE_0 src1_sel:DWORD
	s_andn2_b64 s[4:5], s[4:5], exec
	s_and_b64 s[8:9], s[8:9], exec
	s_or_b64 s[4:5], s[4:5], s[8:9]
	s_or_b64 exec, exec, s[6:7]
	s_and_saveexec_b64 s[6:7], s[4:5]
	s_cbranch_execnz .LBB55_1891
	s_branch .LBB55_1892
.LBB55_3941:
	s_movk_i32 s4, 0x80
	v_cmp_eq_u16_sdwa s[12:13], v11, s4 src0_sel:BYTE_0 src1_sel:DWORD
	s_mov_b64 s[4:5], -1
                                        ; implicit-def: $sgpr10
	s_and_saveexec_b64 s[8:9], s[12:13]
; %bb.3942:
	s_mov_b32 s10, 0x7f800001
	s_xor_b64 s[4:5], exec, -1
; %bb.3943:
	s_or_b64 exec, exec, s[8:9]
	s_and_b64 s[4:5], s[4:5], exec
	s_or_saveexec_b64 s[6:7], s[6:7]
	v_mov_b32_e32 v9, s10
	s_xor_b64 exec, exec, s[6:7]
	s_cbranch_execz .LBB55_1894
.LBB55_3944:
	v_mov_b32_e32 v9, 0
	v_cmp_ne_u16_sdwa s[8:9], v11, v9 src0_sel:BYTE_0 src1_sel:DWORD
	s_andn2_b64 s[4:5], s[4:5], exec
	s_and_b64 s[8:9], s[8:9], exec
	s_or_b64 s[4:5], s[4:5], s[8:9]
	s_or_b64 exec, exec, s[6:7]
	s_and_saveexec_b64 s[6:7], s[4:5]
	s_cbranch_execnz .LBB55_1895
	s_branch .LBB55_1896
.LBB55_3945:
	s_movk_i32 s4, 0x80
	v_cmp_eq_u16_sdwa s[12:13], v9, s4 src0_sel:BYTE_0 src1_sel:DWORD
	s_mov_b64 s[4:5], -1
                                        ; implicit-def: $sgpr10
	s_and_saveexec_b64 s[8:9], s[12:13]
; %bb.3946:
	s_mov_b32 s10, 0x7f800001
	s_xor_b64 s[4:5], exec, -1
; %bb.3947:
	s_or_b64 exec, exec, s[8:9]
	s_and_b64 s[4:5], s[4:5], exec
	s_or_saveexec_b64 s[6:7], s[6:7]
	v_mov_b32_e32 v8, s10
	s_xor_b64 exec, exec, s[6:7]
	s_cbranch_execz .LBB55_1898
.LBB55_3948:
	v_mov_b32_e32 v8, 0
	v_cmp_ne_u16_sdwa s[8:9], v9, v8 src0_sel:BYTE_0 src1_sel:DWORD
	s_andn2_b64 s[4:5], s[4:5], exec
	s_and_b64 s[8:9], s[8:9], exec
	s_or_b64 s[4:5], s[4:5], s[8:9]
	s_or_b64 exec, exec, s[6:7]
	s_and_saveexec_b64 s[6:7], s[4:5]
	s_cbranch_execnz .LBB55_1899
	s_branch .LBB55_1900
.LBB55_3949:
	s_movk_i32 s4, 0x80
	v_cmp_eq_u16_sdwa s[12:13], v9, s4 src0_sel:BYTE_0 src1_sel:DWORD
	s_mov_b64 s[4:5], -1
                                        ; implicit-def: $sgpr10
	s_and_saveexec_b64 s[8:9], s[12:13]
; %bb.3950:
	s_mov_b32 s10, 0x7f800001
	s_xor_b64 s[4:5], exec, -1
; %bb.3951:
	s_or_b64 exec, exec, s[8:9]
	s_and_b64 s[4:5], s[4:5], exec
	s_or_saveexec_b64 s[6:7], s[6:7]
	v_mov_b32_e32 v10, s10
	s_xor_b64 exec, exec, s[6:7]
	s_cbranch_execz .LBB55_1902
.LBB55_3952:
	v_mov_b32_e32 v10, 0
	v_cmp_ne_u16_sdwa s[8:9], v9, v10 src0_sel:BYTE_0 src1_sel:DWORD
	s_andn2_b64 s[4:5], s[4:5], exec
	s_and_b64 s[8:9], s[8:9], exec
	s_or_b64 s[4:5], s[4:5], s[8:9]
	s_or_b64 exec, exec, s[6:7]
	s_and_saveexec_b64 s[6:7], s[4:5]
	s_cbranch_execnz .LBB55_1903
	s_branch .LBB55_1904
.LBB55_3953:
	s_movk_i32 s4, 0x80
	v_cmp_eq_u16_e32 vcc, s4, v9
	s_mov_b64 s[4:5], -1
                                        ; implicit-def: $sgpr10
	s_and_saveexec_b64 s[8:9], vcc
; %bb.3954:
	s_mov_b32 s10, 0x7f800001
	s_xor_b64 s[4:5], exec, -1
; %bb.3955:
	s_or_b64 exec, exec, s[8:9]
	s_and_b64 s[4:5], s[4:5], exec
                                        ; implicit-def: $vgpr9
	s_or_saveexec_b64 s[6:7], s[6:7]
	v_mov_b32_e32 v8, s10
	s_xor_b64 exec, exec, s[6:7]
	s_cbranch_execz .LBB55_1906
.LBB55_3956:
	v_cmp_ne_u16_e32 vcc, 0, v9
	s_andn2_b64 s[4:5], s[4:5], exec
	s_and_b64 s[8:9], vcc, exec
	v_mov_b32_e32 v8, 0
	s_or_b64 s[4:5], s[4:5], s[8:9]
	s_or_b64 exec, exec, s[6:7]
	s_and_saveexec_b64 s[6:7], s[4:5]
	s_cbranch_execnz .LBB55_1907
	s_branch .LBB55_1908
.LBB55_3957:
	s_movk_i32 s4, 0x80
	v_cmp_eq_u16_e32 vcc, s4, v9
	s_mov_b64 s[4:5], -1
                                        ; implicit-def: $sgpr10
	s_and_saveexec_b64 s[8:9], vcc
; %bb.3958:
	s_mov_b32 s10, 0x7f800001
	s_xor_b64 s[4:5], exec, -1
; %bb.3959:
	s_or_b64 exec, exec, s[8:9]
	s_and_b64 s[4:5], s[4:5], exec
                                        ; implicit-def: $vgpr9
	s_or_saveexec_b64 s[6:7], s[6:7]
	v_mov_b32_e32 v10, s10
	s_xor_b64 exec, exec, s[6:7]
	s_cbranch_execz .LBB55_1910
.LBB55_3960:
	v_cmp_ne_u16_e32 vcc, 0, v9
	s_andn2_b64 s[4:5], s[4:5], exec
	s_and_b64 s[8:9], vcc, exec
	v_mov_b32_e32 v10, 0
	s_or_b64 s[4:5], s[4:5], s[8:9]
	s_or_b64 exec, exec, s[6:7]
	s_and_saveexec_b64 s[6:7], s[4:5]
	s_cbranch_execnz .LBB55_1911
	s_branch .LBB55_1912
.LBB55_3961:
	s_movk_i32 s4, 0x80
	v_cmp_eq_u16_sdwa s[12:13], v15, s4 src0_sel:BYTE_3 src1_sel:DWORD
	s_mov_b64 s[4:5], -1
                                        ; implicit-def: $sgpr10
	s_and_saveexec_b64 s[8:9], s[12:13]
; %bb.3962:
	s_mov_b32 s10, 0x7f800001
	s_xor_b64 s[4:5], exec, -1
; %bb.3963:
	s_or_b64 exec, exec, s[8:9]
	s_and_b64 s[4:5], s[4:5], exec
	s_or_saveexec_b64 s[6:7], s[6:7]
	v_mov_b32_e32 v8, s10
	s_xor_b64 exec, exec, s[6:7]
	s_cbranch_execz .LBB55_1914
.LBB55_3964:
	v_mov_b32_e32 v8, 0
	v_cmp_ne_u16_sdwa s[8:9], v15, v8 src0_sel:BYTE_3 src1_sel:DWORD
	s_andn2_b64 s[4:5], s[4:5], exec
	s_and_b64 s[8:9], s[8:9], exec
	s_or_b64 s[4:5], s[4:5], s[8:9]
	s_or_b64 exec, exec, s[6:7]
	s_and_saveexec_b64 s[6:7], s[4:5]
	s_cbranch_execnz .LBB55_1915
	s_branch .LBB55_1916
.LBB55_3965:
	s_movk_i32 s4, 0x80
	v_cmp_eq_u16_sdwa s[12:13], v11, s4 src0_sel:BYTE_3 src1_sel:DWORD
	s_mov_b64 s[4:5], -1
                                        ; implicit-def: $sgpr10
	s_and_saveexec_b64 s[8:9], s[12:13]
; %bb.3966:
	s_mov_b32 s10, 0x7f800001
	s_xor_b64 s[4:5], exec, -1
; %bb.3967:
	s_or_b64 exec, exec, s[8:9]
	s_and_b64 s[4:5], s[4:5], exec
	s_or_saveexec_b64 s[6:7], s[6:7]
	v_mov_b32_e32 v9, s10
	s_xor_b64 exec, exec, s[6:7]
	s_cbranch_execz .LBB55_1918
.LBB55_3968:
	v_mov_b32_e32 v9, 0
	v_cmp_ne_u16_sdwa s[8:9], v11, v9 src0_sel:BYTE_3 src1_sel:DWORD
	s_andn2_b64 s[4:5], s[4:5], exec
	s_and_b64 s[8:9], s[8:9], exec
	s_or_b64 s[4:5], s[4:5], s[8:9]
	s_or_b64 exec, exec, s[6:7]
	s_and_saveexec_b64 s[6:7], s[4:5]
	s_cbranch_execnz .LBB55_1919
	s_branch .LBB55_1920
.LBB55_3969:
	s_movk_i32 s4, 0x80
	v_cmp_eq_u16_sdwa s[12:13], v4, s4 src0_sel:BYTE_0 src1_sel:DWORD
	s_mov_b64 s[4:5], -1
                                        ; implicit-def: $sgpr10
	s_and_saveexec_b64 s[8:9], s[12:13]
; %bb.3970:
	s_mov_b32 s10, 0x7f800001
	s_xor_b64 s[4:5], exec, -1
; %bb.3971:
	s_or_b64 exec, exec, s[8:9]
	s_and_b64 s[4:5], s[4:5], exec
	s_or_saveexec_b64 s[6:7], s[6:7]
	v_mov_b32_e32 v8, s10
	s_xor_b64 exec, exec, s[6:7]
	s_cbranch_execz .LBB55_1922
.LBB55_3972:
	v_mov_b32_e32 v8, 0
	v_cmp_ne_u16_sdwa s[8:9], v4, v8 src0_sel:BYTE_0 src1_sel:DWORD
	s_andn2_b64 s[4:5], s[4:5], exec
	s_and_b64 s[8:9], s[8:9], exec
	s_or_b64 s[4:5], s[4:5], s[8:9]
	s_or_b64 exec, exec, s[6:7]
	s_and_saveexec_b64 s[6:7], s[4:5]
	s_cbranch_execnz .LBB55_1923
	s_branch .LBB55_1924
.LBB55_3973:
	s_movk_i32 s4, 0x80
	v_cmp_eq_u16_sdwa s[12:13], v0, s4 src0_sel:BYTE_0 src1_sel:DWORD
	s_mov_b64 s[4:5], -1
                                        ; implicit-def: $sgpr10
	s_and_saveexec_b64 s[8:9], s[12:13]
; %bb.3974:
	s_mov_b32 s10, 0x7f800001
	s_xor_b64 s[4:5], exec, -1
; %bb.3975:
	s_or_b64 exec, exec, s[8:9]
	s_and_b64 s[4:5], s[4:5], exec
	s_or_saveexec_b64 s[6:7], s[6:7]
	v_mov_b32_e32 v9, s10
	s_xor_b64 exec, exec, s[6:7]
	s_cbranch_execz .LBB55_1926
.LBB55_3976:
	v_mov_b32_e32 v9, 0
	v_cmp_ne_u16_sdwa s[8:9], v0, v9 src0_sel:BYTE_0 src1_sel:DWORD
	s_andn2_b64 s[4:5], s[4:5], exec
	s_and_b64 s[8:9], s[8:9], exec
	s_or_b64 s[4:5], s[4:5], s[8:9]
	s_or_b64 exec, exec, s[6:7]
	s_and_saveexec_b64 s[6:7], s[4:5]
	s_cbranch_execnz .LBB55_1927
	s_branch .LBB55_1928
.LBB55_3977:
	s_movk_i32 s4, 0x80
	v_cmp_eq_u16_sdwa s[12:13], v9, s4 src0_sel:BYTE_0 src1_sel:DWORD
	s_mov_b64 s[4:5], -1
                                        ; implicit-def: $sgpr10
	s_and_saveexec_b64 s[8:9], s[12:13]
; %bb.3978:
	s_mov_b32 s10, 0x7f800001
	s_xor_b64 s[4:5], exec, -1
; %bb.3979:
	s_or_b64 exec, exec, s[8:9]
	s_and_b64 s[4:5], s[4:5], exec
	s_or_saveexec_b64 s[6:7], s[6:7]
	v_mov_b32_e32 v8, s10
	s_xor_b64 exec, exec, s[6:7]
	s_cbranch_execz .LBB55_1930
.LBB55_3980:
	v_mov_b32_e32 v8, 0
	v_cmp_ne_u16_sdwa s[8:9], v9, v8 src0_sel:BYTE_0 src1_sel:DWORD
	s_andn2_b64 s[4:5], s[4:5], exec
	s_and_b64 s[8:9], s[8:9], exec
	s_or_b64 s[4:5], s[4:5], s[8:9]
	s_or_b64 exec, exec, s[6:7]
	s_and_saveexec_b64 s[6:7], s[4:5]
	s_cbranch_execnz .LBB55_1931
	s_branch .LBB55_1932
.LBB55_3981:
	s_movk_i32 s4, 0x80
	v_cmp_eq_u16_sdwa s[12:13], v9, s4 src0_sel:BYTE_0 src1_sel:DWORD
	s_mov_b64 s[4:5], -1
                                        ; implicit-def: $sgpr10
	s_and_saveexec_b64 s[8:9], s[12:13]
; %bb.3982:
	s_mov_b32 s10, 0x7f800001
	s_xor_b64 s[4:5], exec, -1
; %bb.3983:
	s_or_b64 exec, exec, s[8:9]
	s_and_b64 s[4:5], s[4:5], exec
	s_or_saveexec_b64 s[6:7], s[6:7]
	v_mov_b32_e32 v10, s10
	s_xor_b64 exec, exec, s[6:7]
	s_cbranch_execz .LBB55_1934
.LBB55_3984:
	v_mov_b32_e32 v10, 0
	v_cmp_ne_u16_sdwa s[8:9], v9, v10 src0_sel:BYTE_0 src1_sel:DWORD
	s_andn2_b64 s[4:5], s[4:5], exec
	s_and_b64 s[8:9], s[8:9], exec
	s_or_b64 s[4:5], s[4:5], s[8:9]
	s_or_b64 exec, exec, s[6:7]
	s_and_saveexec_b64 s[6:7], s[4:5]
	s_cbranch_execnz .LBB55_1935
	s_branch .LBB55_1936
.LBB55_3985:
	s_movk_i32 s4, 0x80
	v_cmp_eq_u16_e32 vcc, s4, v9
	s_mov_b64 s[4:5], -1
                                        ; implicit-def: $sgpr10
	s_and_saveexec_b64 s[8:9], vcc
; %bb.3986:
	s_mov_b32 s10, 0x7f800001
	s_xor_b64 s[4:5], exec, -1
; %bb.3987:
	s_or_b64 exec, exec, s[8:9]
	s_and_b64 s[4:5], s[4:5], exec
                                        ; implicit-def: $vgpr9
	s_or_saveexec_b64 s[6:7], s[6:7]
	v_mov_b32_e32 v8, s10
	s_xor_b64 exec, exec, s[6:7]
	s_cbranch_execz .LBB55_1938
.LBB55_3988:
	v_cmp_ne_u16_e32 vcc, 0, v9
	s_andn2_b64 s[4:5], s[4:5], exec
	s_and_b64 s[8:9], vcc, exec
	v_mov_b32_e32 v8, 0
	s_or_b64 s[4:5], s[4:5], s[8:9]
	s_or_b64 exec, exec, s[6:7]
	s_and_saveexec_b64 s[6:7], s[4:5]
	s_cbranch_execnz .LBB55_1939
	s_branch .LBB55_1940
.LBB55_3989:
	s_movk_i32 s4, 0x80
	v_cmp_eq_u16_e32 vcc, s4, v9
	s_mov_b64 s[4:5], -1
                                        ; implicit-def: $sgpr10
	s_and_saveexec_b64 s[8:9], vcc
; %bb.3990:
	s_mov_b32 s10, 0x7f800001
	s_xor_b64 s[4:5], exec, -1
; %bb.3991:
	s_or_b64 exec, exec, s[8:9]
	s_and_b64 s[4:5], s[4:5], exec
                                        ; implicit-def: $vgpr9
	s_or_saveexec_b64 s[6:7], s[6:7]
	v_mov_b32_e32 v10, s10
	s_xor_b64 exec, exec, s[6:7]
	s_cbranch_execz .LBB55_1942
.LBB55_3992:
	v_cmp_ne_u16_e32 vcc, 0, v9
	s_andn2_b64 s[4:5], s[4:5], exec
	s_and_b64 s[8:9], vcc, exec
	v_mov_b32_e32 v10, 0
	s_or_b64 s[4:5], s[4:5], s[8:9]
	s_or_b64 exec, exec, s[6:7]
	s_and_saveexec_b64 s[6:7], s[4:5]
	s_cbranch_execnz .LBB55_1943
	s_branch .LBB55_1944
.LBB55_3993:
	s_movk_i32 s4, 0x80
	v_cmp_eq_u16_sdwa s[12:13], v4, s4 src0_sel:BYTE_3 src1_sel:DWORD
	s_mov_b64 s[4:5], -1
                                        ; implicit-def: $sgpr10
	s_and_saveexec_b64 s[8:9], s[12:13]
; %bb.3994:
	s_mov_b32 s10, 0x7f800001
	s_xor_b64 s[4:5], exec, -1
; %bb.3995:
	s_or_b64 exec, exec, s[8:9]
	s_and_b64 s[4:5], s[4:5], exec
	s_or_saveexec_b64 s[6:7], s[6:7]
	v_mov_b32_e32 v8, s10
	s_xor_b64 exec, exec, s[6:7]
	s_cbranch_execz .LBB55_1946
.LBB55_3996:
	v_mov_b32_e32 v8, 0
	v_cmp_ne_u16_sdwa s[8:9], v4, v8 src0_sel:BYTE_3 src1_sel:DWORD
	s_andn2_b64 s[4:5], s[4:5], exec
	s_and_b64 s[8:9], s[8:9], exec
	s_or_b64 s[4:5], s[4:5], s[8:9]
	s_or_b64 exec, exec, s[6:7]
	s_and_saveexec_b64 s[6:7], s[4:5]
	s_cbranch_execnz .LBB55_1947
	s_branch .LBB55_1948
.LBB55_3997:
	s_movk_i32 s4, 0x80
	v_cmp_eq_u16_sdwa s[12:13], v0, s4 src0_sel:BYTE_3 src1_sel:DWORD
	s_mov_b64 s[4:5], -1
                                        ; implicit-def: $sgpr10
	s_and_saveexec_b64 s[8:9], s[12:13]
; %bb.3998:
	s_mov_b32 s10, 0x7f800001
	s_xor_b64 s[4:5], exec, -1
; %bb.3999:
	s_or_b64 exec, exec, s[8:9]
	s_and_b64 s[4:5], s[4:5], exec
	s_or_saveexec_b64 s[6:7], s[6:7]
	v_mov_b32_e32 v4, s10
	s_xor_b64 exec, exec, s[6:7]
	s_cbranch_execz .LBB55_1950
.LBB55_4000:
	v_mov_b32_e32 v4, 0
	v_cmp_ne_u16_sdwa s[8:9], v0, v4 src0_sel:BYTE_3 src1_sel:DWORD
	s_andn2_b64 s[4:5], s[4:5], exec
	s_and_b64 s[8:9], s[8:9], exec
	s_or_b64 s[4:5], s[4:5], s[8:9]
	s_or_b64 exec, exec, s[6:7]
	s_and_saveexec_b64 s[6:7], s[4:5]
	s_cbranch_execnz .LBB55_1951
	s_branch .LBB55_1952
.LBB55_4001:
	s_movk_i32 s4, 0x80
	v_cmp_eq_u16_sdwa s[12:13], v5, s4 src0_sel:BYTE_0 src1_sel:DWORD
	s_mov_b64 s[4:5], -1
                                        ; implicit-def: $sgpr10
	s_and_saveexec_b64 s[8:9], s[12:13]
; %bb.4002:
	s_mov_b32 s10, 0x7f800001
	s_xor_b64 s[4:5], exec, -1
; %bb.4003:
	s_or_b64 exec, exec, s[8:9]
	s_and_b64 s[4:5], s[4:5], exec
	s_or_saveexec_b64 s[6:7], s[6:7]
	v_mov_b32_e32 v0, s10
	s_xor_b64 exec, exec, s[6:7]
	s_cbranch_execz .LBB55_1954
.LBB55_4004:
	v_mov_b32_e32 v0, 0
	v_cmp_ne_u16_sdwa s[8:9], v5, v0 src0_sel:BYTE_0 src1_sel:DWORD
	s_andn2_b64 s[4:5], s[4:5], exec
	s_and_b64 s[8:9], s[8:9], exec
	s_or_b64 s[4:5], s[4:5], s[8:9]
	s_or_b64 exec, exec, s[6:7]
	s_and_saveexec_b64 s[6:7], s[4:5]
	s_cbranch_execnz .LBB55_1955
	s_branch .LBB55_1956
.LBB55_4005:
	s_movk_i32 s4, 0x80
	v_cmp_eq_u16_sdwa s[12:13], v1, s4 src0_sel:BYTE_0 src1_sel:DWORD
	s_mov_b64 s[4:5], -1
                                        ; implicit-def: $sgpr10
	s_and_saveexec_b64 s[8:9], s[12:13]
; %bb.4006:
	s_mov_b32 s10, 0x7f800001
	s_xor_b64 s[4:5], exec, -1
; %bb.4007:
	s_or_b64 exec, exec, s[8:9]
	s_and_b64 s[4:5], s[4:5], exec
	s_or_saveexec_b64 s[6:7], s[6:7]
	v_mov_b32_e32 v4, s10
	s_xor_b64 exec, exec, s[6:7]
	s_cbranch_execz .LBB55_1958
.LBB55_4008:
	v_mov_b32_e32 v4, 0
	v_cmp_ne_u16_sdwa s[8:9], v1, v4 src0_sel:BYTE_0 src1_sel:DWORD
	s_andn2_b64 s[4:5], s[4:5], exec
	s_and_b64 s[8:9], s[8:9], exec
	s_or_b64 s[4:5], s[4:5], s[8:9]
	s_or_b64 exec, exec, s[6:7]
	s_and_saveexec_b64 s[6:7], s[4:5]
	s_cbranch_execnz .LBB55_1959
	s_branch .LBB55_1960
.LBB55_4009:
	s_movk_i32 s4, 0x80
	v_cmp_eq_u16_sdwa s[12:13], v4, s4 src0_sel:BYTE_0 src1_sel:DWORD
	s_mov_b64 s[4:5], -1
                                        ; implicit-def: $sgpr10
	s_and_saveexec_b64 s[8:9], s[12:13]
; %bb.4010:
	s_mov_b32 s10, 0x7f800001
	s_xor_b64 s[4:5], exec, -1
; %bb.4011:
	s_or_b64 exec, exec, s[8:9]
	s_and_b64 s[4:5], s[4:5], exec
	s_or_saveexec_b64 s[6:7], s[6:7]
	v_mov_b32_e32 v0, s10
	s_xor_b64 exec, exec, s[6:7]
	s_cbranch_execz .LBB55_1962
.LBB55_4012:
	v_mov_b32_e32 v0, 0
	v_cmp_ne_u16_sdwa s[8:9], v4, v0 src0_sel:BYTE_0 src1_sel:DWORD
	s_andn2_b64 s[4:5], s[4:5], exec
	s_and_b64 s[8:9], s[8:9], exec
	s_or_b64 s[4:5], s[4:5], s[8:9]
	s_or_b64 exec, exec, s[6:7]
	s_and_saveexec_b64 s[6:7], s[4:5]
	s_cbranch_execnz .LBB55_1963
	s_branch .LBB55_1964
.LBB55_4013:
	s_movk_i32 s4, 0x80
	v_cmp_eq_u16_sdwa s[12:13], v4, s4 src0_sel:BYTE_0 src1_sel:DWORD
	s_mov_b64 s[4:5], -1
                                        ; implicit-def: $sgpr10
	s_and_saveexec_b64 s[8:9], s[12:13]
; %bb.4014:
	s_mov_b32 s10, 0x7f800001
	s_xor_b64 s[4:5], exec, -1
; %bb.4015:
	s_or_b64 exec, exec, s[8:9]
	s_and_b64 s[4:5], s[4:5], exec
	s_or_saveexec_b64 s[6:7], s[6:7]
	v_mov_b32_e32 v8, s10
	s_xor_b64 exec, exec, s[6:7]
	s_cbranch_execz .LBB55_1966
.LBB55_4016:
	v_mov_b32_e32 v8, 0
	v_cmp_ne_u16_sdwa s[8:9], v4, v8 src0_sel:BYTE_0 src1_sel:DWORD
	s_andn2_b64 s[4:5], s[4:5], exec
	s_and_b64 s[8:9], s[8:9], exec
	s_or_b64 s[4:5], s[4:5], s[8:9]
	s_or_b64 exec, exec, s[6:7]
	s_and_saveexec_b64 s[6:7], s[4:5]
	s_cbranch_execnz .LBB55_1967
	s_branch .LBB55_1968
.LBB55_4017:
	s_movk_i32 s4, 0x80
	v_cmp_eq_u16_e32 vcc, s4, v4
	s_mov_b64 s[4:5], -1
                                        ; implicit-def: $sgpr10
	s_and_saveexec_b64 s[8:9], vcc
; %bb.4018:
	s_mov_b32 s10, 0x7f800001
	s_xor_b64 s[4:5], exec, -1
; %bb.4019:
	s_or_b64 exec, exec, s[8:9]
	s_and_b64 s[4:5], s[4:5], exec
                                        ; implicit-def: $vgpr4
	s_or_saveexec_b64 s[6:7], s[6:7]
	v_mov_b32_e32 v0, s10
	s_xor_b64 exec, exec, s[6:7]
	s_cbranch_execz .LBB55_1970
.LBB55_4020:
	v_cmp_ne_u16_e32 vcc, 0, v4
	s_andn2_b64 s[4:5], s[4:5], exec
	s_and_b64 s[8:9], vcc, exec
	v_mov_b32_e32 v0, 0
	s_or_b64 s[4:5], s[4:5], s[8:9]
	s_or_b64 exec, exec, s[6:7]
	s_and_saveexec_b64 s[6:7], s[4:5]
	s_cbranch_execnz .LBB55_1971
	s_branch .LBB55_1972
.LBB55_4021:
	s_movk_i32 s4, 0x80
	v_cmp_eq_u16_e32 vcc, s4, v4
	s_mov_b64 s[4:5], -1
                                        ; implicit-def: $sgpr10
	s_and_saveexec_b64 s[8:9], vcc
; %bb.4022:
	s_mov_b32 s10, 0x7f800001
	s_xor_b64 s[4:5], exec, -1
; %bb.4023:
	s_or_b64 exec, exec, s[8:9]
	s_and_b64 s[4:5], s[4:5], exec
                                        ; implicit-def: $vgpr4
	s_or_saveexec_b64 s[6:7], s[6:7]
	v_mov_b32_e32 v8, s10
	s_xor_b64 exec, exec, s[6:7]
	s_cbranch_execz .LBB55_1974
.LBB55_4024:
	v_cmp_ne_u16_e32 vcc, 0, v4
	s_andn2_b64 s[4:5], s[4:5], exec
	s_and_b64 s[8:9], vcc, exec
	v_mov_b32_e32 v8, 0
	s_or_b64 s[4:5], s[4:5], s[8:9]
	s_or_b64 exec, exec, s[6:7]
	s_and_saveexec_b64 s[6:7], s[4:5]
	s_cbranch_execnz .LBB55_1975
	s_branch .LBB55_1976
.LBB55_4025:
	s_movk_i32 s4, 0x80
	v_cmp_eq_u16_sdwa s[12:13], v5, s4 src0_sel:BYTE_3 src1_sel:DWORD
	s_mov_b64 s[4:5], -1
                                        ; implicit-def: $sgpr10
	s_and_saveexec_b64 s[8:9], s[12:13]
; %bb.4026:
	s_mov_b32 s10, 0x7f800001
	s_xor_b64 s[4:5], exec, -1
; %bb.4027:
	s_or_b64 exec, exec, s[8:9]
	s_and_b64 s[4:5], s[4:5], exec
	s_or_saveexec_b64 s[6:7], s[6:7]
	v_mov_b32_e32 v0, s10
	s_xor_b64 exec, exec, s[6:7]
	s_cbranch_execz .LBB55_1978
.LBB55_4028:
	v_mov_b32_e32 v0, 0
	v_cmp_ne_u16_sdwa s[8:9], v5, v0 src0_sel:BYTE_3 src1_sel:DWORD
	s_andn2_b64 s[4:5], s[4:5], exec
	s_and_b64 s[8:9], s[8:9], exec
	s_or_b64 s[4:5], s[4:5], s[8:9]
	s_or_b64 exec, exec, s[6:7]
	s_and_saveexec_b64 s[6:7], s[4:5]
	s_cbranch_execnz .LBB55_1979
	s_branch .LBB55_1980
.LBB55_4029:
	s_movk_i32 s4, 0x80
	v_cmp_eq_u16_sdwa s[12:13], v1, s4 src0_sel:BYTE_3 src1_sel:DWORD
	s_mov_b64 s[4:5], -1
                                        ; implicit-def: $sgpr10
	s_and_saveexec_b64 s[8:9], s[12:13]
; %bb.4030:
	s_mov_b32 s10, 0x7f800001
	s_xor_b64 s[4:5], exec, -1
; %bb.4031:
	s_or_b64 exec, exec, s[8:9]
	s_and_b64 s[4:5], s[4:5], exec
	s_or_saveexec_b64 s[6:7], s[6:7]
	v_mov_b32_e32 v4, s10
	s_xor_b64 exec, exec, s[6:7]
	s_cbranch_execz .LBB55_1982
.LBB55_4032:
	v_mov_b32_e32 v4, 0
	v_cmp_ne_u16_sdwa s[8:9], v1, v4 src0_sel:BYTE_3 src1_sel:DWORD
	s_andn2_b64 s[4:5], s[4:5], exec
	s_and_b64 s[8:9], s[8:9], exec
	s_or_b64 s[4:5], s[4:5], s[8:9]
	s_or_b64 exec, exec, s[6:7]
	s_and_saveexec_b64 s[6:7], s[4:5]
	s_cbranch_execnz .LBB55_1983
	s_branch .LBB55_1984
.LBB55_4033:
	s_movk_i32 s4, 0x80
	v_cmp_eq_u16_sdwa s[12:13], v6, s4 src0_sel:BYTE_0 src1_sel:DWORD
	s_mov_b64 s[4:5], -1
                                        ; implicit-def: $sgpr10
	s_and_saveexec_b64 s[8:9], s[12:13]
; %bb.4034:
	s_mov_b32 s10, 0x7f800001
	s_xor_b64 s[4:5], exec, -1
; %bb.4035:
	s_or_b64 exec, exec, s[8:9]
	s_and_b64 s[4:5], s[4:5], exec
	s_or_saveexec_b64 s[6:7], s[6:7]
	v_mov_b32_e32 v0, s10
	s_xor_b64 exec, exec, s[6:7]
	s_cbranch_execz .LBB55_1986
.LBB55_4036:
	v_mov_b32_e32 v0, 0
	v_cmp_ne_u16_sdwa s[8:9], v6, v0 src0_sel:BYTE_0 src1_sel:DWORD
	s_andn2_b64 s[4:5], s[4:5], exec
	s_and_b64 s[8:9], s[8:9], exec
	s_or_b64 s[4:5], s[4:5], s[8:9]
	s_or_b64 exec, exec, s[6:7]
	s_and_saveexec_b64 s[6:7], s[4:5]
	s_cbranch_execnz .LBB55_1987
	s_branch .LBB55_1988
.LBB55_4037:
	s_movk_i32 s4, 0x80
	v_cmp_eq_u16_sdwa s[12:13], v2, s4 src0_sel:BYTE_0 src1_sel:DWORD
	s_mov_b64 s[4:5], -1
                                        ; implicit-def: $sgpr10
	s_and_saveexec_b64 s[8:9], s[12:13]
; %bb.4038:
	s_mov_b32 s10, 0x7f800001
	s_xor_b64 s[4:5], exec, -1
; %bb.4039:
	s_or_b64 exec, exec, s[8:9]
	s_and_b64 s[4:5], s[4:5], exec
	s_or_saveexec_b64 s[6:7], s[6:7]
	v_mov_b32_e32 v1, s10
	s_xor_b64 exec, exec, s[6:7]
	s_cbranch_execz .LBB55_1990
.LBB55_4040:
	v_mov_b32_e32 v1, 0
	v_cmp_ne_u16_sdwa s[8:9], v2, v1 src0_sel:BYTE_0 src1_sel:DWORD
	s_andn2_b64 s[4:5], s[4:5], exec
	s_and_b64 s[8:9], s[8:9], exec
	s_or_b64 s[4:5], s[4:5], s[8:9]
	s_or_b64 exec, exec, s[6:7]
	s_and_saveexec_b64 s[6:7], s[4:5]
	s_cbranch_execnz .LBB55_1991
	s_branch .LBB55_1992
.LBB55_4041:
	s_movk_i32 s4, 0x80
	v_cmp_eq_u16_sdwa s[12:13], v1, s4 src0_sel:BYTE_0 src1_sel:DWORD
	s_mov_b64 s[4:5], -1
                                        ; implicit-def: $sgpr10
	s_and_saveexec_b64 s[8:9], s[12:13]
; %bb.4042:
	s_mov_b32 s10, 0x7f800001
	s_xor_b64 s[4:5], exec, -1
; %bb.4043:
	s_or_b64 exec, exec, s[8:9]
	s_and_b64 s[4:5], s[4:5], exec
	s_or_saveexec_b64 s[6:7], s[6:7]
	v_mov_b32_e32 v0, s10
	s_xor_b64 exec, exec, s[6:7]
	s_cbranch_execz .LBB55_1994
.LBB55_4044:
	v_mov_b32_e32 v0, 0
	v_cmp_ne_u16_sdwa s[8:9], v1, v0 src0_sel:BYTE_0 src1_sel:DWORD
	s_andn2_b64 s[4:5], s[4:5], exec
	s_and_b64 s[8:9], s[8:9], exec
	s_or_b64 s[4:5], s[4:5], s[8:9]
	s_or_b64 exec, exec, s[6:7]
	s_and_saveexec_b64 s[6:7], s[4:5]
	s_cbranch_execnz .LBB55_1995
	s_branch .LBB55_1996
.LBB55_4045:
	s_movk_i32 s4, 0x80
	v_cmp_eq_u16_sdwa s[12:13], v1, s4 src0_sel:BYTE_0 src1_sel:DWORD
	s_mov_b64 s[4:5], -1
                                        ; implicit-def: $sgpr10
	s_and_saveexec_b64 s[8:9], s[12:13]
; %bb.4046:
	s_mov_b32 s10, 0x7f800001
	s_xor_b64 s[4:5], exec, -1
; %bb.4047:
	s_or_b64 exec, exec, s[8:9]
	s_and_b64 s[4:5], s[4:5], exec
	s_or_saveexec_b64 s[6:7], s[6:7]
	v_mov_b32_e32 v4, s10
	s_xor_b64 exec, exec, s[6:7]
	s_cbranch_execz .LBB55_1998
.LBB55_4048:
	v_mov_b32_e32 v4, 0
	v_cmp_ne_u16_sdwa s[8:9], v1, v4 src0_sel:BYTE_0 src1_sel:DWORD
	s_andn2_b64 s[4:5], s[4:5], exec
	s_and_b64 s[8:9], s[8:9], exec
	s_or_b64 s[4:5], s[4:5], s[8:9]
	s_or_b64 exec, exec, s[6:7]
	s_and_saveexec_b64 s[6:7], s[4:5]
	s_cbranch_execnz .LBB55_1999
	s_branch .LBB55_2000
.LBB55_4049:
	s_movk_i32 s4, 0x80
	v_cmp_eq_u16_e32 vcc, s4, v1
	s_mov_b64 s[4:5], -1
                                        ; implicit-def: $sgpr10
	s_and_saveexec_b64 s[8:9], vcc
; %bb.4050:
	s_mov_b32 s10, 0x7f800001
	s_xor_b64 s[4:5], exec, -1
; %bb.4051:
	s_or_b64 exec, exec, s[8:9]
	s_and_b64 s[4:5], s[4:5], exec
                                        ; implicit-def: $vgpr1
	s_or_saveexec_b64 s[6:7], s[6:7]
	v_mov_b32_e32 v0, s10
	s_xor_b64 exec, exec, s[6:7]
	s_cbranch_execz .LBB55_2002
.LBB55_4052:
	v_cmp_ne_u16_e32 vcc, 0, v1
	s_andn2_b64 s[4:5], s[4:5], exec
	s_and_b64 s[8:9], vcc, exec
	v_mov_b32_e32 v0, 0
	s_or_b64 s[4:5], s[4:5], s[8:9]
	s_or_b64 exec, exec, s[6:7]
	s_and_saveexec_b64 s[6:7], s[4:5]
	s_cbranch_execnz .LBB55_2003
	s_branch .LBB55_2004
.LBB55_4053:
	s_movk_i32 s4, 0x80
	v_cmp_eq_u16_e32 vcc, s4, v1
	s_mov_b64 s[4:5], -1
                                        ; implicit-def: $sgpr10
	s_and_saveexec_b64 s[8:9], vcc
; %bb.4054:
	s_mov_b32 s10, 0x7f800001
	s_xor_b64 s[4:5], exec, -1
; %bb.4055:
	s_or_b64 exec, exec, s[8:9]
	s_and_b64 s[4:5], s[4:5], exec
                                        ; implicit-def: $vgpr1
	s_or_saveexec_b64 s[6:7], s[6:7]
	v_mov_b32_e32 v4, s10
	s_xor_b64 exec, exec, s[6:7]
	s_cbranch_execz .LBB55_2006
.LBB55_4056:
	v_cmp_ne_u16_e32 vcc, 0, v1
	s_andn2_b64 s[4:5], s[4:5], exec
	s_and_b64 s[8:9], vcc, exec
	v_mov_b32_e32 v4, 0
	s_or_b64 s[4:5], s[4:5], s[8:9]
	s_or_b64 exec, exec, s[6:7]
	s_and_saveexec_b64 s[6:7], s[4:5]
	s_cbranch_execnz .LBB55_2007
	s_branch .LBB55_2008
.LBB55_4057:
	s_movk_i32 s4, 0x80
	v_cmp_eq_u16_sdwa s[12:13], v6, s4 src0_sel:BYTE_3 src1_sel:DWORD
	s_mov_b64 s[4:5], -1
                                        ; implicit-def: $sgpr10
	s_and_saveexec_b64 s[8:9], s[12:13]
; %bb.4058:
	s_mov_b32 s10, 0x7f800001
	s_xor_b64 s[4:5], exec, -1
; %bb.4059:
	s_or_b64 exec, exec, s[8:9]
	s_and_b64 s[4:5], s[4:5], exec
	s_or_saveexec_b64 s[6:7], s[6:7]
	v_mov_b32_e32 v0, s10
	s_xor_b64 exec, exec, s[6:7]
	s_cbranch_execz .LBB55_2010
.LBB55_4060:
	v_mov_b32_e32 v0, 0
	v_cmp_ne_u16_sdwa s[8:9], v6, v0 src0_sel:BYTE_3 src1_sel:DWORD
	s_andn2_b64 s[4:5], s[4:5], exec
	s_and_b64 s[8:9], s[8:9], exec
	s_or_b64 s[4:5], s[4:5], s[8:9]
	s_or_b64 exec, exec, s[6:7]
	s_and_saveexec_b64 s[6:7], s[4:5]
	s_cbranch_execnz .LBB55_2011
	s_branch .LBB55_2012
.LBB55_4061:
	s_movk_i32 s4, 0x80
	v_cmp_eq_u16_sdwa s[12:13], v2, s4 src0_sel:BYTE_3 src1_sel:DWORD
	s_mov_b64 s[4:5], -1
                                        ; implicit-def: $sgpr10
	s_and_saveexec_b64 s[8:9], s[12:13]
; %bb.4062:
	s_mov_b32 s10, 0x7f800001
	s_xor_b64 s[4:5], exec, -1
; %bb.4063:
	s_or_b64 exec, exec, s[8:9]
	s_and_b64 s[4:5], s[4:5], exec
	s_or_saveexec_b64 s[6:7], s[6:7]
	v_mov_b32_e32 v1, s10
	s_xor_b64 exec, exec, s[6:7]
	s_cbranch_execz .LBB55_2014
.LBB55_4064:
	v_mov_b32_e32 v1, 0
	v_cmp_ne_u16_sdwa s[8:9], v2, v1 src0_sel:BYTE_3 src1_sel:DWORD
	s_andn2_b64 s[4:5], s[4:5], exec
	s_and_b64 s[8:9], s[8:9], exec
	s_or_b64 s[4:5], s[4:5], s[8:9]
	s_or_b64 exec, exec, s[6:7]
	s_and_saveexec_b64 s[6:7], s[4:5]
	s_cbranch_execnz .LBB55_2015
	s_branch .LBB55_2016
.LBB55_4065:
	s_movk_i32 s4, 0x80
	v_cmp_eq_u16_sdwa s[12:13], v7, s4 src0_sel:BYTE_0 src1_sel:DWORD
	s_mov_b64 s[4:5], -1
                                        ; implicit-def: $sgpr10
	s_and_saveexec_b64 s[8:9], s[12:13]
; %bb.4066:
	s_mov_b32 s10, 0x7f800001
	s_xor_b64 s[4:5], exec, -1
; %bb.4067:
	s_or_b64 exec, exec, s[8:9]
	s_and_b64 s[4:5], s[4:5], exec
	s_or_saveexec_b64 s[6:7], s[6:7]
	v_mov_b32_e32 v0, s10
	s_xor_b64 exec, exec, s[6:7]
	s_cbranch_execz .LBB55_2018
.LBB55_4068:
	v_mov_b32_e32 v0, 0
	v_cmp_ne_u16_sdwa s[8:9], v7, v0 src0_sel:BYTE_0 src1_sel:DWORD
	s_andn2_b64 s[4:5], s[4:5], exec
	s_and_b64 s[8:9], s[8:9], exec
	s_or_b64 s[4:5], s[4:5], s[8:9]
	s_or_b64 exec, exec, s[6:7]
	s_and_saveexec_b64 s[6:7], s[4:5]
	s_cbranch_execnz .LBB55_2019
	s_branch .LBB55_2020
.LBB55_4069:
	s_movk_i32 s4, 0x80
	v_cmp_eq_u16_sdwa s[12:13], v3, s4 src0_sel:BYTE_0 src1_sel:DWORD
	s_mov_b64 s[4:5], -1
                                        ; implicit-def: $sgpr10
	s_and_saveexec_b64 s[8:9], s[12:13]
; %bb.4070:
	s_mov_b32 s10, 0x7f800001
	s_xor_b64 s[4:5], exec, -1
; %bb.4071:
	s_or_b64 exec, exec, s[8:9]
	s_and_b64 s[4:5], s[4:5], exec
	s_or_saveexec_b64 s[6:7], s[6:7]
	v_mov_b32_e32 v1, s10
	s_xor_b64 exec, exec, s[6:7]
	s_cbranch_execz .LBB55_2022
.LBB55_4072:
	v_mov_b32_e32 v1, 0
	v_cmp_ne_u16_sdwa s[8:9], v3, v1 src0_sel:BYTE_0 src1_sel:DWORD
	s_andn2_b64 s[4:5], s[4:5], exec
	s_and_b64 s[8:9], s[8:9], exec
	s_or_b64 s[4:5], s[4:5], s[8:9]
	s_or_b64 exec, exec, s[6:7]
	s_and_saveexec_b64 s[6:7], s[4:5]
	s_cbranch_execnz .LBB55_2023
	s_branch .LBB55_2024
.LBB55_4073:
	s_movk_i32 s4, 0x80
	v_cmp_eq_u16_sdwa s[12:13], v1, s4 src0_sel:BYTE_0 src1_sel:DWORD
	s_mov_b64 s[4:5], -1
                                        ; implicit-def: $sgpr10
	s_and_saveexec_b64 s[8:9], s[12:13]
; %bb.4074:
	s_mov_b32 s10, 0x7f800001
	s_xor_b64 s[4:5], exec, -1
; %bb.4075:
	s_or_b64 exec, exec, s[8:9]
	s_and_b64 s[4:5], s[4:5], exec
	s_or_saveexec_b64 s[6:7], s[6:7]
	v_mov_b32_e32 v0, s10
	s_xor_b64 exec, exec, s[6:7]
	s_cbranch_execz .LBB55_2026
.LBB55_4076:
	v_mov_b32_e32 v0, 0
	v_cmp_ne_u16_sdwa s[8:9], v1, v0 src0_sel:BYTE_0 src1_sel:DWORD
	s_andn2_b64 s[4:5], s[4:5], exec
	s_and_b64 s[8:9], s[8:9], exec
	s_or_b64 s[4:5], s[4:5], s[8:9]
	s_or_b64 exec, exec, s[6:7]
	s_and_saveexec_b64 s[6:7], s[4:5]
	s_cbranch_execnz .LBB55_2027
	s_branch .LBB55_2028
.LBB55_4077:
	s_movk_i32 s4, 0x80
	v_cmp_eq_u16_sdwa s[12:13], v1, s4 src0_sel:BYTE_0 src1_sel:DWORD
	s_mov_b64 s[4:5], -1
                                        ; implicit-def: $sgpr10
	s_and_saveexec_b64 s[8:9], s[12:13]
; %bb.4078:
	s_mov_b32 s10, 0x7f800001
	s_xor_b64 s[4:5], exec, -1
; %bb.4079:
	s_or_b64 exec, exec, s[8:9]
	s_and_b64 s[4:5], s[4:5], exec
	s_or_saveexec_b64 s[6:7], s[6:7]
	v_mov_b32_e32 v2, s10
	s_xor_b64 exec, exec, s[6:7]
	s_cbranch_execz .LBB55_2030
.LBB55_4080:
	v_mov_b32_e32 v2, 0
	v_cmp_ne_u16_sdwa s[8:9], v1, v2 src0_sel:BYTE_0 src1_sel:DWORD
	s_andn2_b64 s[4:5], s[4:5], exec
	s_and_b64 s[8:9], s[8:9], exec
	s_or_b64 s[4:5], s[4:5], s[8:9]
	s_or_b64 exec, exec, s[6:7]
	s_and_saveexec_b64 s[6:7], s[4:5]
	s_cbranch_execnz .LBB55_2031
	s_branch .LBB55_2032
.LBB55_4081:
	s_movk_i32 s4, 0x80
	v_cmp_eq_u16_e32 vcc, s4, v1
	s_mov_b64 s[4:5], -1
                                        ; implicit-def: $sgpr10
	s_and_saveexec_b64 s[8:9], vcc
; %bb.4082:
	s_mov_b32 s10, 0x7f800001
	s_xor_b64 s[4:5], exec, -1
; %bb.4083:
	s_or_b64 exec, exec, s[8:9]
	s_and_b64 s[4:5], s[4:5], exec
                                        ; implicit-def: $vgpr1
	s_or_saveexec_b64 s[6:7], s[6:7]
	v_mov_b32_e32 v0, s10
	s_xor_b64 exec, exec, s[6:7]
	s_cbranch_execz .LBB55_2034
.LBB55_4084:
	v_cmp_ne_u16_e32 vcc, 0, v1
	s_andn2_b64 s[4:5], s[4:5], exec
	s_and_b64 s[8:9], vcc, exec
	v_mov_b32_e32 v0, 0
	s_or_b64 s[4:5], s[4:5], s[8:9]
	s_or_b64 exec, exec, s[6:7]
	s_and_saveexec_b64 s[6:7], s[4:5]
	s_cbranch_execnz .LBB55_2035
	s_branch .LBB55_2036
.LBB55_4085:
	s_movk_i32 s4, 0x80
	v_cmp_eq_u16_e32 vcc, s4, v1
	s_mov_b64 s[4:5], -1
                                        ; implicit-def: $sgpr10
	s_and_saveexec_b64 s[8:9], vcc
; %bb.4086:
	s_mov_b32 s10, 0x7f800001
	s_xor_b64 s[4:5], exec, -1
; %bb.4087:
	s_or_b64 exec, exec, s[8:9]
	s_and_b64 s[4:5], s[4:5], exec
                                        ; implicit-def: $vgpr1
	s_or_saveexec_b64 s[6:7], s[6:7]
	v_mov_b32_e32 v2, s10
	s_xor_b64 exec, exec, s[6:7]
	s_cbranch_execz .LBB55_2038
.LBB55_4088:
	v_cmp_ne_u16_e32 vcc, 0, v1
	s_andn2_b64 s[4:5], s[4:5], exec
	s_and_b64 s[8:9], vcc, exec
	v_mov_b32_e32 v2, 0
	s_or_b64 s[4:5], s[4:5], s[8:9]
	s_or_b64 exec, exec, s[6:7]
	s_and_saveexec_b64 s[6:7], s[4:5]
	s_cbranch_execnz .LBB55_2039
	s_branch .LBB55_2040
.LBB55_4089:
	s_movk_i32 s4, 0x80
	v_cmp_eq_u16_sdwa s[12:13], v7, s4 src0_sel:BYTE_3 src1_sel:DWORD
	s_mov_b64 s[4:5], -1
                                        ; implicit-def: $sgpr10
	s_and_saveexec_b64 s[8:9], s[12:13]
; %bb.4090:
	s_mov_b32 s10, 0x7f800001
	s_xor_b64 s[4:5], exec, -1
; %bb.4091:
	s_or_b64 exec, exec, s[8:9]
	s_and_b64 s[4:5], s[4:5], exec
	s_or_saveexec_b64 s[6:7], s[6:7]
	v_mov_b32_e32 v0, s10
	s_xor_b64 exec, exec, s[6:7]
	s_cbranch_execz .LBB55_2042
.LBB55_4092:
	v_mov_b32_e32 v0, 0
	v_cmp_ne_u16_sdwa s[8:9], v7, v0 src0_sel:BYTE_3 src1_sel:DWORD
	s_andn2_b64 s[4:5], s[4:5], exec
	s_and_b64 s[8:9], s[8:9], exec
	s_or_b64 s[4:5], s[4:5], s[8:9]
	s_or_b64 exec, exec, s[6:7]
	s_and_saveexec_b64 s[6:7], s[4:5]
	s_cbranch_execnz .LBB55_2043
	s_branch .LBB55_2044
.LBB55_4093:
	s_movk_i32 s4, 0x80
	v_cmp_eq_u16_sdwa s[12:13], v3, s4 src0_sel:BYTE_3 src1_sel:DWORD
	s_mov_b64 s[4:5], -1
                                        ; implicit-def: $sgpr10
	s_and_saveexec_b64 s[8:9], s[12:13]
; %bb.4094:
	s_mov_b32 s10, 0x7f800001
	s_xor_b64 s[4:5], exec, -1
; %bb.4095:
	s_or_b64 exec, exec, s[8:9]
	s_and_b64 s[4:5], s[4:5], exec
	s_or_saveexec_b64 s[6:7], s[6:7]
	v_mov_b32_e32 v1, s10
	s_xor_b64 exec, exec, s[6:7]
	s_cbranch_execz .LBB55_2046
.LBB55_4096:
	v_mov_b32_e32 v1, 0
	v_cmp_ne_u16_sdwa s[8:9], v3, v1 src0_sel:BYTE_3 src1_sel:DWORD
	s_andn2_b64 s[4:5], s[4:5], exec
	s_and_b64 s[8:9], s[8:9], exec
	s_or_b64 s[4:5], s[4:5], s[8:9]
	s_or_b64 exec, exec, s[6:7]
	s_and_saveexec_b64 s[6:7], s[4:5]
	s_cbranch_execnz .LBB55_2047
	s_branch .LBB55_2048
.Lfunc_end55:
	.size	_ZNK2ck6detail7applierIiJLi0ELi1ELi2ELi3ELi4ELi5ELi6ELi7EEEclIZNKS_11static_fordINS_8SequenceIJLi1ELi8EEEENS5_IJLi0ELi1EEEEEclIZZNKS_52BlockwiseGemmXdlops_pipeline_bpreshuffle_bdequant_v3ILNS_26BlockGemmPipelineSchedulerE0ELi256ENS_9f8_fnuz_tENS_7pk_i4_tESC_fNS_16TensorDescriptorINS_5TupleIJNS_5EmbedINSF_IJNS_17integral_constantIiLi8EEENSH_IiLi256EEENSH_IiLi16EEEEEENSF_IJSK_NSH_IiLi128EEENSH_IiLi1EEEEEELb0EEENS_3XorINSF_IJSJ_SI_EEELb1EEENS_11PassThroughISK_EENS_7UnMergeINSF_IJSI_SN_EEELb0EEENST_ISJ_EESU_NST_ISI_EENS_21Merge_v3_division_modINSF_IJSJ_SN_EEEEESU_EEENSF_IJNS5_IJLi0EEEENS5_IJLi2ELi1EEEENS5_IJLi3EEEENS5_IJLi5EEEENS5_IJLi4EEEENS5_IJLi6EEEENS5_IJLi7EEEENS5_IJLi9ELi8EEEENS5_IJLi10EEEEEEENSF_IJNS5_IJLi1ELi2ELi3EEEENS5_IJLi4ELi5EEEES19_NS5_IJLi7ELi8EEEENS5_IJLi9EEEES1C_NS5_IJLi11EEEENS5_IJLi12EEEENS5_IJLi13EEEEEEENS5_IJLi11ELi12ELi13EEEENSH_IlLl32768EEEEENSE_INSF_IJNSV_INSF_IJSI_SN_SN_NSH_IiLi32EEEEEELb0EEEEEENSF_IJS14_EEENSF_IJNS5_IJLi1ELi2ELi3ELi4EEEEEEES1U_NSH_IlLl256EEEEENSE_INSF_IJSP_SS_SU_SX_SY_SU_SZ_S12_SU_NS10_INSF_IJSI_SK_EEEEENSV_INSF_IJSI_NSH_IiLi2EEESK_EEELb0EEEEEENSF_IJS14_S15_S16_S17_S18_S19_S1A_S1B_S1C_NS5_IJLi11ELi13EEEES1J_EEENSF_IJS1E_S1F_S19_S1G_S1H_S1C_S1I_S1J_S1K_NS5_IJLi14EEEENS5_IJLi15ELi16ELi17EEEEEEENS5_IJLi15ELi16ELi17ELi14EEEES1N_EENSE_INSF_IJS1R_NS10_ISW_EES22_EEENSF_IJS14_NS5_IJLi1ELi3EEEENS5_IJLi2EEEEEEENSF_IJS1U_S17_NS5_IJLi6ELi7ELi8EEEEEEENS5_IJLi6ELi7ELi8ELi5EEEES1W_EELi16ELi32ELi256ELi256ELi128ELi16ELi16ELi8ELi8ELi32ELb0EE3RunILb1ELNS_10TailNumberE1ENSE_INSF_IJNSG_INSF_IJiiEEENSF_IJiSN_EEELb0EEENSV_IS2N_Lb0EEENST_IiEEEEENSF_IJS14_S2E_NS5_IJLi1EEEEEEENSF_IJNS5_IJLi1ELi2EEEENS5_IJLi3ELi4EEEES17_EEENS5_IJLi3ELi5ELi4EEEElEES1O_NS_35ThreadGroupTensorSliceTransfer_v4r1INS_15ThisThreadBlockILi256EEENS_16tensor_operation12element_wise11PassThroughES35_LNS_25InMemoryDataOperationEnumE0ENS5_IJLi8ELi256ELi16EEEENS5_IJLi8ELi32ELi1EEEENS5_IJLi1ELi0ELi2EEEESC_SC_RKS2Z_KS1O_S39_NS5_IJLi0ELi1ELi2EEEELi2ELi2ELi16ELi16ELi1ELi1ELb0ELb1ELi2EiEENS_13DynamicBufferILNS_16AddressSpaceEnumE1EKSC_lLb1ELNS_22AmdBufferCoherenceEnumE0EiEENSF_IJNS3F_ILS3G_2ESC_S1N_Lb1ELS3I_0EiEES3K_EEENSF_IJiiiEEENSE_INSF_IJNSG_INSF_IJiiiiEEENSF_IJiiiSN_EEELb0EEEEEES1T_S1V_S1U_lEENS_32ThreadwiseTensorSliceTransfer_v2ISD_SD_RKS3R_KS1X_NS5_IJLi8ELi1ELi1ELi32EEEENS5_IJLi1ELi2ELi0ELi3EEEELi3ELi32ELi0ELb1ELb0ELb0EEENS3F_ILS3G_1EKSD_lLb1ELS3I_0EiEENSF_IJNS_12StaticBufferILS3G_4ESD_Li256ELb1EEES42_EEES3N_NS_25StaticBufferTupleOfVectorILS3G_4EfLi64ELi4ELb1ELb0EEEEEvRKT1_RKT2_RT3_RKT4_RT5_RKT6_RKT7_RT8_RKT9_RT10_RKT11_RT12_iENKUlT_E1_clINSH_IiLi3EEEEEDaS51_EUlS51_E_EEvS51_EUlS51_E_EEvS51_, .Lfunc_end55-_ZNK2ck6detail7applierIiJLi0ELi1ELi2ELi3ELi4ELi5ELi6ELi7EEEclIZNKS_11static_fordINS_8SequenceIJLi1ELi8EEEENS5_IJLi0ELi1EEEEEclIZZNKS_52BlockwiseGemmXdlops_pipeline_bpreshuffle_bdequant_v3ILNS_26BlockGemmPipelineSchedulerE0ELi256ENS_9f8_fnuz_tENS_7pk_i4_tESC_fNS_16TensorDescriptorINS_5TupleIJNS_5EmbedINSF_IJNS_17integral_constantIiLi8EEENSH_IiLi256EEENSH_IiLi16EEEEEENSF_IJSK_NSH_IiLi128EEENSH_IiLi1EEEEEELb0EEENS_3XorINSF_IJSJ_SI_EEELb1EEENS_11PassThroughISK_EENS_7UnMergeINSF_IJSI_SN_EEELb0EEENST_ISJ_EESU_NST_ISI_EENS_21Merge_v3_division_modINSF_IJSJ_SN_EEEEESU_EEENSF_IJNS5_IJLi0EEEENS5_IJLi2ELi1EEEENS5_IJLi3EEEENS5_IJLi5EEEENS5_IJLi4EEEENS5_IJLi6EEEENS5_IJLi7EEEENS5_IJLi9ELi8EEEENS5_IJLi10EEEEEEENSF_IJNS5_IJLi1ELi2ELi3EEEENS5_IJLi4ELi5EEEES19_NS5_IJLi7ELi8EEEENS5_IJLi9EEEES1C_NS5_IJLi11EEEENS5_IJLi12EEEENS5_IJLi13EEEEEEENS5_IJLi11ELi12ELi13EEEENSH_IlLl32768EEEEENSE_INSF_IJNSV_INSF_IJSI_SN_SN_NSH_IiLi32EEEEEELb0EEEEEENSF_IJS14_EEENSF_IJNS5_IJLi1ELi2ELi3ELi4EEEEEEES1U_NSH_IlLl256EEEEENSE_INSF_IJSP_SS_SU_SX_SY_SU_SZ_S12_SU_NS10_INSF_IJSI_SK_EEEEENSV_INSF_IJSI_NSH_IiLi2EEESK_EEELb0EEEEEENSF_IJS14_S15_S16_S17_S18_S19_S1A_S1B_S1C_NS5_IJLi11ELi13EEEES1J_EEENSF_IJS1E_S1F_S19_S1G_S1H_S1C_S1I_S1J_S1K_NS5_IJLi14EEEENS5_IJLi15ELi16ELi17EEEEEEENS5_IJLi15ELi16ELi17ELi14EEEES1N_EENSE_INSF_IJS1R_NS10_ISW_EES22_EEENSF_IJS14_NS5_IJLi1ELi3EEEENS5_IJLi2EEEEEEENSF_IJS1U_S17_NS5_IJLi6ELi7ELi8EEEEEEENS5_IJLi6ELi7ELi8ELi5EEEES1W_EELi16ELi32ELi256ELi256ELi128ELi16ELi16ELi8ELi8ELi32ELb0EE3RunILb1ELNS_10TailNumberE1ENSE_INSF_IJNSG_INSF_IJiiEEENSF_IJiSN_EEELb0EEENSV_IS2N_Lb0EEENST_IiEEEEENSF_IJS14_S2E_NS5_IJLi1EEEEEEENSF_IJNS5_IJLi1ELi2EEEENS5_IJLi3ELi4EEEES17_EEENS5_IJLi3ELi5ELi4EEEElEES1O_NS_35ThreadGroupTensorSliceTransfer_v4r1INS_15ThisThreadBlockILi256EEENS_16tensor_operation12element_wise11PassThroughES35_LNS_25InMemoryDataOperationEnumE0ENS5_IJLi8ELi256ELi16EEEENS5_IJLi8ELi32ELi1EEEENS5_IJLi1ELi0ELi2EEEESC_SC_RKS2Z_KS1O_S39_NS5_IJLi0ELi1ELi2EEEELi2ELi2ELi16ELi16ELi1ELi1ELb0ELb1ELi2EiEENS_13DynamicBufferILNS_16AddressSpaceEnumE1EKSC_lLb1ELNS_22AmdBufferCoherenceEnumE0EiEENSF_IJNS3F_ILS3G_2ESC_S1N_Lb1ELS3I_0EiEES3K_EEENSF_IJiiiEEENSE_INSF_IJNSG_INSF_IJiiiiEEENSF_IJiiiSN_EEELb0EEEEEES1T_S1V_S1U_lEENS_32ThreadwiseTensorSliceTransfer_v2ISD_SD_RKS3R_KS1X_NS5_IJLi8ELi1ELi1ELi32EEEENS5_IJLi1ELi2ELi0ELi3EEEELi3ELi32ELi0ELb1ELb0ELb0EEENS3F_ILS3G_1EKSD_lLb1ELS3I_0EiEENSF_IJNS_12StaticBufferILS3G_4ESD_Li256ELb1EEES42_EEES3N_NS_25StaticBufferTupleOfVectorILS3G_4EfLi64ELi4ELb1ELb0EEEEEvRKT1_RKT2_RT3_RKT4_RT5_RKT6_RKT7_RT8_RKT9_RT10_RKT11_RT12_iENKUlT_E1_clINSH_IiLi3EEEEEDaS51_EUlS51_E_EEvS51_EUlS51_E_EEvS51_
                                        ; -- End function
	.section	.AMDGPU.csdata,"",@progbits
; Function info:
; codeLenInByte = 133608
; NumSgprs: 36
; NumVgprs: 26
; NumAgprs: 4
; TotalNumVgprs: 32
; ScratchSize: 0
; MemoryBound: 1
	.text
	.p2align	2                               ; -- Begin function _ZNK2ck6detail7applierIiJLi0ELi1ELi2ELi3ELi4ELi5ELi6ELi7EEEclIZNKS_11static_fordINS_8SequenceIJLi1ELi8EEEENS5_IJLi0ELi1EEEEEclIZZNKS_52BlockwiseGemmXdlops_pipeline_bpreshuffle_bdequant_v3ILNS_26BlockGemmPipelineSchedulerE0ELi256ENS_9f8_fnuz_tENS_7pk_i4_tESC_fNS_16TensorDescriptorINS_5TupleIJNS_5EmbedINSF_IJNS_17integral_constantIiLi8EEENSH_IiLi256EEENSH_IiLi16EEEEEENSF_IJSK_NSH_IiLi128EEENSH_IiLi1EEEEEELb0EEENS_3XorINSF_IJSJ_SI_EEELb1EEENS_11PassThroughISK_EENS_7UnMergeINSF_IJSI_SN_EEELb0EEENST_ISJ_EESU_NST_ISI_EENS_21Merge_v3_division_modINSF_IJSJ_SN_EEEEESU_EEENSF_IJNS5_IJLi0EEEENS5_IJLi2ELi1EEEENS5_IJLi3EEEENS5_IJLi5EEEENS5_IJLi4EEEENS5_IJLi6EEEENS5_IJLi7EEEENS5_IJLi9ELi8EEEENS5_IJLi10EEEEEEENSF_IJNS5_IJLi1ELi2ELi3EEEENS5_IJLi4ELi5EEEES19_NS5_IJLi7ELi8EEEENS5_IJLi9EEEES1C_NS5_IJLi11EEEENS5_IJLi12EEEENS5_IJLi13EEEEEEENS5_IJLi11ELi12ELi13EEEENSH_IlLl32768EEEEENSE_INSF_IJNSV_INSF_IJSI_SN_SN_NSH_IiLi32EEEEEELb0EEEEEENSF_IJS14_EEENSF_IJNS5_IJLi1ELi2ELi3ELi4EEEEEEES1U_NSH_IlLl256EEEEENSE_INSF_IJSP_SS_SU_SX_SY_SU_SZ_S12_SU_NS10_INSF_IJSI_SK_EEEEENSV_INSF_IJSI_NSH_IiLi2EEESK_EEELb0EEEEEENSF_IJS14_S15_S16_S17_S18_S19_S1A_S1B_S1C_NS5_IJLi11ELi13EEEES1J_EEENSF_IJS1E_S1F_S19_S1G_S1H_S1C_S1I_S1J_S1K_NS5_IJLi14EEEENS5_IJLi15ELi16ELi17EEEEEEENS5_IJLi15ELi16ELi17ELi14EEEES1N_EENSE_INSF_IJS1R_NS10_ISW_EES22_EEENSF_IJS14_NS5_IJLi1ELi3EEEENS5_IJLi2EEEEEEENSF_IJS1U_S17_NS5_IJLi6ELi7ELi8EEEEEEENS5_IJLi6ELi7ELi8ELi5EEEES1W_EELi16ELi32ELi256ELi256ELi128ELi16ELi16ELi8ELi8ELi32ELb0EE3RunILb1ELNS_10TailNumberE1ENSE_INSF_IJNSG_INSF_IJiiEEENSF_IJiSN_EEELb0EEENSV_IS2N_Lb0EEENST_IiEEEEENSF_IJS14_S2E_NS5_IJLi1EEEEEEENSF_IJNS5_IJLi1ELi2EEEENS5_IJLi3ELi4EEEES17_EEENS5_IJLi3ELi5ELi4EEEElEES1O_NS_35ThreadGroupTensorSliceTransfer_v4r1INS_15ThisThreadBlockILi256EEENS_16tensor_operation12element_wise11PassThroughES35_LNS_25InMemoryDataOperationEnumE0ENS5_IJLi8ELi256ELi16EEEENS5_IJLi8ELi32ELi1EEEENS5_IJLi1ELi0ELi2EEEESC_SC_RKS2Z_KS1O_S39_NS5_IJLi0ELi1ELi2EEEELi2ELi2ELi16ELi16ELi1ELi1ELb0ELb1ELi2EiEENS_13DynamicBufferILNS_16AddressSpaceEnumE1EKSC_lLb1ELNS_22AmdBufferCoherenceEnumE0EiEENSF_IJNS3F_ILS3G_2ESC_S1N_Lb1ELS3I_0EiEES3K_EEENSF_IJiiiEEENSE_INSF_IJNSG_INSF_IJiiiiEEENSF_IJiiiSN_EEELb0EEEEEES1T_S1V_S1U_lEENS_32ThreadwiseTensorSliceTransfer_v2ISD_SD_RKS3R_KS1X_NS5_IJLi8ELi1ELi1ELi32EEEENS5_IJLi1ELi2ELi0ELi3EEEELi3ELi32ELi0ELb1ELb0ELb0EEENS3F_ILS3G_1EKSD_lLb1ELS3I_0EiEENSF_IJNS_12StaticBufferILS3G_4ESD_Li256ELb1EEES42_EEES3N_NS_25StaticBufferTupleOfVectorILS3G_4EfLi64ELi4ELb1ELb0EEEEEvRKT1_RKT2_RT3_RKT4_RT5_RKT6_RKT7_RT8_RKT9_RT10_RKT11_RT12_iENKUlT_E1_clINSH_IiLi4EEEEEDaS51_EUlS51_E_EEvS51_EUlS51_E_EEvS51_
	.type	_ZNK2ck6detail7applierIiJLi0ELi1ELi2ELi3ELi4ELi5ELi6ELi7EEEclIZNKS_11static_fordINS_8SequenceIJLi1ELi8EEEENS5_IJLi0ELi1EEEEEclIZZNKS_52BlockwiseGemmXdlops_pipeline_bpreshuffle_bdequant_v3ILNS_26BlockGemmPipelineSchedulerE0ELi256ENS_9f8_fnuz_tENS_7pk_i4_tESC_fNS_16TensorDescriptorINS_5TupleIJNS_5EmbedINSF_IJNS_17integral_constantIiLi8EEENSH_IiLi256EEENSH_IiLi16EEEEEENSF_IJSK_NSH_IiLi128EEENSH_IiLi1EEEEEELb0EEENS_3XorINSF_IJSJ_SI_EEELb1EEENS_11PassThroughISK_EENS_7UnMergeINSF_IJSI_SN_EEELb0EEENST_ISJ_EESU_NST_ISI_EENS_21Merge_v3_division_modINSF_IJSJ_SN_EEEEESU_EEENSF_IJNS5_IJLi0EEEENS5_IJLi2ELi1EEEENS5_IJLi3EEEENS5_IJLi5EEEENS5_IJLi4EEEENS5_IJLi6EEEENS5_IJLi7EEEENS5_IJLi9ELi8EEEENS5_IJLi10EEEEEEENSF_IJNS5_IJLi1ELi2ELi3EEEENS5_IJLi4ELi5EEEES19_NS5_IJLi7ELi8EEEENS5_IJLi9EEEES1C_NS5_IJLi11EEEENS5_IJLi12EEEENS5_IJLi13EEEEEEENS5_IJLi11ELi12ELi13EEEENSH_IlLl32768EEEEENSE_INSF_IJNSV_INSF_IJSI_SN_SN_NSH_IiLi32EEEEEELb0EEEEEENSF_IJS14_EEENSF_IJNS5_IJLi1ELi2ELi3ELi4EEEEEEES1U_NSH_IlLl256EEEEENSE_INSF_IJSP_SS_SU_SX_SY_SU_SZ_S12_SU_NS10_INSF_IJSI_SK_EEEEENSV_INSF_IJSI_NSH_IiLi2EEESK_EEELb0EEEEEENSF_IJS14_S15_S16_S17_S18_S19_S1A_S1B_S1C_NS5_IJLi11ELi13EEEES1J_EEENSF_IJS1E_S1F_S19_S1G_S1H_S1C_S1I_S1J_S1K_NS5_IJLi14EEEENS5_IJLi15ELi16ELi17EEEEEEENS5_IJLi15ELi16ELi17ELi14EEEES1N_EENSE_INSF_IJS1R_NS10_ISW_EES22_EEENSF_IJS14_NS5_IJLi1ELi3EEEENS5_IJLi2EEEEEEENSF_IJS1U_S17_NS5_IJLi6ELi7ELi8EEEEEEENS5_IJLi6ELi7ELi8ELi5EEEES1W_EELi16ELi32ELi256ELi256ELi128ELi16ELi16ELi8ELi8ELi32ELb0EE3RunILb1ELNS_10TailNumberE1ENSE_INSF_IJNSG_INSF_IJiiEEENSF_IJiSN_EEELb0EEENSV_IS2N_Lb0EEENST_IiEEEEENSF_IJS14_S2E_NS5_IJLi1EEEEEEENSF_IJNS5_IJLi1ELi2EEEENS5_IJLi3ELi4EEEES17_EEENS5_IJLi3ELi5ELi4EEEElEES1O_NS_35ThreadGroupTensorSliceTransfer_v4r1INS_15ThisThreadBlockILi256EEENS_16tensor_operation12element_wise11PassThroughES35_LNS_25InMemoryDataOperationEnumE0ENS5_IJLi8ELi256ELi16EEEENS5_IJLi8ELi32ELi1EEEENS5_IJLi1ELi0ELi2EEEESC_SC_RKS2Z_KS1O_S39_NS5_IJLi0ELi1ELi2EEEELi2ELi2ELi16ELi16ELi1ELi1ELb0ELb1ELi2EiEENS_13DynamicBufferILNS_16AddressSpaceEnumE1EKSC_lLb1ELNS_22AmdBufferCoherenceEnumE0EiEENSF_IJNS3F_ILS3G_2ESC_S1N_Lb1ELS3I_0EiEES3K_EEENSF_IJiiiEEENSE_INSF_IJNSG_INSF_IJiiiiEEENSF_IJiiiSN_EEELb0EEEEEES1T_S1V_S1U_lEENS_32ThreadwiseTensorSliceTransfer_v2ISD_SD_RKS3R_KS1X_NS5_IJLi8ELi1ELi1ELi32EEEENS5_IJLi1ELi2ELi0ELi3EEEELi3ELi32ELi0ELb1ELb0ELb0EEENS3F_ILS3G_1EKSD_lLb1ELS3I_0EiEENSF_IJNS_12StaticBufferILS3G_4ESD_Li256ELb1EEES42_EEES3N_NS_25StaticBufferTupleOfVectorILS3G_4EfLi64ELi4ELb1ELb0EEEEEvRKT1_RKT2_RT3_RKT4_RT5_RKT6_RKT7_RT8_RKT9_RT10_RKT11_RT12_iENKUlT_E1_clINSH_IiLi4EEEEEDaS51_EUlS51_E_EEvS51_EUlS51_E_EEvS51_,@function
_ZNK2ck6detail7applierIiJLi0ELi1ELi2ELi3ELi4ELi5ELi6ELi7EEEclIZNKS_11static_fordINS_8SequenceIJLi1ELi8EEEENS5_IJLi0ELi1EEEEEclIZZNKS_52BlockwiseGemmXdlops_pipeline_bpreshuffle_bdequant_v3ILNS_26BlockGemmPipelineSchedulerE0ELi256ENS_9f8_fnuz_tENS_7pk_i4_tESC_fNS_16TensorDescriptorINS_5TupleIJNS_5EmbedINSF_IJNS_17integral_constantIiLi8EEENSH_IiLi256EEENSH_IiLi16EEEEEENSF_IJSK_NSH_IiLi128EEENSH_IiLi1EEEEEELb0EEENS_3XorINSF_IJSJ_SI_EEELb1EEENS_11PassThroughISK_EENS_7UnMergeINSF_IJSI_SN_EEELb0EEENST_ISJ_EESU_NST_ISI_EENS_21Merge_v3_division_modINSF_IJSJ_SN_EEEEESU_EEENSF_IJNS5_IJLi0EEEENS5_IJLi2ELi1EEEENS5_IJLi3EEEENS5_IJLi5EEEENS5_IJLi4EEEENS5_IJLi6EEEENS5_IJLi7EEEENS5_IJLi9ELi8EEEENS5_IJLi10EEEEEEENSF_IJNS5_IJLi1ELi2ELi3EEEENS5_IJLi4ELi5EEEES19_NS5_IJLi7ELi8EEEENS5_IJLi9EEEES1C_NS5_IJLi11EEEENS5_IJLi12EEEENS5_IJLi13EEEEEEENS5_IJLi11ELi12ELi13EEEENSH_IlLl32768EEEEENSE_INSF_IJNSV_INSF_IJSI_SN_SN_NSH_IiLi32EEEEEELb0EEEEEENSF_IJS14_EEENSF_IJNS5_IJLi1ELi2ELi3ELi4EEEEEEES1U_NSH_IlLl256EEEEENSE_INSF_IJSP_SS_SU_SX_SY_SU_SZ_S12_SU_NS10_INSF_IJSI_SK_EEEEENSV_INSF_IJSI_NSH_IiLi2EEESK_EEELb0EEEEEENSF_IJS14_S15_S16_S17_S18_S19_S1A_S1B_S1C_NS5_IJLi11ELi13EEEES1J_EEENSF_IJS1E_S1F_S19_S1G_S1H_S1C_S1I_S1J_S1K_NS5_IJLi14EEEENS5_IJLi15ELi16ELi17EEEEEEENS5_IJLi15ELi16ELi17ELi14EEEES1N_EENSE_INSF_IJS1R_NS10_ISW_EES22_EEENSF_IJS14_NS5_IJLi1ELi3EEEENS5_IJLi2EEEEEEENSF_IJS1U_S17_NS5_IJLi6ELi7ELi8EEEEEEENS5_IJLi6ELi7ELi8ELi5EEEES1W_EELi16ELi32ELi256ELi256ELi128ELi16ELi16ELi8ELi8ELi32ELb0EE3RunILb1ELNS_10TailNumberE1ENSE_INSF_IJNSG_INSF_IJiiEEENSF_IJiSN_EEELb0EEENSV_IS2N_Lb0EEENST_IiEEEEENSF_IJS14_S2E_NS5_IJLi1EEEEEEENSF_IJNS5_IJLi1ELi2EEEENS5_IJLi3ELi4EEEES17_EEENS5_IJLi3ELi5ELi4EEEElEES1O_NS_35ThreadGroupTensorSliceTransfer_v4r1INS_15ThisThreadBlockILi256EEENS_16tensor_operation12element_wise11PassThroughES35_LNS_25InMemoryDataOperationEnumE0ENS5_IJLi8ELi256ELi16EEEENS5_IJLi8ELi32ELi1EEEENS5_IJLi1ELi0ELi2EEEESC_SC_RKS2Z_KS1O_S39_NS5_IJLi0ELi1ELi2EEEELi2ELi2ELi16ELi16ELi1ELi1ELb0ELb1ELi2EiEENS_13DynamicBufferILNS_16AddressSpaceEnumE1EKSC_lLb1ELNS_22AmdBufferCoherenceEnumE0EiEENSF_IJNS3F_ILS3G_2ESC_S1N_Lb1ELS3I_0EiEES3K_EEENSF_IJiiiEEENSE_INSF_IJNSG_INSF_IJiiiiEEENSF_IJiiiSN_EEELb0EEEEEES1T_S1V_S1U_lEENS_32ThreadwiseTensorSliceTransfer_v2ISD_SD_RKS3R_KS1X_NS5_IJLi8ELi1ELi1ELi32EEEENS5_IJLi1ELi2ELi0ELi3EEEELi3ELi32ELi0ELb1ELb0ELb0EEENS3F_ILS3G_1EKSD_lLb1ELS3I_0EiEENSF_IJNS_12StaticBufferILS3G_4ESD_Li256ELb1EEES42_EEES3N_NS_25StaticBufferTupleOfVectorILS3G_4EfLi64ELi4ELb1ELb0EEEEEvRKT1_RKT2_RT3_RKT4_RT5_RKT6_RKT7_RT8_RKT9_RT10_RKT11_RT12_iENKUlT_E1_clINSH_IiLi4EEEEEDaS51_EUlS51_E_EEvS51_EUlS51_E_EEvS51_: ; @_ZNK2ck6detail7applierIiJLi0ELi1ELi2ELi3ELi4ELi5ELi6ELi7EEEclIZNKS_11static_fordINS_8SequenceIJLi1ELi8EEEENS5_IJLi0ELi1EEEEEclIZZNKS_52BlockwiseGemmXdlops_pipeline_bpreshuffle_bdequant_v3ILNS_26BlockGemmPipelineSchedulerE0ELi256ENS_9f8_fnuz_tENS_7pk_i4_tESC_fNS_16TensorDescriptorINS_5TupleIJNS_5EmbedINSF_IJNS_17integral_constantIiLi8EEENSH_IiLi256EEENSH_IiLi16EEEEEENSF_IJSK_NSH_IiLi128EEENSH_IiLi1EEEEEELb0EEENS_3XorINSF_IJSJ_SI_EEELb1EEENS_11PassThroughISK_EENS_7UnMergeINSF_IJSI_SN_EEELb0EEENST_ISJ_EESU_NST_ISI_EENS_21Merge_v3_division_modINSF_IJSJ_SN_EEEEESU_EEENSF_IJNS5_IJLi0EEEENS5_IJLi2ELi1EEEENS5_IJLi3EEEENS5_IJLi5EEEENS5_IJLi4EEEENS5_IJLi6EEEENS5_IJLi7EEEENS5_IJLi9ELi8EEEENS5_IJLi10EEEEEEENSF_IJNS5_IJLi1ELi2ELi3EEEENS5_IJLi4ELi5EEEES19_NS5_IJLi7ELi8EEEENS5_IJLi9EEEES1C_NS5_IJLi11EEEENS5_IJLi12EEEENS5_IJLi13EEEEEEENS5_IJLi11ELi12ELi13EEEENSH_IlLl32768EEEEENSE_INSF_IJNSV_INSF_IJSI_SN_SN_NSH_IiLi32EEEEEELb0EEEEEENSF_IJS14_EEENSF_IJNS5_IJLi1ELi2ELi3ELi4EEEEEEES1U_NSH_IlLl256EEEEENSE_INSF_IJSP_SS_SU_SX_SY_SU_SZ_S12_SU_NS10_INSF_IJSI_SK_EEEEENSV_INSF_IJSI_NSH_IiLi2EEESK_EEELb0EEEEEENSF_IJS14_S15_S16_S17_S18_S19_S1A_S1B_S1C_NS5_IJLi11ELi13EEEES1J_EEENSF_IJS1E_S1F_S19_S1G_S1H_S1C_S1I_S1J_S1K_NS5_IJLi14EEEENS5_IJLi15ELi16ELi17EEEEEEENS5_IJLi15ELi16ELi17ELi14EEEES1N_EENSE_INSF_IJS1R_NS10_ISW_EES22_EEENSF_IJS14_NS5_IJLi1ELi3EEEENS5_IJLi2EEEEEEENSF_IJS1U_S17_NS5_IJLi6ELi7ELi8EEEEEEENS5_IJLi6ELi7ELi8ELi5EEEES1W_EELi16ELi32ELi256ELi256ELi128ELi16ELi16ELi8ELi8ELi32ELb0EE3RunILb1ELNS_10TailNumberE1ENSE_INSF_IJNSG_INSF_IJiiEEENSF_IJiSN_EEELb0EEENSV_IS2N_Lb0EEENST_IiEEEEENSF_IJS14_S2E_NS5_IJLi1EEEEEEENSF_IJNS5_IJLi1ELi2EEEENS5_IJLi3ELi4EEEES17_EEENS5_IJLi3ELi5ELi4EEEElEES1O_NS_35ThreadGroupTensorSliceTransfer_v4r1INS_15ThisThreadBlockILi256EEENS_16tensor_operation12element_wise11PassThroughES35_LNS_25InMemoryDataOperationEnumE0ENS5_IJLi8ELi256ELi16EEEENS5_IJLi8ELi32ELi1EEEENS5_IJLi1ELi0ELi2EEEESC_SC_RKS2Z_KS1O_S39_NS5_IJLi0ELi1ELi2EEEELi2ELi2ELi16ELi16ELi1ELi1ELb0ELb1ELi2EiEENS_13DynamicBufferILNS_16AddressSpaceEnumE1EKSC_lLb1ELNS_22AmdBufferCoherenceEnumE0EiEENSF_IJNS3F_ILS3G_2ESC_S1N_Lb1ELS3I_0EiEES3K_EEENSF_IJiiiEEENSE_INSF_IJNSG_INSF_IJiiiiEEENSF_IJiiiSN_EEELb0EEEEEES1T_S1V_S1U_lEENS_32ThreadwiseTensorSliceTransfer_v2ISD_SD_RKS3R_KS1X_NS5_IJLi8ELi1ELi1ELi32EEEENS5_IJLi1ELi2ELi0ELi3EEEELi3ELi32ELi0ELb1ELb0ELb0EEENS3F_ILS3G_1EKSD_lLb1ELS3I_0EiEENSF_IJNS_12StaticBufferILS3G_4ESD_Li256ELb1EEES42_EEES3N_NS_25StaticBufferTupleOfVectorILS3G_4EfLi64ELi4ELb1ELb0EEEEEvRKT1_RKT2_RT3_RKT4_RT5_RKT6_RKT7_RT8_RKT9_RT10_RKT11_RT12_iENKUlT_E1_clINSH_IiLi4EEEEEDaS51_EUlS51_E_EEvS51_EUlS51_E_EEvS51_
; %bb.0:
	s_waitcnt vmcnt(0) expcnt(0) lgkmcnt(0)
	flat_load_dwordx4 v[20:23], v[0:1] offset:8
	flat_load_dwordx2 v[18:19], v[0:1] offset:24
	s_movk_i32 s4, 0x7f
                                        ; implicit-def: $sgpr10
	s_waitcnt vmcnt(0) lgkmcnt(0)
	flat_load_dwordx4 v[14:17], v[20:21]
	flat_load_dwordx4 v[6:9], v[20:21] offset:16
	flat_load_dwordx4 v[10:13], v[22:23] offset:256
	flat_load_dwordx4 v[2:5], v[22:23] offset:272
	s_waitcnt vmcnt(0) lgkmcnt(0)
	v_cmp_gt_i16_sdwa s[6:7], v14, s4 src0_sel:BYTE_0 src1_sel:DWORD
	s_mov_b64 s[4:5], 0
	s_and_saveexec_b64 s[8:9], s[6:7]
	s_xor_b64 s[6:7], exec, s[8:9]
	s_cbranch_execnz .LBB56_2049
; %bb.1:
	s_or_saveexec_b64 s[6:7], s[6:7]
	v_mov_b32_e32 v20, s10
	s_xor_b64 exec, exec, s[6:7]
	s_cbranch_execnz .LBB56_2052
.LBB56_2:
	s_or_b64 exec, exec, s[6:7]
	s_and_saveexec_b64 s[6:7], s[4:5]
	s_cbranch_execz .LBB56_4
.LBB56_3:
	v_and_b32_e32 v20, 7, v14
	v_ffbh_u32_e32 v22, v20
	v_min_u32_e32 v22, 32, v22
	v_lshrrev_b16_e32 v21, 3, v14
	v_subrev_u32_e32 v23, 28, v22
	v_and_b32_e32 v21, 15, v21
	v_lshlrev_b32_e32 v23, v23, v14
	v_sub_u32_e32 v22, 29, v22
	v_and_b32_e32 v23, 7, v23
	v_cmp_eq_u16_e32 vcc, 0, v21
	v_cndmask_b32_e32 v20, v20, v23, vcc
	v_cndmask_b32_e32 v21, v21, v22, vcc
	v_lshlrev_b32_e32 v22, 24, v14
	v_mov_b32_e32 v23, 0x3b800000
	v_lshlrev_b32_e32 v20, 20, v20
	v_and_b32_e32 v22, 0x80000000, v22
	v_lshl_add_u32 v21, v21, 23, v23
	v_or3_b32 v20, v22, v21, v20
.LBB56_4:
	s_or_b64 exec, exec, s[6:7]
	s_movk_i32 s4, 0x7f
	v_cmp_gt_i16_sdwa s[6:7], v10, s4 src0_sel:BYTE_0 src1_sel:DWORD
	s_mov_b64 s[4:5], 0
                                        ; implicit-def: $sgpr10
	s_and_saveexec_b64 s[8:9], s[6:7]
	s_xor_b64 s[6:7], exec, s[8:9]
	s_cbranch_execnz .LBB56_2053
; %bb.5:
	s_or_saveexec_b64 s[6:7], s[6:7]
	v_mov_b32_e32 v21, s10
	s_xor_b64 exec, exec, s[6:7]
	s_cbranch_execnz .LBB56_2056
.LBB56_6:
	s_or_b64 exec, exec, s[6:7]
	s_and_saveexec_b64 s[6:7], s[4:5]
	s_cbranch_execz .LBB56_8
.LBB56_7:
	v_and_b32_e32 v21, 7, v10
	v_ffbh_u32_e32 v23, v21
	v_min_u32_e32 v23, 32, v23
	v_lshrrev_b16_e32 v22, 3, v10
	v_subrev_u32_e32 v24, 28, v23
	v_and_b32_e32 v22, 15, v22
	v_lshlrev_b32_e32 v24, v24, v10
	v_sub_u32_e32 v23, 29, v23
	v_and_b32_e32 v24, 7, v24
	v_cmp_eq_u16_e32 vcc, 0, v22
	v_cndmask_b32_e32 v21, v21, v24, vcc
	v_cndmask_b32_e32 v22, v22, v23, vcc
	v_lshlrev_b32_e32 v23, 24, v10
	v_mov_b32_e32 v24, 0x3b800000
	v_lshlrev_b32_e32 v21, 20, v21
	v_and_b32_e32 v23, 0x80000000, v23
	v_lshl_add_u32 v22, v22, 23, v24
	v_or3_b32 v21, v23, v22, v21
.LBB56_8:
	s_or_b64 exec, exec, s[6:7]
	flat_load_dwordx4 a[0:3], v[18:19] offset:512
	s_movk_i32 s4, 0x7f
                                        ; implicit-def: $sgpr10
	s_waitcnt vmcnt(0) lgkmcnt(0)
	v_mfma_f32_16x16x4f32 a[0:3], v20, v21, a[0:3]
	v_lshrrev_b32_e32 v21, 8, v14
	v_cmp_gt_i16_sdwa s[6:7], v21, s4 src0_sel:BYTE_0 src1_sel:DWORD
	s_mov_b64 s[4:5], 0
	s_and_saveexec_b64 s[8:9], s[6:7]
	s_xor_b64 s[6:7], exec, s[8:9]
	s_cbranch_execnz .LBB56_2057
; %bb.9:
	s_or_saveexec_b64 s[6:7], s[6:7]
	v_mov_b32_e32 v20, s10
	s_xor_b64 exec, exec, s[6:7]
	s_cbranch_execnz .LBB56_2060
.LBB56_10:
	s_or_b64 exec, exec, s[6:7]
	s_and_saveexec_b64 s[6:7], s[4:5]
	s_cbranch_execz .LBB56_12
.LBB56_11:
	v_bfe_u32 v20, v14, 8, 3
	v_ffbh_u32_e32 v23, v20
	v_min_u32_e32 v23, 32, v23
	v_lshrrev_b16_e32 v22, 3, v21
	v_subrev_u32_e32 v24, 28, v23
	v_and_b32_e32 v22, 15, v22
	v_lshlrev_b32_e32 v21, v24, v21
	v_sub_u32_e32 v23, 29, v23
	v_and_b32_e32 v21, 7, v21
	v_cmp_eq_u16_e32 vcc, 0, v22
	v_cndmask_b32_e32 v20, v20, v21, vcc
	v_cndmask_b32_e32 v21, v22, v23, vcc
	v_lshlrev_b32_e32 v22, 16, v14
	v_mov_b32_e32 v23, 0x3b800000
	v_lshlrev_b32_e32 v20, 20, v20
	v_and_b32_e32 v22, 0x80000000, v22
	v_lshl_add_u32 v21, v21, 23, v23
	v_or3_b32 v20, v22, v21, v20
.LBB56_12:
	s_or_b64 exec, exec, s[6:7]
	v_lshrrev_b32_e32 v21, 8, v10
	s_movk_i32 s4, 0x7f
	v_cmp_gt_i16_sdwa s[6:7], v21, s4 src0_sel:BYTE_0 src1_sel:DWORD
	s_mov_b64 s[4:5], 0
                                        ; implicit-def: $sgpr10
	s_and_saveexec_b64 s[8:9], s[6:7]
	s_xor_b64 s[6:7], exec, s[8:9]
	s_cbranch_execnz .LBB56_2061
; %bb.13:
	s_or_saveexec_b64 s[6:7], s[6:7]
	v_mov_b32_e32 v22, s10
	s_xor_b64 exec, exec, s[6:7]
	s_cbranch_execnz .LBB56_2064
.LBB56_14:
	s_or_b64 exec, exec, s[6:7]
	s_and_saveexec_b64 s[6:7], s[4:5]
	s_cbranch_execz .LBB56_16
.LBB56_15:
	v_bfe_u32 v22, v10, 8, 3
	v_ffbh_u32_e32 v24, v22
	v_min_u32_e32 v24, 32, v24
	v_lshrrev_b16_e32 v23, 3, v21
	v_subrev_u32_e32 v25, 28, v24
	v_and_b32_e32 v23, 15, v23
	v_lshlrev_b32_e32 v21, v25, v21
	v_sub_u32_e32 v24, 29, v24
	v_and_b32_e32 v21, 7, v21
	v_cmp_eq_u16_e32 vcc, 0, v23
	v_cndmask_b32_e32 v21, v22, v21, vcc
	v_cndmask_b32_e32 v22, v23, v24, vcc
	v_lshlrev_b32_e32 v23, 16, v10
	v_mov_b32_e32 v24, 0x3b800000
	v_lshlrev_b32_e32 v21, 20, v21
	v_and_b32_e32 v23, 0x80000000, v23
	v_lshl_add_u32 v22, v22, 23, v24
	v_or3_b32 v22, v23, v22, v21
.LBB56_16:
	s_or_b64 exec, exec, s[6:7]
	s_nop 0
	v_mfma_f32_16x16x4f32 a[0:3], v20, v22, a[0:3]
	s_movk_i32 s4, 0xff
	v_and_b32_sdwa v21, v14, s4 dst_sel:DWORD dst_unused:UNUSED_PAD src0_sel:WORD_1 src1_sel:DWORD
	s_movk_i32 s4, 0x7f
	v_cmp_lt_i16_e32 vcc, s4, v21
	s_mov_b64 s[4:5], 0
                                        ; implicit-def: $sgpr10
	s_and_saveexec_b64 s[6:7], vcc
	s_xor_b64 s[6:7], exec, s[6:7]
	s_cbranch_execnz .LBB56_2065
; %bb.17:
	s_or_saveexec_b64 s[6:7], s[6:7]
	v_mov_b32_e32 v20, s10
	s_xor_b64 exec, exec, s[6:7]
	s_cbranch_execnz .LBB56_2068
.LBB56_18:
	s_or_b64 exec, exec, s[6:7]
	s_and_saveexec_b64 s[6:7], s[4:5]
	s_cbranch_execz .LBB56_20
.LBB56_19:
	v_bfe_u32 v20, v14, 16, 3
	v_ffbh_u32_e32 v23, v20
	v_min_u32_e32 v23, 32, v23
	v_lshrrev_b32_e32 v21, 19, v14
	v_subrev_u32_e32 v24, 28, v23
	v_and_b32_e32 v21, 15, v21
	v_lshlrev_b32_sdwa v24, v24, v14 dst_sel:DWORD dst_unused:UNUSED_PAD src0_sel:DWORD src1_sel:WORD_1
	v_bfe_u32 v22, v14, 19, 4
	v_sub_u32_e32 v23, 29, v23
	v_and_b32_e32 v24, 7, v24
	v_cmp_eq_u16_e32 vcc, 0, v21
	v_cndmask_b32_e32 v20, v20, v24, vcc
	v_cndmask_b32_e32 v21, v22, v23, vcc
	v_lshlrev_b32_e32 v22, 8, v14
	v_mov_b32_e32 v23, 0x3b800000
	v_lshlrev_b32_e32 v20, 20, v20
	v_and_b32_e32 v22, 0x80000000, v22
	v_lshl_add_u32 v21, v21, 23, v23
	v_or3_b32 v20, v22, v21, v20
.LBB56_20:
	s_or_b64 exec, exec, s[6:7]
	s_movk_i32 s4, 0xff
	v_and_b32_sdwa v21, v10, s4 dst_sel:DWORD dst_unused:UNUSED_PAD src0_sel:WORD_1 src1_sel:DWORD
	s_movk_i32 s4, 0x7f
	v_cmp_lt_i16_e32 vcc, s4, v21
	s_mov_b64 s[4:5], 0
                                        ; implicit-def: $sgpr10
	s_and_saveexec_b64 s[6:7], vcc
	s_xor_b64 s[6:7], exec, s[6:7]
	s_cbranch_execnz .LBB56_2069
; %bb.21:
	s_or_saveexec_b64 s[6:7], s[6:7]
	v_mov_b32_e32 v22, s10
	s_xor_b64 exec, exec, s[6:7]
	s_cbranch_execnz .LBB56_2072
.LBB56_22:
	s_or_b64 exec, exec, s[6:7]
	s_and_saveexec_b64 s[6:7], s[4:5]
	s_cbranch_execz .LBB56_24
.LBB56_23:
	v_bfe_u32 v21, v10, 16, 3
	v_ffbh_u32_e32 v24, v21
	v_min_u32_e32 v24, 32, v24
	v_lshrrev_b32_e32 v22, 19, v10
	v_subrev_u32_e32 v25, 28, v24
	v_and_b32_e32 v22, 15, v22
	v_lshlrev_b32_sdwa v25, v25, v10 dst_sel:DWORD dst_unused:UNUSED_PAD src0_sel:DWORD src1_sel:WORD_1
	v_bfe_u32 v23, v10, 19, 4
	v_sub_u32_e32 v24, 29, v24
	v_and_b32_e32 v25, 7, v25
	v_cmp_eq_u16_e32 vcc, 0, v22
	v_cndmask_b32_e32 v21, v21, v25, vcc
	v_cndmask_b32_e32 v22, v23, v24, vcc
	v_lshlrev_b32_e32 v23, 8, v10
	v_mov_b32_e32 v24, 0x3b800000
	v_lshlrev_b32_e32 v21, 20, v21
	v_and_b32_e32 v23, 0x80000000, v23
	v_lshl_add_u32 v22, v22, 23, v24
	v_or3_b32 v22, v23, v22, v21
.LBB56_24:
	s_or_b64 exec, exec, s[6:7]
	s_nop 0
	v_mfma_f32_16x16x4f32 a[0:3], v20, v22, a[0:3]
	s_movk_i32 s4, 0x7f
	v_cmp_gt_i16_sdwa s[6:7], v14, s4 src0_sel:BYTE_3 src1_sel:DWORD
	s_mov_b64 s[4:5], 0
                                        ; implicit-def: $sgpr10
	s_and_saveexec_b64 s[8:9], s[6:7]
	s_xor_b64 s[6:7], exec, s[8:9]
	s_cbranch_execnz .LBB56_2073
; %bb.25:
	s_or_saveexec_b64 s[6:7], s[6:7]
	v_mov_b32_e32 v20, s10
	s_xor_b64 exec, exec, s[6:7]
	s_cbranch_execnz .LBB56_2076
.LBB56_26:
	s_or_b64 exec, exec, s[6:7]
	s_and_saveexec_b64 s[6:7], s[4:5]
	s_cbranch_execz .LBB56_28
.LBB56_27:
	v_bfe_u32 v20, v14, 24, 3
	v_ffbh_u32_e32 v24, v20
	v_min_u32_e32 v24, 32, v24
	v_lshrrev_b32_e32 v22, 27, v14
	v_subrev_u32_e32 v25, 28, v24
	v_and_b32_e32 v21, 0x80000000, v14
	v_and_b32_e32 v22, 15, v22
	v_bfe_u32 v23, v14, 27, 4
	v_lshlrev_b32_sdwa v14, v25, v14 dst_sel:DWORD dst_unused:UNUSED_PAD src0_sel:DWORD src1_sel:BYTE_3
	v_sub_u32_e32 v24, 29, v24
	v_and_b32_e32 v14, 7, v14
	v_cmp_eq_u16_e32 vcc, 0, v22
	v_cndmask_b32_e32 v14, v20, v14, vcc
	v_cndmask_b32_e32 v20, v23, v24, vcc
	v_mov_b32_e32 v22, 0x3b800000
	v_lshlrev_b32_e32 v14, 20, v14
	v_lshl_add_u32 v20, v20, 23, v22
	v_or3_b32 v20, v21, v20, v14
.LBB56_28:
	s_or_b64 exec, exec, s[6:7]
	s_movk_i32 s4, 0x7f
	v_cmp_gt_i16_sdwa s[6:7], v10, s4 src0_sel:BYTE_3 src1_sel:DWORD
	s_mov_b64 s[4:5], 0
                                        ; implicit-def: $sgpr10
	s_and_saveexec_b64 s[8:9], s[6:7]
	s_xor_b64 s[6:7], exec, s[8:9]
	s_cbranch_execnz .LBB56_2077
; %bb.29:
	s_or_saveexec_b64 s[6:7], s[6:7]
	v_mov_b32_e32 v14, s10
	s_xor_b64 exec, exec, s[6:7]
	s_cbranch_execnz .LBB56_2080
.LBB56_30:
	s_or_b64 exec, exec, s[6:7]
	s_and_saveexec_b64 s[6:7], s[4:5]
	s_cbranch_execz .LBB56_32
.LBB56_31:
	v_bfe_u32 v14, v10, 24, 3
	v_ffbh_u32_e32 v24, v14
	v_min_u32_e32 v24, 32, v24
	v_lshrrev_b32_e32 v22, 27, v10
	v_subrev_u32_e32 v25, 28, v24
	v_and_b32_e32 v21, 0x80000000, v10
	v_and_b32_e32 v22, 15, v22
	v_bfe_u32 v23, v10, 27, 4
	v_lshlrev_b32_sdwa v10, v25, v10 dst_sel:DWORD dst_unused:UNUSED_PAD src0_sel:DWORD src1_sel:BYTE_3
	v_sub_u32_e32 v24, 29, v24
	v_and_b32_e32 v10, 7, v10
	v_cmp_eq_u16_e32 vcc, 0, v22
	v_cndmask_b32_e32 v10, v14, v10, vcc
	v_cndmask_b32_e32 v14, v23, v24, vcc
	v_mov_b32_e32 v22, 0x3b800000
	v_lshlrev_b32_e32 v10, 20, v10
	v_lshl_add_u32 v14, v14, 23, v22
	v_or3_b32 v14, v21, v14, v10
.LBB56_32:
	s_or_b64 exec, exec, s[6:7]
	s_nop 0
	v_mfma_f32_16x16x4f32 a[0:3], v20, v14, a[0:3]
	s_movk_i32 s4, 0x7f
	v_cmp_gt_i16_sdwa s[6:7], v15, s4 src0_sel:BYTE_0 src1_sel:DWORD
	s_mov_b64 s[4:5], 0
                                        ; implicit-def: $sgpr10
	s_and_saveexec_b64 s[8:9], s[6:7]
	s_xor_b64 s[6:7], exec, s[8:9]
	s_cbranch_execnz .LBB56_2081
; %bb.33:
	s_or_saveexec_b64 s[6:7], s[6:7]
	v_mov_b32_e32 v10, s10
	s_xor_b64 exec, exec, s[6:7]
	s_cbranch_execnz .LBB56_2084
.LBB56_34:
	s_or_b64 exec, exec, s[6:7]
	s_and_saveexec_b64 s[6:7], s[4:5]
	s_cbranch_execz .LBB56_36
.LBB56_35:
	v_and_b32_e32 v10, 7, v15
	v_ffbh_u32_e32 v20, v10
	v_min_u32_e32 v20, 32, v20
	v_lshrrev_b16_e32 v14, 3, v15
	v_subrev_u32_e32 v21, 28, v20
	v_and_b32_e32 v14, 15, v14
	v_lshlrev_b32_e32 v21, v21, v15
	v_sub_u32_e32 v20, 29, v20
	v_and_b32_e32 v21, 7, v21
	v_cmp_eq_u16_e32 vcc, 0, v14
	v_cndmask_b32_e32 v10, v10, v21, vcc
	v_cndmask_b32_e32 v14, v14, v20, vcc
	v_lshlrev_b32_e32 v20, 24, v15
	v_mov_b32_e32 v21, 0x3b800000
	v_lshlrev_b32_e32 v10, 20, v10
	v_and_b32_e32 v20, 0x80000000, v20
	v_lshl_add_u32 v14, v14, 23, v21
	v_or3_b32 v10, v20, v14, v10
.LBB56_36:
	s_or_b64 exec, exec, s[6:7]
	s_movk_i32 s4, 0x7f
	v_cmp_gt_i16_sdwa s[6:7], v11, s4 src0_sel:BYTE_0 src1_sel:DWORD
	s_mov_b64 s[4:5], 0
                                        ; implicit-def: $sgpr10
	s_and_saveexec_b64 s[8:9], s[6:7]
	s_xor_b64 s[6:7], exec, s[8:9]
	s_cbranch_execnz .LBB56_2085
; %bb.37:
	s_or_saveexec_b64 s[6:7], s[6:7]
	v_mov_b32_e32 v14, s10
	s_xor_b64 exec, exec, s[6:7]
	s_cbranch_execnz .LBB56_2088
.LBB56_38:
	s_or_b64 exec, exec, s[6:7]
	s_and_saveexec_b64 s[6:7], s[4:5]
	s_cbranch_execz .LBB56_40
.LBB56_39:
	v_and_b32_e32 v14, 7, v11
	v_ffbh_u32_e32 v21, v14
	v_min_u32_e32 v21, 32, v21
	v_lshrrev_b16_e32 v20, 3, v11
	v_subrev_u32_e32 v22, 28, v21
	v_and_b32_e32 v20, 15, v20
	v_lshlrev_b32_e32 v22, v22, v11
	v_sub_u32_e32 v21, 29, v21
	v_and_b32_e32 v22, 7, v22
	v_cmp_eq_u16_e32 vcc, 0, v20
	v_cndmask_b32_e32 v14, v14, v22, vcc
	v_cndmask_b32_e32 v20, v20, v21, vcc
	v_lshlrev_b32_e32 v21, 24, v11
	v_mov_b32_e32 v22, 0x3b800000
	v_lshlrev_b32_e32 v14, 20, v14
	v_and_b32_e32 v21, 0x80000000, v21
	v_lshl_add_u32 v20, v20, 23, v22
	v_or3_b32 v14, v21, v20, v14
.LBB56_40:
	s_or_b64 exec, exec, s[6:7]
	s_nop 0
	v_mfma_f32_16x16x4f32 a[0:3], v10, v14, a[0:3]
	v_lshrrev_b32_e32 v14, 8, v15
	s_movk_i32 s4, 0x7f
	v_cmp_gt_i16_sdwa s[6:7], v14, s4 src0_sel:BYTE_0 src1_sel:DWORD
	s_mov_b64 s[4:5], 0
                                        ; implicit-def: $sgpr10
	s_and_saveexec_b64 s[8:9], s[6:7]
	s_xor_b64 s[6:7], exec, s[8:9]
	s_cbranch_execnz .LBB56_2089
; %bb.41:
	s_or_saveexec_b64 s[6:7], s[6:7]
	v_mov_b32_e32 v10, s10
	s_xor_b64 exec, exec, s[6:7]
	s_cbranch_execnz .LBB56_2092
.LBB56_42:
	s_or_b64 exec, exec, s[6:7]
	s_and_saveexec_b64 s[6:7], s[4:5]
	s_cbranch_execz .LBB56_44
.LBB56_43:
	v_bfe_u32 v10, v15, 8, 3
	v_ffbh_u32_e32 v21, v10
	v_min_u32_e32 v21, 32, v21
	v_lshrrev_b16_e32 v20, 3, v14
	v_subrev_u32_e32 v22, 28, v21
	v_and_b32_e32 v20, 15, v20
	v_lshlrev_b32_e32 v14, v22, v14
	v_sub_u32_e32 v21, 29, v21
	v_and_b32_e32 v14, 7, v14
	v_cmp_eq_u16_e32 vcc, 0, v20
	v_cndmask_b32_e32 v10, v10, v14, vcc
	v_cndmask_b32_e32 v14, v20, v21, vcc
	v_lshlrev_b32_e32 v20, 16, v15
	v_mov_b32_e32 v21, 0x3b800000
	v_lshlrev_b32_e32 v10, 20, v10
	v_and_b32_e32 v20, 0x80000000, v20
	v_lshl_add_u32 v14, v14, 23, v21
	v_or3_b32 v10, v20, v14, v10
.LBB56_44:
	s_or_b64 exec, exec, s[6:7]
	v_lshrrev_b32_e32 v14, 8, v11
	s_movk_i32 s4, 0x7f
	v_cmp_gt_i16_sdwa s[6:7], v14, s4 src0_sel:BYTE_0 src1_sel:DWORD
	s_mov_b64 s[4:5], 0
                                        ; implicit-def: $sgpr10
	s_and_saveexec_b64 s[8:9], s[6:7]
	s_xor_b64 s[6:7], exec, s[8:9]
	s_cbranch_execnz .LBB56_2093
; %bb.45:
	s_or_saveexec_b64 s[6:7], s[6:7]
	v_mov_b32_e32 v20, s10
	s_xor_b64 exec, exec, s[6:7]
	s_cbranch_execnz .LBB56_2096
.LBB56_46:
	s_or_b64 exec, exec, s[6:7]
	s_and_saveexec_b64 s[6:7], s[4:5]
	s_cbranch_execz .LBB56_48
.LBB56_47:
	v_bfe_u32 v20, v11, 8, 3
	v_ffbh_u32_e32 v22, v20
	v_min_u32_e32 v22, 32, v22
	v_lshrrev_b16_e32 v21, 3, v14
	v_subrev_u32_e32 v23, 28, v22
	v_and_b32_e32 v21, 15, v21
	v_lshlrev_b32_e32 v14, v23, v14
	v_sub_u32_e32 v22, 29, v22
	v_and_b32_e32 v14, 7, v14
	v_cmp_eq_u16_e32 vcc, 0, v21
	v_cndmask_b32_e32 v14, v20, v14, vcc
	v_cndmask_b32_e32 v20, v21, v22, vcc
	v_lshlrev_b32_e32 v21, 16, v11
	v_mov_b32_e32 v22, 0x3b800000
	v_lshlrev_b32_e32 v14, 20, v14
	v_and_b32_e32 v21, 0x80000000, v21
	v_lshl_add_u32 v20, v20, 23, v22
	v_or3_b32 v20, v21, v20, v14
.LBB56_48:
	s_or_b64 exec, exec, s[6:7]
	s_nop 0
	v_mfma_f32_16x16x4f32 a[0:3], v10, v20, a[0:3]
	s_movk_i32 s4, 0xff
	v_and_b32_sdwa v14, v15, s4 dst_sel:DWORD dst_unused:UNUSED_PAD src0_sel:WORD_1 src1_sel:DWORD
	s_movk_i32 s4, 0x7f
	v_cmp_lt_i16_e32 vcc, s4, v14
	s_mov_b64 s[4:5], 0
                                        ; implicit-def: $sgpr10
	s_and_saveexec_b64 s[6:7], vcc
	s_xor_b64 s[6:7], exec, s[6:7]
	s_cbranch_execnz .LBB56_2097
; %bb.49:
	s_or_saveexec_b64 s[6:7], s[6:7]
	v_mov_b32_e32 v10, s10
	s_xor_b64 exec, exec, s[6:7]
	s_cbranch_execnz .LBB56_2100
.LBB56_50:
	s_or_b64 exec, exec, s[6:7]
	s_and_saveexec_b64 s[6:7], s[4:5]
	s_cbranch_execz .LBB56_52
.LBB56_51:
	v_bfe_u32 v10, v15, 16, 3
	v_ffbh_u32_e32 v21, v10
	v_min_u32_e32 v21, 32, v21
	v_lshrrev_b32_e32 v14, 19, v15
	v_subrev_u32_e32 v22, 28, v21
	v_and_b32_e32 v14, 15, v14
	v_lshlrev_b32_sdwa v22, v22, v15 dst_sel:DWORD dst_unused:UNUSED_PAD src0_sel:DWORD src1_sel:WORD_1
	v_bfe_u32 v20, v15, 19, 4
	v_sub_u32_e32 v21, 29, v21
	v_and_b32_e32 v22, 7, v22
	v_cmp_eq_u16_e32 vcc, 0, v14
	v_cndmask_b32_e32 v10, v10, v22, vcc
	v_cndmask_b32_e32 v14, v20, v21, vcc
	v_lshlrev_b32_e32 v20, 8, v15
	v_mov_b32_e32 v21, 0x3b800000
	v_lshlrev_b32_e32 v10, 20, v10
	v_and_b32_e32 v20, 0x80000000, v20
	v_lshl_add_u32 v14, v14, 23, v21
	v_or3_b32 v10, v20, v14, v10
.LBB56_52:
	s_or_b64 exec, exec, s[6:7]
	s_movk_i32 s4, 0xff
	v_and_b32_sdwa v14, v11, s4 dst_sel:DWORD dst_unused:UNUSED_PAD src0_sel:WORD_1 src1_sel:DWORD
	s_movk_i32 s4, 0x7f
	v_cmp_lt_i16_e32 vcc, s4, v14
	s_mov_b64 s[4:5], 0
                                        ; implicit-def: $sgpr10
	s_and_saveexec_b64 s[6:7], vcc
	s_xor_b64 s[6:7], exec, s[6:7]
	s_cbranch_execnz .LBB56_2101
; %bb.53:
	s_or_saveexec_b64 s[6:7], s[6:7]
	v_mov_b32_e32 v20, s10
	s_xor_b64 exec, exec, s[6:7]
	s_cbranch_execnz .LBB56_2104
.LBB56_54:
	s_or_b64 exec, exec, s[6:7]
	s_and_saveexec_b64 s[6:7], s[4:5]
	s_cbranch_execz .LBB56_56
.LBB56_55:
	v_bfe_u32 v14, v11, 16, 3
	v_ffbh_u32_e32 v22, v14
	v_min_u32_e32 v22, 32, v22
	v_lshrrev_b32_e32 v20, 19, v11
	v_subrev_u32_e32 v23, 28, v22
	v_and_b32_e32 v20, 15, v20
	v_lshlrev_b32_sdwa v23, v23, v11 dst_sel:DWORD dst_unused:UNUSED_PAD src0_sel:DWORD src1_sel:WORD_1
	v_bfe_u32 v21, v11, 19, 4
	v_sub_u32_e32 v22, 29, v22
	v_and_b32_e32 v23, 7, v23
	v_cmp_eq_u16_e32 vcc, 0, v20
	v_cndmask_b32_e32 v14, v14, v23, vcc
	v_cndmask_b32_e32 v20, v21, v22, vcc
	v_lshlrev_b32_e32 v21, 8, v11
	v_mov_b32_e32 v22, 0x3b800000
	v_lshlrev_b32_e32 v14, 20, v14
	v_and_b32_e32 v21, 0x80000000, v21
	v_lshl_add_u32 v20, v20, 23, v22
	v_or3_b32 v20, v21, v20, v14
.LBB56_56:
	s_or_b64 exec, exec, s[6:7]
	s_nop 0
	v_mfma_f32_16x16x4f32 a[0:3], v10, v20, a[0:3]
	s_movk_i32 s4, 0x7f
	v_cmp_gt_i16_sdwa s[6:7], v15, s4 src0_sel:BYTE_3 src1_sel:DWORD
	s_mov_b64 s[4:5], 0
                                        ; implicit-def: $sgpr10
	s_and_saveexec_b64 s[8:9], s[6:7]
	s_xor_b64 s[6:7], exec, s[8:9]
	s_cbranch_execnz .LBB56_2105
; %bb.57:
	s_or_saveexec_b64 s[6:7], s[6:7]
	v_mov_b32_e32 v10, s10
	s_xor_b64 exec, exec, s[6:7]
	s_cbranch_execnz .LBB56_2108
.LBB56_58:
	s_or_b64 exec, exec, s[6:7]
	s_and_saveexec_b64 s[6:7], s[4:5]
	s_cbranch_execz .LBB56_60
.LBB56_59:
	v_bfe_u32 v10, v15, 24, 3
	v_ffbh_u32_e32 v22, v10
	v_min_u32_e32 v22, 32, v22
	v_lshrrev_b32_e32 v20, 27, v15
	v_subrev_u32_e32 v23, 28, v22
	v_and_b32_e32 v14, 0x80000000, v15
	v_and_b32_e32 v20, 15, v20
	v_bfe_u32 v21, v15, 27, 4
	v_lshlrev_b32_sdwa v15, v23, v15 dst_sel:DWORD dst_unused:UNUSED_PAD src0_sel:DWORD src1_sel:BYTE_3
	v_sub_u32_e32 v22, 29, v22
	v_and_b32_e32 v15, 7, v15
	v_cmp_eq_u16_e32 vcc, 0, v20
	v_cndmask_b32_e32 v10, v10, v15, vcc
	v_cndmask_b32_e32 v15, v21, v22, vcc
	v_mov_b32_e32 v20, 0x3b800000
	v_lshlrev_b32_e32 v10, 20, v10
	v_lshl_add_u32 v15, v15, 23, v20
	v_or3_b32 v10, v14, v15, v10
.LBB56_60:
	s_or_b64 exec, exec, s[6:7]
	s_movk_i32 s4, 0x7f
	v_cmp_gt_i16_sdwa s[6:7], v11, s4 src0_sel:BYTE_3 src1_sel:DWORD
	s_mov_b64 s[4:5], 0
                                        ; implicit-def: $sgpr10
	s_and_saveexec_b64 s[8:9], s[6:7]
	s_xor_b64 s[6:7], exec, s[8:9]
	s_cbranch_execnz .LBB56_2109
; %bb.61:
	s_or_saveexec_b64 s[6:7], s[6:7]
	v_mov_b32_e32 v14, s10
	s_xor_b64 exec, exec, s[6:7]
	s_cbranch_execnz .LBB56_2112
.LBB56_62:
	s_or_b64 exec, exec, s[6:7]
	s_and_saveexec_b64 s[6:7], s[4:5]
	s_cbranch_execz .LBB56_64
.LBB56_63:
	v_bfe_u32 v14, v11, 24, 3
	v_ffbh_u32_e32 v22, v14
	v_min_u32_e32 v22, 32, v22
	v_lshrrev_b32_e32 v20, 27, v11
	v_subrev_u32_e32 v23, 28, v22
	v_and_b32_e32 v15, 0x80000000, v11
	v_and_b32_e32 v20, 15, v20
	v_bfe_u32 v21, v11, 27, 4
	v_lshlrev_b32_sdwa v11, v23, v11 dst_sel:DWORD dst_unused:UNUSED_PAD src0_sel:DWORD src1_sel:BYTE_3
	v_sub_u32_e32 v22, 29, v22
	v_and_b32_e32 v11, 7, v11
	v_cmp_eq_u16_e32 vcc, 0, v20
	v_cndmask_b32_e32 v11, v14, v11, vcc
	v_cndmask_b32_e32 v14, v21, v22, vcc
	v_mov_b32_e32 v20, 0x3b800000
	v_lshlrev_b32_e32 v11, 20, v11
	v_lshl_add_u32 v14, v14, 23, v20
	v_or3_b32 v14, v15, v14, v11
.LBB56_64:
	s_or_b64 exec, exec, s[6:7]
	s_nop 0
	v_mfma_f32_16x16x4f32 a[0:3], v10, v14, a[0:3]
	s_movk_i32 s4, 0x7f
	v_cmp_gt_i16_sdwa s[6:7], v16, s4 src0_sel:BYTE_0 src1_sel:DWORD
	s_mov_b64 s[4:5], 0
                                        ; implicit-def: $sgpr10
	s_and_saveexec_b64 s[8:9], s[6:7]
	s_xor_b64 s[6:7], exec, s[8:9]
	s_cbranch_execnz .LBB56_2113
; %bb.65:
	s_or_saveexec_b64 s[6:7], s[6:7]
	v_mov_b32_e32 v10, s10
	s_xor_b64 exec, exec, s[6:7]
	s_cbranch_execnz .LBB56_2116
.LBB56_66:
	s_or_b64 exec, exec, s[6:7]
	s_and_saveexec_b64 s[6:7], s[4:5]
	s_cbranch_execz .LBB56_68
.LBB56_67:
	v_and_b32_e32 v10, 7, v16
	v_ffbh_u32_e32 v14, v10
	v_min_u32_e32 v14, 32, v14
	v_lshrrev_b16_e32 v11, 3, v16
	v_subrev_u32_e32 v15, 28, v14
	v_and_b32_e32 v11, 15, v11
	v_lshlrev_b32_e32 v15, v15, v16
	v_sub_u32_e32 v14, 29, v14
	v_and_b32_e32 v15, 7, v15
	v_cmp_eq_u16_e32 vcc, 0, v11
	v_cndmask_b32_e32 v10, v10, v15, vcc
	v_cndmask_b32_e32 v11, v11, v14, vcc
	v_lshlrev_b32_e32 v14, 24, v16
	v_mov_b32_e32 v15, 0x3b800000
	v_lshlrev_b32_e32 v10, 20, v10
	v_and_b32_e32 v14, 0x80000000, v14
	v_lshl_add_u32 v11, v11, 23, v15
	v_or3_b32 v10, v14, v11, v10
.LBB56_68:
	s_or_b64 exec, exec, s[6:7]
	s_movk_i32 s4, 0x7f
	v_cmp_gt_i16_sdwa s[6:7], v12, s4 src0_sel:BYTE_0 src1_sel:DWORD
	s_mov_b64 s[4:5], 0
                                        ; implicit-def: $sgpr10
	s_and_saveexec_b64 s[8:9], s[6:7]
	s_xor_b64 s[6:7], exec, s[8:9]
	s_cbranch_execnz .LBB56_2117
; %bb.69:
	s_or_saveexec_b64 s[6:7], s[6:7]
	v_mov_b32_e32 v11, s10
	s_xor_b64 exec, exec, s[6:7]
	s_cbranch_execnz .LBB56_2120
.LBB56_70:
	s_or_b64 exec, exec, s[6:7]
	s_and_saveexec_b64 s[6:7], s[4:5]
	s_cbranch_execz .LBB56_72
.LBB56_71:
	v_and_b32_e32 v11, 7, v12
	v_ffbh_u32_e32 v15, v11
	v_min_u32_e32 v15, 32, v15
	v_lshrrev_b16_e32 v14, 3, v12
	v_subrev_u32_e32 v20, 28, v15
	v_and_b32_e32 v14, 15, v14
	v_lshlrev_b32_e32 v20, v20, v12
	v_sub_u32_e32 v15, 29, v15
	v_and_b32_e32 v20, 7, v20
	v_cmp_eq_u16_e32 vcc, 0, v14
	v_cndmask_b32_e32 v11, v11, v20, vcc
	v_cndmask_b32_e32 v14, v14, v15, vcc
	v_lshlrev_b32_e32 v15, 24, v12
	v_mov_b32_e32 v20, 0x3b800000
	v_lshlrev_b32_e32 v11, 20, v11
	v_and_b32_e32 v15, 0x80000000, v15
	v_lshl_add_u32 v14, v14, 23, v20
	v_or3_b32 v11, v15, v14, v11
.LBB56_72:
	s_or_b64 exec, exec, s[6:7]
	s_nop 0
	v_mfma_f32_16x16x4f32 a[0:3], v10, v11, a[0:3]
	v_lshrrev_b32_e32 v11, 8, v16
	s_movk_i32 s4, 0x7f
	v_cmp_gt_i16_sdwa s[6:7], v11, s4 src0_sel:BYTE_0 src1_sel:DWORD
	s_mov_b64 s[4:5], 0
                                        ; implicit-def: $sgpr10
	s_and_saveexec_b64 s[8:9], s[6:7]
	s_xor_b64 s[6:7], exec, s[8:9]
	s_cbranch_execnz .LBB56_2121
; %bb.73:
	s_or_saveexec_b64 s[6:7], s[6:7]
	v_mov_b32_e32 v10, s10
	s_xor_b64 exec, exec, s[6:7]
	s_cbranch_execnz .LBB56_2124
.LBB56_74:
	s_or_b64 exec, exec, s[6:7]
	s_and_saveexec_b64 s[6:7], s[4:5]
	s_cbranch_execz .LBB56_76
.LBB56_75:
	v_bfe_u32 v10, v16, 8, 3
	v_ffbh_u32_e32 v15, v10
	v_min_u32_e32 v15, 32, v15
	v_lshrrev_b16_e32 v14, 3, v11
	v_subrev_u32_e32 v20, 28, v15
	v_and_b32_e32 v14, 15, v14
	v_lshlrev_b32_e32 v11, v20, v11
	v_sub_u32_e32 v15, 29, v15
	v_and_b32_e32 v11, 7, v11
	v_cmp_eq_u16_e32 vcc, 0, v14
	v_cndmask_b32_e32 v10, v10, v11, vcc
	v_cndmask_b32_e32 v11, v14, v15, vcc
	v_lshlrev_b32_e32 v14, 16, v16
	v_mov_b32_e32 v15, 0x3b800000
	v_lshlrev_b32_e32 v10, 20, v10
	v_and_b32_e32 v14, 0x80000000, v14
	v_lshl_add_u32 v11, v11, 23, v15
	v_or3_b32 v10, v14, v11, v10
.LBB56_76:
	s_or_b64 exec, exec, s[6:7]
	v_lshrrev_b32_e32 v11, 8, v12
	s_movk_i32 s4, 0x7f
	v_cmp_gt_i16_sdwa s[6:7], v11, s4 src0_sel:BYTE_0 src1_sel:DWORD
	s_mov_b64 s[4:5], 0
                                        ; implicit-def: $sgpr10
	s_and_saveexec_b64 s[8:9], s[6:7]
	s_xor_b64 s[6:7], exec, s[8:9]
	s_cbranch_execnz .LBB56_2125
; %bb.77:
	s_or_saveexec_b64 s[6:7], s[6:7]
	v_mov_b32_e32 v14, s10
	s_xor_b64 exec, exec, s[6:7]
	s_cbranch_execnz .LBB56_2128
.LBB56_78:
	s_or_b64 exec, exec, s[6:7]
	s_and_saveexec_b64 s[6:7], s[4:5]
	s_cbranch_execz .LBB56_80
.LBB56_79:
	v_bfe_u32 v14, v12, 8, 3
	v_ffbh_u32_e32 v20, v14
	v_min_u32_e32 v20, 32, v20
	v_lshrrev_b16_e32 v15, 3, v11
	v_subrev_u32_e32 v21, 28, v20
	v_and_b32_e32 v15, 15, v15
	v_lshlrev_b32_e32 v11, v21, v11
	v_sub_u32_e32 v20, 29, v20
	v_and_b32_e32 v11, 7, v11
	v_cmp_eq_u16_e32 vcc, 0, v15
	v_cndmask_b32_e32 v11, v14, v11, vcc
	v_cndmask_b32_e32 v14, v15, v20, vcc
	v_lshlrev_b32_e32 v15, 16, v12
	v_mov_b32_e32 v20, 0x3b800000
	v_lshlrev_b32_e32 v11, 20, v11
	v_and_b32_e32 v15, 0x80000000, v15
	v_lshl_add_u32 v14, v14, 23, v20
	v_or3_b32 v14, v15, v14, v11
.LBB56_80:
	s_or_b64 exec, exec, s[6:7]
	s_nop 0
	v_mfma_f32_16x16x4f32 a[0:3], v10, v14, a[0:3]
	s_movk_i32 s4, 0xff
	v_and_b32_sdwa v11, v16, s4 dst_sel:DWORD dst_unused:UNUSED_PAD src0_sel:WORD_1 src1_sel:DWORD
	s_movk_i32 s4, 0x7f
	v_cmp_lt_i16_e32 vcc, s4, v11
	s_mov_b64 s[4:5], 0
                                        ; implicit-def: $sgpr10
	s_and_saveexec_b64 s[6:7], vcc
	s_xor_b64 s[6:7], exec, s[6:7]
	s_cbranch_execnz .LBB56_2129
; %bb.81:
	s_or_saveexec_b64 s[6:7], s[6:7]
	v_mov_b32_e32 v10, s10
	s_xor_b64 exec, exec, s[6:7]
	s_cbranch_execnz .LBB56_2132
.LBB56_82:
	s_or_b64 exec, exec, s[6:7]
	s_and_saveexec_b64 s[6:7], s[4:5]
	s_cbranch_execz .LBB56_84
.LBB56_83:
	v_bfe_u32 v10, v16, 16, 3
	v_ffbh_u32_e32 v15, v10
	v_min_u32_e32 v15, 32, v15
	v_lshrrev_b32_e32 v11, 19, v16
	v_subrev_u32_e32 v20, 28, v15
	v_and_b32_e32 v11, 15, v11
	v_lshlrev_b32_sdwa v20, v20, v16 dst_sel:DWORD dst_unused:UNUSED_PAD src0_sel:DWORD src1_sel:WORD_1
	v_bfe_u32 v14, v16, 19, 4
	v_sub_u32_e32 v15, 29, v15
	v_and_b32_e32 v20, 7, v20
	v_cmp_eq_u16_e32 vcc, 0, v11
	v_cndmask_b32_e32 v10, v10, v20, vcc
	v_cndmask_b32_e32 v11, v14, v15, vcc
	v_lshlrev_b32_e32 v14, 8, v16
	v_mov_b32_e32 v15, 0x3b800000
	v_lshlrev_b32_e32 v10, 20, v10
	v_and_b32_e32 v14, 0x80000000, v14
	v_lshl_add_u32 v11, v11, 23, v15
	v_or3_b32 v10, v14, v11, v10
.LBB56_84:
	s_or_b64 exec, exec, s[6:7]
	s_movk_i32 s4, 0xff
	v_and_b32_sdwa v11, v12, s4 dst_sel:DWORD dst_unused:UNUSED_PAD src0_sel:WORD_1 src1_sel:DWORD
	s_movk_i32 s4, 0x7f
	v_cmp_lt_i16_e32 vcc, s4, v11
	s_mov_b64 s[4:5], 0
                                        ; implicit-def: $sgpr10
	s_and_saveexec_b64 s[6:7], vcc
	s_xor_b64 s[6:7], exec, s[6:7]
	s_cbranch_execnz .LBB56_2133
; %bb.85:
	s_or_saveexec_b64 s[6:7], s[6:7]
	v_mov_b32_e32 v14, s10
	s_xor_b64 exec, exec, s[6:7]
	s_cbranch_execnz .LBB56_2136
.LBB56_86:
	s_or_b64 exec, exec, s[6:7]
	s_and_saveexec_b64 s[6:7], s[4:5]
	s_cbranch_execz .LBB56_88
.LBB56_87:
	v_bfe_u32 v11, v12, 16, 3
	v_ffbh_u32_e32 v20, v11
	v_min_u32_e32 v20, 32, v20
	v_lshrrev_b32_e32 v14, 19, v12
	v_subrev_u32_e32 v21, 28, v20
	v_and_b32_e32 v14, 15, v14
	v_lshlrev_b32_sdwa v21, v21, v12 dst_sel:DWORD dst_unused:UNUSED_PAD src0_sel:DWORD src1_sel:WORD_1
	v_bfe_u32 v15, v12, 19, 4
	v_sub_u32_e32 v20, 29, v20
	v_and_b32_e32 v21, 7, v21
	v_cmp_eq_u16_e32 vcc, 0, v14
	v_cndmask_b32_e32 v11, v11, v21, vcc
	v_cndmask_b32_e32 v14, v15, v20, vcc
	v_lshlrev_b32_e32 v15, 8, v12
	v_mov_b32_e32 v20, 0x3b800000
	v_lshlrev_b32_e32 v11, 20, v11
	v_and_b32_e32 v15, 0x80000000, v15
	v_lshl_add_u32 v14, v14, 23, v20
	v_or3_b32 v14, v15, v14, v11
.LBB56_88:
	s_or_b64 exec, exec, s[6:7]
	s_nop 0
	v_mfma_f32_16x16x4f32 a[0:3], v10, v14, a[0:3]
	s_movk_i32 s4, 0x7f
	v_cmp_gt_i16_sdwa s[6:7], v16, s4 src0_sel:BYTE_3 src1_sel:DWORD
	s_mov_b64 s[4:5], 0
                                        ; implicit-def: $sgpr10
	s_and_saveexec_b64 s[8:9], s[6:7]
	s_xor_b64 s[6:7], exec, s[8:9]
	s_cbranch_execnz .LBB56_2137
; %bb.89:
	s_or_saveexec_b64 s[6:7], s[6:7]
	v_mov_b32_e32 v10, s10
	s_xor_b64 exec, exec, s[6:7]
	s_cbranch_execnz .LBB56_2140
.LBB56_90:
	s_or_b64 exec, exec, s[6:7]
	s_and_saveexec_b64 s[6:7], s[4:5]
	s_cbranch_execz .LBB56_92
.LBB56_91:
	v_bfe_u32 v10, v16, 24, 3
	v_ffbh_u32_e32 v20, v10
	v_min_u32_e32 v20, 32, v20
	v_lshrrev_b32_e32 v14, 27, v16
	v_subrev_u32_e32 v21, 28, v20
	v_and_b32_e32 v11, 0x80000000, v16
	v_and_b32_e32 v14, 15, v14
	v_bfe_u32 v15, v16, 27, 4
	v_lshlrev_b32_sdwa v16, v21, v16 dst_sel:DWORD dst_unused:UNUSED_PAD src0_sel:DWORD src1_sel:BYTE_3
	v_sub_u32_e32 v20, 29, v20
	v_and_b32_e32 v16, 7, v16
	v_cmp_eq_u16_e32 vcc, 0, v14
	v_cndmask_b32_e32 v10, v10, v16, vcc
	v_cndmask_b32_e32 v14, v15, v20, vcc
	v_mov_b32_e32 v15, 0x3b800000
	v_lshlrev_b32_e32 v10, 20, v10
	v_lshl_add_u32 v14, v14, 23, v15
	v_or3_b32 v10, v11, v14, v10
.LBB56_92:
	s_or_b64 exec, exec, s[6:7]
	s_movk_i32 s4, 0x7f
	v_cmp_gt_i16_sdwa s[6:7], v12, s4 src0_sel:BYTE_3 src1_sel:DWORD
	s_mov_b64 s[4:5], 0
                                        ; implicit-def: $sgpr10
	s_and_saveexec_b64 s[8:9], s[6:7]
	s_xor_b64 s[6:7], exec, s[8:9]
	s_cbranch_execnz .LBB56_2141
; %bb.93:
	s_or_saveexec_b64 s[6:7], s[6:7]
	v_mov_b32_e32 v11, s10
	s_xor_b64 exec, exec, s[6:7]
	s_cbranch_execnz .LBB56_2144
.LBB56_94:
	s_or_b64 exec, exec, s[6:7]
	s_and_saveexec_b64 s[6:7], s[4:5]
	s_cbranch_execz .LBB56_96
.LBB56_95:
	v_bfe_u32 v11, v12, 24, 3
	v_ffbh_u32_e32 v20, v11
	v_min_u32_e32 v20, 32, v20
	v_lshrrev_b32_e32 v15, 27, v12
	v_subrev_u32_e32 v21, 28, v20
	v_and_b32_e32 v14, 0x80000000, v12
	v_and_b32_e32 v15, 15, v15
	v_bfe_u32 v16, v12, 27, 4
	v_lshlrev_b32_sdwa v12, v21, v12 dst_sel:DWORD dst_unused:UNUSED_PAD src0_sel:DWORD src1_sel:BYTE_3
	v_sub_u32_e32 v20, 29, v20
	v_and_b32_e32 v12, 7, v12
	v_cmp_eq_u16_e32 vcc, 0, v15
	v_cndmask_b32_e32 v11, v11, v12, vcc
	v_cndmask_b32_e32 v12, v16, v20, vcc
	v_mov_b32_e32 v15, 0x3b800000
	v_lshlrev_b32_e32 v11, 20, v11
	v_lshl_add_u32 v12, v12, 23, v15
	v_or3_b32 v11, v14, v12, v11
.LBB56_96:
	s_or_b64 exec, exec, s[6:7]
	s_nop 0
	v_mfma_f32_16x16x4f32 a[0:3], v10, v11, a[0:3]
	s_movk_i32 s4, 0x7f
	v_cmp_gt_i16_sdwa s[6:7], v17, s4 src0_sel:BYTE_0 src1_sel:DWORD
	s_mov_b64 s[4:5], 0
                                        ; implicit-def: $sgpr10
	s_and_saveexec_b64 s[8:9], s[6:7]
	s_xor_b64 s[6:7], exec, s[8:9]
	s_cbranch_execnz .LBB56_2145
; %bb.97:
	s_or_saveexec_b64 s[6:7], s[6:7]
	v_mov_b32_e32 v10, s10
	s_xor_b64 exec, exec, s[6:7]
	s_cbranch_execnz .LBB56_2148
.LBB56_98:
	s_or_b64 exec, exec, s[6:7]
	s_and_saveexec_b64 s[6:7], s[4:5]
	s_cbranch_execz .LBB56_100
.LBB56_99:
	v_and_b32_e32 v10, 7, v17
	v_ffbh_u32_e32 v12, v10
	v_min_u32_e32 v12, 32, v12
	v_lshrrev_b16_e32 v11, 3, v17
	v_subrev_u32_e32 v14, 28, v12
	v_and_b32_e32 v11, 15, v11
	v_lshlrev_b32_e32 v14, v14, v17
	v_sub_u32_e32 v12, 29, v12
	v_and_b32_e32 v14, 7, v14
	v_cmp_eq_u16_e32 vcc, 0, v11
	v_cndmask_b32_e32 v10, v10, v14, vcc
	v_cndmask_b32_e32 v11, v11, v12, vcc
	v_lshlrev_b32_e32 v12, 24, v17
	v_mov_b32_e32 v14, 0x3b800000
	v_lshlrev_b32_e32 v10, 20, v10
	v_and_b32_e32 v12, 0x80000000, v12
	v_lshl_add_u32 v11, v11, 23, v14
	v_or3_b32 v10, v12, v11, v10
.LBB56_100:
	s_or_b64 exec, exec, s[6:7]
	s_movk_i32 s4, 0x7f
	v_cmp_gt_i16_sdwa s[6:7], v13, s4 src0_sel:BYTE_0 src1_sel:DWORD
	s_mov_b64 s[4:5], 0
                                        ; implicit-def: $sgpr10
	s_and_saveexec_b64 s[8:9], s[6:7]
	s_xor_b64 s[6:7], exec, s[8:9]
	s_cbranch_execnz .LBB56_2149
; %bb.101:
	s_or_saveexec_b64 s[6:7], s[6:7]
	v_mov_b32_e32 v11, s10
	s_xor_b64 exec, exec, s[6:7]
	s_cbranch_execnz .LBB56_2152
.LBB56_102:
	s_or_b64 exec, exec, s[6:7]
	s_and_saveexec_b64 s[6:7], s[4:5]
	s_cbranch_execz .LBB56_104
.LBB56_103:
	v_and_b32_e32 v11, 7, v13
	v_ffbh_u32_e32 v14, v11
	v_min_u32_e32 v14, 32, v14
	v_lshrrev_b16_e32 v12, 3, v13
	v_subrev_u32_e32 v15, 28, v14
	v_and_b32_e32 v12, 15, v12
	v_lshlrev_b32_e32 v15, v15, v13
	v_sub_u32_e32 v14, 29, v14
	v_and_b32_e32 v15, 7, v15
	v_cmp_eq_u16_e32 vcc, 0, v12
	v_cndmask_b32_e32 v11, v11, v15, vcc
	v_cndmask_b32_e32 v12, v12, v14, vcc
	v_lshlrev_b32_e32 v14, 24, v13
	v_mov_b32_e32 v15, 0x3b800000
	v_lshlrev_b32_e32 v11, 20, v11
	v_and_b32_e32 v14, 0x80000000, v14
	v_lshl_add_u32 v12, v12, 23, v15
	v_or3_b32 v11, v14, v12, v11
.LBB56_104:
	s_or_b64 exec, exec, s[6:7]
	s_nop 0
	v_mfma_f32_16x16x4f32 a[0:3], v10, v11, a[0:3]
	v_lshrrev_b32_e32 v11, 8, v17
	s_movk_i32 s4, 0x7f
	v_cmp_gt_i16_sdwa s[6:7], v11, s4 src0_sel:BYTE_0 src1_sel:DWORD
	s_mov_b64 s[4:5], 0
                                        ; implicit-def: $sgpr10
	s_and_saveexec_b64 s[8:9], s[6:7]
	s_xor_b64 s[6:7], exec, s[8:9]
	s_cbranch_execnz .LBB56_2153
; %bb.105:
	s_or_saveexec_b64 s[6:7], s[6:7]
	v_mov_b32_e32 v10, s10
	s_xor_b64 exec, exec, s[6:7]
	s_cbranch_execnz .LBB56_2156
.LBB56_106:
	s_or_b64 exec, exec, s[6:7]
	s_and_saveexec_b64 s[6:7], s[4:5]
	s_cbranch_execz .LBB56_108
.LBB56_107:
	v_bfe_u32 v10, v17, 8, 3
	v_ffbh_u32_e32 v14, v10
	v_min_u32_e32 v14, 32, v14
	v_lshrrev_b16_e32 v12, 3, v11
	v_subrev_u32_e32 v15, 28, v14
	v_and_b32_e32 v12, 15, v12
	v_lshlrev_b32_e32 v11, v15, v11
	v_sub_u32_e32 v14, 29, v14
	v_and_b32_e32 v11, 7, v11
	v_cmp_eq_u16_e32 vcc, 0, v12
	v_cndmask_b32_e32 v10, v10, v11, vcc
	v_cndmask_b32_e32 v11, v12, v14, vcc
	v_lshlrev_b32_e32 v12, 16, v17
	v_mov_b32_e32 v14, 0x3b800000
	v_lshlrev_b32_e32 v10, 20, v10
	v_and_b32_e32 v12, 0x80000000, v12
	v_lshl_add_u32 v11, v11, 23, v14
	v_or3_b32 v10, v12, v11, v10
.LBB56_108:
	s_or_b64 exec, exec, s[6:7]
	v_lshrrev_b32_e32 v11, 8, v13
	s_movk_i32 s4, 0x7f
	v_cmp_gt_i16_sdwa s[6:7], v11, s4 src0_sel:BYTE_0 src1_sel:DWORD
	s_mov_b64 s[4:5], 0
                                        ; implicit-def: $sgpr10
	s_and_saveexec_b64 s[8:9], s[6:7]
	s_xor_b64 s[6:7], exec, s[8:9]
	s_cbranch_execnz .LBB56_2157
; %bb.109:
	s_or_saveexec_b64 s[6:7], s[6:7]
	v_mov_b32_e32 v12, s10
	s_xor_b64 exec, exec, s[6:7]
	s_cbranch_execnz .LBB56_2160
.LBB56_110:
	s_or_b64 exec, exec, s[6:7]
	s_and_saveexec_b64 s[6:7], s[4:5]
	s_cbranch_execz .LBB56_112
.LBB56_111:
	v_bfe_u32 v12, v13, 8, 3
	v_ffbh_u32_e32 v15, v12
	v_min_u32_e32 v15, 32, v15
	v_lshrrev_b16_e32 v14, 3, v11
	v_subrev_u32_e32 v16, 28, v15
	v_and_b32_e32 v14, 15, v14
	v_lshlrev_b32_e32 v11, v16, v11
	v_sub_u32_e32 v15, 29, v15
	v_and_b32_e32 v11, 7, v11
	v_cmp_eq_u16_e32 vcc, 0, v14
	v_cndmask_b32_e32 v11, v12, v11, vcc
	v_cndmask_b32_e32 v12, v14, v15, vcc
	v_lshlrev_b32_e32 v14, 16, v13
	v_mov_b32_e32 v15, 0x3b800000
	v_lshlrev_b32_e32 v11, 20, v11
	v_and_b32_e32 v14, 0x80000000, v14
	v_lshl_add_u32 v12, v12, 23, v15
	v_or3_b32 v12, v14, v12, v11
.LBB56_112:
	s_or_b64 exec, exec, s[6:7]
	s_nop 0
	v_mfma_f32_16x16x4f32 a[0:3], v10, v12, a[0:3]
	s_movk_i32 s4, 0xff
	v_and_b32_sdwa v11, v17, s4 dst_sel:DWORD dst_unused:UNUSED_PAD src0_sel:WORD_1 src1_sel:DWORD
	s_movk_i32 s4, 0x7f
	v_cmp_lt_i16_e32 vcc, s4, v11
	s_mov_b64 s[4:5], 0
                                        ; implicit-def: $sgpr10
	s_and_saveexec_b64 s[6:7], vcc
	s_xor_b64 s[6:7], exec, s[6:7]
	s_cbranch_execnz .LBB56_2161
; %bb.113:
	s_or_saveexec_b64 s[6:7], s[6:7]
	v_mov_b32_e32 v10, s10
	s_xor_b64 exec, exec, s[6:7]
	s_cbranch_execnz .LBB56_2164
.LBB56_114:
	s_or_b64 exec, exec, s[6:7]
	s_and_saveexec_b64 s[6:7], s[4:5]
	s_cbranch_execz .LBB56_116
.LBB56_115:
	v_bfe_u32 v10, v17, 16, 3
	v_ffbh_u32_e32 v14, v10
	v_min_u32_e32 v14, 32, v14
	v_lshrrev_b32_e32 v11, 19, v17
	v_subrev_u32_e32 v15, 28, v14
	v_and_b32_e32 v11, 15, v11
	v_lshlrev_b32_sdwa v15, v15, v17 dst_sel:DWORD dst_unused:UNUSED_PAD src0_sel:DWORD src1_sel:WORD_1
	v_bfe_u32 v12, v17, 19, 4
	v_sub_u32_e32 v14, 29, v14
	v_and_b32_e32 v15, 7, v15
	v_cmp_eq_u16_e32 vcc, 0, v11
	v_cndmask_b32_e32 v10, v10, v15, vcc
	v_cndmask_b32_e32 v11, v12, v14, vcc
	v_lshlrev_b32_e32 v12, 8, v17
	v_mov_b32_e32 v14, 0x3b800000
	v_lshlrev_b32_e32 v10, 20, v10
	v_and_b32_e32 v12, 0x80000000, v12
	v_lshl_add_u32 v11, v11, 23, v14
	v_or3_b32 v10, v12, v11, v10
.LBB56_116:
	s_or_b64 exec, exec, s[6:7]
	s_movk_i32 s4, 0xff
	v_and_b32_sdwa v11, v13, s4 dst_sel:DWORD dst_unused:UNUSED_PAD src0_sel:WORD_1 src1_sel:DWORD
	s_movk_i32 s4, 0x7f
	v_cmp_lt_i16_e32 vcc, s4, v11
	s_mov_b64 s[4:5], 0
                                        ; implicit-def: $sgpr10
	s_and_saveexec_b64 s[6:7], vcc
	s_xor_b64 s[6:7], exec, s[6:7]
	s_cbranch_execnz .LBB56_2165
; %bb.117:
	s_or_saveexec_b64 s[6:7], s[6:7]
	v_mov_b32_e32 v12, s10
	s_xor_b64 exec, exec, s[6:7]
	s_cbranch_execnz .LBB56_2168
.LBB56_118:
	s_or_b64 exec, exec, s[6:7]
	s_and_saveexec_b64 s[6:7], s[4:5]
	s_cbranch_execz .LBB56_120
.LBB56_119:
	v_bfe_u32 v11, v13, 16, 3
	v_ffbh_u32_e32 v15, v11
	v_min_u32_e32 v15, 32, v15
	v_lshrrev_b32_e32 v12, 19, v13
	v_subrev_u32_e32 v16, 28, v15
	v_and_b32_e32 v12, 15, v12
	v_lshlrev_b32_sdwa v16, v16, v13 dst_sel:DWORD dst_unused:UNUSED_PAD src0_sel:DWORD src1_sel:WORD_1
	v_bfe_u32 v14, v13, 19, 4
	v_sub_u32_e32 v15, 29, v15
	v_and_b32_e32 v16, 7, v16
	v_cmp_eq_u16_e32 vcc, 0, v12
	v_cndmask_b32_e32 v11, v11, v16, vcc
	v_cndmask_b32_e32 v12, v14, v15, vcc
	v_lshlrev_b32_e32 v14, 8, v13
	v_mov_b32_e32 v15, 0x3b800000
	v_lshlrev_b32_e32 v11, 20, v11
	v_and_b32_e32 v14, 0x80000000, v14
	v_lshl_add_u32 v12, v12, 23, v15
	v_or3_b32 v12, v14, v12, v11
.LBB56_120:
	s_or_b64 exec, exec, s[6:7]
	s_nop 0
	v_mfma_f32_16x16x4f32 a[0:3], v10, v12, a[0:3]
	s_movk_i32 s4, 0x7f
	v_cmp_gt_i16_sdwa s[6:7], v17, s4 src0_sel:BYTE_3 src1_sel:DWORD
	s_mov_b64 s[4:5], 0
                                        ; implicit-def: $sgpr10
	s_and_saveexec_b64 s[8:9], s[6:7]
	s_xor_b64 s[6:7], exec, s[8:9]
	s_cbranch_execnz .LBB56_2169
; %bb.121:
	s_or_saveexec_b64 s[6:7], s[6:7]
	v_mov_b32_e32 v10, s10
	s_xor_b64 exec, exec, s[6:7]
	s_cbranch_execnz .LBB56_2172
.LBB56_122:
	s_or_b64 exec, exec, s[6:7]
	s_and_saveexec_b64 s[6:7], s[4:5]
	s_cbranch_execz .LBB56_124
.LBB56_123:
	v_bfe_u32 v10, v17, 24, 3
	v_ffbh_u32_e32 v15, v10
	v_min_u32_e32 v15, 32, v15
	v_lshrrev_b32_e32 v12, 27, v17
	v_subrev_u32_e32 v16, 28, v15
	v_and_b32_e32 v12, 15, v12
	v_lshlrev_b32_sdwa v16, v16, v17 dst_sel:DWORD dst_unused:UNUSED_PAD src0_sel:DWORD src1_sel:BYTE_3
	v_bfe_u32 v14, v17, 27, 4
	v_sub_u32_e32 v15, 29, v15
	v_and_b32_e32 v16, 7, v16
	v_cmp_eq_u16_e32 vcc, 0, v12
	v_cndmask_b32_e32 v10, v10, v16, vcc
	v_cndmask_b32_e32 v12, v14, v15, vcc
	v_mov_b32_e32 v14, 0x3b800000
	v_and_b32_e32 v11, 0x80000000, v17
	v_lshlrev_b32_e32 v10, 20, v10
	v_lshl_add_u32 v12, v12, 23, v14
	v_or3_b32 v10, v11, v12, v10
.LBB56_124:
	s_or_b64 exec, exec, s[6:7]
	s_movk_i32 s4, 0x7f
	v_cmp_gt_i16_sdwa s[6:7], v13, s4 src0_sel:BYTE_3 src1_sel:DWORD
	s_mov_b64 s[4:5], 0
                                        ; implicit-def: $sgpr10
	s_and_saveexec_b64 s[8:9], s[6:7]
	s_xor_b64 s[6:7], exec, s[8:9]
	s_cbranch_execnz .LBB56_2173
; %bb.125:
	s_or_saveexec_b64 s[6:7], s[6:7]
	v_mov_b32_e32 v11, s10
	s_xor_b64 exec, exec, s[6:7]
	s_cbranch_execnz .LBB56_2176
.LBB56_126:
	s_or_b64 exec, exec, s[6:7]
	s_and_saveexec_b64 s[6:7], s[4:5]
	s_cbranch_execz .LBB56_128
.LBB56_127:
	v_bfe_u32 v11, v13, 24, 3
	v_ffbh_u32_e32 v16, v11
	v_min_u32_e32 v16, 32, v16
	v_lshrrev_b32_e32 v14, 27, v13
	v_subrev_u32_e32 v17, 28, v16
	v_and_b32_e32 v12, 0x80000000, v13
	v_and_b32_e32 v14, 15, v14
	v_bfe_u32 v15, v13, 27, 4
	v_lshlrev_b32_sdwa v13, v17, v13 dst_sel:DWORD dst_unused:UNUSED_PAD src0_sel:DWORD src1_sel:BYTE_3
	v_sub_u32_e32 v16, 29, v16
	v_and_b32_e32 v13, 7, v13
	v_cmp_eq_u16_e32 vcc, 0, v14
	v_cndmask_b32_e32 v11, v11, v13, vcc
	v_cndmask_b32_e32 v13, v15, v16, vcc
	v_mov_b32_e32 v14, 0x3b800000
	v_lshlrev_b32_e32 v11, 20, v11
	v_lshl_add_u32 v13, v13, 23, v14
	v_or3_b32 v11, v12, v13, v11
.LBB56_128:
	s_or_b64 exec, exec, s[6:7]
	s_nop 0
	v_mfma_f32_16x16x4f32 a[0:3], v10, v11, a[0:3]
	s_movk_i32 s4, 0x7f
	v_cmp_gt_i16_sdwa s[6:7], v6, s4 src0_sel:BYTE_0 src1_sel:DWORD
	s_mov_b64 s[4:5], 0
                                        ; implicit-def: $sgpr10
	s_and_saveexec_b64 s[8:9], s[6:7]
	s_xor_b64 s[6:7], exec, s[8:9]
	s_cbranch_execnz .LBB56_2177
; %bb.129:
	s_or_saveexec_b64 s[6:7], s[6:7]
	v_mov_b32_e32 v10, s10
	s_xor_b64 exec, exec, s[6:7]
	s_cbranch_execnz .LBB56_2180
.LBB56_130:
	s_or_b64 exec, exec, s[6:7]
	s_and_saveexec_b64 s[6:7], s[4:5]
	s_cbranch_execz .LBB56_132
.LBB56_131:
	v_and_b32_e32 v10, 7, v6
	v_ffbh_u32_e32 v12, v10
	v_min_u32_e32 v12, 32, v12
	v_lshrrev_b16_e32 v11, 3, v6
	v_subrev_u32_e32 v13, 28, v12
	v_and_b32_e32 v11, 15, v11
	v_lshlrev_b32_e32 v13, v13, v6
	v_sub_u32_e32 v12, 29, v12
	v_and_b32_e32 v13, 7, v13
	v_cmp_eq_u16_e32 vcc, 0, v11
	v_cndmask_b32_e32 v10, v10, v13, vcc
	v_cndmask_b32_e32 v11, v11, v12, vcc
	v_lshlrev_b32_e32 v12, 24, v6
	v_mov_b32_e32 v13, 0x3b800000
	v_lshlrev_b32_e32 v10, 20, v10
	v_and_b32_e32 v12, 0x80000000, v12
	v_lshl_add_u32 v11, v11, 23, v13
	v_or3_b32 v10, v12, v11, v10
.LBB56_132:
	s_or_b64 exec, exec, s[6:7]
	s_movk_i32 s4, 0x7f
	v_cmp_gt_i16_sdwa s[6:7], v2, s4 src0_sel:BYTE_0 src1_sel:DWORD
	s_mov_b64 s[4:5], 0
                                        ; implicit-def: $sgpr10
	s_and_saveexec_b64 s[8:9], s[6:7]
	s_xor_b64 s[6:7], exec, s[8:9]
	s_cbranch_execnz .LBB56_2181
; %bb.133:
	s_or_saveexec_b64 s[6:7], s[6:7]
	v_mov_b32_e32 v11, s10
	s_xor_b64 exec, exec, s[6:7]
	s_cbranch_execnz .LBB56_2184
.LBB56_134:
	s_or_b64 exec, exec, s[6:7]
	s_and_saveexec_b64 s[6:7], s[4:5]
	s_cbranch_execz .LBB56_136
.LBB56_135:
	v_and_b32_e32 v11, 7, v2
	v_ffbh_u32_e32 v13, v11
	v_min_u32_e32 v13, 32, v13
	v_lshrrev_b16_e32 v12, 3, v2
	v_subrev_u32_e32 v14, 28, v13
	v_and_b32_e32 v12, 15, v12
	v_lshlrev_b32_e32 v14, v14, v2
	v_sub_u32_e32 v13, 29, v13
	v_and_b32_e32 v14, 7, v14
	v_cmp_eq_u16_e32 vcc, 0, v12
	v_cndmask_b32_e32 v11, v11, v14, vcc
	v_cndmask_b32_e32 v12, v12, v13, vcc
	v_lshlrev_b32_e32 v13, 24, v2
	v_mov_b32_e32 v14, 0x3b800000
	v_lshlrev_b32_e32 v11, 20, v11
	v_and_b32_e32 v13, 0x80000000, v13
	v_lshl_add_u32 v12, v12, 23, v14
	v_or3_b32 v11, v13, v12, v11
.LBB56_136:
	s_or_b64 exec, exec, s[6:7]
	s_nop 0
	v_mfma_f32_16x16x4f32 a[0:3], v10, v11, a[0:3]
	v_lshrrev_b32_e32 v11, 8, v6
	s_movk_i32 s4, 0x7f
	v_cmp_gt_i16_sdwa s[6:7], v11, s4 src0_sel:BYTE_0 src1_sel:DWORD
	s_mov_b64 s[4:5], 0
                                        ; implicit-def: $sgpr10
	s_and_saveexec_b64 s[8:9], s[6:7]
	s_xor_b64 s[6:7], exec, s[8:9]
	s_cbranch_execnz .LBB56_2185
; %bb.137:
	s_or_saveexec_b64 s[6:7], s[6:7]
	v_mov_b32_e32 v10, s10
	s_xor_b64 exec, exec, s[6:7]
	s_cbranch_execnz .LBB56_2188
.LBB56_138:
	s_or_b64 exec, exec, s[6:7]
	s_and_saveexec_b64 s[6:7], s[4:5]
	s_cbranch_execz .LBB56_140
.LBB56_139:
	v_bfe_u32 v10, v6, 8, 3
	v_ffbh_u32_e32 v13, v10
	v_min_u32_e32 v13, 32, v13
	v_lshrrev_b16_e32 v12, 3, v11
	v_subrev_u32_e32 v14, 28, v13
	v_and_b32_e32 v12, 15, v12
	v_lshlrev_b32_e32 v11, v14, v11
	v_sub_u32_e32 v13, 29, v13
	v_and_b32_e32 v11, 7, v11
	v_cmp_eq_u16_e32 vcc, 0, v12
	v_cndmask_b32_e32 v10, v10, v11, vcc
	v_cndmask_b32_e32 v11, v12, v13, vcc
	v_lshlrev_b32_e32 v12, 16, v6
	v_mov_b32_e32 v13, 0x3b800000
	v_lshlrev_b32_e32 v10, 20, v10
	v_and_b32_e32 v12, 0x80000000, v12
	v_lshl_add_u32 v11, v11, 23, v13
	v_or3_b32 v10, v12, v11, v10
.LBB56_140:
	s_or_b64 exec, exec, s[6:7]
	v_lshrrev_b32_e32 v11, 8, v2
	s_movk_i32 s4, 0x7f
	v_cmp_gt_i16_sdwa s[6:7], v11, s4 src0_sel:BYTE_0 src1_sel:DWORD
	s_mov_b64 s[4:5], 0
                                        ; implicit-def: $sgpr10
	s_and_saveexec_b64 s[8:9], s[6:7]
	s_xor_b64 s[6:7], exec, s[8:9]
	s_cbranch_execnz .LBB56_2189
; %bb.141:
	s_or_saveexec_b64 s[6:7], s[6:7]
	v_mov_b32_e32 v12, s10
	s_xor_b64 exec, exec, s[6:7]
	s_cbranch_execnz .LBB56_2192
.LBB56_142:
	s_or_b64 exec, exec, s[6:7]
	s_and_saveexec_b64 s[6:7], s[4:5]
	s_cbranch_execz .LBB56_144
.LBB56_143:
	v_bfe_u32 v12, v2, 8, 3
	v_ffbh_u32_e32 v14, v12
	v_min_u32_e32 v14, 32, v14
	v_lshrrev_b16_e32 v13, 3, v11
	v_subrev_u32_e32 v15, 28, v14
	v_and_b32_e32 v13, 15, v13
	v_lshlrev_b32_e32 v11, v15, v11
	v_sub_u32_e32 v14, 29, v14
	v_and_b32_e32 v11, 7, v11
	v_cmp_eq_u16_e32 vcc, 0, v13
	v_cndmask_b32_e32 v11, v12, v11, vcc
	v_cndmask_b32_e32 v12, v13, v14, vcc
	v_lshlrev_b32_e32 v13, 16, v2
	v_mov_b32_e32 v14, 0x3b800000
	v_lshlrev_b32_e32 v11, 20, v11
	v_and_b32_e32 v13, 0x80000000, v13
	v_lshl_add_u32 v12, v12, 23, v14
	v_or3_b32 v12, v13, v12, v11
.LBB56_144:
	s_or_b64 exec, exec, s[6:7]
	s_nop 0
	v_mfma_f32_16x16x4f32 a[0:3], v10, v12, a[0:3]
	s_movk_i32 s4, 0xff
	v_and_b32_sdwa v11, v6, s4 dst_sel:DWORD dst_unused:UNUSED_PAD src0_sel:WORD_1 src1_sel:DWORD
	s_movk_i32 s4, 0x7f
	v_cmp_lt_i16_e32 vcc, s4, v11
	s_mov_b64 s[4:5], 0
                                        ; implicit-def: $sgpr10
	s_and_saveexec_b64 s[6:7], vcc
	s_xor_b64 s[6:7], exec, s[6:7]
	s_cbranch_execnz .LBB56_2193
; %bb.145:
	s_or_saveexec_b64 s[6:7], s[6:7]
	v_mov_b32_e32 v10, s10
	s_xor_b64 exec, exec, s[6:7]
	s_cbranch_execnz .LBB56_2196
.LBB56_146:
	s_or_b64 exec, exec, s[6:7]
	s_and_saveexec_b64 s[6:7], s[4:5]
	s_cbranch_execz .LBB56_148
.LBB56_147:
	v_bfe_u32 v10, v6, 16, 3
	v_ffbh_u32_e32 v13, v10
	v_min_u32_e32 v13, 32, v13
	v_lshrrev_b32_e32 v11, 19, v6
	v_subrev_u32_e32 v14, 28, v13
	v_and_b32_e32 v11, 15, v11
	v_lshlrev_b32_sdwa v14, v14, v6 dst_sel:DWORD dst_unused:UNUSED_PAD src0_sel:DWORD src1_sel:WORD_1
	v_bfe_u32 v12, v6, 19, 4
	v_sub_u32_e32 v13, 29, v13
	v_and_b32_e32 v14, 7, v14
	v_cmp_eq_u16_e32 vcc, 0, v11
	v_cndmask_b32_e32 v10, v10, v14, vcc
	v_cndmask_b32_e32 v11, v12, v13, vcc
	v_lshlrev_b32_e32 v12, 8, v6
	v_mov_b32_e32 v13, 0x3b800000
	v_lshlrev_b32_e32 v10, 20, v10
	v_and_b32_e32 v12, 0x80000000, v12
	v_lshl_add_u32 v11, v11, 23, v13
	v_or3_b32 v10, v12, v11, v10
.LBB56_148:
	s_or_b64 exec, exec, s[6:7]
	s_movk_i32 s4, 0xff
	v_and_b32_sdwa v11, v2, s4 dst_sel:DWORD dst_unused:UNUSED_PAD src0_sel:WORD_1 src1_sel:DWORD
	s_movk_i32 s4, 0x7f
	v_cmp_lt_i16_e32 vcc, s4, v11
	s_mov_b64 s[4:5], 0
                                        ; implicit-def: $sgpr10
	s_and_saveexec_b64 s[6:7], vcc
	s_xor_b64 s[6:7], exec, s[6:7]
	s_cbranch_execnz .LBB56_2197
; %bb.149:
	s_or_saveexec_b64 s[6:7], s[6:7]
	v_mov_b32_e32 v12, s10
	s_xor_b64 exec, exec, s[6:7]
	s_cbranch_execnz .LBB56_2200
.LBB56_150:
	s_or_b64 exec, exec, s[6:7]
	s_and_saveexec_b64 s[6:7], s[4:5]
	s_cbranch_execz .LBB56_152
.LBB56_151:
	v_bfe_u32 v11, v2, 16, 3
	v_ffbh_u32_e32 v14, v11
	v_min_u32_e32 v14, 32, v14
	v_lshrrev_b32_e32 v12, 19, v2
	v_subrev_u32_e32 v15, 28, v14
	v_and_b32_e32 v12, 15, v12
	v_lshlrev_b32_sdwa v15, v15, v2 dst_sel:DWORD dst_unused:UNUSED_PAD src0_sel:DWORD src1_sel:WORD_1
	v_bfe_u32 v13, v2, 19, 4
	v_sub_u32_e32 v14, 29, v14
	v_and_b32_e32 v15, 7, v15
	v_cmp_eq_u16_e32 vcc, 0, v12
	v_cndmask_b32_e32 v11, v11, v15, vcc
	v_cndmask_b32_e32 v12, v13, v14, vcc
	v_lshlrev_b32_e32 v13, 8, v2
	v_mov_b32_e32 v14, 0x3b800000
	v_lshlrev_b32_e32 v11, 20, v11
	v_and_b32_e32 v13, 0x80000000, v13
	v_lshl_add_u32 v12, v12, 23, v14
	v_or3_b32 v12, v13, v12, v11
.LBB56_152:
	s_or_b64 exec, exec, s[6:7]
	s_nop 0
	v_mfma_f32_16x16x4f32 a[0:3], v10, v12, a[0:3]
	s_movk_i32 s4, 0x7f
	v_cmp_gt_i16_sdwa s[6:7], v6, s4 src0_sel:BYTE_3 src1_sel:DWORD
	s_mov_b64 s[4:5], 0
                                        ; implicit-def: $sgpr10
	s_and_saveexec_b64 s[8:9], s[6:7]
	s_xor_b64 s[6:7], exec, s[8:9]
	s_cbranch_execnz .LBB56_2201
; %bb.153:
	s_or_saveexec_b64 s[6:7], s[6:7]
	v_mov_b32_e32 v10, s10
	s_xor_b64 exec, exec, s[6:7]
	s_cbranch_execnz .LBB56_2204
.LBB56_154:
	s_or_b64 exec, exec, s[6:7]
	s_and_saveexec_b64 s[6:7], s[4:5]
	s_cbranch_execz .LBB56_156
.LBB56_155:
	v_bfe_u32 v10, v6, 24, 3
	v_ffbh_u32_e32 v14, v10
	v_min_u32_e32 v14, 32, v14
	v_lshrrev_b32_e32 v12, 27, v6
	v_subrev_u32_e32 v15, 28, v14
	v_and_b32_e32 v11, 0x80000000, v6
	v_and_b32_e32 v12, 15, v12
	v_bfe_u32 v13, v6, 27, 4
	v_lshlrev_b32_sdwa v6, v15, v6 dst_sel:DWORD dst_unused:UNUSED_PAD src0_sel:DWORD src1_sel:BYTE_3
	v_sub_u32_e32 v14, 29, v14
	v_and_b32_e32 v6, 7, v6
	v_cmp_eq_u16_e32 vcc, 0, v12
	v_cndmask_b32_e32 v6, v10, v6, vcc
	v_cndmask_b32_e32 v10, v13, v14, vcc
	v_mov_b32_e32 v12, 0x3b800000
	v_lshlrev_b32_e32 v6, 20, v6
	v_lshl_add_u32 v10, v10, 23, v12
	v_or3_b32 v10, v11, v10, v6
.LBB56_156:
	s_or_b64 exec, exec, s[6:7]
	s_movk_i32 s4, 0x7f
	v_cmp_gt_i16_sdwa s[6:7], v2, s4 src0_sel:BYTE_3 src1_sel:DWORD
	s_mov_b64 s[4:5], 0
                                        ; implicit-def: $sgpr10
	s_and_saveexec_b64 s[8:9], s[6:7]
	s_xor_b64 s[6:7], exec, s[8:9]
	s_cbranch_execnz .LBB56_2205
; %bb.157:
	s_or_saveexec_b64 s[6:7], s[6:7]
	v_mov_b32_e32 v6, s10
	s_xor_b64 exec, exec, s[6:7]
	s_cbranch_execnz .LBB56_2208
.LBB56_158:
	s_or_b64 exec, exec, s[6:7]
	s_and_saveexec_b64 s[6:7], s[4:5]
	s_cbranch_execz .LBB56_160
.LBB56_159:
	v_bfe_u32 v6, v2, 24, 3
	v_ffbh_u32_e32 v14, v6
	v_min_u32_e32 v14, 32, v14
	v_lshrrev_b32_e32 v12, 27, v2
	v_subrev_u32_e32 v15, 28, v14
	v_and_b32_e32 v11, 0x80000000, v2
	v_and_b32_e32 v12, 15, v12
	v_bfe_u32 v13, v2, 27, 4
	v_lshlrev_b32_sdwa v2, v15, v2 dst_sel:DWORD dst_unused:UNUSED_PAD src0_sel:DWORD src1_sel:BYTE_3
	v_sub_u32_e32 v14, 29, v14
	v_and_b32_e32 v2, 7, v2
	v_cmp_eq_u16_e32 vcc, 0, v12
	v_cndmask_b32_e32 v2, v6, v2, vcc
	v_cndmask_b32_e32 v6, v13, v14, vcc
	v_mov_b32_e32 v12, 0x3b800000
	v_lshlrev_b32_e32 v2, 20, v2
	v_lshl_add_u32 v6, v6, 23, v12
	v_or3_b32 v6, v11, v6, v2
.LBB56_160:
	s_or_b64 exec, exec, s[6:7]
	s_nop 0
	v_mfma_f32_16x16x4f32 a[0:3], v10, v6, a[0:3]
	s_movk_i32 s4, 0x7f
	v_cmp_gt_i16_sdwa s[6:7], v7, s4 src0_sel:BYTE_0 src1_sel:DWORD
	s_mov_b64 s[4:5], 0
                                        ; implicit-def: $sgpr10
	s_and_saveexec_b64 s[8:9], s[6:7]
	s_xor_b64 s[6:7], exec, s[8:9]
	s_cbranch_execnz .LBB56_2209
; %bb.161:
	s_or_saveexec_b64 s[6:7], s[6:7]
	v_mov_b32_e32 v2, s10
	s_xor_b64 exec, exec, s[6:7]
	s_cbranch_execnz .LBB56_2212
.LBB56_162:
	s_or_b64 exec, exec, s[6:7]
	s_and_saveexec_b64 s[6:7], s[4:5]
	s_cbranch_execz .LBB56_164
.LBB56_163:
	v_and_b32_e32 v2, 7, v7
	v_ffbh_u32_e32 v10, v2
	v_min_u32_e32 v10, 32, v10
	v_lshrrev_b16_e32 v6, 3, v7
	v_subrev_u32_e32 v11, 28, v10
	v_and_b32_e32 v6, 15, v6
	v_lshlrev_b32_e32 v11, v11, v7
	v_sub_u32_e32 v10, 29, v10
	v_and_b32_e32 v11, 7, v11
	v_cmp_eq_u16_e32 vcc, 0, v6
	v_cndmask_b32_e32 v2, v2, v11, vcc
	v_cndmask_b32_e32 v6, v6, v10, vcc
	v_lshlrev_b32_e32 v10, 24, v7
	v_mov_b32_e32 v11, 0x3b800000
	v_lshlrev_b32_e32 v2, 20, v2
	v_and_b32_e32 v10, 0x80000000, v10
	v_lshl_add_u32 v6, v6, 23, v11
	v_or3_b32 v2, v10, v6, v2
.LBB56_164:
	s_or_b64 exec, exec, s[6:7]
	s_movk_i32 s4, 0x7f
	v_cmp_gt_i16_sdwa s[6:7], v3, s4 src0_sel:BYTE_0 src1_sel:DWORD
	s_mov_b64 s[4:5], 0
                                        ; implicit-def: $sgpr10
	s_and_saveexec_b64 s[8:9], s[6:7]
	s_xor_b64 s[6:7], exec, s[8:9]
	s_cbranch_execnz .LBB56_2213
; %bb.165:
	s_or_saveexec_b64 s[6:7], s[6:7]
	v_mov_b32_e32 v6, s10
	s_xor_b64 exec, exec, s[6:7]
	s_cbranch_execnz .LBB56_2216
.LBB56_166:
	s_or_b64 exec, exec, s[6:7]
	s_and_saveexec_b64 s[6:7], s[4:5]
	s_cbranch_execz .LBB56_168
.LBB56_167:
	v_and_b32_e32 v6, 7, v3
	v_ffbh_u32_e32 v11, v6
	v_min_u32_e32 v11, 32, v11
	v_lshrrev_b16_e32 v10, 3, v3
	v_subrev_u32_e32 v12, 28, v11
	v_and_b32_e32 v10, 15, v10
	v_lshlrev_b32_e32 v12, v12, v3
	v_sub_u32_e32 v11, 29, v11
	v_and_b32_e32 v12, 7, v12
	v_cmp_eq_u16_e32 vcc, 0, v10
	v_cndmask_b32_e32 v6, v6, v12, vcc
	v_cndmask_b32_e32 v10, v10, v11, vcc
	v_lshlrev_b32_e32 v11, 24, v3
	v_mov_b32_e32 v12, 0x3b800000
	v_lshlrev_b32_e32 v6, 20, v6
	v_and_b32_e32 v11, 0x80000000, v11
	v_lshl_add_u32 v10, v10, 23, v12
	v_or3_b32 v6, v11, v10, v6
.LBB56_168:
	s_or_b64 exec, exec, s[6:7]
	s_nop 0
	v_mfma_f32_16x16x4f32 a[0:3], v2, v6, a[0:3]
	v_lshrrev_b32_e32 v6, 8, v7
	s_movk_i32 s4, 0x7f
	v_cmp_gt_i16_sdwa s[6:7], v6, s4 src0_sel:BYTE_0 src1_sel:DWORD
	s_mov_b64 s[4:5], 0
                                        ; implicit-def: $sgpr10
	s_and_saveexec_b64 s[8:9], s[6:7]
	s_xor_b64 s[6:7], exec, s[8:9]
	s_cbranch_execnz .LBB56_2217
; %bb.169:
	s_or_saveexec_b64 s[6:7], s[6:7]
	v_mov_b32_e32 v2, s10
	s_xor_b64 exec, exec, s[6:7]
	s_cbranch_execnz .LBB56_2220
.LBB56_170:
	s_or_b64 exec, exec, s[6:7]
	s_and_saveexec_b64 s[6:7], s[4:5]
	s_cbranch_execz .LBB56_172
.LBB56_171:
	v_bfe_u32 v2, v7, 8, 3
	v_ffbh_u32_e32 v11, v2
	v_min_u32_e32 v11, 32, v11
	v_lshrrev_b16_e32 v10, 3, v6
	v_subrev_u32_e32 v12, 28, v11
	v_and_b32_e32 v10, 15, v10
	v_lshlrev_b32_e32 v6, v12, v6
	v_sub_u32_e32 v11, 29, v11
	v_and_b32_e32 v6, 7, v6
	v_cmp_eq_u16_e32 vcc, 0, v10
	v_cndmask_b32_e32 v2, v2, v6, vcc
	v_cndmask_b32_e32 v6, v10, v11, vcc
	v_lshlrev_b32_e32 v10, 16, v7
	v_mov_b32_e32 v11, 0x3b800000
	v_lshlrev_b32_e32 v2, 20, v2
	v_and_b32_e32 v10, 0x80000000, v10
	v_lshl_add_u32 v6, v6, 23, v11
	v_or3_b32 v2, v10, v6, v2
.LBB56_172:
	s_or_b64 exec, exec, s[6:7]
	v_lshrrev_b32_e32 v6, 8, v3
	s_movk_i32 s4, 0x7f
	v_cmp_gt_i16_sdwa s[6:7], v6, s4 src0_sel:BYTE_0 src1_sel:DWORD
	s_mov_b64 s[4:5], 0
                                        ; implicit-def: $sgpr10
	s_and_saveexec_b64 s[8:9], s[6:7]
	s_xor_b64 s[6:7], exec, s[8:9]
	s_cbranch_execnz .LBB56_2221
; %bb.173:
	s_or_saveexec_b64 s[6:7], s[6:7]
	v_mov_b32_e32 v10, s10
	s_xor_b64 exec, exec, s[6:7]
	s_cbranch_execnz .LBB56_2224
.LBB56_174:
	s_or_b64 exec, exec, s[6:7]
	s_and_saveexec_b64 s[6:7], s[4:5]
	s_cbranch_execz .LBB56_176
.LBB56_175:
	v_bfe_u32 v10, v3, 8, 3
	v_ffbh_u32_e32 v12, v10
	v_min_u32_e32 v12, 32, v12
	v_lshrrev_b16_e32 v11, 3, v6
	v_subrev_u32_e32 v13, 28, v12
	v_and_b32_e32 v11, 15, v11
	v_lshlrev_b32_e32 v6, v13, v6
	v_sub_u32_e32 v12, 29, v12
	v_and_b32_e32 v6, 7, v6
	v_cmp_eq_u16_e32 vcc, 0, v11
	v_cndmask_b32_e32 v6, v10, v6, vcc
	v_cndmask_b32_e32 v10, v11, v12, vcc
	v_lshlrev_b32_e32 v11, 16, v3
	v_mov_b32_e32 v12, 0x3b800000
	v_lshlrev_b32_e32 v6, 20, v6
	v_and_b32_e32 v11, 0x80000000, v11
	v_lshl_add_u32 v10, v10, 23, v12
	v_or3_b32 v10, v11, v10, v6
.LBB56_176:
	s_or_b64 exec, exec, s[6:7]
	s_nop 0
	v_mfma_f32_16x16x4f32 a[0:3], v2, v10, a[0:3]
	s_movk_i32 s4, 0xff
	v_and_b32_sdwa v6, v7, s4 dst_sel:DWORD dst_unused:UNUSED_PAD src0_sel:WORD_1 src1_sel:DWORD
	s_movk_i32 s4, 0x7f
	v_cmp_lt_i16_e32 vcc, s4, v6
	s_mov_b64 s[4:5], 0
                                        ; implicit-def: $sgpr10
	s_and_saveexec_b64 s[6:7], vcc
	s_xor_b64 s[6:7], exec, s[6:7]
	s_cbranch_execnz .LBB56_2225
; %bb.177:
	s_or_saveexec_b64 s[6:7], s[6:7]
	v_mov_b32_e32 v2, s10
	s_xor_b64 exec, exec, s[6:7]
	s_cbranch_execnz .LBB56_2228
.LBB56_178:
	s_or_b64 exec, exec, s[6:7]
	s_and_saveexec_b64 s[6:7], s[4:5]
	s_cbranch_execz .LBB56_180
.LBB56_179:
	v_bfe_u32 v2, v7, 16, 3
	v_ffbh_u32_e32 v11, v2
	v_min_u32_e32 v11, 32, v11
	v_lshrrev_b32_e32 v6, 19, v7
	v_subrev_u32_e32 v12, 28, v11
	v_and_b32_e32 v6, 15, v6
	v_lshlrev_b32_sdwa v12, v12, v7 dst_sel:DWORD dst_unused:UNUSED_PAD src0_sel:DWORD src1_sel:WORD_1
	v_bfe_u32 v10, v7, 19, 4
	v_sub_u32_e32 v11, 29, v11
	v_and_b32_e32 v12, 7, v12
	v_cmp_eq_u16_e32 vcc, 0, v6
	v_cndmask_b32_e32 v2, v2, v12, vcc
	v_cndmask_b32_e32 v6, v10, v11, vcc
	v_lshlrev_b32_e32 v10, 8, v7
	v_mov_b32_e32 v11, 0x3b800000
	v_lshlrev_b32_e32 v2, 20, v2
	v_and_b32_e32 v10, 0x80000000, v10
	v_lshl_add_u32 v6, v6, 23, v11
	v_or3_b32 v2, v10, v6, v2
.LBB56_180:
	s_or_b64 exec, exec, s[6:7]
	s_movk_i32 s4, 0xff
	v_and_b32_sdwa v6, v3, s4 dst_sel:DWORD dst_unused:UNUSED_PAD src0_sel:WORD_1 src1_sel:DWORD
	s_movk_i32 s4, 0x7f
	v_cmp_lt_i16_e32 vcc, s4, v6
	s_mov_b64 s[4:5], 0
                                        ; implicit-def: $sgpr10
	s_and_saveexec_b64 s[6:7], vcc
	s_xor_b64 s[6:7], exec, s[6:7]
	s_cbranch_execnz .LBB56_2229
; %bb.181:
	s_or_saveexec_b64 s[6:7], s[6:7]
	v_mov_b32_e32 v10, s10
	s_xor_b64 exec, exec, s[6:7]
	s_cbranch_execnz .LBB56_2232
.LBB56_182:
	s_or_b64 exec, exec, s[6:7]
	s_and_saveexec_b64 s[6:7], s[4:5]
	s_cbranch_execz .LBB56_184
.LBB56_183:
	v_bfe_u32 v6, v3, 16, 3
	v_ffbh_u32_e32 v12, v6
	v_min_u32_e32 v12, 32, v12
	v_lshrrev_b32_e32 v10, 19, v3
	v_subrev_u32_e32 v13, 28, v12
	v_and_b32_e32 v10, 15, v10
	v_lshlrev_b32_sdwa v13, v13, v3 dst_sel:DWORD dst_unused:UNUSED_PAD src0_sel:DWORD src1_sel:WORD_1
	v_bfe_u32 v11, v3, 19, 4
	v_sub_u32_e32 v12, 29, v12
	v_and_b32_e32 v13, 7, v13
	v_cmp_eq_u16_e32 vcc, 0, v10
	v_cndmask_b32_e32 v6, v6, v13, vcc
	v_cndmask_b32_e32 v10, v11, v12, vcc
	v_lshlrev_b32_e32 v11, 8, v3
	v_mov_b32_e32 v12, 0x3b800000
	v_lshlrev_b32_e32 v6, 20, v6
	v_and_b32_e32 v11, 0x80000000, v11
	v_lshl_add_u32 v10, v10, 23, v12
	v_or3_b32 v10, v11, v10, v6
.LBB56_184:
	s_or_b64 exec, exec, s[6:7]
	s_nop 0
	v_mfma_f32_16x16x4f32 a[0:3], v2, v10, a[0:3]
	s_movk_i32 s4, 0x7f
	v_cmp_gt_i16_sdwa s[6:7], v7, s4 src0_sel:BYTE_3 src1_sel:DWORD
	s_mov_b64 s[4:5], 0
                                        ; implicit-def: $sgpr10
	s_and_saveexec_b64 s[8:9], s[6:7]
	s_xor_b64 s[6:7], exec, s[8:9]
	s_cbranch_execnz .LBB56_2233
; %bb.185:
	s_or_saveexec_b64 s[6:7], s[6:7]
	v_mov_b32_e32 v2, s10
	s_xor_b64 exec, exec, s[6:7]
	s_cbranch_execnz .LBB56_2236
.LBB56_186:
	s_or_b64 exec, exec, s[6:7]
	s_and_saveexec_b64 s[6:7], s[4:5]
	s_cbranch_execz .LBB56_188
.LBB56_187:
	v_bfe_u32 v2, v7, 24, 3
	v_ffbh_u32_e32 v12, v2
	v_min_u32_e32 v12, 32, v12
	v_lshrrev_b32_e32 v10, 27, v7
	v_subrev_u32_e32 v13, 28, v12
	v_and_b32_e32 v6, 0x80000000, v7
	v_and_b32_e32 v10, 15, v10
	v_bfe_u32 v11, v7, 27, 4
	v_lshlrev_b32_sdwa v7, v13, v7 dst_sel:DWORD dst_unused:UNUSED_PAD src0_sel:DWORD src1_sel:BYTE_3
	v_sub_u32_e32 v12, 29, v12
	v_and_b32_e32 v7, 7, v7
	v_cmp_eq_u16_e32 vcc, 0, v10
	v_cndmask_b32_e32 v2, v2, v7, vcc
	v_cndmask_b32_e32 v7, v11, v12, vcc
	v_mov_b32_e32 v10, 0x3b800000
	v_lshlrev_b32_e32 v2, 20, v2
	v_lshl_add_u32 v7, v7, 23, v10
	v_or3_b32 v2, v6, v7, v2
.LBB56_188:
	s_or_b64 exec, exec, s[6:7]
	s_movk_i32 s4, 0x7f
	v_cmp_gt_i16_sdwa s[6:7], v3, s4 src0_sel:BYTE_3 src1_sel:DWORD
	s_mov_b64 s[4:5], 0
                                        ; implicit-def: $sgpr10
	s_and_saveexec_b64 s[8:9], s[6:7]
	s_xor_b64 s[6:7], exec, s[8:9]
	s_cbranch_execnz .LBB56_2237
; %bb.189:
	s_or_saveexec_b64 s[6:7], s[6:7]
	v_mov_b32_e32 v6, s10
	s_xor_b64 exec, exec, s[6:7]
	s_cbranch_execnz .LBB56_2240
.LBB56_190:
	s_or_b64 exec, exec, s[6:7]
	s_and_saveexec_b64 s[6:7], s[4:5]
	s_cbranch_execz .LBB56_192
.LBB56_191:
	v_bfe_u32 v6, v3, 24, 3
	v_ffbh_u32_e32 v12, v6
	v_min_u32_e32 v12, 32, v12
	v_lshrrev_b32_e32 v10, 27, v3
	v_subrev_u32_e32 v13, 28, v12
	v_and_b32_e32 v7, 0x80000000, v3
	v_and_b32_e32 v10, 15, v10
	v_bfe_u32 v11, v3, 27, 4
	v_lshlrev_b32_sdwa v3, v13, v3 dst_sel:DWORD dst_unused:UNUSED_PAD src0_sel:DWORD src1_sel:BYTE_3
	v_sub_u32_e32 v12, 29, v12
	v_and_b32_e32 v3, 7, v3
	v_cmp_eq_u16_e32 vcc, 0, v10
	v_cndmask_b32_e32 v3, v6, v3, vcc
	v_cndmask_b32_e32 v6, v11, v12, vcc
	v_mov_b32_e32 v10, 0x3b800000
	v_lshlrev_b32_e32 v3, 20, v3
	v_lshl_add_u32 v6, v6, 23, v10
	v_or3_b32 v6, v7, v6, v3
.LBB56_192:
	s_or_b64 exec, exec, s[6:7]
	s_nop 0
	v_mfma_f32_16x16x4f32 a[0:3], v2, v6, a[0:3]
	s_movk_i32 s4, 0x7f
	v_cmp_gt_i16_sdwa s[6:7], v8, s4 src0_sel:BYTE_0 src1_sel:DWORD
	s_mov_b64 s[4:5], 0
                                        ; implicit-def: $sgpr10
	s_and_saveexec_b64 s[8:9], s[6:7]
	s_xor_b64 s[6:7], exec, s[8:9]
	s_cbranch_execnz .LBB56_2241
; %bb.193:
	s_or_saveexec_b64 s[6:7], s[6:7]
	v_mov_b32_e32 v2, s10
	s_xor_b64 exec, exec, s[6:7]
	s_cbranch_execnz .LBB56_2244
.LBB56_194:
	s_or_b64 exec, exec, s[6:7]
	s_and_saveexec_b64 s[6:7], s[4:5]
	s_cbranch_execz .LBB56_196
.LBB56_195:
	v_and_b32_e32 v2, 7, v8
	v_ffbh_u32_e32 v6, v2
	v_min_u32_e32 v6, 32, v6
	v_lshrrev_b16_e32 v3, 3, v8
	v_subrev_u32_e32 v7, 28, v6
	v_and_b32_e32 v3, 15, v3
	v_lshlrev_b32_e32 v7, v7, v8
	v_sub_u32_e32 v6, 29, v6
	v_and_b32_e32 v7, 7, v7
	v_cmp_eq_u16_e32 vcc, 0, v3
	v_cndmask_b32_e32 v2, v2, v7, vcc
	v_cndmask_b32_e32 v3, v3, v6, vcc
	v_lshlrev_b32_e32 v6, 24, v8
	v_mov_b32_e32 v7, 0x3b800000
	v_lshlrev_b32_e32 v2, 20, v2
	v_and_b32_e32 v6, 0x80000000, v6
	v_lshl_add_u32 v3, v3, 23, v7
	v_or3_b32 v2, v6, v3, v2
.LBB56_196:
	s_or_b64 exec, exec, s[6:7]
	s_movk_i32 s4, 0x7f
	v_cmp_gt_i16_sdwa s[6:7], v4, s4 src0_sel:BYTE_0 src1_sel:DWORD
	s_mov_b64 s[4:5], 0
                                        ; implicit-def: $sgpr10
	s_and_saveexec_b64 s[8:9], s[6:7]
	s_xor_b64 s[6:7], exec, s[8:9]
	s_cbranch_execnz .LBB56_2245
; %bb.197:
	s_or_saveexec_b64 s[6:7], s[6:7]
	v_mov_b32_e32 v3, s10
	s_xor_b64 exec, exec, s[6:7]
	s_cbranch_execnz .LBB56_2248
.LBB56_198:
	s_or_b64 exec, exec, s[6:7]
	s_and_saveexec_b64 s[6:7], s[4:5]
	s_cbranch_execz .LBB56_200
.LBB56_199:
	v_and_b32_e32 v3, 7, v4
	v_ffbh_u32_e32 v7, v3
	v_min_u32_e32 v7, 32, v7
	v_lshrrev_b16_e32 v6, 3, v4
	v_subrev_u32_e32 v10, 28, v7
	v_and_b32_e32 v6, 15, v6
	v_lshlrev_b32_e32 v10, v10, v4
	v_sub_u32_e32 v7, 29, v7
	v_and_b32_e32 v10, 7, v10
	v_cmp_eq_u16_e32 vcc, 0, v6
	v_cndmask_b32_e32 v3, v3, v10, vcc
	v_cndmask_b32_e32 v6, v6, v7, vcc
	v_lshlrev_b32_e32 v7, 24, v4
	v_mov_b32_e32 v10, 0x3b800000
	v_lshlrev_b32_e32 v3, 20, v3
	v_and_b32_e32 v7, 0x80000000, v7
	v_lshl_add_u32 v6, v6, 23, v10
	v_or3_b32 v3, v7, v6, v3
.LBB56_200:
	s_or_b64 exec, exec, s[6:7]
	s_nop 0
	v_mfma_f32_16x16x4f32 a[0:3], v2, v3, a[0:3]
	v_lshrrev_b32_e32 v3, 8, v8
	s_movk_i32 s4, 0x7f
	v_cmp_gt_i16_sdwa s[6:7], v3, s4 src0_sel:BYTE_0 src1_sel:DWORD
	s_mov_b64 s[4:5], 0
                                        ; implicit-def: $sgpr10
	s_and_saveexec_b64 s[8:9], s[6:7]
	s_xor_b64 s[6:7], exec, s[8:9]
	s_cbranch_execnz .LBB56_2249
; %bb.201:
	s_or_saveexec_b64 s[6:7], s[6:7]
	v_mov_b32_e32 v2, s10
	s_xor_b64 exec, exec, s[6:7]
	s_cbranch_execnz .LBB56_2252
.LBB56_202:
	s_or_b64 exec, exec, s[6:7]
	s_and_saveexec_b64 s[6:7], s[4:5]
	s_cbranch_execz .LBB56_204
.LBB56_203:
	v_bfe_u32 v2, v8, 8, 3
	v_ffbh_u32_e32 v7, v2
	v_min_u32_e32 v7, 32, v7
	v_lshrrev_b16_e32 v6, 3, v3
	v_subrev_u32_e32 v10, 28, v7
	v_and_b32_e32 v6, 15, v6
	v_lshlrev_b32_e32 v3, v10, v3
	v_sub_u32_e32 v7, 29, v7
	v_and_b32_e32 v3, 7, v3
	v_cmp_eq_u16_e32 vcc, 0, v6
	v_cndmask_b32_e32 v2, v2, v3, vcc
	v_cndmask_b32_e32 v3, v6, v7, vcc
	v_lshlrev_b32_e32 v6, 16, v8
	v_mov_b32_e32 v7, 0x3b800000
	v_lshlrev_b32_e32 v2, 20, v2
	v_and_b32_e32 v6, 0x80000000, v6
	v_lshl_add_u32 v3, v3, 23, v7
	v_or3_b32 v2, v6, v3, v2
.LBB56_204:
	s_or_b64 exec, exec, s[6:7]
	v_lshrrev_b32_e32 v3, 8, v4
	s_movk_i32 s4, 0x7f
	v_cmp_gt_i16_sdwa s[6:7], v3, s4 src0_sel:BYTE_0 src1_sel:DWORD
	s_mov_b64 s[4:5], 0
                                        ; implicit-def: $sgpr10
	s_and_saveexec_b64 s[8:9], s[6:7]
	s_xor_b64 s[6:7], exec, s[8:9]
	s_cbranch_execnz .LBB56_2253
; %bb.205:
	s_or_saveexec_b64 s[6:7], s[6:7]
	v_mov_b32_e32 v6, s10
	s_xor_b64 exec, exec, s[6:7]
	s_cbranch_execnz .LBB56_2256
.LBB56_206:
	s_or_b64 exec, exec, s[6:7]
	s_and_saveexec_b64 s[6:7], s[4:5]
	s_cbranch_execz .LBB56_208
.LBB56_207:
	v_bfe_u32 v6, v4, 8, 3
	v_ffbh_u32_e32 v10, v6
	v_min_u32_e32 v10, 32, v10
	v_lshrrev_b16_e32 v7, 3, v3
	v_subrev_u32_e32 v11, 28, v10
	v_and_b32_e32 v7, 15, v7
	v_lshlrev_b32_e32 v3, v11, v3
	v_sub_u32_e32 v10, 29, v10
	v_and_b32_e32 v3, 7, v3
	v_cmp_eq_u16_e32 vcc, 0, v7
	v_cndmask_b32_e32 v3, v6, v3, vcc
	v_cndmask_b32_e32 v6, v7, v10, vcc
	v_lshlrev_b32_e32 v7, 16, v4
	v_mov_b32_e32 v10, 0x3b800000
	v_lshlrev_b32_e32 v3, 20, v3
	v_and_b32_e32 v7, 0x80000000, v7
	v_lshl_add_u32 v6, v6, 23, v10
	v_or3_b32 v6, v7, v6, v3
.LBB56_208:
	s_or_b64 exec, exec, s[6:7]
	s_nop 0
	v_mfma_f32_16x16x4f32 a[0:3], v2, v6, a[0:3]
	s_movk_i32 s4, 0xff
	v_and_b32_sdwa v3, v8, s4 dst_sel:DWORD dst_unused:UNUSED_PAD src0_sel:WORD_1 src1_sel:DWORD
	s_movk_i32 s4, 0x7f
	v_cmp_lt_i16_e32 vcc, s4, v3
	s_mov_b64 s[4:5], 0
                                        ; implicit-def: $sgpr10
	s_and_saveexec_b64 s[6:7], vcc
	s_xor_b64 s[6:7], exec, s[6:7]
	s_cbranch_execnz .LBB56_2257
; %bb.209:
	s_or_saveexec_b64 s[6:7], s[6:7]
	v_mov_b32_e32 v2, s10
	s_xor_b64 exec, exec, s[6:7]
	s_cbranch_execnz .LBB56_2260
.LBB56_210:
	s_or_b64 exec, exec, s[6:7]
	s_and_saveexec_b64 s[6:7], s[4:5]
	s_cbranch_execz .LBB56_212
.LBB56_211:
	v_bfe_u32 v2, v8, 16, 3
	v_ffbh_u32_e32 v7, v2
	v_min_u32_e32 v7, 32, v7
	v_lshrrev_b32_e32 v3, 19, v8
	v_subrev_u32_e32 v10, 28, v7
	v_and_b32_e32 v3, 15, v3
	v_lshlrev_b32_sdwa v10, v10, v8 dst_sel:DWORD dst_unused:UNUSED_PAD src0_sel:DWORD src1_sel:WORD_1
	v_bfe_u32 v6, v8, 19, 4
	v_sub_u32_e32 v7, 29, v7
	v_and_b32_e32 v10, 7, v10
	v_cmp_eq_u16_e32 vcc, 0, v3
	v_cndmask_b32_e32 v2, v2, v10, vcc
	v_cndmask_b32_e32 v3, v6, v7, vcc
	v_lshlrev_b32_e32 v6, 8, v8
	v_mov_b32_e32 v7, 0x3b800000
	v_lshlrev_b32_e32 v2, 20, v2
	v_and_b32_e32 v6, 0x80000000, v6
	v_lshl_add_u32 v3, v3, 23, v7
	v_or3_b32 v2, v6, v3, v2
.LBB56_212:
	s_or_b64 exec, exec, s[6:7]
	s_movk_i32 s4, 0xff
	v_and_b32_sdwa v3, v4, s4 dst_sel:DWORD dst_unused:UNUSED_PAD src0_sel:WORD_1 src1_sel:DWORD
	s_movk_i32 s4, 0x7f
	v_cmp_lt_i16_e32 vcc, s4, v3
	s_mov_b64 s[4:5], 0
                                        ; implicit-def: $sgpr10
	s_and_saveexec_b64 s[6:7], vcc
	s_xor_b64 s[6:7], exec, s[6:7]
	s_cbranch_execnz .LBB56_2261
; %bb.213:
	s_or_saveexec_b64 s[6:7], s[6:7]
	v_mov_b32_e32 v6, s10
	s_xor_b64 exec, exec, s[6:7]
	s_cbranch_execnz .LBB56_2264
.LBB56_214:
	s_or_b64 exec, exec, s[6:7]
	s_and_saveexec_b64 s[6:7], s[4:5]
	s_cbranch_execz .LBB56_216
.LBB56_215:
	v_bfe_u32 v3, v4, 16, 3
	v_ffbh_u32_e32 v10, v3
	v_min_u32_e32 v10, 32, v10
	v_lshrrev_b32_e32 v6, 19, v4
	v_subrev_u32_e32 v11, 28, v10
	v_and_b32_e32 v6, 15, v6
	v_lshlrev_b32_sdwa v11, v11, v4 dst_sel:DWORD dst_unused:UNUSED_PAD src0_sel:DWORD src1_sel:WORD_1
	v_bfe_u32 v7, v4, 19, 4
	v_sub_u32_e32 v10, 29, v10
	v_and_b32_e32 v11, 7, v11
	v_cmp_eq_u16_e32 vcc, 0, v6
	v_cndmask_b32_e32 v3, v3, v11, vcc
	v_cndmask_b32_e32 v6, v7, v10, vcc
	v_lshlrev_b32_e32 v7, 8, v4
	v_mov_b32_e32 v10, 0x3b800000
	v_lshlrev_b32_e32 v3, 20, v3
	v_and_b32_e32 v7, 0x80000000, v7
	v_lshl_add_u32 v6, v6, 23, v10
	v_or3_b32 v6, v7, v6, v3
.LBB56_216:
	s_or_b64 exec, exec, s[6:7]
	s_nop 0
	v_mfma_f32_16x16x4f32 a[0:3], v2, v6, a[0:3]
	s_movk_i32 s4, 0x7f
	v_cmp_gt_i16_sdwa s[6:7], v8, s4 src0_sel:BYTE_3 src1_sel:DWORD
	s_mov_b64 s[4:5], 0
                                        ; implicit-def: $sgpr10
	s_and_saveexec_b64 s[8:9], s[6:7]
	s_xor_b64 s[6:7], exec, s[8:9]
	s_cbranch_execnz .LBB56_2265
; %bb.217:
	s_or_saveexec_b64 s[6:7], s[6:7]
	v_mov_b32_e32 v2, s10
	s_xor_b64 exec, exec, s[6:7]
	s_cbranch_execnz .LBB56_2268
.LBB56_218:
	s_or_b64 exec, exec, s[6:7]
	s_and_saveexec_b64 s[6:7], s[4:5]
	s_cbranch_execz .LBB56_220
.LBB56_219:
	v_bfe_u32 v2, v8, 24, 3
	v_ffbh_u32_e32 v10, v2
	v_min_u32_e32 v10, 32, v10
	v_lshrrev_b32_e32 v6, 27, v8
	v_subrev_u32_e32 v11, 28, v10
	v_and_b32_e32 v3, 0x80000000, v8
	v_and_b32_e32 v6, 15, v6
	v_bfe_u32 v7, v8, 27, 4
	v_lshlrev_b32_sdwa v8, v11, v8 dst_sel:DWORD dst_unused:UNUSED_PAD src0_sel:DWORD src1_sel:BYTE_3
	v_sub_u32_e32 v10, 29, v10
	v_and_b32_e32 v8, 7, v8
	v_cmp_eq_u16_e32 vcc, 0, v6
	v_cndmask_b32_e32 v2, v2, v8, vcc
	v_cndmask_b32_e32 v6, v7, v10, vcc
	v_mov_b32_e32 v7, 0x3b800000
	v_lshlrev_b32_e32 v2, 20, v2
	v_lshl_add_u32 v6, v6, 23, v7
	v_or3_b32 v2, v3, v6, v2
.LBB56_220:
	s_or_b64 exec, exec, s[6:7]
	s_movk_i32 s4, 0x7f
	v_cmp_gt_i16_sdwa s[6:7], v4, s4 src0_sel:BYTE_3 src1_sel:DWORD
	s_mov_b64 s[4:5], 0
                                        ; implicit-def: $sgpr10
	s_and_saveexec_b64 s[8:9], s[6:7]
	s_xor_b64 s[6:7], exec, s[8:9]
	s_cbranch_execnz .LBB56_2269
; %bb.221:
	s_or_saveexec_b64 s[6:7], s[6:7]
	v_mov_b32_e32 v3, s10
	s_xor_b64 exec, exec, s[6:7]
	s_cbranch_execnz .LBB56_2272
.LBB56_222:
	s_or_b64 exec, exec, s[6:7]
	s_and_saveexec_b64 s[6:7], s[4:5]
	s_cbranch_execz .LBB56_224
.LBB56_223:
	v_bfe_u32 v3, v4, 24, 3
	v_ffbh_u32_e32 v10, v3
	v_min_u32_e32 v10, 32, v10
	v_lshrrev_b32_e32 v7, 27, v4
	v_subrev_u32_e32 v11, 28, v10
	v_and_b32_e32 v6, 0x80000000, v4
	v_and_b32_e32 v7, 15, v7
	v_bfe_u32 v8, v4, 27, 4
	v_lshlrev_b32_sdwa v4, v11, v4 dst_sel:DWORD dst_unused:UNUSED_PAD src0_sel:DWORD src1_sel:BYTE_3
	v_sub_u32_e32 v10, 29, v10
	v_and_b32_e32 v4, 7, v4
	v_cmp_eq_u16_e32 vcc, 0, v7
	v_cndmask_b32_e32 v3, v3, v4, vcc
	v_cndmask_b32_e32 v4, v8, v10, vcc
	v_mov_b32_e32 v7, 0x3b800000
	v_lshlrev_b32_e32 v3, 20, v3
	v_lshl_add_u32 v4, v4, 23, v7
	v_or3_b32 v3, v6, v4, v3
.LBB56_224:
	s_or_b64 exec, exec, s[6:7]
	s_nop 0
	v_mfma_f32_16x16x4f32 a[0:3], v2, v3, a[0:3]
	s_movk_i32 s4, 0x7f
	v_cmp_gt_i16_sdwa s[6:7], v9, s4 src0_sel:BYTE_0 src1_sel:DWORD
	s_mov_b64 s[4:5], 0
                                        ; implicit-def: $sgpr10
	s_and_saveexec_b64 s[8:9], s[6:7]
	s_xor_b64 s[6:7], exec, s[8:9]
	s_cbranch_execnz .LBB56_2273
; %bb.225:
	s_or_saveexec_b64 s[6:7], s[6:7]
	v_mov_b32_e32 v2, s10
	s_xor_b64 exec, exec, s[6:7]
	s_cbranch_execnz .LBB56_2276
.LBB56_226:
	s_or_b64 exec, exec, s[6:7]
	s_and_saveexec_b64 s[6:7], s[4:5]
	s_cbranch_execz .LBB56_228
.LBB56_227:
	v_mov_b32_e32 v2, 8
	v_and_b32_e32 v3, 7, v9
	v_lshrrev_b32_sdwa v2, v2, v9 dst_sel:BYTE_1 dst_unused:UNUSED_PAD src0_sel:DWORD src1_sel:DWORD
	v_ffbh_u32_e32 v4, v3
	v_or_b32_sdwa v2, v9, v2 dst_sel:DWORD dst_unused:UNUSED_PAD src0_sel:BYTE_0 src1_sel:DWORD
	v_min_u32_e32 v4, 32, v4
	v_lshrrev_b16_e32 v2, 3, v2
	v_subrev_u32_e32 v6, 28, v4
	v_and_b32_e32 v2, 15, v2
	v_lshlrev_b32_e32 v6, v6, v9
	v_sub_u32_e32 v4, 29, v4
	v_and_b32_e32 v6, 7, v6
	v_cmp_eq_u16_e32 vcc, 0, v2
	v_cndmask_b32_e32 v3, v3, v6, vcc
	v_cndmask_b32_e32 v2, v2, v4, vcc
	v_lshlrev_b32_e32 v4, 24, v9
	v_mov_b32_e32 v6, 0x3b800000
	v_lshlrev_b32_e32 v3, 20, v3
	v_and_b32_e32 v4, 0x80000000, v4
	v_lshl_add_u32 v2, v2, 23, v6
	v_or3_b32 v2, v4, v2, v3
.LBB56_228:
	s_or_b64 exec, exec, s[6:7]
	s_movk_i32 s4, 0x7f
	v_cmp_gt_i16_sdwa s[6:7], v5, s4 src0_sel:BYTE_0 src1_sel:DWORD
	s_mov_b64 s[4:5], 0
                                        ; implicit-def: $sgpr10
	s_and_saveexec_b64 s[8:9], s[6:7]
	s_xor_b64 s[6:7], exec, s[8:9]
	s_cbranch_execnz .LBB56_2277
; %bb.229:
	s_or_saveexec_b64 s[6:7], s[6:7]
	v_mov_b32_e32 v3, s10
	s_xor_b64 exec, exec, s[6:7]
	s_cbranch_execnz .LBB56_2280
.LBB56_230:
	s_or_b64 exec, exec, s[6:7]
	s_and_saveexec_b64 s[6:7], s[4:5]
	s_cbranch_execz .LBB56_232
.LBB56_231:
	v_mov_b32_e32 v3, 8
	v_and_b32_e32 v4, 7, v5
	v_lshrrev_b32_sdwa v3, v3, v5 dst_sel:BYTE_1 dst_unused:UNUSED_PAD src0_sel:DWORD src1_sel:DWORD
	v_ffbh_u32_e32 v6, v4
	v_or_b32_sdwa v3, v5, v3 dst_sel:DWORD dst_unused:UNUSED_PAD src0_sel:BYTE_0 src1_sel:DWORD
	v_min_u32_e32 v6, 32, v6
	v_lshrrev_b16_e32 v3, 3, v3
	v_subrev_u32_e32 v7, 28, v6
	v_and_b32_e32 v3, 15, v3
	v_lshlrev_b32_e32 v7, v7, v5
	v_sub_u32_e32 v6, 29, v6
	v_and_b32_e32 v7, 7, v7
	v_cmp_eq_u16_e32 vcc, 0, v3
	v_cndmask_b32_e32 v4, v4, v7, vcc
	v_cndmask_b32_e32 v3, v3, v6, vcc
	v_lshlrev_b32_e32 v6, 24, v5
	v_mov_b32_e32 v7, 0x3b800000
	v_lshlrev_b32_e32 v4, 20, v4
	v_and_b32_e32 v6, 0x80000000, v6
	v_lshl_add_u32 v3, v3, 23, v7
	v_or3_b32 v3, v6, v3, v4
.LBB56_232:
	s_or_b64 exec, exec, s[6:7]
	s_nop 0
	v_mfma_f32_16x16x4f32 a[0:3], v2, v3, a[0:3]
	v_lshrrev_b32_e32 v3, 8, v9
	s_movk_i32 s4, 0x7f
	v_cmp_gt_i16_sdwa s[6:7], v3, s4 src0_sel:BYTE_0 src1_sel:DWORD
	s_mov_b64 s[4:5], 0
                                        ; implicit-def: $sgpr10
	s_and_saveexec_b64 s[8:9], s[6:7]
	s_xor_b64 s[6:7], exec, s[8:9]
	s_cbranch_execnz .LBB56_2281
; %bb.233:
	s_or_saveexec_b64 s[6:7], s[6:7]
	v_mov_b32_e32 v2, s10
	s_xor_b64 exec, exec, s[6:7]
	s_cbranch_execnz .LBB56_2284
.LBB56_234:
	s_or_b64 exec, exec, s[6:7]
	s_and_saveexec_b64 s[6:7], s[4:5]
	s_cbranch_execz .LBB56_236
.LBB56_235:
	v_bfe_u32 v2, v9, 8, 3
	v_ffbh_u32_e32 v6, v2
	v_min_u32_e32 v6, 32, v6
	v_lshrrev_b16_e32 v4, 3, v3
	v_subrev_u32_e32 v7, 28, v6
	v_and_b32_e32 v4, 15, v4
	v_lshlrev_b32_e32 v3, v7, v3
	v_sub_u32_e32 v6, 29, v6
	v_and_b32_e32 v3, 7, v3
	v_cmp_eq_u16_e32 vcc, 0, v4
	v_cndmask_b32_e32 v2, v2, v3, vcc
	v_cndmask_b32_e32 v3, v4, v6, vcc
	v_lshlrev_b32_e32 v4, 16, v9
	v_mov_b32_e32 v6, 0x3b800000
	v_lshlrev_b32_e32 v2, 20, v2
	v_and_b32_e32 v4, 0x80000000, v4
	v_lshl_add_u32 v3, v3, 23, v6
	v_or3_b32 v2, v4, v3, v2
.LBB56_236:
	s_or_b64 exec, exec, s[6:7]
	v_lshrrev_b32_e32 v3, 8, v5
	s_movk_i32 s4, 0x7f
	v_cmp_gt_i16_sdwa s[6:7], v3, s4 src0_sel:BYTE_0 src1_sel:DWORD
	s_mov_b64 s[4:5], 0
                                        ; implicit-def: $sgpr10
	s_and_saveexec_b64 s[8:9], s[6:7]
	s_xor_b64 s[6:7], exec, s[8:9]
	s_cbranch_execnz .LBB56_2285
; %bb.237:
	s_or_saveexec_b64 s[6:7], s[6:7]
	v_mov_b32_e32 v4, s10
	s_xor_b64 exec, exec, s[6:7]
	s_cbranch_execnz .LBB56_2288
.LBB56_238:
	s_or_b64 exec, exec, s[6:7]
	s_and_saveexec_b64 s[6:7], s[4:5]
	s_cbranch_execz .LBB56_240
.LBB56_239:
	v_bfe_u32 v4, v5, 8, 3
	v_ffbh_u32_e32 v7, v4
	v_min_u32_e32 v7, 32, v7
	v_lshrrev_b16_e32 v6, 3, v3
	v_subrev_u32_e32 v8, 28, v7
	v_and_b32_e32 v6, 15, v6
	v_lshlrev_b32_e32 v3, v8, v3
	v_sub_u32_e32 v7, 29, v7
	v_and_b32_e32 v3, 7, v3
	v_cmp_eq_u16_e32 vcc, 0, v6
	v_cndmask_b32_e32 v3, v4, v3, vcc
	v_cndmask_b32_e32 v4, v6, v7, vcc
	v_lshlrev_b32_e32 v6, 16, v5
	v_mov_b32_e32 v7, 0x3b800000
	v_lshlrev_b32_e32 v3, 20, v3
	v_and_b32_e32 v6, 0x80000000, v6
	v_lshl_add_u32 v4, v4, 23, v7
	v_or3_b32 v4, v6, v4, v3
.LBB56_240:
	s_or_b64 exec, exec, s[6:7]
	s_nop 0
	v_mfma_f32_16x16x4f32 a[0:3], v2, v4, a[0:3]
	s_movk_i32 s4, 0xff
	v_and_b32_sdwa v3, v9, s4 dst_sel:DWORD dst_unused:UNUSED_PAD src0_sel:WORD_1 src1_sel:DWORD
	s_movk_i32 s4, 0x7f
	v_cmp_lt_i16_e32 vcc, s4, v3
	s_mov_b64 s[4:5], 0
                                        ; implicit-def: $sgpr10
	s_and_saveexec_b64 s[6:7], vcc
	s_xor_b64 s[6:7], exec, s[6:7]
	s_cbranch_execnz .LBB56_2289
; %bb.241:
	s_or_saveexec_b64 s[6:7], s[6:7]
	v_mov_b32_e32 v2, s10
	s_xor_b64 exec, exec, s[6:7]
	s_cbranch_execnz .LBB56_2292
.LBB56_242:
	s_or_b64 exec, exec, s[6:7]
	s_and_saveexec_b64 s[6:7], s[4:5]
	s_cbranch_execz .LBB56_244
.LBB56_243:
	v_bfe_u32 v2, v9, 16, 3
	v_ffbh_u32_e32 v6, v2
	v_min_u32_e32 v6, 32, v6
	v_lshrrev_b32_e32 v3, 19, v9
	v_subrev_u32_e32 v7, 28, v6
	v_and_b32_e32 v3, 15, v3
	v_lshlrev_b32_sdwa v7, v7, v9 dst_sel:DWORD dst_unused:UNUSED_PAD src0_sel:DWORD src1_sel:WORD_1
	v_bfe_u32 v4, v9, 19, 4
	v_sub_u32_e32 v6, 29, v6
	v_and_b32_e32 v7, 7, v7
	v_cmp_eq_u16_e32 vcc, 0, v3
	v_cndmask_b32_e32 v2, v2, v7, vcc
	v_cndmask_b32_e32 v3, v4, v6, vcc
	v_lshlrev_b32_e32 v4, 8, v9
	v_mov_b32_e32 v6, 0x3b800000
	v_lshlrev_b32_e32 v2, 20, v2
	v_and_b32_e32 v4, 0x80000000, v4
	v_lshl_add_u32 v3, v3, 23, v6
	v_or3_b32 v2, v4, v3, v2
.LBB56_244:
	s_or_b64 exec, exec, s[6:7]
	s_movk_i32 s4, 0xff
	v_and_b32_sdwa v3, v5, s4 dst_sel:DWORD dst_unused:UNUSED_PAD src0_sel:WORD_1 src1_sel:DWORD
	s_movk_i32 s4, 0x7f
	v_cmp_lt_i16_e32 vcc, s4, v3
	s_mov_b64 s[4:5], 0
                                        ; implicit-def: $sgpr10
	s_and_saveexec_b64 s[6:7], vcc
	s_xor_b64 s[6:7], exec, s[6:7]
	s_cbranch_execnz .LBB56_2293
; %bb.245:
	s_or_saveexec_b64 s[6:7], s[6:7]
	v_mov_b32_e32 v4, s10
	s_xor_b64 exec, exec, s[6:7]
	s_cbranch_execnz .LBB56_2296
.LBB56_246:
	s_or_b64 exec, exec, s[6:7]
	s_and_saveexec_b64 s[6:7], s[4:5]
	s_cbranch_execz .LBB56_248
.LBB56_247:
	v_bfe_u32 v3, v5, 16, 3
	v_ffbh_u32_e32 v7, v3
	v_min_u32_e32 v7, 32, v7
	v_lshrrev_b32_e32 v4, 19, v5
	v_subrev_u32_e32 v8, 28, v7
	v_and_b32_e32 v4, 15, v4
	v_lshlrev_b32_sdwa v8, v8, v5 dst_sel:DWORD dst_unused:UNUSED_PAD src0_sel:DWORD src1_sel:WORD_1
	v_bfe_u32 v6, v5, 19, 4
	v_sub_u32_e32 v7, 29, v7
	v_and_b32_e32 v8, 7, v8
	v_cmp_eq_u16_e32 vcc, 0, v4
	v_cndmask_b32_e32 v3, v3, v8, vcc
	v_cndmask_b32_e32 v4, v6, v7, vcc
	v_lshlrev_b32_e32 v6, 8, v5
	v_mov_b32_e32 v7, 0x3b800000
	v_lshlrev_b32_e32 v3, 20, v3
	v_and_b32_e32 v6, 0x80000000, v6
	v_lshl_add_u32 v4, v4, 23, v7
	v_or3_b32 v4, v6, v4, v3
.LBB56_248:
	s_or_b64 exec, exec, s[6:7]
	s_nop 0
	v_mfma_f32_16x16x4f32 a[0:3], v2, v4, a[0:3]
	s_movk_i32 s4, 0x7f
	v_cmp_gt_i16_sdwa s[6:7], v9, s4 src0_sel:BYTE_3 src1_sel:DWORD
	s_mov_b64 s[4:5], 0
                                        ; implicit-def: $sgpr10
	s_and_saveexec_b64 s[8:9], s[6:7]
	s_xor_b64 s[6:7], exec, s[8:9]
	s_cbranch_execnz .LBB56_2297
; %bb.249:
	s_or_saveexec_b64 s[6:7], s[6:7]
	v_mov_b32_e32 v2, s10
	s_xor_b64 exec, exec, s[6:7]
	s_cbranch_execnz .LBB56_2300
.LBB56_250:
	s_or_b64 exec, exec, s[6:7]
	s_and_saveexec_b64 s[6:7], s[4:5]
	s_cbranch_execz .LBB56_252
.LBB56_251:
	v_bfe_u32 v2, v9, 24, 3
	v_ffbh_u32_e32 v7, v2
	v_min_u32_e32 v7, 32, v7
	v_lshrrev_b32_e32 v4, 27, v9
	v_subrev_u32_e32 v8, 28, v7
	v_and_b32_e32 v4, 15, v4
	v_lshlrev_b32_sdwa v8, v8, v9 dst_sel:DWORD dst_unused:UNUSED_PAD src0_sel:DWORD src1_sel:BYTE_3
	v_bfe_u32 v6, v9, 27, 4
	v_sub_u32_e32 v7, 29, v7
	v_and_b32_e32 v8, 7, v8
	v_cmp_eq_u16_e32 vcc, 0, v4
	v_cndmask_b32_e32 v2, v2, v8, vcc
	v_cndmask_b32_e32 v4, v6, v7, vcc
	v_mov_b32_e32 v6, 0x3b800000
	v_and_b32_e32 v3, 0x80000000, v9
	v_lshlrev_b32_e32 v2, 20, v2
	v_lshl_add_u32 v4, v4, 23, v6
	v_or3_b32 v2, v3, v4, v2
.LBB56_252:
	s_or_b64 exec, exec, s[6:7]
	s_movk_i32 s4, 0x7f
	v_cmp_gt_i16_sdwa s[6:7], v5, s4 src0_sel:BYTE_3 src1_sel:DWORD
	s_mov_b64 s[4:5], 0
                                        ; implicit-def: $sgpr10
	s_and_saveexec_b64 s[8:9], s[6:7]
	s_xor_b64 s[6:7], exec, s[8:9]
	s_cbranch_execnz .LBB56_2301
; %bb.253:
	s_or_saveexec_b64 s[6:7], s[6:7]
	v_mov_b32_e32 v3, s10
	s_xor_b64 exec, exec, s[6:7]
	s_cbranch_execnz .LBB56_2304
.LBB56_254:
	s_or_b64 exec, exec, s[6:7]
	s_and_saveexec_b64 s[6:7], s[4:5]
	s_cbranch_execz .LBB56_256
.LBB56_255:
	v_bfe_u32 v3, v5, 24, 3
	v_ffbh_u32_e32 v8, v3
	v_min_u32_e32 v8, 32, v8
	v_lshrrev_b32_e32 v6, 27, v5
	v_subrev_u32_e32 v9, 28, v8
	v_and_b32_e32 v4, 0x80000000, v5
	v_and_b32_e32 v6, 15, v6
	v_bfe_u32 v7, v5, 27, 4
	v_lshlrev_b32_sdwa v5, v9, v5 dst_sel:DWORD dst_unused:UNUSED_PAD src0_sel:DWORD src1_sel:BYTE_3
	v_sub_u32_e32 v8, 29, v8
	v_and_b32_e32 v5, 7, v5
	v_cmp_eq_u16_e32 vcc, 0, v6
	v_cndmask_b32_e32 v3, v3, v5, vcc
	v_cndmask_b32_e32 v5, v7, v8, vcc
	v_mov_b32_e32 v6, 0x3b800000
	v_lshlrev_b32_e32 v3, 20, v3
	v_lshl_add_u32 v5, v5, 23, v6
	v_or3_b32 v3, v4, v5, v3
.LBB56_256:
	s_or_b64 exec, exec, s[6:7]
	s_nop 0
	v_mfma_f32_16x16x4f32 a[0:3], v2, v3, a[0:3]
	s_movk_i32 s4, 0x7f
                                        ; implicit-def: $sgpr10
	s_nop 7
	s_nop 1
	flat_store_dwordx4 v[18:19], a[0:3] offset:512
	flat_load_dwordx4 v[20:23], v[0:1] offset:8
	s_nop 0
	flat_load_dwordx2 v[18:19], v[0:1] offset:24
	s_waitcnt vmcnt(0) lgkmcnt(0)
	flat_load_dwordx4 v[14:17], v[20:21]
	flat_load_dwordx4 v[6:9], v[20:21] offset:16
	flat_load_dwordx4 v[10:13], v[22:23] offset:288
	;; [unrolled: 1-line block ×3, first 2 shown]
	s_waitcnt vmcnt(0) lgkmcnt(0)
	v_cmp_gt_i16_sdwa s[6:7], v14, s4 src0_sel:BYTE_0 src1_sel:DWORD
	s_mov_b64 s[4:5], 0
	s_and_saveexec_b64 s[8:9], s[6:7]
	s_xor_b64 s[6:7], exec, s[8:9]
	s_cbranch_execnz .LBB56_2305
; %bb.257:
	s_or_saveexec_b64 s[6:7], s[6:7]
	v_mov_b32_e32 v20, s10
	s_xor_b64 exec, exec, s[6:7]
	s_cbranch_execnz .LBB56_2308
.LBB56_258:
	s_or_b64 exec, exec, s[6:7]
	s_and_saveexec_b64 s[6:7], s[4:5]
	s_cbranch_execz .LBB56_260
.LBB56_259:
	v_and_b32_e32 v20, 7, v14
	v_ffbh_u32_e32 v22, v20
	v_min_u32_e32 v22, 32, v22
	v_lshrrev_b16_e32 v21, 3, v14
	v_subrev_u32_e32 v23, 28, v22
	v_and_b32_e32 v21, 15, v21
	v_lshlrev_b32_e32 v23, v23, v14
	v_sub_u32_e32 v22, 29, v22
	v_and_b32_e32 v23, 7, v23
	v_cmp_eq_u16_e32 vcc, 0, v21
	v_cndmask_b32_e32 v20, v20, v23, vcc
	v_cndmask_b32_e32 v21, v21, v22, vcc
	v_lshlrev_b32_e32 v22, 24, v14
	v_mov_b32_e32 v23, 0x3b800000
	v_lshlrev_b32_e32 v20, 20, v20
	v_and_b32_e32 v22, 0x80000000, v22
	v_lshl_add_u32 v21, v21, 23, v23
	v_or3_b32 v20, v22, v21, v20
.LBB56_260:
	s_or_b64 exec, exec, s[6:7]
	s_movk_i32 s4, 0x7f
	v_cmp_gt_i16_sdwa s[6:7], v10, s4 src0_sel:BYTE_0 src1_sel:DWORD
	s_mov_b64 s[4:5], 0
                                        ; implicit-def: $sgpr10
	s_and_saveexec_b64 s[8:9], s[6:7]
	s_xor_b64 s[6:7], exec, s[8:9]
	s_cbranch_execnz .LBB56_2309
; %bb.261:
	s_or_saveexec_b64 s[6:7], s[6:7]
	v_mov_b32_e32 v21, s10
	s_xor_b64 exec, exec, s[6:7]
	s_cbranch_execnz .LBB56_2312
.LBB56_262:
	s_or_b64 exec, exec, s[6:7]
	s_and_saveexec_b64 s[6:7], s[4:5]
	s_cbranch_execz .LBB56_264
.LBB56_263:
	v_and_b32_e32 v21, 7, v10
	v_ffbh_u32_e32 v23, v21
	v_min_u32_e32 v23, 32, v23
	v_lshrrev_b16_e32 v22, 3, v10
	v_subrev_u32_e32 v24, 28, v23
	v_and_b32_e32 v22, 15, v22
	v_lshlrev_b32_e32 v24, v24, v10
	v_sub_u32_e32 v23, 29, v23
	v_and_b32_e32 v24, 7, v24
	v_cmp_eq_u16_e32 vcc, 0, v22
	v_cndmask_b32_e32 v21, v21, v24, vcc
	v_cndmask_b32_e32 v22, v22, v23, vcc
	v_lshlrev_b32_e32 v23, 24, v10
	v_mov_b32_e32 v24, 0x3b800000
	v_lshlrev_b32_e32 v21, 20, v21
	v_and_b32_e32 v23, 0x80000000, v23
	v_lshl_add_u32 v22, v22, 23, v24
	v_or3_b32 v21, v23, v22, v21
.LBB56_264:
	s_or_b64 exec, exec, s[6:7]
	flat_load_dwordx4 a[0:3], v[18:19] offset:528
	s_movk_i32 s4, 0x7f
                                        ; implicit-def: $sgpr10
	s_waitcnt vmcnt(0) lgkmcnt(0)
	v_mfma_f32_16x16x4f32 a[0:3], v20, v21, a[0:3]
	v_lshrrev_b32_e32 v21, 8, v14
	v_cmp_gt_i16_sdwa s[6:7], v21, s4 src0_sel:BYTE_0 src1_sel:DWORD
	s_mov_b64 s[4:5], 0
	s_and_saveexec_b64 s[8:9], s[6:7]
	s_xor_b64 s[6:7], exec, s[8:9]
	s_cbranch_execnz .LBB56_2313
; %bb.265:
	s_or_saveexec_b64 s[6:7], s[6:7]
	v_mov_b32_e32 v20, s10
	s_xor_b64 exec, exec, s[6:7]
	s_cbranch_execnz .LBB56_2316
.LBB56_266:
	s_or_b64 exec, exec, s[6:7]
	s_and_saveexec_b64 s[6:7], s[4:5]
	s_cbranch_execz .LBB56_268
.LBB56_267:
	v_bfe_u32 v20, v14, 8, 3
	v_ffbh_u32_e32 v23, v20
	v_min_u32_e32 v23, 32, v23
	v_lshrrev_b16_e32 v22, 3, v21
	v_subrev_u32_e32 v24, 28, v23
	v_and_b32_e32 v22, 15, v22
	v_lshlrev_b32_e32 v21, v24, v21
	v_sub_u32_e32 v23, 29, v23
	v_and_b32_e32 v21, 7, v21
	v_cmp_eq_u16_e32 vcc, 0, v22
	v_cndmask_b32_e32 v20, v20, v21, vcc
	v_cndmask_b32_e32 v21, v22, v23, vcc
	v_lshlrev_b32_e32 v22, 16, v14
	v_mov_b32_e32 v23, 0x3b800000
	v_lshlrev_b32_e32 v20, 20, v20
	v_and_b32_e32 v22, 0x80000000, v22
	v_lshl_add_u32 v21, v21, 23, v23
	v_or3_b32 v20, v22, v21, v20
.LBB56_268:
	s_or_b64 exec, exec, s[6:7]
	v_lshrrev_b32_e32 v21, 8, v10
	s_movk_i32 s4, 0x7f
	v_cmp_gt_i16_sdwa s[6:7], v21, s4 src0_sel:BYTE_0 src1_sel:DWORD
	s_mov_b64 s[4:5], 0
                                        ; implicit-def: $sgpr10
	s_and_saveexec_b64 s[8:9], s[6:7]
	s_xor_b64 s[6:7], exec, s[8:9]
	s_cbranch_execnz .LBB56_2317
; %bb.269:
	s_or_saveexec_b64 s[6:7], s[6:7]
	v_mov_b32_e32 v22, s10
	s_xor_b64 exec, exec, s[6:7]
	s_cbranch_execnz .LBB56_2320
.LBB56_270:
	s_or_b64 exec, exec, s[6:7]
	s_and_saveexec_b64 s[6:7], s[4:5]
	s_cbranch_execz .LBB56_272
.LBB56_271:
	v_bfe_u32 v22, v10, 8, 3
	v_ffbh_u32_e32 v24, v22
	v_min_u32_e32 v24, 32, v24
	v_lshrrev_b16_e32 v23, 3, v21
	v_subrev_u32_e32 v25, 28, v24
	v_and_b32_e32 v23, 15, v23
	v_lshlrev_b32_e32 v21, v25, v21
	v_sub_u32_e32 v24, 29, v24
	v_and_b32_e32 v21, 7, v21
	v_cmp_eq_u16_e32 vcc, 0, v23
	v_cndmask_b32_e32 v21, v22, v21, vcc
	v_cndmask_b32_e32 v22, v23, v24, vcc
	v_lshlrev_b32_e32 v23, 16, v10
	v_mov_b32_e32 v24, 0x3b800000
	v_lshlrev_b32_e32 v21, 20, v21
	v_and_b32_e32 v23, 0x80000000, v23
	v_lshl_add_u32 v22, v22, 23, v24
	v_or3_b32 v22, v23, v22, v21
.LBB56_272:
	s_or_b64 exec, exec, s[6:7]
	s_nop 0
	v_mfma_f32_16x16x4f32 a[0:3], v20, v22, a[0:3]
	s_movk_i32 s4, 0xff
	v_and_b32_sdwa v21, v14, s4 dst_sel:DWORD dst_unused:UNUSED_PAD src0_sel:WORD_1 src1_sel:DWORD
	s_movk_i32 s4, 0x7f
	v_cmp_lt_i16_e32 vcc, s4, v21
	s_mov_b64 s[4:5], 0
                                        ; implicit-def: $sgpr10
	s_and_saveexec_b64 s[6:7], vcc
	s_xor_b64 s[6:7], exec, s[6:7]
	s_cbranch_execnz .LBB56_2321
; %bb.273:
	s_or_saveexec_b64 s[6:7], s[6:7]
	v_mov_b32_e32 v20, s10
	s_xor_b64 exec, exec, s[6:7]
	s_cbranch_execnz .LBB56_2324
.LBB56_274:
	s_or_b64 exec, exec, s[6:7]
	s_and_saveexec_b64 s[6:7], s[4:5]
	s_cbranch_execz .LBB56_276
.LBB56_275:
	v_bfe_u32 v20, v14, 16, 3
	v_ffbh_u32_e32 v23, v20
	v_min_u32_e32 v23, 32, v23
	v_lshrrev_b32_e32 v21, 19, v14
	v_subrev_u32_e32 v24, 28, v23
	v_and_b32_e32 v21, 15, v21
	v_lshlrev_b32_sdwa v24, v24, v14 dst_sel:DWORD dst_unused:UNUSED_PAD src0_sel:DWORD src1_sel:WORD_1
	v_bfe_u32 v22, v14, 19, 4
	v_sub_u32_e32 v23, 29, v23
	v_and_b32_e32 v24, 7, v24
	v_cmp_eq_u16_e32 vcc, 0, v21
	v_cndmask_b32_e32 v20, v20, v24, vcc
	v_cndmask_b32_e32 v21, v22, v23, vcc
	v_lshlrev_b32_e32 v22, 8, v14
	v_mov_b32_e32 v23, 0x3b800000
	v_lshlrev_b32_e32 v20, 20, v20
	v_and_b32_e32 v22, 0x80000000, v22
	v_lshl_add_u32 v21, v21, 23, v23
	v_or3_b32 v20, v22, v21, v20
.LBB56_276:
	s_or_b64 exec, exec, s[6:7]
	s_movk_i32 s4, 0xff
	v_and_b32_sdwa v21, v10, s4 dst_sel:DWORD dst_unused:UNUSED_PAD src0_sel:WORD_1 src1_sel:DWORD
	s_movk_i32 s4, 0x7f
	v_cmp_lt_i16_e32 vcc, s4, v21
	s_mov_b64 s[4:5], 0
                                        ; implicit-def: $sgpr10
	s_and_saveexec_b64 s[6:7], vcc
	s_xor_b64 s[6:7], exec, s[6:7]
	s_cbranch_execnz .LBB56_2325
; %bb.277:
	s_or_saveexec_b64 s[6:7], s[6:7]
	v_mov_b32_e32 v22, s10
	s_xor_b64 exec, exec, s[6:7]
	s_cbranch_execnz .LBB56_2328
.LBB56_278:
	s_or_b64 exec, exec, s[6:7]
	s_and_saveexec_b64 s[6:7], s[4:5]
	s_cbranch_execz .LBB56_280
.LBB56_279:
	v_bfe_u32 v21, v10, 16, 3
	v_ffbh_u32_e32 v24, v21
	v_min_u32_e32 v24, 32, v24
	v_lshrrev_b32_e32 v22, 19, v10
	v_subrev_u32_e32 v25, 28, v24
	v_and_b32_e32 v22, 15, v22
	v_lshlrev_b32_sdwa v25, v25, v10 dst_sel:DWORD dst_unused:UNUSED_PAD src0_sel:DWORD src1_sel:WORD_1
	v_bfe_u32 v23, v10, 19, 4
	v_sub_u32_e32 v24, 29, v24
	v_and_b32_e32 v25, 7, v25
	v_cmp_eq_u16_e32 vcc, 0, v22
	v_cndmask_b32_e32 v21, v21, v25, vcc
	v_cndmask_b32_e32 v22, v23, v24, vcc
	v_lshlrev_b32_e32 v23, 8, v10
	v_mov_b32_e32 v24, 0x3b800000
	v_lshlrev_b32_e32 v21, 20, v21
	v_and_b32_e32 v23, 0x80000000, v23
	v_lshl_add_u32 v22, v22, 23, v24
	v_or3_b32 v22, v23, v22, v21
.LBB56_280:
	s_or_b64 exec, exec, s[6:7]
	s_nop 0
	v_mfma_f32_16x16x4f32 a[0:3], v20, v22, a[0:3]
	s_movk_i32 s4, 0x7f
	v_cmp_gt_i16_sdwa s[6:7], v14, s4 src0_sel:BYTE_3 src1_sel:DWORD
	s_mov_b64 s[4:5], 0
                                        ; implicit-def: $sgpr10
	s_and_saveexec_b64 s[8:9], s[6:7]
	s_xor_b64 s[6:7], exec, s[8:9]
	s_cbranch_execnz .LBB56_2329
; %bb.281:
	s_or_saveexec_b64 s[6:7], s[6:7]
	v_mov_b32_e32 v20, s10
	s_xor_b64 exec, exec, s[6:7]
	s_cbranch_execnz .LBB56_2332
.LBB56_282:
	s_or_b64 exec, exec, s[6:7]
	s_and_saveexec_b64 s[6:7], s[4:5]
	s_cbranch_execz .LBB56_284
.LBB56_283:
	v_bfe_u32 v20, v14, 24, 3
	v_ffbh_u32_e32 v24, v20
	v_min_u32_e32 v24, 32, v24
	v_lshrrev_b32_e32 v22, 27, v14
	v_subrev_u32_e32 v25, 28, v24
	v_and_b32_e32 v21, 0x80000000, v14
	v_and_b32_e32 v22, 15, v22
	v_bfe_u32 v23, v14, 27, 4
	v_lshlrev_b32_sdwa v14, v25, v14 dst_sel:DWORD dst_unused:UNUSED_PAD src0_sel:DWORD src1_sel:BYTE_3
	v_sub_u32_e32 v24, 29, v24
	v_and_b32_e32 v14, 7, v14
	v_cmp_eq_u16_e32 vcc, 0, v22
	v_cndmask_b32_e32 v14, v20, v14, vcc
	v_cndmask_b32_e32 v20, v23, v24, vcc
	v_mov_b32_e32 v22, 0x3b800000
	v_lshlrev_b32_e32 v14, 20, v14
	v_lshl_add_u32 v20, v20, 23, v22
	v_or3_b32 v20, v21, v20, v14
.LBB56_284:
	s_or_b64 exec, exec, s[6:7]
	s_movk_i32 s4, 0x7f
	v_cmp_gt_i16_sdwa s[6:7], v10, s4 src0_sel:BYTE_3 src1_sel:DWORD
	s_mov_b64 s[4:5], 0
                                        ; implicit-def: $sgpr10
	s_and_saveexec_b64 s[8:9], s[6:7]
	s_xor_b64 s[6:7], exec, s[8:9]
	s_cbranch_execnz .LBB56_2333
; %bb.285:
	s_or_saveexec_b64 s[6:7], s[6:7]
	v_mov_b32_e32 v14, s10
	s_xor_b64 exec, exec, s[6:7]
	s_cbranch_execnz .LBB56_2336
.LBB56_286:
	s_or_b64 exec, exec, s[6:7]
	s_and_saveexec_b64 s[6:7], s[4:5]
	s_cbranch_execz .LBB56_288
.LBB56_287:
	v_bfe_u32 v14, v10, 24, 3
	v_ffbh_u32_e32 v24, v14
	v_min_u32_e32 v24, 32, v24
	v_lshrrev_b32_e32 v22, 27, v10
	v_subrev_u32_e32 v25, 28, v24
	v_and_b32_e32 v21, 0x80000000, v10
	v_and_b32_e32 v22, 15, v22
	v_bfe_u32 v23, v10, 27, 4
	v_lshlrev_b32_sdwa v10, v25, v10 dst_sel:DWORD dst_unused:UNUSED_PAD src0_sel:DWORD src1_sel:BYTE_3
	v_sub_u32_e32 v24, 29, v24
	v_and_b32_e32 v10, 7, v10
	v_cmp_eq_u16_e32 vcc, 0, v22
	v_cndmask_b32_e32 v10, v14, v10, vcc
	v_cndmask_b32_e32 v14, v23, v24, vcc
	v_mov_b32_e32 v22, 0x3b800000
	v_lshlrev_b32_e32 v10, 20, v10
	v_lshl_add_u32 v14, v14, 23, v22
	v_or3_b32 v14, v21, v14, v10
.LBB56_288:
	s_or_b64 exec, exec, s[6:7]
	s_nop 0
	v_mfma_f32_16x16x4f32 a[0:3], v20, v14, a[0:3]
	s_movk_i32 s4, 0x7f
	v_cmp_gt_i16_sdwa s[6:7], v15, s4 src0_sel:BYTE_0 src1_sel:DWORD
	s_mov_b64 s[4:5], 0
                                        ; implicit-def: $sgpr10
	s_and_saveexec_b64 s[8:9], s[6:7]
	s_xor_b64 s[6:7], exec, s[8:9]
	s_cbranch_execnz .LBB56_2337
; %bb.289:
	s_or_saveexec_b64 s[6:7], s[6:7]
	v_mov_b32_e32 v10, s10
	s_xor_b64 exec, exec, s[6:7]
	s_cbranch_execnz .LBB56_2340
.LBB56_290:
	s_or_b64 exec, exec, s[6:7]
	s_and_saveexec_b64 s[6:7], s[4:5]
	s_cbranch_execz .LBB56_292
.LBB56_291:
	v_and_b32_e32 v10, 7, v15
	v_ffbh_u32_e32 v20, v10
	v_min_u32_e32 v20, 32, v20
	v_lshrrev_b16_e32 v14, 3, v15
	v_subrev_u32_e32 v21, 28, v20
	v_and_b32_e32 v14, 15, v14
	v_lshlrev_b32_e32 v21, v21, v15
	v_sub_u32_e32 v20, 29, v20
	v_and_b32_e32 v21, 7, v21
	v_cmp_eq_u16_e32 vcc, 0, v14
	v_cndmask_b32_e32 v10, v10, v21, vcc
	v_cndmask_b32_e32 v14, v14, v20, vcc
	v_lshlrev_b32_e32 v20, 24, v15
	v_mov_b32_e32 v21, 0x3b800000
	v_lshlrev_b32_e32 v10, 20, v10
	v_and_b32_e32 v20, 0x80000000, v20
	v_lshl_add_u32 v14, v14, 23, v21
	v_or3_b32 v10, v20, v14, v10
.LBB56_292:
	s_or_b64 exec, exec, s[6:7]
	s_movk_i32 s4, 0x7f
	v_cmp_gt_i16_sdwa s[6:7], v11, s4 src0_sel:BYTE_0 src1_sel:DWORD
	s_mov_b64 s[4:5], 0
                                        ; implicit-def: $sgpr10
	s_and_saveexec_b64 s[8:9], s[6:7]
	s_xor_b64 s[6:7], exec, s[8:9]
	s_cbranch_execnz .LBB56_2341
; %bb.293:
	s_or_saveexec_b64 s[6:7], s[6:7]
	v_mov_b32_e32 v14, s10
	s_xor_b64 exec, exec, s[6:7]
	s_cbranch_execnz .LBB56_2344
.LBB56_294:
	s_or_b64 exec, exec, s[6:7]
	s_and_saveexec_b64 s[6:7], s[4:5]
	s_cbranch_execz .LBB56_296
.LBB56_295:
	v_and_b32_e32 v14, 7, v11
	v_ffbh_u32_e32 v21, v14
	v_min_u32_e32 v21, 32, v21
	v_lshrrev_b16_e32 v20, 3, v11
	v_subrev_u32_e32 v22, 28, v21
	v_and_b32_e32 v20, 15, v20
	v_lshlrev_b32_e32 v22, v22, v11
	v_sub_u32_e32 v21, 29, v21
	v_and_b32_e32 v22, 7, v22
	v_cmp_eq_u16_e32 vcc, 0, v20
	v_cndmask_b32_e32 v14, v14, v22, vcc
	v_cndmask_b32_e32 v20, v20, v21, vcc
	v_lshlrev_b32_e32 v21, 24, v11
	v_mov_b32_e32 v22, 0x3b800000
	v_lshlrev_b32_e32 v14, 20, v14
	v_and_b32_e32 v21, 0x80000000, v21
	v_lshl_add_u32 v20, v20, 23, v22
	v_or3_b32 v14, v21, v20, v14
.LBB56_296:
	s_or_b64 exec, exec, s[6:7]
	s_nop 0
	v_mfma_f32_16x16x4f32 a[0:3], v10, v14, a[0:3]
	v_lshrrev_b32_e32 v14, 8, v15
	s_movk_i32 s4, 0x7f
	v_cmp_gt_i16_sdwa s[6:7], v14, s4 src0_sel:BYTE_0 src1_sel:DWORD
	s_mov_b64 s[4:5], 0
                                        ; implicit-def: $sgpr10
	s_and_saveexec_b64 s[8:9], s[6:7]
	s_xor_b64 s[6:7], exec, s[8:9]
	s_cbranch_execnz .LBB56_2345
; %bb.297:
	s_or_saveexec_b64 s[6:7], s[6:7]
	v_mov_b32_e32 v10, s10
	s_xor_b64 exec, exec, s[6:7]
	s_cbranch_execnz .LBB56_2348
.LBB56_298:
	s_or_b64 exec, exec, s[6:7]
	s_and_saveexec_b64 s[6:7], s[4:5]
	s_cbranch_execz .LBB56_300
.LBB56_299:
	v_bfe_u32 v10, v15, 8, 3
	v_ffbh_u32_e32 v21, v10
	v_min_u32_e32 v21, 32, v21
	v_lshrrev_b16_e32 v20, 3, v14
	v_subrev_u32_e32 v22, 28, v21
	v_and_b32_e32 v20, 15, v20
	v_lshlrev_b32_e32 v14, v22, v14
	v_sub_u32_e32 v21, 29, v21
	v_and_b32_e32 v14, 7, v14
	v_cmp_eq_u16_e32 vcc, 0, v20
	v_cndmask_b32_e32 v10, v10, v14, vcc
	v_cndmask_b32_e32 v14, v20, v21, vcc
	v_lshlrev_b32_e32 v20, 16, v15
	v_mov_b32_e32 v21, 0x3b800000
	v_lshlrev_b32_e32 v10, 20, v10
	v_and_b32_e32 v20, 0x80000000, v20
	v_lshl_add_u32 v14, v14, 23, v21
	v_or3_b32 v10, v20, v14, v10
.LBB56_300:
	s_or_b64 exec, exec, s[6:7]
	v_lshrrev_b32_e32 v14, 8, v11
	s_movk_i32 s4, 0x7f
	v_cmp_gt_i16_sdwa s[6:7], v14, s4 src0_sel:BYTE_0 src1_sel:DWORD
	s_mov_b64 s[4:5], 0
                                        ; implicit-def: $sgpr10
	s_and_saveexec_b64 s[8:9], s[6:7]
	s_xor_b64 s[6:7], exec, s[8:9]
	s_cbranch_execnz .LBB56_2349
; %bb.301:
	s_or_saveexec_b64 s[6:7], s[6:7]
	v_mov_b32_e32 v20, s10
	s_xor_b64 exec, exec, s[6:7]
	s_cbranch_execnz .LBB56_2352
.LBB56_302:
	s_or_b64 exec, exec, s[6:7]
	s_and_saveexec_b64 s[6:7], s[4:5]
	s_cbranch_execz .LBB56_304
.LBB56_303:
	v_bfe_u32 v20, v11, 8, 3
	v_ffbh_u32_e32 v22, v20
	v_min_u32_e32 v22, 32, v22
	v_lshrrev_b16_e32 v21, 3, v14
	v_subrev_u32_e32 v23, 28, v22
	v_and_b32_e32 v21, 15, v21
	v_lshlrev_b32_e32 v14, v23, v14
	v_sub_u32_e32 v22, 29, v22
	v_and_b32_e32 v14, 7, v14
	v_cmp_eq_u16_e32 vcc, 0, v21
	v_cndmask_b32_e32 v14, v20, v14, vcc
	v_cndmask_b32_e32 v20, v21, v22, vcc
	v_lshlrev_b32_e32 v21, 16, v11
	v_mov_b32_e32 v22, 0x3b800000
	v_lshlrev_b32_e32 v14, 20, v14
	v_and_b32_e32 v21, 0x80000000, v21
	v_lshl_add_u32 v20, v20, 23, v22
	v_or3_b32 v20, v21, v20, v14
.LBB56_304:
	s_or_b64 exec, exec, s[6:7]
	s_nop 0
	v_mfma_f32_16x16x4f32 a[0:3], v10, v20, a[0:3]
	s_movk_i32 s4, 0xff
	v_and_b32_sdwa v14, v15, s4 dst_sel:DWORD dst_unused:UNUSED_PAD src0_sel:WORD_1 src1_sel:DWORD
	s_movk_i32 s4, 0x7f
	v_cmp_lt_i16_e32 vcc, s4, v14
	s_mov_b64 s[4:5], 0
                                        ; implicit-def: $sgpr10
	s_and_saveexec_b64 s[6:7], vcc
	s_xor_b64 s[6:7], exec, s[6:7]
	s_cbranch_execnz .LBB56_2353
; %bb.305:
	s_or_saveexec_b64 s[6:7], s[6:7]
	v_mov_b32_e32 v10, s10
	s_xor_b64 exec, exec, s[6:7]
	s_cbranch_execnz .LBB56_2356
.LBB56_306:
	s_or_b64 exec, exec, s[6:7]
	s_and_saveexec_b64 s[6:7], s[4:5]
	s_cbranch_execz .LBB56_308
.LBB56_307:
	v_bfe_u32 v10, v15, 16, 3
	v_ffbh_u32_e32 v21, v10
	v_min_u32_e32 v21, 32, v21
	v_lshrrev_b32_e32 v14, 19, v15
	v_subrev_u32_e32 v22, 28, v21
	v_and_b32_e32 v14, 15, v14
	v_lshlrev_b32_sdwa v22, v22, v15 dst_sel:DWORD dst_unused:UNUSED_PAD src0_sel:DWORD src1_sel:WORD_1
	v_bfe_u32 v20, v15, 19, 4
	v_sub_u32_e32 v21, 29, v21
	v_and_b32_e32 v22, 7, v22
	v_cmp_eq_u16_e32 vcc, 0, v14
	v_cndmask_b32_e32 v10, v10, v22, vcc
	v_cndmask_b32_e32 v14, v20, v21, vcc
	v_lshlrev_b32_e32 v20, 8, v15
	v_mov_b32_e32 v21, 0x3b800000
	v_lshlrev_b32_e32 v10, 20, v10
	v_and_b32_e32 v20, 0x80000000, v20
	v_lshl_add_u32 v14, v14, 23, v21
	v_or3_b32 v10, v20, v14, v10
.LBB56_308:
	s_or_b64 exec, exec, s[6:7]
	s_movk_i32 s4, 0xff
	v_and_b32_sdwa v14, v11, s4 dst_sel:DWORD dst_unused:UNUSED_PAD src0_sel:WORD_1 src1_sel:DWORD
	s_movk_i32 s4, 0x7f
	v_cmp_lt_i16_e32 vcc, s4, v14
	s_mov_b64 s[4:5], 0
                                        ; implicit-def: $sgpr10
	s_and_saveexec_b64 s[6:7], vcc
	s_xor_b64 s[6:7], exec, s[6:7]
	s_cbranch_execnz .LBB56_2357
; %bb.309:
	s_or_saveexec_b64 s[6:7], s[6:7]
	v_mov_b32_e32 v20, s10
	s_xor_b64 exec, exec, s[6:7]
	s_cbranch_execnz .LBB56_2360
.LBB56_310:
	s_or_b64 exec, exec, s[6:7]
	s_and_saveexec_b64 s[6:7], s[4:5]
	s_cbranch_execz .LBB56_312
.LBB56_311:
	v_bfe_u32 v14, v11, 16, 3
	v_ffbh_u32_e32 v22, v14
	v_min_u32_e32 v22, 32, v22
	v_lshrrev_b32_e32 v20, 19, v11
	v_subrev_u32_e32 v23, 28, v22
	v_and_b32_e32 v20, 15, v20
	v_lshlrev_b32_sdwa v23, v23, v11 dst_sel:DWORD dst_unused:UNUSED_PAD src0_sel:DWORD src1_sel:WORD_1
	v_bfe_u32 v21, v11, 19, 4
	v_sub_u32_e32 v22, 29, v22
	v_and_b32_e32 v23, 7, v23
	v_cmp_eq_u16_e32 vcc, 0, v20
	v_cndmask_b32_e32 v14, v14, v23, vcc
	v_cndmask_b32_e32 v20, v21, v22, vcc
	v_lshlrev_b32_e32 v21, 8, v11
	v_mov_b32_e32 v22, 0x3b800000
	v_lshlrev_b32_e32 v14, 20, v14
	v_and_b32_e32 v21, 0x80000000, v21
	v_lshl_add_u32 v20, v20, 23, v22
	v_or3_b32 v20, v21, v20, v14
.LBB56_312:
	s_or_b64 exec, exec, s[6:7]
	s_nop 0
	v_mfma_f32_16x16x4f32 a[0:3], v10, v20, a[0:3]
	s_movk_i32 s4, 0x7f
	v_cmp_gt_i16_sdwa s[6:7], v15, s4 src0_sel:BYTE_3 src1_sel:DWORD
	s_mov_b64 s[4:5], 0
                                        ; implicit-def: $sgpr10
	s_and_saveexec_b64 s[8:9], s[6:7]
	s_xor_b64 s[6:7], exec, s[8:9]
	s_cbranch_execnz .LBB56_2361
; %bb.313:
	s_or_saveexec_b64 s[6:7], s[6:7]
	v_mov_b32_e32 v10, s10
	s_xor_b64 exec, exec, s[6:7]
	s_cbranch_execnz .LBB56_2364
.LBB56_314:
	s_or_b64 exec, exec, s[6:7]
	s_and_saveexec_b64 s[6:7], s[4:5]
	s_cbranch_execz .LBB56_316
.LBB56_315:
	v_bfe_u32 v10, v15, 24, 3
	v_ffbh_u32_e32 v22, v10
	v_min_u32_e32 v22, 32, v22
	v_lshrrev_b32_e32 v20, 27, v15
	v_subrev_u32_e32 v23, 28, v22
	v_and_b32_e32 v14, 0x80000000, v15
	v_and_b32_e32 v20, 15, v20
	v_bfe_u32 v21, v15, 27, 4
	v_lshlrev_b32_sdwa v15, v23, v15 dst_sel:DWORD dst_unused:UNUSED_PAD src0_sel:DWORD src1_sel:BYTE_3
	v_sub_u32_e32 v22, 29, v22
	v_and_b32_e32 v15, 7, v15
	v_cmp_eq_u16_e32 vcc, 0, v20
	v_cndmask_b32_e32 v10, v10, v15, vcc
	v_cndmask_b32_e32 v15, v21, v22, vcc
	v_mov_b32_e32 v20, 0x3b800000
	v_lshlrev_b32_e32 v10, 20, v10
	v_lshl_add_u32 v15, v15, 23, v20
	v_or3_b32 v10, v14, v15, v10
.LBB56_316:
	s_or_b64 exec, exec, s[6:7]
	s_movk_i32 s4, 0x7f
	v_cmp_gt_i16_sdwa s[6:7], v11, s4 src0_sel:BYTE_3 src1_sel:DWORD
	s_mov_b64 s[4:5], 0
                                        ; implicit-def: $sgpr10
	s_and_saveexec_b64 s[8:9], s[6:7]
	s_xor_b64 s[6:7], exec, s[8:9]
	s_cbranch_execnz .LBB56_2365
; %bb.317:
	s_or_saveexec_b64 s[6:7], s[6:7]
	v_mov_b32_e32 v14, s10
	s_xor_b64 exec, exec, s[6:7]
	s_cbranch_execnz .LBB56_2368
.LBB56_318:
	s_or_b64 exec, exec, s[6:7]
	s_and_saveexec_b64 s[6:7], s[4:5]
	s_cbranch_execz .LBB56_320
.LBB56_319:
	v_bfe_u32 v14, v11, 24, 3
	v_ffbh_u32_e32 v22, v14
	v_min_u32_e32 v22, 32, v22
	v_lshrrev_b32_e32 v20, 27, v11
	v_subrev_u32_e32 v23, 28, v22
	v_and_b32_e32 v15, 0x80000000, v11
	v_and_b32_e32 v20, 15, v20
	v_bfe_u32 v21, v11, 27, 4
	v_lshlrev_b32_sdwa v11, v23, v11 dst_sel:DWORD dst_unused:UNUSED_PAD src0_sel:DWORD src1_sel:BYTE_3
	v_sub_u32_e32 v22, 29, v22
	v_and_b32_e32 v11, 7, v11
	v_cmp_eq_u16_e32 vcc, 0, v20
	v_cndmask_b32_e32 v11, v14, v11, vcc
	v_cndmask_b32_e32 v14, v21, v22, vcc
	v_mov_b32_e32 v20, 0x3b800000
	v_lshlrev_b32_e32 v11, 20, v11
	v_lshl_add_u32 v14, v14, 23, v20
	v_or3_b32 v14, v15, v14, v11
.LBB56_320:
	s_or_b64 exec, exec, s[6:7]
	s_nop 0
	v_mfma_f32_16x16x4f32 a[0:3], v10, v14, a[0:3]
	s_movk_i32 s4, 0x7f
	v_cmp_gt_i16_sdwa s[6:7], v16, s4 src0_sel:BYTE_0 src1_sel:DWORD
	s_mov_b64 s[4:5], 0
                                        ; implicit-def: $sgpr10
	s_and_saveexec_b64 s[8:9], s[6:7]
	s_xor_b64 s[6:7], exec, s[8:9]
	s_cbranch_execnz .LBB56_2369
; %bb.321:
	s_or_saveexec_b64 s[6:7], s[6:7]
	v_mov_b32_e32 v10, s10
	s_xor_b64 exec, exec, s[6:7]
	s_cbranch_execnz .LBB56_2372
.LBB56_322:
	s_or_b64 exec, exec, s[6:7]
	s_and_saveexec_b64 s[6:7], s[4:5]
	s_cbranch_execz .LBB56_324
.LBB56_323:
	v_and_b32_e32 v10, 7, v16
	v_ffbh_u32_e32 v14, v10
	v_min_u32_e32 v14, 32, v14
	v_lshrrev_b16_e32 v11, 3, v16
	v_subrev_u32_e32 v15, 28, v14
	v_and_b32_e32 v11, 15, v11
	v_lshlrev_b32_e32 v15, v15, v16
	v_sub_u32_e32 v14, 29, v14
	v_and_b32_e32 v15, 7, v15
	v_cmp_eq_u16_e32 vcc, 0, v11
	v_cndmask_b32_e32 v10, v10, v15, vcc
	v_cndmask_b32_e32 v11, v11, v14, vcc
	v_lshlrev_b32_e32 v14, 24, v16
	v_mov_b32_e32 v15, 0x3b800000
	v_lshlrev_b32_e32 v10, 20, v10
	v_and_b32_e32 v14, 0x80000000, v14
	v_lshl_add_u32 v11, v11, 23, v15
	v_or3_b32 v10, v14, v11, v10
.LBB56_324:
	s_or_b64 exec, exec, s[6:7]
	s_movk_i32 s4, 0x7f
	v_cmp_gt_i16_sdwa s[6:7], v12, s4 src0_sel:BYTE_0 src1_sel:DWORD
	s_mov_b64 s[4:5], 0
                                        ; implicit-def: $sgpr10
	s_and_saveexec_b64 s[8:9], s[6:7]
	s_xor_b64 s[6:7], exec, s[8:9]
	s_cbranch_execnz .LBB56_2373
; %bb.325:
	s_or_saveexec_b64 s[6:7], s[6:7]
	v_mov_b32_e32 v11, s10
	s_xor_b64 exec, exec, s[6:7]
	s_cbranch_execnz .LBB56_2376
.LBB56_326:
	s_or_b64 exec, exec, s[6:7]
	s_and_saveexec_b64 s[6:7], s[4:5]
	s_cbranch_execz .LBB56_328
.LBB56_327:
	v_and_b32_e32 v11, 7, v12
	v_ffbh_u32_e32 v15, v11
	v_min_u32_e32 v15, 32, v15
	v_lshrrev_b16_e32 v14, 3, v12
	v_subrev_u32_e32 v20, 28, v15
	v_and_b32_e32 v14, 15, v14
	v_lshlrev_b32_e32 v20, v20, v12
	v_sub_u32_e32 v15, 29, v15
	v_and_b32_e32 v20, 7, v20
	v_cmp_eq_u16_e32 vcc, 0, v14
	v_cndmask_b32_e32 v11, v11, v20, vcc
	v_cndmask_b32_e32 v14, v14, v15, vcc
	v_lshlrev_b32_e32 v15, 24, v12
	v_mov_b32_e32 v20, 0x3b800000
	v_lshlrev_b32_e32 v11, 20, v11
	v_and_b32_e32 v15, 0x80000000, v15
	v_lshl_add_u32 v14, v14, 23, v20
	v_or3_b32 v11, v15, v14, v11
.LBB56_328:
	s_or_b64 exec, exec, s[6:7]
	s_nop 0
	v_mfma_f32_16x16x4f32 a[0:3], v10, v11, a[0:3]
	v_lshrrev_b32_e32 v11, 8, v16
	s_movk_i32 s4, 0x7f
	v_cmp_gt_i16_sdwa s[6:7], v11, s4 src0_sel:BYTE_0 src1_sel:DWORD
	s_mov_b64 s[4:5], 0
                                        ; implicit-def: $sgpr10
	s_and_saveexec_b64 s[8:9], s[6:7]
	s_xor_b64 s[6:7], exec, s[8:9]
	s_cbranch_execnz .LBB56_2377
; %bb.329:
	s_or_saveexec_b64 s[6:7], s[6:7]
	v_mov_b32_e32 v10, s10
	s_xor_b64 exec, exec, s[6:7]
	s_cbranch_execnz .LBB56_2380
.LBB56_330:
	s_or_b64 exec, exec, s[6:7]
	s_and_saveexec_b64 s[6:7], s[4:5]
	s_cbranch_execz .LBB56_332
.LBB56_331:
	v_bfe_u32 v10, v16, 8, 3
	v_ffbh_u32_e32 v15, v10
	v_min_u32_e32 v15, 32, v15
	v_lshrrev_b16_e32 v14, 3, v11
	v_subrev_u32_e32 v20, 28, v15
	v_and_b32_e32 v14, 15, v14
	v_lshlrev_b32_e32 v11, v20, v11
	v_sub_u32_e32 v15, 29, v15
	v_and_b32_e32 v11, 7, v11
	v_cmp_eq_u16_e32 vcc, 0, v14
	v_cndmask_b32_e32 v10, v10, v11, vcc
	v_cndmask_b32_e32 v11, v14, v15, vcc
	v_lshlrev_b32_e32 v14, 16, v16
	v_mov_b32_e32 v15, 0x3b800000
	v_lshlrev_b32_e32 v10, 20, v10
	v_and_b32_e32 v14, 0x80000000, v14
	v_lshl_add_u32 v11, v11, 23, v15
	v_or3_b32 v10, v14, v11, v10
.LBB56_332:
	s_or_b64 exec, exec, s[6:7]
	v_lshrrev_b32_e32 v11, 8, v12
	s_movk_i32 s4, 0x7f
	v_cmp_gt_i16_sdwa s[6:7], v11, s4 src0_sel:BYTE_0 src1_sel:DWORD
	s_mov_b64 s[4:5], 0
                                        ; implicit-def: $sgpr10
	s_and_saveexec_b64 s[8:9], s[6:7]
	s_xor_b64 s[6:7], exec, s[8:9]
	s_cbranch_execnz .LBB56_2381
; %bb.333:
	s_or_saveexec_b64 s[6:7], s[6:7]
	v_mov_b32_e32 v14, s10
	s_xor_b64 exec, exec, s[6:7]
	s_cbranch_execnz .LBB56_2384
.LBB56_334:
	s_or_b64 exec, exec, s[6:7]
	s_and_saveexec_b64 s[6:7], s[4:5]
	s_cbranch_execz .LBB56_336
.LBB56_335:
	v_bfe_u32 v14, v12, 8, 3
	v_ffbh_u32_e32 v20, v14
	v_min_u32_e32 v20, 32, v20
	v_lshrrev_b16_e32 v15, 3, v11
	v_subrev_u32_e32 v21, 28, v20
	v_and_b32_e32 v15, 15, v15
	v_lshlrev_b32_e32 v11, v21, v11
	v_sub_u32_e32 v20, 29, v20
	v_and_b32_e32 v11, 7, v11
	v_cmp_eq_u16_e32 vcc, 0, v15
	v_cndmask_b32_e32 v11, v14, v11, vcc
	v_cndmask_b32_e32 v14, v15, v20, vcc
	v_lshlrev_b32_e32 v15, 16, v12
	v_mov_b32_e32 v20, 0x3b800000
	v_lshlrev_b32_e32 v11, 20, v11
	v_and_b32_e32 v15, 0x80000000, v15
	v_lshl_add_u32 v14, v14, 23, v20
	v_or3_b32 v14, v15, v14, v11
.LBB56_336:
	s_or_b64 exec, exec, s[6:7]
	s_nop 0
	v_mfma_f32_16x16x4f32 a[0:3], v10, v14, a[0:3]
	s_movk_i32 s4, 0xff
	v_and_b32_sdwa v11, v16, s4 dst_sel:DWORD dst_unused:UNUSED_PAD src0_sel:WORD_1 src1_sel:DWORD
	s_movk_i32 s4, 0x7f
	v_cmp_lt_i16_e32 vcc, s4, v11
	s_mov_b64 s[4:5], 0
                                        ; implicit-def: $sgpr10
	s_and_saveexec_b64 s[6:7], vcc
	s_xor_b64 s[6:7], exec, s[6:7]
	s_cbranch_execnz .LBB56_2385
; %bb.337:
	s_or_saveexec_b64 s[6:7], s[6:7]
	v_mov_b32_e32 v10, s10
	s_xor_b64 exec, exec, s[6:7]
	s_cbranch_execnz .LBB56_2388
.LBB56_338:
	s_or_b64 exec, exec, s[6:7]
	s_and_saveexec_b64 s[6:7], s[4:5]
	s_cbranch_execz .LBB56_340
.LBB56_339:
	v_bfe_u32 v10, v16, 16, 3
	v_ffbh_u32_e32 v15, v10
	v_min_u32_e32 v15, 32, v15
	v_lshrrev_b32_e32 v11, 19, v16
	v_subrev_u32_e32 v20, 28, v15
	v_and_b32_e32 v11, 15, v11
	v_lshlrev_b32_sdwa v20, v20, v16 dst_sel:DWORD dst_unused:UNUSED_PAD src0_sel:DWORD src1_sel:WORD_1
	v_bfe_u32 v14, v16, 19, 4
	v_sub_u32_e32 v15, 29, v15
	v_and_b32_e32 v20, 7, v20
	v_cmp_eq_u16_e32 vcc, 0, v11
	v_cndmask_b32_e32 v10, v10, v20, vcc
	v_cndmask_b32_e32 v11, v14, v15, vcc
	v_lshlrev_b32_e32 v14, 8, v16
	v_mov_b32_e32 v15, 0x3b800000
	v_lshlrev_b32_e32 v10, 20, v10
	v_and_b32_e32 v14, 0x80000000, v14
	v_lshl_add_u32 v11, v11, 23, v15
	v_or3_b32 v10, v14, v11, v10
.LBB56_340:
	s_or_b64 exec, exec, s[6:7]
	s_movk_i32 s4, 0xff
	v_and_b32_sdwa v11, v12, s4 dst_sel:DWORD dst_unused:UNUSED_PAD src0_sel:WORD_1 src1_sel:DWORD
	s_movk_i32 s4, 0x7f
	v_cmp_lt_i16_e32 vcc, s4, v11
	s_mov_b64 s[4:5], 0
                                        ; implicit-def: $sgpr10
	s_and_saveexec_b64 s[6:7], vcc
	s_xor_b64 s[6:7], exec, s[6:7]
	s_cbranch_execnz .LBB56_2389
; %bb.341:
	s_or_saveexec_b64 s[6:7], s[6:7]
	v_mov_b32_e32 v14, s10
	s_xor_b64 exec, exec, s[6:7]
	s_cbranch_execnz .LBB56_2392
.LBB56_342:
	s_or_b64 exec, exec, s[6:7]
	s_and_saveexec_b64 s[6:7], s[4:5]
	s_cbranch_execz .LBB56_344
.LBB56_343:
	v_bfe_u32 v11, v12, 16, 3
	v_ffbh_u32_e32 v20, v11
	v_min_u32_e32 v20, 32, v20
	v_lshrrev_b32_e32 v14, 19, v12
	v_subrev_u32_e32 v21, 28, v20
	v_and_b32_e32 v14, 15, v14
	v_lshlrev_b32_sdwa v21, v21, v12 dst_sel:DWORD dst_unused:UNUSED_PAD src0_sel:DWORD src1_sel:WORD_1
	v_bfe_u32 v15, v12, 19, 4
	v_sub_u32_e32 v20, 29, v20
	v_and_b32_e32 v21, 7, v21
	v_cmp_eq_u16_e32 vcc, 0, v14
	v_cndmask_b32_e32 v11, v11, v21, vcc
	v_cndmask_b32_e32 v14, v15, v20, vcc
	v_lshlrev_b32_e32 v15, 8, v12
	v_mov_b32_e32 v20, 0x3b800000
	v_lshlrev_b32_e32 v11, 20, v11
	v_and_b32_e32 v15, 0x80000000, v15
	v_lshl_add_u32 v14, v14, 23, v20
	v_or3_b32 v14, v15, v14, v11
.LBB56_344:
	s_or_b64 exec, exec, s[6:7]
	s_nop 0
	v_mfma_f32_16x16x4f32 a[0:3], v10, v14, a[0:3]
	s_movk_i32 s4, 0x7f
	v_cmp_gt_i16_sdwa s[6:7], v16, s4 src0_sel:BYTE_3 src1_sel:DWORD
	s_mov_b64 s[4:5], 0
                                        ; implicit-def: $sgpr10
	s_and_saveexec_b64 s[8:9], s[6:7]
	s_xor_b64 s[6:7], exec, s[8:9]
	s_cbranch_execnz .LBB56_2393
; %bb.345:
	s_or_saveexec_b64 s[6:7], s[6:7]
	v_mov_b32_e32 v10, s10
	s_xor_b64 exec, exec, s[6:7]
	s_cbranch_execnz .LBB56_2396
.LBB56_346:
	s_or_b64 exec, exec, s[6:7]
	s_and_saveexec_b64 s[6:7], s[4:5]
	s_cbranch_execz .LBB56_348
.LBB56_347:
	v_bfe_u32 v10, v16, 24, 3
	v_ffbh_u32_e32 v20, v10
	v_min_u32_e32 v20, 32, v20
	v_lshrrev_b32_e32 v14, 27, v16
	v_subrev_u32_e32 v21, 28, v20
	v_and_b32_e32 v11, 0x80000000, v16
	v_and_b32_e32 v14, 15, v14
	v_bfe_u32 v15, v16, 27, 4
	v_lshlrev_b32_sdwa v16, v21, v16 dst_sel:DWORD dst_unused:UNUSED_PAD src0_sel:DWORD src1_sel:BYTE_3
	v_sub_u32_e32 v20, 29, v20
	v_and_b32_e32 v16, 7, v16
	v_cmp_eq_u16_e32 vcc, 0, v14
	v_cndmask_b32_e32 v10, v10, v16, vcc
	v_cndmask_b32_e32 v14, v15, v20, vcc
	v_mov_b32_e32 v15, 0x3b800000
	v_lshlrev_b32_e32 v10, 20, v10
	v_lshl_add_u32 v14, v14, 23, v15
	v_or3_b32 v10, v11, v14, v10
.LBB56_348:
	s_or_b64 exec, exec, s[6:7]
	s_movk_i32 s4, 0x7f
	v_cmp_gt_i16_sdwa s[6:7], v12, s4 src0_sel:BYTE_3 src1_sel:DWORD
	s_mov_b64 s[4:5], 0
                                        ; implicit-def: $sgpr10
	s_and_saveexec_b64 s[8:9], s[6:7]
	s_xor_b64 s[6:7], exec, s[8:9]
	s_cbranch_execnz .LBB56_2397
; %bb.349:
	s_or_saveexec_b64 s[6:7], s[6:7]
	v_mov_b32_e32 v11, s10
	s_xor_b64 exec, exec, s[6:7]
	s_cbranch_execnz .LBB56_2400
.LBB56_350:
	s_or_b64 exec, exec, s[6:7]
	s_and_saveexec_b64 s[6:7], s[4:5]
	s_cbranch_execz .LBB56_352
.LBB56_351:
	v_bfe_u32 v11, v12, 24, 3
	v_ffbh_u32_e32 v20, v11
	v_min_u32_e32 v20, 32, v20
	v_lshrrev_b32_e32 v15, 27, v12
	v_subrev_u32_e32 v21, 28, v20
	v_and_b32_e32 v14, 0x80000000, v12
	v_and_b32_e32 v15, 15, v15
	v_bfe_u32 v16, v12, 27, 4
	v_lshlrev_b32_sdwa v12, v21, v12 dst_sel:DWORD dst_unused:UNUSED_PAD src0_sel:DWORD src1_sel:BYTE_3
	v_sub_u32_e32 v20, 29, v20
	v_and_b32_e32 v12, 7, v12
	v_cmp_eq_u16_e32 vcc, 0, v15
	v_cndmask_b32_e32 v11, v11, v12, vcc
	v_cndmask_b32_e32 v12, v16, v20, vcc
	v_mov_b32_e32 v15, 0x3b800000
	v_lshlrev_b32_e32 v11, 20, v11
	v_lshl_add_u32 v12, v12, 23, v15
	v_or3_b32 v11, v14, v12, v11
.LBB56_352:
	s_or_b64 exec, exec, s[6:7]
	s_nop 0
	v_mfma_f32_16x16x4f32 a[0:3], v10, v11, a[0:3]
	s_movk_i32 s4, 0x7f
	v_cmp_gt_i16_sdwa s[6:7], v17, s4 src0_sel:BYTE_0 src1_sel:DWORD
	s_mov_b64 s[4:5], 0
                                        ; implicit-def: $sgpr10
	s_and_saveexec_b64 s[8:9], s[6:7]
	s_xor_b64 s[6:7], exec, s[8:9]
	s_cbranch_execnz .LBB56_2401
; %bb.353:
	s_or_saveexec_b64 s[6:7], s[6:7]
	v_mov_b32_e32 v10, s10
	s_xor_b64 exec, exec, s[6:7]
	s_cbranch_execnz .LBB56_2404
.LBB56_354:
	s_or_b64 exec, exec, s[6:7]
	s_and_saveexec_b64 s[6:7], s[4:5]
	s_cbranch_execz .LBB56_356
.LBB56_355:
	v_and_b32_e32 v10, 7, v17
	v_ffbh_u32_e32 v12, v10
	v_min_u32_e32 v12, 32, v12
	v_lshrrev_b16_e32 v11, 3, v17
	v_subrev_u32_e32 v14, 28, v12
	v_and_b32_e32 v11, 15, v11
	v_lshlrev_b32_e32 v14, v14, v17
	v_sub_u32_e32 v12, 29, v12
	v_and_b32_e32 v14, 7, v14
	v_cmp_eq_u16_e32 vcc, 0, v11
	v_cndmask_b32_e32 v10, v10, v14, vcc
	v_cndmask_b32_e32 v11, v11, v12, vcc
	v_lshlrev_b32_e32 v12, 24, v17
	v_mov_b32_e32 v14, 0x3b800000
	v_lshlrev_b32_e32 v10, 20, v10
	v_and_b32_e32 v12, 0x80000000, v12
	v_lshl_add_u32 v11, v11, 23, v14
	v_or3_b32 v10, v12, v11, v10
.LBB56_356:
	s_or_b64 exec, exec, s[6:7]
	s_movk_i32 s4, 0x7f
	v_cmp_gt_i16_sdwa s[6:7], v13, s4 src0_sel:BYTE_0 src1_sel:DWORD
	s_mov_b64 s[4:5], 0
                                        ; implicit-def: $sgpr10
	s_and_saveexec_b64 s[8:9], s[6:7]
	s_xor_b64 s[6:7], exec, s[8:9]
	s_cbranch_execnz .LBB56_2405
; %bb.357:
	s_or_saveexec_b64 s[6:7], s[6:7]
	v_mov_b32_e32 v11, s10
	s_xor_b64 exec, exec, s[6:7]
	s_cbranch_execnz .LBB56_2408
.LBB56_358:
	s_or_b64 exec, exec, s[6:7]
	s_and_saveexec_b64 s[6:7], s[4:5]
	s_cbranch_execz .LBB56_360
.LBB56_359:
	v_and_b32_e32 v11, 7, v13
	v_ffbh_u32_e32 v14, v11
	v_min_u32_e32 v14, 32, v14
	v_lshrrev_b16_e32 v12, 3, v13
	v_subrev_u32_e32 v15, 28, v14
	v_and_b32_e32 v12, 15, v12
	v_lshlrev_b32_e32 v15, v15, v13
	v_sub_u32_e32 v14, 29, v14
	v_and_b32_e32 v15, 7, v15
	v_cmp_eq_u16_e32 vcc, 0, v12
	v_cndmask_b32_e32 v11, v11, v15, vcc
	v_cndmask_b32_e32 v12, v12, v14, vcc
	v_lshlrev_b32_e32 v14, 24, v13
	v_mov_b32_e32 v15, 0x3b800000
	v_lshlrev_b32_e32 v11, 20, v11
	v_and_b32_e32 v14, 0x80000000, v14
	v_lshl_add_u32 v12, v12, 23, v15
	v_or3_b32 v11, v14, v12, v11
.LBB56_360:
	s_or_b64 exec, exec, s[6:7]
	s_nop 0
	v_mfma_f32_16x16x4f32 a[0:3], v10, v11, a[0:3]
	v_lshrrev_b32_e32 v11, 8, v17
	s_movk_i32 s4, 0x7f
	v_cmp_gt_i16_sdwa s[6:7], v11, s4 src0_sel:BYTE_0 src1_sel:DWORD
	s_mov_b64 s[4:5], 0
                                        ; implicit-def: $sgpr10
	s_and_saveexec_b64 s[8:9], s[6:7]
	s_xor_b64 s[6:7], exec, s[8:9]
	s_cbranch_execnz .LBB56_2409
; %bb.361:
	s_or_saveexec_b64 s[6:7], s[6:7]
	v_mov_b32_e32 v10, s10
	s_xor_b64 exec, exec, s[6:7]
	s_cbranch_execnz .LBB56_2412
.LBB56_362:
	s_or_b64 exec, exec, s[6:7]
	s_and_saveexec_b64 s[6:7], s[4:5]
	s_cbranch_execz .LBB56_364
.LBB56_363:
	v_bfe_u32 v10, v17, 8, 3
	v_ffbh_u32_e32 v14, v10
	v_min_u32_e32 v14, 32, v14
	v_lshrrev_b16_e32 v12, 3, v11
	v_subrev_u32_e32 v15, 28, v14
	v_and_b32_e32 v12, 15, v12
	v_lshlrev_b32_e32 v11, v15, v11
	v_sub_u32_e32 v14, 29, v14
	v_and_b32_e32 v11, 7, v11
	v_cmp_eq_u16_e32 vcc, 0, v12
	v_cndmask_b32_e32 v10, v10, v11, vcc
	v_cndmask_b32_e32 v11, v12, v14, vcc
	v_lshlrev_b32_e32 v12, 16, v17
	v_mov_b32_e32 v14, 0x3b800000
	v_lshlrev_b32_e32 v10, 20, v10
	v_and_b32_e32 v12, 0x80000000, v12
	v_lshl_add_u32 v11, v11, 23, v14
	v_or3_b32 v10, v12, v11, v10
.LBB56_364:
	s_or_b64 exec, exec, s[6:7]
	v_lshrrev_b32_e32 v11, 8, v13
	s_movk_i32 s4, 0x7f
	v_cmp_gt_i16_sdwa s[6:7], v11, s4 src0_sel:BYTE_0 src1_sel:DWORD
	s_mov_b64 s[4:5], 0
                                        ; implicit-def: $sgpr10
	s_and_saveexec_b64 s[8:9], s[6:7]
	s_xor_b64 s[6:7], exec, s[8:9]
	s_cbranch_execnz .LBB56_2413
; %bb.365:
	s_or_saveexec_b64 s[6:7], s[6:7]
	v_mov_b32_e32 v12, s10
	s_xor_b64 exec, exec, s[6:7]
	s_cbranch_execnz .LBB56_2416
.LBB56_366:
	s_or_b64 exec, exec, s[6:7]
	s_and_saveexec_b64 s[6:7], s[4:5]
	s_cbranch_execz .LBB56_368
.LBB56_367:
	v_bfe_u32 v12, v13, 8, 3
	v_ffbh_u32_e32 v15, v12
	v_min_u32_e32 v15, 32, v15
	v_lshrrev_b16_e32 v14, 3, v11
	v_subrev_u32_e32 v16, 28, v15
	v_and_b32_e32 v14, 15, v14
	v_lshlrev_b32_e32 v11, v16, v11
	v_sub_u32_e32 v15, 29, v15
	v_and_b32_e32 v11, 7, v11
	v_cmp_eq_u16_e32 vcc, 0, v14
	v_cndmask_b32_e32 v11, v12, v11, vcc
	v_cndmask_b32_e32 v12, v14, v15, vcc
	v_lshlrev_b32_e32 v14, 16, v13
	v_mov_b32_e32 v15, 0x3b800000
	v_lshlrev_b32_e32 v11, 20, v11
	v_and_b32_e32 v14, 0x80000000, v14
	v_lshl_add_u32 v12, v12, 23, v15
	v_or3_b32 v12, v14, v12, v11
.LBB56_368:
	s_or_b64 exec, exec, s[6:7]
	s_nop 0
	v_mfma_f32_16x16x4f32 a[0:3], v10, v12, a[0:3]
	s_movk_i32 s4, 0xff
	v_and_b32_sdwa v11, v17, s4 dst_sel:DWORD dst_unused:UNUSED_PAD src0_sel:WORD_1 src1_sel:DWORD
	s_movk_i32 s4, 0x7f
	v_cmp_lt_i16_e32 vcc, s4, v11
	s_mov_b64 s[4:5], 0
                                        ; implicit-def: $sgpr10
	s_and_saveexec_b64 s[6:7], vcc
	s_xor_b64 s[6:7], exec, s[6:7]
	s_cbranch_execnz .LBB56_2417
; %bb.369:
	s_or_saveexec_b64 s[6:7], s[6:7]
	v_mov_b32_e32 v10, s10
	s_xor_b64 exec, exec, s[6:7]
	s_cbranch_execnz .LBB56_2420
.LBB56_370:
	s_or_b64 exec, exec, s[6:7]
	s_and_saveexec_b64 s[6:7], s[4:5]
	s_cbranch_execz .LBB56_372
.LBB56_371:
	v_bfe_u32 v10, v17, 16, 3
	v_ffbh_u32_e32 v14, v10
	v_min_u32_e32 v14, 32, v14
	v_lshrrev_b32_e32 v11, 19, v17
	v_subrev_u32_e32 v15, 28, v14
	v_and_b32_e32 v11, 15, v11
	v_lshlrev_b32_sdwa v15, v15, v17 dst_sel:DWORD dst_unused:UNUSED_PAD src0_sel:DWORD src1_sel:WORD_1
	v_bfe_u32 v12, v17, 19, 4
	v_sub_u32_e32 v14, 29, v14
	v_and_b32_e32 v15, 7, v15
	v_cmp_eq_u16_e32 vcc, 0, v11
	v_cndmask_b32_e32 v10, v10, v15, vcc
	v_cndmask_b32_e32 v11, v12, v14, vcc
	v_lshlrev_b32_e32 v12, 8, v17
	v_mov_b32_e32 v14, 0x3b800000
	v_lshlrev_b32_e32 v10, 20, v10
	v_and_b32_e32 v12, 0x80000000, v12
	v_lshl_add_u32 v11, v11, 23, v14
	v_or3_b32 v10, v12, v11, v10
.LBB56_372:
	s_or_b64 exec, exec, s[6:7]
	s_movk_i32 s4, 0xff
	v_and_b32_sdwa v11, v13, s4 dst_sel:DWORD dst_unused:UNUSED_PAD src0_sel:WORD_1 src1_sel:DWORD
	s_movk_i32 s4, 0x7f
	v_cmp_lt_i16_e32 vcc, s4, v11
	s_mov_b64 s[4:5], 0
                                        ; implicit-def: $sgpr10
	s_and_saveexec_b64 s[6:7], vcc
	s_xor_b64 s[6:7], exec, s[6:7]
	s_cbranch_execnz .LBB56_2421
; %bb.373:
	s_or_saveexec_b64 s[6:7], s[6:7]
	v_mov_b32_e32 v12, s10
	s_xor_b64 exec, exec, s[6:7]
	s_cbranch_execnz .LBB56_2424
.LBB56_374:
	s_or_b64 exec, exec, s[6:7]
	s_and_saveexec_b64 s[6:7], s[4:5]
	s_cbranch_execz .LBB56_376
.LBB56_375:
	v_bfe_u32 v11, v13, 16, 3
	v_ffbh_u32_e32 v15, v11
	v_min_u32_e32 v15, 32, v15
	v_lshrrev_b32_e32 v12, 19, v13
	v_subrev_u32_e32 v16, 28, v15
	v_and_b32_e32 v12, 15, v12
	v_lshlrev_b32_sdwa v16, v16, v13 dst_sel:DWORD dst_unused:UNUSED_PAD src0_sel:DWORD src1_sel:WORD_1
	v_bfe_u32 v14, v13, 19, 4
	v_sub_u32_e32 v15, 29, v15
	v_and_b32_e32 v16, 7, v16
	v_cmp_eq_u16_e32 vcc, 0, v12
	v_cndmask_b32_e32 v11, v11, v16, vcc
	v_cndmask_b32_e32 v12, v14, v15, vcc
	v_lshlrev_b32_e32 v14, 8, v13
	v_mov_b32_e32 v15, 0x3b800000
	v_lshlrev_b32_e32 v11, 20, v11
	v_and_b32_e32 v14, 0x80000000, v14
	v_lshl_add_u32 v12, v12, 23, v15
	v_or3_b32 v12, v14, v12, v11
.LBB56_376:
	s_or_b64 exec, exec, s[6:7]
	s_nop 0
	v_mfma_f32_16x16x4f32 a[0:3], v10, v12, a[0:3]
	s_movk_i32 s4, 0x7f
	v_cmp_gt_i16_sdwa s[6:7], v17, s4 src0_sel:BYTE_3 src1_sel:DWORD
	s_mov_b64 s[4:5], 0
                                        ; implicit-def: $sgpr10
	s_and_saveexec_b64 s[8:9], s[6:7]
	s_xor_b64 s[6:7], exec, s[8:9]
	s_cbranch_execnz .LBB56_2425
; %bb.377:
	s_or_saveexec_b64 s[6:7], s[6:7]
	v_mov_b32_e32 v10, s10
	s_xor_b64 exec, exec, s[6:7]
	s_cbranch_execnz .LBB56_2428
.LBB56_378:
	s_or_b64 exec, exec, s[6:7]
	s_and_saveexec_b64 s[6:7], s[4:5]
	s_cbranch_execz .LBB56_380
.LBB56_379:
	v_bfe_u32 v10, v17, 24, 3
	v_ffbh_u32_e32 v15, v10
	v_min_u32_e32 v15, 32, v15
	v_lshrrev_b32_e32 v12, 27, v17
	v_subrev_u32_e32 v16, 28, v15
	v_and_b32_e32 v12, 15, v12
	v_lshlrev_b32_sdwa v16, v16, v17 dst_sel:DWORD dst_unused:UNUSED_PAD src0_sel:DWORD src1_sel:BYTE_3
	v_bfe_u32 v14, v17, 27, 4
	v_sub_u32_e32 v15, 29, v15
	v_and_b32_e32 v16, 7, v16
	v_cmp_eq_u16_e32 vcc, 0, v12
	v_cndmask_b32_e32 v10, v10, v16, vcc
	v_cndmask_b32_e32 v12, v14, v15, vcc
	v_mov_b32_e32 v14, 0x3b800000
	v_and_b32_e32 v11, 0x80000000, v17
	v_lshlrev_b32_e32 v10, 20, v10
	v_lshl_add_u32 v12, v12, 23, v14
	v_or3_b32 v10, v11, v12, v10
.LBB56_380:
	s_or_b64 exec, exec, s[6:7]
	s_movk_i32 s4, 0x7f
	v_cmp_gt_i16_sdwa s[6:7], v13, s4 src0_sel:BYTE_3 src1_sel:DWORD
	s_mov_b64 s[4:5], 0
                                        ; implicit-def: $sgpr10
	s_and_saveexec_b64 s[8:9], s[6:7]
	s_xor_b64 s[6:7], exec, s[8:9]
	s_cbranch_execnz .LBB56_2429
; %bb.381:
	s_or_saveexec_b64 s[6:7], s[6:7]
	v_mov_b32_e32 v11, s10
	s_xor_b64 exec, exec, s[6:7]
	s_cbranch_execnz .LBB56_2432
.LBB56_382:
	s_or_b64 exec, exec, s[6:7]
	s_and_saveexec_b64 s[6:7], s[4:5]
	s_cbranch_execz .LBB56_384
.LBB56_383:
	v_bfe_u32 v11, v13, 24, 3
	v_ffbh_u32_e32 v16, v11
	v_min_u32_e32 v16, 32, v16
	v_lshrrev_b32_e32 v14, 27, v13
	v_subrev_u32_e32 v17, 28, v16
	v_and_b32_e32 v12, 0x80000000, v13
	v_and_b32_e32 v14, 15, v14
	v_bfe_u32 v15, v13, 27, 4
	v_lshlrev_b32_sdwa v13, v17, v13 dst_sel:DWORD dst_unused:UNUSED_PAD src0_sel:DWORD src1_sel:BYTE_3
	v_sub_u32_e32 v16, 29, v16
	v_and_b32_e32 v13, 7, v13
	v_cmp_eq_u16_e32 vcc, 0, v14
	v_cndmask_b32_e32 v11, v11, v13, vcc
	v_cndmask_b32_e32 v13, v15, v16, vcc
	v_mov_b32_e32 v14, 0x3b800000
	v_lshlrev_b32_e32 v11, 20, v11
	v_lshl_add_u32 v13, v13, 23, v14
	v_or3_b32 v11, v12, v13, v11
.LBB56_384:
	s_or_b64 exec, exec, s[6:7]
	s_nop 0
	v_mfma_f32_16x16x4f32 a[0:3], v10, v11, a[0:3]
	s_movk_i32 s4, 0x7f
	v_cmp_gt_i16_sdwa s[6:7], v6, s4 src0_sel:BYTE_0 src1_sel:DWORD
	s_mov_b64 s[4:5], 0
                                        ; implicit-def: $sgpr10
	s_and_saveexec_b64 s[8:9], s[6:7]
	s_xor_b64 s[6:7], exec, s[8:9]
	s_cbranch_execnz .LBB56_2433
; %bb.385:
	s_or_saveexec_b64 s[6:7], s[6:7]
	v_mov_b32_e32 v10, s10
	s_xor_b64 exec, exec, s[6:7]
	s_cbranch_execnz .LBB56_2436
.LBB56_386:
	s_or_b64 exec, exec, s[6:7]
	s_and_saveexec_b64 s[6:7], s[4:5]
	s_cbranch_execz .LBB56_388
.LBB56_387:
	v_and_b32_e32 v10, 7, v6
	v_ffbh_u32_e32 v12, v10
	v_min_u32_e32 v12, 32, v12
	v_lshrrev_b16_e32 v11, 3, v6
	v_subrev_u32_e32 v13, 28, v12
	v_and_b32_e32 v11, 15, v11
	v_lshlrev_b32_e32 v13, v13, v6
	v_sub_u32_e32 v12, 29, v12
	v_and_b32_e32 v13, 7, v13
	v_cmp_eq_u16_e32 vcc, 0, v11
	v_cndmask_b32_e32 v10, v10, v13, vcc
	v_cndmask_b32_e32 v11, v11, v12, vcc
	v_lshlrev_b32_e32 v12, 24, v6
	v_mov_b32_e32 v13, 0x3b800000
	v_lshlrev_b32_e32 v10, 20, v10
	v_and_b32_e32 v12, 0x80000000, v12
	v_lshl_add_u32 v11, v11, 23, v13
	v_or3_b32 v10, v12, v11, v10
.LBB56_388:
	s_or_b64 exec, exec, s[6:7]
	s_movk_i32 s4, 0x7f
	v_cmp_gt_i16_sdwa s[6:7], v2, s4 src0_sel:BYTE_0 src1_sel:DWORD
	s_mov_b64 s[4:5], 0
                                        ; implicit-def: $sgpr10
	s_and_saveexec_b64 s[8:9], s[6:7]
	s_xor_b64 s[6:7], exec, s[8:9]
	s_cbranch_execnz .LBB56_2437
; %bb.389:
	s_or_saveexec_b64 s[6:7], s[6:7]
	v_mov_b32_e32 v11, s10
	s_xor_b64 exec, exec, s[6:7]
	s_cbranch_execnz .LBB56_2440
.LBB56_390:
	s_or_b64 exec, exec, s[6:7]
	s_and_saveexec_b64 s[6:7], s[4:5]
	s_cbranch_execz .LBB56_392
.LBB56_391:
	v_and_b32_e32 v11, 7, v2
	v_ffbh_u32_e32 v13, v11
	v_min_u32_e32 v13, 32, v13
	v_lshrrev_b16_e32 v12, 3, v2
	v_subrev_u32_e32 v14, 28, v13
	v_and_b32_e32 v12, 15, v12
	v_lshlrev_b32_e32 v14, v14, v2
	v_sub_u32_e32 v13, 29, v13
	v_and_b32_e32 v14, 7, v14
	v_cmp_eq_u16_e32 vcc, 0, v12
	v_cndmask_b32_e32 v11, v11, v14, vcc
	v_cndmask_b32_e32 v12, v12, v13, vcc
	v_lshlrev_b32_e32 v13, 24, v2
	v_mov_b32_e32 v14, 0x3b800000
	v_lshlrev_b32_e32 v11, 20, v11
	v_and_b32_e32 v13, 0x80000000, v13
	v_lshl_add_u32 v12, v12, 23, v14
	v_or3_b32 v11, v13, v12, v11
.LBB56_392:
	s_or_b64 exec, exec, s[6:7]
	s_nop 0
	v_mfma_f32_16x16x4f32 a[0:3], v10, v11, a[0:3]
	v_lshrrev_b32_e32 v11, 8, v6
	s_movk_i32 s4, 0x7f
	v_cmp_gt_i16_sdwa s[6:7], v11, s4 src0_sel:BYTE_0 src1_sel:DWORD
	s_mov_b64 s[4:5], 0
                                        ; implicit-def: $sgpr10
	s_and_saveexec_b64 s[8:9], s[6:7]
	s_xor_b64 s[6:7], exec, s[8:9]
	s_cbranch_execnz .LBB56_2441
; %bb.393:
	s_or_saveexec_b64 s[6:7], s[6:7]
	v_mov_b32_e32 v10, s10
	s_xor_b64 exec, exec, s[6:7]
	s_cbranch_execnz .LBB56_2444
.LBB56_394:
	s_or_b64 exec, exec, s[6:7]
	s_and_saveexec_b64 s[6:7], s[4:5]
	s_cbranch_execz .LBB56_396
.LBB56_395:
	v_bfe_u32 v10, v6, 8, 3
	v_ffbh_u32_e32 v13, v10
	v_min_u32_e32 v13, 32, v13
	v_lshrrev_b16_e32 v12, 3, v11
	v_subrev_u32_e32 v14, 28, v13
	v_and_b32_e32 v12, 15, v12
	v_lshlrev_b32_e32 v11, v14, v11
	v_sub_u32_e32 v13, 29, v13
	v_and_b32_e32 v11, 7, v11
	v_cmp_eq_u16_e32 vcc, 0, v12
	v_cndmask_b32_e32 v10, v10, v11, vcc
	v_cndmask_b32_e32 v11, v12, v13, vcc
	v_lshlrev_b32_e32 v12, 16, v6
	v_mov_b32_e32 v13, 0x3b800000
	v_lshlrev_b32_e32 v10, 20, v10
	v_and_b32_e32 v12, 0x80000000, v12
	v_lshl_add_u32 v11, v11, 23, v13
	v_or3_b32 v10, v12, v11, v10
.LBB56_396:
	s_or_b64 exec, exec, s[6:7]
	v_lshrrev_b32_e32 v11, 8, v2
	s_movk_i32 s4, 0x7f
	v_cmp_gt_i16_sdwa s[6:7], v11, s4 src0_sel:BYTE_0 src1_sel:DWORD
	s_mov_b64 s[4:5], 0
                                        ; implicit-def: $sgpr10
	s_and_saveexec_b64 s[8:9], s[6:7]
	s_xor_b64 s[6:7], exec, s[8:9]
	s_cbranch_execnz .LBB56_2445
; %bb.397:
	s_or_saveexec_b64 s[6:7], s[6:7]
	v_mov_b32_e32 v12, s10
	s_xor_b64 exec, exec, s[6:7]
	s_cbranch_execnz .LBB56_2448
.LBB56_398:
	s_or_b64 exec, exec, s[6:7]
	s_and_saveexec_b64 s[6:7], s[4:5]
	s_cbranch_execz .LBB56_400
.LBB56_399:
	v_bfe_u32 v12, v2, 8, 3
	v_ffbh_u32_e32 v14, v12
	v_min_u32_e32 v14, 32, v14
	v_lshrrev_b16_e32 v13, 3, v11
	v_subrev_u32_e32 v15, 28, v14
	v_and_b32_e32 v13, 15, v13
	v_lshlrev_b32_e32 v11, v15, v11
	v_sub_u32_e32 v14, 29, v14
	v_and_b32_e32 v11, 7, v11
	v_cmp_eq_u16_e32 vcc, 0, v13
	v_cndmask_b32_e32 v11, v12, v11, vcc
	v_cndmask_b32_e32 v12, v13, v14, vcc
	v_lshlrev_b32_e32 v13, 16, v2
	v_mov_b32_e32 v14, 0x3b800000
	v_lshlrev_b32_e32 v11, 20, v11
	v_and_b32_e32 v13, 0x80000000, v13
	v_lshl_add_u32 v12, v12, 23, v14
	v_or3_b32 v12, v13, v12, v11
.LBB56_400:
	s_or_b64 exec, exec, s[6:7]
	s_nop 0
	v_mfma_f32_16x16x4f32 a[0:3], v10, v12, a[0:3]
	s_movk_i32 s4, 0xff
	v_and_b32_sdwa v11, v6, s4 dst_sel:DWORD dst_unused:UNUSED_PAD src0_sel:WORD_1 src1_sel:DWORD
	s_movk_i32 s4, 0x7f
	v_cmp_lt_i16_e32 vcc, s4, v11
	s_mov_b64 s[4:5], 0
                                        ; implicit-def: $sgpr10
	s_and_saveexec_b64 s[6:7], vcc
	s_xor_b64 s[6:7], exec, s[6:7]
	s_cbranch_execnz .LBB56_2449
; %bb.401:
	s_or_saveexec_b64 s[6:7], s[6:7]
	v_mov_b32_e32 v10, s10
	s_xor_b64 exec, exec, s[6:7]
	s_cbranch_execnz .LBB56_2452
.LBB56_402:
	s_or_b64 exec, exec, s[6:7]
	s_and_saveexec_b64 s[6:7], s[4:5]
	s_cbranch_execz .LBB56_404
.LBB56_403:
	v_bfe_u32 v10, v6, 16, 3
	v_ffbh_u32_e32 v13, v10
	v_min_u32_e32 v13, 32, v13
	v_lshrrev_b32_e32 v11, 19, v6
	v_subrev_u32_e32 v14, 28, v13
	v_and_b32_e32 v11, 15, v11
	v_lshlrev_b32_sdwa v14, v14, v6 dst_sel:DWORD dst_unused:UNUSED_PAD src0_sel:DWORD src1_sel:WORD_1
	v_bfe_u32 v12, v6, 19, 4
	v_sub_u32_e32 v13, 29, v13
	v_and_b32_e32 v14, 7, v14
	v_cmp_eq_u16_e32 vcc, 0, v11
	v_cndmask_b32_e32 v10, v10, v14, vcc
	v_cndmask_b32_e32 v11, v12, v13, vcc
	v_lshlrev_b32_e32 v12, 8, v6
	v_mov_b32_e32 v13, 0x3b800000
	v_lshlrev_b32_e32 v10, 20, v10
	v_and_b32_e32 v12, 0x80000000, v12
	v_lshl_add_u32 v11, v11, 23, v13
	v_or3_b32 v10, v12, v11, v10
.LBB56_404:
	s_or_b64 exec, exec, s[6:7]
	s_movk_i32 s4, 0xff
	v_and_b32_sdwa v11, v2, s4 dst_sel:DWORD dst_unused:UNUSED_PAD src0_sel:WORD_1 src1_sel:DWORD
	s_movk_i32 s4, 0x7f
	v_cmp_lt_i16_e32 vcc, s4, v11
	s_mov_b64 s[4:5], 0
                                        ; implicit-def: $sgpr10
	s_and_saveexec_b64 s[6:7], vcc
	s_xor_b64 s[6:7], exec, s[6:7]
	s_cbranch_execnz .LBB56_2453
; %bb.405:
	s_or_saveexec_b64 s[6:7], s[6:7]
	v_mov_b32_e32 v12, s10
	s_xor_b64 exec, exec, s[6:7]
	s_cbranch_execnz .LBB56_2456
.LBB56_406:
	s_or_b64 exec, exec, s[6:7]
	s_and_saveexec_b64 s[6:7], s[4:5]
	s_cbranch_execz .LBB56_408
.LBB56_407:
	v_bfe_u32 v11, v2, 16, 3
	v_ffbh_u32_e32 v14, v11
	v_min_u32_e32 v14, 32, v14
	v_lshrrev_b32_e32 v12, 19, v2
	v_subrev_u32_e32 v15, 28, v14
	v_and_b32_e32 v12, 15, v12
	v_lshlrev_b32_sdwa v15, v15, v2 dst_sel:DWORD dst_unused:UNUSED_PAD src0_sel:DWORD src1_sel:WORD_1
	v_bfe_u32 v13, v2, 19, 4
	v_sub_u32_e32 v14, 29, v14
	v_and_b32_e32 v15, 7, v15
	v_cmp_eq_u16_e32 vcc, 0, v12
	v_cndmask_b32_e32 v11, v11, v15, vcc
	v_cndmask_b32_e32 v12, v13, v14, vcc
	v_lshlrev_b32_e32 v13, 8, v2
	v_mov_b32_e32 v14, 0x3b800000
	v_lshlrev_b32_e32 v11, 20, v11
	v_and_b32_e32 v13, 0x80000000, v13
	v_lshl_add_u32 v12, v12, 23, v14
	v_or3_b32 v12, v13, v12, v11
.LBB56_408:
	s_or_b64 exec, exec, s[6:7]
	s_nop 0
	v_mfma_f32_16x16x4f32 a[0:3], v10, v12, a[0:3]
	s_movk_i32 s4, 0x7f
	v_cmp_gt_i16_sdwa s[6:7], v6, s4 src0_sel:BYTE_3 src1_sel:DWORD
	s_mov_b64 s[4:5], 0
                                        ; implicit-def: $sgpr10
	s_and_saveexec_b64 s[8:9], s[6:7]
	s_xor_b64 s[6:7], exec, s[8:9]
	s_cbranch_execnz .LBB56_2457
; %bb.409:
	s_or_saveexec_b64 s[6:7], s[6:7]
	v_mov_b32_e32 v10, s10
	s_xor_b64 exec, exec, s[6:7]
	s_cbranch_execnz .LBB56_2460
.LBB56_410:
	s_or_b64 exec, exec, s[6:7]
	s_and_saveexec_b64 s[6:7], s[4:5]
	s_cbranch_execz .LBB56_412
.LBB56_411:
	v_bfe_u32 v10, v6, 24, 3
	v_ffbh_u32_e32 v14, v10
	v_min_u32_e32 v14, 32, v14
	v_lshrrev_b32_e32 v12, 27, v6
	v_subrev_u32_e32 v15, 28, v14
	v_and_b32_e32 v11, 0x80000000, v6
	v_and_b32_e32 v12, 15, v12
	v_bfe_u32 v13, v6, 27, 4
	v_lshlrev_b32_sdwa v6, v15, v6 dst_sel:DWORD dst_unused:UNUSED_PAD src0_sel:DWORD src1_sel:BYTE_3
	v_sub_u32_e32 v14, 29, v14
	v_and_b32_e32 v6, 7, v6
	v_cmp_eq_u16_e32 vcc, 0, v12
	v_cndmask_b32_e32 v6, v10, v6, vcc
	v_cndmask_b32_e32 v10, v13, v14, vcc
	v_mov_b32_e32 v12, 0x3b800000
	v_lshlrev_b32_e32 v6, 20, v6
	v_lshl_add_u32 v10, v10, 23, v12
	v_or3_b32 v10, v11, v10, v6
.LBB56_412:
	s_or_b64 exec, exec, s[6:7]
	s_movk_i32 s4, 0x7f
	v_cmp_gt_i16_sdwa s[6:7], v2, s4 src0_sel:BYTE_3 src1_sel:DWORD
	s_mov_b64 s[4:5], 0
                                        ; implicit-def: $sgpr10
	s_and_saveexec_b64 s[8:9], s[6:7]
	s_xor_b64 s[6:7], exec, s[8:9]
	s_cbranch_execnz .LBB56_2461
; %bb.413:
	s_or_saveexec_b64 s[6:7], s[6:7]
	v_mov_b32_e32 v6, s10
	s_xor_b64 exec, exec, s[6:7]
	s_cbranch_execnz .LBB56_2464
.LBB56_414:
	s_or_b64 exec, exec, s[6:7]
	s_and_saveexec_b64 s[6:7], s[4:5]
	s_cbranch_execz .LBB56_416
.LBB56_415:
	v_bfe_u32 v6, v2, 24, 3
	v_ffbh_u32_e32 v14, v6
	v_min_u32_e32 v14, 32, v14
	v_lshrrev_b32_e32 v12, 27, v2
	v_subrev_u32_e32 v15, 28, v14
	v_and_b32_e32 v11, 0x80000000, v2
	v_and_b32_e32 v12, 15, v12
	v_bfe_u32 v13, v2, 27, 4
	v_lshlrev_b32_sdwa v2, v15, v2 dst_sel:DWORD dst_unused:UNUSED_PAD src0_sel:DWORD src1_sel:BYTE_3
	v_sub_u32_e32 v14, 29, v14
	v_and_b32_e32 v2, 7, v2
	v_cmp_eq_u16_e32 vcc, 0, v12
	v_cndmask_b32_e32 v2, v6, v2, vcc
	v_cndmask_b32_e32 v6, v13, v14, vcc
	v_mov_b32_e32 v12, 0x3b800000
	v_lshlrev_b32_e32 v2, 20, v2
	v_lshl_add_u32 v6, v6, 23, v12
	v_or3_b32 v6, v11, v6, v2
.LBB56_416:
	s_or_b64 exec, exec, s[6:7]
	s_nop 0
	v_mfma_f32_16x16x4f32 a[0:3], v10, v6, a[0:3]
	s_movk_i32 s4, 0x7f
	v_cmp_gt_i16_sdwa s[6:7], v7, s4 src0_sel:BYTE_0 src1_sel:DWORD
	s_mov_b64 s[4:5], 0
                                        ; implicit-def: $sgpr10
	s_and_saveexec_b64 s[8:9], s[6:7]
	s_xor_b64 s[6:7], exec, s[8:9]
	s_cbranch_execnz .LBB56_2465
; %bb.417:
	s_or_saveexec_b64 s[6:7], s[6:7]
	v_mov_b32_e32 v2, s10
	s_xor_b64 exec, exec, s[6:7]
	s_cbranch_execnz .LBB56_2468
.LBB56_418:
	s_or_b64 exec, exec, s[6:7]
	s_and_saveexec_b64 s[6:7], s[4:5]
	s_cbranch_execz .LBB56_420
.LBB56_419:
	v_and_b32_e32 v2, 7, v7
	v_ffbh_u32_e32 v10, v2
	v_min_u32_e32 v10, 32, v10
	v_lshrrev_b16_e32 v6, 3, v7
	v_subrev_u32_e32 v11, 28, v10
	v_and_b32_e32 v6, 15, v6
	v_lshlrev_b32_e32 v11, v11, v7
	v_sub_u32_e32 v10, 29, v10
	v_and_b32_e32 v11, 7, v11
	v_cmp_eq_u16_e32 vcc, 0, v6
	v_cndmask_b32_e32 v2, v2, v11, vcc
	v_cndmask_b32_e32 v6, v6, v10, vcc
	v_lshlrev_b32_e32 v10, 24, v7
	v_mov_b32_e32 v11, 0x3b800000
	v_lshlrev_b32_e32 v2, 20, v2
	v_and_b32_e32 v10, 0x80000000, v10
	v_lshl_add_u32 v6, v6, 23, v11
	v_or3_b32 v2, v10, v6, v2
.LBB56_420:
	s_or_b64 exec, exec, s[6:7]
	s_movk_i32 s4, 0x7f
	v_cmp_gt_i16_sdwa s[6:7], v3, s4 src0_sel:BYTE_0 src1_sel:DWORD
	s_mov_b64 s[4:5], 0
                                        ; implicit-def: $sgpr10
	s_and_saveexec_b64 s[8:9], s[6:7]
	s_xor_b64 s[6:7], exec, s[8:9]
	s_cbranch_execnz .LBB56_2469
; %bb.421:
	s_or_saveexec_b64 s[6:7], s[6:7]
	v_mov_b32_e32 v6, s10
	s_xor_b64 exec, exec, s[6:7]
	s_cbranch_execnz .LBB56_2472
.LBB56_422:
	s_or_b64 exec, exec, s[6:7]
	s_and_saveexec_b64 s[6:7], s[4:5]
	s_cbranch_execz .LBB56_424
.LBB56_423:
	v_and_b32_e32 v6, 7, v3
	v_ffbh_u32_e32 v11, v6
	v_min_u32_e32 v11, 32, v11
	v_lshrrev_b16_e32 v10, 3, v3
	v_subrev_u32_e32 v12, 28, v11
	v_and_b32_e32 v10, 15, v10
	v_lshlrev_b32_e32 v12, v12, v3
	v_sub_u32_e32 v11, 29, v11
	v_and_b32_e32 v12, 7, v12
	v_cmp_eq_u16_e32 vcc, 0, v10
	v_cndmask_b32_e32 v6, v6, v12, vcc
	v_cndmask_b32_e32 v10, v10, v11, vcc
	v_lshlrev_b32_e32 v11, 24, v3
	v_mov_b32_e32 v12, 0x3b800000
	v_lshlrev_b32_e32 v6, 20, v6
	v_and_b32_e32 v11, 0x80000000, v11
	v_lshl_add_u32 v10, v10, 23, v12
	v_or3_b32 v6, v11, v10, v6
.LBB56_424:
	s_or_b64 exec, exec, s[6:7]
	s_nop 0
	v_mfma_f32_16x16x4f32 a[0:3], v2, v6, a[0:3]
	v_lshrrev_b32_e32 v6, 8, v7
	s_movk_i32 s4, 0x7f
	v_cmp_gt_i16_sdwa s[6:7], v6, s4 src0_sel:BYTE_0 src1_sel:DWORD
	s_mov_b64 s[4:5], 0
                                        ; implicit-def: $sgpr10
	s_and_saveexec_b64 s[8:9], s[6:7]
	s_xor_b64 s[6:7], exec, s[8:9]
	s_cbranch_execnz .LBB56_2473
; %bb.425:
	s_or_saveexec_b64 s[6:7], s[6:7]
	v_mov_b32_e32 v2, s10
	s_xor_b64 exec, exec, s[6:7]
	s_cbranch_execnz .LBB56_2476
.LBB56_426:
	s_or_b64 exec, exec, s[6:7]
	s_and_saveexec_b64 s[6:7], s[4:5]
	s_cbranch_execz .LBB56_428
.LBB56_427:
	v_bfe_u32 v2, v7, 8, 3
	v_ffbh_u32_e32 v11, v2
	v_min_u32_e32 v11, 32, v11
	v_lshrrev_b16_e32 v10, 3, v6
	v_subrev_u32_e32 v12, 28, v11
	v_and_b32_e32 v10, 15, v10
	v_lshlrev_b32_e32 v6, v12, v6
	v_sub_u32_e32 v11, 29, v11
	v_and_b32_e32 v6, 7, v6
	v_cmp_eq_u16_e32 vcc, 0, v10
	v_cndmask_b32_e32 v2, v2, v6, vcc
	v_cndmask_b32_e32 v6, v10, v11, vcc
	v_lshlrev_b32_e32 v10, 16, v7
	v_mov_b32_e32 v11, 0x3b800000
	v_lshlrev_b32_e32 v2, 20, v2
	v_and_b32_e32 v10, 0x80000000, v10
	v_lshl_add_u32 v6, v6, 23, v11
	v_or3_b32 v2, v10, v6, v2
.LBB56_428:
	s_or_b64 exec, exec, s[6:7]
	v_lshrrev_b32_e32 v6, 8, v3
	s_movk_i32 s4, 0x7f
	v_cmp_gt_i16_sdwa s[6:7], v6, s4 src0_sel:BYTE_0 src1_sel:DWORD
	s_mov_b64 s[4:5], 0
                                        ; implicit-def: $sgpr10
	s_and_saveexec_b64 s[8:9], s[6:7]
	s_xor_b64 s[6:7], exec, s[8:9]
	s_cbranch_execnz .LBB56_2477
; %bb.429:
	s_or_saveexec_b64 s[6:7], s[6:7]
	v_mov_b32_e32 v10, s10
	s_xor_b64 exec, exec, s[6:7]
	s_cbranch_execnz .LBB56_2480
.LBB56_430:
	s_or_b64 exec, exec, s[6:7]
	s_and_saveexec_b64 s[6:7], s[4:5]
	s_cbranch_execz .LBB56_432
.LBB56_431:
	v_bfe_u32 v10, v3, 8, 3
	v_ffbh_u32_e32 v12, v10
	v_min_u32_e32 v12, 32, v12
	v_lshrrev_b16_e32 v11, 3, v6
	v_subrev_u32_e32 v13, 28, v12
	v_and_b32_e32 v11, 15, v11
	v_lshlrev_b32_e32 v6, v13, v6
	v_sub_u32_e32 v12, 29, v12
	v_and_b32_e32 v6, 7, v6
	v_cmp_eq_u16_e32 vcc, 0, v11
	v_cndmask_b32_e32 v6, v10, v6, vcc
	v_cndmask_b32_e32 v10, v11, v12, vcc
	v_lshlrev_b32_e32 v11, 16, v3
	v_mov_b32_e32 v12, 0x3b800000
	v_lshlrev_b32_e32 v6, 20, v6
	v_and_b32_e32 v11, 0x80000000, v11
	v_lshl_add_u32 v10, v10, 23, v12
	v_or3_b32 v10, v11, v10, v6
.LBB56_432:
	s_or_b64 exec, exec, s[6:7]
	s_nop 0
	v_mfma_f32_16x16x4f32 a[0:3], v2, v10, a[0:3]
	s_movk_i32 s4, 0xff
	v_and_b32_sdwa v6, v7, s4 dst_sel:DWORD dst_unused:UNUSED_PAD src0_sel:WORD_1 src1_sel:DWORD
	s_movk_i32 s4, 0x7f
	v_cmp_lt_i16_e32 vcc, s4, v6
	s_mov_b64 s[4:5], 0
                                        ; implicit-def: $sgpr10
	s_and_saveexec_b64 s[6:7], vcc
	s_xor_b64 s[6:7], exec, s[6:7]
	s_cbranch_execnz .LBB56_2481
; %bb.433:
	s_or_saveexec_b64 s[6:7], s[6:7]
	v_mov_b32_e32 v2, s10
	s_xor_b64 exec, exec, s[6:7]
	s_cbranch_execnz .LBB56_2484
.LBB56_434:
	s_or_b64 exec, exec, s[6:7]
	s_and_saveexec_b64 s[6:7], s[4:5]
	s_cbranch_execz .LBB56_436
.LBB56_435:
	v_bfe_u32 v2, v7, 16, 3
	v_ffbh_u32_e32 v11, v2
	v_min_u32_e32 v11, 32, v11
	v_lshrrev_b32_e32 v6, 19, v7
	v_subrev_u32_e32 v12, 28, v11
	v_and_b32_e32 v6, 15, v6
	v_lshlrev_b32_sdwa v12, v12, v7 dst_sel:DWORD dst_unused:UNUSED_PAD src0_sel:DWORD src1_sel:WORD_1
	v_bfe_u32 v10, v7, 19, 4
	v_sub_u32_e32 v11, 29, v11
	v_and_b32_e32 v12, 7, v12
	v_cmp_eq_u16_e32 vcc, 0, v6
	v_cndmask_b32_e32 v2, v2, v12, vcc
	v_cndmask_b32_e32 v6, v10, v11, vcc
	v_lshlrev_b32_e32 v10, 8, v7
	v_mov_b32_e32 v11, 0x3b800000
	v_lshlrev_b32_e32 v2, 20, v2
	v_and_b32_e32 v10, 0x80000000, v10
	v_lshl_add_u32 v6, v6, 23, v11
	v_or3_b32 v2, v10, v6, v2
.LBB56_436:
	s_or_b64 exec, exec, s[6:7]
	s_movk_i32 s4, 0xff
	v_and_b32_sdwa v6, v3, s4 dst_sel:DWORD dst_unused:UNUSED_PAD src0_sel:WORD_1 src1_sel:DWORD
	s_movk_i32 s4, 0x7f
	v_cmp_lt_i16_e32 vcc, s4, v6
	s_mov_b64 s[4:5], 0
                                        ; implicit-def: $sgpr10
	s_and_saveexec_b64 s[6:7], vcc
	s_xor_b64 s[6:7], exec, s[6:7]
	s_cbranch_execnz .LBB56_2485
; %bb.437:
	s_or_saveexec_b64 s[6:7], s[6:7]
	v_mov_b32_e32 v10, s10
	s_xor_b64 exec, exec, s[6:7]
	s_cbranch_execnz .LBB56_2488
.LBB56_438:
	s_or_b64 exec, exec, s[6:7]
	s_and_saveexec_b64 s[6:7], s[4:5]
	s_cbranch_execz .LBB56_440
.LBB56_439:
	v_bfe_u32 v6, v3, 16, 3
	v_ffbh_u32_e32 v12, v6
	v_min_u32_e32 v12, 32, v12
	v_lshrrev_b32_e32 v10, 19, v3
	v_subrev_u32_e32 v13, 28, v12
	v_and_b32_e32 v10, 15, v10
	v_lshlrev_b32_sdwa v13, v13, v3 dst_sel:DWORD dst_unused:UNUSED_PAD src0_sel:DWORD src1_sel:WORD_1
	v_bfe_u32 v11, v3, 19, 4
	v_sub_u32_e32 v12, 29, v12
	v_and_b32_e32 v13, 7, v13
	v_cmp_eq_u16_e32 vcc, 0, v10
	v_cndmask_b32_e32 v6, v6, v13, vcc
	v_cndmask_b32_e32 v10, v11, v12, vcc
	v_lshlrev_b32_e32 v11, 8, v3
	v_mov_b32_e32 v12, 0x3b800000
	v_lshlrev_b32_e32 v6, 20, v6
	v_and_b32_e32 v11, 0x80000000, v11
	v_lshl_add_u32 v10, v10, 23, v12
	v_or3_b32 v10, v11, v10, v6
.LBB56_440:
	s_or_b64 exec, exec, s[6:7]
	s_nop 0
	v_mfma_f32_16x16x4f32 a[0:3], v2, v10, a[0:3]
	s_movk_i32 s4, 0x7f
	v_cmp_gt_i16_sdwa s[6:7], v7, s4 src0_sel:BYTE_3 src1_sel:DWORD
	s_mov_b64 s[4:5], 0
                                        ; implicit-def: $sgpr10
	s_and_saveexec_b64 s[8:9], s[6:7]
	s_xor_b64 s[6:7], exec, s[8:9]
	s_cbranch_execnz .LBB56_2489
; %bb.441:
	s_or_saveexec_b64 s[6:7], s[6:7]
	v_mov_b32_e32 v2, s10
	s_xor_b64 exec, exec, s[6:7]
	s_cbranch_execnz .LBB56_2492
.LBB56_442:
	s_or_b64 exec, exec, s[6:7]
	s_and_saveexec_b64 s[6:7], s[4:5]
	s_cbranch_execz .LBB56_444
.LBB56_443:
	v_bfe_u32 v2, v7, 24, 3
	v_ffbh_u32_e32 v12, v2
	v_min_u32_e32 v12, 32, v12
	v_lshrrev_b32_e32 v10, 27, v7
	v_subrev_u32_e32 v13, 28, v12
	v_and_b32_e32 v6, 0x80000000, v7
	v_and_b32_e32 v10, 15, v10
	v_bfe_u32 v11, v7, 27, 4
	v_lshlrev_b32_sdwa v7, v13, v7 dst_sel:DWORD dst_unused:UNUSED_PAD src0_sel:DWORD src1_sel:BYTE_3
	v_sub_u32_e32 v12, 29, v12
	v_and_b32_e32 v7, 7, v7
	v_cmp_eq_u16_e32 vcc, 0, v10
	v_cndmask_b32_e32 v2, v2, v7, vcc
	v_cndmask_b32_e32 v7, v11, v12, vcc
	v_mov_b32_e32 v10, 0x3b800000
	v_lshlrev_b32_e32 v2, 20, v2
	v_lshl_add_u32 v7, v7, 23, v10
	v_or3_b32 v2, v6, v7, v2
.LBB56_444:
	s_or_b64 exec, exec, s[6:7]
	s_movk_i32 s4, 0x7f
	v_cmp_gt_i16_sdwa s[6:7], v3, s4 src0_sel:BYTE_3 src1_sel:DWORD
	s_mov_b64 s[4:5], 0
                                        ; implicit-def: $sgpr10
	s_and_saveexec_b64 s[8:9], s[6:7]
	s_xor_b64 s[6:7], exec, s[8:9]
	s_cbranch_execnz .LBB56_2493
; %bb.445:
	s_or_saveexec_b64 s[6:7], s[6:7]
	v_mov_b32_e32 v6, s10
	s_xor_b64 exec, exec, s[6:7]
	s_cbranch_execnz .LBB56_2496
.LBB56_446:
	s_or_b64 exec, exec, s[6:7]
	s_and_saveexec_b64 s[6:7], s[4:5]
	s_cbranch_execz .LBB56_448
.LBB56_447:
	v_bfe_u32 v6, v3, 24, 3
	v_ffbh_u32_e32 v12, v6
	v_min_u32_e32 v12, 32, v12
	v_lshrrev_b32_e32 v10, 27, v3
	v_subrev_u32_e32 v13, 28, v12
	v_and_b32_e32 v7, 0x80000000, v3
	v_and_b32_e32 v10, 15, v10
	v_bfe_u32 v11, v3, 27, 4
	v_lshlrev_b32_sdwa v3, v13, v3 dst_sel:DWORD dst_unused:UNUSED_PAD src0_sel:DWORD src1_sel:BYTE_3
	v_sub_u32_e32 v12, 29, v12
	v_and_b32_e32 v3, 7, v3
	v_cmp_eq_u16_e32 vcc, 0, v10
	v_cndmask_b32_e32 v3, v6, v3, vcc
	v_cndmask_b32_e32 v6, v11, v12, vcc
	v_mov_b32_e32 v10, 0x3b800000
	v_lshlrev_b32_e32 v3, 20, v3
	v_lshl_add_u32 v6, v6, 23, v10
	v_or3_b32 v6, v7, v6, v3
.LBB56_448:
	s_or_b64 exec, exec, s[6:7]
	s_nop 0
	v_mfma_f32_16x16x4f32 a[0:3], v2, v6, a[0:3]
	s_movk_i32 s4, 0x7f
	v_cmp_gt_i16_sdwa s[6:7], v8, s4 src0_sel:BYTE_0 src1_sel:DWORD
	s_mov_b64 s[4:5], 0
                                        ; implicit-def: $sgpr10
	s_and_saveexec_b64 s[8:9], s[6:7]
	s_xor_b64 s[6:7], exec, s[8:9]
	s_cbranch_execnz .LBB56_2497
; %bb.449:
	s_or_saveexec_b64 s[6:7], s[6:7]
	v_mov_b32_e32 v2, s10
	s_xor_b64 exec, exec, s[6:7]
	s_cbranch_execnz .LBB56_2500
.LBB56_450:
	s_or_b64 exec, exec, s[6:7]
	s_and_saveexec_b64 s[6:7], s[4:5]
	s_cbranch_execz .LBB56_452
.LBB56_451:
	v_and_b32_e32 v2, 7, v8
	v_ffbh_u32_e32 v6, v2
	v_min_u32_e32 v6, 32, v6
	v_lshrrev_b16_e32 v3, 3, v8
	v_subrev_u32_e32 v7, 28, v6
	v_and_b32_e32 v3, 15, v3
	v_lshlrev_b32_e32 v7, v7, v8
	v_sub_u32_e32 v6, 29, v6
	v_and_b32_e32 v7, 7, v7
	v_cmp_eq_u16_e32 vcc, 0, v3
	v_cndmask_b32_e32 v2, v2, v7, vcc
	v_cndmask_b32_e32 v3, v3, v6, vcc
	v_lshlrev_b32_e32 v6, 24, v8
	v_mov_b32_e32 v7, 0x3b800000
	v_lshlrev_b32_e32 v2, 20, v2
	v_and_b32_e32 v6, 0x80000000, v6
	v_lshl_add_u32 v3, v3, 23, v7
	v_or3_b32 v2, v6, v3, v2
.LBB56_452:
	s_or_b64 exec, exec, s[6:7]
	s_movk_i32 s4, 0x7f
	v_cmp_gt_i16_sdwa s[6:7], v4, s4 src0_sel:BYTE_0 src1_sel:DWORD
	s_mov_b64 s[4:5], 0
                                        ; implicit-def: $sgpr10
	s_and_saveexec_b64 s[8:9], s[6:7]
	s_xor_b64 s[6:7], exec, s[8:9]
	s_cbranch_execnz .LBB56_2501
; %bb.453:
	s_or_saveexec_b64 s[6:7], s[6:7]
	v_mov_b32_e32 v3, s10
	s_xor_b64 exec, exec, s[6:7]
	s_cbranch_execnz .LBB56_2504
.LBB56_454:
	s_or_b64 exec, exec, s[6:7]
	s_and_saveexec_b64 s[6:7], s[4:5]
	s_cbranch_execz .LBB56_456
.LBB56_455:
	v_and_b32_e32 v3, 7, v4
	v_ffbh_u32_e32 v7, v3
	v_min_u32_e32 v7, 32, v7
	v_lshrrev_b16_e32 v6, 3, v4
	v_subrev_u32_e32 v10, 28, v7
	v_and_b32_e32 v6, 15, v6
	v_lshlrev_b32_e32 v10, v10, v4
	v_sub_u32_e32 v7, 29, v7
	v_and_b32_e32 v10, 7, v10
	v_cmp_eq_u16_e32 vcc, 0, v6
	v_cndmask_b32_e32 v3, v3, v10, vcc
	v_cndmask_b32_e32 v6, v6, v7, vcc
	v_lshlrev_b32_e32 v7, 24, v4
	v_mov_b32_e32 v10, 0x3b800000
	v_lshlrev_b32_e32 v3, 20, v3
	v_and_b32_e32 v7, 0x80000000, v7
	v_lshl_add_u32 v6, v6, 23, v10
	v_or3_b32 v3, v7, v6, v3
.LBB56_456:
	s_or_b64 exec, exec, s[6:7]
	s_nop 0
	v_mfma_f32_16x16x4f32 a[0:3], v2, v3, a[0:3]
	v_lshrrev_b32_e32 v3, 8, v8
	s_movk_i32 s4, 0x7f
	v_cmp_gt_i16_sdwa s[6:7], v3, s4 src0_sel:BYTE_0 src1_sel:DWORD
	s_mov_b64 s[4:5], 0
                                        ; implicit-def: $sgpr10
	s_and_saveexec_b64 s[8:9], s[6:7]
	s_xor_b64 s[6:7], exec, s[8:9]
	s_cbranch_execnz .LBB56_2505
; %bb.457:
	s_or_saveexec_b64 s[6:7], s[6:7]
	v_mov_b32_e32 v2, s10
	s_xor_b64 exec, exec, s[6:7]
	s_cbranch_execnz .LBB56_2508
.LBB56_458:
	s_or_b64 exec, exec, s[6:7]
	s_and_saveexec_b64 s[6:7], s[4:5]
	s_cbranch_execz .LBB56_460
.LBB56_459:
	v_bfe_u32 v2, v8, 8, 3
	v_ffbh_u32_e32 v7, v2
	v_min_u32_e32 v7, 32, v7
	v_lshrrev_b16_e32 v6, 3, v3
	v_subrev_u32_e32 v10, 28, v7
	v_and_b32_e32 v6, 15, v6
	v_lshlrev_b32_e32 v3, v10, v3
	v_sub_u32_e32 v7, 29, v7
	v_and_b32_e32 v3, 7, v3
	v_cmp_eq_u16_e32 vcc, 0, v6
	v_cndmask_b32_e32 v2, v2, v3, vcc
	v_cndmask_b32_e32 v3, v6, v7, vcc
	v_lshlrev_b32_e32 v6, 16, v8
	v_mov_b32_e32 v7, 0x3b800000
	v_lshlrev_b32_e32 v2, 20, v2
	v_and_b32_e32 v6, 0x80000000, v6
	v_lshl_add_u32 v3, v3, 23, v7
	v_or3_b32 v2, v6, v3, v2
.LBB56_460:
	s_or_b64 exec, exec, s[6:7]
	v_lshrrev_b32_e32 v3, 8, v4
	s_movk_i32 s4, 0x7f
	v_cmp_gt_i16_sdwa s[6:7], v3, s4 src0_sel:BYTE_0 src1_sel:DWORD
	s_mov_b64 s[4:5], 0
                                        ; implicit-def: $sgpr10
	s_and_saveexec_b64 s[8:9], s[6:7]
	s_xor_b64 s[6:7], exec, s[8:9]
	s_cbranch_execnz .LBB56_2509
; %bb.461:
	s_or_saveexec_b64 s[6:7], s[6:7]
	v_mov_b32_e32 v6, s10
	s_xor_b64 exec, exec, s[6:7]
	s_cbranch_execnz .LBB56_2512
.LBB56_462:
	s_or_b64 exec, exec, s[6:7]
	s_and_saveexec_b64 s[6:7], s[4:5]
	s_cbranch_execz .LBB56_464
.LBB56_463:
	v_bfe_u32 v6, v4, 8, 3
	v_ffbh_u32_e32 v10, v6
	v_min_u32_e32 v10, 32, v10
	v_lshrrev_b16_e32 v7, 3, v3
	v_subrev_u32_e32 v11, 28, v10
	v_and_b32_e32 v7, 15, v7
	v_lshlrev_b32_e32 v3, v11, v3
	v_sub_u32_e32 v10, 29, v10
	v_and_b32_e32 v3, 7, v3
	v_cmp_eq_u16_e32 vcc, 0, v7
	v_cndmask_b32_e32 v3, v6, v3, vcc
	v_cndmask_b32_e32 v6, v7, v10, vcc
	v_lshlrev_b32_e32 v7, 16, v4
	v_mov_b32_e32 v10, 0x3b800000
	v_lshlrev_b32_e32 v3, 20, v3
	v_and_b32_e32 v7, 0x80000000, v7
	v_lshl_add_u32 v6, v6, 23, v10
	v_or3_b32 v6, v7, v6, v3
.LBB56_464:
	s_or_b64 exec, exec, s[6:7]
	s_nop 0
	v_mfma_f32_16x16x4f32 a[0:3], v2, v6, a[0:3]
	s_movk_i32 s4, 0xff
	v_and_b32_sdwa v3, v8, s4 dst_sel:DWORD dst_unused:UNUSED_PAD src0_sel:WORD_1 src1_sel:DWORD
	s_movk_i32 s4, 0x7f
	v_cmp_lt_i16_e32 vcc, s4, v3
	s_mov_b64 s[4:5], 0
                                        ; implicit-def: $sgpr10
	s_and_saveexec_b64 s[6:7], vcc
	s_xor_b64 s[6:7], exec, s[6:7]
	s_cbranch_execnz .LBB56_2513
; %bb.465:
	s_or_saveexec_b64 s[6:7], s[6:7]
	v_mov_b32_e32 v2, s10
	s_xor_b64 exec, exec, s[6:7]
	s_cbranch_execnz .LBB56_2516
.LBB56_466:
	s_or_b64 exec, exec, s[6:7]
	s_and_saveexec_b64 s[6:7], s[4:5]
	s_cbranch_execz .LBB56_468
.LBB56_467:
	v_bfe_u32 v2, v8, 16, 3
	v_ffbh_u32_e32 v7, v2
	v_min_u32_e32 v7, 32, v7
	v_lshrrev_b32_e32 v3, 19, v8
	v_subrev_u32_e32 v10, 28, v7
	v_and_b32_e32 v3, 15, v3
	v_lshlrev_b32_sdwa v10, v10, v8 dst_sel:DWORD dst_unused:UNUSED_PAD src0_sel:DWORD src1_sel:WORD_1
	v_bfe_u32 v6, v8, 19, 4
	v_sub_u32_e32 v7, 29, v7
	v_and_b32_e32 v10, 7, v10
	v_cmp_eq_u16_e32 vcc, 0, v3
	v_cndmask_b32_e32 v2, v2, v10, vcc
	v_cndmask_b32_e32 v3, v6, v7, vcc
	v_lshlrev_b32_e32 v6, 8, v8
	v_mov_b32_e32 v7, 0x3b800000
	v_lshlrev_b32_e32 v2, 20, v2
	v_and_b32_e32 v6, 0x80000000, v6
	v_lshl_add_u32 v3, v3, 23, v7
	v_or3_b32 v2, v6, v3, v2
.LBB56_468:
	s_or_b64 exec, exec, s[6:7]
	s_movk_i32 s4, 0xff
	v_and_b32_sdwa v3, v4, s4 dst_sel:DWORD dst_unused:UNUSED_PAD src0_sel:WORD_1 src1_sel:DWORD
	s_movk_i32 s4, 0x7f
	v_cmp_lt_i16_e32 vcc, s4, v3
	s_mov_b64 s[4:5], 0
                                        ; implicit-def: $sgpr10
	s_and_saveexec_b64 s[6:7], vcc
	s_xor_b64 s[6:7], exec, s[6:7]
	s_cbranch_execnz .LBB56_2517
; %bb.469:
	s_or_saveexec_b64 s[6:7], s[6:7]
	v_mov_b32_e32 v6, s10
	s_xor_b64 exec, exec, s[6:7]
	s_cbranch_execnz .LBB56_2520
.LBB56_470:
	s_or_b64 exec, exec, s[6:7]
	s_and_saveexec_b64 s[6:7], s[4:5]
	s_cbranch_execz .LBB56_472
.LBB56_471:
	v_bfe_u32 v3, v4, 16, 3
	v_ffbh_u32_e32 v10, v3
	v_min_u32_e32 v10, 32, v10
	v_lshrrev_b32_e32 v6, 19, v4
	v_subrev_u32_e32 v11, 28, v10
	v_and_b32_e32 v6, 15, v6
	v_lshlrev_b32_sdwa v11, v11, v4 dst_sel:DWORD dst_unused:UNUSED_PAD src0_sel:DWORD src1_sel:WORD_1
	v_bfe_u32 v7, v4, 19, 4
	v_sub_u32_e32 v10, 29, v10
	v_and_b32_e32 v11, 7, v11
	v_cmp_eq_u16_e32 vcc, 0, v6
	v_cndmask_b32_e32 v3, v3, v11, vcc
	v_cndmask_b32_e32 v6, v7, v10, vcc
	v_lshlrev_b32_e32 v7, 8, v4
	v_mov_b32_e32 v10, 0x3b800000
	v_lshlrev_b32_e32 v3, 20, v3
	v_and_b32_e32 v7, 0x80000000, v7
	v_lshl_add_u32 v6, v6, 23, v10
	v_or3_b32 v6, v7, v6, v3
.LBB56_472:
	s_or_b64 exec, exec, s[6:7]
	s_nop 0
	v_mfma_f32_16x16x4f32 a[0:3], v2, v6, a[0:3]
	s_movk_i32 s4, 0x7f
	v_cmp_gt_i16_sdwa s[6:7], v8, s4 src0_sel:BYTE_3 src1_sel:DWORD
	s_mov_b64 s[4:5], 0
                                        ; implicit-def: $sgpr10
	s_and_saveexec_b64 s[8:9], s[6:7]
	s_xor_b64 s[6:7], exec, s[8:9]
	s_cbranch_execnz .LBB56_2521
; %bb.473:
	s_or_saveexec_b64 s[6:7], s[6:7]
	v_mov_b32_e32 v2, s10
	s_xor_b64 exec, exec, s[6:7]
	s_cbranch_execnz .LBB56_2524
.LBB56_474:
	s_or_b64 exec, exec, s[6:7]
	s_and_saveexec_b64 s[6:7], s[4:5]
	s_cbranch_execz .LBB56_476
.LBB56_475:
	v_bfe_u32 v2, v8, 24, 3
	v_ffbh_u32_e32 v10, v2
	v_min_u32_e32 v10, 32, v10
	v_lshrrev_b32_e32 v6, 27, v8
	v_subrev_u32_e32 v11, 28, v10
	v_and_b32_e32 v3, 0x80000000, v8
	v_and_b32_e32 v6, 15, v6
	v_bfe_u32 v7, v8, 27, 4
	v_lshlrev_b32_sdwa v8, v11, v8 dst_sel:DWORD dst_unused:UNUSED_PAD src0_sel:DWORD src1_sel:BYTE_3
	v_sub_u32_e32 v10, 29, v10
	v_and_b32_e32 v8, 7, v8
	v_cmp_eq_u16_e32 vcc, 0, v6
	v_cndmask_b32_e32 v2, v2, v8, vcc
	v_cndmask_b32_e32 v6, v7, v10, vcc
	v_mov_b32_e32 v7, 0x3b800000
	v_lshlrev_b32_e32 v2, 20, v2
	v_lshl_add_u32 v6, v6, 23, v7
	v_or3_b32 v2, v3, v6, v2
.LBB56_476:
	s_or_b64 exec, exec, s[6:7]
	s_movk_i32 s4, 0x7f
	v_cmp_gt_i16_sdwa s[6:7], v4, s4 src0_sel:BYTE_3 src1_sel:DWORD
	s_mov_b64 s[4:5], 0
                                        ; implicit-def: $sgpr10
	s_and_saveexec_b64 s[8:9], s[6:7]
	s_xor_b64 s[6:7], exec, s[8:9]
	s_cbranch_execnz .LBB56_2525
; %bb.477:
	s_or_saveexec_b64 s[6:7], s[6:7]
	v_mov_b32_e32 v3, s10
	s_xor_b64 exec, exec, s[6:7]
	s_cbranch_execnz .LBB56_2528
.LBB56_478:
	s_or_b64 exec, exec, s[6:7]
	s_and_saveexec_b64 s[6:7], s[4:5]
	s_cbranch_execz .LBB56_480
.LBB56_479:
	v_bfe_u32 v3, v4, 24, 3
	v_ffbh_u32_e32 v10, v3
	v_min_u32_e32 v10, 32, v10
	v_lshrrev_b32_e32 v7, 27, v4
	v_subrev_u32_e32 v11, 28, v10
	v_and_b32_e32 v6, 0x80000000, v4
	v_and_b32_e32 v7, 15, v7
	v_bfe_u32 v8, v4, 27, 4
	v_lshlrev_b32_sdwa v4, v11, v4 dst_sel:DWORD dst_unused:UNUSED_PAD src0_sel:DWORD src1_sel:BYTE_3
	v_sub_u32_e32 v10, 29, v10
	v_and_b32_e32 v4, 7, v4
	v_cmp_eq_u16_e32 vcc, 0, v7
	v_cndmask_b32_e32 v3, v3, v4, vcc
	v_cndmask_b32_e32 v4, v8, v10, vcc
	v_mov_b32_e32 v7, 0x3b800000
	v_lshlrev_b32_e32 v3, 20, v3
	v_lshl_add_u32 v4, v4, 23, v7
	v_or3_b32 v3, v6, v4, v3
.LBB56_480:
	s_or_b64 exec, exec, s[6:7]
	s_nop 0
	v_mfma_f32_16x16x4f32 a[0:3], v2, v3, a[0:3]
	s_movk_i32 s4, 0x7f
	v_cmp_gt_i16_sdwa s[6:7], v9, s4 src0_sel:BYTE_0 src1_sel:DWORD
	s_mov_b64 s[4:5], 0
                                        ; implicit-def: $sgpr10
	s_and_saveexec_b64 s[8:9], s[6:7]
	s_xor_b64 s[6:7], exec, s[8:9]
	s_cbranch_execnz .LBB56_2529
; %bb.481:
	s_or_saveexec_b64 s[6:7], s[6:7]
	v_mov_b32_e32 v2, s10
	s_xor_b64 exec, exec, s[6:7]
	s_cbranch_execnz .LBB56_2532
.LBB56_482:
	s_or_b64 exec, exec, s[6:7]
	s_and_saveexec_b64 s[6:7], s[4:5]
	s_cbranch_execz .LBB56_484
.LBB56_483:
	v_mov_b32_e32 v2, 8
	v_and_b32_e32 v3, 7, v9
	v_lshrrev_b32_sdwa v2, v2, v9 dst_sel:BYTE_1 dst_unused:UNUSED_PAD src0_sel:DWORD src1_sel:DWORD
	v_ffbh_u32_e32 v4, v3
	v_or_b32_sdwa v2, v9, v2 dst_sel:DWORD dst_unused:UNUSED_PAD src0_sel:BYTE_0 src1_sel:DWORD
	v_min_u32_e32 v4, 32, v4
	v_lshrrev_b16_e32 v2, 3, v2
	v_subrev_u32_e32 v6, 28, v4
	v_and_b32_e32 v2, 15, v2
	v_lshlrev_b32_e32 v6, v6, v9
	v_sub_u32_e32 v4, 29, v4
	v_and_b32_e32 v6, 7, v6
	v_cmp_eq_u16_e32 vcc, 0, v2
	v_cndmask_b32_e32 v3, v3, v6, vcc
	v_cndmask_b32_e32 v2, v2, v4, vcc
	v_lshlrev_b32_e32 v4, 24, v9
	v_mov_b32_e32 v6, 0x3b800000
	v_lshlrev_b32_e32 v3, 20, v3
	v_and_b32_e32 v4, 0x80000000, v4
	v_lshl_add_u32 v2, v2, 23, v6
	v_or3_b32 v2, v4, v2, v3
.LBB56_484:
	s_or_b64 exec, exec, s[6:7]
	s_movk_i32 s4, 0x7f
	v_cmp_gt_i16_sdwa s[6:7], v5, s4 src0_sel:BYTE_0 src1_sel:DWORD
	s_mov_b64 s[4:5], 0
                                        ; implicit-def: $sgpr10
	s_and_saveexec_b64 s[8:9], s[6:7]
	s_xor_b64 s[6:7], exec, s[8:9]
	s_cbranch_execnz .LBB56_2533
; %bb.485:
	s_or_saveexec_b64 s[6:7], s[6:7]
	v_mov_b32_e32 v3, s10
	s_xor_b64 exec, exec, s[6:7]
	s_cbranch_execnz .LBB56_2536
.LBB56_486:
	s_or_b64 exec, exec, s[6:7]
	s_and_saveexec_b64 s[6:7], s[4:5]
	s_cbranch_execz .LBB56_488
.LBB56_487:
	v_mov_b32_e32 v3, 8
	v_and_b32_e32 v4, 7, v5
	v_lshrrev_b32_sdwa v3, v3, v5 dst_sel:BYTE_1 dst_unused:UNUSED_PAD src0_sel:DWORD src1_sel:DWORD
	v_ffbh_u32_e32 v6, v4
	v_or_b32_sdwa v3, v5, v3 dst_sel:DWORD dst_unused:UNUSED_PAD src0_sel:BYTE_0 src1_sel:DWORD
	v_min_u32_e32 v6, 32, v6
	v_lshrrev_b16_e32 v3, 3, v3
	v_subrev_u32_e32 v7, 28, v6
	v_and_b32_e32 v3, 15, v3
	v_lshlrev_b32_e32 v7, v7, v5
	v_sub_u32_e32 v6, 29, v6
	v_and_b32_e32 v7, 7, v7
	v_cmp_eq_u16_e32 vcc, 0, v3
	v_cndmask_b32_e32 v4, v4, v7, vcc
	v_cndmask_b32_e32 v3, v3, v6, vcc
	v_lshlrev_b32_e32 v6, 24, v5
	v_mov_b32_e32 v7, 0x3b800000
	v_lshlrev_b32_e32 v4, 20, v4
	v_and_b32_e32 v6, 0x80000000, v6
	v_lshl_add_u32 v3, v3, 23, v7
	v_or3_b32 v3, v6, v3, v4
.LBB56_488:
	s_or_b64 exec, exec, s[6:7]
	s_nop 0
	v_mfma_f32_16x16x4f32 a[0:3], v2, v3, a[0:3]
	v_lshrrev_b32_e32 v3, 8, v9
	s_movk_i32 s4, 0x7f
	v_cmp_gt_i16_sdwa s[6:7], v3, s4 src0_sel:BYTE_0 src1_sel:DWORD
	s_mov_b64 s[4:5], 0
                                        ; implicit-def: $sgpr10
	s_and_saveexec_b64 s[8:9], s[6:7]
	s_xor_b64 s[6:7], exec, s[8:9]
	s_cbranch_execnz .LBB56_2537
; %bb.489:
	s_or_saveexec_b64 s[6:7], s[6:7]
	v_mov_b32_e32 v2, s10
	s_xor_b64 exec, exec, s[6:7]
	s_cbranch_execnz .LBB56_2540
.LBB56_490:
	s_or_b64 exec, exec, s[6:7]
	s_and_saveexec_b64 s[6:7], s[4:5]
	s_cbranch_execz .LBB56_492
.LBB56_491:
	v_bfe_u32 v2, v9, 8, 3
	v_ffbh_u32_e32 v6, v2
	v_min_u32_e32 v6, 32, v6
	v_lshrrev_b16_e32 v4, 3, v3
	v_subrev_u32_e32 v7, 28, v6
	v_and_b32_e32 v4, 15, v4
	v_lshlrev_b32_e32 v3, v7, v3
	v_sub_u32_e32 v6, 29, v6
	v_and_b32_e32 v3, 7, v3
	v_cmp_eq_u16_e32 vcc, 0, v4
	v_cndmask_b32_e32 v2, v2, v3, vcc
	v_cndmask_b32_e32 v3, v4, v6, vcc
	v_lshlrev_b32_e32 v4, 16, v9
	v_mov_b32_e32 v6, 0x3b800000
	v_lshlrev_b32_e32 v2, 20, v2
	v_and_b32_e32 v4, 0x80000000, v4
	v_lshl_add_u32 v3, v3, 23, v6
	v_or3_b32 v2, v4, v3, v2
.LBB56_492:
	s_or_b64 exec, exec, s[6:7]
	v_lshrrev_b32_e32 v3, 8, v5
	s_movk_i32 s4, 0x7f
	v_cmp_gt_i16_sdwa s[6:7], v3, s4 src0_sel:BYTE_0 src1_sel:DWORD
	s_mov_b64 s[4:5], 0
                                        ; implicit-def: $sgpr10
	s_and_saveexec_b64 s[8:9], s[6:7]
	s_xor_b64 s[6:7], exec, s[8:9]
	s_cbranch_execnz .LBB56_2541
; %bb.493:
	s_or_saveexec_b64 s[6:7], s[6:7]
	v_mov_b32_e32 v4, s10
	s_xor_b64 exec, exec, s[6:7]
	s_cbranch_execnz .LBB56_2544
.LBB56_494:
	s_or_b64 exec, exec, s[6:7]
	s_and_saveexec_b64 s[6:7], s[4:5]
	s_cbranch_execz .LBB56_496
.LBB56_495:
	v_bfe_u32 v4, v5, 8, 3
	v_ffbh_u32_e32 v7, v4
	v_min_u32_e32 v7, 32, v7
	v_lshrrev_b16_e32 v6, 3, v3
	v_subrev_u32_e32 v8, 28, v7
	v_and_b32_e32 v6, 15, v6
	v_lshlrev_b32_e32 v3, v8, v3
	v_sub_u32_e32 v7, 29, v7
	v_and_b32_e32 v3, 7, v3
	v_cmp_eq_u16_e32 vcc, 0, v6
	v_cndmask_b32_e32 v3, v4, v3, vcc
	v_cndmask_b32_e32 v4, v6, v7, vcc
	v_lshlrev_b32_e32 v6, 16, v5
	v_mov_b32_e32 v7, 0x3b800000
	v_lshlrev_b32_e32 v3, 20, v3
	v_and_b32_e32 v6, 0x80000000, v6
	v_lshl_add_u32 v4, v4, 23, v7
	v_or3_b32 v4, v6, v4, v3
.LBB56_496:
	s_or_b64 exec, exec, s[6:7]
	s_nop 0
	v_mfma_f32_16x16x4f32 a[0:3], v2, v4, a[0:3]
	s_movk_i32 s4, 0xff
	v_and_b32_sdwa v3, v9, s4 dst_sel:DWORD dst_unused:UNUSED_PAD src0_sel:WORD_1 src1_sel:DWORD
	s_movk_i32 s4, 0x7f
	v_cmp_lt_i16_e32 vcc, s4, v3
	s_mov_b64 s[4:5], 0
                                        ; implicit-def: $sgpr10
	s_and_saveexec_b64 s[6:7], vcc
	s_xor_b64 s[6:7], exec, s[6:7]
	s_cbranch_execnz .LBB56_2545
; %bb.497:
	s_or_saveexec_b64 s[6:7], s[6:7]
	v_mov_b32_e32 v2, s10
	s_xor_b64 exec, exec, s[6:7]
	s_cbranch_execnz .LBB56_2548
.LBB56_498:
	s_or_b64 exec, exec, s[6:7]
	s_and_saveexec_b64 s[6:7], s[4:5]
	s_cbranch_execz .LBB56_500
.LBB56_499:
	v_bfe_u32 v2, v9, 16, 3
	v_ffbh_u32_e32 v6, v2
	v_min_u32_e32 v6, 32, v6
	v_lshrrev_b32_e32 v3, 19, v9
	v_subrev_u32_e32 v7, 28, v6
	v_and_b32_e32 v3, 15, v3
	v_lshlrev_b32_sdwa v7, v7, v9 dst_sel:DWORD dst_unused:UNUSED_PAD src0_sel:DWORD src1_sel:WORD_1
	v_bfe_u32 v4, v9, 19, 4
	v_sub_u32_e32 v6, 29, v6
	v_and_b32_e32 v7, 7, v7
	v_cmp_eq_u16_e32 vcc, 0, v3
	v_cndmask_b32_e32 v2, v2, v7, vcc
	v_cndmask_b32_e32 v3, v4, v6, vcc
	v_lshlrev_b32_e32 v4, 8, v9
	v_mov_b32_e32 v6, 0x3b800000
	v_lshlrev_b32_e32 v2, 20, v2
	v_and_b32_e32 v4, 0x80000000, v4
	v_lshl_add_u32 v3, v3, 23, v6
	v_or3_b32 v2, v4, v3, v2
.LBB56_500:
	s_or_b64 exec, exec, s[6:7]
	s_movk_i32 s4, 0xff
	v_and_b32_sdwa v3, v5, s4 dst_sel:DWORD dst_unused:UNUSED_PAD src0_sel:WORD_1 src1_sel:DWORD
	s_movk_i32 s4, 0x7f
	v_cmp_lt_i16_e32 vcc, s4, v3
	s_mov_b64 s[4:5], 0
                                        ; implicit-def: $sgpr10
	s_and_saveexec_b64 s[6:7], vcc
	s_xor_b64 s[6:7], exec, s[6:7]
	s_cbranch_execnz .LBB56_2549
; %bb.501:
	s_or_saveexec_b64 s[6:7], s[6:7]
	v_mov_b32_e32 v4, s10
	s_xor_b64 exec, exec, s[6:7]
	s_cbranch_execnz .LBB56_2552
.LBB56_502:
	s_or_b64 exec, exec, s[6:7]
	s_and_saveexec_b64 s[6:7], s[4:5]
	s_cbranch_execz .LBB56_504
.LBB56_503:
	v_bfe_u32 v3, v5, 16, 3
	v_ffbh_u32_e32 v7, v3
	v_min_u32_e32 v7, 32, v7
	v_lshrrev_b32_e32 v4, 19, v5
	v_subrev_u32_e32 v8, 28, v7
	v_and_b32_e32 v4, 15, v4
	v_lshlrev_b32_sdwa v8, v8, v5 dst_sel:DWORD dst_unused:UNUSED_PAD src0_sel:DWORD src1_sel:WORD_1
	v_bfe_u32 v6, v5, 19, 4
	v_sub_u32_e32 v7, 29, v7
	v_and_b32_e32 v8, 7, v8
	v_cmp_eq_u16_e32 vcc, 0, v4
	v_cndmask_b32_e32 v3, v3, v8, vcc
	v_cndmask_b32_e32 v4, v6, v7, vcc
	v_lshlrev_b32_e32 v6, 8, v5
	v_mov_b32_e32 v7, 0x3b800000
	v_lshlrev_b32_e32 v3, 20, v3
	v_and_b32_e32 v6, 0x80000000, v6
	v_lshl_add_u32 v4, v4, 23, v7
	v_or3_b32 v4, v6, v4, v3
.LBB56_504:
	s_or_b64 exec, exec, s[6:7]
	s_nop 0
	v_mfma_f32_16x16x4f32 a[0:3], v2, v4, a[0:3]
	s_movk_i32 s4, 0x7f
	v_cmp_gt_i16_sdwa s[6:7], v9, s4 src0_sel:BYTE_3 src1_sel:DWORD
	s_mov_b64 s[4:5], 0
                                        ; implicit-def: $sgpr10
	s_and_saveexec_b64 s[8:9], s[6:7]
	s_xor_b64 s[6:7], exec, s[8:9]
	s_cbranch_execnz .LBB56_2553
; %bb.505:
	s_or_saveexec_b64 s[6:7], s[6:7]
	v_mov_b32_e32 v2, s10
	s_xor_b64 exec, exec, s[6:7]
	s_cbranch_execnz .LBB56_2556
.LBB56_506:
	s_or_b64 exec, exec, s[6:7]
	s_and_saveexec_b64 s[6:7], s[4:5]
	s_cbranch_execz .LBB56_508
.LBB56_507:
	v_bfe_u32 v2, v9, 24, 3
	v_ffbh_u32_e32 v7, v2
	v_min_u32_e32 v7, 32, v7
	v_lshrrev_b32_e32 v4, 27, v9
	v_subrev_u32_e32 v8, 28, v7
	v_and_b32_e32 v4, 15, v4
	v_lshlrev_b32_sdwa v8, v8, v9 dst_sel:DWORD dst_unused:UNUSED_PAD src0_sel:DWORD src1_sel:BYTE_3
	v_bfe_u32 v6, v9, 27, 4
	v_sub_u32_e32 v7, 29, v7
	v_and_b32_e32 v8, 7, v8
	v_cmp_eq_u16_e32 vcc, 0, v4
	v_cndmask_b32_e32 v2, v2, v8, vcc
	v_cndmask_b32_e32 v4, v6, v7, vcc
	v_mov_b32_e32 v6, 0x3b800000
	v_and_b32_e32 v3, 0x80000000, v9
	v_lshlrev_b32_e32 v2, 20, v2
	v_lshl_add_u32 v4, v4, 23, v6
	v_or3_b32 v2, v3, v4, v2
.LBB56_508:
	s_or_b64 exec, exec, s[6:7]
	s_movk_i32 s4, 0x7f
	v_cmp_gt_i16_sdwa s[6:7], v5, s4 src0_sel:BYTE_3 src1_sel:DWORD
	s_mov_b64 s[4:5], 0
                                        ; implicit-def: $sgpr10
	s_and_saveexec_b64 s[8:9], s[6:7]
	s_xor_b64 s[6:7], exec, s[8:9]
	s_cbranch_execnz .LBB56_2557
; %bb.509:
	s_or_saveexec_b64 s[6:7], s[6:7]
	v_mov_b32_e32 v3, s10
	s_xor_b64 exec, exec, s[6:7]
	s_cbranch_execnz .LBB56_2560
.LBB56_510:
	s_or_b64 exec, exec, s[6:7]
	s_and_saveexec_b64 s[6:7], s[4:5]
	s_cbranch_execz .LBB56_512
.LBB56_511:
	v_bfe_u32 v3, v5, 24, 3
	v_ffbh_u32_e32 v8, v3
	v_min_u32_e32 v8, 32, v8
	v_lshrrev_b32_e32 v6, 27, v5
	v_subrev_u32_e32 v9, 28, v8
	v_and_b32_e32 v4, 0x80000000, v5
	v_and_b32_e32 v6, 15, v6
	v_bfe_u32 v7, v5, 27, 4
	v_lshlrev_b32_sdwa v5, v9, v5 dst_sel:DWORD dst_unused:UNUSED_PAD src0_sel:DWORD src1_sel:BYTE_3
	v_sub_u32_e32 v8, 29, v8
	v_and_b32_e32 v5, 7, v5
	v_cmp_eq_u16_e32 vcc, 0, v6
	v_cndmask_b32_e32 v3, v3, v5, vcc
	v_cndmask_b32_e32 v5, v7, v8, vcc
	v_mov_b32_e32 v6, 0x3b800000
	v_lshlrev_b32_e32 v3, 20, v3
	v_lshl_add_u32 v5, v5, 23, v6
	v_or3_b32 v3, v4, v5, v3
.LBB56_512:
	s_or_b64 exec, exec, s[6:7]
	s_nop 0
	v_mfma_f32_16x16x4f32 a[0:3], v2, v3, a[0:3]
	s_movk_i32 s4, 0x7f
                                        ; implicit-def: $sgpr10
	s_nop 7
	s_nop 1
	flat_store_dwordx4 v[18:19], a[0:3] offset:528
	flat_load_dwordx4 v[20:23], v[0:1] offset:8
	s_nop 0
	flat_load_dwordx2 v[18:19], v[0:1] offset:24
	s_waitcnt vmcnt(0) lgkmcnt(0)
	flat_load_dwordx4 v[14:17], v[20:21]
	flat_load_dwordx4 v[6:9], v[20:21] offset:16
	flat_load_dwordx4 v[10:13], v[22:23] offset:320
	;; [unrolled: 1-line block ×3, first 2 shown]
	s_waitcnt vmcnt(0) lgkmcnt(0)
	v_cmp_gt_i16_sdwa s[6:7], v14, s4 src0_sel:BYTE_0 src1_sel:DWORD
	s_mov_b64 s[4:5], 0
	s_and_saveexec_b64 s[8:9], s[6:7]
	s_xor_b64 s[6:7], exec, s[8:9]
	s_cbranch_execnz .LBB56_2561
; %bb.513:
	s_or_saveexec_b64 s[6:7], s[6:7]
	v_mov_b32_e32 v20, s10
	s_xor_b64 exec, exec, s[6:7]
	s_cbranch_execnz .LBB56_2564
.LBB56_514:
	s_or_b64 exec, exec, s[6:7]
	s_and_saveexec_b64 s[6:7], s[4:5]
	s_cbranch_execz .LBB56_516
.LBB56_515:
	v_and_b32_e32 v20, 7, v14
	v_ffbh_u32_e32 v22, v20
	v_min_u32_e32 v22, 32, v22
	v_lshrrev_b16_e32 v21, 3, v14
	v_subrev_u32_e32 v23, 28, v22
	v_and_b32_e32 v21, 15, v21
	v_lshlrev_b32_e32 v23, v23, v14
	v_sub_u32_e32 v22, 29, v22
	v_and_b32_e32 v23, 7, v23
	v_cmp_eq_u16_e32 vcc, 0, v21
	v_cndmask_b32_e32 v20, v20, v23, vcc
	v_cndmask_b32_e32 v21, v21, v22, vcc
	v_lshlrev_b32_e32 v22, 24, v14
	v_mov_b32_e32 v23, 0x3b800000
	v_lshlrev_b32_e32 v20, 20, v20
	v_and_b32_e32 v22, 0x80000000, v22
	v_lshl_add_u32 v21, v21, 23, v23
	v_or3_b32 v20, v22, v21, v20
.LBB56_516:
	s_or_b64 exec, exec, s[6:7]
	s_movk_i32 s4, 0x7f
	v_cmp_gt_i16_sdwa s[6:7], v10, s4 src0_sel:BYTE_0 src1_sel:DWORD
	s_mov_b64 s[4:5], 0
                                        ; implicit-def: $sgpr10
	s_and_saveexec_b64 s[8:9], s[6:7]
	s_xor_b64 s[6:7], exec, s[8:9]
	s_cbranch_execnz .LBB56_2565
; %bb.517:
	s_or_saveexec_b64 s[6:7], s[6:7]
	v_mov_b32_e32 v21, s10
	s_xor_b64 exec, exec, s[6:7]
	s_cbranch_execnz .LBB56_2568
.LBB56_518:
	s_or_b64 exec, exec, s[6:7]
	s_and_saveexec_b64 s[6:7], s[4:5]
	s_cbranch_execz .LBB56_520
.LBB56_519:
	v_and_b32_e32 v21, 7, v10
	v_ffbh_u32_e32 v23, v21
	v_min_u32_e32 v23, 32, v23
	v_lshrrev_b16_e32 v22, 3, v10
	v_subrev_u32_e32 v24, 28, v23
	v_and_b32_e32 v22, 15, v22
	v_lshlrev_b32_e32 v24, v24, v10
	v_sub_u32_e32 v23, 29, v23
	v_and_b32_e32 v24, 7, v24
	v_cmp_eq_u16_e32 vcc, 0, v22
	v_cndmask_b32_e32 v21, v21, v24, vcc
	v_cndmask_b32_e32 v22, v22, v23, vcc
	v_lshlrev_b32_e32 v23, 24, v10
	v_mov_b32_e32 v24, 0x3b800000
	v_lshlrev_b32_e32 v21, 20, v21
	v_and_b32_e32 v23, 0x80000000, v23
	v_lshl_add_u32 v22, v22, 23, v24
	v_or3_b32 v21, v23, v22, v21
.LBB56_520:
	s_or_b64 exec, exec, s[6:7]
	flat_load_dwordx4 a[0:3], v[18:19] offset:544
	s_movk_i32 s4, 0x7f
                                        ; implicit-def: $sgpr10
	s_waitcnt vmcnt(0) lgkmcnt(0)
	v_mfma_f32_16x16x4f32 a[0:3], v20, v21, a[0:3]
	v_lshrrev_b32_e32 v21, 8, v14
	v_cmp_gt_i16_sdwa s[6:7], v21, s4 src0_sel:BYTE_0 src1_sel:DWORD
	s_mov_b64 s[4:5], 0
	s_and_saveexec_b64 s[8:9], s[6:7]
	s_xor_b64 s[6:7], exec, s[8:9]
	s_cbranch_execnz .LBB56_2569
; %bb.521:
	s_or_saveexec_b64 s[6:7], s[6:7]
	v_mov_b32_e32 v20, s10
	s_xor_b64 exec, exec, s[6:7]
	s_cbranch_execnz .LBB56_2572
.LBB56_522:
	s_or_b64 exec, exec, s[6:7]
	s_and_saveexec_b64 s[6:7], s[4:5]
	s_cbranch_execz .LBB56_524
.LBB56_523:
	v_bfe_u32 v20, v14, 8, 3
	v_ffbh_u32_e32 v23, v20
	v_min_u32_e32 v23, 32, v23
	v_lshrrev_b16_e32 v22, 3, v21
	v_subrev_u32_e32 v24, 28, v23
	v_and_b32_e32 v22, 15, v22
	v_lshlrev_b32_e32 v21, v24, v21
	v_sub_u32_e32 v23, 29, v23
	v_and_b32_e32 v21, 7, v21
	v_cmp_eq_u16_e32 vcc, 0, v22
	v_cndmask_b32_e32 v20, v20, v21, vcc
	v_cndmask_b32_e32 v21, v22, v23, vcc
	v_lshlrev_b32_e32 v22, 16, v14
	v_mov_b32_e32 v23, 0x3b800000
	v_lshlrev_b32_e32 v20, 20, v20
	v_and_b32_e32 v22, 0x80000000, v22
	v_lshl_add_u32 v21, v21, 23, v23
	v_or3_b32 v20, v22, v21, v20
.LBB56_524:
	s_or_b64 exec, exec, s[6:7]
	v_lshrrev_b32_e32 v21, 8, v10
	s_movk_i32 s4, 0x7f
	v_cmp_gt_i16_sdwa s[6:7], v21, s4 src0_sel:BYTE_0 src1_sel:DWORD
	s_mov_b64 s[4:5], 0
                                        ; implicit-def: $sgpr10
	s_and_saveexec_b64 s[8:9], s[6:7]
	s_xor_b64 s[6:7], exec, s[8:9]
	s_cbranch_execnz .LBB56_2573
; %bb.525:
	s_or_saveexec_b64 s[6:7], s[6:7]
	v_mov_b32_e32 v22, s10
	s_xor_b64 exec, exec, s[6:7]
	s_cbranch_execnz .LBB56_2576
.LBB56_526:
	s_or_b64 exec, exec, s[6:7]
	s_and_saveexec_b64 s[6:7], s[4:5]
	s_cbranch_execz .LBB56_528
.LBB56_527:
	v_bfe_u32 v22, v10, 8, 3
	v_ffbh_u32_e32 v24, v22
	v_min_u32_e32 v24, 32, v24
	v_lshrrev_b16_e32 v23, 3, v21
	v_subrev_u32_e32 v25, 28, v24
	v_and_b32_e32 v23, 15, v23
	v_lshlrev_b32_e32 v21, v25, v21
	v_sub_u32_e32 v24, 29, v24
	v_and_b32_e32 v21, 7, v21
	v_cmp_eq_u16_e32 vcc, 0, v23
	v_cndmask_b32_e32 v21, v22, v21, vcc
	v_cndmask_b32_e32 v22, v23, v24, vcc
	v_lshlrev_b32_e32 v23, 16, v10
	v_mov_b32_e32 v24, 0x3b800000
	v_lshlrev_b32_e32 v21, 20, v21
	v_and_b32_e32 v23, 0x80000000, v23
	v_lshl_add_u32 v22, v22, 23, v24
	v_or3_b32 v22, v23, v22, v21
.LBB56_528:
	s_or_b64 exec, exec, s[6:7]
	s_nop 0
	v_mfma_f32_16x16x4f32 a[0:3], v20, v22, a[0:3]
	s_movk_i32 s4, 0xff
	v_and_b32_sdwa v21, v14, s4 dst_sel:DWORD dst_unused:UNUSED_PAD src0_sel:WORD_1 src1_sel:DWORD
	s_movk_i32 s4, 0x7f
	v_cmp_lt_i16_e32 vcc, s4, v21
	s_mov_b64 s[4:5], 0
                                        ; implicit-def: $sgpr10
	s_and_saveexec_b64 s[6:7], vcc
	s_xor_b64 s[6:7], exec, s[6:7]
	s_cbranch_execnz .LBB56_2577
; %bb.529:
	s_or_saveexec_b64 s[6:7], s[6:7]
	v_mov_b32_e32 v20, s10
	s_xor_b64 exec, exec, s[6:7]
	s_cbranch_execnz .LBB56_2580
.LBB56_530:
	s_or_b64 exec, exec, s[6:7]
	s_and_saveexec_b64 s[6:7], s[4:5]
	s_cbranch_execz .LBB56_532
.LBB56_531:
	v_bfe_u32 v20, v14, 16, 3
	v_ffbh_u32_e32 v23, v20
	v_min_u32_e32 v23, 32, v23
	v_lshrrev_b32_e32 v21, 19, v14
	v_subrev_u32_e32 v24, 28, v23
	v_and_b32_e32 v21, 15, v21
	v_lshlrev_b32_sdwa v24, v24, v14 dst_sel:DWORD dst_unused:UNUSED_PAD src0_sel:DWORD src1_sel:WORD_1
	v_bfe_u32 v22, v14, 19, 4
	v_sub_u32_e32 v23, 29, v23
	v_and_b32_e32 v24, 7, v24
	v_cmp_eq_u16_e32 vcc, 0, v21
	v_cndmask_b32_e32 v20, v20, v24, vcc
	v_cndmask_b32_e32 v21, v22, v23, vcc
	v_lshlrev_b32_e32 v22, 8, v14
	v_mov_b32_e32 v23, 0x3b800000
	v_lshlrev_b32_e32 v20, 20, v20
	v_and_b32_e32 v22, 0x80000000, v22
	v_lshl_add_u32 v21, v21, 23, v23
	v_or3_b32 v20, v22, v21, v20
.LBB56_532:
	s_or_b64 exec, exec, s[6:7]
	s_movk_i32 s4, 0xff
	v_and_b32_sdwa v21, v10, s4 dst_sel:DWORD dst_unused:UNUSED_PAD src0_sel:WORD_1 src1_sel:DWORD
	s_movk_i32 s4, 0x7f
	v_cmp_lt_i16_e32 vcc, s4, v21
	s_mov_b64 s[4:5], 0
                                        ; implicit-def: $sgpr10
	s_and_saveexec_b64 s[6:7], vcc
	s_xor_b64 s[6:7], exec, s[6:7]
	s_cbranch_execnz .LBB56_2581
; %bb.533:
	s_or_saveexec_b64 s[6:7], s[6:7]
	v_mov_b32_e32 v22, s10
	s_xor_b64 exec, exec, s[6:7]
	s_cbranch_execnz .LBB56_2584
.LBB56_534:
	s_or_b64 exec, exec, s[6:7]
	s_and_saveexec_b64 s[6:7], s[4:5]
	s_cbranch_execz .LBB56_536
.LBB56_535:
	v_bfe_u32 v21, v10, 16, 3
	v_ffbh_u32_e32 v24, v21
	v_min_u32_e32 v24, 32, v24
	v_lshrrev_b32_e32 v22, 19, v10
	v_subrev_u32_e32 v25, 28, v24
	v_and_b32_e32 v22, 15, v22
	v_lshlrev_b32_sdwa v25, v25, v10 dst_sel:DWORD dst_unused:UNUSED_PAD src0_sel:DWORD src1_sel:WORD_1
	v_bfe_u32 v23, v10, 19, 4
	v_sub_u32_e32 v24, 29, v24
	v_and_b32_e32 v25, 7, v25
	v_cmp_eq_u16_e32 vcc, 0, v22
	v_cndmask_b32_e32 v21, v21, v25, vcc
	v_cndmask_b32_e32 v22, v23, v24, vcc
	v_lshlrev_b32_e32 v23, 8, v10
	v_mov_b32_e32 v24, 0x3b800000
	v_lshlrev_b32_e32 v21, 20, v21
	v_and_b32_e32 v23, 0x80000000, v23
	v_lshl_add_u32 v22, v22, 23, v24
	v_or3_b32 v22, v23, v22, v21
.LBB56_536:
	s_or_b64 exec, exec, s[6:7]
	s_nop 0
	v_mfma_f32_16x16x4f32 a[0:3], v20, v22, a[0:3]
	s_movk_i32 s4, 0x7f
	v_cmp_gt_i16_sdwa s[6:7], v14, s4 src0_sel:BYTE_3 src1_sel:DWORD
	s_mov_b64 s[4:5], 0
                                        ; implicit-def: $sgpr10
	s_and_saveexec_b64 s[8:9], s[6:7]
	s_xor_b64 s[6:7], exec, s[8:9]
	s_cbranch_execnz .LBB56_2585
; %bb.537:
	s_or_saveexec_b64 s[6:7], s[6:7]
	v_mov_b32_e32 v20, s10
	s_xor_b64 exec, exec, s[6:7]
	s_cbranch_execnz .LBB56_2588
.LBB56_538:
	s_or_b64 exec, exec, s[6:7]
	s_and_saveexec_b64 s[6:7], s[4:5]
	s_cbranch_execz .LBB56_540
.LBB56_539:
	v_bfe_u32 v20, v14, 24, 3
	v_ffbh_u32_e32 v24, v20
	v_min_u32_e32 v24, 32, v24
	v_lshrrev_b32_e32 v22, 27, v14
	v_subrev_u32_e32 v25, 28, v24
	v_and_b32_e32 v21, 0x80000000, v14
	v_and_b32_e32 v22, 15, v22
	v_bfe_u32 v23, v14, 27, 4
	v_lshlrev_b32_sdwa v14, v25, v14 dst_sel:DWORD dst_unused:UNUSED_PAD src0_sel:DWORD src1_sel:BYTE_3
	v_sub_u32_e32 v24, 29, v24
	v_and_b32_e32 v14, 7, v14
	v_cmp_eq_u16_e32 vcc, 0, v22
	v_cndmask_b32_e32 v14, v20, v14, vcc
	v_cndmask_b32_e32 v20, v23, v24, vcc
	v_mov_b32_e32 v22, 0x3b800000
	v_lshlrev_b32_e32 v14, 20, v14
	v_lshl_add_u32 v20, v20, 23, v22
	v_or3_b32 v20, v21, v20, v14
.LBB56_540:
	s_or_b64 exec, exec, s[6:7]
	s_movk_i32 s4, 0x7f
	v_cmp_gt_i16_sdwa s[6:7], v10, s4 src0_sel:BYTE_3 src1_sel:DWORD
	s_mov_b64 s[4:5], 0
                                        ; implicit-def: $sgpr10
	s_and_saveexec_b64 s[8:9], s[6:7]
	s_xor_b64 s[6:7], exec, s[8:9]
	s_cbranch_execnz .LBB56_2589
; %bb.541:
	s_or_saveexec_b64 s[6:7], s[6:7]
	v_mov_b32_e32 v14, s10
	s_xor_b64 exec, exec, s[6:7]
	s_cbranch_execnz .LBB56_2592
.LBB56_542:
	s_or_b64 exec, exec, s[6:7]
	s_and_saveexec_b64 s[6:7], s[4:5]
	s_cbranch_execz .LBB56_544
.LBB56_543:
	v_bfe_u32 v14, v10, 24, 3
	v_ffbh_u32_e32 v24, v14
	v_min_u32_e32 v24, 32, v24
	v_lshrrev_b32_e32 v22, 27, v10
	v_subrev_u32_e32 v25, 28, v24
	v_and_b32_e32 v21, 0x80000000, v10
	v_and_b32_e32 v22, 15, v22
	v_bfe_u32 v23, v10, 27, 4
	v_lshlrev_b32_sdwa v10, v25, v10 dst_sel:DWORD dst_unused:UNUSED_PAD src0_sel:DWORD src1_sel:BYTE_3
	v_sub_u32_e32 v24, 29, v24
	v_and_b32_e32 v10, 7, v10
	v_cmp_eq_u16_e32 vcc, 0, v22
	v_cndmask_b32_e32 v10, v14, v10, vcc
	v_cndmask_b32_e32 v14, v23, v24, vcc
	v_mov_b32_e32 v22, 0x3b800000
	v_lshlrev_b32_e32 v10, 20, v10
	v_lshl_add_u32 v14, v14, 23, v22
	v_or3_b32 v14, v21, v14, v10
.LBB56_544:
	s_or_b64 exec, exec, s[6:7]
	s_nop 0
	v_mfma_f32_16x16x4f32 a[0:3], v20, v14, a[0:3]
	s_movk_i32 s4, 0x7f
	v_cmp_gt_i16_sdwa s[6:7], v15, s4 src0_sel:BYTE_0 src1_sel:DWORD
	s_mov_b64 s[4:5], 0
                                        ; implicit-def: $sgpr10
	s_and_saveexec_b64 s[8:9], s[6:7]
	s_xor_b64 s[6:7], exec, s[8:9]
	s_cbranch_execnz .LBB56_2593
; %bb.545:
	s_or_saveexec_b64 s[6:7], s[6:7]
	v_mov_b32_e32 v10, s10
	s_xor_b64 exec, exec, s[6:7]
	s_cbranch_execnz .LBB56_2596
.LBB56_546:
	s_or_b64 exec, exec, s[6:7]
	s_and_saveexec_b64 s[6:7], s[4:5]
	s_cbranch_execz .LBB56_548
.LBB56_547:
	v_and_b32_e32 v10, 7, v15
	v_ffbh_u32_e32 v20, v10
	v_min_u32_e32 v20, 32, v20
	v_lshrrev_b16_e32 v14, 3, v15
	v_subrev_u32_e32 v21, 28, v20
	v_and_b32_e32 v14, 15, v14
	v_lshlrev_b32_e32 v21, v21, v15
	v_sub_u32_e32 v20, 29, v20
	v_and_b32_e32 v21, 7, v21
	v_cmp_eq_u16_e32 vcc, 0, v14
	v_cndmask_b32_e32 v10, v10, v21, vcc
	v_cndmask_b32_e32 v14, v14, v20, vcc
	v_lshlrev_b32_e32 v20, 24, v15
	v_mov_b32_e32 v21, 0x3b800000
	v_lshlrev_b32_e32 v10, 20, v10
	v_and_b32_e32 v20, 0x80000000, v20
	v_lshl_add_u32 v14, v14, 23, v21
	v_or3_b32 v10, v20, v14, v10
.LBB56_548:
	s_or_b64 exec, exec, s[6:7]
	s_movk_i32 s4, 0x7f
	v_cmp_gt_i16_sdwa s[6:7], v11, s4 src0_sel:BYTE_0 src1_sel:DWORD
	s_mov_b64 s[4:5], 0
                                        ; implicit-def: $sgpr10
	s_and_saveexec_b64 s[8:9], s[6:7]
	s_xor_b64 s[6:7], exec, s[8:9]
	s_cbranch_execnz .LBB56_2597
; %bb.549:
	s_or_saveexec_b64 s[6:7], s[6:7]
	v_mov_b32_e32 v14, s10
	s_xor_b64 exec, exec, s[6:7]
	s_cbranch_execnz .LBB56_2600
.LBB56_550:
	s_or_b64 exec, exec, s[6:7]
	s_and_saveexec_b64 s[6:7], s[4:5]
	s_cbranch_execz .LBB56_552
.LBB56_551:
	v_and_b32_e32 v14, 7, v11
	v_ffbh_u32_e32 v21, v14
	v_min_u32_e32 v21, 32, v21
	v_lshrrev_b16_e32 v20, 3, v11
	v_subrev_u32_e32 v22, 28, v21
	v_and_b32_e32 v20, 15, v20
	v_lshlrev_b32_e32 v22, v22, v11
	v_sub_u32_e32 v21, 29, v21
	v_and_b32_e32 v22, 7, v22
	v_cmp_eq_u16_e32 vcc, 0, v20
	v_cndmask_b32_e32 v14, v14, v22, vcc
	v_cndmask_b32_e32 v20, v20, v21, vcc
	v_lshlrev_b32_e32 v21, 24, v11
	v_mov_b32_e32 v22, 0x3b800000
	v_lshlrev_b32_e32 v14, 20, v14
	v_and_b32_e32 v21, 0x80000000, v21
	v_lshl_add_u32 v20, v20, 23, v22
	v_or3_b32 v14, v21, v20, v14
.LBB56_552:
	s_or_b64 exec, exec, s[6:7]
	s_nop 0
	v_mfma_f32_16x16x4f32 a[0:3], v10, v14, a[0:3]
	v_lshrrev_b32_e32 v14, 8, v15
	s_movk_i32 s4, 0x7f
	v_cmp_gt_i16_sdwa s[6:7], v14, s4 src0_sel:BYTE_0 src1_sel:DWORD
	s_mov_b64 s[4:5], 0
                                        ; implicit-def: $sgpr10
	s_and_saveexec_b64 s[8:9], s[6:7]
	s_xor_b64 s[6:7], exec, s[8:9]
	s_cbranch_execnz .LBB56_2601
; %bb.553:
	s_or_saveexec_b64 s[6:7], s[6:7]
	v_mov_b32_e32 v10, s10
	s_xor_b64 exec, exec, s[6:7]
	s_cbranch_execnz .LBB56_2604
.LBB56_554:
	s_or_b64 exec, exec, s[6:7]
	s_and_saveexec_b64 s[6:7], s[4:5]
	s_cbranch_execz .LBB56_556
.LBB56_555:
	v_bfe_u32 v10, v15, 8, 3
	v_ffbh_u32_e32 v21, v10
	v_min_u32_e32 v21, 32, v21
	v_lshrrev_b16_e32 v20, 3, v14
	v_subrev_u32_e32 v22, 28, v21
	v_and_b32_e32 v20, 15, v20
	v_lshlrev_b32_e32 v14, v22, v14
	v_sub_u32_e32 v21, 29, v21
	v_and_b32_e32 v14, 7, v14
	v_cmp_eq_u16_e32 vcc, 0, v20
	v_cndmask_b32_e32 v10, v10, v14, vcc
	v_cndmask_b32_e32 v14, v20, v21, vcc
	v_lshlrev_b32_e32 v20, 16, v15
	v_mov_b32_e32 v21, 0x3b800000
	v_lshlrev_b32_e32 v10, 20, v10
	v_and_b32_e32 v20, 0x80000000, v20
	v_lshl_add_u32 v14, v14, 23, v21
	v_or3_b32 v10, v20, v14, v10
.LBB56_556:
	s_or_b64 exec, exec, s[6:7]
	v_lshrrev_b32_e32 v14, 8, v11
	s_movk_i32 s4, 0x7f
	v_cmp_gt_i16_sdwa s[6:7], v14, s4 src0_sel:BYTE_0 src1_sel:DWORD
	s_mov_b64 s[4:5], 0
                                        ; implicit-def: $sgpr10
	s_and_saveexec_b64 s[8:9], s[6:7]
	s_xor_b64 s[6:7], exec, s[8:9]
	s_cbranch_execnz .LBB56_2605
; %bb.557:
	s_or_saveexec_b64 s[6:7], s[6:7]
	v_mov_b32_e32 v20, s10
	s_xor_b64 exec, exec, s[6:7]
	s_cbranch_execnz .LBB56_2608
.LBB56_558:
	s_or_b64 exec, exec, s[6:7]
	s_and_saveexec_b64 s[6:7], s[4:5]
	s_cbranch_execz .LBB56_560
.LBB56_559:
	v_bfe_u32 v20, v11, 8, 3
	v_ffbh_u32_e32 v22, v20
	v_min_u32_e32 v22, 32, v22
	v_lshrrev_b16_e32 v21, 3, v14
	v_subrev_u32_e32 v23, 28, v22
	v_and_b32_e32 v21, 15, v21
	v_lshlrev_b32_e32 v14, v23, v14
	v_sub_u32_e32 v22, 29, v22
	v_and_b32_e32 v14, 7, v14
	v_cmp_eq_u16_e32 vcc, 0, v21
	v_cndmask_b32_e32 v14, v20, v14, vcc
	v_cndmask_b32_e32 v20, v21, v22, vcc
	v_lshlrev_b32_e32 v21, 16, v11
	v_mov_b32_e32 v22, 0x3b800000
	v_lshlrev_b32_e32 v14, 20, v14
	v_and_b32_e32 v21, 0x80000000, v21
	v_lshl_add_u32 v20, v20, 23, v22
	v_or3_b32 v20, v21, v20, v14
.LBB56_560:
	s_or_b64 exec, exec, s[6:7]
	s_nop 0
	v_mfma_f32_16x16x4f32 a[0:3], v10, v20, a[0:3]
	s_movk_i32 s4, 0xff
	v_and_b32_sdwa v14, v15, s4 dst_sel:DWORD dst_unused:UNUSED_PAD src0_sel:WORD_1 src1_sel:DWORD
	s_movk_i32 s4, 0x7f
	v_cmp_lt_i16_e32 vcc, s4, v14
	s_mov_b64 s[4:5], 0
                                        ; implicit-def: $sgpr10
	s_and_saveexec_b64 s[6:7], vcc
	s_xor_b64 s[6:7], exec, s[6:7]
	s_cbranch_execnz .LBB56_2609
; %bb.561:
	s_or_saveexec_b64 s[6:7], s[6:7]
	v_mov_b32_e32 v10, s10
	s_xor_b64 exec, exec, s[6:7]
	s_cbranch_execnz .LBB56_2612
.LBB56_562:
	s_or_b64 exec, exec, s[6:7]
	s_and_saveexec_b64 s[6:7], s[4:5]
	s_cbranch_execz .LBB56_564
.LBB56_563:
	v_bfe_u32 v10, v15, 16, 3
	v_ffbh_u32_e32 v21, v10
	v_min_u32_e32 v21, 32, v21
	v_lshrrev_b32_e32 v14, 19, v15
	v_subrev_u32_e32 v22, 28, v21
	v_and_b32_e32 v14, 15, v14
	v_lshlrev_b32_sdwa v22, v22, v15 dst_sel:DWORD dst_unused:UNUSED_PAD src0_sel:DWORD src1_sel:WORD_1
	v_bfe_u32 v20, v15, 19, 4
	v_sub_u32_e32 v21, 29, v21
	v_and_b32_e32 v22, 7, v22
	v_cmp_eq_u16_e32 vcc, 0, v14
	v_cndmask_b32_e32 v10, v10, v22, vcc
	v_cndmask_b32_e32 v14, v20, v21, vcc
	v_lshlrev_b32_e32 v20, 8, v15
	v_mov_b32_e32 v21, 0x3b800000
	v_lshlrev_b32_e32 v10, 20, v10
	v_and_b32_e32 v20, 0x80000000, v20
	v_lshl_add_u32 v14, v14, 23, v21
	v_or3_b32 v10, v20, v14, v10
.LBB56_564:
	s_or_b64 exec, exec, s[6:7]
	s_movk_i32 s4, 0xff
	v_and_b32_sdwa v14, v11, s4 dst_sel:DWORD dst_unused:UNUSED_PAD src0_sel:WORD_1 src1_sel:DWORD
	s_movk_i32 s4, 0x7f
	v_cmp_lt_i16_e32 vcc, s4, v14
	s_mov_b64 s[4:5], 0
                                        ; implicit-def: $sgpr10
	s_and_saveexec_b64 s[6:7], vcc
	s_xor_b64 s[6:7], exec, s[6:7]
	s_cbranch_execnz .LBB56_2613
; %bb.565:
	s_or_saveexec_b64 s[6:7], s[6:7]
	v_mov_b32_e32 v20, s10
	s_xor_b64 exec, exec, s[6:7]
	s_cbranch_execnz .LBB56_2616
.LBB56_566:
	s_or_b64 exec, exec, s[6:7]
	s_and_saveexec_b64 s[6:7], s[4:5]
	s_cbranch_execz .LBB56_568
.LBB56_567:
	v_bfe_u32 v14, v11, 16, 3
	v_ffbh_u32_e32 v22, v14
	v_min_u32_e32 v22, 32, v22
	v_lshrrev_b32_e32 v20, 19, v11
	v_subrev_u32_e32 v23, 28, v22
	v_and_b32_e32 v20, 15, v20
	v_lshlrev_b32_sdwa v23, v23, v11 dst_sel:DWORD dst_unused:UNUSED_PAD src0_sel:DWORD src1_sel:WORD_1
	v_bfe_u32 v21, v11, 19, 4
	v_sub_u32_e32 v22, 29, v22
	v_and_b32_e32 v23, 7, v23
	v_cmp_eq_u16_e32 vcc, 0, v20
	v_cndmask_b32_e32 v14, v14, v23, vcc
	v_cndmask_b32_e32 v20, v21, v22, vcc
	v_lshlrev_b32_e32 v21, 8, v11
	v_mov_b32_e32 v22, 0x3b800000
	v_lshlrev_b32_e32 v14, 20, v14
	v_and_b32_e32 v21, 0x80000000, v21
	v_lshl_add_u32 v20, v20, 23, v22
	v_or3_b32 v20, v21, v20, v14
.LBB56_568:
	s_or_b64 exec, exec, s[6:7]
	s_nop 0
	v_mfma_f32_16x16x4f32 a[0:3], v10, v20, a[0:3]
	s_movk_i32 s4, 0x7f
	v_cmp_gt_i16_sdwa s[6:7], v15, s4 src0_sel:BYTE_3 src1_sel:DWORD
	s_mov_b64 s[4:5], 0
                                        ; implicit-def: $sgpr10
	s_and_saveexec_b64 s[8:9], s[6:7]
	s_xor_b64 s[6:7], exec, s[8:9]
	s_cbranch_execnz .LBB56_2617
; %bb.569:
	s_or_saveexec_b64 s[6:7], s[6:7]
	v_mov_b32_e32 v10, s10
	s_xor_b64 exec, exec, s[6:7]
	s_cbranch_execnz .LBB56_2620
.LBB56_570:
	s_or_b64 exec, exec, s[6:7]
	s_and_saveexec_b64 s[6:7], s[4:5]
	s_cbranch_execz .LBB56_572
.LBB56_571:
	v_bfe_u32 v10, v15, 24, 3
	v_ffbh_u32_e32 v22, v10
	v_min_u32_e32 v22, 32, v22
	v_lshrrev_b32_e32 v20, 27, v15
	v_subrev_u32_e32 v23, 28, v22
	v_and_b32_e32 v14, 0x80000000, v15
	v_and_b32_e32 v20, 15, v20
	v_bfe_u32 v21, v15, 27, 4
	v_lshlrev_b32_sdwa v15, v23, v15 dst_sel:DWORD dst_unused:UNUSED_PAD src0_sel:DWORD src1_sel:BYTE_3
	v_sub_u32_e32 v22, 29, v22
	v_and_b32_e32 v15, 7, v15
	v_cmp_eq_u16_e32 vcc, 0, v20
	v_cndmask_b32_e32 v10, v10, v15, vcc
	v_cndmask_b32_e32 v15, v21, v22, vcc
	v_mov_b32_e32 v20, 0x3b800000
	v_lshlrev_b32_e32 v10, 20, v10
	v_lshl_add_u32 v15, v15, 23, v20
	v_or3_b32 v10, v14, v15, v10
.LBB56_572:
	s_or_b64 exec, exec, s[6:7]
	s_movk_i32 s4, 0x7f
	v_cmp_gt_i16_sdwa s[6:7], v11, s4 src0_sel:BYTE_3 src1_sel:DWORD
	s_mov_b64 s[4:5], 0
                                        ; implicit-def: $sgpr10
	s_and_saveexec_b64 s[8:9], s[6:7]
	s_xor_b64 s[6:7], exec, s[8:9]
	s_cbranch_execnz .LBB56_2621
; %bb.573:
	s_or_saveexec_b64 s[6:7], s[6:7]
	v_mov_b32_e32 v14, s10
	s_xor_b64 exec, exec, s[6:7]
	s_cbranch_execnz .LBB56_2624
.LBB56_574:
	s_or_b64 exec, exec, s[6:7]
	s_and_saveexec_b64 s[6:7], s[4:5]
	s_cbranch_execz .LBB56_576
.LBB56_575:
	v_bfe_u32 v14, v11, 24, 3
	v_ffbh_u32_e32 v22, v14
	v_min_u32_e32 v22, 32, v22
	v_lshrrev_b32_e32 v20, 27, v11
	v_subrev_u32_e32 v23, 28, v22
	v_and_b32_e32 v15, 0x80000000, v11
	v_and_b32_e32 v20, 15, v20
	v_bfe_u32 v21, v11, 27, 4
	v_lshlrev_b32_sdwa v11, v23, v11 dst_sel:DWORD dst_unused:UNUSED_PAD src0_sel:DWORD src1_sel:BYTE_3
	v_sub_u32_e32 v22, 29, v22
	v_and_b32_e32 v11, 7, v11
	v_cmp_eq_u16_e32 vcc, 0, v20
	v_cndmask_b32_e32 v11, v14, v11, vcc
	v_cndmask_b32_e32 v14, v21, v22, vcc
	v_mov_b32_e32 v20, 0x3b800000
	v_lshlrev_b32_e32 v11, 20, v11
	v_lshl_add_u32 v14, v14, 23, v20
	v_or3_b32 v14, v15, v14, v11
.LBB56_576:
	s_or_b64 exec, exec, s[6:7]
	s_nop 0
	v_mfma_f32_16x16x4f32 a[0:3], v10, v14, a[0:3]
	s_movk_i32 s4, 0x7f
	v_cmp_gt_i16_sdwa s[6:7], v16, s4 src0_sel:BYTE_0 src1_sel:DWORD
	s_mov_b64 s[4:5], 0
                                        ; implicit-def: $sgpr10
	s_and_saveexec_b64 s[8:9], s[6:7]
	s_xor_b64 s[6:7], exec, s[8:9]
	s_cbranch_execnz .LBB56_2625
; %bb.577:
	s_or_saveexec_b64 s[6:7], s[6:7]
	v_mov_b32_e32 v10, s10
	s_xor_b64 exec, exec, s[6:7]
	s_cbranch_execnz .LBB56_2628
.LBB56_578:
	s_or_b64 exec, exec, s[6:7]
	s_and_saveexec_b64 s[6:7], s[4:5]
	s_cbranch_execz .LBB56_580
.LBB56_579:
	v_and_b32_e32 v10, 7, v16
	v_ffbh_u32_e32 v14, v10
	v_min_u32_e32 v14, 32, v14
	v_lshrrev_b16_e32 v11, 3, v16
	v_subrev_u32_e32 v15, 28, v14
	v_and_b32_e32 v11, 15, v11
	v_lshlrev_b32_e32 v15, v15, v16
	v_sub_u32_e32 v14, 29, v14
	v_and_b32_e32 v15, 7, v15
	v_cmp_eq_u16_e32 vcc, 0, v11
	v_cndmask_b32_e32 v10, v10, v15, vcc
	v_cndmask_b32_e32 v11, v11, v14, vcc
	v_lshlrev_b32_e32 v14, 24, v16
	v_mov_b32_e32 v15, 0x3b800000
	v_lshlrev_b32_e32 v10, 20, v10
	v_and_b32_e32 v14, 0x80000000, v14
	v_lshl_add_u32 v11, v11, 23, v15
	v_or3_b32 v10, v14, v11, v10
.LBB56_580:
	s_or_b64 exec, exec, s[6:7]
	s_movk_i32 s4, 0x7f
	v_cmp_gt_i16_sdwa s[6:7], v12, s4 src0_sel:BYTE_0 src1_sel:DWORD
	s_mov_b64 s[4:5], 0
                                        ; implicit-def: $sgpr10
	s_and_saveexec_b64 s[8:9], s[6:7]
	s_xor_b64 s[6:7], exec, s[8:9]
	s_cbranch_execnz .LBB56_2629
; %bb.581:
	s_or_saveexec_b64 s[6:7], s[6:7]
	v_mov_b32_e32 v11, s10
	s_xor_b64 exec, exec, s[6:7]
	s_cbranch_execnz .LBB56_2632
.LBB56_582:
	s_or_b64 exec, exec, s[6:7]
	s_and_saveexec_b64 s[6:7], s[4:5]
	s_cbranch_execz .LBB56_584
.LBB56_583:
	v_and_b32_e32 v11, 7, v12
	v_ffbh_u32_e32 v15, v11
	v_min_u32_e32 v15, 32, v15
	v_lshrrev_b16_e32 v14, 3, v12
	v_subrev_u32_e32 v20, 28, v15
	v_and_b32_e32 v14, 15, v14
	v_lshlrev_b32_e32 v20, v20, v12
	v_sub_u32_e32 v15, 29, v15
	v_and_b32_e32 v20, 7, v20
	v_cmp_eq_u16_e32 vcc, 0, v14
	v_cndmask_b32_e32 v11, v11, v20, vcc
	v_cndmask_b32_e32 v14, v14, v15, vcc
	v_lshlrev_b32_e32 v15, 24, v12
	v_mov_b32_e32 v20, 0x3b800000
	v_lshlrev_b32_e32 v11, 20, v11
	v_and_b32_e32 v15, 0x80000000, v15
	v_lshl_add_u32 v14, v14, 23, v20
	v_or3_b32 v11, v15, v14, v11
.LBB56_584:
	s_or_b64 exec, exec, s[6:7]
	s_nop 0
	v_mfma_f32_16x16x4f32 a[0:3], v10, v11, a[0:3]
	v_lshrrev_b32_e32 v11, 8, v16
	s_movk_i32 s4, 0x7f
	v_cmp_gt_i16_sdwa s[6:7], v11, s4 src0_sel:BYTE_0 src1_sel:DWORD
	s_mov_b64 s[4:5], 0
                                        ; implicit-def: $sgpr10
	s_and_saveexec_b64 s[8:9], s[6:7]
	s_xor_b64 s[6:7], exec, s[8:9]
	s_cbranch_execnz .LBB56_2633
; %bb.585:
	s_or_saveexec_b64 s[6:7], s[6:7]
	v_mov_b32_e32 v10, s10
	s_xor_b64 exec, exec, s[6:7]
	s_cbranch_execnz .LBB56_2636
.LBB56_586:
	s_or_b64 exec, exec, s[6:7]
	s_and_saveexec_b64 s[6:7], s[4:5]
	s_cbranch_execz .LBB56_588
.LBB56_587:
	v_bfe_u32 v10, v16, 8, 3
	v_ffbh_u32_e32 v15, v10
	v_min_u32_e32 v15, 32, v15
	v_lshrrev_b16_e32 v14, 3, v11
	v_subrev_u32_e32 v20, 28, v15
	v_and_b32_e32 v14, 15, v14
	v_lshlrev_b32_e32 v11, v20, v11
	v_sub_u32_e32 v15, 29, v15
	v_and_b32_e32 v11, 7, v11
	v_cmp_eq_u16_e32 vcc, 0, v14
	v_cndmask_b32_e32 v10, v10, v11, vcc
	v_cndmask_b32_e32 v11, v14, v15, vcc
	v_lshlrev_b32_e32 v14, 16, v16
	v_mov_b32_e32 v15, 0x3b800000
	v_lshlrev_b32_e32 v10, 20, v10
	v_and_b32_e32 v14, 0x80000000, v14
	v_lshl_add_u32 v11, v11, 23, v15
	v_or3_b32 v10, v14, v11, v10
.LBB56_588:
	s_or_b64 exec, exec, s[6:7]
	v_lshrrev_b32_e32 v11, 8, v12
	s_movk_i32 s4, 0x7f
	v_cmp_gt_i16_sdwa s[6:7], v11, s4 src0_sel:BYTE_0 src1_sel:DWORD
	s_mov_b64 s[4:5], 0
                                        ; implicit-def: $sgpr10
	s_and_saveexec_b64 s[8:9], s[6:7]
	s_xor_b64 s[6:7], exec, s[8:9]
	s_cbranch_execnz .LBB56_2637
; %bb.589:
	s_or_saveexec_b64 s[6:7], s[6:7]
	v_mov_b32_e32 v14, s10
	s_xor_b64 exec, exec, s[6:7]
	s_cbranch_execnz .LBB56_2640
.LBB56_590:
	s_or_b64 exec, exec, s[6:7]
	s_and_saveexec_b64 s[6:7], s[4:5]
	s_cbranch_execz .LBB56_592
.LBB56_591:
	v_bfe_u32 v14, v12, 8, 3
	v_ffbh_u32_e32 v20, v14
	v_min_u32_e32 v20, 32, v20
	v_lshrrev_b16_e32 v15, 3, v11
	v_subrev_u32_e32 v21, 28, v20
	v_and_b32_e32 v15, 15, v15
	v_lshlrev_b32_e32 v11, v21, v11
	v_sub_u32_e32 v20, 29, v20
	v_and_b32_e32 v11, 7, v11
	v_cmp_eq_u16_e32 vcc, 0, v15
	v_cndmask_b32_e32 v11, v14, v11, vcc
	v_cndmask_b32_e32 v14, v15, v20, vcc
	v_lshlrev_b32_e32 v15, 16, v12
	v_mov_b32_e32 v20, 0x3b800000
	v_lshlrev_b32_e32 v11, 20, v11
	v_and_b32_e32 v15, 0x80000000, v15
	v_lshl_add_u32 v14, v14, 23, v20
	v_or3_b32 v14, v15, v14, v11
.LBB56_592:
	s_or_b64 exec, exec, s[6:7]
	s_nop 0
	v_mfma_f32_16x16x4f32 a[0:3], v10, v14, a[0:3]
	s_movk_i32 s4, 0xff
	v_and_b32_sdwa v11, v16, s4 dst_sel:DWORD dst_unused:UNUSED_PAD src0_sel:WORD_1 src1_sel:DWORD
	s_movk_i32 s4, 0x7f
	v_cmp_lt_i16_e32 vcc, s4, v11
	s_mov_b64 s[4:5], 0
                                        ; implicit-def: $sgpr10
	s_and_saveexec_b64 s[6:7], vcc
	s_xor_b64 s[6:7], exec, s[6:7]
	s_cbranch_execnz .LBB56_2641
; %bb.593:
	s_or_saveexec_b64 s[6:7], s[6:7]
	v_mov_b32_e32 v10, s10
	s_xor_b64 exec, exec, s[6:7]
	s_cbranch_execnz .LBB56_2644
.LBB56_594:
	s_or_b64 exec, exec, s[6:7]
	s_and_saveexec_b64 s[6:7], s[4:5]
	s_cbranch_execz .LBB56_596
.LBB56_595:
	v_bfe_u32 v10, v16, 16, 3
	v_ffbh_u32_e32 v15, v10
	v_min_u32_e32 v15, 32, v15
	v_lshrrev_b32_e32 v11, 19, v16
	v_subrev_u32_e32 v20, 28, v15
	v_and_b32_e32 v11, 15, v11
	v_lshlrev_b32_sdwa v20, v20, v16 dst_sel:DWORD dst_unused:UNUSED_PAD src0_sel:DWORD src1_sel:WORD_1
	v_bfe_u32 v14, v16, 19, 4
	v_sub_u32_e32 v15, 29, v15
	v_and_b32_e32 v20, 7, v20
	v_cmp_eq_u16_e32 vcc, 0, v11
	v_cndmask_b32_e32 v10, v10, v20, vcc
	v_cndmask_b32_e32 v11, v14, v15, vcc
	v_lshlrev_b32_e32 v14, 8, v16
	v_mov_b32_e32 v15, 0x3b800000
	v_lshlrev_b32_e32 v10, 20, v10
	v_and_b32_e32 v14, 0x80000000, v14
	v_lshl_add_u32 v11, v11, 23, v15
	v_or3_b32 v10, v14, v11, v10
.LBB56_596:
	s_or_b64 exec, exec, s[6:7]
	s_movk_i32 s4, 0xff
	v_and_b32_sdwa v11, v12, s4 dst_sel:DWORD dst_unused:UNUSED_PAD src0_sel:WORD_1 src1_sel:DWORD
	s_movk_i32 s4, 0x7f
	v_cmp_lt_i16_e32 vcc, s4, v11
	s_mov_b64 s[4:5], 0
                                        ; implicit-def: $sgpr10
	s_and_saveexec_b64 s[6:7], vcc
	s_xor_b64 s[6:7], exec, s[6:7]
	s_cbranch_execnz .LBB56_2645
; %bb.597:
	s_or_saveexec_b64 s[6:7], s[6:7]
	v_mov_b32_e32 v14, s10
	s_xor_b64 exec, exec, s[6:7]
	s_cbranch_execnz .LBB56_2648
.LBB56_598:
	s_or_b64 exec, exec, s[6:7]
	s_and_saveexec_b64 s[6:7], s[4:5]
	s_cbranch_execz .LBB56_600
.LBB56_599:
	v_bfe_u32 v11, v12, 16, 3
	v_ffbh_u32_e32 v20, v11
	v_min_u32_e32 v20, 32, v20
	v_lshrrev_b32_e32 v14, 19, v12
	v_subrev_u32_e32 v21, 28, v20
	v_and_b32_e32 v14, 15, v14
	v_lshlrev_b32_sdwa v21, v21, v12 dst_sel:DWORD dst_unused:UNUSED_PAD src0_sel:DWORD src1_sel:WORD_1
	v_bfe_u32 v15, v12, 19, 4
	v_sub_u32_e32 v20, 29, v20
	v_and_b32_e32 v21, 7, v21
	v_cmp_eq_u16_e32 vcc, 0, v14
	v_cndmask_b32_e32 v11, v11, v21, vcc
	v_cndmask_b32_e32 v14, v15, v20, vcc
	v_lshlrev_b32_e32 v15, 8, v12
	v_mov_b32_e32 v20, 0x3b800000
	v_lshlrev_b32_e32 v11, 20, v11
	v_and_b32_e32 v15, 0x80000000, v15
	v_lshl_add_u32 v14, v14, 23, v20
	v_or3_b32 v14, v15, v14, v11
.LBB56_600:
	s_or_b64 exec, exec, s[6:7]
	s_nop 0
	v_mfma_f32_16x16x4f32 a[0:3], v10, v14, a[0:3]
	s_movk_i32 s4, 0x7f
	v_cmp_gt_i16_sdwa s[6:7], v16, s4 src0_sel:BYTE_3 src1_sel:DWORD
	s_mov_b64 s[4:5], 0
                                        ; implicit-def: $sgpr10
	s_and_saveexec_b64 s[8:9], s[6:7]
	s_xor_b64 s[6:7], exec, s[8:9]
	s_cbranch_execnz .LBB56_2649
; %bb.601:
	s_or_saveexec_b64 s[6:7], s[6:7]
	v_mov_b32_e32 v10, s10
	s_xor_b64 exec, exec, s[6:7]
	s_cbranch_execnz .LBB56_2652
.LBB56_602:
	s_or_b64 exec, exec, s[6:7]
	s_and_saveexec_b64 s[6:7], s[4:5]
	s_cbranch_execz .LBB56_604
.LBB56_603:
	v_bfe_u32 v10, v16, 24, 3
	v_ffbh_u32_e32 v20, v10
	v_min_u32_e32 v20, 32, v20
	v_lshrrev_b32_e32 v14, 27, v16
	v_subrev_u32_e32 v21, 28, v20
	v_and_b32_e32 v11, 0x80000000, v16
	v_and_b32_e32 v14, 15, v14
	v_bfe_u32 v15, v16, 27, 4
	v_lshlrev_b32_sdwa v16, v21, v16 dst_sel:DWORD dst_unused:UNUSED_PAD src0_sel:DWORD src1_sel:BYTE_3
	v_sub_u32_e32 v20, 29, v20
	v_and_b32_e32 v16, 7, v16
	v_cmp_eq_u16_e32 vcc, 0, v14
	v_cndmask_b32_e32 v10, v10, v16, vcc
	v_cndmask_b32_e32 v14, v15, v20, vcc
	v_mov_b32_e32 v15, 0x3b800000
	v_lshlrev_b32_e32 v10, 20, v10
	v_lshl_add_u32 v14, v14, 23, v15
	v_or3_b32 v10, v11, v14, v10
.LBB56_604:
	s_or_b64 exec, exec, s[6:7]
	s_movk_i32 s4, 0x7f
	v_cmp_gt_i16_sdwa s[6:7], v12, s4 src0_sel:BYTE_3 src1_sel:DWORD
	s_mov_b64 s[4:5], 0
                                        ; implicit-def: $sgpr10
	s_and_saveexec_b64 s[8:9], s[6:7]
	s_xor_b64 s[6:7], exec, s[8:9]
	s_cbranch_execnz .LBB56_2653
; %bb.605:
	s_or_saveexec_b64 s[6:7], s[6:7]
	v_mov_b32_e32 v11, s10
	s_xor_b64 exec, exec, s[6:7]
	s_cbranch_execnz .LBB56_2656
.LBB56_606:
	s_or_b64 exec, exec, s[6:7]
	s_and_saveexec_b64 s[6:7], s[4:5]
	s_cbranch_execz .LBB56_608
.LBB56_607:
	v_bfe_u32 v11, v12, 24, 3
	v_ffbh_u32_e32 v20, v11
	v_min_u32_e32 v20, 32, v20
	v_lshrrev_b32_e32 v15, 27, v12
	v_subrev_u32_e32 v21, 28, v20
	v_and_b32_e32 v14, 0x80000000, v12
	v_and_b32_e32 v15, 15, v15
	v_bfe_u32 v16, v12, 27, 4
	v_lshlrev_b32_sdwa v12, v21, v12 dst_sel:DWORD dst_unused:UNUSED_PAD src0_sel:DWORD src1_sel:BYTE_3
	v_sub_u32_e32 v20, 29, v20
	v_and_b32_e32 v12, 7, v12
	v_cmp_eq_u16_e32 vcc, 0, v15
	v_cndmask_b32_e32 v11, v11, v12, vcc
	v_cndmask_b32_e32 v12, v16, v20, vcc
	v_mov_b32_e32 v15, 0x3b800000
	v_lshlrev_b32_e32 v11, 20, v11
	v_lshl_add_u32 v12, v12, 23, v15
	v_or3_b32 v11, v14, v12, v11
.LBB56_608:
	s_or_b64 exec, exec, s[6:7]
	s_nop 0
	v_mfma_f32_16x16x4f32 a[0:3], v10, v11, a[0:3]
	s_movk_i32 s4, 0x7f
	v_cmp_gt_i16_sdwa s[6:7], v17, s4 src0_sel:BYTE_0 src1_sel:DWORD
	s_mov_b64 s[4:5], 0
                                        ; implicit-def: $sgpr10
	s_and_saveexec_b64 s[8:9], s[6:7]
	s_xor_b64 s[6:7], exec, s[8:9]
	s_cbranch_execnz .LBB56_2657
; %bb.609:
	s_or_saveexec_b64 s[6:7], s[6:7]
	v_mov_b32_e32 v10, s10
	s_xor_b64 exec, exec, s[6:7]
	s_cbranch_execnz .LBB56_2660
.LBB56_610:
	s_or_b64 exec, exec, s[6:7]
	s_and_saveexec_b64 s[6:7], s[4:5]
	s_cbranch_execz .LBB56_612
.LBB56_611:
	v_and_b32_e32 v10, 7, v17
	v_ffbh_u32_e32 v12, v10
	v_min_u32_e32 v12, 32, v12
	v_lshrrev_b16_e32 v11, 3, v17
	v_subrev_u32_e32 v14, 28, v12
	v_and_b32_e32 v11, 15, v11
	v_lshlrev_b32_e32 v14, v14, v17
	v_sub_u32_e32 v12, 29, v12
	v_and_b32_e32 v14, 7, v14
	v_cmp_eq_u16_e32 vcc, 0, v11
	v_cndmask_b32_e32 v10, v10, v14, vcc
	v_cndmask_b32_e32 v11, v11, v12, vcc
	v_lshlrev_b32_e32 v12, 24, v17
	v_mov_b32_e32 v14, 0x3b800000
	v_lshlrev_b32_e32 v10, 20, v10
	v_and_b32_e32 v12, 0x80000000, v12
	v_lshl_add_u32 v11, v11, 23, v14
	v_or3_b32 v10, v12, v11, v10
.LBB56_612:
	s_or_b64 exec, exec, s[6:7]
	s_movk_i32 s4, 0x7f
	v_cmp_gt_i16_sdwa s[6:7], v13, s4 src0_sel:BYTE_0 src1_sel:DWORD
	s_mov_b64 s[4:5], 0
                                        ; implicit-def: $sgpr10
	s_and_saveexec_b64 s[8:9], s[6:7]
	s_xor_b64 s[6:7], exec, s[8:9]
	s_cbranch_execnz .LBB56_2661
; %bb.613:
	s_or_saveexec_b64 s[6:7], s[6:7]
	v_mov_b32_e32 v11, s10
	s_xor_b64 exec, exec, s[6:7]
	s_cbranch_execnz .LBB56_2664
.LBB56_614:
	s_or_b64 exec, exec, s[6:7]
	s_and_saveexec_b64 s[6:7], s[4:5]
	s_cbranch_execz .LBB56_616
.LBB56_615:
	v_and_b32_e32 v11, 7, v13
	v_ffbh_u32_e32 v14, v11
	v_min_u32_e32 v14, 32, v14
	v_lshrrev_b16_e32 v12, 3, v13
	v_subrev_u32_e32 v15, 28, v14
	v_and_b32_e32 v12, 15, v12
	v_lshlrev_b32_e32 v15, v15, v13
	v_sub_u32_e32 v14, 29, v14
	v_and_b32_e32 v15, 7, v15
	v_cmp_eq_u16_e32 vcc, 0, v12
	v_cndmask_b32_e32 v11, v11, v15, vcc
	v_cndmask_b32_e32 v12, v12, v14, vcc
	v_lshlrev_b32_e32 v14, 24, v13
	v_mov_b32_e32 v15, 0x3b800000
	v_lshlrev_b32_e32 v11, 20, v11
	v_and_b32_e32 v14, 0x80000000, v14
	v_lshl_add_u32 v12, v12, 23, v15
	v_or3_b32 v11, v14, v12, v11
.LBB56_616:
	s_or_b64 exec, exec, s[6:7]
	s_nop 0
	v_mfma_f32_16x16x4f32 a[0:3], v10, v11, a[0:3]
	v_lshrrev_b32_e32 v11, 8, v17
	s_movk_i32 s4, 0x7f
	v_cmp_gt_i16_sdwa s[6:7], v11, s4 src0_sel:BYTE_0 src1_sel:DWORD
	s_mov_b64 s[4:5], 0
                                        ; implicit-def: $sgpr10
	s_and_saveexec_b64 s[8:9], s[6:7]
	s_xor_b64 s[6:7], exec, s[8:9]
	s_cbranch_execnz .LBB56_2665
; %bb.617:
	s_or_saveexec_b64 s[6:7], s[6:7]
	v_mov_b32_e32 v10, s10
	s_xor_b64 exec, exec, s[6:7]
	s_cbranch_execnz .LBB56_2668
.LBB56_618:
	s_or_b64 exec, exec, s[6:7]
	s_and_saveexec_b64 s[6:7], s[4:5]
	s_cbranch_execz .LBB56_620
.LBB56_619:
	v_bfe_u32 v10, v17, 8, 3
	v_ffbh_u32_e32 v14, v10
	v_min_u32_e32 v14, 32, v14
	v_lshrrev_b16_e32 v12, 3, v11
	v_subrev_u32_e32 v15, 28, v14
	v_and_b32_e32 v12, 15, v12
	v_lshlrev_b32_e32 v11, v15, v11
	v_sub_u32_e32 v14, 29, v14
	v_and_b32_e32 v11, 7, v11
	v_cmp_eq_u16_e32 vcc, 0, v12
	v_cndmask_b32_e32 v10, v10, v11, vcc
	v_cndmask_b32_e32 v11, v12, v14, vcc
	v_lshlrev_b32_e32 v12, 16, v17
	v_mov_b32_e32 v14, 0x3b800000
	v_lshlrev_b32_e32 v10, 20, v10
	v_and_b32_e32 v12, 0x80000000, v12
	v_lshl_add_u32 v11, v11, 23, v14
	v_or3_b32 v10, v12, v11, v10
.LBB56_620:
	s_or_b64 exec, exec, s[6:7]
	v_lshrrev_b32_e32 v11, 8, v13
	s_movk_i32 s4, 0x7f
	v_cmp_gt_i16_sdwa s[6:7], v11, s4 src0_sel:BYTE_0 src1_sel:DWORD
	s_mov_b64 s[4:5], 0
                                        ; implicit-def: $sgpr10
	s_and_saveexec_b64 s[8:9], s[6:7]
	s_xor_b64 s[6:7], exec, s[8:9]
	s_cbranch_execnz .LBB56_2669
; %bb.621:
	s_or_saveexec_b64 s[6:7], s[6:7]
	v_mov_b32_e32 v12, s10
	s_xor_b64 exec, exec, s[6:7]
	s_cbranch_execnz .LBB56_2672
.LBB56_622:
	s_or_b64 exec, exec, s[6:7]
	s_and_saveexec_b64 s[6:7], s[4:5]
	s_cbranch_execz .LBB56_624
.LBB56_623:
	v_bfe_u32 v12, v13, 8, 3
	v_ffbh_u32_e32 v15, v12
	v_min_u32_e32 v15, 32, v15
	v_lshrrev_b16_e32 v14, 3, v11
	v_subrev_u32_e32 v16, 28, v15
	v_and_b32_e32 v14, 15, v14
	v_lshlrev_b32_e32 v11, v16, v11
	v_sub_u32_e32 v15, 29, v15
	v_and_b32_e32 v11, 7, v11
	v_cmp_eq_u16_e32 vcc, 0, v14
	v_cndmask_b32_e32 v11, v12, v11, vcc
	v_cndmask_b32_e32 v12, v14, v15, vcc
	v_lshlrev_b32_e32 v14, 16, v13
	v_mov_b32_e32 v15, 0x3b800000
	v_lshlrev_b32_e32 v11, 20, v11
	v_and_b32_e32 v14, 0x80000000, v14
	v_lshl_add_u32 v12, v12, 23, v15
	v_or3_b32 v12, v14, v12, v11
.LBB56_624:
	s_or_b64 exec, exec, s[6:7]
	s_nop 0
	v_mfma_f32_16x16x4f32 a[0:3], v10, v12, a[0:3]
	s_movk_i32 s4, 0xff
	v_and_b32_sdwa v11, v17, s4 dst_sel:DWORD dst_unused:UNUSED_PAD src0_sel:WORD_1 src1_sel:DWORD
	s_movk_i32 s4, 0x7f
	v_cmp_lt_i16_e32 vcc, s4, v11
	s_mov_b64 s[4:5], 0
                                        ; implicit-def: $sgpr10
	s_and_saveexec_b64 s[6:7], vcc
	s_xor_b64 s[6:7], exec, s[6:7]
	s_cbranch_execnz .LBB56_2673
; %bb.625:
	s_or_saveexec_b64 s[6:7], s[6:7]
	v_mov_b32_e32 v10, s10
	s_xor_b64 exec, exec, s[6:7]
	s_cbranch_execnz .LBB56_2676
.LBB56_626:
	s_or_b64 exec, exec, s[6:7]
	s_and_saveexec_b64 s[6:7], s[4:5]
	s_cbranch_execz .LBB56_628
.LBB56_627:
	v_bfe_u32 v10, v17, 16, 3
	v_ffbh_u32_e32 v14, v10
	v_min_u32_e32 v14, 32, v14
	v_lshrrev_b32_e32 v11, 19, v17
	v_subrev_u32_e32 v15, 28, v14
	v_and_b32_e32 v11, 15, v11
	v_lshlrev_b32_sdwa v15, v15, v17 dst_sel:DWORD dst_unused:UNUSED_PAD src0_sel:DWORD src1_sel:WORD_1
	v_bfe_u32 v12, v17, 19, 4
	v_sub_u32_e32 v14, 29, v14
	v_and_b32_e32 v15, 7, v15
	v_cmp_eq_u16_e32 vcc, 0, v11
	v_cndmask_b32_e32 v10, v10, v15, vcc
	v_cndmask_b32_e32 v11, v12, v14, vcc
	v_lshlrev_b32_e32 v12, 8, v17
	v_mov_b32_e32 v14, 0x3b800000
	v_lshlrev_b32_e32 v10, 20, v10
	v_and_b32_e32 v12, 0x80000000, v12
	v_lshl_add_u32 v11, v11, 23, v14
	v_or3_b32 v10, v12, v11, v10
.LBB56_628:
	s_or_b64 exec, exec, s[6:7]
	s_movk_i32 s4, 0xff
	v_and_b32_sdwa v11, v13, s4 dst_sel:DWORD dst_unused:UNUSED_PAD src0_sel:WORD_1 src1_sel:DWORD
	s_movk_i32 s4, 0x7f
	v_cmp_lt_i16_e32 vcc, s4, v11
	s_mov_b64 s[4:5], 0
                                        ; implicit-def: $sgpr10
	s_and_saveexec_b64 s[6:7], vcc
	s_xor_b64 s[6:7], exec, s[6:7]
	s_cbranch_execnz .LBB56_2677
; %bb.629:
	s_or_saveexec_b64 s[6:7], s[6:7]
	v_mov_b32_e32 v12, s10
	s_xor_b64 exec, exec, s[6:7]
	s_cbranch_execnz .LBB56_2680
.LBB56_630:
	s_or_b64 exec, exec, s[6:7]
	s_and_saveexec_b64 s[6:7], s[4:5]
	s_cbranch_execz .LBB56_632
.LBB56_631:
	v_bfe_u32 v11, v13, 16, 3
	v_ffbh_u32_e32 v15, v11
	v_min_u32_e32 v15, 32, v15
	v_lshrrev_b32_e32 v12, 19, v13
	v_subrev_u32_e32 v16, 28, v15
	v_and_b32_e32 v12, 15, v12
	v_lshlrev_b32_sdwa v16, v16, v13 dst_sel:DWORD dst_unused:UNUSED_PAD src0_sel:DWORD src1_sel:WORD_1
	v_bfe_u32 v14, v13, 19, 4
	v_sub_u32_e32 v15, 29, v15
	v_and_b32_e32 v16, 7, v16
	v_cmp_eq_u16_e32 vcc, 0, v12
	v_cndmask_b32_e32 v11, v11, v16, vcc
	v_cndmask_b32_e32 v12, v14, v15, vcc
	v_lshlrev_b32_e32 v14, 8, v13
	v_mov_b32_e32 v15, 0x3b800000
	v_lshlrev_b32_e32 v11, 20, v11
	v_and_b32_e32 v14, 0x80000000, v14
	v_lshl_add_u32 v12, v12, 23, v15
	v_or3_b32 v12, v14, v12, v11
.LBB56_632:
	s_or_b64 exec, exec, s[6:7]
	s_nop 0
	v_mfma_f32_16x16x4f32 a[0:3], v10, v12, a[0:3]
	s_movk_i32 s4, 0x7f
	v_cmp_gt_i16_sdwa s[6:7], v17, s4 src0_sel:BYTE_3 src1_sel:DWORD
	s_mov_b64 s[4:5], 0
                                        ; implicit-def: $sgpr10
	s_and_saveexec_b64 s[8:9], s[6:7]
	s_xor_b64 s[6:7], exec, s[8:9]
	s_cbranch_execnz .LBB56_2681
; %bb.633:
	s_or_saveexec_b64 s[6:7], s[6:7]
	v_mov_b32_e32 v10, s10
	s_xor_b64 exec, exec, s[6:7]
	s_cbranch_execnz .LBB56_2684
.LBB56_634:
	s_or_b64 exec, exec, s[6:7]
	s_and_saveexec_b64 s[6:7], s[4:5]
	s_cbranch_execz .LBB56_636
.LBB56_635:
	v_bfe_u32 v10, v17, 24, 3
	v_ffbh_u32_e32 v15, v10
	v_min_u32_e32 v15, 32, v15
	v_lshrrev_b32_e32 v12, 27, v17
	v_subrev_u32_e32 v16, 28, v15
	v_and_b32_e32 v12, 15, v12
	v_lshlrev_b32_sdwa v16, v16, v17 dst_sel:DWORD dst_unused:UNUSED_PAD src0_sel:DWORD src1_sel:BYTE_3
	v_bfe_u32 v14, v17, 27, 4
	v_sub_u32_e32 v15, 29, v15
	v_and_b32_e32 v16, 7, v16
	v_cmp_eq_u16_e32 vcc, 0, v12
	v_cndmask_b32_e32 v10, v10, v16, vcc
	v_cndmask_b32_e32 v12, v14, v15, vcc
	v_mov_b32_e32 v14, 0x3b800000
	v_and_b32_e32 v11, 0x80000000, v17
	v_lshlrev_b32_e32 v10, 20, v10
	v_lshl_add_u32 v12, v12, 23, v14
	v_or3_b32 v10, v11, v12, v10
.LBB56_636:
	s_or_b64 exec, exec, s[6:7]
	s_movk_i32 s4, 0x7f
	v_cmp_gt_i16_sdwa s[6:7], v13, s4 src0_sel:BYTE_3 src1_sel:DWORD
	s_mov_b64 s[4:5], 0
                                        ; implicit-def: $sgpr10
	s_and_saveexec_b64 s[8:9], s[6:7]
	s_xor_b64 s[6:7], exec, s[8:9]
	s_cbranch_execnz .LBB56_2685
; %bb.637:
	s_or_saveexec_b64 s[6:7], s[6:7]
	v_mov_b32_e32 v11, s10
	s_xor_b64 exec, exec, s[6:7]
	s_cbranch_execnz .LBB56_2688
.LBB56_638:
	s_or_b64 exec, exec, s[6:7]
	s_and_saveexec_b64 s[6:7], s[4:5]
	s_cbranch_execz .LBB56_640
.LBB56_639:
	v_bfe_u32 v11, v13, 24, 3
	v_ffbh_u32_e32 v16, v11
	v_min_u32_e32 v16, 32, v16
	v_lshrrev_b32_e32 v14, 27, v13
	v_subrev_u32_e32 v17, 28, v16
	v_and_b32_e32 v12, 0x80000000, v13
	v_and_b32_e32 v14, 15, v14
	v_bfe_u32 v15, v13, 27, 4
	v_lshlrev_b32_sdwa v13, v17, v13 dst_sel:DWORD dst_unused:UNUSED_PAD src0_sel:DWORD src1_sel:BYTE_3
	v_sub_u32_e32 v16, 29, v16
	v_and_b32_e32 v13, 7, v13
	v_cmp_eq_u16_e32 vcc, 0, v14
	v_cndmask_b32_e32 v11, v11, v13, vcc
	v_cndmask_b32_e32 v13, v15, v16, vcc
	v_mov_b32_e32 v14, 0x3b800000
	v_lshlrev_b32_e32 v11, 20, v11
	v_lshl_add_u32 v13, v13, 23, v14
	v_or3_b32 v11, v12, v13, v11
.LBB56_640:
	s_or_b64 exec, exec, s[6:7]
	s_nop 0
	v_mfma_f32_16x16x4f32 a[0:3], v10, v11, a[0:3]
	s_movk_i32 s4, 0x7f
	v_cmp_gt_i16_sdwa s[6:7], v6, s4 src0_sel:BYTE_0 src1_sel:DWORD
	s_mov_b64 s[4:5], 0
                                        ; implicit-def: $sgpr10
	s_and_saveexec_b64 s[8:9], s[6:7]
	s_xor_b64 s[6:7], exec, s[8:9]
	s_cbranch_execnz .LBB56_2689
; %bb.641:
	s_or_saveexec_b64 s[6:7], s[6:7]
	v_mov_b32_e32 v10, s10
	s_xor_b64 exec, exec, s[6:7]
	s_cbranch_execnz .LBB56_2692
.LBB56_642:
	s_or_b64 exec, exec, s[6:7]
	s_and_saveexec_b64 s[6:7], s[4:5]
	s_cbranch_execz .LBB56_644
.LBB56_643:
	v_and_b32_e32 v10, 7, v6
	v_ffbh_u32_e32 v12, v10
	v_min_u32_e32 v12, 32, v12
	v_lshrrev_b16_e32 v11, 3, v6
	v_subrev_u32_e32 v13, 28, v12
	v_and_b32_e32 v11, 15, v11
	v_lshlrev_b32_e32 v13, v13, v6
	v_sub_u32_e32 v12, 29, v12
	v_and_b32_e32 v13, 7, v13
	v_cmp_eq_u16_e32 vcc, 0, v11
	v_cndmask_b32_e32 v10, v10, v13, vcc
	v_cndmask_b32_e32 v11, v11, v12, vcc
	v_lshlrev_b32_e32 v12, 24, v6
	v_mov_b32_e32 v13, 0x3b800000
	v_lshlrev_b32_e32 v10, 20, v10
	v_and_b32_e32 v12, 0x80000000, v12
	v_lshl_add_u32 v11, v11, 23, v13
	v_or3_b32 v10, v12, v11, v10
.LBB56_644:
	s_or_b64 exec, exec, s[6:7]
	s_movk_i32 s4, 0x7f
	v_cmp_gt_i16_sdwa s[6:7], v2, s4 src0_sel:BYTE_0 src1_sel:DWORD
	s_mov_b64 s[4:5], 0
                                        ; implicit-def: $sgpr10
	s_and_saveexec_b64 s[8:9], s[6:7]
	s_xor_b64 s[6:7], exec, s[8:9]
	s_cbranch_execnz .LBB56_2693
; %bb.645:
	s_or_saveexec_b64 s[6:7], s[6:7]
	v_mov_b32_e32 v11, s10
	s_xor_b64 exec, exec, s[6:7]
	s_cbranch_execnz .LBB56_2696
.LBB56_646:
	s_or_b64 exec, exec, s[6:7]
	s_and_saveexec_b64 s[6:7], s[4:5]
	s_cbranch_execz .LBB56_648
.LBB56_647:
	v_and_b32_e32 v11, 7, v2
	v_ffbh_u32_e32 v13, v11
	v_min_u32_e32 v13, 32, v13
	v_lshrrev_b16_e32 v12, 3, v2
	v_subrev_u32_e32 v14, 28, v13
	v_and_b32_e32 v12, 15, v12
	v_lshlrev_b32_e32 v14, v14, v2
	v_sub_u32_e32 v13, 29, v13
	v_and_b32_e32 v14, 7, v14
	v_cmp_eq_u16_e32 vcc, 0, v12
	v_cndmask_b32_e32 v11, v11, v14, vcc
	v_cndmask_b32_e32 v12, v12, v13, vcc
	v_lshlrev_b32_e32 v13, 24, v2
	v_mov_b32_e32 v14, 0x3b800000
	v_lshlrev_b32_e32 v11, 20, v11
	v_and_b32_e32 v13, 0x80000000, v13
	v_lshl_add_u32 v12, v12, 23, v14
	v_or3_b32 v11, v13, v12, v11
.LBB56_648:
	s_or_b64 exec, exec, s[6:7]
	s_nop 0
	v_mfma_f32_16x16x4f32 a[0:3], v10, v11, a[0:3]
	v_lshrrev_b32_e32 v11, 8, v6
	s_movk_i32 s4, 0x7f
	v_cmp_gt_i16_sdwa s[6:7], v11, s4 src0_sel:BYTE_0 src1_sel:DWORD
	s_mov_b64 s[4:5], 0
                                        ; implicit-def: $sgpr10
	s_and_saveexec_b64 s[8:9], s[6:7]
	s_xor_b64 s[6:7], exec, s[8:9]
	s_cbranch_execnz .LBB56_2697
; %bb.649:
	s_or_saveexec_b64 s[6:7], s[6:7]
	v_mov_b32_e32 v10, s10
	s_xor_b64 exec, exec, s[6:7]
	s_cbranch_execnz .LBB56_2700
.LBB56_650:
	s_or_b64 exec, exec, s[6:7]
	s_and_saveexec_b64 s[6:7], s[4:5]
	s_cbranch_execz .LBB56_652
.LBB56_651:
	v_bfe_u32 v10, v6, 8, 3
	v_ffbh_u32_e32 v13, v10
	v_min_u32_e32 v13, 32, v13
	v_lshrrev_b16_e32 v12, 3, v11
	v_subrev_u32_e32 v14, 28, v13
	v_and_b32_e32 v12, 15, v12
	v_lshlrev_b32_e32 v11, v14, v11
	v_sub_u32_e32 v13, 29, v13
	v_and_b32_e32 v11, 7, v11
	v_cmp_eq_u16_e32 vcc, 0, v12
	v_cndmask_b32_e32 v10, v10, v11, vcc
	v_cndmask_b32_e32 v11, v12, v13, vcc
	v_lshlrev_b32_e32 v12, 16, v6
	v_mov_b32_e32 v13, 0x3b800000
	v_lshlrev_b32_e32 v10, 20, v10
	v_and_b32_e32 v12, 0x80000000, v12
	v_lshl_add_u32 v11, v11, 23, v13
	v_or3_b32 v10, v12, v11, v10
.LBB56_652:
	s_or_b64 exec, exec, s[6:7]
	v_lshrrev_b32_e32 v11, 8, v2
	s_movk_i32 s4, 0x7f
	v_cmp_gt_i16_sdwa s[6:7], v11, s4 src0_sel:BYTE_0 src1_sel:DWORD
	s_mov_b64 s[4:5], 0
                                        ; implicit-def: $sgpr10
	s_and_saveexec_b64 s[8:9], s[6:7]
	s_xor_b64 s[6:7], exec, s[8:9]
	s_cbranch_execnz .LBB56_2701
; %bb.653:
	s_or_saveexec_b64 s[6:7], s[6:7]
	v_mov_b32_e32 v12, s10
	s_xor_b64 exec, exec, s[6:7]
	s_cbranch_execnz .LBB56_2704
.LBB56_654:
	s_or_b64 exec, exec, s[6:7]
	s_and_saveexec_b64 s[6:7], s[4:5]
	s_cbranch_execz .LBB56_656
.LBB56_655:
	v_bfe_u32 v12, v2, 8, 3
	v_ffbh_u32_e32 v14, v12
	v_min_u32_e32 v14, 32, v14
	v_lshrrev_b16_e32 v13, 3, v11
	v_subrev_u32_e32 v15, 28, v14
	v_and_b32_e32 v13, 15, v13
	v_lshlrev_b32_e32 v11, v15, v11
	v_sub_u32_e32 v14, 29, v14
	v_and_b32_e32 v11, 7, v11
	v_cmp_eq_u16_e32 vcc, 0, v13
	v_cndmask_b32_e32 v11, v12, v11, vcc
	v_cndmask_b32_e32 v12, v13, v14, vcc
	v_lshlrev_b32_e32 v13, 16, v2
	v_mov_b32_e32 v14, 0x3b800000
	v_lshlrev_b32_e32 v11, 20, v11
	v_and_b32_e32 v13, 0x80000000, v13
	v_lshl_add_u32 v12, v12, 23, v14
	v_or3_b32 v12, v13, v12, v11
.LBB56_656:
	s_or_b64 exec, exec, s[6:7]
	s_nop 0
	v_mfma_f32_16x16x4f32 a[0:3], v10, v12, a[0:3]
	s_movk_i32 s4, 0xff
	v_and_b32_sdwa v11, v6, s4 dst_sel:DWORD dst_unused:UNUSED_PAD src0_sel:WORD_1 src1_sel:DWORD
	s_movk_i32 s4, 0x7f
	v_cmp_lt_i16_e32 vcc, s4, v11
	s_mov_b64 s[4:5], 0
                                        ; implicit-def: $sgpr10
	s_and_saveexec_b64 s[6:7], vcc
	s_xor_b64 s[6:7], exec, s[6:7]
	s_cbranch_execnz .LBB56_2705
; %bb.657:
	s_or_saveexec_b64 s[6:7], s[6:7]
	v_mov_b32_e32 v10, s10
	s_xor_b64 exec, exec, s[6:7]
	s_cbranch_execnz .LBB56_2708
.LBB56_658:
	s_or_b64 exec, exec, s[6:7]
	s_and_saveexec_b64 s[6:7], s[4:5]
	s_cbranch_execz .LBB56_660
.LBB56_659:
	v_bfe_u32 v10, v6, 16, 3
	v_ffbh_u32_e32 v13, v10
	v_min_u32_e32 v13, 32, v13
	v_lshrrev_b32_e32 v11, 19, v6
	v_subrev_u32_e32 v14, 28, v13
	v_and_b32_e32 v11, 15, v11
	v_lshlrev_b32_sdwa v14, v14, v6 dst_sel:DWORD dst_unused:UNUSED_PAD src0_sel:DWORD src1_sel:WORD_1
	v_bfe_u32 v12, v6, 19, 4
	v_sub_u32_e32 v13, 29, v13
	v_and_b32_e32 v14, 7, v14
	v_cmp_eq_u16_e32 vcc, 0, v11
	v_cndmask_b32_e32 v10, v10, v14, vcc
	v_cndmask_b32_e32 v11, v12, v13, vcc
	v_lshlrev_b32_e32 v12, 8, v6
	v_mov_b32_e32 v13, 0x3b800000
	v_lshlrev_b32_e32 v10, 20, v10
	v_and_b32_e32 v12, 0x80000000, v12
	v_lshl_add_u32 v11, v11, 23, v13
	v_or3_b32 v10, v12, v11, v10
.LBB56_660:
	s_or_b64 exec, exec, s[6:7]
	s_movk_i32 s4, 0xff
	v_and_b32_sdwa v11, v2, s4 dst_sel:DWORD dst_unused:UNUSED_PAD src0_sel:WORD_1 src1_sel:DWORD
	s_movk_i32 s4, 0x7f
	v_cmp_lt_i16_e32 vcc, s4, v11
	s_mov_b64 s[4:5], 0
                                        ; implicit-def: $sgpr10
	s_and_saveexec_b64 s[6:7], vcc
	s_xor_b64 s[6:7], exec, s[6:7]
	s_cbranch_execnz .LBB56_2709
; %bb.661:
	s_or_saveexec_b64 s[6:7], s[6:7]
	v_mov_b32_e32 v12, s10
	s_xor_b64 exec, exec, s[6:7]
	s_cbranch_execnz .LBB56_2712
.LBB56_662:
	s_or_b64 exec, exec, s[6:7]
	s_and_saveexec_b64 s[6:7], s[4:5]
	s_cbranch_execz .LBB56_664
.LBB56_663:
	v_bfe_u32 v11, v2, 16, 3
	v_ffbh_u32_e32 v14, v11
	v_min_u32_e32 v14, 32, v14
	v_lshrrev_b32_e32 v12, 19, v2
	v_subrev_u32_e32 v15, 28, v14
	v_and_b32_e32 v12, 15, v12
	v_lshlrev_b32_sdwa v15, v15, v2 dst_sel:DWORD dst_unused:UNUSED_PAD src0_sel:DWORD src1_sel:WORD_1
	v_bfe_u32 v13, v2, 19, 4
	v_sub_u32_e32 v14, 29, v14
	v_and_b32_e32 v15, 7, v15
	v_cmp_eq_u16_e32 vcc, 0, v12
	v_cndmask_b32_e32 v11, v11, v15, vcc
	v_cndmask_b32_e32 v12, v13, v14, vcc
	v_lshlrev_b32_e32 v13, 8, v2
	v_mov_b32_e32 v14, 0x3b800000
	v_lshlrev_b32_e32 v11, 20, v11
	v_and_b32_e32 v13, 0x80000000, v13
	v_lshl_add_u32 v12, v12, 23, v14
	v_or3_b32 v12, v13, v12, v11
.LBB56_664:
	s_or_b64 exec, exec, s[6:7]
	s_nop 0
	v_mfma_f32_16x16x4f32 a[0:3], v10, v12, a[0:3]
	s_movk_i32 s4, 0x7f
	v_cmp_gt_i16_sdwa s[6:7], v6, s4 src0_sel:BYTE_3 src1_sel:DWORD
	s_mov_b64 s[4:5], 0
                                        ; implicit-def: $sgpr10
	s_and_saveexec_b64 s[8:9], s[6:7]
	s_xor_b64 s[6:7], exec, s[8:9]
	s_cbranch_execnz .LBB56_2713
; %bb.665:
	s_or_saveexec_b64 s[6:7], s[6:7]
	v_mov_b32_e32 v10, s10
	s_xor_b64 exec, exec, s[6:7]
	s_cbranch_execnz .LBB56_2716
.LBB56_666:
	s_or_b64 exec, exec, s[6:7]
	s_and_saveexec_b64 s[6:7], s[4:5]
	s_cbranch_execz .LBB56_668
.LBB56_667:
	v_bfe_u32 v10, v6, 24, 3
	v_ffbh_u32_e32 v14, v10
	v_min_u32_e32 v14, 32, v14
	v_lshrrev_b32_e32 v12, 27, v6
	v_subrev_u32_e32 v15, 28, v14
	v_and_b32_e32 v11, 0x80000000, v6
	v_and_b32_e32 v12, 15, v12
	v_bfe_u32 v13, v6, 27, 4
	v_lshlrev_b32_sdwa v6, v15, v6 dst_sel:DWORD dst_unused:UNUSED_PAD src0_sel:DWORD src1_sel:BYTE_3
	v_sub_u32_e32 v14, 29, v14
	v_and_b32_e32 v6, 7, v6
	v_cmp_eq_u16_e32 vcc, 0, v12
	v_cndmask_b32_e32 v6, v10, v6, vcc
	v_cndmask_b32_e32 v10, v13, v14, vcc
	v_mov_b32_e32 v12, 0x3b800000
	v_lshlrev_b32_e32 v6, 20, v6
	v_lshl_add_u32 v10, v10, 23, v12
	v_or3_b32 v10, v11, v10, v6
.LBB56_668:
	s_or_b64 exec, exec, s[6:7]
	s_movk_i32 s4, 0x7f
	v_cmp_gt_i16_sdwa s[6:7], v2, s4 src0_sel:BYTE_3 src1_sel:DWORD
	s_mov_b64 s[4:5], 0
                                        ; implicit-def: $sgpr10
	s_and_saveexec_b64 s[8:9], s[6:7]
	s_xor_b64 s[6:7], exec, s[8:9]
	s_cbranch_execnz .LBB56_2717
; %bb.669:
	s_or_saveexec_b64 s[6:7], s[6:7]
	v_mov_b32_e32 v6, s10
	s_xor_b64 exec, exec, s[6:7]
	s_cbranch_execnz .LBB56_2720
.LBB56_670:
	s_or_b64 exec, exec, s[6:7]
	s_and_saveexec_b64 s[6:7], s[4:5]
	s_cbranch_execz .LBB56_672
.LBB56_671:
	v_bfe_u32 v6, v2, 24, 3
	v_ffbh_u32_e32 v14, v6
	v_min_u32_e32 v14, 32, v14
	v_lshrrev_b32_e32 v12, 27, v2
	v_subrev_u32_e32 v15, 28, v14
	v_and_b32_e32 v11, 0x80000000, v2
	v_and_b32_e32 v12, 15, v12
	v_bfe_u32 v13, v2, 27, 4
	v_lshlrev_b32_sdwa v2, v15, v2 dst_sel:DWORD dst_unused:UNUSED_PAD src0_sel:DWORD src1_sel:BYTE_3
	v_sub_u32_e32 v14, 29, v14
	v_and_b32_e32 v2, 7, v2
	v_cmp_eq_u16_e32 vcc, 0, v12
	v_cndmask_b32_e32 v2, v6, v2, vcc
	v_cndmask_b32_e32 v6, v13, v14, vcc
	v_mov_b32_e32 v12, 0x3b800000
	v_lshlrev_b32_e32 v2, 20, v2
	v_lshl_add_u32 v6, v6, 23, v12
	v_or3_b32 v6, v11, v6, v2
.LBB56_672:
	s_or_b64 exec, exec, s[6:7]
	s_nop 0
	v_mfma_f32_16x16x4f32 a[0:3], v10, v6, a[0:3]
	s_movk_i32 s4, 0x7f
	v_cmp_gt_i16_sdwa s[6:7], v7, s4 src0_sel:BYTE_0 src1_sel:DWORD
	s_mov_b64 s[4:5], 0
                                        ; implicit-def: $sgpr10
	s_and_saveexec_b64 s[8:9], s[6:7]
	s_xor_b64 s[6:7], exec, s[8:9]
	s_cbranch_execnz .LBB56_2721
; %bb.673:
	s_or_saveexec_b64 s[6:7], s[6:7]
	v_mov_b32_e32 v2, s10
	s_xor_b64 exec, exec, s[6:7]
	s_cbranch_execnz .LBB56_2724
.LBB56_674:
	s_or_b64 exec, exec, s[6:7]
	s_and_saveexec_b64 s[6:7], s[4:5]
	s_cbranch_execz .LBB56_676
.LBB56_675:
	v_and_b32_e32 v2, 7, v7
	v_ffbh_u32_e32 v10, v2
	v_min_u32_e32 v10, 32, v10
	v_lshrrev_b16_e32 v6, 3, v7
	v_subrev_u32_e32 v11, 28, v10
	v_and_b32_e32 v6, 15, v6
	v_lshlrev_b32_e32 v11, v11, v7
	v_sub_u32_e32 v10, 29, v10
	v_and_b32_e32 v11, 7, v11
	v_cmp_eq_u16_e32 vcc, 0, v6
	v_cndmask_b32_e32 v2, v2, v11, vcc
	v_cndmask_b32_e32 v6, v6, v10, vcc
	v_lshlrev_b32_e32 v10, 24, v7
	v_mov_b32_e32 v11, 0x3b800000
	v_lshlrev_b32_e32 v2, 20, v2
	v_and_b32_e32 v10, 0x80000000, v10
	v_lshl_add_u32 v6, v6, 23, v11
	v_or3_b32 v2, v10, v6, v2
.LBB56_676:
	s_or_b64 exec, exec, s[6:7]
	s_movk_i32 s4, 0x7f
	v_cmp_gt_i16_sdwa s[6:7], v3, s4 src0_sel:BYTE_0 src1_sel:DWORD
	s_mov_b64 s[4:5], 0
                                        ; implicit-def: $sgpr10
	s_and_saveexec_b64 s[8:9], s[6:7]
	s_xor_b64 s[6:7], exec, s[8:9]
	s_cbranch_execnz .LBB56_2725
; %bb.677:
	s_or_saveexec_b64 s[6:7], s[6:7]
	v_mov_b32_e32 v6, s10
	s_xor_b64 exec, exec, s[6:7]
	s_cbranch_execnz .LBB56_2728
.LBB56_678:
	s_or_b64 exec, exec, s[6:7]
	s_and_saveexec_b64 s[6:7], s[4:5]
	s_cbranch_execz .LBB56_680
.LBB56_679:
	v_and_b32_e32 v6, 7, v3
	v_ffbh_u32_e32 v11, v6
	v_min_u32_e32 v11, 32, v11
	v_lshrrev_b16_e32 v10, 3, v3
	v_subrev_u32_e32 v12, 28, v11
	v_and_b32_e32 v10, 15, v10
	v_lshlrev_b32_e32 v12, v12, v3
	v_sub_u32_e32 v11, 29, v11
	v_and_b32_e32 v12, 7, v12
	v_cmp_eq_u16_e32 vcc, 0, v10
	v_cndmask_b32_e32 v6, v6, v12, vcc
	v_cndmask_b32_e32 v10, v10, v11, vcc
	v_lshlrev_b32_e32 v11, 24, v3
	v_mov_b32_e32 v12, 0x3b800000
	v_lshlrev_b32_e32 v6, 20, v6
	v_and_b32_e32 v11, 0x80000000, v11
	v_lshl_add_u32 v10, v10, 23, v12
	v_or3_b32 v6, v11, v10, v6
.LBB56_680:
	s_or_b64 exec, exec, s[6:7]
	s_nop 0
	v_mfma_f32_16x16x4f32 a[0:3], v2, v6, a[0:3]
	v_lshrrev_b32_e32 v6, 8, v7
	s_movk_i32 s4, 0x7f
	v_cmp_gt_i16_sdwa s[6:7], v6, s4 src0_sel:BYTE_0 src1_sel:DWORD
	s_mov_b64 s[4:5], 0
                                        ; implicit-def: $sgpr10
	s_and_saveexec_b64 s[8:9], s[6:7]
	s_xor_b64 s[6:7], exec, s[8:9]
	s_cbranch_execnz .LBB56_2729
; %bb.681:
	s_or_saveexec_b64 s[6:7], s[6:7]
	v_mov_b32_e32 v2, s10
	s_xor_b64 exec, exec, s[6:7]
	s_cbranch_execnz .LBB56_2732
.LBB56_682:
	s_or_b64 exec, exec, s[6:7]
	s_and_saveexec_b64 s[6:7], s[4:5]
	s_cbranch_execz .LBB56_684
.LBB56_683:
	v_bfe_u32 v2, v7, 8, 3
	v_ffbh_u32_e32 v11, v2
	v_min_u32_e32 v11, 32, v11
	v_lshrrev_b16_e32 v10, 3, v6
	v_subrev_u32_e32 v12, 28, v11
	v_and_b32_e32 v10, 15, v10
	v_lshlrev_b32_e32 v6, v12, v6
	v_sub_u32_e32 v11, 29, v11
	v_and_b32_e32 v6, 7, v6
	v_cmp_eq_u16_e32 vcc, 0, v10
	v_cndmask_b32_e32 v2, v2, v6, vcc
	v_cndmask_b32_e32 v6, v10, v11, vcc
	v_lshlrev_b32_e32 v10, 16, v7
	v_mov_b32_e32 v11, 0x3b800000
	v_lshlrev_b32_e32 v2, 20, v2
	v_and_b32_e32 v10, 0x80000000, v10
	v_lshl_add_u32 v6, v6, 23, v11
	v_or3_b32 v2, v10, v6, v2
.LBB56_684:
	s_or_b64 exec, exec, s[6:7]
	v_lshrrev_b32_e32 v6, 8, v3
	s_movk_i32 s4, 0x7f
	v_cmp_gt_i16_sdwa s[6:7], v6, s4 src0_sel:BYTE_0 src1_sel:DWORD
	s_mov_b64 s[4:5], 0
                                        ; implicit-def: $sgpr10
	s_and_saveexec_b64 s[8:9], s[6:7]
	s_xor_b64 s[6:7], exec, s[8:9]
	s_cbranch_execnz .LBB56_2733
; %bb.685:
	s_or_saveexec_b64 s[6:7], s[6:7]
	v_mov_b32_e32 v10, s10
	s_xor_b64 exec, exec, s[6:7]
	s_cbranch_execnz .LBB56_2736
.LBB56_686:
	s_or_b64 exec, exec, s[6:7]
	s_and_saveexec_b64 s[6:7], s[4:5]
	s_cbranch_execz .LBB56_688
.LBB56_687:
	v_bfe_u32 v10, v3, 8, 3
	v_ffbh_u32_e32 v12, v10
	v_min_u32_e32 v12, 32, v12
	v_lshrrev_b16_e32 v11, 3, v6
	v_subrev_u32_e32 v13, 28, v12
	v_and_b32_e32 v11, 15, v11
	v_lshlrev_b32_e32 v6, v13, v6
	v_sub_u32_e32 v12, 29, v12
	v_and_b32_e32 v6, 7, v6
	v_cmp_eq_u16_e32 vcc, 0, v11
	v_cndmask_b32_e32 v6, v10, v6, vcc
	v_cndmask_b32_e32 v10, v11, v12, vcc
	v_lshlrev_b32_e32 v11, 16, v3
	v_mov_b32_e32 v12, 0x3b800000
	v_lshlrev_b32_e32 v6, 20, v6
	v_and_b32_e32 v11, 0x80000000, v11
	v_lshl_add_u32 v10, v10, 23, v12
	v_or3_b32 v10, v11, v10, v6
.LBB56_688:
	s_or_b64 exec, exec, s[6:7]
	s_nop 0
	v_mfma_f32_16x16x4f32 a[0:3], v2, v10, a[0:3]
	s_movk_i32 s4, 0xff
	v_and_b32_sdwa v6, v7, s4 dst_sel:DWORD dst_unused:UNUSED_PAD src0_sel:WORD_1 src1_sel:DWORD
	s_movk_i32 s4, 0x7f
	v_cmp_lt_i16_e32 vcc, s4, v6
	s_mov_b64 s[4:5], 0
                                        ; implicit-def: $sgpr10
	s_and_saveexec_b64 s[6:7], vcc
	s_xor_b64 s[6:7], exec, s[6:7]
	s_cbranch_execnz .LBB56_2737
; %bb.689:
	s_or_saveexec_b64 s[6:7], s[6:7]
	v_mov_b32_e32 v2, s10
	s_xor_b64 exec, exec, s[6:7]
	s_cbranch_execnz .LBB56_2740
.LBB56_690:
	s_or_b64 exec, exec, s[6:7]
	s_and_saveexec_b64 s[6:7], s[4:5]
	s_cbranch_execz .LBB56_692
.LBB56_691:
	v_bfe_u32 v2, v7, 16, 3
	v_ffbh_u32_e32 v11, v2
	v_min_u32_e32 v11, 32, v11
	v_lshrrev_b32_e32 v6, 19, v7
	v_subrev_u32_e32 v12, 28, v11
	v_and_b32_e32 v6, 15, v6
	v_lshlrev_b32_sdwa v12, v12, v7 dst_sel:DWORD dst_unused:UNUSED_PAD src0_sel:DWORD src1_sel:WORD_1
	v_bfe_u32 v10, v7, 19, 4
	v_sub_u32_e32 v11, 29, v11
	v_and_b32_e32 v12, 7, v12
	v_cmp_eq_u16_e32 vcc, 0, v6
	v_cndmask_b32_e32 v2, v2, v12, vcc
	v_cndmask_b32_e32 v6, v10, v11, vcc
	v_lshlrev_b32_e32 v10, 8, v7
	v_mov_b32_e32 v11, 0x3b800000
	v_lshlrev_b32_e32 v2, 20, v2
	v_and_b32_e32 v10, 0x80000000, v10
	v_lshl_add_u32 v6, v6, 23, v11
	v_or3_b32 v2, v10, v6, v2
.LBB56_692:
	s_or_b64 exec, exec, s[6:7]
	s_movk_i32 s4, 0xff
	v_and_b32_sdwa v6, v3, s4 dst_sel:DWORD dst_unused:UNUSED_PAD src0_sel:WORD_1 src1_sel:DWORD
	s_movk_i32 s4, 0x7f
	v_cmp_lt_i16_e32 vcc, s4, v6
	s_mov_b64 s[4:5], 0
                                        ; implicit-def: $sgpr10
	s_and_saveexec_b64 s[6:7], vcc
	s_xor_b64 s[6:7], exec, s[6:7]
	s_cbranch_execnz .LBB56_2741
; %bb.693:
	s_or_saveexec_b64 s[6:7], s[6:7]
	v_mov_b32_e32 v10, s10
	s_xor_b64 exec, exec, s[6:7]
	s_cbranch_execnz .LBB56_2744
.LBB56_694:
	s_or_b64 exec, exec, s[6:7]
	s_and_saveexec_b64 s[6:7], s[4:5]
	s_cbranch_execz .LBB56_696
.LBB56_695:
	v_bfe_u32 v6, v3, 16, 3
	v_ffbh_u32_e32 v12, v6
	v_min_u32_e32 v12, 32, v12
	v_lshrrev_b32_e32 v10, 19, v3
	v_subrev_u32_e32 v13, 28, v12
	v_and_b32_e32 v10, 15, v10
	v_lshlrev_b32_sdwa v13, v13, v3 dst_sel:DWORD dst_unused:UNUSED_PAD src0_sel:DWORD src1_sel:WORD_1
	v_bfe_u32 v11, v3, 19, 4
	v_sub_u32_e32 v12, 29, v12
	v_and_b32_e32 v13, 7, v13
	v_cmp_eq_u16_e32 vcc, 0, v10
	v_cndmask_b32_e32 v6, v6, v13, vcc
	v_cndmask_b32_e32 v10, v11, v12, vcc
	v_lshlrev_b32_e32 v11, 8, v3
	v_mov_b32_e32 v12, 0x3b800000
	v_lshlrev_b32_e32 v6, 20, v6
	v_and_b32_e32 v11, 0x80000000, v11
	v_lshl_add_u32 v10, v10, 23, v12
	v_or3_b32 v10, v11, v10, v6
.LBB56_696:
	s_or_b64 exec, exec, s[6:7]
	s_nop 0
	v_mfma_f32_16x16x4f32 a[0:3], v2, v10, a[0:3]
	s_movk_i32 s4, 0x7f
	v_cmp_gt_i16_sdwa s[6:7], v7, s4 src0_sel:BYTE_3 src1_sel:DWORD
	s_mov_b64 s[4:5], 0
                                        ; implicit-def: $sgpr10
	s_and_saveexec_b64 s[8:9], s[6:7]
	s_xor_b64 s[6:7], exec, s[8:9]
	s_cbranch_execnz .LBB56_2745
; %bb.697:
	s_or_saveexec_b64 s[6:7], s[6:7]
	v_mov_b32_e32 v2, s10
	s_xor_b64 exec, exec, s[6:7]
	s_cbranch_execnz .LBB56_2748
.LBB56_698:
	s_or_b64 exec, exec, s[6:7]
	s_and_saveexec_b64 s[6:7], s[4:5]
	s_cbranch_execz .LBB56_700
.LBB56_699:
	v_bfe_u32 v2, v7, 24, 3
	v_ffbh_u32_e32 v12, v2
	v_min_u32_e32 v12, 32, v12
	v_lshrrev_b32_e32 v10, 27, v7
	v_subrev_u32_e32 v13, 28, v12
	v_and_b32_e32 v6, 0x80000000, v7
	v_and_b32_e32 v10, 15, v10
	v_bfe_u32 v11, v7, 27, 4
	v_lshlrev_b32_sdwa v7, v13, v7 dst_sel:DWORD dst_unused:UNUSED_PAD src0_sel:DWORD src1_sel:BYTE_3
	v_sub_u32_e32 v12, 29, v12
	v_and_b32_e32 v7, 7, v7
	v_cmp_eq_u16_e32 vcc, 0, v10
	v_cndmask_b32_e32 v2, v2, v7, vcc
	v_cndmask_b32_e32 v7, v11, v12, vcc
	v_mov_b32_e32 v10, 0x3b800000
	v_lshlrev_b32_e32 v2, 20, v2
	v_lshl_add_u32 v7, v7, 23, v10
	v_or3_b32 v2, v6, v7, v2
.LBB56_700:
	s_or_b64 exec, exec, s[6:7]
	s_movk_i32 s4, 0x7f
	v_cmp_gt_i16_sdwa s[6:7], v3, s4 src0_sel:BYTE_3 src1_sel:DWORD
	s_mov_b64 s[4:5], 0
                                        ; implicit-def: $sgpr10
	s_and_saveexec_b64 s[8:9], s[6:7]
	s_xor_b64 s[6:7], exec, s[8:9]
	s_cbranch_execnz .LBB56_2749
; %bb.701:
	s_or_saveexec_b64 s[6:7], s[6:7]
	v_mov_b32_e32 v6, s10
	s_xor_b64 exec, exec, s[6:7]
	s_cbranch_execnz .LBB56_2752
.LBB56_702:
	s_or_b64 exec, exec, s[6:7]
	s_and_saveexec_b64 s[6:7], s[4:5]
	s_cbranch_execz .LBB56_704
.LBB56_703:
	v_bfe_u32 v6, v3, 24, 3
	v_ffbh_u32_e32 v12, v6
	v_min_u32_e32 v12, 32, v12
	v_lshrrev_b32_e32 v10, 27, v3
	v_subrev_u32_e32 v13, 28, v12
	v_and_b32_e32 v7, 0x80000000, v3
	v_and_b32_e32 v10, 15, v10
	v_bfe_u32 v11, v3, 27, 4
	v_lshlrev_b32_sdwa v3, v13, v3 dst_sel:DWORD dst_unused:UNUSED_PAD src0_sel:DWORD src1_sel:BYTE_3
	v_sub_u32_e32 v12, 29, v12
	v_and_b32_e32 v3, 7, v3
	v_cmp_eq_u16_e32 vcc, 0, v10
	v_cndmask_b32_e32 v3, v6, v3, vcc
	v_cndmask_b32_e32 v6, v11, v12, vcc
	v_mov_b32_e32 v10, 0x3b800000
	v_lshlrev_b32_e32 v3, 20, v3
	v_lshl_add_u32 v6, v6, 23, v10
	v_or3_b32 v6, v7, v6, v3
.LBB56_704:
	s_or_b64 exec, exec, s[6:7]
	s_nop 0
	v_mfma_f32_16x16x4f32 a[0:3], v2, v6, a[0:3]
	s_movk_i32 s4, 0x7f
	v_cmp_gt_i16_sdwa s[6:7], v8, s4 src0_sel:BYTE_0 src1_sel:DWORD
	s_mov_b64 s[4:5], 0
                                        ; implicit-def: $sgpr10
	s_and_saveexec_b64 s[8:9], s[6:7]
	s_xor_b64 s[6:7], exec, s[8:9]
	s_cbranch_execnz .LBB56_2753
; %bb.705:
	s_or_saveexec_b64 s[6:7], s[6:7]
	v_mov_b32_e32 v2, s10
	s_xor_b64 exec, exec, s[6:7]
	s_cbranch_execnz .LBB56_2756
.LBB56_706:
	s_or_b64 exec, exec, s[6:7]
	s_and_saveexec_b64 s[6:7], s[4:5]
	s_cbranch_execz .LBB56_708
.LBB56_707:
	v_and_b32_e32 v2, 7, v8
	v_ffbh_u32_e32 v6, v2
	v_min_u32_e32 v6, 32, v6
	v_lshrrev_b16_e32 v3, 3, v8
	v_subrev_u32_e32 v7, 28, v6
	v_and_b32_e32 v3, 15, v3
	v_lshlrev_b32_e32 v7, v7, v8
	v_sub_u32_e32 v6, 29, v6
	v_and_b32_e32 v7, 7, v7
	v_cmp_eq_u16_e32 vcc, 0, v3
	v_cndmask_b32_e32 v2, v2, v7, vcc
	v_cndmask_b32_e32 v3, v3, v6, vcc
	v_lshlrev_b32_e32 v6, 24, v8
	v_mov_b32_e32 v7, 0x3b800000
	v_lshlrev_b32_e32 v2, 20, v2
	v_and_b32_e32 v6, 0x80000000, v6
	v_lshl_add_u32 v3, v3, 23, v7
	v_or3_b32 v2, v6, v3, v2
.LBB56_708:
	s_or_b64 exec, exec, s[6:7]
	s_movk_i32 s4, 0x7f
	v_cmp_gt_i16_sdwa s[6:7], v4, s4 src0_sel:BYTE_0 src1_sel:DWORD
	s_mov_b64 s[4:5], 0
                                        ; implicit-def: $sgpr10
	s_and_saveexec_b64 s[8:9], s[6:7]
	s_xor_b64 s[6:7], exec, s[8:9]
	s_cbranch_execnz .LBB56_2757
; %bb.709:
	s_or_saveexec_b64 s[6:7], s[6:7]
	v_mov_b32_e32 v3, s10
	s_xor_b64 exec, exec, s[6:7]
	s_cbranch_execnz .LBB56_2760
.LBB56_710:
	s_or_b64 exec, exec, s[6:7]
	s_and_saveexec_b64 s[6:7], s[4:5]
	s_cbranch_execz .LBB56_712
.LBB56_711:
	v_and_b32_e32 v3, 7, v4
	v_ffbh_u32_e32 v7, v3
	v_min_u32_e32 v7, 32, v7
	v_lshrrev_b16_e32 v6, 3, v4
	v_subrev_u32_e32 v10, 28, v7
	v_and_b32_e32 v6, 15, v6
	v_lshlrev_b32_e32 v10, v10, v4
	v_sub_u32_e32 v7, 29, v7
	v_and_b32_e32 v10, 7, v10
	v_cmp_eq_u16_e32 vcc, 0, v6
	v_cndmask_b32_e32 v3, v3, v10, vcc
	v_cndmask_b32_e32 v6, v6, v7, vcc
	v_lshlrev_b32_e32 v7, 24, v4
	v_mov_b32_e32 v10, 0x3b800000
	v_lshlrev_b32_e32 v3, 20, v3
	v_and_b32_e32 v7, 0x80000000, v7
	v_lshl_add_u32 v6, v6, 23, v10
	v_or3_b32 v3, v7, v6, v3
.LBB56_712:
	s_or_b64 exec, exec, s[6:7]
	s_nop 0
	v_mfma_f32_16x16x4f32 a[0:3], v2, v3, a[0:3]
	v_lshrrev_b32_e32 v3, 8, v8
	s_movk_i32 s4, 0x7f
	v_cmp_gt_i16_sdwa s[6:7], v3, s4 src0_sel:BYTE_0 src1_sel:DWORD
	s_mov_b64 s[4:5], 0
                                        ; implicit-def: $sgpr10
	s_and_saveexec_b64 s[8:9], s[6:7]
	s_xor_b64 s[6:7], exec, s[8:9]
	s_cbranch_execnz .LBB56_2761
; %bb.713:
	s_or_saveexec_b64 s[6:7], s[6:7]
	v_mov_b32_e32 v2, s10
	s_xor_b64 exec, exec, s[6:7]
	s_cbranch_execnz .LBB56_2764
.LBB56_714:
	s_or_b64 exec, exec, s[6:7]
	s_and_saveexec_b64 s[6:7], s[4:5]
	s_cbranch_execz .LBB56_716
.LBB56_715:
	v_bfe_u32 v2, v8, 8, 3
	v_ffbh_u32_e32 v7, v2
	v_min_u32_e32 v7, 32, v7
	v_lshrrev_b16_e32 v6, 3, v3
	v_subrev_u32_e32 v10, 28, v7
	v_and_b32_e32 v6, 15, v6
	v_lshlrev_b32_e32 v3, v10, v3
	v_sub_u32_e32 v7, 29, v7
	v_and_b32_e32 v3, 7, v3
	v_cmp_eq_u16_e32 vcc, 0, v6
	v_cndmask_b32_e32 v2, v2, v3, vcc
	v_cndmask_b32_e32 v3, v6, v7, vcc
	v_lshlrev_b32_e32 v6, 16, v8
	v_mov_b32_e32 v7, 0x3b800000
	v_lshlrev_b32_e32 v2, 20, v2
	v_and_b32_e32 v6, 0x80000000, v6
	v_lshl_add_u32 v3, v3, 23, v7
	v_or3_b32 v2, v6, v3, v2
.LBB56_716:
	s_or_b64 exec, exec, s[6:7]
	v_lshrrev_b32_e32 v3, 8, v4
	s_movk_i32 s4, 0x7f
	v_cmp_gt_i16_sdwa s[6:7], v3, s4 src0_sel:BYTE_0 src1_sel:DWORD
	s_mov_b64 s[4:5], 0
                                        ; implicit-def: $sgpr10
	s_and_saveexec_b64 s[8:9], s[6:7]
	s_xor_b64 s[6:7], exec, s[8:9]
	s_cbranch_execnz .LBB56_2765
; %bb.717:
	s_or_saveexec_b64 s[6:7], s[6:7]
	v_mov_b32_e32 v6, s10
	s_xor_b64 exec, exec, s[6:7]
	s_cbranch_execnz .LBB56_2768
.LBB56_718:
	s_or_b64 exec, exec, s[6:7]
	s_and_saveexec_b64 s[6:7], s[4:5]
	s_cbranch_execz .LBB56_720
.LBB56_719:
	v_bfe_u32 v6, v4, 8, 3
	v_ffbh_u32_e32 v10, v6
	v_min_u32_e32 v10, 32, v10
	v_lshrrev_b16_e32 v7, 3, v3
	v_subrev_u32_e32 v11, 28, v10
	v_and_b32_e32 v7, 15, v7
	v_lshlrev_b32_e32 v3, v11, v3
	v_sub_u32_e32 v10, 29, v10
	v_and_b32_e32 v3, 7, v3
	v_cmp_eq_u16_e32 vcc, 0, v7
	v_cndmask_b32_e32 v3, v6, v3, vcc
	v_cndmask_b32_e32 v6, v7, v10, vcc
	v_lshlrev_b32_e32 v7, 16, v4
	v_mov_b32_e32 v10, 0x3b800000
	v_lshlrev_b32_e32 v3, 20, v3
	v_and_b32_e32 v7, 0x80000000, v7
	v_lshl_add_u32 v6, v6, 23, v10
	v_or3_b32 v6, v7, v6, v3
.LBB56_720:
	s_or_b64 exec, exec, s[6:7]
	s_nop 0
	v_mfma_f32_16x16x4f32 a[0:3], v2, v6, a[0:3]
	s_movk_i32 s4, 0xff
	v_and_b32_sdwa v3, v8, s4 dst_sel:DWORD dst_unused:UNUSED_PAD src0_sel:WORD_1 src1_sel:DWORD
	s_movk_i32 s4, 0x7f
	v_cmp_lt_i16_e32 vcc, s4, v3
	s_mov_b64 s[4:5], 0
                                        ; implicit-def: $sgpr10
	s_and_saveexec_b64 s[6:7], vcc
	s_xor_b64 s[6:7], exec, s[6:7]
	s_cbranch_execnz .LBB56_2769
; %bb.721:
	s_or_saveexec_b64 s[6:7], s[6:7]
	v_mov_b32_e32 v2, s10
	s_xor_b64 exec, exec, s[6:7]
	s_cbranch_execnz .LBB56_2772
.LBB56_722:
	s_or_b64 exec, exec, s[6:7]
	s_and_saveexec_b64 s[6:7], s[4:5]
	s_cbranch_execz .LBB56_724
.LBB56_723:
	v_bfe_u32 v2, v8, 16, 3
	v_ffbh_u32_e32 v7, v2
	v_min_u32_e32 v7, 32, v7
	v_lshrrev_b32_e32 v3, 19, v8
	v_subrev_u32_e32 v10, 28, v7
	v_and_b32_e32 v3, 15, v3
	v_lshlrev_b32_sdwa v10, v10, v8 dst_sel:DWORD dst_unused:UNUSED_PAD src0_sel:DWORD src1_sel:WORD_1
	v_bfe_u32 v6, v8, 19, 4
	v_sub_u32_e32 v7, 29, v7
	v_and_b32_e32 v10, 7, v10
	v_cmp_eq_u16_e32 vcc, 0, v3
	v_cndmask_b32_e32 v2, v2, v10, vcc
	v_cndmask_b32_e32 v3, v6, v7, vcc
	v_lshlrev_b32_e32 v6, 8, v8
	v_mov_b32_e32 v7, 0x3b800000
	v_lshlrev_b32_e32 v2, 20, v2
	v_and_b32_e32 v6, 0x80000000, v6
	v_lshl_add_u32 v3, v3, 23, v7
	v_or3_b32 v2, v6, v3, v2
.LBB56_724:
	s_or_b64 exec, exec, s[6:7]
	s_movk_i32 s4, 0xff
	v_and_b32_sdwa v3, v4, s4 dst_sel:DWORD dst_unused:UNUSED_PAD src0_sel:WORD_1 src1_sel:DWORD
	s_movk_i32 s4, 0x7f
	v_cmp_lt_i16_e32 vcc, s4, v3
	s_mov_b64 s[4:5], 0
                                        ; implicit-def: $sgpr10
	s_and_saveexec_b64 s[6:7], vcc
	s_xor_b64 s[6:7], exec, s[6:7]
	s_cbranch_execnz .LBB56_2773
; %bb.725:
	s_or_saveexec_b64 s[6:7], s[6:7]
	v_mov_b32_e32 v6, s10
	s_xor_b64 exec, exec, s[6:7]
	s_cbranch_execnz .LBB56_2776
.LBB56_726:
	s_or_b64 exec, exec, s[6:7]
	s_and_saveexec_b64 s[6:7], s[4:5]
	s_cbranch_execz .LBB56_728
.LBB56_727:
	v_bfe_u32 v3, v4, 16, 3
	v_ffbh_u32_e32 v10, v3
	v_min_u32_e32 v10, 32, v10
	v_lshrrev_b32_e32 v6, 19, v4
	v_subrev_u32_e32 v11, 28, v10
	v_and_b32_e32 v6, 15, v6
	v_lshlrev_b32_sdwa v11, v11, v4 dst_sel:DWORD dst_unused:UNUSED_PAD src0_sel:DWORD src1_sel:WORD_1
	v_bfe_u32 v7, v4, 19, 4
	v_sub_u32_e32 v10, 29, v10
	v_and_b32_e32 v11, 7, v11
	v_cmp_eq_u16_e32 vcc, 0, v6
	v_cndmask_b32_e32 v3, v3, v11, vcc
	v_cndmask_b32_e32 v6, v7, v10, vcc
	v_lshlrev_b32_e32 v7, 8, v4
	v_mov_b32_e32 v10, 0x3b800000
	v_lshlrev_b32_e32 v3, 20, v3
	v_and_b32_e32 v7, 0x80000000, v7
	v_lshl_add_u32 v6, v6, 23, v10
	v_or3_b32 v6, v7, v6, v3
.LBB56_728:
	s_or_b64 exec, exec, s[6:7]
	s_nop 0
	v_mfma_f32_16x16x4f32 a[0:3], v2, v6, a[0:3]
	s_movk_i32 s4, 0x7f
	v_cmp_gt_i16_sdwa s[6:7], v8, s4 src0_sel:BYTE_3 src1_sel:DWORD
	s_mov_b64 s[4:5], 0
                                        ; implicit-def: $sgpr10
	s_and_saveexec_b64 s[8:9], s[6:7]
	s_xor_b64 s[6:7], exec, s[8:9]
	s_cbranch_execnz .LBB56_2777
; %bb.729:
	s_or_saveexec_b64 s[6:7], s[6:7]
	v_mov_b32_e32 v2, s10
	s_xor_b64 exec, exec, s[6:7]
	s_cbranch_execnz .LBB56_2780
.LBB56_730:
	s_or_b64 exec, exec, s[6:7]
	s_and_saveexec_b64 s[6:7], s[4:5]
	s_cbranch_execz .LBB56_732
.LBB56_731:
	v_bfe_u32 v2, v8, 24, 3
	v_ffbh_u32_e32 v10, v2
	v_min_u32_e32 v10, 32, v10
	v_lshrrev_b32_e32 v6, 27, v8
	v_subrev_u32_e32 v11, 28, v10
	v_and_b32_e32 v3, 0x80000000, v8
	v_and_b32_e32 v6, 15, v6
	v_bfe_u32 v7, v8, 27, 4
	v_lshlrev_b32_sdwa v8, v11, v8 dst_sel:DWORD dst_unused:UNUSED_PAD src0_sel:DWORD src1_sel:BYTE_3
	v_sub_u32_e32 v10, 29, v10
	v_and_b32_e32 v8, 7, v8
	v_cmp_eq_u16_e32 vcc, 0, v6
	v_cndmask_b32_e32 v2, v2, v8, vcc
	v_cndmask_b32_e32 v6, v7, v10, vcc
	v_mov_b32_e32 v7, 0x3b800000
	v_lshlrev_b32_e32 v2, 20, v2
	v_lshl_add_u32 v6, v6, 23, v7
	v_or3_b32 v2, v3, v6, v2
.LBB56_732:
	s_or_b64 exec, exec, s[6:7]
	s_movk_i32 s4, 0x7f
	v_cmp_gt_i16_sdwa s[6:7], v4, s4 src0_sel:BYTE_3 src1_sel:DWORD
	s_mov_b64 s[4:5], 0
                                        ; implicit-def: $sgpr10
	s_and_saveexec_b64 s[8:9], s[6:7]
	s_xor_b64 s[6:7], exec, s[8:9]
	s_cbranch_execnz .LBB56_2781
; %bb.733:
	s_or_saveexec_b64 s[6:7], s[6:7]
	v_mov_b32_e32 v3, s10
	s_xor_b64 exec, exec, s[6:7]
	s_cbranch_execnz .LBB56_2784
.LBB56_734:
	s_or_b64 exec, exec, s[6:7]
	s_and_saveexec_b64 s[6:7], s[4:5]
	s_cbranch_execz .LBB56_736
.LBB56_735:
	v_bfe_u32 v3, v4, 24, 3
	v_ffbh_u32_e32 v10, v3
	v_min_u32_e32 v10, 32, v10
	v_lshrrev_b32_e32 v7, 27, v4
	v_subrev_u32_e32 v11, 28, v10
	v_and_b32_e32 v6, 0x80000000, v4
	v_and_b32_e32 v7, 15, v7
	v_bfe_u32 v8, v4, 27, 4
	v_lshlrev_b32_sdwa v4, v11, v4 dst_sel:DWORD dst_unused:UNUSED_PAD src0_sel:DWORD src1_sel:BYTE_3
	v_sub_u32_e32 v10, 29, v10
	v_and_b32_e32 v4, 7, v4
	v_cmp_eq_u16_e32 vcc, 0, v7
	v_cndmask_b32_e32 v3, v3, v4, vcc
	v_cndmask_b32_e32 v4, v8, v10, vcc
	v_mov_b32_e32 v7, 0x3b800000
	v_lshlrev_b32_e32 v3, 20, v3
	v_lshl_add_u32 v4, v4, 23, v7
	v_or3_b32 v3, v6, v4, v3
.LBB56_736:
	s_or_b64 exec, exec, s[6:7]
	s_nop 0
	v_mfma_f32_16x16x4f32 a[0:3], v2, v3, a[0:3]
	s_movk_i32 s4, 0x7f
	v_cmp_gt_i16_sdwa s[6:7], v9, s4 src0_sel:BYTE_0 src1_sel:DWORD
	s_mov_b64 s[4:5], 0
                                        ; implicit-def: $sgpr10
	s_and_saveexec_b64 s[8:9], s[6:7]
	s_xor_b64 s[6:7], exec, s[8:9]
	s_cbranch_execnz .LBB56_2785
; %bb.737:
	s_or_saveexec_b64 s[6:7], s[6:7]
	v_mov_b32_e32 v2, s10
	s_xor_b64 exec, exec, s[6:7]
	s_cbranch_execnz .LBB56_2788
.LBB56_738:
	s_or_b64 exec, exec, s[6:7]
	s_and_saveexec_b64 s[6:7], s[4:5]
	s_cbranch_execz .LBB56_740
.LBB56_739:
	v_mov_b32_e32 v2, 8
	v_and_b32_e32 v3, 7, v9
	v_lshrrev_b32_sdwa v2, v2, v9 dst_sel:BYTE_1 dst_unused:UNUSED_PAD src0_sel:DWORD src1_sel:DWORD
	v_ffbh_u32_e32 v4, v3
	v_or_b32_sdwa v2, v9, v2 dst_sel:DWORD dst_unused:UNUSED_PAD src0_sel:BYTE_0 src1_sel:DWORD
	v_min_u32_e32 v4, 32, v4
	v_lshrrev_b16_e32 v2, 3, v2
	v_subrev_u32_e32 v6, 28, v4
	v_and_b32_e32 v2, 15, v2
	v_lshlrev_b32_e32 v6, v6, v9
	v_sub_u32_e32 v4, 29, v4
	v_and_b32_e32 v6, 7, v6
	v_cmp_eq_u16_e32 vcc, 0, v2
	v_cndmask_b32_e32 v3, v3, v6, vcc
	v_cndmask_b32_e32 v2, v2, v4, vcc
	v_lshlrev_b32_e32 v4, 24, v9
	v_mov_b32_e32 v6, 0x3b800000
	v_lshlrev_b32_e32 v3, 20, v3
	v_and_b32_e32 v4, 0x80000000, v4
	v_lshl_add_u32 v2, v2, 23, v6
	v_or3_b32 v2, v4, v2, v3
.LBB56_740:
	s_or_b64 exec, exec, s[6:7]
	s_movk_i32 s4, 0x7f
	v_cmp_gt_i16_sdwa s[6:7], v5, s4 src0_sel:BYTE_0 src1_sel:DWORD
	s_mov_b64 s[4:5], 0
                                        ; implicit-def: $sgpr10
	s_and_saveexec_b64 s[8:9], s[6:7]
	s_xor_b64 s[6:7], exec, s[8:9]
	s_cbranch_execnz .LBB56_2789
; %bb.741:
	s_or_saveexec_b64 s[6:7], s[6:7]
	v_mov_b32_e32 v3, s10
	s_xor_b64 exec, exec, s[6:7]
	s_cbranch_execnz .LBB56_2792
.LBB56_742:
	s_or_b64 exec, exec, s[6:7]
	s_and_saveexec_b64 s[6:7], s[4:5]
	s_cbranch_execz .LBB56_744
.LBB56_743:
	v_mov_b32_e32 v3, 8
	v_and_b32_e32 v4, 7, v5
	v_lshrrev_b32_sdwa v3, v3, v5 dst_sel:BYTE_1 dst_unused:UNUSED_PAD src0_sel:DWORD src1_sel:DWORD
	v_ffbh_u32_e32 v6, v4
	v_or_b32_sdwa v3, v5, v3 dst_sel:DWORD dst_unused:UNUSED_PAD src0_sel:BYTE_0 src1_sel:DWORD
	v_min_u32_e32 v6, 32, v6
	v_lshrrev_b16_e32 v3, 3, v3
	v_subrev_u32_e32 v7, 28, v6
	v_and_b32_e32 v3, 15, v3
	v_lshlrev_b32_e32 v7, v7, v5
	v_sub_u32_e32 v6, 29, v6
	v_and_b32_e32 v7, 7, v7
	v_cmp_eq_u16_e32 vcc, 0, v3
	v_cndmask_b32_e32 v4, v4, v7, vcc
	v_cndmask_b32_e32 v3, v3, v6, vcc
	v_lshlrev_b32_e32 v6, 24, v5
	v_mov_b32_e32 v7, 0x3b800000
	v_lshlrev_b32_e32 v4, 20, v4
	v_and_b32_e32 v6, 0x80000000, v6
	v_lshl_add_u32 v3, v3, 23, v7
	v_or3_b32 v3, v6, v3, v4
.LBB56_744:
	s_or_b64 exec, exec, s[6:7]
	s_nop 0
	v_mfma_f32_16x16x4f32 a[0:3], v2, v3, a[0:3]
	v_lshrrev_b32_e32 v3, 8, v9
	s_movk_i32 s4, 0x7f
	v_cmp_gt_i16_sdwa s[6:7], v3, s4 src0_sel:BYTE_0 src1_sel:DWORD
	s_mov_b64 s[4:5], 0
                                        ; implicit-def: $sgpr10
	s_and_saveexec_b64 s[8:9], s[6:7]
	s_xor_b64 s[6:7], exec, s[8:9]
	s_cbranch_execnz .LBB56_2793
; %bb.745:
	s_or_saveexec_b64 s[6:7], s[6:7]
	v_mov_b32_e32 v2, s10
	s_xor_b64 exec, exec, s[6:7]
	s_cbranch_execnz .LBB56_2796
.LBB56_746:
	s_or_b64 exec, exec, s[6:7]
	s_and_saveexec_b64 s[6:7], s[4:5]
	s_cbranch_execz .LBB56_748
.LBB56_747:
	v_bfe_u32 v2, v9, 8, 3
	v_ffbh_u32_e32 v6, v2
	v_min_u32_e32 v6, 32, v6
	v_lshrrev_b16_e32 v4, 3, v3
	v_subrev_u32_e32 v7, 28, v6
	v_and_b32_e32 v4, 15, v4
	v_lshlrev_b32_e32 v3, v7, v3
	v_sub_u32_e32 v6, 29, v6
	v_and_b32_e32 v3, 7, v3
	v_cmp_eq_u16_e32 vcc, 0, v4
	v_cndmask_b32_e32 v2, v2, v3, vcc
	v_cndmask_b32_e32 v3, v4, v6, vcc
	v_lshlrev_b32_e32 v4, 16, v9
	v_mov_b32_e32 v6, 0x3b800000
	v_lshlrev_b32_e32 v2, 20, v2
	v_and_b32_e32 v4, 0x80000000, v4
	v_lshl_add_u32 v3, v3, 23, v6
	v_or3_b32 v2, v4, v3, v2
.LBB56_748:
	s_or_b64 exec, exec, s[6:7]
	v_lshrrev_b32_e32 v3, 8, v5
	s_movk_i32 s4, 0x7f
	v_cmp_gt_i16_sdwa s[6:7], v3, s4 src0_sel:BYTE_0 src1_sel:DWORD
	s_mov_b64 s[4:5], 0
                                        ; implicit-def: $sgpr10
	s_and_saveexec_b64 s[8:9], s[6:7]
	s_xor_b64 s[6:7], exec, s[8:9]
	s_cbranch_execnz .LBB56_2797
; %bb.749:
	s_or_saveexec_b64 s[6:7], s[6:7]
	v_mov_b32_e32 v4, s10
	s_xor_b64 exec, exec, s[6:7]
	s_cbranch_execnz .LBB56_2800
.LBB56_750:
	s_or_b64 exec, exec, s[6:7]
	s_and_saveexec_b64 s[6:7], s[4:5]
	s_cbranch_execz .LBB56_752
.LBB56_751:
	v_bfe_u32 v4, v5, 8, 3
	v_ffbh_u32_e32 v7, v4
	v_min_u32_e32 v7, 32, v7
	v_lshrrev_b16_e32 v6, 3, v3
	v_subrev_u32_e32 v8, 28, v7
	v_and_b32_e32 v6, 15, v6
	v_lshlrev_b32_e32 v3, v8, v3
	v_sub_u32_e32 v7, 29, v7
	v_and_b32_e32 v3, 7, v3
	v_cmp_eq_u16_e32 vcc, 0, v6
	v_cndmask_b32_e32 v3, v4, v3, vcc
	v_cndmask_b32_e32 v4, v6, v7, vcc
	v_lshlrev_b32_e32 v6, 16, v5
	v_mov_b32_e32 v7, 0x3b800000
	v_lshlrev_b32_e32 v3, 20, v3
	v_and_b32_e32 v6, 0x80000000, v6
	v_lshl_add_u32 v4, v4, 23, v7
	v_or3_b32 v4, v6, v4, v3
.LBB56_752:
	s_or_b64 exec, exec, s[6:7]
	s_nop 0
	v_mfma_f32_16x16x4f32 a[0:3], v2, v4, a[0:3]
	s_movk_i32 s4, 0xff
	v_and_b32_sdwa v3, v9, s4 dst_sel:DWORD dst_unused:UNUSED_PAD src0_sel:WORD_1 src1_sel:DWORD
	s_movk_i32 s4, 0x7f
	v_cmp_lt_i16_e32 vcc, s4, v3
	s_mov_b64 s[4:5], 0
                                        ; implicit-def: $sgpr10
	s_and_saveexec_b64 s[6:7], vcc
	s_xor_b64 s[6:7], exec, s[6:7]
	s_cbranch_execnz .LBB56_2801
; %bb.753:
	s_or_saveexec_b64 s[6:7], s[6:7]
	v_mov_b32_e32 v2, s10
	s_xor_b64 exec, exec, s[6:7]
	s_cbranch_execnz .LBB56_2804
.LBB56_754:
	s_or_b64 exec, exec, s[6:7]
	s_and_saveexec_b64 s[6:7], s[4:5]
	s_cbranch_execz .LBB56_756
.LBB56_755:
	v_bfe_u32 v2, v9, 16, 3
	v_ffbh_u32_e32 v6, v2
	v_min_u32_e32 v6, 32, v6
	v_lshrrev_b32_e32 v3, 19, v9
	v_subrev_u32_e32 v7, 28, v6
	v_and_b32_e32 v3, 15, v3
	v_lshlrev_b32_sdwa v7, v7, v9 dst_sel:DWORD dst_unused:UNUSED_PAD src0_sel:DWORD src1_sel:WORD_1
	v_bfe_u32 v4, v9, 19, 4
	v_sub_u32_e32 v6, 29, v6
	v_and_b32_e32 v7, 7, v7
	v_cmp_eq_u16_e32 vcc, 0, v3
	v_cndmask_b32_e32 v2, v2, v7, vcc
	v_cndmask_b32_e32 v3, v4, v6, vcc
	v_lshlrev_b32_e32 v4, 8, v9
	v_mov_b32_e32 v6, 0x3b800000
	v_lshlrev_b32_e32 v2, 20, v2
	v_and_b32_e32 v4, 0x80000000, v4
	v_lshl_add_u32 v3, v3, 23, v6
	v_or3_b32 v2, v4, v3, v2
.LBB56_756:
	s_or_b64 exec, exec, s[6:7]
	s_movk_i32 s4, 0xff
	v_and_b32_sdwa v3, v5, s4 dst_sel:DWORD dst_unused:UNUSED_PAD src0_sel:WORD_1 src1_sel:DWORD
	s_movk_i32 s4, 0x7f
	v_cmp_lt_i16_e32 vcc, s4, v3
	s_mov_b64 s[4:5], 0
                                        ; implicit-def: $sgpr10
	s_and_saveexec_b64 s[6:7], vcc
	s_xor_b64 s[6:7], exec, s[6:7]
	s_cbranch_execnz .LBB56_2805
; %bb.757:
	s_or_saveexec_b64 s[6:7], s[6:7]
	v_mov_b32_e32 v4, s10
	s_xor_b64 exec, exec, s[6:7]
	s_cbranch_execnz .LBB56_2808
.LBB56_758:
	s_or_b64 exec, exec, s[6:7]
	s_and_saveexec_b64 s[6:7], s[4:5]
	s_cbranch_execz .LBB56_760
.LBB56_759:
	v_bfe_u32 v3, v5, 16, 3
	v_ffbh_u32_e32 v7, v3
	v_min_u32_e32 v7, 32, v7
	v_lshrrev_b32_e32 v4, 19, v5
	v_subrev_u32_e32 v8, 28, v7
	v_and_b32_e32 v4, 15, v4
	v_lshlrev_b32_sdwa v8, v8, v5 dst_sel:DWORD dst_unused:UNUSED_PAD src0_sel:DWORD src1_sel:WORD_1
	v_bfe_u32 v6, v5, 19, 4
	v_sub_u32_e32 v7, 29, v7
	v_and_b32_e32 v8, 7, v8
	v_cmp_eq_u16_e32 vcc, 0, v4
	v_cndmask_b32_e32 v3, v3, v8, vcc
	v_cndmask_b32_e32 v4, v6, v7, vcc
	v_lshlrev_b32_e32 v6, 8, v5
	v_mov_b32_e32 v7, 0x3b800000
	v_lshlrev_b32_e32 v3, 20, v3
	v_and_b32_e32 v6, 0x80000000, v6
	v_lshl_add_u32 v4, v4, 23, v7
	v_or3_b32 v4, v6, v4, v3
.LBB56_760:
	s_or_b64 exec, exec, s[6:7]
	s_nop 0
	v_mfma_f32_16x16x4f32 a[0:3], v2, v4, a[0:3]
	s_movk_i32 s4, 0x7f
	v_cmp_gt_i16_sdwa s[6:7], v9, s4 src0_sel:BYTE_3 src1_sel:DWORD
	s_mov_b64 s[4:5], 0
                                        ; implicit-def: $sgpr10
	s_and_saveexec_b64 s[8:9], s[6:7]
	s_xor_b64 s[6:7], exec, s[8:9]
	s_cbranch_execnz .LBB56_2809
; %bb.761:
	s_or_saveexec_b64 s[6:7], s[6:7]
	v_mov_b32_e32 v2, s10
	s_xor_b64 exec, exec, s[6:7]
	s_cbranch_execnz .LBB56_2812
.LBB56_762:
	s_or_b64 exec, exec, s[6:7]
	s_and_saveexec_b64 s[6:7], s[4:5]
	s_cbranch_execz .LBB56_764
.LBB56_763:
	v_bfe_u32 v2, v9, 24, 3
	v_ffbh_u32_e32 v7, v2
	v_min_u32_e32 v7, 32, v7
	v_lshrrev_b32_e32 v4, 27, v9
	v_subrev_u32_e32 v8, 28, v7
	v_and_b32_e32 v4, 15, v4
	v_lshlrev_b32_sdwa v8, v8, v9 dst_sel:DWORD dst_unused:UNUSED_PAD src0_sel:DWORD src1_sel:BYTE_3
	v_bfe_u32 v6, v9, 27, 4
	v_sub_u32_e32 v7, 29, v7
	v_and_b32_e32 v8, 7, v8
	v_cmp_eq_u16_e32 vcc, 0, v4
	v_cndmask_b32_e32 v2, v2, v8, vcc
	v_cndmask_b32_e32 v4, v6, v7, vcc
	v_mov_b32_e32 v6, 0x3b800000
	v_and_b32_e32 v3, 0x80000000, v9
	v_lshlrev_b32_e32 v2, 20, v2
	v_lshl_add_u32 v4, v4, 23, v6
	v_or3_b32 v2, v3, v4, v2
.LBB56_764:
	s_or_b64 exec, exec, s[6:7]
	s_movk_i32 s4, 0x7f
	v_cmp_gt_i16_sdwa s[6:7], v5, s4 src0_sel:BYTE_3 src1_sel:DWORD
	s_mov_b64 s[4:5], 0
                                        ; implicit-def: $sgpr10
	s_and_saveexec_b64 s[8:9], s[6:7]
	s_xor_b64 s[6:7], exec, s[8:9]
	s_cbranch_execnz .LBB56_2813
; %bb.765:
	s_or_saveexec_b64 s[6:7], s[6:7]
	v_mov_b32_e32 v3, s10
	s_xor_b64 exec, exec, s[6:7]
	s_cbranch_execnz .LBB56_2816
.LBB56_766:
	s_or_b64 exec, exec, s[6:7]
	s_and_saveexec_b64 s[6:7], s[4:5]
	s_cbranch_execz .LBB56_768
.LBB56_767:
	v_bfe_u32 v3, v5, 24, 3
	v_ffbh_u32_e32 v8, v3
	v_min_u32_e32 v8, 32, v8
	v_lshrrev_b32_e32 v6, 27, v5
	v_subrev_u32_e32 v9, 28, v8
	v_and_b32_e32 v4, 0x80000000, v5
	v_and_b32_e32 v6, 15, v6
	v_bfe_u32 v7, v5, 27, 4
	v_lshlrev_b32_sdwa v5, v9, v5 dst_sel:DWORD dst_unused:UNUSED_PAD src0_sel:DWORD src1_sel:BYTE_3
	v_sub_u32_e32 v8, 29, v8
	v_and_b32_e32 v5, 7, v5
	v_cmp_eq_u16_e32 vcc, 0, v6
	v_cndmask_b32_e32 v3, v3, v5, vcc
	v_cndmask_b32_e32 v5, v7, v8, vcc
	v_mov_b32_e32 v6, 0x3b800000
	v_lshlrev_b32_e32 v3, 20, v3
	v_lshl_add_u32 v5, v5, 23, v6
	v_or3_b32 v3, v4, v5, v3
.LBB56_768:
	s_or_b64 exec, exec, s[6:7]
	s_nop 0
	v_mfma_f32_16x16x4f32 a[0:3], v2, v3, a[0:3]
	s_movk_i32 s4, 0x7f
                                        ; implicit-def: $sgpr10
	s_nop 7
	s_nop 1
	flat_store_dwordx4 v[18:19], a[0:3] offset:544
	flat_load_dwordx4 v[20:23], v[0:1] offset:8
	s_nop 0
	flat_load_dwordx2 v[18:19], v[0:1] offset:24
	s_waitcnt vmcnt(0) lgkmcnt(0)
	flat_load_dwordx4 v[14:17], v[20:21]
	flat_load_dwordx4 v[6:9], v[20:21] offset:16
	flat_load_dwordx4 v[10:13], v[22:23] offset:352
	;; [unrolled: 1-line block ×3, first 2 shown]
	s_waitcnt vmcnt(0) lgkmcnt(0)
	v_cmp_gt_i16_sdwa s[6:7], v14, s4 src0_sel:BYTE_0 src1_sel:DWORD
	s_mov_b64 s[4:5], 0
	s_and_saveexec_b64 s[8:9], s[6:7]
	s_xor_b64 s[6:7], exec, s[8:9]
	s_cbranch_execnz .LBB56_2817
; %bb.769:
	s_or_saveexec_b64 s[6:7], s[6:7]
	v_mov_b32_e32 v20, s10
	s_xor_b64 exec, exec, s[6:7]
	s_cbranch_execnz .LBB56_2820
.LBB56_770:
	s_or_b64 exec, exec, s[6:7]
	s_and_saveexec_b64 s[6:7], s[4:5]
	s_cbranch_execz .LBB56_772
.LBB56_771:
	v_and_b32_e32 v20, 7, v14
	v_ffbh_u32_e32 v22, v20
	v_min_u32_e32 v22, 32, v22
	v_lshrrev_b16_e32 v21, 3, v14
	v_subrev_u32_e32 v23, 28, v22
	v_and_b32_e32 v21, 15, v21
	v_lshlrev_b32_e32 v23, v23, v14
	v_sub_u32_e32 v22, 29, v22
	v_and_b32_e32 v23, 7, v23
	v_cmp_eq_u16_e32 vcc, 0, v21
	v_cndmask_b32_e32 v20, v20, v23, vcc
	v_cndmask_b32_e32 v21, v21, v22, vcc
	v_lshlrev_b32_e32 v22, 24, v14
	v_mov_b32_e32 v23, 0x3b800000
	v_lshlrev_b32_e32 v20, 20, v20
	v_and_b32_e32 v22, 0x80000000, v22
	v_lshl_add_u32 v21, v21, 23, v23
	v_or3_b32 v20, v22, v21, v20
.LBB56_772:
	s_or_b64 exec, exec, s[6:7]
	s_movk_i32 s4, 0x7f
	v_cmp_gt_i16_sdwa s[6:7], v10, s4 src0_sel:BYTE_0 src1_sel:DWORD
	s_mov_b64 s[4:5], 0
                                        ; implicit-def: $sgpr10
	s_and_saveexec_b64 s[8:9], s[6:7]
	s_xor_b64 s[6:7], exec, s[8:9]
	s_cbranch_execnz .LBB56_2821
; %bb.773:
	s_or_saveexec_b64 s[6:7], s[6:7]
	v_mov_b32_e32 v21, s10
	s_xor_b64 exec, exec, s[6:7]
	s_cbranch_execnz .LBB56_2824
.LBB56_774:
	s_or_b64 exec, exec, s[6:7]
	s_and_saveexec_b64 s[6:7], s[4:5]
	s_cbranch_execz .LBB56_776
.LBB56_775:
	v_and_b32_e32 v21, 7, v10
	v_ffbh_u32_e32 v23, v21
	v_min_u32_e32 v23, 32, v23
	v_lshrrev_b16_e32 v22, 3, v10
	v_subrev_u32_e32 v24, 28, v23
	v_and_b32_e32 v22, 15, v22
	v_lshlrev_b32_e32 v24, v24, v10
	v_sub_u32_e32 v23, 29, v23
	v_and_b32_e32 v24, 7, v24
	v_cmp_eq_u16_e32 vcc, 0, v22
	v_cndmask_b32_e32 v21, v21, v24, vcc
	v_cndmask_b32_e32 v22, v22, v23, vcc
	v_lshlrev_b32_e32 v23, 24, v10
	v_mov_b32_e32 v24, 0x3b800000
	v_lshlrev_b32_e32 v21, 20, v21
	v_and_b32_e32 v23, 0x80000000, v23
	v_lshl_add_u32 v22, v22, 23, v24
	v_or3_b32 v21, v23, v22, v21
.LBB56_776:
	s_or_b64 exec, exec, s[6:7]
	flat_load_dwordx4 a[0:3], v[18:19] offset:560
	s_movk_i32 s4, 0x7f
                                        ; implicit-def: $sgpr10
	s_waitcnt vmcnt(0) lgkmcnt(0)
	v_mfma_f32_16x16x4f32 a[0:3], v20, v21, a[0:3]
	v_lshrrev_b32_e32 v21, 8, v14
	v_cmp_gt_i16_sdwa s[6:7], v21, s4 src0_sel:BYTE_0 src1_sel:DWORD
	s_mov_b64 s[4:5], 0
	s_and_saveexec_b64 s[8:9], s[6:7]
	s_xor_b64 s[6:7], exec, s[8:9]
	s_cbranch_execnz .LBB56_2825
; %bb.777:
	s_or_saveexec_b64 s[6:7], s[6:7]
	v_mov_b32_e32 v20, s10
	s_xor_b64 exec, exec, s[6:7]
	s_cbranch_execnz .LBB56_2828
.LBB56_778:
	s_or_b64 exec, exec, s[6:7]
	s_and_saveexec_b64 s[6:7], s[4:5]
	s_cbranch_execz .LBB56_780
.LBB56_779:
	v_bfe_u32 v20, v14, 8, 3
	v_ffbh_u32_e32 v23, v20
	v_min_u32_e32 v23, 32, v23
	v_lshrrev_b16_e32 v22, 3, v21
	v_subrev_u32_e32 v24, 28, v23
	v_and_b32_e32 v22, 15, v22
	v_lshlrev_b32_e32 v21, v24, v21
	v_sub_u32_e32 v23, 29, v23
	v_and_b32_e32 v21, 7, v21
	v_cmp_eq_u16_e32 vcc, 0, v22
	v_cndmask_b32_e32 v20, v20, v21, vcc
	v_cndmask_b32_e32 v21, v22, v23, vcc
	v_lshlrev_b32_e32 v22, 16, v14
	v_mov_b32_e32 v23, 0x3b800000
	v_lshlrev_b32_e32 v20, 20, v20
	v_and_b32_e32 v22, 0x80000000, v22
	v_lshl_add_u32 v21, v21, 23, v23
	v_or3_b32 v20, v22, v21, v20
.LBB56_780:
	s_or_b64 exec, exec, s[6:7]
	v_lshrrev_b32_e32 v21, 8, v10
	s_movk_i32 s4, 0x7f
	v_cmp_gt_i16_sdwa s[6:7], v21, s4 src0_sel:BYTE_0 src1_sel:DWORD
	s_mov_b64 s[4:5], 0
                                        ; implicit-def: $sgpr10
	s_and_saveexec_b64 s[8:9], s[6:7]
	s_xor_b64 s[6:7], exec, s[8:9]
	s_cbranch_execnz .LBB56_2829
; %bb.781:
	s_or_saveexec_b64 s[6:7], s[6:7]
	v_mov_b32_e32 v22, s10
	s_xor_b64 exec, exec, s[6:7]
	s_cbranch_execnz .LBB56_2832
.LBB56_782:
	s_or_b64 exec, exec, s[6:7]
	s_and_saveexec_b64 s[6:7], s[4:5]
	s_cbranch_execz .LBB56_784
.LBB56_783:
	v_bfe_u32 v22, v10, 8, 3
	v_ffbh_u32_e32 v24, v22
	v_min_u32_e32 v24, 32, v24
	v_lshrrev_b16_e32 v23, 3, v21
	v_subrev_u32_e32 v25, 28, v24
	v_and_b32_e32 v23, 15, v23
	v_lshlrev_b32_e32 v21, v25, v21
	v_sub_u32_e32 v24, 29, v24
	v_and_b32_e32 v21, 7, v21
	v_cmp_eq_u16_e32 vcc, 0, v23
	v_cndmask_b32_e32 v21, v22, v21, vcc
	v_cndmask_b32_e32 v22, v23, v24, vcc
	v_lshlrev_b32_e32 v23, 16, v10
	v_mov_b32_e32 v24, 0x3b800000
	v_lshlrev_b32_e32 v21, 20, v21
	v_and_b32_e32 v23, 0x80000000, v23
	v_lshl_add_u32 v22, v22, 23, v24
	v_or3_b32 v22, v23, v22, v21
.LBB56_784:
	s_or_b64 exec, exec, s[6:7]
	s_nop 0
	v_mfma_f32_16x16x4f32 a[0:3], v20, v22, a[0:3]
	s_movk_i32 s4, 0xff
	v_and_b32_sdwa v21, v14, s4 dst_sel:DWORD dst_unused:UNUSED_PAD src0_sel:WORD_1 src1_sel:DWORD
	s_movk_i32 s4, 0x7f
	v_cmp_lt_i16_e32 vcc, s4, v21
	s_mov_b64 s[4:5], 0
                                        ; implicit-def: $sgpr10
	s_and_saveexec_b64 s[6:7], vcc
	s_xor_b64 s[6:7], exec, s[6:7]
	s_cbranch_execnz .LBB56_2833
; %bb.785:
	s_or_saveexec_b64 s[6:7], s[6:7]
	v_mov_b32_e32 v20, s10
	s_xor_b64 exec, exec, s[6:7]
	s_cbranch_execnz .LBB56_2836
.LBB56_786:
	s_or_b64 exec, exec, s[6:7]
	s_and_saveexec_b64 s[6:7], s[4:5]
	s_cbranch_execz .LBB56_788
.LBB56_787:
	v_bfe_u32 v20, v14, 16, 3
	v_ffbh_u32_e32 v23, v20
	v_min_u32_e32 v23, 32, v23
	v_lshrrev_b32_e32 v21, 19, v14
	v_subrev_u32_e32 v24, 28, v23
	v_and_b32_e32 v21, 15, v21
	v_lshlrev_b32_sdwa v24, v24, v14 dst_sel:DWORD dst_unused:UNUSED_PAD src0_sel:DWORD src1_sel:WORD_1
	v_bfe_u32 v22, v14, 19, 4
	v_sub_u32_e32 v23, 29, v23
	v_and_b32_e32 v24, 7, v24
	v_cmp_eq_u16_e32 vcc, 0, v21
	v_cndmask_b32_e32 v20, v20, v24, vcc
	v_cndmask_b32_e32 v21, v22, v23, vcc
	v_lshlrev_b32_e32 v22, 8, v14
	v_mov_b32_e32 v23, 0x3b800000
	v_lshlrev_b32_e32 v20, 20, v20
	v_and_b32_e32 v22, 0x80000000, v22
	v_lshl_add_u32 v21, v21, 23, v23
	v_or3_b32 v20, v22, v21, v20
.LBB56_788:
	s_or_b64 exec, exec, s[6:7]
	s_movk_i32 s4, 0xff
	v_and_b32_sdwa v21, v10, s4 dst_sel:DWORD dst_unused:UNUSED_PAD src0_sel:WORD_1 src1_sel:DWORD
	s_movk_i32 s4, 0x7f
	v_cmp_lt_i16_e32 vcc, s4, v21
	s_mov_b64 s[4:5], 0
                                        ; implicit-def: $sgpr10
	s_and_saveexec_b64 s[6:7], vcc
	s_xor_b64 s[6:7], exec, s[6:7]
	s_cbranch_execnz .LBB56_2837
; %bb.789:
	s_or_saveexec_b64 s[6:7], s[6:7]
	v_mov_b32_e32 v22, s10
	s_xor_b64 exec, exec, s[6:7]
	s_cbranch_execnz .LBB56_2840
.LBB56_790:
	s_or_b64 exec, exec, s[6:7]
	s_and_saveexec_b64 s[6:7], s[4:5]
	s_cbranch_execz .LBB56_792
.LBB56_791:
	v_bfe_u32 v21, v10, 16, 3
	v_ffbh_u32_e32 v24, v21
	v_min_u32_e32 v24, 32, v24
	v_lshrrev_b32_e32 v22, 19, v10
	v_subrev_u32_e32 v25, 28, v24
	v_and_b32_e32 v22, 15, v22
	v_lshlrev_b32_sdwa v25, v25, v10 dst_sel:DWORD dst_unused:UNUSED_PAD src0_sel:DWORD src1_sel:WORD_1
	v_bfe_u32 v23, v10, 19, 4
	v_sub_u32_e32 v24, 29, v24
	v_and_b32_e32 v25, 7, v25
	v_cmp_eq_u16_e32 vcc, 0, v22
	v_cndmask_b32_e32 v21, v21, v25, vcc
	v_cndmask_b32_e32 v22, v23, v24, vcc
	v_lshlrev_b32_e32 v23, 8, v10
	v_mov_b32_e32 v24, 0x3b800000
	v_lshlrev_b32_e32 v21, 20, v21
	v_and_b32_e32 v23, 0x80000000, v23
	v_lshl_add_u32 v22, v22, 23, v24
	v_or3_b32 v22, v23, v22, v21
.LBB56_792:
	s_or_b64 exec, exec, s[6:7]
	s_nop 0
	v_mfma_f32_16x16x4f32 a[0:3], v20, v22, a[0:3]
	s_movk_i32 s4, 0x7f
	v_cmp_gt_i16_sdwa s[6:7], v14, s4 src0_sel:BYTE_3 src1_sel:DWORD
	s_mov_b64 s[4:5], 0
                                        ; implicit-def: $sgpr10
	s_and_saveexec_b64 s[8:9], s[6:7]
	s_xor_b64 s[6:7], exec, s[8:9]
	s_cbranch_execnz .LBB56_2841
; %bb.793:
	s_or_saveexec_b64 s[6:7], s[6:7]
	v_mov_b32_e32 v20, s10
	s_xor_b64 exec, exec, s[6:7]
	s_cbranch_execnz .LBB56_2844
.LBB56_794:
	s_or_b64 exec, exec, s[6:7]
	s_and_saveexec_b64 s[6:7], s[4:5]
	s_cbranch_execz .LBB56_796
.LBB56_795:
	v_bfe_u32 v20, v14, 24, 3
	v_ffbh_u32_e32 v24, v20
	v_min_u32_e32 v24, 32, v24
	v_lshrrev_b32_e32 v22, 27, v14
	v_subrev_u32_e32 v25, 28, v24
	v_and_b32_e32 v21, 0x80000000, v14
	v_and_b32_e32 v22, 15, v22
	v_bfe_u32 v23, v14, 27, 4
	v_lshlrev_b32_sdwa v14, v25, v14 dst_sel:DWORD dst_unused:UNUSED_PAD src0_sel:DWORD src1_sel:BYTE_3
	v_sub_u32_e32 v24, 29, v24
	v_and_b32_e32 v14, 7, v14
	v_cmp_eq_u16_e32 vcc, 0, v22
	v_cndmask_b32_e32 v14, v20, v14, vcc
	v_cndmask_b32_e32 v20, v23, v24, vcc
	v_mov_b32_e32 v22, 0x3b800000
	v_lshlrev_b32_e32 v14, 20, v14
	v_lshl_add_u32 v20, v20, 23, v22
	v_or3_b32 v20, v21, v20, v14
.LBB56_796:
	s_or_b64 exec, exec, s[6:7]
	s_movk_i32 s4, 0x7f
	v_cmp_gt_i16_sdwa s[6:7], v10, s4 src0_sel:BYTE_3 src1_sel:DWORD
	s_mov_b64 s[4:5], 0
                                        ; implicit-def: $sgpr10
	s_and_saveexec_b64 s[8:9], s[6:7]
	s_xor_b64 s[6:7], exec, s[8:9]
	s_cbranch_execnz .LBB56_2845
; %bb.797:
	s_or_saveexec_b64 s[6:7], s[6:7]
	v_mov_b32_e32 v14, s10
	s_xor_b64 exec, exec, s[6:7]
	s_cbranch_execnz .LBB56_2848
.LBB56_798:
	s_or_b64 exec, exec, s[6:7]
	s_and_saveexec_b64 s[6:7], s[4:5]
	s_cbranch_execz .LBB56_800
.LBB56_799:
	v_bfe_u32 v14, v10, 24, 3
	v_ffbh_u32_e32 v24, v14
	v_min_u32_e32 v24, 32, v24
	v_lshrrev_b32_e32 v22, 27, v10
	v_subrev_u32_e32 v25, 28, v24
	v_and_b32_e32 v21, 0x80000000, v10
	v_and_b32_e32 v22, 15, v22
	v_bfe_u32 v23, v10, 27, 4
	v_lshlrev_b32_sdwa v10, v25, v10 dst_sel:DWORD dst_unused:UNUSED_PAD src0_sel:DWORD src1_sel:BYTE_3
	v_sub_u32_e32 v24, 29, v24
	v_and_b32_e32 v10, 7, v10
	v_cmp_eq_u16_e32 vcc, 0, v22
	v_cndmask_b32_e32 v10, v14, v10, vcc
	v_cndmask_b32_e32 v14, v23, v24, vcc
	v_mov_b32_e32 v22, 0x3b800000
	v_lshlrev_b32_e32 v10, 20, v10
	v_lshl_add_u32 v14, v14, 23, v22
	v_or3_b32 v14, v21, v14, v10
.LBB56_800:
	s_or_b64 exec, exec, s[6:7]
	s_nop 0
	v_mfma_f32_16x16x4f32 a[0:3], v20, v14, a[0:3]
	s_movk_i32 s4, 0x7f
	v_cmp_gt_i16_sdwa s[6:7], v15, s4 src0_sel:BYTE_0 src1_sel:DWORD
	s_mov_b64 s[4:5], 0
                                        ; implicit-def: $sgpr10
	s_and_saveexec_b64 s[8:9], s[6:7]
	s_xor_b64 s[6:7], exec, s[8:9]
	s_cbranch_execnz .LBB56_2849
; %bb.801:
	s_or_saveexec_b64 s[6:7], s[6:7]
	v_mov_b32_e32 v10, s10
	s_xor_b64 exec, exec, s[6:7]
	s_cbranch_execnz .LBB56_2852
.LBB56_802:
	s_or_b64 exec, exec, s[6:7]
	s_and_saveexec_b64 s[6:7], s[4:5]
	s_cbranch_execz .LBB56_804
.LBB56_803:
	v_and_b32_e32 v10, 7, v15
	v_ffbh_u32_e32 v20, v10
	v_min_u32_e32 v20, 32, v20
	v_lshrrev_b16_e32 v14, 3, v15
	v_subrev_u32_e32 v21, 28, v20
	v_and_b32_e32 v14, 15, v14
	v_lshlrev_b32_e32 v21, v21, v15
	v_sub_u32_e32 v20, 29, v20
	v_and_b32_e32 v21, 7, v21
	v_cmp_eq_u16_e32 vcc, 0, v14
	v_cndmask_b32_e32 v10, v10, v21, vcc
	v_cndmask_b32_e32 v14, v14, v20, vcc
	v_lshlrev_b32_e32 v20, 24, v15
	v_mov_b32_e32 v21, 0x3b800000
	v_lshlrev_b32_e32 v10, 20, v10
	v_and_b32_e32 v20, 0x80000000, v20
	v_lshl_add_u32 v14, v14, 23, v21
	v_or3_b32 v10, v20, v14, v10
.LBB56_804:
	s_or_b64 exec, exec, s[6:7]
	s_movk_i32 s4, 0x7f
	v_cmp_gt_i16_sdwa s[6:7], v11, s4 src0_sel:BYTE_0 src1_sel:DWORD
	s_mov_b64 s[4:5], 0
                                        ; implicit-def: $sgpr10
	s_and_saveexec_b64 s[8:9], s[6:7]
	s_xor_b64 s[6:7], exec, s[8:9]
	s_cbranch_execnz .LBB56_2853
; %bb.805:
	s_or_saveexec_b64 s[6:7], s[6:7]
	v_mov_b32_e32 v14, s10
	s_xor_b64 exec, exec, s[6:7]
	s_cbranch_execnz .LBB56_2856
.LBB56_806:
	s_or_b64 exec, exec, s[6:7]
	s_and_saveexec_b64 s[6:7], s[4:5]
	s_cbranch_execz .LBB56_808
.LBB56_807:
	v_and_b32_e32 v14, 7, v11
	v_ffbh_u32_e32 v21, v14
	v_min_u32_e32 v21, 32, v21
	v_lshrrev_b16_e32 v20, 3, v11
	v_subrev_u32_e32 v22, 28, v21
	v_and_b32_e32 v20, 15, v20
	v_lshlrev_b32_e32 v22, v22, v11
	v_sub_u32_e32 v21, 29, v21
	v_and_b32_e32 v22, 7, v22
	v_cmp_eq_u16_e32 vcc, 0, v20
	v_cndmask_b32_e32 v14, v14, v22, vcc
	v_cndmask_b32_e32 v20, v20, v21, vcc
	v_lshlrev_b32_e32 v21, 24, v11
	v_mov_b32_e32 v22, 0x3b800000
	v_lshlrev_b32_e32 v14, 20, v14
	v_and_b32_e32 v21, 0x80000000, v21
	v_lshl_add_u32 v20, v20, 23, v22
	v_or3_b32 v14, v21, v20, v14
.LBB56_808:
	s_or_b64 exec, exec, s[6:7]
	s_nop 0
	v_mfma_f32_16x16x4f32 a[0:3], v10, v14, a[0:3]
	v_lshrrev_b32_e32 v14, 8, v15
	s_movk_i32 s4, 0x7f
	v_cmp_gt_i16_sdwa s[6:7], v14, s4 src0_sel:BYTE_0 src1_sel:DWORD
	s_mov_b64 s[4:5], 0
                                        ; implicit-def: $sgpr10
	s_and_saveexec_b64 s[8:9], s[6:7]
	s_xor_b64 s[6:7], exec, s[8:9]
	s_cbranch_execnz .LBB56_2857
; %bb.809:
	s_or_saveexec_b64 s[6:7], s[6:7]
	v_mov_b32_e32 v10, s10
	s_xor_b64 exec, exec, s[6:7]
	s_cbranch_execnz .LBB56_2860
.LBB56_810:
	s_or_b64 exec, exec, s[6:7]
	s_and_saveexec_b64 s[6:7], s[4:5]
	s_cbranch_execz .LBB56_812
.LBB56_811:
	v_bfe_u32 v10, v15, 8, 3
	v_ffbh_u32_e32 v21, v10
	v_min_u32_e32 v21, 32, v21
	v_lshrrev_b16_e32 v20, 3, v14
	v_subrev_u32_e32 v22, 28, v21
	v_and_b32_e32 v20, 15, v20
	v_lshlrev_b32_e32 v14, v22, v14
	v_sub_u32_e32 v21, 29, v21
	v_and_b32_e32 v14, 7, v14
	v_cmp_eq_u16_e32 vcc, 0, v20
	v_cndmask_b32_e32 v10, v10, v14, vcc
	v_cndmask_b32_e32 v14, v20, v21, vcc
	v_lshlrev_b32_e32 v20, 16, v15
	v_mov_b32_e32 v21, 0x3b800000
	v_lshlrev_b32_e32 v10, 20, v10
	v_and_b32_e32 v20, 0x80000000, v20
	v_lshl_add_u32 v14, v14, 23, v21
	v_or3_b32 v10, v20, v14, v10
.LBB56_812:
	s_or_b64 exec, exec, s[6:7]
	v_lshrrev_b32_e32 v14, 8, v11
	s_movk_i32 s4, 0x7f
	v_cmp_gt_i16_sdwa s[6:7], v14, s4 src0_sel:BYTE_0 src1_sel:DWORD
	s_mov_b64 s[4:5], 0
                                        ; implicit-def: $sgpr10
	s_and_saveexec_b64 s[8:9], s[6:7]
	s_xor_b64 s[6:7], exec, s[8:9]
	s_cbranch_execnz .LBB56_2861
; %bb.813:
	s_or_saveexec_b64 s[6:7], s[6:7]
	v_mov_b32_e32 v20, s10
	s_xor_b64 exec, exec, s[6:7]
	s_cbranch_execnz .LBB56_2864
.LBB56_814:
	s_or_b64 exec, exec, s[6:7]
	s_and_saveexec_b64 s[6:7], s[4:5]
	s_cbranch_execz .LBB56_816
.LBB56_815:
	v_bfe_u32 v20, v11, 8, 3
	v_ffbh_u32_e32 v22, v20
	v_min_u32_e32 v22, 32, v22
	v_lshrrev_b16_e32 v21, 3, v14
	v_subrev_u32_e32 v23, 28, v22
	v_and_b32_e32 v21, 15, v21
	v_lshlrev_b32_e32 v14, v23, v14
	v_sub_u32_e32 v22, 29, v22
	v_and_b32_e32 v14, 7, v14
	v_cmp_eq_u16_e32 vcc, 0, v21
	v_cndmask_b32_e32 v14, v20, v14, vcc
	v_cndmask_b32_e32 v20, v21, v22, vcc
	v_lshlrev_b32_e32 v21, 16, v11
	v_mov_b32_e32 v22, 0x3b800000
	v_lshlrev_b32_e32 v14, 20, v14
	v_and_b32_e32 v21, 0x80000000, v21
	v_lshl_add_u32 v20, v20, 23, v22
	v_or3_b32 v20, v21, v20, v14
.LBB56_816:
	s_or_b64 exec, exec, s[6:7]
	s_nop 0
	v_mfma_f32_16x16x4f32 a[0:3], v10, v20, a[0:3]
	s_movk_i32 s4, 0xff
	v_and_b32_sdwa v14, v15, s4 dst_sel:DWORD dst_unused:UNUSED_PAD src0_sel:WORD_1 src1_sel:DWORD
	s_movk_i32 s4, 0x7f
	v_cmp_lt_i16_e32 vcc, s4, v14
	s_mov_b64 s[4:5], 0
                                        ; implicit-def: $sgpr10
	s_and_saveexec_b64 s[6:7], vcc
	s_xor_b64 s[6:7], exec, s[6:7]
	s_cbranch_execnz .LBB56_2865
; %bb.817:
	s_or_saveexec_b64 s[6:7], s[6:7]
	v_mov_b32_e32 v10, s10
	s_xor_b64 exec, exec, s[6:7]
	s_cbranch_execnz .LBB56_2868
.LBB56_818:
	s_or_b64 exec, exec, s[6:7]
	s_and_saveexec_b64 s[6:7], s[4:5]
	s_cbranch_execz .LBB56_820
.LBB56_819:
	v_bfe_u32 v10, v15, 16, 3
	v_ffbh_u32_e32 v21, v10
	v_min_u32_e32 v21, 32, v21
	v_lshrrev_b32_e32 v14, 19, v15
	v_subrev_u32_e32 v22, 28, v21
	v_and_b32_e32 v14, 15, v14
	v_lshlrev_b32_sdwa v22, v22, v15 dst_sel:DWORD dst_unused:UNUSED_PAD src0_sel:DWORD src1_sel:WORD_1
	v_bfe_u32 v20, v15, 19, 4
	v_sub_u32_e32 v21, 29, v21
	v_and_b32_e32 v22, 7, v22
	v_cmp_eq_u16_e32 vcc, 0, v14
	v_cndmask_b32_e32 v10, v10, v22, vcc
	v_cndmask_b32_e32 v14, v20, v21, vcc
	v_lshlrev_b32_e32 v20, 8, v15
	v_mov_b32_e32 v21, 0x3b800000
	v_lshlrev_b32_e32 v10, 20, v10
	v_and_b32_e32 v20, 0x80000000, v20
	v_lshl_add_u32 v14, v14, 23, v21
	v_or3_b32 v10, v20, v14, v10
.LBB56_820:
	s_or_b64 exec, exec, s[6:7]
	s_movk_i32 s4, 0xff
	v_and_b32_sdwa v14, v11, s4 dst_sel:DWORD dst_unused:UNUSED_PAD src0_sel:WORD_1 src1_sel:DWORD
	s_movk_i32 s4, 0x7f
	v_cmp_lt_i16_e32 vcc, s4, v14
	s_mov_b64 s[4:5], 0
                                        ; implicit-def: $sgpr10
	s_and_saveexec_b64 s[6:7], vcc
	s_xor_b64 s[6:7], exec, s[6:7]
	s_cbranch_execnz .LBB56_2869
; %bb.821:
	s_or_saveexec_b64 s[6:7], s[6:7]
	v_mov_b32_e32 v20, s10
	s_xor_b64 exec, exec, s[6:7]
	s_cbranch_execnz .LBB56_2872
.LBB56_822:
	s_or_b64 exec, exec, s[6:7]
	s_and_saveexec_b64 s[6:7], s[4:5]
	s_cbranch_execz .LBB56_824
.LBB56_823:
	v_bfe_u32 v14, v11, 16, 3
	v_ffbh_u32_e32 v22, v14
	v_min_u32_e32 v22, 32, v22
	v_lshrrev_b32_e32 v20, 19, v11
	v_subrev_u32_e32 v23, 28, v22
	v_and_b32_e32 v20, 15, v20
	v_lshlrev_b32_sdwa v23, v23, v11 dst_sel:DWORD dst_unused:UNUSED_PAD src0_sel:DWORD src1_sel:WORD_1
	v_bfe_u32 v21, v11, 19, 4
	v_sub_u32_e32 v22, 29, v22
	v_and_b32_e32 v23, 7, v23
	v_cmp_eq_u16_e32 vcc, 0, v20
	v_cndmask_b32_e32 v14, v14, v23, vcc
	v_cndmask_b32_e32 v20, v21, v22, vcc
	v_lshlrev_b32_e32 v21, 8, v11
	v_mov_b32_e32 v22, 0x3b800000
	v_lshlrev_b32_e32 v14, 20, v14
	v_and_b32_e32 v21, 0x80000000, v21
	v_lshl_add_u32 v20, v20, 23, v22
	v_or3_b32 v20, v21, v20, v14
.LBB56_824:
	s_or_b64 exec, exec, s[6:7]
	s_nop 0
	v_mfma_f32_16x16x4f32 a[0:3], v10, v20, a[0:3]
	s_movk_i32 s4, 0x7f
	v_cmp_gt_i16_sdwa s[6:7], v15, s4 src0_sel:BYTE_3 src1_sel:DWORD
	s_mov_b64 s[4:5], 0
                                        ; implicit-def: $sgpr10
	s_and_saveexec_b64 s[8:9], s[6:7]
	s_xor_b64 s[6:7], exec, s[8:9]
	s_cbranch_execnz .LBB56_2873
; %bb.825:
	s_or_saveexec_b64 s[6:7], s[6:7]
	v_mov_b32_e32 v10, s10
	s_xor_b64 exec, exec, s[6:7]
	s_cbranch_execnz .LBB56_2876
.LBB56_826:
	s_or_b64 exec, exec, s[6:7]
	s_and_saveexec_b64 s[6:7], s[4:5]
	s_cbranch_execz .LBB56_828
.LBB56_827:
	v_bfe_u32 v10, v15, 24, 3
	v_ffbh_u32_e32 v22, v10
	v_min_u32_e32 v22, 32, v22
	v_lshrrev_b32_e32 v20, 27, v15
	v_subrev_u32_e32 v23, 28, v22
	v_and_b32_e32 v14, 0x80000000, v15
	v_and_b32_e32 v20, 15, v20
	v_bfe_u32 v21, v15, 27, 4
	v_lshlrev_b32_sdwa v15, v23, v15 dst_sel:DWORD dst_unused:UNUSED_PAD src0_sel:DWORD src1_sel:BYTE_3
	v_sub_u32_e32 v22, 29, v22
	v_and_b32_e32 v15, 7, v15
	v_cmp_eq_u16_e32 vcc, 0, v20
	v_cndmask_b32_e32 v10, v10, v15, vcc
	v_cndmask_b32_e32 v15, v21, v22, vcc
	v_mov_b32_e32 v20, 0x3b800000
	v_lshlrev_b32_e32 v10, 20, v10
	v_lshl_add_u32 v15, v15, 23, v20
	v_or3_b32 v10, v14, v15, v10
.LBB56_828:
	s_or_b64 exec, exec, s[6:7]
	s_movk_i32 s4, 0x7f
	v_cmp_gt_i16_sdwa s[6:7], v11, s4 src0_sel:BYTE_3 src1_sel:DWORD
	s_mov_b64 s[4:5], 0
                                        ; implicit-def: $sgpr10
	s_and_saveexec_b64 s[8:9], s[6:7]
	s_xor_b64 s[6:7], exec, s[8:9]
	s_cbranch_execnz .LBB56_2877
; %bb.829:
	s_or_saveexec_b64 s[6:7], s[6:7]
	v_mov_b32_e32 v14, s10
	s_xor_b64 exec, exec, s[6:7]
	s_cbranch_execnz .LBB56_2880
.LBB56_830:
	s_or_b64 exec, exec, s[6:7]
	s_and_saveexec_b64 s[6:7], s[4:5]
	s_cbranch_execz .LBB56_832
.LBB56_831:
	v_bfe_u32 v14, v11, 24, 3
	v_ffbh_u32_e32 v22, v14
	v_min_u32_e32 v22, 32, v22
	v_lshrrev_b32_e32 v20, 27, v11
	v_subrev_u32_e32 v23, 28, v22
	v_and_b32_e32 v15, 0x80000000, v11
	v_and_b32_e32 v20, 15, v20
	v_bfe_u32 v21, v11, 27, 4
	v_lshlrev_b32_sdwa v11, v23, v11 dst_sel:DWORD dst_unused:UNUSED_PAD src0_sel:DWORD src1_sel:BYTE_3
	v_sub_u32_e32 v22, 29, v22
	v_and_b32_e32 v11, 7, v11
	v_cmp_eq_u16_e32 vcc, 0, v20
	v_cndmask_b32_e32 v11, v14, v11, vcc
	v_cndmask_b32_e32 v14, v21, v22, vcc
	v_mov_b32_e32 v20, 0x3b800000
	v_lshlrev_b32_e32 v11, 20, v11
	v_lshl_add_u32 v14, v14, 23, v20
	v_or3_b32 v14, v15, v14, v11
.LBB56_832:
	s_or_b64 exec, exec, s[6:7]
	s_nop 0
	v_mfma_f32_16x16x4f32 a[0:3], v10, v14, a[0:3]
	s_movk_i32 s4, 0x7f
	v_cmp_gt_i16_sdwa s[6:7], v16, s4 src0_sel:BYTE_0 src1_sel:DWORD
	s_mov_b64 s[4:5], 0
                                        ; implicit-def: $sgpr10
	s_and_saveexec_b64 s[8:9], s[6:7]
	s_xor_b64 s[6:7], exec, s[8:9]
	s_cbranch_execnz .LBB56_2881
; %bb.833:
	s_or_saveexec_b64 s[6:7], s[6:7]
	v_mov_b32_e32 v10, s10
	s_xor_b64 exec, exec, s[6:7]
	s_cbranch_execnz .LBB56_2884
.LBB56_834:
	s_or_b64 exec, exec, s[6:7]
	s_and_saveexec_b64 s[6:7], s[4:5]
	s_cbranch_execz .LBB56_836
.LBB56_835:
	v_and_b32_e32 v10, 7, v16
	v_ffbh_u32_e32 v14, v10
	v_min_u32_e32 v14, 32, v14
	v_lshrrev_b16_e32 v11, 3, v16
	v_subrev_u32_e32 v15, 28, v14
	v_and_b32_e32 v11, 15, v11
	v_lshlrev_b32_e32 v15, v15, v16
	v_sub_u32_e32 v14, 29, v14
	v_and_b32_e32 v15, 7, v15
	v_cmp_eq_u16_e32 vcc, 0, v11
	v_cndmask_b32_e32 v10, v10, v15, vcc
	v_cndmask_b32_e32 v11, v11, v14, vcc
	v_lshlrev_b32_e32 v14, 24, v16
	v_mov_b32_e32 v15, 0x3b800000
	v_lshlrev_b32_e32 v10, 20, v10
	v_and_b32_e32 v14, 0x80000000, v14
	v_lshl_add_u32 v11, v11, 23, v15
	v_or3_b32 v10, v14, v11, v10
.LBB56_836:
	s_or_b64 exec, exec, s[6:7]
	s_movk_i32 s4, 0x7f
	v_cmp_gt_i16_sdwa s[6:7], v12, s4 src0_sel:BYTE_0 src1_sel:DWORD
	s_mov_b64 s[4:5], 0
                                        ; implicit-def: $sgpr10
	s_and_saveexec_b64 s[8:9], s[6:7]
	s_xor_b64 s[6:7], exec, s[8:9]
	s_cbranch_execnz .LBB56_2885
; %bb.837:
	s_or_saveexec_b64 s[6:7], s[6:7]
	v_mov_b32_e32 v11, s10
	s_xor_b64 exec, exec, s[6:7]
	s_cbranch_execnz .LBB56_2888
.LBB56_838:
	s_or_b64 exec, exec, s[6:7]
	s_and_saveexec_b64 s[6:7], s[4:5]
	s_cbranch_execz .LBB56_840
.LBB56_839:
	v_and_b32_e32 v11, 7, v12
	v_ffbh_u32_e32 v15, v11
	v_min_u32_e32 v15, 32, v15
	v_lshrrev_b16_e32 v14, 3, v12
	v_subrev_u32_e32 v20, 28, v15
	v_and_b32_e32 v14, 15, v14
	v_lshlrev_b32_e32 v20, v20, v12
	v_sub_u32_e32 v15, 29, v15
	v_and_b32_e32 v20, 7, v20
	v_cmp_eq_u16_e32 vcc, 0, v14
	v_cndmask_b32_e32 v11, v11, v20, vcc
	v_cndmask_b32_e32 v14, v14, v15, vcc
	v_lshlrev_b32_e32 v15, 24, v12
	v_mov_b32_e32 v20, 0x3b800000
	v_lshlrev_b32_e32 v11, 20, v11
	v_and_b32_e32 v15, 0x80000000, v15
	v_lshl_add_u32 v14, v14, 23, v20
	v_or3_b32 v11, v15, v14, v11
.LBB56_840:
	s_or_b64 exec, exec, s[6:7]
	s_nop 0
	v_mfma_f32_16x16x4f32 a[0:3], v10, v11, a[0:3]
	v_lshrrev_b32_e32 v11, 8, v16
	s_movk_i32 s4, 0x7f
	v_cmp_gt_i16_sdwa s[6:7], v11, s4 src0_sel:BYTE_0 src1_sel:DWORD
	s_mov_b64 s[4:5], 0
                                        ; implicit-def: $sgpr10
	s_and_saveexec_b64 s[8:9], s[6:7]
	s_xor_b64 s[6:7], exec, s[8:9]
	s_cbranch_execnz .LBB56_2889
; %bb.841:
	s_or_saveexec_b64 s[6:7], s[6:7]
	v_mov_b32_e32 v10, s10
	s_xor_b64 exec, exec, s[6:7]
	s_cbranch_execnz .LBB56_2892
.LBB56_842:
	s_or_b64 exec, exec, s[6:7]
	s_and_saveexec_b64 s[6:7], s[4:5]
	s_cbranch_execz .LBB56_844
.LBB56_843:
	v_bfe_u32 v10, v16, 8, 3
	v_ffbh_u32_e32 v15, v10
	v_min_u32_e32 v15, 32, v15
	v_lshrrev_b16_e32 v14, 3, v11
	v_subrev_u32_e32 v20, 28, v15
	v_and_b32_e32 v14, 15, v14
	v_lshlrev_b32_e32 v11, v20, v11
	v_sub_u32_e32 v15, 29, v15
	v_and_b32_e32 v11, 7, v11
	v_cmp_eq_u16_e32 vcc, 0, v14
	v_cndmask_b32_e32 v10, v10, v11, vcc
	v_cndmask_b32_e32 v11, v14, v15, vcc
	v_lshlrev_b32_e32 v14, 16, v16
	v_mov_b32_e32 v15, 0x3b800000
	v_lshlrev_b32_e32 v10, 20, v10
	v_and_b32_e32 v14, 0x80000000, v14
	v_lshl_add_u32 v11, v11, 23, v15
	v_or3_b32 v10, v14, v11, v10
.LBB56_844:
	s_or_b64 exec, exec, s[6:7]
	v_lshrrev_b32_e32 v11, 8, v12
	s_movk_i32 s4, 0x7f
	v_cmp_gt_i16_sdwa s[6:7], v11, s4 src0_sel:BYTE_0 src1_sel:DWORD
	s_mov_b64 s[4:5], 0
                                        ; implicit-def: $sgpr10
	s_and_saveexec_b64 s[8:9], s[6:7]
	s_xor_b64 s[6:7], exec, s[8:9]
	s_cbranch_execnz .LBB56_2893
; %bb.845:
	s_or_saveexec_b64 s[6:7], s[6:7]
	v_mov_b32_e32 v14, s10
	s_xor_b64 exec, exec, s[6:7]
	s_cbranch_execnz .LBB56_2896
.LBB56_846:
	s_or_b64 exec, exec, s[6:7]
	s_and_saveexec_b64 s[6:7], s[4:5]
	s_cbranch_execz .LBB56_848
.LBB56_847:
	v_bfe_u32 v14, v12, 8, 3
	v_ffbh_u32_e32 v20, v14
	v_min_u32_e32 v20, 32, v20
	v_lshrrev_b16_e32 v15, 3, v11
	v_subrev_u32_e32 v21, 28, v20
	v_and_b32_e32 v15, 15, v15
	v_lshlrev_b32_e32 v11, v21, v11
	v_sub_u32_e32 v20, 29, v20
	v_and_b32_e32 v11, 7, v11
	v_cmp_eq_u16_e32 vcc, 0, v15
	v_cndmask_b32_e32 v11, v14, v11, vcc
	v_cndmask_b32_e32 v14, v15, v20, vcc
	v_lshlrev_b32_e32 v15, 16, v12
	v_mov_b32_e32 v20, 0x3b800000
	v_lshlrev_b32_e32 v11, 20, v11
	v_and_b32_e32 v15, 0x80000000, v15
	v_lshl_add_u32 v14, v14, 23, v20
	v_or3_b32 v14, v15, v14, v11
.LBB56_848:
	s_or_b64 exec, exec, s[6:7]
	s_nop 0
	v_mfma_f32_16x16x4f32 a[0:3], v10, v14, a[0:3]
	s_movk_i32 s4, 0xff
	v_and_b32_sdwa v11, v16, s4 dst_sel:DWORD dst_unused:UNUSED_PAD src0_sel:WORD_1 src1_sel:DWORD
	s_movk_i32 s4, 0x7f
	v_cmp_lt_i16_e32 vcc, s4, v11
	s_mov_b64 s[4:5], 0
                                        ; implicit-def: $sgpr10
	s_and_saveexec_b64 s[6:7], vcc
	s_xor_b64 s[6:7], exec, s[6:7]
	s_cbranch_execnz .LBB56_2897
; %bb.849:
	s_or_saveexec_b64 s[6:7], s[6:7]
	v_mov_b32_e32 v10, s10
	s_xor_b64 exec, exec, s[6:7]
	s_cbranch_execnz .LBB56_2900
.LBB56_850:
	s_or_b64 exec, exec, s[6:7]
	s_and_saveexec_b64 s[6:7], s[4:5]
	s_cbranch_execz .LBB56_852
.LBB56_851:
	v_bfe_u32 v10, v16, 16, 3
	v_ffbh_u32_e32 v15, v10
	v_min_u32_e32 v15, 32, v15
	v_lshrrev_b32_e32 v11, 19, v16
	v_subrev_u32_e32 v20, 28, v15
	v_and_b32_e32 v11, 15, v11
	v_lshlrev_b32_sdwa v20, v20, v16 dst_sel:DWORD dst_unused:UNUSED_PAD src0_sel:DWORD src1_sel:WORD_1
	v_bfe_u32 v14, v16, 19, 4
	v_sub_u32_e32 v15, 29, v15
	v_and_b32_e32 v20, 7, v20
	v_cmp_eq_u16_e32 vcc, 0, v11
	v_cndmask_b32_e32 v10, v10, v20, vcc
	v_cndmask_b32_e32 v11, v14, v15, vcc
	v_lshlrev_b32_e32 v14, 8, v16
	v_mov_b32_e32 v15, 0x3b800000
	v_lshlrev_b32_e32 v10, 20, v10
	v_and_b32_e32 v14, 0x80000000, v14
	v_lshl_add_u32 v11, v11, 23, v15
	v_or3_b32 v10, v14, v11, v10
.LBB56_852:
	s_or_b64 exec, exec, s[6:7]
	s_movk_i32 s4, 0xff
	v_and_b32_sdwa v11, v12, s4 dst_sel:DWORD dst_unused:UNUSED_PAD src0_sel:WORD_1 src1_sel:DWORD
	s_movk_i32 s4, 0x7f
	v_cmp_lt_i16_e32 vcc, s4, v11
	s_mov_b64 s[4:5], 0
                                        ; implicit-def: $sgpr10
	s_and_saveexec_b64 s[6:7], vcc
	s_xor_b64 s[6:7], exec, s[6:7]
	s_cbranch_execnz .LBB56_2901
; %bb.853:
	s_or_saveexec_b64 s[6:7], s[6:7]
	v_mov_b32_e32 v14, s10
	s_xor_b64 exec, exec, s[6:7]
	s_cbranch_execnz .LBB56_2904
.LBB56_854:
	s_or_b64 exec, exec, s[6:7]
	s_and_saveexec_b64 s[6:7], s[4:5]
	s_cbranch_execz .LBB56_856
.LBB56_855:
	v_bfe_u32 v11, v12, 16, 3
	v_ffbh_u32_e32 v20, v11
	v_min_u32_e32 v20, 32, v20
	v_lshrrev_b32_e32 v14, 19, v12
	v_subrev_u32_e32 v21, 28, v20
	v_and_b32_e32 v14, 15, v14
	v_lshlrev_b32_sdwa v21, v21, v12 dst_sel:DWORD dst_unused:UNUSED_PAD src0_sel:DWORD src1_sel:WORD_1
	v_bfe_u32 v15, v12, 19, 4
	v_sub_u32_e32 v20, 29, v20
	v_and_b32_e32 v21, 7, v21
	v_cmp_eq_u16_e32 vcc, 0, v14
	v_cndmask_b32_e32 v11, v11, v21, vcc
	v_cndmask_b32_e32 v14, v15, v20, vcc
	v_lshlrev_b32_e32 v15, 8, v12
	v_mov_b32_e32 v20, 0x3b800000
	v_lshlrev_b32_e32 v11, 20, v11
	v_and_b32_e32 v15, 0x80000000, v15
	v_lshl_add_u32 v14, v14, 23, v20
	v_or3_b32 v14, v15, v14, v11
.LBB56_856:
	s_or_b64 exec, exec, s[6:7]
	s_nop 0
	v_mfma_f32_16x16x4f32 a[0:3], v10, v14, a[0:3]
	s_movk_i32 s4, 0x7f
	v_cmp_gt_i16_sdwa s[6:7], v16, s4 src0_sel:BYTE_3 src1_sel:DWORD
	s_mov_b64 s[4:5], 0
                                        ; implicit-def: $sgpr10
	s_and_saveexec_b64 s[8:9], s[6:7]
	s_xor_b64 s[6:7], exec, s[8:9]
	s_cbranch_execnz .LBB56_2905
; %bb.857:
	s_or_saveexec_b64 s[6:7], s[6:7]
	v_mov_b32_e32 v10, s10
	s_xor_b64 exec, exec, s[6:7]
	s_cbranch_execnz .LBB56_2908
.LBB56_858:
	s_or_b64 exec, exec, s[6:7]
	s_and_saveexec_b64 s[6:7], s[4:5]
	s_cbranch_execz .LBB56_860
.LBB56_859:
	v_bfe_u32 v10, v16, 24, 3
	v_ffbh_u32_e32 v20, v10
	v_min_u32_e32 v20, 32, v20
	v_lshrrev_b32_e32 v14, 27, v16
	v_subrev_u32_e32 v21, 28, v20
	v_and_b32_e32 v11, 0x80000000, v16
	v_and_b32_e32 v14, 15, v14
	v_bfe_u32 v15, v16, 27, 4
	v_lshlrev_b32_sdwa v16, v21, v16 dst_sel:DWORD dst_unused:UNUSED_PAD src0_sel:DWORD src1_sel:BYTE_3
	v_sub_u32_e32 v20, 29, v20
	v_and_b32_e32 v16, 7, v16
	v_cmp_eq_u16_e32 vcc, 0, v14
	v_cndmask_b32_e32 v10, v10, v16, vcc
	v_cndmask_b32_e32 v14, v15, v20, vcc
	v_mov_b32_e32 v15, 0x3b800000
	v_lshlrev_b32_e32 v10, 20, v10
	v_lshl_add_u32 v14, v14, 23, v15
	v_or3_b32 v10, v11, v14, v10
.LBB56_860:
	s_or_b64 exec, exec, s[6:7]
	s_movk_i32 s4, 0x7f
	v_cmp_gt_i16_sdwa s[6:7], v12, s4 src0_sel:BYTE_3 src1_sel:DWORD
	s_mov_b64 s[4:5], 0
                                        ; implicit-def: $sgpr10
	s_and_saveexec_b64 s[8:9], s[6:7]
	s_xor_b64 s[6:7], exec, s[8:9]
	s_cbranch_execnz .LBB56_2909
; %bb.861:
	s_or_saveexec_b64 s[6:7], s[6:7]
	v_mov_b32_e32 v11, s10
	s_xor_b64 exec, exec, s[6:7]
	s_cbranch_execnz .LBB56_2912
.LBB56_862:
	s_or_b64 exec, exec, s[6:7]
	s_and_saveexec_b64 s[6:7], s[4:5]
	s_cbranch_execz .LBB56_864
.LBB56_863:
	v_bfe_u32 v11, v12, 24, 3
	v_ffbh_u32_e32 v20, v11
	v_min_u32_e32 v20, 32, v20
	v_lshrrev_b32_e32 v15, 27, v12
	v_subrev_u32_e32 v21, 28, v20
	v_and_b32_e32 v14, 0x80000000, v12
	v_and_b32_e32 v15, 15, v15
	v_bfe_u32 v16, v12, 27, 4
	v_lshlrev_b32_sdwa v12, v21, v12 dst_sel:DWORD dst_unused:UNUSED_PAD src0_sel:DWORD src1_sel:BYTE_3
	v_sub_u32_e32 v20, 29, v20
	v_and_b32_e32 v12, 7, v12
	v_cmp_eq_u16_e32 vcc, 0, v15
	v_cndmask_b32_e32 v11, v11, v12, vcc
	v_cndmask_b32_e32 v12, v16, v20, vcc
	v_mov_b32_e32 v15, 0x3b800000
	v_lshlrev_b32_e32 v11, 20, v11
	v_lshl_add_u32 v12, v12, 23, v15
	v_or3_b32 v11, v14, v12, v11
.LBB56_864:
	s_or_b64 exec, exec, s[6:7]
	s_nop 0
	v_mfma_f32_16x16x4f32 a[0:3], v10, v11, a[0:3]
	s_movk_i32 s4, 0x7f
	v_cmp_gt_i16_sdwa s[6:7], v17, s4 src0_sel:BYTE_0 src1_sel:DWORD
	s_mov_b64 s[4:5], 0
                                        ; implicit-def: $sgpr10
	s_and_saveexec_b64 s[8:9], s[6:7]
	s_xor_b64 s[6:7], exec, s[8:9]
	s_cbranch_execnz .LBB56_2913
; %bb.865:
	s_or_saveexec_b64 s[6:7], s[6:7]
	v_mov_b32_e32 v10, s10
	s_xor_b64 exec, exec, s[6:7]
	s_cbranch_execnz .LBB56_2916
.LBB56_866:
	s_or_b64 exec, exec, s[6:7]
	s_and_saveexec_b64 s[6:7], s[4:5]
	s_cbranch_execz .LBB56_868
.LBB56_867:
	v_and_b32_e32 v10, 7, v17
	v_ffbh_u32_e32 v12, v10
	v_min_u32_e32 v12, 32, v12
	v_lshrrev_b16_e32 v11, 3, v17
	v_subrev_u32_e32 v14, 28, v12
	v_and_b32_e32 v11, 15, v11
	v_lshlrev_b32_e32 v14, v14, v17
	v_sub_u32_e32 v12, 29, v12
	v_and_b32_e32 v14, 7, v14
	v_cmp_eq_u16_e32 vcc, 0, v11
	v_cndmask_b32_e32 v10, v10, v14, vcc
	v_cndmask_b32_e32 v11, v11, v12, vcc
	v_lshlrev_b32_e32 v12, 24, v17
	v_mov_b32_e32 v14, 0x3b800000
	v_lshlrev_b32_e32 v10, 20, v10
	v_and_b32_e32 v12, 0x80000000, v12
	v_lshl_add_u32 v11, v11, 23, v14
	v_or3_b32 v10, v12, v11, v10
.LBB56_868:
	s_or_b64 exec, exec, s[6:7]
	s_movk_i32 s4, 0x7f
	v_cmp_gt_i16_sdwa s[6:7], v13, s4 src0_sel:BYTE_0 src1_sel:DWORD
	s_mov_b64 s[4:5], 0
                                        ; implicit-def: $sgpr10
	s_and_saveexec_b64 s[8:9], s[6:7]
	s_xor_b64 s[6:7], exec, s[8:9]
	s_cbranch_execnz .LBB56_2917
; %bb.869:
	s_or_saveexec_b64 s[6:7], s[6:7]
	v_mov_b32_e32 v11, s10
	s_xor_b64 exec, exec, s[6:7]
	s_cbranch_execnz .LBB56_2920
.LBB56_870:
	s_or_b64 exec, exec, s[6:7]
	s_and_saveexec_b64 s[6:7], s[4:5]
	s_cbranch_execz .LBB56_872
.LBB56_871:
	v_and_b32_e32 v11, 7, v13
	v_ffbh_u32_e32 v14, v11
	v_min_u32_e32 v14, 32, v14
	v_lshrrev_b16_e32 v12, 3, v13
	v_subrev_u32_e32 v15, 28, v14
	v_and_b32_e32 v12, 15, v12
	v_lshlrev_b32_e32 v15, v15, v13
	v_sub_u32_e32 v14, 29, v14
	v_and_b32_e32 v15, 7, v15
	v_cmp_eq_u16_e32 vcc, 0, v12
	v_cndmask_b32_e32 v11, v11, v15, vcc
	v_cndmask_b32_e32 v12, v12, v14, vcc
	v_lshlrev_b32_e32 v14, 24, v13
	v_mov_b32_e32 v15, 0x3b800000
	v_lshlrev_b32_e32 v11, 20, v11
	v_and_b32_e32 v14, 0x80000000, v14
	v_lshl_add_u32 v12, v12, 23, v15
	v_or3_b32 v11, v14, v12, v11
.LBB56_872:
	s_or_b64 exec, exec, s[6:7]
	s_nop 0
	v_mfma_f32_16x16x4f32 a[0:3], v10, v11, a[0:3]
	v_lshrrev_b32_e32 v11, 8, v17
	s_movk_i32 s4, 0x7f
	v_cmp_gt_i16_sdwa s[6:7], v11, s4 src0_sel:BYTE_0 src1_sel:DWORD
	s_mov_b64 s[4:5], 0
                                        ; implicit-def: $sgpr10
	s_and_saveexec_b64 s[8:9], s[6:7]
	s_xor_b64 s[6:7], exec, s[8:9]
	s_cbranch_execnz .LBB56_2921
; %bb.873:
	s_or_saveexec_b64 s[6:7], s[6:7]
	v_mov_b32_e32 v10, s10
	s_xor_b64 exec, exec, s[6:7]
	s_cbranch_execnz .LBB56_2924
.LBB56_874:
	s_or_b64 exec, exec, s[6:7]
	s_and_saveexec_b64 s[6:7], s[4:5]
	s_cbranch_execz .LBB56_876
.LBB56_875:
	v_bfe_u32 v10, v17, 8, 3
	v_ffbh_u32_e32 v14, v10
	v_min_u32_e32 v14, 32, v14
	v_lshrrev_b16_e32 v12, 3, v11
	v_subrev_u32_e32 v15, 28, v14
	v_and_b32_e32 v12, 15, v12
	v_lshlrev_b32_e32 v11, v15, v11
	v_sub_u32_e32 v14, 29, v14
	v_and_b32_e32 v11, 7, v11
	v_cmp_eq_u16_e32 vcc, 0, v12
	v_cndmask_b32_e32 v10, v10, v11, vcc
	v_cndmask_b32_e32 v11, v12, v14, vcc
	v_lshlrev_b32_e32 v12, 16, v17
	v_mov_b32_e32 v14, 0x3b800000
	v_lshlrev_b32_e32 v10, 20, v10
	v_and_b32_e32 v12, 0x80000000, v12
	v_lshl_add_u32 v11, v11, 23, v14
	v_or3_b32 v10, v12, v11, v10
.LBB56_876:
	s_or_b64 exec, exec, s[6:7]
	v_lshrrev_b32_e32 v11, 8, v13
	s_movk_i32 s4, 0x7f
	v_cmp_gt_i16_sdwa s[6:7], v11, s4 src0_sel:BYTE_0 src1_sel:DWORD
	s_mov_b64 s[4:5], 0
                                        ; implicit-def: $sgpr10
	s_and_saveexec_b64 s[8:9], s[6:7]
	s_xor_b64 s[6:7], exec, s[8:9]
	s_cbranch_execnz .LBB56_2925
; %bb.877:
	s_or_saveexec_b64 s[6:7], s[6:7]
	v_mov_b32_e32 v12, s10
	s_xor_b64 exec, exec, s[6:7]
	s_cbranch_execnz .LBB56_2928
.LBB56_878:
	s_or_b64 exec, exec, s[6:7]
	s_and_saveexec_b64 s[6:7], s[4:5]
	s_cbranch_execz .LBB56_880
.LBB56_879:
	v_bfe_u32 v12, v13, 8, 3
	v_ffbh_u32_e32 v15, v12
	v_min_u32_e32 v15, 32, v15
	v_lshrrev_b16_e32 v14, 3, v11
	v_subrev_u32_e32 v16, 28, v15
	v_and_b32_e32 v14, 15, v14
	v_lshlrev_b32_e32 v11, v16, v11
	v_sub_u32_e32 v15, 29, v15
	v_and_b32_e32 v11, 7, v11
	v_cmp_eq_u16_e32 vcc, 0, v14
	v_cndmask_b32_e32 v11, v12, v11, vcc
	v_cndmask_b32_e32 v12, v14, v15, vcc
	v_lshlrev_b32_e32 v14, 16, v13
	v_mov_b32_e32 v15, 0x3b800000
	v_lshlrev_b32_e32 v11, 20, v11
	v_and_b32_e32 v14, 0x80000000, v14
	v_lshl_add_u32 v12, v12, 23, v15
	v_or3_b32 v12, v14, v12, v11
.LBB56_880:
	s_or_b64 exec, exec, s[6:7]
	s_nop 0
	v_mfma_f32_16x16x4f32 a[0:3], v10, v12, a[0:3]
	s_movk_i32 s4, 0xff
	v_and_b32_sdwa v11, v17, s4 dst_sel:DWORD dst_unused:UNUSED_PAD src0_sel:WORD_1 src1_sel:DWORD
	s_movk_i32 s4, 0x7f
	v_cmp_lt_i16_e32 vcc, s4, v11
	s_mov_b64 s[4:5], 0
                                        ; implicit-def: $sgpr10
	s_and_saveexec_b64 s[6:7], vcc
	s_xor_b64 s[6:7], exec, s[6:7]
	s_cbranch_execnz .LBB56_2929
; %bb.881:
	s_or_saveexec_b64 s[6:7], s[6:7]
	v_mov_b32_e32 v10, s10
	s_xor_b64 exec, exec, s[6:7]
	s_cbranch_execnz .LBB56_2932
.LBB56_882:
	s_or_b64 exec, exec, s[6:7]
	s_and_saveexec_b64 s[6:7], s[4:5]
	s_cbranch_execz .LBB56_884
.LBB56_883:
	v_bfe_u32 v10, v17, 16, 3
	v_ffbh_u32_e32 v14, v10
	v_min_u32_e32 v14, 32, v14
	v_lshrrev_b32_e32 v11, 19, v17
	v_subrev_u32_e32 v15, 28, v14
	v_and_b32_e32 v11, 15, v11
	v_lshlrev_b32_sdwa v15, v15, v17 dst_sel:DWORD dst_unused:UNUSED_PAD src0_sel:DWORD src1_sel:WORD_1
	v_bfe_u32 v12, v17, 19, 4
	v_sub_u32_e32 v14, 29, v14
	v_and_b32_e32 v15, 7, v15
	v_cmp_eq_u16_e32 vcc, 0, v11
	v_cndmask_b32_e32 v10, v10, v15, vcc
	v_cndmask_b32_e32 v11, v12, v14, vcc
	v_lshlrev_b32_e32 v12, 8, v17
	v_mov_b32_e32 v14, 0x3b800000
	v_lshlrev_b32_e32 v10, 20, v10
	v_and_b32_e32 v12, 0x80000000, v12
	v_lshl_add_u32 v11, v11, 23, v14
	v_or3_b32 v10, v12, v11, v10
.LBB56_884:
	s_or_b64 exec, exec, s[6:7]
	s_movk_i32 s4, 0xff
	v_and_b32_sdwa v11, v13, s4 dst_sel:DWORD dst_unused:UNUSED_PAD src0_sel:WORD_1 src1_sel:DWORD
	s_movk_i32 s4, 0x7f
	v_cmp_lt_i16_e32 vcc, s4, v11
	s_mov_b64 s[4:5], 0
                                        ; implicit-def: $sgpr10
	s_and_saveexec_b64 s[6:7], vcc
	s_xor_b64 s[6:7], exec, s[6:7]
	s_cbranch_execnz .LBB56_2933
; %bb.885:
	s_or_saveexec_b64 s[6:7], s[6:7]
	v_mov_b32_e32 v12, s10
	s_xor_b64 exec, exec, s[6:7]
	s_cbranch_execnz .LBB56_2936
.LBB56_886:
	s_or_b64 exec, exec, s[6:7]
	s_and_saveexec_b64 s[6:7], s[4:5]
	s_cbranch_execz .LBB56_888
.LBB56_887:
	v_bfe_u32 v11, v13, 16, 3
	v_ffbh_u32_e32 v15, v11
	v_min_u32_e32 v15, 32, v15
	v_lshrrev_b32_e32 v12, 19, v13
	v_subrev_u32_e32 v16, 28, v15
	v_and_b32_e32 v12, 15, v12
	v_lshlrev_b32_sdwa v16, v16, v13 dst_sel:DWORD dst_unused:UNUSED_PAD src0_sel:DWORD src1_sel:WORD_1
	v_bfe_u32 v14, v13, 19, 4
	v_sub_u32_e32 v15, 29, v15
	v_and_b32_e32 v16, 7, v16
	v_cmp_eq_u16_e32 vcc, 0, v12
	v_cndmask_b32_e32 v11, v11, v16, vcc
	v_cndmask_b32_e32 v12, v14, v15, vcc
	v_lshlrev_b32_e32 v14, 8, v13
	v_mov_b32_e32 v15, 0x3b800000
	v_lshlrev_b32_e32 v11, 20, v11
	v_and_b32_e32 v14, 0x80000000, v14
	v_lshl_add_u32 v12, v12, 23, v15
	v_or3_b32 v12, v14, v12, v11
.LBB56_888:
	s_or_b64 exec, exec, s[6:7]
	s_nop 0
	v_mfma_f32_16x16x4f32 a[0:3], v10, v12, a[0:3]
	s_movk_i32 s4, 0x7f
	v_cmp_gt_i16_sdwa s[6:7], v17, s4 src0_sel:BYTE_3 src1_sel:DWORD
	s_mov_b64 s[4:5], 0
                                        ; implicit-def: $sgpr10
	s_and_saveexec_b64 s[8:9], s[6:7]
	s_xor_b64 s[6:7], exec, s[8:9]
	s_cbranch_execnz .LBB56_2937
; %bb.889:
	s_or_saveexec_b64 s[6:7], s[6:7]
	v_mov_b32_e32 v10, s10
	s_xor_b64 exec, exec, s[6:7]
	s_cbranch_execnz .LBB56_2940
.LBB56_890:
	s_or_b64 exec, exec, s[6:7]
	s_and_saveexec_b64 s[6:7], s[4:5]
	s_cbranch_execz .LBB56_892
.LBB56_891:
	v_bfe_u32 v10, v17, 24, 3
	v_ffbh_u32_e32 v15, v10
	v_min_u32_e32 v15, 32, v15
	v_lshrrev_b32_e32 v12, 27, v17
	v_subrev_u32_e32 v16, 28, v15
	v_and_b32_e32 v12, 15, v12
	v_lshlrev_b32_sdwa v16, v16, v17 dst_sel:DWORD dst_unused:UNUSED_PAD src0_sel:DWORD src1_sel:BYTE_3
	v_bfe_u32 v14, v17, 27, 4
	v_sub_u32_e32 v15, 29, v15
	v_and_b32_e32 v16, 7, v16
	v_cmp_eq_u16_e32 vcc, 0, v12
	v_cndmask_b32_e32 v10, v10, v16, vcc
	v_cndmask_b32_e32 v12, v14, v15, vcc
	v_mov_b32_e32 v14, 0x3b800000
	v_and_b32_e32 v11, 0x80000000, v17
	v_lshlrev_b32_e32 v10, 20, v10
	v_lshl_add_u32 v12, v12, 23, v14
	v_or3_b32 v10, v11, v12, v10
.LBB56_892:
	s_or_b64 exec, exec, s[6:7]
	s_movk_i32 s4, 0x7f
	v_cmp_gt_i16_sdwa s[6:7], v13, s4 src0_sel:BYTE_3 src1_sel:DWORD
	s_mov_b64 s[4:5], 0
                                        ; implicit-def: $sgpr10
	s_and_saveexec_b64 s[8:9], s[6:7]
	s_xor_b64 s[6:7], exec, s[8:9]
	s_cbranch_execnz .LBB56_2941
; %bb.893:
	s_or_saveexec_b64 s[6:7], s[6:7]
	v_mov_b32_e32 v11, s10
	s_xor_b64 exec, exec, s[6:7]
	s_cbranch_execnz .LBB56_2944
.LBB56_894:
	s_or_b64 exec, exec, s[6:7]
	s_and_saveexec_b64 s[6:7], s[4:5]
	s_cbranch_execz .LBB56_896
.LBB56_895:
	v_bfe_u32 v11, v13, 24, 3
	v_ffbh_u32_e32 v16, v11
	v_min_u32_e32 v16, 32, v16
	v_lshrrev_b32_e32 v14, 27, v13
	v_subrev_u32_e32 v17, 28, v16
	v_and_b32_e32 v12, 0x80000000, v13
	v_and_b32_e32 v14, 15, v14
	v_bfe_u32 v15, v13, 27, 4
	v_lshlrev_b32_sdwa v13, v17, v13 dst_sel:DWORD dst_unused:UNUSED_PAD src0_sel:DWORD src1_sel:BYTE_3
	v_sub_u32_e32 v16, 29, v16
	v_and_b32_e32 v13, 7, v13
	v_cmp_eq_u16_e32 vcc, 0, v14
	v_cndmask_b32_e32 v11, v11, v13, vcc
	v_cndmask_b32_e32 v13, v15, v16, vcc
	v_mov_b32_e32 v14, 0x3b800000
	v_lshlrev_b32_e32 v11, 20, v11
	v_lshl_add_u32 v13, v13, 23, v14
	v_or3_b32 v11, v12, v13, v11
.LBB56_896:
	s_or_b64 exec, exec, s[6:7]
	s_nop 0
	v_mfma_f32_16x16x4f32 a[0:3], v10, v11, a[0:3]
	s_movk_i32 s4, 0x7f
	v_cmp_gt_i16_sdwa s[6:7], v6, s4 src0_sel:BYTE_0 src1_sel:DWORD
	s_mov_b64 s[4:5], 0
                                        ; implicit-def: $sgpr10
	s_and_saveexec_b64 s[8:9], s[6:7]
	s_xor_b64 s[6:7], exec, s[8:9]
	s_cbranch_execnz .LBB56_2945
; %bb.897:
	s_or_saveexec_b64 s[6:7], s[6:7]
	v_mov_b32_e32 v10, s10
	s_xor_b64 exec, exec, s[6:7]
	s_cbranch_execnz .LBB56_2948
.LBB56_898:
	s_or_b64 exec, exec, s[6:7]
	s_and_saveexec_b64 s[6:7], s[4:5]
	s_cbranch_execz .LBB56_900
.LBB56_899:
	v_and_b32_e32 v10, 7, v6
	v_ffbh_u32_e32 v12, v10
	v_min_u32_e32 v12, 32, v12
	v_lshrrev_b16_e32 v11, 3, v6
	v_subrev_u32_e32 v13, 28, v12
	v_and_b32_e32 v11, 15, v11
	v_lshlrev_b32_e32 v13, v13, v6
	v_sub_u32_e32 v12, 29, v12
	v_and_b32_e32 v13, 7, v13
	v_cmp_eq_u16_e32 vcc, 0, v11
	v_cndmask_b32_e32 v10, v10, v13, vcc
	v_cndmask_b32_e32 v11, v11, v12, vcc
	v_lshlrev_b32_e32 v12, 24, v6
	v_mov_b32_e32 v13, 0x3b800000
	v_lshlrev_b32_e32 v10, 20, v10
	v_and_b32_e32 v12, 0x80000000, v12
	v_lshl_add_u32 v11, v11, 23, v13
	v_or3_b32 v10, v12, v11, v10
.LBB56_900:
	s_or_b64 exec, exec, s[6:7]
	s_movk_i32 s4, 0x7f
	v_cmp_gt_i16_sdwa s[6:7], v2, s4 src0_sel:BYTE_0 src1_sel:DWORD
	s_mov_b64 s[4:5], 0
                                        ; implicit-def: $sgpr10
	s_and_saveexec_b64 s[8:9], s[6:7]
	s_xor_b64 s[6:7], exec, s[8:9]
	s_cbranch_execnz .LBB56_2949
; %bb.901:
	s_or_saveexec_b64 s[6:7], s[6:7]
	v_mov_b32_e32 v11, s10
	s_xor_b64 exec, exec, s[6:7]
	s_cbranch_execnz .LBB56_2952
.LBB56_902:
	s_or_b64 exec, exec, s[6:7]
	s_and_saveexec_b64 s[6:7], s[4:5]
	s_cbranch_execz .LBB56_904
.LBB56_903:
	v_and_b32_e32 v11, 7, v2
	v_ffbh_u32_e32 v13, v11
	v_min_u32_e32 v13, 32, v13
	v_lshrrev_b16_e32 v12, 3, v2
	v_subrev_u32_e32 v14, 28, v13
	v_and_b32_e32 v12, 15, v12
	v_lshlrev_b32_e32 v14, v14, v2
	v_sub_u32_e32 v13, 29, v13
	v_and_b32_e32 v14, 7, v14
	v_cmp_eq_u16_e32 vcc, 0, v12
	v_cndmask_b32_e32 v11, v11, v14, vcc
	v_cndmask_b32_e32 v12, v12, v13, vcc
	v_lshlrev_b32_e32 v13, 24, v2
	v_mov_b32_e32 v14, 0x3b800000
	v_lshlrev_b32_e32 v11, 20, v11
	v_and_b32_e32 v13, 0x80000000, v13
	v_lshl_add_u32 v12, v12, 23, v14
	v_or3_b32 v11, v13, v12, v11
.LBB56_904:
	s_or_b64 exec, exec, s[6:7]
	s_nop 0
	v_mfma_f32_16x16x4f32 a[0:3], v10, v11, a[0:3]
	v_lshrrev_b32_e32 v11, 8, v6
	s_movk_i32 s4, 0x7f
	v_cmp_gt_i16_sdwa s[6:7], v11, s4 src0_sel:BYTE_0 src1_sel:DWORD
	s_mov_b64 s[4:5], 0
                                        ; implicit-def: $sgpr10
	s_and_saveexec_b64 s[8:9], s[6:7]
	s_xor_b64 s[6:7], exec, s[8:9]
	s_cbranch_execnz .LBB56_2953
; %bb.905:
	s_or_saveexec_b64 s[6:7], s[6:7]
	v_mov_b32_e32 v10, s10
	s_xor_b64 exec, exec, s[6:7]
	s_cbranch_execnz .LBB56_2956
.LBB56_906:
	s_or_b64 exec, exec, s[6:7]
	s_and_saveexec_b64 s[6:7], s[4:5]
	s_cbranch_execz .LBB56_908
.LBB56_907:
	v_bfe_u32 v10, v6, 8, 3
	v_ffbh_u32_e32 v13, v10
	v_min_u32_e32 v13, 32, v13
	v_lshrrev_b16_e32 v12, 3, v11
	v_subrev_u32_e32 v14, 28, v13
	v_and_b32_e32 v12, 15, v12
	v_lshlrev_b32_e32 v11, v14, v11
	v_sub_u32_e32 v13, 29, v13
	v_and_b32_e32 v11, 7, v11
	v_cmp_eq_u16_e32 vcc, 0, v12
	v_cndmask_b32_e32 v10, v10, v11, vcc
	v_cndmask_b32_e32 v11, v12, v13, vcc
	v_lshlrev_b32_e32 v12, 16, v6
	v_mov_b32_e32 v13, 0x3b800000
	v_lshlrev_b32_e32 v10, 20, v10
	v_and_b32_e32 v12, 0x80000000, v12
	v_lshl_add_u32 v11, v11, 23, v13
	v_or3_b32 v10, v12, v11, v10
.LBB56_908:
	s_or_b64 exec, exec, s[6:7]
	v_lshrrev_b32_e32 v11, 8, v2
	s_movk_i32 s4, 0x7f
	v_cmp_gt_i16_sdwa s[6:7], v11, s4 src0_sel:BYTE_0 src1_sel:DWORD
	s_mov_b64 s[4:5], 0
                                        ; implicit-def: $sgpr10
	s_and_saveexec_b64 s[8:9], s[6:7]
	s_xor_b64 s[6:7], exec, s[8:9]
	s_cbranch_execnz .LBB56_2957
; %bb.909:
	s_or_saveexec_b64 s[6:7], s[6:7]
	v_mov_b32_e32 v12, s10
	s_xor_b64 exec, exec, s[6:7]
	s_cbranch_execnz .LBB56_2960
.LBB56_910:
	s_or_b64 exec, exec, s[6:7]
	s_and_saveexec_b64 s[6:7], s[4:5]
	s_cbranch_execz .LBB56_912
.LBB56_911:
	v_bfe_u32 v12, v2, 8, 3
	v_ffbh_u32_e32 v14, v12
	v_min_u32_e32 v14, 32, v14
	v_lshrrev_b16_e32 v13, 3, v11
	v_subrev_u32_e32 v15, 28, v14
	v_and_b32_e32 v13, 15, v13
	v_lshlrev_b32_e32 v11, v15, v11
	v_sub_u32_e32 v14, 29, v14
	v_and_b32_e32 v11, 7, v11
	v_cmp_eq_u16_e32 vcc, 0, v13
	v_cndmask_b32_e32 v11, v12, v11, vcc
	v_cndmask_b32_e32 v12, v13, v14, vcc
	v_lshlrev_b32_e32 v13, 16, v2
	v_mov_b32_e32 v14, 0x3b800000
	v_lshlrev_b32_e32 v11, 20, v11
	v_and_b32_e32 v13, 0x80000000, v13
	v_lshl_add_u32 v12, v12, 23, v14
	v_or3_b32 v12, v13, v12, v11
.LBB56_912:
	s_or_b64 exec, exec, s[6:7]
	s_nop 0
	v_mfma_f32_16x16x4f32 a[0:3], v10, v12, a[0:3]
	s_movk_i32 s4, 0xff
	v_and_b32_sdwa v11, v6, s4 dst_sel:DWORD dst_unused:UNUSED_PAD src0_sel:WORD_1 src1_sel:DWORD
	s_movk_i32 s4, 0x7f
	v_cmp_lt_i16_e32 vcc, s4, v11
	s_mov_b64 s[4:5], 0
                                        ; implicit-def: $sgpr10
	s_and_saveexec_b64 s[6:7], vcc
	s_xor_b64 s[6:7], exec, s[6:7]
	s_cbranch_execnz .LBB56_2961
; %bb.913:
	s_or_saveexec_b64 s[6:7], s[6:7]
	v_mov_b32_e32 v10, s10
	s_xor_b64 exec, exec, s[6:7]
	s_cbranch_execnz .LBB56_2964
.LBB56_914:
	s_or_b64 exec, exec, s[6:7]
	s_and_saveexec_b64 s[6:7], s[4:5]
	s_cbranch_execz .LBB56_916
.LBB56_915:
	v_bfe_u32 v10, v6, 16, 3
	v_ffbh_u32_e32 v13, v10
	v_min_u32_e32 v13, 32, v13
	v_lshrrev_b32_e32 v11, 19, v6
	v_subrev_u32_e32 v14, 28, v13
	v_and_b32_e32 v11, 15, v11
	v_lshlrev_b32_sdwa v14, v14, v6 dst_sel:DWORD dst_unused:UNUSED_PAD src0_sel:DWORD src1_sel:WORD_1
	v_bfe_u32 v12, v6, 19, 4
	v_sub_u32_e32 v13, 29, v13
	v_and_b32_e32 v14, 7, v14
	v_cmp_eq_u16_e32 vcc, 0, v11
	v_cndmask_b32_e32 v10, v10, v14, vcc
	v_cndmask_b32_e32 v11, v12, v13, vcc
	v_lshlrev_b32_e32 v12, 8, v6
	v_mov_b32_e32 v13, 0x3b800000
	v_lshlrev_b32_e32 v10, 20, v10
	v_and_b32_e32 v12, 0x80000000, v12
	v_lshl_add_u32 v11, v11, 23, v13
	v_or3_b32 v10, v12, v11, v10
.LBB56_916:
	s_or_b64 exec, exec, s[6:7]
	s_movk_i32 s4, 0xff
	v_and_b32_sdwa v11, v2, s4 dst_sel:DWORD dst_unused:UNUSED_PAD src0_sel:WORD_1 src1_sel:DWORD
	s_movk_i32 s4, 0x7f
	v_cmp_lt_i16_e32 vcc, s4, v11
	s_mov_b64 s[4:5], 0
                                        ; implicit-def: $sgpr10
	s_and_saveexec_b64 s[6:7], vcc
	s_xor_b64 s[6:7], exec, s[6:7]
	s_cbranch_execnz .LBB56_2965
; %bb.917:
	s_or_saveexec_b64 s[6:7], s[6:7]
	v_mov_b32_e32 v12, s10
	s_xor_b64 exec, exec, s[6:7]
	s_cbranch_execnz .LBB56_2968
.LBB56_918:
	s_or_b64 exec, exec, s[6:7]
	s_and_saveexec_b64 s[6:7], s[4:5]
	s_cbranch_execz .LBB56_920
.LBB56_919:
	v_bfe_u32 v11, v2, 16, 3
	v_ffbh_u32_e32 v14, v11
	v_min_u32_e32 v14, 32, v14
	v_lshrrev_b32_e32 v12, 19, v2
	v_subrev_u32_e32 v15, 28, v14
	v_and_b32_e32 v12, 15, v12
	v_lshlrev_b32_sdwa v15, v15, v2 dst_sel:DWORD dst_unused:UNUSED_PAD src0_sel:DWORD src1_sel:WORD_1
	v_bfe_u32 v13, v2, 19, 4
	v_sub_u32_e32 v14, 29, v14
	v_and_b32_e32 v15, 7, v15
	v_cmp_eq_u16_e32 vcc, 0, v12
	v_cndmask_b32_e32 v11, v11, v15, vcc
	v_cndmask_b32_e32 v12, v13, v14, vcc
	v_lshlrev_b32_e32 v13, 8, v2
	v_mov_b32_e32 v14, 0x3b800000
	v_lshlrev_b32_e32 v11, 20, v11
	v_and_b32_e32 v13, 0x80000000, v13
	v_lshl_add_u32 v12, v12, 23, v14
	v_or3_b32 v12, v13, v12, v11
.LBB56_920:
	s_or_b64 exec, exec, s[6:7]
	s_nop 0
	v_mfma_f32_16x16x4f32 a[0:3], v10, v12, a[0:3]
	s_movk_i32 s4, 0x7f
	v_cmp_gt_i16_sdwa s[6:7], v6, s4 src0_sel:BYTE_3 src1_sel:DWORD
	s_mov_b64 s[4:5], 0
                                        ; implicit-def: $sgpr10
	s_and_saveexec_b64 s[8:9], s[6:7]
	s_xor_b64 s[6:7], exec, s[8:9]
	s_cbranch_execnz .LBB56_2969
; %bb.921:
	s_or_saveexec_b64 s[6:7], s[6:7]
	v_mov_b32_e32 v10, s10
	s_xor_b64 exec, exec, s[6:7]
	s_cbranch_execnz .LBB56_2972
.LBB56_922:
	s_or_b64 exec, exec, s[6:7]
	s_and_saveexec_b64 s[6:7], s[4:5]
	s_cbranch_execz .LBB56_924
.LBB56_923:
	v_bfe_u32 v10, v6, 24, 3
	v_ffbh_u32_e32 v14, v10
	v_min_u32_e32 v14, 32, v14
	v_lshrrev_b32_e32 v12, 27, v6
	v_subrev_u32_e32 v15, 28, v14
	v_and_b32_e32 v11, 0x80000000, v6
	v_and_b32_e32 v12, 15, v12
	v_bfe_u32 v13, v6, 27, 4
	v_lshlrev_b32_sdwa v6, v15, v6 dst_sel:DWORD dst_unused:UNUSED_PAD src0_sel:DWORD src1_sel:BYTE_3
	v_sub_u32_e32 v14, 29, v14
	v_and_b32_e32 v6, 7, v6
	v_cmp_eq_u16_e32 vcc, 0, v12
	v_cndmask_b32_e32 v6, v10, v6, vcc
	v_cndmask_b32_e32 v10, v13, v14, vcc
	v_mov_b32_e32 v12, 0x3b800000
	v_lshlrev_b32_e32 v6, 20, v6
	v_lshl_add_u32 v10, v10, 23, v12
	v_or3_b32 v10, v11, v10, v6
.LBB56_924:
	s_or_b64 exec, exec, s[6:7]
	s_movk_i32 s4, 0x7f
	v_cmp_gt_i16_sdwa s[6:7], v2, s4 src0_sel:BYTE_3 src1_sel:DWORD
	s_mov_b64 s[4:5], 0
                                        ; implicit-def: $sgpr10
	s_and_saveexec_b64 s[8:9], s[6:7]
	s_xor_b64 s[6:7], exec, s[8:9]
	s_cbranch_execnz .LBB56_2973
; %bb.925:
	s_or_saveexec_b64 s[6:7], s[6:7]
	v_mov_b32_e32 v6, s10
	s_xor_b64 exec, exec, s[6:7]
	s_cbranch_execnz .LBB56_2976
.LBB56_926:
	s_or_b64 exec, exec, s[6:7]
	s_and_saveexec_b64 s[6:7], s[4:5]
	s_cbranch_execz .LBB56_928
.LBB56_927:
	v_bfe_u32 v6, v2, 24, 3
	v_ffbh_u32_e32 v14, v6
	v_min_u32_e32 v14, 32, v14
	v_lshrrev_b32_e32 v12, 27, v2
	v_subrev_u32_e32 v15, 28, v14
	v_and_b32_e32 v11, 0x80000000, v2
	v_and_b32_e32 v12, 15, v12
	v_bfe_u32 v13, v2, 27, 4
	v_lshlrev_b32_sdwa v2, v15, v2 dst_sel:DWORD dst_unused:UNUSED_PAD src0_sel:DWORD src1_sel:BYTE_3
	v_sub_u32_e32 v14, 29, v14
	v_and_b32_e32 v2, 7, v2
	v_cmp_eq_u16_e32 vcc, 0, v12
	v_cndmask_b32_e32 v2, v6, v2, vcc
	v_cndmask_b32_e32 v6, v13, v14, vcc
	v_mov_b32_e32 v12, 0x3b800000
	v_lshlrev_b32_e32 v2, 20, v2
	v_lshl_add_u32 v6, v6, 23, v12
	v_or3_b32 v6, v11, v6, v2
.LBB56_928:
	s_or_b64 exec, exec, s[6:7]
	s_nop 0
	v_mfma_f32_16x16x4f32 a[0:3], v10, v6, a[0:3]
	s_movk_i32 s4, 0x7f
	v_cmp_gt_i16_sdwa s[6:7], v7, s4 src0_sel:BYTE_0 src1_sel:DWORD
	s_mov_b64 s[4:5], 0
                                        ; implicit-def: $sgpr10
	s_and_saveexec_b64 s[8:9], s[6:7]
	s_xor_b64 s[6:7], exec, s[8:9]
	s_cbranch_execnz .LBB56_2977
; %bb.929:
	s_or_saveexec_b64 s[6:7], s[6:7]
	v_mov_b32_e32 v2, s10
	s_xor_b64 exec, exec, s[6:7]
	s_cbranch_execnz .LBB56_2980
.LBB56_930:
	s_or_b64 exec, exec, s[6:7]
	s_and_saveexec_b64 s[6:7], s[4:5]
	s_cbranch_execz .LBB56_932
.LBB56_931:
	v_and_b32_e32 v2, 7, v7
	v_ffbh_u32_e32 v10, v2
	v_min_u32_e32 v10, 32, v10
	v_lshrrev_b16_e32 v6, 3, v7
	v_subrev_u32_e32 v11, 28, v10
	v_and_b32_e32 v6, 15, v6
	v_lshlrev_b32_e32 v11, v11, v7
	v_sub_u32_e32 v10, 29, v10
	v_and_b32_e32 v11, 7, v11
	v_cmp_eq_u16_e32 vcc, 0, v6
	v_cndmask_b32_e32 v2, v2, v11, vcc
	v_cndmask_b32_e32 v6, v6, v10, vcc
	v_lshlrev_b32_e32 v10, 24, v7
	v_mov_b32_e32 v11, 0x3b800000
	v_lshlrev_b32_e32 v2, 20, v2
	v_and_b32_e32 v10, 0x80000000, v10
	v_lshl_add_u32 v6, v6, 23, v11
	v_or3_b32 v2, v10, v6, v2
.LBB56_932:
	s_or_b64 exec, exec, s[6:7]
	s_movk_i32 s4, 0x7f
	v_cmp_gt_i16_sdwa s[6:7], v3, s4 src0_sel:BYTE_0 src1_sel:DWORD
	s_mov_b64 s[4:5], 0
                                        ; implicit-def: $sgpr10
	s_and_saveexec_b64 s[8:9], s[6:7]
	s_xor_b64 s[6:7], exec, s[8:9]
	s_cbranch_execnz .LBB56_2981
; %bb.933:
	s_or_saveexec_b64 s[6:7], s[6:7]
	v_mov_b32_e32 v6, s10
	s_xor_b64 exec, exec, s[6:7]
	s_cbranch_execnz .LBB56_2984
.LBB56_934:
	s_or_b64 exec, exec, s[6:7]
	s_and_saveexec_b64 s[6:7], s[4:5]
	s_cbranch_execz .LBB56_936
.LBB56_935:
	v_and_b32_e32 v6, 7, v3
	v_ffbh_u32_e32 v11, v6
	v_min_u32_e32 v11, 32, v11
	v_lshrrev_b16_e32 v10, 3, v3
	v_subrev_u32_e32 v12, 28, v11
	v_and_b32_e32 v10, 15, v10
	v_lshlrev_b32_e32 v12, v12, v3
	v_sub_u32_e32 v11, 29, v11
	v_and_b32_e32 v12, 7, v12
	v_cmp_eq_u16_e32 vcc, 0, v10
	v_cndmask_b32_e32 v6, v6, v12, vcc
	v_cndmask_b32_e32 v10, v10, v11, vcc
	v_lshlrev_b32_e32 v11, 24, v3
	v_mov_b32_e32 v12, 0x3b800000
	v_lshlrev_b32_e32 v6, 20, v6
	v_and_b32_e32 v11, 0x80000000, v11
	v_lshl_add_u32 v10, v10, 23, v12
	v_or3_b32 v6, v11, v10, v6
.LBB56_936:
	s_or_b64 exec, exec, s[6:7]
	s_nop 0
	v_mfma_f32_16x16x4f32 a[0:3], v2, v6, a[0:3]
	v_lshrrev_b32_e32 v6, 8, v7
	s_movk_i32 s4, 0x7f
	v_cmp_gt_i16_sdwa s[6:7], v6, s4 src0_sel:BYTE_0 src1_sel:DWORD
	s_mov_b64 s[4:5], 0
                                        ; implicit-def: $sgpr10
	s_and_saveexec_b64 s[8:9], s[6:7]
	s_xor_b64 s[6:7], exec, s[8:9]
	s_cbranch_execnz .LBB56_2985
; %bb.937:
	s_or_saveexec_b64 s[6:7], s[6:7]
	v_mov_b32_e32 v2, s10
	s_xor_b64 exec, exec, s[6:7]
	s_cbranch_execnz .LBB56_2988
.LBB56_938:
	s_or_b64 exec, exec, s[6:7]
	s_and_saveexec_b64 s[6:7], s[4:5]
	s_cbranch_execz .LBB56_940
.LBB56_939:
	v_bfe_u32 v2, v7, 8, 3
	v_ffbh_u32_e32 v11, v2
	v_min_u32_e32 v11, 32, v11
	v_lshrrev_b16_e32 v10, 3, v6
	v_subrev_u32_e32 v12, 28, v11
	v_and_b32_e32 v10, 15, v10
	v_lshlrev_b32_e32 v6, v12, v6
	v_sub_u32_e32 v11, 29, v11
	v_and_b32_e32 v6, 7, v6
	v_cmp_eq_u16_e32 vcc, 0, v10
	v_cndmask_b32_e32 v2, v2, v6, vcc
	v_cndmask_b32_e32 v6, v10, v11, vcc
	v_lshlrev_b32_e32 v10, 16, v7
	v_mov_b32_e32 v11, 0x3b800000
	v_lshlrev_b32_e32 v2, 20, v2
	v_and_b32_e32 v10, 0x80000000, v10
	v_lshl_add_u32 v6, v6, 23, v11
	v_or3_b32 v2, v10, v6, v2
.LBB56_940:
	s_or_b64 exec, exec, s[6:7]
	v_lshrrev_b32_e32 v6, 8, v3
	s_movk_i32 s4, 0x7f
	v_cmp_gt_i16_sdwa s[6:7], v6, s4 src0_sel:BYTE_0 src1_sel:DWORD
	s_mov_b64 s[4:5], 0
                                        ; implicit-def: $sgpr10
	s_and_saveexec_b64 s[8:9], s[6:7]
	s_xor_b64 s[6:7], exec, s[8:9]
	s_cbranch_execnz .LBB56_2989
; %bb.941:
	s_or_saveexec_b64 s[6:7], s[6:7]
	v_mov_b32_e32 v10, s10
	s_xor_b64 exec, exec, s[6:7]
	s_cbranch_execnz .LBB56_2992
.LBB56_942:
	s_or_b64 exec, exec, s[6:7]
	s_and_saveexec_b64 s[6:7], s[4:5]
	s_cbranch_execz .LBB56_944
.LBB56_943:
	v_bfe_u32 v10, v3, 8, 3
	v_ffbh_u32_e32 v12, v10
	v_min_u32_e32 v12, 32, v12
	v_lshrrev_b16_e32 v11, 3, v6
	v_subrev_u32_e32 v13, 28, v12
	v_and_b32_e32 v11, 15, v11
	v_lshlrev_b32_e32 v6, v13, v6
	v_sub_u32_e32 v12, 29, v12
	v_and_b32_e32 v6, 7, v6
	v_cmp_eq_u16_e32 vcc, 0, v11
	v_cndmask_b32_e32 v6, v10, v6, vcc
	v_cndmask_b32_e32 v10, v11, v12, vcc
	v_lshlrev_b32_e32 v11, 16, v3
	v_mov_b32_e32 v12, 0x3b800000
	v_lshlrev_b32_e32 v6, 20, v6
	v_and_b32_e32 v11, 0x80000000, v11
	v_lshl_add_u32 v10, v10, 23, v12
	v_or3_b32 v10, v11, v10, v6
.LBB56_944:
	s_or_b64 exec, exec, s[6:7]
	s_nop 0
	v_mfma_f32_16x16x4f32 a[0:3], v2, v10, a[0:3]
	s_movk_i32 s4, 0xff
	v_and_b32_sdwa v6, v7, s4 dst_sel:DWORD dst_unused:UNUSED_PAD src0_sel:WORD_1 src1_sel:DWORD
	s_movk_i32 s4, 0x7f
	v_cmp_lt_i16_e32 vcc, s4, v6
	s_mov_b64 s[4:5], 0
                                        ; implicit-def: $sgpr10
	s_and_saveexec_b64 s[6:7], vcc
	s_xor_b64 s[6:7], exec, s[6:7]
	s_cbranch_execnz .LBB56_2993
; %bb.945:
	s_or_saveexec_b64 s[6:7], s[6:7]
	v_mov_b32_e32 v2, s10
	s_xor_b64 exec, exec, s[6:7]
	s_cbranch_execnz .LBB56_2996
.LBB56_946:
	s_or_b64 exec, exec, s[6:7]
	s_and_saveexec_b64 s[6:7], s[4:5]
	s_cbranch_execz .LBB56_948
.LBB56_947:
	v_bfe_u32 v2, v7, 16, 3
	v_ffbh_u32_e32 v11, v2
	v_min_u32_e32 v11, 32, v11
	v_lshrrev_b32_e32 v6, 19, v7
	v_subrev_u32_e32 v12, 28, v11
	v_and_b32_e32 v6, 15, v6
	v_lshlrev_b32_sdwa v12, v12, v7 dst_sel:DWORD dst_unused:UNUSED_PAD src0_sel:DWORD src1_sel:WORD_1
	v_bfe_u32 v10, v7, 19, 4
	v_sub_u32_e32 v11, 29, v11
	v_and_b32_e32 v12, 7, v12
	v_cmp_eq_u16_e32 vcc, 0, v6
	v_cndmask_b32_e32 v2, v2, v12, vcc
	v_cndmask_b32_e32 v6, v10, v11, vcc
	v_lshlrev_b32_e32 v10, 8, v7
	v_mov_b32_e32 v11, 0x3b800000
	v_lshlrev_b32_e32 v2, 20, v2
	v_and_b32_e32 v10, 0x80000000, v10
	v_lshl_add_u32 v6, v6, 23, v11
	v_or3_b32 v2, v10, v6, v2
.LBB56_948:
	s_or_b64 exec, exec, s[6:7]
	s_movk_i32 s4, 0xff
	v_and_b32_sdwa v6, v3, s4 dst_sel:DWORD dst_unused:UNUSED_PAD src0_sel:WORD_1 src1_sel:DWORD
	s_movk_i32 s4, 0x7f
	v_cmp_lt_i16_e32 vcc, s4, v6
	s_mov_b64 s[4:5], 0
                                        ; implicit-def: $sgpr10
	s_and_saveexec_b64 s[6:7], vcc
	s_xor_b64 s[6:7], exec, s[6:7]
	s_cbranch_execnz .LBB56_2997
; %bb.949:
	s_or_saveexec_b64 s[6:7], s[6:7]
	v_mov_b32_e32 v10, s10
	s_xor_b64 exec, exec, s[6:7]
	s_cbranch_execnz .LBB56_3000
.LBB56_950:
	s_or_b64 exec, exec, s[6:7]
	s_and_saveexec_b64 s[6:7], s[4:5]
	s_cbranch_execz .LBB56_952
.LBB56_951:
	v_bfe_u32 v6, v3, 16, 3
	v_ffbh_u32_e32 v12, v6
	v_min_u32_e32 v12, 32, v12
	v_lshrrev_b32_e32 v10, 19, v3
	v_subrev_u32_e32 v13, 28, v12
	v_and_b32_e32 v10, 15, v10
	v_lshlrev_b32_sdwa v13, v13, v3 dst_sel:DWORD dst_unused:UNUSED_PAD src0_sel:DWORD src1_sel:WORD_1
	v_bfe_u32 v11, v3, 19, 4
	v_sub_u32_e32 v12, 29, v12
	v_and_b32_e32 v13, 7, v13
	v_cmp_eq_u16_e32 vcc, 0, v10
	v_cndmask_b32_e32 v6, v6, v13, vcc
	v_cndmask_b32_e32 v10, v11, v12, vcc
	v_lshlrev_b32_e32 v11, 8, v3
	v_mov_b32_e32 v12, 0x3b800000
	v_lshlrev_b32_e32 v6, 20, v6
	v_and_b32_e32 v11, 0x80000000, v11
	v_lshl_add_u32 v10, v10, 23, v12
	v_or3_b32 v10, v11, v10, v6
.LBB56_952:
	s_or_b64 exec, exec, s[6:7]
	s_nop 0
	v_mfma_f32_16x16x4f32 a[0:3], v2, v10, a[0:3]
	s_movk_i32 s4, 0x7f
	v_cmp_gt_i16_sdwa s[6:7], v7, s4 src0_sel:BYTE_3 src1_sel:DWORD
	s_mov_b64 s[4:5], 0
                                        ; implicit-def: $sgpr10
	s_and_saveexec_b64 s[8:9], s[6:7]
	s_xor_b64 s[6:7], exec, s[8:9]
	s_cbranch_execnz .LBB56_3001
; %bb.953:
	s_or_saveexec_b64 s[6:7], s[6:7]
	v_mov_b32_e32 v2, s10
	s_xor_b64 exec, exec, s[6:7]
	s_cbranch_execnz .LBB56_3004
.LBB56_954:
	s_or_b64 exec, exec, s[6:7]
	s_and_saveexec_b64 s[6:7], s[4:5]
	s_cbranch_execz .LBB56_956
.LBB56_955:
	v_bfe_u32 v2, v7, 24, 3
	v_ffbh_u32_e32 v12, v2
	v_min_u32_e32 v12, 32, v12
	v_lshrrev_b32_e32 v10, 27, v7
	v_subrev_u32_e32 v13, 28, v12
	v_and_b32_e32 v6, 0x80000000, v7
	v_and_b32_e32 v10, 15, v10
	v_bfe_u32 v11, v7, 27, 4
	v_lshlrev_b32_sdwa v7, v13, v7 dst_sel:DWORD dst_unused:UNUSED_PAD src0_sel:DWORD src1_sel:BYTE_3
	v_sub_u32_e32 v12, 29, v12
	v_and_b32_e32 v7, 7, v7
	v_cmp_eq_u16_e32 vcc, 0, v10
	v_cndmask_b32_e32 v2, v2, v7, vcc
	v_cndmask_b32_e32 v7, v11, v12, vcc
	v_mov_b32_e32 v10, 0x3b800000
	v_lshlrev_b32_e32 v2, 20, v2
	v_lshl_add_u32 v7, v7, 23, v10
	v_or3_b32 v2, v6, v7, v2
.LBB56_956:
	s_or_b64 exec, exec, s[6:7]
	s_movk_i32 s4, 0x7f
	v_cmp_gt_i16_sdwa s[6:7], v3, s4 src0_sel:BYTE_3 src1_sel:DWORD
	s_mov_b64 s[4:5], 0
                                        ; implicit-def: $sgpr10
	s_and_saveexec_b64 s[8:9], s[6:7]
	s_xor_b64 s[6:7], exec, s[8:9]
	s_cbranch_execnz .LBB56_3005
; %bb.957:
	s_or_saveexec_b64 s[6:7], s[6:7]
	v_mov_b32_e32 v6, s10
	s_xor_b64 exec, exec, s[6:7]
	s_cbranch_execnz .LBB56_3008
.LBB56_958:
	s_or_b64 exec, exec, s[6:7]
	s_and_saveexec_b64 s[6:7], s[4:5]
	s_cbranch_execz .LBB56_960
.LBB56_959:
	v_bfe_u32 v6, v3, 24, 3
	v_ffbh_u32_e32 v12, v6
	v_min_u32_e32 v12, 32, v12
	v_lshrrev_b32_e32 v10, 27, v3
	v_subrev_u32_e32 v13, 28, v12
	v_and_b32_e32 v7, 0x80000000, v3
	v_and_b32_e32 v10, 15, v10
	v_bfe_u32 v11, v3, 27, 4
	v_lshlrev_b32_sdwa v3, v13, v3 dst_sel:DWORD dst_unused:UNUSED_PAD src0_sel:DWORD src1_sel:BYTE_3
	v_sub_u32_e32 v12, 29, v12
	v_and_b32_e32 v3, 7, v3
	v_cmp_eq_u16_e32 vcc, 0, v10
	v_cndmask_b32_e32 v3, v6, v3, vcc
	v_cndmask_b32_e32 v6, v11, v12, vcc
	v_mov_b32_e32 v10, 0x3b800000
	v_lshlrev_b32_e32 v3, 20, v3
	v_lshl_add_u32 v6, v6, 23, v10
	v_or3_b32 v6, v7, v6, v3
.LBB56_960:
	s_or_b64 exec, exec, s[6:7]
	s_nop 0
	v_mfma_f32_16x16x4f32 a[0:3], v2, v6, a[0:3]
	s_movk_i32 s4, 0x7f
	v_cmp_gt_i16_sdwa s[6:7], v8, s4 src0_sel:BYTE_0 src1_sel:DWORD
	s_mov_b64 s[4:5], 0
                                        ; implicit-def: $sgpr10
	s_and_saveexec_b64 s[8:9], s[6:7]
	s_xor_b64 s[6:7], exec, s[8:9]
	s_cbranch_execnz .LBB56_3009
; %bb.961:
	s_or_saveexec_b64 s[6:7], s[6:7]
	v_mov_b32_e32 v2, s10
	s_xor_b64 exec, exec, s[6:7]
	s_cbranch_execnz .LBB56_3012
.LBB56_962:
	s_or_b64 exec, exec, s[6:7]
	s_and_saveexec_b64 s[6:7], s[4:5]
	s_cbranch_execz .LBB56_964
.LBB56_963:
	v_and_b32_e32 v2, 7, v8
	v_ffbh_u32_e32 v6, v2
	v_min_u32_e32 v6, 32, v6
	v_lshrrev_b16_e32 v3, 3, v8
	v_subrev_u32_e32 v7, 28, v6
	v_and_b32_e32 v3, 15, v3
	v_lshlrev_b32_e32 v7, v7, v8
	v_sub_u32_e32 v6, 29, v6
	v_and_b32_e32 v7, 7, v7
	v_cmp_eq_u16_e32 vcc, 0, v3
	v_cndmask_b32_e32 v2, v2, v7, vcc
	v_cndmask_b32_e32 v3, v3, v6, vcc
	v_lshlrev_b32_e32 v6, 24, v8
	v_mov_b32_e32 v7, 0x3b800000
	v_lshlrev_b32_e32 v2, 20, v2
	v_and_b32_e32 v6, 0x80000000, v6
	v_lshl_add_u32 v3, v3, 23, v7
	v_or3_b32 v2, v6, v3, v2
.LBB56_964:
	s_or_b64 exec, exec, s[6:7]
	s_movk_i32 s4, 0x7f
	v_cmp_gt_i16_sdwa s[6:7], v4, s4 src0_sel:BYTE_0 src1_sel:DWORD
	s_mov_b64 s[4:5], 0
                                        ; implicit-def: $sgpr10
	s_and_saveexec_b64 s[8:9], s[6:7]
	s_xor_b64 s[6:7], exec, s[8:9]
	s_cbranch_execnz .LBB56_3013
; %bb.965:
	s_or_saveexec_b64 s[6:7], s[6:7]
	v_mov_b32_e32 v3, s10
	s_xor_b64 exec, exec, s[6:7]
	s_cbranch_execnz .LBB56_3016
.LBB56_966:
	s_or_b64 exec, exec, s[6:7]
	s_and_saveexec_b64 s[6:7], s[4:5]
	s_cbranch_execz .LBB56_968
.LBB56_967:
	v_and_b32_e32 v3, 7, v4
	v_ffbh_u32_e32 v7, v3
	v_min_u32_e32 v7, 32, v7
	v_lshrrev_b16_e32 v6, 3, v4
	v_subrev_u32_e32 v10, 28, v7
	v_and_b32_e32 v6, 15, v6
	v_lshlrev_b32_e32 v10, v10, v4
	v_sub_u32_e32 v7, 29, v7
	v_and_b32_e32 v10, 7, v10
	v_cmp_eq_u16_e32 vcc, 0, v6
	v_cndmask_b32_e32 v3, v3, v10, vcc
	v_cndmask_b32_e32 v6, v6, v7, vcc
	v_lshlrev_b32_e32 v7, 24, v4
	v_mov_b32_e32 v10, 0x3b800000
	v_lshlrev_b32_e32 v3, 20, v3
	v_and_b32_e32 v7, 0x80000000, v7
	v_lshl_add_u32 v6, v6, 23, v10
	v_or3_b32 v3, v7, v6, v3
.LBB56_968:
	s_or_b64 exec, exec, s[6:7]
	s_nop 0
	v_mfma_f32_16x16x4f32 a[0:3], v2, v3, a[0:3]
	v_lshrrev_b32_e32 v3, 8, v8
	s_movk_i32 s4, 0x7f
	v_cmp_gt_i16_sdwa s[6:7], v3, s4 src0_sel:BYTE_0 src1_sel:DWORD
	s_mov_b64 s[4:5], 0
                                        ; implicit-def: $sgpr10
	s_and_saveexec_b64 s[8:9], s[6:7]
	s_xor_b64 s[6:7], exec, s[8:9]
	s_cbranch_execnz .LBB56_3017
; %bb.969:
	s_or_saveexec_b64 s[6:7], s[6:7]
	v_mov_b32_e32 v2, s10
	s_xor_b64 exec, exec, s[6:7]
	s_cbranch_execnz .LBB56_3020
.LBB56_970:
	s_or_b64 exec, exec, s[6:7]
	s_and_saveexec_b64 s[6:7], s[4:5]
	s_cbranch_execz .LBB56_972
.LBB56_971:
	v_bfe_u32 v2, v8, 8, 3
	v_ffbh_u32_e32 v7, v2
	v_min_u32_e32 v7, 32, v7
	v_lshrrev_b16_e32 v6, 3, v3
	v_subrev_u32_e32 v10, 28, v7
	v_and_b32_e32 v6, 15, v6
	v_lshlrev_b32_e32 v3, v10, v3
	v_sub_u32_e32 v7, 29, v7
	v_and_b32_e32 v3, 7, v3
	v_cmp_eq_u16_e32 vcc, 0, v6
	v_cndmask_b32_e32 v2, v2, v3, vcc
	v_cndmask_b32_e32 v3, v6, v7, vcc
	v_lshlrev_b32_e32 v6, 16, v8
	v_mov_b32_e32 v7, 0x3b800000
	v_lshlrev_b32_e32 v2, 20, v2
	v_and_b32_e32 v6, 0x80000000, v6
	v_lshl_add_u32 v3, v3, 23, v7
	v_or3_b32 v2, v6, v3, v2
.LBB56_972:
	s_or_b64 exec, exec, s[6:7]
	v_lshrrev_b32_e32 v3, 8, v4
	s_movk_i32 s4, 0x7f
	v_cmp_gt_i16_sdwa s[6:7], v3, s4 src0_sel:BYTE_0 src1_sel:DWORD
	s_mov_b64 s[4:5], 0
                                        ; implicit-def: $sgpr10
	s_and_saveexec_b64 s[8:9], s[6:7]
	s_xor_b64 s[6:7], exec, s[8:9]
	s_cbranch_execnz .LBB56_3021
; %bb.973:
	s_or_saveexec_b64 s[6:7], s[6:7]
	v_mov_b32_e32 v6, s10
	s_xor_b64 exec, exec, s[6:7]
	s_cbranch_execnz .LBB56_3024
.LBB56_974:
	s_or_b64 exec, exec, s[6:7]
	s_and_saveexec_b64 s[6:7], s[4:5]
	s_cbranch_execz .LBB56_976
.LBB56_975:
	v_bfe_u32 v6, v4, 8, 3
	v_ffbh_u32_e32 v10, v6
	v_min_u32_e32 v10, 32, v10
	v_lshrrev_b16_e32 v7, 3, v3
	v_subrev_u32_e32 v11, 28, v10
	v_and_b32_e32 v7, 15, v7
	v_lshlrev_b32_e32 v3, v11, v3
	v_sub_u32_e32 v10, 29, v10
	v_and_b32_e32 v3, 7, v3
	v_cmp_eq_u16_e32 vcc, 0, v7
	v_cndmask_b32_e32 v3, v6, v3, vcc
	v_cndmask_b32_e32 v6, v7, v10, vcc
	v_lshlrev_b32_e32 v7, 16, v4
	v_mov_b32_e32 v10, 0x3b800000
	v_lshlrev_b32_e32 v3, 20, v3
	v_and_b32_e32 v7, 0x80000000, v7
	v_lshl_add_u32 v6, v6, 23, v10
	v_or3_b32 v6, v7, v6, v3
.LBB56_976:
	s_or_b64 exec, exec, s[6:7]
	s_nop 0
	v_mfma_f32_16x16x4f32 a[0:3], v2, v6, a[0:3]
	s_movk_i32 s4, 0xff
	v_and_b32_sdwa v3, v8, s4 dst_sel:DWORD dst_unused:UNUSED_PAD src0_sel:WORD_1 src1_sel:DWORD
	s_movk_i32 s4, 0x7f
	v_cmp_lt_i16_e32 vcc, s4, v3
	s_mov_b64 s[4:5], 0
                                        ; implicit-def: $sgpr10
	s_and_saveexec_b64 s[6:7], vcc
	s_xor_b64 s[6:7], exec, s[6:7]
	s_cbranch_execnz .LBB56_3025
; %bb.977:
	s_or_saveexec_b64 s[6:7], s[6:7]
	v_mov_b32_e32 v2, s10
	s_xor_b64 exec, exec, s[6:7]
	s_cbranch_execnz .LBB56_3028
.LBB56_978:
	s_or_b64 exec, exec, s[6:7]
	s_and_saveexec_b64 s[6:7], s[4:5]
	s_cbranch_execz .LBB56_980
.LBB56_979:
	v_bfe_u32 v2, v8, 16, 3
	v_ffbh_u32_e32 v7, v2
	v_min_u32_e32 v7, 32, v7
	v_lshrrev_b32_e32 v3, 19, v8
	v_subrev_u32_e32 v10, 28, v7
	v_and_b32_e32 v3, 15, v3
	v_lshlrev_b32_sdwa v10, v10, v8 dst_sel:DWORD dst_unused:UNUSED_PAD src0_sel:DWORD src1_sel:WORD_1
	v_bfe_u32 v6, v8, 19, 4
	v_sub_u32_e32 v7, 29, v7
	v_and_b32_e32 v10, 7, v10
	v_cmp_eq_u16_e32 vcc, 0, v3
	v_cndmask_b32_e32 v2, v2, v10, vcc
	v_cndmask_b32_e32 v3, v6, v7, vcc
	v_lshlrev_b32_e32 v6, 8, v8
	v_mov_b32_e32 v7, 0x3b800000
	v_lshlrev_b32_e32 v2, 20, v2
	v_and_b32_e32 v6, 0x80000000, v6
	v_lshl_add_u32 v3, v3, 23, v7
	v_or3_b32 v2, v6, v3, v2
.LBB56_980:
	s_or_b64 exec, exec, s[6:7]
	s_movk_i32 s4, 0xff
	v_and_b32_sdwa v3, v4, s4 dst_sel:DWORD dst_unused:UNUSED_PAD src0_sel:WORD_1 src1_sel:DWORD
	s_movk_i32 s4, 0x7f
	v_cmp_lt_i16_e32 vcc, s4, v3
	s_mov_b64 s[4:5], 0
                                        ; implicit-def: $sgpr10
	s_and_saveexec_b64 s[6:7], vcc
	s_xor_b64 s[6:7], exec, s[6:7]
	s_cbranch_execnz .LBB56_3029
; %bb.981:
	s_or_saveexec_b64 s[6:7], s[6:7]
	v_mov_b32_e32 v6, s10
	s_xor_b64 exec, exec, s[6:7]
	s_cbranch_execnz .LBB56_3032
.LBB56_982:
	s_or_b64 exec, exec, s[6:7]
	s_and_saveexec_b64 s[6:7], s[4:5]
	s_cbranch_execz .LBB56_984
.LBB56_983:
	v_bfe_u32 v3, v4, 16, 3
	v_ffbh_u32_e32 v10, v3
	v_min_u32_e32 v10, 32, v10
	v_lshrrev_b32_e32 v6, 19, v4
	v_subrev_u32_e32 v11, 28, v10
	v_and_b32_e32 v6, 15, v6
	v_lshlrev_b32_sdwa v11, v11, v4 dst_sel:DWORD dst_unused:UNUSED_PAD src0_sel:DWORD src1_sel:WORD_1
	v_bfe_u32 v7, v4, 19, 4
	v_sub_u32_e32 v10, 29, v10
	v_and_b32_e32 v11, 7, v11
	v_cmp_eq_u16_e32 vcc, 0, v6
	v_cndmask_b32_e32 v3, v3, v11, vcc
	v_cndmask_b32_e32 v6, v7, v10, vcc
	v_lshlrev_b32_e32 v7, 8, v4
	v_mov_b32_e32 v10, 0x3b800000
	v_lshlrev_b32_e32 v3, 20, v3
	v_and_b32_e32 v7, 0x80000000, v7
	v_lshl_add_u32 v6, v6, 23, v10
	v_or3_b32 v6, v7, v6, v3
.LBB56_984:
	s_or_b64 exec, exec, s[6:7]
	s_nop 0
	v_mfma_f32_16x16x4f32 a[0:3], v2, v6, a[0:3]
	s_movk_i32 s4, 0x7f
	v_cmp_gt_i16_sdwa s[6:7], v8, s4 src0_sel:BYTE_3 src1_sel:DWORD
	s_mov_b64 s[4:5], 0
                                        ; implicit-def: $sgpr10
	s_and_saveexec_b64 s[8:9], s[6:7]
	s_xor_b64 s[6:7], exec, s[8:9]
	s_cbranch_execnz .LBB56_3033
; %bb.985:
	s_or_saveexec_b64 s[6:7], s[6:7]
	v_mov_b32_e32 v2, s10
	s_xor_b64 exec, exec, s[6:7]
	s_cbranch_execnz .LBB56_3036
.LBB56_986:
	s_or_b64 exec, exec, s[6:7]
	s_and_saveexec_b64 s[6:7], s[4:5]
	s_cbranch_execz .LBB56_988
.LBB56_987:
	v_bfe_u32 v2, v8, 24, 3
	v_ffbh_u32_e32 v10, v2
	v_min_u32_e32 v10, 32, v10
	v_lshrrev_b32_e32 v6, 27, v8
	v_subrev_u32_e32 v11, 28, v10
	v_and_b32_e32 v3, 0x80000000, v8
	v_and_b32_e32 v6, 15, v6
	v_bfe_u32 v7, v8, 27, 4
	v_lshlrev_b32_sdwa v8, v11, v8 dst_sel:DWORD dst_unused:UNUSED_PAD src0_sel:DWORD src1_sel:BYTE_3
	v_sub_u32_e32 v10, 29, v10
	v_and_b32_e32 v8, 7, v8
	v_cmp_eq_u16_e32 vcc, 0, v6
	v_cndmask_b32_e32 v2, v2, v8, vcc
	v_cndmask_b32_e32 v6, v7, v10, vcc
	v_mov_b32_e32 v7, 0x3b800000
	v_lshlrev_b32_e32 v2, 20, v2
	v_lshl_add_u32 v6, v6, 23, v7
	v_or3_b32 v2, v3, v6, v2
.LBB56_988:
	s_or_b64 exec, exec, s[6:7]
	s_movk_i32 s4, 0x7f
	v_cmp_gt_i16_sdwa s[6:7], v4, s4 src0_sel:BYTE_3 src1_sel:DWORD
	s_mov_b64 s[4:5], 0
                                        ; implicit-def: $sgpr10
	s_and_saveexec_b64 s[8:9], s[6:7]
	s_xor_b64 s[6:7], exec, s[8:9]
	s_cbranch_execnz .LBB56_3037
; %bb.989:
	s_or_saveexec_b64 s[6:7], s[6:7]
	v_mov_b32_e32 v3, s10
	s_xor_b64 exec, exec, s[6:7]
	s_cbranch_execnz .LBB56_3040
.LBB56_990:
	s_or_b64 exec, exec, s[6:7]
	s_and_saveexec_b64 s[6:7], s[4:5]
	s_cbranch_execz .LBB56_992
.LBB56_991:
	v_bfe_u32 v3, v4, 24, 3
	v_ffbh_u32_e32 v10, v3
	v_min_u32_e32 v10, 32, v10
	v_lshrrev_b32_e32 v7, 27, v4
	v_subrev_u32_e32 v11, 28, v10
	v_and_b32_e32 v6, 0x80000000, v4
	v_and_b32_e32 v7, 15, v7
	v_bfe_u32 v8, v4, 27, 4
	v_lshlrev_b32_sdwa v4, v11, v4 dst_sel:DWORD dst_unused:UNUSED_PAD src0_sel:DWORD src1_sel:BYTE_3
	v_sub_u32_e32 v10, 29, v10
	v_and_b32_e32 v4, 7, v4
	v_cmp_eq_u16_e32 vcc, 0, v7
	v_cndmask_b32_e32 v3, v3, v4, vcc
	v_cndmask_b32_e32 v4, v8, v10, vcc
	v_mov_b32_e32 v7, 0x3b800000
	v_lshlrev_b32_e32 v3, 20, v3
	v_lshl_add_u32 v4, v4, 23, v7
	v_or3_b32 v3, v6, v4, v3
.LBB56_992:
	s_or_b64 exec, exec, s[6:7]
	s_nop 0
	v_mfma_f32_16x16x4f32 a[0:3], v2, v3, a[0:3]
	s_movk_i32 s4, 0x7f
	v_cmp_gt_i16_sdwa s[6:7], v9, s4 src0_sel:BYTE_0 src1_sel:DWORD
	s_mov_b64 s[4:5], 0
                                        ; implicit-def: $sgpr10
	s_and_saveexec_b64 s[8:9], s[6:7]
	s_xor_b64 s[6:7], exec, s[8:9]
	s_cbranch_execnz .LBB56_3041
; %bb.993:
	s_or_saveexec_b64 s[6:7], s[6:7]
	v_mov_b32_e32 v2, s10
	s_xor_b64 exec, exec, s[6:7]
	s_cbranch_execnz .LBB56_3044
.LBB56_994:
	s_or_b64 exec, exec, s[6:7]
	s_and_saveexec_b64 s[6:7], s[4:5]
	s_cbranch_execz .LBB56_996
.LBB56_995:
	v_mov_b32_e32 v2, 8
	v_and_b32_e32 v3, 7, v9
	v_lshrrev_b32_sdwa v2, v2, v9 dst_sel:BYTE_1 dst_unused:UNUSED_PAD src0_sel:DWORD src1_sel:DWORD
	v_ffbh_u32_e32 v4, v3
	v_or_b32_sdwa v2, v9, v2 dst_sel:DWORD dst_unused:UNUSED_PAD src0_sel:BYTE_0 src1_sel:DWORD
	v_min_u32_e32 v4, 32, v4
	v_lshrrev_b16_e32 v2, 3, v2
	v_subrev_u32_e32 v6, 28, v4
	v_and_b32_e32 v2, 15, v2
	v_lshlrev_b32_e32 v6, v6, v9
	v_sub_u32_e32 v4, 29, v4
	v_and_b32_e32 v6, 7, v6
	v_cmp_eq_u16_e32 vcc, 0, v2
	v_cndmask_b32_e32 v3, v3, v6, vcc
	v_cndmask_b32_e32 v2, v2, v4, vcc
	v_lshlrev_b32_e32 v4, 24, v9
	v_mov_b32_e32 v6, 0x3b800000
	v_lshlrev_b32_e32 v3, 20, v3
	v_and_b32_e32 v4, 0x80000000, v4
	v_lshl_add_u32 v2, v2, 23, v6
	v_or3_b32 v2, v4, v2, v3
.LBB56_996:
	s_or_b64 exec, exec, s[6:7]
	s_movk_i32 s4, 0x7f
	v_cmp_gt_i16_sdwa s[6:7], v5, s4 src0_sel:BYTE_0 src1_sel:DWORD
	s_mov_b64 s[4:5], 0
                                        ; implicit-def: $sgpr10
	s_and_saveexec_b64 s[8:9], s[6:7]
	s_xor_b64 s[6:7], exec, s[8:9]
	s_cbranch_execnz .LBB56_3045
; %bb.997:
	s_or_saveexec_b64 s[6:7], s[6:7]
	v_mov_b32_e32 v3, s10
	s_xor_b64 exec, exec, s[6:7]
	s_cbranch_execnz .LBB56_3048
.LBB56_998:
	s_or_b64 exec, exec, s[6:7]
	s_and_saveexec_b64 s[6:7], s[4:5]
	s_cbranch_execz .LBB56_1000
.LBB56_999:
	v_mov_b32_e32 v3, 8
	v_and_b32_e32 v4, 7, v5
	v_lshrrev_b32_sdwa v3, v3, v5 dst_sel:BYTE_1 dst_unused:UNUSED_PAD src0_sel:DWORD src1_sel:DWORD
	v_ffbh_u32_e32 v6, v4
	v_or_b32_sdwa v3, v5, v3 dst_sel:DWORD dst_unused:UNUSED_PAD src0_sel:BYTE_0 src1_sel:DWORD
	v_min_u32_e32 v6, 32, v6
	v_lshrrev_b16_e32 v3, 3, v3
	v_subrev_u32_e32 v7, 28, v6
	v_and_b32_e32 v3, 15, v3
	v_lshlrev_b32_e32 v7, v7, v5
	v_sub_u32_e32 v6, 29, v6
	v_and_b32_e32 v7, 7, v7
	v_cmp_eq_u16_e32 vcc, 0, v3
	v_cndmask_b32_e32 v4, v4, v7, vcc
	v_cndmask_b32_e32 v3, v3, v6, vcc
	v_lshlrev_b32_e32 v6, 24, v5
	v_mov_b32_e32 v7, 0x3b800000
	v_lshlrev_b32_e32 v4, 20, v4
	v_and_b32_e32 v6, 0x80000000, v6
	v_lshl_add_u32 v3, v3, 23, v7
	v_or3_b32 v3, v6, v3, v4
.LBB56_1000:
	s_or_b64 exec, exec, s[6:7]
	s_nop 0
	v_mfma_f32_16x16x4f32 a[0:3], v2, v3, a[0:3]
	v_lshrrev_b32_e32 v3, 8, v9
	s_movk_i32 s4, 0x7f
	v_cmp_gt_i16_sdwa s[6:7], v3, s4 src0_sel:BYTE_0 src1_sel:DWORD
	s_mov_b64 s[4:5], 0
                                        ; implicit-def: $sgpr10
	s_and_saveexec_b64 s[8:9], s[6:7]
	s_xor_b64 s[6:7], exec, s[8:9]
	s_cbranch_execnz .LBB56_3049
; %bb.1001:
	s_or_saveexec_b64 s[6:7], s[6:7]
	v_mov_b32_e32 v2, s10
	s_xor_b64 exec, exec, s[6:7]
	s_cbranch_execnz .LBB56_3052
.LBB56_1002:
	s_or_b64 exec, exec, s[6:7]
	s_and_saveexec_b64 s[6:7], s[4:5]
	s_cbranch_execz .LBB56_1004
.LBB56_1003:
	v_bfe_u32 v2, v9, 8, 3
	v_ffbh_u32_e32 v6, v2
	v_min_u32_e32 v6, 32, v6
	v_lshrrev_b16_e32 v4, 3, v3
	v_subrev_u32_e32 v7, 28, v6
	v_and_b32_e32 v4, 15, v4
	v_lshlrev_b32_e32 v3, v7, v3
	v_sub_u32_e32 v6, 29, v6
	v_and_b32_e32 v3, 7, v3
	v_cmp_eq_u16_e32 vcc, 0, v4
	v_cndmask_b32_e32 v2, v2, v3, vcc
	v_cndmask_b32_e32 v3, v4, v6, vcc
	v_lshlrev_b32_e32 v4, 16, v9
	v_mov_b32_e32 v6, 0x3b800000
	v_lshlrev_b32_e32 v2, 20, v2
	v_and_b32_e32 v4, 0x80000000, v4
	v_lshl_add_u32 v3, v3, 23, v6
	v_or3_b32 v2, v4, v3, v2
.LBB56_1004:
	s_or_b64 exec, exec, s[6:7]
	v_lshrrev_b32_e32 v3, 8, v5
	s_movk_i32 s4, 0x7f
	v_cmp_gt_i16_sdwa s[6:7], v3, s4 src0_sel:BYTE_0 src1_sel:DWORD
	s_mov_b64 s[4:5], 0
                                        ; implicit-def: $sgpr10
	s_and_saveexec_b64 s[8:9], s[6:7]
	s_xor_b64 s[6:7], exec, s[8:9]
	s_cbranch_execnz .LBB56_3053
; %bb.1005:
	s_or_saveexec_b64 s[6:7], s[6:7]
	v_mov_b32_e32 v4, s10
	s_xor_b64 exec, exec, s[6:7]
	s_cbranch_execnz .LBB56_3056
.LBB56_1006:
	s_or_b64 exec, exec, s[6:7]
	s_and_saveexec_b64 s[6:7], s[4:5]
	s_cbranch_execz .LBB56_1008
.LBB56_1007:
	v_bfe_u32 v4, v5, 8, 3
	v_ffbh_u32_e32 v7, v4
	v_min_u32_e32 v7, 32, v7
	v_lshrrev_b16_e32 v6, 3, v3
	v_subrev_u32_e32 v8, 28, v7
	v_and_b32_e32 v6, 15, v6
	v_lshlrev_b32_e32 v3, v8, v3
	v_sub_u32_e32 v7, 29, v7
	v_and_b32_e32 v3, 7, v3
	v_cmp_eq_u16_e32 vcc, 0, v6
	v_cndmask_b32_e32 v3, v4, v3, vcc
	v_cndmask_b32_e32 v4, v6, v7, vcc
	v_lshlrev_b32_e32 v6, 16, v5
	v_mov_b32_e32 v7, 0x3b800000
	v_lshlrev_b32_e32 v3, 20, v3
	v_and_b32_e32 v6, 0x80000000, v6
	v_lshl_add_u32 v4, v4, 23, v7
	v_or3_b32 v4, v6, v4, v3
.LBB56_1008:
	s_or_b64 exec, exec, s[6:7]
	s_nop 0
	v_mfma_f32_16x16x4f32 a[0:3], v2, v4, a[0:3]
	s_movk_i32 s4, 0xff
	v_and_b32_sdwa v3, v9, s4 dst_sel:DWORD dst_unused:UNUSED_PAD src0_sel:WORD_1 src1_sel:DWORD
	s_movk_i32 s4, 0x7f
	v_cmp_lt_i16_e32 vcc, s4, v3
	s_mov_b64 s[4:5], 0
                                        ; implicit-def: $sgpr10
	s_and_saveexec_b64 s[6:7], vcc
	s_xor_b64 s[6:7], exec, s[6:7]
	s_cbranch_execnz .LBB56_3057
; %bb.1009:
	s_or_saveexec_b64 s[6:7], s[6:7]
	v_mov_b32_e32 v2, s10
	s_xor_b64 exec, exec, s[6:7]
	s_cbranch_execnz .LBB56_3060
.LBB56_1010:
	s_or_b64 exec, exec, s[6:7]
	s_and_saveexec_b64 s[6:7], s[4:5]
	s_cbranch_execz .LBB56_1012
.LBB56_1011:
	v_bfe_u32 v2, v9, 16, 3
	v_ffbh_u32_e32 v6, v2
	v_min_u32_e32 v6, 32, v6
	v_lshrrev_b32_e32 v3, 19, v9
	v_subrev_u32_e32 v7, 28, v6
	v_and_b32_e32 v3, 15, v3
	v_lshlrev_b32_sdwa v7, v7, v9 dst_sel:DWORD dst_unused:UNUSED_PAD src0_sel:DWORD src1_sel:WORD_1
	v_bfe_u32 v4, v9, 19, 4
	v_sub_u32_e32 v6, 29, v6
	v_and_b32_e32 v7, 7, v7
	v_cmp_eq_u16_e32 vcc, 0, v3
	v_cndmask_b32_e32 v2, v2, v7, vcc
	v_cndmask_b32_e32 v3, v4, v6, vcc
	v_lshlrev_b32_e32 v4, 8, v9
	v_mov_b32_e32 v6, 0x3b800000
	v_lshlrev_b32_e32 v2, 20, v2
	v_and_b32_e32 v4, 0x80000000, v4
	v_lshl_add_u32 v3, v3, 23, v6
	v_or3_b32 v2, v4, v3, v2
.LBB56_1012:
	s_or_b64 exec, exec, s[6:7]
	s_movk_i32 s4, 0xff
	v_and_b32_sdwa v3, v5, s4 dst_sel:DWORD dst_unused:UNUSED_PAD src0_sel:WORD_1 src1_sel:DWORD
	s_movk_i32 s4, 0x7f
	v_cmp_lt_i16_e32 vcc, s4, v3
	s_mov_b64 s[4:5], 0
                                        ; implicit-def: $sgpr10
	s_and_saveexec_b64 s[6:7], vcc
	s_xor_b64 s[6:7], exec, s[6:7]
	s_cbranch_execnz .LBB56_3061
; %bb.1013:
	s_or_saveexec_b64 s[6:7], s[6:7]
	v_mov_b32_e32 v4, s10
	s_xor_b64 exec, exec, s[6:7]
	s_cbranch_execnz .LBB56_3064
.LBB56_1014:
	s_or_b64 exec, exec, s[6:7]
	s_and_saveexec_b64 s[6:7], s[4:5]
	s_cbranch_execz .LBB56_1016
.LBB56_1015:
	v_bfe_u32 v3, v5, 16, 3
	v_ffbh_u32_e32 v7, v3
	v_min_u32_e32 v7, 32, v7
	v_lshrrev_b32_e32 v4, 19, v5
	v_subrev_u32_e32 v8, 28, v7
	v_and_b32_e32 v4, 15, v4
	v_lshlrev_b32_sdwa v8, v8, v5 dst_sel:DWORD dst_unused:UNUSED_PAD src0_sel:DWORD src1_sel:WORD_1
	v_bfe_u32 v6, v5, 19, 4
	v_sub_u32_e32 v7, 29, v7
	v_and_b32_e32 v8, 7, v8
	v_cmp_eq_u16_e32 vcc, 0, v4
	v_cndmask_b32_e32 v3, v3, v8, vcc
	v_cndmask_b32_e32 v4, v6, v7, vcc
	v_lshlrev_b32_e32 v6, 8, v5
	v_mov_b32_e32 v7, 0x3b800000
	v_lshlrev_b32_e32 v3, 20, v3
	v_and_b32_e32 v6, 0x80000000, v6
	v_lshl_add_u32 v4, v4, 23, v7
	v_or3_b32 v4, v6, v4, v3
.LBB56_1016:
	s_or_b64 exec, exec, s[6:7]
	s_nop 0
	v_mfma_f32_16x16x4f32 a[0:3], v2, v4, a[0:3]
	s_movk_i32 s4, 0x7f
	v_cmp_gt_i16_sdwa s[6:7], v9, s4 src0_sel:BYTE_3 src1_sel:DWORD
	s_mov_b64 s[4:5], 0
                                        ; implicit-def: $sgpr10
	s_and_saveexec_b64 s[8:9], s[6:7]
	s_xor_b64 s[6:7], exec, s[8:9]
	s_cbranch_execnz .LBB56_3065
; %bb.1017:
	s_or_saveexec_b64 s[6:7], s[6:7]
	v_mov_b32_e32 v2, s10
	s_xor_b64 exec, exec, s[6:7]
	s_cbranch_execnz .LBB56_3068
.LBB56_1018:
	s_or_b64 exec, exec, s[6:7]
	s_and_saveexec_b64 s[6:7], s[4:5]
	s_cbranch_execz .LBB56_1020
.LBB56_1019:
	v_bfe_u32 v2, v9, 24, 3
	v_ffbh_u32_e32 v7, v2
	v_min_u32_e32 v7, 32, v7
	v_lshrrev_b32_e32 v4, 27, v9
	v_subrev_u32_e32 v8, 28, v7
	v_and_b32_e32 v4, 15, v4
	v_lshlrev_b32_sdwa v8, v8, v9 dst_sel:DWORD dst_unused:UNUSED_PAD src0_sel:DWORD src1_sel:BYTE_3
	v_bfe_u32 v6, v9, 27, 4
	v_sub_u32_e32 v7, 29, v7
	v_and_b32_e32 v8, 7, v8
	v_cmp_eq_u16_e32 vcc, 0, v4
	v_cndmask_b32_e32 v2, v2, v8, vcc
	v_cndmask_b32_e32 v4, v6, v7, vcc
	v_mov_b32_e32 v6, 0x3b800000
	v_and_b32_e32 v3, 0x80000000, v9
	v_lshlrev_b32_e32 v2, 20, v2
	v_lshl_add_u32 v4, v4, 23, v6
	v_or3_b32 v2, v3, v4, v2
.LBB56_1020:
	s_or_b64 exec, exec, s[6:7]
	s_movk_i32 s4, 0x7f
	v_cmp_gt_i16_sdwa s[6:7], v5, s4 src0_sel:BYTE_3 src1_sel:DWORD
	s_mov_b64 s[4:5], 0
                                        ; implicit-def: $sgpr10
	s_and_saveexec_b64 s[8:9], s[6:7]
	s_xor_b64 s[6:7], exec, s[8:9]
	s_cbranch_execnz .LBB56_3069
; %bb.1021:
	s_or_saveexec_b64 s[6:7], s[6:7]
	v_mov_b32_e32 v3, s10
	s_xor_b64 exec, exec, s[6:7]
	s_cbranch_execnz .LBB56_3072
.LBB56_1022:
	s_or_b64 exec, exec, s[6:7]
	s_and_saveexec_b64 s[6:7], s[4:5]
	s_cbranch_execz .LBB56_1024
.LBB56_1023:
	v_bfe_u32 v3, v5, 24, 3
	v_ffbh_u32_e32 v8, v3
	v_min_u32_e32 v8, 32, v8
	v_lshrrev_b32_e32 v6, 27, v5
	v_subrev_u32_e32 v9, 28, v8
	v_and_b32_e32 v4, 0x80000000, v5
	v_and_b32_e32 v6, 15, v6
	v_bfe_u32 v7, v5, 27, 4
	v_lshlrev_b32_sdwa v5, v9, v5 dst_sel:DWORD dst_unused:UNUSED_PAD src0_sel:DWORD src1_sel:BYTE_3
	v_sub_u32_e32 v8, 29, v8
	v_and_b32_e32 v5, 7, v5
	v_cmp_eq_u16_e32 vcc, 0, v6
	v_cndmask_b32_e32 v3, v3, v5, vcc
	v_cndmask_b32_e32 v5, v7, v8, vcc
	v_mov_b32_e32 v6, 0x3b800000
	v_lshlrev_b32_e32 v3, 20, v3
	v_lshl_add_u32 v5, v5, 23, v6
	v_or3_b32 v3, v4, v5, v3
.LBB56_1024:
	s_or_b64 exec, exec, s[6:7]
	s_nop 0
	v_mfma_f32_16x16x4f32 a[0:3], v2, v3, a[0:3]
	s_movk_i32 s4, 0x7f
                                        ; implicit-def: $sgpr10
	s_nop 7
	s_nop 1
	flat_store_dwordx4 v[18:19], a[0:3] offset:560
	flat_load_dwordx4 v[20:23], v[0:1] offset:8
	s_nop 0
	flat_load_dwordx2 v[18:19], v[0:1] offset:24
	s_waitcnt vmcnt(0) lgkmcnt(0)
	flat_load_dwordx4 v[14:17], v[20:21]
	flat_load_dwordx4 v[6:9], v[20:21] offset:16
	flat_load_dwordx4 v[10:13], v[22:23] offset:384
	;; [unrolled: 1-line block ×3, first 2 shown]
	s_waitcnt vmcnt(0) lgkmcnt(0)
	v_cmp_gt_i16_sdwa s[6:7], v14, s4 src0_sel:BYTE_0 src1_sel:DWORD
	s_mov_b64 s[4:5], 0
	s_and_saveexec_b64 s[8:9], s[6:7]
	s_xor_b64 s[6:7], exec, s[8:9]
	s_cbranch_execnz .LBB56_3073
; %bb.1025:
	s_or_saveexec_b64 s[6:7], s[6:7]
	v_mov_b32_e32 v20, s10
	s_xor_b64 exec, exec, s[6:7]
	s_cbranch_execnz .LBB56_3076
.LBB56_1026:
	s_or_b64 exec, exec, s[6:7]
	s_and_saveexec_b64 s[6:7], s[4:5]
	s_cbranch_execz .LBB56_1028
.LBB56_1027:
	v_and_b32_e32 v20, 7, v14
	v_ffbh_u32_e32 v22, v20
	v_min_u32_e32 v22, 32, v22
	v_lshrrev_b16_e32 v21, 3, v14
	v_subrev_u32_e32 v23, 28, v22
	v_and_b32_e32 v21, 15, v21
	v_lshlrev_b32_e32 v23, v23, v14
	v_sub_u32_e32 v22, 29, v22
	v_and_b32_e32 v23, 7, v23
	v_cmp_eq_u16_e32 vcc, 0, v21
	v_cndmask_b32_e32 v20, v20, v23, vcc
	v_cndmask_b32_e32 v21, v21, v22, vcc
	v_lshlrev_b32_e32 v22, 24, v14
	v_mov_b32_e32 v23, 0x3b800000
	v_lshlrev_b32_e32 v20, 20, v20
	v_and_b32_e32 v22, 0x80000000, v22
	v_lshl_add_u32 v21, v21, 23, v23
	v_or3_b32 v20, v22, v21, v20
.LBB56_1028:
	s_or_b64 exec, exec, s[6:7]
	s_movk_i32 s4, 0x7f
	v_cmp_gt_i16_sdwa s[6:7], v10, s4 src0_sel:BYTE_0 src1_sel:DWORD
	s_mov_b64 s[4:5], 0
                                        ; implicit-def: $sgpr10
	s_and_saveexec_b64 s[8:9], s[6:7]
	s_xor_b64 s[6:7], exec, s[8:9]
	s_cbranch_execnz .LBB56_3077
; %bb.1029:
	s_or_saveexec_b64 s[6:7], s[6:7]
	v_mov_b32_e32 v21, s10
	s_xor_b64 exec, exec, s[6:7]
	s_cbranch_execnz .LBB56_3080
.LBB56_1030:
	s_or_b64 exec, exec, s[6:7]
	s_and_saveexec_b64 s[6:7], s[4:5]
	s_cbranch_execz .LBB56_1032
.LBB56_1031:
	v_and_b32_e32 v21, 7, v10
	v_ffbh_u32_e32 v23, v21
	v_min_u32_e32 v23, 32, v23
	v_lshrrev_b16_e32 v22, 3, v10
	v_subrev_u32_e32 v24, 28, v23
	v_and_b32_e32 v22, 15, v22
	v_lshlrev_b32_e32 v24, v24, v10
	v_sub_u32_e32 v23, 29, v23
	v_and_b32_e32 v24, 7, v24
	v_cmp_eq_u16_e32 vcc, 0, v22
	v_cndmask_b32_e32 v21, v21, v24, vcc
	v_cndmask_b32_e32 v22, v22, v23, vcc
	v_lshlrev_b32_e32 v23, 24, v10
	v_mov_b32_e32 v24, 0x3b800000
	v_lshlrev_b32_e32 v21, 20, v21
	v_and_b32_e32 v23, 0x80000000, v23
	v_lshl_add_u32 v22, v22, 23, v24
	v_or3_b32 v21, v23, v22, v21
.LBB56_1032:
	s_or_b64 exec, exec, s[6:7]
	flat_load_dwordx4 a[0:3], v[18:19] offset:576
	s_movk_i32 s4, 0x7f
                                        ; implicit-def: $sgpr10
	s_waitcnt vmcnt(0) lgkmcnt(0)
	v_mfma_f32_16x16x4f32 a[0:3], v20, v21, a[0:3]
	v_lshrrev_b32_e32 v21, 8, v14
	v_cmp_gt_i16_sdwa s[6:7], v21, s4 src0_sel:BYTE_0 src1_sel:DWORD
	s_mov_b64 s[4:5], 0
	s_and_saveexec_b64 s[8:9], s[6:7]
	s_xor_b64 s[6:7], exec, s[8:9]
	s_cbranch_execnz .LBB56_3081
; %bb.1033:
	s_or_saveexec_b64 s[6:7], s[6:7]
	v_mov_b32_e32 v20, s10
	s_xor_b64 exec, exec, s[6:7]
	s_cbranch_execnz .LBB56_3084
.LBB56_1034:
	s_or_b64 exec, exec, s[6:7]
	s_and_saveexec_b64 s[6:7], s[4:5]
	s_cbranch_execz .LBB56_1036
.LBB56_1035:
	v_bfe_u32 v20, v14, 8, 3
	v_ffbh_u32_e32 v23, v20
	v_min_u32_e32 v23, 32, v23
	v_lshrrev_b16_e32 v22, 3, v21
	v_subrev_u32_e32 v24, 28, v23
	v_and_b32_e32 v22, 15, v22
	v_lshlrev_b32_e32 v21, v24, v21
	v_sub_u32_e32 v23, 29, v23
	v_and_b32_e32 v21, 7, v21
	v_cmp_eq_u16_e32 vcc, 0, v22
	v_cndmask_b32_e32 v20, v20, v21, vcc
	v_cndmask_b32_e32 v21, v22, v23, vcc
	v_lshlrev_b32_e32 v22, 16, v14
	v_mov_b32_e32 v23, 0x3b800000
	v_lshlrev_b32_e32 v20, 20, v20
	v_and_b32_e32 v22, 0x80000000, v22
	v_lshl_add_u32 v21, v21, 23, v23
	v_or3_b32 v20, v22, v21, v20
.LBB56_1036:
	s_or_b64 exec, exec, s[6:7]
	v_lshrrev_b32_e32 v21, 8, v10
	s_movk_i32 s4, 0x7f
	v_cmp_gt_i16_sdwa s[6:7], v21, s4 src0_sel:BYTE_0 src1_sel:DWORD
	s_mov_b64 s[4:5], 0
                                        ; implicit-def: $sgpr10
	s_and_saveexec_b64 s[8:9], s[6:7]
	s_xor_b64 s[6:7], exec, s[8:9]
	s_cbranch_execnz .LBB56_3085
; %bb.1037:
	s_or_saveexec_b64 s[6:7], s[6:7]
	v_mov_b32_e32 v22, s10
	s_xor_b64 exec, exec, s[6:7]
	s_cbranch_execnz .LBB56_3088
.LBB56_1038:
	s_or_b64 exec, exec, s[6:7]
	s_and_saveexec_b64 s[6:7], s[4:5]
	s_cbranch_execz .LBB56_1040
.LBB56_1039:
	v_bfe_u32 v22, v10, 8, 3
	v_ffbh_u32_e32 v24, v22
	v_min_u32_e32 v24, 32, v24
	v_lshrrev_b16_e32 v23, 3, v21
	v_subrev_u32_e32 v25, 28, v24
	v_and_b32_e32 v23, 15, v23
	v_lshlrev_b32_e32 v21, v25, v21
	v_sub_u32_e32 v24, 29, v24
	v_and_b32_e32 v21, 7, v21
	v_cmp_eq_u16_e32 vcc, 0, v23
	v_cndmask_b32_e32 v21, v22, v21, vcc
	v_cndmask_b32_e32 v22, v23, v24, vcc
	v_lshlrev_b32_e32 v23, 16, v10
	v_mov_b32_e32 v24, 0x3b800000
	v_lshlrev_b32_e32 v21, 20, v21
	v_and_b32_e32 v23, 0x80000000, v23
	v_lshl_add_u32 v22, v22, 23, v24
	v_or3_b32 v22, v23, v22, v21
.LBB56_1040:
	s_or_b64 exec, exec, s[6:7]
	s_nop 0
	v_mfma_f32_16x16x4f32 a[0:3], v20, v22, a[0:3]
	s_movk_i32 s4, 0xff
	v_and_b32_sdwa v21, v14, s4 dst_sel:DWORD dst_unused:UNUSED_PAD src0_sel:WORD_1 src1_sel:DWORD
	s_movk_i32 s4, 0x7f
	v_cmp_lt_i16_e32 vcc, s4, v21
	s_mov_b64 s[4:5], 0
                                        ; implicit-def: $sgpr10
	s_and_saveexec_b64 s[6:7], vcc
	s_xor_b64 s[6:7], exec, s[6:7]
	s_cbranch_execnz .LBB56_3089
; %bb.1041:
	s_or_saveexec_b64 s[6:7], s[6:7]
	v_mov_b32_e32 v20, s10
	s_xor_b64 exec, exec, s[6:7]
	s_cbranch_execnz .LBB56_3092
.LBB56_1042:
	s_or_b64 exec, exec, s[6:7]
	s_and_saveexec_b64 s[6:7], s[4:5]
	s_cbranch_execz .LBB56_1044
.LBB56_1043:
	v_bfe_u32 v20, v14, 16, 3
	v_ffbh_u32_e32 v23, v20
	v_min_u32_e32 v23, 32, v23
	v_lshrrev_b32_e32 v21, 19, v14
	v_subrev_u32_e32 v24, 28, v23
	v_and_b32_e32 v21, 15, v21
	v_lshlrev_b32_sdwa v24, v24, v14 dst_sel:DWORD dst_unused:UNUSED_PAD src0_sel:DWORD src1_sel:WORD_1
	v_bfe_u32 v22, v14, 19, 4
	v_sub_u32_e32 v23, 29, v23
	v_and_b32_e32 v24, 7, v24
	v_cmp_eq_u16_e32 vcc, 0, v21
	v_cndmask_b32_e32 v20, v20, v24, vcc
	v_cndmask_b32_e32 v21, v22, v23, vcc
	v_lshlrev_b32_e32 v22, 8, v14
	v_mov_b32_e32 v23, 0x3b800000
	v_lshlrev_b32_e32 v20, 20, v20
	v_and_b32_e32 v22, 0x80000000, v22
	v_lshl_add_u32 v21, v21, 23, v23
	v_or3_b32 v20, v22, v21, v20
.LBB56_1044:
	s_or_b64 exec, exec, s[6:7]
	s_movk_i32 s4, 0xff
	v_and_b32_sdwa v21, v10, s4 dst_sel:DWORD dst_unused:UNUSED_PAD src0_sel:WORD_1 src1_sel:DWORD
	s_movk_i32 s4, 0x7f
	v_cmp_lt_i16_e32 vcc, s4, v21
	s_mov_b64 s[4:5], 0
                                        ; implicit-def: $sgpr10
	s_and_saveexec_b64 s[6:7], vcc
	s_xor_b64 s[6:7], exec, s[6:7]
	s_cbranch_execnz .LBB56_3093
; %bb.1045:
	s_or_saveexec_b64 s[6:7], s[6:7]
	v_mov_b32_e32 v22, s10
	s_xor_b64 exec, exec, s[6:7]
	s_cbranch_execnz .LBB56_3096
.LBB56_1046:
	s_or_b64 exec, exec, s[6:7]
	s_and_saveexec_b64 s[6:7], s[4:5]
	s_cbranch_execz .LBB56_1048
.LBB56_1047:
	v_bfe_u32 v21, v10, 16, 3
	v_ffbh_u32_e32 v24, v21
	v_min_u32_e32 v24, 32, v24
	v_lshrrev_b32_e32 v22, 19, v10
	v_subrev_u32_e32 v25, 28, v24
	v_and_b32_e32 v22, 15, v22
	v_lshlrev_b32_sdwa v25, v25, v10 dst_sel:DWORD dst_unused:UNUSED_PAD src0_sel:DWORD src1_sel:WORD_1
	v_bfe_u32 v23, v10, 19, 4
	v_sub_u32_e32 v24, 29, v24
	v_and_b32_e32 v25, 7, v25
	v_cmp_eq_u16_e32 vcc, 0, v22
	v_cndmask_b32_e32 v21, v21, v25, vcc
	v_cndmask_b32_e32 v22, v23, v24, vcc
	v_lshlrev_b32_e32 v23, 8, v10
	v_mov_b32_e32 v24, 0x3b800000
	v_lshlrev_b32_e32 v21, 20, v21
	v_and_b32_e32 v23, 0x80000000, v23
	v_lshl_add_u32 v22, v22, 23, v24
	v_or3_b32 v22, v23, v22, v21
.LBB56_1048:
	s_or_b64 exec, exec, s[6:7]
	s_nop 0
	v_mfma_f32_16x16x4f32 a[0:3], v20, v22, a[0:3]
	s_movk_i32 s4, 0x7f
	v_cmp_gt_i16_sdwa s[6:7], v14, s4 src0_sel:BYTE_3 src1_sel:DWORD
	s_mov_b64 s[4:5], 0
                                        ; implicit-def: $sgpr10
	s_and_saveexec_b64 s[8:9], s[6:7]
	s_xor_b64 s[6:7], exec, s[8:9]
	s_cbranch_execnz .LBB56_3097
; %bb.1049:
	s_or_saveexec_b64 s[6:7], s[6:7]
	v_mov_b32_e32 v20, s10
	s_xor_b64 exec, exec, s[6:7]
	s_cbranch_execnz .LBB56_3100
.LBB56_1050:
	s_or_b64 exec, exec, s[6:7]
	s_and_saveexec_b64 s[6:7], s[4:5]
	s_cbranch_execz .LBB56_1052
.LBB56_1051:
	v_bfe_u32 v20, v14, 24, 3
	v_ffbh_u32_e32 v24, v20
	v_min_u32_e32 v24, 32, v24
	v_lshrrev_b32_e32 v22, 27, v14
	v_subrev_u32_e32 v25, 28, v24
	v_and_b32_e32 v21, 0x80000000, v14
	v_and_b32_e32 v22, 15, v22
	v_bfe_u32 v23, v14, 27, 4
	v_lshlrev_b32_sdwa v14, v25, v14 dst_sel:DWORD dst_unused:UNUSED_PAD src0_sel:DWORD src1_sel:BYTE_3
	v_sub_u32_e32 v24, 29, v24
	v_and_b32_e32 v14, 7, v14
	v_cmp_eq_u16_e32 vcc, 0, v22
	v_cndmask_b32_e32 v14, v20, v14, vcc
	v_cndmask_b32_e32 v20, v23, v24, vcc
	v_mov_b32_e32 v22, 0x3b800000
	v_lshlrev_b32_e32 v14, 20, v14
	v_lshl_add_u32 v20, v20, 23, v22
	v_or3_b32 v20, v21, v20, v14
.LBB56_1052:
	s_or_b64 exec, exec, s[6:7]
	s_movk_i32 s4, 0x7f
	v_cmp_gt_i16_sdwa s[6:7], v10, s4 src0_sel:BYTE_3 src1_sel:DWORD
	s_mov_b64 s[4:5], 0
                                        ; implicit-def: $sgpr10
	s_and_saveexec_b64 s[8:9], s[6:7]
	s_xor_b64 s[6:7], exec, s[8:9]
	s_cbranch_execnz .LBB56_3101
; %bb.1053:
	s_or_saveexec_b64 s[6:7], s[6:7]
	v_mov_b32_e32 v14, s10
	s_xor_b64 exec, exec, s[6:7]
	s_cbranch_execnz .LBB56_3104
.LBB56_1054:
	s_or_b64 exec, exec, s[6:7]
	s_and_saveexec_b64 s[6:7], s[4:5]
	s_cbranch_execz .LBB56_1056
.LBB56_1055:
	v_bfe_u32 v14, v10, 24, 3
	v_ffbh_u32_e32 v24, v14
	v_min_u32_e32 v24, 32, v24
	v_lshrrev_b32_e32 v22, 27, v10
	v_subrev_u32_e32 v25, 28, v24
	v_and_b32_e32 v21, 0x80000000, v10
	v_and_b32_e32 v22, 15, v22
	v_bfe_u32 v23, v10, 27, 4
	v_lshlrev_b32_sdwa v10, v25, v10 dst_sel:DWORD dst_unused:UNUSED_PAD src0_sel:DWORD src1_sel:BYTE_3
	v_sub_u32_e32 v24, 29, v24
	v_and_b32_e32 v10, 7, v10
	v_cmp_eq_u16_e32 vcc, 0, v22
	v_cndmask_b32_e32 v10, v14, v10, vcc
	v_cndmask_b32_e32 v14, v23, v24, vcc
	v_mov_b32_e32 v22, 0x3b800000
	v_lshlrev_b32_e32 v10, 20, v10
	v_lshl_add_u32 v14, v14, 23, v22
	v_or3_b32 v14, v21, v14, v10
.LBB56_1056:
	s_or_b64 exec, exec, s[6:7]
	s_nop 0
	v_mfma_f32_16x16x4f32 a[0:3], v20, v14, a[0:3]
	s_movk_i32 s4, 0x7f
	v_cmp_gt_i16_sdwa s[6:7], v15, s4 src0_sel:BYTE_0 src1_sel:DWORD
	s_mov_b64 s[4:5], 0
                                        ; implicit-def: $sgpr10
	s_and_saveexec_b64 s[8:9], s[6:7]
	s_xor_b64 s[6:7], exec, s[8:9]
	s_cbranch_execnz .LBB56_3105
; %bb.1057:
	s_or_saveexec_b64 s[6:7], s[6:7]
	v_mov_b32_e32 v10, s10
	s_xor_b64 exec, exec, s[6:7]
	s_cbranch_execnz .LBB56_3108
.LBB56_1058:
	s_or_b64 exec, exec, s[6:7]
	s_and_saveexec_b64 s[6:7], s[4:5]
	s_cbranch_execz .LBB56_1060
.LBB56_1059:
	v_and_b32_e32 v10, 7, v15
	v_ffbh_u32_e32 v20, v10
	v_min_u32_e32 v20, 32, v20
	v_lshrrev_b16_e32 v14, 3, v15
	v_subrev_u32_e32 v21, 28, v20
	v_and_b32_e32 v14, 15, v14
	v_lshlrev_b32_e32 v21, v21, v15
	v_sub_u32_e32 v20, 29, v20
	v_and_b32_e32 v21, 7, v21
	v_cmp_eq_u16_e32 vcc, 0, v14
	v_cndmask_b32_e32 v10, v10, v21, vcc
	v_cndmask_b32_e32 v14, v14, v20, vcc
	v_lshlrev_b32_e32 v20, 24, v15
	v_mov_b32_e32 v21, 0x3b800000
	v_lshlrev_b32_e32 v10, 20, v10
	v_and_b32_e32 v20, 0x80000000, v20
	v_lshl_add_u32 v14, v14, 23, v21
	v_or3_b32 v10, v20, v14, v10
.LBB56_1060:
	s_or_b64 exec, exec, s[6:7]
	s_movk_i32 s4, 0x7f
	v_cmp_gt_i16_sdwa s[6:7], v11, s4 src0_sel:BYTE_0 src1_sel:DWORD
	s_mov_b64 s[4:5], 0
                                        ; implicit-def: $sgpr10
	s_and_saveexec_b64 s[8:9], s[6:7]
	s_xor_b64 s[6:7], exec, s[8:9]
	s_cbranch_execnz .LBB56_3109
; %bb.1061:
	s_or_saveexec_b64 s[6:7], s[6:7]
	v_mov_b32_e32 v14, s10
	s_xor_b64 exec, exec, s[6:7]
	s_cbranch_execnz .LBB56_3112
.LBB56_1062:
	s_or_b64 exec, exec, s[6:7]
	s_and_saveexec_b64 s[6:7], s[4:5]
	s_cbranch_execz .LBB56_1064
.LBB56_1063:
	v_and_b32_e32 v14, 7, v11
	v_ffbh_u32_e32 v21, v14
	v_min_u32_e32 v21, 32, v21
	v_lshrrev_b16_e32 v20, 3, v11
	v_subrev_u32_e32 v22, 28, v21
	v_and_b32_e32 v20, 15, v20
	v_lshlrev_b32_e32 v22, v22, v11
	v_sub_u32_e32 v21, 29, v21
	v_and_b32_e32 v22, 7, v22
	v_cmp_eq_u16_e32 vcc, 0, v20
	v_cndmask_b32_e32 v14, v14, v22, vcc
	v_cndmask_b32_e32 v20, v20, v21, vcc
	v_lshlrev_b32_e32 v21, 24, v11
	v_mov_b32_e32 v22, 0x3b800000
	v_lshlrev_b32_e32 v14, 20, v14
	v_and_b32_e32 v21, 0x80000000, v21
	v_lshl_add_u32 v20, v20, 23, v22
	v_or3_b32 v14, v21, v20, v14
.LBB56_1064:
	s_or_b64 exec, exec, s[6:7]
	s_nop 0
	v_mfma_f32_16x16x4f32 a[0:3], v10, v14, a[0:3]
	v_lshrrev_b32_e32 v14, 8, v15
	s_movk_i32 s4, 0x7f
	v_cmp_gt_i16_sdwa s[6:7], v14, s4 src0_sel:BYTE_0 src1_sel:DWORD
	s_mov_b64 s[4:5], 0
                                        ; implicit-def: $sgpr10
	s_and_saveexec_b64 s[8:9], s[6:7]
	s_xor_b64 s[6:7], exec, s[8:9]
	s_cbranch_execnz .LBB56_3113
; %bb.1065:
	s_or_saveexec_b64 s[6:7], s[6:7]
	v_mov_b32_e32 v10, s10
	s_xor_b64 exec, exec, s[6:7]
	s_cbranch_execnz .LBB56_3116
.LBB56_1066:
	s_or_b64 exec, exec, s[6:7]
	s_and_saveexec_b64 s[6:7], s[4:5]
	s_cbranch_execz .LBB56_1068
.LBB56_1067:
	v_bfe_u32 v10, v15, 8, 3
	v_ffbh_u32_e32 v21, v10
	v_min_u32_e32 v21, 32, v21
	v_lshrrev_b16_e32 v20, 3, v14
	v_subrev_u32_e32 v22, 28, v21
	v_and_b32_e32 v20, 15, v20
	v_lshlrev_b32_e32 v14, v22, v14
	v_sub_u32_e32 v21, 29, v21
	v_and_b32_e32 v14, 7, v14
	v_cmp_eq_u16_e32 vcc, 0, v20
	v_cndmask_b32_e32 v10, v10, v14, vcc
	v_cndmask_b32_e32 v14, v20, v21, vcc
	v_lshlrev_b32_e32 v20, 16, v15
	v_mov_b32_e32 v21, 0x3b800000
	v_lshlrev_b32_e32 v10, 20, v10
	v_and_b32_e32 v20, 0x80000000, v20
	v_lshl_add_u32 v14, v14, 23, v21
	v_or3_b32 v10, v20, v14, v10
.LBB56_1068:
	s_or_b64 exec, exec, s[6:7]
	v_lshrrev_b32_e32 v14, 8, v11
	s_movk_i32 s4, 0x7f
	v_cmp_gt_i16_sdwa s[6:7], v14, s4 src0_sel:BYTE_0 src1_sel:DWORD
	s_mov_b64 s[4:5], 0
                                        ; implicit-def: $sgpr10
	s_and_saveexec_b64 s[8:9], s[6:7]
	s_xor_b64 s[6:7], exec, s[8:9]
	s_cbranch_execnz .LBB56_3117
; %bb.1069:
	s_or_saveexec_b64 s[6:7], s[6:7]
	v_mov_b32_e32 v20, s10
	s_xor_b64 exec, exec, s[6:7]
	s_cbranch_execnz .LBB56_3120
.LBB56_1070:
	s_or_b64 exec, exec, s[6:7]
	s_and_saveexec_b64 s[6:7], s[4:5]
	s_cbranch_execz .LBB56_1072
.LBB56_1071:
	v_bfe_u32 v20, v11, 8, 3
	v_ffbh_u32_e32 v22, v20
	v_min_u32_e32 v22, 32, v22
	v_lshrrev_b16_e32 v21, 3, v14
	v_subrev_u32_e32 v23, 28, v22
	v_and_b32_e32 v21, 15, v21
	v_lshlrev_b32_e32 v14, v23, v14
	v_sub_u32_e32 v22, 29, v22
	v_and_b32_e32 v14, 7, v14
	v_cmp_eq_u16_e32 vcc, 0, v21
	v_cndmask_b32_e32 v14, v20, v14, vcc
	v_cndmask_b32_e32 v20, v21, v22, vcc
	v_lshlrev_b32_e32 v21, 16, v11
	v_mov_b32_e32 v22, 0x3b800000
	v_lshlrev_b32_e32 v14, 20, v14
	v_and_b32_e32 v21, 0x80000000, v21
	v_lshl_add_u32 v20, v20, 23, v22
	v_or3_b32 v20, v21, v20, v14
.LBB56_1072:
	s_or_b64 exec, exec, s[6:7]
	s_nop 0
	v_mfma_f32_16x16x4f32 a[0:3], v10, v20, a[0:3]
	s_movk_i32 s4, 0xff
	v_and_b32_sdwa v14, v15, s4 dst_sel:DWORD dst_unused:UNUSED_PAD src0_sel:WORD_1 src1_sel:DWORD
	s_movk_i32 s4, 0x7f
	v_cmp_lt_i16_e32 vcc, s4, v14
	s_mov_b64 s[4:5], 0
                                        ; implicit-def: $sgpr10
	s_and_saveexec_b64 s[6:7], vcc
	s_xor_b64 s[6:7], exec, s[6:7]
	s_cbranch_execnz .LBB56_3121
; %bb.1073:
	s_or_saveexec_b64 s[6:7], s[6:7]
	v_mov_b32_e32 v10, s10
	s_xor_b64 exec, exec, s[6:7]
	s_cbranch_execnz .LBB56_3124
.LBB56_1074:
	s_or_b64 exec, exec, s[6:7]
	s_and_saveexec_b64 s[6:7], s[4:5]
	s_cbranch_execz .LBB56_1076
.LBB56_1075:
	v_bfe_u32 v10, v15, 16, 3
	v_ffbh_u32_e32 v21, v10
	v_min_u32_e32 v21, 32, v21
	v_lshrrev_b32_e32 v14, 19, v15
	v_subrev_u32_e32 v22, 28, v21
	v_and_b32_e32 v14, 15, v14
	v_lshlrev_b32_sdwa v22, v22, v15 dst_sel:DWORD dst_unused:UNUSED_PAD src0_sel:DWORD src1_sel:WORD_1
	v_bfe_u32 v20, v15, 19, 4
	v_sub_u32_e32 v21, 29, v21
	v_and_b32_e32 v22, 7, v22
	v_cmp_eq_u16_e32 vcc, 0, v14
	v_cndmask_b32_e32 v10, v10, v22, vcc
	v_cndmask_b32_e32 v14, v20, v21, vcc
	v_lshlrev_b32_e32 v20, 8, v15
	v_mov_b32_e32 v21, 0x3b800000
	v_lshlrev_b32_e32 v10, 20, v10
	v_and_b32_e32 v20, 0x80000000, v20
	v_lshl_add_u32 v14, v14, 23, v21
	v_or3_b32 v10, v20, v14, v10
.LBB56_1076:
	s_or_b64 exec, exec, s[6:7]
	s_movk_i32 s4, 0xff
	v_and_b32_sdwa v14, v11, s4 dst_sel:DWORD dst_unused:UNUSED_PAD src0_sel:WORD_1 src1_sel:DWORD
	s_movk_i32 s4, 0x7f
	v_cmp_lt_i16_e32 vcc, s4, v14
	s_mov_b64 s[4:5], 0
                                        ; implicit-def: $sgpr10
	s_and_saveexec_b64 s[6:7], vcc
	s_xor_b64 s[6:7], exec, s[6:7]
	s_cbranch_execnz .LBB56_3125
; %bb.1077:
	s_or_saveexec_b64 s[6:7], s[6:7]
	v_mov_b32_e32 v20, s10
	s_xor_b64 exec, exec, s[6:7]
	s_cbranch_execnz .LBB56_3128
.LBB56_1078:
	s_or_b64 exec, exec, s[6:7]
	s_and_saveexec_b64 s[6:7], s[4:5]
	s_cbranch_execz .LBB56_1080
.LBB56_1079:
	v_bfe_u32 v14, v11, 16, 3
	v_ffbh_u32_e32 v22, v14
	v_min_u32_e32 v22, 32, v22
	v_lshrrev_b32_e32 v20, 19, v11
	v_subrev_u32_e32 v23, 28, v22
	v_and_b32_e32 v20, 15, v20
	v_lshlrev_b32_sdwa v23, v23, v11 dst_sel:DWORD dst_unused:UNUSED_PAD src0_sel:DWORD src1_sel:WORD_1
	v_bfe_u32 v21, v11, 19, 4
	v_sub_u32_e32 v22, 29, v22
	v_and_b32_e32 v23, 7, v23
	v_cmp_eq_u16_e32 vcc, 0, v20
	v_cndmask_b32_e32 v14, v14, v23, vcc
	v_cndmask_b32_e32 v20, v21, v22, vcc
	v_lshlrev_b32_e32 v21, 8, v11
	v_mov_b32_e32 v22, 0x3b800000
	v_lshlrev_b32_e32 v14, 20, v14
	v_and_b32_e32 v21, 0x80000000, v21
	v_lshl_add_u32 v20, v20, 23, v22
	v_or3_b32 v20, v21, v20, v14
.LBB56_1080:
	s_or_b64 exec, exec, s[6:7]
	s_nop 0
	v_mfma_f32_16x16x4f32 a[0:3], v10, v20, a[0:3]
	s_movk_i32 s4, 0x7f
	v_cmp_gt_i16_sdwa s[6:7], v15, s4 src0_sel:BYTE_3 src1_sel:DWORD
	s_mov_b64 s[4:5], 0
                                        ; implicit-def: $sgpr10
	s_and_saveexec_b64 s[8:9], s[6:7]
	s_xor_b64 s[6:7], exec, s[8:9]
	s_cbranch_execnz .LBB56_3129
; %bb.1081:
	s_or_saveexec_b64 s[6:7], s[6:7]
	v_mov_b32_e32 v10, s10
	s_xor_b64 exec, exec, s[6:7]
	s_cbranch_execnz .LBB56_3132
.LBB56_1082:
	s_or_b64 exec, exec, s[6:7]
	s_and_saveexec_b64 s[6:7], s[4:5]
	s_cbranch_execz .LBB56_1084
.LBB56_1083:
	v_bfe_u32 v10, v15, 24, 3
	v_ffbh_u32_e32 v22, v10
	v_min_u32_e32 v22, 32, v22
	v_lshrrev_b32_e32 v20, 27, v15
	v_subrev_u32_e32 v23, 28, v22
	v_and_b32_e32 v14, 0x80000000, v15
	v_and_b32_e32 v20, 15, v20
	v_bfe_u32 v21, v15, 27, 4
	v_lshlrev_b32_sdwa v15, v23, v15 dst_sel:DWORD dst_unused:UNUSED_PAD src0_sel:DWORD src1_sel:BYTE_3
	v_sub_u32_e32 v22, 29, v22
	v_and_b32_e32 v15, 7, v15
	v_cmp_eq_u16_e32 vcc, 0, v20
	v_cndmask_b32_e32 v10, v10, v15, vcc
	v_cndmask_b32_e32 v15, v21, v22, vcc
	v_mov_b32_e32 v20, 0x3b800000
	v_lshlrev_b32_e32 v10, 20, v10
	v_lshl_add_u32 v15, v15, 23, v20
	v_or3_b32 v10, v14, v15, v10
.LBB56_1084:
	s_or_b64 exec, exec, s[6:7]
	s_movk_i32 s4, 0x7f
	v_cmp_gt_i16_sdwa s[6:7], v11, s4 src0_sel:BYTE_3 src1_sel:DWORD
	s_mov_b64 s[4:5], 0
                                        ; implicit-def: $sgpr10
	s_and_saveexec_b64 s[8:9], s[6:7]
	s_xor_b64 s[6:7], exec, s[8:9]
	s_cbranch_execnz .LBB56_3133
; %bb.1085:
	s_or_saveexec_b64 s[6:7], s[6:7]
	v_mov_b32_e32 v14, s10
	s_xor_b64 exec, exec, s[6:7]
	s_cbranch_execnz .LBB56_3136
.LBB56_1086:
	s_or_b64 exec, exec, s[6:7]
	s_and_saveexec_b64 s[6:7], s[4:5]
	s_cbranch_execz .LBB56_1088
.LBB56_1087:
	v_bfe_u32 v14, v11, 24, 3
	v_ffbh_u32_e32 v22, v14
	v_min_u32_e32 v22, 32, v22
	v_lshrrev_b32_e32 v20, 27, v11
	v_subrev_u32_e32 v23, 28, v22
	v_and_b32_e32 v15, 0x80000000, v11
	v_and_b32_e32 v20, 15, v20
	v_bfe_u32 v21, v11, 27, 4
	v_lshlrev_b32_sdwa v11, v23, v11 dst_sel:DWORD dst_unused:UNUSED_PAD src0_sel:DWORD src1_sel:BYTE_3
	v_sub_u32_e32 v22, 29, v22
	v_and_b32_e32 v11, 7, v11
	v_cmp_eq_u16_e32 vcc, 0, v20
	v_cndmask_b32_e32 v11, v14, v11, vcc
	v_cndmask_b32_e32 v14, v21, v22, vcc
	v_mov_b32_e32 v20, 0x3b800000
	v_lshlrev_b32_e32 v11, 20, v11
	v_lshl_add_u32 v14, v14, 23, v20
	v_or3_b32 v14, v15, v14, v11
.LBB56_1088:
	s_or_b64 exec, exec, s[6:7]
	s_nop 0
	v_mfma_f32_16x16x4f32 a[0:3], v10, v14, a[0:3]
	s_movk_i32 s4, 0x7f
	v_cmp_gt_i16_sdwa s[6:7], v16, s4 src0_sel:BYTE_0 src1_sel:DWORD
	s_mov_b64 s[4:5], 0
                                        ; implicit-def: $sgpr10
	s_and_saveexec_b64 s[8:9], s[6:7]
	s_xor_b64 s[6:7], exec, s[8:9]
	s_cbranch_execnz .LBB56_3137
; %bb.1089:
	s_or_saveexec_b64 s[6:7], s[6:7]
	v_mov_b32_e32 v10, s10
	s_xor_b64 exec, exec, s[6:7]
	s_cbranch_execnz .LBB56_3140
.LBB56_1090:
	s_or_b64 exec, exec, s[6:7]
	s_and_saveexec_b64 s[6:7], s[4:5]
	s_cbranch_execz .LBB56_1092
.LBB56_1091:
	v_and_b32_e32 v10, 7, v16
	v_ffbh_u32_e32 v14, v10
	v_min_u32_e32 v14, 32, v14
	v_lshrrev_b16_e32 v11, 3, v16
	v_subrev_u32_e32 v15, 28, v14
	v_and_b32_e32 v11, 15, v11
	v_lshlrev_b32_e32 v15, v15, v16
	v_sub_u32_e32 v14, 29, v14
	v_and_b32_e32 v15, 7, v15
	v_cmp_eq_u16_e32 vcc, 0, v11
	v_cndmask_b32_e32 v10, v10, v15, vcc
	v_cndmask_b32_e32 v11, v11, v14, vcc
	v_lshlrev_b32_e32 v14, 24, v16
	v_mov_b32_e32 v15, 0x3b800000
	v_lshlrev_b32_e32 v10, 20, v10
	v_and_b32_e32 v14, 0x80000000, v14
	v_lshl_add_u32 v11, v11, 23, v15
	v_or3_b32 v10, v14, v11, v10
.LBB56_1092:
	s_or_b64 exec, exec, s[6:7]
	s_movk_i32 s4, 0x7f
	v_cmp_gt_i16_sdwa s[6:7], v12, s4 src0_sel:BYTE_0 src1_sel:DWORD
	s_mov_b64 s[4:5], 0
                                        ; implicit-def: $sgpr10
	s_and_saveexec_b64 s[8:9], s[6:7]
	s_xor_b64 s[6:7], exec, s[8:9]
	s_cbranch_execnz .LBB56_3141
; %bb.1093:
	s_or_saveexec_b64 s[6:7], s[6:7]
	v_mov_b32_e32 v11, s10
	s_xor_b64 exec, exec, s[6:7]
	s_cbranch_execnz .LBB56_3144
.LBB56_1094:
	s_or_b64 exec, exec, s[6:7]
	s_and_saveexec_b64 s[6:7], s[4:5]
	s_cbranch_execz .LBB56_1096
.LBB56_1095:
	v_and_b32_e32 v11, 7, v12
	v_ffbh_u32_e32 v15, v11
	v_min_u32_e32 v15, 32, v15
	v_lshrrev_b16_e32 v14, 3, v12
	v_subrev_u32_e32 v20, 28, v15
	v_and_b32_e32 v14, 15, v14
	v_lshlrev_b32_e32 v20, v20, v12
	v_sub_u32_e32 v15, 29, v15
	v_and_b32_e32 v20, 7, v20
	v_cmp_eq_u16_e32 vcc, 0, v14
	v_cndmask_b32_e32 v11, v11, v20, vcc
	v_cndmask_b32_e32 v14, v14, v15, vcc
	v_lshlrev_b32_e32 v15, 24, v12
	v_mov_b32_e32 v20, 0x3b800000
	v_lshlrev_b32_e32 v11, 20, v11
	v_and_b32_e32 v15, 0x80000000, v15
	v_lshl_add_u32 v14, v14, 23, v20
	v_or3_b32 v11, v15, v14, v11
.LBB56_1096:
	s_or_b64 exec, exec, s[6:7]
	s_nop 0
	v_mfma_f32_16x16x4f32 a[0:3], v10, v11, a[0:3]
	v_lshrrev_b32_e32 v11, 8, v16
	s_movk_i32 s4, 0x7f
	v_cmp_gt_i16_sdwa s[6:7], v11, s4 src0_sel:BYTE_0 src1_sel:DWORD
	s_mov_b64 s[4:5], 0
                                        ; implicit-def: $sgpr10
	s_and_saveexec_b64 s[8:9], s[6:7]
	s_xor_b64 s[6:7], exec, s[8:9]
	s_cbranch_execnz .LBB56_3145
; %bb.1097:
	s_or_saveexec_b64 s[6:7], s[6:7]
	v_mov_b32_e32 v10, s10
	s_xor_b64 exec, exec, s[6:7]
	s_cbranch_execnz .LBB56_3148
.LBB56_1098:
	s_or_b64 exec, exec, s[6:7]
	s_and_saveexec_b64 s[6:7], s[4:5]
	s_cbranch_execz .LBB56_1100
.LBB56_1099:
	v_bfe_u32 v10, v16, 8, 3
	v_ffbh_u32_e32 v15, v10
	v_min_u32_e32 v15, 32, v15
	v_lshrrev_b16_e32 v14, 3, v11
	v_subrev_u32_e32 v20, 28, v15
	v_and_b32_e32 v14, 15, v14
	v_lshlrev_b32_e32 v11, v20, v11
	v_sub_u32_e32 v15, 29, v15
	v_and_b32_e32 v11, 7, v11
	v_cmp_eq_u16_e32 vcc, 0, v14
	v_cndmask_b32_e32 v10, v10, v11, vcc
	v_cndmask_b32_e32 v11, v14, v15, vcc
	v_lshlrev_b32_e32 v14, 16, v16
	v_mov_b32_e32 v15, 0x3b800000
	v_lshlrev_b32_e32 v10, 20, v10
	v_and_b32_e32 v14, 0x80000000, v14
	v_lshl_add_u32 v11, v11, 23, v15
	v_or3_b32 v10, v14, v11, v10
.LBB56_1100:
	s_or_b64 exec, exec, s[6:7]
	v_lshrrev_b32_e32 v11, 8, v12
	s_movk_i32 s4, 0x7f
	v_cmp_gt_i16_sdwa s[6:7], v11, s4 src0_sel:BYTE_0 src1_sel:DWORD
	s_mov_b64 s[4:5], 0
                                        ; implicit-def: $sgpr10
	s_and_saveexec_b64 s[8:9], s[6:7]
	s_xor_b64 s[6:7], exec, s[8:9]
	s_cbranch_execnz .LBB56_3149
; %bb.1101:
	s_or_saveexec_b64 s[6:7], s[6:7]
	v_mov_b32_e32 v14, s10
	s_xor_b64 exec, exec, s[6:7]
	s_cbranch_execnz .LBB56_3152
.LBB56_1102:
	s_or_b64 exec, exec, s[6:7]
	s_and_saveexec_b64 s[6:7], s[4:5]
	s_cbranch_execz .LBB56_1104
.LBB56_1103:
	v_bfe_u32 v14, v12, 8, 3
	v_ffbh_u32_e32 v20, v14
	v_min_u32_e32 v20, 32, v20
	v_lshrrev_b16_e32 v15, 3, v11
	v_subrev_u32_e32 v21, 28, v20
	v_and_b32_e32 v15, 15, v15
	v_lshlrev_b32_e32 v11, v21, v11
	v_sub_u32_e32 v20, 29, v20
	v_and_b32_e32 v11, 7, v11
	v_cmp_eq_u16_e32 vcc, 0, v15
	v_cndmask_b32_e32 v11, v14, v11, vcc
	v_cndmask_b32_e32 v14, v15, v20, vcc
	v_lshlrev_b32_e32 v15, 16, v12
	v_mov_b32_e32 v20, 0x3b800000
	v_lshlrev_b32_e32 v11, 20, v11
	v_and_b32_e32 v15, 0x80000000, v15
	v_lshl_add_u32 v14, v14, 23, v20
	v_or3_b32 v14, v15, v14, v11
.LBB56_1104:
	s_or_b64 exec, exec, s[6:7]
	s_nop 0
	v_mfma_f32_16x16x4f32 a[0:3], v10, v14, a[0:3]
	s_movk_i32 s4, 0xff
	v_and_b32_sdwa v11, v16, s4 dst_sel:DWORD dst_unused:UNUSED_PAD src0_sel:WORD_1 src1_sel:DWORD
	s_movk_i32 s4, 0x7f
	v_cmp_lt_i16_e32 vcc, s4, v11
	s_mov_b64 s[4:5], 0
                                        ; implicit-def: $sgpr10
	s_and_saveexec_b64 s[6:7], vcc
	s_xor_b64 s[6:7], exec, s[6:7]
	s_cbranch_execnz .LBB56_3153
; %bb.1105:
	s_or_saveexec_b64 s[6:7], s[6:7]
	v_mov_b32_e32 v10, s10
	s_xor_b64 exec, exec, s[6:7]
	s_cbranch_execnz .LBB56_3156
.LBB56_1106:
	s_or_b64 exec, exec, s[6:7]
	s_and_saveexec_b64 s[6:7], s[4:5]
	s_cbranch_execz .LBB56_1108
.LBB56_1107:
	v_bfe_u32 v10, v16, 16, 3
	v_ffbh_u32_e32 v15, v10
	v_min_u32_e32 v15, 32, v15
	v_lshrrev_b32_e32 v11, 19, v16
	v_subrev_u32_e32 v20, 28, v15
	v_and_b32_e32 v11, 15, v11
	v_lshlrev_b32_sdwa v20, v20, v16 dst_sel:DWORD dst_unused:UNUSED_PAD src0_sel:DWORD src1_sel:WORD_1
	v_bfe_u32 v14, v16, 19, 4
	v_sub_u32_e32 v15, 29, v15
	v_and_b32_e32 v20, 7, v20
	v_cmp_eq_u16_e32 vcc, 0, v11
	v_cndmask_b32_e32 v10, v10, v20, vcc
	v_cndmask_b32_e32 v11, v14, v15, vcc
	v_lshlrev_b32_e32 v14, 8, v16
	v_mov_b32_e32 v15, 0x3b800000
	v_lshlrev_b32_e32 v10, 20, v10
	v_and_b32_e32 v14, 0x80000000, v14
	v_lshl_add_u32 v11, v11, 23, v15
	v_or3_b32 v10, v14, v11, v10
.LBB56_1108:
	s_or_b64 exec, exec, s[6:7]
	s_movk_i32 s4, 0xff
	v_and_b32_sdwa v11, v12, s4 dst_sel:DWORD dst_unused:UNUSED_PAD src0_sel:WORD_1 src1_sel:DWORD
	s_movk_i32 s4, 0x7f
	v_cmp_lt_i16_e32 vcc, s4, v11
	s_mov_b64 s[4:5], 0
                                        ; implicit-def: $sgpr10
	s_and_saveexec_b64 s[6:7], vcc
	s_xor_b64 s[6:7], exec, s[6:7]
	s_cbranch_execnz .LBB56_3157
; %bb.1109:
	s_or_saveexec_b64 s[6:7], s[6:7]
	v_mov_b32_e32 v14, s10
	s_xor_b64 exec, exec, s[6:7]
	s_cbranch_execnz .LBB56_3160
.LBB56_1110:
	s_or_b64 exec, exec, s[6:7]
	s_and_saveexec_b64 s[6:7], s[4:5]
	s_cbranch_execz .LBB56_1112
.LBB56_1111:
	v_bfe_u32 v11, v12, 16, 3
	v_ffbh_u32_e32 v20, v11
	v_min_u32_e32 v20, 32, v20
	v_lshrrev_b32_e32 v14, 19, v12
	v_subrev_u32_e32 v21, 28, v20
	v_and_b32_e32 v14, 15, v14
	v_lshlrev_b32_sdwa v21, v21, v12 dst_sel:DWORD dst_unused:UNUSED_PAD src0_sel:DWORD src1_sel:WORD_1
	v_bfe_u32 v15, v12, 19, 4
	v_sub_u32_e32 v20, 29, v20
	v_and_b32_e32 v21, 7, v21
	v_cmp_eq_u16_e32 vcc, 0, v14
	v_cndmask_b32_e32 v11, v11, v21, vcc
	v_cndmask_b32_e32 v14, v15, v20, vcc
	v_lshlrev_b32_e32 v15, 8, v12
	v_mov_b32_e32 v20, 0x3b800000
	v_lshlrev_b32_e32 v11, 20, v11
	v_and_b32_e32 v15, 0x80000000, v15
	v_lshl_add_u32 v14, v14, 23, v20
	v_or3_b32 v14, v15, v14, v11
.LBB56_1112:
	s_or_b64 exec, exec, s[6:7]
	s_nop 0
	v_mfma_f32_16x16x4f32 a[0:3], v10, v14, a[0:3]
	s_movk_i32 s4, 0x7f
	v_cmp_gt_i16_sdwa s[6:7], v16, s4 src0_sel:BYTE_3 src1_sel:DWORD
	s_mov_b64 s[4:5], 0
                                        ; implicit-def: $sgpr10
	s_and_saveexec_b64 s[8:9], s[6:7]
	s_xor_b64 s[6:7], exec, s[8:9]
	s_cbranch_execnz .LBB56_3161
; %bb.1113:
	s_or_saveexec_b64 s[6:7], s[6:7]
	v_mov_b32_e32 v10, s10
	s_xor_b64 exec, exec, s[6:7]
	s_cbranch_execnz .LBB56_3164
.LBB56_1114:
	s_or_b64 exec, exec, s[6:7]
	s_and_saveexec_b64 s[6:7], s[4:5]
	s_cbranch_execz .LBB56_1116
.LBB56_1115:
	v_bfe_u32 v10, v16, 24, 3
	v_ffbh_u32_e32 v20, v10
	v_min_u32_e32 v20, 32, v20
	v_lshrrev_b32_e32 v14, 27, v16
	v_subrev_u32_e32 v21, 28, v20
	v_and_b32_e32 v11, 0x80000000, v16
	v_and_b32_e32 v14, 15, v14
	v_bfe_u32 v15, v16, 27, 4
	v_lshlrev_b32_sdwa v16, v21, v16 dst_sel:DWORD dst_unused:UNUSED_PAD src0_sel:DWORD src1_sel:BYTE_3
	v_sub_u32_e32 v20, 29, v20
	v_and_b32_e32 v16, 7, v16
	v_cmp_eq_u16_e32 vcc, 0, v14
	v_cndmask_b32_e32 v10, v10, v16, vcc
	v_cndmask_b32_e32 v14, v15, v20, vcc
	v_mov_b32_e32 v15, 0x3b800000
	v_lshlrev_b32_e32 v10, 20, v10
	v_lshl_add_u32 v14, v14, 23, v15
	v_or3_b32 v10, v11, v14, v10
.LBB56_1116:
	s_or_b64 exec, exec, s[6:7]
	s_movk_i32 s4, 0x7f
	v_cmp_gt_i16_sdwa s[6:7], v12, s4 src0_sel:BYTE_3 src1_sel:DWORD
	s_mov_b64 s[4:5], 0
                                        ; implicit-def: $sgpr10
	s_and_saveexec_b64 s[8:9], s[6:7]
	s_xor_b64 s[6:7], exec, s[8:9]
	s_cbranch_execnz .LBB56_3165
; %bb.1117:
	s_or_saveexec_b64 s[6:7], s[6:7]
	v_mov_b32_e32 v11, s10
	s_xor_b64 exec, exec, s[6:7]
	s_cbranch_execnz .LBB56_3168
.LBB56_1118:
	s_or_b64 exec, exec, s[6:7]
	s_and_saveexec_b64 s[6:7], s[4:5]
	s_cbranch_execz .LBB56_1120
.LBB56_1119:
	v_bfe_u32 v11, v12, 24, 3
	v_ffbh_u32_e32 v20, v11
	v_min_u32_e32 v20, 32, v20
	v_lshrrev_b32_e32 v15, 27, v12
	v_subrev_u32_e32 v21, 28, v20
	v_and_b32_e32 v14, 0x80000000, v12
	v_and_b32_e32 v15, 15, v15
	v_bfe_u32 v16, v12, 27, 4
	v_lshlrev_b32_sdwa v12, v21, v12 dst_sel:DWORD dst_unused:UNUSED_PAD src0_sel:DWORD src1_sel:BYTE_3
	v_sub_u32_e32 v20, 29, v20
	v_and_b32_e32 v12, 7, v12
	v_cmp_eq_u16_e32 vcc, 0, v15
	v_cndmask_b32_e32 v11, v11, v12, vcc
	v_cndmask_b32_e32 v12, v16, v20, vcc
	v_mov_b32_e32 v15, 0x3b800000
	v_lshlrev_b32_e32 v11, 20, v11
	v_lshl_add_u32 v12, v12, 23, v15
	v_or3_b32 v11, v14, v12, v11
.LBB56_1120:
	s_or_b64 exec, exec, s[6:7]
	s_nop 0
	v_mfma_f32_16x16x4f32 a[0:3], v10, v11, a[0:3]
	s_movk_i32 s4, 0x7f
	v_cmp_gt_i16_sdwa s[6:7], v17, s4 src0_sel:BYTE_0 src1_sel:DWORD
	s_mov_b64 s[4:5], 0
                                        ; implicit-def: $sgpr10
	s_and_saveexec_b64 s[8:9], s[6:7]
	s_xor_b64 s[6:7], exec, s[8:9]
	s_cbranch_execnz .LBB56_3169
; %bb.1121:
	s_or_saveexec_b64 s[6:7], s[6:7]
	v_mov_b32_e32 v10, s10
	s_xor_b64 exec, exec, s[6:7]
	s_cbranch_execnz .LBB56_3172
.LBB56_1122:
	s_or_b64 exec, exec, s[6:7]
	s_and_saveexec_b64 s[6:7], s[4:5]
	s_cbranch_execz .LBB56_1124
.LBB56_1123:
	v_and_b32_e32 v10, 7, v17
	v_ffbh_u32_e32 v12, v10
	v_min_u32_e32 v12, 32, v12
	v_lshrrev_b16_e32 v11, 3, v17
	v_subrev_u32_e32 v14, 28, v12
	v_and_b32_e32 v11, 15, v11
	v_lshlrev_b32_e32 v14, v14, v17
	v_sub_u32_e32 v12, 29, v12
	v_and_b32_e32 v14, 7, v14
	v_cmp_eq_u16_e32 vcc, 0, v11
	v_cndmask_b32_e32 v10, v10, v14, vcc
	v_cndmask_b32_e32 v11, v11, v12, vcc
	v_lshlrev_b32_e32 v12, 24, v17
	v_mov_b32_e32 v14, 0x3b800000
	v_lshlrev_b32_e32 v10, 20, v10
	v_and_b32_e32 v12, 0x80000000, v12
	v_lshl_add_u32 v11, v11, 23, v14
	v_or3_b32 v10, v12, v11, v10
.LBB56_1124:
	s_or_b64 exec, exec, s[6:7]
	s_movk_i32 s4, 0x7f
	v_cmp_gt_i16_sdwa s[6:7], v13, s4 src0_sel:BYTE_0 src1_sel:DWORD
	s_mov_b64 s[4:5], 0
                                        ; implicit-def: $sgpr10
	s_and_saveexec_b64 s[8:9], s[6:7]
	s_xor_b64 s[6:7], exec, s[8:9]
	s_cbranch_execnz .LBB56_3173
; %bb.1125:
	s_or_saveexec_b64 s[6:7], s[6:7]
	v_mov_b32_e32 v11, s10
	s_xor_b64 exec, exec, s[6:7]
	s_cbranch_execnz .LBB56_3176
.LBB56_1126:
	s_or_b64 exec, exec, s[6:7]
	s_and_saveexec_b64 s[6:7], s[4:5]
	s_cbranch_execz .LBB56_1128
.LBB56_1127:
	v_and_b32_e32 v11, 7, v13
	v_ffbh_u32_e32 v14, v11
	v_min_u32_e32 v14, 32, v14
	v_lshrrev_b16_e32 v12, 3, v13
	v_subrev_u32_e32 v15, 28, v14
	v_and_b32_e32 v12, 15, v12
	v_lshlrev_b32_e32 v15, v15, v13
	v_sub_u32_e32 v14, 29, v14
	v_and_b32_e32 v15, 7, v15
	v_cmp_eq_u16_e32 vcc, 0, v12
	v_cndmask_b32_e32 v11, v11, v15, vcc
	v_cndmask_b32_e32 v12, v12, v14, vcc
	v_lshlrev_b32_e32 v14, 24, v13
	v_mov_b32_e32 v15, 0x3b800000
	v_lshlrev_b32_e32 v11, 20, v11
	v_and_b32_e32 v14, 0x80000000, v14
	v_lshl_add_u32 v12, v12, 23, v15
	v_or3_b32 v11, v14, v12, v11
.LBB56_1128:
	s_or_b64 exec, exec, s[6:7]
	s_nop 0
	v_mfma_f32_16x16x4f32 a[0:3], v10, v11, a[0:3]
	v_lshrrev_b32_e32 v11, 8, v17
	s_movk_i32 s4, 0x7f
	v_cmp_gt_i16_sdwa s[6:7], v11, s4 src0_sel:BYTE_0 src1_sel:DWORD
	s_mov_b64 s[4:5], 0
                                        ; implicit-def: $sgpr10
	s_and_saveexec_b64 s[8:9], s[6:7]
	s_xor_b64 s[6:7], exec, s[8:9]
	s_cbranch_execnz .LBB56_3177
; %bb.1129:
	s_or_saveexec_b64 s[6:7], s[6:7]
	v_mov_b32_e32 v10, s10
	s_xor_b64 exec, exec, s[6:7]
	s_cbranch_execnz .LBB56_3180
.LBB56_1130:
	s_or_b64 exec, exec, s[6:7]
	s_and_saveexec_b64 s[6:7], s[4:5]
	s_cbranch_execz .LBB56_1132
.LBB56_1131:
	v_bfe_u32 v10, v17, 8, 3
	v_ffbh_u32_e32 v14, v10
	v_min_u32_e32 v14, 32, v14
	v_lshrrev_b16_e32 v12, 3, v11
	v_subrev_u32_e32 v15, 28, v14
	v_and_b32_e32 v12, 15, v12
	v_lshlrev_b32_e32 v11, v15, v11
	v_sub_u32_e32 v14, 29, v14
	v_and_b32_e32 v11, 7, v11
	v_cmp_eq_u16_e32 vcc, 0, v12
	v_cndmask_b32_e32 v10, v10, v11, vcc
	v_cndmask_b32_e32 v11, v12, v14, vcc
	v_lshlrev_b32_e32 v12, 16, v17
	v_mov_b32_e32 v14, 0x3b800000
	v_lshlrev_b32_e32 v10, 20, v10
	v_and_b32_e32 v12, 0x80000000, v12
	v_lshl_add_u32 v11, v11, 23, v14
	v_or3_b32 v10, v12, v11, v10
.LBB56_1132:
	s_or_b64 exec, exec, s[6:7]
	v_lshrrev_b32_e32 v11, 8, v13
	s_movk_i32 s4, 0x7f
	v_cmp_gt_i16_sdwa s[6:7], v11, s4 src0_sel:BYTE_0 src1_sel:DWORD
	s_mov_b64 s[4:5], 0
                                        ; implicit-def: $sgpr10
	s_and_saveexec_b64 s[8:9], s[6:7]
	s_xor_b64 s[6:7], exec, s[8:9]
	s_cbranch_execnz .LBB56_3181
; %bb.1133:
	s_or_saveexec_b64 s[6:7], s[6:7]
	v_mov_b32_e32 v12, s10
	s_xor_b64 exec, exec, s[6:7]
	s_cbranch_execnz .LBB56_3184
.LBB56_1134:
	s_or_b64 exec, exec, s[6:7]
	s_and_saveexec_b64 s[6:7], s[4:5]
	s_cbranch_execz .LBB56_1136
.LBB56_1135:
	v_bfe_u32 v12, v13, 8, 3
	v_ffbh_u32_e32 v15, v12
	v_min_u32_e32 v15, 32, v15
	v_lshrrev_b16_e32 v14, 3, v11
	v_subrev_u32_e32 v16, 28, v15
	v_and_b32_e32 v14, 15, v14
	v_lshlrev_b32_e32 v11, v16, v11
	v_sub_u32_e32 v15, 29, v15
	v_and_b32_e32 v11, 7, v11
	v_cmp_eq_u16_e32 vcc, 0, v14
	v_cndmask_b32_e32 v11, v12, v11, vcc
	v_cndmask_b32_e32 v12, v14, v15, vcc
	v_lshlrev_b32_e32 v14, 16, v13
	v_mov_b32_e32 v15, 0x3b800000
	v_lshlrev_b32_e32 v11, 20, v11
	v_and_b32_e32 v14, 0x80000000, v14
	v_lshl_add_u32 v12, v12, 23, v15
	v_or3_b32 v12, v14, v12, v11
.LBB56_1136:
	s_or_b64 exec, exec, s[6:7]
	s_nop 0
	v_mfma_f32_16x16x4f32 a[0:3], v10, v12, a[0:3]
	s_movk_i32 s4, 0xff
	v_and_b32_sdwa v11, v17, s4 dst_sel:DWORD dst_unused:UNUSED_PAD src0_sel:WORD_1 src1_sel:DWORD
	s_movk_i32 s4, 0x7f
	v_cmp_lt_i16_e32 vcc, s4, v11
	s_mov_b64 s[4:5], 0
                                        ; implicit-def: $sgpr10
	s_and_saveexec_b64 s[6:7], vcc
	s_xor_b64 s[6:7], exec, s[6:7]
	s_cbranch_execnz .LBB56_3185
; %bb.1137:
	s_or_saveexec_b64 s[6:7], s[6:7]
	v_mov_b32_e32 v10, s10
	s_xor_b64 exec, exec, s[6:7]
	s_cbranch_execnz .LBB56_3188
.LBB56_1138:
	s_or_b64 exec, exec, s[6:7]
	s_and_saveexec_b64 s[6:7], s[4:5]
	s_cbranch_execz .LBB56_1140
.LBB56_1139:
	v_bfe_u32 v10, v17, 16, 3
	v_ffbh_u32_e32 v14, v10
	v_min_u32_e32 v14, 32, v14
	v_lshrrev_b32_e32 v11, 19, v17
	v_subrev_u32_e32 v15, 28, v14
	v_and_b32_e32 v11, 15, v11
	v_lshlrev_b32_sdwa v15, v15, v17 dst_sel:DWORD dst_unused:UNUSED_PAD src0_sel:DWORD src1_sel:WORD_1
	v_bfe_u32 v12, v17, 19, 4
	v_sub_u32_e32 v14, 29, v14
	v_and_b32_e32 v15, 7, v15
	v_cmp_eq_u16_e32 vcc, 0, v11
	v_cndmask_b32_e32 v10, v10, v15, vcc
	v_cndmask_b32_e32 v11, v12, v14, vcc
	v_lshlrev_b32_e32 v12, 8, v17
	v_mov_b32_e32 v14, 0x3b800000
	v_lshlrev_b32_e32 v10, 20, v10
	v_and_b32_e32 v12, 0x80000000, v12
	v_lshl_add_u32 v11, v11, 23, v14
	v_or3_b32 v10, v12, v11, v10
.LBB56_1140:
	s_or_b64 exec, exec, s[6:7]
	s_movk_i32 s4, 0xff
	v_and_b32_sdwa v11, v13, s4 dst_sel:DWORD dst_unused:UNUSED_PAD src0_sel:WORD_1 src1_sel:DWORD
	s_movk_i32 s4, 0x7f
	v_cmp_lt_i16_e32 vcc, s4, v11
	s_mov_b64 s[4:5], 0
                                        ; implicit-def: $sgpr10
	s_and_saveexec_b64 s[6:7], vcc
	s_xor_b64 s[6:7], exec, s[6:7]
	s_cbranch_execnz .LBB56_3189
; %bb.1141:
	s_or_saveexec_b64 s[6:7], s[6:7]
	v_mov_b32_e32 v12, s10
	s_xor_b64 exec, exec, s[6:7]
	s_cbranch_execnz .LBB56_3192
.LBB56_1142:
	s_or_b64 exec, exec, s[6:7]
	s_and_saveexec_b64 s[6:7], s[4:5]
	s_cbranch_execz .LBB56_1144
.LBB56_1143:
	v_bfe_u32 v11, v13, 16, 3
	v_ffbh_u32_e32 v15, v11
	v_min_u32_e32 v15, 32, v15
	v_lshrrev_b32_e32 v12, 19, v13
	v_subrev_u32_e32 v16, 28, v15
	v_and_b32_e32 v12, 15, v12
	v_lshlrev_b32_sdwa v16, v16, v13 dst_sel:DWORD dst_unused:UNUSED_PAD src0_sel:DWORD src1_sel:WORD_1
	v_bfe_u32 v14, v13, 19, 4
	v_sub_u32_e32 v15, 29, v15
	v_and_b32_e32 v16, 7, v16
	v_cmp_eq_u16_e32 vcc, 0, v12
	v_cndmask_b32_e32 v11, v11, v16, vcc
	v_cndmask_b32_e32 v12, v14, v15, vcc
	v_lshlrev_b32_e32 v14, 8, v13
	v_mov_b32_e32 v15, 0x3b800000
	v_lshlrev_b32_e32 v11, 20, v11
	v_and_b32_e32 v14, 0x80000000, v14
	v_lshl_add_u32 v12, v12, 23, v15
	v_or3_b32 v12, v14, v12, v11
.LBB56_1144:
	s_or_b64 exec, exec, s[6:7]
	s_nop 0
	v_mfma_f32_16x16x4f32 a[0:3], v10, v12, a[0:3]
	s_movk_i32 s4, 0x7f
	v_cmp_gt_i16_sdwa s[6:7], v17, s4 src0_sel:BYTE_3 src1_sel:DWORD
	s_mov_b64 s[4:5], 0
                                        ; implicit-def: $sgpr10
	s_and_saveexec_b64 s[8:9], s[6:7]
	s_xor_b64 s[6:7], exec, s[8:9]
	s_cbranch_execnz .LBB56_3193
; %bb.1145:
	s_or_saveexec_b64 s[6:7], s[6:7]
	v_mov_b32_e32 v10, s10
	s_xor_b64 exec, exec, s[6:7]
	s_cbranch_execnz .LBB56_3196
.LBB56_1146:
	s_or_b64 exec, exec, s[6:7]
	s_and_saveexec_b64 s[6:7], s[4:5]
	s_cbranch_execz .LBB56_1148
.LBB56_1147:
	v_bfe_u32 v10, v17, 24, 3
	v_ffbh_u32_e32 v15, v10
	v_min_u32_e32 v15, 32, v15
	v_lshrrev_b32_e32 v12, 27, v17
	v_subrev_u32_e32 v16, 28, v15
	v_and_b32_e32 v12, 15, v12
	v_lshlrev_b32_sdwa v16, v16, v17 dst_sel:DWORD dst_unused:UNUSED_PAD src0_sel:DWORD src1_sel:BYTE_3
	v_bfe_u32 v14, v17, 27, 4
	v_sub_u32_e32 v15, 29, v15
	v_and_b32_e32 v16, 7, v16
	v_cmp_eq_u16_e32 vcc, 0, v12
	v_cndmask_b32_e32 v10, v10, v16, vcc
	v_cndmask_b32_e32 v12, v14, v15, vcc
	v_mov_b32_e32 v14, 0x3b800000
	v_and_b32_e32 v11, 0x80000000, v17
	v_lshlrev_b32_e32 v10, 20, v10
	v_lshl_add_u32 v12, v12, 23, v14
	v_or3_b32 v10, v11, v12, v10
.LBB56_1148:
	s_or_b64 exec, exec, s[6:7]
	s_movk_i32 s4, 0x7f
	v_cmp_gt_i16_sdwa s[6:7], v13, s4 src0_sel:BYTE_3 src1_sel:DWORD
	s_mov_b64 s[4:5], 0
                                        ; implicit-def: $sgpr10
	s_and_saveexec_b64 s[8:9], s[6:7]
	s_xor_b64 s[6:7], exec, s[8:9]
	s_cbranch_execnz .LBB56_3197
; %bb.1149:
	s_or_saveexec_b64 s[6:7], s[6:7]
	v_mov_b32_e32 v11, s10
	s_xor_b64 exec, exec, s[6:7]
	s_cbranch_execnz .LBB56_3200
.LBB56_1150:
	s_or_b64 exec, exec, s[6:7]
	s_and_saveexec_b64 s[6:7], s[4:5]
	s_cbranch_execz .LBB56_1152
.LBB56_1151:
	v_bfe_u32 v11, v13, 24, 3
	v_ffbh_u32_e32 v16, v11
	v_min_u32_e32 v16, 32, v16
	v_lshrrev_b32_e32 v14, 27, v13
	v_subrev_u32_e32 v17, 28, v16
	v_and_b32_e32 v12, 0x80000000, v13
	v_and_b32_e32 v14, 15, v14
	v_bfe_u32 v15, v13, 27, 4
	v_lshlrev_b32_sdwa v13, v17, v13 dst_sel:DWORD dst_unused:UNUSED_PAD src0_sel:DWORD src1_sel:BYTE_3
	v_sub_u32_e32 v16, 29, v16
	v_and_b32_e32 v13, 7, v13
	v_cmp_eq_u16_e32 vcc, 0, v14
	v_cndmask_b32_e32 v11, v11, v13, vcc
	v_cndmask_b32_e32 v13, v15, v16, vcc
	v_mov_b32_e32 v14, 0x3b800000
	v_lshlrev_b32_e32 v11, 20, v11
	v_lshl_add_u32 v13, v13, 23, v14
	v_or3_b32 v11, v12, v13, v11
.LBB56_1152:
	s_or_b64 exec, exec, s[6:7]
	s_nop 0
	v_mfma_f32_16x16x4f32 a[0:3], v10, v11, a[0:3]
	s_movk_i32 s4, 0x7f
	v_cmp_gt_i16_sdwa s[6:7], v6, s4 src0_sel:BYTE_0 src1_sel:DWORD
	s_mov_b64 s[4:5], 0
                                        ; implicit-def: $sgpr10
	s_and_saveexec_b64 s[8:9], s[6:7]
	s_xor_b64 s[6:7], exec, s[8:9]
	s_cbranch_execnz .LBB56_3201
; %bb.1153:
	s_or_saveexec_b64 s[6:7], s[6:7]
	v_mov_b32_e32 v10, s10
	s_xor_b64 exec, exec, s[6:7]
	s_cbranch_execnz .LBB56_3204
.LBB56_1154:
	s_or_b64 exec, exec, s[6:7]
	s_and_saveexec_b64 s[6:7], s[4:5]
	s_cbranch_execz .LBB56_1156
.LBB56_1155:
	v_and_b32_e32 v10, 7, v6
	v_ffbh_u32_e32 v12, v10
	v_min_u32_e32 v12, 32, v12
	v_lshrrev_b16_e32 v11, 3, v6
	v_subrev_u32_e32 v13, 28, v12
	v_and_b32_e32 v11, 15, v11
	v_lshlrev_b32_e32 v13, v13, v6
	v_sub_u32_e32 v12, 29, v12
	v_and_b32_e32 v13, 7, v13
	v_cmp_eq_u16_e32 vcc, 0, v11
	v_cndmask_b32_e32 v10, v10, v13, vcc
	v_cndmask_b32_e32 v11, v11, v12, vcc
	v_lshlrev_b32_e32 v12, 24, v6
	v_mov_b32_e32 v13, 0x3b800000
	v_lshlrev_b32_e32 v10, 20, v10
	v_and_b32_e32 v12, 0x80000000, v12
	v_lshl_add_u32 v11, v11, 23, v13
	v_or3_b32 v10, v12, v11, v10
.LBB56_1156:
	s_or_b64 exec, exec, s[6:7]
	s_movk_i32 s4, 0x7f
	v_cmp_gt_i16_sdwa s[6:7], v2, s4 src0_sel:BYTE_0 src1_sel:DWORD
	s_mov_b64 s[4:5], 0
                                        ; implicit-def: $sgpr10
	s_and_saveexec_b64 s[8:9], s[6:7]
	s_xor_b64 s[6:7], exec, s[8:9]
	s_cbranch_execnz .LBB56_3205
; %bb.1157:
	s_or_saveexec_b64 s[6:7], s[6:7]
	v_mov_b32_e32 v11, s10
	s_xor_b64 exec, exec, s[6:7]
	s_cbranch_execnz .LBB56_3208
.LBB56_1158:
	s_or_b64 exec, exec, s[6:7]
	s_and_saveexec_b64 s[6:7], s[4:5]
	s_cbranch_execz .LBB56_1160
.LBB56_1159:
	v_and_b32_e32 v11, 7, v2
	v_ffbh_u32_e32 v13, v11
	v_min_u32_e32 v13, 32, v13
	v_lshrrev_b16_e32 v12, 3, v2
	v_subrev_u32_e32 v14, 28, v13
	v_and_b32_e32 v12, 15, v12
	v_lshlrev_b32_e32 v14, v14, v2
	v_sub_u32_e32 v13, 29, v13
	v_and_b32_e32 v14, 7, v14
	v_cmp_eq_u16_e32 vcc, 0, v12
	v_cndmask_b32_e32 v11, v11, v14, vcc
	v_cndmask_b32_e32 v12, v12, v13, vcc
	v_lshlrev_b32_e32 v13, 24, v2
	v_mov_b32_e32 v14, 0x3b800000
	v_lshlrev_b32_e32 v11, 20, v11
	v_and_b32_e32 v13, 0x80000000, v13
	v_lshl_add_u32 v12, v12, 23, v14
	v_or3_b32 v11, v13, v12, v11
.LBB56_1160:
	s_or_b64 exec, exec, s[6:7]
	s_nop 0
	v_mfma_f32_16x16x4f32 a[0:3], v10, v11, a[0:3]
	v_lshrrev_b32_e32 v11, 8, v6
	s_movk_i32 s4, 0x7f
	v_cmp_gt_i16_sdwa s[6:7], v11, s4 src0_sel:BYTE_0 src1_sel:DWORD
	s_mov_b64 s[4:5], 0
                                        ; implicit-def: $sgpr10
	s_and_saveexec_b64 s[8:9], s[6:7]
	s_xor_b64 s[6:7], exec, s[8:9]
	s_cbranch_execnz .LBB56_3209
; %bb.1161:
	s_or_saveexec_b64 s[6:7], s[6:7]
	v_mov_b32_e32 v10, s10
	s_xor_b64 exec, exec, s[6:7]
	s_cbranch_execnz .LBB56_3212
.LBB56_1162:
	s_or_b64 exec, exec, s[6:7]
	s_and_saveexec_b64 s[6:7], s[4:5]
	s_cbranch_execz .LBB56_1164
.LBB56_1163:
	v_bfe_u32 v10, v6, 8, 3
	v_ffbh_u32_e32 v13, v10
	v_min_u32_e32 v13, 32, v13
	v_lshrrev_b16_e32 v12, 3, v11
	v_subrev_u32_e32 v14, 28, v13
	v_and_b32_e32 v12, 15, v12
	v_lshlrev_b32_e32 v11, v14, v11
	v_sub_u32_e32 v13, 29, v13
	v_and_b32_e32 v11, 7, v11
	v_cmp_eq_u16_e32 vcc, 0, v12
	v_cndmask_b32_e32 v10, v10, v11, vcc
	v_cndmask_b32_e32 v11, v12, v13, vcc
	v_lshlrev_b32_e32 v12, 16, v6
	v_mov_b32_e32 v13, 0x3b800000
	v_lshlrev_b32_e32 v10, 20, v10
	v_and_b32_e32 v12, 0x80000000, v12
	v_lshl_add_u32 v11, v11, 23, v13
	v_or3_b32 v10, v12, v11, v10
.LBB56_1164:
	s_or_b64 exec, exec, s[6:7]
	v_lshrrev_b32_e32 v11, 8, v2
	s_movk_i32 s4, 0x7f
	v_cmp_gt_i16_sdwa s[6:7], v11, s4 src0_sel:BYTE_0 src1_sel:DWORD
	s_mov_b64 s[4:5], 0
                                        ; implicit-def: $sgpr10
	s_and_saveexec_b64 s[8:9], s[6:7]
	s_xor_b64 s[6:7], exec, s[8:9]
	s_cbranch_execnz .LBB56_3213
; %bb.1165:
	s_or_saveexec_b64 s[6:7], s[6:7]
	v_mov_b32_e32 v12, s10
	s_xor_b64 exec, exec, s[6:7]
	s_cbranch_execnz .LBB56_3216
.LBB56_1166:
	s_or_b64 exec, exec, s[6:7]
	s_and_saveexec_b64 s[6:7], s[4:5]
	s_cbranch_execz .LBB56_1168
.LBB56_1167:
	v_bfe_u32 v12, v2, 8, 3
	v_ffbh_u32_e32 v14, v12
	v_min_u32_e32 v14, 32, v14
	v_lshrrev_b16_e32 v13, 3, v11
	v_subrev_u32_e32 v15, 28, v14
	v_and_b32_e32 v13, 15, v13
	v_lshlrev_b32_e32 v11, v15, v11
	v_sub_u32_e32 v14, 29, v14
	v_and_b32_e32 v11, 7, v11
	v_cmp_eq_u16_e32 vcc, 0, v13
	v_cndmask_b32_e32 v11, v12, v11, vcc
	v_cndmask_b32_e32 v12, v13, v14, vcc
	v_lshlrev_b32_e32 v13, 16, v2
	v_mov_b32_e32 v14, 0x3b800000
	v_lshlrev_b32_e32 v11, 20, v11
	v_and_b32_e32 v13, 0x80000000, v13
	v_lshl_add_u32 v12, v12, 23, v14
	v_or3_b32 v12, v13, v12, v11
.LBB56_1168:
	s_or_b64 exec, exec, s[6:7]
	s_nop 0
	v_mfma_f32_16x16x4f32 a[0:3], v10, v12, a[0:3]
	s_movk_i32 s4, 0xff
	v_and_b32_sdwa v11, v6, s4 dst_sel:DWORD dst_unused:UNUSED_PAD src0_sel:WORD_1 src1_sel:DWORD
	s_movk_i32 s4, 0x7f
	v_cmp_lt_i16_e32 vcc, s4, v11
	s_mov_b64 s[4:5], 0
                                        ; implicit-def: $sgpr10
	s_and_saveexec_b64 s[6:7], vcc
	s_xor_b64 s[6:7], exec, s[6:7]
	s_cbranch_execnz .LBB56_3217
; %bb.1169:
	s_or_saveexec_b64 s[6:7], s[6:7]
	v_mov_b32_e32 v10, s10
	s_xor_b64 exec, exec, s[6:7]
	s_cbranch_execnz .LBB56_3220
.LBB56_1170:
	s_or_b64 exec, exec, s[6:7]
	s_and_saveexec_b64 s[6:7], s[4:5]
	s_cbranch_execz .LBB56_1172
.LBB56_1171:
	v_bfe_u32 v10, v6, 16, 3
	v_ffbh_u32_e32 v13, v10
	v_min_u32_e32 v13, 32, v13
	v_lshrrev_b32_e32 v11, 19, v6
	v_subrev_u32_e32 v14, 28, v13
	v_and_b32_e32 v11, 15, v11
	v_lshlrev_b32_sdwa v14, v14, v6 dst_sel:DWORD dst_unused:UNUSED_PAD src0_sel:DWORD src1_sel:WORD_1
	v_bfe_u32 v12, v6, 19, 4
	v_sub_u32_e32 v13, 29, v13
	v_and_b32_e32 v14, 7, v14
	v_cmp_eq_u16_e32 vcc, 0, v11
	v_cndmask_b32_e32 v10, v10, v14, vcc
	v_cndmask_b32_e32 v11, v12, v13, vcc
	v_lshlrev_b32_e32 v12, 8, v6
	v_mov_b32_e32 v13, 0x3b800000
	v_lshlrev_b32_e32 v10, 20, v10
	v_and_b32_e32 v12, 0x80000000, v12
	v_lshl_add_u32 v11, v11, 23, v13
	v_or3_b32 v10, v12, v11, v10
.LBB56_1172:
	s_or_b64 exec, exec, s[6:7]
	s_movk_i32 s4, 0xff
	v_and_b32_sdwa v11, v2, s4 dst_sel:DWORD dst_unused:UNUSED_PAD src0_sel:WORD_1 src1_sel:DWORD
	s_movk_i32 s4, 0x7f
	v_cmp_lt_i16_e32 vcc, s4, v11
	s_mov_b64 s[4:5], 0
                                        ; implicit-def: $sgpr10
	s_and_saveexec_b64 s[6:7], vcc
	s_xor_b64 s[6:7], exec, s[6:7]
	s_cbranch_execnz .LBB56_3221
; %bb.1173:
	s_or_saveexec_b64 s[6:7], s[6:7]
	v_mov_b32_e32 v12, s10
	s_xor_b64 exec, exec, s[6:7]
	s_cbranch_execnz .LBB56_3224
.LBB56_1174:
	s_or_b64 exec, exec, s[6:7]
	s_and_saveexec_b64 s[6:7], s[4:5]
	s_cbranch_execz .LBB56_1176
.LBB56_1175:
	v_bfe_u32 v11, v2, 16, 3
	v_ffbh_u32_e32 v14, v11
	v_min_u32_e32 v14, 32, v14
	v_lshrrev_b32_e32 v12, 19, v2
	v_subrev_u32_e32 v15, 28, v14
	v_and_b32_e32 v12, 15, v12
	v_lshlrev_b32_sdwa v15, v15, v2 dst_sel:DWORD dst_unused:UNUSED_PAD src0_sel:DWORD src1_sel:WORD_1
	v_bfe_u32 v13, v2, 19, 4
	v_sub_u32_e32 v14, 29, v14
	v_and_b32_e32 v15, 7, v15
	v_cmp_eq_u16_e32 vcc, 0, v12
	v_cndmask_b32_e32 v11, v11, v15, vcc
	v_cndmask_b32_e32 v12, v13, v14, vcc
	v_lshlrev_b32_e32 v13, 8, v2
	v_mov_b32_e32 v14, 0x3b800000
	v_lshlrev_b32_e32 v11, 20, v11
	v_and_b32_e32 v13, 0x80000000, v13
	v_lshl_add_u32 v12, v12, 23, v14
	v_or3_b32 v12, v13, v12, v11
.LBB56_1176:
	s_or_b64 exec, exec, s[6:7]
	s_nop 0
	v_mfma_f32_16x16x4f32 a[0:3], v10, v12, a[0:3]
	s_movk_i32 s4, 0x7f
	v_cmp_gt_i16_sdwa s[6:7], v6, s4 src0_sel:BYTE_3 src1_sel:DWORD
	s_mov_b64 s[4:5], 0
                                        ; implicit-def: $sgpr10
	s_and_saveexec_b64 s[8:9], s[6:7]
	s_xor_b64 s[6:7], exec, s[8:9]
	s_cbranch_execnz .LBB56_3225
; %bb.1177:
	s_or_saveexec_b64 s[6:7], s[6:7]
	v_mov_b32_e32 v10, s10
	s_xor_b64 exec, exec, s[6:7]
	s_cbranch_execnz .LBB56_3228
.LBB56_1178:
	s_or_b64 exec, exec, s[6:7]
	s_and_saveexec_b64 s[6:7], s[4:5]
	s_cbranch_execz .LBB56_1180
.LBB56_1179:
	v_bfe_u32 v10, v6, 24, 3
	v_ffbh_u32_e32 v14, v10
	v_min_u32_e32 v14, 32, v14
	v_lshrrev_b32_e32 v12, 27, v6
	v_subrev_u32_e32 v15, 28, v14
	v_and_b32_e32 v11, 0x80000000, v6
	v_and_b32_e32 v12, 15, v12
	v_bfe_u32 v13, v6, 27, 4
	v_lshlrev_b32_sdwa v6, v15, v6 dst_sel:DWORD dst_unused:UNUSED_PAD src0_sel:DWORD src1_sel:BYTE_3
	v_sub_u32_e32 v14, 29, v14
	v_and_b32_e32 v6, 7, v6
	v_cmp_eq_u16_e32 vcc, 0, v12
	v_cndmask_b32_e32 v6, v10, v6, vcc
	v_cndmask_b32_e32 v10, v13, v14, vcc
	v_mov_b32_e32 v12, 0x3b800000
	v_lshlrev_b32_e32 v6, 20, v6
	v_lshl_add_u32 v10, v10, 23, v12
	v_or3_b32 v10, v11, v10, v6
.LBB56_1180:
	s_or_b64 exec, exec, s[6:7]
	s_movk_i32 s4, 0x7f
	v_cmp_gt_i16_sdwa s[6:7], v2, s4 src0_sel:BYTE_3 src1_sel:DWORD
	s_mov_b64 s[4:5], 0
                                        ; implicit-def: $sgpr10
	s_and_saveexec_b64 s[8:9], s[6:7]
	s_xor_b64 s[6:7], exec, s[8:9]
	s_cbranch_execnz .LBB56_3229
; %bb.1181:
	s_or_saveexec_b64 s[6:7], s[6:7]
	v_mov_b32_e32 v6, s10
	s_xor_b64 exec, exec, s[6:7]
	s_cbranch_execnz .LBB56_3232
.LBB56_1182:
	s_or_b64 exec, exec, s[6:7]
	s_and_saveexec_b64 s[6:7], s[4:5]
	s_cbranch_execz .LBB56_1184
.LBB56_1183:
	v_bfe_u32 v6, v2, 24, 3
	v_ffbh_u32_e32 v14, v6
	v_min_u32_e32 v14, 32, v14
	v_lshrrev_b32_e32 v12, 27, v2
	v_subrev_u32_e32 v15, 28, v14
	v_and_b32_e32 v11, 0x80000000, v2
	v_and_b32_e32 v12, 15, v12
	v_bfe_u32 v13, v2, 27, 4
	v_lshlrev_b32_sdwa v2, v15, v2 dst_sel:DWORD dst_unused:UNUSED_PAD src0_sel:DWORD src1_sel:BYTE_3
	v_sub_u32_e32 v14, 29, v14
	v_and_b32_e32 v2, 7, v2
	v_cmp_eq_u16_e32 vcc, 0, v12
	v_cndmask_b32_e32 v2, v6, v2, vcc
	v_cndmask_b32_e32 v6, v13, v14, vcc
	v_mov_b32_e32 v12, 0x3b800000
	v_lshlrev_b32_e32 v2, 20, v2
	v_lshl_add_u32 v6, v6, 23, v12
	v_or3_b32 v6, v11, v6, v2
.LBB56_1184:
	s_or_b64 exec, exec, s[6:7]
	s_nop 0
	v_mfma_f32_16x16x4f32 a[0:3], v10, v6, a[0:3]
	s_movk_i32 s4, 0x7f
	v_cmp_gt_i16_sdwa s[6:7], v7, s4 src0_sel:BYTE_0 src1_sel:DWORD
	s_mov_b64 s[4:5], 0
                                        ; implicit-def: $sgpr10
	s_and_saveexec_b64 s[8:9], s[6:7]
	s_xor_b64 s[6:7], exec, s[8:9]
	s_cbranch_execnz .LBB56_3233
; %bb.1185:
	s_or_saveexec_b64 s[6:7], s[6:7]
	v_mov_b32_e32 v2, s10
	s_xor_b64 exec, exec, s[6:7]
	s_cbranch_execnz .LBB56_3236
.LBB56_1186:
	s_or_b64 exec, exec, s[6:7]
	s_and_saveexec_b64 s[6:7], s[4:5]
	s_cbranch_execz .LBB56_1188
.LBB56_1187:
	v_and_b32_e32 v2, 7, v7
	v_ffbh_u32_e32 v10, v2
	v_min_u32_e32 v10, 32, v10
	v_lshrrev_b16_e32 v6, 3, v7
	v_subrev_u32_e32 v11, 28, v10
	v_and_b32_e32 v6, 15, v6
	v_lshlrev_b32_e32 v11, v11, v7
	v_sub_u32_e32 v10, 29, v10
	v_and_b32_e32 v11, 7, v11
	v_cmp_eq_u16_e32 vcc, 0, v6
	v_cndmask_b32_e32 v2, v2, v11, vcc
	v_cndmask_b32_e32 v6, v6, v10, vcc
	v_lshlrev_b32_e32 v10, 24, v7
	v_mov_b32_e32 v11, 0x3b800000
	v_lshlrev_b32_e32 v2, 20, v2
	v_and_b32_e32 v10, 0x80000000, v10
	v_lshl_add_u32 v6, v6, 23, v11
	v_or3_b32 v2, v10, v6, v2
.LBB56_1188:
	s_or_b64 exec, exec, s[6:7]
	s_movk_i32 s4, 0x7f
	v_cmp_gt_i16_sdwa s[6:7], v3, s4 src0_sel:BYTE_0 src1_sel:DWORD
	s_mov_b64 s[4:5], 0
                                        ; implicit-def: $sgpr10
	s_and_saveexec_b64 s[8:9], s[6:7]
	s_xor_b64 s[6:7], exec, s[8:9]
	s_cbranch_execnz .LBB56_3237
; %bb.1189:
	s_or_saveexec_b64 s[6:7], s[6:7]
	v_mov_b32_e32 v6, s10
	s_xor_b64 exec, exec, s[6:7]
	s_cbranch_execnz .LBB56_3240
.LBB56_1190:
	s_or_b64 exec, exec, s[6:7]
	s_and_saveexec_b64 s[6:7], s[4:5]
	s_cbranch_execz .LBB56_1192
.LBB56_1191:
	v_and_b32_e32 v6, 7, v3
	v_ffbh_u32_e32 v11, v6
	v_min_u32_e32 v11, 32, v11
	v_lshrrev_b16_e32 v10, 3, v3
	v_subrev_u32_e32 v12, 28, v11
	v_and_b32_e32 v10, 15, v10
	v_lshlrev_b32_e32 v12, v12, v3
	v_sub_u32_e32 v11, 29, v11
	v_and_b32_e32 v12, 7, v12
	v_cmp_eq_u16_e32 vcc, 0, v10
	v_cndmask_b32_e32 v6, v6, v12, vcc
	v_cndmask_b32_e32 v10, v10, v11, vcc
	v_lshlrev_b32_e32 v11, 24, v3
	v_mov_b32_e32 v12, 0x3b800000
	v_lshlrev_b32_e32 v6, 20, v6
	v_and_b32_e32 v11, 0x80000000, v11
	v_lshl_add_u32 v10, v10, 23, v12
	v_or3_b32 v6, v11, v10, v6
.LBB56_1192:
	s_or_b64 exec, exec, s[6:7]
	s_nop 0
	v_mfma_f32_16x16x4f32 a[0:3], v2, v6, a[0:3]
	v_lshrrev_b32_e32 v6, 8, v7
	s_movk_i32 s4, 0x7f
	v_cmp_gt_i16_sdwa s[6:7], v6, s4 src0_sel:BYTE_0 src1_sel:DWORD
	s_mov_b64 s[4:5], 0
                                        ; implicit-def: $sgpr10
	s_and_saveexec_b64 s[8:9], s[6:7]
	s_xor_b64 s[6:7], exec, s[8:9]
	s_cbranch_execnz .LBB56_3241
; %bb.1193:
	s_or_saveexec_b64 s[6:7], s[6:7]
	v_mov_b32_e32 v2, s10
	s_xor_b64 exec, exec, s[6:7]
	s_cbranch_execnz .LBB56_3244
.LBB56_1194:
	s_or_b64 exec, exec, s[6:7]
	s_and_saveexec_b64 s[6:7], s[4:5]
	s_cbranch_execz .LBB56_1196
.LBB56_1195:
	v_bfe_u32 v2, v7, 8, 3
	v_ffbh_u32_e32 v11, v2
	v_min_u32_e32 v11, 32, v11
	v_lshrrev_b16_e32 v10, 3, v6
	v_subrev_u32_e32 v12, 28, v11
	v_and_b32_e32 v10, 15, v10
	v_lshlrev_b32_e32 v6, v12, v6
	v_sub_u32_e32 v11, 29, v11
	v_and_b32_e32 v6, 7, v6
	v_cmp_eq_u16_e32 vcc, 0, v10
	v_cndmask_b32_e32 v2, v2, v6, vcc
	v_cndmask_b32_e32 v6, v10, v11, vcc
	v_lshlrev_b32_e32 v10, 16, v7
	v_mov_b32_e32 v11, 0x3b800000
	v_lshlrev_b32_e32 v2, 20, v2
	v_and_b32_e32 v10, 0x80000000, v10
	v_lshl_add_u32 v6, v6, 23, v11
	v_or3_b32 v2, v10, v6, v2
.LBB56_1196:
	s_or_b64 exec, exec, s[6:7]
	v_lshrrev_b32_e32 v6, 8, v3
	s_movk_i32 s4, 0x7f
	v_cmp_gt_i16_sdwa s[6:7], v6, s4 src0_sel:BYTE_0 src1_sel:DWORD
	s_mov_b64 s[4:5], 0
                                        ; implicit-def: $sgpr10
	s_and_saveexec_b64 s[8:9], s[6:7]
	s_xor_b64 s[6:7], exec, s[8:9]
	s_cbranch_execnz .LBB56_3245
; %bb.1197:
	s_or_saveexec_b64 s[6:7], s[6:7]
	v_mov_b32_e32 v10, s10
	s_xor_b64 exec, exec, s[6:7]
	s_cbranch_execnz .LBB56_3248
.LBB56_1198:
	s_or_b64 exec, exec, s[6:7]
	s_and_saveexec_b64 s[6:7], s[4:5]
	s_cbranch_execz .LBB56_1200
.LBB56_1199:
	v_bfe_u32 v10, v3, 8, 3
	v_ffbh_u32_e32 v12, v10
	v_min_u32_e32 v12, 32, v12
	v_lshrrev_b16_e32 v11, 3, v6
	v_subrev_u32_e32 v13, 28, v12
	v_and_b32_e32 v11, 15, v11
	v_lshlrev_b32_e32 v6, v13, v6
	v_sub_u32_e32 v12, 29, v12
	v_and_b32_e32 v6, 7, v6
	v_cmp_eq_u16_e32 vcc, 0, v11
	v_cndmask_b32_e32 v6, v10, v6, vcc
	v_cndmask_b32_e32 v10, v11, v12, vcc
	v_lshlrev_b32_e32 v11, 16, v3
	v_mov_b32_e32 v12, 0x3b800000
	v_lshlrev_b32_e32 v6, 20, v6
	v_and_b32_e32 v11, 0x80000000, v11
	v_lshl_add_u32 v10, v10, 23, v12
	v_or3_b32 v10, v11, v10, v6
.LBB56_1200:
	s_or_b64 exec, exec, s[6:7]
	s_nop 0
	v_mfma_f32_16x16x4f32 a[0:3], v2, v10, a[0:3]
	s_movk_i32 s4, 0xff
	v_and_b32_sdwa v6, v7, s4 dst_sel:DWORD dst_unused:UNUSED_PAD src0_sel:WORD_1 src1_sel:DWORD
	s_movk_i32 s4, 0x7f
	v_cmp_lt_i16_e32 vcc, s4, v6
	s_mov_b64 s[4:5], 0
                                        ; implicit-def: $sgpr10
	s_and_saveexec_b64 s[6:7], vcc
	s_xor_b64 s[6:7], exec, s[6:7]
	s_cbranch_execnz .LBB56_3249
; %bb.1201:
	s_or_saveexec_b64 s[6:7], s[6:7]
	v_mov_b32_e32 v2, s10
	s_xor_b64 exec, exec, s[6:7]
	s_cbranch_execnz .LBB56_3252
.LBB56_1202:
	s_or_b64 exec, exec, s[6:7]
	s_and_saveexec_b64 s[6:7], s[4:5]
	s_cbranch_execz .LBB56_1204
.LBB56_1203:
	v_bfe_u32 v2, v7, 16, 3
	v_ffbh_u32_e32 v11, v2
	v_min_u32_e32 v11, 32, v11
	v_lshrrev_b32_e32 v6, 19, v7
	v_subrev_u32_e32 v12, 28, v11
	v_and_b32_e32 v6, 15, v6
	v_lshlrev_b32_sdwa v12, v12, v7 dst_sel:DWORD dst_unused:UNUSED_PAD src0_sel:DWORD src1_sel:WORD_1
	v_bfe_u32 v10, v7, 19, 4
	v_sub_u32_e32 v11, 29, v11
	v_and_b32_e32 v12, 7, v12
	v_cmp_eq_u16_e32 vcc, 0, v6
	v_cndmask_b32_e32 v2, v2, v12, vcc
	v_cndmask_b32_e32 v6, v10, v11, vcc
	v_lshlrev_b32_e32 v10, 8, v7
	v_mov_b32_e32 v11, 0x3b800000
	v_lshlrev_b32_e32 v2, 20, v2
	v_and_b32_e32 v10, 0x80000000, v10
	v_lshl_add_u32 v6, v6, 23, v11
	v_or3_b32 v2, v10, v6, v2
.LBB56_1204:
	s_or_b64 exec, exec, s[6:7]
	s_movk_i32 s4, 0xff
	v_and_b32_sdwa v6, v3, s4 dst_sel:DWORD dst_unused:UNUSED_PAD src0_sel:WORD_1 src1_sel:DWORD
	s_movk_i32 s4, 0x7f
	v_cmp_lt_i16_e32 vcc, s4, v6
	s_mov_b64 s[4:5], 0
                                        ; implicit-def: $sgpr10
	s_and_saveexec_b64 s[6:7], vcc
	s_xor_b64 s[6:7], exec, s[6:7]
	s_cbranch_execnz .LBB56_3253
; %bb.1205:
	s_or_saveexec_b64 s[6:7], s[6:7]
	v_mov_b32_e32 v10, s10
	s_xor_b64 exec, exec, s[6:7]
	s_cbranch_execnz .LBB56_3256
.LBB56_1206:
	s_or_b64 exec, exec, s[6:7]
	s_and_saveexec_b64 s[6:7], s[4:5]
	s_cbranch_execz .LBB56_1208
.LBB56_1207:
	v_bfe_u32 v6, v3, 16, 3
	v_ffbh_u32_e32 v12, v6
	v_min_u32_e32 v12, 32, v12
	v_lshrrev_b32_e32 v10, 19, v3
	v_subrev_u32_e32 v13, 28, v12
	v_and_b32_e32 v10, 15, v10
	v_lshlrev_b32_sdwa v13, v13, v3 dst_sel:DWORD dst_unused:UNUSED_PAD src0_sel:DWORD src1_sel:WORD_1
	v_bfe_u32 v11, v3, 19, 4
	v_sub_u32_e32 v12, 29, v12
	v_and_b32_e32 v13, 7, v13
	v_cmp_eq_u16_e32 vcc, 0, v10
	v_cndmask_b32_e32 v6, v6, v13, vcc
	v_cndmask_b32_e32 v10, v11, v12, vcc
	v_lshlrev_b32_e32 v11, 8, v3
	v_mov_b32_e32 v12, 0x3b800000
	v_lshlrev_b32_e32 v6, 20, v6
	v_and_b32_e32 v11, 0x80000000, v11
	v_lshl_add_u32 v10, v10, 23, v12
	v_or3_b32 v10, v11, v10, v6
.LBB56_1208:
	s_or_b64 exec, exec, s[6:7]
	s_nop 0
	v_mfma_f32_16x16x4f32 a[0:3], v2, v10, a[0:3]
	s_movk_i32 s4, 0x7f
	v_cmp_gt_i16_sdwa s[6:7], v7, s4 src0_sel:BYTE_3 src1_sel:DWORD
	s_mov_b64 s[4:5], 0
                                        ; implicit-def: $sgpr10
	s_and_saveexec_b64 s[8:9], s[6:7]
	s_xor_b64 s[6:7], exec, s[8:9]
	s_cbranch_execnz .LBB56_3257
; %bb.1209:
	s_or_saveexec_b64 s[6:7], s[6:7]
	v_mov_b32_e32 v2, s10
	s_xor_b64 exec, exec, s[6:7]
	s_cbranch_execnz .LBB56_3260
.LBB56_1210:
	s_or_b64 exec, exec, s[6:7]
	s_and_saveexec_b64 s[6:7], s[4:5]
	s_cbranch_execz .LBB56_1212
.LBB56_1211:
	v_bfe_u32 v2, v7, 24, 3
	v_ffbh_u32_e32 v12, v2
	v_min_u32_e32 v12, 32, v12
	v_lshrrev_b32_e32 v10, 27, v7
	v_subrev_u32_e32 v13, 28, v12
	v_and_b32_e32 v6, 0x80000000, v7
	v_and_b32_e32 v10, 15, v10
	v_bfe_u32 v11, v7, 27, 4
	v_lshlrev_b32_sdwa v7, v13, v7 dst_sel:DWORD dst_unused:UNUSED_PAD src0_sel:DWORD src1_sel:BYTE_3
	v_sub_u32_e32 v12, 29, v12
	v_and_b32_e32 v7, 7, v7
	v_cmp_eq_u16_e32 vcc, 0, v10
	v_cndmask_b32_e32 v2, v2, v7, vcc
	v_cndmask_b32_e32 v7, v11, v12, vcc
	v_mov_b32_e32 v10, 0x3b800000
	v_lshlrev_b32_e32 v2, 20, v2
	v_lshl_add_u32 v7, v7, 23, v10
	v_or3_b32 v2, v6, v7, v2
.LBB56_1212:
	s_or_b64 exec, exec, s[6:7]
	s_movk_i32 s4, 0x7f
	v_cmp_gt_i16_sdwa s[6:7], v3, s4 src0_sel:BYTE_3 src1_sel:DWORD
	s_mov_b64 s[4:5], 0
                                        ; implicit-def: $sgpr10
	s_and_saveexec_b64 s[8:9], s[6:7]
	s_xor_b64 s[6:7], exec, s[8:9]
	s_cbranch_execnz .LBB56_3261
; %bb.1213:
	s_or_saveexec_b64 s[6:7], s[6:7]
	v_mov_b32_e32 v6, s10
	s_xor_b64 exec, exec, s[6:7]
	s_cbranch_execnz .LBB56_3264
.LBB56_1214:
	s_or_b64 exec, exec, s[6:7]
	s_and_saveexec_b64 s[6:7], s[4:5]
	s_cbranch_execz .LBB56_1216
.LBB56_1215:
	v_bfe_u32 v6, v3, 24, 3
	v_ffbh_u32_e32 v12, v6
	v_min_u32_e32 v12, 32, v12
	v_lshrrev_b32_e32 v10, 27, v3
	v_subrev_u32_e32 v13, 28, v12
	v_and_b32_e32 v7, 0x80000000, v3
	v_and_b32_e32 v10, 15, v10
	v_bfe_u32 v11, v3, 27, 4
	v_lshlrev_b32_sdwa v3, v13, v3 dst_sel:DWORD dst_unused:UNUSED_PAD src0_sel:DWORD src1_sel:BYTE_3
	v_sub_u32_e32 v12, 29, v12
	v_and_b32_e32 v3, 7, v3
	v_cmp_eq_u16_e32 vcc, 0, v10
	v_cndmask_b32_e32 v3, v6, v3, vcc
	v_cndmask_b32_e32 v6, v11, v12, vcc
	v_mov_b32_e32 v10, 0x3b800000
	v_lshlrev_b32_e32 v3, 20, v3
	v_lshl_add_u32 v6, v6, 23, v10
	v_or3_b32 v6, v7, v6, v3
.LBB56_1216:
	s_or_b64 exec, exec, s[6:7]
	s_nop 0
	v_mfma_f32_16x16x4f32 a[0:3], v2, v6, a[0:3]
	s_movk_i32 s4, 0x7f
	v_cmp_gt_i16_sdwa s[6:7], v8, s4 src0_sel:BYTE_0 src1_sel:DWORD
	s_mov_b64 s[4:5], 0
                                        ; implicit-def: $sgpr10
	s_and_saveexec_b64 s[8:9], s[6:7]
	s_xor_b64 s[6:7], exec, s[8:9]
	s_cbranch_execnz .LBB56_3265
; %bb.1217:
	s_or_saveexec_b64 s[6:7], s[6:7]
	v_mov_b32_e32 v2, s10
	s_xor_b64 exec, exec, s[6:7]
	s_cbranch_execnz .LBB56_3268
.LBB56_1218:
	s_or_b64 exec, exec, s[6:7]
	s_and_saveexec_b64 s[6:7], s[4:5]
	s_cbranch_execz .LBB56_1220
.LBB56_1219:
	v_and_b32_e32 v2, 7, v8
	v_ffbh_u32_e32 v6, v2
	v_min_u32_e32 v6, 32, v6
	v_lshrrev_b16_e32 v3, 3, v8
	v_subrev_u32_e32 v7, 28, v6
	v_and_b32_e32 v3, 15, v3
	v_lshlrev_b32_e32 v7, v7, v8
	v_sub_u32_e32 v6, 29, v6
	v_and_b32_e32 v7, 7, v7
	v_cmp_eq_u16_e32 vcc, 0, v3
	v_cndmask_b32_e32 v2, v2, v7, vcc
	v_cndmask_b32_e32 v3, v3, v6, vcc
	v_lshlrev_b32_e32 v6, 24, v8
	v_mov_b32_e32 v7, 0x3b800000
	v_lshlrev_b32_e32 v2, 20, v2
	v_and_b32_e32 v6, 0x80000000, v6
	v_lshl_add_u32 v3, v3, 23, v7
	v_or3_b32 v2, v6, v3, v2
.LBB56_1220:
	s_or_b64 exec, exec, s[6:7]
	s_movk_i32 s4, 0x7f
	v_cmp_gt_i16_sdwa s[6:7], v4, s4 src0_sel:BYTE_0 src1_sel:DWORD
	s_mov_b64 s[4:5], 0
                                        ; implicit-def: $sgpr10
	s_and_saveexec_b64 s[8:9], s[6:7]
	s_xor_b64 s[6:7], exec, s[8:9]
	s_cbranch_execnz .LBB56_3269
; %bb.1221:
	s_or_saveexec_b64 s[6:7], s[6:7]
	v_mov_b32_e32 v3, s10
	s_xor_b64 exec, exec, s[6:7]
	s_cbranch_execnz .LBB56_3272
.LBB56_1222:
	s_or_b64 exec, exec, s[6:7]
	s_and_saveexec_b64 s[6:7], s[4:5]
	s_cbranch_execz .LBB56_1224
.LBB56_1223:
	v_and_b32_e32 v3, 7, v4
	v_ffbh_u32_e32 v7, v3
	v_min_u32_e32 v7, 32, v7
	v_lshrrev_b16_e32 v6, 3, v4
	v_subrev_u32_e32 v10, 28, v7
	v_and_b32_e32 v6, 15, v6
	v_lshlrev_b32_e32 v10, v10, v4
	v_sub_u32_e32 v7, 29, v7
	v_and_b32_e32 v10, 7, v10
	v_cmp_eq_u16_e32 vcc, 0, v6
	v_cndmask_b32_e32 v3, v3, v10, vcc
	v_cndmask_b32_e32 v6, v6, v7, vcc
	v_lshlrev_b32_e32 v7, 24, v4
	v_mov_b32_e32 v10, 0x3b800000
	v_lshlrev_b32_e32 v3, 20, v3
	v_and_b32_e32 v7, 0x80000000, v7
	v_lshl_add_u32 v6, v6, 23, v10
	v_or3_b32 v3, v7, v6, v3
.LBB56_1224:
	s_or_b64 exec, exec, s[6:7]
	s_nop 0
	v_mfma_f32_16x16x4f32 a[0:3], v2, v3, a[0:3]
	v_lshrrev_b32_e32 v3, 8, v8
	s_movk_i32 s4, 0x7f
	v_cmp_gt_i16_sdwa s[6:7], v3, s4 src0_sel:BYTE_0 src1_sel:DWORD
	s_mov_b64 s[4:5], 0
                                        ; implicit-def: $sgpr10
	s_and_saveexec_b64 s[8:9], s[6:7]
	s_xor_b64 s[6:7], exec, s[8:9]
	s_cbranch_execnz .LBB56_3273
; %bb.1225:
	s_or_saveexec_b64 s[6:7], s[6:7]
	v_mov_b32_e32 v2, s10
	s_xor_b64 exec, exec, s[6:7]
	s_cbranch_execnz .LBB56_3276
.LBB56_1226:
	s_or_b64 exec, exec, s[6:7]
	s_and_saveexec_b64 s[6:7], s[4:5]
	s_cbranch_execz .LBB56_1228
.LBB56_1227:
	v_bfe_u32 v2, v8, 8, 3
	v_ffbh_u32_e32 v7, v2
	v_min_u32_e32 v7, 32, v7
	v_lshrrev_b16_e32 v6, 3, v3
	v_subrev_u32_e32 v10, 28, v7
	v_and_b32_e32 v6, 15, v6
	v_lshlrev_b32_e32 v3, v10, v3
	v_sub_u32_e32 v7, 29, v7
	v_and_b32_e32 v3, 7, v3
	v_cmp_eq_u16_e32 vcc, 0, v6
	v_cndmask_b32_e32 v2, v2, v3, vcc
	v_cndmask_b32_e32 v3, v6, v7, vcc
	v_lshlrev_b32_e32 v6, 16, v8
	v_mov_b32_e32 v7, 0x3b800000
	v_lshlrev_b32_e32 v2, 20, v2
	v_and_b32_e32 v6, 0x80000000, v6
	v_lshl_add_u32 v3, v3, 23, v7
	v_or3_b32 v2, v6, v3, v2
.LBB56_1228:
	s_or_b64 exec, exec, s[6:7]
	v_lshrrev_b32_e32 v3, 8, v4
	s_movk_i32 s4, 0x7f
	v_cmp_gt_i16_sdwa s[6:7], v3, s4 src0_sel:BYTE_0 src1_sel:DWORD
	s_mov_b64 s[4:5], 0
                                        ; implicit-def: $sgpr10
	s_and_saveexec_b64 s[8:9], s[6:7]
	s_xor_b64 s[6:7], exec, s[8:9]
	s_cbranch_execnz .LBB56_3277
; %bb.1229:
	s_or_saveexec_b64 s[6:7], s[6:7]
	v_mov_b32_e32 v6, s10
	s_xor_b64 exec, exec, s[6:7]
	s_cbranch_execnz .LBB56_3280
.LBB56_1230:
	s_or_b64 exec, exec, s[6:7]
	s_and_saveexec_b64 s[6:7], s[4:5]
	s_cbranch_execz .LBB56_1232
.LBB56_1231:
	v_bfe_u32 v6, v4, 8, 3
	v_ffbh_u32_e32 v10, v6
	v_min_u32_e32 v10, 32, v10
	v_lshrrev_b16_e32 v7, 3, v3
	v_subrev_u32_e32 v11, 28, v10
	v_and_b32_e32 v7, 15, v7
	v_lshlrev_b32_e32 v3, v11, v3
	v_sub_u32_e32 v10, 29, v10
	v_and_b32_e32 v3, 7, v3
	v_cmp_eq_u16_e32 vcc, 0, v7
	v_cndmask_b32_e32 v3, v6, v3, vcc
	v_cndmask_b32_e32 v6, v7, v10, vcc
	v_lshlrev_b32_e32 v7, 16, v4
	v_mov_b32_e32 v10, 0x3b800000
	v_lshlrev_b32_e32 v3, 20, v3
	v_and_b32_e32 v7, 0x80000000, v7
	v_lshl_add_u32 v6, v6, 23, v10
	v_or3_b32 v6, v7, v6, v3
.LBB56_1232:
	s_or_b64 exec, exec, s[6:7]
	s_nop 0
	v_mfma_f32_16x16x4f32 a[0:3], v2, v6, a[0:3]
	s_movk_i32 s4, 0xff
	v_and_b32_sdwa v3, v8, s4 dst_sel:DWORD dst_unused:UNUSED_PAD src0_sel:WORD_1 src1_sel:DWORD
	s_movk_i32 s4, 0x7f
	v_cmp_lt_i16_e32 vcc, s4, v3
	s_mov_b64 s[4:5], 0
                                        ; implicit-def: $sgpr10
	s_and_saveexec_b64 s[6:7], vcc
	s_xor_b64 s[6:7], exec, s[6:7]
	s_cbranch_execnz .LBB56_3281
; %bb.1233:
	s_or_saveexec_b64 s[6:7], s[6:7]
	v_mov_b32_e32 v2, s10
	s_xor_b64 exec, exec, s[6:7]
	s_cbranch_execnz .LBB56_3284
.LBB56_1234:
	s_or_b64 exec, exec, s[6:7]
	s_and_saveexec_b64 s[6:7], s[4:5]
	s_cbranch_execz .LBB56_1236
.LBB56_1235:
	v_bfe_u32 v2, v8, 16, 3
	v_ffbh_u32_e32 v7, v2
	v_min_u32_e32 v7, 32, v7
	v_lshrrev_b32_e32 v3, 19, v8
	v_subrev_u32_e32 v10, 28, v7
	v_and_b32_e32 v3, 15, v3
	v_lshlrev_b32_sdwa v10, v10, v8 dst_sel:DWORD dst_unused:UNUSED_PAD src0_sel:DWORD src1_sel:WORD_1
	v_bfe_u32 v6, v8, 19, 4
	v_sub_u32_e32 v7, 29, v7
	v_and_b32_e32 v10, 7, v10
	v_cmp_eq_u16_e32 vcc, 0, v3
	v_cndmask_b32_e32 v2, v2, v10, vcc
	v_cndmask_b32_e32 v3, v6, v7, vcc
	v_lshlrev_b32_e32 v6, 8, v8
	v_mov_b32_e32 v7, 0x3b800000
	v_lshlrev_b32_e32 v2, 20, v2
	v_and_b32_e32 v6, 0x80000000, v6
	v_lshl_add_u32 v3, v3, 23, v7
	v_or3_b32 v2, v6, v3, v2
.LBB56_1236:
	s_or_b64 exec, exec, s[6:7]
	s_movk_i32 s4, 0xff
	v_and_b32_sdwa v3, v4, s4 dst_sel:DWORD dst_unused:UNUSED_PAD src0_sel:WORD_1 src1_sel:DWORD
	s_movk_i32 s4, 0x7f
	v_cmp_lt_i16_e32 vcc, s4, v3
	s_mov_b64 s[4:5], 0
                                        ; implicit-def: $sgpr10
	s_and_saveexec_b64 s[6:7], vcc
	s_xor_b64 s[6:7], exec, s[6:7]
	s_cbranch_execnz .LBB56_3285
; %bb.1237:
	s_or_saveexec_b64 s[6:7], s[6:7]
	v_mov_b32_e32 v6, s10
	s_xor_b64 exec, exec, s[6:7]
	s_cbranch_execnz .LBB56_3288
.LBB56_1238:
	s_or_b64 exec, exec, s[6:7]
	s_and_saveexec_b64 s[6:7], s[4:5]
	s_cbranch_execz .LBB56_1240
.LBB56_1239:
	v_bfe_u32 v3, v4, 16, 3
	v_ffbh_u32_e32 v10, v3
	v_min_u32_e32 v10, 32, v10
	v_lshrrev_b32_e32 v6, 19, v4
	v_subrev_u32_e32 v11, 28, v10
	v_and_b32_e32 v6, 15, v6
	v_lshlrev_b32_sdwa v11, v11, v4 dst_sel:DWORD dst_unused:UNUSED_PAD src0_sel:DWORD src1_sel:WORD_1
	v_bfe_u32 v7, v4, 19, 4
	v_sub_u32_e32 v10, 29, v10
	v_and_b32_e32 v11, 7, v11
	v_cmp_eq_u16_e32 vcc, 0, v6
	v_cndmask_b32_e32 v3, v3, v11, vcc
	v_cndmask_b32_e32 v6, v7, v10, vcc
	v_lshlrev_b32_e32 v7, 8, v4
	v_mov_b32_e32 v10, 0x3b800000
	v_lshlrev_b32_e32 v3, 20, v3
	v_and_b32_e32 v7, 0x80000000, v7
	v_lshl_add_u32 v6, v6, 23, v10
	v_or3_b32 v6, v7, v6, v3
.LBB56_1240:
	s_or_b64 exec, exec, s[6:7]
	s_nop 0
	v_mfma_f32_16x16x4f32 a[0:3], v2, v6, a[0:3]
	s_movk_i32 s4, 0x7f
	v_cmp_gt_i16_sdwa s[6:7], v8, s4 src0_sel:BYTE_3 src1_sel:DWORD
	s_mov_b64 s[4:5], 0
                                        ; implicit-def: $sgpr10
	s_and_saveexec_b64 s[8:9], s[6:7]
	s_xor_b64 s[6:7], exec, s[8:9]
	s_cbranch_execnz .LBB56_3289
; %bb.1241:
	s_or_saveexec_b64 s[6:7], s[6:7]
	v_mov_b32_e32 v2, s10
	s_xor_b64 exec, exec, s[6:7]
	s_cbranch_execnz .LBB56_3292
.LBB56_1242:
	s_or_b64 exec, exec, s[6:7]
	s_and_saveexec_b64 s[6:7], s[4:5]
	s_cbranch_execz .LBB56_1244
.LBB56_1243:
	v_bfe_u32 v2, v8, 24, 3
	v_ffbh_u32_e32 v10, v2
	v_min_u32_e32 v10, 32, v10
	v_lshrrev_b32_e32 v6, 27, v8
	v_subrev_u32_e32 v11, 28, v10
	v_and_b32_e32 v3, 0x80000000, v8
	v_and_b32_e32 v6, 15, v6
	v_bfe_u32 v7, v8, 27, 4
	v_lshlrev_b32_sdwa v8, v11, v8 dst_sel:DWORD dst_unused:UNUSED_PAD src0_sel:DWORD src1_sel:BYTE_3
	v_sub_u32_e32 v10, 29, v10
	v_and_b32_e32 v8, 7, v8
	v_cmp_eq_u16_e32 vcc, 0, v6
	v_cndmask_b32_e32 v2, v2, v8, vcc
	v_cndmask_b32_e32 v6, v7, v10, vcc
	v_mov_b32_e32 v7, 0x3b800000
	v_lshlrev_b32_e32 v2, 20, v2
	v_lshl_add_u32 v6, v6, 23, v7
	v_or3_b32 v2, v3, v6, v2
.LBB56_1244:
	s_or_b64 exec, exec, s[6:7]
	s_movk_i32 s4, 0x7f
	v_cmp_gt_i16_sdwa s[6:7], v4, s4 src0_sel:BYTE_3 src1_sel:DWORD
	s_mov_b64 s[4:5], 0
                                        ; implicit-def: $sgpr10
	s_and_saveexec_b64 s[8:9], s[6:7]
	s_xor_b64 s[6:7], exec, s[8:9]
	s_cbranch_execnz .LBB56_3293
; %bb.1245:
	s_or_saveexec_b64 s[6:7], s[6:7]
	v_mov_b32_e32 v3, s10
	s_xor_b64 exec, exec, s[6:7]
	s_cbranch_execnz .LBB56_3296
.LBB56_1246:
	s_or_b64 exec, exec, s[6:7]
	s_and_saveexec_b64 s[6:7], s[4:5]
	s_cbranch_execz .LBB56_1248
.LBB56_1247:
	v_bfe_u32 v3, v4, 24, 3
	v_ffbh_u32_e32 v10, v3
	v_min_u32_e32 v10, 32, v10
	v_lshrrev_b32_e32 v7, 27, v4
	v_subrev_u32_e32 v11, 28, v10
	v_and_b32_e32 v6, 0x80000000, v4
	v_and_b32_e32 v7, 15, v7
	v_bfe_u32 v8, v4, 27, 4
	v_lshlrev_b32_sdwa v4, v11, v4 dst_sel:DWORD dst_unused:UNUSED_PAD src0_sel:DWORD src1_sel:BYTE_3
	v_sub_u32_e32 v10, 29, v10
	v_and_b32_e32 v4, 7, v4
	v_cmp_eq_u16_e32 vcc, 0, v7
	v_cndmask_b32_e32 v3, v3, v4, vcc
	v_cndmask_b32_e32 v4, v8, v10, vcc
	v_mov_b32_e32 v7, 0x3b800000
	v_lshlrev_b32_e32 v3, 20, v3
	v_lshl_add_u32 v4, v4, 23, v7
	v_or3_b32 v3, v6, v4, v3
.LBB56_1248:
	s_or_b64 exec, exec, s[6:7]
	s_nop 0
	v_mfma_f32_16x16x4f32 a[0:3], v2, v3, a[0:3]
	s_movk_i32 s4, 0x7f
	v_cmp_gt_i16_sdwa s[6:7], v9, s4 src0_sel:BYTE_0 src1_sel:DWORD
	s_mov_b64 s[4:5], 0
                                        ; implicit-def: $sgpr10
	s_and_saveexec_b64 s[8:9], s[6:7]
	s_xor_b64 s[6:7], exec, s[8:9]
	s_cbranch_execnz .LBB56_3297
; %bb.1249:
	s_or_saveexec_b64 s[6:7], s[6:7]
	v_mov_b32_e32 v2, s10
	s_xor_b64 exec, exec, s[6:7]
	s_cbranch_execnz .LBB56_3300
.LBB56_1250:
	s_or_b64 exec, exec, s[6:7]
	s_and_saveexec_b64 s[6:7], s[4:5]
	s_cbranch_execz .LBB56_1252
.LBB56_1251:
	v_mov_b32_e32 v2, 8
	v_and_b32_e32 v3, 7, v9
	v_lshrrev_b32_sdwa v2, v2, v9 dst_sel:BYTE_1 dst_unused:UNUSED_PAD src0_sel:DWORD src1_sel:DWORD
	v_ffbh_u32_e32 v4, v3
	v_or_b32_sdwa v2, v9, v2 dst_sel:DWORD dst_unused:UNUSED_PAD src0_sel:BYTE_0 src1_sel:DWORD
	v_min_u32_e32 v4, 32, v4
	v_lshrrev_b16_e32 v2, 3, v2
	v_subrev_u32_e32 v6, 28, v4
	v_and_b32_e32 v2, 15, v2
	v_lshlrev_b32_e32 v6, v6, v9
	v_sub_u32_e32 v4, 29, v4
	v_and_b32_e32 v6, 7, v6
	v_cmp_eq_u16_e32 vcc, 0, v2
	v_cndmask_b32_e32 v3, v3, v6, vcc
	v_cndmask_b32_e32 v2, v2, v4, vcc
	v_lshlrev_b32_e32 v4, 24, v9
	v_mov_b32_e32 v6, 0x3b800000
	v_lshlrev_b32_e32 v3, 20, v3
	v_and_b32_e32 v4, 0x80000000, v4
	v_lshl_add_u32 v2, v2, 23, v6
	v_or3_b32 v2, v4, v2, v3
.LBB56_1252:
	s_or_b64 exec, exec, s[6:7]
	s_movk_i32 s4, 0x7f
	v_cmp_gt_i16_sdwa s[6:7], v5, s4 src0_sel:BYTE_0 src1_sel:DWORD
	s_mov_b64 s[4:5], 0
                                        ; implicit-def: $sgpr10
	s_and_saveexec_b64 s[8:9], s[6:7]
	s_xor_b64 s[6:7], exec, s[8:9]
	s_cbranch_execnz .LBB56_3301
; %bb.1253:
	s_or_saveexec_b64 s[6:7], s[6:7]
	v_mov_b32_e32 v3, s10
	s_xor_b64 exec, exec, s[6:7]
	s_cbranch_execnz .LBB56_3304
.LBB56_1254:
	s_or_b64 exec, exec, s[6:7]
	s_and_saveexec_b64 s[6:7], s[4:5]
	s_cbranch_execz .LBB56_1256
.LBB56_1255:
	v_mov_b32_e32 v3, 8
	v_and_b32_e32 v4, 7, v5
	v_lshrrev_b32_sdwa v3, v3, v5 dst_sel:BYTE_1 dst_unused:UNUSED_PAD src0_sel:DWORD src1_sel:DWORD
	v_ffbh_u32_e32 v6, v4
	v_or_b32_sdwa v3, v5, v3 dst_sel:DWORD dst_unused:UNUSED_PAD src0_sel:BYTE_0 src1_sel:DWORD
	v_min_u32_e32 v6, 32, v6
	v_lshrrev_b16_e32 v3, 3, v3
	v_subrev_u32_e32 v7, 28, v6
	v_and_b32_e32 v3, 15, v3
	v_lshlrev_b32_e32 v7, v7, v5
	v_sub_u32_e32 v6, 29, v6
	v_and_b32_e32 v7, 7, v7
	v_cmp_eq_u16_e32 vcc, 0, v3
	v_cndmask_b32_e32 v4, v4, v7, vcc
	v_cndmask_b32_e32 v3, v3, v6, vcc
	v_lshlrev_b32_e32 v6, 24, v5
	v_mov_b32_e32 v7, 0x3b800000
	v_lshlrev_b32_e32 v4, 20, v4
	v_and_b32_e32 v6, 0x80000000, v6
	v_lshl_add_u32 v3, v3, 23, v7
	v_or3_b32 v3, v6, v3, v4
.LBB56_1256:
	s_or_b64 exec, exec, s[6:7]
	s_nop 0
	v_mfma_f32_16x16x4f32 a[0:3], v2, v3, a[0:3]
	v_lshrrev_b32_e32 v3, 8, v9
	s_movk_i32 s4, 0x7f
	v_cmp_gt_i16_sdwa s[6:7], v3, s4 src0_sel:BYTE_0 src1_sel:DWORD
	s_mov_b64 s[4:5], 0
                                        ; implicit-def: $sgpr10
	s_and_saveexec_b64 s[8:9], s[6:7]
	s_xor_b64 s[6:7], exec, s[8:9]
	s_cbranch_execnz .LBB56_3305
; %bb.1257:
	s_or_saveexec_b64 s[6:7], s[6:7]
	v_mov_b32_e32 v2, s10
	s_xor_b64 exec, exec, s[6:7]
	s_cbranch_execnz .LBB56_3308
.LBB56_1258:
	s_or_b64 exec, exec, s[6:7]
	s_and_saveexec_b64 s[6:7], s[4:5]
	s_cbranch_execz .LBB56_1260
.LBB56_1259:
	v_bfe_u32 v2, v9, 8, 3
	v_ffbh_u32_e32 v6, v2
	v_min_u32_e32 v6, 32, v6
	v_lshrrev_b16_e32 v4, 3, v3
	v_subrev_u32_e32 v7, 28, v6
	v_and_b32_e32 v4, 15, v4
	v_lshlrev_b32_e32 v3, v7, v3
	v_sub_u32_e32 v6, 29, v6
	v_and_b32_e32 v3, 7, v3
	v_cmp_eq_u16_e32 vcc, 0, v4
	v_cndmask_b32_e32 v2, v2, v3, vcc
	v_cndmask_b32_e32 v3, v4, v6, vcc
	v_lshlrev_b32_e32 v4, 16, v9
	v_mov_b32_e32 v6, 0x3b800000
	v_lshlrev_b32_e32 v2, 20, v2
	v_and_b32_e32 v4, 0x80000000, v4
	v_lshl_add_u32 v3, v3, 23, v6
	v_or3_b32 v2, v4, v3, v2
.LBB56_1260:
	s_or_b64 exec, exec, s[6:7]
	v_lshrrev_b32_e32 v3, 8, v5
	s_movk_i32 s4, 0x7f
	v_cmp_gt_i16_sdwa s[6:7], v3, s4 src0_sel:BYTE_0 src1_sel:DWORD
	s_mov_b64 s[4:5], 0
                                        ; implicit-def: $sgpr10
	s_and_saveexec_b64 s[8:9], s[6:7]
	s_xor_b64 s[6:7], exec, s[8:9]
	s_cbranch_execnz .LBB56_3309
; %bb.1261:
	s_or_saveexec_b64 s[6:7], s[6:7]
	v_mov_b32_e32 v4, s10
	s_xor_b64 exec, exec, s[6:7]
	s_cbranch_execnz .LBB56_3312
.LBB56_1262:
	s_or_b64 exec, exec, s[6:7]
	s_and_saveexec_b64 s[6:7], s[4:5]
	s_cbranch_execz .LBB56_1264
.LBB56_1263:
	v_bfe_u32 v4, v5, 8, 3
	v_ffbh_u32_e32 v7, v4
	v_min_u32_e32 v7, 32, v7
	v_lshrrev_b16_e32 v6, 3, v3
	v_subrev_u32_e32 v8, 28, v7
	v_and_b32_e32 v6, 15, v6
	v_lshlrev_b32_e32 v3, v8, v3
	v_sub_u32_e32 v7, 29, v7
	v_and_b32_e32 v3, 7, v3
	v_cmp_eq_u16_e32 vcc, 0, v6
	v_cndmask_b32_e32 v3, v4, v3, vcc
	v_cndmask_b32_e32 v4, v6, v7, vcc
	v_lshlrev_b32_e32 v6, 16, v5
	v_mov_b32_e32 v7, 0x3b800000
	v_lshlrev_b32_e32 v3, 20, v3
	v_and_b32_e32 v6, 0x80000000, v6
	v_lshl_add_u32 v4, v4, 23, v7
	v_or3_b32 v4, v6, v4, v3
.LBB56_1264:
	s_or_b64 exec, exec, s[6:7]
	s_nop 0
	v_mfma_f32_16x16x4f32 a[0:3], v2, v4, a[0:3]
	s_movk_i32 s4, 0xff
	v_and_b32_sdwa v3, v9, s4 dst_sel:DWORD dst_unused:UNUSED_PAD src0_sel:WORD_1 src1_sel:DWORD
	s_movk_i32 s4, 0x7f
	v_cmp_lt_i16_e32 vcc, s4, v3
	s_mov_b64 s[4:5], 0
                                        ; implicit-def: $sgpr10
	s_and_saveexec_b64 s[6:7], vcc
	s_xor_b64 s[6:7], exec, s[6:7]
	s_cbranch_execnz .LBB56_3313
; %bb.1265:
	s_or_saveexec_b64 s[6:7], s[6:7]
	v_mov_b32_e32 v2, s10
	s_xor_b64 exec, exec, s[6:7]
	s_cbranch_execnz .LBB56_3316
.LBB56_1266:
	s_or_b64 exec, exec, s[6:7]
	s_and_saveexec_b64 s[6:7], s[4:5]
	s_cbranch_execz .LBB56_1268
.LBB56_1267:
	v_bfe_u32 v2, v9, 16, 3
	v_ffbh_u32_e32 v6, v2
	v_min_u32_e32 v6, 32, v6
	v_lshrrev_b32_e32 v3, 19, v9
	v_subrev_u32_e32 v7, 28, v6
	v_and_b32_e32 v3, 15, v3
	v_lshlrev_b32_sdwa v7, v7, v9 dst_sel:DWORD dst_unused:UNUSED_PAD src0_sel:DWORD src1_sel:WORD_1
	v_bfe_u32 v4, v9, 19, 4
	v_sub_u32_e32 v6, 29, v6
	v_and_b32_e32 v7, 7, v7
	v_cmp_eq_u16_e32 vcc, 0, v3
	v_cndmask_b32_e32 v2, v2, v7, vcc
	v_cndmask_b32_e32 v3, v4, v6, vcc
	v_lshlrev_b32_e32 v4, 8, v9
	v_mov_b32_e32 v6, 0x3b800000
	v_lshlrev_b32_e32 v2, 20, v2
	v_and_b32_e32 v4, 0x80000000, v4
	v_lshl_add_u32 v3, v3, 23, v6
	v_or3_b32 v2, v4, v3, v2
.LBB56_1268:
	s_or_b64 exec, exec, s[6:7]
	s_movk_i32 s4, 0xff
	v_and_b32_sdwa v3, v5, s4 dst_sel:DWORD dst_unused:UNUSED_PAD src0_sel:WORD_1 src1_sel:DWORD
	s_movk_i32 s4, 0x7f
	v_cmp_lt_i16_e32 vcc, s4, v3
	s_mov_b64 s[4:5], 0
                                        ; implicit-def: $sgpr10
	s_and_saveexec_b64 s[6:7], vcc
	s_xor_b64 s[6:7], exec, s[6:7]
	s_cbranch_execnz .LBB56_3317
; %bb.1269:
	s_or_saveexec_b64 s[6:7], s[6:7]
	v_mov_b32_e32 v4, s10
	s_xor_b64 exec, exec, s[6:7]
	s_cbranch_execnz .LBB56_3320
.LBB56_1270:
	s_or_b64 exec, exec, s[6:7]
	s_and_saveexec_b64 s[6:7], s[4:5]
	s_cbranch_execz .LBB56_1272
.LBB56_1271:
	v_bfe_u32 v3, v5, 16, 3
	v_ffbh_u32_e32 v7, v3
	v_min_u32_e32 v7, 32, v7
	v_lshrrev_b32_e32 v4, 19, v5
	v_subrev_u32_e32 v8, 28, v7
	v_and_b32_e32 v4, 15, v4
	v_lshlrev_b32_sdwa v8, v8, v5 dst_sel:DWORD dst_unused:UNUSED_PAD src0_sel:DWORD src1_sel:WORD_1
	v_bfe_u32 v6, v5, 19, 4
	v_sub_u32_e32 v7, 29, v7
	v_and_b32_e32 v8, 7, v8
	v_cmp_eq_u16_e32 vcc, 0, v4
	v_cndmask_b32_e32 v3, v3, v8, vcc
	v_cndmask_b32_e32 v4, v6, v7, vcc
	v_lshlrev_b32_e32 v6, 8, v5
	v_mov_b32_e32 v7, 0x3b800000
	v_lshlrev_b32_e32 v3, 20, v3
	v_and_b32_e32 v6, 0x80000000, v6
	v_lshl_add_u32 v4, v4, 23, v7
	v_or3_b32 v4, v6, v4, v3
.LBB56_1272:
	s_or_b64 exec, exec, s[6:7]
	s_nop 0
	v_mfma_f32_16x16x4f32 a[0:3], v2, v4, a[0:3]
	s_movk_i32 s4, 0x7f
	v_cmp_gt_i16_sdwa s[6:7], v9, s4 src0_sel:BYTE_3 src1_sel:DWORD
	s_mov_b64 s[4:5], 0
                                        ; implicit-def: $sgpr10
	s_and_saveexec_b64 s[8:9], s[6:7]
	s_xor_b64 s[6:7], exec, s[8:9]
	s_cbranch_execnz .LBB56_3321
; %bb.1273:
	s_or_saveexec_b64 s[6:7], s[6:7]
	v_mov_b32_e32 v2, s10
	s_xor_b64 exec, exec, s[6:7]
	s_cbranch_execnz .LBB56_3324
.LBB56_1274:
	s_or_b64 exec, exec, s[6:7]
	s_and_saveexec_b64 s[6:7], s[4:5]
	s_cbranch_execz .LBB56_1276
.LBB56_1275:
	v_bfe_u32 v2, v9, 24, 3
	v_ffbh_u32_e32 v7, v2
	v_min_u32_e32 v7, 32, v7
	v_lshrrev_b32_e32 v4, 27, v9
	v_subrev_u32_e32 v8, 28, v7
	v_and_b32_e32 v4, 15, v4
	v_lshlrev_b32_sdwa v8, v8, v9 dst_sel:DWORD dst_unused:UNUSED_PAD src0_sel:DWORD src1_sel:BYTE_3
	v_bfe_u32 v6, v9, 27, 4
	v_sub_u32_e32 v7, 29, v7
	v_and_b32_e32 v8, 7, v8
	v_cmp_eq_u16_e32 vcc, 0, v4
	v_cndmask_b32_e32 v2, v2, v8, vcc
	v_cndmask_b32_e32 v4, v6, v7, vcc
	v_mov_b32_e32 v6, 0x3b800000
	v_and_b32_e32 v3, 0x80000000, v9
	v_lshlrev_b32_e32 v2, 20, v2
	v_lshl_add_u32 v4, v4, 23, v6
	v_or3_b32 v2, v3, v4, v2
.LBB56_1276:
	s_or_b64 exec, exec, s[6:7]
	s_movk_i32 s4, 0x7f
	v_cmp_gt_i16_sdwa s[6:7], v5, s4 src0_sel:BYTE_3 src1_sel:DWORD
	s_mov_b64 s[4:5], 0
                                        ; implicit-def: $sgpr10
	s_and_saveexec_b64 s[8:9], s[6:7]
	s_xor_b64 s[6:7], exec, s[8:9]
	s_cbranch_execnz .LBB56_3325
; %bb.1277:
	s_or_saveexec_b64 s[6:7], s[6:7]
	v_mov_b32_e32 v3, s10
	s_xor_b64 exec, exec, s[6:7]
	s_cbranch_execnz .LBB56_3328
.LBB56_1278:
	s_or_b64 exec, exec, s[6:7]
	s_and_saveexec_b64 s[6:7], s[4:5]
	s_cbranch_execz .LBB56_1280
.LBB56_1279:
	v_bfe_u32 v3, v5, 24, 3
	v_ffbh_u32_e32 v8, v3
	v_min_u32_e32 v8, 32, v8
	v_lshrrev_b32_e32 v6, 27, v5
	v_subrev_u32_e32 v9, 28, v8
	v_and_b32_e32 v4, 0x80000000, v5
	v_and_b32_e32 v6, 15, v6
	v_bfe_u32 v7, v5, 27, 4
	v_lshlrev_b32_sdwa v5, v9, v5 dst_sel:DWORD dst_unused:UNUSED_PAD src0_sel:DWORD src1_sel:BYTE_3
	v_sub_u32_e32 v8, 29, v8
	v_and_b32_e32 v5, 7, v5
	v_cmp_eq_u16_e32 vcc, 0, v6
	v_cndmask_b32_e32 v3, v3, v5, vcc
	v_cndmask_b32_e32 v5, v7, v8, vcc
	v_mov_b32_e32 v6, 0x3b800000
	v_lshlrev_b32_e32 v3, 20, v3
	v_lshl_add_u32 v5, v5, 23, v6
	v_or3_b32 v3, v4, v5, v3
.LBB56_1280:
	s_or_b64 exec, exec, s[6:7]
	s_nop 0
	v_mfma_f32_16x16x4f32 a[0:3], v2, v3, a[0:3]
	s_movk_i32 s4, 0x7f
                                        ; implicit-def: $sgpr10
	s_nop 7
	s_nop 1
	flat_store_dwordx4 v[18:19], a[0:3] offset:576
	flat_load_dwordx4 v[20:23], v[0:1] offset:8
	s_nop 0
	flat_load_dwordx2 v[18:19], v[0:1] offset:24
	s_waitcnt vmcnt(0) lgkmcnt(0)
	flat_load_dwordx4 v[14:17], v[20:21]
	flat_load_dwordx4 v[6:9], v[20:21] offset:16
	flat_load_dwordx4 v[10:13], v[22:23] offset:416
	;; [unrolled: 1-line block ×3, first 2 shown]
	s_waitcnt vmcnt(0) lgkmcnt(0)
	v_cmp_gt_i16_sdwa s[6:7], v14, s4 src0_sel:BYTE_0 src1_sel:DWORD
	s_mov_b64 s[4:5], 0
	s_and_saveexec_b64 s[8:9], s[6:7]
	s_xor_b64 s[6:7], exec, s[8:9]
	s_cbranch_execnz .LBB56_3329
; %bb.1281:
	s_or_saveexec_b64 s[6:7], s[6:7]
	v_mov_b32_e32 v20, s10
	s_xor_b64 exec, exec, s[6:7]
	s_cbranch_execnz .LBB56_3332
.LBB56_1282:
	s_or_b64 exec, exec, s[6:7]
	s_and_saveexec_b64 s[6:7], s[4:5]
	s_cbranch_execz .LBB56_1284
.LBB56_1283:
	v_and_b32_e32 v20, 7, v14
	v_ffbh_u32_e32 v22, v20
	v_min_u32_e32 v22, 32, v22
	v_lshrrev_b16_e32 v21, 3, v14
	v_subrev_u32_e32 v23, 28, v22
	v_and_b32_e32 v21, 15, v21
	v_lshlrev_b32_e32 v23, v23, v14
	v_sub_u32_e32 v22, 29, v22
	v_and_b32_e32 v23, 7, v23
	v_cmp_eq_u16_e32 vcc, 0, v21
	v_cndmask_b32_e32 v20, v20, v23, vcc
	v_cndmask_b32_e32 v21, v21, v22, vcc
	v_lshlrev_b32_e32 v22, 24, v14
	v_mov_b32_e32 v23, 0x3b800000
	v_lshlrev_b32_e32 v20, 20, v20
	v_and_b32_e32 v22, 0x80000000, v22
	v_lshl_add_u32 v21, v21, 23, v23
	v_or3_b32 v20, v22, v21, v20
.LBB56_1284:
	s_or_b64 exec, exec, s[6:7]
	s_movk_i32 s4, 0x7f
	v_cmp_gt_i16_sdwa s[6:7], v10, s4 src0_sel:BYTE_0 src1_sel:DWORD
	s_mov_b64 s[4:5], 0
                                        ; implicit-def: $sgpr10
	s_and_saveexec_b64 s[8:9], s[6:7]
	s_xor_b64 s[6:7], exec, s[8:9]
	s_cbranch_execnz .LBB56_3333
; %bb.1285:
	s_or_saveexec_b64 s[6:7], s[6:7]
	v_mov_b32_e32 v21, s10
	s_xor_b64 exec, exec, s[6:7]
	s_cbranch_execnz .LBB56_3336
.LBB56_1286:
	s_or_b64 exec, exec, s[6:7]
	s_and_saveexec_b64 s[6:7], s[4:5]
	s_cbranch_execz .LBB56_1288
.LBB56_1287:
	v_and_b32_e32 v21, 7, v10
	v_ffbh_u32_e32 v23, v21
	v_min_u32_e32 v23, 32, v23
	v_lshrrev_b16_e32 v22, 3, v10
	v_subrev_u32_e32 v24, 28, v23
	v_and_b32_e32 v22, 15, v22
	v_lshlrev_b32_e32 v24, v24, v10
	v_sub_u32_e32 v23, 29, v23
	v_and_b32_e32 v24, 7, v24
	v_cmp_eq_u16_e32 vcc, 0, v22
	v_cndmask_b32_e32 v21, v21, v24, vcc
	v_cndmask_b32_e32 v22, v22, v23, vcc
	v_lshlrev_b32_e32 v23, 24, v10
	v_mov_b32_e32 v24, 0x3b800000
	v_lshlrev_b32_e32 v21, 20, v21
	v_and_b32_e32 v23, 0x80000000, v23
	v_lshl_add_u32 v22, v22, 23, v24
	v_or3_b32 v21, v23, v22, v21
.LBB56_1288:
	s_or_b64 exec, exec, s[6:7]
	flat_load_dwordx4 a[0:3], v[18:19] offset:592
	s_movk_i32 s4, 0x7f
                                        ; implicit-def: $sgpr10
	s_waitcnt vmcnt(0) lgkmcnt(0)
	v_mfma_f32_16x16x4f32 a[0:3], v20, v21, a[0:3]
	v_lshrrev_b32_e32 v21, 8, v14
	v_cmp_gt_i16_sdwa s[6:7], v21, s4 src0_sel:BYTE_0 src1_sel:DWORD
	s_mov_b64 s[4:5], 0
	s_and_saveexec_b64 s[8:9], s[6:7]
	s_xor_b64 s[6:7], exec, s[8:9]
	s_cbranch_execnz .LBB56_3337
; %bb.1289:
	s_or_saveexec_b64 s[6:7], s[6:7]
	v_mov_b32_e32 v20, s10
	s_xor_b64 exec, exec, s[6:7]
	s_cbranch_execnz .LBB56_3340
.LBB56_1290:
	s_or_b64 exec, exec, s[6:7]
	s_and_saveexec_b64 s[6:7], s[4:5]
	s_cbranch_execz .LBB56_1292
.LBB56_1291:
	v_bfe_u32 v20, v14, 8, 3
	v_ffbh_u32_e32 v23, v20
	v_min_u32_e32 v23, 32, v23
	v_lshrrev_b16_e32 v22, 3, v21
	v_subrev_u32_e32 v24, 28, v23
	v_and_b32_e32 v22, 15, v22
	v_lshlrev_b32_e32 v21, v24, v21
	v_sub_u32_e32 v23, 29, v23
	v_and_b32_e32 v21, 7, v21
	v_cmp_eq_u16_e32 vcc, 0, v22
	v_cndmask_b32_e32 v20, v20, v21, vcc
	v_cndmask_b32_e32 v21, v22, v23, vcc
	v_lshlrev_b32_e32 v22, 16, v14
	v_mov_b32_e32 v23, 0x3b800000
	v_lshlrev_b32_e32 v20, 20, v20
	v_and_b32_e32 v22, 0x80000000, v22
	v_lshl_add_u32 v21, v21, 23, v23
	v_or3_b32 v20, v22, v21, v20
.LBB56_1292:
	s_or_b64 exec, exec, s[6:7]
	v_lshrrev_b32_e32 v21, 8, v10
	s_movk_i32 s4, 0x7f
	v_cmp_gt_i16_sdwa s[6:7], v21, s4 src0_sel:BYTE_0 src1_sel:DWORD
	s_mov_b64 s[4:5], 0
                                        ; implicit-def: $sgpr10
	s_and_saveexec_b64 s[8:9], s[6:7]
	s_xor_b64 s[6:7], exec, s[8:9]
	s_cbranch_execnz .LBB56_3341
; %bb.1293:
	s_or_saveexec_b64 s[6:7], s[6:7]
	v_mov_b32_e32 v22, s10
	s_xor_b64 exec, exec, s[6:7]
	s_cbranch_execnz .LBB56_3344
.LBB56_1294:
	s_or_b64 exec, exec, s[6:7]
	s_and_saveexec_b64 s[6:7], s[4:5]
	s_cbranch_execz .LBB56_1296
.LBB56_1295:
	v_bfe_u32 v22, v10, 8, 3
	v_ffbh_u32_e32 v24, v22
	v_min_u32_e32 v24, 32, v24
	v_lshrrev_b16_e32 v23, 3, v21
	v_subrev_u32_e32 v25, 28, v24
	v_and_b32_e32 v23, 15, v23
	v_lshlrev_b32_e32 v21, v25, v21
	v_sub_u32_e32 v24, 29, v24
	v_and_b32_e32 v21, 7, v21
	v_cmp_eq_u16_e32 vcc, 0, v23
	v_cndmask_b32_e32 v21, v22, v21, vcc
	v_cndmask_b32_e32 v22, v23, v24, vcc
	v_lshlrev_b32_e32 v23, 16, v10
	v_mov_b32_e32 v24, 0x3b800000
	v_lshlrev_b32_e32 v21, 20, v21
	v_and_b32_e32 v23, 0x80000000, v23
	v_lshl_add_u32 v22, v22, 23, v24
	v_or3_b32 v22, v23, v22, v21
.LBB56_1296:
	s_or_b64 exec, exec, s[6:7]
	s_nop 0
	v_mfma_f32_16x16x4f32 a[0:3], v20, v22, a[0:3]
	s_movk_i32 s4, 0xff
	v_and_b32_sdwa v21, v14, s4 dst_sel:DWORD dst_unused:UNUSED_PAD src0_sel:WORD_1 src1_sel:DWORD
	s_movk_i32 s4, 0x7f
	v_cmp_lt_i16_e32 vcc, s4, v21
	s_mov_b64 s[4:5], 0
                                        ; implicit-def: $sgpr10
	s_and_saveexec_b64 s[6:7], vcc
	s_xor_b64 s[6:7], exec, s[6:7]
	s_cbranch_execnz .LBB56_3345
; %bb.1297:
	s_or_saveexec_b64 s[6:7], s[6:7]
	v_mov_b32_e32 v20, s10
	s_xor_b64 exec, exec, s[6:7]
	s_cbranch_execnz .LBB56_3348
.LBB56_1298:
	s_or_b64 exec, exec, s[6:7]
	s_and_saveexec_b64 s[6:7], s[4:5]
	s_cbranch_execz .LBB56_1300
.LBB56_1299:
	v_bfe_u32 v20, v14, 16, 3
	v_ffbh_u32_e32 v23, v20
	v_min_u32_e32 v23, 32, v23
	v_lshrrev_b32_e32 v21, 19, v14
	v_subrev_u32_e32 v24, 28, v23
	v_and_b32_e32 v21, 15, v21
	v_lshlrev_b32_sdwa v24, v24, v14 dst_sel:DWORD dst_unused:UNUSED_PAD src0_sel:DWORD src1_sel:WORD_1
	v_bfe_u32 v22, v14, 19, 4
	v_sub_u32_e32 v23, 29, v23
	v_and_b32_e32 v24, 7, v24
	v_cmp_eq_u16_e32 vcc, 0, v21
	v_cndmask_b32_e32 v20, v20, v24, vcc
	v_cndmask_b32_e32 v21, v22, v23, vcc
	v_lshlrev_b32_e32 v22, 8, v14
	v_mov_b32_e32 v23, 0x3b800000
	v_lshlrev_b32_e32 v20, 20, v20
	v_and_b32_e32 v22, 0x80000000, v22
	v_lshl_add_u32 v21, v21, 23, v23
	v_or3_b32 v20, v22, v21, v20
.LBB56_1300:
	s_or_b64 exec, exec, s[6:7]
	s_movk_i32 s4, 0xff
	v_and_b32_sdwa v21, v10, s4 dst_sel:DWORD dst_unused:UNUSED_PAD src0_sel:WORD_1 src1_sel:DWORD
	s_movk_i32 s4, 0x7f
	v_cmp_lt_i16_e32 vcc, s4, v21
	s_mov_b64 s[4:5], 0
                                        ; implicit-def: $sgpr10
	s_and_saveexec_b64 s[6:7], vcc
	s_xor_b64 s[6:7], exec, s[6:7]
	s_cbranch_execnz .LBB56_3349
; %bb.1301:
	s_or_saveexec_b64 s[6:7], s[6:7]
	v_mov_b32_e32 v22, s10
	s_xor_b64 exec, exec, s[6:7]
	s_cbranch_execnz .LBB56_3352
.LBB56_1302:
	s_or_b64 exec, exec, s[6:7]
	s_and_saveexec_b64 s[6:7], s[4:5]
	s_cbranch_execz .LBB56_1304
.LBB56_1303:
	v_bfe_u32 v21, v10, 16, 3
	v_ffbh_u32_e32 v24, v21
	v_min_u32_e32 v24, 32, v24
	v_lshrrev_b32_e32 v22, 19, v10
	v_subrev_u32_e32 v25, 28, v24
	v_and_b32_e32 v22, 15, v22
	v_lshlrev_b32_sdwa v25, v25, v10 dst_sel:DWORD dst_unused:UNUSED_PAD src0_sel:DWORD src1_sel:WORD_1
	v_bfe_u32 v23, v10, 19, 4
	v_sub_u32_e32 v24, 29, v24
	v_and_b32_e32 v25, 7, v25
	v_cmp_eq_u16_e32 vcc, 0, v22
	v_cndmask_b32_e32 v21, v21, v25, vcc
	v_cndmask_b32_e32 v22, v23, v24, vcc
	v_lshlrev_b32_e32 v23, 8, v10
	v_mov_b32_e32 v24, 0x3b800000
	v_lshlrev_b32_e32 v21, 20, v21
	v_and_b32_e32 v23, 0x80000000, v23
	v_lshl_add_u32 v22, v22, 23, v24
	v_or3_b32 v22, v23, v22, v21
.LBB56_1304:
	s_or_b64 exec, exec, s[6:7]
	s_nop 0
	v_mfma_f32_16x16x4f32 a[0:3], v20, v22, a[0:3]
	s_movk_i32 s4, 0x7f
	v_cmp_gt_i16_sdwa s[6:7], v14, s4 src0_sel:BYTE_3 src1_sel:DWORD
	s_mov_b64 s[4:5], 0
                                        ; implicit-def: $sgpr10
	s_and_saveexec_b64 s[8:9], s[6:7]
	s_xor_b64 s[6:7], exec, s[8:9]
	s_cbranch_execnz .LBB56_3353
; %bb.1305:
	s_or_saveexec_b64 s[6:7], s[6:7]
	v_mov_b32_e32 v20, s10
	s_xor_b64 exec, exec, s[6:7]
	s_cbranch_execnz .LBB56_3356
.LBB56_1306:
	s_or_b64 exec, exec, s[6:7]
	s_and_saveexec_b64 s[6:7], s[4:5]
	s_cbranch_execz .LBB56_1308
.LBB56_1307:
	v_bfe_u32 v20, v14, 24, 3
	v_ffbh_u32_e32 v24, v20
	v_min_u32_e32 v24, 32, v24
	v_lshrrev_b32_e32 v22, 27, v14
	v_subrev_u32_e32 v25, 28, v24
	v_and_b32_e32 v21, 0x80000000, v14
	v_and_b32_e32 v22, 15, v22
	v_bfe_u32 v23, v14, 27, 4
	v_lshlrev_b32_sdwa v14, v25, v14 dst_sel:DWORD dst_unused:UNUSED_PAD src0_sel:DWORD src1_sel:BYTE_3
	v_sub_u32_e32 v24, 29, v24
	v_and_b32_e32 v14, 7, v14
	v_cmp_eq_u16_e32 vcc, 0, v22
	v_cndmask_b32_e32 v14, v20, v14, vcc
	v_cndmask_b32_e32 v20, v23, v24, vcc
	v_mov_b32_e32 v22, 0x3b800000
	v_lshlrev_b32_e32 v14, 20, v14
	v_lshl_add_u32 v20, v20, 23, v22
	v_or3_b32 v20, v21, v20, v14
.LBB56_1308:
	s_or_b64 exec, exec, s[6:7]
	s_movk_i32 s4, 0x7f
	v_cmp_gt_i16_sdwa s[6:7], v10, s4 src0_sel:BYTE_3 src1_sel:DWORD
	s_mov_b64 s[4:5], 0
                                        ; implicit-def: $sgpr10
	s_and_saveexec_b64 s[8:9], s[6:7]
	s_xor_b64 s[6:7], exec, s[8:9]
	s_cbranch_execnz .LBB56_3357
; %bb.1309:
	s_or_saveexec_b64 s[6:7], s[6:7]
	v_mov_b32_e32 v14, s10
	s_xor_b64 exec, exec, s[6:7]
	s_cbranch_execnz .LBB56_3360
.LBB56_1310:
	s_or_b64 exec, exec, s[6:7]
	s_and_saveexec_b64 s[6:7], s[4:5]
	s_cbranch_execz .LBB56_1312
.LBB56_1311:
	v_bfe_u32 v14, v10, 24, 3
	v_ffbh_u32_e32 v24, v14
	v_min_u32_e32 v24, 32, v24
	v_lshrrev_b32_e32 v22, 27, v10
	v_subrev_u32_e32 v25, 28, v24
	v_and_b32_e32 v21, 0x80000000, v10
	v_and_b32_e32 v22, 15, v22
	v_bfe_u32 v23, v10, 27, 4
	v_lshlrev_b32_sdwa v10, v25, v10 dst_sel:DWORD dst_unused:UNUSED_PAD src0_sel:DWORD src1_sel:BYTE_3
	v_sub_u32_e32 v24, 29, v24
	v_and_b32_e32 v10, 7, v10
	v_cmp_eq_u16_e32 vcc, 0, v22
	v_cndmask_b32_e32 v10, v14, v10, vcc
	v_cndmask_b32_e32 v14, v23, v24, vcc
	v_mov_b32_e32 v22, 0x3b800000
	v_lshlrev_b32_e32 v10, 20, v10
	v_lshl_add_u32 v14, v14, 23, v22
	v_or3_b32 v14, v21, v14, v10
.LBB56_1312:
	s_or_b64 exec, exec, s[6:7]
	s_nop 0
	v_mfma_f32_16x16x4f32 a[0:3], v20, v14, a[0:3]
	s_movk_i32 s4, 0x7f
	v_cmp_gt_i16_sdwa s[6:7], v15, s4 src0_sel:BYTE_0 src1_sel:DWORD
	s_mov_b64 s[4:5], 0
                                        ; implicit-def: $sgpr10
	s_and_saveexec_b64 s[8:9], s[6:7]
	s_xor_b64 s[6:7], exec, s[8:9]
	s_cbranch_execnz .LBB56_3361
; %bb.1313:
	s_or_saveexec_b64 s[6:7], s[6:7]
	v_mov_b32_e32 v10, s10
	s_xor_b64 exec, exec, s[6:7]
	s_cbranch_execnz .LBB56_3364
.LBB56_1314:
	s_or_b64 exec, exec, s[6:7]
	s_and_saveexec_b64 s[6:7], s[4:5]
	s_cbranch_execz .LBB56_1316
.LBB56_1315:
	v_and_b32_e32 v10, 7, v15
	v_ffbh_u32_e32 v20, v10
	v_min_u32_e32 v20, 32, v20
	v_lshrrev_b16_e32 v14, 3, v15
	v_subrev_u32_e32 v21, 28, v20
	v_and_b32_e32 v14, 15, v14
	v_lshlrev_b32_e32 v21, v21, v15
	v_sub_u32_e32 v20, 29, v20
	v_and_b32_e32 v21, 7, v21
	v_cmp_eq_u16_e32 vcc, 0, v14
	v_cndmask_b32_e32 v10, v10, v21, vcc
	v_cndmask_b32_e32 v14, v14, v20, vcc
	v_lshlrev_b32_e32 v20, 24, v15
	v_mov_b32_e32 v21, 0x3b800000
	v_lshlrev_b32_e32 v10, 20, v10
	v_and_b32_e32 v20, 0x80000000, v20
	v_lshl_add_u32 v14, v14, 23, v21
	v_or3_b32 v10, v20, v14, v10
.LBB56_1316:
	s_or_b64 exec, exec, s[6:7]
	s_movk_i32 s4, 0x7f
	v_cmp_gt_i16_sdwa s[6:7], v11, s4 src0_sel:BYTE_0 src1_sel:DWORD
	s_mov_b64 s[4:5], 0
                                        ; implicit-def: $sgpr10
	s_and_saveexec_b64 s[8:9], s[6:7]
	s_xor_b64 s[6:7], exec, s[8:9]
	s_cbranch_execnz .LBB56_3365
; %bb.1317:
	s_or_saveexec_b64 s[6:7], s[6:7]
	v_mov_b32_e32 v14, s10
	s_xor_b64 exec, exec, s[6:7]
	s_cbranch_execnz .LBB56_3368
.LBB56_1318:
	s_or_b64 exec, exec, s[6:7]
	s_and_saveexec_b64 s[6:7], s[4:5]
	s_cbranch_execz .LBB56_1320
.LBB56_1319:
	v_and_b32_e32 v14, 7, v11
	v_ffbh_u32_e32 v21, v14
	v_min_u32_e32 v21, 32, v21
	v_lshrrev_b16_e32 v20, 3, v11
	v_subrev_u32_e32 v22, 28, v21
	v_and_b32_e32 v20, 15, v20
	v_lshlrev_b32_e32 v22, v22, v11
	v_sub_u32_e32 v21, 29, v21
	v_and_b32_e32 v22, 7, v22
	v_cmp_eq_u16_e32 vcc, 0, v20
	v_cndmask_b32_e32 v14, v14, v22, vcc
	v_cndmask_b32_e32 v20, v20, v21, vcc
	v_lshlrev_b32_e32 v21, 24, v11
	v_mov_b32_e32 v22, 0x3b800000
	v_lshlrev_b32_e32 v14, 20, v14
	v_and_b32_e32 v21, 0x80000000, v21
	v_lshl_add_u32 v20, v20, 23, v22
	v_or3_b32 v14, v21, v20, v14
.LBB56_1320:
	s_or_b64 exec, exec, s[6:7]
	s_nop 0
	v_mfma_f32_16x16x4f32 a[0:3], v10, v14, a[0:3]
	v_lshrrev_b32_e32 v14, 8, v15
	s_movk_i32 s4, 0x7f
	v_cmp_gt_i16_sdwa s[6:7], v14, s4 src0_sel:BYTE_0 src1_sel:DWORD
	s_mov_b64 s[4:5], 0
                                        ; implicit-def: $sgpr10
	s_and_saveexec_b64 s[8:9], s[6:7]
	s_xor_b64 s[6:7], exec, s[8:9]
	s_cbranch_execnz .LBB56_3369
; %bb.1321:
	s_or_saveexec_b64 s[6:7], s[6:7]
	v_mov_b32_e32 v10, s10
	s_xor_b64 exec, exec, s[6:7]
	s_cbranch_execnz .LBB56_3372
.LBB56_1322:
	s_or_b64 exec, exec, s[6:7]
	s_and_saveexec_b64 s[6:7], s[4:5]
	s_cbranch_execz .LBB56_1324
.LBB56_1323:
	v_bfe_u32 v10, v15, 8, 3
	v_ffbh_u32_e32 v21, v10
	v_min_u32_e32 v21, 32, v21
	v_lshrrev_b16_e32 v20, 3, v14
	v_subrev_u32_e32 v22, 28, v21
	v_and_b32_e32 v20, 15, v20
	v_lshlrev_b32_e32 v14, v22, v14
	v_sub_u32_e32 v21, 29, v21
	v_and_b32_e32 v14, 7, v14
	v_cmp_eq_u16_e32 vcc, 0, v20
	v_cndmask_b32_e32 v10, v10, v14, vcc
	v_cndmask_b32_e32 v14, v20, v21, vcc
	v_lshlrev_b32_e32 v20, 16, v15
	v_mov_b32_e32 v21, 0x3b800000
	v_lshlrev_b32_e32 v10, 20, v10
	v_and_b32_e32 v20, 0x80000000, v20
	v_lshl_add_u32 v14, v14, 23, v21
	v_or3_b32 v10, v20, v14, v10
.LBB56_1324:
	s_or_b64 exec, exec, s[6:7]
	v_lshrrev_b32_e32 v14, 8, v11
	s_movk_i32 s4, 0x7f
	v_cmp_gt_i16_sdwa s[6:7], v14, s4 src0_sel:BYTE_0 src1_sel:DWORD
	s_mov_b64 s[4:5], 0
                                        ; implicit-def: $sgpr10
	s_and_saveexec_b64 s[8:9], s[6:7]
	s_xor_b64 s[6:7], exec, s[8:9]
	s_cbranch_execnz .LBB56_3373
; %bb.1325:
	s_or_saveexec_b64 s[6:7], s[6:7]
	v_mov_b32_e32 v20, s10
	s_xor_b64 exec, exec, s[6:7]
	s_cbranch_execnz .LBB56_3376
.LBB56_1326:
	s_or_b64 exec, exec, s[6:7]
	s_and_saveexec_b64 s[6:7], s[4:5]
	s_cbranch_execz .LBB56_1328
.LBB56_1327:
	v_bfe_u32 v20, v11, 8, 3
	v_ffbh_u32_e32 v22, v20
	v_min_u32_e32 v22, 32, v22
	v_lshrrev_b16_e32 v21, 3, v14
	v_subrev_u32_e32 v23, 28, v22
	v_and_b32_e32 v21, 15, v21
	v_lshlrev_b32_e32 v14, v23, v14
	v_sub_u32_e32 v22, 29, v22
	v_and_b32_e32 v14, 7, v14
	v_cmp_eq_u16_e32 vcc, 0, v21
	v_cndmask_b32_e32 v14, v20, v14, vcc
	v_cndmask_b32_e32 v20, v21, v22, vcc
	v_lshlrev_b32_e32 v21, 16, v11
	v_mov_b32_e32 v22, 0x3b800000
	v_lshlrev_b32_e32 v14, 20, v14
	v_and_b32_e32 v21, 0x80000000, v21
	v_lshl_add_u32 v20, v20, 23, v22
	v_or3_b32 v20, v21, v20, v14
.LBB56_1328:
	s_or_b64 exec, exec, s[6:7]
	s_nop 0
	v_mfma_f32_16x16x4f32 a[0:3], v10, v20, a[0:3]
	s_movk_i32 s4, 0xff
	v_and_b32_sdwa v14, v15, s4 dst_sel:DWORD dst_unused:UNUSED_PAD src0_sel:WORD_1 src1_sel:DWORD
	s_movk_i32 s4, 0x7f
	v_cmp_lt_i16_e32 vcc, s4, v14
	s_mov_b64 s[4:5], 0
                                        ; implicit-def: $sgpr10
	s_and_saveexec_b64 s[6:7], vcc
	s_xor_b64 s[6:7], exec, s[6:7]
	s_cbranch_execnz .LBB56_3377
; %bb.1329:
	s_or_saveexec_b64 s[6:7], s[6:7]
	v_mov_b32_e32 v10, s10
	s_xor_b64 exec, exec, s[6:7]
	s_cbranch_execnz .LBB56_3380
.LBB56_1330:
	s_or_b64 exec, exec, s[6:7]
	s_and_saveexec_b64 s[6:7], s[4:5]
	s_cbranch_execz .LBB56_1332
.LBB56_1331:
	v_bfe_u32 v10, v15, 16, 3
	v_ffbh_u32_e32 v21, v10
	v_min_u32_e32 v21, 32, v21
	v_lshrrev_b32_e32 v14, 19, v15
	v_subrev_u32_e32 v22, 28, v21
	v_and_b32_e32 v14, 15, v14
	v_lshlrev_b32_sdwa v22, v22, v15 dst_sel:DWORD dst_unused:UNUSED_PAD src0_sel:DWORD src1_sel:WORD_1
	v_bfe_u32 v20, v15, 19, 4
	v_sub_u32_e32 v21, 29, v21
	v_and_b32_e32 v22, 7, v22
	v_cmp_eq_u16_e32 vcc, 0, v14
	v_cndmask_b32_e32 v10, v10, v22, vcc
	v_cndmask_b32_e32 v14, v20, v21, vcc
	v_lshlrev_b32_e32 v20, 8, v15
	v_mov_b32_e32 v21, 0x3b800000
	v_lshlrev_b32_e32 v10, 20, v10
	v_and_b32_e32 v20, 0x80000000, v20
	v_lshl_add_u32 v14, v14, 23, v21
	v_or3_b32 v10, v20, v14, v10
.LBB56_1332:
	s_or_b64 exec, exec, s[6:7]
	s_movk_i32 s4, 0xff
	v_and_b32_sdwa v14, v11, s4 dst_sel:DWORD dst_unused:UNUSED_PAD src0_sel:WORD_1 src1_sel:DWORD
	s_movk_i32 s4, 0x7f
	v_cmp_lt_i16_e32 vcc, s4, v14
	s_mov_b64 s[4:5], 0
                                        ; implicit-def: $sgpr10
	s_and_saveexec_b64 s[6:7], vcc
	s_xor_b64 s[6:7], exec, s[6:7]
	s_cbranch_execnz .LBB56_3381
; %bb.1333:
	s_or_saveexec_b64 s[6:7], s[6:7]
	v_mov_b32_e32 v20, s10
	s_xor_b64 exec, exec, s[6:7]
	s_cbranch_execnz .LBB56_3384
.LBB56_1334:
	s_or_b64 exec, exec, s[6:7]
	s_and_saveexec_b64 s[6:7], s[4:5]
	s_cbranch_execz .LBB56_1336
.LBB56_1335:
	v_bfe_u32 v14, v11, 16, 3
	v_ffbh_u32_e32 v22, v14
	v_min_u32_e32 v22, 32, v22
	v_lshrrev_b32_e32 v20, 19, v11
	v_subrev_u32_e32 v23, 28, v22
	v_and_b32_e32 v20, 15, v20
	v_lshlrev_b32_sdwa v23, v23, v11 dst_sel:DWORD dst_unused:UNUSED_PAD src0_sel:DWORD src1_sel:WORD_1
	v_bfe_u32 v21, v11, 19, 4
	v_sub_u32_e32 v22, 29, v22
	v_and_b32_e32 v23, 7, v23
	v_cmp_eq_u16_e32 vcc, 0, v20
	v_cndmask_b32_e32 v14, v14, v23, vcc
	v_cndmask_b32_e32 v20, v21, v22, vcc
	v_lshlrev_b32_e32 v21, 8, v11
	v_mov_b32_e32 v22, 0x3b800000
	v_lshlrev_b32_e32 v14, 20, v14
	v_and_b32_e32 v21, 0x80000000, v21
	v_lshl_add_u32 v20, v20, 23, v22
	v_or3_b32 v20, v21, v20, v14
.LBB56_1336:
	s_or_b64 exec, exec, s[6:7]
	s_nop 0
	v_mfma_f32_16x16x4f32 a[0:3], v10, v20, a[0:3]
	s_movk_i32 s4, 0x7f
	v_cmp_gt_i16_sdwa s[6:7], v15, s4 src0_sel:BYTE_3 src1_sel:DWORD
	s_mov_b64 s[4:5], 0
                                        ; implicit-def: $sgpr10
	s_and_saveexec_b64 s[8:9], s[6:7]
	s_xor_b64 s[6:7], exec, s[8:9]
	s_cbranch_execnz .LBB56_3385
; %bb.1337:
	s_or_saveexec_b64 s[6:7], s[6:7]
	v_mov_b32_e32 v10, s10
	s_xor_b64 exec, exec, s[6:7]
	s_cbranch_execnz .LBB56_3388
.LBB56_1338:
	s_or_b64 exec, exec, s[6:7]
	s_and_saveexec_b64 s[6:7], s[4:5]
	s_cbranch_execz .LBB56_1340
.LBB56_1339:
	v_bfe_u32 v10, v15, 24, 3
	v_ffbh_u32_e32 v22, v10
	v_min_u32_e32 v22, 32, v22
	v_lshrrev_b32_e32 v20, 27, v15
	v_subrev_u32_e32 v23, 28, v22
	v_and_b32_e32 v14, 0x80000000, v15
	v_and_b32_e32 v20, 15, v20
	v_bfe_u32 v21, v15, 27, 4
	v_lshlrev_b32_sdwa v15, v23, v15 dst_sel:DWORD dst_unused:UNUSED_PAD src0_sel:DWORD src1_sel:BYTE_3
	v_sub_u32_e32 v22, 29, v22
	v_and_b32_e32 v15, 7, v15
	v_cmp_eq_u16_e32 vcc, 0, v20
	v_cndmask_b32_e32 v10, v10, v15, vcc
	v_cndmask_b32_e32 v15, v21, v22, vcc
	v_mov_b32_e32 v20, 0x3b800000
	v_lshlrev_b32_e32 v10, 20, v10
	v_lshl_add_u32 v15, v15, 23, v20
	v_or3_b32 v10, v14, v15, v10
.LBB56_1340:
	s_or_b64 exec, exec, s[6:7]
	s_movk_i32 s4, 0x7f
	v_cmp_gt_i16_sdwa s[6:7], v11, s4 src0_sel:BYTE_3 src1_sel:DWORD
	s_mov_b64 s[4:5], 0
                                        ; implicit-def: $sgpr10
	s_and_saveexec_b64 s[8:9], s[6:7]
	s_xor_b64 s[6:7], exec, s[8:9]
	s_cbranch_execnz .LBB56_3389
; %bb.1341:
	s_or_saveexec_b64 s[6:7], s[6:7]
	v_mov_b32_e32 v14, s10
	s_xor_b64 exec, exec, s[6:7]
	s_cbranch_execnz .LBB56_3392
.LBB56_1342:
	s_or_b64 exec, exec, s[6:7]
	s_and_saveexec_b64 s[6:7], s[4:5]
	s_cbranch_execz .LBB56_1344
.LBB56_1343:
	v_bfe_u32 v14, v11, 24, 3
	v_ffbh_u32_e32 v22, v14
	v_min_u32_e32 v22, 32, v22
	v_lshrrev_b32_e32 v20, 27, v11
	v_subrev_u32_e32 v23, 28, v22
	v_and_b32_e32 v15, 0x80000000, v11
	v_and_b32_e32 v20, 15, v20
	v_bfe_u32 v21, v11, 27, 4
	v_lshlrev_b32_sdwa v11, v23, v11 dst_sel:DWORD dst_unused:UNUSED_PAD src0_sel:DWORD src1_sel:BYTE_3
	v_sub_u32_e32 v22, 29, v22
	v_and_b32_e32 v11, 7, v11
	v_cmp_eq_u16_e32 vcc, 0, v20
	v_cndmask_b32_e32 v11, v14, v11, vcc
	v_cndmask_b32_e32 v14, v21, v22, vcc
	v_mov_b32_e32 v20, 0x3b800000
	v_lshlrev_b32_e32 v11, 20, v11
	v_lshl_add_u32 v14, v14, 23, v20
	v_or3_b32 v14, v15, v14, v11
.LBB56_1344:
	s_or_b64 exec, exec, s[6:7]
	s_nop 0
	v_mfma_f32_16x16x4f32 a[0:3], v10, v14, a[0:3]
	s_movk_i32 s4, 0x7f
	v_cmp_gt_i16_sdwa s[6:7], v16, s4 src0_sel:BYTE_0 src1_sel:DWORD
	s_mov_b64 s[4:5], 0
                                        ; implicit-def: $sgpr10
	s_and_saveexec_b64 s[8:9], s[6:7]
	s_xor_b64 s[6:7], exec, s[8:9]
	s_cbranch_execnz .LBB56_3393
; %bb.1345:
	s_or_saveexec_b64 s[6:7], s[6:7]
	v_mov_b32_e32 v10, s10
	s_xor_b64 exec, exec, s[6:7]
	s_cbranch_execnz .LBB56_3396
.LBB56_1346:
	s_or_b64 exec, exec, s[6:7]
	s_and_saveexec_b64 s[6:7], s[4:5]
	s_cbranch_execz .LBB56_1348
.LBB56_1347:
	v_and_b32_e32 v10, 7, v16
	v_ffbh_u32_e32 v14, v10
	v_min_u32_e32 v14, 32, v14
	v_lshrrev_b16_e32 v11, 3, v16
	v_subrev_u32_e32 v15, 28, v14
	v_and_b32_e32 v11, 15, v11
	v_lshlrev_b32_e32 v15, v15, v16
	v_sub_u32_e32 v14, 29, v14
	v_and_b32_e32 v15, 7, v15
	v_cmp_eq_u16_e32 vcc, 0, v11
	v_cndmask_b32_e32 v10, v10, v15, vcc
	v_cndmask_b32_e32 v11, v11, v14, vcc
	v_lshlrev_b32_e32 v14, 24, v16
	v_mov_b32_e32 v15, 0x3b800000
	v_lshlrev_b32_e32 v10, 20, v10
	v_and_b32_e32 v14, 0x80000000, v14
	v_lshl_add_u32 v11, v11, 23, v15
	v_or3_b32 v10, v14, v11, v10
.LBB56_1348:
	s_or_b64 exec, exec, s[6:7]
	s_movk_i32 s4, 0x7f
	v_cmp_gt_i16_sdwa s[6:7], v12, s4 src0_sel:BYTE_0 src1_sel:DWORD
	s_mov_b64 s[4:5], 0
                                        ; implicit-def: $sgpr10
	s_and_saveexec_b64 s[8:9], s[6:7]
	s_xor_b64 s[6:7], exec, s[8:9]
	s_cbranch_execnz .LBB56_3397
; %bb.1349:
	s_or_saveexec_b64 s[6:7], s[6:7]
	v_mov_b32_e32 v11, s10
	s_xor_b64 exec, exec, s[6:7]
	s_cbranch_execnz .LBB56_3400
.LBB56_1350:
	s_or_b64 exec, exec, s[6:7]
	s_and_saveexec_b64 s[6:7], s[4:5]
	s_cbranch_execz .LBB56_1352
.LBB56_1351:
	v_and_b32_e32 v11, 7, v12
	v_ffbh_u32_e32 v15, v11
	v_min_u32_e32 v15, 32, v15
	v_lshrrev_b16_e32 v14, 3, v12
	v_subrev_u32_e32 v20, 28, v15
	v_and_b32_e32 v14, 15, v14
	v_lshlrev_b32_e32 v20, v20, v12
	v_sub_u32_e32 v15, 29, v15
	v_and_b32_e32 v20, 7, v20
	v_cmp_eq_u16_e32 vcc, 0, v14
	v_cndmask_b32_e32 v11, v11, v20, vcc
	v_cndmask_b32_e32 v14, v14, v15, vcc
	v_lshlrev_b32_e32 v15, 24, v12
	v_mov_b32_e32 v20, 0x3b800000
	v_lshlrev_b32_e32 v11, 20, v11
	v_and_b32_e32 v15, 0x80000000, v15
	v_lshl_add_u32 v14, v14, 23, v20
	v_or3_b32 v11, v15, v14, v11
.LBB56_1352:
	s_or_b64 exec, exec, s[6:7]
	s_nop 0
	v_mfma_f32_16x16x4f32 a[0:3], v10, v11, a[0:3]
	v_lshrrev_b32_e32 v11, 8, v16
	s_movk_i32 s4, 0x7f
	v_cmp_gt_i16_sdwa s[6:7], v11, s4 src0_sel:BYTE_0 src1_sel:DWORD
	s_mov_b64 s[4:5], 0
                                        ; implicit-def: $sgpr10
	s_and_saveexec_b64 s[8:9], s[6:7]
	s_xor_b64 s[6:7], exec, s[8:9]
	s_cbranch_execnz .LBB56_3401
; %bb.1353:
	s_or_saveexec_b64 s[6:7], s[6:7]
	v_mov_b32_e32 v10, s10
	s_xor_b64 exec, exec, s[6:7]
	s_cbranch_execnz .LBB56_3404
.LBB56_1354:
	s_or_b64 exec, exec, s[6:7]
	s_and_saveexec_b64 s[6:7], s[4:5]
	s_cbranch_execz .LBB56_1356
.LBB56_1355:
	v_bfe_u32 v10, v16, 8, 3
	v_ffbh_u32_e32 v15, v10
	v_min_u32_e32 v15, 32, v15
	v_lshrrev_b16_e32 v14, 3, v11
	v_subrev_u32_e32 v20, 28, v15
	v_and_b32_e32 v14, 15, v14
	v_lshlrev_b32_e32 v11, v20, v11
	v_sub_u32_e32 v15, 29, v15
	v_and_b32_e32 v11, 7, v11
	v_cmp_eq_u16_e32 vcc, 0, v14
	v_cndmask_b32_e32 v10, v10, v11, vcc
	v_cndmask_b32_e32 v11, v14, v15, vcc
	v_lshlrev_b32_e32 v14, 16, v16
	v_mov_b32_e32 v15, 0x3b800000
	v_lshlrev_b32_e32 v10, 20, v10
	v_and_b32_e32 v14, 0x80000000, v14
	v_lshl_add_u32 v11, v11, 23, v15
	v_or3_b32 v10, v14, v11, v10
.LBB56_1356:
	s_or_b64 exec, exec, s[6:7]
	v_lshrrev_b32_e32 v11, 8, v12
	s_movk_i32 s4, 0x7f
	v_cmp_gt_i16_sdwa s[6:7], v11, s4 src0_sel:BYTE_0 src1_sel:DWORD
	s_mov_b64 s[4:5], 0
                                        ; implicit-def: $sgpr10
	s_and_saveexec_b64 s[8:9], s[6:7]
	s_xor_b64 s[6:7], exec, s[8:9]
	s_cbranch_execnz .LBB56_3405
; %bb.1357:
	s_or_saveexec_b64 s[6:7], s[6:7]
	v_mov_b32_e32 v14, s10
	s_xor_b64 exec, exec, s[6:7]
	s_cbranch_execnz .LBB56_3408
.LBB56_1358:
	s_or_b64 exec, exec, s[6:7]
	s_and_saveexec_b64 s[6:7], s[4:5]
	s_cbranch_execz .LBB56_1360
.LBB56_1359:
	v_bfe_u32 v14, v12, 8, 3
	v_ffbh_u32_e32 v20, v14
	v_min_u32_e32 v20, 32, v20
	v_lshrrev_b16_e32 v15, 3, v11
	v_subrev_u32_e32 v21, 28, v20
	v_and_b32_e32 v15, 15, v15
	v_lshlrev_b32_e32 v11, v21, v11
	v_sub_u32_e32 v20, 29, v20
	v_and_b32_e32 v11, 7, v11
	v_cmp_eq_u16_e32 vcc, 0, v15
	v_cndmask_b32_e32 v11, v14, v11, vcc
	v_cndmask_b32_e32 v14, v15, v20, vcc
	v_lshlrev_b32_e32 v15, 16, v12
	v_mov_b32_e32 v20, 0x3b800000
	v_lshlrev_b32_e32 v11, 20, v11
	v_and_b32_e32 v15, 0x80000000, v15
	v_lshl_add_u32 v14, v14, 23, v20
	v_or3_b32 v14, v15, v14, v11
.LBB56_1360:
	s_or_b64 exec, exec, s[6:7]
	s_nop 0
	v_mfma_f32_16x16x4f32 a[0:3], v10, v14, a[0:3]
	s_movk_i32 s4, 0xff
	v_and_b32_sdwa v11, v16, s4 dst_sel:DWORD dst_unused:UNUSED_PAD src0_sel:WORD_1 src1_sel:DWORD
	s_movk_i32 s4, 0x7f
	v_cmp_lt_i16_e32 vcc, s4, v11
	s_mov_b64 s[4:5], 0
                                        ; implicit-def: $sgpr10
	s_and_saveexec_b64 s[6:7], vcc
	s_xor_b64 s[6:7], exec, s[6:7]
	s_cbranch_execnz .LBB56_3409
; %bb.1361:
	s_or_saveexec_b64 s[6:7], s[6:7]
	v_mov_b32_e32 v10, s10
	s_xor_b64 exec, exec, s[6:7]
	s_cbranch_execnz .LBB56_3412
.LBB56_1362:
	s_or_b64 exec, exec, s[6:7]
	s_and_saveexec_b64 s[6:7], s[4:5]
	s_cbranch_execz .LBB56_1364
.LBB56_1363:
	v_bfe_u32 v10, v16, 16, 3
	v_ffbh_u32_e32 v15, v10
	v_min_u32_e32 v15, 32, v15
	v_lshrrev_b32_e32 v11, 19, v16
	v_subrev_u32_e32 v20, 28, v15
	v_and_b32_e32 v11, 15, v11
	v_lshlrev_b32_sdwa v20, v20, v16 dst_sel:DWORD dst_unused:UNUSED_PAD src0_sel:DWORD src1_sel:WORD_1
	v_bfe_u32 v14, v16, 19, 4
	v_sub_u32_e32 v15, 29, v15
	v_and_b32_e32 v20, 7, v20
	v_cmp_eq_u16_e32 vcc, 0, v11
	v_cndmask_b32_e32 v10, v10, v20, vcc
	v_cndmask_b32_e32 v11, v14, v15, vcc
	v_lshlrev_b32_e32 v14, 8, v16
	v_mov_b32_e32 v15, 0x3b800000
	v_lshlrev_b32_e32 v10, 20, v10
	v_and_b32_e32 v14, 0x80000000, v14
	v_lshl_add_u32 v11, v11, 23, v15
	v_or3_b32 v10, v14, v11, v10
.LBB56_1364:
	s_or_b64 exec, exec, s[6:7]
	s_movk_i32 s4, 0xff
	v_and_b32_sdwa v11, v12, s4 dst_sel:DWORD dst_unused:UNUSED_PAD src0_sel:WORD_1 src1_sel:DWORD
	s_movk_i32 s4, 0x7f
	v_cmp_lt_i16_e32 vcc, s4, v11
	s_mov_b64 s[4:5], 0
                                        ; implicit-def: $sgpr10
	s_and_saveexec_b64 s[6:7], vcc
	s_xor_b64 s[6:7], exec, s[6:7]
	s_cbranch_execnz .LBB56_3413
; %bb.1365:
	s_or_saveexec_b64 s[6:7], s[6:7]
	v_mov_b32_e32 v14, s10
	s_xor_b64 exec, exec, s[6:7]
	s_cbranch_execnz .LBB56_3416
.LBB56_1366:
	s_or_b64 exec, exec, s[6:7]
	s_and_saveexec_b64 s[6:7], s[4:5]
	s_cbranch_execz .LBB56_1368
.LBB56_1367:
	v_bfe_u32 v11, v12, 16, 3
	v_ffbh_u32_e32 v20, v11
	v_min_u32_e32 v20, 32, v20
	v_lshrrev_b32_e32 v14, 19, v12
	v_subrev_u32_e32 v21, 28, v20
	v_and_b32_e32 v14, 15, v14
	v_lshlrev_b32_sdwa v21, v21, v12 dst_sel:DWORD dst_unused:UNUSED_PAD src0_sel:DWORD src1_sel:WORD_1
	v_bfe_u32 v15, v12, 19, 4
	v_sub_u32_e32 v20, 29, v20
	v_and_b32_e32 v21, 7, v21
	v_cmp_eq_u16_e32 vcc, 0, v14
	v_cndmask_b32_e32 v11, v11, v21, vcc
	v_cndmask_b32_e32 v14, v15, v20, vcc
	v_lshlrev_b32_e32 v15, 8, v12
	v_mov_b32_e32 v20, 0x3b800000
	v_lshlrev_b32_e32 v11, 20, v11
	v_and_b32_e32 v15, 0x80000000, v15
	v_lshl_add_u32 v14, v14, 23, v20
	v_or3_b32 v14, v15, v14, v11
.LBB56_1368:
	s_or_b64 exec, exec, s[6:7]
	s_nop 0
	v_mfma_f32_16x16x4f32 a[0:3], v10, v14, a[0:3]
	s_movk_i32 s4, 0x7f
	v_cmp_gt_i16_sdwa s[6:7], v16, s4 src0_sel:BYTE_3 src1_sel:DWORD
	s_mov_b64 s[4:5], 0
                                        ; implicit-def: $sgpr10
	s_and_saveexec_b64 s[8:9], s[6:7]
	s_xor_b64 s[6:7], exec, s[8:9]
	s_cbranch_execnz .LBB56_3417
; %bb.1369:
	s_or_saveexec_b64 s[6:7], s[6:7]
	v_mov_b32_e32 v10, s10
	s_xor_b64 exec, exec, s[6:7]
	s_cbranch_execnz .LBB56_3420
.LBB56_1370:
	s_or_b64 exec, exec, s[6:7]
	s_and_saveexec_b64 s[6:7], s[4:5]
	s_cbranch_execz .LBB56_1372
.LBB56_1371:
	v_bfe_u32 v10, v16, 24, 3
	v_ffbh_u32_e32 v20, v10
	v_min_u32_e32 v20, 32, v20
	v_lshrrev_b32_e32 v14, 27, v16
	v_subrev_u32_e32 v21, 28, v20
	v_and_b32_e32 v11, 0x80000000, v16
	v_and_b32_e32 v14, 15, v14
	v_bfe_u32 v15, v16, 27, 4
	v_lshlrev_b32_sdwa v16, v21, v16 dst_sel:DWORD dst_unused:UNUSED_PAD src0_sel:DWORD src1_sel:BYTE_3
	v_sub_u32_e32 v20, 29, v20
	v_and_b32_e32 v16, 7, v16
	v_cmp_eq_u16_e32 vcc, 0, v14
	v_cndmask_b32_e32 v10, v10, v16, vcc
	v_cndmask_b32_e32 v14, v15, v20, vcc
	v_mov_b32_e32 v15, 0x3b800000
	v_lshlrev_b32_e32 v10, 20, v10
	v_lshl_add_u32 v14, v14, 23, v15
	v_or3_b32 v10, v11, v14, v10
.LBB56_1372:
	s_or_b64 exec, exec, s[6:7]
	s_movk_i32 s4, 0x7f
	v_cmp_gt_i16_sdwa s[6:7], v12, s4 src0_sel:BYTE_3 src1_sel:DWORD
	s_mov_b64 s[4:5], 0
                                        ; implicit-def: $sgpr10
	s_and_saveexec_b64 s[8:9], s[6:7]
	s_xor_b64 s[6:7], exec, s[8:9]
	s_cbranch_execnz .LBB56_3421
; %bb.1373:
	s_or_saveexec_b64 s[6:7], s[6:7]
	v_mov_b32_e32 v11, s10
	s_xor_b64 exec, exec, s[6:7]
	s_cbranch_execnz .LBB56_3424
.LBB56_1374:
	s_or_b64 exec, exec, s[6:7]
	s_and_saveexec_b64 s[6:7], s[4:5]
	s_cbranch_execz .LBB56_1376
.LBB56_1375:
	v_bfe_u32 v11, v12, 24, 3
	v_ffbh_u32_e32 v20, v11
	v_min_u32_e32 v20, 32, v20
	v_lshrrev_b32_e32 v15, 27, v12
	v_subrev_u32_e32 v21, 28, v20
	v_and_b32_e32 v14, 0x80000000, v12
	v_and_b32_e32 v15, 15, v15
	v_bfe_u32 v16, v12, 27, 4
	v_lshlrev_b32_sdwa v12, v21, v12 dst_sel:DWORD dst_unused:UNUSED_PAD src0_sel:DWORD src1_sel:BYTE_3
	v_sub_u32_e32 v20, 29, v20
	v_and_b32_e32 v12, 7, v12
	v_cmp_eq_u16_e32 vcc, 0, v15
	v_cndmask_b32_e32 v11, v11, v12, vcc
	v_cndmask_b32_e32 v12, v16, v20, vcc
	v_mov_b32_e32 v15, 0x3b800000
	v_lshlrev_b32_e32 v11, 20, v11
	v_lshl_add_u32 v12, v12, 23, v15
	v_or3_b32 v11, v14, v12, v11
.LBB56_1376:
	s_or_b64 exec, exec, s[6:7]
	s_nop 0
	v_mfma_f32_16x16x4f32 a[0:3], v10, v11, a[0:3]
	s_movk_i32 s4, 0x7f
	v_cmp_gt_i16_sdwa s[6:7], v17, s4 src0_sel:BYTE_0 src1_sel:DWORD
	s_mov_b64 s[4:5], 0
                                        ; implicit-def: $sgpr10
	s_and_saveexec_b64 s[8:9], s[6:7]
	s_xor_b64 s[6:7], exec, s[8:9]
	s_cbranch_execnz .LBB56_3425
; %bb.1377:
	s_or_saveexec_b64 s[6:7], s[6:7]
	v_mov_b32_e32 v10, s10
	s_xor_b64 exec, exec, s[6:7]
	s_cbranch_execnz .LBB56_3428
.LBB56_1378:
	s_or_b64 exec, exec, s[6:7]
	s_and_saveexec_b64 s[6:7], s[4:5]
	s_cbranch_execz .LBB56_1380
.LBB56_1379:
	v_and_b32_e32 v10, 7, v17
	v_ffbh_u32_e32 v12, v10
	v_min_u32_e32 v12, 32, v12
	v_lshrrev_b16_e32 v11, 3, v17
	v_subrev_u32_e32 v14, 28, v12
	v_and_b32_e32 v11, 15, v11
	v_lshlrev_b32_e32 v14, v14, v17
	v_sub_u32_e32 v12, 29, v12
	v_and_b32_e32 v14, 7, v14
	v_cmp_eq_u16_e32 vcc, 0, v11
	v_cndmask_b32_e32 v10, v10, v14, vcc
	v_cndmask_b32_e32 v11, v11, v12, vcc
	v_lshlrev_b32_e32 v12, 24, v17
	v_mov_b32_e32 v14, 0x3b800000
	v_lshlrev_b32_e32 v10, 20, v10
	v_and_b32_e32 v12, 0x80000000, v12
	v_lshl_add_u32 v11, v11, 23, v14
	v_or3_b32 v10, v12, v11, v10
.LBB56_1380:
	s_or_b64 exec, exec, s[6:7]
	s_movk_i32 s4, 0x7f
	v_cmp_gt_i16_sdwa s[6:7], v13, s4 src0_sel:BYTE_0 src1_sel:DWORD
	s_mov_b64 s[4:5], 0
                                        ; implicit-def: $sgpr10
	s_and_saveexec_b64 s[8:9], s[6:7]
	s_xor_b64 s[6:7], exec, s[8:9]
	s_cbranch_execnz .LBB56_3429
; %bb.1381:
	s_or_saveexec_b64 s[6:7], s[6:7]
	v_mov_b32_e32 v11, s10
	s_xor_b64 exec, exec, s[6:7]
	s_cbranch_execnz .LBB56_3432
.LBB56_1382:
	s_or_b64 exec, exec, s[6:7]
	s_and_saveexec_b64 s[6:7], s[4:5]
	s_cbranch_execz .LBB56_1384
.LBB56_1383:
	v_and_b32_e32 v11, 7, v13
	v_ffbh_u32_e32 v14, v11
	v_min_u32_e32 v14, 32, v14
	v_lshrrev_b16_e32 v12, 3, v13
	v_subrev_u32_e32 v15, 28, v14
	v_and_b32_e32 v12, 15, v12
	v_lshlrev_b32_e32 v15, v15, v13
	v_sub_u32_e32 v14, 29, v14
	v_and_b32_e32 v15, 7, v15
	v_cmp_eq_u16_e32 vcc, 0, v12
	v_cndmask_b32_e32 v11, v11, v15, vcc
	v_cndmask_b32_e32 v12, v12, v14, vcc
	v_lshlrev_b32_e32 v14, 24, v13
	v_mov_b32_e32 v15, 0x3b800000
	v_lshlrev_b32_e32 v11, 20, v11
	v_and_b32_e32 v14, 0x80000000, v14
	v_lshl_add_u32 v12, v12, 23, v15
	v_or3_b32 v11, v14, v12, v11
.LBB56_1384:
	s_or_b64 exec, exec, s[6:7]
	s_nop 0
	v_mfma_f32_16x16x4f32 a[0:3], v10, v11, a[0:3]
	v_lshrrev_b32_e32 v11, 8, v17
	s_movk_i32 s4, 0x7f
	v_cmp_gt_i16_sdwa s[6:7], v11, s4 src0_sel:BYTE_0 src1_sel:DWORD
	s_mov_b64 s[4:5], 0
                                        ; implicit-def: $sgpr10
	s_and_saveexec_b64 s[8:9], s[6:7]
	s_xor_b64 s[6:7], exec, s[8:9]
	s_cbranch_execnz .LBB56_3433
; %bb.1385:
	s_or_saveexec_b64 s[6:7], s[6:7]
	v_mov_b32_e32 v10, s10
	s_xor_b64 exec, exec, s[6:7]
	s_cbranch_execnz .LBB56_3436
.LBB56_1386:
	s_or_b64 exec, exec, s[6:7]
	s_and_saveexec_b64 s[6:7], s[4:5]
	s_cbranch_execz .LBB56_1388
.LBB56_1387:
	v_bfe_u32 v10, v17, 8, 3
	v_ffbh_u32_e32 v14, v10
	v_min_u32_e32 v14, 32, v14
	v_lshrrev_b16_e32 v12, 3, v11
	v_subrev_u32_e32 v15, 28, v14
	v_and_b32_e32 v12, 15, v12
	v_lshlrev_b32_e32 v11, v15, v11
	v_sub_u32_e32 v14, 29, v14
	v_and_b32_e32 v11, 7, v11
	v_cmp_eq_u16_e32 vcc, 0, v12
	v_cndmask_b32_e32 v10, v10, v11, vcc
	v_cndmask_b32_e32 v11, v12, v14, vcc
	v_lshlrev_b32_e32 v12, 16, v17
	v_mov_b32_e32 v14, 0x3b800000
	v_lshlrev_b32_e32 v10, 20, v10
	v_and_b32_e32 v12, 0x80000000, v12
	v_lshl_add_u32 v11, v11, 23, v14
	v_or3_b32 v10, v12, v11, v10
.LBB56_1388:
	s_or_b64 exec, exec, s[6:7]
	v_lshrrev_b32_e32 v11, 8, v13
	s_movk_i32 s4, 0x7f
	v_cmp_gt_i16_sdwa s[6:7], v11, s4 src0_sel:BYTE_0 src1_sel:DWORD
	s_mov_b64 s[4:5], 0
                                        ; implicit-def: $sgpr10
	s_and_saveexec_b64 s[8:9], s[6:7]
	s_xor_b64 s[6:7], exec, s[8:9]
	s_cbranch_execnz .LBB56_3437
; %bb.1389:
	s_or_saveexec_b64 s[6:7], s[6:7]
	v_mov_b32_e32 v12, s10
	s_xor_b64 exec, exec, s[6:7]
	s_cbranch_execnz .LBB56_3440
.LBB56_1390:
	s_or_b64 exec, exec, s[6:7]
	s_and_saveexec_b64 s[6:7], s[4:5]
	s_cbranch_execz .LBB56_1392
.LBB56_1391:
	v_bfe_u32 v12, v13, 8, 3
	v_ffbh_u32_e32 v15, v12
	v_min_u32_e32 v15, 32, v15
	v_lshrrev_b16_e32 v14, 3, v11
	v_subrev_u32_e32 v16, 28, v15
	v_and_b32_e32 v14, 15, v14
	v_lshlrev_b32_e32 v11, v16, v11
	v_sub_u32_e32 v15, 29, v15
	v_and_b32_e32 v11, 7, v11
	v_cmp_eq_u16_e32 vcc, 0, v14
	v_cndmask_b32_e32 v11, v12, v11, vcc
	v_cndmask_b32_e32 v12, v14, v15, vcc
	v_lshlrev_b32_e32 v14, 16, v13
	v_mov_b32_e32 v15, 0x3b800000
	v_lshlrev_b32_e32 v11, 20, v11
	v_and_b32_e32 v14, 0x80000000, v14
	v_lshl_add_u32 v12, v12, 23, v15
	v_or3_b32 v12, v14, v12, v11
.LBB56_1392:
	s_or_b64 exec, exec, s[6:7]
	s_nop 0
	v_mfma_f32_16x16x4f32 a[0:3], v10, v12, a[0:3]
	s_movk_i32 s4, 0xff
	v_and_b32_sdwa v11, v17, s4 dst_sel:DWORD dst_unused:UNUSED_PAD src0_sel:WORD_1 src1_sel:DWORD
	s_movk_i32 s4, 0x7f
	v_cmp_lt_i16_e32 vcc, s4, v11
	s_mov_b64 s[4:5], 0
                                        ; implicit-def: $sgpr10
	s_and_saveexec_b64 s[6:7], vcc
	s_xor_b64 s[6:7], exec, s[6:7]
	s_cbranch_execnz .LBB56_3441
; %bb.1393:
	s_or_saveexec_b64 s[6:7], s[6:7]
	v_mov_b32_e32 v10, s10
	s_xor_b64 exec, exec, s[6:7]
	s_cbranch_execnz .LBB56_3444
.LBB56_1394:
	s_or_b64 exec, exec, s[6:7]
	s_and_saveexec_b64 s[6:7], s[4:5]
	s_cbranch_execz .LBB56_1396
.LBB56_1395:
	v_bfe_u32 v10, v17, 16, 3
	v_ffbh_u32_e32 v14, v10
	v_min_u32_e32 v14, 32, v14
	v_lshrrev_b32_e32 v11, 19, v17
	v_subrev_u32_e32 v15, 28, v14
	v_and_b32_e32 v11, 15, v11
	v_lshlrev_b32_sdwa v15, v15, v17 dst_sel:DWORD dst_unused:UNUSED_PAD src0_sel:DWORD src1_sel:WORD_1
	v_bfe_u32 v12, v17, 19, 4
	v_sub_u32_e32 v14, 29, v14
	v_and_b32_e32 v15, 7, v15
	v_cmp_eq_u16_e32 vcc, 0, v11
	v_cndmask_b32_e32 v10, v10, v15, vcc
	v_cndmask_b32_e32 v11, v12, v14, vcc
	v_lshlrev_b32_e32 v12, 8, v17
	v_mov_b32_e32 v14, 0x3b800000
	v_lshlrev_b32_e32 v10, 20, v10
	v_and_b32_e32 v12, 0x80000000, v12
	v_lshl_add_u32 v11, v11, 23, v14
	v_or3_b32 v10, v12, v11, v10
.LBB56_1396:
	s_or_b64 exec, exec, s[6:7]
	s_movk_i32 s4, 0xff
	v_and_b32_sdwa v11, v13, s4 dst_sel:DWORD dst_unused:UNUSED_PAD src0_sel:WORD_1 src1_sel:DWORD
	s_movk_i32 s4, 0x7f
	v_cmp_lt_i16_e32 vcc, s4, v11
	s_mov_b64 s[4:5], 0
                                        ; implicit-def: $sgpr10
	s_and_saveexec_b64 s[6:7], vcc
	s_xor_b64 s[6:7], exec, s[6:7]
	s_cbranch_execnz .LBB56_3445
; %bb.1397:
	s_or_saveexec_b64 s[6:7], s[6:7]
	v_mov_b32_e32 v12, s10
	s_xor_b64 exec, exec, s[6:7]
	s_cbranch_execnz .LBB56_3448
.LBB56_1398:
	s_or_b64 exec, exec, s[6:7]
	s_and_saveexec_b64 s[6:7], s[4:5]
	s_cbranch_execz .LBB56_1400
.LBB56_1399:
	v_bfe_u32 v11, v13, 16, 3
	v_ffbh_u32_e32 v15, v11
	v_min_u32_e32 v15, 32, v15
	v_lshrrev_b32_e32 v12, 19, v13
	v_subrev_u32_e32 v16, 28, v15
	v_and_b32_e32 v12, 15, v12
	v_lshlrev_b32_sdwa v16, v16, v13 dst_sel:DWORD dst_unused:UNUSED_PAD src0_sel:DWORD src1_sel:WORD_1
	v_bfe_u32 v14, v13, 19, 4
	v_sub_u32_e32 v15, 29, v15
	v_and_b32_e32 v16, 7, v16
	v_cmp_eq_u16_e32 vcc, 0, v12
	v_cndmask_b32_e32 v11, v11, v16, vcc
	v_cndmask_b32_e32 v12, v14, v15, vcc
	v_lshlrev_b32_e32 v14, 8, v13
	v_mov_b32_e32 v15, 0x3b800000
	v_lshlrev_b32_e32 v11, 20, v11
	v_and_b32_e32 v14, 0x80000000, v14
	v_lshl_add_u32 v12, v12, 23, v15
	v_or3_b32 v12, v14, v12, v11
.LBB56_1400:
	s_or_b64 exec, exec, s[6:7]
	s_nop 0
	v_mfma_f32_16x16x4f32 a[0:3], v10, v12, a[0:3]
	s_movk_i32 s4, 0x7f
	v_cmp_gt_i16_sdwa s[6:7], v17, s4 src0_sel:BYTE_3 src1_sel:DWORD
	s_mov_b64 s[4:5], 0
                                        ; implicit-def: $sgpr10
	s_and_saveexec_b64 s[8:9], s[6:7]
	s_xor_b64 s[6:7], exec, s[8:9]
	s_cbranch_execnz .LBB56_3449
; %bb.1401:
	s_or_saveexec_b64 s[6:7], s[6:7]
	v_mov_b32_e32 v10, s10
	s_xor_b64 exec, exec, s[6:7]
	s_cbranch_execnz .LBB56_3452
.LBB56_1402:
	s_or_b64 exec, exec, s[6:7]
	s_and_saveexec_b64 s[6:7], s[4:5]
	s_cbranch_execz .LBB56_1404
.LBB56_1403:
	v_bfe_u32 v10, v17, 24, 3
	v_ffbh_u32_e32 v15, v10
	v_min_u32_e32 v15, 32, v15
	v_lshrrev_b32_e32 v12, 27, v17
	v_subrev_u32_e32 v16, 28, v15
	v_and_b32_e32 v12, 15, v12
	v_lshlrev_b32_sdwa v16, v16, v17 dst_sel:DWORD dst_unused:UNUSED_PAD src0_sel:DWORD src1_sel:BYTE_3
	v_bfe_u32 v14, v17, 27, 4
	v_sub_u32_e32 v15, 29, v15
	v_and_b32_e32 v16, 7, v16
	v_cmp_eq_u16_e32 vcc, 0, v12
	v_cndmask_b32_e32 v10, v10, v16, vcc
	v_cndmask_b32_e32 v12, v14, v15, vcc
	v_mov_b32_e32 v14, 0x3b800000
	v_and_b32_e32 v11, 0x80000000, v17
	v_lshlrev_b32_e32 v10, 20, v10
	v_lshl_add_u32 v12, v12, 23, v14
	v_or3_b32 v10, v11, v12, v10
.LBB56_1404:
	s_or_b64 exec, exec, s[6:7]
	s_movk_i32 s4, 0x7f
	v_cmp_gt_i16_sdwa s[6:7], v13, s4 src0_sel:BYTE_3 src1_sel:DWORD
	s_mov_b64 s[4:5], 0
                                        ; implicit-def: $sgpr10
	s_and_saveexec_b64 s[8:9], s[6:7]
	s_xor_b64 s[6:7], exec, s[8:9]
	s_cbranch_execnz .LBB56_3453
; %bb.1405:
	s_or_saveexec_b64 s[6:7], s[6:7]
	v_mov_b32_e32 v11, s10
	s_xor_b64 exec, exec, s[6:7]
	s_cbranch_execnz .LBB56_3456
.LBB56_1406:
	s_or_b64 exec, exec, s[6:7]
	s_and_saveexec_b64 s[6:7], s[4:5]
	s_cbranch_execz .LBB56_1408
.LBB56_1407:
	v_bfe_u32 v11, v13, 24, 3
	v_ffbh_u32_e32 v16, v11
	v_min_u32_e32 v16, 32, v16
	v_lshrrev_b32_e32 v14, 27, v13
	v_subrev_u32_e32 v17, 28, v16
	v_and_b32_e32 v12, 0x80000000, v13
	v_and_b32_e32 v14, 15, v14
	v_bfe_u32 v15, v13, 27, 4
	v_lshlrev_b32_sdwa v13, v17, v13 dst_sel:DWORD dst_unused:UNUSED_PAD src0_sel:DWORD src1_sel:BYTE_3
	v_sub_u32_e32 v16, 29, v16
	v_and_b32_e32 v13, 7, v13
	v_cmp_eq_u16_e32 vcc, 0, v14
	v_cndmask_b32_e32 v11, v11, v13, vcc
	v_cndmask_b32_e32 v13, v15, v16, vcc
	v_mov_b32_e32 v14, 0x3b800000
	v_lshlrev_b32_e32 v11, 20, v11
	v_lshl_add_u32 v13, v13, 23, v14
	v_or3_b32 v11, v12, v13, v11
.LBB56_1408:
	s_or_b64 exec, exec, s[6:7]
	s_nop 0
	v_mfma_f32_16x16x4f32 a[0:3], v10, v11, a[0:3]
	s_movk_i32 s4, 0x7f
	v_cmp_gt_i16_sdwa s[6:7], v6, s4 src0_sel:BYTE_0 src1_sel:DWORD
	s_mov_b64 s[4:5], 0
                                        ; implicit-def: $sgpr10
	s_and_saveexec_b64 s[8:9], s[6:7]
	s_xor_b64 s[6:7], exec, s[8:9]
	s_cbranch_execnz .LBB56_3457
; %bb.1409:
	s_or_saveexec_b64 s[6:7], s[6:7]
	v_mov_b32_e32 v10, s10
	s_xor_b64 exec, exec, s[6:7]
	s_cbranch_execnz .LBB56_3460
.LBB56_1410:
	s_or_b64 exec, exec, s[6:7]
	s_and_saveexec_b64 s[6:7], s[4:5]
	s_cbranch_execz .LBB56_1412
.LBB56_1411:
	v_and_b32_e32 v10, 7, v6
	v_ffbh_u32_e32 v12, v10
	v_min_u32_e32 v12, 32, v12
	v_lshrrev_b16_e32 v11, 3, v6
	v_subrev_u32_e32 v13, 28, v12
	v_and_b32_e32 v11, 15, v11
	v_lshlrev_b32_e32 v13, v13, v6
	v_sub_u32_e32 v12, 29, v12
	v_and_b32_e32 v13, 7, v13
	v_cmp_eq_u16_e32 vcc, 0, v11
	v_cndmask_b32_e32 v10, v10, v13, vcc
	v_cndmask_b32_e32 v11, v11, v12, vcc
	v_lshlrev_b32_e32 v12, 24, v6
	v_mov_b32_e32 v13, 0x3b800000
	v_lshlrev_b32_e32 v10, 20, v10
	v_and_b32_e32 v12, 0x80000000, v12
	v_lshl_add_u32 v11, v11, 23, v13
	v_or3_b32 v10, v12, v11, v10
.LBB56_1412:
	s_or_b64 exec, exec, s[6:7]
	s_movk_i32 s4, 0x7f
	v_cmp_gt_i16_sdwa s[6:7], v2, s4 src0_sel:BYTE_0 src1_sel:DWORD
	s_mov_b64 s[4:5], 0
                                        ; implicit-def: $sgpr10
	s_and_saveexec_b64 s[8:9], s[6:7]
	s_xor_b64 s[6:7], exec, s[8:9]
	s_cbranch_execnz .LBB56_3461
; %bb.1413:
	s_or_saveexec_b64 s[6:7], s[6:7]
	v_mov_b32_e32 v11, s10
	s_xor_b64 exec, exec, s[6:7]
	s_cbranch_execnz .LBB56_3464
.LBB56_1414:
	s_or_b64 exec, exec, s[6:7]
	s_and_saveexec_b64 s[6:7], s[4:5]
	s_cbranch_execz .LBB56_1416
.LBB56_1415:
	v_and_b32_e32 v11, 7, v2
	v_ffbh_u32_e32 v13, v11
	v_min_u32_e32 v13, 32, v13
	v_lshrrev_b16_e32 v12, 3, v2
	v_subrev_u32_e32 v14, 28, v13
	v_and_b32_e32 v12, 15, v12
	v_lshlrev_b32_e32 v14, v14, v2
	v_sub_u32_e32 v13, 29, v13
	v_and_b32_e32 v14, 7, v14
	v_cmp_eq_u16_e32 vcc, 0, v12
	v_cndmask_b32_e32 v11, v11, v14, vcc
	v_cndmask_b32_e32 v12, v12, v13, vcc
	v_lshlrev_b32_e32 v13, 24, v2
	v_mov_b32_e32 v14, 0x3b800000
	v_lshlrev_b32_e32 v11, 20, v11
	v_and_b32_e32 v13, 0x80000000, v13
	v_lshl_add_u32 v12, v12, 23, v14
	v_or3_b32 v11, v13, v12, v11
.LBB56_1416:
	s_or_b64 exec, exec, s[6:7]
	s_nop 0
	v_mfma_f32_16x16x4f32 a[0:3], v10, v11, a[0:3]
	v_lshrrev_b32_e32 v11, 8, v6
	s_movk_i32 s4, 0x7f
	v_cmp_gt_i16_sdwa s[6:7], v11, s4 src0_sel:BYTE_0 src1_sel:DWORD
	s_mov_b64 s[4:5], 0
                                        ; implicit-def: $sgpr10
	s_and_saveexec_b64 s[8:9], s[6:7]
	s_xor_b64 s[6:7], exec, s[8:9]
	s_cbranch_execnz .LBB56_3465
; %bb.1417:
	s_or_saveexec_b64 s[6:7], s[6:7]
	v_mov_b32_e32 v10, s10
	s_xor_b64 exec, exec, s[6:7]
	s_cbranch_execnz .LBB56_3468
.LBB56_1418:
	s_or_b64 exec, exec, s[6:7]
	s_and_saveexec_b64 s[6:7], s[4:5]
	s_cbranch_execz .LBB56_1420
.LBB56_1419:
	v_bfe_u32 v10, v6, 8, 3
	v_ffbh_u32_e32 v13, v10
	v_min_u32_e32 v13, 32, v13
	v_lshrrev_b16_e32 v12, 3, v11
	v_subrev_u32_e32 v14, 28, v13
	v_and_b32_e32 v12, 15, v12
	v_lshlrev_b32_e32 v11, v14, v11
	v_sub_u32_e32 v13, 29, v13
	v_and_b32_e32 v11, 7, v11
	v_cmp_eq_u16_e32 vcc, 0, v12
	v_cndmask_b32_e32 v10, v10, v11, vcc
	v_cndmask_b32_e32 v11, v12, v13, vcc
	v_lshlrev_b32_e32 v12, 16, v6
	v_mov_b32_e32 v13, 0x3b800000
	v_lshlrev_b32_e32 v10, 20, v10
	v_and_b32_e32 v12, 0x80000000, v12
	v_lshl_add_u32 v11, v11, 23, v13
	v_or3_b32 v10, v12, v11, v10
.LBB56_1420:
	s_or_b64 exec, exec, s[6:7]
	v_lshrrev_b32_e32 v11, 8, v2
	s_movk_i32 s4, 0x7f
	v_cmp_gt_i16_sdwa s[6:7], v11, s4 src0_sel:BYTE_0 src1_sel:DWORD
	s_mov_b64 s[4:5], 0
                                        ; implicit-def: $sgpr10
	s_and_saveexec_b64 s[8:9], s[6:7]
	s_xor_b64 s[6:7], exec, s[8:9]
	s_cbranch_execnz .LBB56_3469
; %bb.1421:
	s_or_saveexec_b64 s[6:7], s[6:7]
	v_mov_b32_e32 v12, s10
	s_xor_b64 exec, exec, s[6:7]
	s_cbranch_execnz .LBB56_3472
.LBB56_1422:
	s_or_b64 exec, exec, s[6:7]
	s_and_saveexec_b64 s[6:7], s[4:5]
	s_cbranch_execz .LBB56_1424
.LBB56_1423:
	v_bfe_u32 v12, v2, 8, 3
	v_ffbh_u32_e32 v14, v12
	v_min_u32_e32 v14, 32, v14
	v_lshrrev_b16_e32 v13, 3, v11
	v_subrev_u32_e32 v15, 28, v14
	v_and_b32_e32 v13, 15, v13
	v_lshlrev_b32_e32 v11, v15, v11
	v_sub_u32_e32 v14, 29, v14
	v_and_b32_e32 v11, 7, v11
	v_cmp_eq_u16_e32 vcc, 0, v13
	v_cndmask_b32_e32 v11, v12, v11, vcc
	v_cndmask_b32_e32 v12, v13, v14, vcc
	v_lshlrev_b32_e32 v13, 16, v2
	v_mov_b32_e32 v14, 0x3b800000
	v_lshlrev_b32_e32 v11, 20, v11
	v_and_b32_e32 v13, 0x80000000, v13
	v_lshl_add_u32 v12, v12, 23, v14
	v_or3_b32 v12, v13, v12, v11
.LBB56_1424:
	s_or_b64 exec, exec, s[6:7]
	s_nop 0
	v_mfma_f32_16x16x4f32 a[0:3], v10, v12, a[0:3]
	s_movk_i32 s4, 0xff
	v_and_b32_sdwa v11, v6, s4 dst_sel:DWORD dst_unused:UNUSED_PAD src0_sel:WORD_1 src1_sel:DWORD
	s_movk_i32 s4, 0x7f
	v_cmp_lt_i16_e32 vcc, s4, v11
	s_mov_b64 s[4:5], 0
                                        ; implicit-def: $sgpr10
	s_and_saveexec_b64 s[6:7], vcc
	s_xor_b64 s[6:7], exec, s[6:7]
	s_cbranch_execnz .LBB56_3473
; %bb.1425:
	s_or_saveexec_b64 s[6:7], s[6:7]
	v_mov_b32_e32 v10, s10
	s_xor_b64 exec, exec, s[6:7]
	s_cbranch_execnz .LBB56_3476
.LBB56_1426:
	s_or_b64 exec, exec, s[6:7]
	s_and_saveexec_b64 s[6:7], s[4:5]
	s_cbranch_execz .LBB56_1428
.LBB56_1427:
	v_bfe_u32 v10, v6, 16, 3
	v_ffbh_u32_e32 v13, v10
	v_min_u32_e32 v13, 32, v13
	v_lshrrev_b32_e32 v11, 19, v6
	v_subrev_u32_e32 v14, 28, v13
	v_and_b32_e32 v11, 15, v11
	v_lshlrev_b32_sdwa v14, v14, v6 dst_sel:DWORD dst_unused:UNUSED_PAD src0_sel:DWORD src1_sel:WORD_1
	v_bfe_u32 v12, v6, 19, 4
	v_sub_u32_e32 v13, 29, v13
	v_and_b32_e32 v14, 7, v14
	v_cmp_eq_u16_e32 vcc, 0, v11
	v_cndmask_b32_e32 v10, v10, v14, vcc
	v_cndmask_b32_e32 v11, v12, v13, vcc
	v_lshlrev_b32_e32 v12, 8, v6
	v_mov_b32_e32 v13, 0x3b800000
	v_lshlrev_b32_e32 v10, 20, v10
	v_and_b32_e32 v12, 0x80000000, v12
	v_lshl_add_u32 v11, v11, 23, v13
	v_or3_b32 v10, v12, v11, v10
.LBB56_1428:
	s_or_b64 exec, exec, s[6:7]
	s_movk_i32 s4, 0xff
	v_and_b32_sdwa v11, v2, s4 dst_sel:DWORD dst_unused:UNUSED_PAD src0_sel:WORD_1 src1_sel:DWORD
	s_movk_i32 s4, 0x7f
	v_cmp_lt_i16_e32 vcc, s4, v11
	s_mov_b64 s[4:5], 0
                                        ; implicit-def: $sgpr10
	s_and_saveexec_b64 s[6:7], vcc
	s_xor_b64 s[6:7], exec, s[6:7]
	s_cbranch_execnz .LBB56_3477
; %bb.1429:
	s_or_saveexec_b64 s[6:7], s[6:7]
	v_mov_b32_e32 v12, s10
	s_xor_b64 exec, exec, s[6:7]
	s_cbranch_execnz .LBB56_3480
.LBB56_1430:
	s_or_b64 exec, exec, s[6:7]
	s_and_saveexec_b64 s[6:7], s[4:5]
	s_cbranch_execz .LBB56_1432
.LBB56_1431:
	v_bfe_u32 v11, v2, 16, 3
	v_ffbh_u32_e32 v14, v11
	v_min_u32_e32 v14, 32, v14
	v_lshrrev_b32_e32 v12, 19, v2
	v_subrev_u32_e32 v15, 28, v14
	v_and_b32_e32 v12, 15, v12
	v_lshlrev_b32_sdwa v15, v15, v2 dst_sel:DWORD dst_unused:UNUSED_PAD src0_sel:DWORD src1_sel:WORD_1
	v_bfe_u32 v13, v2, 19, 4
	v_sub_u32_e32 v14, 29, v14
	v_and_b32_e32 v15, 7, v15
	v_cmp_eq_u16_e32 vcc, 0, v12
	v_cndmask_b32_e32 v11, v11, v15, vcc
	v_cndmask_b32_e32 v12, v13, v14, vcc
	v_lshlrev_b32_e32 v13, 8, v2
	v_mov_b32_e32 v14, 0x3b800000
	v_lshlrev_b32_e32 v11, 20, v11
	v_and_b32_e32 v13, 0x80000000, v13
	v_lshl_add_u32 v12, v12, 23, v14
	v_or3_b32 v12, v13, v12, v11
.LBB56_1432:
	s_or_b64 exec, exec, s[6:7]
	s_nop 0
	v_mfma_f32_16x16x4f32 a[0:3], v10, v12, a[0:3]
	s_movk_i32 s4, 0x7f
	v_cmp_gt_i16_sdwa s[6:7], v6, s4 src0_sel:BYTE_3 src1_sel:DWORD
	s_mov_b64 s[4:5], 0
                                        ; implicit-def: $sgpr10
	s_and_saveexec_b64 s[8:9], s[6:7]
	s_xor_b64 s[6:7], exec, s[8:9]
	s_cbranch_execnz .LBB56_3481
; %bb.1433:
	s_or_saveexec_b64 s[6:7], s[6:7]
	v_mov_b32_e32 v10, s10
	s_xor_b64 exec, exec, s[6:7]
	s_cbranch_execnz .LBB56_3484
.LBB56_1434:
	s_or_b64 exec, exec, s[6:7]
	s_and_saveexec_b64 s[6:7], s[4:5]
	s_cbranch_execz .LBB56_1436
.LBB56_1435:
	v_bfe_u32 v10, v6, 24, 3
	v_ffbh_u32_e32 v14, v10
	v_min_u32_e32 v14, 32, v14
	v_lshrrev_b32_e32 v12, 27, v6
	v_subrev_u32_e32 v15, 28, v14
	v_and_b32_e32 v11, 0x80000000, v6
	v_and_b32_e32 v12, 15, v12
	v_bfe_u32 v13, v6, 27, 4
	v_lshlrev_b32_sdwa v6, v15, v6 dst_sel:DWORD dst_unused:UNUSED_PAD src0_sel:DWORD src1_sel:BYTE_3
	v_sub_u32_e32 v14, 29, v14
	v_and_b32_e32 v6, 7, v6
	v_cmp_eq_u16_e32 vcc, 0, v12
	v_cndmask_b32_e32 v6, v10, v6, vcc
	v_cndmask_b32_e32 v10, v13, v14, vcc
	v_mov_b32_e32 v12, 0x3b800000
	v_lshlrev_b32_e32 v6, 20, v6
	v_lshl_add_u32 v10, v10, 23, v12
	v_or3_b32 v10, v11, v10, v6
.LBB56_1436:
	s_or_b64 exec, exec, s[6:7]
	s_movk_i32 s4, 0x7f
	v_cmp_gt_i16_sdwa s[6:7], v2, s4 src0_sel:BYTE_3 src1_sel:DWORD
	s_mov_b64 s[4:5], 0
                                        ; implicit-def: $sgpr10
	s_and_saveexec_b64 s[8:9], s[6:7]
	s_xor_b64 s[6:7], exec, s[8:9]
	s_cbranch_execnz .LBB56_3485
; %bb.1437:
	s_or_saveexec_b64 s[6:7], s[6:7]
	v_mov_b32_e32 v6, s10
	s_xor_b64 exec, exec, s[6:7]
	s_cbranch_execnz .LBB56_3488
.LBB56_1438:
	s_or_b64 exec, exec, s[6:7]
	s_and_saveexec_b64 s[6:7], s[4:5]
	s_cbranch_execz .LBB56_1440
.LBB56_1439:
	v_bfe_u32 v6, v2, 24, 3
	v_ffbh_u32_e32 v14, v6
	v_min_u32_e32 v14, 32, v14
	v_lshrrev_b32_e32 v12, 27, v2
	v_subrev_u32_e32 v15, 28, v14
	v_and_b32_e32 v11, 0x80000000, v2
	v_and_b32_e32 v12, 15, v12
	v_bfe_u32 v13, v2, 27, 4
	v_lshlrev_b32_sdwa v2, v15, v2 dst_sel:DWORD dst_unused:UNUSED_PAD src0_sel:DWORD src1_sel:BYTE_3
	v_sub_u32_e32 v14, 29, v14
	v_and_b32_e32 v2, 7, v2
	v_cmp_eq_u16_e32 vcc, 0, v12
	v_cndmask_b32_e32 v2, v6, v2, vcc
	v_cndmask_b32_e32 v6, v13, v14, vcc
	v_mov_b32_e32 v12, 0x3b800000
	v_lshlrev_b32_e32 v2, 20, v2
	v_lshl_add_u32 v6, v6, 23, v12
	v_or3_b32 v6, v11, v6, v2
.LBB56_1440:
	s_or_b64 exec, exec, s[6:7]
	s_nop 0
	v_mfma_f32_16x16x4f32 a[0:3], v10, v6, a[0:3]
	s_movk_i32 s4, 0x7f
	v_cmp_gt_i16_sdwa s[6:7], v7, s4 src0_sel:BYTE_0 src1_sel:DWORD
	s_mov_b64 s[4:5], 0
                                        ; implicit-def: $sgpr10
	s_and_saveexec_b64 s[8:9], s[6:7]
	s_xor_b64 s[6:7], exec, s[8:9]
	s_cbranch_execnz .LBB56_3489
; %bb.1441:
	s_or_saveexec_b64 s[6:7], s[6:7]
	v_mov_b32_e32 v2, s10
	s_xor_b64 exec, exec, s[6:7]
	s_cbranch_execnz .LBB56_3492
.LBB56_1442:
	s_or_b64 exec, exec, s[6:7]
	s_and_saveexec_b64 s[6:7], s[4:5]
	s_cbranch_execz .LBB56_1444
.LBB56_1443:
	v_and_b32_e32 v2, 7, v7
	v_ffbh_u32_e32 v10, v2
	v_min_u32_e32 v10, 32, v10
	v_lshrrev_b16_e32 v6, 3, v7
	v_subrev_u32_e32 v11, 28, v10
	v_and_b32_e32 v6, 15, v6
	v_lshlrev_b32_e32 v11, v11, v7
	v_sub_u32_e32 v10, 29, v10
	v_and_b32_e32 v11, 7, v11
	v_cmp_eq_u16_e32 vcc, 0, v6
	v_cndmask_b32_e32 v2, v2, v11, vcc
	v_cndmask_b32_e32 v6, v6, v10, vcc
	v_lshlrev_b32_e32 v10, 24, v7
	v_mov_b32_e32 v11, 0x3b800000
	v_lshlrev_b32_e32 v2, 20, v2
	v_and_b32_e32 v10, 0x80000000, v10
	v_lshl_add_u32 v6, v6, 23, v11
	v_or3_b32 v2, v10, v6, v2
.LBB56_1444:
	s_or_b64 exec, exec, s[6:7]
	s_movk_i32 s4, 0x7f
	v_cmp_gt_i16_sdwa s[6:7], v3, s4 src0_sel:BYTE_0 src1_sel:DWORD
	s_mov_b64 s[4:5], 0
                                        ; implicit-def: $sgpr10
	s_and_saveexec_b64 s[8:9], s[6:7]
	s_xor_b64 s[6:7], exec, s[8:9]
	s_cbranch_execnz .LBB56_3493
; %bb.1445:
	s_or_saveexec_b64 s[6:7], s[6:7]
	v_mov_b32_e32 v6, s10
	s_xor_b64 exec, exec, s[6:7]
	s_cbranch_execnz .LBB56_3496
.LBB56_1446:
	s_or_b64 exec, exec, s[6:7]
	s_and_saveexec_b64 s[6:7], s[4:5]
	s_cbranch_execz .LBB56_1448
.LBB56_1447:
	v_and_b32_e32 v6, 7, v3
	v_ffbh_u32_e32 v11, v6
	v_min_u32_e32 v11, 32, v11
	v_lshrrev_b16_e32 v10, 3, v3
	v_subrev_u32_e32 v12, 28, v11
	v_and_b32_e32 v10, 15, v10
	v_lshlrev_b32_e32 v12, v12, v3
	v_sub_u32_e32 v11, 29, v11
	v_and_b32_e32 v12, 7, v12
	v_cmp_eq_u16_e32 vcc, 0, v10
	v_cndmask_b32_e32 v6, v6, v12, vcc
	v_cndmask_b32_e32 v10, v10, v11, vcc
	v_lshlrev_b32_e32 v11, 24, v3
	v_mov_b32_e32 v12, 0x3b800000
	v_lshlrev_b32_e32 v6, 20, v6
	v_and_b32_e32 v11, 0x80000000, v11
	v_lshl_add_u32 v10, v10, 23, v12
	v_or3_b32 v6, v11, v10, v6
.LBB56_1448:
	s_or_b64 exec, exec, s[6:7]
	s_nop 0
	v_mfma_f32_16x16x4f32 a[0:3], v2, v6, a[0:3]
	v_lshrrev_b32_e32 v6, 8, v7
	s_movk_i32 s4, 0x7f
	v_cmp_gt_i16_sdwa s[6:7], v6, s4 src0_sel:BYTE_0 src1_sel:DWORD
	s_mov_b64 s[4:5], 0
                                        ; implicit-def: $sgpr10
	s_and_saveexec_b64 s[8:9], s[6:7]
	s_xor_b64 s[6:7], exec, s[8:9]
	s_cbranch_execnz .LBB56_3497
; %bb.1449:
	s_or_saveexec_b64 s[6:7], s[6:7]
	v_mov_b32_e32 v2, s10
	s_xor_b64 exec, exec, s[6:7]
	s_cbranch_execnz .LBB56_3500
.LBB56_1450:
	s_or_b64 exec, exec, s[6:7]
	s_and_saveexec_b64 s[6:7], s[4:5]
	s_cbranch_execz .LBB56_1452
.LBB56_1451:
	v_bfe_u32 v2, v7, 8, 3
	v_ffbh_u32_e32 v11, v2
	v_min_u32_e32 v11, 32, v11
	v_lshrrev_b16_e32 v10, 3, v6
	v_subrev_u32_e32 v12, 28, v11
	v_and_b32_e32 v10, 15, v10
	v_lshlrev_b32_e32 v6, v12, v6
	v_sub_u32_e32 v11, 29, v11
	v_and_b32_e32 v6, 7, v6
	v_cmp_eq_u16_e32 vcc, 0, v10
	v_cndmask_b32_e32 v2, v2, v6, vcc
	v_cndmask_b32_e32 v6, v10, v11, vcc
	v_lshlrev_b32_e32 v10, 16, v7
	v_mov_b32_e32 v11, 0x3b800000
	v_lshlrev_b32_e32 v2, 20, v2
	v_and_b32_e32 v10, 0x80000000, v10
	v_lshl_add_u32 v6, v6, 23, v11
	v_or3_b32 v2, v10, v6, v2
.LBB56_1452:
	s_or_b64 exec, exec, s[6:7]
	v_lshrrev_b32_e32 v6, 8, v3
	s_movk_i32 s4, 0x7f
	v_cmp_gt_i16_sdwa s[6:7], v6, s4 src0_sel:BYTE_0 src1_sel:DWORD
	s_mov_b64 s[4:5], 0
                                        ; implicit-def: $sgpr10
	s_and_saveexec_b64 s[8:9], s[6:7]
	s_xor_b64 s[6:7], exec, s[8:9]
	s_cbranch_execnz .LBB56_3501
; %bb.1453:
	s_or_saveexec_b64 s[6:7], s[6:7]
	v_mov_b32_e32 v10, s10
	s_xor_b64 exec, exec, s[6:7]
	s_cbranch_execnz .LBB56_3504
.LBB56_1454:
	s_or_b64 exec, exec, s[6:7]
	s_and_saveexec_b64 s[6:7], s[4:5]
	s_cbranch_execz .LBB56_1456
.LBB56_1455:
	v_bfe_u32 v10, v3, 8, 3
	v_ffbh_u32_e32 v12, v10
	v_min_u32_e32 v12, 32, v12
	v_lshrrev_b16_e32 v11, 3, v6
	v_subrev_u32_e32 v13, 28, v12
	v_and_b32_e32 v11, 15, v11
	v_lshlrev_b32_e32 v6, v13, v6
	v_sub_u32_e32 v12, 29, v12
	v_and_b32_e32 v6, 7, v6
	v_cmp_eq_u16_e32 vcc, 0, v11
	v_cndmask_b32_e32 v6, v10, v6, vcc
	v_cndmask_b32_e32 v10, v11, v12, vcc
	v_lshlrev_b32_e32 v11, 16, v3
	v_mov_b32_e32 v12, 0x3b800000
	v_lshlrev_b32_e32 v6, 20, v6
	v_and_b32_e32 v11, 0x80000000, v11
	v_lshl_add_u32 v10, v10, 23, v12
	v_or3_b32 v10, v11, v10, v6
.LBB56_1456:
	s_or_b64 exec, exec, s[6:7]
	s_nop 0
	v_mfma_f32_16x16x4f32 a[0:3], v2, v10, a[0:3]
	s_movk_i32 s4, 0xff
	v_and_b32_sdwa v6, v7, s4 dst_sel:DWORD dst_unused:UNUSED_PAD src0_sel:WORD_1 src1_sel:DWORD
	s_movk_i32 s4, 0x7f
	v_cmp_lt_i16_e32 vcc, s4, v6
	s_mov_b64 s[4:5], 0
                                        ; implicit-def: $sgpr10
	s_and_saveexec_b64 s[6:7], vcc
	s_xor_b64 s[6:7], exec, s[6:7]
	s_cbranch_execnz .LBB56_3505
; %bb.1457:
	s_or_saveexec_b64 s[6:7], s[6:7]
	v_mov_b32_e32 v2, s10
	s_xor_b64 exec, exec, s[6:7]
	s_cbranch_execnz .LBB56_3508
.LBB56_1458:
	s_or_b64 exec, exec, s[6:7]
	s_and_saveexec_b64 s[6:7], s[4:5]
	s_cbranch_execz .LBB56_1460
.LBB56_1459:
	v_bfe_u32 v2, v7, 16, 3
	v_ffbh_u32_e32 v11, v2
	v_min_u32_e32 v11, 32, v11
	v_lshrrev_b32_e32 v6, 19, v7
	v_subrev_u32_e32 v12, 28, v11
	v_and_b32_e32 v6, 15, v6
	v_lshlrev_b32_sdwa v12, v12, v7 dst_sel:DWORD dst_unused:UNUSED_PAD src0_sel:DWORD src1_sel:WORD_1
	v_bfe_u32 v10, v7, 19, 4
	v_sub_u32_e32 v11, 29, v11
	v_and_b32_e32 v12, 7, v12
	v_cmp_eq_u16_e32 vcc, 0, v6
	v_cndmask_b32_e32 v2, v2, v12, vcc
	v_cndmask_b32_e32 v6, v10, v11, vcc
	v_lshlrev_b32_e32 v10, 8, v7
	v_mov_b32_e32 v11, 0x3b800000
	v_lshlrev_b32_e32 v2, 20, v2
	v_and_b32_e32 v10, 0x80000000, v10
	v_lshl_add_u32 v6, v6, 23, v11
	v_or3_b32 v2, v10, v6, v2
.LBB56_1460:
	s_or_b64 exec, exec, s[6:7]
	s_movk_i32 s4, 0xff
	v_and_b32_sdwa v6, v3, s4 dst_sel:DWORD dst_unused:UNUSED_PAD src0_sel:WORD_1 src1_sel:DWORD
	s_movk_i32 s4, 0x7f
	v_cmp_lt_i16_e32 vcc, s4, v6
	s_mov_b64 s[4:5], 0
                                        ; implicit-def: $sgpr10
	s_and_saveexec_b64 s[6:7], vcc
	s_xor_b64 s[6:7], exec, s[6:7]
	s_cbranch_execnz .LBB56_3509
; %bb.1461:
	s_or_saveexec_b64 s[6:7], s[6:7]
	v_mov_b32_e32 v10, s10
	s_xor_b64 exec, exec, s[6:7]
	s_cbranch_execnz .LBB56_3512
.LBB56_1462:
	s_or_b64 exec, exec, s[6:7]
	s_and_saveexec_b64 s[6:7], s[4:5]
	s_cbranch_execz .LBB56_1464
.LBB56_1463:
	v_bfe_u32 v6, v3, 16, 3
	v_ffbh_u32_e32 v12, v6
	v_min_u32_e32 v12, 32, v12
	v_lshrrev_b32_e32 v10, 19, v3
	v_subrev_u32_e32 v13, 28, v12
	v_and_b32_e32 v10, 15, v10
	v_lshlrev_b32_sdwa v13, v13, v3 dst_sel:DWORD dst_unused:UNUSED_PAD src0_sel:DWORD src1_sel:WORD_1
	v_bfe_u32 v11, v3, 19, 4
	v_sub_u32_e32 v12, 29, v12
	v_and_b32_e32 v13, 7, v13
	v_cmp_eq_u16_e32 vcc, 0, v10
	v_cndmask_b32_e32 v6, v6, v13, vcc
	v_cndmask_b32_e32 v10, v11, v12, vcc
	v_lshlrev_b32_e32 v11, 8, v3
	v_mov_b32_e32 v12, 0x3b800000
	v_lshlrev_b32_e32 v6, 20, v6
	v_and_b32_e32 v11, 0x80000000, v11
	v_lshl_add_u32 v10, v10, 23, v12
	v_or3_b32 v10, v11, v10, v6
.LBB56_1464:
	s_or_b64 exec, exec, s[6:7]
	s_nop 0
	v_mfma_f32_16x16x4f32 a[0:3], v2, v10, a[0:3]
	s_movk_i32 s4, 0x7f
	v_cmp_gt_i16_sdwa s[6:7], v7, s4 src0_sel:BYTE_3 src1_sel:DWORD
	s_mov_b64 s[4:5], 0
                                        ; implicit-def: $sgpr10
	s_and_saveexec_b64 s[8:9], s[6:7]
	s_xor_b64 s[6:7], exec, s[8:9]
	s_cbranch_execnz .LBB56_3513
; %bb.1465:
	s_or_saveexec_b64 s[6:7], s[6:7]
	v_mov_b32_e32 v2, s10
	s_xor_b64 exec, exec, s[6:7]
	s_cbranch_execnz .LBB56_3516
.LBB56_1466:
	s_or_b64 exec, exec, s[6:7]
	s_and_saveexec_b64 s[6:7], s[4:5]
	s_cbranch_execz .LBB56_1468
.LBB56_1467:
	v_bfe_u32 v2, v7, 24, 3
	v_ffbh_u32_e32 v12, v2
	v_min_u32_e32 v12, 32, v12
	v_lshrrev_b32_e32 v10, 27, v7
	v_subrev_u32_e32 v13, 28, v12
	v_and_b32_e32 v6, 0x80000000, v7
	v_and_b32_e32 v10, 15, v10
	v_bfe_u32 v11, v7, 27, 4
	v_lshlrev_b32_sdwa v7, v13, v7 dst_sel:DWORD dst_unused:UNUSED_PAD src0_sel:DWORD src1_sel:BYTE_3
	v_sub_u32_e32 v12, 29, v12
	v_and_b32_e32 v7, 7, v7
	v_cmp_eq_u16_e32 vcc, 0, v10
	v_cndmask_b32_e32 v2, v2, v7, vcc
	v_cndmask_b32_e32 v7, v11, v12, vcc
	v_mov_b32_e32 v10, 0x3b800000
	v_lshlrev_b32_e32 v2, 20, v2
	v_lshl_add_u32 v7, v7, 23, v10
	v_or3_b32 v2, v6, v7, v2
.LBB56_1468:
	s_or_b64 exec, exec, s[6:7]
	s_movk_i32 s4, 0x7f
	v_cmp_gt_i16_sdwa s[6:7], v3, s4 src0_sel:BYTE_3 src1_sel:DWORD
	s_mov_b64 s[4:5], 0
                                        ; implicit-def: $sgpr10
	s_and_saveexec_b64 s[8:9], s[6:7]
	s_xor_b64 s[6:7], exec, s[8:9]
	s_cbranch_execnz .LBB56_3517
; %bb.1469:
	s_or_saveexec_b64 s[6:7], s[6:7]
	v_mov_b32_e32 v6, s10
	s_xor_b64 exec, exec, s[6:7]
	s_cbranch_execnz .LBB56_3520
.LBB56_1470:
	s_or_b64 exec, exec, s[6:7]
	s_and_saveexec_b64 s[6:7], s[4:5]
	s_cbranch_execz .LBB56_1472
.LBB56_1471:
	v_bfe_u32 v6, v3, 24, 3
	v_ffbh_u32_e32 v12, v6
	v_min_u32_e32 v12, 32, v12
	v_lshrrev_b32_e32 v10, 27, v3
	v_subrev_u32_e32 v13, 28, v12
	v_and_b32_e32 v7, 0x80000000, v3
	v_and_b32_e32 v10, 15, v10
	v_bfe_u32 v11, v3, 27, 4
	v_lshlrev_b32_sdwa v3, v13, v3 dst_sel:DWORD dst_unused:UNUSED_PAD src0_sel:DWORD src1_sel:BYTE_3
	v_sub_u32_e32 v12, 29, v12
	v_and_b32_e32 v3, 7, v3
	v_cmp_eq_u16_e32 vcc, 0, v10
	v_cndmask_b32_e32 v3, v6, v3, vcc
	v_cndmask_b32_e32 v6, v11, v12, vcc
	v_mov_b32_e32 v10, 0x3b800000
	v_lshlrev_b32_e32 v3, 20, v3
	v_lshl_add_u32 v6, v6, 23, v10
	v_or3_b32 v6, v7, v6, v3
.LBB56_1472:
	s_or_b64 exec, exec, s[6:7]
	s_nop 0
	v_mfma_f32_16x16x4f32 a[0:3], v2, v6, a[0:3]
	s_movk_i32 s4, 0x7f
	v_cmp_gt_i16_sdwa s[6:7], v8, s4 src0_sel:BYTE_0 src1_sel:DWORD
	s_mov_b64 s[4:5], 0
                                        ; implicit-def: $sgpr10
	s_and_saveexec_b64 s[8:9], s[6:7]
	s_xor_b64 s[6:7], exec, s[8:9]
	s_cbranch_execnz .LBB56_3521
; %bb.1473:
	s_or_saveexec_b64 s[6:7], s[6:7]
	v_mov_b32_e32 v2, s10
	s_xor_b64 exec, exec, s[6:7]
	s_cbranch_execnz .LBB56_3524
.LBB56_1474:
	s_or_b64 exec, exec, s[6:7]
	s_and_saveexec_b64 s[6:7], s[4:5]
	s_cbranch_execz .LBB56_1476
.LBB56_1475:
	v_and_b32_e32 v2, 7, v8
	v_ffbh_u32_e32 v6, v2
	v_min_u32_e32 v6, 32, v6
	v_lshrrev_b16_e32 v3, 3, v8
	v_subrev_u32_e32 v7, 28, v6
	v_and_b32_e32 v3, 15, v3
	v_lshlrev_b32_e32 v7, v7, v8
	v_sub_u32_e32 v6, 29, v6
	v_and_b32_e32 v7, 7, v7
	v_cmp_eq_u16_e32 vcc, 0, v3
	v_cndmask_b32_e32 v2, v2, v7, vcc
	v_cndmask_b32_e32 v3, v3, v6, vcc
	v_lshlrev_b32_e32 v6, 24, v8
	v_mov_b32_e32 v7, 0x3b800000
	v_lshlrev_b32_e32 v2, 20, v2
	v_and_b32_e32 v6, 0x80000000, v6
	v_lshl_add_u32 v3, v3, 23, v7
	v_or3_b32 v2, v6, v3, v2
.LBB56_1476:
	s_or_b64 exec, exec, s[6:7]
	s_movk_i32 s4, 0x7f
	v_cmp_gt_i16_sdwa s[6:7], v4, s4 src0_sel:BYTE_0 src1_sel:DWORD
	s_mov_b64 s[4:5], 0
                                        ; implicit-def: $sgpr10
	s_and_saveexec_b64 s[8:9], s[6:7]
	s_xor_b64 s[6:7], exec, s[8:9]
	s_cbranch_execnz .LBB56_3525
; %bb.1477:
	s_or_saveexec_b64 s[6:7], s[6:7]
	v_mov_b32_e32 v3, s10
	s_xor_b64 exec, exec, s[6:7]
	s_cbranch_execnz .LBB56_3528
.LBB56_1478:
	s_or_b64 exec, exec, s[6:7]
	s_and_saveexec_b64 s[6:7], s[4:5]
	s_cbranch_execz .LBB56_1480
.LBB56_1479:
	v_and_b32_e32 v3, 7, v4
	v_ffbh_u32_e32 v7, v3
	v_min_u32_e32 v7, 32, v7
	v_lshrrev_b16_e32 v6, 3, v4
	v_subrev_u32_e32 v10, 28, v7
	v_and_b32_e32 v6, 15, v6
	v_lshlrev_b32_e32 v10, v10, v4
	v_sub_u32_e32 v7, 29, v7
	v_and_b32_e32 v10, 7, v10
	v_cmp_eq_u16_e32 vcc, 0, v6
	v_cndmask_b32_e32 v3, v3, v10, vcc
	v_cndmask_b32_e32 v6, v6, v7, vcc
	v_lshlrev_b32_e32 v7, 24, v4
	v_mov_b32_e32 v10, 0x3b800000
	v_lshlrev_b32_e32 v3, 20, v3
	v_and_b32_e32 v7, 0x80000000, v7
	v_lshl_add_u32 v6, v6, 23, v10
	v_or3_b32 v3, v7, v6, v3
.LBB56_1480:
	s_or_b64 exec, exec, s[6:7]
	s_nop 0
	v_mfma_f32_16x16x4f32 a[0:3], v2, v3, a[0:3]
	v_lshrrev_b32_e32 v3, 8, v8
	s_movk_i32 s4, 0x7f
	v_cmp_gt_i16_sdwa s[6:7], v3, s4 src0_sel:BYTE_0 src1_sel:DWORD
	s_mov_b64 s[4:5], 0
                                        ; implicit-def: $sgpr10
	s_and_saveexec_b64 s[8:9], s[6:7]
	s_xor_b64 s[6:7], exec, s[8:9]
	s_cbranch_execnz .LBB56_3529
; %bb.1481:
	s_or_saveexec_b64 s[6:7], s[6:7]
	v_mov_b32_e32 v2, s10
	s_xor_b64 exec, exec, s[6:7]
	s_cbranch_execnz .LBB56_3532
.LBB56_1482:
	s_or_b64 exec, exec, s[6:7]
	s_and_saveexec_b64 s[6:7], s[4:5]
	s_cbranch_execz .LBB56_1484
.LBB56_1483:
	v_bfe_u32 v2, v8, 8, 3
	v_ffbh_u32_e32 v7, v2
	v_min_u32_e32 v7, 32, v7
	v_lshrrev_b16_e32 v6, 3, v3
	v_subrev_u32_e32 v10, 28, v7
	v_and_b32_e32 v6, 15, v6
	v_lshlrev_b32_e32 v3, v10, v3
	v_sub_u32_e32 v7, 29, v7
	v_and_b32_e32 v3, 7, v3
	v_cmp_eq_u16_e32 vcc, 0, v6
	v_cndmask_b32_e32 v2, v2, v3, vcc
	v_cndmask_b32_e32 v3, v6, v7, vcc
	v_lshlrev_b32_e32 v6, 16, v8
	v_mov_b32_e32 v7, 0x3b800000
	v_lshlrev_b32_e32 v2, 20, v2
	v_and_b32_e32 v6, 0x80000000, v6
	v_lshl_add_u32 v3, v3, 23, v7
	v_or3_b32 v2, v6, v3, v2
.LBB56_1484:
	s_or_b64 exec, exec, s[6:7]
	v_lshrrev_b32_e32 v3, 8, v4
	s_movk_i32 s4, 0x7f
	v_cmp_gt_i16_sdwa s[6:7], v3, s4 src0_sel:BYTE_0 src1_sel:DWORD
	s_mov_b64 s[4:5], 0
                                        ; implicit-def: $sgpr10
	s_and_saveexec_b64 s[8:9], s[6:7]
	s_xor_b64 s[6:7], exec, s[8:9]
	s_cbranch_execnz .LBB56_3533
; %bb.1485:
	s_or_saveexec_b64 s[6:7], s[6:7]
	v_mov_b32_e32 v6, s10
	s_xor_b64 exec, exec, s[6:7]
	s_cbranch_execnz .LBB56_3536
.LBB56_1486:
	s_or_b64 exec, exec, s[6:7]
	s_and_saveexec_b64 s[6:7], s[4:5]
	s_cbranch_execz .LBB56_1488
.LBB56_1487:
	v_bfe_u32 v6, v4, 8, 3
	v_ffbh_u32_e32 v10, v6
	v_min_u32_e32 v10, 32, v10
	v_lshrrev_b16_e32 v7, 3, v3
	v_subrev_u32_e32 v11, 28, v10
	v_and_b32_e32 v7, 15, v7
	v_lshlrev_b32_e32 v3, v11, v3
	v_sub_u32_e32 v10, 29, v10
	v_and_b32_e32 v3, 7, v3
	v_cmp_eq_u16_e32 vcc, 0, v7
	v_cndmask_b32_e32 v3, v6, v3, vcc
	v_cndmask_b32_e32 v6, v7, v10, vcc
	v_lshlrev_b32_e32 v7, 16, v4
	v_mov_b32_e32 v10, 0x3b800000
	v_lshlrev_b32_e32 v3, 20, v3
	v_and_b32_e32 v7, 0x80000000, v7
	v_lshl_add_u32 v6, v6, 23, v10
	v_or3_b32 v6, v7, v6, v3
.LBB56_1488:
	s_or_b64 exec, exec, s[6:7]
	s_nop 0
	v_mfma_f32_16x16x4f32 a[0:3], v2, v6, a[0:3]
	s_movk_i32 s4, 0xff
	v_and_b32_sdwa v3, v8, s4 dst_sel:DWORD dst_unused:UNUSED_PAD src0_sel:WORD_1 src1_sel:DWORD
	s_movk_i32 s4, 0x7f
	v_cmp_lt_i16_e32 vcc, s4, v3
	s_mov_b64 s[4:5], 0
                                        ; implicit-def: $sgpr10
	s_and_saveexec_b64 s[6:7], vcc
	s_xor_b64 s[6:7], exec, s[6:7]
	s_cbranch_execnz .LBB56_3537
; %bb.1489:
	s_or_saveexec_b64 s[6:7], s[6:7]
	v_mov_b32_e32 v2, s10
	s_xor_b64 exec, exec, s[6:7]
	s_cbranch_execnz .LBB56_3540
.LBB56_1490:
	s_or_b64 exec, exec, s[6:7]
	s_and_saveexec_b64 s[6:7], s[4:5]
	s_cbranch_execz .LBB56_1492
.LBB56_1491:
	v_bfe_u32 v2, v8, 16, 3
	v_ffbh_u32_e32 v7, v2
	v_min_u32_e32 v7, 32, v7
	v_lshrrev_b32_e32 v3, 19, v8
	v_subrev_u32_e32 v10, 28, v7
	v_and_b32_e32 v3, 15, v3
	v_lshlrev_b32_sdwa v10, v10, v8 dst_sel:DWORD dst_unused:UNUSED_PAD src0_sel:DWORD src1_sel:WORD_1
	v_bfe_u32 v6, v8, 19, 4
	v_sub_u32_e32 v7, 29, v7
	v_and_b32_e32 v10, 7, v10
	v_cmp_eq_u16_e32 vcc, 0, v3
	v_cndmask_b32_e32 v2, v2, v10, vcc
	v_cndmask_b32_e32 v3, v6, v7, vcc
	v_lshlrev_b32_e32 v6, 8, v8
	v_mov_b32_e32 v7, 0x3b800000
	v_lshlrev_b32_e32 v2, 20, v2
	v_and_b32_e32 v6, 0x80000000, v6
	v_lshl_add_u32 v3, v3, 23, v7
	v_or3_b32 v2, v6, v3, v2
.LBB56_1492:
	s_or_b64 exec, exec, s[6:7]
	s_movk_i32 s4, 0xff
	v_and_b32_sdwa v3, v4, s4 dst_sel:DWORD dst_unused:UNUSED_PAD src0_sel:WORD_1 src1_sel:DWORD
	s_movk_i32 s4, 0x7f
	v_cmp_lt_i16_e32 vcc, s4, v3
	s_mov_b64 s[4:5], 0
                                        ; implicit-def: $sgpr10
	s_and_saveexec_b64 s[6:7], vcc
	s_xor_b64 s[6:7], exec, s[6:7]
	s_cbranch_execnz .LBB56_3541
; %bb.1493:
	s_or_saveexec_b64 s[6:7], s[6:7]
	v_mov_b32_e32 v6, s10
	s_xor_b64 exec, exec, s[6:7]
	s_cbranch_execnz .LBB56_3544
.LBB56_1494:
	s_or_b64 exec, exec, s[6:7]
	s_and_saveexec_b64 s[6:7], s[4:5]
	s_cbranch_execz .LBB56_1496
.LBB56_1495:
	v_bfe_u32 v3, v4, 16, 3
	v_ffbh_u32_e32 v10, v3
	v_min_u32_e32 v10, 32, v10
	v_lshrrev_b32_e32 v6, 19, v4
	v_subrev_u32_e32 v11, 28, v10
	v_and_b32_e32 v6, 15, v6
	v_lshlrev_b32_sdwa v11, v11, v4 dst_sel:DWORD dst_unused:UNUSED_PAD src0_sel:DWORD src1_sel:WORD_1
	v_bfe_u32 v7, v4, 19, 4
	v_sub_u32_e32 v10, 29, v10
	v_and_b32_e32 v11, 7, v11
	v_cmp_eq_u16_e32 vcc, 0, v6
	v_cndmask_b32_e32 v3, v3, v11, vcc
	v_cndmask_b32_e32 v6, v7, v10, vcc
	v_lshlrev_b32_e32 v7, 8, v4
	v_mov_b32_e32 v10, 0x3b800000
	v_lshlrev_b32_e32 v3, 20, v3
	v_and_b32_e32 v7, 0x80000000, v7
	v_lshl_add_u32 v6, v6, 23, v10
	v_or3_b32 v6, v7, v6, v3
.LBB56_1496:
	s_or_b64 exec, exec, s[6:7]
	s_nop 0
	v_mfma_f32_16x16x4f32 a[0:3], v2, v6, a[0:3]
	s_movk_i32 s4, 0x7f
	v_cmp_gt_i16_sdwa s[6:7], v8, s4 src0_sel:BYTE_3 src1_sel:DWORD
	s_mov_b64 s[4:5], 0
                                        ; implicit-def: $sgpr10
	s_and_saveexec_b64 s[8:9], s[6:7]
	s_xor_b64 s[6:7], exec, s[8:9]
	s_cbranch_execnz .LBB56_3545
; %bb.1497:
	s_or_saveexec_b64 s[6:7], s[6:7]
	v_mov_b32_e32 v2, s10
	s_xor_b64 exec, exec, s[6:7]
	s_cbranch_execnz .LBB56_3548
.LBB56_1498:
	s_or_b64 exec, exec, s[6:7]
	s_and_saveexec_b64 s[6:7], s[4:5]
	s_cbranch_execz .LBB56_1500
.LBB56_1499:
	v_bfe_u32 v2, v8, 24, 3
	v_ffbh_u32_e32 v10, v2
	v_min_u32_e32 v10, 32, v10
	v_lshrrev_b32_e32 v6, 27, v8
	v_subrev_u32_e32 v11, 28, v10
	v_and_b32_e32 v3, 0x80000000, v8
	v_and_b32_e32 v6, 15, v6
	v_bfe_u32 v7, v8, 27, 4
	v_lshlrev_b32_sdwa v8, v11, v8 dst_sel:DWORD dst_unused:UNUSED_PAD src0_sel:DWORD src1_sel:BYTE_3
	v_sub_u32_e32 v10, 29, v10
	v_and_b32_e32 v8, 7, v8
	v_cmp_eq_u16_e32 vcc, 0, v6
	v_cndmask_b32_e32 v2, v2, v8, vcc
	v_cndmask_b32_e32 v6, v7, v10, vcc
	v_mov_b32_e32 v7, 0x3b800000
	v_lshlrev_b32_e32 v2, 20, v2
	v_lshl_add_u32 v6, v6, 23, v7
	v_or3_b32 v2, v3, v6, v2
.LBB56_1500:
	s_or_b64 exec, exec, s[6:7]
	s_movk_i32 s4, 0x7f
	v_cmp_gt_i16_sdwa s[6:7], v4, s4 src0_sel:BYTE_3 src1_sel:DWORD
	s_mov_b64 s[4:5], 0
                                        ; implicit-def: $sgpr10
	s_and_saveexec_b64 s[8:9], s[6:7]
	s_xor_b64 s[6:7], exec, s[8:9]
	s_cbranch_execnz .LBB56_3549
; %bb.1501:
	s_or_saveexec_b64 s[6:7], s[6:7]
	v_mov_b32_e32 v3, s10
	s_xor_b64 exec, exec, s[6:7]
	s_cbranch_execnz .LBB56_3552
.LBB56_1502:
	s_or_b64 exec, exec, s[6:7]
	s_and_saveexec_b64 s[6:7], s[4:5]
	s_cbranch_execz .LBB56_1504
.LBB56_1503:
	v_bfe_u32 v3, v4, 24, 3
	v_ffbh_u32_e32 v10, v3
	v_min_u32_e32 v10, 32, v10
	v_lshrrev_b32_e32 v7, 27, v4
	v_subrev_u32_e32 v11, 28, v10
	v_and_b32_e32 v6, 0x80000000, v4
	v_and_b32_e32 v7, 15, v7
	v_bfe_u32 v8, v4, 27, 4
	v_lshlrev_b32_sdwa v4, v11, v4 dst_sel:DWORD dst_unused:UNUSED_PAD src0_sel:DWORD src1_sel:BYTE_3
	v_sub_u32_e32 v10, 29, v10
	v_and_b32_e32 v4, 7, v4
	v_cmp_eq_u16_e32 vcc, 0, v7
	v_cndmask_b32_e32 v3, v3, v4, vcc
	v_cndmask_b32_e32 v4, v8, v10, vcc
	v_mov_b32_e32 v7, 0x3b800000
	v_lshlrev_b32_e32 v3, 20, v3
	v_lshl_add_u32 v4, v4, 23, v7
	v_or3_b32 v3, v6, v4, v3
.LBB56_1504:
	s_or_b64 exec, exec, s[6:7]
	s_nop 0
	v_mfma_f32_16x16x4f32 a[0:3], v2, v3, a[0:3]
	s_movk_i32 s4, 0x7f
	v_cmp_gt_i16_sdwa s[6:7], v9, s4 src0_sel:BYTE_0 src1_sel:DWORD
	s_mov_b64 s[4:5], 0
                                        ; implicit-def: $sgpr10
	s_and_saveexec_b64 s[8:9], s[6:7]
	s_xor_b64 s[6:7], exec, s[8:9]
	s_cbranch_execnz .LBB56_3553
; %bb.1505:
	s_or_saveexec_b64 s[6:7], s[6:7]
	v_mov_b32_e32 v2, s10
	s_xor_b64 exec, exec, s[6:7]
	s_cbranch_execnz .LBB56_3556
.LBB56_1506:
	s_or_b64 exec, exec, s[6:7]
	s_and_saveexec_b64 s[6:7], s[4:5]
	s_cbranch_execz .LBB56_1508
.LBB56_1507:
	v_mov_b32_e32 v2, 8
	v_and_b32_e32 v3, 7, v9
	v_lshrrev_b32_sdwa v2, v2, v9 dst_sel:BYTE_1 dst_unused:UNUSED_PAD src0_sel:DWORD src1_sel:DWORD
	v_ffbh_u32_e32 v4, v3
	v_or_b32_sdwa v2, v9, v2 dst_sel:DWORD dst_unused:UNUSED_PAD src0_sel:BYTE_0 src1_sel:DWORD
	v_min_u32_e32 v4, 32, v4
	v_lshrrev_b16_e32 v2, 3, v2
	v_subrev_u32_e32 v6, 28, v4
	v_and_b32_e32 v2, 15, v2
	v_lshlrev_b32_e32 v6, v6, v9
	v_sub_u32_e32 v4, 29, v4
	v_and_b32_e32 v6, 7, v6
	v_cmp_eq_u16_e32 vcc, 0, v2
	v_cndmask_b32_e32 v3, v3, v6, vcc
	v_cndmask_b32_e32 v2, v2, v4, vcc
	v_lshlrev_b32_e32 v4, 24, v9
	v_mov_b32_e32 v6, 0x3b800000
	v_lshlrev_b32_e32 v3, 20, v3
	v_and_b32_e32 v4, 0x80000000, v4
	v_lshl_add_u32 v2, v2, 23, v6
	v_or3_b32 v2, v4, v2, v3
.LBB56_1508:
	s_or_b64 exec, exec, s[6:7]
	s_movk_i32 s4, 0x7f
	v_cmp_gt_i16_sdwa s[6:7], v5, s4 src0_sel:BYTE_0 src1_sel:DWORD
	s_mov_b64 s[4:5], 0
                                        ; implicit-def: $sgpr10
	s_and_saveexec_b64 s[8:9], s[6:7]
	s_xor_b64 s[6:7], exec, s[8:9]
	s_cbranch_execnz .LBB56_3557
; %bb.1509:
	s_or_saveexec_b64 s[6:7], s[6:7]
	v_mov_b32_e32 v3, s10
	s_xor_b64 exec, exec, s[6:7]
	s_cbranch_execnz .LBB56_3560
.LBB56_1510:
	s_or_b64 exec, exec, s[6:7]
	s_and_saveexec_b64 s[6:7], s[4:5]
	s_cbranch_execz .LBB56_1512
.LBB56_1511:
	v_mov_b32_e32 v3, 8
	v_and_b32_e32 v4, 7, v5
	v_lshrrev_b32_sdwa v3, v3, v5 dst_sel:BYTE_1 dst_unused:UNUSED_PAD src0_sel:DWORD src1_sel:DWORD
	v_ffbh_u32_e32 v6, v4
	v_or_b32_sdwa v3, v5, v3 dst_sel:DWORD dst_unused:UNUSED_PAD src0_sel:BYTE_0 src1_sel:DWORD
	v_min_u32_e32 v6, 32, v6
	v_lshrrev_b16_e32 v3, 3, v3
	v_subrev_u32_e32 v7, 28, v6
	v_and_b32_e32 v3, 15, v3
	v_lshlrev_b32_e32 v7, v7, v5
	v_sub_u32_e32 v6, 29, v6
	v_and_b32_e32 v7, 7, v7
	v_cmp_eq_u16_e32 vcc, 0, v3
	v_cndmask_b32_e32 v4, v4, v7, vcc
	v_cndmask_b32_e32 v3, v3, v6, vcc
	v_lshlrev_b32_e32 v6, 24, v5
	v_mov_b32_e32 v7, 0x3b800000
	v_lshlrev_b32_e32 v4, 20, v4
	v_and_b32_e32 v6, 0x80000000, v6
	v_lshl_add_u32 v3, v3, 23, v7
	v_or3_b32 v3, v6, v3, v4
.LBB56_1512:
	s_or_b64 exec, exec, s[6:7]
	s_nop 0
	v_mfma_f32_16x16x4f32 a[0:3], v2, v3, a[0:3]
	v_lshrrev_b32_e32 v3, 8, v9
	s_movk_i32 s4, 0x7f
	v_cmp_gt_i16_sdwa s[6:7], v3, s4 src0_sel:BYTE_0 src1_sel:DWORD
	s_mov_b64 s[4:5], 0
                                        ; implicit-def: $sgpr10
	s_and_saveexec_b64 s[8:9], s[6:7]
	s_xor_b64 s[6:7], exec, s[8:9]
	s_cbranch_execnz .LBB56_3561
; %bb.1513:
	s_or_saveexec_b64 s[6:7], s[6:7]
	v_mov_b32_e32 v2, s10
	s_xor_b64 exec, exec, s[6:7]
	s_cbranch_execnz .LBB56_3564
.LBB56_1514:
	s_or_b64 exec, exec, s[6:7]
	s_and_saveexec_b64 s[6:7], s[4:5]
	s_cbranch_execz .LBB56_1516
.LBB56_1515:
	v_bfe_u32 v2, v9, 8, 3
	v_ffbh_u32_e32 v6, v2
	v_min_u32_e32 v6, 32, v6
	v_lshrrev_b16_e32 v4, 3, v3
	v_subrev_u32_e32 v7, 28, v6
	v_and_b32_e32 v4, 15, v4
	v_lshlrev_b32_e32 v3, v7, v3
	v_sub_u32_e32 v6, 29, v6
	v_and_b32_e32 v3, 7, v3
	v_cmp_eq_u16_e32 vcc, 0, v4
	v_cndmask_b32_e32 v2, v2, v3, vcc
	v_cndmask_b32_e32 v3, v4, v6, vcc
	v_lshlrev_b32_e32 v4, 16, v9
	v_mov_b32_e32 v6, 0x3b800000
	v_lshlrev_b32_e32 v2, 20, v2
	v_and_b32_e32 v4, 0x80000000, v4
	v_lshl_add_u32 v3, v3, 23, v6
	v_or3_b32 v2, v4, v3, v2
.LBB56_1516:
	s_or_b64 exec, exec, s[6:7]
	v_lshrrev_b32_e32 v3, 8, v5
	s_movk_i32 s4, 0x7f
	v_cmp_gt_i16_sdwa s[6:7], v3, s4 src0_sel:BYTE_0 src1_sel:DWORD
	s_mov_b64 s[4:5], 0
                                        ; implicit-def: $sgpr10
	s_and_saveexec_b64 s[8:9], s[6:7]
	s_xor_b64 s[6:7], exec, s[8:9]
	s_cbranch_execnz .LBB56_3565
; %bb.1517:
	s_or_saveexec_b64 s[6:7], s[6:7]
	v_mov_b32_e32 v4, s10
	s_xor_b64 exec, exec, s[6:7]
	s_cbranch_execnz .LBB56_3568
.LBB56_1518:
	s_or_b64 exec, exec, s[6:7]
	s_and_saveexec_b64 s[6:7], s[4:5]
	s_cbranch_execz .LBB56_1520
.LBB56_1519:
	v_bfe_u32 v4, v5, 8, 3
	v_ffbh_u32_e32 v7, v4
	v_min_u32_e32 v7, 32, v7
	v_lshrrev_b16_e32 v6, 3, v3
	v_subrev_u32_e32 v8, 28, v7
	v_and_b32_e32 v6, 15, v6
	v_lshlrev_b32_e32 v3, v8, v3
	v_sub_u32_e32 v7, 29, v7
	v_and_b32_e32 v3, 7, v3
	v_cmp_eq_u16_e32 vcc, 0, v6
	v_cndmask_b32_e32 v3, v4, v3, vcc
	v_cndmask_b32_e32 v4, v6, v7, vcc
	v_lshlrev_b32_e32 v6, 16, v5
	v_mov_b32_e32 v7, 0x3b800000
	v_lshlrev_b32_e32 v3, 20, v3
	v_and_b32_e32 v6, 0x80000000, v6
	v_lshl_add_u32 v4, v4, 23, v7
	v_or3_b32 v4, v6, v4, v3
.LBB56_1520:
	s_or_b64 exec, exec, s[6:7]
	s_nop 0
	v_mfma_f32_16x16x4f32 a[0:3], v2, v4, a[0:3]
	s_movk_i32 s4, 0xff
	v_and_b32_sdwa v3, v9, s4 dst_sel:DWORD dst_unused:UNUSED_PAD src0_sel:WORD_1 src1_sel:DWORD
	s_movk_i32 s4, 0x7f
	v_cmp_lt_i16_e32 vcc, s4, v3
	s_mov_b64 s[4:5], 0
                                        ; implicit-def: $sgpr10
	s_and_saveexec_b64 s[6:7], vcc
	s_xor_b64 s[6:7], exec, s[6:7]
	s_cbranch_execnz .LBB56_3569
; %bb.1521:
	s_or_saveexec_b64 s[6:7], s[6:7]
	v_mov_b32_e32 v2, s10
	s_xor_b64 exec, exec, s[6:7]
	s_cbranch_execnz .LBB56_3572
.LBB56_1522:
	s_or_b64 exec, exec, s[6:7]
	s_and_saveexec_b64 s[6:7], s[4:5]
	s_cbranch_execz .LBB56_1524
.LBB56_1523:
	v_bfe_u32 v2, v9, 16, 3
	v_ffbh_u32_e32 v6, v2
	v_min_u32_e32 v6, 32, v6
	v_lshrrev_b32_e32 v3, 19, v9
	v_subrev_u32_e32 v7, 28, v6
	v_and_b32_e32 v3, 15, v3
	v_lshlrev_b32_sdwa v7, v7, v9 dst_sel:DWORD dst_unused:UNUSED_PAD src0_sel:DWORD src1_sel:WORD_1
	v_bfe_u32 v4, v9, 19, 4
	v_sub_u32_e32 v6, 29, v6
	v_and_b32_e32 v7, 7, v7
	v_cmp_eq_u16_e32 vcc, 0, v3
	v_cndmask_b32_e32 v2, v2, v7, vcc
	v_cndmask_b32_e32 v3, v4, v6, vcc
	v_lshlrev_b32_e32 v4, 8, v9
	v_mov_b32_e32 v6, 0x3b800000
	v_lshlrev_b32_e32 v2, 20, v2
	v_and_b32_e32 v4, 0x80000000, v4
	v_lshl_add_u32 v3, v3, 23, v6
	v_or3_b32 v2, v4, v3, v2
.LBB56_1524:
	s_or_b64 exec, exec, s[6:7]
	s_movk_i32 s4, 0xff
	v_and_b32_sdwa v3, v5, s4 dst_sel:DWORD dst_unused:UNUSED_PAD src0_sel:WORD_1 src1_sel:DWORD
	s_movk_i32 s4, 0x7f
	v_cmp_lt_i16_e32 vcc, s4, v3
	s_mov_b64 s[4:5], 0
                                        ; implicit-def: $sgpr10
	s_and_saveexec_b64 s[6:7], vcc
	s_xor_b64 s[6:7], exec, s[6:7]
	s_cbranch_execnz .LBB56_3573
; %bb.1525:
	s_or_saveexec_b64 s[6:7], s[6:7]
	v_mov_b32_e32 v4, s10
	s_xor_b64 exec, exec, s[6:7]
	s_cbranch_execnz .LBB56_3576
.LBB56_1526:
	s_or_b64 exec, exec, s[6:7]
	s_and_saveexec_b64 s[6:7], s[4:5]
	s_cbranch_execz .LBB56_1528
.LBB56_1527:
	v_bfe_u32 v3, v5, 16, 3
	v_ffbh_u32_e32 v7, v3
	v_min_u32_e32 v7, 32, v7
	v_lshrrev_b32_e32 v4, 19, v5
	v_subrev_u32_e32 v8, 28, v7
	v_and_b32_e32 v4, 15, v4
	v_lshlrev_b32_sdwa v8, v8, v5 dst_sel:DWORD dst_unused:UNUSED_PAD src0_sel:DWORD src1_sel:WORD_1
	v_bfe_u32 v6, v5, 19, 4
	v_sub_u32_e32 v7, 29, v7
	v_and_b32_e32 v8, 7, v8
	v_cmp_eq_u16_e32 vcc, 0, v4
	v_cndmask_b32_e32 v3, v3, v8, vcc
	v_cndmask_b32_e32 v4, v6, v7, vcc
	v_lshlrev_b32_e32 v6, 8, v5
	v_mov_b32_e32 v7, 0x3b800000
	v_lshlrev_b32_e32 v3, 20, v3
	v_and_b32_e32 v6, 0x80000000, v6
	v_lshl_add_u32 v4, v4, 23, v7
	v_or3_b32 v4, v6, v4, v3
.LBB56_1528:
	s_or_b64 exec, exec, s[6:7]
	s_nop 0
	v_mfma_f32_16x16x4f32 a[0:3], v2, v4, a[0:3]
	s_movk_i32 s4, 0x7f
	v_cmp_gt_i16_sdwa s[6:7], v9, s4 src0_sel:BYTE_3 src1_sel:DWORD
	s_mov_b64 s[4:5], 0
                                        ; implicit-def: $sgpr10
	s_and_saveexec_b64 s[8:9], s[6:7]
	s_xor_b64 s[6:7], exec, s[8:9]
	s_cbranch_execnz .LBB56_3577
; %bb.1529:
	s_or_saveexec_b64 s[6:7], s[6:7]
	v_mov_b32_e32 v2, s10
	s_xor_b64 exec, exec, s[6:7]
	s_cbranch_execnz .LBB56_3580
.LBB56_1530:
	s_or_b64 exec, exec, s[6:7]
	s_and_saveexec_b64 s[6:7], s[4:5]
	s_cbranch_execz .LBB56_1532
.LBB56_1531:
	v_bfe_u32 v2, v9, 24, 3
	v_ffbh_u32_e32 v7, v2
	v_min_u32_e32 v7, 32, v7
	v_lshrrev_b32_e32 v4, 27, v9
	v_subrev_u32_e32 v8, 28, v7
	v_and_b32_e32 v4, 15, v4
	v_lshlrev_b32_sdwa v8, v8, v9 dst_sel:DWORD dst_unused:UNUSED_PAD src0_sel:DWORD src1_sel:BYTE_3
	v_bfe_u32 v6, v9, 27, 4
	v_sub_u32_e32 v7, 29, v7
	v_and_b32_e32 v8, 7, v8
	v_cmp_eq_u16_e32 vcc, 0, v4
	v_cndmask_b32_e32 v2, v2, v8, vcc
	v_cndmask_b32_e32 v4, v6, v7, vcc
	v_mov_b32_e32 v6, 0x3b800000
	v_and_b32_e32 v3, 0x80000000, v9
	v_lshlrev_b32_e32 v2, 20, v2
	v_lshl_add_u32 v4, v4, 23, v6
	v_or3_b32 v2, v3, v4, v2
.LBB56_1532:
	s_or_b64 exec, exec, s[6:7]
	s_movk_i32 s4, 0x7f
	v_cmp_gt_i16_sdwa s[6:7], v5, s4 src0_sel:BYTE_3 src1_sel:DWORD
	s_mov_b64 s[4:5], 0
                                        ; implicit-def: $sgpr10
	s_and_saveexec_b64 s[8:9], s[6:7]
	s_xor_b64 s[6:7], exec, s[8:9]
	s_cbranch_execnz .LBB56_3581
; %bb.1533:
	s_or_saveexec_b64 s[6:7], s[6:7]
	v_mov_b32_e32 v3, s10
	s_xor_b64 exec, exec, s[6:7]
	s_cbranch_execnz .LBB56_3584
.LBB56_1534:
	s_or_b64 exec, exec, s[6:7]
	s_and_saveexec_b64 s[6:7], s[4:5]
	s_cbranch_execz .LBB56_1536
.LBB56_1535:
	v_bfe_u32 v3, v5, 24, 3
	v_ffbh_u32_e32 v8, v3
	v_min_u32_e32 v8, 32, v8
	v_lshrrev_b32_e32 v6, 27, v5
	v_subrev_u32_e32 v9, 28, v8
	v_and_b32_e32 v4, 0x80000000, v5
	v_and_b32_e32 v6, 15, v6
	v_bfe_u32 v7, v5, 27, 4
	v_lshlrev_b32_sdwa v5, v9, v5 dst_sel:DWORD dst_unused:UNUSED_PAD src0_sel:DWORD src1_sel:BYTE_3
	v_sub_u32_e32 v8, 29, v8
	v_and_b32_e32 v5, 7, v5
	v_cmp_eq_u16_e32 vcc, 0, v6
	v_cndmask_b32_e32 v3, v3, v5, vcc
	v_cndmask_b32_e32 v5, v7, v8, vcc
	v_mov_b32_e32 v6, 0x3b800000
	v_lshlrev_b32_e32 v3, 20, v3
	v_lshl_add_u32 v5, v5, 23, v6
	v_or3_b32 v3, v4, v5, v3
.LBB56_1536:
	s_or_b64 exec, exec, s[6:7]
	s_nop 0
	v_mfma_f32_16x16x4f32 a[0:3], v2, v3, a[0:3]
	s_movk_i32 s4, 0x7f
                                        ; implicit-def: $sgpr10
	s_nop 7
	s_nop 1
	flat_store_dwordx4 v[18:19], a[0:3] offset:592
	flat_load_dwordx4 v[20:23], v[0:1] offset:8
	s_nop 0
	flat_load_dwordx2 v[18:19], v[0:1] offset:24
	s_waitcnt vmcnt(0) lgkmcnt(0)
	flat_load_dwordx4 v[14:17], v[20:21]
	flat_load_dwordx4 v[6:9], v[20:21] offset:16
	flat_load_dwordx4 v[10:13], v[22:23] offset:448
	;; [unrolled: 1-line block ×3, first 2 shown]
	s_waitcnt vmcnt(0) lgkmcnt(0)
	v_cmp_gt_i16_sdwa s[6:7], v14, s4 src0_sel:BYTE_0 src1_sel:DWORD
	s_mov_b64 s[4:5], 0
	s_and_saveexec_b64 s[8:9], s[6:7]
	s_xor_b64 s[6:7], exec, s[8:9]
	s_cbranch_execnz .LBB56_3585
; %bb.1537:
	s_or_saveexec_b64 s[6:7], s[6:7]
	v_mov_b32_e32 v20, s10
	s_xor_b64 exec, exec, s[6:7]
	s_cbranch_execnz .LBB56_3588
.LBB56_1538:
	s_or_b64 exec, exec, s[6:7]
	s_and_saveexec_b64 s[6:7], s[4:5]
	s_cbranch_execz .LBB56_1540
.LBB56_1539:
	v_and_b32_e32 v20, 7, v14
	v_ffbh_u32_e32 v22, v20
	v_min_u32_e32 v22, 32, v22
	v_lshrrev_b16_e32 v21, 3, v14
	v_subrev_u32_e32 v23, 28, v22
	v_and_b32_e32 v21, 15, v21
	v_lshlrev_b32_e32 v23, v23, v14
	v_sub_u32_e32 v22, 29, v22
	v_and_b32_e32 v23, 7, v23
	v_cmp_eq_u16_e32 vcc, 0, v21
	v_cndmask_b32_e32 v20, v20, v23, vcc
	v_cndmask_b32_e32 v21, v21, v22, vcc
	v_lshlrev_b32_e32 v22, 24, v14
	v_mov_b32_e32 v23, 0x3b800000
	v_lshlrev_b32_e32 v20, 20, v20
	v_and_b32_e32 v22, 0x80000000, v22
	v_lshl_add_u32 v21, v21, 23, v23
	v_or3_b32 v20, v22, v21, v20
.LBB56_1540:
	s_or_b64 exec, exec, s[6:7]
	s_movk_i32 s4, 0x7f
	v_cmp_gt_i16_sdwa s[6:7], v10, s4 src0_sel:BYTE_0 src1_sel:DWORD
	s_mov_b64 s[4:5], 0
                                        ; implicit-def: $sgpr10
	s_and_saveexec_b64 s[8:9], s[6:7]
	s_xor_b64 s[6:7], exec, s[8:9]
	s_cbranch_execnz .LBB56_3589
; %bb.1541:
	s_or_saveexec_b64 s[6:7], s[6:7]
	v_mov_b32_e32 v21, s10
	s_xor_b64 exec, exec, s[6:7]
	s_cbranch_execnz .LBB56_3592
.LBB56_1542:
	s_or_b64 exec, exec, s[6:7]
	s_and_saveexec_b64 s[6:7], s[4:5]
	s_cbranch_execz .LBB56_1544
.LBB56_1543:
	v_and_b32_e32 v21, 7, v10
	v_ffbh_u32_e32 v23, v21
	v_min_u32_e32 v23, 32, v23
	v_lshrrev_b16_e32 v22, 3, v10
	v_subrev_u32_e32 v24, 28, v23
	v_and_b32_e32 v22, 15, v22
	v_lshlrev_b32_e32 v24, v24, v10
	v_sub_u32_e32 v23, 29, v23
	v_and_b32_e32 v24, 7, v24
	v_cmp_eq_u16_e32 vcc, 0, v22
	v_cndmask_b32_e32 v21, v21, v24, vcc
	v_cndmask_b32_e32 v22, v22, v23, vcc
	v_lshlrev_b32_e32 v23, 24, v10
	v_mov_b32_e32 v24, 0x3b800000
	v_lshlrev_b32_e32 v21, 20, v21
	v_and_b32_e32 v23, 0x80000000, v23
	v_lshl_add_u32 v22, v22, 23, v24
	v_or3_b32 v21, v23, v22, v21
.LBB56_1544:
	s_or_b64 exec, exec, s[6:7]
	flat_load_dwordx4 a[0:3], v[18:19] offset:608
	s_movk_i32 s4, 0x7f
                                        ; implicit-def: $sgpr10
	s_waitcnt vmcnt(0) lgkmcnt(0)
	v_mfma_f32_16x16x4f32 a[0:3], v20, v21, a[0:3]
	v_lshrrev_b32_e32 v21, 8, v14
	v_cmp_gt_i16_sdwa s[6:7], v21, s4 src0_sel:BYTE_0 src1_sel:DWORD
	s_mov_b64 s[4:5], 0
	s_and_saveexec_b64 s[8:9], s[6:7]
	s_xor_b64 s[6:7], exec, s[8:9]
	s_cbranch_execnz .LBB56_3593
; %bb.1545:
	s_or_saveexec_b64 s[6:7], s[6:7]
	v_mov_b32_e32 v20, s10
	s_xor_b64 exec, exec, s[6:7]
	s_cbranch_execnz .LBB56_3596
.LBB56_1546:
	s_or_b64 exec, exec, s[6:7]
	s_and_saveexec_b64 s[6:7], s[4:5]
	s_cbranch_execz .LBB56_1548
.LBB56_1547:
	v_bfe_u32 v20, v14, 8, 3
	v_ffbh_u32_e32 v23, v20
	v_min_u32_e32 v23, 32, v23
	v_lshrrev_b16_e32 v22, 3, v21
	v_subrev_u32_e32 v24, 28, v23
	v_and_b32_e32 v22, 15, v22
	v_lshlrev_b32_e32 v21, v24, v21
	v_sub_u32_e32 v23, 29, v23
	v_and_b32_e32 v21, 7, v21
	v_cmp_eq_u16_e32 vcc, 0, v22
	v_cndmask_b32_e32 v20, v20, v21, vcc
	v_cndmask_b32_e32 v21, v22, v23, vcc
	v_lshlrev_b32_e32 v22, 16, v14
	v_mov_b32_e32 v23, 0x3b800000
	v_lshlrev_b32_e32 v20, 20, v20
	v_and_b32_e32 v22, 0x80000000, v22
	v_lshl_add_u32 v21, v21, 23, v23
	v_or3_b32 v20, v22, v21, v20
.LBB56_1548:
	s_or_b64 exec, exec, s[6:7]
	v_lshrrev_b32_e32 v21, 8, v10
	s_movk_i32 s4, 0x7f
	v_cmp_gt_i16_sdwa s[6:7], v21, s4 src0_sel:BYTE_0 src1_sel:DWORD
	s_mov_b64 s[4:5], 0
                                        ; implicit-def: $sgpr10
	s_and_saveexec_b64 s[8:9], s[6:7]
	s_xor_b64 s[6:7], exec, s[8:9]
	s_cbranch_execnz .LBB56_3597
; %bb.1549:
	s_or_saveexec_b64 s[6:7], s[6:7]
	v_mov_b32_e32 v22, s10
	s_xor_b64 exec, exec, s[6:7]
	s_cbranch_execnz .LBB56_3600
.LBB56_1550:
	s_or_b64 exec, exec, s[6:7]
	s_and_saveexec_b64 s[6:7], s[4:5]
	s_cbranch_execz .LBB56_1552
.LBB56_1551:
	v_bfe_u32 v22, v10, 8, 3
	v_ffbh_u32_e32 v24, v22
	v_min_u32_e32 v24, 32, v24
	v_lshrrev_b16_e32 v23, 3, v21
	v_subrev_u32_e32 v25, 28, v24
	v_and_b32_e32 v23, 15, v23
	v_lshlrev_b32_e32 v21, v25, v21
	v_sub_u32_e32 v24, 29, v24
	v_and_b32_e32 v21, 7, v21
	v_cmp_eq_u16_e32 vcc, 0, v23
	v_cndmask_b32_e32 v21, v22, v21, vcc
	v_cndmask_b32_e32 v22, v23, v24, vcc
	v_lshlrev_b32_e32 v23, 16, v10
	v_mov_b32_e32 v24, 0x3b800000
	v_lshlrev_b32_e32 v21, 20, v21
	v_and_b32_e32 v23, 0x80000000, v23
	v_lshl_add_u32 v22, v22, 23, v24
	v_or3_b32 v22, v23, v22, v21
.LBB56_1552:
	s_or_b64 exec, exec, s[6:7]
	s_nop 0
	v_mfma_f32_16x16x4f32 a[0:3], v20, v22, a[0:3]
	s_movk_i32 s4, 0xff
	v_and_b32_sdwa v21, v14, s4 dst_sel:DWORD dst_unused:UNUSED_PAD src0_sel:WORD_1 src1_sel:DWORD
	s_movk_i32 s4, 0x7f
	v_cmp_lt_i16_e32 vcc, s4, v21
	s_mov_b64 s[4:5], 0
                                        ; implicit-def: $sgpr10
	s_and_saveexec_b64 s[6:7], vcc
	s_xor_b64 s[6:7], exec, s[6:7]
	s_cbranch_execnz .LBB56_3601
; %bb.1553:
	s_or_saveexec_b64 s[6:7], s[6:7]
	v_mov_b32_e32 v20, s10
	s_xor_b64 exec, exec, s[6:7]
	s_cbranch_execnz .LBB56_3604
.LBB56_1554:
	s_or_b64 exec, exec, s[6:7]
	s_and_saveexec_b64 s[6:7], s[4:5]
	s_cbranch_execz .LBB56_1556
.LBB56_1555:
	v_bfe_u32 v20, v14, 16, 3
	v_ffbh_u32_e32 v23, v20
	v_min_u32_e32 v23, 32, v23
	v_lshrrev_b32_e32 v21, 19, v14
	v_subrev_u32_e32 v24, 28, v23
	v_and_b32_e32 v21, 15, v21
	v_lshlrev_b32_sdwa v24, v24, v14 dst_sel:DWORD dst_unused:UNUSED_PAD src0_sel:DWORD src1_sel:WORD_1
	v_bfe_u32 v22, v14, 19, 4
	v_sub_u32_e32 v23, 29, v23
	v_and_b32_e32 v24, 7, v24
	v_cmp_eq_u16_e32 vcc, 0, v21
	v_cndmask_b32_e32 v20, v20, v24, vcc
	v_cndmask_b32_e32 v21, v22, v23, vcc
	v_lshlrev_b32_e32 v22, 8, v14
	v_mov_b32_e32 v23, 0x3b800000
	v_lshlrev_b32_e32 v20, 20, v20
	v_and_b32_e32 v22, 0x80000000, v22
	v_lshl_add_u32 v21, v21, 23, v23
	v_or3_b32 v20, v22, v21, v20
.LBB56_1556:
	s_or_b64 exec, exec, s[6:7]
	s_movk_i32 s4, 0xff
	v_and_b32_sdwa v21, v10, s4 dst_sel:DWORD dst_unused:UNUSED_PAD src0_sel:WORD_1 src1_sel:DWORD
	s_movk_i32 s4, 0x7f
	v_cmp_lt_i16_e32 vcc, s4, v21
	s_mov_b64 s[4:5], 0
                                        ; implicit-def: $sgpr10
	s_and_saveexec_b64 s[6:7], vcc
	s_xor_b64 s[6:7], exec, s[6:7]
	s_cbranch_execnz .LBB56_3605
; %bb.1557:
	s_or_saveexec_b64 s[6:7], s[6:7]
	v_mov_b32_e32 v22, s10
	s_xor_b64 exec, exec, s[6:7]
	s_cbranch_execnz .LBB56_3608
.LBB56_1558:
	s_or_b64 exec, exec, s[6:7]
	s_and_saveexec_b64 s[6:7], s[4:5]
	s_cbranch_execz .LBB56_1560
.LBB56_1559:
	v_bfe_u32 v21, v10, 16, 3
	v_ffbh_u32_e32 v24, v21
	v_min_u32_e32 v24, 32, v24
	v_lshrrev_b32_e32 v22, 19, v10
	v_subrev_u32_e32 v25, 28, v24
	v_and_b32_e32 v22, 15, v22
	v_lshlrev_b32_sdwa v25, v25, v10 dst_sel:DWORD dst_unused:UNUSED_PAD src0_sel:DWORD src1_sel:WORD_1
	v_bfe_u32 v23, v10, 19, 4
	v_sub_u32_e32 v24, 29, v24
	v_and_b32_e32 v25, 7, v25
	v_cmp_eq_u16_e32 vcc, 0, v22
	v_cndmask_b32_e32 v21, v21, v25, vcc
	v_cndmask_b32_e32 v22, v23, v24, vcc
	v_lshlrev_b32_e32 v23, 8, v10
	v_mov_b32_e32 v24, 0x3b800000
	v_lshlrev_b32_e32 v21, 20, v21
	v_and_b32_e32 v23, 0x80000000, v23
	v_lshl_add_u32 v22, v22, 23, v24
	v_or3_b32 v22, v23, v22, v21
.LBB56_1560:
	s_or_b64 exec, exec, s[6:7]
	s_nop 0
	v_mfma_f32_16x16x4f32 a[0:3], v20, v22, a[0:3]
	s_movk_i32 s4, 0x7f
	v_cmp_gt_i16_sdwa s[6:7], v14, s4 src0_sel:BYTE_3 src1_sel:DWORD
	s_mov_b64 s[4:5], 0
                                        ; implicit-def: $sgpr10
	s_and_saveexec_b64 s[8:9], s[6:7]
	s_xor_b64 s[6:7], exec, s[8:9]
	s_cbranch_execnz .LBB56_3609
; %bb.1561:
	s_or_saveexec_b64 s[6:7], s[6:7]
	v_mov_b32_e32 v20, s10
	s_xor_b64 exec, exec, s[6:7]
	s_cbranch_execnz .LBB56_3612
.LBB56_1562:
	s_or_b64 exec, exec, s[6:7]
	s_and_saveexec_b64 s[6:7], s[4:5]
	s_cbranch_execz .LBB56_1564
.LBB56_1563:
	v_bfe_u32 v20, v14, 24, 3
	v_ffbh_u32_e32 v24, v20
	v_min_u32_e32 v24, 32, v24
	v_lshrrev_b32_e32 v22, 27, v14
	v_subrev_u32_e32 v25, 28, v24
	v_and_b32_e32 v21, 0x80000000, v14
	v_and_b32_e32 v22, 15, v22
	v_bfe_u32 v23, v14, 27, 4
	v_lshlrev_b32_sdwa v14, v25, v14 dst_sel:DWORD dst_unused:UNUSED_PAD src0_sel:DWORD src1_sel:BYTE_3
	v_sub_u32_e32 v24, 29, v24
	v_and_b32_e32 v14, 7, v14
	v_cmp_eq_u16_e32 vcc, 0, v22
	v_cndmask_b32_e32 v14, v20, v14, vcc
	v_cndmask_b32_e32 v20, v23, v24, vcc
	v_mov_b32_e32 v22, 0x3b800000
	v_lshlrev_b32_e32 v14, 20, v14
	v_lshl_add_u32 v20, v20, 23, v22
	v_or3_b32 v20, v21, v20, v14
.LBB56_1564:
	s_or_b64 exec, exec, s[6:7]
	s_movk_i32 s4, 0x7f
	v_cmp_gt_i16_sdwa s[6:7], v10, s4 src0_sel:BYTE_3 src1_sel:DWORD
	s_mov_b64 s[4:5], 0
                                        ; implicit-def: $sgpr10
	s_and_saveexec_b64 s[8:9], s[6:7]
	s_xor_b64 s[6:7], exec, s[8:9]
	s_cbranch_execnz .LBB56_3613
; %bb.1565:
	s_or_saveexec_b64 s[6:7], s[6:7]
	v_mov_b32_e32 v14, s10
	s_xor_b64 exec, exec, s[6:7]
	s_cbranch_execnz .LBB56_3616
.LBB56_1566:
	s_or_b64 exec, exec, s[6:7]
	s_and_saveexec_b64 s[6:7], s[4:5]
	s_cbranch_execz .LBB56_1568
.LBB56_1567:
	v_bfe_u32 v14, v10, 24, 3
	v_ffbh_u32_e32 v24, v14
	v_min_u32_e32 v24, 32, v24
	v_lshrrev_b32_e32 v22, 27, v10
	v_subrev_u32_e32 v25, 28, v24
	v_and_b32_e32 v21, 0x80000000, v10
	v_and_b32_e32 v22, 15, v22
	v_bfe_u32 v23, v10, 27, 4
	v_lshlrev_b32_sdwa v10, v25, v10 dst_sel:DWORD dst_unused:UNUSED_PAD src0_sel:DWORD src1_sel:BYTE_3
	v_sub_u32_e32 v24, 29, v24
	v_and_b32_e32 v10, 7, v10
	v_cmp_eq_u16_e32 vcc, 0, v22
	v_cndmask_b32_e32 v10, v14, v10, vcc
	v_cndmask_b32_e32 v14, v23, v24, vcc
	v_mov_b32_e32 v22, 0x3b800000
	v_lshlrev_b32_e32 v10, 20, v10
	v_lshl_add_u32 v14, v14, 23, v22
	v_or3_b32 v14, v21, v14, v10
.LBB56_1568:
	s_or_b64 exec, exec, s[6:7]
	s_nop 0
	v_mfma_f32_16x16x4f32 a[0:3], v20, v14, a[0:3]
	s_movk_i32 s4, 0x7f
	v_cmp_gt_i16_sdwa s[6:7], v15, s4 src0_sel:BYTE_0 src1_sel:DWORD
	s_mov_b64 s[4:5], 0
                                        ; implicit-def: $sgpr10
	s_and_saveexec_b64 s[8:9], s[6:7]
	s_xor_b64 s[6:7], exec, s[8:9]
	s_cbranch_execnz .LBB56_3617
; %bb.1569:
	s_or_saveexec_b64 s[6:7], s[6:7]
	v_mov_b32_e32 v10, s10
	s_xor_b64 exec, exec, s[6:7]
	s_cbranch_execnz .LBB56_3620
.LBB56_1570:
	s_or_b64 exec, exec, s[6:7]
	s_and_saveexec_b64 s[6:7], s[4:5]
	s_cbranch_execz .LBB56_1572
.LBB56_1571:
	v_and_b32_e32 v10, 7, v15
	v_ffbh_u32_e32 v20, v10
	v_min_u32_e32 v20, 32, v20
	v_lshrrev_b16_e32 v14, 3, v15
	v_subrev_u32_e32 v21, 28, v20
	v_and_b32_e32 v14, 15, v14
	v_lshlrev_b32_e32 v21, v21, v15
	v_sub_u32_e32 v20, 29, v20
	v_and_b32_e32 v21, 7, v21
	v_cmp_eq_u16_e32 vcc, 0, v14
	v_cndmask_b32_e32 v10, v10, v21, vcc
	v_cndmask_b32_e32 v14, v14, v20, vcc
	v_lshlrev_b32_e32 v20, 24, v15
	v_mov_b32_e32 v21, 0x3b800000
	v_lshlrev_b32_e32 v10, 20, v10
	v_and_b32_e32 v20, 0x80000000, v20
	v_lshl_add_u32 v14, v14, 23, v21
	v_or3_b32 v10, v20, v14, v10
.LBB56_1572:
	s_or_b64 exec, exec, s[6:7]
	s_movk_i32 s4, 0x7f
	v_cmp_gt_i16_sdwa s[6:7], v11, s4 src0_sel:BYTE_0 src1_sel:DWORD
	s_mov_b64 s[4:5], 0
                                        ; implicit-def: $sgpr10
	s_and_saveexec_b64 s[8:9], s[6:7]
	s_xor_b64 s[6:7], exec, s[8:9]
	s_cbranch_execnz .LBB56_3621
; %bb.1573:
	s_or_saveexec_b64 s[6:7], s[6:7]
	v_mov_b32_e32 v14, s10
	s_xor_b64 exec, exec, s[6:7]
	s_cbranch_execnz .LBB56_3624
.LBB56_1574:
	s_or_b64 exec, exec, s[6:7]
	s_and_saveexec_b64 s[6:7], s[4:5]
	s_cbranch_execz .LBB56_1576
.LBB56_1575:
	v_and_b32_e32 v14, 7, v11
	v_ffbh_u32_e32 v21, v14
	v_min_u32_e32 v21, 32, v21
	v_lshrrev_b16_e32 v20, 3, v11
	v_subrev_u32_e32 v22, 28, v21
	v_and_b32_e32 v20, 15, v20
	v_lshlrev_b32_e32 v22, v22, v11
	v_sub_u32_e32 v21, 29, v21
	v_and_b32_e32 v22, 7, v22
	v_cmp_eq_u16_e32 vcc, 0, v20
	v_cndmask_b32_e32 v14, v14, v22, vcc
	v_cndmask_b32_e32 v20, v20, v21, vcc
	v_lshlrev_b32_e32 v21, 24, v11
	v_mov_b32_e32 v22, 0x3b800000
	v_lshlrev_b32_e32 v14, 20, v14
	v_and_b32_e32 v21, 0x80000000, v21
	v_lshl_add_u32 v20, v20, 23, v22
	v_or3_b32 v14, v21, v20, v14
.LBB56_1576:
	s_or_b64 exec, exec, s[6:7]
	s_nop 0
	v_mfma_f32_16x16x4f32 a[0:3], v10, v14, a[0:3]
	v_lshrrev_b32_e32 v14, 8, v15
	s_movk_i32 s4, 0x7f
	v_cmp_gt_i16_sdwa s[6:7], v14, s4 src0_sel:BYTE_0 src1_sel:DWORD
	s_mov_b64 s[4:5], 0
                                        ; implicit-def: $sgpr10
	s_and_saveexec_b64 s[8:9], s[6:7]
	s_xor_b64 s[6:7], exec, s[8:9]
	s_cbranch_execnz .LBB56_3625
; %bb.1577:
	s_or_saveexec_b64 s[6:7], s[6:7]
	v_mov_b32_e32 v10, s10
	s_xor_b64 exec, exec, s[6:7]
	s_cbranch_execnz .LBB56_3628
.LBB56_1578:
	s_or_b64 exec, exec, s[6:7]
	s_and_saveexec_b64 s[6:7], s[4:5]
	s_cbranch_execz .LBB56_1580
.LBB56_1579:
	v_bfe_u32 v10, v15, 8, 3
	v_ffbh_u32_e32 v21, v10
	v_min_u32_e32 v21, 32, v21
	v_lshrrev_b16_e32 v20, 3, v14
	v_subrev_u32_e32 v22, 28, v21
	v_and_b32_e32 v20, 15, v20
	v_lshlrev_b32_e32 v14, v22, v14
	v_sub_u32_e32 v21, 29, v21
	v_and_b32_e32 v14, 7, v14
	v_cmp_eq_u16_e32 vcc, 0, v20
	v_cndmask_b32_e32 v10, v10, v14, vcc
	v_cndmask_b32_e32 v14, v20, v21, vcc
	v_lshlrev_b32_e32 v20, 16, v15
	v_mov_b32_e32 v21, 0x3b800000
	v_lshlrev_b32_e32 v10, 20, v10
	v_and_b32_e32 v20, 0x80000000, v20
	v_lshl_add_u32 v14, v14, 23, v21
	v_or3_b32 v10, v20, v14, v10
.LBB56_1580:
	s_or_b64 exec, exec, s[6:7]
	v_lshrrev_b32_e32 v14, 8, v11
	s_movk_i32 s4, 0x7f
	v_cmp_gt_i16_sdwa s[6:7], v14, s4 src0_sel:BYTE_0 src1_sel:DWORD
	s_mov_b64 s[4:5], 0
                                        ; implicit-def: $sgpr10
	s_and_saveexec_b64 s[8:9], s[6:7]
	s_xor_b64 s[6:7], exec, s[8:9]
	s_cbranch_execnz .LBB56_3629
; %bb.1581:
	s_or_saveexec_b64 s[6:7], s[6:7]
	v_mov_b32_e32 v20, s10
	s_xor_b64 exec, exec, s[6:7]
	s_cbranch_execnz .LBB56_3632
.LBB56_1582:
	s_or_b64 exec, exec, s[6:7]
	s_and_saveexec_b64 s[6:7], s[4:5]
	s_cbranch_execz .LBB56_1584
.LBB56_1583:
	v_bfe_u32 v20, v11, 8, 3
	v_ffbh_u32_e32 v22, v20
	v_min_u32_e32 v22, 32, v22
	v_lshrrev_b16_e32 v21, 3, v14
	v_subrev_u32_e32 v23, 28, v22
	v_and_b32_e32 v21, 15, v21
	v_lshlrev_b32_e32 v14, v23, v14
	v_sub_u32_e32 v22, 29, v22
	v_and_b32_e32 v14, 7, v14
	v_cmp_eq_u16_e32 vcc, 0, v21
	v_cndmask_b32_e32 v14, v20, v14, vcc
	v_cndmask_b32_e32 v20, v21, v22, vcc
	v_lshlrev_b32_e32 v21, 16, v11
	v_mov_b32_e32 v22, 0x3b800000
	v_lshlrev_b32_e32 v14, 20, v14
	v_and_b32_e32 v21, 0x80000000, v21
	v_lshl_add_u32 v20, v20, 23, v22
	v_or3_b32 v20, v21, v20, v14
.LBB56_1584:
	s_or_b64 exec, exec, s[6:7]
	s_nop 0
	v_mfma_f32_16x16x4f32 a[0:3], v10, v20, a[0:3]
	s_movk_i32 s4, 0xff
	v_and_b32_sdwa v14, v15, s4 dst_sel:DWORD dst_unused:UNUSED_PAD src0_sel:WORD_1 src1_sel:DWORD
	s_movk_i32 s4, 0x7f
	v_cmp_lt_i16_e32 vcc, s4, v14
	s_mov_b64 s[4:5], 0
                                        ; implicit-def: $sgpr10
	s_and_saveexec_b64 s[6:7], vcc
	s_xor_b64 s[6:7], exec, s[6:7]
	s_cbranch_execnz .LBB56_3633
; %bb.1585:
	s_or_saveexec_b64 s[6:7], s[6:7]
	v_mov_b32_e32 v10, s10
	s_xor_b64 exec, exec, s[6:7]
	s_cbranch_execnz .LBB56_3636
.LBB56_1586:
	s_or_b64 exec, exec, s[6:7]
	s_and_saveexec_b64 s[6:7], s[4:5]
	s_cbranch_execz .LBB56_1588
.LBB56_1587:
	v_bfe_u32 v10, v15, 16, 3
	v_ffbh_u32_e32 v21, v10
	v_min_u32_e32 v21, 32, v21
	v_lshrrev_b32_e32 v14, 19, v15
	v_subrev_u32_e32 v22, 28, v21
	v_and_b32_e32 v14, 15, v14
	v_lshlrev_b32_sdwa v22, v22, v15 dst_sel:DWORD dst_unused:UNUSED_PAD src0_sel:DWORD src1_sel:WORD_1
	v_bfe_u32 v20, v15, 19, 4
	v_sub_u32_e32 v21, 29, v21
	v_and_b32_e32 v22, 7, v22
	v_cmp_eq_u16_e32 vcc, 0, v14
	v_cndmask_b32_e32 v10, v10, v22, vcc
	v_cndmask_b32_e32 v14, v20, v21, vcc
	v_lshlrev_b32_e32 v20, 8, v15
	v_mov_b32_e32 v21, 0x3b800000
	v_lshlrev_b32_e32 v10, 20, v10
	v_and_b32_e32 v20, 0x80000000, v20
	v_lshl_add_u32 v14, v14, 23, v21
	v_or3_b32 v10, v20, v14, v10
.LBB56_1588:
	s_or_b64 exec, exec, s[6:7]
	s_movk_i32 s4, 0xff
	v_and_b32_sdwa v14, v11, s4 dst_sel:DWORD dst_unused:UNUSED_PAD src0_sel:WORD_1 src1_sel:DWORD
	s_movk_i32 s4, 0x7f
	v_cmp_lt_i16_e32 vcc, s4, v14
	s_mov_b64 s[4:5], 0
                                        ; implicit-def: $sgpr10
	s_and_saveexec_b64 s[6:7], vcc
	s_xor_b64 s[6:7], exec, s[6:7]
	s_cbranch_execnz .LBB56_3637
; %bb.1589:
	s_or_saveexec_b64 s[6:7], s[6:7]
	v_mov_b32_e32 v20, s10
	s_xor_b64 exec, exec, s[6:7]
	s_cbranch_execnz .LBB56_3640
.LBB56_1590:
	s_or_b64 exec, exec, s[6:7]
	s_and_saveexec_b64 s[6:7], s[4:5]
	s_cbranch_execz .LBB56_1592
.LBB56_1591:
	v_bfe_u32 v14, v11, 16, 3
	v_ffbh_u32_e32 v22, v14
	v_min_u32_e32 v22, 32, v22
	v_lshrrev_b32_e32 v20, 19, v11
	v_subrev_u32_e32 v23, 28, v22
	v_and_b32_e32 v20, 15, v20
	v_lshlrev_b32_sdwa v23, v23, v11 dst_sel:DWORD dst_unused:UNUSED_PAD src0_sel:DWORD src1_sel:WORD_1
	v_bfe_u32 v21, v11, 19, 4
	v_sub_u32_e32 v22, 29, v22
	v_and_b32_e32 v23, 7, v23
	v_cmp_eq_u16_e32 vcc, 0, v20
	v_cndmask_b32_e32 v14, v14, v23, vcc
	v_cndmask_b32_e32 v20, v21, v22, vcc
	v_lshlrev_b32_e32 v21, 8, v11
	v_mov_b32_e32 v22, 0x3b800000
	v_lshlrev_b32_e32 v14, 20, v14
	v_and_b32_e32 v21, 0x80000000, v21
	v_lshl_add_u32 v20, v20, 23, v22
	v_or3_b32 v20, v21, v20, v14
.LBB56_1592:
	s_or_b64 exec, exec, s[6:7]
	s_nop 0
	v_mfma_f32_16x16x4f32 a[0:3], v10, v20, a[0:3]
	s_movk_i32 s4, 0x7f
	v_cmp_gt_i16_sdwa s[6:7], v15, s4 src0_sel:BYTE_3 src1_sel:DWORD
	s_mov_b64 s[4:5], 0
                                        ; implicit-def: $sgpr10
	s_and_saveexec_b64 s[8:9], s[6:7]
	s_xor_b64 s[6:7], exec, s[8:9]
	s_cbranch_execnz .LBB56_3641
; %bb.1593:
	s_or_saveexec_b64 s[6:7], s[6:7]
	v_mov_b32_e32 v10, s10
	s_xor_b64 exec, exec, s[6:7]
	s_cbranch_execnz .LBB56_3644
.LBB56_1594:
	s_or_b64 exec, exec, s[6:7]
	s_and_saveexec_b64 s[6:7], s[4:5]
	s_cbranch_execz .LBB56_1596
.LBB56_1595:
	v_bfe_u32 v10, v15, 24, 3
	v_ffbh_u32_e32 v22, v10
	v_min_u32_e32 v22, 32, v22
	v_lshrrev_b32_e32 v20, 27, v15
	v_subrev_u32_e32 v23, 28, v22
	v_and_b32_e32 v14, 0x80000000, v15
	v_and_b32_e32 v20, 15, v20
	v_bfe_u32 v21, v15, 27, 4
	v_lshlrev_b32_sdwa v15, v23, v15 dst_sel:DWORD dst_unused:UNUSED_PAD src0_sel:DWORD src1_sel:BYTE_3
	v_sub_u32_e32 v22, 29, v22
	v_and_b32_e32 v15, 7, v15
	v_cmp_eq_u16_e32 vcc, 0, v20
	v_cndmask_b32_e32 v10, v10, v15, vcc
	v_cndmask_b32_e32 v15, v21, v22, vcc
	v_mov_b32_e32 v20, 0x3b800000
	v_lshlrev_b32_e32 v10, 20, v10
	v_lshl_add_u32 v15, v15, 23, v20
	v_or3_b32 v10, v14, v15, v10
.LBB56_1596:
	s_or_b64 exec, exec, s[6:7]
	s_movk_i32 s4, 0x7f
	v_cmp_gt_i16_sdwa s[6:7], v11, s4 src0_sel:BYTE_3 src1_sel:DWORD
	s_mov_b64 s[4:5], 0
                                        ; implicit-def: $sgpr10
	s_and_saveexec_b64 s[8:9], s[6:7]
	s_xor_b64 s[6:7], exec, s[8:9]
	s_cbranch_execnz .LBB56_3645
; %bb.1597:
	s_or_saveexec_b64 s[6:7], s[6:7]
	v_mov_b32_e32 v14, s10
	s_xor_b64 exec, exec, s[6:7]
	s_cbranch_execnz .LBB56_3648
.LBB56_1598:
	s_or_b64 exec, exec, s[6:7]
	s_and_saveexec_b64 s[6:7], s[4:5]
	s_cbranch_execz .LBB56_1600
.LBB56_1599:
	v_bfe_u32 v14, v11, 24, 3
	v_ffbh_u32_e32 v22, v14
	v_min_u32_e32 v22, 32, v22
	v_lshrrev_b32_e32 v20, 27, v11
	v_subrev_u32_e32 v23, 28, v22
	v_and_b32_e32 v15, 0x80000000, v11
	v_and_b32_e32 v20, 15, v20
	v_bfe_u32 v21, v11, 27, 4
	v_lshlrev_b32_sdwa v11, v23, v11 dst_sel:DWORD dst_unused:UNUSED_PAD src0_sel:DWORD src1_sel:BYTE_3
	v_sub_u32_e32 v22, 29, v22
	v_and_b32_e32 v11, 7, v11
	v_cmp_eq_u16_e32 vcc, 0, v20
	v_cndmask_b32_e32 v11, v14, v11, vcc
	v_cndmask_b32_e32 v14, v21, v22, vcc
	v_mov_b32_e32 v20, 0x3b800000
	v_lshlrev_b32_e32 v11, 20, v11
	v_lshl_add_u32 v14, v14, 23, v20
	v_or3_b32 v14, v15, v14, v11
.LBB56_1600:
	s_or_b64 exec, exec, s[6:7]
	s_nop 0
	v_mfma_f32_16x16x4f32 a[0:3], v10, v14, a[0:3]
	s_movk_i32 s4, 0x7f
	v_cmp_gt_i16_sdwa s[6:7], v16, s4 src0_sel:BYTE_0 src1_sel:DWORD
	s_mov_b64 s[4:5], 0
                                        ; implicit-def: $sgpr10
	s_and_saveexec_b64 s[8:9], s[6:7]
	s_xor_b64 s[6:7], exec, s[8:9]
	s_cbranch_execnz .LBB56_3649
; %bb.1601:
	s_or_saveexec_b64 s[6:7], s[6:7]
	v_mov_b32_e32 v10, s10
	s_xor_b64 exec, exec, s[6:7]
	s_cbranch_execnz .LBB56_3652
.LBB56_1602:
	s_or_b64 exec, exec, s[6:7]
	s_and_saveexec_b64 s[6:7], s[4:5]
	s_cbranch_execz .LBB56_1604
.LBB56_1603:
	v_and_b32_e32 v10, 7, v16
	v_ffbh_u32_e32 v14, v10
	v_min_u32_e32 v14, 32, v14
	v_lshrrev_b16_e32 v11, 3, v16
	v_subrev_u32_e32 v15, 28, v14
	v_and_b32_e32 v11, 15, v11
	v_lshlrev_b32_e32 v15, v15, v16
	v_sub_u32_e32 v14, 29, v14
	v_and_b32_e32 v15, 7, v15
	v_cmp_eq_u16_e32 vcc, 0, v11
	v_cndmask_b32_e32 v10, v10, v15, vcc
	v_cndmask_b32_e32 v11, v11, v14, vcc
	v_lshlrev_b32_e32 v14, 24, v16
	v_mov_b32_e32 v15, 0x3b800000
	v_lshlrev_b32_e32 v10, 20, v10
	v_and_b32_e32 v14, 0x80000000, v14
	v_lshl_add_u32 v11, v11, 23, v15
	v_or3_b32 v10, v14, v11, v10
.LBB56_1604:
	s_or_b64 exec, exec, s[6:7]
	s_movk_i32 s4, 0x7f
	v_cmp_gt_i16_sdwa s[6:7], v12, s4 src0_sel:BYTE_0 src1_sel:DWORD
	s_mov_b64 s[4:5], 0
                                        ; implicit-def: $sgpr10
	s_and_saveexec_b64 s[8:9], s[6:7]
	s_xor_b64 s[6:7], exec, s[8:9]
	s_cbranch_execnz .LBB56_3653
; %bb.1605:
	s_or_saveexec_b64 s[6:7], s[6:7]
	v_mov_b32_e32 v11, s10
	s_xor_b64 exec, exec, s[6:7]
	s_cbranch_execnz .LBB56_3656
.LBB56_1606:
	s_or_b64 exec, exec, s[6:7]
	s_and_saveexec_b64 s[6:7], s[4:5]
	s_cbranch_execz .LBB56_1608
.LBB56_1607:
	v_and_b32_e32 v11, 7, v12
	v_ffbh_u32_e32 v15, v11
	v_min_u32_e32 v15, 32, v15
	v_lshrrev_b16_e32 v14, 3, v12
	v_subrev_u32_e32 v20, 28, v15
	v_and_b32_e32 v14, 15, v14
	v_lshlrev_b32_e32 v20, v20, v12
	v_sub_u32_e32 v15, 29, v15
	v_and_b32_e32 v20, 7, v20
	v_cmp_eq_u16_e32 vcc, 0, v14
	v_cndmask_b32_e32 v11, v11, v20, vcc
	v_cndmask_b32_e32 v14, v14, v15, vcc
	v_lshlrev_b32_e32 v15, 24, v12
	v_mov_b32_e32 v20, 0x3b800000
	v_lshlrev_b32_e32 v11, 20, v11
	v_and_b32_e32 v15, 0x80000000, v15
	v_lshl_add_u32 v14, v14, 23, v20
	v_or3_b32 v11, v15, v14, v11
.LBB56_1608:
	s_or_b64 exec, exec, s[6:7]
	s_nop 0
	v_mfma_f32_16x16x4f32 a[0:3], v10, v11, a[0:3]
	v_lshrrev_b32_e32 v11, 8, v16
	s_movk_i32 s4, 0x7f
	v_cmp_gt_i16_sdwa s[6:7], v11, s4 src0_sel:BYTE_0 src1_sel:DWORD
	s_mov_b64 s[4:5], 0
                                        ; implicit-def: $sgpr10
	s_and_saveexec_b64 s[8:9], s[6:7]
	s_xor_b64 s[6:7], exec, s[8:9]
	s_cbranch_execnz .LBB56_3657
; %bb.1609:
	s_or_saveexec_b64 s[6:7], s[6:7]
	v_mov_b32_e32 v10, s10
	s_xor_b64 exec, exec, s[6:7]
	s_cbranch_execnz .LBB56_3660
.LBB56_1610:
	s_or_b64 exec, exec, s[6:7]
	s_and_saveexec_b64 s[6:7], s[4:5]
	s_cbranch_execz .LBB56_1612
.LBB56_1611:
	v_bfe_u32 v10, v16, 8, 3
	v_ffbh_u32_e32 v15, v10
	v_min_u32_e32 v15, 32, v15
	v_lshrrev_b16_e32 v14, 3, v11
	v_subrev_u32_e32 v20, 28, v15
	v_and_b32_e32 v14, 15, v14
	v_lshlrev_b32_e32 v11, v20, v11
	v_sub_u32_e32 v15, 29, v15
	v_and_b32_e32 v11, 7, v11
	v_cmp_eq_u16_e32 vcc, 0, v14
	v_cndmask_b32_e32 v10, v10, v11, vcc
	v_cndmask_b32_e32 v11, v14, v15, vcc
	v_lshlrev_b32_e32 v14, 16, v16
	v_mov_b32_e32 v15, 0x3b800000
	v_lshlrev_b32_e32 v10, 20, v10
	v_and_b32_e32 v14, 0x80000000, v14
	v_lshl_add_u32 v11, v11, 23, v15
	v_or3_b32 v10, v14, v11, v10
.LBB56_1612:
	s_or_b64 exec, exec, s[6:7]
	v_lshrrev_b32_e32 v11, 8, v12
	s_movk_i32 s4, 0x7f
	v_cmp_gt_i16_sdwa s[6:7], v11, s4 src0_sel:BYTE_0 src1_sel:DWORD
	s_mov_b64 s[4:5], 0
                                        ; implicit-def: $sgpr10
	s_and_saveexec_b64 s[8:9], s[6:7]
	s_xor_b64 s[6:7], exec, s[8:9]
	s_cbranch_execnz .LBB56_3661
; %bb.1613:
	s_or_saveexec_b64 s[6:7], s[6:7]
	v_mov_b32_e32 v14, s10
	s_xor_b64 exec, exec, s[6:7]
	s_cbranch_execnz .LBB56_3664
.LBB56_1614:
	s_or_b64 exec, exec, s[6:7]
	s_and_saveexec_b64 s[6:7], s[4:5]
	s_cbranch_execz .LBB56_1616
.LBB56_1615:
	v_bfe_u32 v14, v12, 8, 3
	v_ffbh_u32_e32 v20, v14
	v_min_u32_e32 v20, 32, v20
	v_lshrrev_b16_e32 v15, 3, v11
	v_subrev_u32_e32 v21, 28, v20
	v_and_b32_e32 v15, 15, v15
	v_lshlrev_b32_e32 v11, v21, v11
	v_sub_u32_e32 v20, 29, v20
	v_and_b32_e32 v11, 7, v11
	v_cmp_eq_u16_e32 vcc, 0, v15
	v_cndmask_b32_e32 v11, v14, v11, vcc
	v_cndmask_b32_e32 v14, v15, v20, vcc
	v_lshlrev_b32_e32 v15, 16, v12
	v_mov_b32_e32 v20, 0x3b800000
	v_lshlrev_b32_e32 v11, 20, v11
	v_and_b32_e32 v15, 0x80000000, v15
	v_lshl_add_u32 v14, v14, 23, v20
	v_or3_b32 v14, v15, v14, v11
.LBB56_1616:
	s_or_b64 exec, exec, s[6:7]
	s_nop 0
	v_mfma_f32_16x16x4f32 a[0:3], v10, v14, a[0:3]
	s_movk_i32 s4, 0xff
	v_and_b32_sdwa v11, v16, s4 dst_sel:DWORD dst_unused:UNUSED_PAD src0_sel:WORD_1 src1_sel:DWORD
	s_movk_i32 s4, 0x7f
	v_cmp_lt_i16_e32 vcc, s4, v11
	s_mov_b64 s[4:5], 0
                                        ; implicit-def: $sgpr10
	s_and_saveexec_b64 s[6:7], vcc
	s_xor_b64 s[6:7], exec, s[6:7]
	s_cbranch_execnz .LBB56_3665
; %bb.1617:
	s_or_saveexec_b64 s[6:7], s[6:7]
	v_mov_b32_e32 v10, s10
	s_xor_b64 exec, exec, s[6:7]
	s_cbranch_execnz .LBB56_3668
.LBB56_1618:
	s_or_b64 exec, exec, s[6:7]
	s_and_saveexec_b64 s[6:7], s[4:5]
	s_cbranch_execz .LBB56_1620
.LBB56_1619:
	v_bfe_u32 v10, v16, 16, 3
	v_ffbh_u32_e32 v15, v10
	v_min_u32_e32 v15, 32, v15
	v_lshrrev_b32_e32 v11, 19, v16
	v_subrev_u32_e32 v20, 28, v15
	v_and_b32_e32 v11, 15, v11
	v_lshlrev_b32_sdwa v20, v20, v16 dst_sel:DWORD dst_unused:UNUSED_PAD src0_sel:DWORD src1_sel:WORD_1
	v_bfe_u32 v14, v16, 19, 4
	v_sub_u32_e32 v15, 29, v15
	v_and_b32_e32 v20, 7, v20
	v_cmp_eq_u16_e32 vcc, 0, v11
	v_cndmask_b32_e32 v10, v10, v20, vcc
	v_cndmask_b32_e32 v11, v14, v15, vcc
	v_lshlrev_b32_e32 v14, 8, v16
	v_mov_b32_e32 v15, 0x3b800000
	v_lshlrev_b32_e32 v10, 20, v10
	v_and_b32_e32 v14, 0x80000000, v14
	v_lshl_add_u32 v11, v11, 23, v15
	v_or3_b32 v10, v14, v11, v10
.LBB56_1620:
	s_or_b64 exec, exec, s[6:7]
	s_movk_i32 s4, 0xff
	v_and_b32_sdwa v11, v12, s4 dst_sel:DWORD dst_unused:UNUSED_PAD src0_sel:WORD_1 src1_sel:DWORD
	s_movk_i32 s4, 0x7f
	v_cmp_lt_i16_e32 vcc, s4, v11
	s_mov_b64 s[4:5], 0
                                        ; implicit-def: $sgpr10
	s_and_saveexec_b64 s[6:7], vcc
	s_xor_b64 s[6:7], exec, s[6:7]
	s_cbranch_execnz .LBB56_3669
; %bb.1621:
	s_or_saveexec_b64 s[6:7], s[6:7]
	v_mov_b32_e32 v14, s10
	s_xor_b64 exec, exec, s[6:7]
	s_cbranch_execnz .LBB56_3672
.LBB56_1622:
	s_or_b64 exec, exec, s[6:7]
	s_and_saveexec_b64 s[6:7], s[4:5]
	s_cbranch_execz .LBB56_1624
.LBB56_1623:
	v_bfe_u32 v11, v12, 16, 3
	v_ffbh_u32_e32 v20, v11
	v_min_u32_e32 v20, 32, v20
	v_lshrrev_b32_e32 v14, 19, v12
	v_subrev_u32_e32 v21, 28, v20
	v_and_b32_e32 v14, 15, v14
	v_lshlrev_b32_sdwa v21, v21, v12 dst_sel:DWORD dst_unused:UNUSED_PAD src0_sel:DWORD src1_sel:WORD_1
	v_bfe_u32 v15, v12, 19, 4
	v_sub_u32_e32 v20, 29, v20
	v_and_b32_e32 v21, 7, v21
	v_cmp_eq_u16_e32 vcc, 0, v14
	v_cndmask_b32_e32 v11, v11, v21, vcc
	v_cndmask_b32_e32 v14, v15, v20, vcc
	v_lshlrev_b32_e32 v15, 8, v12
	v_mov_b32_e32 v20, 0x3b800000
	v_lshlrev_b32_e32 v11, 20, v11
	v_and_b32_e32 v15, 0x80000000, v15
	v_lshl_add_u32 v14, v14, 23, v20
	v_or3_b32 v14, v15, v14, v11
.LBB56_1624:
	s_or_b64 exec, exec, s[6:7]
	s_nop 0
	v_mfma_f32_16x16x4f32 a[0:3], v10, v14, a[0:3]
	s_movk_i32 s4, 0x7f
	v_cmp_gt_i16_sdwa s[6:7], v16, s4 src0_sel:BYTE_3 src1_sel:DWORD
	s_mov_b64 s[4:5], 0
                                        ; implicit-def: $sgpr10
	s_and_saveexec_b64 s[8:9], s[6:7]
	s_xor_b64 s[6:7], exec, s[8:9]
	s_cbranch_execnz .LBB56_3673
; %bb.1625:
	s_or_saveexec_b64 s[6:7], s[6:7]
	v_mov_b32_e32 v10, s10
	s_xor_b64 exec, exec, s[6:7]
	s_cbranch_execnz .LBB56_3676
.LBB56_1626:
	s_or_b64 exec, exec, s[6:7]
	s_and_saveexec_b64 s[6:7], s[4:5]
	s_cbranch_execz .LBB56_1628
.LBB56_1627:
	v_bfe_u32 v10, v16, 24, 3
	v_ffbh_u32_e32 v20, v10
	v_min_u32_e32 v20, 32, v20
	v_lshrrev_b32_e32 v14, 27, v16
	v_subrev_u32_e32 v21, 28, v20
	v_and_b32_e32 v11, 0x80000000, v16
	v_and_b32_e32 v14, 15, v14
	v_bfe_u32 v15, v16, 27, 4
	v_lshlrev_b32_sdwa v16, v21, v16 dst_sel:DWORD dst_unused:UNUSED_PAD src0_sel:DWORD src1_sel:BYTE_3
	v_sub_u32_e32 v20, 29, v20
	v_and_b32_e32 v16, 7, v16
	v_cmp_eq_u16_e32 vcc, 0, v14
	v_cndmask_b32_e32 v10, v10, v16, vcc
	v_cndmask_b32_e32 v14, v15, v20, vcc
	v_mov_b32_e32 v15, 0x3b800000
	v_lshlrev_b32_e32 v10, 20, v10
	v_lshl_add_u32 v14, v14, 23, v15
	v_or3_b32 v10, v11, v14, v10
.LBB56_1628:
	s_or_b64 exec, exec, s[6:7]
	s_movk_i32 s4, 0x7f
	v_cmp_gt_i16_sdwa s[6:7], v12, s4 src0_sel:BYTE_3 src1_sel:DWORD
	s_mov_b64 s[4:5], 0
                                        ; implicit-def: $sgpr10
	s_and_saveexec_b64 s[8:9], s[6:7]
	s_xor_b64 s[6:7], exec, s[8:9]
	s_cbranch_execnz .LBB56_3677
; %bb.1629:
	s_or_saveexec_b64 s[6:7], s[6:7]
	v_mov_b32_e32 v11, s10
	s_xor_b64 exec, exec, s[6:7]
	s_cbranch_execnz .LBB56_3680
.LBB56_1630:
	s_or_b64 exec, exec, s[6:7]
	s_and_saveexec_b64 s[6:7], s[4:5]
	s_cbranch_execz .LBB56_1632
.LBB56_1631:
	v_bfe_u32 v11, v12, 24, 3
	v_ffbh_u32_e32 v20, v11
	v_min_u32_e32 v20, 32, v20
	v_lshrrev_b32_e32 v15, 27, v12
	v_subrev_u32_e32 v21, 28, v20
	v_and_b32_e32 v14, 0x80000000, v12
	v_and_b32_e32 v15, 15, v15
	v_bfe_u32 v16, v12, 27, 4
	v_lshlrev_b32_sdwa v12, v21, v12 dst_sel:DWORD dst_unused:UNUSED_PAD src0_sel:DWORD src1_sel:BYTE_3
	v_sub_u32_e32 v20, 29, v20
	v_and_b32_e32 v12, 7, v12
	v_cmp_eq_u16_e32 vcc, 0, v15
	v_cndmask_b32_e32 v11, v11, v12, vcc
	v_cndmask_b32_e32 v12, v16, v20, vcc
	v_mov_b32_e32 v15, 0x3b800000
	v_lshlrev_b32_e32 v11, 20, v11
	v_lshl_add_u32 v12, v12, 23, v15
	v_or3_b32 v11, v14, v12, v11
.LBB56_1632:
	s_or_b64 exec, exec, s[6:7]
	s_nop 0
	v_mfma_f32_16x16x4f32 a[0:3], v10, v11, a[0:3]
	s_movk_i32 s4, 0x7f
	v_cmp_gt_i16_sdwa s[6:7], v17, s4 src0_sel:BYTE_0 src1_sel:DWORD
	s_mov_b64 s[4:5], 0
                                        ; implicit-def: $sgpr10
	s_and_saveexec_b64 s[8:9], s[6:7]
	s_xor_b64 s[6:7], exec, s[8:9]
	s_cbranch_execnz .LBB56_3681
; %bb.1633:
	s_or_saveexec_b64 s[6:7], s[6:7]
	v_mov_b32_e32 v10, s10
	s_xor_b64 exec, exec, s[6:7]
	s_cbranch_execnz .LBB56_3684
.LBB56_1634:
	s_or_b64 exec, exec, s[6:7]
	s_and_saveexec_b64 s[6:7], s[4:5]
	s_cbranch_execz .LBB56_1636
.LBB56_1635:
	v_and_b32_e32 v10, 7, v17
	v_ffbh_u32_e32 v12, v10
	v_min_u32_e32 v12, 32, v12
	v_lshrrev_b16_e32 v11, 3, v17
	v_subrev_u32_e32 v14, 28, v12
	v_and_b32_e32 v11, 15, v11
	v_lshlrev_b32_e32 v14, v14, v17
	v_sub_u32_e32 v12, 29, v12
	v_and_b32_e32 v14, 7, v14
	v_cmp_eq_u16_e32 vcc, 0, v11
	v_cndmask_b32_e32 v10, v10, v14, vcc
	v_cndmask_b32_e32 v11, v11, v12, vcc
	v_lshlrev_b32_e32 v12, 24, v17
	v_mov_b32_e32 v14, 0x3b800000
	v_lshlrev_b32_e32 v10, 20, v10
	v_and_b32_e32 v12, 0x80000000, v12
	v_lshl_add_u32 v11, v11, 23, v14
	v_or3_b32 v10, v12, v11, v10
.LBB56_1636:
	s_or_b64 exec, exec, s[6:7]
	s_movk_i32 s4, 0x7f
	v_cmp_gt_i16_sdwa s[6:7], v13, s4 src0_sel:BYTE_0 src1_sel:DWORD
	s_mov_b64 s[4:5], 0
                                        ; implicit-def: $sgpr10
	s_and_saveexec_b64 s[8:9], s[6:7]
	s_xor_b64 s[6:7], exec, s[8:9]
	s_cbranch_execnz .LBB56_3685
; %bb.1637:
	s_or_saveexec_b64 s[6:7], s[6:7]
	v_mov_b32_e32 v11, s10
	s_xor_b64 exec, exec, s[6:7]
	s_cbranch_execnz .LBB56_3688
.LBB56_1638:
	s_or_b64 exec, exec, s[6:7]
	s_and_saveexec_b64 s[6:7], s[4:5]
	s_cbranch_execz .LBB56_1640
.LBB56_1639:
	v_and_b32_e32 v11, 7, v13
	v_ffbh_u32_e32 v14, v11
	v_min_u32_e32 v14, 32, v14
	v_lshrrev_b16_e32 v12, 3, v13
	v_subrev_u32_e32 v15, 28, v14
	v_and_b32_e32 v12, 15, v12
	v_lshlrev_b32_e32 v15, v15, v13
	v_sub_u32_e32 v14, 29, v14
	v_and_b32_e32 v15, 7, v15
	v_cmp_eq_u16_e32 vcc, 0, v12
	v_cndmask_b32_e32 v11, v11, v15, vcc
	v_cndmask_b32_e32 v12, v12, v14, vcc
	v_lshlrev_b32_e32 v14, 24, v13
	v_mov_b32_e32 v15, 0x3b800000
	v_lshlrev_b32_e32 v11, 20, v11
	v_and_b32_e32 v14, 0x80000000, v14
	v_lshl_add_u32 v12, v12, 23, v15
	v_or3_b32 v11, v14, v12, v11
.LBB56_1640:
	s_or_b64 exec, exec, s[6:7]
	s_nop 0
	v_mfma_f32_16x16x4f32 a[0:3], v10, v11, a[0:3]
	v_lshrrev_b32_e32 v11, 8, v17
	s_movk_i32 s4, 0x7f
	v_cmp_gt_i16_sdwa s[6:7], v11, s4 src0_sel:BYTE_0 src1_sel:DWORD
	s_mov_b64 s[4:5], 0
                                        ; implicit-def: $sgpr10
	s_and_saveexec_b64 s[8:9], s[6:7]
	s_xor_b64 s[6:7], exec, s[8:9]
	s_cbranch_execnz .LBB56_3689
; %bb.1641:
	s_or_saveexec_b64 s[6:7], s[6:7]
	v_mov_b32_e32 v10, s10
	s_xor_b64 exec, exec, s[6:7]
	s_cbranch_execnz .LBB56_3692
.LBB56_1642:
	s_or_b64 exec, exec, s[6:7]
	s_and_saveexec_b64 s[6:7], s[4:5]
	s_cbranch_execz .LBB56_1644
.LBB56_1643:
	v_bfe_u32 v10, v17, 8, 3
	v_ffbh_u32_e32 v14, v10
	v_min_u32_e32 v14, 32, v14
	v_lshrrev_b16_e32 v12, 3, v11
	v_subrev_u32_e32 v15, 28, v14
	v_and_b32_e32 v12, 15, v12
	v_lshlrev_b32_e32 v11, v15, v11
	v_sub_u32_e32 v14, 29, v14
	v_and_b32_e32 v11, 7, v11
	v_cmp_eq_u16_e32 vcc, 0, v12
	v_cndmask_b32_e32 v10, v10, v11, vcc
	v_cndmask_b32_e32 v11, v12, v14, vcc
	v_lshlrev_b32_e32 v12, 16, v17
	v_mov_b32_e32 v14, 0x3b800000
	v_lshlrev_b32_e32 v10, 20, v10
	v_and_b32_e32 v12, 0x80000000, v12
	v_lshl_add_u32 v11, v11, 23, v14
	v_or3_b32 v10, v12, v11, v10
.LBB56_1644:
	s_or_b64 exec, exec, s[6:7]
	v_lshrrev_b32_e32 v11, 8, v13
	s_movk_i32 s4, 0x7f
	v_cmp_gt_i16_sdwa s[6:7], v11, s4 src0_sel:BYTE_0 src1_sel:DWORD
	s_mov_b64 s[4:5], 0
                                        ; implicit-def: $sgpr10
	s_and_saveexec_b64 s[8:9], s[6:7]
	s_xor_b64 s[6:7], exec, s[8:9]
	s_cbranch_execnz .LBB56_3693
; %bb.1645:
	s_or_saveexec_b64 s[6:7], s[6:7]
	v_mov_b32_e32 v12, s10
	s_xor_b64 exec, exec, s[6:7]
	s_cbranch_execnz .LBB56_3696
.LBB56_1646:
	s_or_b64 exec, exec, s[6:7]
	s_and_saveexec_b64 s[6:7], s[4:5]
	s_cbranch_execz .LBB56_1648
.LBB56_1647:
	v_bfe_u32 v12, v13, 8, 3
	v_ffbh_u32_e32 v15, v12
	v_min_u32_e32 v15, 32, v15
	v_lshrrev_b16_e32 v14, 3, v11
	v_subrev_u32_e32 v16, 28, v15
	v_and_b32_e32 v14, 15, v14
	v_lshlrev_b32_e32 v11, v16, v11
	v_sub_u32_e32 v15, 29, v15
	v_and_b32_e32 v11, 7, v11
	v_cmp_eq_u16_e32 vcc, 0, v14
	v_cndmask_b32_e32 v11, v12, v11, vcc
	v_cndmask_b32_e32 v12, v14, v15, vcc
	v_lshlrev_b32_e32 v14, 16, v13
	v_mov_b32_e32 v15, 0x3b800000
	v_lshlrev_b32_e32 v11, 20, v11
	v_and_b32_e32 v14, 0x80000000, v14
	v_lshl_add_u32 v12, v12, 23, v15
	v_or3_b32 v12, v14, v12, v11
.LBB56_1648:
	s_or_b64 exec, exec, s[6:7]
	s_nop 0
	v_mfma_f32_16x16x4f32 a[0:3], v10, v12, a[0:3]
	s_movk_i32 s4, 0xff
	v_and_b32_sdwa v11, v17, s4 dst_sel:DWORD dst_unused:UNUSED_PAD src0_sel:WORD_1 src1_sel:DWORD
	s_movk_i32 s4, 0x7f
	v_cmp_lt_i16_e32 vcc, s4, v11
	s_mov_b64 s[4:5], 0
                                        ; implicit-def: $sgpr10
	s_and_saveexec_b64 s[6:7], vcc
	s_xor_b64 s[6:7], exec, s[6:7]
	s_cbranch_execnz .LBB56_3697
; %bb.1649:
	s_or_saveexec_b64 s[6:7], s[6:7]
	v_mov_b32_e32 v10, s10
	s_xor_b64 exec, exec, s[6:7]
	s_cbranch_execnz .LBB56_3700
.LBB56_1650:
	s_or_b64 exec, exec, s[6:7]
	s_and_saveexec_b64 s[6:7], s[4:5]
	s_cbranch_execz .LBB56_1652
.LBB56_1651:
	v_bfe_u32 v10, v17, 16, 3
	v_ffbh_u32_e32 v14, v10
	v_min_u32_e32 v14, 32, v14
	v_lshrrev_b32_e32 v11, 19, v17
	v_subrev_u32_e32 v15, 28, v14
	v_and_b32_e32 v11, 15, v11
	v_lshlrev_b32_sdwa v15, v15, v17 dst_sel:DWORD dst_unused:UNUSED_PAD src0_sel:DWORD src1_sel:WORD_1
	v_bfe_u32 v12, v17, 19, 4
	v_sub_u32_e32 v14, 29, v14
	v_and_b32_e32 v15, 7, v15
	v_cmp_eq_u16_e32 vcc, 0, v11
	v_cndmask_b32_e32 v10, v10, v15, vcc
	v_cndmask_b32_e32 v11, v12, v14, vcc
	v_lshlrev_b32_e32 v12, 8, v17
	v_mov_b32_e32 v14, 0x3b800000
	v_lshlrev_b32_e32 v10, 20, v10
	v_and_b32_e32 v12, 0x80000000, v12
	v_lshl_add_u32 v11, v11, 23, v14
	v_or3_b32 v10, v12, v11, v10
.LBB56_1652:
	s_or_b64 exec, exec, s[6:7]
	s_movk_i32 s4, 0xff
	v_and_b32_sdwa v11, v13, s4 dst_sel:DWORD dst_unused:UNUSED_PAD src0_sel:WORD_1 src1_sel:DWORD
	s_movk_i32 s4, 0x7f
	v_cmp_lt_i16_e32 vcc, s4, v11
	s_mov_b64 s[4:5], 0
                                        ; implicit-def: $sgpr10
	s_and_saveexec_b64 s[6:7], vcc
	s_xor_b64 s[6:7], exec, s[6:7]
	s_cbranch_execnz .LBB56_3701
; %bb.1653:
	s_or_saveexec_b64 s[6:7], s[6:7]
	v_mov_b32_e32 v12, s10
	s_xor_b64 exec, exec, s[6:7]
	s_cbranch_execnz .LBB56_3704
.LBB56_1654:
	s_or_b64 exec, exec, s[6:7]
	s_and_saveexec_b64 s[6:7], s[4:5]
	s_cbranch_execz .LBB56_1656
.LBB56_1655:
	v_bfe_u32 v11, v13, 16, 3
	v_ffbh_u32_e32 v15, v11
	v_min_u32_e32 v15, 32, v15
	v_lshrrev_b32_e32 v12, 19, v13
	v_subrev_u32_e32 v16, 28, v15
	v_and_b32_e32 v12, 15, v12
	v_lshlrev_b32_sdwa v16, v16, v13 dst_sel:DWORD dst_unused:UNUSED_PAD src0_sel:DWORD src1_sel:WORD_1
	v_bfe_u32 v14, v13, 19, 4
	v_sub_u32_e32 v15, 29, v15
	v_and_b32_e32 v16, 7, v16
	v_cmp_eq_u16_e32 vcc, 0, v12
	v_cndmask_b32_e32 v11, v11, v16, vcc
	v_cndmask_b32_e32 v12, v14, v15, vcc
	v_lshlrev_b32_e32 v14, 8, v13
	v_mov_b32_e32 v15, 0x3b800000
	v_lshlrev_b32_e32 v11, 20, v11
	v_and_b32_e32 v14, 0x80000000, v14
	v_lshl_add_u32 v12, v12, 23, v15
	v_or3_b32 v12, v14, v12, v11
.LBB56_1656:
	s_or_b64 exec, exec, s[6:7]
	s_nop 0
	v_mfma_f32_16x16x4f32 a[0:3], v10, v12, a[0:3]
	s_movk_i32 s4, 0x7f
	v_cmp_gt_i16_sdwa s[6:7], v17, s4 src0_sel:BYTE_3 src1_sel:DWORD
	s_mov_b64 s[4:5], 0
                                        ; implicit-def: $sgpr10
	s_and_saveexec_b64 s[8:9], s[6:7]
	s_xor_b64 s[6:7], exec, s[8:9]
	s_cbranch_execnz .LBB56_3705
; %bb.1657:
	s_or_saveexec_b64 s[6:7], s[6:7]
	v_mov_b32_e32 v10, s10
	s_xor_b64 exec, exec, s[6:7]
	s_cbranch_execnz .LBB56_3708
.LBB56_1658:
	s_or_b64 exec, exec, s[6:7]
	s_and_saveexec_b64 s[6:7], s[4:5]
	s_cbranch_execz .LBB56_1660
.LBB56_1659:
	v_bfe_u32 v10, v17, 24, 3
	v_ffbh_u32_e32 v15, v10
	v_min_u32_e32 v15, 32, v15
	v_lshrrev_b32_e32 v12, 27, v17
	v_subrev_u32_e32 v16, 28, v15
	v_and_b32_e32 v12, 15, v12
	v_lshlrev_b32_sdwa v16, v16, v17 dst_sel:DWORD dst_unused:UNUSED_PAD src0_sel:DWORD src1_sel:BYTE_3
	v_bfe_u32 v14, v17, 27, 4
	v_sub_u32_e32 v15, 29, v15
	v_and_b32_e32 v16, 7, v16
	v_cmp_eq_u16_e32 vcc, 0, v12
	v_cndmask_b32_e32 v10, v10, v16, vcc
	v_cndmask_b32_e32 v12, v14, v15, vcc
	v_mov_b32_e32 v14, 0x3b800000
	v_and_b32_e32 v11, 0x80000000, v17
	v_lshlrev_b32_e32 v10, 20, v10
	v_lshl_add_u32 v12, v12, 23, v14
	v_or3_b32 v10, v11, v12, v10
.LBB56_1660:
	s_or_b64 exec, exec, s[6:7]
	s_movk_i32 s4, 0x7f
	v_cmp_gt_i16_sdwa s[6:7], v13, s4 src0_sel:BYTE_3 src1_sel:DWORD
	s_mov_b64 s[4:5], 0
                                        ; implicit-def: $sgpr10
	s_and_saveexec_b64 s[8:9], s[6:7]
	s_xor_b64 s[6:7], exec, s[8:9]
	s_cbranch_execnz .LBB56_3709
; %bb.1661:
	s_or_saveexec_b64 s[6:7], s[6:7]
	v_mov_b32_e32 v11, s10
	s_xor_b64 exec, exec, s[6:7]
	s_cbranch_execnz .LBB56_3712
.LBB56_1662:
	s_or_b64 exec, exec, s[6:7]
	s_and_saveexec_b64 s[6:7], s[4:5]
	s_cbranch_execz .LBB56_1664
.LBB56_1663:
	v_bfe_u32 v11, v13, 24, 3
	v_ffbh_u32_e32 v16, v11
	v_min_u32_e32 v16, 32, v16
	v_lshrrev_b32_e32 v14, 27, v13
	v_subrev_u32_e32 v17, 28, v16
	v_and_b32_e32 v12, 0x80000000, v13
	v_and_b32_e32 v14, 15, v14
	v_bfe_u32 v15, v13, 27, 4
	v_lshlrev_b32_sdwa v13, v17, v13 dst_sel:DWORD dst_unused:UNUSED_PAD src0_sel:DWORD src1_sel:BYTE_3
	v_sub_u32_e32 v16, 29, v16
	v_and_b32_e32 v13, 7, v13
	v_cmp_eq_u16_e32 vcc, 0, v14
	v_cndmask_b32_e32 v11, v11, v13, vcc
	v_cndmask_b32_e32 v13, v15, v16, vcc
	v_mov_b32_e32 v14, 0x3b800000
	v_lshlrev_b32_e32 v11, 20, v11
	v_lshl_add_u32 v13, v13, 23, v14
	v_or3_b32 v11, v12, v13, v11
.LBB56_1664:
	s_or_b64 exec, exec, s[6:7]
	s_nop 0
	v_mfma_f32_16x16x4f32 a[0:3], v10, v11, a[0:3]
	s_movk_i32 s4, 0x7f
	v_cmp_gt_i16_sdwa s[6:7], v6, s4 src0_sel:BYTE_0 src1_sel:DWORD
	s_mov_b64 s[4:5], 0
                                        ; implicit-def: $sgpr10
	s_and_saveexec_b64 s[8:9], s[6:7]
	s_xor_b64 s[6:7], exec, s[8:9]
	s_cbranch_execnz .LBB56_3713
; %bb.1665:
	s_or_saveexec_b64 s[6:7], s[6:7]
	v_mov_b32_e32 v10, s10
	s_xor_b64 exec, exec, s[6:7]
	s_cbranch_execnz .LBB56_3716
.LBB56_1666:
	s_or_b64 exec, exec, s[6:7]
	s_and_saveexec_b64 s[6:7], s[4:5]
	s_cbranch_execz .LBB56_1668
.LBB56_1667:
	v_and_b32_e32 v10, 7, v6
	v_ffbh_u32_e32 v12, v10
	v_min_u32_e32 v12, 32, v12
	v_lshrrev_b16_e32 v11, 3, v6
	v_subrev_u32_e32 v13, 28, v12
	v_and_b32_e32 v11, 15, v11
	v_lshlrev_b32_e32 v13, v13, v6
	v_sub_u32_e32 v12, 29, v12
	v_and_b32_e32 v13, 7, v13
	v_cmp_eq_u16_e32 vcc, 0, v11
	v_cndmask_b32_e32 v10, v10, v13, vcc
	v_cndmask_b32_e32 v11, v11, v12, vcc
	v_lshlrev_b32_e32 v12, 24, v6
	v_mov_b32_e32 v13, 0x3b800000
	v_lshlrev_b32_e32 v10, 20, v10
	v_and_b32_e32 v12, 0x80000000, v12
	v_lshl_add_u32 v11, v11, 23, v13
	v_or3_b32 v10, v12, v11, v10
.LBB56_1668:
	s_or_b64 exec, exec, s[6:7]
	s_movk_i32 s4, 0x7f
	v_cmp_gt_i16_sdwa s[6:7], v2, s4 src0_sel:BYTE_0 src1_sel:DWORD
	s_mov_b64 s[4:5], 0
                                        ; implicit-def: $sgpr10
	s_and_saveexec_b64 s[8:9], s[6:7]
	s_xor_b64 s[6:7], exec, s[8:9]
	s_cbranch_execnz .LBB56_3717
; %bb.1669:
	s_or_saveexec_b64 s[6:7], s[6:7]
	v_mov_b32_e32 v11, s10
	s_xor_b64 exec, exec, s[6:7]
	s_cbranch_execnz .LBB56_3720
.LBB56_1670:
	s_or_b64 exec, exec, s[6:7]
	s_and_saveexec_b64 s[6:7], s[4:5]
	s_cbranch_execz .LBB56_1672
.LBB56_1671:
	v_and_b32_e32 v11, 7, v2
	v_ffbh_u32_e32 v13, v11
	v_min_u32_e32 v13, 32, v13
	v_lshrrev_b16_e32 v12, 3, v2
	v_subrev_u32_e32 v14, 28, v13
	v_and_b32_e32 v12, 15, v12
	v_lshlrev_b32_e32 v14, v14, v2
	v_sub_u32_e32 v13, 29, v13
	v_and_b32_e32 v14, 7, v14
	v_cmp_eq_u16_e32 vcc, 0, v12
	v_cndmask_b32_e32 v11, v11, v14, vcc
	v_cndmask_b32_e32 v12, v12, v13, vcc
	v_lshlrev_b32_e32 v13, 24, v2
	v_mov_b32_e32 v14, 0x3b800000
	v_lshlrev_b32_e32 v11, 20, v11
	v_and_b32_e32 v13, 0x80000000, v13
	v_lshl_add_u32 v12, v12, 23, v14
	v_or3_b32 v11, v13, v12, v11
.LBB56_1672:
	s_or_b64 exec, exec, s[6:7]
	s_nop 0
	v_mfma_f32_16x16x4f32 a[0:3], v10, v11, a[0:3]
	v_lshrrev_b32_e32 v11, 8, v6
	s_movk_i32 s4, 0x7f
	v_cmp_gt_i16_sdwa s[6:7], v11, s4 src0_sel:BYTE_0 src1_sel:DWORD
	s_mov_b64 s[4:5], 0
                                        ; implicit-def: $sgpr10
	s_and_saveexec_b64 s[8:9], s[6:7]
	s_xor_b64 s[6:7], exec, s[8:9]
	s_cbranch_execnz .LBB56_3721
; %bb.1673:
	s_or_saveexec_b64 s[6:7], s[6:7]
	v_mov_b32_e32 v10, s10
	s_xor_b64 exec, exec, s[6:7]
	s_cbranch_execnz .LBB56_3724
.LBB56_1674:
	s_or_b64 exec, exec, s[6:7]
	s_and_saveexec_b64 s[6:7], s[4:5]
	s_cbranch_execz .LBB56_1676
.LBB56_1675:
	v_bfe_u32 v10, v6, 8, 3
	v_ffbh_u32_e32 v13, v10
	v_min_u32_e32 v13, 32, v13
	v_lshrrev_b16_e32 v12, 3, v11
	v_subrev_u32_e32 v14, 28, v13
	v_and_b32_e32 v12, 15, v12
	v_lshlrev_b32_e32 v11, v14, v11
	v_sub_u32_e32 v13, 29, v13
	v_and_b32_e32 v11, 7, v11
	v_cmp_eq_u16_e32 vcc, 0, v12
	v_cndmask_b32_e32 v10, v10, v11, vcc
	v_cndmask_b32_e32 v11, v12, v13, vcc
	v_lshlrev_b32_e32 v12, 16, v6
	v_mov_b32_e32 v13, 0x3b800000
	v_lshlrev_b32_e32 v10, 20, v10
	v_and_b32_e32 v12, 0x80000000, v12
	v_lshl_add_u32 v11, v11, 23, v13
	v_or3_b32 v10, v12, v11, v10
.LBB56_1676:
	s_or_b64 exec, exec, s[6:7]
	v_lshrrev_b32_e32 v11, 8, v2
	s_movk_i32 s4, 0x7f
	v_cmp_gt_i16_sdwa s[6:7], v11, s4 src0_sel:BYTE_0 src1_sel:DWORD
	s_mov_b64 s[4:5], 0
                                        ; implicit-def: $sgpr10
	s_and_saveexec_b64 s[8:9], s[6:7]
	s_xor_b64 s[6:7], exec, s[8:9]
	s_cbranch_execnz .LBB56_3725
; %bb.1677:
	s_or_saveexec_b64 s[6:7], s[6:7]
	v_mov_b32_e32 v12, s10
	s_xor_b64 exec, exec, s[6:7]
	s_cbranch_execnz .LBB56_3728
.LBB56_1678:
	s_or_b64 exec, exec, s[6:7]
	s_and_saveexec_b64 s[6:7], s[4:5]
	s_cbranch_execz .LBB56_1680
.LBB56_1679:
	v_bfe_u32 v12, v2, 8, 3
	v_ffbh_u32_e32 v14, v12
	v_min_u32_e32 v14, 32, v14
	v_lshrrev_b16_e32 v13, 3, v11
	v_subrev_u32_e32 v15, 28, v14
	v_and_b32_e32 v13, 15, v13
	v_lshlrev_b32_e32 v11, v15, v11
	v_sub_u32_e32 v14, 29, v14
	v_and_b32_e32 v11, 7, v11
	v_cmp_eq_u16_e32 vcc, 0, v13
	v_cndmask_b32_e32 v11, v12, v11, vcc
	v_cndmask_b32_e32 v12, v13, v14, vcc
	v_lshlrev_b32_e32 v13, 16, v2
	v_mov_b32_e32 v14, 0x3b800000
	v_lshlrev_b32_e32 v11, 20, v11
	v_and_b32_e32 v13, 0x80000000, v13
	v_lshl_add_u32 v12, v12, 23, v14
	v_or3_b32 v12, v13, v12, v11
.LBB56_1680:
	s_or_b64 exec, exec, s[6:7]
	s_nop 0
	v_mfma_f32_16x16x4f32 a[0:3], v10, v12, a[0:3]
	s_movk_i32 s4, 0xff
	v_and_b32_sdwa v11, v6, s4 dst_sel:DWORD dst_unused:UNUSED_PAD src0_sel:WORD_1 src1_sel:DWORD
	s_movk_i32 s4, 0x7f
	v_cmp_lt_i16_e32 vcc, s4, v11
	s_mov_b64 s[4:5], 0
                                        ; implicit-def: $sgpr10
	s_and_saveexec_b64 s[6:7], vcc
	s_xor_b64 s[6:7], exec, s[6:7]
	s_cbranch_execnz .LBB56_3729
; %bb.1681:
	s_or_saveexec_b64 s[6:7], s[6:7]
	v_mov_b32_e32 v10, s10
	s_xor_b64 exec, exec, s[6:7]
	s_cbranch_execnz .LBB56_3732
.LBB56_1682:
	s_or_b64 exec, exec, s[6:7]
	s_and_saveexec_b64 s[6:7], s[4:5]
	s_cbranch_execz .LBB56_1684
.LBB56_1683:
	v_bfe_u32 v10, v6, 16, 3
	v_ffbh_u32_e32 v13, v10
	v_min_u32_e32 v13, 32, v13
	v_lshrrev_b32_e32 v11, 19, v6
	v_subrev_u32_e32 v14, 28, v13
	v_and_b32_e32 v11, 15, v11
	v_lshlrev_b32_sdwa v14, v14, v6 dst_sel:DWORD dst_unused:UNUSED_PAD src0_sel:DWORD src1_sel:WORD_1
	v_bfe_u32 v12, v6, 19, 4
	v_sub_u32_e32 v13, 29, v13
	v_and_b32_e32 v14, 7, v14
	v_cmp_eq_u16_e32 vcc, 0, v11
	v_cndmask_b32_e32 v10, v10, v14, vcc
	v_cndmask_b32_e32 v11, v12, v13, vcc
	v_lshlrev_b32_e32 v12, 8, v6
	v_mov_b32_e32 v13, 0x3b800000
	v_lshlrev_b32_e32 v10, 20, v10
	v_and_b32_e32 v12, 0x80000000, v12
	v_lshl_add_u32 v11, v11, 23, v13
	v_or3_b32 v10, v12, v11, v10
.LBB56_1684:
	s_or_b64 exec, exec, s[6:7]
	s_movk_i32 s4, 0xff
	v_and_b32_sdwa v11, v2, s4 dst_sel:DWORD dst_unused:UNUSED_PAD src0_sel:WORD_1 src1_sel:DWORD
	s_movk_i32 s4, 0x7f
	v_cmp_lt_i16_e32 vcc, s4, v11
	s_mov_b64 s[4:5], 0
                                        ; implicit-def: $sgpr10
	s_and_saveexec_b64 s[6:7], vcc
	s_xor_b64 s[6:7], exec, s[6:7]
	s_cbranch_execnz .LBB56_3733
; %bb.1685:
	s_or_saveexec_b64 s[6:7], s[6:7]
	v_mov_b32_e32 v12, s10
	s_xor_b64 exec, exec, s[6:7]
	s_cbranch_execnz .LBB56_3736
.LBB56_1686:
	s_or_b64 exec, exec, s[6:7]
	s_and_saveexec_b64 s[6:7], s[4:5]
	s_cbranch_execz .LBB56_1688
.LBB56_1687:
	v_bfe_u32 v11, v2, 16, 3
	v_ffbh_u32_e32 v14, v11
	v_min_u32_e32 v14, 32, v14
	v_lshrrev_b32_e32 v12, 19, v2
	v_subrev_u32_e32 v15, 28, v14
	v_and_b32_e32 v12, 15, v12
	v_lshlrev_b32_sdwa v15, v15, v2 dst_sel:DWORD dst_unused:UNUSED_PAD src0_sel:DWORD src1_sel:WORD_1
	v_bfe_u32 v13, v2, 19, 4
	v_sub_u32_e32 v14, 29, v14
	v_and_b32_e32 v15, 7, v15
	v_cmp_eq_u16_e32 vcc, 0, v12
	v_cndmask_b32_e32 v11, v11, v15, vcc
	v_cndmask_b32_e32 v12, v13, v14, vcc
	v_lshlrev_b32_e32 v13, 8, v2
	v_mov_b32_e32 v14, 0x3b800000
	v_lshlrev_b32_e32 v11, 20, v11
	v_and_b32_e32 v13, 0x80000000, v13
	v_lshl_add_u32 v12, v12, 23, v14
	v_or3_b32 v12, v13, v12, v11
.LBB56_1688:
	s_or_b64 exec, exec, s[6:7]
	s_nop 0
	v_mfma_f32_16x16x4f32 a[0:3], v10, v12, a[0:3]
	s_movk_i32 s4, 0x7f
	v_cmp_gt_i16_sdwa s[6:7], v6, s4 src0_sel:BYTE_3 src1_sel:DWORD
	s_mov_b64 s[4:5], 0
                                        ; implicit-def: $sgpr10
	s_and_saveexec_b64 s[8:9], s[6:7]
	s_xor_b64 s[6:7], exec, s[8:9]
	s_cbranch_execnz .LBB56_3737
; %bb.1689:
	s_or_saveexec_b64 s[6:7], s[6:7]
	v_mov_b32_e32 v10, s10
	s_xor_b64 exec, exec, s[6:7]
	s_cbranch_execnz .LBB56_3740
.LBB56_1690:
	s_or_b64 exec, exec, s[6:7]
	s_and_saveexec_b64 s[6:7], s[4:5]
	s_cbranch_execz .LBB56_1692
.LBB56_1691:
	v_bfe_u32 v10, v6, 24, 3
	v_ffbh_u32_e32 v14, v10
	v_min_u32_e32 v14, 32, v14
	v_lshrrev_b32_e32 v12, 27, v6
	v_subrev_u32_e32 v15, 28, v14
	v_and_b32_e32 v11, 0x80000000, v6
	v_and_b32_e32 v12, 15, v12
	v_bfe_u32 v13, v6, 27, 4
	v_lshlrev_b32_sdwa v6, v15, v6 dst_sel:DWORD dst_unused:UNUSED_PAD src0_sel:DWORD src1_sel:BYTE_3
	v_sub_u32_e32 v14, 29, v14
	v_and_b32_e32 v6, 7, v6
	v_cmp_eq_u16_e32 vcc, 0, v12
	v_cndmask_b32_e32 v6, v10, v6, vcc
	v_cndmask_b32_e32 v10, v13, v14, vcc
	v_mov_b32_e32 v12, 0x3b800000
	v_lshlrev_b32_e32 v6, 20, v6
	v_lshl_add_u32 v10, v10, 23, v12
	v_or3_b32 v10, v11, v10, v6
.LBB56_1692:
	s_or_b64 exec, exec, s[6:7]
	s_movk_i32 s4, 0x7f
	v_cmp_gt_i16_sdwa s[6:7], v2, s4 src0_sel:BYTE_3 src1_sel:DWORD
	s_mov_b64 s[4:5], 0
                                        ; implicit-def: $sgpr10
	s_and_saveexec_b64 s[8:9], s[6:7]
	s_xor_b64 s[6:7], exec, s[8:9]
	s_cbranch_execnz .LBB56_3741
; %bb.1693:
	s_or_saveexec_b64 s[6:7], s[6:7]
	v_mov_b32_e32 v6, s10
	s_xor_b64 exec, exec, s[6:7]
	s_cbranch_execnz .LBB56_3744
.LBB56_1694:
	s_or_b64 exec, exec, s[6:7]
	s_and_saveexec_b64 s[6:7], s[4:5]
	s_cbranch_execz .LBB56_1696
.LBB56_1695:
	v_bfe_u32 v6, v2, 24, 3
	v_ffbh_u32_e32 v14, v6
	v_min_u32_e32 v14, 32, v14
	v_lshrrev_b32_e32 v12, 27, v2
	v_subrev_u32_e32 v15, 28, v14
	v_and_b32_e32 v11, 0x80000000, v2
	v_and_b32_e32 v12, 15, v12
	v_bfe_u32 v13, v2, 27, 4
	v_lshlrev_b32_sdwa v2, v15, v2 dst_sel:DWORD dst_unused:UNUSED_PAD src0_sel:DWORD src1_sel:BYTE_3
	v_sub_u32_e32 v14, 29, v14
	v_and_b32_e32 v2, 7, v2
	v_cmp_eq_u16_e32 vcc, 0, v12
	v_cndmask_b32_e32 v2, v6, v2, vcc
	v_cndmask_b32_e32 v6, v13, v14, vcc
	v_mov_b32_e32 v12, 0x3b800000
	v_lshlrev_b32_e32 v2, 20, v2
	v_lshl_add_u32 v6, v6, 23, v12
	v_or3_b32 v6, v11, v6, v2
.LBB56_1696:
	s_or_b64 exec, exec, s[6:7]
	s_nop 0
	v_mfma_f32_16x16x4f32 a[0:3], v10, v6, a[0:3]
	s_movk_i32 s4, 0x7f
	v_cmp_gt_i16_sdwa s[6:7], v7, s4 src0_sel:BYTE_0 src1_sel:DWORD
	s_mov_b64 s[4:5], 0
                                        ; implicit-def: $sgpr10
	s_and_saveexec_b64 s[8:9], s[6:7]
	s_xor_b64 s[6:7], exec, s[8:9]
	s_cbranch_execnz .LBB56_3745
; %bb.1697:
	s_or_saveexec_b64 s[6:7], s[6:7]
	v_mov_b32_e32 v2, s10
	s_xor_b64 exec, exec, s[6:7]
	s_cbranch_execnz .LBB56_3748
.LBB56_1698:
	s_or_b64 exec, exec, s[6:7]
	s_and_saveexec_b64 s[6:7], s[4:5]
	s_cbranch_execz .LBB56_1700
.LBB56_1699:
	v_and_b32_e32 v2, 7, v7
	v_ffbh_u32_e32 v10, v2
	v_min_u32_e32 v10, 32, v10
	v_lshrrev_b16_e32 v6, 3, v7
	v_subrev_u32_e32 v11, 28, v10
	v_and_b32_e32 v6, 15, v6
	v_lshlrev_b32_e32 v11, v11, v7
	v_sub_u32_e32 v10, 29, v10
	v_and_b32_e32 v11, 7, v11
	v_cmp_eq_u16_e32 vcc, 0, v6
	v_cndmask_b32_e32 v2, v2, v11, vcc
	v_cndmask_b32_e32 v6, v6, v10, vcc
	v_lshlrev_b32_e32 v10, 24, v7
	v_mov_b32_e32 v11, 0x3b800000
	v_lshlrev_b32_e32 v2, 20, v2
	v_and_b32_e32 v10, 0x80000000, v10
	v_lshl_add_u32 v6, v6, 23, v11
	v_or3_b32 v2, v10, v6, v2
.LBB56_1700:
	s_or_b64 exec, exec, s[6:7]
	s_movk_i32 s4, 0x7f
	v_cmp_gt_i16_sdwa s[6:7], v3, s4 src0_sel:BYTE_0 src1_sel:DWORD
	s_mov_b64 s[4:5], 0
                                        ; implicit-def: $sgpr10
	s_and_saveexec_b64 s[8:9], s[6:7]
	s_xor_b64 s[6:7], exec, s[8:9]
	s_cbranch_execnz .LBB56_3749
; %bb.1701:
	s_or_saveexec_b64 s[6:7], s[6:7]
	v_mov_b32_e32 v6, s10
	s_xor_b64 exec, exec, s[6:7]
	s_cbranch_execnz .LBB56_3752
.LBB56_1702:
	s_or_b64 exec, exec, s[6:7]
	s_and_saveexec_b64 s[6:7], s[4:5]
	s_cbranch_execz .LBB56_1704
.LBB56_1703:
	v_and_b32_e32 v6, 7, v3
	v_ffbh_u32_e32 v11, v6
	v_min_u32_e32 v11, 32, v11
	v_lshrrev_b16_e32 v10, 3, v3
	v_subrev_u32_e32 v12, 28, v11
	v_and_b32_e32 v10, 15, v10
	v_lshlrev_b32_e32 v12, v12, v3
	v_sub_u32_e32 v11, 29, v11
	v_and_b32_e32 v12, 7, v12
	v_cmp_eq_u16_e32 vcc, 0, v10
	v_cndmask_b32_e32 v6, v6, v12, vcc
	v_cndmask_b32_e32 v10, v10, v11, vcc
	v_lshlrev_b32_e32 v11, 24, v3
	v_mov_b32_e32 v12, 0x3b800000
	v_lshlrev_b32_e32 v6, 20, v6
	v_and_b32_e32 v11, 0x80000000, v11
	v_lshl_add_u32 v10, v10, 23, v12
	v_or3_b32 v6, v11, v10, v6
.LBB56_1704:
	s_or_b64 exec, exec, s[6:7]
	s_nop 0
	v_mfma_f32_16x16x4f32 a[0:3], v2, v6, a[0:3]
	v_lshrrev_b32_e32 v6, 8, v7
	s_movk_i32 s4, 0x7f
	v_cmp_gt_i16_sdwa s[6:7], v6, s4 src0_sel:BYTE_0 src1_sel:DWORD
	s_mov_b64 s[4:5], 0
                                        ; implicit-def: $sgpr10
	s_and_saveexec_b64 s[8:9], s[6:7]
	s_xor_b64 s[6:7], exec, s[8:9]
	s_cbranch_execnz .LBB56_3753
; %bb.1705:
	s_or_saveexec_b64 s[6:7], s[6:7]
	v_mov_b32_e32 v2, s10
	s_xor_b64 exec, exec, s[6:7]
	s_cbranch_execnz .LBB56_3756
.LBB56_1706:
	s_or_b64 exec, exec, s[6:7]
	s_and_saveexec_b64 s[6:7], s[4:5]
	s_cbranch_execz .LBB56_1708
.LBB56_1707:
	v_bfe_u32 v2, v7, 8, 3
	v_ffbh_u32_e32 v11, v2
	v_min_u32_e32 v11, 32, v11
	v_lshrrev_b16_e32 v10, 3, v6
	v_subrev_u32_e32 v12, 28, v11
	v_and_b32_e32 v10, 15, v10
	v_lshlrev_b32_e32 v6, v12, v6
	v_sub_u32_e32 v11, 29, v11
	v_and_b32_e32 v6, 7, v6
	v_cmp_eq_u16_e32 vcc, 0, v10
	v_cndmask_b32_e32 v2, v2, v6, vcc
	v_cndmask_b32_e32 v6, v10, v11, vcc
	v_lshlrev_b32_e32 v10, 16, v7
	v_mov_b32_e32 v11, 0x3b800000
	v_lshlrev_b32_e32 v2, 20, v2
	v_and_b32_e32 v10, 0x80000000, v10
	v_lshl_add_u32 v6, v6, 23, v11
	v_or3_b32 v2, v10, v6, v2
.LBB56_1708:
	s_or_b64 exec, exec, s[6:7]
	v_lshrrev_b32_e32 v6, 8, v3
	s_movk_i32 s4, 0x7f
	v_cmp_gt_i16_sdwa s[6:7], v6, s4 src0_sel:BYTE_0 src1_sel:DWORD
	s_mov_b64 s[4:5], 0
                                        ; implicit-def: $sgpr10
	s_and_saveexec_b64 s[8:9], s[6:7]
	s_xor_b64 s[6:7], exec, s[8:9]
	s_cbranch_execnz .LBB56_3757
; %bb.1709:
	s_or_saveexec_b64 s[6:7], s[6:7]
	v_mov_b32_e32 v10, s10
	s_xor_b64 exec, exec, s[6:7]
	s_cbranch_execnz .LBB56_3760
.LBB56_1710:
	s_or_b64 exec, exec, s[6:7]
	s_and_saveexec_b64 s[6:7], s[4:5]
	s_cbranch_execz .LBB56_1712
.LBB56_1711:
	v_bfe_u32 v10, v3, 8, 3
	v_ffbh_u32_e32 v12, v10
	v_min_u32_e32 v12, 32, v12
	v_lshrrev_b16_e32 v11, 3, v6
	v_subrev_u32_e32 v13, 28, v12
	v_and_b32_e32 v11, 15, v11
	v_lshlrev_b32_e32 v6, v13, v6
	v_sub_u32_e32 v12, 29, v12
	v_and_b32_e32 v6, 7, v6
	v_cmp_eq_u16_e32 vcc, 0, v11
	v_cndmask_b32_e32 v6, v10, v6, vcc
	v_cndmask_b32_e32 v10, v11, v12, vcc
	v_lshlrev_b32_e32 v11, 16, v3
	v_mov_b32_e32 v12, 0x3b800000
	v_lshlrev_b32_e32 v6, 20, v6
	v_and_b32_e32 v11, 0x80000000, v11
	v_lshl_add_u32 v10, v10, 23, v12
	v_or3_b32 v10, v11, v10, v6
.LBB56_1712:
	s_or_b64 exec, exec, s[6:7]
	s_nop 0
	v_mfma_f32_16x16x4f32 a[0:3], v2, v10, a[0:3]
	s_movk_i32 s4, 0xff
	v_and_b32_sdwa v6, v7, s4 dst_sel:DWORD dst_unused:UNUSED_PAD src0_sel:WORD_1 src1_sel:DWORD
	s_movk_i32 s4, 0x7f
	v_cmp_lt_i16_e32 vcc, s4, v6
	s_mov_b64 s[4:5], 0
                                        ; implicit-def: $sgpr10
	s_and_saveexec_b64 s[6:7], vcc
	s_xor_b64 s[6:7], exec, s[6:7]
	s_cbranch_execnz .LBB56_3761
; %bb.1713:
	s_or_saveexec_b64 s[6:7], s[6:7]
	v_mov_b32_e32 v2, s10
	s_xor_b64 exec, exec, s[6:7]
	s_cbranch_execnz .LBB56_3764
.LBB56_1714:
	s_or_b64 exec, exec, s[6:7]
	s_and_saveexec_b64 s[6:7], s[4:5]
	s_cbranch_execz .LBB56_1716
.LBB56_1715:
	v_bfe_u32 v2, v7, 16, 3
	v_ffbh_u32_e32 v11, v2
	v_min_u32_e32 v11, 32, v11
	v_lshrrev_b32_e32 v6, 19, v7
	v_subrev_u32_e32 v12, 28, v11
	v_and_b32_e32 v6, 15, v6
	v_lshlrev_b32_sdwa v12, v12, v7 dst_sel:DWORD dst_unused:UNUSED_PAD src0_sel:DWORD src1_sel:WORD_1
	v_bfe_u32 v10, v7, 19, 4
	v_sub_u32_e32 v11, 29, v11
	v_and_b32_e32 v12, 7, v12
	v_cmp_eq_u16_e32 vcc, 0, v6
	v_cndmask_b32_e32 v2, v2, v12, vcc
	v_cndmask_b32_e32 v6, v10, v11, vcc
	v_lshlrev_b32_e32 v10, 8, v7
	v_mov_b32_e32 v11, 0x3b800000
	v_lshlrev_b32_e32 v2, 20, v2
	v_and_b32_e32 v10, 0x80000000, v10
	v_lshl_add_u32 v6, v6, 23, v11
	v_or3_b32 v2, v10, v6, v2
.LBB56_1716:
	s_or_b64 exec, exec, s[6:7]
	s_movk_i32 s4, 0xff
	v_and_b32_sdwa v6, v3, s4 dst_sel:DWORD dst_unused:UNUSED_PAD src0_sel:WORD_1 src1_sel:DWORD
	s_movk_i32 s4, 0x7f
	v_cmp_lt_i16_e32 vcc, s4, v6
	s_mov_b64 s[4:5], 0
                                        ; implicit-def: $sgpr10
	s_and_saveexec_b64 s[6:7], vcc
	s_xor_b64 s[6:7], exec, s[6:7]
	s_cbranch_execnz .LBB56_3765
; %bb.1717:
	s_or_saveexec_b64 s[6:7], s[6:7]
	v_mov_b32_e32 v10, s10
	s_xor_b64 exec, exec, s[6:7]
	s_cbranch_execnz .LBB56_3768
.LBB56_1718:
	s_or_b64 exec, exec, s[6:7]
	s_and_saveexec_b64 s[6:7], s[4:5]
	s_cbranch_execz .LBB56_1720
.LBB56_1719:
	v_bfe_u32 v6, v3, 16, 3
	v_ffbh_u32_e32 v12, v6
	v_min_u32_e32 v12, 32, v12
	v_lshrrev_b32_e32 v10, 19, v3
	v_subrev_u32_e32 v13, 28, v12
	v_and_b32_e32 v10, 15, v10
	v_lshlrev_b32_sdwa v13, v13, v3 dst_sel:DWORD dst_unused:UNUSED_PAD src0_sel:DWORD src1_sel:WORD_1
	v_bfe_u32 v11, v3, 19, 4
	v_sub_u32_e32 v12, 29, v12
	v_and_b32_e32 v13, 7, v13
	v_cmp_eq_u16_e32 vcc, 0, v10
	v_cndmask_b32_e32 v6, v6, v13, vcc
	v_cndmask_b32_e32 v10, v11, v12, vcc
	v_lshlrev_b32_e32 v11, 8, v3
	v_mov_b32_e32 v12, 0x3b800000
	v_lshlrev_b32_e32 v6, 20, v6
	v_and_b32_e32 v11, 0x80000000, v11
	v_lshl_add_u32 v10, v10, 23, v12
	v_or3_b32 v10, v11, v10, v6
.LBB56_1720:
	s_or_b64 exec, exec, s[6:7]
	s_nop 0
	v_mfma_f32_16x16x4f32 a[0:3], v2, v10, a[0:3]
	s_movk_i32 s4, 0x7f
	v_cmp_gt_i16_sdwa s[6:7], v7, s4 src0_sel:BYTE_3 src1_sel:DWORD
	s_mov_b64 s[4:5], 0
                                        ; implicit-def: $sgpr10
	s_and_saveexec_b64 s[8:9], s[6:7]
	s_xor_b64 s[6:7], exec, s[8:9]
	s_cbranch_execnz .LBB56_3769
; %bb.1721:
	s_or_saveexec_b64 s[6:7], s[6:7]
	v_mov_b32_e32 v2, s10
	s_xor_b64 exec, exec, s[6:7]
	s_cbranch_execnz .LBB56_3772
.LBB56_1722:
	s_or_b64 exec, exec, s[6:7]
	s_and_saveexec_b64 s[6:7], s[4:5]
	s_cbranch_execz .LBB56_1724
.LBB56_1723:
	v_bfe_u32 v2, v7, 24, 3
	v_ffbh_u32_e32 v12, v2
	v_min_u32_e32 v12, 32, v12
	v_lshrrev_b32_e32 v10, 27, v7
	v_subrev_u32_e32 v13, 28, v12
	v_and_b32_e32 v6, 0x80000000, v7
	v_and_b32_e32 v10, 15, v10
	v_bfe_u32 v11, v7, 27, 4
	v_lshlrev_b32_sdwa v7, v13, v7 dst_sel:DWORD dst_unused:UNUSED_PAD src0_sel:DWORD src1_sel:BYTE_3
	v_sub_u32_e32 v12, 29, v12
	v_and_b32_e32 v7, 7, v7
	v_cmp_eq_u16_e32 vcc, 0, v10
	v_cndmask_b32_e32 v2, v2, v7, vcc
	v_cndmask_b32_e32 v7, v11, v12, vcc
	v_mov_b32_e32 v10, 0x3b800000
	v_lshlrev_b32_e32 v2, 20, v2
	v_lshl_add_u32 v7, v7, 23, v10
	v_or3_b32 v2, v6, v7, v2
.LBB56_1724:
	s_or_b64 exec, exec, s[6:7]
	s_movk_i32 s4, 0x7f
	v_cmp_gt_i16_sdwa s[6:7], v3, s4 src0_sel:BYTE_3 src1_sel:DWORD
	s_mov_b64 s[4:5], 0
                                        ; implicit-def: $sgpr10
	s_and_saveexec_b64 s[8:9], s[6:7]
	s_xor_b64 s[6:7], exec, s[8:9]
	s_cbranch_execnz .LBB56_3773
; %bb.1725:
	s_or_saveexec_b64 s[6:7], s[6:7]
	v_mov_b32_e32 v6, s10
	s_xor_b64 exec, exec, s[6:7]
	s_cbranch_execnz .LBB56_3776
.LBB56_1726:
	s_or_b64 exec, exec, s[6:7]
	s_and_saveexec_b64 s[6:7], s[4:5]
	s_cbranch_execz .LBB56_1728
.LBB56_1727:
	v_bfe_u32 v6, v3, 24, 3
	v_ffbh_u32_e32 v12, v6
	v_min_u32_e32 v12, 32, v12
	v_lshrrev_b32_e32 v10, 27, v3
	v_subrev_u32_e32 v13, 28, v12
	v_and_b32_e32 v7, 0x80000000, v3
	v_and_b32_e32 v10, 15, v10
	v_bfe_u32 v11, v3, 27, 4
	v_lshlrev_b32_sdwa v3, v13, v3 dst_sel:DWORD dst_unused:UNUSED_PAD src0_sel:DWORD src1_sel:BYTE_3
	v_sub_u32_e32 v12, 29, v12
	v_and_b32_e32 v3, 7, v3
	v_cmp_eq_u16_e32 vcc, 0, v10
	v_cndmask_b32_e32 v3, v6, v3, vcc
	v_cndmask_b32_e32 v6, v11, v12, vcc
	v_mov_b32_e32 v10, 0x3b800000
	v_lshlrev_b32_e32 v3, 20, v3
	v_lshl_add_u32 v6, v6, 23, v10
	v_or3_b32 v6, v7, v6, v3
.LBB56_1728:
	s_or_b64 exec, exec, s[6:7]
	s_nop 0
	v_mfma_f32_16x16x4f32 a[0:3], v2, v6, a[0:3]
	s_movk_i32 s4, 0x7f
	v_cmp_gt_i16_sdwa s[6:7], v8, s4 src0_sel:BYTE_0 src1_sel:DWORD
	s_mov_b64 s[4:5], 0
                                        ; implicit-def: $sgpr10
	s_and_saveexec_b64 s[8:9], s[6:7]
	s_xor_b64 s[6:7], exec, s[8:9]
	s_cbranch_execnz .LBB56_3777
; %bb.1729:
	s_or_saveexec_b64 s[6:7], s[6:7]
	v_mov_b32_e32 v2, s10
	s_xor_b64 exec, exec, s[6:7]
	s_cbranch_execnz .LBB56_3780
.LBB56_1730:
	s_or_b64 exec, exec, s[6:7]
	s_and_saveexec_b64 s[6:7], s[4:5]
	s_cbranch_execz .LBB56_1732
.LBB56_1731:
	v_and_b32_e32 v2, 7, v8
	v_ffbh_u32_e32 v6, v2
	v_min_u32_e32 v6, 32, v6
	v_lshrrev_b16_e32 v3, 3, v8
	v_subrev_u32_e32 v7, 28, v6
	v_and_b32_e32 v3, 15, v3
	v_lshlrev_b32_e32 v7, v7, v8
	v_sub_u32_e32 v6, 29, v6
	v_and_b32_e32 v7, 7, v7
	v_cmp_eq_u16_e32 vcc, 0, v3
	v_cndmask_b32_e32 v2, v2, v7, vcc
	v_cndmask_b32_e32 v3, v3, v6, vcc
	v_lshlrev_b32_e32 v6, 24, v8
	v_mov_b32_e32 v7, 0x3b800000
	v_lshlrev_b32_e32 v2, 20, v2
	v_and_b32_e32 v6, 0x80000000, v6
	v_lshl_add_u32 v3, v3, 23, v7
	v_or3_b32 v2, v6, v3, v2
.LBB56_1732:
	s_or_b64 exec, exec, s[6:7]
	s_movk_i32 s4, 0x7f
	v_cmp_gt_i16_sdwa s[6:7], v4, s4 src0_sel:BYTE_0 src1_sel:DWORD
	s_mov_b64 s[4:5], 0
                                        ; implicit-def: $sgpr10
	s_and_saveexec_b64 s[8:9], s[6:7]
	s_xor_b64 s[6:7], exec, s[8:9]
	s_cbranch_execnz .LBB56_3781
; %bb.1733:
	s_or_saveexec_b64 s[6:7], s[6:7]
	v_mov_b32_e32 v3, s10
	s_xor_b64 exec, exec, s[6:7]
	s_cbranch_execnz .LBB56_3784
.LBB56_1734:
	s_or_b64 exec, exec, s[6:7]
	s_and_saveexec_b64 s[6:7], s[4:5]
	s_cbranch_execz .LBB56_1736
.LBB56_1735:
	v_and_b32_e32 v3, 7, v4
	v_ffbh_u32_e32 v7, v3
	v_min_u32_e32 v7, 32, v7
	v_lshrrev_b16_e32 v6, 3, v4
	v_subrev_u32_e32 v10, 28, v7
	v_and_b32_e32 v6, 15, v6
	v_lshlrev_b32_e32 v10, v10, v4
	v_sub_u32_e32 v7, 29, v7
	v_and_b32_e32 v10, 7, v10
	v_cmp_eq_u16_e32 vcc, 0, v6
	v_cndmask_b32_e32 v3, v3, v10, vcc
	v_cndmask_b32_e32 v6, v6, v7, vcc
	v_lshlrev_b32_e32 v7, 24, v4
	v_mov_b32_e32 v10, 0x3b800000
	v_lshlrev_b32_e32 v3, 20, v3
	v_and_b32_e32 v7, 0x80000000, v7
	v_lshl_add_u32 v6, v6, 23, v10
	v_or3_b32 v3, v7, v6, v3
.LBB56_1736:
	s_or_b64 exec, exec, s[6:7]
	s_nop 0
	v_mfma_f32_16x16x4f32 a[0:3], v2, v3, a[0:3]
	v_lshrrev_b32_e32 v3, 8, v8
	s_movk_i32 s4, 0x7f
	v_cmp_gt_i16_sdwa s[6:7], v3, s4 src0_sel:BYTE_0 src1_sel:DWORD
	s_mov_b64 s[4:5], 0
                                        ; implicit-def: $sgpr10
	s_and_saveexec_b64 s[8:9], s[6:7]
	s_xor_b64 s[6:7], exec, s[8:9]
	s_cbranch_execnz .LBB56_3785
; %bb.1737:
	s_or_saveexec_b64 s[6:7], s[6:7]
	v_mov_b32_e32 v2, s10
	s_xor_b64 exec, exec, s[6:7]
	s_cbranch_execnz .LBB56_3788
.LBB56_1738:
	s_or_b64 exec, exec, s[6:7]
	s_and_saveexec_b64 s[6:7], s[4:5]
	s_cbranch_execz .LBB56_1740
.LBB56_1739:
	v_bfe_u32 v2, v8, 8, 3
	v_ffbh_u32_e32 v7, v2
	v_min_u32_e32 v7, 32, v7
	v_lshrrev_b16_e32 v6, 3, v3
	v_subrev_u32_e32 v10, 28, v7
	v_and_b32_e32 v6, 15, v6
	v_lshlrev_b32_e32 v3, v10, v3
	v_sub_u32_e32 v7, 29, v7
	v_and_b32_e32 v3, 7, v3
	v_cmp_eq_u16_e32 vcc, 0, v6
	v_cndmask_b32_e32 v2, v2, v3, vcc
	v_cndmask_b32_e32 v3, v6, v7, vcc
	v_lshlrev_b32_e32 v6, 16, v8
	v_mov_b32_e32 v7, 0x3b800000
	v_lshlrev_b32_e32 v2, 20, v2
	v_and_b32_e32 v6, 0x80000000, v6
	v_lshl_add_u32 v3, v3, 23, v7
	v_or3_b32 v2, v6, v3, v2
.LBB56_1740:
	s_or_b64 exec, exec, s[6:7]
	v_lshrrev_b32_e32 v3, 8, v4
	s_movk_i32 s4, 0x7f
	v_cmp_gt_i16_sdwa s[6:7], v3, s4 src0_sel:BYTE_0 src1_sel:DWORD
	s_mov_b64 s[4:5], 0
                                        ; implicit-def: $sgpr10
	s_and_saveexec_b64 s[8:9], s[6:7]
	s_xor_b64 s[6:7], exec, s[8:9]
	s_cbranch_execnz .LBB56_3789
; %bb.1741:
	s_or_saveexec_b64 s[6:7], s[6:7]
	v_mov_b32_e32 v6, s10
	s_xor_b64 exec, exec, s[6:7]
	s_cbranch_execnz .LBB56_3792
.LBB56_1742:
	s_or_b64 exec, exec, s[6:7]
	s_and_saveexec_b64 s[6:7], s[4:5]
	s_cbranch_execz .LBB56_1744
.LBB56_1743:
	v_bfe_u32 v6, v4, 8, 3
	v_ffbh_u32_e32 v10, v6
	v_min_u32_e32 v10, 32, v10
	v_lshrrev_b16_e32 v7, 3, v3
	v_subrev_u32_e32 v11, 28, v10
	v_and_b32_e32 v7, 15, v7
	v_lshlrev_b32_e32 v3, v11, v3
	v_sub_u32_e32 v10, 29, v10
	v_and_b32_e32 v3, 7, v3
	v_cmp_eq_u16_e32 vcc, 0, v7
	v_cndmask_b32_e32 v3, v6, v3, vcc
	v_cndmask_b32_e32 v6, v7, v10, vcc
	v_lshlrev_b32_e32 v7, 16, v4
	v_mov_b32_e32 v10, 0x3b800000
	v_lshlrev_b32_e32 v3, 20, v3
	v_and_b32_e32 v7, 0x80000000, v7
	v_lshl_add_u32 v6, v6, 23, v10
	v_or3_b32 v6, v7, v6, v3
.LBB56_1744:
	s_or_b64 exec, exec, s[6:7]
	s_nop 0
	v_mfma_f32_16x16x4f32 a[0:3], v2, v6, a[0:3]
	s_movk_i32 s4, 0xff
	v_and_b32_sdwa v3, v8, s4 dst_sel:DWORD dst_unused:UNUSED_PAD src0_sel:WORD_1 src1_sel:DWORD
	s_movk_i32 s4, 0x7f
	v_cmp_lt_i16_e32 vcc, s4, v3
	s_mov_b64 s[4:5], 0
                                        ; implicit-def: $sgpr10
	s_and_saveexec_b64 s[6:7], vcc
	s_xor_b64 s[6:7], exec, s[6:7]
	s_cbranch_execnz .LBB56_3793
; %bb.1745:
	s_or_saveexec_b64 s[6:7], s[6:7]
	v_mov_b32_e32 v2, s10
	s_xor_b64 exec, exec, s[6:7]
	s_cbranch_execnz .LBB56_3796
.LBB56_1746:
	s_or_b64 exec, exec, s[6:7]
	s_and_saveexec_b64 s[6:7], s[4:5]
	s_cbranch_execz .LBB56_1748
.LBB56_1747:
	v_bfe_u32 v2, v8, 16, 3
	v_ffbh_u32_e32 v7, v2
	v_min_u32_e32 v7, 32, v7
	v_lshrrev_b32_e32 v3, 19, v8
	v_subrev_u32_e32 v10, 28, v7
	v_and_b32_e32 v3, 15, v3
	v_lshlrev_b32_sdwa v10, v10, v8 dst_sel:DWORD dst_unused:UNUSED_PAD src0_sel:DWORD src1_sel:WORD_1
	v_bfe_u32 v6, v8, 19, 4
	v_sub_u32_e32 v7, 29, v7
	v_and_b32_e32 v10, 7, v10
	v_cmp_eq_u16_e32 vcc, 0, v3
	v_cndmask_b32_e32 v2, v2, v10, vcc
	v_cndmask_b32_e32 v3, v6, v7, vcc
	v_lshlrev_b32_e32 v6, 8, v8
	v_mov_b32_e32 v7, 0x3b800000
	v_lshlrev_b32_e32 v2, 20, v2
	v_and_b32_e32 v6, 0x80000000, v6
	v_lshl_add_u32 v3, v3, 23, v7
	v_or3_b32 v2, v6, v3, v2
.LBB56_1748:
	s_or_b64 exec, exec, s[6:7]
	s_movk_i32 s4, 0xff
	v_and_b32_sdwa v3, v4, s4 dst_sel:DWORD dst_unused:UNUSED_PAD src0_sel:WORD_1 src1_sel:DWORD
	s_movk_i32 s4, 0x7f
	v_cmp_lt_i16_e32 vcc, s4, v3
	s_mov_b64 s[4:5], 0
                                        ; implicit-def: $sgpr10
	s_and_saveexec_b64 s[6:7], vcc
	s_xor_b64 s[6:7], exec, s[6:7]
	s_cbranch_execnz .LBB56_3797
; %bb.1749:
	s_or_saveexec_b64 s[6:7], s[6:7]
	v_mov_b32_e32 v6, s10
	s_xor_b64 exec, exec, s[6:7]
	s_cbranch_execnz .LBB56_3800
.LBB56_1750:
	s_or_b64 exec, exec, s[6:7]
	s_and_saveexec_b64 s[6:7], s[4:5]
	s_cbranch_execz .LBB56_1752
.LBB56_1751:
	v_bfe_u32 v3, v4, 16, 3
	v_ffbh_u32_e32 v10, v3
	v_min_u32_e32 v10, 32, v10
	v_lshrrev_b32_e32 v6, 19, v4
	v_subrev_u32_e32 v11, 28, v10
	v_and_b32_e32 v6, 15, v6
	v_lshlrev_b32_sdwa v11, v11, v4 dst_sel:DWORD dst_unused:UNUSED_PAD src0_sel:DWORD src1_sel:WORD_1
	v_bfe_u32 v7, v4, 19, 4
	v_sub_u32_e32 v10, 29, v10
	v_and_b32_e32 v11, 7, v11
	v_cmp_eq_u16_e32 vcc, 0, v6
	v_cndmask_b32_e32 v3, v3, v11, vcc
	v_cndmask_b32_e32 v6, v7, v10, vcc
	v_lshlrev_b32_e32 v7, 8, v4
	v_mov_b32_e32 v10, 0x3b800000
	v_lshlrev_b32_e32 v3, 20, v3
	v_and_b32_e32 v7, 0x80000000, v7
	v_lshl_add_u32 v6, v6, 23, v10
	v_or3_b32 v6, v7, v6, v3
.LBB56_1752:
	s_or_b64 exec, exec, s[6:7]
	s_nop 0
	v_mfma_f32_16x16x4f32 a[0:3], v2, v6, a[0:3]
	s_movk_i32 s4, 0x7f
	v_cmp_gt_i16_sdwa s[6:7], v8, s4 src0_sel:BYTE_3 src1_sel:DWORD
	s_mov_b64 s[4:5], 0
                                        ; implicit-def: $sgpr10
	s_and_saveexec_b64 s[8:9], s[6:7]
	s_xor_b64 s[6:7], exec, s[8:9]
	s_cbranch_execnz .LBB56_3801
; %bb.1753:
	s_or_saveexec_b64 s[6:7], s[6:7]
	v_mov_b32_e32 v2, s10
	s_xor_b64 exec, exec, s[6:7]
	s_cbranch_execnz .LBB56_3804
.LBB56_1754:
	s_or_b64 exec, exec, s[6:7]
	s_and_saveexec_b64 s[6:7], s[4:5]
	s_cbranch_execz .LBB56_1756
.LBB56_1755:
	v_bfe_u32 v2, v8, 24, 3
	v_ffbh_u32_e32 v10, v2
	v_min_u32_e32 v10, 32, v10
	v_lshrrev_b32_e32 v6, 27, v8
	v_subrev_u32_e32 v11, 28, v10
	v_and_b32_e32 v3, 0x80000000, v8
	v_and_b32_e32 v6, 15, v6
	v_bfe_u32 v7, v8, 27, 4
	v_lshlrev_b32_sdwa v8, v11, v8 dst_sel:DWORD dst_unused:UNUSED_PAD src0_sel:DWORD src1_sel:BYTE_3
	v_sub_u32_e32 v10, 29, v10
	v_and_b32_e32 v8, 7, v8
	v_cmp_eq_u16_e32 vcc, 0, v6
	v_cndmask_b32_e32 v2, v2, v8, vcc
	v_cndmask_b32_e32 v6, v7, v10, vcc
	v_mov_b32_e32 v7, 0x3b800000
	v_lshlrev_b32_e32 v2, 20, v2
	v_lshl_add_u32 v6, v6, 23, v7
	v_or3_b32 v2, v3, v6, v2
.LBB56_1756:
	s_or_b64 exec, exec, s[6:7]
	s_movk_i32 s4, 0x7f
	v_cmp_gt_i16_sdwa s[6:7], v4, s4 src0_sel:BYTE_3 src1_sel:DWORD
	s_mov_b64 s[4:5], 0
                                        ; implicit-def: $sgpr10
	s_and_saveexec_b64 s[8:9], s[6:7]
	s_xor_b64 s[6:7], exec, s[8:9]
	s_cbranch_execnz .LBB56_3805
; %bb.1757:
	s_or_saveexec_b64 s[6:7], s[6:7]
	v_mov_b32_e32 v3, s10
	s_xor_b64 exec, exec, s[6:7]
	s_cbranch_execnz .LBB56_3808
.LBB56_1758:
	s_or_b64 exec, exec, s[6:7]
	s_and_saveexec_b64 s[6:7], s[4:5]
	s_cbranch_execz .LBB56_1760
.LBB56_1759:
	v_bfe_u32 v3, v4, 24, 3
	v_ffbh_u32_e32 v10, v3
	v_min_u32_e32 v10, 32, v10
	v_lshrrev_b32_e32 v7, 27, v4
	v_subrev_u32_e32 v11, 28, v10
	v_and_b32_e32 v6, 0x80000000, v4
	v_and_b32_e32 v7, 15, v7
	v_bfe_u32 v8, v4, 27, 4
	v_lshlrev_b32_sdwa v4, v11, v4 dst_sel:DWORD dst_unused:UNUSED_PAD src0_sel:DWORD src1_sel:BYTE_3
	v_sub_u32_e32 v10, 29, v10
	v_and_b32_e32 v4, 7, v4
	v_cmp_eq_u16_e32 vcc, 0, v7
	v_cndmask_b32_e32 v3, v3, v4, vcc
	v_cndmask_b32_e32 v4, v8, v10, vcc
	v_mov_b32_e32 v7, 0x3b800000
	v_lshlrev_b32_e32 v3, 20, v3
	v_lshl_add_u32 v4, v4, 23, v7
	v_or3_b32 v3, v6, v4, v3
.LBB56_1760:
	s_or_b64 exec, exec, s[6:7]
	s_nop 0
	v_mfma_f32_16x16x4f32 a[0:3], v2, v3, a[0:3]
	s_movk_i32 s4, 0x7f
	v_cmp_gt_i16_sdwa s[6:7], v9, s4 src0_sel:BYTE_0 src1_sel:DWORD
	s_mov_b64 s[4:5], 0
                                        ; implicit-def: $sgpr10
	s_and_saveexec_b64 s[8:9], s[6:7]
	s_xor_b64 s[6:7], exec, s[8:9]
	s_cbranch_execnz .LBB56_3809
; %bb.1761:
	s_or_saveexec_b64 s[6:7], s[6:7]
	v_mov_b32_e32 v2, s10
	s_xor_b64 exec, exec, s[6:7]
	s_cbranch_execnz .LBB56_3812
.LBB56_1762:
	s_or_b64 exec, exec, s[6:7]
	s_and_saveexec_b64 s[6:7], s[4:5]
	s_cbranch_execz .LBB56_1764
.LBB56_1763:
	v_mov_b32_e32 v2, 8
	v_and_b32_e32 v3, 7, v9
	v_lshrrev_b32_sdwa v2, v2, v9 dst_sel:BYTE_1 dst_unused:UNUSED_PAD src0_sel:DWORD src1_sel:DWORD
	v_ffbh_u32_e32 v4, v3
	v_or_b32_sdwa v2, v9, v2 dst_sel:DWORD dst_unused:UNUSED_PAD src0_sel:BYTE_0 src1_sel:DWORD
	v_min_u32_e32 v4, 32, v4
	v_lshrrev_b16_e32 v2, 3, v2
	v_subrev_u32_e32 v6, 28, v4
	v_and_b32_e32 v2, 15, v2
	v_lshlrev_b32_e32 v6, v6, v9
	v_sub_u32_e32 v4, 29, v4
	v_and_b32_e32 v6, 7, v6
	v_cmp_eq_u16_e32 vcc, 0, v2
	v_cndmask_b32_e32 v3, v3, v6, vcc
	v_cndmask_b32_e32 v2, v2, v4, vcc
	v_lshlrev_b32_e32 v4, 24, v9
	v_mov_b32_e32 v6, 0x3b800000
	v_lshlrev_b32_e32 v3, 20, v3
	v_and_b32_e32 v4, 0x80000000, v4
	v_lshl_add_u32 v2, v2, 23, v6
	v_or3_b32 v2, v4, v2, v3
.LBB56_1764:
	s_or_b64 exec, exec, s[6:7]
	s_movk_i32 s4, 0x7f
	v_cmp_gt_i16_sdwa s[6:7], v5, s4 src0_sel:BYTE_0 src1_sel:DWORD
	s_mov_b64 s[4:5], 0
                                        ; implicit-def: $sgpr10
	s_and_saveexec_b64 s[8:9], s[6:7]
	s_xor_b64 s[6:7], exec, s[8:9]
	s_cbranch_execnz .LBB56_3813
; %bb.1765:
	s_or_saveexec_b64 s[6:7], s[6:7]
	v_mov_b32_e32 v3, s10
	s_xor_b64 exec, exec, s[6:7]
	s_cbranch_execnz .LBB56_3816
.LBB56_1766:
	s_or_b64 exec, exec, s[6:7]
	s_and_saveexec_b64 s[6:7], s[4:5]
	s_cbranch_execz .LBB56_1768
.LBB56_1767:
	v_mov_b32_e32 v3, 8
	v_and_b32_e32 v4, 7, v5
	v_lshrrev_b32_sdwa v3, v3, v5 dst_sel:BYTE_1 dst_unused:UNUSED_PAD src0_sel:DWORD src1_sel:DWORD
	v_ffbh_u32_e32 v6, v4
	v_or_b32_sdwa v3, v5, v3 dst_sel:DWORD dst_unused:UNUSED_PAD src0_sel:BYTE_0 src1_sel:DWORD
	v_min_u32_e32 v6, 32, v6
	v_lshrrev_b16_e32 v3, 3, v3
	v_subrev_u32_e32 v7, 28, v6
	v_and_b32_e32 v3, 15, v3
	v_lshlrev_b32_e32 v7, v7, v5
	v_sub_u32_e32 v6, 29, v6
	v_and_b32_e32 v7, 7, v7
	v_cmp_eq_u16_e32 vcc, 0, v3
	v_cndmask_b32_e32 v4, v4, v7, vcc
	v_cndmask_b32_e32 v3, v3, v6, vcc
	v_lshlrev_b32_e32 v6, 24, v5
	v_mov_b32_e32 v7, 0x3b800000
	v_lshlrev_b32_e32 v4, 20, v4
	v_and_b32_e32 v6, 0x80000000, v6
	v_lshl_add_u32 v3, v3, 23, v7
	v_or3_b32 v3, v6, v3, v4
.LBB56_1768:
	s_or_b64 exec, exec, s[6:7]
	s_nop 0
	v_mfma_f32_16x16x4f32 a[0:3], v2, v3, a[0:3]
	v_lshrrev_b32_e32 v3, 8, v9
	s_movk_i32 s4, 0x7f
	v_cmp_gt_i16_sdwa s[6:7], v3, s4 src0_sel:BYTE_0 src1_sel:DWORD
	s_mov_b64 s[4:5], 0
                                        ; implicit-def: $sgpr10
	s_and_saveexec_b64 s[8:9], s[6:7]
	s_xor_b64 s[6:7], exec, s[8:9]
	s_cbranch_execnz .LBB56_3817
; %bb.1769:
	s_or_saveexec_b64 s[6:7], s[6:7]
	v_mov_b32_e32 v2, s10
	s_xor_b64 exec, exec, s[6:7]
	s_cbranch_execnz .LBB56_3820
.LBB56_1770:
	s_or_b64 exec, exec, s[6:7]
	s_and_saveexec_b64 s[6:7], s[4:5]
	s_cbranch_execz .LBB56_1772
.LBB56_1771:
	v_bfe_u32 v2, v9, 8, 3
	v_ffbh_u32_e32 v6, v2
	v_min_u32_e32 v6, 32, v6
	v_lshrrev_b16_e32 v4, 3, v3
	v_subrev_u32_e32 v7, 28, v6
	v_and_b32_e32 v4, 15, v4
	v_lshlrev_b32_e32 v3, v7, v3
	v_sub_u32_e32 v6, 29, v6
	v_and_b32_e32 v3, 7, v3
	v_cmp_eq_u16_e32 vcc, 0, v4
	v_cndmask_b32_e32 v2, v2, v3, vcc
	v_cndmask_b32_e32 v3, v4, v6, vcc
	v_lshlrev_b32_e32 v4, 16, v9
	v_mov_b32_e32 v6, 0x3b800000
	v_lshlrev_b32_e32 v2, 20, v2
	v_and_b32_e32 v4, 0x80000000, v4
	v_lshl_add_u32 v3, v3, 23, v6
	v_or3_b32 v2, v4, v3, v2
.LBB56_1772:
	s_or_b64 exec, exec, s[6:7]
	v_lshrrev_b32_e32 v3, 8, v5
	s_movk_i32 s4, 0x7f
	v_cmp_gt_i16_sdwa s[6:7], v3, s4 src0_sel:BYTE_0 src1_sel:DWORD
	s_mov_b64 s[4:5], 0
                                        ; implicit-def: $sgpr10
	s_and_saveexec_b64 s[8:9], s[6:7]
	s_xor_b64 s[6:7], exec, s[8:9]
	s_cbranch_execnz .LBB56_3821
; %bb.1773:
	s_or_saveexec_b64 s[6:7], s[6:7]
	v_mov_b32_e32 v4, s10
	s_xor_b64 exec, exec, s[6:7]
	s_cbranch_execnz .LBB56_3824
.LBB56_1774:
	s_or_b64 exec, exec, s[6:7]
	s_and_saveexec_b64 s[6:7], s[4:5]
	s_cbranch_execz .LBB56_1776
.LBB56_1775:
	v_bfe_u32 v4, v5, 8, 3
	v_ffbh_u32_e32 v7, v4
	v_min_u32_e32 v7, 32, v7
	v_lshrrev_b16_e32 v6, 3, v3
	v_subrev_u32_e32 v8, 28, v7
	v_and_b32_e32 v6, 15, v6
	v_lshlrev_b32_e32 v3, v8, v3
	v_sub_u32_e32 v7, 29, v7
	v_and_b32_e32 v3, 7, v3
	v_cmp_eq_u16_e32 vcc, 0, v6
	v_cndmask_b32_e32 v3, v4, v3, vcc
	v_cndmask_b32_e32 v4, v6, v7, vcc
	v_lshlrev_b32_e32 v6, 16, v5
	v_mov_b32_e32 v7, 0x3b800000
	v_lshlrev_b32_e32 v3, 20, v3
	v_and_b32_e32 v6, 0x80000000, v6
	v_lshl_add_u32 v4, v4, 23, v7
	v_or3_b32 v4, v6, v4, v3
.LBB56_1776:
	s_or_b64 exec, exec, s[6:7]
	s_nop 0
	v_mfma_f32_16x16x4f32 a[0:3], v2, v4, a[0:3]
	s_movk_i32 s4, 0xff
	v_and_b32_sdwa v3, v9, s4 dst_sel:DWORD dst_unused:UNUSED_PAD src0_sel:WORD_1 src1_sel:DWORD
	s_movk_i32 s4, 0x7f
	v_cmp_lt_i16_e32 vcc, s4, v3
	s_mov_b64 s[4:5], 0
                                        ; implicit-def: $sgpr10
	s_and_saveexec_b64 s[6:7], vcc
	s_xor_b64 s[6:7], exec, s[6:7]
	s_cbranch_execnz .LBB56_3825
; %bb.1777:
	s_or_saveexec_b64 s[6:7], s[6:7]
	v_mov_b32_e32 v2, s10
	s_xor_b64 exec, exec, s[6:7]
	s_cbranch_execnz .LBB56_3828
.LBB56_1778:
	s_or_b64 exec, exec, s[6:7]
	s_and_saveexec_b64 s[6:7], s[4:5]
	s_cbranch_execz .LBB56_1780
.LBB56_1779:
	v_bfe_u32 v2, v9, 16, 3
	v_ffbh_u32_e32 v6, v2
	v_min_u32_e32 v6, 32, v6
	v_lshrrev_b32_e32 v3, 19, v9
	v_subrev_u32_e32 v7, 28, v6
	v_and_b32_e32 v3, 15, v3
	v_lshlrev_b32_sdwa v7, v7, v9 dst_sel:DWORD dst_unused:UNUSED_PAD src0_sel:DWORD src1_sel:WORD_1
	v_bfe_u32 v4, v9, 19, 4
	v_sub_u32_e32 v6, 29, v6
	v_and_b32_e32 v7, 7, v7
	v_cmp_eq_u16_e32 vcc, 0, v3
	v_cndmask_b32_e32 v2, v2, v7, vcc
	v_cndmask_b32_e32 v3, v4, v6, vcc
	v_lshlrev_b32_e32 v4, 8, v9
	v_mov_b32_e32 v6, 0x3b800000
	v_lshlrev_b32_e32 v2, 20, v2
	v_and_b32_e32 v4, 0x80000000, v4
	v_lshl_add_u32 v3, v3, 23, v6
	v_or3_b32 v2, v4, v3, v2
.LBB56_1780:
	s_or_b64 exec, exec, s[6:7]
	s_movk_i32 s4, 0xff
	v_and_b32_sdwa v3, v5, s4 dst_sel:DWORD dst_unused:UNUSED_PAD src0_sel:WORD_1 src1_sel:DWORD
	s_movk_i32 s4, 0x7f
	v_cmp_lt_i16_e32 vcc, s4, v3
	s_mov_b64 s[4:5], 0
                                        ; implicit-def: $sgpr10
	s_and_saveexec_b64 s[6:7], vcc
	s_xor_b64 s[6:7], exec, s[6:7]
	s_cbranch_execnz .LBB56_3829
; %bb.1781:
	s_or_saveexec_b64 s[6:7], s[6:7]
	v_mov_b32_e32 v4, s10
	s_xor_b64 exec, exec, s[6:7]
	s_cbranch_execnz .LBB56_3832
.LBB56_1782:
	s_or_b64 exec, exec, s[6:7]
	s_and_saveexec_b64 s[6:7], s[4:5]
	s_cbranch_execz .LBB56_1784
.LBB56_1783:
	v_bfe_u32 v3, v5, 16, 3
	v_ffbh_u32_e32 v7, v3
	v_min_u32_e32 v7, 32, v7
	v_lshrrev_b32_e32 v4, 19, v5
	v_subrev_u32_e32 v8, 28, v7
	v_and_b32_e32 v4, 15, v4
	v_lshlrev_b32_sdwa v8, v8, v5 dst_sel:DWORD dst_unused:UNUSED_PAD src0_sel:DWORD src1_sel:WORD_1
	v_bfe_u32 v6, v5, 19, 4
	v_sub_u32_e32 v7, 29, v7
	v_and_b32_e32 v8, 7, v8
	v_cmp_eq_u16_e32 vcc, 0, v4
	v_cndmask_b32_e32 v3, v3, v8, vcc
	v_cndmask_b32_e32 v4, v6, v7, vcc
	v_lshlrev_b32_e32 v6, 8, v5
	v_mov_b32_e32 v7, 0x3b800000
	v_lshlrev_b32_e32 v3, 20, v3
	v_and_b32_e32 v6, 0x80000000, v6
	v_lshl_add_u32 v4, v4, 23, v7
	v_or3_b32 v4, v6, v4, v3
.LBB56_1784:
	s_or_b64 exec, exec, s[6:7]
	s_nop 0
	v_mfma_f32_16x16x4f32 a[0:3], v2, v4, a[0:3]
	s_movk_i32 s4, 0x7f
	v_cmp_gt_i16_sdwa s[6:7], v9, s4 src0_sel:BYTE_3 src1_sel:DWORD
	s_mov_b64 s[4:5], 0
                                        ; implicit-def: $sgpr10
	s_and_saveexec_b64 s[8:9], s[6:7]
	s_xor_b64 s[6:7], exec, s[8:9]
	s_cbranch_execnz .LBB56_3833
; %bb.1785:
	s_or_saveexec_b64 s[6:7], s[6:7]
	v_mov_b32_e32 v2, s10
	s_xor_b64 exec, exec, s[6:7]
	s_cbranch_execnz .LBB56_3836
.LBB56_1786:
	s_or_b64 exec, exec, s[6:7]
	s_and_saveexec_b64 s[6:7], s[4:5]
	s_cbranch_execz .LBB56_1788
.LBB56_1787:
	v_bfe_u32 v2, v9, 24, 3
	v_ffbh_u32_e32 v7, v2
	v_min_u32_e32 v7, 32, v7
	v_lshrrev_b32_e32 v4, 27, v9
	v_subrev_u32_e32 v8, 28, v7
	v_and_b32_e32 v4, 15, v4
	v_lshlrev_b32_sdwa v8, v8, v9 dst_sel:DWORD dst_unused:UNUSED_PAD src0_sel:DWORD src1_sel:BYTE_3
	v_bfe_u32 v6, v9, 27, 4
	v_sub_u32_e32 v7, 29, v7
	v_and_b32_e32 v8, 7, v8
	v_cmp_eq_u16_e32 vcc, 0, v4
	v_cndmask_b32_e32 v2, v2, v8, vcc
	v_cndmask_b32_e32 v4, v6, v7, vcc
	v_mov_b32_e32 v6, 0x3b800000
	v_and_b32_e32 v3, 0x80000000, v9
	v_lshlrev_b32_e32 v2, 20, v2
	v_lshl_add_u32 v4, v4, 23, v6
	v_or3_b32 v2, v3, v4, v2
.LBB56_1788:
	s_or_b64 exec, exec, s[6:7]
	s_movk_i32 s4, 0x7f
	v_cmp_gt_i16_sdwa s[6:7], v5, s4 src0_sel:BYTE_3 src1_sel:DWORD
	s_mov_b64 s[4:5], 0
                                        ; implicit-def: $sgpr10
	s_and_saveexec_b64 s[8:9], s[6:7]
	s_xor_b64 s[6:7], exec, s[8:9]
	s_cbranch_execnz .LBB56_3837
; %bb.1789:
	s_or_saveexec_b64 s[6:7], s[6:7]
	v_mov_b32_e32 v3, s10
	s_xor_b64 exec, exec, s[6:7]
	s_cbranch_execnz .LBB56_3840
.LBB56_1790:
	s_or_b64 exec, exec, s[6:7]
	s_and_saveexec_b64 s[6:7], s[4:5]
	s_cbranch_execz .LBB56_1792
.LBB56_1791:
	v_bfe_u32 v3, v5, 24, 3
	v_ffbh_u32_e32 v8, v3
	v_min_u32_e32 v8, 32, v8
	v_lshrrev_b32_e32 v6, 27, v5
	v_subrev_u32_e32 v9, 28, v8
	v_and_b32_e32 v4, 0x80000000, v5
	v_and_b32_e32 v6, 15, v6
	v_bfe_u32 v7, v5, 27, 4
	v_lshlrev_b32_sdwa v5, v9, v5 dst_sel:DWORD dst_unused:UNUSED_PAD src0_sel:DWORD src1_sel:BYTE_3
	v_sub_u32_e32 v8, 29, v8
	v_and_b32_e32 v5, 7, v5
	v_cmp_eq_u16_e32 vcc, 0, v6
	v_cndmask_b32_e32 v3, v3, v5, vcc
	v_cndmask_b32_e32 v5, v7, v8, vcc
	v_mov_b32_e32 v6, 0x3b800000
	v_lshlrev_b32_e32 v3, 20, v3
	v_lshl_add_u32 v5, v5, 23, v6
	v_or3_b32 v3, v4, v5, v3
.LBB56_1792:
	s_or_b64 exec, exec, s[6:7]
	s_nop 0
	v_mfma_f32_16x16x4f32 a[0:3], v2, v3, a[0:3]
	s_movk_i32 s4, 0x7f
                                        ; implicit-def: $sgpr10
	s_nop 7
	s_nop 1
	flat_store_dwordx4 v[18:19], a[0:3] offset:608
	flat_load_dwordx4 v[18:21], v[0:1] offset:8
	s_nop 0
	flat_load_dwordx2 v[16:17], v[0:1] offset:24
	s_waitcnt vmcnt(0) lgkmcnt(0)
	flat_load_dwordx4 v[12:15], v[18:19]
	flat_load_dwordx4 v[4:7], v[18:19] offset:16
	flat_load_dwordx4 v[8:11], v[20:21] offset:480
	flat_load_dwordx4 v[0:3], v[20:21] offset:496
	s_waitcnt vmcnt(0) lgkmcnt(0)
	v_cmp_gt_i16_sdwa s[6:7], v12, s4 src0_sel:BYTE_0 src1_sel:DWORD
	s_mov_b64 s[4:5], 0
	s_and_saveexec_b64 s[8:9], s[6:7]
	s_xor_b64 s[6:7], exec, s[8:9]
	s_cbranch_execnz .LBB56_3841
; %bb.1793:
	s_or_saveexec_b64 s[6:7], s[6:7]
	v_mov_b32_e32 v18, s10
	s_xor_b64 exec, exec, s[6:7]
	s_cbranch_execnz .LBB56_3844
.LBB56_1794:
	s_or_b64 exec, exec, s[6:7]
	s_and_saveexec_b64 s[6:7], s[4:5]
	s_cbranch_execz .LBB56_1796
.LBB56_1795:
	v_and_b32_e32 v18, 7, v12
	v_ffbh_u32_e32 v20, v18
	v_min_u32_e32 v20, 32, v20
	v_lshrrev_b16_e32 v19, 3, v12
	v_subrev_u32_e32 v21, 28, v20
	v_and_b32_e32 v19, 15, v19
	v_lshlrev_b32_e32 v21, v21, v12
	v_sub_u32_e32 v20, 29, v20
	v_and_b32_e32 v21, 7, v21
	v_cmp_eq_u16_e32 vcc, 0, v19
	v_cndmask_b32_e32 v18, v18, v21, vcc
	v_cndmask_b32_e32 v19, v19, v20, vcc
	v_lshlrev_b32_e32 v20, 24, v12
	v_mov_b32_e32 v21, 0x3b800000
	v_lshlrev_b32_e32 v18, 20, v18
	v_and_b32_e32 v20, 0x80000000, v20
	v_lshl_add_u32 v19, v19, 23, v21
	v_or3_b32 v18, v20, v19, v18
.LBB56_1796:
	s_or_b64 exec, exec, s[6:7]
	s_movk_i32 s4, 0x7f
	v_cmp_gt_i16_sdwa s[6:7], v8, s4 src0_sel:BYTE_0 src1_sel:DWORD
	s_mov_b64 s[4:5], 0
                                        ; implicit-def: $sgpr10
	s_and_saveexec_b64 s[8:9], s[6:7]
	s_xor_b64 s[6:7], exec, s[8:9]
	s_cbranch_execnz .LBB56_3845
; %bb.1797:
	s_or_saveexec_b64 s[6:7], s[6:7]
	v_mov_b32_e32 v19, s10
	s_xor_b64 exec, exec, s[6:7]
	s_cbranch_execnz .LBB56_3848
.LBB56_1798:
	s_or_b64 exec, exec, s[6:7]
	s_and_saveexec_b64 s[6:7], s[4:5]
	s_cbranch_execz .LBB56_1800
.LBB56_1799:
	v_and_b32_e32 v19, 7, v8
	v_ffbh_u32_e32 v21, v19
	v_min_u32_e32 v21, 32, v21
	v_lshrrev_b16_e32 v20, 3, v8
	v_subrev_u32_e32 v22, 28, v21
	v_and_b32_e32 v20, 15, v20
	v_lshlrev_b32_e32 v22, v22, v8
	v_sub_u32_e32 v21, 29, v21
	v_and_b32_e32 v22, 7, v22
	v_cmp_eq_u16_e32 vcc, 0, v20
	v_cndmask_b32_e32 v19, v19, v22, vcc
	v_cndmask_b32_e32 v20, v20, v21, vcc
	v_lshlrev_b32_e32 v21, 24, v8
	v_mov_b32_e32 v22, 0x3b800000
	v_lshlrev_b32_e32 v19, 20, v19
	v_and_b32_e32 v21, 0x80000000, v21
	v_lshl_add_u32 v20, v20, 23, v22
	v_or3_b32 v19, v21, v20, v19
.LBB56_1800:
	s_or_b64 exec, exec, s[6:7]
	flat_load_dwordx4 a[0:3], v[16:17] offset:624
	s_movk_i32 s4, 0x7f
                                        ; implicit-def: $sgpr10
	s_waitcnt vmcnt(0) lgkmcnt(0)
	v_mfma_f32_16x16x4f32 a[0:3], v18, v19, a[0:3]
	v_lshrrev_b32_e32 v19, 8, v12
	v_cmp_gt_i16_sdwa s[6:7], v19, s4 src0_sel:BYTE_0 src1_sel:DWORD
	s_mov_b64 s[4:5], 0
	s_and_saveexec_b64 s[8:9], s[6:7]
	s_xor_b64 s[6:7], exec, s[8:9]
	s_cbranch_execnz .LBB56_3849
; %bb.1801:
	s_or_saveexec_b64 s[6:7], s[6:7]
	v_mov_b32_e32 v18, s10
	s_xor_b64 exec, exec, s[6:7]
	s_cbranch_execnz .LBB56_3852
.LBB56_1802:
	s_or_b64 exec, exec, s[6:7]
	s_and_saveexec_b64 s[6:7], s[4:5]
	s_cbranch_execz .LBB56_1804
.LBB56_1803:
	v_bfe_u32 v18, v12, 8, 3
	v_ffbh_u32_e32 v21, v18
	v_min_u32_e32 v21, 32, v21
	v_lshrrev_b16_e32 v20, 3, v19
	v_subrev_u32_e32 v22, 28, v21
	v_and_b32_e32 v20, 15, v20
	v_lshlrev_b32_e32 v19, v22, v19
	v_sub_u32_e32 v21, 29, v21
	v_and_b32_e32 v19, 7, v19
	v_cmp_eq_u16_e32 vcc, 0, v20
	v_cndmask_b32_e32 v18, v18, v19, vcc
	v_cndmask_b32_e32 v19, v20, v21, vcc
	v_lshlrev_b32_e32 v20, 16, v12
	v_mov_b32_e32 v21, 0x3b800000
	v_lshlrev_b32_e32 v18, 20, v18
	v_and_b32_e32 v20, 0x80000000, v20
	v_lshl_add_u32 v19, v19, 23, v21
	v_or3_b32 v18, v20, v19, v18
.LBB56_1804:
	s_or_b64 exec, exec, s[6:7]
	v_lshrrev_b32_e32 v19, 8, v8
	s_movk_i32 s4, 0x7f
	v_cmp_gt_i16_sdwa s[6:7], v19, s4 src0_sel:BYTE_0 src1_sel:DWORD
	s_mov_b64 s[4:5], 0
                                        ; implicit-def: $sgpr10
	s_and_saveexec_b64 s[8:9], s[6:7]
	s_xor_b64 s[6:7], exec, s[8:9]
	s_cbranch_execnz .LBB56_3853
; %bb.1805:
	s_or_saveexec_b64 s[6:7], s[6:7]
	v_mov_b32_e32 v20, s10
	s_xor_b64 exec, exec, s[6:7]
	s_cbranch_execnz .LBB56_3856
.LBB56_1806:
	s_or_b64 exec, exec, s[6:7]
	s_and_saveexec_b64 s[6:7], s[4:5]
	s_cbranch_execz .LBB56_1808
.LBB56_1807:
	v_bfe_u32 v20, v8, 8, 3
	v_ffbh_u32_e32 v22, v20
	v_min_u32_e32 v22, 32, v22
	v_lshrrev_b16_e32 v21, 3, v19
	v_subrev_u32_e32 v23, 28, v22
	v_and_b32_e32 v21, 15, v21
	v_lshlrev_b32_e32 v19, v23, v19
	v_sub_u32_e32 v22, 29, v22
	v_and_b32_e32 v19, 7, v19
	v_cmp_eq_u16_e32 vcc, 0, v21
	v_cndmask_b32_e32 v19, v20, v19, vcc
	v_cndmask_b32_e32 v20, v21, v22, vcc
	v_lshlrev_b32_e32 v21, 16, v8
	v_mov_b32_e32 v22, 0x3b800000
	v_lshlrev_b32_e32 v19, 20, v19
	v_and_b32_e32 v21, 0x80000000, v21
	v_lshl_add_u32 v20, v20, 23, v22
	v_or3_b32 v20, v21, v20, v19
.LBB56_1808:
	s_or_b64 exec, exec, s[6:7]
	s_nop 0
	v_mfma_f32_16x16x4f32 a[0:3], v18, v20, a[0:3]
	s_movk_i32 s4, 0xff
	v_and_b32_sdwa v19, v12, s4 dst_sel:DWORD dst_unused:UNUSED_PAD src0_sel:WORD_1 src1_sel:DWORD
	s_movk_i32 s4, 0x7f
	v_cmp_lt_i16_e32 vcc, s4, v19
	s_mov_b64 s[4:5], 0
                                        ; implicit-def: $sgpr10
	s_and_saveexec_b64 s[6:7], vcc
	s_xor_b64 s[6:7], exec, s[6:7]
	s_cbranch_execnz .LBB56_3857
; %bb.1809:
	s_or_saveexec_b64 s[6:7], s[6:7]
	v_mov_b32_e32 v18, s10
	s_xor_b64 exec, exec, s[6:7]
	s_cbranch_execnz .LBB56_3860
.LBB56_1810:
	s_or_b64 exec, exec, s[6:7]
	s_and_saveexec_b64 s[6:7], s[4:5]
	s_cbranch_execz .LBB56_1812
.LBB56_1811:
	v_bfe_u32 v18, v12, 16, 3
	v_ffbh_u32_e32 v21, v18
	v_min_u32_e32 v21, 32, v21
	v_lshrrev_b32_e32 v19, 19, v12
	v_subrev_u32_e32 v22, 28, v21
	v_and_b32_e32 v19, 15, v19
	v_lshlrev_b32_sdwa v22, v22, v12 dst_sel:DWORD dst_unused:UNUSED_PAD src0_sel:DWORD src1_sel:WORD_1
	v_bfe_u32 v20, v12, 19, 4
	v_sub_u32_e32 v21, 29, v21
	v_and_b32_e32 v22, 7, v22
	v_cmp_eq_u16_e32 vcc, 0, v19
	v_cndmask_b32_e32 v18, v18, v22, vcc
	v_cndmask_b32_e32 v19, v20, v21, vcc
	v_lshlrev_b32_e32 v20, 8, v12
	v_mov_b32_e32 v21, 0x3b800000
	v_lshlrev_b32_e32 v18, 20, v18
	v_and_b32_e32 v20, 0x80000000, v20
	v_lshl_add_u32 v19, v19, 23, v21
	v_or3_b32 v18, v20, v19, v18
.LBB56_1812:
	s_or_b64 exec, exec, s[6:7]
	s_movk_i32 s4, 0xff
	v_and_b32_sdwa v19, v8, s4 dst_sel:DWORD dst_unused:UNUSED_PAD src0_sel:WORD_1 src1_sel:DWORD
	s_movk_i32 s4, 0x7f
	v_cmp_lt_i16_e32 vcc, s4, v19
	s_mov_b64 s[4:5], 0
                                        ; implicit-def: $sgpr10
	s_and_saveexec_b64 s[6:7], vcc
	s_xor_b64 s[6:7], exec, s[6:7]
	s_cbranch_execnz .LBB56_3861
; %bb.1813:
	s_or_saveexec_b64 s[6:7], s[6:7]
	v_mov_b32_e32 v20, s10
	s_xor_b64 exec, exec, s[6:7]
	s_cbranch_execnz .LBB56_3864
.LBB56_1814:
	s_or_b64 exec, exec, s[6:7]
	s_and_saveexec_b64 s[6:7], s[4:5]
	s_cbranch_execz .LBB56_1816
.LBB56_1815:
	v_bfe_u32 v19, v8, 16, 3
	v_ffbh_u32_e32 v22, v19
	v_min_u32_e32 v22, 32, v22
	v_lshrrev_b32_e32 v20, 19, v8
	v_subrev_u32_e32 v23, 28, v22
	v_and_b32_e32 v20, 15, v20
	v_lshlrev_b32_sdwa v23, v23, v8 dst_sel:DWORD dst_unused:UNUSED_PAD src0_sel:DWORD src1_sel:WORD_1
	v_bfe_u32 v21, v8, 19, 4
	v_sub_u32_e32 v22, 29, v22
	v_and_b32_e32 v23, 7, v23
	v_cmp_eq_u16_e32 vcc, 0, v20
	v_cndmask_b32_e32 v19, v19, v23, vcc
	v_cndmask_b32_e32 v20, v21, v22, vcc
	v_lshlrev_b32_e32 v21, 8, v8
	v_mov_b32_e32 v22, 0x3b800000
	v_lshlrev_b32_e32 v19, 20, v19
	v_and_b32_e32 v21, 0x80000000, v21
	v_lshl_add_u32 v20, v20, 23, v22
	v_or3_b32 v20, v21, v20, v19
.LBB56_1816:
	s_or_b64 exec, exec, s[6:7]
	s_nop 0
	v_mfma_f32_16x16x4f32 a[0:3], v18, v20, a[0:3]
	s_movk_i32 s4, 0x7f
	v_cmp_gt_i16_sdwa s[6:7], v12, s4 src0_sel:BYTE_3 src1_sel:DWORD
	s_mov_b64 s[4:5], 0
                                        ; implicit-def: $sgpr10
	s_and_saveexec_b64 s[8:9], s[6:7]
	s_xor_b64 s[6:7], exec, s[8:9]
	s_cbranch_execnz .LBB56_3865
; %bb.1817:
	s_or_saveexec_b64 s[6:7], s[6:7]
	v_mov_b32_e32 v18, s10
	s_xor_b64 exec, exec, s[6:7]
	s_cbranch_execnz .LBB56_3868
.LBB56_1818:
	s_or_b64 exec, exec, s[6:7]
	s_and_saveexec_b64 s[6:7], s[4:5]
	s_cbranch_execz .LBB56_1820
.LBB56_1819:
	v_bfe_u32 v18, v12, 24, 3
	v_ffbh_u32_e32 v22, v18
	v_min_u32_e32 v22, 32, v22
	v_lshrrev_b32_e32 v20, 27, v12
	v_subrev_u32_e32 v23, 28, v22
	v_and_b32_e32 v19, 0x80000000, v12
	v_and_b32_e32 v20, 15, v20
	v_bfe_u32 v21, v12, 27, 4
	v_lshlrev_b32_sdwa v12, v23, v12 dst_sel:DWORD dst_unused:UNUSED_PAD src0_sel:DWORD src1_sel:BYTE_3
	v_sub_u32_e32 v22, 29, v22
	v_and_b32_e32 v12, 7, v12
	v_cmp_eq_u16_e32 vcc, 0, v20
	v_cndmask_b32_e32 v12, v18, v12, vcc
	v_cndmask_b32_e32 v18, v21, v22, vcc
	v_mov_b32_e32 v20, 0x3b800000
	v_lshlrev_b32_e32 v12, 20, v12
	v_lshl_add_u32 v18, v18, 23, v20
	v_or3_b32 v18, v19, v18, v12
.LBB56_1820:
	s_or_b64 exec, exec, s[6:7]
	s_movk_i32 s4, 0x7f
	v_cmp_gt_i16_sdwa s[6:7], v8, s4 src0_sel:BYTE_3 src1_sel:DWORD
	s_mov_b64 s[4:5], 0
                                        ; implicit-def: $sgpr10
	s_and_saveexec_b64 s[8:9], s[6:7]
	s_xor_b64 s[6:7], exec, s[8:9]
	s_cbranch_execnz .LBB56_3869
; %bb.1821:
	s_or_saveexec_b64 s[6:7], s[6:7]
	v_mov_b32_e32 v12, s10
	s_xor_b64 exec, exec, s[6:7]
	s_cbranch_execnz .LBB56_3872
.LBB56_1822:
	s_or_b64 exec, exec, s[6:7]
	s_and_saveexec_b64 s[6:7], s[4:5]
	s_cbranch_execz .LBB56_1824
.LBB56_1823:
	v_bfe_u32 v12, v8, 24, 3
	v_ffbh_u32_e32 v22, v12
	v_min_u32_e32 v22, 32, v22
	v_lshrrev_b32_e32 v20, 27, v8
	v_subrev_u32_e32 v23, 28, v22
	v_and_b32_e32 v19, 0x80000000, v8
	v_and_b32_e32 v20, 15, v20
	v_bfe_u32 v21, v8, 27, 4
	v_lshlrev_b32_sdwa v8, v23, v8 dst_sel:DWORD dst_unused:UNUSED_PAD src0_sel:DWORD src1_sel:BYTE_3
	v_sub_u32_e32 v22, 29, v22
	v_and_b32_e32 v8, 7, v8
	v_cmp_eq_u16_e32 vcc, 0, v20
	v_cndmask_b32_e32 v8, v12, v8, vcc
	v_cndmask_b32_e32 v12, v21, v22, vcc
	v_mov_b32_e32 v20, 0x3b800000
	v_lshlrev_b32_e32 v8, 20, v8
	v_lshl_add_u32 v12, v12, 23, v20
	v_or3_b32 v12, v19, v12, v8
.LBB56_1824:
	s_or_b64 exec, exec, s[6:7]
	s_nop 0
	v_mfma_f32_16x16x4f32 a[0:3], v18, v12, a[0:3]
	s_movk_i32 s4, 0x7f
	v_cmp_gt_i16_sdwa s[6:7], v13, s4 src0_sel:BYTE_0 src1_sel:DWORD
	s_mov_b64 s[4:5], 0
                                        ; implicit-def: $sgpr10
	s_and_saveexec_b64 s[8:9], s[6:7]
	s_xor_b64 s[6:7], exec, s[8:9]
	s_cbranch_execnz .LBB56_3873
; %bb.1825:
	s_or_saveexec_b64 s[6:7], s[6:7]
	v_mov_b32_e32 v8, s10
	s_xor_b64 exec, exec, s[6:7]
	s_cbranch_execnz .LBB56_3876
.LBB56_1826:
	s_or_b64 exec, exec, s[6:7]
	s_and_saveexec_b64 s[6:7], s[4:5]
	s_cbranch_execz .LBB56_1828
.LBB56_1827:
	v_and_b32_e32 v8, 7, v13
	v_ffbh_u32_e32 v18, v8
	v_min_u32_e32 v18, 32, v18
	v_lshrrev_b16_e32 v12, 3, v13
	v_subrev_u32_e32 v19, 28, v18
	v_and_b32_e32 v12, 15, v12
	v_lshlrev_b32_e32 v19, v19, v13
	v_sub_u32_e32 v18, 29, v18
	v_and_b32_e32 v19, 7, v19
	v_cmp_eq_u16_e32 vcc, 0, v12
	v_cndmask_b32_e32 v8, v8, v19, vcc
	v_cndmask_b32_e32 v12, v12, v18, vcc
	v_lshlrev_b32_e32 v18, 24, v13
	v_mov_b32_e32 v19, 0x3b800000
	v_lshlrev_b32_e32 v8, 20, v8
	v_and_b32_e32 v18, 0x80000000, v18
	v_lshl_add_u32 v12, v12, 23, v19
	v_or3_b32 v8, v18, v12, v8
.LBB56_1828:
	s_or_b64 exec, exec, s[6:7]
	s_movk_i32 s4, 0x7f
	v_cmp_gt_i16_sdwa s[6:7], v9, s4 src0_sel:BYTE_0 src1_sel:DWORD
	s_mov_b64 s[4:5], 0
                                        ; implicit-def: $sgpr10
	s_and_saveexec_b64 s[8:9], s[6:7]
	s_xor_b64 s[6:7], exec, s[8:9]
	s_cbranch_execnz .LBB56_3877
; %bb.1829:
	s_or_saveexec_b64 s[6:7], s[6:7]
	v_mov_b32_e32 v12, s10
	s_xor_b64 exec, exec, s[6:7]
	s_cbranch_execnz .LBB56_3880
.LBB56_1830:
	s_or_b64 exec, exec, s[6:7]
	s_and_saveexec_b64 s[6:7], s[4:5]
	s_cbranch_execz .LBB56_1832
.LBB56_1831:
	v_and_b32_e32 v12, 7, v9
	v_ffbh_u32_e32 v19, v12
	v_min_u32_e32 v19, 32, v19
	v_lshrrev_b16_e32 v18, 3, v9
	v_subrev_u32_e32 v20, 28, v19
	v_and_b32_e32 v18, 15, v18
	v_lshlrev_b32_e32 v20, v20, v9
	v_sub_u32_e32 v19, 29, v19
	v_and_b32_e32 v20, 7, v20
	v_cmp_eq_u16_e32 vcc, 0, v18
	v_cndmask_b32_e32 v12, v12, v20, vcc
	v_cndmask_b32_e32 v18, v18, v19, vcc
	v_lshlrev_b32_e32 v19, 24, v9
	v_mov_b32_e32 v20, 0x3b800000
	v_lshlrev_b32_e32 v12, 20, v12
	v_and_b32_e32 v19, 0x80000000, v19
	v_lshl_add_u32 v18, v18, 23, v20
	v_or3_b32 v12, v19, v18, v12
.LBB56_1832:
	s_or_b64 exec, exec, s[6:7]
	s_nop 0
	v_mfma_f32_16x16x4f32 a[0:3], v8, v12, a[0:3]
	v_lshrrev_b32_e32 v12, 8, v13
	s_movk_i32 s4, 0x7f
	v_cmp_gt_i16_sdwa s[6:7], v12, s4 src0_sel:BYTE_0 src1_sel:DWORD
	s_mov_b64 s[4:5], 0
                                        ; implicit-def: $sgpr10
	s_and_saveexec_b64 s[8:9], s[6:7]
	s_xor_b64 s[6:7], exec, s[8:9]
	s_cbranch_execnz .LBB56_3881
; %bb.1833:
	s_or_saveexec_b64 s[6:7], s[6:7]
	v_mov_b32_e32 v8, s10
	s_xor_b64 exec, exec, s[6:7]
	s_cbranch_execnz .LBB56_3884
.LBB56_1834:
	s_or_b64 exec, exec, s[6:7]
	s_and_saveexec_b64 s[6:7], s[4:5]
	s_cbranch_execz .LBB56_1836
.LBB56_1835:
	v_bfe_u32 v8, v13, 8, 3
	v_ffbh_u32_e32 v19, v8
	v_min_u32_e32 v19, 32, v19
	v_lshrrev_b16_e32 v18, 3, v12
	v_subrev_u32_e32 v20, 28, v19
	v_and_b32_e32 v18, 15, v18
	v_lshlrev_b32_e32 v12, v20, v12
	v_sub_u32_e32 v19, 29, v19
	v_and_b32_e32 v12, 7, v12
	v_cmp_eq_u16_e32 vcc, 0, v18
	v_cndmask_b32_e32 v8, v8, v12, vcc
	v_cndmask_b32_e32 v12, v18, v19, vcc
	v_lshlrev_b32_e32 v18, 16, v13
	v_mov_b32_e32 v19, 0x3b800000
	v_lshlrev_b32_e32 v8, 20, v8
	v_and_b32_e32 v18, 0x80000000, v18
	v_lshl_add_u32 v12, v12, 23, v19
	v_or3_b32 v8, v18, v12, v8
.LBB56_1836:
	s_or_b64 exec, exec, s[6:7]
	v_lshrrev_b32_e32 v12, 8, v9
	s_movk_i32 s4, 0x7f
	v_cmp_gt_i16_sdwa s[6:7], v12, s4 src0_sel:BYTE_0 src1_sel:DWORD
	s_mov_b64 s[4:5], 0
                                        ; implicit-def: $sgpr10
	s_and_saveexec_b64 s[8:9], s[6:7]
	s_xor_b64 s[6:7], exec, s[8:9]
	s_cbranch_execnz .LBB56_3885
; %bb.1837:
	s_or_saveexec_b64 s[6:7], s[6:7]
	v_mov_b32_e32 v18, s10
	s_xor_b64 exec, exec, s[6:7]
	s_cbranch_execnz .LBB56_3888
.LBB56_1838:
	s_or_b64 exec, exec, s[6:7]
	s_and_saveexec_b64 s[6:7], s[4:5]
	s_cbranch_execz .LBB56_1840
.LBB56_1839:
	v_bfe_u32 v18, v9, 8, 3
	v_ffbh_u32_e32 v20, v18
	v_min_u32_e32 v20, 32, v20
	v_lshrrev_b16_e32 v19, 3, v12
	v_subrev_u32_e32 v21, 28, v20
	v_and_b32_e32 v19, 15, v19
	v_lshlrev_b32_e32 v12, v21, v12
	v_sub_u32_e32 v20, 29, v20
	v_and_b32_e32 v12, 7, v12
	v_cmp_eq_u16_e32 vcc, 0, v19
	v_cndmask_b32_e32 v12, v18, v12, vcc
	v_cndmask_b32_e32 v18, v19, v20, vcc
	v_lshlrev_b32_e32 v19, 16, v9
	v_mov_b32_e32 v20, 0x3b800000
	v_lshlrev_b32_e32 v12, 20, v12
	v_and_b32_e32 v19, 0x80000000, v19
	v_lshl_add_u32 v18, v18, 23, v20
	v_or3_b32 v18, v19, v18, v12
.LBB56_1840:
	s_or_b64 exec, exec, s[6:7]
	s_nop 0
	v_mfma_f32_16x16x4f32 a[0:3], v8, v18, a[0:3]
	s_movk_i32 s4, 0xff
	v_and_b32_sdwa v12, v13, s4 dst_sel:DWORD dst_unused:UNUSED_PAD src0_sel:WORD_1 src1_sel:DWORD
	s_movk_i32 s4, 0x7f
	v_cmp_lt_i16_e32 vcc, s4, v12
	s_mov_b64 s[4:5], 0
                                        ; implicit-def: $sgpr10
	s_and_saveexec_b64 s[6:7], vcc
	s_xor_b64 s[6:7], exec, s[6:7]
	s_cbranch_execnz .LBB56_3889
; %bb.1841:
	s_or_saveexec_b64 s[6:7], s[6:7]
	v_mov_b32_e32 v8, s10
	s_xor_b64 exec, exec, s[6:7]
	s_cbranch_execnz .LBB56_3892
.LBB56_1842:
	s_or_b64 exec, exec, s[6:7]
	s_and_saveexec_b64 s[6:7], s[4:5]
	s_cbranch_execz .LBB56_1844
.LBB56_1843:
	v_bfe_u32 v8, v13, 16, 3
	v_ffbh_u32_e32 v19, v8
	v_min_u32_e32 v19, 32, v19
	v_lshrrev_b32_e32 v12, 19, v13
	v_subrev_u32_e32 v20, 28, v19
	v_and_b32_e32 v12, 15, v12
	v_lshlrev_b32_sdwa v20, v20, v13 dst_sel:DWORD dst_unused:UNUSED_PAD src0_sel:DWORD src1_sel:WORD_1
	v_bfe_u32 v18, v13, 19, 4
	v_sub_u32_e32 v19, 29, v19
	v_and_b32_e32 v20, 7, v20
	v_cmp_eq_u16_e32 vcc, 0, v12
	v_cndmask_b32_e32 v8, v8, v20, vcc
	v_cndmask_b32_e32 v12, v18, v19, vcc
	v_lshlrev_b32_e32 v18, 8, v13
	v_mov_b32_e32 v19, 0x3b800000
	v_lshlrev_b32_e32 v8, 20, v8
	v_and_b32_e32 v18, 0x80000000, v18
	v_lshl_add_u32 v12, v12, 23, v19
	v_or3_b32 v8, v18, v12, v8
.LBB56_1844:
	s_or_b64 exec, exec, s[6:7]
	s_movk_i32 s4, 0xff
	v_and_b32_sdwa v12, v9, s4 dst_sel:DWORD dst_unused:UNUSED_PAD src0_sel:WORD_1 src1_sel:DWORD
	s_movk_i32 s4, 0x7f
	v_cmp_lt_i16_e32 vcc, s4, v12
	s_mov_b64 s[4:5], 0
                                        ; implicit-def: $sgpr10
	s_and_saveexec_b64 s[6:7], vcc
	s_xor_b64 s[6:7], exec, s[6:7]
	s_cbranch_execnz .LBB56_3893
; %bb.1845:
	s_or_saveexec_b64 s[6:7], s[6:7]
	v_mov_b32_e32 v18, s10
	s_xor_b64 exec, exec, s[6:7]
	s_cbranch_execnz .LBB56_3896
.LBB56_1846:
	s_or_b64 exec, exec, s[6:7]
	s_and_saveexec_b64 s[6:7], s[4:5]
	s_cbranch_execz .LBB56_1848
.LBB56_1847:
	v_bfe_u32 v12, v9, 16, 3
	v_ffbh_u32_e32 v20, v12
	v_min_u32_e32 v20, 32, v20
	v_lshrrev_b32_e32 v18, 19, v9
	v_subrev_u32_e32 v21, 28, v20
	v_and_b32_e32 v18, 15, v18
	v_lshlrev_b32_sdwa v21, v21, v9 dst_sel:DWORD dst_unused:UNUSED_PAD src0_sel:DWORD src1_sel:WORD_1
	v_bfe_u32 v19, v9, 19, 4
	v_sub_u32_e32 v20, 29, v20
	v_and_b32_e32 v21, 7, v21
	v_cmp_eq_u16_e32 vcc, 0, v18
	v_cndmask_b32_e32 v12, v12, v21, vcc
	v_cndmask_b32_e32 v18, v19, v20, vcc
	v_lshlrev_b32_e32 v19, 8, v9
	v_mov_b32_e32 v20, 0x3b800000
	v_lshlrev_b32_e32 v12, 20, v12
	v_and_b32_e32 v19, 0x80000000, v19
	v_lshl_add_u32 v18, v18, 23, v20
	v_or3_b32 v18, v19, v18, v12
.LBB56_1848:
	s_or_b64 exec, exec, s[6:7]
	s_nop 0
	v_mfma_f32_16x16x4f32 a[0:3], v8, v18, a[0:3]
	s_movk_i32 s4, 0x7f
	v_cmp_gt_i16_sdwa s[6:7], v13, s4 src0_sel:BYTE_3 src1_sel:DWORD
	s_mov_b64 s[4:5], 0
                                        ; implicit-def: $sgpr10
	s_and_saveexec_b64 s[8:9], s[6:7]
	s_xor_b64 s[6:7], exec, s[8:9]
	s_cbranch_execnz .LBB56_3897
; %bb.1849:
	s_or_saveexec_b64 s[6:7], s[6:7]
	v_mov_b32_e32 v8, s10
	s_xor_b64 exec, exec, s[6:7]
	s_cbranch_execnz .LBB56_3900
.LBB56_1850:
	s_or_b64 exec, exec, s[6:7]
	s_and_saveexec_b64 s[6:7], s[4:5]
	s_cbranch_execz .LBB56_1852
.LBB56_1851:
	v_bfe_u32 v8, v13, 24, 3
	v_ffbh_u32_e32 v20, v8
	v_min_u32_e32 v20, 32, v20
	v_lshrrev_b32_e32 v18, 27, v13
	v_subrev_u32_e32 v21, 28, v20
	v_and_b32_e32 v12, 0x80000000, v13
	v_and_b32_e32 v18, 15, v18
	v_bfe_u32 v19, v13, 27, 4
	v_lshlrev_b32_sdwa v13, v21, v13 dst_sel:DWORD dst_unused:UNUSED_PAD src0_sel:DWORD src1_sel:BYTE_3
	v_sub_u32_e32 v20, 29, v20
	v_and_b32_e32 v13, 7, v13
	v_cmp_eq_u16_e32 vcc, 0, v18
	v_cndmask_b32_e32 v8, v8, v13, vcc
	v_cndmask_b32_e32 v13, v19, v20, vcc
	v_mov_b32_e32 v18, 0x3b800000
	v_lshlrev_b32_e32 v8, 20, v8
	v_lshl_add_u32 v13, v13, 23, v18
	v_or3_b32 v8, v12, v13, v8
.LBB56_1852:
	s_or_b64 exec, exec, s[6:7]
	s_movk_i32 s4, 0x7f
	v_cmp_gt_i16_sdwa s[6:7], v9, s4 src0_sel:BYTE_3 src1_sel:DWORD
	s_mov_b64 s[4:5], 0
                                        ; implicit-def: $sgpr10
	s_and_saveexec_b64 s[8:9], s[6:7]
	s_xor_b64 s[6:7], exec, s[8:9]
	s_cbranch_execnz .LBB56_3901
; %bb.1853:
	s_or_saveexec_b64 s[6:7], s[6:7]
	v_mov_b32_e32 v12, s10
	s_xor_b64 exec, exec, s[6:7]
	s_cbranch_execnz .LBB56_3904
.LBB56_1854:
	s_or_b64 exec, exec, s[6:7]
	s_and_saveexec_b64 s[6:7], s[4:5]
	s_cbranch_execz .LBB56_1856
.LBB56_1855:
	v_bfe_u32 v12, v9, 24, 3
	v_ffbh_u32_e32 v20, v12
	v_min_u32_e32 v20, 32, v20
	v_lshrrev_b32_e32 v18, 27, v9
	v_subrev_u32_e32 v21, 28, v20
	v_and_b32_e32 v13, 0x80000000, v9
	v_and_b32_e32 v18, 15, v18
	v_bfe_u32 v19, v9, 27, 4
	v_lshlrev_b32_sdwa v9, v21, v9 dst_sel:DWORD dst_unused:UNUSED_PAD src0_sel:DWORD src1_sel:BYTE_3
	v_sub_u32_e32 v20, 29, v20
	v_and_b32_e32 v9, 7, v9
	v_cmp_eq_u16_e32 vcc, 0, v18
	v_cndmask_b32_e32 v9, v12, v9, vcc
	v_cndmask_b32_e32 v12, v19, v20, vcc
	v_mov_b32_e32 v18, 0x3b800000
	v_lshlrev_b32_e32 v9, 20, v9
	v_lshl_add_u32 v12, v12, 23, v18
	v_or3_b32 v12, v13, v12, v9
.LBB56_1856:
	s_or_b64 exec, exec, s[6:7]
	s_nop 0
	v_mfma_f32_16x16x4f32 a[0:3], v8, v12, a[0:3]
	s_movk_i32 s4, 0x7f
	v_cmp_gt_i16_sdwa s[6:7], v14, s4 src0_sel:BYTE_0 src1_sel:DWORD
	s_mov_b64 s[4:5], 0
                                        ; implicit-def: $sgpr10
	s_and_saveexec_b64 s[8:9], s[6:7]
	s_xor_b64 s[6:7], exec, s[8:9]
	s_cbranch_execnz .LBB56_3905
; %bb.1857:
	s_or_saveexec_b64 s[6:7], s[6:7]
	v_mov_b32_e32 v8, s10
	s_xor_b64 exec, exec, s[6:7]
	s_cbranch_execnz .LBB56_3908
.LBB56_1858:
	s_or_b64 exec, exec, s[6:7]
	s_and_saveexec_b64 s[6:7], s[4:5]
	s_cbranch_execz .LBB56_1860
.LBB56_1859:
	v_and_b32_e32 v8, 7, v14
	v_ffbh_u32_e32 v12, v8
	v_min_u32_e32 v12, 32, v12
	v_lshrrev_b16_e32 v9, 3, v14
	v_subrev_u32_e32 v13, 28, v12
	v_and_b32_e32 v9, 15, v9
	v_lshlrev_b32_e32 v13, v13, v14
	v_sub_u32_e32 v12, 29, v12
	v_and_b32_e32 v13, 7, v13
	v_cmp_eq_u16_e32 vcc, 0, v9
	v_cndmask_b32_e32 v8, v8, v13, vcc
	v_cndmask_b32_e32 v9, v9, v12, vcc
	v_lshlrev_b32_e32 v12, 24, v14
	v_mov_b32_e32 v13, 0x3b800000
	v_lshlrev_b32_e32 v8, 20, v8
	v_and_b32_e32 v12, 0x80000000, v12
	v_lshl_add_u32 v9, v9, 23, v13
	v_or3_b32 v8, v12, v9, v8
.LBB56_1860:
	s_or_b64 exec, exec, s[6:7]
	s_movk_i32 s4, 0x7f
	v_cmp_gt_i16_sdwa s[6:7], v10, s4 src0_sel:BYTE_0 src1_sel:DWORD
	s_mov_b64 s[4:5], 0
                                        ; implicit-def: $sgpr10
	s_and_saveexec_b64 s[8:9], s[6:7]
	s_xor_b64 s[6:7], exec, s[8:9]
	s_cbranch_execnz .LBB56_3909
; %bb.1861:
	s_or_saveexec_b64 s[6:7], s[6:7]
	v_mov_b32_e32 v9, s10
	s_xor_b64 exec, exec, s[6:7]
	s_cbranch_execnz .LBB56_3912
.LBB56_1862:
	s_or_b64 exec, exec, s[6:7]
	s_and_saveexec_b64 s[6:7], s[4:5]
	s_cbranch_execz .LBB56_1864
.LBB56_1863:
	v_and_b32_e32 v9, 7, v10
	v_ffbh_u32_e32 v13, v9
	v_min_u32_e32 v13, 32, v13
	v_lshrrev_b16_e32 v12, 3, v10
	v_subrev_u32_e32 v18, 28, v13
	v_and_b32_e32 v12, 15, v12
	v_lshlrev_b32_e32 v18, v18, v10
	v_sub_u32_e32 v13, 29, v13
	v_and_b32_e32 v18, 7, v18
	v_cmp_eq_u16_e32 vcc, 0, v12
	v_cndmask_b32_e32 v9, v9, v18, vcc
	v_cndmask_b32_e32 v12, v12, v13, vcc
	v_lshlrev_b32_e32 v13, 24, v10
	v_mov_b32_e32 v18, 0x3b800000
	v_lshlrev_b32_e32 v9, 20, v9
	v_and_b32_e32 v13, 0x80000000, v13
	v_lshl_add_u32 v12, v12, 23, v18
	v_or3_b32 v9, v13, v12, v9
.LBB56_1864:
	s_or_b64 exec, exec, s[6:7]
	s_nop 0
	v_mfma_f32_16x16x4f32 a[0:3], v8, v9, a[0:3]
	v_lshrrev_b32_e32 v9, 8, v14
	s_movk_i32 s4, 0x7f
	v_cmp_gt_i16_sdwa s[6:7], v9, s4 src0_sel:BYTE_0 src1_sel:DWORD
	s_mov_b64 s[4:5], 0
                                        ; implicit-def: $sgpr10
	s_and_saveexec_b64 s[8:9], s[6:7]
	s_xor_b64 s[6:7], exec, s[8:9]
	s_cbranch_execnz .LBB56_3913
; %bb.1865:
	s_or_saveexec_b64 s[6:7], s[6:7]
	v_mov_b32_e32 v8, s10
	s_xor_b64 exec, exec, s[6:7]
	s_cbranch_execnz .LBB56_3916
.LBB56_1866:
	s_or_b64 exec, exec, s[6:7]
	s_and_saveexec_b64 s[6:7], s[4:5]
	s_cbranch_execz .LBB56_1868
.LBB56_1867:
	v_bfe_u32 v8, v14, 8, 3
	v_ffbh_u32_e32 v13, v8
	v_min_u32_e32 v13, 32, v13
	v_lshrrev_b16_e32 v12, 3, v9
	v_subrev_u32_e32 v18, 28, v13
	v_and_b32_e32 v12, 15, v12
	v_lshlrev_b32_e32 v9, v18, v9
	v_sub_u32_e32 v13, 29, v13
	v_and_b32_e32 v9, 7, v9
	v_cmp_eq_u16_e32 vcc, 0, v12
	v_cndmask_b32_e32 v8, v8, v9, vcc
	v_cndmask_b32_e32 v9, v12, v13, vcc
	v_lshlrev_b32_e32 v12, 16, v14
	v_mov_b32_e32 v13, 0x3b800000
	v_lshlrev_b32_e32 v8, 20, v8
	v_and_b32_e32 v12, 0x80000000, v12
	v_lshl_add_u32 v9, v9, 23, v13
	v_or3_b32 v8, v12, v9, v8
.LBB56_1868:
	s_or_b64 exec, exec, s[6:7]
	v_lshrrev_b32_e32 v9, 8, v10
	s_movk_i32 s4, 0x7f
	v_cmp_gt_i16_sdwa s[6:7], v9, s4 src0_sel:BYTE_0 src1_sel:DWORD
	s_mov_b64 s[4:5], 0
                                        ; implicit-def: $sgpr10
	s_and_saveexec_b64 s[8:9], s[6:7]
	s_xor_b64 s[6:7], exec, s[8:9]
	s_cbranch_execnz .LBB56_3917
; %bb.1869:
	s_or_saveexec_b64 s[6:7], s[6:7]
	v_mov_b32_e32 v12, s10
	s_xor_b64 exec, exec, s[6:7]
	s_cbranch_execnz .LBB56_3920
.LBB56_1870:
	s_or_b64 exec, exec, s[6:7]
	s_and_saveexec_b64 s[6:7], s[4:5]
	s_cbranch_execz .LBB56_1872
.LBB56_1871:
	v_bfe_u32 v12, v10, 8, 3
	v_ffbh_u32_e32 v18, v12
	v_min_u32_e32 v18, 32, v18
	v_lshrrev_b16_e32 v13, 3, v9
	v_subrev_u32_e32 v19, 28, v18
	v_and_b32_e32 v13, 15, v13
	v_lshlrev_b32_e32 v9, v19, v9
	v_sub_u32_e32 v18, 29, v18
	v_and_b32_e32 v9, 7, v9
	v_cmp_eq_u16_e32 vcc, 0, v13
	v_cndmask_b32_e32 v9, v12, v9, vcc
	v_cndmask_b32_e32 v12, v13, v18, vcc
	v_lshlrev_b32_e32 v13, 16, v10
	v_mov_b32_e32 v18, 0x3b800000
	v_lshlrev_b32_e32 v9, 20, v9
	v_and_b32_e32 v13, 0x80000000, v13
	v_lshl_add_u32 v12, v12, 23, v18
	v_or3_b32 v12, v13, v12, v9
.LBB56_1872:
	s_or_b64 exec, exec, s[6:7]
	s_nop 0
	v_mfma_f32_16x16x4f32 a[0:3], v8, v12, a[0:3]
	s_movk_i32 s4, 0xff
	v_and_b32_sdwa v9, v14, s4 dst_sel:DWORD dst_unused:UNUSED_PAD src0_sel:WORD_1 src1_sel:DWORD
	s_movk_i32 s4, 0x7f
	v_cmp_lt_i16_e32 vcc, s4, v9
	s_mov_b64 s[4:5], 0
                                        ; implicit-def: $sgpr10
	s_and_saveexec_b64 s[6:7], vcc
	s_xor_b64 s[6:7], exec, s[6:7]
	s_cbranch_execnz .LBB56_3921
; %bb.1873:
	s_or_saveexec_b64 s[6:7], s[6:7]
	v_mov_b32_e32 v8, s10
	s_xor_b64 exec, exec, s[6:7]
	s_cbranch_execnz .LBB56_3924
.LBB56_1874:
	s_or_b64 exec, exec, s[6:7]
	s_and_saveexec_b64 s[6:7], s[4:5]
	s_cbranch_execz .LBB56_1876
.LBB56_1875:
	v_bfe_u32 v8, v14, 16, 3
	v_ffbh_u32_e32 v13, v8
	v_min_u32_e32 v13, 32, v13
	v_lshrrev_b32_e32 v9, 19, v14
	v_subrev_u32_e32 v18, 28, v13
	v_and_b32_e32 v9, 15, v9
	v_lshlrev_b32_sdwa v18, v18, v14 dst_sel:DWORD dst_unused:UNUSED_PAD src0_sel:DWORD src1_sel:WORD_1
	v_bfe_u32 v12, v14, 19, 4
	v_sub_u32_e32 v13, 29, v13
	v_and_b32_e32 v18, 7, v18
	v_cmp_eq_u16_e32 vcc, 0, v9
	v_cndmask_b32_e32 v8, v8, v18, vcc
	v_cndmask_b32_e32 v9, v12, v13, vcc
	v_lshlrev_b32_e32 v12, 8, v14
	v_mov_b32_e32 v13, 0x3b800000
	v_lshlrev_b32_e32 v8, 20, v8
	v_and_b32_e32 v12, 0x80000000, v12
	v_lshl_add_u32 v9, v9, 23, v13
	v_or3_b32 v8, v12, v9, v8
.LBB56_1876:
	s_or_b64 exec, exec, s[6:7]
	s_movk_i32 s4, 0xff
	v_and_b32_sdwa v9, v10, s4 dst_sel:DWORD dst_unused:UNUSED_PAD src0_sel:WORD_1 src1_sel:DWORD
	s_movk_i32 s4, 0x7f
	v_cmp_lt_i16_e32 vcc, s4, v9
	s_mov_b64 s[4:5], 0
                                        ; implicit-def: $sgpr10
	s_and_saveexec_b64 s[6:7], vcc
	s_xor_b64 s[6:7], exec, s[6:7]
	s_cbranch_execnz .LBB56_3925
; %bb.1877:
	s_or_saveexec_b64 s[6:7], s[6:7]
	v_mov_b32_e32 v12, s10
	s_xor_b64 exec, exec, s[6:7]
	s_cbranch_execnz .LBB56_3928
.LBB56_1878:
	s_or_b64 exec, exec, s[6:7]
	s_and_saveexec_b64 s[6:7], s[4:5]
	s_cbranch_execz .LBB56_1880
.LBB56_1879:
	v_bfe_u32 v9, v10, 16, 3
	v_ffbh_u32_e32 v18, v9
	v_min_u32_e32 v18, 32, v18
	v_lshrrev_b32_e32 v12, 19, v10
	v_subrev_u32_e32 v19, 28, v18
	v_and_b32_e32 v12, 15, v12
	v_lshlrev_b32_sdwa v19, v19, v10 dst_sel:DWORD dst_unused:UNUSED_PAD src0_sel:DWORD src1_sel:WORD_1
	v_bfe_u32 v13, v10, 19, 4
	v_sub_u32_e32 v18, 29, v18
	v_and_b32_e32 v19, 7, v19
	v_cmp_eq_u16_e32 vcc, 0, v12
	v_cndmask_b32_e32 v9, v9, v19, vcc
	v_cndmask_b32_e32 v12, v13, v18, vcc
	v_lshlrev_b32_e32 v13, 8, v10
	v_mov_b32_e32 v18, 0x3b800000
	v_lshlrev_b32_e32 v9, 20, v9
	v_and_b32_e32 v13, 0x80000000, v13
	v_lshl_add_u32 v12, v12, 23, v18
	v_or3_b32 v12, v13, v12, v9
.LBB56_1880:
	s_or_b64 exec, exec, s[6:7]
	s_nop 0
	v_mfma_f32_16x16x4f32 a[0:3], v8, v12, a[0:3]
	s_movk_i32 s4, 0x7f
	v_cmp_gt_i16_sdwa s[6:7], v14, s4 src0_sel:BYTE_3 src1_sel:DWORD
	s_mov_b64 s[4:5], 0
                                        ; implicit-def: $sgpr10
	s_and_saveexec_b64 s[8:9], s[6:7]
	s_xor_b64 s[6:7], exec, s[8:9]
	s_cbranch_execnz .LBB56_3929
; %bb.1881:
	s_or_saveexec_b64 s[6:7], s[6:7]
	v_mov_b32_e32 v8, s10
	s_xor_b64 exec, exec, s[6:7]
	s_cbranch_execnz .LBB56_3932
.LBB56_1882:
	s_or_b64 exec, exec, s[6:7]
	s_and_saveexec_b64 s[6:7], s[4:5]
	s_cbranch_execz .LBB56_1884
.LBB56_1883:
	v_bfe_u32 v8, v14, 24, 3
	v_ffbh_u32_e32 v18, v8
	v_min_u32_e32 v18, 32, v18
	v_lshrrev_b32_e32 v12, 27, v14
	v_subrev_u32_e32 v19, 28, v18
	v_and_b32_e32 v9, 0x80000000, v14
	v_and_b32_e32 v12, 15, v12
	v_bfe_u32 v13, v14, 27, 4
	v_lshlrev_b32_sdwa v14, v19, v14 dst_sel:DWORD dst_unused:UNUSED_PAD src0_sel:DWORD src1_sel:BYTE_3
	v_sub_u32_e32 v18, 29, v18
	v_and_b32_e32 v14, 7, v14
	v_cmp_eq_u16_e32 vcc, 0, v12
	v_cndmask_b32_e32 v8, v8, v14, vcc
	v_cndmask_b32_e32 v12, v13, v18, vcc
	v_mov_b32_e32 v13, 0x3b800000
	v_lshlrev_b32_e32 v8, 20, v8
	v_lshl_add_u32 v12, v12, 23, v13
	v_or3_b32 v8, v9, v12, v8
.LBB56_1884:
	s_or_b64 exec, exec, s[6:7]
	s_movk_i32 s4, 0x7f
	v_cmp_gt_i16_sdwa s[6:7], v10, s4 src0_sel:BYTE_3 src1_sel:DWORD
	s_mov_b64 s[4:5], 0
                                        ; implicit-def: $sgpr10
	s_and_saveexec_b64 s[8:9], s[6:7]
	s_xor_b64 s[6:7], exec, s[8:9]
	s_cbranch_execnz .LBB56_3933
; %bb.1885:
	s_or_saveexec_b64 s[6:7], s[6:7]
	v_mov_b32_e32 v9, s10
	s_xor_b64 exec, exec, s[6:7]
	s_cbranch_execnz .LBB56_3936
.LBB56_1886:
	s_or_b64 exec, exec, s[6:7]
	s_and_saveexec_b64 s[6:7], s[4:5]
	s_cbranch_execz .LBB56_1888
.LBB56_1887:
	v_bfe_u32 v9, v10, 24, 3
	v_ffbh_u32_e32 v18, v9
	v_min_u32_e32 v18, 32, v18
	v_lshrrev_b32_e32 v13, 27, v10
	v_subrev_u32_e32 v19, 28, v18
	v_and_b32_e32 v12, 0x80000000, v10
	v_and_b32_e32 v13, 15, v13
	v_bfe_u32 v14, v10, 27, 4
	v_lshlrev_b32_sdwa v10, v19, v10 dst_sel:DWORD dst_unused:UNUSED_PAD src0_sel:DWORD src1_sel:BYTE_3
	v_sub_u32_e32 v18, 29, v18
	v_and_b32_e32 v10, 7, v10
	v_cmp_eq_u16_e32 vcc, 0, v13
	v_cndmask_b32_e32 v9, v9, v10, vcc
	v_cndmask_b32_e32 v10, v14, v18, vcc
	v_mov_b32_e32 v13, 0x3b800000
	v_lshlrev_b32_e32 v9, 20, v9
	v_lshl_add_u32 v10, v10, 23, v13
	v_or3_b32 v9, v12, v10, v9
.LBB56_1888:
	s_or_b64 exec, exec, s[6:7]
	s_nop 0
	v_mfma_f32_16x16x4f32 a[0:3], v8, v9, a[0:3]
	s_movk_i32 s4, 0x7f
	v_cmp_gt_i16_sdwa s[6:7], v15, s4 src0_sel:BYTE_0 src1_sel:DWORD
	s_mov_b64 s[4:5], 0
                                        ; implicit-def: $sgpr10
	s_and_saveexec_b64 s[8:9], s[6:7]
	s_xor_b64 s[6:7], exec, s[8:9]
	s_cbranch_execnz .LBB56_3937
; %bb.1889:
	s_or_saveexec_b64 s[6:7], s[6:7]
	v_mov_b32_e32 v8, s10
	s_xor_b64 exec, exec, s[6:7]
	s_cbranch_execnz .LBB56_3940
.LBB56_1890:
	s_or_b64 exec, exec, s[6:7]
	s_and_saveexec_b64 s[6:7], s[4:5]
	s_cbranch_execz .LBB56_1892
.LBB56_1891:
	v_and_b32_e32 v8, 7, v15
	v_ffbh_u32_e32 v10, v8
	v_min_u32_e32 v10, 32, v10
	v_lshrrev_b16_e32 v9, 3, v15
	v_subrev_u32_e32 v12, 28, v10
	v_and_b32_e32 v9, 15, v9
	v_lshlrev_b32_e32 v12, v12, v15
	v_sub_u32_e32 v10, 29, v10
	v_and_b32_e32 v12, 7, v12
	v_cmp_eq_u16_e32 vcc, 0, v9
	v_cndmask_b32_e32 v8, v8, v12, vcc
	v_cndmask_b32_e32 v9, v9, v10, vcc
	v_lshlrev_b32_e32 v10, 24, v15
	v_mov_b32_e32 v12, 0x3b800000
	v_lshlrev_b32_e32 v8, 20, v8
	v_and_b32_e32 v10, 0x80000000, v10
	v_lshl_add_u32 v9, v9, 23, v12
	v_or3_b32 v8, v10, v9, v8
.LBB56_1892:
	s_or_b64 exec, exec, s[6:7]
	s_movk_i32 s4, 0x7f
	v_cmp_gt_i16_sdwa s[6:7], v11, s4 src0_sel:BYTE_0 src1_sel:DWORD
	s_mov_b64 s[4:5], 0
                                        ; implicit-def: $sgpr10
	s_and_saveexec_b64 s[8:9], s[6:7]
	s_xor_b64 s[6:7], exec, s[8:9]
	s_cbranch_execnz .LBB56_3941
; %bb.1893:
	s_or_saveexec_b64 s[6:7], s[6:7]
	v_mov_b32_e32 v9, s10
	s_xor_b64 exec, exec, s[6:7]
	s_cbranch_execnz .LBB56_3944
.LBB56_1894:
	s_or_b64 exec, exec, s[6:7]
	s_and_saveexec_b64 s[6:7], s[4:5]
	s_cbranch_execz .LBB56_1896
.LBB56_1895:
	v_and_b32_e32 v9, 7, v11
	v_ffbh_u32_e32 v12, v9
	v_min_u32_e32 v12, 32, v12
	v_lshrrev_b16_e32 v10, 3, v11
	v_subrev_u32_e32 v13, 28, v12
	v_and_b32_e32 v10, 15, v10
	v_lshlrev_b32_e32 v13, v13, v11
	v_sub_u32_e32 v12, 29, v12
	v_and_b32_e32 v13, 7, v13
	v_cmp_eq_u16_e32 vcc, 0, v10
	v_cndmask_b32_e32 v9, v9, v13, vcc
	v_cndmask_b32_e32 v10, v10, v12, vcc
	v_lshlrev_b32_e32 v12, 24, v11
	v_mov_b32_e32 v13, 0x3b800000
	v_lshlrev_b32_e32 v9, 20, v9
	v_and_b32_e32 v12, 0x80000000, v12
	v_lshl_add_u32 v10, v10, 23, v13
	v_or3_b32 v9, v12, v10, v9
.LBB56_1896:
	s_or_b64 exec, exec, s[6:7]
	s_nop 0
	v_mfma_f32_16x16x4f32 a[0:3], v8, v9, a[0:3]
	v_lshrrev_b32_e32 v9, 8, v15
	s_movk_i32 s4, 0x7f
	v_cmp_gt_i16_sdwa s[6:7], v9, s4 src0_sel:BYTE_0 src1_sel:DWORD
	s_mov_b64 s[4:5], 0
                                        ; implicit-def: $sgpr10
	s_and_saveexec_b64 s[8:9], s[6:7]
	s_xor_b64 s[6:7], exec, s[8:9]
	s_cbranch_execnz .LBB56_3945
; %bb.1897:
	s_or_saveexec_b64 s[6:7], s[6:7]
	v_mov_b32_e32 v8, s10
	s_xor_b64 exec, exec, s[6:7]
	s_cbranch_execnz .LBB56_3948
.LBB56_1898:
	s_or_b64 exec, exec, s[6:7]
	s_and_saveexec_b64 s[6:7], s[4:5]
	s_cbranch_execz .LBB56_1900
.LBB56_1899:
	v_bfe_u32 v8, v15, 8, 3
	v_ffbh_u32_e32 v12, v8
	v_min_u32_e32 v12, 32, v12
	v_lshrrev_b16_e32 v10, 3, v9
	v_subrev_u32_e32 v13, 28, v12
	v_and_b32_e32 v10, 15, v10
	v_lshlrev_b32_e32 v9, v13, v9
	v_sub_u32_e32 v12, 29, v12
	v_and_b32_e32 v9, 7, v9
	v_cmp_eq_u16_e32 vcc, 0, v10
	v_cndmask_b32_e32 v8, v8, v9, vcc
	v_cndmask_b32_e32 v9, v10, v12, vcc
	v_lshlrev_b32_e32 v10, 16, v15
	v_mov_b32_e32 v12, 0x3b800000
	v_lshlrev_b32_e32 v8, 20, v8
	v_and_b32_e32 v10, 0x80000000, v10
	v_lshl_add_u32 v9, v9, 23, v12
	v_or3_b32 v8, v10, v9, v8
.LBB56_1900:
	s_or_b64 exec, exec, s[6:7]
	v_lshrrev_b32_e32 v9, 8, v11
	s_movk_i32 s4, 0x7f
	v_cmp_gt_i16_sdwa s[6:7], v9, s4 src0_sel:BYTE_0 src1_sel:DWORD
	s_mov_b64 s[4:5], 0
                                        ; implicit-def: $sgpr10
	s_and_saveexec_b64 s[8:9], s[6:7]
	s_xor_b64 s[6:7], exec, s[8:9]
	s_cbranch_execnz .LBB56_3949
; %bb.1901:
	s_or_saveexec_b64 s[6:7], s[6:7]
	v_mov_b32_e32 v10, s10
	s_xor_b64 exec, exec, s[6:7]
	s_cbranch_execnz .LBB56_3952
.LBB56_1902:
	s_or_b64 exec, exec, s[6:7]
	s_and_saveexec_b64 s[6:7], s[4:5]
	s_cbranch_execz .LBB56_1904
.LBB56_1903:
	v_bfe_u32 v10, v11, 8, 3
	v_ffbh_u32_e32 v13, v10
	v_min_u32_e32 v13, 32, v13
	v_lshrrev_b16_e32 v12, 3, v9
	v_subrev_u32_e32 v14, 28, v13
	v_and_b32_e32 v12, 15, v12
	v_lshlrev_b32_e32 v9, v14, v9
	v_sub_u32_e32 v13, 29, v13
	v_and_b32_e32 v9, 7, v9
	v_cmp_eq_u16_e32 vcc, 0, v12
	v_cndmask_b32_e32 v9, v10, v9, vcc
	v_cndmask_b32_e32 v10, v12, v13, vcc
	v_lshlrev_b32_e32 v12, 16, v11
	v_mov_b32_e32 v13, 0x3b800000
	v_lshlrev_b32_e32 v9, 20, v9
	v_and_b32_e32 v12, 0x80000000, v12
	v_lshl_add_u32 v10, v10, 23, v13
	v_or3_b32 v10, v12, v10, v9
.LBB56_1904:
	s_or_b64 exec, exec, s[6:7]
	s_nop 0
	v_mfma_f32_16x16x4f32 a[0:3], v8, v10, a[0:3]
	s_movk_i32 s4, 0xff
	v_and_b32_sdwa v9, v15, s4 dst_sel:DWORD dst_unused:UNUSED_PAD src0_sel:WORD_1 src1_sel:DWORD
	s_movk_i32 s4, 0x7f
	v_cmp_lt_i16_e32 vcc, s4, v9
	s_mov_b64 s[4:5], 0
                                        ; implicit-def: $sgpr10
	s_and_saveexec_b64 s[6:7], vcc
	s_xor_b64 s[6:7], exec, s[6:7]
	s_cbranch_execnz .LBB56_3953
; %bb.1905:
	s_or_saveexec_b64 s[6:7], s[6:7]
	v_mov_b32_e32 v8, s10
	s_xor_b64 exec, exec, s[6:7]
	s_cbranch_execnz .LBB56_3956
.LBB56_1906:
	s_or_b64 exec, exec, s[6:7]
	s_and_saveexec_b64 s[6:7], s[4:5]
	s_cbranch_execz .LBB56_1908
.LBB56_1907:
	v_bfe_u32 v8, v15, 16, 3
	v_ffbh_u32_e32 v12, v8
	v_min_u32_e32 v12, 32, v12
	v_lshrrev_b32_e32 v9, 19, v15
	v_subrev_u32_e32 v13, 28, v12
	v_and_b32_e32 v9, 15, v9
	v_lshlrev_b32_sdwa v13, v13, v15 dst_sel:DWORD dst_unused:UNUSED_PAD src0_sel:DWORD src1_sel:WORD_1
	v_bfe_u32 v10, v15, 19, 4
	v_sub_u32_e32 v12, 29, v12
	v_and_b32_e32 v13, 7, v13
	v_cmp_eq_u16_e32 vcc, 0, v9
	v_cndmask_b32_e32 v8, v8, v13, vcc
	v_cndmask_b32_e32 v9, v10, v12, vcc
	v_lshlrev_b32_e32 v10, 8, v15
	v_mov_b32_e32 v12, 0x3b800000
	v_lshlrev_b32_e32 v8, 20, v8
	v_and_b32_e32 v10, 0x80000000, v10
	v_lshl_add_u32 v9, v9, 23, v12
	v_or3_b32 v8, v10, v9, v8
.LBB56_1908:
	s_or_b64 exec, exec, s[6:7]
	s_movk_i32 s4, 0xff
	v_and_b32_sdwa v9, v11, s4 dst_sel:DWORD dst_unused:UNUSED_PAD src0_sel:WORD_1 src1_sel:DWORD
	s_movk_i32 s4, 0x7f
	v_cmp_lt_i16_e32 vcc, s4, v9
	s_mov_b64 s[4:5], 0
                                        ; implicit-def: $sgpr10
	s_and_saveexec_b64 s[6:7], vcc
	s_xor_b64 s[6:7], exec, s[6:7]
	s_cbranch_execnz .LBB56_3957
; %bb.1909:
	s_or_saveexec_b64 s[6:7], s[6:7]
	v_mov_b32_e32 v10, s10
	s_xor_b64 exec, exec, s[6:7]
	s_cbranch_execnz .LBB56_3960
.LBB56_1910:
	s_or_b64 exec, exec, s[6:7]
	s_and_saveexec_b64 s[6:7], s[4:5]
	s_cbranch_execz .LBB56_1912
.LBB56_1911:
	v_bfe_u32 v9, v11, 16, 3
	v_ffbh_u32_e32 v13, v9
	v_min_u32_e32 v13, 32, v13
	v_lshrrev_b32_e32 v10, 19, v11
	v_subrev_u32_e32 v14, 28, v13
	v_and_b32_e32 v10, 15, v10
	v_lshlrev_b32_sdwa v14, v14, v11 dst_sel:DWORD dst_unused:UNUSED_PAD src0_sel:DWORD src1_sel:WORD_1
	v_bfe_u32 v12, v11, 19, 4
	v_sub_u32_e32 v13, 29, v13
	v_and_b32_e32 v14, 7, v14
	v_cmp_eq_u16_e32 vcc, 0, v10
	v_cndmask_b32_e32 v9, v9, v14, vcc
	v_cndmask_b32_e32 v10, v12, v13, vcc
	v_lshlrev_b32_e32 v12, 8, v11
	v_mov_b32_e32 v13, 0x3b800000
	v_lshlrev_b32_e32 v9, 20, v9
	v_and_b32_e32 v12, 0x80000000, v12
	v_lshl_add_u32 v10, v10, 23, v13
	v_or3_b32 v10, v12, v10, v9
.LBB56_1912:
	s_or_b64 exec, exec, s[6:7]
	s_nop 0
	v_mfma_f32_16x16x4f32 a[0:3], v8, v10, a[0:3]
	s_movk_i32 s4, 0x7f
	v_cmp_gt_i16_sdwa s[6:7], v15, s4 src0_sel:BYTE_3 src1_sel:DWORD
	s_mov_b64 s[4:5], 0
                                        ; implicit-def: $sgpr10
	s_and_saveexec_b64 s[8:9], s[6:7]
	s_xor_b64 s[6:7], exec, s[8:9]
	s_cbranch_execnz .LBB56_3961
; %bb.1913:
	s_or_saveexec_b64 s[6:7], s[6:7]
	v_mov_b32_e32 v8, s10
	s_xor_b64 exec, exec, s[6:7]
	s_cbranch_execnz .LBB56_3964
.LBB56_1914:
	s_or_b64 exec, exec, s[6:7]
	s_and_saveexec_b64 s[6:7], s[4:5]
	s_cbranch_execz .LBB56_1916
.LBB56_1915:
	v_bfe_u32 v8, v15, 24, 3
	v_ffbh_u32_e32 v13, v8
	v_min_u32_e32 v13, 32, v13
	v_lshrrev_b32_e32 v10, 27, v15
	v_subrev_u32_e32 v14, 28, v13
	v_and_b32_e32 v10, 15, v10
	v_lshlrev_b32_sdwa v14, v14, v15 dst_sel:DWORD dst_unused:UNUSED_PAD src0_sel:DWORD src1_sel:BYTE_3
	v_bfe_u32 v12, v15, 27, 4
	v_sub_u32_e32 v13, 29, v13
	v_and_b32_e32 v14, 7, v14
	v_cmp_eq_u16_e32 vcc, 0, v10
	v_cndmask_b32_e32 v8, v8, v14, vcc
	v_cndmask_b32_e32 v10, v12, v13, vcc
	v_mov_b32_e32 v12, 0x3b800000
	v_and_b32_e32 v9, 0x80000000, v15
	v_lshlrev_b32_e32 v8, 20, v8
	v_lshl_add_u32 v10, v10, 23, v12
	v_or3_b32 v8, v9, v10, v8
.LBB56_1916:
	s_or_b64 exec, exec, s[6:7]
	s_movk_i32 s4, 0x7f
	v_cmp_gt_i16_sdwa s[6:7], v11, s4 src0_sel:BYTE_3 src1_sel:DWORD
	s_mov_b64 s[4:5], 0
                                        ; implicit-def: $sgpr10
	s_and_saveexec_b64 s[8:9], s[6:7]
	s_xor_b64 s[6:7], exec, s[8:9]
	s_cbranch_execnz .LBB56_3965
; %bb.1917:
	s_or_saveexec_b64 s[6:7], s[6:7]
	v_mov_b32_e32 v9, s10
	s_xor_b64 exec, exec, s[6:7]
	s_cbranch_execnz .LBB56_3968
.LBB56_1918:
	s_or_b64 exec, exec, s[6:7]
	s_and_saveexec_b64 s[6:7], s[4:5]
	s_cbranch_execz .LBB56_1920
.LBB56_1919:
	v_bfe_u32 v9, v11, 24, 3
	v_ffbh_u32_e32 v14, v9
	v_min_u32_e32 v14, 32, v14
	v_lshrrev_b32_e32 v12, 27, v11
	v_subrev_u32_e32 v15, 28, v14
	v_and_b32_e32 v10, 0x80000000, v11
	v_and_b32_e32 v12, 15, v12
	v_bfe_u32 v13, v11, 27, 4
	v_lshlrev_b32_sdwa v11, v15, v11 dst_sel:DWORD dst_unused:UNUSED_PAD src0_sel:DWORD src1_sel:BYTE_3
	v_sub_u32_e32 v14, 29, v14
	v_and_b32_e32 v11, 7, v11
	v_cmp_eq_u16_e32 vcc, 0, v12
	v_cndmask_b32_e32 v9, v9, v11, vcc
	v_cndmask_b32_e32 v11, v13, v14, vcc
	v_mov_b32_e32 v12, 0x3b800000
	v_lshlrev_b32_e32 v9, 20, v9
	v_lshl_add_u32 v11, v11, 23, v12
	v_or3_b32 v9, v10, v11, v9
.LBB56_1920:
	s_or_b64 exec, exec, s[6:7]
	s_nop 0
	v_mfma_f32_16x16x4f32 a[0:3], v8, v9, a[0:3]
	s_movk_i32 s4, 0x7f
	v_cmp_gt_i16_sdwa s[6:7], v4, s4 src0_sel:BYTE_0 src1_sel:DWORD
	s_mov_b64 s[4:5], 0
                                        ; implicit-def: $sgpr10
	s_and_saveexec_b64 s[8:9], s[6:7]
	s_xor_b64 s[6:7], exec, s[8:9]
	s_cbranch_execnz .LBB56_3969
; %bb.1921:
	s_or_saveexec_b64 s[6:7], s[6:7]
	v_mov_b32_e32 v8, s10
	s_xor_b64 exec, exec, s[6:7]
	s_cbranch_execnz .LBB56_3972
.LBB56_1922:
	s_or_b64 exec, exec, s[6:7]
	s_and_saveexec_b64 s[6:7], s[4:5]
	s_cbranch_execz .LBB56_1924
.LBB56_1923:
	v_and_b32_e32 v8, 7, v4
	v_ffbh_u32_e32 v10, v8
	v_min_u32_e32 v10, 32, v10
	v_lshrrev_b16_e32 v9, 3, v4
	v_subrev_u32_e32 v11, 28, v10
	v_and_b32_e32 v9, 15, v9
	v_lshlrev_b32_e32 v11, v11, v4
	v_sub_u32_e32 v10, 29, v10
	v_and_b32_e32 v11, 7, v11
	v_cmp_eq_u16_e32 vcc, 0, v9
	v_cndmask_b32_e32 v8, v8, v11, vcc
	v_cndmask_b32_e32 v9, v9, v10, vcc
	v_lshlrev_b32_e32 v10, 24, v4
	v_mov_b32_e32 v11, 0x3b800000
	v_lshlrev_b32_e32 v8, 20, v8
	v_and_b32_e32 v10, 0x80000000, v10
	v_lshl_add_u32 v9, v9, 23, v11
	v_or3_b32 v8, v10, v9, v8
.LBB56_1924:
	s_or_b64 exec, exec, s[6:7]
	s_movk_i32 s4, 0x7f
	v_cmp_gt_i16_sdwa s[6:7], v0, s4 src0_sel:BYTE_0 src1_sel:DWORD
	s_mov_b64 s[4:5], 0
                                        ; implicit-def: $sgpr10
	s_and_saveexec_b64 s[8:9], s[6:7]
	s_xor_b64 s[6:7], exec, s[8:9]
	s_cbranch_execnz .LBB56_3973
; %bb.1925:
	s_or_saveexec_b64 s[6:7], s[6:7]
	v_mov_b32_e32 v9, s10
	s_xor_b64 exec, exec, s[6:7]
	s_cbranch_execnz .LBB56_3976
.LBB56_1926:
	s_or_b64 exec, exec, s[6:7]
	s_and_saveexec_b64 s[6:7], s[4:5]
	s_cbranch_execz .LBB56_1928
.LBB56_1927:
	v_and_b32_e32 v9, 7, v0
	v_ffbh_u32_e32 v11, v9
	v_min_u32_e32 v11, 32, v11
	v_lshrrev_b16_e32 v10, 3, v0
	v_subrev_u32_e32 v12, 28, v11
	v_and_b32_e32 v10, 15, v10
	v_lshlrev_b32_e32 v12, v12, v0
	v_sub_u32_e32 v11, 29, v11
	v_and_b32_e32 v12, 7, v12
	v_cmp_eq_u16_e32 vcc, 0, v10
	v_cndmask_b32_e32 v9, v9, v12, vcc
	v_cndmask_b32_e32 v10, v10, v11, vcc
	v_lshlrev_b32_e32 v11, 24, v0
	v_mov_b32_e32 v12, 0x3b800000
	v_lshlrev_b32_e32 v9, 20, v9
	v_and_b32_e32 v11, 0x80000000, v11
	v_lshl_add_u32 v10, v10, 23, v12
	v_or3_b32 v9, v11, v10, v9
.LBB56_1928:
	s_or_b64 exec, exec, s[6:7]
	s_nop 0
	v_mfma_f32_16x16x4f32 a[0:3], v8, v9, a[0:3]
	v_lshrrev_b32_e32 v9, 8, v4
	s_movk_i32 s4, 0x7f
	v_cmp_gt_i16_sdwa s[6:7], v9, s4 src0_sel:BYTE_0 src1_sel:DWORD
	s_mov_b64 s[4:5], 0
                                        ; implicit-def: $sgpr10
	s_and_saveexec_b64 s[8:9], s[6:7]
	s_xor_b64 s[6:7], exec, s[8:9]
	s_cbranch_execnz .LBB56_3977
; %bb.1929:
	s_or_saveexec_b64 s[6:7], s[6:7]
	v_mov_b32_e32 v8, s10
	s_xor_b64 exec, exec, s[6:7]
	s_cbranch_execnz .LBB56_3980
.LBB56_1930:
	s_or_b64 exec, exec, s[6:7]
	s_and_saveexec_b64 s[6:7], s[4:5]
	s_cbranch_execz .LBB56_1932
.LBB56_1931:
	v_bfe_u32 v8, v4, 8, 3
	v_ffbh_u32_e32 v11, v8
	v_min_u32_e32 v11, 32, v11
	v_lshrrev_b16_e32 v10, 3, v9
	v_subrev_u32_e32 v12, 28, v11
	v_and_b32_e32 v10, 15, v10
	v_lshlrev_b32_e32 v9, v12, v9
	v_sub_u32_e32 v11, 29, v11
	v_and_b32_e32 v9, 7, v9
	v_cmp_eq_u16_e32 vcc, 0, v10
	v_cndmask_b32_e32 v8, v8, v9, vcc
	v_cndmask_b32_e32 v9, v10, v11, vcc
	v_lshlrev_b32_e32 v10, 16, v4
	v_mov_b32_e32 v11, 0x3b800000
	v_lshlrev_b32_e32 v8, 20, v8
	v_and_b32_e32 v10, 0x80000000, v10
	v_lshl_add_u32 v9, v9, 23, v11
	v_or3_b32 v8, v10, v9, v8
.LBB56_1932:
	s_or_b64 exec, exec, s[6:7]
	v_lshrrev_b32_e32 v9, 8, v0
	s_movk_i32 s4, 0x7f
	v_cmp_gt_i16_sdwa s[6:7], v9, s4 src0_sel:BYTE_0 src1_sel:DWORD
	s_mov_b64 s[4:5], 0
                                        ; implicit-def: $sgpr10
	s_and_saveexec_b64 s[8:9], s[6:7]
	s_xor_b64 s[6:7], exec, s[8:9]
	s_cbranch_execnz .LBB56_3981
; %bb.1933:
	s_or_saveexec_b64 s[6:7], s[6:7]
	v_mov_b32_e32 v10, s10
	s_xor_b64 exec, exec, s[6:7]
	s_cbranch_execnz .LBB56_3984
.LBB56_1934:
	s_or_b64 exec, exec, s[6:7]
	s_and_saveexec_b64 s[6:7], s[4:5]
	s_cbranch_execz .LBB56_1936
.LBB56_1935:
	v_bfe_u32 v10, v0, 8, 3
	v_ffbh_u32_e32 v12, v10
	v_min_u32_e32 v12, 32, v12
	v_lshrrev_b16_e32 v11, 3, v9
	v_subrev_u32_e32 v13, 28, v12
	v_and_b32_e32 v11, 15, v11
	v_lshlrev_b32_e32 v9, v13, v9
	v_sub_u32_e32 v12, 29, v12
	v_and_b32_e32 v9, 7, v9
	v_cmp_eq_u16_e32 vcc, 0, v11
	v_cndmask_b32_e32 v9, v10, v9, vcc
	v_cndmask_b32_e32 v10, v11, v12, vcc
	v_lshlrev_b32_e32 v11, 16, v0
	v_mov_b32_e32 v12, 0x3b800000
	v_lshlrev_b32_e32 v9, 20, v9
	v_and_b32_e32 v11, 0x80000000, v11
	v_lshl_add_u32 v10, v10, 23, v12
	v_or3_b32 v10, v11, v10, v9
.LBB56_1936:
	s_or_b64 exec, exec, s[6:7]
	s_nop 0
	v_mfma_f32_16x16x4f32 a[0:3], v8, v10, a[0:3]
	s_movk_i32 s4, 0xff
	v_and_b32_sdwa v9, v4, s4 dst_sel:DWORD dst_unused:UNUSED_PAD src0_sel:WORD_1 src1_sel:DWORD
	s_movk_i32 s4, 0x7f
	v_cmp_lt_i16_e32 vcc, s4, v9
	s_mov_b64 s[4:5], 0
                                        ; implicit-def: $sgpr10
	s_and_saveexec_b64 s[6:7], vcc
	s_xor_b64 s[6:7], exec, s[6:7]
	s_cbranch_execnz .LBB56_3985
; %bb.1937:
	s_or_saveexec_b64 s[6:7], s[6:7]
	v_mov_b32_e32 v8, s10
	s_xor_b64 exec, exec, s[6:7]
	s_cbranch_execnz .LBB56_3988
.LBB56_1938:
	s_or_b64 exec, exec, s[6:7]
	s_and_saveexec_b64 s[6:7], s[4:5]
	s_cbranch_execz .LBB56_1940
.LBB56_1939:
	v_bfe_u32 v8, v4, 16, 3
	v_ffbh_u32_e32 v11, v8
	v_min_u32_e32 v11, 32, v11
	v_lshrrev_b32_e32 v9, 19, v4
	v_subrev_u32_e32 v12, 28, v11
	v_and_b32_e32 v9, 15, v9
	v_lshlrev_b32_sdwa v12, v12, v4 dst_sel:DWORD dst_unused:UNUSED_PAD src0_sel:DWORD src1_sel:WORD_1
	v_bfe_u32 v10, v4, 19, 4
	v_sub_u32_e32 v11, 29, v11
	v_and_b32_e32 v12, 7, v12
	v_cmp_eq_u16_e32 vcc, 0, v9
	v_cndmask_b32_e32 v8, v8, v12, vcc
	v_cndmask_b32_e32 v9, v10, v11, vcc
	v_lshlrev_b32_e32 v10, 8, v4
	v_mov_b32_e32 v11, 0x3b800000
	v_lshlrev_b32_e32 v8, 20, v8
	v_and_b32_e32 v10, 0x80000000, v10
	v_lshl_add_u32 v9, v9, 23, v11
	v_or3_b32 v8, v10, v9, v8
.LBB56_1940:
	s_or_b64 exec, exec, s[6:7]
	s_movk_i32 s4, 0xff
	v_and_b32_sdwa v9, v0, s4 dst_sel:DWORD dst_unused:UNUSED_PAD src0_sel:WORD_1 src1_sel:DWORD
	s_movk_i32 s4, 0x7f
	v_cmp_lt_i16_e32 vcc, s4, v9
	s_mov_b64 s[4:5], 0
                                        ; implicit-def: $sgpr10
	s_and_saveexec_b64 s[6:7], vcc
	s_xor_b64 s[6:7], exec, s[6:7]
	s_cbranch_execnz .LBB56_3989
; %bb.1941:
	s_or_saveexec_b64 s[6:7], s[6:7]
	v_mov_b32_e32 v10, s10
	s_xor_b64 exec, exec, s[6:7]
	s_cbranch_execnz .LBB56_3992
.LBB56_1942:
	s_or_b64 exec, exec, s[6:7]
	s_and_saveexec_b64 s[6:7], s[4:5]
	s_cbranch_execz .LBB56_1944
.LBB56_1943:
	v_bfe_u32 v9, v0, 16, 3
	v_ffbh_u32_e32 v12, v9
	v_min_u32_e32 v12, 32, v12
	v_lshrrev_b32_e32 v10, 19, v0
	v_subrev_u32_e32 v13, 28, v12
	v_and_b32_e32 v10, 15, v10
	v_lshlrev_b32_sdwa v13, v13, v0 dst_sel:DWORD dst_unused:UNUSED_PAD src0_sel:DWORD src1_sel:WORD_1
	v_bfe_u32 v11, v0, 19, 4
	v_sub_u32_e32 v12, 29, v12
	v_and_b32_e32 v13, 7, v13
	v_cmp_eq_u16_e32 vcc, 0, v10
	v_cndmask_b32_e32 v9, v9, v13, vcc
	v_cndmask_b32_e32 v10, v11, v12, vcc
	v_lshlrev_b32_e32 v11, 8, v0
	v_mov_b32_e32 v12, 0x3b800000
	v_lshlrev_b32_e32 v9, 20, v9
	v_and_b32_e32 v11, 0x80000000, v11
	v_lshl_add_u32 v10, v10, 23, v12
	v_or3_b32 v10, v11, v10, v9
.LBB56_1944:
	s_or_b64 exec, exec, s[6:7]
	s_nop 0
	v_mfma_f32_16x16x4f32 a[0:3], v8, v10, a[0:3]
	s_movk_i32 s4, 0x7f
	v_cmp_gt_i16_sdwa s[6:7], v4, s4 src0_sel:BYTE_3 src1_sel:DWORD
	s_mov_b64 s[4:5], 0
                                        ; implicit-def: $sgpr10
	s_and_saveexec_b64 s[8:9], s[6:7]
	s_xor_b64 s[6:7], exec, s[8:9]
	s_cbranch_execnz .LBB56_3993
; %bb.1945:
	s_or_saveexec_b64 s[6:7], s[6:7]
	v_mov_b32_e32 v8, s10
	s_xor_b64 exec, exec, s[6:7]
	s_cbranch_execnz .LBB56_3996
.LBB56_1946:
	s_or_b64 exec, exec, s[6:7]
	s_and_saveexec_b64 s[6:7], s[4:5]
	s_cbranch_execz .LBB56_1948
.LBB56_1947:
	v_bfe_u32 v8, v4, 24, 3
	v_ffbh_u32_e32 v12, v8
	v_min_u32_e32 v12, 32, v12
	v_lshrrev_b32_e32 v10, 27, v4
	v_subrev_u32_e32 v13, 28, v12
	v_and_b32_e32 v9, 0x80000000, v4
	v_and_b32_e32 v10, 15, v10
	v_bfe_u32 v11, v4, 27, 4
	v_lshlrev_b32_sdwa v4, v13, v4 dst_sel:DWORD dst_unused:UNUSED_PAD src0_sel:DWORD src1_sel:BYTE_3
	v_sub_u32_e32 v12, 29, v12
	v_and_b32_e32 v4, 7, v4
	v_cmp_eq_u16_e32 vcc, 0, v10
	v_cndmask_b32_e32 v4, v8, v4, vcc
	v_cndmask_b32_e32 v8, v11, v12, vcc
	v_mov_b32_e32 v10, 0x3b800000
	v_lshlrev_b32_e32 v4, 20, v4
	v_lshl_add_u32 v8, v8, 23, v10
	v_or3_b32 v8, v9, v8, v4
.LBB56_1948:
	s_or_b64 exec, exec, s[6:7]
	s_movk_i32 s4, 0x7f
	v_cmp_gt_i16_sdwa s[6:7], v0, s4 src0_sel:BYTE_3 src1_sel:DWORD
	s_mov_b64 s[4:5], 0
                                        ; implicit-def: $sgpr10
	s_and_saveexec_b64 s[8:9], s[6:7]
	s_xor_b64 s[6:7], exec, s[8:9]
	s_cbranch_execnz .LBB56_3997
; %bb.1949:
	s_or_saveexec_b64 s[6:7], s[6:7]
	v_mov_b32_e32 v4, s10
	s_xor_b64 exec, exec, s[6:7]
	s_cbranch_execnz .LBB56_4000
.LBB56_1950:
	s_or_b64 exec, exec, s[6:7]
	s_and_saveexec_b64 s[6:7], s[4:5]
	s_cbranch_execz .LBB56_1952
.LBB56_1951:
	v_bfe_u32 v4, v0, 24, 3
	v_ffbh_u32_e32 v12, v4
	v_min_u32_e32 v12, 32, v12
	v_lshrrev_b32_e32 v10, 27, v0
	v_subrev_u32_e32 v13, 28, v12
	v_and_b32_e32 v9, 0x80000000, v0
	v_and_b32_e32 v10, 15, v10
	v_bfe_u32 v11, v0, 27, 4
	v_lshlrev_b32_sdwa v0, v13, v0 dst_sel:DWORD dst_unused:UNUSED_PAD src0_sel:DWORD src1_sel:BYTE_3
	v_sub_u32_e32 v12, 29, v12
	v_and_b32_e32 v0, 7, v0
	v_cmp_eq_u16_e32 vcc, 0, v10
	v_cndmask_b32_e32 v0, v4, v0, vcc
	v_cndmask_b32_e32 v4, v11, v12, vcc
	v_mov_b32_e32 v10, 0x3b800000
	v_lshlrev_b32_e32 v0, 20, v0
	v_lshl_add_u32 v4, v4, 23, v10
	v_or3_b32 v4, v9, v4, v0
.LBB56_1952:
	s_or_b64 exec, exec, s[6:7]
	s_nop 0
	v_mfma_f32_16x16x4f32 a[0:3], v8, v4, a[0:3]
	s_movk_i32 s4, 0x7f
	v_cmp_gt_i16_sdwa s[6:7], v5, s4 src0_sel:BYTE_0 src1_sel:DWORD
	s_mov_b64 s[4:5], 0
                                        ; implicit-def: $sgpr10
	s_and_saveexec_b64 s[8:9], s[6:7]
	s_xor_b64 s[6:7], exec, s[8:9]
	s_cbranch_execnz .LBB56_4001
; %bb.1953:
	s_or_saveexec_b64 s[6:7], s[6:7]
	v_mov_b32_e32 v0, s10
	s_xor_b64 exec, exec, s[6:7]
	s_cbranch_execnz .LBB56_4004
.LBB56_1954:
	s_or_b64 exec, exec, s[6:7]
	s_and_saveexec_b64 s[6:7], s[4:5]
	s_cbranch_execz .LBB56_1956
.LBB56_1955:
	v_and_b32_e32 v0, 7, v5
	v_ffbh_u32_e32 v8, v0
	v_min_u32_e32 v8, 32, v8
	v_lshrrev_b16_e32 v4, 3, v5
	v_subrev_u32_e32 v9, 28, v8
	v_and_b32_e32 v4, 15, v4
	v_lshlrev_b32_e32 v9, v9, v5
	v_sub_u32_e32 v8, 29, v8
	v_and_b32_e32 v9, 7, v9
	v_cmp_eq_u16_e32 vcc, 0, v4
	v_cndmask_b32_e32 v0, v0, v9, vcc
	v_cndmask_b32_e32 v4, v4, v8, vcc
	v_lshlrev_b32_e32 v8, 24, v5
	v_mov_b32_e32 v9, 0x3b800000
	v_lshlrev_b32_e32 v0, 20, v0
	v_and_b32_e32 v8, 0x80000000, v8
	v_lshl_add_u32 v4, v4, 23, v9
	v_or3_b32 v0, v8, v4, v0
.LBB56_1956:
	s_or_b64 exec, exec, s[6:7]
	s_movk_i32 s4, 0x7f
	v_cmp_gt_i16_sdwa s[6:7], v1, s4 src0_sel:BYTE_0 src1_sel:DWORD
	s_mov_b64 s[4:5], 0
                                        ; implicit-def: $sgpr10
	s_and_saveexec_b64 s[8:9], s[6:7]
	s_xor_b64 s[6:7], exec, s[8:9]
	s_cbranch_execnz .LBB56_4005
; %bb.1957:
	s_or_saveexec_b64 s[6:7], s[6:7]
	v_mov_b32_e32 v4, s10
	s_xor_b64 exec, exec, s[6:7]
	s_cbranch_execnz .LBB56_4008
.LBB56_1958:
	s_or_b64 exec, exec, s[6:7]
	s_and_saveexec_b64 s[6:7], s[4:5]
	s_cbranch_execz .LBB56_1960
.LBB56_1959:
	v_and_b32_e32 v4, 7, v1
	v_ffbh_u32_e32 v9, v4
	v_min_u32_e32 v9, 32, v9
	v_lshrrev_b16_e32 v8, 3, v1
	v_subrev_u32_e32 v10, 28, v9
	v_and_b32_e32 v8, 15, v8
	v_lshlrev_b32_e32 v10, v10, v1
	v_sub_u32_e32 v9, 29, v9
	v_and_b32_e32 v10, 7, v10
	v_cmp_eq_u16_e32 vcc, 0, v8
	v_cndmask_b32_e32 v4, v4, v10, vcc
	v_cndmask_b32_e32 v8, v8, v9, vcc
	v_lshlrev_b32_e32 v9, 24, v1
	v_mov_b32_e32 v10, 0x3b800000
	v_lshlrev_b32_e32 v4, 20, v4
	v_and_b32_e32 v9, 0x80000000, v9
	v_lshl_add_u32 v8, v8, 23, v10
	v_or3_b32 v4, v9, v8, v4
.LBB56_1960:
	s_or_b64 exec, exec, s[6:7]
	s_nop 0
	v_mfma_f32_16x16x4f32 a[0:3], v0, v4, a[0:3]
	v_lshrrev_b32_e32 v4, 8, v5
	s_movk_i32 s4, 0x7f
	v_cmp_gt_i16_sdwa s[6:7], v4, s4 src0_sel:BYTE_0 src1_sel:DWORD
	s_mov_b64 s[4:5], 0
                                        ; implicit-def: $sgpr10
	s_and_saveexec_b64 s[8:9], s[6:7]
	s_xor_b64 s[6:7], exec, s[8:9]
	s_cbranch_execnz .LBB56_4009
; %bb.1961:
	s_or_saveexec_b64 s[6:7], s[6:7]
	v_mov_b32_e32 v0, s10
	s_xor_b64 exec, exec, s[6:7]
	s_cbranch_execnz .LBB56_4012
.LBB56_1962:
	s_or_b64 exec, exec, s[6:7]
	s_and_saveexec_b64 s[6:7], s[4:5]
	s_cbranch_execz .LBB56_1964
.LBB56_1963:
	v_bfe_u32 v0, v5, 8, 3
	v_ffbh_u32_e32 v9, v0
	v_min_u32_e32 v9, 32, v9
	v_lshrrev_b16_e32 v8, 3, v4
	v_subrev_u32_e32 v10, 28, v9
	v_and_b32_e32 v8, 15, v8
	v_lshlrev_b32_e32 v4, v10, v4
	v_sub_u32_e32 v9, 29, v9
	v_and_b32_e32 v4, 7, v4
	v_cmp_eq_u16_e32 vcc, 0, v8
	v_cndmask_b32_e32 v0, v0, v4, vcc
	v_cndmask_b32_e32 v4, v8, v9, vcc
	v_lshlrev_b32_e32 v8, 16, v5
	v_mov_b32_e32 v9, 0x3b800000
	v_lshlrev_b32_e32 v0, 20, v0
	v_and_b32_e32 v8, 0x80000000, v8
	v_lshl_add_u32 v4, v4, 23, v9
	v_or3_b32 v0, v8, v4, v0
.LBB56_1964:
	s_or_b64 exec, exec, s[6:7]
	v_lshrrev_b32_e32 v4, 8, v1
	s_movk_i32 s4, 0x7f
	v_cmp_gt_i16_sdwa s[6:7], v4, s4 src0_sel:BYTE_0 src1_sel:DWORD
	s_mov_b64 s[4:5], 0
                                        ; implicit-def: $sgpr10
	s_and_saveexec_b64 s[8:9], s[6:7]
	s_xor_b64 s[6:7], exec, s[8:9]
	s_cbranch_execnz .LBB56_4013
; %bb.1965:
	s_or_saveexec_b64 s[6:7], s[6:7]
	v_mov_b32_e32 v8, s10
	s_xor_b64 exec, exec, s[6:7]
	s_cbranch_execnz .LBB56_4016
.LBB56_1966:
	s_or_b64 exec, exec, s[6:7]
	s_and_saveexec_b64 s[6:7], s[4:5]
	s_cbranch_execz .LBB56_1968
.LBB56_1967:
	v_bfe_u32 v8, v1, 8, 3
	v_ffbh_u32_e32 v10, v8
	v_min_u32_e32 v10, 32, v10
	v_lshrrev_b16_e32 v9, 3, v4
	v_subrev_u32_e32 v11, 28, v10
	v_and_b32_e32 v9, 15, v9
	v_lshlrev_b32_e32 v4, v11, v4
	v_sub_u32_e32 v10, 29, v10
	v_and_b32_e32 v4, 7, v4
	v_cmp_eq_u16_e32 vcc, 0, v9
	v_cndmask_b32_e32 v4, v8, v4, vcc
	v_cndmask_b32_e32 v8, v9, v10, vcc
	v_lshlrev_b32_e32 v9, 16, v1
	v_mov_b32_e32 v10, 0x3b800000
	v_lshlrev_b32_e32 v4, 20, v4
	v_and_b32_e32 v9, 0x80000000, v9
	v_lshl_add_u32 v8, v8, 23, v10
	v_or3_b32 v8, v9, v8, v4
.LBB56_1968:
	s_or_b64 exec, exec, s[6:7]
	s_nop 0
	v_mfma_f32_16x16x4f32 a[0:3], v0, v8, a[0:3]
	s_movk_i32 s4, 0xff
	v_and_b32_sdwa v4, v5, s4 dst_sel:DWORD dst_unused:UNUSED_PAD src0_sel:WORD_1 src1_sel:DWORD
	s_movk_i32 s4, 0x7f
	v_cmp_lt_i16_e32 vcc, s4, v4
	s_mov_b64 s[4:5], 0
                                        ; implicit-def: $sgpr10
	s_and_saveexec_b64 s[6:7], vcc
	s_xor_b64 s[6:7], exec, s[6:7]
	s_cbranch_execnz .LBB56_4017
; %bb.1969:
	s_or_saveexec_b64 s[6:7], s[6:7]
	v_mov_b32_e32 v0, s10
	s_xor_b64 exec, exec, s[6:7]
	s_cbranch_execnz .LBB56_4020
.LBB56_1970:
	s_or_b64 exec, exec, s[6:7]
	s_and_saveexec_b64 s[6:7], s[4:5]
	s_cbranch_execz .LBB56_1972
.LBB56_1971:
	v_bfe_u32 v0, v5, 16, 3
	v_ffbh_u32_e32 v9, v0
	v_min_u32_e32 v9, 32, v9
	v_lshrrev_b32_e32 v4, 19, v5
	v_subrev_u32_e32 v10, 28, v9
	v_and_b32_e32 v4, 15, v4
	v_lshlrev_b32_sdwa v10, v10, v5 dst_sel:DWORD dst_unused:UNUSED_PAD src0_sel:DWORD src1_sel:WORD_1
	v_bfe_u32 v8, v5, 19, 4
	v_sub_u32_e32 v9, 29, v9
	v_and_b32_e32 v10, 7, v10
	v_cmp_eq_u16_e32 vcc, 0, v4
	v_cndmask_b32_e32 v0, v0, v10, vcc
	v_cndmask_b32_e32 v4, v8, v9, vcc
	v_lshlrev_b32_e32 v8, 8, v5
	v_mov_b32_e32 v9, 0x3b800000
	v_lshlrev_b32_e32 v0, 20, v0
	v_and_b32_e32 v8, 0x80000000, v8
	v_lshl_add_u32 v4, v4, 23, v9
	v_or3_b32 v0, v8, v4, v0
.LBB56_1972:
	s_or_b64 exec, exec, s[6:7]
	s_movk_i32 s4, 0xff
	v_and_b32_sdwa v4, v1, s4 dst_sel:DWORD dst_unused:UNUSED_PAD src0_sel:WORD_1 src1_sel:DWORD
	s_movk_i32 s4, 0x7f
	v_cmp_lt_i16_e32 vcc, s4, v4
	s_mov_b64 s[4:5], 0
                                        ; implicit-def: $sgpr10
	s_and_saveexec_b64 s[6:7], vcc
	s_xor_b64 s[6:7], exec, s[6:7]
	s_cbranch_execnz .LBB56_4021
; %bb.1973:
	s_or_saveexec_b64 s[6:7], s[6:7]
	v_mov_b32_e32 v8, s10
	s_xor_b64 exec, exec, s[6:7]
	s_cbranch_execnz .LBB56_4024
.LBB56_1974:
	s_or_b64 exec, exec, s[6:7]
	s_and_saveexec_b64 s[6:7], s[4:5]
	s_cbranch_execz .LBB56_1976
.LBB56_1975:
	v_bfe_u32 v4, v1, 16, 3
	v_ffbh_u32_e32 v10, v4
	v_min_u32_e32 v10, 32, v10
	v_lshrrev_b32_e32 v8, 19, v1
	v_subrev_u32_e32 v11, 28, v10
	v_and_b32_e32 v8, 15, v8
	v_lshlrev_b32_sdwa v11, v11, v1 dst_sel:DWORD dst_unused:UNUSED_PAD src0_sel:DWORD src1_sel:WORD_1
	v_bfe_u32 v9, v1, 19, 4
	v_sub_u32_e32 v10, 29, v10
	v_and_b32_e32 v11, 7, v11
	v_cmp_eq_u16_e32 vcc, 0, v8
	v_cndmask_b32_e32 v4, v4, v11, vcc
	v_cndmask_b32_e32 v8, v9, v10, vcc
	v_lshlrev_b32_e32 v9, 8, v1
	v_mov_b32_e32 v10, 0x3b800000
	v_lshlrev_b32_e32 v4, 20, v4
	v_and_b32_e32 v9, 0x80000000, v9
	v_lshl_add_u32 v8, v8, 23, v10
	v_or3_b32 v8, v9, v8, v4
.LBB56_1976:
	s_or_b64 exec, exec, s[6:7]
	s_nop 0
	v_mfma_f32_16x16x4f32 a[0:3], v0, v8, a[0:3]
	s_movk_i32 s4, 0x7f
	v_cmp_gt_i16_sdwa s[6:7], v5, s4 src0_sel:BYTE_3 src1_sel:DWORD
	s_mov_b64 s[4:5], 0
                                        ; implicit-def: $sgpr10
	s_and_saveexec_b64 s[8:9], s[6:7]
	s_xor_b64 s[6:7], exec, s[8:9]
	s_cbranch_execnz .LBB56_4025
; %bb.1977:
	s_or_saveexec_b64 s[6:7], s[6:7]
	v_mov_b32_e32 v0, s10
	s_xor_b64 exec, exec, s[6:7]
	s_cbranch_execnz .LBB56_4028
.LBB56_1978:
	s_or_b64 exec, exec, s[6:7]
	s_and_saveexec_b64 s[6:7], s[4:5]
	s_cbranch_execz .LBB56_1980
.LBB56_1979:
	v_bfe_u32 v0, v5, 24, 3
	v_ffbh_u32_e32 v10, v0
	v_min_u32_e32 v10, 32, v10
	v_lshrrev_b32_e32 v8, 27, v5
	v_subrev_u32_e32 v11, 28, v10
	v_and_b32_e32 v4, 0x80000000, v5
	v_and_b32_e32 v8, 15, v8
	v_bfe_u32 v9, v5, 27, 4
	v_lshlrev_b32_sdwa v5, v11, v5 dst_sel:DWORD dst_unused:UNUSED_PAD src0_sel:DWORD src1_sel:BYTE_3
	v_sub_u32_e32 v10, 29, v10
	v_and_b32_e32 v5, 7, v5
	v_cmp_eq_u16_e32 vcc, 0, v8
	v_cndmask_b32_e32 v0, v0, v5, vcc
	v_cndmask_b32_e32 v5, v9, v10, vcc
	v_mov_b32_e32 v8, 0x3b800000
	v_lshlrev_b32_e32 v0, 20, v0
	v_lshl_add_u32 v5, v5, 23, v8
	v_or3_b32 v0, v4, v5, v0
.LBB56_1980:
	s_or_b64 exec, exec, s[6:7]
	s_movk_i32 s4, 0x7f
	v_cmp_gt_i16_sdwa s[6:7], v1, s4 src0_sel:BYTE_3 src1_sel:DWORD
	s_mov_b64 s[4:5], 0
                                        ; implicit-def: $sgpr10
	s_and_saveexec_b64 s[8:9], s[6:7]
	s_xor_b64 s[6:7], exec, s[8:9]
	s_cbranch_execnz .LBB56_4029
; %bb.1981:
	s_or_saveexec_b64 s[6:7], s[6:7]
	v_mov_b32_e32 v4, s10
	s_xor_b64 exec, exec, s[6:7]
	s_cbranch_execnz .LBB56_4032
.LBB56_1982:
	s_or_b64 exec, exec, s[6:7]
	s_and_saveexec_b64 s[6:7], s[4:5]
	s_cbranch_execz .LBB56_1984
.LBB56_1983:
	v_bfe_u32 v4, v1, 24, 3
	v_ffbh_u32_e32 v10, v4
	v_min_u32_e32 v10, 32, v10
	v_lshrrev_b32_e32 v8, 27, v1
	v_subrev_u32_e32 v11, 28, v10
	v_and_b32_e32 v5, 0x80000000, v1
	v_and_b32_e32 v8, 15, v8
	v_bfe_u32 v9, v1, 27, 4
	v_lshlrev_b32_sdwa v1, v11, v1 dst_sel:DWORD dst_unused:UNUSED_PAD src0_sel:DWORD src1_sel:BYTE_3
	v_sub_u32_e32 v10, 29, v10
	v_and_b32_e32 v1, 7, v1
	v_cmp_eq_u16_e32 vcc, 0, v8
	v_cndmask_b32_e32 v1, v4, v1, vcc
	v_cndmask_b32_e32 v4, v9, v10, vcc
	v_mov_b32_e32 v8, 0x3b800000
	v_lshlrev_b32_e32 v1, 20, v1
	v_lshl_add_u32 v4, v4, 23, v8
	v_or3_b32 v4, v5, v4, v1
.LBB56_1984:
	s_or_b64 exec, exec, s[6:7]
	s_nop 0
	v_mfma_f32_16x16x4f32 a[0:3], v0, v4, a[0:3]
	s_movk_i32 s4, 0x7f
	v_cmp_gt_i16_sdwa s[6:7], v6, s4 src0_sel:BYTE_0 src1_sel:DWORD
	s_mov_b64 s[4:5], 0
                                        ; implicit-def: $sgpr10
	s_and_saveexec_b64 s[8:9], s[6:7]
	s_xor_b64 s[6:7], exec, s[8:9]
	s_cbranch_execnz .LBB56_4033
; %bb.1985:
	s_or_saveexec_b64 s[6:7], s[6:7]
	v_mov_b32_e32 v0, s10
	s_xor_b64 exec, exec, s[6:7]
	s_cbranch_execnz .LBB56_4036
.LBB56_1986:
	s_or_b64 exec, exec, s[6:7]
	s_and_saveexec_b64 s[6:7], s[4:5]
	s_cbranch_execz .LBB56_1988
.LBB56_1987:
	v_and_b32_e32 v0, 7, v6
	v_ffbh_u32_e32 v4, v0
	v_min_u32_e32 v4, 32, v4
	v_lshrrev_b16_e32 v1, 3, v6
	v_subrev_u32_e32 v5, 28, v4
	v_and_b32_e32 v1, 15, v1
	v_lshlrev_b32_e32 v5, v5, v6
	v_sub_u32_e32 v4, 29, v4
	v_and_b32_e32 v5, 7, v5
	v_cmp_eq_u16_e32 vcc, 0, v1
	v_cndmask_b32_e32 v0, v0, v5, vcc
	v_cndmask_b32_e32 v1, v1, v4, vcc
	v_lshlrev_b32_e32 v4, 24, v6
	v_mov_b32_e32 v5, 0x3b800000
	v_lshlrev_b32_e32 v0, 20, v0
	v_and_b32_e32 v4, 0x80000000, v4
	v_lshl_add_u32 v1, v1, 23, v5
	v_or3_b32 v0, v4, v1, v0
.LBB56_1988:
	s_or_b64 exec, exec, s[6:7]
	s_movk_i32 s4, 0x7f
	v_cmp_gt_i16_sdwa s[6:7], v2, s4 src0_sel:BYTE_0 src1_sel:DWORD
	s_mov_b64 s[4:5], 0
                                        ; implicit-def: $sgpr10
	s_and_saveexec_b64 s[8:9], s[6:7]
	s_xor_b64 s[6:7], exec, s[8:9]
	s_cbranch_execnz .LBB56_4037
; %bb.1989:
	s_or_saveexec_b64 s[6:7], s[6:7]
	v_mov_b32_e32 v1, s10
	s_xor_b64 exec, exec, s[6:7]
	s_cbranch_execnz .LBB56_4040
.LBB56_1990:
	s_or_b64 exec, exec, s[6:7]
	s_and_saveexec_b64 s[6:7], s[4:5]
	s_cbranch_execz .LBB56_1992
.LBB56_1991:
	v_and_b32_e32 v1, 7, v2
	v_ffbh_u32_e32 v5, v1
	v_min_u32_e32 v5, 32, v5
	v_lshrrev_b16_e32 v4, 3, v2
	v_subrev_u32_e32 v8, 28, v5
	v_and_b32_e32 v4, 15, v4
	v_lshlrev_b32_e32 v8, v8, v2
	v_sub_u32_e32 v5, 29, v5
	v_and_b32_e32 v8, 7, v8
	v_cmp_eq_u16_e32 vcc, 0, v4
	v_cndmask_b32_e32 v1, v1, v8, vcc
	v_cndmask_b32_e32 v4, v4, v5, vcc
	v_lshlrev_b32_e32 v5, 24, v2
	v_mov_b32_e32 v8, 0x3b800000
	v_lshlrev_b32_e32 v1, 20, v1
	v_and_b32_e32 v5, 0x80000000, v5
	v_lshl_add_u32 v4, v4, 23, v8
	v_or3_b32 v1, v5, v4, v1
.LBB56_1992:
	s_or_b64 exec, exec, s[6:7]
	s_nop 0
	v_mfma_f32_16x16x4f32 a[0:3], v0, v1, a[0:3]
	v_lshrrev_b32_e32 v1, 8, v6
	s_movk_i32 s4, 0x7f
	v_cmp_gt_i16_sdwa s[6:7], v1, s4 src0_sel:BYTE_0 src1_sel:DWORD
	s_mov_b64 s[4:5], 0
                                        ; implicit-def: $sgpr10
	s_and_saveexec_b64 s[8:9], s[6:7]
	s_xor_b64 s[6:7], exec, s[8:9]
	s_cbranch_execnz .LBB56_4041
; %bb.1993:
	s_or_saveexec_b64 s[6:7], s[6:7]
	v_mov_b32_e32 v0, s10
	s_xor_b64 exec, exec, s[6:7]
	s_cbranch_execnz .LBB56_4044
.LBB56_1994:
	s_or_b64 exec, exec, s[6:7]
	s_and_saveexec_b64 s[6:7], s[4:5]
	s_cbranch_execz .LBB56_1996
.LBB56_1995:
	v_bfe_u32 v0, v6, 8, 3
	v_ffbh_u32_e32 v5, v0
	v_min_u32_e32 v5, 32, v5
	v_lshrrev_b16_e32 v4, 3, v1
	v_subrev_u32_e32 v8, 28, v5
	v_and_b32_e32 v4, 15, v4
	v_lshlrev_b32_e32 v1, v8, v1
	v_sub_u32_e32 v5, 29, v5
	v_and_b32_e32 v1, 7, v1
	v_cmp_eq_u16_e32 vcc, 0, v4
	v_cndmask_b32_e32 v0, v0, v1, vcc
	v_cndmask_b32_e32 v1, v4, v5, vcc
	v_lshlrev_b32_e32 v4, 16, v6
	v_mov_b32_e32 v5, 0x3b800000
	v_lshlrev_b32_e32 v0, 20, v0
	v_and_b32_e32 v4, 0x80000000, v4
	v_lshl_add_u32 v1, v1, 23, v5
	v_or3_b32 v0, v4, v1, v0
.LBB56_1996:
	s_or_b64 exec, exec, s[6:7]
	v_lshrrev_b32_e32 v1, 8, v2
	s_movk_i32 s4, 0x7f
	v_cmp_gt_i16_sdwa s[6:7], v1, s4 src0_sel:BYTE_0 src1_sel:DWORD
	s_mov_b64 s[4:5], 0
                                        ; implicit-def: $sgpr10
	s_and_saveexec_b64 s[8:9], s[6:7]
	s_xor_b64 s[6:7], exec, s[8:9]
	s_cbranch_execnz .LBB56_4045
; %bb.1997:
	s_or_saveexec_b64 s[6:7], s[6:7]
	v_mov_b32_e32 v4, s10
	s_xor_b64 exec, exec, s[6:7]
	s_cbranch_execnz .LBB56_4048
.LBB56_1998:
	s_or_b64 exec, exec, s[6:7]
	s_and_saveexec_b64 s[6:7], s[4:5]
	s_cbranch_execz .LBB56_2000
.LBB56_1999:
	v_bfe_u32 v4, v2, 8, 3
	v_ffbh_u32_e32 v8, v4
	v_min_u32_e32 v8, 32, v8
	v_lshrrev_b16_e32 v5, 3, v1
	v_subrev_u32_e32 v9, 28, v8
	v_and_b32_e32 v5, 15, v5
	v_lshlrev_b32_e32 v1, v9, v1
	v_sub_u32_e32 v8, 29, v8
	v_and_b32_e32 v1, 7, v1
	v_cmp_eq_u16_e32 vcc, 0, v5
	v_cndmask_b32_e32 v1, v4, v1, vcc
	v_cndmask_b32_e32 v4, v5, v8, vcc
	v_lshlrev_b32_e32 v5, 16, v2
	v_mov_b32_e32 v8, 0x3b800000
	v_lshlrev_b32_e32 v1, 20, v1
	v_and_b32_e32 v5, 0x80000000, v5
	v_lshl_add_u32 v4, v4, 23, v8
	v_or3_b32 v4, v5, v4, v1
.LBB56_2000:
	s_or_b64 exec, exec, s[6:7]
	s_nop 0
	v_mfma_f32_16x16x4f32 a[0:3], v0, v4, a[0:3]
	s_movk_i32 s4, 0xff
	v_and_b32_sdwa v1, v6, s4 dst_sel:DWORD dst_unused:UNUSED_PAD src0_sel:WORD_1 src1_sel:DWORD
	s_movk_i32 s4, 0x7f
	v_cmp_lt_i16_e32 vcc, s4, v1
	s_mov_b64 s[4:5], 0
                                        ; implicit-def: $sgpr10
	s_and_saveexec_b64 s[6:7], vcc
	s_xor_b64 s[6:7], exec, s[6:7]
	s_cbranch_execnz .LBB56_4049
; %bb.2001:
	s_or_saveexec_b64 s[6:7], s[6:7]
	v_mov_b32_e32 v0, s10
	s_xor_b64 exec, exec, s[6:7]
	s_cbranch_execnz .LBB56_4052
.LBB56_2002:
	s_or_b64 exec, exec, s[6:7]
	s_and_saveexec_b64 s[6:7], s[4:5]
	s_cbranch_execz .LBB56_2004
.LBB56_2003:
	v_bfe_u32 v0, v6, 16, 3
	v_ffbh_u32_e32 v5, v0
	v_min_u32_e32 v5, 32, v5
	v_lshrrev_b32_e32 v1, 19, v6
	v_subrev_u32_e32 v8, 28, v5
	v_and_b32_e32 v1, 15, v1
	v_lshlrev_b32_sdwa v8, v8, v6 dst_sel:DWORD dst_unused:UNUSED_PAD src0_sel:DWORD src1_sel:WORD_1
	v_bfe_u32 v4, v6, 19, 4
	v_sub_u32_e32 v5, 29, v5
	v_and_b32_e32 v8, 7, v8
	v_cmp_eq_u16_e32 vcc, 0, v1
	v_cndmask_b32_e32 v0, v0, v8, vcc
	v_cndmask_b32_e32 v1, v4, v5, vcc
	v_lshlrev_b32_e32 v4, 8, v6
	v_mov_b32_e32 v5, 0x3b800000
	v_lshlrev_b32_e32 v0, 20, v0
	v_and_b32_e32 v4, 0x80000000, v4
	v_lshl_add_u32 v1, v1, 23, v5
	v_or3_b32 v0, v4, v1, v0
.LBB56_2004:
	s_or_b64 exec, exec, s[6:7]
	s_movk_i32 s4, 0xff
	v_and_b32_sdwa v1, v2, s4 dst_sel:DWORD dst_unused:UNUSED_PAD src0_sel:WORD_1 src1_sel:DWORD
	s_movk_i32 s4, 0x7f
	v_cmp_lt_i16_e32 vcc, s4, v1
	s_mov_b64 s[4:5], 0
                                        ; implicit-def: $sgpr10
	s_and_saveexec_b64 s[6:7], vcc
	s_xor_b64 s[6:7], exec, s[6:7]
	s_cbranch_execnz .LBB56_4053
; %bb.2005:
	s_or_saveexec_b64 s[6:7], s[6:7]
	v_mov_b32_e32 v4, s10
	s_xor_b64 exec, exec, s[6:7]
	s_cbranch_execnz .LBB56_4056
.LBB56_2006:
	s_or_b64 exec, exec, s[6:7]
	s_and_saveexec_b64 s[6:7], s[4:5]
	s_cbranch_execz .LBB56_2008
.LBB56_2007:
	v_bfe_u32 v1, v2, 16, 3
	v_ffbh_u32_e32 v8, v1
	v_min_u32_e32 v8, 32, v8
	v_lshrrev_b32_e32 v4, 19, v2
	v_subrev_u32_e32 v9, 28, v8
	v_and_b32_e32 v4, 15, v4
	v_lshlrev_b32_sdwa v9, v9, v2 dst_sel:DWORD dst_unused:UNUSED_PAD src0_sel:DWORD src1_sel:WORD_1
	v_bfe_u32 v5, v2, 19, 4
	v_sub_u32_e32 v8, 29, v8
	v_and_b32_e32 v9, 7, v9
	v_cmp_eq_u16_e32 vcc, 0, v4
	v_cndmask_b32_e32 v1, v1, v9, vcc
	v_cndmask_b32_e32 v4, v5, v8, vcc
	v_lshlrev_b32_e32 v5, 8, v2
	v_mov_b32_e32 v8, 0x3b800000
	v_lshlrev_b32_e32 v1, 20, v1
	v_and_b32_e32 v5, 0x80000000, v5
	v_lshl_add_u32 v4, v4, 23, v8
	v_or3_b32 v4, v5, v4, v1
.LBB56_2008:
	s_or_b64 exec, exec, s[6:7]
	s_nop 0
	v_mfma_f32_16x16x4f32 a[0:3], v0, v4, a[0:3]
	s_movk_i32 s4, 0x7f
	v_cmp_gt_i16_sdwa s[6:7], v6, s4 src0_sel:BYTE_3 src1_sel:DWORD
	s_mov_b64 s[4:5], 0
                                        ; implicit-def: $sgpr10
	s_and_saveexec_b64 s[8:9], s[6:7]
	s_xor_b64 s[6:7], exec, s[8:9]
	s_cbranch_execnz .LBB56_4057
; %bb.2009:
	s_or_saveexec_b64 s[6:7], s[6:7]
	v_mov_b32_e32 v0, s10
	s_xor_b64 exec, exec, s[6:7]
	s_cbranch_execnz .LBB56_4060
.LBB56_2010:
	s_or_b64 exec, exec, s[6:7]
	s_and_saveexec_b64 s[6:7], s[4:5]
	s_cbranch_execz .LBB56_2012
.LBB56_2011:
	v_bfe_u32 v0, v6, 24, 3
	v_ffbh_u32_e32 v8, v0
	v_min_u32_e32 v8, 32, v8
	v_lshrrev_b32_e32 v4, 27, v6
	v_subrev_u32_e32 v9, 28, v8
	v_and_b32_e32 v1, 0x80000000, v6
	v_and_b32_e32 v4, 15, v4
	v_bfe_u32 v5, v6, 27, 4
	v_lshlrev_b32_sdwa v6, v9, v6 dst_sel:DWORD dst_unused:UNUSED_PAD src0_sel:DWORD src1_sel:BYTE_3
	v_sub_u32_e32 v8, 29, v8
	v_and_b32_e32 v6, 7, v6
	v_cmp_eq_u16_e32 vcc, 0, v4
	v_cndmask_b32_e32 v0, v0, v6, vcc
	v_cndmask_b32_e32 v4, v5, v8, vcc
	v_mov_b32_e32 v5, 0x3b800000
	v_lshlrev_b32_e32 v0, 20, v0
	v_lshl_add_u32 v4, v4, 23, v5
	v_or3_b32 v0, v1, v4, v0
.LBB56_2012:
	s_or_b64 exec, exec, s[6:7]
	s_movk_i32 s4, 0x7f
	v_cmp_gt_i16_sdwa s[6:7], v2, s4 src0_sel:BYTE_3 src1_sel:DWORD
	s_mov_b64 s[4:5], 0
                                        ; implicit-def: $sgpr10
	s_and_saveexec_b64 s[8:9], s[6:7]
	s_xor_b64 s[6:7], exec, s[8:9]
	s_cbranch_execnz .LBB56_4061
; %bb.2013:
	s_or_saveexec_b64 s[6:7], s[6:7]
	v_mov_b32_e32 v1, s10
	s_xor_b64 exec, exec, s[6:7]
	s_cbranch_execnz .LBB56_4064
.LBB56_2014:
	s_or_b64 exec, exec, s[6:7]
	s_and_saveexec_b64 s[6:7], s[4:5]
	s_cbranch_execz .LBB56_2016
.LBB56_2015:
	v_bfe_u32 v1, v2, 24, 3
	v_ffbh_u32_e32 v8, v1
	v_min_u32_e32 v8, 32, v8
	v_lshrrev_b32_e32 v5, 27, v2
	v_subrev_u32_e32 v9, 28, v8
	v_and_b32_e32 v4, 0x80000000, v2
	v_and_b32_e32 v5, 15, v5
	v_bfe_u32 v6, v2, 27, 4
	v_lshlrev_b32_sdwa v2, v9, v2 dst_sel:DWORD dst_unused:UNUSED_PAD src0_sel:DWORD src1_sel:BYTE_3
	v_sub_u32_e32 v8, 29, v8
	v_and_b32_e32 v2, 7, v2
	v_cmp_eq_u16_e32 vcc, 0, v5
	v_cndmask_b32_e32 v1, v1, v2, vcc
	v_cndmask_b32_e32 v2, v6, v8, vcc
	v_mov_b32_e32 v5, 0x3b800000
	v_lshlrev_b32_e32 v1, 20, v1
	v_lshl_add_u32 v2, v2, 23, v5
	v_or3_b32 v1, v4, v2, v1
.LBB56_2016:
	s_or_b64 exec, exec, s[6:7]
	s_nop 0
	v_mfma_f32_16x16x4f32 a[0:3], v0, v1, a[0:3]
	s_movk_i32 s4, 0x7f
	v_cmp_gt_i16_sdwa s[6:7], v7, s4 src0_sel:BYTE_0 src1_sel:DWORD
	s_mov_b64 s[4:5], 0
                                        ; implicit-def: $sgpr10
	s_and_saveexec_b64 s[8:9], s[6:7]
	s_xor_b64 s[6:7], exec, s[8:9]
	s_cbranch_execnz .LBB56_4065
; %bb.2017:
	s_or_saveexec_b64 s[6:7], s[6:7]
	v_mov_b32_e32 v0, s10
	s_xor_b64 exec, exec, s[6:7]
	s_cbranch_execnz .LBB56_4068
.LBB56_2018:
	s_or_b64 exec, exec, s[6:7]
	s_and_saveexec_b64 s[6:7], s[4:5]
	s_cbranch_execz .LBB56_2020
.LBB56_2019:
	v_mov_b32_e32 v0, 8
	v_and_b32_e32 v1, 7, v7
	v_lshrrev_b32_sdwa v0, v0, v7 dst_sel:BYTE_1 dst_unused:UNUSED_PAD src0_sel:DWORD src1_sel:DWORD
	v_ffbh_u32_e32 v2, v1
	v_or_b32_sdwa v0, v7, v0 dst_sel:DWORD dst_unused:UNUSED_PAD src0_sel:BYTE_0 src1_sel:DWORD
	v_min_u32_e32 v2, 32, v2
	v_lshrrev_b16_e32 v0, 3, v0
	v_subrev_u32_e32 v4, 28, v2
	v_and_b32_e32 v0, 15, v0
	v_lshlrev_b32_e32 v4, v4, v7
	v_sub_u32_e32 v2, 29, v2
	v_and_b32_e32 v4, 7, v4
	v_cmp_eq_u16_e32 vcc, 0, v0
	v_cndmask_b32_e32 v1, v1, v4, vcc
	v_cndmask_b32_e32 v0, v0, v2, vcc
	v_lshlrev_b32_e32 v2, 24, v7
	v_mov_b32_e32 v4, 0x3b800000
	v_lshlrev_b32_e32 v1, 20, v1
	v_and_b32_e32 v2, 0x80000000, v2
	v_lshl_add_u32 v0, v0, 23, v4
	v_or3_b32 v0, v2, v0, v1
.LBB56_2020:
	s_or_b64 exec, exec, s[6:7]
	s_movk_i32 s4, 0x7f
	v_cmp_gt_i16_sdwa s[6:7], v3, s4 src0_sel:BYTE_0 src1_sel:DWORD
	s_mov_b64 s[4:5], 0
                                        ; implicit-def: $sgpr10
	s_and_saveexec_b64 s[8:9], s[6:7]
	s_xor_b64 s[6:7], exec, s[8:9]
	s_cbranch_execnz .LBB56_4069
; %bb.2021:
	s_or_saveexec_b64 s[6:7], s[6:7]
	v_mov_b32_e32 v1, s10
	s_xor_b64 exec, exec, s[6:7]
	s_cbranch_execnz .LBB56_4072
.LBB56_2022:
	s_or_b64 exec, exec, s[6:7]
	s_and_saveexec_b64 s[6:7], s[4:5]
	s_cbranch_execz .LBB56_2024
.LBB56_2023:
	v_mov_b32_e32 v1, 8
	v_and_b32_e32 v2, 7, v3
	v_lshrrev_b32_sdwa v1, v1, v3 dst_sel:BYTE_1 dst_unused:UNUSED_PAD src0_sel:DWORD src1_sel:DWORD
	v_ffbh_u32_e32 v4, v2
	v_or_b32_sdwa v1, v3, v1 dst_sel:DWORD dst_unused:UNUSED_PAD src0_sel:BYTE_0 src1_sel:DWORD
	v_min_u32_e32 v4, 32, v4
	v_lshrrev_b16_e32 v1, 3, v1
	v_subrev_u32_e32 v5, 28, v4
	v_and_b32_e32 v1, 15, v1
	v_lshlrev_b32_e32 v5, v5, v3
	v_sub_u32_e32 v4, 29, v4
	v_and_b32_e32 v5, 7, v5
	v_cmp_eq_u16_e32 vcc, 0, v1
	v_cndmask_b32_e32 v2, v2, v5, vcc
	v_cndmask_b32_e32 v1, v1, v4, vcc
	v_lshlrev_b32_e32 v4, 24, v3
	v_mov_b32_e32 v5, 0x3b800000
	v_lshlrev_b32_e32 v2, 20, v2
	v_and_b32_e32 v4, 0x80000000, v4
	v_lshl_add_u32 v1, v1, 23, v5
	v_or3_b32 v1, v4, v1, v2
.LBB56_2024:
	s_or_b64 exec, exec, s[6:7]
	s_nop 0
	v_mfma_f32_16x16x4f32 a[0:3], v0, v1, a[0:3]
	v_lshrrev_b32_e32 v1, 8, v7
	s_movk_i32 s4, 0x7f
	v_cmp_gt_i16_sdwa s[6:7], v1, s4 src0_sel:BYTE_0 src1_sel:DWORD
	s_mov_b64 s[4:5], 0
                                        ; implicit-def: $sgpr10
	s_and_saveexec_b64 s[8:9], s[6:7]
	s_xor_b64 s[6:7], exec, s[8:9]
	s_cbranch_execnz .LBB56_4073
; %bb.2025:
	s_or_saveexec_b64 s[6:7], s[6:7]
	v_mov_b32_e32 v0, s10
	s_xor_b64 exec, exec, s[6:7]
	s_cbranch_execnz .LBB56_4076
.LBB56_2026:
	s_or_b64 exec, exec, s[6:7]
	s_and_saveexec_b64 s[6:7], s[4:5]
	s_cbranch_execz .LBB56_2028
.LBB56_2027:
	v_bfe_u32 v0, v7, 8, 3
	v_ffbh_u32_e32 v4, v0
	v_min_u32_e32 v4, 32, v4
	v_lshrrev_b16_e32 v2, 3, v1
	v_subrev_u32_e32 v5, 28, v4
	v_and_b32_e32 v2, 15, v2
	v_lshlrev_b32_e32 v1, v5, v1
	v_sub_u32_e32 v4, 29, v4
	v_and_b32_e32 v1, 7, v1
	v_cmp_eq_u16_e32 vcc, 0, v2
	v_cndmask_b32_e32 v0, v0, v1, vcc
	v_cndmask_b32_e32 v1, v2, v4, vcc
	v_lshlrev_b32_e32 v2, 16, v7
	v_mov_b32_e32 v4, 0x3b800000
	v_lshlrev_b32_e32 v0, 20, v0
	v_and_b32_e32 v2, 0x80000000, v2
	v_lshl_add_u32 v1, v1, 23, v4
	v_or3_b32 v0, v2, v1, v0
.LBB56_2028:
	s_or_b64 exec, exec, s[6:7]
	v_lshrrev_b32_e32 v1, 8, v3
	s_movk_i32 s4, 0x7f
	v_cmp_gt_i16_sdwa s[6:7], v1, s4 src0_sel:BYTE_0 src1_sel:DWORD
	s_mov_b64 s[4:5], 0
                                        ; implicit-def: $sgpr10
	s_and_saveexec_b64 s[8:9], s[6:7]
	s_xor_b64 s[6:7], exec, s[8:9]
	s_cbranch_execnz .LBB56_4077
; %bb.2029:
	s_or_saveexec_b64 s[6:7], s[6:7]
	v_mov_b32_e32 v2, s10
	s_xor_b64 exec, exec, s[6:7]
	s_cbranch_execnz .LBB56_4080
.LBB56_2030:
	s_or_b64 exec, exec, s[6:7]
	s_and_saveexec_b64 s[6:7], s[4:5]
	s_cbranch_execz .LBB56_2032
.LBB56_2031:
	v_bfe_u32 v2, v3, 8, 3
	v_ffbh_u32_e32 v5, v2
	v_min_u32_e32 v5, 32, v5
	v_lshrrev_b16_e32 v4, 3, v1
	v_subrev_u32_e32 v6, 28, v5
	v_and_b32_e32 v4, 15, v4
	v_lshlrev_b32_e32 v1, v6, v1
	v_sub_u32_e32 v5, 29, v5
	v_and_b32_e32 v1, 7, v1
	v_cmp_eq_u16_e32 vcc, 0, v4
	v_cndmask_b32_e32 v1, v2, v1, vcc
	v_cndmask_b32_e32 v2, v4, v5, vcc
	v_lshlrev_b32_e32 v4, 16, v3
	v_mov_b32_e32 v5, 0x3b800000
	v_lshlrev_b32_e32 v1, 20, v1
	v_and_b32_e32 v4, 0x80000000, v4
	v_lshl_add_u32 v2, v2, 23, v5
	v_or3_b32 v2, v4, v2, v1
.LBB56_2032:
	s_or_b64 exec, exec, s[6:7]
	s_nop 0
	v_mfma_f32_16x16x4f32 a[0:3], v0, v2, a[0:3]
	s_movk_i32 s4, 0xff
	v_and_b32_sdwa v1, v7, s4 dst_sel:DWORD dst_unused:UNUSED_PAD src0_sel:WORD_1 src1_sel:DWORD
	s_movk_i32 s4, 0x7f
	v_cmp_lt_i16_e32 vcc, s4, v1
	s_mov_b64 s[4:5], 0
                                        ; implicit-def: $sgpr10
	s_and_saveexec_b64 s[6:7], vcc
	s_xor_b64 s[6:7], exec, s[6:7]
	s_cbranch_execnz .LBB56_4081
; %bb.2033:
	s_or_saveexec_b64 s[6:7], s[6:7]
	v_mov_b32_e32 v0, s10
	s_xor_b64 exec, exec, s[6:7]
	s_cbranch_execnz .LBB56_4084
.LBB56_2034:
	s_or_b64 exec, exec, s[6:7]
	s_and_saveexec_b64 s[6:7], s[4:5]
	s_cbranch_execz .LBB56_2036
.LBB56_2035:
	v_bfe_u32 v0, v7, 16, 3
	v_ffbh_u32_e32 v4, v0
	v_min_u32_e32 v4, 32, v4
	v_lshrrev_b32_e32 v1, 19, v7
	v_subrev_u32_e32 v5, 28, v4
	v_and_b32_e32 v1, 15, v1
	v_lshlrev_b32_sdwa v5, v5, v7 dst_sel:DWORD dst_unused:UNUSED_PAD src0_sel:DWORD src1_sel:WORD_1
	v_bfe_u32 v2, v7, 19, 4
	v_sub_u32_e32 v4, 29, v4
	v_and_b32_e32 v5, 7, v5
	v_cmp_eq_u16_e32 vcc, 0, v1
	v_cndmask_b32_e32 v0, v0, v5, vcc
	v_cndmask_b32_e32 v1, v2, v4, vcc
	v_lshlrev_b32_e32 v2, 8, v7
	v_mov_b32_e32 v4, 0x3b800000
	v_lshlrev_b32_e32 v0, 20, v0
	v_and_b32_e32 v2, 0x80000000, v2
	v_lshl_add_u32 v1, v1, 23, v4
	v_or3_b32 v0, v2, v1, v0
.LBB56_2036:
	s_or_b64 exec, exec, s[6:7]
	s_movk_i32 s4, 0xff
	v_and_b32_sdwa v1, v3, s4 dst_sel:DWORD dst_unused:UNUSED_PAD src0_sel:WORD_1 src1_sel:DWORD
	s_movk_i32 s4, 0x7f
	v_cmp_lt_i16_e32 vcc, s4, v1
	s_mov_b64 s[4:5], 0
                                        ; implicit-def: $sgpr10
	s_and_saveexec_b64 s[6:7], vcc
	s_xor_b64 s[6:7], exec, s[6:7]
	s_cbranch_execnz .LBB56_4085
; %bb.2037:
	s_or_saveexec_b64 s[6:7], s[6:7]
	v_mov_b32_e32 v2, s10
	s_xor_b64 exec, exec, s[6:7]
	s_cbranch_execnz .LBB56_4088
.LBB56_2038:
	s_or_b64 exec, exec, s[6:7]
	s_and_saveexec_b64 s[6:7], s[4:5]
	s_cbranch_execz .LBB56_2040
.LBB56_2039:
	v_bfe_u32 v1, v3, 16, 3
	v_ffbh_u32_e32 v5, v1
	v_min_u32_e32 v5, 32, v5
	v_lshrrev_b32_e32 v2, 19, v3
	v_subrev_u32_e32 v6, 28, v5
	v_and_b32_e32 v2, 15, v2
	v_lshlrev_b32_sdwa v6, v6, v3 dst_sel:DWORD dst_unused:UNUSED_PAD src0_sel:DWORD src1_sel:WORD_1
	v_bfe_u32 v4, v3, 19, 4
	v_sub_u32_e32 v5, 29, v5
	v_and_b32_e32 v6, 7, v6
	v_cmp_eq_u16_e32 vcc, 0, v2
	v_cndmask_b32_e32 v1, v1, v6, vcc
	v_cndmask_b32_e32 v2, v4, v5, vcc
	v_lshlrev_b32_e32 v4, 8, v3
	v_mov_b32_e32 v5, 0x3b800000
	v_lshlrev_b32_e32 v1, 20, v1
	v_and_b32_e32 v4, 0x80000000, v4
	v_lshl_add_u32 v2, v2, 23, v5
	v_or3_b32 v2, v4, v2, v1
.LBB56_2040:
	s_or_b64 exec, exec, s[6:7]
	s_nop 0
	v_mfma_f32_16x16x4f32 a[0:3], v0, v2, a[0:3]
	s_movk_i32 s4, 0x7f
	v_cmp_gt_i16_sdwa s[6:7], v7, s4 src0_sel:BYTE_3 src1_sel:DWORD
	s_mov_b64 s[4:5], 0
                                        ; implicit-def: $sgpr10
	s_and_saveexec_b64 s[8:9], s[6:7]
	s_xor_b64 s[6:7], exec, s[8:9]
	s_cbranch_execnz .LBB56_4089
; %bb.2041:
	s_or_saveexec_b64 s[6:7], s[6:7]
	v_mov_b32_e32 v0, s10
	s_xor_b64 exec, exec, s[6:7]
	s_cbranch_execnz .LBB56_4092
.LBB56_2042:
	s_or_b64 exec, exec, s[6:7]
	s_and_saveexec_b64 s[6:7], s[4:5]
	s_cbranch_execz .LBB56_2044
.LBB56_2043:
	v_bfe_u32 v0, v7, 24, 3
	v_ffbh_u32_e32 v5, v0
	v_min_u32_e32 v5, 32, v5
	v_lshrrev_b32_e32 v2, 27, v7
	v_subrev_u32_e32 v6, 28, v5
	v_and_b32_e32 v2, 15, v2
	v_lshlrev_b32_sdwa v6, v6, v7 dst_sel:DWORD dst_unused:UNUSED_PAD src0_sel:DWORD src1_sel:BYTE_3
	v_bfe_u32 v4, v7, 27, 4
	v_sub_u32_e32 v5, 29, v5
	v_and_b32_e32 v6, 7, v6
	v_cmp_eq_u16_e32 vcc, 0, v2
	v_cndmask_b32_e32 v0, v0, v6, vcc
	v_cndmask_b32_e32 v2, v4, v5, vcc
	v_mov_b32_e32 v4, 0x3b800000
	v_and_b32_e32 v1, 0x80000000, v7
	v_lshlrev_b32_e32 v0, 20, v0
	v_lshl_add_u32 v2, v2, 23, v4
	v_or3_b32 v0, v1, v2, v0
.LBB56_2044:
	s_or_b64 exec, exec, s[6:7]
	s_movk_i32 s4, 0x7f
	v_cmp_gt_i16_sdwa s[6:7], v3, s4 src0_sel:BYTE_3 src1_sel:DWORD
	s_mov_b64 s[4:5], 0
                                        ; implicit-def: $sgpr10
	s_and_saveexec_b64 s[8:9], s[6:7]
	s_xor_b64 s[6:7], exec, s[8:9]
	s_cbranch_execnz .LBB56_4093
; %bb.2045:
	s_or_saveexec_b64 s[6:7], s[6:7]
	v_mov_b32_e32 v1, s10
	s_xor_b64 exec, exec, s[6:7]
	s_cbranch_execnz .LBB56_4096
.LBB56_2046:
	s_or_b64 exec, exec, s[6:7]
	s_and_saveexec_b64 s[6:7], s[4:5]
	s_cbranch_execz .LBB56_2048
.LBB56_2047:
	v_bfe_u32 v1, v3, 24, 3
	v_ffbh_u32_e32 v6, v1
	v_min_u32_e32 v6, 32, v6
	v_lshrrev_b32_e32 v4, 27, v3
	v_subrev_u32_e32 v7, 28, v6
	v_and_b32_e32 v2, 0x80000000, v3
	v_and_b32_e32 v4, 15, v4
	v_bfe_u32 v5, v3, 27, 4
	v_lshlrev_b32_sdwa v3, v7, v3 dst_sel:DWORD dst_unused:UNUSED_PAD src0_sel:DWORD src1_sel:BYTE_3
	v_sub_u32_e32 v6, 29, v6
	v_and_b32_e32 v3, 7, v3
	v_cmp_eq_u16_e32 vcc, 0, v4
	v_cndmask_b32_e32 v1, v1, v3, vcc
	v_cndmask_b32_e32 v3, v5, v6, vcc
	v_mov_b32_e32 v4, 0x3b800000
	v_lshlrev_b32_e32 v1, 20, v1
	v_lshl_add_u32 v3, v3, 23, v4
	v_or3_b32 v1, v2, v3, v1
.LBB56_2048:
	s_or_b64 exec, exec, s[6:7]
	s_nop 0
	v_mfma_f32_16x16x4f32 a[0:3], v0, v1, a[0:3]
	s_nop 7
	s_nop 2
	flat_store_dwordx4 v[16:17], a[0:3] offset:624
	s_waitcnt vmcnt(0) lgkmcnt(0)
	s_setpc_b64 s[30:31]
.LBB56_2049:
	s_movk_i32 s4, 0x80
	v_cmp_eq_u16_sdwa s[12:13], v14, s4 src0_sel:BYTE_0 src1_sel:DWORD
	s_mov_b64 s[4:5], -1
                                        ; implicit-def: $sgpr10
	s_and_saveexec_b64 s[8:9], s[12:13]
; %bb.2050:
	s_mov_b32 s10, 0x7f800001
	s_xor_b64 s[4:5], exec, -1
; %bb.2051:
	s_or_b64 exec, exec, s[8:9]
	s_and_b64 s[4:5], s[4:5], exec
	s_or_saveexec_b64 s[6:7], s[6:7]
	v_mov_b32_e32 v20, s10
	s_xor_b64 exec, exec, s[6:7]
	s_cbranch_execz .LBB56_2
.LBB56_2052:
	v_mov_b32_e32 v20, 0
	v_cmp_ne_u16_sdwa s[8:9], v14, v20 src0_sel:BYTE_0 src1_sel:DWORD
	s_andn2_b64 s[4:5], s[4:5], exec
	s_and_b64 s[8:9], s[8:9], exec
	s_or_b64 s[4:5], s[4:5], s[8:9]
	s_or_b64 exec, exec, s[6:7]
	s_and_saveexec_b64 s[6:7], s[4:5]
	s_cbranch_execnz .LBB56_3
	s_branch .LBB56_4
.LBB56_2053:
	s_movk_i32 s4, 0x80
	v_cmp_eq_u16_sdwa s[12:13], v10, s4 src0_sel:BYTE_0 src1_sel:DWORD
	s_mov_b64 s[4:5], -1
                                        ; implicit-def: $sgpr10
	s_and_saveexec_b64 s[8:9], s[12:13]
; %bb.2054:
	s_mov_b32 s10, 0x7f800001
	s_xor_b64 s[4:5], exec, -1
; %bb.2055:
	s_or_b64 exec, exec, s[8:9]
	s_and_b64 s[4:5], s[4:5], exec
	s_or_saveexec_b64 s[6:7], s[6:7]
	v_mov_b32_e32 v21, s10
	s_xor_b64 exec, exec, s[6:7]
	s_cbranch_execz .LBB56_6
.LBB56_2056:
	v_mov_b32_e32 v21, 0
	v_cmp_ne_u16_sdwa s[8:9], v10, v21 src0_sel:BYTE_0 src1_sel:DWORD
	s_andn2_b64 s[4:5], s[4:5], exec
	s_and_b64 s[8:9], s[8:9], exec
	s_or_b64 s[4:5], s[4:5], s[8:9]
	s_or_b64 exec, exec, s[6:7]
	s_and_saveexec_b64 s[6:7], s[4:5]
	s_cbranch_execnz .LBB56_7
	s_branch .LBB56_8
.LBB56_2057:
	s_movk_i32 s4, 0x80
	v_cmp_eq_u16_sdwa s[12:13], v21, s4 src0_sel:BYTE_0 src1_sel:DWORD
	s_mov_b64 s[4:5], -1
                                        ; implicit-def: $sgpr10
	s_and_saveexec_b64 s[8:9], s[12:13]
; %bb.2058:
	s_mov_b32 s10, 0x7f800001
	s_xor_b64 s[4:5], exec, -1
; %bb.2059:
	s_or_b64 exec, exec, s[8:9]
	s_and_b64 s[4:5], s[4:5], exec
	s_or_saveexec_b64 s[6:7], s[6:7]
	v_mov_b32_e32 v20, s10
	s_xor_b64 exec, exec, s[6:7]
	s_cbranch_execz .LBB56_10
.LBB56_2060:
	v_mov_b32_e32 v20, 0
	v_cmp_ne_u16_sdwa s[8:9], v21, v20 src0_sel:BYTE_0 src1_sel:DWORD
	s_andn2_b64 s[4:5], s[4:5], exec
	s_and_b64 s[8:9], s[8:9], exec
	s_or_b64 s[4:5], s[4:5], s[8:9]
	s_or_b64 exec, exec, s[6:7]
	s_and_saveexec_b64 s[6:7], s[4:5]
	s_cbranch_execnz .LBB56_11
	s_branch .LBB56_12
.LBB56_2061:
	s_movk_i32 s4, 0x80
	v_cmp_eq_u16_sdwa s[12:13], v21, s4 src0_sel:BYTE_0 src1_sel:DWORD
	s_mov_b64 s[4:5], -1
                                        ; implicit-def: $sgpr10
	s_and_saveexec_b64 s[8:9], s[12:13]
; %bb.2062:
	s_mov_b32 s10, 0x7f800001
	s_xor_b64 s[4:5], exec, -1
; %bb.2063:
	s_or_b64 exec, exec, s[8:9]
	s_and_b64 s[4:5], s[4:5], exec
	s_or_saveexec_b64 s[6:7], s[6:7]
	v_mov_b32_e32 v22, s10
	s_xor_b64 exec, exec, s[6:7]
	s_cbranch_execz .LBB56_14
.LBB56_2064:
	v_mov_b32_e32 v22, 0
	v_cmp_ne_u16_sdwa s[8:9], v21, v22 src0_sel:BYTE_0 src1_sel:DWORD
	s_andn2_b64 s[4:5], s[4:5], exec
	s_and_b64 s[8:9], s[8:9], exec
	s_or_b64 s[4:5], s[4:5], s[8:9]
	s_or_b64 exec, exec, s[6:7]
	s_and_saveexec_b64 s[6:7], s[4:5]
	s_cbranch_execnz .LBB56_15
	s_branch .LBB56_16
.LBB56_2065:
	s_movk_i32 s4, 0x80
	v_cmp_eq_u16_e32 vcc, s4, v21
	s_mov_b64 s[4:5], -1
                                        ; implicit-def: $sgpr10
	s_and_saveexec_b64 s[8:9], vcc
; %bb.2066:
	s_mov_b32 s10, 0x7f800001
	s_xor_b64 s[4:5], exec, -1
; %bb.2067:
	s_or_b64 exec, exec, s[8:9]
	s_and_b64 s[4:5], s[4:5], exec
                                        ; implicit-def: $vgpr21
	s_or_saveexec_b64 s[6:7], s[6:7]
	v_mov_b32_e32 v20, s10
	s_xor_b64 exec, exec, s[6:7]
	s_cbranch_execz .LBB56_18
.LBB56_2068:
	v_cmp_ne_u16_e32 vcc, 0, v21
	s_andn2_b64 s[4:5], s[4:5], exec
	s_and_b64 s[8:9], vcc, exec
	v_mov_b32_e32 v20, 0
	s_or_b64 s[4:5], s[4:5], s[8:9]
	s_or_b64 exec, exec, s[6:7]
	s_and_saveexec_b64 s[6:7], s[4:5]
	s_cbranch_execnz .LBB56_19
	s_branch .LBB56_20
.LBB56_2069:
	s_movk_i32 s4, 0x80
	v_cmp_eq_u16_e32 vcc, s4, v21
	s_mov_b64 s[4:5], -1
                                        ; implicit-def: $sgpr10
	s_and_saveexec_b64 s[8:9], vcc
; %bb.2070:
	s_mov_b32 s10, 0x7f800001
	s_xor_b64 s[4:5], exec, -1
; %bb.2071:
	s_or_b64 exec, exec, s[8:9]
	s_and_b64 s[4:5], s[4:5], exec
                                        ; implicit-def: $vgpr21
	s_or_saveexec_b64 s[6:7], s[6:7]
	v_mov_b32_e32 v22, s10
	s_xor_b64 exec, exec, s[6:7]
	s_cbranch_execz .LBB56_22
.LBB56_2072:
	v_cmp_ne_u16_e32 vcc, 0, v21
	s_andn2_b64 s[4:5], s[4:5], exec
	s_and_b64 s[8:9], vcc, exec
	v_mov_b32_e32 v22, 0
	s_or_b64 s[4:5], s[4:5], s[8:9]
	s_or_b64 exec, exec, s[6:7]
	s_and_saveexec_b64 s[6:7], s[4:5]
	s_cbranch_execnz .LBB56_23
	s_branch .LBB56_24
.LBB56_2073:
	s_movk_i32 s4, 0x80
	v_cmp_eq_u16_sdwa s[12:13], v14, s4 src0_sel:BYTE_3 src1_sel:DWORD
	s_mov_b64 s[4:5], -1
                                        ; implicit-def: $sgpr10
	s_and_saveexec_b64 s[8:9], s[12:13]
; %bb.2074:
	s_mov_b32 s10, 0x7f800001
	s_xor_b64 s[4:5], exec, -1
; %bb.2075:
	s_or_b64 exec, exec, s[8:9]
	s_and_b64 s[4:5], s[4:5], exec
	s_or_saveexec_b64 s[6:7], s[6:7]
	v_mov_b32_e32 v20, s10
	s_xor_b64 exec, exec, s[6:7]
	s_cbranch_execz .LBB56_26
.LBB56_2076:
	v_mov_b32_e32 v20, 0
	v_cmp_ne_u16_sdwa s[8:9], v14, v20 src0_sel:BYTE_3 src1_sel:DWORD
	s_andn2_b64 s[4:5], s[4:5], exec
	s_and_b64 s[8:9], s[8:9], exec
	s_or_b64 s[4:5], s[4:5], s[8:9]
	s_or_b64 exec, exec, s[6:7]
	s_and_saveexec_b64 s[6:7], s[4:5]
	s_cbranch_execnz .LBB56_27
	s_branch .LBB56_28
.LBB56_2077:
	s_movk_i32 s4, 0x80
	v_cmp_eq_u16_sdwa s[12:13], v10, s4 src0_sel:BYTE_3 src1_sel:DWORD
	s_mov_b64 s[4:5], -1
                                        ; implicit-def: $sgpr10
	s_and_saveexec_b64 s[8:9], s[12:13]
; %bb.2078:
	s_mov_b32 s10, 0x7f800001
	s_xor_b64 s[4:5], exec, -1
; %bb.2079:
	s_or_b64 exec, exec, s[8:9]
	s_and_b64 s[4:5], s[4:5], exec
	s_or_saveexec_b64 s[6:7], s[6:7]
	v_mov_b32_e32 v14, s10
	s_xor_b64 exec, exec, s[6:7]
	s_cbranch_execz .LBB56_30
.LBB56_2080:
	v_mov_b32_e32 v14, 0
	v_cmp_ne_u16_sdwa s[8:9], v10, v14 src0_sel:BYTE_3 src1_sel:DWORD
	s_andn2_b64 s[4:5], s[4:5], exec
	s_and_b64 s[8:9], s[8:9], exec
	s_or_b64 s[4:5], s[4:5], s[8:9]
	s_or_b64 exec, exec, s[6:7]
	s_and_saveexec_b64 s[6:7], s[4:5]
	s_cbranch_execnz .LBB56_31
	s_branch .LBB56_32
.LBB56_2081:
	s_movk_i32 s4, 0x80
	v_cmp_eq_u16_sdwa s[12:13], v15, s4 src0_sel:BYTE_0 src1_sel:DWORD
	s_mov_b64 s[4:5], -1
                                        ; implicit-def: $sgpr10
	s_and_saveexec_b64 s[8:9], s[12:13]
; %bb.2082:
	s_mov_b32 s10, 0x7f800001
	s_xor_b64 s[4:5], exec, -1
; %bb.2083:
	s_or_b64 exec, exec, s[8:9]
	s_and_b64 s[4:5], s[4:5], exec
	s_or_saveexec_b64 s[6:7], s[6:7]
	v_mov_b32_e32 v10, s10
	s_xor_b64 exec, exec, s[6:7]
	s_cbranch_execz .LBB56_34
.LBB56_2084:
	v_mov_b32_e32 v10, 0
	v_cmp_ne_u16_sdwa s[8:9], v15, v10 src0_sel:BYTE_0 src1_sel:DWORD
	s_andn2_b64 s[4:5], s[4:5], exec
	s_and_b64 s[8:9], s[8:9], exec
	s_or_b64 s[4:5], s[4:5], s[8:9]
	s_or_b64 exec, exec, s[6:7]
	s_and_saveexec_b64 s[6:7], s[4:5]
	s_cbranch_execnz .LBB56_35
	s_branch .LBB56_36
.LBB56_2085:
	s_movk_i32 s4, 0x80
	v_cmp_eq_u16_sdwa s[12:13], v11, s4 src0_sel:BYTE_0 src1_sel:DWORD
	s_mov_b64 s[4:5], -1
                                        ; implicit-def: $sgpr10
	s_and_saveexec_b64 s[8:9], s[12:13]
; %bb.2086:
	s_mov_b32 s10, 0x7f800001
	s_xor_b64 s[4:5], exec, -1
; %bb.2087:
	s_or_b64 exec, exec, s[8:9]
	s_and_b64 s[4:5], s[4:5], exec
	s_or_saveexec_b64 s[6:7], s[6:7]
	v_mov_b32_e32 v14, s10
	s_xor_b64 exec, exec, s[6:7]
	s_cbranch_execz .LBB56_38
.LBB56_2088:
	v_mov_b32_e32 v14, 0
	v_cmp_ne_u16_sdwa s[8:9], v11, v14 src0_sel:BYTE_0 src1_sel:DWORD
	s_andn2_b64 s[4:5], s[4:5], exec
	s_and_b64 s[8:9], s[8:9], exec
	s_or_b64 s[4:5], s[4:5], s[8:9]
	s_or_b64 exec, exec, s[6:7]
	s_and_saveexec_b64 s[6:7], s[4:5]
	s_cbranch_execnz .LBB56_39
	s_branch .LBB56_40
.LBB56_2089:
	s_movk_i32 s4, 0x80
	v_cmp_eq_u16_sdwa s[12:13], v14, s4 src0_sel:BYTE_0 src1_sel:DWORD
	s_mov_b64 s[4:5], -1
                                        ; implicit-def: $sgpr10
	s_and_saveexec_b64 s[8:9], s[12:13]
; %bb.2090:
	s_mov_b32 s10, 0x7f800001
	s_xor_b64 s[4:5], exec, -1
; %bb.2091:
	s_or_b64 exec, exec, s[8:9]
	s_and_b64 s[4:5], s[4:5], exec
	s_or_saveexec_b64 s[6:7], s[6:7]
	v_mov_b32_e32 v10, s10
	s_xor_b64 exec, exec, s[6:7]
	s_cbranch_execz .LBB56_42
.LBB56_2092:
	v_mov_b32_e32 v10, 0
	v_cmp_ne_u16_sdwa s[8:9], v14, v10 src0_sel:BYTE_0 src1_sel:DWORD
	s_andn2_b64 s[4:5], s[4:5], exec
	s_and_b64 s[8:9], s[8:9], exec
	s_or_b64 s[4:5], s[4:5], s[8:9]
	s_or_b64 exec, exec, s[6:7]
	s_and_saveexec_b64 s[6:7], s[4:5]
	s_cbranch_execnz .LBB56_43
	s_branch .LBB56_44
.LBB56_2093:
	s_movk_i32 s4, 0x80
	v_cmp_eq_u16_sdwa s[12:13], v14, s4 src0_sel:BYTE_0 src1_sel:DWORD
	s_mov_b64 s[4:5], -1
                                        ; implicit-def: $sgpr10
	s_and_saveexec_b64 s[8:9], s[12:13]
; %bb.2094:
	s_mov_b32 s10, 0x7f800001
	s_xor_b64 s[4:5], exec, -1
; %bb.2095:
	s_or_b64 exec, exec, s[8:9]
	s_and_b64 s[4:5], s[4:5], exec
	s_or_saveexec_b64 s[6:7], s[6:7]
	v_mov_b32_e32 v20, s10
	s_xor_b64 exec, exec, s[6:7]
	s_cbranch_execz .LBB56_46
.LBB56_2096:
	v_mov_b32_e32 v20, 0
	v_cmp_ne_u16_sdwa s[8:9], v14, v20 src0_sel:BYTE_0 src1_sel:DWORD
	s_andn2_b64 s[4:5], s[4:5], exec
	s_and_b64 s[8:9], s[8:9], exec
	s_or_b64 s[4:5], s[4:5], s[8:9]
	s_or_b64 exec, exec, s[6:7]
	s_and_saveexec_b64 s[6:7], s[4:5]
	s_cbranch_execnz .LBB56_47
	s_branch .LBB56_48
.LBB56_2097:
	s_movk_i32 s4, 0x80
	v_cmp_eq_u16_e32 vcc, s4, v14
	s_mov_b64 s[4:5], -1
                                        ; implicit-def: $sgpr10
	s_and_saveexec_b64 s[8:9], vcc
; %bb.2098:
	s_mov_b32 s10, 0x7f800001
	s_xor_b64 s[4:5], exec, -1
; %bb.2099:
	s_or_b64 exec, exec, s[8:9]
	s_and_b64 s[4:5], s[4:5], exec
                                        ; implicit-def: $vgpr14
	s_or_saveexec_b64 s[6:7], s[6:7]
	v_mov_b32_e32 v10, s10
	s_xor_b64 exec, exec, s[6:7]
	s_cbranch_execz .LBB56_50
.LBB56_2100:
	v_cmp_ne_u16_e32 vcc, 0, v14
	s_andn2_b64 s[4:5], s[4:5], exec
	s_and_b64 s[8:9], vcc, exec
	v_mov_b32_e32 v10, 0
	s_or_b64 s[4:5], s[4:5], s[8:9]
	s_or_b64 exec, exec, s[6:7]
	s_and_saveexec_b64 s[6:7], s[4:5]
	s_cbranch_execnz .LBB56_51
	s_branch .LBB56_52
.LBB56_2101:
	s_movk_i32 s4, 0x80
	v_cmp_eq_u16_e32 vcc, s4, v14
	s_mov_b64 s[4:5], -1
                                        ; implicit-def: $sgpr10
	s_and_saveexec_b64 s[8:9], vcc
; %bb.2102:
	s_mov_b32 s10, 0x7f800001
	s_xor_b64 s[4:5], exec, -1
; %bb.2103:
	s_or_b64 exec, exec, s[8:9]
	s_and_b64 s[4:5], s[4:5], exec
                                        ; implicit-def: $vgpr14
	s_or_saveexec_b64 s[6:7], s[6:7]
	v_mov_b32_e32 v20, s10
	s_xor_b64 exec, exec, s[6:7]
	s_cbranch_execz .LBB56_54
.LBB56_2104:
	v_cmp_ne_u16_e32 vcc, 0, v14
	s_andn2_b64 s[4:5], s[4:5], exec
	s_and_b64 s[8:9], vcc, exec
	v_mov_b32_e32 v20, 0
	s_or_b64 s[4:5], s[4:5], s[8:9]
	s_or_b64 exec, exec, s[6:7]
	s_and_saveexec_b64 s[6:7], s[4:5]
	s_cbranch_execnz .LBB56_55
	s_branch .LBB56_56
.LBB56_2105:
	s_movk_i32 s4, 0x80
	v_cmp_eq_u16_sdwa s[12:13], v15, s4 src0_sel:BYTE_3 src1_sel:DWORD
	s_mov_b64 s[4:5], -1
                                        ; implicit-def: $sgpr10
	s_and_saveexec_b64 s[8:9], s[12:13]
; %bb.2106:
	s_mov_b32 s10, 0x7f800001
	s_xor_b64 s[4:5], exec, -1
; %bb.2107:
	s_or_b64 exec, exec, s[8:9]
	s_and_b64 s[4:5], s[4:5], exec
	s_or_saveexec_b64 s[6:7], s[6:7]
	v_mov_b32_e32 v10, s10
	s_xor_b64 exec, exec, s[6:7]
	s_cbranch_execz .LBB56_58
.LBB56_2108:
	v_mov_b32_e32 v10, 0
	v_cmp_ne_u16_sdwa s[8:9], v15, v10 src0_sel:BYTE_3 src1_sel:DWORD
	s_andn2_b64 s[4:5], s[4:5], exec
	s_and_b64 s[8:9], s[8:9], exec
	s_or_b64 s[4:5], s[4:5], s[8:9]
	s_or_b64 exec, exec, s[6:7]
	s_and_saveexec_b64 s[6:7], s[4:5]
	s_cbranch_execnz .LBB56_59
	s_branch .LBB56_60
.LBB56_2109:
	s_movk_i32 s4, 0x80
	v_cmp_eq_u16_sdwa s[12:13], v11, s4 src0_sel:BYTE_3 src1_sel:DWORD
	s_mov_b64 s[4:5], -1
                                        ; implicit-def: $sgpr10
	s_and_saveexec_b64 s[8:9], s[12:13]
; %bb.2110:
	s_mov_b32 s10, 0x7f800001
	s_xor_b64 s[4:5], exec, -1
; %bb.2111:
	s_or_b64 exec, exec, s[8:9]
	s_and_b64 s[4:5], s[4:5], exec
	s_or_saveexec_b64 s[6:7], s[6:7]
	v_mov_b32_e32 v14, s10
	s_xor_b64 exec, exec, s[6:7]
	s_cbranch_execz .LBB56_62
.LBB56_2112:
	v_mov_b32_e32 v14, 0
	v_cmp_ne_u16_sdwa s[8:9], v11, v14 src0_sel:BYTE_3 src1_sel:DWORD
	s_andn2_b64 s[4:5], s[4:5], exec
	s_and_b64 s[8:9], s[8:9], exec
	s_or_b64 s[4:5], s[4:5], s[8:9]
	s_or_b64 exec, exec, s[6:7]
	s_and_saveexec_b64 s[6:7], s[4:5]
	s_cbranch_execnz .LBB56_63
	s_branch .LBB56_64
.LBB56_2113:
	s_movk_i32 s4, 0x80
	v_cmp_eq_u16_sdwa s[12:13], v16, s4 src0_sel:BYTE_0 src1_sel:DWORD
	s_mov_b64 s[4:5], -1
                                        ; implicit-def: $sgpr10
	s_and_saveexec_b64 s[8:9], s[12:13]
; %bb.2114:
	s_mov_b32 s10, 0x7f800001
	s_xor_b64 s[4:5], exec, -1
; %bb.2115:
	s_or_b64 exec, exec, s[8:9]
	s_and_b64 s[4:5], s[4:5], exec
	s_or_saveexec_b64 s[6:7], s[6:7]
	v_mov_b32_e32 v10, s10
	s_xor_b64 exec, exec, s[6:7]
	s_cbranch_execz .LBB56_66
.LBB56_2116:
	v_mov_b32_e32 v10, 0
	v_cmp_ne_u16_sdwa s[8:9], v16, v10 src0_sel:BYTE_0 src1_sel:DWORD
	s_andn2_b64 s[4:5], s[4:5], exec
	s_and_b64 s[8:9], s[8:9], exec
	s_or_b64 s[4:5], s[4:5], s[8:9]
	s_or_b64 exec, exec, s[6:7]
	s_and_saveexec_b64 s[6:7], s[4:5]
	s_cbranch_execnz .LBB56_67
	s_branch .LBB56_68
.LBB56_2117:
	s_movk_i32 s4, 0x80
	v_cmp_eq_u16_sdwa s[12:13], v12, s4 src0_sel:BYTE_0 src1_sel:DWORD
	s_mov_b64 s[4:5], -1
                                        ; implicit-def: $sgpr10
	s_and_saveexec_b64 s[8:9], s[12:13]
; %bb.2118:
	s_mov_b32 s10, 0x7f800001
	s_xor_b64 s[4:5], exec, -1
; %bb.2119:
	s_or_b64 exec, exec, s[8:9]
	s_and_b64 s[4:5], s[4:5], exec
	s_or_saveexec_b64 s[6:7], s[6:7]
	v_mov_b32_e32 v11, s10
	s_xor_b64 exec, exec, s[6:7]
	s_cbranch_execz .LBB56_70
.LBB56_2120:
	v_mov_b32_e32 v11, 0
	v_cmp_ne_u16_sdwa s[8:9], v12, v11 src0_sel:BYTE_0 src1_sel:DWORD
	s_andn2_b64 s[4:5], s[4:5], exec
	s_and_b64 s[8:9], s[8:9], exec
	s_or_b64 s[4:5], s[4:5], s[8:9]
	s_or_b64 exec, exec, s[6:7]
	s_and_saveexec_b64 s[6:7], s[4:5]
	s_cbranch_execnz .LBB56_71
	s_branch .LBB56_72
.LBB56_2121:
	s_movk_i32 s4, 0x80
	v_cmp_eq_u16_sdwa s[12:13], v11, s4 src0_sel:BYTE_0 src1_sel:DWORD
	s_mov_b64 s[4:5], -1
                                        ; implicit-def: $sgpr10
	s_and_saveexec_b64 s[8:9], s[12:13]
; %bb.2122:
	s_mov_b32 s10, 0x7f800001
	s_xor_b64 s[4:5], exec, -1
; %bb.2123:
	s_or_b64 exec, exec, s[8:9]
	s_and_b64 s[4:5], s[4:5], exec
	s_or_saveexec_b64 s[6:7], s[6:7]
	v_mov_b32_e32 v10, s10
	s_xor_b64 exec, exec, s[6:7]
	s_cbranch_execz .LBB56_74
.LBB56_2124:
	v_mov_b32_e32 v10, 0
	v_cmp_ne_u16_sdwa s[8:9], v11, v10 src0_sel:BYTE_0 src1_sel:DWORD
	s_andn2_b64 s[4:5], s[4:5], exec
	s_and_b64 s[8:9], s[8:9], exec
	s_or_b64 s[4:5], s[4:5], s[8:9]
	s_or_b64 exec, exec, s[6:7]
	s_and_saveexec_b64 s[6:7], s[4:5]
	s_cbranch_execnz .LBB56_75
	s_branch .LBB56_76
.LBB56_2125:
	s_movk_i32 s4, 0x80
	v_cmp_eq_u16_sdwa s[12:13], v11, s4 src0_sel:BYTE_0 src1_sel:DWORD
	s_mov_b64 s[4:5], -1
                                        ; implicit-def: $sgpr10
	s_and_saveexec_b64 s[8:9], s[12:13]
; %bb.2126:
	s_mov_b32 s10, 0x7f800001
	s_xor_b64 s[4:5], exec, -1
; %bb.2127:
	s_or_b64 exec, exec, s[8:9]
	s_and_b64 s[4:5], s[4:5], exec
	s_or_saveexec_b64 s[6:7], s[6:7]
	v_mov_b32_e32 v14, s10
	s_xor_b64 exec, exec, s[6:7]
	s_cbranch_execz .LBB56_78
.LBB56_2128:
	v_mov_b32_e32 v14, 0
	v_cmp_ne_u16_sdwa s[8:9], v11, v14 src0_sel:BYTE_0 src1_sel:DWORD
	s_andn2_b64 s[4:5], s[4:5], exec
	s_and_b64 s[8:9], s[8:9], exec
	s_or_b64 s[4:5], s[4:5], s[8:9]
	s_or_b64 exec, exec, s[6:7]
	s_and_saveexec_b64 s[6:7], s[4:5]
	s_cbranch_execnz .LBB56_79
	s_branch .LBB56_80
.LBB56_2129:
	s_movk_i32 s4, 0x80
	v_cmp_eq_u16_e32 vcc, s4, v11
	s_mov_b64 s[4:5], -1
                                        ; implicit-def: $sgpr10
	s_and_saveexec_b64 s[8:9], vcc
; %bb.2130:
	s_mov_b32 s10, 0x7f800001
	s_xor_b64 s[4:5], exec, -1
; %bb.2131:
	s_or_b64 exec, exec, s[8:9]
	s_and_b64 s[4:5], s[4:5], exec
                                        ; implicit-def: $vgpr11
	s_or_saveexec_b64 s[6:7], s[6:7]
	v_mov_b32_e32 v10, s10
	s_xor_b64 exec, exec, s[6:7]
	s_cbranch_execz .LBB56_82
.LBB56_2132:
	v_cmp_ne_u16_e32 vcc, 0, v11
	s_andn2_b64 s[4:5], s[4:5], exec
	s_and_b64 s[8:9], vcc, exec
	v_mov_b32_e32 v10, 0
	s_or_b64 s[4:5], s[4:5], s[8:9]
	s_or_b64 exec, exec, s[6:7]
	s_and_saveexec_b64 s[6:7], s[4:5]
	s_cbranch_execnz .LBB56_83
	s_branch .LBB56_84
.LBB56_2133:
	s_movk_i32 s4, 0x80
	v_cmp_eq_u16_e32 vcc, s4, v11
	s_mov_b64 s[4:5], -1
                                        ; implicit-def: $sgpr10
	s_and_saveexec_b64 s[8:9], vcc
; %bb.2134:
	s_mov_b32 s10, 0x7f800001
	s_xor_b64 s[4:5], exec, -1
; %bb.2135:
	s_or_b64 exec, exec, s[8:9]
	s_and_b64 s[4:5], s[4:5], exec
                                        ; implicit-def: $vgpr11
	s_or_saveexec_b64 s[6:7], s[6:7]
	v_mov_b32_e32 v14, s10
	s_xor_b64 exec, exec, s[6:7]
	s_cbranch_execz .LBB56_86
.LBB56_2136:
	v_cmp_ne_u16_e32 vcc, 0, v11
	s_andn2_b64 s[4:5], s[4:5], exec
	s_and_b64 s[8:9], vcc, exec
	v_mov_b32_e32 v14, 0
	s_or_b64 s[4:5], s[4:5], s[8:9]
	s_or_b64 exec, exec, s[6:7]
	s_and_saveexec_b64 s[6:7], s[4:5]
	s_cbranch_execnz .LBB56_87
	s_branch .LBB56_88
.LBB56_2137:
	s_movk_i32 s4, 0x80
	v_cmp_eq_u16_sdwa s[12:13], v16, s4 src0_sel:BYTE_3 src1_sel:DWORD
	s_mov_b64 s[4:5], -1
                                        ; implicit-def: $sgpr10
	s_and_saveexec_b64 s[8:9], s[12:13]
; %bb.2138:
	s_mov_b32 s10, 0x7f800001
	s_xor_b64 s[4:5], exec, -1
; %bb.2139:
	s_or_b64 exec, exec, s[8:9]
	s_and_b64 s[4:5], s[4:5], exec
	s_or_saveexec_b64 s[6:7], s[6:7]
	v_mov_b32_e32 v10, s10
	s_xor_b64 exec, exec, s[6:7]
	s_cbranch_execz .LBB56_90
.LBB56_2140:
	v_mov_b32_e32 v10, 0
	v_cmp_ne_u16_sdwa s[8:9], v16, v10 src0_sel:BYTE_3 src1_sel:DWORD
	s_andn2_b64 s[4:5], s[4:5], exec
	s_and_b64 s[8:9], s[8:9], exec
	s_or_b64 s[4:5], s[4:5], s[8:9]
	s_or_b64 exec, exec, s[6:7]
	s_and_saveexec_b64 s[6:7], s[4:5]
	s_cbranch_execnz .LBB56_91
	s_branch .LBB56_92
.LBB56_2141:
	s_movk_i32 s4, 0x80
	v_cmp_eq_u16_sdwa s[12:13], v12, s4 src0_sel:BYTE_3 src1_sel:DWORD
	s_mov_b64 s[4:5], -1
                                        ; implicit-def: $sgpr10
	s_and_saveexec_b64 s[8:9], s[12:13]
; %bb.2142:
	s_mov_b32 s10, 0x7f800001
	s_xor_b64 s[4:5], exec, -1
; %bb.2143:
	s_or_b64 exec, exec, s[8:9]
	s_and_b64 s[4:5], s[4:5], exec
	s_or_saveexec_b64 s[6:7], s[6:7]
	v_mov_b32_e32 v11, s10
	s_xor_b64 exec, exec, s[6:7]
	s_cbranch_execz .LBB56_94
.LBB56_2144:
	v_mov_b32_e32 v11, 0
	v_cmp_ne_u16_sdwa s[8:9], v12, v11 src0_sel:BYTE_3 src1_sel:DWORD
	s_andn2_b64 s[4:5], s[4:5], exec
	s_and_b64 s[8:9], s[8:9], exec
	s_or_b64 s[4:5], s[4:5], s[8:9]
	s_or_b64 exec, exec, s[6:7]
	s_and_saveexec_b64 s[6:7], s[4:5]
	s_cbranch_execnz .LBB56_95
	s_branch .LBB56_96
.LBB56_2145:
	s_movk_i32 s4, 0x80
	v_cmp_eq_u16_sdwa s[12:13], v17, s4 src0_sel:BYTE_0 src1_sel:DWORD
	s_mov_b64 s[4:5], -1
                                        ; implicit-def: $sgpr10
	s_and_saveexec_b64 s[8:9], s[12:13]
; %bb.2146:
	s_mov_b32 s10, 0x7f800001
	s_xor_b64 s[4:5], exec, -1
; %bb.2147:
	s_or_b64 exec, exec, s[8:9]
	s_and_b64 s[4:5], s[4:5], exec
	s_or_saveexec_b64 s[6:7], s[6:7]
	v_mov_b32_e32 v10, s10
	s_xor_b64 exec, exec, s[6:7]
	s_cbranch_execz .LBB56_98
.LBB56_2148:
	v_mov_b32_e32 v10, 0
	v_cmp_ne_u16_sdwa s[8:9], v17, v10 src0_sel:BYTE_0 src1_sel:DWORD
	s_andn2_b64 s[4:5], s[4:5], exec
	s_and_b64 s[8:9], s[8:9], exec
	s_or_b64 s[4:5], s[4:5], s[8:9]
	s_or_b64 exec, exec, s[6:7]
	s_and_saveexec_b64 s[6:7], s[4:5]
	s_cbranch_execnz .LBB56_99
	s_branch .LBB56_100
.LBB56_2149:
	s_movk_i32 s4, 0x80
	v_cmp_eq_u16_sdwa s[12:13], v13, s4 src0_sel:BYTE_0 src1_sel:DWORD
	s_mov_b64 s[4:5], -1
                                        ; implicit-def: $sgpr10
	s_and_saveexec_b64 s[8:9], s[12:13]
; %bb.2150:
	s_mov_b32 s10, 0x7f800001
	s_xor_b64 s[4:5], exec, -1
; %bb.2151:
	s_or_b64 exec, exec, s[8:9]
	s_and_b64 s[4:5], s[4:5], exec
	s_or_saveexec_b64 s[6:7], s[6:7]
	v_mov_b32_e32 v11, s10
	s_xor_b64 exec, exec, s[6:7]
	s_cbranch_execz .LBB56_102
.LBB56_2152:
	v_mov_b32_e32 v11, 0
	v_cmp_ne_u16_sdwa s[8:9], v13, v11 src0_sel:BYTE_0 src1_sel:DWORD
	s_andn2_b64 s[4:5], s[4:5], exec
	s_and_b64 s[8:9], s[8:9], exec
	s_or_b64 s[4:5], s[4:5], s[8:9]
	s_or_b64 exec, exec, s[6:7]
	s_and_saveexec_b64 s[6:7], s[4:5]
	s_cbranch_execnz .LBB56_103
	s_branch .LBB56_104
.LBB56_2153:
	s_movk_i32 s4, 0x80
	v_cmp_eq_u16_sdwa s[12:13], v11, s4 src0_sel:BYTE_0 src1_sel:DWORD
	s_mov_b64 s[4:5], -1
                                        ; implicit-def: $sgpr10
	s_and_saveexec_b64 s[8:9], s[12:13]
; %bb.2154:
	s_mov_b32 s10, 0x7f800001
	s_xor_b64 s[4:5], exec, -1
; %bb.2155:
	s_or_b64 exec, exec, s[8:9]
	s_and_b64 s[4:5], s[4:5], exec
	s_or_saveexec_b64 s[6:7], s[6:7]
	v_mov_b32_e32 v10, s10
	s_xor_b64 exec, exec, s[6:7]
	s_cbranch_execz .LBB56_106
.LBB56_2156:
	v_mov_b32_e32 v10, 0
	v_cmp_ne_u16_sdwa s[8:9], v11, v10 src0_sel:BYTE_0 src1_sel:DWORD
	s_andn2_b64 s[4:5], s[4:5], exec
	s_and_b64 s[8:9], s[8:9], exec
	s_or_b64 s[4:5], s[4:5], s[8:9]
	s_or_b64 exec, exec, s[6:7]
	s_and_saveexec_b64 s[6:7], s[4:5]
	s_cbranch_execnz .LBB56_107
	s_branch .LBB56_108
.LBB56_2157:
	s_movk_i32 s4, 0x80
	v_cmp_eq_u16_sdwa s[12:13], v11, s4 src0_sel:BYTE_0 src1_sel:DWORD
	s_mov_b64 s[4:5], -1
                                        ; implicit-def: $sgpr10
	s_and_saveexec_b64 s[8:9], s[12:13]
; %bb.2158:
	s_mov_b32 s10, 0x7f800001
	s_xor_b64 s[4:5], exec, -1
; %bb.2159:
	s_or_b64 exec, exec, s[8:9]
	s_and_b64 s[4:5], s[4:5], exec
	s_or_saveexec_b64 s[6:7], s[6:7]
	v_mov_b32_e32 v12, s10
	s_xor_b64 exec, exec, s[6:7]
	s_cbranch_execz .LBB56_110
.LBB56_2160:
	v_mov_b32_e32 v12, 0
	v_cmp_ne_u16_sdwa s[8:9], v11, v12 src0_sel:BYTE_0 src1_sel:DWORD
	s_andn2_b64 s[4:5], s[4:5], exec
	s_and_b64 s[8:9], s[8:9], exec
	s_or_b64 s[4:5], s[4:5], s[8:9]
	s_or_b64 exec, exec, s[6:7]
	s_and_saveexec_b64 s[6:7], s[4:5]
	s_cbranch_execnz .LBB56_111
	s_branch .LBB56_112
.LBB56_2161:
	s_movk_i32 s4, 0x80
	v_cmp_eq_u16_e32 vcc, s4, v11
	s_mov_b64 s[4:5], -1
                                        ; implicit-def: $sgpr10
	s_and_saveexec_b64 s[8:9], vcc
; %bb.2162:
	s_mov_b32 s10, 0x7f800001
	s_xor_b64 s[4:5], exec, -1
; %bb.2163:
	s_or_b64 exec, exec, s[8:9]
	s_and_b64 s[4:5], s[4:5], exec
                                        ; implicit-def: $vgpr11
	s_or_saveexec_b64 s[6:7], s[6:7]
	v_mov_b32_e32 v10, s10
	s_xor_b64 exec, exec, s[6:7]
	s_cbranch_execz .LBB56_114
.LBB56_2164:
	v_cmp_ne_u16_e32 vcc, 0, v11
	s_andn2_b64 s[4:5], s[4:5], exec
	s_and_b64 s[8:9], vcc, exec
	v_mov_b32_e32 v10, 0
	s_or_b64 s[4:5], s[4:5], s[8:9]
	s_or_b64 exec, exec, s[6:7]
	s_and_saveexec_b64 s[6:7], s[4:5]
	s_cbranch_execnz .LBB56_115
	s_branch .LBB56_116
.LBB56_2165:
	s_movk_i32 s4, 0x80
	v_cmp_eq_u16_e32 vcc, s4, v11
	s_mov_b64 s[4:5], -1
                                        ; implicit-def: $sgpr10
	s_and_saveexec_b64 s[8:9], vcc
; %bb.2166:
	s_mov_b32 s10, 0x7f800001
	s_xor_b64 s[4:5], exec, -1
; %bb.2167:
	s_or_b64 exec, exec, s[8:9]
	s_and_b64 s[4:5], s[4:5], exec
                                        ; implicit-def: $vgpr11
	s_or_saveexec_b64 s[6:7], s[6:7]
	v_mov_b32_e32 v12, s10
	s_xor_b64 exec, exec, s[6:7]
	s_cbranch_execz .LBB56_118
.LBB56_2168:
	v_cmp_ne_u16_e32 vcc, 0, v11
	s_andn2_b64 s[4:5], s[4:5], exec
	s_and_b64 s[8:9], vcc, exec
	v_mov_b32_e32 v12, 0
	s_or_b64 s[4:5], s[4:5], s[8:9]
	s_or_b64 exec, exec, s[6:7]
	s_and_saveexec_b64 s[6:7], s[4:5]
	s_cbranch_execnz .LBB56_119
	s_branch .LBB56_120
.LBB56_2169:
	s_movk_i32 s4, 0x80
	v_cmp_eq_u16_sdwa s[12:13], v17, s4 src0_sel:BYTE_3 src1_sel:DWORD
	s_mov_b64 s[4:5], -1
                                        ; implicit-def: $sgpr10
	s_and_saveexec_b64 s[8:9], s[12:13]
; %bb.2170:
	s_mov_b32 s10, 0x7f800001
	s_xor_b64 s[4:5], exec, -1
; %bb.2171:
	s_or_b64 exec, exec, s[8:9]
	s_and_b64 s[4:5], s[4:5], exec
	s_or_saveexec_b64 s[6:7], s[6:7]
	v_mov_b32_e32 v10, s10
	s_xor_b64 exec, exec, s[6:7]
	s_cbranch_execz .LBB56_122
.LBB56_2172:
	v_mov_b32_e32 v10, 0
	v_cmp_ne_u16_sdwa s[8:9], v17, v10 src0_sel:BYTE_3 src1_sel:DWORD
	s_andn2_b64 s[4:5], s[4:5], exec
	s_and_b64 s[8:9], s[8:9], exec
	s_or_b64 s[4:5], s[4:5], s[8:9]
	s_or_b64 exec, exec, s[6:7]
	s_and_saveexec_b64 s[6:7], s[4:5]
	s_cbranch_execnz .LBB56_123
	s_branch .LBB56_124
.LBB56_2173:
	s_movk_i32 s4, 0x80
	v_cmp_eq_u16_sdwa s[12:13], v13, s4 src0_sel:BYTE_3 src1_sel:DWORD
	s_mov_b64 s[4:5], -1
                                        ; implicit-def: $sgpr10
	s_and_saveexec_b64 s[8:9], s[12:13]
; %bb.2174:
	s_mov_b32 s10, 0x7f800001
	s_xor_b64 s[4:5], exec, -1
; %bb.2175:
	s_or_b64 exec, exec, s[8:9]
	s_and_b64 s[4:5], s[4:5], exec
	s_or_saveexec_b64 s[6:7], s[6:7]
	v_mov_b32_e32 v11, s10
	s_xor_b64 exec, exec, s[6:7]
	s_cbranch_execz .LBB56_126
.LBB56_2176:
	v_mov_b32_e32 v11, 0
	v_cmp_ne_u16_sdwa s[8:9], v13, v11 src0_sel:BYTE_3 src1_sel:DWORD
	s_andn2_b64 s[4:5], s[4:5], exec
	s_and_b64 s[8:9], s[8:9], exec
	s_or_b64 s[4:5], s[4:5], s[8:9]
	s_or_b64 exec, exec, s[6:7]
	s_and_saveexec_b64 s[6:7], s[4:5]
	s_cbranch_execnz .LBB56_127
	s_branch .LBB56_128
.LBB56_2177:
	s_movk_i32 s4, 0x80
	v_cmp_eq_u16_sdwa s[12:13], v6, s4 src0_sel:BYTE_0 src1_sel:DWORD
	s_mov_b64 s[4:5], -1
                                        ; implicit-def: $sgpr10
	s_and_saveexec_b64 s[8:9], s[12:13]
; %bb.2178:
	s_mov_b32 s10, 0x7f800001
	s_xor_b64 s[4:5], exec, -1
; %bb.2179:
	s_or_b64 exec, exec, s[8:9]
	s_and_b64 s[4:5], s[4:5], exec
	s_or_saveexec_b64 s[6:7], s[6:7]
	v_mov_b32_e32 v10, s10
	s_xor_b64 exec, exec, s[6:7]
	s_cbranch_execz .LBB56_130
.LBB56_2180:
	v_mov_b32_e32 v10, 0
	v_cmp_ne_u16_sdwa s[8:9], v6, v10 src0_sel:BYTE_0 src1_sel:DWORD
	s_andn2_b64 s[4:5], s[4:5], exec
	s_and_b64 s[8:9], s[8:9], exec
	s_or_b64 s[4:5], s[4:5], s[8:9]
	s_or_b64 exec, exec, s[6:7]
	s_and_saveexec_b64 s[6:7], s[4:5]
	s_cbranch_execnz .LBB56_131
	s_branch .LBB56_132
.LBB56_2181:
	s_movk_i32 s4, 0x80
	v_cmp_eq_u16_sdwa s[12:13], v2, s4 src0_sel:BYTE_0 src1_sel:DWORD
	s_mov_b64 s[4:5], -1
                                        ; implicit-def: $sgpr10
	s_and_saveexec_b64 s[8:9], s[12:13]
; %bb.2182:
	s_mov_b32 s10, 0x7f800001
	s_xor_b64 s[4:5], exec, -1
; %bb.2183:
	s_or_b64 exec, exec, s[8:9]
	s_and_b64 s[4:5], s[4:5], exec
	s_or_saveexec_b64 s[6:7], s[6:7]
	v_mov_b32_e32 v11, s10
	s_xor_b64 exec, exec, s[6:7]
	s_cbranch_execz .LBB56_134
.LBB56_2184:
	v_mov_b32_e32 v11, 0
	v_cmp_ne_u16_sdwa s[8:9], v2, v11 src0_sel:BYTE_0 src1_sel:DWORD
	s_andn2_b64 s[4:5], s[4:5], exec
	s_and_b64 s[8:9], s[8:9], exec
	s_or_b64 s[4:5], s[4:5], s[8:9]
	s_or_b64 exec, exec, s[6:7]
	s_and_saveexec_b64 s[6:7], s[4:5]
	s_cbranch_execnz .LBB56_135
	s_branch .LBB56_136
.LBB56_2185:
	s_movk_i32 s4, 0x80
	v_cmp_eq_u16_sdwa s[12:13], v11, s4 src0_sel:BYTE_0 src1_sel:DWORD
	s_mov_b64 s[4:5], -1
                                        ; implicit-def: $sgpr10
	s_and_saveexec_b64 s[8:9], s[12:13]
; %bb.2186:
	s_mov_b32 s10, 0x7f800001
	s_xor_b64 s[4:5], exec, -1
; %bb.2187:
	s_or_b64 exec, exec, s[8:9]
	s_and_b64 s[4:5], s[4:5], exec
	s_or_saveexec_b64 s[6:7], s[6:7]
	v_mov_b32_e32 v10, s10
	s_xor_b64 exec, exec, s[6:7]
	s_cbranch_execz .LBB56_138
.LBB56_2188:
	v_mov_b32_e32 v10, 0
	v_cmp_ne_u16_sdwa s[8:9], v11, v10 src0_sel:BYTE_0 src1_sel:DWORD
	s_andn2_b64 s[4:5], s[4:5], exec
	s_and_b64 s[8:9], s[8:9], exec
	s_or_b64 s[4:5], s[4:5], s[8:9]
	s_or_b64 exec, exec, s[6:7]
	s_and_saveexec_b64 s[6:7], s[4:5]
	s_cbranch_execnz .LBB56_139
	s_branch .LBB56_140
.LBB56_2189:
	s_movk_i32 s4, 0x80
	v_cmp_eq_u16_sdwa s[12:13], v11, s4 src0_sel:BYTE_0 src1_sel:DWORD
	s_mov_b64 s[4:5], -1
                                        ; implicit-def: $sgpr10
	s_and_saveexec_b64 s[8:9], s[12:13]
; %bb.2190:
	s_mov_b32 s10, 0x7f800001
	s_xor_b64 s[4:5], exec, -1
; %bb.2191:
	s_or_b64 exec, exec, s[8:9]
	s_and_b64 s[4:5], s[4:5], exec
	s_or_saveexec_b64 s[6:7], s[6:7]
	v_mov_b32_e32 v12, s10
	s_xor_b64 exec, exec, s[6:7]
	s_cbranch_execz .LBB56_142
.LBB56_2192:
	v_mov_b32_e32 v12, 0
	v_cmp_ne_u16_sdwa s[8:9], v11, v12 src0_sel:BYTE_0 src1_sel:DWORD
	s_andn2_b64 s[4:5], s[4:5], exec
	s_and_b64 s[8:9], s[8:9], exec
	s_or_b64 s[4:5], s[4:5], s[8:9]
	s_or_b64 exec, exec, s[6:7]
	s_and_saveexec_b64 s[6:7], s[4:5]
	s_cbranch_execnz .LBB56_143
	s_branch .LBB56_144
.LBB56_2193:
	s_movk_i32 s4, 0x80
	v_cmp_eq_u16_e32 vcc, s4, v11
	s_mov_b64 s[4:5], -1
                                        ; implicit-def: $sgpr10
	s_and_saveexec_b64 s[8:9], vcc
; %bb.2194:
	s_mov_b32 s10, 0x7f800001
	s_xor_b64 s[4:5], exec, -1
; %bb.2195:
	s_or_b64 exec, exec, s[8:9]
	s_and_b64 s[4:5], s[4:5], exec
                                        ; implicit-def: $vgpr11
	s_or_saveexec_b64 s[6:7], s[6:7]
	v_mov_b32_e32 v10, s10
	s_xor_b64 exec, exec, s[6:7]
	s_cbranch_execz .LBB56_146
.LBB56_2196:
	v_cmp_ne_u16_e32 vcc, 0, v11
	s_andn2_b64 s[4:5], s[4:5], exec
	s_and_b64 s[8:9], vcc, exec
	v_mov_b32_e32 v10, 0
	s_or_b64 s[4:5], s[4:5], s[8:9]
	s_or_b64 exec, exec, s[6:7]
	s_and_saveexec_b64 s[6:7], s[4:5]
	s_cbranch_execnz .LBB56_147
	s_branch .LBB56_148
.LBB56_2197:
	s_movk_i32 s4, 0x80
	v_cmp_eq_u16_e32 vcc, s4, v11
	s_mov_b64 s[4:5], -1
                                        ; implicit-def: $sgpr10
	s_and_saveexec_b64 s[8:9], vcc
; %bb.2198:
	s_mov_b32 s10, 0x7f800001
	s_xor_b64 s[4:5], exec, -1
; %bb.2199:
	s_or_b64 exec, exec, s[8:9]
	s_and_b64 s[4:5], s[4:5], exec
                                        ; implicit-def: $vgpr11
	s_or_saveexec_b64 s[6:7], s[6:7]
	v_mov_b32_e32 v12, s10
	s_xor_b64 exec, exec, s[6:7]
	s_cbranch_execz .LBB56_150
.LBB56_2200:
	v_cmp_ne_u16_e32 vcc, 0, v11
	s_andn2_b64 s[4:5], s[4:5], exec
	s_and_b64 s[8:9], vcc, exec
	v_mov_b32_e32 v12, 0
	s_or_b64 s[4:5], s[4:5], s[8:9]
	s_or_b64 exec, exec, s[6:7]
	s_and_saveexec_b64 s[6:7], s[4:5]
	s_cbranch_execnz .LBB56_151
	s_branch .LBB56_152
.LBB56_2201:
	s_movk_i32 s4, 0x80
	v_cmp_eq_u16_sdwa s[12:13], v6, s4 src0_sel:BYTE_3 src1_sel:DWORD
	s_mov_b64 s[4:5], -1
                                        ; implicit-def: $sgpr10
	s_and_saveexec_b64 s[8:9], s[12:13]
; %bb.2202:
	s_mov_b32 s10, 0x7f800001
	s_xor_b64 s[4:5], exec, -1
; %bb.2203:
	s_or_b64 exec, exec, s[8:9]
	s_and_b64 s[4:5], s[4:5], exec
	s_or_saveexec_b64 s[6:7], s[6:7]
	v_mov_b32_e32 v10, s10
	s_xor_b64 exec, exec, s[6:7]
	s_cbranch_execz .LBB56_154
.LBB56_2204:
	v_mov_b32_e32 v10, 0
	v_cmp_ne_u16_sdwa s[8:9], v6, v10 src0_sel:BYTE_3 src1_sel:DWORD
	s_andn2_b64 s[4:5], s[4:5], exec
	s_and_b64 s[8:9], s[8:9], exec
	s_or_b64 s[4:5], s[4:5], s[8:9]
	s_or_b64 exec, exec, s[6:7]
	s_and_saveexec_b64 s[6:7], s[4:5]
	s_cbranch_execnz .LBB56_155
	s_branch .LBB56_156
.LBB56_2205:
	s_movk_i32 s4, 0x80
	v_cmp_eq_u16_sdwa s[12:13], v2, s4 src0_sel:BYTE_3 src1_sel:DWORD
	s_mov_b64 s[4:5], -1
                                        ; implicit-def: $sgpr10
	s_and_saveexec_b64 s[8:9], s[12:13]
; %bb.2206:
	s_mov_b32 s10, 0x7f800001
	s_xor_b64 s[4:5], exec, -1
; %bb.2207:
	s_or_b64 exec, exec, s[8:9]
	s_and_b64 s[4:5], s[4:5], exec
	s_or_saveexec_b64 s[6:7], s[6:7]
	v_mov_b32_e32 v6, s10
	s_xor_b64 exec, exec, s[6:7]
	s_cbranch_execz .LBB56_158
.LBB56_2208:
	v_mov_b32_e32 v6, 0
	v_cmp_ne_u16_sdwa s[8:9], v2, v6 src0_sel:BYTE_3 src1_sel:DWORD
	s_andn2_b64 s[4:5], s[4:5], exec
	s_and_b64 s[8:9], s[8:9], exec
	s_or_b64 s[4:5], s[4:5], s[8:9]
	s_or_b64 exec, exec, s[6:7]
	s_and_saveexec_b64 s[6:7], s[4:5]
	s_cbranch_execnz .LBB56_159
	s_branch .LBB56_160
.LBB56_2209:
	s_movk_i32 s4, 0x80
	v_cmp_eq_u16_sdwa s[12:13], v7, s4 src0_sel:BYTE_0 src1_sel:DWORD
	s_mov_b64 s[4:5], -1
                                        ; implicit-def: $sgpr10
	s_and_saveexec_b64 s[8:9], s[12:13]
; %bb.2210:
	s_mov_b32 s10, 0x7f800001
	s_xor_b64 s[4:5], exec, -1
; %bb.2211:
	s_or_b64 exec, exec, s[8:9]
	s_and_b64 s[4:5], s[4:5], exec
	s_or_saveexec_b64 s[6:7], s[6:7]
	v_mov_b32_e32 v2, s10
	s_xor_b64 exec, exec, s[6:7]
	s_cbranch_execz .LBB56_162
.LBB56_2212:
	v_mov_b32_e32 v2, 0
	v_cmp_ne_u16_sdwa s[8:9], v7, v2 src0_sel:BYTE_0 src1_sel:DWORD
	s_andn2_b64 s[4:5], s[4:5], exec
	s_and_b64 s[8:9], s[8:9], exec
	s_or_b64 s[4:5], s[4:5], s[8:9]
	s_or_b64 exec, exec, s[6:7]
	s_and_saveexec_b64 s[6:7], s[4:5]
	s_cbranch_execnz .LBB56_163
	s_branch .LBB56_164
.LBB56_2213:
	s_movk_i32 s4, 0x80
	v_cmp_eq_u16_sdwa s[12:13], v3, s4 src0_sel:BYTE_0 src1_sel:DWORD
	s_mov_b64 s[4:5], -1
                                        ; implicit-def: $sgpr10
	s_and_saveexec_b64 s[8:9], s[12:13]
; %bb.2214:
	s_mov_b32 s10, 0x7f800001
	s_xor_b64 s[4:5], exec, -1
; %bb.2215:
	s_or_b64 exec, exec, s[8:9]
	s_and_b64 s[4:5], s[4:5], exec
	s_or_saveexec_b64 s[6:7], s[6:7]
	v_mov_b32_e32 v6, s10
	s_xor_b64 exec, exec, s[6:7]
	s_cbranch_execz .LBB56_166
.LBB56_2216:
	v_mov_b32_e32 v6, 0
	v_cmp_ne_u16_sdwa s[8:9], v3, v6 src0_sel:BYTE_0 src1_sel:DWORD
	s_andn2_b64 s[4:5], s[4:5], exec
	s_and_b64 s[8:9], s[8:9], exec
	s_or_b64 s[4:5], s[4:5], s[8:9]
	s_or_b64 exec, exec, s[6:7]
	s_and_saveexec_b64 s[6:7], s[4:5]
	s_cbranch_execnz .LBB56_167
	s_branch .LBB56_168
.LBB56_2217:
	s_movk_i32 s4, 0x80
	v_cmp_eq_u16_sdwa s[12:13], v6, s4 src0_sel:BYTE_0 src1_sel:DWORD
	s_mov_b64 s[4:5], -1
                                        ; implicit-def: $sgpr10
	s_and_saveexec_b64 s[8:9], s[12:13]
; %bb.2218:
	s_mov_b32 s10, 0x7f800001
	s_xor_b64 s[4:5], exec, -1
; %bb.2219:
	s_or_b64 exec, exec, s[8:9]
	s_and_b64 s[4:5], s[4:5], exec
	s_or_saveexec_b64 s[6:7], s[6:7]
	v_mov_b32_e32 v2, s10
	s_xor_b64 exec, exec, s[6:7]
	s_cbranch_execz .LBB56_170
.LBB56_2220:
	v_mov_b32_e32 v2, 0
	v_cmp_ne_u16_sdwa s[8:9], v6, v2 src0_sel:BYTE_0 src1_sel:DWORD
	s_andn2_b64 s[4:5], s[4:5], exec
	s_and_b64 s[8:9], s[8:9], exec
	s_or_b64 s[4:5], s[4:5], s[8:9]
	s_or_b64 exec, exec, s[6:7]
	s_and_saveexec_b64 s[6:7], s[4:5]
	s_cbranch_execnz .LBB56_171
	s_branch .LBB56_172
.LBB56_2221:
	s_movk_i32 s4, 0x80
	v_cmp_eq_u16_sdwa s[12:13], v6, s4 src0_sel:BYTE_0 src1_sel:DWORD
	s_mov_b64 s[4:5], -1
                                        ; implicit-def: $sgpr10
	s_and_saveexec_b64 s[8:9], s[12:13]
; %bb.2222:
	s_mov_b32 s10, 0x7f800001
	s_xor_b64 s[4:5], exec, -1
; %bb.2223:
	s_or_b64 exec, exec, s[8:9]
	s_and_b64 s[4:5], s[4:5], exec
	s_or_saveexec_b64 s[6:7], s[6:7]
	v_mov_b32_e32 v10, s10
	s_xor_b64 exec, exec, s[6:7]
	s_cbranch_execz .LBB56_174
.LBB56_2224:
	v_mov_b32_e32 v10, 0
	v_cmp_ne_u16_sdwa s[8:9], v6, v10 src0_sel:BYTE_0 src1_sel:DWORD
	s_andn2_b64 s[4:5], s[4:5], exec
	s_and_b64 s[8:9], s[8:9], exec
	s_or_b64 s[4:5], s[4:5], s[8:9]
	s_or_b64 exec, exec, s[6:7]
	s_and_saveexec_b64 s[6:7], s[4:5]
	s_cbranch_execnz .LBB56_175
	s_branch .LBB56_176
.LBB56_2225:
	s_movk_i32 s4, 0x80
	v_cmp_eq_u16_e32 vcc, s4, v6
	s_mov_b64 s[4:5], -1
                                        ; implicit-def: $sgpr10
	s_and_saveexec_b64 s[8:9], vcc
; %bb.2226:
	s_mov_b32 s10, 0x7f800001
	s_xor_b64 s[4:5], exec, -1
; %bb.2227:
	s_or_b64 exec, exec, s[8:9]
	s_and_b64 s[4:5], s[4:5], exec
                                        ; implicit-def: $vgpr6
	s_or_saveexec_b64 s[6:7], s[6:7]
	v_mov_b32_e32 v2, s10
	s_xor_b64 exec, exec, s[6:7]
	s_cbranch_execz .LBB56_178
.LBB56_2228:
	v_cmp_ne_u16_e32 vcc, 0, v6
	s_andn2_b64 s[4:5], s[4:5], exec
	s_and_b64 s[8:9], vcc, exec
	v_mov_b32_e32 v2, 0
	s_or_b64 s[4:5], s[4:5], s[8:9]
	s_or_b64 exec, exec, s[6:7]
	s_and_saveexec_b64 s[6:7], s[4:5]
	s_cbranch_execnz .LBB56_179
	s_branch .LBB56_180
.LBB56_2229:
	s_movk_i32 s4, 0x80
	v_cmp_eq_u16_e32 vcc, s4, v6
	s_mov_b64 s[4:5], -1
                                        ; implicit-def: $sgpr10
	s_and_saveexec_b64 s[8:9], vcc
; %bb.2230:
	s_mov_b32 s10, 0x7f800001
	s_xor_b64 s[4:5], exec, -1
; %bb.2231:
	s_or_b64 exec, exec, s[8:9]
	s_and_b64 s[4:5], s[4:5], exec
                                        ; implicit-def: $vgpr6
	s_or_saveexec_b64 s[6:7], s[6:7]
	v_mov_b32_e32 v10, s10
	s_xor_b64 exec, exec, s[6:7]
	s_cbranch_execz .LBB56_182
.LBB56_2232:
	v_cmp_ne_u16_e32 vcc, 0, v6
	s_andn2_b64 s[4:5], s[4:5], exec
	s_and_b64 s[8:9], vcc, exec
	v_mov_b32_e32 v10, 0
	s_or_b64 s[4:5], s[4:5], s[8:9]
	s_or_b64 exec, exec, s[6:7]
	s_and_saveexec_b64 s[6:7], s[4:5]
	s_cbranch_execnz .LBB56_183
	s_branch .LBB56_184
.LBB56_2233:
	s_movk_i32 s4, 0x80
	v_cmp_eq_u16_sdwa s[12:13], v7, s4 src0_sel:BYTE_3 src1_sel:DWORD
	s_mov_b64 s[4:5], -1
                                        ; implicit-def: $sgpr10
	s_and_saveexec_b64 s[8:9], s[12:13]
; %bb.2234:
	s_mov_b32 s10, 0x7f800001
	s_xor_b64 s[4:5], exec, -1
; %bb.2235:
	s_or_b64 exec, exec, s[8:9]
	s_and_b64 s[4:5], s[4:5], exec
	s_or_saveexec_b64 s[6:7], s[6:7]
	v_mov_b32_e32 v2, s10
	s_xor_b64 exec, exec, s[6:7]
	s_cbranch_execz .LBB56_186
.LBB56_2236:
	v_mov_b32_e32 v2, 0
	v_cmp_ne_u16_sdwa s[8:9], v7, v2 src0_sel:BYTE_3 src1_sel:DWORD
	s_andn2_b64 s[4:5], s[4:5], exec
	s_and_b64 s[8:9], s[8:9], exec
	s_or_b64 s[4:5], s[4:5], s[8:9]
	s_or_b64 exec, exec, s[6:7]
	s_and_saveexec_b64 s[6:7], s[4:5]
	s_cbranch_execnz .LBB56_187
	s_branch .LBB56_188
.LBB56_2237:
	s_movk_i32 s4, 0x80
	v_cmp_eq_u16_sdwa s[12:13], v3, s4 src0_sel:BYTE_3 src1_sel:DWORD
	s_mov_b64 s[4:5], -1
                                        ; implicit-def: $sgpr10
	s_and_saveexec_b64 s[8:9], s[12:13]
; %bb.2238:
	s_mov_b32 s10, 0x7f800001
	s_xor_b64 s[4:5], exec, -1
; %bb.2239:
	s_or_b64 exec, exec, s[8:9]
	s_and_b64 s[4:5], s[4:5], exec
	s_or_saveexec_b64 s[6:7], s[6:7]
	v_mov_b32_e32 v6, s10
	s_xor_b64 exec, exec, s[6:7]
	s_cbranch_execz .LBB56_190
.LBB56_2240:
	v_mov_b32_e32 v6, 0
	v_cmp_ne_u16_sdwa s[8:9], v3, v6 src0_sel:BYTE_3 src1_sel:DWORD
	s_andn2_b64 s[4:5], s[4:5], exec
	s_and_b64 s[8:9], s[8:9], exec
	s_or_b64 s[4:5], s[4:5], s[8:9]
	s_or_b64 exec, exec, s[6:7]
	s_and_saveexec_b64 s[6:7], s[4:5]
	s_cbranch_execnz .LBB56_191
	s_branch .LBB56_192
.LBB56_2241:
	s_movk_i32 s4, 0x80
	v_cmp_eq_u16_sdwa s[12:13], v8, s4 src0_sel:BYTE_0 src1_sel:DWORD
	s_mov_b64 s[4:5], -1
                                        ; implicit-def: $sgpr10
	s_and_saveexec_b64 s[8:9], s[12:13]
; %bb.2242:
	s_mov_b32 s10, 0x7f800001
	s_xor_b64 s[4:5], exec, -1
; %bb.2243:
	s_or_b64 exec, exec, s[8:9]
	s_and_b64 s[4:5], s[4:5], exec
	s_or_saveexec_b64 s[6:7], s[6:7]
	v_mov_b32_e32 v2, s10
	s_xor_b64 exec, exec, s[6:7]
	s_cbranch_execz .LBB56_194
.LBB56_2244:
	v_mov_b32_e32 v2, 0
	v_cmp_ne_u16_sdwa s[8:9], v8, v2 src0_sel:BYTE_0 src1_sel:DWORD
	s_andn2_b64 s[4:5], s[4:5], exec
	s_and_b64 s[8:9], s[8:9], exec
	s_or_b64 s[4:5], s[4:5], s[8:9]
	s_or_b64 exec, exec, s[6:7]
	s_and_saveexec_b64 s[6:7], s[4:5]
	s_cbranch_execnz .LBB56_195
	s_branch .LBB56_196
.LBB56_2245:
	s_movk_i32 s4, 0x80
	v_cmp_eq_u16_sdwa s[12:13], v4, s4 src0_sel:BYTE_0 src1_sel:DWORD
	s_mov_b64 s[4:5], -1
                                        ; implicit-def: $sgpr10
	s_and_saveexec_b64 s[8:9], s[12:13]
; %bb.2246:
	s_mov_b32 s10, 0x7f800001
	s_xor_b64 s[4:5], exec, -1
; %bb.2247:
	s_or_b64 exec, exec, s[8:9]
	s_and_b64 s[4:5], s[4:5], exec
	s_or_saveexec_b64 s[6:7], s[6:7]
	v_mov_b32_e32 v3, s10
	s_xor_b64 exec, exec, s[6:7]
	s_cbranch_execz .LBB56_198
.LBB56_2248:
	v_mov_b32_e32 v3, 0
	v_cmp_ne_u16_sdwa s[8:9], v4, v3 src0_sel:BYTE_0 src1_sel:DWORD
	s_andn2_b64 s[4:5], s[4:5], exec
	s_and_b64 s[8:9], s[8:9], exec
	s_or_b64 s[4:5], s[4:5], s[8:9]
	s_or_b64 exec, exec, s[6:7]
	s_and_saveexec_b64 s[6:7], s[4:5]
	s_cbranch_execnz .LBB56_199
	s_branch .LBB56_200
.LBB56_2249:
	s_movk_i32 s4, 0x80
	v_cmp_eq_u16_sdwa s[12:13], v3, s4 src0_sel:BYTE_0 src1_sel:DWORD
	s_mov_b64 s[4:5], -1
                                        ; implicit-def: $sgpr10
	s_and_saveexec_b64 s[8:9], s[12:13]
; %bb.2250:
	s_mov_b32 s10, 0x7f800001
	s_xor_b64 s[4:5], exec, -1
; %bb.2251:
	s_or_b64 exec, exec, s[8:9]
	s_and_b64 s[4:5], s[4:5], exec
	s_or_saveexec_b64 s[6:7], s[6:7]
	v_mov_b32_e32 v2, s10
	s_xor_b64 exec, exec, s[6:7]
	s_cbranch_execz .LBB56_202
.LBB56_2252:
	v_mov_b32_e32 v2, 0
	v_cmp_ne_u16_sdwa s[8:9], v3, v2 src0_sel:BYTE_0 src1_sel:DWORD
	s_andn2_b64 s[4:5], s[4:5], exec
	s_and_b64 s[8:9], s[8:9], exec
	s_or_b64 s[4:5], s[4:5], s[8:9]
	s_or_b64 exec, exec, s[6:7]
	s_and_saveexec_b64 s[6:7], s[4:5]
	s_cbranch_execnz .LBB56_203
	s_branch .LBB56_204
.LBB56_2253:
	s_movk_i32 s4, 0x80
	v_cmp_eq_u16_sdwa s[12:13], v3, s4 src0_sel:BYTE_0 src1_sel:DWORD
	s_mov_b64 s[4:5], -1
                                        ; implicit-def: $sgpr10
	s_and_saveexec_b64 s[8:9], s[12:13]
; %bb.2254:
	s_mov_b32 s10, 0x7f800001
	s_xor_b64 s[4:5], exec, -1
; %bb.2255:
	s_or_b64 exec, exec, s[8:9]
	s_and_b64 s[4:5], s[4:5], exec
	s_or_saveexec_b64 s[6:7], s[6:7]
	v_mov_b32_e32 v6, s10
	s_xor_b64 exec, exec, s[6:7]
	s_cbranch_execz .LBB56_206
.LBB56_2256:
	v_mov_b32_e32 v6, 0
	v_cmp_ne_u16_sdwa s[8:9], v3, v6 src0_sel:BYTE_0 src1_sel:DWORD
	s_andn2_b64 s[4:5], s[4:5], exec
	s_and_b64 s[8:9], s[8:9], exec
	s_or_b64 s[4:5], s[4:5], s[8:9]
	s_or_b64 exec, exec, s[6:7]
	s_and_saveexec_b64 s[6:7], s[4:5]
	s_cbranch_execnz .LBB56_207
	s_branch .LBB56_208
.LBB56_2257:
	s_movk_i32 s4, 0x80
	v_cmp_eq_u16_e32 vcc, s4, v3
	s_mov_b64 s[4:5], -1
                                        ; implicit-def: $sgpr10
	s_and_saveexec_b64 s[8:9], vcc
; %bb.2258:
	s_mov_b32 s10, 0x7f800001
	s_xor_b64 s[4:5], exec, -1
; %bb.2259:
	s_or_b64 exec, exec, s[8:9]
	s_and_b64 s[4:5], s[4:5], exec
                                        ; implicit-def: $vgpr3
	s_or_saveexec_b64 s[6:7], s[6:7]
	v_mov_b32_e32 v2, s10
	s_xor_b64 exec, exec, s[6:7]
	s_cbranch_execz .LBB56_210
.LBB56_2260:
	v_cmp_ne_u16_e32 vcc, 0, v3
	s_andn2_b64 s[4:5], s[4:5], exec
	s_and_b64 s[8:9], vcc, exec
	v_mov_b32_e32 v2, 0
	s_or_b64 s[4:5], s[4:5], s[8:9]
	s_or_b64 exec, exec, s[6:7]
	s_and_saveexec_b64 s[6:7], s[4:5]
	s_cbranch_execnz .LBB56_211
	s_branch .LBB56_212
.LBB56_2261:
	s_movk_i32 s4, 0x80
	v_cmp_eq_u16_e32 vcc, s4, v3
	s_mov_b64 s[4:5], -1
                                        ; implicit-def: $sgpr10
	s_and_saveexec_b64 s[8:9], vcc
; %bb.2262:
	s_mov_b32 s10, 0x7f800001
	s_xor_b64 s[4:5], exec, -1
; %bb.2263:
	s_or_b64 exec, exec, s[8:9]
	s_and_b64 s[4:5], s[4:5], exec
                                        ; implicit-def: $vgpr3
	s_or_saveexec_b64 s[6:7], s[6:7]
	v_mov_b32_e32 v6, s10
	s_xor_b64 exec, exec, s[6:7]
	s_cbranch_execz .LBB56_214
.LBB56_2264:
	v_cmp_ne_u16_e32 vcc, 0, v3
	s_andn2_b64 s[4:5], s[4:5], exec
	s_and_b64 s[8:9], vcc, exec
	v_mov_b32_e32 v6, 0
	s_or_b64 s[4:5], s[4:5], s[8:9]
	s_or_b64 exec, exec, s[6:7]
	s_and_saveexec_b64 s[6:7], s[4:5]
	s_cbranch_execnz .LBB56_215
	s_branch .LBB56_216
.LBB56_2265:
	s_movk_i32 s4, 0x80
	v_cmp_eq_u16_sdwa s[12:13], v8, s4 src0_sel:BYTE_3 src1_sel:DWORD
	s_mov_b64 s[4:5], -1
                                        ; implicit-def: $sgpr10
	s_and_saveexec_b64 s[8:9], s[12:13]
; %bb.2266:
	s_mov_b32 s10, 0x7f800001
	s_xor_b64 s[4:5], exec, -1
; %bb.2267:
	s_or_b64 exec, exec, s[8:9]
	s_and_b64 s[4:5], s[4:5], exec
	s_or_saveexec_b64 s[6:7], s[6:7]
	v_mov_b32_e32 v2, s10
	s_xor_b64 exec, exec, s[6:7]
	s_cbranch_execz .LBB56_218
.LBB56_2268:
	v_mov_b32_e32 v2, 0
	v_cmp_ne_u16_sdwa s[8:9], v8, v2 src0_sel:BYTE_3 src1_sel:DWORD
	s_andn2_b64 s[4:5], s[4:5], exec
	s_and_b64 s[8:9], s[8:9], exec
	s_or_b64 s[4:5], s[4:5], s[8:9]
	s_or_b64 exec, exec, s[6:7]
	s_and_saveexec_b64 s[6:7], s[4:5]
	s_cbranch_execnz .LBB56_219
	s_branch .LBB56_220
.LBB56_2269:
	s_movk_i32 s4, 0x80
	v_cmp_eq_u16_sdwa s[12:13], v4, s4 src0_sel:BYTE_3 src1_sel:DWORD
	s_mov_b64 s[4:5], -1
                                        ; implicit-def: $sgpr10
	s_and_saveexec_b64 s[8:9], s[12:13]
; %bb.2270:
	s_mov_b32 s10, 0x7f800001
	s_xor_b64 s[4:5], exec, -1
; %bb.2271:
	s_or_b64 exec, exec, s[8:9]
	s_and_b64 s[4:5], s[4:5], exec
	s_or_saveexec_b64 s[6:7], s[6:7]
	v_mov_b32_e32 v3, s10
	s_xor_b64 exec, exec, s[6:7]
	s_cbranch_execz .LBB56_222
.LBB56_2272:
	v_mov_b32_e32 v3, 0
	v_cmp_ne_u16_sdwa s[8:9], v4, v3 src0_sel:BYTE_3 src1_sel:DWORD
	s_andn2_b64 s[4:5], s[4:5], exec
	s_and_b64 s[8:9], s[8:9], exec
	s_or_b64 s[4:5], s[4:5], s[8:9]
	s_or_b64 exec, exec, s[6:7]
	s_and_saveexec_b64 s[6:7], s[4:5]
	s_cbranch_execnz .LBB56_223
	s_branch .LBB56_224
.LBB56_2273:
	s_movk_i32 s4, 0x80
	v_cmp_eq_u16_sdwa s[12:13], v9, s4 src0_sel:BYTE_0 src1_sel:DWORD
	s_mov_b64 s[4:5], -1
                                        ; implicit-def: $sgpr10
	s_and_saveexec_b64 s[8:9], s[12:13]
; %bb.2274:
	s_mov_b32 s10, 0x7f800001
	s_xor_b64 s[4:5], exec, -1
; %bb.2275:
	s_or_b64 exec, exec, s[8:9]
	s_and_b64 s[4:5], s[4:5], exec
	s_or_saveexec_b64 s[6:7], s[6:7]
	v_mov_b32_e32 v2, s10
	s_xor_b64 exec, exec, s[6:7]
	s_cbranch_execz .LBB56_226
.LBB56_2276:
	v_mov_b32_e32 v2, 0
	v_cmp_ne_u16_sdwa s[8:9], v9, v2 src0_sel:BYTE_0 src1_sel:DWORD
	s_andn2_b64 s[4:5], s[4:5], exec
	s_and_b64 s[8:9], s[8:9], exec
	s_or_b64 s[4:5], s[4:5], s[8:9]
	s_or_b64 exec, exec, s[6:7]
	s_and_saveexec_b64 s[6:7], s[4:5]
	s_cbranch_execnz .LBB56_227
	s_branch .LBB56_228
.LBB56_2277:
	s_movk_i32 s4, 0x80
	v_cmp_eq_u16_sdwa s[12:13], v5, s4 src0_sel:BYTE_0 src1_sel:DWORD
	s_mov_b64 s[4:5], -1
                                        ; implicit-def: $sgpr10
	s_and_saveexec_b64 s[8:9], s[12:13]
; %bb.2278:
	s_mov_b32 s10, 0x7f800001
	s_xor_b64 s[4:5], exec, -1
; %bb.2279:
	s_or_b64 exec, exec, s[8:9]
	s_and_b64 s[4:5], s[4:5], exec
	s_or_saveexec_b64 s[6:7], s[6:7]
	v_mov_b32_e32 v3, s10
	s_xor_b64 exec, exec, s[6:7]
	s_cbranch_execz .LBB56_230
.LBB56_2280:
	v_mov_b32_e32 v3, 0
	v_cmp_ne_u16_sdwa s[8:9], v5, v3 src0_sel:BYTE_0 src1_sel:DWORD
	s_andn2_b64 s[4:5], s[4:5], exec
	s_and_b64 s[8:9], s[8:9], exec
	s_or_b64 s[4:5], s[4:5], s[8:9]
	s_or_b64 exec, exec, s[6:7]
	s_and_saveexec_b64 s[6:7], s[4:5]
	s_cbranch_execnz .LBB56_231
	s_branch .LBB56_232
.LBB56_2281:
	s_movk_i32 s4, 0x80
	v_cmp_eq_u16_sdwa s[12:13], v3, s4 src0_sel:BYTE_0 src1_sel:DWORD
	s_mov_b64 s[4:5], -1
                                        ; implicit-def: $sgpr10
	s_and_saveexec_b64 s[8:9], s[12:13]
; %bb.2282:
	s_mov_b32 s10, 0x7f800001
	s_xor_b64 s[4:5], exec, -1
; %bb.2283:
	s_or_b64 exec, exec, s[8:9]
	s_and_b64 s[4:5], s[4:5], exec
	s_or_saveexec_b64 s[6:7], s[6:7]
	v_mov_b32_e32 v2, s10
	s_xor_b64 exec, exec, s[6:7]
	s_cbranch_execz .LBB56_234
.LBB56_2284:
	v_mov_b32_e32 v2, 0
	v_cmp_ne_u16_sdwa s[8:9], v3, v2 src0_sel:BYTE_0 src1_sel:DWORD
	s_andn2_b64 s[4:5], s[4:5], exec
	s_and_b64 s[8:9], s[8:9], exec
	s_or_b64 s[4:5], s[4:5], s[8:9]
	s_or_b64 exec, exec, s[6:7]
	s_and_saveexec_b64 s[6:7], s[4:5]
	s_cbranch_execnz .LBB56_235
	s_branch .LBB56_236
.LBB56_2285:
	s_movk_i32 s4, 0x80
	v_cmp_eq_u16_sdwa s[12:13], v3, s4 src0_sel:BYTE_0 src1_sel:DWORD
	s_mov_b64 s[4:5], -1
                                        ; implicit-def: $sgpr10
	s_and_saveexec_b64 s[8:9], s[12:13]
; %bb.2286:
	s_mov_b32 s10, 0x7f800001
	s_xor_b64 s[4:5], exec, -1
; %bb.2287:
	s_or_b64 exec, exec, s[8:9]
	s_and_b64 s[4:5], s[4:5], exec
	s_or_saveexec_b64 s[6:7], s[6:7]
	v_mov_b32_e32 v4, s10
	s_xor_b64 exec, exec, s[6:7]
	s_cbranch_execz .LBB56_238
.LBB56_2288:
	v_mov_b32_e32 v4, 0
	v_cmp_ne_u16_sdwa s[8:9], v3, v4 src0_sel:BYTE_0 src1_sel:DWORD
	s_andn2_b64 s[4:5], s[4:5], exec
	s_and_b64 s[8:9], s[8:9], exec
	s_or_b64 s[4:5], s[4:5], s[8:9]
	s_or_b64 exec, exec, s[6:7]
	s_and_saveexec_b64 s[6:7], s[4:5]
	s_cbranch_execnz .LBB56_239
	s_branch .LBB56_240
.LBB56_2289:
	s_movk_i32 s4, 0x80
	v_cmp_eq_u16_e32 vcc, s4, v3
	s_mov_b64 s[4:5], -1
                                        ; implicit-def: $sgpr10
	s_and_saveexec_b64 s[8:9], vcc
; %bb.2290:
	s_mov_b32 s10, 0x7f800001
	s_xor_b64 s[4:5], exec, -1
; %bb.2291:
	s_or_b64 exec, exec, s[8:9]
	s_and_b64 s[4:5], s[4:5], exec
                                        ; implicit-def: $vgpr3
	s_or_saveexec_b64 s[6:7], s[6:7]
	v_mov_b32_e32 v2, s10
	s_xor_b64 exec, exec, s[6:7]
	s_cbranch_execz .LBB56_242
.LBB56_2292:
	v_cmp_ne_u16_e32 vcc, 0, v3
	s_andn2_b64 s[4:5], s[4:5], exec
	s_and_b64 s[8:9], vcc, exec
	v_mov_b32_e32 v2, 0
	s_or_b64 s[4:5], s[4:5], s[8:9]
	s_or_b64 exec, exec, s[6:7]
	s_and_saveexec_b64 s[6:7], s[4:5]
	s_cbranch_execnz .LBB56_243
	s_branch .LBB56_244
.LBB56_2293:
	s_movk_i32 s4, 0x80
	v_cmp_eq_u16_e32 vcc, s4, v3
	s_mov_b64 s[4:5], -1
                                        ; implicit-def: $sgpr10
	s_and_saveexec_b64 s[8:9], vcc
; %bb.2294:
	s_mov_b32 s10, 0x7f800001
	s_xor_b64 s[4:5], exec, -1
; %bb.2295:
	s_or_b64 exec, exec, s[8:9]
	s_and_b64 s[4:5], s[4:5], exec
                                        ; implicit-def: $vgpr3
	s_or_saveexec_b64 s[6:7], s[6:7]
	v_mov_b32_e32 v4, s10
	s_xor_b64 exec, exec, s[6:7]
	s_cbranch_execz .LBB56_246
.LBB56_2296:
	v_cmp_ne_u16_e32 vcc, 0, v3
	s_andn2_b64 s[4:5], s[4:5], exec
	s_and_b64 s[8:9], vcc, exec
	v_mov_b32_e32 v4, 0
	s_or_b64 s[4:5], s[4:5], s[8:9]
	s_or_b64 exec, exec, s[6:7]
	s_and_saveexec_b64 s[6:7], s[4:5]
	s_cbranch_execnz .LBB56_247
	s_branch .LBB56_248
.LBB56_2297:
	s_movk_i32 s4, 0x80
	v_cmp_eq_u16_sdwa s[12:13], v9, s4 src0_sel:BYTE_3 src1_sel:DWORD
	s_mov_b64 s[4:5], -1
                                        ; implicit-def: $sgpr10
	s_and_saveexec_b64 s[8:9], s[12:13]
; %bb.2298:
	s_mov_b32 s10, 0x7f800001
	s_xor_b64 s[4:5], exec, -1
; %bb.2299:
	s_or_b64 exec, exec, s[8:9]
	s_and_b64 s[4:5], s[4:5], exec
	s_or_saveexec_b64 s[6:7], s[6:7]
	v_mov_b32_e32 v2, s10
	s_xor_b64 exec, exec, s[6:7]
	s_cbranch_execz .LBB56_250
.LBB56_2300:
	v_mov_b32_e32 v2, 0
	v_cmp_ne_u16_sdwa s[8:9], v9, v2 src0_sel:BYTE_3 src1_sel:DWORD
	s_andn2_b64 s[4:5], s[4:5], exec
	s_and_b64 s[8:9], s[8:9], exec
	s_or_b64 s[4:5], s[4:5], s[8:9]
	s_or_b64 exec, exec, s[6:7]
	s_and_saveexec_b64 s[6:7], s[4:5]
	s_cbranch_execnz .LBB56_251
	s_branch .LBB56_252
.LBB56_2301:
	s_movk_i32 s4, 0x80
	v_cmp_eq_u16_sdwa s[12:13], v5, s4 src0_sel:BYTE_3 src1_sel:DWORD
	s_mov_b64 s[4:5], -1
                                        ; implicit-def: $sgpr10
	s_and_saveexec_b64 s[8:9], s[12:13]
; %bb.2302:
	s_mov_b32 s10, 0x7f800001
	s_xor_b64 s[4:5], exec, -1
; %bb.2303:
	s_or_b64 exec, exec, s[8:9]
	s_and_b64 s[4:5], s[4:5], exec
	s_or_saveexec_b64 s[6:7], s[6:7]
	v_mov_b32_e32 v3, s10
	s_xor_b64 exec, exec, s[6:7]
	s_cbranch_execz .LBB56_254
.LBB56_2304:
	v_mov_b32_e32 v3, 0
	v_cmp_ne_u16_sdwa s[8:9], v5, v3 src0_sel:BYTE_3 src1_sel:DWORD
	s_andn2_b64 s[4:5], s[4:5], exec
	s_and_b64 s[8:9], s[8:9], exec
	s_or_b64 s[4:5], s[4:5], s[8:9]
	s_or_b64 exec, exec, s[6:7]
	s_and_saveexec_b64 s[6:7], s[4:5]
	s_cbranch_execnz .LBB56_255
	s_branch .LBB56_256
.LBB56_2305:
	s_movk_i32 s4, 0x80
	v_cmp_eq_u16_sdwa s[12:13], v14, s4 src0_sel:BYTE_0 src1_sel:DWORD
	s_mov_b64 s[4:5], -1
                                        ; implicit-def: $sgpr10
	s_and_saveexec_b64 s[8:9], s[12:13]
; %bb.2306:
	s_mov_b32 s10, 0x7f800001
	s_xor_b64 s[4:5], exec, -1
; %bb.2307:
	s_or_b64 exec, exec, s[8:9]
	s_and_b64 s[4:5], s[4:5], exec
	s_or_saveexec_b64 s[6:7], s[6:7]
	v_mov_b32_e32 v20, s10
	s_xor_b64 exec, exec, s[6:7]
	s_cbranch_execz .LBB56_258
.LBB56_2308:
	v_mov_b32_e32 v20, 0
	v_cmp_ne_u16_sdwa s[8:9], v14, v20 src0_sel:BYTE_0 src1_sel:DWORD
	s_andn2_b64 s[4:5], s[4:5], exec
	s_and_b64 s[8:9], s[8:9], exec
	s_or_b64 s[4:5], s[4:5], s[8:9]
	s_or_b64 exec, exec, s[6:7]
	s_and_saveexec_b64 s[6:7], s[4:5]
	s_cbranch_execnz .LBB56_259
	s_branch .LBB56_260
.LBB56_2309:
	s_movk_i32 s4, 0x80
	v_cmp_eq_u16_sdwa s[12:13], v10, s4 src0_sel:BYTE_0 src1_sel:DWORD
	s_mov_b64 s[4:5], -1
                                        ; implicit-def: $sgpr10
	s_and_saveexec_b64 s[8:9], s[12:13]
; %bb.2310:
	s_mov_b32 s10, 0x7f800001
	s_xor_b64 s[4:5], exec, -1
; %bb.2311:
	s_or_b64 exec, exec, s[8:9]
	s_and_b64 s[4:5], s[4:5], exec
	s_or_saveexec_b64 s[6:7], s[6:7]
	v_mov_b32_e32 v21, s10
	s_xor_b64 exec, exec, s[6:7]
	s_cbranch_execz .LBB56_262
.LBB56_2312:
	v_mov_b32_e32 v21, 0
	v_cmp_ne_u16_sdwa s[8:9], v10, v21 src0_sel:BYTE_0 src1_sel:DWORD
	s_andn2_b64 s[4:5], s[4:5], exec
	s_and_b64 s[8:9], s[8:9], exec
	s_or_b64 s[4:5], s[4:5], s[8:9]
	s_or_b64 exec, exec, s[6:7]
	s_and_saveexec_b64 s[6:7], s[4:5]
	s_cbranch_execnz .LBB56_263
	s_branch .LBB56_264
.LBB56_2313:
	s_movk_i32 s4, 0x80
	v_cmp_eq_u16_sdwa s[12:13], v21, s4 src0_sel:BYTE_0 src1_sel:DWORD
	s_mov_b64 s[4:5], -1
                                        ; implicit-def: $sgpr10
	s_and_saveexec_b64 s[8:9], s[12:13]
; %bb.2314:
	s_mov_b32 s10, 0x7f800001
	s_xor_b64 s[4:5], exec, -1
; %bb.2315:
	s_or_b64 exec, exec, s[8:9]
	s_and_b64 s[4:5], s[4:5], exec
	s_or_saveexec_b64 s[6:7], s[6:7]
	v_mov_b32_e32 v20, s10
	s_xor_b64 exec, exec, s[6:7]
	s_cbranch_execz .LBB56_266
.LBB56_2316:
	v_mov_b32_e32 v20, 0
	v_cmp_ne_u16_sdwa s[8:9], v21, v20 src0_sel:BYTE_0 src1_sel:DWORD
	s_andn2_b64 s[4:5], s[4:5], exec
	s_and_b64 s[8:9], s[8:9], exec
	s_or_b64 s[4:5], s[4:5], s[8:9]
	s_or_b64 exec, exec, s[6:7]
	s_and_saveexec_b64 s[6:7], s[4:5]
	s_cbranch_execnz .LBB56_267
	s_branch .LBB56_268
.LBB56_2317:
	s_movk_i32 s4, 0x80
	v_cmp_eq_u16_sdwa s[12:13], v21, s4 src0_sel:BYTE_0 src1_sel:DWORD
	s_mov_b64 s[4:5], -1
                                        ; implicit-def: $sgpr10
	s_and_saveexec_b64 s[8:9], s[12:13]
; %bb.2318:
	s_mov_b32 s10, 0x7f800001
	s_xor_b64 s[4:5], exec, -1
; %bb.2319:
	s_or_b64 exec, exec, s[8:9]
	s_and_b64 s[4:5], s[4:5], exec
	s_or_saveexec_b64 s[6:7], s[6:7]
	v_mov_b32_e32 v22, s10
	s_xor_b64 exec, exec, s[6:7]
	s_cbranch_execz .LBB56_270
.LBB56_2320:
	v_mov_b32_e32 v22, 0
	v_cmp_ne_u16_sdwa s[8:9], v21, v22 src0_sel:BYTE_0 src1_sel:DWORD
	s_andn2_b64 s[4:5], s[4:5], exec
	s_and_b64 s[8:9], s[8:9], exec
	s_or_b64 s[4:5], s[4:5], s[8:9]
	s_or_b64 exec, exec, s[6:7]
	s_and_saveexec_b64 s[6:7], s[4:5]
	s_cbranch_execnz .LBB56_271
	s_branch .LBB56_272
.LBB56_2321:
	s_movk_i32 s4, 0x80
	v_cmp_eq_u16_e32 vcc, s4, v21
	s_mov_b64 s[4:5], -1
                                        ; implicit-def: $sgpr10
	s_and_saveexec_b64 s[8:9], vcc
; %bb.2322:
	s_mov_b32 s10, 0x7f800001
	s_xor_b64 s[4:5], exec, -1
; %bb.2323:
	s_or_b64 exec, exec, s[8:9]
	s_and_b64 s[4:5], s[4:5], exec
                                        ; implicit-def: $vgpr21
	s_or_saveexec_b64 s[6:7], s[6:7]
	v_mov_b32_e32 v20, s10
	s_xor_b64 exec, exec, s[6:7]
	s_cbranch_execz .LBB56_274
.LBB56_2324:
	v_cmp_ne_u16_e32 vcc, 0, v21
	s_andn2_b64 s[4:5], s[4:5], exec
	s_and_b64 s[8:9], vcc, exec
	v_mov_b32_e32 v20, 0
	s_or_b64 s[4:5], s[4:5], s[8:9]
	s_or_b64 exec, exec, s[6:7]
	s_and_saveexec_b64 s[6:7], s[4:5]
	s_cbranch_execnz .LBB56_275
	s_branch .LBB56_276
.LBB56_2325:
	s_movk_i32 s4, 0x80
	v_cmp_eq_u16_e32 vcc, s4, v21
	s_mov_b64 s[4:5], -1
                                        ; implicit-def: $sgpr10
	s_and_saveexec_b64 s[8:9], vcc
; %bb.2326:
	s_mov_b32 s10, 0x7f800001
	s_xor_b64 s[4:5], exec, -1
; %bb.2327:
	s_or_b64 exec, exec, s[8:9]
	s_and_b64 s[4:5], s[4:5], exec
                                        ; implicit-def: $vgpr21
	s_or_saveexec_b64 s[6:7], s[6:7]
	v_mov_b32_e32 v22, s10
	s_xor_b64 exec, exec, s[6:7]
	s_cbranch_execz .LBB56_278
.LBB56_2328:
	v_cmp_ne_u16_e32 vcc, 0, v21
	s_andn2_b64 s[4:5], s[4:5], exec
	s_and_b64 s[8:9], vcc, exec
	v_mov_b32_e32 v22, 0
	s_or_b64 s[4:5], s[4:5], s[8:9]
	s_or_b64 exec, exec, s[6:7]
	s_and_saveexec_b64 s[6:7], s[4:5]
	s_cbranch_execnz .LBB56_279
	s_branch .LBB56_280
.LBB56_2329:
	s_movk_i32 s4, 0x80
	v_cmp_eq_u16_sdwa s[12:13], v14, s4 src0_sel:BYTE_3 src1_sel:DWORD
	s_mov_b64 s[4:5], -1
                                        ; implicit-def: $sgpr10
	s_and_saveexec_b64 s[8:9], s[12:13]
; %bb.2330:
	s_mov_b32 s10, 0x7f800001
	s_xor_b64 s[4:5], exec, -1
; %bb.2331:
	s_or_b64 exec, exec, s[8:9]
	s_and_b64 s[4:5], s[4:5], exec
	s_or_saveexec_b64 s[6:7], s[6:7]
	v_mov_b32_e32 v20, s10
	s_xor_b64 exec, exec, s[6:7]
	s_cbranch_execz .LBB56_282
.LBB56_2332:
	v_mov_b32_e32 v20, 0
	v_cmp_ne_u16_sdwa s[8:9], v14, v20 src0_sel:BYTE_3 src1_sel:DWORD
	s_andn2_b64 s[4:5], s[4:5], exec
	s_and_b64 s[8:9], s[8:9], exec
	s_or_b64 s[4:5], s[4:5], s[8:9]
	s_or_b64 exec, exec, s[6:7]
	s_and_saveexec_b64 s[6:7], s[4:5]
	s_cbranch_execnz .LBB56_283
	s_branch .LBB56_284
.LBB56_2333:
	s_movk_i32 s4, 0x80
	v_cmp_eq_u16_sdwa s[12:13], v10, s4 src0_sel:BYTE_3 src1_sel:DWORD
	s_mov_b64 s[4:5], -1
                                        ; implicit-def: $sgpr10
	s_and_saveexec_b64 s[8:9], s[12:13]
; %bb.2334:
	s_mov_b32 s10, 0x7f800001
	s_xor_b64 s[4:5], exec, -1
; %bb.2335:
	s_or_b64 exec, exec, s[8:9]
	s_and_b64 s[4:5], s[4:5], exec
	s_or_saveexec_b64 s[6:7], s[6:7]
	v_mov_b32_e32 v14, s10
	s_xor_b64 exec, exec, s[6:7]
	s_cbranch_execz .LBB56_286
.LBB56_2336:
	v_mov_b32_e32 v14, 0
	v_cmp_ne_u16_sdwa s[8:9], v10, v14 src0_sel:BYTE_3 src1_sel:DWORD
	s_andn2_b64 s[4:5], s[4:5], exec
	s_and_b64 s[8:9], s[8:9], exec
	s_or_b64 s[4:5], s[4:5], s[8:9]
	s_or_b64 exec, exec, s[6:7]
	s_and_saveexec_b64 s[6:7], s[4:5]
	s_cbranch_execnz .LBB56_287
	s_branch .LBB56_288
.LBB56_2337:
	s_movk_i32 s4, 0x80
	v_cmp_eq_u16_sdwa s[12:13], v15, s4 src0_sel:BYTE_0 src1_sel:DWORD
	s_mov_b64 s[4:5], -1
                                        ; implicit-def: $sgpr10
	s_and_saveexec_b64 s[8:9], s[12:13]
; %bb.2338:
	s_mov_b32 s10, 0x7f800001
	s_xor_b64 s[4:5], exec, -1
; %bb.2339:
	s_or_b64 exec, exec, s[8:9]
	s_and_b64 s[4:5], s[4:5], exec
	s_or_saveexec_b64 s[6:7], s[6:7]
	v_mov_b32_e32 v10, s10
	s_xor_b64 exec, exec, s[6:7]
	s_cbranch_execz .LBB56_290
.LBB56_2340:
	v_mov_b32_e32 v10, 0
	v_cmp_ne_u16_sdwa s[8:9], v15, v10 src0_sel:BYTE_0 src1_sel:DWORD
	s_andn2_b64 s[4:5], s[4:5], exec
	s_and_b64 s[8:9], s[8:9], exec
	s_or_b64 s[4:5], s[4:5], s[8:9]
	s_or_b64 exec, exec, s[6:7]
	s_and_saveexec_b64 s[6:7], s[4:5]
	s_cbranch_execnz .LBB56_291
	s_branch .LBB56_292
.LBB56_2341:
	s_movk_i32 s4, 0x80
	v_cmp_eq_u16_sdwa s[12:13], v11, s4 src0_sel:BYTE_0 src1_sel:DWORD
	s_mov_b64 s[4:5], -1
                                        ; implicit-def: $sgpr10
	s_and_saveexec_b64 s[8:9], s[12:13]
; %bb.2342:
	s_mov_b32 s10, 0x7f800001
	s_xor_b64 s[4:5], exec, -1
; %bb.2343:
	s_or_b64 exec, exec, s[8:9]
	s_and_b64 s[4:5], s[4:5], exec
	s_or_saveexec_b64 s[6:7], s[6:7]
	v_mov_b32_e32 v14, s10
	s_xor_b64 exec, exec, s[6:7]
	s_cbranch_execz .LBB56_294
.LBB56_2344:
	v_mov_b32_e32 v14, 0
	v_cmp_ne_u16_sdwa s[8:9], v11, v14 src0_sel:BYTE_0 src1_sel:DWORD
	s_andn2_b64 s[4:5], s[4:5], exec
	s_and_b64 s[8:9], s[8:9], exec
	s_or_b64 s[4:5], s[4:5], s[8:9]
	s_or_b64 exec, exec, s[6:7]
	s_and_saveexec_b64 s[6:7], s[4:5]
	s_cbranch_execnz .LBB56_295
	s_branch .LBB56_296
.LBB56_2345:
	s_movk_i32 s4, 0x80
	v_cmp_eq_u16_sdwa s[12:13], v14, s4 src0_sel:BYTE_0 src1_sel:DWORD
	s_mov_b64 s[4:5], -1
                                        ; implicit-def: $sgpr10
	s_and_saveexec_b64 s[8:9], s[12:13]
; %bb.2346:
	s_mov_b32 s10, 0x7f800001
	s_xor_b64 s[4:5], exec, -1
; %bb.2347:
	s_or_b64 exec, exec, s[8:9]
	s_and_b64 s[4:5], s[4:5], exec
	s_or_saveexec_b64 s[6:7], s[6:7]
	v_mov_b32_e32 v10, s10
	s_xor_b64 exec, exec, s[6:7]
	s_cbranch_execz .LBB56_298
.LBB56_2348:
	v_mov_b32_e32 v10, 0
	v_cmp_ne_u16_sdwa s[8:9], v14, v10 src0_sel:BYTE_0 src1_sel:DWORD
	s_andn2_b64 s[4:5], s[4:5], exec
	s_and_b64 s[8:9], s[8:9], exec
	s_or_b64 s[4:5], s[4:5], s[8:9]
	s_or_b64 exec, exec, s[6:7]
	s_and_saveexec_b64 s[6:7], s[4:5]
	s_cbranch_execnz .LBB56_299
	s_branch .LBB56_300
.LBB56_2349:
	s_movk_i32 s4, 0x80
	v_cmp_eq_u16_sdwa s[12:13], v14, s4 src0_sel:BYTE_0 src1_sel:DWORD
	s_mov_b64 s[4:5], -1
                                        ; implicit-def: $sgpr10
	s_and_saveexec_b64 s[8:9], s[12:13]
; %bb.2350:
	s_mov_b32 s10, 0x7f800001
	s_xor_b64 s[4:5], exec, -1
; %bb.2351:
	s_or_b64 exec, exec, s[8:9]
	s_and_b64 s[4:5], s[4:5], exec
	s_or_saveexec_b64 s[6:7], s[6:7]
	v_mov_b32_e32 v20, s10
	s_xor_b64 exec, exec, s[6:7]
	s_cbranch_execz .LBB56_302
.LBB56_2352:
	v_mov_b32_e32 v20, 0
	v_cmp_ne_u16_sdwa s[8:9], v14, v20 src0_sel:BYTE_0 src1_sel:DWORD
	s_andn2_b64 s[4:5], s[4:5], exec
	s_and_b64 s[8:9], s[8:9], exec
	s_or_b64 s[4:5], s[4:5], s[8:9]
	s_or_b64 exec, exec, s[6:7]
	s_and_saveexec_b64 s[6:7], s[4:5]
	s_cbranch_execnz .LBB56_303
	s_branch .LBB56_304
.LBB56_2353:
	s_movk_i32 s4, 0x80
	v_cmp_eq_u16_e32 vcc, s4, v14
	s_mov_b64 s[4:5], -1
                                        ; implicit-def: $sgpr10
	s_and_saveexec_b64 s[8:9], vcc
; %bb.2354:
	s_mov_b32 s10, 0x7f800001
	s_xor_b64 s[4:5], exec, -1
; %bb.2355:
	s_or_b64 exec, exec, s[8:9]
	s_and_b64 s[4:5], s[4:5], exec
                                        ; implicit-def: $vgpr14
	s_or_saveexec_b64 s[6:7], s[6:7]
	v_mov_b32_e32 v10, s10
	s_xor_b64 exec, exec, s[6:7]
	s_cbranch_execz .LBB56_306
.LBB56_2356:
	v_cmp_ne_u16_e32 vcc, 0, v14
	s_andn2_b64 s[4:5], s[4:5], exec
	s_and_b64 s[8:9], vcc, exec
	v_mov_b32_e32 v10, 0
	s_or_b64 s[4:5], s[4:5], s[8:9]
	s_or_b64 exec, exec, s[6:7]
	s_and_saveexec_b64 s[6:7], s[4:5]
	s_cbranch_execnz .LBB56_307
	s_branch .LBB56_308
.LBB56_2357:
	s_movk_i32 s4, 0x80
	v_cmp_eq_u16_e32 vcc, s4, v14
	s_mov_b64 s[4:5], -1
                                        ; implicit-def: $sgpr10
	s_and_saveexec_b64 s[8:9], vcc
; %bb.2358:
	s_mov_b32 s10, 0x7f800001
	s_xor_b64 s[4:5], exec, -1
; %bb.2359:
	s_or_b64 exec, exec, s[8:9]
	s_and_b64 s[4:5], s[4:5], exec
                                        ; implicit-def: $vgpr14
	s_or_saveexec_b64 s[6:7], s[6:7]
	v_mov_b32_e32 v20, s10
	s_xor_b64 exec, exec, s[6:7]
	s_cbranch_execz .LBB56_310
.LBB56_2360:
	v_cmp_ne_u16_e32 vcc, 0, v14
	s_andn2_b64 s[4:5], s[4:5], exec
	s_and_b64 s[8:9], vcc, exec
	v_mov_b32_e32 v20, 0
	s_or_b64 s[4:5], s[4:5], s[8:9]
	s_or_b64 exec, exec, s[6:7]
	s_and_saveexec_b64 s[6:7], s[4:5]
	s_cbranch_execnz .LBB56_311
	s_branch .LBB56_312
.LBB56_2361:
	s_movk_i32 s4, 0x80
	v_cmp_eq_u16_sdwa s[12:13], v15, s4 src0_sel:BYTE_3 src1_sel:DWORD
	s_mov_b64 s[4:5], -1
                                        ; implicit-def: $sgpr10
	s_and_saveexec_b64 s[8:9], s[12:13]
; %bb.2362:
	s_mov_b32 s10, 0x7f800001
	s_xor_b64 s[4:5], exec, -1
; %bb.2363:
	s_or_b64 exec, exec, s[8:9]
	s_and_b64 s[4:5], s[4:5], exec
	s_or_saveexec_b64 s[6:7], s[6:7]
	v_mov_b32_e32 v10, s10
	s_xor_b64 exec, exec, s[6:7]
	s_cbranch_execz .LBB56_314
.LBB56_2364:
	v_mov_b32_e32 v10, 0
	v_cmp_ne_u16_sdwa s[8:9], v15, v10 src0_sel:BYTE_3 src1_sel:DWORD
	s_andn2_b64 s[4:5], s[4:5], exec
	s_and_b64 s[8:9], s[8:9], exec
	s_or_b64 s[4:5], s[4:5], s[8:9]
	s_or_b64 exec, exec, s[6:7]
	s_and_saveexec_b64 s[6:7], s[4:5]
	s_cbranch_execnz .LBB56_315
	s_branch .LBB56_316
.LBB56_2365:
	s_movk_i32 s4, 0x80
	v_cmp_eq_u16_sdwa s[12:13], v11, s4 src0_sel:BYTE_3 src1_sel:DWORD
	s_mov_b64 s[4:5], -1
                                        ; implicit-def: $sgpr10
	s_and_saveexec_b64 s[8:9], s[12:13]
; %bb.2366:
	s_mov_b32 s10, 0x7f800001
	s_xor_b64 s[4:5], exec, -1
; %bb.2367:
	s_or_b64 exec, exec, s[8:9]
	s_and_b64 s[4:5], s[4:5], exec
	s_or_saveexec_b64 s[6:7], s[6:7]
	v_mov_b32_e32 v14, s10
	s_xor_b64 exec, exec, s[6:7]
	s_cbranch_execz .LBB56_318
.LBB56_2368:
	v_mov_b32_e32 v14, 0
	v_cmp_ne_u16_sdwa s[8:9], v11, v14 src0_sel:BYTE_3 src1_sel:DWORD
	s_andn2_b64 s[4:5], s[4:5], exec
	s_and_b64 s[8:9], s[8:9], exec
	s_or_b64 s[4:5], s[4:5], s[8:9]
	s_or_b64 exec, exec, s[6:7]
	s_and_saveexec_b64 s[6:7], s[4:5]
	s_cbranch_execnz .LBB56_319
	s_branch .LBB56_320
.LBB56_2369:
	s_movk_i32 s4, 0x80
	v_cmp_eq_u16_sdwa s[12:13], v16, s4 src0_sel:BYTE_0 src1_sel:DWORD
	s_mov_b64 s[4:5], -1
                                        ; implicit-def: $sgpr10
	s_and_saveexec_b64 s[8:9], s[12:13]
; %bb.2370:
	s_mov_b32 s10, 0x7f800001
	s_xor_b64 s[4:5], exec, -1
; %bb.2371:
	s_or_b64 exec, exec, s[8:9]
	s_and_b64 s[4:5], s[4:5], exec
	s_or_saveexec_b64 s[6:7], s[6:7]
	v_mov_b32_e32 v10, s10
	s_xor_b64 exec, exec, s[6:7]
	s_cbranch_execz .LBB56_322
.LBB56_2372:
	v_mov_b32_e32 v10, 0
	v_cmp_ne_u16_sdwa s[8:9], v16, v10 src0_sel:BYTE_0 src1_sel:DWORD
	s_andn2_b64 s[4:5], s[4:5], exec
	s_and_b64 s[8:9], s[8:9], exec
	s_or_b64 s[4:5], s[4:5], s[8:9]
	s_or_b64 exec, exec, s[6:7]
	s_and_saveexec_b64 s[6:7], s[4:5]
	s_cbranch_execnz .LBB56_323
	s_branch .LBB56_324
.LBB56_2373:
	s_movk_i32 s4, 0x80
	v_cmp_eq_u16_sdwa s[12:13], v12, s4 src0_sel:BYTE_0 src1_sel:DWORD
	s_mov_b64 s[4:5], -1
                                        ; implicit-def: $sgpr10
	s_and_saveexec_b64 s[8:9], s[12:13]
; %bb.2374:
	s_mov_b32 s10, 0x7f800001
	s_xor_b64 s[4:5], exec, -1
; %bb.2375:
	s_or_b64 exec, exec, s[8:9]
	s_and_b64 s[4:5], s[4:5], exec
	s_or_saveexec_b64 s[6:7], s[6:7]
	v_mov_b32_e32 v11, s10
	s_xor_b64 exec, exec, s[6:7]
	s_cbranch_execz .LBB56_326
.LBB56_2376:
	v_mov_b32_e32 v11, 0
	v_cmp_ne_u16_sdwa s[8:9], v12, v11 src0_sel:BYTE_0 src1_sel:DWORD
	s_andn2_b64 s[4:5], s[4:5], exec
	s_and_b64 s[8:9], s[8:9], exec
	s_or_b64 s[4:5], s[4:5], s[8:9]
	s_or_b64 exec, exec, s[6:7]
	s_and_saveexec_b64 s[6:7], s[4:5]
	s_cbranch_execnz .LBB56_327
	s_branch .LBB56_328
.LBB56_2377:
	s_movk_i32 s4, 0x80
	v_cmp_eq_u16_sdwa s[12:13], v11, s4 src0_sel:BYTE_0 src1_sel:DWORD
	s_mov_b64 s[4:5], -1
                                        ; implicit-def: $sgpr10
	s_and_saveexec_b64 s[8:9], s[12:13]
; %bb.2378:
	s_mov_b32 s10, 0x7f800001
	s_xor_b64 s[4:5], exec, -1
; %bb.2379:
	s_or_b64 exec, exec, s[8:9]
	s_and_b64 s[4:5], s[4:5], exec
	s_or_saveexec_b64 s[6:7], s[6:7]
	v_mov_b32_e32 v10, s10
	s_xor_b64 exec, exec, s[6:7]
	s_cbranch_execz .LBB56_330
.LBB56_2380:
	v_mov_b32_e32 v10, 0
	v_cmp_ne_u16_sdwa s[8:9], v11, v10 src0_sel:BYTE_0 src1_sel:DWORD
	s_andn2_b64 s[4:5], s[4:5], exec
	s_and_b64 s[8:9], s[8:9], exec
	s_or_b64 s[4:5], s[4:5], s[8:9]
	s_or_b64 exec, exec, s[6:7]
	s_and_saveexec_b64 s[6:7], s[4:5]
	s_cbranch_execnz .LBB56_331
	s_branch .LBB56_332
.LBB56_2381:
	s_movk_i32 s4, 0x80
	v_cmp_eq_u16_sdwa s[12:13], v11, s4 src0_sel:BYTE_0 src1_sel:DWORD
	s_mov_b64 s[4:5], -1
                                        ; implicit-def: $sgpr10
	s_and_saveexec_b64 s[8:9], s[12:13]
; %bb.2382:
	s_mov_b32 s10, 0x7f800001
	s_xor_b64 s[4:5], exec, -1
; %bb.2383:
	s_or_b64 exec, exec, s[8:9]
	s_and_b64 s[4:5], s[4:5], exec
	s_or_saveexec_b64 s[6:7], s[6:7]
	v_mov_b32_e32 v14, s10
	s_xor_b64 exec, exec, s[6:7]
	s_cbranch_execz .LBB56_334
.LBB56_2384:
	v_mov_b32_e32 v14, 0
	v_cmp_ne_u16_sdwa s[8:9], v11, v14 src0_sel:BYTE_0 src1_sel:DWORD
	s_andn2_b64 s[4:5], s[4:5], exec
	s_and_b64 s[8:9], s[8:9], exec
	s_or_b64 s[4:5], s[4:5], s[8:9]
	s_or_b64 exec, exec, s[6:7]
	s_and_saveexec_b64 s[6:7], s[4:5]
	s_cbranch_execnz .LBB56_335
	s_branch .LBB56_336
.LBB56_2385:
	s_movk_i32 s4, 0x80
	v_cmp_eq_u16_e32 vcc, s4, v11
	s_mov_b64 s[4:5], -1
                                        ; implicit-def: $sgpr10
	s_and_saveexec_b64 s[8:9], vcc
; %bb.2386:
	s_mov_b32 s10, 0x7f800001
	s_xor_b64 s[4:5], exec, -1
; %bb.2387:
	s_or_b64 exec, exec, s[8:9]
	s_and_b64 s[4:5], s[4:5], exec
                                        ; implicit-def: $vgpr11
	s_or_saveexec_b64 s[6:7], s[6:7]
	v_mov_b32_e32 v10, s10
	s_xor_b64 exec, exec, s[6:7]
	s_cbranch_execz .LBB56_338
.LBB56_2388:
	v_cmp_ne_u16_e32 vcc, 0, v11
	s_andn2_b64 s[4:5], s[4:5], exec
	s_and_b64 s[8:9], vcc, exec
	v_mov_b32_e32 v10, 0
	s_or_b64 s[4:5], s[4:5], s[8:9]
	s_or_b64 exec, exec, s[6:7]
	s_and_saveexec_b64 s[6:7], s[4:5]
	s_cbranch_execnz .LBB56_339
	s_branch .LBB56_340
.LBB56_2389:
	s_movk_i32 s4, 0x80
	v_cmp_eq_u16_e32 vcc, s4, v11
	s_mov_b64 s[4:5], -1
                                        ; implicit-def: $sgpr10
	s_and_saveexec_b64 s[8:9], vcc
; %bb.2390:
	s_mov_b32 s10, 0x7f800001
	s_xor_b64 s[4:5], exec, -1
; %bb.2391:
	s_or_b64 exec, exec, s[8:9]
	s_and_b64 s[4:5], s[4:5], exec
                                        ; implicit-def: $vgpr11
	s_or_saveexec_b64 s[6:7], s[6:7]
	v_mov_b32_e32 v14, s10
	s_xor_b64 exec, exec, s[6:7]
	s_cbranch_execz .LBB56_342
.LBB56_2392:
	v_cmp_ne_u16_e32 vcc, 0, v11
	s_andn2_b64 s[4:5], s[4:5], exec
	s_and_b64 s[8:9], vcc, exec
	v_mov_b32_e32 v14, 0
	s_or_b64 s[4:5], s[4:5], s[8:9]
	s_or_b64 exec, exec, s[6:7]
	s_and_saveexec_b64 s[6:7], s[4:5]
	s_cbranch_execnz .LBB56_343
	s_branch .LBB56_344
.LBB56_2393:
	s_movk_i32 s4, 0x80
	v_cmp_eq_u16_sdwa s[12:13], v16, s4 src0_sel:BYTE_3 src1_sel:DWORD
	s_mov_b64 s[4:5], -1
                                        ; implicit-def: $sgpr10
	s_and_saveexec_b64 s[8:9], s[12:13]
; %bb.2394:
	s_mov_b32 s10, 0x7f800001
	s_xor_b64 s[4:5], exec, -1
; %bb.2395:
	s_or_b64 exec, exec, s[8:9]
	s_and_b64 s[4:5], s[4:5], exec
	s_or_saveexec_b64 s[6:7], s[6:7]
	v_mov_b32_e32 v10, s10
	s_xor_b64 exec, exec, s[6:7]
	s_cbranch_execz .LBB56_346
.LBB56_2396:
	v_mov_b32_e32 v10, 0
	v_cmp_ne_u16_sdwa s[8:9], v16, v10 src0_sel:BYTE_3 src1_sel:DWORD
	s_andn2_b64 s[4:5], s[4:5], exec
	s_and_b64 s[8:9], s[8:9], exec
	s_or_b64 s[4:5], s[4:5], s[8:9]
	s_or_b64 exec, exec, s[6:7]
	s_and_saveexec_b64 s[6:7], s[4:5]
	s_cbranch_execnz .LBB56_347
	s_branch .LBB56_348
.LBB56_2397:
	s_movk_i32 s4, 0x80
	v_cmp_eq_u16_sdwa s[12:13], v12, s4 src0_sel:BYTE_3 src1_sel:DWORD
	s_mov_b64 s[4:5], -1
                                        ; implicit-def: $sgpr10
	s_and_saveexec_b64 s[8:9], s[12:13]
; %bb.2398:
	s_mov_b32 s10, 0x7f800001
	s_xor_b64 s[4:5], exec, -1
; %bb.2399:
	s_or_b64 exec, exec, s[8:9]
	s_and_b64 s[4:5], s[4:5], exec
	s_or_saveexec_b64 s[6:7], s[6:7]
	v_mov_b32_e32 v11, s10
	s_xor_b64 exec, exec, s[6:7]
	s_cbranch_execz .LBB56_350
.LBB56_2400:
	v_mov_b32_e32 v11, 0
	v_cmp_ne_u16_sdwa s[8:9], v12, v11 src0_sel:BYTE_3 src1_sel:DWORD
	s_andn2_b64 s[4:5], s[4:5], exec
	s_and_b64 s[8:9], s[8:9], exec
	s_or_b64 s[4:5], s[4:5], s[8:9]
	s_or_b64 exec, exec, s[6:7]
	s_and_saveexec_b64 s[6:7], s[4:5]
	s_cbranch_execnz .LBB56_351
	s_branch .LBB56_352
.LBB56_2401:
	s_movk_i32 s4, 0x80
	v_cmp_eq_u16_sdwa s[12:13], v17, s4 src0_sel:BYTE_0 src1_sel:DWORD
	s_mov_b64 s[4:5], -1
                                        ; implicit-def: $sgpr10
	s_and_saveexec_b64 s[8:9], s[12:13]
; %bb.2402:
	s_mov_b32 s10, 0x7f800001
	s_xor_b64 s[4:5], exec, -1
; %bb.2403:
	s_or_b64 exec, exec, s[8:9]
	s_and_b64 s[4:5], s[4:5], exec
	s_or_saveexec_b64 s[6:7], s[6:7]
	v_mov_b32_e32 v10, s10
	s_xor_b64 exec, exec, s[6:7]
	s_cbranch_execz .LBB56_354
.LBB56_2404:
	v_mov_b32_e32 v10, 0
	v_cmp_ne_u16_sdwa s[8:9], v17, v10 src0_sel:BYTE_0 src1_sel:DWORD
	s_andn2_b64 s[4:5], s[4:5], exec
	s_and_b64 s[8:9], s[8:9], exec
	s_or_b64 s[4:5], s[4:5], s[8:9]
	s_or_b64 exec, exec, s[6:7]
	s_and_saveexec_b64 s[6:7], s[4:5]
	s_cbranch_execnz .LBB56_355
	s_branch .LBB56_356
.LBB56_2405:
	s_movk_i32 s4, 0x80
	v_cmp_eq_u16_sdwa s[12:13], v13, s4 src0_sel:BYTE_0 src1_sel:DWORD
	s_mov_b64 s[4:5], -1
                                        ; implicit-def: $sgpr10
	s_and_saveexec_b64 s[8:9], s[12:13]
; %bb.2406:
	s_mov_b32 s10, 0x7f800001
	s_xor_b64 s[4:5], exec, -1
; %bb.2407:
	s_or_b64 exec, exec, s[8:9]
	s_and_b64 s[4:5], s[4:5], exec
	s_or_saveexec_b64 s[6:7], s[6:7]
	v_mov_b32_e32 v11, s10
	s_xor_b64 exec, exec, s[6:7]
	s_cbranch_execz .LBB56_358
.LBB56_2408:
	v_mov_b32_e32 v11, 0
	v_cmp_ne_u16_sdwa s[8:9], v13, v11 src0_sel:BYTE_0 src1_sel:DWORD
	s_andn2_b64 s[4:5], s[4:5], exec
	s_and_b64 s[8:9], s[8:9], exec
	s_or_b64 s[4:5], s[4:5], s[8:9]
	s_or_b64 exec, exec, s[6:7]
	s_and_saveexec_b64 s[6:7], s[4:5]
	s_cbranch_execnz .LBB56_359
	s_branch .LBB56_360
.LBB56_2409:
	s_movk_i32 s4, 0x80
	v_cmp_eq_u16_sdwa s[12:13], v11, s4 src0_sel:BYTE_0 src1_sel:DWORD
	s_mov_b64 s[4:5], -1
                                        ; implicit-def: $sgpr10
	s_and_saveexec_b64 s[8:9], s[12:13]
; %bb.2410:
	s_mov_b32 s10, 0x7f800001
	s_xor_b64 s[4:5], exec, -1
; %bb.2411:
	s_or_b64 exec, exec, s[8:9]
	s_and_b64 s[4:5], s[4:5], exec
	s_or_saveexec_b64 s[6:7], s[6:7]
	v_mov_b32_e32 v10, s10
	s_xor_b64 exec, exec, s[6:7]
	s_cbranch_execz .LBB56_362
.LBB56_2412:
	v_mov_b32_e32 v10, 0
	v_cmp_ne_u16_sdwa s[8:9], v11, v10 src0_sel:BYTE_0 src1_sel:DWORD
	s_andn2_b64 s[4:5], s[4:5], exec
	s_and_b64 s[8:9], s[8:9], exec
	s_or_b64 s[4:5], s[4:5], s[8:9]
	s_or_b64 exec, exec, s[6:7]
	s_and_saveexec_b64 s[6:7], s[4:5]
	s_cbranch_execnz .LBB56_363
	s_branch .LBB56_364
.LBB56_2413:
	s_movk_i32 s4, 0x80
	v_cmp_eq_u16_sdwa s[12:13], v11, s4 src0_sel:BYTE_0 src1_sel:DWORD
	s_mov_b64 s[4:5], -1
                                        ; implicit-def: $sgpr10
	s_and_saveexec_b64 s[8:9], s[12:13]
; %bb.2414:
	s_mov_b32 s10, 0x7f800001
	s_xor_b64 s[4:5], exec, -1
; %bb.2415:
	s_or_b64 exec, exec, s[8:9]
	s_and_b64 s[4:5], s[4:5], exec
	s_or_saveexec_b64 s[6:7], s[6:7]
	v_mov_b32_e32 v12, s10
	s_xor_b64 exec, exec, s[6:7]
	s_cbranch_execz .LBB56_366
.LBB56_2416:
	v_mov_b32_e32 v12, 0
	v_cmp_ne_u16_sdwa s[8:9], v11, v12 src0_sel:BYTE_0 src1_sel:DWORD
	s_andn2_b64 s[4:5], s[4:5], exec
	s_and_b64 s[8:9], s[8:9], exec
	s_or_b64 s[4:5], s[4:5], s[8:9]
	s_or_b64 exec, exec, s[6:7]
	s_and_saveexec_b64 s[6:7], s[4:5]
	s_cbranch_execnz .LBB56_367
	s_branch .LBB56_368
.LBB56_2417:
	s_movk_i32 s4, 0x80
	v_cmp_eq_u16_e32 vcc, s4, v11
	s_mov_b64 s[4:5], -1
                                        ; implicit-def: $sgpr10
	s_and_saveexec_b64 s[8:9], vcc
; %bb.2418:
	s_mov_b32 s10, 0x7f800001
	s_xor_b64 s[4:5], exec, -1
; %bb.2419:
	s_or_b64 exec, exec, s[8:9]
	s_and_b64 s[4:5], s[4:5], exec
                                        ; implicit-def: $vgpr11
	s_or_saveexec_b64 s[6:7], s[6:7]
	v_mov_b32_e32 v10, s10
	s_xor_b64 exec, exec, s[6:7]
	s_cbranch_execz .LBB56_370
.LBB56_2420:
	v_cmp_ne_u16_e32 vcc, 0, v11
	s_andn2_b64 s[4:5], s[4:5], exec
	s_and_b64 s[8:9], vcc, exec
	v_mov_b32_e32 v10, 0
	s_or_b64 s[4:5], s[4:5], s[8:9]
	s_or_b64 exec, exec, s[6:7]
	s_and_saveexec_b64 s[6:7], s[4:5]
	s_cbranch_execnz .LBB56_371
	s_branch .LBB56_372
.LBB56_2421:
	s_movk_i32 s4, 0x80
	v_cmp_eq_u16_e32 vcc, s4, v11
	s_mov_b64 s[4:5], -1
                                        ; implicit-def: $sgpr10
	s_and_saveexec_b64 s[8:9], vcc
; %bb.2422:
	s_mov_b32 s10, 0x7f800001
	s_xor_b64 s[4:5], exec, -1
; %bb.2423:
	s_or_b64 exec, exec, s[8:9]
	s_and_b64 s[4:5], s[4:5], exec
                                        ; implicit-def: $vgpr11
	s_or_saveexec_b64 s[6:7], s[6:7]
	v_mov_b32_e32 v12, s10
	s_xor_b64 exec, exec, s[6:7]
	s_cbranch_execz .LBB56_374
.LBB56_2424:
	v_cmp_ne_u16_e32 vcc, 0, v11
	s_andn2_b64 s[4:5], s[4:5], exec
	s_and_b64 s[8:9], vcc, exec
	v_mov_b32_e32 v12, 0
	s_or_b64 s[4:5], s[4:5], s[8:9]
	s_or_b64 exec, exec, s[6:7]
	s_and_saveexec_b64 s[6:7], s[4:5]
	s_cbranch_execnz .LBB56_375
	s_branch .LBB56_376
.LBB56_2425:
	s_movk_i32 s4, 0x80
	v_cmp_eq_u16_sdwa s[12:13], v17, s4 src0_sel:BYTE_3 src1_sel:DWORD
	s_mov_b64 s[4:5], -1
                                        ; implicit-def: $sgpr10
	s_and_saveexec_b64 s[8:9], s[12:13]
; %bb.2426:
	s_mov_b32 s10, 0x7f800001
	s_xor_b64 s[4:5], exec, -1
; %bb.2427:
	s_or_b64 exec, exec, s[8:9]
	s_and_b64 s[4:5], s[4:5], exec
	s_or_saveexec_b64 s[6:7], s[6:7]
	v_mov_b32_e32 v10, s10
	s_xor_b64 exec, exec, s[6:7]
	s_cbranch_execz .LBB56_378
.LBB56_2428:
	v_mov_b32_e32 v10, 0
	v_cmp_ne_u16_sdwa s[8:9], v17, v10 src0_sel:BYTE_3 src1_sel:DWORD
	s_andn2_b64 s[4:5], s[4:5], exec
	s_and_b64 s[8:9], s[8:9], exec
	s_or_b64 s[4:5], s[4:5], s[8:9]
	s_or_b64 exec, exec, s[6:7]
	s_and_saveexec_b64 s[6:7], s[4:5]
	s_cbranch_execnz .LBB56_379
	s_branch .LBB56_380
.LBB56_2429:
	s_movk_i32 s4, 0x80
	v_cmp_eq_u16_sdwa s[12:13], v13, s4 src0_sel:BYTE_3 src1_sel:DWORD
	s_mov_b64 s[4:5], -1
                                        ; implicit-def: $sgpr10
	s_and_saveexec_b64 s[8:9], s[12:13]
; %bb.2430:
	s_mov_b32 s10, 0x7f800001
	s_xor_b64 s[4:5], exec, -1
; %bb.2431:
	s_or_b64 exec, exec, s[8:9]
	s_and_b64 s[4:5], s[4:5], exec
	s_or_saveexec_b64 s[6:7], s[6:7]
	v_mov_b32_e32 v11, s10
	s_xor_b64 exec, exec, s[6:7]
	s_cbranch_execz .LBB56_382
.LBB56_2432:
	v_mov_b32_e32 v11, 0
	v_cmp_ne_u16_sdwa s[8:9], v13, v11 src0_sel:BYTE_3 src1_sel:DWORD
	s_andn2_b64 s[4:5], s[4:5], exec
	s_and_b64 s[8:9], s[8:9], exec
	s_or_b64 s[4:5], s[4:5], s[8:9]
	s_or_b64 exec, exec, s[6:7]
	s_and_saveexec_b64 s[6:7], s[4:5]
	s_cbranch_execnz .LBB56_383
	s_branch .LBB56_384
.LBB56_2433:
	s_movk_i32 s4, 0x80
	v_cmp_eq_u16_sdwa s[12:13], v6, s4 src0_sel:BYTE_0 src1_sel:DWORD
	s_mov_b64 s[4:5], -1
                                        ; implicit-def: $sgpr10
	s_and_saveexec_b64 s[8:9], s[12:13]
; %bb.2434:
	s_mov_b32 s10, 0x7f800001
	s_xor_b64 s[4:5], exec, -1
; %bb.2435:
	s_or_b64 exec, exec, s[8:9]
	s_and_b64 s[4:5], s[4:5], exec
	s_or_saveexec_b64 s[6:7], s[6:7]
	v_mov_b32_e32 v10, s10
	s_xor_b64 exec, exec, s[6:7]
	s_cbranch_execz .LBB56_386
.LBB56_2436:
	v_mov_b32_e32 v10, 0
	v_cmp_ne_u16_sdwa s[8:9], v6, v10 src0_sel:BYTE_0 src1_sel:DWORD
	s_andn2_b64 s[4:5], s[4:5], exec
	s_and_b64 s[8:9], s[8:9], exec
	s_or_b64 s[4:5], s[4:5], s[8:9]
	s_or_b64 exec, exec, s[6:7]
	s_and_saveexec_b64 s[6:7], s[4:5]
	s_cbranch_execnz .LBB56_387
	s_branch .LBB56_388
.LBB56_2437:
	s_movk_i32 s4, 0x80
	v_cmp_eq_u16_sdwa s[12:13], v2, s4 src0_sel:BYTE_0 src1_sel:DWORD
	s_mov_b64 s[4:5], -1
                                        ; implicit-def: $sgpr10
	s_and_saveexec_b64 s[8:9], s[12:13]
; %bb.2438:
	s_mov_b32 s10, 0x7f800001
	s_xor_b64 s[4:5], exec, -1
; %bb.2439:
	s_or_b64 exec, exec, s[8:9]
	s_and_b64 s[4:5], s[4:5], exec
	s_or_saveexec_b64 s[6:7], s[6:7]
	v_mov_b32_e32 v11, s10
	s_xor_b64 exec, exec, s[6:7]
	s_cbranch_execz .LBB56_390
.LBB56_2440:
	v_mov_b32_e32 v11, 0
	v_cmp_ne_u16_sdwa s[8:9], v2, v11 src0_sel:BYTE_0 src1_sel:DWORD
	s_andn2_b64 s[4:5], s[4:5], exec
	s_and_b64 s[8:9], s[8:9], exec
	s_or_b64 s[4:5], s[4:5], s[8:9]
	s_or_b64 exec, exec, s[6:7]
	s_and_saveexec_b64 s[6:7], s[4:5]
	s_cbranch_execnz .LBB56_391
	s_branch .LBB56_392
.LBB56_2441:
	s_movk_i32 s4, 0x80
	v_cmp_eq_u16_sdwa s[12:13], v11, s4 src0_sel:BYTE_0 src1_sel:DWORD
	s_mov_b64 s[4:5], -1
                                        ; implicit-def: $sgpr10
	s_and_saveexec_b64 s[8:9], s[12:13]
; %bb.2442:
	s_mov_b32 s10, 0x7f800001
	s_xor_b64 s[4:5], exec, -1
; %bb.2443:
	s_or_b64 exec, exec, s[8:9]
	s_and_b64 s[4:5], s[4:5], exec
	s_or_saveexec_b64 s[6:7], s[6:7]
	v_mov_b32_e32 v10, s10
	s_xor_b64 exec, exec, s[6:7]
	s_cbranch_execz .LBB56_394
.LBB56_2444:
	v_mov_b32_e32 v10, 0
	v_cmp_ne_u16_sdwa s[8:9], v11, v10 src0_sel:BYTE_0 src1_sel:DWORD
	s_andn2_b64 s[4:5], s[4:5], exec
	s_and_b64 s[8:9], s[8:9], exec
	s_or_b64 s[4:5], s[4:5], s[8:9]
	s_or_b64 exec, exec, s[6:7]
	s_and_saveexec_b64 s[6:7], s[4:5]
	s_cbranch_execnz .LBB56_395
	s_branch .LBB56_396
.LBB56_2445:
	s_movk_i32 s4, 0x80
	v_cmp_eq_u16_sdwa s[12:13], v11, s4 src0_sel:BYTE_0 src1_sel:DWORD
	s_mov_b64 s[4:5], -1
                                        ; implicit-def: $sgpr10
	s_and_saveexec_b64 s[8:9], s[12:13]
; %bb.2446:
	s_mov_b32 s10, 0x7f800001
	s_xor_b64 s[4:5], exec, -1
; %bb.2447:
	s_or_b64 exec, exec, s[8:9]
	s_and_b64 s[4:5], s[4:5], exec
	s_or_saveexec_b64 s[6:7], s[6:7]
	v_mov_b32_e32 v12, s10
	s_xor_b64 exec, exec, s[6:7]
	s_cbranch_execz .LBB56_398
.LBB56_2448:
	v_mov_b32_e32 v12, 0
	v_cmp_ne_u16_sdwa s[8:9], v11, v12 src0_sel:BYTE_0 src1_sel:DWORD
	s_andn2_b64 s[4:5], s[4:5], exec
	s_and_b64 s[8:9], s[8:9], exec
	s_or_b64 s[4:5], s[4:5], s[8:9]
	s_or_b64 exec, exec, s[6:7]
	s_and_saveexec_b64 s[6:7], s[4:5]
	s_cbranch_execnz .LBB56_399
	s_branch .LBB56_400
.LBB56_2449:
	s_movk_i32 s4, 0x80
	v_cmp_eq_u16_e32 vcc, s4, v11
	s_mov_b64 s[4:5], -1
                                        ; implicit-def: $sgpr10
	s_and_saveexec_b64 s[8:9], vcc
; %bb.2450:
	s_mov_b32 s10, 0x7f800001
	s_xor_b64 s[4:5], exec, -1
; %bb.2451:
	s_or_b64 exec, exec, s[8:9]
	s_and_b64 s[4:5], s[4:5], exec
                                        ; implicit-def: $vgpr11
	s_or_saveexec_b64 s[6:7], s[6:7]
	v_mov_b32_e32 v10, s10
	s_xor_b64 exec, exec, s[6:7]
	s_cbranch_execz .LBB56_402
.LBB56_2452:
	v_cmp_ne_u16_e32 vcc, 0, v11
	s_andn2_b64 s[4:5], s[4:5], exec
	s_and_b64 s[8:9], vcc, exec
	v_mov_b32_e32 v10, 0
	s_or_b64 s[4:5], s[4:5], s[8:9]
	s_or_b64 exec, exec, s[6:7]
	s_and_saveexec_b64 s[6:7], s[4:5]
	s_cbranch_execnz .LBB56_403
	s_branch .LBB56_404
.LBB56_2453:
	s_movk_i32 s4, 0x80
	v_cmp_eq_u16_e32 vcc, s4, v11
	s_mov_b64 s[4:5], -1
                                        ; implicit-def: $sgpr10
	s_and_saveexec_b64 s[8:9], vcc
; %bb.2454:
	s_mov_b32 s10, 0x7f800001
	s_xor_b64 s[4:5], exec, -1
; %bb.2455:
	s_or_b64 exec, exec, s[8:9]
	s_and_b64 s[4:5], s[4:5], exec
                                        ; implicit-def: $vgpr11
	s_or_saveexec_b64 s[6:7], s[6:7]
	v_mov_b32_e32 v12, s10
	s_xor_b64 exec, exec, s[6:7]
	s_cbranch_execz .LBB56_406
.LBB56_2456:
	v_cmp_ne_u16_e32 vcc, 0, v11
	s_andn2_b64 s[4:5], s[4:5], exec
	s_and_b64 s[8:9], vcc, exec
	v_mov_b32_e32 v12, 0
	s_or_b64 s[4:5], s[4:5], s[8:9]
	s_or_b64 exec, exec, s[6:7]
	s_and_saveexec_b64 s[6:7], s[4:5]
	s_cbranch_execnz .LBB56_407
	s_branch .LBB56_408
.LBB56_2457:
	s_movk_i32 s4, 0x80
	v_cmp_eq_u16_sdwa s[12:13], v6, s4 src0_sel:BYTE_3 src1_sel:DWORD
	s_mov_b64 s[4:5], -1
                                        ; implicit-def: $sgpr10
	s_and_saveexec_b64 s[8:9], s[12:13]
; %bb.2458:
	s_mov_b32 s10, 0x7f800001
	s_xor_b64 s[4:5], exec, -1
; %bb.2459:
	s_or_b64 exec, exec, s[8:9]
	s_and_b64 s[4:5], s[4:5], exec
	s_or_saveexec_b64 s[6:7], s[6:7]
	v_mov_b32_e32 v10, s10
	s_xor_b64 exec, exec, s[6:7]
	s_cbranch_execz .LBB56_410
.LBB56_2460:
	v_mov_b32_e32 v10, 0
	v_cmp_ne_u16_sdwa s[8:9], v6, v10 src0_sel:BYTE_3 src1_sel:DWORD
	s_andn2_b64 s[4:5], s[4:5], exec
	s_and_b64 s[8:9], s[8:9], exec
	s_or_b64 s[4:5], s[4:5], s[8:9]
	s_or_b64 exec, exec, s[6:7]
	s_and_saveexec_b64 s[6:7], s[4:5]
	s_cbranch_execnz .LBB56_411
	s_branch .LBB56_412
.LBB56_2461:
	s_movk_i32 s4, 0x80
	v_cmp_eq_u16_sdwa s[12:13], v2, s4 src0_sel:BYTE_3 src1_sel:DWORD
	s_mov_b64 s[4:5], -1
                                        ; implicit-def: $sgpr10
	s_and_saveexec_b64 s[8:9], s[12:13]
; %bb.2462:
	s_mov_b32 s10, 0x7f800001
	s_xor_b64 s[4:5], exec, -1
; %bb.2463:
	s_or_b64 exec, exec, s[8:9]
	s_and_b64 s[4:5], s[4:5], exec
	s_or_saveexec_b64 s[6:7], s[6:7]
	v_mov_b32_e32 v6, s10
	s_xor_b64 exec, exec, s[6:7]
	s_cbranch_execz .LBB56_414
.LBB56_2464:
	v_mov_b32_e32 v6, 0
	v_cmp_ne_u16_sdwa s[8:9], v2, v6 src0_sel:BYTE_3 src1_sel:DWORD
	s_andn2_b64 s[4:5], s[4:5], exec
	s_and_b64 s[8:9], s[8:9], exec
	s_or_b64 s[4:5], s[4:5], s[8:9]
	s_or_b64 exec, exec, s[6:7]
	s_and_saveexec_b64 s[6:7], s[4:5]
	s_cbranch_execnz .LBB56_415
	s_branch .LBB56_416
.LBB56_2465:
	s_movk_i32 s4, 0x80
	v_cmp_eq_u16_sdwa s[12:13], v7, s4 src0_sel:BYTE_0 src1_sel:DWORD
	s_mov_b64 s[4:5], -1
                                        ; implicit-def: $sgpr10
	s_and_saveexec_b64 s[8:9], s[12:13]
; %bb.2466:
	s_mov_b32 s10, 0x7f800001
	s_xor_b64 s[4:5], exec, -1
; %bb.2467:
	s_or_b64 exec, exec, s[8:9]
	s_and_b64 s[4:5], s[4:5], exec
	s_or_saveexec_b64 s[6:7], s[6:7]
	v_mov_b32_e32 v2, s10
	s_xor_b64 exec, exec, s[6:7]
	s_cbranch_execz .LBB56_418
.LBB56_2468:
	v_mov_b32_e32 v2, 0
	v_cmp_ne_u16_sdwa s[8:9], v7, v2 src0_sel:BYTE_0 src1_sel:DWORD
	s_andn2_b64 s[4:5], s[4:5], exec
	s_and_b64 s[8:9], s[8:9], exec
	s_or_b64 s[4:5], s[4:5], s[8:9]
	s_or_b64 exec, exec, s[6:7]
	s_and_saveexec_b64 s[6:7], s[4:5]
	s_cbranch_execnz .LBB56_419
	s_branch .LBB56_420
.LBB56_2469:
	s_movk_i32 s4, 0x80
	v_cmp_eq_u16_sdwa s[12:13], v3, s4 src0_sel:BYTE_0 src1_sel:DWORD
	s_mov_b64 s[4:5], -1
                                        ; implicit-def: $sgpr10
	s_and_saveexec_b64 s[8:9], s[12:13]
; %bb.2470:
	s_mov_b32 s10, 0x7f800001
	s_xor_b64 s[4:5], exec, -1
; %bb.2471:
	s_or_b64 exec, exec, s[8:9]
	s_and_b64 s[4:5], s[4:5], exec
	s_or_saveexec_b64 s[6:7], s[6:7]
	v_mov_b32_e32 v6, s10
	s_xor_b64 exec, exec, s[6:7]
	s_cbranch_execz .LBB56_422
.LBB56_2472:
	v_mov_b32_e32 v6, 0
	v_cmp_ne_u16_sdwa s[8:9], v3, v6 src0_sel:BYTE_0 src1_sel:DWORD
	s_andn2_b64 s[4:5], s[4:5], exec
	s_and_b64 s[8:9], s[8:9], exec
	s_or_b64 s[4:5], s[4:5], s[8:9]
	s_or_b64 exec, exec, s[6:7]
	s_and_saveexec_b64 s[6:7], s[4:5]
	s_cbranch_execnz .LBB56_423
	s_branch .LBB56_424
.LBB56_2473:
	s_movk_i32 s4, 0x80
	v_cmp_eq_u16_sdwa s[12:13], v6, s4 src0_sel:BYTE_0 src1_sel:DWORD
	s_mov_b64 s[4:5], -1
                                        ; implicit-def: $sgpr10
	s_and_saveexec_b64 s[8:9], s[12:13]
; %bb.2474:
	s_mov_b32 s10, 0x7f800001
	s_xor_b64 s[4:5], exec, -1
; %bb.2475:
	s_or_b64 exec, exec, s[8:9]
	s_and_b64 s[4:5], s[4:5], exec
	s_or_saveexec_b64 s[6:7], s[6:7]
	v_mov_b32_e32 v2, s10
	s_xor_b64 exec, exec, s[6:7]
	s_cbranch_execz .LBB56_426
.LBB56_2476:
	v_mov_b32_e32 v2, 0
	v_cmp_ne_u16_sdwa s[8:9], v6, v2 src0_sel:BYTE_0 src1_sel:DWORD
	s_andn2_b64 s[4:5], s[4:5], exec
	s_and_b64 s[8:9], s[8:9], exec
	s_or_b64 s[4:5], s[4:5], s[8:9]
	s_or_b64 exec, exec, s[6:7]
	s_and_saveexec_b64 s[6:7], s[4:5]
	s_cbranch_execnz .LBB56_427
	s_branch .LBB56_428
.LBB56_2477:
	s_movk_i32 s4, 0x80
	v_cmp_eq_u16_sdwa s[12:13], v6, s4 src0_sel:BYTE_0 src1_sel:DWORD
	s_mov_b64 s[4:5], -1
                                        ; implicit-def: $sgpr10
	s_and_saveexec_b64 s[8:9], s[12:13]
; %bb.2478:
	s_mov_b32 s10, 0x7f800001
	s_xor_b64 s[4:5], exec, -1
; %bb.2479:
	s_or_b64 exec, exec, s[8:9]
	s_and_b64 s[4:5], s[4:5], exec
	s_or_saveexec_b64 s[6:7], s[6:7]
	v_mov_b32_e32 v10, s10
	s_xor_b64 exec, exec, s[6:7]
	s_cbranch_execz .LBB56_430
.LBB56_2480:
	v_mov_b32_e32 v10, 0
	v_cmp_ne_u16_sdwa s[8:9], v6, v10 src0_sel:BYTE_0 src1_sel:DWORD
	s_andn2_b64 s[4:5], s[4:5], exec
	s_and_b64 s[8:9], s[8:9], exec
	s_or_b64 s[4:5], s[4:5], s[8:9]
	s_or_b64 exec, exec, s[6:7]
	s_and_saveexec_b64 s[6:7], s[4:5]
	s_cbranch_execnz .LBB56_431
	s_branch .LBB56_432
.LBB56_2481:
	s_movk_i32 s4, 0x80
	v_cmp_eq_u16_e32 vcc, s4, v6
	s_mov_b64 s[4:5], -1
                                        ; implicit-def: $sgpr10
	s_and_saveexec_b64 s[8:9], vcc
; %bb.2482:
	s_mov_b32 s10, 0x7f800001
	s_xor_b64 s[4:5], exec, -1
; %bb.2483:
	s_or_b64 exec, exec, s[8:9]
	s_and_b64 s[4:5], s[4:5], exec
                                        ; implicit-def: $vgpr6
	s_or_saveexec_b64 s[6:7], s[6:7]
	v_mov_b32_e32 v2, s10
	s_xor_b64 exec, exec, s[6:7]
	s_cbranch_execz .LBB56_434
.LBB56_2484:
	v_cmp_ne_u16_e32 vcc, 0, v6
	s_andn2_b64 s[4:5], s[4:5], exec
	s_and_b64 s[8:9], vcc, exec
	v_mov_b32_e32 v2, 0
	s_or_b64 s[4:5], s[4:5], s[8:9]
	s_or_b64 exec, exec, s[6:7]
	s_and_saveexec_b64 s[6:7], s[4:5]
	s_cbranch_execnz .LBB56_435
	s_branch .LBB56_436
.LBB56_2485:
	s_movk_i32 s4, 0x80
	v_cmp_eq_u16_e32 vcc, s4, v6
	s_mov_b64 s[4:5], -1
                                        ; implicit-def: $sgpr10
	s_and_saveexec_b64 s[8:9], vcc
; %bb.2486:
	s_mov_b32 s10, 0x7f800001
	s_xor_b64 s[4:5], exec, -1
; %bb.2487:
	s_or_b64 exec, exec, s[8:9]
	s_and_b64 s[4:5], s[4:5], exec
                                        ; implicit-def: $vgpr6
	s_or_saveexec_b64 s[6:7], s[6:7]
	v_mov_b32_e32 v10, s10
	s_xor_b64 exec, exec, s[6:7]
	s_cbranch_execz .LBB56_438
.LBB56_2488:
	v_cmp_ne_u16_e32 vcc, 0, v6
	s_andn2_b64 s[4:5], s[4:5], exec
	s_and_b64 s[8:9], vcc, exec
	v_mov_b32_e32 v10, 0
	s_or_b64 s[4:5], s[4:5], s[8:9]
	s_or_b64 exec, exec, s[6:7]
	s_and_saveexec_b64 s[6:7], s[4:5]
	s_cbranch_execnz .LBB56_439
	s_branch .LBB56_440
.LBB56_2489:
	s_movk_i32 s4, 0x80
	v_cmp_eq_u16_sdwa s[12:13], v7, s4 src0_sel:BYTE_3 src1_sel:DWORD
	s_mov_b64 s[4:5], -1
                                        ; implicit-def: $sgpr10
	s_and_saveexec_b64 s[8:9], s[12:13]
; %bb.2490:
	s_mov_b32 s10, 0x7f800001
	s_xor_b64 s[4:5], exec, -1
; %bb.2491:
	s_or_b64 exec, exec, s[8:9]
	s_and_b64 s[4:5], s[4:5], exec
	s_or_saveexec_b64 s[6:7], s[6:7]
	v_mov_b32_e32 v2, s10
	s_xor_b64 exec, exec, s[6:7]
	s_cbranch_execz .LBB56_442
.LBB56_2492:
	v_mov_b32_e32 v2, 0
	v_cmp_ne_u16_sdwa s[8:9], v7, v2 src0_sel:BYTE_3 src1_sel:DWORD
	s_andn2_b64 s[4:5], s[4:5], exec
	s_and_b64 s[8:9], s[8:9], exec
	s_or_b64 s[4:5], s[4:5], s[8:9]
	s_or_b64 exec, exec, s[6:7]
	s_and_saveexec_b64 s[6:7], s[4:5]
	s_cbranch_execnz .LBB56_443
	s_branch .LBB56_444
.LBB56_2493:
	s_movk_i32 s4, 0x80
	v_cmp_eq_u16_sdwa s[12:13], v3, s4 src0_sel:BYTE_3 src1_sel:DWORD
	s_mov_b64 s[4:5], -1
                                        ; implicit-def: $sgpr10
	s_and_saveexec_b64 s[8:9], s[12:13]
; %bb.2494:
	s_mov_b32 s10, 0x7f800001
	s_xor_b64 s[4:5], exec, -1
; %bb.2495:
	s_or_b64 exec, exec, s[8:9]
	s_and_b64 s[4:5], s[4:5], exec
	s_or_saveexec_b64 s[6:7], s[6:7]
	v_mov_b32_e32 v6, s10
	s_xor_b64 exec, exec, s[6:7]
	s_cbranch_execz .LBB56_446
.LBB56_2496:
	v_mov_b32_e32 v6, 0
	v_cmp_ne_u16_sdwa s[8:9], v3, v6 src0_sel:BYTE_3 src1_sel:DWORD
	s_andn2_b64 s[4:5], s[4:5], exec
	s_and_b64 s[8:9], s[8:9], exec
	s_or_b64 s[4:5], s[4:5], s[8:9]
	s_or_b64 exec, exec, s[6:7]
	s_and_saveexec_b64 s[6:7], s[4:5]
	s_cbranch_execnz .LBB56_447
	s_branch .LBB56_448
.LBB56_2497:
	s_movk_i32 s4, 0x80
	v_cmp_eq_u16_sdwa s[12:13], v8, s4 src0_sel:BYTE_0 src1_sel:DWORD
	s_mov_b64 s[4:5], -1
                                        ; implicit-def: $sgpr10
	s_and_saveexec_b64 s[8:9], s[12:13]
; %bb.2498:
	s_mov_b32 s10, 0x7f800001
	s_xor_b64 s[4:5], exec, -1
; %bb.2499:
	s_or_b64 exec, exec, s[8:9]
	s_and_b64 s[4:5], s[4:5], exec
	s_or_saveexec_b64 s[6:7], s[6:7]
	v_mov_b32_e32 v2, s10
	s_xor_b64 exec, exec, s[6:7]
	s_cbranch_execz .LBB56_450
.LBB56_2500:
	v_mov_b32_e32 v2, 0
	v_cmp_ne_u16_sdwa s[8:9], v8, v2 src0_sel:BYTE_0 src1_sel:DWORD
	s_andn2_b64 s[4:5], s[4:5], exec
	s_and_b64 s[8:9], s[8:9], exec
	s_or_b64 s[4:5], s[4:5], s[8:9]
	s_or_b64 exec, exec, s[6:7]
	s_and_saveexec_b64 s[6:7], s[4:5]
	s_cbranch_execnz .LBB56_451
	s_branch .LBB56_452
.LBB56_2501:
	s_movk_i32 s4, 0x80
	v_cmp_eq_u16_sdwa s[12:13], v4, s4 src0_sel:BYTE_0 src1_sel:DWORD
	s_mov_b64 s[4:5], -1
                                        ; implicit-def: $sgpr10
	s_and_saveexec_b64 s[8:9], s[12:13]
; %bb.2502:
	s_mov_b32 s10, 0x7f800001
	s_xor_b64 s[4:5], exec, -1
; %bb.2503:
	s_or_b64 exec, exec, s[8:9]
	s_and_b64 s[4:5], s[4:5], exec
	s_or_saveexec_b64 s[6:7], s[6:7]
	v_mov_b32_e32 v3, s10
	s_xor_b64 exec, exec, s[6:7]
	s_cbranch_execz .LBB56_454
.LBB56_2504:
	v_mov_b32_e32 v3, 0
	v_cmp_ne_u16_sdwa s[8:9], v4, v3 src0_sel:BYTE_0 src1_sel:DWORD
	s_andn2_b64 s[4:5], s[4:5], exec
	s_and_b64 s[8:9], s[8:9], exec
	s_or_b64 s[4:5], s[4:5], s[8:9]
	s_or_b64 exec, exec, s[6:7]
	s_and_saveexec_b64 s[6:7], s[4:5]
	s_cbranch_execnz .LBB56_455
	s_branch .LBB56_456
.LBB56_2505:
	s_movk_i32 s4, 0x80
	v_cmp_eq_u16_sdwa s[12:13], v3, s4 src0_sel:BYTE_0 src1_sel:DWORD
	s_mov_b64 s[4:5], -1
                                        ; implicit-def: $sgpr10
	s_and_saveexec_b64 s[8:9], s[12:13]
; %bb.2506:
	s_mov_b32 s10, 0x7f800001
	s_xor_b64 s[4:5], exec, -1
; %bb.2507:
	s_or_b64 exec, exec, s[8:9]
	s_and_b64 s[4:5], s[4:5], exec
	s_or_saveexec_b64 s[6:7], s[6:7]
	v_mov_b32_e32 v2, s10
	s_xor_b64 exec, exec, s[6:7]
	s_cbranch_execz .LBB56_458
.LBB56_2508:
	v_mov_b32_e32 v2, 0
	v_cmp_ne_u16_sdwa s[8:9], v3, v2 src0_sel:BYTE_0 src1_sel:DWORD
	s_andn2_b64 s[4:5], s[4:5], exec
	s_and_b64 s[8:9], s[8:9], exec
	s_or_b64 s[4:5], s[4:5], s[8:9]
	s_or_b64 exec, exec, s[6:7]
	s_and_saveexec_b64 s[6:7], s[4:5]
	s_cbranch_execnz .LBB56_459
	s_branch .LBB56_460
.LBB56_2509:
	s_movk_i32 s4, 0x80
	v_cmp_eq_u16_sdwa s[12:13], v3, s4 src0_sel:BYTE_0 src1_sel:DWORD
	s_mov_b64 s[4:5], -1
                                        ; implicit-def: $sgpr10
	s_and_saveexec_b64 s[8:9], s[12:13]
; %bb.2510:
	s_mov_b32 s10, 0x7f800001
	s_xor_b64 s[4:5], exec, -1
; %bb.2511:
	s_or_b64 exec, exec, s[8:9]
	s_and_b64 s[4:5], s[4:5], exec
	s_or_saveexec_b64 s[6:7], s[6:7]
	v_mov_b32_e32 v6, s10
	s_xor_b64 exec, exec, s[6:7]
	s_cbranch_execz .LBB56_462
.LBB56_2512:
	v_mov_b32_e32 v6, 0
	v_cmp_ne_u16_sdwa s[8:9], v3, v6 src0_sel:BYTE_0 src1_sel:DWORD
	s_andn2_b64 s[4:5], s[4:5], exec
	s_and_b64 s[8:9], s[8:9], exec
	s_or_b64 s[4:5], s[4:5], s[8:9]
	s_or_b64 exec, exec, s[6:7]
	s_and_saveexec_b64 s[6:7], s[4:5]
	s_cbranch_execnz .LBB56_463
	s_branch .LBB56_464
.LBB56_2513:
	s_movk_i32 s4, 0x80
	v_cmp_eq_u16_e32 vcc, s4, v3
	s_mov_b64 s[4:5], -1
                                        ; implicit-def: $sgpr10
	s_and_saveexec_b64 s[8:9], vcc
; %bb.2514:
	s_mov_b32 s10, 0x7f800001
	s_xor_b64 s[4:5], exec, -1
; %bb.2515:
	s_or_b64 exec, exec, s[8:9]
	s_and_b64 s[4:5], s[4:5], exec
                                        ; implicit-def: $vgpr3
	s_or_saveexec_b64 s[6:7], s[6:7]
	v_mov_b32_e32 v2, s10
	s_xor_b64 exec, exec, s[6:7]
	s_cbranch_execz .LBB56_466
.LBB56_2516:
	v_cmp_ne_u16_e32 vcc, 0, v3
	s_andn2_b64 s[4:5], s[4:5], exec
	s_and_b64 s[8:9], vcc, exec
	v_mov_b32_e32 v2, 0
	s_or_b64 s[4:5], s[4:5], s[8:9]
	s_or_b64 exec, exec, s[6:7]
	s_and_saveexec_b64 s[6:7], s[4:5]
	s_cbranch_execnz .LBB56_467
	s_branch .LBB56_468
.LBB56_2517:
	s_movk_i32 s4, 0x80
	v_cmp_eq_u16_e32 vcc, s4, v3
	s_mov_b64 s[4:5], -1
                                        ; implicit-def: $sgpr10
	s_and_saveexec_b64 s[8:9], vcc
; %bb.2518:
	s_mov_b32 s10, 0x7f800001
	s_xor_b64 s[4:5], exec, -1
; %bb.2519:
	s_or_b64 exec, exec, s[8:9]
	s_and_b64 s[4:5], s[4:5], exec
                                        ; implicit-def: $vgpr3
	s_or_saveexec_b64 s[6:7], s[6:7]
	v_mov_b32_e32 v6, s10
	s_xor_b64 exec, exec, s[6:7]
	s_cbranch_execz .LBB56_470
.LBB56_2520:
	v_cmp_ne_u16_e32 vcc, 0, v3
	s_andn2_b64 s[4:5], s[4:5], exec
	s_and_b64 s[8:9], vcc, exec
	v_mov_b32_e32 v6, 0
	s_or_b64 s[4:5], s[4:5], s[8:9]
	s_or_b64 exec, exec, s[6:7]
	s_and_saveexec_b64 s[6:7], s[4:5]
	s_cbranch_execnz .LBB56_471
	s_branch .LBB56_472
.LBB56_2521:
	s_movk_i32 s4, 0x80
	v_cmp_eq_u16_sdwa s[12:13], v8, s4 src0_sel:BYTE_3 src1_sel:DWORD
	s_mov_b64 s[4:5], -1
                                        ; implicit-def: $sgpr10
	s_and_saveexec_b64 s[8:9], s[12:13]
; %bb.2522:
	s_mov_b32 s10, 0x7f800001
	s_xor_b64 s[4:5], exec, -1
; %bb.2523:
	s_or_b64 exec, exec, s[8:9]
	s_and_b64 s[4:5], s[4:5], exec
	s_or_saveexec_b64 s[6:7], s[6:7]
	v_mov_b32_e32 v2, s10
	s_xor_b64 exec, exec, s[6:7]
	s_cbranch_execz .LBB56_474
.LBB56_2524:
	v_mov_b32_e32 v2, 0
	v_cmp_ne_u16_sdwa s[8:9], v8, v2 src0_sel:BYTE_3 src1_sel:DWORD
	s_andn2_b64 s[4:5], s[4:5], exec
	s_and_b64 s[8:9], s[8:9], exec
	s_or_b64 s[4:5], s[4:5], s[8:9]
	s_or_b64 exec, exec, s[6:7]
	s_and_saveexec_b64 s[6:7], s[4:5]
	s_cbranch_execnz .LBB56_475
	s_branch .LBB56_476
.LBB56_2525:
	s_movk_i32 s4, 0x80
	v_cmp_eq_u16_sdwa s[12:13], v4, s4 src0_sel:BYTE_3 src1_sel:DWORD
	s_mov_b64 s[4:5], -1
                                        ; implicit-def: $sgpr10
	s_and_saveexec_b64 s[8:9], s[12:13]
; %bb.2526:
	s_mov_b32 s10, 0x7f800001
	s_xor_b64 s[4:5], exec, -1
; %bb.2527:
	s_or_b64 exec, exec, s[8:9]
	s_and_b64 s[4:5], s[4:5], exec
	s_or_saveexec_b64 s[6:7], s[6:7]
	v_mov_b32_e32 v3, s10
	s_xor_b64 exec, exec, s[6:7]
	s_cbranch_execz .LBB56_478
.LBB56_2528:
	v_mov_b32_e32 v3, 0
	v_cmp_ne_u16_sdwa s[8:9], v4, v3 src0_sel:BYTE_3 src1_sel:DWORD
	s_andn2_b64 s[4:5], s[4:5], exec
	s_and_b64 s[8:9], s[8:9], exec
	s_or_b64 s[4:5], s[4:5], s[8:9]
	s_or_b64 exec, exec, s[6:7]
	s_and_saveexec_b64 s[6:7], s[4:5]
	s_cbranch_execnz .LBB56_479
	s_branch .LBB56_480
.LBB56_2529:
	s_movk_i32 s4, 0x80
	v_cmp_eq_u16_sdwa s[12:13], v9, s4 src0_sel:BYTE_0 src1_sel:DWORD
	s_mov_b64 s[4:5], -1
                                        ; implicit-def: $sgpr10
	s_and_saveexec_b64 s[8:9], s[12:13]
; %bb.2530:
	s_mov_b32 s10, 0x7f800001
	s_xor_b64 s[4:5], exec, -1
; %bb.2531:
	s_or_b64 exec, exec, s[8:9]
	s_and_b64 s[4:5], s[4:5], exec
	s_or_saveexec_b64 s[6:7], s[6:7]
	v_mov_b32_e32 v2, s10
	s_xor_b64 exec, exec, s[6:7]
	s_cbranch_execz .LBB56_482
.LBB56_2532:
	v_mov_b32_e32 v2, 0
	v_cmp_ne_u16_sdwa s[8:9], v9, v2 src0_sel:BYTE_0 src1_sel:DWORD
	s_andn2_b64 s[4:5], s[4:5], exec
	s_and_b64 s[8:9], s[8:9], exec
	s_or_b64 s[4:5], s[4:5], s[8:9]
	s_or_b64 exec, exec, s[6:7]
	s_and_saveexec_b64 s[6:7], s[4:5]
	s_cbranch_execnz .LBB56_483
	s_branch .LBB56_484
.LBB56_2533:
	s_movk_i32 s4, 0x80
	v_cmp_eq_u16_sdwa s[12:13], v5, s4 src0_sel:BYTE_0 src1_sel:DWORD
	s_mov_b64 s[4:5], -1
                                        ; implicit-def: $sgpr10
	s_and_saveexec_b64 s[8:9], s[12:13]
; %bb.2534:
	s_mov_b32 s10, 0x7f800001
	s_xor_b64 s[4:5], exec, -1
; %bb.2535:
	s_or_b64 exec, exec, s[8:9]
	s_and_b64 s[4:5], s[4:5], exec
	s_or_saveexec_b64 s[6:7], s[6:7]
	v_mov_b32_e32 v3, s10
	s_xor_b64 exec, exec, s[6:7]
	s_cbranch_execz .LBB56_486
.LBB56_2536:
	v_mov_b32_e32 v3, 0
	v_cmp_ne_u16_sdwa s[8:9], v5, v3 src0_sel:BYTE_0 src1_sel:DWORD
	s_andn2_b64 s[4:5], s[4:5], exec
	s_and_b64 s[8:9], s[8:9], exec
	s_or_b64 s[4:5], s[4:5], s[8:9]
	s_or_b64 exec, exec, s[6:7]
	s_and_saveexec_b64 s[6:7], s[4:5]
	s_cbranch_execnz .LBB56_487
	s_branch .LBB56_488
.LBB56_2537:
	s_movk_i32 s4, 0x80
	v_cmp_eq_u16_sdwa s[12:13], v3, s4 src0_sel:BYTE_0 src1_sel:DWORD
	s_mov_b64 s[4:5], -1
                                        ; implicit-def: $sgpr10
	s_and_saveexec_b64 s[8:9], s[12:13]
; %bb.2538:
	s_mov_b32 s10, 0x7f800001
	s_xor_b64 s[4:5], exec, -1
; %bb.2539:
	s_or_b64 exec, exec, s[8:9]
	s_and_b64 s[4:5], s[4:5], exec
	s_or_saveexec_b64 s[6:7], s[6:7]
	v_mov_b32_e32 v2, s10
	s_xor_b64 exec, exec, s[6:7]
	s_cbranch_execz .LBB56_490
.LBB56_2540:
	v_mov_b32_e32 v2, 0
	v_cmp_ne_u16_sdwa s[8:9], v3, v2 src0_sel:BYTE_0 src1_sel:DWORD
	s_andn2_b64 s[4:5], s[4:5], exec
	s_and_b64 s[8:9], s[8:9], exec
	s_or_b64 s[4:5], s[4:5], s[8:9]
	s_or_b64 exec, exec, s[6:7]
	s_and_saveexec_b64 s[6:7], s[4:5]
	s_cbranch_execnz .LBB56_491
	s_branch .LBB56_492
.LBB56_2541:
	s_movk_i32 s4, 0x80
	v_cmp_eq_u16_sdwa s[12:13], v3, s4 src0_sel:BYTE_0 src1_sel:DWORD
	s_mov_b64 s[4:5], -1
                                        ; implicit-def: $sgpr10
	s_and_saveexec_b64 s[8:9], s[12:13]
; %bb.2542:
	s_mov_b32 s10, 0x7f800001
	s_xor_b64 s[4:5], exec, -1
; %bb.2543:
	s_or_b64 exec, exec, s[8:9]
	s_and_b64 s[4:5], s[4:5], exec
	s_or_saveexec_b64 s[6:7], s[6:7]
	v_mov_b32_e32 v4, s10
	s_xor_b64 exec, exec, s[6:7]
	s_cbranch_execz .LBB56_494
.LBB56_2544:
	v_mov_b32_e32 v4, 0
	v_cmp_ne_u16_sdwa s[8:9], v3, v4 src0_sel:BYTE_0 src1_sel:DWORD
	s_andn2_b64 s[4:5], s[4:5], exec
	s_and_b64 s[8:9], s[8:9], exec
	s_or_b64 s[4:5], s[4:5], s[8:9]
	s_or_b64 exec, exec, s[6:7]
	s_and_saveexec_b64 s[6:7], s[4:5]
	s_cbranch_execnz .LBB56_495
	s_branch .LBB56_496
.LBB56_2545:
	s_movk_i32 s4, 0x80
	v_cmp_eq_u16_e32 vcc, s4, v3
	s_mov_b64 s[4:5], -1
                                        ; implicit-def: $sgpr10
	s_and_saveexec_b64 s[8:9], vcc
; %bb.2546:
	s_mov_b32 s10, 0x7f800001
	s_xor_b64 s[4:5], exec, -1
; %bb.2547:
	s_or_b64 exec, exec, s[8:9]
	s_and_b64 s[4:5], s[4:5], exec
                                        ; implicit-def: $vgpr3
	s_or_saveexec_b64 s[6:7], s[6:7]
	v_mov_b32_e32 v2, s10
	s_xor_b64 exec, exec, s[6:7]
	s_cbranch_execz .LBB56_498
.LBB56_2548:
	v_cmp_ne_u16_e32 vcc, 0, v3
	s_andn2_b64 s[4:5], s[4:5], exec
	s_and_b64 s[8:9], vcc, exec
	v_mov_b32_e32 v2, 0
	s_or_b64 s[4:5], s[4:5], s[8:9]
	s_or_b64 exec, exec, s[6:7]
	s_and_saveexec_b64 s[6:7], s[4:5]
	s_cbranch_execnz .LBB56_499
	s_branch .LBB56_500
.LBB56_2549:
	s_movk_i32 s4, 0x80
	v_cmp_eq_u16_e32 vcc, s4, v3
	s_mov_b64 s[4:5], -1
                                        ; implicit-def: $sgpr10
	s_and_saveexec_b64 s[8:9], vcc
; %bb.2550:
	s_mov_b32 s10, 0x7f800001
	s_xor_b64 s[4:5], exec, -1
; %bb.2551:
	s_or_b64 exec, exec, s[8:9]
	s_and_b64 s[4:5], s[4:5], exec
                                        ; implicit-def: $vgpr3
	s_or_saveexec_b64 s[6:7], s[6:7]
	v_mov_b32_e32 v4, s10
	s_xor_b64 exec, exec, s[6:7]
	s_cbranch_execz .LBB56_502
.LBB56_2552:
	v_cmp_ne_u16_e32 vcc, 0, v3
	s_andn2_b64 s[4:5], s[4:5], exec
	s_and_b64 s[8:9], vcc, exec
	v_mov_b32_e32 v4, 0
	s_or_b64 s[4:5], s[4:5], s[8:9]
	s_or_b64 exec, exec, s[6:7]
	s_and_saveexec_b64 s[6:7], s[4:5]
	s_cbranch_execnz .LBB56_503
	s_branch .LBB56_504
.LBB56_2553:
	s_movk_i32 s4, 0x80
	v_cmp_eq_u16_sdwa s[12:13], v9, s4 src0_sel:BYTE_3 src1_sel:DWORD
	s_mov_b64 s[4:5], -1
                                        ; implicit-def: $sgpr10
	s_and_saveexec_b64 s[8:9], s[12:13]
; %bb.2554:
	s_mov_b32 s10, 0x7f800001
	s_xor_b64 s[4:5], exec, -1
; %bb.2555:
	s_or_b64 exec, exec, s[8:9]
	s_and_b64 s[4:5], s[4:5], exec
	s_or_saveexec_b64 s[6:7], s[6:7]
	v_mov_b32_e32 v2, s10
	s_xor_b64 exec, exec, s[6:7]
	s_cbranch_execz .LBB56_506
.LBB56_2556:
	v_mov_b32_e32 v2, 0
	v_cmp_ne_u16_sdwa s[8:9], v9, v2 src0_sel:BYTE_3 src1_sel:DWORD
	s_andn2_b64 s[4:5], s[4:5], exec
	s_and_b64 s[8:9], s[8:9], exec
	s_or_b64 s[4:5], s[4:5], s[8:9]
	s_or_b64 exec, exec, s[6:7]
	s_and_saveexec_b64 s[6:7], s[4:5]
	s_cbranch_execnz .LBB56_507
	s_branch .LBB56_508
.LBB56_2557:
	s_movk_i32 s4, 0x80
	v_cmp_eq_u16_sdwa s[12:13], v5, s4 src0_sel:BYTE_3 src1_sel:DWORD
	s_mov_b64 s[4:5], -1
                                        ; implicit-def: $sgpr10
	s_and_saveexec_b64 s[8:9], s[12:13]
; %bb.2558:
	s_mov_b32 s10, 0x7f800001
	s_xor_b64 s[4:5], exec, -1
; %bb.2559:
	s_or_b64 exec, exec, s[8:9]
	s_and_b64 s[4:5], s[4:5], exec
	s_or_saveexec_b64 s[6:7], s[6:7]
	v_mov_b32_e32 v3, s10
	s_xor_b64 exec, exec, s[6:7]
	s_cbranch_execz .LBB56_510
.LBB56_2560:
	v_mov_b32_e32 v3, 0
	v_cmp_ne_u16_sdwa s[8:9], v5, v3 src0_sel:BYTE_3 src1_sel:DWORD
	s_andn2_b64 s[4:5], s[4:5], exec
	s_and_b64 s[8:9], s[8:9], exec
	s_or_b64 s[4:5], s[4:5], s[8:9]
	s_or_b64 exec, exec, s[6:7]
	s_and_saveexec_b64 s[6:7], s[4:5]
	s_cbranch_execnz .LBB56_511
	s_branch .LBB56_512
.LBB56_2561:
	s_movk_i32 s4, 0x80
	v_cmp_eq_u16_sdwa s[12:13], v14, s4 src0_sel:BYTE_0 src1_sel:DWORD
	s_mov_b64 s[4:5], -1
                                        ; implicit-def: $sgpr10
	s_and_saveexec_b64 s[8:9], s[12:13]
; %bb.2562:
	s_mov_b32 s10, 0x7f800001
	s_xor_b64 s[4:5], exec, -1
; %bb.2563:
	s_or_b64 exec, exec, s[8:9]
	s_and_b64 s[4:5], s[4:5], exec
	s_or_saveexec_b64 s[6:7], s[6:7]
	v_mov_b32_e32 v20, s10
	s_xor_b64 exec, exec, s[6:7]
	s_cbranch_execz .LBB56_514
.LBB56_2564:
	v_mov_b32_e32 v20, 0
	v_cmp_ne_u16_sdwa s[8:9], v14, v20 src0_sel:BYTE_0 src1_sel:DWORD
	s_andn2_b64 s[4:5], s[4:5], exec
	s_and_b64 s[8:9], s[8:9], exec
	s_or_b64 s[4:5], s[4:5], s[8:9]
	s_or_b64 exec, exec, s[6:7]
	s_and_saveexec_b64 s[6:7], s[4:5]
	s_cbranch_execnz .LBB56_515
	s_branch .LBB56_516
.LBB56_2565:
	s_movk_i32 s4, 0x80
	v_cmp_eq_u16_sdwa s[12:13], v10, s4 src0_sel:BYTE_0 src1_sel:DWORD
	s_mov_b64 s[4:5], -1
                                        ; implicit-def: $sgpr10
	s_and_saveexec_b64 s[8:9], s[12:13]
; %bb.2566:
	s_mov_b32 s10, 0x7f800001
	s_xor_b64 s[4:5], exec, -1
; %bb.2567:
	s_or_b64 exec, exec, s[8:9]
	s_and_b64 s[4:5], s[4:5], exec
	s_or_saveexec_b64 s[6:7], s[6:7]
	v_mov_b32_e32 v21, s10
	s_xor_b64 exec, exec, s[6:7]
	s_cbranch_execz .LBB56_518
.LBB56_2568:
	v_mov_b32_e32 v21, 0
	v_cmp_ne_u16_sdwa s[8:9], v10, v21 src0_sel:BYTE_0 src1_sel:DWORD
	s_andn2_b64 s[4:5], s[4:5], exec
	s_and_b64 s[8:9], s[8:9], exec
	s_or_b64 s[4:5], s[4:5], s[8:9]
	s_or_b64 exec, exec, s[6:7]
	s_and_saveexec_b64 s[6:7], s[4:5]
	s_cbranch_execnz .LBB56_519
	s_branch .LBB56_520
.LBB56_2569:
	s_movk_i32 s4, 0x80
	v_cmp_eq_u16_sdwa s[12:13], v21, s4 src0_sel:BYTE_0 src1_sel:DWORD
	s_mov_b64 s[4:5], -1
                                        ; implicit-def: $sgpr10
	s_and_saveexec_b64 s[8:9], s[12:13]
; %bb.2570:
	s_mov_b32 s10, 0x7f800001
	s_xor_b64 s[4:5], exec, -1
; %bb.2571:
	s_or_b64 exec, exec, s[8:9]
	s_and_b64 s[4:5], s[4:5], exec
	s_or_saveexec_b64 s[6:7], s[6:7]
	v_mov_b32_e32 v20, s10
	s_xor_b64 exec, exec, s[6:7]
	s_cbranch_execz .LBB56_522
.LBB56_2572:
	v_mov_b32_e32 v20, 0
	v_cmp_ne_u16_sdwa s[8:9], v21, v20 src0_sel:BYTE_0 src1_sel:DWORD
	s_andn2_b64 s[4:5], s[4:5], exec
	s_and_b64 s[8:9], s[8:9], exec
	s_or_b64 s[4:5], s[4:5], s[8:9]
	s_or_b64 exec, exec, s[6:7]
	s_and_saveexec_b64 s[6:7], s[4:5]
	s_cbranch_execnz .LBB56_523
	s_branch .LBB56_524
.LBB56_2573:
	s_movk_i32 s4, 0x80
	v_cmp_eq_u16_sdwa s[12:13], v21, s4 src0_sel:BYTE_0 src1_sel:DWORD
	s_mov_b64 s[4:5], -1
                                        ; implicit-def: $sgpr10
	s_and_saveexec_b64 s[8:9], s[12:13]
; %bb.2574:
	s_mov_b32 s10, 0x7f800001
	s_xor_b64 s[4:5], exec, -1
; %bb.2575:
	s_or_b64 exec, exec, s[8:9]
	s_and_b64 s[4:5], s[4:5], exec
	s_or_saveexec_b64 s[6:7], s[6:7]
	v_mov_b32_e32 v22, s10
	s_xor_b64 exec, exec, s[6:7]
	s_cbranch_execz .LBB56_526
.LBB56_2576:
	v_mov_b32_e32 v22, 0
	v_cmp_ne_u16_sdwa s[8:9], v21, v22 src0_sel:BYTE_0 src1_sel:DWORD
	s_andn2_b64 s[4:5], s[4:5], exec
	s_and_b64 s[8:9], s[8:9], exec
	s_or_b64 s[4:5], s[4:5], s[8:9]
	s_or_b64 exec, exec, s[6:7]
	s_and_saveexec_b64 s[6:7], s[4:5]
	s_cbranch_execnz .LBB56_527
	s_branch .LBB56_528
.LBB56_2577:
	s_movk_i32 s4, 0x80
	v_cmp_eq_u16_e32 vcc, s4, v21
	s_mov_b64 s[4:5], -1
                                        ; implicit-def: $sgpr10
	s_and_saveexec_b64 s[8:9], vcc
; %bb.2578:
	s_mov_b32 s10, 0x7f800001
	s_xor_b64 s[4:5], exec, -1
; %bb.2579:
	s_or_b64 exec, exec, s[8:9]
	s_and_b64 s[4:5], s[4:5], exec
                                        ; implicit-def: $vgpr21
	s_or_saveexec_b64 s[6:7], s[6:7]
	v_mov_b32_e32 v20, s10
	s_xor_b64 exec, exec, s[6:7]
	s_cbranch_execz .LBB56_530
.LBB56_2580:
	v_cmp_ne_u16_e32 vcc, 0, v21
	s_andn2_b64 s[4:5], s[4:5], exec
	s_and_b64 s[8:9], vcc, exec
	v_mov_b32_e32 v20, 0
	s_or_b64 s[4:5], s[4:5], s[8:9]
	s_or_b64 exec, exec, s[6:7]
	s_and_saveexec_b64 s[6:7], s[4:5]
	s_cbranch_execnz .LBB56_531
	s_branch .LBB56_532
.LBB56_2581:
	s_movk_i32 s4, 0x80
	v_cmp_eq_u16_e32 vcc, s4, v21
	s_mov_b64 s[4:5], -1
                                        ; implicit-def: $sgpr10
	s_and_saveexec_b64 s[8:9], vcc
; %bb.2582:
	s_mov_b32 s10, 0x7f800001
	s_xor_b64 s[4:5], exec, -1
; %bb.2583:
	s_or_b64 exec, exec, s[8:9]
	s_and_b64 s[4:5], s[4:5], exec
                                        ; implicit-def: $vgpr21
	s_or_saveexec_b64 s[6:7], s[6:7]
	v_mov_b32_e32 v22, s10
	s_xor_b64 exec, exec, s[6:7]
	s_cbranch_execz .LBB56_534
.LBB56_2584:
	v_cmp_ne_u16_e32 vcc, 0, v21
	s_andn2_b64 s[4:5], s[4:5], exec
	s_and_b64 s[8:9], vcc, exec
	v_mov_b32_e32 v22, 0
	s_or_b64 s[4:5], s[4:5], s[8:9]
	s_or_b64 exec, exec, s[6:7]
	s_and_saveexec_b64 s[6:7], s[4:5]
	s_cbranch_execnz .LBB56_535
	s_branch .LBB56_536
.LBB56_2585:
	s_movk_i32 s4, 0x80
	v_cmp_eq_u16_sdwa s[12:13], v14, s4 src0_sel:BYTE_3 src1_sel:DWORD
	s_mov_b64 s[4:5], -1
                                        ; implicit-def: $sgpr10
	s_and_saveexec_b64 s[8:9], s[12:13]
; %bb.2586:
	s_mov_b32 s10, 0x7f800001
	s_xor_b64 s[4:5], exec, -1
; %bb.2587:
	s_or_b64 exec, exec, s[8:9]
	s_and_b64 s[4:5], s[4:5], exec
	s_or_saveexec_b64 s[6:7], s[6:7]
	v_mov_b32_e32 v20, s10
	s_xor_b64 exec, exec, s[6:7]
	s_cbranch_execz .LBB56_538
.LBB56_2588:
	v_mov_b32_e32 v20, 0
	v_cmp_ne_u16_sdwa s[8:9], v14, v20 src0_sel:BYTE_3 src1_sel:DWORD
	s_andn2_b64 s[4:5], s[4:5], exec
	s_and_b64 s[8:9], s[8:9], exec
	s_or_b64 s[4:5], s[4:5], s[8:9]
	s_or_b64 exec, exec, s[6:7]
	s_and_saveexec_b64 s[6:7], s[4:5]
	s_cbranch_execnz .LBB56_539
	s_branch .LBB56_540
.LBB56_2589:
	s_movk_i32 s4, 0x80
	v_cmp_eq_u16_sdwa s[12:13], v10, s4 src0_sel:BYTE_3 src1_sel:DWORD
	s_mov_b64 s[4:5], -1
                                        ; implicit-def: $sgpr10
	s_and_saveexec_b64 s[8:9], s[12:13]
; %bb.2590:
	s_mov_b32 s10, 0x7f800001
	s_xor_b64 s[4:5], exec, -1
; %bb.2591:
	s_or_b64 exec, exec, s[8:9]
	s_and_b64 s[4:5], s[4:5], exec
	s_or_saveexec_b64 s[6:7], s[6:7]
	v_mov_b32_e32 v14, s10
	s_xor_b64 exec, exec, s[6:7]
	s_cbranch_execz .LBB56_542
.LBB56_2592:
	v_mov_b32_e32 v14, 0
	v_cmp_ne_u16_sdwa s[8:9], v10, v14 src0_sel:BYTE_3 src1_sel:DWORD
	s_andn2_b64 s[4:5], s[4:5], exec
	s_and_b64 s[8:9], s[8:9], exec
	s_or_b64 s[4:5], s[4:5], s[8:9]
	s_or_b64 exec, exec, s[6:7]
	s_and_saveexec_b64 s[6:7], s[4:5]
	s_cbranch_execnz .LBB56_543
	s_branch .LBB56_544
.LBB56_2593:
	s_movk_i32 s4, 0x80
	v_cmp_eq_u16_sdwa s[12:13], v15, s4 src0_sel:BYTE_0 src1_sel:DWORD
	s_mov_b64 s[4:5], -1
                                        ; implicit-def: $sgpr10
	s_and_saveexec_b64 s[8:9], s[12:13]
; %bb.2594:
	s_mov_b32 s10, 0x7f800001
	s_xor_b64 s[4:5], exec, -1
; %bb.2595:
	s_or_b64 exec, exec, s[8:9]
	s_and_b64 s[4:5], s[4:5], exec
	s_or_saveexec_b64 s[6:7], s[6:7]
	v_mov_b32_e32 v10, s10
	s_xor_b64 exec, exec, s[6:7]
	s_cbranch_execz .LBB56_546
.LBB56_2596:
	v_mov_b32_e32 v10, 0
	v_cmp_ne_u16_sdwa s[8:9], v15, v10 src0_sel:BYTE_0 src1_sel:DWORD
	s_andn2_b64 s[4:5], s[4:5], exec
	s_and_b64 s[8:9], s[8:9], exec
	s_or_b64 s[4:5], s[4:5], s[8:9]
	s_or_b64 exec, exec, s[6:7]
	s_and_saveexec_b64 s[6:7], s[4:5]
	s_cbranch_execnz .LBB56_547
	s_branch .LBB56_548
.LBB56_2597:
	s_movk_i32 s4, 0x80
	v_cmp_eq_u16_sdwa s[12:13], v11, s4 src0_sel:BYTE_0 src1_sel:DWORD
	s_mov_b64 s[4:5], -1
                                        ; implicit-def: $sgpr10
	s_and_saveexec_b64 s[8:9], s[12:13]
; %bb.2598:
	s_mov_b32 s10, 0x7f800001
	s_xor_b64 s[4:5], exec, -1
; %bb.2599:
	s_or_b64 exec, exec, s[8:9]
	s_and_b64 s[4:5], s[4:5], exec
	s_or_saveexec_b64 s[6:7], s[6:7]
	v_mov_b32_e32 v14, s10
	s_xor_b64 exec, exec, s[6:7]
	s_cbranch_execz .LBB56_550
.LBB56_2600:
	v_mov_b32_e32 v14, 0
	v_cmp_ne_u16_sdwa s[8:9], v11, v14 src0_sel:BYTE_0 src1_sel:DWORD
	s_andn2_b64 s[4:5], s[4:5], exec
	s_and_b64 s[8:9], s[8:9], exec
	s_or_b64 s[4:5], s[4:5], s[8:9]
	s_or_b64 exec, exec, s[6:7]
	s_and_saveexec_b64 s[6:7], s[4:5]
	s_cbranch_execnz .LBB56_551
	s_branch .LBB56_552
.LBB56_2601:
	s_movk_i32 s4, 0x80
	v_cmp_eq_u16_sdwa s[12:13], v14, s4 src0_sel:BYTE_0 src1_sel:DWORD
	s_mov_b64 s[4:5], -1
                                        ; implicit-def: $sgpr10
	s_and_saveexec_b64 s[8:9], s[12:13]
; %bb.2602:
	s_mov_b32 s10, 0x7f800001
	s_xor_b64 s[4:5], exec, -1
; %bb.2603:
	s_or_b64 exec, exec, s[8:9]
	s_and_b64 s[4:5], s[4:5], exec
	s_or_saveexec_b64 s[6:7], s[6:7]
	v_mov_b32_e32 v10, s10
	s_xor_b64 exec, exec, s[6:7]
	s_cbranch_execz .LBB56_554
.LBB56_2604:
	v_mov_b32_e32 v10, 0
	v_cmp_ne_u16_sdwa s[8:9], v14, v10 src0_sel:BYTE_0 src1_sel:DWORD
	s_andn2_b64 s[4:5], s[4:5], exec
	s_and_b64 s[8:9], s[8:9], exec
	s_or_b64 s[4:5], s[4:5], s[8:9]
	s_or_b64 exec, exec, s[6:7]
	s_and_saveexec_b64 s[6:7], s[4:5]
	s_cbranch_execnz .LBB56_555
	s_branch .LBB56_556
.LBB56_2605:
	s_movk_i32 s4, 0x80
	v_cmp_eq_u16_sdwa s[12:13], v14, s4 src0_sel:BYTE_0 src1_sel:DWORD
	s_mov_b64 s[4:5], -1
                                        ; implicit-def: $sgpr10
	s_and_saveexec_b64 s[8:9], s[12:13]
; %bb.2606:
	s_mov_b32 s10, 0x7f800001
	s_xor_b64 s[4:5], exec, -1
; %bb.2607:
	s_or_b64 exec, exec, s[8:9]
	s_and_b64 s[4:5], s[4:5], exec
	s_or_saveexec_b64 s[6:7], s[6:7]
	v_mov_b32_e32 v20, s10
	s_xor_b64 exec, exec, s[6:7]
	s_cbranch_execz .LBB56_558
.LBB56_2608:
	v_mov_b32_e32 v20, 0
	v_cmp_ne_u16_sdwa s[8:9], v14, v20 src0_sel:BYTE_0 src1_sel:DWORD
	s_andn2_b64 s[4:5], s[4:5], exec
	s_and_b64 s[8:9], s[8:9], exec
	s_or_b64 s[4:5], s[4:5], s[8:9]
	s_or_b64 exec, exec, s[6:7]
	s_and_saveexec_b64 s[6:7], s[4:5]
	s_cbranch_execnz .LBB56_559
	s_branch .LBB56_560
.LBB56_2609:
	s_movk_i32 s4, 0x80
	v_cmp_eq_u16_e32 vcc, s4, v14
	s_mov_b64 s[4:5], -1
                                        ; implicit-def: $sgpr10
	s_and_saveexec_b64 s[8:9], vcc
; %bb.2610:
	s_mov_b32 s10, 0x7f800001
	s_xor_b64 s[4:5], exec, -1
; %bb.2611:
	s_or_b64 exec, exec, s[8:9]
	s_and_b64 s[4:5], s[4:5], exec
                                        ; implicit-def: $vgpr14
	s_or_saveexec_b64 s[6:7], s[6:7]
	v_mov_b32_e32 v10, s10
	s_xor_b64 exec, exec, s[6:7]
	s_cbranch_execz .LBB56_562
.LBB56_2612:
	v_cmp_ne_u16_e32 vcc, 0, v14
	s_andn2_b64 s[4:5], s[4:5], exec
	s_and_b64 s[8:9], vcc, exec
	v_mov_b32_e32 v10, 0
	s_or_b64 s[4:5], s[4:5], s[8:9]
	s_or_b64 exec, exec, s[6:7]
	s_and_saveexec_b64 s[6:7], s[4:5]
	s_cbranch_execnz .LBB56_563
	s_branch .LBB56_564
.LBB56_2613:
	s_movk_i32 s4, 0x80
	v_cmp_eq_u16_e32 vcc, s4, v14
	s_mov_b64 s[4:5], -1
                                        ; implicit-def: $sgpr10
	s_and_saveexec_b64 s[8:9], vcc
; %bb.2614:
	s_mov_b32 s10, 0x7f800001
	s_xor_b64 s[4:5], exec, -1
; %bb.2615:
	s_or_b64 exec, exec, s[8:9]
	s_and_b64 s[4:5], s[4:5], exec
                                        ; implicit-def: $vgpr14
	s_or_saveexec_b64 s[6:7], s[6:7]
	v_mov_b32_e32 v20, s10
	s_xor_b64 exec, exec, s[6:7]
	s_cbranch_execz .LBB56_566
.LBB56_2616:
	v_cmp_ne_u16_e32 vcc, 0, v14
	s_andn2_b64 s[4:5], s[4:5], exec
	s_and_b64 s[8:9], vcc, exec
	v_mov_b32_e32 v20, 0
	s_or_b64 s[4:5], s[4:5], s[8:9]
	s_or_b64 exec, exec, s[6:7]
	s_and_saveexec_b64 s[6:7], s[4:5]
	s_cbranch_execnz .LBB56_567
	s_branch .LBB56_568
.LBB56_2617:
	s_movk_i32 s4, 0x80
	v_cmp_eq_u16_sdwa s[12:13], v15, s4 src0_sel:BYTE_3 src1_sel:DWORD
	s_mov_b64 s[4:5], -1
                                        ; implicit-def: $sgpr10
	s_and_saveexec_b64 s[8:9], s[12:13]
; %bb.2618:
	s_mov_b32 s10, 0x7f800001
	s_xor_b64 s[4:5], exec, -1
; %bb.2619:
	s_or_b64 exec, exec, s[8:9]
	s_and_b64 s[4:5], s[4:5], exec
	s_or_saveexec_b64 s[6:7], s[6:7]
	v_mov_b32_e32 v10, s10
	s_xor_b64 exec, exec, s[6:7]
	s_cbranch_execz .LBB56_570
.LBB56_2620:
	v_mov_b32_e32 v10, 0
	v_cmp_ne_u16_sdwa s[8:9], v15, v10 src0_sel:BYTE_3 src1_sel:DWORD
	s_andn2_b64 s[4:5], s[4:5], exec
	s_and_b64 s[8:9], s[8:9], exec
	s_or_b64 s[4:5], s[4:5], s[8:9]
	s_or_b64 exec, exec, s[6:7]
	s_and_saveexec_b64 s[6:7], s[4:5]
	s_cbranch_execnz .LBB56_571
	s_branch .LBB56_572
.LBB56_2621:
	s_movk_i32 s4, 0x80
	v_cmp_eq_u16_sdwa s[12:13], v11, s4 src0_sel:BYTE_3 src1_sel:DWORD
	s_mov_b64 s[4:5], -1
                                        ; implicit-def: $sgpr10
	s_and_saveexec_b64 s[8:9], s[12:13]
; %bb.2622:
	s_mov_b32 s10, 0x7f800001
	s_xor_b64 s[4:5], exec, -1
; %bb.2623:
	s_or_b64 exec, exec, s[8:9]
	s_and_b64 s[4:5], s[4:5], exec
	s_or_saveexec_b64 s[6:7], s[6:7]
	v_mov_b32_e32 v14, s10
	s_xor_b64 exec, exec, s[6:7]
	s_cbranch_execz .LBB56_574
.LBB56_2624:
	v_mov_b32_e32 v14, 0
	v_cmp_ne_u16_sdwa s[8:9], v11, v14 src0_sel:BYTE_3 src1_sel:DWORD
	s_andn2_b64 s[4:5], s[4:5], exec
	s_and_b64 s[8:9], s[8:9], exec
	s_or_b64 s[4:5], s[4:5], s[8:9]
	s_or_b64 exec, exec, s[6:7]
	s_and_saveexec_b64 s[6:7], s[4:5]
	s_cbranch_execnz .LBB56_575
	s_branch .LBB56_576
.LBB56_2625:
	s_movk_i32 s4, 0x80
	v_cmp_eq_u16_sdwa s[12:13], v16, s4 src0_sel:BYTE_0 src1_sel:DWORD
	s_mov_b64 s[4:5], -1
                                        ; implicit-def: $sgpr10
	s_and_saveexec_b64 s[8:9], s[12:13]
; %bb.2626:
	s_mov_b32 s10, 0x7f800001
	s_xor_b64 s[4:5], exec, -1
; %bb.2627:
	s_or_b64 exec, exec, s[8:9]
	s_and_b64 s[4:5], s[4:5], exec
	s_or_saveexec_b64 s[6:7], s[6:7]
	v_mov_b32_e32 v10, s10
	s_xor_b64 exec, exec, s[6:7]
	s_cbranch_execz .LBB56_578
.LBB56_2628:
	v_mov_b32_e32 v10, 0
	v_cmp_ne_u16_sdwa s[8:9], v16, v10 src0_sel:BYTE_0 src1_sel:DWORD
	s_andn2_b64 s[4:5], s[4:5], exec
	s_and_b64 s[8:9], s[8:9], exec
	s_or_b64 s[4:5], s[4:5], s[8:9]
	s_or_b64 exec, exec, s[6:7]
	s_and_saveexec_b64 s[6:7], s[4:5]
	s_cbranch_execnz .LBB56_579
	s_branch .LBB56_580
.LBB56_2629:
	s_movk_i32 s4, 0x80
	v_cmp_eq_u16_sdwa s[12:13], v12, s4 src0_sel:BYTE_0 src1_sel:DWORD
	s_mov_b64 s[4:5], -1
                                        ; implicit-def: $sgpr10
	s_and_saveexec_b64 s[8:9], s[12:13]
; %bb.2630:
	s_mov_b32 s10, 0x7f800001
	s_xor_b64 s[4:5], exec, -1
; %bb.2631:
	s_or_b64 exec, exec, s[8:9]
	s_and_b64 s[4:5], s[4:5], exec
	s_or_saveexec_b64 s[6:7], s[6:7]
	v_mov_b32_e32 v11, s10
	s_xor_b64 exec, exec, s[6:7]
	s_cbranch_execz .LBB56_582
.LBB56_2632:
	v_mov_b32_e32 v11, 0
	v_cmp_ne_u16_sdwa s[8:9], v12, v11 src0_sel:BYTE_0 src1_sel:DWORD
	s_andn2_b64 s[4:5], s[4:5], exec
	s_and_b64 s[8:9], s[8:9], exec
	s_or_b64 s[4:5], s[4:5], s[8:9]
	s_or_b64 exec, exec, s[6:7]
	s_and_saveexec_b64 s[6:7], s[4:5]
	s_cbranch_execnz .LBB56_583
	s_branch .LBB56_584
.LBB56_2633:
	s_movk_i32 s4, 0x80
	v_cmp_eq_u16_sdwa s[12:13], v11, s4 src0_sel:BYTE_0 src1_sel:DWORD
	s_mov_b64 s[4:5], -1
                                        ; implicit-def: $sgpr10
	s_and_saveexec_b64 s[8:9], s[12:13]
; %bb.2634:
	s_mov_b32 s10, 0x7f800001
	s_xor_b64 s[4:5], exec, -1
; %bb.2635:
	s_or_b64 exec, exec, s[8:9]
	s_and_b64 s[4:5], s[4:5], exec
	s_or_saveexec_b64 s[6:7], s[6:7]
	v_mov_b32_e32 v10, s10
	s_xor_b64 exec, exec, s[6:7]
	s_cbranch_execz .LBB56_586
.LBB56_2636:
	v_mov_b32_e32 v10, 0
	v_cmp_ne_u16_sdwa s[8:9], v11, v10 src0_sel:BYTE_0 src1_sel:DWORD
	s_andn2_b64 s[4:5], s[4:5], exec
	s_and_b64 s[8:9], s[8:9], exec
	s_or_b64 s[4:5], s[4:5], s[8:9]
	s_or_b64 exec, exec, s[6:7]
	s_and_saveexec_b64 s[6:7], s[4:5]
	s_cbranch_execnz .LBB56_587
	s_branch .LBB56_588
.LBB56_2637:
	s_movk_i32 s4, 0x80
	v_cmp_eq_u16_sdwa s[12:13], v11, s4 src0_sel:BYTE_0 src1_sel:DWORD
	s_mov_b64 s[4:5], -1
                                        ; implicit-def: $sgpr10
	s_and_saveexec_b64 s[8:9], s[12:13]
; %bb.2638:
	s_mov_b32 s10, 0x7f800001
	s_xor_b64 s[4:5], exec, -1
; %bb.2639:
	s_or_b64 exec, exec, s[8:9]
	s_and_b64 s[4:5], s[4:5], exec
	s_or_saveexec_b64 s[6:7], s[6:7]
	v_mov_b32_e32 v14, s10
	s_xor_b64 exec, exec, s[6:7]
	s_cbranch_execz .LBB56_590
.LBB56_2640:
	v_mov_b32_e32 v14, 0
	v_cmp_ne_u16_sdwa s[8:9], v11, v14 src0_sel:BYTE_0 src1_sel:DWORD
	s_andn2_b64 s[4:5], s[4:5], exec
	s_and_b64 s[8:9], s[8:9], exec
	s_or_b64 s[4:5], s[4:5], s[8:9]
	s_or_b64 exec, exec, s[6:7]
	s_and_saveexec_b64 s[6:7], s[4:5]
	s_cbranch_execnz .LBB56_591
	s_branch .LBB56_592
.LBB56_2641:
	s_movk_i32 s4, 0x80
	v_cmp_eq_u16_e32 vcc, s4, v11
	s_mov_b64 s[4:5], -1
                                        ; implicit-def: $sgpr10
	s_and_saveexec_b64 s[8:9], vcc
; %bb.2642:
	s_mov_b32 s10, 0x7f800001
	s_xor_b64 s[4:5], exec, -1
; %bb.2643:
	s_or_b64 exec, exec, s[8:9]
	s_and_b64 s[4:5], s[4:5], exec
                                        ; implicit-def: $vgpr11
	s_or_saveexec_b64 s[6:7], s[6:7]
	v_mov_b32_e32 v10, s10
	s_xor_b64 exec, exec, s[6:7]
	s_cbranch_execz .LBB56_594
.LBB56_2644:
	v_cmp_ne_u16_e32 vcc, 0, v11
	s_andn2_b64 s[4:5], s[4:5], exec
	s_and_b64 s[8:9], vcc, exec
	v_mov_b32_e32 v10, 0
	s_or_b64 s[4:5], s[4:5], s[8:9]
	s_or_b64 exec, exec, s[6:7]
	s_and_saveexec_b64 s[6:7], s[4:5]
	s_cbranch_execnz .LBB56_595
	s_branch .LBB56_596
.LBB56_2645:
	s_movk_i32 s4, 0x80
	v_cmp_eq_u16_e32 vcc, s4, v11
	s_mov_b64 s[4:5], -1
                                        ; implicit-def: $sgpr10
	s_and_saveexec_b64 s[8:9], vcc
; %bb.2646:
	s_mov_b32 s10, 0x7f800001
	s_xor_b64 s[4:5], exec, -1
; %bb.2647:
	s_or_b64 exec, exec, s[8:9]
	s_and_b64 s[4:5], s[4:5], exec
                                        ; implicit-def: $vgpr11
	s_or_saveexec_b64 s[6:7], s[6:7]
	v_mov_b32_e32 v14, s10
	s_xor_b64 exec, exec, s[6:7]
	s_cbranch_execz .LBB56_598
.LBB56_2648:
	v_cmp_ne_u16_e32 vcc, 0, v11
	s_andn2_b64 s[4:5], s[4:5], exec
	s_and_b64 s[8:9], vcc, exec
	v_mov_b32_e32 v14, 0
	s_or_b64 s[4:5], s[4:5], s[8:9]
	s_or_b64 exec, exec, s[6:7]
	s_and_saveexec_b64 s[6:7], s[4:5]
	s_cbranch_execnz .LBB56_599
	s_branch .LBB56_600
.LBB56_2649:
	s_movk_i32 s4, 0x80
	v_cmp_eq_u16_sdwa s[12:13], v16, s4 src0_sel:BYTE_3 src1_sel:DWORD
	s_mov_b64 s[4:5], -1
                                        ; implicit-def: $sgpr10
	s_and_saveexec_b64 s[8:9], s[12:13]
; %bb.2650:
	s_mov_b32 s10, 0x7f800001
	s_xor_b64 s[4:5], exec, -1
; %bb.2651:
	s_or_b64 exec, exec, s[8:9]
	s_and_b64 s[4:5], s[4:5], exec
	s_or_saveexec_b64 s[6:7], s[6:7]
	v_mov_b32_e32 v10, s10
	s_xor_b64 exec, exec, s[6:7]
	s_cbranch_execz .LBB56_602
.LBB56_2652:
	v_mov_b32_e32 v10, 0
	v_cmp_ne_u16_sdwa s[8:9], v16, v10 src0_sel:BYTE_3 src1_sel:DWORD
	s_andn2_b64 s[4:5], s[4:5], exec
	s_and_b64 s[8:9], s[8:9], exec
	s_or_b64 s[4:5], s[4:5], s[8:9]
	s_or_b64 exec, exec, s[6:7]
	s_and_saveexec_b64 s[6:7], s[4:5]
	s_cbranch_execnz .LBB56_603
	s_branch .LBB56_604
.LBB56_2653:
	s_movk_i32 s4, 0x80
	v_cmp_eq_u16_sdwa s[12:13], v12, s4 src0_sel:BYTE_3 src1_sel:DWORD
	s_mov_b64 s[4:5], -1
                                        ; implicit-def: $sgpr10
	s_and_saveexec_b64 s[8:9], s[12:13]
; %bb.2654:
	s_mov_b32 s10, 0x7f800001
	s_xor_b64 s[4:5], exec, -1
; %bb.2655:
	s_or_b64 exec, exec, s[8:9]
	s_and_b64 s[4:5], s[4:5], exec
	s_or_saveexec_b64 s[6:7], s[6:7]
	v_mov_b32_e32 v11, s10
	s_xor_b64 exec, exec, s[6:7]
	s_cbranch_execz .LBB56_606
.LBB56_2656:
	v_mov_b32_e32 v11, 0
	v_cmp_ne_u16_sdwa s[8:9], v12, v11 src0_sel:BYTE_3 src1_sel:DWORD
	s_andn2_b64 s[4:5], s[4:5], exec
	s_and_b64 s[8:9], s[8:9], exec
	s_or_b64 s[4:5], s[4:5], s[8:9]
	s_or_b64 exec, exec, s[6:7]
	s_and_saveexec_b64 s[6:7], s[4:5]
	s_cbranch_execnz .LBB56_607
	s_branch .LBB56_608
.LBB56_2657:
	s_movk_i32 s4, 0x80
	v_cmp_eq_u16_sdwa s[12:13], v17, s4 src0_sel:BYTE_0 src1_sel:DWORD
	s_mov_b64 s[4:5], -1
                                        ; implicit-def: $sgpr10
	s_and_saveexec_b64 s[8:9], s[12:13]
; %bb.2658:
	s_mov_b32 s10, 0x7f800001
	s_xor_b64 s[4:5], exec, -1
; %bb.2659:
	s_or_b64 exec, exec, s[8:9]
	s_and_b64 s[4:5], s[4:5], exec
	s_or_saveexec_b64 s[6:7], s[6:7]
	v_mov_b32_e32 v10, s10
	s_xor_b64 exec, exec, s[6:7]
	s_cbranch_execz .LBB56_610
.LBB56_2660:
	v_mov_b32_e32 v10, 0
	v_cmp_ne_u16_sdwa s[8:9], v17, v10 src0_sel:BYTE_0 src1_sel:DWORD
	s_andn2_b64 s[4:5], s[4:5], exec
	s_and_b64 s[8:9], s[8:9], exec
	s_or_b64 s[4:5], s[4:5], s[8:9]
	s_or_b64 exec, exec, s[6:7]
	s_and_saveexec_b64 s[6:7], s[4:5]
	s_cbranch_execnz .LBB56_611
	s_branch .LBB56_612
.LBB56_2661:
	s_movk_i32 s4, 0x80
	v_cmp_eq_u16_sdwa s[12:13], v13, s4 src0_sel:BYTE_0 src1_sel:DWORD
	s_mov_b64 s[4:5], -1
                                        ; implicit-def: $sgpr10
	s_and_saveexec_b64 s[8:9], s[12:13]
; %bb.2662:
	s_mov_b32 s10, 0x7f800001
	s_xor_b64 s[4:5], exec, -1
; %bb.2663:
	s_or_b64 exec, exec, s[8:9]
	s_and_b64 s[4:5], s[4:5], exec
	s_or_saveexec_b64 s[6:7], s[6:7]
	v_mov_b32_e32 v11, s10
	s_xor_b64 exec, exec, s[6:7]
	s_cbranch_execz .LBB56_614
.LBB56_2664:
	v_mov_b32_e32 v11, 0
	v_cmp_ne_u16_sdwa s[8:9], v13, v11 src0_sel:BYTE_0 src1_sel:DWORD
	s_andn2_b64 s[4:5], s[4:5], exec
	s_and_b64 s[8:9], s[8:9], exec
	s_or_b64 s[4:5], s[4:5], s[8:9]
	s_or_b64 exec, exec, s[6:7]
	s_and_saveexec_b64 s[6:7], s[4:5]
	s_cbranch_execnz .LBB56_615
	s_branch .LBB56_616
.LBB56_2665:
	s_movk_i32 s4, 0x80
	v_cmp_eq_u16_sdwa s[12:13], v11, s4 src0_sel:BYTE_0 src1_sel:DWORD
	s_mov_b64 s[4:5], -1
                                        ; implicit-def: $sgpr10
	s_and_saveexec_b64 s[8:9], s[12:13]
; %bb.2666:
	s_mov_b32 s10, 0x7f800001
	s_xor_b64 s[4:5], exec, -1
; %bb.2667:
	s_or_b64 exec, exec, s[8:9]
	s_and_b64 s[4:5], s[4:5], exec
	s_or_saveexec_b64 s[6:7], s[6:7]
	v_mov_b32_e32 v10, s10
	s_xor_b64 exec, exec, s[6:7]
	s_cbranch_execz .LBB56_618
.LBB56_2668:
	v_mov_b32_e32 v10, 0
	v_cmp_ne_u16_sdwa s[8:9], v11, v10 src0_sel:BYTE_0 src1_sel:DWORD
	s_andn2_b64 s[4:5], s[4:5], exec
	s_and_b64 s[8:9], s[8:9], exec
	s_or_b64 s[4:5], s[4:5], s[8:9]
	s_or_b64 exec, exec, s[6:7]
	s_and_saveexec_b64 s[6:7], s[4:5]
	s_cbranch_execnz .LBB56_619
	s_branch .LBB56_620
.LBB56_2669:
	s_movk_i32 s4, 0x80
	v_cmp_eq_u16_sdwa s[12:13], v11, s4 src0_sel:BYTE_0 src1_sel:DWORD
	s_mov_b64 s[4:5], -1
                                        ; implicit-def: $sgpr10
	s_and_saveexec_b64 s[8:9], s[12:13]
; %bb.2670:
	s_mov_b32 s10, 0x7f800001
	s_xor_b64 s[4:5], exec, -1
; %bb.2671:
	s_or_b64 exec, exec, s[8:9]
	s_and_b64 s[4:5], s[4:5], exec
	s_or_saveexec_b64 s[6:7], s[6:7]
	v_mov_b32_e32 v12, s10
	s_xor_b64 exec, exec, s[6:7]
	s_cbranch_execz .LBB56_622
.LBB56_2672:
	v_mov_b32_e32 v12, 0
	v_cmp_ne_u16_sdwa s[8:9], v11, v12 src0_sel:BYTE_0 src1_sel:DWORD
	s_andn2_b64 s[4:5], s[4:5], exec
	s_and_b64 s[8:9], s[8:9], exec
	s_or_b64 s[4:5], s[4:5], s[8:9]
	s_or_b64 exec, exec, s[6:7]
	s_and_saveexec_b64 s[6:7], s[4:5]
	s_cbranch_execnz .LBB56_623
	s_branch .LBB56_624
.LBB56_2673:
	s_movk_i32 s4, 0x80
	v_cmp_eq_u16_e32 vcc, s4, v11
	s_mov_b64 s[4:5], -1
                                        ; implicit-def: $sgpr10
	s_and_saveexec_b64 s[8:9], vcc
; %bb.2674:
	s_mov_b32 s10, 0x7f800001
	s_xor_b64 s[4:5], exec, -1
; %bb.2675:
	s_or_b64 exec, exec, s[8:9]
	s_and_b64 s[4:5], s[4:5], exec
                                        ; implicit-def: $vgpr11
	s_or_saveexec_b64 s[6:7], s[6:7]
	v_mov_b32_e32 v10, s10
	s_xor_b64 exec, exec, s[6:7]
	s_cbranch_execz .LBB56_626
.LBB56_2676:
	v_cmp_ne_u16_e32 vcc, 0, v11
	s_andn2_b64 s[4:5], s[4:5], exec
	s_and_b64 s[8:9], vcc, exec
	v_mov_b32_e32 v10, 0
	s_or_b64 s[4:5], s[4:5], s[8:9]
	s_or_b64 exec, exec, s[6:7]
	s_and_saveexec_b64 s[6:7], s[4:5]
	s_cbranch_execnz .LBB56_627
	s_branch .LBB56_628
.LBB56_2677:
	s_movk_i32 s4, 0x80
	v_cmp_eq_u16_e32 vcc, s4, v11
	s_mov_b64 s[4:5], -1
                                        ; implicit-def: $sgpr10
	s_and_saveexec_b64 s[8:9], vcc
; %bb.2678:
	s_mov_b32 s10, 0x7f800001
	s_xor_b64 s[4:5], exec, -1
; %bb.2679:
	s_or_b64 exec, exec, s[8:9]
	s_and_b64 s[4:5], s[4:5], exec
                                        ; implicit-def: $vgpr11
	s_or_saveexec_b64 s[6:7], s[6:7]
	v_mov_b32_e32 v12, s10
	s_xor_b64 exec, exec, s[6:7]
	s_cbranch_execz .LBB56_630
.LBB56_2680:
	v_cmp_ne_u16_e32 vcc, 0, v11
	s_andn2_b64 s[4:5], s[4:5], exec
	s_and_b64 s[8:9], vcc, exec
	v_mov_b32_e32 v12, 0
	s_or_b64 s[4:5], s[4:5], s[8:9]
	s_or_b64 exec, exec, s[6:7]
	s_and_saveexec_b64 s[6:7], s[4:5]
	s_cbranch_execnz .LBB56_631
	s_branch .LBB56_632
.LBB56_2681:
	s_movk_i32 s4, 0x80
	v_cmp_eq_u16_sdwa s[12:13], v17, s4 src0_sel:BYTE_3 src1_sel:DWORD
	s_mov_b64 s[4:5], -1
                                        ; implicit-def: $sgpr10
	s_and_saveexec_b64 s[8:9], s[12:13]
; %bb.2682:
	s_mov_b32 s10, 0x7f800001
	s_xor_b64 s[4:5], exec, -1
; %bb.2683:
	s_or_b64 exec, exec, s[8:9]
	s_and_b64 s[4:5], s[4:5], exec
	s_or_saveexec_b64 s[6:7], s[6:7]
	v_mov_b32_e32 v10, s10
	s_xor_b64 exec, exec, s[6:7]
	s_cbranch_execz .LBB56_634
.LBB56_2684:
	v_mov_b32_e32 v10, 0
	v_cmp_ne_u16_sdwa s[8:9], v17, v10 src0_sel:BYTE_3 src1_sel:DWORD
	s_andn2_b64 s[4:5], s[4:5], exec
	s_and_b64 s[8:9], s[8:9], exec
	s_or_b64 s[4:5], s[4:5], s[8:9]
	s_or_b64 exec, exec, s[6:7]
	s_and_saveexec_b64 s[6:7], s[4:5]
	s_cbranch_execnz .LBB56_635
	s_branch .LBB56_636
.LBB56_2685:
	s_movk_i32 s4, 0x80
	v_cmp_eq_u16_sdwa s[12:13], v13, s4 src0_sel:BYTE_3 src1_sel:DWORD
	s_mov_b64 s[4:5], -1
                                        ; implicit-def: $sgpr10
	s_and_saveexec_b64 s[8:9], s[12:13]
; %bb.2686:
	s_mov_b32 s10, 0x7f800001
	s_xor_b64 s[4:5], exec, -1
; %bb.2687:
	s_or_b64 exec, exec, s[8:9]
	s_and_b64 s[4:5], s[4:5], exec
	s_or_saveexec_b64 s[6:7], s[6:7]
	v_mov_b32_e32 v11, s10
	s_xor_b64 exec, exec, s[6:7]
	s_cbranch_execz .LBB56_638
.LBB56_2688:
	v_mov_b32_e32 v11, 0
	v_cmp_ne_u16_sdwa s[8:9], v13, v11 src0_sel:BYTE_3 src1_sel:DWORD
	s_andn2_b64 s[4:5], s[4:5], exec
	s_and_b64 s[8:9], s[8:9], exec
	s_or_b64 s[4:5], s[4:5], s[8:9]
	s_or_b64 exec, exec, s[6:7]
	s_and_saveexec_b64 s[6:7], s[4:5]
	s_cbranch_execnz .LBB56_639
	s_branch .LBB56_640
.LBB56_2689:
	s_movk_i32 s4, 0x80
	v_cmp_eq_u16_sdwa s[12:13], v6, s4 src0_sel:BYTE_0 src1_sel:DWORD
	s_mov_b64 s[4:5], -1
                                        ; implicit-def: $sgpr10
	s_and_saveexec_b64 s[8:9], s[12:13]
; %bb.2690:
	s_mov_b32 s10, 0x7f800001
	s_xor_b64 s[4:5], exec, -1
; %bb.2691:
	s_or_b64 exec, exec, s[8:9]
	s_and_b64 s[4:5], s[4:5], exec
	s_or_saveexec_b64 s[6:7], s[6:7]
	v_mov_b32_e32 v10, s10
	s_xor_b64 exec, exec, s[6:7]
	s_cbranch_execz .LBB56_642
.LBB56_2692:
	v_mov_b32_e32 v10, 0
	v_cmp_ne_u16_sdwa s[8:9], v6, v10 src0_sel:BYTE_0 src1_sel:DWORD
	s_andn2_b64 s[4:5], s[4:5], exec
	s_and_b64 s[8:9], s[8:9], exec
	s_or_b64 s[4:5], s[4:5], s[8:9]
	s_or_b64 exec, exec, s[6:7]
	s_and_saveexec_b64 s[6:7], s[4:5]
	s_cbranch_execnz .LBB56_643
	s_branch .LBB56_644
.LBB56_2693:
	s_movk_i32 s4, 0x80
	v_cmp_eq_u16_sdwa s[12:13], v2, s4 src0_sel:BYTE_0 src1_sel:DWORD
	s_mov_b64 s[4:5], -1
                                        ; implicit-def: $sgpr10
	s_and_saveexec_b64 s[8:9], s[12:13]
; %bb.2694:
	s_mov_b32 s10, 0x7f800001
	s_xor_b64 s[4:5], exec, -1
; %bb.2695:
	s_or_b64 exec, exec, s[8:9]
	s_and_b64 s[4:5], s[4:5], exec
	s_or_saveexec_b64 s[6:7], s[6:7]
	v_mov_b32_e32 v11, s10
	s_xor_b64 exec, exec, s[6:7]
	s_cbranch_execz .LBB56_646
.LBB56_2696:
	v_mov_b32_e32 v11, 0
	v_cmp_ne_u16_sdwa s[8:9], v2, v11 src0_sel:BYTE_0 src1_sel:DWORD
	s_andn2_b64 s[4:5], s[4:5], exec
	s_and_b64 s[8:9], s[8:9], exec
	s_or_b64 s[4:5], s[4:5], s[8:9]
	s_or_b64 exec, exec, s[6:7]
	s_and_saveexec_b64 s[6:7], s[4:5]
	s_cbranch_execnz .LBB56_647
	s_branch .LBB56_648
.LBB56_2697:
	s_movk_i32 s4, 0x80
	v_cmp_eq_u16_sdwa s[12:13], v11, s4 src0_sel:BYTE_0 src1_sel:DWORD
	s_mov_b64 s[4:5], -1
                                        ; implicit-def: $sgpr10
	s_and_saveexec_b64 s[8:9], s[12:13]
; %bb.2698:
	s_mov_b32 s10, 0x7f800001
	s_xor_b64 s[4:5], exec, -1
; %bb.2699:
	s_or_b64 exec, exec, s[8:9]
	s_and_b64 s[4:5], s[4:5], exec
	s_or_saveexec_b64 s[6:7], s[6:7]
	v_mov_b32_e32 v10, s10
	s_xor_b64 exec, exec, s[6:7]
	s_cbranch_execz .LBB56_650
.LBB56_2700:
	v_mov_b32_e32 v10, 0
	v_cmp_ne_u16_sdwa s[8:9], v11, v10 src0_sel:BYTE_0 src1_sel:DWORD
	s_andn2_b64 s[4:5], s[4:5], exec
	s_and_b64 s[8:9], s[8:9], exec
	s_or_b64 s[4:5], s[4:5], s[8:9]
	s_or_b64 exec, exec, s[6:7]
	s_and_saveexec_b64 s[6:7], s[4:5]
	s_cbranch_execnz .LBB56_651
	s_branch .LBB56_652
.LBB56_2701:
	s_movk_i32 s4, 0x80
	v_cmp_eq_u16_sdwa s[12:13], v11, s4 src0_sel:BYTE_0 src1_sel:DWORD
	s_mov_b64 s[4:5], -1
                                        ; implicit-def: $sgpr10
	s_and_saveexec_b64 s[8:9], s[12:13]
; %bb.2702:
	s_mov_b32 s10, 0x7f800001
	s_xor_b64 s[4:5], exec, -1
; %bb.2703:
	s_or_b64 exec, exec, s[8:9]
	s_and_b64 s[4:5], s[4:5], exec
	s_or_saveexec_b64 s[6:7], s[6:7]
	v_mov_b32_e32 v12, s10
	s_xor_b64 exec, exec, s[6:7]
	s_cbranch_execz .LBB56_654
.LBB56_2704:
	v_mov_b32_e32 v12, 0
	v_cmp_ne_u16_sdwa s[8:9], v11, v12 src0_sel:BYTE_0 src1_sel:DWORD
	s_andn2_b64 s[4:5], s[4:5], exec
	s_and_b64 s[8:9], s[8:9], exec
	s_or_b64 s[4:5], s[4:5], s[8:9]
	s_or_b64 exec, exec, s[6:7]
	s_and_saveexec_b64 s[6:7], s[4:5]
	s_cbranch_execnz .LBB56_655
	s_branch .LBB56_656
.LBB56_2705:
	s_movk_i32 s4, 0x80
	v_cmp_eq_u16_e32 vcc, s4, v11
	s_mov_b64 s[4:5], -1
                                        ; implicit-def: $sgpr10
	s_and_saveexec_b64 s[8:9], vcc
; %bb.2706:
	s_mov_b32 s10, 0x7f800001
	s_xor_b64 s[4:5], exec, -1
; %bb.2707:
	s_or_b64 exec, exec, s[8:9]
	s_and_b64 s[4:5], s[4:5], exec
                                        ; implicit-def: $vgpr11
	s_or_saveexec_b64 s[6:7], s[6:7]
	v_mov_b32_e32 v10, s10
	s_xor_b64 exec, exec, s[6:7]
	s_cbranch_execz .LBB56_658
.LBB56_2708:
	v_cmp_ne_u16_e32 vcc, 0, v11
	s_andn2_b64 s[4:5], s[4:5], exec
	s_and_b64 s[8:9], vcc, exec
	v_mov_b32_e32 v10, 0
	s_or_b64 s[4:5], s[4:5], s[8:9]
	s_or_b64 exec, exec, s[6:7]
	s_and_saveexec_b64 s[6:7], s[4:5]
	s_cbranch_execnz .LBB56_659
	s_branch .LBB56_660
.LBB56_2709:
	s_movk_i32 s4, 0x80
	v_cmp_eq_u16_e32 vcc, s4, v11
	s_mov_b64 s[4:5], -1
                                        ; implicit-def: $sgpr10
	s_and_saveexec_b64 s[8:9], vcc
; %bb.2710:
	s_mov_b32 s10, 0x7f800001
	s_xor_b64 s[4:5], exec, -1
; %bb.2711:
	s_or_b64 exec, exec, s[8:9]
	s_and_b64 s[4:5], s[4:5], exec
                                        ; implicit-def: $vgpr11
	s_or_saveexec_b64 s[6:7], s[6:7]
	v_mov_b32_e32 v12, s10
	s_xor_b64 exec, exec, s[6:7]
	s_cbranch_execz .LBB56_662
.LBB56_2712:
	v_cmp_ne_u16_e32 vcc, 0, v11
	s_andn2_b64 s[4:5], s[4:5], exec
	s_and_b64 s[8:9], vcc, exec
	v_mov_b32_e32 v12, 0
	s_or_b64 s[4:5], s[4:5], s[8:9]
	s_or_b64 exec, exec, s[6:7]
	s_and_saveexec_b64 s[6:7], s[4:5]
	s_cbranch_execnz .LBB56_663
	s_branch .LBB56_664
.LBB56_2713:
	s_movk_i32 s4, 0x80
	v_cmp_eq_u16_sdwa s[12:13], v6, s4 src0_sel:BYTE_3 src1_sel:DWORD
	s_mov_b64 s[4:5], -1
                                        ; implicit-def: $sgpr10
	s_and_saveexec_b64 s[8:9], s[12:13]
; %bb.2714:
	s_mov_b32 s10, 0x7f800001
	s_xor_b64 s[4:5], exec, -1
; %bb.2715:
	s_or_b64 exec, exec, s[8:9]
	s_and_b64 s[4:5], s[4:5], exec
	s_or_saveexec_b64 s[6:7], s[6:7]
	v_mov_b32_e32 v10, s10
	s_xor_b64 exec, exec, s[6:7]
	s_cbranch_execz .LBB56_666
.LBB56_2716:
	v_mov_b32_e32 v10, 0
	v_cmp_ne_u16_sdwa s[8:9], v6, v10 src0_sel:BYTE_3 src1_sel:DWORD
	s_andn2_b64 s[4:5], s[4:5], exec
	s_and_b64 s[8:9], s[8:9], exec
	s_or_b64 s[4:5], s[4:5], s[8:9]
	s_or_b64 exec, exec, s[6:7]
	s_and_saveexec_b64 s[6:7], s[4:5]
	s_cbranch_execnz .LBB56_667
	s_branch .LBB56_668
.LBB56_2717:
	s_movk_i32 s4, 0x80
	v_cmp_eq_u16_sdwa s[12:13], v2, s4 src0_sel:BYTE_3 src1_sel:DWORD
	s_mov_b64 s[4:5], -1
                                        ; implicit-def: $sgpr10
	s_and_saveexec_b64 s[8:9], s[12:13]
; %bb.2718:
	s_mov_b32 s10, 0x7f800001
	s_xor_b64 s[4:5], exec, -1
; %bb.2719:
	s_or_b64 exec, exec, s[8:9]
	s_and_b64 s[4:5], s[4:5], exec
	s_or_saveexec_b64 s[6:7], s[6:7]
	v_mov_b32_e32 v6, s10
	s_xor_b64 exec, exec, s[6:7]
	s_cbranch_execz .LBB56_670
.LBB56_2720:
	v_mov_b32_e32 v6, 0
	v_cmp_ne_u16_sdwa s[8:9], v2, v6 src0_sel:BYTE_3 src1_sel:DWORD
	s_andn2_b64 s[4:5], s[4:5], exec
	s_and_b64 s[8:9], s[8:9], exec
	s_or_b64 s[4:5], s[4:5], s[8:9]
	s_or_b64 exec, exec, s[6:7]
	s_and_saveexec_b64 s[6:7], s[4:5]
	s_cbranch_execnz .LBB56_671
	s_branch .LBB56_672
.LBB56_2721:
	s_movk_i32 s4, 0x80
	v_cmp_eq_u16_sdwa s[12:13], v7, s4 src0_sel:BYTE_0 src1_sel:DWORD
	s_mov_b64 s[4:5], -1
                                        ; implicit-def: $sgpr10
	s_and_saveexec_b64 s[8:9], s[12:13]
; %bb.2722:
	s_mov_b32 s10, 0x7f800001
	s_xor_b64 s[4:5], exec, -1
; %bb.2723:
	s_or_b64 exec, exec, s[8:9]
	s_and_b64 s[4:5], s[4:5], exec
	s_or_saveexec_b64 s[6:7], s[6:7]
	v_mov_b32_e32 v2, s10
	s_xor_b64 exec, exec, s[6:7]
	s_cbranch_execz .LBB56_674
.LBB56_2724:
	v_mov_b32_e32 v2, 0
	v_cmp_ne_u16_sdwa s[8:9], v7, v2 src0_sel:BYTE_0 src1_sel:DWORD
	s_andn2_b64 s[4:5], s[4:5], exec
	s_and_b64 s[8:9], s[8:9], exec
	s_or_b64 s[4:5], s[4:5], s[8:9]
	s_or_b64 exec, exec, s[6:7]
	s_and_saveexec_b64 s[6:7], s[4:5]
	s_cbranch_execnz .LBB56_675
	s_branch .LBB56_676
.LBB56_2725:
	s_movk_i32 s4, 0x80
	v_cmp_eq_u16_sdwa s[12:13], v3, s4 src0_sel:BYTE_0 src1_sel:DWORD
	s_mov_b64 s[4:5], -1
                                        ; implicit-def: $sgpr10
	s_and_saveexec_b64 s[8:9], s[12:13]
; %bb.2726:
	s_mov_b32 s10, 0x7f800001
	s_xor_b64 s[4:5], exec, -1
; %bb.2727:
	s_or_b64 exec, exec, s[8:9]
	s_and_b64 s[4:5], s[4:5], exec
	s_or_saveexec_b64 s[6:7], s[6:7]
	v_mov_b32_e32 v6, s10
	s_xor_b64 exec, exec, s[6:7]
	s_cbranch_execz .LBB56_678
.LBB56_2728:
	v_mov_b32_e32 v6, 0
	v_cmp_ne_u16_sdwa s[8:9], v3, v6 src0_sel:BYTE_0 src1_sel:DWORD
	s_andn2_b64 s[4:5], s[4:5], exec
	s_and_b64 s[8:9], s[8:9], exec
	s_or_b64 s[4:5], s[4:5], s[8:9]
	s_or_b64 exec, exec, s[6:7]
	s_and_saveexec_b64 s[6:7], s[4:5]
	s_cbranch_execnz .LBB56_679
	s_branch .LBB56_680
.LBB56_2729:
	s_movk_i32 s4, 0x80
	v_cmp_eq_u16_sdwa s[12:13], v6, s4 src0_sel:BYTE_0 src1_sel:DWORD
	s_mov_b64 s[4:5], -1
                                        ; implicit-def: $sgpr10
	s_and_saveexec_b64 s[8:9], s[12:13]
; %bb.2730:
	s_mov_b32 s10, 0x7f800001
	s_xor_b64 s[4:5], exec, -1
; %bb.2731:
	s_or_b64 exec, exec, s[8:9]
	s_and_b64 s[4:5], s[4:5], exec
	s_or_saveexec_b64 s[6:7], s[6:7]
	v_mov_b32_e32 v2, s10
	s_xor_b64 exec, exec, s[6:7]
	s_cbranch_execz .LBB56_682
.LBB56_2732:
	v_mov_b32_e32 v2, 0
	v_cmp_ne_u16_sdwa s[8:9], v6, v2 src0_sel:BYTE_0 src1_sel:DWORD
	s_andn2_b64 s[4:5], s[4:5], exec
	s_and_b64 s[8:9], s[8:9], exec
	s_or_b64 s[4:5], s[4:5], s[8:9]
	s_or_b64 exec, exec, s[6:7]
	s_and_saveexec_b64 s[6:7], s[4:5]
	s_cbranch_execnz .LBB56_683
	s_branch .LBB56_684
.LBB56_2733:
	s_movk_i32 s4, 0x80
	v_cmp_eq_u16_sdwa s[12:13], v6, s4 src0_sel:BYTE_0 src1_sel:DWORD
	s_mov_b64 s[4:5], -1
                                        ; implicit-def: $sgpr10
	s_and_saveexec_b64 s[8:9], s[12:13]
; %bb.2734:
	s_mov_b32 s10, 0x7f800001
	s_xor_b64 s[4:5], exec, -1
; %bb.2735:
	s_or_b64 exec, exec, s[8:9]
	s_and_b64 s[4:5], s[4:5], exec
	s_or_saveexec_b64 s[6:7], s[6:7]
	v_mov_b32_e32 v10, s10
	s_xor_b64 exec, exec, s[6:7]
	s_cbranch_execz .LBB56_686
.LBB56_2736:
	v_mov_b32_e32 v10, 0
	v_cmp_ne_u16_sdwa s[8:9], v6, v10 src0_sel:BYTE_0 src1_sel:DWORD
	s_andn2_b64 s[4:5], s[4:5], exec
	s_and_b64 s[8:9], s[8:9], exec
	s_or_b64 s[4:5], s[4:5], s[8:9]
	s_or_b64 exec, exec, s[6:7]
	s_and_saveexec_b64 s[6:7], s[4:5]
	s_cbranch_execnz .LBB56_687
	s_branch .LBB56_688
.LBB56_2737:
	s_movk_i32 s4, 0x80
	v_cmp_eq_u16_e32 vcc, s4, v6
	s_mov_b64 s[4:5], -1
                                        ; implicit-def: $sgpr10
	s_and_saveexec_b64 s[8:9], vcc
; %bb.2738:
	s_mov_b32 s10, 0x7f800001
	s_xor_b64 s[4:5], exec, -1
; %bb.2739:
	s_or_b64 exec, exec, s[8:9]
	s_and_b64 s[4:5], s[4:5], exec
                                        ; implicit-def: $vgpr6
	s_or_saveexec_b64 s[6:7], s[6:7]
	v_mov_b32_e32 v2, s10
	s_xor_b64 exec, exec, s[6:7]
	s_cbranch_execz .LBB56_690
.LBB56_2740:
	v_cmp_ne_u16_e32 vcc, 0, v6
	s_andn2_b64 s[4:5], s[4:5], exec
	s_and_b64 s[8:9], vcc, exec
	v_mov_b32_e32 v2, 0
	s_or_b64 s[4:5], s[4:5], s[8:9]
	s_or_b64 exec, exec, s[6:7]
	s_and_saveexec_b64 s[6:7], s[4:5]
	s_cbranch_execnz .LBB56_691
	s_branch .LBB56_692
.LBB56_2741:
	s_movk_i32 s4, 0x80
	v_cmp_eq_u16_e32 vcc, s4, v6
	s_mov_b64 s[4:5], -1
                                        ; implicit-def: $sgpr10
	s_and_saveexec_b64 s[8:9], vcc
; %bb.2742:
	s_mov_b32 s10, 0x7f800001
	s_xor_b64 s[4:5], exec, -1
; %bb.2743:
	s_or_b64 exec, exec, s[8:9]
	s_and_b64 s[4:5], s[4:5], exec
                                        ; implicit-def: $vgpr6
	s_or_saveexec_b64 s[6:7], s[6:7]
	v_mov_b32_e32 v10, s10
	s_xor_b64 exec, exec, s[6:7]
	s_cbranch_execz .LBB56_694
.LBB56_2744:
	v_cmp_ne_u16_e32 vcc, 0, v6
	s_andn2_b64 s[4:5], s[4:5], exec
	s_and_b64 s[8:9], vcc, exec
	v_mov_b32_e32 v10, 0
	s_or_b64 s[4:5], s[4:5], s[8:9]
	s_or_b64 exec, exec, s[6:7]
	s_and_saveexec_b64 s[6:7], s[4:5]
	s_cbranch_execnz .LBB56_695
	s_branch .LBB56_696
.LBB56_2745:
	s_movk_i32 s4, 0x80
	v_cmp_eq_u16_sdwa s[12:13], v7, s4 src0_sel:BYTE_3 src1_sel:DWORD
	s_mov_b64 s[4:5], -1
                                        ; implicit-def: $sgpr10
	s_and_saveexec_b64 s[8:9], s[12:13]
; %bb.2746:
	s_mov_b32 s10, 0x7f800001
	s_xor_b64 s[4:5], exec, -1
; %bb.2747:
	s_or_b64 exec, exec, s[8:9]
	s_and_b64 s[4:5], s[4:5], exec
	s_or_saveexec_b64 s[6:7], s[6:7]
	v_mov_b32_e32 v2, s10
	s_xor_b64 exec, exec, s[6:7]
	s_cbranch_execz .LBB56_698
.LBB56_2748:
	v_mov_b32_e32 v2, 0
	v_cmp_ne_u16_sdwa s[8:9], v7, v2 src0_sel:BYTE_3 src1_sel:DWORD
	s_andn2_b64 s[4:5], s[4:5], exec
	s_and_b64 s[8:9], s[8:9], exec
	s_or_b64 s[4:5], s[4:5], s[8:9]
	s_or_b64 exec, exec, s[6:7]
	s_and_saveexec_b64 s[6:7], s[4:5]
	s_cbranch_execnz .LBB56_699
	s_branch .LBB56_700
.LBB56_2749:
	s_movk_i32 s4, 0x80
	v_cmp_eq_u16_sdwa s[12:13], v3, s4 src0_sel:BYTE_3 src1_sel:DWORD
	s_mov_b64 s[4:5], -1
                                        ; implicit-def: $sgpr10
	s_and_saveexec_b64 s[8:9], s[12:13]
; %bb.2750:
	s_mov_b32 s10, 0x7f800001
	s_xor_b64 s[4:5], exec, -1
; %bb.2751:
	s_or_b64 exec, exec, s[8:9]
	s_and_b64 s[4:5], s[4:5], exec
	s_or_saveexec_b64 s[6:7], s[6:7]
	v_mov_b32_e32 v6, s10
	s_xor_b64 exec, exec, s[6:7]
	s_cbranch_execz .LBB56_702
.LBB56_2752:
	v_mov_b32_e32 v6, 0
	v_cmp_ne_u16_sdwa s[8:9], v3, v6 src0_sel:BYTE_3 src1_sel:DWORD
	s_andn2_b64 s[4:5], s[4:5], exec
	s_and_b64 s[8:9], s[8:9], exec
	s_or_b64 s[4:5], s[4:5], s[8:9]
	s_or_b64 exec, exec, s[6:7]
	s_and_saveexec_b64 s[6:7], s[4:5]
	s_cbranch_execnz .LBB56_703
	s_branch .LBB56_704
.LBB56_2753:
	s_movk_i32 s4, 0x80
	v_cmp_eq_u16_sdwa s[12:13], v8, s4 src0_sel:BYTE_0 src1_sel:DWORD
	s_mov_b64 s[4:5], -1
                                        ; implicit-def: $sgpr10
	s_and_saveexec_b64 s[8:9], s[12:13]
; %bb.2754:
	s_mov_b32 s10, 0x7f800001
	s_xor_b64 s[4:5], exec, -1
; %bb.2755:
	s_or_b64 exec, exec, s[8:9]
	s_and_b64 s[4:5], s[4:5], exec
	s_or_saveexec_b64 s[6:7], s[6:7]
	v_mov_b32_e32 v2, s10
	s_xor_b64 exec, exec, s[6:7]
	s_cbranch_execz .LBB56_706
.LBB56_2756:
	v_mov_b32_e32 v2, 0
	v_cmp_ne_u16_sdwa s[8:9], v8, v2 src0_sel:BYTE_0 src1_sel:DWORD
	s_andn2_b64 s[4:5], s[4:5], exec
	s_and_b64 s[8:9], s[8:9], exec
	s_or_b64 s[4:5], s[4:5], s[8:9]
	s_or_b64 exec, exec, s[6:7]
	s_and_saveexec_b64 s[6:7], s[4:5]
	s_cbranch_execnz .LBB56_707
	s_branch .LBB56_708
.LBB56_2757:
	s_movk_i32 s4, 0x80
	v_cmp_eq_u16_sdwa s[12:13], v4, s4 src0_sel:BYTE_0 src1_sel:DWORD
	s_mov_b64 s[4:5], -1
                                        ; implicit-def: $sgpr10
	s_and_saveexec_b64 s[8:9], s[12:13]
; %bb.2758:
	s_mov_b32 s10, 0x7f800001
	s_xor_b64 s[4:5], exec, -1
; %bb.2759:
	s_or_b64 exec, exec, s[8:9]
	s_and_b64 s[4:5], s[4:5], exec
	s_or_saveexec_b64 s[6:7], s[6:7]
	v_mov_b32_e32 v3, s10
	s_xor_b64 exec, exec, s[6:7]
	s_cbranch_execz .LBB56_710
.LBB56_2760:
	v_mov_b32_e32 v3, 0
	v_cmp_ne_u16_sdwa s[8:9], v4, v3 src0_sel:BYTE_0 src1_sel:DWORD
	s_andn2_b64 s[4:5], s[4:5], exec
	s_and_b64 s[8:9], s[8:9], exec
	s_or_b64 s[4:5], s[4:5], s[8:9]
	s_or_b64 exec, exec, s[6:7]
	s_and_saveexec_b64 s[6:7], s[4:5]
	s_cbranch_execnz .LBB56_711
	s_branch .LBB56_712
.LBB56_2761:
	s_movk_i32 s4, 0x80
	v_cmp_eq_u16_sdwa s[12:13], v3, s4 src0_sel:BYTE_0 src1_sel:DWORD
	s_mov_b64 s[4:5], -1
                                        ; implicit-def: $sgpr10
	s_and_saveexec_b64 s[8:9], s[12:13]
; %bb.2762:
	s_mov_b32 s10, 0x7f800001
	s_xor_b64 s[4:5], exec, -1
; %bb.2763:
	s_or_b64 exec, exec, s[8:9]
	s_and_b64 s[4:5], s[4:5], exec
	s_or_saveexec_b64 s[6:7], s[6:7]
	v_mov_b32_e32 v2, s10
	s_xor_b64 exec, exec, s[6:7]
	s_cbranch_execz .LBB56_714
.LBB56_2764:
	v_mov_b32_e32 v2, 0
	v_cmp_ne_u16_sdwa s[8:9], v3, v2 src0_sel:BYTE_0 src1_sel:DWORD
	s_andn2_b64 s[4:5], s[4:5], exec
	s_and_b64 s[8:9], s[8:9], exec
	s_or_b64 s[4:5], s[4:5], s[8:9]
	s_or_b64 exec, exec, s[6:7]
	s_and_saveexec_b64 s[6:7], s[4:5]
	s_cbranch_execnz .LBB56_715
	s_branch .LBB56_716
.LBB56_2765:
	s_movk_i32 s4, 0x80
	v_cmp_eq_u16_sdwa s[12:13], v3, s4 src0_sel:BYTE_0 src1_sel:DWORD
	s_mov_b64 s[4:5], -1
                                        ; implicit-def: $sgpr10
	s_and_saveexec_b64 s[8:9], s[12:13]
; %bb.2766:
	s_mov_b32 s10, 0x7f800001
	s_xor_b64 s[4:5], exec, -1
; %bb.2767:
	s_or_b64 exec, exec, s[8:9]
	s_and_b64 s[4:5], s[4:5], exec
	s_or_saveexec_b64 s[6:7], s[6:7]
	v_mov_b32_e32 v6, s10
	s_xor_b64 exec, exec, s[6:7]
	s_cbranch_execz .LBB56_718
.LBB56_2768:
	v_mov_b32_e32 v6, 0
	v_cmp_ne_u16_sdwa s[8:9], v3, v6 src0_sel:BYTE_0 src1_sel:DWORD
	s_andn2_b64 s[4:5], s[4:5], exec
	s_and_b64 s[8:9], s[8:9], exec
	s_or_b64 s[4:5], s[4:5], s[8:9]
	s_or_b64 exec, exec, s[6:7]
	s_and_saveexec_b64 s[6:7], s[4:5]
	s_cbranch_execnz .LBB56_719
	s_branch .LBB56_720
.LBB56_2769:
	s_movk_i32 s4, 0x80
	v_cmp_eq_u16_e32 vcc, s4, v3
	s_mov_b64 s[4:5], -1
                                        ; implicit-def: $sgpr10
	s_and_saveexec_b64 s[8:9], vcc
; %bb.2770:
	s_mov_b32 s10, 0x7f800001
	s_xor_b64 s[4:5], exec, -1
; %bb.2771:
	s_or_b64 exec, exec, s[8:9]
	s_and_b64 s[4:5], s[4:5], exec
                                        ; implicit-def: $vgpr3
	s_or_saveexec_b64 s[6:7], s[6:7]
	v_mov_b32_e32 v2, s10
	s_xor_b64 exec, exec, s[6:7]
	s_cbranch_execz .LBB56_722
.LBB56_2772:
	v_cmp_ne_u16_e32 vcc, 0, v3
	s_andn2_b64 s[4:5], s[4:5], exec
	s_and_b64 s[8:9], vcc, exec
	v_mov_b32_e32 v2, 0
	s_or_b64 s[4:5], s[4:5], s[8:9]
	s_or_b64 exec, exec, s[6:7]
	s_and_saveexec_b64 s[6:7], s[4:5]
	s_cbranch_execnz .LBB56_723
	s_branch .LBB56_724
.LBB56_2773:
	s_movk_i32 s4, 0x80
	v_cmp_eq_u16_e32 vcc, s4, v3
	s_mov_b64 s[4:5], -1
                                        ; implicit-def: $sgpr10
	s_and_saveexec_b64 s[8:9], vcc
; %bb.2774:
	s_mov_b32 s10, 0x7f800001
	s_xor_b64 s[4:5], exec, -1
; %bb.2775:
	s_or_b64 exec, exec, s[8:9]
	s_and_b64 s[4:5], s[4:5], exec
                                        ; implicit-def: $vgpr3
	s_or_saveexec_b64 s[6:7], s[6:7]
	v_mov_b32_e32 v6, s10
	s_xor_b64 exec, exec, s[6:7]
	s_cbranch_execz .LBB56_726
.LBB56_2776:
	v_cmp_ne_u16_e32 vcc, 0, v3
	s_andn2_b64 s[4:5], s[4:5], exec
	s_and_b64 s[8:9], vcc, exec
	v_mov_b32_e32 v6, 0
	s_or_b64 s[4:5], s[4:5], s[8:9]
	s_or_b64 exec, exec, s[6:7]
	s_and_saveexec_b64 s[6:7], s[4:5]
	s_cbranch_execnz .LBB56_727
	s_branch .LBB56_728
.LBB56_2777:
	s_movk_i32 s4, 0x80
	v_cmp_eq_u16_sdwa s[12:13], v8, s4 src0_sel:BYTE_3 src1_sel:DWORD
	s_mov_b64 s[4:5], -1
                                        ; implicit-def: $sgpr10
	s_and_saveexec_b64 s[8:9], s[12:13]
; %bb.2778:
	s_mov_b32 s10, 0x7f800001
	s_xor_b64 s[4:5], exec, -1
; %bb.2779:
	s_or_b64 exec, exec, s[8:9]
	s_and_b64 s[4:5], s[4:5], exec
	s_or_saveexec_b64 s[6:7], s[6:7]
	v_mov_b32_e32 v2, s10
	s_xor_b64 exec, exec, s[6:7]
	s_cbranch_execz .LBB56_730
.LBB56_2780:
	v_mov_b32_e32 v2, 0
	v_cmp_ne_u16_sdwa s[8:9], v8, v2 src0_sel:BYTE_3 src1_sel:DWORD
	s_andn2_b64 s[4:5], s[4:5], exec
	s_and_b64 s[8:9], s[8:9], exec
	s_or_b64 s[4:5], s[4:5], s[8:9]
	s_or_b64 exec, exec, s[6:7]
	s_and_saveexec_b64 s[6:7], s[4:5]
	s_cbranch_execnz .LBB56_731
	s_branch .LBB56_732
.LBB56_2781:
	s_movk_i32 s4, 0x80
	v_cmp_eq_u16_sdwa s[12:13], v4, s4 src0_sel:BYTE_3 src1_sel:DWORD
	s_mov_b64 s[4:5], -1
                                        ; implicit-def: $sgpr10
	s_and_saveexec_b64 s[8:9], s[12:13]
; %bb.2782:
	s_mov_b32 s10, 0x7f800001
	s_xor_b64 s[4:5], exec, -1
; %bb.2783:
	s_or_b64 exec, exec, s[8:9]
	s_and_b64 s[4:5], s[4:5], exec
	s_or_saveexec_b64 s[6:7], s[6:7]
	v_mov_b32_e32 v3, s10
	s_xor_b64 exec, exec, s[6:7]
	s_cbranch_execz .LBB56_734
.LBB56_2784:
	v_mov_b32_e32 v3, 0
	v_cmp_ne_u16_sdwa s[8:9], v4, v3 src0_sel:BYTE_3 src1_sel:DWORD
	s_andn2_b64 s[4:5], s[4:5], exec
	s_and_b64 s[8:9], s[8:9], exec
	s_or_b64 s[4:5], s[4:5], s[8:9]
	s_or_b64 exec, exec, s[6:7]
	s_and_saveexec_b64 s[6:7], s[4:5]
	s_cbranch_execnz .LBB56_735
	s_branch .LBB56_736
.LBB56_2785:
	s_movk_i32 s4, 0x80
	v_cmp_eq_u16_sdwa s[12:13], v9, s4 src0_sel:BYTE_0 src1_sel:DWORD
	s_mov_b64 s[4:5], -1
                                        ; implicit-def: $sgpr10
	s_and_saveexec_b64 s[8:9], s[12:13]
; %bb.2786:
	s_mov_b32 s10, 0x7f800001
	s_xor_b64 s[4:5], exec, -1
; %bb.2787:
	s_or_b64 exec, exec, s[8:9]
	s_and_b64 s[4:5], s[4:5], exec
	s_or_saveexec_b64 s[6:7], s[6:7]
	v_mov_b32_e32 v2, s10
	s_xor_b64 exec, exec, s[6:7]
	s_cbranch_execz .LBB56_738
.LBB56_2788:
	v_mov_b32_e32 v2, 0
	v_cmp_ne_u16_sdwa s[8:9], v9, v2 src0_sel:BYTE_0 src1_sel:DWORD
	s_andn2_b64 s[4:5], s[4:5], exec
	s_and_b64 s[8:9], s[8:9], exec
	s_or_b64 s[4:5], s[4:5], s[8:9]
	s_or_b64 exec, exec, s[6:7]
	s_and_saveexec_b64 s[6:7], s[4:5]
	s_cbranch_execnz .LBB56_739
	s_branch .LBB56_740
.LBB56_2789:
	s_movk_i32 s4, 0x80
	v_cmp_eq_u16_sdwa s[12:13], v5, s4 src0_sel:BYTE_0 src1_sel:DWORD
	s_mov_b64 s[4:5], -1
                                        ; implicit-def: $sgpr10
	s_and_saveexec_b64 s[8:9], s[12:13]
; %bb.2790:
	s_mov_b32 s10, 0x7f800001
	s_xor_b64 s[4:5], exec, -1
; %bb.2791:
	s_or_b64 exec, exec, s[8:9]
	s_and_b64 s[4:5], s[4:5], exec
	s_or_saveexec_b64 s[6:7], s[6:7]
	v_mov_b32_e32 v3, s10
	s_xor_b64 exec, exec, s[6:7]
	s_cbranch_execz .LBB56_742
.LBB56_2792:
	v_mov_b32_e32 v3, 0
	v_cmp_ne_u16_sdwa s[8:9], v5, v3 src0_sel:BYTE_0 src1_sel:DWORD
	s_andn2_b64 s[4:5], s[4:5], exec
	s_and_b64 s[8:9], s[8:9], exec
	s_or_b64 s[4:5], s[4:5], s[8:9]
	s_or_b64 exec, exec, s[6:7]
	s_and_saveexec_b64 s[6:7], s[4:5]
	s_cbranch_execnz .LBB56_743
	s_branch .LBB56_744
.LBB56_2793:
	s_movk_i32 s4, 0x80
	v_cmp_eq_u16_sdwa s[12:13], v3, s4 src0_sel:BYTE_0 src1_sel:DWORD
	s_mov_b64 s[4:5], -1
                                        ; implicit-def: $sgpr10
	s_and_saveexec_b64 s[8:9], s[12:13]
; %bb.2794:
	s_mov_b32 s10, 0x7f800001
	s_xor_b64 s[4:5], exec, -1
; %bb.2795:
	s_or_b64 exec, exec, s[8:9]
	s_and_b64 s[4:5], s[4:5], exec
	s_or_saveexec_b64 s[6:7], s[6:7]
	v_mov_b32_e32 v2, s10
	s_xor_b64 exec, exec, s[6:7]
	s_cbranch_execz .LBB56_746
.LBB56_2796:
	v_mov_b32_e32 v2, 0
	v_cmp_ne_u16_sdwa s[8:9], v3, v2 src0_sel:BYTE_0 src1_sel:DWORD
	s_andn2_b64 s[4:5], s[4:5], exec
	s_and_b64 s[8:9], s[8:9], exec
	s_or_b64 s[4:5], s[4:5], s[8:9]
	s_or_b64 exec, exec, s[6:7]
	s_and_saveexec_b64 s[6:7], s[4:5]
	s_cbranch_execnz .LBB56_747
	s_branch .LBB56_748
.LBB56_2797:
	s_movk_i32 s4, 0x80
	v_cmp_eq_u16_sdwa s[12:13], v3, s4 src0_sel:BYTE_0 src1_sel:DWORD
	s_mov_b64 s[4:5], -1
                                        ; implicit-def: $sgpr10
	s_and_saveexec_b64 s[8:9], s[12:13]
; %bb.2798:
	s_mov_b32 s10, 0x7f800001
	s_xor_b64 s[4:5], exec, -1
; %bb.2799:
	s_or_b64 exec, exec, s[8:9]
	s_and_b64 s[4:5], s[4:5], exec
	s_or_saveexec_b64 s[6:7], s[6:7]
	v_mov_b32_e32 v4, s10
	s_xor_b64 exec, exec, s[6:7]
	s_cbranch_execz .LBB56_750
.LBB56_2800:
	v_mov_b32_e32 v4, 0
	v_cmp_ne_u16_sdwa s[8:9], v3, v4 src0_sel:BYTE_0 src1_sel:DWORD
	s_andn2_b64 s[4:5], s[4:5], exec
	s_and_b64 s[8:9], s[8:9], exec
	s_or_b64 s[4:5], s[4:5], s[8:9]
	s_or_b64 exec, exec, s[6:7]
	s_and_saveexec_b64 s[6:7], s[4:5]
	s_cbranch_execnz .LBB56_751
	s_branch .LBB56_752
.LBB56_2801:
	s_movk_i32 s4, 0x80
	v_cmp_eq_u16_e32 vcc, s4, v3
	s_mov_b64 s[4:5], -1
                                        ; implicit-def: $sgpr10
	s_and_saveexec_b64 s[8:9], vcc
; %bb.2802:
	s_mov_b32 s10, 0x7f800001
	s_xor_b64 s[4:5], exec, -1
; %bb.2803:
	s_or_b64 exec, exec, s[8:9]
	s_and_b64 s[4:5], s[4:5], exec
                                        ; implicit-def: $vgpr3
	s_or_saveexec_b64 s[6:7], s[6:7]
	v_mov_b32_e32 v2, s10
	s_xor_b64 exec, exec, s[6:7]
	s_cbranch_execz .LBB56_754
.LBB56_2804:
	v_cmp_ne_u16_e32 vcc, 0, v3
	s_andn2_b64 s[4:5], s[4:5], exec
	s_and_b64 s[8:9], vcc, exec
	v_mov_b32_e32 v2, 0
	s_or_b64 s[4:5], s[4:5], s[8:9]
	s_or_b64 exec, exec, s[6:7]
	s_and_saveexec_b64 s[6:7], s[4:5]
	s_cbranch_execnz .LBB56_755
	s_branch .LBB56_756
.LBB56_2805:
	s_movk_i32 s4, 0x80
	v_cmp_eq_u16_e32 vcc, s4, v3
	s_mov_b64 s[4:5], -1
                                        ; implicit-def: $sgpr10
	s_and_saveexec_b64 s[8:9], vcc
; %bb.2806:
	s_mov_b32 s10, 0x7f800001
	s_xor_b64 s[4:5], exec, -1
; %bb.2807:
	s_or_b64 exec, exec, s[8:9]
	s_and_b64 s[4:5], s[4:5], exec
                                        ; implicit-def: $vgpr3
	s_or_saveexec_b64 s[6:7], s[6:7]
	v_mov_b32_e32 v4, s10
	s_xor_b64 exec, exec, s[6:7]
	s_cbranch_execz .LBB56_758
.LBB56_2808:
	v_cmp_ne_u16_e32 vcc, 0, v3
	s_andn2_b64 s[4:5], s[4:5], exec
	s_and_b64 s[8:9], vcc, exec
	v_mov_b32_e32 v4, 0
	s_or_b64 s[4:5], s[4:5], s[8:9]
	s_or_b64 exec, exec, s[6:7]
	s_and_saveexec_b64 s[6:7], s[4:5]
	s_cbranch_execnz .LBB56_759
	s_branch .LBB56_760
.LBB56_2809:
	s_movk_i32 s4, 0x80
	v_cmp_eq_u16_sdwa s[12:13], v9, s4 src0_sel:BYTE_3 src1_sel:DWORD
	s_mov_b64 s[4:5], -1
                                        ; implicit-def: $sgpr10
	s_and_saveexec_b64 s[8:9], s[12:13]
; %bb.2810:
	s_mov_b32 s10, 0x7f800001
	s_xor_b64 s[4:5], exec, -1
; %bb.2811:
	s_or_b64 exec, exec, s[8:9]
	s_and_b64 s[4:5], s[4:5], exec
	s_or_saveexec_b64 s[6:7], s[6:7]
	v_mov_b32_e32 v2, s10
	s_xor_b64 exec, exec, s[6:7]
	s_cbranch_execz .LBB56_762
.LBB56_2812:
	v_mov_b32_e32 v2, 0
	v_cmp_ne_u16_sdwa s[8:9], v9, v2 src0_sel:BYTE_3 src1_sel:DWORD
	s_andn2_b64 s[4:5], s[4:5], exec
	s_and_b64 s[8:9], s[8:9], exec
	s_or_b64 s[4:5], s[4:5], s[8:9]
	s_or_b64 exec, exec, s[6:7]
	s_and_saveexec_b64 s[6:7], s[4:5]
	s_cbranch_execnz .LBB56_763
	s_branch .LBB56_764
.LBB56_2813:
	s_movk_i32 s4, 0x80
	v_cmp_eq_u16_sdwa s[12:13], v5, s4 src0_sel:BYTE_3 src1_sel:DWORD
	s_mov_b64 s[4:5], -1
                                        ; implicit-def: $sgpr10
	s_and_saveexec_b64 s[8:9], s[12:13]
; %bb.2814:
	s_mov_b32 s10, 0x7f800001
	s_xor_b64 s[4:5], exec, -1
; %bb.2815:
	s_or_b64 exec, exec, s[8:9]
	s_and_b64 s[4:5], s[4:5], exec
	s_or_saveexec_b64 s[6:7], s[6:7]
	v_mov_b32_e32 v3, s10
	s_xor_b64 exec, exec, s[6:7]
	s_cbranch_execz .LBB56_766
.LBB56_2816:
	v_mov_b32_e32 v3, 0
	v_cmp_ne_u16_sdwa s[8:9], v5, v3 src0_sel:BYTE_3 src1_sel:DWORD
	s_andn2_b64 s[4:5], s[4:5], exec
	s_and_b64 s[8:9], s[8:9], exec
	s_or_b64 s[4:5], s[4:5], s[8:9]
	s_or_b64 exec, exec, s[6:7]
	s_and_saveexec_b64 s[6:7], s[4:5]
	s_cbranch_execnz .LBB56_767
	s_branch .LBB56_768
.LBB56_2817:
	s_movk_i32 s4, 0x80
	v_cmp_eq_u16_sdwa s[12:13], v14, s4 src0_sel:BYTE_0 src1_sel:DWORD
	s_mov_b64 s[4:5], -1
                                        ; implicit-def: $sgpr10
	s_and_saveexec_b64 s[8:9], s[12:13]
; %bb.2818:
	s_mov_b32 s10, 0x7f800001
	s_xor_b64 s[4:5], exec, -1
; %bb.2819:
	s_or_b64 exec, exec, s[8:9]
	s_and_b64 s[4:5], s[4:5], exec
	s_or_saveexec_b64 s[6:7], s[6:7]
	v_mov_b32_e32 v20, s10
	s_xor_b64 exec, exec, s[6:7]
	s_cbranch_execz .LBB56_770
.LBB56_2820:
	v_mov_b32_e32 v20, 0
	v_cmp_ne_u16_sdwa s[8:9], v14, v20 src0_sel:BYTE_0 src1_sel:DWORD
	s_andn2_b64 s[4:5], s[4:5], exec
	s_and_b64 s[8:9], s[8:9], exec
	s_or_b64 s[4:5], s[4:5], s[8:9]
	s_or_b64 exec, exec, s[6:7]
	s_and_saveexec_b64 s[6:7], s[4:5]
	s_cbranch_execnz .LBB56_771
	s_branch .LBB56_772
.LBB56_2821:
	s_movk_i32 s4, 0x80
	v_cmp_eq_u16_sdwa s[12:13], v10, s4 src0_sel:BYTE_0 src1_sel:DWORD
	s_mov_b64 s[4:5], -1
                                        ; implicit-def: $sgpr10
	s_and_saveexec_b64 s[8:9], s[12:13]
; %bb.2822:
	s_mov_b32 s10, 0x7f800001
	s_xor_b64 s[4:5], exec, -1
; %bb.2823:
	s_or_b64 exec, exec, s[8:9]
	s_and_b64 s[4:5], s[4:5], exec
	s_or_saveexec_b64 s[6:7], s[6:7]
	v_mov_b32_e32 v21, s10
	s_xor_b64 exec, exec, s[6:7]
	s_cbranch_execz .LBB56_774
.LBB56_2824:
	v_mov_b32_e32 v21, 0
	v_cmp_ne_u16_sdwa s[8:9], v10, v21 src0_sel:BYTE_0 src1_sel:DWORD
	s_andn2_b64 s[4:5], s[4:5], exec
	s_and_b64 s[8:9], s[8:9], exec
	s_or_b64 s[4:5], s[4:5], s[8:9]
	s_or_b64 exec, exec, s[6:7]
	s_and_saveexec_b64 s[6:7], s[4:5]
	s_cbranch_execnz .LBB56_775
	s_branch .LBB56_776
.LBB56_2825:
	s_movk_i32 s4, 0x80
	v_cmp_eq_u16_sdwa s[12:13], v21, s4 src0_sel:BYTE_0 src1_sel:DWORD
	s_mov_b64 s[4:5], -1
                                        ; implicit-def: $sgpr10
	s_and_saveexec_b64 s[8:9], s[12:13]
; %bb.2826:
	s_mov_b32 s10, 0x7f800001
	s_xor_b64 s[4:5], exec, -1
; %bb.2827:
	s_or_b64 exec, exec, s[8:9]
	s_and_b64 s[4:5], s[4:5], exec
	s_or_saveexec_b64 s[6:7], s[6:7]
	v_mov_b32_e32 v20, s10
	s_xor_b64 exec, exec, s[6:7]
	s_cbranch_execz .LBB56_778
.LBB56_2828:
	v_mov_b32_e32 v20, 0
	v_cmp_ne_u16_sdwa s[8:9], v21, v20 src0_sel:BYTE_0 src1_sel:DWORD
	s_andn2_b64 s[4:5], s[4:5], exec
	s_and_b64 s[8:9], s[8:9], exec
	s_or_b64 s[4:5], s[4:5], s[8:9]
	s_or_b64 exec, exec, s[6:7]
	s_and_saveexec_b64 s[6:7], s[4:5]
	s_cbranch_execnz .LBB56_779
	s_branch .LBB56_780
.LBB56_2829:
	s_movk_i32 s4, 0x80
	v_cmp_eq_u16_sdwa s[12:13], v21, s4 src0_sel:BYTE_0 src1_sel:DWORD
	s_mov_b64 s[4:5], -1
                                        ; implicit-def: $sgpr10
	s_and_saveexec_b64 s[8:9], s[12:13]
; %bb.2830:
	s_mov_b32 s10, 0x7f800001
	s_xor_b64 s[4:5], exec, -1
; %bb.2831:
	s_or_b64 exec, exec, s[8:9]
	s_and_b64 s[4:5], s[4:5], exec
	s_or_saveexec_b64 s[6:7], s[6:7]
	v_mov_b32_e32 v22, s10
	s_xor_b64 exec, exec, s[6:7]
	s_cbranch_execz .LBB56_782
.LBB56_2832:
	v_mov_b32_e32 v22, 0
	v_cmp_ne_u16_sdwa s[8:9], v21, v22 src0_sel:BYTE_0 src1_sel:DWORD
	s_andn2_b64 s[4:5], s[4:5], exec
	s_and_b64 s[8:9], s[8:9], exec
	s_or_b64 s[4:5], s[4:5], s[8:9]
	s_or_b64 exec, exec, s[6:7]
	s_and_saveexec_b64 s[6:7], s[4:5]
	s_cbranch_execnz .LBB56_783
	s_branch .LBB56_784
.LBB56_2833:
	s_movk_i32 s4, 0x80
	v_cmp_eq_u16_e32 vcc, s4, v21
	s_mov_b64 s[4:5], -1
                                        ; implicit-def: $sgpr10
	s_and_saveexec_b64 s[8:9], vcc
; %bb.2834:
	s_mov_b32 s10, 0x7f800001
	s_xor_b64 s[4:5], exec, -1
; %bb.2835:
	s_or_b64 exec, exec, s[8:9]
	s_and_b64 s[4:5], s[4:5], exec
                                        ; implicit-def: $vgpr21
	s_or_saveexec_b64 s[6:7], s[6:7]
	v_mov_b32_e32 v20, s10
	s_xor_b64 exec, exec, s[6:7]
	s_cbranch_execz .LBB56_786
.LBB56_2836:
	v_cmp_ne_u16_e32 vcc, 0, v21
	s_andn2_b64 s[4:5], s[4:5], exec
	s_and_b64 s[8:9], vcc, exec
	v_mov_b32_e32 v20, 0
	s_or_b64 s[4:5], s[4:5], s[8:9]
	s_or_b64 exec, exec, s[6:7]
	s_and_saveexec_b64 s[6:7], s[4:5]
	s_cbranch_execnz .LBB56_787
	s_branch .LBB56_788
.LBB56_2837:
	s_movk_i32 s4, 0x80
	v_cmp_eq_u16_e32 vcc, s4, v21
	s_mov_b64 s[4:5], -1
                                        ; implicit-def: $sgpr10
	s_and_saveexec_b64 s[8:9], vcc
; %bb.2838:
	s_mov_b32 s10, 0x7f800001
	s_xor_b64 s[4:5], exec, -1
; %bb.2839:
	s_or_b64 exec, exec, s[8:9]
	s_and_b64 s[4:5], s[4:5], exec
                                        ; implicit-def: $vgpr21
	s_or_saveexec_b64 s[6:7], s[6:7]
	v_mov_b32_e32 v22, s10
	s_xor_b64 exec, exec, s[6:7]
	s_cbranch_execz .LBB56_790
.LBB56_2840:
	v_cmp_ne_u16_e32 vcc, 0, v21
	s_andn2_b64 s[4:5], s[4:5], exec
	s_and_b64 s[8:9], vcc, exec
	v_mov_b32_e32 v22, 0
	s_or_b64 s[4:5], s[4:5], s[8:9]
	s_or_b64 exec, exec, s[6:7]
	s_and_saveexec_b64 s[6:7], s[4:5]
	s_cbranch_execnz .LBB56_791
	s_branch .LBB56_792
.LBB56_2841:
	s_movk_i32 s4, 0x80
	v_cmp_eq_u16_sdwa s[12:13], v14, s4 src0_sel:BYTE_3 src1_sel:DWORD
	s_mov_b64 s[4:5], -1
                                        ; implicit-def: $sgpr10
	s_and_saveexec_b64 s[8:9], s[12:13]
; %bb.2842:
	s_mov_b32 s10, 0x7f800001
	s_xor_b64 s[4:5], exec, -1
; %bb.2843:
	s_or_b64 exec, exec, s[8:9]
	s_and_b64 s[4:5], s[4:5], exec
	s_or_saveexec_b64 s[6:7], s[6:7]
	v_mov_b32_e32 v20, s10
	s_xor_b64 exec, exec, s[6:7]
	s_cbranch_execz .LBB56_794
.LBB56_2844:
	v_mov_b32_e32 v20, 0
	v_cmp_ne_u16_sdwa s[8:9], v14, v20 src0_sel:BYTE_3 src1_sel:DWORD
	s_andn2_b64 s[4:5], s[4:5], exec
	s_and_b64 s[8:9], s[8:9], exec
	s_or_b64 s[4:5], s[4:5], s[8:9]
	s_or_b64 exec, exec, s[6:7]
	s_and_saveexec_b64 s[6:7], s[4:5]
	s_cbranch_execnz .LBB56_795
	s_branch .LBB56_796
.LBB56_2845:
	s_movk_i32 s4, 0x80
	v_cmp_eq_u16_sdwa s[12:13], v10, s4 src0_sel:BYTE_3 src1_sel:DWORD
	s_mov_b64 s[4:5], -1
                                        ; implicit-def: $sgpr10
	s_and_saveexec_b64 s[8:9], s[12:13]
; %bb.2846:
	s_mov_b32 s10, 0x7f800001
	s_xor_b64 s[4:5], exec, -1
; %bb.2847:
	s_or_b64 exec, exec, s[8:9]
	s_and_b64 s[4:5], s[4:5], exec
	s_or_saveexec_b64 s[6:7], s[6:7]
	v_mov_b32_e32 v14, s10
	s_xor_b64 exec, exec, s[6:7]
	s_cbranch_execz .LBB56_798
.LBB56_2848:
	v_mov_b32_e32 v14, 0
	v_cmp_ne_u16_sdwa s[8:9], v10, v14 src0_sel:BYTE_3 src1_sel:DWORD
	s_andn2_b64 s[4:5], s[4:5], exec
	s_and_b64 s[8:9], s[8:9], exec
	s_or_b64 s[4:5], s[4:5], s[8:9]
	s_or_b64 exec, exec, s[6:7]
	s_and_saveexec_b64 s[6:7], s[4:5]
	s_cbranch_execnz .LBB56_799
	s_branch .LBB56_800
.LBB56_2849:
	s_movk_i32 s4, 0x80
	v_cmp_eq_u16_sdwa s[12:13], v15, s4 src0_sel:BYTE_0 src1_sel:DWORD
	s_mov_b64 s[4:5], -1
                                        ; implicit-def: $sgpr10
	s_and_saveexec_b64 s[8:9], s[12:13]
; %bb.2850:
	s_mov_b32 s10, 0x7f800001
	s_xor_b64 s[4:5], exec, -1
; %bb.2851:
	s_or_b64 exec, exec, s[8:9]
	s_and_b64 s[4:5], s[4:5], exec
	s_or_saveexec_b64 s[6:7], s[6:7]
	v_mov_b32_e32 v10, s10
	s_xor_b64 exec, exec, s[6:7]
	s_cbranch_execz .LBB56_802
.LBB56_2852:
	v_mov_b32_e32 v10, 0
	v_cmp_ne_u16_sdwa s[8:9], v15, v10 src0_sel:BYTE_0 src1_sel:DWORD
	s_andn2_b64 s[4:5], s[4:5], exec
	s_and_b64 s[8:9], s[8:9], exec
	s_or_b64 s[4:5], s[4:5], s[8:9]
	s_or_b64 exec, exec, s[6:7]
	s_and_saveexec_b64 s[6:7], s[4:5]
	s_cbranch_execnz .LBB56_803
	s_branch .LBB56_804
.LBB56_2853:
	s_movk_i32 s4, 0x80
	v_cmp_eq_u16_sdwa s[12:13], v11, s4 src0_sel:BYTE_0 src1_sel:DWORD
	s_mov_b64 s[4:5], -1
                                        ; implicit-def: $sgpr10
	s_and_saveexec_b64 s[8:9], s[12:13]
; %bb.2854:
	s_mov_b32 s10, 0x7f800001
	s_xor_b64 s[4:5], exec, -1
; %bb.2855:
	s_or_b64 exec, exec, s[8:9]
	s_and_b64 s[4:5], s[4:5], exec
	s_or_saveexec_b64 s[6:7], s[6:7]
	v_mov_b32_e32 v14, s10
	s_xor_b64 exec, exec, s[6:7]
	s_cbranch_execz .LBB56_806
.LBB56_2856:
	v_mov_b32_e32 v14, 0
	v_cmp_ne_u16_sdwa s[8:9], v11, v14 src0_sel:BYTE_0 src1_sel:DWORD
	s_andn2_b64 s[4:5], s[4:5], exec
	s_and_b64 s[8:9], s[8:9], exec
	s_or_b64 s[4:5], s[4:5], s[8:9]
	s_or_b64 exec, exec, s[6:7]
	s_and_saveexec_b64 s[6:7], s[4:5]
	s_cbranch_execnz .LBB56_807
	s_branch .LBB56_808
.LBB56_2857:
	s_movk_i32 s4, 0x80
	v_cmp_eq_u16_sdwa s[12:13], v14, s4 src0_sel:BYTE_0 src1_sel:DWORD
	s_mov_b64 s[4:5], -1
                                        ; implicit-def: $sgpr10
	s_and_saveexec_b64 s[8:9], s[12:13]
; %bb.2858:
	s_mov_b32 s10, 0x7f800001
	s_xor_b64 s[4:5], exec, -1
; %bb.2859:
	s_or_b64 exec, exec, s[8:9]
	s_and_b64 s[4:5], s[4:5], exec
	s_or_saveexec_b64 s[6:7], s[6:7]
	v_mov_b32_e32 v10, s10
	s_xor_b64 exec, exec, s[6:7]
	s_cbranch_execz .LBB56_810
.LBB56_2860:
	v_mov_b32_e32 v10, 0
	v_cmp_ne_u16_sdwa s[8:9], v14, v10 src0_sel:BYTE_0 src1_sel:DWORD
	s_andn2_b64 s[4:5], s[4:5], exec
	s_and_b64 s[8:9], s[8:9], exec
	s_or_b64 s[4:5], s[4:5], s[8:9]
	s_or_b64 exec, exec, s[6:7]
	s_and_saveexec_b64 s[6:7], s[4:5]
	s_cbranch_execnz .LBB56_811
	s_branch .LBB56_812
.LBB56_2861:
	s_movk_i32 s4, 0x80
	v_cmp_eq_u16_sdwa s[12:13], v14, s4 src0_sel:BYTE_0 src1_sel:DWORD
	s_mov_b64 s[4:5], -1
                                        ; implicit-def: $sgpr10
	s_and_saveexec_b64 s[8:9], s[12:13]
; %bb.2862:
	s_mov_b32 s10, 0x7f800001
	s_xor_b64 s[4:5], exec, -1
; %bb.2863:
	s_or_b64 exec, exec, s[8:9]
	s_and_b64 s[4:5], s[4:5], exec
	s_or_saveexec_b64 s[6:7], s[6:7]
	v_mov_b32_e32 v20, s10
	s_xor_b64 exec, exec, s[6:7]
	s_cbranch_execz .LBB56_814
.LBB56_2864:
	v_mov_b32_e32 v20, 0
	v_cmp_ne_u16_sdwa s[8:9], v14, v20 src0_sel:BYTE_0 src1_sel:DWORD
	s_andn2_b64 s[4:5], s[4:5], exec
	s_and_b64 s[8:9], s[8:9], exec
	s_or_b64 s[4:5], s[4:5], s[8:9]
	s_or_b64 exec, exec, s[6:7]
	s_and_saveexec_b64 s[6:7], s[4:5]
	s_cbranch_execnz .LBB56_815
	s_branch .LBB56_816
.LBB56_2865:
	s_movk_i32 s4, 0x80
	v_cmp_eq_u16_e32 vcc, s4, v14
	s_mov_b64 s[4:5], -1
                                        ; implicit-def: $sgpr10
	s_and_saveexec_b64 s[8:9], vcc
; %bb.2866:
	s_mov_b32 s10, 0x7f800001
	s_xor_b64 s[4:5], exec, -1
; %bb.2867:
	s_or_b64 exec, exec, s[8:9]
	s_and_b64 s[4:5], s[4:5], exec
                                        ; implicit-def: $vgpr14
	s_or_saveexec_b64 s[6:7], s[6:7]
	v_mov_b32_e32 v10, s10
	s_xor_b64 exec, exec, s[6:7]
	s_cbranch_execz .LBB56_818
.LBB56_2868:
	v_cmp_ne_u16_e32 vcc, 0, v14
	s_andn2_b64 s[4:5], s[4:5], exec
	s_and_b64 s[8:9], vcc, exec
	v_mov_b32_e32 v10, 0
	s_or_b64 s[4:5], s[4:5], s[8:9]
	s_or_b64 exec, exec, s[6:7]
	s_and_saveexec_b64 s[6:7], s[4:5]
	s_cbranch_execnz .LBB56_819
	s_branch .LBB56_820
.LBB56_2869:
	s_movk_i32 s4, 0x80
	v_cmp_eq_u16_e32 vcc, s4, v14
	s_mov_b64 s[4:5], -1
                                        ; implicit-def: $sgpr10
	s_and_saveexec_b64 s[8:9], vcc
; %bb.2870:
	s_mov_b32 s10, 0x7f800001
	s_xor_b64 s[4:5], exec, -1
; %bb.2871:
	s_or_b64 exec, exec, s[8:9]
	s_and_b64 s[4:5], s[4:5], exec
                                        ; implicit-def: $vgpr14
	s_or_saveexec_b64 s[6:7], s[6:7]
	v_mov_b32_e32 v20, s10
	s_xor_b64 exec, exec, s[6:7]
	s_cbranch_execz .LBB56_822
.LBB56_2872:
	v_cmp_ne_u16_e32 vcc, 0, v14
	s_andn2_b64 s[4:5], s[4:5], exec
	s_and_b64 s[8:9], vcc, exec
	v_mov_b32_e32 v20, 0
	s_or_b64 s[4:5], s[4:5], s[8:9]
	s_or_b64 exec, exec, s[6:7]
	s_and_saveexec_b64 s[6:7], s[4:5]
	s_cbranch_execnz .LBB56_823
	s_branch .LBB56_824
.LBB56_2873:
	s_movk_i32 s4, 0x80
	v_cmp_eq_u16_sdwa s[12:13], v15, s4 src0_sel:BYTE_3 src1_sel:DWORD
	s_mov_b64 s[4:5], -1
                                        ; implicit-def: $sgpr10
	s_and_saveexec_b64 s[8:9], s[12:13]
; %bb.2874:
	s_mov_b32 s10, 0x7f800001
	s_xor_b64 s[4:5], exec, -1
; %bb.2875:
	s_or_b64 exec, exec, s[8:9]
	s_and_b64 s[4:5], s[4:5], exec
	s_or_saveexec_b64 s[6:7], s[6:7]
	v_mov_b32_e32 v10, s10
	s_xor_b64 exec, exec, s[6:7]
	s_cbranch_execz .LBB56_826
.LBB56_2876:
	v_mov_b32_e32 v10, 0
	v_cmp_ne_u16_sdwa s[8:9], v15, v10 src0_sel:BYTE_3 src1_sel:DWORD
	s_andn2_b64 s[4:5], s[4:5], exec
	s_and_b64 s[8:9], s[8:9], exec
	s_or_b64 s[4:5], s[4:5], s[8:9]
	s_or_b64 exec, exec, s[6:7]
	s_and_saveexec_b64 s[6:7], s[4:5]
	s_cbranch_execnz .LBB56_827
	s_branch .LBB56_828
.LBB56_2877:
	s_movk_i32 s4, 0x80
	v_cmp_eq_u16_sdwa s[12:13], v11, s4 src0_sel:BYTE_3 src1_sel:DWORD
	s_mov_b64 s[4:5], -1
                                        ; implicit-def: $sgpr10
	s_and_saveexec_b64 s[8:9], s[12:13]
; %bb.2878:
	s_mov_b32 s10, 0x7f800001
	s_xor_b64 s[4:5], exec, -1
; %bb.2879:
	s_or_b64 exec, exec, s[8:9]
	s_and_b64 s[4:5], s[4:5], exec
	s_or_saveexec_b64 s[6:7], s[6:7]
	v_mov_b32_e32 v14, s10
	s_xor_b64 exec, exec, s[6:7]
	s_cbranch_execz .LBB56_830
.LBB56_2880:
	v_mov_b32_e32 v14, 0
	v_cmp_ne_u16_sdwa s[8:9], v11, v14 src0_sel:BYTE_3 src1_sel:DWORD
	s_andn2_b64 s[4:5], s[4:5], exec
	s_and_b64 s[8:9], s[8:9], exec
	s_or_b64 s[4:5], s[4:5], s[8:9]
	s_or_b64 exec, exec, s[6:7]
	s_and_saveexec_b64 s[6:7], s[4:5]
	s_cbranch_execnz .LBB56_831
	s_branch .LBB56_832
.LBB56_2881:
	s_movk_i32 s4, 0x80
	v_cmp_eq_u16_sdwa s[12:13], v16, s4 src0_sel:BYTE_0 src1_sel:DWORD
	s_mov_b64 s[4:5], -1
                                        ; implicit-def: $sgpr10
	s_and_saveexec_b64 s[8:9], s[12:13]
; %bb.2882:
	s_mov_b32 s10, 0x7f800001
	s_xor_b64 s[4:5], exec, -1
; %bb.2883:
	s_or_b64 exec, exec, s[8:9]
	s_and_b64 s[4:5], s[4:5], exec
	s_or_saveexec_b64 s[6:7], s[6:7]
	v_mov_b32_e32 v10, s10
	s_xor_b64 exec, exec, s[6:7]
	s_cbranch_execz .LBB56_834
.LBB56_2884:
	v_mov_b32_e32 v10, 0
	v_cmp_ne_u16_sdwa s[8:9], v16, v10 src0_sel:BYTE_0 src1_sel:DWORD
	s_andn2_b64 s[4:5], s[4:5], exec
	s_and_b64 s[8:9], s[8:9], exec
	s_or_b64 s[4:5], s[4:5], s[8:9]
	s_or_b64 exec, exec, s[6:7]
	s_and_saveexec_b64 s[6:7], s[4:5]
	s_cbranch_execnz .LBB56_835
	s_branch .LBB56_836
.LBB56_2885:
	s_movk_i32 s4, 0x80
	v_cmp_eq_u16_sdwa s[12:13], v12, s4 src0_sel:BYTE_0 src1_sel:DWORD
	s_mov_b64 s[4:5], -1
                                        ; implicit-def: $sgpr10
	s_and_saveexec_b64 s[8:9], s[12:13]
; %bb.2886:
	s_mov_b32 s10, 0x7f800001
	s_xor_b64 s[4:5], exec, -1
; %bb.2887:
	s_or_b64 exec, exec, s[8:9]
	s_and_b64 s[4:5], s[4:5], exec
	s_or_saveexec_b64 s[6:7], s[6:7]
	v_mov_b32_e32 v11, s10
	s_xor_b64 exec, exec, s[6:7]
	s_cbranch_execz .LBB56_838
.LBB56_2888:
	v_mov_b32_e32 v11, 0
	v_cmp_ne_u16_sdwa s[8:9], v12, v11 src0_sel:BYTE_0 src1_sel:DWORD
	s_andn2_b64 s[4:5], s[4:5], exec
	s_and_b64 s[8:9], s[8:9], exec
	s_or_b64 s[4:5], s[4:5], s[8:9]
	s_or_b64 exec, exec, s[6:7]
	s_and_saveexec_b64 s[6:7], s[4:5]
	s_cbranch_execnz .LBB56_839
	s_branch .LBB56_840
.LBB56_2889:
	s_movk_i32 s4, 0x80
	v_cmp_eq_u16_sdwa s[12:13], v11, s4 src0_sel:BYTE_0 src1_sel:DWORD
	s_mov_b64 s[4:5], -1
                                        ; implicit-def: $sgpr10
	s_and_saveexec_b64 s[8:9], s[12:13]
; %bb.2890:
	s_mov_b32 s10, 0x7f800001
	s_xor_b64 s[4:5], exec, -1
; %bb.2891:
	s_or_b64 exec, exec, s[8:9]
	s_and_b64 s[4:5], s[4:5], exec
	s_or_saveexec_b64 s[6:7], s[6:7]
	v_mov_b32_e32 v10, s10
	s_xor_b64 exec, exec, s[6:7]
	s_cbranch_execz .LBB56_842
.LBB56_2892:
	v_mov_b32_e32 v10, 0
	v_cmp_ne_u16_sdwa s[8:9], v11, v10 src0_sel:BYTE_0 src1_sel:DWORD
	s_andn2_b64 s[4:5], s[4:5], exec
	s_and_b64 s[8:9], s[8:9], exec
	s_or_b64 s[4:5], s[4:5], s[8:9]
	s_or_b64 exec, exec, s[6:7]
	s_and_saveexec_b64 s[6:7], s[4:5]
	s_cbranch_execnz .LBB56_843
	s_branch .LBB56_844
.LBB56_2893:
	s_movk_i32 s4, 0x80
	v_cmp_eq_u16_sdwa s[12:13], v11, s4 src0_sel:BYTE_0 src1_sel:DWORD
	s_mov_b64 s[4:5], -1
                                        ; implicit-def: $sgpr10
	s_and_saveexec_b64 s[8:9], s[12:13]
; %bb.2894:
	s_mov_b32 s10, 0x7f800001
	s_xor_b64 s[4:5], exec, -1
; %bb.2895:
	s_or_b64 exec, exec, s[8:9]
	s_and_b64 s[4:5], s[4:5], exec
	s_or_saveexec_b64 s[6:7], s[6:7]
	v_mov_b32_e32 v14, s10
	s_xor_b64 exec, exec, s[6:7]
	s_cbranch_execz .LBB56_846
.LBB56_2896:
	v_mov_b32_e32 v14, 0
	v_cmp_ne_u16_sdwa s[8:9], v11, v14 src0_sel:BYTE_0 src1_sel:DWORD
	s_andn2_b64 s[4:5], s[4:5], exec
	s_and_b64 s[8:9], s[8:9], exec
	s_or_b64 s[4:5], s[4:5], s[8:9]
	s_or_b64 exec, exec, s[6:7]
	s_and_saveexec_b64 s[6:7], s[4:5]
	s_cbranch_execnz .LBB56_847
	s_branch .LBB56_848
.LBB56_2897:
	s_movk_i32 s4, 0x80
	v_cmp_eq_u16_e32 vcc, s4, v11
	s_mov_b64 s[4:5], -1
                                        ; implicit-def: $sgpr10
	s_and_saveexec_b64 s[8:9], vcc
; %bb.2898:
	s_mov_b32 s10, 0x7f800001
	s_xor_b64 s[4:5], exec, -1
; %bb.2899:
	s_or_b64 exec, exec, s[8:9]
	s_and_b64 s[4:5], s[4:5], exec
                                        ; implicit-def: $vgpr11
	s_or_saveexec_b64 s[6:7], s[6:7]
	v_mov_b32_e32 v10, s10
	s_xor_b64 exec, exec, s[6:7]
	s_cbranch_execz .LBB56_850
.LBB56_2900:
	v_cmp_ne_u16_e32 vcc, 0, v11
	s_andn2_b64 s[4:5], s[4:5], exec
	s_and_b64 s[8:9], vcc, exec
	v_mov_b32_e32 v10, 0
	s_or_b64 s[4:5], s[4:5], s[8:9]
	s_or_b64 exec, exec, s[6:7]
	s_and_saveexec_b64 s[6:7], s[4:5]
	s_cbranch_execnz .LBB56_851
	s_branch .LBB56_852
.LBB56_2901:
	s_movk_i32 s4, 0x80
	v_cmp_eq_u16_e32 vcc, s4, v11
	s_mov_b64 s[4:5], -1
                                        ; implicit-def: $sgpr10
	s_and_saveexec_b64 s[8:9], vcc
; %bb.2902:
	s_mov_b32 s10, 0x7f800001
	s_xor_b64 s[4:5], exec, -1
; %bb.2903:
	s_or_b64 exec, exec, s[8:9]
	s_and_b64 s[4:5], s[4:5], exec
                                        ; implicit-def: $vgpr11
	s_or_saveexec_b64 s[6:7], s[6:7]
	v_mov_b32_e32 v14, s10
	s_xor_b64 exec, exec, s[6:7]
	s_cbranch_execz .LBB56_854
.LBB56_2904:
	v_cmp_ne_u16_e32 vcc, 0, v11
	s_andn2_b64 s[4:5], s[4:5], exec
	s_and_b64 s[8:9], vcc, exec
	v_mov_b32_e32 v14, 0
	s_or_b64 s[4:5], s[4:5], s[8:9]
	s_or_b64 exec, exec, s[6:7]
	s_and_saveexec_b64 s[6:7], s[4:5]
	s_cbranch_execnz .LBB56_855
	s_branch .LBB56_856
.LBB56_2905:
	s_movk_i32 s4, 0x80
	v_cmp_eq_u16_sdwa s[12:13], v16, s4 src0_sel:BYTE_3 src1_sel:DWORD
	s_mov_b64 s[4:5], -1
                                        ; implicit-def: $sgpr10
	s_and_saveexec_b64 s[8:9], s[12:13]
; %bb.2906:
	s_mov_b32 s10, 0x7f800001
	s_xor_b64 s[4:5], exec, -1
; %bb.2907:
	s_or_b64 exec, exec, s[8:9]
	s_and_b64 s[4:5], s[4:5], exec
	s_or_saveexec_b64 s[6:7], s[6:7]
	v_mov_b32_e32 v10, s10
	s_xor_b64 exec, exec, s[6:7]
	s_cbranch_execz .LBB56_858
.LBB56_2908:
	v_mov_b32_e32 v10, 0
	v_cmp_ne_u16_sdwa s[8:9], v16, v10 src0_sel:BYTE_3 src1_sel:DWORD
	s_andn2_b64 s[4:5], s[4:5], exec
	s_and_b64 s[8:9], s[8:9], exec
	s_or_b64 s[4:5], s[4:5], s[8:9]
	s_or_b64 exec, exec, s[6:7]
	s_and_saveexec_b64 s[6:7], s[4:5]
	s_cbranch_execnz .LBB56_859
	s_branch .LBB56_860
.LBB56_2909:
	s_movk_i32 s4, 0x80
	v_cmp_eq_u16_sdwa s[12:13], v12, s4 src0_sel:BYTE_3 src1_sel:DWORD
	s_mov_b64 s[4:5], -1
                                        ; implicit-def: $sgpr10
	s_and_saveexec_b64 s[8:9], s[12:13]
; %bb.2910:
	s_mov_b32 s10, 0x7f800001
	s_xor_b64 s[4:5], exec, -1
; %bb.2911:
	s_or_b64 exec, exec, s[8:9]
	s_and_b64 s[4:5], s[4:5], exec
	s_or_saveexec_b64 s[6:7], s[6:7]
	v_mov_b32_e32 v11, s10
	s_xor_b64 exec, exec, s[6:7]
	s_cbranch_execz .LBB56_862
.LBB56_2912:
	v_mov_b32_e32 v11, 0
	v_cmp_ne_u16_sdwa s[8:9], v12, v11 src0_sel:BYTE_3 src1_sel:DWORD
	s_andn2_b64 s[4:5], s[4:5], exec
	s_and_b64 s[8:9], s[8:9], exec
	s_or_b64 s[4:5], s[4:5], s[8:9]
	s_or_b64 exec, exec, s[6:7]
	s_and_saveexec_b64 s[6:7], s[4:5]
	s_cbranch_execnz .LBB56_863
	s_branch .LBB56_864
.LBB56_2913:
	s_movk_i32 s4, 0x80
	v_cmp_eq_u16_sdwa s[12:13], v17, s4 src0_sel:BYTE_0 src1_sel:DWORD
	s_mov_b64 s[4:5], -1
                                        ; implicit-def: $sgpr10
	s_and_saveexec_b64 s[8:9], s[12:13]
; %bb.2914:
	s_mov_b32 s10, 0x7f800001
	s_xor_b64 s[4:5], exec, -1
; %bb.2915:
	s_or_b64 exec, exec, s[8:9]
	s_and_b64 s[4:5], s[4:5], exec
	s_or_saveexec_b64 s[6:7], s[6:7]
	v_mov_b32_e32 v10, s10
	s_xor_b64 exec, exec, s[6:7]
	s_cbranch_execz .LBB56_866
.LBB56_2916:
	v_mov_b32_e32 v10, 0
	v_cmp_ne_u16_sdwa s[8:9], v17, v10 src0_sel:BYTE_0 src1_sel:DWORD
	s_andn2_b64 s[4:5], s[4:5], exec
	s_and_b64 s[8:9], s[8:9], exec
	s_or_b64 s[4:5], s[4:5], s[8:9]
	s_or_b64 exec, exec, s[6:7]
	s_and_saveexec_b64 s[6:7], s[4:5]
	s_cbranch_execnz .LBB56_867
	s_branch .LBB56_868
.LBB56_2917:
	s_movk_i32 s4, 0x80
	v_cmp_eq_u16_sdwa s[12:13], v13, s4 src0_sel:BYTE_0 src1_sel:DWORD
	s_mov_b64 s[4:5], -1
                                        ; implicit-def: $sgpr10
	s_and_saveexec_b64 s[8:9], s[12:13]
; %bb.2918:
	s_mov_b32 s10, 0x7f800001
	s_xor_b64 s[4:5], exec, -1
; %bb.2919:
	s_or_b64 exec, exec, s[8:9]
	s_and_b64 s[4:5], s[4:5], exec
	s_or_saveexec_b64 s[6:7], s[6:7]
	v_mov_b32_e32 v11, s10
	s_xor_b64 exec, exec, s[6:7]
	s_cbranch_execz .LBB56_870
.LBB56_2920:
	v_mov_b32_e32 v11, 0
	v_cmp_ne_u16_sdwa s[8:9], v13, v11 src0_sel:BYTE_0 src1_sel:DWORD
	s_andn2_b64 s[4:5], s[4:5], exec
	s_and_b64 s[8:9], s[8:9], exec
	s_or_b64 s[4:5], s[4:5], s[8:9]
	s_or_b64 exec, exec, s[6:7]
	s_and_saveexec_b64 s[6:7], s[4:5]
	s_cbranch_execnz .LBB56_871
	s_branch .LBB56_872
.LBB56_2921:
	s_movk_i32 s4, 0x80
	v_cmp_eq_u16_sdwa s[12:13], v11, s4 src0_sel:BYTE_0 src1_sel:DWORD
	s_mov_b64 s[4:5], -1
                                        ; implicit-def: $sgpr10
	s_and_saveexec_b64 s[8:9], s[12:13]
; %bb.2922:
	s_mov_b32 s10, 0x7f800001
	s_xor_b64 s[4:5], exec, -1
; %bb.2923:
	s_or_b64 exec, exec, s[8:9]
	s_and_b64 s[4:5], s[4:5], exec
	s_or_saveexec_b64 s[6:7], s[6:7]
	v_mov_b32_e32 v10, s10
	s_xor_b64 exec, exec, s[6:7]
	s_cbranch_execz .LBB56_874
.LBB56_2924:
	v_mov_b32_e32 v10, 0
	v_cmp_ne_u16_sdwa s[8:9], v11, v10 src0_sel:BYTE_0 src1_sel:DWORD
	s_andn2_b64 s[4:5], s[4:5], exec
	s_and_b64 s[8:9], s[8:9], exec
	s_or_b64 s[4:5], s[4:5], s[8:9]
	s_or_b64 exec, exec, s[6:7]
	s_and_saveexec_b64 s[6:7], s[4:5]
	s_cbranch_execnz .LBB56_875
	s_branch .LBB56_876
.LBB56_2925:
	s_movk_i32 s4, 0x80
	v_cmp_eq_u16_sdwa s[12:13], v11, s4 src0_sel:BYTE_0 src1_sel:DWORD
	s_mov_b64 s[4:5], -1
                                        ; implicit-def: $sgpr10
	s_and_saveexec_b64 s[8:9], s[12:13]
; %bb.2926:
	s_mov_b32 s10, 0x7f800001
	s_xor_b64 s[4:5], exec, -1
; %bb.2927:
	s_or_b64 exec, exec, s[8:9]
	s_and_b64 s[4:5], s[4:5], exec
	s_or_saveexec_b64 s[6:7], s[6:7]
	v_mov_b32_e32 v12, s10
	s_xor_b64 exec, exec, s[6:7]
	s_cbranch_execz .LBB56_878
.LBB56_2928:
	v_mov_b32_e32 v12, 0
	v_cmp_ne_u16_sdwa s[8:9], v11, v12 src0_sel:BYTE_0 src1_sel:DWORD
	s_andn2_b64 s[4:5], s[4:5], exec
	s_and_b64 s[8:9], s[8:9], exec
	s_or_b64 s[4:5], s[4:5], s[8:9]
	s_or_b64 exec, exec, s[6:7]
	s_and_saveexec_b64 s[6:7], s[4:5]
	s_cbranch_execnz .LBB56_879
	s_branch .LBB56_880
.LBB56_2929:
	s_movk_i32 s4, 0x80
	v_cmp_eq_u16_e32 vcc, s4, v11
	s_mov_b64 s[4:5], -1
                                        ; implicit-def: $sgpr10
	s_and_saveexec_b64 s[8:9], vcc
; %bb.2930:
	s_mov_b32 s10, 0x7f800001
	s_xor_b64 s[4:5], exec, -1
; %bb.2931:
	s_or_b64 exec, exec, s[8:9]
	s_and_b64 s[4:5], s[4:5], exec
                                        ; implicit-def: $vgpr11
	s_or_saveexec_b64 s[6:7], s[6:7]
	v_mov_b32_e32 v10, s10
	s_xor_b64 exec, exec, s[6:7]
	s_cbranch_execz .LBB56_882
.LBB56_2932:
	v_cmp_ne_u16_e32 vcc, 0, v11
	s_andn2_b64 s[4:5], s[4:5], exec
	s_and_b64 s[8:9], vcc, exec
	v_mov_b32_e32 v10, 0
	s_or_b64 s[4:5], s[4:5], s[8:9]
	s_or_b64 exec, exec, s[6:7]
	s_and_saveexec_b64 s[6:7], s[4:5]
	s_cbranch_execnz .LBB56_883
	s_branch .LBB56_884
.LBB56_2933:
	s_movk_i32 s4, 0x80
	v_cmp_eq_u16_e32 vcc, s4, v11
	s_mov_b64 s[4:5], -1
                                        ; implicit-def: $sgpr10
	s_and_saveexec_b64 s[8:9], vcc
; %bb.2934:
	s_mov_b32 s10, 0x7f800001
	s_xor_b64 s[4:5], exec, -1
; %bb.2935:
	s_or_b64 exec, exec, s[8:9]
	s_and_b64 s[4:5], s[4:5], exec
                                        ; implicit-def: $vgpr11
	s_or_saveexec_b64 s[6:7], s[6:7]
	v_mov_b32_e32 v12, s10
	s_xor_b64 exec, exec, s[6:7]
	s_cbranch_execz .LBB56_886
.LBB56_2936:
	v_cmp_ne_u16_e32 vcc, 0, v11
	s_andn2_b64 s[4:5], s[4:5], exec
	s_and_b64 s[8:9], vcc, exec
	v_mov_b32_e32 v12, 0
	s_or_b64 s[4:5], s[4:5], s[8:9]
	s_or_b64 exec, exec, s[6:7]
	s_and_saveexec_b64 s[6:7], s[4:5]
	s_cbranch_execnz .LBB56_887
	s_branch .LBB56_888
.LBB56_2937:
	s_movk_i32 s4, 0x80
	v_cmp_eq_u16_sdwa s[12:13], v17, s4 src0_sel:BYTE_3 src1_sel:DWORD
	s_mov_b64 s[4:5], -1
                                        ; implicit-def: $sgpr10
	s_and_saveexec_b64 s[8:9], s[12:13]
; %bb.2938:
	s_mov_b32 s10, 0x7f800001
	s_xor_b64 s[4:5], exec, -1
; %bb.2939:
	s_or_b64 exec, exec, s[8:9]
	s_and_b64 s[4:5], s[4:5], exec
	s_or_saveexec_b64 s[6:7], s[6:7]
	v_mov_b32_e32 v10, s10
	s_xor_b64 exec, exec, s[6:7]
	s_cbranch_execz .LBB56_890
.LBB56_2940:
	v_mov_b32_e32 v10, 0
	v_cmp_ne_u16_sdwa s[8:9], v17, v10 src0_sel:BYTE_3 src1_sel:DWORD
	s_andn2_b64 s[4:5], s[4:5], exec
	s_and_b64 s[8:9], s[8:9], exec
	s_or_b64 s[4:5], s[4:5], s[8:9]
	s_or_b64 exec, exec, s[6:7]
	s_and_saveexec_b64 s[6:7], s[4:5]
	s_cbranch_execnz .LBB56_891
	s_branch .LBB56_892
.LBB56_2941:
	s_movk_i32 s4, 0x80
	v_cmp_eq_u16_sdwa s[12:13], v13, s4 src0_sel:BYTE_3 src1_sel:DWORD
	s_mov_b64 s[4:5], -1
                                        ; implicit-def: $sgpr10
	s_and_saveexec_b64 s[8:9], s[12:13]
; %bb.2942:
	s_mov_b32 s10, 0x7f800001
	s_xor_b64 s[4:5], exec, -1
; %bb.2943:
	s_or_b64 exec, exec, s[8:9]
	s_and_b64 s[4:5], s[4:5], exec
	s_or_saveexec_b64 s[6:7], s[6:7]
	v_mov_b32_e32 v11, s10
	s_xor_b64 exec, exec, s[6:7]
	s_cbranch_execz .LBB56_894
.LBB56_2944:
	v_mov_b32_e32 v11, 0
	v_cmp_ne_u16_sdwa s[8:9], v13, v11 src0_sel:BYTE_3 src1_sel:DWORD
	s_andn2_b64 s[4:5], s[4:5], exec
	s_and_b64 s[8:9], s[8:9], exec
	s_or_b64 s[4:5], s[4:5], s[8:9]
	s_or_b64 exec, exec, s[6:7]
	s_and_saveexec_b64 s[6:7], s[4:5]
	s_cbranch_execnz .LBB56_895
	s_branch .LBB56_896
.LBB56_2945:
	s_movk_i32 s4, 0x80
	v_cmp_eq_u16_sdwa s[12:13], v6, s4 src0_sel:BYTE_0 src1_sel:DWORD
	s_mov_b64 s[4:5], -1
                                        ; implicit-def: $sgpr10
	s_and_saveexec_b64 s[8:9], s[12:13]
; %bb.2946:
	s_mov_b32 s10, 0x7f800001
	s_xor_b64 s[4:5], exec, -1
; %bb.2947:
	s_or_b64 exec, exec, s[8:9]
	s_and_b64 s[4:5], s[4:5], exec
	s_or_saveexec_b64 s[6:7], s[6:7]
	v_mov_b32_e32 v10, s10
	s_xor_b64 exec, exec, s[6:7]
	s_cbranch_execz .LBB56_898
.LBB56_2948:
	v_mov_b32_e32 v10, 0
	v_cmp_ne_u16_sdwa s[8:9], v6, v10 src0_sel:BYTE_0 src1_sel:DWORD
	s_andn2_b64 s[4:5], s[4:5], exec
	s_and_b64 s[8:9], s[8:9], exec
	s_or_b64 s[4:5], s[4:5], s[8:9]
	s_or_b64 exec, exec, s[6:7]
	s_and_saveexec_b64 s[6:7], s[4:5]
	s_cbranch_execnz .LBB56_899
	s_branch .LBB56_900
.LBB56_2949:
	s_movk_i32 s4, 0x80
	v_cmp_eq_u16_sdwa s[12:13], v2, s4 src0_sel:BYTE_0 src1_sel:DWORD
	s_mov_b64 s[4:5], -1
                                        ; implicit-def: $sgpr10
	s_and_saveexec_b64 s[8:9], s[12:13]
; %bb.2950:
	s_mov_b32 s10, 0x7f800001
	s_xor_b64 s[4:5], exec, -1
; %bb.2951:
	s_or_b64 exec, exec, s[8:9]
	s_and_b64 s[4:5], s[4:5], exec
	s_or_saveexec_b64 s[6:7], s[6:7]
	v_mov_b32_e32 v11, s10
	s_xor_b64 exec, exec, s[6:7]
	s_cbranch_execz .LBB56_902
.LBB56_2952:
	v_mov_b32_e32 v11, 0
	v_cmp_ne_u16_sdwa s[8:9], v2, v11 src0_sel:BYTE_0 src1_sel:DWORD
	s_andn2_b64 s[4:5], s[4:5], exec
	s_and_b64 s[8:9], s[8:9], exec
	s_or_b64 s[4:5], s[4:5], s[8:9]
	s_or_b64 exec, exec, s[6:7]
	s_and_saveexec_b64 s[6:7], s[4:5]
	s_cbranch_execnz .LBB56_903
	s_branch .LBB56_904
.LBB56_2953:
	s_movk_i32 s4, 0x80
	v_cmp_eq_u16_sdwa s[12:13], v11, s4 src0_sel:BYTE_0 src1_sel:DWORD
	s_mov_b64 s[4:5], -1
                                        ; implicit-def: $sgpr10
	s_and_saveexec_b64 s[8:9], s[12:13]
; %bb.2954:
	s_mov_b32 s10, 0x7f800001
	s_xor_b64 s[4:5], exec, -1
; %bb.2955:
	s_or_b64 exec, exec, s[8:9]
	s_and_b64 s[4:5], s[4:5], exec
	s_or_saveexec_b64 s[6:7], s[6:7]
	v_mov_b32_e32 v10, s10
	s_xor_b64 exec, exec, s[6:7]
	s_cbranch_execz .LBB56_906
.LBB56_2956:
	v_mov_b32_e32 v10, 0
	v_cmp_ne_u16_sdwa s[8:9], v11, v10 src0_sel:BYTE_0 src1_sel:DWORD
	s_andn2_b64 s[4:5], s[4:5], exec
	s_and_b64 s[8:9], s[8:9], exec
	s_or_b64 s[4:5], s[4:5], s[8:9]
	s_or_b64 exec, exec, s[6:7]
	s_and_saveexec_b64 s[6:7], s[4:5]
	s_cbranch_execnz .LBB56_907
	s_branch .LBB56_908
.LBB56_2957:
	s_movk_i32 s4, 0x80
	v_cmp_eq_u16_sdwa s[12:13], v11, s4 src0_sel:BYTE_0 src1_sel:DWORD
	s_mov_b64 s[4:5], -1
                                        ; implicit-def: $sgpr10
	s_and_saveexec_b64 s[8:9], s[12:13]
; %bb.2958:
	s_mov_b32 s10, 0x7f800001
	s_xor_b64 s[4:5], exec, -1
; %bb.2959:
	s_or_b64 exec, exec, s[8:9]
	s_and_b64 s[4:5], s[4:5], exec
	s_or_saveexec_b64 s[6:7], s[6:7]
	v_mov_b32_e32 v12, s10
	s_xor_b64 exec, exec, s[6:7]
	s_cbranch_execz .LBB56_910
.LBB56_2960:
	v_mov_b32_e32 v12, 0
	v_cmp_ne_u16_sdwa s[8:9], v11, v12 src0_sel:BYTE_0 src1_sel:DWORD
	s_andn2_b64 s[4:5], s[4:5], exec
	s_and_b64 s[8:9], s[8:9], exec
	s_or_b64 s[4:5], s[4:5], s[8:9]
	s_or_b64 exec, exec, s[6:7]
	s_and_saveexec_b64 s[6:7], s[4:5]
	s_cbranch_execnz .LBB56_911
	s_branch .LBB56_912
.LBB56_2961:
	s_movk_i32 s4, 0x80
	v_cmp_eq_u16_e32 vcc, s4, v11
	s_mov_b64 s[4:5], -1
                                        ; implicit-def: $sgpr10
	s_and_saveexec_b64 s[8:9], vcc
; %bb.2962:
	s_mov_b32 s10, 0x7f800001
	s_xor_b64 s[4:5], exec, -1
; %bb.2963:
	s_or_b64 exec, exec, s[8:9]
	s_and_b64 s[4:5], s[4:5], exec
                                        ; implicit-def: $vgpr11
	s_or_saveexec_b64 s[6:7], s[6:7]
	v_mov_b32_e32 v10, s10
	s_xor_b64 exec, exec, s[6:7]
	s_cbranch_execz .LBB56_914
.LBB56_2964:
	v_cmp_ne_u16_e32 vcc, 0, v11
	s_andn2_b64 s[4:5], s[4:5], exec
	s_and_b64 s[8:9], vcc, exec
	v_mov_b32_e32 v10, 0
	s_or_b64 s[4:5], s[4:5], s[8:9]
	s_or_b64 exec, exec, s[6:7]
	s_and_saveexec_b64 s[6:7], s[4:5]
	s_cbranch_execnz .LBB56_915
	s_branch .LBB56_916
.LBB56_2965:
	s_movk_i32 s4, 0x80
	v_cmp_eq_u16_e32 vcc, s4, v11
	s_mov_b64 s[4:5], -1
                                        ; implicit-def: $sgpr10
	s_and_saveexec_b64 s[8:9], vcc
; %bb.2966:
	s_mov_b32 s10, 0x7f800001
	s_xor_b64 s[4:5], exec, -1
; %bb.2967:
	s_or_b64 exec, exec, s[8:9]
	s_and_b64 s[4:5], s[4:5], exec
                                        ; implicit-def: $vgpr11
	s_or_saveexec_b64 s[6:7], s[6:7]
	v_mov_b32_e32 v12, s10
	s_xor_b64 exec, exec, s[6:7]
	s_cbranch_execz .LBB56_918
.LBB56_2968:
	v_cmp_ne_u16_e32 vcc, 0, v11
	s_andn2_b64 s[4:5], s[4:5], exec
	s_and_b64 s[8:9], vcc, exec
	v_mov_b32_e32 v12, 0
	s_or_b64 s[4:5], s[4:5], s[8:9]
	s_or_b64 exec, exec, s[6:7]
	s_and_saveexec_b64 s[6:7], s[4:5]
	s_cbranch_execnz .LBB56_919
	s_branch .LBB56_920
.LBB56_2969:
	s_movk_i32 s4, 0x80
	v_cmp_eq_u16_sdwa s[12:13], v6, s4 src0_sel:BYTE_3 src1_sel:DWORD
	s_mov_b64 s[4:5], -1
                                        ; implicit-def: $sgpr10
	s_and_saveexec_b64 s[8:9], s[12:13]
; %bb.2970:
	s_mov_b32 s10, 0x7f800001
	s_xor_b64 s[4:5], exec, -1
; %bb.2971:
	s_or_b64 exec, exec, s[8:9]
	s_and_b64 s[4:5], s[4:5], exec
	s_or_saveexec_b64 s[6:7], s[6:7]
	v_mov_b32_e32 v10, s10
	s_xor_b64 exec, exec, s[6:7]
	s_cbranch_execz .LBB56_922
.LBB56_2972:
	v_mov_b32_e32 v10, 0
	v_cmp_ne_u16_sdwa s[8:9], v6, v10 src0_sel:BYTE_3 src1_sel:DWORD
	s_andn2_b64 s[4:5], s[4:5], exec
	s_and_b64 s[8:9], s[8:9], exec
	s_or_b64 s[4:5], s[4:5], s[8:9]
	s_or_b64 exec, exec, s[6:7]
	s_and_saveexec_b64 s[6:7], s[4:5]
	s_cbranch_execnz .LBB56_923
	s_branch .LBB56_924
.LBB56_2973:
	s_movk_i32 s4, 0x80
	v_cmp_eq_u16_sdwa s[12:13], v2, s4 src0_sel:BYTE_3 src1_sel:DWORD
	s_mov_b64 s[4:5], -1
                                        ; implicit-def: $sgpr10
	s_and_saveexec_b64 s[8:9], s[12:13]
; %bb.2974:
	s_mov_b32 s10, 0x7f800001
	s_xor_b64 s[4:5], exec, -1
; %bb.2975:
	s_or_b64 exec, exec, s[8:9]
	s_and_b64 s[4:5], s[4:5], exec
	s_or_saveexec_b64 s[6:7], s[6:7]
	v_mov_b32_e32 v6, s10
	s_xor_b64 exec, exec, s[6:7]
	s_cbranch_execz .LBB56_926
.LBB56_2976:
	v_mov_b32_e32 v6, 0
	v_cmp_ne_u16_sdwa s[8:9], v2, v6 src0_sel:BYTE_3 src1_sel:DWORD
	s_andn2_b64 s[4:5], s[4:5], exec
	s_and_b64 s[8:9], s[8:9], exec
	s_or_b64 s[4:5], s[4:5], s[8:9]
	s_or_b64 exec, exec, s[6:7]
	s_and_saveexec_b64 s[6:7], s[4:5]
	s_cbranch_execnz .LBB56_927
	s_branch .LBB56_928
.LBB56_2977:
	s_movk_i32 s4, 0x80
	v_cmp_eq_u16_sdwa s[12:13], v7, s4 src0_sel:BYTE_0 src1_sel:DWORD
	s_mov_b64 s[4:5], -1
                                        ; implicit-def: $sgpr10
	s_and_saveexec_b64 s[8:9], s[12:13]
; %bb.2978:
	s_mov_b32 s10, 0x7f800001
	s_xor_b64 s[4:5], exec, -1
; %bb.2979:
	s_or_b64 exec, exec, s[8:9]
	s_and_b64 s[4:5], s[4:5], exec
	s_or_saveexec_b64 s[6:7], s[6:7]
	v_mov_b32_e32 v2, s10
	s_xor_b64 exec, exec, s[6:7]
	s_cbranch_execz .LBB56_930
.LBB56_2980:
	v_mov_b32_e32 v2, 0
	v_cmp_ne_u16_sdwa s[8:9], v7, v2 src0_sel:BYTE_0 src1_sel:DWORD
	s_andn2_b64 s[4:5], s[4:5], exec
	s_and_b64 s[8:9], s[8:9], exec
	s_or_b64 s[4:5], s[4:5], s[8:9]
	s_or_b64 exec, exec, s[6:7]
	s_and_saveexec_b64 s[6:7], s[4:5]
	s_cbranch_execnz .LBB56_931
	s_branch .LBB56_932
.LBB56_2981:
	s_movk_i32 s4, 0x80
	v_cmp_eq_u16_sdwa s[12:13], v3, s4 src0_sel:BYTE_0 src1_sel:DWORD
	s_mov_b64 s[4:5], -1
                                        ; implicit-def: $sgpr10
	s_and_saveexec_b64 s[8:9], s[12:13]
; %bb.2982:
	s_mov_b32 s10, 0x7f800001
	s_xor_b64 s[4:5], exec, -1
; %bb.2983:
	s_or_b64 exec, exec, s[8:9]
	s_and_b64 s[4:5], s[4:5], exec
	s_or_saveexec_b64 s[6:7], s[6:7]
	v_mov_b32_e32 v6, s10
	s_xor_b64 exec, exec, s[6:7]
	s_cbranch_execz .LBB56_934
.LBB56_2984:
	v_mov_b32_e32 v6, 0
	v_cmp_ne_u16_sdwa s[8:9], v3, v6 src0_sel:BYTE_0 src1_sel:DWORD
	s_andn2_b64 s[4:5], s[4:5], exec
	s_and_b64 s[8:9], s[8:9], exec
	s_or_b64 s[4:5], s[4:5], s[8:9]
	s_or_b64 exec, exec, s[6:7]
	s_and_saveexec_b64 s[6:7], s[4:5]
	s_cbranch_execnz .LBB56_935
	s_branch .LBB56_936
.LBB56_2985:
	s_movk_i32 s4, 0x80
	v_cmp_eq_u16_sdwa s[12:13], v6, s4 src0_sel:BYTE_0 src1_sel:DWORD
	s_mov_b64 s[4:5], -1
                                        ; implicit-def: $sgpr10
	s_and_saveexec_b64 s[8:9], s[12:13]
; %bb.2986:
	s_mov_b32 s10, 0x7f800001
	s_xor_b64 s[4:5], exec, -1
; %bb.2987:
	s_or_b64 exec, exec, s[8:9]
	s_and_b64 s[4:5], s[4:5], exec
	s_or_saveexec_b64 s[6:7], s[6:7]
	v_mov_b32_e32 v2, s10
	s_xor_b64 exec, exec, s[6:7]
	s_cbranch_execz .LBB56_938
.LBB56_2988:
	v_mov_b32_e32 v2, 0
	v_cmp_ne_u16_sdwa s[8:9], v6, v2 src0_sel:BYTE_0 src1_sel:DWORD
	s_andn2_b64 s[4:5], s[4:5], exec
	s_and_b64 s[8:9], s[8:9], exec
	s_or_b64 s[4:5], s[4:5], s[8:9]
	s_or_b64 exec, exec, s[6:7]
	s_and_saveexec_b64 s[6:7], s[4:5]
	s_cbranch_execnz .LBB56_939
	s_branch .LBB56_940
.LBB56_2989:
	s_movk_i32 s4, 0x80
	v_cmp_eq_u16_sdwa s[12:13], v6, s4 src0_sel:BYTE_0 src1_sel:DWORD
	s_mov_b64 s[4:5], -1
                                        ; implicit-def: $sgpr10
	s_and_saveexec_b64 s[8:9], s[12:13]
; %bb.2990:
	s_mov_b32 s10, 0x7f800001
	s_xor_b64 s[4:5], exec, -1
; %bb.2991:
	s_or_b64 exec, exec, s[8:9]
	s_and_b64 s[4:5], s[4:5], exec
	s_or_saveexec_b64 s[6:7], s[6:7]
	v_mov_b32_e32 v10, s10
	s_xor_b64 exec, exec, s[6:7]
	s_cbranch_execz .LBB56_942
.LBB56_2992:
	v_mov_b32_e32 v10, 0
	v_cmp_ne_u16_sdwa s[8:9], v6, v10 src0_sel:BYTE_0 src1_sel:DWORD
	s_andn2_b64 s[4:5], s[4:5], exec
	s_and_b64 s[8:9], s[8:9], exec
	s_or_b64 s[4:5], s[4:5], s[8:9]
	s_or_b64 exec, exec, s[6:7]
	s_and_saveexec_b64 s[6:7], s[4:5]
	s_cbranch_execnz .LBB56_943
	s_branch .LBB56_944
.LBB56_2993:
	s_movk_i32 s4, 0x80
	v_cmp_eq_u16_e32 vcc, s4, v6
	s_mov_b64 s[4:5], -1
                                        ; implicit-def: $sgpr10
	s_and_saveexec_b64 s[8:9], vcc
; %bb.2994:
	s_mov_b32 s10, 0x7f800001
	s_xor_b64 s[4:5], exec, -1
; %bb.2995:
	s_or_b64 exec, exec, s[8:9]
	s_and_b64 s[4:5], s[4:5], exec
                                        ; implicit-def: $vgpr6
	s_or_saveexec_b64 s[6:7], s[6:7]
	v_mov_b32_e32 v2, s10
	s_xor_b64 exec, exec, s[6:7]
	s_cbranch_execz .LBB56_946
.LBB56_2996:
	v_cmp_ne_u16_e32 vcc, 0, v6
	s_andn2_b64 s[4:5], s[4:5], exec
	s_and_b64 s[8:9], vcc, exec
	v_mov_b32_e32 v2, 0
	s_or_b64 s[4:5], s[4:5], s[8:9]
	s_or_b64 exec, exec, s[6:7]
	s_and_saveexec_b64 s[6:7], s[4:5]
	s_cbranch_execnz .LBB56_947
	s_branch .LBB56_948
.LBB56_2997:
	s_movk_i32 s4, 0x80
	v_cmp_eq_u16_e32 vcc, s4, v6
	s_mov_b64 s[4:5], -1
                                        ; implicit-def: $sgpr10
	s_and_saveexec_b64 s[8:9], vcc
; %bb.2998:
	s_mov_b32 s10, 0x7f800001
	s_xor_b64 s[4:5], exec, -1
; %bb.2999:
	s_or_b64 exec, exec, s[8:9]
	s_and_b64 s[4:5], s[4:5], exec
                                        ; implicit-def: $vgpr6
	s_or_saveexec_b64 s[6:7], s[6:7]
	v_mov_b32_e32 v10, s10
	s_xor_b64 exec, exec, s[6:7]
	s_cbranch_execz .LBB56_950
.LBB56_3000:
	v_cmp_ne_u16_e32 vcc, 0, v6
	s_andn2_b64 s[4:5], s[4:5], exec
	s_and_b64 s[8:9], vcc, exec
	v_mov_b32_e32 v10, 0
	s_or_b64 s[4:5], s[4:5], s[8:9]
	s_or_b64 exec, exec, s[6:7]
	s_and_saveexec_b64 s[6:7], s[4:5]
	s_cbranch_execnz .LBB56_951
	s_branch .LBB56_952
.LBB56_3001:
	s_movk_i32 s4, 0x80
	v_cmp_eq_u16_sdwa s[12:13], v7, s4 src0_sel:BYTE_3 src1_sel:DWORD
	s_mov_b64 s[4:5], -1
                                        ; implicit-def: $sgpr10
	s_and_saveexec_b64 s[8:9], s[12:13]
; %bb.3002:
	s_mov_b32 s10, 0x7f800001
	s_xor_b64 s[4:5], exec, -1
; %bb.3003:
	s_or_b64 exec, exec, s[8:9]
	s_and_b64 s[4:5], s[4:5], exec
	s_or_saveexec_b64 s[6:7], s[6:7]
	v_mov_b32_e32 v2, s10
	s_xor_b64 exec, exec, s[6:7]
	s_cbranch_execz .LBB56_954
.LBB56_3004:
	v_mov_b32_e32 v2, 0
	v_cmp_ne_u16_sdwa s[8:9], v7, v2 src0_sel:BYTE_3 src1_sel:DWORD
	s_andn2_b64 s[4:5], s[4:5], exec
	s_and_b64 s[8:9], s[8:9], exec
	s_or_b64 s[4:5], s[4:5], s[8:9]
	s_or_b64 exec, exec, s[6:7]
	s_and_saveexec_b64 s[6:7], s[4:5]
	s_cbranch_execnz .LBB56_955
	s_branch .LBB56_956
.LBB56_3005:
	s_movk_i32 s4, 0x80
	v_cmp_eq_u16_sdwa s[12:13], v3, s4 src0_sel:BYTE_3 src1_sel:DWORD
	s_mov_b64 s[4:5], -1
                                        ; implicit-def: $sgpr10
	s_and_saveexec_b64 s[8:9], s[12:13]
; %bb.3006:
	s_mov_b32 s10, 0x7f800001
	s_xor_b64 s[4:5], exec, -1
; %bb.3007:
	s_or_b64 exec, exec, s[8:9]
	s_and_b64 s[4:5], s[4:5], exec
	s_or_saveexec_b64 s[6:7], s[6:7]
	v_mov_b32_e32 v6, s10
	s_xor_b64 exec, exec, s[6:7]
	s_cbranch_execz .LBB56_958
.LBB56_3008:
	v_mov_b32_e32 v6, 0
	v_cmp_ne_u16_sdwa s[8:9], v3, v6 src0_sel:BYTE_3 src1_sel:DWORD
	s_andn2_b64 s[4:5], s[4:5], exec
	s_and_b64 s[8:9], s[8:9], exec
	s_or_b64 s[4:5], s[4:5], s[8:9]
	s_or_b64 exec, exec, s[6:7]
	s_and_saveexec_b64 s[6:7], s[4:5]
	s_cbranch_execnz .LBB56_959
	s_branch .LBB56_960
.LBB56_3009:
	s_movk_i32 s4, 0x80
	v_cmp_eq_u16_sdwa s[12:13], v8, s4 src0_sel:BYTE_0 src1_sel:DWORD
	s_mov_b64 s[4:5], -1
                                        ; implicit-def: $sgpr10
	s_and_saveexec_b64 s[8:9], s[12:13]
; %bb.3010:
	s_mov_b32 s10, 0x7f800001
	s_xor_b64 s[4:5], exec, -1
; %bb.3011:
	s_or_b64 exec, exec, s[8:9]
	s_and_b64 s[4:5], s[4:5], exec
	s_or_saveexec_b64 s[6:7], s[6:7]
	v_mov_b32_e32 v2, s10
	s_xor_b64 exec, exec, s[6:7]
	s_cbranch_execz .LBB56_962
.LBB56_3012:
	v_mov_b32_e32 v2, 0
	v_cmp_ne_u16_sdwa s[8:9], v8, v2 src0_sel:BYTE_0 src1_sel:DWORD
	s_andn2_b64 s[4:5], s[4:5], exec
	s_and_b64 s[8:9], s[8:9], exec
	s_or_b64 s[4:5], s[4:5], s[8:9]
	s_or_b64 exec, exec, s[6:7]
	s_and_saveexec_b64 s[6:7], s[4:5]
	s_cbranch_execnz .LBB56_963
	s_branch .LBB56_964
.LBB56_3013:
	s_movk_i32 s4, 0x80
	v_cmp_eq_u16_sdwa s[12:13], v4, s4 src0_sel:BYTE_0 src1_sel:DWORD
	s_mov_b64 s[4:5], -1
                                        ; implicit-def: $sgpr10
	s_and_saveexec_b64 s[8:9], s[12:13]
; %bb.3014:
	s_mov_b32 s10, 0x7f800001
	s_xor_b64 s[4:5], exec, -1
; %bb.3015:
	s_or_b64 exec, exec, s[8:9]
	s_and_b64 s[4:5], s[4:5], exec
	s_or_saveexec_b64 s[6:7], s[6:7]
	v_mov_b32_e32 v3, s10
	s_xor_b64 exec, exec, s[6:7]
	s_cbranch_execz .LBB56_966
.LBB56_3016:
	v_mov_b32_e32 v3, 0
	v_cmp_ne_u16_sdwa s[8:9], v4, v3 src0_sel:BYTE_0 src1_sel:DWORD
	s_andn2_b64 s[4:5], s[4:5], exec
	s_and_b64 s[8:9], s[8:9], exec
	s_or_b64 s[4:5], s[4:5], s[8:9]
	s_or_b64 exec, exec, s[6:7]
	s_and_saveexec_b64 s[6:7], s[4:5]
	s_cbranch_execnz .LBB56_967
	s_branch .LBB56_968
.LBB56_3017:
	s_movk_i32 s4, 0x80
	v_cmp_eq_u16_sdwa s[12:13], v3, s4 src0_sel:BYTE_0 src1_sel:DWORD
	s_mov_b64 s[4:5], -1
                                        ; implicit-def: $sgpr10
	s_and_saveexec_b64 s[8:9], s[12:13]
; %bb.3018:
	s_mov_b32 s10, 0x7f800001
	s_xor_b64 s[4:5], exec, -1
; %bb.3019:
	s_or_b64 exec, exec, s[8:9]
	s_and_b64 s[4:5], s[4:5], exec
	s_or_saveexec_b64 s[6:7], s[6:7]
	v_mov_b32_e32 v2, s10
	s_xor_b64 exec, exec, s[6:7]
	s_cbranch_execz .LBB56_970
.LBB56_3020:
	v_mov_b32_e32 v2, 0
	v_cmp_ne_u16_sdwa s[8:9], v3, v2 src0_sel:BYTE_0 src1_sel:DWORD
	s_andn2_b64 s[4:5], s[4:5], exec
	s_and_b64 s[8:9], s[8:9], exec
	s_or_b64 s[4:5], s[4:5], s[8:9]
	s_or_b64 exec, exec, s[6:7]
	s_and_saveexec_b64 s[6:7], s[4:5]
	s_cbranch_execnz .LBB56_971
	s_branch .LBB56_972
.LBB56_3021:
	s_movk_i32 s4, 0x80
	v_cmp_eq_u16_sdwa s[12:13], v3, s4 src0_sel:BYTE_0 src1_sel:DWORD
	s_mov_b64 s[4:5], -1
                                        ; implicit-def: $sgpr10
	s_and_saveexec_b64 s[8:9], s[12:13]
; %bb.3022:
	s_mov_b32 s10, 0x7f800001
	s_xor_b64 s[4:5], exec, -1
; %bb.3023:
	s_or_b64 exec, exec, s[8:9]
	s_and_b64 s[4:5], s[4:5], exec
	s_or_saveexec_b64 s[6:7], s[6:7]
	v_mov_b32_e32 v6, s10
	s_xor_b64 exec, exec, s[6:7]
	s_cbranch_execz .LBB56_974
.LBB56_3024:
	v_mov_b32_e32 v6, 0
	v_cmp_ne_u16_sdwa s[8:9], v3, v6 src0_sel:BYTE_0 src1_sel:DWORD
	s_andn2_b64 s[4:5], s[4:5], exec
	s_and_b64 s[8:9], s[8:9], exec
	s_or_b64 s[4:5], s[4:5], s[8:9]
	s_or_b64 exec, exec, s[6:7]
	s_and_saveexec_b64 s[6:7], s[4:5]
	s_cbranch_execnz .LBB56_975
	s_branch .LBB56_976
.LBB56_3025:
	s_movk_i32 s4, 0x80
	v_cmp_eq_u16_e32 vcc, s4, v3
	s_mov_b64 s[4:5], -1
                                        ; implicit-def: $sgpr10
	s_and_saveexec_b64 s[8:9], vcc
; %bb.3026:
	s_mov_b32 s10, 0x7f800001
	s_xor_b64 s[4:5], exec, -1
; %bb.3027:
	s_or_b64 exec, exec, s[8:9]
	s_and_b64 s[4:5], s[4:5], exec
                                        ; implicit-def: $vgpr3
	s_or_saveexec_b64 s[6:7], s[6:7]
	v_mov_b32_e32 v2, s10
	s_xor_b64 exec, exec, s[6:7]
	s_cbranch_execz .LBB56_978
.LBB56_3028:
	v_cmp_ne_u16_e32 vcc, 0, v3
	s_andn2_b64 s[4:5], s[4:5], exec
	s_and_b64 s[8:9], vcc, exec
	v_mov_b32_e32 v2, 0
	s_or_b64 s[4:5], s[4:5], s[8:9]
	s_or_b64 exec, exec, s[6:7]
	s_and_saveexec_b64 s[6:7], s[4:5]
	s_cbranch_execnz .LBB56_979
	s_branch .LBB56_980
.LBB56_3029:
	s_movk_i32 s4, 0x80
	v_cmp_eq_u16_e32 vcc, s4, v3
	s_mov_b64 s[4:5], -1
                                        ; implicit-def: $sgpr10
	s_and_saveexec_b64 s[8:9], vcc
; %bb.3030:
	s_mov_b32 s10, 0x7f800001
	s_xor_b64 s[4:5], exec, -1
; %bb.3031:
	s_or_b64 exec, exec, s[8:9]
	s_and_b64 s[4:5], s[4:5], exec
                                        ; implicit-def: $vgpr3
	s_or_saveexec_b64 s[6:7], s[6:7]
	v_mov_b32_e32 v6, s10
	s_xor_b64 exec, exec, s[6:7]
	s_cbranch_execz .LBB56_982
.LBB56_3032:
	v_cmp_ne_u16_e32 vcc, 0, v3
	s_andn2_b64 s[4:5], s[4:5], exec
	s_and_b64 s[8:9], vcc, exec
	v_mov_b32_e32 v6, 0
	s_or_b64 s[4:5], s[4:5], s[8:9]
	s_or_b64 exec, exec, s[6:7]
	s_and_saveexec_b64 s[6:7], s[4:5]
	s_cbranch_execnz .LBB56_983
	s_branch .LBB56_984
.LBB56_3033:
	s_movk_i32 s4, 0x80
	v_cmp_eq_u16_sdwa s[12:13], v8, s4 src0_sel:BYTE_3 src1_sel:DWORD
	s_mov_b64 s[4:5], -1
                                        ; implicit-def: $sgpr10
	s_and_saveexec_b64 s[8:9], s[12:13]
; %bb.3034:
	s_mov_b32 s10, 0x7f800001
	s_xor_b64 s[4:5], exec, -1
; %bb.3035:
	s_or_b64 exec, exec, s[8:9]
	s_and_b64 s[4:5], s[4:5], exec
	s_or_saveexec_b64 s[6:7], s[6:7]
	v_mov_b32_e32 v2, s10
	s_xor_b64 exec, exec, s[6:7]
	s_cbranch_execz .LBB56_986
.LBB56_3036:
	v_mov_b32_e32 v2, 0
	v_cmp_ne_u16_sdwa s[8:9], v8, v2 src0_sel:BYTE_3 src1_sel:DWORD
	s_andn2_b64 s[4:5], s[4:5], exec
	s_and_b64 s[8:9], s[8:9], exec
	s_or_b64 s[4:5], s[4:5], s[8:9]
	s_or_b64 exec, exec, s[6:7]
	s_and_saveexec_b64 s[6:7], s[4:5]
	s_cbranch_execnz .LBB56_987
	s_branch .LBB56_988
.LBB56_3037:
	s_movk_i32 s4, 0x80
	v_cmp_eq_u16_sdwa s[12:13], v4, s4 src0_sel:BYTE_3 src1_sel:DWORD
	s_mov_b64 s[4:5], -1
                                        ; implicit-def: $sgpr10
	s_and_saveexec_b64 s[8:9], s[12:13]
; %bb.3038:
	s_mov_b32 s10, 0x7f800001
	s_xor_b64 s[4:5], exec, -1
; %bb.3039:
	s_or_b64 exec, exec, s[8:9]
	s_and_b64 s[4:5], s[4:5], exec
	s_or_saveexec_b64 s[6:7], s[6:7]
	v_mov_b32_e32 v3, s10
	s_xor_b64 exec, exec, s[6:7]
	s_cbranch_execz .LBB56_990
.LBB56_3040:
	v_mov_b32_e32 v3, 0
	v_cmp_ne_u16_sdwa s[8:9], v4, v3 src0_sel:BYTE_3 src1_sel:DWORD
	s_andn2_b64 s[4:5], s[4:5], exec
	s_and_b64 s[8:9], s[8:9], exec
	s_or_b64 s[4:5], s[4:5], s[8:9]
	s_or_b64 exec, exec, s[6:7]
	s_and_saveexec_b64 s[6:7], s[4:5]
	s_cbranch_execnz .LBB56_991
	s_branch .LBB56_992
.LBB56_3041:
	s_movk_i32 s4, 0x80
	v_cmp_eq_u16_sdwa s[12:13], v9, s4 src0_sel:BYTE_0 src1_sel:DWORD
	s_mov_b64 s[4:5], -1
                                        ; implicit-def: $sgpr10
	s_and_saveexec_b64 s[8:9], s[12:13]
; %bb.3042:
	s_mov_b32 s10, 0x7f800001
	s_xor_b64 s[4:5], exec, -1
; %bb.3043:
	s_or_b64 exec, exec, s[8:9]
	s_and_b64 s[4:5], s[4:5], exec
	s_or_saveexec_b64 s[6:7], s[6:7]
	v_mov_b32_e32 v2, s10
	s_xor_b64 exec, exec, s[6:7]
	s_cbranch_execz .LBB56_994
.LBB56_3044:
	v_mov_b32_e32 v2, 0
	v_cmp_ne_u16_sdwa s[8:9], v9, v2 src0_sel:BYTE_0 src1_sel:DWORD
	s_andn2_b64 s[4:5], s[4:5], exec
	s_and_b64 s[8:9], s[8:9], exec
	s_or_b64 s[4:5], s[4:5], s[8:9]
	s_or_b64 exec, exec, s[6:7]
	s_and_saveexec_b64 s[6:7], s[4:5]
	s_cbranch_execnz .LBB56_995
	s_branch .LBB56_996
.LBB56_3045:
	s_movk_i32 s4, 0x80
	v_cmp_eq_u16_sdwa s[12:13], v5, s4 src0_sel:BYTE_0 src1_sel:DWORD
	s_mov_b64 s[4:5], -1
                                        ; implicit-def: $sgpr10
	s_and_saveexec_b64 s[8:9], s[12:13]
; %bb.3046:
	s_mov_b32 s10, 0x7f800001
	s_xor_b64 s[4:5], exec, -1
; %bb.3047:
	s_or_b64 exec, exec, s[8:9]
	s_and_b64 s[4:5], s[4:5], exec
	s_or_saveexec_b64 s[6:7], s[6:7]
	v_mov_b32_e32 v3, s10
	s_xor_b64 exec, exec, s[6:7]
	s_cbranch_execz .LBB56_998
.LBB56_3048:
	v_mov_b32_e32 v3, 0
	v_cmp_ne_u16_sdwa s[8:9], v5, v3 src0_sel:BYTE_0 src1_sel:DWORD
	s_andn2_b64 s[4:5], s[4:5], exec
	s_and_b64 s[8:9], s[8:9], exec
	s_or_b64 s[4:5], s[4:5], s[8:9]
	s_or_b64 exec, exec, s[6:7]
	s_and_saveexec_b64 s[6:7], s[4:5]
	s_cbranch_execnz .LBB56_999
	s_branch .LBB56_1000
.LBB56_3049:
	s_movk_i32 s4, 0x80
	v_cmp_eq_u16_sdwa s[12:13], v3, s4 src0_sel:BYTE_0 src1_sel:DWORD
	s_mov_b64 s[4:5], -1
                                        ; implicit-def: $sgpr10
	s_and_saveexec_b64 s[8:9], s[12:13]
; %bb.3050:
	s_mov_b32 s10, 0x7f800001
	s_xor_b64 s[4:5], exec, -1
; %bb.3051:
	s_or_b64 exec, exec, s[8:9]
	s_and_b64 s[4:5], s[4:5], exec
	s_or_saveexec_b64 s[6:7], s[6:7]
	v_mov_b32_e32 v2, s10
	s_xor_b64 exec, exec, s[6:7]
	s_cbranch_execz .LBB56_1002
.LBB56_3052:
	v_mov_b32_e32 v2, 0
	v_cmp_ne_u16_sdwa s[8:9], v3, v2 src0_sel:BYTE_0 src1_sel:DWORD
	s_andn2_b64 s[4:5], s[4:5], exec
	s_and_b64 s[8:9], s[8:9], exec
	s_or_b64 s[4:5], s[4:5], s[8:9]
	s_or_b64 exec, exec, s[6:7]
	s_and_saveexec_b64 s[6:7], s[4:5]
	s_cbranch_execnz .LBB56_1003
	s_branch .LBB56_1004
.LBB56_3053:
	s_movk_i32 s4, 0x80
	v_cmp_eq_u16_sdwa s[12:13], v3, s4 src0_sel:BYTE_0 src1_sel:DWORD
	s_mov_b64 s[4:5], -1
                                        ; implicit-def: $sgpr10
	s_and_saveexec_b64 s[8:9], s[12:13]
; %bb.3054:
	s_mov_b32 s10, 0x7f800001
	s_xor_b64 s[4:5], exec, -1
; %bb.3055:
	s_or_b64 exec, exec, s[8:9]
	s_and_b64 s[4:5], s[4:5], exec
	s_or_saveexec_b64 s[6:7], s[6:7]
	v_mov_b32_e32 v4, s10
	s_xor_b64 exec, exec, s[6:7]
	s_cbranch_execz .LBB56_1006
.LBB56_3056:
	v_mov_b32_e32 v4, 0
	v_cmp_ne_u16_sdwa s[8:9], v3, v4 src0_sel:BYTE_0 src1_sel:DWORD
	s_andn2_b64 s[4:5], s[4:5], exec
	s_and_b64 s[8:9], s[8:9], exec
	s_or_b64 s[4:5], s[4:5], s[8:9]
	s_or_b64 exec, exec, s[6:7]
	s_and_saveexec_b64 s[6:7], s[4:5]
	s_cbranch_execnz .LBB56_1007
	s_branch .LBB56_1008
.LBB56_3057:
	s_movk_i32 s4, 0x80
	v_cmp_eq_u16_e32 vcc, s4, v3
	s_mov_b64 s[4:5], -1
                                        ; implicit-def: $sgpr10
	s_and_saveexec_b64 s[8:9], vcc
; %bb.3058:
	s_mov_b32 s10, 0x7f800001
	s_xor_b64 s[4:5], exec, -1
; %bb.3059:
	s_or_b64 exec, exec, s[8:9]
	s_and_b64 s[4:5], s[4:5], exec
                                        ; implicit-def: $vgpr3
	s_or_saveexec_b64 s[6:7], s[6:7]
	v_mov_b32_e32 v2, s10
	s_xor_b64 exec, exec, s[6:7]
	s_cbranch_execz .LBB56_1010
.LBB56_3060:
	v_cmp_ne_u16_e32 vcc, 0, v3
	s_andn2_b64 s[4:5], s[4:5], exec
	s_and_b64 s[8:9], vcc, exec
	v_mov_b32_e32 v2, 0
	s_or_b64 s[4:5], s[4:5], s[8:9]
	s_or_b64 exec, exec, s[6:7]
	s_and_saveexec_b64 s[6:7], s[4:5]
	s_cbranch_execnz .LBB56_1011
	s_branch .LBB56_1012
.LBB56_3061:
	s_movk_i32 s4, 0x80
	v_cmp_eq_u16_e32 vcc, s4, v3
	s_mov_b64 s[4:5], -1
                                        ; implicit-def: $sgpr10
	s_and_saveexec_b64 s[8:9], vcc
; %bb.3062:
	s_mov_b32 s10, 0x7f800001
	s_xor_b64 s[4:5], exec, -1
; %bb.3063:
	s_or_b64 exec, exec, s[8:9]
	s_and_b64 s[4:5], s[4:5], exec
                                        ; implicit-def: $vgpr3
	s_or_saveexec_b64 s[6:7], s[6:7]
	v_mov_b32_e32 v4, s10
	s_xor_b64 exec, exec, s[6:7]
	s_cbranch_execz .LBB56_1014
.LBB56_3064:
	v_cmp_ne_u16_e32 vcc, 0, v3
	s_andn2_b64 s[4:5], s[4:5], exec
	s_and_b64 s[8:9], vcc, exec
	v_mov_b32_e32 v4, 0
	s_or_b64 s[4:5], s[4:5], s[8:9]
	s_or_b64 exec, exec, s[6:7]
	s_and_saveexec_b64 s[6:7], s[4:5]
	s_cbranch_execnz .LBB56_1015
	s_branch .LBB56_1016
.LBB56_3065:
	s_movk_i32 s4, 0x80
	v_cmp_eq_u16_sdwa s[12:13], v9, s4 src0_sel:BYTE_3 src1_sel:DWORD
	s_mov_b64 s[4:5], -1
                                        ; implicit-def: $sgpr10
	s_and_saveexec_b64 s[8:9], s[12:13]
; %bb.3066:
	s_mov_b32 s10, 0x7f800001
	s_xor_b64 s[4:5], exec, -1
; %bb.3067:
	s_or_b64 exec, exec, s[8:9]
	s_and_b64 s[4:5], s[4:5], exec
	s_or_saveexec_b64 s[6:7], s[6:7]
	v_mov_b32_e32 v2, s10
	s_xor_b64 exec, exec, s[6:7]
	s_cbranch_execz .LBB56_1018
.LBB56_3068:
	v_mov_b32_e32 v2, 0
	v_cmp_ne_u16_sdwa s[8:9], v9, v2 src0_sel:BYTE_3 src1_sel:DWORD
	s_andn2_b64 s[4:5], s[4:5], exec
	s_and_b64 s[8:9], s[8:9], exec
	s_or_b64 s[4:5], s[4:5], s[8:9]
	s_or_b64 exec, exec, s[6:7]
	s_and_saveexec_b64 s[6:7], s[4:5]
	s_cbranch_execnz .LBB56_1019
	s_branch .LBB56_1020
.LBB56_3069:
	s_movk_i32 s4, 0x80
	v_cmp_eq_u16_sdwa s[12:13], v5, s4 src0_sel:BYTE_3 src1_sel:DWORD
	s_mov_b64 s[4:5], -1
                                        ; implicit-def: $sgpr10
	s_and_saveexec_b64 s[8:9], s[12:13]
; %bb.3070:
	s_mov_b32 s10, 0x7f800001
	s_xor_b64 s[4:5], exec, -1
; %bb.3071:
	s_or_b64 exec, exec, s[8:9]
	s_and_b64 s[4:5], s[4:5], exec
	s_or_saveexec_b64 s[6:7], s[6:7]
	v_mov_b32_e32 v3, s10
	s_xor_b64 exec, exec, s[6:7]
	s_cbranch_execz .LBB56_1022
.LBB56_3072:
	v_mov_b32_e32 v3, 0
	v_cmp_ne_u16_sdwa s[8:9], v5, v3 src0_sel:BYTE_3 src1_sel:DWORD
	s_andn2_b64 s[4:5], s[4:5], exec
	s_and_b64 s[8:9], s[8:9], exec
	s_or_b64 s[4:5], s[4:5], s[8:9]
	s_or_b64 exec, exec, s[6:7]
	s_and_saveexec_b64 s[6:7], s[4:5]
	s_cbranch_execnz .LBB56_1023
	s_branch .LBB56_1024
.LBB56_3073:
	s_movk_i32 s4, 0x80
	v_cmp_eq_u16_sdwa s[12:13], v14, s4 src0_sel:BYTE_0 src1_sel:DWORD
	s_mov_b64 s[4:5], -1
                                        ; implicit-def: $sgpr10
	s_and_saveexec_b64 s[8:9], s[12:13]
; %bb.3074:
	s_mov_b32 s10, 0x7f800001
	s_xor_b64 s[4:5], exec, -1
; %bb.3075:
	s_or_b64 exec, exec, s[8:9]
	s_and_b64 s[4:5], s[4:5], exec
	s_or_saveexec_b64 s[6:7], s[6:7]
	v_mov_b32_e32 v20, s10
	s_xor_b64 exec, exec, s[6:7]
	s_cbranch_execz .LBB56_1026
.LBB56_3076:
	v_mov_b32_e32 v20, 0
	v_cmp_ne_u16_sdwa s[8:9], v14, v20 src0_sel:BYTE_0 src1_sel:DWORD
	s_andn2_b64 s[4:5], s[4:5], exec
	s_and_b64 s[8:9], s[8:9], exec
	s_or_b64 s[4:5], s[4:5], s[8:9]
	s_or_b64 exec, exec, s[6:7]
	s_and_saveexec_b64 s[6:7], s[4:5]
	s_cbranch_execnz .LBB56_1027
	s_branch .LBB56_1028
.LBB56_3077:
	s_movk_i32 s4, 0x80
	v_cmp_eq_u16_sdwa s[12:13], v10, s4 src0_sel:BYTE_0 src1_sel:DWORD
	s_mov_b64 s[4:5], -1
                                        ; implicit-def: $sgpr10
	s_and_saveexec_b64 s[8:9], s[12:13]
; %bb.3078:
	s_mov_b32 s10, 0x7f800001
	s_xor_b64 s[4:5], exec, -1
; %bb.3079:
	s_or_b64 exec, exec, s[8:9]
	s_and_b64 s[4:5], s[4:5], exec
	s_or_saveexec_b64 s[6:7], s[6:7]
	v_mov_b32_e32 v21, s10
	s_xor_b64 exec, exec, s[6:7]
	s_cbranch_execz .LBB56_1030
.LBB56_3080:
	v_mov_b32_e32 v21, 0
	v_cmp_ne_u16_sdwa s[8:9], v10, v21 src0_sel:BYTE_0 src1_sel:DWORD
	s_andn2_b64 s[4:5], s[4:5], exec
	s_and_b64 s[8:9], s[8:9], exec
	s_or_b64 s[4:5], s[4:5], s[8:9]
	s_or_b64 exec, exec, s[6:7]
	s_and_saveexec_b64 s[6:7], s[4:5]
	s_cbranch_execnz .LBB56_1031
	s_branch .LBB56_1032
.LBB56_3081:
	s_movk_i32 s4, 0x80
	v_cmp_eq_u16_sdwa s[12:13], v21, s4 src0_sel:BYTE_0 src1_sel:DWORD
	s_mov_b64 s[4:5], -1
                                        ; implicit-def: $sgpr10
	s_and_saveexec_b64 s[8:9], s[12:13]
; %bb.3082:
	s_mov_b32 s10, 0x7f800001
	s_xor_b64 s[4:5], exec, -1
; %bb.3083:
	s_or_b64 exec, exec, s[8:9]
	s_and_b64 s[4:5], s[4:5], exec
	s_or_saveexec_b64 s[6:7], s[6:7]
	v_mov_b32_e32 v20, s10
	s_xor_b64 exec, exec, s[6:7]
	s_cbranch_execz .LBB56_1034
.LBB56_3084:
	v_mov_b32_e32 v20, 0
	v_cmp_ne_u16_sdwa s[8:9], v21, v20 src0_sel:BYTE_0 src1_sel:DWORD
	s_andn2_b64 s[4:5], s[4:5], exec
	s_and_b64 s[8:9], s[8:9], exec
	s_or_b64 s[4:5], s[4:5], s[8:9]
	s_or_b64 exec, exec, s[6:7]
	s_and_saveexec_b64 s[6:7], s[4:5]
	s_cbranch_execnz .LBB56_1035
	s_branch .LBB56_1036
.LBB56_3085:
	s_movk_i32 s4, 0x80
	v_cmp_eq_u16_sdwa s[12:13], v21, s4 src0_sel:BYTE_0 src1_sel:DWORD
	s_mov_b64 s[4:5], -1
                                        ; implicit-def: $sgpr10
	s_and_saveexec_b64 s[8:9], s[12:13]
; %bb.3086:
	s_mov_b32 s10, 0x7f800001
	s_xor_b64 s[4:5], exec, -1
; %bb.3087:
	s_or_b64 exec, exec, s[8:9]
	s_and_b64 s[4:5], s[4:5], exec
	s_or_saveexec_b64 s[6:7], s[6:7]
	v_mov_b32_e32 v22, s10
	s_xor_b64 exec, exec, s[6:7]
	s_cbranch_execz .LBB56_1038
.LBB56_3088:
	v_mov_b32_e32 v22, 0
	v_cmp_ne_u16_sdwa s[8:9], v21, v22 src0_sel:BYTE_0 src1_sel:DWORD
	s_andn2_b64 s[4:5], s[4:5], exec
	s_and_b64 s[8:9], s[8:9], exec
	s_or_b64 s[4:5], s[4:5], s[8:9]
	s_or_b64 exec, exec, s[6:7]
	s_and_saveexec_b64 s[6:7], s[4:5]
	s_cbranch_execnz .LBB56_1039
	s_branch .LBB56_1040
.LBB56_3089:
	s_movk_i32 s4, 0x80
	v_cmp_eq_u16_e32 vcc, s4, v21
	s_mov_b64 s[4:5], -1
                                        ; implicit-def: $sgpr10
	s_and_saveexec_b64 s[8:9], vcc
; %bb.3090:
	s_mov_b32 s10, 0x7f800001
	s_xor_b64 s[4:5], exec, -1
; %bb.3091:
	s_or_b64 exec, exec, s[8:9]
	s_and_b64 s[4:5], s[4:5], exec
                                        ; implicit-def: $vgpr21
	s_or_saveexec_b64 s[6:7], s[6:7]
	v_mov_b32_e32 v20, s10
	s_xor_b64 exec, exec, s[6:7]
	s_cbranch_execz .LBB56_1042
.LBB56_3092:
	v_cmp_ne_u16_e32 vcc, 0, v21
	s_andn2_b64 s[4:5], s[4:5], exec
	s_and_b64 s[8:9], vcc, exec
	v_mov_b32_e32 v20, 0
	s_or_b64 s[4:5], s[4:5], s[8:9]
	s_or_b64 exec, exec, s[6:7]
	s_and_saveexec_b64 s[6:7], s[4:5]
	s_cbranch_execnz .LBB56_1043
	s_branch .LBB56_1044
.LBB56_3093:
	s_movk_i32 s4, 0x80
	v_cmp_eq_u16_e32 vcc, s4, v21
	s_mov_b64 s[4:5], -1
                                        ; implicit-def: $sgpr10
	s_and_saveexec_b64 s[8:9], vcc
; %bb.3094:
	s_mov_b32 s10, 0x7f800001
	s_xor_b64 s[4:5], exec, -1
; %bb.3095:
	s_or_b64 exec, exec, s[8:9]
	s_and_b64 s[4:5], s[4:5], exec
                                        ; implicit-def: $vgpr21
	s_or_saveexec_b64 s[6:7], s[6:7]
	v_mov_b32_e32 v22, s10
	s_xor_b64 exec, exec, s[6:7]
	s_cbranch_execz .LBB56_1046
.LBB56_3096:
	v_cmp_ne_u16_e32 vcc, 0, v21
	s_andn2_b64 s[4:5], s[4:5], exec
	s_and_b64 s[8:9], vcc, exec
	v_mov_b32_e32 v22, 0
	s_or_b64 s[4:5], s[4:5], s[8:9]
	s_or_b64 exec, exec, s[6:7]
	s_and_saveexec_b64 s[6:7], s[4:5]
	s_cbranch_execnz .LBB56_1047
	s_branch .LBB56_1048
.LBB56_3097:
	s_movk_i32 s4, 0x80
	v_cmp_eq_u16_sdwa s[12:13], v14, s4 src0_sel:BYTE_3 src1_sel:DWORD
	s_mov_b64 s[4:5], -1
                                        ; implicit-def: $sgpr10
	s_and_saveexec_b64 s[8:9], s[12:13]
; %bb.3098:
	s_mov_b32 s10, 0x7f800001
	s_xor_b64 s[4:5], exec, -1
; %bb.3099:
	s_or_b64 exec, exec, s[8:9]
	s_and_b64 s[4:5], s[4:5], exec
	s_or_saveexec_b64 s[6:7], s[6:7]
	v_mov_b32_e32 v20, s10
	s_xor_b64 exec, exec, s[6:7]
	s_cbranch_execz .LBB56_1050
.LBB56_3100:
	v_mov_b32_e32 v20, 0
	v_cmp_ne_u16_sdwa s[8:9], v14, v20 src0_sel:BYTE_3 src1_sel:DWORD
	s_andn2_b64 s[4:5], s[4:5], exec
	s_and_b64 s[8:9], s[8:9], exec
	s_or_b64 s[4:5], s[4:5], s[8:9]
	s_or_b64 exec, exec, s[6:7]
	s_and_saveexec_b64 s[6:7], s[4:5]
	s_cbranch_execnz .LBB56_1051
	s_branch .LBB56_1052
.LBB56_3101:
	s_movk_i32 s4, 0x80
	v_cmp_eq_u16_sdwa s[12:13], v10, s4 src0_sel:BYTE_3 src1_sel:DWORD
	s_mov_b64 s[4:5], -1
                                        ; implicit-def: $sgpr10
	s_and_saveexec_b64 s[8:9], s[12:13]
; %bb.3102:
	s_mov_b32 s10, 0x7f800001
	s_xor_b64 s[4:5], exec, -1
; %bb.3103:
	s_or_b64 exec, exec, s[8:9]
	s_and_b64 s[4:5], s[4:5], exec
	s_or_saveexec_b64 s[6:7], s[6:7]
	v_mov_b32_e32 v14, s10
	s_xor_b64 exec, exec, s[6:7]
	s_cbranch_execz .LBB56_1054
.LBB56_3104:
	v_mov_b32_e32 v14, 0
	v_cmp_ne_u16_sdwa s[8:9], v10, v14 src0_sel:BYTE_3 src1_sel:DWORD
	s_andn2_b64 s[4:5], s[4:5], exec
	s_and_b64 s[8:9], s[8:9], exec
	s_or_b64 s[4:5], s[4:5], s[8:9]
	s_or_b64 exec, exec, s[6:7]
	s_and_saveexec_b64 s[6:7], s[4:5]
	s_cbranch_execnz .LBB56_1055
	s_branch .LBB56_1056
.LBB56_3105:
	s_movk_i32 s4, 0x80
	v_cmp_eq_u16_sdwa s[12:13], v15, s4 src0_sel:BYTE_0 src1_sel:DWORD
	s_mov_b64 s[4:5], -1
                                        ; implicit-def: $sgpr10
	s_and_saveexec_b64 s[8:9], s[12:13]
; %bb.3106:
	s_mov_b32 s10, 0x7f800001
	s_xor_b64 s[4:5], exec, -1
; %bb.3107:
	s_or_b64 exec, exec, s[8:9]
	s_and_b64 s[4:5], s[4:5], exec
	s_or_saveexec_b64 s[6:7], s[6:7]
	v_mov_b32_e32 v10, s10
	s_xor_b64 exec, exec, s[6:7]
	s_cbranch_execz .LBB56_1058
.LBB56_3108:
	v_mov_b32_e32 v10, 0
	v_cmp_ne_u16_sdwa s[8:9], v15, v10 src0_sel:BYTE_0 src1_sel:DWORD
	s_andn2_b64 s[4:5], s[4:5], exec
	s_and_b64 s[8:9], s[8:9], exec
	s_or_b64 s[4:5], s[4:5], s[8:9]
	s_or_b64 exec, exec, s[6:7]
	s_and_saveexec_b64 s[6:7], s[4:5]
	s_cbranch_execnz .LBB56_1059
	s_branch .LBB56_1060
.LBB56_3109:
	s_movk_i32 s4, 0x80
	v_cmp_eq_u16_sdwa s[12:13], v11, s4 src0_sel:BYTE_0 src1_sel:DWORD
	s_mov_b64 s[4:5], -1
                                        ; implicit-def: $sgpr10
	s_and_saveexec_b64 s[8:9], s[12:13]
; %bb.3110:
	s_mov_b32 s10, 0x7f800001
	s_xor_b64 s[4:5], exec, -1
; %bb.3111:
	s_or_b64 exec, exec, s[8:9]
	s_and_b64 s[4:5], s[4:5], exec
	s_or_saveexec_b64 s[6:7], s[6:7]
	v_mov_b32_e32 v14, s10
	s_xor_b64 exec, exec, s[6:7]
	s_cbranch_execz .LBB56_1062
.LBB56_3112:
	v_mov_b32_e32 v14, 0
	v_cmp_ne_u16_sdwa s[8:9], v11, v14 src0_sel:BYTE_0 src1_sel:DWORD
	s_andn2_b64 s[4:5], s[4:5], exec
	s_and_b64 s[8:9], s[8:9], exec
	s_or_b64 s[4:5], s[4:5], s[8:9]
	s_or_b64 exec, exec, s[6:7]
	s_and_saveexec_b64 s[6:7], s[4:5]
	s_cbranch_execnz .LBB56_1063
	s_branch .LBB56_1064
.LBB56_3113:
	s_movk_i32 s4, 0x80
	v_cmp_eq_u16_sdwa s[12:13], v14, s4 src0_sel:BYTE_0 src1_sel:DWORD
	s_mov_b64 s[4:5], -1
                                        ; implicit-def: $sgpr10
	s_and_saveexec_b64 s[8:9], s[12:13]
; %bb.3114:
	s_mov_b32 s10, 0x7f800001
	s_xor_b64 s[4:5], exec, -1
; %bb.3115:
	s_or_b64 exec, exec, s[8:9]
	s_and_b64 s[4:5], s[4:5], exec
	s_or_saveexec_b64 s[6:7], s[6:7]
	v_mov_b32_e32 v10, s10
	s_xor_b64 exec, exec, s[6:7]
	s_cbranch_execz .LBB56_1066
.LBB56_3116:
	v_mov_b32_e32 v10, 0
	v_cmp_ne_u16_sdwa s[8:9], v14, v10 src0_sel:BYTE_0 src1_sel:DWORD
	s_andn2_b64 s[4:5], s[4:5], exec
	s_and_b64 s[8:9], s[8:9], exec
	s_or_b64 s[4:5], s[4:5], s[8:9]
	s_or_b64 exec, exec, s[6:7]
	s_and_saveexec_b64 s[6:7], s[4:5]
	s_cbranch_execnz .LBB56_1067
	s_branch .LBB56_1068
.LBB56_3117:
	s_movk_i32 s4, 0x80
	v_cmp_eq_u16_sdwa s[12:13], v14, s4 src0_sel:BYTE_0 src1_sel:DWORD
	s_mov_b64 s[4:5], -1
                                        ; implicit-def: $sgpr10
	s_and_saveexec_b64 s[8:9], s[12:13]
; %bb.3118:
	s_mov_b32 s10, 0x7f800001
	s_xor_b64 s[4:5], exec, -1
; %bb.3119:
	s_or_b64 exec, exec, s[8:9]
	s_and_b64 s[4:5], s[4:5], exec
	s_or_saveexec_b64 s[6:7], s[6:7]
	v_mov_b32_e32 v20, s10
	s_xor_b64 exec, exec, s[6:7]
	s_cbranch_execz .LBB56_1070
.LBB56_3120:
	v_mov_b32_e32 v20, 0
	v_cmp_ne_u16_sdwa s[8:9], v14, v20 src0_sel:BYTE_0 src1_sel:DWORD
	s_andn2_b64 s[4:5], s[4:5], exec
	s_and_b64 s[8:9], s[8:9], exec
	s_or_b64 s[4:5], s[4:5], s[8:9]
	s_or_b64 exec, exec, s[6:7]
	s_and_saveexec_b64 s[6:7], s[4:5]
	s_cbranch_execnz .LBB56_1071
	s_branch .LBB56_1072
.LBB56_3121:
	s_movk_i32 s4, 0x80
	v_cmp_eq_u16_e32 vcc, s4, v14
	s_mov_b64 s[4:5], -1
                                        ; implicit-def: $sgpr10
	s_and_saveexec_b64 s[8:9], vcc
; %bb.3122:
	s_mov_b32 s10, 0x7f800001
	s_xor_b64 s[4:5], exec, -1
; %bb.3123:
	s_or_b64 exec, exec, s[8:9]
	s_and_b64 s[4:5], s[4:5], exec
                                        ; implicit-def: $vgpr14
	s_or_saveexec_b64 s[6:7], s[6:7]
	v_mov_b32_e32 v10, s10
	s_xor_b64 exec, exec, s[6:7]
	s_cbranch_execz .LBB56_1074
.LBB56_3124:
	v_cmp_ne_u16_e32 vcc, 0, v14
	s_andn2_b64 s[4:5], s[4:5], exec
	s_and_b64 s[8:9], vcc, exec
	v_mov_b32_e32 v10, 0
	s_or_b64 s[4:5], s[4:5], s[8:9]
	s_or_b64 exec, exec, s[6:7]
	s_and_saveexec_b64 s[6:7], s[4:5]
	s_cbranch_execnz .LBB56_1075
	s_branch .LBB56_1076
.LBB56_3125:
	s_movk_i32 s4, 0x80
	v_cmp_eq_u16_e32 vcc, s4, v14
	s_mov_b64 s[4:5], -1
                                        ; implicit-def: $sgpr10
	s_and_saveexec_b64 s[8:9], vcc
; %bb.3126:
	s_mov_b32 s10, 0x7f800001
	s_xor_b64 s[4:5], exec, -1
; %bb.3127:
	s_or_b64 exec, exec, s[8:9]
	s_and_b64 s[4:5], s[4:5], exec
                                        ; implicit-def: $vgpr14
	s_or_saveexec_b64 s[6:7], s[6:7]
	v_mov_b32_e32 v20, s10
	s_xor_b64 exec, exec, s[6:7]
	s_cbranch_execz .LBB56_1078
.LBB56_3128:
	v_cmp_ne_u16_e32 vcc, 0, v14
	s_andn2_b64 s[4:5], s[4:5], exec
	s_and_b64 s[8:9], vcc, exec
	v_mov_b32_e32 v20, 0
	s_or_b64 s[4:5], s[4:5], s[8:9]
	s_or_b64 exec, exec, s[6:7]
	s_and_saveexec_b64 s[6:7], s[4:5]
	s_cbranch_execnz .LBB56_1079
	s_branch .LBB56_1080
.LBB56_3129:
	s_movk_i32 s4, 0x80
	v_cmp_eq_u16_sdwa s[12:13], v15, s4 src0_sel:BYTE_3 src1_sel:DWORD
	s_mov_b64 s[4:5], -1
                                        ; implicit-def: $sgpr10
	s_and_saveexec_b64 s[8:9], s[12:13]
; %bb.3130:
	s_mov_b32 s10, 0x7f800001
	s_xor_b64 s[4:5], exec, -1
; %bb.3131:
	s_or_b64 exec, exec, s[8:9]
	s_and_b64 s[4:5], s[4:5], exec
	s_or_saveexec_b64 s[6:7], s[6:7]
	v_mov_b32_e32 v10, s10
	s_xor_b64 exec, exec, s[6:7]
	s_cbranch_execz .LBB56_1082
.LBB56_3132:
	v_mov_b32_e32 v10, 0
	v_cmp_ne_u16_sdwa s[8:9], v15, v10 src0_sel:BYTE_3 src1_sel:DWORD
	s_andn2_b64 s[4:5], s[4:5], exec
	s_and_b64 s[8:9], s[8:9], exec
	s_or_b64 s[4:5], s[4:5], s[8:9]
	s_or_b64 exec, exec, s[6:7]
	s_and_saveexec_b64 s[6:7], s[4:5]
	s_cbranch_execnz .LBB56_1083
	s_branch .LBB56_1084
.LBB56_3133:
	s_movk_i32 s4, 0x80
	v_cmp_eq_u16_sdwa s[12:13], v11, s4 src0_sel:BYTE_3 src1_sel:DWORD
	s_mov_b64 s[4:5], -1
                                        ; implicit-def: $sgpr10
	s_and_saveexec_b64 s[8:9], s[12:13]
; %bb.3134:
	s_mov_b32 s10, 0x7f800001
	s_xor_b64 s[4:5], exec, -1
; %bb.3135:
	s_or_b64 exec, exec, s[8:9]
	s_and_b64 s[4:5], s[4:5], exec
	s_or_saveexec_b64 s[6:7], s[6:7]
	v_mov_b32_e32 v14, s10
	s_xor_b64 exec, exec, s[6:7]
	s_cbranch_execz .LBB56_1086
.LBB56_3136:
	v_mov_b32_e32 v14, 0
	v_cmp_ne_u16_sdwa s[8:9], v11, v14 src0_sel:BYTE_3 src1_sel:DWORD
	s_andn2_b64 s[4:5], s[4:5], exec
	s_and_b64 s[8:9], s[8:9], exec
	s_or_b64 s[4:5], s[4:5], s[8:9]
	s_or_b64 exec, exec, s[6:7]
	s_and_saveexec_b64 s[6:7], s[4:5]
	s_cbranch_execnz .LBB56_1087
	s_branch .LBB56_1088
.LBB56_3137:
	s_movk_i32 s4, 0x80
	v_cmp_eq_u16_sdwa s[12:13], v16, s4 src0_sel:BYTE_0 src1_sel:DWORD
	s_mov_b64 s[4:5], -1
                                        ; implicit-def: $sgpr10
	s_and_saveexec_b64 s[8:9], s[12:13]
; %bb.3138:
	s_mov_b32 s10, 0x7f800001
	s_xor_b64 s[4:5], exec, -1
; %bb.3139:
	s_or_b64 exec, exec, s[8:9]
	s_and_b64 s[4:5], s[4:5], exec
	s_or_saveexec_b64 s[6:7], s[6:7]
	v_mov_b32_e32 v10, s10
	s_xor_b64 exec, exec, s[6:7]
	s_cbranch_execz .LBB56_1090
.LBB56_3140:
	v_mov_b32_e32 v10, 0
	v_cmp_ne_u16_sdwa s[8:9], v16, v10 src0_sel:BYTE_0 src1_sel:DWORD
	s_andn2_b64 s[4:5], s[4:5], exec
	s_and_b64 s[8:9], s[8:9], exec
	s_or_b64 s[4:5], s[4:5], s[8:9]
	s_or_b64 exec, exec, s[6:7]
	s_and_saveexec_b64 s[6:7], s[4:5]
	s_cbranch_execnz .LBB56_1091
	s_branch .LBB56_1092
.LBB56_3141:
	s_movk_i32 s4, 0x80
	v_cmp_eq_u16_sdwa s[12:13], v12, s4 src0_sel:BYTE_0 src1_sel:DWORD
	s_mov_b64 s[4:5], -1
                                        ; implicit-def: $sgpr10
	s_and_saveexec_b64 s[8:9], s[12:13]
; %bb.3142:
	s_mov_b32 s10, 0x7f800001
	s_xor_b64 s[4:5], exec, -1
; %bb.3143:
	s_or_b64 exec, exec, s[8:9]
	s_and_b64 s[4:5], s[4:5], exec
	s_or_saveexec_b64 s[6:7], s[6:7]
	v_mov_b32_e32 v11, s10
	s_xor_b64 exec, exec, s[6:7]
	s_cbranch_execz .LBB56_1094
.LBB56_3144:
	v_mov_b32_e32 v11, 0
	v_cmp_ne_u16_sdwa s[8:9], v12, v11 src0_sel:BYTE_0 src1_sel:DWORD
	s_andn2_b64 s[4:5], s[4:5], exec
	s_and_b64 s[8:9], s[8:9], exec
	s_or_b64 s[4:5], s[4:5], s[8:9]
	s_or_b64 exec, exec, s[6:7]
	s_and_saveexec_b64 s[6:7], s[4:5]
	s_cbranch_execnz .LBB56_1095
	s_branch .LBB56_1096
.LBB56_3145:
	s_movk_i32 s4, 0x80
	v_cmp_eq_u16_sdwa s[12:13], v11, s4 src0_sel:BYTE_0 src1_sel:DWORD
	s_mov_b64 s[4:5], -1
                                        ; implicit-def: $sgpr10
	s_and_saveexec_b64 s[8:9], s[12:13]
; %bb.3146:
	s_mov_b32 s10, 0x7f800001
	s_xor_b64 s[4:5], exec, -1
; %bb.3147:
	s_or_b64 exec, exec, s[8:9]
	s_and_b64 s[4:5], s[4:5], exec
	s_or_saveexec_b64 s[6:7], s[6:7]
	v_mov_b32_e32 v10, s10
	s_xor_b64 exec, exec, s[6:7]
	s_cbranch_execz .LBB56_1098
.LBB56_3148:
	v_mov_b32_e32 v10, 0
	v_cmp_ne_u16_sdwa s[8:9], v11, v10 src0_sel:BYTE_0 src1_sel:DWORD
	s_andn2_b64 s[4:5], s[4:5], exec
	s_and_b64 s[8:9], s[8:9], exec
	s_or_b64 s[4:5], s[4:5], s[8:9]
	s_or_b64 exec, exec, s[6:7]
	s_and_saveexec_b64 s[6:7], s[4:5]
	s_cbranch_execnz .LBB56_1099
	s_branch .LBB56_1100
.LBB56_3149:
	s_movk_i32 s4, 0x80
	v_cmp_eq_u16_sdwa s[12:13], v11, s4 src0_sel:BYTE_0 src1_sel:DWORD
	s_mov_b64 s[4:5], -1
                                        ; implicit-def: $sgpr10
	s_and_saveexec_b64 s[8:9], s[12:13]
; %bb.3150:
	s_mov_b32 s10, 0x7f800001
	s_xor_b64 s[4:5], exec, -1
; %bb.3151:
	s_or_b64 exec, exec, s[8:9]
	s_and_b64 s[4:5], s[4:5], exec
	s_or_saveexec_b64 s[6:7], s[6:7]
	v_mov_b32_e32 v14, s10
	s_xor_b64 exec, exec, s[6:7]
	s_cbranch_execz .LBB56_1102
.LBB56_3152:
	v_mov_b32_e32 v14, 0
	v_cmp_ne_u16_sdwa s[8:9], v11, v14 src0_sel:BYTE_0 src1_sel:DWORD
	s_andn2_b64 s[4:5], s[4:5], exec
	s_and_b64 s[8:9], s[8:9], exec
	s_or_b64 s[4:5], s[4:5], s[8:9]
	s_or_b64 exec, exec, s[6:7]
	s_and_saveexec_b64 s[6:7], s[4:5]
	s_cbranch_execnz .LBB56_1103
	s_branch .LBB56_1104
.LBB56_3153:
	s_movk_i32 s4, 0x80
	v_cmp_eq_u16_e32 vcc, s4, v11
	s_mov_b64 s[4:5], -1
                                        ; implicit-def: $sgpr10
	s_and_saveexec_b64 s[8:9], vcc
; %bb.3154:
	s_mov_b32 s10, 0x7f800001
	s_xor_b64 s[4:5], exec, -1
; %bb.3155:
	s_or_b64 exec, exec, s[8:9]
	s_and_b64 s[4:5], s[4:5], exec
                                        ; implicit-def: $vgpr11
	s_or_saveexec_b64 s[6:7], s[6:7]
	v_mov_b32_e32 v10, s10
	s_xor_b64 exec, exec, s[6:7]
	s_cbranch_execz .LBB56_1106
.LBB56_3156:
	v_cmp_ne_u16_e32 vcc, 0, v11
	s_andn2_b64 s[4:5], s[4:5], exec
	s_and_b64 s[8:9], vcc, exec
	v_mov_b32_e32 v10, 0
	s_or_b64 s[4:5], s[4:5], s[8:9]
	s_or_b64 exec, exec, s[6:7]
	s_and_saveexec_b64 s[6:7], s[4:5]
	s_cbranch_execnz .LBB56_1107
	s_branch .LBB56_1108
.LBB56_3157:
	s_movk_i32 s4, 0x80
	v_cmp_eq_u16_e32 vcc, s4, v11
	s_mov_b64 s[4:5], -1
                                        ; implicit-def: $sgpr10
	s_and_saveexec_b64 s[8:9], vcc
; %bb.3158:
	s_mov_b32 s10, 0x7f800001
	s_xor_b64 s[4:5], exec, -1
; %bb.3159:
	s_or_b64 exec, exec, s[8:9]
	s_and_b64 s[4:5], s[4:5], exec
                                        ; implicit-def: $vgpr11
	s_or_saveexec_b64 s[6:7], s[6:7]
	v_mov_b32_e32 v14, s10
	s_xor_b64 exec, exec, s[6:7]
	s_cbranch_execz .LBB56_1110
.LBB56_3160:
	v_cmp_ne_u16_e32 vcc, 0, v11
	s_andn2_b64 s[4:5], s[4:5], exec
	s_and_b64 s[8:9], vcc, exec
	v_mov_b32_e32 v14, 0
	s_or_b64 s[4:5], s[4:5], s[8:9]
	s_or_b64 exec, exec, s[6:7]
	s_and_saveexec_b64 s[6:7], s[4:5]
	s_cbranch_execnz .LBB56_1111
	s_branch .LBB56_1112
.LBB56_3161:
	s_movk_i32 s4, 0x80
	v_cmp_eq_u16_sdwa s[12:13], v16, s4 src0_sel:BYTE_3 src1_sel:DWORD
	s_mov_b64 s[4:5], -1
                                        ; implicit-def: $sgpr10
	s_and_saveexec_b64 s[8:9], s[12:13]
; %bb.3162:
	s_mov_b32 s10, 0x7f800001
	s_xor_b64 s[4:5], exec, -1
; %bb.3163:
	s_or_b64 exec, exec, s[8:9]
	s_and_b64 s[4:5], s[4:5], exec
	s_or_saveexec_b64 s[6:7], s[6:7]
	v_mov_b32_e32 v10, s10
	s_xor_b64 exec, exec, s[6:7]
	s_cbranch_execz .LBB56_1114
.LBB56_3164:
	v_mov_b32_e32 v10, 0
	v_cmp_ne_u16_sdwa s[8:9], v16, v10 src0_sel:BYTE_3 src1_sel:DWORD
	s_andn2_b64 s[4:5], s[4:5], exec
	s_and_b64 s[8:9], s[8:9], exec
	s_or_b64 s[4:5], s[4:5], s[8:9]
	s_or_b64 exec, exec, s[6:7]
	s_and_saveexec_b64 s[6:7], s[4:5]
	s_cbranch_execnz .LBB56_1115
	s_branch .LBB56_1116
.LBB56_3165:
	s_movk_i32 s4, 0x80
	v_cmp_eq_u16_sdwa s[12:13], v12, s4 src0_sel:BYTE_3 src1_sel:DWORD
	s_mov_b64 s[4:5], -1
                                        ; implicit-def: $sgpr10
	s_and_saveexec_b64 s[8:9], s[12:13]
; %bb.3166:
	s_mov_b32 s10, 0x7f800001
	s_xor_b64 s[4:5], exec, -1
; %bb.3167:
	s_or_b64 exec, exec, s[8:9]
	s_and_b64 s[4:5], s[4:5], exec
	s_or_saveexec_b64 s[6:7], s[6:7]
	v_mov_b32_e32 v11, s10
	s_xor_b64 exec, exec, s[6:7]
	s_cbranch_execz .LBB56_1118
.LBB56_3168:
	v_mov_b32_e32 v11, 0
	v_cmp_ne_u16_sdwa s[8:9], v12, v11 src0_sel:BYTE_3 src1_sel:DWORD
	s_andn2_b64 s[4:5], s[4:5], exec
	s_and_b64 s[8:9], s[8:9], exec
	s_or_b64 s[4:5], s[4:5], s[8:9]
	s_or_b64 exec, exec, s[6:7]
	s_and_saveexec_b64 s[6:7], s[4:5]
	s_cbranch_execnz .LBB56_1119
	s_branch .LBB56_1120
.LBB56_3169:
	s_movk_i32 s4, 0x80
	v_cmp_eq_u16_sdwa s[12:13], v17, s4 src0_sel:BYTE_0 src1_sel:DWORD
	s_mov_b64 s[4:5], -1
                                        ; implicit-def: $sgpr10
	s_and_saveexec_b64 s[8:9], s[12:13]
; %bb.3170:
	s_mov_b32 s10, 0x7f800001
	s_xor_b64 s[4:5], exec, -1
; %bb.3171:
	s_or_b64 exec, exec, s[8:9]
	s_and_b64 s[4:5], s[4:5], exec
	s_or_saveexec_b64 s[6:7], s[6:7]
	v_mov_b32_e32 v10, s10
	s_xor_b64 exec, exec, s[6:7]
	s_cbranch_execz .LBB56_1122
.LBB56_3172:
	v_mov_b32_e32 v10, 0
	v_cmp_ne_u16_sdwa s[8:9], v17, v10 src0_sel:BYTE_0 src1_sel:DWORD
	s_andn2_b64 s[4:5], s[4:5], exec
	s_and_b64 s[8:9], s[8:9], exec
	s_or_b64 s[4:5], s[4:5], s[8:9]
	s_or_b64 exec, exec, s[6:7]
	s_and_saveexec_b64 s[6:7], s[4:5]
	s_cbranch_execnz .LBB56_1123
	s_branch .LBB56_1124
.LBB56_3173:
	s_movk_i32 s4, 0x80
	v_cmp_eq_u16_sdwa s[12:13], v13, s4 src0_sel:BYTE_0 src1_sel:DWORD
	s_mov_b64 s[4:5], -1
                                        ; implicit-def: $sgpr10
	s_and_saveexec_b64 s[8:9], s[12:13]
; %bb.3174:
	s_mov_b32 s10, 0x7f800001
	s_xor_b64 s[4:5], exec, -1
; %bb.3175:
	s_or_b64 exec, exec, s[8:9]
	s_and_b64 s[4:5], s[4:5], exec
	s_or_saveexec_b64 s[6:7], s[6:7]
	v_mov_b32_e32 v11, s10
	s_xor_b64 exec, exec, s[6:7]
	s_cbranch_execz .LBB56_1126
.LBB56_3176:
	v_mov_b32_e32 v11, 0
	v_cmp_ne_u16_sdwa s[8:9], v13, v11 src0_sel:BYTE_0 src1_sel:DWORD
	s_andn2_b64 s[4:5], s[4:5], exec
	s_and_b64 s[8:9], s[8:9], exec
	s_or_b64 s[4:5], s[4:5], s[8:9]
	s_or_b64 exec, exec, s[6:7]
	s_and_saveexec_b64 s[6:7], s[4:5]
	s_cbranch_execnz .LBB56_1127
	s_branch .LBB56_1128
.LBB56_3177:
	s_movk_i32 s4, 0x80
	v_cmp_eq_u16_sdwa s[12:13], v11, s4 src0_sel:BYTE_0 src1_sel:DWORD
	s_mov_b64 s[4:5], -1
                                        ; implicit-def: $sgpr10
	s_and_saveexec_b64 s[8:9], s[12:13]
; %bb.3178:
	s_mov_b32 s10, 0x7f800001
	s_xor_b64 s[4:5], exec, -1
; %bb.3179:
	s_or_b64 exec, exec, s[8:9]
	s_and_b64 s[4:5], s[4:5], exec
	s_or_saveexec_b64 s[6:7], s[6:7]
	v_mov_b32_e32 v10, s10
	s_xor_b64 exec, exec, s[6:7]
	s_cbranch_execz .LBB56_1130
.LBB56_3180:
	v_mov_b32_e32 v10, 0
	v_cmp_ne_u16_sdwa s[8:9], v11, v10 src0_sel:BYTE_0 src1_sel:DWORD
	s_andn2_b64 s[4:5], s[4:5], exec
	s_and_b64 s[8:9], s[8:9], exec
	s_or_b64 s[4:5], s[4:5], s[8:9]
	s_or_b64 exec, exec, s[6:7]
	s_and_saveexec_b64 s[6:7], s[4:5]
	s_cbranch_execnz .LBB56_1131
	s_branch .LBB56_1132
.LBB56_3181:
	s_movk_i32 s4, 0x80
	v_cmp_eq_u16_sdwa s[12:13], v11, s4 src0_sel:BYTE_0 src1_sel:DWORD
	s_mov_b64 s[4:5], -1
                                        ; implicit-def: $sgpr10
	s_and_saveexec_b64 s[8:9], s[12:13]
; %bb.3182:
	s_mov_b32 s10, 0x7f800001
	s_xor_b64 s[4:5], exec, -1
; %bb.3183:
	s_or_b64 exec, exec, s[8:9]
	s_and_b64 s[4:5], s[4:5], exec
	s_or_saveexec_b64 s[6:7], s[6:7]
	v_mov_b32_e32 v12, s10
	s_xor_b64 exec, exec, s[6:7]
	s_cbranch_execz .LBB56_1134
.LBB56_3184:
	v_mov_b32_e32 v12, 0
	v_cmp_ne_u16_sdwa s[8:9], v11, v12 src0_sel:BYTE_0 src1_sel:DWORD
	s_andn2_b64 s[4:5], s[4:5], exec
	s_and_b64 s[8:9], s[8:9], exec
	s_or_b64 s[4:5], s[4:5], s[8:9]
	s_or_b64 exec, exec, s[6:7]
	s_and_saveexec_b64 s[6:7], s[4:5]
	s_cbranch_execnz .LBB56_1135
	s_branch .LBB56_1136
.LBB56_3185:
	s_movk_i32 s4, 0x80
	v_cmp_eq_u16_e32 vcc, s4, v11
	s_mov_b64 s[4:5], -1
                                        ; implicit-def: $sgpr10
	s_and_saveexec_b64 s[8:9], vcc
; %bb.3186:
	s_mov_b32 s10, 0x7f800001
	s_xor_b64 s[4:5], exec, -1
; %bb.3187:
	s_or_b64 exec, exec, s[8:9]
	s_and_b64 s[4:5], s[4:5], exec
                                        ; implicit-def: $vgpr11
	s_or_saveexec_b64 s[6:7], s[6:7]
	v_mov_b32_e32 v10, s10
	s_xor_b64 exec, exec, s[6:7]
	s_cbranch_execz .LBB56_1138
.LBB56_3188:
	v_cmp_ne_u16_e32 vcc, 0, v11
	s_andn2_b64 s[4:5], s[4:5], exec
	s_and_b64 s[8:9], vcc, exec
	v_mov_b32_e32 v10, 0
	s_or_b64 s[4:5], s[4:5], s[8:9]
	s_or_b64 exec, exec, s[6:7]
	s_and_saveexec_b64 s[6:7], s[4:5]
	s_cbranch_execnz .LBB56_1139
	s_branch .LBB56_1140
.LBB56_3189:
	s_movk_i32 s4, 0x80
	v_cmp_eq_u16_e32 vcc, s4, v11
	s_mov_b64 s[4:5], -1
                                        ; implicit-def: $sgpr10
	s_and_saveexec_b64 s[8:9], vcc
; %bb.3190:
	s_mov_b32 s10, 0x7f800001
	s_xor_b64 s[4:5], exec, -1
; %bb.3191:
	s_or_b64 exec, exec, s[8:9]
	s_and_b64 s[4:5], s[4:5], exec
                                        ; implicit-def: $vgpr11
	s_or_saveexec_b64 s[6:7], s[6:7]
	v_mov_b32_e32 v12, s10
	s_xor_b64 exec, exec, s[6:7]
	s_cbranch_execz .LBB56_1142
.LBB56_3192:
	v_cmp_ne_u16_e32 vcc, 0, v11
	s_andn2_b64 s[4:5], s[4:5], exec
	s_and_b64 s[8:9], vcc, exec
	v_mov_b32_e32 v12, 0
	s_or_b64 s[4:5], s[4:5], s[8:9]
	s_or_b64 exec, exec, s[6:7]
	s_and_saveexec_b64 s[6:7], s[4:5]
	s_cbranch_execnz .LBB56_1143
	s_branch .LBB56_1144
.LBB56_3193:
	s_movk_i32 s4, 0x80
	v_cmp_eq_u16_sdwa s[12:13], v17, s4 src0_sel:BYTE_3 src1_sel:DWORD
	s_mov_b64 s[4:5], -1
                                        ; implicit-def: $sgpr10
	s_and_saveexec_b64 s[8:9], s[12:13]
; %bb.3194:
	s_mov_b32 s10, 0x7f800001
	s_xor_b64 s[4:5], exec, -1
; %bb.3195:
	s_or_b64 exec, exec, s[8:9]
	s_and_b64 s[4:5], s[4:5], exec
	s_or_saveexec_b64 s[6:7], s[6:7]
	v_mov_b32_e32 v10, s10
	s_xor_b64 exec, exec, s[6:7]
	s_cbranch_execz .LBB56_1146
.LBB56_3196:
	v_mov_b32_e32 v10, 0
	v_cmp_ne_u16_sdwa s[8:9], v17, v10 src0_sel:BYTE_3 src1_sel:DWORD
	s_andn2_b64 s[4:5], s[4:5], exec
	s_and_b64 s[8:9], s[8:9], exec
	s_or_b64 s[4:5], s[4:5], s[8:9]
	s_or_b64 exec, exec, s[6:7]
	s_and_saveexec_b64 s[6:7], s[4:5]
	s_cbranch_execnz .LBB56_1147
	s_branch .LBB56_1148
.LBB56_3197:
	s_movk_i32 s4, 0x80
	v_cmp_eq_u16_sdwa s[12:13], v13, s4 src0_sel:BYTE_3 src1_sel:DWORD
	s_mov_b64 s[4:5], -1
                                        ; implicit-def: $sgpr10
	s_and_saveexec_b64 s[8:9], s[12:13]
; %bb.3198:
	s_mov_b32 s10, 0x7f800001
	s_xor_b64 s[4:5], exec, -1
; %bb.3199:
	s_or_b64 exec, exec, s[8:9]
	s_and_b64 s[4:5], s[4:5], exec
	s_or_saveexec_b64 s[6:7], s[6:7]
	v_mov_b32_e32 v11, s10
	s_xor_b64 exec, exec, s[6:7]
	s_cbranch_execz .LBB56_1150
.LBB56_3200:
	v_mov_b32_e32 v11, 0
	v_cmp_ne_u16_sdwa s[8:9], v13, v11 src0_sel:BYTE_3 src1_sel:DWORD
	s_andn2_b64 s[4:5], s[4:5], exec
	s_and_b64 s[8:9], s[8:9], exec
	s_or_b64 s[4:5], s[4:5], s[8:9]
	s_or_b64 exec, exec, s[6:7]
	s_and_saveexec_b64 s[6:7], s[4:5]
	s_cbranch_execnz .LBB56_1151
	s_branch .LBB56_1152
.LBB56_3201:
	s_movk_i32 s4, 0x80
	v_cmp_eq_u16_sdwa s[12:13], v6, s4 src0_sel:BYTE_0 src1_sel:DWORD
	s_mov_b64 s[4:5], -1
                                        ; implicit-def: $sgpr10
	s_and_saveexec_b64 s[8:9], s[12:13]
; %bb.3202:
	s_mov_b32 s10, 0x7f800001
	s_xor_b64 s[4:5], exec, -1
; %bb.3203:
	s_or_b64 exec, exec, s[8:9]
	s_and_b64 s[4:5], s[4:5], exec
	s_or_saveexec_b64 s[6:7], s[6:7]
	v_mov_b32_e32 v10, s10
	s_xor_b64 exec, exec, s[6:7]
	s_cbranch_execz .LBB56_1154
.LBB56_3204:
	v_mov_b32_e32 v10, 0
	v_cmp_ne_u16_sdwa s[8:9], v6, v10 src0_sel:BYTE_0 src1_sel:DWORD
	s_andn2_b64 s[4:5], s[4:5], exec
	s_and_b64 s[8:9], s[8:9], exec
	s_or_b64 s[4:5], s[4:5], s[8:9]
	s_or_b64 exec, exec, s[6:7]
	s_and_saveexec_b64 s[6:7], s[4:5]
	s_cbranch_execnz .LBB56_1155
	s_branch .LBB56_1156
.LBB56_3205:
	s_movk_i32 s4, 0x80
	v_cmp_eq_u16_sdwa s[12:13], v2, s4 src0_sel:BYTE_0 src1_sel:DWORD
	s_mov_b64 s[4:5], -1
                                        ; implicit-def: $sgpr10
	s_and_saveexec_b64 s[8:9], s[12:13]
; %bb.3206:
	s_mov_b32 s10, 0x7f800001
	s_xor_b64 s[4:5], exec, -1
; %bb.3207:
	s_or_b64 exec, exec, s[8:9]
	s_and_b64 s[4:5], s[4:5], exec
	s_or_saveexec_b64 s[6:7], s[6:7]
	v_mov_b32_e32 v11, s10
	s_xor_b64 exec, exec, s[6:7]
	s_cbranch_execz .LBB56_1158
.LBB56_3208:
	v_mov_b32_e32 v11, 0
	v_cmp_ne_u16_sdwa s[8:9], v2, v11 src0_sel:BYTE_0 src1_sel:DWORD
	s_andn2_b64 s[4:5], s[4:5], exec
	s_and_b64 s[8:9], s[8:9], exec
	s_or_b64 s[4:5], s[4:5], s[8:9]
	s_or_b64 exec, exec, s[6:7]
	s_and_saveexec_b64 s[6:7], s[4:5]
	s_cbranch_execnz .LBB56_1159
	s_branch .LBB56_1160
.LBB56_3209:
	s_movk_i32 s4, 0x80
	v_cmp_eq_u16_sdwa s[12:13], v11, s4 src0_sel:BYTE_0 src1_sel:DWORD
	s_mov_b64 s[4:5], -1
                                        ; implicit-def: $sgpr10
	s_and_saveexec_b64 s[8:9], s[12:13]
; %bb.3210:
	s_mov_b32 s10, 0x7f800001
	s_xor_b64 s[4:5], exec, -1
; %bb.3211:
	s_or_b64 exec, exec, s[8:9]
	s_and_b64 s[4:5], s[4:5], exec
	s_or_saveexec_b64 s[6:7], s[6:7]
	v_mov_b32_e32 v10, s10
	s_xor_b64 exec, exec, s[6:7]
	s_cbranch_execz .LBB56_1162
.LBB56_3212:
	v_mov_b32_e32 v10, 0
	v_cmp_ne_u16_sdwa s[8:9], v11, v10 src0_sel:BYTE_0 src1_sel:DWORD
	s_andn2_b64 s[4:5], s[4:5], exec
	s_and_b64 s[8:9], s[8:9], exec
	s_or_b64 s[4:5], s[4:5], s[8:9]
	s_or_b64 exec, exec, s[6:7]
	s_and_saveexec_b64 s[6:7], s[4:5]
	s_cbranch_execnz .LBB56_1163
	s_branch .LBB56_1164
.LBB56_3213:
	s_movk_i32 s4, 0x80
	v_cmp_eq_u16_sdwa s[12:13], v11, s4 src0_sel:BYTE_0 src1_sel:DWORD
	s_mov_b64 s[4:5], -1
                                        ; implicit-def: $sgpr10
	s_and_saveexec_b64 s[8:9], s[12:13]
; %bb.3214:
	s_mov_b32 s10, 0x7f800001
	s_xor_b64 s[4:5], exec, -1
; %bb.3215:
	s_or_b64 exec, exec, s[8:9]
	s_and_b64 s[4:5], s[4:5], exec
	s_or_saveexec_b64 s[6:7], s[6:7]
	v_mov_b32_e32 v12, s10
	s_xor_b64 exec, exec, s[6:7]
	s_cbranch_execz .LBB56_1166
.LBB56_3216:
	v_mov_b32_e32 v12, 0
	v_cmp_ne_u16_sdwa s[8:9], v11, v12 src0_sel:BYTE_0 src1_sel:DWORD
	s_andn2_b64 s[4:5], s[4:5], exec
	s_and_b64 s[8:9], s[8:9], exec
	s_or_b64 s[4:5], s[4:5], s[8:9]
	s_or_b64 exec, exec, s[6:7]
	s_and_saveexec_b64 s[6:7], s[4:5]
	s_cbranch_execnz .LBB56_1167
	s_branch .LBB56_1168
.LBB56_3217:
	s_movk_i32 s4, 0x80
	v_cmp_eq_u16_e32 vcc, s4, v11
	s_mov_b64 s[4:5], -1
                                        ; implicit-def: $sgpr10
	s_and_saveexec_b64 s[8:9], vcc
; %bb.3218:
	s_mov_b32 s10, 0x7f800001
	s_xor_b64 s[4:5], exec, -1
; %bb.3219:
	s_or_b64 exec, exec, s[8:9]
	s_and_b64 s[4:5], s[4:5], exec
                                        ; implicit-def: $vgpr11
	s_or_saveexec_b64 s[6:7], s[6:7]
	v_mov_b32_e32 v10, s10
	s_xor_b64 exec, exec, s[6:7]
	s_cbranch_execz .LBB56_1170
.LBB56_3220:
	v_cmp_ne_u16_e32 vcc, 0, v11
	s_andn2_b64 s[4:5], s[4:5], exec
	s_and_b64 s[8:9], vcc, exec
	v_mov_b32_e32 v10, 0
	s_or_b64 s[4:5], s[4:5], s[8:9]
	s_or_b64 exec, exec, s[6:7]
	s_and_saveexec_b64 s[6:7], s[4:5]
	s_cbranch_execnz .LBB56_1171
	s_branch .LBB56_1172
.LBB56_3221:
	s_movk_i32 s4, 0x80
	v_cmp_eq_u16_e32 vcc, s4, v11
	s_mov_b64 s[4:5], -1
                                        ; implicit-def: $sgpr10
	s_and_saveexec_b64 s[8:9], vcc
; %bb.3222:
	s_mov_b32 s10, 0x7f800001
	s_xor_b64 s[4:5], exec, -1
; %bb.3223:
	s_or_b64 exec, exec, s[8:9]
	s_and_b64 s[4:5], s[4:5], exec
                                        ; implicit-def: $vgpr11
	s_or_saveexec_b64 s[6:7], s[6:7]
	v_mov_b32_e32 v12, s10
	s_xor_b64 exec, exec, s[6:7]
	s_cbranch_execz .LBB56_1174
.LBB56_3224:
	v_cmp_ne_u16_e32 vcc, 0, v11
	s_andn2_b64 s[4:5], s[4:5], exec
	s_and_b64 s[8:9], vcc, exec
	v_mov_b32_e32 v12, 0
	s_or_b64 s[4:5], s[4:5], s[8:9]
	s_or_b64 exec, exec, s[6:7]
	s_and_saveexec_b64 s[6:7], s[4:5]
	s_cbranch_execnz .LBB56_1175
	s_branch .LBB56_1176
.LBB56_3225:
	s_movk_i32 s4, 0x80
	v_cmp_eq_u16_sdwa s[12:13], v6, s4 src0_sel:BYTE_3 src1_sel:DWORD
	s_mov_b64 s[4:5], -1
                                        ; implicit-def: $sgpr10
	s_and_saveexec_b64 s[8:9], s[12:13]
; %bb.3226:
	s_mov_b32 s10, 0x7f800001
	s_xor_b64 s[4:5], exec, -1
; %bb.3227:
	s_or_b64 exec, exec, s[8:9]
	s_and_b64 s[4:5], s[4:5], exec
	s_or_saveexec_b64 s[6:7], s[6:7]
	v_mov_b32_e32 v10, s10
	s_xor_b64 exec, exec, s[6:7]
	s_cbranch_execz .LBB56_1178
.LBB56_3228:
	v_mov_b32_e32 v10, 0
	v_cmp_ne_u16_sdwa s[8:9], v6, v10 src0_sel:BYTE_3 src1_sel:DWORD
	s_andn2_b64 s[4:5], s[4:5], exec
	s_and_b64 s[8:9], s[8:9], exec
	s_or_b64 s[4:5], s[4:5], s[8:9]
	s_or_b64 exec, exec, s[6:7]
	s_and_saveexec_b64 s[6:7], s[4:5]
	s_cbranch_execnz .LBB56_1179
	s_branch .LBB56_1180
.LBB56_3229:
	s_movk_i32 s4, 0x80
	v_cmp_eq_u16_sdwa s[12:13], v2, s4 src0_sel:BYTE_3 src1_sel:DWORD
	s_mov_b64 s[4:5], -1
                                        ; implicit-def: $sgpr10
	s_and_saveexec_b64 s[8:9], s[12:13]
; %bb.3230:
	s_mov_b32 s10, 0x7f800001
	s_xor_b64 s[4:5], exec, -1
; %bb.3231:
	s_or_b64 exec, exec, s[8:9]
	s_and_b64 s[4:5], s[4:5], exec
	s_or_saveexec_b64 s[6:7], s[6:7]
	v_mov_b32_e32 v6, s10
	s_xor_b64 exec, exec, s[6:7]
	s_cbranch_execz .LBB56_1182
.LBB56_3232:
	v_mov_b32_e32 v6, 0
	v_cmp_ne_u16_sdwa s[8:9], v2, v6 src0_sel:BYTE_3 src1_sel:DWORD
	s_andn2_b64 s[4:5], s[4:5], exec
	s_and_b64 s[8:9], s[8:9], exec
	s_or_b64 s[4:5], s[4:5], s[8:9]
	s_or_b64 exec, exec, s[6:7]
	s_and_saveexec_b64 s[6:7], s[4:5]
	s_cbranch_execnz .LBB56_1183
	s_branch .LBB56_1184
.LBB56_3233:
	s_movk_i32 s4, 0x80
	v_cmp_eq_u16_sdwa s[12:13], v7, s4 src0_sel:BYTE_0 src1_sel:DWORD
	s_mov_b64 s[4:5], -1
                                        ; implicit-def: $sgpr10
	s_and_saveexec_b64 s[8:9], s[12:13]
; %bb.3234:
	s_mov_b32 s10, 0x7f800001
	s_xor_b64 s[4:5], exec, -1
; %bb.3235:
	s_or_b64 exec, exec, s[8:9]
	s_and_b64 s[4:5], s[4:5], exec
	s_or_saveexec_b64 s[6:7], s[6:7]
	v_mov_b32_e32 v2, s10
	s_xor_b64 exec, exec, s[6:7]
	s_cbranch_execz .LBB56_1186
.LBB56_3236:
	v_mov_b32_e32 v2, 0
	v_cmp_ne_u16_sdwa s[8:9], v7, v2 src0_sel:BYTE_0 src1_sel:DWORD
	s_andn2_b64 s[4:5], s[4:5], exec
	s_and_b64 s[8:9], s[8:9], exec
	s_or_b64 s[4:5], s[4:5], s[8:9]
	s_or_b64 exec, exec, s[6:7]
	s_and_saveexec_b64 s[6:7], s[4:5]
	s_cbranch_execnz .LBB56_1187
	s_branch .LBB56_1188
.LBB56_3237:
	s_movk_i32 s4, 0x80
	v_cmp_eq_u16_sdwa s[12:13], v3, s4 src0_sel:BYTE_0 src1_sel:DWORD
	s_mov_b64 s[4:5], -1
                                        ; implicit-def: $sgpr10
	s_and_saveexec_b64 s[8:9], s[12:13]
; %bb.3238:
	s_mov_b32 s10, 0x7f800001
	s_xor_b64 s[4:5], exec, -1
; %bb.3239:
	s_or_b64 exec, exec, s[8:9]
	s_and_b64 s[4:5], s[4:5], exec
	s_or_saveexec_b64 s[6:7], s[6:7]
	v_mov_b32_e32 v6, s10
	s_xor_b64 exec, exec, s[6:7]
	s_cbranch_execz .LBB56_1190
.LBB56_3240:
	v_mov_b32_e32 v6, 0
	v_cmp_ne_u16_sdwa s[8:9], v3, v6 src0_sel:BYTE_0 src1_sel:DWORD
	s_andn2_b64 s[4:5], s[4:5], exec
	s_and_b64 s[8:9], s[8:9], exec
	s_or_b64 s[4:5], s[4:5], s[8:9]
	s_or_b64 exec, exec, s[6:7]
	s_and_saveexec_b64 s[6:7], s[4:5]
	s_cbranch_execnz .LBB56_1191
	s_branch .LBB56_1192
.LBB56_3241:
	s_movk_i32 s4, 0x80
	v_cmp_eq_u16_sdwa s[12:13], v6, s4 src0_sel:BYTE_0 src1_sel:DWORD
	s_mov_b64 s[4:5], -1
                                        ; implicit-def: $sgpr10
	s_and_saveexec_b64 s[8:9], s[12:13]
; %bb.3242:
	s_mov_b32 s10, 0x7f800001
	s_xor_b64 s[4:5], exec, -1
; %bb.3243:
	s_or_b64 exec, exec, s[8:9]
	s_and_b64 s[4:5], s[4:5], exec
	s_or_saveexec_b64 s[6:7], s[6:7]
	v_mov_b32_e32 v2, s10
	s_xor_b64 exec, exec, s[6:7]
	s_cbranch_execz .LBB56_1194
.LBB56_3244:
	v_mov_b32_e32 v2, 0
	v_cmp_ne_u16_sdwa s[8:9], v6, v2 src0_sel:BYTE_0 src1_sel:DWORD
	s_andn2_b64 s[4:5], s[4:5], exec
	s_and_b64 s[8:9], s[8:9], exec
	s_or_b64 s[4:5], s[4:5], s[8:9]
	s_or_b64 exec, exec, s[6:7]
	s_and_saveexec_b64 s[6:7], s[4:5]
	s_cbranch_execnz .LBB56_1195
	s_branch .LBB56_1196
.LBB56_3245:
	s_movk_i32 s4, 0x80
	v_cmp_eq_u16_sdwa s[12:13], v6, s4 src0_sel:BYTE_0 src1_sel:DWORD
	s_mov_b64 s[4:5], -1
                                        ; implicit-def: $sgpr10
	s_and_saveexec_b64 s[8:9], s[12:13]
; %bb.3246:
	s_mov_b32 s10, 0x7f800001
	s_xor_b64 s[4:5], exec, -1
; %bb.3247:
	s_or_b64 exec, exec, s[8:9]
	s_and_b64 s[4:5], s[4:5], exec
	s_or_saveexec_b64 s[6:7], s[6:7]
	v_mov_b32_e32 v10, s10
	s_xor_b64 exec, exec, s[6:7]
	s_cbranch_execz .LBB56_1198
.LBB56_3248:
	v_mov_b32_e32 v10, 0
	v_cmp_ne_u16_sdwa s[8:9], v6, v10 src0_sel:BYTE_0 src1_sel:DWORD
	s_andn2_b64 s[4:5], s[4:5], exec
	s_and_b64 s[8:9], s[8:9], exec
	s_or_b64 s[4:5], s[4:5], s[8:9]
	s_or_b64 exec, exec, s[6:7]
	s_and_saveexec_b64 s[6:7], s[4:5]
	s_cbranch_execnz .LBB56_1199
	s_branch .LBB56_1200
.LBB56_3249:
	s_movk_i32 s4, 0x80
	v_cmp_eq_u16_e32 vcc, s4, v6
	s_mov_b64 s[4:5], -1
                                        ; implicit-def: $sgpr10
	s_and_saveexec_b64 s[8:9], vcc
; %bb.3250:
	s_mov_b32 s10, 0x7f800001
	s_xor_b64 s[4:5], exec, -1
; %bb.3251:
	s_or_b64 exec, exec, s[8:9]
	s_and_b64 s[4:5], s[4:5], exec
                                        ; implicit-def: $vgpr6
	s_or_saveexec_b64 s[6:7], s[6:7]
	v_mov_b32_e32 v2, s10
	s_xor_b64 exec, exec, s[6:7]
	s_cbranch_execz .LBB56_1202
.LBB56_3252:
	v_cmp_ne_u16_e32 vcc, 0, v6
	s_andn2_b64 s[4:5], s[4:5], exec
	s_and_b64 s[8:9], vcc, exec
	v_mov_b32_e32 v2, 0
	s_or_b64 s[4:5], s[4:5], s[8:9]
	s_or_b64 exec, exec, s[6:7]
	s_and_saveexec_b64 s[6:7], s[4:5]
	s_cbranch_execnz .LBB56_1203
	s_branch .LBB56_1204
.LBB56_3253:
	s_movk_i32 s4, 0x80
	v_cmp_eq_u16_e32 vcc, s4, v6
	s_mov_b64 s[4:5], -1
                                        ; implicit-def: $sgpr10
	s_and_saveexec_b64 s[8:9], vcc
; %bb.3254:
	s_mov_b32 s10, 0x7f800001
	s_xor_b64 s[4:5], exec, -1
; %bb.3255:
	s_or_b64 exec, exec, s[8:9]
	s_and_b64 s[4:5], s[4:5], exec
                                        ; implicit-def: $vgpr6
	s_or_saveexec_b64 s[6:7], s[6:7]
	v_mov_b32_e32 v10, s10
	s_xor_b64 exec, exec, s[6:7]
	s_cbranch_execz .LBB56_1206
.LBB56_3256:
	v_cmp_ne_u16_e32 vcc, 0, v6
	s_andn2_b64 s[4:5], s[4:5], exec
	s_and_b64 s[8:9], vcc, exec
	v_mov_b32_e32 v10, 0
	s_or_b64 s[4:5], s[4:5], s[8:9]
	s_or_b64 exec, exec, s[6:7]
	s_and_saveexec_b64 s[6:7], s[4:5]
	s_cbranch_execnz .LBB56_1207
	s_branch .LBB56_1208
.LBB56_3257:
	s_movk_i32 s4, 0x80
	v_cmp_eq_u16_sdwa s[12:13], v7, s4 src0_sel:BYTE_3 src1_sel:DWORD
	s_mov_b64 s[4:5], -1
                                        ; implicit-def: $sgpr10
	s_and_saveexec_b64 s[8:9], s[12:13]
; %bb.3258:
	s_mov_b32 s10, 0x7f800001
	s_xor_b64 s[4:5], exec, -1
; %bb.3259:
	s_or_b64 exec, exec, s[8:9]
	s_and_b64 s[4:5], s[4:5], exec
	s_or_saveexec_b64 s[6:7], s[6:7]
	v_mov_b32_e32 v2, s10
	s_xor_b64 exec, exec, s[6:7]
	s_cbranch_execz .LBB56_1210
.LBB56_3260:
	v_mov_b32_e32 v2, 0
	v_cmp_ne_u16_sdwa s[8:9], v7, v2 src0_sel:BYTE_3 src1_sel:DWORD
	s_andn2_b64 s[4:5], s[4:5], exec
	s_and_b64 s[8:9], s[8:9], exec
	s_or_b64 s[4:5], s[4:5], s[8:9]
	s_or_b64 exec, exec, s[6:7]
	s_and_saveexec_b64 s[6:7], s[4:5]
	s_cbranch_execnz .LBB56_1211
	s_branch .LBB56_1212
.LBB56_3261:
	s_movk_i32 s4, 0x80
	v_cmp_eq_u16_sdwa s[12:13], v3, s4 src0_sel:BYTE_3 src1_sel:DWORD
	s_mov_b64 s[4:5], -1
                                        ; implicit-def: $sgpr10
	s_and_saveexec_b64 s[8:9], s[12:13]
; %bb.3262:
	s_mov_b32 s10, 0x7f800001
	s_xor_b64 s[4:5], exec, -1
; %bb.3263:
	s_or_b64 exec, exec, s[8:9]
	s_and_b64 s[4:5], s[4:5], exec
	s_or_saveexec_b64 s[6:7], s[6:7]
	v_mov_b32_e32 v6, s10
	s_xor_b64 exec, exec, s[6:7]
	s_cbranch_execz .LBB56_1214
.LBB56_3264:
	v_mov_b32_e32 v6, 0
	v_cmp_ne_u16_sdwa s[8:9], v3, v6 src0_sel:BYTE_3 src1_sel:DWORD
	s_andn2_b64 s[4:5], s[4:5], exec
	s_and_b64 s[8:9], s[8:9], exec
	s_or_b64 s[4:5], s[4:5], s[8:9]
	s_or_b64 exec, exec, s[6:7]
	s_and_saveexec_b64 s[6:7], s[4:5]
	s_cbranch_execnz .LBB56_1215
	s_branch .LBB56_1216
.LBB56_3265:
	s_movk_i32 s4, 0x80
	v_cmp_eq_u16_sdwa s[12:13], v8, s4 src0_sel:BYTE_0 src1_sel:DWORD
	s_mov_b64 s[4:5], -1
                                        ; implicit-def: $sgpr10
	s_and_saveexec_b64 s[8:9], s[12:13]
; %bb.3266:
	s_mov_b32 s10, 0x7f800001
	s_xor_b64 s[4:5], exec, -1
; %bb.3267:
	s_or_b64 exec, exec, s[8:9]
	s_and_b64 s[4:5], s[4:5], exec
	s_or_saveexec_b64 s[6:7], s[6:7]
	v_mov_b32_e32 v2, s10
	s_xor_b64 exec, exec, s[6:7]
	s_cbranch_execz .LBB56_1218
.LBB56_3268:
	v_mov_b32_e32 v2, 0
	v_cmp_ne_u16_sdwa s[8:9], v8, v2 src0_sel:BYTE_0 src1_sel:DWORD
	s_andn2_b64 s[4:5], s[4:5], exec
	s_and_b64 s[8:9], s[8:9], exec
	s_or_b64 s[4:5], s[4:5], s[8:9]
	s_or_b64 exec, exec, s[6:7]
	s_and_saveexec_b64 s[6:7], s[4:5]
	s_cbranch_execnz .LBB56_1219
	s_branch .LBB56_1220
.LBB56_3269:
	s_movk_i32 s4, 0x80
	v_cmp_eq_u16_sdwa s[12:13], v4, s4 src0_sel:BYTE_0 src1_sel:DWORD
	s_mov_b64 s[4:5], -1
                                        ; implicit-def: $sgpr10
	s_and_saveexec_b64 s[8:9], s[12:13]
; %bb.3270:
	s_mov_b32 s10, 0x7f800001
	s_xor_b64 s[4:5], exec, -1
; %bb.3271:
	s_or_b64 exec, exec, s[8:9]
	s_and_b64 s[4:5], s[4:5], exec
	s_or_saveexec_b64 s[6:7], s[6:7]
	v_mov_b32_e32 v3, s10
	s_xor_b64 exec, exec, s[6:7]
	s_cbranch_execz .LBB56_1222
.LBB56_3272:
	v_mov_b32_e32 v3, 0
	v_cmp_ne_u16_sdwa s[8:9], v4, v3 src0_sel:BYTE_0 src1_sel:DWORD
	s_andn2_b64 s[4:5], s[4:5], exec
	s_and_b64 s[8:9], s[8:9], exec
	s_or_b64 s[4:5], s[4:5], s[8:9]
	s_or_b64 exec, exec, s[6:7]
	s_and_saveexec_b64 s[6:7], s[4:5]
	s_cbranch_execnz .LBB56_1223
	s_branch .LBB56_1224
.LBB56_3273:
	s_movk_i32 s4, 0x80
	v_cmp_eq_u16_sdwa s[12:13], v3, s4 src0_sel:BYTE_0 src1_sel:DWORD
	s_mov_b64 s[4:5], -1
                                        ; implicit-def: $sgpr10
	s_and_saveexec_b64 s[8:9], s[12:13]
; %bb.3274:
	s_mov_b32 s10, 0x7f800001
	s_xor_b64 s[4:5], exec, -1
; %bb.3275:
	s_or_b64 exec, exec, s[8:9]
	s_and_b64 s[4:5], s[4:5], exec
	s_or_saveexec_b64 s[6:7], s[6:7]
	v_mov_b32_e32 v2, s10
	s_xor_b64 exec, exec, s[6:7]
	s_cbranch_execz .LBB56_1226
.LBB56_3276:
	v_mov_b32_e32 v2, 0
	v_cmp_ne_u16_sdwa s[8:9], v3, v2 src0_sel:BYTE_0 src1_sel:DWORD
	s_andn2_b64 s[4:5], s[4:5], exec
	s_and_b64 s[8:9], s[8:9], exec
	s_or_b64 s[4:5], s[4:5], s[8:9]
	s_or_b64 exec, exec, s[6:7]
	s_and_saveexec_b64 s[6:7], s[4:5]
	s_cbranch_execnz .LBB56_1227
	s_branch .LBB56_1228
.LBB56_3277:
	s_movk_i32 s4, 0x80
	v_cmp_eq_u16_sdwa s[12:13], v3, s4 src0_sel:BYTE_0 src1_sel:DWORD
	s_mov_b64 s[4:5], -1
                                        ; implicit-def: $sgpr10
	s_and_saveexec_b64 s[8:9], s[12:13]
; %bb.3278:
	s_mov_b32 s10, 0x7f800001
	s_xor_b64 s[4:5], exec, -1
; %bb.3279:
	s_or_b64 exec, exec, s[8:9]
	s_and_b64 s[4:5], s[4:5], exec
	s_or_saveexec_b64 s[6:7], s[6:7]
	v_mov_b32_e32 v6, s10
	s_xor_b64 exec, exec, s[6:7]
	s_cbranch_execz .LBB56_1230
.LBB56_3280:
	v_mov_b32_e32 v6, 0
	v_cmp_ne_u16_sdwa s[8:9], v3, v6 src0_sel:BYTE_0 src1_sel:DWORD
	s_andn2_b64 s[4:5], s[4:5], exec
	s_and_b64 s[8:9], s[8:9], exec
	s_or_b64 s[4:5], s[4:5], s[8:9]
	s_or_b64 exec, exec, s[6:7]
	s_and_saveexec_b64 s[6:7], s[4:5]
	s_cbranch_execnz .LBB56_1231
	s_branch .LBB56_1232
.LBB56_3281:
	s_movk_i32 s4, 0x80
	v_cmp_eq_u16_e32 vcc, s4, v3
	s_mov_b64 s[4:5], -1
                                        ; implicit-def: $sgpr10
	s_and_saveexec_b64 s[8:9], vcc
; %bb.3282:
	s_mov_b32 s10, 0x7f800001
	s_xor_b64 s[4:5], exec, -1
; %bb.3283:
	s_or_b64 exec, exec, s[8:9]
	s_and_b64 s[4:5], s[4:5], exec
                                        ; implicit-def: $vgpr3
	s_or_saveexec_b64 s[6:7], s[6:7]
	v_mov_b32_e32 v2, s10
	s_xor_b64 exec, exec, s[6:7]
	s_cbranch_execz .LBB56_1234
.LBB56_3284:
	v_cmp_ne_u16_e32 vcc, 0, v3
	s_andn2_b64 s[4:5], s[4:5], exec
	s_and_b64 s[8:9], vcc, exec
	v_mov_b32_e32 v2, 0
	s_or_b64 s[4:5], s[4:5], s[8:9]
	s_or_b64 exec, exec, s[6:7]
	s_and_saveexec_b64 s[6:7], s[4:5]
	s_cbranch_execnz .LBB56_1235
	s_branch .LBB56_1236
.LBB56_3285:
	s_movk_i32 s4, 0x80
	v_cmp_eq_u16_e32 vcc, s4, v3
	s_mov_b64 s[4:5], -1
                                        ; implicit-def: $sgpr10
	s_and_saveexec_b64 s[8:9], vcc
; %bb.3286:
	s_mov_b32 s10, 0x7f800001
	s_xor_b64 s[4:5], exec, -1
; %bb.3287:
	s_or_b64 exec, exec, s[8:9]
	s_and_b64 s[4:5], s[4:5], exec
                                        ; implicit-def: $vgpr3
	s_or_saveexec_b64 s[6:7], s[6:7]
	v_mov_b32_e32 v6, s10
	s_xor_b64 exec, exec, s[6:7]
	s_cbranch_execz .LBB56_1238
.LBB56_3288:
	v_cmp_ne_u16_e32 vcc, 0, v3
	s_andn2_b64 s[4:5], s[4:5], exec
	s_and_b64 s[8:9], vcc, exec
	v_mov_b32_e32 v6, 0
	s_or_b64 s[4:5], s[4:5], s[8:9]
	s_or_b64 exec, exec, s[6:7]
	s_and_saveexec_b64 s[6:7], s[4:5]
	s_cbranch_execnz .LBB56_1239
	s_branch .LBB56_1240
.LBB56_3289:
	s_movk_i32 s4, 0x80
	v_cmp_eq_u16_sdwa s[12:13], v8, s4 src0_sel:BYTE_3 src1_sel:DWORD
	s_mov_b64 s[4:5], -1
                                        ; implicit-def: $sgpr10
	s_and_saveexec_b64 s[8:9], s[12:13]
; %bb.3290:
	s_mov_b32 s10, 0x7f800001
	s_xor_b64 s[4:5], exec, -1
; %bb.3291:
	s_or_b64 exec, exec, s[8:9]
	s_and_b64 s[4:5], s[4:5], exec
	s_or_saveexec_b64 s[6:7], s[6:7]
	v_mov_b32_e32 v2, s10
	s_xor_b64 exec, exec, s[6:7]
	s_cbranch_execz .LBB56_1242
.LBB56_3292:
	v_mov_b32_e32 v2, 0
	v_cmp_ne_u16_sdwa s[8:9], v8, v2 src0_sel:BYTE_3 src1_sel:DWORD
	s_andn2_b64 s[4:5], s[4:5], exec
	s_and_b64 s[8:9], s[8:9], exec
	s_or_b64 s[4:5], s[4:5], s[8:9]
	s_or_b64 exec, exec, s[6:7]
	s_and_saveexec_b64 s[6:7], s[4:5]
	s_cbranch_execnz .LBB56_1243
	s_branch .LBB56_1244
.LBB56_3293:
	s_movk_i32 s4, 0x80
	v_cmp_eq_u16_sdwa s[12:13], v4, s4 src0_sel:BYTE_3 src1_sel:DWORD
	s_mov_b64 s[4:5], -1
                                        ; implicit-def: $sgpr10
	s_and_saveexec_b64 s[8:9], s[12:13]
; %bb.3294:
	s_mov_b32 s10, 0x7f800001
	s_xor_b64 s[4:5], exec, -1
; %bb.3295:
	s_or_b64 exec, exec, s[8:9]
	s_and_b64 s[4:5], s[4:5], exec
	s_or_saveexec_b64 s[6:7], s[6:7]
	v_mov_b32_e32 v3, s10
	s_xor_b64 exec, exec, s[6:7]
	s_cbranch_execz .LBB56_1246
.LBB56_3296:
	v_mov_b32_e32 v3, 0
	v_cmp_ne_u16_sdwa s[8:9], v4, v3 src0_sel:BYTE_3 src1_sel:DWORD
	s_andn2_b64 s[4:5], s[4:5], exec
	s_and_b64 s[8:9], s[8:9], exec
	s_or_b64 s[4:5], s[4:5], s[8:9]
	s_or_b64 exec, exec, s[6:7]
	s_and_saveexec_b64 s[6:7], s[4:5]
	s_cbranch_execnz .LBB56_1247
	s_branch .LBB56_1248
.LBB56_3297:
	s_movk_i32 s4, 0x80
	v_cmp_eq_u16_sdwa s[12:13], v9, s4 src0_sel:BYTE_0 src1_sel:DWORD
	s_mov_b64 s[4:5], -1
                                        ; implicit-def: $sgpr10
	s_and_saveexec_b64 s[8:9], s[12:13]
; %bb.3298:
	s_mov_b32 s10, 0x7f800001
	s_xor_b64 s[4:5], exec, -1
; %bb.3299:
	s_or_b64 exec, exec, s[8:9]
	s_and_b64 s[4:5], s[4:5], exec
	s_or_saveexec_b64 s[6:7], s[6:7]
	v_mov_b32_e32 v2, s10
	s_xor_b64 exec, exec, s[6:7]
	s_cbranch_execz .LBB56_1250
.LBB56_3300:
	v_mov_b32_e32 v2, 0
	v_cmp_ne_u16_sdwa s[8:9], v9, v2 src0_sel:BYTE_0 src1_sel:DWORD
	s_andn2_b64 s[4:5], s[4:5], exec
	s_and_b64 s[8:9], s[8:9], exec
	s_or_b64 s[4:5], s[4:5], s[8:9]
	s_or_b64 exec, exec, s[6:7]
	s_and_saveexec_b64 s[6:7], s[4:5]
	s_cbranch_execnz .LBB56_1251
	s_branch .LBB56_1252
.LBB56_3301:
	s_movk_i32 s4, 0x80
	v_cmp_eq_u16_sdwa s[12:13], v5, s4 src0_sel:BYTE_0 src1_sel:DWORD
	s_mov_b64 s[4:5], -1
                                        ; implicit-def: $sgpr10
	s_and_saveexec_b64 s[8:9], s[12:13]
; %bb.3302:
	s_mov_b32 s10, 0x7f800001
	s_xor_b64 s[4:5], exec, -1
; %bb.3303:
	s_or_b64 exec, exec, s[8:9]
	s_and_b64 s[4:5], s[4:5], exec
	s_or_saveexec_b64 s[6:7], s[6:7]
	v_mov_b32_e32 v3, s10
	s_xor_b64 exec, exec, s[6:7]
	s_cbranch_execz .LBB56_1254
.LBB56_3304:
	v_mov_b32_e32 v3, 0
	v_cmp_ne_u16_sdwa s[8:9], v5, v3 src0_sel:BYTE_0 src1_sel:DWORD
	s_andn2_b64 s[4:5], s[4:5], exec
	s_and_b64 s[8:9], s[8:9], exec
	s_or_b64 s[4:5], s[4:5], s[8:9]
	s_or_b64 exec, exec, s[6:7]
	s_and_saveexec_b64 s[6:7], s[4:5]
	s_cbranch_execnz .LBB56_1255
	s_branch .LBB56_1256
.LBB56_3305:
	s_movk_i32 s4, 0x80
	v_cmp_eq_u16_sdwa s[12:13], v3, s4 src0_sel:BYTE_0 src1_sel:DWORD
	s_mov_b64 s[4:5], -1
                                        ; implicit-def: $sgpr10
	s_and_saveexec_b64 s[8:9], s[12:13]
; %bb.3306:
	s_mov_b32 s10, 0x7f800001
	s_xor_b64 s[4:5], exec, -1
; %bb.3307:
	s_or_b64 exec, exec, s[8:9]
	s_and_b64 s[4:5], s[4:5], exec
	s_or_saveexec_b64 s[6:7], s[6:7]
	v_mov_b32_e32 v2, s10
	s_xor_b64 exec, exec, s[6:7]
	s_cbranch_execz .LBB56_1258
.LBB56_3308:
	v_mov_b32_e32 v2, 0
	v_cmp_ne_u16_sdwa s[8:9], v3, v2 src0_sel:BYTE_0 src1_sel:DWORD
	s_andn2_b64 s[4:5], s[4:5], exec
	s_and_b64 s[8:9], s[8:9], exec
	s_or_b64 s[4:5], s[4:5], s[8:9]
	s_or_b64 exec, exec, s[6:7]
	s_and_saveexec_b64 s[6:7], s[4:5]
	s_cbranch_execnz .LBB56_1259
	s_branch .LBB56_1260
.LBB56_3309:
	s_movk_i32 s4, 0x80
	v_cmp_eq_u16_sdwa s[12:13], v3, s4 src0_sel:BYTE_0 src1_sel:DWORD
	s_mov_b64 s[4:5], -1
                                        ; implicit-def: $sgpr10
	s_and_saveexec_b64 s[8:9], s[12:13]
; %bb.3310:
	s_mov_b32 s10, 0x7f800001
	s_xor_b64 s[4:5], exec, -1
; %bb.3311:
	s_or_b64 exec, exec, s[8:9]
	s_and_b64 s[4:5], s[4:5], exec
	s_or_saveexec_b64 s[6:7], s[6:7]
	v_mov_b32_e32 v4, s10
	s_xor_b64 exec, exec, s[6:7]
	s_cbranch_execz .LBB56_1262
.LBB56_3312:
	v_mov_b32_e32 v4, 0
	v_cmp_ne_u16_sdwa s[8:9], v3, v4 src0_sel:BYTE_0 src1_sel:DWORD
	s_andn2_b64 s[4:5], s[4:5], exec
	s_and_b64 s[8:9], s[8:9], exec
	s_or_b64 s[4:5], s[4:5], s[8:9]
	s_or_b64 exec, exec, s[6:7]
	s_and_saveexec_b64 s[6:7], s[4:5]
	s_cbranch_execnz .LBB56_1263
	s_branch .LBB56_1264
.LBB56_3313:
	s_movk_i32 s4, 0x80
	v_cmp_eq_u16_e32 vcc, s4, v3
	s_mov_b64 s[4:5], -1
                                        ; implicit-def: $sgpr10
	s_and_saveexec_b64 s[8:9], vcc
; %bb.3314:
	s_mov_b32 s10, 0x7f800001
	s_xor_b64 s[4:5], exec, -1
; %bb.3315:
	s_or_b64 exec, exec, s[8:9]
	s_and_b64 s[4:5], s[4:5], exec
                                        ; implicit-def: $vgpr3
	s_or_saveexec_b64 s[6:7], s[6:7]
	v_mov_b32_e32 v2, s10
	s_xor_b64 exec, exec, s[6:7]
	s_cbranch_execz .LBB56_1266
.LBB56_3316:
	v_cmp_ne_u16_e32 vcc, 0, v3
	s_andn2_b64 s[4:5], s[4:5], exec
	s_and_b64 s[8:9], vcc, exec
	v_mov_b32_e32 v2, 0
	s_or_b64 s[4:5], s[4:5], s[8:9]
	s_or_b64 exec, exec, s[6:7]
	s_and_saveexec_b64 s[6:7], s[4:5]
	s_cbranch_execnz .LBB56_1267
	s_branch .LBB56_1268
.LBB56_3317:
	s_movk_i32 s4, 0x80
	v_cmp_eq_u16_e32 vcc, s4, v3
	s_mov_b64 s[4:5], -1
                                        ; implicit-def: $sgpr10
	s_and_saveexec_b64 s[8:9], vcc
; %bb.3318:
	s_mov_b32 s10, 0x7f800001
	s_xor_b64 s[4:5], exec, -1
; %bb.3319:
	s_or_b64 exec, exec, s[8:9]
	s_and_b64 s[4:5], s[4:5], exec
                                        ; implicit-def: $vgpr3
	s_or_saveexec_b64 s[6:7], s[6:7]
	v_mov_b32_e32 v4, s10
	s_xor_b64 exec, exec, s[6:7]
	s_cbranch_execz .LBB56_1270
.LBB56_3320:
	v_cmp_ne_u16_e32 vcc, 0, v3
	s_andn2_b64 s[4:5], s[4:5], exec
	s_and_b64 s[8:9], vcc, exec
	v_mov_b32_e32 v4, 0
	s_or_b64 s[4:5], s[4:5], s[8:9]
	s_or_b64 exec, exec, s[6:7]
	s_and_saveexec_b64 s[6:7], s[4:5]
	s_cbranch_execnz .LBB56_1271
	s_branch .LBB56_1272
.LBB56_3321:
	s_movk_i32 s4, 0x80
	v_cmp_eq_u16_sdwa s[12:13], v9, s4 src0_sel:BYTE_3 src1_sel:DWORD
	s_mov_b64 s[4:5], -1
                                        ; implicit-def: $sgpr10
	s_and_saveexec_b64 s[8:9], s[12:13]
; %bb.3322:
	s_mov_b32 s10, 0x7f800001
	s_xor_b64 s[4:5], exec, -1
; %bb.3323:
	s_or_b64 exec, exec, s[8:9]
	s_and_b64 s[4:5], s[4:5], exec
	s_or_saveexec_b64 s[6:7], s[6:7]
	v_mov_b32_e32 v2, s10
	s_xor_b64 exec, exec, s[6:7]
	s_cbranch_execz .LBB56_1274
.LBB56_3324:
	v_mov_b32_e32 v2, 0
	v_cmp_ne_u16_sdwa s[8:9], v9, v2 src0_sel:BYTE_3 src1_sel:DWORD
	s_andn2_b64 s[4:5], s[4:5], exec
	s_and_b64 s[8:9], s[8:9], exec
	s_or_b64 s[4:5], s[4:5], s[8:9]
	s_or_b64 exec, exec, s[6:7]
	s_and_saveexec_b64 s[6:7], s[4:5]
	s_cbranch_execnz .LBB56_1275
	s_branch .LBB56_1276
.LBB56_3325:
	s_movk_i32 s4, 0x80
	v_cmp_eq_u16_sdwa s[12:13], v5, s4 src0_sel:BYTE_3 src1_sel:DWORD
	s_mov_b64 s[4:5], -1
                                        ; implicit-def: $sgpr10
	s_and_saveexec_b64 s[8:9], s[12:13]
; %bb.3326:
	s_mov_b32 s10, 0x7f800001
	s_xor_b64 s[4:5], exec, -1
; %bb.3327:
	s_or_b64 exec, exec, s[8:9]
	s_and_b64 s[4:5], s[4:5], exec
	s_or_saveexec_b64 s[6:7], s[6:7]
	v_mov_b32_e32 v3, s10
	s_xor_b64 exec, exec, s[6:7]
	s_cbranch_execz .LBB56_1278
.LBB56_3328:
	v_mov_b32_e32 v3, 0
	v_cmp_ne_u16_sdwa s[8:9], v5, v3 src0_sel:BYTE_3 src1_sel:DWORD
	s_andn2_b64 s[4:5], s[4:5], exec
	s_and_b64 s[8:9], s[8:9], exec
	s_or_b64 s[4:5], s[4:5], s[8:9]
	s_or_b64 exec, exec, s[6:7]
	s_and_saveexec_b64 s[6:7], s[4:5]
	s_cbranch_execnz .LBB56_1279
	s_branch .LBB56_1280
.LBB56_3329:
	s_movk_i32 s4, 0x80
	v_cmp_eq_u16_sdwa s[12:13], v14, s4 src0_sel:BYTE_0 src1_sel:DWORD
	s_mov_b64 s[4:5], -1
                                        ; implicit-def: $sgpr10
	s_and_saveexec_b64 s[8:9], s[12:13]
; %bb.3330:
	s_mov_b32 s10, 0x7f800001
	s_xor_b64 s[4:5], exec, -1
; %bb.3331:
	s_or_b64 exec, exec, s[8:9]
	s_and_b64 s[4:5], s[4:5], exec
	s_or_saveexec_b64 s[6:7], s[6:7]
	v_mov_b32_e32 v20, s10
	s_xor_b64 exec, exec, s[6:7]
	s_cbranch_execz .LBB56_1282
.LBB56_3332:
	v_mov_b32_e32 v20, 0
	v_cmp_ne_u16_sdwa s[8:9], v14, v20 src0_sel:BYTE_0 src1_sel:DWORD
	s_andn2_b64 s[4:5], s[4:5], exec
	s_and_b64 s[8:9], s[8:9], exec
	s_or_b64 s[4:5], s[4:5], s[8:9]
	s_or_b64 exec, exec, s[6:7]
	s_and_saveexec_b64 s[6:7], s[4:5]
	s_cbranch_execnz .LBB56_1283
	s_branch .LBB56_1284
.LBB56_3333:
	s_movk_i32 s4, 0x80
	v_cmp_eq_u16_sdwa s[12:13], v10, s4 src0_sel:BYTE_0 src1_sel:DWORD
	s_mov_b64 s[4:5], -1
                                        ; implicit-def: $sgpr10
	s_and_saveexec_b64 s[8:9], s[12:13]
; %bb.3334:
	s_mov_b32 s10, 0x7f800001
	s_xor_b64 s[4:5], exec, -1
; %bb.3335:
	s_or_b64 exec, exec, s[8:9]
	s_and_b64 s[4:5], s[4:5], exec
	s_or_saveexec_b64 s[6:7], s[6:7]
	v_mov_b32_e32 v21, s10
	s_xor_b64 exec, exec, s[6:7]
	s_cbranch_execz .LBB56_1286
.LBB56_3336:
	v_mov_b32_e32 v21, 0
	v_cmp_ne_u16_sdwa s[8:9], v10, v21 src0_sel:BYTE_0 src1_sel:DWORD
	s_andn2_b64 s[4:5], s[4:5], exec
	s_and_b64 s[8:9], s[8:9], exec
	s_or_b64 s[4:5], s[4:5], s[8:9]
	s_or_b64 exec, exec, s[6:7]
	s_and_saveexec_b64 s[6:7], s[4:5]
	s_cbranch_execnz .LBB56_1287
	s_branch .LBB56_1288
.LBB56_3337:
	s_movk_i32 s4, 0x80
	v_cmp_eq_u16_sdwa s[12:13], v21, s4 src0_sel:BYTE_0 src1_sel:DWORD
	s_mov_b64 s[4:5], -1
                                        ; implicit-def: $sgpr10
	s_and_saveexec_b64 s[8:9], s[12:13]
; %bb.3338:
	s_mov_b32 s10, 0x7f800001
	s_xor_b64 s[4:5], exec, -1
; %bb.3339:
	s_or_b64 exec, exec, s[8:9]
	s_and_b64 s[4:5], s[4:5], exec
	s_or_saveexec_b64 s[6:7], s[6:7]
	v_mov_b32_e32 v20, s10
	s_xor_b64 exec, exec, s[6:7]
	s_cbranch_execz .LBB56_1290
.LBB56_3340:
	v_mov_b32_e32 v20, 0
	v_cmp_ne_u16_sdwa s[8:9], v21, v20 src0_sel:BYTE_0 src1_sel:DWORD
	s_andn2_b64 s[4:5], s[4:5], exec
	s_and_b64 s[8:9], s[8:9], exec
	s_or_b64 s[4:5], s[4:5], s[8:9]
	s_or_b64 exec, exec, s[6:7]
	s_and_saveexec_b64 s[6:7], s[4:5]
	s_cbranch_execnz .LBB56_1291
	s_branch .LBB56_1292
.LBB56_3341:
	s_movk_i32 s4, 0x80
	v_cmp_eq_u16_sdwa s[12:13], v21, s4 src0_sel:BYTE_0 src1_sel:DWORD
	s_mov_b64 s[4:5], -1
                                        ; implicit-def: $sgpr10
	s_and_saveexec_b64 s[8:9], s[12:13]
; %bb.3342:
	s_mov_b32 s10, 0x7f800001
	s_xor_b64 s[4:5], exec, -1
; %bb.3343:
	s_or_b64 exec, exec, s[8:9]
	s_and_b64 s[4:5], s[4:5], exec
	s_or_saveexec_b64 s[6:7], s[6:7]
	v_mov_b32_e32 v22, s10
	s_xor_b64 exec, exec, s[6:7]
	s_cbranch_execz .LBB56_1294
.LBB56_3344:
	v_mov_b32_e32 v22, 0
	v_cmp_ne_u16_sdwa s[8:9], v21, v22 src0_sel:BYTE_0 src1_sel:DWORD
	s_andn2_b64 s[4:5], s[4:5], exec
	s_and_b64 s[8:9], s[8:9], exec
	s_or_b64 s[4:5], s[4:5], s[8:9]
	s_or_b64 exec, exec, s[6:7]
	s_and_saveexec_b64 s[6:7], s[4:5]
	s_cbranch_execnz .LBB56_1295
	s_branch .LBB56_1296
.LBB56_3345:
	s_movk_i32 s4, 0x80
	v_cmp_eq_u16_e32 vcc, s4, v21
	s_mov_b64 s[4:5], -1
                                        ; implicit-def: $sgpr10
	s_and_saveexec_b64 s[8:9], vcc
; %bb.3346:
	s_mov_b32 s10, 0x7f800001
	s_xor_b64 s[4:5], exec, -1
; %bb.3347:
	s_or_b64 exec, exec, s[8:9]
	s_and_b64 s[4:5], s[4:5], exec
                                        ; implicit-def: $vgpr21
	s_or_saveexec_b64 s[6:7], s[6:7]
	v_mov_b32_e32 v20, s10
	s_xor_b64 exec, exec, s[6:7]
	s_cbranch_execz .LBB56_1298
.LBB56_3348:
	v_cmp_ne_u16_e32 vcc, 0, v21
	s_andn2_b64 s[4:5], s[4:5], exec
	s_and_b64 s[8:9], vcc, exec
	v_mov_b32_e32 v20, 0
	s_or_b64 s[4:5], s[4:5], s[8:9]
	s_or_b64 exec, exec, s[6:7]
	s_and_saveexec_b64 s[6:7], s[4:5]
	s_cbranch_execnz .LBB56_1299
	s_branch .LBB56_1300
.LBB56_3349:
	s_movk_i32 s4, 0x80
	v_cmp_eq_u16_e32 vcc, s4, v21
	s_mov_b64 s[4:5], -1
                                        ; implicit-def: $sgpr10
	s_and_saveexec_b64 s[8:9], vcc
; %bb.3350:
	s_mov_b32 s10, 0x7f800001
	s_xor_b64 s[4:5], exec, -1
; %bb.3351:
	s_or_b64 exec, exec, s[8:9]
	s_and_b64 s[4:5], s[4:5], exec
                                        ; implicit-def: $vgpr21
	s_or_saveexec_b64 s[6:7], s[6:7]
	v_mov_b32_e32 v22, s10
	s_xor_b64 exec, exec, s[6:7]
	s_cbranch_execz .LBB56_1302
.LBB56_3352:
	v_cmp_ne_u16_e32 vcc, 0, v21
	s_andn2_b64 s[4:5], s[4:5], exec
	s_and_b64 s[8:9], vcc, exec
	v_mov_b32_e32 v22, 0
	s_or_b64 s[4:5], s[4:5], s[8:9]
	s_or_b64 exec, exec, s[6:7]
	s_and_saveexec_b64 s[6:7], s[4:5]
	s_cbranch_execnz .LBB56_1303
	s_branch .LBB56_1304
.LBB56_3353:
	s_movk_i32 s4, 0x80
	v_cmp_eq_u16_sdwa s[12:13], v14, s4 src0_sel:BYTE_3 src1_sel:DWORD
	s_mov_b64 s[4:5], -1
                                        ; implicit-def: $sgpr10
	s_and_saveexec_b64 s[8:9], s[12:13]
; %bb.3354:
	s_mov_b32 s10, 0x7f800001
	s_xor_b64 s[4:5], exec, -1
; %bb.3355:
	s_or_b64 exec, exec, s[8:9]
	s_and_b64 s[4:5], s[4:5], exec
	s_or_saveexec_b64 s[6:7], s[6:7]
	v_mov_b32_e32 v20, s10
	s_xor_b64 exec, exec, s[6:7]
	s_cbranch_execz .LBB56_1306
.LBB56_3356:
	v_mov_b32_e32 v20, 0
	v_cmp_ne_u16_sdwa s[8:9], v14, v20 src0_sel:BYTE_3 src1_sel:DWORD
	s_andn2_b64 s[4:5], s[4:5], exec
	s_and_b64 s[8:9], s[8:9], exec
	s_or_b64 s[4:5], s[4:5], s[8:9]
	s_or_b64 exec, exec, s[6:7]
	s_and_saveexec_b64 s[6:7], s[4:5]
	s_cbranch_execnz .LBB56_1307
	s_branch .LBB56_1308
.LBB56_3357:
	s_movk_i32 s4, 0x80
	v_cmp_eq_u16_sdwa s[12:13], v10, s4 src0_sel:BYTE_3 src1_sel:DWORD
	s_mov_b64 s[4:5], -1
                                        ; implicit-def: $sgpr10
	s_and_saveexec_b64 s[8:9], s[12:13]
; %bb.3358:
	s_mov_b32 s10, 0x7f800001
	s_xor_b64 s[4:5], exec, -1
; %bb.3359:
	s_or_b64 exec, exec, s[8:9]
	s_and_b64 s[4:5], s[4:5], exec
	s_or_saveexec_b64 s[6:7], s[6:7]
	v_mov_b32_e32 v14, s10
	s_xor_b64 exec, exec, s[6:7]
	s_cbranch_execz .LBB56_1310
.LBB56_3360:
	v_mov_b32_e32 v14, 0
	v_cmp_ne_u16_sdwa s[8:9], v10, v14 src0_sel:BYTE_3 src1_sel:DWORD
	s_andn2_b64 s[4:5], s[4:5], exec
	s_and_b64 s[8:9], s[8:9], exec
	s_or_b64 s[4:5], s[4:5], s[8:9]
	s_or_b64 exec, exec, s[6:7]
	s_and_saveexec_b64 s[6:7], s[4:5]
	s_cbranch_execnz .LBB56_1311
	s_branch .LBB56_1312
.LBB56_3361:
	s_movk_i32 s4, 0x80
	v_cmp_eq_u16_sdwa s[12:13], v15, s4 src0_sel:BYTE_0 src1_sel:DWORD
	s_mov_b64 s[4:5], -1
                                        ; implicit-def: $sgpr10
	s_and_saveexec_b64 s[8:9], s[12:13]
; %bb.3362:
	s_mov_b32 s10, 0x7f800001
	s_xor_b64 s[4:5], exec, -1
; %bb.3363:
	s_or_b64 exec, exec, s[8:9]
	s_and_b64 s[4:5], s[4:5], exec
	s_or_saveexec_b64 s[6:7], s[6:7]
	v_mov_b32_e32 v10, s10
	s_xor_b64 exec, exec, s[6:7]
	s_cbranch_execz .LBB56_1314
.LBB56_3364:
	v_mov_b32_e32 v10, 0
	v_cmp_ne_u16_sdwa s[8:9], v15, v10 src0_sel:BYTE_0 src1_sel:DWORD
	s_andn2_b64 s[4:5], s[4:5], exec
	s_and_b64 s[8:9], s[8:9], exec
	s_or_b64 s[4:5], s[4:5], s[8:9]
	s_or_b64 exec, exec, s[6:7]
	s_and_saveexec_b64 s[6:7], s[4:5]
	s_cbranch_execnz .LBB56_1315
	s_branch .LBB56_1316
.LBB56_3365:
	s_movk_i32 s4, 0x80
	v_cmp_eq_u16_sdwa s[12:13], v11, s4 src0_sel:BYTE_0 src1_sel:DWORD
	s_mov_b64 s[4:5], -1
                                        ; implicit-def: $sgpr10
	s_and_saveexec_b64 s[8:9], s[12:13]
; %bb.3366:
	s_mov_b32 s10, 0x7f800001
	s_xor_b64 s[4:5], exec, -1
; %bb.3367:
	s_or_b64 exec, exec, s[8:9]
	s_and_b64 s[4:5], s[4:5], exec
	s_or_saveexec_b64 s[6:7], s[6:7]
	v_mov_b32_e32 v14, s10
	s_xor_b64 exec, exec, s[6:7]
	s_cbranch_execz .LBB56_1318
.LBB56_3368:
	v_mov_b32_e32 v14, 0
	v_cmp_ne_u16_sdwa s[8:9], v11, v14 src0_sel:BYTE_0 src1_sel:DWORD
	s_andn2_b64 s[4:5], s[4:5], exec
	s_and_b64 s[8:9], s[8:9], exec
	s_or_b64 s[4:5], s[4:5], s[8:9]
	s_or_b64 exec, exec, s[6:7]
	s_and_saveexec_b64 s[6:7], s[4:5]
	s_cbranch_execnz .LBB56_1319
	s_branch .LBB56_1320
.LBB56_3369:
	s_movk_i32 s4, 0x80
	v_cmp_eq_u16_sdwa s[12:13], v14, s4 src0_sel:BYTE_0 src1_sel:DWORD
	s_mov_b64 s[4:5], -1
                                        ; implicit-def: $sgpr10
	s_and_saveexec_b64 s[8:9], s[12:13]
; %bb.3370:
	s_mov_b32 s10, 0x7f800001
	s_xor_b64 s[4:5], exec, -1
; %bb.3371:
	s_or_b64 exec, exec, s[8:9]
	s_and_b64 s[4:5], s[4:5], exec
	s_or_saveexec_b64 s[6:7], s[6:7]
	v_mov_b32_e32 v10, s10
	s_xor_b64 exec, exec, s[6:7]
	s_cbranch_execz .LBB56_1322
.LBB56_3372:
	v_mov_b32_e32 v10, 0
	v_cmp_ne_u16_sdwa s[8:9], v14, v10 src0_sel:BYTE_0 src1_sel:DWORD
	s_andn2_b64 s[4:5], s[4:5], exec
	s_and_b64 s[8:9], s[8:9], exec
	s_or_b64 s[4:5], s[4:5], s[8:9]
	s_or_b64 exec, exec, s[6:7]
	s_and_saveexec_b64 s[6:7], s[4:5]
	s_cbranch_execnz .LBB56_1323
	s_branch .LBB56_1324
.LBB56_3373:
	s_movk_i32 s4, 0x80
	v_cmp_eq_u16_sdwa s[12:13], v14, s4 src0_sel:BYTE_0 src1_sel:DWORD
	s_mov_b64 s[4:5], -1
                                        ; implicit-def: $sgpr10
	s_and_saveexec_b64 s[8:9], s[12:13]
; %bb.3374:
	s_mov_b32 s10, 0x7f800001
	s_xor_b64 s[4:5], exec, -1
; %bb.3375:
	s_or_b64 exec, exec, s[8:9]
	s_and_b64 s[4:5], s[4:5], exec
	s_or_saveexec_b64 s[6:7], s[6:7]
	v_mov_b32_e32 v20, s10
	s_xor_b64 exec, exec, s[6:7]
	s_cbranch_execz .LBB56_1326
.LBB56_3376:
	v_mov_b32_e32 v20, 0
	v_cmp_ne_u16_sdwa s[8:9], v14, v20 src0_sel:BYTE_0 src1_sel:DWORD
	s_andn2_b64 s[4:5], s[4:5], exec
	s_and_b64 s[8:9], s[8:9], exec
	s_or_b64 s[4:5], s[4:5], s[8:9]
	s_or_b64 exec, exec, s[6:7]
	s_and_saveexec_b64 s[6:7], s[4:5]
	s_cbranch_execnz .LBB56_1327
	s_branch .LBB56_1328
.LBB56_3377:
	s_movk_i32 s4, 0x80
	v_cmp_eq_u16_e32 vcc, s4, v14
	s_mov_b64 s[4:5], -1
                                        ; implicit-def: $sgpr10
	s_and_saveexec_b64 s[8:9], vcc
; %bb.3378:
	s_mov_b32 s10, 0x7f800001
	s_xor_b64 s[4:5], exec, -1
; %bb.3379:
	s_or_b64 exec, exec, s[8:9]
	s_and_b64 s[4:5], s[4:5], exec
                                        ; implicit-def: $vgpr14
	s_or_saveexec_b64 s[6:7], s[6:7]
	v_mov_b32_e32 v10, s10
	s_xor_b64 exec, exec, s[6:7]
	s_cbranch_execz .LBB56_1330
.LBB56_3380:
	v_cmp_ne_u16_e32 vcc, 0, v14
	s_andn2_b64 s[4:5], s[4:5], exec
	s_and_b64 s[8:9], vcc, exec
	v_mov_b32_e32 v10, 0
	s_or_b64 s[4:5], s[4:5], s[8:9]
	s_or_b64 exec, exec, s[6:7]
	s_and_saveexec_b64 s[6:7], s[4:5]
	s_cbranch_execnz .LBB56_1331
	s_branch .LBB56_1332
.LBB56_3381:
	s_movk_i32 s4, 0x80
	v_cmp_eq_u16_e32 vcc, s4, v14
	s_mov_b64 s[4:5], -1
                                        ; implicit-def: $sgpr10
	s_and_saveexec_b64 s[8:9], vcc
; %bb.3382:
	s_mov_b32 s10, 0x7f800001
	s_xor_b64 s[4:5], exec, -1
; %bb.3383:
	s_or_b64 exec, exec, s[8:9]
	s_and_b64 s[4:5], s[4:5], exec
                                        ; implicit-def: $vgpr14
	s_or_saveexec_b64 s[6:7], s[6:7]
	v_mov_b32_e32 v20, s10
	s_xor_b64 exec, exec, s[6:7]
	s_cbranch_execz .LBB56_1334
.LBB56_3384:
	v_cmp_ne_u16_e32 vcc, 0, v14
	s_andn2_b64 s[4:5], s[4:5], exec
	s_and_b64 s[8:9], vcc, exec
	v_mov_b32_e32 v20, 0
	s_or_b64 s[4:5], s[4:5], s[8:9]
	s_or_b64 exec, exec, s[6:7]
	s_and_saveexec_b64 s[6:7], s[4:5]
	s_cbranch_execnz .LBB56_1335
	s_branch .LBB56_1336
.LBB56_3385:
	s_movk_i32 s4, 0x80
	v_cmp_eq_u16_sdwa s[12:13], v15, s4 src0_sel:BYTE_3 src1_sel:DWORD
	s_mov_b64 s[4:5], -1
                                        ; implicit-def: $sgpr10
	s_and_saveexec_b64 s[8:9], s[12:13]
; %bb.3386:
	s_mov_b32 s10, 0x7f800001
	s_xor_b64 s[4:5], exec, -1
; %bb.3387:
	s_or_b64 exec, exec, s[8:9]
	s_and_b64 s[4:5], s[4:5], exec
	s_or_saveexec_b64 s[6:7], s[6:7]
	v_mov_b32_e32 v10, s10
	s_xor_b64 exec, exec, s[6:7]
	s_cbranch_execz .LBB56_1338
.LBB56_3388:
	v_mov_b32_e32 v10, 0
	v_cmp_ne_u16_sdwa s[8:9], v15, v10 src0_sel:BYTE_3 src1_sel:DWORD
	s_andn2_b64 s[4:5], s[4:5], exec
	s_and_b64 s[8:9], s[8:9], exec
	s_or_b64 s[4:5], s[4:5], s[8:9]
	s_or_b64 exec, exec, s[6:7]
	s_and_saveexec_b64 s[6:7], s[4:5]
	s_cbranch_execnz .LBB56_1339
	s_branch .LBB56_1340
.LBB56_3389:
	s_movk_i32 s4, 0x80
	v_cmp_eq_u16_sdwa s[12:13], v11, s4 src0_sel:BYTE_3 src1_sel:DWORD
	s_mov_b64 s[4:5], -1
                                        ; implicit-def: $sgpr10
	s_and_saveexec_b64 s[8:9], s[12:13]
; %bb.3390:
	s_mov_b32 s10, 0x7f800001
	s_xor_b64 s[4:5], exec, -1
; %bb.3391:
	s_or_b64 exec, exec, s[8:9]
	s_and_b64 s[4:5], s[4:5], exec
	s_or_saveexec_b64 s[6:7], s[6:7]
	v_mov_b32_e32 v14, s10
	s_xor_b64 exec, exec, s[6:7]
	s_cbranch_execz .LBB56_1342
.LBB56_3392:
	v_mov_b32_e32 v14, 0
	v_cmp_ne_u16_sdwa s[8:9], v11, v14 src0_sel:BYTE_3 src1_sel:DWORD
	s_andn2_b64 s[4:5], s[4:5], exec
	s_and_b64 s[8:9], s[8:9], exec
	s_or_b64 s[4:5], s[4:5], s[8:9]
	s_or_b64 exec, exec, s[6:7]
	s_and_saveexec_b64 s[6:7], s[4:5]
	s_cbranch_execnz .LBB56_1343
	s_branch .LBB56_1344
.LBB56_3393:
	s_movk_i32 s4, 0x80
	v_cmp_eq_u16_sdwa s[12:13], v16, s4 src0_sel:BYTE_0 src1_sel:DWORD
	s_mov_b64 s[4:5], -1
                                        ; implicit-def: $sgpr10
	s_and_saveexec_b64 s[8:9], s[12:13]
; %bb.3394:
	s_mov_b32 s10, 0x7f800001
	s_xor_b64 s[4:5], exec, -1
; %bb.3395:
	s_or_b64 exec, exec, s[8:9]
	s_and_b64 s[4:5], s[4:5], exec
	s_or_saveexec_b64 s[6:7], s[6:7]
	v_mov_b32_e32 v10, s10
	s_xor_b64 exec, exec, s[6:7]
	s_cbranch_execz .LBB56_1346
.LBB56_3396:
	v_mov_b32_e32 v10, 0
	v_cmp_ne_u16_sdwa s[8:9], v16, v10 src0_sel:BYTE_0 src1_sel:DWORD
	s_andn2_b64 s[4:5], s[4:5], exec
	s_and_b64 s[8:9], s[8:9], exec
	s_or_b64 s[4:5], s[4:5], s[8:9]
	s_or_b64 exec, exec, s[6:7]
	s_and_saveexec_b64 s[6:7], s[4:5]
	s_cbranch_execnz .LBB56_1347
	s_branch .LBB56_1348
.LBB56_3397:
	s_movk_i32 s4, 0x80
	v_cmp_eq_u16_sdwa s[12:13], v12, s4 src0_sel:BYTE_0 src1_sel:DWORD
	s_mov_b64 s[4:5], -1
                                        ; implicit-def: $sgpr10
	s_and_saveexec_b64 s[8:9], s[12:13]
; %bb.3398:
	s_mov_b32 s10, 0x7f800001
	s_xor_b64 s[4:5], exec, -1
; %bb.3399:
	s_or_b64 exec, exec, s[8:9]
	s_and_b64 s[4:5], s[4:5], exec
	s_or_saveexec_b64 s[6:7], s[6:7]
	v_mov_b32_e32 v11, s10
	s_xor_b64 exec, exec, s[6:7]
	s_cbranch_execz .LBB56_1350
.LBB56_3400:
	v_mov_b32_e32 v11, 0
	v_cmp_ne_u16_sdwa s[8:9], v12, v11 src0_sel:BYTE_0 src1_sel:DWORD
	s_andn2_b64 s[4:5], s[4:5], exec
	s_and_b64 s[8:9], s[8:9], exec
	s_or_b64 s[4:5], s[4:5], s[8:9]
	s_or_b64 exec, exec, s[6:7]
	s_and_saveexec_b64 s[6:7], s[4:5]
	s_cbranch_execnz .LBB56_1351
	s_branch .LBB56_1352
.LBB56_3401:
	s_movk_i32 s4, 0x80
	v_cmp_eq_u16_sdwa s[12:13], v11, s4 src0_sel:BYTE_0 src1_sel:DWORD
	s_mov_b64 s[4:5], -1
                                        ; implicit-def: $sgpr10
	s_and_saveexec_b64 s[8:9], s[12:13]
; %bb.3402:
	s_mov_b32 s10, 0x7f800001
	s_xor_b64 s[4:5], exec, -1
; %bb.3403:
	s_or_b64 exec, exec, s[8:9]
	s_and_b64 s[4:5], s[4:5], exec
	s_or_saveexec_b64 s[6:7], s[6:7]
	v_mov_b32_e32 v10, s10
	s_xor_b64 exec, exec, s[6:7]
	s_cbranch_execz .LBB56_1354
.LBB56_3404:
	v_mov_b32_e32 v10, 0
	v_cmp_ne_u16_sdwa s[8:9], v11, v10 src0_sel:BYTE_0 src1_sel:DWORD
	s_andn2_b64 s[4:5], s[4:5], exec
	s_and_b64 s[8:9], s[8:9], exec
	s_or_b64 s[4:5], s[4:5], s[8:9]
	s_or_b64 exec, exec, s[6:7]
	s_and_saveexec_b64 s[6:7], s[4:5]
	s_cbranch_execnz .LBB56_1355
	s_branch .LBB56_1356
.LBB56_3405:
	s_movk_i32 s4, 0x80
	v_cmp_eq_u16_sdwa s[12:13], v11, s4 src0_sel:BYTE_0 src1_sel:DWORD
	s_mov_b64 s[4:5], -1
                                        ; implicit-def: $sgpr10
	s_and_saveexec_b64 s[8:9], s[12:13]
; %bb.3406:
	s_mov_b32 s10, 0x7f800001
	s_xor_b64 s[4:5], exec, -1
; %bb.3407:
	s_or_b64 exec, exec, s[8:9]
	s_and_b64 s[4:5], s[4:5], exec
	s_or_saveexec_b64 s[6:7], s[6:7]
	v_mov_b32_e32 v14, s10
	s_xor_b64 exec, exec, s[6:7]
	s_cbranch_execz .LBB56_1358
.LBB56_3408:
	v_mov_b32_e32 v14, 0
	v_cmp_ne_u16_sdwa s[8:9], v11, v14 src0_sel:BYTE_0 src1_sel:DWORD
	s_andn2_b64 s[4:5], s[4:5], exec
	s_and_b64 s[8:9], s[8:9], exec
	s_or_b64 s[4:5], s[4:5], s[8:9]
	s_or_b64 exec, exec, s[6:7]
	s_and_saveexec_b64 s[6:7], s[4:5]
	s_cbranch_execnz .LBB56_1359
	s_branch .LBB56_1360
.LBB56_3409:
	s_movk_i32 s4, 0x80
	v_cmp_eq_u16_e32 vcc, s4, v11
	s_mov_b64 s[4:5], -1
                                        ; implicit-def: $sgpr10
	s_and_saveexec_b64 s[8:9], vcc
; %bb.3410:
	s_mov_b32 s10, 0x7f800001
	s_xor_b64 s[4:5], exec, -1
; %bb.3411:
	s_or_b64 exec, exec, s[8:9]
	s_and_b64 s[4:5], s[4:5], exec
                                        ; implicit-def: $vgpr11
	s_or_saveexec_b64 s[6:7], s[6:7]
	v_mov_b32_e32 v10, s10
	s_xor_b64 exec, exec, s[6:7]
	s_cbranch_execz .LBB56_1362
.LBB56_3412:
	v_cmp_ne_u16_e32 vcc, 0, v11
	s_andn2_b64 s[4:5], s[4:5], exec
	s_and_b64 s[8:9], vcc, exec
	v_mov_b32_e32 v10, 0
	s_or_b64 s[4:5], s[4:5], s[8:9]
	s_or_b64 exec, exec, s[6:7]
	s_and_saveexec_b64 s[6:7], s[4:5]
	s_cbranch_execnz .LBB56_1363
	s_branch .LBB56_1364
.LBB56_3413:
	s_movk_i32 s4, 0x80
	v_cmp_eq_u16_e32 vcc, s4, v11
	s_mov_b64 s[4:5], -1
                                        ; implicit-def: $sgpr10
	s_and_saveexec_b64 s[8:9], vcc
; %bb.3414:
	s_mov_b32 s10, 0x7f800001
	s_xor_b64 s[4:5], exec, -1
; %bb.3415:
	s_or_b64 exec, exec, s[8:9]
	s_and_b64 s[4:5], s[4:5], exec
                                        ; implicit-def: $vgpr11
	s_or_saveexec_b64 s[6:7], s[6:7]
	v_mov_b32_e32 v14, s10
	s_xor_b64 exec, exec, s[6:7]
	s_cbranch_execz .LBB56_1366
.LBB56_3416:
	v_cmp_ne_u16_e32 vcc, 0, v11
	s_andn2_b64 s[4:5], s[4:5], exec
	s_and_b64 s[8:9], vcc, exec
	v_mov_b32_e32 v14, 0
	s_or_b64 s[4:5], s[4:5], s[8:9]
	s_or_b64 exec, exec, s[6:7]
	s_and_saveexec_b64 s[6:7], s[4:5]
	s_cbranch_execnz .LBB56_1367
	s_branch .LBB56_1368
.LBB56_3417:
	s_movk_i32 s4, 0x80
	v_cmp_eq_u16_sdwa s[12:13], v16, s4 src0_sel:BYTE_3 src1_sel:DWORD
	s_mov_b64 s[4:5], -1
                                        ; implicit-def: $sgpr10
	s_and_saveexec_b64 s[8:9], s[12:13]
; %bb.3418:
	s_mov_b32 s10, 0x7f800001
	s_xor_b64 s[4:5], exec, -1
; %bb.3419:
	s_or_b64 exec, exec, s[8:9]
	s_and_b64 s[4:5], s[4:5], exec
	s_or_saveexec_b64 s[6:7], s[6:7]
	v_mov_b32_e32 v10, s10
	s_xor_b64 exec, exec, s[6:7]
	s_cbranch_execz .LBB56_1370
.LBB56_3420:
	v_mov_b32_e32 v10, 0
	v_cmp_ne_u16_sdwa s[8:9], v16, v10 src0_sel:BYTE_3 src1_sel:DWORD
	s_andn2_b64 s[4:5], s[4:5], exec
	s_and_b64 s[8:9], s[8:9], exec
	s_or_b64 s[4:5], s[4:5], s[8:9]
	s_or_b64 exec, exec, s[6:7]
	s_and_saveexec_b64 s[6:7], s[4:5]
	s_cbranch_execnz .LBB56_1371
	s_branch .LBB56_1372
.LBB56_3421:
	s_movk_i32 s4, 0x80
	v_cmp_eq_u16_sdwa s[12:13], v12, s4 src0_sel:BYTE_3 src1_sel:DWORD
	s_mov_b64 s[4:5], -1
                                        ; implicit-def: $sgpr10
	s_and_saveexec_b64 s[8:9], s[12:13]
; %bb.3422:
	s_mov_b32 s10, 0x7f800001
	s_xor_b64 s[4:5], exec, -1
; %bb.3423:
	s_or_b64 exec, exec, s[8:9]
	s_and_b64 s[4:5], s[4:5], exec
	s_or_saveexec_b64 s[6:7], s[6:7]
	v_mov_b32_e32 v11, s10
	s_xor_b64 exec, exec, s[6:7]
	s_cbranch_execz .LBB56_1374
.LBB56_3424:
	v_mov_b32_e32 v11, 0
	v_cmp_ne_u16_sdwa s[8:9], v12, v11 src0_sel:BYTE_3 src1_sel:DWORD
	s_andn2_b64 s[4:5], s[4:5], exec
	s_and_b64 s[8:9], s[8:9], exec
	s_or_b64 s[4:5], s[4:5], s[8:9]
	s_or_b64 exec, exec, s[6:7]
	s_and_saveexec_b64 s[6:7], s[4:5]
	s_cbranch_execnz .LBB56_1375
	s_branch .LBB56_1376
.LBB56_3425:
	s_movk_i32 s4, 0x80
	v_cmp_eq_u16_sdwa s[12:13], v17, s4 src0_sel:BYTE_0 src1_sel:DWORD
	s_mov_b64 s[4:5], -1
                                        ; implicit-def: $sgpr10
	s_and_saveexec_b64 s[8:9], s[12:13]
; %bb.3426:
	s_mov_b32 s10, 0x7f800001
	s_xor_b64 s[4:5], exec, -1
; %bb.3427:
	s_or_b64 exec, exec, s[8:9]
	s_and_b64 s[4:5], s[4:5], exec
	s_or_saveexec_b64 s[6:7], s[6:7]
	v_mov_b32_e32 v10, s10
	s_xor_b64 exec, exec, s[6:7]
	s_cbranch_execz .LBB56_1378
.LBB56_3428:
	v_mov_b32_e32 v10, 0
	v_cmp_ne_u16_sdwa s[8:9], v17, v10 src0_sel:BYTE_0 src1_sel:DWORD
	s_andn2_b64 s[4:5], s[4:5], exec
	s_and_b64 s[8:9], s[8:9], exec
	s_or_b64 s[4:5], s[4:5], s[8:9]
	s_or_b64 exec, exec, s[6:7]
	s_and_saveexec_b64 s[6:7], s[4:5]
	s_cbranch_execnz .LBB56_1379
	s_branch .LBB56_1380
.LBB56_3429:
	s_movk_i32 s4, 0x80
	v_cmp_eq_u16_sdwa s[12:13], v13, s4 src0_sel:BYTE_0 src1_sel:DWORD
	s_mov_b64 s[4:5], -1
                                        ; implicit-def: $sgpr10
	s_and_saveexec_b64 s[8:9], s[12:13]
; %bb.3430:
	s_mov_b32 s10, 0x7f800001
	s_xor_b64 s[4:5], exec, -1
; %bb.3431:
	s_or_b64 exec, exec, s[8:9]
	s_and_b64 s[4:5], s[4:5], exec
	s_or_saveexec_b64 s[6:7], s[6:7]
	v_mov_b32_e32 v11, s10
	s_xor_b64 exec, exec, s[6:7]
	s_cbranch_execz .LBB56_1382
.LBB56_3432:
	v_mov_b32_e32 v11, 0
	v_cmp_ne_u16_sdwa s[8:9], v13, v11 src0_sel:BYTE_0 src1_sel:DWORD
	s_andn2_b64 s[4:5], s[4:5], exec
	s_and_b64 s[8:9], s[8:9], exec
	s_or_b64 s[4:5], s[4:5], s[8:9]
	s_or_b64 exec, exec, s[6:7]
	s_and_saveexec_b64 s[6:7], s[4:5]
	s_cbranch_execnz .LBB56_1383
	s_branch .LBB56_1384
.LBB56_3433:
	s_movk_i32 s4, 0x80
	v_cmp_eq_u16_sdwa s[12:13], v11, s4 src0_sel:BYTE_0 src1_sel:DWORD
	s_mov_b64 s[4:5], -1
                                        ; implicit-def: $sgpr10
	s_and_saveexec_b64 s[8:9], s[12:13]
; %bb.3434:
	s_mov_b32 s10, 0x7f800001
	s_xor_b64 s[4:5], exec, -1
; %bb.3435:
	s_or_b64 exec, exec, s[8:9]
	s_and_b64 s[4:5], s[4:5], exec
	s_or_saveexec_b64 s[6:7], s[6:7]
	v_mov_b32_e32 v10, s10
	s_xor_b64 exec, exec, s[6:7]
	s_cbranch_execz .LBB56_1386
.LBB56_3436:
	v_mov_b32_e32 v10, 0
	v_cmp_ne_u16_sdwa s[8:9], v11, v10 src0_sel:BYTE_0 src1_sel:DWORD
	s_andn2_b64 s[4:5], s[4:5], exec
	s_and_b64 s[8:9], s[8:9], exec
	s_or_b64 s[4:5], s[4:5], s[8:9]
	s_or_b64 exec, exec, s[6:7]
	s_and_saveexec_b64 s[6:7], s[4:5]
	s_cbranch_execnz .LBB56_1387
	s_branch .LBB56_1388
.LBB56_3437:
	s_movk_i32 s4, 0x80
	v_cmp_eq_u16_sdwa s[12:13], v11, s4 src0_sel:BYTE_0 src1_sel:DWORD
	s_mov_b64 s[4:5], -1
                                        ; implicit-def: $sgpr10
	s_and_saveexec_b64 s[8:9], s[12:13]
; %bb.3438:
	s_mov_b32 s10, 0x7f800001
	s_xor_b64 s[4:5], exec, -1
; %bb.3439:
	s_or_b64 exec, exec, s[8:9]
	s_and_b64 s[4:5], s[4:5], exec
	s_or_saveexec_b64 s[6:7], s[6:7]
	v_mov_b32_e32 v12, s10
	s_xor_b64 exec, exec, s[6:7]
	s_cbranch_execz .LBB56_1390
.LBB56_3440:
	v_mov_b32_e32 v12, 0
	v_cmp_ne_u16_sdwa s[8:9], v11, v12 src0_sel:BYTE_0 src1_sel:DWORD
	s_andn2_b64 s[4:5], s[4:5], exec
	s_and_b64 s[8:9], s[8:9], exec
	s_or_b64 s[4:5], s[4:5], s[8:9]
	s_or_b64 exec, exec, s[6:7]
	s_and_saveexec_b64 s[6:7], s[4:5]
	s_cbranch_execnz .LBB56_1391
	s_branch .LBB56_1392
.LBB56_3441:
	s_movk_i32 s4, 0x80
	v_cmp_eq_u16_e32 vcc, s4, v11
	s_mov_b64 s[4:5], -1
                                        ; implicit-def: $sgpr10
	s_and_saveexec_b64 s[8:9], vcc
; %bb.3442:
	s_mov_b32 s10, 0x7f800001
	s_xor_b64 s[4:5], exec, -1
; %bb.3443:
	s_or_b64 exec, exec, s[8:9]
	s_and_b64 s[4:5], s[4:5], exec
                                        ; implicit-def: $vgpr11
	s_or_saveexec_b64 s[6:7], s[6:7]
	v_mov_b32_e32 v10, s10
	s_xor_b64 exec, exec, s[6:7]
	s_cbranch_execz .LBB56_1394
.LBB56_3444:
	v_cmp_ne_u16_e32 vcc, 0, v11
	s_andn2_b64 s[4:5], s[4:5], exec
	s_and_b64 s[8:9], vcc, exec
	v_mov_b32_e32 v10, 0
	s_or_b64 s[4:5], s[4:5], s[8:9]
	s_or_b64 exec, exec, s[6:7]
	s_and_saveexec_b64 s[6:7], s[4:5]
	s_cbranch_execnz .LBB56_1395
	s_branch .LBB56_1396
.LBB56_3445:
	s_movk_i32 s4, 0x80
	v_cmp_eq_u16_e32 vcc, s4, v11
	s_mov_b64 s[4:5], -1
                                        ; implicit-def: $sgpr10
	s_and_saveexec_b64 s[8:9], vcc
; %bb.3446:
	s_mov_b32 s10, 0x7f800001
	s_xor_b64 s[4:5], exec, -1
; %bb.3447:
	s_or_b64 exec, exec, s[8:9]
	s_and_b64 s[4:5], s[4:5], exec
                                        ; implicit-def: $vgpr11
	s_or_saveexec_b64 s[6:7], s[6:7]
	v_mov_b32_e32 v12, s10
	s_xor_b64 exec, exec, s[6:7]
	s_cbranch_execz .LBB56_1398
.LBB56_3448:
	v_cmp_ne_u16_e32 vcc, 0, v11
	s_andn2_b64 s[4:5], s[4:5], exec
	s_and_b64 s[8:9], vcc, exec
	v_mov_b32_e32 v12, 0
	s_or_b64 s[4:5], s[4:5], s[8:9]
	s_or_b64 exec, exec, s[6:7]
	s_and_saveexec_b64 s[6:7], s[4:5]
	s_cbranch_execnz .LBB56_1399
	s_branch .LBB56_1400
.LBB56_3449:
	s_movk_i32 s4, 0x80
	v_cmp_eq_u16_sdwa s[12:13], v17, s4 src0_sel:BYTE_3 src1_sel:DWORD
	s_mov_b64 s[4:5], -1
                                        ; implicit-def: $sgpr10
	s_and_saveexec_b64 s[8:9], s[12:13]
; %bb.3450:
	s_mov_b32 s10, 0x7f800001
	s_xor_b64 s[4:5], exec, -1
; %bb.3451:
	s_or_b64 exec, exec, s[8:9]
	s_and_b64 s[4:5], s[4:5], exec
	s_or_saveexec_b64 s[6:7], s[6:7]
	v_mov_b32_e32 v10, s10
	s_xor_b64 exec, exec, s[6:7]
	s_cbranch_execz .LBB56_1402
.LBB56_3452:
	v_mov_b32_e32 v10, 0
	v_cmp_ne_u16_sdwa s[8:9], v17, v10 src0_sel:BYTE_3 src1_sel:DWORD
	s_andn2_b64 s[4:5], s[4:5], exec
	s_and_b64 s[8:9], s[8:9], exec
	s_or_b64 s[4:5], s[4:5], s[8:9]
	s_or_b64 exec, exec, s[6:7]
	s_and_saveexec_b64 s[6:7], s[4:5]
	s_cbranch_execnz .LBB56_1403
	s_branch .LBB56_1404
.LBB56_3453:
	s_movk_i32 s4, 0x80
	v_cmp_eq_u16_sdwa s[12:13], v13, s4 src0_sel:BYTE_3 src1_sel:DWORD
	s_mov_b64 s[4:5], -1
                                        ; implicit-def: $sgpr10
	s_and_saveexec_b64 s[8:9], s[12:13]
; %bb.3454:
	s_mov_b32 s10, 0x7f800001
	s_xor_b64 s[4:5], exec, -1
; %bb.3455:
	s_or_b64 exec, exec, s[8:9]
	s_and_b64 s[4:5], s[4:5], exec
	s_or_saveexec_b64 s[6:7], s[6:7]
	v_mov_b32_e32 v11, s10
	s_xor_b64 exec, exec, s[6:7]
	s_cbranch_execz .LBB56_1406
.LBB56_3456:
	v_mov_b32_e32 v11, 0
	v_cmp_ne_u16_sdwa s[8:9], v13, v11 src0_sel:BYTE_3 src1_sel:DWORD
	s_andn2_b64 s[4:5], s[4:5], exec
	s_and_b64 s[8:9], s[8:9], exec
	s_or_b64 s[4:5], s[4:5], s[8:9]
	s_or_b64 exec, exec, s[6:7]
	s_and_saveexec_b64 s[6:7], s[4:5]
	s_cbranch_execnz .LBB56_1407
	s_branch .LBB56_1408
.LBB56_3457:
	s_movk_i32 s4, 0x80
	v_cmp_eq_u16_sdwa s[12:13], v6, s4 src0_sel:BYTE_0 src1_sel:DWORD
	s_mov_b64 s[4:5], -1
                                        ; implicit-def: $sgpr10
	s_and_saveexec_b64 s[8:9], s[12:13]
; %bb.3458:
	s_mov_b32 s10, 0x7f800001
	s_xor_b64 s[4:5], exec, -1
; %bb.3459:
	s_or_b64 exec, exec, s[8:9]
	s_and_b64 s[4:5], s[4:5], exec
	s_or_saveexec_b64 s[6:7], s[6:7]
	v_mov_b32_e32 v10, s10
	s_xor_b64 exec, exec, s[6:7]
	s_cbranch_execz .LBB56_1410
.LBB56_3460:
	v_mov_b32_e32 v10, 0
	v_cmp_ne_u16_sdwa s[8:9], v6, v10 src0_sel:BYTE_0 src1_sel:DWORD
	s_andn2_b64 s[4:5], s[4:5], exec
	s_and_b64 s[8:9], s[8:9], exec
	s_or_b64 s[4:5], s[4:5], s[8:9]
	s_or_b64 exec, exec, s[6:7]
	s_and_saveexec_b64 s[6:7], s[4:5]
	s_cbranch_execnz .LBB56_1411
	s_branch .LBB56_1412
.LBB56_3461:
	s_movk_i32 s4, 0x80
	v_cmp_eq_u16_sdwa s[12:13], v2, s4 src0_sel:BYTE_0 src1_sel:DWORD
	s_mov_b64 s[4:5], -1
                                        ; implicit-def: $sgpr10
	s_and_saveexec_b64 s[8:9], s[12:13]
; %bb.3462:
	s_mov_b32 s10, 0x7f800001
	s_xor_b64 s[4:5], exec, -1
; %bb.3463:
	s_or_b64 exec, exec, s[8:9]
	s_and_b64 s[4:5], s[4:5], exec
	s_or_saveexec_b64 s[6:7], s[6:7]
	v_mov_b32_e32 v11, s10
	s_xor_b64 exec, exec, s[6:7]
	s_cbranch_execz .LBB56_1414
.LBB56_3464:
	v_mov_b32_e32 v11, 0
	v_cmp_ne_u16_sdwa s[8:9], v2, v11 src0_sel:BYTE_0 src1_sel:DWORD
	s_andn2_b64 s[4:5], s[4:5], exec
	s_and_b64 s[8:9], s[8:9], exec
	s_or_b64 s[4:5], s[4:5], s[8:9]
	s_or_b64 exec, exec, s[6:7]
	s_and_saveexec_b64 s[6:7], s[4:5]
	s_cbranch_execnz .LBB56_1415
	s_branch .LBB56_1416
.LBB56_3465:
	s_movk_i32 s4, 0x80
	v_cmp_eq_u16_sdwa s[12:13], v11, s4 src0_sel:BYTE_0 src1_sel:DWORD
	s_mov_b64 s[4:5], -1
                                        ; implicit-def: $sgpr10
	s_and_saveexec_b64 s[8:9], s[12:13]
; %bb.3466:
	s_mov_b32 s10, 0x7f800001
	s_xor_b64 s[4:5], exec, -1
; %bb.3467:
	s_or_b64 exec, exec, s[8:9]
	s_and_b64 s[4:5], s[4:5], exec
	s_or_saveexec_b64 s[6:7], s[6:7]
	v_mov_b32_e32 v10, s10
	s_xor_b64 exec, exec, s[6:7]
	s_cbranch_execz .LBB56_1418
.LBB56_3468:
	v_mov_b32_e32 v10, 0
	v_cmp_ne_u16_sdwa s[8:9], v11, v10 src0_sel:BYTE_0 src1_sel:DWORD
	s_andn2_b64 s[4:5], s[4:5], exec
	s_and_b64 s[8:9], s[8:9], exec
	s_or_b64 s[4:5], s[4:5], s[8:9]
	s_or_b64 exec, exec, s[6:7]
	s_and_saveexec_b64 s[6:7], s[4:5]
	s_cbranch_execnz .LBB56_1419
	s_branch .LBB56_1420
.LBB56_3469:
	s_movk_i32 s4, 0x80
	v_cmp_eq_u16_sdwa s[12:13], v11, s4 src0_sel:BYTE_0 src1_sel:DWORD
	s_mov_b64 s[4:5], -1
                                        ; implicit-def: $sgpr10
	s_and_saveexec_b64 s[8:9], s[12:13]
; %bb.3470:
	s_mov_b32 s10, 0x7f800001
	s_xor_b64 s[4:5], exec, -1
; %bb.3471:
	s_or_b64 exec, exec, s[8:9]
	s_and_b64 s[4:5], s[4:5], exec
	s_or_saveexec_b64 s[6:7], s[6:7]
	v_mov_b32_e32 v12, s10
	s_xor_b64 exec, exec, s[6:7]
	s_cbranch_execz .LBB56_1422
.LBB56_3472:
	v_mov_b32_e32 v12, 0
	v_cmp_ne_u16_sdwa s[8:9], v11, v12 src0_sel:BYTE_0 src1_sel:DWORD
	s_andn2_b64 s[4:5], s[4:5], exec
	s_and_b64 s[8:9], s[8:9], exec
	s_or_b64 s[4:5], s[4:5], s[8:9]
	s_or_b64 exec, exec, s[6:7]
	s_and_saveexec_b64 s[6:7], s[4:5]
	s_cbranch_execnz .LBB56_1423
	s_branch .LBB56_1424
.LBB56_3473:
	s_movk_i32 s4, 0x80
	v_cmp_eq_u16_e32 vcc, s4, v11
	s_mov_b64 s[4:5], -1
                                        ; implicit-def: $sgpr10
	s_and_saveexec_b64 s[8:9], vcc
; %bb.3474:
	s_mov_b32 s10, 0x7f800001
	s_xor_b64 s[4:5], exec, -1
; %bb.3475:
	s_or_b64 exec, exec, s[8:9]
	s_and_b64 s[4:5], s[4:5], exec
                                        ; implicit-def: $vgpr11
	s_or_saveexec_b64 s[6:7], s[6:7]
	v_mov_b32_e32 v10, s10
	s_xor_b64 exec, exec, s[6:7]
	s_cbranch_execz .LBB56_1426
.LBB56_3476:
	v_cmp_ne_u16_e32 vcc, 0, v11
	s_andn2_b64 s[4:5], s[4:5], exec
	s_and_b64 s[8:9], vcc, exec
	v_mov_b32_e32 v10, 0
	s_or_b64 s[4:5], s[4:5], s[8:9]
	s_or_b64 exec, exec, s[6:7]
	s_and_saveexec_b64 s[6:7], s[4:5]
	s_cbranch_execnz .LBB56_1427
	s_branch .LBB56_1428
.LBB56_3477:
	s_movk_i32 s4, 0x80
	v_cmp_eq_u16_e32 vcc, s4, v11
	s_mov_b64 s[4:5], -1
                                        ; implicit-def: $sgpr10
	s_and_saveexec_b64 s[8:9], vcc
; %bb.3478:
	s_mov_b32 s10, 0x7f800001
	s_xor_b64 s[4:5], exec, -1
; %bb.3479:
	s_or_b64 exec, exec, s[8:9]
	s_and_b64 s[4:5], s[4:5], exec
                                        ; implicit-def: $vgpr11
	s_or_saveexec_b64 s[6:7], s[6:7]
	v_mov_b32_e32 v12, s10
	s_xor_b64 exec, exec, s[6:7]
	s_cbranch_execz .LBB56_1430
.LBB56_3480:
	v_cmp_ne_u16_e32 vcc, 0, v11
	s_andn2_b64 s[4:5], s[4:5], exec
	s_and_b64 s[8:9], vcc, exec
	v_mov_b32_e32 v12, 0
	s_or_b64 s[4:5], s[4:5], s[8:9]
	s_or_b64 exec, exec, s[6:7]
	s_and_saveexec_b64 s[6:7], s[4:5]
	s_cbranch_execnz .LBB56_1431
	s_branch .LBB56_1432
.LBB56_3481:
	s_movk_i32 s4, 0x80
	v_cmp_eq_u16_sdwa s[12:13], v6, s4 src0_sel:BYTE_3 src1_sel:DWORD
	s_mov_b64 s[4:5], -1
                                        ; implicit-def: $sgpr10
	s_and_saveexec_b64 s[8:9], s[12:13]
; %bb.3482:
	s_mov_b32 s10, 0x7f800001
	s_xor_b64 s[4:5], exec, -1
; %bb.3483:
	s_or_b64 exec, exec, s[8:9]
	s_and_b64 s[4:5], s[4:5], exec
	s_or_saveexec_b64 s[6:7], s[6:7]
	v_mov_b32_e32 v10, s10
	s_xor_b64 exec, exec, s[6:7]
	s_cbranch_execz .LBB56_1434
.LBB56_3484:
	v_mov_b32_e32 v10, 0
	v_cmp_ne_u16_sdwa s[8:9], v6, v10 src0_sel:BYTE_3 src1_sel:DWORD
	s_andn2_b64 s[4:5], s[4:5], exec
	s_and_b64 s[8:9], s[8:9], exec
	s_or_b64 s[4:5], s[4:5], s[8:9]
	s_or_b64 exec, exec, s[6:7]
	s_and_saveexec_b64 s[6:7], s[4:5]
	s_cbranch_execnz .LBB56_1435
	s_branch .LBB56_1436
.LBB56_3485:
	s_movk_i32 s4, 0x80
	v_cmp_eq_u16_sdwa s[12:13], v2, s4 src0_sel:BYTE_3 src1_sel:DWORD
	s_mov_b64 s[4:5], -1
                                        ; implicit-def: $sgpr10
	s_and_saveexec_b64 s[8:9], s[12:13]
; %bb.3486:
	s_mov_b32 s10, 0x7f800001
	s_xor_b64 s[4:5], exec, -1
; %bb.3487:
	s_or_b64 exec, exec, s[8:9]
	s_and_b64 s[4:5], s[4:5], exec
	s_or_saveexec_b64 s[6:7], s[6:7]
	v_mov_b32_e32 v6, s10
	s_xor_b64 exec, exec, s[6:7]
	s_cbranch_execz .LBB56_1438
.LBB56_3488:
	v_mov_b32_e32 v6, 0
	v_cmp_ne_u16_sdwa s[8:9], v2, v6 src0_sel:BYTE_3 src1_sel:DWORD
	s_andn2_b64 s[4:5], s[4:5], exec
	s_and_b64 s[8:9], s[8:9], exec
	s_or_b64 s[4:5], s[4:5], s[8:9]
	s_or_b64 exec, exec, s[6:7]
	s_and_saveexec_b64 s[6:7], s[4:5]
	s_cbranch_execnz .LBB56_1439
	s_branch .LBB56_1440
.LBB56_3489:
	s_movk_i32 s4, 0x80
	v_cmp_eq_u16_sdwa s[12:13], v7, s4 src0_sel:BYTE_0 src1_sel:DWORD
	s_mov_b64 s[4:5], -1
                                        ; implicit-def: $sgpr10
	s_and_saveexec_b64 s[8:9], s[12:13]
; %bb.3490:
	s_mov_b32 s10, 0x7f800001
	s_xor_b64 s[4:5], exec, -1
; %bb.3491:
	s_or_b64 exec, exec, s[8:9]
	s_and_b64 s[4:5], s[4:5], exec
	s_or_saveexec_b64 s[6:7], s[6:7]
	v_mov_b32_e32 v2, s10
	s_xor_b64 exec, exec, s[6:7]
	s_cbranch_execz .LBB56_1442
.LBB56_3492:
	v_mov_b32_e32 v2, 0
	v_cmp_ne_u16_sdwa s[8:9], v7, v2 src0_sel:BYTE_0 src1_sel:DWORD
	s_andn2_b64 s[4:5], s[4:5], exec
	s_and_b64 s[8:9], s[8:9], exec
	s_or_b64 s[4:5], s[4:5], s[8:9]
	s_or_b64 exec, exec, s[6:7]
	s_and_saveexec_b64 s[6:7], s[4:5]
	s_cbranch_execnz .LBB56_1443
	s_branch .LBB56_1444
.LBB56_3493:
	s_movk_i32 s4, 0x80
	v_cmp_eq_u16_sdwa s[12:13], v3, s4 src0_sel:BYTE_0 src1_sel:DWORD
	s_mov_b64 s[4:5], -1
                                        ; implicit-def: $sgpr10
	s_and_saveexec_b64 s[8:9], s[12:13]
; %bb.3494:
	s_mov_b32 s10, 0x7f800001
	s_xor_b64 s[4:5], exec, -1
; %bb.3495:
	s_or_b64 exec, exec, s[8:9]
	s_and_b64 s[4:5], s[4:5], exec
	s_or_saveexec_b64 s[6:7], s[6:7]
	v_mov_b32_e32 v6, s10
	s_xor_b64 exec, exec, s[6:7]
	s_cbranch_execz .LBB56_1446
.LBB56_3496:
	v_mov_b32_e32 v6, 0
	v_cmp_ne_u16_sdwa s[8:9], v3, v6 src0_sel:BYTE_0 src1_sel:DWORD
	s_andn2_b64 s[4:5], s[4:5], exec
	s_and_b64 s[8:9], s[8:9], exec
	s_or_b64 s[4:5], s[4:5], s[8:9]
	s_or_b64 exec, exec, s[6:7]
	s_and_saveexec_b64 s[6:7], s[4:5]
	s_cbranch_execnz .LBB56_1447
	s_branch .LBB56_1448
.LBB56_3497:
	s_movk_i32 s4, 0x80
	v_cmp_eq_u16_sdwa s[12:13], v6, s4 src0_sel:BYTE_0 src1_sel:DWORD
	s_mov_b64 s[4:5], -1
                                        ; implicit-def: $sgpr10
	s_and_saveexec_b64 s[8:9], s[12:13]
; %bb.3498:
	s_mov_b32 s10, 0x7f800001
	s_xor_b64 s[4:5], exec, -1
; %bb.3499:
	s_or_b64 exec, exec, s[8:9]
	s_and_b64 s[4:5], s[4:5], exec
	s_or_saveexec_b64 s[6:7], s[6:7]
	v_mov_b32_e32 v2, s10
	s_xor_b64 exec, exec, s[6:7]
	s_cbranch_execz .LBB56_1450
.LBB56_3500:
	v_mov_b32_e32 v2, 0
	v_cmp_ne_u16_sdwa s[8:9], v6, v2 src0_sel:BYTE_0 src1_sel:DWORD
	s_andn2_b64 s[4:5], s[4:5], exec
	s_and_b64 s[8:9], s[8:9], exec
	s_or_b64 s[4:5], s[4:5], s[8:9]
	s_or_b64 exec, exec, s[6:7]
	s_and_saveexec_b64 s[6:7], s[4:5]
	s_cbranch_execnz .LBB56_1451
	s_branch .LBB56_1452
.LBB56_3501:
	s_movk_i32 s4, 0x80
	v_cmp_eq_u16_sdwa s[12:13], v6, s4 src0_sel:BYTE_0 src1_sel:DWORD
	s_mov_b64 s[4:5], -1
                                        ; implicit-def: $sgpr10
	s_and_saveexec_b64 s[8:9], s[12:13]
; %bb.3502:
	s_mov_b32 s10, 0x7f800001
	s_xor_b64 s[4:5], exec, -1
; %bb.3503:
	s_or_b64 exec, exec, s[8:9]
	s_and_b64 s[4:5], s[4:5], exec
	s_or_saveexec_b64 s[6:7], s[6:7]
	v_mov_b32_e32 v10, s10
	s_xor_b64 exec, exec, s[6:7]
	s_cbranch_execz .LBB56_1454
.LBB56_3504:
	v_mov_b32_e32 v10, 0
	v_cmp_ne_u16_sdwa s[8:9], v6, v10 src0_sel:BYTE_0 src1_sel:DWORD
	s_andn2_b64 s[4:5], s[4:5], exec
	s_and_b64 s[8:9], s[8:9], exec
	s_or_b64 s[4:5], s[4:5], s[8:9]
	s_or_b64 exec, exec, s[6:7]
	s_and_saveexec_b64 s[6:7], s[4:5]
	s_cbranch_execnz .LBB56_1455
	s_branch .LBB56_1456
.LBB56_3505:
	s_movk_i32 s4, 0x80
	v_cmp_eq_u16_e32 vcc, s4, v6
	s_mov_b64 s[4:5], -1
                                        ; implicit-def: $sgpr10
	s_and_saveexec_b64 s[8:9], vcc
; %bb.3506:
	s_mov_b32 s10, 0x7f800001
	s_xor_b64 s[4:5], exec, -1
; %bb.3507:
	s_or_b64 exec, exec, s[8:9]
	s_and_b64 s[4:5], s[4:5], exec
                                        ; implicit-def: $vgpr6
	s_or_saveexec_b64 s[6:7], s[6:7]
	v_mov_b32_e32 v2, s10
	s_xor_b64 exec, exec, s[6:7]
	s_cbranch_execz .LBB56_1458
.LBB56_3508:
	v_cmp_ne_u16_e32 vcc, 0, v6
	s_andn2_b64 s[4:5], s[4:5], exec
	s_and_b64 s[8:9], vcc, exec
	v_mov_b32_e32 v2, 0
	s_or_b64 s[4:5], s[4:5], s[8:9]
	s_or_b64 exec, exec, s[6:7]
	s_and_saveexec_b64 s[6:7], s[4:5]
	s_cbranch_execnz .LBB56_1459
	s_branch .LBB56_1460
.LBB56_3509:
	s_movk_i32 s4, 0x80
	v_cmp_eq_u16_e32 vcc, s4, v6
	s_mov_b64 s[4:5], -1
                                        ; implicit-def: $sgpr10
	s_and_saveexec_b64 s[8:9], vcc
; %bb.3510:
	s_mov_b32 s10, 0x7f800001
	s_xor_b64 s[4:5], exec, -1
; %bb.3511:
	s_or_b64 exec, exec, s[8:9]
	s_and_b64 s[4:5], s[4:5], exec
                                        ; implicit-def: $vgpr6
	s_or_saveexec_b64 s[6:7], s[6:7]
	v_mov_b32_e32 v10, s10
	s_xor_b64 exec, exec, s[6:7]
	s_cbranch_execz .LBB56_1462
.LBB56_3512:
	v_cmp_ne_u16_e32 vcc, 0, v6
	s_andn2_b64 s[4:5], s[4:5], exec
	s_and_b64 s[8:9], vcc, exec
	v_mov_b32_e32 v10, 0
	s_or_b64 s[4:5], s[4:5], s[8:9]
	s_or_b64 exec, exec, s[6:7]
	s_and_saveexec_b64 s[6:7], s[4:5]
	s_cbranch_execnz .LBB56_1463
	s_branch .LBB56_1464
.LBB56_3513:
	s_movk_i32 s4, 0x80
	v_cmp_eq_u16_sdwa s[12:13], v7, s4 src0_sel:BYTE_3 src1_sel:DWORD
	s_mov_b64 s[4:5], -1
                                        ; implicit-def: $sgpr10
	s_and_saveexec_b64 s[8:9], s[12:13]
; %bb.3514:
	s_mov_b32 s10, 0x7f800001
	s_xor_b64 s[4:5], exec, -1
; %bb.3515:
	s_or_b64 exec, exec, s[8:9]
	s_and_b64 s[4:5], s[4:5], exec
	s_or_saveexec_b64 s[6:7], s[6:7]
	v_mov_b32_e32 v2, s10
	s_xor_b64 exec, exec, s[6:7]
	s_cbranch_execz .LBB56_1466
.LBB56_3516:
	v_mov_b32_e32 v2, 0
	v_cmp_ne_u16_sdwa s[8:9], v7, v2 src0_sel:BYTE_3 src1_sel:DWORD
	s_andn2_b64 s[4:5], s[4:5], exec
	s_and_b64 s[8:9], s[8:9], exec
	s_or_b64 s[4:5], s[4:5], s[8:9]
	s_or_b64 exec, exec, s[6:7]
	s_and_saveexec_b64 s[6:7], s[4:5]
	s_cbranch_execnz .LBB56_1467
	s_branch .LBB56_1468
.LBB56_3517:
	s_movk_i32 s4, 0x80
	v_cmp_eq_u16_sdwa s[12:13], v3, s4 src0_sel:BYTE_3 src1_sel:DWORD
	s_mov_b64 s[4:5], -1
                                        ; implicit-def: $sgpr10
	s_and_saveexec_b64 s[8:9], s[12:13]
; %bb.3518:
	s_mov_b32 s10, 0x7f800001
	s_xor_b64 s[4:5], exec, -1
; %bb.3519:
	s_or_b64 exec, exec, s[8:9]
	s_and_b64 s[4:5], s[4:5], exec
	s_or_saveexec_b64 s[6:7], s[6:7]
	v_mov_b32_e32 v6, s10
	s_xor_b64 exec, exec, s[6:7]
	s_cbranch_execz .LBB56_1470
.LBB56_3520:
	v_mov_b32_e32 v6, 0
	v_cmp_ne_u16_sdwa s[8:9], v3, v6 src0_sel:BYTE_3 src1_sel:DWORD
	s_andn2_b64 s[4:5], s[4:5], exec
	s_and_b64 s[8:9], s[8:9], exec
	s_or_b64 s[4:5], s[4:5], s[8:9]
	s_or_b64 exec, exec, s[6:7]
	s_and_saveexec_b64 s[6:7], s[4:5]
	s_cbranch_execnz .LBB56_1471
	s_branch .LBB56_1472
.LBB56_3521:
	s_movk_i32 s4, 0x80
	v_cmp_eq_u16_sdwa s[12:13], v8, s4 src0_sel:BYTE_0 src1_sel:DWORD
	s_mov_b64 s[4:5], -1
                                        ; implicit-def: $sgpr10
	s_and_saveexec_b64 s[8:9], s[12:13]
; %bb.3522:
	s_mov_b32 s10, 0x7f800001
	s_xor_b64 s[4:5], exec, -1
; %bb.3523:
	s_or_b64 exec, exec, s[8:9]
	s_and_b64 s[4:5], s[4:5], exec
	s_or_saveexec_b64 s[6:7], s[6:7]
	v_mov_b32_e32 v2, s10
	s_xor_b64 exec, exec, s[6:7]
	s_cbranch_execz .LBB56_1474
.LBB56_3524:
	v_mov_b32_e32 v2, 0
	v_cmp_ne_u16_sdwa s[8:9], v8, v2 src0_sel:BYTE_0 src1_sel:DWORD
	s_andn2_b64 s[4:5], s[4:5], exec
	s_and_b64 s[8:9], s[8:9], exec
	s_or_b64 s[4:5], s[4:5], s[8:9]
	s_or_b64 exec, exec, s[6:7]
	s_and_saveexec_b64 s[6:7], s[4:5]
	s_cbranch_execnz .LBB56_1475
	s_branch .LBB56_1476
.LBB56_3525:
	s_movk_i32 s4, 0x80
	v_cmp_eq_u16_sdwa s[12:13], v4, s4 src0_sel:BYTE_0 src1_sel:DWORD
	s_mov_b64 s[4:5], -1
                                        ; implicit-def: $sgpr10
	s_and_saveexec_b64 s[8:9], s[12:13]
; %bb.3526:
	s_mov_b32 s10, 0x7f800001
	s_xor_b64 s[4:5], exec, -1
; %bb.3527:
	s_or_b64 exec, exec, s[8:9]
	s_and_b64 s[4:5], s[4:5], exec
	s_or_saveexec_b64 s[6:7], s[6:7]
	v_mov_b32_e32 v3, s10
	s_xor_b64 exec, exec, s[6:7]
	s_cbranch_execz .LBB56_1478
.LBB56_3528:
	v_mov_b32_e32 v3, 0
	v_cmp_ne_u16_sdwa s[8:9], v4, v3 src0_sel:BYTE_0 src1_sel:DWORD
	s_andn2_b64 s[4:5], s[4:5], exec
	s_and_b64 s[8:9], s[8:9], exec
	s_or_b64 s[4:5], s[4:5], s[8:9]
	s_or_b64 exec, exec, s[6:7]
	s_and_saveexec_b64 s[6:7], s[4:5]
	s_cbranch_execnz .LBB56_1479
	s_branch .LBB56_1480
.LBB56_3529:
	s_movk_i32 s4, 0x80
	v_cmp_eq_u16_sdwa s[12:13], v3, s4 src0_sel:BYTE_0 src1_sel:DWORD
	s_mov_b64 s[4:5], -1
                                        ; implicit-def: $sgpr10
	s_and_saveexec_b64 s[8:9], s[12:13]
; %bb.3530:
	s_mov_b32 s10, 0x7f800001
	s_xor_b64 s[4:5], exec, -1
; %bb.3531:
	s_or_b64 exec, exec, s[8:9]
	s_and_b64 s[4:5], s[4:5], exec
	s_or_saveexec_b64 s[6:7], s[6:7]
	v_mov_b32_e32 v2, s10
	s_xor_b64 exec, exec, s[6:7]
	s_cbranch_execz .LBB56_1482
.LBB56_3532:
	v_mov_b32_e32 v2, 0
	v_cmp_ne_u16_sdwa s[8:9], v3, v2 src0_sel:BYTE_0 src1_sel:DWORD
	s_andn2_b64 s[4:5], s[4:5], exec
	s_and_b64 s[8:9], s[8:9], exec
	s_or_b64 s[4:5], s[4:5], s[8:9]
	s_or_b64 exec, exec, s[6:7]
	s_and_saveexec_b64 s[6:7], s[4:5]
	s_cbranch_execnz .LBB56_1483
	s_branch .LBB56_1484
.LBB56_3533:
	s_movk_i32 s4, 0x80
	v_cmp_eq_u16_sdwa s[12:13], v3, s4 src0_sel:BYTE_0 src1_sel:DWORD
	s_mov_b64 s[4:5], -1
                                        ; implicit-def: $sgpr10
	s_and_saveexec_b64 s[8:9], s[12:13]
; %bb.3534:
	s_mov_b32 s10, 0x7f800001
	s_xor_b64 s[4:5], exec, -1
; %bb.3535:
	s_or_b64 exec, exec, s[8:9]
	s_and_b64 s[4:5], s[4:5], exec
	s_or_saveexec_b64 s[6:7], s[6:7]
	v_mov_b32_e32 v6, s10
	s_xor_b64 exec, exec, s[6:7]
	s_cbranch_execz .LBB56_1486
.LBB56_3536:
	v_mov_b32_e32 v6, 0
	v_cmp_ne_u16_sdwa s[8:9], v3, v6 src0_sel:BYTE_0 src1_sel:DWORD
	s_andn2_b64 s[4:5], s[4:5], exec
	s_and_b64 s[8:9], s[8:9], exec
	s_or_b64 s[4:5], s[4:5], s[8:9]
	s_or_b64 exec, exec, s[6:7]
	s_and_saveexec_b64 s[6:7], s[4:5]
	s_cbranch_execnz .LBB56_1487
	s_branch .LBB56_1488
.LBB56_3537:
	s_movk_i32 s4, 0x80
	v_cmp_eq_u16_e32 vcc, s4, v3
	s_mov_b64 s[4:5], -1
                                        ; implicit-def: $sgpr10
	s_and_saveexec_b64 s[8:9], vcc
; %bb.3538:
	s_mov_b32 s10, 0x7f800001
	s_xor_b64 s[4:5], exec, -1
; %bb.3539:
	s_or_b64 exec, exec, s[8:9]
	s_and_b64 s[4:5], s[4:5], exec
                                        ; implicit-def: $vgpr3
	s_or_saveexec_b64 s[6:7], s[6:7]
	v_mov_b32_e32 v2, s10
	s_xor_b64 exec, exec, s[6:7]
	s_cbranch_execz .LBB56_1490
.LBB56_3540:
	v_cmp_ne_u16_e32 vcc, 0, v3
	s_andn2_b64 s[4:5], s[4:5], exec
	s_and_b64 s[8:9], vcc, exec
	v_mov_b32_e32 v2, 0
	s_or_b64 s[4:5], s[4:5], s[8:9]
	s_or_b64 exec, exec, s[6:7]
	s_and_saveexec_b64 s[6:7], s[4:5]
	s_cbranch_execnz .LBB56_1491
	s_branch .LBB56_1492
.LBB56_3541:
	s_movk_i32 s4, 0x80
	v_cmp_eq_u16_e32 vcc, s4, v3
	s_mov_b64 s[4:5], -1
                                        ; implicit-def: $sgpr10
	s_and_saveexec_b64 s[8:9], vcc
; %bb.3542:
	s_mov_b32 s10, 0x7f800001
	s_xor_b64 s[4:5], exec, -1
; %bb.3543:
	s_or_b64 exec, exec, s[8:9]
	s_and_b64 s[4:5], s[4:5], exec
                                        ; implicit-def: $vgpr3
	s_or_saveexec_b64 s[6:7], s[6:7]
	v_mov_b32_e32 v6, s10
	s_xor_b64 exec, exec, s[6:7]
	s_cbranch_execz .LBB56_1494
.LBB56_3544:
	v_cmp_ne_u16_e32 vcc, 0, v3
	s_andn2_b64 s[4:5], s[4:5], exec
	s_and_b64 s[8:9], vcc, exec
	v_mov_b32_e32 v6, 0
	s_or_b64 s[4:5], s[4:5], s[8:9]
	s_or_b64 exec, exec, s[6:7]
	s_and_saveexec_b64 s[6:7], s[4:5]
	s_cbranch_execnz .LBB56_1495
	s_branch .LBB56_1496
.LBB56_3545:
	s_movk_i32 s4, 0x80
	v_cmp_eq_u16_sdwa s[12:13], v8, s4 src0_sel:BYTE_3 src1_sel:DWORD
	s_mov_b64 s[4:5], -1
                                        ; implicit-def: $sgpr10
	s_and_saveexec_b64 s[8:9], s[12:13]
; %bb.3546:
	s_mov_b32 s10, 0x7f800001
	s_xor_b64 s[4:5], exec, -1
; %bb.3547:
	s_or_b64 exec, exec, s[8:9]
	s_and_b64 s[4:5], s[4:5], exec
	s_or_saveexec_b64 s[6:7], s[6:7]
	v_mov_b32_e32 v2, s10
	s_xor_b64 exec, exec, s[6:7]
	s_cbranch_execz .LBB56_1498
.LBB56_3548:
	v_mov_b32_e32 v2, 0
	v_cmp_ne_u16_sdwa s[8:9], v8, v2 src0_sel:BYTE_3 src1_sel:DWORD
	s_andn2_b64 s[4:5], s[4:5], exec
	s_and_b64 s[8:9], s[8:9], exec
	s_or_b64 s[4:5], s[4:5], s[8:9]
	s_or_b64 exec, exec, s[6:7]
	s_and_saveexec_b64 s[6:7], s[4:5]
	s_cbranch_execnz .LBB56_1499
	s_branch .LBB56_1500
.LBB56_3549:
	s_movk_i32 s4, 0x80
	v_cmp_eq_u16_sdwa s[12:13], v4, s4 src0_sel:BYTE_3 src1_sel:DWORD
	s_mov_b64 s[4:5], -1
                                        ; implicit-def: $sgpr10
	s_and_saveexec_b64 s[8:9], s[12:13]
; %bb.3550:
	s_mov_b32 s10, 0x7f800001
	s_xor_b64 s[4:5], exec, -1
; %bb.3551:
	s_or_b64 exec, exec, s[8:9]
	s_and_b64 s[4:5], s[4:5], exec
	s_or_saveexec_b64 s[6:7], s[6:7]
	v_mov_b32_e32 v3, s10
	s_xor_b64 exec, exec, s[6:7]
	s_cbranch_execz .LBB56_1502
.LBB56_3552:
	v_mov_b32_e32 v3, 0
	v_cmp_ne_u16_sdwa s[8:9], v4, v3 src0_sel:BYTE_3 src1_sel:DWORD
	s_andn2_b64 s[4:5], s[4:5], exec
	s_and_b64 s[8:9], s[8:9], exec
	s_or_b64 s[4:5], s[4:5], s[8:9]
	s_or_b64 exec, exec, s[6:7]
	s_and_saveexec_b64 s[6:7], s[4:5]
	s_cbranch_execnz .LBB56_1503
	s_branch .LBB56_1504
.LBB56_3553:
	s_movk_i32 s4, 0x80
	v_cmp_eq_u16_sdwa s[12:13], v9, s4 src0_sel:BYTE_0 src1_sel:DWORD
	s_mov_b64 s[4:5], -1
                                        ; implicit-def: $sgpr10
	s_and_saveexec_b64 s[8:9], s[12:13]
; %bb.3554:
	s_mov_b32 s10, 0x7f800001
	s_xor_b64 s[4:5], exec, -1
; %bb.3555:
	s_or_b64 exec, exec, s[8:9]
	s_and_b64 s[4:5], s[4:5], exec
	s_or_saveexec_b64 s[6:7], s[6:7]
	v_mov_b32_e32 v2, s10
	s_xor_b64 exec, exec, s[6:7]
	s_cbranch_execz .LBB56_1506
.LBB56_3556:
	v_mov_b32_e32 v2, 0
	v_cmp_ne_u16_sdwa s[8:9], v9, v2 src0_sel:BYTE_0 src1_sel:DWORD
	s_andn2_b64 s[4:5], s[4:5], exec
	s_and_b64 s[8:9], s[8:9], exec
	s_or_b64 s[4:5], s[4:5], s[8:9]
	s_or_b64 exec, exec, s[6:7]
	s_and_saveexec_b64 s[6:7], s[4:5]
	s_cbranch_execnz .LBB56_1507
	s_branch .LBB56_1508
.LBB56_3557:
	s_movk_i32 s4, 0x80
	v_cmp_eq_u16_sdwa s[12:13], v5, s4 src0_sel:BYTE_0 src1_sel:DWORD
	s_mov_b64 s[4:5], -1
                                        ; implicit-def: $sgpr10
	s_and_saveexec_b64 s[8:9], s[12:13]
; %bb.3558:
	s_mov_b32 s10, 0x7f800001
	s_xor_b64 s[4:5], exec, -1
; %bb.3559:
	s_or_b64 exec, exec, s[8:9]
	s_and_b64 s[4:5], s[4:5], exec
	s_or_saveexec_b64 s[6:7], s[6:7]
	v_mov_b32_e32 v3, s10
	s_xor_b64 exec, exec, s[6:7]
	s_cbranch_execz .LBB56_1510
.LBB56_3560:
	v_mov_b32_e32 v3, 0
	v_cmp_ne_u16_sdwa s[8:9], v5, v3 src0_sel:BYTE_0 src1_sel:DWORD
	s_andn2_b64 s[4:5], s[4:5], exec
	s_and_b64 s[8:9], s[8:9], exec
	s_or_b64 s[4:5], s[4:5], s[8:9]
	s_or_b64 exec, exec, s[6:7]
	s_and_saveexec_b64 s[6:7], s[4:5]
	s_cbranch_execnz .LBB56_1511
	s_branch .LBB56_1512
.LBB56_3561:
	s_movk_i32 s4, 0x80
	v_cmp_eq_u16_sdwa s[12:13], v3, s4 src0_sel:BYTE_0 src1_sel:DWORD
	s_mov_b64 s[4:5], -1
                                        ; implicit-def: $sgpr10
	s_and_saveexec_b64 s[8:9], s[12:13]
; %bb.3562:
	s_mov_b32 s10, 0x7f800001
	s_xor_b64 s[4:5], exec, -1
; %bb.3563:
	s_or_b64 exec, exec, s[8:9]
	s_and_b64 s[4:5], s[4:5], exec
	s_or_saveexec_b64 s[6:7], s[6:7]
	v_mov_b32_e32 v2, s10
	s_xor_b64 exec, exec, s[6:7]
	s_cbranch_execz .LBB56_1514
.LBB56_3564:
	v_mov_b32_e32 v2, 0
	v_cmp_ne_u16_sdwa s[8:9], v3, v2 src0_sel:BYTE_0 src1_sel:DWORD
	s_andn2_b64 s[4:5], s[4:5], exec
	s_and_b64 s[8:9], s[8:9], exec
	s_or_b64 s[4:5], s[4:5], s[8:9]
	s_or_b64 exec, exec, s[6:7]
	s_and_saveexec_b64 s[6:7], s[4:5]
	s_cbranch_execnz .LBB56_1515
	s_branch .LBB56_1516
.LBB56_3565:
	s_movk_i32 s4, 0x80
	v_cmp_eq_u16_sdwa s[12:13], v3, s4 src0_sel:BYTE_0 src1_sel:DWORD
	s_mov_b64 s[4:5], -1
                                        ; implicit-def: $sgpr10
	s_and_saveexec_b64 s[8:9], s[12:13]
; %bb.3566:
	s_mov_b32 s10, 0x7f800001
	s_xor_b64 s[4:5], exec, -1
; %bb.3567:
	s_or_b64 exec, exec, s[8:9]
	s_and_b64 s[4:5], s[4:5], exec
	s_or_saveexec_b64 s[6:7], s[6:7]
	v_mov_b32_e32 v4, s10
	s_xor_b64 exec, exec, s[6:7]
	s_cbranch_execz .LBB56_1518
.LBB56_3568:
	v_mov_b32_e32 v4, 0
	v_cmp_ne_u16_sdwa s[8:9], v3, v4 src0_sel:BYTE_0 src1_sel:DWORD
	s_andn2_b64 s[4:5], s[4:5], exec
	s_and_b64 s[8:9], s[8:9], exec
	s_or_b64 s[4:5], s[4:5], s[8:9]
	s_or_b64 exec, exec, s[6:7]
	s_and_saveexec_b64 s[6:7], s[4:5]
	s_cbranch_execnz .LBB56_1519
	s_branch .LBB56_1520
.LBB56_3569:
	s_movk_i32 s4, 0x80
	v_cmp_eq_u16_e32 vcc, s4, v3
	s_mov_b64 s[4:5], -1
                                        ; implicit-def: $sgpr10
	s_and_saveexec_b64 s[8:9], vcc
; %bb.3570:
	s_mov_b32 s10, 0x7f800001
	s_xor_b64 s[4:5], exec, -1
; %bb.3571:
	s_or_b64 exec, exec, s[8:9]
	s_and_b64 s[4:5], s[4:5], exec
                                        ; implicit-def: $vgpr3
	s_or_saveexec_b64 s[6:7], s[6:7]
	v_mov_b32_e32 v2, s10
	s_xor_b64 exec, exec, s[6:7]
	s_cbranch_execz .LBB56_1522
.LBB56_3572:
	v_cmp_ne_u16_e32 vcc, 0, v3
	s_andn2_b64 s[4:5], s[4:5], exec
	s_and_b64 s[8:9], vcc, exec
	v_mov_b32_e32 v2, 0
	s_or_b64 s[4:5], s[4:5], s[8:9]
	s_or_b64 exec, exec, s[6:7]
	s_and_saveexec_b64 s[6:7], s[4:5]
	s_cbranch_execnz .LBB56_1523
	s_branch .LBB56_1524
.LBB56_3573:
	s_movk_i32 s4, 0x80
	v_cmp_eq_u16_e32 vcc, s4, v3
	s_mov_b64 s[4:5], -1
                                        ; implicit-def: $sgpr10
	s_and_saveexec_b64 s[8:9], vcc
; %bb.3574:
	s_mov_b32 s10, 0x7f800001
	s_xor_b64 s[4:5], exec, -1
; %bb.3575:
	s_or_b64 exec, exec, s[8:9]
	s_and_b64 s[4:5], s[4:5], exec
                                        ; implicit-def: $vgpr3
	s_or_saveexec_b64 s[6:7], s[6:7]
	v_mov_b32_e32 v4, s10
	s_xor_b64 exec, exec, s[6:7]
	s_cbranch_execz .LBB56_1526
.LBB56_3576:
	v_cmp_ne_u16_e32 vcc, 0, v3
	s_andn2_b64 s[4:5], s[4:5], exec
	s_and_b64 s[8:9], vcc, exec
	v_mov_b32_e32 v4, 0
	s_or_b64 s[4:5], s[4:5], s[8:9]
	s_or_b64 exec, exec, s[6:7]
	s_and_saveexec_b64 s[6:7], s[4:5]
	s_cbranch_execnz .LBB56_1527
	s_branch .LBB56_1528
.LBB56_3577:
	s_movk_i32 s4, 0x80
	v_cmp_eq_u16_sdwa s[12:13], v9, s4 src0_sel:BYTE_3 src1_sel:DWORD
	s_mov_b64 s[4:5], -1
                                        ; implicit-def: $sgpr10
	s_and_saveexec_b64 s[8:9], s[12:13]
; %bb.3578:
	s_mov_b32 s10, 0x7f800001
	s_xor_b64 s[4:5], exec, -1
; %bb.3579:
	s_or_b64 exec, exec, s[8:9]
	s_and_b64 s[4:5], s[4:5], exec
	s_or_saveexec_b64 s[6:7], s[6:7]
	v_mov_b32_e32 v2, s10
	s_xor_b64 exec, exec, s[6:7]
	s_cbranch_execz .LBB56_1530
.LBB56_3580:
	v_mov_b32_e32 v2, 0
	v_cmp_ne_u16_sdwa s[8:9], v9, v2 src0_sel:BYTE_3 src1_sel:DWORD
	s_andn2_b64 s[4:5], s[4:5], exec
	s_and_b64 s[8:9], s[8:9], exec
	s_or_b64 s[4:5], s[4:5], s[8:9]
	s_or_b64 exec, exec, s[6:7]
	s_and_saveexec_b64 s[6:7], s[4:5]
	s_cbranch_execnz .LBB56_1531
	s_branch .LBB56_1532
.LBB56_3581:
	s_movk_i32 s4, 0x80
	v_cmp_eq_u16_sdwa s[12:13], v5, s4 src0_sel:BYTE_3 src1_sel:DWORD
	s_mov_b64 s[4:5], -1
                                        ; implicit-def: $sgpr10
	s_and_saveexec_b64 s[8:9], s[12:13]
; %bb.3582:
	s_mov_b32 s10, 0x7f800001
	s_xor_b64 s[4:5], exec, -1
; %bb.3583:
	s_or_b64 exec, exec, s[8:9]
	s_and_b64 s[4:5], s[4:5], exec
	s_or_saveexec_b64 s[6:7], s[6:7]
	v_mov_b32_e32 v3, s10
	s_xor_b64 exec, exec, s[6:7]
	s_cbranch_execz .LBB56_1534
.LBB56_3584:
	v_mov_b32_e32 v3, 0
	v_cmp_ne_u16_sdwa s[8:9], v5, v3 src0_sel:BYTE_3 src1_sel:DWORD
	s_andn2_b64 s[4:5], s[4:5], exec
	s_and_b64 s[8:9], s[8:9], exec
	s_or_b64 s[4:5], s[4:5], s[8:9]
	s_or_b64 exec, exec, s[6:7]
	s_and_saveexec_b64 s[6:7], s[4:5]
	s_cbranch_execnz .LBB56_1535
	s_branch .LBB56_1536
.LBB56_3585:
	s_movk_i32 s4, 0x80
	v_cmp_eq_u16_sdwa s[12:13], v14, s4 src0_sel:BYTE_0 src1_sel:DWORD
	s_mov_b64 s[4:5], -1
                                        ; implicit-def: $sgpr10
	s_and_saveexec_b64 s[8:9], s[12:13]
; %bb.3586:
	s_mov_b32 s10, 0x7f800001
	s_xor_b64 s[4:5], exec, -1
; %bb.3587:
	s_or_b64 exec, exec, s[8:9]
	s_and_b64 s[4:5], s[4:5], exec
	s_or_saveexec_b64 s[6:7], s[6:7]
	v_mov_b32_e32 v20, s10
	s_xor_b64 exec, exec, s[6:7]
	s_cbranch_execz .LBB56_1538
.LBB56_3588:
	v_mov_b32_e32 v20, 0
	v_cmp_ne_u16_sdwa s[8:9], v14, v20 src0_sel:BYTE_0 src1_sel:DWORD
	s_andn2_b64 s[4:5], s[4:5], exec
	s_and_b64 s[8:9], s[8:9], exec
	s_or_b64 s[4:5], s[4:5], s[8:9]
	s_or_b64 exec, exec, s[6:7]
	s_and_saveexec_b64 s[6:7], s[4:5]
	s_cbranch_execnz .LBB56_1539
	s_branch .LBB56_1540
.LBB56_3589:
	s_movk_i32 s4, 0x80
	v_cmp_eq_u16_sdwa s[12:13], v10, s4 src0_sel:BYTE_0 src1_sel:DWORD
	s_mov_b64 s[4:5], -1
                                        ; implicit-def: $sgpr10
	s_and_saveexec_b64 s[8:9], s[12:13]
; %bb.3590:
	s_mov_b32 s10, 0x7f800001
	s_xor_b64 s[4:5], exec, -1
; %bb.3591:
	s_or_b64 exec, exec, s[8:9]
	s_and_b64 s[4:5], s[4:5], exec
	s_or_saveexec_b64 s[6:7], s[6:7]
	v_mov_b32_e32 v21, s10
	s_xor_b64 exec, exec, s[6:7]
	s_cbranch_execz .LBB56_1542
.LBB56_3592:
	v_mov_b32_e32 v21, 0
	v_cmp_ne_u16_sdwa s[8:9], v10, v21 src0_sel:BYTE_0 src1_sel:DWORD
	s_andn2_b64 s[4:5], s[4:5], exec
	s_and_b64 s[8:9], s[8:9], exec
	s_or_b64 s[4:5], s[4:5], s[8:9]
	s_or_b64 exec, exec, s[6:7]
	s_and_saveexec_b64 s[6:7], s[4:5]
	s_cbranch_execnz .LBB56_1543
	s_branch .LBB56_1544
.LBB56_3593:
	s_movk_i32 s4, 0x80
	v_cmp_eq_u16_sdwa s[12:13], v21, s4 src0_sel:BYTE_0 src1_sel:DWORD
	s_mov_b64 s[4:5], -1
                                        ; implicit-def: $sgpr10
	s_and_saveexec_b64 s[8:9], s[12:13]
; %bb.3594:
	s_mov_b32 s10, 0x7f800001
	s_xor_b64 s[4:5], exec, -1
; %bb.3595:
	s_or_b64 exec, exec, s[8:9]
	s_and_b64 s[4:5], s[4:5], exec
	s_or_saveexec_b64 s[6:7], s[6:7]
	v_mov_b32_e32 v20, s10
	s_xor_b64 exec, exec, s[6:7]
	s_cbranch_execz .LBB56_1546
.LBB56_3596:
	v_mov_b32_e32 v20, 0
	v_cmp_ne_u16_sdwa s[8:9], v21, v20 src0_sel:BYTE_0 src1_sel:DWORD
	s_andn2_b64 s[4:5], s[4:5], exec
	s_and_b64 s[8:9], s[8:9], exec
	s_or_b64 s[4:5], s[4:5], s[8:9]
	s_or_b64 exec, exec, s[6:7]
	s_and_saveexec_b64 s[6:7], s[4:5]
	s_cbranch_execnz .LBB56_1547
	s_branch .LBB56_1548
.LBB56_3597:
	s_movk_i32 s4, 0x80
	v_cmp_eq_u16_sdwa s[12:13], v21, s4 src0_sel:BYTE_0 src1_sel:DWORD
	s_mov_b64 s[4:5], -1
                                        ; implicit-def: $sgpr10
	s_and_saveexec_b64 s[8:9], s[12:13]
; %bb.3598:
	s_mov_b32 s10, 0x7f800001
	s_xor_b64 s[4:5], exec, -1
; %bb.3599:
	s_or_b64 exec, exec, s[8:9]
	s_and_b64 s[4:5], s[4:5], exec
	s_or_saveexec_b64 s[6:7], s[6:7]
	v_mov_b32_e32 v22, s10
	s_xor_b64 exec, exec, s[6:7]
	s_cbranch_execz .LBB56_1550
.LBB56_3600:
	v_mov_b32_e32 v22, 0
	v_cmp_ne_u16_sdwa s[8:9], v21, v22 src0_sel:BYTE_0 src1_sel:DWORD
	s_andn2_b64 s[4:5], s[4:5], exec
	s_and_b64 s[8:9], s[8:9], exec
	s_or_b64 s[4:5], s[4:5], s[8:9]
	s_or_b64 exec, exec, s[6:7]
	s_and_saveexec_b64 s[6:7], s[4:5]
	s_cbranch_execnz .LBB56_1551
	s_branch .LBB56_1552
.LBB56_3601:
	s_movk_i32 s4, 0x80
	v_cmp_eq_u16_e32 vcc, s4, v21
	s_mov_b64 s[4:5], -1
                                        ; implicit-def: $sgpr10
	s_and_saveexec_b64 s[8:9], vcc
; %bb.3602:
	s_mov_b32 s10, 0x7f800001
	s_xor_b64 s[4:5], exec, -1
; %bb.3603:
	s_or_b64 exec, exec, s[8:9]
	s_and_b64 s[4:5], s[4:5], exec
                                        ; implicit-def: $vgpr21
	s_or_saveexec_b64 s[6:7], s[6:7]
	v_mov_b32_e32 v20, s10
	s_xor_b64 exec, exec, s[6:7]
	s_cbranch_execz .LBB56_1554
.LBB56_3604:
	v_cmp_ne_u16_e32 vcc, 0, v21
	s_andn2_b64 s[4:5], s[4:5], exec
	s_and_b64 s[8:9], vcc, exec
	v_mov_b32_e32 v20, 0
	s_or_b64 s[4:5], s[4:5], s[8:9]
	s_or_b64 exec, exec, s[6:7]
	s_and_saveexec_b64 s[6:7], s[4:5]
	s_cbranch_execnz .LBB56_1555
	s_branch .LBB56_1556
.LBB56_3605:
	s_movk_i32 s4, 0x80
	v_cmp_eq_u16_e32 vcc, s4, v21
	s_mov_b64 s[4:5], -1
                                        ; implicit-def: $sgpr10
	s_and_saveexec_b64 s[8:9], vcc
; %bb.3606:
	s_mov_b32 s10, 0x7f800001
	s_xor_b64 s[4:5], exec, -1
; %bb.3607:
	s_or_b64 exec, exec, s[8:9]
	s_and_b64 s[4:5], s[4:5], exec
                                        ; implicit-def: $vgpr21
	s_or_saveexec_b64 s[6:7], s[6:7]
	v_mov_b32_e32 v22, s10
	s_xor_b64 exec, exec, s[6:7]
	s_cbranch_execz .LBB56_1558
.LBB56_3608:
	v_cmp_ne_u16_e32 vcc, 0, v21
	s_andn2_b64 s[4:5], s[4:5], exec
	s_and_b64 s[8:9], vcc, exec
	v_mov_b32_e32 v22, 0
	s_or_b64 s[4:5], s[4:5], s[8:9]
	s_or_b64 exec, exec, s[6:7]
	s_and_saveexec_b64 s[6:7], s[4:5]
	s_cbranch_execnz .LBB56_1559
	s_branch .LBB56_1560
.LBB56_3609:
	s_movk_i32 s4, 0x80
	v_cmp_eq_u16_sdwa s[12:13], v14, s4 src0_sel:BYTE_3 src1_sel:DWORD
	s_mov_b64 s[4:5], -1
                                        ; implicit-def: $sgpr10
	s_and_saveexec_b64 s[8:9], s[12:13]
; %bb.3610:
	s_mov_b32 s10, 0x7f800001
	s_xor_b64 s[4:5], exec, -1
; %bb.3611:
	s_or_b64 exec, exec, s[8:9]
	s_and_b64 s[4:5], s[4:5], exec
	s_or_saveexec_b64 s[6:7], s[6:7]
	v_mov_b32_e32 v20, s10
	s_xor_b64 exec, exec, s[6:7]
	s_cbranch_execz .LBB56_1562
.LBB56_3612:
	v_mov_b32_e32 v20, 0
	v_cmp_ne_u16_sdwa s[8:9], v14, v20 src0_sel:BYTE_3 src1_sel:DWORD
	s_andn2_b64 s[4:5], s[4:5], exec
	s_and_b64 s[8:9], s[8:9], exec
	s_or_b64 s[4:5], s[4:5], s[8:9]
	s_or_b64 exec, exec, s[6:7]
	s_and_saveexec_b64 s[6:7], s[4:5]
	s_cbranch_execnz .LBB56_1563
	s_branch .LBB56_1564
.LBB56_3613:
	s_movk_i32 s4, 0x80
	v_cmp_eq_u16_sdwa s[12:13], v10, s4 src0_sel:BYTE_3 src1_sel:DWORD
	s_mov_b64 s[4:5], -1
                                        ; implicit-def: $sgpr10
	s_and_saveexec_b64 s[8:9], s[12:13]
; %bb.3614:
	s_mov_b32 s10, 0x7f800001
	s_xor_b64 s[4:5], exec, -1
; %bb.3615:
	s_or_b64 exec, exec, s[8:9]
	s_and_b64 s[4:5], s[4:5], exec
	s_or_saveexec_b64 s[6:7], s[6:7]
	v_mov_b32_e32 v14, s10
	s_xor_b64 exec, exec, s[6:7]
	s_cbranch_execz .LBB56_1566
.LBB56_3616:
	v_mov_b32_e32 v14, 0
	v_cmp_ne_u16_sdwa s[8:9], v10, v14 src0_sel:BYTE_3 src1_sel:DWORD
	s_andn2_b64 s[4:5], s[4:5], exec
	s_and_b64 s[8:9], s[8:9], exec
	s_or_b64 s[4:5], s[4:5], s[8:9]
	s_or_b64 exec, exec, s[6:7]
	s_and_saveexec_b64 s[6:7], s[4:5]
	s_cbranch_execnz .LBB56_1567
	s_branch .LBB56_1568
.LBB56_3617:
	s_movk_i32 s4, 0x80
	v_cmp_eq_u16_sdwa s[12:13], v15, s4 src0_sel:BYTE_0 src1_sel:DWORD
	s_mov_b64 s[4:5], -1
                                        ; implicit-def: $sgpr10
	s_and_saveexec_b64 s[8:9], s[12:13]
; %bb.3618:
	s_mov_b32 s10, 0x7f800001
	s_xor_b64 s[4:5], exec, -1
; %bb.3619:
	s_or_b64 exec, exec, s[8:9]
	s_and_b64 s[4:5], s[4:5], exec
	s_or_saveexec_b64 s[6:7], s[6:7]
	v_mov_b32_e32 v10, s10
	s_xor_b64 exec, exec, s[6:7]
	s_cbranch_execz .LBB56_1570
.LBB56_3620:
	v_mov_b32_e32 v10, 0
	v_cmp_ne_u16_sdwa s[8:9], v15, v10 src0_sel:BYTE_0 src1_sel:DWORD
	s_andn2_b64 s[4:5], s[4:5], exec
	s_and_b64 s[8:9], s[8:9], exec
	s_or_b64 s[4:5], s[4:5], s[8:9]
	s_or_b64 exec, exec, s[6:7]
	s_and_saveexec_b64 s[6:7], s[4:5]
	s_cbranch_execnz .LBB56_1571
	s_branch .LBB56_1572
.LBB56_3621:
	s_movk_i32 s4, 0x80
	v_cmp_eq_u16_sdwa s[12:13], v11, s4 src0_sel:BYTE_0 src1_sel:DWORD
	s_mov_b64 s[4:5], -1
                                        ; implicit-def: $sgpr10
	s_and_saveexec_b64 s[8:9], s[12:13]
; %bb.3622:
	s_mov_b32 s10, 0x7f800001
	s_xor_b64 s[4:5], exec, -1
; %bb.3623:
	s_or_b64 exec, exec, s[8:9]
	s_and_b64 s[4:5], s[4:5], exec
	s_or_saveexec_b64 s[6:7], s[6:7]
	v_mov_b32_e32 v14, s10
	s_xor_b64 exec, exec, s[6:7]
	s_cbranch_execz .LBB56_1574
.LBB56_3624:
	v_mov_b32_e32 v14, 0
	v_cmp_ne_u16_sdwa s[8:9], v11, v14 src0_sel:BYTE_0 src1_sel:DWORD
	s_andn2_b64 s[4:5], s[4:5], exec
	s_and_b64 s[8:9], s[8:9], exec
	s_or_b64 s[4:5], s[4:5], s[8:9]
	s_or_b64 exec, exec, s[6:7]
	s_and_saveexec_b64 s[6:7], s[4:5]
	s_cbranch_execnz .LBB56_1575
	s_branch .LBB56_1576
.LBB56_3625:
	s_movk_i32 s4, 0x80
	v_cmp_eq_u16_sdwa s[12:13], v14, s4 src0_sel:BYTE_0 src1_sel:DWORD
	s_mov_b64 s[4:5], -1
                                        ; implicit-def: $sgpr10
	s_and_saveexec_b64 s[8:9], s[12:13]
; %bb.3626:
	s_mov_b32 s10, 0x7f800001
	s_xor_b64 s[4:5], exec, -1
; %bb.3627:
	s_or_b64 exec, exec, s[8:9]
	s_and_b64 s[4:5], s[4:5], exec
	s_or_saveexec_b64 s[6:7], s[6:7]
	v_mov_b32_e32 v10, s10
	s_xor_b64 exec, exec, s[6:7]
	s_cbranch_execz .LBB56_1578
.LBB56_3628:
	v_mov_b32_e32 v10, 0
	v_cmp_ne_u16_sdwa s[8:9], v14, v10 src0_sel:BYTE_0 src1_sel:DWORD
	s_andn2_b64 s[4:5], s[4:5], exec
	s_and_b64 s[8:9], s[8:9], exec
	s_or_b64 s[4:5], s[4:5], s[8:9]
	s_or_b64 exec, exec, s[6:7]
	s_and_saveexec_b64 s[6:7], s[4:5]
	s_cbranch_execnz .LBB56_1579
	s_branch .LBB56_1580
.LBB56_3629:
	s_movk_i32 s4, 0x80
	v_cmp_eq_u16_sdwa s[12:13], v14, s4 src0_sel:BYTE_0 src1_sel:DWORD
	s_mov_b64 s[4:5], -1
                                        ; implicit-def: $sgpr10
	s_and_saveexec_b64 s[8:9], s[12:13]
; %bb.3630:
	s_mov_b32 s10, 0x7f800001
	s_xor_b64 s[4:5], exec, -1
; %bb.3631:
	s_or_b64 exec, exec, s[8:9]
	s_and_b64 s[4:5], s[4:5], exec
	s_or_saveexec_b64 s[6:7], s[6:7]
	v_mov_b32_e32 v20, s10
	s_xor_b64 exec, exec, s[6:7]
	s_cbranch_execz .LBB56_1582
.LBB56_3632:
	v_mov_b32_e32 v20, 0
	v_cmp_ne_u16_sdwa s[8:9], v14, v20 src0_sel:BYTE_0 src1_sel:DWORD
	s_andn2_b64 s[4:5], s[4:5], exec
	s_and_b64 s[8:9], s[8:9], exec
	s_or_b64 s[4:5], s[4:5], s[8:9]
	s_or_b64 exec, exec, s[6:7]
	s_and_saveexec_b64 s[6:7], s[4:5]
	s_cbranch_execnz .LBB56_1583
	s_branch .LBB56_1584
.LBB56_3633:
	s_movk_i32 s4, 0x80
	v_cmp_eq_u16_e32 vcc, s4, v14
	s_mov_b64 s[4:5], -1
                                        ; implicit-def: $sgpr10
	s_and_saveexec_b64 s[8:9], vcc
; %bb.3634:
	s_mov_b32 s10, 0x7f800001
	s_xor_b64 s[4:5], exec, -1
; %bb.3635:
	s_or_b64 exec, exec, s[8:9]
	s_and_b64 s[4:5], s[4:5], exec
                                        ; implicit-def: $vgpr14
	s_or_saveexec_b64 s[6:7], s[6:7]
	v_mov_b32_e32 v10, s10
	s_xor_b64 exec, exec, s[6:7]
	s_cbranch_execz .LBB56_1586
.LBB56_3636:
	v_cmp_ne_u16_e32 vcc, 0, v14
	s_andn2_b64 s[4:5], s[4:5], exec
	s_and_b64 s[8:9], vcc, exec
	v_mov_b32_e32 v10, 0
	s_or_b64 s[4:5], s[4:5], s[8:9]
	s_or_b64 exec, exec, s[6:7]
	s_and_saveexec_b64 s[6:7], s[4:5]
	s_cbranch_execnz .LBB56_1587
	s_branch .LBB56_1588
.LBB56_3637:
	s_movk_i32 s4, 0x80
	v_cmp_eq_u16_e32 vcc, s4, v14
	s_mov_b64 s[4:5], -1
                                        ; implicit-def: $sgpr10
	s_and_saveexec_b64 s[8:9], vcc
; %bb.3638:
	s_mov_b32 s10, 0x7f800001
	s_xor_b64 s[4:5], exec, -1
; %bb.3639:
	s_or_b64 exec, exec, s[8:9]
	s_and_b64 s[4:5], s[4:5], exec
                                        ; implicit-def: $vgpr14
	s_or_saveexec_b64 s[6:7], s[6:7]
	v_mov_b32_e32 v20, s10
	s_xor_b64 exec, exec, s[6:7]
	s_cbranch_execz .LBB56_1590
.LBB56_3640:
	v_cmp_ne_u16_e32 vcc, 0, v14
	s_andn2_b64 s[4:5], s[4:5], exec
	s_and_b64 s[8:9], vcc, exec
	v_mov_b32_e32 v20, 0
	s_or_b64 s[4:5], s[4:5], s[8:9]
	s_or_b64 exec, exec, s[6:7]
	s_and_saveexec_b64 s[6:7], s[4:5]
	s_cbranch_execnz .LBB56_1591
	s_branch .LBB56_1592
.LBB56_3641:
	s_movk_i32 s4, 0x80
	v_cmp_eq_u16_sdwa s[12:13], v15, s4 src0_sel:BYTE_3 src1_sel:DWORD
	s_mov_b64 s[4:5], -1
                                        ; implicit-def: $sgpr10
	s_and_saveexec_b64 s[8:9], s[12:13]
; %bb.3642:
	s_mov_b32 s10, 0x7f800001
	s_xor_b64 s[4:5], exec, -1
; %bb.3643:
	s_or_b64 exec, exec, s[8:9]
	s_and_b64 s[4:5], s[4:5], exec
	s_or_saveexec_b64 s[6:7], s[6:7]
	v_mov_b32_e32 v10, s10
	s_xor_b64 exec, exec, s[6:7]
	s_cbranch_execz .LBB56_1594
.LBB56_3644:
	v_mov_b32_e32 v10, 0
	v_cmp_ne_u16_sdwa s[8:9], v15, v10 src0_sel:BYTE_3 src1_sel:DWORD
	s_andn2_b64 s[4:5], s[4:5], exec
	s_and_b64 s[8:9], s[8:9], exec
	s_or_b64 s[4:5], s[4:5], s[8:9]
	s_or_b64 exec, exec, s[6:7]
	s_and_saveexec_b64 s[6:7], s[4:5]
	s_cbranch_execnz .LBB56_1595
	s_branch .LBB56_1596
.LBB56_3645:
	s_movk_i32 s4, 0x80
	v_cmp_eq_u16_sdwa s[12:13], v11, s4 src0_sel:BYTE_3 src1_sel:DWORD
	s_mov_b64 s[4:5], -1
                                        ; implicit-def: $sgpr10
	s_and_saveexec_b64 s[8:9], s[12:13]
; %bb.3646:
	s_mov_b32 s10, 0x7f800001
	s_xor_b64 s[4:5], exec, -1
; %bb.3647:
	s_or_b64 exec, exec, s[8:9]
	s_and_b64 s[4:5], s[4:5], exec
	s_or_saveexec_b64 s[6:7], s[6:7]
	v_mov_b32_e32 v14, s10
	s_xor_b64 exec, exec, s[6:7]
	s_cbranch_execz .LBB56_1598
.LBB56_3648:
	v_mov_b32_e32 v14, 0
	v_cmp_ne_u16_sdwa s[8:9], v11, v14 src0_sel:BYTE_3 src1_sel:DWORD
	s_andn2_b64 s[4:5], s[4:5], exec
	s_and_b64 s[8:9], s[8:9], exec
	s_or_b64 s[4:5], s[4:5], s[8:9]
	s_or_b64 exec, exec, s[6:7]
	s_and_saveexec_b64 s[6:7], s[4:5]
	s_cbranch_execnz .LBB56_1599
	s_branch .LBB56_1600
.LBB56_3649:
	s_movk_i32 s4, 0x80
	v_cmp_eq_u16_sdwa s[12:13], v16, s4 src0_sel:BYTE_0 src1_sel:DWORD
	s_mov_b64 s[4:5], -1
                                        ; implicit-def: $sgpr10
	s_and_saveexec_b64 s[8:9], s[12:13]
; %bb.3650:
	s_mov_b32 s10, 0x7f800001
	s_xor_b64 s[4:5], exec, -1
; %bb.3651:
	s_or_b64 exec, exec, s[8:9]
	s_and_b64 s[4:5], s[4:5], exec
	s_or_saveexec_b64 s[6:7], s[6:7]
	v_mov_b32_e32 v10, s10
	s_xor_b64 exec, exec, s[6:7]
	s_cbranch_execz .LBB56_1602
.LBB56_3652:
	v_mov_b32_e32 v10, 0
	v_cmp_ne_u16_sdwa s[8:9], v16, v10 src0_sel:BYTE_0 src1_sel:DWORD
	s_andn2_b64 s[4:5], s[4:5], exec
	s_and_b64 s[8:9], s[8:9], exec
	s_or_b64 s[4:5], s[4:5], s[8:9]
	s_or_b64 exec, exec, s[6:7]
	s_and_saveexec_b64 s[6:7], s[4:5]
	s_cbranch_execnz .LBB56_1603
	s_branch .LBB56_1604
.LBB56_3653:
	s_movk_i32 s4, 0x80
	v_cmp_eq_u16_sdwa s[12:13], v12, s4 src0_sel:BYTE_0 src1_sel:DWORD
	s_mov_b64 s[4:5], -1
                                        ; implicit-def: $sgpr10
	s_and_saveexec_b64 s[8:9], s[12:13]
; %bb.3654:
	s_mov_b32 s10, 0x7f800001
	s_xor_b64 s[4:5], exec, -1
; %bb.3655:
	s_or_b64 exec, exec, s[8:9]
	s_and_b64 s[4:5], s[4:5], exec
	s_or_saveexec_b64 s[6:7], s[6:7]
	v_mov_b32_e32 v11, s10
	s_xor_b64 exec, exec, s[6:7]
	s_cbranch_execz .LBB56_1606
.LBB56_3656:
	v_mov_b32_e32 v11, 0
	v_cmp_ne_u16_sdwa s[8:9], v12, v11 src0_sel:BYTE_0 src1_sel:DWORD
	s_andn2_b64 s[4:5], s[4:5], exec
	s_and_b64 s[8:9], s[8:9], exec
	s_or_b64 s[4:5], s[4:5], s[8:9]
	s_or_b64 exec, exec, s[6:7]
	s_and_saveexec_b64 s[6:7], s[4:5]
	s_cbranch_execnz .LBB56_1607
	s_branch .LBB56_1608
.LBB56_3657:
	s_movk_i32 s4, 0x80
	v_cmp_eq_u16_sdwa s[12:13], v11, s4 src0_sel:BYTE_0 src1_sel:DWORD
	s_mov_b64 s[4:5], -1
                                        ; implicit-def: $sgpr10
	s_and_saveexec_b64 s[8:9], s[12:13]
; %bb.3658:
	s_mov_b32 s10, 0x7f800001
	s_xor_b64 s[4:5], exec, -1
; %bb.3659:
	s_or_b64 exec, exec, s[8:9]
	s_and_b64 s[4:5], s[4:5], exec
	s_or_saveexec_b64 s[6:7], s[6:7]
	v_mov_b32_e32 v10, s10
	s_xor_b64 exec, exec, s[6:7]
	s_cbranch_execz .LBB56_1610
.LBB56_3660:
	v_mov_b32_e32 v10, 0
	v_cmp_ne_u16_sdwa s[8:9], v11, v10 src0_sel:BYTE_0 src1_sel:DWORD
	s_andn2_b64 s[4:5], s[4:5], exec
	s_and_b64 s[8:9], s[8:9], exec
	s_or_b64 s[4:5], s[4:5], s[8:9]
	s_or_b64 exec, exec, s[6:7]
	s_and_saveexec_b64 s[6:7], s[4:5]
	s_cbranch_execnz .LBB56_1611
	s_branch .LBB56_1612
.LBB56_3661:
	s_movk_i32 s4, 0x80
	v_cmp_eq_u16_sdwa s[12:13], v11, s4 src0_sel:BYTE_0 src1_sel:DWORD
	s_mov_b64 s[4:5], -1
                                        ; implicit-def: $sgpr10
	s_and_saveexec_b64 s[8:9], s[12:13]
; %bb.3662:
	s_mov_b32 s10, 0x7f800001
	s_xor_b64 s[4:5], exec, -1
; %bb.3663:
	s_or_b64 exec, exec, s[8:9]
	s_and_b64 s[4:5], s[4:5], exec
	s_or_saveexec_b64 s[6:7], s[6:7]
	v_mov_b32_e32 v14, s10
	s_xor_b64 exec, exec, s[6:7]
	s_cbranch_execz .LBB56_1614
.LBB56_3664:
	v_mov_b32_e32 v14, 0
	v_cmp_ne_u16_sdwa s[8:9], v11, v14 src0_sel:BYTE_0 src1_sel:DWORD
	s_andn2_b64 s[4:5], s[4:5], exec
	s_and_b64 s[8:9], s[8:9], exec
	s_or_b64 s[4:5], s[4:5], s[8:9]
	s_or_b64 exec, exec, s[6:7]
	s_and_saveexec_b64 s[6:7], s[4:5]
	s_cbranch_execnz .LBB56_1615
	s_branch .LBB56_1616
.LBB56_3665:
	s_movk_i32 s4, 0x80
	v_cmp_eq_u16_e32 vcc, s4, v11
	s_mov_b64 s[4:5], -1
                                        ; implicit-def: $sgpr10
	s_and_saveexec_b64 s[8:9], vcc
; %bb.3666:
	s_mov_b32 s10, 0x7f800001
	s_xor_b64 s[4:5], exec, -1
; %bb.3667:
	s_or_b64 exec, exec, s[8:9]
	s_and_b64 s[4:5], s[4:5], exec
                                        ; implicit-def: $vgpr11
	s_or_saveexec_b64 s[6:7], s[6:7]
	v_mov_b32_e32 v10, s10
	s_xor_b64 exec, exec, s[6:7]
	s_cbranch_execz .LBB56_1618
.LBB56_3668:
	v_cmp_ne_u16_e32 vcc, 0, v11
	s_andn2_b64 s[4:5], s[4:5], exec
	s_and_b64 s[8:9], vcc, exec
	v_mov_b32_e32 v10, 0
	s_or_b64 s[4:5], s[4:5], s[8:9]
	s_or_b64 exec, exec, s[6:7]
	s_and_saveexec_b64 s[6:7], s[4:5]
	s_cbranch_execnz .LBB56_1619
	s_branch .LBB56_1620
.LBB56_3669:
	s_movk_i32 s4, 0x80
	v_cmp_eq_u16_e32 vcc, s4, v11
	s_mov_b64 s[4:5], -1
                                        ; implicit-def: $sgpr10
	s_and_saveexec_b64 s[8:9], vcc
; %bb.3670:
	s_mov_b32 s10, 0x7f800001
	s_xor_b64 s[4:5], exec, -1
; %bb.3671:
	s_or_b64 exec, exec, s[8:9]
	s_and_b64 s[4:5], s[4:5], exec
                                        ; implicit-def: $vgpr11
	s_or_saveexec_b64 s[6:7], s[6:7]
	v_mov_b32_e32 v14, s10
	s_xor_b64 exec, exec, s[6:7]
	s_cbranch_execz .LBB56_1622
.LBB56_3672:
	v_cmp_ne_u16_e32 vcc, 0, v11
	s_andn2_b64 s[4:5], s[4:5], exec
	s_and_b64 s[8:9], vcc, exec
	v_mov_b32_e32 v14, 0
	s_or_b64 s[4:5], s[4:5], s[8:9]
	s_or_b64 exec, exec, s[6:7]
	s_and_saveexec_b64 s[6:7], s[4:5]
	s_cbranch_execnz .LBB56_1623
	s_branch .LBB56_1624
.LBB56_3673:
	s_movk_i32 s4, 0x80
	v_cmp_eq_u16_sdwa s[12:13], v16, s4 src0_sel:BYTE_3 src1_sel:DWORD
	s_mov_b64 s[4:5], -1
                                        ; implicit-def: $sgpr10
	s_and_saveexec_b64 s[8:9], s[12:13]
; %bb.3674:
	s_mov_b32 s10, 0x7f800001
	s_xor_b64 s[4:5], exec, -1
; %bb.3675:
	s_or_b64 exec, exec, s[8:9]
	s_and_b64 s[4:5], s[4:5], exec
	s_or_saveexec_b64 s[6:7], s[6:7]
	v_mov_b32_e32 v10, s10
	s_xor_b64 exec, exec, s[6:7]
	s_cbranch_execz .LBB56_1626
.LBB56_3676:
	v_mov_b32_e32 v10, 0
	v_cmp_ne_u16_sdwa s[8:9], v16, v10 src0_sel:BYTE_3 src1_sel:DWORD
	s_andn2_b64 s[4:5], s[4:5], exec
	s_and_b64 s[8:9], s[8:9], exec
	s_or_b64 s[4:5], s[4:5], s[8:9]
	s_or_b64 exec, exec, s[6:7]
	s_and_saveexec_b64 s[6:7], s[4:5]
	s_cbranch_execnz .LBB56_1627
	s_branch .LBB56_1628
.LBB56_3677:
	s_movk_i32 s4, 0x80
	v_cmp_eq_u16_sdwa s[12:13], v12, s4 src0_sel:BYTE_3 src1_sel:DWORD
	s_mov_b64 s[4:5], -1
                                        ; implicit-def: $sgpr10
	s_and_saveexec_b64 s[8:9], s[12:13]
; %bb.3678:
	s_mov_b32 s10, 0x7f800001
	s_xor_b64 s[4:5], exec, -1
; %bb.3679:
	s_or_b64 exec, exec, s[8:9]
	s_and_b64 s[4:5], s[4:5], exec
	s_or_saveexec_b64 s[6:7], s[6:7]
	v_mov_b32_e32 v11, s10
	s_xor_b64 exec, exec, s[6:7]
	s_cbranch_execz .LBB56_1630
.LBB56_3680:
	v_mov_b32_e32 v11, 0
	v_cmp_ne_u16_sdwa s[8:9], v12, v11 src0_sel:BYTE_3 src1_sel:DWORD
	s_andn2_b64 s[4:5], s[4:5], exec
	s_and_b64 s[8:9], s[8:9], exec
	s_or_b64 s[4:5], s[4:5], s[8:9]
	s_or_b64 exec, exec, s[6:7]
	s_and_saveexec_b64 s[6:7], s[4:5]
	s_cbranch_execnz .LBB56_1631
	s_branch .LBB56_1632
.LBB56_3681:
	s_movk_i32 s4, 0x80
	v_cmp_eq_u16_sdwa s[12:13], v17, s4 src0_sel:BYTE_0 src1_sel:DWORD
	s_mov_b64 s[4:5], -1
                                        ; implicit-def: $sgpr10
	s_and_saveexec_b64 s[8:9], s[12:13]
; %bb.3682:
	s_mov_b32 s10, 0x7f800001
	s_xor_b64 s[4:5], exec, -1
; %bb.3683:
	s_or_b64 exec, exec, s[8:9]
	s_and_b64 s[4:5], s[4:5], exec
	s_or_saveexec_b64 s[6:7], s[6:7]
	v_mov_b32_e32 v10, s10
	s_xor_b64 exec, exec, s[6:7]
	s_cbranch_execz .LBB56_1634
.LBB56_3684:
	v_mov_b32_e32 v10, 0
	v_cmp_ne_u16_sdwa s[8:9], v17, v10 src0_sel:BYTE_0 src1_sel:DWORD
	s_andn2_b64 s[4:5], s[4:5], exec
	s_and_b64 s[8:9], s[8:9], exec
	s_or_b64 s[4:5], s[4:5], s[8:9]
	s_or_b64 exec, exec, s[6:7]
	s_and_saveexec_b64 s[6:7], s[4:5]
	s_cbranch_execnz .LBB56_1635
	s_branch .LBB56_1636
.LBB56_3685:
	s_movk_i32 s4, 0x80
	v_cmp_eq_u16_sdwa s[12:13], v13, s4 src0_sel:BYTE_0 src1_sel:DWORD
	s_mov_b64 s[4:5], -1
                                        ; implicit-def: $sgpr10
	s_and_saveexec_b64 s[8:9], s[12:13]
; %bb.3686:
	s_mov_b32 s10, 0x7f800001
	s_xor_b64 s[4:5], exec, -1
; %bb.3687:
	s_or_b64 exec, exec, s[8:9]
	s_and_b64 s[4:5], s[4:5], exec
	s_or_saveexec_b64 s[6:7], s[6:7]
	v_mov_b32_e32 v11, s10
	s_xor_b64 exec, exec, s[6:7]
	s_cbranch_execz .LBB56_1638
.LBB56_3688:
	v_mov_b32_e32 v11, 0
	v_cmp_ne_u16_sdwa s[8:9], v13, v11 src0_sel:BYTE_0 src1_sel:DWORD
	s_andn2_b64 s[4:5], s[4:5], exec
	s_and_b64 s[8:9], s[8:9], exec
	s_or_b64 s[4:5], s[4:5], s[8:9]
	s_or_b64 exec, exec, s[6:7]
	s_and_saveexec_b64 s[6:7], s[4:5]
	s_cbranch_execnz .LBB56_1639
	s_branch .LBB56_1640
.LBB56_3689:
	s_movk_i32 s4, 0x80
	v_cmp_eq_u16_sdwa s[12:13], v11, s4 src0_sel:BYTE_0 src1_sel:DWORD
	s_mov_b64 s[4:5], -1
                                        ; implicit-def: $sgpr10
	s_and_saveexec_b64 s[8:9], s[12:13]
; %bb.3690:
	s_mov_b32 s10, 0x7f800001
	s_xor_b64 s[4:5], exec, -1
; %bb.3691:
	s_or_b64 exec, exec, s[8:9]
	s_and_b64 s[4:5], s[4:5], exec
	s_or_saveexec_b64 s[6:7], s[6:7]
	v_mov_b32_e32 v10, s10
	s_xor_b64 exec, exec, s[6:7]
	s_cbranch_execz .LBB56_1642
.LBB56_3692:
	v_mov_b32_e32 v10, 0
	v_cmp_ne_u16_sdwa s[8:9], v11, v10 src0_sel:BYTE_0 src1_sel:DWORD
	s_andn2_b64 s[4:5], s[4:5], exec
	s_and_b64 s[8:9], s[8:9], exec
	s_or_b64 s[4:5], s[4:5], s[8:9]
	s_or_b64 exec, exec, s[6:7]
	s_and_saveexec_b64 s[6:7], s[4:5]
	s_cbranch_execnz .LBB56_1643
	s_branch .LBB56_1644
.LBB56_3693:
	s_movk_i32 s4, 0x80
	v_cmp_eq_u16_sdwa s[12:13], v11, s4 src0_sel:BYTE_0 src1_sel:DWORD
	s_mov_b64 s[4:5], -1
                                        ; implicit-def: $sgpr10
	s_and_saveexec_b64 s[8:9], s[12:13]
; %bb.3694:
	s_mov_b32 s10, 0x7f800001
	s_xor_b64 s[4:5], exec, -1
; %bb.3695:
	s_or_b64 exec, exec, s[8:9]
	s_and_b64 s[4:5], s[4:5], exec
	s_or_saveexec_b64 s[6:7], s[6:7]
	v_mov_b32_e32 v12, s10
	s_xor_b64 exec, exec, s[6:7]
	s_cbranch_execz .LBB56_1646
.LBB56_3696:
	v_mov_b32_e32 v12, 0
	v_cmp_ne_u16_sdwa s[8:9], v11, v12 src0_sel:BYTE_0 src1_sel:DWORD
	s_andn2_b64 s[4:5], s[4:5], exec
	s_and_b64 s[8:9], s[8:9], exec
	s_or_b64 s[4:5], s[4:5], s[8:9]
	s_or_b64 exec, exec, s[6:7]
	s_and_saveexec_b64 s[6:7], s[4:5]
	s_cbranch_execnz .LBB56_1647
	s_branch .LBB56_1648
.LBB56_3697:
	s_movk_i32 s4, 0x80
	v_cmp_eq_u16_e32 vcc, s4, v11
	s_mov_b64 s[4:5], -1
                                        ; implicit-def: $sgpr10
	s_and_saveexec_b64 s[8:9], vcc
; %bb.3698:
	s_mov_b32 s10, 0x7f800001
	s_xor_b64 s[4:5], exec, -1
; %bb.3699:
	s_or_b64 exec, exec, s[8:9]
	s_and_b64 s[4:5], s[4:5], exec
                                        ; implicit-def: $vgpr11
	s_or_saveexec_b64 s[6:7], s[6:7]
	v_mov_b32_e32 v10, s10
	s_xor_b64 exec, exec, s[6:7]
	s_cbranch_execz .LBB56_1650
.LBB56_3700:
	v_cmp_ne_u16_e32 vcc, 0, v11
	s_andn2_b64 s[4:5], s[4:5], exec
	s_and_b64 s[8:9], vcc, exec
	v_mov_b32_e32 v10, 0
	s_or_b64 s[4:5], s[4:5], s[8:9]
	s_or_b64 exec, exec, s[6:7]
	s_and_saveexec_b64 s[6:7], s[4:5]
	s_cbranch_execnz .LBB56_1651
	s_branch .LBB56_1652
.LBB56_3701:
	s_movk_i32 s4, 0x80
	v_cmp_eq_u16_e32 vcc, s4, v11
	s_mov_b64 s[4:5], -1
                                        ; implicit-def: $sgpr10
	s_and_saveexec_b64 s[8:9], vcc
; %bb.3702:
	s_mov_b32 s10, 0x7f800001
	s_xor_b64 s[4:5], exec, -1
; %bb.3703:
	s_or_b64 exec, exec, s[8:9]
	s_and_b64 s[4:5], s[4:5], exec
                                        ; implicit-def: $vgpr11
	s_or_saveexec_b64 s[6:7], s[6:7]
	v_mov_b32_e32 v12, s10
	s_xor_b64 exec, exec, s[6:7]
	s_cbranch_execz .LBB56_1654
.LBB56_3704:
	v_cmp_ne_u16_e32 vcc, 0, v11
	s_andn2_b64 s[4:5], s[4:5], exec
	s_and_b64 s[8:9], vcc, exec
	v_mov_b32_e32 v12, 0
	s_or_b64 s[4:5], s[4:5], s[8:9]
	s_or_b64 exec, exec, s[6:7]
	s_and_saveexec_b64 s[6:7], s[4:5]
	s_cbranch_execnz .LBB56_1655
	s_branch .LBB56_1656
.LBB56_3705:
	s_movk_i32 s4, 0x80
	v_cmp_eq_u16_sdwa s[12:13], v17, s4 src0_sel:BYTE_3 src1_sel:DWORD
	s_mov_b64 s[4:5], -1
                                        ; implicit-def: $sgpr10
	s_and_saveexec_b64 s[8:9], s[12:13]
; %bb.3706:
	s_mov_b32 s10, 0x7f800001
	s_xor_b64 s[4:5], exec, -1
; %bb.3707:
	s_or_b64 exec, exec, s[8:9]
	s_and_b64 s[4:5], s[4:5], exec
	s_or_saveexec_b64 s[6:7], s[6:7]
	v_mov_b32_e32 v10, s10
	s_xor_b64 exec, exec, s[6:7]
	s_cbranch_execz .LBB56_1658
.LBB56_3708:
	v_mov_b32_e32 v10, 0
	v_cmp_ne_u16_sdwa s[8:9], v17, v10 src0_sel:BYTE_3 src1_sel:DWORD
	s_andn2_b64 s[4:5], s[4:5], exec
	s_and_b64 s[8:9], s[8:9], exec
	s_or_b64 s[4:5], s[4:5], s[8:9]
	s_or_b64 exec, exec, s[6:7]
	s_and_saveexec_b64 s[6:7], s[4:5]
	s_cbranch_execnz .LBB56_1659
	s_branch .LBB56_1660
.LBB56_3709:
	s_movk_i32 s4, 0x80
	v_cmp_eq_u16_sdwa s[12:13], v13, s4 src0_sel:BYTE_3 src1_sel:DWORD
	s_mov_b64 s[4:5], -1
                                        ; implicit-def: $sgpr10
	s_and_saveexec_b64 s[8:9], s[12:13]
; %bb.3710:
	s_mov_b32 s10, 0x7f800001
	s_xor_b64 s[4:5], exec, -1
; %bb.3711:
	s_or_b64 exec, exec, s[8:9]
	s_and_b64 s[4:5], s[4:5], exec
	s_or_saveexec_b64 s[6:7], s[6:7]
	v_mov_b32_e32 v11, s10
	s_xor_b64 exec, exec, s[6:7]
	s_cbranch_execz .LBB56_1662
.LBB56_3712:
	v_mov_b32_e32 v11, 0
	v_cmp_ne_u16_sdwa s[8:9], v13, v11 src0_sel:BYTE_3 src1_sel:DWORD
	s_andn2_b64 s[4:5], s[4:5], exec
	s_and_b64 s[8:9], s[8:9], exec
	s_or_b64 s[4:5], s[4:5], s[8:9]
	s_or_b64 exec, exec, s[6:7]
	s_and_saveexec_b64 s[6:7], s[4:5]
	s_cbranch_execnz .LBB56_1663
	s_branch .LBB56_1664
.LBB56_3713:
	s_movk_i32 s4, 0x80
	v_cmp_eq_u16_sdwa s[12:13], v6, s4 src0_sel:BYTE_0 src1_sel:DWORD
	s_mov_b64 s[4:5], -1
                                        ; implicit-def: $sgpr10
	s_and_saveexec_b64 s[8:9], s[12:13]
; %bb.3714:
	s_mov_b32 s10, 0x7f800001
	s_xor_b64 s[4:5], exec, -1
; %bb.3715:
	s_or_b64 exec, exec, s[8:9]
	s_and_b64 s[4:5], s[4:5], exec
	s_or_saveexec_b64 s[6:7], s[6:7]
	v_mov_b32_e32 v10, s10
	s_xor_b64 exec, exec, s[6:7]
	s_cbranch_execz .LBB56_1666
.LBB56_3716:
	v_mov_b32_e32 v10, 0
	v_cmp_ne_u16_sdwa s[8:9], v6, v10 src0_sel:BYTE_0 src1_sel:DWORD
	s_andn2_b64 s[4:5], s[4:5], exec
	s_and_b64 s[8:9], s[8:9], exec
	s_or_b64 s[4:5], s[4:5], s[8:9]
	s_or_b64 exec, exec, s[6:7]
	s_and_saveexec_b64 s[6:7], s[4:5]
	s_cbranch_execnz .LBB56_1667
	s_branch .LBB56_1668
.LBB56_3717:
	s_movk_i32 s4, 0x80
	v_cmp_eq_u16_sdwa s[12:13], v2, s4 src0_sel:BYTE_0 src1_sel:DWORD
	s_mov_b64 s[4:5], -1
                                        ; implicit-def: $sgpr10
	s_and_saveexec_b64 s[8:9], s[12:13]
; %bb.3718:
	s_mov_b32 s10, 0x7f800001
	s_xor_b64 s[4:5], exec, -1
; %bb.3719:
	s_or_b64 exec, exec, s[8:9]
	s_and_b64 s[4:5], s[4:5], exec
	s_or_saveexec_b64 s[6:7], s[6:7]
	v_mov_b32_e32 v11, s10
	s_xor_b64 exec, exec, s[6:7]
	s_cbranch_execz .LBB56_1670
.LBB56_3720:
	v_mov_b32_e32 v11, 0
	v_cmp_ne_u16_sdwa s[8:9], v2, v11 src0_sel:BYTE_0 src1_sel:DWORD
	s_andn2_b64 s[4:5], s[4:5], exec
	s_and_b64 s[8:9], s[8:9], exec
	s_or_b64 s[4:5], s[4:5], s[8:9]
	s_or_b64 exec, exec, s[6:7]
	s_and_saveexec_b64 s[6:7], s[4:5]
	s_cbranch_execnz .LBB56_1671
	s_branch .LBB56_1672
.LBB56_3721:
	s_movk_i32 s4, 0x80
	v_cmp_eq_u16_sdwa s[12:13], v11, s4 src0_sel:BYTE_0 src1_sel:DWORD
	s_mov_b64 s[4:5], -1
                                        ; implicit-def: $sgpr10
	s_and_saveexec_b64 s[8:9], s[12:13]
; %bb.3722:
	s_mov_b32 s10, 0x7f800001
	s_xor_b64 s[4:5], exec, -1
; %bb.3723:
	s_or_b64 exec, exec, s[8:9]
	s_and_b64 s[4:5], s[4:5], exec
	s_or_saveexec_b64 s[6:7], s[6:7]
	v_mov_b32_e32 v10, s10
	s_xor_b64 exec, exec, s[6:7]
	s_cbranch_execz .LBB56_1674
.LBB56_3724:
	v_mov_b32_e32 v10, 0
	v_cmp_ne_u16_sdwa s[8:9], v11, v10 src0_sel:BYTE_0 src1_sel:DWORD
	s_andn2_b64 s[4:5], s[4:5], exec
	s_and_b64 s[8:9], s[8:9], exec
	s_or_b64 s[4:5], s[4:5], s[8:9]
	s_or_b64 exec, exec, s[6:7]
	s_and_saveexec_b64 s[6:7], s[4:5]
	s_cbranch_execnz .LBB56_1675
	s_branch .LBB56_1676
.LBB56_3725:
	s_movk_i32 s4, 0x80
	v_cmp_eq_u16_sdwa s[12:13], v11, s4 src0_sel:BYTE_0 src1_sel:DWORD
	s_mov_b64 s[4:5], -1
                                        ; implicit-def: $sgpr10
	s_and_saveexec_b64 s[8:9], s[12:13]
; %bb.3726:
	s_mov_b32 s10, 0x7f800001
	s_xor_b64 s[4:5], exec, -1
; %bb.3727:
	s_or_b64 exec, exec, s[8:9]
	s_and_b64 s[4:5], s[4:5], exec
	s_or_saveexec_b64 s[6:7], s[6:7]
	v_mov_b32_e32 v12, s10
	s_xor_b64 exec, exec, s[6:7]
	s_cbranch_execz .LBB56_1678
.LBB56_3728:
	v_mov_b32_e32 v12, 0
	v_cmp_ne_u16_sdwa s[8:9], v11, v12 src0_sel:BYTE_0 src1_sel:DWORD
	s_andn2_b64 s[4:5], s[4:5], exec
	s_and_b64 s[8:9], s[8:9], exec
	s_or_b64 s[4:5], s[4:5], s[8:9]
	s_or_b64 exec, exec, s[6:7]
	s_and_saveexec_b64 s[6:7], s[4:5]
	s_cbranch_execnz .LBB56_1679
	s_branch .LBB56_1680
.LBB56_3729:
	s_movk_i32 s4, 0x80
	v_cmp_eq_u16_e32 vcc, s4, v11
	s_mov_b64 s[4:5], -1
                                        ; implicit-def: $sgpr10
	s_and_saveexec_b64 s[8:9], vcc
; %bb.3730:
	s_mov_b32 s10, 0x7f800001
	s_xor_b64 s[4:5], exec, -1
; %bb.3731:
	s_or_b64 exec, exec, s[8:9]
	s_and_b64 s[4:5], s[4:5], exec
                                        ; implicit-def: $vgpr11
	s_or_saveexec_b64 s[6:7], s[6:7]
	v_mov_b32_e32 v10, s10
	s_xor_b64 exec, exec, s[6:7]
	s_cbranch_execz .LBB56_1682
.LBB56_3732:
	v_cmp_ne_u16_e32 vcc, 0, v11
	s_andn2_b64 s[4:5], s[4:5], exec
	s_and_b64 s[8:9], vcc, exec
	v_mov_b32_e32 v10, 0
	s_or_b64 s[4:5], s[4:5], s[8:9]
	s_or_b64 exec, exec, s[6:7]
	s_and_saveexec_b64 s[6:7], s[4:5]
	s_cbranch_execnz .LBB56_1683
	s_branch .LBB56_1684
.LBB56_3733:
	s_movk_i32 s4, 0x80
	v_cmp_eq_u16_e32 vcc, s4, v11
	s_mov_b64 s[4:5], -1
                                        ; implicit-def: $sgpr10
	s_and_saveexec_b64 s[8:9], vcc
; %bb.3734:
	s_mov_b32 s10, 0x7f800001
	s_xor_b64 s[4:5], exec, -1
; %bb.3735:
	s_or_b64 exec, exec, s[8:9]
	s_and_b64 s[4:5], s[4:5], exec
                                        ; implicit-def: $vgpr11
	s_or_saveexec_b64 s[6:7], s[6:7]
	v_mov_b32_e32 v12, s10
	s_xor_b64 exec, exec, s[6:7]
	s_cbranch_execz .LBB56_1686
.LBB56_3736:
	v_cmp_ne_u16_e32 vcc, 0, v11
	s_andn2_b64 s[4:5], s[4:5], exec
	s_and_b64 s[8:9], vcc, exec
	v_mov_b32_e32 v12, 0
	s_or_b64 s[4:5], s[4:5], s[8:9]
	s_or_b64 exec, exec, s[6:7]
	s_and_saveexec_b64 s[6:7], s[4:5]
	s_cbranch_execnz .LBB56_1687
	s_branch .LBB56_1688
.LBB56_3737:
	s_movk_i32 s4, 0x80
	v_cmp_eq_u16_sdwa s[12:13], v6, s4 src0_sel:BYTE_3 src1_sel:DWORD
	s_mov_b64 s[4:5], -1
                                        ; implicit-def: $sgpr10
	s_and_saveexec_b64 s[8:9], s[12:13]
; %bb.3738:
	s_mov_b32 s10, 0x7f800001
	s_xor_b64 s[4:5], exec, -1
; %bb.3739:
	s_or_b64 exec, exec, s[8:9]
	s_and_b64 s[4:5], s[4:5], exec
	s_or_saveexec_b64 s[6:7], s[6:7]
	v_mov_b32_e32 v10, s10
	s_xor_b64 exec, exec, s[6:7]
	s_cbranch_execz .LBB56_1690
.LBB56_3740:
	v_mov_b32_e32 v10, 0
	v_cmp_ne_u16_sdwa s[8:9], v6, v10 src0_sel:BYTE_3 src1_sel:DWORD
	s_andn2_b64 s[4:5], s[4:5], exec
	s_and_b64 s[8:9], s[8:9], exec
	s_or_b64 s[4:5], s[4:5], s[8:9]
	s_or_b64 exec, exec, s[6:7]
	s_and_saveexec_b64 s[6:7], s[4:5]
	s_cbranch_execnz .LBB56_1691
	s_branch .LBB56_1692
.LBB56_3741:
	s_movk_i32 s4, 0x80
	v_cmp_eq_u16_sdwa s[12:13], v2, s4 src0_sel:BYTE_3 src1_sel:DWORD
	s_mov_b64 s[4:5], -1
                                        ; implicit-def: $sgpr10
	s_and_saveexec_b64 s[8:9], s[12:13]
; %bb.3742:
	s_mov_b32 s10, 0x7f800001
	s_xor_b64 s[4:5], exec, -1
; %bb.3743:
	s_or_b64 exec, exec, s[8:9]
	s_and_b64 s[4:5], s[4:5], exec
	s_or_saveexec_b64 s[6:7], s[6:7]
	v_mov_b32_e32 v6, s10
	s_xor_b64 exec, exec, s[6:7]
	s_cbranch_execz .LBB56_1694
.LBB56_3744:
	v_mov_b32_e32 v6, 0
	v_cmp_ne_u16_sdwa s[8:9], v2, v6 src0_sel:BYTE_3 src1_sel:DWORD
	s_andn2_b64 s[4:5], s[4:5], exec
	s_and_b64 s[8:9], s[8:9], exec
	s_or_b64 s[4:5], s[4:5], s[8:9]
	s_or_b64 exec, exec, s[6:7]
	s_and_saveexec_b64 s[6:7], s[4:5]
	s_cbranch_execnz .LBB56_1695
	s_branch .LBB56_1696
.LBB56_3745:
	s_movk_i32 s4, 0x80
	v_cmp_eq_u16_sdwa s[12:13], v7, s4 src0_sel:BYTE_0 src1_sel:DWORD
	s_mov_b64 s[4:5], -1
                                        ; implicit-def: $sgpr10
	s_and_saveexec_b64 s[8:9], s[12:13]
; %bb.3746:
	s_mov_b32 s10, 0x7f800001
	s_xor_b64 s[4:5], exec, -1
; %bb.3747:
	s_or_b64 exec, exec, s[8:9]
	s_and_b64 s[4:5], s[4:5], exec
	s_or_saveexec_b64 s[6:7], s[6:7]
	v_mov_b32_e32 v2, s10
	s_xor_b64 exec, exec, s[6:7]
	s_cbranch_execz .LBB56_1698
.LBB56_3748:
	v_mov_b32_e32 v2, 0
	v_cmp_ne_u16_sdwa s[8:9], v7, v2 src0_sel:BYTE_0 src1_sel:DWORD
	s_andn2_b64 s[4:5], s[4:5], exec
	s_and_b64 s[8:9], s[8:9], exec
	s_or_b64 s[4:5], s[4:5], s[8:9]
	s_or_b64 exec, exec, s[6:7]
	s_and_saveexec_b64 s[6:7], s[4:5]
	s_cbranch_execnz .LBB56_1699
	s_branch .LBB56_1700
.LBB56_3749:
	s_movk_i32 s4, 0x80
	v_cmp_eq_u16_sdwa s[12:13], v3, s4 src0_sel:BYTE_0 src1_sel:DWORD
	s_mov_b64 s[4:5], -1
                                        ; implicit-def: $sgpr10
	s_and_saveexec_b64 s[8:9], s[12:13]
; %bb.3750:
	s_mov_b32 s10, 0x7f800001
	s_xor_b64 s[4:5], exec, -1
; %bb.3751:
	s_or_b64 exec, exec, s[8:9]
	s_and_b64 s[4:5], s[4:5], exec
	s_or_saveexec_b64 s[6:7], s[6:7]
	v_mov_b32_e32 v6, s10
	s_xor_b64 exec, exec, s[6:7]
	s_cbranch_execz .LBB56_1702
.LBB56_3752:
	v_mov_b32_e32 v6, 0
	v_cmp_ne_u16_sdwa s[8:9], v3, v6 src0_sel:BYTE_0 src1_sel:DWORD
	s_andn2_b64 s[4:5], s[4:5], exec
	s_and_b64 s[8:9], s[8:9], exec
	s_or_b64 s[4:5], s[4:5], s[8:9]
	s_or_b64 exec, exec, s[6:7]
	s_and_saveexec_b64 s[6:7], s[4:5]
	s_cbranch_execnz .LBB56_1703
	s_branch .LBB56_1704
.LBB56_3753:
	s_movk_i32 s4, 0x80
	v_cmp_eq_u16_sdwa s[12:13], v6, s4 src0_sel:BYTE_0 src1_sel:DWORD
	s_mov_b64 s[4:5], -1
                                        ; implicit-def: $sgpr10
	s_and_saveexec_b64 s[8:9], s[12:13]
; %bb.3754:
	s_mov_b32 s10, 0x7f800001
	s_xor_b64 s[4:5], exec, -1
; %bb.3755:
	s_or_b64 exec, exec, s[8:9]
	s_and_b64 s[4:5], s[4:5], exec
	s_or_saveexec_b64 s[6:7], s[6:7]
	v_mov_b32_e32 v2, s10
	s_xor_b64 exec, exec, s[6:7]
	s_cbranch_execz .LBB56_1706
.LBB56_3756:
	v_mov_b32_e32 v2, 0
	v_cmp_ne_u16_sdwa s[8:9], v6, v2 src0_sel:BYTE_0 src1_sel:DWORD
	s_andn2_b64 s[4:5], s[4:5], exec
	s_and_b64 s[8:9], s[8:9], exec
	s_or_b64 s[4:5], s[4:5], s[8:9]
	s_or_b64 exec, exec, s[6:7]
	s_and_saveexec_b64 s[6:7], s[4:5]
	s_cbranch_execnz .LBB56_1707
	s_branch .LBB56_1708
.LBB56_3757:
	s_movk_i32 s4, 0x80
	v_cmp_eq_u16_sdwa s[12:13], v6, s4 src0_sel:BYTE_0 src1_sel:DWORD
	s_mov_b64 s[4:5], -1
                                        ; implicit-def: $sgpr10
	s_and_saveexec_b64 s[8:9], s[12:13]
; %bb.3758:
	s_mov_b32 s10, 0x7f800001
	s_xor_b64 s[4:5], exec, -1
; %bb.3759:
	s_or_b64 exec, exec, s[8:9]
	s_and_b64 s[4:5], s[4:5], exec
	s_or_saveexec_b64 s[6:7], s[6:7]
	v_mov_b32_e32 v10, s10
	s_xor_b64 exec, exec, s[6:7]
	s_cbranch_execz .LBB56_1710
.LBB56_3760:
	v_mov_b32_e32 v10, 0
	v_cmp_ne_u16_sdwa s[8:9], v6, v10 src0_sel:BYTE_0 src1_sel:DWORD
	s_andn2_b64 s[4:5], s[4:5], exec
	s_and_b64 s[8:9], s[8:9], exec
	s_or_b64 s[4:5], s[4:5], s[8:9]
	s_or_b64 exec, exec, s[6:7]
	s_and_saveexec_b64 s[6:7], s[4:5]
	s_cbranch_execnz .LBB56_1711
	s_branch .LBB56_1712
.LBB56_3761:
	s_movk_i32 s4, 0x80
	v_cmp_eq_u16_e32 vcc, s4, v6
	s_mov_b64 s[4:5], -1
                                        ; implicit-def: $sgpr10
	s_and_saveexec_b64 s[8:9], vcc
; %bb.3762:
	s_mov_b32 s10, 0x7f800001
	s_xor_b64 s[4:5], exec, -1
; %bb.3763:
	s_or_b64 exec, exec, s[8:9]
	s_and_b64 s[4:5], s[4:5], exec
                                        ; implicit-def: $vgpr6
	s_or_saveexec_b64 s[6:7], s[6:7]
	v_mov_b32_e32 v2, s10
	s_xor_b64 exec, exec, s[6:7]
	s_cbranch_execz .LBB56_1714
.LBB56_3764:
	v_cmp_ne_u16_e32 vcc, 0, v6
	s_andn2_b64 s[4:5], s[4:5], exec
	s_and_b64 s[8:9], vcc, exec
	v_mov_b32_e32 v2, 0
	s_or_b64 s[4:5], s[4:5], s[8:9]
	s_or_b64 exec, exec, s[6:7]
	s_and_saveexec_b64 s[6:7], s[4:5]
	s_cbranch_execnz .LBB56_1715
	s_branch .LBB56_1716
.LBB56_3765:
	s_movk_i32 s4, 0x80
	v_cmp_eq_u16_e32 vcc, s4, v6
	s_mov_b64 s[4:5], -1
                                        ; implicit-def: $sgpr10
	s_and_saveexec_b64 s[8:9], vcc
; %bb.3766:
	s_mov_b32 s10, 0x7f800001
	s_xor_b64 s[4:5], exec, -1
; %bb.3767:
	s_or_b64 exec, exec, s[8:9]
	s_and_b64 s[4:5], s[4:5], exec
                                        ; implicit-def: $vgpr6
	s_or_saveexec_b64 s[6:7], s[6:7]
	v_mov_b32_e32 v10, s10
	s_xor_b64 exec, exec, s[6:7]
	s_cbranch_execz .LBB56_1718
.LBB56_3768:
	v_cmp_ne_u16_e32 vcc, 0, v6
	s_andn2_b64 s[4:5], s[4:5], exec
	s_and_b64 s[8:9], vcc, exec
	v_mov_b32_e32 v10, 0
	s_or_b64 s[4:5], s[4:5], s[8:9]
	s_or_b64 exec, exec, s[6:7]
	s_and_saveexec_b64 s[6:7], s[4:5]
	s_cbranch_execnz .LBB56_1719
	s_branch .LBB56_1720
.LBB56_3769:
	s_movk_i32 s4, 0x80
	v_cmp_eq_u16_sdwa s[12:13], v7, s4 src0_sel:BYTE_3 src1_sel:DWORD
	s_mov_b64 s[4:5], -1
                                        ; implicit-def: $sgpr10
	s_and_saveexec_b64 s[8:9], s[12:13]
; %bb.3770:
	s_mov_b32 s10, 0x7f800001
	s_xor_b64 s[4:5], exec, -1
; %bb.3771:
	s_or_b64 exec, exec, s[8:9]
	s_and_b64 s[4:5], s[4:5], exec
	s_or_saveexec_b64 s[6:7], s[6:7]
	v_mov_b32_e32 v2, s10
	s_xor_b64 exec, exec, s[6:7]
	s_cbranch_execz .LBB56_1722
.LBB56_3772:
	v_mov_b32_e32 v2, 0
	v_cmp_ne_u16_sdwa s[8:9], v7, v2 src0_sel:BYTE_3 src1_sel:DWORD
	s_andn2_b64 s[4:5], s[4:5], exec
	s_and_b64 s[8:9], s[8:9], exec
	s_or_b64 s[4:5], s[4:5], s[8:9]
	s_or_b64 exec, exec, s[6:7]
	s_and_saveexec_b64 s[6:7], s[4:5]
	s_cbranch_execnz .LBB56_1723
	s_branch .LBB56_1724
.LBB56_3773:
	s_movk_i32 s4, 0x80
	v_cmp_eq_u16_sdwa s[12:13], v3, s4 src0_sel:BYTE_3 src1_sel:DWORD
	s_mov_b64 s[4:5], -1
                                        ; implicit-def: $sgpr10
	s_and_saveexec_b64 s[8:9], s[12:13]
; %bb.3774:
	s_mov_b32 s10, 0x7f800001
	s_xor_b64 s[4:5], exec, -1
; %bb.3775:
	s_or_b64 exec, exec, s[8:9]
	s_and_b64 s[4:5], s[4:5], exec
	s_or_saveexec_b64 s[6:7], s[6:7]
	v_mov_b32_e32 v6, s10
	s_xor_b64 exec, exec, s[6:7]
	s_cbranch_execz .LBB56_1726
.LBB56_3776:
	v_mov_b32_e32 v6, 0
	v_cmp_ne_u16_sdwa s[8:9], v3, v6 src0_sel:BYTE_3 src1_sel:DWORD
	s_andn2_b64 s[4:5], s[4:5], exec
	s_and_b64 s[8:9], s[8:9], exec
	s_or_b64 s[4:5], s[4:5], s[8:9]
	s_or_b64 exec, exec, s[6:7]
	s_and_saveexec_b64 s[6:7], s[4:5]
	s_cbranch_execnz .LBB56_1727
	s_branch .LBB56_1728
.LBB56_3777:
	s_movk_i32 s4, 0x80
	v_cmp_eq_u16_sdwa s[12:13], v8, s4 src0_sel:BYTE_0 src1_sel:DWORD
	s_mov_b64 s[4:5], -1
                                        ; implicit-def: $sgpr10
	s_and_saveexec_b64 s[8:9], s[12:13]
; %bb.3778:
	s_mov_b32 s10, 0x7f800001
	s_xor_b64 s[4:5], exec, -1
; %bb.3779:
	s_or_b64 exec, exec, s[8:9]
	s_and_b64 s[4:5], s[4:5], exec
	s_or_saveexec_b64 s[6:7], s[6:7]
	v_mov_b32_e32 v2, s10
	s_xor_b64 exec, exec, s[6:7]
	s_cbranch_execz .LBB56_1730
.LBB56_3780:
	v_mov_b32_e32 v2, 0
	v_cmp_ne_u16_sdwa s[8:9], v8, v2 src0_sel:BYTE_0 src1_sel:DWORD
	s_andn2_b64 s[4:5], s[4:5], exec
	s_and_b64 s[8:9], s[8:9], exec
	s_or_b64 s[4:5], s[4:5], s[8:9]
	s_or_b64 exec, exec, s[6:7]
	s_and_saveexec_b64 s[6:7], s[4:5]
	s_cbranch_execnz .LBB56_1731
	s_branch .LBB56_1732
.LBB56_3781:
	s_movk_i32 s4, 0x80
	v_cmp_eq_u16_sdwa s[12:13], v4, s4 src0_sel:BYTE_0 src1_sel:DWORD
	s_mov_b64 s[4:5], -1
                                        ; implicit-def: $sgpr10
	s_and_saveexec_b64 s[8:9], s[12:13]
; %bb.3782:
	s_mov_b32 s10, 0x7f800001
	s_xor_b64 s[4:5], exec, -1
; %bb.3783:
	s_or_b64 exec, exec, s[8:9]
	s_and_b64 s[4:5], s[4:5], exec
	s_or_saveexec_b64 s[6:7], s[6:7]
	v_mov_b32_e32 v3, s10
	s_xor_b64 exec, exec, s[6:7]
	s_cbranch_execz .LBB56_1734
.LBB56_3784:
	v_mov_b32_e32 v3, 0
	v_cmp_ne_u16_sdwa s[8:9], v4, v3 src0_sel:BYTE_0 src1_sel:DWORD
	s_andn2_b64 s[4:5], s[4:5], exec
	s_and_b64 s[8:9], s[8:9], exec
	s_or_b64 s[4:5], s[4:5], s[8:9]
	s_or_b64 exec, exec, s[6:7]
	s_and_saveexec_b64 s[6:7], s[4:5]
	s_cbranch_execnz .LBB56_1735
	s_branch .LBB56_1736
.LBB56_3785:
	s_movk_i32 s4, 0x80
	v_cmp_eq_u16_sdwa s[12:13], v3, s4 src0_sel:BYTE_0 src1_sel:DWORD
	s_mov_b64 s[4:5], -1
                                        ; implicit-def: $sgpr10
	s_and_saveexec_b64 s[8:9], s[12:13]
; %bb.3786:
	s_mov_b32 s10, 0x7f800001
	s_xor_b64 s[4:5], exec, -1
; %bb.3787:
	s_or_b64 exec, exec, s[8:9]
	s_and_b64 s[4:5], s[4:5], exec
	s_or_saveexec_b64 s[6:7], s[6:7]
	v_mov_b32_e32 v2, s10
	s_xor_b64 exec, exec, s[6:7]
	s_cbranch_execz .LBB56_1738
.LBB56_3788:
	v_mov_b32_e32 v2, 0
	v_cmp_ne_u16_sdwa s[8:9], v3, v2 src0_sel:BYTE_0 src1_sel:DWORD
	s_andn2_b64 s[4:5], s[4:5], exec
	s_and_b64 s[8:9], s[8:9], exec
	s_or_b64 s[4:5], s[4:5], s[8:9]
	s_or_b64 exec, exec, s[6:7]
	s_and_saveexec_b64 s[6:7], s[4:5]
	s_cbranch_execnz .LBB56_1739
	s_branch .LBB56_1740
.LBB56_3789:
	s_movk_i32 s4, 0x80
	v_cmp_eq_u16_sdwa s[12:13], v3, s4 src0_sel:BYTE_0 src1_sel:DWORD
	s_mov_b64 s[4:5], -1
                                        ; implicit-def: $sgpr10
	s_and_saveexec_b64 s[8:9], s[12:13]
; %bb.3790:
	s_mov_b32 s10, 0x7f800001
	s_xor_b64 s[4:5], exec, -1
; %bb.3791:
	s_or_b64 exec, exec, s[8:9]
	s_and_b64 s[4:5], s[4:5], exec
	s_or_saveexec_b64 s[6:7], s[6:7]
	v_mov_b32_e32 v6, s10
	s_xor_b64 exec, exec, s[6:7]
	s_cbranch_execz .LBB56_1742
.LBB56_3792:
	v_mov_b32_e32 v6, 0
	v_cmp_ne_u16_sdwa s[8:9], v3, v6 src0_sel:BYTE_0 src1_sel:DWORD
	s_andn2_b64 s[4:5], s[4:5], exec
	s_and_b64 s[8:9], s[8:9], exec
	s_or_b64 s[4:5], s[4:5], s[8:9]
	s_or_b64 exec, exec, s[6:7]
	s_and_saveexec_b64 s[6:7], s[4:5]
	s_cbranch_execnz .LBB56_1743
	s_branch .LBB56_1744
.LBB56_3793:
	s_movk_i32 s4, 0x80
	v_cmp_eq_u16_e32 vcc, s4, v3
	s_mov_b64 s[4:5], -1
                                        ; implicit-def: $sgpr10
	s_and_saveexec_b64 s[8:9], vcc
; %bb.3794:
	s_mov_b32 s10, 0x7f800001
	s_xor_b64 s[4:5], exec, -1
; %bb.3795:
	s_or_b64 exec, exec, s[8:9]
	s_and_b64 s[4:5], s[4:5], exec
                                        ; implicit-def: $vgpr3
	s_or_saveexec_b64 s[6:7], s[6:7]
	v_mov_b32_e32 v2, s10
	s_xor_b64 exec, exec, s[6:7]
	s_cbranch_execz .LBB56_1746
.LBB56_3796:
	v_cmp_ne_u16_e32 vcc, 0, v3
	s_andn2_b64 s[4:5], s[4:5], exec
	s_and_b64 s[8:9], vcc, exec
	v_mov_b32_e32 v2, 0
	s_or_b64 s[4:5], s[4:5], s[8:9]
	s_or_b64 exec, exec, s[6:7]
	s_and_saveexec_b64 s[6:7], s[4:5]
	s_cbranch_execnz .LBB56_1747
	s_branch .LBB56_1748
.LBB56_3797:
	s_movk_i32 s4, 0x80
	v_cmp_eq_u16_e32 vcc, s4, v3
	s_mov_b64 s[4:5], -1
                                        ; implicit-def: $sgpr10
	s_and_saveexec_b64 s[8:9], vcc
; %bb.3798:
	s_mov_b32 s10, 0x7f800001
	s_xor_b64 s[4:5], exec, -1
; %bb.3799:
	s_or_b64 exec, exec, s[8:9]
	s_and_b64 s[4:5], s[4:5], exec
                                        ; implicit-def: $vgpr3
	s_or_saveexec_b64 s[6:7], s[6:7]
	v_mov_b32_e32 v6, s10
	s_xor_b64 exec, exec, s[6:7]
	s_cbranch_execz .LBB56_1750
.LBB56_3800:
	v_cmp_ne_u16_e32 vcc, 0, v3
	s_andn2_b64 s[4:5], s[4:5], exec
	s_and_b64 s[8:9], vcc, exec
	v_mov_b32_e32 v6, 0
	s_or_b64 s[4:5], s[4:5], s[8:9]
	s_or_b64 exec, exec, s[6:7]
	s_and_saveexec_b64 s[6:7], s[4:5]
	s_cbranch_execnz .LBB56_1751
	s_branch .LBB56_1752
.LBB56_3801:
	s_movk_i32 s4, 0x80
	v_cmp_eq_u16_sdwa s[12:13], v8, s4 src0_sel:BYTE_3 src1_sel:DWORD
	s_mov_b64 s[4:5], -1
                                        ; implicit-def: $sgpr10
	s_and_saveexec_b64 s[8:9], s[12:13]
; %bb.3802:
	s_mov_b32 s10, 0x7f800001
	s_xor_b64 s[4:5], exec, -1
; %bb.3803:
	s_or_b64 exec, exec, s[8:9]
	s_and_b64 s[4:5], s[4:5], exec
	s_or_saveexec_b64 s[6:7], s[6:7]
	v_mov_b32_e32 v2, s10
	s_xor_b64 exec, exec, s[6:7]
	s_cbranch_execz .LBB56_1754
.LBB56_3804:
	v_mov_b32_e32 v2, 0
	v_cmp_ne_u16_sdwa s[8:9], v8, v2 src0_sel:BYTE_3 src1_sel:DWORD
	s_andn2_b64 s[4:5], s[4:5], exec
	s_and_b64 s[8:9], s[8:9], exec
	s_or_b64 s[4:5], s[4:5], s[8:9]
	s_or_b64 exec, exec, s[6:7]
	s_and_saveexec_b64 s[6:7], s[4:5]
	s_cbranch_execnz .LBB56_1755
	s_branch .LBB56_1756
.LBB56_3805:
	s_movk_i32 s4, 0x80
	v_cmp_eq_u16_sdwa s[12:13], v4, s4 src0_sel:BYTE_3 src1_sel:DWORD
	s_mov_b64 s[4:5], -1
                                        ; implicit-def: $sgpr10
	s_and_saveexec_b64 s[8:9], s[12:13]
; %bb.3806:
	s_mov_b32 s10, 0x7f800001
	s_xor_b64 s[4:5], exec, -1
; %bb.3807:
	s_or_b64 exec, exec, s[8:9]
	s_and_b64 s[4:5], s[4:5], exec
	s_or_saveexec_b64 s[6:7], s[6:7]
	v_mov_b32_e32 v3, s10
	s_xor_b64 exec, exec, s[6:7]
	s_cbranch_execz .LBB56_1758
.LBB56_3808:
	v_mov_b32_e32 v3, 0
	v_cmp_ne_u16_sdwa s[8:9], v4, v3 src0_sel:BYTE_3 src1_sel:DWORD
	s_andn2_b64 s[4:5], s[4:5], exec
	s_and_b64 s[8:9], s[8:9], exec
	s_or_b64 s[4:5], s[4:5], s[8:9]
	s_or_b64 exec, exec, s[6:7]
	s_and_saveexec_b64 s[6:7], s[4:5]
	s_cbranch_execnz .LBB56_1759
	s_branch .LBB56_1760
.LBB56_3809:
	s_movk_i32 s4, 0x80
	v_cmp_eq_u16_sdwa s[12:13], v9, s4 src0_sel:BYTE_0 src1_sel:DWORD
	s_mov_b64 s[4:5], -1
                                        ; implicit-def: $sgpr10
	s_and_saveexec_b64 s[8:9], s[12:13]
; %bb.3810:
	s_mov_b32 s10, 0x7f800001
	s_xor_b64 s[4:5], exec, -1
; %bb.3811:
	s_or_b64 exec, exec, s[8:9]
	s_and_b64 s[4:5], s[4:5], exec
	s_or_saveexec_b64 s[6:7], s[6:7]
	v_mov_b32_e32 v2, s10
	s_xor_b64 exec, exec, s[6:7]
	s_cbranch_execz .LBB56_1762
.LBB56_3812:
	v_mov_b32_e32 v2, 0
	v_cmp_ne_u16_sdwa s[8:9], v9, v2 src0_sel:BYTE_0 src1_sel:DWORD
	s_andn2_b64 s[4:5], s[4:5], exec
	s_and_b64 s[8:9], s[8:9], exec
	s_or_b64 s[4:5], s[4:5], s[8:9]
	s_or_b64 exec, exec, s[6:7]
	s_and_saveexec_b64 s[6:7], s[4:5]
	s_cbranch_execnz .LBB56_1763
	s_branch .LBB56_1764
.LBB56_3813:
	s_movk_i32 s4, 0x80
	v_cmp_eq_u16_sdwa s[12:13], v5, s4 src0_sel:BYTE_0 src1_sel:DWORD
	s_mov_b64 s[4:5], -1
                                        ; implicit-def: $sgpr10
	s_and_saveexec_b64 s[8:9], s[12:13]
; %bb.3814:
	s_mov_b32 s10, 0x7f800001
	s_xor_b64 s[4:5], exec, -1
; %bb.3815:
	s_or_b64 exec, exec, s[8:9]
	s_and_b64 s[4:5], s[4:5], exec
	s_or_saveexec_b64 s[6:7], s[6:7]
	v_mov_b32_e32 v3, s10
	s_xor_b64 exec, exec, s[6:7]
	s_cbranch_execz .LBB56_1766
.LBB56_3816:
	v_mov_b32_e32 v3, 0
	v_cmp_ne_u16_sdwa s[8:9], v5, v3 src0_sel:BYTE_0 src1_sel:DWORD
	s_andn2_b64 s[4:5], s[4:5], exec
	s_and_b64 s[8:9], s[8:9], exec
	s_or_b64 s[4:5], s[4:5], s[8:9]
	s_or_b64 exec, exec, s[6:7]
	s_and_saveexec_b64 s[6:7], s[4:5]
	s_cbranch_execnz .LBB56_1767
	s_branch .LBB56_1768
.LBB56_3817:
	s_movk_i32 s4, 0x80
	v_cmp_eq_u16_sdwa s[12:13], v3, s4 src0_sel:BYTE_0 src1_sel:DWORD
	s_mov_b64 s[4:5], -1
                                        ; implicit-def: $sgpr10
	s_and_saveexec_b64 s[8:9], s[12:13]
; %bb.3818:
	s_mov_b32 s10, 0x7f800001
	s_xor_b64 s[4:5], exec, -1
; %bb.3819:
	s_or_b64 exec, exec, s[8:9]
	s_and_b64 s[4:5], s[4:5], exec
	s_or_saveexec_b64 s[6:7], s[6:7]
	v_mov_b32_e32 v2, s10
	s_xor_b64 exec, exec, s[6:7]
	s_cbranch_execz .LBB56_1770
.LBB56_3820:
	v_mov_b32_e32 v2, 0
	v_cmp_ne_u16_sdwa s[8:9], v3, v2 src0_sel:BYTE_0 src1_sel:DWORD
	s_andn2_b64 s[4:5], s[4:5], exec
	s_and_b64 s[8:9], s[8:9], exec
	s_or_b64 s[4:5], s[4:5], s[8:9]
	s_or_b64 exec, exec, s[6:7]
	s_and_saveexec_b64 s[6:7], s[4:5]
	s_cbranch_execnz .LBB56_1771
	s_branch .LBB56_1772
.LBB56_3821:
	s_movk_i32 s4, 0x80
	v_cmp_eq_u16_sdwa s[12:13], v3, s4 src0_sel:BYTE_0 src1_sel:DWORD
	s_mov_b64 s[4:5], -1
                                        ; implicit-def: $sgpr10
	s_and_saveexec_b64 s[8:9], s[12:13]
; %bb.3822:
	s_mov_b32 s10, 0x7f800001
	s_xor_b64 s[4:5], exec, -1
; %bb.3823:
	s_or_b64 exec, exec, s[8:9]
	s_and_b64 s[4:5], s[4:5], exec
	s_or_saveexec_b64 s[6:7], s[6:7]
	v_mov_b32_e32 v4, s10
	s_xor_b64 exec, exec, s[6:7]
	s_cbranch_execz .LBB56_1774
.LBB56_3824:
	v_mov_b32_e32 v4, 0
	v_cmp_ne_u16_sdwa s[8:9], v3, v4 src0_sel:BYTE_0 src1_sel:DWORD
	s_andn2_b64 s[4:5], s[4:5], exec
	s_and_b64 s[8:9], s[8:9], exec
	s_or_b64 s[4:5], s[4:5], s[8:9]
	s_or_b64 exec, exec, s[6:7]
	s_and_saveexec_b64 s[6:7], s[4:5]
	s_cbranch_execnz .LBB56_1775
	s_branch .LBB56_1776
.LBB56_3825:
	s_movk_i32 s4, 0x80
	v_cmp_eq_u16_e32 vcc, s4, v3
	s_mov_b64 s[4:5], -1
                                        ; implicit-def: $sgpr10
	s_and_saveexec_b64 s[8:9], vcc
; %bb.3826:
	s_mov_b32 s10, 0x7f800001
	s_xor_b64 s[4:5], exec, -1
; %bb.3827:
	s_or_b64 exec, exec, s[8:9]
	s_and_b64 s[4:5], s[4:5], exec
                                        ; implicit-def: $vgpr3
	s_or_saveexec_b64 s[6:7], s[6:7]
	v_mov_b32_e32 v2, s10
	s_xor_b64 exec, exec, s[6:7]
	s_cbranch_execz .LBB56_1778
.LBB56_3828:
	v_cmp_ne_u16_e32 vcc, 0, v3
	s_andn2_b64 s[4:5], s[4:5], exec
	s_and_b64 s[8:9], vcc, exec
	v_mov_b32_e32 v2, 0
	s_or_b64 s[4:5], s[4:5], s[8:9]
	s_or_b64 exec, exec, s[6:7]
	s_and_saveexec_b64 s[6:7], s[4:5]
	s_cbranch_execnz .LBB56_1779
	s_branch .LBB56_1780
.LBB56_3829:
	s_movk_i32 s4, 0x80
	v_cmp_eq_u16_e32 vcc, s4, v3
	s_mov_b64 s[4:5], -1
                                        ; implicit-def: $sgpr10
	s_and_saveexec_b64 s[8:9], vcc
; %bb.3830:
	s_mov_b32 s10, 0x7f800001
	s_xor_b64 s[4:5], exec, -1
; %bb.3831:
	s_or_b64 exec, exec, s[8:9]
	s_and_b64 s[4:5], s[4:5], exec
                                        ; implicit-def: $vgpr3
	s_or_saveexec_b64 s[6:7], s[6:7]
	v_mov_b32_e32 v4, s10
	s_xor_b64 exec, exec, s[6:7]
	s_cbranch_execz .LBB56_1782
.LBB56_3832:
	v_cmp_ne_u16_e32 vcc, 0, v3
	s_andn2_b64 s[4:5], s[4:5], exec
	s_and_b64 s[8:9], vcc, exec
	v_mov_b32_e32 v4, 0
	s_or_b64 s[4:5], s[4:5], s[8:9]
	s_or_b64 exec, exec, s[6:7]
	s_and_saveexec_b64 s[6:7], s[4:5]
	s_cbranch_execnz .LBB56_1783
	s_branch .LBB56_1784
.LBB56_3833:
	s_movk_i32 s4, 0x80
	v_cmp_eq_u16_sdwa s[12:13], v9, s4 src0_sel:BYTE_3 src1_sel:DWORD
	s_mov_b64 s[4:5], -1
                                        ; implicit-def: $sgpr10
	s_and_saveexec_b64 s[8:9], s[12:13]
; %bb.3834:
	s_mov_b32 s10, 0x7f800001
	s_xor_b64 s[4:5], exec, -1
; %bb.3835:
	s_or_b64 exec, exec, s[8:9]
	s_and_b64 s[4:5], s[4:5], exec
	s_or_saveexec_b64 s[6:7], s[6:7]
	v_mov_b32_e32 v2, s10
	s_xor_b64 exec, exec, s[6:7]
	s_cbranch_execz .LBB56_1786
.LBB56_3836:
	v_mov_b32_e32 v2, 0
	v_cmp_ne_u16_sdwa s[8:9], v9, v2 src0_sel:BYTE_3 src1_sel:DWORD
	s_andn2_b64 s[4:5], s[4:5], exec
	s_and_b64 s[8:9], s[8:9], exec
	s_or_b64 s[4:5], s[4:5], s[8:9]
	s_or_b64 exec, exec, s[6:7]
	s_and_saveexec_b64 s[6:7], s[4:5]
	s_cbranch_execnz .LBB56_1787
	s_branch .LBB56_1788
.LBB56_3837:
	s_movk_i32 s4, 0x80
	v_cmp_eq_u16_sdwa s[12:13], v5, s4 src0_sel:BYTE_3 src1_sel:DWORD
	s_mov_b64 s[4:5], -1
                                        ; implicit-def: $sgpr10
	s_and_saveexec_b64 s[8:9], s[12:13]
; %bb.3838:
	s_mov_b32 s10, 0x7f800001
	s_xor_b64 s[4:5], exec, -1
; %bb.3839:
	s_or_b64 exec, exec, s[8:9]
	s_and_b64 s[4:5], s[4:5], exec
	s_or_saveexec_b64 s[6:7], s[6:7]
	v_mov_b32_e32 v3, s10
	s_xor_b64 exec, exec, s[6:7]
	s_cbranch_execz .LBB56_1790
.LBB56_3840:
	v_mov_b32_e32 v3, 0
	v_cmp_ne_u16_sdwa s[8:9], v5, v3 src0_sel:BYTE_3 src1_sel:DWORD
	s_andn2_b64 s[4:5], s[4:5], exec
	s_and_b64 s[8:9], s[8:9], exec
	s_or_b64 s[4:5], s[4:5], s[8:9]
	s_or_b64 exec, exec, s[6:7]
	s_and_saveexec_b64 s[6:7], s[4:5]
	s_cbranch_execnz .LBB56_1791
	s_branch .LBB56_1792
.LBB56_3841:
	s_movk_i32 s4, 0x80
	v_cmp_eq_u16_sdwa s[12:13], v12, s4 src0_sel:BYTE_0 src1_sel:DWORD
	s_mov_b64 s[4:5], -1
                                        ; implicit-def: $sgpr10
	s_and_saveexec_b64 s[8:9], s[12:13]
; %bb.3842:
	s_mov_b32 s10, 0x7f800001
	s_xor_b64 s[4:5], exec, -1
; %bb.3843:
	s_or_b64 exec, exec, s[8:9]
	s_and_b64 s[4:5], s[4:5], exec
	s_or_saveexec_b64 s[6:7], s[6:7]
	v_mov_b32_e32 v18, s10
	s_xor_b64 exec, exec, s[6:7]
	s_cbranch_execz .LBB56_1794
.LBB56_3844:
	v_mov_b32_e32 v18, 0
	v_cmp_ne_u16_sdwa s[8:9], v12, v18 src0_sel:BYTE_0 src1_sel:DWORD
	s_andn2_b64 s[4:5], s[4:5], exec
	s_and_b64 s[8:9], s[8:9], exec
	s_or_b64 s[4:5], s[4:5], s[8:9]
	s_or_b64 exec, exec, s[6:7]
	s_and_saveexec_b64 s[6:7], s[4:5]
	s_cbranch_execnz .LBB56_1795
	s_branch .LBB56_1796
.LBB56_3845:
	s_movk_i32 s4, 0x80
	v_cmp_eq_u16_sdwa s[12:13], v8, s4 src0_sel:BYTE_0 src1_sel:DWORD
	s_mov_b64 s[4:5], -1
                                        ; implicit-def: $sgpr10
	s_and_saveexec_b64 s[8:9], s[12:13]
; %bb.3846:
	s_mov_b32 s10, 0x7f800001
	s_xor_b64 s[4:5], exec, -1
; %bb.3847:
	s_or_b64 exec, exec, s[8:9]
	s_and_b64 s[4:5], s[4:5], exec
	s_or_saveexec_b64 s[6:7], s[6:7]
	v_mov_b32_e32 v19, s10
	s_xor_b64 exec, exec, s[6:7]
	s_cbranch_execz .LBB56_1798
.LBB56_3848:
	v_mov_b32_e32 v19, 0
	v_cmp_ne_u16_sdwa s[8:9], v8, v19 src0_sel:BYTE_0 src1_sel:DWORD
	s_andn2_b64 s[4:5], s[4:5], exec
	s_and_b64 s[8:9], s[8:9], exec
	s_or_b64 s[4:5], s[4:5], s[8:9]
	s_or_b64 exec, exec, s[6:7]
	s_and_saveexec_b64 s[6:7], s[4:5]
	s_cbranch_execnz .LBB56_1799
	s_branch .LBB56_1800
.LBB56_3849:
	s_movk_i32 s4, 0x80
	v_cmp_eq_u16_sdwa s[12:13], v19, s4 src0_sel:BYTE_0 src1_sel:DWORD
	s_mov_b64 s[4:5], -1
                                        ; implicit-def: $sgpr10
	s_and_saveexec_b64 s[8:9], s[12:13]
; %bb.3850:
	s_mov_b32 s10, 0x7f800001
	s_xor_b64 s[4:5], exec, -1
; %bb.3851:
	s_or_b64 exec, exec, s[8:9]
	s_and_b64 s[4:5], s[4:5], exec
	s_or_saveexec_b64 s[6:7], s[6:7]
	v_mov_b32_e32 v18, s10
	s_xor_b64 exec, exec, s[6:7]
	s_cbranch_execz .LBB56_1802
.LBB56_3852:
	v_mov_b32_e32 v18, 0
	v_cmp_ne_u16_sdwa s[8:9], v19, v18 src0_sel:BYTE_0 src1_sel:DWORD
	s_andn2_b64 s[4:5], s[4:5], exec
	s_and_b64 s[8:9], s[8:9], exec
	s_or_b64 s[4:5], s[4:5], s[8:9]
	s_or_b64 exec, exec, s[6:7]
	s_and_saveexec_b64 s[6:7], s[4:5]
	s_cbranch_execnz .LBB56_1803
	s_branch .LBB56_1804
.LBB56_3853:
	s_movk_i32 s4, 0x80
	v_cmp_eq_u16_sdwa s[12:13], v19, s4 src0_sel:BYTE_0 src1_sel:DWORD
	s_mov_b64 s[4:5], -1
                                        ; implicit-def: $sgpr10
	s_and_saveexec_b64 s[8:9], s[12:13]
; %bb.3854:
	s_mov_b32 s10, 0x7f800001
	s_xor_b64 s[4:5], exec, -1
; %bb.3855:
	s_or_b64 exec, exec, s[8:9]
	s_and_b64 s[4:5], s[4:5], exec
	s_or_saveexec_b64 s[6:7], s[6:7]
	v_mov_b32_e32 v20, s10
	s_xor_b64 exec, exec, s[6:7]
	s_cbranch_execz .LBB56_1806
.LBB56_3856:
	v_mov_b32_e32 v20, 0
	v_cmp_ne_u16_sdwa s[8:9], v19, v20 src0_sel:BYTE_0 src1_sel:DWORD
	s_andn2_b64 s[4:5], s[4:5], exec
	s_and_b64 s[8:9], s[8:9], exec
	s_or_b64 s[4:5], s[4:5], s[8:9]
	s_or_b64 exec, exec, s[6:7]
	s_and_saveexec_b64 s[6:7], s[4:5]
	s_cbranch_execnz .LBB56_1807
	s_branch .LBB56_1808
.LBB56_3857:
	s_movk_i32 s4, 0x80
	v_cmp_eq_u16_e32 vcc, s4, v19
	s_mov_b64 s[4:5], -1
                                        ; implicit-def: $sgpr10
	s_and_saveexec_b64 s[8:9], vcc
; %bb.3858:
	s_mov_b32 s10, 0x7f800001
	s_xor_b64 s[4:5], exec, -1
; %bb.3859:
	s_or_b64 exec, exec, s[8:9]
	s_and_b64 s[4:5], s[4:5], exec
                                        ; implicit-def: $vgpr19
	s_or_saveexec_b64 s[6:7], s[6:7]
	v_mov_b32_e32 v18, s10
	s_xor_b64 exec, exec, s[6:7]
	s_cbranch_execz .LBB56_1810
.LBB56_3860:
	v_cmp_ne_u16_e32 vcc, 0, v19
	s_andn2_b64 s[4:5], s[4:5], exec
	s_and_b64 s[8:9], vcc, exec
	v_mov_b32_e32 v18, 0
	s_or_b64 s[4:5], s[4:5], s[8:9]
	s_or_b64 exec, exec, s[6:7]
	s_and_saveexec_b64 s[6:7], s[4:5]
	s_cbranch_execnz .LBB56_1811
	s_branch .LBB56_1812
.LBB56_3861:
	s_movk_i32 s4, 0x80
	v_cmp_eq_u16_e32 vcc, s4, v19
	s_mov_b64 s[4:5], -1
                                        ; implicit-def: $sgpr10
	s_and_saveexec_b64 s[8:9], vcc
; %bb.3862:
	s_mov_b32 s10, 0x7f800001
	s_xor_b64 s[4:5], exec, -1
; %bb.3863:
	s_or_b64 exec, exec, s[8:9]
	s_and_b64 s[4:5], s[4:5], exec
                                        ; implicit-def: $vgpr19
	s_or_saveexec_b64 s[6:7], s[6:7]
	v_mov_b32_e32 v20, s10
	s_xor_b64 exec, exec, s[6:7]
	s_cbranch_execz .LBB56_1814
.LBB56_3864:
	v_cmp_ne_u16_e32 vcc, 0, v19
	s_andn2_b64 s[4:5], s[4:5], exec
	s_and_b64 s[8:9], vcc, exec
	v_mov_b32_e32 v20, 0
	s_or_b64 s[4:5], s[4:5], s[8:9]
	s_or_b64 exec, exec, s[6:7]
	s_and_saveexec_b64 s[6:7], s[4:5]
	s_cbranch_execnz .LBB56_1815
	s_branch .LBB56_1816
.LBB56_3865:
	s_movk_i32 s4, 0x80
	v_cmp_eq_u16_sdwa s[12:13], v12, s4 src0_sel:BYTE_3 src1_sel:DWORD
	s_mov_b64 s[4:5], -1
                                        ; implicit-def: $sgpr10
	s_and_saveexec_b64 s[8:9], s[12:13]
; %bb.3866:
	s_mov_b32 s10, 0x7f800001
	s_xor_b64 s[4:5], exec, -1
; %bb.3867:
	s_or_b64 exec, exec, s[8:9]
	s_and_b64 s[4:5], s[4:5], exec
	s_or_saveexec_b64 s[6:7], s[6:7]
	v_mov_b32_e32 v18, s10
	s_xor_b64 exec, exec, s[6:7]
	s_cbranch_execz .LBB56_1818
.LBB56_3868:
	v_mov_b32_e32 v18, 0
	v_cmp_ne_u16_sdwa s[8:9], v12, v18 src0_sel:BYTE_3 src1_sel:DWORD
	s_andn2_b64 s[4:5], s[4:5], exec
	s_and_b64 s[8:9], s[8:9], exec
	s_or_b64 s[4:5], s[4:5], s[8:9]
	s_or_b64 exec, exec, s[6:7]
	s_and_saveexec_b64 s[6:7], s[4:5]
	s_cbranch_execnz .LBB56_1819
	s_branch .LBB56_1820
.LBB56_3869:
	s_movk_i32 s4, 0x80
	v_cmp_eq_u16_sdwa s[12:13], v8, s4 src0_sel:BYTE_3 src1_sel:DWORD
	s_mov_b64 s[4:5], -1
                                        ; implicit-def: $sgpr10
	s_and_saveexec_b64 s[8:9], s[12:13]
; %bb.3870:
	s_mov_b32 s10, 0x7f800001
	s_xor_b64 s[4:5], exec, -1
; %bb.3871:
	s_or_b64 exec, exec, s[8:9]
	s_and_b64 s[4:5], s[4:5], exec
	s_or_saveexec_b64 s[6:7], s[6:7]
	v_mov_b32_e32 v12, s10
	s_xor_b64 exec, exec, s[6:7]
	s_cbranch_execz .LBB56_1822
.LBB56_3872:
	v_mov_b32_e32 v12, 0
	v_cmp_ne_u16_sdwa s[8:9], v8, v12 src0_sel:BYTE_3 src1_sel:DWORD
	s_andn2_b64 s[4:5], s[4:5], exec
	s_and_b64 s[8:9], s[8:9], exec
	s_or_b64 s[4:5], s[4:5], s[8:9]
	s_or_b64 exec, exec, s[6:7]
	s_and_saveexec_b64 s[6:7], s[4:5]
	s_cbranch_execnz .LBB56_1823
	s_branch .LBB56_1824
.LBB56_3873:
	s_movk_i32 s4, 0x80
	v_cmp_eq_u16_sdwa s[12:13], v13, s4 src0_sel:BYTE_0 src1_sel:DWORD
	s_mov_b64 s[4:5], -1
                                        ; implicit-def: $sgpr10
	s_and_saveexec_b64 s[8:9], s[12:13]
; %bb.3874:
	s_mov_b32 s10, 0x7f800001
	s_xor_b64 s[4:5], exec, -1
; %bb.3875:
	s_or_b64 exec, exec, s[8:9]
	s_and_b64 s[4:5], s[4:5], exec
	s_or_saveexec_b64 s[6:7], s[6:7]
	v_mov_b32_e32 v8, s10
	s_xor_b64 exec, exec, s[6:7]
	s_cbranch_execz .LBB56_1826
.LBB56_3876:
	v_mov_b32_e32 v8, 0
	v_cmp_ne_u16_sdwa s[8:9], v13, v8 src0_sel:BYTE_0 src1_sel:DWORD
	s_andn2_b64 s[4:5], s[4:5], exec
	s_and_b64 s[8:9], s[8:9], exec
	s_or_b64 s[4:5], s[4:5], s[8:9]
	s_or_b64 exec, exec, s[6:7]
	s_and_saveexec_b64 s[6:7], s[4:5]
	s_cbranch_execnz .LBB56_1827
	s_branch .LBB56_1828
.LBB56_3877:
	s_movk_i32 s4, 0x80
	v_cmp_eq_u16_sdwa s[12:13], v9, s4 src0_sel:BYTE_0 src1_sel:DWORD
	s_mov_b64 s[4:5], -1
                                        ; implicit-def: $sgpr10
	s_and_saveexec_b64 s[8:9], s[12:13]
; %bb.3878:
	s_mov_b32 s10, 0x7f800001
	s_xor_b64 s[4:5], exec, -1
; %bb.3879:
	s_or_b64 exec, exec, s[8:9]
	s_and_b64 s[4:5], s[4:5], exec
	s_or_saveexec_b64 s[6:7], s[6:7]
	v_mov_b32_e32 v12, s10
	s_xor_b64 exec, exec, s[6:7]
	s_cbranch_execz .LBB56_1830
.LBB56_3880:
	v_mov_b32_e32 v12, 0
	v_cmp_ne_u16_sdwa s[8:9], v9, v12 src0_sel:BYTE_0 src1_sel:DWORD
	s_andn2_b64 s[4:5], s[4:5], exec
	s_and_b64 s[8:9], s[8:9], exec
	s_or_b64 s[4:5], s[4:5], s[8:9]
	s_or_b64 exec, exec, s[6:7]
	s_and_saveexec_b64 s[6:7], s[4:5]
	s_cbranch_execnz .LBB56_1831
	s_branch .LBB56_1832
.LBB56_3881:
	s_movk_i32 s4, 0x80
	v_cmp_eq_u16_sdwa s[12:13], v12, s4 src0_sel:BYTE_0 src1_sel:DWORD
	s_mov_b64 s[4:5], -1
                                        ; implicit-def: $sgpr10
	s_and_saveexec_b64 s[8:9], s[12:13]
; %bb.3882:
	s_mov_b32 s10, 0x7f800001
	s_xor_b64 s[4:5], exec, -1
; %bb.3883:
	s_or_b64 exec, exec, s[8:9]
	s_and_b64 s[4:5], s[4:5], exec
	s_or_saveexec_b64 s[6:7], s[6:7]
	v_mov_b32_e32 v8, s10
	s_xor_b64 exec, exec, s[6:7]
	s_cbranch_execz .LBB56_1834
.LBB56_3884:
	v_mov_b32_e32 v8, 0
	v_cmp_ne_u16_sdwa s[8:9], v12, v8 src0_sel:BYTE_0 src1_sel:DWORD
	s_andn2_b64 s[4:5], s[4:5], exec
	s_and_b64 s[8:9], s[8:9], exec
	s_or_b64 s[4:5], s[4:5], s[8:9]
	s_or_b64 exec, exec, s[6:7]
	s_and_saveexec_b64 s[6:7], s[4:5]
	s_cbranch_execnz .LBB56_1835
	s_branch .LBB56_1836
.LBB56_3885:
	s_movk_i32 s4, 0x80
	v_cmp_eq_u16_sdwa s[12:13], v12, s4 src0_sel:BYTE_0 src1_sel:DWORD
	s_mov_b64 s[4:5], -1
                                        ; implicit-def: $sgpr10
	s_and_saveexec_b64 s[8:9], s[12:13]
; %bb.3886:
	s_mov_b32 s10, 0x7f800001
	s_xor_b64 s[4:5], exec, -1
; %bb.3887:
	s_or_b64 exec, exec, s[8:9]
	s_and_b64 s[4:5], s[4:5], exec
	s_or_saveexec_b64 s[6:7], s[6:7]
	v_mov_b32_e32 v18, s10
	s_xor_b64 exec, exec, s[6:7]
	s_cbranch_execz .LBB56_1838
.LBB56_3888:
	v_mov_b32_e32 v18, 0
	v_cmp_ne_u16_sdwa s[8:9], v12, v18 src0_sel:BYTE_0 src1_sel:DWORD
	s_andn2_b64 s[4:5], s[4:5], exec
	s_and_b64 s[8:9], s[8:9], exec
	s_or_b64 s[4:5], s[4:5], s[8:9]
	s_or_b64 exec, exec, s[6:7]
	s_and_saveexec_b64 s[6:7], s[4:5]
	s_cbranch_execnz .LBB56_1839
	s_branch .LBB56_1840
.LBB56_3889:
	s_movk_i32 s4, 0x80
	v_cmp_eq_u16_e32 vcc, s4, v12
	s_mov_b64 s[4:5], -1
                                        ; implicit-def: $sgpr10
	s_and_saveexec_b64 s[8:9], vcc
; %bb.3890:
	s_mov_b32 s10, 0x7f800001
	s_xor_b64 s[4:5], exec, -1
; %bb.3891:
	s_or_b64 exec, exec, s[8:9]
	s_and_b64 s[4:5], s[4:5], exec
                                        ; implicit-def: $vgpr12
	s_or_saveexec_b64 s[6:7], s[6:7]
	v_mov_b32_e32 v8, s10
	s_xor_b64 exec, exec, s[6:7]
	s_cbranch_execz .LBB56_1842
.LBB56_3892:
	v_cmp_ne_u16_e32 vcc, 0, v12
	s_andn2_b64 s[4:5], s[4:5], exec
	s_and_b64 s[8:9], vcc, exec
	v_mov_b32_e32 v8, 0
	s_or_b64 s[4:5], s[4:5], s[8:9]
	s_or_b64 exec, exec, s[6:7]
	s_and_saveexec_b64 s[6:7], s[4:5]
	s_cbranch_execnz .LBB56_1843
	s_branch .LBB56_1844
.LBB56_3893:
	s_movk_i32 s4, 0x80
	v_cmp_eq_u16_e32 vcc, s4, v12
	s_mov_b64 s[4:5], -1
                                        ; implicit-def: $sgpr10
	s_and_saveexec_b64 s[8:9], vcc
; %bb.3894:
	s_mov_b32 s10, 0x7f800001
	s_xor_b64 s[4:5], exec, -1
; %bb.3895:
	s_or_b64 exec, exec, s[8:9]
	s_and_b64 s[4:5], s[4:5], exec
                                        ; implicit-def: $vgpr12
	s_or_saveexec_b64 s[6:7], s[6:7]
	v_mov_b32_e32 v18, s10
	s_xor_b64 exec, exec, s[6:7]
	s_cbranch_execz .LBB56_1846
.LBB56_3896:
	v_cmp_ne_u16_e32 vcc, 0, v12
	s_andn2_b64 s[4:5], s[4:5], exec
	s_and_b64 s[8:9], vcc, exec
	v_mov_b32_e32 v18, 0
	s_or_b64 s[4:5], s[4:5], s[8:9]
	s_or_b64 exec, exec, s[6:7]
	s_and_saveexec_b64 s[6:7], s[4:5]
	s_cbranch_execnz .LBB56_1847
	s_branch .LBB56_1848
.LBB56_3897:
	s_movk_i32 s4, 0x80
	v_cmp_eq_u16_sdwa s[12:13], v13, s4 src0_sel:BYTE_3 src1_sel:DWORD
	s_mov_b64 s[4:5], -1
                                        ; implicit-def: $sgpr10
	s_and_saveexec_b64 s[8:9], s[12:13]
; %bb.3898:
	s_mov_b32 s10, 0x7f800001
	s_xor_b64 s[4:5], exec, -1
; %bb.3899:
	s_or_b64 exec, exec, s[8:9]
	s_and_b64 s[4:5], s[4:5], exec
	s_or_saveexec_b64 s[6:7], s[6:7]
	v_mov_b32_e32 v8, s10
	s_xor_b64 exec, exec, s[6:7]
	s_cbranch_execz .LBB56_1850
.LBB56_3900:
	v_mov_b32_e32 v8, 0
	v_cmp_ne_u16_sdwa s[8:9], v13, v8 src0_sel:BYTE_3 src1_sel:DWORD
	s_andn2_b64 s[4:5], s[4:5], exec
	s_and_b64 s[8:9], s[8:9], exec
	s_or_b64 s[4:5], s[4:5], s[8:9]
	s_or_b64 exec, exec, s[6:7]
	s_and_saveexec_b64 s[6:7], s[4:5]
	s_cbranch_execnz .LBB56_1851
	s_branch .LBB56_1852
.LBB56_3901:
	s_movk_i32 s4, 0x80
	v_cmp_eq_u16_sdwa s[12:13], v9, s4 src0_sel:BYTE_3 src1_sel:DWORD
	s_mov_b64 s[4:5], -1
                                        ; implicit-def: $sgpr10
	s_and_saveexec_b64 s[8:9], s[12:13]
; %bb.3902:
	s_mov_b32 s10, 0x7f800001
	s_xor_b64 s[4:5], exec, -1
; %bb.3903:
	s_or_b64 exec, exec, s[8:9]
	s_and_b64 s[4:5], s[4:5], exec
	s_or_saveexec_b64 s[6:7], s[6:7]
	v_mov_b32_e32 v12, s10
	s_xor_b64 exec, exec, s[6:7]
	s_cbranch_execz .LBB56_1854
.LBB56_3904:
	v_mov_b32_e32 v12, 0
	v_cmp_ne_u16_sdwa s[8:9], v9, v12 src0_sel:BYTE_3 src1_sel:DWORD
	s_andn2_b64 s[4:5], s[4:5], exec
	s_and_b64 s[8:9], s[8:9], exec
	s_or_b64 s[4:5], s[4:5], s[8:9]
	s_or_b64 exec, exec, s[6:7]
	s_and_saveexec_b64 s[6:7], s[4:5]
	s_cbranch_execnz .LBB56_1855
	s_branch .LBB56_1856
.LBB56_3905:
	s_movk_i32 s4, 0x80
	v_cmp_eq_u16_sdwa s[12:13], v14, s4 src0_sel:BYTE_0 src1_sel:DWORD
	s_mov_b64 s[4:5], -1
                                        ; implicit-def: $sgpr10
	s_and_saveexec_b64 s[8:9], s[12:13]
; %bb.3906:
	s_mov_b32 s10, 0x7f800001
	s_xor_b64 s[4:5], exec, -1
; %bb.3907:
	s_or_b64 exec, exec, s[8:9]
	s_and_b64 s[4:5], s[4:5], exec
	s_or_saveexec_b64 s[6:7], s[6:7]
	v_mov_b32_e32 v8, s10
	s_xor_b64 exec, exec, s[6:7]
	s_cbranch_execz .LBB56_1858
.LBB56_3908:
	v_mov_b32_e32 v8, 0
	v_cmp_ne_u16_sdwa s[8:9], v14, v8 src0_sel:BYTE_0 src1_sel:DWORD
	s_andn2_b64 s[4:5], s[4:5], exec
	s_and_b64 s[8:9], s[8:9], exec
	s_or_b64 s[4:5], s[4:5], s[8:9]
	s_or_b64 exec, exec, s[6:7]
	s_and_saveexec_b64 s[6:7], s[4:5]
	s_cbranch_execnz .LBB56_1859
	s_branch .LBB56_1860
.LBB56_3909:
	s_movk_i32 s4, 0x80
	v_cmp_eq_u16_sdwa s[12:13], v10, s4 src0_sel:BYTE_0 src1_sel:DWORD
	s_mov_b64 s[4:5], -1
                                        ; implicit-def: $sgpr10
	s_and_saveexec_b64 s[8:9], s[12:13]
; %bb.3910:
	s_mov_b32 s10, 0x7f800001
	s_xor_b64 s[4:5], exec, -1
; %bb.3911:
	s_or_b64 exec, exec, s[8:9]
	s_and_b64 s[4:5], s[4:5], exec
	s_or_saveexec_b64 s[6:7], s[6:7]
	v_mov_b32_e32 v9, s10
	s_xor_b64 exec, exec, s[6:7]
	s_cbranch_execz .LBB56_1862
.LBB56_3912:
	v_mov_b32_e32 v9, 0
	v_cmp_ne_u16_sdwa s[8:9], v10, v9 src0_sel:BYTE_0 src1_sel:DWORD
	s_andn2_b64 s[4:5], s[4:5], exec
	s_and_b64 s[8:9], s[8:9], exec
	s_or_b64 s[4:5], s[4:5], s[8:9]
	s_or_b64 exec, exec, s[6:7]
	s_and_saveexec_b64 s[6:7], s[4:5]
	s_cbranch_execnz .LBB56_1863
	s_branch .LBB56_1864
.LBB56_3913:
	s_movk_i32 s4, 0x80
	v_cmp_eq_u16_sdwa s[12:13], v9, s4 src0_sel:BYTE_0 src1_sel:DWORD
	s_mov_b64 s[4:5], -1
                                        ; implicit-def: $sgpr10
	s_and_saveexec_b64 s[8:9], s[12:13]
; %bb.3914:
	s_mov_b32 s10, 0x7f800001
	s_xor_b64 s[4:5], exec, -1
; %bb.3915:
	s_or_b64 exec, exec, s[8:9]
	s_and_b64 s[4:5], s[4:5], exec
	s_or_saveexec_b64 s[6:7], s[6:7]
	v_mov_b32_e32 v8, s10
	s_xor_b64 exec, exec, s[6:7]
	s_cbranch_execz .LBB56_1866
.LBB56_3916:
	v_mov_b32_e32 v8, 0
	v_cmp_ne_u16_sdwa s[8:9], v9, v8 src0_sel:BYTE_0 src1_sel:DWORD
	s_andn2_b64 s[4:5], s[4:5], exec
	s_and_b64 s[8:9], s[8:9], exec
	s_or_b64 s[4:5], s[4:5], s[8:9]
	s_or_b64 exec, exec, s[6:7]
	s_and_saveexec_b64 s[6:7], s[4:5]
	s_cbranch_execnz .LBB56_1867
	s_branch .LBB56_1868
.LBB56_3917:
	s_movk_i32 s4, 0x80
	v_cmp_eq_u16_sdwa s[12:13], v9, s4 src0_sel:BYTE_0 src1_sel:DWORD
	s_mov_b64 s[4:5], -1
                                        ; implicit-def: $sgpr10
	s_and_saveexec_b64 s[8:9], s[12:13]
; %bb.3918:
	s_mov_b32 s10, 0x7f800001
	s_xor_b64 s[4:5], exec, -1
; %bb.3919:
	s_or_b64 exec, exec, s[8:9]
	s_and_b64 s[4:5], s[4:5], exec
	s_or_saveexec_b64 s[6:7], s[6:7]
	v_mov_b32_e32 v12, s10
	s_xor_b64 exec, exec, s[6:7]
	s_cbranch_execz .LBB56_1870
.LBB56_3920:
	v_mov_b32_e32 v12, 0
	v_cmp_ne_u16_sdwa s[8:9], v9, v12 src0_sel:BYTE_0 src1_sel:DWORD
	s_andn2_b64 s[4:5], s[4:5], exec
	s_and_b64 s[8:9], s[8:9], exec
	s_or_b64 s[4:5], s[4:5], s[8:9]
	s_or_b64 exec, exec, s[6:7]
	s_and_saveexec_b64 s[6:7], s[4:5]
	s_cbranch_execnz .LBB56_1871
	s_branch .LBB56_1872
.LBB56_3921:
	s_movk_i32 s4, 0x80
	v_cmp_eq_u16_e32 vcc, s4, v9
	s_mov_b64 s[4:5], -1
                                        ; implicit-def: $sgpr10
	s_and_saveexec_b64 s[8:9], vcc
; %bb.3922:
	s_mov_b32 s10, 0x7f800001
	s_xor_b64 s[4:5], exec, -1
; %bb.3923:
	s_or_b64 exec, exec, s[8:9]
	s_and_b64 s[4:5], s[4:5], exec
                                        ; implicit-def: $vgpr9
	s_or_saveexec_b64 s[6:7], s[6:7]
	v_mov_b32_e32 v8, s10
	s_xor_b64 exec, exec, s[6:7]
	s_cbranch_execz .LBB56_1874
.LBB56_3924:
	v_cmp_ne_u16_e32 vcc, 0, v9
	s_andn2_b64 s[4:5], s[4:5], exec
	s_and_b64 s[8:9], vcc, exec
	v_mov_b32_e32 v8, 0
	s_or_b64 s[4:5], s[4:5], s[8:9]
	s_or_b64 exec, exec, s[6:7]
	s_and_saveexec_b64 s[6:7], s[4:5]
	s_cbranch_execnz .LBB56_1875
	s_branch .LBB56_1876
.LBB56_3925:
	s_movk_i32 s4, 0x80
	v_cmp_eq_u16_e32 vcc, s4, v9
	s_mov_b64 s[4:5], -1
                                        ; implicit-def: $sgpr10
	s_and_saveexec_b64 s[8:9], vcc
; %bb.3926:
	s_mov_b32 s10, 0x7f800001
	s_xor_b64 s[4:5], exec, -1
; %bb.3927:
	s_or_b64 exec, exec, s[8:9]
	s_and_b64 s[4:5], s[4:5], exec
                                        ; implicit-def: $vgpr9
	s_or_saveexec_b64 s[6:7], s[6:7]
	v_mov_b32_e32 v12, s10
	s_xor_b64 exec, exec, s[6:7]
	s_cbranch_execz .LBB56_1878
.LBB56_3928:
	v_cmp_ne_u16_e32 vcc, 0, v9
	s_andn2_b64 s[4:5], s[4:5], exec
	s_and_b64 s[8:9], vcc, exec
	v_mov_b32_e32 v12, 0
	s_or_b64 s[4:5], s[4:5], s[8:9]
	s_or_b64 exec, exec, s[6:7]
	s_and_saveexec_b64 s[6:7], s[4:5]
	s_cbranch_execnz .LBB56_1879
	s_branch .LBB56_1880
.LBB56_3929:
	s_movk_i32 s4, 0x80
	v_cmp_eq_u16_sdwa s[12:13], v14, s4 src0_sel:BYTE_3 src1_sel:DWORD
	s_mov_b64 s[4:5], -1
                                        ; implicit-def: $sgpr10
	s_and_saveexec_b64 s[8:9], s[12:13]
; %bb.3930:
	s_mov_b32 s10, 0x7f800001
	s_xor_b64 s[4:5], exec, -1
; %bb.3931:
	s_or_b64 exec, exec, s[8:9]
	s_and_b64 s[4:5], s[4:5], exec
	s_or_saveexec_b64 s[6:7], s[6:7]
	v_mov_b32_e32 v8, s10
	s_xor_b64 exec, exec, s[6:7]
	s_cbranch_execz .LBB56_1882
.LBB56_3932:
	v_mov_b32_e32 v8, 0
	v_cmp_ne_u16_sdwa s[8:9], v14, v8 src0_sel:BYTE_3 src1_sel:DWORD
	s_andn2_b64 s[4:5], s[4:5], exec
	s_and_b64 s[8:9], s[8:9], exec
	s_or_b64 s[4:5], s[4:5], s[8:9]
	s_or_b64 exec, exec, s[6:7]
	s_and_saveexec_b64 s[6:7], s[4:5]
	s_cbranch_execnz .LBB56_1883
	s_branch .LBB56_1884
.LBB56_3933:
	s_movk_i32 s4, 0x80
	v_cmp_eq_u16_sdwa s[12:13], v10, s4 src0_sel:BYTE_3 src1_sel:DWORD
	s_mov_b64 s[4:5], -1
                                        ; implicit-def: $sgpr10
	s_and_saveexec_b64 s[8:9], s[12:13]
; %bb.3934:
	s_mov_b32 s10, 0x7f800001
	s_xor_b64 s[4:5], exec, -1
; %bb.3935:
	s_or_b64 exec, exec, s[8:9]
	s_and_b64 s[4:5], s[4:5], exec
	s_or_saveexec_b64 s[6:7], s[6:7]
	v_mov_b32_e32 v9, s10
	s_xor_b64 exec, exec, s[6:7]
	s_cbranch_execz .LBB56_1886
.LBB56_3936:
	v_mov_b32_e32 v9, 0
	v_cmp_ne_u16_sdwa s[8:9], v10, v9 src0_sel:BYTE_3 src1_sel:DWORD
	s_andn2_b64 s[4:5], s[4:5], exec
	s_and_b64 s[8:9], s[8:9], exec
	s_or_b64 s[4:5], s[4:5], s[8:9]
	s_or_b64 exec, exec, s[6:7]
	s_and_saveexec_b64 s[6:7], s[4:5]
	s_cbranch_execnz .LBB56_1887
	s_branch .LBB56_1888
.LBB56_3937:
	s_movk_i32 s4, 0x80
	v_cmp_eq_u16_sdwa s[12:13], v15, s4 src0_sel:BYTE_0 src1_sel:DWORD
	s_mov_b64 s[4:5], -1
                                        ; implicit-def: $sgpr10
	s_and_saveexec_b64 s[8:9], s[12:13]
; %bb.3938:
	s_mov_b32 s10, 0x7f800001
	s_xor_b64 s[4:5], exec, -1
; %bb.3939:
	s_or_b64 exec, exec, s[8:9]
	s_and_b64 s[4:5], s[4:5], exec
	s_or_saveexec_b64 s[6:7], s[6:7]
	v_mov_b32_e32 v8, s10
	s_xor_b64 exec, exec, s[6:7]
	s_cbranch_execz .LBB56_1890
.LBB56_3940:
	v_mov_b32_e32 v8, 0
	v_cmp_ne_u16_sdwa s[8:9], v15, v8 src0_sel:BYTE_0 src1_sel:DWORD
	s_andn2_b64 s[4:5], s[4:5], exec
	s_and_b64 s[8:9], s[8:9], exec
	s_or_b64 s[4:5], s[4:5], s[8:9]
	s_or_b64 exec, exec, s[6:7]
	s_and_saveexec_b64 s[6:7], s[4:5]
	s_cbranch_execnz .LBB56_1891
	s_branch .LBB56_1892
.LBB56_3941:
	s_movk_i32 s4, 0x80
	v_cmp_eq_u16_sdwa s[12:13], v11, s4 src0_sel:BYTE_0 src1_sel:DWORD
	s_mov_b64 s[4:5], -1
                                        ; implicit-def: $sgpr10
	s_and_saveexec_b64 s[8:9], s[12:13]
; %bb.3942:
	s_mov_b32 s10, 0x7f800001
	s_xor_b64 s[4:5], exec, -1
; %bb.3943:
	s_or_b64 exec, exec, s[8:9]
	s_and_b64 s[4:5], s[4:5], exec
	s_or_saveexec_b64 s[6:7], s[6:7]
	v_mov_b32_e32 v9, s10
	s_xor_b64 exec, exec, s[6:7]
	s_cbranch_execz .LBB56_1894
.LBB56_3944:
	v_mov_b32_e32 v9, 0
	v_cmp_ne_u16_sdwa s[8:9], v11, v9 src0_sel:BYTE_0 src1_sel:DWORD
	s_andn2_b64 s[4:5], s[4:5], exec
	s_and_b64 s[8:9], s[8:9], exec
	s_or_b64 s[4:5], s[4:5], s[8:9]
	s_or_b64 exec, exec, s[6:7]
	s_and_saveexec_b64 s[6:7], s[4:5]
	s_cbranch_execnz .LBB56_1895
	s_branch .LBB56_1896
.LBB56_3945:
	s_movk_i32 s4, 0x80
	v_cmp_eq_u16_sdwa s[12:13], v9, s4 src0_sel:BYTE_0 src1_sel:DWORD
	s_mov_b64 s[4:5], -1
                                        ; implicit-def: $sgpr10
	s_and_saveexec_b64 s[8:9], s[12:13]
; %bb.3946:
	s_mov_b32 s10, 0x7f800001
	s_xor_b64 s[4:5], exec, -1
; %bb.3947:
	s_or_b64 exec, exec, s[8:9]
	s_and_b64 s[4:5], s[4:5], exec
	s_or_saveexec_b64 s[6:7], s[6:7]
	v_mov_b32_e32 v8, s10
	s_xor_b64 exec, exec, s[6:7]
	s_cbranch_execz .LBB56_1898
.LBB56_3948:
	v_mov_b32_e32 v8, 0
	v_cmp_ne_u16_sdwa s[8:9], v9, v8 src0_sel:BYTE_0 src1_sel:DWORD
	s_andn2_b64 s[4:5], s[4:5], exec
	s_and_b64 s[8:9], s[8:9], exec
	s_or_b64 s[4:5], s[4:5], s[8:9]
	s_or_b64 exec, exec, s[6:7]
	s_and_saveexec_b64 s[6:7], s[4:5]
	s_cbranch_execnz .LBB56_1899
	s_branch .LBB56_1900
.LBB56_3949:
	s_movk_i32 s4, 0x80
	v_cmp_eq_u16_sdwa s[12:13], v9, s4 src0_sel:BYTE_0 src1_sel:DWORD
	s_mov_b64 s[4:5], -1
                                        ; implicit-def: $sgpr10
	s_and_saveexec_b64 s[8:9], s[12:13]
; %bb.3950:
	s_mov_b32 s10, 0x7f800001
	s_xor_b64 s[4:5], exec, -1
; %bb.3951:
	s_or_b64 exec, exec, s[8:9]
	s_and_b64 s[4:5], s[4:5], exec
	s_or_saveexec_b64 s[6:7], s[6:7]
	v_mov_b32_e32 v10, s10
	s_xor_b64 exec, exec, s[6:7]
	s_cbranch_execz .LBB56_1902
.LBB56_3952:
	v_mov_b32_e32 v10, 0
	v_cmp_ne_u16_sdwa s[8:9], v9, v10 src0_sel:BYTE_0 src1_sel:DWORD
	s_andn2_b64 s[4:5], s[4:5], exec
	s_and_b64 s[8:9], s[8:9], exec
	s_or_b64 s[4:5], s[4:5], s[8:9]
	s_or_b64 exec, exec, s[6:7]
	s_and_saveexec_b64 s[6:7], s[4:5]
	s_cbranch_execnz .LBB56_1903
	s_branch .LBB56_1904
.LBB56_3953:
	s_movk_i32 s4, 0x80
	v_cmp_eq_u16_e32 vcc, s4, v9
	s_mov_b64 s[4:5], -1
                                        ; implicit-def: $sgpr10
	s_and_saveexec_b64 s[8:9], vcc
; %bb.3954:
	s_mov_b32 s10, 0x7f800001
	s_xor_b64 s[4:5], exec, -1
; %bb.3955:
	s_or_b64 exec, exec, s[8:9]
	s_and_b64 s[4:5], s[4:5], exec
                                        ; implicit-def: $vgpr9
	s_or_saveexec_b64 s[6:7], s[6:7]
	v_mov_b32_e32 v8, s10
	s_xor_b64 exec, exec, s[6:7]
	s_cbranch_execz .LBB56_1906
.LBB56_3956:
	v_cmp_ne_u16_e32 vcc, 0, v9
	s_andn2_b64 s[4:5], s[4:5], exec
	s_and_b64 s[8:9], vcc, exec
	v_mov_b32_e32 v8, 0
	s_or_b64 s[4:5], s[4:5], s[8:9]
	s_or_b64 exec, exec, s[6:7]
	s_and_saveexec_b64 s[6:7], s[4:5]
	s_cbranch_execnz .LBB56_1907
	s_branch .LBB56_1908
.LBB56_3957:
	s_movk_i32 s4, 0x80
	v_cmp_eq_u16_e32 vcc, s4, v9
	s_mov_b64 s[4:5], -1
                                        ; implicit-def: $sgpr10
	s_and_saveexec_b64 s[8:9], vcc
; %bb.3958:
	s_mov_b32 s10, 0x7f800001
	s_xor_b64 s[4:5], exec, -1
; %bb.3959:
	s_or_b64 exec, exec, s[8:9]
	s_and_b64 s[4:5], s[4:5], exec
                                        ; implicit-def: $vgpr9
	s_or_saveexec_b64 s[6:7], s[6:7]
	v_mov_b32_e32 v10, s10
	s_xor_b64 exec, exec, s[6:7]
	s_cbranch_execz .LBB56_1910
.LBB56_3960:
	v_cmp_ne_u16_e32 vcc, 0, v9
	s_andn2_b64 s[4:5], s[4:5], exec
	s_and_b64 s[8:9], vcc, exec
	v_mov_b32_e32 v10, 0
	s_or_b64 s[4:5], s[4:5], s[8:9]
	s_or_b64 exec, exec, s[6:7]
	s_and_saveexec_b64 s[6:7], s[4:5]
	s_cbranch_execnz .LBB56_1911
	s_branch .LBB56_1912
.LBB56_3961:
	s_movk_i32 s4, 0x80
	v_cmp_eq_u16_sdwa s[12:13], v15, s4 src0_sel:BYTE_3 src1_sel:DWORD
	s_mov_b64 s[4:5], -1
                                        ; implicit-def: $sgpr10
	s_and_saveexec_b64 s[8:9], s[12:13]
; %bb.3962:
	s_mov_b32 s10, 0x7f800001
	s_xor_b64 s[4:5], exec, -1
; %bb.3963:
	s_or_b64 exec, exec, s[8:9]
	s_and_b64 s[4:5], s[4:5], exec
	s_or_saveexec_b64 s[6:7], s[6:7]
	v_mov_b32_e32 v8, s10
	s_xor_b64 exec, exec, s[6:7]
	s_cbranch_execz .LBB56_1914
.LBB56_3964:
	v_mov_b32_e32 v8, 0
	v_cmp_ne_u16_sdwa s[8:9], v15, v8 src0_sel:BYTE_3 src1_sel:DWORD
	s_andn2_b64 s[4:5], s[4:5], exec
	s_and_b64 s[8:9], s[8:9], exec
	s_or_b64 s[4:5], s[4:5], s[8:9]
	s_or_b64 exec, exec, s[6:7]
	s_and_saveexec_b64 s[6:7], s[4:5]
	s_cbranch_execnz .LBB56_1915
	s_branch .LBB56_1916
.LBB56_3965:
	s_movk_i32 s4, 0x80
	v_cmp_eq_u16_sdwa s[12:13], v11, s4 src0_sel:BYTE_3 src1_sel:DWORD
	s_mov_b64 s[4:5], -1
                                        ; implicit-def: $sgpr10
	s_and_saveexec_b64 s[8:9], s[12:13]
; %bb.3966:
	s_mov_b32 s10, 0x7f800001
	s_xor_b64 s[4:5], exec, -1
; %bb.3967:
	s_or_b64 exec, exec, s[8:9]
	s_and_b64 s[4:5], s[4:5], exec
	s_or_saveexec_b64 s[6:7], s[6:7]
	v_mov_b32_e32 v9, s10
	s_xor_b64 exec, exec, s[6:7]
	s_cbranch_execz .LBB56_1918
.LBB56_3968:
	v_mov_b32_e32 v9, 0
	v_cmp_ne_u16_sdwa s[8:9], v11, v9 src0_sel:BYTE_3 src1_sel:DWORD
	s_andn2_b64 s[4:5], s[4:5], exec
	s_and_b64 s[8:9], s[8:9], exec
	s_or_b64 s[4:5], s[4:5], s[8:9]
	s_or_b64 exec, exec, s[6:7]
	s_and_saveexec_b64 s[6:7], s[4:5]
	s_cbranch_execnz .LBB56_1919
	s_branch .LBB56_1920
.LBB56_3969:
	s_movk_i32 s4, 0x80
	v_cmp_eq_u16_sdwa s[12:13], v4, s4 src0_sel:BYTE_0 src1_sel:DWORD
	s_mov_b64 s[4:5], -1
                                        ; implicit-def: $sgpr10
	s_and_saveexec_b64 s[8:9], s[12:13]
; %bb.3970:
	s_mov_b32 s10, 0x7f800001
	s_xor_b64 s[4:5], exec, -1
; %bb.3971:
	s_or_b64 exec, exec, s[8:9]
	s_and_b64 s[4:5], s[4:5], exec
	s_or_saveexec_b64 s[6:7], s[6:7]
	v_mov_b32_e32 v8, s10
	s_xor_b64 exec, exec, s[6:7]
	s_cbranch_execz .LBB56_1922
.LBB56_3972:
	v_mov_b32_e32 v8, 0
	v_cmp_ne_u16_sdwa s[8:9], v4, v8 src0_sel:BYTE_0 src1_sel:DWORD
	s_andn2_b64 s[4:5], s[4:5], exec
	s_and_b64 s[8:9], s[8:9], exec
	s_or_b64 s[4:5], s[4:5], s[8:9]
	s_or_b64 exec, exec, s[6:7]
	s_and_saveexec_b64 s[6:7], s[4:5]
	s_cbranch_execnz .LBB56_1923
	s_branch .LBB56_1924
.LBB56_3973:
	s_movk_i32 s4, 0x80
	v_cmp_eq_u16_sdwa s[12:13], v0, s4 src0_sel:BYTE_0 src1_sel:DWORD
	s_mov_b64 s[4:5], -1
                                        ; implicit-def: $sgpr10
	s_and_saveexec_b64 s[8:9], s[12:13]
; %bb.3974:
	s_mov_b32 s10, 0x7f800001
	s_xor_b64 s[4:5], exec, -1
; %bb.3975:
	s_or_b64 exec, exec, s[8:9]
	s_and_b64 s[4:5], s[4:5], exec
	s_or_saveexec_b64 s[6:7], s[6:7]
	v_mov_b32_e32 v9, s10
	s_xor_b64 exec, exec, s[6:7]
	s_cbranch_execz .LBB56_1926
.LBB56_3976:
	v_mov_b32_e32 v9, 0
	v_cmp_ne_u16_sdwa s[8:9], v0, v9 src0_sel:BYTE_0 src1_sel:DWORD
	s_andn2_b64 s[4:5], s[4:5], exec
	s_and_b64 s[8:9], s[8:9], exec
	s_or_b64 s[4:5], s[4:5], s[8:9]
	s_or_b64 exec, exec, s[6:7]
	s_and_saveexec_b64 s[6:7], s[4:5]
	s_cbranch_execnz .LBB56_1927
	s_branch .LBB56_1928
.LBB56_3977:
	s_movk_i32 s4, 0x80
	v_cmp_eq_u16_sdwa s[12:13], v9, s4 src0_sel:BYTE_0 src1_sel:DWORD
	s_mov_b64 s[4:5], -1
                                        ; implicit-def: $sgpr10
	s_and_saveexec_b64 s[8:9], s[12:13]
; %bb.3978:
	s_mov_b32 s10, 0x7f800001
	s_xor_b64 s[4:5], exec, -1
; %bb.3979:
	s_or_b64 exec, exec, s[8:9]
	s_and_b64 s[4:5], s[4:5], exec
	s_or_saveexec_b64 s[6:7], s[6:7]
	v_mov_b32_e32 v8, s10
	s_xor_b64 exec, exec, s[6:7]
	s_cbranch_execz .LBB56_1930
.LBB56_3980:
	v_mov_b32_e32 v8, 0
	v_cmp_ne_u16_sdwa s[8:9], v9, v8 src0_sel:BYTE_0 src1_sel:DWORD
	s_andn2_b64 s[4:5], s[4:5], exec
	s_and_b64 s[8:9], s[8:9], exec
	s_or_b64 s[4:5], s[4:5], s[8:9]
	s_or_b64 exec, exec, s[6:7]
	s_and_saveexec_b64 s[6:7], s[4:5]
	s_cbranch_execnz .LBB56_1931
	s_branch .LBB56_1932
.LBB56_3981:
	s_movk_i32 s4, 0x80
	v_cmp_eq_u16_sdwa s[12:13], v9, s4 src0_sel:BYTE_0 src1_sel:DWORD
	s_mov_b64 s[4:5], -1
                                        ; implicit-def: $sgpr10
	s_and_saveexec_b64 s[8:9], s[12:13]
; %bb.3982:
	s_mov_b32 s10, 0x7f800001
	s_xor_b64 s[4:5], exec, -1
; %bb.3983:
	s_or_b64 exec, exec, s[8:9]
	s_and_b64 s[4:5], s[4:5], exec
	s_or_saveexec_b64 s[6:7], s[6:7]
	v_mov_b32_e32 v10, s10
	s_xor_b64 exec, exec, s[6:7]
	s_cbranch_execz .LBB56_1934
.LBB56_3984:
	v_mov_b32_e32 v10, 0
	v_cmp_ne_u16_sdwa s[8:9], v9, v10 src0_sel:BYTE_0 src1_sel:DWORD
	s_andn2_b64 s[4:5], s[4:5], exec
	s_and_b64 s[8:9], s[8:9], exec
	s_or_b64 s[4:5], s[4:5], s[8:9]
	s_or_b64 exec, exec, s[6:7]
	s_and_saveexec_b64 s[6:7], s[4:5]
	s_cbranch_execnz .LBB56_1935
	s_branch .LBB56_1936
.LBB56_3985:
	s_movk_i32 s4, 0x80
	v_cmp_eq_u16_e32 vcc, s4, v9
	s_mov_b64 s[4:5], -1
                                        ; implicit-def: $sgpr10
	s_and_saveexec_b64 s[8:9], vcc
; %bb.3986:
	s_mov_b32 s10, 0x7f800001
	s_xor_b64 s[4:5], exec, -1
; %bb.3987:
	s_or_b64 exec, exec, s[8:9]
	s_and_b64 s[4:5], s[4:5], exec
                                        ; implicit-def: $vgpr9
	s_or_saveexec_b64 s[6:7], s[6:7]
	v_mov_b32_e32 v8, s10
	s_xor_b64 exec, exec, s[6:7]
	s_cbranch_execz .LBB56_1938
.LBB56_3988:
	v_cmp_ne_u16_e32 vcc, 0, v9
	s_andn2_b64 s[4:5], s[4:5], exec
	s_and_b64 s[8:9], vcc, exec
	v_mov_b32_e32 v8, 0
	s_or_b64 s[4:5], s[4:5], s[8:9]
	s_or_b64 exec, exec, s[6:7]
	s_and_saveexec_b64 s[6:7], s[4:5]
	s_cbranch_execnz .LBB56_1939
	s_branch .LBB56_1940
.LBB56_3989:
	s_movk_i32 s4, 0x80
	v_cmp_eq_u16_e32 vcc, s4, v9
	s_mov_b64 s[4:5], -1
                                        ; implicit-def: $sgpr10
	s_and_saveexec_b64 s[8:9], vcc
; %bb.3990:
	s_mov_b32 s10, 0x7f800001
	s_xor_b64 s[4:5], exec, -1
; %bb.3991:
	s_or_b64 exec, exec, s[8:9]
	s_and_b64 s[4:5], s[4:5], exec
                                        ; implicit-def: $vgpr9
	s_or_saveexec_b64 s[6:7], s[6:7]
	v_mov_b32_e32 v10, s10
	s_xor_b64 exec, exec, s[6:7]
	s_cbranch_execz .LBB56_1942
.LBB56_3992:
	v_cmp_ne_u16_e32 vcc, 0, v9
	s_andn2_b64 s[4:5], s[4:5], exec
	s_and_b64 s[8:9], vcc, exec
	v_mov_b32_e32 v10, 0
	s_or_b64 s[4:5], s[4:5], s[8:9]
	s_or_b64 exec, exec, s[6:7]
	s_and_saveexec_b64 s[6:7], s[4:5]
	s_cbranch_execnz .LBB56_1943
	s_branch .LBB56_1944
.LBB56_3993:
	s_movk_i32 s4, 0x80
	v_cmp_eq_u16_sdwa s[12:13], v4, s4 src0_sel:BYTE_3 src1_sel:DWORD
	s_mov_b64 s[4:5], -1
                                        ; implicit-def: $sgpr10
	s_and_saveexec_b64 s[8:9], s[12:13]
; %bb.3994:
	s_mov_b32 s10, 0x7f800001
	s_xor_b64 s[4:5], exec, -1
; %bb.3995:
	s_or_b64 exec, exec, s[8:9]
	s_and_b64 s[4:5], s[4:5], exec
	s_or_saveexec_b64 s[6:7], s[6:7]
	v_mov_b32_e32 v8, s10
	s_xor_b64 exec, exec, s[6:7]
	s_cbranch_execz .LBB56_1946
.LBB56_3996:
	v_mov_b32_e32 v8, 0
	v_cmp_ne_u16_sdwa s[8:9], v4, v8 src0_sel:BYTE_3 src1_sel:DWORD
	s_andn2_b64 s[4:5], s[4:5], exec
	s_and_b64 s[8:9], s[8:9], exec
	s_or_b64 s[4:5], s[4:5], s[8:9]
	s_or_b64 exec, exec, s[6:7]
	s_and_saveexec_b64 s[6:7], s[4:5]
	s_cbranch_execnz .LBB56_1947
	s_branch .LBB56_1948
.LBB56_3997:
	s_movk_i32 s4, 0x80
	v_cmp_eq_u16_sdwa s[12:13], v0, s4 src0_sel:BYTE_3 src1_sel:DWORD
	s_mov_b64 s[4:5], -1
                                        ; implicit-def: $sgpr10
	s_and_saveexec_b64 s[8:9], s[12:13]
; %bb.3998:
	s_mov_b32 s10, 0x7f800001
	s_xor_b64 s[4:5], exec, -1
; %bb.3999:
	s_or_b64 exec, exec, s[8:9]
	s_and_b64 s[4:5], s[4:5], exec
	s_or_saveexec_b64 s[6:7], s[6:7]
	v_mov_b32_e32 v4, s10
	s_xor_b64 exec, exec, s[6:7]
	s_cbranch_execz .LBB56_1950
.LBB56_4000:
	v_mov_b32_e32 v4, 0
	v_cmp_ne_u16_sdwa s[8:9], v0, v4 src0_sel:BYTE_3 src1_sel:DWORD
	s_andn2_b64 s[4:5], s[4:5], exec
	s_and_b64 s[8:9], s[8:9], exec
	s_or_b64 s[4:5], s[4:5], s[8:9]
	s_or_b64 exec, exec, s[6:7]
	s_and_saveexec_b64 s[6:7], s[4:5]
	s_cbranch_execnz .LBB56_1951
	s_branch .LBB56_1952
.LBB56_4001:
	s_movk_i32 s4, 0x80
	v_cmp_eq_u16_sdwa s[12:13], v5, s4 src0_sel:BYTE_0 src1_sel:DWORD
	s_mov_b64 s[4:5], -1
                                        ; implicit-def: $sgpr10
	s_and_saveexec_b64 s[8:9], s[12:13]
; %bb.4002:
	s_mov_b32 s10, 0x7f800001
	s_xor_b64 s[4:5], exec, -1
; %bb.4003:
	s_or_b64 exec, exec, s[8:9]
	s_and_b64 s[4:5], s[4:5], exec
	s_or_saveexec_b64 s[6:7], s[6:7]
	v_mov_b32_e32 v0, s10
	s_xor_b64 exec, exec, s[6:7]
	s_cbranch_execz .LBB56_1954
.LBB56_4004:
	v_mov_b32_e32 v0, 0
	v_cmp_ne_u16_sdwa s[8:9], v5, v0 src0_sel:BYTE_0 src1_sel:DWORD
	s_andn2_b64 s[4:5], s[4:5], exec
	s_and_b64 s[8:9], s[8:9], exec
	s_or_b64 s[4:5], s[4:5], s[8:9]
	s_or_b64 exec, exec, s[6:7]
	s_and_saveexec_b64 s[6:7], s[4:5]
	s_cbranch_execnz .LBB56_1955
	s_branch .LBB56_1956
.LBB56_4005:
	s_movk_i32 s4, 0x80
	v_cmp_eq_u16_sdwa s[12:13], v1, s4 src0_sel:BYTE_0 src1_sel:DWORD
	s_mov_b64 s[4:5], -1
                                        ; implicit-def: $sgpr10
	s_and_saveexec_b64 s[8:9], s[12:13]
; %bb.4006:
	s_mov_b32 s10, 0x7f800001
	s_xor_b64 s[4:5], exec, -1
; %bb.4007:
	s_or_b64 exec, exec, s[8:9]
	s_and_b64 s[4:5], s[4:5], exec
	s_or_saveexec_b64 s[6:7], s[6:7]
	v_mov_b32_e32 v4, s10
	s_xor_b64 exec, exec, s[6:7]
	s_cbranch_execz .LBB56_1958
.LBB56_4008:
	v_mov_b32_e32 v4, 0
	v_cmp_ne_u16_sdwa s[8:9], v1, v4 src0_sel:BYTE_0 src1_sel:DWORD
	s_andn2_b64 s[4:5], s[4:5], exec
	s_and_b64 s[8:9], s[8:9], exec
	s_or_b64 s[4:5], s[4:5], s[8:9]
	s_or_b64 exec, exec, s[6:7]
	s_and_saveexec_b64 s[6:7], s[4:5]
	s_cbranch_execnz .LBB56_1959
	s_branch .LBB56_1960
.LBB56_4009:
	s_movk_i32 s4, 0x80
	v_cmp_eq_u16_sdwa s[12:13], v4, s4 src0_sel:BYTE_0 src1_sel:DWORD
	s_mov_b64 s[4:5], -1
                                        ; implicit-def: $sgpr10
	s_and_saveexec_b64 s[8:9], s[12:13]
; %bb.4010:
	s_mov_b32 s10, 0x7f800001
	s_xor_b64 s[4:5], exec, -1
; %bb.4011:
	s_or_b64 exec, exec, s[8:9]
	s_and_b64 s[4:5], s[4:5], exec
	s_or_saveexec_b64 s[6:7], s[6:7]
	v_mov_b32_e32 v0, s10
	s_xor_b64 exec, exec, s[6:7]
	s_cbranch_execz .LBB56_1962
.LBB56_4012:
	v_mov_b32_e32 v0, 0
	v_cmp_ne_u16_sdwa s[8:9], v4, v0 src0_sel:BYTE_0 src1_sel:DWORD
	s_andn2_b64 s[4:5], s[4:5], exec
	s_and_b64 s[8:9], s[8:9], exec
	s_or_b64 s[4:5], s[4:5], s[8:9]
	s_or_b64 exec, exec, s[6:7]
	s_and_saveexec_b64 s[6:7], s[4:5]
	s_cbranch_execnz .LBB56_1963
	s_branch .LBB56_1964
.LBB56_4013:
	s_movk_i32 s4, 0x80
	v_cmp_eq_u16_sdwa s[12:13], v4, s4 src0_sel:BYTE_0 src1_sel:DWORD
	s_mov_b64 s[4:5], -1
                                        ; implicit-def: $sgpr10
	s_and_saveexec_b64 s[8:9], s[12:13]
; %bb.4014:
	s_mov_b32 s10, 0x7f800001
	s_xor_b64 s[4:5], exec, -1
; %bb.4015:
	s_or_b64 exec, exec, s[8:9]
	s_and_b64 s[4:5], s[4:5], exec
	s_or_saveexec_b64 s[6:7], s[6:7]
	v_mov_b32_e32 v8, s10
	s_xor_b64 exec, exec, s[6:7]
	s_cbranch_execz .LBB56_1966
.LBB56_4016:
	v_mov_b32_e32 v8, 0
	v_cmp_ne_u16_sdwa s[8:9], v4, v8 src0_sel:BYTE_0 src1_sel:DWORD
	s_andn2_b64 s[4:5], s[4:5], exec
	s_and_b64 s[8:9], s[8:9], exec
	s_or_b64 s[4:5], s[4:5], s[8:9]
	s_or_b64 exec, exec, s[6:7]
	s_and_saveexec_b64 s[6:7], s[4:5]
	s_cbranch_execnz .LBB56_1967
	s_branch .LBB56_1968
.LBB56_4017:
	s_movk_i32 s4, 0x80
	v_cmp_eq_u16_e32 vcc, s4, v4
	s_mov_b64 s[4:5], -1
                                        ; implicit-def: $sgpr10
	s_and_saveexec_b64 s[8:9], vcc
; %bb.4018:
	s_mov_b32 s10, 0x7f800001
	s_xor_b64 s[4:5], exec, -1
; %bb.4019:
	s_or_b64 exec, exec, s[8:9]
	s_and_b64 s[4:5], s[4:5], exec
                                        ; implicit-def: $vgpr4
	s_or_saveexec_b64 s[6:7], s[6:7]
	v_mov_b32_e32 v0, s10
	s_xor_b64 exec, exec, s[6:7]
	s_cbranch_execz .LBB56_1970
.LBB56_4020:
	v_cmp_ne_u16_e32 vcc, 0, v4
	s_andn2_b64 s[4:5], s[4:5], exec
	s_and_b64 s[8:9], vcc, exec
	v_mov_b32_e32 v0, 0
	s_or_b64 s[4:5], s[4:5], s[8:9]
	s_or_b64 exec, exec, s[6:7]
	s_and_saveexec_b64 s[6:7], s[4:5]
	s_cbranch_execnz .LBB56_1971
	s_branch .LBB56_1972
.LBB56_4021:
	s_movk_i32 s4, 0x80
	v_cmp_eq_u16_e32 vcc, s4, v4
	s_mov_b64 s[4:5], -1
                                        ; implicit-def: $sgpr10
	s_and_saveexec_b64 s[8:9], vcc
; %bb.4022:
	s_mov_b32 s10, 0x7f800001
	s_xor_b64 s[4:5], exec, -1
; %bb.4023:
	s_or_b64 exec, exec, s[8:9]
	s_and_b64 s[4:5], s[4:5], exec
                                        ; implicit-def: $vgpr4
	s_or_saveexec_b64 s[6:7], s[6:7]
	v_mov_b32_e32 v8, s10
	s_xor_b64 exec, exec, s[6:7]
	s_cbranch_execz .LBB56_1974
.LBB56_4024:
	v_cmp_ne_u16_e32 vcc, 0, v4
	s_andn2_b64 s[4:5], s[4:5], exec
	s_and_b64 s[8:9], vcc, exec
	v_mov_b32_e32 v8, 0
	s_or_b64 s[4:5], s[4:5], s[8:9]
	s_or_b64 exec, exec, s[6:7]
	s_and_saveexec_b64 s[6:7], s[4:5]
	s_cbranch_execnz .LBB56_1975
	s_branch .LBB56_1976
.LBB56_4025:
	s_movk_i32 s4, 0x80
	v_cmp_eq_u16_sdwa s[12:13], v5, s4 src0_sel:BYTE_3 src1_sel:DWORD
	s_mov_b64 s[4:5], -1
                                        ; implicit-def: $sgpr10
	s_and_saveexec_b64 s[8:9], s[12:13]
; %bb.4026:
	s_mov_b32 s10, 0x7f800001
	s_xor_b64 s[4:5], exec, -1
; %bb.4027:
	s_or_b64 exec, exec, s[8:9]
	s_and_b64 s[4:5], s[4:5], exec
	s_or_saveexec_b64 s[6:7], s[6:7]
	v_mov_b32_e32 v0, s10
	s_xor_b64 exec, exec, s[6:7]
	s_cbranch_execz .LBB56_1978
.LBB56_4028:
	v_mov_b32_e32 v0, 0
	v_cmp_ne_u16_sdwa s[8:9], v5, v0 src0_sel:BYTE_3 src1_sel:DWORD
	s_andn2_b64 s[4:5], s[4:5], exec
	s_and_b64 s[8:9], s[8:9], exec
	s_or_b64 s[4:5], s[4:5], s[8:9]
	s_or_b64 exec, exec, s[6:7]
	s_and_saveexec_b64 s[6:7], s[4:5]
	s_cbranch_execnz .LBB56_1979
	s_branch .LBB56_1980
.LBB56_4029:
	s_movk_i32 s4, 0x80
	v_cmp_eq_u16_sdwa s[12:13], v1, s4 src0_sel:BYTE_3 src1_sel:DWORD
	s_mov_b64 s[4:5], -1
                                        ; implicit-def: $sgpr10
	s_and_saveexec_b64 s[8:9], s[12:13]
; %bb.4030:
	s_mov_b32 s10, 0x7f800001
	s_xor_b64 s[4:5], exec, -1
; %bb.4031:
	s_or_b64 exec, exec, s[8:9]
	s_and_b64 s[4:5], s[4:5], exec
	s_or_saveexec_b64 s[6:7], s[6:7]
	v_mov_b32_e32 v4, s10
	s_xor_b64 exec, exec, s[6:7]
	s_cbranch_execz .LBB56_1982
.LBB56_4032:
	v_mov_b32_e32 v4, 0
	v_cmp_ne_u16_sdwa s[8:9], v1, v4 src0_sel:BYTE_3 src1_sel:DWORD
	s_andn2_b64 s[4:5], s[4:5], exec
	s_and_b64 s[8:9], s[8:9], exec
	s_or_b64 s[4:5], s[4:5], s[8:9]
	s_or_b64 exec, exec, s[6:7]
	s_and_saveexec_b64 s[6:7], s[4:5]
	s_cbranch_execnz .LBB56_1983
	s_branch .LBB56_1984
.LBB56_4033:
	s_movk_i32 s4, 0x80
	v_cmp_eq_u16_sdwa s[12:13], v6, s4 src0_sel:BYTE_0 src1_sel:DWORD
	s_mov_b64 s[4:5], -1
                                        ; implicit-def: $sgpr10
	s_and_saveexec_b64 s[8:9], s[12:13]
; %bb.4034:
	s_mov_b32 s10, 0x7f800001
	s_xor_b64 s[4:5], exec, -1
; %bb.4035:
	s_or_b64 exec, exec, s[8:9]
	s_and_b64 s[4:5], s[4:5], exec
	s_or_saveexec_b64 s[6:7], s[6:7]
	v_mov_b32_e32 v0, s10
	s_xor_b64 exec, exec, s[6:7]
	s_cbranch_execz .LBB56_1986
.LBB56_4036:
	v_mov_b32_e32 v0, 0
	v_cmp_ne_u16_sdwa s[8:9], v6, v0 src0_sel:BYTE_0 src1_sel:DWORD
	s_andn2_b64 s[4:5], s[4:5], exec
	s_and_b64 s[8:9], s[8:9], exec
	s_or_b64 s[4:5], s[4:5], s[8:9]
	s_or_b64 exec, exec, s[6:7]
	s_and_saveexec_b64 s[6:7], s[4:5]
	s_cbranch_execnz .LBB56_1987
	s_branch .LBB56_1988
.LBB56_4037:
	s_movk_i32 s4, 0x80
	v_cmp_eq_u16_sdwa s[12:13], v2, s4 src0_sel:BYTE_0 src1_sel:DWORD
	s_mov_b64 s[4:5], -1
                                        ; implicit-def: $sgpr10
	s_and_saveexec_b64 s[8:9], s[12:13]
; %bb.4038:
	s_mov_b32 s10, 0x7f800001
	s_xor_b64 s[4:5], exec, -1
; %bb.4039:
	s_or_b64 exec, exec, s[8:9]
	s_and_b64 s[4:5], s[4:5], exec
	s_or_saveexec_b64 s[6:7], s[6:7]
	v_mov_b32_e32 v1, s10
	s_xor_b64 exec, exec, s[6:7]
	s_cbranch_execz .LBB56_1990
.LBB56_4040:
	v_mov_b32_e32 v1, 0
	v_cmp_ne_u16_sdwa s[8:9], v2, v1 src0_sel:BYTE_0 src1_sel:DWORD
	s_andn2_b64 s[4:5], s[4:5], exec
	s_and_b64 s[8:9], s[8:9], exec
	s_or_b64 s[4:5], s[4:5], s[8:9]
	s_or_b64 exec, exec, s[6:7]
	s_and_saveexec_b64 s[6:7], s[4:5]
	s_cbranch_execnz .LBB56_1991
	s_branch .LBB56_1992
.LBB56_4041:
	s_movk_i32 s4, 0x80
	v_cmp_eq_u16_sdwa s[12:13], v1, s4 src0_sel:BYTE_0 src1_sel:DWORD
	s_mov_b64 s[4:5], -1
                                        ; implicit-def: $sgpr10
	s_and_saveexec_b64 s[8:9], s[12:13]
; %bb.4042:
	s_mov_b32 s10, 0x7f800001
	s_xor_b64 s[4:5], exec, -1
; %bb.4043:
	s_or_b64 exec, exec, s[8:9]
	s_and_b64 s[4:5], s[4:5], exec
	s_or_saveexec_b64 s[6:7], s[6:7]
	v_mov_b32_e32 v0, s10
	s_xor_b64 exec, exec, s[6:7]
	s_cbranch_execz .LBB56_1994
.LBB56_4044:
	v_mov_b32_e32 v0, 0
	v_cmp_ne_u16_sdwa s[8:9], v1, v0 src0_sel:BYTE_0 src1_sel:DWORD
	s_andn2_b64 s[4:5], s[4:5], exec
	s_and_b64 s[8:9], s[8:9], exec
	s_or_b64 s[4:5], s[4:5], s[8:9]
	s_or_b64 exec, exec, s[6:7]
	s_and_saveexec_b64 s[6:7], s[4:5]
	s_cbranch_execnz .LBB56_1995
	s_branch .LBB56_1996
.LBB56_4045:
	s_movk_i32 s4, 0x80
	v_cmp_eq_u16_sdwa s[12:13], v1, s4 src0_sel:BYTE_0 src1_sel:DWORD
	s_mov_b64 s[4:5], -1
                                        ; implicit-def: $sgpr10
	s_and_saveexec_b64 s[8:9], s[12:13]
; %bb.4046:
	s_mov_b32 s10, 0x7f800001
	s_xor_b64 s[4:5], exec, -1
; %bb.4047:
	s_or_b64 exec, exec, s[8:9]
	s_and_b64 s[4:5], s[4:5], exec
	s_or_saveexec_b64 s[6:7], s[6:7]
	v_mov_b32_e32 v4, s10
	s_xor_b64 exec, exec, s[6:7]
	s_cbranch_execz .LBB56_1998
.LBB56_4048:
	v_mov_b32_e32 v4, 0
	v_cmp_ne_u16_sdwa s[8:9], v1, v4 src0_sel:BYTE_0 src1_sel:DWORD
	s_andn2_b64 s[4:5], s[4:5], exec
	s_and_b64 s[8:9], s[8:9], exec
	s_or_b64 s[4:5], s[4:5], s[8:9]
	s_or_b64 exec, exec, s[6:7]
	s_and_saveexec_b64 s[6:7], s[4:5]
	s_cbranch_execnz .LBB56_1999
	s_branch .LBB56_2000
.LBB56_4049:
	s_movk_i32 s4, 0x80
	v_cmp_eq_u16_e32 vcc, s4, v1
	s_mov_b64 s[4:5], -1
                                        ; implicit-def: $sgpr10
	s_and_saveexec_b64 s[8:9], vcc
; %bb.4050:
	s_mov_b32 s10, 0x7f800001
	s_xor_b64 s[4:5], exec, -1
; %bb.4051:
	s_or_b64 exec, exec, s[8:9]
	s_and_b64 s[4:5], s[4:5], exec
                                        ; implicit-def: $vgpr1
	s_or_saveexec_b64 s[6:7], s[6:7]
	v_mov_b32_e32 v0, s10
	s_xor_b64 exec, exec, s[6:7]
	s_cbranch_execz .LBB56_2002
.LBB56_4052:
	v_cmp_ne_u16_e32 vcc, 0, v1
	s_andn2_b64 s[4:5], s[4:5], exec
	s_and_b64 s[8:9], vcc, exec
	v_mov_b32_e32 v0, 0
	s_or_b64 s[4:5], s[4:5], s[8:9]
	s_or_b64 exec, exec, s[6:7]
	s_and_saveexec_b64 s[6:7], s[4:5]
	s_cbranch_execnz .LBB56_2003
	s_branch .LBB56_2004
.LBB56_4053:
	s_movk_i32 s4, 0x80
	v_cmp_eq_u16_e32 vcc, s4, v1
	s_mov_b64 s[4:5], -1
                                        ; implicit-def: $sgpr10
	s_and_saveexec_b64 s[8:9], vcc
; %bb.4054:
	s_mov_b32 s10, 0x7f800001
	s_xor_b64 s[4:5], exec, -1
; %bb.4055:
	s_or_b64 exec, exec, s[8:9]
	s_and_b64 s[4:5], s[4:5], exec
                                        ; implicit-def: $vgpr1
	s_or_saveexec_b64 s[6:7], s[6:7]
	v_mov_b32_e32 v4, s10
	s_xor_b64 exec, exec, s[6:7]
	s_cbranch_execz .LBB56_2006
.LBB56_4056:
	v_cmp_ne_u16_e32 vcc, 0, v1
	s_andn2_b64 s[4:5], s[4:5], exec
	s_and_b64 s[8:9], vcc, exec
	v_mov_b32_e32 v4, 0
	s_or_b64 s[4:5], s[4:5], s[8:9]
	s_or_b64 exec, exec, s[6:7]
	s_and_saveexec_b64 s[6:7], s[4:5]
	s_cbranch_execnz .LBB56_2007
	s_branch .LBB56_2008
.LBB56_4057:
	s_movk_i32 s4, 0x80
	v_cmp_eq_u16_sdwa s[12:13], v6, s4 src0_sel:BYTE_3 src1_sel:DWORD
	s_mov_b64 s[4:5], -1
                                        ; implicit-def: $sgpr10
	s_and_saveexec_b64 s[8:9], s[12:13]
; %bb.4058:
	s_mov_b32 s10, 0x7f800001
	s_xor_b64 s[4:5], exec, -1
; %bb.4059:
	s_or_b64 exec, exec, s[8:9]
	s_and_b64 s[4:5], s[4:5], exec
	s_or_saveexec_b64 s[6:7], s[6:7]
	v_mov_b32_e32 v0, s10
	s_xor_b64 exec, exec, s[6:7]
	s_cbranch_execz .LBB56_2010
.LBB56_4060:
	v_mov_b32_e32 v0, 0
	v_cmp_ne_u16_sdwa s[8:9], v6, v0 src0_sel:BYTE_3 src1_sel:DWORD
	s_andn2_b64 s[4:5], s[4:5], exec
	s_and_b64 s[8:9], s[8:9], exec
	s_or_b64 s[4:5], s[4:5], s[8:9]
	s_or_b64 exec, exec, s[6:7]
	s_and_saveexec_b64 s[6:7], s[4:5]
	s_cbranch_execnz .LBB56_2011
	s_branch .LBB56_2012
.LBB56_4061:
	s_movk_i32 s4, 0x80
	v_cmp_eq_u16_sdwa s[12:13], v2, s4 src0_sel:BYTE_3 src1_sel:DWORD
	s_mov_b64 s[4:5], -1
                                        ; implicit-def: $sgpr10
	s_and_saveexec_b64 s[8:9], s[12:13]
; %bb.4062:
	s_mov_b32 s10, 0x7f800001
	s_xor_b64 s[4:5], exec, -1
; %bb.4063:
	s_or_b64 exec, exec, s[8:9]
	s_and_b64 s[4:5], s[4:5], exec
	s_or_saveexec_b64 s[6:7], s[6:7]
	v_mov_b32_e32 v1, s10
	s_xor_b64 exec, exec, s[6:7]
	s_cbranch_execz .LBB56_2014
.LBB56_4064:
	v_mov_b32_e32 v1, 0
	v_cmp_ne_u16_sdwa s[8:9], v2, v1 src0_sel:BYTE_3 src1_sel:DWORD
	s_andn2_b64 s[4:5], s[4:5], exec
	s_and_b64 s[8:9], s[8:9], exec
	s_or_b64 s[4:5], s[4:5], s[8:9]
	s_or_b64 exec, exec, s[6:7]
	s_and_saveexec_b64 s[6:7], s[4:5]
	s_cbranch_execnz .LBB56_2015
	s_branch .LBB56_2016
.LBB56_4065:
	s_movk_i32 s4, 0x80
	v_cmp_eq_u16_sdwa s[12:13], v7, s4 src0_sel:BYTE_0 src1_sel:DWORD
	s_mov_b64 s[4:5], -1
                                        ; implicit-def: $sgpr10
	s_and_saveexec_b64 s[8:9], s[12:13]
; %bb.4066:
	s_mov_b32 s10, 0x7f800001
	s_xor_b64 s[4:5], exec, -1
; %bb.4067:
	s_or_b64 exec, exec, s[8:9]
	s_and_b64 s[4:5], s[4:5], exec
	s_or_saveexec_b64 s[6:7], s[6:7]
	v_mov_b32_e32 v0, s10
	s_xor_b64 exec, exec, s[6:7]
	s_cbranch_execz .LBB56_2018
.LBB56_4068:
	v_mov_b32_e32 v0, 0
	v_cmp_ne_u16_sdwa s[8:9], v7, v0 src0_sel:BYTE_0 src1_sel:DWORD
	s_andn2_b64 s[4:5], s[4:5], exec
	s_and_b64 s[8:9], s[8:9], exec
	s_or_b64 s[4:5], s[4:5], s[8:9]
	s_or_b64 exec, exec, s[6:7]
	s_and_saveexec_b64 s[6:7], s[4:5]
	s_cbranch_execnz .LBB56_2019
	s_branch .LBB56_2020
.LBB56_4069:
	s_movk_i32 s4, 0x80
	v_cmp_eq_u16_sdwa s[12:13], v3, s4 src0_sel:BYTE_0 src1_sel:DWORD
	s_mov_b64 s[4:5], -1
                                        ; implicit-def: $sgpr10
	s_and_saveexec_b64 s[8:9], s[12:13]
; %bb.4070:
	s_mov_b32 s10, 0x7f800001
	s_xor_b64 s[4:5], exec, -1
; %bb.4071:
	s_or_b64 exec, exec, s[8:9]
	s_and_b64 s[4:5], s[4:5], exec
	s_or_saveexec_b64 s[6:7], s[6:7]
	v_mov_b32_e32 v1, s10
	s_xor_b64 exec, exec, s[6:7]
	s_cbranch_execz .LBB56_2022
.LBB56_4072:
	v_mov_b32_e32 v1, 0
	v_cmp_ne_u16_sdwa s[8:9], v3, v1 src0_sel:BYTE_0 src1_sel:DWORD
	s_andn2_b64 s[4:5], s[4:5], exec
	s_and_b64 s[8:9], s[8:9], exec
	s_or_b64 s[4:5], s[4:5], s[8:9]
	s_or_b64 exec, exec, s[6:7]
	s_and_saveexec_b64 s[6:7], s[4:5]
	s_cbranch_execnz .LBB56_2023
	s_branch .LBB56_2024
.LBB56_4073:
	s_movk_i32 s4, 0x80
	v_cmp_eq_u16_sdwa s[12:13], v1, s4 src0_sel:BYTE_0 src1_sel:DWORD
	s_mov_b64 s[4:5], -1
                                        ; implicit-def: $sgpr10
	s_and_saveexec_b64 s[8:9], s[12:13]
; %bb.4074:
	s_mov_b32 s10, 0x7f800001
	s_xor_b64 s[4:5], exec, -1
; %bb.4075:
	s_or_b64 exec, exec, s[8:9]
	s_and_b64 s[4:5], s[4:5], exec
	s_or_saveexec_b64 s[6:7], s[6:7]
	v_mov_b32_e32 v0, s10
	s_xor_b64 exec, exec, s[6:7]
	s_cbranch_execz .LBB56_2026
.LBB56_4076:
	v_mov_b32_e32 v0, 0
	v_cmp_ne_u16_sdwa s[8:9], v1, v0 src0_sel:BYTE_0 src1_sel:DWORD
	s_andn2_b64 s[4:5], s[4:5], exec
	s_and_b64 s[8:9], s[8:9], exec
	s_or_b64 s[4:5], s[4:5], s[8:9]
	s_or_b64 exec, exec, s[6:7]
	s_and_saveexec_b64 s[6:7], s[4:5]
	s_cbranch_execnz .LBB56_2027
	s_branch .LBB56_2028
.LBB56_4077:
	s_movk_i32 s4, 0x80
	v_cmp_eq_u16_sdwa s[12:13], v1, s4 src0_sel:BYTE_0 src1_sel:DWORD
	s_mov_b64 s[4:5], -1
                                        ; implicit-def: $sgpr10
	s_and_saveexec_b64 s[8:9], s[12:13]
; %bb.4078:
	s_mov_b32 s10, 0x7f800001
	s_xor_b64 s[4:5], exec, -1
; %bb.4079:
	s_or_b64 exec, exec, s[8:9]
	s_and_b64 s[4:5], s[4:5], exec
	s_or_saveexec_b64 s[6:7], s[6:7]
	v_mov_b32_e32 v2, s10
	s_xor_b64 exec, exec, s[6:7]
	s_cbranch_execz .LBB56_2030
.LBB56_4080:
	v_mov_b32_e32 v2, 0
	v_cmp_ne_u16_sdwa s[8:9], v1, v2 src0_sel:BYTE_0 src1_sel:DWORD
	s_andn2_b64 s[4:5], s[4:5], exec
	s_and_b64 s[8:9], s[8:9], exec
	s_or_b64 s[4:5], s[4:5], s[8:9]
	s_or_b64 exec, exec, s[6:7]
	s_and_saveexec_b64 s[6:7], s[4:5]
	s_cbranch_execnz .LBB56_2031
	s_branch .LBB56_2032
.LBB56_4081:
	s_movk_i32 s4, 0x80
	v_cmp_eq_u16_e32 vcc, s4, v1
	s_mov_b64 s[4:5], -1
                                        ; implicit-def: $sgpr10
	s_and_saveexec_b64 s[8:9], vcc
; %bb.4082:
	s_mov_b32 s10, 0x7f800001
	s_xor_b64 s[4:5], exec, -1
; %bb.4083:
	s_or_b64 exec, exec, s[8:9]
	s_and_b64 s[4:5], s[4:5], exec
                                        ; implicit-def: $vgpr1
	s_or_saveexec_b64 s[6:7], s[6:7]
	v_mov_b32_e32 v0, s10
	s_xor_b64 exec, exec, s[6:7]
	s_cbranch_execz .LBB56_2034
.LBB56_4084:
	v_cmp_ne_u16_e32 vcc, 0, v1
	s_andn2_b64 s[4:5], s[4:5], exec
	s_and_b64 s[8:9], vcc, exec
	v_mov_b32_e32 v0, 0
	s_or_b64 s[4:5], s[4:5], s[8:9]
	s_or_b64 exec, exec, s[6:7]
	s_and_saveexec_b64 s[6:7], s[4:5]
	s_cbranch_execnz .LBB56_2035
	s_branch .LBB56_2036
.LBB56_4085:
	s_movk_i32 s4, 0x80
	v_cmp_eq_u16_e32 vcc, s4, v1
	s_mov_b64 s[4:5], -1
                                        ; implicit-def: $sgpr10
	s_and_saveexec_b64 s[8:9], vcc
; %bb.4086:
	s_mov_b32 s10, 0x7f800001
	s_xor_b64 s[4:5], exec, -1
; %bb.4087:
	s_or_b64 exec, exec, s[8:9]
	s_and_b64 s[4:5], s[4:5], exec
                                        ; implicit-def: $vgpr1
	s_or_saveexec_b64 s[6:7], s[6:7]
	v_mov_b32_e32 v2, s10
	s_xor_b64 exec, exec, s[6:7]
	s_cbranch_execz .LBB56_2038
.LBB56_4088:
	v_cmp_ne_u16_e32 vcc, 0, v1
	s_andn2_b64 s[4:5], s[4:5], exec
	s_and_b64 s[8:9], vcc, exec
	v_mov_b32_e32 v2, 0
	s_or_b64 s[4:5], s[4:5], s[8:9]
	s_or_b64 exec, exec, s[6:7]
	s_and_saveexec_b64 s[6:7], s[4:5]
	s_cbranch_execnz .LBB56_2039
	s_branch .LBB56_2040
.LBB56_4089:
	s_movk_i32 s4, 0x80
	v_cmp_eq_u16_sdwa s[12:13], v7, s4 src0_sel:BYTE_3 src1_sel:DWORD
	s_mov_b64 s[4:5], -1
                                        ; implicit-def: $sgpr10
	s_and_saveexec_b64 s[8:9], s[12:13]
; %bb.4090:
	s_mov_b32 s10, 0x7f800001
	s_xor_b64 s[4:5], exec, -1
; %bb.4091:
	s_or_b64 exec, exec, s[8:9]
	s_and_b64 s[4:5], s[4:5], exec
	s_or_saveexec_b64 s[6:7], s[6:7]
	v_mov_b32_e32 v0, s10
	s_xor_b64 exec, exec, s[6:7]
	s_cbranch_execz .LBB56_2042
.LBB56_4092:
	v_mov_b32_e32 v0, 0
	v_cmp_ne_u16_sdwa s[8:9], v7, v0 src0_sel:BYTE_3 src1_sel:DWORD
	s_andn2_b64 s[4:5], s[4:5], exec
	s_and_b64 s[8:9], s[8:9], exec
	s_or_b64 s[4:5], s[4:5], s[8:9]
	s_or_b64 exec, exec, s[6:7]
	s_and_saveexec_b64 s[6:7], s[4:5]
	s_cbranch_execnz .LBB56_2043
	s_branch .LBB56_2044
.LBB56_4093:
	s_movk_i32 s4, 0x80
	v_cmp_eq_u16_sdwa s[12:13], v3, s4 src0_sel:BYTE_3 src1_sel:DWORD
	s_mov_b64 s[4:5], -1
                                        ; implicit-def: $sgpr10
	s_and_saveexec_b64 s[8:9], s[12:13]
; %bb.4094:
	s_mov_b32 s10, 0x7f800001
	s_xor_b64 s[4:5], exec, -1
; %bb.4095:
	s_or_b64 exec, exec, s[8:9]
	s_and_b64 s[4:5], s[4:5], exec
	s_or_saveexec_b64 s[6:7], s[6:7]
	v_mov_b32_e32 v1, s10
	s_xor_b64 exec, exec, s[6:7]
	s_cbranch_execz .LBB56_2046
.LBB56_4096:
	v_mov_b32_e32 v1, 0
	v_cmp_ne_u16_sdwa s[8:9], v3, v1 src0_sel:BYTE_3 src1_sel:DWORD
	s_andn2_b64 s[4:5], s[4:5], exec
	s_and_b64 s[8:9], s[8:9], exec
	s_or_b64 s[4:5], s[4:5], s[8:9]
	s_or_b64 exec, exec, s[6:7]
	s_and_saveexec_b64 s[6:7], s[4:5]
	s_cbranch_execnz .LBB56_2047
	s_branch .LBB56_2048
.Lfunc_end56:
	.size	_ZNK2ck6detail7applierIiJLi0ELi1ELi2ELi3ELi4ELi5ELi6ELi7EEEclIZNKS_11static_fordINS_8SequenceIJLi1ELi8EEEENS5_IJLi0ELi1EEEEEclIZZNKS_52BlockwiseGemmXdlops_pipeline_bpreshuffle_bdequant_v3ILNS_26BlockGemmPipelineSchedulerE0ELi256ENS_9f8_fnuz_tENS_7pk_i4_tESC_fNS_16TensorDescriptorINS_5TupleIJNS_5EmbedINSF_IJNS_17integral_constantIiLi8EEENSH_IiLi256EEENSH_IiLi16EEEEEENSF_IJSK_NSH_IiLi128EEENSH_IiLi1EEEEEELb0EEENS_3XorINSF_IJSJ_SI_EEELb1EEENS_11PassThroughISK_EENS_7UnMergeINSF_IJSI_SN_EEELb0EEENST_ISJ_EESU_NST_ISI_EENS_21Merge_v3_division_modINSF_IJSJ_SN_EEEEESU_EEENSF_IJNS5_IJLi0EEEENS5_IJLi2ELi1EEEENS5_IJLi3EEEENS5_IJLi5EEEENS5_IJLi4EEEENS5_IJLi6EEEENS5_IJLi7EEEENS5_IJLi9ELi8EEEENS5_IJLi10EEEEEEENSF_IJNS5_IJLi1ELi2ELi3EEEENS5_IJLi4ELi5EEEES19_NS5_IJLi7ELi8EEEENS5_IJLi9EEEES1C_NS5_IJLi11EEEENS5_IJLi12EEEENS5_IJLi13EEEEEEENS5_IJLi11ELi12ELi13EEEENSH_IlLl32768EEEEENSE_INSF_IJNSV_INSF_IJSI_SN_SN_NSH_IiLi32EEEEEELb0EEEEEENSF_IJS14_EEENSF_IJNS5_IJLi1ELi2ELi3ELi4EEEEEEES1U_NSH_IlLl256EEEEENSE_INSF_IJSP_SS_SU_SX_SY_SU_SZ_S12_SU_NS10_INSF_IJSI_SK_EEEEENSV_INSF_IJSI_NSH_IiLi2EEESK_EEELb0EEEEEENSF_IJS14_S15_S16_S17_S18_S19_S1A_S1B_S1C_NS5_IJLi11ELi13EEEES1J_EEENSF_IJS1E_S1F_S19_S1G_S1H_S1C_S1I_S1J_S1K_NS5_IJLi14EEEENS5_IJLi15ELi16ELi17EEEEEEENS5_IJLi15ELi16ELi17ELi14EEEES1N_EENSE_INSF_IJS1R_NS10_ISW_EES22_EEENSF_IJS14_NS5_IJLi1ELi3EEEENS5_IJLi2EEEEEEENSF_IJS1U_S17_NS5_IJLi6ELi7ELi8EEEEEEENS5_IJLi6ELi7ELi8ELi5EEEES1W_EELi16ELi32ELi256ELi256ELi128ELi16ELi16ELi8ELi8ELi32ELb0EE3RunILb1ELNS_10TailNumberE1ENSE_INSF_IJNSG_INSF_IJiiEEENSF_IJiSN_EEELb0EEENSV_IS2N_Lb0EEENST_IiEEEEENSF_IJS14_S2E_NS5_IJLi1EEEEEEENSF_IJNS5_IJLi1ELi2EEEENS5_IJLi3ELi4EEEES17_EEENS5_IJLi3ELi5ELi4EEEElEES1O_NS_35ThreadGroupTensorSliceTransfer_v4r1INS_15ThisThreadBlockILi256EEENS_16tensor_operation12element_wise11PassThroughES35_LNS_25InMemoryDataOperationEnumE0ENS5_IJLi8ELi256ELi16EEEENS5_IJLi8ELi32ELi1EEEENS5_IJLi1ELi0ELi2EEEESC_SC_RKS2Z_KS1O_S39_NS5_IJLi0ELi1ELi2EEEELi2ELi2ELi16ELi16ELi1ELi1ELb0ELb1ELi2EiEENS_13DynamicBufferILNS_16AddressSpaceEnumE1EKSC_lLb1ELNS_22AmdBufferCoherenceEnumE0EiEENSF_IJNS3F_ILS3G_2ESC_S1N_Lb1ELS3I_0EiEES3K_EEENSF_IJiiiEEENSE_INSF_IJNSG_INSF_IJiiiiEEENSF_IJiiiSN_EEELb0EEEEEES1T_S1V_S1U_lEENS_32ThreadwiseTensorSliceTransfer_v2ISD_SD_RKS3R_KS1X_NS5_IJLi8ELi1ELi1ELi32EEEENS5_IJLi1ELi2ELi0ELi3EEEELi3ELi32ELi0ELb1ELb0ELb0EEENS3F_ILS3G_1EKSD_lLb1ELS3I_0EiEENSF_IJNS_12StaticBufferILS3G_4ESD_Li256ELb1EEES42_EEES3N_NS_25StaticBufferTupleOfVectorILS3G_4EfLi64ELi4ELb1ELb0EEEEEvRKT1_RKT2_RT3_RKT4_RT5_RKT6_RKT7_RT8_RKT9_RT10_RKT11_RT12_iENKUlT_E1_clINSH_IiLi4EEEEEDaS51_EUlS51_E_EEvS51_EUlS51_E_EEvS51_, .Lfunc_end56-_ZNK2ck6detail7applierIiJLi0ELi1ELi2ELi3ELi4ELi5ELi6ELi7EEEclIZNKS_11static_fordINS_8SequenceIJLi1ELi8EEEENS5_IJLi0ELi1EEEEEclIZZNKS_52BlockwiseGemmXdlops_pipeline_bpreshuffle_bdequant_v3ILNS_26BlockGemmPipelineSchedulerE0ELi256ENS_9f8_fnuz_tENS_7pk_i4_tESC_fNS_16TensorDescriptorINS_5TupleIJNS_5EmbedINSF_IJNS_17integral_constantIiLi8EEENSH_IiLi256EEENSH_IiLi16EEEEEENSF_IJSK_NSH_IiLi128EEENSH_IiLi1EEEEEELb0EEENS_3XorINSF_IJSJ_SI_EEELb1EEENS_11PassThroughISK_EENS_7UnMergeINSF_IJSI_SN_EEELb0EEENST_ISJ_EESU_NST_ISI_EENS_21Merge_v3_division_modINSF_IJSJ_SN_EEEEESU_EEENSF_IJNS5_IJLi0EEEENS5_IJLi2ELi1EEEENS5_IJLi3EEEENS5_IJLi5EEEENS5_IJLi4EEEENS5_IJLi6EEEENS5_IJLi7EEEENS5_IJLi9ELi8EEEENS5_IJLi10EEEEEEENSF_IJNS5_IJLi1ELi2ELi3EEEENS5_IJLi4ELi5EEEES19_NS5_IJLi7ELi8EEEENS5_IJLi9EEEES1C_NS5_IJLi11EEEENS5_IJLi12EEEENS5_IJLi13EEEEEEENS5_IJLi11ELi12ELi13EEEENSH_IlLl32768EEEEENSE_INSF_IJNSV_INSF_IJSI_SN_SN_NSH_IiLi32EEEEEELb0EEEEEENSF_IJS14_EEENSF_IJNS5_IJLi1ELi2ELi3ELi4EEEEEEES1U_NSH_IlLl256EEEEENSE_INSF_IJSP_SS_SU_SX_SY_SU_SZ_S12_SU_NS10_INSF_IJSI_SK_EEEEENSV_INSF_IJSI_NSH_IiLi2EEESK_EEELb0EEEEEENSF_IJS14_S15_S16_S17_S18_S19_S1A_S1B_S1C_NS5_IJLi11ELi13EEEES1J_EEENSF_IJS1E_S1F_S19_S1G_S1H_S1C_S1I_S1J_S1K_NS5_IJLi14EEEENS5_IJLi15ELi16ELi17EEEEEEENS5_IJLi15ELi16ELi17ELi14EEEES1N_EENSE_INSF_IJS1R_NS10_ISW_EES22_EEENSF_IJS14_NS5_IJLi1ELi3EEEENS5_IJLi2EEEEEEENSF_IJS1U_S17_NS5_IJLi6ELi7ELi8EEEEEEENS5_IJLi6ELi7ELi8ELi5EEEES1W_EELi16ELi32ELi256ELi256ELi128ELi16ELi16ELi8ELi8ELi32ELb0EE3RunILb1ELNS_10TailNumberE1ENSE_INSF_IJNSG_INSF_IJiiEEENSF_IJiSN_EEELb0EEENSV_IS2N_Lb0EEENST_IiEEEEENSF_IJS14_S2E_NS5_IJLi1EEEEEEENSF_IJNS5_IJLi1ELi2EEEENS5_IJLi3ELi4EEEES17_EEENS5_IJLi3ELi5ELi4EEEElEES1O_NS_35ThreadGroupTensorSliceTransfer_v4r1INS_15ThisThreadBlockILi256EEENS_16tensor_operation12element_wise11PassThroughES35_LNS_25InMemoryDataOperationEnumE0ENS5_IJLi8ELi256ELi16EEEENS5_IJLi8ELi32ELi1EEEENS5_IJLi1ELi0ELi2EEEESC_SC_RKS2Z_KS1O_S39_NS5_IJLi0ELi1ELi2EEEELi2ELi2ELi16ELi16ELi1ELi1ELb0ELb1ELi2EiEENS_13DynamicBufferILNS_16AddressSpaceEnumE1EKSC_lLb1ELNS_22AmdBufferCoherenceEnumE0EiEENSF_IJNS3F_ILS3G_2ESC_S1N_Lb1ELS3I_0EiEES3K_EEENSF_IJiiiEEENSE_INSF_IJNSG_INSF_IJiiiiEEENSF_IJiiiSN_EEELb0EEEEEES1T_S1V_S1U_lEENS_32ThreadwiseTensorSliceTransfer_v2ISD_SD_RKS3R_KS1X_NS5_IJLi8ELi1ELi1ELi32EEEENS5_IJLi1ELi2ELi0ELi3EEEELi3ELi32ELi0ELb1ELb0ELb0EEENS3F_ILS3G_1EKSD_lLb1ELS3I_0EiEENSF_IJNS_12StaticBufferILS3G_4ESD_Li256ELb1EEES42_EEES3N_NS_25StaticBufferTupleOfVectorILS3G_4EfLi64ELi4ELb1ELb0EEEEEvRKT1_RKT2_RT3_RKT4_RT5_RKT6_RKT7_RT8_RKT9_RT10_RKT11_RT12_iENKUlT_E1_clINSH_IiLi4EEEEEDaS51_EUlS51_E_EEvS51_EUlS51_E_EEvS51_
                                        ; -- End function
	.section	.AMDGPU.csdata,"",@progbits
; Function info:
; codeLenInByte = 133608
; NumSgprs: 36
; NumVgprs: 26
; NumAgprs: 4
; TotalNumVgprs: 32
; ScratchSize: 0
; MemoryBound: 1
	.text
	.p2align	2                               ; -- Begin function _ZNK2ck6detail7applierIiJLi0ELi1ELi2ELi3ELi4ELi5ELi6ELi7EEEclIZNKS_11static_fordINS_8SequenceIJLi1ELi8EEEENS5_IJLi0ELi1EEEEEclIZZNKS_52BlockwiseGemmXdlops_pipeline_bpreshuffle_bdequant_v3ILNS_26BlockGemmPipelineSchedulerE0ELi256ENS_9f8_fnuz_tENS_7pk_i4_tESC_fNS_16TensorDescriptorINS_5TupleIJNS_5EmbedINSF_IJNS_17integral_constantIiLi8EEENSH_IiLi256EEENSH_IiLi16EEEEEENSF_IJSK_NSH_IiLi128EEENSH_IiLi1EEEEEELb0EEENS_3XorINSF_IJSJ_SI_EEELb1EEENS_11PassThroughISK_EENS_7UnMergeINSF_IJSI_SN_EEELb0EEENST_ISJ_EESU_NST_ISI_EENS_21Merge_v3_division_modINSF_IJSJ_SN_EEEEESU_EEENSF_IJNS5_IJLi0EEEENS5_IJLi2ELi1EEEENS5_IJLi3EEEENS5_IJLi5EEEENS5_IJLi4EEEENS5_IJLi6EEEENS5_IJLi7EEEENS5_IJLi9ELi8EEEENS5_IJLi10EEEEEEENSF_IJNS5_IJLi1ELi2ELi3EEEENS5_IJLi4ELi5EEEES19_NS5_IJLi7ELi8EEEENS5_IJLi9EEEES1C_NS5_IJLi11EEEENS5_IJLi12EEEENS5_IJLi13EEEEEEENS5_IJLi11ELi12ELi13EEEENSH_IlLl32768EEEEENSE_INSF_IJNSV_INSF_IJSI_SN_SN_NSH_IiLi32EEEEEELb0EEEEEENSF_IJS14_EEENSF_IJNS5_IJLi1ELi2ELi3ELi4EEEEEEES1U_NSH_IlLl256EEEEENSE_INSF_IJSP_SS_SU_SX_SY_SU_SZ_S12_SU_NS10_INSF_IJSI_SK_EEEEENSV_INSF_IJSI_NSH_IiLi2EEESK_EEELb0EEEEEENSF_IJS14_S15_S16_S17_S18_S19_S1A_S1B_S1C_NS5_IJLi11ELi13EEEES1J_EEENSF_IJS1E_S1F_S19_S1G_S1H_S1C_S1I_S1J_S1K_NS5_IJLi14EEEENS5_IJLi15ELi16ELi17EEEEEEENS5_IJLi15ELi16ELi17ELi14EEEES1N_EENSE_INSF_IJS1R_NS10_ISW_EES22_EEENSF_IJS14_NS5_IJLi1ELi3EEEENS5_IJLi2EEEEEEENSF_IJS1U_S17_NS5_IJLi6ELi7ELi8EEEEEEENS5_IJLi6ELi7ELi8ELi5EEEES1W_EELi16ELi32ELi256ELi256ELi128ELi16ELi16ELi8ELi8ELi32ELb0EE3RunILb1ELNS_10TailNumberE1ENSE_INSF_IJNSG_INSF_IJiiEEENSF_IJiSN_EEELb0EEENSV_IS2N_Lb0EEENST_IiEEEEENSF_IJS14_S2E_NS5_IJLi1EEEEEEENSF_IJNS5_IJLi1ELi2EEEENS5_IJLi3ELi4EEEES17_EEENS5_IJLi3ELi5ELi4EEEElEES1O_NS_35ThreadGroupTensorSliceTransfer_v4r1INS_15ThisThreadBlockILi256EEENS_16tensor_operation12element_wise11PassThroughES35_LNS_25InMemoryDataOperationEnumE0ENS5_IJLi8ELi256ELi16EEEENS5_IJLi8ELi32ELi1EEEENS5_IJLi1ELi0ELi2EEEESC_SC_RKS2Z_KS1O_S39_NS5_IJLi0ELi1ELi2EEEELi2ELi2ELi16ELi16ELi1ELi1ELb0ELb1ELi2EiEENS_13DynamicBufferILNS_16AddressSpaceEnumE1EKSC_lLb1ELNS_22AmdBufferCoherenceEnumE0EiEENSF_IJNS3F_ILS3G_2ESC_S1N_Lb1ELS3I_0EiEES3K_EEENSF_IJiiiEEENSE_INSF_IJNSG_INSF_IJiiiiEEENSF_IJiiiSN_EEELb0EEEEEES1T_S1V_S1U_lEENS_32ThreadwiseTensorSliceTransfer_v2ISD_SD_RKS3R_KS1X_NS5_IJLi8ELi1ELi1ELi32EEEENS5_IJLi1ELi2ELi0ELi3EEEELi3ELi32ELi0ELb1ELb0ELb0EEENS3F_ILS3G_1EKSD_lLb1ELS3I_0EiEENSF_IJNS_12StaticBufferILS3G_4ESD_Li256ELb1EEES42_EEES3N_NS_25StaticBufferTupleOfVectorILS3G_4EfLi64ELi4ELb1ELb0EEEEEvRKT1_RKT2_RT3_RKT4_RT5_RKT6_RKT7_RT8_RKT9_RT10_RKT11_RT12_iENKUlT_E1_clINSH_IiLi5EEEEEDaS51_EUlS51_E_EEvS51_EUlS51_E_EEvS51_
	.type	_ZNK2ck6detail7applierIiJLi0ELi1ELi2ELi3ELi4ELi5ELi6ELi7EEEclIZNKS_11static_fordINS_8SequenceIJLi1ELi8EEEENS5_IJLi0ELi1EEEEEclIZZNKS_52BlockwiseGemmXdlops_pipeline_bpreshuffle_bdequant_v3ILNS_26BlockGemmPipelineSchedulerE0ELi256ENS_9f8_fnuz_tENS_7pk_i4_tESC_fNS_16TensorDescriptorINS_5TupleIJNS_5EmbedINSF_IJNS_17integral_constantIiLi8EEENSH_IiLi256EEENSH_IiLi16EEEEEENSF_IJSK_NSH_IiLi128EEENSH_IiLi1EEEEEELb0EEENS_3XorINSF_IJSJ_SI_EEELb1EEENS_11PassThroughISK_EENS_7UnMergeINSF_IJSI_SN_EEELb0EEENST_ISJ_EESU_NST_ISI_EENS_21Merge_v3_division_modINSF_IJSJ_SN_EEEEESU_EEENSF_IJNS5_IJLi0EEEENS5_IJLi2ELi1EEEENS5_IJLi3EEEENS5_IJLi5EEEENS5_IJLi4EEEENS5_IJLi6EEEENS5_IJLi7EEEENS5_IJLi9ELi8EEEENS5_IJLi10EEEEEEENSF_IJNS5_IJLi1ELi2ELi3EEEENS5_IJLi4ELi5EEEES19_NS5_IJLi7ELi8EEEENS5_IJLi9EEEES1C_NS5_IJLi11EEEENS5_IJLi12EEEENS5_IJLi13EEEEEEENS5_IJLi11ELi12ELi13EEEENSH_IlLl32768EEEEENSE_INSF_IJNSV_INSF_IJSI_SN_SN_NSH_IiLi32EEEEEELb0EEEEEENSF_IJS14_EEENSF_IJNS5_IJLi1ELi2ELi3ELi4EEEEEEES1U_NSH_IlLl256EEEEENSE_INSF_IJSP_SS_SU_SX_SY_SU_SZ_S12_SU_NS10_INSF_IJSI_SK_EEEEENSV_INSF_IJSI_NSH_IiLi2EEESK_EEELb0EEEEEENSF_IJS14_S15_S16_S17_S18_S19_S1A_S1B_S1C_NS5_IJLi11ELi13EEEES1J_EEENSF_IJS1E_S1F_S19_S1G_S1H_S1C_S1I_S1J_S1K_NS5_IJLi14EEEENS5_IJLi15ELi16ELi17EEEEEEENS5_IJLi15ELi16ELi17ELi14EEEES1N_EENSE_INSF_IJS1R_NS10_ISW_EES22_EEENSF_IJS14_NS5_IJLi1ELi3EEEENS5_IJLi2EEEEEEENSF_IJS1U_S17_NS5_IJLi6ELi7ELi8EEEEEEENS5_IJLi6ELi7ELi8ELi5EEEES1W_EELi16ELi32ELi256ELi256ELi128ELi16ELi16ELi8ELi8ELi32ELb0EE3RunILb1ELNS_10TailNumberE1ENSE_INSF_IJNSG_INSF_IJiiEEENSF_IJiSN_EEELb0EEENSV_IS2N_Lb0EEENST_IiEEEEENSF_IJS14_S2E_NS5_IJLi1EEEEEEENSF_IJNS5_IJLi1ELi2EEEENS5_IJLi3ELi4EEEES17_EEENS5_IJLi3ELi5ELi4EEEElEES1O_NS_35ThreadGroupTensorSliceTransfer_v4r1INS_15ThisThreadBlockILi256EEENS_16tensor_operation12element_wise11PassThroughES35_LNS_25InMemoryDataOperationEnumE0ENS5_IJLi8ELi256ELi16EEEENS5_IJLi8ELi32ELi1EEEENS5_IJLi1ELi0ELi2EEEESC_SC_RKS2Z_KS1O_S39_NS5_IJLi0ELi1ELi2EEEELi2ELi2ELi16ELi16ELi1ELi1ELb0ELb1ELi2EiEENS_13DynamicBufferILNS_16AddressSpaceEnumE1EKSC_lLb1ELNS_22AmdBufferCoherenceEnumE0EiEENSF_IJNS3F_ILS3G_2ESC_S1N_Lb1ELS3I_0EiEES3K_EEENSF_IJiiiEEENSE_INSF_IJNSG_INSF_IJiiiiEEENSF_IJiiiSN_EEELb0EEEEEES1T_S1V_S1U_lEENS_32ThreadwiseTensorSliceTransfer_v2ISD_SD_RKS3R_KS1X_NS5_IJLi8ELi1ELi1ELi32EEEENS5_IJLi1ELi2ELi0ELi3EEEELi3ELi32ELi0ELb1ELb0ELb0EEENS3F_ILS3G_1EKSD_lLb1ELS3I_0EiEENSF_IJNS_12StaticBufferILS3G_4ESD_Li256ELb1EEES42_EEES3N_NS_25StaticBufferTupleOfVectorILS3G_4EfLi64ELi4ELb1ELb0EEEEEvRKT1_RKT2_RT3_RKT4_RT5_RKT6_RKT7_RT8_RKT9_RT10_RKT11_RT12_iENKUlT_E1_clINSH_IiLi5EEEEEDaS51_EUlS51_E_EEvS51_EUlS51_E_EEvS51_,@function
_ZNK2ck6detail7applierIiJLi0ELi1ELi2ELi3ELi4ELi5ELi6ELi7EEEclIZNKS_11static_fordINS_8SequenceIJLi1ELi8EEEENS5_IJLi0ELi1EEEEEclIZZNKS_52BlockwiseGemmXdlops_pipeline_bpreshuffle_bdequant_v3ILNS_26BlockGemmPipelineSchedulerE0ELi256ENS_9f8_fnuz_tENS_7pk_i4_tESC_fNS_16TensorDescriptorINS_5TupleIJNS_5EmbedINSF_IJNS_17integral_constantIiLi8EEENSH_IiLi256EEENSH_IiLi16EEEEEENSF_IJSK_NSH_IiLi128EEENSH_IiLi1EEEEEELb0EEENS_3XorINSF_IJSJ_SI_EEELb1EEENS_11PassThroughISK_EENS_7UnMergeINSF_IJSI_SN_EEELb0EEENST_ISJ_EESU_NST_ISI_EENS_21Merge_v3_division_modINSF_IJSJ_SN_EEEEESU_EEENSF_IJNS5_IJLi0EEEENS5_IJLi2ELi1EEEENS5_IJLi3EEEENS5_IJLi5EEEENS5_IJLi4EEEENS5_IJLi6EEEENS5_IJLi7EEEENS5_IJLi9ELi8EEEENS5_IJLi10EEEEEEENSF_IJNS5_IJLi1ELi2ELi3EEEENS5_IJLi4ELi5EEEES19_NS5_IJLi7ELi8EEEENS5_IJLi9EEEES1C_NS5_IJLi11EEEENS5_IJLi12EEEENS5_IJLi13EEEEEEENS5_IJLi11ELi12ELi13EEEENSH_IlLl32768EEEEENSE_INSF_IJNSV_INSF_IJSI_SN_SN_NSH_IiLi32EEEEEELb0EEEEEENSF_IJS14_EEENSF_IJNS5_IJLi1ELi2ELi3ELi4EEEEEEES1U_NSH_IlLl256EEEEENSE_INSF_IJSP_SS_SU_SX_SY_SU_SZ_S12_SU_NS10_INSF_IJSI_SK_EEEEENSV_INSF_IJSI_NSH_IiLi2EEESK_EEELb0EEEEEENSF_IJS14_S15_S16_S17_S18_S19_S1A_S1B_S1C_NS5_IJLi11ELi13EEEES1J_EEENSF_IJS1E_S1F_S19_S1G_S1H_S1C_S1I_S1J_S1K_NS5_IJLi14EEEENS5_IJLi15ELi16ELi17EEEEEEENS5_IJLi15ELi16ELi17ELi14EEEES1N_EENSE_INSF_IJS1R_NS10_ISW_EES22_EEENSF_IJS14_NS5_IJLi1ELi3EEEENS5_IJLi2EEEEEEENSF_IJS1U_S17_NS5_IJLi6ELi7ELi8EEEEEEENS5_IJLi6ELi7ELi8ELi5EEEES1W_EELi16ELi32ELi256ELi256ELi128ELi16ELi16ELi8ELi8ELi32ELb0EE3RunILb1ELNS_10TailNumberE1ENSE_INSF_IJNSG_INSF_IJiiEEENSF_IJiSN_EEELb0EEENSV_IS2N_Lb0EEENST_IiEEEEENSF_IJS14_S2E_NS5_IJLi1EEEEEEENSF_IJNS5_IJLi1ELi2EEEENS5_IJLi3ELi4EEEES17_EEENS5_IJLi3ELi5ELi4EEEElEES1O_NS_35ThreadGroupTensorSliceTransfer_v4r1INS_15ThisThreadBlockILi256EEENS_16tensor_operation12element_wise11PassThroughES35_LNS_25InMemoryDataOperationEnumE0ENS5_IJLi8ELi256ELi16EEEENS5_IJLi8ELi32ELi1EEEENS5_IJLi1ELi0ELi2EEEESC_SC_RKS2Z_KS1O_S39_NS5_IJLi0ELi1ELi2EEEELi2ELi2ELi16ELi16ELi1ELi1ELb0ELb1ELi2EiEENS_13DynamicBufferILNS_16AddressSpaceEnumE1EKSC_lLb1ELNS_22AmdBufferCoherenceEnumE0EiEENSF_IJNS3F_ILS3G_2ESC_S1N_Lb1ELS3I_0EiEES3K_EEENSF_IJiiiEEENSE_INSF_IJNSG_INSF_IJiiiiEEENSF_IJiiiSN_EEELb0EEEEEES1T_S1V_S1U_lEENS_32ThreadwiseTensorSliceTransfer_v2ISD_SD_RKS3R_KS1X_NS5_IJLi8ELi1ELi1ELi32EEEENS5_IJLi1ELi2ELi0ELi3EEEELi3ELi32ELi0ELb1ELb0ELb0EEENS3F_ILS3G_1EKSD_lLb1ELS3I_0EiEENSF_IJNS_12StaticBufferILS3G_4ESD_Li256ELb1EEES42_EEES3N_NS_25StaticBufferTupleOfVectorILS3G_4EfLi64ELi4ELb1ELb0EEEEEvRKT1_RKT2_RT3_RKT4_RT5_RKT6_RKT7_RT8_RKT9_RT10_RKT11_RT12_iENKUlT_E1_clINSH_IiLi5EEEEEDaS51_EUlS51_E_EEvS51_EUlS51_E_EEvS51_: ; @_ZNK2ck6detail7applierIiJLi0ELi1ELi2ELi3ELi4ELi5ELi6ELi7EEEclIZNKS_11static_fordINS_8SequenceIJLi1ELi8EEEENS5_IJLi0ELi1EEEEEclIZZNKS_52BlockwiseGemmXdlops_pipeline_bpreshuffle_bdequant_v3ILNS_26BlockGemmPipelineSchedulerE0ELi256ENS_9f8_fnuz_tENS_7pk_i4_tESC_fNS_16TensorDescriptorINS_5TupleIJNS_5EmbedINSF_IJNS_17integral_constantIiLi8EEENSH_IiLi256EEENSH_IiLi16EEEEEENSF_IJSK_NSH_IiLi128EEENSH_IiLi1EEEEEELb0EEENS_3XorINSF_IJSJ_SI_EEELb1EEENS_11PassThroughISK_EENS_7UnMergeINSF_IJSI_SN_EEELb0EEENST_ISJ_EESU_NST_ISI_EENS_21Merge_v3_division_modINSF_IJSJ_SN_EEEEESU_EEENSF_IJNS5_IJLi0EEEENS5_IJLi2ELi1EEEENS5_IJLi3EEEENS5_IJLi5EEEENS5_IJLi4EEEENS5_IJLi6EEEENS5_IJLi7EEEENS5_IJLi9ELi8EEEENS5_IJLi10EEEEEEENSF_IJNS5_IJLi1ELi2ELi3EEEENS5_IJLi4ELi5EEEES19_NS5_IJLi7ELi8EEEENS5_IJLi9EEEES1C_NS5_IJLi11EEEENS5_IJLi12EEEENS5_IJLi13EEEEEEENS5_IJLi11ELi12ELi13EEEENSH_IlLl32768EEEEENSE_INSF_IJNSV_INSF_IJSI_SN_SN_NSH_IiLi32EEEEEELb0EEEEEENSF_IJS14_EEENSF_IJNS5_IJLi1ELi2ELi3ELi4EEEEEEES1U_NSH_IlLl256EEEEENSE_INSF_IJSP_SS_SU_SX_SY_SU_SZ_S12_SU_NS10_INSF_IJSI_SK_EEEEENSV_INSF_IJSI_NSH_IiLi2EEESK_EEELb0EEEEEENSF_IJS14_S15_S16_S17_S18_S19_S1A_S1B_S1C_NS5_IJLi11ELi13EEEES1J_EEENSF_IJS1E_S1F_S19_S1G_S1H_S1C_S1I_S1J_S1K_NS5_IJLi14EEEENS5_IJLi15ELi16ELi17EEEEEEENS5_IJLi15ELi16ELi17ELi14EEEES1N_EENSE_INSF_IJS1R_NS10_ISW_EES22_EEENSF_IJS14_NS5_IJLi1ELi3EEEENS5_IJLi2EEEEEEENSF_IJS1U_S17_NS5_IJLi6ELi7ELi8EEEEEEENS5_IJLi6ELi7ELi8ELi5EEEES1W_EELi16ELi32ELi256ELi256ELi128ELi16ELi16ELi8ELi8ELi32ELb0EE3RunILb1ELNS_10TailNumberE1ENSE_INSF_IJNSG_INSF_IJiiEEENSF_IJiSN_EEELb0EEENSV_IS2N_Lb0EEENST_IiEEEEENSF_IJS14_S2E_NS5_IJLi1EEEEEEENSF_IJNS5_IJLi1ELi2EEEENS5_IJLi3ELi4EEEES17_EEENS5_IJLi3ELi5ELi4EEEElEES1O_NS_35ThreadGroupTensorSliceTransfer_v4r1INS_15ThisThreadBlockILi256EEENS_16tensor_operation12element_wise11PassThroughES35_LNS_25InMemoryDataOperationEnumE0ENS5_IJLi8ELi256ELi16EEEENS5_IJLi8ELi32ELi1EEEENS5_IJLi1ELi0ELi2EEEESC_SC_RKS2Z_KS1O_S39_NS5_IJLi0ELi1ELi2EEEELi2ELi2ELi16ELi16ELi1ELi1ELb0ELb1ELi2EiEENS_13DynamicBufferILNS_16AddressSpaceEnumE1EKSC_lLb1ELNS_22AmdBufferCoherenceEnumE0EiEENSF_IJNS3F_ILS3G_2ESC_S1N_Lb1ELS3I_0EiEES3K_EEENSF_IJiiiEEENSE_INSF_IJNSG_INSF_IJiiiiEEENSF_IJiiiSN_EEELb0EEEEEES1T_S1V_S1U_lEENS_32ThreadwiseTensorSliceTransfer_v2ISD_SD_RKS3R_KS1X_NS5_IJLi8ELi1ELi1ELi32EEEENS5_IJLi1ELi2ELi0ELi3EEEELi3ELi32ELi0ELb1ELb0ELb0EEENS3F_ILS3G_1EKSD_lLb1ELS3I_0EiEENSF_IJNS_12StaticBufferILS3G_4ESD_Li256ELb1EEES42_EEES3N_NS_25StaticBufferTupleOfVectorILS3G_4EfLi64ELi4ELb1ELb0EEEEEvRKT1_RKT2_RT3_RKT4_RT5_RKT6_RKT7_RT8_RKT9_RT10_RKT11_RT12_iENKUlT_E1_clINSH_IiLi5EEEEEDaS51_EUlS51_E_EEvS51_EUlS51_E_EEvS51_
; %bb.0:
	s_waitcnt vmcnt(0) expcnt(0) lgkmcnt(0)
	flat_load_dwordx4 v[20:23], v[0:1] offset:8
	flat_load_dwordx2 v[18:19], v[0:1] offset:24
	s_movk_i32 s4, 0x7f
                                        ; implicit-def: $sgpr10
	s_waitcnt vmcnt(0) lgkmcnt(0)
	flat_load_dwordx4 v[14:17], v[20:21] offset:32
	flat_load_dwordx4 v[6:9], v[20:21] offset:48
	;; [unrolled: 1-line block ×4, first 2 shown]
	s_waitcnt vmcnt(0) lgkmcnt(0)
	v_cmp_gt_i16_sdwa s[6:7], v14, s4 src0_sel:BYTE_0 src1_sel:DWORD
	s_mov_b64 s[4:5], 0
	s_and_saveexec_b64 s[8:9], s[6:7]
	s_xor_b64 s[6:7], exec, s[8:9]
	s_cbranch_execnz .LBB57_2049
; %bb.1:
	s_or_saveexec_b64 s[6:7], s[6:7]
	v_mov_b32_e32 v20, s10
	s_xor_b64 exec, exec, s[6:7]
	s_cbranch_execnz .LBB57_2052
.LBB57_2:
	s_or_b64 exec, exec, s[6:7]
	s_and_saveexec_b64 s[6:7], s[4:5]
	s_cbranch_execz .LBB57_4
.LBB57_3:
	v_and_b32_e32 v20, 7, v14
	v_ffbh_u32_e32 v22, v20
	v_min_u32_e32 v22, 32, v22
	v_lshrrev_b16_e32 v21, 3, v14
	v_subrev_u32_e32 v23, 28, v22
	v_and_b32_e32 v21, 15, v21
	v_lshlrev_b32_e32 v23, v23, v14
	v_sub_u32_e32 v22, 29, v22
	v_and_b32_e32 v23, 7, v23
	v_cmp_eq_u16_e32 vcc, 0, v21
	v_cndmask_b32_e32 v20, v20, v23, vcc
	v_cndmask_b32_e32 v21, v21, v22, vcc
	v_lshlrev_b32_e32 v22, 24, v14
	v_mov_b32_e32 v23, 0x3b800000
	v_lshlrev_b32_e32 v20, 20, v20
	v_and_b32_e32 v22, 0x80000000, v22
	v_lshl_add_u32 v21, v21, 23, v23
	v_or3_b32 v20, v22, v21, v20
.LBB57_4:
	s_or_b64 exec, exec, s[6:7]
	s_movk_i32 s4, 0x7f
	v_cmp_gt_i16_sdwa s[6:7], v10, s4 src0_sel:BYTE_0 src1_sel:DWORD
	s_mov_b64 s[4:5], 0
                                        ; implicit-def: $sgpr10
	s_and_saveexec_b64 s[8:9], s[6:7]
	s_xor_b64 s[6:7], exec, s[8:9]
	s_cbranch_execnz .LBB57_2053
; %bb.5:
	s_or_saveexec_b64 s[6:7], s[6:7]
	v_mov_b32_e32 v21, s10
	s_xor_b64 exec, exec, s[6:7]
	s_cbranch_execnz .LBB57_2056
.LBB57_6:
	s_or_b64 exec, exec, s[6:7]
	s_and_saveexec_b64 s[6:7], s[4:5]
	s_cbranch_execz .LBB57_8
.LBB57_7:
	v_and_b32_e32 v21, 7, v10
	v_ffbh_u32_e32 v23, v21
	v_min_u32_e32 v23, 32, v23
	v_lshrrev_b16_e32 v22, 3, v10
	v_subrev_u32_e32 v24, 28, v23
	v_and_b32_e32 v22, 15, v22
	v_lshlrev_b32_e32 v24, v24, v10
	v_sub_u32_e32 v23, 29, v23
	v_and_b32_e32 v24, 7, v24
	v_cmp_eq_u16_e32 vcc, 0, v22
	v_cndmask_b32_e32 v21, v21, v24, vcc
	v_cndmask_b32_e32 v22, v22, v23, vcc
	v_lshlrev_b32_e32 v23, 24, v10
	v_mov_b32_e32 v24, 0x3b800000
	v_lshlrev_b32_e32 v21, 20, v21
	v_and_b32_e32 v23, 0x80000000, v23
	v_lshl_add_u32 v22, v22, 23, v24
	v_or3_b32 v21, v23, v22, v21
.LBB57_8:
	s_or_b64 exec, exec, s[6:7]
	flat_load_dwordx4 a[0:3], v[18:19] offset:640
	s_movk_i32 s4, 0x7f
                                        ; implicit-def: $sgpr10
	s_waitcnt vmcnt(0) lgkmcnt(0)
	v_mfma_f32_16x16x4f32 a[0:3], v20, v21, a[0:3]
	v_lshrrev_b32_e32 v21, 8, v14
	v_cmp_gt_i16_sdwa s[6:7], v21, s4 src0_sel:BYTE_0 src1_sel:DWORD
	s_mov_b64 s[4:5], 0
	s_and_saveexec_b64 s[8:9], s[6:7]
	s_xor_b64 s[6:7], exec, s[8:9]
	s_cbranch_execnz .LBB57_2057
; %bb.9:
	s_or_saveexec_b64 s[6:7], s[6:7]
	v_mov_b32_e32 v20, s10
	s_xor_b64 exec, exec, s[6:7]
	s_cbranch_execnz .LBB57_2060
.LBB57_10:
	s_or_b64 exec, exec, s[6:7]
	s_and_saveexec_b64 s[6:7], s[4:5]
	s_cbranch_execz .LBB57_12
.LBB57_11:
	v_bfe_u32 v20, v14, 8, 3
	v_ffbh_u32_e32 v23, v20
	v_min_u32_e32 v23, 32, v23
	v_lshrrev_b16_e32 v22, 3, v21
	v_subrev_u32_e32 v24, 28, v23
	v_and_b32_e32 v22, 15, v22
	v_lshlrev_b32_e32 v21, v24, v21
	v_sub_u32_e32 v23, 29, v23
	v_and_b32_e32 v21, 7, v21
	v_cmp_eq_u16_e32 vcc, 0, v22
	v_cndmask_b32_e32 v20, v20, v21, vcc
	v_cndmask_b32_e32 v21, v22, v23, vcc
	v_lshlrev_b32_e32 v22, 16, v14
	v_mov_b32_e32 v23, 0x3b800000
	v_lshlrev_b32_e32 v20, 20, v20
	v_and_b32_e32 v22, 0x80000000, v22
	v_lshl_add_u32 v21, v21, 23, v23
	v_or3_b32 v20, v22, v21, v20
.LBB57_12:
	s_or_b64 exec, exec, s[6:7]
	v_lshrrev_b32_e32 v21, 8, v10
	s_movk_i32 s4, 0x7f
	v_cmp_gt_i16_sdwa s[6:7], v21, s4 src0_sel:BYTE_0 src1_sel:DWORD
	s_mov_b64 s[4:5], 0
                                        ; implicit-def: $sgpr10
	s_and_saveexec_b64 s[8:9], s[6:7]
	s_xor_b64 s[6:7], exec, s[8:9]
	s_cbranch_execnz .LBB57_2061
; %bb.13:
	s_or_saveexec_b64 s[6:7], s[6:7]
	v_mov_b32_e32 v22, s10
	s_xor_b64 exec, exec, s[6:7]
	s_cbranch_execnz .LBB57_2064
.LBB57_14:
	s_or_b64 exec, exec, s[6:7]
	s_and_saveexec_b64 s[6:7], s[4:5]
	s_cbranch_execz .LBB57_16
.LBB57_15:
	v_bfe_u32 v22, v10, 8, 3
	v_ffbh_u32_e32 v24, v22
	v_min_u32_e32 v24, 32, v24
	v_lshrrev_b16_e32 v23, 3, v21
	v_subrev_u32_e32 v25, 28, v24
	v_and_b32_e32 v23, 15, v23
	v_lshlrev_b32_e32 v21, v25, v21
	v_sub_u32_e32 v24, 29, v24
	v_and_b32_e32 v21, 7, v21
	v_cmp_eq_u16_e32 vcc, 0, v23
	v_cndmask_b32_e32 v21, v22, v21, vcc
	v_cndmask_b32_e32 v22, v23, v24, vcc
	v_lshlrev_b32_e32 v23, 16, v10
	v_mov_b32_e32 v24, 0x3b800000
	v_lshlrev_b32_e32 v21, 20, v21
	v_and_b32_e32 v23, 0x80000000, v23
	v_lshl_add_u32 v22, v22, 23, v24
	v_or3_b32 v22, v23, v22, v21
.LBB57_16:
	s_or_b64 exec, exec, s[6:7]
	s_nop 0
	v_mfma_f32_16x16x4f32 a[0:3], v20, v22, a[0:3]
	s_movk_i32 s4, 0xff
	v_and_b32_sdwa v21, v14, s4 dst_sel:DWORD dst_unused:UNUSED_PAD src0_sel:WORD_1 src1_sel:DWORD
	s_movk_i32 s4, 0x7f
	v_cmp_lt_i16_e32 vcc, s4, v21
	s_mov_b64 s[4:5], 0
                                        ; implicit-def: $sgpr10
	s_and_saveexec_b64 s[6:7], vcc
	s_xor_b64 s[6:7], exec, s[6:7]
	s_cbranch_execnz .LBB57_2065
; %bb.17:
	s_or_saveexec_b64 s[6:7], s[6:7]
	v_mov_b32_e32 v20, s10
	s_xor_b64 exec, exec, s[6:7]
	s_cbranch_execnz .LBB57_2068
.LBB57_18:
	s_or_b64 exec, exec, s[6:7]
	s_and_saveexec_b64 s[6:7], s[4:5]
	s_cbranch_execz .LBB57_20
.LBB57_19:
	v_bfe_u32 v20, v14, 16, 3
	v_ffbh_u32_e32 v23, v20
	v_min_u32_e32 v23, 32, v23
	v_lshrrev_b32_e32 v21, 19, v14
	v_subrev_u32_e32 v24, 28, v23
	v_and_b32_e32 v21, 15, v21
	v_lshlrev_b32_sdwa v24, v24, v14 dst_sel:DWORD dst_unused:UNUSED_PAD src0_sel:DWORD src1_sel:WORD_1
	v_bfe_u32 v22, v14, 19, 4
	v_sub_u32_e32 v23, 29, v23
	v_and_b32_e32 v24, 7, v24
	v_cmp_eq_u16_e32 vcc, 0, v21
	v_cndmask_b32_e32 v20, v20, v24, vcc
	v_cndmask_b32_e32 v21, v22, v23, vcc
	v_lshlrev_b32_e32 v22, 8, v14
	v_mov_b32_e32 v23, 0x3b800000
	v_lshlrev_b32_e32 v20, 20, v20
	v_and_b32_e32 v22, 0x80000000, v22
	v_lshl_add_u32 v21, v21, 23, v23
	v_or3_b32 v20, v22, v21, v20
.LBB57_20:
	s_or_b64 exec, exec, s[6:7]
	s_movk_i32 s4, 0xff
	v_and_b32_sdwa v21, v10, s4 dst_sel:DWORD dst_unused:UNUSED_PAD src0_sel:WORD_1 src1_sel:DWORD
	s_movk_i32 s4, 0x7f
	v_cmp_lt_i16_e32 vcc, s4, v21
	s_mov_b64 s[4:5], 0
                                        ; implicit-def: $sgpr10
	s_and_saveexec_b64 s[6:7], vcc
	s_xor_b64 s[6:7], exec, s[6:7]
	s_cbranch_execnz .LBB57_2069
; %bb.21:
	s_or_saveexec_b64 s[6:7], s[6:7]
	v_mov_b32_e32 v22, s10
	s_xor_b64 exec, exec, s[6:7]
	s_cbranch_execnz .LBB57_2072
.LBB57_22:
	s_or_b64 exec, exec, s[6:7]
	s_and_saveexec_b64 s[6:7], s[4:5]
	s_cbranch_execz .LBB57_24
.LBB57_23:
	v_bfe_u32 v21, v10, 16, 3
	v_ffbh_u32_e32 v24, v21
	v_min_u32_e32 v24, 32, v24
	v_lshrrev_b32_e32 v22, 19, v10
	v_subrev_u32_e32 v25, 28, v24
	v_and_b32_e32 v22, 15, v22
	v_lshlrev_b32_sdwa v25, v25, v10 dst_sel:DWORD dst_unused:UNUSED_PAD src0_sel:DWORD src1_sel:WORD_1
	v_bfe_u32 v23, v10, 19, 4
	v_sub_u32_e32 v24, 29, v24
	v_and_b32_e32 v25, 7, v25
	v_cmp_eq_u16_e32 vcc, 0, v22
	v_cndmask_b32_e32 v21, v21, v25, vcc
	v_cndmask_b32_e32 v22, v23, v24, vcc
	v_lshlrev_b32_e32 v23, 8, v10
	v_mov_b32_e32 v24, 0x3b800000
	v_lshlrev_b32_e32 v21, 20, v21
	v_and_b32_e32 v23, 0x80000000, v23
	v_lshl_add_u32 v22, v22, 23, v24
	v_or3_b32 v22, v23, v22, v21
.LBB57_24:
	s_or_b64 exec, exec, s[6:7]
	s_nop 0
	v_mfma_f32_16x16x4f32 a[0:3], v20, v22, a[0:3]
	s_movk_i32 s4, 0x7f
	v_cmp_gt_i16_sdwa s[6:7], v14, s4 src0_sel:BYTE_3 src1_sel:DWORD
	s_mov_b64 s[4:5], 0
                                        ; implicit-def: $sgpr10
	s_and_saveexec_b64 s[8:9], s[6:7]
	s_xor_b64 s[6:7], exec, s[8:9]
	s_cbranch_execnz .LBB57_2073
; %bb.25:
	s_or_saveexec_b64 s[6:7], s[6:7]
	v_mov_b32_e32 v20, s10
	s_xor_b64 exec, exec, s[6:7]
	s_cbranch_execnz .LBB57_2076
.LBB57_26:
	s_or_b64 exec, exec, s[6:7]
	s_and_saveexec_b64 s[6:7], s[4:5]
	s_cbranch_execz .LBB57_28
.LBB57_27:
	v_bfe_u32 v20, v14, 24, 3
	v_ffbh_u32_e32 v24, v20
	v_min_u32_e32 v24, 32, v24
	v_lshrrev_b32_e32 v22, 27, v14
	v_subrev_u32_e32 v25, 28, v24
	v_and_b32_e32 v21, 0x80000000, v14
	v_and_b32_e32 v22, 15, v22
	v_bfe_u32 v23, v14, 27, 4
	v_lshlrev_b32_sdwa v14, v25, v14 dst_sel:DWORD dst_unused:UNUSED_PAD src0_sel:DWORD src1_sel:BYTE_3
	v_sub_u32_e32 v24, 29, v24
	v_and_b32_e32 v14, 7, v14
	v_cmp_eq_u16_e32 vcc, 0, v22
	v_cndmask_b32_e32 v14, v20, v14, vcc
	v_cndmask_b32_e32 v20, v23, v24, vcc
	v_mov_b32_e32 v22, 0x3b800000
	v_lshlrev_b32_e32 v14, 20, v14
	v_lshl_add_u32 v20, v20, 23, v22
	v_or3_b32 v20, v21, v20, v14
.LBB57_28:
	s_or_b64 exec, exec, s[6:7]
	s_movk_i32 s4, 0x7f
	v_cmp_gt_i16_sdwa s[6:7], v10, s4 src0_sel:BYTE_3 src1_sel:DWORD
	s_mov_b64 s[4:5], 0
                                        ; implicit-def: $sgpr10
	s_and_saveexec_b64 s[8:9], s[6:7]
	s_xor_b64 s[6:7], exec, s[8:9]
	s_cbranch_execnz .LBB57_2077
; %bb.29:
	s_or_saveexec_b64 s[6:7], s[6:7]
	v_mov_b32_e32 v14, s10
	s_xor_b64 exec, exec, s[6:7]
	s_cbranch_execnz .LBB57_2080
.LBB57_30:
	s_or_b64 exec, exec, s[6:7]
	s_and_saveexec_b64 s[6:7], s[4:5]
	s_cbranch_execz .LBB57_32
.LBB57_31:
	v_bfe_u32 v14, v10, 24, 3
	v_ffbh_u32_e32 v24, v14
	v_min_u32_e32 v24, 32, v24
	v_lshrrev_b32_e32 v22, 27, v10
	v_subrev_u32_e32 v25, 28, v24
	v_and_b32_e32 v21, 0x80000000, v10
	v_and_b32_e32 v22, 15, v22
	v_bfe_u32 v23, v10, 27, 4
	v_lshlrev_b32_sdwa v10, v25, v10 dst_sel:DWORD dst_unused:UNUSED_PAD src0_sel:DWORD src1_sel:BYTE_3
	v_sub_u32_e32 v24, 29, v24
	v_and_b32_e32 v10, 7, v10
	v_cmp_eq_u16_e32 vcc, 0, v22
	v_cndmask_b32_e32 v10, v14, v10, vcc
	v_cndmask_b32_e32 v14, v23, v24, vcc
	v_mov_b32_e32 v22, 0x3b800000
	v_lshlrev_b32_e32 v10, 20, v10
	v_lshl_add_u32 v14, v14, 23, v22
	v_or3_b32 v14, v21, v14, v10
.LBB57_32:
	s_or_b64 exec, exec, s[6:7]
	s_nop 0
	v_mfma_f32_16x16x4f32 a[0:3], v20, v14, a[0:3]
	s_movk_i32 s4, 0x7f
	v_cmp_gt_i16_sdwa s[6:7], v15, s4 src0_sel:BYTE_0 src1_sel:DWORD
	s_mov_b64 s[4:5], 0
                                        ; implicit-def: $sgpr10
	s_and_saveexec_b64 s[8:9], s[6:7]
	s_xor_b64 s[6:7], exec, s[8:9]
	s_cbranch_execnz .LBB57_2081
; %bb.33:
	s_or_saveexec_b64 s[6:7], s[6:7]
	v_mov_b32_e32 v10, s10
	s_xor_b64 exec, exec, s[6:7]
	s_cbranch_execnz .LBB57_2084
.LBB57_34:
	s_or_b64 exec, exec, s[6:7]
	s_and_saveexec_b64 s[6:7], s[4:5]
	s_cbranch_execz .LBB57_36
.LBB57_35:
	v_and_b32_e32 v10, 7, v15
	v_ffbh_u32_e32 v20, v10
	v_min_u32_e32 v20, 32, v20
	v_lshrrev_b16_e32 v14, 3, v15
	v_subrev_u32_e32 v21, 28, v20
	v_and_b32_e32 v14, 15, v14
	v_lshlrev_b32_e32 v21, v21, v15
	v_sub_u32_e32 v20, 29, v20
	v_and_b32_e32 v21, 7, v21
	v_cmp_eq_u16_e32 vcc, 0, v14
	v_cndmask_b32_e32 v10, v10, v21, vcc
	v_cndmask_b32_e32 v14, v14, v20, vcc
	v_lshlrev_b32_e32 v20, 24, v15
	v_mov_b32_e32 v21, 0x3b800000
	v_lshlrev_b32_e32 v10, 20, v10
	v_and_b32_e32 v20, 0x80000000, v20
	v_lshl_add_u32 v14, v14, 23, v21
	v_or3_b32 v10, v20, v14, v10
.LBB57_36:
	s_or_b64 exec, exec, s[6:7]
	s_movk_i32 s4, 0x7f
	v_cmp_gt_i16_sdwa s[6:7], v11, s4 src0_sel:BYTE_0 src1_sel:DWORD
	s_mov_b64 s[4:5], 0
                                        ; implicit-def: $sgpr10
	s_and_saveexec_b64 s[8:9], s[6:7]
	s_xor_b64 s[6:7], exec, s[8:9]
	s_cbranch_execnz .LBB57_2085
; %bb.37:
	s_or_saveexec_b64 s[6:7], s[6:7]
	v_mov_b32_e32 v14, s10
	s_xor_b64 exec, exec, s[6:7]
	s_cbranch_execnz .LBB57_2088
.LBB57_38:
	s_or_b64 exec, exec, s[6:7]
	s_and_saveexec_b64 s[6:7], s[4:5]
	s_cbranch_execz .LBB57_40
.LBB57_39:
	v_and_b32_e32 v14, 7, v11
	v_ffbh_u32_e32 v21, v14
	v_min_u32_e32 v21, 32, v21
	v_lshrrev_b16_e32 v20, 3, v11
	v_subrev_u32_e32 v22, 28, v21
	v_and_b32_e32 v20, 15, v20
	v_lshlrev_b32_e32 v22, v22, v11
	v_sub_u32_e32 v21, 29, v21
	v_and_b32_e32 v22, 7, v22
	v_cmp_eq_u16_e32 vcc, 0, v20
	v_cndmask_b32_e32 v14, v14, v22, vcc
	v_cndmask_b32_e32 v20, v20, v21, vcc
	v_lshlrev_b32_e32 v21, 24, v11
	v_mov_b32_e32 v22, 0x3b800000
	v_lshlrev_b32_e32 v14, 20, v14
	v_and_b32_e32 v21, 0x80000000, v21
	v_lshl_add_u32 v20, v20, 23, v22
	v_or3_b32 v14, v21, v20, v14
.LBB57_40:
	s_or_b64 exec, exec, s[6:7]
	s_nop 0
	v_mfma_f32_16x16x4f32 a[0:3], v10, v14, a[0:3]
	v_lshrrev_b32_e32 v14, 8, v15
	s_movk_i32 s4, 0x7f
	v_cmp_gt_i16_sdwa s[6:7], v14, s4 src0_sel:BYTE_0 src1_sel:DWORD
	s_mov_b64 s[4:5], 0
                                        ; implicit-def: $sgpr10
	s_and_saveexec_b64 s[8:9], s[6:7]
	s_xor_b64 s[6:7], exec, s[8:9]
	s_cbranch_execnz .LBB57_2089
; %bb.41:
	s_or_saveexec_b64 s[6:7], s[6:7]
	v_mov_b32_e32 v10, s10
	s_xor_b64 exec, exec, s[6:7]
	s_cbranch_execnz .LBB57_2092
.LBB57_42:
	s_or_b64 exec, exec, s[6:7]
	s_and_saveexec_b64 s[6:7], s[4:5]
	s_cbranch_execz .LBB57_44
.LBB57_43:
	v_bfe_u32 v10, v15, 8, 3
	v_ffbh_u32_e32 v21, v10
	v_min_u32_e32 v21, 32, v21
	v_lshrrev_b16_e32 v20, 3, v14
	v_subrev_u32_e32 v22, 28, v21
	v_and_b32_e32 v20, 15, v20
	v_lshlrev_b32_e32 v14, v22, v14
	v_sub_u32_e32 v21, 29, v21
	v_and_b32_e32 v14, 7, v14
	v_cmp_eq_u16_e32 vcc, 0, v20
	v_cndmask_b32_e32 v10, v10, v14, vcc
	v_cndmask_b32_e32 v14, v20, v21, vcc
	v_lshlrev_b32_e32 v20, 16, v15
	v_mov_b32_e32 v21, 0x3b800000
	v_lshlrev_b32_e32 v10, 20, v10
	v_and_b32_e32 v20, 0x80000000, v20
	v_lshl_add_u32 v14, v14, 23, v21
	v_or3_b32 v10, v20, v14, v10
.LBB57_44:
	s_or_b64 exec, exec, s[6:7]
	v_lshrrev_b32_e32 v14, 8, v11
	s_movk_i32 s4, 0x7f
	v_cmp_gt_i16_sdwa s[6:7], v14, s4 src0_sel:BYTE_0 src1_sel:DWORD
	s_mov_b64 s[4:5], 0
                                        ; implicit-def: $sgpr10
	s_and_saveexec_b64 s[8:9], s[6:7]
	s_xor_b64 s[6:7], exec, s[8:9]
	s_cbranch_execnz .LBB57_2093
; %bb.45:
	s_or_saveexec_b64 s[6:7], s[6:7]
	v_mov_b32_e32 v20, s10
	s_xor_b64 exec, exec, s[6:7]
	s_cbranch_execnz .LBB57_2096
.LBB57_46:
	s_or_b64 exec, exec, s[6:7]
	s_and_saveexec_b64 s[6:7], s[4:5]
	s_cbranch_execz .LBB57_48
.LBB57_47:
	v_bfe_u32 v20, v11, 8, 3
	v_ffbh_u32_e32 v22, v20
	v_min_u32_e32 v22, 32, v22
	v_lshrrev_b16_e32 v21, 3, v14
	v_subrev_u32_e32 v23, 28, v22
	v_and_b32_e32 v21, 15, v21
	v_lshlrev_b32_e32 v14, v23, v14
	v_sub_u32_e32 v22, 29, v22
	v_and_b32_e32 v14, 7, v14
	v_cmp_eq_u16_e32 vcc, 0, v21
	v_cndmask_b32_e32 v14, v20, v14, vcc
	v_cndmask_b32_e32 v20, v21, v22, vcc
	v_lshlrev_b32_e32 v21, 16, v11
	v_mov_b32_e32 v22, 0x3b800000
	v_lshlrev_b32_e32 v14, 20, v14
	v_and_b32_e32 v21, 0x80000000, v21
	v_lshl_add_u32 v20, v20, 23, v22
	v_or3_b32 v20, v21, v20, v14
.LBB57_48:
	s_or_b64 exec, exec, s[6:7]
	s_nop 0
	v_mfma_f32_16x16x4f32 a[0:3], v10, v20, a[0:3]
	s_movk_i32 s4, 0xff
	v_and_b32_sdwa v14, v15, s4 dst_sel:DWORD dst_unused:UNUSED_PAD src0_sel:WORD_1 src1_sel:DWORD
	s_movk_i32 s4, 0x7f
	v_cmp_lt_i16_e32 vcc, s4, v14
	s_mov_b64 s[4:5], 0
                                        ; implicit-def: $sgpr10
	s_and_saveexec_b64 s[6:7], vcc
	s_xor_b64 s[6:7], exec, s[6:7]
	s_cbranch_execnz .LBB57_2097
; %bb.49:
	s_or_saveexec_b64 s[6:7], s[6:7]
	v_mov_b32_e32 v10, s10
	s_xor_b64 exec, exec, s[6:7]
	s_cbranch_execnz .LBB57_2100
.LBB57_50:
	s_or_b64 exec, exec, s[6:7]
	s_and_saveexec_b64 s[6:7], s[4:5]
	s_cbranch_execz .LBB57_52
.LBB57_51:
	v_bfe_u32 v10, v15, 16, 3
	v_ffbh_u32_e32 v21, v10
	v_min_u32_e32 v21, 32, v21
	v_lshrrev_b32_e32 v14, 19, v15
	v_subrev_u32_e32 v22, 28, v21
	v_and_b32_e32 v14, 15, v14
	v_lshlrev_b32_sdwa v22, v22, v15 dst_sel:DWORD dst_unused:UNUSED_PAD src0_sel:DWORD src1_sel:WORD_1
	v_bfe_u32 v20, v15, 19, 4
	v_sub_u32_e32 v21, 29, v21
	v_and_b32_e32 v22, 7, v22
	v_cmp_eq_u16_e32 vcc, 0, v14
	v_cndmask_b32_e32 v10, v10, v22, vcc
	v_cndmask_b32_e32 v14, v20, v21, vcc
	v_lshlrev_b32_e32 v20, 8, v15
	v_mov_b32_e32 v21, 0x3b800000
	v_lshlrev_b32_e32 v10, 20, v10
	v_and_b32_e32 v20, 0x80000000, v20
	v_lshl_add_u32 v14, v14, 23, v21
	v_or3_b32 v10, v20, v14, v10
.LBB57_52:
	s_or_b64 exec, exec, s[6:7]
	s_movk_i32 s4, 0xff
	v_and_b32_sdwa v14, v11, s4 dst_sel:DWORD dst_unused:UNUSED_PAD src0_sel:WORD_1 src1_sel:DWORD
	s_movk_i32 s4, 0x7f
	v_cmp_lt_i16_e32 vcc, s4, v14
	s_mov_b64 s[4:5], 0
                                        ; implicit-def: $sgpr10
	s_and_saveexec_b64 s[6:7], vcc
	s_xor_b64 s[6:7], exec, s[6:7]
	s_cbranch_execnz .LBB57_2101
; %bb.53:
	s_or_saveexec_b64 s[6:7], s[6:7]
	v_mov_b32_e32 v20, s10
	s_xor_b64 exec, exec, s[6:7]
	s_cbranch_execnz .LBB57_2104
.LBB57_54:
	s_or_b64 exec, exec, s[6:7]
	s_and_saveexec_b64 s[6:7], s[4:5]
	s_cbranch_execz .LBB57_56
.LBB57_55:
	v_bfe_u32 v14, v11, 16, 3
	v_ffbh_u32_e32 v22, v14
	v_min_u32_e32 v22, 32, v22
	v_lshrrev_b32_e32 v20, 19, v11
	v_subrev_u32_e32 v23, 28, v22
	v_and_b32_e32 v20, 15, v20
	v_lshlrev_b32_sdwa v23, v23, v11 dst_sel:DWORD dst_unused:UNUSED_PAD src0_sel:DWORD src1_sel:WORD_1
	v_bfe_u32 v21, v11, 19, 4
	v_sub_u32_e32 v22, 29, v22
	v_and_b32_e32 v23, 7, v23
	v_cmp_eq_u16_e32 vcc, 0, v20
	v_cndmask_b32_e32 v14, v14, v23, vcc
	v_cndmask_b32_e32 v20, v21, v22, vcc
	v_lshlrev_b32_e32 v21, 8, v11
	v_mov_b32_e32 v22, 0x3b800000
	v_lshlrev_b32_e32 v14, 20, v14
	v_and_b32_e32 v21, 0x80000000, v21
	v_lshl_add_u32 v20, v20, 23, v22
	v_or3_b32 v20, v21, v20, v14
.LBB57_56:
	s_or_b64 exec, exec, s[6:7]
	s_nop 0
	v_mfma_f32_16x16x4f32 a[0:3], v10, v20, a[0:3]
	s_movk_i32 s4, 0x7f
	v_cmp_gt_i16_sdwa s[6:7], v15, s4 src0_sel:BYTE_3 src1_sel:DWORD
	s_mov_b64 s[4:5], 0
                                        ; implicit-def: $sgpr10
	s_and_saveexec_b64 s[8:9], s[6:7]
	s_xor_b64 s[6:7], exec, s[8:9]
	s_cbranch_execnz .LBB57_2105
; %bb.57:
	s_or_saveexec_b64 s[6:7], s[6:7]
	v_mov_b32_e32 v10, s10
	s_xor_b64 exec, exec, s[6:7]
	s_cbranch_execnz .LBB57_2108
.LBB57_58:
	s_or_b64 exec, exec, s[6:7]
	s_and_saveexec_b64 s[6:7], s[4:5]
	s_cbranch_execz .LBB57_60
.LBB57_59:
	v_bfe_u32 v10, v15, 24, 3
	v_ffbh_u32_e32 v22, v10
	v_min_u32_e32 v22, 32, v22
	v_lshrrev_b32_e32 v20, 27, v15
	v_subrev_u32_e32 v23, 28, v22
	v_and_b32_e32 v14, 0x80000000, v15
	v_and_b32_e32 v20, 15, v20
	v_bfe_u32 v21, v15, 27, 4
	v_lshlrev_b32_sdwa v15, v23, v15 dst_sel:DWORD dst_unused:UNUSED_PAD src0_sel:DWORD src1_sel:BYTE_3
	v_sub_u32_e32 v22, 29, v22
	v_and_b32_e32 v15, 7, v15
	v_cmp_eq_u16_e32 vcc, 0, v20
	v_cndmask_b32_e32 v10, v10, v15, vcc
	v_cndmask_b32_e32 v15, v21, v22, vcc
	v_mov_b32_e32 v20, 0x3b800000
	v_lshlrev_b32_e32 v10, 20, v10
	v_lshl_add_u32 v15, v15, 23, v20
	v_or3_b32 v10, v14, v15, v10
.LBB57_60:
	s_or_b64 exec, exec, s[6:7]
	s_movk_i32 s4, 0x7f
	v_cmp_gt_i16_sdwa s[6:7], v11, s4 src0_sel:BYTE_3 src1_sel:DWORD
	s_mov_b64 s[4:5], 0
                                        ; implicit-def: $sgpr10
	s_and_saveexec_b64 s[8:9], s[6:7]
	s_xor_b64 s[6:7], exec, s[8:9]
	s_cbranch_execnz .LBB57_2109
; %bb.61:
	s_or_saveexec_b64 s[6:7], s[6:7]
	v_mov_b32_e32 v14, s10
	s_xor_b64 exec, exec, s[6:7]
	s_cbranch_execnz .LBB57_2112
.LBB57_62:
	s_or_b64 exec, exec, s[6:7]
	s_and_saveexec_b64 s[6:7], s[4:5]
	s_cbranch_execz .LBB57_64
.LBB57_63:
	v_bfe_u32 v14, v11, 24, 3
	v_ffbh_u32_e32 v22, v14
	v_min_u32_e32 v22, 32, v22
	v_lshrrev_b32_e32 v20, 27, v11
	v_subrev_u32_e32 v23, 28, v22
	v_and_b32_e32 v15, 0x80000000, v11
	v_and_b32_e32 v20, 15, v20
	v_bfe_u32 v21, v11, 27, 4
	v_lshlrev_b32_sdwa v11, v23, v11 dst_sel:DWORD dst_unused:UNUSED_PAD src0_sel:DWORD src1_sel:BYTE_3
	v_sub_u32_e32 v22, 29, v22
	v_and_b32_e32 v11, 7, v11
	v_cmp_eq_u16_e32 vcc, 0, v20
	v_cndmask_b32_e32 v11, v14, v11, vcc
	v_cndmask_b32_e32 v14, v21, v22, vcc
	v_mov_b32_e32 v20, 0x3b800000
	v_lshlrev_b32_e32 v11, 20, v11
	v_lshl_add_u32 v14, v14, 23, v20
	v_or3_b32 v14, v15, v14, v11
.LBB57_64:
	s_or_b64 exec, exec, s[6:7]
	s_nop 0
	v_mfma_f32_16x16x4f32 a[0:3], v10, v14, a[0:3]
	s_movk_i32 s4, 0x7f
	v_cmp_gt_i16_sdwa s[6:7], v16, s4 src0_sel:BYTE_0 src1_sel:DWORD
	s_mov_b64 s[4:5], 0
                                        ; implicit-def: $sgpr10
	s_and_saveexec_b64 s[8:9], s[6:7]
	s_xor_b64 s[6:7], exec, s[8:9]
	s_cbranch_execnz .LBB57_2113
; %bb.65:
	s_or_saveexec_b64 s[6:7], s[6:7]
	v_mov_b32_e32 v10, s10
	s_xor_b64 exec, exec, s[6:7]
	s_cbranch_execnz .LBB57_2116
.LBB57_66:
	s_or_b64 exec, exec, s[6:7]
	s_and_saveexec_b64 s[6:7], s[4:5]
	s_cbranch_execz .LBB57_68
.LBB57_67:
	v_and_b32_e32 v10, 7, v16
	v_ffbh_u32_e32 v14, v10
	v_min_u32_e32 v14, 32, v14
	v_lshrrev_b16_e32 v11, 3, v16
	v_subrev_u32_e32 v15, 28, v14
	v_and_b32_e32 v11, 15, v11
	v_lshlrev_b32_e32 v15, v15, v16
	v_sub_u32_e32 v14, 29, v14
	v_and_b32_e32 v15, 7, v15
	v_cmp_eq_u16_e32 vcc, 0, v11
	v_cndmask_b32_e32 v10, v10, v15, vcc
	v_cndmask_b32_e32 v11, v11, v14, vcc
	v_lshlrev_b32_e32 v14, 24, v16
	v_mov_b32_e32 v15, 0x3b800000
	v_lshlrev_b32_e32 v10, 20, v10
	v_and_b32_e32 v14, 0x80000000, v14
	v_lshl_add_u32 v11, v11, 23, v15
	v_or3_b32 v10, v14, v11, v10
.LBB57_68:
	s_or_b64 exec, exec, s[6:7]
	s_movk_i32 s4, 0x7f
	v_cmp_gt_i16_sdwa s[6:7], v12, s4 src0_sel:BYTE_0 src1_sel:DWORD
	s_mov_b64 s[4:5], 0
                                        ; implicit-def: $sgpr10
	s_and_saveexec_b64 s[8:9], s[6:7]
	s_xor_b64 s[6:7], exec, s[8:9]
	s_cbranch_execnz .LBB57_2117
; %bb.69:
	s_or_saveexec_b64 s[6:7], s[6:7]
	v_mov_b32_e32 v11, s10
	s_xor_b64 exec, exec, s[6:7]
	s_cbranch_execnz .LBB57_2120
.LBB57_70:
	s_or_b64 exec, exec, s[6:7]
	s_and_saveexec_b64 s[6:7], s[4:5]
	s_cbranch_execz .LBB57_72
.LBB57_71:
	v_and_b32_e32 v11, 7, v12
	v_ffbh_u32_e32 v15, v11
	v_min_u32_e32 v15, 32, v15
	v_lshrrev_b16_e32 v14, 3, v12
	v_subrev_u32_e32 v20, 28, v15
	v_and_b32_e32 v14, 15, v14
	v_lshlrev_b32_e32 v20, v20, v12
	v_sub_u32_e32 v15, 29, v15
	v_and_b32_e32 v20, 7, v20
	v_cmp_eq_u16_e32 vcc, 0, v14
	v_cndmask_b32_e32 v11, v11, v20, vcc
	v_cndmask_b32_e32 v14, v14, v15, vcc
	v_lshlrev_b32_e32 v15, 24, v12
	v_mov_b32_e32 v20, 0x3b800000
	v_lshlrev_b32_e32 v11, 20, v11
	v_and_b32_e32 v15, 0x80000000, v15
	v_lshl_add_u32 v14, v14, 23, v20
	v_or3_b32 v11, v15, v14, v11
.LBB57_72:
	s_or_b64 exec, exec, s[6:7]
	s_nop 0
	v_mfma_f32_16x16x4f32 a[0:3], v10, v11, a[0:3]
	v_lshrrev_b32_e32 v11, 8, v16
	s_movk_i32 s4, 0x7f
	v_cmp_gt_i16_sdwa s[6:7], v11, s4 src0_sel:BYTE_0 src1_sel:DWORD
	s_mov_b64 s[4:5], 0
                                        ; implicit-def: $sgpr10
	s_and_saveexec_b64 s[8:9], s[6:7]
	s_xor_b64 s[6:7], exec, s[8:9]
	s_cbranch_execnz .LBB57_2121
; %bb.73:
	s_or_saveexec_b64 s[6:7], s[6:7]
	v_mov_b32_e32 v10, s10
	s_xor_b64 exec, exec, s[6:7]
	s_cbranch_execnz .LBB57_2124
.LBB57_74:
	s_or_b64 exec, exec, s[6:7]
	s_and_saveexec_b64 s[6:7], s[4:5]
	s_cbranch_execz .LBB57_76
.LBB57_75:
	v_bfe_u32 v10, v16, 8, 3
	v_ffbh_u32_e32 v15, v10
	v_min_u32_e32 v15, 32, v15
	v_lshrrev_b16_e32 v14, 3, v11
	v_subrev_u32_e32 v20, 28, v15
	v_and_b32_e32 v14, 15, v14
	v_lshlrev_b32_e32 v11, v20, v11
	v_sub_u32_e32 v15, 29, v15
	v_and_b32_e32 v11, 7, v11
	v_cmp_eq_u16_e32 vcc, 0, v14
	v_cndmask_b32_e32 v10, v10, v11, vcc
	v_cndmask_b32_e32 v11, v14, v15, vcc
	v_lshlrev_b32_e32 v14, 16, v16
	v_mov_b32_e32 v15, 0x3b800000
	v_lshlrev_b32_e32 v10, 20, v10
	v_and_b32_e32 v14, 0x80000000, v14
	v_lshl_add_u32 v11, v11, 23, v15
	v_or3_b32 v10, v14, v11, v10
.LBB57_76:
	s_or_b64 exec, exec, s[6:7]
	v_lshrrev_b32_e32 v11, 8, v12
	s_movk_i32 s4, 0x7f
	v_cmp_gt_i16_sdwa s[6:7], v11, s4 src0_sel:BYTE_0 src1_sel:DWORD
	s_mov_b64 s[4:5], 0
                                        ; implicit-def: $sgpr10
	s_and_saveexec_b64 s[8:9], s[6:7]
	s_xor_b64 s[6:7], exec, s[8:9]
	s_cbranch_execnz .LBB57_2125
; %bb.77:
	s_or_saveexec_b64 s[6:7], s[6:7]
	v_mov_b32_e32 v14, s10
	s_xor_b64 exec, exec, s[6:7]
	s_cbranch_execnz .LBB57_2128
.LBB57_78:
	s_or_b64 exec, exec, s[6:7]
	s_and_saveexec_b64 s[6:7], s[4:5]
	s_cbranch_execz .LBB57_80
.LBB57_79:
	v_bfe_u32 v14, v12, 8, 3
	v_ffbh_u32_e32 v20, v14
	v_min_u32_e32 v20, 32, v20
	v_lshrrev_b16_e32 v15, 3, v11
	v_subrev_u32_e32 v21, 28, v20
	v_and_b32_e32 v15, 15, v15
	v_lshlrev_b32_e32 v11, v21, v11
	v_sub_u32_e32 v20, 29, v20
	v_and_b32_e32 v11, 7, v11
	v_cmp_eq_u16_e32 vcc, 0, v15
	v_cndmask_b32_e32 v11, v14, v11, vcc
	v_cndmask_b32_e32 v14, v15, v20, vcc
	v_lshlrev_b32_e32 v15, 16, v12
	v_mov_b32_e32 v20, 0x3b800000
	v_lshlrev_b32_e32 v11, 20, v11
	v_and_b32_e32 v15, 0x80000000, v15
	v_lshl_add_u32 v14, v14, 23, v20
	v_or3_b32 v14, v15, v14, v11
.LBB57_80:
	s_or_b64 exec, exec, s[6:7]
	s_nop 0
	v_mfma_f32_16x16x4f32 a[0:3], v10, v14, a[0:3]
	s_movk_i32 s4, 0xff
	v_and_b32_sdwa v11, v16, s4 dst_sel:DWORD dst_unused:UNUSED_PAD src0_sel:WORD_1 src1_sel:DWORD
	s_movk_i32 s4, 0x7f
	v_cmp_lt_i16_e32 vcc, s4, v11
	s_mov_b64 s[4:5], 0
                                        ; implicit-def: $sgpr10
	s_and_saveexec_b64 s[6:7], vcc
	s_xor_b64 s[6:7], exec, s[6:7]
	s_cbranch_execnz .LBB57_2129
; %bb.81:
	s_or_saveexec_b64 s[6:7], s[6:7]
	v_mov_b32_e32 v10, s10
	s_xor_b64 exec, exec, s[6:7]
	s_cbranch_execnz .LBB57_2132
.LBB57_82:
	s_or_b64 exec, exec, s[6:7]
	s_and_saveexec_b64 s[6:7], s[4:5]
	s_cbranch_execz .LBB57_84
.LBB57_83:
	v_bfe_u32 v10, v16, 16, 3
	v_ffbh_u32_e32 v15, v10
	v_min_u32_e32 v15, 32, v15
	v_lshrrev_b32_e32 v11, 19, v16
	v_subrev_u32_e32 v20, 28, v15
	v_and_b32_e32 v11, 15, v11
	v_lshlrev_b32_sdwa v20, v20, v16 dst_sel:DWORD dst_unused:UNUSED_PAD src0_sel:DWORD src1_sel:WORD_1
	v_bfe_u32 v14, v16, 19, 4
	v_sub_u32_e32 v15, 29, v15
	v_and_b32_e32 v20, 7, v20
	v_cmp_eq_u16_e32 vcc, 0, v11
	v_cndmask_b32_e32 v10, v10, v20, vcc
	v_cndmask_b32_e32 v11, v14, v15, vcc
	v_lshlrev_b32_e32 v14, 8, v16
	v_mov_b32_e32 v15, 0x3b800000
	v_lshlrev_b32_e32 v10, 20, v10
	v_and_b32_e32 v14, 0x80000000, v14
	v_lshl_add_u32 v11, v11, 23, v15
	v_or3_b32 v10, v14, v11, v10
.LBB57_84:
	s_or_b64 exec, exec, s[6:7]
	s_movk_i32 s4, 0xff
	v_and_b32_sdwa v11, v12, s4 dst_sel:DWORD dst_unused:UNUSED_PAD src0_sel:WORD_1 src1_sel:DWORD
	s_movk_i32 s4, 0x7f
	v_cmp_lt_i16_e32 vcc, s4, v11
	s_mov_b64 s[4:5], 0
                                        ; implicit-def: $sgpr10
	s_and_saveexec_b64 s[6:7], vcc
	s_xor_b64 s[6:7], exec, s[6:7]
	s_cbranch_execnz .LBB57_2133
; %bb.85:
	s_or_saveexec_b64 s[6:7], s[6:7]
	v_mov_b32_e32 v14, s10
	s_xor_b64 exec, exec, s[6:7]
	s_cbranch_execnz .LBB57_2136
.LBB57_86:
	s_or_b64 exec, exec, s[6:7]
	s_and_saveexec_b64 s[6:7], s[4:5]
	s_cbranch_execz .LBB57_88
.LBB57_87:
	v_bfe_u32 v11, v12, 16, 3
	v_ffbh_u32_e32 v20, v11
	v_min_u32_e32 v20, 32, v20
	v_lshrrev_b32_e32 v14, 19, v12
	v_subrev_u32_e32 v21, 28, v20
	v_and_b32_e32 v14, 15, v14
	v_lshlrev_b32_sdwa v21, v21, v12 dst_sel:DWORD dst_unused:UNUSED_PAD src0_sel:DWORD src1_sel:WORD_1
	v_bfe_u32 v15, v12, 19, 4
	v_sub_u32_e32 v20, 29, v20
	v_and_b32_e32 v21, 7, v21
	v_cmp_eq_u16_e32 vcc, 0, v14
	v_cndmask_b32_e32 v11, v11, v21, vcc
	v_cndmask_b32_e32 v14, v15, v20, vcc
	v_lshlrev_b32_e32 v15, 8, v12
	v_mov_b32_e32 v20, 0x3b800000
	v_lshlrev_b32_e32 v11, 20, v11
	v_and_b32_e32 v15, 0x80000000, v15
	v_lshl_add_u32 v14, v14, 23, v20
	v_or3_b32 v14, v15, v14, v11
.LBB57_88:
	s_or_b64 exec, exec, s[6:7]
	s_nop 0
	v_mfma_f32_16x16x4f32 a[0:3], v10, v14, a[0:3]
	s_movk_i32 s4, 0x7f
	v_cmp_gt_i16_sdwa s[6:7], v16, s4 src0_sel:BYTE_3 src1_sel:DWORD
	s_mov_b64 s[4:5], 0
                                        ; implicit-def: $sgpr10
	s_and_saveexec_b64 s[8:9], s[6:7]
	s_xor_b64 s[6:7], exec, s[8:9]
	s_cbranch_execnz .LBB57_2137
; %bb.89:
	s_or_saveexec_b64 s[6:7], s[6:7]
	v_mov_b32_e32 v10, s10
	s_xor_b64 exec, exec, s[6:7]
	s_cbranch_execnz .LBB57_2140
.LBB57_90:
	s_or_b64 exec, exec, s[6:7]
	s_and_saveexec_b64 s[6:7], s[4:5]
	s_cbranch_execz .LBB57_92
.LBB57_91:
	v_bfe_u32 v10, v16, 24, 3
	v_ffbh_u32_e32 v20, v10
	v_min_u32_e32 v20, 32, v20
	v_lshrrev_b32_e32 v14, 27, v16
	v_subrev_u32_e32 v21, 28, v20
	v_and_b32_e32 v11, 0x80000000, v16
	v_and_b32_e32 v14, 15, v14
	v_bfe_u32 v15, v16, 27, 4
	v_lshlrev_b32_sdwa v16, v21, v16 dst_sel:DWORD dst_unused:UNUSED_PAD src0_sel:DWORD src1_sel:BYTE_3
	v_sub_u32_e32 v20, 29, v20
	v_and_b32_e32 v16, 7, v16
	v_cmp_eq_u16_e32 vcc, 0, v14
	v_cndmask_b32_e32 v10, v10, v16, vcc
	v_cndmask_b32_e32 v14, v15, v20, vcc
	v_mov_b32_e32 v15, 0x3b800000
	v_lshlrev_b32_e32 v10, 20, v10
	v_lshl_add_u32 v14, v14, 23, v15
	v_or3_b32 v10, v11, v14, v10
.LBB57_92:
	s_or_b64 exec, exec, s[6:7]
	s_movk_i32 s4, 0x7f
	v_cmp_gt_i16_sdwa s[6:7], v12, s4 src0_sel:BYTE_3 src1_sel:DWORD
	s_mov_b64 s[4:5], 0
                                        ; implicit-def: $sgpr10
	s_and_saveexec_b64 s[8:9], s[6:7]
	s_xor_b64 s[6:7], exec, s[8:9]
	s_cbranch_execnz .LBB57_2141
; %bb.93:
	s_or_saveexec_b64 s[6:7], s[6:7]
	v_mov_b32_e32 v11, s10
	s_xor_b64 exec, exec, s[6:7]
	s_cbranch_execnz .LBB57_2144
.LBB57_94:
	s_or_b64 exec, exec, s[6:7]
	s_and_saveexec_b64 s[6:7], s[4:5]
	s_cbranch_execz .LBB57_96
.LBB57_95:
	v_bfe_u32 v11, v12, 24, 3
	v_ffbh_u32_e32 v20, v11
	v_min_u32_e32 v20, 32, v20
	v_lshrrev_b32_e32 v15, 27, v12
	v_subrev_u32_e32 v21, 28, v20
	v_and_b32_e32 v14, 0x80000000, v12
	v_and_b32_e32 v15, 15, v15
	v_bfe_u32 v16, v12, 27, 4
	v_lshlrev_b32_sdwa v12, v21, v12 dst_sel:DWORD dst_unused:UNUSED_PAD src0_sel:DWORD src1_sel:BYTE_3
	v_sub_u32_e32 v20, 29, v20
	v_and_b32_e32 v12, 7, v12
	v_cmp_eq_u16_e32 vcc, 0, v15
	v_cndmask_b32_e32 v11, v11, v12, vcc
	v_cndmask_b32_e32 v12, v16, v20, vcc
	v_mov_b32_e32 v15, 0x3b800000
	v_lshlrev_b32_e32 v11, 20, v11
	v_lshl_add_u32 v12, v12, 23, v15
	v_or3_b32 v11, v14, v12, v11
.LBB57_96:
	s_or_b64 exec, exec, s[6:7]
	s_nop 0
	v_mfma_f32_16x16x4f32 a[0:3], v10, v11, a[0:3]
	s_movk_i32 s4, 0x7f
	v_cmp_gt_i16_sdwa s[6:7], v17, s4 src0_sel:BYTE_0 src1_sel:DWORD
	s_mov_b64 s[4:5], 0
                                        ; implicit-def: $sgpr10
	s_and_saveexec_b64 s[8:9], s[6:7]
	s_xor_b64 s[6:7], exec, s[8:9]
	s_cbranch_execnz .LBB57_2145
; %bb.97:
	s_or_saveexec_b64 s[6:7], s[6:7]
	v_mov_b32_e32 v10, s10
	s_xor_b64 exec, exec, s[6:7]
	s_cbranch_execnz .LBB57_2148
.LBB57_98:
	s_or_b64 exec, exec, s[6:7]
	s_and_saveexec_b64 s[6:7], s[4:5]
	s_cbranch_execz .LBB57_100
.LBB57_99:
	v_and_b32_e32 v10, 7, v17
	v_ffbh_u32_e32 v12, v10
	v_min_u32_e32 v12, 32, v12
	v_lshrrev_b16_e32 v11, 3, v17
	v_subrev_u32_e32 v14, 28, v12
	v_and_b32_e32 v11, 15, v11
	v_lshlrev_b32_e32 v14, v14, v17
	v_sub_u32_e32 v12, 29, v12
	v_and_b32_e32 v14, 7, v14
	v_cmp_eq_u16_e32 vcc, 0, v11
	v_cndmask_b32_e32 v10, v10, v14, vcc
	v_cndmask_b32_e32 v11, v11, v12, vcc
	v_lshlrev_b32_e32 v12, 24, v17
	v_mov_b32_e32 v14, 0x3b800000
	v_lshlrev_b32_e32 v10, 20, v10
	v_and_b32_e32 v12, 0x80000000, v12
	v_lshl_add_u32 v11, v11, 23, v14
	v_or3_b32 v10, v12, v11, v10
.LBB57_100:
	s_or_b64 exec, exec, s[6:7]
	s_movk_i32 s4, 0x7f
	v_cmp_gt_i16_sdwa s[6:7], v13, s4 src0_sel:BYTE_0 src1_sel:DWORD
	s_mov_b64 s[4:5], 0
                                        ; implicit-def: $sgpr10
	s_and_saveexec_b64 s[8:9], s[6:7]
	s_xor_b64 s[6:7], exec, s[8:9]
	s_cbranch_execnz .LBB57_2149
; %bb.101:
	s_or_saveexec_b64 s[6:7], s[6:7]
	v_mov_b32_e32 v11, s10
	s_xor_b64 exec, exec, s[6:7]
	s_cbranch_execnz .LBB57_2152
.LBB57_102:
	s_or_b64 exec, exec, s[6:7]
	s_and_saveexec_b64 s[6:7], s[4:5]
	s_cbranch_execz .LBB57_104
.LBB57_103:
	v_and_b32_e32 v11, 7, v13
	v_ffbh_u32_e32 v14, v11
	v_min_u32_e32 v14, 32, v14
	v_lshrrev_b16_e32 v12, 3, v13
	v_subrev_u32_e32 v15, 28, v14
	v_and_b32_e32 v12, 15, v12
	v_lshlrev_b32_e32 v15, v15, v13
	v_sub_u32_e32 v14, 29, v14
	v_and_b32_e32 v15, 7, v15
	v_cmp_eq_u16_e32 vcc, 0, v12
	v_cndmask_b32_e32 v11, v11, v15, vcc
	v_cndmask_b32_e32 v12, v12, v14, vcc
	v_lshlrev_b32_e32 v14, 24, v13
	v_mov_b32_e32 v15, 0x3b800000
	v_lshlrev_b32_e32 v11, 20, v11
	v_and_b32_e32 v14, 0x80000000, v14
	v_lshl_add_u32 v12, v12, 23, v15
	v_or3_b32 v11, v14, v12, v11
.LBB57_104:
	s_or_b64 exec, exec, s[6:7]
	s_nop 0
	v_mfma_f32_16x16x4f32 a[0:3], v10, v11, a[0:3]
	v_lshrrev_b32_e32 v11, 8, v17
	s_movk_i32 s4, 0x7f
	v_cmp_gt_i16_sdwa s[6:7], v11, s4 src0_sel:BYTE_0 src1_sel:DWORD
	s_mov_b64 s[4:5], 0
                                        ; implicit-def: $sgpr10
	s_and_saveexec_b64 s[8:9], s[6:7]
	s_xor_b64 s[6:7], exec, s[8:9]
	s_cbranch_execnz .LBB57_2153
; %bb.105:
	s_or_saveexec_b64 s[6:7], s[6:7]
	v_mov_b32_e32 v10, s10
	s_xor_b64 exec, exec, s[6:7]
	s_cbranch_execnz .LBB57_2156
.LBB57_106:
	s_or_b64 exec, exec, s[6:7]
	s_and_saveexec_b64 s[6:7], s[4:5]
	s_cbranch_execz .LBB57_108
.LBB57_107:
	v_bfe_u32 v10, v17, 8, 3
	v_ffbh_u32_e32 v14, v10
	v_min_u32_e32 v14, 32, v14
	v_lshrrev_b16_e32 v12, 3, v11
	v_subrev_u32_e32 v15, 28, v14
	v_and_b32_e32 v12, 15, v12
	v_lshlrev_b32_e32 v11, v15, v11
	v_sub_u32_e32 v14, 29, v14
	v_and_b32_e32 v11, 7, v11
	v_cmp_eq_u16_e32 vcc, 0, v12
	v_cndmask_b32_e32 v10, v10, v11, vcc
	v_cndmask_b32_e32 v11, v12, v14, vcc
	v_lshlrev_b32_e32 v12, 16, v17
	v_mov_b32_e32 v14, 0x3b800000
	v_lshlrev_b32_e32 v10, 20, v10
	v_and_b32_e32 v12, 0x80000000, v12
	v_lshl_add_u32 v11, v11, 23, v14
	v_or3_b32 v10, v12, v11, v10
.LBB57_108:
	s_or_b64 exec, exec, s[6:7]
	v_lshrrev_b32_e32 v11, 8, v13
	s_movk_i32 s4, 0x7f
	v_cmp_gt_i16_sdwa s[6:7], v11, s4 src0_sel:BYTE_0 src1_sel:DWORD
	s_mov_b64 s[4:5], 0
                                        ; implicit-def: $sgpr10
	s_and_saveexec_b64 s[8:9], s[6:7]
	s_xor_b64 s[6:7], exec, s[8:9]
	s_cbranch_execnz .LBB57_2157
; %bb.109:
	s_or_saveexec_b64 s[6:7], s[6:7]
	v_mov_b32_e32 v12, s10
	s_xor_b64 exec, exec, s[6:7]
	s_cbranch_execnz .LBB57_2160
.LBB57_110:
	s_or_b64 exec, exec, s[6:7]
	s_and_saveexec_b64 s[6:7], s[4:5]
	s_cbranch_execz .LBB57_112
.LBB57_111:
	v_bfe_u32 v12, v13, 8, 3
	v_ffbh_u32_e32 v15, v12
	v_min_u32_e32 v15, 32, v15
	v_lshrrev_b16_e32 v14, 3, v11
	v_subrev_u32_e32 v16, 28, v15
	v_and_b32_e32 v14, 15, v14
	v_lshlrev_b32_e32 v11, v16, v11
	v_sub_u32_e32 v15, 29, v15
	v_and_b32_e32 v11, 7, v11
	v_cmp_eq_u16_e32 vcc, 0, v14
	v_cndmask_b32_e32 v11, v12, v11, vcc
	v_cndmask_b32_e32 v12, v14, v15, vcc
	v_lshlrev_b32_e32 v14, 16, v13
	v_mov_b32_e32 v15, 0x3b800000
	v_lshlrev_b32_e32 v11, 20, v11
	v_and_b32_e32 v14, 0x80000000, v14
	v_lshl_add_u32 v12, v12, 23, v15
	v_or3_b32 v12, v14, v12, v11
.LBB57_112:
	s_or_b64 exec, exec, s[6:7]
	s_nop 0
	v_mfma_f32_16x16x4f32 a[0:3], v10, v12, a[0:3]
	s_movk_i32 s4, 0xff
	v_and_b32_sdwa v11, v17, s4 dst_sel:DWORD dst_unused:UNUSED_PAD src0_sel:WORD_1 src1_sel:DWORD
	s_movk_i32 s4, 0x7f
	v_cmp_lt_i16_e32 vcc, s4, v11
	s_mov_b64 s[4:5], 0
                                        ; implicit-def: $sgpr10
	s_and_saveexec_b64 s[6:7], vcc
	s_xor_b64 s[6:7], exec, s[6:7]
	s_cbranch_execnz .LBB57_2161
; %bb.113:
	s_or_saveexec_b64 s[6:7], s[6:7]
	v_mov_b32_e32 v10, s10
	s_xor_b64 exec, exec, s[6:7]
	s_cbranch_execnz .LBB57_2164
.LBB57_114:
	s_or_b64 exec, exec, s[6:7]
	s_and_saveexec_b64 s[6:7], s[4:5]
	s_cbranch_execz .LBB57_116
.LBB57_115:
	v_bfe_u32 v10, v17, 16, 3
	v_ffbh_u32_e32 v14, v10
	v_min_u32_e32 v14, 32, v14
	v_lshrrev_b32_e32 v11, 19, v17
	v_subrev_u32_e32 v15, 28, v14
	v_and_b32_e32 v11, 15, v11
	v_lshlrev_b32_sdwa v15, v15, v17 dst_sel:DWORD dst_unused:UNUSED_PAD src0_sel:DWORD src1_sel:WORD_1
	v_bfe_u32 v12, v17, 19, 4
	v_sub_u32_e32 v14, 29, v14
	v_and_b32_e32 v15, 7, v15
	v_cmp_eq_u16_e32 vcc, 0, v11
	v_cndmask_b32_e32 v10, v10, v15, vcc
	v_cndmask_b32_e32 v11, v12, v14, vcc
	v_lshlrev_b32_e32 v12, 8, v17
	v_mov_b32_e32 v14, 0x3b800000
	v_lshlrev_b32_e32 v10, 20, v10
	v_and_b32_e32 v12, 0x80000000, v12
	v_lshl_add_u32 v11, v11, 23, v14
	v_or3_b32 v10, v12, v11, v10
.LBB57_116:
	s_or_b64 exec, exec, s[6:7]
	s_movk_i32 s4, 0xff
	v_and_b32_sdwa v11, v13, s4 dst_sel:DWORD dst_unused:UNUSED_PAD src0_sel:WORD_1 src1_sel:DWORD
	s_movk_i32 s4, 0x7f
	v_cmp_lt_i16_e32 vcc, s4, v11
	s_mov_b64 s[4:5], 0
                                        ; implicit-def: $sgpr10
	s_and_saveexec_b64 s[6:7], vcc
	s_xor_b64 s[6:7], exec, s[6:7]
	s_cbranch_execnz .LBB57_2165
; %bb.117:
	s_or_saveexec_b64 s[6:7], s[6:7]
	v_mov_b32_e32 v12, s10
	s_xor_b64 exec, exec, s[6:7]
	s_cbranch_execnz .LBB57_2168
.LBB57_118:
	s_or_b64 exec, exec, s[6:7]
	s_and_saveexec_b64 s[6:7], s[4:5]
	s_cbranch_execz .LBB57_120
.LBB57_119:
	v_bfe_u32 v11, v13, 16, 3
	v_ffbh_u32_e32 v15, v11
	v_min_u32_e32 v15, 32, v15
	v_lshrrev_b32_e32 v12, 19, v13
	v_subrev_u32_e32 v16, 28, v15
	v_and_b32_e32 v12, 15, v12
	v_lshlrev_b32_sdwa v16, v16, v13 dst_sel:DWORD dst_unused:UNUSED_PAD src0_sel:DWORD src1_sel:WORD_1
	v_bfe_u32 v14, v13, 19, 4
	v_sub_u32_e32 v15, 29, v15
	v_and_b32_e32 v16, 7, v16
	v_cmp_eq_u16_e32 vcc, 0, v12
	v_cndmask_b32_e32 v11, v11, v16, vcc
	v_cndmask_b32_e32 v12, v14, v15, vcc
	v_lshlrev_b32_e32 v14, 8, v13
	v_mov_b32_e32 v15, 0x3b800000
	v_lshlrev_b32_e32 v11, 20, v11
	v_and_b32_e32 v14, 0x80000000, v14
	v_lshl_add_u32 v12, v12, 23, v15
	v_or3_b32 v12, v14, v12, v11
.LBB57_120:
	s_or_b64 exec, exec, s[6:7]
	s_nop 0
	v_mfma_f32_16x16x4f32 a[0:3], v10, v12, a[0:3]
	s_movk_i32 s4, 0x7f
	v_cmp_gt_i16_sdwa s[6:7], v17, s4 src0_sel:BYTE_3 src1_sel:DWORD
	s_mov_b64 s[4:5], 0
                                        ; implicit-def: $sgpr10
	s_and_saveexec_b64 s[8:9], s[6:7]
	s_xor_b64 s[6:7], exec, s[8:9]
	s_cbranch_execnz .LBB57_2169
; %bb.121:
	s_or_saveexec_b64 s[6:7], s[6:7]
	v_mov_b32_e32 v10, s10
	s_xor_b64 exec, exec, s[6:7]
	s_cbranch_execnz .LBB57_2172
.LBB57_122:
	s_or_b64 exec, exec, s[6:7]
	s_and_saveexec_b64 s[6:7], s[4:5]
	s_cbranch_execz .LBB57_124
.LBB57_123:
	v_bfe_u32 v10, v17, 24, 3
	v_ffbh_u32_e32 v15, v10
	v_min_u32_e32 v15, 32, v15
	v_lshrrev_b32_e32 v12, 27, v17
	v_subrev_u32_e32 v16, 28, v15
	v_and_b32_e32 v12, 15, v12
	v_lshlrev_b32_sdwa v16, v16, v17 dst_sel:DWORD dst_unused:UNUSED_PAD src0_sel:DWORD src1_sel:BYTE_3
	v_bfe_u32 v14, v17, 27, 4
	v_sub_u32_e32 v15, 29, v15
	v_and_b32_e32 v16, 7, v16
	v_cmp_eq_u16_e32 vcc, 0, v12
	v_cndmask_b32_e32 v10, v10, v16, vcc
	v_cndmask_b32_e32 v12, v14, v15, vcc
	v_mov_b32_e32 v14, 0x3b800000
	v_and_b32_e32 v11, 0x80000000, v17
	v_lshlrev_b32_e32 v10, 20, v10
	v_lshl_add_u32 v12, v12, 23, v14
	v_or3_b32 v10, v11, v12, v10
.LBB57_124:
	s_or_b64 exec, exec, s[6:7]
	s_movk_i32 s4, 0x7f
	v_cmp_gt_i16_sdwa s[6:7], v13, s4 src0_sel:BYTE_3 src1_sel:DWORD
	s_mov_b64 s[4:5], 0
                                        ; implicit-def: $sgpr10
	s_and_saveexec_b64 s[8:9], s[6:7]
	s_xor_b64 s[6:7], exec, s[8:9]
	s_cbranch_execnz .LBB57_2173
; %bb.125:
	s_or_saveexec_b64 s[6:7], s[6:7]
	v_mov_b32_e32 v11, s10
	s_xor_b64 exec, exec, s[6:7]
	s_cbranch_execnz .LBB57_2176
.LBB57_126:
	s_or_b64 exec, exec, s[6:7]
	s_and_saveexec_b64 s[6:7], s[4:5]
	s_cbranch_execz .LBB57_128
.LBB57_127:
	v_bfe_u32 v11, v13, 24, 3
	v_ffbh_u32_e32 v16, v11
	v_min_u32_e32 v16, 32, v16
	v_lshrrev_b32_e32 v14, 27, v13
	v_subrev_u32_e32 v17, 28, v16
	v_and_b32_e32 v12, 0x80000000, v13
	v_and_b32_e32 v14, 15, v14
	v_bfe_u32 v15, v13, 27, 4
	v_lshlrev_b32_sdwa v13, v17, v13 dst_sel:DWORD dst_unused:UNUSED_PAD src0_sel:DWORD src1_sel:BYTE_3
	v_sub_u32_e32 v16, 29, v16
	v_and_b32_e32 v13, 7, v13
	v_cmp_eq_u16_e32 vcc, 0, v14
	v_cndmask_b32_e32 v11, v11, v13, vcc
	v_cndmask_b32_e32 v13, v15, v16, vcc
	v_mov_b32_e32 v14, 0x3b800000
	v_lshlrev_b32_e32 v11, 20, v11
	v_lshl_add_u32 v13, v13, 23, v14
	v_or3_b32 v11, v12, v13, v11
.LBB57_128:
	s_or_b64 exec, exec, s[6:7]
	s_nop 0
	v_mfma_f32_16x16x4f32 a[0:3], v10, v11, a[0:3]
	s_movk_i32 s4, 0x7f
	v_cmp_gt_i16_sdwa s[6:7], v6, s4 src0_sel:BYTE_0 src1_sel:DWORD
	s_mov_b64 s[4:5], 0
                                        ; implicit-def: $sgpr10
	s_and_saveexec_b64 s[8:9], s[6:7]
	s_xor_b64 s[6:7], exec, s[8:9]
	s_cbranch_execnz .LBB57_2177
; %bb.129:
	s_or_saveexec_b64 s[6:7], s[6:7]
	v_mov_b32_e32 v10, s10
	s_xor_b64 exec, exec, s[6:7]
	s_cbranch_execnz .LBB57_2180
.LBB57_130:
	s_or_b64 exec, exec, s[6:7]
	s_and_saveexec_b64 s[6:7], s[4:5]
	s_cbranch_execz .LBB57_132
.LBB57_131:
	v_and_b32_e32 v10, 7, v6
	v_ffbh_u32_e32 v12, v10
	v_min_u32_e32 v12, 32, v12
	v_lshrrev_b16_e32 v11, 3, v6
	v_subrev_u32_e32 v13, 28, v12
	v_and_b32_e32 v11, 15, v11
	v_lshlrev_b32_e32 v13, v13, v6
	v_sub_u32_e32 v12, 29, v12
	v_and_b32_e32 v13, 7, v13
	v_cmp_eq_u16_e32 vcc, 0, v11
	v_cndmask_b32_e32 v10, v10, v13, vcc
	v_cndmask_b32_e32 v11, v11, v12, vcc
	v_lshlrev_b32_e32 v12, 24, v6
	v_mov_b32_e32 v13, 0x3b800000
	v_lshlrev_b32_e32 v10, 20, v10
	v_and_b32_e32 v12, 0x80000000, v12
	v_lshl_add_u32 v11, v11, 23, v13
	v_or3_b32 v10, v12, v11, v10
.LBB57_132:
	s_or_b64 exec, exec, s[6:7]
	s_movk_i32 s4, 0x7f
	v_cmp_gt_i16_sdwa s[6:7], v2, s4 src0_sel:BYTE_0 src1_sel:DWORD
	s_mov_b64 s[4:5], 0
                                        ; implicit-def: $sgpr10
	s_and_saveexec_b64 s[8:9], s[6:7]
	s_xor_b64 s[6:7], exec, s[8:9]
	s_cbranch_execnz .LBB57_2181
; %bb.133:
	s_or_saveexec_b64 s[6:7], s[6:7]
	v_mov_b32_e32 v11, s10
	s_xor_b64 exec, exec, s[6:7]
	s_cbranch_execnz .LBB57_2184
.LBB57_134:
	s_or_b64 exec, exec, s[6:7]
	s_and_saveexec_b64 s[6:7], s[4:5]
	s_cbranch_execz .LBB57_136
.LBB57_135:
	v_and_b32_e32 v11, 7, v2
	v_ffbh_u32_e32 v13, v11
	v_min_u32_e32 v13, 32, v13
	v_lshrrev_b16_e32 v12, 3, v2
	v_subrev_u32_e32 v14, 28, v13
	v_and_b32_e32 v12, 15, v12
	v_lshlrev_b32_e32 v14, v14, v2
	v_sub_u32_e32 v13, 29, v13
	v_and_b32_e32 v14, 7, v14
	v_cmp_eq_u16_e32 vcc, 0, v12
	v_cndmask_b32_e32 v11, v11, v14, vcc
	v_cndmask_b32_e32 v12, v12, v13, vcc
	v_lshlrev_b32_e32 v13, 24, v2
	v_mov_b32_e32 v14, 0x3b800000
	v_lshlrev_b32_e32 v11, 20, v11
	v_and_b32_e32 v13, 0x80000000, v13
	v_lshl_add_u32 v12, v12, 23, v14
	v_or3_b32 v11, v13, v12, v11
.LBB57_136:
	s_or_b64 exec, exec, s[6:7]
	s_nop 0
	v_mfma_f32_16x16x4f32 a[0:3], v10, v11, a[0:3]
	v_lshrrev_b32_e32 v11, 8, v6
	s_movk_i32 s4, 0x7f
	v_cmp_gt_i16_sdwa s[6:7], v11, s4 src0_sel:BYTE_0 src1_sel:DWORD
	s_mov_b64 s[4:5], 0
                                        ; implicit-def: $sgpr10
	s_and_saveexec_b64 s[8:9], s[6:7]
	s_xor_b64 s[6:7], exec, s[8:9]
	s_cbranch_execnz .LBB57_2185
; %bb.137:
	s_or_saveexec_b64 s[6:7], s[6:7]
	v_mov_b32_e32 v10, s10
	s_xor_b64 exec, exec, s[6:7]
	s_cbranch_execnz .LBB57_2188
.LBB57_138:
	s_or_b64 exec, exec, s[6:7]
	s_and_saveexec_b64 s[6:7], s[4:5]
	s_cbranch_execz .LBB57_140
.LBB57_139:
	v_bfe_u32 v10, v6, 8, 3
	v_ffbh_u32_e32 v13, v10
	v_min_u32_e32 v13, 32, v13
	v_lshrrev_b16_e32 v12, 3, v11
	v_subrev_u32_e32 v14, 28, v13
	v_and_b32_e32 v12, 15, v12
	v_lshlrev_b32_e32 v11, v14, v11
	v_sub_u32_e32 v13, 29, v13
	v_and_b32_e32 v11, 7, v11
	v_cmp_eq_u16_e32 vcc, 0, v12
	v_cndmask_b32_e32 v10, v10, v11, vcc
	v_cndmask_b32_e32 v11, v12, v13, vcc
	v_lshlrev_b32_e32 v12, 16, v6
	v_mov_b32_e32 v13, 0x3b800000
	v_lshlrev_b32_e32 v10, 20, v10
	v_and_b32_e32 v12, 0x80000000, v12
	v_lshl_add_u32 v11, v11, 23, v13
	v_or3_b32 v10, v12, v11, v10
.LBB57_140:
	s_or_b64 exec, exec, s[6:7]
	v_lshrrev_b32_e32 v11, 8, v2
	s_movk_i32 s4, 0x7f
	v_cmp_gt_i16_sdwa s[6:7], v11, s4 src0_sel:BYTE_0 src1_sel:DWORD
	s_mov_b64 s[4:5], 0
                                        ; implicit-def: $sgpr10
	s_and_saveexec_b64 s[8:9], s[6:7]
	s_xor_b64 s[6:7], exec, s[8:9]
	s_cbranch_execnz .LBB57_2189
; %bb.141:
	s_or_saveexec_b64 s[6:7], s[6:7]
	v_mov_b32_e32 v12, s10
	s_xor_b64 exec, exec, s[6:7]
	s_cbranch_execnz .LBB57_2192
.LBB57_142:
	s_or_b64 exec, exec, s[6:7]
	s_and_saveexec_b64 s[6:7], s[4:5]
	s_cbranch_execz .LBB57_144
.LBB57_143:
	v_bfe_u32 v12, v2, 8, 3
	v_ffbh_u32_e32 v14, v12
	v_min_u32_e32 v14, 32, v14
	v_lshrrev_b16_e32 v13, 3, v11
	v_subrev_u32_e32 v15, 28, v14
	v_and_b32_e32 v13, 15, v13
	v_lshlrev_b32_e32 v11, v15, v11
	v_sub_u32_e32 v14, 29, v14
	v_and_b32_e32 v11, 7, v11
	v_cmp_eq_u16_e32 vcc, 0, v13
	v_cndmask_b32_e32 v11, v12, v11, vcc
	v_cndmask_b32_e32 v12, v13, v14, vcc
	v_lshlrev_b32_e32 v13, 16, v2
	v_mov_b32_e32 v14, 0x3b800000
	v_lshlrev_b32_e32 v11, 20, v11
	v_and_b32_e32 v13, 0x80000000, v13
	v_lshl_add_u32 v12, v12, 23, v14
	v_or3_b32 v12, v13, v12, v11
.LBB57_144:
	s_or_b64 exec, exec, s[6:7]
	s_nop 0
	v_mfma_f32_16x16x4f32 a[0:3], v10, v12, a[0:3]
	s_movk_i32 s4, 0xff
	v_and_b32_sdwa v11, v6, s4 dst_sel:DWORD dst_unused:UNUSED_PAD src0_sel:WORD_1 src1_sel:DWORD
	s_movk_i32 s4, 0x7f
	v_cmp_lt_i16_e32 vcc, s4, v11
	s_mov_b64 s[4:5], 0
                                        ; implicit-def: $sgpr10
	s_and_saveexec_b64 s[6:7], vcc
	s_xor_b64 s[6:7], exec, s[6:7]
	s_cbranch_execnz .LBB57_2193
; %bb.145:
	s_or_saveexec_b64 s[6:7], s[6:7]
	v_mov_b32_e32 v10, s10
	s_xor_b64 exec, exec, s[6:7]
	s_cbranch_execnz .LBB57_2196
.LBB57_146:
	s_or_b64 exec, exec, s[6:7]
	s_and_saveexec_b64 s[6:7], s[4:5]
	s_cbranch_execz .LBB57_148
.LBB57_147:
	v_bfe_u32 v10, v6, 16, 3
	v_ffbh_u32_e32 v13, v10
	v_min_u32_e32 v13, 32, v13
	v_lshrrev_b32_e32 v11, 19, v6
	v_subrev_u32_e32 v14, 28, v13
	v_and_b32_e32 v11, 15, v11
	v_lshlrev_b32_sdwa v14, v14, v6 dst_sel:DWORD dst_unused:UNUSED_PAD src0_sel:DWORD src1_sel:WORD_1
	v_bfe_u32 v12, v6, 19, 4
	v_sub_u32_e32 v13, 29, v13
	v_and_b32_e32 v14, 7, v14
	v_cmp_eq_u16_e32 vcc, 0, v11
	v_cndmask_b32_e32 v10, v10, v14, vcc
	v_cndmask_b32_e32 v11, v12, v13, vcc
	v_lshlrev_b32_e32 v12, 8, v6
	v_mov_b32_e32 v13, 0x3b800000
	v_lshlrev_b32_e32 v10, 20, v10
	v_and_b32_e32 v12, 0x80000000, v12
	v_lshl_add_u32 v11, v11, 23, v13
	v_or3_b32 v10, v12, v11, v10
.LBB57_148:
	s_or_b64 exec, exec, s[6:7]
	s_movk_i32 s4, 0xff
	v_and_b32_sdwa v11, v2, s4 dst_sel:DWORD dst_unused:UNUSED_PAD src0_sel:WORD_1 src1_sel:DWORD
	s_movk_i32 s4, 0x7f
	v_cmp_lt_i16_e32 vcc, s4, v11
	s_mov_b64 s[4:5], 0
                                        ; implicit-def: $sgpr10
	s_and_saveexec_b64 s[6:7], vcc
	s_xor_b64 s[6:7], exec, s[6:7]
	s_cbranch_execnz .LBB57_2197
; %bb.149:
	s_or_saveexec_b64 s[6:7], s[6:7]
	v_mov_b32_e32 v12, s10
	s_xor_b64 exec, exec, s[6:7]
	s_cbranch_execnz .LBB57_2200
.LBB57_150:
	s_or_b64 exec, exec, s[6:7]
	s_and_saveexec_b64 s[6:7], s[4:5]
	s_cbranch_execz .LBB57_152
.LBB57_151:
	v_bfe_u32 v11, v2, 16, 3
	v_ffbh_u32_e32 v14, v11
	v_min_u32_e32 v14, 32, v14
	v_lshrrev_b32_e32 v12, 19, v2
	v_subrev_u32_e32 v15, 28, v14
	v_and_b32_e32 v12, 15, v12
	v_lshlrev_b32_sdwa v15, v15, v2 dst_sel:DWORD dst_unused:UNUSED_PAD src0_sel:DWORD src1_sel:WORD_1
	v_bfe_u32 v13, v2, 19, 4
	v_sub_u32_e32 v14, 29, v14
	v_and_b32_e32 v15, 7, v15
	v_cmp_eq_u16_e32 vcc, 0, v12
	v_cndmask_b32_e32 v11, v11, v15, vcc
	v_cndmask_b32_e32 v12, v13, v14, vcc
	v_lshlrev_b32_e32 v13, 8, v2
	v_mov_b32_e32 v14, 0x3b800000
	v_lshlrev_b32_e32 v11, 20, v11
	v_and_b32_e32 v13, 0x80000000, v13
	v_lshl_add_u32 v12, v12, 23, v14
	v_or3_b32 v12, v13, v12, v11
.LBB57_152:
	s_or_b64 exec, exec, s[6:7]
	s_nop 0
	v_mfma_f32_16x16x4f32 a[0:3], v10, v12, a[0:3]
	s_movk_i32 s4, 0x7f
	v_cmp_gt_i16_sdwa s[6:7], v6, s4 src0_sel:BYTE_3 src1_sel:DWORD
	s_mov_b64 s[4:5], 0
                                        ; implicit-def: $sgpr10
	s_and_saveexec_b64 s[8:9], s[6:7]
	s_xor_b64 s[6:7], exec, s[8:9]
	s_cbranch_execnz .LBB57_2201
; %bb.153:
	s_or_saveexec_b64 s[6:7], s[6:7]
	v_mov_b32_e32 v10, s10
	s_xor_b64 exec, exec, s[6:7]
	s_cbranch_execnz .LBB57_2204
.LBB57_154:
	s_or_b64 exec, exec, s[6:7]
	s_and_saveexec_b64 s[6:7], s[4:5]
	s_cbranch_execz .LBB57_156
.LBB57_155:
	v_bfe_u32 v10, v6, 24, 3
	v_ffbh_u32_e32 v14, v10
	v_min_u32_e32 v14, 32, v14
	v_lshrrev_b32_e32 v12, 27, v6
	v_subrev_u32_e32 v15, 28, v14
	v_and_b32_e32 v11, 0x80000000, v6
	v_and_b32_e32 v12, 15, v12
	v_bfe_u32 v13, v6, 27, 4
	v_lshlrev_b32_sdwa v6, v15, v6 dst_sel:DWORD dst_unused:UNUSED_PAD src0_sel:DWORD src1_sel:BYTE_3
	v_sub_u32_e32 v14, 29, v14
	v_and_b32_e32 v6, 7, v6
	v_cmp_eq_u16_e32 vcc, 0, v12
	v_cndmask_b32_e32 v6, v10, v6, vcc
	v_cndmask_b32_e32 v10, v13, v14, vcc
	v_mov_b32_e32 v12, 0x3b800000
	v_lshlrev_b32_e32 v6, 20, v6
	v_lshl_add_u32 v10, v10, 23, v12
	v_or3_b32 v10, v11, v10, v6
.LBB57_156:
	s_or_b64 exec, exec, s[6:7]
	s_movk_i32 s4, 0x7f
	v_cmp_gt_i16_sdwa s[6:7], v2, s4 src0_sel:BYTE_3 src1_sel:DWORD
	s_mov_b64 s[4:5], 0
                                        ; implicit-def: $sgpr10
	s_and_saveexec_b64 s[8:9], s[6:7]
	s_xor_b64 s[6:7], exec, s[8:9]
	s_cbranch_execnz .LBB57_2205
; %bb.157:
	s_or_saveexec_b64 s[6:7], s[6:7]
	v_mov_b32_e32 v6, s10
	s_xor_b64 exec, exec, s[6:7]
	s_cbranch_execnz .LBB57_2208
.LBB57_158:
	s_or_b64 exec, exec, s[6:7]
	s_and_saveexec_b64 s[6:7], s[4:5]
	s_cbranch_execz .LBB57_160
.LBB57_159:
	v_bfe_u32 v6, v2, 24, 3
	v_ffbh_u32_e32 v14, v6
	v_min_u32_e32 v14, 32, v14
	v_lshrrev_b32_e32 v12, 27, v2
	v_subrev_u32_e32 v15, 28, v14
	v_and_b32_e32 v11, 0x80000000, v2
	v_and_b32_e32 v12, 15, v12
	v_bfe_u32 v13, v2, 27, 4
	v_lshlrev_b32_sdwa v2, v15, v2 dst_sel:DWORD dst_unused:UNUSED_PAD src0_sel:DWORD src1_sel:BYTE_3
	v_sub_u32_e32 v14, 29, v14
	v_and_b32_e32 v2, 7, v2
	v_cmp_eq_u16_e32 vcc, 0, v12
	v_cndmask_b32_e32 v2, v6, v2, vcc
	v_cndmask_b32_e32 v6, v13, v14, vcc
	v_mov_b32_e32 v12, 0x3b800000
	v_lshlrev_b32_e32 v2, 20, v2
	v_lshl_add_u32 v6, v6, 23, v12
	v_or3_b32 v6, v11, v6, v2
.LBB57_160:
	s_or_b64 exec, exec, s[6:7]
	s_nop 0
	v_mfma_f32_16x16x4f32 a[0:3], v10, v6, a[0:3]
	s_movk_i32 s4, 0x7f
	v_cmp_gt_i16_sdwa s[6:7], v7, s4 src0_sel:BYTE_0 src1_sel:DWORD
	s_mov_b64 s[4:5], 0
                                        ; implicit-def: $sgpr10
	s_and_saveexec_b64 s[8:9], s[6:7]
	s_xor_b64 s[6:7], exec, s[8:9]
	s_cbranch_execnz .LBB57_2209
; %bb.161:
	s_or_saveexec_b64 s[6:7], s[6:7]
	v_mov_b32_e32 v2, s10
	s_xor_b64 exec, exec, s[6:7]
	s_cbranch_execnz .LBB57_2212
.LBB57_162:
	s_or_b64 exec, exec, s[6:7]
	s_and_saveexec_b64 s[6:7], s[4:5]
	s_cbranch_execz .LBB57_164
.LBB57_163:
	v_and_b32_e32 v2, 7, v7
	v_ffbh_u32_e32 v10, v2
	v_min_u32_e32 v10, 32, v10
	v_lshrrev_b16_e32 v6, 3, v7
	v_subrev_u32_e32 v11, 28, v10
	v_and_b32_e32 v6, 15, v6
	v_lshlrev_b32_e32 v11, v11, v7
	v_sub_u32_e32 v10, 29, v10
	v_and_b32_e32 v11, 7, v11
	v_cmp_eq_u16_e32 vcc, 0, v6
	v_cndmask_b32_e32 v2, v2, v11, vcc
	v_cndmask_b32_e32 v6, v6, v10, vcc
	v_lshlrev_b32_e32 v10, 24, v7
	v_mov_b32_e32 v11, 0x3b800000
	v_lshlrev_b32_e32 v2, 20, v2
	v_and_b32_e32 v10, 0x80000000, v10
	v_lshl_add_u32 v6, v6, 23, v11
	v_or3_b32 v2, v10, v6, v2
.LBB57_164:
	s_or_b64 exec, exec, s[6:7]
	s_movk_i32 s4, 0x7f
	v_cmp_gt_i16_sdwa s[6:7], v3, s4 src0_sel:BYTE_0 src1_sel:DWORD
	s_mov_b64 s[4:5], 0
                                        ; implicit-def: $sgpr10
	s_and_saveexec_b64 s[8:9], s[6:7]
	s_xor_b64 s[6:7], exec, s[8:9]
	s_cbranch_execnz .LBB57_2213
; %bb.165:
	s_or_saveexec_b64 s[6:7], s[6:7]
	v_mov_b32_e32 v6, s10
	s_xor_b64 exec, exec, s[6:7]
	s_cbranch_execnz .LBB57_2216
.LBB57_166:
	s_or_b64 exec, exec, s[6:7]
	s_and_saveexec_b64 s[6:7], s[4:5]
	s_cbranch_execz .LBB57_168
.LBB57_167:
	v_and_b32_e32 v6, 7, v3
	v_ffbh_u32_e32 v11, v6
	v_min_u32_e32 v11, 32, v11
	v_lshrrev_b16_e32 v10, 3, v3
	v_subrev_u32_e32 v12, 28, v11
	v_and_b32_e32 v10, 15, v10
	v_lshlrev_b32_e32 v12, v12, v3
	v_sub_u32_e32 v11, 29, v11
	v_and_b32_e32 v12, 7, v12
	v_cmp_eq_u16_e32 vcc, 0, v10
	v_cndmask_b32_e32 v6, v6, v12, vcc
	v_cndmask_b32_e32 v10, v10, v11, vcc
	v_lshlrev_b32_e32 v11, 24, v3
	v_mov_b32_e32 v12, 0x3b800000
	v_lshlrev_b32_e32 v6, 20, v6
	v_and_b32_e32 v11, 0x80000000, v11
	v_lshl_add_u32 v10, v10, 23, v12
	v_or3_b32 v6, v11, v10, v6
.LBB57_168:
	s_or_b64 exec, exec, s[6:7]
	s_nop 0
	v_mfma_f32_16x16x4f32 a[0:3], v2, v6, a[0:3]
	v_lshrrev_b32_e32 v6, 8, v7
	s_movk_i32 s4, 0x7f
	v_cmp_gt_i16_sdwa s[6:7], v6, s4 src0_sel:BYTE_0 src1_sel:DWORD
	s_mov_b64 s[4:5], 0
                                        ; implicit-def: $sgpr10
	s_and_saveexec_b64 s[8:9], s[6:7]
	s_xor_b64 s[6:7], exec, s[8:9]
	s_cbranch_execnz .LBB57_2217
; %bb.169:
	s_or_saveexec_b64 s[6:7], s[6:7]
	v_mov_b32_e32 v2, s10
	s_xor_b64 exec, exec, s[6:7]
	s_cbranch_execnz .LBB57_2220
.LBB57_170:
	s_or_b64 exec, exec, s[6:7]
	s_and_saveexec_b64 s[6:7], s[4:5]
	s_cbranch_execz .LBB57_172
.LBB57_171:
	v_bfe_u32 v2, v7, 8, 3
	v_ffbh_u32_e32 v11, v2
	v_min_u32_e32 v11, 32, v11
	v_lshrrev_b16_e32 v10, 3, v6
	v_subrev_u32_e32 v12, 28, v11
	v_and_b32_e32 v10, 15, v10
	v_lshlrev_b32_e32 v6, v12, v6
	v_sub_u32_e32 v11, 29, v11
	v_and_b32_e32 v6, 7, v6
	v_cmp_eq_u16_e32 vcc, 0, v10
	v_cndmask_b32_e32 v2, v2, v6, vcc
	v_cndmask_b32_e32 v6, v10, v11, vcc
	v_lshlrev_b32_e32 v10, 16, v7
	v_mov_b32_e32 v11, 0x3b800000
	v_lshlrev_b32_e32 v2, 20, v2
	v_and_b32_e32 v10, 0x80000000, v10
	v_lshl_add_u32 v6, v6, 23, v11
	v_or3_b32 v2, v10, v6, v2
.LBB57_172:
	s_or_b64 exec, exec, s[6:7]
	v_lshrrev_b32_e32 v6, 8, v3
	s_movk_i32 s4, 0x7f
	v_cmp_gt_i16_sdwa s[6:7], v6, s4 src0_sel:BYTE_0 src1_sel:DWORD
	s_mov_b64 s[4:5], 0
                                        ; implicit-def: $sgpr10
	s_and_saveexec_b64 s[8:9], s[6:7]
	s_xor_b64 s[6:7], exec, s[8:9]
	s_cbranch_execnz .LBB57_2221
; %bb.173:
	s_or_saveexec_b64 s[6:7], s[6:7]
	v_mov_b32_e32 v10, s10
	s_xor_b64 exec, exec, s[6:7]
	s_cbranch_execnz .LBB57_2224
.LBB57_174:
	s_or_b64 exec, exec, s[6:7]
	s_and_saveexec_b64 s[6:7], s[4:5]
	s_cbranch_execz .LBB57_176
.LBB57_175:
	v_bfe_u32 v10, v3, 8, 3
	v_ffbh_u32_e32 v12, v10
	v_min_u32_e32 v12, 32, v12
	v_lshrrev_b16_e32 v11, 3, v6
	v_subrev_u32_e32 v13, 28, v12
	v_and_b32_e32 v11, 15, v11
	v_lshlrev_b32_e32 v6, v13, v6
	v_sub_u32_e32 v12, 29, v12
	v_and_b32_e32 v6, 7, v6
	v_cmp_eq_u16_e32 vcc, 0, v11
	v_cndmask_b32_e32 v6, v10, v6, vcc
	v_cndmask_b32_e32 v10, v11, v12, vcc
	v_lshlrev_b32_e32 v11, 16, v3
	v_mov_b32_e32 v12, 0x3b800000
	v_lshlrev_b32_e32 v6, 20, v6
	v_and_b32_e32 v11, 0x80000000, v11
	v_lshl_add_u32 v10, v10, 23, v12
	v_or3_b32 v10, v11, v10, v6
.LBB57_176:
	s_or_b64 exec, exec, s[6:7]
	s_nop 0
	v_mfma_f32_16x16x4f32 a[0:3], v2, v10, a[0:3]
	s_movk_i32 s4, 0xff
	v_and_b32_sdwa v6, v7, s4 dst_sel:DWORD dst_unused:UNUSED_PAD src0_sel:WORD_1 src1_sel:DWORD
	s_movk_i32 s4, 0x7f
	v_cmp_lt_i16_e32 vcc, s4, v6
	s_mov_b64 s[4:5], 0
                                        ; implicit-def: $sgpr10
	s_and_saveexec_b64 s[6:7], vcc
	s_xor_b64 s[6:7], exec, s[6:7]
	s_cbranch_execnz .LBB57_2225
; %bb.177:
	s_or_saveexec_b64 s[6:7], s[6:7]
	v_mov_b32_e32 v2, s10
	s_xor_b64 exec, exec, s[6:7]
	s_cbranch_execnz .LBB57_2228
.LBB57_178:
	s_or_b64 exec, exec, s[6:7]
	s_and_saveexec_b64 s[6:7], s[4:5]
	s_cbranch_execz .LBB57_180
.LBB57_179:
	v_bfe_u32 v2, v7, 16, 3
	v_ffbh_u32_e32 v11, v2
	v_min_u32_e32 v11, 32, v11
	v_lshrrev_b32_e32 v6, 19, v7
	v_subrev_u32_e32 v12, 28, v11
	v_and_b32_e32 v6, 15, v6
	v_lshlrev_b32_sdwa v12, v12, v7 dst_sel:DWORD dst_unused:UNUSED_PAD src0_sel:DWORD src1_sel:WORD_1
	v_bfe_u32 v10, v7, 19, 4
	v_sub_u32_e32 v11, 29, v11
	v_and_b32_e32 v12, 7, v12
	v_cmp_eq_u16_e32 vcc, 0, v6
	v_cndmask_b32_e32 v2, v2, v12, vcc
	v_cndmask_b32_e32 v6, v10, v11, vcc
	v_lshlrev_b32_e32 v10, 8, v7
	v_mov_b32_e32 v11, 0x3b800000
	v_lshlrev_b32_e32 v2, 20, v2
	v_and_b32_e32 v10, 0x80000000, v10
	v_lshl_add_u32 v6, v6, 23, v11
	v_or3_b32 v2, v10, v6, v2
.LBB57_180:
	s_or_b64 exec, exec, s[6:7]
	s_movk_i32 s4, 0xff
	v_and_b32_sdwa v6, v3, s4 dst_sel:DWORD dst_unused:UNUSED_PAD src0_sel:WORD_1 src1_sel:DWORD
	s_movk_i32 s4, 0x7f
	v_cmp_lt_i16_e32 vcc, s4, v6
	s_mov_b64 s[4:5], 0
                                        ; implicit-def: $sgpr10
	s_and_saveexec_b64 s[6:7], vcc
	s_xor_b64 s[6:7], exec, s[6:7]
	s_cbranch_execnz .LBB57_2229
; %bb.181:
	s_or_saveexec_b64 s[6:7], s[6:7]
	v_mov_b32_e32 v10, s10
	s_xor_b64 exec, exec, s[6:7]
	s_cbranch_execnz .LBB57_2232
.LBB57_182:
	s_or_b64 exec, exec, s[6:7]
	s_and_saveexec_b64 s[6:7], s[4:5]
	s_cbranch_execz .LBB57_184
.LBB57_183:
	v_bfe_u32 v6, v3, 16, 3
	v_ffbh_u32_e32 v12, v6
	v_min_u32_e32 v12, 32, v12
	v_lshrrev_b32_e32 v10, 19, v3
	v_subrev_u32_e32 v13, 28, v12
	v_and_b32_e32 v10, 15, v10
	v_lshlrev_b32_sdwa v13, v13, v3 dst_sel:DWORD dst_unused:UNUSED_PAD src0_sel:DWORD src1_sel:WORD_1
	v_bfe_u32 v11, v3, 19, 4
	v_sub_u32_e32 v12, 29, v12
	v_and_b32_e32 v13, 7, v13
	v_cmp_eq_u16_e32 vcc, 0, v10
	v_cndmask_b32_e32 v6, v6, v13, vcc
	v_cndmask_b32_e32 v10, v11, v12, vcc
	v_lshlrev_b32_e32 v11, 8, v3
	v_mov_b32_e32 v12, 0x3b800000
	v_lshlrev_b32_e32 v6, 20, v6
	v_and_b32_e32 v11, 0x80000000, v11
	v_lshl_add_u32 v10, v10, 23, v12
	v_or3_b32 v10, v11, v10, v6
.LBB57_184:
	s_or_b64 exec, exec, s[6:7]
	s_nop 0
	v_mfma_f32_16x16x4f32 a[0:3], v2, v10, a[0:3]
	s_movk_i32 s4, 0x7f
	v_cmp_gt_i16_sdwa s[6:7], v7, s4 src0_sel:BYTE_3 src1_sel:DWORD
	s_mov_b64 s[4:5], 0
                                        ; implicit-def: $sgpr10
	s_and_saveexec_b64 s[8:9], s[6:7]
	s_xor_b64 s[6:7], exec, s[8:9]
	s_cbranch_execnz .LBB57_2233
; %bb.185:
	s_or_saveexec_b64 s[6:7], s[6:7]
	v_mov_b32_e32 v2, s10
	s_xor_b64 exec, exec, s[6:7]
	s_cbranch_execnz .LBB57_2236
.LBB57_186:
	s_or_b64 exec, exec, s[6:7]
	s_and_saveexec_b64 s[6:7], s[4:5]
	s_cbranch_execz .LBB57_188
.LBB57_187:
	v_bfe_u32 v2, v7, 24, 3
	v_ffbh_u32_e32 v12, v2
	v_min_u32_e32 v12, 32, v12
	v_lshrrev_b32_e32 v10, 27, v7
	v_subrev_u32_e32 v13, 28, v12
	v_and_b32_e32 v6, 0x80000000, v7
	v_and_b32_e32 v10, 15, v10
	v_bfe_u32 v11, v7, 27, 4
	v_lshlrev_b32_sdwa v7, v13, v7 dst_sel:DWORD dst_unused:UNUSED_PAD src0_sel:DWORD src1_sel:BYTE_3
	v_sub_u32_e32 v12, 29, v12
	v_and_b32_e32 v7, 7, v7
	v_cmp_eq_u16_e32 vcc, 0, v10
	v_cndmask_b32_e32 v2, v2, v7, vcc
	v_cndmask_b32_e32 v7, v11, v12, vcc
	v_mov_b32_e32 v10, 0x3b800000
	v_lshlrev_b32_e32 v2, 20, v2
	v_lshl_add_u32 v7, v7, 23, v10
	v_or3_b32 v2, v6, v7, v2
.LBB57_188:
	s_or_b64 exec, exec, s[6:7]
	s_movk_i32 s4, 0x7f
	v_cmp_gt_i16_sdwa s[6:7], v3, s4 src0_sel:BYTE_3 src1_sel:DWORD
	s_mov_b64 s[4:5], 0
                                        ; implicit-def: $sgpr10
	s_and_saveexec_b64 s[8:9], s[6:7]
	s_xor_b64 s[6:7], exec, s[8:9]
	s_cbranch_execnz .LBB57_2237
; %bb.189:
	s_or_saveexec_b64 s[6:7], s[6:7]
	v_mov_b32_e32 v6, s10
	s_xor_b64 exec, exec, s[6:7]
	s_cbranch_execnz .LBB57_2240
.LBB57_190:
	s_or_b64 exec, exec, s[6:7]
	s_and_saveexec_b64 s[6:7], s[4:5]
	s_cbranch_execz .LBB57_192
.LBB57_191:
	v_bfe_u32 v6, v3, 24, 3
	v_ffbh_u32_e32 v12, v6
	v_min_u32_e32 v12, 32, v12
	v_lshrrev_b32_e32 v10, 27, v3
	v_subrev_u32_e32 v13, 28, v12
	v_and_b32_e32 v7, 0x80000000, v3
	v_and_b32_e32 v10, 15, v10
	v_bfe_u32 v11, v3, 27, 4
	v_lshlrev_b32_sdwa v3, v13, v3 dst_sel:DWORD dst_unused:UNUSED_PAD src0_sel:DWORD src1_sel:BYTE_3
	v_sub_u32_e32 v12, 29, v12
	v_and_b32_e32 v3, 7, v3
	v_cmp_eq_u16_e32 vcc, 0, v10
	v_cndmask_b32_e32 v3, v6, v3, vcc
	v_cndmask_b32_e32 v6, v11, v12, vcc
	v_mov_b32_e32 v10, 0x3b800000
	v_lshlrev_b32_e32 v3, 20, v3
	v_lshl_add_u32 v6, v6, 23, v10
	v_or3_b32 v6, v7, v6, v3
.LBB57_192:
	s_or_b64 exec, exec, s[6:7]
	s_nop 0
	v_mfma_f32_16x16x4f32 a[0:3], v2, v6, a[0:3]
	s_movk_i32 s4, 0x7f
	v_cmp_gt_i16_sdwa s[6:7], v8, s4 src0_sel:BYTE_0 src1_sel:DWORD
	s_mov_b64 s[4:5], 0
                                        ; implicit-def: $sgpr10
	s_and_saveexec_b64 s[8:9], s[6:7]
	s_xor_b64 s[6:7], exec, s[8:9]
	s_cbranch_execnz .LBB57_2241
; %bb.193:
	s_or_saveexec_b64 s[6:7], s[6:7]
	v_mov_b32_e32 v2, s10
	s_xor_b64 exec, exec, s[6:7]
	s_cbranch_execnz .LBB57_2244
.LBB57_194:
	s_or_b64 exec, exec, s[6:7]
	s_and_saveexec_b64 s[6:7], s[4:5]
	s_cbranch_execz .LBB57_196
.LBB57_195:
	v_and_b32_e32 v2, 7, v8
	v_ffbh_u32_e32 v6, v2
	v_min_u32_e32 v6, 32, v6
	v_lshrrev_b16_e32 v3, 3, v8
	v_subrev_u32_e32 v7, 28, v6
	v_and_b32_e32 v3, 15, v3
	v_lshlrev_b32_e32 v7, v7, v8
	v_sub_u32_e32 v6, 29, v6
	v_and_b32_e32 v7, 7, v7
	v_cmp_eq_u16_e32 vcc, 0, v3
	v_cndmask_b32_e32 v2, v2, v7, vcc
	v_cndmask_b32_e32 v3, v3, v6, vcc
	v_lshlrev_b32_e32 v6, 24, v8
	v_mov_b32_e32 v7, 0x3b800000
	v_lshlrev_b32_e32 v2, 20, v2
	v_and_b32_e32 v6, 0x80000000, v6
	v_lshl_add_u32 v3, v3, 23, v7
	v_or3_b32 v2, v6, v3, v2
.LBB57_196:
	s_or_b64 exec, exec, s[6:7]
	s_movk_i32 s4, 0x7f
	v_cmp_gt_i16_sdwa s[6:7], v4, s4 src0_sel:BYTE_0 src1_sel:DWORD
	s_mov_b64 s[4:5], 0
                                        ; implicit-def: $sgpr10
	s_and_saveexec_b64 s[8:9], s[6:7]
	s_xor_b64 s[6:7], exec, s[8:9]
	s_cbranch_execnz .LBB57_2245
; %bb.197:
	s_or_saveexec_b64 s[6:7], s[6:7]
	v_mov_b32_e32 v3, s10
	s_xor_b64 exec, exec, s[6:7]
	s_cbranch_execnz .LBB57_2248
.LBB57_198:
	s_or_b64 exec, exec, s[6:7]
	s_and_saveexec_b64 s[6:7], s[4:5]
	s_cbranch_execz .LBB57_200
.LBB57_199:
	v_and_b32_e32 v3, 7, v4
	v_ffbh_u32_e32 v7, v3
	v_min_u32_e32 v7, 32, v7
	v_lshrrev_b16_e32 v6, 3, v4
	v_subrev_u32_e32 v10, 28, v7
	v_and_b32_e32 v6, 15, v6
	v_lshlrev_b32_e32 v10, v10, v4
	v_sub_u32_e32 v7, 29, v7
	v_and_b32_e32 v10, 7, v10
	v_cmp_eq_u16_e32 vcc, 0, v6
	v_cndmask_b32_e32 v3, v3, v10, vcc
	v_cndmask_b32_e32 v6, v6, v7, vcc
	v_lshlrev_b32_e32 v7, 24, v4
	v_mov_b32_e32 v10, 0x3b800000
	v_lshlrev_b32_e32 v3, 20, v3
	v_and_b32_e32 v7, 0x80000000, v7
	v_lshl_add_u32 v6, v6, 23, v10
	v_or3_b32 v3, v7, v6, v3
.LBB57_200:
	s_or_b64 exec, exec, s[6:7]
	s_nop 0
	v_mfma_f32_16x16x4f32 a[0:3], v2, v3, a[0:3]
	v_lshrrev_b32_e32 v3, 8, v8
	s_movk_i32 s4, 0x7f
	v_cmp_gt_i16_sdwa s[6:7], v3, s4 src0_sel:BYTE_0 src1_sel:DWORD
	s_mov_b64 s[4:5], 0
                                        ; implicit-def: $sgpr10
	s_and_saveexec_b64 s[8:9], s[6:7]
	s_xor_b64 s[6:7], exec, s[8:9]
	s_cbranch_execnz .LBB57_2249
; %bb.201:
	s_or_saveexec_b64 s[6:7], s[6:7]
	v_mov_b32_e32 v2, s10
	s_xor_b64 exec, exec, s[6:7]
	s_cbranch_execnz .LBB57_2252
.LBB57_202:
	s_or_b64 exec, exec, s[6:7]
	s_and_saveexec_b64 s[6:7], s[4:5]
	s_cbranch_execz .LBB57_204
.LBB57_203:
	v_bfe_u32 v2, v8, 8, 3
	v_ffbh_u32_e32 v7, v2
	v_min_u32_e32 v7, 32, v7
	v_lshrrev_b16_e32 v6, 3, v3
	v_subrev_u32_e32 v10, 28, v7
	v_and_b32_e32 v6, 15, v6
	v_lshlrev_b32_e32 v3, v10, v3
	v_sub_u32_e32 v7, 29, v7
	v_and_b32_e32 v3, 7, v3
	v_cmp_eq_u16_e32 vcc, 0, v6
	v_cndmask_b32_e32 v2, v2, v3, vcc
	v_cndmask_b32_e32 v3, v6, v7, vcc
	v_lshlrev_b32_e32 v6, 16, v8
	v_mov_b32_e32 v7, 0x3b800000
	v_lshlrev_b32_e32 v2, 20, v2
	v_and_b32_e32 v6, 0x80000000, v6
	v_lshl_add_u32 v3, v3, 23, v7
	v_or3_b32 v2, v6, v3, v2
.LBB57_204:
	s_or_b64 exec, exec, s[6:7]
	v_lshrrev_b32_e32 v3, 8, v4
	s_movk_i32 s4, 0x7f
	v_cmp_gt_i16_sdwa s[6:7], v3, s4 src0_sel:BYTE_0 src1_sel:DWORD
	s_mov_b64 s[4:5], 0
                                        ; implicit-def: $sgpr10
	s_and_saveexec_b64 s[8:9], s[6:7]
	s_xor_b64 s[6:7], exec, s[8:9]
	s_cbranch_execnz .LBB57_2253
; %bb.205:
	s_or_saveexec_b64 s[6:7], s[6:7]
	v_mov_b32_e32 v6, s10
	s_xor_b64 exec, exec, s[6:7]
	s_cbranch_execnz .LBB57_2256
.LBB57_206:
	s_or_b64 exec, exec, s[6:7]
	s_and_saveexec_b64 s[6:7], s[4:5]
	s_cbranch_execz .LBB57_208
.LBB57_207:
	v_bfe_u32 v6, v4, 8, 3
	v_ffbh_u32_e32 v10, v6
	v_min_u32_e32 v10, 32, v10
	v_lshrrev_b16_e32 v7, 3, v3
	v_subrev_u32_e32 v11, 28, v10
	v_and_b32_e32 v7, 15, v7
	v_lshlrev_b32_e32 v3, v11, v3
	v_sub_u32_e32 v10, 29, v10
	v_and_b32_e32 v3, 7, v3
	v_cmp_eq_u16_e32 vcc, 0, v7
	v_cndmask_b32_e32 v3, v6, v3, vcc
	v_cndmask_b32_e32 v6, v7, v10, vcc
	v_lshlrev_b32_e32 v7, 16, v4
	v_mov_b32_e32 v10, 0x3b800000
	v_lshlrev_b32_e32 v3, 20, v3
	v_and_b32_e32 v7, 0x80000000, v7
	v_lshl_add_u32 v6, v6, 23, v10
	v_or3_b32 v6, v7, v6, v3
.LBB57_208:
	s_or_b64 exec, exec, s[6:7]
	s_nop 0
	v_mfma_f32_16x16x4f32 a[0:3], v2, v6, a[0:3]
	s_movk_i32 s4, 0xff
	v_and_b32_sdwa v3, v8, s4 dst_sel:DWORD dst_unused:UNUSED_PAD src0_sel:WORD_1 src1_sel:DWORD
	s_movk_i32 s4, 0x7f
	v_cmp_lt_i16_e32 vcc, s4, v3
	s_mov_b64 s[4:5], 0
                                        ; implicit-def: $sgpr10
	s_and_saveexec_b64 s[6:7], vcc
	s_xor_b64 s[6:7], exec, s[6:7]
	s_cbranch_execnz .LBB57_2257
; %bb.209:
	s_or_saveexec_b64 s[6:7], s[6:7]
	v_mov_b32_e32 v2, s10
	s_xor_b64 exec, exec, s[6:7]
	s_cbranch_execnz .LBB57_2260
.LBB57_210:
	s_or_b64 exec, exec, s[6:7]
	s_and_saveexec_b64 s[6:7], s[4:5]
	s_cbranch_execz .LBB57_212
.LBB57_211:
	v_bfe_u32 v2, v8, 16, 3
	v_ffbh_u32_e32 v7, v2
	v_min_u32_e32 v7, 32, v7
	v_lshrrev_b32_e32 v3, 19, v8
	v_subrev_u32_e32 v10, 28, v7
	v_and_b32_e32 v3, 15, v3
	v_lshlrev_b32_sdwa v10, v10, v8 dst_sel:DWORD dst_unused:UNUSED_PAD src0_sel:DWORD src1_sel:WORD_1
	v_bfe_u32 v6, v8, 19, 4
	v_sub_u32_e32 v7, 29, v7
	v_and_b32_e32 v10, 7, v10
	v_cmp_eq_u16_e32 vcc, 0, v3
	v_cndmask_b32_e32 v2, v2, v10, vcc
	v_cndmask_b32_e32 v3, v6, v7, vcc
	v_lshlrev_b32_e32 v6, 8, v8
	v_mov_b32_e32 v7, 0x3b800000
	v_lshlrev_b32_e32 v2, 20, v2
	v_and_b32_e32 v6, 0x80000000, v6
	v_lshl_add_u32 v3, v3, 23, v7
	v_or3_b32 v2, v6, v3, v2
.LBB57_212:
	s_or_b64 exec, exec, s[6:7]
	s_movk_i32 s4, 0xff
	v_and_b32_sdwa v3, v4, s4 dst_sel:DWORD dst_unused:UNUSED_PAD src0_sel:WORD_1 src1_sel:DWORD
	s_movk_i32 s4, 0x7f
	v_cmp_lt_i16_e32 vcc, s4, v3
	s_mov_b64 s[4:5], 0
                                        ; implicit-def: $sgpr10
	s_and_saveexec_b64 s[6:7], vcc
	s_xor_b64 s[6:7], exec, s[6:7]
	s_cbranch_execnz .LBB57_2261
; %bb.213:
	s_or_saveexec_b64 s[6:7], s[6:7]
	v_mov_b32_e32 v6, s10
	s_xor_b64 exec, exec, s[6:7]
	s_cbranch_execnz .LBB57_2264
.LBB57_214:
	s_or_b64 exec, exec, s[6:7]
	s_and_saveexec_b64 s[6:7], s[4:5]
	s_cbranch_execz .LBB57_216
.LBB57_215:
	v_bfe_u32 v3, v4, 16, 3
	v_ffbh_u32_e32 v10, v3
	v_min_u32_e32 v10, 32, v10
	v_lshrrev_b32_e32 v6, 19, v4
	v_subrev_u32_e32 v11, 28, v10
	v_and_b32_e32 v6, 15, v6
	v_lshlrev_b32_sdwa v11, v11, v4 dst_sel:DWORD dst_unused:UNUSED_PAD src0_sel:DWORD src1_sel:WORD_1
	v_bfe_u32 v7, v4, 19, 4
	v_sub_u32_e32 v10, 29, v10
	v_and_b32_e32 v11, 7, v11
	v_cmp_eq_u16_e32 vcc, 0, v6
	v_cndmask_b32_e32 v3, v3, v11, vcc
	v_cndmask_b32_e32 v6, v7, v10, vcc
	v_lshlrev_b32_e32 v7, 8, v4
	v_mov_b32_e32 v10, 0x3b800000
	v_lshlrev_b32_e32 v3, 20, v3
	v_and_b32_e32 v7, 0x80000000, v7
	v_lshl_add_u32 v6, v6, 23, v10
	v_or3_b32 v6, v7, v6, v3
.LBB57_216:
	s_or_b64 exec, exec, s[6:7]
	s_nop 0
	v_mfma_f32_16x16x4f32 a[0:3], v2, v6, a[0:3]
	s_movk_i32 s4, 0x7f
	v_cmp_gt_i16_sdwa s[6:7], v8, s4 src0_sel:BYTE_3 src1_sel:DWORD
	s_mov_b64 s[4:5], 0
                                        ; implicit-def: $sgpr10
	s_and_saveexec_b64 s[8:9], s[6:7]
	s_xor_b64 s[6:7], exec, s[8:9]
	s_cbranch_execnz .LBB57_2265
; %bb.217:
	s_or_saveexec_b64 s[6:7], s[6:7]
	v_mov_b32_e32 v2, s10
	s_xor_b64 exec, exec, s[6:7]
	s_cbranch_execnz .LBB57_2268
.LBB57_218:
	s_or_b64 exec, exec, s[6:7]
	s_and_saveexec_b64 s[6:7], s[4:5]
	s_cbranch_execz .LBB57_220
.LBB57_219:
	v_bfe_u32 v2, v8, 24, 3
	v_ffbh_u32_e32 v10, v2
	v_min_u32_e32 v10, 32, v10
	v_lshrrev_b32_e32 v6, 27, v8
	v_subrev_u32_e32 v11, 28, v10
	v_and_b32_e32 v3, 0x80000000, v8
	v_and_b32_e32 v6, 15, v6
	v_bfe_u32 v7, v8, 27, 4
	v_lshlrev_b32_sdwa v8, v11, v8 dst_sel:DWORD dst_unused:UNUSED_PAD src0_sel:DWORD src1_sel:BYTE_3
	v_sub_u32_e32 v10, 29, v10
	v_and_b32_e32 v8, 7, v8
	v_cmp_eq_u16_e32 vcc, 0, v6
	v_cndmask_b32_e32 v2, v2, v8, vcc
	v_cndmask_b32_e32 v6, v7, v10, vcc
	v_mov_b32_e32 v7, 0x3b800000
	v_lshlrev_b32_e32 v2, 20, v2
	v_lshl_add_u32 v6, v6, 23, v7
	v_or3_b32 v2, v3, v6, v2
.LBB57_220:
	s_or_b64 exec, exec, s[6:7]
	s_movk_i32 s4, 0x7f
	v_cmp_gt_i16_sdwa s[6:7], v4, s4 src0_sel:BYTE_3 src1_sel:DWORD
	s_mov_b64 s[4:5], 0
                                        ; implicit-def: $sgpr10
	s_and_saveexec_b64 s[8:9], s[6:7]
	s_xor_b64 s[6:7], exec, s[8:9]
	s_cbranch_execnz .LBB57_2269
; %bb.221:
	s_or_saveexec_b64 s[6:7], s[6:7]
	v_mov_b32_e32 v3, s10
	s_xor_b64 exec, exec, s[6:7]
	s_cbranch_execnz .LBB57_2272
.LBB57_222:
	s_or_b64 exec, exec, s[6:7]
	s_and_saveexec_b64 s[6:7], s[4:5]
	s_cbranch_execz .LBB57_224
.LBB57_223:
	v_bfe_u32 v3, v4, 24, 3
	v_ffbh_u32_e32 v10, v3
	v_min_u32_e32 v10, 32, v10
	v_lshrrev_b32_e32 v7, 27, v4
	v_subrev_u32_e32 v11, 28, v10
	v_and_b32_e32 v6, 0x80000000, v4
	v_and_b32_e32 v7, 15, v7
	v_bfe_u32 v8, v4, 27, 4
	v_lshlrev_b32_sdwa v4, v11, v4 dst_sel:DWORD dst_unused:UNUSED_PAD src0_sel:DWORD src1_sel:BYTE_3
	v_sub_u32_e32 v10, 29, v10
	v_and_b32_e32 v4, 7, v4
	v_cmp_eq_u16_e32 vcc, 0, v7
	v_cndmask_b32_e32 v3, v3, v4, vcc
	v_cndmask_b32_e32 v4, v8, v10, vcc
	v_mov_b32_e32 v7, 0x3b800000
	v_lshlrev_b32_e32 v3, 20, v3
	v_lshl_add_u32 v4, v4, 23, v7
	v_or3_b32 v3, v6, v4, v3
.LBB57_224:
	s_or_b64 exec, exec, s[6:7]
	s_nop 0
	v_mfma_f32_16x16x4f32 a[0:3], v2, v3, a[0:3]
	s_movk_i32 s4, 0x7f
	v_cmp_gt_i16_sdwa s[6:7], v9, s4 src0_sel:BYTE_0 src1_sel:DWORD
	s_mov_b64 s[4:5], 0
                                        ; implicit-def: $sgpr10
	s_and_saveexec_b64 s[8:9], s[6:7]
	s_xor_b64 s[6:7], exec, s[8:9]
	s_cbranch_execnz .LBB57_2273
; %bb.225:
	s_or_saveexec_b64 s[6:7], s[6:7]
	v_mov_b32_e32 v2, s10
	s_xor_b64 exec, exec, s[6:7]
	s_cbranch_execnz .LBB57_2276
.LBB57_226:
	s_or_b64 exec, exec, s[6:7]
	s_and_saveexec_b64 s[6:7], s[4:5]
	s_cbranch_execz .LBB57_228
.LBB57_227:
	v_mov_b32_e32 v2, 8
	v_and_b32_e32 v3, 7, v9
	v_lshrrev_b32_sdwa v2, v2, v9 dst_sel:BYTE_1 dst_unused:UNUSED_PAD src0_sel:DWORD src1_sel:DWORD
	v_ffbh_u32_e32 v4, v3
	v_or_b32_sdwa v2, v9, v2 dst_sel:DWORD dst_unused:UNUSED_PAD src0_sel:BYTE_0 src1_sel:DWORD
	v_min_u32_e32 v4, 32, v4
	v_lshrrev_b16_e32 v2, 3, v2
	v_subrev_u32_e32 v6, 28, v4
	v_and_b32_e32 v2, 15, v2
	v_lshlrev_b32_e32 v6, v6, v9
	v_sub_u32_e32 v4, 29, v4
	v_and_b32_e32 v6, 7, v6
	v_cmp_eq_u16_e32 vcc, 0, v2
	v_cndmask_b32_e32 v3, v3, v6, vcc
	v_cndmask_b32_e32 v2, v2, v4, vcc
	v_lshlrev_b32_e32 v4, 24, v9
	v_mov_b32_e32 v6, 0x3b800000
	v_lshlrev_b32_e32 v3, 20, v3
	v_and_b32_e32 v4, 0x80000000, v4
	v_lshl_add_u32 v2, v2, 23, v6
	v_or3_b32 v2, v4, v2, v3
.LBB57_228:
	s_or_b64 exec, exec, s[6:7]
	s_movk_i32 s4, 0x7f
	v_cmp_gt_i16_sdwa s[6:7], v5, s4 src0_sel:BYTE_0 src1_sel:DWORD
	s_mov_b64 s[4:5], 0
                                        ; implicit-def: $sgpr10
	s_and_saveexec_b64 s[8:9], s[6:7]
	s_xor_b64 s[6:7], exec, s[8:9]
	s_cbranch_execnz .LBB57_2277
; %bb.229:
	s_or_saveexec_b64 s[6:7], s[6:7]
	v_mov_b32_e32 v3, s10
	s_xor_b64 exec, exec, s[6:7]
	s_cbranch_execnz .LBB57_2280
.LBB57_230:
	s_or_b64 exec, exec, s[6:7]
	s_and_saveexec_b64 s[6:7], s[4:5]
	s_cbranch_execz .LBB57_232
.LBB57_231:
	v_mov_b32_e32 v3, 8
	v_and_b32_e32 v4, 7, v5
	v_lshrrev_b32_sdwa v3, v3, v5 dst_sel:BYTE_1 dst_unused:UNUSED_PAD src0_sel:DWORD src1_sel:DWORD
	v_ffbh_u32_e32 v6, v4
	v_or_b32_sdwa v3, v5, v3 dst_sel:DWORD dst_unused:UNUSED_PAD src0_sel:BYTE_0 src1_sel:DWORD
	v_min_u32_e32 v6, 32, v6
	v_lshrrev_b16_e32 v3, 3, v3
	v_subrev_u32_e32 v7, 28, v6
	v_and_b32_e32 v3, 15, v3
	v_lshlrev_b32_e32 v7, v7, v5
	v_sub_u32_e32 v6, 29, v6
	v_and_b32_e32 v7, 7, v7
	v_cmp_eq_u16_e32 vcc, 0, v3
	v_cndmask_b32_e32 v4, v4, v7, vcc
	v_cndmask_b32_e32 v3, v3, v6, vcc
	v_lshlrev_b32_e32 v6, 24, v5
	v_mov_b32_e32 v7, 0x3b800000
	v_lshlrev_b32_e32 v4, 20, v4
	v_and_b32_e32 v6, 0x80000000, v6
	v_lshl_add_u32 v3, v3, 23, v7
	v_or3_b32 v3, v6, v3, v4
.LBB57_232:
	s_or_b64 exec, exec, s[6:7]
	s_nop 0
	v_mfma_f32_16x16x4f32 a[0:3], v2, v3, a[0:3]
	v_lshrrev_b32_e32 v3, 8, v9
	s_movk_i32 s4, 0x7f
	v_cmp_gt_i16_sdwa s[6:7], v3, s4 src0_sel:BYTE_0 src1_sel:DWORD
	s_mov_b64 s[4:5], 0
                                        ; implicit-def: $sgpr10
	s_and_saveexec_b64 s[8:9], s[6:7]
	s_xor_b64 s[6:7], exec, s[8:9]
	s_cbranch_execnz .LBB57_2281
; %bb.233:
	s_or_saveexec_b64 s[6:7], s[6:7]
	v_mov_b32_e32 v2, s10
	s_xor_b64 exec, exec, s[6:7]
	s_cbranch_execnz .LBB57_2284
.LBB57_234:
	s_or_b64 exec, exec, s[6:7]
	s_and_saveexec_b64 s[6:7], s[4:5]
	s_cbranch_execz .LBB57_236
.LBB57_235:
	v_bfe_u32 v2, v9, 8, 3
	v_ffbh_u32_e32 v6, v2
	v_min_u32_e32 v6, 32, v6
	v_lshrrev_b16_e32 v4, 3, v3
	v_subrev_u32_e32 v7, 28, v6
	v_and_b32_e32 v4, 15, v4
	v_lshlrev_b32_e32 v3, v7, v3
	v_sub_u32_e32 v6, 29, v6
	v_and_b32_e32 v3, 7, v3
	v_cmp_eq_u16_e32 vcc, 0, v4
	v_cndmask_b32_e32 v2, v2, v3, vcc
	v_cndmask_b32_e32 v3, v4, v6, vcc
	v_lshlrev_b32_e32 v4, 16, v9
	v_mov_b32_e32 v6, 0x3b800000
	v_lshlrev_b32_e32 v2, 20, v2
	v_and_b32_e32 v4, 0x80000000, v4
	v_lshl_add_u32 v3, v3, 23, v6
	v_or3_b32 v2, v4, v3, v2
.LBB57_236:
	s_or_b64 exec, exec, s[6:7]
	v_lshrrev_b32_e32 v3, 8, v5
	s_movk_i32 s4, 0x7f
	v_cmp_gt_i16_sdwa s[6:7], v3, s4 src0_sel:BYTE_0 src1_sel:DWORD
	s_mov_b64 s[4:5], 0
                                        ; implicit-def: $sgpr10
	s_and_saveexec_b64 s[8:9], s[6:7]
	s_xor_b64 s[6:7], exec, s[8:9]
	s_cbranch_execnz .LBB57_2285
; %bb.237:
	s_or_saveexec_b64 s[6:7], s[6:7]
	v_mov_b32_e32 v4, s10
	s_xor_b64 exec, exec, s[6:7]
	s_cbranch_execnz .LBB57_2288
.LBB57_238:
	s_or_b64 exec, exec, s[6:7]
	s_and_saveexec_b64 s[6:7], s[4:5]
	s_cbranch_execz .LBB57_240
.LBB57_239:
	v_bfe_u32 v4, v5, 8, 3
	v_ffbh_u32_e32 v7, v4
	v_min_u32_e32 v7, 32, v7
	v_lshrrev_b16_e32 v6, 3, v3
	v_subrev_u32_e32 v8, 28, v7
	v_and_b32_e32 v6, 15, v6
	v_lshlrev_b32_e32 v3, v8, v3
	v_sub_u32_e32 v7, 29, v7
	v_and_b32_e32 v3, 7, v3
	v_cmp_eq_u16_e32 vcc, 0, v6
	v_cndmask_b32_e32 v3, v4, v3, vcc
	v_cndmask_b32_e32 v4, v6, v7, vcc
	v_lshlrev_b32_e32 v6, 16, v5
	v_mov_b32_e32 v7, 0x3b800000
	v_lshlrev_b32_e32 v3, 20, v3
	v_and_b32_e32 v6, 0x80000000, v6
	v_lshl_add_u32 v4, v4, 23, v7
	v_or3_b32 v4, v6, v4, v3
.LBB57_240:
	s_or_b64 exec, exec, s[6:7]
	s_nop 0
	v_mfma_f32_16x16x4f32 a[0:3], v2, v4, a[0:3]
	s_movk_i32 s4, 0xff
	v_and_b32_sdwa v3, v9, s4 dst_sel:DWORD dst_unused:UNUSED_PAD src0_sel:WORD_1 src1_sel:DWORD
	s_movk_i32 s4, 0x7f
	v_cmp_lt_i16_e32 vcc, s4, v3
	s_mov_b64 s[4:5], 0
                                        ; implicit-def: $sgpr10
	s_and_saveexec_b64 s[6:7], vcc
	s_xor_b64 s[6:7], exec, s[6:7]
	s_cbranch_execnz .LBB57_2289
; %bb.241:
	s_or_saveexec_b64 s[6:7], s[6:7]
	v_mov_b32_e32 v2, s10
	s_xor_b64 exec, exec, s[6:7]
	s_cbranch_execnz .LBB57_2292
.LBB57_242:
	s_or_b64 exec, exec, s[6:7]
	s_and_saveexec_b64 s[6:7], s[4:5]
	s_cbranch_execz .LBB57_244
.LBB57_243:
	v_bfe_u32 v2, v9, 16, 3
	v_ffbh_u32_e32 v6, v2
	v_min_u32_e32 v6, 32, v6
	v_lshrrev_b32_e32 v3, 19, v9
	v_subrev_u32_e32 v7, 28, v6
	v_and_b32_e32 v3, 15, v3
	v_lshlrev_b32_sdwa v7, v7, v9 dst_sel:DWORD dst_unused:UNUSED_PAD src0_sel:DWORD src1_sel:WORD_1
	v_bfe_u32 v4, v9, 19, 4
	v_sub_u32_e32 v6, 29, v6
	v_and_b32_e32 v7, 7, v7
	v_cmp_eq_u16_e32 vcc, 0, v3
	v_cndmask_b32_e32 v2, v2, v7, vcc
	v_cndmask_b32_e32 v3, v4, v6, vcc
	v_lshlrev_b32_e32 v4, 8, v9
	v_mov_b32_e32 v6, 0x3b800000
	v_lshlrev_b32_e32 v2, 20, v2
	v_and_b32_e32 v4, 0x80000000, v4
	v_lshl_add_u32 v3, v3, 23, v6
	v_or3_b32 v2, v4, v3, v2
.LBB57_244:
	s_or_b64 exec, exec, s[6:7]
	s_movk_i32 s4, 0xff
	v_and_b32_sdwa v3, v5, s4 dst_sel:DWORD dst_unused:UNUSED_PAD src0_sel:WORD_1 src1_sel:DWORD
	s_movk_i32 s4, 0x7f
	v_cmp_lt_i16_e32 vcc, s4, v3
	s_mov_b64 s[4:5], 0
                                        ; implicit-def: $sgpr10
	s_and_saveexec_b64 s[6:7], vcc
	s_xor_b64 s[6:7], exec, s[6:7]
	s_cbranch_execnz .LBB57_2293
; %bb.245:
	s_or_saveexec_b64 s[6:7], s[6:7]
	v_mov_b32_e32 v4, s10
	s_xor_b64 exec, exec, s[6:7]
	s_cbranch_execnz .LBB57_2296
.LBB57_246:
	s_or_b64 exec, exec, s[6:7]
	s_and_saveexec_b64 s[6:7], s[4:5]
	s_cbranch_execz .LBB57_248
.LBB57_247:
	v_bfe_u32 v3, v5, 16, 3
	v_ffbh_u32_e32 v7, v3
	v_min_u32_e32 v7, 32, v7
	v_lshrrev_b32_e32 v4, 19, v5
	v_subrev_u32_e32 v8, 28, v7
	v_and_b32_e32 v4, 15, v4
	v_lshlrev_b32_sdwa v8, v8, v5 dst_sel:DWORD dst_unused:UNUSED_PAD src0_sel:DWORD src1_sel:WORD_1
	v_bfe_u32 v6, v5, 19, 4
	v_sub_u32_e32 v7, 29, v7
	v_and_b32_e32 v8, 7, v8
	v_cmp_eq_u16_e32 vcc, 0, v4
	v_cndmask_b32_e32 v3, v3, v8, vcc
	v_cndmask_b32_e32 v4, v6, v7, vcc
	v_lshlrev_b32_e32 v6, 8, v5
	v_mov_b32_e32 v7, 0x3b800000
	v_lshlrev_b32_e32 v3, 20, v3
	v_and_b32_e32 v6, 0x80000000, v6
	v_lshl_add_u32 v4, v4, 23, v7
	v_or3_b32 v4, v6, v4, v3
.LBB57_248:
	s_or_b64 exec, exec, s[6:7]
	s_nop 0
	v_mfma_f32_16x16x4f32 a[0:3], v2, v4, a[0:3]
	s_movk_i32 s4, 0x7f
	v_cmp_gt_i16_sdwa s[6:7], v9, s4 src0_sel:BYTE_3 src1_sel:DWORD
	s_mov_b64 s[4:5], 0
                                        ; implicit-def: $sgpr10
	s_and_saveexec_b64 s[8:9], s[6:7]
	s_xor_b64 s[6:7], exec, s[8:9]
	s_cbranch_execnz .LBB57_2297
; %bb.249:
	s_or_saveexec_b64 s[6:7], s[6:7]
	v_mov_b32_e32 v2, s10
	s_xor_b64 exec, exec, s[6:7]
	s_cbranch_execnz .LBB57_2300
.LBB57_250:
	s_or_b64 exec, exec, s[6:7]
	s_and_saveexec_b64 s[6:7], s[4:5]
	s_cbranch_execz .LBB57_252
.LBB57_251:
	v_bfe_u32 v2, v9, 24, 3
	v_ffbh_u32_e32 v7, v2
	v_min_u32_e32 v7, 32, v7
	v_lshrrev_b32_e32 v4, 27, v9
	v_subrev_u32_e32 v8, 28, v7
	v_and_b32_e32 v4, 15, v4
	v_lshlrev_b32_sdwa v8, v8, v9 dst_sel:DWORD dst_unused:UNUSED_PAD src0_sel:DWORD src1_sel:BYTE_3
	v_bfe_u32 v6, v9, 27, 4
	v_sub_u32_e32 v7, 29, v7
	v_and_b32_e32 v8, 7, v8
	v_cmp_eq_u16_e32 vcc, 0, v4
	v_cndmask_b32_e32 v2, v2, v8, vcc
	v_cndmask_b32_e32 v4, v6, v7, vcc
	v_mov_b32_e32 v6, 0x3b800000
	v_and_b32_e32 v3, 0x80000000, v9
	v_lshlrev_b32_e32 v2, 20, v2
	v_lshl_add_u32 v4, v4, 23, v6
	v_or3_b32 v2, v3, v4, v2
.LBB57_252:
	s_or_b64 exec, exec, s[6:7]
	s_movk_i32 s4, 0x7f
	v_cmp_gt_i16_sdwa s[6:7], v5, s4 src0_sel:BYTE_3 src1_sel:DWORD
	s_mov_b64 s[4:5], 0
                                        ; implicit-def: $sgpr10
	s_and_saveexec_b64 s[8:9], s[6:7]
	s_xor_b64 s[6:7], exec, s[8:9]
	s_cbranch_execnz .LBB57_2301
; %bb.253:
	s_or_saveexec_b64 s[6:7], s[6:7]
	v_mov_b32_e32 v3, s10
	s_xor_b64 exec, exec, s[6:7]
	s_cbranch_execnz .LBB57_2304
.LBB57_254:
	s_or_b64 exec, exec, s[6:7]
	s_and_saveexec_b64 s[6:7], s[4:5]
	s_cbranch_execz .LBB57_256
.LBB57_255:
	v_bfe_u32 v3, v5, 24, 3
	v_ffbh_u32_e32 v8, v3
	v_min_u32_e32 v8, 32, v8
	v_lshrrev_b32_e32 v6, 27, v5
	v_subrev_u32_e32 v9, 28, v8
	v_and_b32_e32 v4, 0x80000000, v5
	v_and_b32_e32 v6, 15, v6
	v_bfe_u32 v7, v5, 27, 4
	v_lshlrev_b32_sdwa v5, v9, v5 dst_sel:DWORD dst_unused:UNUSED_PAD src0_sel:DWORD src1_sel:BYTE_3
	v_sub_u32_e32 v8, 29, v8
	v_and_b32_e32 v5, 7, v5
	v_cmp_eq_u16_e32 vcc, 0, v6
	v_cndmask_b32_e32 v3, v3, v5, vcc
	v_cndmask_b32_e32 v5, v7, v8, vcc
	v_mov_b32_e32 v6, 0x3b800000
	v_lshlrev_b32_e32 v3, 20, v3
	v_lshl_add_u32 v5, v5, 23, v6
	v_or3_b32 v3, v4, v5, v3
.LBB57_256:
	s_or_b64 exec, exec, s[6:7]
	s_nop 0
	v_mfma_f32_16x16x4f32 a[0:3], v2, v3, a[0:3]
	s_movk_i32 s4, 0x7f
                                        ; implicit-def: $sgpr10
	s_nop 7
	s_nop 1
	flat_store_dwordx4 v[18:19], a[0:3] offset:640
	flat_load_dwordx4 v[20:23], v[0:1] offset:8
	s_nop 0
	flat_load_dwordx2 v[18:19], v[0:1] offset:24
	s_waitcnt vmcnt(0) lgkmcnt(0)
	flat_load_dwordx4 v[14:17], v[20:21] offset:32
	flat_load_dwordx4 v[6:9], v[20:21] offset:48
	;; [unrolled: 1-line block ×4, first 2 shown]
	s_waitcnt vmcnt(0) lgkmcnt(0)
	v_cmp_gt_i16_sdwa s[6:7], v14, s4 src0_sel:BYTE_0 src1_sel:DWORD
	s_mov_b64 s[4:5], 0
	s_and_saveexec_b64 s[8:9], s[6:7]
	s_xor_b64 s[6:7], exec, s[8:9]
	s_cbranch_execnz .LBB57_2305
; %bb.257:
	s_or_saveexec_b64 s[6:7], s[6:7]
	v_mov_b32_e32 v20, s10
	s_xor_b64 exec, exec, s[6:7]
	s_cbranch_execnz .LBB57_2308
.LBB57_258:
	s_or_b64 exec, exec, s[6:7]
	s_and_saveexec_b64 s[6:7], s[4:5]
	s_cbranch_execz .LBB57_260
.LBB57_259:
	v_and_b32_e32 v20, 7, v14
	v_ffbh_u32_e32 v22, v20
	v_min_u32_e32 v22, 32, v22
	v_lshrrev_b16_e32 v21, 3, v14
	v_subrev_u32_e32 v23, 28, v22
	v_and_b32_e32 v21, 15, v21
	v_lshlrev_b32_e32 v23, v23, v14
	v_sub_u32_e32 v22, 29, v22
	v_and_b32_e32 v23, 7, v23
	v_cmp_eq_u16_e32 vcc, 0, v21
	v_cndmask_b32_e32 v20, v20, v23, vcc
	v_cndmask_b32_e32 v21, v21, v22, vcc
	v_lshlrev_b32_e32 v22, 24, v14
	v_mov_b32_e32 v23, 0x3b800000
	v_lshlrev_b32_e32 v20, 20, v20
	v_and_b32_e32 v22, 0x80000000, v22
	v_lshl_add_u32 v21, v21, 23, v23
	v_or3_b32 v20, v22, v21, v20
.LBB57_260:
	s_or_b64 exec, exec, s[6:7]
	s_movk_i32 s4, 0x7f
	v_cmp_gt_i16_sdwa s[6:7], v10, s4 src0_sel:BYTE_0 src1_sel:DWORD
	s_mov_b64 s[4:5], 0
                                        ; implicit-def: $sgpr10
	s_and_saveexec_b64 s[8:9], s[6:7]
	s_xor_b64 s[6:7], exec, s[8:9]
	s_cbranch_execnz .LBB57_2309
; %bb.261:
	s_or_saveexec_b64 s[6:7], s[6:7]
	v_mov_b32_e32 v21, s10
	s_xor_b64 exec, exec, s[6:7]
	s_cbranch_execnz .LBB57_2312
.LBB57_262:
	s_or_b64 exec, exec, s[6:7]
	s_and_saveexec_b64 s[6:7], s[4:5]
	s_cbranch_execz .LBB57_264
.LBB57_263:
	v_and_b32_e32 v21, 7, v10
	v_ffbh_u32_e32 v23, v21
	v_min_u32_e32 v23, 32, v23
	v_lshrrev_b16_e32 v22, 3, v10
	v_subrev_u32_e32 v24, 28, v23
	v_and_b32_e32 v22, 15, v22
	v_lshlrev_b32_e32 v24, v24, v10
	v_sub_u32_e32 v23, 29, v23
	v_and_b32_e32 v24, 7, v24
	v_cmp_eq_u16_e32 vcc, 0, v22
	v_cndmask_b32_e32 v21, v21, v24, vcc
	v_cndmask_b32_e32 v22, v22, v23, vcc
	v_lshlrev_b32_e32 v23, 24, v10
	v_mov_b32_e32 v24, 0x3b800000
	v_lshlrev_b32_e32 v21, 20, v21
	v_and_b32_e32 v23, 0x80000000, v23
	v_lshl_add_u32 v22, v22, 23, v24
	v_or3_b32 v21, v23, v22, v21
.LBB57_264:
	s_or_b64 exec, exec, s[6:7]
	flat_load_dwordx4 a[0:3], v[18:19] offset:656
	s_movk_i32 s4, 0x7f
                                        ; implicit-def: $sgpr10
	s_waitcnt vmcnt(0) lgkmcnt(0)
	v_mfma_f32_16x16x4f32 a[0:3], v20, v21, a[0:3]
	v_lshrrev_b32_e32 v21, 8, v14
	v_cmp_gt_i16_sdwa s[6:7], v21, s4 src0_sel:BYTE_0 src1_sel:DWORD
	s_mov_b64 s[4:5], 0
	s_and_saveexec_b64 s[8:9], s[6:7]
	s_xor_b64 s[6:7], exec, s[8:9]
	s_cbranch_execnz .LBB57_2313
; %bb.265:
	s_or_saveexec_b64 s[6:7], s[6:7]
	v_mov_b32_e32 v20, s10
	s_xor_b64 exec, exec, s[6:7]
	s_cbranch_execnz .LBB57_2316
.LBB57_266:
	s_or_b64 exec, exec, s[6:7]
	s_and_saveexec_b64 s[6:7], s[4:5]
	s_cbranch_execz .LBB57_268
.LBB57_267:
	v_bfe_u32 v20, v14, 8, 3
	v_ffbh_u32_e32 v23, v20
	v_min_u32_e32 v23, 32, v23
	v_lshrrev_b16_e32 v22, 3, v21
	v_subrev_u32_e32 v24, 28, v23
	v_and_b32_e32 v22, 15, v22
	v_lshlrev_b32_e32 v21, v24, v21
	v_sub_u32_e32 v23, 29, v23
	v_and_b32_e32 v21, 7, v21
	v_cmp_eq_u16_e32 vcc, 0, v22
	v_cndmask_b32_e32 v20, v20, v21, vcc
	v_cndmask_b32_e32 v21, v22, v23, vcc
	v_lshlrev_b32_e32 v22, 16, v14
	v_mov_b32_e32 v23, 0x3b800000
	v_lshlrev_b32_e32 v20, 20, v20
	v_and_b32_e32 v22, 0x80000000, v22
	v_lshl_add_u32 v21, v21, 23, v23
	v_or3_b32 v20, v22, v21, v20
.LBB57_268:
	s_or_b64 exec, exec, s[6:7]
	v_lshrrev_b32_e32 v21, 8, v10
	s_movk_i32 s4, 0x7f
	v_cmp_gt_i16_sdwa s[6:7], v21, s4 src0_sel:BYTE_0 src1_sel:DWORD
	s_mov_b64 s[4:5], 0
                                        ; implicit-def: $sgpr10
	s_and_saveexec_b64 s[8:9], s[6:7]
	s_xor_b64 s[6:7], exec, s[8:9]
	s_cbranch_execnz .LBB57_2317
; %bb.269:
	s_or_saveexec_b64 s[6:7], s[6:7]
	v_mov_b32_e32 v22, s10
	s_xor_b64 exec, exec, s[6:7]
	s_cbranch_execnz .LBB57_2320
.LBB57_270:
	s_or_b64 exec, exec, s[6:7]
	s_and_saveexec_b64 s[6:7], s[4:5]
	s_cbranch_execz .LBB57_272
.LBB57_271:
	v_bfe_u32 v22, v10, 8, 3
	v_ffbh_u32_e32 v24, v22
	v_min_u32_e32 v24, 32, v24
	v_lshrrev_b16_e32 v23, 3, v21
	v_subrev_u32_e32 v25, 28, v24
	v_and_b32_e32 v23, 15, v23
	v_lshlrev_b32_e32 v21, v25, v21
	v_sub_u32_e32 v24, 29, v24
	v_and_b32_e32 v21, 7, v21
	v_cmp_eq_u16_e32 vcc, 0, v23
	v_cndmask_b32_e32 v21, v22, v21, vcc
	v_cndmask_b32_e32 v22, v23, v24, vcc
	v_lshlrev_b32_e32 v23, 16, v10
	v_mov_b32_e32 v24, 0x3b800000
	v_lshlrev_b32_e32 v21, 20, v21
	v_and_b32_e32 v23, 0x80000000, v23
	v_lshl_add_u32 v22, v22, 23, v24
	v_or3_b32 v22, v23, v22, v21
.LBB57_272:
	s_or_b64 exec, exec, s[6:7]
	s_nop 0
	v_mfma_f32_16x16x4f32 a[0:3], v20, v22, a[0:3]
	s_movk_i32 s4, 0xff
	v_and_b32_sdwa v21, v14, s4 dst_sel:DWORD dst_unused:UNUSED_PAD src0_sel:WORD_1 src1_sel:DWORD
	s_movk_i32 s4, 0x7f
	v_cmp_lt_i16_e32 vcc, s4, v21
	s_mov_b64 s[4:5], 0
                                        ; implicit-def: $sgpr10
	s_and_saveexec_b64 s[6:7], vcc
	s_xor_b64 s[6:7], exec, s[6:7]
	s_cbranch_execnz .LBB57_2321
; %bb.273:
	s_or_saveexec_b64 s[6:7], s[6:7]
	v_mov_b32_e32 v20, s10
	s_xor_b64 exec, exec, s[6:7]
	s_cbranch_execnz .LBB57_2324
.LBB57_274:
	s_or_b64 exec, exec, s[6:7]
	s_and_saveexec_b64 s[6:7], s[4:5]
	s_cbranch_execz .LBB57_276
.LBB57_275:
	v_bfe_u32 v20, v14, 16, 3
	v_ffbh_u32_e32 v23, v20
	v_min_u32_e32 v23, 32, v23
	v_lshrrev_b32_e32 v21, 19, v14
	v_subrev_u32_e32 v24, 28, v23
	v_and_b32_e32 v21, 15, v21
	v_lshlrev_b32_sdwa v24, v24, v14 dst_sel:DWORD dst_unused:UNUSED_PAD src0_sel:DWORD src1_sel:WORD_1
	v_bfe_u32 v22, v14, 19, 4
	v_sub_u32_e32 v23, 29, v23
	v_and_b32_e32 v24, 7, v24
	v_cmp_eq_u16_e32 vcc, 0, v21
	v_cndmask_b32_e32 v20, v20, v24, vcc
	v_cndmask_b32_e32 v21, v22, v23, vcc
	v_lshlrev_b32_e32 v22, 8, v14
	v_mov_b32_e32 v23, 0x3b800000
	v_lshlrev_b32_e32 v20, 20, v20
	v_and_b32_e32 v22, 0x80000000, v22
	v_lshl_add_u32 v21, v21, 23, v23
	v_or3_b32 v20, v22, v21, v20
.LBB57_276:
	s_or_b64 exec, exec, s[6:7]
	s_movk_i32 s4, 0xff
	v_and_b32_sdwa v21, v10, s4 dst_sel:DWORD dst_unused:UNUSED_PAD src0_sel:WORD_1 src1_sel:DWORD
	s_movk_i32 s4, 0x7f
	v_cmp_lt_i16_e32 vcc, s4, v21
	s_mov_b64 s[4:5], 0
                                        ; implicit-def: $sgpr10
	s_and_saveexec_b64 s[6:7], vcc
	s_xor_b64 s[6:7], exec, s[6:7]
	s_cbranch_execnz .LBB57_2325
; %bb.277:
	s_or_saveexec_b64 s[6:7], s[6:7]
	v_mov_b32_e32 v22, s10
	s_xor_b64 exec, exec, s[6:7]
	s_cbranch_execnz .LBB57_2328
.LBB57_278:
	s_or_b64 exec, exec, s[6:7]
	s_and_saveexec_b64 s[6:7], s[4:5]
	s_cbranch_execz .LBB57_280
.LBB57_279:
	v_bfe_u32 v21, v10, 16, 3
	v_ffbh_u32_e32 v24, v21
	v_min_u32_e32 v24, 32, v24
	v_lshrrev_b32_e32 v22, 19, v10
	v_subrev_u32_e32 v25, 28, v24
	v_and_b32_e32 v22, 15, v22
	v_lshlrev_b32_sdwa v25, v25, v10 dst_sel:DWORD dst_unused:UNUSED_PAD src0_sel:DWORD src1_sel:WORD_1
	v_bfe_u32 v23, v10, 19, 4
	v_sub_u32_e32 v24, 29, v24
	v_and_b32_e32 v25, 7, v25
	v_cmp_eq_u16_e32 vcc, 0, v22
	v_cndmask_b32_e32 v21, v21, v25, vcc
	v_cndmask_b32_e32 v22, v23, v24, vcc
	v_lshlrev_b32_e32 v23, 8, v10
	v_mov_b32_e32 v24, 0x3b800000
	v_lshlrev_b32_e32 v21, 20, v21
	v_and_b32_e32 v23, 0x80000000, v23
	v_lshl_add_u32 v22, v22, 23, v24
	v_or3_b32 v22, v23, v22, v21
.LBB57_280:
	s_or_b64 exec, exec, s[6:7]
	s_nop 0
	v_mfma_f32_16x16x4f32 a[0:3], v20, v22, a[0:3]
	s_movk_i32 s4, 0x7f
	v_cmp_gt_i16_sdwa s[6:7], v14, s4 src0_sel:BYTE_3 src1_sel:DWORD
	s_mov_b64 s[4:5], 0
                                        ; implicit-def: $sgpr10
	s_and_saveexec_b64 s[8:9], s[6:7]
	s_xor_b64 s[6:7], exec, s[8:9]
	s_cbranch_execnz .LBB57_2329
; %bb.281:
	s_or_saveexec_b64 s[6:7], s[6:7]
	v_mov_b32_e32 v20, s10
	s_xor_b64 exec, exec, s[6:7]
	s_cbranch_execnz .LBB57_2332
.LBB57_282:
	s_or_b64 exec, exec, s[6:7]
	s_and_saveexec_b64 s[6:7], s[4:5]
	s_cbranch_execz .LBB57_284
.LBB57_283:
	v_bfe_u32 v20, v14, 24, 3
	v_ffbh_u32_e32 v24, v20
	v_min_u32_e32 v24, 32, v24
	v_lshrrev_b32_e32 v22, 27, v14
	v_subrev_u32_e32 v25, 28, v24
	v_and_b32_e32 v21, 0x80000000, v14
	v_and_b32_e32 v22, 15, v22
	v_bfe_u32 v23, v14, 27, 4
	v_lshlrev_b32_sdwa v14, v25, v14 dst_sel:DWORD dst_unused:UNUSED_PAD src0_sel:DWORD src1_sel:BYTE_3
	v_sub_u32_e32 v24, 29, v24
	v_and_b32_e32 v14, 7, v14
	v_cmp_eq_u16_e32 vcc, 0, v22
	v_cndmask_b32_e32 v14, v20, v14, vcc
	v_cndmask_b32_e32 v20, v23, v24, vcc
	v_mov_b32_e32 v22, 0x3b800000
	v_lshlrev_b32_e32 v14, 20, v14
	v_lshl_add_u32 v20, v20, 23, v22
	v_or3_b32 v20, v21, v20, v14
.LBB57_284:
	s_or_b64 exec, exec, s[6:7]
	s_movk_i32 s4, 0x7f
	v_cmp_gt_i16_sdwa s[6:7], v10, s4 src0_sel:BYTE_3 src1_sel:DWORD
	s_mov_b64 s[4:5], 0
                                        ; implicit-def: $sgpr10
	s_and_saveexec_b64 s[8:9], s[6:7]
	s_xor_b64 s[6:7], exec, s[8:9]
	s_cbranch_execnz .LBB57_2333
; %bb.285:
	s_or_saveexec_b64 s[6:7], s[6:7]
	v_mov_b32_e32 v14, s10
	s_xor_b64 exec, exec, s[6:7]
	s_cbranch_execnz .LBB57_2336
.LBB57_286:
	s_or_b64 exec, exec, s[6:7]
	s_and_saveexec_b64 s[6:7], s[4:5]
	s_cbranch_execz .LBB57_288
.LBB57_287:
	v_bfe_u32 v14, v10, 24, 3
	v_ffbh_u32_e32 v24, v14
	v_min_u32_e32 v24, 32, v24
	v_lshrrev_b32_e32 v22, 27, v10
	v_subrev_u32_e32 v25, 28, v24
	v_and_b32_e32 v21, 0x80000000, v10
	v_and_b32_e32 v22, 15, v22
	v_bfe_u32 v23, v10, 27, 4
	v_lshlrev_b32_sdwa v10, v25, v10 dst_sel:DWORD dst_unused:UNUSED_PAD src0_sel:DWORD src1_sel:BYTE_3
	v_sub_u32_e32 v24, 29, v24
	v_and_b32_e32 v10, 7, v10
	v_cmp_eq_u16_e32 vcc, 0, v22
	v_cndmask_b32_e32 v10, v14, v10, vcc
	v_cndmask_b32_e32 v14, v23, v24, vcc
	v_mov_b32_e32 v22, 0x3b800000
	v_lshlrev_b32_e32 v10, 20, v10
	v_lshl_add_u32 v14, v14, 23, v22
	v_or3_b32 v14, v21, v14, v10
.LBB57_288:
	s_or_b64 exec, exec, s[6:7]
	s_nop 0
	v_mfma_f32_16x16x4f32 a[0:3], v20, v14, a[0:3]
	s_movk_i32 s4, 0x7f
	v_cmp_gt_i16_sdwa s[6:7], v15, s4 src0_sel:BYTE_0 src1_sel:DWORD
	s_mov_b64 s[4:5], 0
                                        ; implicit-def: $sgpr10
	s_and_saveexec_b64 s[8:9], s[6:7]
	s_xor_b64 s[6:7], exec, s[8:9]
	s_cbranch_execnz .LBB57_2337
; %bb.289:
	s_or_saveexec_b64 s[6:7], s[6:7]
	v_mov_b32_e32 v10, s10
	s_xor_b64 exec, exec, s[6:7]
	s_cbranch_execnz .LBB57_2340
.LBB57_290:
	s_or_b64 exec, exec, s[6:7]
	s_and_saveexec_b64 s[6:7], s[4:5]
	s_cbranch_execz .LBB57_292
.LBB57_291:
	v_and_b32_e32 v10, 7, v15
	v_ffbh_u32_e32 v20, v10
	v_min_u32_e32 v20, 32, v20
	v_lshrrev_b16_e32 v14, 3, v15
	v_subrev_u32_e32 v21, 28, v20
	v_and_b32_e32 v14, 15, v14
	v_lshlrev_b32_e32 v21, v21, v15
	v_sub_u32_e32 v20, 29, v20
	v_and_b32_e32 v21, 7, v21
	v_cmp_eq_u16_e32 vcc, 0, v14
	v_cndmask_b32_e32 v10, v10, v21, vcc
	v_cndmask_b32_e32 v14, v14, v20, vcc
	v_lshlrev_b32_e32 v20, 24, v15
	v_mov_b32_e32 v21, 0x3b800000
	v_lshlrev_b32_e32 v10, 20, v10
	v_and_b32_e32 v20, 0x80000000, v20
	v_lshl_add_u32 v14, v14, 23, v21
	v_or3_b32 v10, v20, v14, v10
.LBB57_292:
	s_or_b64 exec, exec, s[6:7]
	s_movk_i32 s4, 0x7f
	v_cmp_gt_i16_sdwa s[6:7], v11, s4 src0_sel:BYTE_0 src1_sel:DWORD
	s_mov_b64 s[4:5], 0
                                        ; implicit-def: $sgpr10
	s_and_saveexec_b64 s[8:9], s[6:7]
	s_xor_b64 s[6:7], exec, s[8:9]
	s_cbranch_execnz .LBB57_2341
; %bb.293:
	s_or_saveexec_b64 s[6:7], s[6:7]
	v_mov_b32_e32 v14, s10
	s_xor_b64 exec, exec, s[6:7]
	s_cbranch_execnz .LBB57_2344
.LBB57_294:
	s_or_b64 exec, exec, s[6:7]
	s_and_saveexec_b64 s[6:7], s[4:5]
	s_cbranch_execz .LBB57_296
.LBB57_295:
	v_and_b32_e32 v14, 7, v11
	v_ffbh_u32_e32 v21, v14
	v_min_u32_e32 v21, 32, v21
	v_lshrrev_b16_e32 v20, 3, v11
	v_subrev_u32_e32 v22, 28, v21
	v_and_b32_e32 v20, 15, v20
	v_lshlrev_b32_e32 v22, v22, v11
	v_sub_u32_e32 v21, 29, v21
	v_and_b32_e32 v22, 7, v22
	v_cmp_eq_u16_e32 vcc, 0, v20
	v_cndmask_b32_e32 v14, v14, v22, vcc
	v_cndmask_b32_e32 v20, v20, v21, vcc
	v_lshlrev_b32_e32 v21, 24, v11
	v_mov_b32_e32 v22, 0x3b800000
	v_lshlrev_b32_e32 v14, 20, v14
	v_and_b32_e32 v21, 0x80000000, v21
	v_lshl_add_u32 v20, v20, 23, v22
	v_or3_b32 v14, v21, v20, v14
.LBB57_296:
	s_or_b64 exec, exec, s[6:7]
	s_nop 0
	v_mfma_f32_16x16x4f32 a[0:3], v10, v14, a[0:3]
	v_lshrrev_b32_e32 v14, 8, v15
	s_movk_i32 s4, 0x7f
	v_cmp_gt_i16_sdwa s[6:7], v14, s4 src0_sel:BYTE_0 src1_sel:DWORD
	s_mov_b64 s[4:5], 0
                                        ; implicit-def: $sgpr10
	s_and_saveexec_b64 s[8:9], s[6:7]
	s_xor_b64 s[6:7], exec, s[8:9]
	s_cbranch_execnz .LBB57_2345
; %bb.297:
	s_or_saveexec_b64 s[6:7], s[6:7]
	v_mov_b32_e32 v10, s10
	s_xor_b64 exec, exec, s[6:7]
	s_cbranch_execnz .LBB57_2348
.LBB57_298:
	s_or_b64 exec, exec, s[6:7]
	s_and_saveexec_b64 s[6:7], s[4:5]
	s_cbranch_execz .LBB57_300
.LBB57_299:
	v_bfe_u32 v10, v15, 8, 3
	v_ffbh_u32_e32 v21, v10
	v_min_u32_e32 v21, 32, v21
	v_lshrrev_b16_e32 v20, 3, v14
	v_subrev_u32_e32 v22, 28, v21
	v_and_b32_e32 v20, 15, v20
	v_lshlrev_b32_e32 v14, v22, v14
	v_sub_u32_e32 v21, 29, v21
	v_and_b32_e32 v14, 7, v14
	v_cmp_eq_u16_e32 vcc, 0, v20
	v_cndmask_b32_e32 v10, v10, v14, vcc
	v_cndmask_b32_e32 v14, v20, v21, vcc
	v_lshlrev_b32_e32 v20, 16, v15
	v_mov_b32_e32 v21, 0x3b800000
	v_lshlrev_b32_e32 v10, 20, v10
	v_and_b32_e32 v20, 0x80000000, v20
	v_lshl_add_u32 v14, v14, 23, v21
	v_or3_b32 v10, v20, v14, v10
.LBB57_300:
	s_or_b64 exec, exec, s[6:7]
	v_lshrrev_b32_e32 v14, 8, v11
	s_movk_i32 s4, 0x7f
	v_cmp_gt_i16_sdwa s[6:7], v14, s4 src0_sel:BYTE_0 src1_sel:DWORD
	s_mov_b64 s[4:5], 0
                                        ; implicit-def: $sgpr10
	s_and_saveexec_b64 s[8:9], s[6:7]
	s_xor_b64 s[6:7], exec, s[8:9]
	s_cbranch_execnz .LBB57_2349
; %bb.301:
	s_or_saveexec_b64 s[6:7], s[6:7]
	v_mov_b32_e32 v20, s10
	s_xor_b64 exec, exec, s[6:7]
	s_cbranch_execnz .LBB57_2352
.LBB57_302:
	s_or_b64 exec, exec, s[6:7]
	s_and_saveexec_b64 s[6:7], s[4:5]
	s_cbranch_execz .LBB57_304
.LBB57_303:
	v_bfe_u32 v20, v11, 8, 3
	v_ffbh_u32_e32 v22, v20
	v_min_u32_e32 v22, 32, v22
	v_lshrrev_b16_e32 v21, 3, v14
	v_subrev_u32_e32 v23, 28, v22
	v_and_b32_e32 v21, 15, v21
	v_lshlrev_b32_e32 v14, v23, v14
	v_sub_u32_e32 v22, 29, v22
	v_and_b32_e32 v14, 7, v14
	v_cmp_eq_u16_e32 vcc, 0, v21
	v_cndmask_b32_e32 v14, v20, v14, vcc
	v_cndmask_b32_e32 v20, v21, v22, vcc
	v_lshlrev_b32_e32 v21, 16, v11
	v_mov_b32_e32 v22, 0x3b800000
	v_lshlrev_b32_e32 v14, 20, v14
	v_and_b32_e32 v21, 0x80000000, v21
	v_lshl_add_u32 v20, v20, 23, v22
	v_or3_b32 v20, v21, v20, v14
.LBB57_304:
	s_or_b64 exec, exec, s[6:7]
	s_nop 0
	v_mfma_f32_16x16x4f32 a[0:3], v10, v20, a[0:3]
	s_movk_i32 s4, 0xff
	v_and_b32_sdwa v14, v15, s4 dst_sel:DWORD dst_unused:UNUSED_PAD src0_sel:WORD_1 src1_sel:DWORD
	s_movk_i32 s4, 0x7f
	v_cmp_lt_i16_e32 vcc, s4, v14
	s_mov_b64 s[4:5], 0
                                        ; implicit-def: $sgpr10
	s_and_saveexec_b64 s[6:7], vcc
	s_xor_b64 s[6:7], exec, s[6:7]
	s_cbranch_execnz .LBB57_2353
; %bb.305:
	s_or_saveexec_b64 s[6:7], s[6:7]
	v_mov_b32_e32 v10, s10
	s_xor_b64 exec, exec, s[6:7]
	s_cbranch_execnz .LBB57_2356
.LBB57_306:
	s_or_b64 exec, exec, s[6:7]
	s_and_saveexec_b64 s[6:7], s[4:5]
	s_cbranch_execz .LBB57_308
.LBB57_307:
	v_bfe_u32 v10, v15, 16, 3
	v_ffbh_u32_e32 v21, v10
	v_min_u32_e32 v21, 32, v21
	v_lshrrev_b32_e32 v14, 19, v15
	v_subrev_u32_e32 v22, 28, v21
	v_and_b32_e32 v14, 15, v14
	v_lshlrev_b32_sdwa v22, v22, v15 dst_sel:DWORD dst_unused:UNUSED_PAD src0_sel:DWORD src1_sel:WORD_1
	v_bfe_u32 v20, v15, 19, 4
	v_sub_u32_e32 v21, 29, v21
	v_and_b32_e32 v22, 7, v22
	v_cmp_eq_u16_e32 vcc, 0, v14
	v_cndmask_b32_e32 v10, v10, v22, vcc
	v_cndmask_b32_e32 v14, v20, v21, vcc
	v_lshlrev_b32_e32 v20, 8, v15
	v_mov_b32_e32 v21, 0x3b800000
	v_lshlrev_b32_e32 v10, 20, v10
	v_and_b32_e32 v20, 0x80000000, v20
	v_lshl_add_u32 v14, v14, 23, v21
	v_or3_b32 v10, v20, v14, v10
.LBB57_308:
	s_or_b64 exec, exec, s[6:7]
	s_movk_i32 s4, 0xff
	v_and_b32_sdwa v14, v11, s4 dst_sel:DWORD dst_unused:UNUSED_PAD src0_sel:WORD_1 src1_sel:DWORD
	s_movk_i32 s4, 0x7f
	v_cmp_lt_i16_e32 vcc, s4, v14
	s_mov_b64 s[4:5], 0
                                        ; implicit-def: $sgpr10
	s_and_saveexec_b64 s[6:7], vcc
	s_xor_b64 s[6:7], exec, s[6:7]
	s_cbranch_execnz .LBB57_2357
; %bb.309:
	s_or_saveexec_b64 s[6:7], s[6:7]
	v_mov_b32_e32 v20, s10
	s_xor_b64 exec, exec, s[6:7]
	s_cbranch_execnz .LBB57_2360
.LBB57_310:
	s_or_b64 exec, exec, s[6:7]
	s_and_saveexec_b64 s[6:7], s[4:5]
	s_cbranch_execz .LBB57_312
.LBB57_311:
	v_bfe_u32 v14, v11, 16, 3
	v_ffbh_u32_e32 v22, v14
	v_min_u32_e32 v22, 32, v22
	v_lshrrev_b32_e32 v20, 19, v11
	v_subrev_u32_e32 v23, 28, v22
	v_and_b32_e32 v20, 15, v20
	v_lshlrev_b32_sdwa v23, v23, v11 dst_sel:DWORD dst_unused:UNUSED_PAD src0_sel:DWORD src1_sel:WORD_1
	v_bfe_u32 v21, v11, 19, 4
	v_sub_u32_e32 v22, 29, v22
	v_and_b32_e32 v23, 7, v23
	v_cmp_eq_u16_e32 vcc, 0, v20
	v_cndmask_b32_e32 v14, v14, v23, vcc
	v_cndmask_b32_e32 v20, v21, v22, vcc
	v_lshlrev_b32_e32 v21, 8, v11
	v_mov_b32_e32 v22, 0x3b800000
	v_lshlrev_b32_e32 v14, 20, v14
	v_and_b32_e32 v21, 0x80000000, v21
	v_lshl_add_u32 v20, v20, 23, v22
	v_or3_b32 v20, v21, v20, v14
.LBB57_312:
	s_or_b64 exec, exec, s[6:7]
	s_nop 0
	v_mfma_f32_16x16x4f32 a[0:3], v10, v20, a[0:3]
	s_movk_i32 s4, 0x7f
	v_cmp_gt_i16_sdwa s[6:7], v15, s4 src0_sel:BYTE_3 src1_sel:DWORD
	s_mov_b64 s[4:5], 0
                                        ; implicit-def: $sgpr10
	s_and_saveexec_b64 s[8:9], s[6:7]
	s_xor_b64 s[6:7], exec, s[8:9]
	s_cbranch_execnz .LBB57_2361
; %bb.313:
	s_or_saveexec_b64 s[6:7], s[6:7]
	v_mov_b32_e32 v10, s10
	s_xor_b64 exec, exec, s[6:7]
	s_cbranch_execnz .LBB57_2364
.LBB57_314:
	s_or_b64 exec, exec, s[6:7]
	s_and_saveexec_b64 s[6:7], s[4:5]
	s_cbranch_execz .LBB57_316
.LBB57_315:
	v_bfe_u32 v10, v15, 24, 3
	v_ffbh_u32_e32 v22, v10
	v_min_u32_e32 v22, 32, v22
	v_lshrrev_b32_e32 v20, 27, v15
	v_subrev_u32_e32 v23, 28, v22
	v_and_b32_e32 v14, 0x80000000, v15
	v_and_b32_e32 v20, 15, v20
	v_bfe_u32 v21, v15, 27, 4
	v_lshlrev_b32_sdwa v15, v23, v15 dst_sel:DWORD dst_unused:UNUSED_PAD src0_sel:DWORD src1_sel:BYTE_3
	v_sub_u32_e32 v22, 29, v22
	v_and_b32_e32 v15, 7, v15
	v_cmp_eq_u16_e32 vcc, 0, v20
	v_cndmask_b32_e32 v10, v10, v15, vcc
	v_cndmask_b32_e32 v15, v21, v22, vcc
	v_mov_b32_e32 v20, 0x3b800000
	v_lshlrev_b32_e32 v10, 20, v10
	v_lshl_add_u32 v15, v15, 23, v20
	v_or3_b32 v10, v14, v15, v10
.LBB57_316:
	s_or_b64 exec, exec, s[6:7]
	s_movk_i32 s4, 0x7f
	v_cmp_gt_i16_sdwa s[6:7], v11, s4 src0_sel:BYTE_3 src1_sel:DWORD
	s_mov_b64 s[4:5], 0
                                        ; implicit-def: $sgpr10
	s_and_saveexec_b64 s[8:9], s[6:7]
	s_xor_b64 s[6:7], exec, s[8:9]
	s_cbranch_execnz .LBB57_2365
; %bb.317:
	s_or_saveexec_b64 s[6:7], s[6:7]
	v_mov_b32_e32 v14, s10
	s_xor_b64 exec, exec, s[6:7]
	s_cbranch_execnz .LBB57_2368
.LBB57_318:
	s_or_b64 exec, exec, s[6:7]
	s_and_saveexec_b64 s[6:7], s[4:5]
	s_cbranch_execz .LBB57_320
.LBB57_319:
	v_bfe_u32 v14, v11, 24, 3
	v_ffbh_u32_e32 v22, v14
	v_min_u32_e32 v22, 32, v22
	v_lshrrev_b32_e32 v20, 27, v11
	v_subrev_u32_e32 v23, 28, v22
	v_and_b32_e32 v15, 0x80000000, v11
	v_and_b32_e32 v20, 15, v20
	v_bfe_u32 v21, v11, 27, 4
	v_lshlrev_b32_sdwa v11, v23, v11 dst_sel:DWORD dst_unused:UNUSED_PAD src0_sel:DWORD src1_sel:BYTE_3
	v_sub_u32_e32 v22, 29, v22
	v_and_b32_e32 v11, 7, v11
	v_cmp_eq_u16_e32 vcc, 0, v20
	v_cndmask_b32_e32 v11, v14, v11, vcc
	v_cndmask_b32_e32 v14, v21, v22, vcc
	v_mov_b32_e32 v20, 0x3b800000
	v_lshlrev_b32_e32 v11, 20, v11
	v_lshl_add_u32 v14, v14, 23, v20
	v_or3_b32 v14, v15, v14, v11
.LBB57_320:
	s_or_b64 exec, exec, s[6:7]
	s_nop 0
	v_mfma_f32_16x16x4f32 a[0:3], v10, v14, a[0:3]
	s_movk_i32 s4, 0x7f
	v_cmp_gt_i16_sdwa s[6:7], v16, s4 src0_sel:BYTE_0 src1_sel:DWORD
	s_mov_b64 s[4:5], 0
                                        ; implicit-def: $sgpr10
	s_and_saveexec_b64 s[8:9], s[6:7]
	s_xor_b64 s[6:7], exec, s[8:9]
	s_cbranch_execnz .LBB57_2369
; %bb.321:
	s_or_saveexec_b64 s[6:7], s[6:7]
	v_mov_b32_e32 v10, s10
	s_xor_b64 exec, exec, s[6:7]
	s_cbranch_execnz .LBB57_2372
.LBB57_322:
	s_or_b64 exec, exec, s[6:7]
	s_and_saveexec_b64 s[6:7], s[4:5]
	s_cbranch_execz .LBB57_324
.LBB57_323:
	v_and_b32_e32 v10, 7, v16
	v_ffbh_u32_e32 v14, v10
	v_min_u32_e32 v14, 32, v14
	v_lshrrev_b16_e32 v11, 3, v16
	v_subrev_u32_e32 v15, 28, v14
	v_and_b32_e32 v11, 15, v11
	v_lshlrev_b32_e32 v15, v15, v16
	v_sub_u32_e32 v14, 29, v14
	v_and_b32_e32 v15, 7, v15
	v_cmp_eq_u16_e32 vcc, 0, v11
	v_cndmask_b32_e32 v10, v10, v15, vcc
	v_cndmask_b32_e32 v11, v11, v14, vcc
	v_lshlrev_b32_e32 v14, 24, v16
	v_mov_b32_e32 v15, 0x3b800000
	v_lshlrev_b32_e32 v10, 20, v10
	v_and_b32_e32 v14, 0x80000000, v14
	v_lshl_add_u32 v11, v11, 23, v15
	v_or3_b32 v10, v14, v11, v10
.LBB57_324:
	s_or_b64 exec, exec, s[6:7]
	s_movk_i32 s4, 0x7f
	v_cmp_gt_i16_sdwa s[6:7], v12, s4 src0_sel:BYTE_0 src1_sel:DWORD
	s_mov_b64 s[4:5], 0
                                        ; implicit-def: $sgpr10
	s_and_saveexec_b64 s[8:9], s[6:7]
	s_xor_b64 s[6:7], exec, s[8:9]
	s_cbranch_execnz .LBB57_2373
; %bb.325:
	s_or_saveexec_b64 s[6:7], s[6:7]
	v_mov_b32_e32 v11, s10
	s_xor_b64 exec, exec, s[6:7]
	s_cbranch_execnz .LBB57_2376
.LBB57_326:
	s_or_b64 exec, exec, s[6:7]
	s_and_saveexec_b64 s[6:7], s[4:5]
	s_cbranch_execz .LBB57_328
.LBB57_327:
	v_and_b32_e32 v11, 7, v12
	v_ffbh_u32_e32 v15, v11
	v_min_u32_e32 v15, 32, v15
	v_lshrrev_b16_e32 v14, 3, v12
	v_subrev_u32_e32 v20, 28, v15
	v_and_b32_e32 v14, 15, v14
	v_lshlrev_b32_e32 v20, v20, v12
	v_sub_u32_e32 v15, 29, v15
	v_and_b32_e32 v20, 7, v20
	v_cmp_eq_u16_e32 vcc, 0, v14
	v_cndmask_b32_e32 v11, v11, v20, vcc
	v_cndmask_b32_e32 v14, v14, v15, vcc
	v_lshlrev_b32_e32 v15, 24, v12
	v_mov_b32_e32 v20, 0x3b800000
	v_lshlrev_b32_e32 v11, 20, v11
	v_and_b32_e32 v15, 0x80000000, v15
	v_lshl_add_u32 v14, v14, 23, v20
	v_or3_b32 v11, v15, v14, v11
.LBB57_328:
	s_or_b64 exec, exec, s[6:7]
	s_nop 0
	v_mfma_f32_16x16x4f32 a[0:3], v10, v11, a[0:3]
	v_lshrrev_b32_e32 v11, 8, v16
	s_movk_i32 s4, 0x7f
	v_cmp_gt_i16_sdwa s[6:7], v11, s4 src0_sel:BYTE_0 src1_sel:DWORD
	s_mov_b64 s[4:5], 0
                                        ; implicit-def: $sgpr10
	s_and_saveexec_b64 s[8:9], s[6:7]
	s_xor_b64 s[6:7], exec, s[8:9]
	s_cbranch_execnz .LBB57_2377
; %bb.329:
	s_or_saveexec_b64 s[6:7], s[6:7]
	v_mov_b32_e32 v10, s10
	s_xor_b64 exec, exec, s[6:7]
	s_cbranch_execnz .LBB57_2380
.LBB57_330:
	s_or_b64 exec, exec, s[6:7]
	s_and_saveexec_b64 s[6:7], s[4:5]
	s_cbranch_execz .LBB57_332
.LBB57_331:
	v_bfe_u32 v10, v16, 8, 3
	v_ffbh_u32_e32 v15, v10
	v_min_u32_e32 v15, 32, v15
	v_lshrrev_b16_e32 v14, 3, v11
	v_subrev_u32_e32 v20, 28, v15
	v_and_b32_e32 v14, 15, v14
	v_lshlrev_b32_e32 v11, v20, v11
	v_sub_u32_e32 v15, 29, v15
	v_and_b32_e32 v11, 7, v11
	v_cmp_eq_u16_e32 vcc, 0, v14
	v_cndmask_b32_e32 v10, v10, v11, vcc
	v_cndmask_b32_e32 v11, v14, v15, vcc
	v_lshlrev_b32_e32 v14, 16, v16
	v_mov_b32_e32 v15, 0x3b800000
	v_lshlrev_b32_e32 v10, 20, v10
	v_and_b32_e32 v14, 0x80000000, v14
	v_lshl_add_u32 v11, v11, 23, v15
	v_or3_b32 v10, v14, v11, v10
.LBB57_332:
	s_or_b64 exec, exec, s[6:7]
	v_lshrrev_b32_e32 v11, 8, v12
	s_movk_i32 s4, 0x7f
	v_cmp_gt_i16_sdwa s[6:7], v11, s4 src0_sel:BYTE_0 src1_sel:DWORD
	s_mov_b64 s[4:5], 0
                                        ; implicit-def: $sgpr10
	s_and_saveexec_b64 s[8:9], s[6:7]
	s_xor_b64 s[6:7], exec, s[8:9]
	s_cbranch_execnz .LBB57_2381
; %bb.333:
	s_or_saveexec_b64 s[6:7], s[6:7]
	v_mov_b32_e32 v14, s10
	s_xor_b64 exec, exec, s[6:7]
	s_cbranch_execnz .LBB57_2384
.LBB57_334:
	s_or_b64 exec, exec, s[6:7]
	s_and_saveexec_b64 s[6:7], s[4:5]
	s_cbranch_execz .LBB57_336
.LBB57_335:
	v_bfe_u32 v14, v12, 8, 3
	v_ffbh_u32_e32 v20, v14
	v_min_u32_e32 v20, 32, v20
	v_lshrrev_b16_e32 v15, 3, v11
	v_subrev_u32_e32 v21, 28, v20
	v_and_b32_e32 v15, 15, v15
	v_lshlrev_b32_e32 v11, v21, v11
	v_sub_u32_e32 v20, 29, v20
	v_and_b32_e32 v11, 7, v11
	v_cmp_eq_u16_e32 vcc, 0, v15
	v_cndmask_b32_e32 v11, v14, v11, vcc
	v_cndmask_b32_e32 v14, v15, v20, vcc
	v_lshlrev_b32_e32 v15, 16, v12
	v_mov_b32_e32 v20, 0x3b800000
	v_lshlrev_b32_e32 v11, 20, v11
	v_and_b32_e32 v15, 0x80000000, v15
	v_lshl_add_u32 v14, v14, 23, v20
	v_or3_b32 v14, v15, v14, v11
.LBB57_336:
	s_or_b64 exec, exec, s[6:7]
	s_nop 0
	v_mfma_f32_16x16x4f32 a[0:3], v10, v14, a[0:3]
	s_movk_i32 s4, 0xff
	v_and_b32_sdwa v11, v16, s4 dst_sel:DWORD dst_unused:UNUSED_PAD src0_sel:WORD_1 src1_sel:DWORD
	s_movk_i32 s4, 0x7f
	v_cmp_lt_i16_e32 vcc, s4, v11
	s_mov_b64 s[4:5], 0
                                        ; implicit-def: $sgpr10
	s_and_saveexec_b64 s[6:7], vcc
	s_xor_b64 s[6:7], exec, s[6:7]
	s_cbranch_execnz .LBB57_2385
; %bb.337:
	s_or_saveexec_b64 s[6:7], s[6:7]
	v_mov_b32_e32 v10, s10
	s_xor_b64 exec, exec, s[6:7]
	s_cbranch_execnz .LBB57_2388
.LBB57_338:
	s_or_b64 exec, exec, s[6:7]
	s_and_saveexec_b64 s[6:7], s[4:5]
	s_cbranch_execz .LBB57_340
.LBB57_339:
	v_bfe_u32 v10, v16, 16, 3
	v_ffbh_u32_e32 v15, v10
	v_min_u32_e32 v15, 32, v15
	v_lshrrev_b32_e32 v11, 19, v16
	v_subrev_u32_e32 v20, 28, v15
	v_and_b32_e32 v11, 15, v11
	v_lshlrev_b32_sdwa v20, v20, v16 dst_sel:DWORD dst_unused:UNUSED_PAD src0_sel:DWORD src1_sel:WORD_1
	v_bfe_u32 v14, v16, 19, 4
	v_sub_u32_e32 v15, 29, v15
	v_and_b32_e32 v20, 7, v20
	v_cmp_eq_u16_e32 vcc, 0, v11
	v_cndmask_b32_e32 v10, v10, v20, vcc
	v_cndmask_b32_e32 v11, v14, v15, vcc
	v_lshlrev_b32_e32 v14, 8, v16
	v_mov_b32_e32 v15, 0x3b800000
	v_lshlrev_b32_e32 v10, 20, v10
	v_and_b32_e32 v14, 0x80000000, v14
	v_lshl_add_u32 v11, v11, 23, v15
	v_or3_b32 v10, v14, v11, v10
.LBB57_340:
	s_or_b64 exec, exec, s[6:7]
	s_movk_i32 s4, 0xff
	v_and_b32_sdwa v11, v12, s4 dst_sel:DWORD dst_unused:UNUSED_PAD src0_sel:WORD_1 src1_sel:DWORD
	s_movk_i32 s4, 0x7f
	v_cmp_lt_i16_e32 vcc, s4, v11
	s_mov_b64 s[4:5], 0
                                        ; implicit-def: $sgpr10
	s_and_saveexec_b64 s[6:7], vcc
	s_xor_b64 s[6:7], exec, s[6:7]
	s_cbranch_execnz .LBB57_2389
; %bb.341:
	s_or_saveexec_b64 s[6:7], s[6:7]
	v_mov_b32_e32 v14, s10
	s_xor_b64 exec, exec, s[6:7]
	s_cbranch_execnz .LBB57_2392
.LBB57_342:
	s_or_b64 exec, exec, s[6:7]
	s_and_saveexec_b64 s[6:7], s[4:5]
	s_cbranch_execz .LBB57_344
.LBB57_343:
	v_bfe_u32 v11, v12, 16, 3
	v_ffbh_u32_e32 v20, v11
	v_min_u32_e32 v20, 32, v20
	v_lshrrev_b32_e32 v14, 19, v12
	v_subrev_u32_e32 v21, 28, v20
	v_and_b32_e32 v14, 15, v14
	v_lshlrev_b32_sdwa v21, v21, v12 dst_sel:DWORD dst_unused:UNUSED_PAD src0_sel:DWORD src1_sel:WORD_1
	v_bfe_u32 v15, v12, 19, 4
	v_sub_u32_e32 v20, 29, v20
	v_and_b32_e32 v21, 7, v21
	v_cmp_eq_u16_e32 vcc, 0, v14
	v_cndmask_b32_e32 v11, v11, v21, vcc
	v_cndmask_b32_e32 v14, v15, v20, vcc
	v_lshlrev_b32_e32 v15, 8, v12
	v_mov_b32_e32 v20, 0x3b800000
	v_lshlrev_b32_e32 v11, 20, v11
	v_and_b32_e32 v15, 0x80000000, v15
	v_lshl_add_u32 v14, v14, 23, v20
	v_or3_b32 v14, v15, v14, v11
.LBB57_344:
	s_or_b64 exec, exec, s[6:7]
	s_nop 0
	v_mfma_f32_16x16x4f32 a[0:3], v10, v14, a[0:3]
	s_movk_i32 s4, 0x7f
	v_cmp_gt_i16_sdwa s[6:7], v16, s4 src0_sel:BYTE_3 src1_sel:DWORD
	s_mov_b64 s[4:5], 0
                                        ; implicit-def: $sgpr10
	s_and_saveexec_b64 s[8:9], s[6:7]
	s_xor_b64 s[6:7], exec, s[8:9]
	s_cbranch_execnz .LBB57_2393
; %bb.345:
	s_or_saveexec_b64 s[6:7], s[6:7]
	v_mov_b32_e32 v10, s10
	s_xor_b64 exec, exec, s[6:7]
	s_cbranch_execnz .LBB57_2396
.LBB57_346:
	s_or_b64 exec, exec, s[6:7]
	s_and_saveexec_b64 s[6:7], s[4:5]
	s_cbranch_execz .LBB57_348
.LBB57_347:
	v_bfe_u32 v10, v16, 24, 3
	v_ffbh_u32_e32 v20, v10
	v_min_u32_e32 v20, 32, v20
	v_lshrrev_b32_e32 v14, 27, v16
	v_subrev_u32_e32 v21, 28, v20
	v_and_b32_e32 v11, 0x80000000, v16
	v_and_b32_e32 v14, 15, v14
	v_bfe_u32 v15, v16, 27, 4
	v_lshlrev_b32_sdwa v16, v21, v16 dst_sel:DWORD dst_unused:UNUSED_PAD src0_sel:DWORD src1_sel:BYTE_3
	v_sub_u32_e32 v20, 29, v20
	v_and_b32_e32 v16, 7, v16
	v_cmp_eq_u16_e32 vcc, 0, v14
	v_cndmask_b32_e32 v10, v10, v16, vcc
	v_cndmask_b32_e32 v14, v15, v20, vcc
	v_mov_b32_e32 v15, 0x3b800000
	v_lshlrev_b32_e32 v10, 20, v10
	v_lshl_add_u32 v14, v14, 23, v15
	v_or3_b32 v10, v11, v14, v10
.LBB57_348:
	s_or_b64 exec, exec, s[6:7]
	s_movk_i32 s4, 0x7f
	v_cmp_gt_i16_sdwa s[6:7], v12, s4 src0_sel:BYTE_3 src1_sel:DWORD
	s_mov_b64 s[4:5], 0
                                        ; implicit-def: $sgpr10
	s_and_saveexec_b64 s[8:9], s[6:7]
	s_xor_b64 s[6:7], exec, s[8:9]
	s_cbranch_execnz .LBB57_2397
; %bb.349:
	s_or_saveexec_b64 s[6:7], s[6:7]
	v_mov_b32_e32 v11, s10
	s_xor_b64 exec, exec, s[6:7]
	s_cbranch_execnz .LBB57_2400
.LBB57_350:
	s_or_b64 exec, exec, s[6:7]
	s_and_saveexec_b64 s[6:7], s[4:5]
	s_cbranch_execz .LBB57_352
.LBB57_351:
	v_bfe_u32 v11, v12, 24, 3
	v_ffbh_u32_e32 v20, v11
	v_min_u32_e32 v20, 32, v20
	v_lshrrev_b32_e32 v15, 27, v12
	v_subrev_u32_e32 v21, 28, v20
	v_and_b32_e32 v14, 0x80000000, v12
	v_and_b32_e32 v15, 15, v15
	v_bfe_u32 v16, v12, 27, 4
	v_lshlrev_b32_sdwa v12, v21, v12 dst_sel:DWORD dst_unused:UNUSED_PAD src0_sel:DWORD src1_sel:BYTE_3
	v_sub_u32_e32 v20, 29, v20
	v_and_b32_e32 v12, 7, v12
	v_cmp_eq_u16_e32 vcc, 0, v15
	v_cndmask_b32_e32 v11, v11, v12, vcc
	v_cndmask_b32_e32 v12, v16, v20, vcc
	v_mov_b32_e32 v15, 0x3b800000
	v_lshlrev_b32_e32 v11, 20, v11
	v_lshl_add_u32 v12, v12, 23, v15
	v_or3_b32 v11, v14, v12, v11
.LBB57_352:
	s_or_b64 exec, exec, s[6:7]
	s_nop 0
	v_mfma_f32_16x16x4f32 a[0:3], v10, v11, a[0:3]
	s_movk_i32 s4, 0x7f
	v_cmp_gt_i16_sdwa s[6:7], v17, s4 src0_sel:BYTE_0 src1_sel:DWORD
	s_mov_b64 s[4:5], 0
                                        ; implicit-def: $sgpr10
	s_and_saveexec_b64 s[8:9], s[6:7]
	s_xor_b64 s[6:7], exec, s[8:9]
	s_cbranch_execnz .LBB57_2401
; %bb.353:
	s_or_saveexec_b64 s[6:7], s[6:7]
	v_mov_b32_e32 v10, s10
	s_xor_b64 exec, exec, s[6:7]
	s_cbranch_execnz .LBB57_2404
.LBB57_354:
	s_or_b64 exec, exec, s[6:7]
	s_and_saveexec_b64 s[6:7], s[4:5]
	s_cbranch_execz .LBB57_356
.LBB57_355:
	v_and_b32_e32 v10, 7, v17
	v_ffbh_u32_e32 v12, v10
	v_min_u32_e32 v12, 32, v12
	v_lshrrev_b16_e32 v11, 3, v17
	v_subrev_u32_e32 v14, 28, v12
	v_and_b32_e32 v11, 15, v11
	v_lshlrev_b32_e32 v14, v14, v17
	v_sub_u32_e32 v12, 29, v12
	v_and_b32_e32 v14, 7, v14
	v_cmp_eq_u16_e32 vcc, 0, v11
	v_cndmask_b32_e32 v10, v10, v14, vcc
	v_cndmask_b32_e32 v11, v11, v12, vcc
	v_lshlrev_b32_e32 v12, 24, v17
	v_mov_b32_e32 v14, 0x3b800000
	v_lshlrev_b32_e32 v10, 20, v10
	v_and_b32_e32 v12, 0x80000000, v12
	v_lshl_add_u32 v11, v11, 23, v14
	v_or3_b32 v10, v12, v11, v10
.LBB57_356:
	s_or_b64 exec, exec, s[6:7]
	s_movk_i32 s4, 0x7f
	v_cmp_gt_i16_sdwa s[6:7], v13, s4 src0_sel:BYTE_0 src1_sel:DWORD
	s_mov_b64 s[4:5], 0
                                        ; implicit-def: $sgpr10
	s_and_saveexec_b64 s[8:9], s[6:7]
	s_xor_b64 s[6:7], exec, s[8:9]
	s_cbranch_execnz .LBB57_2405
; %bb.357:
	s_or_saveexec_b64 s[6:7], s[6:7]
	v_mov_b32_e32 v11, s10
	s_xor_b64 exec, exec, s[6:7]
	s_cbranch_execnz .LBB57_2408
.LBB57_358:
	s_or_b64 exec, exec, s[6:7]
	s_and_saveexec_b64 s[6:7], s[4:5]
	s_cbranch_execz .LBB57_360
.LBB57_359:
	v_and_b32_e32 v11, 7, v13
	v_ffbh_u32_e32 v14, v11
	v_min_u32_e32 v14, 32, v14
	v_lshrrev_b16_e32 v12, 3, v13
	v_subrev_u32_e32 v15, 28, v14
	v_and_b32_e32 v12, 15, v12
	v_lshlrev_b32_e32 v15, v15, v13
	v_sub_u32_e32 v14, 29, v14
	v_and_b32_e32 v15, 7, v15
	v_cmp_eq_u16_e32 vcc, 0, v12
	v_cndmask_b32_e32 v11, v11, v15, vcc
	v_cndmask_b32_e32 v12, v12, v14, vcc
	v_lshlrev_b32_e32 v14, 24, v13
	v_mov_b32_e32 v15, 0x3b800000
	v_lshlrev_b32_e32 v11, 20, v11
	v_and_b32_e32 v14, 0x80000000, v14
	v_lshl_add_u32 v12, v12, 23, v15
	v_or3_b32 v11, v14, v12, v11
.LBB57_360:
	s_or_b64 exec, exec, s[6:7]
	s_nop 0
	v_mfma_f32_16x16x4f32 a[0:3], v10, v11, a[0:3]
	v_lshrrev_b32_e32 v11, 8, v17
	s_movk_i32 s4, 0x7f
	v_cmp_gt_i16_sdwa s[6:7], v11, s4 src0_sel:BYTE_0 src1_sel:DWORD
	s_mov_b64 s[4:5], 0
                                        ; implicit-def: $sgpr10
	s_and_saveexec_b64 s[8:9], s[6:7]
	s_xor_b64 s[6:7], exec, s[8:9]
	s_cbranch_execnz .LBB57_2409
; %bb.361:
	s_or_saveexec_b64 s[6:7], s[6:7]
	v_mov_b32_e32 v10, s10
	s_xor_b64 exec, exec, s[6:7]
	s_cbranch_execnz .LBB57_2412
.LBB57_362:
	s_or_b64 exec, exec, s[6:7]
	s_and_saveexec_b64 s[6:7], s[4:5]
	s_cbranch_execz .LBB57_364
.LBB57_363:
	v_bfe_u32 v10, v17, 8, 3
	v_ffbh_u32_e32 v14, v10
	v_min_u32_e32 v14, 32, v14
	v_lshrrev_b16_e32 v12, 3, v11
	v_subrev_u32_e32 v15, 28, v14
	v_and_b32_e32 v12, 15, v12
	v_lshlrev_b32_e32 v11, v15, v11
	v_sub_u32_e32 v14, 29, v14
	v_and_b32_e32 v11, 7, v11
	v_cmp_eq_u16_e32 vcc, 0, v12
	v_cndmask_b32_e32 v10, v10, v11, vcc
	v_cndmask_b32_e32 v11, v12, v14, vcc
	v_lshlrev_b32_e32 v12, 16, v17
	v_mov_b32_e32 v14, 0x3b800000
	v_lshlrev_b32_e32 v10, 20, v10
	v_and_b32_e32 v12, 0x80000000, v12
	v_lshl_add_u32 v11, v11, 23, v14
	v_or3_b32 v10, v12, v11, v10
.LBB57_364:
	s_or_b64 exec, exec, s[6:7]
	v_lshrrev_b32_e32 v11, 8, v13
	s_movk_i32 s4, 0x7f
	v_cmp_gt_i16_sdwa s[6:7], v11, s4 src0_sel:BYTE_0 src1_sel:DWORD
	s_mov_b64 s[4:5], 0
                                        ; implicit-def: $sgpr10
	s_and_saveexec_b64 s[8:9], s[6:7]
	s_xor_b64 s[6:7], exec, s[8:9]
	s_cbranch_execnz .LBB57_2413
; %bb.365:
	s_or_saveexec_b64 s[6:7], s[6:7]
	v_mov_b32_e32 v12, s10
	s_xor_b64 exec, exec, s[6:7]
	s_cbranch_execnz .LBB57_2416
.LBB57_366:
	s_or_b64 exec, exec, s[6:7]
	s_and_saveexec_b64 s[6:7], s[4:5]
	s_cbranch_execz .LBB57_368
.LBB57_367:
	v_bfe_u32 v12, v13, 8, 3
	v_ffbh_u32_e32 v15, v12
	v_min_u32_e32 v15, 32, v15
	v_lshrrev_b16_e32 v14, 3, v11
	v_subrev_u32_e32 v16, 28, v15
	v_and_b32_e32 v14, 15, v14
	v_lshlrev_b32_e32 v11, v16, v11
	v_sub_u32_e32 v15, 29, v15
	v_and_b32_e32 v11, 7, v11
	v_cmp_eq_u16_e32 vcc, 0, v14
	v_cndmask_b32_e32 v11, v12, v11, vcc
	v_cndmask_b32_e32 v12, v14, v15, vcc
	v_lshlrev_b32_e32 v14, 16, v13
	v_mov_b32_e32 v15, 0x3b800000
	v_lshlrev_b32_e32 v11, 20, v11
	v_and_b32_e32 v14, 0x80000000, v14
	v_lshl_add_u32 v12, v12, 23, v15
	v_or3_b32 v12, v14, v12, v11
.LBB57_368:
	s_or_b64 exec, exec, s[6:7]
	s_nop 0
	v_mfma_f32_16x16x4f32 a[0:3], v10, v12, a[0:3]
	s_movk_i32 s4, 0xff
	v_and_b32_sdwa v11, v17, s4 dst_sel:DWORD dst_unused:UNUSED_PAD src0_sel:WORD_1 src1_sel:DWORD
	s_movk_i32 s4, 0x7f
	v_cmp_lt_i16_e32 vcc, s4, v11
	s_mov_b64 s[4:5], 0
                                        ; implicit-def: $sgpr10
	s_and_saveexec_b64 s[6:7], vcc
	s_xor_b64 s[6:7], exec, s[6:7]
	s_cbranch_execnz .LBB57_2417
; %bb.369:
	s_or_saveexec_b64 s[6:7], s[6:7]
	v_mov_b32_e32 v10, s10
	s_xor_b64 exec, exec, s[6:7]
	s_cbranch_execnz .LBB57_2420
.LBB57_370:
	s_or_b64 exec, exec, s[6:7]
	s_and_saveexec_b64 s[6:7], s[4:5]
	s_cbranch_execz .LBB57_372
.LBB57_371:
	v_bfe_u32 v10, v17, 16, 3
	v_ffbh_u32_e32 v14, v10
	v_min_u32_e32 v14, 32, v14
	v_lshrrev_b32_e32 v11, 19, v17
	v_subrev_u32_e32 v15, 28, v14
	v_and_b32_e32 v11, 15, v11
	v_lshlrev_b32_sdwa v15, v15, v17 dst_sel:DWORD dst_unused:UNUSED_PAD src0_sel:DWORD src1_sel:WORD_1
	v_bfe_u32 v12, v17, 19, 4
	v_sub_u32_e32 v14, 29, v14
	v_and_b32_e32 v15, 7, v15
	v_cmp_eq_u16_e32 vcc, 0, v11
	v_cndmask_b32_e32 v10, v10, v15, vcc
	v_cndmask_b32_e32 v11, v12, v14, vcc
	v_lshlrev_b32_e32 v12, 8, v17
	v_mov_b32_e32 v14, 0x3b800000
	v_lshlrev_b32_e32 v10, 20, v10
	v_and_b32_e32 v12, 0x80000000, v12
	v_lshl_add_u32 v11, v11, 23, v14
	v_or3_b32 v10, v12, v11, v10
.LBB57_372:
	s_or_b64 exec, exec, s[6:7]
	s_movk_i32 s4, 0xff
	v_and_b32_sdwa v11, v13, s4 dst_sel:DWORD dst_unused:UNUSED_PAD src0_sel:WORD_1 src1_sel:DWORD
	s_movk_i32 s4, 0x7f
	v_cmp_lt_i16_e32 vcc, s4, v11
	s_mov_b64 s[4:5], 0
                                        ; implicit-def: $sgpr10
	s_and_saveexec_b64 s[6:7], vcc
	s_xor_b64 s[6:7], exec, s[6:7]
	s_cbranch_execnz .LBB57_2421
; %bb.373:
	s_or_saveexec_b64 s[6:7], s[6:7]
	v_mov_b32_e32 v12, s10
	s_xor_b64 exec, exec, s[6:7]
	s_cbranch_execnz .LBB57_2424
.LBB57_374:
	s_or_b64 exec, exec, s[6:7]
	s_and_saveexec_b64 s[6:7], s[4:5]
	s_cbranch_execz .LBB57_376
.LBB57_375:
	v_bfe_u32 v11, v13, 16, 3
	v_ffbh_u32_e32 v15, v11
	v_min_u32_e32 v15, 32, v15
	v_lshrrev_b32_e32 v12, 19, v13
	v_subrev_u32_e32 v16, 28, v15
	v_and_b32_e32 v12, 15, v12
	v_lshlrev_b32_sdwa v16, v16, v13 dst_sel:DWORD dst_unused:UNUSED_PAD src0_sel:DWORD src1_sel:WORD_1
	v_bfe_u32 v14, v13, 19, 4
	v_sub_u32_e32 v15, 29, v15
	v_and_b32_e32 v16, 7, v16
	v_cmp_eq_u16_e32 vcc, 0, v12
	v_cndmask_b32_e32 v11, v11, v16, vcc
	v_cndmask_b32_e32 v12, v14, v15, vcc
	v_lshlrev_b32_e32 v14, 8, v13
	v_mov_b32_e32 v15, 0x3b800000
	v_lshlrev_b32_e32 v11, 20, v11
	v_and_b32_e32 v14, 0x80000000, v14
	v_lshl_add_u32 v12, v12, 23, v15
	v_or3_b32 v12, v14, v12, v11
.LBB57_376:
	s_or_b64 exec, exec, s[6:7]
	s_nop 0
	v_mfma_f32_16x16x4f32 a[0:3], v10, v12, a[0:3]
	s_movk_i32 s4, 0x7f
	v_cmp_gt_i16_sdwa s[6:7], v17, s4 src0_sel:BYTE_3 src1_sel:DWORD
	s_mov_b64 s[4:5], 0
                                        ; implicit-def: $sgpr10
	s_and_saveexec_b64 s[8:9], s[6:7]
	s_xor_b64 s[6:7], exec, s[8:9]
	s_cbranch_execnz .LBB57_2425
; %bb.377:
	s_or_saveexec_b64 s[6:7], s[6:7]
	v_mov_b32_e32 v10, s10
	s_xor_b64 exec, exec, s[6:7]
	s_cbranch_execnz .LBB57_2428
.LBB57_378:
	s_or_b64 exec, exec, s[6:7]
	s_and_saveexec_b64 s[6:7], s[4:5]
	s_cbranch_execz .LBB57_380
.LBB57_379:
	v_bfe_u32 v10, v17, 24, 3
	v_ffbh_u32_e32 v15, v10
	v_min_u32_e32 v15, 32, v15
	v_lshrrev_b32_e32 v12, 27, v17
	v_subrev_u32_e32 v16, 28, v15
	v_and_b32_e32 v12, 15, v12
	v_lshlrev_b32_sdwa v16, v16, v17 dst_sel:DWORD dst_unused:UNUSED_PAD src0_sel:DWORD src1_sel:BYTE_3
	v_bfe_u32 v14, v17, 27, 4
	v_sub_u32_e32 v15, 29, v15
	v_and_b32_e32 v16, 7, v16
	v_cmp_eq_u16_e32 vcc, 0, v12
	v_cndmask_b32_e32 v10, v10, v16, vcc
	v_cndmask_b32_e32 v12, v14, v15, vcc
	v_mov_b32_e32 v14, 0x3b800000
	v_and_b32_e32 v11, 0x80000000, v17
	v_lshlrev_b32_e32 v10, 20, v10
	v_lshl_add_u32 v12, v12, 23, v14
	v_or3_b32 v10, v11, v12, v10
.LBB57_380:
	s_or_b64 exec, exec, s[6:7]
	s_movk_i32 s4, 0x7f
	v_cmp_gt_i16_sdwa s[6:7], v13, s4 src0_sel:BYTE_3 src1_sel:DWORD
	s_mov_b64 s[4:5], 0
                                        ; implicit-def: $sgpr10
	s_and_saveexec_b64 s[8:9], s[6:7]
	s_xor_b64 s[6:7], exec, s[8:9]
	s_cbranch_execnz .LBB57_2429
; %bb.381:
	s_or_saveexec_b64 s[6:7], s[6:7]
	v_mov_b32_e32 v11, s10
	s_xor_b64 exec, exec, s[6:7]
	s_cbranch_execnz .LBB57_2432
.LBB57_382:
	s_or_b64 exec, exec, s[6:7]
	s_and_saveexec_b64 s[6:7], s[4:5]
	s_cbranch_execz .LBB57_384
.LBB57_383:
	v_bfe_u32 v11, v13, 24, 3
	v_ffbh_u32_e32 v16, v11
	v_min_u32_e32 v16, 32, v16
	v_lshrrev_b32_e32 v14, 27, v13
	v_subrev_u32_e32 v17, 28, v16
	v_and_b32_e32 v12, 0x80000000, v13
	v_and_b32_e32 v14, 15, v14
	v_bfe_u32 v15, v13, 27, 4
	v_lshlrev_b32_sdwa v13, v17, v13 dst_sel:DWORD dst_unused:UNUSED_PAD src0_sel:DWORD src1_sel:BYTE_3
	v_sub_u32_e32 v16, 29, v16
	v_and_b32_e32 v13, 7, v13
	v_cmp_eq_u16_e32 vcc, 0, v14
	v_cndmask_b32_e32 v11, v11, v13, vcc
	v_cndmask_b32_e32 v13, v15, v16, vcc
	v_mov_b32_e32 v14, 0x3b800000
	v_lshlrev_b32_e32 v11, 20, v11
	v_lshl_add_u32 v13, v13, 23, v14
	v_or3_b32 v11, v12, v13, v11
.LBB57_384:
	s_or_b64 exec, exec, s[6:7]
	s_nop 0
	v_mfma_f32_16x16x4f32 a[0:3], v10, v11, a[0:3]
	s_movk_i32 s4, 0x7f
	v_cmp_gt_i16_sdwa s[6:7], v6, s4 src0_sel:BYTE_0 src1_sel:DWORD
	s_mov_b64 s[4:5], 0
                                        ; implicit-def: $sgpr10
	s_and_saveexec_b64 s[8:9], s[6:7]
	s_xor_b64 s[6:7], exec, s[8:9]
	s_cbranch_execnz .LBB57_2433
; %bb.385:
	s_or_saveexec_b64 s[6:7], s[6:7]
	v_mov_b32_e32 v10, s10
	s_xor_b64 exec, exec, s[6:7]
	s_cbranch_execnz .LBB57_2436
.LBB57_386:
	s_or_b64 exec, exec, s[6:7]
	s_and_saveexec_b64 s[6:7], s[4:5]
	s_cbranch_execz .LBB57_388
.LBB57_387:
	v_and_b32_e32 v10, 7, v6
	v_ffbh_u32_e32 v12, v10
	v_min_u32_e32 v12, 32, v12
	v_lshrrev_b16_e32 v11, 3, v6
	v_subrev_u32_e32 v13, 28, v12
	v_and_b32_e32 v11, 15, v11
	v_lshlrev_b32_e32 v13, v13, v6
	v_sub_u32_e32 v12, 29, v12
	v_and_b32_e32 v13, 7, v13
	v_cmp_eq_u16_e32 vcc, 0, v11
	v_cndmask_b32_e32 v10, v10, v13, vcc
	v_cndmask_b32_e32 v11, v11, v12, vcc
	v_lshlrev_b32_e32 v12, 24, v6
	v_mov_b32_e32 v13, 0x3b800000
	v_lshlrev_b32_e32 v10, 20, v10
	v_and_b32_e32 v12, 0x80000000, v12
	v_lshl_add_u32 v11, v11, 23, v13
	v_or3_b32 v10, v12, v11, v10
.LBB57_388:
	s_or_b64 exec, exec, s[6:7]
	s_movk_i32 s4, 0x7f
	v_cmp_gt_i16_sdwa s[6:7], v2, s4 src0_sel:BYTE_0 src1_sel:DWORD
	s_mov_b64 s[4:5], 0
                                        ; implicit-def: $sgpr10
	s_and_saveexec_b64 s[8:9], s[6:7]
	s_xor_b64 s[6:7], exec, s[8:9]
	s_cbranch_execnz .LBB57_2437
; %bb.389:
	s_or_saveexec_b64 s[6:7], s[6:7]
	v_mov_b32_e32 v11, s10
	s_xor_b64 exec, exec, s[6:7]
	s_cbranch_execnz .LBB57_2440
.LBB57_390:
	s_or_b64 exec, exec, s[6:7]
	s_and_saveexec_b64 s[6:7], s[4:5]
	s_cbranch_execz .LBB57_392
.LBB57_391:
	v_and_b32_e32 v11, 7, v2
	v_ffbh_u32_e32 v13, v11
	v_min_u32_e32 v13, 32, v13
	v_lshrrev_b16_e32 v12, 3, v2
	v_subrev_u32_e32 v14, 28, v13
	v_and_b32_e32 v12, 15, v12
	v_lshlrev_b32_e32 v14, v14, v2
	v_sub_u32_e32 v13, 29, v13
	v_and_b32_e32 v14, 7, v14
	v_cmp_eq_u16_e32 vcc, 0, v12
	v_cndmask_b32_e32 v11, v11, v14, vcc
	v_cndmask_b32_e32 v12, v12, v13, vcc
	v_lshlrev_b32_e32 v13, 24, v2
	v_mov_b32_e32 v14, 0x3b800000
	v_lshlrev_b32_e32 v11, 20, v11
	v_and_b32_e32 v13, 0x80000000, v13
	v_lshl_add_u32 v12, v12, 23, v14
	v_or3_b32 v11, v13, v12, v11
.LBB57_392:
	s_or_b64 exec, exec, s[6:7]
	s_nop 0
	v_mfma_f32_16x16x4f32 a[0:3], v10, v11, a[0:3]
	v_lshrrev_b32_e32 v11, 8, v6
	s_movk_i32 s4, 0x7f
	v_cmp_gt_i16_sdwa s[6:7], v11, s4 src0_sel:BYTE_0 src1_sel:DWORD
	s_mov_b64 s[4:5], 0
                                        ; implicit-def: $sgpr10
	s_and_saveexec_b64 s[8:9], s[6:7]
	s_xor_b64 s[6:7], exec, s[8:9]
	s_cbranch_execnz .LBB57_2441
; %bb.393:
	s_or_saveexec_b64 s[6:7], s[6:7]
	v_mov_b32_e32 v10, s10
	s_xor_b64 exec, exec, s[6:7]
	s_cbranch_execnz .LBB57_2444
.LBB57_394:
	s_or_b64 exec, exec, s[6:7]
	s_and_saveexec_b64 s[6:7], s[4:5]
	s_cbranch_execz .LBB57_396
.LBB57_395:
	v_bfe_u32 v10, v6, 8, 3
	v_ffbh_u32_e32 v13, v10
	v_min_u32_e32 v13, 32, v13
	v_lshrrev_b16_e32 v12, 3, v11
	v_subrev_u32_e32 v14, 28, v13
	v_and_b32_e32 v12, 15, v12
	v_lshlrev_b32_e32 v11, v14, v11
	v_sub_u32_e32 v13, 29, v13
	v_and_b32_e32 v11, 7, v11
	v_cmp_eq_u16_e32 vcc, 0, v12
	v_cndmask_b32_e32 v10, v10, v11, vcc
	v_cndmask_b32_e32 v11, v12, v13, vcc
	v_lshlrev_b32_e32 v12, 16, v6
	v_mov_b32_e32 v13, 0x3b800000
	v_lshlrev_b32_e32 v10, 20, v10
	v_and_b32_e32 v12, 0x80000000, v12
	v_lshl_add_u32 v11, v11, 23, v13
	v_or3_b32 v10, v12, v11, v10
.LBB57_396:
	s_or_b64 exec, exec, s[6:7]
	v_lshrrev_b32_e32 v11, 8, v2
	s_movk_i32 s4, 0x7f
	v_cmp_gt_i16_sdwa s[6:7], v11, s4 src0_sel:BYTE_0 src1_sel:DWORD
	s_mov_b64 s[4:5], 0
                                        ; implicit-def: $sgpr10
	s_and_saveexec_b64 s[8:9], s[6:7]
	s_xor_b64 s[6:7], exec, s[8:9]
	s_cbranch_execnz .LBB57_2445
; %bb.397:
	s_or_saveexec_b64 s[6:7], s[6:7]
	v_mov_b32_e32 v12, s10
	s_xor_b64 exec, exec, s[6:7]
	s_cbranch_execnz .LBB57_2448
.LBB57_398:
	s_or_b64 exec, exec, s[6:7]
	s_and_saveexec_b64 s[6:7], s[4:5]
	s_cbranch_execz .LBB57_400
.LBB57_399:
	v_bfe_u32 v12, v2, 8, 3
	v_ffbh_u32_e32 v14, v12
	v_min_u32_e32 v14, 32, v14
	v_lshrrev_b16_e32 v13, 3, v11
	v_subrev_u32_e32 v15, 28, v14
	v_and_b32_e32 v13, 15, v13
	v_lshlrev_b32_e32 v11, v15, v11
	v_sub_u32_e32 v14, 29, v14
	v_and_b32_e32 v11, 7, v11
	v_cmp_eq_u16_e32 vcc, 0, v13
	v_cndmask_b32_e32 v11, v12, v11, vcc
	v_cndmask_b32_e32 v12, v13, v14, vcc
	v_lshlrev_b32_e32 v13, 16, v2
	v_mov_b32_e32 v14, 0x3b800000
	v_lshlrev_b32_e32 v11, 20, v11
	v_and_b32_e32 v13, 0x80000000, v13
	v_lshl_add_u32 v12, v12, 23, v14
	v_or3_b32 v12, v13, v12, v11
.LBB57_400:
	s_or_b64 exec, exec, s[6:7]
	s_nop 0
	v_mfma_f32_16x16x4f32 a[0:3], v10, v12, a[0:3]
	s_movk_i32 s4, 0xff
	v_and_b32_sdwa v11, v6, s4 dst_sel:DWORD dst_unused:UNUSED_PAD src0_sel:WORD_1 src1_sel:DWORD
	s_movk_i32 s4, 0x7f
	v_cmp_lt_i16_e32 vcc, s4, v11
	s_mov_b64 s[4:5], 0
                                        ; implicit-def: $sgpr10
	s_and_saveexec_b64 s[6:7], vcc
	s_xor_b64 s[6:7], exec, s[6:7]
	s_cbranch_execnz .LBB57_2449
; %bb.401:
	s_or_saveexec_b64 s[6:7], s[6:7]
	v_mov_b32_e32 v10, s10
	s_xor_b64 exec, exec, s[6:7]
	s_cbranch_execnz .LBB57_2452
.LBB57_402:
	s_or_b64 exec, exec, s[6:7]
	s_and_saveexec_b64 s[6:7], s[4:5]
	s_cbranch_execz .LBB57_404
.LBB57_403:
	v_bfe_u32 v10, v6, 16, 3
	v_ffbh_u32_e32 v13, v10
	v_min_u32_e32 v13, 32, v13
	v_lshrrev_b32_e32 v11, 19, v6
	v_subrev_u32_e32 v14, 28, v13
	v_and_b32_e32 v11, 15, v11
	v_lshlrev_b32_sdwa v14, v14, v6 dst_sel:DWORD dst_unused:UNUSED_PAD src0_sel:DWORD src1_sel:WORD_1
	v_bfe_u32 v12, v6, 19, 4
	v_sub_u32_e32 v13, 29, v13
	v_and_b32_e32 v14, 7, v14
	v_cmp_eq_u16_e32 vcc, 0, v11
	v_cndmask_b32_e32 v10, v10, v14, vcc
	v_cndmask_b32_e32 v11, v12, v13, vcc
	v_lshlrev_b32_e32 v12, 8, v6
	v_mov_b32_e32 v13, 0x3b800000
	v_lshlrev_b32_e32 v10, 20, v10
	v_and_b32_e32 v12, 0x80000000, v12
	v_lshl_add_u32 v11, v11, 23, v13
	v_or3_b32 v10, v12, v11, v10
.LBB57_404:
	s_or_b64 exec, exec, s[6:7]
	s_movk_i32 s4, 0xff
	v_and_b32_sdwa v11, v2, s4 dst_sel:DWORD dst_unused:UNUSED_PAD src0_sel:WORD_1 src1_sel:DWORD
	s_movk_i32 s4, 0x7f
	v_cmp_lt_i16_e32 vcc, s4, v11
	s_mov_b64 s[4:5], 0
                                        ; implicit-def: $sgpr10
	s_and_saveexec_b64 s[6:7], vcc
	s_xor_b64 s[6:7], exec, s[6:7]
	s_cbranch_execnz .LBB57_2453
; %bb.405:
	s_or_saveexec_b64 s[6:7], s[6:7]
	v_mov_b32_e32 v12, s10
	s_xor_b64 exec, exec, s[6:7]
	s_cbranch_execnz .LBB57_2456
.LBB57_406:
	s_or_b64 exec, exec, s[6:7]
	s_and_saveexec_b64 s[6:7], s[4:5]
	s_cbranch_execz .LBB57_408
.LBB57_407:
	v_bfe_u32 v11, v2, 16, 3
	v_ffbh_u32_e32 v14, v11
	v_min_u32_e32 v14, 32, v14
	v_lshrrev_b32_e32 v12, 19, v2
	v_subrev_u32_e32 v15, 28, v14
	v_and_b32_e32 v12, 15, v12
	v_lshlrev_b32_sdwa v15, v15, v2 dst_sel:DWORD dst_unused:UNUSED_PAD src0_sel:DWORD src1_sel:WORD_1
	v_bfe_u32 v13, v2, 19, 4
	v_sub_u32_e32 v14, 29, v14
	v_and_b32_e32 v15, 7, v15
	v_cmp_eq_u16_e32 vcc, 0, v12
	v_cndmask_b32_e32 v11, v11, v15, vcc
	v_cndmask_b32_e32 v12, v13, v14, vcc
	v_lshlrev_b32_e32 v13, 8, v2
	v_mov_b32_e32 v14, 0x3b800000
	v_lshlrev_b32_e32 v11, 20, v11
	v_and_b32_e32 v13, 0x80000000, v13
	v_lshl_add_u32 v12, v12, 23, v14
	v_or3_b32 v12, v13, v12, v11
.LBB57_408:
	s_or_b64 exec, exec, s[6:7]
	s_nop 0
	v_mfma_f32_16x16x4f32 a[0:3], v10, v12, a[0:3]
	s_movk_i32 s4, 0x7f
	v_cmp_gt_i16_sdwa s[6:7], v6, s4 src0_sel:BYTE_3 src1_sel:DWORD
	s_mov_b64 s[4:5], 0
                                        ; implicit-def: $sgpr10
	s_and_saveexec_b64 s[8:9], s[6:7]
	s_xor_b64 s[6:7], exec, s[8:9]
	s_cbranch_execnz .LBB57_2457
; %bb.409:
	s_or_saveexec_b64 s[6:7], s[6:7]
	v_mov_b32_e32 v10, s10
	s_xor_b64 exec, exec, s[6:7]
	s_cbranch_execnz .LBB57_2460
.LBB57_410:
	s_or_b64 exec, exec, s[6:7]
	s_and_saveexec_b64 s[6:7], s[4:5]
	s_cbranch_execz .LBB57_412
.LBB57_411:
	v_bfe_u32 v10, v6, 24, 3
	v_ffbh_u32_e32 v14, v10
	v_min_u32_e32 v14, 32, v14
	v_lshrrev_b32_e32 v12, 27, v6
	v_subrev_u32_e32 v15, 28, v14
	v_and_b32_e32 v11, 0x80000000, v6
	v_and_b32_e32 v12, 15, v12
	v_bfe_u32 v13, v6, 27, 4
	v_lshlrev_b32_sdwa v6, v15, v6 dst_sel:DWORD dst_unused:UNUSED_PAD src0_sel:DWORD src1_sel:BYTE_3
	v_sub_u32_e32 v14, 29, v14
	v_and_b32_e32 v6, 7, v6
	v_cmp_eq_u16_e32 vcc, 0, v12
	v_cndmask_b32_e32 v6, v10, v6, vcc
	v_cndmask_b32_e32 v10, v13, v14, vcc
	v_mov_b32_e32 v12, 0x3b800000
	v_lshlrev_b32_e32 v6, 20, v6
	v_lshl_add_u32 v10, v10, 23, v12
	v_or3_b32 v10, v11, v10, v6
.LBB57_412:
	s_or_b64 exec, exec, s[6:7]
	s_movk_i32 s4, 0x7f
	v_cmp_gt_i16_sdwa s[6:7], v2, s4 src0_sel:BYTE_3 src1_sel:DWORD
	s_mov_b64 s[4:5], 0
                                        ; implicit-def: $sgpr10
	s_and_saveexec_b64 s[8:9], s[6:7]
	s_xor_b64 s[6:7], exec, s[8:9]
	s_cbranch_execnz .LBB57_2461
; %bb.413:
	s_or_saveexec_b64 s[6:7], s[6:7]
	v_mov_b32_e32 v6, s10
	s_xor_b64 exec, exec, s[6:7]
	s_cbranch_execnz .LBB57_2464
.LBB57_414:
	s_or_b64 exec, exec, s[6:7]
	s_and_saveexec_b64 s[6:7], s[4:5]
	s_cbranch_execz .LBB57_416
.LBB57_415:
	v_bfe_u32 v6, v2, 24, 3
	v_ffbh_u32_e32 v14, v6
	v_min_u32_e32 v14, 32, v14
	v_lshrrev_b32_e32 v12, 27, v2
	v_subrev_u32_e32 v15, 28, v14
	v_and_b32_e32 v11, 0x80000000, v2
	v_and_b32_e32 v12, 15, v12
	v_bfe_u32 v13, v2, 27, 4
	v_lshlrev_b32_sdwa v2, v15, v2 dst_sel:DWORD dst_unused:UNUSED_PAD src0_sel:DWORD src1_sel:BYTE_3
	v_sub_u32_e32 v14, 29, v14
	v_and_b32_e32 v2, 7, v2
	v_cmp_eq_u16_e32 vcc, 0, v12
	v_cndmask_b32_e32 v2, v6, v2, vcc
	v_cndmask_b32_e32 v6, v13, v14, vcc
	v_mov_b32_e32 v12, 0x3b800000
	v_lshlrev_b32_e32 v2, 20, v2
	v_lshl_add_u32 v6, v6, 23, v12
	v_or3_b32 v6, v11, v6, v2
.LBB57_416:
	s_or_b64 exec, exec, s[6:7]
	s_nop 0
	v_mfma_f32_16x16x4f32 a[0:3], v10, v6, a[0:3]
	s_movk_i32 s4, 0x7f
	v_cmp_gt_i16_sdwa s[6:7], v7, s4 src0_sel:BYTE_0 src1_sel:DWORD
	s_mov_b64 s[4:5], 0
                                        ; implicit-def: $sgpr10
	s_and_saveexec_b64 s[8:9], s[6:7]
	s_xor_b64 s[6:7], exec, s[8:9]
	s_cbranch_execnz .LBB57_2465
; %bb.417:
	s_or_saveexec_b64 s[6:7], s[6:7]
	v_mov_b32_e32 v2, s10
	s_xor_b64 exec, exec, s[6:7]
	s_cbranch_execnz .LBB57_2468
.LBB57_418:
	s_or_b64 exec, exec, s[6:7]
	s_and_saveexec_b64 s[6:7], s[4:5]
	s_cbranch_execz .LBB57_420
.LBB57_419:
	v_and_b32_e32 v2, 7, v7
	v_ffbh_u32_e32 v10, v2
	v_min_u32_e32 v10, 32, v10
	v_lshrrev_b16_e32 v6, 3, v7
	v_subrev_u32_e32 v11, 28, v10
	v_and_b32_e32 v6, 15, v6
	v_lshlrev_b32_e32 v11, v11, v7
	v_sub_u32_e32 v10, 29, v10
	v_and_b32_e32 v11, 7, v11
	v_cmp_eq_u16_e32 vcc, 0, v6
	v_cndmask_b32_e32 v2, v2, v11, vcc
	v_cndmask_b32_e32 v6, v6, v10, vcc
	v_lshlrev_b32_e32 v10, 24, v7
	v_mov_b32_e32 v11, 0x3b800000
	v_lshlrev_b32_e32 v2, 20, v2
	v_and_b32_e32 v10, 0x80000000, v10
	v_lshl_add_u32 v6, v6, 23, v11
	v_or3_b32 v2, v10, v6, v2
.LBB57_420:
	s_or_b64 exec, exec, s[6:7]
	s_movk_i32 s4, 0x7f
	v_cmp_gt_i16_sdwa s[6:7], v3, s4 src0_sel:BYTE_0 src1_sel:DWORD
	s_mov_b64 s[4:5], 0
                                        ; implicit-def: $sgpr10
	s_and_saveexec_b64 s[8:9], s[6:7]
	s_xor_b64 s[6:7], exec, s[8:9]
	s_cbranch_execnz .LBB57_2469
; %bb.421:
	s_or_saveexec_b64 s[6:7], s[6:7]
	v_mov_b32_e32 v6, s10
	s_xor_b64 exec, exec, s[6:7]
	s_cbranch_execnz .LBB57_2472
.LBB57_422:
	s_or_b64 exec, exec, s[6:7]
	s_and_saveexec_b64 s[6:7], s[4:5]
	s_cbranch_execz .LBB57_424
.LBB57_423:
	v_and_b32_e32 v6, 7, v3
	v_ffbh_u32_e32 v11, v6
	v_min_u32_e32 v11, 32, v11
	v_lshrrev_b16_e32 v10, 3, v3
	v_subrev_u32_e32 v12, 28, v11
	v_and_b32_e32 v10, 15, v10
	v_lshlrev_b32_e32 v12, v12, v3
	v_sub_u32_e32 v11, 29, v11
	v_and_b32_e32 v12, 7, v12
	v_cmp_eq_u16_e32 vcc, 0, v10
	v_cndmask_b32_e32 v6, v6, v12, vcc
	v_cndmask_b32_e32 v10, v10, v11, vcc
	v_lshlrev_b32_e32 v11, 24, v3
	v_mov_b32_e32 v12, 0x3b800000
	v_lshlrev_b32_e32 v6, 20, v6
	v_and_b32_e32 v11, 0x80000000, v11
	v_lshl_add_u32 v10, v10, 23, v12
	v_or3_b32 v6, v11, v10, v6
.LBB57_424:
	s_or_b64 exec, exec, s[6:7]
	s_nop 0
	v_mfma_f32_16x16x4f32 a[0:3], v2, v6, a[0:3]
	v_lshrrev_b32_e32 v6, 8, v7
	s_movk_i32 s4, 0x7f
	v_cmp_gt_i16_sdwa s[6:7], v6, s4 src0_sel:BYTE_0 src1_sel:DWORD
	s_mov_b64 s[4:5], 0
                                        ; implicit-def: $sgpr10
	s_and_saveexec_b64 s[8:9], s[6:7]
	s_xor_b64 s[6:7], exec, s[8:9]
	s_cbranch_execnz .LBB57_2473
; %bb.425:
	s_or_saveexec_b64 s[6:7], s[6:7]
	v_mov_b32_e32 v2, s10
	s_xor_b64 exec, exec, s[6:7]
	s_cbranch_execnz .LBB57_2476
.LBB57_426:
	s_or_b64 exec, exec, s[6:7]
	s_and_saveexec_b64 s[6:7], s[4:5]
	s_cbranch_execz .LBB57_428
.LBB57_427:
	v_bfe_u32 v2, v7, 8, 3
	v_ffbh_u32_e32 v11, v2
	v_min_u32_e32 v11, 32, v11
	v_lshrrev_b16_e32 v10, 3, v6
	v_subrev_u32_e32 v12, 28, v11
	v_and_b32_e32 v10, 15, v10
	v_lshlrev_b32_e32 v6, v12, v6
	v_sub_u32_e32 v11, 29, v11
	v_and_b32_e32 v6, 7, v6
	v_cmp_eq_u16_e32 vcc, 0, v10
	v_cndmask_b32_e32 v2, v2, v6, vcc
	v_cndmask_b32_e32 v6, v10, v11, vcc
	v_lshlrev_b32_e32 v10, 16, v7
	v_mov_b32_e32 v11, 0x3b800000
	v_lshlrev_b32_e32 v2, 20, v2
	v_and_b32_e32 v10, 0x80000000, v10
	v_lshl_add_u32 v6, v6, 23, v11
	v_or3_b32 v2, v10, v6, v2
.LBB57_428:
	s_or_b64 exec, exec, s[6:7]
	v_lshrrev_b32_e32 v6, 8, v3
	s_movk_i32 s4, 0x7f
	v_cmp_gt_i16_sdwa s[6:7], v6, s4 src0_sel:BYTE_0 src1_sel:DWORD
	s_mov_b64 s[4:5], 0
                                        ; implicit-def: $sgpr10
	s_and_saveexec_b64 s[8:9], s[6:7]
	s_xor_b64 s[6:7], exec, s[8:9]
	s_cbranch_execnz .LBB57_2477
; %bb.429:
	s_or_saveexec_b64 s[6:7], s[6:7]
	v_mov_b32_e32 v10, s10
	s_xor_b64 exec, exec, s[6:7]
	s_cbranch_execnz .LBB57_2480
.LBB57_430:
	s_or_b64 exec, exec, s[6:7]
	s_and_saveexec_b64 s[6:7], s[4:5]
	s_cbranch_execz .LBB57_432
.LBB57_431:
	v_bfe_u32 v10, v3, 8, 3
	v_ffbh_u32_e32 v12, v10
	v_min_u32_e32 v12, 32, v12
	v_lshrrev_b16_e32 v11, 3, v6
	v_subrev_u32_e32 v13, 28, v12
	v_and_b32_e32 v11, 15, v11
	v_lshlrev_b32_e32 v6, v13, v6
	v_sub_u32_e32 v12, 29, v12
	v_and_b32_e32 v6, 7, v6
	v_cmp_eq_u16_e32 vcc, 0, v11
	v_cndmask_b32_e32 v6, v10, v6, vcc
	v_cndmask_b32_e32 v10, v11, v12, vcc
	v_lshlrev_b32_e32 v11, 16, v3
	v_mov_b32_e32 v12, 0x3b800000
	v_lshlrev_b32_e32 v6, 20, v6
	v_and_b32_e32 v11, 0x80000000, v11
	v_lshl_add_u32 v10, v10, 23, v12
	v_or3_b32 v10, v11, v10, v6
.LBB57_432:
	s_or_b64 exec, exec, s[6:7]
	s_nop 0
	v_mfma_f32_16x16x4f32 a[0:3], v2, v10, a[0:3]
	s_movk_i32 s4, 0xff
	v_and_b32_sdwa v6, v7, s4 dst_sel:DWORD dst_unused:UNUSED_PAD src0_sel:WORD_1 src1_sel:DWORD
	s_movk_i32 s4, 0x7f
	v_cmp_lt_i16_e32 vcc, s4, v6
	s_mov_b64 s[4:5], 0
                                        ; implicit-def: $sgpr10
	s_and_saveexec_b64 s[6:7], vcc
	s_xor_b64 s[6:7], exec, s[6:7]
	s_cbranch_execnz .LBB57_2481
; %bb.433:
	s_or_saveexec_b64 s[6:7], s[6:7]
	v_mov_b32_e32 v2, s10
	s_xor_b64 exec, exec, s[6:7]
	s_cbranch_execnz .LBB57_2484
.LBB57_434:
	s_or_b64 exec, exec, s[6:7]
	s_and_saveexec_b64 s[6:7], s[4:5]
	s_cbranch_execz .LBB57_436
.LBB57_435:
	v_bfe_u32 v2, v7, 16, 3
	v_ffbh_u32_e32 v11, v2
	v_min_u32_e32 v11, 32, v11
	v_lshrrev_b32_e32 v6, 19, v7
	v_subrev_u32_e32 v12, 28, v11
	v_and_b32_e32 v6, 15, v6
	v_lshlrev_b32_sdwa v12, v12, v7 dst_sel:DWORD dst_unused:UNUSED_PAD src0_sel:DWORD src1_sel:WORD_1
	v_bfe_u32 v10, v7, 19, 4
	v_sub_u32_e32 v11, 29, v11
	v_and_b32_e32 v12, 7, v12
	v_cmp_eq_u16_e32 vcc, 0, v6
	v_cndmask_b32_e32 v2, v2, v12, vcc
	v_cndmask_b32_e32 v6, v10, v11, vcc
	v_lshlrev_b32_e32 v10, 8, v7
	v_mov_b32_e32 v11, 0x3b800000
	v_lshlrev_b32_e32 v2, 20, v2
	v_and_b32_e32 v10, 0x80000000, v10
	v_lshl_add_u32 v6, v6, 23, v11
	v_or3_b32 v2, v10, v6, v2
.LBB57_436:
	s_or_b64 exec, exec, s[6:7]
	s_movk_i32 s4, 0xff
	v_and_b32_sdwa v6, v3, s4 dst_sel:DWORD dst_unused:UNUSED_PAD src0_sel:WORD_1 src1_sel:DWORD
	s_movk_i32 s4, 0x7f
	v_cmp_lt_i16_e32 vcc, s4, v6
	s_mov_b64 s[4:5], 0
                                        ; implicit-def: $sgpr10
	s_and_saveexec_b64 s[6:7], vcc
	s_xor_b64 s[6:7], exec, s[6:7]
	s_cbranch_execnz .LBB57_2485
; %bb.437:
	s_or_saveexec_b64 s[6:7], s[6:7]
	v_mov_b32_e32 v10, s10
	s_xor_b64 exec, exec, s[6:7]
	s_cbranch_execnz .LBB57_2488
.LBB57_438:
	s_or_b64 exec, exec, s[6:7]
	s_and_saveexec_b64 s[6:7], s[4:5]
	s_cbranch_execz .LBB57_440
.LBB57_439:
	v_bfe_u32 v6, v3, 16, 3
	v_ffbh_u32_e32 v12, v6
	v_min_u32_e32 v12, 32, v12
	v_lshrrev_b32_e32 v10, 19, v3
	v_subrev_u32_e32 v13, 28, v12
	v_and_b32_e32 v10, 15, v10
	v_lshlrev_b32_sdwa v13, v13, v3 dst_sel:DWORD dst_unused:UNUSED_PAD src0_sel:DWORD src1_sel:WORD_1
	v_bfe_u32 v11, v3, 19, 4
	v_sub_u32_e32 v12, 29, v12
	v_and_b32_e32 v13, 7, v13
	v_cmp_eq_u16_e32 vcc, 0, v10
	v_cndmask_b32_e32 v6, v6, v13, vcc
	v_cndmask_b32_e32 v10, v11, v12, vcc
	v_lshlrev_b32_e32 v11, 8, v3
	v_mov_b32_e32 v12, 0x3b800000
	v_lshlrev_b32_e32 v6, 20, v6
	v_and_b32_e32 v11, 0x80000000, v11
	v_lshl_add_u32 v10, v10, 23, v12
	v_or3_b32 v10, v11, v10, v6
.LBB57_440:
	s_or_b64 exec, exec, s[6:7]
	s_nop 0
	v_mfma_f32_16x16x4f32 a[0:3], v2, v10, a[0:3]
	s_movk_i32 s4, 0x7f
	v_cmp_gt_i16_sdwa s[6:7], v7, s4 src0_sel:BYTE_3 src1_sel:DWORD
	s_mov_b64 s[4:5], 0
                                        ; implicit-def: $sgpr10
	s_and_saveexec_b64 s[8:9], s[6:7]
	s_xor_b64 s[6:7], exec, s[8:9]
	s_cbranch_execnz .LBB57_2489
; %bb.441:
	s_or_saveexec_b64 s[6:7], s[6:7]
	v_mov_b32_e32 v2, s10
	s_xor_b64 exec, exec, s[6:7]
	s_cbranch_execnz .LBB57_2492
.LBB57_442:
	s_or_b64 exec, exec, s[6:7]
	s_and_saveexec_b64 s[6:7], s[4:5]
	s_cbranch_execz .LBB57_444
.LBB57_443:
	v_bfe_u32 v2, v7, 24, 3
	v_ffbh_u32_e32 v12, v2
	v_min_u32_e32 v12, 32, v12
	v_lshrrev_b32_e32 v10, 27, v7
	v_subrev_u32_e32 v13, 28, v12
	v_and_b32_e32 v6, 0x80000000, v7
	v_and_b32_e32 v10, 15, v10
	v_bfe_u32 v11, v7, 27, 4
	v_lshlrev_b32_sdwa v7, v13, v7 dst_sel:DWORD dst_unused:UNUSED_PAD src0_sel:DWORD src1_sel:BYTE_3
	v_sub_u32_e32 v12, 29, v12
	v_and_b32_e32 v7, 7, v7
	v_cmp_eq_u16_e32 vcc, 0, v10
	v_cndmask_b32_e32 v2, v2, v7, vcc
	v_cndmask_b32_e32 v7, v11, v12, vcc
	v_mov_b32_e32 v10, 0x3b800000
	v_lshlrev_b32_e32 v2, 20, v2
	v_lshl_add_u32 v7, v7, 23, v10
	v_or3_b32 v2, v6, v7, v2
.LBB57_444:
	s_or_b64 exec, exec, s[6:7]
	s_movk_i32 s4, 0x7f
	v_cmp_gt_i16_sdwa s[6:7], v3, s4 src0_sel:BYTE_3 src1_sel:DWORD
	s_mov_b64 s[4:5], 0
                                        ; implicit-def: $sgpr10
	s_and_saveexec_b64 s[8:9], s[6:7]
	s_xor_b64 s[6:7], exec, s[8:9]
	s_cbranch_execnz .LBB57_2493
; %bb.445:
	s_or_saveexec_b64 s[6:7], s[6:7]
	v_mov_b32_e32 v6, s10
	s_xor_b64 exec, exec, s[6:7]
	s_cbranch_execnz .LBB57_2496
.LBB57_446:
	s_or_b64 exec, exec, s[6:7]
	s_and_saveexec_b64 s[6:7], s[4:5]
	s_cbranch_execz .LBB57_448
.LBB57_447:
	v_bfe_u32 v6, v3, 24, 3
	v_ffbh_u32_e32 v12, v6
	v_min_u32_e32 v12, 32, v12
	v_lshrrev_b32_e32 v10, 27, v3
	v_subrev_u32_e32 v13, 28, v12
	v_and_b32_e32 v7, 0x80000000, v3
	v_and_b32_e32 v10, 15, v10
	v_bfe_u32 v11, v3, 27, 4
	v_lshlrev_b32_sdwa v3, v13, v3 dst_sel:DWORD dst_unused:UNUSED_PAD src0_sel:DWORD src1_sel:BYTE_3
	v_sub_u32_e32 v12, 29, v12
	v_and_b32_e32 v3, 7, v3
	v_cmp_eq_u16_e32 vcc, 0, v10
	v_cndmask_b32_e32 v3, v6, v3, vcc
	v_cndmask_b32_e32 v6, v11, v12, vcc
	v_mov_b32_e32 v10, 0x3b800000
	v_lshlrev_b32_e32 v3, 20, v3
	v_lshl_add_u32 v6, v6, 23, v10
	v_or3_b32 v6, v7, v6, v3
.LBB57_448:
	s_or_b64 exec, exec, s[6:7]
	s_nop 0
	v_mfma_f32_16x16x4f32 a[0:3], v2, v6, a[0:3]
	s_movk_i32 s4, 0x7f
	v_cmp_gt_i16_sdwa s[6:7], v8, s4 src0_sel:BYTE_0 src1_sel:DWORD
	s_mov_b64 s[4:5], 0
                                        ; implicit-def: $sgpr10
	s_and_saveexec_b64 s[8:9], s[6:7]
	s_xor_b64 s[6:7], exec, s[8:9]
	s_cbranch_execnz .LBB57_2497
; %bb.449:
	s_or_saveexec_b64 s[6:7], s[6:7]
	v_mov_b32_e32 v2, s10
	s_xor_b64 exec, exec, s[6:7]
	s_cbranch_execnz .LBB57_2500
.LBB57_450:
	s_or_b64 exec, exec, s[6:7]
	s_and_saveexec_b64 s[6:7], s[4:5]
	s_cbranch_execz .LBB57_452
.LBB57_451:
	v_and_b32_e32 v2, 7, v8
	v_ffbh_u32_e32 v6, v2
	v_min_u32_e32 v6, 32, v6
	v_lshrrev_b16_e32 v3, 3, v8
	v_subrev_u32_e32 v7, 28, v6
	v_and_b32_e32 v3, 15, v3
	v_lshlrev_b32_e32 v7, v7, v8
	v_sub_u32_e32 v6, 29, v6
	v_and_b32_e32 v7, 7, v7
	v_cmp_eq_u16_e32 vcc, 0, v3
	v_cndmask_b32_e32 v2, v2, v7, vcc
	v_cndmask_b32_e32 v3, v3, v6, vcc
	v_lshlrev_b32_e32 v6, 24, v8
	v_mov_b32_e32 v7, 0x3b800000
	v_lshlrev_b32_e32 v2, 20, v2
	v_and_b32_e32 v6, 0x80000000, v6
	v_lshl_add_u32 v3, v3, 23, v7
	v_or3_b32 v2, v6, v3, v2
.LBB57_452:
	s_or_b64 exec, exec, s[6:7]
	s_movk_i32 s4, 0x7f
	v_cmp_gt_i16_sdwa s[6:7], v4, s4 src0_sel:BYTE_0 src1_sel:DWORD
	s_mov_b64 s[4:5], 0
                                        ; implicit-def: $sgpr10
	s_and_saveexec_b64 s[8:9], s[6:7]
	s_xor_b64 s[6:7], exec, s[8:9]
	s_cbranch_execnz .LBB57_2501
; %bb.453:
	s_or_saveexec_b64 s[6:7], s[6:7]
	v_mov_b32_e32 v3, s10
	s_xor_b64 exec, exec, s[6:7]
	s_cbranch_execnz .LBB57_2504
.LBB57_454:
	s_or_b64 exec, exec, s[6:7]
	s_and_saveexec_b64 s[6:7], s[4:5]
	s_cbranch_execz .LBB57_456
.LBB57_455:
	v_and_b32_e32 v3, 7, v4
	v_ffbh_u32_e32 v7, v3
	v_min_u32_e32 v7, 32, v7
	v_lshrrev_b16_e32 v6, 3, v4
	v_subrev_u32_e32 v10, 28, v7
	v_and_b32_e32 v6, 15, v6
	v_lshlrev_b32_e32 v10, v10, v4
	v_sub_u32_e32 v7, 29, v7
	v_and_b32_e32 v10, 7, v10
	v_cmp_eq_u16_e32 vcc, 0, v6
	v_cndmask_b32_e32 v3, v3, v10, vcc
	v_cndmask_b32_e32 v6, v6, v7, vcc
	v_lshlrev_b32_e32 v7, 24, v4
	v_mov_b32_e32 v10, 0x3b800000
	v_lshlrev_b32_e32 v3, 20, v3
	v_and_b32_e32 v7, 0x80000000, v7
	v_lshl_add_u32 v6, v6, 23, v10
	v_or3_b32 v3, v7, v6, v3
.LBB57_456:
	s_or_b64 exec, exec, s[6:7]
	s_nop 0
	v_mfma_f32_16x16x4f32 a[0:3], v2, v3, a[0:3]
	v_lshrrev_b32_e32 v3, 8, v8
	s_movk_i32 s4, 0x7f
	v_cmp_gt_i16_sdwa s[6:7], v3, s4 src0_sel:BYTE_0 src1_sel:DWORD
	s_mov_b64 s[4:5], 0
                                        ; implicit-def: $sgpr10
	s_and_saveexec_b64 s[8:9], s[6:7]
	s_xor_b64 s[6:7], exec, s[8:9]
	s_cbranch_execnz .LBB57_2505
; %bb.457:
	s_or_saveexec_b64 s[6:7], s[6:7]
	v_mov_b32_e32 v2, s10
	s_xor_b64 exec, exec, s[6:7]
	s_cbranch_execnz .LBB57_2508
.LBB57_458:
	s_or_b64 exec, exec, s[6:7]
	s_and_saveexec_b64 s[6:7], s[4:5]
	s_cbranch_execz .LBB57_460
.LBB57_459:
	v_bfe_u32 v2, v8, 8, 3
	v_ffbh_u32_e32 v7, v2
	v_min_u32_e32 v7, 32, v7
	v_lshrrev_b16_e32 v6, 3, v3
	v_subrev_u32_e32 v10, 28, v7
	v_and_b32_e32 v6, 15, v6
	v_lshlrev_b32_e32 v3, v10, v3
	v_sub_u32_e32 v7, 29, v7
	v_and_b32_e32 v3, 7, v3
	v_cmp_eq_u16_e32 vcc, 0, v6
	v_cndmask_b32_e32 v2, v2, v3, vcc
	v_cndmask_b32_e32 v3, v6, v7, vcc
	v_lshlrev_b32_e32 v6, 16, v8
	v_mov_b32_e32 v7, 0x3b800000
	v_lshlrev_b32_e32 v2, 20, v2
	v_and_b32_e32 v6, 0x80000000, v6
	v_lshl_add_u32 v3, v3, 23, v7
	v_or3_b32 v2, v6, v3, v2
.LBB57_460:
	s_or_b64 exec, exec, s[6:7]
	v_lshrrev_b32_e32 v3, 8, v4
	s_movk_i32 s4, 0x7f
	v_cmp_gt_i16_sdwa s[6:7], v3, s4 src0_sel:BYTE_0 src1_sel:DWORD
	s_mov_b64 s[4:5], 0
                                        ; implicit-def: $sgpr10
	s_and_saveexec_b64 s[8:9], s[6:7]
	s_xor_b64 s[6:7], exec, s[8:9]
	s_cbranch_execnz .LBB57_2509
; %bb.461:
	s_or_saveexec_b64 s[6:7], s[6:7]
	v_mov_b32_e32 v6, s10
	s_xor_b64 exec, exec, s[6:7]
	s_cbranch_execnz .LBB57_2512
.LBB57_462:
	s_or_b64 exec, exec, s[6:7]
	s_and_saveexec_b64 s[6:7], s[4:5]
	s_cbranch_execz .LBB57_464
.LBB57_463:
	v_bfe_u32 v6, v4, 8, 3
	v_ffbh_u32_e32 v10, v6
	v_min_u32_e32 v10, 32, v10
	v_lshrrev_b16_e32 v7, 3, v3
	v_subrev_u32_e32 v11, 28, v10
	v_and_b32_e32 v7, 15, v7
	v_lshlrev_b32_e32 v3, v11, v3
	v_sub_u32_e32 v10, 29, v10
	v_and_b32_e32 v3, 7, v3
	v_cmp_eq_u16_e32 vcc, 0, v7
	v_cndmask_b32_e32 v3, v6, v3, vcc
	v_cndmask_b32_e32 v6, v7, v10, vcc
	v_lshlrev_b32_e32 v7, 16, v4
	v_mov_b32_e32 v10, 0x3b800000
	v_lshlrev_b32_e32 v3, 20, v3
	v_and_b32_e32 v7, 0x80000000, v7
	v_lshl_add_u32 v6, v6, 23, v10
	v_or3_b32 v6, v7, v6, v3
.LBB57_464:
	s_or_b64 exec, exec, s[6:7]
	s_nop 0
	v_mfma_f32_16x16x4f32 a[0:3], v2, v6, a[0:3]
	s_movk_i32 s4, 0xff
	v_and_b32_sdwa v3, v8, s4 dst_sel:DWORD dst_unused:UNUSED_PAD src0_sel:WORD_1 src1_sel:DWORD
	s_movk_i32 s4, 0x7f
	v_cmp_lt_i16_e32 vcc, s4, v3
	s_mov_b64 s[4:5], 0
                                        ; implicit-def: $sgpr10
	s_and_saveexec_b64 s[6:7], vcc
	s_xor_b64 s[6:7], exec, s[6:7]
	s_cbranch_execnz .LBB57_2513
; %bb.465:
	s_or_saveexec_b64 s[6:7], s[6:7]
	v_mov_b32_e32 v2, s10
	s_xor_b64 exec, exec, s[6:7]
	s_cbranch_execnz .LBB57_2516
.LBB57_466:
	s_or_b64 exec, exec, s[6:7]
	s_and_saveexec_b64 s[6:7], s[4:5]
	s_cbranch_execz .LBB57_468
.LBB57_467:
	v_bfe_u32 v2, v8, 16, 3
	v_ffbh_u32_e32 v7, v2
	v_min_u32_e32 v7, 32, v7
	v_lshrrev_b32_e32 v3, 19, v8
	v_subrev_u32_e32 v10, 28, v7
	v_and_b32_e32 v3, 15, v3
	v_lshlrev_b32_sdwa v10, v10, v8 dst_sel:DWORD dst_unused:UNUSED_PAD src0_sel:DWORD src1_sel:WORD_1
	v_bfe_u32 v6, v8, 19, 4
	v_sub_u32_e32 v7, 29, v7
	v_and_b32_e32 v10, 7, v10
	v_cmp_eq_u16_e32 vcc, 0, v3
	v_cndmask_b32_e32 v2, v2, v10, vcc
	v_cndmask_b32_e32 v3, v6, v7, vcc
	v_lshlrev_b32_e32 v6, 8, v8
	v_mov_b32_e32 v7, 0x3b800000
	v_lshlrev_b32_e32 v2, 20, v2
	v_and_b32_e32 v6, 0x80000000, v6
	v_lshl_add_u32 v3, v3, 23, v7
	v_or3_b32 v2, v6, v3, v2
.LBB57_468:
	s_or_b64 exec, exec, s[6:7]
	s_movk_i32 s4, 0xff
	v_and_b32_sdwa v3, v4, s4 dst_sel:DWORD dst_unused:UNUSED_PAD src0_sel:WORD_1 src1_sel:DWORD
	s_movk_i32 s4, 0x7f
	v_cmp_lt_i16_e32 vcc, s4, v3
	s_mov_b64 s[4:5], 0
                                        ; implicit-def: $sgpr10
	s_and_saveexec_b64 s[6:7], vcc
	s_xor_b64 s[6:7], exec, s[6:7]
	s_cbranch_execnz .LBB57_2517
; %bb.469:
	s_or_saveexec_b64 s[6:7], s[6:7]
	v_mov_b32_e32 v6, s10
	s_xor_b64 exec, exec, s[6:7]
	s_cbranch_execnz .LBB57_2520
.LBB57_470:
	s_or_b64 exec, exec, s[6:7]
	s_and_saveexec_b64 s[6:7], s[4:5]
	s_cbranch_execz .LBB57_472
.LBB57_471:
	v_bfe_u32 v3, v4, 16, 3
	v_ffbh_u32_e32 v10, v3
	v_min_u32_e32 v10, 32, v10
	v_lshrrev_b32_e32 v6, 19, v4
	v_subrev_u32_e32 v11, 28, v10
	v_and_b32_e32 v6, 15, v6
	v_lshlrev_b32_sdwa v11, v11, v4 dst_sel:DWORD dst_unused:UNUSED_PAD src0_sel:DWORD src1_sel:WORD_1
	v_bfe_u32 v7, v4, 19, 4
	v_sub_u32_e32 v10, 29, v10
	v_and_b32_e32 v11, 7, v11
	v_cmp_eq_u16_e32 vcc, 0, v6
	v_cndmask_b32_e32 v3, v3, v11, vcc
	v_cndmask_b32_e32 v6, v7, v10, vcc
	v_lshlrev_b32_e32 v7, 8, v4
	v_mov_b32_e32 v10, 0x3b800000
	v_lshlrev_b32_e32 v3, 20, v3
	v_and_b32_e32 v7, 0x80000000, v7
	v_lshl_add_u32 v6, v6, 23, v10
	v_or3_b32 v6, v7, v6, v3
.LBB57_472:
	s_or_b64 exec, exec, s[6:7]
	s_nop 0
	v_mfma_f32_16x16x4f32 a[0:3], v2, v6, a[0:3]
	s_movk_i32 s4, 0x7f
	v_cmp_gt_i16_sdwa s[6:7], v8, s4 src0_sel:BYTE_3 src1_sel:DWORD
	s_mov_b64 s[4:5], 0
                                        ; implicit-def: $sgpr10
	s_and_saveexec_b64 s[8:9], s[6:7]
	s_xor_b64 s[6:7], exec, s[8:9]
	s_cbranch_execnz .LBB57_2521
; %bb.473:
	s_or_saveexec_b64 s[6:7], s[6:7]
	v_mov_b32_e32 v2, s10
	s_xor_b64 exec, exec, s[6:7]
	s_cbranch_execnz .LBB57_2524
.LBB57_474:
	s_or_b64 exec, exec, s[6:7]
	s_and_saveexec_b64 s[6:7], s[4:5]
	s_cbranch_execz .LBB57_476
.LBB57_475:
	v_bfe_u32 v2, v8, 24, 3
	v_ffbh_u32_e32 v10, v2
	v_min_u32_e32 v10, 32, v10
	v_lshrrev_b32_e32 v6, 27, v8
	v_subrev_u32_e32 v11, 28, v10
	v_and_b32_e32 v3, 0x80000000, v8
	v_and_b32_e32 v6, 15, v6
	v_bfe_u32 v7, v8, 27, 4
	v_lshlrev_b32_sdwa v8, v11, v8 dst_sel:DWORD dst_unused:UNUSED_PAD src0_sel:DWORD src1_sel:BYTE_3
	v_sub_u32_e32 v10, 29, v10
	v_and_b32_e32 v8, 7, v8
	v_cmp_eq_u16_e32 vcc, 0, v6
	v_cndmask_b32_e32 v2, v2, v8, vcc
	v_cndmask_b32_e32 v6, v7, v10, vcc
	v_mov_b32_e32 v7, 0x3b800000
	v_lshlrev_b32_e32 v2, 20, v2
	v_lshl_add_u32 v6, v6, 23, v7
	v_or3_b32 v2, v3, v6, v2
.LBB57_476:
	s_or_b64 exec, exec, s[6:7]
	s_movk_i32 s4, 0x7f
	v_cmp_gt_i16_sdwa s[6:7], v4, s4 src0_sel:BYTE_3 src1_sel:DWORD
	s_mov_b64 s[4:5], 0
                                        ; implicit-def: $sgpr10
	s_and_saveexec_b64 s[8:9], s[6:7]
	s_xor_b64 s[6:7], exec, s[8:9]
	s_cbranch_execnz .LBB57_2525
; %bb.477:
	s_or_saveexec_b64 s[6:7], s[6:7]
	v_mov_b32_e32 v3, s10
	s_xor_b64 exec, exec, s[6:7]
	s_cbranch_execnz .LBB57_2528
.LBB57_478:
	s_or_b64 exec, exec, s[6:7]
	s_and_saveexec_b64 s[6:7], s[4:5]
	s_cbranch_execz .LBB57_480
.LBB57_479:
	v_bfe_u32 v3, v4, 24, 3
	v_ffbh_u32_e32 v10, v3
	v_min_u32_e32 v10, 32, v10
	v_lshrrev_b32_e32 v7, 27, v4
	v_subrev_u32_e32 v11, 28, v10
	v_and_b32_e32 v6, 0x80000000, v4
	v_and_b32_e32 v7, 15, v7
	v_bfe_u32 v8, v4, 27, 4
	v_lshlrev_b32_sdwa v4, v11, v4 dst_sel:DWORD dst_unused:UNUSED_PAD src0_sel:DWORD src1_sel:BYTE_3
	v_sub_u32_e32 v10, 29, v10
	v_and_b32_e32 v4, 7, v4
	v_cmp_eq_u16_e32 vcc, 0, v7
	v_cndmask_b32_e32 v3, v3, v4, vcc
	v_cndmask_b32_e32 v4, v8, v10, vcc
	v_mov_b32_e32 v7, 0x3b800000
	v_lshlrev_b32_e32 v3, 20, v3
	v_lshl_add_u32 v4, v4, 23, v7
	v_or3_b32 v3, v6, v4, v3
.LBB57_480:
	s_or_b64 exec, exec, s[6:7]
	s_nop 0
	v_mfma_f32_16x16x4f32 a[0:3], v2, v3, a[0:3]
	s_movk_i32 s4, 0x7f
	v_cmp_gt_i16_sdwa s[6:7], v9, s4 src0_sel:BYTE_0 src1_sel:DWORD
	s_mov_b64 s[4:5], 0
                                        ; implicit-def: $sgpr10
	s_and_saveexec_b64 s[8:9], s[6:7]
	s_xor_b64 s[6:7], exec, s[8:9]
	s_cbranch_execnz .LBB57_2529
; %bb.481:
	s_or_saveexec_b64 s[6:7], s[6:7]
	v_mov_b32_e32 v2, s10
	s_xor_b64 exec, exec, s[6:7]
	s_cbranch_execnz .LBB57_2532
.LBB57_482:
	s_or_b64 exec, exec, s[6:7]
	s_and_saveexec_b64 s[6:7], s[4:5]
	s_cbranch_execz .LBB57_484
.LBB57_483:
	v_mov_b32_e32 v2, 8
	v_and_b32_e32 v3, 7, v9
	v_lshrrev_b32_sdwa v2, v2, v9 dst_sel:BYTE_1 dst_unused:UNUSED_PAD src0_sel:DWORD src1_sel:DWORD
	v_ffbh_u32_e32 v4, v3
	v_or_b32_sdwa v2, v9, v2 dst_sel:DWORD dst_unused:UNUSED_PAD src0_sel:BYTE_0 src1_sel:DWORD
	v_min_u32_e32 v4, 32, v4
	v_lshrrev_b16_e32 v2, 3, v2
	v_subrev_u32_e32 v6, 28, v4
	v_and_b32_e32 v2, 15, v2
	v_lshlrev_b32_e32 v6, v6, v9
	v_sub_u32_e32 v4, 29, v4
	v_and_b32_e32 v6, 7, v6
	v_cmp_eq_u16_e32 vcc, 0, v2
	v_cndmask_b32_e32 v3, v3, v6, vcc
	v_cndmask_b32_e32 v2, v2, v4, vcc
	v_lshlrev_b32_e32 v4, 24, v9
	v_mov_b32_e32 v6, 0x3b800000
	v_lshlrev_b32_e32 v3, 20, v3
	v_and_b32_e32 v4, 0x80000000, v4
	v_lshl_add_u32 v2, v2, 23, v6
	v_or3_b32 v2, v4, v2, v3
.LBB57_484:
	s_or_b64 exec, exec, s[6:7]
	s_movk_i32 s4, 0x7f
	v_cmp_gt_i16_sdwa s[6:7], v5, s4 src0_sel:BYTE_0 src1_sel:DWORD
	s_mov_b64 s[4:5], 0
                                        ; implicit-def: $sgpr10
	s_and_saveexec_b64 s[8:9], s[6:7]
	s_xor_b64 s[6:7], exec, s[8:9]
	s_cbranch_execnz .LBB57_2533
; %bb.485:
	s_or_saveexec_b64 s[6:7], s[6:7]
	v_mov_b32_e32 v3, s10
	s_xor_b64 exec, exec, s[6:7]
	s_cbranch_execnz .LBB57_2536
.LBB57_486:
	s_or_b64 exec, exec, s[6:7]
	s_and_saveexec_b64 s[6:7], s[4:5]
	s_cbranch_execz .LBB57_488
.LBB57_487:
	v_mov_b32_e32 v3, 8
	v_and_b32_e32 v4, 7, v5
	v_lshrrev_b32_sdwa v3, v3, v5 dst_sel:BYTE_1 dst_unused:UNUSED_PAD src0_sel:DWORD src1_sel:DWORD
	v_ffbh_u32_e32 v6, v4
	v_or_b32_sdwa v3, v5, v3 dst_sel:DWORD dst_unused:UNUSED_PAD src0_sel:BYTE_0 src1_sel:DWORD
	v_min_u32_e32 v6, 32, v6
	v_lshrrev_b16_e32 v3, 3, v3
	v_subrev_u32_e32 v7, 28, v6
	v_and_b32_e32 v3, 15, v3
	v_lshlrev_b32_e32 v7, v7, v5
	v_sub_u32_e32 v6, 29, v6
	v_and_b32_e32 v7, 7, v7
	v_cmp_eq_u16_e32 vcc, 0, v3
	v_cndmask_b32_e32 v4, v4, v7, vcc
	v_cndmask_b32_e32 v3, v3, v6, vcc
	v_lshlrev_b32_e32 v6, 24, v5
	v_mov_b32_e32 v7, 0x3b800000
	v_lshlrev_b32_e32 v4, 20, v4
	v_and_b32_e32 v6, 0x80000000, v6
	v_lshl_add_u32 v3, v3, 23, v7
	v_or3_b32 v3, v6, v3, v4
.LBB57_488:
	s_or_b64 exec, exec, s[6:7]
	s_nop 0
	v_mfma_f32_16x16x4f32 a[0:3], v2, v3, a[0:3]
	v_lshrrev_b32_e32 v3, 8, v9
	s_movk_i32 s4, 0x7f
	v_cmp_gt_i16_sdwa s[6:7], v3, s4 src0_sel:BYTE_0 src1_sel:DWORD
	s_mov_b64 s[4:5], 0
                                        ; implicit-def: $sgpr10
	s_and_saveexec_b64 s[8:9], s[6:7]
	s_xor_b64 s[6:7], exec, s[8:9]
	s_cbranch_execnz .LBB57_2537
; %bb.489:
	s_or_saveexec_b64 s[6:7], s[6:7]
	v_mov_b32_e32 v2, s10
	s_xor_b64 exec, exec, s[6:7]
	s_cbranch_execnz .LBB57_2540
.LBB57_490:
	s_or_b64 exec, exec, s[6:7]
	s_and_saveexec_b64 s[6:7], s[4:5]
	s_cbranch_execz .LBB57_492
.LBB57_491:
	v_bfe_u32 v2, v9, 8, 3
	v_ffbh_u32_e32 v6, v2
	v_min_u32_e32 v6, 32, v6
	v_lshrrev_b16_e32 v4, 3, v3
	v_subrev_u32_e32 v7, 28, v6
	v_and_b32_e32 v4, 15, v4
	v_lshlrev_b32_e32 v3, v7, v3
	v_sub_u32_e32 v6, 29, v6
	v_and_b32_e32 v3, 7, v3
	v_cmp_eq_u16_e32 vcc, 0, v4
	v_cndmask_b32_e32 v2, v2, v3, vcc
	v_cndmask_b32_e32 v3, v4, v6, vcc
	v_lshlrev_b32_e32 v4, 16, v9
	v_mov_b32_e32 v6, 0x3b800000
	v_lshlrev_b32_e32 v2, 20, v2
	v_and_b32_e32 v4, 0x80000000, v4
	v_lshl_add_u32 v3, v3, 23, v6
	v_or3_b32 v2, v4, v3, v2
.LBB57_492:
	s_or_b64 exec, exec, s[6:7]
	v_lshrrev_b32_e32 v3, 8, v5
	s_movk_i32 s4, 0x7f
	v_cmp_gt_i16_sdwa s[6:7], v3, s4 src0_sel:BYTE_0 src1_sel:DWORD
	s_mov_b64 s[4:5], 0
                                        ; implicit-def: $sgpr10
	s_and_saveexec_b64 s[8:9], s[6:7]
	s_xor_b64 s[6:7], exec, s[8:9]
	s_cbranch_execnz .LBB57_2541
; %bb.493:
	s_or_saveexec_b64 s[6:7], s[6:7]
	v_mov_b32_e32 v4, s10
	s_xor_b64 exec, exec, s[6:7]
	s_cbranch_execnz .LBB57_2544
.LBB57_494:
	s_or_b64 exec, exec, s[6:7]
	s_and_saveexec_b64 s[6:7], s[4:5]
	s_cbranch_execz .LBB57_496
.LBB57_495:
	v_bfe_u32 v4, v5, 8, 3
	v_ffbh_u32_e32 v7, v4
	v_min_u32_e32 v7, 32, v7
	v_lshrrev_b16_e32 v6, 3, v3
	v_subrev_u32_e32 v8, 28, v7
	v_and_b32_e32 v6, 15, v6
	v_lshlrev_b32_e32 v3, v8, v3
	v_sub_u32_e32 v7, 29, v7
	v_and_b32_e32 v3, 7, v3
	v_cmp_eq_u16_e32 vcc, 0, v6
	v_cndmask_b32_e32 v3, v4, v3, vcc
	v_cndmask_b32_e32 v4, v6, v7, vcc
	v_lshlrev_b32_e32 v6, 16, v5
	v_mov_b32_e32 v7, 0x3b800000
	v_lshlrev_b32_e32 v3, 20, v3
	v_and_b32_e32 v6, 0x80000000, v6
	v_lshl_add_u32 v4, v4, 23, v7
	v_or3_b32 v4, v6, v4, v3
.LBB57_496:
	s_or_b64 exec, exec, s[6:7]
	s_nop 0
	v_mfma_f32_16x16x4f32 a[0:3], v2, v4, a[0:3]
	s_movk_i32 s4, 0xff
	v_and_b32_sdwa v3, v9, s4 dst_sel:DWORD dst_unused:UNUSED_PAD src0_sel:WORD_1 src1_sel:DWORD
	s_movk_i32 s4, 0x7f
	v_cmp_lt_i16_e32 vcc, s4, v3
	s_mov_b64 s[4:5], 0
                                        ; implicit-def: $sgpr10
	s_and_saveexec_b64 s[6:7], vcc
	s_xor_b64 s[6:7], exec, s[6:7]
	s_cbranch_execnz .LBB57_2545
; %bb.497:
	s_or_saveexec_b64 s[6:7], s[6:7]
	v_mov_b32_e32 v2, s10
	s_xor_b64 exec, exec, s[6:7]
	s_cbranch_execnz .LBB57_2548
.LBB57_498:
	s_or_b64 exec, exec, s[6:7]
	s_and_saveexec_b64 s[6:7], s[4:5]
	s_cbranch_execz .LBB57_500
.LBB57_499:
	v_bfe_u32 v2, v9, 16, 3
	v_ffbh_u32_e32 v6, v2
	v_min_u32_e32 v6, 32, v6
	v_lshrrev_b32_e32 v3, 19, v9
	v_subrev_u32_e32 v7, 28, v6
	v_and_b32_e32 v3, 15, v3
	v_lshlrev_b32_sdwa v7, v7, v9 dst_sel:DWORD dst_unused:UNUSED_PAD src0_sel:DWORD src1_sel:WORD_1
	v_bfe_u32 v4, v9, 19, 4
	v_sub_u32_e32 v6, 29, v6
	v_and_b32_e32 v7, 7, v7
	v_cmp_eq_u16_e32 vcc, 0, v3
	v_cndmask_b32_e32 v2, v2, v7, vcc
	v_cndmask_b32_e32 v3, v4, v6, vcc
	v_lshlrev_b32_e32 v4, 8, v9
	v_mov_b32_e32 v6, 0x3b800000
	v_lshlrev_b32_e32 v2, 20, v2
	v_and_b32_e32 v4, 0x80000000, v4
	v_lshl_add_u32 v3, v3, 23, v6
	v_or3_b32 v2, v4, v3, v2
.LBB57_500:
	s_or_b64 exec, exec, s[6:7]
	s_movk_i32 s4, 0xff
	v_and_b32_sdwa v3, v5, s4 dst_sel:DWORD dst_unused:UNUSED_PAD src0_sel:WORD_1 src1_sel:DWORD
	s_movk_i32 s4, 0x7f
	v_cmp_lt_i16_e32 vcc, s4, v3
	s_mov_b64 s[4:5], 0
                                        ; implicit-def: $sgpr10
	s_and_saveexec_b64 s[6:7], vcc
	s_xor_b64 s[6:7], exec, s[6:7]
	s_cbranch_execnz .LBB57_2549
; %bb.501:
	s_or_saveexec_b64 s[6:7], s[6:7]
	v_mov_b32_e32 v4, s10
	s_xor_b64 exec, exec, s[6:7]
	s_cbranch_execnz .LBB57_2552
.LBB57_502:
	s_or_b64 exec, exec, s[6:7]
	s_and_saveexec_b64 s[6:7], s[4:5]
	s_cbranch_execz .LBB57_504
.LBB57_503:
	v_bfe_u32 v3, v5, 16, 3
	v_ffbh_u32_e32 v7, v3
	v_min_u32_e32 v7, 32, v7
	v_lshrrev_b32_e32 v4, 19, v5
	v_subrev_u32_e32 v8, 28, v7
	v_and_b32_e32 v4, 15, v4
	v_lshlrev_b32_sdwa v8, v8, v5 dst_sel:DWORD dst_unused:UNUSED_PAD src0_sel:DWORD src1_sel:WORD_1
	v_bfe_u32 v6, v5, 19, 4
	v_sub_u32_e32 v7, 29, v7
	v_and_b32_e32 v8, 7, v8
	v_cmp_eq_u16_e32 vcc, 0, v4
	v_cndmask_b32_e32 v3, v3, v8, vcc
	v_cndmask_b32_e32 v4, v6, v7, vcc
	v_lshlrev_b32_e32 v6, 8, v5
	v_mov_b32_e32 v7, 0x3b800000
	v_lshlrev_b32_e32 v3, 20, v3
	v_and_b32_e32 v6, 0x80000000, v6
	v_lshl_add_u32 v4, v4, 23, v7
	v_or3_b32 v4, v6, v4, v3
.LBB57_504:
	s_or_b64 exec, exec, s[6:7]
	s_nop 0
	v_mfma_f32_16x16x4f32 a[0:3], v2, v4, a[0:3]
	s_movk_i32 s4, 0x7f
	v_cmp_gt_i16_sdwa s[6:7], v9, s4 src0_sel:BYTE_3 src1_sel:DWORD
	s_mov_b64 s[4:5], 0
                                        ; implicit-def: $sgpr10
	s_and_saveexec_b64 s[8:9], s[6:7]
	s_xor_b64 s[6:7], exec, s[8:9]
	s_cbranch_execnz .LBB57_2553
; %bb.505:
	s_or_saveexec_b64 s[6:7], s[6:7]
	v_mov_b32_e32 v2, s10
	s_xor_b64 exec, exec, s[6:7]
	s_cbranch_execnz .LBB57_2556
.LBB57_506:
	s_or_b64 exec, exec, s[6:7]
	s_and_saveexec_b64 s[6:7], s[4:5]
	s_cbranch_execz .LBB57_508
.LBB57_507:
	v_bfe_u32 v2, v9, 24, 3
	v_ffbh_u32_e32 v7, v2
	v_min_u32_e32 v7, 32, v7
	v_lshrrev_b32_e32 v4, 27, v9
	v_subrev_u32_e32 v8, 28, v7
	v_and_b32_e32 v4, 15, v4
	v_lshlrev_b32_sdwa v8, v8, v9 dst_sel:DWORD dst_unused:UNUSED_PAD src0_sel:DWORD src1_sel:BYTE_3
	v_bfe_u32 v6, v9, 27, 4
	v_sub_u32_e32 v7, 29, v7
	v_and_b32_e32 v8, 7, v8
	v_cmp_eq_u16_e32 vcc, 0, v4
	v_cndmask_b32_e32 v2, v2, v8, vcc
	v_cndmask_b32_e32 v4, v6, v7, vcc
	v_mov_b32_e32 v6, 0x3b800000
	v_and_b32_e32 v3, 0x80000000, v9
	v_lshlrev_b32_e32 v2, 20, v2
	v_lshl_add_u32 v4, v4, 23, v6
	v_or3_b32 v2, v3, v4, v2
.LBB57_508:
	s_or_b64 exec, exec, s[6:7]
	s_movk_i32 s4, 0x7f
	v_cmp_gt_i16_sdwa s[6:7], v5, s4 src0_sel:BYTE_3 src1_sel:DWORD
	s_mov_b64 s[4:5], 0
                                        ; implicit-def: $sgpr10
	s_and_saveexec_b64 s[8:9], s[6:7]
	s_xor_b64 s[6:7], exec, s[8:9]
	s_cbranch_execnz .LBB57_2557
; %bb.509:
	s_or_saveexec_b64 s[6:7], s[6:7]
	v_mov_b32_e32 v3, s10
	s_xor_b64 exec, exec, s[6:7]
	s_cbranch_execnz .LBB57_2560
.LBB57_510:
	s_or_b64 exec, exec, s[6:7]
	s_and_saveexec_b64 s[6:7], s[4:5]
	s_cbranch_execz .LBB57_512
.LBB57_511:
	v_bfe_u32 v3, v5, 24, 3
	v_ffbh_u32_e32 v8, v3
	v_min_u32_e32 v8, 32, v8
	v_lshrrev_b32_e32 v6, 27, v5
	v_subrev_u32_e32 v9, 28, v8
	v_and_b32_e32 v4, 0x80000000, v5
	v_and_b32_e32 v6, 15, v6
	v_bfe_u32 v7, v5, 27, 4
	v_lshlrev_b32_sdwa v5, v9, v5 dst_sel:DWORD dst_unused:UNUSED_PAD src0_sel:DWORD src1_sel:BYTE_3
	v_sub_u32_e32 v8, 29, v8
	v_and_b32_e32 v5, 7, v5
	v_cmp_eq_u16_e32 vcc, 0, v6
	v_cndmask_b32_e32 v3, v3, v5, vcc
	v_cndmask_b32_e32 v5, v7, v8, vcc
	v_mov_b32_e32 v6, 0x3b800000
	v_lshlrev_b32_e32 v3, 20, v3
	v_lshl_add_u32 v5, v5, 23, v6
	v_or3_b32 v3, v4, v5, v3
.LBB57_512:
	s_or_b64 exec, exec, s[6:7]
	s_nop 0
	v_mfma_f32_16x16x4f32 a[0:3], v2, v3, a[0:3]
	s_movk_i32 s4, 0x7f
                                        ; implicit-def: $sgpr10
	s_nop 7
	s_nop 1
	flat_store_dwordx4 v[18:19], a[0:3] offset:656
	flat_load_dwordx4 v[20:23], v[0:1] offset:8
	s_nop 0
	flat_load_dwordx2 v[18:19], v[0:1] offset:24
	s_waitcnt vmcnt(0) lgkmcnt(0)
	flat_load_dwordx4 v[14:17], v[20:21] offset:32
	flat_load_dwordx4 v[6:9], v[20:21] offset:48
	;; [unrolled: 1-line block ×4, first 2 shown]
	s_waitcnt vmcnt(0) lgkmcnt(0)
	v_cmp_gt_i16_sdwa s[6:7], v14, s4 src0_sel:BYTE_0 src1_sel:DWORD
	s_mov_b64 s[4:5], 0
	s_and_saveexec_b64 s[8:9], s[6:7]
	s_xor_b64 s[6:7], exec, s[8:9]
	s_cbranch_execnz .LBB57_2561
; %bb.513:
	s_or_saveexec_b64 s[6:7], s[6:7]
	v_mov_b32_e32 v20, s10
	s_xor_b64 exec, exec, s[6:7]
	s_cbranch_execnz .LBB57_2564
.LBB57_514:
	s_or_b64 exec, exec, s[6:7]
	s_and_saveexec_b64 s[6:7], s[4:5]
	s_cbranch_execz .LBB57_516
.LBB57_515:
	v_and_b32_e32 v20, 7, v14
	v_ffbh_u32_e32 v22, v20
	v_min_u32_e32 v22, 32, v22
	v_lshrrev_b16_e32 v21, 3, v14
	v_subrev_u32_e32 v23, 28, v22
	v_and_b32_e32 v21, 15, v21
	v_lshlrev_b32_e32 v23, v23, v14
	v_sub_u32_e32 v22, 29, v22
	v_and_b32_e32 v23, 7, v23
	v_cmp_eq_u16_e32 vcc, 0, v21
	v_cndmask_b32_e32 v20, v20, v23, vcc
	v_cndmask_b32_e32 v21, v21, v22, vcc
	v_lshlrev_b32_e32 v22, 24, v14
	v_mov_b32_e32 v23, 0x3b800000
	v_lshlrev_b32_e32 v20, 20, v20
	v_and_b32_e32 v22, 0x80000000, v22
	v_lshl_add_u32 v21, v21, 23, v23
	v_or3_b32 v20, v22, v21, v20
.LBB57_516:
	s_or_b64 exec, exec, s[6:7]
	s_movk_i32 s4, 0x7f
	v_cmp_gt_i16_sdwa s[6:7], v10, s4 src0_sel:BYTE_0 src1_sel:DWORD
	s_mov_b64 s[4:5], 0
                                        ; implicit-def: $sgpr10
	s_and_saveexec_b64 s[8:9], s[6:7]
	s_xor_b64 s[6:7], exec, s[8:9]
	s_cbranch_execnz .LBB57_2565
; %bb.517:
	s_or_saveexec_b64 s[6:7], s[6:7]
	v_mov_b32_e32 v21, s10
	s_xor_b64 exec, exec, s[6:7]
	s_cbranch_execnz .LBB57_2568
.LBB57_518:
	s_or_b64 exec, exec, s[6:7]
	s_and_saveexec_b64 s[6:7], s[4:5]
	s_cbranch_execz .LBB57_520
.LBB57_519:
	v_and_b32_e32 v21, 7, v10
	v_ffbh_u32_e32 v23, v21
	v_min_u32_e32 v23, 32, v23
	v_lshrrev_b16_e32 v22, 3, v10
	v_subrev_u32_e32 v24, 28, v23
	v_and_b32_e32 v22, 15, v22
	v_lshlrev_b32_e32 v24, v24, v10
	v_sub_u32_e32 v23, 29, v23
	v_and_b32_e32 v24, 7, v24
	v_cmp_eq_u16_e32 vcc, 0, v22
	v_cndmask_b32_e32 v21, v21, v24, vcc
	v_cndmask_b32_e32 v22, v22, v23, vcc
	v_lshlrev_b32_e32 v23, 24, v10
	v_mov_b32_e32 v24, 0x3b800000
	v_lshlrev_b32_e32 v21, 20, v21
	v_and_b32_e32 v23, 0x80000000, v23
	v_lshl_add_u32 v22, v22, 23, v24
	v_or3_b32 v21, v23, v22, v21
.LBB57_520:
	s_or_b64 exec, exec, s[6:7]
	flat_load_dwordx4 a[0:3], v[18:19] offset:672
	s_movk_i32 s4, 0x7f
                                        ; implicit-def: $sgpr10
	s_waitcnt vmcnt(0) lgkmcnt(0)
	v_mfma_f32_16x16x4f32 a[0:3], v20, v21, a[0:3]
	v_lshrrev_b32_e32 v21, 8, v14
	v_cmp_gt_i16_sdwa s[6:7], v21, s4 src0_sel:BYTE_0 src1_sel:DWORD
	s_mov_b64 s[4:5], 0
	s_and_saveexec_b64 s[8:9], s[6:7]
	s_xor_b64 s[6:7], exec, s[8:9]
	s_cbranch_execnz .LBB57_2569
; %bb.521:
	s_or_saveexec_b64 s[6:7], s[6:7]
	v_mov_b32_e32 v20, s10
	s_xor_b64 exec, exec, s[6:7]
	s_cbranch_execnz .LBB57_2572
.LBB57_522:
	s_or_b64 exec, exec, s[6:7]
	s_and_saveexec_b64 s[6:7], s[4:5]
	s_cbranch_execz .LBB57_524
.LBB57_523:
	v_bfe_u32 v20, v14, 8, 3
	v_ffbh_u32_e32 v23, v20
	v_min_u32_e32 v23, 32, v23
	v_lshrrev_b16_e32 v22, 3, v21
	v_subrev_u32_e32 v24, 28, v23
	v_and_b32_e32 v22, 15, v22
	v_lshlrev_b32_e32 v21, v24, v21
	v_sub_u32_e32 v23, 29, v23
	v_and_b32_e32 v21, 7, v21
	v_cmp_eq_u16_e32 vcc, 0, v22
	v_cndmask_b32_e32 v20, v20, v21, vcc
	v_cndmask_b32_e32 v21, v22, v23, vcc
	v_lshlrev_b32_e32 v22, 16, v14
	v_mov_b32_e32 v23, 0x3b800000
	v_lshlrev_b32_e32 v20, 20, v20
	v_and_b32_e32 v22, 0x80000000, v22
	v_lshl_add_u32 v21, v21, 23, v23
	v_or3_b32 v20, v22, v21, v20
.LBB57_524:
	s_or_b64 exec, exec, s[6:7]
	v_lshrrev_b32_e32 v21, 8, v10
	s_movk_i32 s4, 0x7f
	v_cmp_gt_i16_sdwa s[6:7], v21, s4 src0_sel:BYTE_0 src1_sel:DWORD
	s_mov_b64 s[4:5], 0
                                        ; implicit-def: $sgpr10
	s_and_saveexec_b64 s[8:9], s[6:7]
	s_xor_b64 s[6:7], exec, s[8:9]
	s_cbranch_execnz .LBB57_2573
; %bb.525:
	s_or_saveexec_b64 s[6:7], s[6:7]
	v_mov_b32_e32 v22, s10
	s_xor_b64 exec, exec, s[6:7]
	s_cbranch_execnz .LBB57_2576
.LBB57_526:
	s_or_b64 exec, exec, s[6:7]
	s_and_saveexec_b64 s[6:7], s[4:5]
	s_cbranch_execz .LBB57_528
.LBB57_527:
	v_bfe_u32 v22, v10, 8, 3
	v_ffbh_u32_e32 v24, v22
	v_min_u32_e32 v24, 32, v24
	v_lshrrev_b16_e32 v23, 3, v21
	v_subrev_u32_e32 v25, 28, v24
	v_and_b32_e32 v23, 15, v23
	v_lshlrev_b32_e32 v21, v25, v21
	v_sub_u32_e32 v24, 29, v24
	v_and_b32_e32 v21, 7, v21
	v_cmp_eq_u16_e32 vcc, 0, v23
	v_cndmask_b32_e32 v21, v22, v21, vcc
	v_cndmask_b32_e32 v22, v23, v24, vcc
	v_lshlrev_b32_e32 v23, 16, v10
	v_mov_b32_e32 v24, 0x3b800000
	v_lshlrev_b32_e32 v21, 20, v21
	v_and_b32_e32 v23, 0x80000000, v23
	v_lshl_add_u32 v22, v22, 23, v24
	v_or3_b32 v22, v23, v22, v21
.LBB57_528:
	s_or_b64 exec, exec, s[6:7]
	s_nop 0
	v_mfma_f32_16x16x4f32 a[0:3], v20, v22, a[0:3]
	s_movk_i32 s4, 0xff
	v_and_b32_sdwa v21, v14, s4 dst_sel:DWORD dst_unused:UNUSED_PAD src0_sel:WORD_1 src1_sel:DWORD
	s_movk_i32 s4, 0x7f
	v_cmp_lt_i16_e32 vcc, s4, v21
	s_mov_b64 s[4:5], 0
                                        ; implicit-def: $sgpr10
	s_and_saveexec_b64 s[6:7], vcc
	s_xor_b64 s[6:7], exec, s[6:7]
	s_cbranch_execnz .LBB57_2577
; %bb.529:
	s_or_saveexec_b64 s[6:7], s[6:7]
	v_mov_b32_e32 v20, s10
	s_xor_b64 exec, exec, s[6:7]
	s_cbranch_execnz .LBB57_2580
.LBB57_530:
	s_or_b64 exec, exec, s[6:7]
	s_and_saveexec_b64 s[6:7], s[4:5]
	s_cbranch_execz .LBB57_532
.LBB57_531:
	v_bfe_u32 v20, v14, 16, 3
	v_ffbh_u32_e32 v23, v20
	v_min_u32_e32 v23, 32, v23
	v_lshrrev_b32_e32 v21, 19, v14
	v_subrev_u32_e32 v24, 28, v23
	v_and_b32_e32 v21, 15, v21
	v_lshlrev_b32_sdwa v24, v24, v14 dst_sel:DWORD dst_unused:UNUSED_PAD src0_sel:DWORD src1_sel:WORD_1
	v_bfe_u32 v22, v14, 19, 4
	v_sub_u32_e32 v23, 29, v23
	v_and_b32_e32 v24, 7, v24
	v_cmp_eq_u16_e32 vcc, 0, v21
	v_cndmask_b32_e32 v20, v20, v24, vcc
	v_cndmask_b32_e32 v21, v22, v23, vcc
	v_lshlrev_b32_e32 v22, 8, v14
	v_mov_b32_e32 v23, 0x3b800000
	v_lshlrev_b32_e32 v20, 20, v20
	v_and_b32_e32 v22, 0x80000000, v22
	v_lshl_add_u32 v21, v21, 23, v23
	v_or3_b32 v20, v22, v21, v20
.LBB57_532:
	s_or_b64 exec, exec, s[6:7]
	s_movk_i32 s4, 0xff
	v_and_b32_sdwa v21, v10, s4 dst_sel:DWORD dst_unused:UNUSED_PAD src0_sel:WORD_1 src1_sel:DWORD
	s_movk_i32 s4, 0x7f
	v_cmp_lt_i16_e32 vcc, s4, v21
	s_mov_b64 s[4:5], 0
                                        ; implicit-def: $sgpr10
	s_and_saveexec_b64 s[6:7], vcc
	s_xor_b64 s[6:7], exec, s[6:7]
	s_cbranch_execnz .LBB57_2581
; %bb.533:
	s_or_saveexec_b64 s[6:7], s[6:7]
	v_mov_b32_e32 v22, s10
	s_xor_b64 exec, exec, s[6:7]
	s_cbranch_execnz .LBB57_2584
.LBB57_534:
	s_or_b64 exec, exec, s[6:7]
	s_and_saveexec_b64 s[6:7], s[4:5]
	s_cbranch_execz .LBB57_536
.LBB57_535:
	v_bfe_u32 v21, v10, 16, 3
	v_ffbh_u32_e32 v24, v21
	v_min_u32_e32 v24, 32, v24
	v_lshrrev_b32_e32 v22, 19, v10
	v_subrev_u32_e32 v25, 28, v24
	v_and_b32_e32 v22, 15, v22
	v_lshlrev_b32_sdwa v25, v25, v10 dst_sel:DWORD dst_unused:UNUSED_PAD src0_sel:DWORD src1_sel:WORD_1
	v_bfe_u32 v23, v10, 19, 4
	v_sub_u32_e32 v24, 29, v24
	v_and_b32_e32 v25, 7, v25
	v_cmp_eq_u16_e32 vcc, 0, v22
	v_cndmask_b32_e32 v21, v21, v25, vcc
	v_cndmask_b32_e32 v22, v23, v24, vcc
	v_lshlrev_b32_e32 v23, 8, v10
	v_mov_b32_e32 v24, 0x3b800000
	v_lshlrev_b32_e32 v21, 20, v21
	v_and_b32_e32 v23, 0x80000000, v23
	v_lshl_add_u32 v22, v22, 23, v24
	v_or3_b32 v22, v23, v22, v21
.LBB57_536:
	s_or_b64 exec, exec, s[6:7]
	s_nop 0
	v_mfma_f32_16x16x4f32 a[0:3], v20, v22, a[0:3]
	s_movk_i32 s4, 0x7f
	v_cmp_gt_i16_sdwa s[6:7], v14, s4 src0_sel:BYTE_3 src1_sel:DWORD
	s_mov_b64 s[4:5], 0
                                        ; implicit-def: $sgpr10
	s_and_saveexec_b64 s[8:9], s[6:7]
	s_xor_b64 s[6:7], exec, s[8:9]
	s_cbranch_execnz .LBB57_2585
; %bb.537:
	s_or_saveexec_b64 s[6:7], s[6:7]
	v_mov_b32_e32 v20, s10
	s_xor_b64 exec, exec, s[6:7]
	s_cbranch_execnz .LBB57_2588
.LBB57_538:
	s_or_b64 exec, exec, s[6:7]
	s_and_saveexec_b64 s[6:7], s[4:5]
	s_cbranch_execz .LBB57_540
.LBB57_539:
	v_bfe_u32 v20, v14, 24, 3
	v_ffbh_u32_e32 v24, v20
	v_min_u32_e32 v24, 32, v24
	v_lshrrev_b32_e32 v22, 27, v14
	v_subrev_u32_e32 v25, 28, v24
	v_and_b32_e32 v21, 0x80000000, v14
	v_and_b32_e32 v22, 15, v22
	v_bfe_u32 v23, v14, 27, 4
	v_lshlrev_b32_sdwa v14, v25, v14 dst_sel:DWORD dst_unused:UNUSED_PAD src0_sel:DWORD src1_sel:BYTE_3
	v_sub_u32_e32 v24, 29, v24
	v_and_b32_e32 v14, 7, v14
	v_cmp_eq_u16_e32 vcc, 0, v22
	v_cndmask_b32_e32 v14, v20, v14, vcc
	v_cndmask_b32_e32 v20, v23, v24, vcc
	v_mov_b32_e32 v22, 0x3b800000
	v_lshlrev_b32_e32 v14, 20, v14
	v_lshl_add_u32 v20, v20, 23, v22
	v_or3_b32 v20, v21, v20, v14
.LBB57_540:
	s_or_b64 exec, exec, s[6:7]
	s_movk_i32 s4, 0x7f
	v_cmp_gt_i16_sdwa s[6:7], v10, s4 src0_sel:BYTE_3 src1_sel:DWORD
	s_mov_b64 s[4:5], 0
                                        ; implicit-def: $sgpr10
	s_and_saveexec_b64 s[8:9], s[6:7]
	s_xor_b64 s[6:7], exec, s[8:9]
	s_cbranch_execnz .LBB57_2589
; %bb.541:
	s_or_saveexec_b64 s[6:7], s[6:7]
	v_mov_b32_e32 v14, s10
	s_xor_b64 exec, exec, s[6:7]
	s_cbranch_execnz .LBB57_2592
.LBB57_542:
	s_or_b64 exec, exec, s[6:7]
	s_and_saveexec_b64 s[6:7], s[4:5]
	s_cbranch_execz .LBB57_544
.LBB57_543:
	v_bfe_u32 v14, v10, 24, 3
	v_ffbh_u32_e32 v24, v14
	v_min_u32_e32 v24, 32, v24
	v_lshrrev_b32_e32 v22, 27, v10
	v_subrev_u32_e32 v25, 28, v24
	v_and_b32_e32 v21, 0x80000000, v10
	v_and_b32_e32 v22, 15, v22
	v_bfe_u32 v23, v10, 27, 4
	v_lshlrev_b32_sdwa v10, v25, v10 dst_sel:DWORD dst_unused:UNUSED_PAD src0_sel:DWORD src1_sel:BYTE_3
	v_sub_u32_e32 v24, 29, v24
	v_and_b32_e32 v10, 7, v10
	v_cmp_eq_u16_e32 vcc, 0, v22
	v_cndmask_b32_e32 v10, v14, v10, vcc
	v_cndmask_b32_e32 v14, v23, v24, vcc
	v_mov_b32_e32 v22, 0x3b800000
	v_lshlrev_b32_e32 v10, 20, v10
	v_lshl_add_u32 v14, v14, 23, v22
	v_or3_b32 v14, v21, v14, v10
.LBB57_544:
	s_or_b64 exec, exec, s[6:7]
	s_nop 0
	v_mfma_f32_16x16x4f32 a[0:3], v20, v14, a[0:3]
	s_movk_i32 s4, 0x7f
	v_cmp_gt_i16_sdwa s[6:7], v15, s4 src0_sel:BYTE_0 src1_sel:DWORD
	s_mov_b64 s[4:5], 0
                                        ; implicit-def: $sgpr10
	s_and_saveexec_b64 s[8:9], s[6:7]
	s_xor_b64 s[6:7], exec, s[8:9]
	s_cbranch_execnz .LBB57_2593
; %bb.545:
	s_or_saveexec_b64 s[6:7], s[6:7]
	v_mov_b32_e32 v10, s10
	s_xor_b64 exec, exec, s[6:7]
	s_cbranch_execnz .LBB57_2596
.LBB57_546:
	s_or_b64 exec, exec, s[6:7]
	s_and_saveexec_b64 s[6:7], s[4:5]
	s_cbranch_execz .LBB57_548
.LBB57_547:
	v_and_b32_e32 v10, 7, v15
	v_ffbh_u32_e32 v20, v10
	v_min_u32_e32 v20, 32, v20
	v_lshrrev_b16_e32 v14, 3, v15
	v_subrev_u32_e32 v21, 28, v20
	v_and_b32_e32 v14, 15, v14
	v_lshlrev_b32_e32 v21, v21, v15
	v_sub_u32_e32 v20, 29, v20
	v_and_b32_e32 v21, 7, v21
	v_cmp_eq_u16_e32 vcc, 0, v14
	v_cndmask_b32_e32 v10, v10, v21, vcc
	v_cndmask_b32_e32 v14, v14, v20, vcc
	v_lshlrev_b32_e32 v20, 24, v15
	v_mov_b32_e32 v21, 0x3b800000
	v_lshlrev_b32_e32 v10, 20, v10
	v_and_b32_e32 v20, 0x80000000, v20
	v_lshl_add_u32 v14, v14, 23, v21
	v_or3_b32 v10, v20, v14, v10
.LBB57_548:
	s_or_b64 exec, exec, s[6:7]
	s_movk_i32 s4, 0x7f
	v_cmp_gt_i16_sdwa s[6:7], v11, s4 src0_sel:BYTE_0 src1_sel:DWORD
	s_mov_b64 s[4:5], 0
                                        ; implicit-def: $sgpr10
	s_and_saveexec_b64 s[8:9], s[6:7]
	s_xor_b64 s[6:7], exec, s[8:9]
	s_cbranch_execnz .LBB57_2597
; %bb.549:
	s_or_saveexec_b64 s[6:7], s[6:7]
	v_mov_b32_e32 v14, s10
	s_xor_b64 exec, exec, s[6:7]
	s_cbranch_execnz .LBB57_2600
.LBB57_550:
	s_or_b64 exec, exec, s[6:7]
	s_and_saveexec_b64 s[6:7], s[4:5]
	s_cbranch_execz .LBB57_552
.LBB57_551:
	v_and_b32_e32 v14, 7, v11
	v_ffbh_u32_e32 v21, v14
	v_min_u32_e32 v21, 32, v21
	v_lshrrev_b16_e32 v20, 3, v11
	v_subrev_u32_e32 v22, 28, v21
	v_and_b32_e32 v20, 15, v20
	v_lshlrev_b32_e32 v22, v22, v11
	v_sub_u32_e32 v21, 29, v21
	v_and_b32_e32 v22, 7, v22
	v_cmp_eq_u16_e32 vcc, 0, v20
	v_cndmask_b32_e32 v14, v14, v22, vcc
	v_cndmask_b32_e32 v20, v20, v21, vcc
	v_lshlrev_b32_e32 v21, 24, v11
	v_mov_b32_e32 v22, 0x3b800000
	v_lshlrev_b32_e32 v14, 20, v14
	v_and_b32_e32 v21, 0x80000000, v21
	v_lshl_add_u32 v20, v20, 23, v22
	v_or3_b32 v14, v21, v20, v14
.LBB57_552:
	s_or_b64 exec, exec, s[6:7]
	s_nop 0
	v_mfma_f32_16x16x4f32 a[0:3], v10, v14, a[0:3]
	v_lshrrev_b32_e32 v14, 8, v15
	s_movk_i32 s4, 0x7f
	v_cmp_gt_i16_sdwa s[6:7], v14, s4 src0_sel:BYTE_0 src1_sel:DWORD
	s_mov_b64 s[4:5], 0
                                        ; implicit-def: $sgpr10
	s_and_saveexec_b64 s[8:9], s[6:7]
	s_xor_b64 s[6:7], exec, s[8:9]
	s_cbranch_execnz .LBB57_2601
; %bb.553:
	s_or_saveexec_b64 s[6:7], s[6:7]
	v_mov_b32_e32 v10, s10
	s_xor_b64 exec, exec, s[6:7]
	s_cbranch_execnz .LBB57_2604
.LBB57_554:
	s_or_b64 exec, exec, s[6:7]
	s_and_saveexec_b64 s[6:7], s[4:5]
	s_cbranch_execz .LBB57_556
.LBB57_555:
	v_bfe_u32 v10, v15, 8, 3
	v_ffbh_u32_e32 v21, v10
	v_min_u32_e32 v21, 32, v21
	v_lshrrev_b16_e32 v20, 3, v14
	v_subrev_u32_e32 v22, 28, v21
	v_and_b32_e32 v20, 15, v20
	v_lshlrev_b32_e32 v14, v22, v14
	v_sub_u32_e32 v21, 29, v21
	v_and_b32_e32 v14, 7, v14
	v_cmp_eq_u16_e32 vcc, 0, v20
	v_cndmask_b32_e32 v10, v10, v14, vcc
	v_cndmask_b32_e32 v14, v20, v21, vcc
	v_lshlrev_b32_e32 v20, 16, v15
	v_mov_b32_e32 v21, 0x3b800000
	v_lshlrev_b32_e32 v10, 20, v10
	v_and_b32_e32 v20, 0x80000000, v20
	v_lshl_add_u32 v14, v14, 23, v21
	v_or3_b32 v10, v20, v14, v10
.LBB57_556:
	s_or_b64 exec, exec, s[6:7]
	v_lshrrev_b32_e32 v14, 8, v11
	s_movk_i32 s4, 0x7f
	v_cmp_gt_i16_sdwa s[6:7], v14, s4 src0_sel:BYTE_0 src1_sel:DWORD
	s_mov_b64 s[4:5], 0
                                        ; implicit-def: $sgpr10
	s_and_saveexec_b64 s[8:9], s[6:7]
	s_xor_b64 s[6:7], exec, s[8:9]
	s_cbranch_execnz .LBB57_2605
; %bb.557:
	s_or_saveexec_b64 s[6:7], s[6:7]
	v_mov_b32_e32 v20, s10
	s_xor_b64 exec, exec, s[6:7]
	s_cbranch_execnz .LBB57_2608
.LBB57_558:
	s_or_b64 exec, exec, s[6:7]
	s_and_saveexec_b64 s[6:7], s[4:5]
	s_cbranch_execz .LBB57_560
.LBB57_559:
	v_bfe_u32 v20, v11, 8, 3
	v_ffbh_u32_e32 v22, v20
	v_min_u32_e32 v22, 32, v22
	v_lshrrev_b16_e32 v21, 3, v14
	v_subrev_u32_e32 v23, 28, v22
	v_and_b32_e32 v21, 15, v21
	v_lshlrev_b32_e32 v14, v23, v14
	v_sub_u32_e32 v22, 29, v22
	v_and_b32_e32 v14, 7, v14
	v_cmp_eq_u16_e32 vcc, 0, v21
	v_cndmask_b32_e32 v14, v20, v14, vcc
	v_cndmask_b32_e32 v20, v21, v22, vcc
	v_lshlrev_b32_e32 v21, 16, v11
	v_mov_b32_e32 v22, 0x3b800000
	v_lshlrev_b32_e32 v14, 20, v14
	v_and_b32_e32 v21, 0x80000000, v21
	v_lshl_add_u32 v20, v20, 23, v22
	v_or3_b32 v20, v21, v20, v14
.LBB57_560:
	s_or_b64 exec, exec, s[6:7]
	s_nop 0
	v_mfma_f32_16x16x4f32 a[0:3], v10, v20, a[0:3]
	s_movk_i32 s4, 0xff
	v_and_b32_sdwa v14, v15, s4 dst_sel:DWORD dst_unused:UNUSED_PAD src0_sel:WORD_1 src1_sel:DWORD
	s_movk_i32 s4, 0x7f
	v_cmp_lt_i16_e32 vcc, s4, v14
	s_mov_b64 s[4:5], 0
                                        ; implicit-def: $sgpr10
	s_and_saveexec_b64 s[6:7], vcc
	s_xor_b64 s[6:7], exec, s[6:7]
	s_cbranch_execnz .LBB57_2609
; %bb.561:
	s_or_saveexec_b64 s[6:7], s[6:7]
	v_mov_b32_e32 v10, s10
	s_xor_b64 exec, exec, s[6:7]
	s_cbranch_execnz .LBB57_2612
.LBB57_562:
	s_or_b64 exec, exec, s[6:7]
	s_and_saveexec_b64 s[6:7], s[4:5]
	s_cbranch_execz .LBB57_564
.LBB57_563:
	v_bfe_u32 v10, v15, 16, 3
	v_ffbh_u32_e32 v21, v10
	v_min_u32_e32 v21, 32, v21
	v_lshrrev_b32_e32 v14, 19, v15
	v_subrev_u32_e32 v22, 28, v21
	v_and_b32_e32 v14, 15, v14
	v_lshlrev_b32_sdwa v22, v22, v15 dst_sel:DWORD dst_unused:UNUSED_PAD src0_sel:DWORD src1_sel:WORD_1
	v_bfe_u32 v20, v15, 19, 4
	v_sub_u32_e32 v21, 29, v21
	v_and_b32_e32 v22, 7, v22
	v_cmp_eq_u16_e32 vcc, 0, v14
	v_cndmask_b32_e32 v10, v10, v22, vcc
	v_cndmask_b32_e32 v14, v20, v21, vcc
	v_lshlrev_b32_e32 v20, 8, v15
	v_mov_b32_e32 v21, 0x3b800000
	v_lshlrev_b32_e32 v10, 20, v10
	v_and_b32_e32 v20, 0x80000000, v20
	v_lshl_add_u32 v14, v14, 23, v21
	v_or3_b32 v10, v20, v14, v10
.LBB57_564:
	s_or_b64 exec, exec, s[6:7]
	s_movk_i32 s4, 0xff
	v_and_b32_sdwa v14, v11, s4 dst_sel:DWORD dst_unused:UNUSED_PAD src0_sel:WORD_1 src1_sel:DWORD
	s_movk_i32 s4, 0x7f
	v_cmp_lt_i16_e32 vcc, s4, v14
	s_mov_b64 s[4:5], 0
                                        ; implicit-def: $sgpr10
	s_and_saveexec_b64 s[6:7], vcc
	s_xor_b64 s[6:7], exec, s[6:7]
	s_cbranch_execnz .LBB57_2613
; %bb.565:
	s_or_saveexec_b64 s[6:7], s[6:7]
	v_mov_b32_e32 v20, s10
	s_xor_b64 exec, exec, s[6:7]
	s_cbranch_execnz .LBB57_2616
.LBB57_566:
	s_or_b64 exec, exec, s[6:7]
	s_and_saveexec_b64 s[6:7], s[4:5]
	s_cbranch_execz .LBB57_568
.LBB57_567:
	v_bfe_u32 v14, v11, 16, 3
	v_ffbh_u32_e32 v22, v14
	v_min_u32_e32 v22, 32, v22
	v_lshrrev_b32_e32 v20, 19, v11
	v_subrev_u32_e32 v23, 28, v22
	v_and_b32_e32 v20, 15, v20
	v_lshlrev_b32_sdwa v23, v23, v11 dst_sel:DWORD dst_unused:UNUSED_PAD src0_sel:DWORD src1_sel:WORD_1
	v_bfe_u32 v21, v11, 19, 4
	v_sub_u32_e32 v22, 29, v22
	v_and_b32_e32 v23, 7, v23
	v_cmp_eq_u16_e32 vcc, 0, v20
	v_cndmask_b32_e32 v14, v14, v23, vcc
	v_cndmask_b32_e32 v20, v21, v22, vcc
	v_lshlrev_b32_e32 v21, 8, v11
	v_mov_b32_e32 v22, 0x3b800000
	v_lshlrev_b32_e32 v14, 20, v14
	v_and_b32_e32 v21, 0x80000000, v21
	v_lshl_add_u32 v20, v20, 23, v22
	v_or3_b32 v20, v21, v20, v14
.LBB57_568:
	s_or_b64 exec, exec, s[6:7]
	s_nop 0
	v_mfma_f32_16x16x4f32 a[0:3], v10, v20, a[0:3]
	s_movk_i32 s4, 0x7f
	v_cmp_gt_i16_sdwa s[6:7], v15, s4 src0_sel:BYTE_3 src1_sel:DWORD
	s_mov_b64 s[4:5], 0
                                        ; implicit-def: $sgpr10
	s_and_saveexec_b64 s[8:9], s[6:7]
	s_xor_b64 s[6:7], exec, s[8:9]
	s_cbranch_execnz .LBB57_2617
; %bb.569:
	s_or_saveexec_b64 s[6:7], s[6:7]
	v_mov_b32_e32 v10, s10
	s_xor_b64 exec, exec, s[6:7]
	s_cbranch_execnz .LBB57_2620
.LBB57_570:
	s_or_b64 exec, exec, s[6:7]
	s_and_saveexec_b64 s[6:7], s[4:5]
	s_cbranch_execz .LBB57_572
.LBB57_571:
	v_bfe_u32 v10, v15, 24, 3
	v_ffbh_u32_e32 v22, v10
	v_min_u32_e32 v22, 32, v22
	v_lshrrev_b32_e32 v20, 27, v15
	v_subrev_u32_e32 v23, 28, v22
	v_and_b32_e32 v14, 0x80000000, v15
	v_and_b32_e32 v20, 15, v20
	v_bfe_u32 v21, v15, 27, 4
	v_lshlrev_b32_sdwa v15, v23, v15 dst_sel:DWORD dst_unused:UNUSED_PAD src0_sel:DWORD src1_sel:BYTE_3
	v_sub_u32_e32 v22, 29, v22
	v_and_b32_e32 v15, 7, v15
	v_cmp_eq_u16_e32 vcc, 0, v20
	v_cndmask_b32_e32 v10, v10, v15, vcc
	v_cndmask_b32_e32 v15, v21, v22, vcc
	v_mov_b32_e32 v20, 0x3b800000
	v_lshlrev_b32_e32 v10, 20, v10
	v_lshl_add_u32 v15, v15, 23, v20
	v_or3_b32 v10, v14, v15, v10
.LBB57_572:
	s_or_b64 exec, exec, s[6:7]
	s_movk_i32 s4, 0x7f
	v_cmp_gt_i16_sdwa s[6:7], v11, s4 src0_sel:BYTE_3 src1_sel:DWORD
	s_mov_b64 s[4:5], 0
                                        ; implicit-def: $sgpr10
	s_and_saveexec_b64 s[8:9], s[6:7]
	s_xor_b64 s[6:7], exec, s[8:9]
	s_cbranch_execnz .LBB57_2621
; %bb.573:
	s_or_saveexec_b64 s[6:7], s[6:7]
	v_mov_b32_e32 v14, s10
	s_xor_b64 exec, exec, s[6:7]
	s_cbranch_execnz .LBB57_2624
.LBB57_574:
	s_or_b64 exec, exec, s[6:7]
	s_and_saveexec_b64 s[6:7], s[4:5]
	s_cbranch_execz .LBB57_576
.LBB57_575:
	v_bfe_u32 v14, v11, 24, 3
	v_ffbh_u32_e32 v22, v14
	v_min_u32_e32 v22, 32, v22
	v_lshrrev_b32_e32 v20, 27, v11
	v_subrev_u32_e32 v23, 28, v22
	v_and_b32_e32 v15, 0x80000000, v11
	v_and_b32_e32 v20, 15, v20
	v_bfe_u32 v21, v11, 27, 4
	v_lshlrev_b32_sdwa v11, v23, v11 dst_sel:DWORD dst_unused:UNUSED_PAD src0_sel:DWORD src1_sel:BYTE_3
	v_sub_u32_e32 v22, 29, v22
	v_and_b32_e32 v11, 7, v11
	v_cmp_eq_u16_e32 vcc, 0, v20
	v_cndmask_b32_e32 v11, v14, v11, vcc
	v_cndmask_b32_e32 v14, v21, v22, vcc
	v_mov_b32_e32 v20, 0x3b800000
	v_lshlrev_b32_e32 v11, 20, v11
	v_lshl_add_u32 v14, v14, 23, v20
	v_or3_b32 v14, v15, v14, v11
.LBB57_576:
	s_or_b64 exec, exec, s[6:7]
	s_nop 0
	v_mfma_f32_16x16x4f32 a[0:3], v10, v14, a[0:3]
	s_movk_i32 s4, 0x7f
	v_cmp_gt_i16_sdwa s[6:7], v16, s4 src0_sel:BYTE_0 src1_sel:DWORD
	s_mov_b64 s[4:5], 0
                                        ; implicit-def: $sgpr10
	s_and_saveexec_b64 s[8:9], s[6:7]
	s_xor_b64 s[6:7], exec, s[8:9]
	s_cbranch_execnz .LBB57_2625
; %bb.577:
	s_or_saveexec_b64 s[6:7], s[6:7]
	v_mov_b32_e32 v10, s10
	s_xor_b64 exec, exec, s[6:7]
	s_cbranch_execnz .LBB57_2628
.LBB57_578:
	s_or_b64 exec, exec, s[6:7]
	s_and_saveexec_b64 s[6:7], s[4:5]
	s_cbranch_execz .LBB57_580
.LBB57_579:
	v_and_b32_e32 v10, 7, v16
	v_ffbh_u32_e32 v14, v10
	v_min_u32_e32 v14, 32, v14
	v_lshrrev_b16_e32 v11, 3, v16
	v_subrev_u32_e32 v15, 28, v14
	v_and_b32_e32 v11, 15, v11
	v_lshlrev_b32_e32 v15, v15, v16
	v_sub_u32_e32 v14, 29, v14
	v_and_b32_e32 v15, 7, v15
	v_cmp_eq_u16_e32 vcc, 0, v11
	v_cndmask_b32_e32 v10, v10, v15, vcc
	v_cndmask_b32_e32 v11, v11, v14, vcc
	v_lshlrev_b32_e32 v14, 24, v16
	v_mov_b32_e32 v15, 0x3b800000
	v_lshlrev_b32_e32 v10, 20, v10
	v_and_b32_e32 v14, 0x80000000, v14
	v_lshl_add_u32 v11, v11, 23, v15
	v_or3_b32 v10, v14, v11, v10
.LBB57_580:
	s_or_b64 exec, exec, s[6:7]
	s_movk_i32 s4, 0x7f
	v_cmp_gt_i16_sdwa s[6:7], v12, s4 src0_sel:BYTE_0 src1_sel:DWORD
	s_mov_b64 s[4:5], 0
                                        ; implicit-def: $sgpr10
	s_and_saveexec_b64 s[8:9], s[6:7]
	s_xor_b64 s[6:7], exec, s[8:9]
	s_cbranch_execnz .LBB57_2629
; %bb.581:
	s_or_saveexec_b64 s[6:7], s[6:7]
	v_mov_b32_e32 v11, s10
	s_xor_b64 exec, exec, s[6:7]
	s_cbranch_execnz .LBB57_2632
.LBB57_582:
	s_or_b64 exec, exec, s[6:7]
	s_and_saveexec_b64 s[6:7], s[4:5]
	s_cbranch_execz .LBB57_584
.LBB57_583:
	v_and_b32_e32 v11, 7, v12
	v_ffbh_u32_e32 v15, v11
	v_min_u32_e32 v15, 32, v15
	v_lshrrev_b16_e32 v14, 3, v12
	v_subrev_u32_e32 v20, 28, v15
	v_and_b32_e32 v14, 15, v14
	v_lshlrev_b32_e32 v20, v20, v12
	v_sub_u32_e32 v15, 29, v15
	v_and_b32_e32 v20, 7, v20
	v_cmp_eq_u16_e32 vcc, 0, v14
	v_cndmask_b32_e32 v11, v11, v20, vcc
	v_cndmask_b32_e32 v14, v14, v15, vcc
	v_lshlrev_b32_e32 v15, 24, v12
	v_mov_b32_e32 v20, 0x3b800000
	v_lshlrev_b32_e32 v11, 20, v11
	v_and_b32_e32 v15, 0x80000000, v15
	v_lshl_add_u32 v14, v14, 23, v20
	v_or3_b32 v11, v15, v14, v11
.LBB57_584:
	s_or_b64 exec, exec, s[6:7]
	s_nop 0
	v_mfma_f32_16x16x4f32 a[0:3], v10, v11, a[0:3]
	v_lshrrev_b32_e32 v11, 8, v16
	s_movk_i32 s4, 0x7f
	v_cmp_gt_i16_sdwa s[6:7], v11, s4 src0_sel:BYTE_0 src1_sel:DWORD
	s_mov_b64 s[4:5], 0
                                        ; implicit-def: $sgpr10
	s_and_saveexec_b64 s[8:9], s[6:7]
	s_xor_b64 s[6:7], exec, s[8:9]
	s_cbranch_execnz .LBB57_2633
; %bb.585:
	s_or_saveexec_b64 s[6:7], s[6:7]
	v_mov_b32_e32 v10, s10
	s_xor_b64 exec, exec, s[6:7]
	s_cbranch_execnz .LBB57_2636
.LBB57_586:
	s_or_b64 exec, exec, s[6:7]
	s_and_saveexec_b64 s[6:7], s[4:5]
	s_cbranch_execz .LBB57_588
.LBB57_587:
	v_bfe_u32 v10, v16, 8, 3
	v_ffbh_u32_e32 v15, v10
	v_min_u32_e32 v15, 32, v15
	v_lshrrev_b16_e32 v14, 3, v11
	v_subrev_u32_e32 v20, 28, v15
	v_and_b32_e32 v14, 15, v14
	v_lshlrev_b32_e32 v11, v20, v11
	v_sub_u32_e32 v15, 29, v15
	v_and_b32_e32 v11, 7, v11
	v_cmp_eq_u16_e32 vcc, 0, v14
	v_cndmask_b32_e32 v10, v10, v11, vcc
	v_cndmask_b32_e32 v11, v14, v15, vcc
	v_lshlrev_b32_e32 v14, 16, v16
	v_mov_b32_e32 v15, 0x3b800000
	v_lshlrev_b32_e32 v10, 20, v10
	v_and_b32_e32 v14, 0x80000000, v14
	v_lshl_add_u32 v11, v11, 23, v15
	v_or3_b32 v10, v14, v11, v10
.LBB57_588:
	s_or_b64 exec, exec, s[6:7]
	v_lshrrev_b32_e32 v11, 8, v12
	s_movk_i32 s4, 0x7f
	v_cmp_gt_i16_sdwa s[6:7], v11, s4 src0_sel:BYTE_0 src1_sel:DWORD
	s_mov_b64 s[4:5], 0
                                        ; implicit-def: $sgpr10
	s_and_saveexec_b64 s[8:9], s[6:7]
	s_xor_b64 s[6:7], exec, s[8:9]
	s_cbranch_execnz .LBB57_2637
; %bb.589:
	s_or_saveexec_b64 s[6:7], s[6:7]
	v_mov_b32_e32 v14, s10
	s_xor_b64 exec, exec, s[6:7]
	s_cbranch_execnz .LBB57_2640
.LBB57_590:
	s_or_b64 exec, exec, s[6:7]
	s_and_saveexec_b64 s[6:7], s[4:5]
	s_cbranch_execz .LBB57_592
.LBB57_591:
	v_bfe_u32 v14, v12, 8, 3
	v_ffbh_u32_e32 v20, v14
	v_min_u32_e32 v20, 32, v20
	v_lshrrev_b16_e32 v15, 3, v11
	v_subrev_u32_e32 v21, 28, v20
	v_and_b32_e32 v15, 15, v15
	v_lshlrev_b32_e32 v11, v21, v11
	v_sub_u32_e32 v20, 29, v20
	v_and_b32_e32 v11, 7, v11
	v_cmp_eq_u16_e32 vcc, 0, v15
	v_cndmask_b32_e32 v11, v14, v11, vcc
	v_cndmask_b32_e32 v14, v15, v20, vcc
	v_lshlrev_b32_e32 v15, 16, v12
	v_mov_b32_e32 v20, 0x3b800000
	v_lshlrev_b32_e32 v11, 20, v11
	v_and_b32_e32 v15, 0x80000000, v15
	v_lshl_add_u32 v14, v14, 23, v20
	v_or3_b32 v14, v15, v14, v11
.LBB57_592:
	s_or_b64 exec, exec, s[6:7]
	s_nop 0
	v_mfma_f32_16x16x4f32 a[0:3], v10, v14, a[0:3]
	s_movk_i32 s4, 0xff
	v_and_b32_sdwa v11, v16, s4 dst_sel:DWORD dst_unused:UNUSED_PAD src0_sel:WORD_1 src1_sel:DWORD
	s_movk_i32 s4, 0x7f
	v_cmp_lt_i16_e32 vcc, s4, v11
	s_mov_b64 s[4:5], 0
                                        ; implicit-def: $sgpr10
	s_and_saveexec_b64 s[6:7], vcc
	s_xor_b64 s[6:7], exec, s[6:7]
	s_cbranch_execnz .LBB57_2641
; %bb.593:
	s_or_saveexec_b64 s[6:7], s[6:7]
	v_mov_b32_e32 v10, s10
	s_xor_b64 exec, exec, s[6:7]
	s_cbranch_execnz .LBB57_2644
.LBB57_594:
	s_or_b64 exec, exec, s[6:7]
	s_and_saveexec_b64 s[6:7], s[4:5]
	s_cbranch_execz .LBB57_596
.LBB57_595:
	v_bfe_u32 v10, v16, 16, 3
	v_ffbh_u32_e32 v15, v10
	v_min_u32_e32 v15, 32, v15
	v_lshrrev_b32_e32 v11, 19, v16
	v_subrev_u32_e32 v20, 28, v15
	v_and_b32_e32 v11, 15, v11
	v_lshlrev_b32_sdwa v20, v20, v16 dst_sel:DWORD dst_unused:UNUSED_PAD src0_sel:DWORD src1_sel:WORD_1
	v_bfe_u32 v14, v16, 19, 4
	v_sub_u32_e32 v15, 29, v15
	v_and_b32_e32 v20, 7, v20
	v_cmp_eq_u16_e32 vcc, 0, v11
	v_cndmask_b32_e32 v10, v10, v20, vcc
	v_cndmask_b32_e32 v11, v14, v15, vcc
	v_lshlrev_b32_e32 v14, 8, v16
	v_mov_b32_e32 v15, 0x3b800000
	v_lshlrev_b32_e32 v10, 20, v10
	v_and_b32_e32 v14, 0x80000000, v14
	v_lshl_add_u32 v11, v11, 23, v15
	v_or3_b32 v10, v14, v11, v10
.LBB57_596:
	s_or_b64 exec, exec, s[6:7]
	s_movk_i32 s4, 0xff
	v_and_b32_sdwa v11, v12, s4 dst_sel:DWORD dst_unused:UNUSED_PAD src0_sel:WORD_1 src1_sel:DWORD
	s_movk_i32 s4, 0x7f
	v_cmp_lt_i16_e32 vcc, s4, v11
	s_mov_b64 s[4:5], 0
                                        ; implicit-def: $sgpr10
	s_and_saveexec_b64 s[6:7], vcc
	s_xor_b64 s[6:7], exec, s[6:7]
	s_cbranch_execnz .LBB57_2645
; %bb.597:
	s_or_saveexec_b64 s[6:7], s[6:7]
	v_mov_b32_e32 v14, s10
	s_xor_b64 exec, exec, s[6:7]
	s_cbranch_execnz .LBB57_2648
.LBB57_598:
	s_or_b64 exec, exec, s[6:7]
	s_and_saveexec_b64 s[6:7], s[4:5]
	s_cbranch_execz .LBB57_600
.LBB57_599:
	v_bfe_u32 v11, v12, 16, 3
	v_ffbh_u32_e32 v20, v11
	v_min_u32_e32 v20, 32, v20
	v_lshrrev_b32_e32 v14, 19, v12
	v_subrev_u32_e32 v21, 28, v20
	v_and_b32_e32 v14, 15, v14
	v_lshlrev_b32_sdwa v21, v21, v12 dst_sel:DWORD dst_unused:UNUSED_PAD src0_sel:DWORD src1_sel:WORD_1
	v_bfe_u32 v15, v12, 19, 4
	v_sub_u32_e32 v20, 29, v20
	v_and_b32_e32 v21, 7, v21
	v_cmp_eq_u16_e32 vcc, 0, v14
	v_cndmask_b32_e32 v11, v11, v21, vcc
	v_cndmask_b32_e32 v14, v15, v20, vcc
	v_lshlrev_b32_e32 v15, 8, v12
	v_mov_b32_e32 v20, 0x3b800000
	v_lshlrev_b32_e32 v11, 20, v11
	v_and_b32_e32 v15, 0x80000000, v15
	v_lshl_add_u32 v14, v14, 23, v20
	v_or3_b32 v14, v15, v14, v11
.LBB57_600:
	s_or_b64 exec, exec, s[6:7]
	s_nop 0
	v_mfma_f32_16x16x4f32 a[0:3], v10, v14, a[0:3]
	s_movk_i32 s4, 0x7f
	v_cmp_gt_i16_sdwa s[6:7], v16, s4 src0_sel:BYTE_3 src1_sel:DWORD
	s_mov_b64 s[4:5], 0
                                        ; implicit-def: $sgpr10
	s_and_saveexec_b64 s[8:9], s[6:7]
	s_xor_b64 s[6:7], exec, s[8:9]
	s_cbranch_execnz .LBB57_2649
; %bb.601:
	s_or_saveexec_b64 s[6:7], s[6:7]
	v_mov_b32_e32 v10, s10
	s_xor_b64 exec, exec, s[6:7]
	s_cbranch_execnz .LBB57_2652
.LBB57_602:
	s_or_b64 exec, exec, s[6:7]
	s_and_saveexec_b64 s[6:7], s[4:5]
	s_cbranch_execz .LBB57_604
.LBB57_603:
	v_bfe_u32 v10, v16, 24, 3
	v_ffbh_u32_e32 v20, v10
	v_min_u32_e32 v20, 32, v20
	v_lshrrev_b32_e32 v14, 27, v16
	v_subrev_u32_e32 v21, 28, v20
	v_and_b32_e32 v11, 0x80000000, v16
	v_and_b32_e32 v14, 15, v14
	v_bfe_u32 v15, v16, 27, 4
	v_lshlrev_b32_sdwa v16, v21, v16 dst_sel:DWORD dst_unused:UNUSED_PAD src0_sel:DWORD src1_sel:BYTE_3
	v_sub_u32_e32 v20, 29, v20
	v_and_b32_e32 v16, 7, v16
	v_cmp_eq_u16_e32 vcc, 0, v14
	v_cndmask_b32_e32 v10, v10, v16, vcc
	v_cndmask_b32_e32 v14, v15, v20, vcc
	v_mov_b32_e32 v15, 0x3b800000
	v_lshlrev_b32_e32 v10, 20, v10
	v_lshl_add_u32 v14, v14, 23, v15
	v_or3_b32 v10, v11, v14, v10
.LBB57_604:
	s_or_b64 exec, exec, s[6:7]
	s_movk_i32 s4, 0x7f
	v_cmp_gt_i16_sdwa s[6:7], v12, s4 src0_sel:BYTE_3 src1_sel:DWORD
	s_mov_b64 s[4:5], 0
                                        ; implicit-def: $sgpr10
	s_and_saveexec_b64 s[8:9], s[6:7]
	s_xor_b64 s[6:7], exec, s[8:9]
	s_cbranch_execnz .LBB57_2653
; %bb.605:
	s_or_saveexec_b64 s[6:7], s[6:7]
	v_mov_b32_e32 v11, s10
	s_xor_b64 exec, exec, s[6:7]
	s_cbranch_execnz .LBB57_2656
.LBB57_606:
	s_or_b64 exec, exec, s[6:7]
	s_and_saveexec_b64 s[6:7], s[4:5]
	s_cbranch_execz .LBB57_608
.LBB57_607:
	v_bfe_u32 v11, v12, 24, 3
	v_ffbh_u32_e32 v20, v11
	v_min_u32_e32 v20, 32, v20
	v_lshrrev_b32_e32 v15, 27, v12
	v_subrev_u32_e32 v21, 28, v20
	v_and_b32_e32 v14, 0x80000000, v12
	v_and_b32_e32 v15, 15, v15
	v_bfe_u32 v16, v12, 27, 4
	v_lshlrev_b32_sdwa v12, v21, v12 dst_sel:DWORD dst_unused:UNUSED_PAD src0_sel:DWORD src1_sel:BYTE_3
	v_sub_u32_e32 v20, 29, v20
	v_and_b32_e32 v12, 7, v12
	v_cmp_eq_u16_e32 vcc, 0, v15
	v_cndmask_b32_e32 v11, v11, v12, vcc
	v_cndmask_b32_e32 v12, v16, v20, vcc
	v_mov_b32_e32 v15, 0x3b800000
	v_lshlrev_b32_e32 v11, 20, v11
	v_lshl_add_u32 v12, v12, 23, v15
	v_or3_b32 v11, v14, v12, v11
.LBB57_608:
	s_or_b64 exec, exec, s[6:7]
	s_nop 0
	v_mfma_f32_16x16x4f32 a[0:3], v10, v11, a[0:3]
	s_movk_i32 s4, 0x7f
	v_cmp_gt_i16_sdwa s[6:7], v17, s4 src0_sel:BYTE_0 src1_sel:DWORD
	s_mov_b64 s[4:5], 0
                                        ; implicit-def: $sgpr10
	s_and_saveexec_b64 s[8:9], s[6:7]
	s_xor_b64 s[6:7], exec, s[8:9]
	s_cbranch_execnz .LBB57_2657
; %bb.609:
	s_or_saveexec_b64 s[6:7], s[6:7]
	v_mov_b32_e32 v10, s10
	s_xor_b64 exec, exec, s[6:7]
	s_cbranch_execnz .LBB57_2660
.LBB57_610:
	s_or_b64 exec, exec, s[6:7]
	s_and_saveexec_b64 s[6:7], s[4:5]
	s_cbranch_execz .LBB57_612
.LBB57_611:
	v_and_b32_e32 v10, 7, v17
	v_ffbh_u32_e32 v12, v10
	v_min_u32_e32 v12, 32, v12
	v_lshrrev_b16_e32 v11, 3, v17
	v_subrev_u32_e32 v14, 28, v12
	v_and_b32_e32 v11, 15, v11
	v_lshlrev_b32_e32 v14, v14, v17
	v_sub_u32_e32 v12, 29, v12
	v_and_b32_e32 v14, 7, v14
	v_cmp_eq_u16_e32 vcc, 0, v11
	v_cndmask_b32_e32 v10, v10, v14, vcc
	v_cndmask_b32_e32 v11, v11, v12, vcc
	v_lshlrev_b32_e32 v12, 24, v17
	v_mov_b32_e32 v14, 0x3b800000
	v_lshlrev_b32_e32 v10, 20, v10
	v_and_b32_e32 v12, 0x80000000, v12
	v_lshl_add_u32 v11, v11, 23, v14
	v_or3_b32 v10, v12, v11, v10
.LBB57_612:
	s_or_b64 exec, exec, s[6:7]
	s_movk_i32 s4, 0x7f
	v_cmp_gt_i16_sdwa s[6:7], v13, s4 src0_sel:BYTE_0 src1_sel:DWORD
	s_mov_b64 s[4:5], 0
                                        ; implicit-def: $sgpr10
	s_and_saveexec_b64 s[8:9], s[6:7]
	s_xor_b64 s[6:7], exec, s[8:9]
	s_cbranch_execnz .LBB57_2661
; %bb.613:
	s_or_saveexec_b64 s[6:7], s[6:7]
	v_mov_b32_e32 v11, s10
	s_xor_b64 exec, exec, s[6:7]
	s_cbranch_execnz .LBB57_2664
.LBB57_614:
	s_or_b64 exec, exec, s[6:7]
	s_and_saveexec_b64 s[6:7], s[4:5]
	s_cbranch_execz .LBB57_616
.LBB57_615:
	v_and_b32_e32 v11, 7, v13
	v_ffbh_u32_e32 v14, v11
	v_min_u32_e32 v14, 32, v14
	v_lshrrev_b16_e32 v12, 3, v13
	v_subrev_u32_e32 v15, 28, v14
	v_and_b32_e32 v12, 15, v12
	v_lshlrev_b32_e32 v15, v15, v13
	v_sub_u32_e32 v14, 29, v14
	v_and_b32_e32 v15, 7, v15
	v_cmp_eq_u16_e32 vcc, 0, v12
	v_cndmask_b32_e32 v11, v11, v15, vcc
	v_cndmask_b32_e32 v12, v12, v14, vcc
	v_lshlrev_b32_e32 v14, 24, v13
	v_mov_b32_e32 v15, 0x3b800000
	v_lshlrev_b32_e32 v11, 20, v11
	v_and_b32_e32 v14, 0x80000000, v14
	v_lshl_add_u32 v12, v12, 23, v15
	v_or3_b32 v11, v14, v12, v11
.LBB57_616:
	s_or_b64 exec, exec, s[6:7]
	s_nop 0
	v_mfma_f32_16x16x4f32 a[0:3], v10, v11, a[0:3]
	v_lshrrev_b32_e32 v11, 8, v17
	s_movk_i32 s4, 0x7f
	v_cmp_gt_i16_sdwa s[6:7], v11, s4 src0_sel:BYTE_0 src1_sel:DWORD
	s_mov_b64 s[4:5], 0
                                        ; implicit-def: $sgpr10
	s_and_saveexec_b64 s[8:9], s[6:7]
	s_xor_b64 s[6:7], exec, s[8:9]
	s_cbranch_execnz .LBB57_2665
; %bb.617:
	s_or_saveexec_b64 s[6:7], s[6:7]
	v_mov_b32_e32 v10, s10
	s_xor_b64 exec, exec, s[6:7]
	s_cbranch_execnz .LBB57_2668
.LBB57_618:
	s_or_b64 exec, exec, s[6:7]
	s_and_saveexec_b64 s[6:7], s[4:5]
	s_cbranch_execz .LBB57_620
.LBB57_619:
	v_bfe_u32 v10, v17, 8, 3
	v_ffbh_u32_e32 v14, v10
	v_min_u32_e32 v14, 32, v14
	v_lshrrev_b16_e32 v12, 3, v11
	v_subrev_u32_e32 v15, 28, v14
	v_and_b32_e32 v12, 15, v12
	v_lshlrev_b32_e32 v11, v15, v11
	v_sub_u32_e32 v14, 29, v14
	v_and_b32_e32 v11, 7, v11
	v_cmp_eq_u16_e32 vcc, 0, v12
	v_cndmask_b32_e32 v10, v10, v11, vcc
	v_cndmask_b32_e32 v11, v12, v14, vcc
	v_lshlrev_b32_e32 v12, 16, v17
	v_mov_b32_e32 v14, 0x3b800000
	v_lshlrev_b32_e32 v10, 20, v10
	v_and_b32_e32 v12, 0x80000000, v12
	v_lshl_add_u32 v11, v11, 23, v14
	v_or3_b32 v10, v12, v11, v10
.LBB57_620:
	s_or_b64 exec, exec, s[6:7]
	v_lshrrev_b32_e32 v11, 8, v13
	s_movk_i32 s4, 0x7f
	v_cmp_gt_i16_sdwa s[6:7], v11, s4 src0_sel:BYTE_0 src1_sel:DWORD
	s_mov_b64 s[4:5], 0
                                        ; implicit-def: $sgpr10
	s_and_saveexec_b64 s[8:9], s[6:7]
	s_xor_b64 s[6:7], exec, s[8:9]
	s_cbranch_execnz .LBB57_2669
; %bb.621:
	s_or_saveexec_b64 s[6:7], s[6:7]
	v_mov_b32_e32 v12, s10
	s_xor_b64 exec, exec, s[6:7]
	s_cbranch_execnz .LBB57_2672
.LBB57_622:
	s_or_b64 exec, exec, s[6:7]
	s_and_saveexec_b64 s[6:7], s[4:5]
	s_cbranch_execz .LBB57_624
.LBB57_623:
	v_bfe_u32 v12, v13, 8, 3
	v_ffbh_u32_e32 v15, v12
	v_min_u32_e32 v15, 32, v15
	v_lshrrev_b16_e32 v14, 3, v11
	v_subrev_u32_e32 v16, 28, v15
	v_and_b32_e32 v14, 15, v14
	v_lshlrev_b32_e32 v11, v16, v11
	v_sub_u32_e32 v15, 29, v15
	v_and_b32_e32 v11, 7, v11
	v_cmp_eq_u16_e32 vcc, 0, v14
	v_cndmask_b32_e32 v11, v12, v11, vcc
	v_cndmask_b32_e32 v12, v14, v15, vcc
	v_lshlrev_b32_e32 v14, 16, v13
	v_mov_b32_e32 v15, 0x3b800000
	v_lshlrev_b32_e32 v11, 20, v11
	v_and_b32_e32 v14, 0x80000000, v14
	v_lshl_add_u32 v12, v12, 23, v15
	v_or3_b32 v12, v14, v12, v11
.LBB57_624:
	s_or_b64 exec, exec, s[6:7]
	s_nop 0
	v_mfma_f32_16x16x4f32 a[0:3], v10, v12, a[0:3]
	s_movk_i32 s4, 0xff
	v_and_b32_sdwa v11, v17, s4 dst_sel:DWORD dst_unused:UNUSED_PAD src0_sel:WORD_1 src1_sel:DWORD
	s_movk_i32 s4, 0x7f
	v_cmp_lt_i16_e32 vcc, s4, v11
	s_mov_b64 s[4:5], 0
                                        ; implicit-def: $sgpr10
	s_and_saveexec_b64 s[6:7], vcc
	s_xor_b64 s[6:7], exec, s[6:7]
	s_cbranch_execnz .LBB57_2673
; %bb.625:
	s_or_saveexec_b64 s[6:7], s[6:7]
	v_mov_b32_e32 v10, s10
	s_xor_b64 exec, exec, s[6:7]
	s_cbranch_execnz .LBB57_2676
.LBB57_626:
	s_or_b64 exec, exec, s[6:7]
	s_and_saveexec_b64 s[6:7], s[4:5]
	s_cbranch_execz .LBB57_628
.LBB57_627:
	v_bfe_u32 v10, v17, 16, 3
	v_ffbh_u32_e32 v14, v10
	v_min_u32_e32 v14, 32, v14
	v_lshrrev_b32_e32 v11, 19, v17
	v_subrev_u32_e32 v15, 28, v14
	v_and_b32_e32 v11, 15, v11
	v_lshlrev_b32_sdwa v15, v15, v17 dst_sel:DWORD dst_unused:UNUSED_PAD src0_sel:DWORD src1_sel:WORD_1
	v_bfe_u32 v12, v17, 19, 4
	v_sub_u32_e32 v14, 29, v14
	v_and_b32_e32 v15, 7, v15
	v_cmp_eq_u16_e32 vcc, 0, v11
	v_cndmask_b32_e32 v10, v10, v15, vcc
	v_cndmask_b32_e32 v11, v12, v14, vcc
	v_lshlrev_b32_e32 v12, 8, v17
	v_mov_b32_e32 v14, 0x3b800000
	v_lshlrev_b32_e32 v10, 20, v10
	v_and_b32_e32 v12, 0x80000000, v12
	v_lshl_add_u32 v11, v11, 23, v14
	v_or3_b32 v10, v12, v11, v10
.LBB57_628:
	s_or_b64 exec, exec, s[6:7]
	s_movk_i32 s4, 0xff
	v_and_b32_sdwa v11, v13, s4 dst_sel:DWORD dst_unused:UNUSED_PAD src0_sel:WORD_1 src1_sel:DWORD
	s_movk_i32 s4, 0x7f
	v_cmp_lt_i16_e32 vcc, s4, v11
	s_mov_b64 s[4:5], 0
                                        ; implicit-def: $sgpr10
	s_and_saveexec_b64 s[6:7], vcc
	s_xor_b64 s[6:7], exec, s[6:7]
	s_cbranch_execnz .LBB57_2677
; %bb.629:
	s_or_saveexec_b64 s[6:7], s[6:7]
	v_mov_b32_e32 v12, s10
	s_xor_b64 exec, exec, s[6:7]
	s_cbranch_execnz .LBB57_2680
.LBB57_630:
	s_or_b64 exec, exec, s[6:7]
	s_and_saveexec_b64 s[6:7], s[4:5]
	s_cbranch_execz .LBB57_632
.LBB57_631:
	v_bfe_u32 v11, v13, 16, 3
	v_ffbh_u32_e32 v15, v11
	v_min_u32_e32 v15, 32, v15
	v_lshrrev_b32_e32 v12, 19, v13
	v_subrev_u32_e32 v16, 28, v15
	v_and_b32_e32 v12, 15, v12
	v_lshlrev_b32_sdwa v16, v16, v13 dst_sel:DWORD dst_unused:UNUSED_PAD src0_sel:DWORD src1_sel:WORD_1
	v_bfe_u32 v14, v13, 19, 4
	v_sub_u32_e32 v15, 29, v15
	v_and_b32_e32 v16, 7, v16
	v_cmp_eq_u16_e32 vcc, 0, v12
	v_cndmask_b32_e32 v11, v11, v16, vcc
	v_cndmask_b32_e32 v12, v14, v15, vcc
	v_lshlrev_b32_e32 v14, 8, v13
	v_mov_b32_e32 v15, 0x3b800000
	v_lshlrev_b32_e32 v11, 20, v11
	v_and_b32_e32 v14, 0x80000000, v14
	v_lshl_add_u32 v12, v12, 23, v15
	v_or3_b32 v12, v14, v12, v11
.LBB57_632:
	s_or_b64 exec, exec, s[6:7]
	s_nop 0
	v_mfma_f32_16x16x4f32 a[0:3], v10, v12, a[0:3]
	s_movk_i32 s4, 0x7f
	v_cmp_gt_i16_sdwa s[6:7], v17, s4 src0_sel:BYTE_3 src1_sel:DWORD
	s_mov_b64 s[4:5], 0
                                        ; implicit-def: $sgpr10
	s_and_saveexec_b64 s[8:9], s[6:7]
	s_xor_b64 s[6:7], exec, s[8:9]
	s_cbranch_execnz .LBB57_2681
; %bb.633:
	s_or_saveexec_b64 s[6:7], s[6:7]
	v_mov_b32_e32 v10, s10
	s_xor_b64 exec, exec, s[6:7]
	s_cbranch_execnz .LBB57_2684
.LBB57_634:
	s_or_b64 exec, exec, s[6:7]
	s_and_saveexec_b64 s[6:7], s[4:5]
	s_cbranch_execz .LBB57_636
.LBB57_635:
	v_bfe_u32 v10, v17, 24, 3
	v_ffbh_u32_e32 v15, v10
	v_min_u32_e32 v15, 32, v15
	v_lshrrev_b32_e32 v12, 27, v17
	v_subrev_u32_e32 v16, 28, v15
	v_and_b32_e32 v12, 15, v12
	v_lshlrev_b32_sdwa v16, v16, v17 dst_sel:DWORD dst_unused:UNUSED_PAD src0_sel:DWORD src1_sel:BYTE_3
	v_bfe_u32 v14, v17, 27, 4
	v_sub_u32_e32 v15, 29, v15
	v_and_b32_e32 v16, 7, v16
	v_cmp_eq_u16_e32 vcc, 0, v12
	v_cndmask_b32_e32 v10, v10, v16, vcc
	v_cndmask_b32_e32 v12, v14, v15, vcc
	v_mov_b32_e32 v14, 0x3b800000
	v_and_b32_e32 v11, 0x80000000, v17
	v_lshlrev_b32_e32 v10, 20, v10
	v_lshl_add_u32 v12, v12, 23, v14
	v_or3_b32 v10, v11, v12, v10
.LBB57_636:
	s_or_b64 exec, exec, s[6:7]
	s_movk_i32 s4, 0x7f
	v_cmp_gt_i16_sdwa s[6:7], v13, s4 src0_sel:BYTE_3 src1_sel:DWORD
	s_mov_b64 s[4:5], 0
                                        ; implicit-def: $sgpr10
	s_and_saveexec_b64 s[8:9], s[6:7]
	s_xor_b64 s[6:7], exec, s[8:9]
	s_cbranch_execnz .LBB57_2685
; %bb.637:
	s_or_saveexec_b64 s[6:7], s[6:7]
	v_mov_b32_e32 v11, s10
	s_xor_b64 exec, exec, s[6:7]
	s_cbranch_execnz .LBB57_2688
.LBB57_638:
	s_or_b64 exec, exec, s[6:7]
	s_and_saveexec_b64 s[6:7], s[4:5]
	s_cbranch_execz .LBB57_640
.LBB57_639:
	v_bfe_u32 v11, v13, 24, 3
	v_ffbh_u32_e32 v16, v11
	v_min_u32_e32 v16, 32, v16
	v_lshrrev_b32_e32 v14, 27, v13
	v_subrev_u32_e32 v17, 28, v16
	v_and_b32_e32 v12, 0x80000000, v13
	v_and_b32_e32 v14, 15, v14
	v_bfe_u32 v15, v13, 27, 4
	v_lshlrev_b32_sdwa v13, v17, v13 dst_sel:DWORD dst_unused:UNUSED_PAD src0_sel:DWORD src1_sel:BYTE_3
	v_sub_u32_e32 v16, 29, v16
	v_and_b32_e32 v13, 7, v13
	v_cmp_eq_u16_e32 vcc, 0, v14
	v_cndmask_b32_e32 v11, v11, v13, vcc
	v_cndmask_b32_e32 v13, v15, v16, vcc
	v_mov_b32_e32 v14, 0x3b800000
	v_lshlrev_b32_e32 v11, 20, v11
	v_lshl_add_u32 v13, v13, 23, v14
	v_or3_b32 v11, v12, v13, v11
.LBB57_640:
	s_or_b64 exec, exec, s[6:7]
	s_nop 0
	v_mfma_f32_16x16x4f32 a[0:3], v10, v11, a[0:3]
	s_movk_i32 s4, 0x7f
	v_cmp_gt_i16_sdwa s[6:7], v6, s4 src0_sel:BYTE_0 src1_sel:DWORD
	s_mov_b64 s[4:5], 0
                                        ; implicit-def: $sgpr10
	s_and_saveexec_b64 s[8:9], s[6:7]
	s_xor_b64 s[6:7], exec, s[8:9]
	s_cbranch_execnz .LBB57_2689
; %bb.641:
	s_or_saveexec_b64 s[6:7], s[6:7]
	v_mov_b32_e32 v10, s10
	s_xor_b64 exec, exec, s[6:7]
	s_cbranch_execnz .LBB57_2692
.LBB57_642:
	s_or_b64 exec, exec, s[6:7]
	s_and_saveexec_b64 s[6:7], s[4:5]
	s_cbranch_execz .LBB57_644
.LBB57_643:
	v_and_b32_e32 v10, 7, v6
	v_ffbh_u32_e32 v12, v10
	v_min_u32_e32 v12, 32, v12
	v_lshrrev_b16_e32 v11, 3, v6
	v_subrev_u32_e32 v13, 28, v12
	v_and_b32_e32 v11, 15, v11
	v_lshlrev_b32_e32 v13, v13, v6
	v_sub_u32_e32 v12, 29, v12
	v_and_b32_e32 v13, 7, v13
	v_cmp_eq_u16_e32 vcc, 0, v11
	v_cndmask_b32_e32 v10, v10, v13, vcc
	v_cndmask_b32_e32 v11, v11, v12, vcc
	v_lshlrev_b32_e32 v12, 24, v6
	v_mov_b32_e32 v13, 0x3b800000
	v_lshlrev_b32_e32 v10, 20, v10
	v_and_b32_e32 v12, 0x80000000, v12
	v_lshl_add_u32 v11, v11, 23, v13
	v_or3_b32 v10, v12, v11, v10
.LBB57_644:
	s_or_b64 exec, exec, s[6:7]
	s_movk_i32 s4, 0x7f
	v_cmp_gt_i16_sdwa s[6:7], v2, s4 src0_sel:BYTE_0 src1_sel:DWORD
	s_mov_b64 s[4:5], 0
                                        ; implicit-def: $sgpr10
	s_and_saveexec_b64 s[8:9], s[6:7]
	s_xor_b64 s[6:7], exec, s[8:9]
	s_cbranch_execnz .LBB57_2693
; %bb.645:
	s_or_saveexec_b64 s[6:7], s[6:7]
	v_mov_b32_e32 v11, s10
	s_xor_b64 exec, exec, s[6:7]
	s_cbranch_execnz .LBB57_2696
.LBB57_646:
	s_or_b64 exec, exec, s[6:7]
	s_and_saveexec_b64 s[6:7], s[4:5]
	s_cbranch_execz .LBB57_648
.LBB57_647:
	v_and_b32_e32 v11, 7, v2
	v_ffbh_u32_e32 v13, v11
	v_min_u32_e32 v13, 32, v13
	v_lshrrev_b16_e32 v12, 3, v2
	v_subrev_u32_e32 v14, 28, v13
	v_and_b32_e32 v12, 15, v12
	v_lshlrev_b32_e32 v14, v14, v2
	v_sub_u32_e32 v13, 29, v13
	v_and_b32_e32 v14, 7, v14
	v_cmp_eq_u16_e32 vcc, 0, v12
	v_cndmask_b32_e32 v11, v11, v14, vcc
	v_cndmask_b32_e32 v12, v12, v13, vcc
	v_lshlrev_b32_e32 v13, 24, v2
	v_mov_b32_e32 v14, 0x3b800000
	v_lshlrev_b32_e32 v11, 20, v11
	v_and_b32_e32 v13, 0x80000000, v13
	v_lshl_add_u32 v12, v12, 23, v14
	v_or3_b32 v11, v13, v12, v11
.LBB57_648:
	s_or_b64 exec, exec, s[6:7]
	s_nop 0
	v_mfma_f32_16x16x4f32 a[0:3], v10, v11, a[0:3]
	v_lshrrev_b32_e32 v11, 8, v6
	s_movk_i32 s4, 0x7f
	v_cmp_gt_i16_sdwa s[6:7], v11, s4 src0_sel:BYTE_0 src1_sel:DWORD
	s_mov_b64 s[4:5], 0
                                        ; implicit-def: $sgpr10
	s_and_saveexec_b64 s[8:9], s[6:7]
	s_xor_b64 s[6:7], exec, s[8:9]
	s_cbranch_execnz .LBB57_2697
; %bb.649:
	s_or_saveexec_b64 s[6:7], s[6:7]
	v_mov_b32_e32 v10, s10
	s_xor_b64 exec, exec, s[6:7]
	s_cbranch_execnz .LBB57_2700
.LBB57_650:
	s_or_b64 exec, exec, s[6:7]
	s_and_saveexec_b64 s[6:7], s[4:5]
	s_cbranch_execz .LBB57_652
.LBB57_651:
	v_bfe_u32 v10, v6, 8, 3
	v_ffbh_u32_e32 v13, v10
	v_min_u32_e32 v13, 32, v13
	v_lshrrev_b16_e32 v12, 3, v11
	v_subrev_u32_e32 v14, 28, v13
	v_and_b32_e32 v12, 15, v12
	v_lshlrev_b32_e32 v11, v14, v11
	v_sub_u32_e32 v13, 29, v13
	v_and_b32_e32 v11, 7, v11
	v_cmp_eq_u16_e32 vcc, 0, v12
	v_cndmask_b32_e32 v10, v10, v11, vcc
	v_cndmask_b32_e32 v11, v12, v13, vcc
	v_lshlrev_b32_e32 v12, 16, v6
	v_mov_b32_e32 v13, 0x3b800000
	v_lshlrev_b32_e32 v10, 20, v10
	v_and_b32_e32 v12, 0x80000000, v12
	v_lshl_add_u32 v11, v11, 23, v13
	v_or3_b32 v10, v12, v11, v10
.LBB57_652:
	s_or_b64 exec, exec, s[6:7]
	v_lshrrev_b32_e32 v11, 8, v2
	s_movk_i32 s4, 0x7f
	v_cmp_gt_i16_sdwa s[6:7], v11, s4 src0_sel:BYTE_0 src1_sel:DWORD
	s_mov_b64 s[4:5], 0
                                        ; implicit-def: $sgpr10
	s_and_saveexec_b64 s[8:9], s[6:7]
	s_xor_b64 s[6:7], exec, s[8:9]
	s_cbranch_execnz .LBB57_2701
; %bb.653:
	s_or_saveexec_b64 s[6:7], s[6:7]
	v_mov_b32_e32 v12, s10
	s_xor_b64 exec, exec, s[6:7]
	s_cbranch_execnz .LBB57_2704
.LBB57_654:
	s_or_b64 exec, exec, s[6:7]
	s_and_saveexec_b64 s[6:7], s[4:5]
	s_cbranch_execz .LBB57_656
.LBB57_655:
	v_bfe_u32 v12, v2, 8, 3
	v_ffbh_u32_e32 v14, v12
	v_min_u32_e32 v14, 32, v14
	v_lshrrev_b16_e32 v13, 3, v11
	v_subrev_u32_e32 v15, 28, v14
	v_and_b32_e32 v13, 15, v13
	v_lshlrev_b32_e32 v11, v15, v11
	v_sub_u32_e32 v14, 29, v14
	v_and_b32_e32 v11, 7, v11
	v_cmp_eq_u16_e32 vcc, 0, v13
	v_cndmask_b32_e32 v11, v12, v11, vcc
	v_cndmask_b32_e32 v12, v13, v14, vcc
	v_lshlrev_b32_e32 v13, 16, v2
	v_mov_b32_e32 v14, 0x3b800000
	v_lshlrev_b32_e32 v11, 20, v11
	v_and_b32_e32 v13, 0x80000000, v13
	v_lshl_add_u32 v12, v12, 23, v14
	v_or3_b32 v12, v13, v12, v11
.LBB57_656:
	s_or_b64 exec, exec, s[6:7]
	s_nop 0
	v_mfma_f32_16x16x4f32 a[0:3], v10, v12, a[0:3]
	s_movk_i32 s4, 0xff
	v_and_b32_sdwa v11, v6, s4 dst_sel:DWORD dst_unused:UNUSED_PAD src0_sel:WORD_1 src1_sel:DWORD
	s_movk_i32 s4, 0x7f
	v_cmp_lt_i16_e32 vcc, s4, v11
	s_mov_b64 s[4:5], 0
                                        ; implicit-def: $sgpr10
	s_and_saveexec_b64 s[6:7], vcc
	s_xor_b64 s[6:7], exec, s[6:7]
	s_cbranch_execnz .LBB57_2705
; %bb.657:
	s_or_saveexec_b64 s[6:7], s[6:7]
	v_mov_b32_e32 v10, s10
	s_xor_b64 exec, exec, s[6:7]
	s_cbranch_execnz .LBB57_2708
.LBB57_658:
	s_or_b64 exec, exec, s[6:7]
	s_and_saveexec_b64 s[6:7], s[4:5]
	s_cbranch_execz .LBB57_660
.LBB57_659:
	v_bfe_u32 v10, v6, 16, 3
	v_ffbh_u32_e32 v13, v10
	v_min_u32_e32 v13, 32, v13
	v_lshrrev_b32_e32 v11, 19, v6
	v_subrev_u32_e32 v14, 28, v13
	v_and_b32_e32 v11, 15, v11
	v_lshlrev_b32_sdwa v14, v14, v6 dst_sel:DWORD dst_unused:UNUSED_PAD src0_sel:DWORD src1_sel:WORD_1
	v_bfe_u32 v12, v6, 19, 4
	v_sub_u32_e32 v13, 29, v13
	v_and_b32_e32 v14, 7, v14
	v_cmp_eq_u16_e32 vcc, 0, v11
	v_cndmask_b32_e32 v10, v10, v14, vcc
	v_cndmask_b32_e32 v11, v12, v13, vcc
	v_lshlrev_b32_e32 v12, 8, v6
	v_mov_b32_e32 v13, 0x3b800000
	v_lshlrev_b32_e32 v10, 20, v10
	v_and_b32_e32 v12, 0x80000000, v12
	v_lshl_add_u32 v11, v11, 23, v13
	v_or3_b32 v10, v12, v11, v10
.LBB57_660:
	s_or_b64 exec, exec, s[6:7]
	s_movk_i32 s4, 0xff
	v_and_b32_sdwa v11, v2, s4 dst_sel:DWORD dst_unused:UNUSED_PAD src0_sel:WORD_1 src1_sel:DWORD
	s_movk_i32 s4, 0x7f
	v_cmp_lt_i16_e32 vcc, s4, v11
	s_mov_b64 s[4:5], 0
                                        ; implicit-def: $sgpr10
	s_and_saveexec_b64 s[6:7], vcc
	s_xor_b64 s[6:7], exec, s[6:7]
	s_cbranch_execnz .LBB57_2709
; %bb.661:
	s_or_saveexec_b64 s[6:7], s[6:7]
	v_mov_b32_e32 v12, s10
	s_xor_b64 exec, exec, s[6:7]
	s_cbranch_execnz .LBB57_2712
.LBB57_662:
	s_or_b64 exec, exec, s[6:7]
	s_and_saveexec_b64 s[6:7], s[4:5]
	s_cbranch_execz .LBB57_664
.LBB57_663:
	v_bfe_u32 v11, v2, 16, 3
	v_ffbh_u32_e32 v14, v11
	v_min_u32_e32 v14, 32, v14
	v_lshrrev_b32_e32 v12, 19, v2
	v_subrev_u32_e32 v15, 28, v14
	v_and_b32_e32 v12, 15, v12
	v_lshlrev_b32_sdwa v15, v15, v2 dst_sel:DWORD dst_unused:UNUSED_PAD src0_sel:DWORD src1_sel:WORD_1
	v_bfe_u32 v13, v2, 19, 4
	v_sub_u32_e32 v14, 29, v14
	v_and_b32_e32 v15, 7, v15
	v_cmp_eq_u16_e32 vcc, 0, v12
	v_cndmask_b32_e32 v11, v11, v15, vcc
	v_cndmask_b32_e32 v12, v13, v14, vcc
	v_lshlrev_b32_e32 v13, 8, v2
	v_mov_b32_e32 v14, 0x3b800000
	v_lshlrev_b32_e32 v11, 20, v11
	v_and_b32_e32 v13, 0x80000000, v13
	v_lshl_add_u32 v12, v12, 23, v14
	v_or3_b32 v12, v13, v12, v11
.LBB57_664:
	s_or_b64 exec, exec, s[6:7]
	s_nop 0
	v_mfma_f32_16x16x4f32 a[0:3], v10, v12, a[0:3]
	s_movk_i32 s4, 0x7f
	v_cmp_gt_i16_sdwa s[6:7], v6, s4 src0_sel:BYTE_3 src1_sel:DWORD
	s_mov_b64 s[4:5], 0
                                        ; implicit-def: $sgpr10
	s_and_saveexec_b64 s[8:9], s[6:7]
	s_xor_b64 s[6:7], exec, s[8:9]
	s_cbranch_execnz .LBB57_2713
; %bb.665:
	s_or_saveexec_b64 s[6:7], s[6:7]
	v_mov_b32_e32 v10, s10
	s_xor_b64 exec, exec, s[6:7]
	s_cbranch_execnz .LBB57_2716
.LBB57_666:
	s_or_b64 exec, exec, s[6:7]
	s_and_saveexec_b64 s[6:7], s[4:5]
	s_cbranch_execz .LBB57_668
.LBB57_667:
	v_bfe_u32 v10, v6, 24, 3
	v_ffbh_u32_e32 v14, v10
	v_min_u32_e32 v14, 32, v14
	v_lshrrev_b32_e32 v12, 27, v6
	v_subrev_u32_e32 v15, 28, v14
	v_and_b32_e32 v11, 0x80000000, v6
	v_and_b32_e32 v12, 15, v12
	v_bfe_u32 v13, v6, 27, 4
	v_lshlrev_b32_sdwa v6, v15, v6 dst_sel:DWORD dst_unused:UNUSED_PAD src0_sel:DWORD src1_sel:BYTE_3
	v_sub_u32_e32 v14, 29, v14
	v_and_b32_e32 v6, 7, v6
	v_cmp_eq_u16_e32 vcc, 0, v12
	v_cndmask_b32_e32 v6, v10, v6, vcc
	v_cndmask_b32_e32 v10, v13, v14, vcc
	v_mov_b32_e32 v12, 0x3b800000
	v_lshlrev_b32_e32 v6, 20, v6
	v_lshl_add_u32 v10, v10, 23, v12
	v_or3_b32 v10, v11, v10, v6
.LBB57_668:
	s_or_b64 exec, exec, s[6:7]
	s_movk_i32 s4, 0x7f
	v_cmp_gt_i16_sdwa s[6:7], v2, s4 src0_sel:BYTE_3 src1_sel:DWORD
	s_mov_b64 s[4:5], 0
                                        ; implicit-def: $sgpr10
	s_and_saveexec_b64 s[8:9], s[6:7]
	s_xor_b64 s[6:7], exec, s[8:9]
	s_cbranch_execnz .LBB57_2717
; %bb.669:
	s_or_saveexec_b64 s[6:7], s[6:7]
	v_mov_b32_e32 v6, s10
	s_xor_b64 exec, exec, s[6:7]
	s_cbranch_execnz .LBB57_2720
.LBB57_670:
	s_or_b64 exec, exec, s[6:7]
	s_and_saveexec_b64 s[6:7], s[4:5]
	s_cbranch_execz .LBB57_672
.LBB57_671:
	v_bfe_u32 v6, v2, 24, 3
	v_ffbh_u32_e32 v14, v6
	v_min_u32_e32 v14, 32, v14
	v_lshrrev_b32_e32 v12, 27, v2
	v_subrev_u32_e32 v15, 28, v14
	v_and_b32_e32 v11, 0x80000000, v2
	v_and_b32_e32 v12, 15, v12
	v_bfe_u32 v13, v2, 27, 4
	v_lshlrev_b32_sdwa v2, v15, v2 dst_sel:DWORD dst_unused:UNUSED_PAD src0_sel:DWORD src1_sel:BYTE_3
	v_sub_u32_e32 v14, 29, v14
	v_and_b32_e32 v2, 7, v2
	v_cmp_eq_u16_e32 vcc, 0, v12
	v_cndmask_b32_e32 v2, v6, v2, vcc
	v_cndmask_b32_e32 v6, v13, v14, vcc
	v_mov_b32_e32 v12, 0x3b800000
	v_lshlrev_b32_e32 v2, 20, v2
	v_lshl_add_u32 v6, v6, 23, v12
	v_or3_b32 v6, v11, v6, v2
.LBB57_672:
	s_or_b64 exec, exec, s[6:7]
	s_nop 0
	v_mfma_f32_16x16x4f32 a[0:3], v10, v6, a[0:3]
	s_movk_i32 s4, 0x7f
	v_cmp_gt_i16_sdwa s[6:7], v7, s4 src0_sel:BYTE_0 src1_sel:DWORD
	s_mov_b64 s[4:5], 0
                                        ; implicit-def: $sgpr10
	s_and_saveexec_b64 s[8:9], s[6:7]
	s_xor_b64 s[6:7], exec, s[8:9]
	s_cbranch_execnz .LBB57_2721
; %bb.673:
	s_or_saveexec_b64 s[6:7], s[6:7]
	v_mov_b32_e32 v2, s10
	s_xor_b64 exec, exec, s[6:7]
	s_cbranch_execnz .LBB57_2724
.LBB57_674:
	s_or_b64 exec, exec, s[6:7]
	s_and_saveexec_b64 s[6:7], s[4:5]
	s_cbranch_execz .LBB57_676
.LBB57_675:
	v_and_b32_e32 v2, 7, v7
	v_ffbh_u32_e32 v10, v2
	v_min_u32_e32 v10, 32, v10
	v_lshrrev_b16_e32 v6, 3, v7
	v_subrev_u32_e32 v11, 28, v10
	v_and_b32_e32 v6, 15, v6
	v_lshlrev_b32_e32 v11, v11, v7
	v_sub_u32_e32 v10, 29, v10
	v_and_b32_e32 v11, 7, v11
	v_cmp_eq_u16_e32 vcc, 0, v6
	v_cndmask_b32_e32 v2, v2, v11, vcc
	v_cndmask_b32_e32 v6, v6, v10, vcc
	v_lshlrev_b32_e32 v10, 24, v7
	v_mov_b32_e32 v11, 0x3b800000
	v_lshlrev_b32_e32 v2, 20, v2
	v_and_b32_e32 v10, 0x80000000, v10
	v_lshl_add_u32 v6, v6, 23, v11
	v_or3_b32 v2, v10, v6, v2
.LBB57_676:
	s_or_b64 exec, exec, s[6:7]
	s_movk_i32 s4, 0x7f
	v_cmp_gt_i16_sdwa s[6:7], v3, s4 src0_sel:BYTE_0 src1_sel:DWORD
	s_mov_b64 s[4:5], 0
                                        ; implicit-def: $sgpr10
	s_and_saveexec_b64 s[8:9], s[6:7]
	s_xor_b64 s[6:7], exec, s[8:9]
	s_cbranch_execnz .LBB57_2725
; %bb.677:
	s_or_saveexec_b64 s[6:7], s[6:7]
	v_mov_b32_e32 v6, s10
	s_xor_b64 exec, exec, s[6:7]
	s_cbranch_execnz .LBB57_2728
.LBB57_678:
	s_or_b64 exec, exec, s[6:7]
	s_and_saveexec_b64 s[6:7], s[4:5]
	s_cbranch_execz .LBB57_680
.LBB57_679:
	v_and_b32_e32 v6, 7, v3
	v_ffbh_u32_e32 v11, v6
	v_min_u32_e32 v11, 32, v11
	v_lshrrev_b16_e32 v10, 3, v3
	v_subrev_u32_e32 v12, 28, v11
	v_and_b32_e32 v10, 15, v10
	v_lshlrev_b32_e32 v12, v12, v3
	v_sub_u32_e32 v11, 29, v11
	v_and_b32_e32 v12, 7, v12
	v_cmp_eq_u16_e32 vcc, 0, v10
	v_cndmask_b32_e32 v6, v6, v12, vcc
	v_cndmask_b32_e32 v10, v10, v11, vcc
	v_lshlrev_b32_e32 v11, 24, v3
	v_mov_b32_e32 v12, 0x3b800000
	v_lshlrev_b32_e32 v6, 20, v6
	v_and_b32_e32 v11, 0x80000000, v11
	v_lshl_add_u32 v10, v10, 23, v12
	v_or3_b32 v6, v11, v10, v6
.LBB57_680:
	s_or_b64 exec, exec, s[6:7]
	s_nop 0
	v_mfma_f32_16x16x4f32 a[0:3], v2, v6, a[0:3]
	v_lshrrev_b32_e32 v6, 8, v7
	s_movk_i32 s4, 0x7f
	v_cmp_gt_i16_sdwa s[6:7], v6, s4 src0_sel:BYTE_0 src1_sel:DWORD
	s_mov_b64 s[4:5], 0
                                        ; implicit-def: $sgpr10
	s_and_saveexec_b64 s[8:9], s[6:7]
	s_xor_b64 s[6:7], exec, s[8:9]
	s_cbranch_execnz .LBB57_2729
; %bb.681:
	s_or_saveexec_b64 s[6:7], s[6:7]
	v_mov_b32_e32 v2, s10
	s_xor_b64 exec, exec, s[6:7]
	s_cbranch_execnz .LBB57_2732
.LBB57_682:
	s_or_b64 exec, exec, s[6:7]
	s_and_saveexec_b64 s[6:7], s[4:5]
	s_cbranch_execz .LBB57_684
.LBB57_683:
	v_bfe_u32 v2, v7, 8, 3
	v_ffbh_u32_e32 v11, v2
	v_min_u32_e32 v11, 32, v11
	v_lshrrev_b16_e32 v10, 3, v6
	v_subrev_u32_e32 v12, 28, v11
	v_and_b32_e32 v10, 15, v10
	v_lshlrev_b32_e32 v6, v12, v6
	v_sub_u32_e32 v11, 29, v11
	v_and_b32_e32 v6, 7, v6
	v_cmp_eq_u16_e32 vcc, 0, v10
	v_cndmask_b32_e32 v2, v2, v6, vcc
	v_cndmask_b32_e32 v6, v10, v11, vcc
	v_lshlrev_b32_e32 v10, 16, v7
	v_mov_b32_e32 v11, 0x3b800000
	v_lshlrev_b32_e32 v2, 20, v2
	v_and_b32_e32 v10, 0x80000000, v10
	v_lshl_add_u32 v6, v6, 23, v11
	v_or3_b32 v2, v10, v6, v2
.LBB57_684:
	s_or_b64 exec, exec, s[6:7]
	v_lshrrev_b32_e32 v6, 8, v3
	s_movk_i32 s4, 0x7f
	v_cmp_gt_i16_sdwa s[6:7], v6, s4 src0_sel:BYTE_0 src1_sel:DWORD
	s_mov_b64 s[4:5], 0
                                        ; implicit-def: $sgpr10
	s_and_saveexec_b64 s[8:9], s[6:7]
	s_xor_b64 s[6:7], exec, s[8:9]
	s_cbranch_execnz .LBB57_2733
; %bb.685:
	s_or_saveexec_b64 s[6:7], s[6:7]
	v_mov_b32_e32 v10, s10
	s_xor_b64 exec, exec, s[6:7]
	s_cbranch_execnz .LBB57_2736
.LBB57_686:
	s_or_b64 exec, exec, s[6:7]
	s_and_saveexec_b64 s[6:7], s[4:5]
	s_cbranch_execz .LBB57_688
.LBB57_687:
	v_bfe_u32 v10, v3, 8, 3
	v_ffbh_u32_e32 v12, v10
	v_min_u32_e32 v12, 32, v12
	v_lshrrev_b16_e32 v11, 3, v6
	v_subrev_u32_e32 v13, 28, v12
	v_and_b32_e32 v11, 15, v11
	v_lshlrev_b32_e32 v6, v13, v6
	v_sub_u32_e32 v12, 29, v12
	v_and_b32_e32 v6, 7, v6
	v_cmp_eq_u16_e32 vcc, 0, v11
	v_cndmask_b32_e32 v6, v10, v6, vcc
	v_cndmask_b32_e32 v10, v11, v12, vcc
	v_lshlrev_b32_e32 v11, 16, v3
	v_mov_b32_e32 v12, 0x3b800000
	v_lshlrev_b32_e32 v6, 20, v6
	v_and_b32_e32 v11, 0x80000000, v11
	v_lshl_add_u32 v10, v10, 23, v12
	v_or3_b32 v10, v11, v10, v6
.LBB57_688:
	s_or_b64 exec, exec, s[6:7]
	s_nop 0
	v_mfma_f32_16x16x4f32 a[0:3], v2, v10, a[0:3]
	s_movk_i32 s4, 0xff
	v_and_b32_sdwa v6, v7, s4 dst_sel:DWORD dst_unused:UNUSED_PAD src0_sel:WORD_1 src1_sel:DWORD
	s_movk_i32 s4, 0x7f
	v_cmp_lt_i16_e32 vcc, s4, v6
	s_mov_b64 s[4:5], 0
                                        ; implicit-def: $sgpr10
	s_and_saveexec_b64 s[6:7], vcc
	s_xor_b64 s[6:7], exec, s[6:7]
	s_cbranch_execnz .LBB57_2737
; %bb.689:
	s_or_saveexec_b64 s[6:7], s[6:7]
	v_mov_b32_e32 v2, s10
	s_xor_b64 exec, exec, s[6:7]
	s_cbranch_execnz .LBB57_2740
.LBB57_690:
	s_or_b64 exec, exec, s[6:7]
	s_and_saveexec_b64 s[6:7], s[4:5]
	s_cbranch_execz .LBB57_692
.LBB57_691:
	v_bfe_u32 v2, v7, 16, 3
	v_ffbh_u32_e32 v11, v2
	v_min_u32_e32 v11, 32, v11
	v_lshrrev_b32_e32 v6, 19, v7
	v_subrev_u32_e32 v12, 28, v11
	v_and_b32_e32 v6, 15, v6
	v_lshlrev_b32_sdwa v12, v12, v7 dst_sel:DWORD dst_unused:UNUSED_PAD src0_sel:DWORD src1_sel:WORD_1
	v_bfe_u32 v10, v7, 19, 4
	v_sub_u32_e32 v11, 29, v11
	v_and_b32_e32 v12, 7, v12
	v_cmp_eq_u16_e32 vcc, 0, v6
	v_cndmask_b32_e32 v2, v2, v12, vcc
	v_cndmask_b32_e32 v6, v10, v11, vcc
	v_lshlrev_b32_e32 v10, 8, v7
	v_mov_b32_e32 v11, 0x3b800000
	v_lshlrev_b32_e32 v2, 20, v2
	v_and_b32_e32 v10, 0x80000000, v10
	v_lshl_add_u32 v6, v6, 23, v11
	v_or3_b32 v2, v10, v6, v2
.LBB57_692:
	s_or_b64 exec, exec, s[6:7]
	s_movk_i32 s4, 0xff
	v_and_b32_sdwa v6, v3, s4 dst_sel:DWORD dst_unused:UNUSED_PAD src0_sel:WORD_1 src1_sel:DWORD
	s_movk_i32 s4, 0x7f
	v_cmp_lt_i16_e32 vcc, s4, v6
	s_mov_b64 s[4:5], 0
                                        ; implicit-def: $sgpr10
	s_and_saveexec_b64 s[6:7], vcc
	s_xor_b64 s[6:7], exec, s[6:7]
	s_cbranch_execnz .LBB57_2741
; %bb.693:
	s_or_saveexec_b64 s[6:7], s[6:7]
	v_mov_b32_e32 v10, s10
	s_xor_b64 exec, exec, s[6:7]
	s_cbranch_execnz .LBB57_2744
.LBB57_694:
	s_or_b64 exec, exec, s[6:7]
	s_and_saveexec_b64 s[6:7], s[4:5]
	s_cbranch_execz .LBB57_696
.LBB57_695:
	v_bfe_u32 v6, v3, 16, 3
	v_ffbh_u32_e32 v12, v6
	v_min_u32_e32 v12, 32, v12
	v_lshrrev_b32_e32 v10, 19, v3
	v_subrev_u32_e32 v13, 28, v12
	v_and_b32_e32 v10, 15, v10
	v_lshlrev_b32_sdwa v13, v13, v3 dst_sel:DWORD dst_unused:UNUSED_PAD src0_sel:DWORD src1_sel:WORD_1
	v_bfe_u32 v11, v3, 19, 4
	v_sub_u32_e32 v12, 29, v12
	v_and_b32_e32 v13, 7, v13
	v_cmp_eq_u16_e32 vcc, 0, v10
	v_cndmask_b32_e32 v6, v6, v13, vcc
	v_cndmask_b32_e32 v10, v11, v12, vcc
	v_lshlrev_b32_e32 v11, 8, v3
	v_mov_b32_e32 v12, 0x3b800000
	v_lshlrev_b32_e32 v6, 20, v6
	v_and_b32_e32 v11, 0x80000000, v11
	v_lshl_add_u32 v10, v10, 23, v12
	v_or3_b32 v10, v11, v10, v6
.LBB57_696:
	s_or_b64 exec, exec, s[6:7]
	s_nop 0
	v_mfma_f32_16x16x4f32 a[0:3], v2, v10, a[0:3]
	s_movk_i32 s4, 0x7f
	v_cmp_gt_i16_sdwa s[6:7], v7, s4 src0_sel:BYTE_3 src1_sel:DWORD
	s_mov_b64 s[4:5], 0
                                        ; implicit-def: $sgpr10
	s_and_saveexec_b64 s[8:9], s[6:7]
	s_xor_b64 s[6:7], exec, s[8:9]
	s_cbranch_execnz .LBB57_2745
; %bb.697:
	s_or_saveexec_b64 s[6:7], s[6:7]
	v_mov_b32_e32 v2, s10
	s_xor_b64 exec, exec, s[6:7]
	s_cbranch_execnz .LBB57_2748
.LBB57_698:
	s_or_b64 exec, exec, s[6:7]
	s_and_saveexec_b64 s[6:7], s[4:5]
	s_cbranch_execz .LBB57_700
.LBB57_699:
	v_bfe_u32 v2, v7, 24, 3
	v_ffbh_u32_e32 v12, v2
	v_min_u32_e32 v12, 32, v12
	v_lshrrev_b32_e32 v10, 27, v7
	v_subrev_u32_e32 v13, 28, v12
	v_and_b32_e32 v6, 0x80000000, v7
	v_and_b32_e32 v10, 15, v10
	v_bfe_u32 v11, v7, 27, 4
	v_lshlrev_b32_sdwa v7, v13, v7 dst_sel:DWORD dst_unused:UNUSED_PAD src0_sel:DWORD src1_sel:BYTE_3
	v_sub_u32_e32 v12, 29, v12
	v_and_b32_e32 v7, 7, v7
	v_cmp_eq_u16_e32 vcc, 0, v10
	v_cndmask_b32_e32 v2, v2, v7, vcc
	v_cndmask_b32_e32 v7, v11, v12, vcc
	v_mov_b32_e32 v10, 0x3b800000
	v_lshlrev_b32_e32 v2, 20, v2
	v_lshl_add_u32 v7, v7, 23, v10
	v_or3_b32 v2, v6, v7, v2
.LBB57_700:
	s_or_b64 exec, exec, s[6:7]
	s_movk_i32 s4, 0x7f
	v_cmp_gt_i16_sdwa s[6:7], v3, s4 src0_sel:BYTE_3 src1_sel:DWORD
	s_mov_b64 s[4:5], 0
                                        ; implicit-def: $sgpr10
	s_and_saveexec_b64 s[8:9], s[6:7]
	s_xor_b64 s[6:7], exec, s[8:9]
	s_cbranch_execnz .LBB57_2749
; %bb.701:
	s_or_saveexec_b64 s[6:7], s[6:7]
	v_mov_b32_e32 v6, s10
	s_xor_b64 exec, exec, s[6:7]
	s_cbranch_execnz .LBB57_2752
.LBB57_702:
	s_or_b64 exec, exec, s[6:7]
	s_and_saveexec_b64 s[6:7], s[4:5]
	s_cbranch_execz .LBB57_704
.LBB57_703:
	v_bfe_u32 v6, v3, 24, 3
	v_ffbh_u32_e32 v12, v6
	v_min_u32_e32 v12, 32, v12
	v_lshrrev_b32_e32 v10, 27, v3
	v_subrev_u32_e32 v13, 28, v12
	v_and_b32_e32 v7, 0x80000000, v3
	v_and_b32_e32 v10, 15, v10
	v_bfe_u32 v11, v3, 27, 4
	v_lshlrev_b32_sdwa v3, v13, v3 dst_sel:DWORD dst_unused:UNUSED_PAD src0_sel:DWORD src1_sel:BYTE_3
	v_sub_u32_e32 v12, 29, v12
	v_and_b32_e32 v3, 7, v3
	v_cmp_eq_u16_e32 vcc, 0, v10
	v_cndmask_b32_e32 v3, v6, v3, vcc
	v_cndmask_b32_e32 v6, v11, v12, vcc
	v_mov_b32_e32 v10, 0x3b800000
	v_lshlrev_b32_e32 v3, 20, v3
	v_lshl_add_u32 v6, v6, 23, v10
	v_or3_b32 v6, v7, v6, v3
.LBB57_704:
	s_or_b64 exec, exec, s[6:7]
	s_nop 0
	v_mfma_f32_16x16x4f32 a[0:3], v2, v6, a[0:3]
	s_movk_i32 s4, 0x7f
	v_cmp_gt_i16_sdwa s[6:7], v8, s4 src0_sel:BYTE_0 src1_sel:DWORD
	s_mov_b64 s[4:5], 0
                                        ; implicit-def: $sgpr10
	s_and_saveexec_b64 s[8:9], s[6:7]
	s_xor_b64 s[6:7], exec, s[8:9]
	s_cbranch_execnz .LBB57_2753
; %bb.705:
	s_or_saveexec_b64 s[6:7], s[6:7]
	v_mov_b32_e32 v2, s10
	s_xor_b64 exec, exec, s[6:7]
	s_cbranch_execnz .LBB57_2756
.LBB57_706:
	s_or_b64 exec, exec, s[6:7]
	s_and_saveexec_b64 s[6:7], s[4:5]
	s_cbranch_execz .LBB57_708
.LBB57_707:
	v_and_b32_e32 v2, 7, v8
	v_ffbh_u32_e32 v6, v2
	v_min_u32_e32 v6, 32, v6
	v_lshrrev_b16_e32 v3, 3, v8
	v_subrev_u32_e32 v7, 28, v6
	v_and_b32_e32 v3, 15, v3
	v_lshlrev_b32_e32 v7, v7, v8
	v_sub_u32_e32 v6, 29, v6
	v_and_b32_e32 v7, 7, v7
	v_cmp_eq_u16_e32 vcc, 0, v3
	v_cndmask_b32_e32 v2, v2, v7, vcc
	v_cndmask_b32_e32 v3, v3, v6, vcc
	v_lshlrev_b32_e32 v6, 24, v8
	v_mov_b32_e32 v7, 0x3b800000
	v_lshlrev_b32_e32 v2, 20, v2
	v_and_b32_e32 v6, 0x80000000, v6
	v_lshl_add_u32 v3, v3, 23, v7
	v_or3_b32 v2, v6, v3, v2
.LBB57_708:
	s_or_b64 exec, exec, s[6:7]
	s_movk_i32 s4, 0x7f
	v_cmp_gt_i16_sdwa s[6:7], v4, s4 src0_sel:BYTE_0 src1_sel:DWORD
	s_mov_b64 s[4:5], 0
                                        ; implicit-def: $sgpr10
	s_and_saveexec_b64 s[8:9], s[6:7]
	s_xor_b64 s[6:7], exec, s[8:9]
	s_cbranch_execnz .LBB57_2757
; %bb.709:
	s_or_saveexec_b64 s[6:7], s[6:7]
	v_mov_b32_e32 v3, s10
	s_xor_b64 exec, exec, s[6:7]
	s_cbranch_execnz .LBB57_2760
.LBB57_710:
	s_or_b64 exec, exec, s[6:7]
	s_and_saveexec_b64 s[6:7], s[4:5]
	s_cbranch_execz .LBB57_712
.LBB57_711:
	v_and_b32_e32 v3, 7, v4
	v_ffbh_u32_e32 v7, v3
	v_min_u32_e32 v7, 32, v7
	v_lshrrev_b16_e32 v6, 3, v4
	v_subrev_u32_e32 v10, 28, v7
	v_and_b32_e32 v6, 15, v6
	v_lshlrev_b32_e32 v10, v10, v4
	v_sub_u32_e32 v7, 29, v7
	v_and_b32_e32 v10, 7, v10
	v_cmp_eq_u16_e32 vcc, 0, v6
	v_cndmask_b32_e32 v3, v3, v10, vcc
	v_cndmask_b32_e32 v6, v6, v7, vcc
	v_lshlrev_b32_e32 v7, 24, v4
	v_mov_b32_e32 v10, 0x3b800000
	v_lshlrev_b32_e32 v3, 20, v3
	v_and_b32_e32 v7, 0x80000000, v7
	v_lshl_add_u32 v6, v6, 23, v10
	v_or3_b32 v3, v7, v6, v3
.LBB57_712:
	s_or_b64 exec, exec, s[6:7]
	s_nop 0
	v_mfma_f32_16x16x4f32 a[0:3], v2, v3, a[0:3]
	v_lshrrev_b32_e32 v3, 8, v8
	s_movk_i32 s4, 0x7f
	v_cmp_gt_i16_sdwa s[6:7], v3, s4 src0_sel:BYTE_0 src1_sel:DWORD
	s_mov_b64 s[4:5], 0
                                        ; implicit-def: $sgpr10
	s_and_saveexec_b64 s[8:9], s[6:7]
	s_xor_b64 s[6:7], exec, s[8:9]
	s_cbranch_execnz .LBB57_2761
; %bb.713:
	s_or_saveexec_b64 s[6:7], s[6:7]
	v_mov_b32_e32 v2, s10
	s_xor_b64 exec, exec, s[6:7]
	s_cbranch_execnz .LBB57_2764
.LBB57_714:
	s_or_b64 exec, exec, s[6:7]
	s_and_saveexec_b64 s[6:7], s[4:5]
	s_cbranch_execz .LBB57_716
.LBB57_715:
	v_bfe_u32 v2, v8, 8, 3
	v_ffbh_u32_e32 v7, v2
	v_min_u32_e32 v7, 32, v7
	v_lshrrev_b16_e32 v6, 3, v3
	v_subrev_u32_e32 v10, 28, v7
	v_and_b32_e32 v6, 15, v6
	v_lshlrev_b32_e32 v3, v10, v3
	v_sub_u32_e32 v7, 29, v7
	v_and_b32_e32 v3, 7, v3
	v_cmp_eq_u16_e32 vcc, 0, v6
	v_cndmask_b32_e32 v2, v2, v3, vcc
	v_cndmask_b32_e32 v3, v6, v7, vcc
	v_lshlrev_b32_e32 v6, 16, v8
	v_mov_b32_e32 v7, 0x3b800000
	v_lshlrev_b32_e32 v2, 20, v2
	v_and_b32_e32 v6, 0x80000000, v6
	v_lshl_add_u32 v3, v3, 23, v7
	v_or3_b32 v2, v6, v3, v2
.LBB57_716:
	s_or_b64 exec, exec, s[6:7]
	v_lshrrev_b32_e32 v3, 8, v4
	s_movk_i32 s4, 0x7f
	v_cmp_gt_i16_sdwa s[6:7], v3, s4 src0_sel:BYTE_0 src1_sel:DWORD
	s_mov_b64 s[4:5], 0
                                        ; implicit-def: $sgpr10
	s_and_saveexec_b64 s[8:9], s[6:7]
	s_xor_b64 s[6:7], exec, s[8:9]
	s_cbranch_execnz .LBB57_2765
; %bb.717:
	s_or_saveexec_b64 s[6:7], s[6:7]
	v_mov_b32_e32 v6, s10
	s_xor_b64 exec, exec, s[6:7]
	s_cbranch_execnz .LBB57_2768
.LBB57_718:
	s_or_b64 exec, exec, s[6:7]
	s_and_saveexec_b64 s[6:7], s[4:5]
	s_cbranch_execz .LBB57_720
.LBB57_719:
	v_bfe_u32 v6, v4, 8, 3
	v_ffbh_u32_e32 v10, v6
	v_min_u32_e32 v10, 32, v10
	v_lshrrev_b16_e32 v7, 3, v3
	v_subrev_u32_e32 v11, 28, v10
	v_and_b32_e32 v7, 15, v7
	v_lshlrev_b32_e32 v3, v11, v3
	v_sub_u32_e32 v10, 29, v10
	v_and_b32_e32 v3, 7, v3
	v_cmp_eq_u16_e32 vcc, 0, v7
	v_cndmask_b32_e32 v3, v6, v3, vcc
	v_cndmask_b32_e32 v6, v7, v10, vcc
	v_lshlrev_b32_e32 v7, 16, v4
	v_mov_b32_e32 v10, 0x3b800000
	v_lshlrev_b32_e32 v3, 20, v3
	v_and_b32_e32 v7, 0x80000000, v7
	v_lshl_add_u32 v6, v6, 23, v10
	v_or3_b32 v6, v7, v6, v3
.LBB57_720:
	s_or_b64 exec, exec, s[6:7]
	s_nop 0
	v_mfma_f32_16x16x4f32 a[0:3], v2, v6, a[0:3]
	s_movk_i32 s4, 0xff
	v_and_b32_sdwa v3, v8, s4 dst_sel:DWORD dst_unused:UNUSED_PAD src0_sel:WORD_1 src1_sel:DWORD
	s_movk_i32 s4, 0x7f
	v_cmp_lt_i16_e32 vcc, s4, v3
	s_mov_b64 s[4:5], 0
                                        ; implicit-def: $sgpr10
	s_and_saveexec_b64 s[6:7], vcc
	s_xor_b64 s[6:7], exec, s[6:7]
	s_cbranch_execnz .LBB57_2769
; %bb.721:
	s_or_saveexec_b64 s[6:7], s[6:7]
	v_mov_b32_e32 v2, s10
	s_xor_b64 exec, exec, s[6:7]
	s_cbranch_execnz .LBB57_2772
.LBB57_722:
	s_or_b64 exec, exec, s[6:7]
	s_and_saveexec_b64 s[6:7], s[4:5]
	s_cbranch_execz .LBB57_724
.LBB57_723:
	v_bfe_u32 v2, v8, 16, 3
	v_ffbh_u32_e32 v7, v2
	v_min_u32_e32 v7, 32, v7
	v_lshrrev_b32_e32 v3, 19, v8
	v_subrev_u32_e32 v10, 28, v7
	v_and_b32_e32 v3, 15, v3
	v_lshlrev_b32_sdwa v10, v10, v8 dst_sel:DWORD dst_unused:UNUSED_PAD src0_sel:DWORD src1_sel:WORD_1
	v_bfe_u32 v6, v8, 19, 4
	v_sub_u32_e32 v7, 29, v7
	v_and_b32_e32 v10, 7, v10
	v_cmp_eq_u16_e32 vcc, 0, v3
	v_cndmask_b32_e32 v2, v2, v10, vcc
	v_cndmask_b32_e32 v3, v6, v7, vcc
	v_lshlrev_b32_e32 v6, 8, v8
	v_mov_b32_e32 v7, 0x3b800000
	v_lshlrev_b32_e32 v2, 20, v2
	v_and_b32_e32 v6, 0x80000000, v6
	v_lshl_add_u32 v3, v3, 23, v7
	v_or3_b32 v2, v6, v3, v2
.LBB57_724:
	s_or_b64 exec, exec, s[6:7]
	s_movk_i32 s4, 0xff
	v_and_b32_sdwa v3, v4, s4 dst_sel:DWORD dst_unused:UNUSED_PAD src0_sel:WORD_1 src1_sel:DWORD
	s_movk_i32 s4, 0x7f
	v_cmp_lt_i16_e32 vcc, s4, v3
	s_mov_b64 s[4:5], 0
                                        ; implicit-def: $sgpr10
	s_and_saveexec_b64 s[6:7], vcc
	s_xor_b64 s[6:7], exec, s[6:7]
	s_cbranch_execnz .LBB57_2773
; %bb.725:
	s_or_saveexec_b64 s[6:7], s[6:7]
	v_mov_b32_e32 v6, s10
	s_xor_b64 exec, exec, s[6:7]
	s_cbranch_execnz .LBB57_2776
.LBB57_726:
	s_or_b64 exec, exec, s[6:7]
	s_and_saveexec_b64 s[6:7], s[4:5]
	s_cbranch_execz .LBB57_728
.LBB57_727:
	v_bfe_u32 v3, v4, 16, 3
	v_ffbh_u32_e32 v10, v3
	v_min_u32_e32 v10, 32, v10
	v_lshrrev_b32_e32 v6, 19, v4
	v_subrev_u32_e32 v11, 28, v10
	v_and_b32_e32 v6, 15, v6
	v_lshlrev_b32_sdwa v11, v11, v4 dst_sel:DWORD dst_unused:UNUSED_PAD src0_sel:DWORD src1_sel:WORD_1
	v_bfe_u32 v7, v4, 19, 4
	v_sub_u32_e32 v10, 29, v10
	v_and_b32_e32 v11, 7, v11
	v_cmp_eq_u16_e32 vcc, 0, v6
	v_cndmask_b32_e32 v3, v3, v11, vcc
	v_cndmask_b32_e32 v6, v7, v10, vcc
	v_lshlrev_b32_e32 v7, 8, v4
	v_mov_b32_e32 v10, 0x3b800000
	v_lshlrev_b32_e32 v3, 20, v3
	v_and_b32_e32 v7, 0x80000000, v7
	v_lshl_add_u32 v6, v6, 23, v10
	v_or3_b32 v6, v7, v6, v3
.LBB57_728:
	s_or_b64 exec, exec, s[6:7]
	s_nop 0
	v_mfma_f32_16x16x4f32 a[0:3], v2, v6, a[0:3]
	s_movk_i32 s4, 0x7f
	v_cmp_gt_i16_sdwa s[6:7], v8, s4 src0_sel:BYTE_3 src1_sel:DWORD
	s_mov_b64 s[4:5], 0
                                        ; implicit-def: $sgpr10
	s_and_saveexec_b64 s[8:9], s[6:7]
	s_xor_b64 s[6:7], exec, s[8:9]
	s_cbranch_execnz .LBB57_2777
; %bb.729:
	s_or_saveexec_b64 s[6:7], s[6:7]
	v_mov_b32_e32 v2, s10
	s_xor_b64 exec, exec, s[6:7]
	s_cbranch_execnz .LBB57_2780
.LBB57_730:
	s_or_b64 exec, exec, s[6:7]
	s_and_saveexec_b64 s[6:7], s[4:5]
	s_cbranch_execz .LBB57_732
.LBB57_731:
	v_bfe_u32 v2, v8, 24, 3
	v_ffbh_u32_e32 v10, v2
	v_min_u32_e32 v10, 32, v10
	v_lshrrev_b32_e32 v6, 27, v8
	v_subrev_u32_e32 v11, 28, v10
	v_and_b32_e32 v3, 0x80000000, v8
	v_and_b32_e32 v6, 15, v6
	v_bfe_u32 v7, v8, 27, 4
	v_lshlrev_b32_sdwa v8, v11, v8 dst_sel:DWORD dst_unused:UNUSED_PAD src0_sel:DWORD src1_sel:BYTE_3
	v_sub_u32_e32 v10, 29, v10
	v_and_b32_e32 v8, 7, v8
	v_cmp_eq_u16_e32 vcc, 0, v6
	v_cndmask_b32_e32 v2, v2, v8, vcc
	v_cndmask_b32_e32 v6, v7, v10, vcc
	v_mov_b32_e32 v7, 0x3b800000
	v_lshlrev_b32_e32 v2, 20, v2
	v_lshl_add_u32 v6, v6, 23, v7
	v_or3_b32 v2, v3, v6, v2
.LBB57_732:
	s_or_b64 exec, exec, s[6:7]
	s_movk_i32 s4, 0x7f
	v_cmp_gt_i16_sdwa s[6:7], v4, s4 src0_sel:BYTE_3 src1_sel:DWORD
	s_mov_b64 s[4:5], 0
                                        ; implicit-def: $sgpr10
	s_and_saveexec_b64 s[8:9], s[6:7]
	s_xor_b64 s[6:7], exec, s[8:9]
	s_cbranch_execnz .LBB57_2781
; %bb.733:
	s_or_saveexec_b64 s[6:7], s[6:7]
	v_mov_b32_e32 v3, s10
	s_xor_b64 exec, exec, s[6:7]
	s_cbranch_execnz .LBB57_2784
.LBB57_734:
	s_or_b64 exec, exec, s[6:7]
	s_and_saveexec_b64 s[6:7], s[4:5]
	s_cbranch_execz .LBB57_736
.LBB57_735:
	v_bfe_u32 v3, v4, 24, 3
	v_ffbh_u32_e32 v10, v3
	v_min_u32_e32 v10, 32, v10
	v_lshrrev_b32_e32 v7, 27, v4
	v_subrev_u32_e32 v11, 28, v10
	v_and_b32_e32 v6, 0x80000000, v4
	v_and_b32_e32 v7, 15, v7
	v_bfe_u32 v8, v4, 27, 4
	v_lshlrev_b32_sdwa v4, v11, v4 dst_sel:DWORD dst_unused:UNUSED_PAD src0_sel:DWORD src1_sel:BYTE_3
	v_sub_u32_e32 v10, 29, v10
	v_and_b32_e32 v4, 7, v4
	v_cmp_eq_u16_e32 vcc, 0, v7
	v_cndmask_b32_e32 v3, v3, v4, vcc
	v_cndmask_b32_e32 v4, v8, v10, vcc
	v_mov_b32_e32 v7, 0x3b800000
	v_lshlrev_b32_e32 v3, 20, v3
	v_lshl_add_u32 v4, v4, 23, v7
	v_or3_b32 v3, v6, v4, v3
.LBB57_736:
	s_or_b64 exec, exec, s[6:7]
	s_nop 0
	v_mfma_f32_16x16x4f32 a[0:3], v2, v3, a[0:3]
	s_movk_i32 s4, 0x7f
	v_cmp_gt_i16_sdwa s[6:7], v9, s4 src0_sel:BYTE_0 src1_sel:DWORD
	s_mov_b64 s[4:5], 0
                                        ; implicit-def: $sgpr10
	s_and_saveexec_b64 s[8:9], s[6:7]
	s_xor_b64 s[6:7], exec, s[8:9]
	s_cbranch_execnz .LBB57_2785
; %bb.737:
	s_or_saveexec_b64 s[6:7], s[6:7]
	v_mov_b32_e32 v2, s10
	s_xor_b64 exec, exec, s[6:7]
	s_cbranch_execnz .LBB57_2788
.LBB57_738:
	s_or_b64 exec, exec, s[6:7]
	s_and_saveexec_b64 s[6:7], s[4:5]
	s_cbranch_execz .LBB57_740
.LBB57_739:
	v_mov_b32_e32 v2, 8
	v_and_b32_e32 v3, 7, v9
	v_lshrrev_b32_sdwa v2, v2, v9 dst_sel:BYTE_1 dst_unused:UNUSED_PAD src0_sel:DWORD src1_sel:DWORD
	v_ffbh_u32_e32 v4, v3
	v_or_b32_sdwa v2, v9, v2 dst_sel:DWORD dst_unused:UNUSED_PAD src0_sel:BYTE_0 src1_sel:DWORD
	v_min_u32_e32 v4, 32, v4
	v_lshrrev_b16_e32 v2, 3, v2
	v_subrev_u32_e32 v6, 28, v4
	v_and_b32_e32 v2, 15, v2
	v_lshlrev_b32_e32 v6, v6, v9
	v_sub_u32_e32 v4, 29, v4
	v_and_b32_e32 v6, 7, v6
	v_cmp_eq_u16_e32 vcc, 0, v2
	v_cndmask_b32_e32 v3, v3, v6, vcc
	v_cndmask_b32_e32 v2, v2, v4, vcc
	v_lshlrev_b32_e32 v4, 24, v9
	v_mov_b32_e32 v6, 0x3b800000
	v_lshlrev_b32_e32 v3, 20, v3
	v_and_b32_e32 v4, 0x80000000, v4
	v_lshl_add_u32 v2, v2, 23, v6
	v_or3_b32 v2, v4, v2, v3
.LBB57_740:
	s_or_b64 exec, exec, s[6:7]
	s_movk_i32 s4, 0x7f
	v_cmp_gt_i16_sdwa s[6:7], v5, s4 src0_sel:BYTE_0 src1_sel:DWORD
	s_mov_b64 s[4:5], 0
                                        ; implicit-def: $sgpr10
	s_and_saveexec_b64 s[8:9], s[6:7]
	s_xor_b64 s[6:7], exec, s[8:9]
	s_cbranch_execnz .LBB57_2789
; %bb.741:
	s_or_saveexec_b64 s[6:7], s[6:7]
	v_mov_b32_e32 v3, s10
	s_xor_b64 exec, exec, s[6:7]
	s_cbranch_execnz .LBB57_2792
.LBB57_742:
	s_or_b64 exec, exec, s[6:7]
	s_and_saveexec_b64 s[6:7], s[4:5]
	s_cbranch_execz .LBB57_744
.LBB57_743:
	v_mov_b32_e32 v3, 8
	v_and_b32_e32 v4, 7, v5
	v_lshrrev_b32_sdwa v3, v3, v5 dst_sel:BYTE_1 dst_unused:UNUSED_PAD src0_sel:DWORD src1_sel:DWORD
	v_ffbh_u32_e32 v6, v4
	v_or_b32_sdwa v3, v5, v3 dst_sel:DWORD dst_unused:UNUSED_PAD src0_sel:BYTE_0 src1_sel:DWORD
	v_min_u32_e32 v6, 32, v6
	v_lshrrev_b16_e32 v3, 3, v3
	v_subrev_u32_e32 v7, 28, v6
	v_and_b32_e32 v3, 15, v3
	v_lshlrev_b32_e32 v7, v7, v5
	v_sub_u32_e32 v6, 29, v6
	v_and_b32_e32 v7, 7, v7
	v_cmp_eq_u16_e32 vcc, 0, v3
	v_cndmask_b32_e32 v4, v4, v7, vcc
	v_cndmask_b32_e32 v3, v3, v6, vcc
	v_lshlrev_b32_e32 v6, 24, v5
	v_mov_b32_e32 v7, 0x3b800000
	v_lshlrev_b32_e32 v4, 20, v4
	v_and_b32_e32 v6, 0x80000000, v6
	v_lshl_add_u32 v3, v3, 23, v7
	v_or3_b32 v3, v6, v3, v4
.LBB57_744:
	s_or_b64 exec, exec, s[6:7]
	s_nop 0
	v_mfma_f32_16x16x4f32 a[0:3], v2, v3, a[0:3]
	v_lshrrev_b32_e32 v3, 8, v9
	s_movk_i32 s4, 0x7f
	v_cmp_gt_i16_sdwa s[6:7], v3, s4 src0_sel:BYTE_0 src1_sel:DWORD
	s_mov_b64 s[4:5], 0
                                        ; implicit-def: $sgpr10
	s_and_saveexec_b64 s[8:9], s[6:7]
	s_xor_b64 s[6:7], exec, s[8:9]
	s_cbranch_execnz .LBB57_2793
; %bb.745:
	s_or_saveexec_b64 s[6:7], s[6:7]
	v_mov_b32_e32 v2, s10
	s_xor_b64 exec, exec, s[6:7]
	s_cbranch_execnz .LBB57_2796
.LBB57_746:
	s_or_b64 exec, exec, s[6:7]
	s_and_saveexec_b64 s[6:7], s[4:5]
	s_cbranch_execz .LBB57_748
.LBB57_747:
	v_bfe_u32 v2, v9, 8, 3
	v_ffbh_u32_e32 v6, v2
	v_min_u32_e32 v6, 32, v6
	v_lshrrev_b16_e32 v4, 3, v3
	v_subrev_u32_e32 v7, 28, v6
	v_and_b32_e32 v4, 15, v4
	v_lshlrev_b32_e32 v3, v7, v3
	v_sub_u32_e32 v6, 29, v6
	v_and_b32_e32 v3, 7, v3
	v_cmp_eq_u16_e32 vcc, 0, v4
	v_cndmask_b32_e32 v2, v2, v3, vcc
	v_cndmask_b32_e32 v3, v4, v6, vcc
	v_lshlrev_b32_e32 v4, 16, v9
	v_mov_b32_e32 v6, 0x3b800000
	v_lshlrev_b32_e32 v2, 20, v2
	v_and_b32_e32 v4, 0x80000000, v4
	v_lshl_add_u32 v3, v3, 23, v6
	v_or3_b32 v2, v4, v3, v2
.LBB57_748:
	s_or_b64 exec, exec, s[6:7]
	v_lshrrev_b32_e32 v3, 8, v5
	s_movk_i32 s4, 0x7f
	v_cmp_gt_i16_sdwa s[6:7], v3, s4 src0_sel:BYTE_0 src1_sel:DWORD
	s_mov_b64 s[4:5], 0
                                        ; implicit-def: $sgpr10
	s_and_saveexec_b64 s[8:9], s[6:7]
	s_xor_b64 s[6:7], exec, s[8:9]
	s_cbranch_execnz .LBB57_2797
; %bb.749:
	s_or_saveexec_b64 s[6:7], s[6:7]
	v_mov_b32_e32 v4, s10
	s_xor_b64 exec, exec, s[6:7]
	s_cbranch_execnz .LBB57_2800
.LBB57_750:
	s_or_b64 exec, exec, s[6:7]
	s_and_saveexec_b64 s[6:7], s[4:5]
	s_cbranch_execz .LBB57_752
.LBB57_751:
	v_bfe_u32 v4, v5, 8, 3
	v_ffbh_u32_e32 v7, v4
	v_min_u32_e32 v7, 32, v7
	v_lshrrev_b16_e32 v6, 3, v3
	v_subrev_u32_e32 v8, 28, v7
	v_and_b32_e32 v6, 15, v6
	v_lshlrev_b32_e32 v3, v8, v3
	v_sub_u32_e32 v7, 29, v7
	v_and_b32_e32 v3, 7, v3
	v_cmp_eq_u16_e32 vcc, 0, v6
	v_cndmask_b32_e32 v3, v4, v3, vcc
	v_cndmask_b32_e32 v4, v6, v7, vcc
	v_lshlrev_b32_e32 v6, 16, v5
	v_mov_b32_e32 v7, 0x3b800000
	v_lshlrev_b32_e32 v3, 20, v3
	v_and_b32_e32 v6, 0x80000000, v6
	v_lshl_add_u32 v4, v4, 23, v7
	v_or3_b32 v4, v6, v4, v3
.LBB57_752:
	s_or_b64 exec, exec, s[6:7]
	s_nop 0
	v_mfma_f32_16x16x4f32 a[0:3], v2, v4, a[0:3]
	s_movk_i32 s4, 0xff
	v_and_b32_sdwa v3, v9, s4 dst_sel:DWORD dst_unused:UNUSED_PAD src0_sel:WORD_1 src1_sel:DWORD
	s_movk_i32 s4, 0x7f
	v_cmp_lt_i16_e32 vcc, s4, v3
	s_mov_b64 s[4:5], 0
                                        ; implicit-def: $sgpr10
	s_and_saveexec_b64 s[6:7], vcc
	s_xor_b64 s[6:7], exec, s[6:7]
	s_cbranch_execnz .LBB57_2801
; %bb.753:
	s_or_saveexec_b64 s[6:7], s[6:7]
	v_mov_b32_e32 v2, s10
	s_xor_b64 exec, exec, s[6:7]
	s_cbranch_execnz .LBB57_2804
.LBB57_754:
	s_or_b64 exec, exec, s[6:7]
	s_and_saveexec_b64 s[6:7], s[4:5]
	s_cbranch_execz .LBB57_756
.LBB57_755:
	v_bfe_u32 v2, v9, 16, 3
	v_ffbh_u32_e32 v6, v2
	v_min_u32_e32 v6, 32, v6
	v_lshrrev_b32_e32 v3, 19, v9
	v_subrev_u32_e32 v7, 28, v6
	v_and_b32_e32 v3, 15, v3
	v_lshlrev_b32_sdwa v7, v7, v9 dst_sel:DWORD dst_unused:UNUSED_PAD src0_sel:DWORD src1_sel:WORD_1
	v_bfe_u32 v4, v9, 19, 4
	v_sub_u32_e32 v6, 29, v6
	v_and_b32_e32 v7, 7, v7
	v_cmp_eq_u16_e32 vcc, 0, v3
	v_cndmask_b32_e32 v2, v2, v7, vcc
	v_cndmask_b32_e32 v3, v4, v6, vcc
	v_lshlrev_b32_e32 v4, 8, v9
	v_mov_b32_e32 v6, 0x3b800000
	v_lshlrev_b32_e32 v2, 20, v2
	v_and_b32_e32 v4, 0x80000000, v4
	v_lshl_add_u32 v3, v3, 23, v6
	v_or3_b32 v2, v4, v3, v2
.LBB57_756:
	s_or_b64 exec, exec, s[6:7]
	s_movk_i32 s4, 0xff
	v_and_b32_sdwa v3, v5, s4 dst_sel:DWORD dst_unused:UNUSED_PAD src0_sel:WORD_1 src1_sel:DWORD
	s_movk_i32 s4, 0x7f
	v_cmp_lt_i16_e32 vcc, s4, v3
	s_mov_b64 s[4:5], 0
                                        ; implicit-def: $sgpr10
	s_and_saveexec_b64 s[6:7], vcc
	s_xor_b64 s[6:7], exec, s[6:7]
	s_cbranch_execnz .LBB57_2805
; %bb.757:
	s_or_saveexec_b64 s[6:7], s[6:7]
	v_mov_b32_e32 v4, s10
	s_xor_b64 exec, exec, s[6:7]
	s_cbranch_execnz .LBB57_2808
.LBB57_758:
	s_or_b64 exec, exec, s[6:7]
	s_and_saveexec_b64 s[6:7], s[4:5]
	s_cbranch_execz .LBB57_760
.LBB57_759:
	v_bfe_u32 v3, v5, 16, 3
	v_ffbh_u32_e32 v7, v3
	v_min_u32_e32 v7, 32, v7
	v_lshrrev_b32_e32 v4, 19, v5
	v_subrev_u32_e32 v8, 28, v7
	v_and_b32_e32 v4, 15, v4
	v_lshlrev_b32_sdwa v8, v8, v5 dst_sel:DWORD dst_unused:UNUSED_PAD src0_sel:DWORD src1_sel:WORD_1
	v_bfe_u32 v6, v5, 19, 4
	v_sub_u32_e32 v7, 29, v7
	v_and_b32_e32 v8, 7, v8
	v_cmp_eq_u16_e32 vcc, 0, v4
	v_cndmask_b32_e32 v3, v3, v8, vcc
	v_cndmask_b32_e32 v4, v6, v7, vcc
	v_lshlrev_b32_e32 v6, 8, v5
	v_mov_b32_e32 v7, 0x3b800000
	v_lshlrev_b32_e32 v3, 20, v3
	v_and_b32_e32 v6, 0x80000000, v6
	v_lshl_add_u32 v4, v4, 23, v7
	v_or3_b32 v4, v6, v4, v3
.LBB57_760:
	s_or_b64 exec, exec, s[6:7]
	s_nop 0
	v_mfma_f32_16x16x4f32 a[0:3], v2, v4, a[0:3]
	s_movk_i32 s4, 0x7f
	v_cmp_gt_i16_sdwa s[6:7], v9, s4 src0_sel:BYTE_3 src1_sel:DWORD
	s_mov_b64 s[4:5], 0
                                        ; implicit-def: $sgpr10
	s_and_saveexec_b64 s[8:9], s[6:7]
	s_xor_b64 s[6:7], exec, s[8:9]
	s_cbranch_execnz .LBB57_2809
; %bb.761:
	s_or_saveexec_b64 s[6:7], s[6:7]
	v_mov_b32_e32 v2, s10
	s_xor_b64 exec, exec, s[6:7]
	s_cbranch_execnz .LBB57_2812
.LBB57_762:
	s_or_b64 exec, exec, s[6:7]
	s_and_saveexec_b64 s[6:7], s[4:5]
	s_cbranch_execz .LBB57_764
.LBB57_763:
	v_bfe_u32 v2, v9, 24, 3
	v_ffbh_u32_e32 v7, v2
	v_min_u32_e32 v7, 32, v7
	v_lshrrev_b32_e32 v4, 27, v9
	v_subrev_u32_e32 v8, 28, v7
	v_and_b32_e32 v4, 15, v4
	v_lshlrev_b32_sdwa v8, v8, v9 dst_sel:DWORD dst_unused:UNUSED_PAD src0_sel:DWORD src1_sel:BYTE_3
	v_bfe_u32 v6, v9, 27, 4
	v_sub_u32_e32 v7, 29, v7
	v_and_b32_e32 v8, 7, v8
	v_cmp_eq_u16_e32 vcc, 0, v4
	v_cndmask_b32_e32 v2, v2, v8, vcc
	v_cndmask_b32_e32 v4, v6, v7, vcc
	v_mov_b32_e32 v6, 0x3b800000
	v_and_b32_e32 v3, 0x80000000, v9
	v_lshlrev_b32_e32 v2, 20, v2
	v_lshl_add_u32 v4, v4, 23, v6
	v_or3_b32 v2, v3, v4, v2
.LBB57_764:
	s_or_b64 exec, exec, s[6:7]
	s_movk_i32 s4, 0x7f
	v_cmp_gt_i16_sdwa s[6:7], v5, s4 src0_sel:BYTE_3 src1_sel:DWORD
	s_mov_b64 s[4:5], 0
                                        ; implicit-def: $sgpr10
	s_and_saveexec_b64 s[8:9], s[6:7]
	s_xor_b64 s[6:7], exec, s[8:9]
	s_cbranch_execnz .LBB57_2813
; %bb.765:
	s_or_saveexec_b64 s[6:7], s[6:7]
	v_mov_b32_e32 v3, s10
	s_xor_b64 exec, exec, s[6:7]
	s_cbranch_execnz .LBB57_2816
.LBB57_766:
	s_or_b64 exec, exec, s[6:7]
	s_and_saveexec_b64 s[6:7], s[4:5]
	s_cbranch_execz .LBB57_768
.LBB57_767:
	v_bfe_u32 v3, v5, 24, 3
	v_ffbh_u32_e32 v8, v3
	v_min_u32_e32 v8, 32, v8
	v_lshrrev_b32_e32 v6, 27, v5
	v_subrev_u32_e32 v9, 28, v8
	v_and_b32_e32 v4, 0x80000000, v5
	v_and_b32_e32 v6, 15, v6
	v_bfe_u32 v7, v5, 27, 4
	v_lshlrev_b32_sdwa v5, v9, v5 dst_sel:DWORD dst_unused:UNUSED_PAD src0_sel:DWORD src1_sel:BYTE_3
	v_sub_u32_e32 v8, 29, v8
	v_and_b32_e32 v5, 7, v5
	v_cmp_eq_u16_e32 vcc, 0, v6
	v_cndmask_b32_e32 v3, v3, v5, vcc
	v_cndmask_b32_e32 v5, v7, v8, vcc
	v_mov_b32_e32 v6, 0x3b800000
	v_lshlrev_b32_e32 v3, 20, v3
	v_lshl_add_u32 v5, v5, 23, v6
	v_or3_b32 v3, v4, v5, v3
.LBB57_768:
	s_or_b64 exec, exec, s[6:7]
	s_nop 0
	v_mfma_f32_16x16x4f32 a[0:3], v2, v3, a[0:3]
	s_movk_i32 s4, 0x7f
                                        ; implicit-def: $sgpr10
	s_nop 7
	s_nop 1
	flat_store_dwordx4 v[18:19], a[0:3] offset:672
	flat_load_dwordx4 v[20:23], v[0:1] offset:8
	s_nop 0
	flat_load_dwordx2 v[18:19], v[0:1] offset:24
	s_waitcnt vmcnt(0) lgkmcnt(0)
	flat_load_dwordx4 v[14:17], v[20:21] offset:32
	flat_load_dwordx4 v[6:9], v[20:21] offset:48
	;; [unrolled: 1-line block ×4, first 2 shown]
	s_waitcnt vmcnt(0) lgkmcnt(0)
	v_cmp_gt_i16_sdwa s[6:7], v14, s4 src0_sel:BYTE_0 src1_sel:DWORD
	s_mov_b64 s[4:5], 0
	s_and_saveexec_b64 s[8:9], s[6:7]
	s_xor_b64 s[6:7], exec, s[8:9]
	s_cbranch_execnz .LBB57_2817
; %bb.769:
	s_or_saveexec_b64 s[6:7], s[6:7]
	v_mov_b32_e32 v20, s10
	s_xor_b64 exec, exec, s[6:7]
	s_cbranch_execnz .LBB57_2820
.LBB57_770:
	s_or_b64 exec, exec, s[6:7]
	s_and_saveexec_b64 s[6:7], s[4:5]
	s_cbranch_execz .LBB57_772
.LBB57_771:
	v_and_b32_e32 v20, 7, v14
	v_ffbh_u32_e32 v22, v20
	v_min_u32_e32 v22, 32, v22
	v_lshrrev_b16_e32 v21, 3, v14
	v_subrev_u32_e32 v23, 28, v22
	v_and_b32_e32 v21, 15, v21
	v_lshlrev_b32_e32 v23, v23, v14
	v_sub_u32_e32 v22, 29, v22
	v_and_b32_e32 v23, 7, v23
	v_cmp_eq_u16_e32 vcc, 0, v21
	v_cndmask_b32_e32 v20, v20, v23, vcc
	v_cndmask_b32_e32 v21, v21, v22, vcc
	v_lshlrev_b32_e32 v22, 24, v14
	v_mov_b32_e32 v23, 0x3b800000
	v_lshlrev_b32_e32 v20, 20, v20
	v_and_b32_e32 v22, 0x80000000, v22
	v_lshl_add_u32 v21, v21, 23, v23
	v_or3_b32 v20, v22, v21, v20
.LBB57_772:
	s_or_b64 exec, exec, s[6:7]
	s_movk_i32 s4, 0x7f
	v_cmp_gt_i16_sdwa s[6:7], v10, s4 src0_sel:BYTE_0 src1_sel:DWORD
	s_mov_b64 s[4:5], 0
                                        ; implicit-def: $sgpr10
	s_and_saveexec_b64 s[8:9], s[6:7]
	s_xor_b64 s[6:7], exec, s[8:9]
	s_cbranch_execnz .LBB57_2821
; %bb.773:
	s_or_saveexec_b64 s[6:7], s[6:7]
	v_mov_b32_e32 v21, s10
	s_xor_b64 exec, exec, s[6:7]
	s_cbranch_execnz .LBB57_2824
.LBB57_774:
	s_or_b64 exec, exec, s[6:7]
	s_and_saveexec_b64 s[6:7], s[4:5]
	s_cbranch_execz .LBB57_776
.LBB57_775:
	v_and_b32_e32 v21, 7, v10
	v_ffbh_u32_e32 v23, v21
	v_min_u32_e32 v23, 32, v23
	v_lshrrev_b16_e32 v22, 3, v10
	v_subrev_u32_e32 v24, 28, v23
	v_and_b32_e32 v22, 15, v22
	v_lshlrev_b32_e32 v24, v24, v10
	v_sub_u32_e32 v23, 29, v23
	v_and_b32_e32 v24, 7, v24
	v_cmp_eq_u16_e32 vcc, 0, v22
	v_cndmask_b32_e32 v21, v21, v24, vcc
	v_cndmask_b32_e32 v22, v22, v23, vcc
	v_lshlrev_b32_e32 v23, 24, v10
	v_mov_b32_e32 v24, 0x3b800000
	v_lshlrev_b32_e32 v21, 20, v21
	v_and_b32_e32 v23, 0x80000000, v23
	v_lshl_add_u32 v22, v22, 23, v24
	v_or3_b32 v21, v23, v22, v21
.LBB57_776:
	s_or_b64 exec, exec, s[6:7]
	flat_load_dwordx4 a[0:3], v[18:19] offset:688
	s_movk_i32 s4, 0x7f
                                        ; implicit-def: $sgpr10
	s_waitcnt vmcnt(0) lgkmcnt(0)
	v_mfma_f32_16x16x4f32 a[0:3], v20, v21, a[0:3]
	v_lshrrev_b32_e32 v21, 8, v14
	v_cmp_gt_i16_sdwa s[6:7], v21, s4 src0_sel:BYTE_0 src1_sel:DWORD
	s_mov_b64 s[4:5], 0
	s_and_saveexec_b64 s[8:9], s[6:7]
	s_xor_b64 s[6:7], exec, s[8:9]
	s_cbranch_execnz .LBB57_2825
; %bb.777:
	s_or_saveexec_b64 s[6:7], s[6:7]
	v_mov_b32_e32 v20, s10
	s_xor_b64 exec, exec, s[6:7]
	s_cbranch_execnz .LBB57_2828
.LBB57_778:
	s_or_b64 exec, exec, s[6:7]
	s_and_saveexec_b64 s[6:7], s[4:5]
	s_cbranch_execz .LBB57_780
.LBB57_779:
	v_bfe_u32 v20, v14, 8, 3
	v_ffbh_u32_e32 v23, v20
	v_min_u32_e32 v23, 32, v23
	v_lshrrev_b16_e32 v22, 3, v21
	v_subrev_u32_e32 v24, 28, v23
	v_and_b32_e32 v22, 15, v22
	v_lshlrev_b32_e32 v21, v24, v21
	v_sub_u32_e32 v23, 29, v23
	v_and_b32_e32 v21, 7, v21
	v_cmp_eq_u16_e32 vcc, 0, v22
	v_cndmask_b32_e32 v20, v20, v21, vcc
	v_cndmask_b32_e32 v21, v22, v23, vcc
	v_lshlrev_b32_e32 v22, 16, v14
	v_mov_b32_e32 v23, 0x3b800000
	v_lshlrev_b32_e32 v20, 20, v20
	v_and_b32_e32 v22, 0x80000000, v22
	v_lshl_add_u32 v21, v21, 23, v23
	v_or3_b32 v20, v22, v21, v20
.LBB57_780:
	s_or_b64 exec, exec, s[6:7]
	v_lshrrev_b32_e32 v21, 8, v10
	s_movk_i32 s4, 0x7f
	v_cmp_gt_i16_sdwa s[6:7], v21, s4 src0_sel:BYTE_0 src1_sel:DWORD
	s_mov_b64 s[4:5], 0
                                        ; implicit-def: $sgpr10
	s_and_saveexec_b64 s[8:9], s[6:7]
	s_xor_b64 s[6:7], exec, s[8:9]
	s_cbranch_execnz .LBB57_2829
; %bb.781:
	s_or_saveexec_b64 s[6:7], s[6:7]
	v_mov_b32_e32 v22, s10
	s_xor_b64 exec, exec, s[6:7]
	s_cbranch_execnz .LBB57_2832
.LBB57_782:
	s_or_b64 exec, exec, s[6:7]
	s_and_saveexec_b64 s[6:7], s[4:5]
	s_cbranch_execz .LBB57_784
.LBB57_783:
	v_bfe_u32 v22, v10, 8, 3
	v_ffbh_u32_e32 v24, v22
	v_min_u32_e32 v24, 32, v24
	v_lshrrev_b16_e32 v23, 3, v21
	v_subrev_u32_e32 v25, 28, v24
	v_and_b32_e32 v23, 15, v23
	v_lshlrev_b32_e32 v21, v25, v21
	v_sub_u32_e32 v24, 29, v24
	v_and_b32_e32 v21, 7, v21
	v_cmp_eq_u16_e32 vcc, 0, v23
	v_cndmask_b32_e32 v21, v22, v21, vcc
	v_cndmask_b32_e32 v22, v23, v24, vcc
	v_lshlrev_b32_e32 v23, 16, v10
	v_mov_b32_e32 v24, 0x3b800000
	v_lshlrev_b32_e32 v21, 20, v21
	v_and_b32_e32 v23, 0x80000000, v23
	v_lshl_add_u32 v22, v22, 23, v24
	v_or3_b32 v22, v23, v22, v21
.LBB57_784:
	s_or_b64 exec, exec, s[6:7]
	s_nop 0
	v_mfma_f32_16x16x4f32 a[0:3], v20, v22, a[0:3]
	s_movk_i32 s4, 0xff
	v_and_b32_sdwa v21, v14, s4 dst_sel:DWORD dst_unused:UNUSED_PAD src0_sel:WORD_1 src1_sel:DWORD
	s_movk_i32 s4, 0x7f
	v_cmp_lt_i16_e32 vcc, s4, v21
	s_mov_b64 s[4:5], 0
                                        ; implicit-def: $sgpr10
	s_and_saveexec_b64 s[6:7], vcc
	s_xor_b64 s[6:7], exec, s[6:7]
	s_cbranch_execnz .LBB57_2833
; %bb.785:
	s_or_saveexec_b64 s[6:7], s[6:7]
	v_mov_b32_e32 v20, s10
	s_xor_b64 exec, exec, s[6:7]
	s_cbranch_execnz .LBB57_2836
.LBB57_786:
	s_or_b64 exec, exec, s[6:7]
	s_and_saveexec_b64 s[6:7], s[4:5]
	s_cbranch_execz .LBB57_788
.LBB57_787:
	v_bfe_u32 v20, v14, 16, 3
	v_ffbh_u32_e32 v23, v20
	v_min_u32_e32 v23, 32, v23
	v_lshrrev_b32_e32 v21, 19, v14
	v_subrev_u32_e32 v24, 28, v23
	v_and_b32_e32 v21, 15, v21
	v_lshlrev_b32_sdwa v24, v24, v14 dst_sel:DWORD dst_unused:UNUSED_PAD src0_sel:DWORD src1_sel:WORD_1
	v_bfe_u32 v22, v14, 19, 4
	v_sub_u32_e32 v23, 29, v23
	v_and_b32_e32 v24, 7, v24
	v_cmp_eq_u16_e32 vcc, 0, v21
	v_cndmask_b32_e32 v20, v20, v24, vcc
	v_cndmask_b32_e32 v21, v22, v23, vcc
	v_lshlrev_b32_e32 v22, 8, v14
	v_mov_b32_e32 v23, 0x3b800000
	v_lshlrev_b32_e32 v20, 20, v20
	v_and_b32_e32 v22, 0x80000000, v22
	v_lshl_add_u32 v21, v21, 23, v23
	v_or3_b32 v20, v22, v21, v20
.LBB57_788:
	s_or_b64 exec, exec, s[6:7]
	s_movk_i32 s4, 0xff
	v_and_b32_sdwa v21, v10, s4 dst_sel:DWORD dst_unused:UNUSED_PAD src0_sel:WORD_1 src1_sel:DWORD
	s_movk_i32 s4, 0x7f
	v_cmp_lt_i16_e32 vcc, s4, v21
	s_mov_b64 s[4:5], 0
                                        ; implicit-def: $sgpr10
	s_and_saveexec_b64 s[6:7], vcc
	s_xor_b64 s[6:7], exec, s[6:7]
	s_cbranch_execnz .LBB57_2837
; %bb.789:
	s_or_saveexec_b64 s[6:7], s[6:7]
	v_mov_b32_e32 v22, s10
	s_xor_b64 exec, exec, s[6:7]
	s_cbranch_execnz .LBB57_2840
.LBB57_790:
	s_or_b64 exec, exec, s[6:7]
	s_and_saveexec_b64 s[6:7], s[4:5]
	s_cbranch_execz .LBB57_792
.LBB57_791:
	v_bfe_u32 v21, v10, 16, 3
	v_ffbh_u32_e32 v24, v21
	v_min_u32_e32 v24, 32, v24
	v_lshrrev_b32_e32 v22, 19, v10
	v_subrev_u32_e32 v25, 28, v24
	v_and_b32_e32 v22, 15, v22
	v_lshlrev_b32_sdwa v25, v25, v10 dst_sel:DWORD dst_unused:UNUSED_PAD src0_sel:DWORD src1_sel:WORD_1
	v_bfe_u32 v23, v10, 19, 4
	v_sub_u32_e32 v24, 29, v24
	v_and_b32_e32 v25, 7, v25
	v_cmp_eq_u16_e32 vcc, 0, v22
	v_cndmask_b32_e32 v21, v21, v25, vcc
	v_cndmask_b32_e32 v22, v23, v24, vcc
	v_lshlrev_b32_e32 v23, 8, v10
	v_mov_b32_e32 v24, 0x3b800000
	v_lshlrev_b32_e32 v21, 20, v21
	v_and_b32_e32 v23, 0x80000000, v23
	v_lshl_add_u32 v22, v22, 23, v24
	v_or3_b32 v22, v23, v22, v21
.LBB57_792:
	s_or_b64 exec, exec, s[6:7]
	s_nop 0
	v_mfma_f32_16x16x4f32 a[0:3], v20, v22, a[0:3]
	s_movk_i32 s4, 0x7f
	v_cmp_gt_i16_sdwa s[6:7], v14, s4 src0_sel:BYTE_3 src1_sel:DWORD
	s_mov_b64 s[4:5], 0
                                        ; implicit-def: $sgpr10
	s_and_saveexec_b64 s[8:9], s[6:7]
	s_xor_b64 s[6:7], exec, s[8:9]
	s_cbranch_execnz .LBB57_2841
; %bb.793:
	s_or_saveexec_b64 s[6:7], s[6:7]
	v_mov_b32_e32 v20, s10
	s_xor_b64 exec, exec, s[6:7]
	s_cbranch_execnz .LBB57_2844
.LBB57_794:
	s_or_b64 exec, exec, s[6:7]
	s_and_saveexec_b64 s[6:7], s[4:5]
	s_cbranch_execz .LBB57_796
.LBB57_795:
	v_bfe_u32 v20, v14, 24, 3
	v_ffbh_u32_e32 v24, v20
	v_min_u32_e32 v24, 32, v24
	v_lshrrev_b32_e32 v22, 27, v14
	v_subrev_u32_e32 v25, 28, v24
	v_and_b32_e32 v21, 0x80000000, v14
	v_and_b32_e32 v22, 15, v22
	v_bfe_u32 v23, v14, 27, 4
	v_lshlrev_b32_sdwa v14, v25, v14 dst_sel:DWORD dst_unused:UNUSED_PAD src0_sel:DWORD src1_sel:BYTE_3
	v_sub_u32_e32 v24, 29, v24
	v_and_b32_e32 v14, 7, v14
	v_cmp_eq_u16_e32 vcc, 0, v22
	v_cndmask_b32_e32 v14, v20, v14, vcc
	v_cndmask_b32_e32 v20, v23, v24, vcc
	v_mov_b32_e32 v22, 0x3b800000
	v_lshlrev_b32_e32 v14, 20, v14
	v_lshl_add_u32 v20, v20, 23, v22
	v_or3_b32 v20, v21, v20, v14
.LBB57_796:
	s_or_b64 exec, exec, s[6:7]
	s_movk_i32 s4, 0x7f
	v_cmp_gt_i16_sdwa s[6:7], v10, s4 src0_sel:BYTE_3 src1_sel:DWORD
	s_mov_b64 s[4:5], 0
                                        ; implicit-def: $sgpr10
	s_and_saveexec_b64 s[8:9], s[6:7]
	s_xor_b64 s[6:7], exec, s[8:9]
	s_cbranch_execnz .LBB57_2845
; %bb.797:
	s_or_saveexec_b64 s[6:7], s[6:7]
	v_mov_b32_e32 v14, s10
	s_xor_b64 exec, exec, s[6:7]
	s_cbranch_execnz .LBB57_2848
.LBB57_798:
	s_or_b64 exec, exec, s[6:7]
	s_and_saveexec_b64 s[6:7], s[4:5]
	s_cbranch_execz .LBB57_800
.LBB57_799:
	v_bfe_u32 v14, v10, 24, 3
	v_ffbh_u32_e32 v24, v14
	v_min_u32_e32 v24, 32, v24
	v_lshrrev_b32_e32 v22, 27, v10
	v_subrev_u32_e32 v25, 28, v24
	v_and_b32_e32 v21, 0x80000000, v10
	v_and_b32_e32 v22, 15, v22
	v_bfe_u32 v23, v10, 27, 4
	v_lshlrev_b32_sdwa v10, v25, v10 dst_sel:DWORD dst_unused:UNUSED_PAD src0_sel:DWORD src1_sel:BYTE_3
	v_sub_u32_e32 v24, 29, v24
	v_and_b32_e32 v10, 7, v10
	v_cmp_eq_u16_e32 vcc, 0, v22
	v_cndmask_b32_e32 v10, v14, v10, vcc
	v_cndmask_b32_e32 v14, v23, v24, vcc
	v_mov_b32_e32 v22, 0x3b800000
	v_lshlrev_b32_e32 v10, 20, v10
	v_lshl_add_u32 v14, v14, 23, v22
	v_or3_b32 v14, v21, v14, v10
.LBB57_800:
	s_or_b64 exec, exec, s[6:7]
	s_nop 0
	v_mfma_f32_16x16x4f32 a[0:3], v20, v14, a[0:3]
	s_movk_i32 s4, 0x7f
	v_cmp_gt_i16_sdwa s[6:7], v15, s4 src0_sel:BYTE_0 src1_sel:DWORD
	s_mov_b64 s[4:5], 0
                                        ; implicit-def: $sgpr10
	s_and_saveexec_b64 s[8:9], s[6:7]
	s_xor_b64 s[6:7], exec, s[8:9]
	s_cbranch_execnz .LBB57_2849
; %bb.801:
	s_or_saveexec_b64 s[6:7], s[6:7]
	v_mov_b32_e32 v10, s10
	s_xor_b64 exec, exec, s[6:7]
	s_cbranch_execnz .LBB57_2852
.LBB57_802:
	s_or_b64 exec, exec, s[6:7]
	s_and_saveexec_b64 s[6:7], s[4:5]
	s_cbranch_execz .LBB57_804
.LBB57_803:
	v_and_b32_e32 v10, 7, v15
	v_ffbh_u32_e32 v20, v10
	v_min_u32_e32 v20, 32, v20
	v_lshrrev_b16_e32 v14, 3, v15
	v_subrev_u32_e32 v21, 28, v20
	v_and_b32_e32 v14, 15, v14
	v_lshlrev_b32_e32 v21, v21, v15
	v_sub_u32_e32 v20, 29, v20
	v_and_b32_e32 v21, 7, v21
	v_cmp_eq_u16_e32 vcc, 0, v14
	v_cndmask_b32_e32 v10, v10, v21, vcc
	v_cndmask_b32_e32 v14, v14, v20, vcc
	v_lshlrev_b32_e32 v20, 24, v15
	v_mov_b32_e32 v21, 0x3b800000
	v_lshlrev_b32_e32 v10, 20, v10
	v_and_b32_e32 v20, 0x80000000, v20
	v_lshl_add_u32 v14, v14, 23, v21
	v_or3_b32 v10, v20, v14, v10
.LBB57_804:
	s_or_b64 exec, exec, s[6:7]
	s_movk_i32 s4, 0x7f
	v_cmp_gt_i16_sdwa s[6:7], v11, s4 src0_sel:BYTE_0 src1_sel:DWORD
	s_mov_b64 s[4:5], 0
                                        ; implicit-def: $sgpr10
	s_and_saveexec_b64 s[8:9], s[6:7]
	s_xor_b64 s[6:7], exec, s[8:9]
	s_cbranch_execnz .LBB57_2853
; %bb.805:
	s_or_saveexec_b64 s[6:7], s[6:7]
	v_mov_b32_e32 v14, s10
	s_xor_b64 exec, exec, s[6:7]
	s_cbranch_execnz .LBB57_2856
.LBB57_806:
	s_or_b64 exec, exec, s[6:7]
	s_and_saveexec_b64 s[6:7], s[4:5]
	s_cbranch_execz .LBB57_808
.LBB57_807:
	v_and_b32_e32 v14, 7, v11
	v_ffbh_u32_e32 v21, v14
	v_min_u32_e32 v21, 32, v21
	v_lshrrev_b16_e32 v20, 3, v11
	v_subrev_u32_e32 v22, 28, v21
	v_and_b32_e32 v20, 15, v20
	v_lshlrev_b32_e32 v22, v22, v11
	v_sub_u32_e32 v21, 29, v21
	v_and_b32_e32 v22, 7, v22
	v_cmp_eq_u16_e32 vcc, 0, v20
	v_cndmask_b32_e32 v14, v14, v22, vcc
	v_cndmask_b32_e32 v20, v20, v21, vcc
	v_lshlrev_b32_e32 v21, 24, v11
	v_mov_b32_e32 v22, 0x3b800000
	v_lshlrev_b32_e32 v14, 20, v14
	v_and_b32_e32 v21, 0x80000000, v21
	v_lshl_add_u32 v20, v20, 23, v22
	v_or3_b32 v14, v21, v20, v14
.LBB57_808:
	s_or_b64 exec, exec, s[6:7]
	s_nop 0
	v_mfma_f32_16x16x4f32 a[0:3], v10, v14, a[0:3]
	v_lshrrev_b32_e32 v14, 8, v15
	s_movk_i32 s4, 0x7f
	v_cmp_gt_i16_sdwa s[6:7], v14, s4 src0_sel:BYTE_0 src1_sel:DWORD
	s_mov_b64 s[4:5], 0
                                        ; implicit-def: $sgpr10
	s_and_saveexec_b64 s[8:9], s[6:7]
	s_xor_b64 s[6:7], exec, s[8:9]
	s_cbranch_execnz .LBB57_2857
; %bb.809:
	s_or_saveexec_b64 s[6:7], s[6:7]
	v_mov_b32_e32 v10, s10
	s_xor_b64 exec, exec, s[6:7]
	s_cbranch_execnz .LBB57_2860
.LBB57_810:
	s_or_b64 exec, exec, s[6:7]
	s_and_saveexec_b64 s[6:7], s[4:5]
	s_cbranch_execz .LBB57_812
.LBB57_811:
	v_bfe_u32 v10, v15, 8, 3
	v_ffbh_u32_e32 v21, v10
	v_min_u32_e32 v21, 32, v21
	v_lshrrev_b16_e32 v20, 3, v14
	v_subrev_u32_e32 v22, 28, v21
	v_and_b32_e32 v20, 15, v20
	v_lshlrev_b32_e32 v14, v22, v14
	v_sub_u32_e32 v21, 29, v21
	v_and_b32_e32 v14, 7, v14
	v_cmp_eq_u16_e32 vcc, 0, v20
	v_cndmask_b32_e32 v10, v10, v14, vcc
	v_cndmask_b32_e32 v14, v20, v21, vcc
	v_lshlrev_b32_e32 v20, 16, v15
	v_mov_b32_e32 v21, 0x3b800000
	v_lshlrev_b32_e32 v10, 20, v10
	v_and_b32_e32 v20, 0x80000000, v20
	v_lshl_add_u32 v14, v14, 23, v21
	v_or3_b32 v10, v20, v14, v10
.LBB57_812:
	s_or_b64 exec, exec, s[6:7]
	v_lshrrev_b32_e32 v14, 8, v11
	s_movk_i32 s4, 0x7f
	v_cmp_gt_i16_sdwa s[6:7], v14, s4 src0_sel:BYTE_0 src1_sel:DWORD
	s_mov_b64 s[4:5], 0
                                        ; implicit-def: $sgpr10
	s_and_saveexec_b64 s[8:9], s[6:7]
	s_xor_b64 s[6:7], exec, s[8:9]
	s_cbranch_execnz .LBB57_2861
; %bb.813:
	s_or_saveexec_b64 s[6:7], s[6:7]
	v_mov_b32_e32 v20, s10
	s_xor_b64 exec, exec, s[6:7]
	s_cbranch_execnz .LBB57_2864
.LBB57_814:
	s_or_b64 exec, exec, s[6:7]
	s_and_saveexec_b64 s[6:7], s[4:5]
	s_cbranch_execz .LBB57_816
.LBB57_815:
	v_bfe_u32 v20, v11, 8, 3
	v_ffbh_u32_e32 v22, v20
	v_min_u32_e32 v22, 32, v22
	v_lshrrev_b16_e32 v21, 3, v14
	v_subrev_u32_e32 v23, 28, v22
	v_and_b32_e32 v21, 15, v21
	v_lshlrev_b32_e32 v14, v23, v14
	v_sub_u32_e32 v22, 29, v22
	v_and_b32_e32 v14, 7, v14
	v_cmp_eq_u16_e32 vcc, 0, v21
	v_cndmask_b32_e32 v14, v20, v14, vcc
	v_cndmask_b32_e32 v20, v21, v22, vcc
	v_lshlrev_b32_e32 v21, 16, v11
	v_mov_b32_e32 v22, 0x3b800000
	v_lshlrev_b32_e32 v14, 20, v14
	v_and_b32_e32 v21, 0x80000000, v21
	v_lshl_add_u32 v20, v20, 23, v22
	v_or3_b32 v20, v21, v20, v14
.LBB57_816:
	s_or_b64 exec, exec, s[6:7]
	s_nop 0
	v_mfma_f32_16x16x4f32 a[0:3], v10, v20, a[0:3]
	s_movk_i32 s4, 0xff
	v_and_b32_sdwa v14, v15, s4 dst_sel:DWORD dst_unused:UNUSED_PAD src0_sel:WORD_1 src1_sel:DWORD
	s_movk_i32 s4, 0x7f
	v_cmp_lt_i16_e32 vcc, s4, v14
	s_mov_b64 s[4:5], 0
                                        ; implicit-def: $sgpr10
	s_and_saveexec_b64 s[6:7], vcc
	s_xor_b64 s[6:7], exec, s[6:7]
	s_cbranch_execnz .LBB57_2865
; %bb.817:
	s_or_saveexec_b64 s[6:7], s[6:7]
	v_mov_b32_e32 v10, s10
	s_xor_b64 exec, exec, s[6:7]
	s_cbranch_execnz .LBB57_2868
.LBB57_818:
	s_or_b64 exec, exec, s[6:7]
	s_and_saveexec_b64 s[6:7], s[4:5]
	s_cbranch_execz .LBB57_820
.LBB57_819:
	v_bfe_u32 v10, v15, 16, 3
	v_ffbh_u32_e32 v21, v10
	v_min_u32_e32 v21, 32, v21
	v_lshrrev_b32_e32 v14, 19, v15
	v_subrev_u32_e32 v22, 28, v21
	v_and_b32_e32 v14, 15, v14
	v_lshlrev_b32_sdwa v22, v22, v15 dst_sel:DWORD dst_unused:UNUSED_PAD src0_sel:DWORD src1_sel:WORD_1
	v_bfe_u32 v20, v15, 19, 4
	v_sub_u32_e32 v21, 29, v21
	v_and_b32_e32 v22, 7, v22
	v_cmp_eq_u16_e32 vcc, 0, v14
	v_cndmask_b32_e32 v10, v10, v22, vcc
	v_cndmask_b32_e32 v14, v20, v21, vcc
	v_lshlrev_b32_e32 v20, 8, v15
	v_mov_b32_e32 v21, 0x3b800000
	v_lshlrev_b32_e32 v10, 20, v10
	v_and_b32_e32 v20, 0x80000000, v20
	v_lshl_add_u32 v14, v14, 23, v21
	v_or3_b32 v10, v20, v14, v10
.LBB57_820:
	s_or_b64 exec, exec, s[6:7]
	s_movk_i32 s4, 0xff
	v_and_b32_sdwa v14, v11, s4 dst_sel:DWORD dst_unused:UNUSED_PAD src0_sel:WORD_1 src1_sel:DWORD
	s_movk_i32 s4, 0x7f
	v_cmp_lt_i16_e32 vcc, s4, v14
	s_mov_b64 s[4:5], 0
                                        ; implicit-def: $sgpr10
	s_and_saveexec_b64 s[6:7], vcc
	s_xor_b64 s[6:7], exec, s[6:7]
	s_cbranch_execnz .LBB57_2869
; %bb.821:
	s_or_saveexec_b64 s[6:7], s[6:7]
	v_mov_b32_e32 v20, s10
	s_xor_b64 exec, exec, s[6:7]
	s_cbranch_execnz .LBB57_2872
.LBB57_822:
	s_or_b64 exec, exec, s[6:7]
	s_and_saveexec_b64 s[6:7], s[4:5]
	s_cbranch_execz .LBB57_824
.LBB57_823:
	v_bfe_u32 v14, v11, 16, 3
	v_ffbh_u32_e32 v22, v14
	v_min_u32_e32 v22, 32, v22
	v_lshrrev_b32_e32 v20, 19, v11
	v_subrev_u32_e32 v23, 28, v22
	v_and_b32_e32 v20, 15, v20
	v_lshlrev_b32_sdwa v23, v23, v11 dst_sel:DWORD dst_unused:UNUSED_PAD src0_sel:DWORD src1_sel:WORD_1
	v_bfe_u32 v21, v11, 19, 4
	v_sub_u32_e32 v22, 29, v22
	v_and_b32_e32 v23, 7, v23
	v_cmp_eq_u16_e32 vcc, 0, v20
	v_cndmask_b32_e32 v14, v14, v23, vcc
	v_cndmask_b32_e32 v20, v21, v22, vcc
	v_lshlrev_b32_e32 v21, 8, v11
	v_mov_b32_e32 v22, 0x3b800000
	v_lshlrev_b32_e32 v14, 20, v14
	v_and_b32_e32 v21, 0x80000000, v21
	v_lshl_add_u32 v20, v20, 23, v22
	v_or3_b32 v20, v21, v20, v14
.LBB57_824:
	s_or_b64 exec, exec, s[6:7]
	s_nop 0
	v_mfma_f32_16x16x4f32 a[0:3], v10, v20, a[0:3]
	s_movk_i32 s4, 0x7f
	v_cmp_gt_i16_sdwa s[6:7], v15, s4 src0_sel:BYTE_3 src1_sel:DWORD
	s_mov_b64 s[4:5], 0
                                        ; implicit-def: $sgpr10
	s_and_saveexec_b64 s[8:9], s[6:7]
	s_xor_b64 s[6:7], exec, s[8:9]
	s_cbranch_execnz .LBB57_2873
; %bb.825:
	s_or_saveexec_b64 s[6:7], s[6:7]
	v_mov_b32_e32 v10, s10
	s_xor_b64 exec, exec, s[6:7]
	s_cbranch_execnz .LBB57_2876
.LBB57_826:
	s_or_b64 exec, exec, s[6:7]
	s_and_saveexec_b64 s[6:7], s[4:5]
	s_cbranch_execz .LBB57_828
.LBB57_827:
	v_bfe_u32 v10, v15, 24, 3
	v_ffbh_u32_e32 v22, v10
	v_min_u32_e32 v22, 32, v22
	v_lshrrev_b32_e32 v20, 27, v15
	v_subrev_u32_e32 v23, 28, v22
	v_and_b32_e32 v14, 0x80000000, v15
	v_and_b32_e32 v20, 15, v20
	v_bfe_u32 v21, v15, 27, 4
	v_lshlrev_b32_sdwa v15, v23, v15 dst_sel:DWORD dst_unused:UNUSED_PAD src0_sel:DWORD src1_sel:BYTE_3
	v_sub_u32_e32 v22, 29, v22
	v_and_b32_e32 v15, 7, v15
	v_cmp_eq_u16_e32 vcc, 0, v20
	v_cndmask_b32_e32 v10, v10, v15, vcc
	v_cndmask_b32_e32 v15, v21, v22, vcc
	v_mov_b32_e32 v20, 0x3b800000
	v_lshlrev_b32_e32 v10, 20, v10
	v_lshl_add_u32 v15, v15, 23, v20
	v_or3_b32 v10, v14, v15, v10
.LBB57_828:
	s_or_b64 exec, exec, s[6:7]
	s_movk_i32 s4, 0x7f
	v_cmp_gt_i16_sdwa s[6:7], v11, s4 src0_sel:BYTE_3 src1_sel:DWORD
	s_mov_b64 s[4:5], 0
                                        ; implicit-def: $sgpr10
	s_and_saveexec_b64 s[8:9], s[6:7]
	s_xor_b64 s[6:7], exec, s[8:9]
	s_cbranch_execnz .LBB57_2877
; %bb.829:
	s_or_saveexec_b64 s[6:7], s[6:7]
	v_mov_b32_e32 v14, s10
	s_xor_b64 exec, exec, s[6:7]
	s_cbranch_execnz .LBB57_2880
.LBB57_830:
	s_or_b64 exec, exec, s[6:7]
	s_and_saveexec_b64 s[6:7], s[4:5]
	s_cbranch_execz .LBB57_832
.LBB57_831:
	v_bfe_u32 v14, v11, 24, 3
	v_ffbh_u32_e32 v22, v14
	v_min_u32_e32 v22, 32, v22
	v_lshrrev_b32_e32 v20, 27, v11
	v_subrev_u32_e32 v23, 28, v22
	v_and_b32_e32 v15, 0x80000000, v11
	v_and_b32_e32 v20, 15, v20
	v_bfe_u32 v21, v11, 27, 4
	v_lshlrev_b32_sdwa v11, v23, v11 dst_sel:DWORD dst_unused:UNUSED_PAD src0_sel:DWORD src1_sel:BYTE_3
	v_sub_u32_e32 v22, 29, v22
	v_and_b32_e32 v11, 7, v11
	v_cmp_eq_u16_e32 vcc, 0, v20
	v_cndmask_b32_e32 v11, v14, v11, vcc
	v_cndmask_b32_e32 v14, v21, v22, vcc
	v_mov_b32_e32 v20, 0x3b800000
	v_lshlrev_b32_e32 v11, 20, v11
	v_lshl_add_u32 v14, v14, 23, v20
	v_or3_b32 v14, v15, v14, v11
.LBB57_832:
	s_or_b64 exec, exec, s[6:7]
	s_nop 0
	v_mfma_f32_16x16x4f32 a[0:3], v10, v14, a[0:3]
	s_movk_i32 s4, 0x7f
	v_cmp_gt_i16_sdwa s[6:7], v16, s4 src0_sel:BYTE_0 src1_sel:DWORD
	s_mov_b64 s[4:5], 0
                                        ; implicit-def: $sgpr10
	s_and_saveexec_b64 s[8:9], s[6:7]
	s_xor_b64 s[6:7], exec, s[8:9]
	s_cbranch_execnz .LBB57_2881
; %bb.833:
	s_or_saveexec_b64 s[6:7], s[6:7]
	v_mov_b32_e32 v10, s10
	s_xor_b64 exec, exec, s[6:7]
	s_cbranch_execnz .LBB57_2884
.LBB57_834:
	s_or_b64 exec, exec, s[6:7]
	s_and_saveexec_b64 s[6:7], s[4:5]
	s_cbranch_execz .LBB57_836
.LBB57_835:
	v_and_b32_e32 v10, 7, v16
	v_ffbh_u32_e32 v14, v10
	v_min_u32_e32 v14, 32, v14
	v_lshrrev_b16_e32 v11, 3, v16
	v_subrev_u32_e32 v15, 28, v14
	v_and_b32_e32 v11, 15, v11
	v_lshlrev_b32_e32 v15, v15, v16
	v_sub_u32_e32 v14, 29, v14
	v_and_b32_e32 v15, 7, v15
	v_cmp_eq_u16_e32 vcc, 0, v11
	v_cndmask_b32_e32 v10, v10, v15, vcc
	v_cndmask_b32_e32 v11, v11, v14, vcc
	v_lshlrev_b32_e32 v14, 24, v16
	v_mov_b32_e32 v15, 0x3b800000
	v_lshlrev_b32_e32 v10, 20, v10
	v_and_b32_e32 v14, 0x80000000, v14
	v_lshl_add_u32 v11, v11, 23, v15
	v_or3_b32 v10, v14, v11, v10
.LBB57_836:
	s_or_b64 exec, exec, s[6:7]
	s_movk_i32 s4, 0x7f
	v_cmp_gt_i16_sdwa s[6:7], v12, s4 src0_sel:BYTE_0 src1_sel:DWORD
	s_mov_b64 s[4:5], 0
                                        ; implicit-def: $sgpr10
	s_and_saveexec_b64 s[8:9], s[6:7]
	s_xor_b64 s[6:7], exec, s[8:9]
	s_cbranch_execnz .LBB57_2885
; %bb.837:
	s_or_saveexec_b64 s[6:7], s[6:7]
	v_mov_b32_e32 v11, s10
	s_xor_b64 exec, exec, s[6:7]
	s_cbranch_execnz .LBB57_2888
.LBB57_838:
	s_or_b64 exec, exec, s[6:7]
	s_and_saveexec_b64 s[6:7], s[4:5]
	s_cbranch_execz .LBB57_840
.LBB57_839:
	v_and_b32_e32 v11, 7, v12
	v_ffbh_u32_e32 v15, v11
	v_min_u32_e32 v15, 32, v15
	v_lshrrev_b16_e32 v14, 3, v12
	v_subrev_u32_e32 v20, 28, v15
	v_and_b32_e32 v14, 15, v14
	v_lshlrev_b32_e32 v20, v20, v12
	v_sub_u32_e32 v15, 29, v15
	v_and_b32_e32 v20, 7, v20
	v_cmp_eq_u16_e32 vcc, 0, v14
	v_cndmask_b32_e32 v11, v11, v20, vcc
	v_cndmask_b32_e32 v14, v14, v15, vcc
	v_lshlrev_b32_e32 v15, 24, v12
	v_mov_b32_e32 v20, 0x3b800000
	v_lshlrev_b32_e32 v11, 20, v11
	v_and_b32_e32 v15, 0x80000000, v15
	v_lshl_add_u32 v14, v14, 23, v20
	v_or3_b32 v11, v15, v14, v11
.LBB57_840:
	s_or_b64 exec, exec, s[6:7]
	s_nop 0
	v_mfma_f32_16x16x4f32 a[0:3], v10, v11, a[0:3]
	v_lshrrev_b32_e32 v11, 8, v16
	s_movk_i32 s4, 0x7f
	v_cmp_gt_i16_sdwa s[6:7], v11, s4 src0_sel:BYTE_0 src1_sel:DWORD
	s_mov_b64 s[4:5], 0
                                        ; implicit-def: $sgpr10
	s_and_saveexec_b64 s[8:9], s[6:7]
	s_xor_b64 s[6:7], exec, s[8:9]
	s_cbranch_execnz .LBB57_2889
; %bb.841:
	s_or_saveexec_b64 s[6:7], s[6:7]
	v_mov_b32_e32 v10, s10
	s_xor_b64 exec, exec, s[6:7]
	s_cbranch_execnz .LBB57_2892
.LBB57_842:
	s_or_b64 exec, exec, s[6:7]
	s_and_saveexec_b64 s[6:7], s[4:5]
	s_cbranch_execz .LBB57_844
.LBB57_843:
	v_bfe_u32 v10, v16, 8, 3
	v_ffbh_u32_e32 v15, v10
	v_min_u32_e32 v15, 32, v15
	v_lshrrev_b16_e32 v14, 3, v11
	v_subrev_u32_e32 v20, 28, v15
	v_and_b32_e32 v14, 15, v14
	v_lshlrev_b32_e32 v11, v20, v11
	v_sub_u32_e32 v15, 29, v15
	v_and_b32_e32 v11, 7, v11
	v_cmp_eq_u16_e32 vcc, 0, v14
	v_cndmask_b32_e32 v10, v10, v11, vcc
	v_cndmask_b32_e32 v11, v14, v15, vcc
	v_lshlrev_b32_e32 v14, 16, v16
	v_mov_b32_e32 v15, 0x3b800000
	v_lshlrev_b32_e32 v10, 20, v10
	v_and_b32_e32 v14, 0x80000000, v14
	v_lshl_add_u32 v11, v11, 23, v15
	v_or3_b32 v10, v14, v11, v10
.LBB57_844:
	s_or_b64 exec, exec, s[6:7]
	v_lshrrev_b32_e32 v11, 8, v12
	s_movk_i32 s4, 0x7f
	v_cmp_gt_i16_sdwa s[6:7], v11, s4 src0_sel:BYTE_0 src1_sel:DWORD
	s_mov_b64 s[4:5], 0
                                        ; implicit-def: $sgpr10
	s_and_saveexec_b64 s[8:9], s[6:7]
	s_xor_b64 s[6:7], exec, s[8:9]
	s_cbranch_execnz .LBB57_2893
; %bb.845:
	s_or_saveexec_b64 s[6:7], s[6:7]
	v_mov_b32_e32 v14, s10
	s_xor_b64 exec, exec, s[6:7]
	s_cbranch_execnz .LBB57_2896
.LBB57_846:
	s_or_b64 exec, exec, s[6:7]
	s_and_saveexec_b64 s[6:7], s[4:5]
	s_cbranch_execz .LBB57_848
.LBB57_847:
	v_bfe_u32 v14, v12, 8, 3
	v_ffbh_u32_e32 v20, v14
	v_min_u32_e32 v20, 32, v20
	v_lshrrev_b16_e32 v15, 3, v11
	v_subrev_u32_e32 v21, 28, v20
	v_and_b32_e32 v15, 15, v15
	v_lshlrev_b32_e32 v11, v21, v11
	v_sub_u32_e32 v20, 29, v20
	v_and_b32_e32 v11, 7, v11
	v_cmp_eq_u16_e32 vcc, 0, v15
	v_cndmask_b32_e32 v11, v14, v11, vcc
	v_cndmask_b32_e32 v14, v15, v20, vcc
	v_lshlrev_b32_e32 v15, 16, v12
	v_mov_b32_e32 v20, 0x3b800000
	v_lshlrev_b32_e32 v11, 20, v11
	v_and_b32_e32 v15, 0x80000000, v15
	v_lshl_add_u32 v14, v14, 23, v20
	v_or3_b32 v14, v15, v14, v11
.LBB57_848:
	s_or_b64 exec, exec, s[6:7]
	s_nop 0
	v_mfma_f32_16x16x4f32 a[0:3], v10, v14, a[0:3]
	s_movk_i32 s4, 0xff
	v_and_b32_sdwa v11, v16, s4 dst_sel:DWORD dst_unused:UNUSED_PAD src0_sel:WORD_1 src1_sel:DWORD
	s_movk_i32 s4, 0x7f
	v_cmp_lt_i16_e32 vcc, s4, v11
	s_mov_b64 s[4:5], 0
                                        ; implicit-def: $sgpr10
	s_and_saveexec_b64 s[6:7], vcc
	s_xor_b64 s[6:7], exec, s[6:7]
	s_cbranch_execnz .LBB57_2897
; %bb.849:
	s_or_saveexec_b64 s[6:7], s[6:7]
	v_mov_b32_e32 v10, s10
	s_xor_b64 exec, exec, s[6:7]
	s_cbranch_execnz .LBB57_2900
.LBB57_850:
	s_or_b64 exec, exec, s[6:7]
	s_and_saveexec_b64 s[6:7], s[4:5]
	s_cbranch_execz .LBB57_852
.LBB57_851:
	v_bfe_u32 v10, v16, 16, 3
	v_ffbh_u32_e32 v15, v10
	v_min_u32_e32 v15, 32, v15
	v_lshrrev_b32_e32 v11, 19, v16
	v_subrev_u32_e32 v20, 28, v15
	v_and_b32_e32 v11, 15, v11
	v_lshlrev_b32_sdwa v20, v20, v16 dst_sel:DWORD dst_unused:UNUSED_PAD src0_sel:DWORD src1_sel:WORD_1
	v_bfe_u32 v14, v16, 19, 4
	v_sub_u32_e32 v15, 29, v15
	v_and_b32_e32 v20, 7, v20
	v_cmp_eq_u16_e32 vcc, 0, v11
	v_cndmask_b32_e32 v10, v10, v20, vcc
	v_cndmask_b32_e32 v11, v14, v15, vcc
	v_lshlrev_b32_e32 v14, 8, v16
	v_mov_b32_e32 v15, 0x3b800000
	v_lshlrev_b32_e32 v10, 20, v10
	v_and_b32_e32 v14, 0x80000000, v14
	v_lshl_add_u32 v11, v11, 23, v15
	v_or3_b32 v10, v14, v11, v10
.LBB57_852:
	s_or_b64 exec, exec, s[6:7]
	s_movk_i32 s4, 0xff
	v_and_b32_sdwa v11, v12, s4 dst_sel:DWORD dst_unused:UNUSED_PAD src0_sel:WORD_1 src1_sel:DWORD
	s_movk_i32 s4, 0x7f
	v_cmp_lt_i16_e32 vcc, s4, v11
	s_mov_b64 s[4:5], 0
                                        ; implicit-def: $sgpr10
	s_and_saveexec_b64 s[6:7], vcc
	s_xor_b64 s[6:7], exec, s[6:7]
	s_cbranch_execnz .LBB57_2901
; %bb.853:
	s_or_saveexec_b64 s[6:7], s[6:7]
	v_mov_b32_e32 v14, s10
	s_xor_b64 exec, exec, s[6:7]
	s_cbranch_execnz .LBB57_2904
.LBB57_854:
	s_or_b64 exec, exec, s[6:7]
	s_and_saveexec_b64 s[6:7], s[4:5]
	s_cbranch_execz .LBB57_856
.LBB57_855:
	v_bfe_u32 v11, v12, 16, 3
	v_ffbh_u32_e32 v20, v11
	v_min_u32_e32 v20, 32, v20
	v_lshrrev_b32_e32 v14, 19, v12
	v_subrev_u32_e32 v21, 28, v20
	v_and_b32_e32 v14, 15, v14
	v_lshlrev_b32_sdwa v21, v21, v12 dst_sel:DWORD dst_unused:UNUSED_PAD src0_sel:DWORD src1_sel:WORD_1
	v_bfe_u32 v15, v12, 19, 4
	v_sub_u32_e32 v20, 29, v20
	v_and_b32_e32 v21, 7, v21
	v_cmp_eq_u16_e32 vcc, 0, v14
	v_cndmask_b32_e32 v11, v11, v21, vcc
	v_cndmask_b32_e32 v14, v15, v20, vcc
	v_lshlrev_b32_e32 v15, 8, v12
	v_mov_b32_e32 v20, 0x3b800000
	v_lshlrev_b32_e32 v11, 20, v11
	v_and_b32_e32 v15, 0x80000000, v15
	v_lshl_add_u32 v14, v14, 23, v20
	v_or3_b32 v14, v15, v14, v11
.LBB57_856:
	s_or_b64 exec, exec, s[6:7]
	s_nop 0
	v_mfma_f32_16x16x4f32 a[0:3], v10, v14, a[0:3]
	s_movk_i32 s4, 0x7f
	v_cmp_gt_i16_sdwa s[6:7], v16, s4 src0_sel:BYTE_3 src1_sel:DWORD
	s_mov_b64 s[4:5], 0
                                        ; implicit-def: $sgpr10
	s_and_saveexec_b64 s[8:9], s[6:7]
	s_xor_b64 s[6:7], exec, s[8:9]
	s_cbranch_execnz .LBB57_2905
; %bb.857:
	s_or_saveexec_b64 s[6:7], s[6:7]
	v_mov_b32_e32 v10, s10
	s_xor_b64 exec, exec, s[6:7]
	s_cbranch_execnz .LBB57_2908
.LBB57_858:
	s_or_b64 exec, exec, s[6:7]
	s_and_saveexec_b64 s[6:7], s[4:5]
	s_cbranch_execz .LBB57_860
.LBB57_859:
	v_bfe_u32 v10, v16, 24, 3
	v_ffbh_u32_e32 v20, v10
	v_min_u32_e32 v20, 32, v20
	v_lshrrev_b32_e32 v14, 27, v16
	v_subrev_u32_e32 v21, 28, v20
	v_and_b32_e32 v11, 0x80000000, v16
	v_and_b32_e32 v14, 15, v14
	v_bfe_u32 v15, v16, 27, 4
	v_lshlrev_b32_sdwa v16, v21, v16 dst_sel:DWORD dst_unused:UNUSED_PAD src0_sel:DWORD src1_sel:BYTE_3
	v_sub_u32_e32 v20, 29, v20
	v_and_b32_e32 v16, 7, v16
	v_cmp_eq_u16_e32 vcc, 0, v14
	v_cndmask_b32_e32 v10, v10, v16, vcc
	v_cndmask_b32_e32 v14, v15, v20, vcc
	v_mov_b32_e32 v15, 0x3b800000
	v_lshlrev_b32_e32 v10, 20, v10
	v_lshl_add_u32 v14, v14, 23, v15
	v_or3_b32 v10, v11, v14, v10
.LBB57_860:
	s_or_b64 exec, exec, s[6:7]
	s_movk_i32 s4, 0x7f
	v_cmp_gt_i16_sdwa s[6:7], v12, s4 src0_sel:BYTE_3 src1_sel:DWORD
	s_mov_b64 s[4:5], 0
                                        ; implicit-def: $sgpr10
	s_and_saveexec_b64 s[8:9], s[6:7]
	s_xor_b64 s[6:7], exec, s[8:9]
	s_cbranch_execnz .LBB57_2909
; %bb.861:
	s_or_saveexec_b64 s[6:7], s[6:7]
	v_mov_b32_e32 v11, s10
	s_xor_b64 exec, exec, s[6:7]
	s_cbranch_execnz .LBB57_2912
.LBB57_862:
	s_or_b64 exec, exec, s[6:7]
	s_and_saveexec_b64 s[6:7], s[4:5]
	s_cbranch_execz .LBB57_864
.LBB57_863:
	v_bfe_u32 v11, v12, 24, 3
	v_ffbh_u32_e32 v20, v11
	v_min_u32_e32 v20, 32, v20
	v_lshrrev_b32_e32 v15, 27, v12
	v_subrev_u32_e32 v21, 28, v20
	v_and_b32_e32 v14, 0x80000000, v12
	v_and_b32_e32 v15, 15, v15
	v_bfe_u32 v16, v12, 27, 4
	v_lshlrev_b32_sdwa v12, v21, v12 dst_sel:DWORD dst_unused:UNUSED_PAD src0_sel:DWORD src1_sel:BYTE_3
	v_sub_u32_e32 v20, 29, v20
	v_and_b32_e32 v12, 7, v12
	v_cmp_eq_u16_e32 vcc, 0, v15
	v_cndmask_b32_e32 v11, v11, v12, vcc
	v_cndmask_b32_e32 v12, v16, v20, vcc
	v_mov_b32_e32 v15, 0x3b800000
	v_lshlrev_b32_e32 v11, 20, v11
	v_lshl_add_u32 v12, v12, 23, v15
	v_or3_b32 v11, v14, v12, v11
.LBB57_864:
	s_or_b64 exec, exec, s[6:7]
	s_nop 0
	v_mfma_f32_16x16x4f32 a[0:3], v10, v11, a[0:3]
	s_movk_i32 s4, 0x7f
	v_cmp_gt_i16_sdwa s[6:7], v17, s4 src0_sel:BYTE_0 src1_sel:DWORD
	s_mov_b64 s[4:5], 0
                                        ; implicit-def: $sgpr10
	s_and_saveexec_b64 s[8:9], s[6:7]
	s_xor_b64 s[6:7], exec, s[8:9]
	s_cbranch_execnz .LBB57_2913
; %bb.865:
	s_or_saveexec_b64 s[6:7], s[6:7]
	v_mov_b32_e32 v10, s10
	s_xor_b64 exec, exec, s[6:7]
	s_cbranch_execnz .LBB57_2916
.LBB57_866:
	s_or_b64 exec, exec, s[6:7]
	s_and_saveexec_b64 s[6:7], s[4:5]
	s_cbranch_execz .LBB57_868
.LBB57_867:
	v_and_b32_e32 v10, 7, v17
	v_ffbh_u32_e32 v12, v10
	v_min_u32_e32 v12, 32, v12
	v_lshrrev_b16_e32 v11, 3, v17
	v_subrev_u32_e32 v14, 28, v12
	v_and_b32_e32 v11, 15, v11
	v_lshlrev_b32_e32 v14, v14, v17
	v_sub_u32_e32 v12, 29, v12
	v_and_b32_e32 v14, 7, v14
	v_cmp_eq_u16_e32 vcc, 0, v11
	v_cndmask_b32_e32 v10, v10, v14, vcc
	v_cndmask_b32_e32 v11, v11, v12, vcc
	v_lshlrev_b32_e32 v12, 24, v17
	v_mov_b32_e32 v14, 0x3b800000
	v_lshlrev_b32_e32 v10, 20, v10
	v_and_b32_e32 v12, 0x80000000, v12
	v_lshl_add_u32 v11, v11, 23, v14
	v_or3_b32 v10, v12, v11, v10
.LBB57_868:
	s_or_b64 exec, exec, s[6:7]
	s_movk_i32 s4, 0x7f
	v_cmp_gt_i16_sdwa s[6:7], v13, s4 src0_sel:BYTE_0 src1_sel:DWORD
	s_mov_b64 s[4:5], 0
                                        ; implicit-def: $sgpr10
	s_and_saveexec_b64 s[8:9], s[6:7]
	s_xor_b64 s[6:7], exec, s[8:9]
	s_cbranch_execnz .LBB57_2917
; %bb.869:
	s_or_saveexec_b64 s[6:7], s[6:7]
	v_mov_b32_e32 v11, s10
	s_xor_b64 exec, exec, s[6:7]
	s_cbranch_execnz .LBB57_2920
.LBB57_870:
	s_or_b64 exec, exec, s[6:7]
	s_and_saveexec_b64 s[6:7], s[4:5]
	s_cbranch_execz .LBB57_872
.LBB57_871:
	v_and_b32_e32 v11, 7, v13
	v_ffbh_u32_e32 v14, v11
	v_min_u32_e32 v14, 32, v14
	v_lshrrev_b16_e32 v12, 3, v13
	v_subrev_u32_e32 v15, 28, v14
	v_and_b32_e32 v12, 15, v12
	v_lshlrev_b32_e32 v15, v15, v13
	v_sub_u32_e32 v14, 29, v14
	v_and_b32_e32 v15, 7, v15
	v_cmp_eq_u16_e32 vcc, 0, v12
	v_cndmask_b32_e32 v11, v11, v15, vcc
	v_cndmask_b32_e32 v12, v12, v14, vcc
	v_lshlrev_b32_e32 v14, 24, v13
	v_mov_b32_e32 v15, 0x3b800000
	v_lshlrev_b32_e32 v11, 20, v11
	v_and_b32_e32 v14, 0x80000000, v14
	v_lshl_add_u32 v12, v12, 23, v15
	v_or3_b32 v11, v14, v12, v11
.LBB57_872:
	s_or_b64 exec, exec, s[6:7]
	s_nop 0
	v_mfma_f32_16x16x4f32 a[0:3], v10, v11, a[0:3]
	v_lshrrev_b32_e32 v11, 8, v17
	s_movk_i32 s4, 0x7f
	v_cmp_gt_i16_sdwa s[6:7], v11, s4 src0_sel:BYTE_0 src1_sel:DWORD
	s_mov_b64 s[4:5], 0
                                        ; implicit-def: $sgpr10
	s_and_saveexec_b64 s[8:9], s[6:7]
	s_xor_b64 s[6:7], exec, s[8:9]
	s_cbranch_execnz .LBB57_2921
; %bb.873:
	s_or_saveexec_b64 s[6:7], s[6:7]
	v_mov_b32_e32 v10, s10
	s_xor_b64 exec, exec, s[6:7]
	s_cbranch_execnz .LBB57_2924
.LBB57_874:
	s_or_b64 exec, exec, s[6:7]
	s_and_saveexec_b64 s[6:7], s[4:5]
	s_cbranch_execz .LBB57_876
.LBB57_875:
	v_bfe_u32 v10, v17, 8, 3
	v_ffbh_u32_e32 v14, v10
	v_min_u32_e32 v14, 32, v14
	v_lshrrev_b16_e32 v12, 3, v11
	v_subrev_u32_e32 v15, 28, v14
	v_and_b32_e32 v12, 15, v12
	v_lshlrev_b32_e32 v11, v15, v11
	v_sub_u32_e32 v14, 29, v14
	v_and_b32_e32 v11, 7, v11
	v_cmp_eq_u16_e32 vcc, 0, v12
	v_cndmask_b32_e32 v10, v10, v11, vcc
	v_cndmask_b32_e32 v11, v12, v14, vcc
	v_lshlrev_b32_e32 v12, 16, v17
	v_mov_b32_e32 v14, 0x3b800000
	v_lshlrev_b32_e32 v10, 20, v10
	v_and_b32_e32 v12, 0x80000000, v12
	v_lshl_add_u32 v11, v11, 23, v14
	v_or3_b32 v10, v12, v11, v10
.LBB57_876:
	s_or_b64 exec, exec, s[6:7]
	v_lshrrev_b32_e32 v11, 8, v13
	s_movk_i32 s4, 0x7f
	v_cmp_gt_i16_sdwa s[6:7], v11, s4 src0_sel:BYTE_0 src1_sel:DWORD
	s_mov_b64 s[4:5], 0
                                        ; implicit-def: $sgpr10
	s_and_saveexec_b64 s[8:9], s[6:7]
	s_xor_b64 s[6:7], exec, s[8:9]
	s_cbranch_execnz .LBB57_2925
; %bb.877:
	s_or_saveexec_b64 s[6:7], s[6:7]
	v_mov_b32_e32 v12, s10
	s_xor_b64 exec, exec, s[6:7]
	s_cbranch_execnz .LBB57_2928
.LBB57_878:
	s_or_b64 exec, exec, s[6:7]
	s_and_saveexec_b64 s[6:7], s[4:5]
	s_cbranch_execz .LBB57_880
.LBB57_879:
	v_bfe_u32 v12, v13, 8, 3
	v_ffbh_u32_e32 v15, v12
	v_min_u32_e32 v15, 32, v15
	v_lshrrev_b16_e32 v14, 3, v11
	v_subrev_u32_e32 v16, 28, v15
	v_and_b32_e32 v14, 15, v14
	v_lshlrev_b32_e32 v11, v16, v11
	v_sub_u32_e32 v15, 29, v15
	v_and_b32_e32 v11, 7, v11
	v_cmp_eq_u16_e32 vcc, 0, v14
	v_cndmask_b32_e32 v11, v12, v11, vcc
	v_cndmask_b32_e32 v12, v14, v15, vcc
	v_lshlrev_b32_e32 v14, 16, v13
	v_mov_b32_e32 v15, 0x3b800000
	v_lshlrev_b32_e32 v11, 20, v11
	v_and_b32_e32 v14, 0x80000000, v14
	v_lshl_add_u32 v12, v12, 23, v15
	v_or3_b32 v12, v14, v12, v11
.LBB57_880:
	s_or_b64 exec, exec, s[6:7]
	s_nop 0
	v_mfma_f32_16x16x4f32 a[0:3], v10, v12, a[0:3]
	s_movk_i32 s4, 0xff
	v_and_b32_sdwa v11, v17, s4 dst_sel:DWORD dst_unused:UNUSED_PAD src0_sel:WORD_1 src1_sel:DWORD
	s_movk_i32 s4, 0x7f
	v_cmp_lt_i16_e32 vcc, s4, v11
	s_mov_b64 s[4:5], 0
                                        ; implicit-def: $sgpr10
	s_and_saveexec_b64 s[6:7], vcc
	s_xor_b64 s[6:7], exec, s[6:7]
	s_cbranch_execnz .LBB57_2929
; %bb.881:
	s_or_saveexec_b64 s[6:7], s[6:7]
	v_mov_b32_e32 v10, s10
	s_xor_b64 exec, exec, s[6:7]
	s_cbranch_execnz .LBB57_2932
.LBB57_882:
	s_or_b64 exec, exec, s[6:7]
	s_and_saveexec_b64 s[6:7], s[4:5]
	s_cbranch_execz .LBB57_884
.LBB57_883:
	v_bfe_u32 v10, v17, 16, 3
	v_ffbh_u32_e32 v14, v10
	v_min_u32_e32 v14, 32, v14
	v_lshrrev_b32_e32 v11, 19, v17
	v_subrev_u32_e32 v15, 28, v14
	v_and_b32_e32 v11, 15, v11
	v_lshlrev_b32_sdwa v15, v15, v17 dst_sel:DWORD dst_unused:UNUSED_PAD src0_sel:DWORD src1_sel:WORD_1
	v_bfe_u32 v12, v17, 19, 4
	v_sub_u32_e32 v14, 29, v14
	v_and_b32_e32 v15, 7, v15
	v_cmp_eq_u16_e32 vcc, 0, v11
	v_cndmask_b32_e32 v10, v10, v15, vcc
	v_cndmask_b32_e32 v11, v12, v14, vcc
	v_lshlrev_b32_e32 v12, 8, v17
	v_mov_b32_e32 v14, 0x3b800000
	v_lshlrev_b32_e32 v10, 20, v10
	v_and_b32_e32 v12, 0x80000000, v12
	v_lshl_add_u32 v11, v11, 23, v14
	v_or3_b32 v10, v12, v11, v10
.LBB57_884:
	s_or_b64 exec, exec, s[6:7]
	s_movk_i32 s4, 0xff
	v_and_b32_sdwa v11, v13, s4 dst_sel:DWORD dst_unused:UNUSED_PAD src0_sel:WORD_1 src1_sel:DWORD
	s_movk_i32 s4, 0x7f
	v_cmp_lt_i16_e32 vcc, s4, v11
	s_mov_b64 s[4:5], 0
                                        ; implicit-def: $sgpr10
	s_and_saveexec_b64 s[6:7], vcc
	s_xor_b64 s[6:7], exec, s[6:7]
	s_cbranch_execnz .LBB57_2933
; %bb.885:
	s_or_saveexec_b64 s[6:7], s[6:7]
	v_mov_b32_e32 v12, s10
	s_xor_b64 exec, exec, s[6:7]
	s_cbranch_execnz .LBB57_2936
.LBB57_886:
	s_or_b64 exec, exec, s[6:7]
	s_and_saveexec_b64 s[6:7], s[4:5]
	s_cbranch_execz .LBB57_888
.LBB57_887:
	v_bfe_u32 v11, v13, 16, 3
	v_ffbh_u32_e32 v15, v11
	v_min_u32_e32 v15, 32, v15
	v_lshrrev_b32_e32 v12, 19, v13
	v_subrev_u32_e32 v16, 28, v15
	v_and_b32_e32 v12, 15, v12
	v_lshlrev_b32_sdwa v16, v16, v13 dst_sel:DWORD dst_unused:UNUSED_PAD src0_sel:DWORD src1_sel:WORD_1
	v_bfe_u32 v14, v13, 19, 4
	v_sub_u32_e32 v15, 29, v15
	v_and_b32_e32 v16, 7, v16
	v_cmp_eq_u16_e32 vcc, 0, v12
	v_cndmask_b32_e32 v11, v11, v16, vcc
	v_cndmask_b32_e32 v12, v14, v15, vcc
	v_lshlrev_b32_e32 v14, 8, v13
	v_mov_b32_e32 v15, 0x3b800000
	v_lshlrev_b32_e32 v11, 20, v11
	v_and_b32_e32 v14, 0x80000000, v14
	v_lshl_add_u32 v12, v12, 23, v15
	v_or3_b32 v12, v14, v12, v11
.LBB57_888:
	s_or_b64 exec, exec, s[6:7]
	s_nop 0
	v_mfma_f32_16x16x4f32 a[0:3], v10, v12, a[0:3]
	s_movk_i32 s4, 0x7f
	v_cmp_gt_i16_sdwa s[6:7], v17, s4 src0_sel:BYTE_3 src1_sel:DWORD
	s_mov_b64 s[4:5], 0
                                        ; implicit-def: $sgpr10
	s_and_saveexec_b64 s[8:9], s[6:7]
	s_xor_b64 s[6:7], exec, s[8:9]
	s_cbranch_execnz .LBB57_2937
; %bb.889:
	s_or_saveexec_b64 s[6:7], s[6:7]
	v_mov_b32_e32 v10, s10
	s_xor_b64 exec, exec, s[6:7]
	s_cbranch_execnz .LBB57_2940
.LBB57_890:
	s_or_b64 exec, exec, s[6:7]
	s_and_saveexec_b64 s[6:7], s[4:5]
	s_cbranch_execz .LBB57_892
.LBB57_891:
	v_bfe_u32 v10, v17, 24, 3
	v_ffbh_u32_e32 v15, v10
	v_min_u32_e32 v15, 32, v15
	v_lshrrev_b32_e32 v12, 27, v17
	v_subrev_u32_e32 v16, 28, v15
	v_and_b32_e32 v12, 15, v12
	v_lshlrev_b32_sdwa v16, v16, v17 dst_sel:DWORD dst_unused:UNUSED_PAD src0_sel:DWORD src1_sel:BYTE_3
	v_bfe_u32 v14, v17, 27, 4
	v_sub_u32_e32 v15, 29, v15
	v_and_b32_e32 v16, 7, v16
	v_cmp_eq_u16_e32 vcc, 0, v12
	v_cndmask_b32_e32 v10, v10, v16, vcc
	v_cndmask_b32_e32 v12, v14, v15, vcc
	v_mov_b32_e32 v14, 0x3b800000
	v_and_b32_e32 v11, 0x80000000, v17
	v_lshlrev_b32_e32 v10, 20, v10
	v_lshl_add_u32 v12, v12, 23, v14
	v_or3_b32 v10, v11, v12, v10
.LBB57_892:
	s_or_b64 exec, exec, s[6:7]
	s_movk_i32 s4, 0x7f
	v_cmp_gt_i16_sdwa s[6:7], v13, s4 src0_sel:BYTE_3 src1_sel:DWORD
	s_mov_b64 s[4:5], 0
                                        ; implicit-def: $sgpr10
	s_and_saveexec_b64 s[8:9], s[6:7]
	s_xor_b64 s[6:7], exec, s[8:9]
	s_cbranch_execnz .LBB57_2941
; %bb.893:
	s_or_saveexec_b64 s[6:7], s[6:7]
	v_mov_b32_e32 v11, s10
	s_xor_b64 exec, exec, s[6:7]
	s_cbranch_execnz .LBB57_2944
.LBB57_894:
	s_or_b64 exec, exec, s[6:7]
	s_and_saveexec_b64 s[6:7], s[4:5]
	s_cbranch_execz .LBB57_896
.LBB57_895:
	v_bfe_u32 v11, v13, 24, 3
	v_ffbh_u32_e32 v16, v11
	v_min_u32_e32 v16, 32, v16
	v_lshrrev_b32_e32 v14, 27, v13
	v_subrev_u32_e32 v17, 28, v16
	v_and_b32_e32 v12, 0x80000000, v13
	v_and_b32_e32 v14, 15, v14
	v_bfe_u32 v15, v13, 27, 4
	v_lshlrev_b32_sdwa v13, v17, v13 dst_sel:DWORD dst_unused:UNUSED_PAD src0_sel:DWORD src1_sel:BYTE_3
	v_sub_u32_e32 v16, 29, v16
	v_and_b32_e32 v13, 7, v13
	v_cmp_eq_u16_e32 vcc, 0, v14
	v_cndmask_b32_e32 v11, v11, v13, vcc
	v_cndmask_b32_e32 v13, v15, v16, vcc
	v_mov_b32_e32 v14, 0x3b800000
	v_lshlrev_b32_e32 v11, 20, v11
	v_lshl_add_u32 v13, v13, 23, v14
	v_or3_b32 v11, v12, v13, v11
.LBB57_896:
	s_or_b64 exec, exec, s[6:7]
	s_nop 0
	v_mfma_f32_16x16x4f32 a[0:3], v10, v11, a[0:3]
	s_movk_i32 s4, 0x7f
	v_cmp_gt_i16_sdwa s[6:7], v6, s4 src0_sel:BYTE_0 src1_sel:DWORD
	s_mov_b64 s[4:5], 0
                                        ; implicit-def: $sgpr10
	s_and_saveexec_b64 s[8:9], s[6:7]
	s_xor_b64 s[6:7], exec, s[8:9]
	s_cbranch_execnz .LBB57_2945
; %bb.897:
	s_or_saveexec_b64 s[6:7], s[6:7]
	v_mov_b32_e32 v10, s10
	s_xor_b64 exec, exec, s[6:7]
	s_cbranch_execnz .LBB57_2948
.LBB57_898:
	s_or_b64 exec, exec, s[6:7]
	s_and_saveexec_b64 s[6:7], s[4:5]
	s_cbranch_execz .LBB57_900
.LBB57_899:
	v_and_b32_e32 v10, 7, v6
	v_ffbh_u32_e32 v12, v10
	v_min_u32_e32 v12, 32, v12
	v_lshrrev_b16_e32 v11, 3, v6
	v_subrev_u32_e32 v13, 28, v12
	v_and_b32_e32 v11, 15, v11
	v_lshlrev_b32_e32 v13, v13, v6
	v_sub_u32_e32 v12, 29, v12
	v_and_b32_e32 v13, 7, v13
	v_cmp_eq_u16_e32 vcc, 0, v11
	v_cndmask_b32_e32 v10, v10, v13, vcc
	v_cndmask_b32_e32 v11, v11, v12, vcc
	v_lshlrev_b32_e32 v12, 24, v6
	v_mov_b32_e32 v13, 0x3b800000
	v_lshlrev_b32_e32 v10, 20, v10
	v_and_b32_e32 v12, 0x80000000, v12
	v_lshl_add_u32 v11, v11, 23, v13
	v_or3_b32 v10, v12, v11, v10
.LBB57_900:
	s_or_b64 exec, exec, s[6:7]
	s_movk_i32 s4, 0x7f
	v_cmp_gt_i16_sdwa s[6:7], v2, s4 src0_sel:BYTE_0 src1_sel:DWORD
	s_mov_b64 s[4:5], 0
                                        ; implicit-def: $sgpr10
	s_and_saveexec_b64 s[8:9], s[6:7]
	s_xor_b64 s[6:7], exec, s[8:9]
	s_cbranch_execnz .LBB57_2949
; %bb.901:
	s_or_saveexec_b64 s[6:7], s[6:7]
	v_mov_b32_e32 v11, s10
	s_xor_b64 exec, exec, s[6:7]
	s_cbranch_execnz .LBB57_2952
.LBB57_902:
	s_or_b64 exec, exec, s[6:7]
	s_and_saveexec_b64 s[6:7], s[4:5]
	s_cbranch_execz .LBB57_904
.LBB57_903:
	v_and_b32_e32 v11, 7, v2
	v_ffbh_u32_e32 v13, v11
	v_min_u32_e32 v13, 32, v13
	v_lshrrev_b16_e32 v12, 3, v2
	v_subrev_u32_e32 v14, 28, v13
	v_and_b32_e32 v12, 15, v12
	v_lshlrev_b32_e32 v14, v14, v2
	v_sub_u32_e32 v13, 29, v13
	v_and_b32_e32 v14, 7, v14
	v_cmp_eq_u16_e32 vcc, 0, v12
	v_cndmask_b32_e32 v11, v11, v14, vcc
	v_cndmask_b32_e32 v12, v12, v13, vcc
	v_lshlrev_b32_e32 v13, 24, v2
	v_mov_b32_e32 v14, 0x3b800000
	v_lshlrev_b32_e32 v11, 20, v11
	v_and_b32_e32 v13, 0x80000000, v13
	v_lshl_add_u32 v12, v12, 23, v14
	v_or3_b32 v11, v13, v12, v11
.LBB57_904:
	s_or_b64 exec, exec, s[6:7]
	s_nop 0
	v_mfma_f32_16x16x4f32 a[0:3], v10, v11, a[0:3]
	v_lshrrev_b32_e32 v11, 8, v6
	s_movk_i32 s4, 0x7f
	v_cmp_gt_i16_sdwa s[6:7], v11, s4 src0_sel:BYTE_0 src1_sel:DWORD
	s_mov_b64 s[4:5], 0
                                        ; implicit-def: $sgpr10
	s_and_saveexec_b64 s[8:9], s[6:7]
	s_xor_b64 s[6:7], exec, s[8:9]
	s_cbranch_execnz .LBB57_2953
; %bb.905:
	s_or_saveexec_b64 s[6:7], s[6:7]
	v_mov_b32_e32 v10, s10
	s_xor_b64 exec, exec, s[6:7]
	s_cbranch_execnz .LBB57_2956
.LBB57_906:
	s_or_b64 exec, exec, s[6:7]
	s_and_saveexec_b64 s[6:7], s[4:5]
	s_cbranch_execz .LBB57_908
.LBB57_907:
	v_bfe_u32 v10, v6, 8, 3
	v_ffbh_u32_e32 v13, v10
	v_min_u32_e32 v13, 32, v13
	v_lshrrev_b16_e32 v12, 3, v11
	v_subrev_u32_e32 v14, 28, v13
	v_and_b32_e32 v12, 15, v12
	v_lshlrev_b32_e32 v11, v14, v11
	v_sub_u32_e32 v13, 29, v13
	v_and_b32_e32 v11, 7, v11
	v_cmp_eq_u16_e32 vcc, 0, v12
	v_cndmask_b32_e32 v10, v10, v11, vcc
	v_cndmask_b32_e32 v11, v12, v13, vcc
	v_lshlrev_b32_e32 v12, 16, v6
	v_mov_b32_e32 v13, 0x3b800000
	v_lshlrev_b32_e32 v10, 20, v10
	v_and_b32_e32 v12, 0x80000000, v12
	v_lshl_add_u32 v11, v11, 23, v13
	v_or3_b32 v10, v12, v11, v10
.LBB57_908:
	s_or_b64 exec, exec, s[6:7]
	v_lshrrev_b32_e32 v11, 8, v2
	s_movk_i32 s4, 0x7f
	v_cmp_gt_i16_sdwa s[6:7], v11, s4 src0_sel:BYTE_0 src1_sel:DWORD
	s_mov_b64 s[4:5], 0
                                        ; implicit-def: $sgpr10
	s_and_saveexec_b64 s[8:9], s[6:7]
	s_xor_b64 s[6:7], exec, s[8:9]
	s_cbranch_execnz .LBB57_2957
; %bb.909:
	s_or_saveexec_b64 s[6:7], s[6:7]
	v_mov_b32_e32 v12, s10
	s_xor_b64 exec, exec, s[6:7]
	s_cbranch_execnz .LBB57_2960
.LBB57_910:
	s_or_b64 exec, exec, s[6:7]
	s_and_saveexec_b64 s[6:7], s[4:5]
	s_cbranch_execz .LBB57_912
.LBB57_911:
	v_bfe_u32 v12, v2, 8, 3
	v_ffbh_u32_e32 v14, v12
	v_min_u32_e32 v14, 32, v14
	v_lshrrev_b16_e32 v13, 3, v11
	v_subrev_u32_e32 v15, 28, v14
	v_and_b32_e32 v13, 15, v13
	v_lshlrev_b32_e32 v11, v15, v11
	v_sub_u32_e32 v14, 29, v14
	v_and_b32_e32 v11, 7, v11
	v_cmp_eq_u16_e32 vcc, 0, v13
	v_cndmask_b32_e32 v11, v12, v11, vcc
	v_cndmask_b32_e32 v12, v13, v14, vcc
	v_lshlrev_b32_e32 v13, 16, v2
	v_mov_b32_e32 v14, 0x3b800000
	v_lshlrev_b32_e32 v11, 20, v11
	v_and_b32_e32 v13, 0x80000000, v13
	v_lshl_add_u32 v12, v12, 23, v14
	v_or3_b32 v12, v13, v12, v11
.LBB57_912:
	s_or_b64 exec, exec, s[6:7]
	s_nop 0
	v_mfma_f32_16x16x4f32 a[0:3], v10, v12, a[0:3]
	s_movk_i32 s4, 0xff
	v_and_b32_sdwa v11, v6, s4 dst_sel:DWORD dst_unused:UNUSED_PAD src0_sel:WORD_1 src1_sel:DWORD
	s_movk_i32 s4, 0x7f
	v_cmp_lt_i16_e32 vcc, s4, v11
	s_mov_b64 s[4:5], 0
                                        ; implicit-def: $sgpr10
	s_and_saveexec_b64 s[6:7], vcc
	s_xor_b64 s[6:7], exec, s[6:7]
	s_cbranch_execnz .LBB57_2961
; %bb.913:
	s_or_saveexec_b64 s[6:7], s[6:7]
	v_mov_b32_e32 v10, s10
	s_xor_b64 exec, exec, s[6:7]
	s_cbranch_execnz .LBB57_2964
.LBB57_914:
	s_or_b64 exec, exec, s[6:7]
	s_and_saveexec_b64 s[6:7], s[4:5]
	s_cbranch_execz .LBB57_916
.LBB57_915:
	v_bfe_u32 v10, v6, 16, 3
	v_ffbh_u32_e32 v13, v10
	v_min_u32_e32 v13, 32, v13
	v_lshrrev_b32_e32 v11, 19, v6
	v_subrev_u32_e32 v14, 28, v13
	v_and_b32_e32 v11, 15, v11
	v_lshlrev_b32_sdwa v14, v14, v6 dst_sel:DWORD dst_unused:UNUSED_PAD src0_sel:DWORD src1_sel:WORD_1
	v_bfe_u32 v12, v6, 19, 4
	v_sub_u32_e32 v13, 29, v13
	v_and_b32_e32 v14, 7, v14
	v_cmp_eq_u16_e32 vcc, 0, v11
	v_cndmask_b32_e32 v10, v10, v14, vcc
	v_cndmask_b32_e32 v11, v12, v13, vcc
	v_lshlrev_b32_e32 v12, 8, v6
	v_mov_b32_e32 v13, 0x3b800000
	v_lshlrev_b32_e32 v10, 20, v10
	v_and_b32_e32 v12, 0x80000000, v12
	v_lshl_add_u32 v11, v11, 23, v13
	v_or3_b32 v10, v12, v11, v10
.LBB57_916:
	s_or_b64 exec, exec, s[6:7]
	s_movk_i32 s4, 0xff
	v_and_b32_sdwa v11, v2, s4 dst_sel:DWORD dst_unused:UNUSED_PAD src0_sel:WORD_1 src1_sel:DWORD
	s_movk_i32 s4, 0x7f
	v_cmp_lt_i16_e32 vcc, s4, v11
	s_mov_b64 s[4:5], 0
                                        ; implicit-def: $sgpr10
	s_and_saveexec_b64 s[6:7], vcc
	s_xor_b64 s[6:7], exec, s[6:7]
	s_cbranch_execnz .LBB57_2965
; %bb.917:
	s_or_saveexec_b64 s[6:7], s[6:7]
	v_mov_b32_e32 v12, s10
	s_xor_b64 exec, exec, s[6:7]
	s_cbranch_execnz .LBB57_2968
.LBB57_918:
	s_or_b64 exec, exec, s[6:7]
	s_and_saveexec_b64 s[6:7], s[4:5]
	s_cbranch_execz .LBB57_920
.LBB57_919:
	v_bfe_u32 v11, v2, 16, 3
	v_ffbh_u32_e32 v14, v11
	v_min_u32_e32 v14, 32, v14
	v_lshrrev_b32_e32 v12, 19, v2
	v_subrev_u32_e32 v15, 28, v14
	v_and_b32_e32 v12, 15, v12
	v_lshlrev_b32_sdwa v15, v15, v2 dst_sel:DWORD dst_unused:UNUSED_PAD src0_sel:DWORD src1_sel:WORD_1
	v_bfe_u32 v13, v2, 19, 4
	v_sub_u32_e32 v14, 29, v14
	v_and_b32_e32 v15, 7, v15
	v_cmp_eq_u16_e32 vcc, 0, v12
	v_cndmask_b32_e32 v11, v11, v15, vcc
	v_cndmask_b32_e32 v12, v13, v14, vcc
	v_lshlrev_b32_e32 v13, 8, v2
	v_mov_b32_e32 v14, 0x3b800000
	v_lshlrev_b32_e32 v11, 20, v11
	v_and_b32_e32 v13, 0x80000000, v13
	v_lshl_add_u32 v12, v12, 23, v14
	v_or3_b32 v12, v13, v12, v11
.LBB57_920:
	s_or_b64 exec, exec, s[6:7]
	s_nop 0
	v_mfma_f32_16x16x4f32 a[0:3], v10, v12, a[0:3]
	s_movk_i32 s4, 0x7f
	v_cmp_gt_i16_sdwa s[6:7], v6, s4 src0_sel:BYTE_3 src1_sel:DWORD
	s_mov_b64 s[4:5], 0
                                        ; implicit-def: $sgpr10
	s_and_saveexec_b64 s[8:9], s[6:7]
	s_xor_b64 s[6:7], exec, s[8:9]
	s_cbranch_execnz .LBB57_2969
; %bb.921:
	s_or_saveexec_b64 s[6:7], s[6:7]
	v_mov_b32_e32 v10, s10
	s_xor_b64 exec, exec, s[6:7]
	s_cbranch_execnz .LBB57_2972
.LBB57_922:
	s_or_b64 exec, exec, s[6:7]
	s_and_saveexec_b64 s[6:7], s[4:5]
	s_cbranch_execz .LBB57_924
.LBB57_923:
	v_bfe_u32 v10, v6, 24, 3
	v_ffbh_u32_e32 v14, v10
	v_min_u32_e32 v14, 32, v14
	v_lshrrev_b32_e32 v12, 27, v6
	v_subrev_u32_e32 v15, 28, v14
	v_and_b32_e32 v11, 0x80000000, v6
	v_and_b32_e32 v12, 15, v12
	v_bfe_u32 v13, v6, 27, 4
	v_lshlrev_b32_sdwa v6, v15, v6 dst_sel:DWORD dst_unused:UNUSED_PAD src0_sel:DWORD src1_sel:BYTE_3
	v_sub_u32_e32 v14, 29, v14
	v_and_b32_e32 v6, 7, v6
	v_cmp_eq_u16_e32 vcc, 0, v12
	v_cndmask_b32_e32 v6, v10, v6, vcc
	v_cndmask_b32_e32 v10, v13, v14, vcc
	v_mov_b32_e32 v12, 0x3b800000
	v_lshlrev_b32_e32 v6, 20, v6
	v_lshl_add_u32 v10, v10, 23, v12
	v_or3_b32 v10, v11, v10, v6
.LBB57_924:
	s_or_b64 exec, exec, s[6:7]
	s_movk_i32 s4, 0x7f
	v_cmp_gt_i16_sdwa s[6:7], v2, s4 src0_sel:BYTE_3 src1_sel:DWORD
	s_mov_b64 s[4:5], 0
                                        ; implicit-def: $sgpr10
	s_and_saveexec_b64 s[8:9], s[6:7]
	s_xor_b64 s[6:7], exec, s[8:9]
	s_cbranch_execnz .LBB57_2973
; %bb.925:
	s_or_saveexec_b64 s[6:7], s[6:7]
	v_mov_b32_e32 v6, s10
	s_xor_b64 exec, exec, s[6:7]
	s_cbranch_execnz .LBB57_2976
.LBB57_926:
	s_or_b64 exec, exec, s[6:7]
	s_and_saveexec_b64 s[6:7], s[4:5]
	s_cbranch_execz .LBB57_928
.LBB57_927:
	v_bfe_u32 v6, v2, 24, 3
	v_ffbh_u32_e32 v14, v6
	v_min_u32_e32 v14, 32, v14
	v_lshrrev_b32_e32 v12, 27, v2
	v_subrev_u32_e32 v15, 28, v14
	v_and_b32_e32 v11, 0x80000000, v2
	v_and_b32_e32 v12, 15, v12
	v_bfe_u32 v13, v2, 27, 4
	v_lshlrev_b32_sdwa v2, v15, v2 dst_sel:DWORD dst_unused:UNUSED_PAD src0_sel:DWORD src1_sel:BYTE_3
	v_sub_u32_e32 v14, 29, v14
	v_and_b32_e32 v2, 7, v2
	v_cmp_eq_u16_e32 vcc, 0, v12
	v_cndmask_b32_e32 v2, v6, v2, vcc
	v_cndmask_b32_e32 v6, v13, v14, vcc
	v_mov_b32_e32 v12, 0x3b800000
	v_lshlrev_b32_e32 v2, 20, v2
	v_lshl_add_u32 v6, v6, 23, v12
	v_or3_b32 v6, v11, v6, v2
.LBB57_928:
	s_or_b64 exec, exec, s[6:7]
	s_nop 0
	v_mfma_f32_16x16x4f32 a[0:3], v10, v6, a[0:3]
	s_movk_i32 s4, 0x7f
	v_cmp_gt_i16_sdwa s[6:7], v7, s4 src0_sel:BYTE_0 src1_sel:DWORD
	s_mov_b64 s[4:5], 0
                                        ; implicit-def: $sgpr10
	s_and_saveexec_b64 s[8:9], s[6:7]
	s_xor_b64 s[6:7], exec, s[8:9]
	s_cbranch_execnz .LBB57_2977
; %bb.929:
	s_or_saveexec_b64 s[6:7], s[6:7]
	v_mov_b32_e32 v2, s10
	s_xor_b64 exec, exec, s[6:7]
	s_cbranch_execnz .LBB57_2980
.LBB57_930:
	s_or_b64 exec, exec, s[6:7]
	s_and_saveexec_b64 s[6:7], s[4:5]
	s_cbranch_execz .LBB57_932
.LBB57_931:
	v_and_b32_e32 v2, 7, v7
	v_ffbh_u32_e32 v10, v2
	v_min_u32_e32 v10, 32, v10
	v_lshrrev_b16_e32 v6, 3, v7
	v_subrev_u32_e32 v11, 28, v10
	v_and_b32_e32 v6, 15, v6
	v_lshlrev_b32_e32 v11, v11, v7
	v_sub_u32_e32 v10, 29, v10
	v_and_b32_e32 v11, 7, v11
	v_cmp_eq_u16_e32 vcc, 0, v6
	v_cndmask_b32_e32 v2, v2, v11, vcc
	v_cndmask_b32_e32 v6, v6, v10, vcc
	v_lshlrev_b32_e32 v10, 24, v7
	v_mov_b32_e32 v11, 0x3b800000
	v_lshlrev_b32_e32 v2, 20, v2
	v_and_b32_e32 v10, 0x80000000, v10
	v_lshl_add_u32 v6, v6, 23, v11
	v_or3_b32 v2, v10, v6, v2
.LBB57_932:
	s_or_b64 exec, exec, s[6:7]
	s_movk_i32 s4, 0x7f
	v_cmp_gt_i16_sdwa s[6:7], v3, s4 src0_sel:BYTE_0 src1_sel:DWORD
	s_mov_b64 s[4:5], 0
                                        ; implicit-def: $sgpr10
	s_and_saveexec_b64 s[8:9], s[6:7]
	s_xor_b64 s[6:7], exec, s[8:9]
	s_cbranch_execnz .LBB57_2981
; %bb.933:
	s_or_saveexec_b64 s[6:7], s[6:7]
	v_mov_b32_e32 v6, s10
	s_xor_b64 exec, exec, s[6:7]
	s_cbranch_execnz .LBB57_2984
.LBB57_934:
	s_or_b64 exec, exec, s[6:7]
	s_and_saveexec_b64 s[6:7], s[4:5]
	s_cbranch_execz .LBB57_936
.LBB57_935:
	v_and_b32_e32 v6, 7, v3
	v_ffbh_u32_e32 v11, v6
	v_min_u32_e32 v11, 32, v11
	v_lshrrev_b16_e32 v10, 3, v3
	v_subrev_u32_e32 v12, 28, v11
	v_and_b32_e32 v10, 15, v10
	v_lshlrev_b32_e32 v12, v12, v3
	v_sub_u32_e32 v11, 29, v11
	v_and_b32_e32 v12, 7, v12
	v_cmp_eq_u16_e32 vcc, 0, v10
	v_cndmask_b32_e32 v6, v6, v12, vcc
	v_cndmask_b32_e32 v10, v10, v11, vcc
	v_lshlrev_b32_e32 v11, 24, v3
	v_mov_b32_e32 v12, 0x3b800000
	v_lshlrev_b32_e32 v6, 20, v6
	v_and_b32_e32 v11, 0x80000000, v11
	v_lshl_add_u32 v10, v10, 23, v12
	v_or3_b32 v6, v11, v10, v6
.LBB57_936:
	s_or_b64 exec, exec, s[6:7]
	s_nop 0
	v_mfma_f32_16x16x4f32 a[0:3], v2, v6, a[0:3]
	v_lshrrev_b32_e32 v6, 8, v7
	s_movk_i32 s4, 0x7f
	v_cmp_gt_i16_sdwa s[6:7], v6, s4 src0_sel:BYTE_0 src1_sel:DWORD
	s_mov_b64 s[4:5], 0
                                        ; implicit-def: $sgpr10
	s_and_saveexec_b64 s[8:9], s[6:7]
	s_xor_b64 s[6:7], exec, s[8:9]
	s_cbranch_execnz .LBB57_2985
; %bb.937:
	s_or_saveexec_b64 s[6:7], s[6:7]
	v_mov_b32_e32 v2, s10
	s_xor_b64 exec, exec, s[6:7]
	s_cbranch_execnz .LBB57_2988
.LBB57_938:
	s_or_b64 exec, exec, s[6:7]
	s_and_saveexec_b64 s[6:7], s[4:5]
	s_cbranch_execz .LBB57_940
.LBB57_939:
	v_bfe_u32 v2, v7, 8, 3
	v_ffbh_u32_e32 v11, v2
	v_min_u32_e32 v11, 32, v11
	v_lshrrev_b16_e32 v10, 3, v6
	v_subrev_u32_e32 v12, 28, v11
	v_and_b32_e32 v10, 15, v10
	v_lshlrev_b32_e32 v6, v12, v6
	v_sub_u32_e32 v11, 29, v11
	v_and_b32_e32 v6, 7, v6
	v_cmp_eq_u16_e32 vcc, 0, v10
	v_cndmask_b32_e32 v2, v2, v6, vcc
	v_cndmask_b32_e32 v6, v10, v11, vcc
	v_lshlrev_b32_e32 v10, 16, v7
	v_mov_b32_e32 v11, 0x3b800000
	v_lshlrev_b32_e32 v2, 20, v2
	v_and_b32_e32 v10, 0x80000000, v10
	v_lshl_add_u32 v6, v6, 23, v11
	v_or3_b32 v2, v10, v6, v2
.LBB57_940:
	s_or_b64 exec, exec, s[6:7]
	v_lshrrev_b32_e32 v6, 8, v3
	s_movk_i32 s4, 0x7f
	v_cmp_gt_i16_sdwa s[6:7], v6, s4 src0_sel:BYTE_0 src1_sel:DWORD
	s_mov_b64 s[4:5], 0
                                        ; implicit-def: $sgpr10
	s_and_saveexec_b64 s[8:9], s[6:7]
	s_xor_b64 s[6:7], exec, s[8:9]
	s_cbranch_execnz .LBB57_2989
; %bb.941:
	s_or_saveexec_b64 s[6:7], s[6:7]
	v_mov_b32_e32 v10, s10
	s_xor_b64 exec, exec, s[6:7]
	s_cbranch_execnz .LBB57_2992
.LBB57_942:
	s_or_b64 exec, exec, s[6:7]
	s_and_saveexec_b64 s[6:7], s[4:5]
	s_cbranch_execz .LBB57_944
.LBB57_943:
	v_bfe_u32 v10, v3, 8, 3
	v_ffbh_u32_e32 v12, v10
	v_min_u32_e32 v12, 32, v12
	v_lshrrev_b16_e32 v11, 3, v6
	v_subrev_u32_e32 v13, 28, v12
	v_and_b32_e32 v11, 15, v11
	v_lshlrev_b32_e32 v6, v13, v6
	v_sub_u32_e32 v12, 29, v12
	v_and_b32_e32 v6, 7, v6
	v_cmp_eq_u16_e32 vcc, 0, v11
	v_cndmask_b32_e32 v6, v10, v6, vcc
	v_cndmask_b32_e32 v10, v11, v12, vcc
	v_lshlrev_b32_e32 v11, 16, v3
	v_mov_b32_e32 v12, 0x3b800000
	v_lshlrev_b32_e32 v6, 20, v6
	v_and_b32_e32 v11, 0x80000000, v11
	v_lshl_add_u32 v10, v10, 23, v12
	v_or3_b32 v10, v11, v10, v6
.LBB57_944:
	s_or_b64 exec, exec, s[6:7]
	s_nop 0
	v_mfma_f32_16x16x4f32 a[0:3], v2, v10, a[0:3]
	s_movk_i32 s4, 0xff
	v_and_b32_sdwa v6, v7, s4 dst_sel:DWORD dst_unused:UNUSED_PAD src0_sel:WORD_1 src1_sel:DWORD
	s_movk_i32 s4, 0x7f
	v_cmp_lt_i16_e32 vcc, s4, v6
	s_mov_b64 s[4:5], 0
                                        ; implicit-def: $sgpr10
	s_and_saveexec_b64 s[6:7], vcc
	s_xor_b64 s[6:7], exec, s[6:7]
	s_cbranch_execnz .LBB57_2993
; %bb.945:
	s_or_saveexec_b64 s[6:7], s[6:7]
	v_mov_b32_e32 v2, s10
	s_xor_b64 exec, exec, s[6:7]
	s_cbranch_execnz .LBB57_2996
.LBB57_946:
	s_or_b64 exec, exec, s[6:7]
	s_and_saveexec_b64 s[6:7], s[4:5]
	s_cbranch_execz .LBB57_948
.LBB57_947:
	v_bfe_u32 v2, v7, 16, 3
	v_ffbh_u32_e32 v11, v2
	v_min_u32_e32 v11, 32, v11
	v_lshrrev_b32_e32 v6, 19, v7
	v_subrev_u32_e32 v12, 28, v11
	v_and_b32_e32 v6, 15, v6
	v_lshlrev_b32_sdwa v12, v12, v7 dst_sel:DWORD dst_unused:UNUSED_PAD src0_sel:DWORD src1_sel:WORD_1
	v_bfe_u32 v10, v7, 19, 4
	v_sub_u32_e32 v11, 29, v11
	v_and_b32_e32 v12, 7, v12
	v_cmp_eq_u16_e32 vcc, 0, v6
	v_cndmask_b32_e32 v2, v2, v12, vcc
	v_cndmask_b32_e32 v6, v10, v11, vcc
	v_lshlrev_b32_e32 v10, 8, v7
	v_mov_b32_e32 v11, 0x3b800000
	v_lshlrev_b32_e32 v2, 20, v2
	v_and_b32_e32 v10, 0x80000000, v10
	v_lshl_add_u32 v6, v6, 23, v11
	v_or3_b32 v2, v10, v6, v2
.LBB57_948:
	s_or_b64 exec, exec, s[6:7]
	s_movk_i32 s4, 0xff
	v_and_b32_sdwa v6, v3, s4 dst_sel:DWORD dst_unused:UNUSED_PAD src0_sel:WORD_1 src1_sel:DWORD
	s_movk_i32 s4, 0x7f
	v_cmp_lt_i16_e32 vcc, s4, v6
	s_mov_b64 s[4:5], 0
                                        ; implicit-def: $sgpr10
	s_and_saveexec_b64 s[6:7], vcc
	s_xor_b64 s[6:7], exec, s[6:7]
	s_cbranch_execnz .LBB57_2997
; %bb.949:
	s_or_saveexec_b64 s[6:7], s[6:7]
	v_mov_b32_e32 v10, s10
	s_xor_b64 exec, exec, s[6:7]
	s_cbranch_execnz .LBB57_3000
.LBB57_950:
	s_or_b64 exec, exec, s[6:7]
	s_and_saveexec_b64 s[6:7], s[4:5]
	s_cbranch_execz .LBB57_952
.LBB57_951:
	v_bfe_u32 v6, v3, 16, 3
	v_ffbh_u32_e32 v12, v6
	v_min_u32_e32 v12, 32, v12
	v_lshrrev_b32_e32 v10, 19, v3
	v_subrev_u32_e32 v13, 28, v12
	v_and_b32_e32 v10, 15, v10
	v_lshlrev_b32_sdwa v13, v13, v3 dst_sel:DWORD dst_unused:UNUSED_PAD src0_sel:DWORD src1_sel:WORD_1
	v_bfe_u32 v11, v3, 19, 4
	v_sub_u32_e32 v12, 29, v12
	v_and_b32_e32 v13, 7, v13
	v_cmp_eq_u16_e32 vcc, 0, v10
	v_cndmask_b32_e32 v6, v6, v13, vcc
	v_cndmask_b32_e32 v10, v11, v12, vcc
	v_lshlrev_b32_e32 v11, 8, v3
	v_mov_b32_e32 v12, 0x3b800000
	v_lshlrev_b32_e32 v6, 20, v6
	v_and_b32_e32 v11, 0x80000000, v11
	v_lshl_add_u32 v10, v10, 23, v12
	v_or3_b32 v10, v11, v10, v6
.LBB57_952:
	s_or_b64 exec, exec, s[6:7]
	s_nop 0
	v_mfma_f32_16x16x4f32 a[0:3], v2, v10, a[0:3]
	s_movk_i32 s4, 0x7f
	v_cmp_gt_i16_sdwa s[6:7], v7, s4 src0_sel:BYTE_3 src1_sel:DWORD
	s_mov_b64 s[4:5], 0
                                        ; implicit-def: $sgpr10
	s_and_saveexec_b64 s[8:9], s[6:7]
	s_xor_b64 s[6:7], exec, s[8:9]
	s_cbranch_execnz .LBB57_3001
; %bb.953:
	s_or_saveexec_b64 s[6:7], s[6:7]
	v_mov_b32_e32 v2, s10
	s_xor_b64 exec, exec, s[6:7]
	s_cbranch_execnz .LBB57_3004
.LBB57_954:
	s_or_b64 exec, exec, s[6:7]
	s_and_saveexec_b64 s[6:7], s[4:5]
	s_cbranch_execz .LBB57_956
.LBB57_955:
	v_bfe_u32 v2, v7, 24, 3
	v_ffbh_u32_e32 v12, v2
	v_min_u32_e32 v12, 32, v12
	v_lshrrev_b32_e32 v10, 27, v7
	v_subrev_u32_e32 v13, 28, v12
	v_and_b32_e32 v6, 0x80000000, v7
	v_and_b32_e32 v10, 15, v10
	v_bfe_u32 v11, v7, 27, 4
	v_lshlrev_b32_sdwa v7, v13, v7 dst_sel:DWORD dst_unused:UNUSED_PAD src0_sel:DWORD src1_sel:BYTE_3
	v_sub_u32_e32 v12, 29, v12
	v_and_b32_e32 v7, 7, v7
	v_cmp_eq_u16_e32 vcc, 0, v10
	v_cndmask_b32_e32 v2, v2, v7, vcc
	v_cndmask_b32_e32 v7, v11, v12, vcc
	v_mov_b32_e32 v10, 0x3b800000
	v_lshlrev_b32_e32 v2, 20, v2
	v_lshl_add_u32 v7, v7, 23, v10
	v_or3_b32 v2, v6, v7, v2
.LBB57_956:
	s_or_b64 exec, exec, s[6:7]
	s_movk_i32 s4, 0x7f
	v_cmp_gt_i16_sdwa s[6:7], v3, s4 src0_sel:BYTE_3 src1_sel:DWORD
	s_mov_b64 s[4:5], 0
                                        ; implicit-def: $sgpr10
	s_and_saveexec_b64 s[8:9], s[6:7]
	s_xor_b64 s[6:7], exec, s[8:9]
	s_cbranch_execnz .LBB57_3005
; %bb.957:
	s_or_saveexec_b64 s[6:7], s[6:7]
	v_mov_b32_e32 v6, s10
	s_xor_b64 exec, exec, s[6:7]
	s_cbranch_execnz .LBB57_3008
.LBB57_958:
	s_or_b64 exec, exec, s[6:7]
	s_and_saveexec_b64 s[6:7], s[4:5]
	s_cbranch_execz .LBB57_960
.LBB57_959:
	v_bfe_u32 v6, v3, 24, 3
	v_ffbh_u32_e32 v12, v6
	v_min_u32_e32 v12, 32, v12
	v_lshrrev_b32_e32 v10, 27, v3
	v_subrev_u32_e32 v13, 28, v12
	v_and_b32_e32 v7, 0x80000000, v3
	v_and_b32_e32 v10, 15, v10
	v_bfe_u32 v11, v3, 27, 4
	v_lshlrev_b32_sdwa v3, v13, v3 dst_sel:DWORD dst_unused:UNUSED_PAD src0_sel:DWORD src1_sel:BYTE_3
	v_sub_u32_e32 v12, 29, v12
	v_and_b32_e32 v3, 7, v3
	v_cmp_eq_u16_e32 vcc, 0, v10
	v_cndmask_b32_e32 v3, v6, v3, vcc
	v_cndmask_b32_e32 v6, v11, v12, vcc
	v_mov_b32_e32 v10, 0x3b800000
	v_lshlrev_b32_e32 v3, 20, v3
	v_lshl_add_u32 v6, v6, 23, v10
	v_or3_b32 v6, v7, v6, v3
.LBB57_960:
	s_or_b64 exec, exec, s[6:7]
	s_nop 0
	v_mfma_f32_16x16x4f32 a[0:3], v2, v6, a[0:3]
	s_movk_i32 s4, 0x7f
	v_cmp_gt_i16_sdwa s[6:7], v8, s4 src0_sel:BYTE_0 src1_sel:DWORD
	s_mov_b64 s[4:5], 0
                                        ; implicit-def: $sgpr10
	s_and_saveexec_b64 s[8:9], s[6:7]
	s_xor_b64 s[6:7], exec, s[8:9]
	s_cbranch_execnz .LBB57_3009
; %bb.961:
	s_or_saveexec_b64 s[6:7], s[6:7]
	v_mov_b32_e32 v2, s10
	s_xor_b64 exec, exec, s[6:7]
	s_cbranch_execnz .LBB57_3012
.LBB57_962:
	s_or_b64 exec, exec, s[6:7]
	s_and_saveexec_b64 s[6:7], s[4:5]
	s_cbranch_execz .LBB57_964
.LBB57_963:
	v_and_b32_e32 v2, 7, v8
	v_ffbh_u32_e32 v6, v2
	v_min_u32_e32 v6, 32, v6
	v_lshrrev_b16_e32 v3, 3, v8
	v_subrev_u32_e32 v7, 28, v6
	v_and_b32_e32 v3, 15, v3
	v_lshlrev_b32_e32 v7, v7, v8
	v_sub_u32_e32 v6, 29, v6
	v_and_b32_e32 v7, 7, v7
	v_cmp_eq_u16_e32 vcc, 0, v3
	v_cndmask_b32_e32 v2, v2, v7, vcc
	v_cndmask_b32_e32 v3, v3, v6, vcc
	v_lshlrev_b32_e32 v6, 24, v8
	v_mov_b32_e32 v7, 0x3b800000
	v_lshlrev_b32_e32 v2, 20, v2
	v_and_b32_e32 v6, 0x80000000, v6
	v_lshl_add_u32 v3, v3, 23, v7
	v_or3_b32 v2, v6, v3, v2
.LBB57_964:
	s_or_b64 exec, exec, s[6:7]
	s_movk_i32 s4, 0x7f
	v_cmp_gt_i16_sdwa s[6:7], v4, s4 src0_sel:BYTE_0 src1_sel:DWORD
	s_mov_b64 s[4:5], 0
                                        ; implicit-def: $sgpr10
	s_and_saveexec_b64 s[8:9], s[6:7]
	s_xor_b64 s[6:7], exec, s[8:9]
	s_cbranch_execnz .LBB57_3013
; %bb.965:
	s_or_saveexec_b64 s[6:7], s[6:7]
	v_mov_b32_e32 v3, s10
	s_xor_b64 exec, exec, s[6:7]
	s_cbranch_execnz .LBB57_3016
.LBB57_966:
	s_or_b64 exec, exec, s[6:7]
	s_and_saveexec_b64 s[6:7], s[4:5]
	s_cbranch_execz .LBB57_968
.LBB57_967:
	v_and_b32_e32 v3, 7, v4
	v_ffbh_u32_e32 v7, v3
	v_min_u32_e32 v7, 32, v7
	v_lshrrev_b16_e32 v6, 3, v4
	v_subrev_u32_e32 v10, 28, v7
	v_and_b32_e32 v6, 15, v6
	v_lshlrev_b32_e32 v10, v10, v4
	v_sub_u32_e32 v7, 29, v7
	v_and_b32_e32 v10, 7, v10
	v_cmp_eq_u16_e32 vcc, 0, v6
	v_cndmask_b32_e32 v3, v3, v10, vcc
	v_cndmask_b32_e32 v6, v6, v7, vcc
	v_lshlrev_b32_e32 v7, 24, v4
	v_mov_b32_e32 v10, 0x3b800000
	v_lshlrev_b32_e32 v3, 20, v3
	v_and_b32_e32 v7, 0x80000000, v7
	v_lshl_add_u32 v6, v6, 23, v10
	v_or3_b32 v3, v7, v6, v3
.LBB57_968:
	s_or_b64 exec, exec, s[6:7]
	s_nop 0
	v_mfma_f32_16x16x4f32 a[0:3], v2, v3, a[0:3]
	v_lshrrev_b32_e32 v3, 8, v8
	s_movk_i32 s4, 0x7f
	v_cmp_gt_i16_sdwa s[6:7], v3, s4 src0_sel:BYTE_0 src1_sel:DWORD
	s_mov_b64 s[4:5], 0
                                        ; implicit-def: $sgpr10
	s_and_saveexec_b64 s[8:9], s[6:7]
	s_xor_b64 s[6:7], exec, s[8:9]
	s_cbranch_execnz .LBB57_3017
; %bb.969:
	s_or_saveexec_b64 s[6:7], s[6:7]
	v_mov_b32_e32 v2, s10
	s_xor_b64 exec, exec, s[6:7]
	s_cbranch_execnz .LBB57_3020
.LBB57_970:
	s_or_b64 exec, exec, s[6:7]
	s_and_saveexec_b64 s[6:7], s[4:5]
	s_cbranch_execz .LBB57_972
.LBB57_971:
	v_bfe_u32 v2, v8, 8, 3
	v_ffbh_u32_e32 v7, v2
	v_min_u32_e32 v7, 32, v7
	v_lshrrev_b16_e32 v6, 3, v3
	v_subrev_u32_e32 v10, 28, v7
	v_and_b32_e32 v6, 15, v6
	v_lshlrev_b32_e32 v3, v10, v3
	v_sub_u32_e32 v7, 29, v7
	v_and_b32_e32 v3, 7, v3
	v_cmp_eq_u16_e32 vcc, 0, v6
	v_cndmask_b32_e32 v2, v2, v3, vcc
	v_cndmask_b32_e32 v3, v6, v7, vcc
	v_lshlrev_b32_e32 v6, 16, v8
	v_mov_b32_e32 v7, 0x3b800000
	v_lshlrev_b32_e32 v2, 20, v2
	v_and_b32_e32 v6, 0x80000000, v6
	v_lshl_add_u32 v3, v3, 23, v7
	v_or3_b32 v2, v6, v3, v2
.LBB57_972:
	s_or_b64 exec, exec, s[6:7]
	v_lshrrev_b32_e32 v3, 8, v4
	s_movk_i32 s4, 0x7f
	v_cmp_gt_i16_sdwa s[6:7], v3, s4 src0_sel:BYTE_0 src1_sel:DWORD
	s_mov_b64 s[4:5], 0
                                        ; implicit-def: $sgpr10
	s_and_saveexec_b64 s[8:9], s[6:7]
	s_xor_b64 s[6:7], exec, s[8:9]
	s_cbranch_execnz .LBB57_3021
; %bb.973:
	s_or_saveexec_b64 s[6:7], s[6:7]
	v_mov_b32_e32 v6, s10
	s_xor_b64 exec, exec, s[6:7]
	s_cbranch_execnz .LBB57_3024
.LBB57_974:
	s_or_b64 exec, exec, s[6:7]
	s_and_saveexec_b64 s[6:7], s[4:5]
	s_cbranch_execz .LBB57_976
.LBB57_975:
	v_bfe_u32 v6, v4, 8, 3
	v_ffbh_u32_e32 v10, v6
	v_min_u32_e32 v10, 32, v10
	v_lshrrev_b16_e32 v7, 3, v3
	v_subrev_u32_e32 v11, 28, v10
	v_and_b32_e32 v7, 15, v7
	v_lshlrev_b32_e32 v3, v11, v3
	v_sub_u32_e32 v10, 29, v10
	v_and_b32_e32 v3, 7, v3
	v_cmp_eq_u16_e32 vcc, 0, v7
	v_cndmask_b32_e32 v3, v6, v3, vcc
	v_cndmask_b32_e32 v6, v7, v10, vcc
	v_lshlrev_b32_e32 v7, 16, v4
	v_mov_b32_e32 v10, 0x3b800000
	v_lshlrev_b32_e32 v3, 20, v3
	v_and_b32_e32 v7, 0x80000000, v7
	v_lshl_add_u32 v6, v6, 23, v10
	v_or3_b32 v6, v7, v6, v3
.LBB57_976:
	s_or_b64 exec, exec, s[6:7]
	s_nop 0
	v_mfma_f32_16x16x4f32 a[0:3], v2, v6, a[0:3]
	s_movk_i32 s4, 0xff
	v_and_b32_sdwa v3, v8, s4 dst_sel:DWORD dst_unused:UNUSED_PAD src0_sel:WORD_1 src1_sel:DWORD
	s_movk_i32 s4, 0x7f
	v_cmp_lt_i16_e32 vcc, s4, v3
	s_mov_b64 s[4:5], 0
                                        ; implicit-def: $sgpr10
	s_and_saveexec_b64 s[6:7], vcc
	s_xor_b64 s[6:7], exec, s[6:7]
	s_cbranch_execnz .LBB57_3025
; %bb.977:
	s_or_saveexec_b64 s[6:7], s[6:7]
	v_mov_b32_e32 v2, s10
	s_xor_b64 exec, exec, s[6:7]
	s_cbranch_execnz .LBB57_3028
.LBB57_978:
	s_or_b64 exec, exec, s[6:7]
	s_and_saveexec_b64 s[6:7], s[4:5]
	s_cbranch_execz .LBB57_980
.LBB57_979:
	v_bfe_u32 v2, v8, 16, 3
	v_ffbh_u32_e32 v7, v2
	v_min_u32_e32 v7, 32, v7
	v_lshrrev_b32_e32 v3, 19, v8
	v_subrev_u32_e32 v10, 28, v7
	v_and_b32_e32 v3, 15, v3
	v_lshlrev_b32_sdwa v10, v10, v8 dst_sel:DWORD dst_unused:UNUSED_PAD src0_sel:DWORD src1_sel:WORD_1
	v_bfe_u32 v6, v8, 19, 4
	v_sub_u32_e32 v7, 29, v7
	v_and_b32_e32 v10, 7, v10
	v_cmp_eq_u16_e32 vcc, 0, v3
	v_cndmask_b32_e32 v2, v2, v10, vcc
	v_cndmask_b32_e32 v3, v6, v7, vcc
	v_lshlrev_b32_e32 v6, 8, v8
	v_mov_b32_e32 v7, 0x3b800000
	v_lshlrev_b32_e32 v2, 20, v2
	v_and_b32_e32 v6, 0x80000000, v6
	v_lshl_add_u32 v3, v3, 23, v7
	v_or3_b32 v2, v6, v3, v2
.LBB57_980:
	s_or_b64 exec, exec, s[6:7]
	s_movk_i32 s4, 0xff
	v_and_b32_sdwa v3, v4, s4 dst_sel:DWORD dst_unused:UNUSED_PAD src0_sel:WORD_1 src1_sel:DWORD
	s_movk_i32 s4, 0x7f
	v_cmp_lt_i16_e32 vcc, s4, v3
	s_mov_b64 s[4:5], 0
                                        ; implicit-def: $sgpr10
	s_and_saveexec_b64 s[6:7], vcc
	s_xor_b64 s[6:7], exec, s[6:7]
	s_cbranch_execnz .LBB57_3029
; %bb.981:
	s_or_saveexec_b64 s[6:7], s[6:7]
	v_mov_b32_e32 v6, s10
	s_xor_b64 exec, exec, s[6:7]
	s_cbranch_execnz .LBB57_3032
.LBB57_982:
	s_or_b64 exec, exec, s[6:7]
	s_and_saveexec_b64 s[6:7], s[4:5]
	s_cbranch_execz .LBB57_984
.LBB57_983:
	v_bfe_u32 v3, v4, 16, 3
	v_ffbh_u32_e32 v10, v3
	v_min_u32_e32 v10, 32, v10
	v_lshrrev_b32_e32 v6, 19, v4
	v_subrev_u32_e32 v11, 28, v10
	v_and_b32_e32 v6, 15, v6
	v_lshlrev_b32_sdwa v11, v11, v4 dst_sel:DWORD dst_unused:UNUSED_PAD src0_sel:DWORD src1_sel:WORD_1
	v_bfe_u32 v7, v4, 19, 4
	v_sub_u32_e32 v10, 29, v10
	v_and_b32_e32 v11, 7, v11
	v_cmp_eq_u16_e32 vcc, 0, v6
	v_cndmask_b32_e32 v3, v3, v11, vcc
	v_cndmask_b32_e32 v6, v7, v10, vcc
	v_lshlrev_b32_e32 v7, 8, v4
	v_mov_b32_e32 v10, 0x3b800000
	v_lshlrev_b32_e32 v3, 20, v3
	v_and_b32_e32 v7, 0x80000000, v7
	v_lshl_add_u32 v6, v6, 23, v10
	v_or3_b32 v6, v7, v6, v3
.LBB57_984:
	s_or_b64 exec, exec, s[6:7]
	s_nop 0
	v_mfma_f32_16x16x4f32 a[0:3], v2, v6, a[0:3]
	s_movk_i32 s4, 0x7f
	v_cmp_gt_i16_sdwa s[6:7], v8, s4 src0_sel:BYTE_3 src1_sel:DWORD
	s_mov_b64 s[4:5], 0
                                        ; implicit-def: $sgpr10
	s_and_saveexec_b64 s[8:9], s[6:7]
	s_xor_b64 s[6:7], exec, s[8:9]
	s_cbranch_execnz .LBB57_3033
; %bb.985:
	s_or_saveexec_b64 s[6:7], s[6:7]
	v_mov_b32_e32 v2, s10
	s_xor_b64 exec, exec, s[6:7]
	s_cbranch_execnz .LBB57_3036
.LBB57_986:
	s_or_b64 exec, exec, s[6:7]
	s_and_saveexec_b64 s[6:7], s[4:5]
	s_cbranch_execz .LBB57_988
.LBB57_987:
	v_bfe_u32 v2, v8, 24, 3
	v_ffbh_u32_e32 v10, v2
	v_min_u32_e32 v10, 32, v10
	v_lshrrev_b32_e32 v6, 27, v8
	v_subrev_u32_e32 v11, 28, v10
	v_and_b32_e32 v3, 0x80000000, v8
	v_and_b32_e32 v6, 15, v6
	v_bfe_u32 v7, v8, 27, 4
	v_lshlrev_b32_sdwa v8, v11, v8 dst_sel:DWORD dst_unused:UNUSED_PAD src0_sel:DWORD src1_sel:BYTE_3
	v_sub_u32_e32 v10, 29, v10
	v_and_b32_e32 v8, 7, v8
	v_cmp_eq_u16_e32 vcc, 0, v6
	v_cndmask_b32_e32 v2, v2, v8, vcc
	v_cndmask_b32_e32 v6, v7, v10, vcc
	v_mov_b32_e32 v7, 0x3b800000
	v_lshlrev_b32_e32 v2, 20, v2
	v_lshl_add_u32 v6, v6, 23, v7
	v_or3_b32 v2, v3, v6, v2
.LBB57_988:
	s_or_b64 exec, exec, s[6:7]
	s_movk_i32 s4, 0x7f
	v_cmp_gt_i16_sdwa s[6:7], v4, s4 src0_sel:BYTE_3 src1_sel:DWORD
	s_mov_b64 s[4:5], 0
                                        ; implicit-def: $sgpr10
	s_and_saveexec_b64 s[8:9], s[6:7]
	s_xor_b64 s[6:7], exec, s[8:9]
	s_cbranch_execnz .LBB57_3037
; %bb.989:
	s_or_saveexec_b64 s[6:7], s[6:7]
	v_mov_b32_e32 v3, s10
	s_xor_b64 exec, exec, s[6:7]
	s_cbranch_execnz .LBB57_3040
.LBB57_990:
	s_or_b64 exec, exec, s[6:7]
	s_and_saveexec_b64 s[6:7], s[4:5]
	s_cbranch_execz .LBB57_992
.LBB57_991:
	v_bfe_u32 v3, v4, 24, 3
	v_ffbh_u32_e32 v10, v3
	v_min_u32_e32 v10, 32, v10
	v_lshrrev_b32_e32 v7, 27, v4
	v_subrev_u32_e32 v11, 28, v10
	v_and_b32_e32 v6, 0x80000000, v4
	v_and_b32_e32 v7, 15, v7
	v_bfe_u32 v8, v4, 27, 4
	v_lshlrev_b32_sdwa v4, v11, v4 dst_sel:DWORD dst_unused:UNUSED_PAD src0_sel:DWORD src1_sel:BYTE_3
	v_sub_u32_e32 v10, 29, v10
	v_and_b32_e32 v4, 7, v4
	v_cmp_eq_u16_e32 vcc, 0, v7
	v_cndmask_b32_e32 v3, v3, v4, vcc
	v_cndmask_b32_e32 v4, v8, v10, vcc
	v_mov_b32_e32 v7, 0x3b800000
	v_lshlrev_b32_e32 v3, 20, v3
	v_lshl_add_u32 v4, v4, 23, v7
	v_or3_b32 v3, v6, v4, v3
.LBB57_992:
	s_or_b64 exec, exec, s[6:7]
	s_nop 0
	v_mfma_f32_16x16x4f32 a[0:3], v2, v3, a[0:3]
	s_movk_i32 s4, 0x7f
	v_cmp_gt_i16_sdwa s[6:7], v9, s4 src0_sel:BYTE_0 src1_sel:DWORD
	s_mov_b64 s[4:5], 0
                                        ; implicit-def: $sgpr10
	s_and_saveexec_b64 s[8:9], s[6:7]
	s_xor_b64 s[6:7], exec, s[8:9]
	s_cbranch_execnz .LBB57_3041
; %bb.993:
	s_or_saveexec_b64 s[6:7], s[6:7]
	v_mov_b32_e32 v2, s10
	s_xor_b64 exec, exec, s[6:7]
	s_cbranch_execnz .LBB57_3044
.LBB57_994:
	s_or_b64 exec, exec, s[6:7]
	s_and_saveexec_b64 s[6:7], s[4:5]
	s_cbranch_execz .LBB57_996
.LBB57_995:
	v_mov_b32_e32 v2, 8
	v_and_b32_e32 v3, 7, v9
	v_lshrrev_b32_sdwa v2, v2, v9 dst_sel:BYTE_1 dst_unused:UNUSED_PAD src0_sel:DWORD src1_sel:DWORD
	v_ffbh_u32_e32 v4, v3
	v_or_b32_sdwa v2, v9, v2 dst_sel:DWORD dst_unused:UNUSED_PAD src0_sel:BYTE_0 src1_sel:DWORD
	v_min_u32_e32 v4, 32, v4
	v_lshrrev_b16_e32 v2, 3, v2
	v_subrev_u32_e32 v6, 28, v4
	v_and_b32_e32 v2, 15, v2
	v_lshlrev_b32_e32 v6, v6, v9
	v_sub_u32_e32 v4, 29, v4
	v_and_b32_e32 v6, 7, v6
	v_cmp_eq_u16_e32 vcc, 0, v2
	v_cndmask_b32_e32 v3, v3, v6, vcc
	v_cndmask_b32_e32 v2, v2, v4, vcc
	v_lshlrev_b32_e32 v4, 24, v9
	v_mov_b32_e32 v6, 0x3b800000
	v_lshlrev_b32_e32 v3, 20, v3
	v_and_b32_e32 v4, 0x80000000, v4
	v_lshl_add_u32 v2, v2, 23, v6
	v_or3_b32 v2, v4, v2, v3
.LBB57_996:
	s_or_b64 exec, exec, s[6:7]
	s_movk_i32 s4, 0x7f
	v_cmp_gt_i16_sdwa s[6:7], v5, s4 src0_sel:BYTE_0 src1_sel:DWORD
	s_mov_b64 s[4:5], 0
                                        ; implicit-def: $sgpr10
	s_and_saveexec_b64 s[8:9], s[6:7]
	s_xor_b64 s[6:7], exec, s[8:9]
	s_cbranch_execnz .LBB57_3045
; %bb.997:
	s_or_saveexec_b64 s[6:7], s[6:7]
	v_mov_b32_e32 v3, s10
	s_xor_b64 exec, exec, s[6:7]
	s_cbranch_execnz .LBB57_3048
.LBB57_998:
	s_or_b64 exec, exec, s[6:7]
	s_and_saveexec_b64 s[6:7], s[4:5]
	s_cbranch_execz .LBB57_1000
.LBB57_999:
	v_mov_b32_e32 v3, 8
	v_and_b32_e32 v4, 7, v5
	v_lshrrev_b32_sdwa v3, v3, v5 dst_sel:BYTE_1 dst_unused:UNUSED_PAD src0_sel:DWORD src1_sel:DWORD
	v_ffbh_u32_e32 v6, v4
	v_or_b32_sdwa v3, v5, v3 dst_sel:DWORD dst_unused:UNUSED_PAD src0_sel:BYTE_0 src1_sel:DWORD
	v_min_u32_e32 v6, 32, v6
	v_lshrrev_b16_e32 v3, 3, v3
	v_subrev_u32_e32 v7, 28, v6
	v_and_b32_e32 v3, 15, v3
	v_lshlrev_b32_e32 v7, v7, v5
	v_sub_u32_e32 v6, 29, v6
	v_and_b32_e32 v7, 7, v7
	v_cmp_eq_u16_e32 vcc, 0, v3
	v_cndmask_b32_e32 v4, v4, v7, vcc
	v_cndmask_b32_e32 v3, v3, v6, vcc
	v_lshlrev_b32_e32 v6, 24, v5
	v_mov_b32_e32 v7, 0x3b800000
	v_lshlrev_b32_e32 v4, 20, v4
	v_and_b32_e32 v6, 0x80000000, v6
	v_lshl_add_u32 v3, v3, 23, v7
	v_or3_b32 v3, v6, v3, v4
.LBB57_1000:
	s_or_b64 exec, exec, s[6:7]
	s_nop 0
	v_mfma_f32_16x16x4f32 a[0:3], v2, v3, a[0:3]
	v_lshrrev_b32_e32 v3, 8, v9
	s_movk_i32 s4, 0x7f
	v_cmp_gt_i16_sdwa s[6:7], v3, s4 src0_sel:BYTE_0 src1_sel:DWORD
	s_mov_b64 s[4:5], 0
                                        ; implicit-def: $sgpr10
	s_and_saveexec_b64 s[8:9], s[6:7]
	s_xor_b64 s[6:7], exec, s[8:9]
	s_cbranch_execnz .LBB57_3049
; %bb.1001:
	s_or_saveexec_b64 s[6:7], s[6:7]
	v_mov_b32_e32 v2, s10
	s_xor_b64 exec, exec, s[6:7]
	s_cbranch_execnz .LBB57_3052
.LBB57_1002:
	s_or_b64 exec, exec, s[6:7]
	s_and_saveexec_b64 s[6:7], s[4:5]
	s_cbranch_execz .LBB57_1004
.LBB57_1003:
	v_bfe_u32 v2, v9, 8, 3
	v_ffbh_u32_e32 v6, v2
	v_min_u32_e32 v6, 32, v6
	v_lshrrev_b16_e32 v4, 3, v3
	v_subrev_u32_e32 v7, 28, v6
	v_and_b32_e32 v4, 15, v4
	v_lshlrev_b32_e32 v3, v7, v3
	v_sub_u32_e32 v6, 29, v6
	v_and_b32_e32 v3, 7, v3
	v_cmp_eq_u16_e32 vcc, 0, v4
	v_cndmask_b32_e32 v2, v2, v3, vcc
	v_cndmask_b32_e32 v3, v4, v6, vcc
	v_lshlrev_b32_e32 v4, 16, v9
	v_mov_b32_e32 v6, 0x3b800000
	v_lshlrev_b32_e32 v2, 20, v2
	v_and_b32_e32 v4, 0x80000000, v4
	v_lshl_add_u32 v3, v3, 23, v6
	v_or3_b32 v2, v4, v3, v2
.LBB57_1004:
	s_or_b64 exec, exec, s[6:7]
	v_lshrrev_b32_e32 v3, 8, v5
	s_movk_i32 s4, 0x7f
	v_cmp_gt_i16_sdwa s[6:7], v3, s4 src0_sel:BYTE_0 src1_sel:DWORD
	s_mov_b64 s[4:5], 0
                                        ; implicit-def: $sgpr10
	s_and_saveexec_b64 s[8:9], s[6:7]
	s_xor_b64 s[6:7], exec, s[8:9]
	s_cbranch_execnz .LBB57_3053
; %bb.1005:
	s_or_saveexec_b64 s[6:7], s[6:7]
	v_mov_b32_e32 v4, s10
	s_xor_b64 exec, exec, s[6:7]
	s_cbranch_execnz .LBB57_3056
.LBB57_1006:
	s_or_b64 exec, exec, s[6:7]
	s_and_saveexec_b64 s[6:7], s[4:5]
	s_cbranch_execz .LBB57_1008
.LBB57_1007:
	v_bfe_u32 v4, v5, 8, 3
	v_ffbh_u32_e32 v7, v4
	v_min_u32_e32 v7, 32, v7
	v_lshrrev_b16_e32 v6, 3, v3
	v_subrev_u32_e32 v8, 28, v7
	v_and_b32_e32 v6, 15, v6
	v_lshlrev_b32_e32 v3, v8, v3
	v_sub_u32_e32 v7, 29, v7
	v_and_b32_e32 v3, 7, v3
	v_cmp_eq_u16_e32 vcc, 0, v6
	v_cndmask_b32_e32 v3, v4, v3, vcc
	v_cndmask_b32_e32 v4, v6, v7, vcc
	v_lshlrev_b32_e32 v6, 16, v5
	v_mov_b32_e32 v7, 0x3b800000
	v_lshlrev_b32_e32 v3, 20, v3
	v_and_b32_e32 v6, 0x80000000, v6
	v_lshl_add_u32 v4, v4, 23, v7
	v_or3_b32 v4, v6, v4, v3
.LBB57_1008:
	s_or_b64 exec, exec, s[6:7]
	s_nop 0
	v_mfma_f32_16x16x4f32 a[0:3], v2, v4, a[0:3]
	s_movk_i32 s4, 0xff
	v_and_b32_sdwa v3, v9, s4 dst_sel:DWORD dst_unused:UNUSED_PAD src0_sel:WORD_1 src1_sel:DWORD
	s_movk_i32 s4, 0x7f
	v_cmp_lt_i16_e32 vcc, s4, v3
	s_mov_b64 s[4:5], 0
                                        ; implicit-def: $sgpr10
	s_and_saveexec_b64 s[6:7], vcc
	s_xor_b64 s[6:7], exec, s[6:7]
	s_cbranch_execnz .LBB57_3057
; %bb.1009:
	s_or_saveexec_b64 s[6:7], s[6:7]
	v_mov_b32_e32 v2, s10
	s_xor_b64 exec, exec, s[6:7]
	s_cbranch_execnz .LBB57_3060
.LBB57_1010:
	s_or_b64 exec, exec, s[6:7]
	s_and_saveexec_b64 s[6:7], s[4:5]
	s_cbranch_execz .LBB57_1012
.LBB57_1011:
	v_bfe_u32 v2, v9, 16, 3
	v_ffbh_u32_e32 v6, v2
	v_min_u32_e32 v6, 32, v6
	v_lshrrev_b32_e32 v3, 19, v9
	v_subrev_u32_e32 v7, 28, v6
	v_and_b32_e32 v3, 15, v3
	v_lshlrev_b32_sdwa v7, v7, v9 dst_sel:DWORD dst_unused:UNUSED_PAD src0_sel:DWORD src1_sel:WORD_1
	v_bfe_u32 v4, v9, 19, 4
	v_sub_u32_e32 v6, 29, v6
	v_and_b32_e32 v7, 7, v7
	v_cmp_eq_u16_e32 vcc, 0, v3
	v_cndmask_b32_e32 v2, v2, v7, vcc
	v_cndmask_b32_e32 v3, v4, v6, vcc
	v_lshlrev_b32_e32 v4, 8, v9
	v_mov_b32_e32 v6, 0x3b800000
	v_lshlrev_b32_e32 v2, 20, v2
	v_and_b32_e32 v4, 0x80000000, v4
	v_lshl_add_u32 v3, v3, 23, v6
	v_or3_b32 v2, v4, v3, v2
.LBB57_1012:
	s_or_b64 exec, exec, s[6:7]
	s_movk_i32 s4, 0xff
	v_and_b32_sdwa v3, v5, s4 dst_sel:DWORD dst_unused:UNUSED_PAD src0_sel:WORD_1 src1_sel:DWORD
	s_movk_i32 s4, 0x7f
	v_cmp_lt_i16_e32 vcc, s4, v3
	s_mov_b64 s[4:5], 0
                                        ; implicit-def: $sgpr10
	s_and_saveexec_b64 s[6:7], vcc
	s_xor_b64 s[6:7], exec, s[6:7]
	s_cbranch_execnz .LBB57_3061
; %bb.1013:
	s_or_saveexec_b64 s[6:7], s[6:7]
	v_mov_b32_e32 v4, s10
	s_xor_b64 exec, exec, s[6:7]
	s_cbranch_execnz .LBB57_3064
.LBB57_1014:
	s_or_b64 exec, exec, s[6:7]
	s_and_saveexec_b64 s[6:7], s[4:5]
	s_cbranch_execz .LBB57_1016
.LBB57_1015:
	v_bfe_u32 v3, v5, 16, 3
	v_ffbh_u32_e32 v7, v3
	v_min_u32_e32 v7, 32, v7
	v_lshrrev_b32_e32 v4, 19, v5
	v_subrev_u32_e32 v8, 28, v7
	v_and_b32_e32 v4, 15, v4
	v_lshlrev_b32_sdwa v8, v8, v5 dst_sel:DWORD dst_unused:UNUSED_PAD src0_sel:DWORD src1_sel:WORD_1
	v_bfe_u32 v6, v5, 19, 4
	v_sub_u32_e32 v7, 29, v7
	v_and_b32_e32 v8, 7, v8
	v_cmp_eq_u16_e32 vcc, 0, v4
	v_cndmask_b32_e32 v3, v3, v8, vcc
	v_cndmask_b32_e32 v4, v6, v7, vcc
	v_lshlrev_b32_e32 v6, 8, v5
	v_mov_b32_e32 v7, 0x3b800000
	v_lshlrev_b32_e32 v3, 20, v3
	v_and_b32_e32 v6, 0x80000000, v6
	v_lshl_add_u32 v4, v4, 23, v7
	v_or3_b32 v4, v6, v4, v3
.LBB57_1016:
	s_or_b64 exec, exec, s[6:7]
	s_nop 0
	v_mfma_f32_16x16x4f32 a[0:3], v2, v4, a[0:3]
	s_movk_i32 s4, 0x7f
	v_cmp_gt_i16_sdwa s[6:7], v9, s4 src0_sel:BYTE_3 src1_sel:DWORD
	s_mov_b64 s[4:5], 0
                                        ; implicit-def: $sgpr10
	s_and_saveexec_b64 s[8:9], s[6:7]
	s_xor_b64 s[6:7], exec, s[8:9]
	s_cbranch_execnz .LBB57_3065
; %bb.1017:
	s_or_saveexec_b64 s[6:7], s[6:7]
	v_mov_b32_e32 v2, s10
	s_xor_b64 exec, exec, s[6:7]
	s_cbranch_execnz .LBB57_3068
.LBB57_1018:
	s_or_b64 exec, exec, s[6:7]
	s_and_saveexec_b64 s[6:7], s[4:5]
	s_cbranch_execz .LBB57_1020
.LBB57_1019:
	v_bfe_u32 v2, v9, 24, 3
	v_ffbh_u32_e32 v7, v2
	v_min_u32_e32 v7, 32, v7
	v_lshrrev_b32_e32 v4, 27, v9
	v_subrev_u32_e32 v8, 28, v7
	v_and_b32_e32 v4, 15, v4
	v_lshlrev_b32_sdwa v8, v8, v9 dst_sel:DWORD dst_unused:UNUSED_PAD src0_sel:DWORD src1_sel:BYTE_3
	v_bfe_u32 v6, v9, 27, 4
	v_sub_u32_e32 v7, 29, v7
	v_and_b32_e32 v8, 7, v8
	v_cmp_eq_u16_e32 vcc, 0, v4
	v_cndmask_b32_e32 v2, v2, v8, vcc
	v_cndmask_b32_e32 v4, v6, v7, vcc
	v_mov_b32_e32 v6, 0x3b800000
	v_and_b32_e32 v3, 0x80000000, v9
	v_lshlrev_b32_e32 v2, 20, v2
	v_lshl_add_u32 v4, v4, 23, v6
	v_or3_b32 v2, v3, v4, v2
.LBB57_1020:
	s_or_b64 exec, exec, s[6:7]
	s_movk_i32 s4, 0x7f
	v_cmp_gt_i16_sdwa s[6:7], v5, s4 src0_sel:BYTE_3 src1_sel:DWORD
	s_mov_b64 s[4:5], 0
                                        ; implicit-def: $sgpr10
	s_and_saveexec_b64 s[8:9], s[6:7]
	s_xor_b64 s[6:7], exec, s[8:9]
	s_cbranch_execnz .LBB57_3069
; %bb.1021:
	s_or_saveexec_b64 s[6:7], s[6:7]
	v_mov_b32_e32 v3, s10
	s_xor_b64 exec, exec, s[6:7]
	s_cbranch_execnz .LBB57_3072
.LBB57_1022:
	s_or_b64 exec, exec, s[6:7]
	s_and_saveexec_b64 s[6:7], s[4:5]
	s_cbranch_execz .LBB57_1024
.LBB57_1023:
	v_bfe_u32 v3, v5, 24, 3
	v_ffbh_u32_e32 v8, v3
	v_min_u32_e32 v8, 32, v8
	v_lshrrev_b32_e32 v6, 27, v5
	v_subrev_u32_e32 v9, 28, v8
	v_and_b32_e32 v4, 0x80000000, v5
	v_and_b32_e32 v6, 15, v6
	v_bfe_u32 v7, v5, 27, 4
	v_lshlrev_b32_sdwa v5, v9, v5 dst_sel:DWORD dst_unused:UNUSED_PAD src0_sel:DWORD src1_sel:BYTE_3
	v_sub_u32_e32 v8, 29, v8
	v_and_b32_e32 v5, 7, v5
	v_cmp_eq_u16_e32 vcc, 0, v6
	v_cndmask_b32_e32 v3, v3, v5, vcc
	v_cndmask_b32_e32 v5, v7, v8, vcc
	v_mov_b32_e32 v6, 0x3b800000
	v_lshlrev_b32_e32 v3, 20, v3
	v_lshl_add_u32 v5, v5, 23, v6
	v_or3_b32 v3, v4, v5, v3
.LBB57_1024:
	s_or_b64 exec, exec, s[6:7]
	s_nop 0
	v_mfma_f32_16x16x4f32 a[0:3], v2, v3, a[0:3]
	s_movk_i32 s4, 0x7f
                                        ; implicit-def: $sgpr10
	s_nop 7
	s_nop 1
	flat_store_dwordx4 v[18:19], a[0:3] offset:688
	flat_load_dwordx4 v[20:23], v[0:1] offset:8
	s_nop 0
	flat_load_dwordx2 v[18:19], v[0:1] offset:24
	s_waitcnt vmcnt(0) lgkmcnt(0)
	flat_load_dwordx4 v[14:17], v[20:21] offset:32
	flat_load_dwordx4 v[6:9], v[20:21] offset:48
	;; [unrolled: 1-line block ×4, first 2 shown]
	s_waitcnt vmcnt(0) lgkmcnt(0)
	v_cmp_gt_i16_sdwa s[6:7], v14, s4 src0_sel:BYTE_0 src1_sel:DWORD
	s_mov_b64 s[4:5], 0
	s_and_saveexec_b64 s[8:9], s[6:7]
	s_xor_b64 s[6:7], exec, s[8:9]
	s_cbranch_execnz .LBB57_3073
; %bb.1025:
	s_or_saveexec_b64 s[6:7], s[6:7]
	v_mov_b32_e32 v20, s10
	s_xor_b64 exec, exec, s[6:7]
	s_cbranch_execnz .LBB57_3076
.LBB57_1026:
	s_or_b64 exec, exec, s[6:7]
	s_and_saveexec_b64 s[6:7], s[4:5]
	s_cbranch_execz .LBB57_1028
.LBB57_1027:
	v_and_b32_e32 v20, 7, v14
	v_ffbh_u32_e32 v22, v20
	v_min_u32_e32 v22, 32, v22
	v_lshrrev_b16_e32 v21, 3, v14
	v_subrev_u32_e32 v23, 28, v22
	v_and_b32_e32 v21, 15, v21
	v_lshlrev_b32_e32 v23, v23, v14
	v_sub_u32_e32 v22, 29, v22
	v_and_b32_e32 v23, 7, v23
	v_cmp_eq_u16_e32 vcc, 0, v21
	v_cndmask_b32_e32 v20, v20, v23, vcc
	v_cndmask_b32_e32 v21, v21, v22, vcc
	v_lshlrev_b32_e32 v22, 24, v14
	v_mov_b32_e32 v23, 0x3b800000
	v_lshlrev_b32_e32 v20, 20, v20
	v_and_b32_e32 v22, 0x80000000, v22
	v_lshl_add_u32 v21, v21, 23, v23
	v_or3_b32 v20, v22, v21, v20
.LBB57_1028:
	s_or_b64 exec, exec, s[6:7]
	s_movk_i32 s4, 0x7f
	v_cmp_gt_i16_sdwa s[6:7], v10, s4 src0_sel:BYTE_0 src1_sel:DWORD
	s_mov_b64 s[4:5], 0
                                        ; implicit-def: $sgpr10
	s_and_saveexec_b64 s[8:9], s[6:7]
	s_xor_b64 s[6:7], exec, s[8:9]
	s_cbranch_execnz .LBB57_3077
; %bb.1029:
	s_or_saveexec_b64 s[6:7], s[6:7]
	v_mov_b32_e32 v21, s10
	s_xor_b64 exec, exec, s[6:7]
	s_cbranch_execnz .LBB57_3080
.LBB57_1030:
	s_or_b64 exec, exec, s[6:7]
	s_and_saveexec_b64 s[6:7], s[4:5]
	s_cbranch_execz .LBB57_1032
.LBB57_1031:
	v_and_b32_e32 v21, 7, v10
	v_ffbh_u32_e32 v23, v21
	v_min_u32_e32 v23, 32, v23
	v_lshrrev_b16_e32 v22, 3, v10
	v_subrev_u32_e32 v24, 28, v23
	v_and_b32_e32 v22, 15, v22
	v_lshlrev_b32_e32 v24, v24, v10
	v_sub_u32_e32 v23, 29, v23
	v_and_b32_e32 v24, 7, v24
	v_cmp_eq_u16_e32 vcc, 0, v22
	v_cndmask_b32_e32 v21, v21, v24, vcc
	v_cndmask_b32_e32 v22, v22, v23, vcc
	v_lshlrev_b32_e32 v23, 24, v10
	v_mov_b32_e32 v24, 0x3b800000
	v_lshlrev_b32_e32 v21, 20, v21
	v_and_b32_e32 v23, 0x80000000, v23
	v_lshl_add_u32 v22, v22, 23, v24
	v_or3_b32 v21, v23, v22, v21
.LBB57_1032:
	s_or_b64 exec, exec, s[6:7]
	flat_load_dwordx4 a[0:3], v[18:19] offset:704
	s_movk_i32 s4, 0x7f
                                        ; implicit-def: $sgpr10
	s_waitcnt vmcnt(0) lgkmcnt(0)
	v_mfma_f32_16x16x4f32 a[0:3], v20, v21, a[0:3]
	v_lshrrev_b32_e32 v21, 8, v14
	v_cmp_gt_i16_sdwa s[6:7], v21, s4 src0_sel:BYTE_0 src1_sel:DWORD
	s_mov_b64 s[4:5], 0
	s_and_saveexec_b64 s[8:9], s[6:7]
	s_xor_b64 s[6:7], exec, s[8:9]
	s_cbranch_execnz .LBB57_3081
; %bb.1033:
	s_or_saveexec_b64 s[6:7], s[6:7]
	v_mov_b32_e32 v20, s10
	s_xor_b64 exec, exec, s[6:7]
	s_cbranch_execnz .LBB57_3084
.LBB57_1034:
	s_or_b64 exec, exec, s[6:7]
	s_and_saveexec_b64 s[6:7], s[4:5]
	s_cbranch_execz .LBB57_1036
.LBB57_1035:
	v_bfe_u32 v20, v14, 8, 3
	v_ffbh_u32_e32 v23, v20
	v_min_u32_e32 v23, 32, v23
	v_lshrrev_b16_e32 v22, 3, v21
	v_subrev_u32_e32 v24, 28, v23
	v_and_b32_e32 v22, 15, v22
	v_lshlrev_b32_e32 v21, v24, v21
	v_sub_u32_e32 v23, 29, v23
	v_and_b32_e32 v21, 7, v21
	v_cmp_eq_u16_e32 vcc, 0, v22
	v_cndmask_b32_e32 v20, v20, v21, vcc
	v_cndmask_b32_e32 v21, v22, v23, vcc
	v_lshlrev_b32_e32 v22, 16, v14
	v_mov_b32_e32 v23, 0x3b800000
	v_lshlrev_b32_e32 v20, 20, v20
	v_and_b32_e32 v22, 0x80000000, v22
	v_lshl_add_u32 v21, v21, 23, v23
	v_or3_b32 v20, v22, v21, v20
.LBB57_1036:
	s_or_b64 exec, exec, s[6:7]
	v_lshrrev_b32_e32 v21, 8, v10
	s_movk_i32 s4, 0x7f
	v_cmp_gt_i16_sdwa s[6:7], v21, s4 src0_sel:BYTE_0 src1_sel:DWORD
	s_mov_b64 s[4:5], 0
                                        ; implicit-def: $sgpr10
	s_and_saveexec_b64 s[8:9], s[6:7]
	s_xor_b64 s[6:7], exec, s[8:9]
	s_cbranch_execnz .LBB57_3085
; %bb.1037:
	s_or_saveexec_b64 s[6:7], s[6:7]
	v_mov_b32_e32 v22, s10
	s_xor_b64 exec, exec, s[6:7]
	s_cbranch_execnz .LBB57_3088
.LBB57_1038:
	s_or_b64 exec, exec, s[6:7]
	s_and_saveexec_b64 s[6:7], s[4:5]
	s_cbranch_execz .LBB57_1040
.LBB57_1039:
	v_bfe_u32 v22, v10, 8, 3
	v_ffbh_u32_e32 v24, v22
	v_min_u32_e32 v24, 32, v24
	v_lshrrev_b16_e32 v23, 3, v21
	v_subrev_u32_e32 v25, 28, v24
	v_and_b32_e32 v23, 15, v23
	v_lshlrev_b32_e32 v21, v25, v21
	v_sub_u32_e32 v24, 29, v24
	v_and_b32_e32 v21, 7, v21
	v_cmp_eq_u16_e32 vcc, 0, v23
	v_cndmask_b32_e32 v21, v22, v21, vcc
	v_cndmask_b32_e32 v22, v23, v24, vcc
	v_lshlrev_b32_e32 v23, 16, v10
	v_mov_b32_e32 v24, 0x3b800000
	v_lshlrev_b32_e32 v21, 20, v21
	v_and_b32_e32 v23, 0x80000000, v23
	v_lshl_add_u32 v22, v22, 23, v24
	v_or3_b32 v22, v23, v22, v21
.LBB57_1040:
	s_or_b64 exec, exec, s[6:7]
	s_nop 0
	v_mfma_f32_16x16x4f32 a[0:3], v20, v22, a[0:3]
	s_movk_i32 s4, 0xff
	v_and_b32_sdwa v21, v14, s4 dst_sel:DWORD dst_unused:UNUSED_PAD src0_sel:WORD_1 src1_sel:DWORD
	s_movk_i32 s4, 0x7f
	v_cmp_lt_i16_e32 vcc, s4, v21
	s_mov_b64 s[4:5], 0
                                        ; implicit-def: $sgpr10
	s_and_saveexec_b64 s[6:7], vcc
	s_xor_b64 s[6:7], exec, s[6:7]
	s_cbranch_execnz .LBB57_3089
; %bb.1041:
	s_or_saveexec_b64 s[6:7], s[6:7]
	v_mov_b32_e32 v20, s10
	s_xor_b64 exec, exec, s[6:7]
	s_cbranch_execnz .LBB57_3092
.LBB57_1042:
	s_or_b64 exec, exec, s[6:7]
	s_and_saveexec_b64 s[6:7], s[4:5]
	s_cbranch_execz .LBB57_1044
.LBB57_1043:
	v_bfe_u32 v20, v14, 16, 3
	v_ffbh_u32_e32 v23, v20
	v_min_u32_e32 v23, 32, v23
	v_lshrrev_b32_e32 v21, 19, v14
	v_subrev_u32_e32 v24, 28, v23
	v_and_b32_e32 v21, 15, v21
	v_lshlrev_b32_sdwa v24, v24, v14 dst_sel:DWORD dst_unused:UNUSED_PAD src0_sel:DWORD src1_sel:WORD_1
	v_bfe_u32 v22, v14, 19, 4
	v_sub_u32_e32 v23, 29, v23
	v_and_b32_e32 v24, 7, v24
	v_cmp_eq_u16_e32 vcc, 0, v21
	v_cndmask_b32_e32 v20, v20, v24, vcc
	v_cndmask_b32_e32 v21, v22, v23, vcc
	v_lshlrev_b32_e32 v22, 8, v14
	v_mov_b32_e32 v23, 0x3b800000
	v_lshlrev_b32_e32 v20, 20, v20
	v_and_b32_e32 v22, 0x80000000, v22
	v_lshl_add_u32 v21, v21, 23, v23
	v_or3_b32 v20, v22, v21, v20
.LBB57_1044:
	s_or_b64 exec, exec, s[6:7]
	s_movk_i32 s4, 0xff
	v_and_b32_sdwa v21, v10, s4 dst_sel:DWORD dst_unused:UNUSED_PAD src0_sel:WORD_1 src1_sel:DWORD
	s_movk_i32 s4, 0x7f
	v_cmp_lt_i16_e32 vcc, s4, v21
	s_mov_b64 s[4:5], 0
                                        ; implicit-def: $sgpr10
	s_and_saveexec_b64 s[6:7], vcc
	s_xor_b64 s[6:7], exec, s[6:7]
	s_cbranch_execnz .LBB57_3093
; %bb.1045:
	s_or_saveexec_b64 s[6:7], s[6:7]
	v_mov_b32_e32 v22, s10
	s_xor_b64 exec, exec, s[6:7]
	s_cbranch_execnz .LBB57_3096
.LBB57_1046:
	s_or_b64 exec, exec, s[6:7]
	s_and_saveexec_b64 s[6:7], s[4:5]
	s_cbranch_execz .LBB57_1048
.LBB57_1047:
	v_bfe_u32 v21, v10, 16, 3
	v_ffbh_u32_e32 v24, v21
	v_min_u32_e32 v24, 32, v24
	v_lshrrev_b32_e32 v22, 19, v10
	v_subrev_u32_e32 v25, 28, v24
	v_and_b32_e32 v22, 15, v22
	v_lshlrev_b32_sdwa v25, v25, v10 dst_sel:DWORD dst_unused:UNUSED_PAD src0_sel:DWORD src1_sel:WORD_1
	v_bfe_u32 v23, v10, 19, 4
	v_sub_u32_e32 v24, 29, v24
	v_and_b32_e32 v25, 7, v25
	v_cmp_eq_u16_e32 vcc, 0, v22
	v_cndmask_b32_e32 v21, v21, v25, vcc
	v_cndmask_b32_e32 v22, v23, v24, vcc
	v_lshlrev_b32_e32 v23, 8, v10
	v_mov_b32_e32 v24, 0x3b800000
	v_lshlrev_b32_e32 v21, 20, v21
	v_and_b32_e32 v23, 0x80000000, v23
	v_lshl_add_u32 v22, v22, 23, v24
	v_or3_b32 v22, v23, v22, v21
.LBB57_1048:
	s_or_b64 exec, exec, s[6:7]
	s_nop 0
	v_mfma_f32_16x16x4f32 a[0:3], v20, v22, a[0:3]
	s_movk_i32 s4, 0x7f
	v_cmp_gt_i16_sdwa s[6:7], v14, s4 src0_sel:BYTE_3 src1_sel:DWORD
	s_mov_b64 s[4:5], 0
                                        ; implicit-def: $sgpr10
	s_and_saveexec_b64 s[8:9], s[6:7]
	s_xor_b64 s[6:7], exec, s[8:9]
	s_cbranch_execnz .LBB57_3097
; %bb.1049:
	s_or_saveexec_b64 s[6:7], s[6:7]
	v_mov_b32_e32 v20, s10
	s_xor_b64 exec, exec, s[6:7]
	s_cbranch_execnz .LBB57_3100
.LBB57_1050:
	s_or_b64 exec, exec, s[6:7]
	s_and_saveexec_b64 s[6:7], s[4:5]
	s_cbranch_execz .LBB57_1052
.LBB57_1051:
	v_bfe_u32 v20, v14, 24, 3
	v_ffbh_u32_e32 v24, v20
	v_min_u32_e32 v24, 32, v24
	v_lshrrev_b32_e32 v22, 27, v14
	v_subrev_u32_e32 v25, 28, v24
	v_and_b32_e32 v21, 0x80000000, v14
	v_and_b32_e32 v22, 15, v22
	v_bfe_u32 v23, v14, 27, 4
	v_lshlrev_b32_sdwa v14, v25, v14 dst_sel:DWORD dst_unused:UNUSED_PAD src0_sel:DWORD src1_sel:BYTE_3
	v_sub_u32_e32 v24, 29, v24
	v_and_b32_e32 v14, 7, v14
	v_cmp_eq_u16_e32 vcc, 0, v22
	v_cndmask_b32_e32 v14, v20, v14, vcc
	v_cndmask_b32_e32 v20, v23, v24, vcc
	v_mov_b32_e32 v22, 0x3b800000
	v_lshlrev_b32_e32 v14, 20, v14
	v_lshl_add_u32 v20, v20, 23, v22
	v_or3_b32 v20, v21, v20, v14
.LBB57_1052:
	s_or_b64 exec, exec, s[6:7]
	s_movk_i32 s4, 0x7f
	v_cmp_gt_i16_sdwa s[6:7], v10, s4 src0_sel:BYTE_3 src1_sel:DWORD
	s_mov_b64 s[4:5], 0
                                        ; implicit-def: $sgpr10
	s_and_saveexec_b64 s[8:9], s[6:7]
	s_xor_b64 s[6:7], exec, s[8:9]
	s_cbranch_execnz .LBB57_3101
; %bb.1053:
	s_or_saveexec_b64 s[6:7], s[6:7]
	v_mov_b32_e32 v14, s10
	s_xor_b64 exec, exec, s[6:7]
	s_cbranch_execnz .LBB57_3104
.LBB57_1054:
	s_or_b64 exec, exec, s[6:7]
	s_and_saveexec_b64 s[6:7], s[4:5]
	s_cbranch_execz .LBB57_1056
.LBB57_1055:
	v_bfe_u32 v14, v10, 24, 3
	v_ffbh_u32_e32 v24, v14
	v_min_u32_e32 v24, 32, v24
	v_lshrrev_b32_e32 v22, 27, v10
	v_subrev_u32_e32 v25, 28, v24
	v_and_b32_e32 v21, 0x80000000, v10
	v_and_b32_e32 v22, 15, v22
	v_bfe_u32 v23, v10, 27, 4
	v_lshlrev_b32_sdwa v10, v25, v10 dst_sel:DWORD dst_unused:UNUSED_PAD src0_sel:DWORD src1_sel:BYTE_3
	v_sub_u32_e32 v24, 29, v24
	v_and_b32_e32 v10, 7, v10
	v_cmp_eq_u16_e32 vcc, 0, v22
	v_cndmask_b32_e32 v10, v14, v10, vcc
	v_cndmask_b32_e32 v14, v23, v24, vcc
	v_mov_b32_e32 v22, 0x3b800000
	v_lshlrev_b32_e32 v10, 20, v10
	v_lshl_add_u32 v14, v14, 23, v22
	v_or3_b32 v14, v21, v14, v10
.LBB57_1056:
	s_or_b64 exec, exec, s[6:7]
	s_nop 0
	v_mfma_f32_16x16x4f32 a[0:3], v20, v14, a[0:3]
	s_movk_i32 s4, 0x7f
	v_cmp_gt_i16_sdwa s[6:7], v15, s4 src0_sel:BYTE_0 src1_sel:DWORD
	s_mov_b64 s[4:5], 0
                                        ; implicit-def: $sgpr10
	s_and_saveexec_b64 s[8:9], s[6:7]
	s_xor_b64 s[6:7], exec, s[8:9]
	s_cbranch_execnz .LBB57_3105
; %bb.1057:
	s_or_saveexec_b64 s[6:7], s[6:7]
	v_mov_b32_e32 v10, s10
	s_xor_b64 exec, exec, s[6:7]
	s_cbranch_execnz .LBB57_3108
.LBB57_1058:
	s_or_b64 exec, exec, s[6:7]
	s_and_saveexec_b64 s[6:7], s[4:5]
	s_cbranch_execz .LBB57_1060
.LBB57_1059:
	v_and_b32_e32 v10, 7, v15
	v_ffbh_u32_e32 v20, v10
	v_min_u32_e32 v20, 32, v20
	v_lshrrev_b16_e32 v14, 3, v15
	v_subrev_u32_e32 v21, 28, v20
	v_and_b32_e32 v14, 15, v14
	v_lshlrev_b32_e32 v21, v21, v15
	v_sub_u32_e32 v20, 29, v20
	v_and_b32_e32 v21, 7, v21
	v_cmp_eq_u16_e32 vcc, 0, v14
	v_cndmask_b32_e32 v10, v10, v21, vcc
	v_cndmask_b32_e32 v14, v14, v20, vcc
	v_lshlrev_b32_e32 v20, 24, v15
	v_mov_b32_e32 v21, 0x3b800000
	v_lshlrev_b32_e32 v10, 20, v10
	v_and_b32_e32 v20, 0x80000000, v20
	v_lshl_add_u32 v14, v14, 23, v21
	v_or3_b32 v10, v20, v14, v10
.LBB57_1060:
	s_or_b64 exec, exec, s[6:7]
	s_movk_i32 s4, 0x7f
	v_cmp_gt_i16_sdwa s[6:7], v11, s4 src0_sel:BYTE_0 src1_sel:DWORD
	s_mov_b64 s[4:5], 0
                                        ; implicit-def: $sgpr10
	s_and_saveexec_b64 s[8:9], s[6:7]
	s_xor_b64 s[6:7], exec, s[8:9]
	s_cbranch_execnz .LBB57_3109
; %bb.1061:
	s_or_saveexec_b64 s[6:7], s[6:7]
	v_mov_b32_e32 v14, s10
	s_xor_b64 exec, exec, s[6:7]
	s_cbranch_execnz .LBB57_3112
.LBB57_1062:
	s_or_b64 exec, exec, s[6:7]
	s_and_saveexec_b64 s[6:7], s[4:5]
	s_cbranch_execz .LBB57_1064
.LBB57_1063:
	v_and_b32_e32 v14, 7, v11
	v_ffbh_u32_e32 v21, v14
	v_min_u32_e32 v21, 32, v21
	v_lshrrev_b16_e32 v20, 3, v11
	v_subrev_u32_e32 v22, 28, v21
	v_and_b32_e32 v20, 15, v20
	v_lshlrev_b32_e32 v22, v22, v11
	v_sub_u32_e32 v21, 29, v21
	v_and_b32_e32 v22, 7, v22
	v_cmp_eq_u16_e32 vcc, 0, v20
	v_cndmask_b32_e32 v14, v14, v22, vcc
	v_cndmask_b32_e32 v20, v20, v21, vcc
	v_lshlrev_b32_e32 v21, 24, v11
	v_mov_b32_e32 v22, 0x3b800000
	v_lshlrev_b32_e32 v14, 20, v14
	v_and_b32_e32 v21, 0x80000000, v21
	v_lshl_add_u32 v20, v20, 23, v22
	v_or3_b32 v14, v21, v20, v14
.LBB57_1064:
	s_or_b64 exec, exec, s[6:7]
	s_nop 0
	v_mfma_f32_16x16x4f32 a[0:3], v10, v14, a[0:3]
	v_lshrrev_b32_e32 v14, 8, v15
	s_movk_i32 s4, 0x7f
	v_cmp_gt_i16_sdwa s[6:7], v14, s4 src0_sel:BYTE_0 src1_sel:DWORD
	s_mov_b64 s[4:5], 0
                                        ; implicit-def: $sgpr10
	s_and_saveexec_b64 s[8:9], s[6:7]
	s_xor_b64 s[6:7], exec, s[8:9]
	s_cbranch_execnz .LBB57_3113
; %bb.1065:
	s_or_saveexec_b64 s[6:7], s[6:7]
	v_mov_b32_e32 v10, s10
	s_xor_b64 exec, exec, s[6:7]
	s_cbranch_execnz .LBB57_3116
.LBB57_1066:
	s_or_b64 exec, exec, s[6:7]
	s_and_saveexec_b64 s[6:7], s[4:5]
	s_cbranch_execz .LBB57_1068
.LBB57_1067:
	v_bfe_u32 v10, v15, 8, 3
	v_ffbh_u32_e32 v21, v10
	v_min_u32_e32 v21, 32, v21
	v_lshrrev_b16_e32 v20, 3, v14
	v_subrev_u32_e32 v22, 28, v21
	v_and_b32_e32 v20, 15, v20
	v_lshlrev_b32_e32 v14, v22, v14
	v_sub_u32_e32 v21, 29, v21
	v_and_b32_e32 v14, 7, v14
	v_cmp_eq_u16_e32 vcc, 0, v20
	v_cndmask_b32_e32 v10, v10, v14, vcc
	v_cndmask_b32_e32 v14, v20, v21, vcc
	v_lshlrev_b32_e32 v20, 16, v15
	v_mov_b32_e32 v21, 0x3b800000
	v_lshlrev_b32_e32 v10, 20, v10
	v_and_b32_e32 v20, 0x80000000, v20
	v_lshl_add_u32 v14, v14, 23, v21
	v_or3_b32 v10, v20, v14, v10
.LBB57_1068:
	s_or_b64 exec, exec, s[6:7]
	v_lshrrev_b32_e32 v14, 8, v11
	s_movk_i32 s4, 0x7f
	v_cmp_gt_i16_sdwa s[6:7], v14, s4 src0_sel:BYTE_0 src1_sel:DWORD
	s_mov_b64 s[4:5], 0
                                        ; implicit-def: $sgpr10
	s_and_saveexec_b64 s[8:9], s[6:7]
	s_xor_b64 s[6:7], exec, s[8:9]
	s_cbranch_execnz .LBB57_3117
; %bb.1069:
	s_or_saveexec_b64 s[6:7], s[6:7]
	v_mov_b32_e32 v20, s10
	s_xor_b64 exec, exec, s[6:7]
	s_cbranch_execnz .LBB57_3120
.LBB57_1070:
	s_or_b64 exec, exec, s[6:7]
	s_and_saveexec_b64 s[6:7], s[4:5]
	s_cbranch_execz .LBB57_1072
.LBB57_1071:
	v_bfe_u32 v20, v11, 8, 3
	v_ffbh_u32_e32 v22, v20
	v_min_u32_e32 v22, 32, v22
	v_lshrrev_b16_e32 v21, 3, v14
	v_subrev_u32_e32 v23, 28, v22
	v_and_b32_e32 v21, 15, v21
	v_lshlrev_b32_e32 v14, v23, v14
	v_sub_u32_e32 v22, 29, v22
	v_and_b32_e32 v14, 7, v14
	v_cmp_eq_u16_e32 vcc, 0, v21
	v_cndmask_b32_e32 v14, v20, v14, vcc
	v_cndmask_b32_e32 v20, v21, v22, vcc
	v_lshlrev_b32_e32 v21, 16, v11
	v_mov_b32_e32 v22, 0x3b800000
	v_lshlrev_b32_e32 v14, 20, v14
	v_and_b32_e32 v21, 0x80000000, v21
	v_lshl_add_u32 v20, v20, 23, v22
	v_or3_b32 v20, v21, v20, v14
.LBB57_1072:
	s_or_b64 exec, exec, s[6:7]
	s_nop 0
	v_mfma_f32_16x16x4f32 a[0:3], v10, v20, a[0:3]
	s_movk_i32 s4, 0xff
	v_and_b32_sdwa v14, v15, s4 dst_sel:DWORD dst_unused:UNUSED_PAD src0_sel:WORD_1 src1_sel:DWORD
	s_movk_i32 s4, 0x7f
	v_cmp_lt_i16_e32 vcc, s4, v14
	s_mov_b64 s[4:5], 0
                                        ; implicit-def: $sgpr10
	s_and_saveexec_b64 s[6:7], vcc
	s_xor_b64 s[6:7], exec, s[6:7]
	s_cbranch_execnz .LBB57_3121
; %bb.1073:
	s_or_saveexec_b64 s[6:7], s[6:7]
	v_mov_b32_e32 v10, s10
	s_xor_b64 exec, exec, s[6:7]
	s_cbranch_execnz .LBB57_3124
.LBB57_1074:
	s_or_b64 exec, exec, s[6:7]
	s_and_saveexec_b64 s[6:7], s[4:5]
	s_cbranch_execz .LBB57_1076
.LBB57_1075:
	v_bfe_u32 v10, v15, 16, 3
	v_ffbh_u32_e32 v21, v10
	v_min_u32_e32 v21, 32, v21
	v_lshrrev_b32_e32 v14, 19, v15
	v_subrev_u32_e32 v22, 28, v21
	v_and_b32_e32 v14, 15, v14
	v_lshlrev_b32_sdwa v22, v22, v15 dst_sel:DWORD dst_unused:UNUSED_PAD src0_sel:DWORD src1_sel:WORD_1
	v_bfe_u32 v20, v15, 19, 4
	v_sub_u32_e32 v21, 29, v21
	v_and_b32_e32 v22, 7, v22
	v_cmp_eq_u16_e32 vcc, 0, v14
	v_cndmask_b32_e32 v10, v10, v22, vcc
	v_cndmask_b32_e32 v14, v20, v21, vcc
	v_lshlrev_b32_e32 v20, 8, v15
	v_mov_b32_e32 v21, 0x3b800000
	v_lshlrev_b32_e32 v10, 20, v10
	v_and_b32_e32 v20, 0x80000000, v20
	v_lshl_add_u32 v14, v14, 23, v21
	v_or3_b32 v10, v20, v14, v10
.LBB57_1076:
	s_or_b64 exec, exec, s[6:7]
	s_movk_i32 s4, 0xff
	v_and_b32_sdwa v14, v11, s4 dst_sel:DWORD dst_unused:UNUSED_PAD src0_sel:WORD_1 src1_sel:DWORD
	s_movk_i32 s4, 0x7f
	v_cmp_lt_i16_e32 vcc, s4, v14
	s_mov_b64 s[4:5], 0
                                        ; implicit-def: $sgpr10
	s_and_saveexec_b64 s[6:7], vcc
	s_xor_b64 s[6:7], exec, s[6:7]
	s_cbranch_execnz .LBB57_3125
; %bb.1077:
	s_or_saveexec_b64 s[6:7], s[6:7]
	v_mov_b32_e32 v20, s10
	s_xor_b64 exec, exec, s[6:7]
	s_cbranch_execnz .LBB57_3128
.LBB57_1078:
	s_or_b64 exec, exec, s[6:7]
	s_and_saveexec_b64 s[6:7], s[4:5]
	s_cbranch_execz .LBB57_1080
.LBB57_1079:
	v_bfe_u32 v14, v11, 16, 3
	v_ffbh_u32_e32 v22, v14
	v_min_u32_e32 v22, 32, v22
	v_lshrrev_b32_e32 v20, 19, v11
	v_subrev_u32_e32 v23, 28, v22
	v_and_b32_e32 v20, 15, v20
	v_lshlrev_b32_sdwa v23, v23, v11 dst_sel:DWORD dst_unused:UNUSED_PAD src0_sel:DWORD src1_sel:WORD_1
	v_bfe_u32 v21, v11, 19, 4
	v_sub_u32_e32 v22, 29, v22
	v_and_b32_e32 v23, 7, v23
	v_cmp_eq_u16_e32 vcc, 0, v20
	v_cndmask_b32_e32 v14, v14, v23, vcc
	v_cndmask_b32_e32 v20, v21, v22, vcc
	v_lshlrev_b32_e32 v21, 8, v11
	v_mov_b32_e32 v22, 0x3b800000
	v_lshlrev_b32_e32 v14, 20, v14
	v_and_b32_e32 v21, 0x80000000, v21
	v_lshl_add_u32 v20, v20, 23, v22
	v_or3_b32 v20, v21, v20, v14
.LBB57_1080:
	s_or_b64 exec, exec, s[6:7]
	s_nop 0
	v_mfma_f32_16x16x4f32 a[0:3], v10, v20, a[0:3]
	s_movk_i32 s4, 0x7f
	v_cmp_gt_i16_sdwa s[6:7], v15, s4 src0_sel:BYTE_3 src1_sel:DWORD
	s_mov_b64 s[4:5], 0
                                        ; implicit-def: $sgpr10
	s_and_saveexec_b64 s[8:9], s[6:7]
	s_xor_b64 s[6:7], exec, s[8:9]
	s_cbranch_execnz .LBB57_3129
; %bb.1081:
	s_or_saveexec_b64 s[6:7], s[6:7]
	v_mov_b32_e32 v10, s10
	s_xor_b64 exec, exec, s[6:7]
	s_cbranch_execnz .LBB57_3132
.LBB57_1082:
	s_or_b64 exec, exec, s[6:7]
	s_and_saveexec_b64 s[6:7], s[4:5]
	s_cbranch_execz .LBB57_1084
.LBB57_1083:
	v_bfe_u32 v10, v15, 24, 3
	v_ffbh_u32_e32 v22, v10
	v_min_u32_e32 v22, 32, v22
	v_lshrrev_b32_e32 v20, 27, v15
	v_subrev_u32_e32 v23, 28, v22
	v_and_b32_e32 v14, 0x80000000, v15
	v_and_b32_e32 v20, 15, v20
	v_bfe_u32 v21, v15, 27, 4
	v_lshlrev_b32_sdwa v15, v23, v15 dst_sel:DWORD dst_unused:UNUSED_PAD src0_sel:DWORD src1_sel:BYTE_3
	v_sub_u32_e32 v22, 29, v22
	v_and_b32_e32 v15, 7, v15
	v_cmp_eq_u16_e32 vcc, 0, v20
	v_cndmask_b32_e32 v10, v10, v15, vcc
	v_cndmask_b32_e32 v15, v21, v22, vcc
	v_mov_b32_e32 v20, 0x3b800000
	v_lshlrev_b32_e32 v10, 20, v10
	v_lshl_add_u32 v15, v15, 23, v20
	v_or3_b32 v10, v14, v15, v10
.LBB57_1084:
	s_or_b64 exec, exec, s[6:7]
	s_movk_i32 s4, 0x7f
	v_cmp_gt_i16_sdwa s[6:7], v11, s4 src0_sel:BYTE_3 src1_sel:DWORD
	s_mov_b64 s[4:5], 0
                                        ; implicit-def: $sgpr10
	s_and_saveexec_b64 s[8:9], s[6:7]
	s_xor_b64 s[6:7], exec, s[8:9]
	s_cbranch_execnz .LBB57_3133
; %bb.1085:
	s_or_saveexec_b64 s[6:7], s[6:7]
	v_mov_b32_e32 v14, s10
	s_xor_b64 exec, exec, s[6:7]
	s_cbranch_execnz .LBB57_3136
.LBB57_1086:
	s_or_b64 exec, exec, s[6:7]
	s_and_saveexec_b64 s[6:7], s[4:5]
	s_cbranch_execz .LBB57_1088
.LBB57_1087:
	v_bfe_u32 v14, v11, 24, 3
	v_ffbh_u32_e32 v22, v14
	v_min_u32_e32 v22, 32, v22
	v_lshrrev_b32_e32 v20, 27, v11
	v_subrev_u32_e32 v23, 28, v22
	v_and_b32_e32 v15, 0x80000000, v11
	v_and_b32_e32 v20, 15, v20
	v_bfe_u32 v21, v11, 27, 4
	v_lshlrev_b32_sdwa v11, v23, v11 dst_sel:DWORD dst_unused:UNUSED_PAD src0_sel:DWORD src1_sel:BYTE_3
	v_sub_u32_e32 v22, 29, v22
	v_and_b32_e32 v11, 7, v11
	v_cmp_eq_u16_e32 vcc, 0, v20
	v_cndmask_b32_e32 v11, v14, v11, vcc
	v_cndmask_b32_e32 v14, v21, v22, vcc
	v_mov_b32_e32 v20, 0x3b800000
	v_lshlrev_b32_e32 v11, 20, v11
	v_lshl_add_u32 v14, v14, 23, v20
	v_or3_b32 v14, v15, v14, v11
.LBB57_1088:
	s_or_b64 exec, exec, s[6:7]
	s_nop 0
	v_mfma_f32_16x16x4f32 a[0:3], v10, v14, a[0:3]
	s_movk_i32 s4, 0x7f
	v_cmp_gt_i16_sdwa s[6:7], v16, s4 src0_sel:BYTE_0 src1_sel:DWORD
	s_mov_b64 s[4:5], 0
                                        ; implicit-def: $sgpr10
	s_and_saveexec_b64 s[8:9], s[6:7]
	s_xor_b64 s[6:7], exec, s[8:9]
	s_cbranch_execnz .LBB57_3137
; %bb.1089:
	s_or_saveexec_b64 s[6:7], s[6:7]
	v_mov_b32_e32 v10, s10
	s_xor_b64 exec, exec, s[6:7]
	s_cbranch_execnz .LBB57_3140
.LBB57_1090:
	s_or_b64 exec, exec, s[6:7]
	s_and_saveexec_b64 s[6:7], s[4:5]
	s_cbranch_execz .LBB57_1092
.LBB57_1091:
	v_and_b32_e32 v10, 7, v16
	v_ffbh_u32_e32 v14, v10
	v_min_u32_e32 v14, 32, v14
	v_lshrrev_b16_e32 v11, 3, v16
	v_subrev_u32_e32 v15, 28, v14
	v_and_b32_e32 v11, 15, v11
	v_lshlrev_b32_e32 v15, v15, v16
	v_sub_u32_e32 v14, 29, v14
	v_and_b32_e32 v15, 7, v15
	v_cmp_eq_u16_e32 vcc, 0, v11
	v_cndmask_b32_e32 v10, v10, v15, vcc
	v_cndmask_b32_e32 v11, v11, v14, vcc
	v_lshlrev_b32_e32 v14, 24, v16
	v_mov_b32_e32 v15, 0x3b800000
	v_lshlrev_b32_e32 v10, 20, v10
	v_and_b32_e32 v14, 0x80000000, v14
	v_lshl_add_u32 v11, v11, 23, v15
	v_or3_b32 v10, v14, v11, v10
.LBB57_1092:
	s_or_b64 exec, exec, s[6:7]
	s_movk_i32 s4, 0x7f
	v_cmp_gt_i16_sdwa s[6:7], v12, s4 src0_sel:BYTE_0 src1_sel:DWORD
	s_mov_b64 s[4:5], 0
                                        ; implicit-def: $sgpr10
	s_and_saveexec_b64 s[8:9], s[6:7]
	s_xor_b64 s[6:7], exec, s[8:9]
	s_cbranch_execnz .LBB57_3141
; %bb.1093:
	s_or_saveexec_b64 s[6:7], s[6:7]
	v_mov_b32_e32 v11, s10
	s_xor_b64 exec, exec, s[6:7]
	s_cbranch_execnz .LBB57_3144
.LBB57_1094:
	s_or_b64 exec, exec, s[6:7]
	s_and_saveexec_b64 s[6:7], s[4:5]
	s_cbranch_execz .LBB57_1096
.LBB57_1095:
	v_and_b32_e32 v11, 7, v12
	v_ffbh_u32_e32 v15, v11
	v_min_u32_e32 v15, 32, v15
	v_lshrrev_b16_e32 v14, 3, v12
	v_subrev_u32_e32 v20, 28, v15
	v_and_b32_e32 v14, 15, v14
	v_lshlrev_b32_e32 v20, v20, v12
	v_sub_u32_e32 v15, 29, v15
	v_and_b32_e32 v20, 7, v20
	v_cmp_eq_u16_e32 vcc, 0, v14
	v_cndmask_b32_e32 v11, v11, v20, vcc
	v_cndmask_b32_e32 v14, v14, v15, vcc
	v_lshlrev_b32_e32 v15, 24, v12
	v_mov_b32_e32 v20, 0x3b800000
	v_lshlrev_b32_e32 v11, 20, v11
	v_and_b32_e32 v15, 0x80000000, v15
	v_lshl_add_u32 v14, v14, 23, v20
	v_or3_b32 v11, v15, v14, v11
.LBB57_1096:
	s_or_b64 exec, exec, s[6:7]
	s_nop 0
	v_mfma_f32_16x16x4f32 a[0:3], v10, v11, a[0:3]
	v_lshrrev_b32_e32 v11, 8, v16
	s_movk_i32 s4, 0x7f
	v_cmp_gt_i16_sdwa s[6:7], v11, s4 src0_sel:BYTE_0 src1_sel:DWORD
	s_mov_b64 s[4:5], 0
                                        ; implicit-def: $sgpr10
	s_and_saveexec_b64 s[8:9], s[6:7]
	s_xor_b64 s[6:7], exec, s[8:9]
	s_cbranch_execnz .LBB57_3145
; %bb.1097:
	s_or_saveexec_b64 s[6:7], s[6:7]
	v_mov_b32_e32 v10, s10
	s_xor_b64 exec, exec, s[6:7]
	s_cbranch_execnz .LBB57_3148
.LBB57_1098:
	s_or_b64 exec, exec, s[6:7]
	s_and_saveexec_b64 s[6:7], s[4:5]
	s_cbranch_execz .LBB57_1100
.LBB57_1099:
	v_bfe_u32 v10, v16, 8, 3
	v_ffbh_u32_e32 v15, v10
	v_min_u32_e32 v15, 32, v15
	v_lshrrev_b16_e32 v14, 3, v11
	v_subrev_u32_e32 v20, 28, v15
	v_and_b32_e32 v14, 15, v14
	v_lshlrev_b32_e32 v11, v20, v11
	v_sub_u32_e32 v15, 29, v15
	v_and_b32_e32 v11, 7, v11
	v_cmp_eq_u16_e32 vcc, 0, v14
	v_cndmask_b32_e32 v10, v10, v11, vcc
	v_cndmask_b32_e32 v11, v14, v15, vcc
	v_lshlrev_b32_e32 v14, 16, v16
	v_mov_b32_e32 v15, 0x3b800000
	v_lshlrev_b32_e32 v10, 20, v10
	v_and_b32_e32 v14, 0x80000000, v14
	v_lshl_add_u32 v11, v11, 23, v15
	v_or3_b32 v10, v14, v11, v10
.LBB57_1100:
	s_or_b64 exec, exec, s[6:7]
	v_lshrrev_b32_e32 v11, 8, v12
	s_movk_i32 s4, 0x7f
	v_cmp_gt_i16_sdwa s[6:7], v11, s4 src0_sel:BYTE_0 src1_sel:DWORD
	s_mov_b64 s[4:5], 0
                                        ; implicit-def: $sgpr10
	s_and_saveexec_b64 s[8:9], s[6:7]
	s_xor_b64 s[6:7], exec, s[8:9]
	s_cbranch_execnz .LBB57_3149
; %bb.1101:
	s_or_saveexec_b64 s[6:7], s[6:7]
	v_mov_b32_e32 v14, s10
	s_xor_b64 exec, exec, s[6:7]
	s_cbranch_execnz .LBB57_3152
.LBB57_1102:
	s_or_b64 exec, exec, s[6:7]
	s_and_saveexec_b64 s[6:7], s[4:5]
	s_cbranch_execz .LBB57_1104
.LBB57_1103:
	v_bfe_u32 v14, v12, 8, 3
	v_ffbh_u32_e32 v20, v14
	v_min_u32_e32 v20, 32, v20
	v_lshrrev_b16_e32 v15, 3, v11
	v_subrev_u32_e32 v21, 28, v20
	v_and_b32_e32 v15, 15, v15
	v_lshlrev_b32_e32 v11, v21, v11
	v_sub_u32_e32 v20, 29, v20
	v_and_b32_e32 v11, 7, v11
	v_cmp_eq_u16_e32 vcc, 0, v15
	v_cndmask_b32_e32 v11, v14, v11, vcc
	v_cndmask_b32_e32 v14, v15, v20, vcc
	v_lshlrev_b32_e32 v15, 16, v12
	v_mov_b32_e32 v20, 0x3b800000
	v_lshlrev_b32_e32 v11, 20, v11
	v_and_b32_e32 v15, 0x80000000, v15
	v_lshl_add_u32 v14, v14, 23, v20
	v_or3_b32 v14, v15, v14, v11
.LBB57_1104:
	s_or_b64 exec, exec, s[6:7]
	s_nop 0
	v_mfma_f32_16x16x4f32 a[0:3], v10, v14, a[0:3]
	s_movk_i32 s4, 0xff
	v_and_b32_sdwa v11, v16, s4 dst_sel:DWORD dst_unused:UNUSED_PAD src0_sel:WORD_1 src1_sel:DWORD
	s_movk_i32 s4, 0x7f
	v_cmp_lt_i16_e32 vcc, s4, v11
	s_mov_b64 s[4:5], 0
                                        ; implicit-def: $sgpr10
	s_and_saveexec_b64 s[6:7], vcc
	s_xor_b64 s[6:7], exec, s[6:7]
	s_cbranch_execnz .LBB57_3153
; %bb.1105:
	s_or_saveexec_b64 s[6:7], s[6:7]
	v_mov_b32_e32 v10, s10
	s_xor_b64 exec, exec, s[6:7]
	s_cbranch_execnz .LBB57_3156
.LBB57_1106:
	s_or_b64 exec, exec, s[6:7]
	s_and_saveexec_b64 s[6:7], s[4:5]
	s_cbranch_execz .LBB57_1108
.LBB57_1107:
	v_bfe_u32 v10, v16, 16, 3
	v_ffbh_u32_e32 v15, v10
	v_min_u32_e32 v15, 32, v15
	v_lshrrev_b32_e32 v11, 19, v16
	v_subrev_u32_e32 v20, 28, v15
	v_and_b32_e32 v11, 15, v11
	v_lshlrev_b32_sdwa v20, v20, v16 dst_sel:DWORD dst_unused:UNUSED_PAD src0_sel:DWORD src1_sel:WORD_1
	v_bfe_u32 v14, v16, 19, 4
	v_sub_u32_e32 v15, 29, v15
	v_and_b32_e32 v20, 7, v20
	v_cmp_eq_u16_e32 vcc, 0, v11
	v_cndmask_b32_e32 v10, v10, v20, vcc
	v_cndmask_b32_e32 v11, v14, v15, vcc
	v_lshlrev_b32_e32 v14, 8, v16
	v_mov_b32_e32 v15, 0x3b800000
	v_lshlrev_b32_e32 v10, 20, v10
	v_and_b32_e32 v14, 0x80000000, v14
	v_lshl_add_u32 v11, v11, 23, v15
	v_or3_b32 v10, v14, v11, v10
.LBB57_1108:
	s_or_b64 exec, exec, s[6:7]
	s_movk_i32 s4, 0xff
	v_and_b32_sdwa v11, v12, s4 dst_sel:DWORD dst_unused:UNUSED_PAD src0_sel:WORD_1 src1_sel:DWORD
	s_movk_i32 s4, 0x7f
	v_cmp_lt_i16_e32 vcc, s4, v11
	s_mov_b64 s[4:5], 0
                                        ; implicit-def: $sgpr10
	s_and_saveexec_b64 s[6:7], vcc
	s_xor_b64 s[6:7], exec, s[6:7]
	s_cbranch_execnz .LBB57_3157
; %bb.1109:
	s_or_saveexec_b64 s[6:7], s[6:7]
	v_mov_b32_e32 v14, s10
	s_xor_b64 exec, exec, s[6:7]
	s_cbranch_execnz .LBB57_3160
.LBB57_1110:
	s_or_b64 exec, exec, s[6:7]
	s_and_saveexec_b64 s[6:7], s[4:5]
	s_cbranch_execz .LBB57_1112
.LBB57_1111:
	v_bfe_u32 v11, v12, 16, 3
	v_ffbh_u32_e32 v20, v11
	v_min_u32_e32 v20, 32, v20
	v_lshrrev_b32_e32 v14, 19, v12
	v_subrev_u32_e32 v21, 28, v20
	v_and_b32_e32 v14, 15, v14
	v_lshlrev_b32_sdwa v21, v21, v12 dst_sel:DWORD dst_unused:UNUSED_PAD src0_sel:DWORD src1_sel:WORD_1
	v_bfe_u32 v15, v12, 19, 4
	v_sub_u32_e32 v20, 29, v20
	v_and_b32_e32 v21, 7, v21
	v_cmp_eq_u16_e32 vcc, 0, v14
	v_cndmask_b32_e32 v11, v11, v21, vcc
	v_cndmask_b32_e32 v14, v15, v20, vcc
	v_lshlrev_b32_e32 v15, 8, v12
	v_mov_b32_e32 v20, 0x3b800000
	v_lshlrev_b32_e32 v11, 20, v11
	v_and_b32_e32 v15, 0x80000000, v15
	v_lshl_add_u32 v14, v14, 23, v20
	v_or3_b32 v14, v15, v14, v11
.LBB57_1112:
	s_or_b64 exec, exec, s[6:7]
	s_nop 0
	v_mfma_f32_16x16x4f32 a[0:3], v10, v14, a[0:3]
	s_movk_i32 s4, 0x7f
	v_cmp_gt_i16_sdwa s[6:7], v16, s4 src0_sel:BYTE_3 src1_sel:DWORD
	s_mov_b64 s[4:5], 0
                                        ; implicit-def: $sgpr10
	s_and_saveexec_b64 s[8:9], s[6:7]
	s_xor_b64 s[6:7], exec, s[8:9]
	s_cbranch_execnz .LBB57_3161
; %bb.1113:
	s_or_saveexec_b64 s[6:7], s[6:7]
	v_mov_b32_e32 v10, s10
	s_xor_b64 exec, exec, s[6:7]
	s_cbranch_execnz .LBB57_3164
.LBB57_1114:
	s_or_b64 exec, exec, s[6:7]
	s_and_saveexec_b64 s[6:7], s[4:5]
	s_cbranch_execz .LBB57_1116
.LBB57_1115:
	v_bfe_u32 v10, v16, 24, 3
	v_ffbh_u32_e32 v20, v10
	v_min_u32_e32 v20, 32, v20
	v_lshrrev_b32_e32 v14, 27, v16
	v_subrev_u32_e32 v21, 28, v20
	v_and_b32_e32 v11, 0x80000000, v16
	v_and_b32_e32 v14, 15, v14
	v_bfe_u32 v15, v16, 27, 4
	v_lshlrev_b32_sdwa v16, v21, v16 dst_sel:DWORD dst_unused:UNUSED_PAD src0_sel:DWORD src1_sel:BYTE_3
	v_sub_u32_e32 v20, 29, v20
	v_and_b32_e32 v16, 7, v16
	v_cmp_eq_u16_e32 vcc, 0, v14
	v_cndmask_b32_e32 v10, v10, v16, vcc
	v_cndmask_b32_e32 v14, v15, v20, vcc
	v_mov_b32_e32 v15, 0x3b800000
	v_lshlrev_b32_e32 v10, 20, v10
	v_lshl_add_u32 v14, v14, 23, v15
	v_or3_b32 v10, v11, v14, v10
.LBB57_1116:
	s_or_b64 exec, exec, s[6:7]
	s_movk_i32 s4, 0x7f
	v_cmp_gt_i16_sdwa s[6:7], v12, s4 src0_sel:BYTE_3 src1_sel:DWORD
	s_mov_b64 s[4:5], 0
                                        ; implicit-def: $sgpr10
	s_and_saveexec_b64 s[8:9], s[6:7]
	s_xor_b64 s[6:7], exec, s[8:9]
	s_cbranch_execnz .LBB57_3165
; %bb.1117:
	s_or_saveexec_b64 s[6:7], s[6:7]
	v_mov_b32_e32 v11, s10
	s_xor_b64 exec, exec, s[6:7]
	s_cbranch_execnz .LBB57_3168
.LBB57_1118:
	s_or_b64 exec, exec, s[6:7]
	s_and_saveexec_b64 s[6:7], s[4:5]
	s_cbranch_execz .LBB57_1120
.LBB57_1119:
	v_bfe_u32 v11, v12, 24, 3
	v_ffbh_u32_e32 v20, v11
	v_min_u32_e32 v20, 32, v20
	v_lshrrev_b32_e32 v15, 27, v12
	v_subrev_u32_e32 v21, 28, v20
	v_and_b32_e32 v14, 0x80000000, v12
	v_and_b32_e32 v15, 15, v15
	v_bfe_u32 v16, v12, 27, 4
	v_lshlrev_b32_sdwa v12, v21, v12 dst_sel:DWORD dst_unused:UNUSED_PAD src0_sel:DWORD src1_sel:BYTE_3
	v_sub_u32_e32 v20, 29, v20
	v_and_b32_e32 v12, 7, v12
	v_cmp_eq_u16_e32 vcc, 0, v15
	v_cndmask_b32_e32 v11, v11, v12, vcc
	v_cndmask_b32_e32 v12, v16, v20, vcc
	v_mov_b32_e32 v15, 0x3b800000
	v_lshlrev_b32_e32 v11, 20, v11
	v_lshl_add_u32 v12, v12, 23, v15
	v_or3_b32 v11, v14, v12, v11
.LBB57_1120:
	s_or_b64 exec, exec, s[6:7]
	s_nop 0
	v_mfma_f32_16x16x4f32 a[0:3], v10, v11, a[0:3]
	s_movk_i32 s4, 0x7f
	v_cmp_gt_i16_sdwa s[6:7], v17, s4 src0_sel:BYTE_0 src1_sel:DWORD
	s_mov_b64 s[4:5], 0
                                        ; implicit-def: $sgpr10
	s_and_saveexec_b64 s[8:9], s[6:7]
	s_xor_b64 s[6:7], exec, s[8:9]
	s_cbranch_execnz .LBB57_3169
; %bb.1121:
	s_or_saveexec_b64 s[6:7], s[6:7]
	v_mov_b32_e32 v10, s10
	s_xor_b64 exec, exec, s[6:7]
	s_cbranch_execnz .LBB57_3172
.LBB57_1122:
	s_or_b64 exec, exec, s[6:7]
	s_and_saveexec_b64 s[6:7], s[4:5]
	s_cbranch_execz .LBB57_1124
.LBB57_1123:
	v_and_b32_e32 v10, 7, v17
	v_ffbh_u32_e32 v12, v10
	v_min_u32_e32 v12, 32, v12
	v_lshrrev_b16_e32 v11, 3, v17
	v_subrev_u32_e32 v14, 28, v12
	v_and_b32_e32 v11, 15, v11
	v_lshlrev_b32_e32 v14, v14, v17
	v_sub_u32_e32 v12, 29, v12
	v_and_b32_e32 v14, 7, v14
	v_cmp_eq_u16_e32 vcc, 0, v11
	v_cndmask_b32_e32 v10, v10, v14, vcc
	v_cndmask_b32_e32 v11, v11, v12, vcc
	v_lshlrev_b32_e32 v12, 24, v17
	v_mov_b32_e32 v14, 0x3b800000
	v_lshlrev_b32_e32 v10, 20, v10
	v_and_b32_e32 v12, 0x80000000, v12
	v_lshl_add_u32 v11, v11, 23, v14
	v_or3_b32 v10, v12, v11, v10
.LBB57_1124:
	s_or_b64 exec, exec, s[6:7]
	s_movk_i32 s4, 0x7f
	v_cmp_gt_i16_sdwa s[6:7], v13, s4 src0_sel:BYTE_0 src1_sel:DWORD
	s_mov_b64 s[4:5], 0
                                        ; implicit-def: $sgpr10
	s_and_saveexec_b64 s[8:9], s[6:7]
	s_xor_b64 s[6:7], exec, s[8:9]
	s_cbranch_execnz .LBB57_3173
; %bb.1125:
	s_or_saveexec_b64 s[6:7], s[6:7]
	v_mov_b32_e32 v11, s10
	s_xor_b64 exec, exec, s[6:7]
	s_cbranch_execnz .LBB57_3176
.LBB57_1126:
	s_or_b64 exec, exec, s[6:7]
	s_and_saveexec_b64 s[6:7], s[4:5]
	s_cbranch_execz .LBB57_1128
.LBB57_1127:
	v_and_b32_e32 v11, 7, v13
	v_ffbh_u32_e32 v14, v11
	v_min_u32_e32 v14, 32, v14
	v_lshrrev_b16_e32 v12, 3, v13
	v_subrev_u32_e32 v15, 28, v14
	v_and_b32_e32 v12, 15, v12
	v_lshlrev_b32_e32 v15, v15, v13
	v_sub_u32_e32 v14, 29, v14
	v_and_b32_e32 v15, 7, v15
	v_cmp_eq_u16_e32 vcc, 0, v12
	v_cndmask_b32_e32 v11, v11, v15, vcc
	v_cndmask_b32_e32 v12, v12, v14, vcc
	v_lshlrev_b32_e32 v14, 24, v13
	v_mov_b32_e32 v15, 0x3b800000
	v_lshlrev_b32_e32 v11, 20, v11
	v_and_b32_e32 v14, 0x80000000, v14
	v_lshl_add_u32 v12, v12, 23, v15
	v_or3_b32 v11, v14, v12, v11
.LBB57_1128:
	s_or_b64 exec, exec, s[6:7]
	s_nop 0
	v_mfma_f32_16x16x4f32 a[0:3], v10, v11, a[0:3]
	v_lshrrev_b32_e32 v11, 8, v17
	s_movk_i32 s4, 0x7f
	v_cmp_gt_i16_sdwa s[6:7], v11, s4 src0_sel:BYTE_0 src1_sel:DWORD
	s_mov_b64 s[4:5], 0
                                        ; implicit-def: $sgpr10
	s_and_saveexec_b64 s[8:9], s[6:7]
	s_xor_b64 s[6:7], exec, s[8:9]
	s_cbranch_execnz .LBB57_3177
; %bb.1129:
	s_or_saveexec_b64 s[6:7], s[6:7]
	v_mov_b32_e32 v10, s10
	s_xor_b64 exec, exec, s[6:7]
	s_cbranch_execnz .LBB57_3180
.LBB57_1130:
	s_or_b64 exec, exec, s[6:7]
	s_and_saveexec_b64 s[6:7], s[4:5]
	s_cbranch_execz .LBB57_1132
.LBB57_1131:
	v_bfe_u32 v10, v17, 8, 3
	v_ffbh_u32_e32 v14, v10
	v_min_u32_e32 v14, 32, v14
	v_lshrrev_b16_e32 v12, 3, v11
	v_subrev_u32_e32 v15, 28, v14
	v_and_b32_e32 v12, 15, v12
	v_lshlrev_b32_e32 v11, v15, v11
	v_sub_u32_e32 v14, 29, v14
	v_and_b32_e32 v11, 7, v11
	v_cmp_eq_u16_e32 vcc, 0, v12
	v_cndmask_b32_e32 v10, v10, v11, vcc
	v_cndmask_b32_e32 v11, v12, v14, vcc
	v_lshlrev_b32_e32 v12, 16, v17
	v_mov_b32_e32 v14, 0x3b800000
	v_lshlrev_b32_e32 v10, 20, v10
	v_and_b32_e32 v12, 0x80000000, v12
	v_lshl_add_u32 v11, v11, 23, v14
	v_or3_b32 v10, v12, v11, v10
.LBB57_1132:
	s_or_b64 exec, exec, s[6:7]
	v_lshrrev_b32_e32 v11, 8, v13
	s_movk_i32 s4, 0x7f
	v_cmp_gt_i16_sdwa s[6:7], v11, s4 src0_sel:BYTE_0 src1_sel:DWORD
	s_mov_b64 s[4:5], 0
                                        ; implicit-def: $sgpr10
	s_and_saveexec_b64 s[8:9], s[6:7]
	s_xor_b64 s[6:7], exec, s[8:9]
	s_cbranch_execnz .LBB57_3181
; %bb.1133:
	s_or_saveexec_b64 s[6:7], s[6:7]
	v_mov_b32_e32 v12, s10
	s_xor_b64 exec, exec, s[6:7]
	s_cbranch_execnz .LBB57_3184
.LBB57_1134:
	s_or_b64 exec, exec, s[6:7]
	s_and_saveexec_b64 s[6:7], s[4:5]
	s_cbranch_execz .LBB57_1136
.LBB57_1135:
	v_bfe_u32 v12, v13, 8, 3
	v_ffbh_u32_e32 v15, v12
	v_min_u32_e32 v15, 32, v15
	v_lshrrev_b16_e32 v14, 3, v11
	v_subrev_u32_e32 v16, 28, v15
	v_and_b32_e32 v14, 15, v14
	v_lshlrev_b32_e32 v11, v16, v11
	v_sub_u32_e32 v15, 29, v15
	v_and_b32_e32 v11, 7, v11
	v_cmp_eq_u16_e32 vcc, 0, v14
	v_cndmask_b32_e32 v11, v12, v11, vcc
	v_cndmask_b32_e32 v12, v14, v15, vcc
	v_lshlrev_b32_e32 v14, 16, v13
	v_mov_b32_e32 v15, 0x3b800000
	v_lshlrev_b32_e32 v11, 20, v11
	v_and_b32_e32 v14, 0x80000000, v14
	v_lshl_add_u32 v12, v12, 23, v15
	v_or3_b32 v12, v14, v12, v11
.LBB57_1136:
	s_or_b64 exec, exec, s[6:7]
	s_nop 0
	v_mfma_f32_16x16x4f32 a[0:3], v10, v12, a[0:3]
	s_movk_i32 s4, 0xff
	v_and_b32_sdwa v11, v17, s4 dst_sel:DWORD dst_unused:UNUSED_PAD src0_sel:WORD_1 src1_sel:DWORD
	s_movk_i32 s4, 0x7f
	v_cmp_lt_i16_e32 vcc, s4, v11
	s_mov_b64 s[4:5], 0
                                        ; implicit-def: $sgpr10
	s_and_saveexec_b64 s[6:7], vcc
	s_xor_b64 s[6:7], exec, s[6:7]
	s_cbranch_execnz .LBB57_3185
; %bb.1137:
	s_or_saveexec_b64 s[6:7], s[6:7]
	v_mov_b32_e32 v10, s10
	s_xor_b64 exec, exec, s[6:7]
	s_cbranch_execnz .LBB57_3188
.LBB57_1138:
	s_or_b64 exec, exec, s[6:7]
	s_and_saveexec_b64 s[6:7], s[4:5]
	s_cbranch_execz .LBB57_1140
.LBB57_1139:
	v_bfe_u32 v10, v17, 16, 3
	v_ffbh_u32_e32 v14, v10
	v_min_u32_e32 v14, 32, v14
	v_lshrrev_b32_e32 v11, 19, v17
	v_subrev_u32_e32 v15, 28, v14
	v_and_b32_e32 v11, 15, v11
	v_lshlrev_b32_sdwa v15, v15, v17 dst_sel:DWORD dst_unused:UNUSED_PAD src0_sel:DWORD src1_sel:WORD_1
	v_bfe_u32 v12, v17, 19, 4
	v_sub_u32_e32 v14, 29, v14
	v_and_b32_e32 v15, 7, v15
	v_cmp_eq_u16_e32 vcc, 0, v11
	v_cndmask_b32_e32 v10, v10, v15, vcc
	v_cndmask_b32_e32 v11, v12, v14, vcc
	v_lshlrev_b32_e32 v12, 8, v17
	v_mov_b32_e32 v14, 0x3b800000
	v_lshlrev_b32_e32 v10, 20, v10
	v_and_b32_e32 v12, 0x80000000, v12
	v_lshl_add_u32 v11, v11, 23, v14
	v_or3_b32 v10, v12, v11, v10
.LBB57_1140:
	s_or_b64 exec, exec, s[6:7]
	s_movk_i32 s4, 0xff
	v_and_b32_sdwa v11, v13, s4 dst_sel:DWORD dst_unused:UNUSED_PAD src0_sel:WORD_1 src1_sel:DWORD
	s_movk_i32 s4, 0x7f
	v_cmp_lt_i16_e32 vcc, s4, v11
	s_mov_b64 s[4:5], 0
                                        ; implicit-def: $sgpr10
	s_and_saveexec_b64 s[6:7], vcc
	s_xor_b64 s[6:7], exec, s[6:7]
	s_cbranch_execnz .LBB57_3189
; %bb.1141:
	s_or_saveexec_b64 s[6:7], s[6:7]
	v_mov_b32_e32 v12, s10
	s_xor_b64 exec, exec, s[6:7]
	s_cbranch_execnz .LBB57_3192
.LBB57_1142:
	s_or_b64 exec, exec, s[6:7]
	s_and_saveexec_b64 s[6:7], s[4:5]
	s_cbranch_execz .LBB57_1144
.LBB57_1143:
	v_bfe_u32 v11, v13, 16, 3
	v_ffbh_u32_e32 v15, v11
	v_min_u32_e32 v15, 32, v15
	v_lshrrev_b32_e32 v12, 19, v13
	v_subrev_u32_e32 v16, 28, v15
	v_and_b32_e32 v12, 15, v12
	v_lshlrev_b32_sdwa v16, v16, v13 dst_sel:DWORD dst_unused:UNUSED_PAD src0_sel:DWORD src1_sel:WORD_1
	v_bfe_u32 v14, v13, 19, 4
	v_sub_u32_e32 v15, 29, v15
	v_and_b32_e32 v16, 7, v16
	v_cmp_eq_u16_e32 vcc, 0, v12
	v_cndmask_b32_e32 v11, v11, v16, vcc
	v_cndmask_b32_e32 v12, v14, v15, vcc
	v_lshlrev_b32_e32 v14, 8, v13
	v_mov_b32_e32 v15, 0x3b800000
	v_lshlrev_b32_e32 v11, 20, v11
	v_and_b32_e32 v14, 0x80000000, v14
	v_lshl_add_u32 v12, v12, 23, v15
	v_or3_b32 v12, v14, v12, v11
.LBB57_1144:
	s_or_b64 exec, exec, s[6:7]
	s_nop 0
	v_mfma_f32_16x16x4f32 a[0:3], v10, v12, a[0:3]
	s_movk_i32 s4, 0x7f
	v_cmp_gt_i16_sdwa s[6:7], v17, s4 src0_sel:BYTE_3 src1_sel:DWORD
	s_mov_b64 s[4:5], 0
                                        ; implicit-def: $sgpr10
	s_and_saveexec_b64 s[8:9], s[6:7]
	s_xor_b64 s[6:7], exec, s[8:9]
	s_cbranch_execnz .LBB57_3193
; %bb.1145:
	s_or_saveexec_b64 s[6:7], s[6:7]
	v_mov_b32_e32 v10, s10
	s_xor_b64 exec, exec, s[6:7]
	s_cbranch_execnz .LBB57_3196
.LBB57_1146:
	s_or_b64 exec, exec, s[6:7]
	s_and_saveexec_b64 s[6:7], s[4:5]
	s_cbranch_execz .LBB57_1148
.LBB57_1147:
	v_bfe_u32 v10, v17, 24, 3
	v_ffbh_u32_e32 v15, v10
	v_min_u32_e32 v15, 32, v15
	v_lshrrev_b32_e32 v12, 27, v17
	v_subrev_u32_e32 v16, 28, v15
	v_and_b32_e32 v12, 15, v12
	v_lshlrev_b32_sdwa v16, v16, v17 dst_sel:DWORD dst_unused:UNUSED_PAD src0_sel:DWORD src1_sel:BYTE_3
	v_bfe_u32 v14, v17, 27, 4
	v_sub_u32_e32 v15, 29, v15
	v_and_b32_e32 v16, 7, v16
	v_cmp_eq_u16_e32 vcc, 0, v12
	v_cndmask_b32_e32 v10, v10, v16, vcc
	v_cndmask_b32_e32 v12, v14, v15, vcc
	v_mov_b32_e32 v14, 0x3b800000
	v_and_b32_e32 v11, 0x80000000, v17
	v_lshlrev_b32_e32 v10, 20, v10
	v_lshl_add_u32 v12, v12, 23, v14
	v_or3_b32 v10, v11, v12, v10
.LBB57_1148:
	s_or_b64 exec, exec, s[6:7]
	s_movk_i32 s4, 0x7f
	v_cmp_gt_i16_sdwa s[6:7], v13, s4 src0_sel:BYTE_3 src1_sel:DWORD
	s_mov_b64 s[4:5], 0
                                        ; implicit-def: $sgpr10
	s_and_saveexec_b64 s[8:9], s[6:7]
	s_xor_b64 s[6:7], exec, s[8:9]
	s_cbranch_execnz .LBB57_3197
; %bb.1149:
	s_or_saveexec_b64 s[6:7], s[6:7]
	v_mov_b32_e32 v11, s10
	s_xor_b64 exec, exec, s[6:7]
	s_cbranch_execnz .LBB57_3200
.LBB57_1150:
	s_or_b64 exec, exec, s[6:7]
	s_and_saveexec_b64 s[6:7], s[4:5]
	s_cbranch_execz .LBB57_1152
.LBB57_1151:
	v_bfe_u32 v11, v13, 24, 3
	v_ffbh_u32_e32 v16, v11
	v_min_u32_e32 v16, 32, v16
	v_lshrrev_b32_e32 v14, 27, v13
	v_subrev_u32_e32 v17, 28, v16
	v_and_b32_e32 v12, 0x80000000, v13
	v_and_b32_e32 v14, 15, v14
	v_bfe_u32 v15, v13, 27, 4
	v_lshlrev_b32_sdwa v13, v17, v13 dst_sel:DWORD dst_unused:UNUSED_PAD src0_sel:DWORD src1_sel:BYTE_3
	v_sub_u32_e32 v16, 29, v16
	v_and_b32_e32 v13, 7, v13
	v_cmp_eq_u16_e32 vcc, 0, v14
	v_cndmask_b32_e32 v11, v11, v13, vcc
	v_cndmask_b32_e32 v13, v15, v16, vcc
	v_mov_b32_e32 v14, 0x3b800000
	v_lshlrev_b32_e32 v11, 20, v11
	v_lshl_add_u32 v13, v13, 23, v14
	v_or3_b32 v11, v12, v13, v11
.LBB57_1152:
	s_or_b64 exec, exec, s[6:7]
	s_nop 0
	v_mfma_f32_16x16x4f32 a[0:3], v10, v11, a[0:3]
	s_movk_i32 s4, 0x7f
	v_cmp_gt_i16_sdwa s[6:7], v6, s4 src0_sel:BYTE_0 src1_sel:DWORD
	s_mov_b64 s[4:5], 0
                                        ; implicit-def: $sgpr10
	s_and_saveexec_b64 s[8:9], s[6:7]
	s_xor_b64 s[6:7], exec, s[8:9]
	s_cbranch_execnz .LBB57_3201
; %bb.1153:
	s_or_saveexec_b64 s[6:7], s[6:7]
	v_mov_b32_e32 v10, s10
	s_xor_b64 exec, exec, s[6:7]
	s_cbranch_execnz .LBB57_3204
.LBB57_1154:
	s_or_b64 exec, exec, s[6:7]
	s_and_saveexec_b64 s[6:7], s[4:5]
	s_cbranch_execz .LBB57_1156
.LBB57_1155:
	v_and_b32_e32 v10, 7, v6
	v_ffbh_u32_e32 v12, v10
	v_min_u32_e32 v12, 32, v12
	v_lshrrev_b16_e32 v11, 3, v6
	v_subrev_u32_e32 v13, 28, v12
	v_and_b32_e32 v11, 15, v11
	v_lshlrev_b32_e32 v13, v13, v6
	v_sub_u32_e32 v12, 29, v12
	v_and_b32_e32 v13, 7, v13
	v_cmp_eq_u16_e32 vcc, 0, v11
	v_cndmask_b32_e32 v10, v10, v13, vcc
	v_cndmask_b32_e32 v11, v11, v12, vcc
	v_lshlrev_b32_e32 v12, 24, v6
	v_mov_b32_e32 v13, 0x3b800000
	v_lshlrev_b32_e32 v10, 20, v10
	v_and_b32_e32 v12, 0x80000000, v12
	v_lshl_add_u32 v11, v11, 23, v13
	v_or3_b32 v10, v12, v11, v10
.LBB57_1156:
	s_or_b64 exec, exec, s[6:7]
	s_movk_i32 s4, 0x7f
	v_cmp_gt_i16_sdwa s[6:7], v2, s4 src0_sel:BYTE_0 src1_sel:DWORD
	s_mov_b64 s[4:5], 0
                                        ; implicit-def: $sgpr10
	s_and_saveexec_b64 s[8:9], s[6:7]
	s_xor_b64 s[6:7], exec, s[8:9]
	s_cbranch_execnz .LBB57_3205
; %bb.1157:
	s_or_saveexec_b64 s[6:7], s[6:7]
	v_mov_b32_e32 v11, s10
	s_xor_b64 exec, exec, s[6:7]
	s_cbranch_execnz .LBB57_3208
.LBB57_1158:
	s_or_b64 exec, exec, s[6:7]
	s_and_saveexec_b64 s[6:7], s[4:5]
	s_cbranch_execz .LBB57_1160
.LBB57_1159:
	v_and_b32_e32 v11, 7, v2
	v_ffbh_u32_e32 v13, v11
	v_min_u32_e32 v13, 32, v13
	v_lshrrev_b16_e32 v12, 3, v2
	v_subrev_u32_e32 v14, 28, v13
	v_and_b32_e32 v12, 15, v12
	v_lshlrev_b32_e32 v14, v14, v2
	v_sub_u32_e32 v13, 29, v13
	v_and_b32_e32 v14, 7, v14
	v_cmp_eq_u16_e32 vcc, 0, v12
	v_cndmask_b32_e32 v11, v11, v14, vcc
	v_cndmask_b32_e32 v12, v12, v13, vcc
	v_lshlrev_b32_e32 v13, 24, v2
	v_mov_b32_e32 v14, 0x3b800000
	v_lshlrev_b32_e32 v11, 20, v11
	v_and_b32_e32 v13, 0x80000000, v13
	v_lshl_add_u32 v12, v12, 23, v14
	v_or3_b32 v11, v13, v12, v11
.LBB57_1160:
	s_or_b64 exec, exec, s[6:7]
	s_nop 0
	v_mfma_f32_16x16x4f32 a[0:3], v10, v11, a[0:3]
	v_lshrrev_b32_e32 v11, 8, v6
	s_movk_i32 s4, 0x7f
	v_cmp_gt_i16_sdwa s[6:7], v11, s4 src0_sel:BYTE_0 src1_sel:DWORD
	s_mov_b64 s[4:5], 0
                                        ; implicit-def: $sgpr10
	s_and_saveexec_b64 s[8:9], s[6:7]
	s_xor_b64 s[6:7], exec, s[8:9]
	s_cbranch_execnz .LBB57_3209
; %bb.1161:
	s_or_saveexec_b64 s[6:7], s[6:7]
	v_mov_b32_e32 v10, s10
	s_xor_b64 exec, exec, s[6:7]
	s_cbranch_execnz .LBB57_3212
.LBB57_1162:
	s_or_b64 exec, exec, s[6:7]
	s_and_saveexec_b64 s[6:7], s[4:5]
	s_cbranch_execz .LBB57_1164
.LBB57_1163:
	v_bfe_u32 v10, v6, 8, 3
	v_ffbh_u32_e32 v13, v10
	v_min_u32_e32 v13, 32, v13
	v_lshrrev_b16_e32 v12, 3, v11
	v_subrev_u32_e32 v14, 28, v13
	v_and_b32_e32 v12, 15, v12
	v_lshlrev_b32_e32 v11, v14, v11
	v_sub_u32_e32 v13, 29, v13
	v_and_b32_e32 v11, 7, v11
	v_cmp_eq_u16_e32 vcc, 0, v12
	v_cndmask_b32_e32 v10, v10, v11, vcc
	v_cndmask_b32_e32 v11, v12, v13, vcc
	v_lshlrev_b32_e32 v12, 16, v6
	v_mov_b32_e32 v13, 0x3b800000
	v_lshlrev_b32_e32 v10, 20, v10
	v_and_b32_e32 v12, 0x80000000, v12
	v_lshl_add_u32 v11, v11, 23, v13
	v_or3_b32 v10, v12, v11, v10
.LBB57_1164:
	s_or_b64 exec, exec, s[6:7]
	v_lshrrev_b32_e32 v11, 8, v2
	s_movk_i32 s4, 0x7f
	v_cmp_gt_i16_sdwa s[6:7], v11, s4 src0_sel:BYTE_0 src1_sel:DWORD
	s_mov_b64 s[4:5], 0
                                        ; implicit-def: $sgpr10
	s_and_saveexec_b64 s[8:9], s[6:7]
	s_xor_b64 s[6:7], exec, s[8:9]
	s_cbranch_execnz .LBB57_3213
; %bb.1165:
	s_or_saveexec_b64 s[6:7], s[6:7]
	v_mov_b32_e32 v12, s10
	s_xor_b64 exec, exec, s[6:7]
	s_cbranch_execnz .LBB57_3216
.LBB57_1166:
	s_or_b64 exec, exec, s[6:7]
	s_and_saveexec_b64 s[6:7], s[4:5]
	s_cbranch_execz .LBB57_1168
.LBB57_1167:
	v_bfe_u32 v12, v2, 8, 3
	v_ffbh_u32_e32 v14, v12
	v_min_u32_e32 v14, 32, v14
	v_lshrrev_b16_e32 v13, 3, v11
	v_subrev_u32_e32 v15, 28, v14
	v_and_b32_e32 v13, 15, v13
	v_lshlrev_b32_e32 v11, v15, v11
	v_sub_u32_e32 v14, 29, v14
	v_and_b32_e32 v11, 7, v11
	v_cmp_eq_u16_e32 vcc, 0, v13
	v_cndmask_b32_e32 v11, v12, v11, vcc
	v_cndmask_b32_e32 v12, v13, v14, vcc
	v_lshlrev_b32_e32 v13, 16, v2
	v_mov_b32_e32 v14, 0x3b800000
	v_lshlrev_b32_e32 v11, 20, v11
	v_and_b32_e32 v13, 0x80000000, v13
	v_lshl_add_u32 v12, v12, 23, v14
	v_or3_b32 v12, v13, v12, v11
.LBB57_1168:
	s_or_b64 exec, exec, s[6:7]
	s_nop 0
	v_mfma_f32_16x16x4f32 a[0:3], v10, v12, a[0:3]
	s_movk_i32 s4, 0xff
	v_and_b32_sdwa v11, v6, s4 dst_sel:DWORD dst_unused:UNUSED_PAD src0_sel:WORD_1 src1_sel:DWORD
	s_movk_i32 s4, 0x7f
	v_cmp_lt_i16_e32 vcc, s4, v11
	s_mov_b64 s[4:5], 0
                                        ; implicit-def: $sgpr10
	s_and_saveexec_b64 s[6:7], vcc
	s_xor_b64 s[6:7], exec, s[6:7]
	s_cbranch_execnz .LBB57_3217
; %bb.1169:
	s_or_saveexec_b64 s[6:7], s[6:7]
	v_mov_b32_e32 v10, s10
	s_xor_b64 exec, exec, s[6:7]
	s_cbranch_execnz .LBB57_3220
.LBB57_1170:
	s_or_b64 exec, exec, s[6:7]
	s_and_saveexec_b64 s[6:7], s[4:5]
	s_cbranch_execz .LBB57_1172
.LBB57_1171:
	v_bfe_u32 v10, v6, 16, 3
	v_ffbh_u32_e32 v13, v10
	v_min_u32_e32 v13, 32, v13
	v_lshrrev_b32_e32 v11, 19, v6
	v_subrev_u32_e32 v14, 28, v13
	v_and_b32_e32 v11, 15, v11
	v_lshlrev_b32_sdwa v14, v14, v6 dst_sel:DWORD dst_unused:UNUSED_PAD src0_sel:DWORD src1_sel:WORD_1
	v_bfe_u32 v12, v6, 19, 4
	v_sub_u32_e32 v13, 29, v13
	v_and_b32_e32 v14, 7, v14
	v_cmp_eq_u16_e32 vcc, 0, v11
	v_cndmask_b32_e32 v10, v10, v14, vcc
	v_cndmask_b32_e32 v11, v12, v13, vcc
	v_lshlrev_b32_e32 v12, 8, v6
	v_mov_b32_e32 v13, 0x3b800000
	v_lshlrev_b32_e32 v10, 20, v10
	v_and_b32_e32 v12, 0x80000000, v12
	v_lshl_add_u32 v11, v11, 23, v13
	v_or3_b32 v10, v12, v11, v10
.LBB57_1172:
	s_or_b64 exec, exec, s[6:7]
	s_movk_i32 s4, 0xff
	v_and_b32_sdwa v11, v2, s4 dst_sel:DWORD dst_unused:UNUSED_PAD src0_sel:WORD_1 src1_sel:DWORD
	s_movk_i32 s4, 0x7f
	v_cmp_lt_i16_e32 vcc, s4, v11
	s_mov_b64 s[4:5], 0
                                        ; implicit-def: $sgpr10
	s_and_saveexec_b64 s[6:7], vcc
	s_xor_b64 s[6:7], exec, s[6:7]
	s_cbranch_execnz .LBB57_3221
; %bb.1173:
	s_or_saveexec_b64 s[6:7], s[6:7]
	v_mov_b32_e32 v12, s10
	s_xor_b64 exec, exec, s[6:7]
	s_cbranch_execnz .LBB57_3224
.LBB57_1174:
	s_or_b64 exec, exec, s[6:7]
	s_and_saveexec_b64 s[6:7], s[4:5]
	s_cbranch_execz .LBB57_1176
.LBB57_1175:
	v_bfe_u32 v11, v2, 16, 3
	v_ffbh_u32_e32 v14, v11
	v_min_u32_e32 v14, 32, v14
	v_lshrrev_b32_e32 v12, 19, v2
	v_subrev_u32_e32 v15, 28, v14
	v_and_b32_e32 v12, 15, v12
	v_lshlrev_b32_sdwa v15, v15, v2 dst_sel:DWORD dst_unused:UNUSED_PAD src0_sel:DWORD src1_sel:WORD_1
	v_bfe_u32 v13, v2, 19, 4
	v_sub_u32_e32 v14, 29, v14
	v_and_b32_e32 v15, 7, v15
	v_cmp_eq_u16_e32 vcc, 0, v12
	v_cndmask_b32_e32 v11, v11, v15, vcc
	v_cndmask_b32_e32 v12, v13, v14, vcc
	v_lshlrev_b32_e32 v13, 8, v2
	v_mov_b32_e32 v14, 0x3b800000
	v_lshlrev_b32_e32 v11, 20, v11
	v_and_b32_e32 v13, 0x80000000, v13
	v_lshl_add_u32 v12, v12, 23, v14
	v_or3_b32 v12, v13, v12, v11
.LBB57_1176:
	s_or_b64 exec, exec, s[6:7]
	s_nop 0
	v_mfma_f32_16x16x4f32 a[0:3], v10, v12, a[0:3]
	s_movk_i32 s4, 0x7f
	v_cmp_gt_i16_sdwa s[6:7], v6, s4 src0_sel:BYTE_3 src1_sel:DWORD
	s_mov_b64 s[4:5], 0
                                        ; implicit-def: $sgpr10
	s_and_saveexec_b64 s[8:9], s[6:7]
	s_xor_b64 s[6:7], exec, s[8:9]
	s_cbranch_execnz .LBB57_3225
; %bb.1177:
	s_or_saveexec_b64 s[6:7], s[6:7]
	v_mov_b32_e32 v10, s10
	s_xor_b64 exec, exec, s[6:7]
	s_cbranch_execnz .LBB57_3228
.LBB57_1178:
	s_or_b64 exec, exec, s[6:7]
	s_and_saveexec_b64 s[6:7], s[4:5]
	s_cbranch_execz .LBB57_1180
.LBB57_1179:
	v_bfe_u32 v10, v6, 24, 3
	v_ffbh_u32_e32 v14, v10
	v_min_u32_e32 v14, 32, v14
	v_lshrrev_b32_e32 v12, 27, v6
	v_subrev_u32_e32 v15, 28, v14
	v_and_b32_e32 v11, 0x80000000, v6
	v_and_b32_e32 v12, 15, v12
	v_bfe_u32 v13, v6, 27, 4
	v_lshlrev_b32_sdwa v6, v15, v6 dst_sel:DWORD dst_unused:UNUSED_PAD src0_sel:DWORD src1_sel:BYTE_3
	v_sub_u32_e32 v14, 29, v14
	v_and_b32_e32 v6, 7, v6
	v_cmp_eq_u16_e32 vcc, 0, v12
	v_cndmask_b32_e32 v6, v10, v6, vcc
	v_cndmask_b32_e32 v10, v13, v14, vcc
	v_mov_b32_e32 v12, 0x3b800000
	v_lshlrev_b32_e32 v6, 20, v6
	v_lshl_add_u32 v10, v10, 23, v12
	v_or3_b32 v10, v11, v10, v6
.LBB57_1180:
	s_or_b64 exec, exec, s[6:7]
	s_movk_i32 s4, 0x7f
	v_cmp_gt_i16_sdwa s[6:7], v2, s4 src0_sel:BYTE_3 src1_sel:DWORD
	s_mov_b64 s[4:5], 0
                                        ; implicit-def: $sgpr10
	s_and_saveexec_b64 s[8:9], s[6:7]
	s_xor_b64 s[6:7], exec, s[8:9]
	s_cbranch_execnz .LBB57_3229
; %bb.1181:
	s_or_saveexec_b64 s[6:7], s[6:7]
	v_mov_b32_e32 v6, s10
	s_xor_b64 exec, exec, s[6:7]
	s_cbranch_execnz .LBB57_3232
.LBB57_1182:
	s_or_b64 exec, exec, s[6:7]
	s_and_saveexec_b64 s[6:7], s[4:5]
	s_cbranch_execz .LBB57_1184
.LBB57_1183:
	v_bfe_u32 v6, v2, 24, 3
	v_ffbh_u32_e32 v14, v6
	v_min_u32_e32 v14, 32, v14
	v_lshrrev_b32_e32 v12, 27, v2
	v_subrev_u32_e32 v15, 28, v14
	v_and_b32_e32 v11, 0x80000000, v2
	v_and_b32_e32 v12, 15, v12
	v_bfe_u32 v13, v2, 27, 4
	v_lshlrev_b32_sdwa v2, v15, v2 dst_sel:DWORD dst_unused:UNUSED_PAD src0_sel:DWORD src1_sel:BYTE_3
	v_sub_u32_e32 v14, 29, v14
	v_and_b32_e32 v2, 7, v2
	v_cmp_eq_u16_e32 vcc, 0, v12
	v_cndmask_b32_e32 v2, v6, v2, vcc
	v_cndmask_b32_e32 v6, v13, v14, vcc
	v_mov_b32_e32 v12, 0x3b800000
	v_lshlrev_b32_e32 v2, 20, v2
	v_lshl_add_u32 v6, v6, 23, v12
	v_or3_b32 v6, v11, v6, v2
.LBB57_1184:
	s_or_b64 exec, exec, s[6:7]
	s_nop 0
	v_mfma_f32_16x16x4f32 a[0:3], v10, v6, a[0:3]
	s_movk_i32 s4, 0x7f
	v_cmp_gt_i16_sdwa s[6:7], v7, s4 src0_sel:BYTE_0 src1_sel:DWORD
	s_mov_b64 s[4:5], 0
                                        ; implicit-def: $sgpr10
	s_and_saveexec_b64 s[8:9], s[6:7]
	s_xor_b64 s[6:7], exec, s[8:9]
	s_cbranch_execnz .LBB57_3233
; %bb.1185:
	s_or_saveexec_b64 s[6:7], s[6:7]
	v_mov_b32_e32 v2, s10
	s_xor_b64 exec, exec, s[6:7]
	s_cbranch_execnz .LBB57_3236
.LBB57_1186:
	s_or_b64 exec, exec, s[6:7]
	s_and_saveexec_b64 s[6:7], s[4:5]
	s_cbranch_execz .LBB57_1188
.LBB57_1187:
	v_and_b32_e32 v2, 7, v7
	v_ffbh_u32_e32 v10, v2
	v_min_u32_e32 v10, 32, v10
	v_lshrrev_b16_e32 v6, 3, v7
	v_subrev_u32_e32 v11, 28, v10
	v_and_b32_e32 v6, 15, v6
	v_lshlrev_b32_e32 v11, v11, v7
	v_sub_u32_e32 v10, 29, v10
	v_and_b32_e32 v11, 7, v11
	v_cmp_eq_u16_e32 vcc, 0, v6
	v_cndmask_b32_e32 v2, v2, v11, vcc
	v_cndmask_b32_e32 v6, v6, v10, vcc
	v_lshlrev_b32_e32 v10, 24, v7
	v_mov_b32_e32 v11, 0x3b800000
	v_lshlrev_b32_e32 v2, 20, v2
	v_and_b32_e32 v10, 0x80000000, v10
	v_lshl_add_u32 v6, v6, 23, v11
	v_or3_b32 v2, v10, v6, v2
.LBB57_1188:
	s_or_b64 exec, exec, s[6:7]
	s_movk_i32 s4, 0x7f
	v_cmp_gt_i16_sdwa s[6:7], v3, s4 src0_sel:BYTE_0 src1_sel:DWORD
	s_mov_b64 s[4:5], 0
                                        ; implicit-def: $sgpr10
	s_and_saveexec_b64 s[8:9], s[6:7]
	s_xor_b64 s[6:7], exec, s[8:9]
	s_cbranch_execnz .LBB57_3237
; %bb.1189:
	s_or_saveexec_b64 s[6:7], s[6:7]
	v_mov_b32_e32 v6, s10
	s_xor_b64 exec, exec, s[6:7]
	s_cbranch_execnz .LBB57_3240
.LBB57_1190:
	s_or_b64 exec, exec, s[6:7]
	s_and_saveexec_b64 s[6:7], s[4:5]
	s_cbranch_execz .LBB57_1192
.LBB57_1191:
	v_and_b32_e32 v6, 7, v3
	v_ffbh_u32_e32 v11, v6
	v_min_u32_e32 v11, 32, v11
	v_lshrrev_b16_e32 v10, 3, v3
	v_subrev_u32_e32 v12, 28, v11
	v_and_b32_e32 v10, 15, v10
	v_lshlrev_b32_e32 v12, v12, v3
	v_sub_u32_e32 v11, 29, v11
	v_and_b32_e32 v12, 7, v12
	v_cmp_eq_u16_e32 vcc, 0, v10
	v_cndmask_b32_e32 v6, v6, v12, vcc
	v_cndmask_b32_e32 v10, v10, v11, vcc
	v_lshlrev_b32_e32 v11, 24, v3
	v_mov_b32_e32 v12, 0x3b800000
	v_lshlrev_b32_e32 v6, 20, v6
	v_and_b32_e32 v11, 0x80000000, v11
	v_lshl_add_u32 v10, v10, 23, v12
	v_or3_b32 v6, v11, v10, v6
.LBB57_1192:
	s_or_b64 exec, exec, s[6:7]
	s_nop 0
	v_mfma_f32_16x16x4f32 a[0:3], v2, v6, a[0:3]
	v_lshrrev_b32_e32 v6, 8, v7
	s_movk_i32 s4, 0x7f
	v_cmp_gt_i16_sdwa s[6:7], v6, s4 src0_sel:BYTE_0 src1_sel:DWORD
	s_mov_b64 s[4:5], 0
                                        ; implicit-def: $sgpr10
	s_and_saveexec_b64 s[8:9], s[6:7]
	s_xor_b64 s[6:7], exec, s[8:9]
	s_cbranch_execnz .LBB57_3241
; %bb.1193:
	s_or_saveexec_b64 s[6:7], s[6:7]
	v_mov_b32_e32 v2, s10
	s_xor_b64 exec, exec, s[6:7]
	s_cbranch_execnz .LBB57_3244
.LBB57_1194:
	s_or_b64 exec, exec, s[6:7]
	s_and_saveexec_b64 s[6:7], s[4:5]
	s_cbranch_execz .LBB57_1196
.LBB57_1195:
	v_bfe_u32 v2, v7, 8, 3
	v_ffbh_u32_e32 v11, v2
	v_min_u32_e32 v11, 32, v11
	v_lshrrev_b16_e32 v10, 3, v6
	v_subrev_u32_e32 v12, 28, v11
	v_and_b32_e32 v10, 15, v10
	v_lshlrev_b32_e32 v6, v12, v6
	v_sub_u32_e32 v11, 29, v11
	v_and_b32_e32 v6, 7, v6
	v_cmp_eq_u16_e32 vcc, 0, v10
	v_cndmask_b32_e32 v2, v2, v6, vcc
	v_cndmask_b32_e32 v6, v10, v11, vcc
	v_lshlrev_b32_e32 v10, 16, v7
	v_mov_b32_e32 v11, 0x3b800000
	v_lshlrev_b32_e32 v2, 20, v2
	v_and_b32_e32 v10, 0x80000000, v10
	v_lshl_add_u32 v6, v6, 23, v11
	v_or3_b32 v2, v10, v6, v2
.LBB57_1196:
	s_or_b64 exec, exec, s[6:7]
	v_lshrrev_b32_e32 v6, 8, v3
	s_movk_i32 s4, 0x7f
	v_cmp_gt_i16_sdwa s[6:7], v6, s4 src0_sel:BYTE_0 src1_sel:DWORD
	s_mov_b64 s[4:5], 0
                                        ; implicit-def: $sgpr10
	s_and_saveexec_b64 s[8:9], s[6:7]
	s_xor_b64 s[6:7], exec, s[8:9]
	s_cbranch_execnz .LBB57_3245
; %bb.1197:
	s_or_saveexec_b64 s[6:7], s[6:7]
	v_mov_b32_e32 v10, s10
	s_xor_b64 exec, exec, s[6:7]
	s_cbranch_execnz .LBB57_3248
.LBB57_1198:
	s_or_b64 exec, exec, s[6:7]
	s_and_saveexec_b64 s[6:7], s[4:5]
	s_cbranch_execz .LBB57_1200
.LBB57_1199:
	v_bfe_u32 v10, v3, 8, 3
	v_ffbh_u32_e32 v12, v10
	v_min_u32_e32 v12, 32, v12
	v_lshrrev_b16_e32 v11, 3, v6
	v_subrev_u32_e32 v13, 28, v12
	v_and_b32_e32 v11, 15, v11
	v_lshlrev_b32_e32 v6, v13, v6
	v_sub_u32_e32 v12, 29, v12
	v_and_b32_e32 v6, 7, v6
	v_cmp_eq_u16_e32 vcc, 0, v11
	v_cndmask_b32_e32 v6, v10, v6, vcc
	v_cndmask_b32_e32 v10, v11, v12, vcc
	v_lshlrev_b32_e32 v11, 16, v3
	v_mov_b32_e32 v12, 0x3b800000
	v_lshlrev_b32_e32 v6, 20, v6
	v_and_b32_e32 v11, 0x80000000, v11
	v_lshl_add_u32 v10, v10, 23, v12
	v_or3_b32 v10, v11, v10, v6
.LBB57_1200:
	s_or_b64 exec, exec, s[6:7]
	s_nop 0
	v_mfma_f32_16x16x4f32 a[0:3], v2, v10, a[0:3]
	s_movk_i32 s4, 0xff
	v_and_b32_sdwa v6, v7, s4 dst_sel:DWORD dst_unused:UNUSED_PAD src0_sel:WORD_1 src1_sel:DWORD
	s_movk_i32 s4, 0x7f
	v_cmp_lt_i16_e32 vcc, s4, v6
	s_mov_b64 s[4:5], 0
                                        ; implicit-def: $sgpr10
	s_and_saveexec_b64 s[6:7], vcc
	s_xor_b64 s[6:7], exec, s[6:7]
	s_cbranch_execnz .LBB57_3249
; %bb.1201:
	s_or_saveexec_b64 s[6:7], s[6:7]
	v_mov_b32_e32 v2, s10
	s_xor_b64 exec, exec, s[6:7]
	s_cbranch_execnz .LBB57_3252
.LBB57_1202:
	s_or_b64 exec, exec, s[6:7]
	s_and_saveexec_b64 s[6:7], s[4:5]
	s_cbranch_execz .LBB57_1204
.LBB57_1203:
	v_bfe_u32 v2, v7, 16, 3
	v_ffbh_u32_e32 v11, v2
	v_min_u32_e32 v11, 32, v11
	v_lshrrev_b32_e32 v6, 19, v7
	v_subrev_u32_e32 v12, 28, v11
	v_and_b32_e32 v6, 15, v6
	v_lshlrev_b32_sdwa v12, v12, v7 dst_sel:DWORD dst_unused:UNUSED_PAD src0_sel:DWORD src1_sel:WORD_1
	v_bfe_u32 v10, v7, 19, 4
	v_sub_u32_e32 v11, 29, v11
	v_and_b32_e32 v12, 7, v12
	v_cmp_eq_u16_e32 vcc, 0, v6
	v_cndmask_b32_e32 v2, v2, v12, vcc
	v_cndmask_b32_e32 v6, v10, v11, vcc
	v_lshlrev_b32_e32 v10, 8, v7
	v_mov_b32_e32 v11, 0x3b800000
	v_lshlrev_b32_e32 v2, 20, v2
	v_and_b32_e32 v10, 0x80000000, v10
	v_lshl_add_u32 v6, v6, 23, v11
	v_or3_b32 v2, v10, v6, v2
.LBB57_1204:
	s_or_b64 exec, exec, s[6:7]
	s_movk_i32 s4, 0xff
	v_and_b32_sdwa v6, v3, s4 dst_sel:DWORD dst_unused:UNUSED_PAD src0_sel:WORD_1 src1_sel:DWORD
	s_movk_i32 s4, 0x7f
	v_cmp_lt_i16_e32 vcc, s4, v6
	s_mov_b64 s[4:5], 0
                                        ; implicit-def: $sgpr10
	s_and_saveexec_b64 s[6:7], vcc
	s_xor_b64 s[6:7], exec, s[6:7]
	s_cbranch_execnz .LBB57_3253
; %bb.1205:
	s_or_saveexec_b64 s[6:7], s[6:7]
	v_mov_b32_e32 v10, s10
	s_xor_b64 exec, exec, s[6:7]
	s_cbranch_execnz .LBB57_3256
.LBB57_1206:
	s_or_b64 exec, exec, s[6:7]
	s_and_saveexec_b64 s[6:7], s[4:5]
	s_cbranch_execz .LBB57_1208
.LBB57_1207:
	v_bfe_u32 v6, v3, 16, 3
	v_ffbh_u32_e32 v12, v6
	v_min_u32_e32 v12, 32, v12
	v_lshrrev_b32_e32 v10, 19, v3
	v_subrev_u32_e32 v13, 28, v12
	v_and_b32_e32 v10, 15, v10
	v_lshlrev_b32_sdwa v13, v13, v3 dst_sel:DWORD dst_unused:UNUSED_PAD src0_sel:DWORD src1_sel:WORD_1
	v_bfe_u32 v11, v3, 19, 4
	v_sub_u32_e32 v12, 29, v12
	v_and_b32_e32 v13, 7, v13
	v_cmp_eq_u16_e32 vcc, 0, v10
	v_cndmask_b32_e32 v6, v6, v13, vcc
	v_cndmask_b32_e32 v10, v11, v12, vcc
	v_lshlrev_b32_e32 v11, 8, v3
	v_mov_b32_e32 v12, 0x3b800000
	v_lshlrev_b32_e32 v6, 20, v6
	v_and_b32_e32 v11, 0x80000000, v11
	v_lshl_add_u32 v10, v10, 23, v12
	v_or3_b32 v10, v11, v10, v6
.LBB57_1208:
	s_or_b64 exec, exec, s[6:7]
	s_nop 0
	v_mfma_f32_16x16x4f32 a[0:3], v2, v10, a[0:3]
	s_movk_i32 s4, 0x7f
	v_cmp_gt_i16_sdwa s[6:7], v7, s4 src0_sel:BYTE_3 src1_sel:DWORD
	s_mov_b64 s[4:5], 0
                                        ; implicit-def: $sgpr10
	s_and_saveexec_b64 s[8:9], s[6:7]
	s_xor_b64 s[6:7], exec, s[8:9]
	s_cbranch_execnz .LBB57_3257
; %bb.1209:
	s_or_saveexec_b64 s[6:7], s[6:7]
	v_mov_b32_e32 v2, s10
	s_xor_b64 exec, exec, s[6:7]
	s_cbranch_execnz .LBB57_3260
.LBB57_1210:
	s_or_b64 exec, exec, s[6:7]
	s_and_saveexec_b64 s[6:7], s[4:5]
	s_cbranch_execz .LBB57_1212
.LBB57_1211:
	v_bfe_u32 v2, v7, 24, 3
	v_ffbh_u32_e32 v12, v2
	v_min_u32_e32 v12, 32, v12
	v_lshrrev_b32_e32 v10, 27, v7
	v_subrev_u32_e32 v13, 28, v12
	v_and_b32_e32 v6, 0x80000000, v7
	v_and_b32_e32 v10, 15, v10
	v_bfe_u32 v11, v7, 27, 4
	v_lshlrev_b32_sdwa v7, v13, v7 dst_sel:DWORD dst_unused:UNUSED_PAD src0_sel:DWORD src1_sel:BYTE_3
	v_sub_u32_e32 v12, 29, v12
	v_and_b32_e32 v7, 7, v7
	v_cmp_eq_u16_e32 vcc, 0, v10
	v_cndmask_b32_e32 v2, v2, v7, vcc
	v_cndmask_b32_e32 v7, v11, v12, vcc
	v_mov_b32_e32 v10, 0x3b800000
	v_lshlrev_b32_e32 v2, 20, v2
	v_lshl_add_u32 v7, v7, 23, v10
	v_or3_b32 v2, v6, v7, v2
.LBB57_1212:
	s_or_b64 exec, exec, s[6:7]
	s_movk_i32 s4, 0x7f
	v_cmp_gt_i16_sdwa s[6:7], v3, s4 src0_sel:BYTE_3 src1_sel:DWORD
	s_mov_b64 s[4:5], 0
                                        ; implicit-def: $sgpr10
	s_and_saveexec_b64 s[8:9], s[6:7]
	s_xor_b64 s[6:7], exec, s[8:9]
	s_cbranch_execnz .LBB57_3261
; %bb.1213:
	s_or_saveexec_b64 s[6:7], s[6:7]
	v_mov_b32_e32 v6, s10
	s_xor_b64 exec, exec, s[6:7]
	s_cbranch_execnz .LBB57_3264
.LBB57_1214:
	s_or_b64 exec, exec, s[6:7]
	s_and_saveexec_b64 s[6:7], s[4:5]
	s_cbranch_execz .LBB57_1216
.LBB57_1215:
	v_bfe_u32 v6, v3, 24, 3
	v_ffbh_u32_e32 v12, v6
	v_min_u32_e32 v12, 32, v12
	v_lshrrev_b32_e32 v10, 27, v3
	v_subrev_u32_e32 v13, 28, v12
	v_and_b32_e32 v7, 0x80000000, v3
	v_and_b32_e32 v10, 15, v10
	v_bfe_u32 v11, v3, 27, 4
	v_lshlrev_b32_sdwa v3, v13, v3 dst_sel:DWORD dst_unused:UNUSED_PAD src0_sel:DWORD src1_sel:BYTE_3
	v_sub_u32_e32 v12, 29, v12
	v_and_b32_e32 v3, 7, v3
	v_cmp_eq_u16_e32 vcc, 0, v10
	v_cndmask_b32_e32 v3, v6, v3, vcc
	v_cndmask_b32_e32 v6, v11, v12, vcc
	v_mov_b32_e32 v10, 0x3b800000
	v_lshlrev_b32_e32 v3, 20, v3
	v_lshl_add_u32 v6, v6, 23, v10
	v_or3_b32 v6, v7, v6, v3
.LBB57_1216:
	s_or_b64 exec, exec, s[6:7]
	s_nop 0
	v_mfma_f32_16x16x4f32 a[0:3], v2, v6, a[0:3]
	s_movk_i32 s4, 0x7f
	v_cmp_gt_i16_sdwa s[6:7], v8, s4 src0_sel:BYTE_0 src1_sel:DWORD
	s_mov_b64 s[4:5], 0
                                        ; implicit-def: $sgpr10
	s_and_saveexec_b64 s[8:9], s[6:7]
	s_xor_b64 s[6:7], exec, s[8:9]
	s_cbranch_execnz .LBB57_3265
; %bb.1217:
	s_or_saveexec_b64 s[6:7], s[6:7]
	v_mov_b32_e32 v2, s10
	s_xor_b64 exec, exec, s[6:7]
	s_cbranch_execnz .LBB57_3268
.LBB57_1218:
	s_or_b64 exec, exec, s[6:7]
	s_and_saveexec_b64 s[6:7], s[4:5]
	s_cbranch_execz .LBB57_1220
.LBB57_1219:
	v_and_b32_e32 v2, 7, v8
	v_ffbh_u32_e32 v6, v2
	v_min_u32_e32 v6, 32, v6
	v_lshrrev_b16_e32 v3, 3, v8
	v_subrev_u32_e32 v7, 28, v6
	v_and_b32_e32 v3, 15, v3
	v_lshlrev_b32_e32 v7, v7, v8
	v_sub_u32_e32 v6, 29, v6
	v_and_b32_e32 v7, 7, v7
	v_cmp_eq_u16_e32 vcc, 0, v3
	v_cndmask_b32_e32 v2, v2, v7, vcc
	v_cndmask_b32_e32 v3, v3, v6, vcc
	v_lshlrev_b32_e32 v6, 24, v8
	v_mov_b32_e32 v7, 0x3b800000
	v_lshlrev_b32_e32 v2, 20, v2
	v_and_b32_e32 v6, 0x80000000, v6
	v_lshl_add_u32 v3, v3, 23, v7
	v_or3_b32 v2, v6, v3, v2
.LBB57_1220:
	s_or_b64 exec, exec, s[6:7]
	s_movk_i32 s4, 0x7f
	v_cmp_gt_i16_sdwa s[6:7], v4, s4 src0_sel:BYTE_0 src1_sel:DWORD
	s_mov_b64 s[4:5], 0
                                        ; implicit-def: $sgpr10
	s_and_saveexec_b64 s[8:9], s[6:7]
	s_xor_b64 s[6:7], exec, s[8:9]
	s_cbranch_execnz .LBB57_3269
; %bb.1221:
	s_or_saveexec_b64 s[6:7], s[6:7]
	v_mov_b32_e32 v3, s10
	s_xor_b64 exec, exec, s[6:7]
	s_cbranch_execnz .LBB57_3272
.LBB57_1222:
	s_or_b64 exec, exec, s[6:7]
	s_and_saveexec_b64 s[6:7], s[4:5]
	s_cbranch_execz .LBB57_1224
.LBB57_1223:
	v_and_b32_e32 v3, 7, v4
	v_ffbh_u32_e32 v7, v3
	v_min_u32_e32 v7, 32, v7
	v_lshrrev_b16_e32 v6, 3, v4
	v_subrev_u32_e32 v10, 28, v7
	v_and_b32_e32 v6, 15, v6
	v_lshlrev_b32_e32 v10, v10, v4
	v_sub_u32_e32 v7, 29, v7
	v_and_b32_e32 v10, 7, v10
	v_cmp_eq_u16_e32 vcc, 0, v6
	v_cndmask_b32_e32 v3, v3, v10, vcc
	v_cndmask_b32_e32 v6, v6, v7, vcc
	v_lshlrev_b32_e32 v7, 24, v4
	v_mov_b32_e32 v10, 0x3b800000
	v_lshlrev_b32_e32 v3, 20, v3
	v_and_b32_e32 v7, 0x80000000, v7
	v_lshl_add_u32 v6, v6, 23, v10
	v_or3_b32 v3, v7, v6, v3
.LBB57_1224:
	s_or_b64 exec, exec, s[6:7]
	s_nop 0
	v_mfma_f32_16x16x4f32 a[0:3], v2, v3, a[0:3]
	v_lshrrev_b32_e32 v3, 8, v8
	s_movk_i32 s4, 0x7f
	v_cmp_gt_i16_sdwa s[6:7], v3, s4 src0_sel:BYTE_0 src1_sel:DWORD
	s_mov_b64 s[4:5], 0
                                        ; implicit-def: $sgpr10
	s_and_saveexec_b64 s[8:9], s[6:7]
	s_xor_b64 s[6:7], exec, s[8:9]
	s_cbranch_execnz .LBB57_3273
; %bb.1225:
	s_or_saveexec_b64 s[6:7], s[6:7]
	v_mov_b32_e32 v2, s10
	s_xor_b64 exec, exec, s[6:7]
	s_cbranch_execnz .LBB57_3276
.LBB57_1226:
	s_or_b64 exec, exec, s[6:7]
	s_and_saveexec_b64 s[6:7], s[4:5]
	s_cbranch_execz .LBB57_1228
.LBB57_1227:
	v_bfe_u32 v2, v8, 8, 3
	v_ffbh_u32_e32 v7, v2
	v_min_u32_e32 v7, 32, v7
	v_lshrrev_b16_e32 v6, 3, v3
	v_subrev_u32_e32 v10, 28, v7
	v_and_b32_e32 v6, 15, v6
	v_lshlrev_b32_e32 v3, v10, v3
	v_sub_u32_e32 v7, 29, v7
	v_and_b32_e32 v3, 7, v3
	v_cmp_eq_u16_e32 vcc, 0, v6
	v_cndmask_b32_e32 v2, v2, v3, vcc
	v_cndmask_b32_e32 v3, v6, v7, vcc
	v_lshlrev_b32_e32 v6, 16, v8
	v_mov_b32_e32 v7, 0x3b800000
	v_lshlrev_b32_e32 v2, 20, v2
	v_and_b32_e32 v6, 0x80000000, v6
	v_lshl_add_u32 v3, v3, 23, v7
	v_or3_b32 v2, v6, v3, v2
.LBB57_1228:
	s_or_b64 exec, exec, s[6:7]
	v_lshrrev_b32_e32 v3, 8, v4
	s_movk_i32 s4, 0x7f
	v_cmp_gt_i16_sdwa s[6:7], v3, s4 src0_sel:BYTE_0 src1_sel:DWORD
	s_mov_b64 s[4:5], 0
                                        ; implicit-def: $sgpr10
	s_and_saveexec_b64 s[8:9], s[6:7]
	s_xor_b64 s[6:7], exec, s[8:9]
	s_cbranch_execnz .LBB57_3277
; %bb.1229:
	s_or_saveexec_b64 s[6:7], s[6:7]
	v_mov_b32_e32 v6, s10
	s_xor_b64 exec, exec, s[6:7]
	s_cbranch_execnz .LBB57_3280
.LBB57_1230:
	s_or_b64 exec, exec, s[6:7]
	s_and_saveexec_b64 s[6:7], s[4:5]
	s_cbranch_execz .LBB57_1232
.LBB57_1231:
	v_bfe_u32 v6, v4, 8, 3
	v_ffbh_u32_e32 v10, v6
	v_min_u32_e32 v10, 32, v10
	v_lshrrev_b16_e32 v7, 3, v3
	v_subrev_u32_e32 v11, 28, v10
	v_and_b32_e32 v7, 15, v7
	v_lshlrev_b32_e32 v3, v11, v3
	v_sub_u32_e32 v10, 29, v10
	v_and_b32_e32 v3, 7, v3
	v_cmp_eq_u16_e32 vcc, 0, v7
	v_cndmask_b32_e32 v3, v6, v3, vcc
	v_cndmask_b32_e32 v6, v7, v10, vcc
	v_lshlrev_b32_e32 v7, 16, v4
	v_mov_b32_e32 v10, 0x3b800000
	v_lshlrev_b32_e32 v3, 20, v3
	v_and_b32_e32 v7, 0x80000000, v7
	v_lshl_add_u32 v6, v6, 23, v10
	v_or3_b32 v6, v7, v6, v3
.LBB57_1232:
	s_or_b64 exec, exec, s[6:7]
	s_nop 0
	v_mfma_f32_16x16x4f32 a[0:3], v2, v6, a[0:3]
	s_movk_i32 s4, 0xff
	v_and_b32_sdwa v3, v8, s4 dst_sel:DWORD dst_unused:UNUSED_PAD src0_sel:WORD_1 src1_sel:DWORD
	s_movk_i32 s4, 0x7f
	v_cmp_lt_i16_e32 vcc, s4, v3
	s_mov_b64 s[4:5], 0
                                        ; implicit-def: $sgpr10
	s_and_saveexec_b64 s[6:7], vcc
	s_xor_b64 s[6:7], exec, s[6:7]
	s_cbranch_execnz .LBB57_3281
; %bb.1233:
	s_or_saveexec_b64 s[6:7], s[6:7]
	v_mov_b32_e32 v2, s10
	s_xor_b64 exec, exec, s[6:7]
	s_cbranch_execnz .LBB57_3284
.LBB57_1234:
	s_or_b64 exec, exec, s[6:7]
	s_and_saveexec_b64 s[6:7], s[4:5]
	s_cbranch_execz .LBB57_1236
.LBB57_1235:
	v_bfe_u32 v2, v8, 16, 3
	v_ffbh_u32_e32 v7, v2
	v_min_u32_e32 v7, 32, v7
	v_lshrrev_b32_e32 v3, 19, v8
	v_subrev_u32_e32 v10, 28, v7
	v_and_b32_e32 v3, 15, v3
	v_lshlrev_b32_sdwa v10, v10, v8 dst_sel:DWORD dst_unused:UNUSED_PAD src0_sel:DWORD src1_sel:WORD_1
	v_bfe_u32 v6, v8, 19, 4
	v_sub_u32_e32 v7, 29, v7
	v_and_b32_e32 v10, 7, v10
	v_cmp_eq_u16_e32 vcc, 0, v3
	v_cndmask_b32_e32 v2, v2, v10, vcc
	v_cndmask_b32_e32 v3, v6, v7, vcc
	v_lshlrev_b32_e32 v6, 8, v8
	v_mov_b32_e32 v7, 0x3b800000
	v_lshlrev_b32_e32 v2, 20, v2
	v_and_b32_e32 v6, 0x80000000, v6
	v_lshl_add_u32 v3, v3, 23, v7
	v_or3_b32 v2, v6, v3, v2
.LBB57_1236:
	s_or_b64 exec, exec, s[6:7]
	s_movk_i32 s4, 0xff
	v_and_b32_sdwa v3, v4, s4 dst_sel:DWORD dst_unused:UNUSED_PAD src0_sel:WORD_1 src1_sel:DWORD
	s_movk_i32 s4, 0x7f
	v_cmp_lt_i16_e32 vcc, s4, v3
	s_mov_b64 s[4:5], 0
                                        ; implicit-def: $sgpr10
	s_and_saveexec_b64 s[6:7], vcc
	s_xor_b64 s[6:7], exec, s[6:7]
	s_cbranch_execnz .LBB57_3285
; %bb.1237:
	s_or_saveexec_b64 s[6:7], s[6:7]
	v_mov_b32_e32 v6, s10
	s_xor_b64 exec, exec, s[6:7]
	s_cbranch_execnz .LBB57_3288
.LBB57_1238:
	s_or_b64 exec, exec, s[6:7]
	s_and_saveexec_b64 s[6:7], s[4:5]
	s_cbranch_execz .LBB57_1240
.LBB57_1239:
	v_bfe_u32 v3, v4, 16, 3
	v_ffbh_u32_e32 v10, v3
	v_min_u32_e32 v10, 32, v10
	v_lshrrev_b32_e32 v6, 19, v4
	v_subrev_u32_e32 v11, 28, v10
	v_and_b32_e32 v6, 15, v6
	v_lshlrev_b32_sdwa v11, v11, v4 dst_sel:DWORD dst_unused:UNUSED_PAD src0_sel:DWORD src1_sel:WORD_1
	v_bfe_u32 v7, v4, 19, 4
	v_sub_u32_e32 v10, 29, v10
	v_and_b32_e32 v11, 7, v11
	v_cmp_eq_u16_e32 vcc, 0, v6
	v_cndmask_b32_e32 v3, v3, v11, vcc
	v_cndmask_b32_e32 v6, v7, v10, vcc
	v_lshlrev_b32_e32 v7, 8, v4
	v_mov_b32_e32 v10, 0x3b800000
	v_lshlrev_b32_e32 v3, 20, v3
	v_and_b32_e32 v7, 0x80000000, v7
	v_lshl_add_u32 v6, v6, 23, v10
	v_or3_b32 v6, v7, v6, v3
.LBB57_1240:
	s_or_b64 exec, exec, s[6:7]
	s_nop 0
	v_mfma_f32_16x16x4f32 a[0:3], v2, v6, a[0:3]
	s_movk_i32 s4, 0x7f
	v_cmp_gt_i16_sdwa s[6:7], v8, s4 src0_sel:BYTE_3 src1_sel:DWORD
	s_mov_b64 s[4:5], 0
                                        ; implicit-def: $sgpr10
	s_and_saveexec_b64 s[8:9], s[6:7]
	s_xor_b64 s[6:7], exec, s[8:9]
	s_cbranch_execnz .LBB57_3289
; %bb.1241:
	s_or_saveexec_b64 s[6:7], s[6:7]
	v_mov_b32_e32 v2, s10
	s_xor_b64 exec, exec, s[6:7]
	s_cbranch_execnz .LBB57_3292
.LBB57_1242:
	s_or_b64 exec, exec, s[6:7]
	s_and_saveexec_b64 s[6:7], s[4:5]
	s_cbranch_execz .LBB57_1244
.LBB57_1243:
	v_bfe_u32 v2, v8, 24, 3
	v_ffbh_u32_e32 v10, v2
	v_min_u32_e32 v10, 32, v10
	v_lshrrev_b32_e32 v6, 27, v8
	v_subrev_u32_e32 v11, 28, v10
	v_and_b32_e32 v3, 0x80000000, v8
	v_and_b32_e32 v6, 15, v6
	v_bfe_u32 v7, v8, 27, 4
	v_lshlrev_b32_sdwa v8, v11, v8 dst_sel:DWORD dst_unused:UNUSED_PAD src0_sel:DWORD src1_sel:BYTE_3
	v_sub_u32_e32 v10, 29, v10
	v_and_b32_e32 v8, 7, v8
	v_cmp_eq_u16_e32 vcc, 0, v6
	v_cndmask_b32_e32 v2, v2, v8, vcc
	v_cndmask_b32_e32 v6, v7, v10, vcc
	v_mov_b32_e32 v7, 0x3b800000
	v_lshlrev_b32_e32 v2, 20, v2
	v_lshl_add_u32 v6, v6, 23, v7
	v_or3_b32 v2, v3, v6, v2
.LBB57_1244:
	s_or_b64 exec, exec, s[6:7]
	s_movk_i32 s4, 0x7f
	v_cmp_gt_i16_sdwa s[6:7], v4, s4 src0_sel:BYTE_3 src1_sel:DWORD
	s_mov_b64 s[4:5], 0
                                        ; implicit-def: $sgpr10
	s_and_saveexec_b64 s[8:9], s[6:7]
	s_xor_b64 s[6:7], exec, s[8:9]
	s_cbranch_execnz .LBB57_3293
; %bb.1245:
	s_or_saveexec_b64 s[6:7], s[6:7]
	v_mov_b32_e32 v3, s10
	s_xor_b64 exec, exec, s[6:7]
	s_cbranch_execnz .LBB57_3296
.LBB57_1246:
	s_or_b64 exec, exec, s[6:7]
	s_and_saveexec_b64 s[6:7], s[4:5]
	s_cbranch_execz .LBB57_1248
.LBB57_1247:
	v_bfe_u32 v3, v4, 24, 3
	v_ffbh_u32_e32 v10, v3
	v_min_u32_e32 v10, 32, v10
	v_lshrrev_b32_e32 v7, 27, v4
	v_subrev_u32_e32 v11, 28, v10
	v_and_b32_e32 v6, 0x80000000, v4
	v_and_b32_e32 v7, 15, v7
	v_bfe_u32 v8, v4, 27, 4
	v_lshlrev_b32_sdwa v4, v11, v4 dst_sel:DWORD dst_unused:UNUSED_PAD src0_sel:DWORD src1_sel:BYTE_3
	v_sub_u32_e32 v10, 29, v10
	v_and_b32_e32 v4, 7, v4
	v_cmp_eq_u16_e32 vcc, 0, v7
	v_cndmask_b32_e32 v3, v3, v4, vcc
	v_cndmask_b32_e32 v4, v8, v10, vcc
	v_mov_b32_e32 v7, 0x3b800000
	v_lshlrev_b32_e32 v3, 20, v3
	v_lshl_add_u32 v4, v4, 23, v7
	v_or3_b32 v3, v6, v4, v3
.LBB57_1248:
	s_or_b64 exec, exec, s[6:7]
	s_nop 0
	v_mfma_f32_16x16x4f32 a[0:3], v2, v3, a[0:3]
	s_movk_i32 s4, 0x7f
	v_cmp_gt_i16_sdwa s[6:7], v9, s4 src0_sel:BYTE_0 src1_sel:DWORD
	s_mov_b64 s[4:5], 0
                                        ; implicit-def: $sgpr10
	s_and_saveexec_b64 s[8:9], s[6:7]
	s_xor_b64 s[6:7], exec, s[8:9]
	s_cbranch_execnz .LBB57_3297
; %bb.1249:
	s_or_saveexec_b64 s[6:7], s[6:7]
	v_mov_b32_e32 v2, s10
	s_xor_b64 exec, exec, s[6:7]
	s_cbranch_execnz .LBB57_3300
.LBB57_1250:
	s_or_b64 exec, exec, s[6:7]
	s_and_saveexec_b64 s[6:7], s[4:5]
	s_cbranch_execz .LBB57_1252
.LBB57_1251:
	v_mov_b32_e32 v2, 8
	v_and_b32_e32 v3, 7, v9
	v_lshrrev_b32_sdwa v2, v2, v9 dst_sel:BYTE_1 dst_unused:UNUSED_PAD src0_sel:DWORD src1_sel:DWORD
	v_ffbh_u32_e32 v4, v3
	v_or_b32_sdwa v2, v9, v2 dst_sel:DWORD dst_unused:UNUSED_PAD src0_sel:BYTE_0 src1_sel:DWORD
	v_min_u32_e32 v4, 32, v4
	v_lshrrev_b16_e32 v2, 3, v2
	v_subrev_u32_e32 v6, 28, v4
	v_and_b32_e32 v2, 15, v2
	v_lshlrev_b32_e32 v6, v6, v9
	v_sub_u32_e32 v4, 29, v4
	v_and_b32_e32 v6, 7, v6
	v_cmp_eq_u16_e32 vcc, 0, v2
	v_cndmask_b32_e32 v3, v3, v6, vcc
	v_cndmask_b32_e32 v2, v2, v4, vcc
	v_lshlrev_b32_e32 v4, 24, v9
	v_mov_b32_e32 v6, 0x3b800000
	v_lshlrev_b32_e32 v3, 20, v3
	v_and_b32_e32 v4, 0x80000000, v4
	v_lshl_add_u32 v2, v2, 23, v6
	v_or3_b32 v2, v4, v2, v3
.LBB57_1252:
	s_or_b64 exec, exec, s[6:7]
	s_movk_i32 s4, 0x7f
	v_cmp_gt_i16_sdwa s[6:7], v5, s4 src0_sel:BYTE_0 src1_sel:DWORD
	s_mov_b64 s[4:5], 0
                                        ; implicit-def: $sgpr10
	s_and_saveexec_b64 s[8:9], s[6:7]
	s_xor_b64 s[6:7], exec, s[8:9]
	s_cbranch_execnz .LBB57_3301
; %bb.1253:
	s_or_saveexec_b64 s[6:7], s[6:7]
	v_mov_b32_e32 v3, s10
	s_xor_b64 exec, exec, s[6:7]
	s_cbranch_execnz .LBB57_3304
.LBB57_1254:
	s_or_b64 exec, exec, s[6:7]
	s_and_saveexec_b64 s[6:7], s[4:5]
	s_cbranch_execz .LBB57_1256
.LBB57_1255:
	v_mov_b32_e32 v3, 8
	v_and_b32_e32 v4, 7, v5
	v_lshrrev_b32_sdwa v3, v3, v5 dst_sel:BYTE_1 dst_unused:UNUSED_PAD src0_sel:DWORD src1_sel:DWORD
	v_ffbh_u32_e32 v6, v4
	v_or_b32_sdwa v3, v5, v3 dst_sel:DWORD dst_unused:UNUSED_PAD src0_sel:BYTE_0 src1_sel:DWORD
	v_min_u32_e32 v6, 32, v6
	v_lshrrev_b16_e32 v3, 3, v3
	v_subrev_u32_e32 v7, 28, v6
	v_and_b32_e32 v3, 15, v3
	v_lshlrev_b32_e32 v7, v7, v5
	v_sub_u32_e32 v6, 29, v6
	v_and_b32_e32 v7, 7, v7
	v_cmp_eq_u16_e32 vcc, 0, v3
	v_cndmask_b32_e32 v4, v4, v7, vcc
	v_cndmask_b32_e32 v3, v3, v6, vcc
	v_lshlrev_b32_e32 v6, 24, v5
	v_mov_b32_e32 v7, 0x3b800000
	v_lshlrev_b32_e32 v4, 20, v4
	v_and_b32_e32 v6, 0x80000000, v6
	v_lshl_add_u32 v3, v3, 23, v7
	v_or3_b32 v3, v6, v3, v4
.LBB57_1256:
	s_or_b64 exec, exec, s[6:7]
	s_nop 0
	v_mfma_f32_16x16x4f32 a[0:3], v2, v3, a[0:3]
	v_lshrrev_b32_e32 v3, 8, v9
	s_movk_i32 s4, 0x7f
	v_cmp_gt_i16_sdwa s[6:7], v3, s4 src0_sel:BYTE_0 src1_sel:DWORD
	s_mov_b64 s[4:5], 0
                                        ; implicit-def: $sgpr10
	s_and_saveexec_b64 s[8:9], s[6:7]
	s_xor_b64 s[6:7], exec, s[8:9]
	s_cbranch_execnz .LBB57_3305
; %bb.1257:
	s_or_saveexec_b64 s[6:7], s[6:7]
	v_mov_b32_e32 v2, s10
	s_xor_b64 exec, exec, s[6:7]
	s_cbranch_execnz .LBB57_3308
.LBB57_1258:
	s_or_b64 exec, exec, s[6:7]
	s_and_saveexec_b64 s[6:7], s[4:5]
	s_cbranch_execz .LBB57_1260
.LBB57_1259:
	v_bfe_u32 v2, v9, 8, 3
	v_ffbh_u32_e32 v6, v2
	v_min_u32_e32 v6, 32, v6
	v_lshrrev_b16_e32 v4, 3, v3
	v_subrev_u32_e32 v7, 28, v6
	v_and_b32_e32 v4, 15, v4
	v_lshlrev_b32_e32 v3, v7, v3
	v_sub_u32_e32 v6, 29, v6
	v_and_b32_e32 v3, 7, v3
	v_cmp_eq_u16_e32 vcc, 0, v4
	v_cndmask_b32_e32 v2, v2, v3, vcc
	v_cndmask_b32_e32 v3, v4, v6, vcc
	v_lshlrev_b32_e32 v4, 16, v9
	v_mov_b32_e32 v6, 0x3b800000
	v_lshlrev_b32_e32 v2, 20, v2
	v_and_b32_e32 v4, 0x80000000, v4
	v_lshl_add_u32 v3, v3, 23, v6
	v_or3_b32 v2, v4, v3, v2
.LBB57_1260:
	s_or_b64 exec, exec, s[6:7]
	v_lshrrev_b32_e32 v3, 8, v5
	s_movk_i32 s4, 0x7f
	v_cmp_gt_i16_sdwa s[6:7], v3, s4 src0_sel:BYTE_0 src1_sel:DWORD
	s_mov_b64 s[4:5], 0
                                        ; implicit-def: $sgpr10
	s_and_saveexec_b64 s[8:9], s[6:7]
	s_xor_b64 s[6:7], exec, s[8:9]
	s_cbranch_execnz .LBB57_3309
; %bb.1261:
	s_or_saveexec_b64 s[6:7], s[6:7]
	v_mov_b32_e32 v4, s10
	s_xor_b64 exec, exec, s[6:7]
	s_cbranch_execnz .LBB57_3312
.LBB57_1262:
	s_or_b64 exec, exec, s[6:7]
	s_and_saveexec_b64 s[6:7], s[4:5]
	s_cbranch_execz .LBB57_1264
.LBB57_1263:
	v_bfe_u32 v4, v5, 8, 3
	v_ffbh_u32_e32 v7, v4
	v_min_u32_e32 v7, 32, v7
	v_lshrrev_b16_e32 v6, 3, v3
	v_subrev_u32_e32 v8, 28, v7
	v_and_b32_e32 v6, 15, v6
	v_lshlrev_b32_e32 v3, v8, v3
	v_sub_u32_e32 v7, 29, v7
	v_and_b32_e32 v3, 7, v3
	v_cmp_eq_u16_e32 vcc, 0, v6
	v_cndmask_b32_e32 v3, v4, v3, vcc
	v_cndmask_b32_e32 v4, v6, v7, vcc
	v_lshlrev_b32_e32 v6, 16, v5
	v_mov_b32_e32 v7, 0x3b800000
	v_lshlrev_b32_e32 v3, 20, v3
	v_and_b32_e32 v6, 0x80000000, v6
	v_lshl_add_u32 v4, v4, 23, v7
	v_or3_b32 v4, v6, v4, v3
.LBB57_1264:
	s_or_b64 exec, exec, s[6:7]
	s_nop 0
	v_mfma_f32_16x16x4f32 a[0:3], v2, v4, a[0:3]
	s_movk_i32 s4, 0xff
	v_and_b32_sdwa v3, v9, s4 dst_sel:DWORD dst_unused:UNUSED_PAD src0_sel:WORD_1 src1_sel:DWORD
	s_movk_i32 s4, 0x7f
	v_cmp_lt_i16_e32 vcc, s4, v3
	s_mov_b64 s[4:5], 0
                                        ; implicit-def: $sgpr10
	s_and_saveexec_b64 s[6:7], vcc
	s_xor_b64 s[6:7], exec, s[6:7]
	s_cbranch_execnz .LBB57_3313
; %bb.1265:
	s_or_saveexec_b64 s[6:7], s[6:7]
	v_mov_b32_e32 v2, s10
	s_xor_b64 exec, exec, s[6:7]
	s_cbranch_execnz .LBB57_3316
.LBB57_1266:
	s_or_b64 exec, exec, s[6:7]
	s_and_saveexec_b64 s[6:7], s[4:5]
	s_cbranch_execz .LBB57_1268
.LBB57_1267:
	v_bfe_u32 v2, v9, 16, 3
	v_ffbh_u32_e32 v6, v2
	v_min_u32_e32 v6, 32, v6
	v_lshrrev_b32_e32 v3, 19, v9
	v_subrev_u32_e32 v7, 28, v6
	v_and_b32_e32 v3, 15, v3
	v_lshlrev_b32_sdwa v7, v7, v9 dst_sel:DWORD dst_unused:UNUSED_PAD src0_sel:DWORD src1_sel:WORD_1
	v_bfe_u32 v4, v9, 19, 4
	v_sub_u32_e32 v6, 29, v6
	v_and_b32_e32 v7, 7, v7
	v_cmp_eq_u16_e32 vcc, 0, v3
	v_cndmask_b32_e32 v2, v2, v7, vcc
	v_cndmask_b32_e32 v3, v4, v6, vcc
	v_lshlrev_b32_e32 v4, 8, v9
	v_mov_b32_e32 v6, 0x3b800000
	v_lshlrev_b32_e32 v2, 20, v2
	v_and_b32_e32 v4, 0x80000000, v4
	v_lshl_add_u32 v3, v3, 23, v6
	v_or3_b32 v2, v4, v3, v2
.LBB57_1268:
	s_or_b64 exec, exec, s[6:7]
	s_movk_i32 s4, 0xff
	v_and_b32_sdwa v3, v5, s4 dst_sel:DWORD dst_unused:UNUSED_PAD src0_sel:WORD_1 src1_sel:DWORD
	s_movk_i32 s4, 0x7f
	v_cmp_lt_i16_e32 vcc, s4, v3
	s_mov_b64 s[4:5], 0
                                        ; implicit-def: $sgpr10
	s_and_saveexec_b64 s[6:7], vcc
	s_xor_b64 s[6:7], exec, s[6:7]
	s_cbranch_execnz .LBB57_3317
; %bb.1269:
	s_or_saveexec_b64 s[6:7], s[6:7]
	v_mov_b32_e32 v4, s10
	s_xor_b64 exec, exec, s[6:7]
	s_cbranch_execnz .LBB57_3320
.LBB57_1270:
	s_or_b64 exec, exec, s[6:7]
	s_and_saveexec_b64 s[6:7], s[4:5]
	s_cbranch_execz .LBB57_1272
.LBB57_1271:
	v_bfe_u32 v3, v5, 16, 3
	v_ffbh_u32_e32 v7, v3
	v_min_u32_e32 v7, 32, v7
	v_lshrrev_b32_e32 v4, 19, v5
	v_subrev_u32_e32 v8, 28, v7
	v_and_b32_e32 v4, 15, v4
	v_lshlrev_b32_sdwa v8, v8, v5 dst_sel:DWORD dst_unused:UNUSED_PAD src0_sel:DWORD src1_sel:WORD_1
	v_bfe_u32 v6, v5, 19, 4
	v_sub_u32_e32 v7, 29, v7
	v_and_b32_e32 v8, 7, v8
	v_cmp_eq_u16_e32 vcc, 0, v4
	v_cndmask_b32_e32 v3, v3, v8, vcc
	v_cndmask_b32_e32 v4, v6, v7, vcc
	v_lshlrev_b32_e32 v6, 8, v5
	v_mov_b32_e32 v7, 0x3b800000
	v_lshlrev_b32_e32 v3, 20, v3
	v_and_b32_e32 v6, 0x80000000, v6
	v_lshl_add_u32 v4, v4, 23, v7
	v_or3_b32 v4, v6, v4, v3
.LBB57_1272:
	s_or_b64 exec, exec, s[6:7]
	s_nop 0
	v_mfma_f32_16x16x4f32 a[0:3], v2, v4, a[0:3]
	s_movk_i32 s4, 0x7f
	v_cmp_gt_i16_sdwa s[6:7], v9, s4 src0_sel:BYTE_3 src1_sel:DWORD
	s_mov_b64 s[4:5], 0
                                        ; implicit-def: $sgpr10
	s_and_saveexec_b64 s[8:9], s[6:7]
	s_xor_b64 s[6:7], exec, s[8:9]
	s_cbranch_execnz .LBB57_3321
; %bb.1273:
	s_or_saveexec_b64 s[6:7], s[6:7]
	v_mov_b32_e32 v2, s10
	s_xor_b64 exec, exec, s[6:7]
	s_cbranch_execnz .LBB57_3324
.LBB57_1274:
	s_or_b64 exec, exec, s[6:7]
	s_and_saveexec_b64 s[6:7], s[4:5]
	s_cbranch_execz .LBB57_1276
.LBB57_1275:
	v_bfe_u32 v2, v9, 24, 3
	v_ffbh_u32_e32 v7, v2
	v_min_u32_e32 v7, 32, v7
	v_lshrrev_b32_e32 v4, 27, v9
	v_subrev_u32_e32 v8, 28, v7
	v_and_b32_e32 v4, 15, v4
	v_lshlrev_b32_sdwa v8, v8, v9 dst_sel:DWORD dst_unused:UNUSED_PAD src0_sel:DWORD src1_sel:BYTE_3
	v_bfe_u32 v6, v9, 27, 4
	v_sub_u32_e32 v7, 29, v7
	v_and_b32_e32 v8, 7, v8
	v_cmp_eq_u16_e32 vcc, 0, v4
	v_cndmask_b32_e32 v2, v2, v8, vcc
	v_cndmask_b32_e32 v4, v6, v7, vcc
	v_mov_b32_e32 v6, 0x3b800000
	v_and_b32_e32 v3, 0x80000000, v9
	v_lshlrev_b32_e32 v2, 20, v2
	v_lshl_add_u32 v4, v4, 23, v6
	v_or3_b32 v2, v3, v4, v2
.LBB57_1276:
	s_or_b64 exec, exec, s[6:7]
	s_movk_i32 s4, 0x7f
	v_cmp_gt_i16_sdwa s[6:7], v5, s4 src0_sel:BYTE_3 src1_sel:DWORD
	s_mov_b64 s[4:5], 0
                                        ; implicit-def: $sgpr10
	s_and_saveexec_b64 s[8:9], s[6:7]
	s_xor_b64 s[6:7], exec, s[8:9]
	s_cbranch_execnz .LBB57_3325
; %bb.1277:
	s_or_saveexec_b64 s[6:7], s[6:7]
	v_mov_b32_e32 v3, s10
	s_xor_b64 exec, exec, s[6:7]
	s_cbranch_execnz .LBB57_3328
.LBB57_1278:
	s_or_b64 exec, exec, s[6:7]
	s_and_saveexec_b64 s[6:7], s[4:5]
	s_cbranch_execz .LBB57_1280
.LBB57_1279:
	v_bfe_u32 v3, v5, 24, 3
	v_ffbh_u32_e32 v8, v3
	v_min_u32_e32 v8, 32, v8
	v_lshrrev_b32_e32 v6, 27, v5
	v_subrev_u32_e32 v9, 28, v8
	v_and_b32_e32 v4, 0x80000000, v5
	v_and_b32_e32 v6, 15, v6
	v_bfe_u32 v7, v5, 27, 4
	v_lshlrev_b32_sdwa v5, v9, v5 dst_sel:DWORD dst_unused:UNUSED_PAD src0_sel:DWORD src1_sel:BYTE_3
	v_sub_u32_e32 v8, 29, v8
	v_and_b32_e32 v5, 7, v5
	v_cmp_eq_u16_e32 vcc, 0, v6
	v_cndmask_b32_e32 v3, v3, v5, vcc
	v_cndmask_b32_e32 v5, v7, v8, vcc
	v_mov_b32_e32 v6, 0x3b800000
	v_lshlrev_b32_e32 v3, 20, v3
	v_lshl_add_u32 v5, v5, 23, v6
	v_or3_b32 v3, v4, v5, v3
.LBB57_1280:
	s_or_b64 exec, exec, s[6:7]
	s_nop 0
	v_mfma_f32_16x16x4f32 a[0:3], v2, v3, a[0:3]
	s_movk_i32 s4, 0x7f
                                        ; implicit-def: $sgpr10
	s_nop 7
	s_nop 1
	flat_store_dwordx4 v[18:19], a[0:3] offset:704
	flat_load_dwordx4 v[20:23], v[0:1] offset:8
	s_nop 0
	flat_load_dwordx2 v[18:19], v[0:1] offset:24
	s_waitcnt vmcnt(0) lgkmcnt(0)
	flat_load_dwordx4 v[14:17], v[20:21] offset:32
	flat_load_dwordx4 v[6:9], v[20:21] offset:48
	flat_load_dwordx4 v[10:13], v[22:23] offset:416
	flat_load_dwordx4 v[2:5], v[22:23] offset:432
	s_waitcnt vmcnt(0) lgkmcnt(0)
	v_cmp_gt_i16_sdwa s[6:7], v14, s4 src0_sel:BYTE_0 src1_sel:DWORD
	s_mov_b64 s[4:5], 0
	s_and_saveexec_b64 s[8:9], s[6:7]
	s_xor_b64 s[6:7], exec, s[8:9]
	s_cbranch_execnz .LBB57_3329
; %bb.1281:
	s_or_saveexec_b64 s[6:7], s[6:7]
	v_mov_b32_e32 v20, s10
	s_xor_b64 exec, exec, s[6:7]
	s_cbranch_execnz .LBB57_3332
.LBB57_1282:
	s_or_b64 exec, exec, s[6:7]
	s_and_saveexec_b64 s[6:7], s[4:5]
	s_cbranch_execz .LBB57_1284
.LBB57_1283:
	v_and_b32_e32 v20, 7, v14
	v_ffbh_u32_e32 v22, v20
	v_min_u32_e32 v22, 32, v22
	v_lshrrev_b16_e32 v21, 3, v14
	v_subrev_u32_e32 v23, 28, v22
	v_and_b32_e32 v21, 15, v21
	v_lshlrev_b32_e32 v23, v23, v14
	v_sub_u32_e32 v22, 29, v22
	v_and_b32_e32 v23, 7, v23
	v_cmp_eq_u16_e32 vcc, 0, v21
	v_cndmask_b32_e32 v20, v20, v23, vcc
	v_cndmask_b32_e32 v21, v21, v22, vcc
	v_lshlrev_b32_e32 v22, 24, v14
	v_mov_b32_e32 v23, 0x3b800000
	v_lshlrev_b32_e32 v20, 20, v20
	v_and_b32_e32 v22, 0x80000000, v22
	v_lshl_add_u32 v21, v21, 23, v23
	v_or3_b32 v20, v22, v21, v20
.LBB57_1284:
	s_or_b64 exec, exec, s[6:7]
	s_movk_i32 s4, 0x7f
	v_cmp_gt_i16_sdwa s[6:7], v10, s4 src0_sel:BYTE_0 src1_sel:DWORD
	s_mov_b64 s[4:5], 0
                                        ; implicit-def: $sgpr10
	s_and_saveexec_b64 s[8:9], s[6:7]
	s_xor_b64 s[6:7], exec, s[8:9]
	s_cbranch_execnz .LBB57_3333
; %bb.1285:
	s_or_saveexec_b64 s[6:7], s[6:7]
	v_mov_b32_e32 v21, s10
	s_xor_b64 exec, exec, s[6:7]
	s_cbranch_execnz .LBB57_3336
.LBB57_1286:
	s_or_b64 exec, exec, s[6:7]
	s_and_saveexec_b64 s[6:7], s[4:5]
	s_cbranch_execz .LBB57_1288
.LBB57_1287:
	v_and_b32_e32 v21, 7, v10
	v_ffbh_u32_e32 v23, v21
	v_min_u32_e32 v23, 32, v23
	v_lshrrev_b16_e32 v22, 3, v10
	v_subrev_u32_e32 v24, 28, v23
	v_and_b32_e32 v22, 15, v22
	v_lshlrev_b32_e32 v24, v24, v10
	v_sub_u32_e32 v23, 29, v23
	v_and_b32_e32 v24, 7, v24
	v_cmp_eq_u16_e32 vcc, 0, v22
	v_cndmask_b32_e32 v21, v21, v24, vcc
	v_cndmask_b32_e32 v22, v22, v23, vcc
	v_lshlrev_b32_e32 v23, 24, v10
	v_mov_b32_e32 v24, 0x3b800000
	v_lshlrev_b32_e32 v21, 20, v21
	v_and_b32_e32 v23, 0x80000000, v23
	v_lshl_add_u32 v22, v22, 23, v24
	v_or3_b32 v21, v23, v22, v21
.LBB57_1288:
	s_or_b64 exec, exec, s[6:7]
	flat_load_dwordx4 a[0:3], v[18:19] offset:720
	s_movk_i32 s4, 0x7f
                                        ; implicit-def: $sgpr10
	s_waitcnt vmcnt(0) lgkmcnt(0)
	v_mfma_f32_16x16x4f32 a[0:3], v20, v21, a[0:3]
	v_lshrrev_b32_e32 v21, 8, v14
	v_cmp_gt_i16_sdwa s[6:7], v21, s4 src0_sel:BYTE_0 src1_sel:DWORD
	s_mov_b64 s[4:5], 0
	s_and_saveexec_b64 s[8:9], s[6:7]
	s_xor_b64 s[6:7], exec, s[8:9]
	s_cbranch_execnz .LBB57_3337
; %bb.1289:
	s_or_saveexec_b64 s[6:7], s[6:7]
	v_mov_b32_e32 v20, s10
	s_xor_b64 exec, exec, s[6:7]
	s_cbranch_execnz .LBB57_3340
.LBB57_1290:
	s_or_b64 exec, exec, s[6:7]
	s_and_saveexec_b64 s[6:7], s[4:5]
	s_cbranch_execz .LBB57_1292
.LBB57_1291:
	v_bfe_u32 v20, v14, 8, 3
	v_ffbh_u32_e32 v23, v20
	v_min_u32_e32 v23, 32, v23
	v_lshrrev_b16_e32 v22, 3, v21
	v_subrev_u32_e32 v24, 28, v23
	v_and_b32_e32 v22, 15, v22
	v_lshlrev_b32_e32 v21, v24, v21
	v_sub_u32_e32 v23, 29, v23
	v_and_b32_e32 v21, 7, v21
	v_cmp_eq_u16_e32 vcc, 0, v22
	v_cndmask_b32_e32 v20, v20, v21, vcc
	v_cndmask_b32_e32 v21, v22, v23, vcc
	v_lshlrev_b32_e32 v22, 16, v14
	v_mov_b32_e32 v23, 0x3b800000
	v_lshlrev_b32_e32 v20, 20, v20
	v_and_b32_e32 v22, 0x80000000, v22
	v_lshl_add_u32 v21, v21, 23, v23
	v_or3_b32 v20, v22, v21, v20
.LBB57_1292:
	s_or_b64 exec, exec, s[6:7]
	v_lshrrev_b32_e32 v21, 8, v10
	s_movk_i32 s4, 0x7f
	v_cmp_gt_i16_sdwa s[6:7], v21, s4 src0_sel:BYTE_0 src1_sel:DWORD
	s_mov_b64 s[4:5], 0
                                        ; implicit-def: $sgpr10
	s_and_saveexec_b64 s[8:9], s[6:7]
	s_xor_b64 s[6:7], exec, s[8:9]
	s_cbranch_execnz .LBB57_3341
; %bb.1293:
	s_or_saveexec_b64 s[6:7], s[6:7]
	v_mov_b32_e32 v22, s10
	s_xor_b64 exec, exec, s[6:7]
	s_cbranch_execnz .LBB57_3344
.LBB57_1294:
	s_or_b64 exec, exec, s[6:7]
	s_and_saveexec_b64 s[6:7], s[4:5]
	s_cbranch_execz .LBB57_1296
.LBB57_1295:
	v_bfe_u32 v22, v10, 8, 3
	v_ffbh_u32_e32 v24, v22
	v_min_u32_e32 v24, 32, v24
	v_lshrrev_b16_e32 v23, 3, v21
	v_subrev_u32_e32 v25, 28, v24
	v_and_b32_e32 v23, 15, v23
	v_lshlrev_b32_e32 v21, v25, v21
	v_sub_u32_e32 v24, 29, v24
	v_and_b32_e32 v21, 7, v21
	v_cmp_eq_u16_e32 vcc, 0, v23
	v_cndmask_b32_e32 v21, v22, v21, vcc
	v_cndmask_b32_e32 v22, v23, v24, vcc
	v_lshlrev_b32_e32 v23, 16, v10
	v_mov_b32_e32 v24, 0x3b800000
	v_lshlrev_b32_e32 v21, 20, v21
	v_and_b32_e32 v23, 0x80000000, v23
	v_lshl_add_u32 v22, v22, 23, v24
	v_or3_b32 v22, v23, v22, v21
.LBB57_1296:
	s_or_b64 exec, exec, s[6:7]
	s_nop 0
	v_mfma_f32_16x16x4f32 a[0:3], v20, v22, a[0:3]
	s_movk_i32 s4, 0xff
	v_and_b32_sdwa v21, v14, s4 dst_sel:DWORD dst_unused:UNUSED_PAD src0_sel:WORD_1 src1_sel:DWORD
	s_movk_i32 s4, 0x7f
	v_cmp_lt_i16_e32 vcc, s4, v21
	s_mov_b64 s[4:5], 0
                                        ; implicit-def: $sgpr10
	s_and_saveexec_b64 s[6:7], vcc
	s_xor_b64 s[6:7], exec, s[6:7]
	s_cbranch_execnz .LBB57_3345
; %bb.1297:
	s_or_saveexec_b64 s[6:7], s[6:7]
	v_mov_b32_e32 v20, s10
	s_xor_b64 exec, exec, s[6:7]
	s_cbranch_execnz .LBB57_3348
.LBB57_1298:
	s_or_b64 exec, exec, s[6:7]
	s_and_saveexec_b64 s[6:7], s[4:5]
	s_cbranch_execz .LBB57_1300
.LBB57_1299:
	v_bfe_u32 v20, v14, 16, 3
	v_ffbh_u32_e32 v23, v20
	v_min_u32_e32 v23, 32, v23
	v_lshrrev_b32_e32 v21, 19, v14
	v_subrev_u32_e32 v24, 28, v23
	v_and_b32_e32 v21, 15, v21
	v_lshlrev_b32_sdwa v24, v24, v14 dst_sel:DWORD dst_unused:UNUSED_PAD src0_sel:DWORD src1_sel:WORD_1
	v_bfe_u32 v22, v14, 19, 4
	v_sub_u32_e32 v23, 29, v23
	v_and_b32_e32 v24, 7, v24
	v_cmp_eq_u16_e32 vcc, 0, v21
	v_cndmask_b32_e32 v20, v20, v24, vcc
	v_cndmask_b32_e32 v21, v22, v23, vcc
	v_lshlrev_b32_e32 v22, 8, v14
	v_mov_b32_e32 v23, 0x3b800000
	v_lshlrev_b32_e32 v20, 20, v20
	v_and_b32_e32 v22, 0x80000000, v22
	v_lshl_add_u32 v21, v21, 23, v23
	v_or3_b32 v20, v22, v21, v20
.LBB57_1300:
	s_or_b64 exec, exec, s[6:7]
	s_movk_i32 s4, 0xff
	v_and_b32_sdwa v21, v10, s4 dst_sel:DWORD dst_unused:UNUSED_PAD src0_sel:WORD_1 src1_sel:DWORD
	s_movk_i32 s4, 0x7f
	v_cmp_lt_i16_e32 vcc, s4, v21
	s_mov_b64 s[4:5], 0
                                        ; implicit-def: $sgpr10
	s_and_saveexec_b64 s[6:7], vcc
	s_xor_b64 s[6:7], exec, s[6:7]
	s_cbranch_execnz .LBB57_3349
; %bb.1301:
	s_or_saveexec_b64 s[6:7], s[6:7]
	v_mov_b32_e32 v22, s10
	s_xor_b64 exec, exec, s[6:7]
	s_cbranch_execnz .LBB57_3352
.LBB57_1302:
	s_or_b64 exec, exec, s[6:7]
	s_and_saveexec_b64 s[6:7], s[4:5]
	s_cbranch_execz .LBB57_1304
.LBB57_1303:
	v_bfe_u32 v21, v10, 16, 3
	v_ffbh_u32_e32 v24, v21
	v_min_u32_e32 v24, 32, v24
	v_lshrrev_b32_e32 v22, 19, v10
	v_subrev_u32_e32 v25, 28, v24
	v_and_b32_e32 v22, 15, v22
	v_lshlrev_b32_sdwa v25, v25, v10 dst_sel:DWORD dst_unused:UNUSED_PAD src0_sel:DWORD src1_sel:WORD_1
	v_bfe_u32 v23, v10, 19, 4
	v_sub_u32_e32 v24, 29, v24
	v_and_b32_e32 v25, 7, v25
	v_cmp_eq_u16_e32 vcc, 0, v22
	v_cndmask_b32_e32 v21, v21, v25, vcc
	v_cndmask_b32_e32 v22, v23, v24, vcc
	v_lshlrev_b32_e32 v23, 8, v10
	v_mov_b32_e32 v24, 0x3b800000
	v_lshlrev_b32_e32 v21, 20, v21
	v_and_b32_e32 v23, 0x80000000, v23
	v_lshl_add_u32 v22, v22, 23, v24
	v_or3_b32 v22, v23, v22, v21
.LBB57_1304:
	s_or_b64 exec, exec, s[6:7]
	s_nop 0
	v_mfma_f32_16x16x4f32 a[0:3], v20, v22, a[0:3]
	s_movk_i32 s4, 0x7f
	v_cmp_gt_i16_sdwa s[6:7], v14, s4 src0_sel:BYTE_3 src1_sel:DWORD
	s_mov_b64 s[4:5], 0
                                        ; implicit-def: $sgpr10
	s_and_saveexec_b64 s[8:9], s[6:7]
	s_xor_b64 s[6:7], exec, s[8:9]
	s_cbranch_execnz .LBB57_3353
; %bb.1305:
	s_or_saveexec_b64 s[6:7], s[6:7]
	v_mov_b32_e32 v20, s10
	s_xor_b64 exec, exec, s[6:7]
	s_cbranch_execnz .LBB57_3356
.LBB57_1306:
	s_or_b64 exec, exec, s[6:7]
	s_and_saveexec_b64 s[6:7], s[4:5]
	s_cbranch_execz .LBB57_1308
.LBB57_1307:
	v_bfe_u32 v20, v14, 24, 3
	v_ffbh_u32_e32 v24, v20
	v_min_u32_e32 v24, 32, v24
	v_lshrrev_b32_e32 v22, 27, v14
	v_subrev_u32_e32 v25, 28, v24
	v_and_b32_e32 v21, 0x80000000, v14
	v_and_b32_e32 v22, 15, v22
	v_bfe_u32 v23, v14, 27, 4
	v_lshlrev_b32_sdwa v14, v25, v14 dst_sel:DWORD dst_unused:UNUSED_PAD src0_sel:DWORD src1_sel:BYTE_3
	v_sub_u32_e32 v24, 29, v24
	v_and_b32_e32 v14, 7, v14
	v_cmp_eq_u16_e32 vcc, 0, v22
	v_cndmask_b32_e32 v14, v20, v14, vcc
	v_cndmask_b32_e32 v20, v23, v24, vcc
	v_mov_b32_e32 v22, 0x3b800000
	v_lshlrev_b32_e32 v14, 20, v14
	v_lshl_add_u32 v20, v20, 23, v22
	v_or3_b32 v20, v21, v20, v14
.LBB57_1308:
	s_or_b64 exec, exec, s[6:7]
	s_movk_i32 s4, 0x7f
	v_cmp_gt_i16_sdwa s[6:7], v10, s4 src0_sel:BYTE_3 src1_sel:DWORD
	s_mov_b64 s[4:5], 0
                                        ; implicit-def: $sgpr10
	s_and_saveexec_b64 s[8:9], s[6:7]
	s_xor_b64 s[6:7], exec, s[8:9]
	s_cbranch_execnz .LBB57_3357
; %bb.1309:
	s_or_saveexec_b64 s[6:7], s[6:7]
	v_mov_b32_e32 v14, s10
	s_xor_b64 exec, exec, s[6:7]
	s_cbranch_execnz .LBB57_3360
.LBB57_1310:
	s_or_b64 exec, exec, s[6:7]
	s_and_saveexec_b64 s[6:7], s[4:5]
	s_cbranch_execz .LBB57_1312
.LBB57_1311:
	v_bfe_u32 v14, v10, 24, 3
	v_ffbh_u32_e32 v24, v14
	v_min_u32_e32 v24, 32, v24
	v_lshrrev_b32_e32 v22, 27, v10
	v_subrev_u32_e32 v25, 28, v24
	v_and_b32_e32 v21, 0x80000000, v10
	v_and_b32_e32 v22, 15, v22
	v_bfe_u32 v23, v10, 27, 4
	v_lshlrev_b32_sdwa v10, v25, v10 dst_sel:DWORD dst_unused:UNUSED_PAD src0_sel:DWORD src1_sel:BYTE_3
	v_sub_u32_e32 v24, 29, v24
	v_and_b32_e32 v10, 7, v10
	v_cmp_eq_u16_e32 vcc, 0, v22
	v_cndmask_b32_e32 v10, v14, v10, vcc
	v_cndmask_b32_e32 v14, v23, v24, vcc
	v_mov_b32_e32 v22, 0x3b800000
	v_lshlrev_b32_e32 v10, 20, v10
	v_lshl_add_u32 v14, v14, 23, v22
	v_or3_b32 v14, v21, v14, v10
.LBB57_1312:
	s_or_b64 exec, exec, s[6:7]
	s_nop 0
	v_mfma_f32_16x16x4f32 a[0:3], v20, v14, a[0:3]
	s_movk_i32 s4, 0x7f
	v_cmp_gt_i16_sdwa s[6:7], v15, s4 src0_sel:BYTE_0 src1_sel:DWORD
	s_mov_b64 s[4:5], 0
                                        ; implicit-def: $sgpr10
	s_and_saveexec_b64 s[8:9], s[6:7]
	s_xor_b64 s[6:7], exec, s[8:9]
	s_cbranch_execnz .LBB57_3361
; %bb.1313:
	s_or_saveexec_b64 s[6:7], s[6:7]
	v_mov_b32_e32 v10, s10
	s_xor_b64 exec, exec, s[6:7]
	s_cbranch_execnz .LBB57_3364
.LBB57_1314:
	s_or_b64 exec, exec, s[6:7]
	s_and_saveexec_b64 s[6:7], s[4:5]
	s_cbranch_execz .LBB57_1316
.LBB57_1315:
	v_and_b32_e32 v10, 7, v15
	v_ffbh_u32_e32 v20, v10
	v_min_u32_e32 v20, 32, v20
	v_lshrrev_b16_e32 v14, 3, v15
	v_subrev_u32_e32 v21, 28, v20
	v_and_b32_e32 v14, 15, v14
	v_lshlrev_b32_e32 v21, v21, v15
	v_sub_u32_e32 v20, 29, v20
	v_and_b32_e32 v21, 7, v21
	v_cmp_eq_u16_e32 vcc, 0, v14
	v_cndmask_b32_e32 v10, v10, v21, vcc
	v_cndmask_b32_e32 v14, v14, v20, vcc
	v_lshlrev_b32_e32 v20, 24, v15
	v_mov_b32_e32 v21, 0x3b800000
	v_lshlrev_b32_e32 v10, 20, v10
	v_and_b32_e32 v20, 0x80000000, v20
	v_lshl_add_u32 v14, v14, 23, v21
	v_or3_b32 v10, v20, v14, v10
.LBB57_1316:
	s_or_b64 exec, exec, s[6:7]
	s_movk_i32 s4, 0x7f
	v_cmp_gt_i16_sdwa s[6:7], v11, s4 src0_sel:BYTE_0 src1_sel:DWORD
	s_mov_b64 s[4:5], 0
                                        ; implicit-def: $sgpr10
	s_and_saveexec_b64 s[8:9], s[6:7]
	s_xor_b64 s[6:7], exec, s[8:9]
	s_cbranch_execnz .LBB57_3365
; %bb.1317:
	s_or_saveexec_b64 s[6:7], s[6:7]
	v_mov_b32_e32 v14, s10
	s_xor_b64 exec, exec, s[6:7]
	s_cbranch_execnz .LBB57_3368
.LBB57_1318:
	s_or_b64 exec, exec, s[6:7]
	s_and_saveexec_b64 s[6:7], s[4:5]
	s_cbranch_execz .LBB57_1320
.LBB57_1319:
	v_and_b32_e32 v14, 7, v11
	v_ffbh_u32_e32 v21, v14
	v_min_u32_e32 v21, 32, v21
	v_lshrrev_b16_e32 v20, 3, v11
	v_subrev_u32_e32 v22, 28, v21
	v_and_b32_e32 v20, 15, v20
	v_lshlrev_b32_e32 v22, v22, v11
	v_sub_u32_e32 v21, 29, v21
	v_and_b32_e32 v22, 7, v22
	v_cmp_eq_u16_e32 vcc, 0, v20
	v_cndmask_b32_e32 v14, v14, v22, vcc
	v_cndmask_b32_e32 v20, v20, v21, vcc
	v_lshlrev_b32_e32 v21, 24, v11
	v_mov_b32_e32 v22, 0x3b800000
	v_lshlrev_b32_e32 v14, 20, v14
	v_and_b32_e32 v21, 0x80000000, v21
	v_lshl_add_u32 v20, v20, 23, v22
	v_or3_b32 v14, v21, v20, v14
.LBB57_1320:
	s_or_b64 exec, exec, s[6:7]
	s_nop 0
	v_mfma_f32_16x16x4f32 a[0:3], v10, v14, a[0:3]
	v_lshrrev_b32_e32 v14, 8, v15
	s_movk_i32 s4, 0x7f
	v_cmp_gt_i16_sdwa s[6:7], v14, s4 src0_sel:BYTE_0 src1_sel:DWORD
	s_mov_b64 s[4:5], 0
                                        ; implicit-def: $sgpr10
	s_and_saveexec_b64 s[8:9], s[6:7]
	s_xor_b64 s[6:7], exec, s[8:9]
	s_cbranch_execnz .LBB57_3369
; %bb.1321:
	s_or_saveexec_b64 s[6:7], s[6:7]
	v_mov_b32_e32 v10, s10
	s_xor_b64 exec, exec, s[6:7]
	s_cbranch_execnz .LBB57_3372
.LBB57_1322:
	s_or_b64 exec, exec, s[6:7]
	s_and_saveexec_b64 s[6:7], s[4:5]
	s_cbranch_execz .LBB57_1324
.LBB57_1323:
	v_bfe_u32 v10, v15, 8, 3
	v_ffbh_u32_e32 v21, v10
	v_min_u32_e32 v21, 32, v21
	v_lshrrev_b16_e32 v20, 3, v14
	v_subrev_u32_e32 v22, 28, v21
	v_and_b32_e32 v20, 15, v20
	v_lshlrev_b32_e32 v14, v22, v14
	v_sub_u32_e32 v21, 29, v21
	v_and_b32_e32 v14, 7, v14
	v_cmp_eq_u16_e32 vcc, 0, v20
	v_cndmask_b32_e32 v10, v10, v14, vcc
	v_cndmask_b32_e32 v14, v20, v21, vcc
	v_lshlrev_b32_e32 v20, 16, v15
	v_mov_b32_e32 v21, 0x3b800000
	v_lshlrev_b32_e32 v10, 20, v10
	v_and_b32_e32 v20, 0x80000000, v20
	v_lshl_add_u32 v14, v14, 23, v21
	v_or3_b32 v10, v20, v14, v10
.LBB57_1324:
	s_or_b64 exec, exec, s[6:7]
	v_lshrrev_b32_e32 v14, 8, v11
	s_movk_i32 s4, 0x7f
	v_cmp_gt_i16_sdwa s[6:7], v14, s4 src0_sel:BYTE_0 src1_sel:DWORD
	s_mov_b64 s[4:5], 0
                                        ; implicit-def: $sgpr10
	s_and_saveexec_b64 s[8:9], s[6:7]
	s_xor_b64 s[6:7], exec, s[8:9]
	s_cbranch_execnz .LBB57_3373
; %bb.1325:
	s_or_saveexec_b64 s[6:7], s[6:7]
	v_mov_b32_e32 v20, s10
	s_xor_b64 exec, exec, s[6:7]
	s_cbranch_execnz .LBB57_3376
.LBB57_1326:
	s_or_b64 exec, exec, s[6:7]
	s_and_saveexec_b64 s[6:7], s[4:5]
	s_cbranch_execz .LBB57_1328
.LBB57_1327:
	v_bfe_u32 v20, v11, 8, 3
	v_ffbh_u32_e32 v22, v20
	v_min_u32_e32 v22, 32, v22
	v_lshrrev_b16_e32 v21, 3, v14
	v_subrev_u32_e32 v23, 28, v22
	v_and_b32_e32 v21, 15, v21
	v_lshlrev_b32_e32 v14, v23, v14
	v_sub_u32_e32 v22, 29, v22
	v_and_b32_e32 v14, 7, v14
	v_cmp_eq_u16_e32 vcc, 0, v21
	v_cndmask_b32_e32 v14, v20, v14, vcc
	v_cndmask_b32_e32 v20, v21, v22, vcc
	v_lshlrev_b32_e32 v21, 16, v11
	v_mov_b32_e32 v22, 0x3b800000
	v_lshlrev_b32_e32 v14, 20, v14
	v_and_b32_e32 v21, 0x80000000, v21
	v_lshl_add_u32 v20, v20, 23, v22
	v_or3_b32 v20, v21, v20, v14
.LBB57_1328:
	s_or_b64 exec, exec, s[6:7]
	s_nop 0
	v_mfma_f32_16x16x4f32 a[0:3], v10, v20, a[0:3]
	s_movk_i32 s4, 0xff
	v_and_b32_sdwa v14, v15, s4 dst_sel:DWORD dst_unused:UNUSED_PAD src0_sel:WORD_1 src1_sel:DWORD
	s_movk_i32 s4, 0x7f
	v_cmp_lt_i16_e32 vcc, s4, v14
	s_mov_b64 s[4:5], 0
                                        ; implicit-def: $sgpr10
	s_and_saveexec_b64 s[6:7], vcc
	s_xor_b64 s[6:7], exec, s[6:7]
	s_cbranch_execnz .LBB57_3377
; %bb.1329:
	s_or_saveexec_b64 s[6:7], s[6:7]
	v_mov_b32_e32 v10, s10
	s_xor_b64 exec, exec, s[6:7]
	s_cbranch_execnz .LBB57_3380
.LBB57_1330:
	s_or_b64 exec, exec, s[6:7]
	s_and_saveexec_b64 s[6:7], s[4:5]
	s_cbranch_execz .LBB57_1332
.LBB57_1331:
	v_bfe_u32 v10, v15, 16, 3
	v_ffbh_u32_e32 v21, v10
	v_min_u32_e32 v21, 32, v21
	v_lshrrev_b32_e32 v14, 19, v15
	v_subrev_u32_e32 v22, 28, v21
	v_and_b32_e32 v14, 15, v14
	v_lshlrev_b32_sdwa v22, v22, v15 dst_sel:DWORD dst_unused:UNUSED_PAD src0_sel:DWORD src1_sel:WORD_1
	v_bfe_u32 v20, v15, 19, 4
	v_sub_u32_e32 v21, 29, v21
	v_and_b32_e32 v22, 7, v22
	v_cmp_eq_u16_e32 vcc, 0, v14
	v_cndmask_b32_e32 v10, v10, v22, vcc
	v_cndmask_b32_e32 v14, v20, v21, vcc
	v_lshlrev_b32_e32 v20, 8, v15
	v_mov_b32_e32 v21, 0x3b800000
	v_lshlrev_b32_e32 v10, 20, v10
	v_and_b32_e32 v20, 0x80000000, v20
	v_lshl_add_u32 v14, v14, 23, v21
	v_or3_b32 v10, v20, v14, v10
.LBB57_1332:
	s_or_b64 exec, exec, s[6:7]
	s_movk_i32 s4, 0xff
	v_and_b32_sdwa v14, v11, s4 dst_sel:DWORD dst_unused:UNUSED_PAD src0_sel:WORD_1 src1_sel:DWORD
	s_movk_i32 s4, 0x7f
	v_cmp_lt_i16_e32 vcc, s4, v14
	s_mov_b64 s[4:5], 0
                                        ; implicit-def: $sgpr10
	s_and_saveexec_b64 s[6:7], vcc
	s_xor_b64 s[6:7], exec, s[6:7]
	s_cbranch_execnz .LBB57_3381
; %bb.1333:
	s_or_saveexec_b64 s[6:7], s[6:7]
	v_mov_b32_e32 v20, s10
	s_xor_b64 exec, exec, s[6:7]
	s_cbranch_execnz .LBB57_3384
.LBB57_1334:
	s_or_b64 exec, exec, s[6:7]
	s_and_saveexec_b64 s[6:7], s[4:5]
	s_cbranch_execz .LBB57_1336
.LBB57_1335:
	v_bfe_u32 v14, v11, 16, 3
	v_ffbh_u32_e32 v22, v14
	v_min_u32_e32 v22, 32, v22
	v_lshrrev_b32_e32 v20, 19, v11
	v_subrev_u32_e32 v23, 28, v22
	v_and_b32_e32 v20, 15, v20
	v_lshlrev_b32_sdwa v23, v23, v11 dst_sel:DWORD dst_unused:UNUSED_PAD src0_sel:DWORD src1_sel:WORD_1
	v_bfe_u32 v21, v11, 19, 4
	v_sub_u32_e32 v22, 29, v22
	v_and_b32_e32 v23, 7, v23
	v_cmp_eq_u16_e32 vcc, 0, v20
	v_cndmask_b32_e32 v14, v14, v23, vcc
	v_cndmask_b32_e32 v20, v21, v22, vcc
	v_lshlrev_b32_e32 v21, 8, v11
	v_mov_b32_e32 v22, 0x3b800000
	v_lshlrev_b32_e32 v14, 20, v14
	v_and_b32_e32 v21, 0x80000000, v21
	v_lshl_add_u32 v20, v20, 23, v22
	v_or3_b32 v20, v21, v20, v14
.LBB57_1336:
	s_or_b64 exec, exec, s[6:7]
	s_nop 0
	v_mfma_f32_16x16x4f32 a[0:3], v10, v20, a[0:3]
	s_movk_i32 s4, 0x7f
	v_cmp_gt_i16_sdwa s[6:7], v15, s4 src0_sel:BYTE_3 src1_sel:DWORD
	s_mov_b64 s[4:5], 0
                                        ; implicit-def: $sgpr10
	s_and_saveexec_b64 s[8:9], s[6:7]
	s_xor_b64 s[6:7], exec, s[8:9]
	s_cbranch_execnz .LBB57_3385
; %bb.1337:
	s_or_saveexec_b64 s[6:7], s[6:7]
	v_mov_b32_e32 v10, s10
	s_xor_b64 exec, exec, s[6:7]
	s_cbranch_execnz .LBB57_3388
.LBB57_1338:
	s_or_b64 exec, exec, s[6:7]
	s_and_saveexec_b64 s[6:7], s[4:5]
	s_cbranch_execz .LBB57_1340
.LBB57_1339:
	v_bfe_u32 v10, v15, 24, 3
	v_ffbh_u32_e32 v22, v10
	v_min_u32_e32 v22, 32, v22
	v_lshrrev_b32_e32 v20, 27, v15
	v_subrev_u32_e32 v23, 28, v22
	v_and_b32_e32 v14, 0x80000000, v15
	v_and_b32_e32 v20, 15, v20
	v_bfe_u32 v21, v15, 27, 4
	v_lshlrev_b32_sdwa v15, v23, v15 dst_sel:DWORD dst_unused:UNUSED_PAD src0_sel:DWORD src1_sel:BYTE_3
	v_sub_u32_e32 v22, 29, v22
	v_and_b32_e32 v15, 7, v15
	v_cmp_eq_u16_e32 vcc, 0, v20
	v_cndmask_b32_e32 v10, v10, v15, vcc
	v_cndmask_b32_e32 v15, v21, v22, vcc
	v_mov_b32_e32 v20, 0x3b800000
	v_lshlrev_b32_e32 v10, 20, v10
	v_lshl_add_u32 v15, v15, 23, v20
	v_or3_b32 v10, v14, v15, v10
.LBB57_1340:
	s_or_b64 exec, exec, s[6:7]
	s_movk_i32 s4, 0x7f
	v_cmp_gt_i16_sdwa s[6:7], v11, s4 src0_sel:BYTE_3 src1_sel:DWORD
	s_mov_b64 s[4:5], 0
                                        ; implicit-def: $sgpr10
	s_and_saveexec_b64 s[8:9], s[6:7]
	s_xor_b64 s[6:7], exec, s[8:9]
	s_cbranch_execnz .LBB57_3389
; %bb.1341:
	s_or_saveexec_b64 s[6:7], s[6:7]
	v_mov_b32_e32 v14, s10
	s_xor_b64 exec, exec, s[6:7]
	s_cbranch_execnz .LBB57_3392
.LBB57_1342:
	s_or_b64 exec, exec, s[6:7]
	s_and_saveexec_b64 s[6:7], s[4:5]
	s_cbranch_execz .LBB57_1344
.LBB57_1343:
	v_bfe_u32 v14, v11, 24, 3
	v_ffbh_u32_e32 v22, v14
	v_min_u32_e32 v22, 32, v22
	v_lshrrev_b32_e32 v20, 27, v11
	v_subrev_u32_e32 v23, 28, v22
	v_and_b32_e32 v15, 0x80000000, v11
	v_and_b32_e32 v20, 15, v20
	v_bfe_u32 v21, v11, 27, 4
	v_lshlrev_b32_sdwa v11, v23, v11 dst_sel:DWORD dst_unused:UNUSED_PAD src0_sel:DWORD src1_sel:BYTE_3
	v_sub_u32_e32 v22, 29, v22
	v_and_b32_e32 v11, 7, v11
	v_cmp_eq_u16_e32 vcc, 0, v20
	v_cndmask_b32_e32 v11, v14, v11, vcc
	v_cndmask_b32_e32 v14, v21, v22, vcc
	v_mov_b32_e32 v20, 0x3b800000
	v_lshlrev_b32_e32 v11, 20, v11
	v_lshl_add_u32 v14, v14, 23, v20
	v_or3_b32 v14, v15, v14, v11
.LBB57_1344:
	s_or_b64 exec, exec, s[6:7]
	s_nop 0
	v_mfma_f32_16x16x4f32 a[0:3], v10, v14, a[0:3]
	s_movk_i32 s4, 0x7f
	v_cmp_gt_i16_sdwa s[6:7], v16, s4 src0_sel:BYTE_0 src1_sel:DWORD
	s_mov_b64 s[4:5], 0
                                        ; implicit-def: $sgpr10
	s_and_saveexec_b64 s[8:9], s[6:7]
	s_xor_b64 s[6:7], exec, s[8:9]
	s_cbranch_execnz .LBB57_3393
; %bb.1345:
	s_or_saveexec_b64 s[6:7], s[6:7]
	v_mov_b32_e32 v10, s10
	s_xor_b64 exec, exec, s[6:7]
	s_cbranch_execnz .LBB57_3396
.LBB57_1346:
	s_or_b64 exec, exec, s[6:7]
	s_and_saveexec_b64 s[6:7], s[4:5]
	s_cbranch_execz .LBB57_1348
.LBB57_1347:
	v_and_b32_e32 v10, 7, v16
	v_ffbh_u32_e32 v14, v10
	v_min_u32_e32 v14, 32, v14
	v_lshrrev_b16_e32 v11, 3, v16
	v_subrev_u32_e32 v15, 28, v14
	v_and_b32_e32 v11, 15, v11
	v_lshlrev_b32_e32 v15, v15, v16
	v_sub_u32_e32 v14, 29, v14
	v_and_b32_e32 v15, 7, v15
	v_cmp_eq_u16_e32 vcc, 0, v11
	v_cndmask_b32_e32 v10, v10, v15, vcc
	v_cndmask_b32_e32 v11, v11, v14, vcc
	v_lshlrev_b32_e32 v14, 24, v16
	v_mov_b32_e32 v15, 0x3b800000
	v_lshlrev_b32_e32 v10, 20, v10
	v_and_b32_e32 v14, 0x80000000, v14
	v_lshl_add_u32 v11, v11, 23, v15
	v_or3_b32 v10, v14, v11, v10
.LBB57_1348:
	s_or_b64 exec, exec, s[6:7]
	s_movk_i32 s4, 0x7f
	v_cmp_gt_i16_sdwa s[6:7], v12, s4 src0_sel:BYTE_0 src1_sel:DWORD
	s_mov_b64 s[4:5], 0
                                        ; implicit-def: $sgpr10
	s_and_saveexec_b64 s[8:9], s[6:7]
	s_xor_b64 s[6:7], exec, s[8:9]
	s_cbranch_execnz .LBB57_3397
; %bb.1349:
	s_or_saveexec_b64 s[6:7], s[6:7]
	v_mov_b32_e32 v11, s10
	s_xor_b64 exec, exec, s[6:7]
	s_cbranch_execnz .LBB57_3400
.LBB57_1350:
	s_or_b64 exec, exec, s[6:7]
	s_and_saveexec_b64 s[6:7], s[4:5]
	s_cbranch_execz .LBB57_1352
.LBB57_1351:
	v_and_b32_e32 v11, 7, v12
	v_ffbh_u32_e32 v15, v11
	v_min_u32_e32 v15, 32, v15
	v_lshrrev_b16_e32 v14, 3, v12
	v_subrev_u32_e32 v20, 28, v15
	v_and_b32_e32 v14, 15, v14
	v_lshlrev_b32_e32 v20, v20, v12
	v_sub_u32_e32 v15, 29, v15
	v_and_b32_e32 v20, 7, v20
	v_cmp_eq_u16_e32 vcc, 0, v14
	v_cndmask_b32_e32 v11, v11, v20, vcc
	v_cndmask_b32_e32 v14, v14, v15, vcc
	v_lshlrev_b32_e32 v15, 24, v12
	v_mov_b32_e32 v20, 0x3b800000
	v_lshlrev_b32_e32 v11, 20, v11
	v_and_b32_e32 v15, 0x80000000, v15
	v_lshl_add_u32 v14, v14, 23, v20
	v_or3_b32 v11, v15, v14, v11
.LBB57_1352:
	s_or_b64 exec, exec, s[6:7]
	s_nop 0
	v_mfma_f32_16x16x4f32 a[0:3], v10, v11, a[0:3]
	v_lshrrev_b32_e32 v11, 8, v16
	s_movk_i32 s4, 0x7f
	v_cmp_gt_i16_sdwa s[6:7], v11, s4 src0_sel:BYTE_0 src1_sel:DWORD
	s_mov_b64 s[4:5], 0
                                        ; implicit-def: $sgpr10
	s_and_saveexec_b64 s[8:9], s[6:7]
	s_xor_b64 s[6:7], exec, s[8:9]
	s_cbranch_execnz .LBB57_3401
; %bb.1353:
	s_or_saveexec_b64 s[6:7], s[6:7]
	v_mov_b32_e32 v10, s10
	s_xor_b64 exec, exec, s[6:7]
	s_cbranch_execnz .LBB57_3404
.LBB57_1354:
	s_or_b64 exec, exec, s[6:7]
	s_and_saveexec_b64 s[6:7], s[4:5]
	s_cbranch_execz .LBB57_1356
.LBB57_1355:
	v_bfe_u32 v10, v16, 8, 3
	v_ffbh_u32_e32 v15, v10
	v_min_u32_e32 v15, 32, v15
	v_lshrrev_b16_e32 v14, 3, v11
	v_subrev_u32_e32 v20, 28, v15
	v_and_b32_e32 v14, 15, v14
	v_lshlrev_b32_e32 v11, v20, v11
	v_sub_u32_e32 v15, 29, v15
	v_and_b32_e32 v11, 7, v11
	v_cmp_eq_u16_e32 vcc, 0, v14
	v_cndmask_b32_e32 v10, v10, v11, vcc
	v_cndmask_b32_e32 v11, v14, v15, vcc
	v_lshlrev_b32_e32 v14, 16, v16
	v_mov_b32_e32 v15, 0x3b800000
	v_lshlrev_b32_e32 v10, 20, v10
	v_and_b32_e32 v14, 0x80000000, v14
	v_lshl_add_u32 v11, v11, 23, v15
	v_or3_b32 v10, v14, v11, v10
.LBB57_1356:
	s_or_b64 exec, exec, s[6:7]
	v_lshrrev_b32_e32 v11, 8, v12
	s_movk_i32 s4, 0x7f
	v_cmp_gt_i16_sdwa s[6:7], v11, s4 src0_sel:BYTE_0 src1_sel:DWORD
	s_mov_b64 s[4:5], 0
                                        ; implicit-def: $sgpr10
	s_and_saveexec_b64 s[8:9], s[6:7]
	s_xor_b64 s[6:7], exec, s[8:9]
	s_cbranch_execnz .LBB57_3405
; %bb.1357:
	s_or_saveexec_b64 s[6:7], s[6:7]
	v_mov_b32_e32 v14, s10
	s_xor_b64 exec, exec, s[6:7]
	s_cbranch_execnz .LBB57_3408
.LBB57_1358:
	s_or_b64 exec, exec, s[6:7]
	s_and_saveexec_b64 s[6:7], s[4:5]
	s_cbranch_execz .LBB57_1360
.LBB57_1359:
	v_bfe_u32 v14, v12, 8, 3
	v_ffbh_u32_e32 v20, v14
	v_min_u32_e32 v20, 32, v20
	v_lshrrev_b16_e32 v15, 3, v11
	v_subrev_u32_e32 v21, 28, v20
	v_and_b32_e32 v15, 15, v15
	v_lshlrev_b32_e32 v11, v21, v11
	v_sub_u32_e32 v20, 29, v20
	v_and_b32_e32 v11, 7, v11
	v_cmp_eq_u16_e32 vcc, 0, v15
	v_cndmask_b32_e32 v11, v14, v11, vcc
	v_cndmask_b32_e32 v14, v15, v20, vcc
	v_lshlrev_b32_e32 v15, 16, v12
	v_mov_b32_e32 v20, 0x3b800000
	v_lshlrev_b32_e32 v11, 20, v11
	v_and_b32_e32 v15, 0x80000000, v15
	v_lshl_add_u32 v14, v14, 23, v20
	v_or3_b32 v14, v15, v14, v11
.LBB57_1360:
	s_or_b64 exec, exec, s[6:7]
	s_nop 0
	v_mfma_f32_16x16x4f32 a[0:3], v10, v14, a[0:3]
	s_movk_i32 s4, 0xff
	v_and_b32_sdwa v11, v16, s4 dst_sel:DWORD dst_unused:UNUSED_PAD src0_sel:WORD_1 src1_sel:DWORD
	s_movk_i32 s4, 0x7f
	v_cmp_lt_i16_e32 vcc, s4, v11
	s_mov_b64 s[4:5], 0
                                        ; implicit-def: $sgpr10
	s_and_saveexec_b64 s[6:7], vcc
	s_xor_b64 s[6:7], exec, s[6:7]
	s_cbranch_execnz .LBB57_3409
; %bb.1361:
	s_or_saveexec_b64 s[6:7], s[6:7]
	v_mov_b32_e32 v10, s10
	s_xor_b64 exec, exec, s[6:7]
	s_cbranch_execnz .LBB57_3412
.LBB57_1362:
	s_or_b64 exec, exec, s[6:7]
	s_and_saveexec_b64 s[6:7], s[4:5]
	s_cbranch_execz .LBB57_1364
.LBB57_1363:
	v_bfe_u32 v10, v16, 16, 3
	v_ffbh_u32_e32 v15, v10
	v_min_u32_e32 v15, 32, v15
	v_lshrrev_b32_e32 v11, 19, v16
	v_subrev_u32_e32 v20, 28, v15
	v_and_b32_e32 v11, 15, v11
	v_lshlrev_b32_sdwa v20, v20, v16 dst_sel:DWORD dst_unused:UNUSED_PAD src0_sel:DWORD src1_sel:WORD_1
	v_bfe_u32 v14, v16, 19, 4
	v_sub_u32_e32 v15, 29, v15
	v_and_b32_e32 v20, 7, v20
	v_cmp_eq_u16_e32 vcc, 0, v11
	v_cndmask_b32_e32 v10, v10, v20, vcc
	v_cndmask_b32_e32 v11, v14, v15, vcc
	v_lshlrev_b32_e32 v14, 8, v16
	v_mov_b32_e32 v15, 0x3b800000
	v_lshlrev_b32_e32 v10, 20, v10
	v_and_b32_e32 v14, 0x80000000, v14
	v_lshl_add_u32 v11, v11, 23, v15
	v_or3_b32 v10, v14, v11, v10
.LBB57_1364:
	s_or_b64 exec, exec, s[6:7]
	s_movk_i32 s4, 0xff
	v_and_b32_sdwa v11, v12, s4 dst_sel:DWORD dst_unused:UNUSED_PAD src0_sel:WORD_1 src1_sel:DWORD
	s_movk_i32 s4, 0x7f
	v_cmp_lt_i16_e32 vcc, s4, v11
	s_mov_b64 s[4:5], 0
                                        ; implicit-def: $sgpr10
	s_and_saveexec_b64 s[6:7], vcc
	s_xor_b64 s[6:7], exec, s[6:7]
	s_cbranch_execnz .LBB57_3413
; %bb.1365:
	s_or_saveexec_b64 s[6:7], s[6:7]
	v_mov_b32_e32 v14, s10
	s_xor_b64 exec, exec, s[6:7]
	s_cbranch_execnz .LBB57_3416
.LBB57_1366:
	s_or_b64 exec, exec, s[6:7]
	s_and_saveexec_b64 s[6:7], s[4:5]
	s_cbranch_execz .LBB57_1368
.LBB57_1367:
	v_bfe_u32 v11, v12, 16, 3
	v_ffbh_u32_e32 v20, v11
	v_min_u32_e32 v20, 32, v20
	v_lshrrev_b32_e32 v14, 19, v12
	v_subrev_u32_e32 v21, 28, v20
	v_and_b32_e32 v14, 15, v14
	v_lshlrev_b32_sdwa v21, v21, v12 dst_sel:DWORD dst_unused:UNUSED_PAD src0_sel:DWORD src1_sel:WORD_1
	v_bfe_u32 v15, v12, 19, 4
	v_sub_u32_e32 v20, 29, v20
	v_and_b32_e32 v21, 7, v21
	v_cmp_eq_u16_e32 vcc, 0, v14
	v_cndmask_b32_e32 v11, v11, v21, vcc
	v_cndmask_b32_e32 v14, v15, v20, vcc
	v_lshlrev_b32_e32 v15, 8, v12
	v_mov_b32_e32 v20, 0x3b800000
	v_lshlrev_b32_e32 v11, 20, v11
	v_and_b32_e32 v15, 0x80000000, v15
	v_lshl_add_u32 v14, v14, 23, v20
	v_or3_b32 v14, v15, v14, v11
.LBB57_1368:
	s_or_b64 exec, exec, s[6:7]
	s_nop 0
	v_mfma_f32_16x16x4f32 a[0:3], v10, v14, a[0:3]
	s_movk_i32 s4, 0x7f
	v_cmp_gt_i16_sdwa s[6:7], v16, s4 src0_sel:BYTE_3 src1_sel:DWORD
	s_mov_b64 s[4:5], 0
                                        ; implicit-def: $sgpr10
	s_and_saveexec_b64 s[8:9], s[6:7]
	s_xor_b64 s[6:7], exec, s[8:9]
	s_cbranch_execnz .LBB57_3417
; %bb.1369:
	s_or_saveexec_b64 s[6:7], s[6:7]
	v_mov_b32_e32 v10, s10
	s_xor_b64 exec, exec, s[6:7]
	s_cbranch_execnz .LBB57_3420
.LBB57_1370:
	s_or_b64 exec, exec, s[6:7]
	s_and_saveexec_b64 s[6:7], s[4:5]
	s_cbranch_execz .LBB57_1372
.LBB57_1371:
	v_bfe_u32 v10, v16, 24, 3
	v_ffbh_u32_e32 v20, v10
	v_min_u32_e32 v20, 32, v20
	v_lshrrev_b32_e32 v14, 27, v16
	v_subrev_u32_e32 v21, 28, v20
	v_and_b32_e32 v11, 0x80000000, v16
	v_and_b32_e32 v14, 15, v14
	v_bfe_u32 v15, v16, 27, 4
	v_lshlrev_b32_sdwa v16, v21, v16 dst_sel:DWORD dst_unused:UNUSED_PAD src0_sel:DWORD src1_sel:BYTE_3
	v_sub_u32_e32 v20, 29, v20
	v_and_b32_e32 v16, 7, v16
	v_cmp_eq_u16_e32 vcc, 0, v14
	v_cndmask_b32_e32 v10, v10, v16, vcc
	v_cndmask_b32_e32 v14, v15, v20, vcc
	v_mov_b32_e32 v15, 0x3b800000
	v_lshlrev_b32_e32 v10, 20, v10
	v_lshl_add_u32 v14, v14, 23, v15
	v_or3_b32 v10, v11, v14, v10
.LBB57_1372:
	s_or_b64 exec, exec, s[6:7]
	s_movk_i32 s4, 0x7f
	v_cmp_gt_i16_sdwa s[6:7], v12, s4 src0_sel:BYTE_3 src1_sel:DWORD
	s_mov_b64 s[4:5], 0
                                        ; implicit-def: $sgpr10
	s_and_saveexec_b64 s[8:9], s[6:7]
	s_xor_b64 s[6:7], exec, s[8:9]
	s_cbranch_execnz .LBB57_3421
; %bb.1373:
	s_or_saveexec_b64 s[6:7], s[6:7]
	v_mov_b32_e32 v11, s10
	s_xor_b64 exec, exec, s[6:7]
	s_cbranch_execnz .LBB57_3424
.LBB57_1374:
	s_or_b64 exec, exec, s[6:7]
	s_and_saveexec_b64 s[6:7], s[4:5]
	s_cbranch_execz .LBB57_1376
.LBB57_1375:
	v_bfe_u32 v11, v12, 24, 3
	v_ffbh_u32_e32 v20, v11
	v_min_u32_e32 v20, 32, v20
	v_lshrrev_b32_e32 v15, 27, v12
	v_subrev_u32_e32 v21, 28, v20
	v_and_b32_e32 v14, 0x80000000, v12
	v_and_b32_e32 v15, 15, v15
	v_bfe_u32 v16, v12, 27, 4
	v_lshlrev_b32_sdwa v12, v21, v12 dst_sel:DWORD dst_unused:UNUSED_PAD src0_sel:DWORD src1_sel:BYTE_3
	v_sub_u32_e32 v20, 29, v20
	v_and_b32_e32 v12, 7, v12
	v_cmp_eq_u16_e32 vcc, 0, v15
	v_cndmask_b32_e32 v11, v11, v12, vcc
	v_cndmask_b32_e32 v12, v16, v20, vcc
	v_mov_b32_e32 v15, 0x3b800000
	v_lshlrev_b32_e32 v11, 20, v11
	v_lshl_add_u32 v12, v12, 23, v15
	v_or3_b32 v11, v14, v12, v11
.LBB57_1376:
	s_or_b64 exec, exec, s[6:7]
	s_nop 0
	v_mfma_f32_16x16x4f32 a[0:3], v10, v11, a[0:3]
	s_movk_i32 s4, 0x7f
	v_cmp_gt_i16_sdwa s[6:7], v17, s4 src0_sel:BYTE_0 src1_sel:DWORD
	s_mov_b64 s[4:5], 0
                                        ; implicit-def: $sgpr10
	s_and_saveexec_b64 s[8:9], s[6:7]
	s_xor_b64 s[6:7], exec, s[8:9]
	s_cbranch_execnz .LBB57_3425
; %bb.1377:
	s_or_saveexec_b64 s[6:7], s[6:7]
	v_mov_b32_e32 v10, s10
	s_xor_b64 exec, exec, s[6:7]
	s_cbranch_execnz .LBB57_3428
.LBB57_1378:
	s_or_b64 exec, exec, s[6:7]
	s_and_saveexec_b64 s[6:7], s[4:5]
	s_cbranch_execz .LBB57_1380
.LBB57_1379:
	v_and_b32_e32 v10, 7, v17
	v_ffbh_u32_e32 v12, v10
	v_min_u32_e32 v12, 32, v12
	v_lshrrev_b16_e32 v11, 3, v17
	v_subrev_u32_e32 v14, 28, v12
	v_and_b32_e32 v11, 15, v11
	v_lshlrev_b32_e32 v14, v14, v17
	v_sub_u32_e32 v12, 29, v12
	v_and_b32_e32 v14, 7, v14
	v_cmp_eq_u16_e32 vcc, 0, v11
	v_cndmask_b32_e32 v10, v10, v14, vcc
	v_cndmask_b32_e32 v11, v11, v12, vcc
	v_lshlrev_b32_e32 v12, 24, v17
	v_mov_b32_e32 v14, 0x3b800000
	v_lshlrev_b32_e32 v10, 20, v10
	v_and_b32_e32 v12, 0x80000000, v12
	v_lshl_add_u32 v11, v11, 23, v14
	v_or3_b32 v10, v12, v11, v10
.LBB57_1380:
	s_or_b64 exec, exec, s[6:7]
	s_movk_i32 s4, 0x7f
	v_cmp_gt_i16_sdwa s[6:7], v13, s4 src0_sel:BYTE_0 src1_sel:DWORD
	s_mov_b64 s[4:5], 0
                                        ; implicit-def: $sgpr10
	s_and_saveexec_b64 s[8:9], s[6:7]
	s_xor_b64 s[6:7], exec, s[8:9]
	s_cbranch_execnz .LBB57_3429
; %bb.1381:
	s_or_saveexec_b64 s[6:7], s[6:7]
	v_mov_b32_e32 v11, s10
	s_xor_b64 exec, exec, s[6:7]
	s_cbranch_execnz .LBB57_3432
.LBB57_1382:
	s_or_b64 exec, exec, s[6:7]
	s_and_saveexec_b64 s[6:7], s[4:5]
	s_cbranch_execz .LBB57_1384
.LBB57_1383:
	v_and_b32_e32 v11, 7, v13
	v_ffbh_u32_e32 v14, v11
	v_min_u32_e32 v14, 32, v14
	v_lshrrev_b16_e32 v12, 3, v13
	v_subrev_u32_e32 v15, 28, v14
	v_and_b32_e32 v12, 15, v12
	v_lshlrev_b32_e32 v15, v15, v13
	v_sub_u32_e32 v14, 29, v14
	v_and_b32_e32 v15, 7, v15
	v_cmp_eq_u16_e32 vcc, 0, v12
	v_cndmask_b32_e32 v11, v11, v15, vcc
	v_cndmask_b32_e32 v12, v12, v14, vcc
	v_lshlrev_b32_e32 v14, 24, v13
	v_mov_b32_e32 v15, 0x3b800000
	v_lshlrev_b32_e32 v11, 20, v11
	v_and_b32_e32 v14, 0x80000000, v14
	v_lshl_add_u32 v12, v12, 23, v15
	v_or3_b32 v11, v14, v12, v11
.LBB57_1384:
	s_or_b64 exec, exec, s[6:7]
	s_nop 0
	v_mfma_f32_16x16x4f32 a[0:3], v10, v11, a[0:3]
	v_lshrrev_b32_e32 v11, 8, v17
	s_movk_i32 s4, 0x7f
	v_cmp_gt_i16_sdwa s[6:7], v11, s4 src0_sel:BYTE_0 src1_sel:DWORD
	s_mov_b64 s[4:5], 0
                                        ; implicit-def: $sgpr10
	s_and_saveexec_b64 s[8:9], s[6:7]
	s_xor_b64 s[6:7], exec, s[8:9]
	s_cbranch_execnz .LBB57_3433
; %bb.1385:
	s_or_saveexec_b64 s[6:7], s[6:7]
	v_mov_b32_e32 v10, s10
	s_xor_b64 exec, exec, s[6:7]
	s_cbranch_execnz .LBB57_3436
.LBB57_1386:
	s_or_b64 exec, exec, s[6:7]
	s_and_saveexec_b64 s[6:7], s[4:5]
	s_cbranch_execz .LBB57_1388
.LBB57_1387:
	v_bfe_u32 v10, v17, 8, 3
	v_ffbh_u32_e32 v14, v10
	v_min_u32_e32 v14, 32, v14
	v_lshrrev_b16_e32 v12, 3, v11
	v_subrev_u32_e32 v15, 28, v14
	v_and_b32_e32 v12, 15, v12
	v_lshlrev_b32_e32 v11, v15, v11
	v_sub_u32_e32 v14, 29, v14
	v_and_b32_e32 v11, 7, v11
	v_cmp_eq_u16_e32 vcc, 0, v12
	v_cndmask_b32_e32 v10, v10, v11, vcc
	v_cndmask_b32_e32 v11, v12, v14, vcc
	v_lshlrev_b32_e32 v12, 16, v17
	v_mov_b32_e32 v14, 0x3b800000
	v_lshlrev_b32_e32 v10, 20, v10
	v_and_b32_e32 v12, 0x80000000, v12
	v_lshl_add_u32 v11, v11, 23, v14
	v_or3_b32 v10, v12, v11, v10
.LBB57_1388:
	s_or_b64 exec, exec, s[6:7]
	v_lshrrev_b32_e32 v11, 8, v13
	s_movk_i32 s4, 0x7f
	v_cmp_gt_i16_sdwa s[6:7], v11, s4 src0_sel:BYTE_0 src1_sel:DWORD
	s_mov_b64 s[4:5], 0
                                        ; implicit-def: $sgpr10
	s_and_saveexec_b64 s[8:9], s[6:7]
	s_xor_b64 s[6:7], exec, s[8:9]
	s_cbranch_execnz .LBB57_3437
; %bb.1389:
	s_or_saveexec_b64 s[6:7], s[6:7]
	v_mov_b32_e32 v12, s10
	s_xor_b64 exec, exec, s[6:7]
	s_cbranch_execnz .LBB57_3440
.LBB57_1390:
	s_or_b64 exec, exec, s[6:7]
	s_and_saveexec_b64 s[6:7], s[4:5]
	s_cbranch_execz .LBB57_1392
.LBB57_1391:
	v_bfe_u32 v12, v13, 8, 3
	v_ffbh_u32_e32 v15, v12
	v_min_u32_e32 v15, 32, v15
	v_lshrrev_b16_e32 v14, 3, v11
	v_subrev_u32_e32 v16, 28, v15
	v_and_b32_e32 v14, 15, v14
	v_lshlrev_b32_e32 v11, v16, v11
	v_sub_u32_e32 v15, 29, v15
	v_and_b32_e32 v11, 7, v11
	v_cmp_eq_u16_e32 vcc, 0, v14
	v_cndmask_b32_e32 v11, v12, v11, vcc
	v_cndmask_b32_e32 v12, v14, v15, vcc
	v_lshlrev_b32_e32 v14, 16, v13
	v_mov_b32_e32 v15, 0x3b800000
	v_lshlrev_b32_e32 v11, 20, v11
	v_and_b32_e32 v14, 0x80000000, v14
	v_lshl_add_u32 v12, v12, 23, v15
	v_or3_b32 v12, v14, v12, v11
.LBB57_1392:
	s_or_b64 exec, exec, s[6:7]
	s_nop 0
	v_mfma_f32_16x16x4f32 a[0:3], v10, v12, a[0:3]
	s_movk_i32 s4, 0xff
	v_and_b32_sdwa v11, v17, s4 dst_sel:DWORD dst_unused:UNUSED_PAD src0_sel:WORD_1 src1_sel:DWORD
	s_movk_i32 s4, 0x7f
	v_cmp_lt_i16_e32 vcc, s4, v11
	s_mov_b64 s[4:5], 0
                                        ; implicit-def: $sgpr10
	s_and_saveexec_b64 s[6:7], vcc
	s_xor_b64 s[6:7], exec, s[6:7]
	s_cbranch_execnz .LBB57_3441
; %bb.1393:
	s_or_saveexec_b64 s[6:7], s[6:7]
	v_mov_b32_e32 v10, s10
	s_xor_b64 exec, exec, s[6:7]
	s_cbranch_execnz .LBB57_3444
.LBB57_1394:
	s_or_b64 exec, exec, s[6:7]
	s_and_saveexec_b64 s[6:7], s[4:5]
	s_cbranch_execz .LBB57_1396
.LBB57_1395:
	v_bfe_u32 v10, v17, 16, 3
	v_ffbh_u32_e32 v14, v10
	v_min_u32_e32 v14, 32, v14
	v_lshrrev_b32_e32 v11, 19, v17
	v_subrev_u32_e32 v15, 28, v14
	v_and_b32_e32 v11, 15, v11
	v_lshlrev_b32_sdwa v15, v15, v17 dst_sel:DWORD dst_unused:UNUSED_PAD src0_sel:DWORD src1_sel:WORD_1
	v_bfe_u32 v12, v17, 19, 4
	v_sub_u32_e32 v14, 29, v14
	v_and_b32_e32 v15, 7, v15
	v_cmp_eq_u16_e32 vcc, 0, v11
	v_cndmask_b32_e32 v10, v10, v15, vcc
	v_cndmask_b32_e32 v11, v12, v14, vcc
	v_lshlrev_b32_e32 v12, 8, v17
	v_mov_b32_e32 v14, 0x3b800000
	v_lshlrev_b32_e32 v10, 20, v10
	v_and_b32_e32 v12, 0x80000000, v12
	v_lshl_add_u32 v11, v11, 23, v14
	v_or3_b32 v10, v12, v11, v10
.LBB57_1396:
	s_or_b64 exec, exec, s[6:7]
	s_movk_i32 s4, 0xff
	v_and_b32_sdwa v11, v13, s4 dst_sel:DWORD dst_unused:UNUSED_PAD src0_sel:WORD_1 src1_sel:DWORD
	s_movk_i32 s4, 0x7f
	v_cmp_lt_i16_e32 vcc, s4, v11
	s_mov_b64 s[4:5], 0
                                        ; implicit-def: $sgpr10
	s_and_saveexec_b64 s[6:7], vcc
	s_xor_b64 s[6:7], exec, s[6:7]
	s_cbranch_execnz .LBB57_3445
; %bb.1397:
	s_or_saveexec_b64 s[6:7], s[6:7]
	v_mov_b32_e32 v12, s10
	s_xor_b64 exec, exec, s[6:7]
	s_cbranch_execnz .LBB57_3448
.LBB57_1398:
	s_or_b64 exec, exec, s[6:7]
	s_and_saveexec_b64 s[6:7], s[4:5]
	s_cbranch_execz .LBB57_1400
.LBB57_1399:
	v_bfe_u32 v11, v13, 16, 3
	v_ffbh_u32_e32 v15, v11
	v_min_u32_e32 v15, 32, v15
	v_lshrrev_b32_e32 v12, 19, v13
	v_subrev_u32_e32 v16, 28, v15
	v_and_b32_e32 v12, 15, v12
	v_lshlrev_b32_sdwa v16, v16, v13 dst_sel:DWORD dst_unused:UNUSED_PAD src0_sel:DWORD src1_sel:WORD_1
	v_bfe_u32 v14, v13, 19, 4
	v_sub_u32_e32 v15, 29, v15
	v_and_b32_e32 v16, 7, v16
	v_cmp_eq_u16_e32 vcc, 0, v12
	v_cndmask_b32_e32 v11, v11, v16, vcc
	v_cndmask_b32_e32 v12, v14, v15, vcc
	v_lshlrev_b32_e32 v14, 8, v13
	v_mov_b32_e32 v15, 0x3b800000
	v_lshlrev_b32_e32 v11, 20, v11
	v_and_b32_e32 v14, 0x80000000, v14
	v_lshl_add_u32 v12, v12, 23, v15
	v_or3_b32 v12, v14, v12, v11
.LBB57_1400:
	s_or_b64 exec, exec, s[6:7]
	s_nop 0
	v_mfma_f32_16x16x4f32 a[0:3], v10, v12, a[0:3]
	s_movk_i32 s4, 0x7f
	v_cmp_gt_i16_sdwa s[6:7], v17, s4 src0_sel:BYTE_3 src1_sel:DWORD
	s_mov_b64 s[4:5], 0
                                        ; implicit-def: $sgpr10
	s_and_saveexec_b64 s[8:9], s[6:7]
	s_xor_b64 s[6:7], exec, s[8:9]
	s_cbranch_execnz .LBB57_3449
; %bb.1401:
	s_or_saveexec_b64 s[6:7], s[6:7]
	v_mov_b32_e32 v10, s10
	s_xor_b64 exec, exec, s[6:7]
	s_cbranch_execnz .LBB57_3452
.LBB57_1402:
	s_or_b64 exec, exec, s[6:7]
	s_and_saveexec_b64 s[6:7], s[4:5]
	s_cbranch_execz .LBB57_1404
.LBB57_1403:
	v_bfe_u32 v10, v17, 24, 3
	v_ffbh_u32_e32 v15, v10
	v_min_u32_e32 v15, 32, v15
	v_lshrrev_b32_e32 v12, 27, v17
	v_subrev_u32_e32 v16, 28, v15
	v_and_b32_e32 v12, 15, v12
	v_lshlrev_b32_sdwa v16, v16, v17 dst_sel:DWORD dst_unused:UNUSED_PAD src0_sel:DWORD src1_sel:BYTE_3
	v_bfe_u32 v14, v17, 27, 4
	v_sub_u32_e32 v15, 29, v15
	v_and_b32_e32 v16, 7, v16
	v_cmp_eq_u16_e32 vcc, 0, v12
	v_cndmask_b32_e32 v10, v10, v16, vcc
	v_cndmask_b32_e32 v12, v14, v15, vcc
	v_mov_b32_e32 v14, 0x3b800000
	v_and_b32_e32 v11, 0x80000000, v17
	v_lshlrev_b32_e32 v10, 20, v10
	v_lshl_add_u32 v12, v12, 23, v14
	v_or3_b32 v10, v11, v12, v10
.LBB57_1404:
	s_or_b64 exec, exec, s[6:7]
	s_movk_i32 s4, 0x7f
	v_cmp_gt_i16_sdwa s[6:7], v13, s4 src0_sel:BYTE_3 src1_sel:DWORD
	s_mov_b64 s[4:5], 0
                                        ; implicit-def: $sgpr10
	s_and_saveexec_b64 s[8:9], s[6:7]
	s_xor_b64 s[6:7], exec, s[8:9]
	s_cbranch_execnz .LBB57_3453
; %bb.1405:
	s_or_saveexec_b64 s[6:7], s[6:7]
	v_mov_b32_e32 v11, s10
	s_xor_b64 exec, exec, s[6:7]
	s_cbranch_execnz .LBB57_3456
.LBB57_1406:
	s_or_b64 exec, exec, s[6:7]
	s_and_saveexec_b64 s[6:7], s[4:5]
	s_cbranch_execz .LBB57_1408
.LBB57_1407:
	v_bfe_u32 v11, v13, 24, 3
	v_ffbh_u32_e32 v16, v11
	v_min_u32_e32 v16, 32, v16
	v_lshrrev_b32_e32 v14, 27, v13
	v_subrev_u32_e32 v17, 28, v16
	v_and_b32_e32 v12, 0x80000000, v13
	v_and_b32_e32 v14, 15, v14
	v_bfe_u32 v15, v13, 27, 4
	v_lshlrev_b32_sdwa v13, v17, v13 dst_sel:DWORD dst_unused:UNUSED_PAD src0_sel:DWORD src1_sel:BYTE_3
	v_sub_u32_e32 v16, 29, v16
	v_and_b32_e32 v13, 7, v13
	v_cmp_eq_u16_e32 vcc, 0, v14
	v_cndmask_b32_e32 v11, v11, v13, vcc
	v_cndmask_b32_e32 v13, v15, v16, vcc
	v_mov_b32_e32 v14, 0x3b800000
	v_lshlrev_b32_e32 v11, 20, v11
	v_lshl_add_u32 v13, v13, 23, v14
	v_or3_b32 v11, v12, v13, v11
.LBB57_1408:
	s_or_b64 exec, exec, s[6:7]
	s_nop 0
	v_mfma_f32_16x16x4f32 a[0:3], v10, v11, a[0:3]
	s_movk_i32 s4, 0x7f
	v_cmp_gt_i16_sdwa s[6:7], v6, s4 src0_sel:BYTE_0 src1_sel:DWORD
	s_mov_b64 s[4:5], 0
                                        ; implicit-def: $sgpr10
	s_and_saveexec_b64 s[8:9], s[6:7]
	s_xor_b64 s[6:7], exec, s[8:9]
	s_cbranch_execnz .LBB57_3457
; %bb.1409:
	s_or_saveexec_b64 s[6:7], s[6:7]
	v_mov_b32_e32 v10, s10
	s_xor_b64 exec, exec, s[6:7]
	s_cbranch_execnz .LBB57_3460
.LBB57_1410:
	s_or_b64 exec, exec, s[6:7]
	s_and_saveexec_b64 s[6:7], s[4:5]
	s_cbranch_execz .LBB57_1412
.LBB57_1411:
	v_and_b32_e32 v10, 7, v6
	v_ffbh_u32_e32 v12, v10
	v_min_u32_e32 v12, 32, v12
	v_lshrrev_b16_e32 v11, 3, v6
	v_subrev_u32_e32 v13, 28, v12
	v_and_b32_e32 v11, 15, v11
	v_lshlrev_b32_e32 v13, v13, v6
	v_sub_u32_e32 v12, 29, v12
	v_and_b32_e32 v13, 7, v13
	v_cmp_eq_u16_e32 vcc, 0, v11
	v_cndmask_b32_e32 v10, v10, v13, vcc
	v_cndmask_b32_e32 v11, v11, v12, vcc
	v_lshlrev_b32_e32 v12, 24, v6
	v_mov_b32_e32 v13, 0x3b800000
	v_lshlrev_b32_e32 v10, 20, v10
	v_and_b32_e32 v12, 0x80000000, v12
	v_lshl_add_u32 v11, v11, 23, v13
	v_or3_b32 v10, v12, v11, v10
.LBB57_1412:
	s_or_b64 exec, exec, s[6:7]
	s_movk_i32 s4, 0x7f
	v_cmp_gt_i16_sdwa s[6:7], v2, s4 src0_sel:BYTE_0 src1_sel:DWORD
	s_mov_b64 s[4:5], 0
                                        ; implicit-def: $sgpr10
	s_and_saveexec_b64 s[8:9], s[6:7]
	s_xor_b64 s[6:7], exec, s[8:9]
	s_cbranch_execnz .LBB57_3461
; %bb.1413:
	s_or_saveexec_b64 s[6:7], s[6:7]
	v_mov_b32_e32 v11, s10
	s_xor_b64 exec, exec, s[6:7]
	s_cbranch_execnz .LBB57_3464
.LBB57_1414:
	s_or_b64 exec, exec, s[6:7]
	s_and_saveexec_b64 s[6:7], s[4:5]
	s_cbranch_execz .LBB57_1416
.LBB57_1415:
	v_and_b32_e32 v11, 7, v2
	v_ffbh_u32_e32 v13, v11
	v_min_u32_e32 v13, 32, v13
	v_lshrrev_b16_e32 v12, 3, v2
	v_subrev_u32_e32 v14, 28, v13
	v_and_b32_e32 v12, 15, v12
	v_lshlrev_b32_e32 v14, v14, v2
	v_sub_u32_e32 v13, 29, v13
	v_and_b32_e32 v14, 7, v14
	v_cmp_eq_u16_e32 vcc, 0, v12
	v_cndmask_b32_e32 v11, v11, v14, vcc
	v_cndmask_b32_e32 v12, v12, v13, vcc
	v_lshlrev_b32_e32 v13, 24, v2
	v_mov_b32_e32 v14, 0x3b800000
	v_lshlrev_b32_e32 v11, 20, v11
	v_and_b32_e32 v13, 0x80000000, v13
	v_lshl_add_u32 v12, v12, 23, v14
	v_or3_b32 v11, v13, v12, v11
.LBB57_1416:
	s_or_b64 exec, exec, s[6:7]
	s_nop 0
	v_mfma_f32_16x16x4f32 a[0:3], v10, v11, a[0:3]
	v_lshrrev_b32_e32 v11, 8, v6
	s_movk_i32 s4, 0x7f
	v_cmp_gt_i16_sdwa s[6:7], v11, s4 src0_sel:BYTE_0 src1_sel:DWORD
	s_mov_b64 s[4:5], 0
                                        ; implicit-def: $sgpr10
	s_and_saveexec_b64 s[8:9], s[6:7]
	s_xor_b64 s[6:7], exec, s[8:9]
	s_cbranch_execnz .LBB57_3465
; %bb.1417:
	s_or_saveexec_b64 s[6:7], s[6:7]
	v_mov_b32_e32 v10, s10
	s_xor_b64 exec, exec, s[6:7]
	s_cbranch_execnz .LBB57_3468
.LBB57_1418:
	s_or_b64 exec, exec, s[6:7]
	s_and_saveexec_b64 s[6:7], s[4:5]
	s_cbranch_execz .LBB57_1420
.LBB57_1419:
	v_bfe_u32 v10, v6, 8, 3
	v_ffbh_u32_e32 v13, v10
	v_min_u32_e32 v13, 32, v13
	v_lshrrev_b16_e32 v12, 3, v11
	v_subrev_u32_e32 v14, 28, v13
	v_and_b32_e32 v12, 15, v12
	v_lshlrev_b32_e32 v11, v14, v11
	v_sub_u32_e32 v13, 29, v13
	v_and_b32_e32 v11, 7, v11
	v_cmp_eq_u16_e32 vcc, 0, v12
	v_cndmask_b32_e32 v10, v10, v11, vcc
	v_cndmask_b32_e32 v11, v12, v13, vcc
	v_lshlrev_b32_e32 v12, 16, v6
	v_mov_b32_e32 v13, 0x3b800000
	v_lshlrev_b32_e32 v10, 20, v10
	v_and_b32_e32 v12, 0x80000000, v12
	v_lshl_add_u32 v11, v11, 23, v13
	v_or3_b32 v10, v12, v11, v10
.LBB57_1420:
	s_or_b64 exec, exec, s[6:7]
	v_lshrrev_b32_e32 v11, 8, v2
	s_movk_i32 s4, 0x7f
	v_cmp_gt_i16_sdwa s[6:7], v11, s4 src0_sel:BYTE_0 src1_sel:DWORD
	s_mov_b64 s[4:5], 0
                                        ; implicit-def: $sgpr10
	s_and_saveexec_b64 s[8:9], s[6:7]
	s_xor_b64 s[6:7], exec, s[8:9]
	s_cbranch_execnz .LBB57_3469
; %bb.1421:
	s_or_saveexec_b64 s[6:7], s[6:7]
	v_mov_b32_e32 v12, s10
	s_xor_b64 exec, exec, s[6:7]
	s_cbranch_execnz .LBB57_3472
.LBB57_1422:
	s_or_b64 exec, exec, s[6:7]
	s_and_saveexec_b64 s[6:7], s[4:5]
	s_cbranch_execz .LBB57_1424
.LBB57_1423:
	v_bfe_u32 v12, v2, 8, 3
	v_ffbh_u32_e32 v14, v12
	v_min_u32_e32 v14, 32, v14
	v_lshrrev_b16_e32 v13, 3, v11
	v_subrev_u32_e32 v15, 28, v14
	v_and_b32_e32 v13, 15, v13
	v_lshlrev_b32_e32 v11, v15, v11
	v_sub_u32_e32 v14, 29, v14
	v_and_b32_e32 v11, 7, v11
	v_cmp_eq_u16_e32 vcc, 0, v13
	v_cndmask_b32_e32 v11, v12, v11, vcc
	v_cndmask_b32_e32 v12, v13, v14, vcc
	v_lshlrev_b32_e32 v13, 16, v2
	v_mov_b32_e32 v14, 0x3b800000
	v_lshlrev_b32_e32 v11, 20, v11
	v_and_b32_e32 v13, 0x80000000, v13
	v_lshl_add_u32 v12, v12, 23, v14
	v_or3_b32 v12, v13, v12, v11
.LBB57_1424:
	s_or_b64 exec, exec, s[6:7]
	s_nop 0
	v_mfma_f32_16x16x4f32 a[0:3], v10, v12, a[0:3]
	s_movk_i32 s4, 0xff
	v_and_b32_sdwa v11, v6, s4 dst_sel:DWORD dst_unused:UNUSED_PAD src0_sel:WORD_1 src1_sel:DWORD
	s_movk_i32 s4, 0x7f
	v_cmp_lt_i16_e32 vcc, s4, v11
	s_mov_b64 s[4:5], 0
                                        ; implicit-def: $sgpr10
	s_and_saveexec_b64 s[6:7], vcc
	s_xor_b64 s[6:7], exec, s[6:7]
	s_cbranch_execnz .LBB57_3473
; %bb.1425:
	s_or_saveexec_b64 s[6:7], s[6:7]
	v_mov_b32_e32 v10, s10
	s_xor_b64 exec, exec, s[6:7]
	s_cbranch_execnz .LBB57_3476
.LBB57_1426:
	s_or_b64 exec, exec, s[6:7]
	s_and_saveexec_b64 s[6:7], s[4:5]
	s_cbranch_execz .LBB57_1428
.LBB57_1427:
	v_bfe_u32 v10, v6, 16, 3
	v_ffbh_u32_e32 v13, v10
	v_min_u32_e32 v13, 32, v13
	v_lshrrev_b32_e32 v11, 19, v6
	v_subrev_u32_e32 v14, 28, v13
	v_and_b32_e32 v11, 15, v11
	v_lshlrev_b32_sdwa v14, v14, v6 dst_sel:DWORD dst_unused:UNUSED_PAD src0_sel:DWORD src1_sel:WORD_1
	v_bfe_u32 v12, v6, 19, 4
	v_sub_u32_e32 v13, 29, v13
	v_and_b32_e32 v14, 7, v14
	v_cmp_eq_u16_e32 vcc, 0, v11
	v_cndmask_b32_e32 v10, v10, v14, vcc
	v_cndmask_b32_e32 v11, v12, v13, vcc
	v_lshlrev_b32_e32 v12, 8, v6
	v_mov_b32_e32 v13, 0x3b800000
	v_lshlrev_b32_e32 v10, 20, v10
	v_and_b32_e32 v12, 0x80000000, v12
	v_lshl_add_u32 v11, v11, 23, v13
	v_or3_b32 v10, v12, v11, v10
.LBB57_1428:
	s_or_b64 exec, exec, s[6:7]
	s_movk_i32 s4, 0xff
	v_and_b32_sdwa v11, v2, s4 dst_sel:DWORD dst_unused:UNUSED_PAD src0_sel:WORD_1 src1_sel:DWORD
	s_movk_i32 s4, 0x7f
	v_cmp_lt_i16_e32 vcc, s4, v11
	s_mov_b64 s[4:5], 0
                                        ; implicit-def: $sgpr10
	s_and_saveexec_b64 s[6:7], vcc
	s_xor_b64 s[6:7], exec, s[6:7]
	s_cbranch_execnz .LBB57_3477
; %bb.1429:
	s_or_saveexec_b64 s[6:7], s[6:7]
	v_mov_b32_e32 v12, s10
	s_xor_b64 exec, exec, s[6:7]
	s_cbranch_execnz .LBB57_3480
.LBB57_1430:
	s_or_b64 exec, exec, s[6:7]
	s_and_saveexec_b64 s[6:7], s[4:5]
	s_cbranch_execz .LBB57_1432
.LBB57_1431:
	v_bfe_u32 v11, v2, 16, 3
	v_ffbh_u32_e32 v14, v11
	v_min_u32_e32 v14, 32, v14
	v_lshrrev_b32_e32 v12, 19, v2
	v_subrev_u32_e32 v15, 28, v14
	v_and_b32_e32 v12, 15, v12
	v_lshlrev_b32_sdwa v15, v15, v2 dst_sel:DWORD dst_unused:UNUSED_PAD src0_sel:DWORD src1_sel:WORD_1
	v_bfe_u32 v13, v2, 19, 4
	v_sub_u32_e32 v14, 29, v14
	v_and_b32_e32 v15, 7, v15
	v_cmp_eq_u16_e32 vcc, 0, v12
	v_cndmask_b32_e32 v11, v11, v15, vcc
	v_cndmask_b32_e32 v12, v13, v14, vcc
	v_lshlrev_b32_e32 v13, 8, v2
	v_mov_b32_e32 v14, 0x3b800000
	v_lshlrev_b32_e32 v11, 20, v11
	v_and_b32_e32 v13, 0x80000000, v13
	v_lshl_add_u32 v12, v12, 23, v14
	v_or3_b32 v12, v13, v12, v11
.LBB57_1432:
	s_or_b64 exec, exec, s[6:7]
	s_nop 0
	v_mfma_f32_16x16x4f32 a[0:3], v10, v12, a[0:3]
	s_movk_i32 s4, 0x7f
	v_cmp_gt_i16_sdwa s[6:7], v6, s4 src0_sel:BYTE_3 src1_sel:DWORD
	s_mov_b64 s[4:5], 0
                                        ; implicit-def: $sgpr10
	s_and_saveexec_b64 s[8:9], s[6:7]
	s_xor_b64 s[6:7], exec, s[8:9]
	s_cbranch_execnz .LBB57_3481
; %bb.1433:
	s_or_saveexec_b64 s[6:7], s[6:7]
	v_mov_b32_e32 v10, s10
	s_xor_b64 exec, exec, s[6:7]
	s_cbranch_execnz .LBB57_3484
.LBB57_1434:
	s_or_b64 exec, exec, s[6:7]
	s_and_saveexec_b64 s[6:7], s[4:5]
	s_cbranch_execz .LBB57_1436
.LBB57_1435:
	v_bfe_u32 v10, v6, 24, 3
	v_ffbh_u32_e32 v14, v10
	v_min_u32_e32 v14, 32, v14
	v_lshrrev_b32_e32 v12, 27, v6
	v_subrev_u32_e32 v15, 28, v14
	v_and_b32_e32 v11, 0x80000000, v6
	v_and_b32_e32 v12, 15, v12
	v_bfe_u32 v13, v6, 27, 4
	v_lshlrev_b32_sdwa v6, v15, v6 dst_sel:DWORD dst_unused:UNUSED_PAD src0_sel:DWORD src1_sel:BYTE_3
	v_sub_u32_e32 v14, 29, v14
	v_and_b32_e32 v6, 7, v6
	v_cmp_eq_u16_e32 vcc, 0, v12
	v_cndmask_b32_e32 v6, v10, v6, vcc
	v_cndmask_b32_e32 v10, v13, v14, vcc
	v_mov_b32_e32 v12, 0x3b800000
	v_lshlrev_b32_e32 v6, 20, v6
	v_lshl_add_u32 v10, v10, 23, v12
	v_or3_b32 v10, v11, v10, v6
.LBB57_1436:
	s_or_b64 exec, exec, s[6:7]
	s_movk_i32 s4, 0x7f
	v_cmp_gt_i16_sdwa s[6:7], v2, s4 src0_sel:BYTE_3 src1_sel:DWORD
	s_mov_b64 s[4:5], 0
                                        ; implicit-def: $sgpr10
	s_and_saveexec_b64 s[8:9], s[6:7]
	s_xor_b64 s[6:7], exec, s[8:9]
	s_cbranch_execnz .LBB57_3485
; %bb.1437:
	s_or_saveexec_b64 s[6:7], s[6:7]
	v_mov_b32_e32 v6, s10
	s_xor_b64 exec, exec, s[6:7]
	s_cbranch_execnz .LBB57_3488
.LBB57_1438:
	s_or_b64 exec, exec, s[6:7]
	s_and_saveexec_b64 s[6:7], s[4:5]
	s_cbranch_execz .LBB57_1440
.LBB57_1439:
	v_bfe_u32 v6, v2, 24, 3
	v_ffbh_u32_e32 v14, v6
	v_min_u32_e32 v14, 32, v14
	v_lshrrev_b32_e32 v12, 27, v2
	v_subrev_u32_e32 v15, 28, v14
	v_and_b32_e32 v11, 0x80000000, v2
	v_and_b32_e32 v12, 15, v12
	v_bfe_u32 v13, v2, 27, 4
	v_lshlrev_b32_sdwa v2, v15, v2 dst_sel:DWORD dst_unused:UNUSED_PAD src0_sel:DWORD src1_sel:BYTE_3
	v_sub_u32_e32 v14, 29, v14
	v_and_b32_e32 v2, 7, v2
	v_cmp_eq_u16_e32 vcc, 0, v12
	v_cndmask_b32_e32 v2, v6, v2, vcc
	v_cndmask_b32_e32 v6, v13, v14, vcc
	v_mov_b32_e32 v12, 0x3b800000
	v_lshlrev_b32_e32 v2, 20, v2
	v_lshl_add_u32 v6, v6, 23, v12
	v_or3_b32 v6, v11, v6, v2
.LBB57_1440:
	s_or_b64 exec, exec, s[6:7]
	s_nop 0
	v_mfma_f32_16x16x4f32 a[0:3], v10, v6, a[0:3]
	s_movk_i32 s4, 0x7f
	v_cmp_gt_i16_sdwa s[6:7], v7, s4 src0_sel:BYTE_0 src1_sel:DWORD
	s_mov_b64 s[4:5], 0
                                        ; implicit-def: $sgpr10
	s_and_saveexec_b64 s[8:9], s[6:7]
	s_xor_b64 s[6:7], exec, s[8:9]
	s_cbranch_execnz .LBB57_3489
; %bb.1441:
	s_or_saveexec_b64 s[6:7], s[6:7]
	v_mov_b32_e32 v2, s10
	s_xor_b64 exec, exec, s[6:7]
	s_cbranch_execnz .LBB57_3492
.LBB57_1442:
	s_or_b64 exec, exec, s[6:7]
	s_and_saveexec_b64 s[6:7], s[4:5]
	s_cbranch_execz .LBB57_1444
.LBB57_1443:
	v_and_b32_e32 v2, 7, v7
	v_ffbh_u32_e32 v10, v2
	v_min_u32_e32 v10, 32, v10
	v_lshrrev_b16_e32 v6, 3, v7
	v_subrev_u32_e32 v11, 28, v10
	v_and_b32_e32 v6, 15, v6
	v_lshlrev_b32_e32 v11, v11, v7
	v_sub_u32_e32 v10, 29, v10
	v_and_b32_e32 v11, 7, v11
	v_cmp_eq_u16_e32 vcc, 0, v6
	v_cndmask_b32_e32 v2, v2, v11, vcc
	v_cndmask_b32_e32 v6, v6, v10, vcc
	v_lshlrev_b32_e32 v10, 24, v7
	v_mov_b32_e32 v11, 0x3b800000
	v_lshlrev_b32_e32 v2, 20, v2
	v_and_b32_e32 v10, 0x80000000, v10
	v_lshl_add_u32 v6, v6, 23, v11
	v_or3_b32 v2, v10, v6, v2
.LBB57_1444:
	s_or_b64 exec, exec, s[6:7]
	s_movk_i32 s4, 0x7f
	v_cmp_gt_i16_sdwa s[6:7], v3, s4 src0_sel:BYTE_0 src1_sel:DWORD
	s_mov_b64 s[4:5], 0
                                        ; implicit-def: $sgpr10
	s_and_saveexec_b64 s[8:9], s[6:7]
	s_xor_b64 s[6:7], exec, s[8:9]
	s_cbranch_execnz .LBB57_3493
; %bb.1445:
	s_or_saveexec_b64 s[6:7], s[6:7]
	v_mov_b32_e32 v6, s10
	s_xor_b64 exec, exec, s[6:7]
	s_cbranch_execnz .LBB57_3496
.LBB57_1446:
	s_or_b64 exec, exec, s[6:7]
	s_and_saveexec_b64 s[6:7], s[4:5]
	s_cbranch_execz .LBB57_1448
.LBB57_1447:
	v_and_b32_e32 v6, 7, v3
	v_ffbh_u32_e32 v11, v6
	v_min_u32_e32 v11, 32, v11
	v_lshrrev_b16_e32 v10, 3, v3
	v_subrev_u32_e32 v12, 28, v11
	v_and_b32_e32 v10, 15, v10
	v_lshlrev_b32_e32 v12, v12, v3
	v_sub_u32_e32 v11, 29, v11
	v_and_b32_e32 v12, 7, v12
	v_cmp_eq_u16_e32 vcc, 0, v10
	v_cndmask_b32_e32 v6, v6, v12, vcc
	v_cndmask_b32_e32 v10, v10, v11, vcc
	v_lshlrev_b32_e32 v11, 24, v3
	v_mov_b32_e32 v12, 0x3b800000
	v_lshlrev_b32_e32 v6, 20, v6
	v_and_b32_e32 v11, 0x80000000, v11
	v_lshl_add_u32 v10, v10, 23, v12
	v_or3_b32 v6, v11, v10, v6
.LBB57_1448:
	s_or_b64 exec, exec, s[6:7]
	s_nop 0
	v_mfma_f32_16x16x4f32 a[0:3], v2, v6, a[0:3]
	v_lshrrev_b32_e32 v6, 8, v7
	s_movk_i32 s4, 0x7f
	v_cmp_gt_i16_sdwa s[6:7], v6, s4 src0_sel:BYTE_0 src1_sel:DWORD
	s_mov_b64 s[4:5], 0
                                        ; implicit-def: $sgpr10
	s_and_saveexec_b64 s[8:9], s[6:7]
	s_xor_b64 s[6:7], exec, s[8:9]
	s_cbranch_execnz .LBB57_3497
; %bb.1449:
	s_or_saveexec_b64 s[6:7], s[6:7]
	v_mov_b32_e32 v2, s10
	s_xor_b64 exec, exec, s[6:7]
	s_cbranch_execnz .LBB57_3500
.LBB57_1450:
	s_or_b64 exec, exec, s[6:7]
	s_and_saveexec_b64 s[6:7], s[4:5]
	s_cbranch_execz .LBB57_1452
.LBB57_1451:
	v_bfe_u32 v2, v7, 8, 3
	v_ffbh_u32_e32 v11, v2
	v_min_u32_e32 v11, 32, v11
	v_lshrrev_b16_e32 v10, 3, v6
	v_subrev_u32_e32 v12, 28, v11
	v_and_b32_e32 v10, 15, v10
	v_lshlrev_b32_e32 v6, v12, v6
	v_sub_u32_e32 v11, 29, v11
	v_and_b32_e32 v6, 7, v6
	v_cmp_eq_u16_e32 vcc, 0, v10
	v_cndmask_b32_e32 v2, v2, v6, vcc
	v_cndmask_b32_e32 v6, v10, v11, vcc
	v_lshlrev_b32_e32 v10, 16, v7
	v_mov_b32_e32 v11, 0x3b800000
	v_lshlrev_b32_e32 v2, 20, v2
	v_and_b32_e32 v10, 0x80000000, v10
	v_lshl_add_u32 v6, v6, 23, v11
	v_or3_b32 v2, v10, v6, v2
.LBB57_1452:
	s_or_b64 exec, exec, s[6:7]
	v_lshrrev_b32_e32 v6, 8, v3
	s_movk_i32 s4, 0x7f
	v_cmp_gt_i16_sdwa s[6:7], v6, s4 src0_sel:BYTE_0 src1_sel:DWORD
	s_mov_b64 s[4:5], 0
                                        ; implicit-def: $sgpr10
	s_and_saveexec_b64 s[8:9], s[6:7]
	s_xor_b64 s[6:7], exec, s[8:9]
	s_cbranch_execnz .LBB57_3501
; %bb.1453:
	s_or_saveexec_b64 s[6:7], s[6:7]
	v_mov_b32_e32 v10, s10
	s_xor_b64 exec, exec, s[6:7]
	s_cbranch_execnz .LBB57_3504
.LBB57_1454:
	s_or_b64 exec, exec, s[6:7]
	s_and_saveexec_b64 s[6:7], s[4:5]
	s_cbranch_execz .LBB57_1456
.LBB57_1455:
	v_bfe_u32 v10, v3, 8, 3
	v_ffbh_u32_e32 v12, v10
	v_min_u32_e32 v12, 32, v12
	v_lshrrev_b16_e32 v11, 3, v6
	v_subrev_u32_e32 v13, 28, v12
	v_and_b32_e32 v11, 15, v11
	v_lshlrev_b32_e32 v6, v13, v6
	v_sub_u32_e32 v12, 29, v12
	v_and_b32_e32 v6, 7, v6
	v_cmp_eq_u16_e32 vcc, 0, v11
	v_cndmask_b32_e32 v6, v10, v6, vcc
	v_cndmask_b32_e32 v10, v11, v12, vcc
	v_lshlrev_b32_e32 v11, 16, v3
	v_mov_b32_e32 v12, 0x3b800000
	v_lshlrev_b32_e32 v6, 20, v6
	v_and_b32_e32 v11, 0x80000000, v11
	v_lshl_add_u32 v10, v10, 23, v12
	v_or3_b32 v10, v11, v10, v6
.LBB57_1456:
	s_or_b64 exec, exec, s[6:7]
	s_nop 0
	v_mfma_f32_16x16x4f32 a[0:3], v2, v10, a[0:3]
	s_movk_i32 s4, 0xff
	v_and_b32_sdwa v6, v7, s4 dst_sel:DWORD dst_unused:UNUSED_PAD src0_sel:WORD_1 src1_sel:DWORD
	s_movk_i32 s4, 0x7f
	v_cmp_lt_i16_e32 vcc, s4, v6
	s_mov_b64 s[4:5], 0
                                        ; implicit-def: $sgpr10
	s_and_saveexec_b64 s[6:7], vcc
	s_xor_b64 s[6:7], exec, s[6:7]
	s_cbranch_execnz .LBB57_3505
; %bb.1457:
	s_or_saveexec_b64 s[6:7], s[6:7]
	v_mov_b32_e32 v2, s10
	s_xor_b64 exec, exec, s[6:7]
	s_cbranch_execnz .LBB57_3508
.LBB57_1458:
	s_or_b64 exec, exec, s[6:7]
	s_and_saveexec_b64 s[6:7], s[4:5]
	s_cbranch_execz .LBB57_1460
.LBB57_1459:
	v_bfe_u32 v2, v7, 16, 3
	v_ffbh_u32_e32 v11, v2
	v_min_u32_e32 v11, 32, v11
	v_lshrrev_b32_e32 v6, 19, v7
	v_subrev_u32_e32 v12, 28, v11
	v_and_b32_e32 v6, 15, v6
	v_lshlrev_b32_sdwa v12, v12, v7 dst_sel:DWORD dst_unused:UNUSED_PAD src0_sel:DWORD src1_sel:WORD_1
	v_bfe_u32 v10, v7, 19, 4
	v_sub_u32_e32 v11, 29, v11
	v_and_b32_e32 v12, 7, v12
	v_cmp_eq_u16_e32 vcc, 0, v6
	v_cndmask_b32_e32 v2, v2, v12, vcc
	v_cndmask_b32_e32 v6, v10, v11, vcc
	v_lshlrev_b32_e32 v10, 8, v7
	v_mov_b32_e32 v11, 0x3b800000
	v_lshlrev_b32_e32 v2, 20, v2
	v_and_b32_e32 v10, 0x80000000, v10
	v_lshl_add_u32 v6, v6, 23, v11
	v_or3_b32 v2, v10, v6, v2
.LBB57_1460:
	s_or_b64 exec, exec, s[6:7]
	s_movk_i32 s4, 0xff
	v_and_b32_sdwa v6, v3, s4 dst_sel:DWORD dst_unused:UNUSED_PAD src0_sel:WORD_1 src1_sel:DWORD
	s_movk_i32 s4, 0x7f
	v_cmp_lt_i16_e32 vcc, s4, v6
	s_mov_b64 s[4:5], 0
                                        ; implicit-def: $sgpr10
	s_and_saveexec_b64 s[6:7], vcc
	s_xor_b64 s[6:7], exec, s[6:7]
	s_cbranch_execnz .LBB57_3509
; %bb.1461:
	s_or_saveexec_b64 s[6:7], s[6:7]
	v_mov_b32_e32 v10, s10
	s_xor_b64 exec, exec, s[6:7]
	s_cbranch_execnz .LBB57_3512
.LBB57_1462:
	s_or_b64 exec, exec, s[6:7]
	s_and_saveexec_b64 s[6:7], s[4:5]
	s_cbranch_execz .LBB57_1464
.LBB57_1463:
	v_bfe_u32 v6, v3, 16, 3
	v_ffbh_u32_e32 v12, v6
	v_min_u32_e32 v12, 32, v12
	v_lshrrev_b32_e32 v10, 19, v3
	v_subrev_u32_e32 v13, 28, v12
	v_and_b32_e32 v10, 15, v10
	v_lshlrev_b32_sdwa v13, v13, v3 dst_sel:DWORD dst_unused:UNUSED_PAD src0_sel:DWORD src1_sel:WORD_1
	v_bfe_u32 v11, v3, 19, 4
	v_sub_u32_e32 v12, 29, v12
	v_and_b32_e32 v13, 7, v13
	v_cmp_eq_u16_e32 vcc, 0, v10
	v_cndmask_b32_e32 v6, v6, v13, vcc
	v_cndmask_b32_e32 v10, v11, v12, vcc
	v_lshlrev_b32_e32 v11, 8, v3
	v_mov_b32_e32 v12, 0x3b800000
	v_lshlrev_b32_e32 v6, 20, v6
	v_and_b32_e32 v11, 0x80000000, v11
	v_lshl_add_u32 v10, v10, 23, v12
	v_or3_b32 v10, v11, v10, v6
.LBB57_1464:
	s_or_b64 exec, exec, s[6:7]
	s_nop 0
	v_mfma_f32_16x16x4f32 a[0:3], v2, v10, a[0:3]
	s_movk_i32 s4, 0x7f
	v_cmp_gt_i16_sdwa s[6:7], v7, s4 src0_sel:BYTE_3 src1_sel:DWORD
	s_mov_b64 s[4:5], 0
                                        ; implicit-def: $sgpr10
	s_and_saveexec_b64 s[8:9], s[6:7]
	s_xor_b64 s[6:7], exec, s[8:9]
	s_cbranch_execnz .LBB57_3513
; %bb.1465:
	s_or_saveexec_b64 s[6:7], s[6:7]
	v_mov_b32_e32 v2, s10
	s_xor_b64 exec, exec, s[6:7]
	s_cbranch_execnz .LBB57_3516
.LBB57_1466:
	s_or_b64 exec, exec, s[6:7]
	s_and_saveexec_b64 s[6:7], s[4:5]
	s_cbranch_execz .LBB57_1468
.LBB57_1467:
	v_bfe_u32 v2, v7, 24, 3
	v_ffbh_u32_e32 v12, v2
	v_min_u32_e32 v12, 32, v12
	v_lshrrev_b32_e32 v10, 27, v7
	v_subrev_u32_e32 v13, 28, v12
	v_and_b32_e32 v6, 0x80000000, v7
	v_and_b32_e32 v10, 15, v10
	v_bfe_u32 v11, v7, 27, 4
	v_lshlrev_b32_sdwa v7, v13, v7 dst_sel:DWORD dst_unused:UNUSED_PAD src0_sel:DWORD src1_sel:BYTE_3
	v_sub_u32_e32 v12, 29, v12
	v_and_b32_e32 v7, 7, v7
	v_cmp_eq_u16_e32 vcc, 0, v10
	v_cndmask_b32_e32 v2, v2, v7, vcc
	v_cndmask_b32_e32 v7, v11, v12, vcc
	v_mov_b32_e32 v10, 0x3b800000
	v_lshlrev_b32_e32 v2, 20, v2
	v_lshl_add_u32 v7, v7, 23, v10
	v_or3_b32 v2, v6, v7, v2
.LBB57_1468:
	s_or_b64 exec, exec, s[6:7]
	s_movk_i32 s4, 0x7f
	v_cmp_gt_i16_sdwa s[6:7], v3, s4 src0_sel:BYTE_3 src1_sel:DWORD
	s_mov_b64 s[4:5], 0
                                        ; implicit-def: $sgpr10
	s_and_saveexec_b64 s[8:9], s[6:7]
	s_xor_b64 s[6:7], exec, s[8:9]
	s_cbranch_execnz .LBB57_3517
; %bb.1469:
	s_or_saveexec_b64 s[6:7], s[6:7]
	v_mov_b32_e32 v6, s10
	s_xor_b64 exec, exec, s[6:7]
	s_cbranch_execnz .LBB57_3520
.LBB57_1470:
	s_or_b64 exec, exec, s[6:7]
	s_and_saveexec_b64 s[6:7], s[4:5]
	s_cbranch_execz .LBB57_1472
.LBB57_1471:
	v_bfe_u32 v6, v3, 24, 3
	v_ffbh_u32_e32 v12, v6
	v_min_u32_e32 v12, 32, v12
	v_lshrrev_b32_e32 v10, 27, v3
	v_subrev_u32_e32 v13, 28, v12
	v_and_b32_e32 v7, 0x80000000, v3
	v_and_b32_e32 v10, 15, v10
	v_bfe_u32 v11, v3, 27, 4
	v_lshlrev_b32_sdwa v3, v13, v3 dst_sel:DWORD dst_unused:UNUSED_PAD src0_sel:DWORD src1_sel:BYTE_3
	v_sub_u32_e32 v12, 29, v12
	v_and_b32_e32 v3, 7, v3
	v_cmp_eq_u16_e32 vcc, 0, v10
	v_cndmask_b32_e32 v3, v6, v3, vcc
	v_cndmask_b32_e32 v6, v11, v12, vcc
	v_mov_b32_e32 v10, 0x3b800000
	v_lshlrev_b32_e32 v3, 20, v3
	v_lshl_add_u32 v6, v6, 23, v10
	v_or3_b32 v6, v7, v6, v3
.LBB57_1472:
	s_or_b64 exec, exec, s[6:7]
	s_nop 0
	v_mfma_f32_16x16x4f32 a[0:3], v2, v6, a[0:3]
	s_movk_i32 s4, 0x7f
	v_cmp_gt_i16_sdwa s[6:7], v8, s4 src0_sel:BYTE_0 src1_sel:DWORD
	s_mov_b64 s[4:5], 0
                                        ; implicit-def: $sgpr10
	s_and_saveexec_b64 s[8:9], s[6:7]
	s_xor_b64 s[6:7], exec, s[8:9]
	s_cbranch_execnz .LBB57_3521
; %bb.1473:
	s_or_saveexec_b64 s[6:7], s[6:7]
	v_mov_b32_e32 v2, s10
	s_xor_b64 exec, exec, s[6:7]
	s_cbranch_execnz .LBB57_3524
.LBB57_1474:
	s_or_b64 exec, exec, s[6:7]
	s_and_saveexec_b64 s[6:7], s[4:5]
	s_cbranch_execz .LBB57_1476
.LBB57_1475:
	v_and_b32_e32 v2, 7, v8
	v_ffbh_u32_e32 v6, v2
	v_min_u32_e32 v6, 32, v6
	v_lshrrev_b16_e32 v3, 3, v8
	v_subrev_u32_e32 v7, 28, v6
	v_and_b32_e32 v3, 15, v3
	v_lshlrev_b32_e32 v7, v7, v8
	v_sub_u32_e32 v6, 29, v6
	v_and_b32_e32 v7, 7, v7
	v_cmp_eq_u16_e32 vcc, 0, v3
	v_cndmask_b32_e32 v2, v2, v7, vcc
	v_cndmask_b32_e32 v3, v3, v6, vcc
	v_lshlrev_b32_e32 v6, 24, v8
	v_mov_b32_e32 v7, 0x3b800000
	v_lshlrev_b32_e32 v2, 20, v2
	v_and_b32_e32 v6, 0x80000000, v6
	v_lshl_add_u32 v3, v3, 23, v7
	v_or3_b32 v2, v6, v3, v2
.LBB57_1476:
	s_or_b64 exec, exec, s[6:7]
	s_movk_i32 s4, 0x7f
	v_cmp_gt_i16_sdwa s[6:7], v4, s4 src0_sel:BYTE_0 src1_sel:DWORD
	s_mov_b64 s[4:5], 0
                                        ; implicit-def: $sgpr10
	s_and_saveexec_b64 s[8:9], s[6:7]
	s_xor_b64 s[6:7], exec, s[8:9]
	s_cbranch_execnz .LBB57_3525
; %bb.1477:
	s_or_saveexec_b64 s[6:7], s[6:7]
	v_mov_b32_e32 v3, s10
	s_xor_b64 exec, exec, s[6:7]
	s_cbranch_execnz .LBB57_3528
.LBB57_1478:
	s_or_b64 exec, exec, s[6:7]
	s_and_saveexec_b64 s[6:7], s[4:5]
	s_cbranch_execz .LBB57_1480
.LBB57_1479:
	v_and_b32_e32 v3, 7, v4
	v_ffbh_u32_e32 v7, v3
	v_min_u32_e32 v7, 32, v7
	v_lshrrev_b16_e32 v6, 3, v4
	v_subrev_u32_e32 v10, 28, v7
	v_and_b32_e32 v6, 15, v6
	v_lshlrev_b32_e32 v10, v10, v4
	v_sub_u32_e32 v7, 29, v7
	v_and_b32_e32 v10, 7, v10
	v_cmp_eq_u16_e32 vcc, 0, v6
	v_cndmask_b32_e32 v3, v3, v10, vcc
	v_cndmask_b32_e32 v6, v6, v7, vcc
	v_lshlrev_b32_e32 v7, 24, v4
	v_mov_b32_e32 v10, 0x3b800000
	v_lshlrev_b32_e32 v3, 20, v3
	v_and_b32_e32 v7, 0x80000000, v7
	v_lshl_add_u32 v6, v6, 23, v10
	v_or3_b32 v3, v7, v6, v3
.LBB57_1480:
	s_or_b64 exec, exec, s[6:7]
	s_nop 0
	v_mfma_f32_16x16x4f32 a[0:3], v2, v3, a[0:3]
	v_lshrrev_b32_e32 v3, 8, v8
	s_movk_i32 s4, 0x7f
	v_cmp_gt_i16_sdwa s[6:7], v3, s4 src0_sel:BYTE_0 src1_sel:DWORD
	s_mov_b64 s[4:5], 0
                                        ; implicit-def: $sgpr10
	s_and_saveexec_b64 s[8:9], s[6:7]
	s_xor_b64 s[6:7], exec, s[8:9]
	s_cbranch_execnz .LBB57_3529
; %bb.1481:
	s_or_saveexec_b64 s[6:7], s[6:7]
	v_mov_b32_e32 v2, s10
	s_xor_b64 exec, exec, s[6:7]
	s_cbranch_execnz .LBB57_3532
.LBB57_1482:
	s_or_b64 exec, exec, s[6:7]
	s_and_saveexec_b64 s[6:7], s[4:5]
	s_cbranch_execz .LBB57_1484
.LBB57_1483:
	v_bfe_u32 v2, v8, 8, 3
	v_ffbh_u32_e32 v7, v2
	v_min_u32_e32 v7, 32, v7
	v_lshrrev_b16_e32 v6, 3, v3
	v_subrev_u32_e32 v10, 28, v7
	v_and_b32_e32 v6, 15, v6
	v_lshlrev_b32_e32 v3, v10, v3
	v_sub_u32_e32 v7, 29, v7
	v_and_b32_e32 v3, 7, v3
	v_cmp_eq_u16_e32 vcc, 0, v6
	v_cndmask_b32_e32 v2, v2, v3, vcc
	v_cndmask_b32_e32 v3, v6, v7, vcc
	v_lshlrev_b32_e32 v6, 16, v8
	v_mov_b32_e32 v7, 0x3b800000
	v_lshlrev_b32_e32 v2, 20, v2
	v_and_b32_e32 v6, 0x80000000, v6
	v_lshl_add_u32 v3, v3, 23, v7
	v_or3_b32 v2, v6, v3, v2
.LBB57_1484:
	s_or_b64 exec, exec, s[6:7]
	v_lshrrev_b32_e32 v3, 8, v4
	s_movk_i32 s4, 0x7f
	v_cmp_gt_i16_sdwa s[6:7], v3, s4 src0_sel:BYTE_0 src1_sel:DWORD
	s_mov_b64 s[4:5], 0
                                        ; implicit-def: $sgpr10
	s_and_saveexec_b64 s[8:9], s[6:7]
	s_xor_b64 s[6:7], exec, s[8:9]
	s_cbranch_execnz .LBB57_3533
; %bb.1485:
	s_or_saveexec_b64 s[6:7], s[6:7]
	v_mov_b32_e32 v6, s10
	s_xor_b64 exec, exec, s[6:7]
	s_cbranch_execnz .LBB57_3536
.LBB57_1486:
	s_or_b64 exec, exec, s[6:7]
	s_and_saveexec_b64 s[6:7], s[4:5]
	s_cbranch_execz .LBB57_1488
.LBB57_1487:
	v_bfe_u32 v6, v4, 8, 3
	v_ffbh_u32_e32 v10, v6
	v_min_u32_e32 v10, 32, v10
	v_lshrrev_b16_e32 v7, 3, v3
	v_subrev_u32_e32 v11, 28, v10
	v_and_b32_e32 v7, 15, v7
	v_lshlrev_b32_e32 v3, v11, v3
	v_sub_u32_e32 v10, 29, v10
	v_and_b32_e32 v3, 7, v3
	v_cmp_eq_u16_e32 vcc, 0, v7
	v_cndmask_b32_e32 v3, v6, v3, vcc
	v_cndmask_b32_e32 v6, v7, v10, vcc
	v_lshlrev_b32_e32 v7, 16, v4
	v_mov_b32_e32 v10, 0x3b800000
	v_lshlrev_b32_e32 v3, 20, v3
	v_and_b32_e32 v7, 0x80000000, v7
	v_lshl_add_u32 v6, v6, 23, v10
	v_or3_b32 v6, v7, v6, v3
.LBB57_1488:
	s_or_b64 exec, exec, s[6:7]
	s_nop 0
	v_mfma_f32_16x16x4f32 a[0:3], v2, v6, a[0:3]
	s_movk_i32 s4, 0xff
	v_and_b32_sdwa v3, v8, s4 dst_sel:DWORD dst_unused:UNUSED_PAD src0_sel:WORD_1 src1_sel:DWORD
	s_movk_i32 s4, 0x7f
	v_cmp_lt_i16_e32 vcc, s4, v3
	s_mov_b64 s[4:5], 0
                                        ; implicit-def: $sgpr10
	s_and_saveexec_b64 s[6:7], vcc
	s_xor_b64 s[6:7], exec, s[6:7]
	s_cbranch_execnz .LBB57_3537
; %bb.1489:
	s_or_saveexec_b64 s[6:7], s[6:7]
	v_mov_b32_e32 v2, s10
	s_xor_b64 exec, exec, s[6:7]
	s_cbranch_execnz .LBB57_3540
.LBB57_1490:
	s_or_b64 exec, exec, s[6:7]
	s_and_saveexec_b64 s[6:7], s[4:5]
	s_cbranch_execz .LBB57_1492
.LBB57_1491:
	v_bfe_u32 v2, v8, 16, 3
	v_ffbh_u32_e32 v7, v2
	v_min_u32_e32 v7, 32, v7
	v_lshrrev_b32_e32 v3, 19, v8
	v_subrev_u32_e32 v10, 28, v7
	v_and_b32_e32 v3, 15, v3
	v_lshlrev_b32_sdwa v10, v10, v8 dst_sel:DWORD dst_unused:UNUSED_PAD src0_sel:DWORD src1_sel:WORD_1
	v_bfe_u32 v6, v8, 19, 4
	v_sub_u32_e32 v7, 29, v7
	v_and_b32_e32 v10, 7, v10
	v_cmp_eq_u16_e32 vcc, 0, v3
	v_cndmask_b32_e32 v2, v2, v10, vcc
	v_cndmask_b32_e32 v3, v6, v7, vcc
	v_lshlrev_b32_e32 v6, 8, v8
	v_mov_b32_e32 v7, 0x3b800000
	v_lshlrev_b32_e32 v2, 20, v2
	v_and_b32_e32 v6, 0x80000000, v6
	v_lshl_add_u32 v3, v3, 23, v7
	v_or3_b32 v2, v6, v3, v2
.LBB57_1492:
	s_or_b64 exec, exec, s[6:7]
	s_movk_i32 s4, 0xff
	v_and_b32_sdwa v3, v4, s4 dst_sel:DWORD dst_unused:UNUSED_PAD src0_sel:WORD_1 src1_sel:DWORD
	s_movk_i32 s4, 0x7f
	v_cmp_lt_i16_e32 vcc, s4, v3
	s_mov_b64 s[4:5], 0
                                        ; implicit-def: $sgpr10
	s_and_saveexec_b64 s[6:7], vcc
	s_xor_b64 s[6:7], exec, s[6:7]
	s_cbranch_execnz .LBB57_3541
; %bb.1493:
	s_or_saveexec_b64 s[6:7], s[6:7]
	v_mov_b32_e32 v6, s10
	s_xor_b64 exec, exec, s[6:7]
	s_cbranch_execnz .LBB57_3544
.LBB57_1494:
	s_or_b64 exec, exec, s[6:7]
	s_and_saveexec_b64 s[6:7], s[4:5]
	s_cbranch_execz .LBB57_1496
.LBB57_1495:
	v_bfe_u32 v3, v4, 16, 3
	v_ffbh_u32_e32 v10, v3
	v_min_u32_e32 v10, 32, v10
	v_lshrrev_b32_e32 v6, 19, v4
	v_subrev_u32_e32 v11, 28, v10
	v_and_b32_e32 v6, 15, v6
	v_lshlrev_b32_sdwa v11, v11, v4 dst_sel:DWORD dst_unused:UNUSED_PAD src0_sel:DWORD src1_sel:WORD_1
	v_bfe_u32 v7, v4, 19, 4
	v_sub_u32_e32 v10, 29, v10
	v_and_b32_e32 v11, 7, v11
	v_cmp_eq_u16_e32 vcc, 0, v6
	v_cndmask_b32_e32 v3, v3, v11, vcc
	v_cndmask_b32_e32 v6, v7, v10, vcc
	v_lshlrev_b32_e32 v7, 8, v4
	v_mov_b32_e32 v10, 0x3b800000
	v_lshlrev_b32_e32 v3, 20, v3
	v_and_b32_e32 v7, 0x80000000, v7
	v_lshl_add_u32 v6, v6, 23, v10
	v_or3_b32 v6, v7, v6, v3
.LBB57_1496:
	s_or_b64 exec, exec, s[6:7]
	s_nop 0
	v_mfma_f32_16x16x4f32 a[0:3], v2, v6, a[0:3]
	s_movk_i32 s4, 0x7f
	v_cmp_gt_i16_sdwa s[6:7], v8, s4 src0_sel:BYTE_3 src1_sel:DWORD
	s_mov_b64 s[4:5], 0
                                        ; implicit-def: $sgpr10
	s_and_saveexec_b64 s[8:9], s[6:7]
	s_xor_b64 s[6:7], exec, s[8:9]
	s_cbranch_execnz .LBB57_3545
; %bb.1497:
	s_or_saveexec_b64 s[6:7], s[6:7]
	v_mov_b32_e32 v2, s10
	s_xor_b64 exec, exec, s[6:7]
	s_cbranch_execnz .LBB57_3548
.LBB57_1498:
	s_or_b64 exec, exec, s[6:7]
	s_and_saveexec_b64 s[6:7], s[4:5]
	s_cbranch_execz .LBB57_1500
.LBB57_1499:
	v_bfe_u32 v2, v8, 24, 3
	v_ffbh_u32_e32 v10, v2
	v_min_u32_e32 v10, 32, v10
	v_lshrrev_b32_e32 v6, 27, v8
	v_subrev_u32_e32 v11, 28, v10
	v_and_b32_e32 v3, 0x80000000, v8
	v_and_b32_e32 v6, 15, v6
	v_bfe_u32 v7, v8, 27, 4
	v_lshlrev_b32_sdwa v8, v11, v8 dst_sel:DWORD dst_unused:UNUSED_PAD src0_sel:DWORD src1_sel:BYTE_3
	v_sub_u32_e32 v10, 29, v10
	v_and_b32_e32 v8, 7, v8
	v_cmp_eq_u16_e32 vcc, 0, v6
	v_cndmask_b32_e32 v2, v2, v8, vcc
	v_cndmask_b32_e32 v6, v7, v10, vcc
	v_mov_b32_e32 v7, 0x3b800000
	v_lshlrev_b32_e32 v2, 20, v2
	v_lshl_add_u32 v6, v6, 23, v7
	v_or3_b32 v2, v3, v6, v2
.LBB57_1500:
	s_or_b64 exec, exec, s[6:7]
	s_movk_i32 s4, 0x7f
	v_cmp_gt_i16_sdwa s[6:7], v4, s4 src0_sel:BYTE_3 src1_sel:DWORD
	s_mov_b64 s[4:5], 0
                                        ; implicit-def: $sgpr10
	s_and_saveexec_b64 s[8:9], s[6:7]
	s_xor_b64 s[6:7], exec, s[8:9]
	s_cbranch_execnz .LBB57_3549
; %bb.1501:
	s_or_saveexec_b64 s[6:7], s[6:7]
	v_mov_b32_e32 v3, s10
	s_xor_b64 exec, exec, s[6:7]
	s_cbranch_execnz .LBB57_3552
.LBB57_1502:
	s_or_b64 exec, exec, s[6:7]
	s_and_saveexec_b64 s[6:7], s[4:5]
	s_cbranch_execz .LBB57_1504
.LBB57_1503:
	v_bfe_u32 v3, v4, 24, 3
	v_ffbh_u32_e32 v10, v3
	v_min_u32_e32 v10, 32, v10
	v_lshrrev_b32_e32 v7, 27, v4
	v_subrev_u32_e32 v11, 28, v10
	v_and_b32_e32 v6, 0x80000000, v4
	v_and_b32_e32 v7, 15, v7
	v_bfe_u32 v8, v4, 27, 4
	v_lshlrev_b32_sdwa v4, v11, v4 dst_sel:DWORD dst_unused:UNUSED_PAD src0_sel:DWORD src1_sel:BYTE_3
	v_sub_u32_e32 v10, 29, v10
	v_and_b32_e32 v4, 7, v4
	v_cmp_eq_u16_e32 vcc, 0, v7
	v_cndmask_b32_e32 v3, v3, v4, vcc
	v_cndmask_b32_e32 v4, v8, v10, vcc
	v_mov_b32_e32 v7, 0x3b800000
	v_lshlrev_b32_e32 v3, 20, v3
	v_lshl_add_u32 v4, v4, 23, v7
	v_or3_b32 v3, v6, v4, v3
.LBB57_1504:
	s_or_b64 exec, exec, s[6:7]
	s_nop 0
	v_mfma_f32_16x16x4f32 a[0:3], v2, v3, a[0:3]
	s_movk_i32 s4, 0x7f
	v_cmp_gt_i16_sdwa s[6:7], v9, s4 src0_sel:BYTE_0 src1_sel:DWORD
	s_mov_b64 s[4:5], 0
                                        ; implicit-def: $sgpr10
	s_and_saveexec_b64 s[8:9], s[6:7]
	s_xor_b64 s[6:7], exec, s[8:9]
	s_cbranch_execnz .LBB57_3553
; %bb.1505:
	s_or_saveexec_b64 s[6:7], s[6:7]
	v_mov_b32_e32 v2, s10
	s_xor_b64 exec, exec, s[6:7]
	s_cbranch_execnz .LBB57_3556
.LBB57_1506:
	s_or_b64 exec, exec, s[6:7]
	s_and_saveexec_b64 s[6:7], s[4:5]
	s_cbranch_execz .LBB57_1508
.LBB57_1507:
	v_mov_b32_e32 v2, 8
	v_and_b32_e32 v3, 7, v9
	v_lshrrev_b32_sdwa v2, v2, v9 dst_sel:BYTE_1 dst_unused:UNUSED_PAD src0_sel:DWORD src1_sel:DWORD
	v_ffbh_u32_e32 v4, v3
	v_or_b32_sdwa v2, v9, v2 dst_sel:DWORD dst_unused:UNUSED_PAD src0_sel:BYTE_0 src1_sel:DWORD
	v_min_u32_e32 v4, 32, v4
	v_lshrrev_b16_e32 v2, 3, v2
	v_subrev_u32_e32 v6, 28, v4
	v_and_b32_e32 v2, 15, v2
	v_lshlrev_b32_e32 v6, v6, v9
	v_sub_u32_e32 v4, 29, v4
	v_and_b32_e32 v6, 7, v6
	v_cmp_eq_u16_e32 vcc, 0, v2
	v_cndmask_b32_e32 v3, v3, v6, vcc
	v_cndmask_b32_e32 v2, v2, v4, vcc
	v_lshlrev_b32_e32 v4, 24, v9
	v_mov_b32_e32 v6, 0x3b800000
	v_lshlrev_b32_e32 v3, 20, v3
	v_and_b32_e32 v4, 0x80000000, v4
	v_lshl_add_u32 v2, v2, 23, v6
	v_or3_b32 v2, v4, v2, v3
.LBB57_1508:
	s_or_b64 exec, exec, s[6:7]
	s_movk_i32 s4, 0x7f
	v_cmp_gt_i16_sdwa s[6:7], v5, s4 src0_sel:BYTE_0 src1_sel:DWORD
	s_mov_b64 s[4:5], 0
                                        ; implicit-def: $sgpr10
	s_and_saveexec_b64 s[8:9], s[6:7]
	s_xor_b64 s[6:7], exec, s[8:9]
	s_cbranch_execnz .LBB57_3557
; %bb.1509:
	s_or_saveexec_b64 s[6:7], s[6:7]
	v_mov_b32_e32 v3, s10
	s_xor_b64 exec, exec, s[6:7]
	s_cbranch_execnz .LBB57_3560
.LBB57_1510:
	s_or_b64 exec, exec, s[6:7]
	s_and_saveexec_b64 s[6:7], s[4:5]
	s_cbranch_execz .LBB57_1512
.LBB57_1511:
	v_mov_b32_e32 v3, 8
	v_and_b32_e32 v4, 7, v5
	v_lshrrev_b32_sdwa v3, v3, v5 dst_sel:BYTE_1 dst_unused:UNUSED_PAD src0_sel:DWORD src1_sel:DWORD
	v_ffbh_u32_e32 v6, v4
	v_or_b32_sdwa v3, v5, v3 dst_sel:DWORD dst_unused:UNUSED_PAD src0_sel:BYTE_0 src1_sel:DWORD
	v_min_u32_e32 v6, 32, v6
	v_lshrrev_b16_e32 v3, 3, v3
	v_subrev_u32_e32 v7, 28, v6
	v_and_b32_e32 v3, 15, v3
	v_lshlrev_b32_e32 v7, v7, v5
	v_sub_u32_e32 v6, 29, v6
	v_and_b32_e32 v7, 7, v7
	v_cmp_eq_u16_e32 vcc, 0, v3
	v_cndmask_b32_e32 v4, v4, v7, vcc
	v_cndmask_b32_e32 v3, v3, v6, vcc
	v_lshlrev_b32_e32 v6, 24, v5
	v_mov_b32_e32 v7, 0x3b800000
	v_lshlrev_b32_e32 v4, 20, v4
	v_and_b32_e32 v6, 0x80000000, v6
	v_lshl_add_u32 v3, v3, 23, v7
	v_or3_b32 v3, v6, v3, v4
.LBB57_1512:
	s_or_b64 exec, exec, s[6:7]
	s_nop 0
	v_mfma_f32_16x16x4f32 a[0:3], v2, v3, a[0:3]
	v_lshrrev_b32_e32 v3, 8, v9
	s_movk_i32 s4, 0x7f
	v_cmp_gt_i16_sdwa s[6:7], v3, s4 src0_sel:BYTE_0 src1_sel:DWORD
	s_mov_b64 s[4:5], 0
                                        ; implicit-def: $sgpr10
	s_and_saveexec_b64 s[8:9], s[6:7]
	s_xor_b64 s[6:7], exec, s[8:9]
	s_cbranch_execnz .LBB57_3561
; %bb.1513:
	s_or_saveexec_b64 s[6:7], s[6:7]
	v_mov_b32_e32 v2, s10
	s_xor_b64 exec, exec, s[6:7]
	s_cbranch_execnz .LBB57_3564
.LBB57_1514:
	s_or_b64 exec, exec, s[6:7]
	s_and_saveexec_b64 s[6:7], s[4:5]
	s_cbranch_execz .LBB57_1516
.LBB57_1515:
	v_bfe_u32 v2, v9, 8, 3
	v_ffbh_u32_e32 v6, v2
	v_min_u32_e32 v6, 32, v6
	v_lshrrev_b16_e32 v4, 3, v3
	v_subrev_u32_e32 v7, 28, v6
	v_and_b32_e32 v4, 15, v4
	v_lshlrev_b32_e32 v3, v7, v3
	v_sub_u32_e32 v6, 29, v6
	v_and_b32_e32 v3, 7, v3
	v_cmp_eq_u16_e32 vcc, 0, v4
	v_cndmask_b32_e32 v2, v2, v3, vcc
	v_cndmask_b32_e32 v3, v4, v6, vcc
	v_lshlrev_b32_e32 v4, 16, v9
	v_mov_b32_e32 v6, 0x3b800000
	v_lshlrev_b32_e32 v2, 20, v2
	v_and_b32_e32 v4, 0x80000000, v4
	v_lshl_add_u32 v3, v3, 23, v6
	v_or3_b32 v2, v4, v3, v2
.LBB57_1516:
	s_or_b64 exec, exec, s[6:7]
	v_lshrrev_b32_e32 v3, 8, v5
	s_movk_i32 s4, 0x7f
	v_cmp_gt_i16_sdwa s[6:7], v3, s4 src0_sel:BYTE_0 src1_sel:DWORD
	s_mov_b64 s[4:5], 0
                                        ; implicit-def: $sgpr10
	s_and_saveexec_b64 s[8:9], s[6:7]
	s_xor_b64 s[6:7], exec, s[8:9]
	s_cbranch_execnz .LBB57_3565
; %bb.1517:
	s_or_saveexec_b64 s[6:7], s[6:7]
	v_mov_b32_e32 v4, s10
	s_xor_b64 exec, exec, s[6:7]
	s_cbranch_execnz .LBB57_3568
.LBB57_1518:
	s_or_b64 exec, exec, s[6:7]
	s_and_saveexec_b64 s[6:7], s[4:5]
	s_cbranch_execz .LBB57_1520
.LBB57_1519:
	v_bfe_u32 v4, v5, 8, 3
	v_ffbh_u32_e32 v7, v4
	v_min_u32_e32 v7, 32, v7
	v_lshrrev_b16_e32 v6, 3, v3
	v_subrev_u32_e32 v8, 28, v7
	v_and_b32_e32 v6, 15, v6
	v_lshlrev_b32_e32 v3, v8, v3
	v_sub_u32_e32 v7, 29, v7
	v_and_b32_e32 v3, 7, v3
	v_cmp_eq_u16_e32 vcc, 0, v6
	v_cndmask_b32_e32 v3, v4, v3, vcc
	v_cndmask_b32_e32 v4, v6, v7, vcc
	v_lshlrev_b32_e32 v6, 16, v5
	v_mov_b32_e32 v7, 0x3b800000
	v_lshlrev_b32_e32 v3, 20, v3
	v_and_b32_e32 v6, 0x80000000, v6
	v_lshl_add_u32 v4, v4, 23, v7
	v_or3_b32 v4, v6, v4, v3
.LBB57_1520:
	s_or_b64 exec, exec, s[6:7]
	s_nop 0
	v_mfma_f32_16x16x4f32 a[0:3], v2, v4, a[0:3]
	s_movk_i32 s4, 0xff
	v_and_b32_sdwa v3, v9, s4 dst_sel:DWORD dst_unused:UNUSED_PAD src0_sel:WORD_1 src1_sel:DWORD
	s_movk_i32 s4, 0x7f
	v_cmp_lt_i16_e32 vcc, s4, v3
	s_mov_b64 s[4:5], 0
                                        ; implicit-def: $sgpr10
	s_and_saveexec_b64 s[6:7], vcc
	s_xor_b64 s[6:7], exec, s[6:7]
	s_cbranch_execnz .LBB57_3569
; %bb.1521:
	s_or_saveexec_b64 s[6:7], s[6:7]
	v_mov_b32_e32 v2, s10
	s_xor_b64 exec, exec, s[6:7]
	s_cbranch_execnz .LBB57_3572
.LBB57_1522:
	s_or_b64 exec, exec, s[6:7]
	s_and_saveexec_b64 s[6:7], s[4:5]
	s_cbranch_execz .LBB57_1524
.LBB57_1523:
	v_bfe_u32 v2, v9, 16, 3
	v_ffbh_u32_e32 v6, v2
	v_min_u32_e32 v6, 32, v6
	v_lshrrev_b32_e32 v3, 19, v9
	v_subrev_u32_e32 v7, 28, v6
	v_and_b32_e32 v3, 15, v3
	v_lshlrev_b32_sdwa v7, v7, v9 dst_sel:DWORD dst_unused:UNUSED_PAD src0_sel:DWORD src1_sel:WORD_1
	v_bfe_u32 v4, v9, 19, 4
	v_sub_u32_e32 v6, 29, v6
	v_and_b32_e32 v7, 7, v7
	v_cmp_eq_u16_e32 vcc, 0, v3
	v_cndmask_b32_e32 v2, v2, v7, vcc
	v_cndmask_b32_e32 v3, v4, v6, vcc
	v_lshlrev_b32_e32 v4, 8, v9
	v_mov_b32_e32 v6, 0x3b800000
	v_lshlrev_b32_e32 v2, 20, v2
	v_and_b32_e32 v4, 0x80000000, v4
	v_lshl_add_u32 v3, v3, 23, v6
	v_or3_b32 v2, v4, v3, v2
.LBB57_1524:
	s_or_b64 exec, exec, s[6:7]
	s_movk_i32 s4, 0xff
	v_and_b32_sdwa v3, v5, s4 dst_sel:DWORD dst_unused:UNUSED_PAD src0_sel:WORD_1 src1_sel:DWORD
	s_movk_i32 s4, 0x7f
	v_cmp_lt_i16_e32 vcc, s4, v3
	s_mov_b64 s[4:5], 0
                                        ; implicit-def: $sgpr10
	s_and_saveexec_b64 s[6:7], vcc
	s_xor_b64 s[6:7], exec, s[6:7]
	s_cbranch_execnz .LBB57_3573
; %bb.1525:
	s_or_saveexec_b64 s[6:7], s[6:7]
	v_mov_b32_e32 v4, s10
	s_xor_b64 exec, exec, s[6:7]
	s_cbranch_execnz .LBB57_3576
.LBB57_1526:
	s_or_b64 exec, exec, s[6:7]
	s_and_saveexec_b64 s[6:7], s[4:5]
	s_cbranch_execz .LBB57_1528
.LBB57_1527:
	v_bfe_u32 v3, v5, 16, 3
	v_ffbh_u32_e32 v7, v3
	v_min_u32_e32 v7, 32, v7
	v_lshrrev_b32_e32 v4, 19, v5
	v_subrev_u32_e32 v8, 28, v7
	v_and_b32_e32 v4, 15, v4
	v_lshlrev_b32_sdwa v8, v8, v5 dst_sel:DWORD dst_unused:UNUSED_PAD src0_sel:DWORD src1_sel:WORD_1
	v_bfe_u32 v6, v5, 19, 4
	v_sub_u32_e32 v7, 29, v7
	v_and_b32_e32 v8, 7, v8
	v_cmp_eq_u16_e32 vcc, 0, v4
	v_cndmask_b32_e32 v3, v3, v8, vcc
	v_cndmask_b32_e32 v4, v6, v7, vcc
	v_lshlrev_b32_e32 v6, 8, v5
	v_mov_b32_e32 v7, 0x3b800000
	v_lshlrev_b32_e32 v3, 20, v3
	v_and_b32_e32 v6, 0x80000000, v6
	v_lshl_add_u32 v4, v4, 23, v7
	v_or3_b32 v4, v6, v4, v3
.LBB57_1528:
	s_or_b64 exec, exec, s[6:7]
	s_nop 0
	v_mfma_f32_16x16x4f32 a[0:3], v2, v4, a[0:3]
	s_movk_i32 s4, 0x7f
	v_cmp_gt_i16_sdwa s[6:7], v9, s4 src0_sel:BYTE_3 src1_sel:DWORD
	s_mov_b64 s[4:5], 0
                                        ; implicit-def: $sgpr10
	s_and_saveexec_b64 s[8:9], s[6:7]
	s_xor_b64 s[6:7], exec, s[8:9]
	s_cbranch_execnz .LBB57_3577
; %bb.1529:
	s_or_saveexec_b64 s[6:7], s[6:7]
	v_mov_b32_e32 v2, s10
	s_xor_b64 exec, exec, s[6:7]
	s_cbranch_execnz .LBB57_3580
.LBB57_1530:
	s_or_b64 exec, exec, s[6:7]
	s_and_saveexec_b64 s[6:7], s[4:5]
	s_cbranch_execz .LBB57_1532
.LBB57_1531:
	v_bfe_u32 v2, v9, 24, 3
	v_ffbh_u32_e32 v7, v2
	v_min_u32_e32 v7, 32, v7
	v_lshrrev_b32_e32 v4, 27, v9
	v_subrev_u32_e32 v8, 28, v7
	v_and_b32_e32 v4, 15, v4
	v_lshlrev_b32_sdwa v8, v8, v9 dst_sel:DWORD dst_unused:UNUSED_PAD src0_sel:DWORD src1_sel:BYTE_3
	v_bfe_u32 v6, v9, 27, 4
	v_sub_u32_e32 v7, 29, v7
	v_and_b32_e32 v8, 7, v8
	v_cmp_eq_u16_e32 vcc, 0, v4
	v_cndmask_b32_e32 v2, v2, v8, vcc
	v_cndmask_b32_e32 v4, v6, v7, vcc
	v_mov_b32_e32 v6, 0x3b800000
	v_and_b32_e32 v3, 0x80000000, v9
	v_lshlrev_b32_e32 v2, 20, v2
	v_lshl_add_u32 v4, v4, 23, v6
	v_or3_b32 v2, v3, v4, v2
.LBB57_1532:
	s_or_b64 exec, exec, s[6:7]
	s_movk_i32 s4, 0x7f
	v_cmp_gt_i16_sdwa s[6:7], v5, s4 src0_sel:BYTE_3 src1_sel:DWORD
	s_mov_b64 s[4:5], 0
                                        ; implicit-def: $sgpr10
	s_and_saveexec_b64 s[8:9], s[6:7]
	s_xor_b64 s[6:7], exec, s[8:9]
	s_cbranch_execnz .LBB57_3581
; %bb.1533:
	s_or_saveexec_b64 s[6:7], s[6:7]
	v_mov_b32_e32 v3, s10
	s_xor_b64 exec, exec, s[6:7]
	s_cbranch_execnz .LBB57_3584
.LBB57_1534:
	s_or_b64 exec, exec, s[6:7]
	s_and_saveexec_b64 s[6:7], s[4:5]
	s_cbranch_execz .LBB57_1536
.LBB57_1535:
	v_bfe_u32 v3, v5, 24, 3
	v_ffbh_u32_e32 v8, v3
	v_min_u32_e32 v8, 32, v8
	v_lshrrev_b32_e32 v6, 27, v5
	v_subrev_u32_e32 v9, 28, v8
	v_and_b32_e32 v4, 0x80000000, v5
	v_and_b32_e32 v6, 15, v6
	v_bfe_u32 v7, v5, 27, 4
	v_lshlrev_b32_sdwa v5, v9, v5 dst_sel:DWORD dst_unused:UNUSED_PAD src0_sel:DWORD src1_sel:BYTE_3
	v_sub_u32_e32 v8, 29, v8
	v_and_b32_e32 v5, 7, v5
	v_cmp_eq_u16_e32 vcc, 0, v6
	v_cndmask_b32_e32 v3, v3, v5, vcc
	v_cndmask_b32_e32 v5, v7, v8, vcc
	v_mov_b32_e32 v6, 0x3b800000
	v_lshlrev_b32_e32 v3, 20, v3
	v_lshl_add_u32 v5, v5, 23, v6
	v_or3_b32 v3, v4, v5, v3
.LBB57_1536:
	s_or_b64 exec, exec, s[6:7]
	s_nop 0
	v_mfma_f32_16x16x4f32 a[0:3], v2, v3, a[0:3]
	s_movk_i32 s4, 0x7f
                                        ; implicit-def: $sgpr10
	s_nop 7
	s_nop 1
	flat_store_dwordx4 v[18:19], a[0:3] offset:720
	flat_load_dwordx4 v[20:23], v[0:1] offset:8
	s_nop 0
	flat_load_dwordx2 v[18:19], v[0:1] offset:24
	s_waitcnt vmcnt(0) lgkmcnt(0)
	flat_load_dwordx4 v[14:17], v[20:21] offset:32
	flat_load_dwordx4 v[6:9], v[20:21] offset:48
	;; [unrolled: 1-line block ×4, first 2 shown]
	s_waitcnt vmcnt(0) lgkmcnt(0)
	v_cmp_gt_i16_sdwa s[6:7], v14, s4 src0_sel:BYTE_0 src1_sel:DWORD
	s_mov_b64 s[4:5], 0
	s_and_saveexec_b64 s[8:9], s[6:7]
	s_xor_b64 s[6:7], exec, s[8:9]
	s_cbranch_execnz .LBB57_3585
; %bb.1537:
	s_or_saveexec_b64 s[6:7], s[6:7]
	v_mov_b32_e32 v20, s10
	s_xor_b64 exec, exec, s[6:7]
	s_cbranch_execnz .LBB57_3588
.LBB57_1538:
	s_or_b64 exec, exec, s[6:7]
	s_and_saveexec_b64 s[6:7], s[4:5]
	s_cbranch_execz .LBB57_1540
.LBB57_1539:
	v_and_b32_e32 v20, 7, v14
	v_ffbh_u32_e32 v22, v20
	v_min_u32_e32 v22, 32, v22
	v_lshrrev_b16_e32 v21, 3, v14
	v_subrev_u32_e32 v23, 28, v22
	v_and_b32_e32 v21, 15, v21
	v_lshlrev_b32_e32 v23, v23, v14
	v_sub_u32_e32 v22, 29, v22
	v_and_b32_e32 v23, 7, v23
	v_cmp_eq_u16_e32 vcc, 0, v21
	v_cndmask_b32_e32 v20, v20, v23, vcc
	v_cndmask_b32_e32 v21, v21, v22, vcc
	v_lshlrev_b32_e32 v22, 24, v14
	v_mov_b32_e32 v23, 0x3b800000
	v_lshlrev_b32_e32 v20, 20, v20
	v_and_b32_e32 v22, 0x80000000, v22
	v_lshl_add_u32 v21, v21, 23, v23
	v_or3_b32 v20, v22, v21, v20
.LBB57_1540:
	s_or_b64 exec, exec, s[6:7]
	s_movk_i32 s4, 0x7f
	v_cmp_gt_i16_sdwa s[6:7], v10, s4 src0_sel:BYTE_0 src1_sel:DWORD
	s_mov_b64 s[4:5], 0
                                        ; implicit-def: $sgpr10
	s_and_saveexec_b64 s[8:9], s[6:7]
	s_xor_b64 s[6:7], exec, s[8:9]
	s_cbranch_execnz .LBB57_3589
; %bb.1541:
	s_or_saveexec_b64 s[6:7], s[6:7]
	v_mov_b32_e32 v21, s10
	s_xor_b64 exec, exec, s[6:7]
	s_cbranch_execnz .LBB57_3592
.LBB57_1542:
	s_or_b64 exec, exec, s[6:7]
	s_and_saveexec_b64 s[6:7], s[4:5]
	s_cbranch_execz .LBB57_1544
.LBB57_1543:
	v_and_b32_e32 v21, 7, v10
	v_ffbh_u32_e32 v23, v21
	v_min_u32_e32 v23, 32, v23
	v_lshrrev_b16_e32 v22, 3, v10
	v_subrev_u32_e32 v24, 28, v23
	v_and_b32_e32 v22, 15, v22
	v_lshlrev_b32_e32 v24, v24, v10
	v_sub_u32_e32 v23, 29, v23
	v_and_b32_e32 v24, 7, v24
	v_cmp_eq_u16_e32 vcc, 0, v22
	v_cndmask_b32_e32 v21, v21, v24, vcc
	v_cndmask_b32_e32 v22, v22, v23, vcc
	v_lshlrev_b32_e32 v23, 24, v10
	v_mov_b32_e32 v24, 0x3b800000
	v_lshlrev_b32_e32 v21, 20, v21
	v_and_b32_e32 v23, 0x80000000, v23
	v_lshl_add_u32 v22, v22, 23, v24
	v_or3_b32 v21, v23, v22, v21
.LBB57_1544:
	s_or_b64 exec, exec, s[6:7]
	flat_load_dwordx4 a[0:3], v[18:19] offset:736
	s_movk_i32 s4, 0x7f
                                        ; implicit-def: $sgpr10
	s_waitcnt vmcnt(0) lgkmcnt(0)
	v_mfma_f32_16x16x4f32 a[0:3], v20, v21, a[0:3]
	v_lshrrev_b32_e32 v21, 8, v14
	v_cmp_gt_i16_sdwa s[6:7], v21, s4 src0_sel:BYTE_0 src1_sel:DWORD
	s_mov_b64 s[4:5], 0
	s_and_saveexec_b64 s[8:9], s[6:7]
	s_xor_b64 s[6:7], exec, s[8:9]
	s_cbranch_execnz .LBB57_3593
; %bb.1545:
	s_or_saveexec_b64 s[6:7], s[6:7]
	v_mov_b32_e32 v20, s10
	s_xor_b64 exec, exec, s[6:7]
	s_cbranch_execnz .LBB57_3596
.LBB57_1546:
	s_or_b64 exec, exec, s[6:7]
	s_and_saveexec_b64 s[6:7], s[4:5]
	s_cbranch_execz .LBB57_1548
.LBB57_1547:
	v_bfe_u32 v20, v14, 8, 3
	v_ffbh_u32_e32 v23, v20
	v_min_u32_e32 v23, 32, v23
	v_lshrrev_b16_e32 v22, 3, v21
	v_subrev_u32_e32 v24, 28, v23
	v_and_b32_e32 v22, 15, v22
	v_lshlrev_b32_e32 v21, v24, v21
	v_sub_u32_e32 v23, 29, v23
	v_and_b32_e32 v21, 7, v21
	v_cmp_eq_u16_e32 vcc, 0, v22
	v_cndmask_b32_e32 v20, v20, v21, vcc
	v_cndmask_b32_e32 v21, v22, v23, vcc
	v_lshlrev_b32_e32 v22, 16, v14
	v_mov_b32_e32 v23, 0x3b800000
	v_lshlrev_b32_e32 v20, 20, v20
	v_and_b32_e32 v22, 0x80000000, v22
	v_lshl_add_u32 v21, v21, 23, v23
	v_or3_b32 v20, v22, v21, v20
.LBB57_1548:
	s_or_b64 exec, exec, s[6:7]
	v_lshrrev_b32_e32 v21, 8, v10
	s_movk_i32 s4, 0x7f
	v_cmp_gt_i16_sdwa s[6:7], v21, s4 src0_sel:BYTE_0 src1_sel:DWORD
	s_mov_b64 s[4:5], 0
                                        ; implicit-def: $sgpr10
	s_and_saveexec_b64 s[8:9], s[6:7]
	s_xor_b64 s[6:7], exec, s[8:9]
	s_cbranch_execnz .LBB57_3597
; %bb.1549:
	s_or_saveexec_b64 s[6:7], s[6:7]
	v_mov_b32_e32 v22, s10
	s_xor_b64 exec, exec, s[6:7]
	s_cbranch_execnz .LBB57_3600
.LBB57_1550:
	s_or_b64 exec, exec, s[6:7]
	s_and_saveexec_b64 s[6:7], s[4:5]
	s_cbranch_execz .LBB57_1552
.LBB57_1551:
	v_bfe_u32 v22, v10, 8, 3
	v_ffbh_u32_e32 v24, v22
	v_min_u32_e32 v24, 32, v24
	v_lshrrev_b16_e32 v23, 3, v21
	v_subrev_u32_e32 v25, 28, v24
	v_and_b32_e32 v23, 15, v23
	v_lshlrev_b32_e32 v21, v25, v21
	v_sub_u32_e32 v24, 29, v24
	v_and_b32_e32 v21, 7, v21
	v_cmp_eq_u16_e32 vcc, 0, v23
	v_cndmask_b32_e32 v21, v22, v21, vcc
	v_cndmask_b32_e32 v22, v23, v24, vcc
	v_lshlrev_b32_e32 v23, 16, v10
	v_mov_b32_e32 v24, 0x3b800000
	v_lshlrev_b32_e32 v21, 20, v21
	v_and_b32_e32 v23, 0x80000000, v23
	v_lshl_add_u32 v22, v22, 23, v24
	v_or3_b32 v22, v23, v22, v21
.LBB57_1552:
	s_or_b64 exec, exec, s[6:7]
	s_nop 0
	v_mfma_f32_16x16x4f32 a[0:3], v20, v22, a[0:3]
	s_movk_i32 s4, 0xff
	v_and_b32_sdwa v21, v14, s4 dst_sel:DWORD dst_unused:UNUSED_PAD src0_sel:WORD_1 src1_sel:DWORD
	s_movk_i32 s4, 0x7f
	v_cmp_lt_i16_e32 vcc, s4, v21
	s_mov_b64 s[4:5], 0
                                        ; implicit-def: $sgpr10
	s_and_saveexec_b64 s[6:7], vcc
	s_xor_b64 s[6:7], exec, s[6:7]
	s_cbranch_execnz .LBB57_3601
; %bb.1553:
	s_or_saveexec_b64 s[6:7], s[6:7]
	v_mov_b32_e32 v20, s10
	s_xor_b64 exec, exec, s[6:7]
	s_cbranch_execnz .LBB57_3604
.LBB57_1554:
	s_or_b64 exec, exec, s[6:7]
	s_and_saveexec_b64 s[6:7], s[4:5]
	s_cbranch_execz .LBB57_1556
.LBB57_1555:
	v_bfe_u32 v20, v14, 16, 3
	v_ffbh_u32_e32 v23, v20
	v_min_u32_e32 v23, 32, v23
	v_lshrrev_b32_e32 v21, 19, v14
	v_subrev_u32_e32 v24, 28, v23
	v_and_b32_e32 v21, 15, v21
	v_lshlrev_b32_sdwa v24, v24, v14 dst_sel:DWORD dst_unused:UNUSED_PAD src0_sel:DWORD src1_sel:WORD_1
	v_bfe_u32 v22, v14, 19, 4
	v_sub_u32_e32 v23, 29, v23
	v_and_b32_e32 v24, 7, v24
	v_cmp_eq_u16_e32 vcc, 0, v21
	v_cndmask_b32_e32 v20, v20, v24, vcc
	v_cndmask_b32_e32 v21, v22, v23, vcc
	v_lshlrev_b32_e32 v22, 8, v14
	v_mov_b32_e32 v23, 0x3b800000
	v_lshlrev_b32_e32 v20, 20, v20
	v_and_b32_e32 v22, 0x80000000, v22
	v_lshl_add_u32 v21, v21, 23, v23
	v_or3_b32 v20, v22, v21, v20
.LBB57_1556:
	s_or_b64 exec, exec, s[6:7]
	s_movk_i32 s4, 0xff
	v_and_b32_sdwa v21, v10, s4 dst_sel:DWORD dst_unused:UNUSED_PAD src0_sel:WORD_1 src1_sel:DWORD
	s_movk_i32 s4, 0x7f
	v_cmp_lt_i16_e32 vcc, s4, v21
	s_mov_b64 s[4:5], 0
                                        ; implicit-def: $sgpr10
	s_and_saveexec_b64 s[6:7], vcc
	s_xor_b64 s[6:7], exec, s[6:7]
	s_cbranch_execnz .LBB57_3605
; %bb.1557:
	s_or_saveexec_b64 s[6:7], s[6:7]
	v_mov_b32_e32 v22, s10
	s_xor_b64 exec, exec, s[6:7]
	s_cbranch_execnz .LBB57_3608
.LBB57_1558:
	s_or_b64 exec, exec, s[6:7]
	s_and_saveexec_b64 s[6:7], s[4:5]
	s_cbranch_execz .LBB57_1560
.LBB57_1559:
	v_bfe_u32 v21, v10, 16, 3
	v_ffbh_u32_e32 v24, v21
	v_min_u32_e32 v24, 32, v24
	v_lshrrev_b32_e32 v22, 19, v10
	v_subrev_u32_e32 v25, 28, v24
	v_and_b32_e32 v22, 15, v22
	v_lshlrev_b32_sdwa v25, v25, v10 dst_sel:DWORD dst_unused:UNUSED_PAD src0_sel:DWORD src1_sel:WORD_1
	v_bfe_u32 v23, v10, 19, 4
	v_sub_u32_e32 v24, 29, v24
	v_and_b32_e32 v25, 7, v25
	v_cmp_eq_u16_e32 vcc, 0, v22
	v_cndmask_b32_e32 v21, v21, v25, vcc
	v_cndmask_b32_e32 v22, v23, v24, vcc
	v_lshlrev_b32_e32 v23, 8, v10
	v_mov_b32_e32 v24, 0x3b800000
	v_lshlrev_b32_e32 v21, 20, v21
	v_and_b32_e32 v23, 0x80000000, v23
	v_lshl_add_u32 v22, v22, 23, v24
	v_or3_b32 v22, v23, v22, v21
.LBB57_1560:
	s_or_b64 exec, exec, s[6:7]
	s_nop 0
	v_mfma_f32_16x16x4f32 a[0:3], v20, v22, a[0:3]
	s_movk_i32 s4, 0x7f
	v_cmp_gt_i16_sdwa s[6:7], v14, s4 src0_sel:BYTE_3 src1_sel:DWORD
	s_mov_b64 s[4:5], 0
                                        ; implicit-def: $sgpr10
	s_and_saveexec_b64 s[8:9], s[6:7]
	s_xor_b64 s[6:7], exec, s[8:9]
	s_cbranch_execnz .LBB57_3609
; %bb.1561:
	s_or_saveexec_b64 s[6:7], s[6:7]
	v_mov_b32_e32 v20, s10
	s_xor_b64 exec, exec, s[6:7]
	s_cbranch_execnz .LBB57_3612
.LBB57_1562:
	s_or_b64 exec, exec, s[6:7]
	s_and_saveexec_b64 s[6:7], s[4:5]
	s_cbranch_execz .LBB57_1564
.LBB57_1563:
	v_bfe_u32 v20, v14, 24, 3
	v_ffbh_u32_e32 v24, v20
	v_min_u32_e32 v24, 32, v24
	v_lshrrev_b32_e32 v22, 27, v14
	v_subrev_u32_e32 v25, 28, v24
	v_and_b32_e32 v21, 0x80000000, v14
	v_and_b32_e32 v22, 15, v22
	v_bfe_u32 v23, v14, 27, 4
	v_lshlrev_b32_sdwa v14, v25, v14 dst_sel:DWORD dst_unused:UNUSED_PAD src0_sel:DWORD src1_sel:BYTE_3
	v_sub_u32_e32 v24, 29, v24
	v_and_b32_e32 v14, 7, v14
	v_cmp_eq_u16_e32 vcc, 0, v22
	v_cndmask_b32_e32 v14, v20, v14, vcc
	v_cndmask_b32_e32 v20, v23, v24, vcc
	v_mov_b32_e32 v22, 0x3b800000
	v_lshlrev_b32_e32 v14, 20, v14
	v_lshl_add_u32 v20, v20, 23, v22
	v_or3_b32 v20, v21, v20, v14
.LBB57_1564:
	s_or_b64 exec, exec, s[6:7]
	s_movk_i32 s4, 0x7f
	v_cmp_gt_i16_sdwa s[6:7], v10, s4 src0_sel:BYTE_3 src1_sel:DWORD
	s_mov_b64 s[4:5], 0
                                        ; implicit-def: $sgpr10
	s_and_saveexec_b64 s[8:9], s[6:7]
	s_xor_b64 s[6:7], exec, s[8:9]
	s_cbranch_execnz .LBB57_3613
; %bb.1565:
	s_or_saveexec_b64 s[6:7], s[6:7]
	v_mov_b32_e32 v14, s10
	s_xor_b64 exec, exec, s[6:7]
	s_cbranch_execnz .LBB57_3616
.LBB57_1566:
	s_or_b64 exec, exec, s[6:7]
	s_and_saveexec_b64 s[6:7], s[4:5]
	s_cbranch_execz .LBB57_1568
.LBB57_1567:
	v_bfe_u32 v14, v10, 24, 3
	v_ffbh_u32_e32 v24, v14
	v_min_u32_e32 v24, 32, v24
	v_lshrrev_b32_e32 v22, 27, v10
	v_subrev_u32_e32 v25, 28, v24
	v_and_b32_e32 v21, 0x80000000, v10
	v_and_b32_e32 v22, 15, v22
	v_bfe_u32 v23, v10, 27, 4
	v_lshlrev_b32_sdwa v10, v25, v10 dst_sel:DWORD dst_unused:UNUSED_PAD src0_sel:DWORD src1_sel:BYTE_3
	v_sub_u32_e32 v24, 29, v24
	v_and_b32_e32 v10, 7, v10
	v_cmp_eq_u16_e32 vcc, 0, v22
	v_cndmask_b32_e32 v10, v14, v10, vcc
	v_cndmask_b32_e32 v14, v23, v24, vcc
	v_mov_b32_e32 v22, 0x3b800000
	v_lshlrev_b32_e32 v10, 20, v10
	v_lshl_add_u32 v14, v14, 23, v22
	v_or3_b32 v14, v21, v14, v10
.LBB57_1568:
	s_or_b64 exec, exec, s[6:7]
	s_nop 0
	v_mfma_f32_16x16x4f32 a[0:3], v20, v14, a[0:3]
	s_movk_i32 s4, 0x7f
	v_cmp_gt_i16_sdwa s[6:7], v15, s4 src0_sel:BYTE_0 src1_sel:DWORD
	s_mov_b64 s[4:5], 0
                                        ; implicit-def: $sgpr10
	s_and_saveexec_b64 s[8:9], s[6:7]
	s_xor_b64 s[6:7], exec, s[8:9]
	s_cbranch_execnz .LBB57_3617
; %bb.1569:
	s_or_saveexec_b64 s[6:7], s[6:7]
	v_mov_b32_e32 v10, s10
	s_xor_b64 exec, exec, s[6:7]
	s_cbranch_execnz .LBB57_3620
.LBB57_1570:
	s_or_b64 exec, exec, s[6:7]
	s_and_saveexec_b64 s[6:7], s[4:5]
	s_cbranch_execz .LBB57_1572
.LBB57_1571:
	v_and_b32_e32 v10, 7, v15
	v_ffbh_u32_e32 v20, v10
	v_min_u32_e32 v20, 32, v20
	v_lshrrev_b16_e32 v14, 3, v15
	v_subrev_u32_e32 v21, 28, v20
	v_and_b32_e32 v14, 15, v14
	v_lshlrev_b32_e32 v21, v21, v15
	v_sub_u32_e32 v20, 29, v20
	v_and_b32_e32 v21, 7, v21
	v_cmp_eq_u16_e32 vcc, 0, v14
	v_cndmask_b32_e32 v10, v10, v21, vcc
	v_cndmask_b32_e32 v14, v14, v20, vcc
	v_lshlrev_b32_e32 v20, 24, v15
	v_mov_b32_e32 v21, 0x3b800000
	v_lshlrev_b32_e32 v10, 20, v10
	v_and_b32_e32 v20, 0x80000000, v20
	v_lshl_add_u32 v14, v14, 23, v21
	v_or3_b32 v10, v20, v14, v10
.LBB57_1572:
	s_or_b64 exec, exec, s[6:7]
	s_movk_i32 s4, 0x7f
	v_cmp_gt_i16_sdwa s[6:7], v11, s4 src0_sel:BYTE_0 src1_sel:DWORD
	s_mov_b64 s[4:5], 0
                                        ; implicit-def: $sgpr10
	s_and_saveexec_b64 s[8:9], s[6:7]
	s_xor_b64 s[6:7], exec, s[8:9]
	s_cbranch_execnz .LBB57_3621
; %bb.1573:
	s_or_saveexec_b64 s[6:7], s[6:7]
	v_mov_b32_e32 v14, s10
	s_xor_b64 exec, exec, s[6:7]
	s_cbranch_execnz .LBB57_3624
.LBB57_1574:
	s_or_b64 exec, exec, s[6:7]
	s_and_saveexec_b64 s[6:7], s[4:5]
	s_cbranch_execz .LBB57_1576
.LBB57_1575:
	v_and_b32_e32 v14, 7, v11
	v_ffbh_u32_e32 v21, v14
	v_min_u32_e32 v21, 32, v21
	v_lshrrev_b16_e32 v20, 3, v11
	v_subrev_u32_e32 v22, 28, v21
	v_and_b32_e32 v20, 15, v20
	v_lshlrev_b32_e32 v22, v22, v11
	v_sub_u32_e32 v21, 29, v21
	v_and_b32_e32 v22, 7, v22
	v_cmp_eq_u16_e32 vcc, 0, v20
	v_cndmask_b32_e32 v14, v14, v22, vcc
	v_cndmask_b32_e32 v20, v20, v21, vcc
	v_lshlrev_b32_e32 v21, 24, v11
	v_mov_b32_e32 v22, 0x3b800000
	v_lshlrev_b32_e32 v14, 20, v14
	v_and_b32_e32 v21, 0x80000000, v21
	v_lshl_add_u32 v20, v20, 23, v22
	v_or3_b32 v14, v21, v20, v14
.LBB57_1576:
	s_or_b64 exec, exec, s[6:7]
	s_nop 0
	v_mfma_f32_16x16x4f32 a[0:3], v10, v14, a[0:3]
	v_lshrrev_b32_e32 v14, 8, v15
	s_movk_i32 s4, 0x7f
	v_cmp_gt_i16_sdwa s[6:7], v14, s4 src0_sel:BYTE_0 src1_sel:DWORD
	s_mov_b64 s[4:5], 0
                                        ; implicit-def: $sgpr10
	s_and_saveexec_b64 s[8:9], s[6:7]
	s_xor_b64 s[6:7], exec, s[8:9]
	s_cbranch_execnz .LBB57_3625
; %bb.1577:
	s_or_saveexec_b64 s[6:7], s[6:7]
	v_mov_b32_e32 v10, s10
	s_xor_b64 exec, exec, s[6:7]
	s_cbranch_execnz .LBB57_3628
.LBB57_1578:
	s_or_b64 exec, exec, s[6:7]
	s_and_saveexec_b64 s[6:7], s[4:5]
	s_cbranch_execz .LBB57_1580
.LBB57_1579:
	v_bfe_u32 v10, v15, 8, 3
	v_ffbh_u32_e32 v21, v10
	v_min_u32_e32 v21, 32, v21
	v_lshrrev_b16_e32 v20, 3, v14
	v_subrev_u32_e32 v22, 28, v21
	v_and_b32_e32 v20, 15, v20
	v_lshlrev_b32_e32 v14, v22, v14
	v_sub_u32_e32 v21, 29, v21
	v_and_b32_e32 v14, 7, v14
	v_cmp_eq_u16_e32 vcc, 0, v20
	v_cndmask_b32_e32 v10, v10, v14, vcc
	v_cndmask_b32_e32 v14, v20, v21, vcc
	v_lshlrev_b32_e32 v20, 16, v15
	v_mov_b32_e32 v21, 0x3b800000
	v_lshlrev_b32_e32 v10, 20, v10
	v_and_b32_e32 v20, 0x80000000, v20
	v_lshl_add_u32 v14, v14, 23, v21
	v_or3_b32 v10, v20, v14, v10
.LBB57_1580:
	s_or_b64 exec, exec, s[6:7]
	v_lshrrev_b32_e32 v14, 8, v11
	s_movk_i32 s4, 0x7f
	v_cmp_gt_i16_sdwa s[6:7], v14, s4 src0_sel:BYTE_0 src1_sel:DWORD
	s_mov_b64 s[4:5], 0
                                        ; implicit-def: $sgpr10
	s_and_saveexec_b64 s[8:9], s[6:7]
	s_xor_b64 s[6:7], exec, s[8:9]
	s_cbranch_execnz .LBB57_3629
; %bb.1581:
	s_or_saveexec_b64 s[6:7], s[6:7]
	v_mov_b32_e32 v20, s10
	s_xor_b64 exec, exec, s[6:7]
	s_cbranch_execnz .LBB57_3632
.LBB57_1582:
	s_or_b64 exec, exec, s[6:7]
	s_and_saveexec_b64 s[6:7], s[4:5]
	s_cbranch_execz .LBB57_1584
.LBB57_1583:
	v_bfe_u32 v20, v11, 8, 3
	v_ffbh_u32_e32 v22, v20
	v_min_u32_e32 v22, 32, v22
	v_lshrrev_b16_e32 v21, 3, v14
	v_subrev_u32_e32 v23, 28, v22
	v_and_b32_e32 v21, 15, v21
	v_lshlrev_b32_e32 v14, v23, v14
	v_sub_u32_e32 v22, 29, v22
	v_and_b32_e32 v14, 7, v14
	v_cmp_eq_u16_e32 vcc, 0, v21
	v_cndmask_b32_e32 v14, v20, v14, vcc
	v_cndmask_b32_e32 v20, v21, v22, vcc
	v_lshlrev_b32_e32 v21, 16, v11
	v_mov_b32_e32 v22, 0x3b800000
	v_lshlrev_b32_e32 v14, 20, v14
	v_and_b32_e32 v21, 0x80000000, v21
	v_lshl_add_u32 v20, v20, 23, v22
	v_or3_b32 v20, v21, v20, v14
.LBB57_1584:
	s_or_b64 exec, exec, s[6:7]
	s_nop 0
	v_mfma_f32_16x16x4f32 a[0:3], v10, v20, a[0:3]
	s_movk_i32 s4, 0xff
	v_and_b32_sdwa v14, v15, s4 dst_sel:DWORD dst_unused:UNUSED_PAD src0_sel:WORD_1 src1_sel:DWORD
	s_movk_i32 s4, 0x7f
	v_cmp_lt_i16_e32 vcc, s4, v14
	s_mov_b64 s[4:5], 0
                                        ; implicit-def: $sgpr10
	s_and_saveexec_b64 s[6:7], vcc
	s_xor_b64 s[6:7], exec, s[6:7]
	s_cbranch_execnz .LBB57_3633
; %bb.1585:
	s_or_saveexec_b64 s[6:7], s[6:7]
	v_mov_b32_e32 v10, s10
	s_xor_b64 exec, exec, s[6:7]
	s_cbranch_execnz .LBB57_3636
.LBB57_1586:
	s_or_b64 exec, exec, s[6:7]
	s_and_saveexec_b64 s[6:7], s[4:5]
	s_cbranch_execz .LBB57_1588
.LBB57_1587:
	v_bfe_u32 v10, v15, 16, 3
	v_ffbh_u32_e32 v21, v10
	v_min_u32_e32 v21, 32, v21
	v_lshrrev_b32_e32 v14, 19, v15
	v_subrev_u32_e32 v22, 28, v21
	v_and_b32_e32 v14, 15, v14
	v_lshlrev_b32_sdwa v22, v22, v15 dst_sel:DWORD dst_unused:UNUSED_PAD src0_sel:DWORD src1_sel:WORD_1
	v_bfe_u32 v20, v15, 19, 4
	v_sub_u32_e32 v21, 29, v21
	v_and_b32_e32 v22, 7, v22
	v_cmp_eq_u16_e32 vcc, 0, v14
	v_cndmask_b32_e32 v10, v10, v22, vcc
	v_cndmask_b32_e32 v14, v20, v21, vcc
	v_lshlrev_b32_e32 v20, 8, v15
	v_mov_b32_e32 v21, 0x3b800000
	v_lshlrev_b32_e32 v10, 20, v10
	v_and_b32_e32 v20, 0x80000000, v20
	v_lshl_add_u32 v14, v14, 23, v21
	v_or3_b32 v10, v20, v14, v10
.LBB57_1588:
	s_or_b64 exec, exec, s[6:7]
	s_movk_i32 s4, 0xff
	v_and_b32_sdwa v14, v11, s4 dst_sel:DWORD dst_unused:UNUSED_PAD src0_sel:WORD_1 src1_sel:DWORD
	s_movk_i32 s4, 0x7f
	v_cmp_lt_i16_e32 vcc, s4, v14
	s_mov_b64 s[4:5], 0
                                        ; implicit-def: $sgpr10
	s_and_saveexec_b64 s[6:7], vcc
	s_xor_b64 s[6:7], exec, s[6:7]
	s_cbranch_execnz .LBB57_3637
; %bb.1589:
	s_or_saveexec_b64 s[6:7], s[6:7]
	v_mov_b32_e32 v20, s10
	s_xor_b64 exec, exec, s[6:7]
	s_cbranch_execnz .LBB57_3640
.LBB57_1590:
	s_or_b64 exec, exec, s[6:7]
	s_and_saveexec_b64 s[6:7], s[4:5]
	s_cbranch_execz .LBB57_1592
.LBB57_1591:
	v_bfe_u32 v14, v11, 16, 3
	v_ffbh_u32_e32 v22, v14
	v_min_u32_e32 v22, 32, v22
	v_lshrrev_b32_e32 v20, 19, v11
	v_subrev_u32_e32 v23, 28, v22
	v_and_b32_e32 v20, 15, v20
	v_lshlrev_b32_sdwa v23, v23, v11 dst_sel:DWORD dst_unused:UNUSED_PAD src0_sel:DWORD src1_sel:WORD_1
	v_bfe_u32 v21, v11, 19, 4
	v_sub_u32_e32 v22, 29, v22
	v_and_b32_e32 v23, 7, v23
	v_cmp_eq_u16_e32 vcc, 0, v20
	v_cndmask_b32_e32 v14, v14, v23, vcc
	v_cndmask_b32_e32 v20, v21, v22, vcc
	v_lshlrev_b32_e32 v21, 8, v11
	v_mov_b32_e32 v22, 0x3b800000
	v_lshlrev_b32_e32 v14, 20, v14
	v_and_b32_e32 v21, 0x80000000, v21
	v_lshl_add_u32 v20, v20, 23, v22
	v_or3_b32 v20, v21, v20, v14
.LBB57_1592:
	s_or_b64 exec, exec, s[6:7]
	s_nop 0
	v_mfma_f32_16x16x4f32 a[0:3], v10, v20, a[0:3]
	s_movk_i32 s4, 0x7f
	v_cmp_gt_i16_sdwa s[6:7], v15, s4 src0_sel:BYTE_3 src1_sel:DWORD
	s_mov_b64 s[4:5], 0
                                        ; implicit-def: $sgpr10
	s_and_saveexec_b64 s[8:9], s[6:7]
	s_xor_b64 s[6:7], exec, s[8:9]
	s_cbranch_execnz .LBB57_3641
; %bb.1593:
	s_or_saveexec_b64 s[6:7], s[6:7]
	v_mov_b32_e32 v10, s10
	s_xor_b64 exec, exec, s[6:7]
	s_cbranch_execnz .LBB57_3644
.LBB57_1594:
	s_or_b64 exec, exec, s[6:7]
	s_and_saveexec_b64 s[6:7], s[4:5]
	s_cbranch_execz .LBB57_1596
.LBB57_1595:
	v_bfe_u32 v10, v15, 24, 3
	v_ffbh_u32_e32 v22, v10
	v_min_u32_e32 v22, 32, v22
	v_lshrrev_b32_e32 v20, 27, v15
	v_subrev_u32_e32 v23, 28, v22
	v_and_b32_e32 v14, 0x80000000, v15
	v_and_b32_e32 v20, 15, v20
	v_bfe_u32 v21, v15, 27, 4
	v_lshlrev_b32_sdwa v15, v23, v15 dst_sel:DWORD dst_unused:UNUSED_PAD src0_sel:DWORD src1_sel:BYTE_3
	v_sub_u32_e32 v22, 29, v22
	v_and_b32_e32 v15, 7, v15
	v_cmp_eq_u16_e32 vcc, 0, v20
	v_cndmask_b32_e32 v10, v10, v15, vcc
	v_cndmask_b32_e32 v15, v21, v22, vcc
	v_mov_b32_e32 v20, 0x3b800000
	v_lshlrev_b32_e32 v10, 20, v10
	v_lshl_add_u32 v15, v15, 23, v20
	v_or3_b32 v10, v14, v15, v10
.LBB57_1596:
	s_or_b64 exec, exec, s[6:7]
	s_movk_i32 s4, 0x7f
	v_cmp_gt_i16_sdwa s[6:7], v11, s4 src0_sel:BYTE_3 src1_sel:DWORD
	s_mov_b64 s[4:5], 0
                                        ; implicit-def: $sgpr10
	s_and_saveexec_b64 s[8:9], s[6:7]
	s_xor_b64 s[6:7], exec, s[8:9]
	s_cbranch_execnz .LBB57_3645
; %bb.1597:
	s_or_saveexec_b64 s[6:7], s[6:7]
	v_mov_b32_e32 v14, s10
	s_xor_b64 exec, exec, s[6:7]
	s_cbranch_execnz .LBB57_3648
.LBB57_1598:
	s_or_b64 exec, exec, s[6:7]
	s_and_saveexec_b64 s[6:7], s[4:5]
	s_cbranch_execz .LBB57_1600
.LBB57_1599:
	v_bfe_u32 v14, v11, 24, 3
	v_ffbh_u32_e32 v22, v14
	v_min_u32_e32 v22, 32, v22
	v_lshrrev_b32_e32 v20, 27, v11
	v_subrev_u32_e32 v23, 28, v22
	v_and_b32_e32 v15, 0x80000000, v11
	v_and_b32_e32 v20, 15, v20
	v_bfe_u32 v21, v11, 27, 4
	v_lshlrev_b32_sdwa v11, v23, v11 dst_sel:DWORD dst_unused:UNUSED_PAD src0_sel:DWORD src1_sel:BYTE_3
	v_sub_u32_e32 v22, 29, v22
	v_and_b32_e32 v11, 7, v11
	v_cmp_eq_u16_e32 vcc, 0, v20
	v_cndmask_b32_e32 v11, v14, v11, vcc
	v_cndmask_b32_e32 v14, v21, v22, vcc
	v_mov_b32_e32 v20, 0x3b800000
	v_lshlrev_b32_e32 v11, 20, v11
	v_lshl_add_u32 v14, v14, 23, v20
	v_or3_b32 v14, v15, v14, v11
.LBB57_1600:
	s_or_b64 exec, exec, s[6:7]
	s_nop 0
	v_mfma_f32_16x16x4f32 a[0:3], v10, v14, a[0:3]
	s_movk_i32 s4, 0x7f
	v_cmp_gt_i16_sdwa s[6:7], v16, s4 src0_sel:BYTE_0 src1_sel:DWORD
	s_mov_b64 s[4:5], 0
                                        ; implicit-def: $sgpr10
	s_and_saveexec_b64 s[8:9], s[6:7]
	s_xor_b64 s[6:7], exec, s[8:9]
	s_cbranch_execnz .LBB57_3649
; %bb.1601:
	s_or_saveexec_b64 s[6:7], s[6:7]
	v_mov_b32_e32 v10, s10
	s_xor_b64 exec, exec, s[6:7]
	s_cbranch_execnz .LBB57_3652
.LBB57_1602:
	s_or_b64 exec, exec, s[6:7]
	s_and_saveexec_b64 s[6:7], s[4:5]
	s_cbranch_execz .LBB57_1604
.LBB57_1603:
	v_and_b32_e32 v10, 7, v16
	v_ffbh_u32_e32 v14, v10
	v_min_u32_e32 v14, 32, v14
	v_lshrrev_b16_e32 v11, 3, v16
	v_subrev_u32_e32 v15, 28, v14
	v_and_b32_e32 v11, 15, v11
	v_lshlrev_b32_e32 v15, v15, v16
	v_sub_u32_e32 v14, 29, v14
	v_and_b32_e32 v15, 7, v15
	v_cmp_eq_u16_e32 vcc, 0, v11
	v_cndmask_b32_e32 v10, v10, v15, vcc
	v_cndmask_b32_e32 v11, v11, v14, vcc
	v_lshlrev_b32_e32 v14, 24, v16
	v_mov_b32_e32 v15, 0x3b800000
	v_lshlrev_b32_e32 v10, 20, v10
	v_and_b32_e32 v14, 0x80000000, v14
	v_lshl_add_u32 v11, v11, 23, v15
	v_or3_b32 v10, v14, v11, v10
.LBB57_1604:
	s_or_b64 exec, exec, s[6:7]
	s_movk_i32 s4, 0x7f
	v_cmp_gt_i16_sdwa s[6:7], v12, s4 src0_sel:BYTE_0 src1_sel:DWORD
	s_mov_b64 s[4:5], 0
                                        ; implicit-def: $sgpr10
	s_and_saveexec_b64 s[8:9], s[6:7]
	s_xor_b64 s[6:7], exec, s[8:9]
	s_cbranch_execnz .LBB57_3653
; %bb.1605:
	s_or_saveexec_b64 s[6:7], s[6:7]
	v_mov_b32_e32 v11, s10
	s_xor_b64 exec, exec, s[6:7]
	s_cbranch_execnz .LBB57_3656
.LBB57_1606:
	s_or_b64 exec, exec, s[6:7]
	s_and_saveexec_b64 s[6:7], s[4:5]
	s_cbranch_execz .LBB57_1608
.LBB57_1607:
	v_and_b32_e32 v11, 7, v12
	v_ffbh_u32_e32 v15, v11
	v_min_u32_e32 v15, 32, v15
	v_lshrrev_b16_e32 v14, 3, v12
	v_subrev_u32_e32 v20, 28, v15
	v_and_b32_e32 v14, 15, v14
	v_lshlrev_b32_e32 v20, v20, v12
	v_sub_u32_e32 v15, 29, v15
	v_and_b32_e32 v20, 7, v20
	v_cmp_eq_u16_e32 vcc, 0, v14
	v_cndmask_b32_e32 v11, v11, v20, vcc
	v_cndmask_b32_e32 v14, v14, v15, vcc
	v_lshlrev_b32_e32 v15, 24, v12
	v_mov_b32_e32 v20, 0x3b800000
	v_lshlrev_b32_e32 v11, 20, v11
	v_and_b32_e32 v15, 0x80000000, v15
	v_lshl_add_u32 v14, v14, 23, v20
	v_or3_b32 v11, v15, v14, v11
.LBB57_1608:
	s_or_b64 exec, exec, s[6:7]
	s_nop 0
	v_mfma_f32_16x16x4f32 a[0:3], v10, v11, a[0:3]
	v_lshrrev_b32_e32 v11, 8, v16
	s_movk_i32 s4, 0x7f
	v_cmp_gt_i16_sdwa s[6:7], v11, s4 src0_sel:BYTE_0 src1_sel:DWORD
	s_mov_b64 s[4:5], 0
                                        ; implicit-def: $sgpr10
	s_and_saveexec_b64 s[8:9], s[6:7]
	s_xor_b64 s[6:7], exec, s[8:9]
	s_cbranch_execnz .LBB57_3657
; %bb.1609:
	s_or_saveexec_b64 s[6:7], s[6:7]
	v_mov_b32_e32 v10, s10
	s_xor_b64 exec, exec, s[6:7]
	s_cbranch_execnz .LBB57_3660
.LBB57_1610:
	s_or_b64 exec, exec, s[6:7]
	s_and_saveexec_b64 s[6:7], s[4:5]
	s_cbranch_execz .LBB57_1612
.LBB57_1611:
	v_bfe_u32 v10, v16, 8, 3
	v_ffbh_u32_e32 v15, v10
	v_min_u32_e32 v15, 32, v15
	v_lshrrev_b16_e32 v14, 3, v11
	v_subrev_u32_e32 v20, 28, v15
	v_and_b32_e32 v14, 15, v14
	v_lshlrev_b32_e32 v11, v20, v11
	v_sub_u32_e32 v15, 29, v15
	v_and_b32_e32 v11, 7, v11
	v_cmp_eq_u16_e32 vcc, 0, v14
	v_cndmask_b32_e32 v10, v10, v11, vcc
	v_cndmask_b32_e32 v11, v14, v15, vcc
	v_lshlrev_b32_e32 v14, 16, v16
	v_mov_b32_e32 v15, 0x3b800000
	v_lshlrev_b32_e32 v10, 20, v10
	v_and_b32_e32 v14, 0x80000000, v14
	v_lshl_add_u32 v11, v11, 23, v15
	v_or3_b32 v10, v14, v11, v10
.LBB57_1612:
	s_or_b64 exec, exec, s[6:7]
	v_lshrrev_b32_e32 v11, 8, v12
	s_movk_i32 s4, 0x7f
	v_cmp_gt_i16_sdwa s[6:7], v11, s4 src0_sel:BYTE_0 src1_sel:DWORD
	s_mov_b64 s[4:5], 0
                                        ; implicit-def: $sgpr10
	s_and_saveexec_b64 s[8:9], s[6:7]
	s_xor_b64 s[6:7], exec, s[8:9]
	s_cbranch_execnz .LBB57_3661
; %bb.1613:
	s_or_saveexec_b64 s[6:7], s[6:7]
	v_mov_b32_e32 v14, s10
	s_xor_b64 exec, exec, s[6:7]
	s_cbranch_execnz .LBB57_3664
.LBB57_1614:
	s_or_b64 exec, exec, s[6:7]
	s_and_saveexec_b64 s[6:7], s[4:5]
	s_cbranch_execz .LBB57_1616
.LBB57_1615:
	v_bfe_u32 v14, v12, 8, 3
	v_ffbh_u32_e32 v20, v14
	v_min_u32_e32 v20, 32, v20
	v_lshrrev_b16_e32 v15, 3, v11
	v_subrev_u32_e32 v21, 28, v20
	v_and_b32_e32 v15, 15, v15
	v_lshlrev_b32_e32 v11, v21, v11
	v_sub_u32_e32 v20, 29, v20
	v_and_b32_e32 v11, 7, v11
	v_cmp_eq_u16_e32 vcc, 0, v15
	v_cndmask_b32_e32 v11, v14, v11, vcc
	v_cndmask_b32_e32 v14, v15, v20, vcc
	v_lshlrev_b32_e32 v15, 16, v12
	v_mov_b32_e32 v20, 0x3b800000
	v_lshlrev_b32_e32 v11, 20, v11
	v_and_b32_e32 v15, 0x80000000, v15
	v_lshl_add_u32 v14, v14, 23, v20
	v_or3_b32 v14, v15, v14, v11
.LBB57_1616:
	s_or_b64 exec, exec, s[6:7]
	s_nop 0
	v_mfma_f32_16x16x4f32 a[0:3], v10, v14, a[0:3]
	s_movk_i32 s4, 0xff
	v_and_b32_sdwa v11, v16, s4 dst_sel:DWORD dst_unused:UNUSED_PAD src0_sel:WORD_1 src1_sel:DWORD
	s_movk_i32 s4, 0x7f
	v_cmp_lt_i16_e32 vcc, s4, v11
	s_mov_b64 s[4:5], 0
                                        ; implicit-def: $sgpr10
	s_and_saveexec_b64 s[6:7], vcc
	s_xor_b64 s[6:7], exec, s[6:7]
	s_cbranch_execnz .LBB57_3665
; %bb.1617:
	s_or_saveexec_b64 s[6:7], s[6:7]
	v_mov_b32_e32 v10, s10
	s_xor_b64 exec, exec, s[6:7]
	s_cbranch_execnz .LBB57_3668
.LBB57_1618:
	s_or_b64 exec, exec, s[6:7]
	s_and_saveexec_b64 s[6:7], s[4:5]
	s_cbranch_execz .LBB57_1620
.LBB57_1619:
	v_bfe_u32 v10, v16, 16, 3
	v_ffbh_u32_e32 v15, v10
	v_min_u32_e32 v15, 32, v15
	v_lshrrev_b32_e32 v11, 19, v16
	v_subrev_u32_e32 v20, 28, v15
	v_and_b32_e32 v11, 15, v11
	v_lshlrev_b32_sdwa v20, v20, v16 dst_sel:DWORD dst_unused:UNUSED_PAD src0_sel:DWORD src1_sel:WORD_1
	v_bfe_u32 v14, v16, 19, 4
	v_sub_u32_e32 v15, 29, v15
	v_and_b32_e32 v20, 7, v20
	v_cmp_eq_u16_e32 vcc, 0, v11
	v_cndmask_b32_e32 v10, v10, v20, vcc
	v_cndmask_b32_e32 v11, v14, v15, vcc
	v_lshlrev_b32_e32 v14, 8, v16
	v_mov_b32_e32 v15, 0x3b800000
	v_lshlrev_b32_e32 v10, 20, v10
	v_and_b32_e32 v14, 0x80000000, v14
	v_lshl_add_u32 v11, v11, 23, v15
	v_or3_b32 v10, v14, v11, v10
.LBB57_1620:
	s_or_b64 exec, exec, s[6:7]
	s_movk_i32 s4, 0xff
	v_and_b32_sdwa v11, v12, s4 dst_sel:DWORD dst_unused:UNUSED_PAD src0_sel:WORD_1 src1_sel:DWORD
	s_movk_i32 s4, 0x7f
	v_cmp_lt_i16_e32 vcc, s4, v11
	s_mov_b64 s[4:5], 0
                                        ; implicit-def: $sgpr10
	s_and_saveexec_b64 s[6:7], vcc
	s_xor_b64 s[6:7], exec, s[6:7]
	s_cbranch_execnz .LBB57_3669
; %bb.1621:
	s_or_saveexec_b64 s[6:7], s[6:7]
	v_mov_b32_e32 v14, s10
	s_xor_b64 exec, exec, s[6:7]
	s_cbranch_execnz .LBB57_3672
.LBB57_1622:
	s_or_b64 exec, exec, s[6:7]
	s_and_saveexec_b64 s[6:7], s[4:5]
	s_cbranch_execz .LBB57_1624
.LBB57_1623:
	v_bfe_u32 v11, v12, 16, 3
	v_ffbh_u32_e32 v20, v11
	v_min_u32_e32 v20, 32, v20
	v_lshrrev_b32_e32 v14, 19, v12
	v_subrev_u32_e32 v21, 28, v20
	v_and_b32_e32 v14, 15, v14
	v_lshlrev_b32_sdwa v21, v21, v12 dst_sel:DWORD dst_unused:UNUSED_PAD src0_sel:DWORD src1_sel:WORD_1
	v_bfe_u32 v15, v12, 19, 4
	v_sub_u32_e32 v20, 29, v20
	v_and_b32_e32 v21, 7, v21
	v_cmp_eq_u16_e32 vcc, 0, v14
	v_cndmask_b32_e32 v11, v11, v21, vcc
	v_cndmask_b32_e32 v14, v15, v20, vcc
	v_lshlrev_b32_e32 v15, 8, v12
	v_mov_b32_e32 v20, 0x3b800000
	v_lshlrev_b32_e32 v11, 20, v11
	v_and_b32_e32 v15, 0x80000000, v15
	v_lshl_add_u32 v14, v14, 23, v20
	v_or3_b32 v14, v15, v14, v11
.LBB57_1624:
	s_or_b64 exec, exec, s[6:7]
	s_nop 0
	v_mfma_f32_16x16x4f32 a[0:3], v10, v14, a[0:3]
	s_movk_i32 s4, 0x7f
	v_cmp_gt_i16_sdwa s[6:7], v16, s4 src0_sel:BYTE_3 src1_sel:DWORD
	s_mov_b64 s[4:5], 0
                                        ; implicit-def: $sgpr10
	s_and_saveexec_b64 s[8:9], s[6:7]
	s_xor_b64 s[6:7], exec, s[8:9]
	s_cbranch_execnz .LBB57_3673
; %bb.1625:
	s_or_saveexec_b64 s[6:7], s[6:7]
	v_mov_b32_e32 v10, s10
	s_xor_b64 exec, exec, s[6:7]
	s_cbranch_execnz .LBB57_3676
.LBB57_1626:
	s_or_b64 exec, exec, s[6:7]
	s_and_saveexec_b64 s[6:7], s[4:5]
	s_cbranch_execz .LBB57_1628
.LBB57_1627:
	v_bfe_u32 v10, v16, 24, 3
	v_ffbh_u32_e32 v20, v10
	v_min_u32_e32 v20, 32, v20
	v_lshrrev_b32_e32 v14, 27, v16
	v_subrev_u32_e32 v21, 28, v20
	v_and_b32_e32 v11, 0x80000000, v16
	v_and_b32_e32 v14, 15, v14
	v_bfe_u32 v15, v16, 27, 4
	v_lshlrev_b32_sdwa v16, v21, v16 dst_sel:DWORD dst_unused:UNUSED_PAD src0_sel:DWORD src1_sel:BYTE_3
	v_sub_u32_e32 v20, 29, v20
	v_and_b32_e32 v16, 7, v16
	v_cmp_eq_u16_e32 vcc, 0, v14
	v_cndmask_b32_e32 v10, v10, v16, vcc
	v_cndmask_b32_e32 v14, v15, v20, vcc
	v_mov_b32_e32 v15, 0x3b800000
	v_lshlrev_b32_e32 v10, 20, v10
	v_lshl_add_u32 v14, v14, 23, v15
	v_or3_b32 v10, v11, v14, v10
.LBB57_1628:
	s_or_b64 exec, exec, s[6:7]
	s_movk_i32 s4, 0x7f
	v_cmp_gt_i16_sdwa s[6:7], v12, s4 src0_sel:BYTE_3 src1_sel:DWORD
	s_mov_b64 s[4:5], 0
                                        ; implicit-def: $sgpr10
	s_and_saveexec_b64 s[8:9], s[6:7]
	s_xor_b64 s[6:7], exec, s[8:9]
	s_cbranch_execnz .LBB57_3677
; %bb.1629:
	s_or_saveexec_b64 s[6:7], s[6:7]
	v_mov_b32_e32 v11, s10
	s_xor_b64 exec, exec, s[6:7]
	s_cbranch_execnz .LBB57_3680
.LBB57_1630:
	s_or_b64 exec, exec, s[6:7]
	s_and_saveexec_b64 s[6:7], s[4:5]
	s_cbranch_execz .LBB57_1632
.LBB57_1631:
	v_bfe_u32 v11, v12, 24, 3
	v_ffbh_u32_e32 v20, v11
	v_min_u32_e32 v20, 32, v20
	v_lshrrev_b32_e32 v15, 27, v12
	v_subrev_u32_e32 v21, 28, v20
	v_and_b32_e32 v14, 0x80000000, v12
	v_and_b32_e32 v15, 15, v15
	v_bfe_u32 v16, v12, 27, 4
	v_lshlrev_b32_sdwa v12, v21, v12 dst_sel:DWORD dst_unused:UNUSED_PAD src0_sel:DWORD src1_sel:BYTE_3
	v_sub_u32_e32 v20, 29, v20
	v_and_b32_e32 v12, 7, v12
	v_cmp_eq_u16_e32 vcc, 0, v15
	v_cndmask_b32_e32 v11, v11, v12, vcc
	v_cndmask_b32_e32 v12, v16, v20, vcc
	v_mov_b32_e32 v15, 0x3b800000
	v_lshlrev_b32_e32 v11, 20, v11
	v_lshl_add_u32 v12, v12, 23, v15
	v_or3_b32 v11, v14, v12, v11
.LBB57_1632:
	s_or_b64 exec, exec, s[6:7]
	s_nop 0
	v_mfma_f32_16x16x4f32 a[0:3], v10, v11, a[0:3]
	s_movk_i32 s4, 0x7f
	v_cmp_gt_i16_sdwa s[6:7], v17, s4 src0_sel:BYTE_0 src1_sel:DWORD
	s_mov_b64 s[4:5], 0
                                        ; implicit-def: $sgpr10
	s_and_saveexec_b64 s[8:9], s[6:7]
	s_xor_b64 s[6:7], exec, s[8:9]
	s_cbranch_execnz .LBB57_3681
; %bb.1633:
	s_or_saveexec_b64 s[6:7], s[6:7]
	v_mov_b32_e32 v10, s10
	s_xor_b64 exec, exec, s[6:7]
	s_cbranch_execnz .LBB57_3684
.LBB57_1634:
	s_or_b64 exec, exec, s[6:7]
	s_and_saveexec_b64 s[6:7], s[4:5]
	s_cbranch_execz .LBB57_1636
.LBB57_1635:
	v_and_b32_e32 v10, 7, v17
	v_ffbh_u32_e32 v12, v10
	v_min_u32_e32 v12, 32, v12
	v_lshrrev_b16_e32 v11, 3, v17
	v_subrev_u32_e32 v14, 28, v12
	v_and_b32_e32 v11, 15, v11
	v_lshlrev_b32_e32 v14, v14, v17
	v_sub_u32_e32 v12, 29, v12
	v_and_b32_e32 v14, 7, v14
	v_cmp_eq_u16_e32 vcc, 0, v11
	v_cndmask_b32_e32 v10, v10, v14, vcc
	v_cndmask_b32_e32 v11, v11, v12, vcc
	v_lshlrev_b32_e32 v12, 24, v17
	v_mov_b32_e32 v14, 0x3b800000
	v_lshlrev_b32_e32 v10, 20, v10
	v_and_b32_e32 v12, 0x80000000, v12
	v_lshl_add_u32 v11, v11, 23, v14
	v_or3_b32 v10, v12, v11, v10
.LBB57_1636:
	s_or_b64 exec, exec, s[6:7]
	s_movk_i32 s4, 0x7f
	v_cmp_gt_i16_sdwa s[6:7], v13, s4 src0_sel:BYTE_0 src1_sel:DWORD
	s_mov_b64 s[4:5], 0
                                        ; implicit-def: $sgpr10
	s_and_saveexec_b64 s[8:9], s[6:7]
	s_xor_b64 s[6:7], exec, s[8:9]
	s_cbranch_execnz .LBB57_3685
; %bb.1637:
	s_or_saveexec_b64 s[6:7], s[6:7]
	v_mov_b32_e32 v11, s10
	s_xor_b64 exec, exec, s[6:7]
	s_cbranch_execnz .LBB57_3688
.LBB57_1638:
	s_or_b64 exec, exec, s[6:7]
	s_and_saveexec_b64 s[6:7], s[4:5]
	s_cbranch_execz .LBB57_1640
.LBB57_1639:
	v_and_b32_e32 v11, 7, v13
	v_ffbh_u32_e32 v14, v11
	v_min_u32_e32 v14, 32, v14
	v_lshrrev_b16_e32 v12, 3, v13
	v_subrev_u32_e32 v15, 28, v14
	v_and_b32_e32 v12, 15, v12
	v_lshlrev_b32_e32 v15, v15, v13
	v_sub_u32_e32 v14, 29, v14
	v_and_b32_e32 v15, 7, v15
	v_cmp_eq_u16_e32 vcc, 0, v12
	v_cndmask_b32_e32 v11, v11, v15, vcc
	v_cndmask_b32_e32 v12, v12, v14, vcc
	v_lshlrev_b32_e32 v14, 24, v13
	v_mov_b32_e32 v15, 0x3b800000
	v_lshlrev_b32_e32 v11, 20, v11
	v_and_b32_e32 v14, 0x80000000, v14
	v_lshl_add_u32 v12, v12, 23, v15
	v_or3_b32 v11, v14, v12, v11
.LBB57_1640:
	s_or_b64 exec, exec, s[6:7]
	s_nop 0
	v_mfma_f32_16x16x4f32 a[0:3], v10, v11, a[0:3]
	v_lshrrev_b32_e32 v11, 8, v17
	s_movk_i32 s4, 0x7f
	v_cmp_gt_i16_sdwa s[6:7], v11, s4 src0_sel:BYTE_0 src1_sel:DWORD
	s_mov_b64 s[4:5], 0
                                        ; implicit-def: $sgpr10
	s_and_saveexec_b64 s[8:9], s[6:7]
	s_xor_b64 s[6:7], exec, s[8:9]
	s_cbranch_execnz .LBB57_3689
; %bb.1641:
	s_or_saveexec_b64 s[6:7], s[6:7]
	v_mov_b32_e32 v10, s10
	s_xor_b64 exec, exec, s[6:7]
	s_cbranch_execnz .LBB57_3692
.LBB57_1642:
	s_or_b64 exec, exec, s[6:7]
	s_and_saveexec_b64 s[6:7], s[4:5]
	s_cbranch_execz .LBB57_1644
.LBB57_1643:
	v_bfe_u32 v10, v17, 8, 3
	v_ffbh_u32_e32 v14, v10
	v_min_u32_e32 v14, 32, v14
	v_lshrrev_b16_e32 v12, 3, v11
	v_subrev_u32_e32 v15, 28, v14
	v_and_b32_e32 v12, 15, v12
	v_lshlrev_b32_e32 v11, v15, v11
	v_sub_u32_e32 v14, 29, v14
	v_and_b32_e32 v11, 7, v11
	v_cmp_eq_u16_e32 vcc, 0, v12
	v_cndmask_b32_e32 v10, v10, v11, vcc
	v_cndmask_b32_e32 v11, v12, v14, vcc
	v_lshlrev_b32_e32 v12, 16, v17
	v_mov_b32_e32 v14, 0x3b800000
	v_lshlrev_b32_e32 v10, 20, v10
	v_and_b32_e32 v12, 0x80000000, v12
	v_lshl_add_u32 v11, v11, 23, v14
	v_or3_b32 v10, v12, v11, v10
.LBB57_1644:
	s_or_b64 exec, exec, s[6:7]
	v_lshrrev_b32_e32 v11, 8, v13
	s_movk_i32 s4, 0x7f
	v_cmp_gt_i16_sdwa s[6:7], v11, s4 src0_sel:BYTE_0 src1_sel:DWORD
	s_mov_b64 s[4:5], 0
                                        ; implicit-def: $sgpr10
	s_and_saveexec_b64 s[8:9], s[6:7]
	s_xor_b64 s[6:7], exec, s[8:9]
	s_cbranch_execnz .LBB57_3693
; %bb.1645:
	s_or_saveexec_b64 s[6:7], s[6:7]
	v_mov_b32_e32 v12, s10
	s_xor_b64 exec, exec, s[6:7]
	s_cbranch_execnz .LBB57_3696
.LBB57_1646:
	s_or_b64 exec, exec, s[6:7]
	s_and_saveexec_b64 s[6:7], s[4:5]
	s_cbranch_execz .LBB57_1648
.LBB57_1647:
	v_bfe_u32 v12, v13, 8, 3
	v_ffbh_u32_e32 v15, v12
	v_min_u32_e32 v15, 32, v15
	v_lshrrev_b16_e32 v14, 3, v11
	v_subrev_u32_e32 v16, 28, v15
	v_and_b32_e32 v14, 15, v14
	v_lshlrev_b32_e32 v11, v16, v11
	v_sub_u32_e32 v15, 29, v15
	v_and_b32_e32 v11, 7, v11
	v_cmp_eq_u16_e32 vcc, 0, v14
	v_cndmask_b32_e32 v11, v12, v11, vcc
	v_cndmask_b32_e32 v12, v14, v15, vcc
	v_lshlrev_b32_e32 v14, 16, v13
	v_mov_b32_e32 v15, 0x3b800000
	v_lshlrev_b32_e32 v11, 20, v11
	v_and_b32_e32 v14, 0x80000000, v14
	v_lshl_add_u32 v12, v12, 23, v15
	v_or3_b32 v12, v14, v12, v11
.LBB57_1648:
	s_or_b64 exec, exec, s[6:7]
	s_nop 0
	v_mfma_f32_16x16x4f32 a[0:3], v10, v12, a[0:3]
	s_movk_i32 s4, 0xff
	v_and_b32_sdwa v11, v17, s4 dst_sel:DWORD dst_unused:UNUSED_PAD src0_sel:WORD_1 src1_sel:DWORD
	s_movk_i32 s4, 0x7f
	v_cmp_lt_i16_e32 vcc, s4, v11
	s_mov_b64 s[4:5], 0
                                        ; implicit-def: $sgpr10
	s_and_saveexec_b64 s[6:7], vcc
	s_xor_b64 s[6:7], exec, s[6:7]
	s_cbranch_execnz .LBB57_3697
; %bb.1649:
	s_or_saveexec_b64 s[6:7], s[6:7]
	v_mov_b32_e32 v10, s10
	s_xor_b64 exec, exec, s[6:7]
	s_cbranch_execnz .LBB57_3700
.LBB57_1650:
	s_or_b64 exec, exec, s[6:7]
	s_and_saveexec_b64 s[6:7], s[4:5]
	s_cbranch_execz .LBB57_1652
.LBB57_1651:
	v_bfe_u32 v10, v17, 16, 3
	v_ffbh_u32_e32 v14, v10
	v_min_u32_e32 v14, 32, v14
	v_lshrrev_b32_e32 v11, 19, v17
	v_subrev_u32_e32 v15, 28, v14
	v_and_b32_e32 v11, 15, v11
	v_lshlrev_b32_sdwa v15, v15, v17 dst_sel:DWORD dst_unused:UNUSED_PAD src0_sel:DWORD src1_sel:WORD_1
	v_bfe_u32 v12, v17, 19, 4
	v_sub_u32_e32 v14, 29, v14
	v_and_b32_e32 v15, 7, v15
	v_cmp_eq_u16_e32 vcc, 0, v11
	v_cndmask_b32_e32 v10, v10, v15, vcc
	v_cndmask_b32_e32 v11, v12, v14, vcc
	v_lshlrev_b32_e32 v12, 8, v17
	v_mov_b32_e32 v14, 0x3b800000
	v_lshlrev_b32_e32 v10, 20, v10
	v_and_b32_e32 v12, 0x80000000, v12
	v_lshl_add_u32 v11, v11, 23, v14
	v_or3_b32 v10, v12, v11, v10
.LBB57_1652:
	s_or_b64 exec, exec, s[6:7]
	s_movk_i32 s4, 0xff
	v_and_b32_sdwa v11, v13, s4 dst_sel:DWORD dst_unused:UNUSED_PAD src0_sel:WORD_1 src1_sel:DWORD
	s_movk_i32 s4, 0x7f
	v_cmp_lt_i16_e32 vcc, s4, v11
	s_mov_b64 s[4:5], 0
                                        ; implicit-def: $sgpr10
	s_and_saveexec_b64 s[6:7], vcc
	s_xor_b64 s[6:7], exec, s[6:7]
	s_cbranch_execnz .LBB57_3701
; %bb.1653:
	s_or_saveexec_b64 s[6:7], s[6:7]
	v_mov_b32_e32 v12, s10
	s_xor_b64 exec, exec, s[6:7]
	s_cbranch_execnz .LBB57_3704
.LBB57_1654:
	s_or_b64 exec, exec, s[6:7]
	s_and_saveexec_b64 s[6:7], s[4:5]
	s_cbranch_execz .LBB57_1656
.LBB57_1655:
	v_bfe_u32 v11, v13, 16, 3
	v_ffbh_u32_e32 v15, v11
	v_min_u32_e32 v15, 32, v15
	v_lshrrev_b32_e32 v12, 19, v13
	v_subrev_u32_e32 v16, 28, v15
	v_and_b32_e32 v12, 15, v12
	v_lshlrev_b32_sdwa v16, v16, v13 dst_sel:DWORD dst_unused:UNUSED_PAD src0_sel:DWORD src1_sel:WORD_1
	v_bfe_u32 v14, v13, 19, 4
	v_sub_u32_e32 v15, 29, v15
	v_and_b32_e32 v16, 7, v16
	v_cmp_eq_u16_e32 vcc, 0, v12
	v_cndmask_b32_e32 v11, v11, v16, vcc
	v_cndmask_b32_e32 v12, v14, v15, vcc
	v_lshlrev_b32_e32 v14, 8, v13
	v_mov_b32_e32 v15, 0x3b800000
	v_lshlrev_b32_e32 v11, 20, v11
	v_and_b32_e32 v14, 0x80000000, v14
	v_lshl_add_u32 v12, v12, 23, v15
	v_or3_b32 v12, v14, v12, v11
.LBB57_1656:
	s_or_b64 exec, exec, s[6:7]
	s_nop 0
	v_mfma_f32_16x16x4f32 a[0:3], v10, v12, a[0:3]
	s_movk_i32 s4, 0x7f
	v_cmp_gt_i16_sdwa s[6:7], v17, s4 src0_sel:BYTE_3 src1_sel:DWORD
	s_mov_b64 s[4:5], 0
                                        ; implicit-def: $sgpr10
	s_and_saveexec_b64 s[8:9], s[6:7]
	s_xor_b64 s[6:7], exec, s[8:9]
	s_cbranch_execnz .LBB57_3705
; %bb.1657:
	s_or_saveexec_b64 s[6:7], s[6:7]
	v_mov_b32_e32 v10, s10
	s_xor_b64 exec, exec, s[6:7]
	s_cbranch_execnz .LBB57_3708
.LBB57_1658:
	s_or_b64 exec, exec, s[6:7]
	s_and_saveexec_b64 s[6:7], s[4:5]
	s_cbranch_execz .LBB57_1660
.LBB57_1659:
	v_bfe_u32 v10, v17, 24, 3
	v_ffbh_u32_e32 v15, v10
	v_min_u32_e32 v15, 32, v15
	v_lshrrev_b32_e32 v12, 27, v17
	v_subrev_u32_e32 v16, 28, v15
	v_and_b32_e32 v12, 15, v12
	v_lshlrev_b32_sdwa v16, v16, v17 dst_sel:DWORD dst_unused:UNUSED_PAD src0_sel:DWORD src1_sel:BYTE_3
	v_bfe_u32 v14, v17, 27, 4
	v_sub_u32_e32 v15, 29, v15
	v_and_b32_e32 v16, 7, v16
	v_cmp_eq_u16_e32 vcc, 0, v12
	v_cndmask_b32_e32 v10, v10, v16, vcc
	v_cndmask_b32_e32 v12, v14, v15, vcc
	v_mov_b32_e32 v14, 0x3b800000
	v_and_b32_e32 v11, 0x80000000, v17
	v_lshlrev_b32_e32 v10, 20, v10
	v_lshl_add_u32 v12, v12, 23, v14
	v_or3_b32 v10, v11, v12, v10
.LBB57_1660:
	s_or_b64 exec, exec, s[6:7]
	s_movk_i32 s4, 0x7f
	v_cmp_gt_i16_sdwa s[6:7], v13, s4 src0_sel:BYTE_3 src1_sel:DWORD
	s_mov_b64 s[4:5], 0
                                        ; implicit-def: $sgpr10
	s_and_saveexec_b64 s[8:9], s[6:7]
	s_xor_b64 s[6:7], exec, s[8:9]
	s_cbranch_execnz .LBB57_3709
; %bb.1661:
	s_or_saveexec_b64 s[6:7], s[6:7]
	v_mov_b32_e32 v11, s10
	s_xor_b64 exec, exec, s[6:7]
	s_cbranch_execnz .LBB57_3712
.LBB57_1662:
	s_or_b64 exec, exec, s[6:7]
	s_and_saveexec_b64 s[6:7], s[4:5]
	s_cbranch_execz .LBB57_1664
.LBB57_1663:
	v_bfe_u32 v11, v13, 24, 3
	v_ffbh_u32_e32 v16, v11
	v_min_u32_e32 v16, 32, v16
	v_lshrrev_b32_e32 v14, 27, v13
	v_subrev_u32_e32 v17, 28, v16
	v_and_b32_e32 v12, 0x80000000, v13
	v_and_b32_e32 v14, 15, v14
	v_bfe_u32 v15, v13, 27, 4
	v_lshlrev_b32_sdwa v13, v17, v13 dst_sel:DWORD dst_unused:UNUSED_PAD src0_sel:DWORD src1_sel:BYTE_3
	v_sub_u32_e32 v16, 29, v16
	v_and_b32_e32 v13, 7, v13
	v_cmp_eq_u16_e32 vcc, 0, v14
	v_cndmask_b32_e32 v11, v11, v13, vcc
	v_cndmask_b32_e32 v13, v15, v16, vcc
	v_mov_b32_e32 v14, 0x3b800000
	v_lshlrev_b32_e32 v11, 20, v11
	v_lshl_add_u32 v13, v13, 23, v14
	v_or3_b32 v11, v12, v13, v11
.LBB57_1664:
	s_or_b64 exec, exec, s[6:7]
	s_nop 0
	v_mfma_f32_16x16x4f32 a[0:3], v10, v11, a[0:3]
	s_movk_i32 s4, 0x7f
	v_cmp_gt_i16_sdwa s[6:7], v6, s4 src0_sel:BYTE_0 src1_sel:DWORD
	s_mov_b64 s[4:5], 0
                                        ; implicit-def: $sgpr10
	s_and_saveexec_b64 s[8:9], s[6:7]
	s_xor_b64 s[6:7], exec, s[8:9]
	s_cbranch_execnz .LBB57_3713
; %bb.1665:
	s_or_saveexec_b64 s[6:7], s[6:7]
	v_mov_b32_e32 v10, s10
	s_xor_b64 exec, exec, s[6:7]
	s_cbranch_execnz .LBB57_3716
.LBB57_1666:
	s_or_b64 exec, exec, s[6:7]
	s_and_saveexec_b64 s[6:7], s[4:5]
	s_cbranch_execz .LBB57_1668
.LBB57_1667:
	v_and_b32_e32 v10, 7, v6
	v_ffbh_u32_e32 v12, v10
	v_min_u32_e32 v12, 32, v12
	v_lshrrev_b16_e32 v11, 3, v6
	v_subrev_u32_e32 v13, 28, v12
	v_and_b32_e32 v11, 15, v11
	v_lshlrev_b32_e32 v13, v13, v6
	v_sub_u32_e32 v12, 29, v12
	v_and_b32_e32 v13, 7, v13
	v_cmp_eq_u16_e32 vcc, 0, v11
	v_cndmask_b32_e32 v10, v10, v13, vcc
	v_cndmask_b32_e32 v11, v11, v12, vcc
	v_lshlrev_b32_e32 v12, 24, v6
	v_mov_b32_e32 v13, 0x3b800000
	v_lshlrev_b32_e32 v10, 20, v10
	v_and_b32_e32 v12, 0x80000000, v12
	v_lshl_add_u32 v11, v11, 23, v13
	v_or3_b32 v10, v12, v11, v10
.LBB57_1668:
	s_or_b64 exec, exec, s[6:7]
	s_movk_i32 s4, 0x7f
	v_cmp_gt_i16_sdwa s[6:7], v2, s4 src0_sel:BYTE_0 src1_sel:DWORD
	s_mov_b64 s[4:5], 0
                                        ; implicit-def: $sgpr10
	s_and_saveexec_b64 s[8:9], s[6:7]
	s_xor_b64 s[6:7], exec, s[8:9]
	s_cbranch_execnz .LBB57_3717
; %bb.1669:
	s_or_saveexec_b64 s[6:7], s[6:7]
	v_mov_b32_e32 v11, s10
	s_xor_b64 exec, exec, s[6:7]
	s_cbranch_execnz .LBB57_3720
.LBB57_1670:
	s_or_b64 exec, exec, s[6:7]
	s_and_saveexec_b64 s[6:7], s[4:5]
	s_cbranch_execz .LBB57_1672
.LBB57_1671:
	v_and_b32_e32 v11, 7, v2
	v_ffbh_u32_e32 v13, v11
	v_min_u32_e32 v13, 32, v13
	v_lshrrev_b16_e32 v12, 3, v2
	v_subrev_u32_e32 v14, 28, v13
	v_and_b32_e32 v12, 15, v12
	v_lshlrev_b32_e32 v14, v14, v2
	v_sub_u32_e32 v13, 29, v13
	v_and_b32_e32 v14, 7, v14
	v_cmp_eq_u16_e32 vcc, 0, v12
	v_cndmask_b32_e32 v11, v11, v14, vcc
	v_cndmask_b32_e32 v12, v12, v13, vcc
	v_lshlrev_b32_e32 v13, 24, v2
	v_mov_b32_e32 v14, 0x3b800000
	v_lshlrev_b32_e32 v11, 20, v11
	v_and_b32_e32 v13, 0x80000000, v13
	v_lshl_add_u32 v12, v12, 23, v14
	v_or3_b32 v11, v13, v12, v11
.LBB57_1672:
	s_or_b64 exec, exec, s[6:7]
	s_nop 0
	v_mfma_f32_16x16x4f32 a[0:3], v10, v11, a[0:3]
	v_lshrrev_b32_e32 v11, 8, v6
	s_movk_i32 s4, 0x7f
	v_cmp_gt_i16_sdwa s[6:7], v11, s4 src0_sel:BYTE_0 src1_sel:DWORD
	s_mov_b64 s[4:5], 0
                                        ; implicit-def: $sgpr10
	s_and_saveexec_b64 s[8:9], s[6:7]
	s_xor_b64 s[6:7], exec, s[8:9]
	s_cbranch_execnz .LBB57_3721
; %bb.1673:
	s_or_saveexec_b64 s[6:7], s[6:7]
	v_mov_b32_e32 v10, s10
	s_xor_b64 exec, exec, s[6:7]
	s_cbranch_execnz .LBB57_3724
.LBB57_1674:
	s_or_b64 exec, exec, s[6:7]
	s_and_saveexec_b64 s[6:7], s[4:5]
	s_cbranch_execz .LBB57_1676
.LBB57_1675:
	v_bfe_u32 v10, v6, 8, 3
	v_ffbh_u32_e32 v13, v10
	v_min_u32_e32 v13, 32, v13
	v_lshrrev_b16_e32 v12, 3, v11
	v_subrev_u32_e32 v14, 28, v13
	v_and_b32_e32 v12, 15, v12
	v_lshlrev_b32_e32 v11, v14, v11
	v_sub_u32_e32 v13, 29, v13
	v_and_b32_e32 v11, 7, v11
	v_cmp_eq_u16_e32 vcc, 0, v12
	v_cndmask_b32_e32 v10, v10, v11, vcc
	v_cndmask_b32_e32 v11, v12, v13, vcc
	v_lshlrev_b32_e32 v12, 16, v6
	v_mov_b32_e32 v13, 0x3b800000
	v_lshlrev_b32_e32 v10, 20, v10
	v_and_b32_e32 v12, 0x80000000, v12
	v_lshl_add_u32 v11, v11, 23, v13
	v_or3_b32 v10, v12, v11, v10
.LBB57_1676:
	s_or_b64 exec, exec, s[6:7]
	v_lshrrev_b32_e32 v11, 8, v2
	s_movk_i32 s4, 0x7f
	v_cmp_gt_i16_sdwa s[6:7], v11, s4 src0_sel:BYTE_0 src1_sel:DWORD
	s_mov_b64 s[4:5], 0
                                        ; implicit-def: $sgpr10
	s_and_saveexec_b64 s[8:9], s[6:7]
	s_xor_b64 s[6:7], exec, s[8:9]
	s_cbranch_execnz .LBB57_3725
; %bb.1677:
	s_or_saveexec_b64 s[6:7], s[6:7]
	v_mov_b32_e32 v12, s10
	s_xor_b64 exec, exec, s[6:7]
	s_cbranch_execnz .LBB57_3728
.LBB57_1678:
	s_or_b64 exec, exec, s[6:7]
	s_and_saveexec_b64 s[6:7], s[4:5]
	s_cbranch_execz .LBB57_1680
.LBB57_1679:
	v_bfe_u32 v12, v2, 8, 3
	v_ffbh_u32_e32 v14, v12
	v_min_u32_e32 v14, 32, v14
	v_lshrrev_b16_e32 v13, 3, v11
	v_subrev_u32_e32 v15, 28, v14
	v_and_b32_e32 v13, 15, v13
	v_lshlrev_b32_e32 v11, v15, v11
	v_sub_u32_e32 v14, 29, v14
	v_and_b32_e32 v11, 7, v11
	v_cmp_eq_u16_e32 vcc, 0, v13
	v_cndmask_b32_e32 v11, v12, v11, vcc
	v_cndmask_b32_e32 v12, v13, v14, vcc
	v_lshlrev_b32_e32 v13, 16, v2
	v_mov_b32_e32 v14, 0x3b800000
	v_lshlrev_b32_e32 v11, 20, v11
	v_and_b32_e32 v13, 0x80000000, v13
	v_lshl_add_u32 v12, v12, 23, v14
	v_or3_b32 v12, v13, v12, v11
.LBB57_1680:
	s_or_b64 exec, exec, s[6:7]
	s_nop 0
	v_mfma_f32_16x16x4f32 a[0:3], v10, v12, a[0:3]
	s_movk_i32 s4, 0xff
	v_and_b32_sdwa v11, v6, s4 dst_sel:DWORD dst_unused:UNUSED_PAD src0_sel:WORD_1 src1_sel:DWORD
	s_movk_i32 s4, 0x7f
	v_cmp_lt_i16_e32 vcc, s4, v11
	s_mov_b64 s[4:5], 0
                                        ; implicit-def: $sgpr10
	s_and_saveexec_b64 s[6:7], vcc
	s_xor_b64 s[6:7], exec, s[6:7]
	s_cbranch_execnz .LBB57_3729
; %bb.1681:
	s_or_saveexec_b64 s[6:7], s[6:7]
	v_mov_b32_e32 v10, s10
	s_xor_b64 exec, exec, s[6:7]
	s_cbranch_execnz .LBB57_3732
.LBB57_1682:
	s_or_b64 exec, exec, s[6:7]
	s_and_saveexec_b64 s[6:7], s[4:5]
	s_cbranch_execz .LBB57_1684
.LBB57_1683:
	v_bfe_u32 v10, v6, 16, 3
	v_ffbh_u32_e32 v13, v10
	v_min_u32_e32 v13, 32, v13
	v_lshrrev_b32_e32 v11, 19, v6
	v_subrev_u32_e32 v14, 28, v13
	v_and_b32_e32 v11, 15, v11
	v_lshlrev_b32_sdwa v14, v14, v6 dst_sel:DWORD dst_unused:UNUSED_PAD src0_sel:DWORD src1_sel:WORD_1
	v_bfe_u32 v12, v6, 19, 4
	v_sub_u32_e32 v13, 29, v13
	v_and_b32_e32 v14, 7, v14
	v_cmp_eq_u16_e32 vcc, 0, v11
	v_cndmask_b32_e32 v10, v10, v14, vcc
	v_cndmask_b32_e32 v11, v12, v13, vcc
	v_lshlrev_b32_e32 v12, 8, v6
	v_mov_b32_e32 v13, 0x3b800000
	v_lshlrev_b32_e32 v10, 20, v10
	v_and_b32_e32 v12, 0x80000000, v12
	v_lshl_add_u32 v11, v11, 23, v13
	v_or3_b32 v10, v12, v11, v10
.LBB57_1684:
	s_or_b64 exec, exec, s[6:7]
	s_movk_i32 s4, 0xff
	v_and_b32_sdwa v11, v2, s4 dst_sel:DWORD dst_unused:UNUSED_PAD src0_sel:WORD_1 src1_sel:DWORD
	s_movk_i32 s4, 0x7f
	v_cmp_lt_i16_e32 vcc, s4, v11
	s_mov_b64 s[4:5], 0
                                        ; implicit-def: $sgpr10
	s_and_saveexec_b64 s[6:7], vcc
	s_xor_b64 s[6:7], exec, s[6:7]
	s_cbranch_execnz .LBB57_3733
; %bb.1685:
	s_or_saveexec_b64 s[6:7], s[6:7]
	v_mov_b32_e32 v12, s10
	s_xor_b64 exec, exec, s[6:7]
	s_cbranch_execnz .LBB57_3736
.LBB57_1686:
	s_or_b64 exec, exec, s[6:7]
	s_and_saveexec_b64 s[6:7], s[4:5]
	s_cbranch_execz .LBB57_1688
.LBB57_1687:
	v_bfe_u32 v11, v2, 16, 3
	v_ffbh_u32_e32 v14, v11
	v_min_u32_e32 v14, 32, v14
	v_lshrrev_b32_e32 v12, 19, v2
	v_subrev_u32_e32 v15, 28, v14
	v_and_b32_e32 v12, 15, v12
	v_lshlrev_b32_sdwa v15, v15, v2 dst_sel:DWORD dst_unused:UNUSED_PAD src0_sel:DWORD src1_sel:WORD_1
	v_bfe_u32 v13, v2, 19, 4
	v_sub_u32_e32 v14, 29, v14
	v_and_b32_e32 v15, 7, v15
	v_cmp_eq_u16_e32 vcc, 0, v12
	v_cndmask_b32_e32 v11, v11, v15, vcc
	v_cndmask_b32_e32 v12, v13, v14, vcc
	v_lshlrev_b32_e32 v13, 8, v2
	v_mov_b32_e32 v14, 0x3b800000
	v_lshlrev_b32_e32 v11, 20, v11
	v_and_b32_e32 v13, 0x80000000, v13
	v_lshl_add_u32 v12, v12, 23, v14
	v_or3_b32 v12, v13, v12, v11
.LBB57_1688:
	s_or_b64 exec, exec, s[6:7]
	s_nop 0
	v_mfma_f32_16x16x4f32 a[0:3], v10, v12, a[0:3]
	s_movk_i32 s4, 0x7f
	v_cmp_gt_i16_sdwa s[6:7], v6, s4 src0_sel:BYTE_3 src1_sel:DWORD
	s_mov_b64 s[4:5], 0
                                        ; implicit-def: $sgpr10
	s_and_saveexec_b64 s[8:9], s[6:7]
	s_xor_b64 s[6:7], exec, s[8:9]
	s_cbranch_execnz .LBB57_3737
; %bb.1689:
	s_or_saveexec_b64 s[6:7], s[6:7]
	v_mov_b32_e32 v10, s10
	s_xor_b64 exec, exec, s[6:7]
	s_cbranch_execnz .LBB57_3740
.LBB57_1690:
	s_or_b64 exec, exec, s[6:7]
	s_and_saveexec_b64 s[6:7], s[4:5]
	s_cbranch_execz .LBB57_1692
.LBB57_1691:
	v_bfe_u32 v10, v6, 24, 3
	v_ffbh_u32_e32 v14, v10
	v_min_u32_e32 v14, 32, v14
	v_lshrrev_b32_e32 v12, 27, v6
	v_subrev_u32_e32 v15, 28, v14
	v_and_b32_e32 v11, 0x80000000, v6
	v_and_b32_e32 v12, 15, v12
	v_bfe_u32 v13, v6, 27, 4
	v_lshlrev_b32_sdwa v6, v15, v6 dst_sel:DWORD dst_unused:UNUSED_PAD src0_sel:DWORD src1_sel:BYTE_3
	v_sub_u32_e32 v14, 29, v14
	v_and_b32_e32 v6, 7, v6
	v_cmp_eq_u16_e32 vcc, 0, v12
	v_cndmask_b32_e32 v6, v10, v6, vcc
	v_cndmask_b32_e32 v10, v13, v14, vcc
	v_mov_b32_e32 v12, 0x3b800000
	v_lshlrev_b32_e32 v6, 20, v6
	v_lshl_add_u32 v10, v10, 23, v12
	v_or3_b32 v10, v11, v10, v6
.LBB57_1692:
	s_or_b64 exec, exec, s[6:7]
	s_movk_i32 s4, 0x7f
	v_cmp_gt_i16_sdwa s[6:7], v2, s4 src0_sel:BYTE_3 src1_sel:DWORD
	s_mov_b64 s[4:5], 0
                                        ; implicit-def: $sgpr10
	s_and_saveexec_b64 s[8:9], s[6:7]
	s_xor_b64 s[6:7], exec, s[8:9]
	s_cbranch_execnz .LBB57_3741
; %bb.1693:
	s_or_saveexec_b64 s[6:7], s[6:7]
	v_mov_b32_e32 v6, s10
	s_xor_b64 exec, exec, s[6:7]
	s_cbranch_execnz .LBB57_3744
.LBB57_1694:
	s_or_b64 exec, exec, s[6:7]
	s_and_saveexec_b64 s[6:7], s[4:5]
	s_cbranch_execz .LBB57_1696
.LBB57_1695:
	v_bfe_u32 v6, v2, 24, 3
	v_ffbh_u32_e32 v14, v6
	v_min_u32_e32 v14, 32, v14
	v_lshrrev_b32_e32 v12, 27, v2
	v_subrev_u32_e32 v15, 28, v14
	v_and_b32_e32 v11, 0x80000000, v2
	v_and_b32_e32 v12, 15, v12
	v_bfe_u32 v13, v2, 27, 4
	v_lshlrev_b32_sdwa v2, v15, v2 dst_sel:DWORD dst_unused:UNUSED_PAD src0_sel:DWORD src1_sel:BYTE_3
	v_sub_u32_e32 v14, 29, v14
	v_and_b32_e32 v2, 7, v2
	v_cmp_eq_u16_e32 vcc, 0, v12
	v_cndmask_b32_e32 v2, v6, v2, vcc
	v_cndmask_b32_e32 v6, v13, v14, vcc
	v_mov_b32_e32 v12, 0x3b800000
	v_lshlrev_b32_e32 v2, 20, v2
	v_lshl_add_u32 v6, v6, 23, v12
	v_or3_b32 v6, v11, v6, v2
.LBB57_1696:
	s_or_b64 exec, exec, s[6:7]
	s_nop 0
	v_mfma_f32_16x16x4f32 a[0:3], v10, v6, a[0:3]
	s_movk_i32 s4, 0x7f
	v_cmp_gt_i16_sdwa s[6:7], v7, s4 src0_sel:BYTE_0 src1_sel:DWORD
	s_mov_b64 s[4:5], 0
                                        ; implicit-def: $sgpr10
	s_and_saveexec_b64 s[8:9], s[6:7]
	s_xor_b64 s[6:7], exec, s[8:9]
	s_cbranch_execnz .LBB57_3745
; %bb.1697:
	s_or_saveexec_b64 s[6:7], s[6:7]
	v_mov_b32_e32 v2, s10
	s_xor_b64 exec, exec, s[6:7]
	s_cbranch_execnz .LBB57_3748
.LBB57_1698:
	s_or_b64 exec, exec, s[6:7]
	s_and_saveexec_b64 s[6:7], s[4:5]
	s_cbranch_execz .LBB57_1700
.LBB57_1699:
	v_and_b32_e32 v2, 7, v7
	v_ffbh_u32_e32 v10, v2
	v_min_u32_e32 v10, 32, v10
	v_lshrrev_b16_e32 v6, 3, v7
	v_subrev_u32_e32 v11, 28, v10
	v_and_b32_e32 v6, 15, v6
	v_lshlrev_b32_e32 v11, v11, v7
	v_sub_u32_e32 v10, 29, v10
	v_and_b32_e32 v11, 7, v11
	v_cmp_eq_u16_e32 vcc, 0, v6
	v_cndmask_b32_e32 v2, v2, v11, vcc
	v_cndmask_b32_e32 v6, v6, v10, vcc
	v_lshlrev_b32_e32 v10, 24, v7
	v_mov_b32_e32 v11, 0x3b800000
	v_lshlrev_b32_e32 v2, 20, v2
	v_and_b32_e32 v10, 0x80000000, v10
	v_lshl_add_u32 v6, v6, 23, v11
	v_or3_b32 v2, v10, v6, v2
.LBB57_1700:
	s_or_b64 exec, exec, s[6:7]
	s_movk_i32 s4, 0x7f
	v_cmp_gt_i16_sdwa s[6:7], v3, s4 src0_sel:BYTE_0 src1_sel:DWORD
	s_mov_b64 s[4:5], 0
                                        ; implicit-def: $sgpr10
	s_and_saveexec_b64 s[8:9], s[6:7]
	s_xor_b64 s[6:7], exec, s[8:9]
	s_cbranch_execnz .LBB57_3749
; %bb.1701:
	s_or_saveexec_b64 s[6:7], s[6:7]
	v_mov_b32_e32 v6, s10
	s_xor_b64 exec, exec, s[6:7]
	s_cbranch_execnz .LBB57_3752
.LBB57_1702:
	s_or_b64 exec, exec, s[6:7]
	s_and_saveexec_b64 s[6:7], s[4:5]
	s_cbranch_execz .LBB57_1704
.LBB57_1703:
	v_and_b32_e32 v6, 7, v3
	v_ffbh_u32_e32 v11, v6
	v_min_u32_e32 v11, 32, v11
	v_lshrrev_b16_e32 v10, 3, v3
	v_subrev_u32_e32 v12, 28, v11
	v_and_b32_e32 v10, 15, v10
	v_lshlrev_b32_e32 v12, v12, v3
	v_sub_u32_e32 v11, 29, v11
	v_and_b32_e32 v12, 7, v12
	v_cmp_eq_u16_e32 vcc, 0, v10
	v_cndmask_b32_e32 v6, v6, v12, vcc
	v_cndmask_b32_e32 v10, v10, v11, vcc
	v_lshlrev_b32_e32 v11, 24, v3
	v_mov_b32_e32 v12, 0x3b800000
	v_lshlrev_b32_e32 v6, 20, v6
	v_and_b32_e32 v11, 0x80000000, v11
	v_lshl_add_u32 v10, v10, 23, v12
	v_or3_b32 v6, v11, v10, v6
.LBB57_1704:
	s_or_b64 exec, exec, s[6:7]
	s_nop 0
	v_mfma_f32_16x16x4f32 a[0:3], v2, v6, a[0:3]
	v_lshrrev_b32_e32 v6, 8, v7
	s_movk_i32 s4, 0x7f
	v_cmp_gt_i16_sdwa s[6:7], v6, s4 src0_sel:BYTE_0 src1_sel:DWORD
	s_mov_b64 s[4:5], 0
                                        ; implicit-def: $sgpr10
	s_and_saveexec_b64 s[8:9], s[6:7]
	s_xor_b64 s[6:7], exec, s[8:9]
	s_cbranch_execnz .LBB57_3753
; %bb.1705:
	s_or_saveexec_b64 s[6:7], s[6:7]
	v_mov_b32_e32 v2, s10
	s_xor_b64 exec, exec, s[6:7]
	s_cbranch_execnz .LBB57_3756
.LBB57_1706:
	s_or_b64 exec, exec, s[6:7]
	s_and_saveexec_b64 s[6:7], s[4:5]
	s_cbranch_execz .LBB57_1708
.LBB57_1707:
	v_bfe_u32 v2, v7, 8, 3
	v_ffbh_u32_e32 v11, v2
	v_min_u32_e32 v11, 32, v11
	v_lshrrev_b16_e32 v10, 3, v6
	v_subrev_u32_e32 v12, 28, v11
	v_and_b32_e32 v10, 15, v10
	v_lshlrev_b32_e32 v6, v12, v6
	v_sub_u32_e32 v11, 29, v11
	v_and_b32_e32 v6, 7, v6
	v_cmp_eq_u16_e32 vcc, 0, v10
	v_cndmask_b32_e32 v2, v2, v6, vcc
	v_cndmask_b32_e32 v6, v10, v11, vcc
	v_lshlrev_b32_e32 v10, 16, v7
	v_mov_b32_e32 v11, 0x3b800000
	v_lshlrev_b32_e32 v2, 20, v2
	v_and_b32_e32 v10, 0x80000000, v10
	v_lshl_add_u32 v6, v6, 23, v11
	v_or3_b32 v2, v10, v6, v2
.LBB57_1708:
	s_or_b64 exec, exec, s[6:7]
	v_lshrrev_b32_e32 v6, 8, v3
	s_movk_i32 s4, 0x7f
	v_cmp_gt_i16_sdwa s[6:7], v6, s4 src0_sel:BYTE_0 src1_sel:DWORD
	s_mov_b64 s[4:5], 0
                                        ; implicit-def: $sgpr10
	s_and_saveexec_b64 s[8:9], s[6:7]
	s_xor_b64 s[6:7], exec, s[8:9]
	s_cbranch_execnz .LBB57_3757
; %bb.1709:
	s_or_saveexec_b64 s[6:7], s[6:7]
	v_mov_b32_e32 v10, s10
	s_xor_b64 exec, exec, s[6:7]
	s_cbranch_execnz .LBB57_3760
.LBB57_1710:
	s_or_b64 exec, exec, s[6:7]
	s_and_saveexec_b64 s[6:7], s[4:5]
	s_cbranch_execz .LBB57_1712
.LBB57_1711:
	v_bfe_u32 v10, v3, 8, 3
	v_ffbh_u32_e32 v12, v10
	v_min_u32_e32 v12, 32, v12
	v_lshrrev_b16_e32 v11, 3, v6
	v_subrev_u32_e32 v13, 28, v12
	v_and_b32_e32 v11, 15, v11
	v_lshlrev_b32_e32 v6, v13, v6
	v_sub_u32_e32 v12, 29, v12
	v_and_b32_e32 v6, 7, v6
	v_cmp_eq_u16_e32 vcc, 0, v11
	v_cndmask_b32_e32 v6, v10, v6, vcc
	v_cndmask_b32_e32 v10, v11, v12, vcc
	v_lshlrev_b32_e32 v11, 16, v3
	v_mov_b32_e32 v12, 0x3b800000
	v_lshlrev_b32_e32 v6, 20, v6
	v_and_b32_e32 v11, 0x80000000, v11
	v_lshl_add_u32 v10, v10, 23, v12
	v_or3_b32 v10, v11, v10, v6
.LBB57_1712:
	s_or_b64 exec, exec, s[6:7]
	s_nop 0
	v_mfma_f32_16x16x4f32 a[0:3], v2, v10, a[0:3]
	s_movk_i32 s4, 0xff
	v_and_b32_sdwa v6, v7, s4 dst_sel:DWORD dst_unused:UNUSED_PAD src0_sel:WORD_1 src1_sel:DWORD
	s_movk_i32 s4, 0x7f
	v_cmp_lt_i16_e32 vcc, s4, v6
	s_mov_b64 s[4:5], 0
                                        ; implicit-def: $sgpr10
	s_and_saveexec_b64 s[6:7], vcc
	s_xor_b64 s[6:7], exec, s[6:7]
	s_cbranch_execnz .LBB57_3761
; %bb.1713:
	s_or_saveexec_b64 s[6:7], s[6:7]
	v_mov_b32_e32 v2, s10
	s_xor_b64 exec, exec, s[6:7]
	s_cbranch_execnz .LBB57_3764
.LBB57_1714:
	s_or_b64 exec, exec, s[6:7]
	s_and_saveexec_b64 s[6:7], s[4:5]
	s_cbranch_execz .LBB57_1716
.LBB57_1715:
	v_bfe_u32 v2, v7, 16, 3
	v_ffbh_u32_e32 v11, v2
	v_min_u32_e32 v11, 32, v11
	v_lshrrev_b32_e32 v6, 19, v7
	v_subrev_u32_e32 v12, 28, v11
	v_and_b32_e32 v6, 15, v6
	v_lshlrev_b32_sdwa v12, v12, v7 dst_sel:DWORD dst_unused:UNUSED_PAD src0_sel:DWORD src1_sel:WORD_1
	v_bfe_u32 v10, v7, 19, 4
	v_sub_u32_e32 v11, 29, v11
	v_and_b32_e32 v12, 7, v12
	v_cmp_eq_u16_e32 vcc, 0, v6
	v_cndmask_b32_e32 v2, v2, v12, vcc
	v_cndmask_b32_e32 v6, v10, v11, vcc
	v_lshlrev_b32_e32 v10, 8, v7
	v_mov_b32_e32 v11, 0x3b800000
	v_lshlrev_b32_e32 v2, 20, v2
	v_and_b32_e32 v10, 0x80000000, v10
	v_lshl_add_u32 v6, v6, 23, v11
	v_or3_b32 v2, v10, v6, v2
.LBB57_1716:
	s_or_b64 exec, exec, s[6:7]
	s_movk_i32 s4, 0xff
	v_and_b32_sdwa v6, v3, s4 dst_sel:DWORD dst_unused:UNUSED_PAD src0_sel:WORD_1 src1_sel:DWORD
	s_movk_i32 s4, 0x7f
	v_cmp_lt_i16_e32 vcc, s4, v6
	s_mov_b64 s[4:5], 0
                                        ; implicit-def: $sgpr10
	s_and_saveexec_b64 s[6:7], vcc
	s_xor_b64 s[6:7], exec, s[6:7]
	s_cbranch_execnz .LBB57_3765
; %bb.1717:
	s_or_saveexec_b64 s[6:7], s[6:7]
	v_mov_b32_e32 v10, s10
	s_xor_b64 exec, exec, s[6:7]
	s_cbranch_execnz .LBB57_3768
.LBB57_1718:
	s_or_b64 exec, exec, s[6:7]
	s_and_saveexec_b64 s[6:7], s[4:5]
	s_cbranch_execz .LBB57_1720
.LBB57_1719:
	v_bfe_u32 v6, v3, 16, 3
	v_ffbh_u32_e32 v12, v6
	v_min_u32_e32 v12, 32, v12
	v_lshrrev_b32_e32 v10, 19, v3
	v_subrev_u32_e32 v13, 28, v12
	v_and_b32_e32 v10, 15, v10
	v_lshlrev_b32_sdwa v13, v13, v3 dst_sel:DWORD dst_unused:UNUSED_PAD src0_sel:DWORD src1_sel:WORD_1
	v_bfe_u32 v11, v3, 19, 4
	v_sub_u32_e32 v12, 29, v12
	v_and_b32_e32 v13, 7, v13
	v_cmp_eq_u16_e32 vcc, 0, v10
	v_cndmask_b32_e32 v6, v6, v13, vcc
	v_cndmask_b32_e32 v10, v11, v12, vcc
	v_lshlrev_b32_e32 v11, 8, v3
	v_mov_b32_e32 v12, 0x3b800000
	v_lshlrev_b32_e32 v6, 20, v6
	v_and_b32_e32 v11, 0x80000000, v11
	v_lshl_add_u32 v10, v10, 23, v12
	v_or3_b32 v10, v11, v10, v6
.LBB57_1720:
	s_or_b64 exec, exec, s[6:7]
	s_nop 0
	v_mfma_f32_16x16x4f32 a[0:3], v2, v10, a[0:3]
	s_movk_i32 s4, 0x7f
	v_cmp_gt_i16_sdwa s[6:7], v7, s4 src0_sel:BYTE_3 src1_sel:DWORD
	s_mov_b64 s[4:5], 0
                                        ; implicit-def: $sgpr10
	s_and_saveexec_b64 s[8:9], s[6:7]
	s_xor_b64 s[6:7], exec, s[8:9]
	s_cbranch_execnz .LBB57_3769
; %bb.1721:
	s_or_saveexec_b64 s[6:7], s[6:7]
	v_mov_b32_e32 v2, s10
	s_xor_b64 exec, exec, s[6:7]
	s_cbranch_execnz .LBB57_3772
.LBB57_1722:
	s_or_b64 exec, exec, s[6:7]
	s_and_saveexec_b64 s[6:7], s[4:5]
	s_cbranch_execz .LBB57_1724
.LBB57_1723:
	v_bfe_u32 v2, v7, 24, 3
	v_ffbh_u32_e32 v12, v2
	v_min_u32_e32 v12, 32, v12
	v_lshrrev_b32_e32 v10, 27, v7
	v_subrev_u32_e32 v13, 28, v12
	v_and_b32_e32 v6, 0x80000000, v7
	v_and_b32_e32 v10, 15, v10
	v_bfe_u32 v11, v7, 27, 4
	v_lshlrev_b32_sdwa v7, v13, v7 dst_sel:DWORD dst_unused:UNUSED_PAD src0_sel:DWORD src1_sel:BYTE_3
	v_sub_u32_e32 v12, 29, v12
	v_and_b32_e32 v7, 7, v7
	v_cmp_eq_u16_e32 vcc, 0, v10
	v_cndmask_b32_e32 v2, v2, v7, vcc
	v_cndmask_b32_e32 v7, v11, v12, vcc
	v_mov_b32_e32 v10, 0x3b800000
	v_lshlrev_b32_e32 v2, 20, v2
	v_lshl_add_u32 v7, v7, 23, v10
	v_or3_b32 v2, v6, v7, v2
.LBB57_1724:
	s_or_b64 exec, exec, s[6:7]
	s_movk_i32 s4, 0x7f
	v_cmp_gt_i16_sdwa s[6:7], v3, s4 src0_sel:BYTE_3 src1_sel:DWORD
	s_mov_b64 s[4:5], 0
                                        ; implicit-def: $sgpr10
	s_and_saveexec_b64 s[8:9], s[6:7]
	s_xor_b64 s[6:7], exec, s[8:9]
	s_cbranch_execnz .LBB57_3773
; %bb.1725:
	s_or_saveexec_b64 s[6:7], s[6:7]
	v_mov_b32_e32 v6, s10
	s_xor_b64 exec, exec, s[6:7]
	s_cbranch_execnz .LBB57_3776
.LBB57_1726:
	s_or_b64 exec, exec, s[6:7]
	s_and_saveexec_b64 s[6:7], s[4:5]
	s_cbranch_execz .LBB57_1728
.LBB57_1727:
	v_bfe_u32 v6, v3, 24, 3
	v_ffbh_u32_e32 v12, v6
	v_min_u32_e32 v12, 32, v12
	v_lshrrev_b32_e32 v10, 27, v3
	v_subrev_u32_e32 v13, 28, v12
	v_and_b32_e32 v7, 0x80000000, v3
	v_and_b32_e32 v10, 15, v10
	v_bfe_u32 v11, v3, 27, 4
	v_lshlrev_b32_sdwa v3, v13, v3 dst_sel:DWORD dst_unused:UNUSED_PAD src0_sel:DWORD src1_sel:BYTE_3
	v_sub_u32_e32 v12, 29, v12
	v_and_b32_e32 v3, 7, v3
	v_cmp_eq_u16_e32 vcc, 0, v10
	v_cndmask_b32_e32 v3, v6, v3, vcc
	v_cndmask_b32_e32 v6, v11, v12, vcc
	v_mov_b32_e32 v10, 0x3b800000
	v_lshlrev_b32_e32 v3, 20, v3
	v_lshl_add_u32 v6, v6, 23, v10
	v_or3_b32 v6, v7, v6, v3
.LBB57_1728:
	s_or_b64 exec, exec, s[6:7]
	s_nop 0
	v_mfma_f32_16x16x4f32 a[0:3], v2, v6, a[0:3]
	s_movk_i32 s4, 0x7f
	v_cmp_gt_i16_sdwa s[6:7], v8, s4 src0_sel:BYTE_0 src1_sel:DWORD
	s_mov_b64 s[4:5], 0
                                        ; implicit-def: $sgpr10
	s_and_saveexec_b64 s[8:9], s[6:7]
	s_xor_b64 s[6:7], exec, s[8:9]
	s_cbranch_execnz .LBB57_3777
; %bb.1729:
	s_or_saveexec_b64 s[6:7], s[6:7]
	v_mov_b32_e32 v2, s10
	s_xor_b64 exec, exec, s[6:7]
	s_cbranch_execnz .LBB57_3780
.LBB57_1730:
	s_or_b64 exec, exec, s[6:7]
	s_and_saveexec_b64 s[6:7], s[4:5]
	s_cbranch_execz .LBB57_1732
.LBB57_1731:
	v_and_b32_e32 v2, 7, v8
	v_ffbh_u32_e32 v6, v2
	v_min_u32_e32 v6, 32, v6
	v_lshrrev_b16_e32 v3, 3, v8
	v_subrev_u32_e32 v7, 28, v6
	v_and_b32_e32 v3, 15, v3
	v_lshlrev_b32_e32 v7, v7, v8
	v_sub_u32_e32 v6, 29, v6
	v_and_b32_e32 v7, 7, v7
	v_cmp_eq_u16_e32 vcc, 0, v3
	v_cndmask_b32_e32 v2, v2, v7, vcc
	v_cndmask_b32_e32 v3, v3, v6, vcc
	v_lshlrev_b32_e32 v6, 24, v8
	v_mov_b32_e32 v7, 0x3b800000
	v_lshlrev_b32_e32 v2, 20, v2
	v_and_b32_e32 v6, 0x80000000, v6
	v_lshl_add_u32 v3, v3, 23, v7
	v_or3_b32 v2, v6, v3, v2
.LBB57_1732:
	s_or_b64 exec, exec, s[6:7]
	s_movk_i32 s4, 0x7f
	v_cmp_gt_i16_sdwa s[6:7], v4, s4 src0_sel:BYTE_0 src1_sel:DWORD
	s_mov_b64 s[4:5], 0
                                        ; implicit-def: $sgpr10
	s_and_saveexec_b64 s[8:9], s[6:7]
	s_xor_b64 s[6:7], exec, s[8:9]
	s_cbranch_execnz .LBB57_3781
; %bb.1733:
	s_or_saveexec_b64 s[6:7], s[6:7]
	v_mov_b32_e32 v3, s10
	s_xor_b64 exec, exec, s[6:7]
	s_cbranch_execnz .LBB57_3784
.LBB57_1734:
	s_or_b64 exec, exec, s[6:7]
	s_and_saveexec_b64 s[6:7], s[4:5]
	s_cbranch_execz .LBB57_1736
.LBB57_1735:
	v_and_b32_e32 v3, 7, v4
	v_ffbh_u32_e32 v7, v3
	v_min_u32_e32 v7, 32, v7
	v_lshrrev_b16_e32 v6, 3, v4
	v_subrev_u32_e32 v10, 28, v7
	v_and_b32_e32 v6, 15, v6
	v_lshlrev_b32_e32 v10, v10, v4
	v_sub_u32_e32 v7, 29, v7
	v_and_b32_e32 v10, 7, v10
	v_cmp_eq_u16_e32 vcc, 0, v6
	v_cndmask_b32_e32 v3, v3, v10, vcc
	v_cndmask_b32_e32 v6, v6, v7, vcc
	v_lshlrev_b32_e32 v7, 24, v4
	v_mov_b32_e32 v10, 0x3b800000
	v_lshlrev_b32_e32 v3, 20, v3
	v_and_b32_e32 v7, 0x80000000, v7
	v_lshl_add_u32 v6, v6, 23, v10
	v_or3_b32 v3, v7, v6, v3
.LBB57_1736:
	s_or_b64 exec, exec, s[6:7]
	s_nop 0
	v_mfma_f32_16x16x4f32 a[0:3], v2, v3, a[0:3]
	v_lshrrev_b32_e32 v3, 8, v8
	s_movk_i32 s4, 0x7f
	v_cmp_gt_i16_sdwa s[6:7], v3, s4 src0_sel:BYTE_0 src1_sel:DWORD
	s_mov_b64 s[4:5], 0
                                        ; implicit-def: $sgpr10
	s_and_saveexec_b64 s[8:9], s[6:7]
	s_xor_b64 s[6:7], exec, s[8:9]
	s_cbranch_execnz .LBB57_3785
; %bb.1737:
	s_or_saveexec_b64 s[6:7], s[6:7]
	v_mov_b32_e32 v2, s10
	s_xor_b64 exec, exec, s[6:7]
	s_cbranch_execnz .LBB57_3788
.LBB57_1738:
	s_or_b64 exec, exec, s[6:7]
	s_and_saveexec_b64 s[6:7], s[4:5]
	s_cbranch_execz .LBB57_1740
.LBB57_1739:
	v_bfe_u32 v2, v8, 8, 3
	v_ffbh_u32_e32 v7, v2
	v_min_u32_e32 v7, 32, v7
	v_lshrrev_b16_e32 v6, 3, v3
	v_subrev_u32_e32 v10, 28, v7
	v_and_b32_e32 v6, 15, v6
	v_lshlrev_b32_e32 v3, v10, v3
	v_sub_u32_e32 v7, 29, v7
	v_and_b32_e32 v3, 7, v3
	v_cmp_eq_u16_e32 vcc, 0, v6
	v_cndmask_b32_e32 v2, v2, v3, vcc
	v_cndmask_b32_e32 v3, v6, v7, vcc
	v_lshlrev_b32_e32 v6, 16, v8
	v_mov_b32_e32 v7, 0x3b800000
	v_lshlrev_b32_e32 v2, 20, v2
	v_and_b32_e32 v6, 0x80000000, v6
	v_lshl_add_u32 v3, v3, 23, v7
	v_or3_b32 v2, v6, v3, v2
.LBB57_1740:
	s_or_b64 exec, exec, s[6:7]
	v_lshrrev_b32_e32 v3, 8, v4
	s_movk_i32 s4, 0x7f
	v_cmp_gt_i16_sdwa s[6:7], v3, s4 src0_sel:BYTE_0 src1_sel:DWORD
	s_mov_b64 s[4:5], 0
                                        ; implicit-def: $sgpr10
	s_and_saveexec_b64 s[8:9], s[6:7]
	s_xor_b64 s[6:7], exec, s[8:9]
	s_cbranch_execnz .LBB57_3789
; %bb.1741:
	s_or_saveexec_b64 s[6:7], s[6:7]
	v_mov_b32_e32 v6, s10
	s_xor_b64 exec, exec, s[6:7]
	s_cbranch_execnz .LBB57_3792
.LBB57_1742:
	s_or_b64 exec, exec, s[6:7]
	s_and_saveexec_b64 s[6:7], s[4:5]
	s_cbranch_execz .LBB57_1744
.LBB57_1743:
	v_bfe_u32 v6, v4, 8, 3
	v_ffbh_u32_e32 v10, v6
	v_min_u32_e32 v10, 32, v10
	v_lshrrev_b16_e32 v7, 3, v3
	v_subrev_u32_e32 v11, 28, v10
	v_and_b32_e32 v7, 15, v7
	v_lshlrev_b32_e32 v3, v11, v3
	v_sub_u32_e32 v10, 29, v10
	v_and_b32_e32 v3, 7, v3
	v_cmp_eq_u16_e32 vcc, 0, v7
	v_cndmask_b32_e32 v3, v6, v3, vcc
	v_cndmask_b32_e32 v6, v7, v10, vcc
	v_lshlrev_b32_e32 v7, 16, v4
	v_mov_b32_e32 v10, 0x3b800000
	v_lshlrev_b32_e32 v3, 20, v3
	v_and_b32_e32 v7, 0x80000000, v7
	v_lshl_add_u32 v6, v6, 23, v10
	v_or3_b32 v6, v7, v6, v3
.LBB57_1744:
	s_or_b64 exec, exec, s[6:7]
	s_nop 0
	v_mfma_f32_16x16x4f32 a[0:3], v2, v6, a[0:3]
	s_movk_i32 s4, 0xff
	v_and_b32_sdwa v3, v8, s4 dst_sel:DWORD dst_unused:UNUSED_PAD src0_sel:WORD_1 src1_sel:DWORD
	s_movk_i32 s4, 0x7f
	v_cmp_lt_i16_e32 vcc, s4, v3
	s_mov_b64 s[4:5], 0
                                        ; implicit-def: $sgpr10
	s_and_saveexec_b64 s[6:7], vcc
	s_xor_b64 s[6:7], exec, s[6:7]
	s_cbranch_execnz .LBB57_3793
; %bb.1745:
	s_or_saveexec_b64 s[6:7], s[6:7]
	v_mov_b32_e32 v2, s10
	s_xor_b64 exec, exec, s[6:7]
	s_cbranch_execnz .LBB57_3796
.LBB57_1746:
	s_or_b64 exec, exec, s[6:7]
	s_and_saveexec_b64 s[6:7], s[4:5]
	s_cbranch_execz .LBB57_1748
.LBB57_1747:
	v_bfe_u32 v2, v8, 16, 3
	v_ffbh_u32_e32 v7, v2
	v_min_u32_e32 v7, 32, v7
	v_lshrrev_b32_e32 v3, 19, v8
	v_subrev_u32_e32 v10, 28, v7
	v_and_b32_e32 v3, 15, v3
	v_lshlrev_b32_sdwa v10, v10, v8 dst_sel:DWORD dst_unused:UNUSED_PAD src0_sel:DWORD src1_sel:WORD_1
	v_bfe_u32 v6, v8, 19, 4
	v_sub_u32_e32 v7, 29, v7
	v_and_b32_e32 v10, 7, v10
	v_cmp_eq_u16_e32 vcc, 0, v3
	v_cndmask_b32_e32 v2, v2, v10, vcc
	v_cndmask_b32_e32 v3, v6, v7, vcc
	v_lshlrev_b32_e32 v6, 8, v8
	v_mov_b32_e32 v7, 0x3b800000
	v_lshlrev_b32_e32 v2, 20, v2
	v_and_b32_e32 v6, 0x80000000, v6
	v_lshl_add_u32 v3, v3, 23, v7
	v_or3_b32 v2, v6, v3, v2
.LBB57_1748:
	s_or_b64 exec, exec, s[6:7]
	s_movk_i32 s4, 0xff
	v_and_b32_sdwa v3, v4, s4 dst_sel:DWORD dst_unused:UNUSED_PAD src0_sel:WORD_1 src1_sel:DWORD
	s_movk_i32 s4, 0x7f
	v_cmp_lt_i16_e32 vcc, s4, v3
	s_mov_b64 s[4:5], 0
                                        ; implicit-def: $sgpr10
	s_and_saveexec_b64 s[6:7], vcc
	s_xor_b64 s[6:7], exec, s[6:7]
	s_cbranch_execnz .LBB57_3797
; %bb.1749:
	s_or_saveexec_b64 s[6:7], s[6:7]
	v_mov_b32_e32 v6, s10
	s_xor_b64 exec, exec, s[6:7]
	s_cbranch_execnz .LBB57_3800
.LBB57_1750:
	s_or_b64 exec, exec, s[6:7]
	s_and_saveexec_b64 s[6:7], s[4:5]
	s_cbranch_execz .LBB57_1752
.LBB57_1751:
	v_bfe_u32 v3, v4, 16, 3
	v_ffbh_u32_e32 v10, v3
	v_min_u32_e32 v10, 32, v10
	v_lshrrev_b32_e32 v6, 19, v4
	v_subrev_u32_e32 v11, 28, v10
	v_and_b32_e32 v6, 15, v6
	v_lshlrev_b32_sdwa v11, v11, v4 dst_sel:DWORD dst_unused:UNUSED_PAD src0_sel:DWORD src1_sel:WORD_1
	v_bfe_u32 v7, v4, 19, 4
	v_sub_u32_e32 v10, 29, v10
	v_and_b32_e32 v11, 7, v11
	v_cmp_eq_u16_e32 vcc, 0, v6
	v_cndmask_b32_e32 v3, v3, v11, vcc
	v_cndmask_b32_e32 v6, v7, v10, vcc
	v_lshlrev_b32_e32 v7, 8, v4
	v_mov_b32_e32 v10, 0x3b800000
	v_lshlrev_b32_e32 v3, 20, v3
	v_and_b32_e32 v7, 0x80000000, v7
	v_lshl_add_u32 v6, v6, 23, v10
	v_or3_b32 v6, v7, v6, v3
.LBB57_1752:
	s_or_b64 exec, exec, s[6:7]
	s_nop 0
	v_mfma_f32_16x16x4f32 a[0:3], v2, v6, a[0:3]
	s_movk_i32 s4, 0x7f
	v_cmp_gt_i16_sdwa s[6:7], v8, s4 src0_sel:BYTE_3 src1_sel:DWORD
	s_mov_b64 s[4:5], 0
                                        ; implicit-def: $sgpr10
	s_and_saveexec_b64 s[8:9], s[6:7]
	s_xor_b64 s[6:7], exec, s[8:9]
	s_cbranch_execnz .LBB57_3801
; %bb.1753:
	s_or_saveexec_b64 s[6:7], s[6:7]
	v_mov_b32_e32 v2, s10
	s_xor_b64 exec, exec, s[6:7]
	s_cbranch_execnz .LBB57_3804
.LBB57_1754:
	s_or_b64 exec, exec, s[6:7]
	s_and_saveexec_b64 s[6:7], s[4:5]
	s_cbranch_execz .LBB57_1756
.LBB57_1755:
	v_bfe_u32 v2, v8, 24, 3
	v_ffbh_u32_e32 v10, v2
	v_min_u32_e32 v10, 32, v10
	v_lshrrev_b32_e32 v6, 27, v8
	v_subrev_u32_e32 v11, 28, v10
	v_and_b32_e32 v3, 0x80000000, v8
	v_and_b32_e32 v6, 15, v6
	v_bfe_u32 v7, v8, 27, 4
	v_lshlrev_b32_sdwa v8, v11, v8 dst_sel:DWORD dst_unused:UNUSED_PAD src0_sel:DWORD src1_sel:BYTE_3
	v_sub_u32_e32 v10, 29, v10
	v_and_b32_e32 v8, 7, v8
	v_cmp_eq_u16_e32 vcc, 0, v6
	v_cndmask_b32_e32 v2, v2, v8, vcc
	v_cndmask_b32_e32 v6, v7, v10, vcc
	v_mov_b32_e32 v7, 0x3b800000
	v_lshlrev_b32_e32 v2, 20, v2
	v_lshl_add_u32 v6, v6, 23, v7
	v_or3_b32 v2, v3, v6, v2
.LBB57_1756:
	s_or_b64 exec, exec, s[6:7]
	s_movk_i32 s4, 0x7f
	v_cmp_gt_i16_sdwa s[6:7], v4, s4 src0_sel:BYTE_3 src1_sel:DWORD
	s_mov_b64 s[4:5], 0
                                        ; implicit-def: $sgpr10
	s_and_saveexec_b64 s[8:9], s[6:7]
	s_xor_b64 s[6:7], exec, s[8:9]
	s_cbranch_execnz .LBB57_3805
; %bb.1757:
	s_or_saveexec_b64 s[6:7], s[6:7]
	v_mov_b32_e32 v3, s10
	s_xor_b64 exec, exec, s[6:7]
	s_cbranch_execnz .LBB57_3808
.LBB57_1758:
	s_or_b64 exec, exec, s[6:7]
	s_and_saveexec_b64 s[6:7], s[4:5]
	s_cbranch_execz .LBB57_1760
.LBB57_1759:
	v_bfe_u32 v3, v4, 24, 3
	v_ffbh_u32_e32 v10, v3
	v_min_u32_e32 v10, 32, v10
	v_lshrrev_b32_e32 v7, 27, v4
	v_subrev_u32_e32 v11, 28, v10
	v_and_b32_e32 v6, 0x80000000, v4
	v_and_b32_e32 v7, 15, v7
	v_bfe_u32 v8, v4, 27, 4
	v_lshlrev_b32_sdwa v4, v11, v4 dst_sel:DWORD dst_unused:UNUSED_PAD src0_sel:DWORD src1_sel:BYTE_3
	v_sub_u32_e32 v10, 29, v10
	v_and_b32_e32 v4, 7, v4
	v_cmp_eq_u16_e32 vcc, 0, v7
	v_cndmask_b32_e32 v3, v3, v4, vcc
	v_cndmask_b32_e32 v4, v8, v10, vcc
	v_mov_b32_e32 v7, 0x3b800000
	v_lshlrev_b32_e32 v3, 20, v3
	v_lshl_add_u32 v4, v4, 23, v7
	v_or3_b32 v3, v6, v4, v3
.LBB57_1760:
	s_or_b64 exec, exec, s[6:7]
	s_nop 0
	v_mfma_f32_16x16x4f32 a[0:3], v2, v3, a[0:3]
	s_movk_i32 s4, 0x7f
	v_cmp_gt_i16_sdwa s[6:7], v9, s4 src0_sel:BYTE_0 src1_sel:DWORD
	s_mov_b64 s[4:5], 0
                                        ; implicit-def: $sgpr10
	s_and_saveexec_b64 s[8:9], s[6:7]
	s_xor_b64 s[6:7], exec, s[8:9]
	s_cbranch_execnz .LBB57_3809
; %bb.1761:
	s_or_saveexec_b64 s[6:7], s[6:7]
	v_mov_b32_e32 v2, s10
	s_xor_b64 exec, exec, s[6:7]
	s_cbranch_execnz .LBB57_3812
.LBB57_1762:
	s_or_b64 exec, exec, s[6:7]
	s_and_saveexec_b64 s[6:7], s[4:5]
	s_cbranch_execz .LBB57_1764
.LBB57_1763:
	v_mov_b32_e32 v2, 8
	v_and_b32_e32 v3, 7, v9
	v_lshrrev_b32_sdwa v2, v2, v9 dst_sel:BYTE_1 dst_unused:UNUSED_PAD src0_sel:DWORD src1_sel:DWORD
	v_ffbh_u32_e32 v4, v3
	v_or_b32_sdwa v2, v9, v2 dst_sel:DWORD dst_unused:UNUSED_PAD src0_sel:BYTE_0 src1_sel:DWORD
	v_min_u32_e32 v4, 32, v4
	v_lshrrev_b16_e32 v2, 3, v2
	v_subrev_u32_e32 v6, 28, v4
	v_and_b32_e32 v2, 15, v2
	v_lshlrev_b32_e32 v6, v6, v9
	v_sub_u32_e32 v4, 29, v4
	v_and_b32_e32 v6, 7, v6
	v_cmp_eq_u16_e32 vcc, 0, v2
	v_cndmask_b32_e32 v3, v3, v6, vcc
	v_cndmask_b32_e32 v2, v2, v4, vcc
	v_lshlrev_b32_e32 v4, 24, v9
	v_mov_b32_e32 v6, 0x3b800000
	v_lshlrev_b32_e32 v3, 20, v3
	v_and_b32_e32 v4, 0x80000000, v4
	v_lshl_add_u32 v2, v2, 23, v6
	v_or3_b32 v2, v4, v2, v3
.LBB57_1764:
	s_or_b64 exec, exec, s[6:7]
	s_movk_i32 s4, 0x7f
	v_cmp_gt_i16_sdwa s[6:7], v5, s4 src0_sel:BYTE_0 src1_sel:DWORD
	s_mov_b64 s[4:5], 0
                                        ; implicit-def: $sgpr10
	s_and_saveexec_b64 s[8:9], s[6:7]
	s_xor_b64 s[6:7], exec, s[8:9]
	s_cbranch_execnz .LBB57_3813
; %bb.1765:
	s_or_saveexec_b64 s[6:7], s[6:7]
	v_mov_b32_e32 v3, s10
	s_xor_b64 exec, exec, s[6:7]
	s_cbranch_execnz .LBB57_3816
.LBB57_1766:
	s_or_b64 exec, exec, s[6:7]
	s_and_saveexec_b64 s[6:7], s[4:5]
	s_cbranch_execz .LBB57_1768
.LBB57_1767:
	v_mov_b32_e32 v3, 8
	v_and_b32_e32 v4, 7, v5
	v_lshrrev_b32_sdwa v3, v3, v5 dst_sel:BYTE_1 dst_unused:UNUSED_PAD src0_sel:DWORD src1_sel:DWORD
	v_ffbh_u32_e32 v6, v4
	v_or_b32_sdwa v3, v5, v3 dst_sel:DWORD dst_unused:UNUSED_PAD src0_sel:BYTE_0 src1_sel:DWORD
	v_min_u32_e32 v6, 32, v6
	v_lshrrev_b16_e32 v3, 3, v3
	v_subrev_u32_e32 v7, 28, v6
	v_and_b32_e32 v3, 15, v3
	v_lshlrev_b32_e32 v7, v7, v5
	v_sub_u32_e32 v6, 29, v6
	v_and_b32_e32 v7, 7, v7
	v_cmp_eq_u16_e32 vcc, 0, v3
	v_cndmask_b32_e32 v4, v4, v7, vcc
	v_cndmask_b32_e32 v3, v3, v6, vcc
	v_lshlrev_b32_e32 v6, 24, v5
	v_mov_b32_e32 v7, 0x3b800000
	v_lshlrev_b32_e32 v4, 20, v4
	v_and_b32_e32 v6, 0x80000000, v6
	v_lshl_add_u32 v3, v3, 23, v7
	v_or3_b32 v3, v6, v3, v4
.LBB57_1768:
	s_or_b64 exec, exec, s[6:7]
	s_nop 0
	v_mfma_f32_16x16x4f32 a[0:3], v2, v3, a[0:3]
	v_lshrrev_b32_e32 v3, 8, v9
	s_movk_i32 s4, 0x7f
	v_cmp_gt_i16_sdwa s[6:7], v3, s4 src0_sel:BYTE_0 src1_sel:DWORD
	s_mov_b64 s[4:5], 0
                                        ; implicit-def: $sgpr10
	s_and_saveexec_b64 s[8:9], s[6:7]
	s_xor_b64 s[6:7], exec, s[8:9]
	s_cbranch_execnz .LBB57_3817
; %bb.1769:
	s_or_saveexec_b64 s[6:7], s[6:7]
	v_mov_b32_e32 v2, s10
	s_xor_b64 exec, exec, s[6:7]
	s_cbranch_execnz .LBB57_3820
.LBB57_1770:
	s_or_b64 exec, exec, s[6:7]
	s_and_saveexec_b64 s[6:7], s[4:5]
	s_cbranch_execz .LBB57_1772
.LBB57_1771:
	v_bfe_u32 v2, v9, 8, 3
	v_ffbh_u32_e32 v6, v2
	v_min_u32_e32 v6, 32, v6
	v_lshrrev_b16_e32 v4, 3, v3
	v_subrev_u32_e32 v7, 28, v6
	v_and_b32_e32 v4, 15, v4
	v_lshlrev_b32_e32 v3, v7, v3
	v_sub_u32_e32 v6, 29, v6
	v_and_b32_e32 v3, 7, v3
	v_cmp_eq_u16_e32 vcc, 0, v4
	v_cndmask_b32_e32 v2, v2, v3, vcc
	v_cndmask_b32_e32 v3, v4, v6, vcc
	v_lshlrev_b32_e32 v4, 16, v9
	v_mov_b32_e32 v6, 0x3b800000
	v_lshlrev_b32_e32 v2, 20, v2
	v_and_b32_e32 v4, 0x80000000, v4
	v_lshl_add_u32 v3, v3, 23, v6
	v_or3_b32 v2, v4, v3, v2
.LBB57_1772:
	s_or_b64 exec, exec, s[6:7]
	v_lshrrev_b32_e32 v3, 8, v5
	s_movk_i32 s4, 0x7f
	v_cmp_gt_i16_sdwa s[6:7], v3, s4 src0_sel:BYTE_0 src1_sel:DWORD
	s_mov_b64 s[4:5], 0
                                        ; implicit-def: $sgpr10
	s_and_saveexec_b64 s[8:9], s[6:7]
	s_xor_b64 s[6:7], exec, s[8:9]
	s_cbranch_execnz .LBB57_3821
; %bb.1773:
	s_or_saveexec_b64 s[6:7], s[6:7]
	v_mov_b32_e32 v4, s10
	s_xor_b64 exec, exec, s[6:7]
	s_cbranch_execnz .LBB57_3824
.LBB57_1774:
	s_or_b64 exec, exec, s[6:7]
	s_and_saveexec_b64 s[6:7], s[4:5]
	s_cbranch_execz .LBB57_1776
.LBB57_1775:
	v_bfe_u32 v4, v5, 8, 3
	v_ffbh_u32_e32 v7, v4
	v_min_u32_e32 v7, 32, v7
	v_lshrrev_b16_e32 v6, 3, v3
	v_subrev_u32_e32 v8, 28, v7
	v_and_b32_e32 v6, 15, v6
	v_lshlrev_b32_e32 v3, v8, v3
	v_sub_u32_e32 v7, 29, v7
	v_and_b32_e32 v3, 7, v3
	v_cmp_eq_u16_e32 vcc, 0, v6
	v_cndmask_b32_e32 v3, v4, v3, vcc
	v_cndmask_b32_e32 v4, v6, v7, vcc
	v_lshlrev_b32_e32 v6, 16, v5
	v_mov_b32_e32 v7, 0x3b800000
	v_lshlrev_b32_e32 v3, 20, v3
	v_and_b32_e32 v6, 0x80000000, v6
	v_lshl_add_u32 v4, v4, 23, v7
	v_or3_b32 v4, v6, v4, v3
.LBB57_1776:
	s_or_b64 exec, exec, s[6:7]
	s_nop 0
	v_mfma_f32_16x16x4f32 a[0:3], v2, v4, a[0:3]
	s_movk_i32 s4, 0xff
	v_and_b32_sdwa v3, v9, s4 dst_sel:DWORD dst_unused:UNUSED_PAD src0_sel:WORD_1 src1_sel:DWORD
	s_movk_i32 s4, 0x7f
	v_cmp_lt_i16_e32 vcc, s4, v3
	s_mov_b64 s[4:5], 0
                                        ; implicit-def: $sgpr10
	s_and_saveexec_b64 s[6:7], vcc
	s_xor_b64 s[6:7], exec, s[6:7]
	s_cbranch_execnz .LBB57_3825
; %bb.1777:
	s_or_saveexec_b64 s[6:7], s[6:7]
	v_mov_b32_e32 v2, s10
	s_xor_b64 exec, exec, s[6:7]
	s_cbranch_execnz .LBB57_3828
.LBB57_1778:
	s_or_b64 exec, exec, s[6:7]
	s_and_saveexec_b64 s[6:7], s[4:5]
	s_cbranch_execz .LBB57_1780
.LBB57_1779:
	v_bfe_u32 v2, v9, 16, 3
	v_ffbh_u32_e32 v6, v2
	v_min_u32_e32 v6, 32, v6
	v_lshrrev_b32_e32 v3, 19, v9
	v_subrev_u32_e32 v7, 28, v6
	v_and_b32_e32 v3, 15, v3
	v_lshlrev_b32_sdwa v7, v7, v9 dst_sel:DWORD dst_unused:UNUSED_PAD src0_sel:DWORD src1_sel:WORD_1
	v_bfe_u32 v4, v9, 19, 4
	v_sub_u32_e32 v6, 29, v6
	v_and_b32_e32 v7, 7, v7
	v_cmp_eq_u16_e32 vcc, 0, v3
	v_cndmask_b32_e32 v2, v2, v7, vcc
	v_cndmask_b32_e32 v3, v4, v6, vcc
	v_lshlrev_b32_e32 v4, 8, v9
	v_mov_b32_e32 v6, 0x3b800000
	v_lshlrev_b32_e32 v2, 20, v2
	v_and_b32_e32 v4, 0x80000000, v4
	v_lshl_add_u32 v3, v3, 23, v6
	v_or3_b32 v2, v4, v3, v2
.LBB57_1780:
	s_or_b64 exec, exec, s[6:7]
	s_movk_i32 s4, 0xff
	v_and_b32_sdwa v3, v5, s4 dst_sel:DWORD dst_unused:UNUSED_PAD src0_sel:WORD_1 src1_sel:DWORD
	s_movk_i32 s4, 0x7f
	v_cmp_lt_i16_e32 vcc, s4, v3
	s_mov_b64 s[4:5], 0
                                        ; implicit-def: $sgpr10
	s_and_saveexec_b64 s[6:7], vcc
	s_xor_b64 s[6:7], exec, s[6:7]
	s_cbranch_execnz .LBB57_3829
; %bb.1781:
	s_or_saveexec_b64 s[6:7], s[6:7]
	v_mov_b32_e32 v4, s10
	s_xor_b64 exec, exec, s[6:7]
	s_cbranch_execnz .LBB57_3832
.LBB57_1782:
	s_or_b64 exec, exec, s[6:7]
	s_and_saveexec_b64 s[6:7], s[4:5]
	s_cbranch_execz .LBB57_1784
.LBB57_1783:
	v_bfe_u32 v3, v5, 16, 3
	v_ffbh_u32_e32 v7, v3
	v_min_u32_e32 v7, 32, v7
	v_lshrrev_b32_e32 v4, 19, v5
	v_subrev_u32_e32 v8, 28, v7
	v_and_b32_e32 v4, 15, v4
	v_lshlrev_b32_sdwa v8, v8, v5 dst_sel:DWORD dst_unused:UNUSED_PAD src0_sel:DWORD src1_sel:WORD_1
	v_bfe_u32 v6, v5, 19, 4
	v_sub_u32_e32 v7, 29, v7
	v_and_b32_e32 v8, 7, v8
	v_cmp_eq_u16_e32 vcc, 0, v4
	v_cndmask_b32_e32 v3, v3, v8, vcc
	v_cndmask_b32_e32 v4, v6, v7, vcc
	v_lshlrev_b32_e32 v6, 8, v5
	v_mov_b32_e32 v7, 0x3b800000
	v_lshlrev_b32_e32 v3, 20, v3
	v_and_b32_e32 v6, 0x80000000, v6
	v_lshl_add_u32 v4, v4, 23, v7
	v_or3_b32 v4, v6, v4, v3
.LBB57_1784:
	s_or_b64 exec, exec, s[6:7]
	s_nop 0
	v_mfma_f32_16x16x4f32 a[0:3], v2, v4, a[0:3]
	s_movk_i32 s4, 0x7f
	v_cmp_gt_i16_sdwa s[6:7], v9, s4 src0_sel:BYTE_3 src1_sel:DWORD
	s_mov_b64 s[4:5], 0
                                        ; implicit-def: $sgpr10
	s_and_saveexec_b64 s[8:9], s[6:7]
	s_xor_b64 s[6:7], exec, s[8:9]
	s_cbranch_execnz .LBB57_3833
; %bb.1785:
	s_or_saveexec_b64 s[6:7], s[6:7]
	v_mov_b32_e32 v2, s10
	s_xor_b64 exec, exec, s[6:7]
	s_cbranch_execnz .LBB57_3836
.LBB57_1786:
	s_or_b64 exec, exec, s[6:7]
	s_and_saveexec_b64 s[6:7], s[4:5]
	s_cbranch_execz .LBB57_1788
.LBB57_1787:
	v_bfe_u32 v2, v9, 24, 3
	v_ffbh_u32_e32 v7, v2
	v_min_u32_e32 v7, 32, v7
	v_lshrrev_b32_e32 v4, 27, v9
	v_subrev_u32_e32 v8, 28, v7
	v_and_b32_e32 v4, 15, v4
	v_lshlrev_b32_sdwa v8, v8, v9 dst_sel:DWORD dst_unused:UNUSED_PAD src0_sel:DWORD src1_sel:BYTE_3
	v_bfe_u32 v6, v9, 27, 4
	v_sub_u32_e32 v7, 29, v7
	v_and_b32_e32 v8, 7, v8
	v_cmp_eq_u16_e32 vcc, 0, v4
	v_cndmask_b32_e32 v2, v2, v8, vcc
	v_cndmask_b32_e32 v4, v6, v7, vcc
	v_mov_b32_e32 v6, 0x3b800000
	v_and_b32_e32 v3, 0x80000000, v9
	v_lshlrev_b32_e32 v2, 20, v2
	v_lshl_add_u32 v4, v4, 23, v6
	v_or3_b32 v2, v3, v4, v2
.LBB57_1788:
	s_or_b64 exec, exec, s[6:7]
	s_movk_i32 s4, 0x7f
	v_cmp_gt_i16_sdwa s[6:7], v5, s4 src0_sel:BYTE_3 src1_sel:DWORD
	s_mov_b64 s[4:5], 0
                                        ; implicit-def: $sgpr10
	s_and_saveexec_b64 s[8:9], s[6:7]
	s_xor_b64 s[6:7], exec, s[8:9]
	s_cbranch_execnz .LBB57_3837
; %bb.1789:
	s_or_saveexec_b64 s[6:7], s[6:7]
	v_mov_b32_e32 v3, s10
	s_xor_b64 exec, exec, s[6:7]
	s_cbranch_execnz .LBB57_3840
.LBB57_1790:
	s_or_b64 exec, exec, s[6:7]
	s_and_saveexec_b64 s[6:7], s[4:5]
	s_cbranch_execz .LBB57_1792
.LBB57_1791:
	v_bfe_u32 v3, v5, 24, 3
	v_ffbh_u32_e32 v8, v3
	v_min_u32_e32 v8, 32, v8
	v_lshrrev_b32_e32 v6, 27, v5
	v_subrev_u32_e32 v9, 28, v8
	v_and_b32_e32 v4, 0x80000000, v5
	v_and_b32_e32 v6, 15, v6
	v_bfe_u32 v7, v5, 27, 4
	v_lshlrev_b32_sdwa v5, v9, v5 dst_sel:DWORD dst_unused:UNUSED_PAD src0_sel:DWORD src1_sel:BYTE_3
	v_sub_u32_e32 v8, 29, v8
	v_and_b32_e32 v5, 7, v5
	v_cmp_eq_u16_e32 vcc, 0, v6
	v_cndmask_b32_e32 v3, v3, v5, vcc
	v_cndmask_b32_e32 v5, v7, v8, vcc
	v_mov_b32_e32 v6, 0x3b800000
	v_lshlrev_b32_e32 v3, 20, v3
	v_lshl_add_u32 v5, v5, 23, v6
	v_or3_b32 v3, v4, v5, v3
.LBB57_1792:
	s_or_b64 exec, exec, s[6:7]
	s_nop 0
	v_mfma_f32_16x16x4f32 a[0:3], v2, v3, a[0:3]
	s_movk_i32 s4, 0x7f
                                        ; implicit-def: $sgpr10
	s_nop 7
	s_nop 1
	flat_store_dwordx4 v[18:19], a[0:3] offset:736
	flat_load_dwordx4 v[18:21], v[0:1] offset:8
	s_nop 0
	flat_load_dwordx2 v[16:17], v[0:1] offset:24
	s_waitcnt vmcnt(0) lgkmcnt(0)
	flat_load_dwordx4 v[12:15], v[18:19] offset:32
	flat_load_dwordx4 v[4:7], v[18:19] offset:48
	;; [unrolled: 1-line block ×4, first 2 shown]
	s_waitcnt vmcnt(0) lgkmcnt(0)
	v_cmp_gt_i16_sdwa s[6:7], v12, s4 src0_sel:BYTE_0 src1_sel:DWORD
	s_mov_b64 s[4:5], 0
	s_and_saveexec_b64 s[8:9], s[6:7]
	s_xor_b64 s[6:7], exec, s[8:9]
	s_cbranch_execnz .LBB57_3841
; %bb.1793:
	s_or_saveexec_b64 s[6:7], s[6:7]
	v_mov_b32_e32 v18, s10
	s_xor_b64 exec, exec, s[6:7]
	s_cbranch_execnz .LBB57_3844
.LBB57_1794:
	s_or_b64 exec, exec, s[6:7]
	s_and_saveexec_b64 s[6:7], s[4:5]
	s_cbranch_execz .LBB57_1796
.LBB57_1795:
	v_and_b32_e32 v18, 7, v12
	v_ffbh_u32_e32 v20, v18
	v_min_u32_e32 v20, 32, v20
	v_lshrrev_b16_e32 v19, 3, v12
	v_subrev_u32_e32 v21, 28, v20
	v_and_b32_e32 v19, 15, v19
	v_lshlrev_b32_e32 v21, v21, v12
	v_sub_u32_e32 v20, 29, v20
	v_and_b32_e32 v21, 7, v21
	v_cmp_eq_u16_e32 vcc, 0, v19
	v_cndmask_b32_e32 v18, v18, v21, vcc
	v_cndmask_b32_e32 v19, v19, v20, vcc
	v_lshlrev_b32_e32 v20, 24, v12
	v_mov_b32_e32 v21, 0x3b800000
	v_lshlrev_b32_e32 v18, 20, v18
	v_and_b32_e32 v20, 0x80000000, v20
	v_lshl_add_u32 v19, v19, 23, v21
	v_or3_b32 v18, v20, v19, v18
.LBB57_1796:
	s_or_b64 exec, exec, s[6:7]
	s_movk_i32 s4, 0x7f
	v_cmp_gt_i16_sdwa s[6:7], v8, s4 src0_sel:BYTE_0 src1_sel:DWORD
	s_mov_b64 s[4:5], 0
                                        ; implicit-def: $sgpr10
	s_and_saveexec_b64 s[8:9], s[6:7]
	s_xor_b64 s[6:7], exec, s[8:9]
	s_cbranch_execnz .LBB57_3845
; %bb.1797:
	s_or_saveexec_b64 s[6:7], s[6:7]
	v_mov_b32_e32 v19, s10
	s_xor_b64 exec, exec, s[6:7]
	s_cbranch_execnz .LBB57_3848
.LBB57_1798:
	s_or_b64 exec, exec, s[6:7]
	s_and_saveexec_b64 s[6:7], s[4:5]
	s_cbranch_execz .LBB57_1800
.LBB57_1799:
	v_and_b32_e32 v19, 7, v8
	v_ffbh_u32_e32 v21, v19
	v_min_u32_e32 v21, 32, v21
	v_lshrrev_b16_e32 v20, 3, v8
	v_subrev_u32_e32 v22, 28, v21
	v_and_b32_e32 v20, 15, v20
	v_lshlrev_b32_e32 v22, v22, v8
	v_sub_u32_e32 v21, 29, v21
	v_and_b32_e32 v22, 7, v22
	v_cmp_eq_u16_e32 vcc, 0, v20
	v_cndmask_b32_e32 v19, v19, v22, vcc
	v_cndmask_b32_e32 v20, v20, v21, vcc
	v_lshlrev_b32_e32 v21, 24, v8
	v_mov_b32_e32 v22, 0x3b800000
	v_lshlrev_b32_e32 v19, 20, v19
	v_and_b32_e32 v21, 0x80000000, v21
	v_lshl_add_u32 v20, v20, 23, v22
	v_or3_b32 v19, v21, v20, v19
.LBB57_1800:
	s_or_b64 exec, exec, s[6:7]
	flat_load_dwordx4 a[0:3], v[16:17] offset:752
	s_movk_i32 s4, 0x7f
                                        ; implicit-def: $sgpr10
	s_waitcnt vmcnt(0) lgkmcnt(0)
	v_mfma_f32_16x16x4f32 a[0:3], v18, v19, a[0:3]
	v_lshrrev_b32_e32 v19, 8, v12
	v_cmp_gt_i16_sdwa s[6:7], v19, s4 src0_sel:BYTE_0 src1_sel:DWORD
	s_mov_b64 s[4:5], 0
	s_and_saveexec_b64 s[8:9], s[6:7]
	s_xor_b64 s[6:7], exec, s[8:9]
	s_cbranch_execnz .LBB57_3849
; %bb.1801:
	s_or_saveexec_b64 s[6:7], s[6:7]
	v_mov_b32_e32 v18, s10
	s_xor_b64 exec, exec, s[6:7]
	s_cbranch_execnz .LBB57_3852
.LBB57_1802:
	s_or_b64 exec, exec, s[6:7]
	s_and_saveexec_b64 s[6:7], s[4:5]
	s_cbranch_execz .LBB57_1804
.LBB57_1803:
	v_bfe_u32 v18, v12, 8, 3
	v_ffbh_u32_e32 v21, v18
	v_min_u32_e32 v21, 32, v21
	v_lshrrev_b16_e32 v20, 3, v19
	v_subrev_u32_e32 v22, 28, v21
	v_and_b32_e32 v20, 15, v20
	v_lshlrev_b32_e32 v19, v22, v19
	v_sub_u32_e32 v21, 29, v21
	v_and_b32_e32 v19, 7, v19
	v_cmp_eq_u16_e32 vcc, 0, v20
	v_cndmask_b32_e32 v18, v18, v19, vcc
	v_cndmask_b32_e32 v19, v20, v21, vcc
	v_lshlrev_b32_e32 v20, 16, v12
	v_mov_b32_e32 v21, 0x3b800000
	v_lshlrev_b32_e32 v18, 20, v18
	v_and_b32_e32 v20, 0x80000000, v20
	v_lshl_add_u32 v19, v19, 23, v21
	v_or3_b32 v18, v20, v19, v18
.LBB57_1804:
	s_or_b64 exec, exec, s[6:7]
	v_lshrrev_b32_e32 v19, 8, v8
	s_movk_i32 s4, 0x7f
	v_cmp_gt_i16_sdwa s[6:7], v19, s4 src0_sel:BYTE_0 src1_sel:DWORD
	s_mov_b64 s[4:5], 0
                                        ; implicit-def: $sgpr10
	s_and_saveexec_b64 s[8:9], s[6:7]
	s_xor_b64 s[6:7], exec, s[8:9]
	s_cbranch_execnz .LBB57_3853
; %bb.1805:
	s_or_saveexec_b64 s[6:7], s[6:7]
	v_mov_b32_e32 v20, s10
	s_xor_b64 exec, exec, s[6:7]
	s_cbranch_execnz .LBB57_3856
.LBB57_1806:
	s_or_b64 exec, exec, s[6:7]
	s_and_saveexec_b64 s[6:7], s[4:5]
	s_cbranch_execz .LBB57_1808
.LBB57_1807:
	v_bfe_u32 v20, v8, 8, 3
	v_ffbh_u32_e32 v22, v20
	v_min_u32_e32 v22, 32, v22
	v_lshrrev_b16_e32 v21, 3, v19
	v_subrev_u32_e32 v23, 28, v22
	v_and_b32_e32 v21, 15, v21
	v_lshlrev_b32_e32 v19, v23, v19
	v_sub_u32_e32 v22, 29, v22
	v_and_b32_e32 v19, 7, v19
	v_cmp_eq_u16_e32 vcc, 0, v21
	v_cndmask_b32_e32 v19, v20, v19, vcc
	v_cndmask_b32_e32 v20, v21, v22, vcc
	v_lshlrev_b32_e32 v21, 16, v8
	v_mov_b32_e32 v22, 0x3b800000
	v_lshlrev_b32_e32 v19, 20, v19
	v_and_b32_e32 v21, 0x80000000, v21
	v_lshl_add_u32 v20, v20, 23, v22
	v_or3_b32 v20, v21, v20, v19
.LBB57_1808:
	s_or_b64 exec, exec, s[6:7]
	s_nop 0
	v_mfma_f32_16x16x4f32 a[0:3], v18, v20, a[0:3]
	s_movk_i32 s4, 0xff
	v_and_b32_sdwa v19, v12, s4 dst_sel:DWORD dst_unused:UNUSED_PAD src0_sel:WORD_1 src1_sel:DWORD
	s_movk_i32 s4, 0x7f
	v_cmp_lt_i16_e32 vcc, s4, v19
	s_mov_b64 s[4:5], 0
                                        ; implicit-def: $sgpr10
	s_and_saveexec_b64 s[6:7], vcc
	s_xor_b64 s[6:7], exec, s[6:7]
	s_cbranch_execnz .LBB57_3857
; %bb.1809:
	s_or_saveexec_b64 s[6:7], s[6:7]
	v_mov_b32_e32 v18, s10
	s_xor_b64 exec, exec, s[6:7]
	s_cbranch_execnz .LBB57_3860
.LBB57_1810:
	s_or_b64 exec, exec, s[6:7]
	s_and_saveexec_b64 s[6:7], s[4:5]
	s_cbranch_execz .LBB57_1812
.LBB57_1811:
	v_bfe_u32 v18, v12, 16, 3
	v_ffbh_u32_e32 v21, v18
	v_min_u32_e32 v21, 32, v21
	v_lshrrev_b32_e32 v19, 19, v12
	v_subrev_u32_e32 v22, 28, v21
	v_and_b32_e32 v19, 15, v19
	v_lshlrev_b32_sdwa v22, v22, v12 dst_sel:DWORD dst_unused:UNUSED_PAD src0_sel:DWORD src1_sel:WORD_1
	v_bfe_u32 v20, v12, 19, 4
	v_sub_u32_e32 v21, 29, v21
	v_and_b32_e32 v22, 7, v22
	v_cmp_eq_u16_e32 vcc, 0, v19
	v_cndmask_b32_e32 v18, v18, v22, vcc
	v_cndmask_b32_e32 v19, v20, v21, vcc
	v_lshlrev_b32_e32 v20, 8, v12
	v_mov_b32_e32 v21, 0x3b800000
	v_lshlrev_b32_e32 v18, 20, v18
	v_and_b32_e32 v20, 0x80000000, v20
	v_lshl_add_u32 v19, v19, 23, v21
	v_or3_b32 v18, v20, v19, v18
.LBB57_1812:
	s_or_b64 exec, exec, s[6:7]
	s_movk_i32 s4, 0xff
	v_and_b32_sdwa v19, v8, s4 dst_sel:DWORD dst_unused:UNUSED_PAD src0_sel:WORD_1 src1_sel:DWORD
	s_movk_i32 s4, 0x7f
	v_cmp_lt_i16_e32 vcc, s4, v19
	s_mov_b64 s[4:5], 0
                                        ; implicit-def: $sgpr10
	s_and_saveexec_b64 s[6:7], vcc
	s_xor_b64 s[6:7], exec, s[6:7]
	s_cbranch_execnz .LBB57_3861
; %bb.1813:
	s_or_saveexec_b64 s[6:7], s[6:7]
	v_mov_b32_e32 v20, s10
	s_xor_b64 exec, exec, s[6:7]
	s_cbranch_execnz .LBB57_3864
.LBB57_1814:
	s_or_b64 exec, exec, s[6:7]
	s_and_saveexec_b64 s[6:7], s[4:5]
	s_cbranch_execz .LBB57_1816
.LBB57_1815:
	v_bfe_u32 v19, v8, 16, 3
	v_ffbh_u32_e32 v22, v19
	v_min_u32_e32 v22, 32, v22
	v_lshrrev_b32_e32 v20, 19, v8
	v_subrev_u32_e32 v23, 28, v22
	v_and_b32_e32 v20, 15, v20
	v_lshlrev_b32_sdwa v23, v23, v8 dst_sel:DWORD dst_unused:UNUSED_PAD src0_sel:DWORD src1_sel:WORD_1
	v_bfe_u32 v21, v8, 19, 4
	v_sub_u32_e32 v22, 29, v22
	v_and_b32_e32 v23, 7, v23
	v_cmp_eq_u16_e32 vcc, 0, v20
	v_cndmask_b32_e32 v19, v19, v23, vcc
	v_cndmask_b32_e32 v20, v21, v22, vcc
	v_lshlrev_b32_e32 v21, 8, v8
	v_mov_b32_e32 v22, 0x3b800000
	v_lshlrev_b32_e32 v19, 20, v19
	v_and_b32_e32 v21, 0x80000000, v21
	v_lshl_add_u32 v20, v20, 23, v22
	v_or3_b32 v20, v21, v20, v19
.LBB57_1816:
	s_or_b64 exec, exec, s[6:7]
	s_nop 0
	v_mfma_f32_16x16x4f32 a[0:3], v18, v20, a[0:3]
	s_movk_i32 s4, 0x7f
	v_cmp_gt_i16_sdwa s[6:7], v12, s4 src0_sel:BYTE_3 src1_sel:DWORD
	s_mov_b64 s[4:5], 0
                                        ; implicit-def: $sgpr10
	s_and_saveexec_b64 s[8:9], s[6:7]
	s_xor_b64 s[6:7], exec, s[8:9]
	s_cbranch_execnz .LBB57_3865
; %bb.1817:
	s_or_saveexec_b64 s[6:7], s[6:7]
	v_mov_b32_e32 v18, s10
	s_xor_b64 exec, exec, s[6:7]
	s_cbranch_execnz .LBB57_3868
.LBB57_1818:
	s_or_b64 exec, exec, s[6:7]
	s_and_saveexec_b64 s[6:7], s[4:5]
	s_cbranch_execz .LBB57_1820
.LBB57_1819:
	v_bfe_u32 v18, v12, 24, 3
	v_ffbh_u32_e32 v22, v18
	v_min_u32_e32 v22, 32, v22
	v_lshrrev_b32_e32 v20, 27, v12
	v_subrev_u32_e32 v23, 28, v22
	v_and_b32_e32 v19, 0x80000000, v12
	v_and_b32_e32 v20, 15, v20
	v_bfe_u32 v21, v12, 27, 4
	v_lshlrev_b32_sdwa v12, v23, v12 dst_sel:DWORD dst_unused:UNUSED_PAD src0_sel:DWORD src1_sel:BYTE_3
	v_sub_u32_e32 v22, 29, v22
	v_and_b32_e32 v12, 7, v12
	v_cmp_eq_u16_e32 vcc, 0, v20
	v_cndmask_b32_e32 v12, v18, v12, vcc
	v_cndmask_b32_e32 v18, v21, v22, vcc
	v_mov_b32_e32 v20, 0x3b800000
	v_lshlrev_b32_e32 v12, 20, v12
	v_lshl_add_u32 v18, v18, 23, v20
	v_or3_b32 v18, v19, v18, v12
.LBB57_1820:
	s_or_b64 exec, exec, s[6:7]
	s_movk_i32 s4, 0x7f
	v_cmp_gt_i16_sdwa s[6:7], v8, s4 src0_sel:BYTE_3 src1_sel:DWORD
	s_mov_b64 s[4:5], 0
                                        ; implicit-def: $sgpr10
	s_and_saveexec_b64 s[8:9], s[6:7]
	s_xor_b64 s[6:7], exec, s[8:9]
	s_cbranch_execnz .LBB57_3869
; %bb.1821:
	s_or_saveexec_b64 s[6:7], s[6:7]
	v_mov_b32_e32 v12, s10
	s_xor_b64 exec, exec, s[6:7]
	s_cbranch_execnz .LBB57_3872
.LBB57_1822:
	s_or_b64 exec, exec, s[6:7]
	s_and_saveexec_b64 s[6:7], s[4:5]
	s_cbranch_execz .LBB57_1824
.LBB57_1823:
	v_bfe_u32 v12, v8, 24, 3
	v_ffbh_u32_e32 v22, v12
	v_min_u32_e32 v22, 32, v22
	v_lshrrev_b32_e32 v20, 27, v8
	v_subrev_u32_e32 v23, 28, v22
	v_and_b32_e32 v19, 0x80000000, v8
	v_and_b32_e32 v20, 15, v20
	v_bfe_u32 v21, v8, 27, 4
	v_lshlrev_b32_sdwa v8, v23, v8 dst_sel:DWORD dst_unused:UNUSED_PAD src0_sel:DWORD src1_sel:BYTE_3
	v_sub_u32_e32 v22, 29, v22
	v_and_b32_e32 v8, 7, v8
	v_cmp_eq_u16_e32 vcc, 0, v20
	v_cndmask_b32_e32 v8, v12, v8, vcc
	v_cndmask_b32_e32 v12, v21, v22, vcc
	v_mov_b32_e32 v20, 0x3b800000
	v_lshlrev_b32_e32 v8, 20, v8
	v_lshl_add_u32 v12, v12, 23, v20
	v_or3_b32 v12, v19, v12, v8
.LBB57_1824:
	s_or_b64 exec, exec, s[6:7]
	s_nop 0
	v_mfma_f32_16x16x4f32 a[0:3], v18, v12, a[0:3]
	s_movk_i32 s4, 0x7f
	v_cmp_gt_i16_sdwa s[6:7], v13, s4 src0_sel:BYTE_0 src1_sel:DWORD
	s_mov_b64 s[4:5], 0
                                        ; implicit-def: $sgpr10
	s_and_saveexec_b64 s[8:9], s[6:7]
	s_xor_b64 s[6:7], exec, s[8:9]
	s_cbranch_execnz .LBB57_3873
; %bb.1825:
	s_or_saveexec_b64 s[6:7], s[6:7]
	v_mov_b32_e32 v8, s10
	s_xor_b64 exec, exec, s[6:7]
	s_cbranch_execnz .LBB57_3876
.LBB57_1826:
	s_or_b64 exec, exec, s[6:7]
	s_and_saveexec_b64 s[6:7], s[4:5]
	s_cbranch_execz .LBB57_1828
.LBB57_1827:
	v_and_b32_e32 v8, 7, v13
	v_ffbh_u32_e32 v18, v8
	v_min_u32_e32 v18, 32, v18
	v_lshrrev_b16_e32 v12, 3, v13
	v_subrev_u32_e32 v19, 28, v18
	v_and_b32_e32 v12, 15, v12
	v_lshlrev_b32_e32 v19, v19, v13
	v_sub_u32_e32 v18, 29, v18
	v_and_b32_e32 v19, 7, v19
	v_cmp_eq_u16_e32 vcc, 0, v12
	v_cndmask_b32_e32 v8, v8, v19, vcc
	v_cndmask_b32_e32 v12, v12, v18, vcc
	v_lshlrev_b32_e32 v18, 24, v13
	v_mov_b32_e32 v19, 0x3b800000
	v_lshlrev_b32_e32 v8, 20, v8
	v_and_b32_e32 v18, 0x80000000, v18
	v_lshl_add_u32 v12, v12, 23, v19
	v_or3_b32 v8, v18, v12, v8
.LBB57_1828:
	s_or_b64 exec, exec, s[6:7]
	s_movk_i32 s4, 0x7f
	v_cmp_gt_i16_sdwa s[6:7], v9, s4 src0_sel:BYTE_0 src1_sel:DWORD
	s_mov_b64 s[4:5], 0
                                        ; implicit-def: $sgpr10
	s_and_saveexec_b64 s[8:9], s[6:7]
	s_xor_b64 s[6:7], exec, s[8:9]
	s_cbranch_execnz .LBB57_3877
; %bb.1829:
	s_or_saveexec_b64 s[6:7], s[6:7]
	v_mov_b32_e32 v12, s10
	s_xor_b64 exec, exec, s[6:7]
	s_cbranch_execnz .LBB57_3880
.LBB57_1830:
	s_or_b64 exec, exec, s[6:7]
	s_and_saveexec_b64 s[6:7], s[4:5]
	s_cbranch_execz .LBB57_1832
.LBB57_1831:
	v_and_b32_e32 v12, 7, v9
	v_ffbh_u32_e32 v19, v12
	v_min_u32_e32 v19, 32, v19
	v_lshrrev_b16_e32 v18, 3, v9
	v_subrev_u32_e32 v20, 28, v19
	v_and_b32_e32 v18, 15, v18
	v_lshlrev_b32_e32 v20, v20, v9
	v_sub_u32_e32 v19, 29, v19
	v_and_b32_e32 v20, 7, v20
	v_cmp_eq_u16_e32 vcc, 0, v18
	v_cndmask_b32_e32 v12, v12, v20, vcc
	v_cndmask_b32_e32 v18, v18, v19, vcc
	v_lshlrev_b32_e32 v19, 24, v9
	v_mov_b32_e32 v20, 0x3b800000
	v_lshlrev_b32_e32 v12, 20, v12
	v_and_b32_e32 v19, 0x80000000, v19
	v_lshl_add_u32 v18, v18, 23, v20
	v_or3_b32 v12, v19, v18, v12
.LBB57_1832:
	s_or_b64 exec, exec, s[6:7]
	s_nop 0
	v_mfma_f32_16x16x4f32 a[0:3], v8, v12, a[0:3]
	v_lshrrev_b32_e32 v12, 8, v13
	s_movk_i32 s4, 0x7f
	v_cmp_gt_i16_sdwa s[6:7], v12, s4 src0_sel:BYTE_0 src1_sel:DWORD
	s_mov_b64 s[4:5], 0
                                        ; implicit-def: $sgpr10
	s_and_saveexec_b64 s[8:9], s[6:7]
	s_xor_b64 s[6:7], exec, s[8:9]
	s_cbranch_execnz .LBB57_3881
; %bb.1833:
	s_or_saveexec_b64 s[6:7], s[6:7]
	v_mov_b32_e32 v8, s10
	s_xor_b64 exec, exec, s[6:7]
	s_cbranch_execnz .LBB57_3884
.LBB57_1834:
	s_or_b64 exec, exec, s[6:7]
	s_and_saveexec_b64 s[6:7], s[4:5]
	s_cbranch_execz .LBB57_1836
.LBB57_1835:
	v_bfe_u32 v8, v13, 8, 3
	v_ffbh_u32_e32 v19, v8
	v_min_u32_e32 v19, 32, v19
	v_lshrrev_b16_e32 v18, 3, v12
	v_subrev_u32_e32 v20, 28, v19
	v_and_b32_e32 v18, 15, v18
	v_lshlrev_b32_e32 v12, v20, v12
	v_sub_u32_e32 v19, 29, v19
	v_and_b32_e32 v12, 7, v12
	v_cmp_eq_u16_e32 vcc, 0, v18
	v_cndmask_b32_e32 v8, v8, v12, vcc
	v_cndmask_b32_e32 v12, v18, v19, vcc
	v_lshlrev_b32_e32 v18, 16, v13
	v_mov_b32_e32 v19, 0x3b800000
	v_lshlrev_b32_e32 v8, 20, v8
	v_and_b32_e32 v18, 0x80000000, v18
	v_lshl_add_u32 v12, v12, 23, v19
	v_or3_b32 v8, v18, v12, v8
.LBB57_1836:
	s_or_b64 exec, exec, s[6:7]
	v_lshrrev_b32_e32 v12, 8, v9
	s_movk_i32 s4, 0x7f
	v_cmp_gt_i16_sdwa s[6:7], v12, s4 src0_sel:BYTE_0 src1_sel:DWORD
	s_mov_b64 s[4:5], 0
                                        ; implicit-def: $sgpr10
	s_and_saveexec_b64 s[8:9], s[6:7]
	s_xor_b64 s[6:7], exec, s[8:9]
	s_cbranch_execnz .LBB57_3885
; %bb.1837:
	s_or_saveexec_b64 s[6:7], s[6:7]
	v_mov_b32_e32 v18, s10
	s_xor_b64 exec, exec, s[6:7]
	s_cbranch_execnz .LBB57_3888
.LBB57_1838:
	s_or_b64 exec, exec, s[6:7]
	s_and_saveexec_b64 s[6:7], s[4:5]
	s_cbranch_execz .LBB57_1840
.LBB57_1839:
	v_bfe_u32 v18, v9, 8, 3
	v_ffbh_u32_e32 v20, v18
	v_min_u32_e32 v20, 32, v20
	v_lshrrev_b16_e32 v19, 3, v12
	v_subrev_u32_e32 v21, 28, v20
	v_and_b32_e32 v19, 15, v19
	v_lshlrev_b32_e32 v12, v21, v12
	v_sub_u32_e32 v20, 29, v20
	v_and_b32_e32 v12, 7, v12
	v_cmp_eq_u16_e32 vcc, 0, v19
	v_cndmask_b32_e32 v12, v18, v12, vcc
	v_cndmask_b32_e32 v18, v19, v20, vcc
	v_lshlrev_b32_e32 v19, 16, v9
	v_mov_b32_e32 v20, 0x3b800000
	v_lshlrev_b32_e32 v12, 20, v12
	v_and_b32_e32 v19, 0x80000000, v19
	v_lshl_add_u32 v18, v18, 23, v20
	v_or3_b32 v18, v19, v18, v12
.LBB57_1840:
	s_or_b64 exec, exec, s[6:7]
	s_nop 0
	v_mfma_f32_16x16x4f32 a[0:3], v8, v18, a[0:3]
	s_movk_i32 s4, 0xff
	v_and_b32_sdwa v12, v13, s4 dst_sel:DWORD dst_unused:UNUSED_PAD src0_sel:WORD_1 src1_sel:DWORD
	s_movk_i32 s4, 0x7f
	v_cmp_lt_i16_e32 vcc, s4, v12
	s_mov_b64 s[4:5], 0
                                        ; implicit-def: $sgpr10
	s_and_saveexec_b64 s[6:7], vcc
	s_xor_b64 s[6:7], exec, s[6:7]
	s_cbranch_execnz .LBB57_3889
; %bb.1841:
	s_or_saveexec_b64 s[6:7], s[6:7]
	v_mov_b32_e32 v8, s10
	s_xor_b64 exec, exec, s[6:7]
	s_cbranch_execnz .LBB57_3892
.LBB57_1842:
	s_or_b64 exec, exec, s[6:7]
	s_and_saveexec_b64 s[6:7], s[4:5]
	s_cbranch_execz .LBB57_1844
.LBB57_1843:
	v_bfe_u32 v8, v13, 16, 3
	v_ffbh_u32_e32 v19, v8
	v_min_u32_e32 v19, 32, v19
	v_lshrrev_b32_e32 v12, 19, v13
	v_subrev_u32_e32 v20, 28, v19
	v_and_b32_e32 v12, 15, v12
	v_lshlrev_b32_sdwa v20, v20, v13 dst_sel:DWORD dst_unused:UNUSED_PAD src0_sel:DWORD src1_sel:WORD_1
	v_bfe_u32 v18, v13, 19, 4
	v_sub_u32_e32 v19, 29, v19
	v_and_b32_e32 v20, 7, v20
	v_cmp_eq_u16_e32 vcc, 0, v12
	v_cndmask_b32_e32 v8, v8, v20, vcc
	v_cndmask_b32_e32 v12, v18, v19, vcc
	v_lshlrev_b32_e32 v18, 8, v13
	v_mov_b32_e32 v19, 0x3b800000
	v_lshlrev_b32_e32 v8, 20, v8
	v_and_b32_e32 v18, 0x80000000, v18
	v_lshl_add_u32 v12, v12, 23, v19
	v_or3_b32 v8, v18, v12, v8
.LBB57_1844:
	s_or_b64 exec, exec, s[6:7]
	s_movk_i32 s4, 0xff
	v_and_b32_sdwa v12, v9, s4 dst_sel:DWORD dst_unused:UNUSED_PAD src0_sel:WORD_1 src1_sel:DWORD
	s_movk_i32 s4, 0x7f
	v_cmp_lt_i16_e32 vcc, s4, v12
	s_mov_b64 s[4:5], 0
                                        ; implicit-def: $sgpr10
	s_and_saveexec_b64 s[6:7], vcc
	s_xor_b64 s[6:7], exec, s[6:7]
	s_cbranch_execnz .LBB57_3893
; %bb.1845:
	s_or_saveexec_b64 s[6:7], s[6:7]
	v_mov_b32_e32 v18, s10
	s_xor_b64 exec, exec, s[6:7]
	s_cbranch_execnz .LBB57_3896
.LBB57_1846:
	s_or_b64 exec, exec, s[6:7]
	s_and_saveexec_b64 s[6:7], s[4:5]
	s_cbranch_execz .LBB57_1848
.LBB57_1847:
	v_bfe_u32 v12, v9, 16, 3
	v_ffbh_u32_e32 v20, v12
	v_min_u32_e32 v20, 32, v20
	v_lshrrev_b32_e32 v18, 19, v9
	v_subrev_u32_e32 v21, 28, v20
	v_and_b32_e32 v18, 15, v18
	v_lshlrev_b32_sdwa v21, v21, v9 dst_sel:DWORD dst_unused:UNUSED_PAD src0_sel:DWORD src1_sel:WORD_1
	v_bfe_u32 v19, v9, 19, 4
	v_sub_u32_e32 v20, 29, v20
	v_and_b32_e32 v21, 7, v21
	v_cmp_eq_u16_e32 vcc, 0, v18
	v_cndmask_b32_e32 v12, v12, v21, vcc
	v_cndmask_b32_e32 v18, v19, v20, vcc
	v_lshlrev_b32_e32 v19, 8, v9
	v_mov_b32_e32 v20, 0x3b800000
	v_lshlrev_b32_e32 v12, 20, v12
	v_and_b32_e32 v19, 0x80000000, v19
	v_lshl_add_u32 v18, v18, 23, v20
	v_or3_b32 v18, v19, v18, v12
.LBB57_1848:
	s_or_b64 exec, exec, s[6:7]
	s_nop 0
	v_mfma_f32_16x16x4f32 a[0:3], v8, v18, a[0:3]
	s_movk_i32 s4, 0x7f
	v_cmp_gt_i16_sdwa s[6:7], v13, s4 src0_sel:BYTE_3 src1_sel:DWORD
	s_mov_b64 s[4:5], 0
                                        ; implicit-def: $sgpr10
	s_and_saveexec_b64 s[8:9], s[6:7]
	s_xor_b64 s[6:7], exec, s[8:9]
	s_cbranch_execnz .LBB57_3897
; %bb.1849:
	s_or_saveexec_b64 s[6:7], s[6:7]
	v_mov_b32_e32 v8, s10
	s_xor_b64 exec, exec, s[6:7]
	s_cbranch_execnz .LBB57_3900
.LBB57_1850:
	s_or_b64 exec, exec, s[6:7]
	s_and_saveexec_b64 s[6:7], s[4:5]
	s_cbranch_execz .LBB57_1852
.LBB57_1851:
	v_bfe_u32 v8, v13, 24, 3
	v_ffbh_u32_e32 v20, v8
	v_min_u32_e32 v20, 32, v20
	v_lshrrev_b32_e32 v18, 27, v13
	v_subrev_u32_e32 v21, 28, v20
	v_and_b32_e32 v12, 0x80000000, v13
	v_and_b32_e32 v18, 15, v18
	v_bfe_u32 v19, v13, 27, 4
	v_lshlrev_b32_sdwa v13, v21, v13 dst_sel:DWORD dst_unused:UNUSED_PAD src0_sel:DWORD src1_sel:BYTE_3
	v_sub_u32_e32 v20, 29, v20
	v_and_b32_e32 v13, 7, v13
	v_cmp_eq_u16_e32 vcc, 0, v18
	v_cndmask_b32_e32 v8, v8, v13, vcc
	v_cndmask_b32_e32 v13, v19, v20, vcc
	v_mov_b32_e32 v18, 0x3b800000
	v_lshlrev_b32_e32 v8, 20, v8
	v_lshl_add_u32 v13, v13, 23, v18
	v_or3_b32 v8, v12, v13, v8
.LBB57_1852:
	s_or_b64 exec, exec, s[6:7]
	s_movk_i32 s4, 0x7f
	v_cmp_gt_i16_sdwa s[6:7], v9, s4 src0_sel:BYTE_3 src1_sel:DWORD
	s_mov_b64 s[4:5], 0
                                        ; implicit-def: $sgpr10
	s_and_saveexec_b64 s[8:9], s[6:7]
	s_xor_b64 s[6:7], exec, s[8:9]
	s_cbranch_execnz .LBB57_3901
; %bb.1853:
	s_or_saveexec_b64 s[6:7], s[6:7]
	v_mov_b32_e32 v12, s10
	s_xor_b64 exec, exec, s[6:7]
	s_cbranch_execnz .LBB57_3904
.LBB57_1854:
	s_or_b64 exec, exec, s[6:7]
	s_and_saveexec_b64 s[6:7], s[4:5]
	s_cbranch_execz .LBB57_1856
.LBB57_1855:
	v_bfe_u32 v12, v9, 24, 3
	v_ffbh_u32_e32 v20, v12
	v_min_u32_e32 v20, 32, v20
	v_lshrrev_b32_e32 v18, 27, v9
	v_subrev_u32_e32 v21, 28, v20
	v_and_b32_e32 v13, 0x80000000, v9
	v_and_b32_e32 v18, 15, v18
	v_bfe_u32 v19, v9, 27, 4
	v_lshlrev_b32_sdwa v9, v21, v9 dst_sel:DWORD dst_unused:UNUSED_PAD src0_sel:DWORD src1_sel:BYTE_3
	v_sub_u32_e32 v20, 29, v20
	v_and_b32_e32 v9, 7, v9
	v_cmp_eq_u16_e32 vcc, 0, v18
	v_cndmask_b32_e32 v9, v12, v9, vcc
	v_cndmask_b32_e32 v12, v19, v20, vcc
	v_mov_b32_e32 v18, 0x3b800000
	v_lshlrev_b32_e32 v9, 20, v9
	v_lshl_add_u32 v12, v12, 23, v18
	v_or3_b32 v12, v13, v12, v9
.LBB57_1856:
	s_or_b64 exec, exec, s[6:7]
	s_nop 0
	v_mfma_f32_16x16x4f32 a[0:3], v8, v12, a[0:3]
	s_movk_i32 s4, 0x7f
	v_cmp_gt_i16_sdwa s[6:7], v14, s4 src0_sel:BYTE_0 src1_sel:DWORD
	s_mov_b64 s[4:5], 0
                                        ; implicit-def: $sgpr10
	s_and_saveexec_b64 s[8:9], s[6:7]
	s_xor_b64 s[6:7], exec, s[8:9]
	s_cbranch_execnz .LBB57_3905
; %bb.1857:
	s_or_saveexec_b64 s[6:7], s[6:7]
	v_mov_b32_e32 v8, s10
	s_xor_b64 exec, exec, s[6:7]
	s_cbranch_execnz .LBB57_3908
.LBB57_1858:
	s_or_b64 exec, exec, s[6:7]
	s_and_saveexec_b64 s[6:7], s[4:5]
	s_cbranch_execz .LBB57_1860
.LBB57_1859:
	v_and_b32_e32 v8, 7, v14
	v_ffbh_u32_e32 v12, v8
	v_min_u32_e32 v12, 32, v12
	v_lshrrev_b16_e32 v9, 3, v14
	v_subrev_u32_e32 v13, 28, v12
	v_and_b32_e32 v9, 15, v9
	v_lshlrev_b32_e32 v13, v13, v14
	v_sub_u32_e32 v12, 29, v12
	v_and_b32_e32 v13, 7, v13
	v_cmp_eq_u16_e32 vcc, 0, v9
	v_cndmask_b32_e32 v8, v8, v13, vcc
	v_cndmask_b32_e32 v9, v9, v12, vcc
	v_lshlrev_b32_e32 v12, 24, v14
	v_mov_b32_e32 v13, 0x3b800000
	v_lshlrev_b32_e32 v8, 20, v8
	v_and_b32_e32 v12, 0x80000000, v12
	v_lshl_add_u32 v9, v9, 23, v13
	v_or3_b32 v8, v12, v9, v8
.LBB57_1860:
	s_or_b64 exec, exec, s[6:7]
	s_movk_i32 s4, 0x7f
	v_cmp_gt_i16_sdwa s[6:7], v10, s4 src0_sel:BYTE_0 src1_sel:DWORD
	s_mov_b64 s[4:5], 0
                                        ; implicit-def: $sgpr10
	s_and_saveexec_b64 s[8:9], s[6:7]
	s_xor_b64 s[6:7], exec, s[8:9]
	s_cbranch_execnz .LBB57_3909
; %bb.1861:
	s_or_saveexec_b64 s[6:7], s[6:7]
	v_mov_b32_e32 v9, s10
	s_xor_b64 exec, exec, s[6:7]
	s_cbranch_execnz .LBB57_3912
.LBB57_1862:
	s_or_b64 exec, exec, s[6:7]
	s_and_saveexec_b64 s[6:7], s[4:5]
	s_cbranch_execz .LBB57_1864
.LBB57_1863:
	v_and_b32_e32 v9, 7, v10
	v_ffbh_u32_e32 v13, v9
	v_min_u32_e32 v13, 32, v13
	v_lshrrev_b16_e32 v12, 3, v10
	v_subrev_u32_e32 v18, 28, v13
	v_and_b32_e32 v12, 15, v12
	v_lshlrev_b32_e32 v18, v18, v10
	v_sub_u32_e32 v13, 29, v13
	v_and_b32_e32 v18, 7, v18
	v_cmp_eq_u16_e32 vcc, 0, v12
	v_cndmask_b32_e32 v9, v9, v18, vcc
	v_cndmask_b32_e32 v12, v12, v13, vcc
	v_lshlrev_b32_e32 v13, 24, v10
	v_mov_b32_e32 v18, 0x3b800000
	v_lshlrev_b32_e32 v9, 20, v9
	v_and_b32_e32 v13, 0x80000000, v13
	v_lshl_add_u32 v12, v12, 23, v18
	v_or3_b32 v9, v13, v12, v9
.LBB57_1864:
	s_or_b64 exec, exec, s[6:7]
	s_nop 0
	v_mfma_f32_16x16x4f32 a[0:3], v8, v9, a[0:3]
	v_lshrrev_b32_e32 v9, 8, v14
	s_movk_i32 s4, 0x7f
	v_cmp_gt_i16_sdwa s[6:7], v9, s4 src0_sel:BYTE_0 src1_sel:DWORD
	s_mov_b64 s[4:5], 0
                                        ; implicit-def: $sgpr10
	s_and_saveexec_b64 s[8:9], s[6:7]
	s_xor_b64 s[6:7], exec, s[8:9]
	s_cbranch_execnz .LBB57_3913
; %bb.1865:
	s_or_saveexec_b64 s[6:7], s[6:7]
	v_mov_b32_e32 v8, s10
	s_xor_b64 exec, exec, s[6:7]
	s_cbranch_execnz .LBB57_3916
.LBB57_1866:
	s_or_b64 exec, exec, s[6:7]
	s_and_saveexec_b64 s[6:7], s[4:5]
	s_cbranch_execz .LBB57_1868
.LBB57_1867:
	v_bfe_u32 v8, v14, 8, 3
	v_ffbh_u32_e32 v13, v8
	v_min_u32_e32 v13, 32, v13
	v_lshrrev_b16_e32 v12, 3, v9
	v_subrev_u32_e32 v18, 28, v13
	v_and_b32_e32 v12, 15, v12
	v_lshlrev_b32_e32 v9, v18, v9
	v_sub_u32_e32 v13, 29, v13
	v_and_b32_e32 v9, 7, v9
	v_cmp_eq_u16_e32 vcc, 0, v12
	v_cndmask_b32_e32 v8, v8, v9, vcc
	v_cndmask_b32_e32 v9, v12, v13, vcc
	v_lshlrev_b32_e32 v12, 16, v14
	v_mov_b32_e32 v13, 0x3b800000
	v_lshlrev_b32_e32 v8, 20, v8
	v_and_b32_e32 v12, 0x80000000, v12
	v_lshl_add_u32 v9, v9, 23, v13
	v_or3_b32 v8, v12, v9, v8
.LBB57_1868:
	s_or_b64 exec, exec, s[6:7]
	v_lshrrev_b32_e32 v9, 8, v10
	s_movk_i32 s4, 0x7f
	v_cmp_gt_i16_sdwa s[6:7], v9, s4 src0_sel:BYTE_0 src1_sel:DWORD
	s_mov_b64 s[4:5], 0
                                        ; implicit-def: $sgpr10
	s_and_saveexec_b64 s[8:9], s[6:7]
	s_xor_b64 s[6:7], exec, s[8:9]
	s_cbranch_execnz .LBB57_3917
; %bb.1869:
	s_or_saveexec_b64 s[6:7], s[6:7]
	v_mov_b32_e32 v12, s10
	s_xor_b64 exec, exec, s[6:7]
	s_cbranch_execnz .LBB57_3920
.LBB57_1870:
	s_or_b64 exec, exec, s[6:7]
	s_and_saveexec_b64 s[6:7], s[4:5]
	s_cbranch_execz .LBB57_1872
.LBB57_1871:
	v_bfe_u32 v12, v10, 8, 3
	v_ffbh_u32_e32 v18, v12
	v_min_u32_e32 v18, 32, v18
	v_lshrrev_b16_e32 v13, 3, v9
	v_subrev_u32_e32 v19, 28, v18
	v_and_b32_e32 v13, 15, v13
	v_lshlrev_b32_e32 v9, v19, v9
	v_sub_u32_e32 v18, 29, v18
	v_and_b32_e32 v9, 7, v9
	v_cmp_eq_u16_e32 vcc, 0, v13
	v_cndmask_b32_e32 v9, v12, v9, vcc
	v_cndmask_b32_e32 v12, v13, v18, vcc
	v_lshlrev_b32_e32 v13, 16, v10
	v_mov_b32_e32 v18, 0x3b800000
	v_lshlrev_b32_e32 v9, 20, v9
	v_and_b32_e32 v13, 0x80000000, v13
	v_lshl_add_u32 v12, v12, 23, v18
	v_or3_b32 v12, v13, v12, v9
.LBB57_1872:
	s_or_b64 exec, exec, s[6:7]
	s_nop 0
	v_mfma_f32_16x16x4f32 a[0:3], v8, v12, a[0:3]
	s_movk_i32 s4, 0xff
	v_and_b32_sdwa v9, v14, s4 dst_sel:DWORD dst_unused:UNUSED_PAD src0_sel:WORD_1 src1_sel:DWORD
	s_movk_i32 s4, 0x7f
	v_cmp_lt_i16_e32 vcc, s4, v9
	s_mov_b64 s[4:5], 0
                                        ; implicit-def: $sgpr10
	s_and_saveexec_b64 s[6:7], vcc
	s_xor_b64 s[6:7], exec, s[6:7]
	s_cbranch_execnz .LBB57_3921
; %bb.1873:
	s_or_saveexec_b64 s[6:7], s[6:7]
	v_mov_b32_e32 v8, s10
	s_xor_b64 exec, exec, s[6:7]
	s_cbranch_execnz .LBB57_3924
.LBB57_1874:
	s_or_b64 exec, exec, s[6:7]
	s_and_saveexec_b64 s[6:7], s[4:5]
	s_cbranch_execz .LBB57_1876
.LBB57_1875:
	v_bfe_u32 v8, v14, 16, 3
	v_ffbh_u32_e32 v13, v8
	v_min_u32_e32 v13, 32, v13
	v_lshrrev_b32_e32 v9, 19, v14
	v_subrev_u32_e32 v18, 28, v13
	v_and_b32_e32 v9, 15, v9
	v_lshlrev_b32_sdwa v18, v18, v14 dst_sel:DWORD dst_unused:UNUSED_PAD src0_sel:DWORD src1_sel:WORD_1
	v_bfe_u32 v12, v14, 19, 4
	v_sub_u32_e32 v13, 29, v13
	v_and_b32_e32 v18, 7, v18
	v_cmp_eq_u16_e32 vcc, 0, v9
	v_cndmask_b32_e32 v8, v8, v18, vcc
	v_cndmask_b32_e32 v9, v12, v13, vcc
	v_lshlrev_b32_e32 v12, 8, v14
	v_mov_b32_e32 v13, 0x3b800000
	v_lshlrev_b32_e32 v8, 20, v8
	v_and_b32_e32 v12, 0x80000000, v12
	v_lshl_add_u32 v9, v9, 23, v13
	v_or3_b32 v8, v12, v9, v8
.LBB57_1876:
	s_or_b64 exec, exec, s[6:7]
	s_movk_i32 s4, 0xff
	v_and_b32_sdwa v9, v10, s4 dst_sel:DWORD dst_unused:UNUSED_PAD src0_sel:WORD_1 src1_sel:DWORD
	s_movk_i32 s4, 0x7f
	v_cmp_lt_i16_e32 vcc, s4, v9
	s_mov_b64 s[4:5], 0
                                        ; implicit-def: $sgpr10
	s_and_saveexec_b64 s[6:7], vcc
	s_xor_b64 s[6:7], exec, s[6:7]
	s_cbranch_execnz .LBB57_3925
; %bb.1877:
	s_or_saveexec_b64 s[6:7], s[6:7]
	v_mov_b32_e32 v12, s10
	s_xor_b64 exec, exec, s[6:7]
	s_cbranch_execnz .LBB57_3928
.LBB57_1878:
	s_or_b64 exec, exec, s[6:7]
	s_and_saveexec_b64 s[6:7], s[4:5]
	s_cbranch_execz .LBB57_1880
.LBB57_1879:
	v_bfe_u32 v9, v10, 16, 3
	v_ffbh_u32_e32 v18, v9
	v_min_u32_e32 v18, 32, v18
	v_lshrrev_b32_e32 v12, 19, v10
	v_subrev_u32_e32 v19, 28, v18
	v_and_b32_e32 v12, 15, v12
	v_lshlrev_b32_sdwa v19, v19, v10 dst_sel:DWORD dst_unused:UNUSED_PAD src0_sel:DWORD src1_sel:WORD_1
	v_bfe_u32 v13, v10, 19, 4
	v_sub_u32_e32 v18, 29, v18
	v_and_b32_e32 v19, 7, v19
	v_cmp_eq_u16_e32 vcc, 0, v12
	v_cndmask_b32_e32 v9, v9, v19, vcc
	v_cndmask_b32_e32 v12, v13, v18, vcc
	v_lshlrev_b32_e32 v13, 8, v10
	v_mov_b32_e32 v18, 0x3b800000
	v_lshlrev_b32_e32 v9, 20, v9
	v_and_b32_e32 v13, 0x80000000, v13
	v_lshl_add_u32 v12, v12, 23, v18
	v_or3_b32 v12, v13, v12, v9
.LBB57_1880:
	s_or_b64 exec, exec, s[6:7]
	s_nop 0
	v_mfma_f32_16x16x4f32 a[0:3], v8, v12, a[0:3]
	s_movk_i32 s4, 0x7f
	v_cmp_gt_i16_sdwa s[6:7], v14, s4 src0_sel:BYTE_3 src1_sel:DWORD
	s_mov_b64 s[4:5], 0
                                        ; implicit-def: $sgpr10
	s_and_saveexec_b64 s[8:9], s[6:7]
	s_xor_b64 s[6:7], exec, s[8:9]
	s_cbranch_execnz .LBB57_3929
; %bb.1881:
	s_or_saveexec_b64 s[6:7], s[6:7]
	v_mov_b32_e32 v8, s10
	s_xor_b64 exec, exec, s[6:7]
	s_cbranch_execnz .LBB57_3932
.LBB57_1882:
	s_or_b64 exec, exec, s[6:7]
	s_and_saveexec_b64 s[6:7], s[4:5]
	s_cbranch_execz .LBB57_1884
.LBB57_1883:
	v_bfe_u32 v8, v14, 24, 3
	v_ffbh_u32_e32 v18, v8
	v_min_u32_e32 v18, 32, v18
	v_lshrrev_b32_e32 v12, 27, v14
	v_subrev_u32_e32 v19, 28, v18
	v_and_b32_e32 v9, 0x80000000, v14
	v_and_b32_e32 v12, 15, v12
	v_bfe_u32 v13, v14, 27, 4
	v_lshlrev_b32_sdwa v14, v19, v14 dst_sel:DWORD dst_unused:UNUSED_PAD src0_sel:DWORD src1_sel:BYTE_3
	v_sub_u32_e32 v18, 29, v18
	v_and_b32_e32 v14, 7, v14
	v_cmp_eq_u16_e32 vcc, 0, v12
	v_cndmask_b32_e32 v8, v8, v14, vcc
	v_cndmask_b32_e32 v12, v13, v18, vcc
	v_mov_b32_e32 v13, 0x3b800000
	v_lshlrev_b32_e32 v8, 20, v8
	v_lshl_add_u32 v12, v12, 23, v13
	v_or3_b32 v8, v9, v12, v8
.LBB57_1884:
	s_or_b64 exec, exec, s[6:7]
	s_movk_i32 s4, 0x7f
	v_cmp_gt_i16_sdwa s[6:7], v10, s4 src0_sel:BYTE_3 src1_sel:DWORD
	s_mov_b64 s[4:5], 0
                                        ; implicit-def: $sgpr10
	s_and_saveexec_b64 s[8:9], s[6:7]
	s_xor_b64 s[6:7], exec, s[8:9]
	s_cbranch_execnz .LBB57_3933
; %bb.1885:
	s_or_saveexec_b64 s[6:7], s[6:7]
	v_mov_b32_e32 v9, s10
	s_xor_b64 exec, exec, s[6:7]
	s_cbranch_execnz .LBB57_3936
.LBB57_1886:
	s_or_b64 exec, exec, s[6:7]
	s_and_saveexec_b64 s[6:7], s[4:5]
	s_cbranch_execz .LBB57_1888
.LBB57_1887:
	v_bfe_u32 v9, v10, 24, 3
	v_ffbh_u32_e32 v18, v9
	v_min_u32_e32 v18, 32, v18
	v_lshrrev_b32_e32 v13, 27, v10
	v_subrev_u32_e32 v19, 28, v18
	v_and_b32_e32 v12, 0x80000000, v10
	v_and_b32_e32 v13, 15, v13
	v_bfe_u32 v14, v10, 27, 4
	v_lshlrev_b32_sdwa v10, v19, v10 dst_sel:DWORD dst_unused:UNUSED_PAD src0_sel:DWORD src1_sel:BYTE_3
	v_sub_u32_e32 v18, 29, v18
	v_and_b32_e32 v10, 7, v10
	v_cmp_eq_u16_e32 vcc, 0, v13
	v_cndmask_b32_e32 v9, v9, v10, vcc
	v_cndmask_b32_e32 v10, v14, v18, vcc
	v_mov_b32_e32 v13, 0x3b800000
	v_lshlrev_b32_e32 v9, 20, v9
	v_lshl_add_u32 v10, v10, 23, v13
	v_or3_b32 v9, v12, v10, v9
.LBB57_1888:
	s_or_b64 exec, exec, s[6:7]
	s_nop 0
	v_mfma_f32_16x16x4f32 a[0:3], v8, v9, a[0:3]
	s_movk_i32 s4, 0x7f
	v_cmp_gt_i16_sdwa s[6:7], v15, s4 src0_sel:BYTE_0 src1_sel:DWORD
	s_mov_b64 s[4:5], 0
                                        ; implicit-def: $sgpr10
	s_and_saveexec_b64 s[8:9], s[6:7]
	s_xor_b64 s[6:7], exec, s[8:9]
	s_cbranch_execnz .LBB57_3937
; %bb.1889:
	s_or_saveexec_b64 s[6:7], s[6:7]
	v_mov_b32_e32 v8, s10
	s_xor_b64 exec, exec, s[6:7]
	s_cbranch_execnz .LBB57_3940
.LBB57_1890:
	s_or_b64 exec, exec, s[6:7]
	s_and_saveexec_b64 s[6:7], s[4:5]
	s_cbranch_execz .LBB57_1892
.LBB57_1891:
	v_and_b32_e32 v8, 7, v15
	v_ffbh_u32_e32 v10, v8
	v_min_u32_e32 v10, 32, v10
	v_lshrrev_b16_e32 v9, 3, v15
	v_subrev_u32_e32 v12, 28, v10
	v_and_b32_e32 v9, 15, v9
	v_lshlrev_b32_e32 v12, v12, v15
	v_sub_u32_e32 v10, 29, v10
	v_and_b32_e32 v12, 7, v12
	v_cmp_eq_u16_e32 vcc, 0, v9
	v_cndmask_b32_e32 v8, v8, v12, vcc
	v_cndmask_b32_e32 v9, v9, v10, vcc
	v_lshlrev_b32_e32 v10, 24, v15
	v_mov_b32_e32 v12, 0x3b800000
	v_lshlrev_b32_e32 v8, 20, v8
	v_and_b32_e32 v10, 0x80000000, v10
	v_lshl_add_u32 v9, v9, 23, v12
	v_or3_b32 v8, v10, v9, v8
.LBB57_1892:
	s_or_b64 exec, exec, s[6:7]
	s_movk_i32 s4, 0x7f
	v_cmp_gt_i16_sdwa s[6:7], v11, s4 src0_sel:BYTE_0 src1_sel:DWORD
	s_mov_b64 s[4:5], 0
                                        ; implicit-def: $sgpr10
	s_and_saveexec_b64 s[8:9], s[6:7]
	s_xor_b64 s[6:7], exec, s[8:9]
	s_cbranch_execnz .LBB57_3941
; %bb.1893:
	s_or_saveexec_b64 s[6:7], s[6:7]
	v_mov_b32_e32 v9, s10
	s_xor_b64 exec, exec, s[6:7]
	s_cbranch_execnz .LBB57_3944
.LBB57_1894:
	s_or_b64 exec, exec, s[6:7]
	s_and_saveexec_b64 s[6:7], s[4:5]
	s_cbranch_execz .LBB57_1896
.LBB57_1895:
	v_and_b32_e32 v9, 7, v11
	v_ffbh_u32_e32 v12, v9
	v_min_u32_e32 v12, 32, v12
	v_lshrrev_b16_e32 v10, 3, v11
	v_subrev_u32_e32 v13, 28, v12
	v_and_b32_e32 v10, 15, v10
	v_lshlrev_b32_e32 v13, v13, v11
	v_sub_u32_e32 v12, 29, v12
	v_and_b32_e32 v13, 7, v13
	v_cmp_eq_u16_e32 vcc, 0, v10
	v_cndmask_b32_e32 v9, v9, v13, vcc
	v_cndmask_b32_e32 v10, v10, v12, vcc
	v_lshlrev_b32_e32 v12, 24, v11
	v_mov_b32_e32 v13, 0x3b800000
	v_lshlrev_b32_e32 v9, 20, v9
	v_and_b32_e32 v12, 0x80000000, v12
	v_lshl_add_u32 v10, v10, 23, v13
	v_or3_b32 v9, v12, v10, v9
.LBB57_1896:
	s_or_b64 exec, exec, s[6:7]
	s_nop 0
	v_mfma_f32_16x16x4f32 a[0:3], v8, v9, a[0:3]
	v_lshrrev_b32_e32 v9, 8, v15
	s_movk_i32 s4, 0x7f
	v_cmp_gt_i16_sdwa s[6:7], v9, s4 src0_sel:BYTE_0 src1_sel:DWORD
	s_mov_b64 s[4:5], 0
                                        ; implicit-def: $sgpr10
	s_and_saveexec_b64 s[8:9], s[6:7]
	s_xor_b64 s[6:7], exec, s[8:9]
	s_cbranch_execnz .LBB57_3945
; %bb.1897:
	s_or_saveexec_b64 s[6:7], s[6:7]
	v_mov_b32_e32 v8, s10
	s_xor_b64 exec, exec, s[6:7]
	s_cbranch_execnz .LBB57_3948
.LBB57_1898:
	s_or_b64 exec, exec, s[6:7]
	s_and_saveexec_b64 s[6:7], s[4:5]
	s_cbranch_execz .LBB57_1900
.LBB57_1899:
	v_bfe_u32 v8, v15, 8, 3
	v_ffbh_u32_e32 v12, v8
	v_min_u32_e32 v12, 32, v12
	v_lshrrev_b16_e32 v10, 3, v9
	v_subrev_u32_e32 v13, 28, v12
	v_and_b32_e32 v10, 15, v10
	v_lshlrev_b32_e32 v9, v13, v9
	v_sub_u32_e32 v12, 29, v12
	v_and_b32_e32 v9, 7, v9
	v_cmp_eq_u16_e32 vcc, 0, v10
	v_cndmask_b32_e32 v8, v8, v9, vcc
	v_cndmask_b32_e32 v9, v10, v12, vcc
	v_lshlrev_b32_e32 v10, 16, v15
	v_mov_b32_e32 v12, 0x3b800000
	v_lshlrev_b32_e32 v8, 20, v8
	v_and_b32_e32 v10, 0x80000000, v10
	v_lshl_add_u32 v9, v9, 23, v12
	v_or3_b32 v8, v10, v9, v8
.LBB57_1900:
	s_or_b64 exec, exec, s[6:7]
	v_lshrrev_b32_e32 v9, 8, v11
	s_movk_i32 s4, 0x7f
	v_cmp_gt_i16_sdwa s[6:7], v9, s4 src0_sel:BYTE_0 src1_sel:DWORD
	s_mov_b64 s[4:5], 0
                                        ; implicit-def: $sgpr10
	s_and_saveexec_b64 s[8:9], s[6:7]
	s_xor_b64 s[6:7], exec, s[8:9]
	s_cbranch_execnz .LBB57_3949
; %bb.1901:
	s_or_saveexec_b64 s[6:7], s[6:7]
	v_mov_b32_e32 v10, s10
	s_xor_b64 exec, exec, s[6:7]
	s_cbranch_execnz .LBB57_3952
.LBB57_1902:
	s_or_b64 exec, exec, s[6:7]
	s_and_saveexec_b64 s[6:7], s[4:5]
	s_cbranch_execz .LBB57_1904
.LBB57_1903:
	v_bfe_u32 v10, v11, 8, 3
	v_ffbh_u32_e32 v13, v10
	v_min_u32_e32 v13, 32, v13
	v_lshrrev_b16_e32 v12, 3, v9
	v_subrev_u32_e32 v14, 28, v13
	v_and_b32_e32 v12, 15, v12
	v_lshlrev_b32_e32 v9, v14, v9
	v_sub_u32_e32 v13, 29, v13
	v_and_b32_e32 v9, 7, v9
	v_cmp_eq_u16_e32 vcc, 0, v12
	v_cndmask_b32_e32 v9, v10, v9, vcc
	v_cndmask_b32_e32 v10, v12, v13, vcc
	v_lshlrev_b32_e32 v12, 16, v11
	v_mov_b32_e32 v13, 0x3b800000
	v_lshlrev_b32_e32 v9, 20, v9
	v_and_b32_e32 v12, 0x80000000, v12
	v_lshl_add_u32 v10, v10, 23, v13
	v_or3_b32 v10, v12, v10, v9
.LBB57_1904:
	s_or_b64 exec, exec, s[6:7]
	s_nop 0
	v_mfma_f32_16x16x4f32 a[0:3], v8, v10, a[0:3]
	s_movk_i32 s4, 0xff
	v_and_b32_sdwa v9, v15, s4 dst_sel:DWORD dst_unused:UNUSED_PAD src0_sel:WORD_1 src1_sel:DWORD
	s_movk_i32 s4, 0x7f
	v_cmp_lt_i16_e32 vcc, s4, v9
	s_mov_b64 s[4:5], 0
                                        ; implicit-def: $sgpr10
	s_and_saveexec_b64 s[6:7], vcc
	s_xor_b64 s[6:7], exec, s[6:7]
	s_cbranch_execnz .LBB57_3953
; %bb.1905:
	s_or_saveexec_b64 s[6:7], s[6:7]
	v_mov_b32_e32 v8, s10
	s_xor_b64 exec, exec, s[6:7]
	s_cbranch_execnz .LBB57_3956
.LBB57_1906:
	s_or_b64 exec, exec, s[6:7]
	s_and_saveexec_b64 s[6:7], s[4:5]
	s_cbranch_execz .LBB57_1908
.LBB57_1907:
	v_bfe_u32 v8, v15, 16, 3
	v_ffbh_u32_e32 v12, v8
	v_min_u32_e32 v12, 32, v12
	v_lshrrev_b32_e32 v9, 19, v15
	v_subrev_u32_e32 v13, 28, v12
	v_and_b32_e32 v9, 15, v9
	v_lshlrev_b32_sdwa v13, v13, v15 dst_sel:DWORD dst_unused:UNUSED_PAD src0_sel:DWORD src1_sel:WORD_1
	v_bfe_u32 v10, v15, 19, 4
	v_sub_u32_e32 v12, 29, v12
	v_and_b32_e32 v13, 7, v13
	v_cmp_eq_u16_e32 vcc, 0, v9
	v_cndmask_b32_e32 v8, v8, v13, vcc
	v_cndmask_b32_e32 v9, v10, v12, vcc
	v_lshlrev_b32_e32 v10, 8, v15
	v_mov_b32_e32 v12, 0x3b800000
	v_lshlrev_b32_e32 v8, 20, v8
	v_and_b32_e32 v10, 0x80000000, v10
	v_lshl_add_u32 v9, v9, 23, v12
	v_or3_b32 v8, v10, v9, v8
.LBB57_1908:
	s_or_b64 exec, exec, s[6:7]
	s_movk_i32 s4, 0xff
	v_and_b32_sdwa v9, v11, s4 dst_sel:DWORD dst_unused:UNUSED_PAD src0_sel:WORD_1 src1_sel:DWORD
	s_movk_i32 s4, 0x7f
	v_cmp_lt_i16_e32 vcc, s4, v9
	s_mov_b64 s[4:5], 0
                                        ; implicit-def: $sgpr10
	s_and_saveexec_b64 s[6:7], vcc
	s_xor_b64 s[6:7], exec, s[6:7]
	s_cbranch_execnz .LBB57_3957
; %bb.1909:
	s_or_saveexec_b64 s[6:7], s[6:7]
	v_mov_b32_e32 v10, s10
	s_xor_b64 exec, exec, s[6:7]
	s_cbranch_execnz .LBB57_3960
.LBB57_1910:
	s_or_b64 exec, exec, s[6:7]
	s_and_saveexec_b64 s[6:7], s[4:5]
	s_cbranch_execz .LBB57_1912
.LBB57_1911:
	v_bfe_u32 v9, v11, 16, 3
	v_ffbh_u32_e32 v13, v9
	v_min_u32_e32 v13, 32, v13
	v_lshrrev_b32_e32 v10, 19, v11
	v_subrev_u32_e32 v14, 28, v13
	v_and_b32_e32 v10, 15, v10
	v_lshlrev_b32_sdwa v14, v14, v11 dst_sel:DWORD dst_unused:UNUSED_PAD src0_sel:DWORD src1_sel:WORD_1
	v_bfe_u32 v12, v11, 19, 4
	v_sub_u32_e32 v13, 29, v13
	v_and_b32_e32 v14, 7, v14
	v_cmp_eq_u16_e32 vcc, 0, v10
	v_cndmask_b32_e32 v9, v9, v14, vcc
	v_cndmask_b32_e32 v10, v12, v13, vcc
	v_lshlrev_b32_e32 v12, 8, v11
	v_mov_b32_e32 v13, 0x3b800000
	v_lshlrev_b32_e32 v9, 20, v9
	v_and_b32_e32 v12, 0x80000000, v12
	v_lshl_add_u32 v10, v10, 23, v13
	v_or3_b32 v10, v12, v10, v9
.LBB57_1912:
	s_or_b64 exec, exec, s[6:7]
	s_nop 0
	v_mfma_f32_16x16x4f32 a[0:3], v8, v10, a[0:3]
	s_movk_i32 s4, 0x7f
	v_cmp_gt_i16_sdwa s[6:7], v15, s4 src0_sel:BYTE_3 src1_sel:DWORD
	s_mov_b64 s[4:5], 0
                                        ; implicit-def: $sgpr10
	s_and_saveexec_b64 s[8:9], s[6:7]
	s_xor_b64 s[6:7], exec, s[8:9]
	s_cbranch_execnz .LBB57_3961
; %bb.1913:
	s_or_saveexec_b64 s[6:7], s[6:7]
	v_mov_b32_e32 v8, s10
	s_xor_b64 exec, exec, s[6:7]
	s_cbranch_execnz .LBB57_3964
.LBB57_1914:
	s_or_b64 exec, exec, s[6:7]
	s_and_saveexec_b64 s[6:7], s[4:5]
	s_cbranch_execz .LBB57_1916
.LBB57_1915:
	v_bfe_u32 v8, v15, 24, 3
	v_ffbh_u32_e32 v13, v8
	v_min_u32_e32 v13, 32, v13
	v_lshrrev_b32_e32 v10, 27, v15
	v_subrev_u32_e32 v14, 28, v13
	v_and_b32_e32 v10, 15, v10
	v_lshlrev_b32_sdwa v14, v14, v15 dst_sel:DWORD dst_unused:UNUSED_PAD src0_sel:DWORD src1_sel:BYTE_3
	v_bfe_u32 v12, v15, 27, 4
	v_sub_u32_e32 v13, 29, v13
	v_and_b32_e32 v14, 7, v14
	v_cmp_eq_u16_e32 vcc, 0, v10
	v_cndmask_b32_e32 v8, v8, v14, vcc
	v_cndmask_b32_e32 v10, v12, v13, vcc
	v_mov_b32_e32 v12, 0x3b800000
	v_and_b32_e32 v9, 0x80000000, v15
	v_lshlrev_b32_e32 v8, 20, v8
	v_lshl_add_u32 v10, v10, 23, v12
	v_or3_b32 v8, v9, v10, v8
.LBB57_1916:
	s_or_b64 exec, exec, s[6:7]
	s_movk_i32 s4, 0x7f
	v_cmp_gt_i16_sdwa s[6:7], v11, s4 src0_sel:BYTE_3 src1_sel:DWORD
	s_mov_b64 s[4:5], 0
                                        ; implicit-def: $sgpr10
	s_and_saveexec_b64 s[8:9], s[6:7]
	s_xor_b64 s[6:7], exec, s[8:9]
	s_cbranch_execnz .LBB57_3965
; %bb.1917:
	s_or_saveexec_b64 s[6:7], s[6:7]
	v_mov_b32_e32 v9, s10
	s_xor_b64 exec, exec, s[6:7]
	s_cbranch_execnz .LBB57_3968
.LBB57_1918:
	s_or_b64 exec, exec, s[6:7]
	s_and_saveexec_b64 s[6:7], s[4:5]
	s_cbranch_execz .LBB57_1920
.LBB57_1919:
	v_bfe_u32 v9, v11, 24, 3
	v_ffbh_u32_e32 v14, v9
	v_min_u32_e32 v14, 32, v14
	v_lshrrev_b32_e32 v12, 27, v11
	v_subrev_u32_e32 v15, 28, v14
	v_and_b32_e32 v10, 0x80000000, v11
	v_and_b32_e32 v12, 15, v12
	v_bfe_u32 v13, v11, 27, 4
	v_lshlrev_b32_sdwa v11, v15, v11 dst_sel:DWORD dst_unused:UNUSED_PAD src0_sel:DWORD src1_sel:BYTE_3
	v_sub_u32_e32 v14, 29, v14
	v_and_b32_e32 v11, 7, v11
	v_cmp_eq_u16_e32 vcc, 0, v12
	v_cndmask_b32_e32 v9, v9, v11, vcc
	v_cndmask_b32_e32 v11, v13, v14, vcc
	v_mov_b32_e32 v12, 0x3b800000
	v_lshlrev_b32_e32 v9, 20, v9
	v_lshl_add_u32 v11, v11, 23, v12
	v_or3_b32 v9, v10, v11, v9
.LBB57_1920:
	s_or_b64 exec, exec, s[6:7]
	s_nop 0
	v_mfma_f32_16x16x4f32 a[0:3], v8, v9, a[0:3]
	s_movk_i32 s4, 0x7f
	v_cmp_gt_i16_sdwa s[6:7], v4, s4 src0_sel:BYTE_0 src1_sel:DWORD
	s_mov_b64 s[4:5], 0
                                        ; implicit-def: $sgpr10
	s_and_saveexec_b64 s[8:9], s[6:7]
	s_xor_b64 s[6:7], exec, s[8:9]
	s_cbranch_execnz .LBB57_3969
; %bb.1921:
	s_or_saveexec_b64 s[6:7], s[6:7]
	v_mov_b32_e32 v8, s10
	s_xor_b64 exec, exec, s[6:7]
	s_cbranch_execnz .LBB57_3972
.LBB57_1922:
	s_or_b64 exec, exec, s[6:7]
	s_and_saveexec_b64 s[6:7], s[4:5]
	s_cbranch_execz .LBB57_1924
.LBB57_1923:
	v_and_b32_e32 v8, 7, v4
	v_ffbh_u32_e32 v10, v8
	v_min_u32_e32 v10, 32, v10
	v_lshrrev_b16_e32 v9, 3, v4
	v_subrev_u32_e32 v11, 28, v10
	v_and_b32_e32 v9, 15, v9
	v_lshlrev_b32_e32 v11, v11, v4
	v_sub_u32_e32 v10, 29, v10
	v_and_b32_e32 v11, 7, v11
	v_cmp_eq_u16_e32 vcc, 0, v9
	v_cndmask_b32_e32 v8, v8, v11, vcc
	v_cndmask_b32_e32 v9, v9, v10, vcc
	v_lshlrev_b32_e32 v10, 24, v4
	v_mov_b32_e32 v11, 0x3b800000
	v_lshlrev_b32_e32 v8, 20, v8
	v_and_b32_e32 v10, 0x80000000, v10
	v_lshl_add_u32 v9, v9, 23, v11
	v_or3_b32 v8, v10, v9, v8
.LBB57_1924:
	s_or_b64 exec, exec, s[6:7]
	s_movk_i32 s4, 0x7f
	v_cmp_gt_i16_sdwa s[6:7], v0, s4 src0_sel:BYTE_0 src1_sel:DWORD
	s_mov_b64 s[4:5], 0
                                        ; implicit-def: $sgpr10
	s_and_saveexec_b64 s[8:9], s[6:7]
	s_xor_b64 s[6:7], exec, s[8:9]
	s_cbranch_execnz .LBB57_3973
; %bb.1925:
	s_or_saveexec_b64 s[6:7], s[6:7]
	v_mov_b32_e32 v9, s10
	s_xor_b64 exec, exec, s[6:7]
	s_cbranch_execnz .LBB57_3976
.LBB57_1926:
	s_or_b64 exec, exec, s[6:7]
	s_and_saveexec_b64 s[6:7], s[4:5]
	s_cbranch_execz .LBB57_1928
.LBB57_1927:
	v_and_b32_e32 v9, 7, v0
	v_ffbh_u32_e32 v11, v9
	v_min_u32_e32 v11, 32, v11
	v_lshrrev_b16_e32 v10, 3, v0
	v_subrev_u32_e32 v12, 28, v11
	v_and_b32_e32 v10, 15, v10
	v_lshlrev_b32_e32 v12, v12, v0
	v_sub_u32_e32 v11, 29, v11
	v_and_b32_e32 v12, 7, v12
	v_cmp_eq_u16_e32 vcc, 0, v10
	v_cndmask_b32_e32 v9, v9, v12, vcc
	v_cndmask_b32_e32 v10, v10, v11, vcc
	v_lshlrev_b32_e32 v11, 24, v0
	v_mov_b32_e32 v12, 0x3b800000
	v_lshlrev_b32_e32 v9, 20, v9
	v_and_b32_e32 v11, 0x80000000, v11
	v_lshl_add_u32 v10, v10, 23, v12
	v_or3_b32 v9, v11, v10, v9
.LBB57_1928:
	s_or_b64 exec, exec, s[6:7]
	s_nop 0
	v_mfma_f32_16x16x4f32 a[0:3], v8, v9, a[0:3]
	v_lshrrev_b32_e32 v9, 8, v4
	s_movk_i32 s4, 0x7f
	v_cmp_gt_i16_sdwa s[6:7], v9, s4 src0_sel:BYTE_0 src1_sel:DWORD
	s_mov_b64 s[4:5], 0
                                        ; implicit-def: $sgpr10
	s_and_saveexec_b64 s[8:9], s[6:7]
	s_xor_b64 s[6:7], exec, s[8:9]
	s_cbranch_execnz .LBB57_3977
; %bb.1929:
	s_or_saveexec_b64 s[6:7], s[6:7]
	v_mov_b32_e32 v8, s10
	s_xor_b64 exec, exec, s[6:7]
	s_cbranch_execnz .LBB57_3980
.LBB57_1930:
	s_or_b64 exec, exec, s[6:7]
	s_and_saveexec_b64 s[6:7], s[4:5]
	s_cbranch_execz .LBB57_1932
.LBB57_1931:
	v_bfe_u32 v8, v4, 8, 3
	v_ffbh_u32_e32 v11, v8
	v_min_u32_e32 v11, 32, v11
	v_lshrrev_b16_e32 v10, 3, v9
	v_subrev_u32_e32 v12, 28, v11
	v_and_b32_e32 v10, 15, v10
	v_lshlrev_b32_e32 v9, v12, v9
	v_sub_u32_e32 v11, 29, v11
	v_and_b32_e32 v9, 7, v9
	v_cmp_eq_u16_e32 vcc, 0, v10
	v_cndmask_b32_e32 v8, v8, v9, vcc
	v_cndmask_b32_e32 v9, v10, v11, vcc
	v_lshlrev_b32_e32 v10, 16, v4
	v_mov_b32_e32 v11, 0x3b800000
	v_lshlrev_b32_e32 v8, 20, v8
	v_and_b32_e32 v10, 0x80000000, v10
	v_lshl_add_u32 v9, v9, 23, v11
	v_or3_b32 v8, v10, v9, v8
.LBB57_1932:
	s_or_b64 exec, exec, s[6:7]
	v_lshrrev_b32_e32 v9, 8, v0
	s_movk_i32 s4, 0x7f
	v_cmp_gt_i16_sdwa s[6:7], v9, s4 src0_sel:BYTE_0 src1_sel:DWORD
	s_mov_b64 s[4:5], 0
                                        ; implicit-def: $sgpr10
	s_and_saveexec_b64 s[8:9], s[6:7]
	s_xor_b64 s[6:7], exec, s[8:9]
	s_cbranch_execnz .LBB57_3981
; %bb.1933:
	s_or_saveexec_b64 s[6:7], s[6:7]
	v_mov_b32_e32 v10, s10
	s_xor_b64 exec, exec, s[6:7]
	s_cbranch_execnz .LBB57_3984
.LBB57_1934:
	s_or_b64 exec, exec, s[6:7]
	s_and_saveexec_b64 s[6:7], s[4:5]
	s_cbranch_execz .LBB57_1936
.LBB57_1935:
	v_bfe_u32 v10, v0, 8, 3
	v_ffbh_u32_e32 v12, v10
	v_min_u32_e32 v12, 32, v12
	v_lshrrev_b16_e32 v11, 3, v9
	v_subrev_u32_e32 v13, 28, v12
	v_and_b32_e32 v11, 15, v11
	v_lshlrev_b32_e32 v9, v13, v9
	v_sub_u32_e32 v12, 29, v12
	v_and_b32_e32 v9, 7, v9
	v_cmp_eq_u16_e32 vcc, 0, v11
	v_cndmask_b32_e32 v9, v10, v9, vcc
	v_cndmask_b32_e32 v10, v11, v12, vcc
	v_lshlrev_b32_e32 v11, 16, v0
	v_mov_b32_e32 v12, 0x3b800000
	v_lshlrev_b32_e32 v9, 20, v9
	v_and_b32_e32 v11, 0x80000000, v11
	v_lshl_add_u32 v10, v10, 23, v12
	v_or3_b32 v10, v11, v10, v9
.LBB57_1936:
	s_or_b64 exec, exec, s[6:7]
	s_nop 0
	v_mfma_f32_16x16x4f32 a[0:3], v8, v10, a[0:3]
	s_movk_i32 s4, 0xff
	v_and_b32_sdwa v9, v4, s4 dst_sel:DWORD dst_unused:UNUSED_PAD src0_sel:WORD_1 src1_sel:DWORD
	s_movk_i32 s4, 0x7f
	v_cmp_lt_i16_e32 vcc, s4, v9
	s_mov_b64 s[4:5], 0
                                        ; implicit-def: $sgpr10
	s_and_saveexec_b64 s[6:7], vcc
	s_xor_b64 s[6:7], exec, s[6:7]
	s_cbranch_execnz .LBB57_3985
; %bb.1937:
	s_or_saveexec_b64 s[6:7], s[6:7]
	v_mov_b32_e32 v8, s10
	s_xor_b64 exec, exec, s[6:7]
	s_cbranch_execnz .LBB57_3988
.LBB57_1938:
	s_or_b64 exec, exec, s[6:7]
	s_and_saveexec_b64 s[6:7], s[4:5]
	s_cbranch_execz .LBB57_1940
.LBB57_1939:
	v_bfe_u32 v8, v4, 16, 3
	v_ffbh_u32_e32 v11, v8
	v_min_u32_e32 v11, 32, v11
	v_lshrrev_b32_e32 v9, 19, v4
	v_subrev_u32_e32 v12, 28, v11
	v_and_b32_e32 v9, 15, v9
	v_lshlrev_b32_sdwa v12, v12, v4 dst_sel:DWORD dst_unused:UNUSED_PAD src0_sel:DWORD src1_sel:WORD_1
	v_bfe_u32 v10, v4, 19, 4
	v_sub_u32_e32 v11, 29, v11
	v_and_b32_e32 v12, 7, v12
	v_cmp_eq_u16_e32 vcc, 0, v9
	v_cndmask_b32_e32 v8, v8, v12, vcc
	v_cndmask_b32_e32 v9, v10, v11, vcc
	v_lshlrev_b32_e32 v10, 8, v4
	v_mov_b32_e32 v11, 0x3b800000
	v_lshlrev_b32_e32 v8, 20, v8
	v_and_b32_e32 v10, 0x80000000, v10
	v_lshl_add_u32 v9, v9, 23, v11
	v_or3_b32 v8, v10, v9, v8
.LBB57_1940:
	s_or_b64 exec, exec, s[6:7]
	s_movk_i32 s4, 0xff
	v_and_b32_sdwa v9, v0, s4 dst_sel:DWORD dst_unused:UNUSED_PAD src0_sel:WORD_1 src1_sel:DWORD
	s_movk_i32 s4, 0x7f
	v_cmp_lt_i16_e32 vcc, s4, v9
	s_mov_b64 s[4:5], 0
                                        ; implicit-def: $sgpr10
	s_and_saveexec_b64 s[6:7], vcc
	s_xor_b64 s[6:7], exec, s[6:7]
	s_cbranch_execnz .LBB57_3989
; %bb.1941:
	s_or_saveexec_b64 s[6:7], s[6:7]
	v_mov_b32_e32 v10, s10
	s_xor_b64 exec, exec, s[6:7]
	s_cbranch_execnz .LBB57_3992
.LBB57_1942:
	s_or_b64 exec, exec, s[6:7]
	s_and_saveexec_b64 s[6:7], s[4:5]
	s_cbranch_execz .LBB57_1944
.LBB57_1943:
	v_bfe_u32 v9, v0, 16, 3
	v_ffbh_u32_e32 v12, v9
	v_min_u32_e32 v12, 32, v12
	v_lshrrev_b32_e32 v10, 19, v0
	v_subrev_u32_e32 v13, 28, v12
	v_and_b32_e32 v10, 15, v10
	v_lshlrev_b32_sdwa v13, v13, v0 dst_sel:DWORD dst_unused:UNUSED_PAD src0_sel:DWORD src1_sel:WORD_1
	v_bfe_u32 v11, v0, 19, 4
	v_sub_u32_e32 v12, 29, v12
	v_and_b32_e32 v13, 7, v13
	v_cmp_eq_u16_e32 vcc, 0, v10
	v_cndmask_b32_e32 v9, v9, v13, vcc
	v_cndmask_b32_e32 v10, v11, v12, vcc
	v_lshlrev_b32_e32 v11, 8, v0
	v_mov_b32_e32 v12, 0x3b800000
	v_lshlrev_b32_e32 v9, 20, v9
	v_and_b32_e32 v11, 0x80000000, v11
	v_lshl_add_u32 v10, v10, 23, v12
	v_or3_b32 v10, v11, v10, v9
.LBB57_1944:
	s_or_b64 exec, exec, s[6:7]
	s_nop 0
	v_mfma_f32_16x16x4f32 a[0:3], v8, v10, a[0:3]
	s_movk_i32 s4, 0x7f
	v_cmp_gt_i16_sdwa s[6:7], v4, s4 src0_sel:BYTE_3 src1_sel:DWORD
	s_mov_b64 s[4:5], 0
                                        ; implicit-def: $sgpr10
	s_and_saveexec_b64 s[8:9], s[6:7]
	s_xor_b64 s[6:7], exec, s[8:9]
	s_cbranch_execnz .LBB57_3993
; %bb.1945:
	s_or_saveexec_b64 s[6:7], s[6:7]
	v_mov_b32_e32 v8, s10
	s_xor_b64 exec, exec, s[6:7]
	s_cbranch_execnz .LBB57_3996
.LBB57_1946:
	s_or_b64 exec, exec, s[6:7]
	s_and_saveexec_b64 s[6:7], s[4:5]
	s_cbranch_execz .LBB57_1948
.LBB57_1947:
	v_bfe_u32 v8, v4, 24, 3
	v_ffbh_u32_e32 v12, v8
	v_min_u32_e32 v12, 32, v12
	v_lshrrev_b32_e32 v10, 27, v4
	v_subrev_u32_e32 v13, 28, v12
	v_and_b32_e32 v9, 0x80000000, v4
	v_and_b32_e32 v10, 15, v10
	v_bfe_u32 v11, v4, 27, 4
	v_lshlrev_b32_sdwa v4, v13, v4 dst_sel:DWORD dst_unused:UNUSED_PAD src0_sel:DWORD src1_sel:BYTE_3
	v_sub_u32_e32 v12, 29, v12
	v_and_b32_e32 v4, 7, v4
	v_cmp_eq_u16_e32 vcc, 0, v10
	v_cndmask_b32_e32 v4, v8, v4, vcc
	v_cndmask_b32_e32 v8, v11, v12, vcc
	v_mov_b32_e32 v10, 0x3b800000
	v_lshlrev_b32_e32 v4, 20, v4
	v_lshl_add_u32 v8, v8, 23, v10
	v_or3_b32 v8, v9, v8, v4
.LBB57_1948:
	s_or_b64 exec, exec, s[6:7]
	s_movk_i32 s4, 0x7f
	v_cmp_gt_i16_sdwa s[6:7], v0, s4 src0_sel:BYTE_3 src1_sel:DWORD
	s_mov_b64 s[4:5], 0
                                        ; implicit-def: $sgpr10
	s_and_saveexec_b64 s[8:9], s[6:7]
	s_xor_b64 s[6:7], exec, s[8:9]
	s_cbranch_execnz .LBB57_3997
; %bb.1949:
	s_or_saveexec_b64 s[6:7], s[6:7]
	v_mov_b32_e32 v4, s10
	s_xor_b64 exec, exec, s[6:7]
	s_cbranch_execnz .LBB57_4000
.LBB57_1950:
	s_or_b64 exec, exec, s[6:7]
	s_and_saveexec_b64 s[6:7], s[4:5]
	s_cbranch_execz .LBB57_1952
.LBB57_1951:
	v_bfe_u32 v4, v0, 24, 3
	v_ffbh_u32_e32 v12, v4
	v_min_u32_e32 v12, 32, v12
	v_lshrrev_b32_e32 v10, 27, v0
	v_subrev_u32_e32 v13, 28, v12
	v_and_b32_e32 v9, 0x80000000, v0
	v_and_b32_e32 v10, 15, v10
	v_bfe_u32 v11, v0, 27, 4
	v_lshlrev_b32_sdwa v0, v13, v0 dst_sel:DWORD dst_unused:UNUSED_PAD src0_sel:DWORD src1_sel:BYTE_3
	v_sub_u32_e32 v12, 29, v12
	v_and_b32_e32 v0, 7, v0
	v_cmp_eq_u16_e32 vcc, 0, v10
	v_cndmask_b32_e32 v0, v4, v0, vcc
	v_cndmask_b32_e32 v4, v11, v12, vcc
	v_mov_b32_e32 v10, 0x3b800000
	v_lshlrev_b32_e32 v0, 20, v0
	v_lshl_add_u32 v4, v4, 23, v10
	v_or3_b32 v4, v9, v4, v0
.LBB57_1952:
	s_or_b64 exec, exec, s[6:7]
	s_nop 0
	v_mfma_f32_16x16x4f32 a[0:3], v8, v4, a[0:3]
	s_movk_i32 s4, 0x7f
	v_cmp_gt_i16_sdwa s[6:7], v5, s4 src0_sel:BYTE_0 src1_sel:DWORD
	s_mov_b64 s[4:5], 0
                                        ; implicit-def: $sgpr10
	s_and_saveexec_b64 s[8:9], s[6:7]
	s_xor_b64 s[6:7], exec, s[8:9]
	s_cbranch_execnz .LBB57_4001
; %bb.1953:
	s_or_saveexec_b64 s[6:7], s[6:7]
	v_mov_b32_e32 v0, s10
	s_xor_b64 exec, exec, s[6:7]
	s_cbranch_execnz .LBB57_4004
.LBB57_1954:
	s_or_b64 exec, exec, s[6:7]
	s_and_saveexec_b64 s[6:7], s[4:5]
	s_cbranch_execz .LBB57_1956
.LBB57_1955:
	v_and_b32_e32 v0, 7, v5
	v_ffbh_u32_e32 v8, v0
	v_min_u32_e32 v8, 32, v8
	v_lshrrev_b16_e32 v4, 3, v5
	v_subrev_u32_e32 v9, 28, v8
	v_and_b32_e32 v4, 15, v4
	v_lshlrev_b32_e32 v9, v9, v5
	v_sub_u32_e32 v8, 29, v8
	v_and_b32_e32 v9, 7, v9
	v_cmp_eq_u16_e32 vcc, 0, v4
	v_cndmask_b32_e32 v0, v0, v9, vcc
	v_cndmask_b32_e32 v4, v4, v8, vcc
	v_lshlrev_b32_e32 v8, 24, v5
	v_mov_b32_e32 v9, 0x3b800000
	v_lshlrev_b32_e32 v0, 20, v0
	v_and_b32_e32 v8, 0x80000000, v8
	v_lshl_add_u32 v4, v4, 23, v9
	v_or3_b32 v0, v8, v4, v0
.LBB57_1956:
	s_or_b64 exec, exec, s[6:7]
	s_movk_i32 s4, 0x7f
	v_cmp_gt_i16_sdwa s[6:7], v1, s4 src0_sel:BYTE_0 src1_sel:DWORD
	s_mov_b64 s[4:5], 0
                                        ; implicit-def: $sgpr10
	s_and_saveexec_b64 s[8:9], s[6:7]
	s_xor_b64 s[6:7], exec, s[8:9]
	s_cbranch_execnz .LBB57_4005
; %bb.1957:
	s_or_saveexec_b64 s[6:7], s[6:7]
	v_mov_b32_e32 v4, s10
	s_xor_b64 exec, exec, s[6:7]
	s_cbranch_execnz .LBB57_4008
.LBB57_1958:
	s_or_b64 exec, exec, s[6:7]
	s_and_saveexec_b64 s[6:7], s[4:5]
	s_cbranch_execz .LBB57_1960
.LBB57_1959:
	v_and_b32_e32 v4, 7, v1
	v_ffbh_u32_e32 v9, v4
	v_min_u32_e32 v9, 32, v9
	v_lshrrev_b16_e32 v8, 3, v1
	v_subrev_u32_e32 v10, 28, v9
	v_and_b32_e32 v8, 15, v8
	v_lshlrev_b32_e32 v10, v10, v1
	v_sub_u32_e32 v9, 29, v9
	v_and_b32_e32 v10, 7, v10
	v_cmp_eq_u16_e32 vcc, 0, v8
	v_cndmask_b32_e32 v4, v4, v10, vcc
	v_cndmask_b32_e32 v8, v8, v9, vcc
	v_lshlrev_b32_e32 v9, 24, v1
	v_mov_b32_e32 v10, 0x3b800000
	v_lshlrev_b32_e32 v4, 20, v4
	v_and_b32_e32 v9, 0x80000000, v9
	v_lshl_add_u32 v8, v8, 23, v10
	v_or3_b32 v4, v9, v8, v4
.LBB57_1960:
	s_or_b64 exec, exec, s[6:7]
	s_nop 0
	v_mfma_f32_16x16x4f32 a[0:3], v0, v4, a[0:3]
	v_lshrrev_b32_e32 v4, 8, v5
	s_movk_i32 s4, 0x7f
	v_cmp_gt_i16_sdwa s[6:7], v4, s4 src0_sel:BYTE_0 src1_sel:DWORD
	s_mov_b64 s[4:5], 0
                                        ; implicit-def: $sgpr10
	s_and_saveexec_b64 s[8:9], s[6:7]
	s_xor_b64 s[6:7], exec, s[8:9]
	s_cbranch_execnz .LBB57_4009
; %bb.1961:
	s_or_saveexec_b64 s[6:7], s[6:7]
	v_mov_b32_e32 v0, s10
	s_xor_b64 exec, exec, s[6:7]
	s_cbranch_execnz .LBB57_4012
.LBB57_1962:
	s_or_b64 exec, exec, s[6:7]
	s_and_saveexec_b64 s[6:7], s[4:5]
	s_cbranch_execz .LBB57_1964
.LBB57_1963:
	v_bfe_u32 v0, v5, 8, 3
	v_ffbh_u32_e32 v9, v0
	v_min_u32_e32 v9, 32, v9
	v_lshrrev_b16_e32 v8, 3, v4
	v_subrev_u32_e32 v10, 28, v9
	v_and_b32_e32 v8, 15, v8
	v_lshlrev_b32_e32 v4, v10, v4
	v_sub_u32_e32 v9, 29, v9
	v_and_b32_e32 v4, 7, v4
	v_cmp_eq_u16_e32 vcc, 0, v8
	v_cndmask_b32_e32 v0, v0, v4, vcc
	v_cndmask_b32_e32 v4, v8, v9, vcc
	v_lshlrev_b32_e32 v8, 16, v5
	v_mov_b32_e32 v9, 0x3b800000
	v_lshlrev_b32_e32 v0, 20, v0
	v_and_b32_e32 v8, 0x80000000, v8
	v_lshl_add_u32 v4, v4, 23, v9
	v_or3_b32 v0, v8, v4, v0
.LBB57_1964:
	s_or_b64 exec, exec, s[6:7]
	v_lshrrev_b32_e32 v4, 8, v1
	s_movk_i32 s4, 0x7f
	v_cmp_gt_i16_sdwa s[6:7], v4, s4 src0_sel:BYTE_0 src1_sel:DWORD
	s_mov_b64 s[4:5], 0
                                        ; implicit-def: $sgpr10
	s_and_saveexec_b64 s[8:9], s[6:7]
	s_xor_b64 s[6:7], exec, s[8:9]
	s_cbranch_execnz .LBB57_4013
; %bb.1965:
	s_or_saveexec_b64 s[6:7], s[6:7]
	v_mov_b32_e32 v8, s10
	s_xor_b64 exec, exec, s[6:7]
	s_cbranch_execnz .LBB57_4016
.LBB57_1966:
	s_or_b64 exec, exec, s[6:7]
	s_and_saveexec_b64 s[6:7], s[4:5]
	s_cbranch_execz .LBB57_1968
.LBB57_1967:
	v_bfe_u32 v8, v1, 8, 3
	v_ffbh_u32_e32 v10, v8
	v_min_u32_e32 v10, 32, v10
	v_lshrrev_b16_e32 v9, 3, v4
	v_subrev_u32_e32 v11, 28, v10
	v_and_b32_e32 v9, 15, v9
	v_lshlrev_b32_e32 v4, v11, v4
	v_sub_u32_e32 v10, 29, v10
	v_and_b32_e32 v4, 7, v4
	v_cmp_eq_u16_e32 vcc, 0, v9
	v_cndmask_b32_e32 v4, v8, v4, vcc
	v_cndmask_b32_e32 v8, v9, v10, vcc
	v_lshlrev_b32_e32 v9, 16, v1
	v_mov_b32_e32 v10, 0x3b800000
	v_lshlrev_b32_e32 v4, 20, v4
	v_and_b32_e32 v9, 0x80000000, v9
	v_lshl_add_u32 v8, v8, 23, v10
	v_or3_b32 v8, v9, v8, v4
.LBB57_1968:
	s_or_b64 exec, exec, s[6:7]
	s_nop 0
	v_mfma_f32_16x16x4f32 a[0:3], v0, v8, a[0:3]
	s_movk_i32 s4, 0xff
	v_and_b32_sdwa v4, v5, s4 dst_sel:DWORD dst_unused:UNUSED_PAD src0_sel:WORD_1 src1_sel:DWORD
	s_movk_i32 s4, 0x7f
	v_cmp_lt_i16_e32 vcc, s4, v4
	s_mov_b64 s[4:5], 0
                                        ; implicit-def: $sgpr10
	s_and_saveexec_b64 s[6:7], vcc
	s_xor_b64 s[6:7], exec, s[6:7]
	s_cbranch_execnz .LBB57_4017
; %bb.1969:
	s_or_saveexec_b64 s[6:7], s[6:7]
	v_mov_b32_e32 v0, s10
	s_xor_b64 exec, exec, s[6:7]
	s_cbranch_execnz .LBB57_4020
.LBB57_1970:
	s_or_b64 exec, exec, s[6:7]
	s_and_saveexec_b64 s[6:7], s[4:5]
	s_cbranch_execz .LBB57_1972
.LBB57_1971:
	v_bfe_u32 v0, v5, 16, 3
	v_ffbh_u32_e32 v9, v0
	v_min_u32_e32 v9, 32, v9
	v_lshrrev_b32_e32 v4, 19, v5
	v_subrev_u32_e32 v10, 28, v9
	v_and_b32_e32 v4, 15, v4
	v_lshlrev_b32_sdwa v10, v10, v5 dst_sel:DWORD dst_unused:UNUSED_PAD src0_sel:DWORD src1_sel:WORD_1
	v_bfe_u32 v8, v5, 19, 4
	v_sub_u32_e32 v9, 29, v9
	v_and_b32_e32 v10, 7, v10
	v_cmp_eq_u16_e32 vcc, 0, v4
	v_cndmask_b32_e32 v0, v0, v10, vcc
	v_cndmask_b32_e32 v4, v8, v9, vcc
	v_lshlrev_b32_e32 v8, 8, v5
	v_mov_b32_e32 v9, 0x3b800000
	v_lshlrev_b32_e32 v0, 20, v0
	v_and_b32_e32 v8, 0x80000000, v8
	v_lshl_add_u32 v4, v4, 23, v9
	v_or3_b32 v0, v8, v4, v0
.LBB57_1972:
	s_or_b64 exec, exec, s[6:7]
	s_movk_i32 s4, 0xff
	v_and_b32_sdwa v4, v1, s4 dst_sel:DWORD dst_unused:UNUSED_PAD src0_sel:WORD_1 src1_sel:DWORD
	s_movk_i32 s4, 0x7f
	v_cmp_lt_i16_e32 vcc, s4, v4
	s_mov_b64 s[4:5], 0
                                        ; implicit-def: $sgpr10
	s_and_saveexec_b64 s[6:7], vcc
	s_xor_b64 s[6:7], exec, s[6:7]
	s_cbranch_execnz .LBB57_4021
; %bb.1973:
	s_or_saveexec_b64 s[6:7], s[6:7]
	v_mov_b32_e32 v8, s10
	s_xor_b64 exec, exec, s[6:7]
	s_cbranch_execnz .LBB57_4024
.LBB57_1974:
	s_or_b64 exec, exec, s[6:7]
	s_and_saveexec_b64 s[6:7], s[4:5]
	s_cbranch_execz .LBB57_1976
.LBB57_1975:
	v_bfe_u32 v4, v1, 16, 3
	v_ffbh_u32_e32 v10, v4
	v_min_u32_e32 v10, 32, v10
	v_lshrrev_b32_e32 v8, 19, v1
	v_subrev_u32_e32 v11, 28, v10
	v_and_b32_e32 v8, 15, v8
	v_lshlrev_b32_sdwa v11, v11, v1 dst_sel:DWORD dst_unused:UNUSED_PAD src0_sel:DWORD src1_sel:WORD_1
	v_bfe_u32 v9, v1, 19, 4
	v_sub_u32_e32 v10, 29, v10
	v_and_b32_e32 v11, 7, v11
	v_cmp_eq_u16_e32 vcc, 0, v8
	v_cndmask_b32_e32 v4, v4, v11, vcc
	v_cndmask_b32_e32 v8, v9, v10, vcc
	v_lshlrev_b32_e32 v9, 8, v1
	v_mov_b32_e32 v10, 0x3b800000
	v_lshlrev_b32_e32 v4, 20, v4
	v_and_b32_e32 v9, 0x80000000, v9
	v_lshl_add_u32 v8, v8, 23, v10
	v_or3_b32 v8, v9, v8, v4
.LBB57_1976:
	s_or_b64 exec, exec, s[6:7]
	s_nop 0
	v_mfma_f32_16x16x4f32 a[0:3], v0, v8, a[0:3]
	s_movk_i32 s4, 0x7f
	v_cmp_gt_i16_sdwa s[6:7], v5, s4 src0_sel:BYTE_3 src1_sel:DWORD
	s_mov_b64 s[4:5], 0
                                        ; implicit-def: $sgpr10
	s_and_saveexec_b64 s[8:9], s[6:7]
	s_xor_b64 s[6:7], exec, s[8:9]
	s_cbranch_execnz .LBB57_4025
; %bb.1977:
	s_or_saveexec_b64 s[6:7], s[6:7]
	v_mov_b32_e32 v0, s10
	s_xor_b64 exec, exec, s[6:7]
	s_cbranch_execnz .LBB57_4028
.LBB57_1978:
	s_or_b64 exec, exec, s[6:7]
	s_and_saveexec_b64 s[6:7], s[4:5]
	s_cbranch_execz .LBB57_1980
.LBB57_1979:
	v_bfe_u32 v0, v5, 24, 3
	v_ffbh_u32_e32 v10, v0
	v_min_u32_e32 v10, 32, v10
	v_lshrrev_b32_e32 v8, 27, v5
	v_subrev_u32_e32 v11, 28, v10
	v_and_b32_e32 v4, 0x80000000, v5
	v_and_b32_e32 v8, 15, v8
	v_bfe_u32 v9, v5, 27, 4
	v_lshlrev_b32_sdwa v5, v11, v5 dst_sel:DWORD dst_unused:UNUSED_PAD src0_sel:DWORD src1_sel:BYTE_3
	v_sub_u32_e32 v10, 29, v10
	v_and_b32_e32 v5, 7, v5
	v_cmp_eq_u16_e32 vcc, 0, v8
	v_cndmask_b32_e32 v0, v0, v5, vcc
	v_cndmask_b32_e32 v5, v9, v10, vcc
	v_mov_b32_e32 v8, 0x3b800000
	v_lshlrev_b32_e32 v0, 20, v0
	v_lshl_add_u32 v5, v5, 23, v8
	v_or3_b32 v0, v4, v5, v0
.LBB57_1980:
	s_or_b64 exec, exec, s[6:7]
	s_movk_i32 s4, 0x7f
	v_cmp_gt_i16_sdwa s[6:7], v1, s4 src0_sel:BYTE_3 src1_sel:DWORD
	s_mov_b64 s[4:5], 0
                                        ; implicit-def: $sgpr10
	s_and_saveexec_b64 s[8:9], s[6:7]
	s_xor_b64 s[6:7], exec, s[8:9]
	s_cbranch_execnz .LBB57_4029
; %bb.1981:
	s_or_saveexec_b64 s[6:7], s[6:7]
	v_mov_b32_e32 v4, s10
	s_xor_b64 exec, exec, s[6:7]
	s_cbranch_execnz .LBB57_4032
.LBB57_1982:
	s_or_b64 exec, exec, s[6:7]
	s_and_saveexec_b64 s[6:7], s[4:5]
	s_cbranch_execz .LBB57_1984
.LBB57_1983:
	v_bfe_u32 v4, v1, 24, 3
	v_ffbh_u32_e32 v10, v4
	v_min_u32_e32 v10, 32, v10
	v_lshrrev_b32_e32 v8, 27, v1
	v_subrev_u32_e32 v11, 28, v10
	v_and_b32_e32 v5, 0x80000000, v1
	v_and_b32_e32 v8, 15, v8
	v_bfe_u32 v9, v1, 27, 4
	v_lshlrev_b32_sdwa v1, v11, v1 dst_sel:DWORD dst_unused:UNUSED_PAD src0_sel:DWORD src1_sel:BYTE_3
	v_sub_u32_e32 v10, 29, v10
	v_and_b32_e32 v1, 7, v1
	v_cmp_eq_u16_e32 vcc, 0, v8
	v_cndmask_b32_e32 v1, v4, v1, vcc
	v_cndmask_b32_e32 v4, v9, v10, vcc
	v_mov_b32_e32 v8, 0x3b800000
	v_lshlrev_b32_e32 v1, 20, v1
	v_lshl_add_u32 v4, v4, 23, v8
	v_or3_b32 v4, v5, v4, v1
.LBB57_1984:
	s_or_b64 exec, exec, s[6:7]
	s_nop 0
	v_mfma_f32_16x16x4f32 a[0:3], v0, v4, a[0:3]
	s_movk_i32 s4, 0x7f
	v_cmp_gt_i16_sdwa s[6:7], v6, s4 src0_sel:BYTE_0 src1_sel:DWORD
	s_mov_b64 s[4:5], 0
                                        ; implicit-def: $sgpr10
	s_and_saveexec_b64 s[8:9], s[6:7]
	s_xor_b64 s[6:7], exec, s[8:9]
	s_cbranch_execnz .LBB57_4033
; %bb.1985:
	s_or_saveexec_b64 s[6:7], s[6:7]
	v_mov_b32_e32 v0, s10
	s_xor_b64 exec, exec, s[6:7]
	s_cbranch_execnz .LBB57_4036
.LBB57_1986:
	s_or_b64 exec, exec, s[6:7]
	s_and_saveexec_b64 s[6:7], s[4:5]
	s_cbranch_execz .LBB57_1988
.LBB57_1987:
	v_and_b32_e32 v0, 7, v6
	v_ffbh_u32_e32 v4, v0
	v_min_u32_e32 v4, 32, v4
	v_lshrrev_b16_e32 v1, 3, v6
	v_subrev_u32_e32 v5, 28, v4
	v_and_b32_e32 v1, 15, v1
	v_lshlrev_b32_e32 v5, v5, v6
	v_sub_u32_e32 v4, 29, v4
	v_and_b32_e32 v5, 7, v5
	v_cmp_eq_u16_e32 vcc, 0, v1
	v_cndmask_b32_e32 v0, v0, v5, vcc
	v_cndmask_b32_e32 v1, v1, v4, vcc
	v_lshlrev_b32_e32 v4, 24, v6
	v_mov_b32_e32 v5, 0x3b800000
	v_lshlrev_b32_e32 v0, 20, v0
	v_and_b32_e32 v4, 0x80000000, v4
	v_lshl_add_u32 v1, v1, 23, v5
	v_or3_b32 v0, v4, v1, v0
.LBB57_1988:
	s_or_b64 exec, exec, s[6:7]
	s_movk_i32 s4, 0x7f
	v_cmp_gt_i16_sdwa s[6:7], v2, s4 src0_sel:BYTE_0 src1_sel:DWORD
	s_mov_b64 s[4:5], 0
                                        ; implicit-def: $sgpr10
	s_and_saveexec_b64 s[8:9], s[6:7]
	s_xor_b64 s[6:7], exec, s[8:9]
	s_cbranch_execnz .LBB57_4037
; %bb.1989:
	s_or_saveexec_b64 s[6:7], s[6:7]
	v_mov_b32_e32 v1, s10
	s_xor_b64 exec, exec, s[6:7]
	s_cbranch_execnz .LBB57_4040
.LBB57_1990:
	s_or_b64 exec, exec, s[6:7]
	s_and_saveexec_b64 s[6:7], s[4:5]
	s_cbranch_execz .LBB57_1992
.LBB57_1991:
	v_and_b32_e32 v1, 7, v2
	v_ffbh_u32_e32 v5, v1
	v_min_u32_e32 v5, 32, v5
	v_lshrrev_b16_e32 v4, 3, v2
	v_subrev_u32_e32 v8, 28, v5
	v_and_b32_e32 v4, 15, v4
	v_lshlrev_b32_e32 v8, v8, v2
	v_sub_u32_e32 v5, 29, v5
	v_and_b32_e32 v8, 7, v8
	v_cmp_eq_u16_e32 vcc, 0, v4
	v_cndmask_b32_e32 v1, v1, v8, vcc
	v_cndmask_b32_e32 v4, v4, v5, vcc
	v_lshlrev_b32_e32 v5, 24, v2
	v_mov_b32_e32 v8, 0x3b800000
	v_lshlrev_b32_e32 v1, 20, v1
	v_and_b32_e32 v5, 0x80000000, v5
	v_lshl_add_u32 v4, v4, 23, v8
	v_or3_b32 v1, v5, v4, v1
.LBB57_1992:
	s_or_b64 exec, exec, s[6:7]
	s_nop 0
	v_mfma_f32_16x16x4f32 a[0:3], v0, v1, a[0:3]
	v_lshrrev_b32_e32 v1, 8, v6
	s_movk_i32 s4, 0x7f
	v_cmp_gt_i16_sdwa s[6:7], v1, s4 src0_sel:BYTE_0 src1_sel:DWORD
	s_mov_b64 s[4:5], 0
                                        ; implicit-def: $sgpr10
	s_and_saveexec_b64 s[8:9], s[6:7]
	s_xor_b64 s[6:7], exec, s[8:9]
	s_cbranch_execnz .LBB57_4041
; %bb.1993:
	s_or_saveexec_b64 s[6:7], s[6:7]
	v_mov_b32_e32 v0, s10
	s_xor_b64 exec, exec, s[6:7]
	s_cbranch_execnz .LBB57_4044
.LBB57_1994:
	s_or_b64 exec, exec, s[6:7]
	s_and_saveexec_b64 s[6:7], s[4:5]
	s_cbranch_execz .LBB57_1996
.LBB57_1995:
	v_bfe_u32 v0, v6, 8, 3
	v_ffbh_u32_e32 v5, v0
	v_min_u32_e32 v5, 32, v5
	v_lshrrev_b16_e32 v4, 3, v1
	v_subrev_u32_e32 v8, 28, v5
	v_and_b32_e32 v4, 15, v4
	v_lshlrev_b32_e32 v1, v8, v1
	v_sub_u32_e32 v5, 29, v5
	v_and_b32_e32 v1, 7, v1
	v_cmp_eq_u16_e32 vcc, 0, v4
	v_cndmask_b32_e32 v0, v0, v1, vcc
	v_cndmask_b32_e32 v1, v4, v5, vcc
	v_lshlrev_b32_e32 v4, 16, v6
	v_mov_b32_e32 v5, 0x3b800000
	v_lshlrev_b32_e32 v0, 20, v0
	v_and_b32_e32 v4, 0x80000000, v4
	v_lshl_add_u32 v1, v1, 23, v5
	v_or3_b32 v0, v4, v1, v0
.LBB57_1996:
	s_or_b64 exec, exec, s[6:7]
	v_lshrrev_b32_e32 v1, 8, v2
	s_movk_i32 s4, 0x7f
	v_cmp_gt_i16_sdwa s[6:7], v1, s4 src0_sel:BYTE_0 src1_sel:DWORD
	s_mov_b64 s[4:5], 0
                                        ; implicit-def: $sgpr10
	s_and_saveexec_b64 s[8:9], s[6:7]
	s_xor_b64 s[6:7], exec, s[8:9]
	s_cbranch_execnz .LBB57_4045
; %bb.1997:
	s_or_saveexec_b64 s[6:7], s[6:7]
	v_mov_b32_e32 v4, s10
	s_xor_b64 exec, exec, s[6:7]
	s_cbranch_execnz .LBB57_4048
.LBB57_1998:
	s_or_b64 exec, exec, s[6:7]
	s_and_saveexec_b64 s[6:7], s[4:5]
	s_cbranch_execz .LBB57_2000
.LBB57_1999:
	v_bfe_u32 v4, v2, 8, 3
	v_ffbh_u32_e32 v8, v4
	v_min_u32_e32 v8, 32, v8
	v_lshrrev_b16_e32 v5, 3, v1
	v_subrev_u32_e32 v9, 28, v8
	v_and_b32_e32 v5, 15, v5
	v_lshlrev_b32_e32 v1, v9, v1
	v_sub_u32_e32 v8, 29, v8
	v_and_b32_e32 v1, 7, v1
	v_cmp_eq_u16_e32 vcc, 0, v5
	v_cndmask_b32_e32 v1, v4, v1, vcc
	v_cndmask_b32_e32 v4, v5, v8, vcc
	v_lshlrev_b32_e32 v5, 16, v2
	v_mov_b32_e32 v8, 0x3b800000
	v_lshlrev_b32_e32 v1, 20, v1
	v_and_b32_e32 v5, 0x80000000, v5
	v_lshl_add_u32 v4, v4, 23, v8
	v_or3_b32 v4, v5, v4, v1
.LBB57_2000:
	s_or_b64 exec, exec, s[6:7]
	s_nop 0
	v_mfma_f32_16x16x4f32 a[0:3], v0, v4, a[0:3]
	s_movk_i32 s4, 0xff
	v_and_b32_sdwa v1, v6, s4 dst_sel:DWORD dst_unused:UNUSED_PAD src0_sel:WORD_1 src1_sel:DWORD
	s_movk_i32 s4, 0x7f
	v_cmp_lt_i16_e32 vcc, s4, v1
	s_mov_b64 s[4:5], 0
                                        ; implicit-def: $sgpr10
	s_and_saveexec_b64 s[6:7], vcc
	s_xor_b64 s[6:7], exec, s[6:7]
	s_cbranch_execnz .LBB57_4049
; %bb.2001:
	s_or_saveexec_b64 s[6:7], s[6:7]
	v_mov_b32_e32 v0, s10
	s_xor_b64 exec, exec, s[6:7]
	s_cbranch_execnz .LBB57_4052
.LBB57_2002:
	s_or_b64 exec, exec, s[6:7]
	s_and_saveexec_b64 s[6:7], s[4:5]
	s_cbranch_execz .LBB57_2004
.LBB57_2003:
	v_bfe_u32 v0, v6, 16, 3
	v_ffbh_u32_e32 v5, v0
	v_min_u32_e32 v5, 32, v5
	v_lshrrev_b32_e32 v1, 19, v6
	v_subrev_u32_e32 v8, 28, v5
	v_and_b32_e32 v1, 15, v1
	v_lshlrev_b32_sdwa v8, v8, v6 dst_sel:DWORD dst_unused:UNUSED_PAD src0_sel:DWORD src1_sel:WORD_1
	v_bfe_u32 v4, v6, 19, 4
	v_sub_u32_e32 v5, 29, v5
	v_and_b32_e32 v8, 7, v8
	v_cmp_eq_u16_e32 vcc, 0, v1
	v_cndmask_b32_e32 v0, v0, v8, vcc
	v_cndmask_b32_e32 v1, v4, v5, vcc
	v_lshlrev_b32_e32 v4, 8, v6
	v_mov_b32_e32 v5, 0x3b800000
	v_lshlrev_b32_e32 v0, 20, v0
	v_and_b32_e32 v4, 0x80000000, v4
	v_lshl_add_u32 v1, v1, 23, v5
	v_or3_b32 v0, v4, v1, v0
.LBB57_2004:
	s_or_b64 exec, exec, s[6:7]
	s_movk_i32 s4, 0xff
	v_and_b32_sdwa v1, v2, s4 dst_sel:DWORD dst_unused:UNUSED_PAD src0_sel:WORD_1 src1_sel:DWORD
	s_movk_i32 s4, 0x7f
	v_cmp_lt_i16_e32 vcc, s4, v1
	s_mov_b64 s[4:5], 0
                                        ; implicit-def: $sgpr10
	s_and_saveexec_b64 s[6:7], vcc
	s_xor_b64 s[6:7], exec, s[6:7]
	s_cbranch_execnz .LBB57_4053
; %bb.2005:
	s_or_saveexec_b64 s[6:7], s[6:7]
	v_mov_b32_e32 v4, s10
	s_xor_b64 exec, exec, s[6:7]
	s_cbranch_execnz .LBB57_4056
.LBB57_2006:
	s_or_b64 exec, exec, s[6:7]
	s_and_saveexec_b64 s[6:7], s[4:5]
	s_cbranch_execz .LBB57_2008
.LBB57_2007:
	v_bfe_u32 v1, v2, 16, 3
	v_ffbh_u32_e32 v8, v1
	v_min_u32_e32 v8, 32, v8
	v_lshrrev_b32_e32 v4, 19, v2
	v_subrev_u32_e32 v9, 28, v8
	v_and_b32_e32 v4, 15, v4
	v_lshlrev_b32_sdwa v9, v9, v2 dst_sel:DWORD dst_unused:UNUSED_PAD src0_sel:DWORD src1_sel:WORD_1
	v_bfe_u32 v5, v2, 19, 4
	v_sub_u32_e32 v8, 29, v8
	v_and_b32_e32 v9, 7, v9
	v_cmp_eq_u16_e32 vcc, 0, v4
	v_cndmask_b32_e32 v1, v1, v9, vcc
	v_cndmask_b32_e32 v4, v5, v8, vcc
	v_lshlrev_b32_e32 v5, 8, v2
	v_mov_b32_e32 v8, 0x3b800000
	v_lshlrev_b32_e32 v1, 20, v1
	v_and_b32_e32 v5, 0x80000000, v5
	v_lshl_add_u32 v4, v4, 23, v8
	v_or3_b32 v4, v5, v4, v1
.LBB57_2008:
	s_or_b64 exec, exec, s[6:7]
	s_nop 0
	v_mfma_f32_16x16x4f32 a[0:3], v0, v4, a[0:3]
	s_movk_i32 s4, 0x7f
	v_cmp_gt_i16_sdwa s[6:7], v6, s4 src0_sel:BYTE_3 src1_sel:DWORD
	s_mov_b64 s[4:5], 0
                                        ; implicit-def: $sgpr10
	s_and_saveexec_b64 s[8:9], s[6:7]
	s_xor_b64 s[6:7], exec, s[8:9]
	s_cbranch_execnz .LBB57_4057
; %bb.2009:
	s_or_saveexec_b64 s[6:7], s[6:7]
	v_mov_b32_e32 v0, s10
	s_xor_b64 exec, exec, s[6:7]
	s_cbranch_execnz .LBB57_4060
.LBB57_2010:
	s_or_b64 exec, exec, s[6:7]
	s_and_saveexec_b64 s[6:7], s[4:5]
	s_cbranch_execz .LBB57_2012
.LBB57_2011:
	v_bfe_u32 v0, v6, 24, 3
	v_ffbh_u32_e32 v8, v0
	v_min_u32_e32 v8, 32, v8
	v_lshrrev_b32_e32 v4, 27, v6
	v_subrev_u32_e32 v9, 28, v8
	v_and_b32_e32 v1, 0x80000000, v6
	v_and_b32_e32 v4, 15, v4
	v_bfe_u32 v5, v6, 27, 4
	v_lshlrev_b32_sdwa v6, v9, v6 dst_sel:DWORD dst_unused:UNUSED_PAD src0_sel:DWORD src1_sel:BYTE_3
	v_sub_u32_e32 v8, 29, v8
	v_and_b32_e32 v6, 7, v6
	v_cmp_eq_u16_e32 vcc, 0, v4
	v_cndmask_b32_e32 v0, v0, v6, vcc
	v_cndmask_b32_e32 v4, v5, v8, vcc
	v_mov_b32_e32 v5, 0x3b800000
	v_lshlrev_b32_e32 v0, 20, v0
	v_lshl_add_u32 v4, v4, 23, v5
	v_or3_b32 v0, v1, v4, v0
.LBB57_2012:
	s_or_b64 exec, exec, s[6:7]
	s_movk_i32 s4, 0x7f
	v_cmp_gt_i16_sdwa s[6:7], v2, s4 src0_sel:BYTE_3 src1_sel:DWORD
	s_mov_b64 s[4:5], 0
                                        ; implicit-def: $sgpr10
	s_and_saveexec_b64 s[8:9], s[6:7]
	s_xor_b64 s[6:7], exec, s[8:9]
	s_cbranch_execnz .LBB57_4061
; %bb.2013:
	s_or_saveexec_b64 s[6:7], s[6:7]
	v_mov_b32_e32 v1, s10
	s_xor_b64 exec, exec, s[6:7]
	s_cbranch_execnz .LBB57_4064
.LBB57_2014:
	s_or_b64 exec, exec, s[6:7]
	s_and_saveexec_b64 s[6:7], s[4:5]
	s_cbranch_execz .LBB57_2016
.LBB57_2015:
	v_bfe_u32 v1, v2, 24, 3
	v_ffbh_u32_e32 v8, v1
	v_min_u32_e32 v8, 32, v8
	v_lshrrev_b32_e32 v5, 27, v2
	v_subrev_u32_e32 v9, 28, v8
	v_and_b32_e32 v4, 0x80000000, v2
	v_and_b32_e32 v5, 15, v5
	v_bfe_u32 v6, v2, 27, 4
	v_lshlrev_b32_sdwa v2, v9, v2 dst_sel:DWORD dst_unused:UNUSED_PAD src0_sel:DWORD src1_sel:BYTE_3
	v_sub_u32_e32 v8, 29, v8
	v_and_b32_e32 v2, 7, v2
	v_cmp_eq_u16_e32 vcc, 0, v5
	v_cndmask_b32_e32 v1, v1, v2, vcc
	v_cndmask_b32_e32 v2, v6, v8, vcc
	v_mov_b32_e32 v5, 0x3b800000
	v_lshlrev_b32_e32 v1, 20, v1
	v_lshl_add_u32 v2, v2, 23, v5
	v_or3_b32 v1, v4, v2, v1
.LBB57_2016:
	s_or_b64 exec, exec, s[6:7]
	s_nop 0
	v_mfma_f32_16x16x4f32 a[0:3], v0, v1, a[0:3]
	s_movk_i32 s4, 0x7f
	v_cmp_gt_i16_sdwa s[6:7], v7, s4 src0_sel:BYTE_0 src1_sel:DWORD
	s_mov_b64 s[4:5], 0
                                        ; implicit-def: $sgpr10
	s_and_saveexec_b64 s[8:9], s[6:7]
	s_xor_b64 s[6:7], exec, s[8:9]
	s_cbranch_execnz .LBB57_4065
; %bb.2017:
	s_or_saveexec_b64 s[6:7], s[6:7]
	v_mov_b32_e32 v0, s10
	s_xor_b64 exec, exec, s[6:7]
	s_cbranch_execnz .LBB57_4068
.LBB57_2018:
	s_or_b64 exec, exec, s[6:7]
	s_and_saveexec_b64 s[6:7], s[4:5]
	s_cbranch_execz .LBB57_2020
.LBB57_2019:
	v_mov_b32_e32 v0, 8
	v_and_b32_e32 v1, 7, v7
	v_lshrrev_b32_sdwa v0, v0, v7 dst_sel:BYTE_1 dst_unused:UNUSED_PAD src0_sel:DWORD src1_sel:DWORD
	v_ffbh_u32_e32 v2, v1
	v_or_b32_sdwa v0, v7, v0 dst_sel:DWORD dst_unused:UNUSED_PAD src0_sel:BYTE_0 src1_sel:DWORD
	v_min_u32_e32 v2, 32, v2
	v_lshrrev_b16_e32 v0, 3, v0
	v_subrev_u32_e32 v4, 28, v2
	v_and_b32_e32 v0, 15, v0
	v_lshlrev_b32_e32 v4, v4, v7
	v_sub_u32_e32 v2, 29, v2
	v_and_b32_e32 v4, 7, v4
	v_cmp_eq_u16_e32 vcc, 0, v0
	v_cndmask_b32_e32 v1, v1, v4, vcc
	v_cndmask_b32_e32 v0, v0, v2, vcc
	v_lshlrev_b32_e32 v2, 24, v7
	v_mov_b32_e32 v4, 0x3b800000
	v_lshlrev_b32_e32 v1, 20, v1
	v_and_b32_e32 v2, 0x80000000, v2
	v_lshl_add_u32 v0, v0, 23, v4
	v_or3_b32 v0, v2, v0, v1
.LBB57_2020:
	s_or_b64 exec, exec, s[6:7]
	s_movk_i32 s4, 0x7f
	v_cmp_gt_i16_sdwa s[6:7], v3, s4 src0_sel:BYTE_0 src1_sel:DWORD
	s_mov_b64 s[4:5], 0
                                        ; implicit-def: $sgpr10
	s_and_saveexec_b64 s[8:9], s[6:7]
	s_xor_b64 s[6:7], exec, s[8:9]
	s_cbranch_execnz .LBB57_4069
; %bb.2021:
	s_or_saveexec_b64 s[6:7], s[6:7]
	v_mov_b32_e32 v1, s10
	s_xor_b64 exec, exec, s[6:7]
	s_cbranch_execnz .LBB57_4072
.LBB57_2022:
	s_or_b64 exec, exec, s[6:7]
	s_and_saveexec_b64 s[6:7], s[4:5]
	s_cbranch_execz .LBB57_2024
.LBB57_2023:
	v_mov_b32_e32 v1, 8
	v_and_b32_e32 v2, 7, v3
	v_lshrrev_b32_sdwa v1, v1, v3 dst_sel:BYTE_1 dst_unused:UNUSED_PAD src0_sel:DWORD src1_sel:DWORD
	v_ffbh_u32_e32 v4, v2
	v_or_b32_sdwa v1, v3, v1 dst_sel:DWORD dst_unused:UNUSED_PAD src0_sel:BYTE_0 src1_sel:DWORD
	v_min_u32_e32 v4, 32, v4
	v_lshrrev_b16_e32 v1, 3, v1
	v_subrev_u32_e32 v5, 28, v4
	v_and_b32_e32 v1, 15, v1
	v_lshlrev_b32_e32 v5, v5, v3
	v_sub_u32_e32 v4, 29, v4
	v_and_b32_e32 v5, 7, v5
	v_cmp_eq_u16_e32 vcc, 0, v1
	v_cndmask_b32_e32 v2, v2, v5, vcc
	v_cndmask_b32_e32 v1, v1, v4, vcc
	v_lshlrev_b32_e32 v4, 24, v3
	v_mov_b32_e32 v5, 0x3b800000
	v_lshlrev_b32_e32 v2, 20, v2
	v_and_b32_e32 v4, 0x80000000, v4
	v_lshl_add_u32 v1, v1, 23, v5
	v_or3_b32 v1, v4, v1, v2
.LBB57_2024:
	s_or_b64 exec, exec, s[6:7]
	s_nop 0
	v_mfma_f32_16x16x4f32 a[0:3], v0, v1, a[0:3]
	v_lshrrev_b32_e32 v1, 8, v7
	s_movk_i32 s4, 0x7f
	v_cmp_gt_i16_sdwa s[6:7], v1, s4 src0_sel:BYTE_0 src1_sel:DWORD
	s_mov_b64 s[4:5], 0
                                        ; implicit-def: $sgpr10
	s_and_saveexec_b64 s[8:9], s[6:7]
	s_xor_b64 s[6:7], exec, s[8:9]
	s_cbranch_execnz .LBB57_4073
; %bb.2025:
	s_or_saveexec_b64 s[6:7], s[6:7]
	v_mov_b32_e32 v0, s10
	s_xor_b64 exec, exec, s[6:7]
	s_cbranch_execnz .LBB57_4076
.LBB57_2026:
	s_or_b64 exec, exec, s[6:7]
	s_and_saveexec_b64 s[6:7], s[4:5]
	s_cbranch_execz .LBB57_2028
.LBB57_2027:
	v_bfe_u32 v0, v7, 8, 3
	v_ffbh_u32_e32 v4, v0
	v_min_u32_e32 v4, 32, v4
	v_lshrrev_b16_e32 v2, 3, v1
	v_subrev_u32_e32 v5, 28, v4
	v_and_b32_e32 v2, 15, v2
	v_lshlrev_b32_e32 v1, v5, v1
	v_sub_u32_e32 v4, 29, v4
	v_and_b32_e32 v1, 7, v1
	v_cmp_eq_u16_e32 vcc, 0, v2
	v_cndmask_b32_e32 v0, v0, v1, vcc
	v_cndmask_b32_e32 v1, v2, v4, vcc
	v_lshlrev_b32_e32 v2, 16, v7
	v_mov_b32_e32 v4, 0x3b800000
	v_lshlrev_b32_e32 v0, 20, v0
	v_and_b32_e32 v2, 0x80000000, v2
	v_lshl_add_u32 v1, v1, 23, v4
	v_or3_b32 v0, v2, v1, v0
.LBB57_2028:
	s_or_b64 exec, exec, s[6:7]
	v_lshrrev_b32_e32 v1, 8, v3
	s_movk_i32 s4, 0x7f
	v_cmp_gt_i16_sdwa s[6:7], v1, s4 src0_sel:BYTE_0 src1_sel:DWORD
	s_mov_b64 s[4:5], 0
                                        ; implicit-def: $sgpr10
	s_and_saveexec_b64 s[8:9], s[6:7]
	s_xor_b64 s[6:7], exec, s[8:9]
	s_cbranch_execnz .LBB57_4077
; %bb.2029:
	s_or_saveexec_b64 s[6:7], s[6:7]
	v_mov_b32_e32 v2, s10
	s_xor_b64 exec, exec, s[6:7]
	s_cbranch_execnz .LBB57_4080
.LBB57_2030:
	s_or_b64 exec, exec, s[6:7]
	s_and_saveexec_b64 s[6:7], s[4:5]
	s_cbranch_execz .LBB57_2032
.LBB57_2031:
	v_bfe_u32 v2, v3, 8, 3
	v_ffbh_u32_e32 v5, v2
	v_min_u32_e32 v5, 32, v5
	v_lshrrev_b16_e32 v4, 3, v1
	v_subrev_u32_e32 v6, 28, v5
	v_and_b32_e32 v4, 15, v4
	v_lshlrev_b32_e32 v1, v6, v1
	v_sub_u32_e32 v5, 29, v5
	v_and_b32_e32 v1, 7, v1
	v_cmp_eq_u16_e32 vcc, 0, v4
	v_cndmask_b32_e32 v1, v2, v1, vcc
	v_cndmask_b32_e32 v2, v4, v5, vcc
	v_lshlrev_b32_e32 v4, 16, v3
	v_mov_b32_e32 v5, 0x3b800000
	v_lshlrev_b32_e32 v1, 20, v1
	v_and_b32_e32 v4, 0x80000000, v4
	v_lshl_add_u32 v2, v2, 23, v5
	v_or3_b32 v2, v4, v2, v1
.LBB57_2032:
	s_or_b64 exec, exec, s[6:7]
	s_nop 0
	v_mfma_f32_16x16x4f32 a[0:3], v0, v2, a[0:3]
	s_movk_i32 s4, 0xff
	v_and_b32_sdwa v1, v7, s4 dst_sel:DWORD dst_unused:UNUSED_PAD src0_sel:WORD_1 src1_sel:DWORD
	s_movk_i32 s4, 0x7f
	v_cmp_lt_i16_e32 vcc, s4, v1
	s_mov_b64 s[4:5], 0
                                        ; implicit-def: $sgpr10
	s_and_saveexec_b64 s[6:7], vcc
	s_xor_b64 s[6:7], exec, s[6:7]
	s_cbranch_execnz .LBB57_4081
; %bb.2033:
	s_or_saveexec_b64 s[6:7], s[6:7]
	v_mov_b32_e32 v0, s10
	s_xor_b64 exec, exec, s[6:7]
	s_cbranch_execnz .LBB57_4084
.LBB57_2034:
	s_or_b64 exec, exec, s[6:7]
	s_and_saveexec_b64 s[6:7], s[4:5]
	s_cbranch_execz .LBB57_2036
.LBB57_2035:
	v_bfe_u32 v0, v7, 16, 3
	v_ffbh_u32_e32 v4, v0
	v_min_u32_e32 v4, 32, v4
	v_lshrrev_b32_e32 v1, 19, v7
	v_subrev_u32_e32 v5, 28, v4
	v_and_b32_e32 v1, 15, v1
	v_lshlrev_b32_sdwa v5, v5, v7 dst_sel:DWORD dst_unused:UNUSED_PAD src0_sel:DWORD src1_sel:WORD_1
	v_bfe_u32 v2, v7, 19, 4
	v_sub_u32_e32 v4, 29, v4
	v_and_b32_e32 v5, 7, v5
	v_cmp_eq_u16_e32 vcc, 0, v1
	v_cndmask_b32_e32 v0, v0, v5, vcc
	v_cndmask_b32_e32 v1, v2, v4, vcc
	v_lshlrev_b32_e32 v2, 8, v7
	v_mov_b32_e32 v4, 0x3b800000
	v_lshlrev_b32_e32 v0, 20, v0
	v_and_b32_e32 v2, 0x80000000, v2
	v_lshl_add_u32 v1, v1, 23, v4
	v_or3_b32 v0, v2, v1, v0
.LBB57_2036:
	s_or_b64 exec, exec, s[6:7]
	s_movk_i32 s4, 0xff
	v_and_b32_sdwa v1, v3, s4 dst_sel:DWORD dst_unused:UNUSED_PAD src0_sel:WORD_1 src1_sel:DWORD
	s_movk_i32 s4, 0x7f
	v_cmp_lt_i16_e32 vcc, s4, v1
	s_mov_b64 s[4:5], 0
                                        ; implicit-def: $sgpr10
	s_and_saveexec_b64 s[6:7], vcc
	s_xor_b64 s[6:7], exec, s[6:7]
	s_cbranch_execnz .LBB57_4085
; %bb.2037:
	s_or_saveexec_b64 s[6:7], s[6:7]
	v_mov_b32_e32 v2, s10
	s_xor_b64 exec, exec, s[6:7]
	s_cbranch_execnz .LBB57_4088
.LBB57_2038:
	s_or_b64 exec, exec, s[6:7]
	s_and_saveexec_b64 s[6:7], s[4:5]
	s_cbranch_execz .LBB57_2040
.LBB57_2039:
	v_bfe_u32 v1, v3, 16, 3
	v_ffbh_u32_e32 v5, v1
	v_min_u32_e32 v5, 32, v5
	v_lshrrev_b32_e32 v2, 19, v3
	v_subrev_u32_e32 v6, 28, v5
	v_and_b32_e32 v2, 15, v2
	v_lshlrev_b32_sdwa v6, v6, v3 dst_sel:DWORD dst_unused:UNUSED_PAD src0_sel:DWORD src1_sel:WORD_1
	v_bfe_u32 v4, v3, 19, 4
	v_sub_u32_e32 v5, 29, v5
	v_and_b32_e32 v6, 7, v6
	v_cmp_eq_u16_e32 vcc, 0, v2
	v_cndmask_b32_e32 v1, v1, v6, vcc
	v_cndmask_b32_e32 v2, v4, v5, vcc
	v_lshlrev_b32_e32 v4, 8, v3
	v_mov_b32_e32 v5, 0x3b800000
	v_lshlrev_b32_e32 v1, 20, v1
	v_and_b32_e32 v4, 0x80000000, v4
	v_lshl_add_u32 v2, v2, 23, v5
	v_or3_b32 v2, v4, v2, v1
.LBB57_2040:
	s_or_b64 exec, exec, s[6:7]
	s_nop 0
	v_mfma_f32_16x16x4f32 a[0:3], v0, v2, a[0:3]
	s_movk_i32 s4, 0x7f
	v_cmp_gt_i16_sdwa s[6:7], v7, s4 src0_sel:BYTE_3 src1_sel:DWORD
	s_mov_b64 s[4:5], 0
                                        ; implicit-def: $sgpr10
	s_and_saveexec_b64 s[8:9], s[6:7]
	s_xor_b64 s[6:7], exec, s[8:9]
	s_cbranch_execnz .LBB57_4089
; %bb.2041:
	s_or_saveexec_b64 s[6:7], s[6:7]
	v_mov_b32_e32 v0, s10
	s_xor_b64 exec, exec, s[6:7]
	s_cbranch_execnz .LBB57_4092
.LBB57_2042:
	s_or_b64 exec, exec, s[6:7]
	s_and_saveexec_b64 s[6:7], s[4:5]
	s_cbranch_execz .LBB57_2044
.LBB57_2043:
	v_bfe_u32 v0, v7, 24, 3
	v_ffbh_u32_e32 v5, v0
	v_min_u32_e32 v5, 32, v5
	v_lshrrev_b32_e32 v2, 27, v7
	v_subrev_u32_e32 v6, 28, v5
	v_and_b32_e32 v2, 15, v2
	v_lshlrev_b32_sdwa v6, v6, v7 dst_sel:DWORD dst_unused:UNUSED_PAD src0_sel:DWORD src1_sel:BYTE_3
	v_bfe_u32 v4, v7, 27, 4
	v_sub_u32_e32 v5, 29, v5
	v_and_b32_e32 v6, 7, v6
	v_cmp_eq_u16_e32 vcc, 0, v2
	v_cndmask_b32_e32 v0, v0, v6, vcc
	v_cndmask_b32_e32 v2, v4, v5, vcc
	v_mov_b32_e32 v4, 0x3b800000
	v_and_b32_e32 v1, 0x80000000, v7
	v_lshlrev_b32_e32 v0, 20, v0
	v_lshl_add_u32 v2, v2, 23, v4
	v_or3_b32 v0, v1, v2, v0
.LBB57_2044:
	s_or_b64 exec, exec, s[6:7]
	s_movk_i32 s4, 0x7f
	v_cmp_gt_i16_sdwa s[6:7], v3, s4 src0_sel:BYTE_3 src1_sel:DWORD
	s_mov_b64 s[4:5], 0
                                        ; implicit-def: $sgpr10
	s_and_saveexec_b64 s[8:9], s[6:7]
	s_xor_b64 s[6:7], exec, s[8:9]
	s_cbranch_execnz .LBB57_4093
; %bb.2045:
	s_or_saveexec_b64 s[6:7], s[6:7]
	v_mov_b32_e32 v1, s10
	s_xor_b64 exec, exec, s[6:7]
	s_cbranch_execnz .LBB57_4096
.LBB57_2046:
	s_or_b64 exec, exec, s[6:7]
	s_and_saveexec_b64 s[6:7], s[4:5]
	s_cbranch_execz .LBB57_2048
.LBB57_2047:
	v_bfe_u32 v1, v3, 24, 3
	v_ffbh_u32_e32 v6, v1
	v_min_u32_e32 v6, 32, v6
	v_lshrrev_b32_e32 v4, 27, v3
	v_subrev_u32_e32 v7, 28, v6
	v_and_b32_e32 v2, 0x80000000, v3
	v_and_b32_e32 v4, 15, v4
	v_bfe_u32 v5, v3, 27, 4
	v_lshlrev_b32_sdwa v3, v7, v3 dst_sel:DWORD dst_unused:UNUSED_PAD src0_sel:DWORD src1_sel:BYTE_3
	v_sub_u32_e32 v6, 29, v6
	v_and_b32_e32 v3, 7, v3
	v_cmp_eq_u16_e32 vcc, 0, v4
	v_cndmask_b32_e32 v1, v1, v3, vcc
	v_cndmask_b32_e32 v3, v5, v6, vcc
	v_mov_b32_e32 v4, 0x3b800000
	v_lshlrev_b32_e32 v1, 20, v1
	v_lshl_add_u32 v3, v3, 23, v4
	v_or3_b32 v1, v2, v3, v1
.LBB57_2048:
	s_or_b64 exec, exec, s[6:7]
	s_nop 0
	v_mfma_f32_16x16x4f32 a[0:3], v0, v1, a[0:3]
	s_nop 7
	s_nop 2
	flat_store_dwordx4 v[16:17], a[0:3] offset:752
	s_waitcnt vmcnt(0) lgkmcnt(0)
	s_setpc_b64 s[30:31]
.LBB57_2049:
	s_movk_i32 s4, 0x80
	v_cmp_eq_u16_sdwa s[12:13], v14, s4 src0_sel:BYTE_0 src1_sel:DWORD
	s_mov_b64 s[4:5], -1
                                        ; implicit-def: $sgpr10
	s_and_saveexec_b64 s[8:9], s[12:13]
; %bb.2050:
	s_mov_b32 s10, 0x7f800001
	s_xor_b64 s[4:5], exec, -1
; %bb.2051:
	s_or_b64 exec, exec, s[8:9]
	s_and_b64 s[4:5], s[4:5], exec
	s_or_saveexec_b64 s[6:7], s[6:7]
	v_mov_b32_e32 v20, s10
	s_xor_b64 exec, exec, s[6:7]
	s_cbranch_execz .LBB57_2
.LBB57_2052:
	v_mov_b32_e32 v20, 0
	v_cmp_ne_u16_sdwa s[8:9], v14, v20 src0_sel:BYTE_0 src1_sel:DWORD
	s_andn2_b64 s[4:5], s[4:5], exec
	s_and_b64 s[8:9], s[8:9], exec
	s_or_b64 s[4:5], s[4:5], s[8:9]
	s_or_b64 exec, exec, s[6:7]
	s_and_saveexec_b64 s[6:7], s[4:5]
	s_cbranch_execnz .LBB57_3
	s_branch .LBB57_4
.LBB57_2053:
	s_movk_i32 s4, 0x80
	v_cmp_eq_u16_sdwa s[12:13], v10, s4 src0_sel:BYTE_0 src1_sel:DWORD
	s_mov_b64 s[4:5], -1
                                        ; implicit-def: $sgpr10
	s_and_saveexec_b64 s[8:9], s[12:13]
; %bb.2054:
	s_mov_b32 s10, 0x7f800001
	s_xor_b64 s[4:5], exec, -1
; %bb.2055:
	s_or_b64 exec, exec, s[8:9]
	s_and_b64 s[4:5], s[4:5], exec
	s_or_saveexec_b64 s[6:7], s[6:7]
	v_mov_b32_e32 v21, s10
	s_xor_b64 exec, exec, s[6:7]
	s_cbranch_execz .LBB57_6
.LBB57_2056:
	v_mov_b32_e32 v21, 0
	v_cmp_ne_u16_sdwa s[8:9], v10, v21 src0_sel:BYTE_0 src1_sel:DWORD
	s_andn2_b64 s[4:5], s[4:5], exec
	s_and_b64 s[8:9], s[8:9], exec
	s_or_b64 s[4:5], s[4:5], s[8:9]
	s_or_b64 exec, exec, s[6:7]
	s_and_saveexec_b64 s[6:7], s[4:5]
	s_cbranch_execnz .LBB57_7
	s_branch .LBB57_8
.LBB57_2057:
	s_movk_i32 s4, 0x80
	v_cmp_eq_u16_sdwa s[12:13], v21, s4 src0_sel:BYTE_0 src1_sel:DWORD
	s_mov_b64 s[4:5], -1
                                        ; implicit-def: $sgpr10
	s_and_saveexec_b64 s[8:9], s[12:13]
; %bb.2058:
	s_mov_b32 s10, 0x7f800001
	s_xor_b64 s[4:5], exec, -1
; %bb.2059:
	s_or_b64 exec, exec, s[8:9]
	s_and_b64 s[4:5], s[4:5], exec
	s_or_saveexec_b64 s[6:7], s[6:7]
	v_mov_b32_e32 v20, s10
	s_xor_b64 exec, exec, s[6:7]
	s_cbranch_execz .LBB57_10
.LBB57_2060:
	v_mov_b32_e32 v20, 0
	v_cmp_ne_u16_sdwa s[8:9], v21, v20 src0_sel:BYTE_0 src1_sel:DWORD
	s_andn2_b64 s[4:5], s[4:5], exec
	s_and_b64 s[8:9], s[8:9], exec
	s_or_b64 s[4:5], s[4:5], s[8:9]
	s_or_b64 exec, exec, s[6:7]
	s_and_saveexec_b64 s[6:7], s[4:5]
	s_cbranch_execnz .LBB57_11
	s_branch .LBB57_12
.LBB57_2061:
	s_movk_i32 s4, 0x80
	v_cmp_eq_u16_sdwa s[12:13], v21, s4 src0_sel:BYTE_0 src1_sel:DWORD
	s_mov_b64 s[4:5], -1
                                        ; implicit-def: $sgpr10
	s_and_saveexec_b64 s[8:9], s[12:13]
; %bb.2062:
	s_mov_b32 s10, 0x7f800001
	s_xor_b64 s[4:5], exec, -1
; %bb.2063:
	s_or_b64 exec, exec, s[8:9]
	s_and_b64 s[4:5], s[4:5], exec
	s_or_saveexec_b64 s[6:7], s[6:7]
	v_mov_b32_e32 v22, s10
	s_xor_b64 exec, exec, s[6:7]
	s_cbranch_execz .LBB57_14
.LBB57_2064:
	v_mov_b32_e32 v22, 0
	v_cmp_ne_u16_sdwa s[8:9], v21, v22 src0_sel:BYTE_0 src1_sel:DWORD
	s_andn2_b64 s[4:5], s[4:5], exec
	s_and_b64 s[8:9], s[8:9], exec
	s_or_b64 s[4:5], s[4:5], s[8:9]
	s_or_b64 exec, exec, s[6:7]
	s_and_saveexec_b64 s[6:7], s[4:5]
	s_cbranch_execnz .LBB57_15
	s_branch .LBB57_16
.LBB57_2065:
	s_movk_i32 s4, 0x80
	v_cmp_eq_u16_e32 vcc, s4, v21
	s_mov_b64 s[4:5], -1
                                        ; implicit-def: $sgpr10
	s_and_saveexec_b64 s[8:9], vcc
; %bb.2066:
	s_mov_b32 s10, 0x7f800001
	s_xor_b64 s[4:5], exec, -1
; %bb.2067:
	s_or_b64 exec, exec, s[8:9]
	s_and_b64 s[4:5], s[4:5], exec
                                        ; implicit-def: $vgpr21
	s_or_saveexec_b64 s[6:7], s[6:7]
	v_mov_b32_e32 v20, s10
	s_xor_b64 exec, exec, s[6:7]
	s_cbranch_execz .LBB57_18
.LBB57_2068:
	v_cmp_ne_u16_e32 vcc, 0, v21
	s_andn2_b64 s[4:5], s[4:5], exec
	s_and_b64 s[8:9], vcc, exec
	v_mov_b32_e32 v20, 0
	s_or_b64 s[4:5], s[4:5], s[8:9]
	s_or_b64 exec, exec, s[6:7]
	s_and_saveexec_b64 s[6:7], s[4:5]
	s_cbranch_execnz .LBB57_19
	s_branch .LBB57_20
.LBB57_2069:
	s_movk_i32 s4, 0x80
	v_cmp_eq_u16_e32 vcc, s4, v21
	s_mov_b64 s[4:5], -1
                                        ; implicit-def: $sgpr10
	s_and_saveexec_b64 s[8:9], vcc
; %bb.2070:
	s_mov_b32 s10, 0x7f800001
	s_xor_b64 s[4:5], exec, -1
; %bb.2071:
	s_or_b64 exec, exec, s[8:9]
	s_and_b64 s[4:5], s[4:5], exec
                                        ; implicit-def: $vgpr21
	s_or_saveexec_b64 s[6:7], s[6:7]
	v_mov_b32_e32 v22, s10
	s_xor_b64 exec, exec, s[6:7]
	s_cbranch_execz .LBB57_22
.LBB57_2072:
	v_cmp_ne_u16_e32 vcc, 0, v21
	s_andn2_b64 s[4:5], s[4:5], exec
	s_and_b64 s[8:9], vcc, exec
	v_mov_b32_e32 v22, 0
	s_or_b64 s[4:5], s[4:5], s[8:9]
	s_or_b64 exec, exec, s[6:7]
	s_and_saveexec_b64 s[6:7], s[4:5]
	s_cbranch_execnz .LBB57_23
	s_branch .LBB57_24
.LBB57_2073:
	s_movk_i32 s4, 0x80
	v_cmp_eq_u16_sdwa s[12:13], v14, s4 src0_sel:BYTE_3 src1_sel:DWORD
	s_mov_b64 s[4:5], -1
                                        ; implicit-def: $sgpr10
	s_and_saveexec_b64 s[8:9], s[12:13]
; %bb.2074:
	s_mov_b32 s10, 0x7f800001
	s_xor_b64 s[4:5], exec, -1
; %bb.2075:
	s_or_b64 exec, exec, s[8:9]
	s_and_b64 s[4:5], s[4:5], exec
	s_or_saveexec_b64 s[6:7], s[6:7]
	v_mov_b32_e32 v20, s10
	s_xor_b64 exec, exec, s[6:7]
	s_cbranch_execz .LBB57_26
.LBB57_2076:
	v_mov_b32_e32 v20, 0
	v_cmp_ne_u16_sdwa s[8:9], v14, v20 src0_sel:BYTE_3 src1_sel:DWORD
	s_andn2_b64 s[4:5], s[4:5], exec
	s_and_b64 s[8:9], s[8:9], exec
	s_or_b64 s[4:5], s[4:5], s[8:9]
	s_or_b64 exec, exec, s[6:7]
	s_and_saveexec_b64 s[6:7], s[4:5]
	s_cbranch_execnz .LBB57_27
	s_branch .LBB57_28
.LBB57_2077:
	s_movk_i32 s4, 0x80
	v_cmp_eq_u16_sdwa s[12:13], v10, s4 src0_sel:BYTE_3 src1_sel:DWORD
	s_mov_b64 s[4:5], -1
                                        ; implicit-def: $sgpr10
	s_and_saveexec_b64 s[8:9], s[12:13]
; %bb.2078:
	s_mov_b32 s10, 0x7f800001
	s_xor_b64 s[4:5], exec, -1
; %bb.2079:
	s_or_b64 exec, exec, s[8:9]
	s_and_b64 s[4:5], s[4:5], exec
	s_or_saveexec_b64 s[6:7], s[6:7]
	v_mov_b32_e32 v14, s10
	s_xor_b64 exec, exec, s[6:7]
	s_cbranch_execz .LBB57_30
.LBB57_2080:
	v_mov_b32_e32 v14, 0
	v_cmp_ne_u16_sdwa s[8:9], v10, v14 src0_sel:BYTE_3 src1_sel:DWORD
	s_andn2_b64 s[4:5], s[4:5], exec
	s_and_b64 s[8:9], s[8:9], exec
	s_or_b64 s[4:5], s[4:5], s[8:9]
	s_or_b64 exec, exec, s[6:7]
	s_and_saveexec_b64 s[6:7], s[4:5]
	s_cbranch_execnz .LBB57_31
	s_branch .LBB57_32
.LBB57_2081:
	s_movk_i32 s4, 0x80
	v_cmp_eq_u16_sdwa s[12:13], v15, s4 src0_sel:BYTE_0 src1_sel:DWORD
	s_mov_b64 s[4:5], -1
                                        ; implicit-def: $sgpr10
	s_and_saveexec_b64 s[8:9], s[12:13]
; %bb.2082:
	s_mov_b32 s10, 0x7f800001
	s_xor_b64 s[4:5], exec, -1
; %bb.2083:
	s_or_b64 exec, exec, s[8:9]
	s_and_b64 s[4:5], s[4:5], exec
	s_or_saveexec_b64 s[6:7], s[6:7]
	v_mov_b32_e32 v10, s10
	s_xor_b64 exec, exec, s[6:7]
	s_cbranch_execz .LBB57_34
.LBB57_2084:
	v_mov_b32_e32 v10, 0
	v_cmp_ne_u16_sdwa s[8:9], v15, v10 src0_sel:BYTE_0 src1_sel:DWORD
	s_andn2_b64 s[4:5], s[4:5], exec
	s_and_b64 s[8:9], s[8:9], exec
	s_or_b64 s[4:5], s[4:5], s[8:9]
	s_or_b64 exec, exec, s[6:7]
	s_and_saveexec_b64 s[6:7], s[4:5]
	s_cbranch_execnz .LBB57_35
	s_branch .LBB57_36
.LBB57_2085:
	s_movk_i32 s4, 0x80
	v_cmp_eq_u16_sdwa s[12:13], v11, s4 src0_sel:BYTE_0 src1_sel:DWORD
	s_mov_b64 s[4:5], -1
                                        ; implicit-def: $sgpr10
	s_and_saveexec_b64 s[8:9], s[12:13]
; %bb.2086:
	s_mov_b32 s10, 0x7f800001
	s_xor_b64 s[4:5], exec, -1
; %bb.2087:
	s_or_b64 exec, exec, s[8:9]
	s_and_b64 s[4:5], s[4:5], exec
	s_or_saveexec_b64 s[6:7], s[6:7]
	v_mov_b32_e32 v14, s10
	s_xor_b64 exec, exec, s[6:7]
	s_cbranch_execz .LBB57_38
.LBB57_2088:
	v_mov_b32_e32 v14, 0
	v_cmp_ne_u16_sdwa s[8:9], v11, v14 src0_sel:BYTE_0 src1_sel:DWORD
	s_andn2_b64 s[4:5], s[4:5], exec
	s_and_b64 s[8:9], s[8:9], exec
	s_or_b64 s[4:5], s[4:5], s[8:9]
	s_or_b64 exec, exec, s[6:7]
	s_and_saveexec_b64 s[6:7], s[4:5]
	s_cbranch_execnz .LBB57_39
	s_branch .LBB57_40
.LBB57_2089:
	s_movk_i32 s4, 0x80
	v_cmp_eq_u16_sdwa s[12:13], v14, s4 src0_sel:BYTE_0 src1_sel:DWORD
	s_mov_b64 s[4:5], -1
                                        ; implicit-def: $sgpr10
	s_and_saveexec_b64 s[8:9], s[12:13]
; %bb.2090:
	s_mov_b32 s10, 0x7f800001
	s_xor_b64 s[4:5], exec, -1
; %bb.2091:
	s_or_b64 exec, exec, s[8:9]
	s_and_b64 s[4:5], s[4:5], exec
	s_or_saveexec_b64 s[6:7], s[6:7]
	v_mov_b32_e32 v10, s10
	s_xor_b64 exec, exec, s[6:7]
	s_cbranch_execz .LBB57_42
.LBB57_2092:
	v_mov_b32_e32 v10, 0
	v_cmp_ne_u16_sdwa s[8:9], v14, v10 src0_sel:BYTE_0 src1_sel:DWORD
	s_andn2_b64 s[4:5], s[4:5], exec
	s_and_b64 s[8:9], s[8:9], exec
	s_or_b64 s[4:5], s[4:5], s[8:9]
	s_or_b64 exec, exec, s[6:7]
	s_and_saveexec_b64 s[6:7], s[4:5]
	s_cbranch_execnz .LBB57_43
	s_branch .LBB57_44
.LBB57_2093:
	s_movk_i32 s4, 0x80
	v_cmp_eq_u16_sdwa s[12:13], v14, s4 src0_sel:BYTE_0 src1_sel:DWORD
	s_mov_b64 s[4:5], -1
                                        ; implicit-def: $sgpr10
	s_and_saveexec_b64 s[8:9], s[12:13]
; %bb.2094:
	s_mov_b32 s10, 0x7f800001
	s_xor_b64 s[4:5], exec, -1
; %bb.2095:
	s_or_b64 exec, exec, s[8:9]
	s_and_b64 s[4:5], s[4:5], exec
	s_or_saveexec_b64 s[6:7], s[6:7]
	v_mov_b32_e32 v20, s10
	s_xor_b64 exec, exec, s[6:7]
	s_cbranch_execz .LBB57_46
.LBB57_2096:
	v_mov_b32_e32 v20, 0
	v_cmp_ne_u16_sdwa s[8:9], v14, v20 src0_sel:BYTE_0 src1_sel:DWORD
	s_andn2_b64 s[4:5], s[4:5], exec
	s_and_b64 s[8:9], s[8:9], exec
	s_or_b64 s[4:5], s[4:5], s[8:9]
	s_or_b64 exec, exec, s[6:7]
	s_and_saveexec_b64 s[6:7], s[4:5]
	s_cbranch_execnz .LBB57_47
	s_branch .LBB57_48
.LBB57_2097:
	s_movk_i32 s4, 0x80
	v_cmp_eq_u16_e32 vcc, s4, v14
	s_mov_b64 s[4:5], -1
                                        ; implicit-def: $sgpr10
	s_and_saveexec_b64 s[8:9], vcc
; %bb.2098:
	s_mov_b32 s10, 0x7f800001
	s_xor_b64 s[4:5], exec, -1
; %bb.2099:
	s_or_b64 exec, exec, s[8:9]
	s_and_b64 s[4:5], s[4:5], exec
                                        ; implicit-def: $vgpr14
	s_or_saveexec_b64 s[6:7], s[6:7]
	v_mov_b32_e32 v10, s10
	s_xor_b64 exec, exec, s[6:7]
	s_cbranch_execz .LBB57_50
.LBB57_2100:
	v_cmp_ne_u16_e32 vcc, 0, v14
	s_andn2_b64 s[4:5], s[4:5], exec
	s_and_b64 s[8:9], vcc, exec
	v_mov_b32_e32 v10, 0
	s_or_b64 s[4:5], s[4:5], s[8:9]
	s_or_b64 exec, exec, s[6:7]
	s_and_saveexec_b64 s[6:7], s[4:5]
	s_cbranch_execnz .LBB57_51
	s_branch .LBB57_52
.LBB57_2101:
	s_movk_i32 s4, 0x80
	v_cmp_eq_u16_e32 vcc, s4, v14
	s_mov_b64 s[4:5], -1
                                        ; implicit-def: $sgpr10
	s_and_saveexec_b64 s[8:9], vcc
; %bb.2102:
	s_mov_b32 s10, 0x7f800001
	s_xor_b64 s[4:5], exec, -1
; %bb.2103:
	s_or_b64 exec, exec, s[8:9]
	s_and_b64 s[4:5], s[4:5], exec
                                        ; implicit-def: $vgpr14
	s_or_saveexec_b64 s[6:7], s[6:7]
	v_mov_b32_e32 v20, s10
	s_xor_b64 exec, exec, s[6:7]
	s_cbranch_execz .LBB57_54
.LBB57_2104:
	v_cmp_ne_u16_e32 vcc, 0, v14
	s_andn2_b64 s[4:5], s[4:5], exec
	s_and_b64 s[8:9], vcc, exec
	v_mov_b32_e32 v20, 0
	s_or_b64 s[4:5], s[4:5], s[8:9]
	s_or_b64 exec, exec, s[6:7]
	s_and_saveexec_b64 s[6:7], s[4:5]
	s_cbranch_execnz .LBB57_55
	s_branch .LBB57_56
.LBB57_2105:
	s_movk_i32 s4, 0x80
	v_cmp_eq_u16_sdwa s[12:13], v15, s4 src0_sel:BYTE_3 src1_sel:DWORD
	s_mov_b64 s[4:5], -1
                                        ; implicit-def: $sgpr10
	s_and_saveexec_b64 s[8:9], s[12:13]
; %bb.2106:
	s_mov_b32 s10, 0x7f800001
	s_xor_b64 s[4:5], exec, -1
; %bb.2107:
	s_or_b64 exec, exec, s[8:9]
	s_and_b64 s[4:5], s[4:5], exec
	s_or_saveexec_b64 s[6:7], s[6:7]
	v_mov_b32_e32 v10, s10
	s_xor_b64 exec, exec, s[6:7]
	s_cbranch_execz .LBB57_58
.LBB57_2108:
	v_mov_b32_e32 v10, 0
	v_cmp_ne_u16_sdwa s[8:9], v15, v10 src0_sel:BYTE_3 src1_sel:DWORD
	s_andn2_b64 s[4:5], s[4:5], exec
	s_and_b64 s[8:9], s[8:9], exec
	s_or_b64 s[4:5], s[4:5], s[8:9]
	s_or_b64 exec, exec, s[6:7]
	s_and_saveexec_b64 s[6:7], s[4:5]
	s_cbranch_execnz .LBB57_59
	s_branch .LBB57_60
.LBB57_2109:
	s_movk_i32 s4, 0x80
	v_cmp_eq_u16_sdwa s[12:13], v11, s4 src0_sel:BYTE_3 src1_sel:DWORD
	s_mov_b64 s[4:5], -1
                                        ; implicit-def: $sgpr10
	s_and_saveexec_b64 s[8:9], s[12:13]
; %bb.2110:
	s_mov_b32 s10, 0x7f800001
	s_xor_b64 s[4:5], exec, -1
; %bb.2111:
	s_or_b64 exec, exec, s[8:9]
	s_and_b64 s[4:5], s[4:5], exec
	s_or_saveexec_b64 s[6:7], s[6:7]
	v_mov_b32_e32 v14, s10
	s_xor_b64 exec, exec, s[6:7]
	s_cbranch_execz .LBB57_62
.LBB57_2112:
	v_mov_b32_e32 v14, 0
	v_cmp_ne_u16_sdwa s[8:9], v11, v14 src0_sel:BYTE_3 src1_sel:DWORD
	s_andn2_b64 s[4:5], s[4:5], exec
	s_and_b64 s[8:9], s[8:9], exec
	s_or_b64 s[4:5], s[4:5], s[8:9]
	s_or_b64 exec, exec, s[6:7]
	s_and_saveexec_b64 s[6:7], s[4:5]
	s_cbranch_execnz .LBB57_63
	s_branch .LBB57_64
.LBB57_2113:
	s_movk_i32 s4, 0x80
	v_cmp_eq_u16_sdwa s[12:13], v16, s4 src0_sel:BYTE_0 src1_sel:DWORD
	s_mov_b64 s[4:5], -1
                                        ; implicit-def: $sgpr10
	s_and_saveexec_b64 s[8:9], s[12:13]
; %bb.2114:
	s_mov_b32 s10, 0x7f800001
	s_xor_b64 s[4:5], exec, -1
; %bb.2115:
	s_or_b64 exec, exec, s[8:9]
	s_and_b64 s[4:5], s[4:5], exec
	s_or_saveexec_b64 s[6:7], s[6:7]
	v_mov_b32_e32 v10, s10
	s_xor_b64 exec, exec, s[6:7]
	s_cbranch_execz .LBB57_66
.LBB57_2116:
	v_mov_b32_e32 v10, 0
	v_cmp_ne_u16_sdwa s[8:9], v16, v10 src0_sel:BYTE_0 src1_sel:DWORD
	s_andn2_b64 s[4:5], s[4:5], exec
	s_and_b64 s[8:9], s[8:9], exec
	s_or_b64 s[4:5], s[4:5], s[8:9]
	s_or_b64 exec, exec, s[6:7]
	s_and_saveexec_b64 s[6:7], s[4:5]
	s_cbranch_execnz .LBB57_67
	s_branch .LBB57_68
.LBB57_2117:
	s_movk_i32 s4, 0x80
	v_cmp_eq_u16_sdwa s[12:13], v12, s4 src0_sel:BYTE_0 src1_sel:DWORD
	s_mov_b64 s[4:5], -1
                                        ; implicit-def: $sgpr10
	s_and_saveexec_b64 s[8:9], s[12:13]
; %bb.2118:
	s_mov_b32 s10, 0x7f800001
	s_xor_b64 s[4:5], exec, -1
; %bb.2119:
	s_or_b64 exec, exec, s[8:9]
	s_and_b64 s[4:5], s[4:5], exec
	s_or_saveexec_b64 s[6:7], s[6:7]
	v_mov_b32_e32 v11, s10
	s_xor_b64 exec, exec, s[6:7]
	s_cbranch_execz .LBB57_70
.LBB57_2120:
	v_mov_b32_e32 v11, 0
	v_cmp_ne_u16_sdwa s[8:9], v12, v11 src0_sel:BYTE_0 src1_sel:DWORD
	s_andn2_b64 s[4:5], s[4:5], exec
	s_and_b64 s[8:9], s[8:9], exec
	s_or_b64 s[4:5], s[4:5], s[8:9]
	s_or_b64 exec, exec, s[6:7]
	s_and_saveexec_b64 s[6:7], s[4:5]
	s_cbranch_execnz .LBB57_71
	s_branch .LBB57_72
.LBB57_2121:
	s_movk_i32 s4, 0x80
	v_cmp_eq_u16_sdwa s[12:13], v11, s4 src0_sel:BYTE_0 src1_sel:DWORD
	s_mov_b64 s[4:5], -1
                                        ; implicit-def: $sgpr10
	s_and_saveexec_b64 s[8:9], s[12:13]
; %bb.2122:
	s_mov_b32 s10, 0x7f800001
	s_xor_b64 s[4:5], exec, -1
; %bb.2123:
	s_or_b64 exec, exec, s[8:9]
	s_and_b64 s[4:5], s[4:5], exec
	s_or_saveexec_b64 s[6:7], s[6:7]
	v_mov_b32_e32 v10, s10
	s_xor_b64 exec, exec, s[6:7]
	s_cbranch_execz .LBB57_74
.LBB57_2124:
	v_mov_b32_e32 v10, 0
	v_cmp_ne_u16_sdwa s[8:9], v11, v10 src0_sel:BYTE_0 src1_sel:DWORD
	s_andn2_b64 s[4:5], s[4:5], exec
	s_and_b64 s[8:9], s[8:9], exec
	s_or_b64 s[4:5], s[4:5], s[8:9]
	s_or_b64 exec, exec, s[6:7]
	s_and_saveexec_b64 s[6:7], s[4:5]
	s_cbranch_execnz .LBB57_75
	s_branch .LBB57_76
.LBB57_2125:
	s_movk_i32 s4, 0x80
	v_cmp_eq_u16_sdwa s[12:13], v11, s4 src0_sel:BYTE_0 src1_sel:DWORD
	s_mov_b64 s[4:5], -1
                                        ; implicit-def: $sgpr10
	s_and_saveexec_b64 s[8:9], s[12:13]
; %bb.2126:
	s_mov_b32 s10, 0x7f800001
	s_xor_b64 s[4:5], exec, -1
; %bb.2127:
	s_or_b64 exec, exec, s[8:9]
	s_and_b64 s[4:5], s[4:5], exec
	s_or_saveexec_b64 s[6:7], s[6:7]
	v_mov_b32_e32 v14, s10
	s_xor_b64 exec, exec, s[6:7]
	s_cbranch_execz .LBB57_78
.LBB57_2128:
	v_mov_b32_e32 v14, 0
	v_cmp_ne_u16_sdwa s[8:9], v11, v14 src0_sel:BYTE_0 src1_sel:DWORD
	s_andn2_b64 s[4:5], s[4:5], exec
	s_and_b64 s[8:9], s[8:9], exec
	s_or_b64 s[4:5], s[4:5], s[8:9]
	s_or_b64 exec, exec, s[6:7]
	s_and_saveexec_b64 s[6:7], s[4:5]
	s_cbranch_execnz .LBB57_79
	s_branch .LBB57_80
.LBB57_2129:
	s_movk_i32 s4, 0x80
	v_cmp_eq_u16_e32 vcc, s4, v11
	s_mov_b64 s[4:5], -1
                                        ; implicit-def: $sgpr10
	s_and_saveexec_b64 s[8:9], vcc
; %bb.2130:
	s_mov_b32 s10, 0x7f800001
	s_xor_b64 s[4:5], exec, -1
; %bb.2131:
	s_or_b64 exec, exec, s[8:9]
	s_and_b64 s[4:5], s[4:5], exec
                                        ; implicit-def: $vgpr11
	s_or_saveexec_b64 s[6:7], s[6:7]
	v_mov_b32_e32 v10, s10
	s_xor_b64 exec, exec, s[6:7]
	s_cbranch_execz .LBB57_82
.LBB57_2132:
	v_cmp_ne_u16_e32 vcc, 0, v11
	s_andn2_b64 s[4:5], s[4:5], exec
	s_and_b64 s[8:9], vcc, exec
	v_mov_b32_e32 v10, 0
	s_or_b64 s[4:5], s[4:5], s[8:9]
	s_or_b64 exec, exec, s[6:7]
	s_and_saveexec_b64 s[6:7], s[4:5]
	s_cbranch_execnz .LBB57_83
	s_branch .LBB57_84
.LBB57_2133:
	s_movk_i32 s4, 0x80
	v_cmp_eq_u16_e32 vcc, s4, v11
	s_mov_b64 s[4:5], -1
                                        ; implicit-def: $sgpr10
	s_and_saveexec_b64 s[8:9], vcc
; %bb.2134:
	s_mov_b32 s10, 0x7f800001
	s_xor_b64 s[4:5], exec, -1
; %bb.2135:
	s_or_b64 exec, exec, s[8:9]
	s_and_b64 s[4:5], s[4:5], exec
                                        ; implicit-def: $vgpr11
	s_or_saveexec_b64 s[6:7], s[6:7]
	v_mov_b32_e32 v14, s10
	s_xor_b64 exec, exec, s[6:7]
	s_cbranch_execz .LBB57_86
.LBB57_2136:
	v_cmp_ne_u16_e32 vcc, 0, v11
	s_andn2_b64 s[4:5], s[4:5], exec
	s_and_b64 s[8:9], vcc, exec
	v_mov_b32_e32 v14, 0
	s_or_b64 s[4:5], s[4:5], s[8:9]
	s_or_b64 exec, exec, s[6:7]
	s_and_saveexec_b64 s[6:7], s[4:5]
	s_cbranch_execnz .LBB57_87
	s_branch .LBB57_88
.LBB57_2137:
	s_movk_i32 s4, 0x80
	v_cmp_eq_u16_sdwa s[12:13], v16, s4 src0_sel:BYTE_3 src1_sel:DWORD
	s_mov_b64 s[4:5], -1
                                        ; implicit-def: $sgpr10
	s_and_saveexec_b64 s[8:9], s[12:13]
; %bb.2138:
	s_mov_b32 s10, 0x7f800001
	s_xor_b64 s[4:5], exec, -1
; %bb.2139:
	s_or_b64 exec, exec, s[8:9]
	s_and_b64 s[4:5], s[4:5], exec
	s_or_saveexec_b64 s[6:7], s[6:7]
	v_mov_b32_e32 v10, s10
	s_xor_b64 exec, exec, s[6:7]
	s_cbranch_execz .LBB57_90
.LBB57_2140:
	v_mov_b32_e32 v10, 0
	v_cmp_ne_u16_sdwa s[8:9], v16, v10 src0_sel:BYTE_3 src1_sel:DWORD
	s_andn2_b64 s[4:5], s[4:5], exec
	s_and_b64 s[8:9], s[8:9], exec
	s_or_b64 s[4:5], s[4:5], s[8:9]
	s_or_b64 exec, exec, s[6:7]
	s_and_saveexec_b64 s[6:7], s[4:5]
	s_cbranch_execnz .LBB57_91
	s_branch .LBB57_92
.LBB57_2141:
	s_movk_i32 s4, 0x80
	v_cmp_eq_u16_sdwa s[12:13], v12, s4 src0_sel:BYTE_3 src1_sel:DWORD
	s_mov_b64 s[4:5], -1
                                        ; implicit-def: $sgpr10
	s_and_saveexec_b64 s[8:9], s[12:13]
; %bb.2142:
	s_mov_b32 s10, 0x7f800001
	s_xor_b64 s[4:5], exec, -1
; %bb.2143:
	s_or_b64 exec, exec, s[8:9]
	s_and_b64 s[4:5], s[4:5], exec
	s_or_saveexec_b64 s[6:7], s[6:7]
	v_mov_b32_e32 v11, s10
	s_xor_b64 exec, exec, s[6:7]
	s_cbranch_execz .LBB57_94
.LBB57_2144:
	v_mov_b32_e32 v11, 0
	v_cmp_ne_u16_sdwa s[8:9], v12, v11 src0_sel:BYTE_3 src1_sel:DWORD
	s_andn2_b64 s[4:5], s[4:5], exec
	s_and_b64 s[8:9], s[8:9], exec
	s_or_b64 s[4:5], s[4:5], s[8:9]
	s_or_b64 exec, exec, s[6:7]
	s_and_saveexec_b64 s[6:7], s[4:5]
	s_cbranch_execnz .LBB57_95
	s_branch .LBB57_96
.LBB57_2145:
	s_movk_i32 s4, 0x80
	v_cmp_eq_u16_sdwa s[12:13], v17, s4 src0_sel:BYTE_0 src1_sel:DWORD
	s_mov_b64 s[4:5], -1
                                        ; implicit-def: $sgpr10
	s_and_saveexec_b64 s[8:9], s[12:13]
; %bb.2146:
	s_mov_b32 s10, 0x7f800001
	s_xor_b64 s[4:5], exec, -1
; %bb.2147:
	s_or_b64 exec, exec, s[8:9]
	s_and_b64 s[4:5], s[4:5], exec
	s_or_saveexec_b64 s[6:7], s[6:7]
	v_mov_b32_e32 v10, s10
	s_xor_b64 exec, exec, s[6:7]
	s_cbranch_execz .LBB57_98
.LBB57_2148:
	v_mov_b32_e32 v10, 0
	v_cmp_ne_u16_sdwa s[8:9], v17, v10 src0_sel:BYTE_0 src1_sel:DWORD
	s_andn2_b64 s[4:5], s[4:5], exec
	s_and_b64 s[8:9], s[8:9], exec
	s_or_b64 s[4:5], s[4:5], s[8:9]
	s_or_b64 exec, exec, s[6:7]
	s_and_saveexec_b64 s[6:7], s[4:5]
	s_cbranch_execnz .LBB57_99
	s_branch .LBB57_100
.LBB57_2149:
	s_movk_i32 s4, 0x80
	v_cmp_eq_u16_sdwa s[12:13], v13, s4 src0_sel:BYTE_0 src1_sel:DWORD
	s_mov_b64 s[4:5], -1
                                        ; implicit-def: $sgpr10
	s_and_saveexec_b64 s[8:9], s[12:13]
; %bb.2150:
	s_mov_b32 s10, 0x7f800001
	s_xor_b64 s[4:5], exec, -1
; %bb.2151:
	s_or_b64 exec, exec, s[8:9]
	s_and_b64 s[4:5], s[4:5], exec
	s_or_saveexec_b64 s[6:7], s[6:7]
	v_mov_b32_e32 v11, s10
	s_xor_b64 exec, exec, s[6:7]
	s_cbranch_execz .LBB57_102
.LBB57_2152:
	v_mov_b32_e32 v11, 0
	v_cmp_ne_u16_sdwa s[8:9], v13, v11 src0_sel:BYTE_0 src1_sel:DWORD
	s_andn2_b64 s[4:5], s[4:5], exec
	s_and_b64 s[8:9], s[8:9], exec
	s_or_b64 s[4:5], s[4:5], s[8:9]
	s_or_b64 exec, exec, s[6:7]
	s_and_saveexec_b64 s[6:7], s[4:5]
	s_cbranch_execnz .LBB57_103
	s_branch .LBB57_104
.LBB57_2153:
	s_movk_i32 s4, 0x80
	v_cmp_eq_u16_sdwa s[12:13], v11, s4 src0_sel:BYTE_0 src1_sel:DWORD
	s_mov_b64 s[4:5], -1
                                        ; implicit-def: $sgpr10
	s_and_saveexec_b64 s[8:9], s[12:13]
; %bb.2154:
	s_mov_b32 s10, 0x7f800001
	s_xor_b64 s[4:5], exec, -1
; %bb.2155:
	s_or_b64 exec, exec, s[8:9]
	s_and_b64 s[4:5], s[4:5], exec
	s_or_saveexec_b64 s[6:7], s[6:7]
	v_mov_b32_e32 v10, s10
	s_xor_b64 exec, exec, s[6:7]
	s_cbranch_execz .LBB57_106
.LBB57_2156:
	v_mov_b32_e32 v10, 0
	v_cmp_ne_u16_sdwa s[8:9], v11, v10 src0_sel:BYTE_0 src1_sel:DWORD
	s_andn2_b64 s[4:5], s[4:5], exec
	s_and_b64 s[8:9], s[8:9], exec
	s_or_b64 s[4:5], s[4:5], s[8:9]
	s_or_b64 exec, exec, s[6:7]
	s_and_saveexec_b64 s[6:7], s[4:5]
	s_cbranch_execnz .LBB57_107
	s_branch .LBB57_108
.LBB57_2157:
	s_movk_i32 s4, 0x80
	v_cmp_eq_u16_sdwa s[12:13], v11, s4 src0_sel:BYTE_0 src1_sel:DWORD
	s_mov_b64 s[4:5], -1
                                        ; implicit-def: $sgpr10
	s_and_saveexec_b64 s[8:9], s[12:13]
; %bb.2158:
	s_mov_b32 s10, 0x7f800001
	s_xor_b64 s[4:5], exec, -1
; %bb.2159:
	s_or_b64 exec, exec, s[8:9]
	s_and_b64 s[4:5], s[4:5], exec
	s_or_saveexec_b64 s[6:7], s[6:7]
	v_mov_b32_e32 v12, s10
	s_xor_b64 exec, exec, s[6:7]
	s_cbranch_execz .LBB57_110
.LBB57_2160:
	v_mov_b32_e32 v12, 0
	v_cmp_ne_u16_sdwa s[8:9], v11, v12 src0_sel:BYTE_0 src1_sel:DWORD
	s_andn2_b64 s[4:5], s[4:5], exec
	s_and_b64 s[8:9], s[8:9], exec
	s_or_b64 s[4:5], s[4:5], s[8:9]
	s_or_b64 exec, exec, s[6:7]
	s_and_saveexec_b64 s[6:7], s[4:5]
	s_cbranch_execnz .LBB57_111
	s_branch .LBB57_112
.LBB57_2161:
	s_movk_i32 s4, 0x80
	v_cmp_eq_u16_e32 vcc, s4, v11
	s_mov_b64 s[4:5], -1
                                        ; implicit-def: $sgpr10
	s_and_saveexec_b64 s[8:9], vcc
; %bb.2162:
	s_mov_b32 s10, 0x7f800001
	s_xor_b64 s[4:5], exec, -1
; %bb.2163:
	s_or_b64 exec, exec, s[8:9]
	s_and_b64 s[4:5], s[4:5], exec
                                        ; implicit-def: $vgpr11
	s_or_saveexec_b64 s[6:7], s[6:7]
	v_mov_b32_e32 v10, s10
	s_xor_b64 exec, exec, s[6:7]
	s_cbranch_execz .LBB57_114
.LBB57_2164:
	v_cmp_ne_u16_e32 vcc, 0, v11
	s_andn2_b64 s[4:5], s[4:5], exec
	s_and_b64 s[8:9], vcc, exec
	v_mov_b32_e32 v10, 0
	s_or_b64 s[4:5], s[4:5], s[8:9]
	s_or_b64 exec, exec, s[6:7]
	s_and_saveexec_b64 s[6:7], s[4:5]
	s_cbranch_execnz .LBB57_115
	s_branch .LBB57_116
.LBB57_2165:
	s_movk_i32 s4, 0x80
	v_cmp_eq_u16_e32 vcc, s4, v11
	s_mov_b64 s[4:5], -1
                                        ; implicit-def: $sgpr10
	s_and_saveexec_b64 s[8:9], vcc
; %bb.2166:
	s_mov_b32 s10, 0x7f800001
	s_xor_b64 s[4:5], exec, -1
; %bb.2167:
	s_or_b64 exec, exec, s[8:9]
	s_and_b64 s[4:5], s[4:5], exec
                                        ; implicit-def: $vgpr11
	s_or_saveexec_b64 s[6:7], s[6:7]
	v_mov_b32_e32 v12, s10
	s_xor_b64 exec, exec, s[6:7]
	s_cbranch_execz .LBB57_118
.LBB57_2168:
	v_cmp_ne_u16_e32 vcc, 0, v11
	s_andn2_b64 s[4:5], s[4:5], exec
	s_and_b64 s[8:9], vcc, exec
	v_mov_b32_e32 v12, 0
	s_or_b64 s[4:5], s[4:5], s[8:9]
	s_or_b64 exec, exec, s[6:7]
	s_and_saveexec_b64 s[6:7], s[4:5]
	s_cbranch_execnz .LBB57_119
	s_branch .LBB57_120
.LBB57_2169:
	s_movk_i32 s4, 0x80
	v_cmp_eq_u16_sdwa s[12:13], v17, s4 src0_sel:BYTE_3 src1_sel:DWORD
	s_mov_b64 s[4:5], -1
                                        ; implicit-def: $sgpr10
	s_and_saveexec_b64 s[8:9], s[12:13]
; %bb.2170:
	s_mov_b32 s10, 0x7f800001
	s_xor_b64 s[4:5], exec, -1
; %bb.2171:
	s_or_b64 exec, exec, s[8:9]
	s_and_b64 s[4:5], s[4:5], exec
	s_or_saveexec_b64 s[6:7], s[6:7]
	v_mov_b32_e32 v10, s10
	s_xor_b64 exec, exec, s[6:7]
	s_cbranch_execz .LBB57_122
.LBB57_2172:
	v_mov_b32_e32 v10, 0
	v_cmp_ne_u16_sdwa s[8:9], v17, v10 src0_sel:BYTE_3 src1_sel:DWORD
	s_andn2_b64 s[4:5], s[4:5], exec
	s_and_b64 s[8:9], s[8:9], exec
	s_or_b64 s[4:5], s[4:5], s[8:9]
	s_or_b64 exec, exec, s[6:7]
	s_and_saveexec_b64 s[6:7], s[4:5]
	s_cbranch_execnz .LBB57_123
	s_branch .LBB57_124
.LBB57_2173:
	s_movk_i32 s4, 0x80
	v_cmp_eq_u16_sdwa s[12:13], v13, s4 src0_sel:BYTE_3 src1_sel:DWORD
	s_mov_b64 s[4:5], -1
                                        ; implicit-def: $sgpr10
	s_and_saveexec_b64 s[8:9], s[12:13]
; %bb.2174:
	s_mov_b32 s10, 0x7f800001
	s_xor_b64 s[4:5], exec, -1
; %bb.2175:
	s_or_b64 exec, exec, s[8:9]
	s_and_b64 s[4:5], s[4:5], exec
	s_or_saveexec_b64 s[6:7], s[6:7]
	v_mov_b32_e32 v11, s10
	s_xor_b64 exec, exec, s[6:7]
	s_cbranch_execz .LBB57_126
.LBB57_2176:
	v_mov_b32_e32 v11, 0
	v_cmp_ne_u16_sdwa s[8:9], v13, v11 src0_sel:BYTE_3 src1_sel:DWORD
	s_andn2_b64 s[4:5], s[4:5], exec
	s_and_b64 s[8:9], s[8:9], exec
	s_or_b64 s[4:5], s[4:5], s[8:9]
	s_or_b64 exec, exec, s[6:7]
	s_and_saveexec_b64 s[6:7], s[4:5]
	s_cbranch_execnz .LBB57_127
	s_branch .LBB57_128
.LBB57_2177:
	s_movk_i32 s4, 0x80
	v_cmp_eq_u16_sdwa s[12:13], v6, s4 src0_sel:BYTE_0 src1_sel:DWORD
	s_mov_b64 s[4:5], -1
                                        ; implicit-def: $sgpr10
	s_and_saveexec_b64 s[8:9], s[12:13]
; %bb.2178:
	s_mov_b32 s10, 0x7f800001
	s_xor_b64 s[4:5], exec, -1
; %bb.2179:
	s_or_b64 exec, exec, s[8:9]
	s_and_b64 s[4:5], s[4:5], exec
	s_or_saveexec_b64 s[6:7], s[6:7]
	v_mov_b32_e32 v10, s10
	s_xor_b64 exec, exec, s[6:7]
	s_cbranch_execz .LBB57_130
.LBB57_2180:
	v_mov_b32_e32 v10, 0
	v_cmp_ne_u16_sdwa s[8:9], v6, v10 src0_sel:BYTE_0 src1_sel:DWORD
	s_andn2_b64 s[4:5], s[4:5], exec
	s_and_b64 s[8:9], s[8:9], exec
	s_or_b64 s[4:5], s[4:5], s[8:9]
	s_or_b64 exec, exec, s[6:7]
	s_and_saveexec_b64 s[6:7], s[4:5]
	s_cbranch_execnz .LBB57_131
	s_branch .LBB57_132
.LBB57_2181:
	s_movk_i32 s4, 0x80
	v_cmp_eq_u16_sdwa s[12:13], v2, s4 src0_sel:BYTE_0 src1_sel:DWORD
	s_mov_b64 s[4:5], -1
                                        ; implicit-def: $sgpr10
	s_and_saveexec_b64 s[8:9], s[12:13]
; %bb.2182:
	s_mov_b32 s10, 0x7f800001
	s_xor_b64 s[4:5], exec, -1
; %bb.2183:
	s_or_b64 exec, exec, s[8:9]
	s_and_b64 s[4:5], s[4:5], exec
	s_or_saveexec_b64 s[6:7], s[6:7]
	v_mov_b32_e32 v11, s10
	s_xor_b64 exec, exec, s[6:7]
	s_cbranch_execz .LBB57_134
.LBB57_2184:
	v_mov_b32_e32 v11, 0
	v_cmp_ne_u16_sdwa s[8:9], v2, v11 src0_sel:BYTE_0 src1_sel:DWORD
	s_andn2_b64 s[4:5], s[4:5], exec
	s_and_b64 s[8:9], s[8:9], exec
	s_or_b64 s[4:5], s[4:5], s[8:9]
	s_or_b64 exec, exec, s[6:7]
	s_and_saveexec_b64 s[6:7], s[4:5]
	s_cbranch_execnz .LBB57_135
	s_branch .LBB57_136
.LBB57_2185:
	s_movk_i32 s4, 0x80
	v_cmp_eq_u16_sdwa s[12:13], v11, s4 src0_sel:BYTE_0 src1_sel:DWORD
	s_mov_b64 s[4:5], -1
                                        ; implicit-def: $sgpr10
	s_and_saveexec_b64 s[8:9], s[12:13]
; %bb.2186:
	s_mov_b32 s10, 0x7f800001
	s_xor_b64 s[4:5], exec, -1
; %bb.2187:
	s_or_b64 exec, exec, s[8:9]
	s_and_b64 s[4:5], s[4:5], exec
	s_or_saveexec_b64 s[6:7], s[6:7]
	v_mov_b32_e32 v10, s10
	s_xor_b64 exec, exec, s[6:7]
	s_cbranch_execz .LBB57_138
.LBB57_2188:
	v_mov_b32_e32 v10, 0
	v_cmp_ne_u16_sdwa s[8:9], v11, v10 src0_sel:BYTE_0 src1_sel:DWORD
	s_andn2_b64 s[4:5], s[4:5], exec
	s_and_b64 s[8:9], s[8:9], exec
	s_or_b64 s[4:5], s[4:5], s[8:9]
	s_or_b64 exec, exec, s[6:7]
	s_and_saveexec_b64 s[6:7], s[4:5]
	s_cbranch_execnz .LBB57_139
	s_branch .LBB57_140
.LBB57_2189:
	s_movk_i32 s4, 0x80
	v_cmp_eq_u16_sdwa s[12:13], v11, s4 src0_sel:BYTE_0 src1_sel:DWORD
	s_mov_b64 s[4:5], -1
                                        ; implicit-def: $sgpr10
	s_and_saveexec_b64 s[8:9], s[12:13]
; %bb.2190:
	s_mov_b32 s10, 0x7f800001
	s_xor_b64 s[4:5], exec, -1
; %bb.2191:
	s_or_b64 exec, exec, s[8:9]
	s_and_b64 s[4:5], s[4:5], exec
	s_or_saveexec_b64 s[6:7], s[6:7]
	v_mov_b32_e32 v12, s10
	s_xor_b64 exec, exec, s[6:7]
	s_cbranch_execz .LBB57_142
.LBB57_2192:
	v_mov_b32_e32 v12, 0
	v_cmp_ne_u16_sdwa s[8:9], v11, v12 src0_sel:BYTE_0 src1_sel:DWORD
	s_andn2_b64 s[4:5], s[4:5], exec
	s_and_b64 s[8:9], s[8:9], exec
	s_or_b64 s[4:5], s[4:5], s[8:9]
	s_or_b64 exec, exec, s[6:7]
	s_and_saveexec_b64 s[6:7], s[4:5]
	s_cbranch_execnz .LBB57_143
	s_branch .LBB57_144
.LBB57_2193:
	s_movk_i32 s4, 0x80
	v_cmp_eq_u16_e32 vcc, s4, v11
	s_mov_b64 s[4:5], -1
                                        ; implicit-def: $sgpr10
	s_and_saveexec_b64 s[8:9], vcc
; %bb.2194:
	s_mov_b32 s10, 0x7f800001
	s_xor_b64 s[4:5], exec, -1
; %bb.2195:
	s_or_b64 exec, exec, s[8:9]
	s_and_b64 s[4:5], s[4:5], exec
                                        ; implicit-def: $vgpr11
	s_or_saveexec_b64 s[6:7], s[6:7]
	v_mov_b32_e32 v10, s10
	s_xor_b64 exec, exec, s[6:7]
	s_cbranch_execz .LBB57_146
.LBB57_2196:
	v_cmp_ne_u16_e32 vcc, 0, v11
	s_andn2_b64 s[4:5], s[4:5], exec
	s_and_b64 s[8:9], vcc, exec
	v_mov_b32_e32 v10, 0
	s_or_b64 s[4:5], s[4:5], s[8:9]
	s_or_b64 exec, exec, s[6:7]
	s_and_saveexec_b64 s[6:7], s[4:5]
	s_cbranch_execnz .LBB57_147
	s_branch .LBB57_148
.LBB57_2197:
	s_movk_i32 s4, 0x80
	v_cmp_eq_u16_e32 vcc, s4, v11
	s_mov_b64 s[4:5], -1
                                        ; implicit-def: $sgpr10
	s_and_saveexec_b64 s[8:9], vcc
; %bb.2198:
	s_mov_b32 s10, 0x7f800001
	s_xor_b64 s[4:5], exec, -1
; %bb.2199:
	s_or_b64 exec, exec, s[8:9]
	s_and_b64 s[4:5], s[4:5], exec
                                        ; implicit-def: $vgpr11
	s_or_saveexec_b64 s[6:7], s[6:7]
	v_mov_b32_e32 v12, s10
	s_xor_b64 exec, exec, s[6:7]
	s_cbranch_execz .LBB57_150
.LBB57_2200:
	v_cmp_ne_u16_e32 vcc, 0, v11
	s_andn2_b64 s[4:5], s[4:5], exec
	s_and_b64 s[8:9], vcc, exec
	v_mov_b32_e32 v12, 0
	s_or_b64 s[4:5], s[4:5], s[8:9]
	s_or_b64 exec, exec, s[6:7]
	s_and_saveexec_b64 s[6:7], s[4:5]
	s_cbranch_execnz .LBB57_151
	s_branch .LBB57_152
.LBB57_2201:
	s_movk_i32 s4, 0x80
	v_cmp_eq_u16_sdwa s[12:13], v6, s4 src0_sel:BYTE_3 src1_sel:DWORD
	s_mov_b64 s[4:5], -1
                                        ; implicit-def: $sgpr10
	s_and_saveexec_b64 s[8:9], s[12:13]
; %bb.2202:
	s_mov_b32 s10, 0x7f800001
	s_xor_b64 s[4:5], exec, -1
; %bb.2203:
	s_or_b64 exec, exec, s[8:9]
	s_and_b64 s[4:5], s[4:5], exec
	s_or_saveexec_b64 s[6:7], s[6:7]
	v_mov_b32_e32 v10, s10
	s_xor_b64 exec, exec, s[6:7]
	s_cbranch_execz .LBB57_154
.LBB57_2204:
	v_mov_b32_e32 v10, 0
	v_cmp_ne_u16_sdwa s[8:9], v6, v10 src0_sel:BYTE_3 src1_sel:DWORD
	s_andn2_b64 s[4:5], s[4:5], exec
	s_and_b64 s[8:9], s[8:9], exec
	s_or_b64 s[4:5], s[4:5], s[8:9]
	s_or_b64 exec, exec, s[6:7]
	s_and_saveexec_b64 s[6:7], s[4:5]
	s_cbranch_execnz .LBB57_155
	s_branch .LBB57_156
.LBB57_2205:
	s_movk_i32 s4, 0x80
	v_cmp_eq_u16_sdwa s[12:13], v2, s4 src0_sel:BYTE_3 src1_sel:DWORD
	s_mov_b64 s[4:5], -1
                                        ; implicit-def: $sgpr10
	s_and_saveexec_b64 s[8:9], s[12:13]
; %bb.2206:
	s_mov_b32 s10, 0x7f800001
	s_xor_b64 s[4:5], exec, -1
; %bb.2207:
	s_or_b64 exec, exec, s[8:9]
	s_and_b64 s[4:5], s[4:5], exec
	s_or_saveexec_b64 s[6:7], s[6:7]
	v_mov_b32_e32 v6, s10
	s_xor_b64 exec, exec, s[6:7]
	s_cbranch_execz .LBB57_158
.LBB57_2208:
	v_mov_b32_e32 v6, 0
	v_cmp_ne_u16_sdwa s[8:9], v2, v6 src0_sel:BYTE_3 src1_sel:DWORD
	s_andn2_b64 s[4:5], s[4:5], exec
	s_and_b64 s[8:9], s[8:9], exec
	s_or_b64 s[4:5], s[4:5], s[8:9]
	s_or_b64 exec, exec, s[6:7]
	s_and_saveexec_b64 s[6:7], s[4:5]
	s_cbranch_execnz .LBB57_159
	s_branch .LBB57_160
.LBB57_2209:
	s_movk_i32 s4, 0x80
	v_cmp_eq_u16_sdwa s[12:13], v7, s4 src0_sel:BYTE_0 src1_sel:DWORD
	s_mov_b64 s[4:5], -1
                                        ; implicit-def: $sgpr10
	s_and_saveexec_b64 s[8:9], s[12:13]
; %bb.2210:
	s_mov_b32 s10, 0x7f800001
	s_xor_b64 s[4:5], exec, -1
; %bb.2211:
	s_or_b64 exec, exec, s[8:9]
	s_and_b64 s[4:5], s[4:5], exec
	s_or_saveexec_b64 s[6:7], s[6:7]
	v_mov_b32_e32 v2, s10
	s_xor_b64 exec, exec, s[6:7]
	s_cbranch_execz .LBB57_162
.LBB57_2212:
	v_mov_b32_e32 v2, 0
	v_cmp_ne_u16_sdwa s[8:9], v7, v2 src0_sel:BYTE_0 src1_sel:DWORD
	s_andn2_b64 s[4:5], s[4:5], exec
	s_and_b64 s[8:9], s[8:9], exec
	s_or_b64 s[4:5], s[4:5], s[8:9]
	s_or_b64 exec, exec, s[6:7]
	s_and_saveexec_b64 s[6:7], s[4:5]
	s_cbranch_execnz .LBB57_163
	s_branch .LBB57_164
.LBB57_2213:
	s_movk_i32 s4, 0x80
	v_cmp_eq_u16_sdwa s[12:13], v3, s4 src0_sel:BYTE_0 src1_sel:DWORD
	s_mov_b64 s[4:5], -1
                                        ; implicit-def: $sgpr10
	s_and_saveexec_b64 s[8:9], s[12:13]
; %bb.2214:
	s_mov_b32 s10, 0x7f800001
	s_xor_b64 s[4:5], exec, -1
; %bb.2215:
	s_or_b64 exec, exec, s[8:9]
	s_and_b64 s[4:5], s[4:5], exec
	s_or_saveexec_b64 s[6:7], s[6:7]
	v_mov_b32_e32 v6, s10
	s_xor_b64 exec, exec, s[6:7]
	s_cbranch_execz .LBB57_166
.LBB57_2216:
	v_mov_b32_e32 v6, 0
	v_cmp_ne_u16_sdwa s[8:9], v3, v6 src0_sel:BYTE_0 src1_sel:DWORD
	s_andn2_b64 s[4:5], s[4:5], exec
	s_and_b64 s[8:9], s[8:9], exec
	s_or_b64 s[4:5], s[4:5], s[8:9]
	s_or_b64 exec, exec, s[6:7]
	s_and_saveexec_b64 s[6:7], s[4:5]
	s_cbranch_execnz .LBB57_167
	s_branch .LBB57_168
.LBB57_2217:
	s_movk_i32 s4, 0x80
	v_cmp_eq_u16_sdwa s[12:13], v6, s4 src0_sel:BYTE_0 src1_sel:DWORD
	s_mov_b64 s[4:5], -1
                                        ; implicit-def: $sgpr10
	s_and_saveexec_b64 s[8:9], s[12:13]
; %bb.2218:
	s_mov_b32 s10, 0x7f800001
	s_xor_b64 s[4:5], exec, -1
; %bb.2219:
	s_or_b64 exec, exec, s[8:9]
	s_and_b64 s[4:5], s[4:5], exec
	s_or_saveexec_b64 s[6:7], s[6:7]
	v_mov_b32_e32 v2, s10
	s_xor_b64 exec, exec, s[6:7]
	s_cbranch_execz .LBB57_170
.LBB57_2220:
	v_mov_b32_e32 v2, 0
	v_cmp_ne_u16_sdwa s[8:9], v6, v2 src0_sel:BYTE_0 src1_sel:DWORD
	s_andn2_b64 s[4:5], s[4:5], exec
	s_and_b64 s[8:9], s[8:9], exec
	s_or_b64 s[4:5], s[4:5], s[8:9]
	s_or_b64 exec, exec, s[6:7]
	s_and_saveexec_b64 s[6:7], s[4:5]
	s_cbranch_execnz .LBB57_171
	s_branch .LBB57_172
.LBB57_2221:
	s_movk_i32 s4, 0x80
	v_cmp_eq_u16_sdwa s[12:13], v6, s4 src0_sel:BYTE_0 src1_sel:DWORD
	s_mov_b64 s[4:5], -1
                                        ; implicit-def: $sgpr10
	s_and_saveexec_b64 s[8:9], s[12:13]
; %bb.2222:
	s_mov_b32 s10, 0x7f800001
	s_xor_b64 s[4:5], exec, -1
; %bb.2223:
	s_or_b64 exec, exec, s[8:9]
	s_and_b64 s[4:5], s[4:5], exec
	s_or_saveexec_b64 s[6:7], s[6:7]
	v_mov_b32_e32 v10, s10
	s_xor_b64 exec, exec, s[6:7]
	s_cbranch_execz .LBB57_174
.LBB57_2224:
	v_mov_b32_e32 v10, 0
	v_cmp_ne_u16_sdwa s[8:9], v6, v10 src0_sel:BYTE_0 src1_sel:DWORD
	s_andn2_b64 s[4:5], s[4:5], exec
	s_and_b64 s[8:9], s[8:9], exec
	s_or_b64 s[4:5], s[4:5], s[8:9]
	s_or_b64 exec, exec, s[6:7]
	s_and_saveexec_b64 s[6:7], s[4:5]
	s_cbranch_execnz .LBB57_175
	s_branch .LBB57_176
.LBB57_2225:
	s_movk_i32 s4, 0x80
	v_cmp_eq_u16_e32 vcc, s4, v6
	s_mov_b64 s[4:5], -1
                                        ; implicit-def: $sgpr10
	s_and_saveexec_b64 s[8:9], vcc
; %bb.2226:
	s_mov_b32 s10, 0x7f800001
	s_xor_b64 s[4:5], exec, -1
; %bb.2227:
	s_or_b64 exec, exec, s[8:9]
	s_and_b64 s[4:5], s[4:5], exec
                                        ; implicit-def: $vgpr6
	s_or_saveexec_b64 s[6:7], s[6:7]
	v_mov_b32_e32 v2, s10
	s_xor_b64 exec, exec, s[6:7]
	s_cbranch_execz .LBB57_178
.LBB57_2228:
	v_cmp_ne_u16_e32 vcc, 0, v6
	s_andn2_b64 s[4:5], s[4:5], exec
	s_and_b64 s[8:9], vcc, exec
	v_mov_b32_e32 v2, 0
	s_or_b64 s[4:5], s[4:5], s[8:9]
	s_or_b64 exec, exec, s[6:7]
	s_and_saveexec_b64 s[6:7], s[4:5]
	s_cbranch_execnz .LBB57_179
	s_branch .LBB57_180
.LBB57_2229:
	s_movk_i32 s4, 0x80
	v_cmp_eq_u16_e32 vcc, s4, v6
	s_mov_b64 s[4:5], -1
                                        ; implicit-def: $sgpr10
	s_and_saveexec_b64 s[8:9], vcc
; %bb.2230:
	s_mov_b32 s10, 0x7f800001
	s_xor_b64 s[4:5], exec, -1
; %bb.2231:
	s_or_b64 exec, exec, s[8:9]
	s_and_b64 s[4:5], s[4:5], exec
                                        ; implicit-def: $vgpr6
	s_or_saveexec_b64 s[6:7], s[6:7]
	v_mov_b32_e32 v10, s10
	s_xor_b64 exec, exec, s[6:7]
	s_cbranch_execz .LBB57_182
.LBB57_2232:
	v_cmp_ne_u16_e32 vcc, 0, v6
	s_andn2_b64 s[4:5], s[4:5], exec
	s_and_b64 s[8:9], vcc, exec
	v_mov_b32_e32 v10, 0
	s_or_b64 s[4:5], s[4:5], s[8:9]
	s_or_b64 exec, exec, s[6:7]
	s_and_saveexec_b64 s[6:7], s[4:5]
	s_cbranch_execnz .LBB57_183
	s_branch .LBB57_184
.LBB57_2233:
	s_movk_i32 s4, 0x80
	v_cmp_eq_u16_sdwa s[12:13], v7, s4 src0_sel:BYTE_3 src1_sel:DWORD
	s_mov_b64 s[4:5], -1
                                        ; implicit-def: $sgpr10
	s_and_saveexec_b64 s[8:9], s[12:13]
; %bb.2234:
	s_mov_b32 s10, 0x7f800001
	s_xor_b64 s[4:5], exec, -1
; %bb.2235:
	s_or_b64 exec, exec, s[8:9]
	s_and_b64 s[4:5], s[4:5], exec
	s_or_saveexec_b64 s[6:7], s[6:7]
	v_mov_b32_e32 v2, s10
	s_xor_b64 exec, exec, s[6:7]
	s_cbranch_execz .LBB57_186
.LBB57_2236:
	v_mov_b32_e32 v2, 0
	v_cmp_ne_u16_sdwa s[8:9], v7, v2 src0_sel:BYTE_3 src1_sel:DWORD
	s_andn2_b64 s[4:5], s[4:5], exec
	s_and_b64 s[8:9], s[8:9], exec
	s_or_b64 s[4:5], s[4:5], s[8:9]
	s_or_b64 exec, exec, s[6:7]
	s_and_saveexec_b64 s[6:7], s[4:5]
	s_cbranch_execnz .LBB57_187
	s_branch .LBB57_188
.LBB57_2237:
	s_movk_i32 s4, 0x80
	v_cmp_eq_u16_sdwa s[12:13], v3, s4 src0_sel:BYTE_3 src1_sel:DWORD
	s_mov_b64 s[4:5], -1
                                        ; implicit-def: $sgpr10
	s_and_saveexec_b64 s[8:9], s[12:13]
; %bb.2238:
	s_mov_b32 s10, 0x7f800001
	s_xor_b64 s[4:5], exec, -1
; %bb.2239:
	s_or_b64 exec, exec, s[8:9]
	s_and_b64 s[4:5], s[4:5], exec
	s_or_saveexec_b64 s[6:7], s[6:7]
	v_mov_b32_e32 v6, s10
	s_xor_b64 exec, exec, s[6:7]
	s_cbranch_execz .LBB57_190
.LBB57_2240:
	v_mov_b32_e32 v6, 0
	v_cmp_ne_u16_sdwa s[8:9], v3, v6 src0_sel:BYTE_3 src1_sel:DWORD
	s_andn2_b64 s[4:5], s[4:5], exec
	s_and_b64 s[8:9], s[8:9], exec
	s_or_b64 s[4:5], s[4:5], s[8:9]
	s_or_b64 exec, exec, s[6:7]
	s_and_saveexec_b64 s[6:7], s[4:5]
	s_cbranch_execnz .LBB57_191
	s_branch .LBB57_192
.LBB57_2241:
	s_movk_i32 s4, 0x80
	v_cmp_eq_u16_sdwa s[12:13], v8, s4 src0_sel:BYTE_0 src1_sel:DWORD
	s_mov_b64 s[4:5], -1
                                        ; implicit-def: $sgpr10
	s_and_saveexec_b64 s[8:9], s[12:13]
; %bb.2242:
	s_mov_b32 s10, 0x7f800001
	s_xor_b64 s[4:5], exec, -1
; %bb.2243:
	s_or_b64 exec, exec, s[8:9]
	s_and_b64 s[4:5], s[4:5], exec
	s_or_saveexec_b64 s[6:7], s[6:7]
	v_mov_b32_e32 v2, s10
	s_xor_b64 exec, exec, s[6:7]
	s_cbranch_execz .LBB57_194
.LBB57_2244:
	v_mov_b32_e32 v2, 0
	v_cmp_ne_u16_sdwa s[8:9], v8, v2 src0_sel:BYTE_0 src1_sel:DWORD
	s_andn2_b64 s[4:5], s[4:5], exec
	s_and_b64 s[8:9], s[8:9], exec
	s_or_b64 s[4:5], s[4:5], s[8:9]
	s_or_b64 exec, exec, s[6:7]
	s_and_saveexec_b64 s[6:7], s[4:5]
	s_cbranch_execnz .LBB57_195
	s_branch .LBB57_196
.LBB57_2245:
	s_movk_i32 s4, 0x80
	v_cmp_eq_u16_sdwa s[12:13], v4, s4 src0_sel:BYTE_0 src1_sel:DWORD
	s_mov_b64 s[4:5], -1
                                        ; implicit-def: $sgpr10
	s_and_saveexec_b64 s[8:9], s[12:13]
; %bb.2246:
	s_mov_b32 s10, 0x7f800001
	s_xor_b64 s[4:5], exec, -1
; %bb.2247:
	s_or_b64 exec, exec, s[8:9]
	s_and_b64 s[4:5], s[4:5], exec
	s_or_saveexec_b64 s[6:7], s[6:7]
	v_mov_b32_e32 v3, s10
	s_xor_b64 exec, exec, s[6:7]
	s_cbranch_execz .LBB57_198
.LBB57_2248:
	v_mov_b32_e32 v3, 0
	v_cmp_ne_u16_sdwa s[8:9], v4, v3 src0_sel:BYTE_0 src1_sel:DWORD
	s_andn2_b64 s[4:5], s[4:5], exec
	s_and_b64 s[8:9], s[8:9], exec
	s_or_b64 s[4:5], s[4:5], s[8:9]
	s_or_b64 exec, exec, s[6:7]
	s_and_saveexec_b64 s[6:7], s[4:5]
	s_cbranch_execnz .LBB57_199
	s_branch .LBB57_200
.LBB57_2249:
	s_movk_i32 s4, 0x80
	v_cmp_eq_u16_sdwa s[12:13], v3, s4 src0_sel:BYTE_0 src1_sel:DWORD
	s_mov_b64 s[4:5], -1
                                        ; implicit-def: $sgpr10
	s_and_saveexec_b64 s[8:9], s[12:13]
; %bb.2250:
	s_mov_b32 s10, 0x7f800001
	s_xor_b64 s[4:5], exec, -1
; %bb.2251:
	s_or_b64 exec, exec, s[8:9]
	s_and_b64 s[4:5], s[4:5], exec
	s_or_saveexec_b64 s[6:7], s[6:7]
	v_mov_b32_e32 v2, s10
	s_xor_b64 exec, exec, s[6:7]
	s_cbranch_execz .LBB57_202
.LBB57_2252:
	v_mov_b32_e32 v2, 0
	v_cmp_ne_u16_sdwa s[8:9], v3, v2 src0_sel:BYTE_0 src1_sel:DWORD
	s_andn2_b64 s[4:5], s[4:5], exec
	s_and_b64 s[8:9], s[8:9], exec
	s_or_b64 s[4:5], s[4:5], s[8:9]
	s_or_b64 exec, exec, s[6:7]
	s_and_saveexec_b64 s[6:7], s[4:5]
	s_cbranch_execnz .LBB57_203
	s_branch .LBB57_204
.LBB57_2253:
	s_movk_i32 s4, 0x80
	v_cmp_eq_u16_sdwa s[12:13], v3, s4 src0_sel:BYTE_0 src1_sel:DWORD
	s_mov_b64 s[4:5], -1
                                        ; implicit-def: $sgpr10
	s_and_saveexec_b64 s[8:9], s[12:13]
; %bb.2254:
	s_mov_b32 s10, 0x7f800001
	s_xor_b64 s[4:5], exec, -1
; %bb.2255:
	s_or_b64 exec, exec, s[8:9]
	s_and_b64 s[4:5], s[4:5], exec
	s_or_saveexec_b64 s[6:7], s[6:7]
	v_mov_b32_e32 v6, s10
	s_xor_b64 exec, exec, s[6:7]
	s_cbranch_execz .LBB57_206
.LBB57_2256:
	v_mov_b32_e32 v6, 0
	v_cmp_ne_u16_sdwa s[8:9], v3, v6 src0_sel:BYTE_0 src1_sel:DWORD
	s_andn2_b64 s[4:5], s[4:5], exec
	s_and_b64 s[8:9], s[8:9], exec
	s_or_b64 s[4:5], s[4:5], s[8:9]
	s_or_b64 exec, exec, s[6:7]
	s_and_saveexec_b64 s[6:7], s[4:5]
	s_cbranch_execnz .LBB57_207
	s_branch .LBB57_208
.LBB57_2257:
	s_movk_i32 s4, 0x80
	v_cmp_eq_u16_e32 vcc, s4, v3
	s_mov_b64 s[4:5], -1
                                        ; implicit-def: $sgpr10
	s_and_saveexec_b64 s[8:9], vcc
; %bb.2258:
	s_mov_b32 s10, 0x7f800001
	s_xor_b64 s[4:5], exec, -1
; %bb.2259:
	s_or_b64 exec, exec, s[8:9]
	s_and_b64 s[4:5], s[4:5], exec
                                        ; implicit-def: $vgpr3
	s_or_saveexec_b64 s[6:7], s[6:7]
	v_mov_b32_e32 v2, s10
	s_xor_b64 exec, exec, s[6:7]
	s_cbranch_execz .LBB57_210
.LBB57_2260:
	v_cmp_ne_u16_e32 vcc, 0, v3
	s_andn2_b64 s[4:5], s[4:5], exec
	s_and_b64 s[8:9], vcc, exec
	v_mov_b32_e32 v2, 0
	s_or_b64 s[4:5], s[4:5], s[8:9]
	s_or_b64 exec, exec, s[6:7]
	s_and_saveexec_b64 s[6:7], s[4:5]
	s_cbranch_execnz .LBB57_211
	s_branch .LBB57_212
.LBB57_2261:
	s_movk_i32 s4, 0x80
	v_cmp_eq_u16_e32 vcc, s4, v3
	s_mov_b64 s[4:5], -1
                                        ; implicit-def: $sgpr10
	s_and_saveexec_b64 s[8:9], vcc
; %bb.2262:
	s_mov_b32 s10, 0x7f800001
	s_xor_b64 s[4:5], exec, -1
; %bb.2263:
	s_or_b64 exec, exec, s[8:9]
	s_and_b64 s[4:5], s[4:5], exec
                                        ; implicit-def: $vgpr3
	s_or_saveexec_b64 s[6:7], s[6:7]
	v_mov_b32_e32 v6, s10
	s_xor_b64 exec, exec, s[6:7]
	s_cbranch_execz .LBB57_214
.LBB57_2264:
	v_cmp_ne_u16_e32 vcc, 0, v3
	s_andn2_b64 s[4:5], s[4:5], exec
	s_and_b64 s[8:9], vcc, exec
	v_mov_b32_e32 v6, 0
	s_or_b64 s[4:5], s[4:5], s[8:9]
	s_or_b64 exec, exec, s[6:7]
	s_and_saveexec_b64 s[6:7], s[4:5]
	s_cbranch_execnz .LBB57_215
	s_branch .LBB57_216
.LBB57_2265:
	s_movk_i32 s4, 0x80
	v_cmp_eq_u16_sdwa s[12:13], v8, s4 src0_sel:BYTE_3 src1_sel:DWORD
	s_mov_b64 s[4:5], -1
                                        ; implicit-def: $sgpr10
	s_and_saveexec_b64 s[8:9], s[12:13]
; %bb.2266:
	s_mov_b32 s10, 0x7f800001
	s_xor_b64 s[4:5], exec, -1
; %bb.2267:
	s_or_b64 exec, exec, s[8:9]
	s_and_b64 s[4:5], s[4:5], exec
	s_or_saveexec_b64 s[6:7], s[6:7]
	v_mov_b32_e32 v2, s10
	s_xor_b64 exec, exec, s[6:7]
	s_cbranch_execz .LBB57_218
.LBB57_2268:
	v_mov_b32_e32 v2, 0
	v_cmp_ne_u16_sdwa s[8:9], v8, v2 src0_sel:BYTE_3 src1_sel:DWORD
	s_andn2_b64 s[4:5], s[4:5], exec
	s_and_b64 s[8:9], s[8:9], exec
	s_or_b64 s[4:5], s[4:5], s[8:9]
	s_or_b64 exec, exec, s[6:7]
	s_and_saveexec_b64 s[6:7], s[4:5]
	s_cbranch_execnz .LBB57_219
	s_branch .LBB57_220
.LBB57_2269:
	s_movk_i32 s4, 0x80
	v_cmp_eq_u16_sdwa s[12:13], v4, s4 src0_sel:BYTE_3 src1_sel:DWORD
	s_mov_b64 s[4:5], -1
                                        ; implicit-def: $sgpr10
	s_and_saveexec_b64 s[8:9], s[12:13]
; %bb.2270:
	s_mov_b32 s10, 0x7f800001
	s_xor_b64 s[4:5], exec, -1
; %bb.2271:
	s_or_b64 exec, exec, s[8:9]
	s_and_b64 s[4:5], s[4:5], exec
	s_or_saveexec_b64 s[6:7], s[6:7]
	v_mov_b32_e32 v3, s10
	s_xor_b64 exec, exec, s[6:7]
	s_cbranch_execz .LBB57_222
.LBB57_2272:
	v_mov_b32_e32 v3, 0
	v_cmp_ne_u16_sdwa s[8:9], v4, v3 src0_sel:BYTE_3 src1_sel:DWORD
	s_andn2_b64 s[4:5], s[4:5], exec
	s_and_b64 s[8:9], s[8:9], exec
	s_or_b64 s[4:5], s[4:5], s[8:9]
	s_or_b64 exec, exec, s[6:7]
	s_and_saveexec_b64 s[6:7], s[4:5]
	s_cbranch_execnz .LBB57_223
	s_branch .LBB57_224
.LBB57_2273:
	s_movk_i32 s4, 0x80
	v_cmp_eq_u16_sdwa s[12:13], v9, s4 src0_sel:BYTE_0 src1_sel:DWORD
	s_mov_b64 s[4:5], -1
                                        ; implicit-def: $sgpr10
	s_and_saveexec_b64 s[8:9], s[12:13]
; %bb.2274:
	s_mov_b32 s10, 0x7f800001
	s_xor_b64 s[4:5], exec, -1
; %bb.2275:
	s_or_b64 exec, exec, s[8:9]
	s_and_b64 s[4:5], s[4:5], exec
	s_or_saveexec_b64 s[6:7], s[6:7]
	v_mov_b32_e32 v2, s10
	s_xor_b64 exec, exec, s[6:7]
	s_cbranch_execz .LBB57_226
.LBB57_2276:
	v_mov_b32_e32 v2, 0
	v_cmp_ne_u16_sdwa s[8:9], v9, v2 src0_sel:BYTE_0 src1_sel:DWORD
	s_andn2_b64 s[4:5], s[4:5], exec
	s_and_b64 s[8:9], s[8:9], exec
	s_or_b64 s[4:5], s[4:5], s[8:9]
	s_or_b64 exec, exec, s[6:7]
	s_and_saveexec_b64 s[6:7], s[4:5]
	s_cbranch_execnz .LBB57_227
	s_branch .LBB57_228
.LBB57_2277:
	s_movk_i32 s4, 0x80
	v_cmp_eq_u16_sdwa s[12:13], v5, s4 src0_sel:BYTE_0 src1_sel:DWORD
	s_mov_b64 s[4:5], -1
                                        ; implicit-def: $sgpr10
	s_and_saveexec_b64 s[8:9], s[12:13]
; %bb.2278:
	s_mov_b32 s10, 0x7f800001
	s_xor_b64 s[4:5], exec, -1
; %bb.2279:
	s_or_b64 exec, exec, s[8:9]
	s_and_b64 s[4:5], s[4:5], exec
	s_or_saveexec_b64 s[6:7], s[6:7]
	v_mov_b32_e32 v3, s10
	s_xor_b64 exec, exec, s[6:7]
	s_cbranch_execz .LBB57_230
.LBB57_2280:
	v_mov_b32_e32 v3, 0
	v_cmp_ne_u16_sdwa s[8:9], v5, v3 src0_sel:BYTE_0 src1_sel:DWORD
	s_andn2_b64 s[4:5], s[4:5], exec
	s_and_b64 s[8:9], s[8:9], exec
	s_or_b64 s[4:5], s[4:5], s[8:9]
	s_or_b64 exec, exec, s[6:7]
	s_and_saveexec_b64 s[6:7], s[4:5]
	s_cbranch_execnz .LBB57_231
	s_branch .LBB57_232
.LBB57_2281:
	s_movk_i32 s4, 0x80
	v_cmp_eq_u16_sdwa s[12:13], v3, s4 src0_sel:BYTE_0 src1_sel:DWORD
	s_mov_b64 s[4:5], -1
                                        ; implicit-def: $sgpr10
	s_and_saveexec_b64 s[8:9], s[12:13]
; %bb.2282:
	s_mov_b32 s10, 0x7f800001
	s_xor_b64 s[4:5], exec, -1
; %bb.2283:
	s_or_b64 exec, exec, s[8:9]
	s_and_b64 s[4:5], s[4:5], exec
	s_or_saveexec_b64 s[6:7], s[6:7]
	v_mov_b32_e32 v2, s10
	s_xor_b64 exec, exec, s[6:7]
	s_cbranch_execz .LBB57_234
.LBB57_2284:
	v_mov_b32_e32 v2, 0
	v_cmp_ne_u16_sdwa s[8:9], v3, v2 src0_sel:BYTE_0 src1_sel:DWORD
	s_andn2_b64 s[4:5], s[4:5], exec
	s_and_b64 s[8:9], s[8:9], exec
	s_or_b64 s[4:5], s[4:5], s[8:9]
	s_or_b64 exec, exec, s[6:7]
	s_and_saveexec_b64 s[6:7], s[4:5]
	s_cbranch_execnz .LBB57_235
	s_branch .LBB57_236
.LBB57_2285:
	s_movk_i32 s4, 0x80
	v_cmp_eq_u16_sdwa s[12:13], v3, s4 src0_sel:BYTE_0 src1_sel:DWORD
	s_mov_b64 s[4:5], -1
                                        ; implicit-def: $sgpr10
	s_and_saveexec_b64 s[8:9], s[12:13]
; %bb.2286:
	s_mov_b32 s10, 0x7f800001
	s_xor_b64 s[4:5], exec, -1
; %bb.2287:
	s_or_b64 exec, exec, s[8:9]
	s_and_b64 s[4:5], s[4:5], exec
	s_or_saveexec_b64 s[6:7], s[6:7]
	v_mov_b32_e32 v4, s10
	s_xor_b64 exec, exec, s[6:7]
	s_cbranch_execz .LBB57_238
.LBB57_2288:
	v_mov_b32_e32 v4, 0
	v_cmp_ne_u16_sdwa s[8:9], v3, v4 src0_sel:BYTE_0 src1_sel:DWORD
	s_andn2_b64 s[4:5], s[4:5], exec
	s_and_b64 s[8:9], s[8:9], exec
	s_or_b64 s[4:5], s[4:5], s[8:9]
	s_or_b64 exec, exec, s[6:7]
	s_and_saveexec_b64 s[6:7], s[4:5]
	s_cbranch_execnz .LBB57_239
	s_branch .LBB57_240
.LBB57_2289:
	s_movk_i32 s4, 0x80
	v_cmp_eq_u16_e32 vcc, s4, v3
	s_mov_b64 s[4:5], -1
                                        ; implicit-def: $sgpr10
	s_and_saveexec_b64 s[8:9], vcc
; %bb.2290:
	s_mov_b32 s10, 0x7f800001
	s_xor_b64 s[4:5], exec, -1
; %bb.2291:
	s_or_b64 exec, exec, s[8:9]
	s_and_b64 s[4:5], s[4:5], exec
                                        ; implicit-def: $vgpr3
	s_or_saveexec_b64 s[6:7], s[6:7]
	v_mov_b32_e32 v2, s10
	s_xor_b64 exec, exec, s[6:7]
	s_cbranch_execz .LBB57_242
.LBB57_2292:
	v_cmp_ne_u16_e32 vcc, 0, v3
	s_andn2_b64 s[4:5], s[4:5], exec
	s_and_b64 s[8:9], vcc, exec
	v_mov_b32_e32 v2, 0
	s_or_b64 s[4:5], s[4:5], s[8:9]
	s_or_b64 exec, exec, s[6:7]
	s_and_saveexec_b64 s[6:7], s[4:5]
	s_cbranch_execnz .LBB57_243
	s_branch .LBB57_244
.LBB57_2293:
	s_movk_i32 s4, 0x80
	v_cmp_eq_u16_e32 vcc, s4, v3
	s_mov_b64 s[4:5], -1
                                        ; implicit-def: $sgpr10
	s_and_saveexec_b64 s[8:9], vcc
; %bb.2294:
	s_mov_b32 s10, 0x7f800001
	s_xor_b64 s[4:5], exec, -1
; %bb.2295:
	s_or_b64 exec, exec, s[8:9]
	s_and_b64 s[4:5], s[4:5], exec
                                        ; implicit-def: $vgpr3
	s_or_saveexec_b64 s[6:7], s[6:7]
	v_mov_b32_e32 v4, s10
	s_xor_b64 exec, exec, s[6:7]
	s_cbranch_execz .LBB57_246
.LBB57_2296:
	v_cmp_ne_u16_e32 vcc, 0, v3
	s_andn2_b64 s[4:5], s[4:5], exec
	s_and_b64 s[8:9], vcc, exec
	v_mov_b32_e32 v4, 0
	s_or_b64 s[4:5], s[4:5], s[8:9]
	s_or_b64 exec, exec, s[6:7]
	s_and_saveexec_b64 s[6:7], s[4:5]
	s_cbranch_execnz .LBB57_247
	s_branch .LBB57_248
.LBB57_2297:
	s_movk_i32 s4, 0x80
	v_cmp_eq_u16_sdwa s[12:13], v9, s4 src0_sel:BYTE_3 src1_sel:DWORD
	s_mov_b64 s[4:5], -1
                                        ; implicit-def: $sgpr10
	s_and_saveexec_b64 s[8:9], s[12:13]
; %bb.2298:
	s_mov_b32 s10, 0x7f800001
	s_xor_b64 s[4:5], exec, -1
; %bb.2299:
	s_or_b64 exec, exec, s[8:9]
	s_and_b64 s[4:5], s[4:5], exec
	s_or_saveexec_b64 s[6:7], s[6:7]
	v_mov_b32_e32 v2, s10
	s_xor_b64 exec, exec, s[6:7]
	s_cbranch_execz .LBB57_250
.LBB57_2300:
	v_mov_b32_e32 v2, 0
	v_cmp_ne_u16_sdwa s[8:9], v9, v2 src0_sel:BYTE_3 src1_sel:DWORD
	s_andn2_b64 s[4:5], s[4:5], exec
	s_and_b64 s[8:9], s[8:9], exec
	s_or_b64 s[4:5], s[4:5], s[8:9]
	s_or_b64 exec, exec, s[6:7]
	s_and_saveexec_b64 s[6:7], s[4:5]
	s_cbranch_execnz .LBB57_251
	s_branch .LBB57_252
.LBB57_2301:
	s_movk_i32 s4, 0x80
	v_cmp_eq_u16_sdwa s[12:13], v5, s4 src0_sel:BYTE_3 src1_sel:DWORD
	s_mov_b64 s[4:5], -1
                                        ; implicit-def: $sgpr10
	s_and_saveexec_b64 s[8:9], s[12:13]
; %bb.2302:
	s_mov_b32 s10, 0x7f800001
	s_xor_b64 s[4:5], exec, -1
; %bb.2303:
	s_or_b64 exec, exec, s[8:9]
	s_and_b64 s[4:5], s[4:5], exec
	s_or_saveexec_b64 s[6:7], s[6:7]
	v_mov_b32_e32 v3, s10
	s_xor_b64 exec, exec, s[6:7]
	s_cbranch_execz .LBB57_254
.LBB57_2304:
	v_mov_b32_e32 v3, 0
	v_cmp_ne_u16_sdwa s[8:9], v5, v3 src0_sel:BYTE_3 src1_sel:DWORD
	s_andn2_b64 s[4:5], s[4:5], exec
	s_and_b64 s[8:9], s[8:9], exec
	s_or_b64 s[4:5], s[4:5], s[8:9]
	s_or_b64 exec, exec, s[6:7]
	s_and_saveexec_b64 s[6:7], s[4:5]
	s_cbranch_execnz .LBB57_255
	s_branch .LBB57_256
.LBB57_2305:
	s_movk_i32 s4, 0x80
	v_cmp_eq_u16_sdwa s[12:13], v14, s4 src0_sel:BYTE_0 src1_sel:DWORD
	s_mov_b64 s[4:5], -1
                                        ; implicit-def: $sgpr10
	s_and_saveexec_b64 s[8:9], s[12:13]
; %bb.2306:
	s_mov_b32 s10, 0x7f800001
	s_xor_b64 s[4:5], exec, -1
; %bb.2307:
	s_or_b64 exec, exec, s[8:9]
	s_and_b64 s[4:5], s[4:5], exec
	s_or_saveexec_b64 s[6:7], s[6:7]
	v_mov_b32_e32 v20, s10
	s_xor_b64 exec, exec, s[6:7]
	s_cbranch_execz .LBB57_258
.LBB57_2308:
	v_mov_b32_e32 v20, 0
	v_cmp_ne_u16_sdwa s[8:9], v14, v20 src0_sel:BYTE_0 src1_sel:DWORD
	s_andn2_b64 s[4:5], s[4:5], exec
	s_and_b64 s[8:9], s[8:9], exec
	s_or_b64 s[4:5], s[4:5], s[8:9]
	s_or_b64 exec, exec, s[6:7]
	s_and_saveexec_b64 s[6:7], s[4:5]
	s_cbranch_execnz .LBB57_259
	s_branch .LBB57_260
.LBB57_2309:
	s_movk_i32 s4, 0x80
	v_cmp_eq_u16_sdwa s[12:13], v10, s4 src0_sel:BYTE_0 src1_sel:DWORD
	s_mov_b64 s[4:5], -1
                                        ; implicit-def: $sgpr10
	s_and_saveexec_b64 s[8:9], s[12:13]
; %bb.2310:
	s_mov_b32 s10, 0x7f800001
	s_xor_b64 s[4:5], exec, -1
; %bb.2311:
	s_or_b64 exec, exec, s[8:9]
	s_and_b64 s[4:5], s[4:5], exec
	s_or_saveexec_b64 s[6:7], s[6:7]
	v_mov_b32_e32 v21, s10
	s_xor_b64 exec, exec, s[6:7]
	s_cbranch_execz .LBB57_262
.LBB57_2312:
	v_mov_b32_e32 v21, 0
	v_cmp_ne_u16_sdwa s[8:9], v10, v21 src0_sel:BYTE_0 src1_sel:DWORD
	s_andn2_b64 s[4:5], s[4:5], exec
	s_and_b64 s[8:9], s[8:9], exec
	s_or_b64 s[4:5], s[4:5], s[8:9]
	s_or_b64 exec, exec, s[6:7]
	s_and_saveexec_b64 s[6:7], s[4:5]
	s_cbranch_execnz .LBB57_263
	s_branch .LBB57_264
.LBB57_2313:
	s_movk_i32 s4, 0x80
	v_cmp_eq_u16_sdwa s[12:13], v21, s4 src0_sel:BYTE_0 src1_sel:DWORD
	s_mov_b64 s[4:5], -1
                                        ; implicit-def: $sgpr10
	s_and_saveexec_b64 s[8:9], s[12:13]
; %bb.2314:
	s_mov_b32 s10, 0x7f800001
	s_xor_b64 s[4:5], exec, -1
; %bb.2315:
	s_or_b64 exec, exec, s[8:9]
	s_and_b64 s[4:5], s[4:5], exec
	s_or_saveexec_b64 s[6:7], s[6:7]
	v_mov_b32_e32 v20, s10
	s_xor_b64 exec, exec, s[6:7]
	s_cbranch_execz .LBB57_266
.LBB57_2316:
	v_mov_b32_e32 v20, 0
	v_cmp_ne_u16_sdwa s[8:9], v21, v20 src0_sel:BYTE_0 src1_sel:DWORD
	s_andn2_b64 s[4:5], s[4:5], exec
	s_and_b64 s[8:9], s[8:9], exec
	s_or_b64 s[4:5], s[4:5], s[8:9]
	s_or_b64 exec, exec, s[6:7]
	s_and_saveexec_b64 s[6:7], s[4:5]
	s_cbranch_execnz .LBB57_267
	s_branch .LBB57_268
.LBB57_2317:
	s_movk_i32 s4, 0x80
	v_cmp_eq_u16_sdwa s[12:13], v21, s4 src0_sel:BYTE_0 src1_sel:DWORD
	s_mov_b64 s[4:5], -1
                                        ; implicit-def: $sgpr10
	s_and_saveexec_b64 s[8:9], s[12:13]
; %bb.2318:
	s_mov_b32 s10, 0x7f800001
	s_xor_b64 s[4:5], exec, -1
; %bb.2319:
	s_or_b64 exec, exec, s[8:9]
	s_and_b64 s[4:5], s[4:5], exec
	s_or_saveexec_b64 s[6:7], s[6:7]
	v_mov_b32_e32 v22, s10
	s_xor_b64 exec, exec, s[6:7]
	s_cbranch_execz .LBB57_270
.LBB57_2320:
	v_mov_b32_e32 v22, 0
	v_cmp_ne_u16_sdwa s[8:9], v21, v22 src0_sel:BYTE_0 src1_sel:DWORD
	s_andn2_b64 s[4:5], s[4:5], exec
	s_and_b64 s[8:9], s[8:9], exec
	s_or_b64 s[4:5], s[4:5], s[8:9]
	s_or_b64 exec, exec, s[6:7]
	s_and_saveexec_b64 s[6:7], s[4:5]
	s_cbranch_execnz .LBB57_271
	s_branch .LBB57_272
.LBB57_2321:
	s_movk_i32 s4, 0x80
	v_cmp_eq_u16_e32 vcc, s4, v21
	s_mov_b64 s[4:5], -1
                                        ; implicit-def: $sgpr10
	s_and_saveexec_b64 s[8:9], vcc
; %bb.2322:
	s_mov_b32 s10, 0x7f800001
	s_xor_b64 s[4:5], exec, -1
; %bb.2323:
	s_or_b64 exec, exec, s[8:9]
	s_and_b64 s[4:5], s[4:5], exec
                                        ; implicit-def: $vgpr21
	s_or_saveexec_b64 s[6:7], s[6:7]
	v_mov_b32_e32 v20, s10
	s_xor_b64 exec, exec, s[6:7]
	s_cbranch_execz .LBB57_274
.LBB57_2324:
	v_cmp_ne_u16_e32 vcc, 0, v21
	s_andn2_b64 s[4:5], s[4:5], exec
	s_and_b64 s[8:9], vcc, exec
	v_mov_b32_e32 v20, 0
	s_or_b64 s[4:5], s[4:5], s[8:9]
	s_or_b64 exec, exec, s[6:7]
	s_and_saveexec_b64 s[6:7], s[4:5]
	s_cbranch_execnz .LBB57_275
	s_branch .LBB57_276
.LBB57_2325:
	s_movk_i32 s4, 0x80
	v_cmp_eq_u16_e32 vcc, s4, v21
	s_mov_b64 s[4:5], -1
                                        ; implicit-def: $sgpr10
	s_and_saveexec_b64 s[8:9], vcc
; %bb.2326:
	s_mov_b32 s10, 0x7f800001
	s_xor_b64 s[4:5], exec, -1
; %bb.2327:
	s_or_b64 exec, exec, s[8:9]
	s_and_b64 s[4:5], s[4:5], exec
                                        ; implicit-def: $vgpr21
	s_or_saveexec_b64 s[6:7], s[6:7]
	v_mov_b32_e32 v22, s10
	s_xor_b64 exec, exec, s[6:7]
	s_cbranch_execz .LBB57_278
.LBB57_2328:
	v_cmp_ne_u16_e32 vcc, 0, v21
	s_andn2_b64 s[4:5], s[4:5], exec
	s_and_b64 s[8:9], vcc, exec
	v_mov_b32_e32 v22, 0
	s_or_b64 s[4:5], s[4:5], s[8:9]
	s_or_b64 exec, exec, s[6:7]
	s_and_saveexec_b64 s[6:7], s[4:5]
	s_cbranch_execnz .LBB57_279
	s_branch .LBB57_280
.LBB57_2329:
	s_movk_i32 s4, 0x80
	v_cmp_eq_u16_sdwa s[12:13], v14, s4 src0_sel:BYTE_3 src1_sel:DWORD
	s_mov_b64 s[4:5], -1
                                        ; implicit-def: $sgpr10
	s_and_saveexec_b64 s[8:9], s[12:13]
; %bb.2330:
	s_mov_b32 s10, 0x7f800001
	s_xor_b64 s[4:5], exec, -1
; %bb.2331:
	s_or_b64 exec, exec, s[8:9]
	s_and_b64 s[4:5], s[4:5], exec
	s_or_saveexec_b64 s[6:7], s[6:7]
	v_mov_b32_e32 v20, s10
	s_xor_b64 exec, exec, s[6:7]
	s_cbranch_execz .LBB57_282
.LBB57_2332:
	v_mov_b32_e32 v20, 0
	v_cmp_ne_u16_sdwa s[8:9], v14, v20 src0_sel:BYTE_3 src1_sel:DWORD
	s_andn2_b64 s[4:5], s[4:5], exec
	s_and_b64 s[8:9], s[8:9], exec
	s_or_b64 s[4:5], s[4:5], s[8:9]
	s_or_b64 exec, exec, s[6:7]
	s_and_saveexec_b64 s[6:7], s[4:5]
	s_cbranch_execnz .LBB57_283
	s_branch .LBB57_284
.LBB57_2333:
	s_movk_i32 s4, 0x80
	v_cmp_eq_u16_sdwa s[12:13], v10, s4 src0_sel:BYTE_3 src1_sel:DWORD
	s_mov_b64 s[4:5], -1
                                        ; implicit-def: $sgpr10
	s_and_saveexec_b64 s[8:9], s[12:13]
; %bb.2334:
	s_mov_b32 s10, 0x7f800001
	s_xor_b64 s[4:5], exec, -1
; %bb.2335:
	s_or_b64 exec, exec, s[8:9]
	s_and_b64 s[4:5], s[4:5], exec
	s_or_saveexec_b64 s[6:7], s[6:7]
	v_mov_b32_e32 v14, s10
	s_xor_b64 exec, exec, s[6:7]
	s_cbranch_execz .LBB57_286
.LBB57_2336:
	v_mov_b32_e32 v14, 0
	v_cmp_ne_u16_sdwa s[8:9], v10, v14 src0_sel:BYTE_3 src1_sel:DWORD
	s_andn2_b64 s[4:5], s[4:5], exec
	s_and_b64 s[8:9], s[8:9], exec
	s_or_b64 s[4:5], s[4:5], s[8:9]
	s_or_b64 exec, exec, s[6:7]
	s_and_saveexec_b64 s[6:7], s[4:5]
	s_cbranch_execnz .LBB57_287
	s_branch .LBB57_288
.LBB57_2337:
	s_movk_i32 s4, 0x80
	v_cmp_eq_u16_sdwa s[12:13], v15, s4 src0_sel:BYTE_0 src1_sel:DWORD
	s_mov_b64 s[4:5], -1
                                        ; implicit-def: $sgpr10
	s_and_saveexec_b64 s[8:9], s[12:13]
; %bb.2338:
	s_mov_b32 s10, 0x7f800001
	s_xor_b64 s[4:5], exec, -1
; %bb.2339:
	s_or_b64 exec, exec, s[8:9]
	s_and_b64 s[4:5], s[4:5], exec
	s_or_saveexec_b64 s[6:7], s[6:7]
	v_mov_b32_e32 v10, s10
	s_xor_b64 exec, exec, s[6:7]
	s_cbranch_execz .LBB57_290
.LBB57_2340:
	v_mov_b32_e32 v10, 0
	v_cmp_ne_u16_sdwa s[8:9], v15, v10 src0_sel:BYTE_0 src1_sel:DWORD
	s_andn2_b64 s[4:5], s[4:5], exec
	s_and_b64 s[8:9], s[8:9], exec
	s_or_b64 s[4:5], s[4:5], s[8:9]
	s_or_b64 exec, exec, s[6:7]
	s_and_saveexec_b64 s[6:7], s[4:5]
	s_cbranch_execnz .LBB57_291
	s_branch .LBB57_292
.LBB57_2341:
	s_movk_i32 s4, 0x80
	v_cmp_eq_u16_sdwa s[12:13], v11, s4 src0_sel:BYTE_0 src1_sel:DWORD
	s_mov_b64 s[4:5], -1
                                        ; implicit-def: $sgpr10
	s_and_saveexec_b64 s[8:9], s[12:13]
; %bb.2342:
	s_mov_b32 s10, 0x7f800001
	s_xor_b64 s[4:5], exec, -1
; %bb.2343:
	s_or_b64 exec, exec, s[8:9]
	s_and_b64 s[4:5], s[4:5], exec
	s_or_saveexec_b64 s[6:7], s[6:7]
	v_mov_b32_e32 v14, s10
	s_xor_b64 exec, exec, s[6:7]
	s_cbranch_execz .LBB57_294
.LBB57_2344:
	v_mov_b32_e32 v14, 0
	v_cmp_ne_u16_sdwa s[8:9], v11, v14 src0_sel:BYTE_0 src1_sel:DWORD
	s_andn2_b64 s[4:5], s[4:5], exec
	s_and_b64 s[8:9], s[8:9], exec
	s_or_b64 s[4:5], s[4:5], s[8:9]
	s_or_b64 exec, exec, s[6:7]
	s_and_saveexec_b64 s[6:7], s[4:5]
	s_cbranch_execnz .LBB57_295
	s_branch .LBB57_296
.LBB57_2345:
	s_movk_i32 s4, 0x80
	v_cmp_eq_u16_sdwa s[12:13], v14, s4 src0_sel:BYTE_0 src1_sel:DWORD
	s_mov_b64 s[4:5], -1
                                        ; implicit-def: $sgpr10
	s_and_saveexec_b64 s[8:9], s[12:13]
; %bb.2346:
	s_mov_b32 s10, 0x7f800001
	s_xor_b64 s[4:5], exec, -1
; %bb.2347:
	s_or_b64 exec, exec, s[8:9]
	s_and_b64 s[4:5], s[4:5], exec
	s_or_saveexec_b64 s[6:7], s[6:7]
	v_mov_b32_e32 v10, s10
	s_xor_b64 exec, exec, s[6:7]
	s_cbranch_execz .LBB57_298
.LBB57_2348:
	v_mov_b32_e32 v10, 0
	v_cmp_ne_u16_sdwa s[8:9], v14, v10 src0_sel:BYTE_0 src1_sel:DWORD
	s_andn2_b64 s[4:5], s[4:5], exec
	s_and_b64 s[8:9], s[8:9], exec
	s_or_b64 s[4:5], s[4:5], s[8:9]
	s_or_b64 exec, exec, s[6:7]
	s_and_saveexec_b64 s[6:7], s[4:5]
	s_cbranch_execnz .LBB57_299
	s_branch .LBB57_300
.LBB57_2349:
	s_movk_i32 s4, 0x80
	v_cmp_eq_u16_sdwa s[12:13], v14, s4 src0_sel:BYTE_0 src1_sel:DWORD
	s_mov_b64 s[4:5], -1
                                        ; implicit-def: $sgpr10
	s_and_saveexec_b64 s[8:9], s[12:13]
; %bb.2350:
	s_mov_b32 s10, 0x7f800001
	s_xor_b64 s[4:5], exec, -1
; %bb.2351:
	s_or_b64 exec, exec, s[8:9]
	s_and_b64 s[4:5], s[4:5], exec
	s_or_saveexec_b64 s[6:7], s[6:7]
	v_mov_b32_e32 v20, s10
	s_xor_b64 exec, exec, s[6:7]
	s_cbranch_execz .LBB57_302
.LBB57_2352:
	v_mov_b32_e32 v20, 0
	v_cmp_ne_u16_sdwa s[8:9], v14, v20 src0_sel:BYTE_0 src1_sel:DWORD
	s_andn2_b64 s[4:5], s[4:5], exec
	s_and_b64 s[8:9], s[8:9], exec
	s_or_b64 s[4:5], s[4:5], s[8:9]
	s_or_b64 exec, exec, s[6:7]
	s_and_saveexec_b64 s[6:7], s[4:5]
	s_cbranch_execnz .LBB57_303
	s_branch .LBB57_304
.LBB57_2353:
	s_movk_i32 s4, 0x80
	v_cmp_eq_u16_e32 vcc, s4, v14
	s_mov_b64 s[4:5], -1
                                        ; implicit-def: $sgpr10
	s_and_saveexec_b64 s[8:9], vcc
; %bb.2354:
	s_mov_b32 s10, 0x7f800001
	s_xor_b64 s[4:5], exec, -1
; %bb.2355:
	s_or_b64 exec, exec, s[8:9]
	s_and_b64 s[4:5], s[4:5], exec
                                        ; implicit-def: $vgpr14
	s_or_saveexec_b64 s[6:7], s[6:7]
	v_mov_b32_e32 v10, s10
	s_xor_b64 exec, exec, s[6:7]
	s_cbranch_execz .LBB57_306
.LBB57_2356:
	v_cmp_ne_u16_e32 vcc, 0, v14
	s_andn2_b64 s[4:5], s[4:5], exec
	s_and_b64 s[8:9], vcc, exec
	v_mov_b32_e32 v10, 0
	s_or_b64 s[4:5], s[4:5], s[8:9]
	s_or_b64 exec, exec, s[6:7]
	s_and_saveexec_b64 s[6:7], s[4:5]
	s_cbranch_execnz .LBB57_307
	s_branch .LBB57_308
.LBB57_2357:
	s_movk_i32 s4, 0x80
	v_cmp_eq_u16_e32 vcc, s4, v14
	s_mov_b64 s[4:5], -1
                                        ; implicit-def: $sgpr10
	s_and_saveexec_b64 s[8:9], vcc
; %bb.2358:
	s_mov_b32 s10, 0x7f800001
	s_xor_b64 s[4:5], exec, -1
; %bb.2359:
	s_or_b64 exec, exec, s[8:9]
	s_and_b64 s[4:5], s[4:5], exec
                                        ; implicit-def: $vgpr14
	s_or_saveexec_b64 s[6:7], s[6:7]
	v_mov_b32_e32 v20, s10
	s_xor_b64 exec, exec, s[6:7]
	s_cbranch_execz .LBB57_310
.LBB57_2360:
	v_cmp_ne_u16_e32 vcc, 0, v14
	s_andn2_b64 s[4:5], s[4:5], exec
	s_and_b64 s[8:9], vcc, exec
	v_mov_b32_e32 v20, 0
	s_or_b64 s[4:5], s[4:5], s[8:9]
	s_or_b64 exec, exec, s[6:7]
	s_and_saveexec_b64 s[6:7], s[4:5]
	s_cbranch_execnz .LBB57_311
	s_branch .LBB57_312
.LBB57_2361:
	s_movk_i32 s4, 0x80
	v_cmp_eq_u16_sdwa s[12:13], v15, s4 src0_sel:BYTE_3 src1_sel:DWORD
	s_mov_b64 s[4:5], -1
                                        ; implicit-def: $sgpr10
	s_and_saveexec_b64 s[8:9], s[12:13]
; %bb.2362:
	s_mov_b32 s10, 0x7f800001
	s_xor_b64 s[4:5], exec, -1
; %bb.2363:
	s_or_b64 exec, exec, s[8:9]
	s_and_b64 s[4:5], s[4:5], exec
	s_or_saveexec_b64 s[6:7], s[6:7]
	v_mov_b32_e32 v10, s10
	s_xor_b64 exec, exec, s[6:7]
	s_cbranch_execz .LBB57_314
.LBB57_2364:
	v_mov_b32_e32 v10, 0
	v_cmp_ne_u16_sdwa s[8:9], v15, v10 src0_sel:BYTE_3 src1_sel:DWORD
	s_andn2_b64 s[4:5], s[4:5], exec
	s_and_b64 s[8:9], s[8:9], exec
	s_or_b64 s[4:5], s[4:5], s[8:9]
	s_or_b64 exec, exec, s[6:7]
	s_and_saveexec_b64 s[6:7], s[4:5]
	s_cbranch_execnz .LBB57_315
	s_branch .LBB57_316
.LBB57_2365:
	s_movk_i32 s4, 0x80
	v_cmp_eq_u16_sdwa s[12:13], v11, s4 src0_sel:BYTE_3 src1_sel:DWORD
	s_mov_b64 s[4:5], -1
                                        ; implicit-def: $sgpr10
	s_and_saveexec_b64 s[8:9], s[12:13]
; %bb.2366:
	s_mov_b32 s10, 0x7f800001
	s_xor_b64 s[4:5], exec, -1
; %bb.2367:
	s_or_b64 exec, exec, s[8:9]
	s_and_b64 s[4:5], s[4:5], exec
	s_or_saveexec_b64 s[6:7], s[6:7]
	v_mov_b32_e32 v14, s10
	s_xor_b64 exec, exec, s[6:7]
	s_cbranch_execz .LBB57_318
.LBB57_2368:
	v_mov_b32_e32 v14, 0
	v_cmp_ne_u16_sdwa s[8:9], v11, v14 src0_sel:BYTE_3 src1_sel:DWORD
	s_andn2_b64 s[4:5], s[4:5], exec
	s_and_b64 s[8:9], s[8:9], exec
	s_or_b64 s[4:5], s[4:5], s[8:9]
	s_or_b64 exec, exec, s[6:7]
	s_and_saveexec_b64 s[6:7], s[4:5]
	s_cbranch_execnz .LBB57_319
	s_branch .LBB57_320
.LBB57_2369:
	s_movk_i32 s4, 0x80
	v_cmp_eq_u16_sdwa s[12:13], v16, s4 src0_sel:BYTE_0 src1_sel:DWORD
	s_mov_b64 s[4:5], -1
                                        ; implicit-def: $sgpr10
	s_and_saveexec_b64 s[8:9], s[12:13]
; %bb.2370:
	s_mov_b32 s10, 0x7f800001
	s_xor_b64 s[4:5], exec, -1
; %bb.2371:
	s_or_b64 exec, exec, s[8:9]
	s_and_b64 s[4:5], s[4:5], exec
	s_or_saveexec_b64 s[6:7], s[6:7]
	v_mov_b32_e32 v10, s10
	s_xor_b64 exec, exec, s[6:7]
	s_cbranch_execz .LBB57_322
.LBB57_2372:
	v_mov_b32_e32 v10, 0
	v_cmp_ne_u16_sdwa s[8:9], v16, v10 src0_sel:BYTE_0 src1_sel:DWORD
	s_andn2_b64 s[4:5], s[4:5], exec
	s_and_b64 s[8:9], s[8:9], exec
	s_or_b64 s[4:5], s[4:5], s[8:9]
	s_or_b64 exec, exec, s[6:7]
	s_and_saveexec_b64 s[6:7], s[4:5]
	s_cbranch_execnz .LBB57_323
	s_branch .LBB57_324
.LBB57_2373:
	s_movk_i32 s4, 0x80
	v_cmp_eq_u16_sdwa s[12:13], v12, s4 src0_sel:BYTE_0 src1_sel:DWORD
	s_mov_b64 s[4:5], -1
                                        ; implicit-def: $sgpr10
	s_and_saveexec_b64 s[8:9], s[12:13]
; %bb.2374:
	s_mov_b32 s10, 0x7f800001
	s_xor_b64 s[4:5], exec, -1
; %bb.2375:
	s_or_b64 exec, exec, s[8:9]
	s_and_b64 s[4:5], s[4:5], exec
	s_or_saveexec_b64 s[6:7], s[6:7]
	v_mov_b32_e32 v11, s10
	s_xor_b64 exec, exec, s[6:7]
	s_cbranch_execz .LBB57_326
.LBB57_2376:
	v_mov_b32_e32 v11, 0
	v_cmp_ne_u16_sdwa s[8:9], v12, v11 src0_sel:BYTE_0 src1_sel:DWORD
	s_andn2_b64 s[4:5], s[4:5], exec
	s_and_b64 s[8:9], s[8:9], exec
	s_or_b64 s[4:5], s[4:5], s[8:9]
	s_or_b64 exec, exec, s[6:7]
	s_and_saveexec_b64 s[6:7], s[4:5]
	s_cbranch_execnz .LBB57_327
	s_branch .LBB57_328
.LBB57_2377:
	s_movk_i32 s4, 0x80
	v_cmp_eq_u16_sdwa s[12:13], v11, s4 src0_sel:BYTE_0 src1_sel:DWORD
	s_mov_b64 s[4:5], -1
                                        ; implicit-def: $sgpr10
	s_and_saveexec_b64 s[8:9], s[12:13]
; %bb.2378:
	s_mov_b32 s10, 0x7f800001
	s_xor_b64 s[4:5], exec, -1
; %bb.2379:
	s_or_b64 exec, exec, s[8:9]
	s_and_b64 s[4:5], s[4:5], exec
	s_or_saveexec_b64 s[6:7], s[6:7]
	v_mov_b32_e32 v10, s10
	s_xor_b64 exec, exec, s[6:7]
	s_cbranch_execz .LBB57_330
.LBB57_2380:
	v_mov_b32_e32 v10, 0
	v_cmp_ne_u16_sdwa s[8:9], v11, v10 src0_sel:BYTE_0 src1_sel:DWORD
	s_andn2_b64 s[4:5], s[4:5], exec
	s_and_b64 s[8:9], s[8:9], exec
	s_or_b64 s[4:5], s[4:5], s[8:9]
	s_or_b64 exec, exec, s[6:7]
	s_and_saveexec_b64 s[6:7], s[4:5]
	s_cbranch_execnz .LBB57_331
	s_branch .LBB57_332
.LBB57_2381:
	s_movk_i32 s4, 0x80
	v_cmp_eq_u16_sdwa s[12:13], v11, s4 src0_sel:BYTE_0 src1_sel:DWORD
	s_mov_b64 s[4:5], -1
                                        ; implicit-def: $sgpr10
	s_and_saveexec_b64 s[8:9], s[12:13]
; %bb.2382:
	s_mov_b32 s10, 0x7f800001
	s_xor_b64 s[4:5], exec, -1
; %bb.2383:
	s_or_b64 exec, exec, s[8:9]
	s_and_b64 s[4:5], s[4:5], exec
	s_or_saveexec_b64 s[6:7], s[6:7]
	v_mov_b32_e32 v14, s10
	s_xor_b64 exec, exec, s[6:7]
	s_cbranch_execz .LBB57_334
.LBB57_2384:
	v_mov_b32_e32 v14, 0
	v_cmp_ne_u16_sdwa s[8:9], v11, v14 src0_sel:BYTE_0 src1_sel:DWORD
	s_andn2_b64 s[4:5], s[4:5], exec
	s_and_b64 s[8:9], s[8:9], exec
	s_or_b64 s[4:5], s[4:5], s[8:9]
	s_or_b64 exec, exec, s[6:7]
	s_and_saveexec_b64 s[6:7], s[4:5]
	s_cbranch_execnz .LBB57_335
	s_branch .LBB57_336
.LBB57_2385:
	s_movk_i32 s4, 0x80
	v_cmp_eq_u16_e32 vcc, s4, v11
	s_mov_b64 s[4:5], -1
                                        ; implicit-def: $sgpr10
	s_and_saveexec_b64 s[8:9], vcc
; %bb.2386:
	s_mov_b32 s10, 0x7f800001
	s_xor_b64 s[4:5], exec, -1
; %bb.2387:
	s_or_b64 exec, exec, s[8:9]
	s_and_b64 s[4:5], s[4:5], exec
                                        ; implicit-def: $vgpr11
	s_or_saveexec_b64 s[6:7], s[6:7]
	v_mov_b32_e32 v10, s10
	s_xor_b64 exec, exec, s[6:7]
	s_cbranch_execz .LBB57_338
.LBB57_2388:
	v_cmp_ne_u16_e32 vcc, 0, v11
	s_andn2_b64 s[4:5], s[4:5], exec
	s_and_b64 s[8:9], vcc, exec
	v_mov_b32_e32 v10, 0
	s_or_b64 s[4:5], s[4:5], s[8:9]
	s_or_b64 exec, exec, s[6:7]
	s_and_saveexec_b64 s[6:7], s[4:5]
	s_cbranch_execnz .LBB57_339
	s_branch .LBB57_340
.LBB57_2389:
	s_movk_i32 s4, 0x80
	v_cmp_eq_u16_e32 vcc, s4, v11
	s_mov_b64 s[4:5], -1
                                        ; implicit-def: $sgpr10
	s_and_saveexec_b64 s[8:9], vcc
; %bb.2390:
	s_mov_b32 s10, 0x7f800001
	s_xor_b64 s[4:5], exec, -1
; %bb.2391:
	s_or_b64 exec, exec, s[8:9]
	s_and_b64 s[4:5], s[4:5], exec
                                        ; implicit-def: $vgpr11
	s_or_saveexec_b64 s[6:7], s[6:7]
	v_mov_b32_e32 v14, s10
	s_xor_b64 exec, exec, s[6:7]
	s_cbranch_execz .LBB57_342
.LBB57_2392:
	v_cmp_ne_u16_e32 vcc, 0, v11
	s_andn2_b64 s[4:5], s[4:5], exec
	s_and_b64 s[8:9], vcc, exec
	v_mov_b32_e32 v14, 0
	s_or_b64 s[4:5], s[4:5], s[8:9]
	s_or_b64 exec, exec, s[6:7]
	s_and_saveexec_b64 s[6:7], s[4:5]
	s_cbranch_execnz .LBB57_343
	s_branch .LBB57_344
.LBB57_2393:
	s_movk_i32 s4, 0x80
	v_cmp_eq_u16_sdwa s[12:13], v16, s4 src0_sel:BYTE_3 src1_sel:DWORD
	s_mov_b64 s[4:5], -1
                                        ; implicit-def: $sgpr10
	s_and_saveexec_b64 s[8:9], s[12:13]
; %bb.2394:
	s_mov_b32 s10, 0x7f800001
	s_xor_b64 s[4:5], exec, -1
; %bb.2395:
	s_or_b64 exec, exec, s[8:9]
	s_and_b64 s[4:5], s[4:5], exec
	s_or_saveexec_b64 s[6:7], s[6:7]
	v_mov_b32_e32 v10, s10
	s_xor_b64 exec, exec, s[6:7]
	s_cbranch_execz .LBB57_346
.LBB57_2396:
	v_mov_b32_e32 v10, 0
	v_cmp_ne_u16_sdwa s[8:9], v16, v10 src0_sel:BYTE_3 src1_sel:DWORD
	s_andn2_b64 s[4:5], s[4:5], exec
	s_and_b64 s[8:9], s[8:9], exec
	s_or_b64 s[4:5], s[4:5], s[8:9]
	s_or_b64 exec, exec, s[6:7]
	s_and_saveexec_b64 s[6:7], s[4:5]
	s_cbranch_execnz .LBB57_347
	s_branch .LBB57_348
.LBB57_2397:
	s_movk_i32 s4, 0x80
	v_cmp_eq_u16_sdwa s[12:13], v12, s4 src0_sel:BYTE_3 src1_sel:DWORD
	s_mov_b64 s[4:5], -1
                                        ; implicit-def: $sgpr10
	s_and_saveexec_b64 s[8:9], s[12:13]
; %bb.2398:
	s_mov_b32 s10, 0x7f800001
	s_xor_b64 s[4:5], exec, -1
; %bb.2399:
	s_or_b64 exec, exec, s[8:9]
	s_and_b64 s[4:5], s[4:5], exec
	s_or_saveexec_b64 s[6:7], s[6:7]
	v_mov_b32_e32 v11, s10
	s_xor_b64 exec, exec, s[6:7]
	s_cbranch_execz .LBB57_350
.LBB57_2400:
	v_mov_b32_e32 v11, 0
	v_cmp_ne_u16_sdwa s[8:9], v12, v11 src0_sel:BYTE_3 src1_sel:DWORD
	s_andn2_b64 s[4:5], s[4:5], exec
	s_and_b64 s[8:9], s[8:9], exec
	s_or_b64 s[4:5], s[4:5], s[8:9]
	s_or_b64 exec, exec, s[6:7]
	s_and_saveexec_b64 s[6:7], s[4:5]
	s_cbranch_execnz .LBB57_351
	s_branch .LBB57_352
.LBB57_2401:
	s_movk_i32 s4, 0x80
	v_cmp_eq_u16_sdwa s[12:13], v17, s4 src0_sel:BYTE_0 src1_sel:DWORD
	s_mov_b64 s[4:5], -1
                                        ; implicit-def: $sgpr10
	s_and_saveexec_b64 s[8:9], s[12:13]
; %bb.2402:
	s_mov_b32 s10, 0x7f800001
	s_xor_b64 s[4:5], exec, -1
; %bb.2403:
	s_or_b64 exec, exec, s[8:9]
	s_and_b64 s[4:5], s[4:5], exec
	s_or_saveexec_b64 s[6:7], s[6:7]
	v_mov_b32_e32 v10, s10
	s_xor_b64 exec, exec, s[6:7]
	s_cbranch_execz .LBB57_354
.LBB57_2404:
	v_mov_b32_e32 v10, 0
	v_cmp_ne_u16_sdwa s[8:9], v17, v10 src0_sel:BYTE_0 src1_sel:DWORD
	s_andn2_b64 s[4:5], s[4:5], exec
	s_and_b64 s[8:9], s[8:9], exec
	s_or_b64 s[4:5], s[4:5], s[8:9]
	s_or_b64 exec, exec, s[6:7]
	s_and_saveexec_b64 s[6:7], s[4:5]
	s_cbranch_execnz .LBB57_355
	s_branch .LBB57_356
.LBB57_2405:
	s_movk_i32 s4, 0x80
	v_cmp_eq_u16_sdwa s[12:13], v13, s4 src0_sel:BYTE_0 src1_sel:DWORD
	s_mov_b64 s[4:5], -1
                                        ; implicit-def: $sgpr10
	s_and_saveexec_b64 s[8:9], s[12:13]
; %bb.2406:
	s_mov_b32 s10, 0x7f800001
	s_xor_b64 s[4:5], exec, -1
; %bb.2407:
	s_or_b64 exec, exec, s[8:9]
	s_and_b64 s[4:5], s[4:5], exec
	s_or_saveexec_b64 s[6:7], s[6:7]
	v_mov_b32_e32 v11, s10
	s_xor_b64 exec, exec, s[6:7]
	s_cbranch_execz .LBB57_358
.LBB57_2408:
	v_mov_b32_e32 v11, 0
	v_cmp_ne_u16_sdwa s[8:9], v13, v11 src0_sel:BYTE_0 src1_sel:DWORD
	s_andn2_b64 s[4:5], s[4:5], exec
	s_and_b64 s[8:9], s[8:9], exec
	s_or_b64 s[4:5], s[4:5], s[8:9]
	s_or_b64 exec, exec, s[6:7]
	s_and_saveexec_b64 s[6:7], s[4:5]
	s_cbranch_execnz .LBB57_359
	s_branch .LBB57_360
.LBB57_2409:
	s_movk_i32 s4, 0x80
	v_cmp_eq_u16_sdwa s[12:13], v11, s4 src0_sel:BYTE_0 src1_sel:DWORD
	s_mov_b64 s[4:5], -1
                                        ; implicit-def: $sgpr10
	s_and_saveexec_b64 s[8:9], s[12:13]
; %bb.2410:
	s_mov_b32 s10, 0x7f800001
	s_xor_b64 s[4:5], exec, -1
; %bb.2411:
	s_or_b64 exec, exec, s[8:9]
	s_and_b64 s[4:5], s[4:5], exec
	s_or_saveexec_b64 s[6:7], s[6:7]
	v_mov_b32_e32 v10, s10
	s_xor_b64 exec, exec, s[6:7]
	s_cbranch_execz .LBB57_362
.LBB57_2412:
	v_mov_b32_e32 v10, 0
	v_cmp_ne_u16_sdwa s[8:9], v11, v10 src0_sel:BYTE_0 src1_sel:DWORD
	s_andn2_b64 s[4:5], s[4:5], exec
	s_and_b64 s[8:9], s[8:9], exec
	s_or_b64 s[4:5], s[4:5], s[8:9]
	s_or_b64 exec, exec, s[6:7]
	s_and_saveexec_b64 s[6:7], s[4:5]
	s_cbranch_execnz .LBB57_363
	s_branch .LBB57_364
.LBB57_2413:
	s_movk_i32 s4, 0x80
	v_cmp_eq_u16_sdwa s[12:13], v11, s4 src0_sel:BYTE_0 src1_sel:DWORD
	s_mov_b64 s[4:5], -1
                                        ; implicit-def: $sgpr10
	s_and_saveexec_b64 s[8:9], s[12:13]
; %bb.2414:
	s_mov_b32 s10, 0x7f800001
	s_xor_b64 s[4:5], exec, -1
; %bb.2415:
	s_or_b64 exec, exec, s[8:9]
	s_and_b64 s[4:5], s[4:5], exec
	s_or_saveexec_b64 s[6:7], s[6:7]
	v_mov_b32_e32 v12, s10
	s_xor_b64 exec, exec, s[6:7]
	s_cbranch_execz .LBB57_366
.LBB57_2416:
	v_mov_b32_e32 v12, 0
	v_cmp_ne_u16_sdwa s[8:9], v11, v12 src0_sel:BYTE_0 src1_sel:DWORD
	s_andn2_b64 s[4:5], s[4:5], exec
	s_and_b64 s[8:9], s[8:9], exec
	s_or_b64 s[4:5], s[4:5], s[8:9]
	s_or_b64 exec, exec, s[6:7]
	s_and_saveexec_b64 s[6:7], s[4:5]
	s_cbranch_execnz .LBB57_367
	s_branch .LBB57_368
.LBB57_2417:
	s_movk_i32 s4, 0x80
	v_cmp_eq_u16_e32 vcc, s4, v11
	s_mov_b64 s[4:5], -1
                                        ; implicit-def: $sgpr10
	s_and_saveexec_b64 s[8:9], vcc
; %bb.2418:
	s_mov_b32 s10, 0x7f800001
	s_xor_b64 s[4:5], exec, -1
; %bb.2419:
	s_or_b64 exec, exec, s[8:9]
	s_and_b64 s[4:5], s[4:5], exec
                                        ; implicit-def: $vgpr11
	s_or_saveexec_b64 s[6:7], s[6:7]
	v_mov_b32_e32 v10, s10
	s_xor_b64 exec, exec, s[6:7]
	s_cbranch_execz .LBB57_370
.LBB57_2420:
	v_cmp_ne_u16_e32 vcc, 0, v11
	s_andn2_b64 s[4:5], s[4:5], exec
	s_and_b64 s[8:9], vcc, exec
	v_mov_b32_e32 v10, 0
	s_or_b64 s[4:5], s[4:5], s[8:9]
	s_or_b64 exec, exec, s[6:7]
	s_and_saveexec_b64 s[6:7], s[4:5]
	s_cbranch_execnz .LBB57_371
	s_branch .LBB57_372
.LBB57_2421:
	s_movk_i32 s4, 0x80
	v_cmp_eq_u16_e32 vcc, s4, v11
	s_mov_b64 s[4:5], -1
                                        ; implicit-def: $sgpr10
	s_and_saveexec_b64 s[8:9], vcc
; %bb.2422:
	s_mov_b32 s10, 0x7f800001
	s_xor_b64 s[4:5], exec, -1
; %bb.2423:
	s_or_b64 exec, exec, s[8:9]
	s_and_b64 s[4:5], s[4:5], exec
                                        ; implicit-def: $vgpr11
	s_or_saveexec_b64 s[6:7], s[6:7]
	v_mov_b32_e32 v12, s10
	s_xor_b64 exec, exec, s[6:7]
	s_cbranch_execz .LBB57_374
.LBB57_2424:
	v_cmp_ne_u16_e32 vcc, 0, v11
	s_andn2_b64 s[4:5], s[4:5], exec
	s_and_b64 s[8:9], vcc, exec
	v_mov_b32_e32 v12, 0
	s_or_b64 s[4:5], s[4:5], s[8:9]
	s_or_b64 exec, exec, s[6:7]
	s_and_saveexec_b64 s[6:7], s[4:5]
	s_cbranch_execnz .LBB57_375
	s_branch .LBB57_376
.LBB57_2425:
	s_movk_i32 s4, 0x80
	v_cmp_eq_u16_sdwa s[12:13], v17, s4 src0_sel:BYTE_3 src1_sel:DWORD
	s_mov_b64 s[4:5], -1
                                        ; implicit-def: $sgpr10
	s_and_saveexec_b64 s[8:9], s[12:13]
; %bb.2426:
	s_mov_b32 s10, 0x7f800001
	s_xor_b64 s[4:5], exec, -1
; %bb.2427:
	s_or_b64 exec, exec, s[8:9]
	s_and_b64 s[4:5], s[4:5], exec
	s_or_saveexec_b64 s[6:7], s[6:7]
	v_mov_b32_e32 v10, s10
	s_xor_b64 exec, exec, s[6:7]
	s_cbranch_execz .LBB57_378
.LBB57_2428:
	v_mov_b32_e32 v10, 0
	v_cmp_ne_u16_sdwa s[8:9], v17, v10 src0_sel:BYTE_3 src1_sel:DWORD
	s_andn2_b64 s[4:5], s[4:5], exec
	s_and_b64 s[8:9], s[8:9], exec
	s_or_b64 s[4:5], s[4:5], s[8:9]
	s_or_b64 exec, exec, s[6:7]
	s_and_saveexec_b64 s[6:7], s[4:5]
	s_cbranch_execnz .LBB57_379
	s_branch .LBB57_380
.LBB57_2429:
	s_movk_i32 s4, 0x80
	v_cmp_eq_u16_sdwa s[12:13], v13, s4 src0_sel:BYTE_3 src1_sel:DWORD
	s_mov_b64 s[4:5], -1
                                        ; implicit-def: $sgpr10
	s_and_saveexec_b64 s[8:9], s[12:13]
; %bb.2430:
	s_mov_b32 s10, 0x7f800001
	s_xor_b64 s[4:5], exec, -1
; %bb.2431:
	s_or_b64 exec, exec, s[8:9]
	s_and_b64 s[4:5], s[4:5], exec
	s_or_saveexec_b64 s[6:7], s[6:7]
	v_mov_b32_e32 v11, s10
	s_xor_b64 exec, exec, s[6:7]
	s_cbranch_execz .LBB57_382
.LBB57_2432:
	v_mov_b32_e32 v11, 0
	v_cmp_ne_u16_sdwa s[8:9], v13, v11 src0_sel:BYTE_3 src1_sel:DWORD
	s_andn2_b64 s[4:5], s[4:5], exec
	s_and_b64 s[8:9], s[8:9], exec
	s_or_b64 s[4:5], s[4:5], s[8:9]
	s_or_b64 exec, exec, s[6:7]
	s_and_saveexec_b64 s[6:7], s[4:5]
	s_cbranch_execnz .LBB57_383
	s_branch .LBB57_384
.LBB57_2433:
	s_movk_i32 s4, 0x80
	v_cmp_eq_u16_sdwa s[12:13], v6, s4 src0_sel:BYTE_0 src1_sel:DWORD
	s_mov_b64 s[4:5], -1
                                        ; implicit-def: $sgpr10
	s_and_saveexec_b64 s[8:9], s[12:13]
; %bb.2434:
	s_mov_b32 s10, 0x7f800001
	s_xor_b64 s[4:5], exec, -1
; %bb.2435:
	s_or_b64 exec, exec, s[8:9]
	s_and_b64 s[4:5], s[4:5], exec
	s_or_saveexec_b64 s[6:7], s[6:7]
	v_mov_b32_e32 v10, s10
	s_xor_b64 exec, exec, s[6:7]
	s_cbranch_execz .LBB57_386
.LBB57_2436:
	v_mov_b32_e32 v10, 0
	v_cmp_ne_u16_sdwa s[8:9], v6, v10 src0_sel:BYTE_0 src1_sel:DWORD
	s_andn2_b64 s[4:5], s[4:5], exec
	s_and_b64 s[8:9], s[8:9], exec
	s_or_b64 s[4:5], s[4:5], s[8:9]
	s_or_b64 exec, exec, s[6:7]
	s_and_saveexec_b64 s[6:7], s[4:5]
	s_cbranch_execnz .LBB57_387
	s_branch .LBB57_388
.LBB57_2437:
	s_movk_i32 s4, 0x80
	v_cmp_eq_u16_sdwa s[12:13], v2, s4 src0_sel:BYTE_0 src1_sel:DWORD
	s_mov_b64 s[4:5], -1
                                        ; implicit-def: $sgpr10
	s_and_saveexec_b64 s[8:9], s[12:13]
; %bb.2438:
	s_mov_b32 s10, 0x7f800001
	s_xor_b64 s[4:5], exec, -1
; %bb.2439:
	s_or_b64 exec, exec, s[8:9]
	s_and_b64 s[4:5], s[4:5], exec
	s_or_saveexec_b64 s[6:7], s[6:7]
	v_mov_b32_e32 v11, s10
	s_xor_b64 exec, exec, s[6:7]
	s_cbranch_execz .LBB57_390
.LBB57_2440:
	v_mov_b32_e32 v11, 0
	v_cmp_ne_u16_sdwa s[8:9], v2, v11 src0_sel:BYTE_0 src1_sel:DWORD
	s_andn2_b64 s[4:5], s[4:5], exec
	s_and_b64 s[8:9], s[8:9], exec
	s_or_b64 s[4:5], s[4:5], s[8:9]
	s_or_b64 exec, exec, s[6:7]
	s_and_saveexec_b64 s[6:7], s[4:5]
	s_cbranch_execnz .LBB57_391
	s_branch .LBB57_392
.LBB57_2441:
	s_movk_i32 s4, 0x80
	v_cmp_eq_u16_sdwa s[12:13], v11, s4 src0_sel:BYTE_0 src1_sel:DWORD
	s_mov_b64 s[4:5], -1
                                        ; implicit-def: $sgpr10
	s_and_saveexec_b64 s[8:9], s[12:13]
; %bb.2442:
	s_mov_b32 s10, 0x7f800001
	s_xor_b64 s[4:5], exec, -1
; %bb.2443:
	s_or_b64 exec, exec, s[8:9]
	s_and_b64 s[4:5], s[4:5], exec
	s_or_saveexec_b64 s[6:7], s[6:7]
	v_mov_b32_e32 v10, s10
	s_xor_b64 exec, exec, s[6:7]
	s_cbranch_execz .LBB57_394
.LBB57_2444:
	v_mov_b32_e32 v10, 0
	v_cmp_ne_u16_sdwa s[8:9], v11, v10 src0_sel:BYTE_0 src1_sel:DWORD
	s_andn2_b64 s[4:5], s[4:5], exec
	s_and_b64 s[8:9], s[8:9], exec
	s_or_b64 s[4:5], s[4:5], s[8:9]
	s_or_b64 exec, exec, s[6:7]
	s_and_saveexec_b64 s[6:7], s[4:5]
	s_cbranch_execnz .LBB57_395
	s_branch .LBB57_396
.LBB57_2445:
	s_movk_i32 s4, 0x80
	v_cmp_eq_u16_sdwa s[12:13], v11, s4 src0_sel:BYTE_0 src1_sel:DWORD
	s_mov_b64 s[4:5], -1
                                        ; implicit-def: $sgpr10
	s_and_saveexec_b64 s[8:9], s[12:13]
; %bb.2446:
	s_mov_b32 s10, 0x7f800001
	s_xor_b64 s[4:5], exec, -1
; %bb.2447:
	s_or_b64 exec, exec, s[8:9]
	s_and_b64 s[4:5], s[4:5], exec
	s_or_saveexec_b64 s[6:7], s[6:7]
	v_mov_b32_e32 v12, s10
	s_xor_b64 exec, exec, s[6:7]
	s_cbranch_execz .LBB57_398
.LBB57_2448:
	v_mov_b32_e32 v12, 0
	v_cmp_ne_u16_sdwa s[8:9], v11, v12 src0_sel:BYTE_0 src1_sel:DWORD
	s_andn2_b64 s[4:5], s[4:5], exec
	s_and_b64 s[8:9], s[8:9], exec
	s_or_b64 s[4:5], s[4:5], s[8:9]
	s_or_b64 exec, exec, s[6:7]
	s_and_saveexec_b64 s[6:7], s[4:5]
	s_cbranch_execnz .LBB57_399
	s_branch .LBB57_400
.LBB57_2449:
	s_movk_i32 s4, 0x80
	v_cmp_eq_u16_e32 vcc, s4, v11
	s_mov_b64 s[4:5], -1
                                        ; implicit-def: $sgpr10
	s_and_saveexec_b64 s[8:9], vcc
; %bb.2450:
	s_mov_b32 s10, 0x7f800001
	s_xor_b64 s[4:5], exec, -1
; %bb.2451:
	s_or_b64 exec, exec, s[8:9]
	s_and_b64 s[4:5], s[4:5], exec
                                        ; implicit-def: $vgpr11
	s_or_saveexec_b64 s[6:7], s[6:7]
	v_mov_b32_e32 v10, s10
	s_xor_b64 exec, exec, s[6:7]
	s_cbranch_execz .LBB57_402
.LBB57_2452:
	v_cmp_ne_u16_e32 vcc, 0, v11
	s_andn2_b64 s[4:5], s[4:5], exec
	s_and_b64 s[8:9], vcc, exec
	v_mov_b32_e32 v10, 0
	s_or_b64 s[4:5], s[4:5], s[8:9]
	s_or_b64 exec, exec, s[6:7]
	s_and_saveexec_b64 s[6:7], s[4:5]
	s_cbranch_execnz .LBB57_403
	s_branch .LBB57_404
.LBB57_2453:
	s_movk_i32 s4, 0x80
	v_cmp_eq_u16_e32 vcc, s4, v11
	s_mov_b64 s[4:5], -1
                                        ; implicit-def: $sgpr10
	s_and_saveexec_b64 s[8:9], vcc
; %bb.2454:
	s_mov_b32 s10, 0x7f800001
	s_xor_b64 s[4:5], exec, -1
; %bb.2455:
	s_or_b64 exec, exec, s[8:9]
	s_and_b64 s[4:5], s[4:5], exec
                                        ; implicit-def: $vgpr11
	s_or_saveexec_b64 s[6:7], s[6:7]
	v_mov_b32_e32 v12, s10
	s_xor_b64 exec, exec, s[6:7]
	s_cbranch_execz .LBB57_406
.LBB57_2456:
	v_cmp_ne_u16_e32 vcc, 0, v11
	s_andn2_b64 s[4:5], s[4:5], exec
	s_and_b64 s[8:9], vcc, exec
	v_mov_b32_e32 v12, 0
	s_or_b64 s[4:5], s[4:5], s[8:9]
	s_or_b64 exec, exec, s[6:7]
	s_and_saveexec_b64 s[6:7], s[4:5]
	s_cbranch_execnz .LBB57_407
	s_branch .LBB57_408
.LBB57_2457:
	s_movk_i32 s4, 0x80
	v_cmp_eq_u16_sdwa s[12:13], v6, s4 src0_sel:BYTE_3 src1_sel:DWORD
	s_mov_b64 s[4:5], -1
                                        ; implicit-def: $sgpr10
	s_and_saveexec_b64 s[8:9], s[12:13]
; %bb.2458:
	s_mov_b32 s10, 0x7f800001
	s_xor_b64 s[4:5], exec, -1
; %bb.2459:
	s_or_b64 exec, exec, s[8:9]
	s_and_b64 s[4:5], s[4:5], exec
	s_or_saveexec_b64 s[6:7], s[6:7]
	v_mov_b32_e32 v10, s10
	s_xor_b64 exec, exec, s[6:7]
	s_cbranch_execz .LBB57_410
.LBB57_2460:
	v_mov_b32_e32 v10, 0
	v_cmp_ne_u16_sdwa s[8:9], v6, v10 src0_sel:BYTE_3 src1_sel:DWORD
	s_andn2_b64 s[4:5], s[4:5], exec
	s_and_b64 s[8:9], s[8:9], exec
	s_or_b64 s[4:5], s[4:5], s[8:9]
	s_or_b64 exec, exec, s[6:7]
	s_and_saveexec_b64 s[6:7], s[4:5]
	s_cbranch_execnz .LBB57_411
	s_branch .LBB57_412
.LBB57_2461:
	s_movk_i32 s4, 0x80
	v_cmp_eq_u16_sdwa s[12:13], v2, s4 src0_sel:BYTE_3 src1_sel:DWORD
	s_mov_b64 s[4:5], -1
                                        ; implicit-def: $sgpr10
	s_and_saveexec_b64 s[8:9], s[12:13]
; %bb.2462:
	s_mov_b32 s10, 0x7f800001
	s_xor_b64 s[4:5], exec, -1
; %bb.2463:
	s_or_b64 exec, exec, s[8:9]
	s_and_b64 s[4:5], s[4:5], exec
	s_or_saveexec_b64 s[6:7], s[6:7]
	v_mov_b32_e32 v6, s10
	s_xor_b64 exec, exec, s[6:7]
	s_cbranch_execz .LBB57_414
.LBB57_2464:
	v_mov_b32_e32 v6, 0
	v_cmp_ne_u16_sdwa s[8:9], v2, v6 src0_sel:BYTE_3 src1_sel:DWORD
	s_andn2_b64 s[4:5], s[4:5], exec
	s_and_b64 s[8:9], s[8:9], exec
	s_or_b64 s[4:5], s[4:5], s[8:9]
	s_or_b64 exec, exec, s[6:7]
	s_and_saveexec_b64 s[6:7], s[4:5]
	s_cbranch_execnz .LBB57_415
	s_branch .LBB57_416
.LBB57_2465:
	s_movk_i32 s4, 0x80
	v_cmp_eq_u16_sdwa s[12:13], v7, s4 src0_sel:BYTE_0 src1_sel:DWORD
	s_mov_b64 s[4:5], -1
                                        ; implicit-def: $sgpr10
	s_and_saveexec_b64 s[8:9], s[12:13]
; %bb.2466:
	s_mov_b32 s10, 0x7f800001
	s_xor_b64 s[4:5], exec, -1
; %bb.2467:
	s_or_b64 exec, exec, s[8:9]
	s_and_b64 s[4:5], s[4:5], exec
	s_or_saveexec_b64 s[6:7], s[6:7]
	v_mov_b32_e32 v2, s10
	s_xor_b64 exec, exec, s[6:7]
	s_cbranch_execz .LBB57_418
.LBB57_2468:
	v_mov_b32_e32 v2, 0
	v_cmp_ne_u16_sdwa s[8:9], v7, v2 src0_sel:BYTE_0 src1_sel:DWORD
	s_andn2_b64 s[4:5], s[4:5], exec
	s_and_b64 s[8:9], s[8:9], exec
	s_or_b64 s[4:5], s[4:5], s[8:9]
	s_or_b64 exec, exec, s[6:7]
	s_and_saveexec_b64 s[6:7], s[4:5]
	s_cbranch_execnz .LBB57_419
	s_branch .LBB57_420
.LBB57_2469:
	s_movk_i32 s4, 0x80
	v_cmp_eq_u16_sdwa s[12:13], v3, s4 src0_sel:BYTE_0 src1_sel:DWORD
	s_mov_b64 s[4:5], -1
                                        ; implicit-def: $sgpr10
	s_and_saveexec_b64 s[8:9], s[12:13]
; %bb.2470:
	s_mov_b32 s10, 0x7f800001
	s_xor_b64 s[4:5], exec, -1
; %bb.2471:
	s_or_b64 exec, exec, s[8:9]
	s_and_b64 s[4:5], s[4:5], exec
	s_or_saveexec_b64 s[6:7], s[6:7]
	v_mov_b32_e32 v6, s10
	s_xor_b64 exec, exec, s[6:7]
	s_cbranch_execz .LBB57_422
.LBB57_2472:
	v_mov_b32_e32 v6, 0
	v_cmp_ne_u16_sdwa s[8:9], v3, v6 src0_sel:BYTE_0 src1_sel:DWORD
	s_andn2_b64 s[4:5], s[4:5], exec
	s_and_b64 s[8:9], s[8:9], exec
	s_or_b64 s[4:5], s[4:5], s[8:9]
	s_or_b64 exec, exec, s[6:7]
	s_and_saveexec_b64 s[6:7], s[4:5]
	s_cbranch_execnz .LBB57_423
	s_branch .LBB57_424
.LBB57_2473:
	s_movk_i32 s4, 0x80
	v_cmp_eq_u16_sdwa s[12:13], v6, s4 src0_sel:BYTE_0 src1_sel:DWORD
	s_mov_b64 s[4:5], -1
                                        ; implicit-def: $sgpr10
	s_and_saveexec_b64 s[8:9], s[12:13]
; %bb.2474:
	s_mov_b32 s10, 0x7f800001
	s_xor_b64 s[4:5], exec, -1
; %bb.2475:
	s_or_b64 exec, exec, s[8:9]
	s_and_b64 s[4:5], s[4:5], exec
	s_or_saveexec_b64 s[6:7], s[6:7]
	v_mov_b32_e32 v2, s10
	s_xor_b64 exec, exec, s[6:7]
	s_cbranch_execz .LBB57_426
.LBB57_2476:
	v_mov_b32_e32 v2, 0
	v_cmp_ne_u16_sdwa s[8:9], v6, v2 src0_sel:BYTE_0 src1_sel:DWORD
	s_andn2_b64 s[4:5], s[4:5], exec
	s_and_b64 s[8:9], s[8:9], exec
	s_or_b64 s[4:5], s[4:5], s[8:9]
	s_or_b64 exec, exec, s[6:7]
	s_and_saveexec_b64 s[6:7], s[4:5]
	s_cbranch_execnz .LBB57_427
	s_branch .LBB57_428
.LBB57_2477:
	s_movk_i32 s4, 0x80
	v_cmp_eq_u16_sdwa s[12:13], v6, s4 src0_sel:BYTE_0 src1_sel:DWORD
	s_mov_b64 s[4:5], -1
                                        ; implicit-def: $sgpr10
	s_and_saveexec_b64 s[8:9], s[12:13]
; %bb.2478:
	s_mov_b32 s10, 0x7f800001
	s_xor_b64 s[4:5], exec, -1
; %bb.2479:
	s_or_b64 exec, exec, s[8:9]
	s_and_b64 s[4:5], s[4:5], exec
	s_or_saveexec_b64 s[6:7], s[6:7]
	v_mov_b32_e32 v10, s10
	s_xor_b64 exec, exec, s[6:7]
	s_cbranch_execz .LBB57_430
.LBB57_2480:
	v_mov_b32_e32 v10, 0
	v_cmp_ne_u16_sdwa s[8:9], v6, v10 src0_sel:BYTE_0 src1_sel:DWORD
	s_andn2_b64 s[4:5], s[4:5], exec
	s_and_b64 s[8:9], s[8:9], exec
	s_or_b64 s[4:5], s[4:5], s[8:9]
	s_or_b64 exec, exec, s[6:7]
	s_and_saveexec_b64 s[6:7], s[4:5]
	s_cbranch_execnz .LBB57_431
	s_branch .LBB57_432
.LBB57_2481:
	s_movk_i32 s4, 0x80
	v_cmp_eq_u16_e32 vcc, s4, v6
	s_mov_b64 s[4:5], -1
                                        ; implicit-def: $sgpr10
	s_and_saveexec_b64 s[8:9], vcc
; %bb.2482:
	s_mov_b32 s10, 0x7f800001
	s_xor_b64 s[4:5], exec, -1
; %bb.2483:
	s_or_b64 exec, exec, s[8:9]
	s_and_b64 s[4:5], s[4:5], exec
                                        ; implicit-def: $vgpr6
	s_or_saveexec_b64 s[6:7], s[6:7]
	v_mov_b32_e32 v2, s10
	s_xor_b64 exec, exec, s[6:7]
	s_cbranch_execz .LBB57_434
.LBB57_2484:
	v_cmp_ne_u16_e32 vcc, 0, v6
	s_andn2_b64 s[4:5], s[4:5], exec
	s_and_b64 s[8:9], vcc, exec
	v_mov_b32_e32 v2, 0
	s_or_b64 s[4:5], s[4:5], s[8:9]
	s_or_b64 exec, exec, s[6:7]
	s_and_saveexec_b64 s[6:7], s[4:5]
	s_cbranch_execnz .LBB57_435
	s_branch .LBB57_436
.LBB57_2485:
	s_movk_i32 s4, 0x80
	v_cmp_eq_u16_e32 vcc, s4, v6
	s_mov_b64 s[4:5], -1
                                        ; implicit-def: $sgpr10
	s_and_saveexec_b64 s[8:9], vcc
; %bb.2486:
	s_mov_b32 s10, 0x7f800001
	s_xor_b64 s[4:5], exec, -1
; %bb.2487:
	s_or_b64 exec, exec, s[8:9]
	s_and_b64 s[4:5], s[4:5], exec
                                        ; implicit-def: $vgpr6
	s_or_saveexec_b64 s[6:7], s[6:7]
	v_mov_b32_e32 v10, s10
	s_xor_b64 exec, exec, s[6:7]
	s_cbranch_execz .LBB57_438
.LBB57_2488:
	v_cmp_ne_u16_e32 vcc, 0, v6
	s_andn2_b64 s[4:5], s[4:5], exec
	s_and_b64 s[8:9], vcc, exec
	v_mov_b32_e32 v10, 0
	s_or_b64 s[4:5], s[4:5], s[8:9]
	s_or_b64 exec, exec, s[6:7]
	s_and_saveexec_b64 s[6:7], s[4:5]
	s_cbranch_execnz .LBB57_439
	s_branch .LBB57_440
.LBB57_2489:
	s_movk_i32 s4, 0x80
	v_cmp_eq_u16_sdwa s[12:13], v7, s4 src0_sel:BYTE_3 src1_sel:DWORD
	s_mov_b64 s[4:5], -1
                                        ; implicit-def: $sgpr10
	s_and_saveexec_b64 s[8:9], s[12:13]
; %bb.2490:
	s_mov_b32 s10, 0x7f800001
	s_xor_b64 s[4:5], exec, -1
; %bb.2491:
	s_or_b64 exec, exec, s[8:9]
	s_and_b64 s[4:5], s[4:5], exec
	s_or_saveexec_b64 s[6:7], s[6:7]
	v_mov_b32_e32 v2, s10
	s_xor_b64 exec, exec, s[6:7]
	s_cbranch_execz .LBB57_442
.LBB57_2492:
	v_mov_b32_e32 v2, 0
	v_cmp_ne_u16_sdwa s[8:9], v7, v2 src0_sel:BYTE_3 src1_sel:DWORD
	s_andn2_b64 s[4:5], s[4:5], exec
	s_and_b64 s[8:9], s[8:9], exec
	s_or_b64 s[4:5], s[4:5], s[8:9]
	s_or_b64 exec, exec, s[6:7]
	s_and_saveexec_b64 s[6:7], s[4:5]
	s_cbranch_execnz .LBB57_443
	s_branch .LBB57_444
.LBB57_2493:
	s_movk_i32 s4, 0x80
	v_cmp_eq_u16_sdwa s[12:13], v3, s4 src0_sel:BYTE_3 src1_sel:DWORD
	s_mov_b64 s[4:5], -1
                                        ; implicit-def: $sgpr10
	s_and_saveexec_b64 s[8:9], s[12:13]
; %bb.2494:
	s_mov_b32 s10, 0x7f800001
	s_xor_b64 s[4:5], exec, -1
; %bb.2495:
	s_or_b64 exec, exec, s[8:9]
	s_and_b64 s[4:5], s[4:5], exec
	s_or_saveexec_b64 s[6:7], s[6:7]
	v_mov_b32_e32 v6, s10
	s_xor_b64 exec, exec, s[6:7]
	s_cbranch_execz .LBB57_446
.LBB57_2496:
	v_mov_b32_e32 v6, 0
	v_cmp_ne_u16_sdwa s[8:9], v3, v6 src0_sel:BYTE_3 src1_sel:DWORD
	s_andn2_b64 s[4:5], s[4:5], exec
	s_and_b64 s[8:9], s[8:9], exec
	s_or_b64 s[4:5], s[4:5], s[8:9]
	s_or_b64 exec, exec, s[6:7]
	s_and_saveexec_b64 s[6:7], s[4:5]
	s_cbranch_execnz .LBB57_447
	s_branch .LBB57_448
.LBB57_2497:
	s_movk_i32 s4, 0x80
	v_cmp_eq_u16_sdwa s[12:13], v8, s4 src0_sel:BYTE_0 src1_sel:DWORD
	s_mov_b64 s[4:5], -1
                                        ; implicit-def: $sgpr10
	s_and_saveexec_b64 s[8:9], s[12:13]
; %bb.2498:
	s_mov_b32 s10, 0x7f800001
	s_xor_b64 s[4:5], exec, -1
; %bb.2499:
	s_or_b64 exec, exec, s[8:9]
	s_and_b64 s[4:5], s[4:5], exec
	s_or_saveexec_b64 s[6:7], s[6:7]
	v_mov_b32_e32 v2, s10
	s_xor_b64 exec, exec, s[6:7]
	s_cbranch_execz .LBB57_450
.LBB57_2500:
	v_mov_b32_e32 v2, 0
	v_cmp_ne_u16_sdwa s[8:9], v8, v2 src0_sel:BYTE_0 src1_sel:DWORD
	s_andn2_b64 s[4:5], s[4:5], exec
	s_and_b64 s[8:9], s[8:9], exec
	s_or_b64 s[4:5], s[4:5], s[8:9]
	s_or_b64 exec, exec, s[6:7]
	s_and_saveexec_b64 s[6:7], s[4:5]
	s_cbranch_execnz .LBB57_451
	s_branch .LBB57_452
.LBB57_2501:
	s_movk_i32 s4, 0x80
	v_cmp_eq_u16_sdwa s[12:13], v4, s4 src0_sel:BYTE_0 src1_sel:DWORD
	s_mov_b64 s[4:5], -1
                                        ; implicit-def: $sgpr10
	s_and_saveexec_b64 s[8:9], s[12:13]
; %bb.2502:
	s_mov_b32 s10, 0x7f800001
	s_xor_b64 s[4:5], exec, -1
; %bb.2503:
	s_or_b64 exec, exec, s[8:9]
	s_and_b64 s[4:5], s[4:5], exec
	s_or_saveexec_b64 s[6:7], s[6:7]
	v_mov_b32_e32 v3, s10
	s_xor_b64 exec, exec, s[6:7]
	s_cbranch_execz .LBB57_454
.LBB57_2504:
	v_mov_b32_e32 v3, 0
	v_cmp_ne_u16_sdwa s[8:9], v4, v3 src0_sel:BYTE_0 src1_sel:DWORD
	s_andn2_b64 s[4:5], s[4:5], exec
	s_and_b64 s[8:9], s[8:9], exec
	s_or_b64 s[4:5], s[4:5], s[8:9]
	s_or_b64 exec, exec, s[6:7]
	s_and_saveexec_b64 s[6:7], s[4:5]
	s_cbranch_execnz .LBB57_455
	s_branch .LBB57_456
.LBB57_2505:
	s_movk_i32 s4, 0x80
	v_cmp_eq_u16_sdwa s[12:13], v3, s4 src0_sel:BYTE_0 src1_sel:DWORD
	s_mov_b64 s[4:5], -1
                                        ; implicit-def: $sgpr10
	s_and_saveexec_b64 s[8:9], s[12:13]
; %bb.2506:
	s_mov_b32 s10, 0x7f800001
	s_xor_b64 s[4:5], exec, -1
; %bb.2507:
	s_or_b64 exec, exec, s[8:9]
	s_and_b64 s[4:5], s[4:5], exec
	s_or_saveexec_b64 s[6:7], s[6:7]
	v_mov_b32_e32 v2, s10
	s_xor_b64 exec, exec, s[6:7]
	s_cbranch_execz .LBB57_458
.LBB57_2508:
	v_mov_b32_e32 v2, 0
	v_cmp_ne_u16_sdwa s[8:9], v3, v2 src0_sel:BYTE_0 src1_sel:DWORD
	s_andn2_b64 s[4:5], s[4:5], exec
	s_and_b64 s[8:9], s[8:9], exec
	s_or_b64 s[4:5], s[4:5], s[8:9]
	s_or_b64 exec, exec, s[6:7]
	s_and_saveexec_b64 s[6:7], s[4:5]
	s_cbranch_execnz .LBB57_459
	s_branch .LBB57_460
.LBB57_2509:
	s_movk_i32 s4, 0x80
	v_cmp_eq_u16_sdwa s[12:13], v3, s4 src0_sel:BYTE_0 src1_sel:DWORD
	s_mov_b64 s[4:5], -1
                                        ; implicit-def: $sgpr10
	s_and_saveexec_b64 s[8:9], s[12:13]
; %bb.2510:
	s_mov_b32 s10, 0x7f800001
	s_xor_b64 s[4:5], exec, -1
; %bb.2511:
	s_or_b64 exec, exec, s[8:9]
	s_and_b64 s[4:5], s[4:5], exec
	s_or_saveexec_b64 s[6:7], s[6:7]
	v_mov_b32_e32 v6, s10
	s_xor_b64 exec, exec, s[6:7]
	s_cbranch_execz .LBB57_462
.LBB57_2512:
	v_mov_b32_e32 v6, 0
	v_cmp_ne_u16_sdwa s[8:9], v3, v6 src0_sel:BYTE_0 src1_sel:DWORD
	s_andn2_b64 s[4:5], s[4:5], exec
	s_and_b64 s[8:9], s[8:9], exec
	s_or_b64 s[4:5], s[4:5], s[8:9]
	s_or_b64 exec, exec, s[6:7]
	s_and_saveexec_b64 s[6:7], s[4:5]
	s_cbranch_execnz .LBB57_463
	s_branch .LBB57_464
.LBB57_2513:
	s_movk_i32 s4, 0x80
	v_cmp_eq_u16_e32 vcc, s4, v3
	s_mov_b64 s[4:5], -1
                                        ; implicit-def: $sgpr10
	s_and_saveexec_b64 s[8:9], vcc
; %bb.2514:
	s_mov_b32 s10, 0x7f800001
	s_xor_b64 s[4:5], exec, -1
; %bb.2515:
	s_or_b64 exec, exec, s[8:9]
	s_and_b64 s[4:5], s[4:5], exec
                                        ; implicit-def: $vgpr3
	s_or_saveexec_b64 s[6:7], s[6:7]
	v_mov_b32_e32 v2, s10
	s_xor_b64 exec, exec, s[6:7]
	s_cbranch_execz .LBB57_466
.LBB57_2516:
	v_cmp_ne_u16_e32 vcc, 0, v3
	s_andn2_b64 s[4:5], s[4:5], exec
	s_and_b64 s[8:9], vcc, exec
	v_mov_b32_e32 v2, 0
	s_or_b64 s[4:5], s[4:5], s[8:9]
	s_or_b64 exec, exec, s[6:7]
	s_and_saveexec_b64 s[6:7], s[4:5]
	s_cbranch_execnz .LBB57_467
	s_branch .LBB57_468
.LBB57_2517:
	s_movk_i32 s4, 0x80
	v_cmp_eq_u16_e32 vcc, s4, v3
	s_mov_b64 s[4:5], -1
                                        ; implicit-def: $sgpr10
	s_and_saveexec_b64 s[8:9], vcc
; %bb.2518:
	s_mov_b32 s10, 0x7f800001
	s_xor_b64 s[4:5], exec, -1
; %bb.2519:
	s_or_b64 exec, exec, s[8:9]
	s_and_b64 s[4:5], s[4:5], exec
                                        ; implicit-def: $vgpr3
	s_or_saveexec_b64 s[6:7], s[6:7]
	v_mov_b32_e32 v6, s10
	s_xor_b64 exec, exec, s[6:7]
	s_cbranch_execz .LBB57_470
.LBB57_2520:
	v_cmp_ne_u16_e32 vcc, 0, v3
	s_andn2_b64 s[4:5], s[4:5], exec
	s_and_b64 s[8:9], vcc, exec
	v_mov_b32_e32 v6, 0
	s_or_b64 s[4:5], s[4:5], s[8:9]
	s_or_b64 exec, exec, s[6:7]
	s_and_saveexec_b64 s[6:7], s[4:5]
	s_cbranch_execnz .LBB57_471
	s_branch .LBB57_472
.LBB57_2521:
	s_movk_i32 s4, 0x80
	v_cmp_eq_u16_sdwa s[12:13], v8, s4 src0_sel:BYTE_3 src1_sel:DWORD
	s_mov_b64 s[4:5], -1
                                        ; implicit-def: $sgpr10
	s_and_saveexec_b64 s[8:9], s[12:13]
; %bb.2522:
	s_mov_b32 s10, 0x7f800001
	s_xor_b64 s[4:5], exec, -1
; %bb.2523:
	s_or_b64 exec, exec, s[8:9]
	s_and_b64 s[4:5], s[4:5], exec
	s_or_saveexec_b64 s[6:7], s[6:7]
	v_mov_b32_e32 v2, s10
	s_xor_b64 exec, exec, s[6:7]
	s_cbranch_execz .LBB57_474
.LBB57_2524:
	v_mov_b32_e32 v2, 0
	v_cmp_ne_u16_sdwa s[8:9], v8, v2 src0_sel:BYTE_3 src1_sel:DWORD
	s_andn2_b64 s[4:5], s[4:5], exec
	s_and_b64 s[8:9], s[8:9], exec
	s_or_b64 s[4:5], s[4:5], s[8:9]
	s_or_b64 exec, exec, s[6:7]
	s_and_saveexec_b64 s[6:7], s[4:5]
	s_cbranch_execnz .LBB57_475
	s_branch .LBB57_476
.LBB57_2525:
	s_movk_i32 s4, 0x80
	v_cmp_eq_u16_sdwa s[12:13], v4, s4 src0_sel:BYTE_3 src1_sel:DWORD
	s_mov_b64 s[4:5], -1
                                        ; implicit-def: $sgpr10
	s_and_saveexec_b64 s[8:9], s[12:13]
; %bb.2526:
	s_mov_b32 s10, 0x7f800001
	s_xor_b64 s[4:5], exec, -1
; %bb.2527:
	s_or_b64 exec, exec, s[8:9]
	s_and_b64 s[4:5], s[4:5], exec
	s_or_saveexec_b64 s[6:7], s[6:7]
	v_mov_b32_e32 v3, s10
	s_xor_b64 exec, exec, s[6:7]
	s_cbranch_execz .LBB57_478
.LBB57_2528:
	v_mov_b32_e32 v3, 0
	v_cmp_ne_u16_sdwa s[8:9], v4, v3 src0_sel:BYTE_3 src1_sel:DWORD
	s_andn2_b64 s[4:5], s[4:5], exec
	s_and_b64 s[8:9], s[8:9], exec
	s_or_b64 s[4:5], s[4:5], s[8:9]
	s_or_b64 exec, exec, s[6:7]
	s_and_saveexec_b64 s[6:7], s[4:5]
	s_cbranch_execnz .LBB57_479
	s_branch .LBB57_480
.LBB57_2529:
	s_movk_i32 s4, 0x80
	v_cmp_eq_u16_sdwa s[12:13], v9, s4 src0_sel:BYTE_0 src1_sel:DWORD
	s_mov_b64 s[4:5], -1
                                        ; implicit-def: $sgpr10
	s_and_saveexec_b64 s[8:9], s[12:13]
; %bb.2530:
	s_mov_b32 s10, 0x7f800001
	s_xor_b64 s[4:5], exec, -1
; %bb.2531:
	s_or_b64 exec, exec, s[8:9]
	s_and_b64 s[4:5], s[4:5], exec
	s_or_saveexec_b64 s[6:7], s[6:7]
	v_mov_b32_e32 v2, s10
	s_xor_b64 exec, exec, s[6:7]
	s_cbranch_execz .LBB57_482
.LBB57_2532:
	v_mov_b32_e32 v2, 0
	v_cmp_ne_u16_sdwa s[8:9], v9, v2 src0_sel:BYTE_0 src1_sel:DWORD
	s_andn2_b64 s[4:5], s[4:5], exec
	s_and_b64 s[8:9], s[8:9], exec
	s_or_b64 s[4:5], s[4:5], s[8:9]
	s_or_b64 exec, exec, s[6:7]
	s_and_saveexec_b64 s[6:7], s[4:5]
	s_cbranch_execnz .LBB57_483
	s_branch .LBB57_484
.LBB57_2533:
	s_movk_i32 s4, 0x80
	v_cmp_eq_u16_sdwa s[12:13], v5, s4 src0_sel:BYTE_0 src1_sel:DWORD
	s_mov_b64 s[4:5], -1
                                        ; implicit-def: $sgpr10
	s_and_saveexec_b64 s[8:9], s[12:13]
; %bb.2534:
	s_mov_b32 s10, 0x7f800001
	s_xor_b64 s[4:5], exec, -1
; %bb.2535:
	s_or_b64 exec, exec, s[8:9]
	s_and_b64 s[4:5], s[4:5], exec
	s_or_saveexec_b64 s[6:7], s[6:7]
	v_mov_b32_e32 v3, s10
	s_xor_b64 exec, exec, s[6:7]
	s_cbranch_execz .LBB57_486
.LBB57_2536:
	v_mov_b32_e32 v3, 0
	v_cmp_ne_u16_sdwa s[8:9], v5, v3 src0_sel:BYTE_0 src1_sel:DWORD
	s_andn2_b64 s[4:5], s[4:5], exec
	s_and_b64 s[8:9], s[8:9], exec
	s_or_b64 s[4:5], s[4:5], s[8:9]
	s_or_b64 exec, exec, s[6:7]
	s_and_saveexec_b64 s[6:7], s[4:5]
	s_cbranch_execnz .LBB57_487
	s_branch .LBB57_488
.LBB57_2537:
	s_movk_i32 s4, 0x80
	v_cmp_eq_u16_sdwa s[12:13], v3, s4 src0_sel:BYTE_0 src1_sel:DWORD
	s_mov_b64 s[4:5], -1
                                        ; implicit-def: $sgpr10
	s_and_saveexec_b64 s[8:9], s[12:13]
; %bb.2538:
	s_mov_b32 s10, 0x7f800001
	s_xor_b64 s[4:5], exec, -1
; %bb.2539:
	s_or_b64 exec, exec, s[8:9]
	s_and_b64 s[4:5], s[4:5], exec
	s_or_saveexec_b64 s[6:7], s[6:7]
	v_mov_b32_e32 v2, s10
	s_xor_b64 exec, exec, s[6:7]
	s_cbranch_execz .LBB57_490
.LBB57_2540:
	v_mov_b32_e32 v2, 0
	v_cmp_ne_u16_sdwa s[8:9], v3, v2 src0_sel:BYTE_0 src1_sel:DWORD
	s_andn2_b64 s[4:5], s[4:5], exec
	s_and_b64 s[8:9], s[8:9], exec
	s_or_b64 s[4:5], s[4:5], s[8:9]
	s_or_b64 exec, exec, s[6:7]
	s_and_saveexec_b64 s[6:7], s[4:5]
	s_cbranch_execnz .LBB57_491
	s_branch .LBB57_492
.LBB57_2541:
	s_movk_i32 s4, 0x80
	v_cmp_eq_u16_sdwa s[12:13], v3, s4 src0_sel:BYTE_0 src1_sel:DWORD
	s_mov_b64 s[4:5], -1
                                        ; implicit-def: $sgpr10
	s_and_saveexec_b64 s[8:9], s[12:13]
; %bb.2542:
	s_mov_b32 s10, 0x7f800001
	s_xor_b64 s[4:5], exec, -1
; %bb.2543:
	s_or_b64 exec, exec, s[8:9]
	s_and_b64 s[4:5], s[4:5], exec
	s_or_saveexec_b64 s[6:7], s[6:7]
	v_mov_b32_e32 v4, s10
	s_xor_b64 exec, exec, s[6:7]
	s_cbranch_execz .LBB57_494
.LBB57_2544:
	v_mov_b32_e32 v4, 0
	v_cmp_ne_u16_sdwa s[8:9], v3, v4 src0_sel:BYTE_0 src1_sel:DWORD
	s_andn2_b64 s[4:5], s[4:5], exec
	s_and_b64 s[8:9], s[8:9], exec
	s_or_b64 s[4:5], s[4:5], s[8:9]
	s_or_b64 exec, exec, s[6:7]
	s_and_saveexec_b64 s[6:7], s[4:5]
	s_cbranch_execnz .LBB57_495
	s_branch .LBB57_496
.LBB57_2545:
	s_movk_i32 s4, 0x80
	v_cmp_eq_u16_e32 vcc, s4, v3
	s_mov_b64 s[4:5], -1
                                        ; implicit-def: $sgpr10
	s_and_saveexec_b64 s[8:9], vcc
; %bb.2546:
	s_mov_b32 s10, 0x7f800001
	s_xor_b64 s[4:5], exec, -1
; %bb.2547:
	s_or_b64 exec, exec, s[8:9]
	s_and_b64 s[4:5], s[4:5], exec
                                        ; implicit-def: $vgpr3
	s_or_saveexec_b64 s[6:7], s[6:7]
	v_mov_b32_e32 v2, s10
	s_xor_b64 exec, exec, s[6:7]
	s_cbranch_execz .LBB57_498
.LBB57_2548:
	v_cmp_ne_u16_e32 vcc, 0, v3
	s_andn2_b64 s[4:5], s[4:5], exec
	s_and_b64 s[8:9], vcc, exec
	v_mov_b32_e32 v2, 0
	s_or_b64 s[4:5], s[4:5], s[8:9]
	s_or_b64 exec, exec, s[6:7]
	s_and_saveexec_b64 s[6:7], s[4:5]
	s_cbranch_execnz .LBB57_499
	s_branch .LBB57_500
.LBB57_2549:
	s_movk_i32 s4, 0x80
	v_cmp_eq_u16_e32 vcc, s4, v3
	s_mov_b64 s[4:5], -1
                                        ; implicit-def: $sgpr10
	s_and_saveexec_b64 s[8:9], vcc
; %bb.2550:
	s_mov_b32 s10, 0x7f800001
	s_xor_b64 s[4:5], exec, -1
; %bb.2551:
	s_or_b64 exec, exec, s[8:9]
	s_and_b64 s[4:5], s[4:5], exec
                                        ; implicit-def: $vgpr3
	s_or_saveexec_b64 s[6:7], s[6:7]
	v_mov_b32_e32 v4, s10
	s_xor_b64 exec, exec, s[6:7]
	s_cbranch_execz .LBB57_502
.LBB57_2552:
	v_cmp_ne_u16_e32 vcc, 0, v3
	s_andn2_b64 s[4:5], s[4:5], exec
	s_and_b64 s[8:9], vcc, exec
	v_mov_b32_e32 v4, 0
	s_or_b64 s[4:5], s[4:5], s[8:9]
	s_or_b64 exec, exec, s[6:7]
	s_and_saveexec_b64 s[6:7], s[4:5]
	s_cbranch_execnz .LBB57_503
	s_branch .LBB57_504
.LBB57_2553:
	s_movk_i32 s4, 0x80
	v_cmp_eq_u16_sdwa s[12:13], v9, s4 src0_sel:BYTE_3 src1_sel:DWORD
	s_mov_b64 s[4:5], -1
                                        ; implicit-def: $sgpr10
	s_and_saveexec_b64 s[8:9], s[12:13]
; %bb.2554:
	s_mov_b32 s10, 0x7f800001
	s_xor_b64 s[4:5], exec, -1
; %bb.2555:
	s_or_b64 exec, exec, s[8:9]
	s_and_b64 s[4:5], s[4:5], exec
	s_or_saveexec_b64 s[6:7], s[6:7]
	v_mov_b32_e32 v2, s10
	s_xor_b64 exec, exec, s[6:7]
	s_cbranch_execz .LBB57_506
.LBB57_2556:
	v_mov_b32_e32 v2, 0
	v_cmp_ne_u16_sdwa s[8:9], v9, v2 src0_sel:BYTE_3 src1_sel:DWORD
	s_andn2_b64 s[4:5], s[4:5], exec
	s_and_b64 s[8:9], s[8:9], exec
	s_or_b64 s[4:5], s[4:5], s[8:9]
	s_or_b64 exec, exec, s[6:7]
	s_and_saveexec_b64 s[6:7], s[4:5]
	s_cbranch_execnz .LBB57_507
	s_branch .LBB57_508
.LBB57_2557:
	s_movk_i32 s4, 0x80
	v_cmp_eq_u16_sdwa s[12:13], v5, s4 src0_sel:BYTE_3 src1_sel:DWORD
	s_mov_b64 s[4:5], -1
                                        ; implicit-def: $sgpr10
	s_and_saveexec_b64 s[8:9], s[12:13]
; %bb.2558:
	s_mov_b32 s10, 0x7f800001
	s_xor_b64 s[4:5], exec, -1
; %bb.2559:
	s_or_b64 exec, exec, s[8:9]
	s_and_b64 s[4:5], s[4:5], exec
	s_or_saveexec_b64 s[6:7], s[6:7]
	v_mov_b32_e32 v3, s10
	s_xor_b64 exec, exec, s[6:7]
	s_cbranch_execz .LBB57_510
.LBB57_2560:
	v_mov_b32_e32 v3, 0
	v_cmp_ne_u16_sdwa s[8:9], v5, v3 src0_sel:BYTE_3 src1_sel:DWORD
	s_andn2_b64 s[4:5], s[4:5], exec
	s_and_b64 s[8:9], s[8:9], exec
	s_or_b64 s[4:5], s[4:5], s[8:9]
	s_or_b64 exec, exec, s[6:7]
	s_and_saveexec_b64 s[6:7], s[4:5]
	s_cbranch_execnz .LBB57_511
	s_branch .LBB57_512
.LBB57_2561:
	s_movk_i32 s4, 0x80
	v_cmp_eq_u16_sdwa s[12:13], v14, s4 src0_sel:BYTE_0 src1_sel:DWORD
	s_mov_b64 s[4:5], -1
                                        ; implicit-def: $sgpr10
	s_and_saveexec_b64 s[8:9], s[12:13]
; %bb.2562:
	s_mov_b32 s10, 0x7f800001
	s_xor_b64 s[4:5], exec, -1
; %bb.2563:
	s_or_b64 exec, exec, s[8:9]
	s_and_b64 s[4:5], s[4:5], exec
	s_or_saveexec_b64 s[6:7], s[6:7]
	v_mov_b32_e32 v20, s10
	s_xor_b64 exec, exec, s[6:7]
	s_cbranch_execz .LBB57_514
.LBB57_2564:
	v_mov_b32_e32 v20, 0
	v_cmp_ne_u16_sdwa s[8:9], v14, v20 src0_sel:BYTE_0 src1_sel:DWORD
	s_andn2_b64 s[4:5], s[4:5], exec
	s_and_b64 s[8:9], s[8:9], exec
	s_or_b64 s[4:5], s[4:5], s[8:9]
	s_or_b64 exec, exec, s[6:7]
	s_and_saveexec_b64 s[6:7], s[4:5]
	s_cbranch_execnz .LBB57_515
	s_branch .LBB57_516
.LBB57_2565:
	s_movk_i32 s4, 0x80
	v_cmp_eq_u16_sdwa s[12:13], v10, s4 src0_sel:BYTE_0 src1_sel:DWORD
	s_mov_b64 s[4:5], -1
                                        ; implicit-def: $sgpr10
	s_and_saveexec_b64 s[8:9], s[12:13]
; %bb.2566:
	s_mov_b32 s10, 0x7f800001
	s_xor_b64 s[4:5], exec, -1
; %bb.2567:
	s_or_b64 exec, exec, s[8:9]
	s_and_b64 s[4:5], s[4:5], exec
	s_or_saveexec_b64 s[6:7], s[6:7]
	v_mov_b32_e32 v21, s10
	s_xor_b64 exec, exec, s[6:7]
	s_cbranch_execz .LBB57_518
.LBB57_2568:
	v_mov_b32_e32 v21, 0
	v_cmp_ne_u16_sdwa s[8:9], v10, v21 src0_sel:BYTE_0 src1_sel:DWORD
	s_andn2_b64 s[4:5], s[4:5], exec
	s_and_b64 s[8:9], s[8:9], exec
	s_or_b64 s[4:5], s[4:5], s[8:9]
	s_or_b64 exec, exec, s[6:7]
	s_and_saveexec_b64 s[6:7], s[4:5]
	s_cbranch_execnz .LBB57_519
	s_branch .LBB57_520
.LBB57_2569:
	s_movk_i32 s4, 0x80
	v_cmp_eq_u16_sdwa s[12:13], v21, s4 src0_sel:BYTE_0 src1_sel:DWORD
	s_mov_b64 s[4:5], -1
                                        ; implicit-def: $sgpr10
	s_and_saveexec_b64 s[8:9], s[12:13]
; %bb.2570:
	s_mov_b32 s10, 0x7f800001
	s_xor_b64 s[4:5], exec, -1
; %bb.2571:
	s_or_b64 exec, exec, s[8:9]
	s_and_b64 s[4:5], s[4:5], exec
	s_or_saveexec_b64 s[6:7], s[6:7]
	v_mov_b32_e32 v20, s10
	s_xor_b64 exec, exec, s[6:7]
	s_cbranch_execz .LBB57_522
.LBB57_2572:
	v_mov_b32_e32 v20, 0
	v_cmp_ne_u16_sdwa s[8:9], v21, v20 src0_sel:BYTE_0 src1_sel:DWORD
	s_andn2_b64 s[4:5], s[4:5], exec
	s_and_b64 s[8:9], s[8:9], exec
	s_or_b64 s[4:5], s[4:5], s[8:9]
	s_or_b64 exec, exec, s[6:7]
	s_and_saveexec_b64 s[6:7], s[4:5]
	s_cbranch_execnz .LBB57_523
	s_branch .LBB57_524
.LBB57_2573:
	s_movk_i32 s4, 0x80
	v_cmp_eq_u16_sdwa s[12:13], v21, s4 src0_sel:BYTE_0 src1_sel:DWORD
	s_mov_b64 s[4:5], -1
                                        ; implicit-def: $sgpr10
	s_and_saveexec_b64 s[8:9], s[12:13]
; %bb.2574:
	s_mov_b32 s10, 0x7f800001
	s_xor_b64 s[4:5], exec, -1
; %bb.2575:
	s_or_b64 exec, exec, s[8:9]
	s_and_b64 s[4:5], s[4:5], exec
	s_or_saveexec_b64 s[6:7], s[6:7]
	v_mov_b32_e32 v22, s10
	s_xor_b64 exec, exec, s[6:7]
	s_cbranch_execz .LBB57_526
.LBB57_2576:
	v_mov_b32_e32 v22, 0
	v_cmp_ne_u16_sdwa s[8:9], v21, v22 src0_sel:BYTE_0 src1_sel:DWORD
	s_andn2_b64 s[4:5], s[4:5], exec
	s_and_b64 s[8:9], s[8:9], exec
	s_or_b64 s[4:5], s[4:5], s[8:9]
	s_or_b64 exec, exec, s[6:7]
	s_and_saveexec_b64 s[6:7], s[4:5]
	s_cbranch_execnz .LBB57_527
	s_branch .LBB57_528
.LBB57_2577:
	s_movk_i32 s4, 0x80
	v_cmp_eq_u16_e32 vcc, s4, v21
	s_mov_b64 s[4:5], -1
                                        ; implicit-def: $sgpr10
	s_and_saveexec_b64 s[8:9], vcc
; %bb.2578:
	s_mov_b32 s10, 0x7f800001
	s_xor_b64 s[4:5], exec, -1
; %bb.2579:
	s_or_b64 exec, exec, s[8:9]
	s_and_b64 s[4:5], s[4:5], exec
                                        ; implicit-def: $vgpr21
	s_or_saveexec_b64 s[6:7], s[6:7]
	v_mov_b32_e32 v20, s10
	s_xor_b64 exec, exec, s[6:7]
	s_cbranch_execz .LBB57_530
.LBB57_2580:
	v_cmp_ne_u16_e32 vcc, 0, v21
	s_andn2_b64 s[4:5], s[4:5], exec
	s_and_b64 s[8:9], vcc, exec
	v_mov_b32_e32 v20, 0
	s_or_b64 s[4:5], s[4:5], s[8:9]
	s_or_b64 exec, exec, s[6:7]
	s_and_saveexec_b64 s[6:7], s[4:5]
	s_cbranch_execnz .LBB57_531
	s_branch .LBB57_532
.LBB57_2581:
	s_movk_i32 s4, 0x80
	v_cmp_eq_u16_e32 vcc, s4, v21
	s_mov_b64 s[4:5], -1
                                        ; implicit-def: $sgpr10
	s_and_saveexec_b64 s[8:9], vcc
; %bb.2582:
	s_mov_b32 s10, 0x7f800001
	s_xor_b64 s[4:5], exec, -1
; %bb.2583:
	s_or_b64 exec, exec, s[8:9]
	s_and_b64 s[4:5], s[4:5], exec
                                        ; implicit-def: $vgpr21
	s_or_saveexec_b64 s[6:7], s[6:7]
	v_mov_b32_e32 v22, s10
	s_xor_b64 exec, exec, s[6:7]
	s_cbranch_execz .LBB57_534
.LBB57_2584:
	v_cmp_ne_u16_e32 vcc, 0, v21
	s_andn2_b64 s[4:5], s[4:5], exec
	s_and_b64 s[8:9], vcc, exec
	v_mov_b32_e32 v22, 0
	s_or_b64 s[4:5], s[4:5], s[8:9]
	s_or_b64 exec, exec, s[6:7]
	s_and_saveexec_b64 s[6:7], s[4:5]
	s_cbranch_execnz .LBB57_535
	s_branch .LBB57_536
.LBB57_2585:
	s_movk_i32 s4, 0x80
	v_cmp_eq_u16_sdwa s[12:13], v14, s4 src0_sel:BYTE_3 src1_sel:DWORD
	s_mov_b64 s[4:5], -1
                                        ; implicit-def: $sgpr10
	s_and_saveexec_b64 s[8:9], s[12:13]
; %bb.2586:
	s_mov_b32 s10, 0x7f800001
	s_xor_b64 s[4:5], exec, -1
; %bb.2587:
	s_or_b64 exec, exec, s[8:9]
	s_and_b64 s[4:5], s[4:5], exec
	s_or_saveexec_b64 s[6:7], s[6:7]
	v_mov_b32_e32 v20, s10
	s_xor_b64 exec, exec, s[6:7]
	s_cbranch_execz .LBB57_538
.LBB57_2588:
	v_mov_b32_e32 v20, 0
	v_cmp_ne_u16_sdwa s[8:9], v14, v20 src0_sel:BYTE_3 src1_sel:DWORD
	s_andn2_b64 s[4:5], s[4:5], exec
	s_and_b64 s[8:9], s[8:9], exec
	s_or_b64 s[4:5], s[4:5], s[8:9]
	s_or_b64 exec, exec, s[6:7]
	s_and_saveexec_b64 s[6:7], s[4:5]
	s_cbranch_execnz .LBB57_539
	s_branch .LBB57_540
.LBB57_2589:
	s_movk_i32 s4, 0x80
	v_cmp_eq_u16_sdwa s[12:13], v10, s4 src0_sel:BYTE_3 src1_sel:DWORD
	s_mov_b64 s[4:5], -1
                                        ; implicit-def: $sgpr10
	s_and_saveexec_b64 s[8:9], s[12:13]
; %bb.2590:
	s_mov_b32 s10, 0x7f800001
	s_xor_b64 s[4:5], exec, -1
; %bb.2591:
	s_or_b64 exec, exec, s[8:9]
	s_and_b64 s[4:5], s[4:5], exec
	s_or_saveexec_b64 s[6:7], s[6:7]
	v_mov_b32_e32 v14, s10
	s_xor_b64 exec, exec, s[6:7]
	s_cbranch_execz .LBB57_542
.LBB57_2592:
	v_mov_b32_e32 v14, 0
	v_cmp_ne_u16_sdwa s[8:9], v10, v14 src0_sel:BYTE_3 src1_sel:DWORD
	s_andn2_b64 s[4:5], s[4:5], exec
	s_and_b64 s[8:9], s[8:9], exec
	s_or_b64 s[4:5], s[4:5], s[8:9]
	s_or_b64 exec, exec, s[6:7]
	s_and_saveexec_b64 s[6:7], s[4:5]
	s_cbranch_execnz .LBB57_543
	s_branch .LBB57_544
.LBB57_2593:
	s_movk_i32 s4, 0x80
	v_cmp_eq_u16_sdwa s[12:13], v15, s4 src0_sel:BYTE_0 src1_sel:DWORD
	s_mov_b64 s[4:5], -1
                                        ; implicit-def: $sgpr10
	s_and_saveexec_b64 s[8:9], s[12:13]
; %bb.2594:
	s_mov_b32 s10, 0x7f800001
	s_xor_b64 s[4:5], exec, -1
; %bb.2595:
	s_or_b64 exec, exec, s[8:9]
	s_and_b64 s[4:5], s[4:5], exec
	s_or_saveexec_b64 s[6:7], s[6:7]
	v_mov_b32_e32 v10, s10
	s_xor_b64 exec, exec, s[6:7]
	s_cbranch_execz .LBB57_546
.LBB57_2596:
	v_mov_b32_e32 v10, 0
	v_cmp_ne_u16_sdwa s[8:9], v15, v10 src0_sel:BYTE_0 src1_sel:DWORD
	s_andn2_b64 s[4:5], s[4:5], exec
	s_and_b64 s[8:9], s[8:9], exec
	s_or_b64 s[4:5], s[4:5], s[8:9]
	s_or_b64 exec, exec, s[6:7]
	s_and_saveexec_b64 s[6:7], s[4:5]
	s_cbranch_execnz .LBB57_547
	s_branch .LBB57_548
.LBB57_2597:
	s_movk_i32 s4, 0x80
	v_cmp_eq_u16_sdwa s[12:13], v11, s4 src0_sel:BYTE_0 src1_sel:DWORD
	s_mov_b64 s[4:5], -1
                                        ; implicit-def: $sgpr10
	s_and_saveexec_b64 s[8:9], s[12:13]
; %bb.2598:
	s_mov_b32 s10, 0x7f800001
	s_xor_b64 s[4:5], exec, -1
; %bb.2599:
	s_or_b64 exec, exec, s[8:9]
	s_and_b64 s[4:5], s[4:5], exec
	s_or_saveexec_b64 s[6:7], s[6:7]
	v_mov_b32_e32 v14, s10
	s_xor_b64 exec, exec, s[6:7]
	s_cbranch_execz .LBB57_550
.LBB57_2600:
	v_mov_b32_e32 v14, 0
	v_cmp_ne_u16_sdwa s[8:9], v11, v14 src0_sel:BYTE_0 src1_sel:DWORD
	s_andn2_b64 s[4:5], s[4:5], exec
	s_and_b64 s[8:9], s[8:9], exec
	s_or_b64 s[4:5], s[4:5], s[8:9]
	s_or_b64 exec, exec, s[6:7]
	s_and_saveexec_b64 s[6:7], s[4:5]
	s_cbranch_execnz .LBB57_551
	s_branch .LBB57_552
.LBB57_2601:
	s_movk_i32 s4, 0x80
	v_cmp_eq_u16_sdwa s[12:13], v14, s4 src0_sel:BYTE_0 src1_sel:DWORD
	s_mov_b64 s[4:5], -1
                                        ; implicit-def: $sgpr10
	s_and_saveexec_b64 s[8:9], s[12:13]
; %bb.2602:
	s_mov_b32 s10, 0x7f800001
	s_xor_b64 s[4:5], exec, -1
; %bb.2603:
	s_or_b64 exec, exec, s[8:9]
	s_and_b64 s[4:5], s[4:5], exec
	s_or_saveexec_b64 s[6:7], s[6:7]
	v_mov_b32_e32 v10, s10
	s_xor_b64 exec, exec, s[6:7]
	s_cbranch_execz .LBB57_554
.LBB57_2604:
	v_mov_b32_e32 v10, 0
	v_cmp_ne_u16_sdwa s[8:9], v14, v10 src0_sel:BYTE_0 src1_sel:DWORD
	s_andn2_b64 s[4:5], s[4:5], exec
	s_and_b64 s[8:9], s[8:9], exec
	s_or_b64 s[4:5], s[4:5], s[8:9]
	s_or_b64 exec, exec, s[6:7]
	s_and_saveexec_b64 s[6:7], s[4:5]
	s_cbranch_execnz .LBB57_555
	s_branch .LBB57_556
.LBB57_2605:
	s_movk_i32 s4, 0x80
	v_cmp_eq_u16_sdwa s[12:13], v14, s4 src0_sel:BYTE_0 src1_sel:DWORD
	s_mov_b64 s[4:5], -1
                                        ; implicit-def: $sgpr10
	s_and_saveexec_b64 s[8:9], s[12:13]
; %bb.2606:
	s_mov_b32 s10, 0x7f800001
	s_xor_b64 s[4:5], exec, -1
; %bb.2607:
	s_or_b64 exec, exec, s[8:9]
	s_and_b64 s[4:5], s[4:5], exec
	s_or_saveexec_b64 s[6:7], s[6:7]
	v_mov_b32_e32 v20, s10
	s_xor_b64 exec, exec, s[6:7]
	s_cbranch_execz .LBB57_558
.LBB57_2608:
	v_mov_b32_e32 v20, 0
	v_cmp_ne_u16_sdwa s[8:9], v14, v20 src0_sel:BYTE_0 src1_sel:DWORD
	s_andn2_b64 s[4:5], s[4:5], exec
	s_and_b64 s[8:9], s[8:9], exec
	s_or_b64 s[4:5], s[4:5], s[8:9]
	s_or_b64 exec, exec, s[6:7]
	s_and_saveexec_b64 s[6:7], s[4:5]
	s_cbranch_execnz .LBB57_559
	s_branch .LBB57_560
.LBB57_2609:
	s_movk_i32 s4, 0x80
	v_cmp_eq_u16_e32 vcc, s4, v14
	s_mov_b64 s[4:5], -1
                                        ; implicit-def: $sgpr10
	s_and_saveexec_b64 s[8:9], vcc
; %bb.2610:
	s_mov_b32 s10, 0x7f800001
	s_xor_b64 s[4:5], exec, -1
; %bb.2611:
	s_or_b64 exec, exec, s[8:9]
	s_and_b64 s[4:5], s[4:5], exec
                                        ; implicit-def: $vgpr14
	s_or_saveexec_b64 s[6:7], s[6:7]
	v_mov_b32_e32 v10, s10
	s_xor_b64 exec, exec, s[6:7]
	s_cbranch_execz .LBB57_562
.LBB57_2612:
	v_cmp_ne_u16_e32 vcc, 0, v14
	s_andn2_b64 s[4:5], s[4:5], exec
	s_and_b64 s[8:9], vcc, exec
	v_mov_b32_e32 v10, 0
	s_or_b64 s[4:5], s[4:5], s[8:9]
	s_or_b64 exec, exec, s[6:7]
	s_and_saveexec_b64 s[6:7], s[4:5]
	s_cbranch_execnz .LBB57_563
	s_branch .LBB57_564
.LBB57_2613:
	s_movk_i32 s4, 0x80
	v_cmp_eq_u16_e32 vcc, s4, v14
	s_mov_b64 s[4:5], -1
                                        ; implicit-def: $sgpr10
	s_and_saveexec_b64 s[8:9], vcc
; %bb.2614:
	s_mov_b32 s10, 0x7f800001
	s_xor_b64 s[4:5], exec, -1
; %bb.2615:
	s_or_b64 exec, exec, s[8:9]
	s_and_b64 s[4:5], s[4:5], exec
                                        ; implicit-def: $vgpr14
	s_or_saveexec_b64 s[6:7], s[6:7]
	v_mov_b32_e32 v20, s10
	s_xor_b64 exec, exec, s[6:7]
	s_cbranch_execz .LBB57_566
.LBB57_2616:
	v_cmp_ne_u16_e32 vcc, 0, v14
	s_andn2_b64 s[4:5], s[4:5], exec
	s_and_b64 s[8:9], vcc, exec
	v_mov_b32_e32 v20, 0
	s_or_b64 s[4:5], s[4:5], s[8:9]
	s_or_b64 exec, exec, s[6:7]
	s_and_saveexec_b64 s[6:7], s[4:5]
	s_cbranch_execnz .LBB57_567
	s_branch .LBB57_568
.LBB57_2617:
	s_movk_i32 s4, 0x80
	v_cmp_eq_u16_sdwa s[12:13], v15, s4 src0_sel:BYTE_3 src1_sel:DWORD
	s_mov_b64 s[4:5], -1
                                        ; implicit-def: $sgpr10
	s_and_saveexec_b64 s[8:9], s[12:13]
; %bb.2618:
	s_mov_b32 s10, 0x7f800001
	s_xor_b64 s[4:5], exec, -1
; %bb.2619:
	s_or_b64 exec, exec, s[8:9]
	s_and_b64 s[4:5], s[4:5], exec
	s_or_saveexec_b64 s[6:7], s[6:7]
	v_mov_b32_e32 v10, s10
	s_xor_b64 exec, exec, s[6:7]
	s_cbranch_execz .LBB57_570
.LBB57_2620:
	v_mov_b32_e32 v10, 0
	v_cmp_ne_u16_sdwa s[8:9], v15, v10 src0_sel:BYTE_3 src1_sel:DWORD
	s_andn2_b64 s[4:5], s[4:5], exec
	s_and_b64 s[8:9], s[8:9], exec
	s_or_b64 s[4:5], s[4:5], s[8:9]
	s_or_b64 exec, exec, s[6:7]
	s_and_saveexec_b64 s[6:7], s[4:5]
	s_cbranch_execnz .LBB57_571
	s_branch .LBB57_572
.LBB57_2621:
	s_movk_i32 s4, 0x80
	v_cmp_eq_u16_sdwa s[12:13], v11, s4 src0_sel:BYTE_3 src1_sel:DWORD
	s_mov_b64 s[4:5], -1
                                        ; implicit-def: $sgpr10
	s_and_saveexec_b64 s[8:9], s[12:13]
; %bb.2622:
	s_mov_b32 s10, 0x7f800001
	s_xor_b64 s[4:5], exec, -1
; %bb.2623:
	s_or_b64 exec, exec, s[8:9]
	s_and_b64 s[4:5], s[4:5], exec
	s_or_saveexec_b64 s[6:7], s[6:7]
	v_mov_b32_e32 v14, s10
	s_xor_b64 exec, exec, s[6:7]
	s_cbranch_execz .LBB57_574
.LBB57_2624:
	v_mov_b32_e32 v14, 0
	v_cmp_ne_u16_sdwa s[8:9], v11, v14 src0_sel:BYTE_3 src1_sel:DWORD
	s_andn2_b64 s[4:5], s[4:5], exec
	s_and_b64 s[8:9], s[8:9], exec
	s_or_b64 s[4:5], s[4:5], s[8:9]
	s_or_b64 exec, exec, s[6:7]
	s_and_saveexec_b64 s[6:7], s[4:5]
	s_cbranch_execnz .LBB57_575
	s_branch .LBB57_576
.LBB57_2625:
	s_movk_i32 s4, 0x80
	v_cmp_eq_u16_sdwa s[12:13], v16, s4 src0_sel:BYTE_0 src1_sel:DWORD
	s_mov_b64 s[4:5], -1
                                        ; implicit-def: $sgpr10
	s_and_saveexec_b64 s[8:9], s[12:13]
; %bb.2626:
	s_mov_b32 s10, 0x7f800001
	s_xor_b64 s[4:5], exec, -1
; %bb.2627:
	s_or_b64 exec, exec, s[8:9]
	s_and_b64 s[4:5], s[4:5], exec
	s_or_saveexec_b64 s[6:7], s[6:7]
	v_mov_b32_e32 v10, s10
	s_xor_b64 exec, exec, s[6:7]
	s_cbranch_execz .LBB57_578
.LBB57_2628:
	v_mov_b32_e32 v10, 0
	v_cmp_ne_u16_sdwa s[8:9], v16, v10 src0_sel:BYTE_0 src1_sel:DWORD
	s_andn2_b64 s[4:5], s[4:5], exec
	s_and_b64 s[8:9], s[8:9], exec
	s_or_b64 s[4:5], s[4:5], s[8:9]
	s_or_b64 exec, exec, s[6:7]
	s_and_saveexec_b64 s[6:7], s[4:5]
	s_cbranch_execnz .LBB57_579
	s_branch .LBB57_580
.LBB57_2629:
	s_movk_i32 s4, 0x80
	v_cmp_eq_u16_sdwa s[12:13], v12, s4 src0_sel:BYTE_0 src1_sel:DWORD
	s_mov_b64 s[4:5], -1
                                        ; implicit-def: $sgpr10
	s_and_saveexec_b64 s[8:9], s[12:13]
; %bb.2630:
	s_mov_b32 s10, 0x7f800001
	s_xor_b64 s[4:5], exec, -1
; %bb.2631:
	s_or_b64 exec, exec, s[8:9]
	s_and_b64 s[4:5], s[4:5], exec
	s_or_saveexec_b64 s[6:7], s[6:7]
	v_mov_b32_e32 v11, s10
	s_xor_b64 exec, exec, s[6:7]
	s_cbranch_execz .LBB57_582
.LBB57_2632:
	v_mov_b32_e32 v11, 0
	v_cmp_ne_u16_sdwa s[8:9], v12, v11 src0_sel:BYTE_0 src1_sel:DWORD
	s_andn2_b64 s[4:5], s[4:5], exec
	s_and_b64 s[8:9], s[8:9], exec
	s_or_b64 s[4:5], s[4:5], s[8:9]
	s_or_b64 exec, exec, s[6:7]
	s_and_saveexec_b64 s[6:7], s[4:5]
	s_cbranch_execnz .LBB57_583
	s_branch .LBB57_584
.LBB57_2633:
	s_movk_i32 s4, 0x80
	v_cmp_eq_u16_sdwa s[12:13], v11, s4 src0_sel:BYTE_0 src1_sel:DWORD
	s_mov_b64 s[4:5], -1
                                        ; implicit-def: $sgpr10
	s_and_saveexec_b64 s[8:9], s[12:13]
; %bb.2634:
	s_mov_b32 s10, 0x7f800001
	s_xor_b64 s[4:5], exec, -1
; %bb.2635:
	s_or_b64 exec, exec, s[8:9]
	s_and_b64 s[4:5], s[4:5], exec
	s_or_saveexec_b64 s[6:7], s[6:7]
	v_mov_b32_e32 v10, s10
	s_xor_b64 exec, exec, s[6:7]
	s_cbranch_execz .LBB57_586
.LBB57_2636:
	v_mov_b32_e32 v10, 0
	v_cmp_ne_u16_sdwa s[8:9], v11, v10 src0_sel:BYTE_0 src1_sel:DWORD
	s_andn2_b64 s[4:5], s[4:5], exec
	s_and_b64 s[8:9], s[8:9], exec
	s_or_b64 s[4:5], s[4:5], s[8:9]
	s_or_b64 exec, exec, s[6:7]
	s_and_saveexec_b64 s[6:7], s[4:5]
	s_cbranch_execnz .LBB57_587
	s_branch .LBB57_588
.LBB57_2637:
	s_movk_i32 s4, 0x80
	v_cmp_eq_u16_sdwa s[12:13], v11, s4 src0_sel:BYTE_0 src1_sel:DWORD
	s_mov_b64 s[4:5], -1
                                        ; implicit-def: $sgpr10
	s_and_saveexec_b64 s[8:9], s[12:13]
; %bb.2638:
	s_mov_b32 s10, 0x7f800001
	s_xor_b64 s[4:5], exec, -1
; %bb.2639:
	s_or_b64 exec, exec, s[8:9]
	s_and_b64 s[4:5], s[4:5], exec
	s_or_saveexec_b64 s[6:7], s[6:7]
	v_mov_b32_e32 v14, s10
	s_xor_b64 exec, exec, s[6:7]
	s_cbranch_execz .LBB57_590
.LBB57_2640:
	v_mov_b32_e32 v14, 0
	v_cmp_ne_u16_sdwa s[8:9], v11, v14 src0_sel:BYTE_0 src1_sel:DWORD
	s_andn2_b64 s[4:5], s[4:5], exec
	s_and_b64 s[8:9], s[8:9], exec
	s_or_b64 s[4:5], s[4:5], s[8:9]
	s_or_b64 exec, exec, s[6:7]
	s_and_saveexec_b64 s[6:7], s[4:5]
	s_cbranch_execnz .LBB57_591
	s_branch .LBB57_592
.LBB57_2641:
	s_movk_i32 s4, 0x80
	v_cmp_eq_u16_e32 vcc, s4, v11
	s_mov_b64 s[4:5], -1
                                        ; implicit-def: $sgpr10
	s_and_saveexec_b64 s[8:9], vcc
; %bb.2642:
	s_mov_b32 s10, 0x7f800001
	s_xor_b64 s[4:5], exec, -1
; %bb.2643:
	s_or_b64 exec, exec, s[8:9]
	s_and_b64 s[4:5], s[4:5], exec
                                        ; implicit-def: $vgpr11
	s_or_saveexec_b64 s[6:7], s[6:7]
	v_mov_b32_e32 v10, s10
	s_xor_b64 exec, exec, s[6:7]
	s_cbranch_execz .LBB57_594
.LBB57_2644:
	v_cmp_ne_u16_e32 vcc, 0, v11
	s_andn2_b64 s[4:5], s[4:5], exec
	s_and_b64 s[8:9], vcc, exec
	v_mov_b32_e32 v10, 0
	s_or_b64 s[4:5], s[4:5], s[8:9]
	s_or_b64 exec, exec, s[6:7]
	s_and_saveexec_b64 s[6:7], s[4:5]
	s_cbranch_execnz .LBB57_595
	s_branch .LBB57_596
.LBB57_2645:
	s_movk_i32 s4, 0x80
	v_cmp_eq_u16_e32 vcc, s4, v11
	s_mov_b64 s[4:5], -1
                                        ; implicit-def: $sgpr10
	s_and_saveexec_b64 s[8:9], vcc
; %bb.2646:
	s_mov_b32 s10, 0x7f800001
	s_xor_b64 s[4:5], exec, -1
; %bb.2647:
	s_or_b64 exec, exec, s[8:9]
	s_and_b64 s[4:5], s[4:5], exec
                                        ; implicit-def: $vgpr11
	s_or_saveexec_b64 s[6:7], s[6:7]
	v_mov_b32_e32 v14, s10
	s_xor_b64 exec, exec, s[6:7]
	s_cbranch_execz .LBB57_598
.LBB57_2648:
	v_cmp_ne_u16_e32 vcc, 0, v11
	s_andn2_b64 s[4:5], s[4:5], exec
	s_and_b64 s[8:9], vcc, exec
	v_mov_b32_e32 v14, 0
	s_or_b64 s[4:5], s[4:5], s[8:9]
	s_or_b64 exec, exec, s[6:7]
	s_and_saveexec_b64 s[6:7], s[4:5]
	s_cbranch_execnz .LBB57_599
	s_branch .LBB57_600
.LBB57_2649:
	s_movk_i32 s4, 0x80
	v_cmp_eq_u16_sdwa s[12:13], v16, s4 src0_sel:BYTE_3 src1_sel:DWORD
	s_mov_b64 s[4:5], -1
                                        ; implicit-def: $sgpr10
	s_and_saveexec_b64 s[8:9], s[12:13]
; %bb.2650:
	s_mov_b32 s10, 0x7f800001
	s_xor_b64 s[4:5], exec, -1
; %bb.2651:
	s_or_b64 exec, exec, s[8:9]
	s_and_b64 s[4:5], s[4:5], exec
	s_or_saveexec_b64 s[6:7], s[6:7]
	v_mov_b32_e32 v10, s10
	s_xor_b64 exec, exec, s[6:7]
	s_cbranch_execz .LBB57_602
.LBB57_2652:
	v_mov_b32_e32 v10, 0
	v_cmp_ne_u16_sdwa s[8:9], v16, v10 src0_sel:BYTE_3 src1_sel:DWORD
	s_andn2_b64 s[4:5], s[4:5], exec
	s_and_b64 s[8:9], s[8:9], exec
	s_or_b64 s[4:5], s[4:5], s[8:9]
	s_or_b64 exec, exec, s[6:7]
	s_and_saveexec_b64 s[6:7], s[4:5]
	s_cbranch_execnz .LBB57_603
	s_branch .LBB57_604
.LBB57_2653:
	s_movk_i32 s4, 0x80
	v_cmp_eq_u16_sdwa s[12:13], v12, s4 src0_sel:BYTE_3 src1_sel:DWORD
	s_mov_b64 s[4:5], -1
                                        ; implicit-def: $sgpr10
	s_and_saveexec_b64 s[8:9], s[12:13]
; %bb.2654:
	s_mov_b32 s10, 0x7f800001
	s_xor_b64 s[4:5], exec, -1
; %bb.2655:
	s_or_b64 exec, exec, s[8:9]
	s_and_b64 s[4:5], s[4:5], exec
	s_or_saveexec_b64 s[6:7], s[6:7]
	v_mov_b32_e32 v11, s10
	s_xor_b64 exec, exec, s[6:7]
	s_cbranch_execz .LBB57_606
.LBB57_2656:
	v_mov_b32_e32 v11, 0
	v_cmp_ne_u16_sdwa s[8:9], v12, v11 src0_sel:BYTE_3 src1_sel:DWORD
	s_andn2_b64 s[4:5], s[4:5], exec
	s_and_b64 s[8:9], s[8:9], exec
	s_or_b64 s[4:5], s[4:5], s[8:9]
	s_or_b64 exec, exec, s[6:7]
	s_and_saveexec_b64 s[6:7], s[4:5]
	s_cbranch_execnz .LBB57_607
	s_branch .LBB57_608
.LBB57_2657:
	s_movk_i32 s4, 0x80
	v_cmp_eq_u16_sdwa s[12:13], v17, s4 src0_sel:BYTE_0 src1_sel:DWORD
	s_mov_b64 s[4:5], -1
                                        ; implicit-def: $sgpr10
	s_and_saveexec_b64 s[8:9], s[12:13]
; %bb.2658:
	s_mov_b32 s10, 0x7f800001
	s_xor_b64 s[4:5], exec, -1
; %bb.2659:
	s_or_b64 exec, exec, s[8:9]
	s_and_b64 s[4:5], s[4:5], exec
	s_or_saveexec_b64 s[6:7], s[6:7]
	v_mov_b32_e32 v10, s10
	s_xor_b64 exec, exec, s[6:7]
	s_cbranch_execz .LBB57_610
.LBB57_2660:
	v_mov_b32_e32 v10, 0
	v_cmp_ne_u16_sdwa s[8:9], v17, v10 src0_sel:BYTE_0 src1_sel:DWORD
	s_andn2_b64 s[4:5], s[4:5], exec
	s_and_b64 s[8:9], s[8:9], exec
	s_or_b64 s[4:5], s[4:5], s[8:9]
	s_or_b64 exec, exec, s[6:7]
	s_and_saveexec_b64 s[6:7], s[4:5]
	s_cbranch_execnz .LBB57_611
	s_branch .LBB57_612
.LBB57_2661:
	s_movk_i32 s4, 0x80
	v_cmp_eq_u16_sdwa s[12:13], v13, s4 src0_sel:BYTE_0 src1_sel:DWORD
	s_mov_b64 s[4:5], -1
                                        ; implicit-def: $sgpr10
	s_and_saveexec_b64 s[8:9], s[12:13]
; %bb.2662:
	s_mov_b32 s10, 0x7f800001
	s_xor_b64 s[4:5], exec, -1
; %bb.2663:
	s_or_b64 exec, exec, s[8:9]
	s_and_b64 s[4:5], s[4:5], exec
	s_or_saveexec_b64 s[6:7], s[6:7]
	v_mov_b32_e32 v11, s10
	s_xor_b64 exec, exec, s[6:7]
	s_cbranch_execz .LBB57_614
.LBB57_2664:
	v_mov_b32_e32 v11, 0
	v_cmp_ne_u16_sdwa s[8:9], v13, v11 src0_sel:BYTE_0 src1_sel:DWORD
	s_andn2_b64 s[4:5], s[4:5], exec
	s_and_b64 s[8:9], s[8:9], exec
	s_or_b64 s[4:5], s[4:5], s[8:9]
	s_or_b64 exec, exec, s[6:7]
	s_and_saveexec_b64 s[6:7], s[4:5]
	s_cbranch_execnz .LBB57_615
	s_branch .LBB57_616
.LBB57_2665:
	s_movk_i32 s4, 0x80
	v_cmp_eq_u16_sdwa s[12:13], v11, s4 src0_sel:BYTE_0 src1_sel:DWORD
	s_mov_b64 s[4:5], -1
                                        ; implicit-def: $sgpr10
	s_and_saveexec_b64 s[8:9], s[12:13]
; %bb.2666:
	s_mov_b32 s10, 0x7f800001
	s_xor_b64 s[4:5], exec, -1
; %bb.2667:
	s_or_b64 exec, exec, s[8:9]
	s_and_b64 s[4:5], s[4:5], exec
	s_or_saveexec_b64 s[6:7], s[6:7]
	v_mov_b32_e32 v10, s10
	s_xor_b64 exec, exec, s[6:7]
	s_cbranch_execz .LBB57_618
.LBB57_2668:
	v_mov_b32_e32 v10, 0
	v_cmp_ne_u16_sdwa s[8:9], v11, v10 src0_sel:BYTE_0 src1_sel:DWORD
	s_andn2_b64 s[4:5], s[4:5], exec
	s_and_b64 s[8:9], s[8:9], exec
	s_or_b64 s[4:5], s[4:5], s[8:9]
	s_or_b64 exec, exec, s[6:7]
	s_and_saveexec_b64 s[6:7], s[4:5]
	s_cbranch_execnz .LBB57_619
	s_branch .LBB57_620
.LBB57_2669:
	s_movk_i32 s4, 0x80
	v_cmp_eq_u16_sdwa s[12:13], v11, s4 src0_sel:BYTE_0 src1_sel:DWORD
	s_mov_b64 s[4:5], -1
                                        ; implicit-def: $sgpr10
	s_and_saveexec_b64 s[8:9], s[12:13]
; %bb.2670:
	s_mov_b32 s10, 0x7f800001
	s_xor_b64 s[4:5], exec, -1
; %bb.2671:
	s_or_b64 exec, exec, s[8:9]
	s_and_b64 s[4:5], s[4:5], exec
	s_or_saveexec_b64 s[6:7], s[6:7]
	v_mov_b32_e32 v12, s10
	s_xor_b64 exec, exec, s[6:7]
	s_cbranch_execz .LBB57_622
.LBB57_2672:
	v_mov_b32_e32 v12, 0
	v_cmp_ne_u16_sdwa s[8:9], v11, v12 src0_sel:BYTE_0 src1_sel:DWORD
	s_andn2_b64 s[4:5], s[4:5], exec
	s_and_b64 s[8:9], s[8:9], exec
	s_or_b64 s[4:5], s[4:5], s[8:9]
	s_or_b64 exec, exec, s[6:7]
	s_and_saveexec_b64 s[6:7], s[4:5]
	s_cbranch_execnz .LBB57_623
	s_branch .LBB57_624
.LBB57_2673:
	s_movk_i32 s4, 0x80
	v_cmp_eq_u16_e32 vcc, s4, v11
	s_mov_b64 s[4:5], -1
                                        ; implicit-def: $sgpr10
	s_and_saveexec_b64 s[8:9], vcc
; %bb.2674:
	s_mov_b32 s10, 0x7f800001
	s_xor_b64 s[4:5], exec, -1
; %bb.2675:
	s_or_b64 exec, exec, s[8:9]
	s_and_b64 s[4:5], s[4:5], exec
                                        ; implicit-def: $vgpr11
	s_or_saveexec_b64 s[6:7], s[6:7]
	v_mov_b32_e32 v10, s10
	s_xor_b64 exec, exec, s[6:7]
	s_cbranch_execz .LBB57_626
.LBB57_2676:
	v_cmp_ne_u16_e32 vcc, 0, v11
	s_andn2_b64 s[4:5], s[4:5], exec
	s_and_b64 s[8:9], vcc, exec
	v_mov_b32_e32 v10, 0
	s_or_b64 s[4:5], s[4:5], s[8:9]
	s_or_b64 exec, exec, s[6:7]
	s_and_saveexec_b64 s[6:7], s[4:5]
	s_cbranch_execnz .LBB57_627
	s_branch .LBB57_628
.LBB57_2677:
	s_movk_i32 s4, 0x80
	v_cmp_eq_u16_e32 vcc, s4, v11
	s_mov_b64 s[4:5], -1
                                        ; implicit-def: $sgpr10
	s_and_saveexec_b64 s[8:9], vcc
; %bb.2678:
	s_mov_b32 s10, 0x7f800001
	s_xor_b64 s[4:5], exec, -1
; %bb.2679:
	s_or_b64 exec, exec, s[8:9]
	s_and_b64 s[4:5], s[4:5], exec
                                        ; implicit-def: $vgpr11
	s_or_saveexec_b64 s[6:7], s[6:7]
	v_mov_b32_e32 v12, s10
	s_xor_b64 exec, exec, s[6:7]
	s_cbranch_execz .LBB57_630
.LBB57_2680:
	v_cmp_ne_u16_e32 vcc, 0, v11
	s_andn2_b64 s[4:5], s[4:5], exec
	s_and_b64 s[8:9], vcc, exec
	v_mov_b32_e32 v12, 0
	s_or_b64 s[4:5], s[4:5], s[8:9]
	s_or_b64 exec, exec, s[6:7]
	s_and_saveexec_b64 s[6:7], s[4:5]
	s_cbranch_execnz .LBB57_631
	s_branch .LBB57_632
.LBB57_2681:
	s_movk_i32 s4, 0x80
	v_cmp_eq_u16_sdwa s[12:13], v17, s4 src0_sel:BYTE_3 src1_sel:DWORD
	s_mov_b64 s[4:5], -1
                                        ; implicit-def: $sgpr10
	s_and_saveexec_b64 s[8:9], s[12:13]
; %bb.2682:
	s_mov_b32 s10, 0x7f800001
	s_xor_b64 s[4:5], exec, -1
; %bb.2683:
	s_or_b64 exec, exec, s[8:9]
	s_and_b64 s[4:5], s[4:5], exec
	s_or_saveexec_b64 s[6:7], s[6:7]
	v_mov_b32_e32 v10, s10
	s_xor_b64 exec, exec, s[6:7]
	s_cbranch_execz .LBB57_634
.LBB57_2684:
	v_mov_b32_e32 v10, 0
	v_cmp_ne_u16_sdwa s[8:9], v17, v10 src0_sel:BYTE_3 src1_sel:DWORD
	s_andn2_b64 s[4:5], s[4:5], exec
	s_and_b64 s[8:9], s[8:9], exec
	s_or_b64 s[4:5], s[4:5], s[8:9]
	s_or_b64 exec, exec, s[6:7]
	s_and_saveexec_b64 s[6:7], s[4:5]
	s_cbranch_execnz .LBB57_635
	s_branch .LBB57_636
.LBB57_2685:
	s_movk_i32 s4, 0x80
	v_cmp_eq_u16_sdwa s[12:13], v13, s4 src0_sel:BYTE_3 src1_sel:DWORD
	s_mov_b64 s[4:5], -1
                                        ; implicit-def: $sgpr10
	s_and_saveexec_b64 s[8:9], s[12:13]
; %bb.2686:
	s_mov_b32 s10, 0x7f800001
	s_xor_b64 s[4:5], exec, -1
; %bb.2687:
	s_or_b64 exec, exec, s[8:9]
	s_and_b64 s[4:5], s[4:5], exec
	s_or_saveexec_b64 s[6:7], s[6:7]
	v_mov_b32_e32 v11, s10
	s_xor_b64 exec, exec, s[6:7]
	s_cbranch_execz .LBB57_638
.LBB57_2688:
	v_mov_b32_e32 v11, 0
	v_cmp_ne_u16_sdwa s[8:9], v13, v11 src0_sel:BYTE_3 src1_sel:DWORD
	s_andn2_b64 s[4:5], s[4:5], exec
	s_and_b64 s[8:9], s[8:9], exec
	s_or_b64 s[4:5], s[4:5], s[8:9]
	s_or_b64 exec, exec, s[6:7]
	s_and_saveexec_b64 s[6:7], s[4:5]
	s_cbranch_execnz .LBB57_639
	s_branch .LBB57_640
.LBB57_2689:
	s_movk_i32 s4, 0x80
	v_cmp_eq_u16_sdwa s[12:13], v6, s4 src0_sel:BYTE_0 src1_sel:DWORD
	s_mov_b64 s[4:5], -1
                                        ; implicit-def: $sgpr10
	s_and_saveexec_b64 s[8:9], s[12:13]
; %bb.2690:
	s_mov_b32 s10, 0x7f800001
	s_xor_b64 s[4:5], exec, -1
; %bb.2691:
	s_or_b64 exec, exec, s[8:9]
	s_and_b64 s[4:5], s[4:5], exec
	s_or_saveexec_b64 s[6:7], s[6:7]
	v_mov_b32_e32 v10, s10
	s_xor_b64 exec, exec, s[6:7]
	s_cbranch_execz .LBB57_642
.LBB57_2692:
	v_mov_b32_e32 v10, 0
	v_cmp_ne_u16_sdwa s[8:9], v6, v10 src0_sel:BYTE_0 src1_sel:DWORD
	s_andn2_b64 s[4:5], s[4:5], exec
	s_and_b64 s[8:9], s[8:9], exec
	s_or_b64 s[4:5], s[4:5], s[8:9]
	s_or_b64 exec, exec, s[6:7]
	s_and_saveexec_b64 s[6:7], s[4:5]
	s_cbranch_execnz .LBB57_643
	s_branch .LBB57_644
.LBB57_2693:
	s_movk_i32 s4, 0x80
	v_cmp_eq_u16_sdwa s[12:13], v2, s4 src0_sel:BYTE_0 src1_sel:DWORD
	s_mov_b64 s[4:5], -1
                                        ; implicit-def: $sgpr10
	s_and_saveexec_b64 s[8:9], s[12:13]
; %bb.2694:
	s_mov_b32 s10, 0x7f800001
	s_xor_b64 s[4:5], exec, -1
; %bb.2695:
	s_or_b64 exec, exec, s[8:9]
	s_and_b64 s[4:5], s[4:5], exec
	s_or_saveexec_b64 s[6:7], s[6:7]
	v_mov_b32_e32 v11, s10
	s_xor_b64 exec, exec, s[6:7]
	s_cbranch_execz .LBB57_646
.LBB57_2696:
	v_mov_b32_e32 v11, 0
	v_cmp_ne_u16_sdwa s[8:9], v2, v11 src0_sel:BYTE_0 src1_sel:DWORD
	s_andn2_b64 s[4:5], s[4:5], exec
	s_and_b64 s[8:9], s[8:9], exec
	s_or_b64 s[4:5], s[4:5], s[8:9]
	s_or_b64 exec, exec, s[6:7]
	s_and_saveexec_b64 s[6:7], s[4:5]
	s_cbranch_execnz .LBB57_647
	s_branch .LBB57_648
.LBB57_2697:
	s_movk_i32 s4, 0x80
	v_cmp_eq_u16_sdwa s[12:13], v11, s4 src0_sel:BYTE_0 src1_sel:DWORD
	s_mov_b64 s[4:5], -1
                                        ; implicit-def: $sgpr10
	s_and_saveexec_b64 s[8:9], s[12:13]
; %bb.2698:
	s_mov_b32 s10, 0x7f800001
	s_xor_b64 s[4:5], exec, -1
; %bb.2699:
	s_or_b64 exec, exec, s[8:9]
	s_and_b64 s[4:5], s[4:5], exec
	s_or_saveexec_b64 s[6:7], s[6:7]
	v_mov_b32_e32 v10, s10
	s_xor_b64 exec, exec, s[6:7]
	s_cbranch_execz .LBB57_650
.LBB57_2700:
	v_mov_b32_e32 v10, 0
	v_cmp_ne_u16_sdwa s[8:9], v11, v10 src0_sel:BYTE_0 src1_sel:DWORD
	s_andn2_b64 s[4:5], s[4:5], exec
	s_and_b64 s[8:9], s[8:9], exec
	s_or_b64 s[4:5], s[4:5], s[8:9]
	s_or_b64 exec, exec, s[6:7]
	s_and_saveexec_b64 s[6:7], s[4:5]
	s_cbranch_execnz .LBB57_651
	s_branch .LBB57_652
.LBB57_2701:
	s_movk_i32 s4, 0x80
	v_cmp_eq_u16_sdwa s[12:13], v11, s4 src0_sel:BYTE_0 src1_sel:DWORD
	s_mov_b64 s[4:5], -1
                                        ; implicit-def: $sgpr10
	s_and_saveexec_b64 s[8:9], s[12:13]
; %bb.2702:
	s_mov_b32 s10, 0x7f800001
	s_xor_b64 s[4:5], exec, -1
; %bb.2703:
	s_or_b64 exec, exec, s[8:9]
	s_and_b64 s[4:5], s[4:5], exec
	s_or_saveexec_b64 s[6:7], s[6:7]
	v_mov_b32_e32 v12, s10
	s_xor_b64 exec, exec, s[6:7]
	s_cbranch_execz .LBB57_654
.LBB57_2704:
	v_mov_b32_e32 v12, 0
	v_cmp_ne_u16_sdwa s[8:9], v11, v12 src0_sel:BYTE_0 src1_sel:DWORD
	s_andn2_b64 s[4:5], s[4:5], exec
	s_and_b64 s[8:9], s[8:9], exec
	s_or_b64 s[4:5], s[4:5], s[8:9]
	s_or_b64 exec, exec, s[6:7]
	s_and_saveexec_b64 s[6:7], s[4:5]
	s_cbranch_execnz .LBB57_655
	s_branch .LBB57_656
.LBB57_2705:
	s_movk_i32 s4, 0x80
	v_cmp_eq_u16_e32 vcc, s4, v11
	s_mov_b64 s[4:5], -1
                                        ; implicit-def: $sgpr10
	s_and_saveexec_b64 s[8:9], vcc
; %bb.2706:
	s_mov_b32 s10, 0x7f800001
	s_xor_b64 s[4:5], exec, -1
; %bb.2707:
	s_or_b64 exec, exec, s[8:9]
	s_and_b64 s[4:5], s[4:5], exec
                                        ; implicit-def: $vgpr11
	s_or_saveexec_b64 s[6:7], s[6:7]
	v_mov_b32_e32 v10, s10
	s_xor_b64 exec, exec, s[6:7]
	s_cbranch_execz .LBB57_658
.LBB57_2708:
	v_cmp_ne_u16_e32 vcc, 0, v11
	s_andn2_b64 s[4:5], s[4:5], exec
	s_and_b64 s[8:9], vcc, exec
	v_mov_b32_e32 v10, 0
	s_or_b64 s[4:5], s[4:5], s[8:9]
	s_or_b64 exec, exec, s[6:7]
	s_and_saveexec_b64 s[6:7], s[4:5]
	s_cbranch_execnz .LBB57_659
	s_branch .LBB57_660
.LBB57_2709:
	s_movk_i32 s4, 0x80
	v_cmp_eq_u16_e32 vcc, s4, v11
	s_mov_b64 s[4:5], -1
                                        ; implicit-def: $sgpr10
	s_and_saveexec_b64 s[8:9], vcc
; %bb.2710:
	s_mov_b32 s10, 0x7f800001
	s_xor_b64 s[4:5], exec, -1
; %bb.2711:
	s_or_b64 exec, exec, s[8:9]
	s_and_b64 s[4:5], s[4:5], exec
                                        ; implicit-def: $vgpr11
	s_or_saveexec_b64 s[6:7], s[6:7]
	v_mov_b32_e32 v12, s10
	s_xor_b64 exec, exec, s[6:7]
	s_cbranch_execz .LBB57_662
.LBB57_2712:
	v_cmp_ne_u16_e32 vcc, 0, v11
	s_andn2_b64 s[4:5], s[4:5], exec
	s_and_b64 s[8:9], vcc, exec
	v_mov_b32_e32 v12, 0
	s_or_b64 s[4:5], s[4:5], s[8:9]
	s_or_b64 exec, exec, s[6:7]
	s_and_saveexec_b64 s[6:7], s[4:5]
	s_cbranch_execnz .LBB57_663
	s_branch .LBB57_664
.LBB57_2713:
	s_movk_i32 s4, 0x80
	v_cmp_eq_u16_sdwa s[12:13], v6, s4 src0_sel:BYTE_3 src1_sel:DWORD
	s_mov_b64 s[4:5], -1
                                        ; implicit-def: $sgpr10
	s_and_saveexec_b64 s[8:9], s[12:13]
; %bb.2714:
	s_mov_b32 s10, 0x7f800001
	s_xor_b64 s[4:5], exec, -1
; %bb.2715:
	s_or_b64 exec, exec, s[8:9]
	s_and_b64 s[4:5], s[4:5], exec
	s_or_saveexec_b64 s[6:7], s[6:7]
	v_mov_b32_e32 v10, s10
	s_xor_b64 exec, exec, s[6:7]
	s_cbranch_execz .LBB57_666
.LBB57_2716:
	v_mov_b32_e32 v10, 0
	v_cmp_ne_u16_sdwa s[8:9], v6, v10 src0_sel:BYTE_3 src1_sel:DWORD
	s_andn2_b64 s[4:5], s[4:5], exec
	s_and_b64 s[8:9], s[8:9], exec
	s_or_b64 s[4:5], s[4:5], s[8:9]
	s_or_b64 exec, exec, s[6:7]
	s_and_saveexec_b64 s[6:7], s[4:5]
	s_cbranch_execnz .LBB57_667
	s_branch .LBB57_668
.LBB57_2717:
	s_movk_i32 s4, 0x80
	v_cmp_eq_u16_sdwa s[12:13], v2, s4 src0_sel:BYTE_3 src1_sel:DWORD
	s_mov_b64 s[4:5], -1
                                        ; implicit-def: $sgpr10
	s_and_saveexec_b64 s[8:9], s[12:13]
; %bb.2718:
	s_mov_b32 s10, 0x7f800001
	s_xor_b64 s[4:5], exec, -1
; %bb.2719:
	s_or_b64 exec, exec, s[8:9]
	s_and_b64 s[4:5], s[4:5], exec
	s_or_saveexec_b64 s[6:7], s[6:7]
	v_mov_b32_e32 v6, s10
	s_xor_b64 exec, exec, s[6:7]
	s_cbranch_execz .LBB57_670
.LBB57_2720:
	v_mov_b32_e32 v6, 0
	v_cmp_ne_u16_sdwa s[8:9], v2, v6 src0_sel:BYTE_3 src1_sel:DWORD
	s_andn2_b64 s[4:5], s[4:5], exec
	s_and_b64 s[8:9], s[8:9], exec
	s_or_b64 s[4:5], s[4:5], s[8:9]
	s_or_b64 exec, exec, s[6:7]
	s_and_saveexec_b64 s[6:7], s[4:5]
	s_cbranch_execnz .LBB57_671
	s_branch .LBB57_672
.LBB57_2721:
	s_movk_i32 s4, 0x80
	v_cmp_eq_u16_sdwa s[12:13], v7, s4 src0_sel:BYTE_0 src1_sel:DWORD
	s_mov_b64 s[4:5], -1
                                        ; implicit-def: $sgpr10
	s_and_saveexec_b64 s[8:9], s[12:13]
; %bb.2722:
	s_mov_b32 s10, 0x7f800001
	s_xor_b64 s[4:5], exec, -1
; %bb.2723:
	s_or_b64 exec, exec, s[8:9]
	s_and_b64 s[4:5], s[4:5], exec
	s_or_saveexec_b64 s[6:7], s[6:7]
	v_mov_b32_e32 v2, s10
	s_xor_b64 exec, exec, s[6:7]
	s_cbranch_execz .LBB57_674
.LBB57_2724:
	v_mov_b32_e32 v2, 0
	v_cmp_ne_u16_sdwa s[8:9], v7, v2 src0_sel:BYTE_0 src1_sel:DWORD
	s_andn2_b64 s[4:5], s[4:5], exec
	s_and_b64 s[8:9], s[8:9], exec
	s_or_b64 s[4:5], s[4:5], s[8:9]
	s_or_b64 exec, exec, s[6:7]
	s_and_saveexec_b64 s[6:7], s[4:5]
	s_cbranch_execnz .LBB57_675
	s_branch .LBB57_676
.LBB57_2725:
	s_movk_i32 s4, 0x80
	v_cmp_eq_u16_sdwa s[12:13], v3, s4 src0_sel:BYTE_0 src1_sel:DWORD
	s_mov_b64 s[4:5], -1
                                        ; implicit-def: $sgpr10
	s_and_saveexec_b64 s[8:9], s[12:13]
; %bb.2726:
	s_mov_b32 s10, 0x7f800001
	s_xor_b64 s[4:5], exec, -1
; %bb.2727:
	s_or_b64 exec, exec, s[8:9]
	s_and_b64 s[4:5], s[4:5], exec
	s_or_saveexec_b64 s[6:7], s[6:7]
	v_mov_b32_e32 v6, s10
	s_xor_b64 exec, exec, s[6:7]
	s_cbranch_execz .LBB57_678
.LBB57_2728:
	v_mov_b32_e32 v6, 0
	v_cmp_ne_u16_sdwa s[8:9], v3, v6 src0_sel:BYTE_0 src1_sel:DWORD
	s_andn2_b64 s[4:5], s[4:5], exec
	s_and_b64 s[8:9], s[8:9], exec
	s_or_b64 s[4:5], s[4:5], s[8:9]
	s_or_b64 exec, exec, s[6:7]
	s_and_saveexec_b64 s[6:7], s[4:5]
	s_cbranch_execnz .LBB57_679
	s_branch .LBB57_680
.LBB57_2729:
	s_movk_i32 s4, 0x80
	v_cmp_eq_u16_sdwa s[12:13], v6, s4 src0_sel:BYTE_0 src1_sel:DWORD
	s_mov_b64 s[4:5], -1
                                        ; implicit-def: $sgpr10
	s_and_saveexec_b64 s[8:9], s[12:13]
; %bb.2730:
	s_mov_b32 s10, 0x7f800001
	s_xor_b64 s[4:5], exec, -1
; %bb.2731:
	s_or_b64 exec, exec, s[8:9]
	s_and_b64 s[4:5], s[4:5], exec
	s_or_saveexec_b64 s[6:7], s[6:7]
	v_mov_b32_e32 v2, s10
	s_xor_b64 exec, exec, s[6:7]
	s_cbranch_execz .LBB57_682
.LBB57_2732:
	v_mov_b32_e32 v2, 0
	v_cmp_ne_u16_sdwa s[8:9], v6, v2 src0_sel:BYTE_0 src1_sel:DWORD
	s_andn2_b64 s[4:5], s[4:5], exec
	s_and_b64 s[8:9], s[8:9], exec
	s_or_b64 s[4:5], s[4:5], s[8:9]
	s_or_b64 exec, exec, s[6:7]
	s_and_saveexec_b64 s[6:7], s[4:5]
	s_cbranch_execnz .LBB57_683
	s_branch .LBB57_684
.LBB57_2733:
	s_movk_i32 s4, 0x80
	v_cmp_eq_u16_sdwa s[12:13], v6, s4 src0_sel:BYTE_0 src1_sel:DWORD
	s_mov_b64 s[4:5], -1
                                        ; implicit-def: $sgpr10
	s_and_saveexec_b64 s[8:9], s[12:13]
; %bb.2734:
	s_mov_b32 s10, 0x7f800001
	s_xor_b64 s[4:5], exec, -1
; %bb.2735:
	s_or_b64 exec, exec, s[8:9]
	s_and_b64 s[4:5], s[4:5], exec
	s_or_saveexec_b64 s[6:7], s[6:7]
	v_mov_b32_e32 v10, s10
	s_xor_b64 exec, exec, s[6:7]
	s_cbranch_execz .LBB57_686
.LBB57_2736:
	v_mov_b32_e32 v10, 0
	v_cmp_ne_u16_sdwa s[8:9], v6, v10 src0_sel:BYTE_0 src1_sel:DWORD
	s_andn2_b64 s[4:5], s[4:5], exec
	s_and_b64 s[8:9], s[8:9], exec
	s_or_b64 s[4:5], s[4:5], s[8:9]
	s_or_b64 exec, exec, s[6:7]
	s_and_saveexec_b64 s[6:7], s[4:5]
	s_cbranch_execnz .LBB57_687
	s_branch .LBB57_688
.LBB57_2737:
	s_movk_i32 s4, 0x80
	v_cmp_eq_u16_e32 vcc, s4, v6
	s_mov_b64 s[4:5], -1
                                        ; implicit-def: $sgpr10
	s_and_saveexec_b64 s[8:9], vcc
; %bb.2738:
	s_mov_b32 s10, 0x7f800001
	s_xor_b64 s[4:5], exec, -1
; %bb.2739:
	s_or_b64 exec, exec, s[8:9]
	s_and_b64 s[4:5], s[4:5], exec
                                        ; implicit-def: $vgpr6
	s_or_saveexec_b64 s[6:7], s[6:7]
	v_mov_b32_e32 v2, s10
	s_xor_b64 exec, exec, s[6:7]
	s_cbranch_execz .LBB57_690
.LBB57_2740:
	v_cmp_ne_u16_e32 vcc, 0, v6
	s_andn2_b64 s[4:5], s[4:5], exec
	s_and_b64 s[8:9], vcc, exec
	v_mov_b32_e32 v2, 0
	s_or_b64 s[4:5], s[4:5], s[8:9]
	s_or_b64 exec, exec, s[6:7]
	s_and_saveexec_b64 s[6:7], s[4:5]
	s_cbranch_execnz .LBB57_691
	s_branch .LBB57_692
.LBB57_2741:
	s_movk_i32 s4, 0x80
	v_cmp_eq_u16_e32 vcc, s4, v6
	s_mov_b64 s[4:5], -1
                                        ; implicit-def: $sgpr10
	s_and_saveexec_b64 s[8:9], vcc
; %bb.2742:
	s_mov_b32 s10, 0x7f800001
	s_xor_b64 s[4:5], exec, -1
; %bb.2743:
	s_or_b64 exec, exec, s[8:9]
	s_and_b64 s[4:5], s[4:5], exec
                                        ; implicit-def: $vgpr6
	s_or_saveexec_b64 s[6:7], s[6:7]
	v_mov_b32_e32 v10, s10
	s_xor_b64 exec, exec, s[6:7]
	s_cbranch_execz .LBB57_694
.LBB57_2744:
	v_cmp_ne_u16_e32 vcc, 0, v6
	s_andn2_b64 s[4:5], s[4:5], exec
	s_and_b64 s[8:9], vcc, exec
	v_mov_b32_e32 v10, 0
	s_or_b64 s[4:5], s[4:5], s[8:9]
	s_or_b64 exec, exec, s[6:7]
	s_and_saveexec_b64 s[6:7], s[4:5]
	s_cbranch_execnz .LBB57_695
	s_branch .LBB57_696
.LBB57_2745:
	s_movk_i32 s4, 0x80
	v_cmp_eq_u16_sdwa s[12:13], v7, s4 src0_sel:BYTE_3 src1_sel:DWORD
	s_mov_b64 s[4:5], -1
                                        ; implicit-def: $sgpr10
	s_and_saveexec_b64 s[8:9], s[12:13]
; %bb.2746:
	s_mov_b32 s10, 0x7f800001
	s_xor_b64 s[4:5], exec, -1
; %bb.2747:
	s_or_b64 exec, exec, s[8:9]
	s_and_b64 s[4:5], s[4:5], exec
	s_or_saveexec_b64 s[6:7], s[6:7]
	v_mov_b32_e32 v2, s10
	s_xor_b64 exec, exec, s[6:7]
	s_cbranch_execz .LBB57_698
.LBB57_2748:
	v_mov_b32_e32 v2, 0
	v_cmp_ne_u16_sdwa s[8:9], v7, v2 src0_sel:BYTE_3 src1_sel:DWORD
	s_andn2_b64 s[4:5], s[4:5], exec
	s_and_b64 s[8:9], s[8:9], exec
	s_or_b64 s[4:5], s[4:5], s[8:9]
	s_or_b64 exec, exec, s[6:7]
	s_and_saveexec_b64 s[6:7], s[4:5]
	s_cbranch_execnz .LBB57_699
	s_branch .LBB57_700
.LBB57_2749:
	s_movk_i32 s4, 0x80
	v_cmp_eq_u16_sdwa s[12:13], v3, s4 src0_sel:BYTE_3 src1_sel:DWORD
	s_mov_b64 s[4:5], -1
                                        ; implicit-def: $sgpr10
	s_and_saveexec_b64 s[8:9], s[12:13]
; %bb.2750:
	s_mov_b32 s10, 0x7f800001
	s_xor_b64 s[4:5], exec, -1
; %bb.2751:
	s_or_b64 exec, exec, s[8:9]
	s_and_b64 s[4:5], s[4:5], exec
	s_or_saveexec_b64 s[6:7], s[6:7]
	v_mov_b32_e32 v6, s10
	s_xor_b64 exec, exec, s[6:7]
	s_cbranch_execz .LBB57_702
.LBB57_2752:
	v_mov_b32_e32 v6, 0
	v_cmp_ne_u16_sdwa s[8:9], v3, v6 src0_sel:BYTE_3 src1_sel:DWORD
	s_andn2_b64 s[4:5], s[4:5], exec
	s_and_b64 s[8:9], s[8:9], exec
	s_or_b64 s[4:5], s[4:5], s[8:9]
	s_or_b64 exec, exec, s[6:7]
	s_and_saveexec_b64 s[6:7], s[4:5]
	s_cbranch_execnz .LBB57_703
	s_branch .LBB57_704
.LBB57_2753:
	s_movk_i32 s4, 0x80
	v_cmp_eq_u16_sdwa s[12:13], v8, s4 src0_sel:BYTE_0 src1_sel:DWORD
	s_mov_b64 s[4:5], -1
                                        ; implicit-def: $sgpr10
	s_and_saveexec_b64 s[8:9], s[12:13]
; %bb.2754:
	s_mov_b32 s10, 0x7f800001
	s_xor_b64 s[4:5], exec, -1
; %bb.2755:
	s_or_b64 exec, exec, s[8:9]
	s_and_b64 s[4:5], s[4:5], exec
	s_or_saveexec_b64 s[6:7], s[6:7]
	v_mov_b32_e32 v2, s10
	s_xor_b64 exec, exec, s[6:7]
	s_cbranch_execz .LBB57_706
.LBB57_2756:
	v_mov_b32_e32 v2, 0
	v_cmp_ne_u16_sdwa s[8:9], v8, v2 src0_sel:BYTE_0 src1_sel:DWORD
	s_andn2_b64 s[4:5], s[4:5], exec
	s_and_b64 s[8:9], s[8:9], exec
	s_or_b64 s[4:5], s[4:5], s[8:9]
	s_or_b64 exec, exec, s[6:7]
	s_and_saveexec_b64 s[6:7], s[4:5]
	s_cbranch_execnz .LBB57_707
	s_branch .LBB57_708
.LBB57_2757:
	s_movk_i32 s4, 0x80
	v_cmp_eq_u16_sdwa s[12:13], v4, s4 src0_sel:BYTE_0 src1_sel:DWORD
	s_mov_b64 s[4:5], -1
                                        ; implicit-def: $sgpr10
	s_and_saveexec_b64 s[8:9], s[12:13]
; %bb.2758:
	s_mov_b32 s10, 0x7f800001
	s_xor_b64 s[4:5], exec, -1
; %bb.2759:
	s_or_b64 exec, exec, s[8:9]
	s_and_b64 s[4:5], s[4:5], exec
	s_or_saveexec_b64 s[6:7], s[6:7]
	v_mov_b32_e32 v3, s10
	s_xor_b64 exec, exec, s[6:7]
	s_cbranch_execz .LBB57_710
.LBB57_2760:
	v_mov_b32_e32 v3, 0
	v_cmp_ne_u16_sdwa s[8:9], v4, v3 src0_sel:BYTE_0 src1_sel:DWORD
	s_andn2_b64 s[4:5], s[4:5], exec
	s_and_b64 s[8:9], s[8:9], exec
	s_or_b64 s[4:5], s[4:5], s[8:9]
	s_or_b64 exec, exec, s[6:7]
	s_and_saveexec_b64 s[6:7], s[4:5]
	s_cbranch_execnz .LBB57_711
	s_branch .LBB57_712
.LBB57_2761:
	s_movk_i32 s4, 0x80
	v_cmp_eq_u16_sdwa s[12:13], v3, s4 src0_sel:BYTE_0 src1_sel:DWORD
	s_mov_b64 s[4:5], -1
                                        ; implicit-def: $sgpr10
	s_and_saveexec_b64 s[8:9], s[12:13]
; %bb.2762:
	s_mov_b32 s10, 0x7f800001
	s_xor_b64 s[4:5], exec, -1
; %bb.2763:
	s_or_b64 exec, exec, s[8:9]
	s_and_b64 s[4:5], s[4:5], exec
	s_or_saveexec_b64 s[6:7], s[6:7]
	v_mov_b32_e32 v2, s10
	s_xor_b64 exec, exec, s[6:7]
	s_cbranch_execz .LBB57_714
.LBB57_2764:
	v_mov_b32_e32 v2, 0
	v_cmp_ne_u16_sdwa s[8:9], v3, v2 src0_sel:BYTE_0 src1_sel:DWORD
	s_andn2_b64 s[4:5], s[4:5], exec
	s_and_b64 s[8:9], s[8:9], exec
	s_or_b64 s[4:5], s[4:5], s[8:9]
	s_or_b64 exec, exec, s[6:7]
	s_and_saveexec_b64 s[6:7], s[4:5]
	s_cbranch_execnz .LBB57_715
	s_branch .LBB57_716
.LBB57_2765:
	s_movk_i32 s4, 0x80
	v_cmp_eq_u16_sdwa s[12:13], v3, s4 src0_sel:BYTE_0 src1_sel:DWORD
	s_mov_b64 s[4:5], -1
                                        ; implicit-def: $sgpr10
	s_and_saveexec_b64 s[8:9], s[12:13]
; %bb.2766:
	s_mov_b32 s10, 0x7f800001
	s_xor_b64 s[4:5], exec, -1
; %bb.2767:
	s_or_b64 exec, exec, s[8:9]
	s_and_b64 s[4:5], s[4:5], exec
	s_or_saveexec_b64 s[6:7], s[6:7]
	v_mov_b32_e32 v6, s10
	s_xor_b64 exec, exec, s[6:7]
	s_cbranch_execz .LBB57_718
.LBB57_2768:
	v_mov_b32_e32 v6, 0
	v_cmp_ne_u16_sdwa s[8:9], v3, v6 src0_sel:BYTE_0 src1_sel:DWORD
	s_andn2_b64 s[4:5], s[4:5], exec
	s_and_b64 s[8:9], s[8:9], exec
	s_or_b64 s[4:5], s[4:5], s[8:9]
	s_or_b64 exec, exec, s[6:7]
	s_and_saveexec_b64 s[6:7], s[4:5]
	s_cbranch_execnz .LBB57_719
	s_branch .LBB57_720
.LBB57_2769:
	s_movk_i32 s4, 0x80
	v_cmp_eq_u16_e32 vcc, s4, v3
	s_mov_b64 s[4:5], -1
                                        ; implicit-def: $sgpr10
	s_and_saveexec_b64 s[8:9], vcc
; %bb.2770:
	s_mov_b32 s10, 0x7f800001
	s_xor_b64 s[4:5], exec, -1
; %bb.2771:
	s_or_b64 exec, exec, s[8:9]
	s_and_b64 s[4:5], s[4:5], exec
                                        ; implicit-def: $vgpr3
	s_or_saveexec_b64 s[6:7], s[6:7]
	v_mov_b32_e32 v2, s10
	s_xor_b64 exec, exec, s[6:7]
	s_cbranch_execz .LBB57_722
.LBB57_2772:
	v_cmp_ne_u16_e32 vcc, 0, v3
	s_andn2_b64 s[4:5], s[4:5], exec
	s_and_b64 s[8:9], vcc, exec
	v_mov_b32_e32 v2, 0
	s_or_b64 s[4:5], s[4:5], s[8:9]
	s_or_b64 exec, exec, s[6:7]
	s_and_saveexec_b64 s[6:7], s[4:5]
	s_cbranch_execnz .LBB57_723
	s_branch .LBB57_724
.LBB57_2773:
	s_movk_i32 s4, 0x80
	v_cmp_eq_u16_e32 vcc, s4, v3
	s_mov_b64 s[4:5], -1
                                        ; implicit-def: $sgpr10
	s_and_saveexec_b64 s[8:9], vcc
; %bb.2774:
	s_mov_b32 s10, 0x7f800001
	s_xor_b64 s[4:5], exec, -1
; %bb.2775:
	s_or_b64 exec, exec, s[8:9]
	s_and_b64 s[4:5], s[4:5], exec
                                        ; implicit-def: $vgpr3
	s_or_saveexec_b64 s[6:7], s[6:7]
	v_mov_b32_e32 v6, s10
	s_xor_b64 exec, exec, s[6:7]
	s_cbranch_execz .LBB57_726
.LBB57_2776:
	v_cmp_ne_u16_e32 vcc, 0, v3
	s_andn2_b64 s[4:5], s[4:5], exec
	s_and_b64 s[8:9], vcc, exec
	v_mov_b32_e32 v6, 0
	s_or_b64 s[4:5], s[4:5], s[8:9]
	s_or_b64 exec, exec, s[6:7]
	s_and_saveexec_b64 s[6:7], s[4:5]
	s_cbranch_execnz .LBB57_727
	s_branch .LBB57_728
.LBB57_2777:
	s_movk_i32 s4, 0x80
	v_cmp_eq_u16_sdwa s[12:13], v8, s4 src0_sel:BYTE_3 src1_sel:DWORD
	s_mov_b64 s[4:5], -1
                                        ; implicit-def: $sgpr10
	s_and_saveexec_b64 s[8:9], s[12:13]
; %bb.2778:
	s_mov_b32 s10, 0x7f800001
	s_xor_b64 s[4:5], exec, -1
; %bb.2779:
	s_or_b64 exec, exec, s[8:9]
	s_and_b64 s[4:5], s[4:5], exec
	s_or_saveexec_b64 s[6:7], s[6:7]
	v_mov_b32_e32 v2, s10
	s_xor_b64 exec, exec, s[6:7]
	s_cbranch_execz .LBB57_730
.LBB57_2780:
	v_mov_b32_e32 v2, 0
	v_cmp_ne_u16_sdwa s[8:9], v8, v2 src0_sel:BYTE_3 src1_sel:DWORD
	s_andn2_b64 s[4:5], s[4:5], exec
	s_and_b64 s[8:9], s[8:9], exec
	s_or_b64 s[4:5], s[4:5], s[8:9]
	s_or_b64 exec, exec, s[6:7]
	s_and_saveexec_b64 s[6:7], s[4:5]
	s_cbranch_execnz .LBB57_731
	s_branch .LBB57_732
.LBB57_2781:
	s_movk_i32 s4, 0x80
	v_cmp_eq_u16_sdwa s[12:13], v4, s4 src0_sel:BYTE_3 src1_sel:DWORD
	s_mov_b64 s[4:5], -1
                                        ; implicit-def: $sgpr10
	s_and_saveexec_b64 s[8:9], s[12:13]
; %bb.2782:
	s_mov_b32 s10, 0x7f800001
	s_xor_b64 s[4:5], exec, -1
; %bb.2783:
	s_or_b64 exec, exec, s[8:9]
	s_and_b64 s[4:5], s[4:5], exec
	s_or_saveexec_b64 s[6:7], s[6:7]
	v_mov_b32_e32 v3, s10
	s_xor_b64 exec, exec, s[6:7]
	s_cbranch_execz .LBB57_734
.LBB57_2784:
	v_mov_b32_e32 v3, 0
	v_cmp_ne_u16_sdwa s[8:9], v4, v3 src0_sel:BYTE_3 src1_sel:DWORD
	s_andn2_b64 s[4:5], s[4:5], exec
	s_and_b64 s[8:9], s[8:9], exec
	s_or_b64 s[4:5], s[4:5], s[8:9]
	s_or_b64 exec, exec, s[6:7]
	s_and_saveexec_b64 s[6:7], s[4:5]
	s_cbranch_execnz .LBB57_735
	s_branch .LBB57_736
.LBB57_2785:
	s_movk_i32 s4, 0x80
	v_cmp_eq_u16_sdwa s[12:13], v9, s4 src0_sel:BYTE_0 src1_sel:DWORD
	s_mov_b64 s[4:5], -1
                                        ; implicit-def: $sgpr10
	s_and_saveexec_b64 s[8:9], s[12:13]
; %bb.2786:
	s_mov_b32 s10, 0x7f800001
	s_xor_b64 s[4:5], exec, -1
; %bb.2787:
	s_or_b64 exec, exec, s[8:9]
	s_and_b64 s[4:5], s[4:5], exec
	s_or_saveexec_b64 s[6:7], s[6:7]
	v_mov_b32_e32 v2, s10
	s_xor_b64 exec, exec, s[6:7]
	s_cbranch_execz .LBB57_738
.LBB57_2788:
	v_mov_b32_e32 v2, 0
	v_cmp_ne_u16_sdwa s[8:9], v9, v2 src0_sel:BYTE_0 src1_sel:DWORD
	s_andn2_b64 s[4:5], s[4:5], exec
	s_and_b64 s[8:9], s[8:9], exec
	s_or_b64 s[4:5], s[4:5], s[8:9]
	s_or_b64 exec, exec, s[6:7]
	s_and_saveexec_b64 s[6:7], s[4:5]
	s_cbranch_execnz .LBB57_739
	s_branch .LBB57_740
.LBB57_2789:
	s_movk_i32 s4, 0x80
	v_cmp_eq_u16_sdwa s[12:13], v5, s4 src0_sel:BYTE_0 src1_sel:DWORD
	s_mov_b64 s[4:5], -1
                                        ; implicit-def: $sgpr10
	s_and_saveexec_b64 s[8:9], s[12:13]
; %bb.2790:
	s_mov_b32 s10, 0x7f800001
	s_xor_b64 s[4:5], exec, -1
; %bb.2791:
	s_or_b64 exec, exec, s[8:9]
	s_and_b64 s[4:5], s[4:5], exec
	s_or_saveexec_b64 s[6:7], s[6:7]
	v_mov_b32_e32 v3, s10
	s_xor_b64 exec, exec, s[6:7]
	s_cbranch_execz .LBB57_742
.LBB57_2792:
	v_mov_b32_e32 v3, 0
	v_cmp_ne_u16_sdwa s[8:9], v5, v3 src0_sel:BYTE_0 src1_sel:DWORD
	s_andn2_b64 s[4:5], s[4:5], exec
	s_and_b64 s[8:9], s[8:9], exec
	s_or_b64 s[4:5], s[4:5], s[8:9]
	s_or_b64 exec, exec, s[6:7]
	s_and_saveexec_b64 s[6:7], s[4:5]
	s_cbranch_execnz .LBB57_743
	s_branch .LBB57_744
.LBB57_2793:
	s_movk_i32 s4, 0x80
	v_cmp_eq_u16_sdwa s[12:13], v3, s4 src0_sel:BYTE_0 src1_sel:DWORD
	s_mov_b64 s[4:5], -1
                                        ; implicit-def: $sgpr10
	s_and_saveexec_b64 s[8:9], s[12:13]
; %bb.2794:
	s_mov_b32 s10, 0x7f800001
	s_xor_b64 s[4:5], exec, -1
; %bb.2795:
	s_or_b64 exec, exec, s[8:9]
	s_and_b64 s[4:5], s[4:5], exec
	s_or_saveexec_b64 s[6:7], s[6:7]
	v_mov_b32_e32 v2, s10
	s_xor_b64 exec, exec, s[6:7]
	s_cbranch_execz .LBB57_746
.LBB57_2796:
	v_mov_b32_e32 v2, 0
	v_cmp_ne_u16_sdwa s[8:9], v3, v2 src0_sel:BYTE_0 src1_sel:DWORD
	s_andn2_b64 s[4:5], s[4:5], exec
	s_and_b64 s[8:9], s[8:9], exec
	s_or_b64 s[4:5], s[4:5], s[8:9]
	s_or_b64 exec, exec, s[6:7]
	s_and_saveexec_b64 s[6:7], s[4:5]
	s_cbranch_execnz .LBB57_747
	s_branch .LBB57_748
.LBB57_2797:
	s_movk_i32 s4, 0x80
	v_cmp_eq_u16_sdwa s[12:13], v3, s4 src0_sel:BYTE_0 src1_sel:DWORD
	s_mov_b64 s[4:5], -1
                                        ; implicit-def: $sgpr10
	s_and_saveexec_b64 s[8:9], s[12:13]
; %bb.2798:
	s_mov_b32 s10, 0x7f800001
	s_xor_b64 s[4:5], exec, -1
; %bb.2799:
	s_or_b64 exec, exec, s[8:9]
	s_and_b64 s[4:5], s[4:5], exec
	s_or_saveexec_b64 s[6:7], s[6:7]
	v_mov_b32_e32 v4, s10
	s_xor_b64 exec, exec, s[6:7]
	s_cbranch_execz .LBB57_750
.LBB57_2800:
	v_mov_b32_e32 v4, 0
	v_cmp_ne_u16_sdwa s[8:9], v3, v4 src0_sel:BYTE_0 src1_sel:DWORD
	s_andn2_b64 s[4:5], s[4:5], exec
	s_and_b64 s[8:9], s[8:9], exec
	s_or_b64 s[4:5], s[4:5], s[8:9]
	s_or_b64 exec, exec, s[6:7]
	s_and_saveexec_b64 s[6:7], s[4:5]
	s_cbranch_execnz .LBB57_751
	s_branch .LBB57_752
.LBB57_2801:
	s_movk_i32 s4, 0x80
	v_cmp_eq_u16_e32 vcc, s4, v3
	s_mov_b64 s[4:5], -1
                                        ; implicit-def: $sgpr10
	s_and_saveexec_b64 s[8:9], vcc
; %bb.2802:
	s_mov_b32 s10, 0x7f800001
	s_xor_b64 s[4:5], exec, -1
; %bb.2803:
	s_or_b64 exec, exec, s[8:9]
	s_and_b64 s[4:5], s[4:5], exec
                                        ; implicit-def: $vgpr3
	s_or_saveexec_b64 s[6:7], s[6:7]
	v_mov_b32_e32 v2, s10
	s_xor_b64 exec, exec, s[6:7]
	s_cbranch_execz .LBB57_754
.LBB57_2804:
	v_cmp_ne_u16_e32 vcc, 0, v3
	s_andn2_b64 s[4:5], s[4:5], exec
	s_and_b64 s[8:9], vcc, exec
	v_mov_b32_e32 v2, 0
	s_or_b64 s[4:5], s[4:5], s[8:9]
	s_or_b64 exec, exec, s[6:7]
	s_and_saveexec_b64 s[6:7], s[4:5]
	s_cbranch_execnz .LBB57_755
	s_branch .LBB57_756
.LBB57_2805:
	s_movk_i32 s4, 0x80
	v_cmp_eq_u16_e32 vcc, s4, v3
	s_mov_b64 s[4:5], -1
                                        ; implicit-def: $sgpr10
	s_and_saveexec_b64 s[8:9], vcc
; %bb.2806:
	s_mov_b32 s10, 0x7f800001
	s_xor_b64 s[4:5], exec, -1
; %bb.2807:
	s_or_b64 exec, exec, s[8:9]
	s_and_b64 s[4:5], s[4:5], exec
                                        ; implicit-def: $vgpr3
	s_or_saveexec_b64 s[6:7], s[6:7]
	v_mov_b32_e32 v4, s10
	s_xor_b64 exec, exec, s[6:7]
	s_cbranch_execz .LBB57_758
.LBB57_2808:
	v_cmp_ne_u16_e32 vcc, 0, v3
	s_andn2_b64 s[4:5], s[4:5], exec
	s_and_b64 s[8:9], vcc, exec
	v_mov_b32_e32 v4, 0
	s_or_b64 s[4:5], s[4:5], s[8:9]
	s_or_b64 exec, exec, s[6:7]
	s_and_saveexec_b64 s[6:7], s[4:5]
	s_cbranch_execnz .LBB57_759
	s_branch .LBB57_760
.LBB57_2809:
	s_movk_i32 s4, 0x80
	v_cmp_eq_u16_sdwa s[12:13], v9, s4 src0_sel:BYTE_3 src1_sel:DWORD
	s_mov_b64 s[4:5], -1
                                        ; implicit-def: $sgpr10
	s_and_saveexec_b64 s[8:9], s[12:13]
; %bb.2810:
	s_mov_b32 s10, 0x7f800001
	s_xor_b64 s[4:5], exec, -1
; %bb.2811:
	s_or_b64 exec, exec, s[8:9]
	s_and_b64 s[4:5], s[4:5], exec
	s_or_saveexec_b64 s[6:7], s[6:7]
	v_mov_b32_e32 v2, s10
	s_xor_b64 exec, exec, s[6:7]
	s_cbranch_execz .LBB57_762
.LBB57_2812:
	v_mov_b32_e32 v2, 0
	v_cmp_ne_u16_sdwa s[8:9], v9, v2 src0_sel:BYTE_3 src1_sel:DWORD
	s_andn2_b64 s[4:5], s[4:5], exec
	s_and_b64 s[8:9], s[8:9], exec
	s_or_b64 s[4:5], s[4:5], s[8:9]
	s_or_b64 exec, exec, s[6:7]
	s_and_saveexec_b64 s[6:7], s[4:5]
	s_cbranch_execnz .LBB57_763
	s_branch .LBB57_764
.LBB57_2813:
	s_movk_i32 s4, 0x80
	v_cmp_eq_u16_sdwa s[12:13], v5, s4 src0_sel:BYTE_3 src1_sel:DWORD
	s_mov_b64 s[4:5], -1
                                        ; implicit-def: $sgpr10
	s_and_saveexec_b64 s[8:9], s[12:13]
; %bb.2814:
	s_mov_b32 s10, 0x7f800001
	s_xor_b64 s[4:5], exec, -1
; %bb.2815:
	s_or_b64 exec, exec, s[8:9]
	s_and_b64 s[4:5], s[4:5], exec
	s_or_saveexec_b64 s[6:7], s[6:7]
	v_mov_b32_e32 v3, s10
	s_xor_b64 exec, exec, s[6:7]
	s_cbranch_execz .LBB57_766
.LBB57_2816:
	v_mov_b32_e32 v3, 0
	v_cmp_ne_u16_sdwa s[8:9], v5, v3 src0_sel:BYTE_3 src1_sel:DWORD
	s_andn2_b64 s[4:5], s[4:5], exec
	s_and_b64 s[8:9], s[8:9], exec
	s_or_b64 s[4:5], s[4:5], s[8:9]
	s_or_b64 exec, exec, s[6:7]
	s_and_saveexec_b64 s[6:7], s[4:5]
	s_cbranch_execnz .LBB57_767
	s_branch .LBB57_768
.LBB57_2817:
	s_movk_i32 s4, 0x80
	v_cmp_eq_u16_sdwa s[12:13], v14, s4 src0_sel:BYTE_0 src1_sel:DWORD
	s_mov_b64 s[4:5], -1
                                        ; implicit-def: $sgpr10
	s_and_saveexec_b64 s[8:9], s[12:13]
; %bb.2818:
	s_mov_b32 s10, 0x7f800001
	s_xor_b64 s[4:5], exec, -1
; %bb.2819:
	s_or_b64 exec, exec, s[8:9]
	s_and_b64 s[4:5], s[4:5], exec
	s_or_saveexec_b64 s[6:7], s[6:7]
	v_mov_b32_e32 v20, s10
	s_xor_b64 exec, exec, s[6:7]
	s_cbranch_execz .LBB57_770
.LBB57_2820:
	v_mov_b32_e32 v20, 0
	v_cmp_ne_u16_sdwa s[8:9], v14, v20 src0_sel:BYTE_0 src1_sel:DWORD
	s_andn2_b64 s[4:5], s[4:5], exec
	s_and_b64 s[8:9], s[8:9], exec
	s_or_b64 s[4:5], s[4:5], s[8:9]
	s_or_b64 exec, exec, s[6:7]
	s_and_saveexec_b64 s[6:7], s[4:5]
	s_cbranch_execnz .LBB57_771
	s_branch .LBB57_772
.LBB57_2821:
	s_movk_i32 s4, 0x80
	v_cmp_eq_u16_sdwa s[12:13], v10, s4 src0_sel:BYTE_0 src1_sel:DWORD
	s_mov_b64 s[4:5], -1
                                        ; implicit-def: $sgpr10
	s_and_saveexec_b64 s[8:9], s[12:13]
; %bb.2822:
	s_mov_b32 s10, 0x7f800001
	s_xor_b64 s[4:5], exec, -1
; %bb.2823:
	s_or_b64 exec, exec, s[8:9]
	s_and_b64 s[4:5], s[4:5], exec
	s_or_saveexec_b64 s[6:7], s[6:7]
	v_mov_b32_e32 v21, s10
	s_xor_b64 exec, exec, s[6:7]
	s_cbranch_execz .LBB57_774
.LBB57_2824:
	v_mov_b32_e32 v21, 0
	v_cmp_ne_u16_sdwa s[8:9], v10, v21 src0_sel:BYTE_0 src1_sel:DWORD
	s_andn2_b64 s[4:5], s[4:5], exec
	s_and_b64 s[8:9], s[8:9], exec
	s_or_b64 s[4:5], s[4:5], s[8:9]
	s_or_b64 exec, exec, s[6:7]
	s_and_saveexec_b64 s[6:7], s[4:5]
	s_cbranch_execnz .LBB57_775
	s_branch .LBB57_776
.LBB57_2825:
	s_movk_i32 s4, 0x80
	v_cmp_eq_u16_sdwa s[12:13], v21, s4 src0_sel:BYTE_0 src1_sel:DWORD
	s_mov_b64 s[4:5], -1
                                        ; implicit-def: $sgpr10
	s_and_saveexec_b64 s[8:9], s[12:13]
; %bb.2826:
	s_mov_b32 s10, 0x7f800001
	s_xor_b64 s[4:5], exec, -1
; %bb.2827:
	s_or_b64 exec, exec, s[8:9]
	s_and_b64 s[4:5], s[4:5], exec
	s_or_saveexec_b64 s[6:7], s[6:7]
	v_mov_b32_e32 v20, s10
	s_xor_b64 exec, exec, s[6:7]
	s_cbranch_execz .LBB57_778
.LBB57_2828:
	v_mov_b32_e32 v20, 0
	v_cmp_ne_u16_sdwa s[8:9], v21, v20 src0_sel:BYTE_0 src1_sel:DWORD
	s_andn2_b64 s[4:5], s[4:5], exec
	s_and_b64 s[8:9], s[8:9], exec
	s_or_b64 s[4:5], s[4:5], s[8:9]
	s_or_b64 exec, exec, s[6:7]
	s_and_saveexec_b64 s[6:7], s[4:5]
	s_cbranch_execnz .LBB57_779
	s_branch .LBB57_780
.LBB57_2829:
	s_movk_i32 s4, 0x80
	v_cmp_eq_u16_sdwa s[12:13], v21, s4 src0_sel:BYTE_0 src1_sel:DWORD
	s_mov_b64 s[4:5], -1
                                        ; implicit-def: $sgpr10
	s_and_saveexec_b64 s[8:9], s[12:13]
; %bb.2830:
	s_mov_b32 s10, 0x7f800001
	s_xor_b64 s[4:5], exec, -1
; %bb.2831:
	s_or_b64 exec, exec, s[8:9]
	s_and_b64 s[4:5], s[4:5], exec
	s_or_saveexec_b64 s[6:7], s[6:7]
	v_mov_b32_e32 v22, s10
	s_xor_b64 exec, exec, s[6:7]
	s_cbranch_execz .LBB57_782
.LBB57_2832:
	v_mov_b32_e32 v22, 0
	v_cmp_ne_u16_sdwa s[8:9], v21, v22 src0_sel:BYTE_0 src1_sel:DWORD
	s_andn2_b64 s[4:5], s[4:5], exec
	s_and_b64 s[8:9], s[8:9], exec
	s_or_b64 s[4:5], s[4:5], s[8:9]
	s_or_b64 exec, exec, s[6:7]
	s_and_saveexec_b64 s[6:7], s[4:5]
	s_cbranch_execnz .LBB57_783
	s_branch .LBB57_784
.LBB57_2833:
	s_movk_i32 s4, 0x80
	v_cmp_eq_u16_e32 vcc, s4, v21
	s_mov_b64 s[4:5], -1
                                        ; implicit-def: $sgpr10
	s_and_saveexec_b64 s[8:9], vcc
; %bb.2834:
	s_mov_b32 s10, 0x7f800001
	s_xor_b64 s[4:5], exec, -1
; %bb.2835:
	s_or_b64 exec, exec, s[8:9]
	s_and_b64 s[4:5], s[4:5], exec
                                        ; implicit-def: $vgpr21
	s_or_saveexec_b64 s[6:7], s[6:7]
	v_mov_b32_e32 v20, s10
	s_xor_b64 exec, exec, s[6:7]
	s_cbranch_execz .LBB57_786
.LBB57_2836:
	v_cmp_ne_u16_e32 vcc, 0, v21
	s_andn2_b64 s[4:5], s[4:5], exec
	s_and_b64 s[8:9], vcc, exec
	v_mov_b32_e32 v20, 0
	s_or_b64 s[4:5], s[4:5], s[8:9]
	s_or_b64 exec, exec, s[6:7]
	s_and_saveexec_b64 s[6:7], s[4:5]
	s_cbranch_execnz .LBB57_787
	s_branch .LBB57_788
.LBB57_2837:
	s_movk_i32 s4, 0x80
	v_cmp_eq_u16_e32 vcc, s4, v21
	s_mov_b64 s[4:5], -1
                                        ; implicit-def: $sgpr10
	s_and_saveexec_b64 s[8:9], vcc
; %bb.2838:
	s_mov_b32 s10, 0x7f800001
	s_xor_b64 s[4:5], exec, -1
; %bb.2839:
	s_or_b64 exec, exec, s[8:9]
	s_and_b64 s[4:5], s[4:5], exec
                                        ; implicit-def: $vgpr21
	s_or_saveexec_b64 s[6:7], s[6:7]
	v_mov_b32_e32 v22, s10
	s_xor_b64 exec, exec, s[6:7]
	s_cbranch_execz .LBB57_790
.LBB57_2840:
	v_cmp_ne_u16_e32 vcc, 0, v21
	s_andn2_b64 s[4:5], s[4:5], exec
	s_and_b64 s[8:9], vcc, exec
	v_mov_b32_e32 v22, 0
	s_or_b64 s[4:5], s[4:5], s[8:9]
	s_or_b64 exec, exec, s[6:7]
	s_and_saveexec_b64 s[6:7], s[4:5]
	s_cbranch_execnz .LBB57_791
	s_branch .LBB57_792
.LBB57_2841:
	s_movk_i32 s4, 0x80
	v_cmp_eq_u16_sdwa s[12:13], v14, s4 src0_sel:BYTE_3 src1_sel:DWORD
	s_mov_b64 s[4:5], -1
                                        ; implicit-def: $sgpr10
	s_and_saveexec_b64 s[8:9], s[12:13]
; %bb.2842:
	s_mov_b32 s10, 0x7f800001
	s_xor_b64 s[4:5], exec, -1
; %bb.2843:
	s_or_b64 exec, exec, s[8:9]
	s_and_b64 s[4:5], s[4:5], exec
	s_or_saveexec_b64 s[6:7], s[6:7]
	v_mov_b32_e32 v20, s10
	s_xor_b64 exec, exec, s[6:7]
	s_cbranch_execz .LBB57_794
.LBB57_2844:
	v_mov_b32_e32 v20, 0
	v_cmp_ne_u16_sdwa s[8:9], v14, v20 src0_sel:BYTE_3 src1_sel:DWORD
	s_andn2_b64 s[4:5], s[4:5], exec
	s_and_b64 s[8:9], s[8:9], exec
	s_or_b64 s[4:5], s[4:5], s[8:9]
	s_or_b64 exec, exec, s[6:7]
	s_and_saveexec_b64 s[6:7], s[4:5]
	s_cbranch_execnz .LBB57_795
	s_branch .LBB57_796
.LBB57_2845:
	s_movk_i32 s4, 0x80
	v_cmp_eq_u16_sdwa s[12:13], v10, s4 src0_sel:BYTE_3 src1_sel:DWORD
	s_mov_b64 s[4:5], -1
                                        ; implicit-def: $sgpr10
	s_and_saveexec_b64 s[8:9], s[12:13]
; %bb.2846:
	s_mov_b32 s10, 0x7f800001
	s_xor_b64 s[4:5], exec, -1
; %bb.2847:
	s_or_b64 exec, exec, s[8:9]
	s_and_b64 s[4:5], s[4:5], exec
	s_or_saveexec_b64 s[6:7], s[6:7]
	v_mov_b32_e32 v14, s10
	s_xor_b64 exec, exec, s[6:7]
	s_cbranch_execz .LBB57_798
.LBB57_2848:
	v_mov_b32_e32 v14, 0
	v_cmp_ne_u16_sdwa s[8:9], v10, v14 src0_sel:BYTE_3 src1_sel:DWORD
	s_andn2_b64 s[4:5], s[4:5], exec
	s_and_b64 s[8:9], s[8:9], exec
	s_or_b64 s[4:5], s[4:5], s[8:9]
	s_or_b64 exec, exec, s[6:7]
	s_and_saveexec_b64 s[6:7], s[4:5]
	s_cbranch_execnz .LBB57_799
	s_branch .LBB57_800
.LBB57_2849:
	s_movk_i32 s4, 0x80
	v_cmp_eq_u16_sdwa s[12:13], v15, s4 src0_sel:BYTE_0 src1_sel:DWORD
	s_mov_b64 s[4:5], -1
                                        ; implicit-def: $sgpr10
	s_and_saveexec_b64 s[8:9], s[12:13]
; %bb.2850:
	s_mov_b32 s10, 0x7f800001
	s_xor_b64 s[4:5], exec, -1
; %bb.2851:
	s_or_b64 exec, exec, s[8:9]
	s_and_b64 s[4:5], s[4:5], exec
	s_or_saveexec_b64 s[6:7], s[6:7]
	v_mov_b32_e32 v10, s10
	s_xor_b64 exec, exec, s[6:7]
	s_cbranch_execz .LBB57_802
.LBB57_2852:
	v_mov_b32_e32 v10, 0
	v_cmp_ne_u16_sdwa s[8:9], v15, v10 src0_sel:BYTE_0 src1_sel:DWORD
	s_andn2_b64 s[4:5], s[4:5], exec
	s_and_b64 s[8:9], s[8:9], exec
	s_or_b64 s[4:5], s[4:5], s[8:9]
	s_or_b64 exec, exec, s[6:7]
	s_and_saveexec_b64 s[6:7], s[4:5]
	s_cbranch_execnz .LBB57_803
	s_branch .LBB57_804
.LBB57_2853:
	s_movk_i32 s4, 0x80
	v_cmp_eq_u16_sdwa s[12:13], v11, s4 src0_sel:BYTE_0 src1_sel:DWORD
	s_mov_b64 s[4:5], -1
                                        ; implicit-def: $sgpr10
	s_and_saveexec_b64 s[8:9], s[12:13]
; %bb.2854:
	s_mov_b32 s10, 0x7f800001
	s_xor_b64 s[4:5], exec, -1
; %bb.2855:
	s_or_b64 exec, exec, s[8:9]
	s_and_b64 s[4:5], s[4:5], exec
	s_or_saveexec_b64 s[6:7], s[6:7]
	v_mov_b32_e32 v14, s10
	s_xor_b64 exec, exec, s[6:7]
	s_cbranch_execz .LBB57_806
.LBB57_2856:
	v_mov_b32_e32 v14, 0
	v_cmp_ne_u16_sdwa s[8:9], v11, v14 src0_sel:BYTE_0 src1_sel:DWORD
	s_andn2_b64 s[4:5], s[4:5], exec
	s_and_b64 s[8:9], s[8:9], exec
	s_or_b64 s[4:5], s[4:5], s[8:9]
	s_or_b64 exec, exec, s[6:7]
	s_and_saveexec_b64 s[6:7], s[4:5]
	s_cbranch_execnz .LBB57_807
	s_branch .LBB57_808
.LBB57_2857:
	s_movk_i32 s4, 0x80
	v_cmp_eq_u16_sdwa s[12:13], v14, s4 src0_sel:BYTE_0 src1_sel:DWORD
	s_mov_b64 s[4:5], -1
                                        ; implicit-def: $sgpr10
	s_and_saveexec_b64 s[8:9], s[12:13]
; %bb.2858:
	s_mov_b32 s10, 0x7f800001
	s_xor_b64 s[4:5], exec, -1
; %bb.2859:
	s_or_b64 exec, exec, s[8:9]
	s_and_b64 s[4:5], s[4:5], exec
	s_or_saveexec_b64 s[6:7], s[6:7]
	v_mov_b32_e32 v10, s10
	s_xor_b64 exec, exec, s[6:7]
	s_cbranch_execz .LBB57_810
.LBB57_2860:
	v_mov_b32_e32 v10, 0
	v_cmp_ne_u16_sdwa s[8:9], v14, v10 src0_sel:BYTE_0 src1_sel:DWORD
	s_andn2_b64 s[4:5], s[4:5], exec
	s_and_b64 s[8:9], s[8:9], exec
	s_or_b64 s[4:5], s[4:5], s[8:9]
	s_or_b64 exec, exec, s[6:7]
	s_and_saveexec_b64 s[6:7], s[4:5]
	s_cbranch_execnz .LBB57_811
	s_branch .LBB57_812
.LBB57_2861:
	s_movk_i32 s4, 0x80
	v_cmp_eq_u16_sdwa s[12:13], v14, s4 src0_sel:BYTE_0 src1_sel:DWORD
	s_mov_b64 s[4:5], -1
                                        ; implicit-def: $sgpr10
	s_and_saveexec_b64 s[8:9], s[12:13]
; %bb.2862:
	s_mov_b32 s10, 0x7f800001
	s_xor_b64 s[4:5], exec, -1
; %bb.2863:
	s_or_b64 exec, exec, s[8:9]
	s_and_b64 s[4:5], s[4:5], exec
	s_or_saveexec_b64 s[6:7], s[6:7]
	v_mov_b32_e32 v20, s10
	s_xor_b64 exec, exec, s[6:7]
	s_cbranch_execz .LBB57_814
.LBB57_2864:
	v_mov_b32_e32 v20, 0
	v_cmp_ne_u16_sdwa s[8:9], v14, v20 src0_sel:BYTE_0 src1_sel:DWORD
	s_andn2_b64 s[4:5], s[4:5], exec
	s_and_b64 s[8:9], s[8:9], exec
	s_or_b64 s[4:5], s[4:5], s[8:9]
	s_or_b64 exec, exec, s[6:7]
	s_and_saveexec_b64 s[6:7], s[4:5]
	s_cbranch_execnz .LBB57_815
	s_branch .LBB57_816
.LBB57_2865:
	s_movk_i32 s4, 0x80
	v_cmp_eq_u16_e32 vcc, s4, v14
	s_mov_b64 s[4:5], -1
                                        ; implicit-def: $sgpr10
	s_and_saveexec_b64 s[8:9], vcc
; %bb.2866:
	s_mov_b32 s10, 0x7f800001
	s_xor_b64 s[4:5], exec, -1
; %bb.2867:
	s_or_b64 exec, exec, s[8:9]
	s_and_b64 s[4:5], s[4:5], exec
                                        ; implicit-def: $vgpr14
	s_or_saveexec_b64 s[6:7], s[6:7]
	v_mov_b32_e32 v10, s10
	s_xor_b64 exec, exec, s[6:7]
	s_cbranch_execz .LBB57_818
.LBB57_2868:
	v_cmp_ne_u16_e32 vcc, 0, v14
	s_andn2_b64 s[4:5], s[4:5], exec
	s_and_b64 s[8:9], vcc, exec
	v_mov_b32_e32 v10, 0
	s_or_b64 s[4:5], s[4:5], s[8:9]
	s_or_b64 exec, exec, s[6:7]
	s_and_saveexec_b64 s[6:7], s[4:5]
	s_cbranch_execnz .LBB57_819
	s_branch .LBB57_820
.LBB57_2869:
	s_movk_i32 s4, 0x80
	v_cmp_eq_u16_e32 vcc, s4, v14
	s_mov_b64 s[4:5], -1
                                        ; implicit-def: $sgpr10
	s_and_saveexec_b64 s[8:9], vcc
; %bb.2870:
	s_mov_b32 s10, 0x7f800001
	s_xor_b64 s[4:5], exec, -1
; %bb.2871:
	s_or_b64 exec, exec, s[8:9]
	s_and_b64 s[4:5], s[4:5], exec
                                        ; implicit-def: $vgpr14
	s_or_saveexec_b64 s[6:7], s[6:7]
	v_mov_b32_e32 v20, s10
	s_xor_b64 exec, exec, s[6:7]
	s_cbranch_execz .LBB57_822
.LBB57_2872:
	v_cmp_ne_u16_e32 vcc, 0, v14
	s_andn2_b64 s[4:5], s[4:5], exec
	s_and_b64 s[8:9], vcc, exec
	v_mov_b32_e32 v20, 0
	s_or_b64 s[4:5], s[4:5], s[8:9]
	s_or_b64 exec, exec, s[6:7]
	s_and_saveexec_b64 s[6:7], s[4:5]
	s_cbranch_execnz .LBB57_823
	s_branch .LBB57_824
.LBB57_2873:
	s_movk_i32 s4, 0x80
	v_cmp_eq_u16_sdwa s[12:13], v15, s4 src0_sel:BYTE_3 src1_sel:DWORD
	s_mov_b64 s[4:5], -1
                                        ; implicit-def: $sgpr10
	s_and_saveexec_b64 s[8:9], s[12:13]
; %bb.2874:
	s_mov_b32 s10, 0x7f800001
	s_xor_b64 s[4:5], exec, -1
; %bb.2875:
	s_or_b64 exec, exec, s[8:9]
	s_and_b64 s[4:5], s[4:5], exec
	s_or_saveexec_b64 s[6:7], s[6:7]
	v_mov_b32_e32 v10, s10
	s_xor_b64 exec, exec, s[6:7]
	s_cbranch_execz .LBB57_826
.LBB57_2876:
	v_mov_b32_e32 v10, 0
	v_cmp_ne_u16_sdwa s[8:9], v15, v10 src0_sel:BYTE_3 src1_sel:DWORD
	s_andn2_b64 s[4:5], s[4:5], exec
	s_and_b64 s[8:9], s[8:9], exec
	s_or_b64 s[4:5], s[4:5], s[8:9]
	s_or_b64 exec, exec, s[6:7]
	s_and_saveexec_b64 s[6:7], s[4:5]
	s_cbranch_execnz .LBB57_827
	s_branch .LBB57_828
.LBB57_2877:
	s_movk_i32 s4, 0x80
	v_cmp_eq_u16_sdwa s[12:13], v11, s4 src0_sel:BYTE_3 src1_sel:DWORD
	s_mov_b64 s[4:5], -1
                                        ; implicit-def: $sgpr10
	s_and_saveexec_b64 s[8:9], s[12:13]
; %bb.2878:
	s_mov_b32 s10, 0x7f800001
	s_xor_b64 s[4:5], exec, -1
; %bb.2879:
	s_or_b64 exec, exec, s[8:9]
	s_and_b64 s[4:5], s[4:5], exec
	s_or_saveexec_b64 s[6:7], s[6:7]
	v_mov_b32_e32 v14, s10
	s_xor_b64 exec, exec, s[6:7]
	s_cbranch_execz .LBB57_830
.LBB57_2880:
	v_mov_b32_e32 v14, 0
	v_cmp_ne_u16_sdwa s[8:9], v11, v14 src0_sel:BYTE_3 src1_sel:DWORD
	s_andn2_b64 s[4:5], s[4:5], exec
	s_and_b64 s[8:9], s[8:9], exec
	s_or_b64 s[4:5], s[4:5], s[8:9]
	s_or_b64 exec, exec, s[6:7]
	s_and_saveexec_b64 s[6:7], s[4:5]
	s_cbranch_execnz .LBB57_831
	s_branch .LBB57_832
.LBB57_2881:
	s_movk_i32 s4, 0x80
	v_cmp_eq_u16_sdwa s[12:13], v16, s4 src0_sel:BYTE_0 src1_sel:DWORD
	s_mov_b64 s[4:5], -1
                                        ; implicit-def: $sgpr10
	s_and_saveexec_b64 s[8:9], s[12:13]
; %bb.2882:
	s_mov_b32 s10, 0x7f800001
	s_xor_b64 s[4:5], exec, -1
; %bb.2883:
	s_or_b64 exec, exec, s[8:9]
	s_and_b64 s[4:5], s[4:5], exec
	s_or_saveexec_b64 s[6:7], s[6:7]
	v_mov_b32_e32 v10, s10
	s_xor_b64 exec, exec, s[6:7]
	s_cbranch_execz .LBB57_834
.LBB57_2884:
	v_mov_b32_e32 v10, 0
	v_cmp_ne_u16_sdwa s[8:9], v16, v10 src0_sel:BYTE_0 src1_sel:DWORD
	s_andn2_b64 s[4:5], s[4:5], exec
	s_and_b64 s[8:9], s[8:9], exec
	s_or_b64 s[4:5], s[4:5], s[8:9]
	s_or_b64 exec, exec, s[6:7]
	s_and_saveexec_b64 s[6:7], s[4:5]
	s_cbranch_execnz .LBB57_835
	s_branch .LBB57_836
.LBB57_2885:
	s_movk_i32 s4, 0x80
	v_cmp_eq_u16_sdwa s[12:13], v12, s4 src0_sel:BYTE_0 src1_sel:DWORD
	s_mov_b64 s[4:5], -1
                                        ; implicit-def: $sgpr10
	s_and_saveexec_b64 s[8:9], s[12:13]
; %bb.2886:
	s_mov_b32 s10, 0x7f800001
	s_xor_b64 s[4:5], exec, -1
; %bb.2887:
	s_or_b64 exec, exec, s[8:9]
	s_and_b64 s[4:5], s[4:5], exec
	s_or_saveexec_b64 s[6:7], s[6:7]
	v_mov_b32_e32 v11, s10
	s_xor_b64 exec, exec, s[6:7]
	s_cbranch_execz .LBB57_838
.LBB57_2888:
	v_mov_b32_e32 v11, 0
	v_cmp_ne_u16_sdwa s[8:9], v12, v11 src0_sel:BYTE_0 src1_sel:DWORD
	s_andn2_b64 s[4:5], s[4:5], exec
	s_and_b64 s[8:9], s[8:9], exec
	s_or_b64 s[4:5], s[4:5], s[8:9]
	s_or_b64 exec, exec, s[6:7]
	s_and_saveexec_b64 s[6:7], s[4:5]
	s_cbranch_execnz .LBB57_839
	s_branch .LBB57_840
.LBB57_2889:
	s_movk_i32 s4, 0x80
	v_cmp_eq_u16_sdwa s[12:13], v11, s4 src0_sel:BYTE_0 src1_sel:DWORD
	s_mov_b64 s[4:5], -1
                                        ; implicit-def: $sgpr10
	s_and_saveexec_b64 s[8:9], s[12:13]
; %bb.2890:
	s_mov_b32 s10, 0x7f800001
	s_xor_b64 s[4:5], exec, -1
; %bb.2891:
	s_or_b64 exec, exec, s[8:9]
	s_and_b64 s[4:5], s[4:5], exec
	s_or_saveexec_b64 s[6:7], s[6:7]
	v_mov_b32_e32 v10, s10
	s_xor_b64 exec, exec, s[6:7]
	s_cbranch_execz .LBB57_842
.LBB57_2892:
	v_mov_b32_e32 v10, 0
	v_cmp_ne_u16_sdwa s[8:9], v11, v10 src0_sel:BYTE_0 src1_sel:DWORD
	s_andn2_b64 s[4:5], s[4:5], exec
	s_and_b64 s[8:9], s[8:9], exec
	s_or_b64 s[4:5], s[4:5], s[8:9]
	s_or_b64 exec, exec, s[6:7]
	s_and_saveexec_b64 s[6:7], s[4:5]
	s_cbranch_execnz .LBB57_843
	s_branch .LBB57_844
.LBB57_2893:
	s_movk_i32 s4, 0x80
	v_cmp_eq_u16_sdwa s[12:13], v11, s4 src0_sel:BYTE_0 src1_sel:DWORD
	s_mov_b64 s[4:5], -1
                                        ; implicit-def: $sgpr10
	s_and_saveexec_b64 s[8:9], s[12:13]
; %bb.2894:
	s_mov_b32 s10, 0x7f800001
	s_xor_b64 s[4:5], exec, -1
; %bb.2895:
	s_or_b64 exec, exec, s[8:9]
	s_and_b64 s[4:5], s[4:5], exec
	s_or_saveexec_b64 s[6:7], s[6:7]
	v_mov_b32_e32 v14, s10
	s_xor_b64 exec, exec, s[6:7]
	s_cbranch_execz .LBB57_846
.LBB57_2896:
	v_mov_b32_e32 v14, 0
	v_cmp_ne_u16_sdwa s[8:9], v11, v14 src0_sel:BYTE_0 src1_sel:DWORD
	s_andn2_b64 s[4:5], s[4:5], exec
	s_and_b64 s[8:9], s[8:9], exec
	s_or_b64 s[4:5], s[4:5], s[8:9]
	s_or_b64 exec, exec, s[6:7]
	s_and_saveexec_b64 s[6:7], s[4:5]
	s_cbranch_execnz .LBB57_847
	s_branch .LBB57_848
.LBB57_2897:
	s_movk_i32 s4, 0x80
	v_cmp_eq_u16_e32 vcc, s4, v11
	s_mov_b64 s[4:5], -1
                                        ; implicit-def: $sgpr10
	s_and_saveexec_b64 s[8:9], vcc
; %bb.2898:
	s_mov_b32 s10, 0x7f800001
	s_xor_b64 s[4:5], exec, -1
; %bb.2899:
	s_or_b64 exec, exec, s[8:9]
	s_and_b64 s[4:5], s[4:5], exec
                                        ; implicit-def: $vgpr11
	s_or_saveexec_b64 s[6:7], s[6:7]
	v_mov_b32_e32 v10, s10
	s_xor_b64 exec, exec, s[6:7]
	s_cbranch_execz .LBB57_850
.LBB57_2900:
	v_cmp_ne_u16_e32 vcc, 0, v11
	s_andn2_b64 s[4:5], s[4:5], exec
	s_and_b64 s[8:9], vcc, exec
	v_mov_b32_e32 v10, 0
	s_or_b64 s[4:5], s[4:5], s[8:9]
	s_or_b64 exec, exec, s[6:7]
	s_and_saveexec_b64 s[6:7], s[4:5]
	s_cbranch_execnz .LBB57_851
	s_branch .LBB57_852
.LBB57_2901:
	s_movk_i32 s4, 0x80
	v_cmp_eq_u16_e32 vcc, s4, v11
	s_mov_b64 s[4:5], -1
                                        ; implicit-def: $sgpr10
	s_and_saveexec_b64 s[8:9], vcc
; %bb.2902:
	s_mov_b32 s10, 0x7f800001
	s_xor_b64 s[4:5], exec, -1
; %bb.2903:
	s_or_b64 exec, exec, s[8:9]
	s_and_b64 s[4:5], s[4:5], exec
                                        ; implicit-def: $vgpr11
	s_or_saveexec_b64 s[6:7], s[6:7]
	v_mov_b32_e32 v14, s10
	s_xor_b64 exec, exec, s[6:7]
	s_cbranch_execz .LBB57_854
.LBB57_2904:
	v_cmp_ne_u16_e32 vcc, 0, v11
	s_andn2_b64 s[4:5], s[4:5], exec
	s_and_b64 s[8:9], vcc, exec
	v_mov_b32_e32 v14, 0
	s_or_b64 s[4:5], s[4:5], s[8:9]
	s_or_b64 exec, exec, s[6:7]
	s_and_saveexec_b64 s[6:7], s[4:5]
	s_cbranch_execnz .LBB57_855
	s_branch .LBB57_856
.LBB57_2905:
	s_movk_i32 s4, 0x80
	v_cmp_eq_u16_sdwa s[12:13], v16, s4 src0_sel:BYTE_3 src1_sel:DWORD
	s_mov_b64 s[4:5], -1
                                        ; implicit-def: $sgpr10
	s_and_saveexec_b64 s[8:9], s[12:13]
; %bb.2906:
	s_mov_b32 s10, 0x7f800001
	s_xor_b64 s[4:5], exec, -1
; %bb.2907:
	s_or_b64 exec, exec, s[8:9]
	s_and_b64 s[4:5], s[4:5], exec
	s_or_saveexec_b64 s[6:7], s[6:7]
	v_mov_b32_e32 v10, s10
	s_xor_b64 exec, exec, s[6:7]
	s_cbranch_execz .LBB57_858
.LBB57_2908:
	v_mov_b32_e32 v10, 0
	v_cmp_ne_u16_sdwa s[8:9], v16, v10 src0_sel:BYTE_3 src1_sel:DWORD
	s_andn2_b64 s[4:5], s[4:5], exec
	s_and_b64 s[8:9], s[8:9], exec
	s_or_b64 s[4:5], s[4:5], s[8:9]
	s_or_b64 exec, exec, s[6:7]
	s_and_saveexec_b64 s[6:7], s[4:5]
	s_cbranch_execnz .LBB57_859
	s_branch .LBB57_860
.LBB57_2909:
	s_movk_i32 s4, 0x80
	v_cmp_eq_u16_sdwa s[12:13], v12, s4 src0_sel:BYTE_3 src1_sel:DWORD
	s_mov_b64 s[4:5], -1
                                        ; implicit-def: $sgpr10
	s_and_saveexec_b64 s[8:9], s[12:13]
; %bb.2910:
	s_mov_b32 s10, 0x7f800001
	s_xor_b64 s[4:5], exec, -1
; %bb.2911:
	s_or_b64 exec, exec, s[8:9]
	s_and_b64 s[4:5], s[4:5], exec
	s_or_saveexec_b64 s[6:7], s[6:7]
	v_mov_b32_e32 v11, s10
	s_xor_b64 exec, exec, s[6:7]
	s_cbranch_execz .LBB57_862
.LBB57_2912:
	v_mov_b32_e32 v11, 0
	v_cmp_ne_u16_sdwa s[8:9], v12, v11 src0_sel:BYTE_3 src1_sel:DWORD
	s_andn2_b64 s[4:5], s[4:5], exec
	s_and_b64 s[8:9], s[8:9], exec
	s_or_b64 s[4:5], s[4:5], s[8:9]
	s_or_b64 exec, exec, s[6:7]
	s_and_saveexec_b64 s[6:7], s[4:5]
	s_cbranch_execnz .LBB57_863
	s_branch .LBB57_864
.LBB57_2913:
	s_movk_i32 s4, 0x80
	v_cmp_eq_u16_sdwa s[12:13], v17, s4 src0_sel:BYTE_0 src1_sel:DWORD
	s_mov_b64 s[4:5], -1
                                        ; implicit-def: $sgpr10
	s_and_saveexec_b64 s[8:9], s[12:13]
; %bb.2914:
	s_mov_b32 s10, 0x7f800001
	s_xor_b64 s[4:5], exec, -1
; %bb.2915:
	s_or_b64 exec, exec, s[8:9]
	s_and_b64 s[4:5], s[4:5], exec
	s_or_saveexec_b64 s[6:7], s[6:7]
	v_mov_b32_e32 v10, s10
	s_xor_b64 exec, exec, s[6:7]
	s_cbranch_execz .LBB57_866
.LBB57_2916:
	v_mov_b32_e32 v10, 0
	v_cmp_ne_u16_sdwa s[8:9], v17, v10 src0_sel:BYTE_0 src1_sel:DWORD
	s_andn2_b64 s[4:5], s[4:5], exec
	s_and_b64 s[8:9], s[8:9], exec
	s_or_b64 s[4:5], s[4:5], s[8:9]
	s_or_b64 exec, exec, s[6:7]
	s_and_saveexec_b64 s[6:7], s[4:5]
	s_cbranch_execnz .LBB57_867
	s_branch .LBB57_868
.LBB57_2917:
	s_movk_i32 s4, 0x80
	v_cmp_eq_u16_sdwa s[12:13], v13, s4 src0_sel:BYTE_0 src1_sel:DWORD
	s_mov_b64 s[4:5], -1
                                        ; implicit-def: $sgpr10
	s_and_saveexec_b64 s[8:9], s[12:13]
; %bb.2918:
	s_mov_b32 s10, 0x7f800001
	s_xor_b64 s[4:5], exec, -1
; %bb.2919:
	s_or_b64 exec, exec, s[8:9]
	s_and_b64 s[4:5], s[4:5], exec
	s_or_saveexec_b64 s[6:7], s[6:7]
	v_mov_b32_e32 v11, s10
	s_xor_b64 exec, exec, s[6:7]
	s_cbranch_execz .LBB57_870
.LBB57_2920:
	v_mov_b32_e32 v11, 0
	v_cmp_ne_u16_sdwa s[8:9], v13, v11 src0_sel:BYTE_0 src1_sel:DWORD
	s_andn2_b64 s[4:5], s[4:5], exec
	s_and_b64 s[8:9], s[8:9], exec
	s_or_b64 s[4:5], s[4:5], s[8:9]
	s_or_b64 exec, exec, s[6:7]
	s_and_saveexec_b64 s[6:7], s[4:5]
	s_cbranch_execnz .LBB57_871
	s_branch .LBB57_872
.LBB57_2921:
	s_movk_i32 s4, 0x80
	v_cmp_eq_u16_sdwa s[12:13], v11, s4 src0_sel:BYTE_0 src1_sel:DWORD
	s_mov_b64 s[4:5], -1
                                        ; implicit-def: $sgpr10
	s_and_saveexec_b64 s[8:9], s[12:13]
; %bb.2922:
	s_mov_b32 s10, 0x7f800001
	s_xor_b64 s[4:5], exec, -1
; %bb.2923:
	s_or_b64 exec, exec, s[8:9]
	s_and_b64 s[4:5], s[4:5], exec
	s_or_saveexec_b64 s[6:7], s[6:7]
	v_mov_b32_e32 v10, s10
	s_xor_b64 exec, exec, s[6:7]
	s_cbranch_execz .LBB57_874
.LBB57_2924:
	v_mov_b32_e32 v10, 0
	v_cmp_ne_u16_sdwa s[8:9], v11, v10 src0_sel:BYTE_0 src1_sel:DWORD
	s_andn2_b64 s[4:5], s[4:5], exec
	s_and_b64 s[8:9], s[8:9], exec
	s_or_b64 s[4:5], s[4:5], s[8:9]
	s_or_b64 exec, exec, s[6:7]
	s_and_saveexec_b64 s[6:7], s[4:5]
	s_cbranch_execnz .LBB57_875
	s_branch .LBB57_876
.LBB57_2925:
	s_movk_i32 s4, 0x80
	v_cmp_eq_u16_sdwa s[12:13], v11, s4 src0_sel:BYTE_0 src1_sel:DWORD
	s_mov_b64 s[4:5], -1
                                        ; implicit-def: $sgpr10
	s_and_saveexec_b64 s[8:9], s[12:13]
; %bb.2926:
	s_mov_b32 s10, 0x7f800001
	s_xor_b64 s[4:5], exec, -1
; %bb.2927:
	s_or_b64 exec, exec, s[8:9]
	s_and_b64 s[4:5], s[4:5], exec
	s_or_saveexec_b64 s[6:7], s[6:7]
	v_mov_b32_e32 v12, s10
	s_xor_b64 exec, exec, s[6:7]
	s_cbranch_execz .LBB57_878
.LBB57_2928:
	v_mov_b32_e32 v12, 0
	v_cmp_ne_u16_sdwa s[8:9], v11, v12 src0_sel:BYTE_0 src1_sel:DWORD
	s_andn2_b64 s[4:5], s[4:5], exec
	s_and_b64 s[8:9], s[8:9], exec
	s_or_b64 s[4:5], s[4:5], s[8:9]
	s_or_b64 exec, exec, s[6:7]
	s_and_saveexec_b64 s[6:7], s[4:5]
	s_cbranch_execnz .LBB57_879
	s_branch .LBB57_880
.LBB57_2929:
	s_movk_i32 s4, 0x80
	v_cmp_eq_u16_e32 vcc, s4, v11
	s_mov_b64 s[4:5], -1
                                        ; implicit-def: $sgpr10
	s_and_saveexec_b64 s[8:9], vcc
; %bb.2930:
	s_mov_b32 s10, 0x7f800001
	s_xor_b64 s[4:5], exec, -1
; %bb.2931:
	s_or_b64 exec, exec, s[8:9]
	s_and_b64 s[4:5], s[4:5], exec
                                        ; implicit-def: $vgpr11
	s_or_saveexec_b64 s[6:7], s[6:7]
	v_mov_b32_e32 v10, s10
	s_xor_b64 exec, exec, s[6:7]
	s_cbranch_execz .LBB57_882
.LBB57_2932:
	v_cmp_ne_u16_e32 vcc, 0, v11
	s_andn2_b64 s[4:5], s[4:5], exec
	s_and_b64 s[8:9], vcc, exec
	v_mov_b32_e32 v10, 0
	s_or_b64 s[4:5], s[4:5], s[8:9]
	s_or_b64 exec, exec, s[6:7]
	s_and_saveexec_b64 s[6:7], s[4:5]
	s_cbranch_execnz .LBB57_883
	s_branch .LBB57_884
.LBB57_2933:
	s_movk_i32 s4, 0x80
	v_cmp_eq_u16_e32 vcc, s4, v11
	s_mov_b64 s[4:5], -1
                                        ; implicit-def: $sgpr10
	s_and_saveexec_b64 s[8:9], vcc
; %bb.2934:
	s_mov_b32 s10, 0x7f800001
	s_xor_b64 s[4:5], exec, -1
; %bb.2935:
	s_or_b64 exec, exec, s[8:9]
	s_and_b64 s[4:5], s[4:5], exec
                                        ; implicit-def: $vgpr11
	s_or_saveexec_b64 s[6:7], s[6:7]
	v_mov_b32_e32 v12, s10
	s_xor_b64 exec, exec, s[6:7]
	s_cbranch_execz .LBB57_886
.LBB57_2936:
	v_cmp_ne_u16_e32 vcc, 0, v11
	s_andn2_b64 s[4:5], s[4:5], exec
	s_and_b64 s[8:9], vcc, exec
	v_mov_b32_e32 v12, 0
	s_or_b64 s[4:5], s[4:5], s[8:9]
	s_or_b64 exec, exec, s[6:7]
	s_and_saveexec_b64 s[6:7], s[4:5]
	s_cbranch_execnz .LBB57_887
	s_branch .LBB57_888
.LBB57_2937:
	s_movk_i32 s4, 0x80
	v_cmp_eq_u16_sdwa s[12:13], v17, s4 src0_sel:BYTE_3 src1_sel:DWORD
	s_mov_b64 s[4:5], -1
                                        ; implicit-def: $sgpr10
	s_and_saveexec_b64 s[8:9], s[12:13]
; %bb.2938:
	s_mov_b32 s10, 0x7f800001
	s_xor_b64 s[4:5], exec, -1
; %bb.2939:
	s_or_b64 exec, exec, s[8:9]
	s_and_b64 s[4:5], s[4:5], exec
	s_or_saveexec_b64 s[6:7], s[6:7]
	v_mov_b32_e32 v10, s10
	s_xor_b64 exec, exec, s[6:7]
	s_cbranch_execz .LBB57_890
.LBB57_2940:
	v_mov_b32_e32 v10, 0
	v_cmp_ne_u16_sdwa s[8:9], v17, v10 src0_sel:BYTE_3 src1_sel:DWORD
	s_andn2_b64 s[4:5], s[4:5], exec
	s_and_b64 s[8:9], s[8:9], exec
	s_or_b64 s[4:5], s[4:5], s[8:9]
	s_or_b64 exec, exec, s[6:7]
	s_and_saveexec_b64 s[6:7], s[4:5]
	s_cbranch_execnz .LBB57_891
	s_branch .LBB57_892
.LBB57_2941:
	s_movk_i32 s4, 0x80
	v_cmp_eq_u16_sdwa s[12:13], v13, s4 src0_sel:BYTE_3 src1_sel:DWORD
	s_mov_b64 s[4:5], -1
                                        ; implicit-def: $sgpr10
	s_and_saveexec_b64 s[8:9], s[12:13]
; %bb.2942:
	s_mov_b32 s10, 0x7f800001
	s_xor_b64 s[4:5], exec, -1
; %bb.2943:
	s_or_b64 exec, exec, s[8:9]
	s_and_b64 s[4:5], s[4:5], exec
	s_or_saveexec_b64 s[6:7], s[6:7]
	v_mov_b32_e32 v11, s10
	s_xor_b64 exec, exec, s[6:7]
	s_cbranch_execz .LBB57_894
.LBB57_2944:
	v_mov_b32_e32 v11, 0
	v_cmp_ne_u16_sdwa s[8:9], v13, v11 src0_sel:BYTE_3 src1_sel:DWORD
	s_andn2_b64 s[4:5], s[4:5], exec
	s_and_b64 s[8:9], s[8:9], exec
	s_or_b64 s[4:5], s[4:5], s[8:9]
	s_or_b64 exec, exec, s[6:7]
	s_and_saveexec_b64 s[6:7], s[4:5]
	s_cbranch_execnz .LBB57_895
	s_branch .LBB57_896
.LBB57_2945:
	s_movk_i32 s4, 0x80
	v_cmp_eq_u16_sdwa s[12:13], v6, s4 src0_sel:BYTE_0 src1_sel:DWORD
	s_mov_b64 s[4:5], -1
                                        ; implicit-def: $sgpr10
	s_and_saveexec_b64 s[8:9], s[12:13]
; %bb.2946:
	s_mov_b32 s10, 0x7f800001
	s_xor_b64 s[4:5], exec, -1
; %bb.2947:
	s_or_b64 exec, exec, s[8:9]
	s_and_b64 s[4:5], s[4:5], exec
	s_or_saveexec_b64 s[6:7], s[6:7]
	v_mov_b32_e32 v10, s10
	s_xor_b64 exec, exec, s[6:7]
	s_cbranch_execz .LBB57_898
.LBB57_2948:
	v_mov_b32_e32 v10, 0
	v_cmp_ne_u16_sdwa s[8:9], v6, v10 src0_sel:BYTE_0 src1_sel:DWORD
	s_andn2_b64 s[4:5], s[4:5], exec
	s_and_b64 s[8:9], s[8:9], exec
	s_or_b64 s[4:5], s[4:5], s[8:9]
	s_or_b64 exec, exec, s[6:7]
	s_and_saveexec_b64 s[6:7], s[4:5]
	s_cbranch_execnz .LBB57_899
	s_branch .LBB57_900
.LBB57_2949:
	s_movk_i32 s4, 0x80
	v_cmp_eq_u16_sdwa s[12:13], v2, s4 src0_sel:BYTE_0 src1_sel:DWORD
	s_mov_b64 s[4:5], -1
                                        ; implicit-def: $sgpr10
	s_and_saveexec_b64 s[8:9], s[12:13]
; %bb.2950:
	s_mov_b32 s10, 0x7f800001
	s_xor_b64 s[4:5], exec, -1
; %bb.2951:
	s_or_b64 exec, exec, s[8:9]
	s_and_b64 s[4:5], s[4:5], exec
	s_or_saveexec_b64 s[6:7], s[6:7]
	v_mov_b32_e32 v11, s10
	s_xor_b64 exec, exec, s[6:7]
	s_cbranch_execz .LBB57_902
.LBB57_2952:
	v_mov_b32_e32 v11, 0
	v_cmp_ne_u16_sdwa s[8:9], v2, v11 src0_sel:BYTE_0 src1_sel:DWORD
	s_andn2_b64 s[4:5], s[4:5], exec
	s_and_b64 s[8:9], s[8:9], exec
	s_or_b64 s[4:5], s[4:5], s[8:9]
	s_or_b64 exec, exec, s[6:7]
	s_and_saveexec_b64 s[6:7], s[4:5]
	s_cbranch_execnz .LBB57_903
	s_branch .LBB57_904
.LBB57_2953:
	s_movk_i32 s4, 0x80
	v_cmp_eq_u16_sdwa s[12:13], v11, s4 src0_sel:BYTE_0 src1_sel:DWORD
	s_mov_b64 s[4:5], -1
                                        ; implicit-def: $sgpr10
	s_and_saveexec_b64 s[8:9], s[12:13]
; %bb.2954:
	s_mov_b32 s10, 0x7f800001
	s_xor_b64 s[4:5], exec, -1
; %bb.2955:
	s_or_b64 exec, exec, s[8:9]
	s_and_b64 s[4:5], s[4:5], exec
	s_or_saveexec_b64 s[6:7], s[6:7]
	v_mov_b32_e32 v10, s10
	s_xor_b64 exec, exec, s[6:7]
	s_cbranch_execz .LBB57_906
.LBB57_2956:
	v_mov_b32_e32 v10, 0
	v_cmp_ne_u16_sdwa s[8:9], v11, v10 src0_sel:BYTE_0 src1_sel:DWORD
	s_andn2_b64 s[4:5], s[4:5], exec
	s_and_b64 s[8:9], s[8:9], exec
	s_or_b64 s[4:5], s[4:5], s[8:9]
	s_or_b64 exec, exec, s[6:7]
	s_and_saveexec_b64 s[6:7], s[4:5]
	s_cbranch_execnz .LBB57_907
	s_branch .LBB57_908
.LBB57_2957:
	s_movk_i32 s4, 0x80
	v_cmp_eq_u16_sdwa s[12:13], v11, s4 src0_sel:BYTE_0 src1_sel:DWORD
	s_mov_b64 s[4:5], -1
                                        ; implicit-def: $sgpr10
	s_and_saveexec_b64 s[8:9], s[12:13]
; %bb.2958:
	s_mov_b32 s10, 0x7f800001
	s_xor_b64 s[4:5], exec, -1
; %bb.2959:
	s_or_b64 exec, exec, s[8:9]
	s_and_b64 s[4:5], s[4:5], exec
	s_or_saveexec_b64 s[6:7], s[6:7]
	v_mov_b32_e32 v12, s10
	s_xor_b64 exec, exec, s[6:7]
	s_cbranch_execz .LBB57_910
.LBB57_2960:
	v_mov_b32_e32 v12, 0
	v_cmp_ne_u16_sdwa s[8:9], v11, v12 src0_sel:BYTE_0 src1_sel:DWORD
	s_andn2_b64 s[4:5], s[4:5], exec
	s_and_b64 s[8:9], s[8:9], exec
	s_or_b64 s[4:5], s[4:5], s[8:9]
	s_or_b64 exec, exec, s[6:7]
	s_and_saveexec_b64 s[6:7], s[4:5]
	s_cbranch_execnz .LBB57_911
	s_branch .LBB57_912
.LBB57_2961:
	s_movk_i32 s4, 0x80
	v_cmp_eq_u16_e32 vcc, s4, v11
	s_mov_b64 s[4:5], -1
                                        ; implicit-def: $sgpr10
	s_and_saveexec_b64 s[8:9], vcc
; %bb.2962:
	s_mov_b32 s10, 0x7f800001
	s_xor_b64 s[4:5], exec, -1
; %bb.2963:
	s_or_b64 exec, exec, s[8:9]
	s_and_b64 s[4:5], s[4:5], exec
                                        ; implicit-def: $vgpr11
	s_or_saveexec_b64 s[6:7], s[6:7]
	v_mov_b32_e32 v10, s10
	s_xor_b64 exec, exec, s[6:7]
	s_cbranch_execz .LBB57_914
.LBB57_2964:
	v_cmp_ne_u16_e32 vcc, 0, v11
	s_andn2_b64 s[4:5], s[4:5], exec
	s_and_b64 s[8:9], vcc, exec
	v_mov_b32_e32 v10, 0
	s_or_b64 s[4:5], s[4:5], s[8:9]
	s_or_b64 exec, exec, s[6:7]
	s_and_saveexec_b64 s[6:7], s[4:5]
	s_cbranch_execnz .LBB57_915
	s_branch .LBB57_916
.LBB57_2965:
	s_movk_i32 s4, 0x80
	v_cmp_eq_u16_e32 vcc, s4, v11
	s_mov_b64 s[4:5], -1
                                        ; implicit-def: $sgpr10
	s_and_saveexec_b64 s[8:9], vcc
; %bb.2966:
	s_mov_b32 s10, 0x7f800001
	s_xor_b64 s[4:5], exec, -1
; %bb.2967:
	s_or_b64 exec, exec, s[8:9]
	s_and_b64 s[4:5], s[4:5], exec
                                        ; implicit-def: $vgpr11
	s_or_saveexec_b64 s[6:7], s[6:7]
	v_mov_b32_e32 v12, s10
	s_xor_b64 exec, exec, s[6:7]
	s_cbranch_execz .LBB57_918
.LBB57_2968:
	v_cmp_ne_u16_e32 vcc, 0, v11
	s_andn2_b64 s[4:5], s[4:5], exec
	s_and_b64 s[8:9], vcc, exec
	v_mov_b32_e32 v12, 0
	s_or_b64 s[4:5], s[4:5], s[8:9]
	s_or_b64 exec, exec, s[6:7]
	s_and_saveexec_b64 s[6:7], s[4:5]
	s_cbranch_execnz .LBB57_919
	s_branch .LBB57_920
.LBB57_2969:
	s_movk_i32 s4, 0x80
	v_cmp_eq_u16_sdwa s[12:13], v6, s4 src0_sel:BYTE_3 src1_sel:DWORD
	s_mov_b64 s[4:5], -1
                                        ; implicit-def: $sgpr10
	s_and_saveexec_b64 s[8:9], s[12:13]
; %bb.2970:
	s_mov_b32 s10, 0x7f800001
	s_xor_b64 s[4:5], exec, -1
; %bb.2971:
	s_or_b64 exec, exec, s[8:9]
	s_and_b64 s[4:5], s[4:5], exec
	s_or_saveexec_b64 s[6:7], s[6:7]
	v_mov_b32_e32 v10, s10
	s_xor_b64 exec, exec, s[6:7]
	s_cbranch_execz .LBB57_922
.LBB57_2972:
	v_mov_b32_e32 v10, 0
	v_cmp_ne_u16_sdwa s[8:9], v6, v10 src0_sel:BYTE_3 src1_sel:DWORD
	s_andn2_b64 s[4:5], s[4:5], exec
	s_and_b64 s[8:9], s[8:9], exec
	s_or_b64 s[4:5], s[4:5], s[8:9]
	s_or_b64 exec, exec, s[6:7]
	s_and_saveexec_b64 s[6:7], s[4:5]
	s_cbranch_execnz .LBB57_923
	s_branch .LBB57_924
.LBB57_2973:
	s_movk_i32 s4, 0x80
	v_cmp_eq_u16_sdwa s[12:13], v2, s4 src0_sel:BYTE_3 src1_sel:DWORD
	s_mov_b64 s[4:5], -1
                                        ; implicit-def: $sgpr10
	s_and_saveexec_b64 s[8:9], s[12:13]
; %bb.2974:
	s_mov_b32 s10, 0x7f800001
	s_xor_b64 s[4:5], exec, -1
; %bb.2975:
	s_or_b64 exec, exec, s[8:9]
	s_and_b64 s[4:5], s[4:5], exec
	s_or_saveexec_b64 s[6:7], s[6:7]
	v_mov_b32_e32 v6, s10
	s_xor_b64 exec, exec, s[6:7]
	s_cbranch_execz .LBB57_926
.LBB57_2976:
	v_mov_b32_e32 v6, 0
	v_cmp_ne_u16_sdwa s[8:9], v2, v6 src0_sel:BYTE_3 src1_sel:DWORD
	s_andn2_b64 s[4:5], s[4:5], exec
	s_and_b64 s[8:9], s[8:9], exec
	s_or_b64 s[4:5], s[4:5], s[8:9]
	s_or_b64 exec, exec, s[6:7]
	s_and_saveexec_b64 s[6:7], s[4:5]
	s_cbranch_execnz .LBB57_927
	s_branch .LBB57_928
.LBB57_2977:
	s_movk_i32 s4, 0x80
	v_cmp_eq_u16_sdwa s[12:13], v7, s4 src0_sel:BYTE_0 src1_sel:DWORD
	s_mov_b64 s[4:5], -1
                                        ; implicit-def: $sgpr10
	s_and_saveexec_b64 s[8:9], s[12:13]
; %bb.2978:
	s_mov_b32 s10, 0x7f800001
	s_xor_b64 s[4:5], exec, -1
; %bb.2979:
	s_or_b64 exec, exec, s[8:9]
	s_and_b64 s[4:5], s[4:5], exec
	s_or_saveexec_b64 s[6:7], s[6:7]
	v_mov_b32_e32 v2, s10
	s_xor_b64 exec, exec, s[6:7]
	s_cbranch_execz .LBB57_930
.LBB57_2980:
	v_mov_b32_e32 v2, 0
	v_cmp_ne_u16_sdwa s[8:9], v7, v2 src0_sel:BYTE_0 src1_sel:DWORD
	s_andn2_b64 s[4:5], s[4:5], exec
	s_and_b64 s[8:9], s[8:9], exec
	s_or_b64 s[4:5], s[4:5], s[8:9]
	s_or_b64 exec, exec, s[6:7]
	s_and_saveexec_b64 s[6:7], s[4:5]
	s_cbranch_execnz .LBB57_931
	s_branch .LBB57_932
.LBB57_2981:
	s_movk_i32 s4, 0x80
	v_cmp_eq_u16_sdwa s[12:13], v3, s4 src0_sel:BYTE_0 src1_sel:DWORD
	s_mov_b64 s[4:5], -1
                                        ; implicit-def: $sgpr10
	s_and_saveexec_b64 s[8:9], s[12:13]
; %bb.2982:
	s_mov_b32 s10, 0x7f800001
	s_xor_b64 s[4:5], exec, -1
; %bb.2983:
	s_or_b64 exec, exec, s[8:9]
	s_and_b64 s[4:5], s[4:5], exec
	s_or_saveexec_b64 s[6:7], s[6:7]
	v_mov_b32_e32 v6, s10
	s_xor_b64 exec, exec, s[6:7]
	s_cbranch_execz .LBB57_934
.LBB57_2984:
	v_mov_b32_e32 v6, 0
	v_cmp_ne_u16_sdwa s[8:9], v3, v6 src0_sel:BYTE_0 src1_sel:DWORD
	s_andn2_b64 s[4:5], s[4:5], exec
	s_and_b64 s[8:9], s[8:9], exec
	s_or_b64 s[4:5], s[4:5], s[8:9]
	s_or_b64 exec, exec, s[6:7]
	s_and_saveexec_b64 s[6:7], s[4:5]
	s_cbranch_execnz .LBB57_935
	s_branch .LBB57_936
.LBB57_2985:
	s_movk_i32 s4, 0x80
	v_cmp_eq_u16_sdwa s[12:13], v6, s4 src0_sel:BYTE_0 src1_sel:DWORD
	s_mov_b64 s[4:5], -1
                                        ; implicit-def: $sgpr10
	s_and_saveexec_b64 s[8:9], s[12:13]
; %bb.2986:
	s_mov_b32 s10, 0x7f800001
	s_xor_b64 s[4:5], exec, -1
; %bb.2987:
	s_or_b64 exec, exec, s[8:9]
	s_and_b64 s[4:5], s[4:5], exec
	s_or_saveexec_b64 s[6:7], s[6:7]
	v_mov_b32_e32 v2, s10
	s_xor_b64 exec, exec, s[6:7]
	s_cbranch_execz .LBB57_938
.LBB57_2988:
	v_mov_b32_e32 v2, 0
	v_cmp_ne_u16_sdwa s[8:9], v6, v2 src0_sel:BYTE_0 src1_sel:DWORD
	s_andn2_b64 s[4:5], s[4:5], exec
	s_and_b64 s[8:9], s[8:9], exec
	s_or_b64 s[4:5], s[4:5], s[8:9]
	s_or_b64 exec, exec, s[6:7]
	s_and_saveexec_b64 s[6:7], s[4:5]
	s_cbranch_execnz .LBB57_939
	s_branch .LBB57_940
.LBB57_2989:
	s_movk_i32 s4, 0x80
	v_cmp_eq_u16_sdwa s[12:13], v6, s4 src0_sel:BYTE_0 src1_sel:DWORD
	s_mov_b64 s[4:5], -1
                                        ; implicit-def: $sgpr10
	s_and_saveexec_b64 s[8:9], s[12:13]
; %bb.2990:
	s_mov_b32 s10, 0x7f800001
	s_xor_b64 s[4:5], exec, -1
; %bb.2991:
	s_or_b64 exec, exec, s[8:9]
	s_and_b64 s[4:5], s[4:5], exec
	s_or_saveexec_b64 s[6:7], s[6:7]
	v_mov_b32_e32 v10, s10
	s_xor_b64 exec, exec, s[6:7]
	s_cbranch_execz .LBB57_942
.LBB57_2992:
	v_mov_b32_e32 v10, 0
	v_cmp_ne_u16_sdwa s[8:9], v6, v10 src0_sel:BYTE_0 src1_sel:DWORD
	s_andn2_b64 s[4:5], s[4:5], exec
	s_and_b64 s[8:9], s[8:9], exec
	s_or_b64 s[4:5], s[4:5], s[8:9]
	s_or_b64 exec, exec, s[6:7]
	s_and_saveexec_b64 s[6:7], s[4:5]
	s_cbranch_execnz .LBB57_943
	s_branch .LBB57_944
.LBB57_2993:
	s_movk_i32 s4, 0x80
	v_cmp_eq_u16_e32 vcc, s4, v6
	s_mov_b64 s[4:5], -1
                                        ; implicit-def: $sgpr10
	s_and_saveexec_b64 s[8:9], vcc
; %bb.2994:
	s_mov_b32 s10, 0x7f800001
	s_xor_b64 s[4:5], exec, -1
; %bb.2995:
	s_or_b64 exec, exec, s[8:9]
	s_and_b64 s[4:5], s[4:5], exec
                                        ; implicit-def: $vgpr6
	s_or_saveexec_b64 s[6:7], s[6:7]
	v_mov_b32_e32 v2, s10
	s_xor_b64 exec, exec, s[6:7]
	s_cbranch_execz .LBB57_946
.LBB57_2996:
	v_cmp_ne_u16_e32 vcc, 0, v6
	s_andn2_b64 s[4:5], s[4:5], exec
	s_and_b64 s[8:9], vcc, exec
	v_mov_b32_e32 v2, 0
	s_or_b64 s[4:5], s[4:5], s[8:9]
	s_or_b64 exec, exec, s[6:7]
	s_and_saveexec_b64 s[6:7], s[4:5]
	s_cbranch_execnz .LBB57_947
	s_branch .LBB57_948
.LBB57_2997:
	s_movk_i32 s4, 0x80
	v_cmp_eq_u16_e32 vcc, s4, v6
	s_mov_b64 s[4:5], -1
                                        ; implicit-def: $sgpr10
	s_and_saveexec_b64 s[8:9], vcc
; %bb.2998:
	s_mov_b32 s10, 0x7f800001
	s_xor_b64 s[4:5], exec, -1
; %bb.2999:
	s_or_b64 exec, exec, s[8:9]
	s_and_b64 s[4:5], s[4:5], exec
                                        ; implicit-def: $vgpr6
	s_or_saveexec_b64 s[6:7], s[6:7]
	v_mov_b32_e32 v10, s10
	s_xor_b64 exec, exec, s[6:7]
	s_cbranch_execz .LBB57_950
.LBB57_3000:
	v_cmp_ne_u16_e32 vcc, 0, v6
	s_andn2_b64 s[4:5], s[4:5], exec
	s_and_b64 s[8:9], vcc, exec
	v_mov_b32_e32 v10, 0
	s_or_b64 s[4:5], s[4:5], s[8:9]
	s_or_b64 exec, exec, s[6:7]
	s_and_saveexec_b64 s[6:7], s[4:5]
	s_cbranch_execnz .LBB57_951
	s_branch .LBB57_952
.LBB57_3001:
	s_movk_i32 s4, 0x80
	v_cmp_eq_u16_sdwa s[12:13], v7, s4 src0_sel:BYTE_3 src1_sel:DWORD
	s_mov_b64 s[4:5], -1
                                        ; implicit-def: $sgpr10
	s_and_saveexec_b64 s[8:9], s[12:13]
; %bb.3002:
	s_mov_b32 s10, 0x7f800001
	s_xor_b64 s[4:5], exec, -1
; %bb.3003:
	s_or_b64 exec, exec, s[8:9]
	s_and_b64 s[4:5], s[4:5], exec
	s_or_saveexec_b64 s[6:7], s[6:7]
	v_mov_b32_e32 v2, s10
	s_xor_b64 exec, exec, s[6:7]
	s_cbranch_execz .LBB57_954
.LBB57_3004:
	v_mov_b32_e32 v2, 0
	v_cmp_ne_u16_sdwa s[8:9], v7, v2 src0_sel:BYTE_3 src1_sel:DWORD
	s_andn2_b64 s[4:5], s[4:5], exec
	s_and_b64 s[8:9], s[8:9], exec
	s_or_b64 s[4:5], s[4:5], s[8:9]
	s_or_b64 exec, exec, s[6:7]
	s_and_saveexec_b64 s[6:7], s[4:5]
	s_cbranch_execnz .LBB57_955
	s_branch .LBB57_956
.LBB57_3005:
	s_movk_i32 s4, 0x80
	v_cmp_eq_u16_sdwa s[12:13], v3, s4 src0_sel:BYTE_3 src1_sel:DWORD
	s_mov_b64 s[4:5], -1
                                        ; implicit-def: $sgpr10
	s_and_saveexec_b64 s[8:9], s[12:13]
; %bb.3006:
	s_mov_b32 s10, 0x7f800001
	s_xor_b64 s[4:5], exec, -1
; %bb.3007:
	s_or_b64 exec, exec, s[8:9]
	s_and_b64 s[4:5], s[4:5], exec
	s_or_saveexec_b64 s[6:7], s[6:7]
	v_mov_b32_e32 v6, s10
	s_xor_b64 exec, exec, s[6:7]
	s_cbranch_execz .LBB57_958
.LBB57_3008:
	v_mov_b32_e32 v6, 0
	v_cmp_ne_u16_sdwa s[8:9], v3, v6 src0_sel:BYTE_3 src1_sel:DWORD
	s_andn2_b64 s[4:5], s[4:5], exec
	s_and_b64 s[8:9], s[8:9], exec
	s_or_b64 s[4:5], s[4:5], s[8:9]
	s_or_b64 exec, exec, s[6:7]
	s_and_saveexec_b64 s[6:7], s[4:5]
	s_cbranch_execnz .LBB57_959
	s_branch .LBB57_960
.LBB57_3009:
	s_movk_i32 s4, 0x80
	v_cmp_eq_u16_sdwa s[12:13], v8, s4 src0_sel:BYTE_0 src1_sel:DWORD
	s_mov_b64 s[4:5], -1
                                        ; implicit-def: $sgpr10
	s_and_saveexec_b64 s[8:9], s[12:13]
; %bb.3010:
	s_mov_b32 s10, 0x7f800001
	s_xor_b64 s[4:5], exec, -1
; %bb.3011:
	s_or_b64 exec, exec, s[8:9]
	s_and_b64 s[4:5], s[4:5], exec
	s_or_saveexec_b64 s[6:7], s[6:7]
	v_mov_b32_e32 v2, s10
	s_xor_b64 exec, exec, s[6:7]
	s_cbranch_execz .LBB57_962
.LBB57_3012:
	v_mov_b32_e32 v2, 0
	v_cmp_ne_u16_sdwa s[8:9], v8, v2 src0_sel:BYTE_0 src1_sel:DWORD
	s_andn2_b64 s[4:5], s[4:5], exec
	s_and_b64 s[8:9], s[8:9], exec
	s_or_b64 s[4:5], s[4:5], s[8:9]
	s_or_b64 exec, exec, s[6:7]
	s_and_saveexec_b64 s[6:7], s[4:5]
	s_cbranch_execnz .LBB57_963
	s_branch .LBB57_964
.LBB57_3013:
	s_movk_i32 s4, 0x80
	v_cmp_eq_u16_sdwa s[12:13], v4, s4 src0_sel:BYTE_0 src1_sel:DWORD
	s_mov_b64 s[4:5], -1
                                        ; implicit-def: $sgpr10
	s_and_saveexec_b64 s[8:9], s[12:13]
; %bb.3014:
	s_mov_b32 s10, 0x7f800001
	s_xor_b64 s[4:5], exec, -1
; %bb.3015:
	s_or_b64 exec, exec, s[8:9]
	s_and_b64 s[4:5], s[4:5], exec
	s_or_saveexec_b64 s[6:7], s[6:7]
	v_mov_b32_e32 v3, s10
	s_xor_b64 exec, exec, s[6:7]
	s_cbranch_execz .LBB57_966
.LBB57_3016:
	v_mov_b32_e32 v3, 0
	v_cmp_ne_u16_sdwa s[8:9], v4, v3 src0_sel:BYTE_0 src1_sel:DWORD
	s_andn2_b64 s[4:5], s[4:5], exec
	s_and_b64 s[8:9], s[8:9], exec
	s_or_b64 s[4:5], s[4:5], s[8:9]
	s_or_b64 exec, exec, s[6:7]
	s_and_saveexec_b64 s[6:7], s[4:5]
	s_cbranch_execnz .LBB57_967
	s_branch .LBB57_968
.LBB57_3017:
	s_movk_i32 s4, 0x80
	v_cmp_eq_u16_sdwa s[12:13], v3, s4 src0_sel:BYTE_0 src1_sel:DWORD
	s_mov_b64 s[4:5], -1
                                        ; implicit-def: $sgpr10
	s_and_saveexec_b64 s[8:9], s[12:13]
; %bb.3018:
	s_mov_b32 s10, 0x7f800001
	s_xor_b64 s[4:5], exec, -1
; %bb.3019:
	s_or_b64 exec, exec, s[8:9]
	s_and_b64 s[4:5], s[4:5], exec
	s_or_saveexec_b64 s[6:7], s[6:7]
	v_mov_b32_e32 v2, s10
	s_xor_b64 exec, exec, s[6:7]
	s_cbranch_execz .LBB57_970
.LBB57_3020:
	v_mov_b32_e32 v2, 0
	v_cmp_ne_u16_sdwa s[8:9], v3, v2 src0_sel:BYTE_0 src1_sel:DWORD
	s_andn2_b64 s[4:5], s[4:5], exec
	s_and_b64 s[8:9], s[8:9], exec
	s_or_b64 s[4:5], s[4:5], s[8:9]
	s_or_b64 exec, exec, s[6:7]
	s_and_saveexec_b64 s[6:7], s[4:5]
	s_cbranch_execnz .LBB57_971
	s_branch .LBB57_972
.LBB57_3021:
	s_movk_i32 s4, 0x80
	v_cmp_eq_u16_sdwa s[12:13], v3, s4 src0_sel:BYTE_0 src1_sel:DWORD
	s_mov_b64 s[4:5], -1
                                        ; implicit-def: $sgpr10
	s_and_saveexec_b64 s[8:9], s[12:13]
; %bb.3022:
	s_mov_b32 s10, 0x7f800001
	s_xor_b64 s[4:5], exec, -1
; %bb.3023:
	s_or_b64 exec, exec, s[8:9]
	s_and_b64 s[4:5], s[4:5], exec
	s_or_saveexec_b64 s[6:7], s[6:7]
	v_mov_b32_e32 v6, s10
	s_xor_b64 exec, exec, s[6:7]
	s_cbranch_execz .LBB57_974
.LBB57_3024:
	v_mov_b32_e32 v6, 0
	v_cmp_ne_u16_sdwa s[8:9], v3, v6 src0_sel:BYTE_0 src1_sel:DWORD
	s_andn2_b64 s[4:5], s[4:5], exec
	s_and_b64 s[8:9], s[8:9], exec
	s_or_b64 s[4:5], s[4:5], s[8:9]
	s_or_b64 exec, exec, s[6:7]
	s_and_saveexec_b64 s[6:7], s[4:5]
	s_cbranch_execnz .LBB57_975
	s_branch .LBB57_976
.LBB57_3025:
	s_movk_i32 s4, 0x80
	v_cmp_eq_u16_e32 vcc, s4, v3
	s_mov_b64 s[4:5], -1
                                        ; implicit-def: $sgpr10
	s_and_saveexec_b64 s[8:9], vcc
; %bb.3026:
	s_mov_b32 s10, 0x7f800001
	s_xor_b64 s[4:5], exec, -1
; %bb.3027:
	s_or_b64 exec, exec, s[8:9]
	s_and_b64 s[4:5], s[4:5], exec
                                        ; implicit-def: $vgpr3
	s_or_saveexec_b64 s[6:7], s[6:7]
	v_mov_b32_e32 v2, s10
	s_xor_b64 exec, exec, s[6:7]
	s_cbranch_execz .LBB57_978
.LBB57_3028:
	v_cmp_ne_u16_e32 vcc, 0, v3
	s_andn2_b64 s[4:5], s[4:5], exec
	s_and_b64 s[8:9], vcc, exec
	v_mov_b32_e32 v2, 0
	s_or_b64 s[4:5], s[4:5], s[8:9]
	s_or_b64 exec, exec, s[6:7]
	s_and_saveexec_b64 s[6:7], s[4:5]
	s_cbranch_execnz .LBB57_979
	s_branch .LBB57_980
.LBB57_3029:
	s_movk_i32 s4, 0x80
	v_cmp_eq_u16_e32 vcc, s4, v3
	s_mov_b64 s[4:5], -1
                                        ; implicit-def: $sgpr10
	s_and_saveexec_b64 s[8:9], vcc
; %bb.3030:
	s_mov_b32 s10, 0x7f800001
	s_xor_b64 s[4:5], exec, -1
; %bb.3031:
	s_or_b64 exec, exec, s[8:9]
	s_and_b64 s[4:5], s[4:5], exec
                                        ; implicit-def: $vgpr3
	s_or_saveexec_b64 s[6:7], s[6:7]
	v_mov_b32_e32 v6, s10
	s_xor_b64 exec, exec, s[6:7]
	s_cbranch_execz .LBB57_982
.LBB57_3032:
	v_cmp_ne_u16_e32 vcc, 0, v3
	s_andn2_b64 s[4:5], s[4:5], exec
	s_and_b64 s[8:9], vcc, exec
	v_mov_b32_e32 v6, 0
	s_or_b64 s[4:5], s[4:5], s[8:9]
	s_or_b64 exec, exec, s[6:7]
	s_and_saveexec_b64 s[6:7], s[4:5]
	s_cbranch_execnz .LBB57_983
	s_branch .LBB57_984
.LBB57_3033:
	s_movk_i32 s4, 0x80
	v_cmp_eq_u16_sdwa s[12:13], v8, s4 src0_sel:BYTE_3 src1_sel:DWORD
	s_mov_b64 s[4:5], -1
                                        ; implicit-def: $sgpr10
	s_and_saveexec_b64 s[8:9], s[12:13]
; %bb.3034:
	s_mov_b32 s10, 0x7f800001
	s_xor_b64 s[4:5], exec, -1
; %bb.3035:
	s_or_b64 exec, exec, s[8:9]
	s_and_b64 s[4:5], s[4:5], exec
	s_or_saveexec_b64 s[6:7], s[6:7]
	v_mov_b32_e32 v2, s10
	s_xor_b64 exec, exec, s[6:7]
	s_cbranch_execz .LBB57_986
.LBB57_3036:
	v_mov_b32_e32 v2, 0
	v_cmp_ne_u16_sdwa s[8:9], v8, v2 src0_sel:BYTE_3 src1_sel:DWORD
	s_andn2_b64 s[4:5], s[4:5], exec
	s_and_b64 s[8:9], s[8:9], exec
	s_or_b64 s[4:5], s[4:5], s[8:9]
	s_or_b64 exec, exec, s[6:7]
	s_and_saveexec_b64 s[6:7], s[4:5]
	s_cbranch_execnz .LBB57_987
	s_branch .LBB57_988
.LBB57_3037:
	s_movk_i32 s4, 0x80
	v_cmp_eq_u16_sdwa s[12:13], v4, s4 src0_sel:BYTE_3 src1_sel:DWORD
	s_mov_b64 s[4:5], -1
                                        ; implicit-def: $sgpr10
	s_and_saveexec_b64 s[8:9], s[12:13]
; %bb.3038:
	s_mov_b32 s10, 0x7f800001
	s_xor_b64 s[4:5], exec, -1
; %bb.3039:
	s_or_b64 exec, exec, s[8:9]
	s_and_b64 s[4:5], s[4:5], exec
	s_or_saveexec_b64 s[6:7], s[6:7]
	v_mov_b32_e32 v3, s10
	s_xor_b64 exec, exec, s[6:7]
	s_cbranch_execz .LBB57_990
.LBB57_3040:
	v_mov_b32_e32 v3, 0
	v_cmp_ne_u16_sdwa s[8:9], v4, v3 src0_sel:BYTE_3 src1_sel:DWORD
	s_andn2_b64 s[4:5], s[4:5], exec
	s_and_b64 s[8:9], s[8:9], exec
	s_or_b64 s[4:5], s[4:5], s[8:9]
	s_or_b64 exec, exec, s[6:7]
	s_and_saveexec_b64 s[6:7], s[4:5]
	s_cbranch_execnz .LBB57_991
	s_branch .LBB57_992
.LBB57_3041:
	s_movk_i32 s4, 0x80
	v_cmp_eq_u16_sdwa s[12:13], v9, s4 src0_sel:BYTE_0 src1_sel:DWORD
	s_mov_b64 s[4:5], -1
                                        ; implicit-def: $sgpr10
	s_and_saveexec_b64 s[8:9], s[12:13]
; %bb.3042:
	s_mov_b32 s10, 0x7f800001
	s_xor_b64 s[4:5], exec, -1
; %bb.3043:
	s_or_b64 exec, exec, s[8:9]
	s_and_b64 s[4:5], s[4:5], exec
	s_or_saveexec_b64 s[6:7], s[6:7]
	v_mov_b32_e32 v2, s10
	s_xor_b64 exec, exec, s[6:7]
	s_cbranch_execz .LBB57_994
.LBB57_3044:
	v_mov_b32_e32 v2, 0
	v_cmp_ne_u16_sdwa s[8:9], v9, v2 src0_sel:BYTE_0 src1_sel:DWORD
	s_andn2_b64 s[4:5], s[4:5], exec
	s_and_b64 s[8:9], s[8:9], exec
	s_or_b64 s[4:5], s[4:5], s[8:9]
	s_or_b64 exec, exec, s[6:7]
	s_and_saveexec_b64 s[6:7], s[4:5]
	s_cbranch_execnz .LBB57_995
	s_branch .LBB57_996
.LBB57_3045:
	s_movk_i32 s4, 0x80
	v_cmp_eq_u16_sdwa s[12:13], v5, s4 src0_sel:BYTE_0 src1_sel:DWORD
	s_mov_b64 s[4:5], -1
                                        ; implicit-def: $sgpr10
	s_and_saveexec_b64 s[8:9], s[12:13]
; %bb.3046:
	s_mov_b32 s10, 0x7f800001
	s_xor_b64 s[4:5], exec, -1
; %bb.3047:
	s_or_b64 exec, exec, s[8:9]
	s_and_b64 s[4:5], s[4:5], exec
	s_or_saveexec_b64 s[6:7], s[6:7]
	v_mov_b32_e32 v3, s10
	s_xor_b64 exec, exec, s[6:7]
	s_cbranch_execz .LBB57_998
.LBB57_3048:
	v_mov_b32_e32 v3, 0
	v_cmp_ne_u16_sdwa s[8:9], v5, v3 src0_sel:BYTE_0 src1_sel:DWORD
	s_andn2_b64 s[4:5], s[4:5], exec
	s_and_b64 s[8:9], s[8:9], exec
	s_or_b64 s[4:5], s[4:5], s[8:9]
	s_or_b64 exec, exec, s[6:7]
	s_and_saveexec_b64 s[6:7], s[4:5]
	s_cbranch_execnz .LBB57_999
	s_branch .LBB57_1000
.LBB57_3049:
	s_movk_i32 s4, 0x80
	v_cmp_eq_u16_sdwa s[12:13], v3, s4 src0_sel:BYTE_0 src1_sel:DWORD
	s_mov_b64 s[4:5], -1
                                        ; implicit-def: $sgpr10
	s_and_saveexec_b64 s[8:9], s[12:13]
; %bb.3050:
	s_mov_b32 s10, 0x7f800001
	s_xor_b64 s[4:5], exec, -1
; %bb.3051:
	s_or_b64 exec, exec, s[8:9]
	s_and_b64 s[4:5], s[4:5], exec
	s_or_saveexec_b64 s[6:7], s[6:7]
	v_mov_b32_e32 v2, s10
	s_xor_b64 exec, exec, s[6:7]
	s_cbranch_execz .LBB57_1002
.LBB57_3052:
	v_mov_b32_e32 v2, 0
	v_cmp_ne_u16_sdwa s[8:9], v3, v2 src0_sel:BYTE_0 src1_sel:DWORD
	s_andn2_b64 s[4:5], s[4:5], exec
	s_and_b64 s[8:9], s[8:9], exec
	s_or_b64 s[4:5], s[4:5], s[8:9]
	s_or_b64 exec, exec, s[6:7]
	s_and_saveexec_b64 s[6:7], s[4:5]
	s_cbranch_execnz .LBB57_1003
	s_branch .LBB57_1004
.LBB57_3053:
	s_movk_i32 s4, 0x80
	v_cmp_eq_u16_sdwa s[12:13], v3, s4 src0_sel:BYTE_0 src1_sel:DWORD
	s_mov_b64 s[4:5], -1
                                        ; implicit-def: $sgpr10
	s_and_saveexec_b64 s[8:9], s[12:13]
; %bb.3054:
	s_mov_b32 s10, 0x7f800001
	s_xor_b64 s[4:5], exec, -1
; %bb.3055:
	s_or_b64 exec, exec, s[8:9]
	s_and_b64 s[4:5], s[4:5], exec
	s_or_saveexec_b64 s[6:7], s[6:7]
	v_mov_b32_e32 v4, s10
	s_xor_b64 exec, exec, s[6:7]
	s_cbranch_execz .LBB57_1006
.LBB57_3056:
	v_mov_b32_e32 v4, 0
	v_cmp_ne_u16_sdwa s[8:9], v3, v4 src0_sel:BYTE_0 src1_sel:DWORD
	s_andn2_b64 s[4:5], s[4:5], exec
	s_and_b64 s[8:9], s[8:9], exec
	s_or_b64 s[4:5], s[4:5], s[8:9]
	s_or_b64 exec, exec, s[6:7]
	s_and_saveexec_b64 s[6:7], s[4:5]
	s_cbranch_execnz .LBB57_1007
	s_branch .LBB57_1008
.LBB57_3057:
	s_movk_i32 s4, 0x80
	v_cmp_eq_u16_e32 vcc, s4, v3
	s_mov_b64 s[4:5], -1
                                        ; implicit-def: $sgpr10
	s_and_saveexec_b64 s[8:9], vcc
; %bb.3058:
	s_mov_b32 s10, 0x7f800001
	s_xor_b64 s[4:5], exec, -1
; %bb.3059:
	s_or_b64 exec, exec, s[8:9]
	s_and_b64 s[4:5], s[4:5], exec
                                        ; implicit-def: $vgpr3
	s_or_saveexec_b64 s[6:7], s[6:7]
	v_mov_b32_e32 v2, s10
	s_xor_b64 exec, exec, s[6:7]
	s_cbranch_execz .LBB57_1010
.LBB57_3060:
	v_cmp_ne_u16_e32 vcc, 0, v3
	s_andn2_b64 s[4:5], s[4:5], exec
	s_and_b64 s[8:9], vcc, exec
	v_mov_b32_e32 v2, 0
	s_or_b64 s[4:5], s[4:5], s[8:9]
	s_or_b64 exec, exec, s[6:7]
	s_and_saveexec_b64 s[6:7], s[4:5]
	s_cbranch_execnz .LBB57_1011
	s_branch .LBB57_1012
.LBB57_3061:
	s_movk_i32 s4, 0x80
	v_cmp_eq_u16_e32 vcc, s4, v3
	s_mov_b64 s[4:5], -1
                                        ; implicit-def: $sgpr10
	s_and_saveexec_b64 s[8:9], vcc
; %bb.3062:
	s_mov_b32 s10, 0x7f800001
	s_xor_b64 s[4:5], exec, -1
; %bb.3063:
	s_or_b64 exec, exec, s[8:9]
	s_and_b64 s[4:5], s[4:5], exec
                                        ; implicit-def: $vgpr3
	s_or_saveexec_b64 s[6:7], s[6:7]
	v_mov_b32_e32 v4, s10
	s_xor_b64 exec, exec, s[6:7]
	s_cbranch_execz .LBB57_1014
.LBB57_3064:
	v_cmp_ne_u16_e32 vcc, 0, v3
	s_andn2_b64 s[4:5], s[4:5], exec
	s_and_b64 s[8:9], vcc, exec
	v_mov_b32_e32 v4, 0
	s_or_b64 s[4:5], s[4:5], s[8:9]
	s_or_b64 exec, exec, s[6:7]
	s_and_saveexec_b64 s[6:7], s[4:5]
	s_cbranch_execnz .LBB57_1015
	s_branch .LBB57_1016
.LBB57_3065:
	s_movk_i32 s4, 0x80
	v_cmp_eq_u16_sdwa s[12:13], v9, s4 src0_sel:BYTE_3 src1_sel:DWORD
	s_mov_b64 s[4:5], -1
                                        ; implicit-def: $sgpr10
	s_and_saveexec_b64 s[8:9], s[12:13]
; %bb.3066:
	s_mov_b32 s10, 0x7f800001
	s_xor_b64 s[4:5], exec, -1
; %bb.3067:
	s_or_b64 exec, exec, s[8:9]
	s_and_b64 s[4:5], s[4:5], exec
	s_or_saveexec_b64 s[6:7], s[6:7]
	v_mov_b32_e32 v2, s10
	s_xor_b64 exec, exec, s[6:7]
	s_cbranch_execz .LBB57_1018
.LBB57_3068:
	v_mov_b32_e32 v2, 0
	v_cmp_ne_u16_sdwa s[8:9], v9, v2 src0_sel:BYTE_3 src1_sel:DWORD
	s_andn2_b64 s[4:5], s[4:5], exec
	s_and_b64 s[8:9], s[8:9], exec
	s_or_b64 s[4:5], s[4:5], s[8:9]
	s_or_b64 exec, exec, s[6:7]
	s_and_saveexec_b64 s[6:7], s[4:5]
	s_cbranch_execnz .LBB57_1019
	s_branch .LBB57_1020
.LBB57_3069:
	s_movk_i32 s4, 0x80
	v_cmp_eq_u16_sdwa s[12:13], v5, s4 src0_sel:BYTE_3 src1_sel:DWORD
	s_mov_b64 s[4:5], -1
                                        ; implicit-def: $sgpr10
	s_and_saveexec_b64 s[8:9], s[12:13]
; %bb.3070:
	s_mov_b32 s10, 0x7f800001
	s_xor_b64 s[4:5], exec, -1
; %bb.3071:
	s_or_b64 exec, exec, s[8:9]
	s_and_b64 s[4:5], s[4:5], exec
	s_or_saveexec_b64 s[6:7], s[6:7]
	v_mov_b32_e32 v3, s10
	s_xor_b64 exec, exec, s[6:7]
	s_cbranch_execz .LBB57_1022
.LBB57_3072:
	v_mov_b32_e32 v3, 0
	v_cmp_ne_u16_sdwa s[8:9], v5, v3 src0_sel:BYTE_3 src1_sel:DWORD
	s_andn2_b64 s[4:5], s[4:5], exec
	s_and_b64 s[8:9], s[8:9], exec
	s_or_b64 s[4:5], s[4:5], s[8:9]
	s_or_b64 exec, exec, s[6:7]
	s_and_saveexec_b64 s[6:7], s[4:5]
	s_cbranch_execnz .LBB57_1023
	s_branch .LBB57_1024
.LBB57_3073:
	s_movk_i32 s4, 0x80
	v_cmp_eq_u16_sdwa s[12:13], v14, s4 src0_sel:BYTE_0 src1_sel:DWORD
	s_mov_b64 s[4:5], -1
                                        ; implicit-def: $sgpr10
	s_and_saveexec_b64 s[8:9], s[12:13]
; %bb.3074:
	s_mov_b32 s10, 0x7f800001
	s_xor_b64 s[4:5], exec, -1
; %bb.3075:
	s_or_b64 exec, exec, s[8:9]
	s_and_b64 s[4:5], s[4:5], exec
	s_or_saveexec_b64 s[6:7], s[6:7]
	v_mov_b32_e32 v20, s10
	s_xor_b64 exec, exec, s[6:7]
	s_cbranch_execz .LBB57_1026
.LBB57_3076:
	v_mov_b32_e32 v20, 0
	v_cmp_ne_u16_sdwa s[8:9], v14, v20 src0_sel:BYTE_0 src1_sel:DWORD
	s_andn2_b64 s[4:5], s[4:5], exec
	s_and_b64 s[8:9], s[8:9], exec
	s_or_b64 s[4:5], s[4:5], s[8:9]
	s_or_b64 exec, exec, s[6:7]
	s_and_saveexec_b64 s[6:7], s[4:5]
	s_cbranch_execnz .LBB57_1027
	s_branch .LBB57_1028
.LBB57_3077:
	s_movk_i32 s4, 0x80
	v_cmp_eq_u16_sdwa s[12:13], v10, s4 src0_sel:BYTE_0 src1_sel:DWORD
	s_mov_b64 s[4:5], -1
                                        ; implicit-def: $sgpr10
	s_and_saveexec_b64 s[8:9], s[12:13]
; %bb.3078:
	s_mov_b32 s10, 0x7f800001
	s_xor_b64 s[4:5], exec, -1
; %bb.3079:
	s_or_b64 exec, exec, s[8:9]
	s_and_b64 s[4:5], s[4:5], exec
	s_or_saveexec_b64 s[6:7], s[6:7]
	v_mov_b32_e32 v21, s10
	s_xor_b64 exec, exec, s[6:7]
	s_cbranch_execz .LBB57_1030
.LBB57_3080:
	v_mov_b32_e32 v21, 0
	v_cmp_ne_u16_sdwa s[8:9], v10, v21 src0_sel:BYTE_0 src1_sel:DWORD
	s_andn2_b64 s[4:5], s[4:5], exec
	s_and_b64 s[8:9], s[8:9], exec
	s_or_b64 s[4:5], s[4:5], s[8:9]
	s_or_b64 exec, exec, s[6:7]
	s_and_saveexec_b64 s[6:7], s[4:5]
	s_cbranch_execnz .LBB57_1031
	s_branch .LBB57_1032
.LBB57_3081:
	s_movk_i32 s4, 0x80
	v_cmp_eq_u16_sdwa s[12:13], v21, s4 src0_sel:BYTE_0 src1_sel:DWORD
	s_mov_b64 s[4:5], -1
                                        ; implicit-def: $sgpr10
	s_and_saveexec_b64 s[8:9], s[12:13]
; %bb.3082:
	s_mov_b32 s10, 0x7f800001
	s_xor_b64 s[4:5], exec, -1
; %bb.3083:
	s_or_b64 exec, exec, s[8:9]
	s_and_b64 s[4:5], s[4:5], exec
	s_or_saveexec_b64 s[6:7], s[6:7]
	v_mov_b32_e32 v20, s10
	s_xor_b64 exec, exec, s[6:7]
	s_cbranch_execz .LBB57_1034
.LBB57_3084:
	v_mov_b32_e32 v20, 0
	v_cmp_ne_u16_sdwa s[8:9], v21, v20 src0_sel:BYTE_0 src1_sel:DWORD
	s_andn2_b64 s[4:5], s[4:5], exec
	s_and_b64 s[8:9], s[8:9], exec
	s_or_b64 s[4:5], s[4:5], s[8:9]
	s_or_b64 exec, exec, s[6:7]
	s_and_saveexec_b64 s[6:7], s[4:5]
	s_cbranch_execnz .LBB57_1035
	s_branch .LBB57_1036
.LBB57_3085:
	s_movk_i32 s4, 0x80
	v_cmp_eq_u16_sdwa s[12:13], v21, s4 src0_sel:BYTE_0 src1_sel:DWORD
	s_mov_b64 s[4:5], -1
                                        ; implicit-def: $sgpr10
	s_and_saveexec_b64 s[8:9], s[12:13]
; %bb.3086:
	s_mov_b32 s10, 0x7f800001
	s_xor_b64 s[4:5], exec, -1
; %bb.3087:
	s_or_b64 exec, exec, s[8:9]
	s_and_b64 s[4:5], s[4:5], exec
	s_or_saveexec_b64 s[6:7], s[6:7]
	v_mov_b32_e32 v22, s10
	s_xor_b64 exec, exec, s[6:7]
	s_cbranch_execz .LBB57_1038
.LBB57_3088:
	v_mov_b32_e32 v22, 0
	v_cmp_ne_u16_sdwa s[8:9], v21, v22 src0_sel:BYTE_0 src1_sel:DWORD
	s_andn2_b64 s[4:5], s[4:5], exec
	s_and_b64 s[8:9], s[8:9], exec
	s_or_b64 s[4:5], s[4:5], s[8:9]
	s_or_b64 exec, exec, s[6:7]
	s_and_saveexec_b64 s[6:7], s[4:5]
	s_cbranch_execnz .LBB57_1039
	s_branch .LBB57_1040
.LBB57_3089:
	s_movk_i32 s4, 0x80
	v_cmp_eq_u16_e32 vcc, s4, v21
	s_mov_b64 s[4:5], -1
                                        ; implicit-def: $sgpr10
	s_and_saveexec_b64 s[8:9], vcc
; %bb.3090:
	s_mov_b32 s10, 0x7f800001
	s_xor_b64 s[4:5], exec, -1
; %bb.3091:
	s_or_b64 exec, exec, s[8:9]
	s_and_b64 s[4:5], s[4:5], exec
                                        ; implicit-def: $vgpr21
	s_or_saveexec_b64 s[6:7], s[6:7]
	v_mov_b32_e32 v20, s10
	s_xor_b64 exec, exec, s[6:7]
	s_cbranch_execz .LBB57_1042
.LBB57_3092:
	v_cmp_ne_u16_e32 vcc, 0, v21
	s_andn2_b64 s[4:5], s[4:5], exec
	s_and_b64 s[8:9], vcc, exec
	v_mov_b32_e32 v20, 0
	s_or_b64 s[4:5], s[4:5], s[8:9]
	s_or_b64 exec, exec, s[6:7]
	s_and_saveexec_b64 s[6:7], s[4:5]
	s_cbranch_execnz .LBB57_1043
	s_branch .LBB57_1044
.LBB57_3093:
	s_movk_i32 s4, 0x80
	v_cmp_eq_u16_e32 vcc, s4, v21
	s_mov_b64 s[4:5], -1
                                        ; implicit-def: $sgpr10
	s_and_saveexec_b64 s[8:9], vcc
; %bb.3094:
	s_mov_b32 s10, 0x7f800001
	s_xor_b64 s[4:5], exec, -1
; %bb.3095:
	s_or_b64 exec, exec, s[8:9]
	s_and_b64 s[4:5], s[4:5], exec
                                        ; implicit-def: $vgpr21
	s_or_saveexec_b64 s[6:7], s[6:7]
	v_mov_b32_e32 v22, s10
	s_xor_b64 exec, exec, s[6:7]
	s_cbranch_execz .LBB57_1046
.LBB57_3096:
	v_cmp_ne_u16_e32 vcc, 0, v21
	s_andn2_b64 s[4:5], s[4:5], exec
	s_and_b64 s[8:9], vcc, exec
	v_mov_b32_e32 v22, 0
	s_or_b64 s[4:5], s[4:5], s[8:9]
	s_or_b64 exec, exec, s[6:7]
	s_and_saveexec_b64 s[6:7], s[4:5]
	s_cbranch_execnz .LBB57_1047
	s_branch .LBB57_1048
.LBB57_3097:
	s_movk_i32 s4, 0x80
	v_cmp_eq_u16_sdwa s[12:13], v14, s4 src0_sel:BYTE_3 src1_sel:DWORD
	s_mov_b64 s[4:5], -1
                                        ; implicit-def: $sgpr10
	s_and_saveexec_b64 s[8:9], s[12:13]
; %bb.3098:
	s_mov_b32 s10, 0x7f800001
	s_xor_b64 s[4:5], exec, -1
; %bb.3099:
	s_or_b64 exec, exec, s[8:9]
	s_and_b64 s[4:5], s[4:5], exec
	s_or_saveexec_b64 s[6:7], s[6:7]
	v_mov_b32_e32 v20, s10
	s_xor_b64 exec, exec, s[6:7]
	s_cbranch_execz .LBB57_1050
.LBB57_3100:
	v_mov_b32_e32 v20, 0
	v_cmp_ne_u16_sdwa s[8:9], v14, v20 src0_sel:BYTE_3 src1_sel:DWORD
	s_andn2_b64 s[4:5], s[4:5], exec
	s_and_b64 s[8:9], s[8:9], exec
	s_or_b64 s[4:5], s[4:5], s[8:9]
	s_or_b64 exec, exec, s[6:7]
	s_and_saveexec_b64 s[6:7], s[4:5]
	s_cbranch_execnz .LBB57_1051
	s_branch .LBB57_1052
.LBB57_3101:
	s_movk_i32 s4, 0x80
	v_cmp_eq_u16_sdwa s[12:13], v10, s4 src0_sel:BYTE_3 src1_sel:DWORD
	s_mov_b64 s[4:5], -1
                                        ; implicit-def: $sgpr10
	s_and_saveexec_b64 s[8:9], s[12:13]
; %bb.3102:
	s_mov_b32 s10, 0x7f800001
	s_xor_b64 s[4:5], exec, -1
; %bb.3103:
	s_or_b64 exec, exec, s[8:9]
	s_and_b64 s[4:5], s[4:5], exec
	s_or_saveexec_b64 s[6:7], s[6:7]
	v_mov_b32_e32 v14, s10
	s_xor_b64 exec, exec, s[6:7]
	s_cbranch_execz .LBB57_1054
.LBB57_3104:
	v_mov_b32_e32 v14, 0
	v_cmp_ne_u16_sdwa s[8:9], v10, v14 src0_sel:BYTE_3 src1_sel:DWORD
	s_andn2_b64 s[4:5], s[4:5], exec
	s_and_b64 s[8:9], s[8:9], exec
	s_or_b64 s[4:5], s[4:5], s[8:9]
	s_or_b64 exec, exec, s[6:7]
	s_and_saveexec_b64 s[6:7], s[4:5]
	s_cbranch_execnz .LBB57_1055
	s_branch .LBB57_1056
.LBB57_3105:
	s_movk_i32 s4, 0x80
	v_cmp_eq_u16_sdwa s[12:13], v15, s4 src0_sel:BYTE_0 src1_sel:DWORD
	s_mov_b64 s[4:5], -1
                                        ; implicit-def: $sgpr10
	s_and_saveexec_b64 s[8:9], s[12:13]
; %bb.3106:
	s_mov_b32 s10, 0x7f800001
	s_xor_b64 s[4:5], exec, -1
; %bb.3107:
	s_or_b64 exec, exec, s[8:9]
	s_and_b64 s[4:5], s[4:5], exec
	s_or_saveexec_b64 s[6:7], s[6:7]
	v_mov_b32_e32 v10, s10
	s_xor_b64 exec, exec, s[6:7]
	s_cbranch_execz .LBB57_1058
.LBB57_3108:
	v_mov_b32_e32 v10, 0
	v_cmp_ne_u16_sdwa s[8:9], v15, v10 src0_sel:BYTE_0 src1_sel:DWORD
	s_andn2_b64 s[4:5], s[4:5], exec
	s_and_b64 s[8:9], s[8:9], exec
	s_or_b64 s[4:5], s[4:5], s[8:9]
	s_or_b64 exec, exec, s[6:7]
	s_and_saveexec_b64 s[6:7], s[4:5]
	s_cbranch_execnz .LBB57_1059
	s_branch .LBB57_1060
.LBB57_3109:
	s_movk_i32 s4, 0x80
	v_cmp_eq_u16_sdwa s[12:13], v11, s4 src0_sel:BYTE_0 src1_sel:DWORD
	s_mov_b64 s[4:5], -1
                                        ; implicit-def: $sgpr10
	s_and_saveexec_b64 s[8:9], s[12:13]
; %bb.3110:
	s_mov_b32 s10, 0x7f800001
	s_xor_b64 s[4:5], exec, -1
; %bb.3111:
	s_or_b64 exec, exec, s[8:9]
	s_and_b64 s[4:5], s[4:5], exec
	s_or_saveexec_b64 s[6:7], s[6:7]
	v_mov_b32_e32 v14, s10
	s_xor_b64 exec, exec, s[6:7]
	s_cbranch_execz .LBB57_1062
.LBB57_3112:
	v_mov_b32_e32 v14, 0
	v_cmp_ne_u16_sdwa s[8:9], v11, v14 src0_sel:BYTE_0 src1_sel:DWORD
	s_andn2_b64 s[4:5], s[4:5], exec
	s_and_b64 s[8:9], s[8:9], exec
	s_or_b64 s[4:5], s[4:5], s[8:9]
	s_or_b64 exec, exec, s[6:7]
	s_and_saveexec_b64 s[6:7], s[4:5]
	s_cbranch_execnz .LBB57_1063
	s_branch .LBB57_1064
.LBB57_3113:
	s_movk_i32 s4, 0x80
	v_cmp_eq_u16_sdwa s[12:13], v14, s4 src0_sel:BYTE_0 src1_sel:DWORD
	s_mov_b64 s[4:5], -1
                                        ; implicit-def: $sgpr10
	s_and_saveexec_b64 s[8:9], s[12:13]
; %bb.3114:
	s_mov_b32 s10, 0x7f800001
	s_xor_b64 s[4:5], exec, -1
; %bb.3115:
	s_or_b64 exec, exec, s[8:9]
	s_and_b64 s[4:5], s[4:5], exec
	s_or_saveexec_b64 s[6:7], s[6:7]
	v_mov_b32_e32 v10, s10
	s_xor_b64 exec, exec, s[6:7]
	s_cbranch_execz .LBB57_1066
.LBB57_3116:
	v_mov_b32_e32 v10, 0
	v_cmp_ne_u16_sdwa s[8:9], v14, v10 src0_sel:BYTE_0 src1_sel:DWORD
	s_andn2_b64 s[4:5], s[4:5], exec
	s_and_b64 s[8:9], s[8:9], exec
	s_or_b64 s[4:5], s[4:5], s[8:9]
	s_or_b64 exec, exec, s[6:7]
	s_and_saveexec_b64 s[6:7], s[4:5]
	s_cbranch_execnz .LBB57_1067
	s_branch .LBB57_1068
.LBB57_3117:
	s_movk_i32 s4, 0x80
	v_cmp_eq_u16_sdwa s[12:13], v14, s4 src0_sel:BYTE_0 src1_sel:DWORD
	s_mov_b64 s[4:5], -1
                                        ; implicit-def: $sgpr10
	s_and_saveexec_b64 s[8:9], s[12:13]
; %bb.3118:
	s_mov_b32 s10, 0x7f800001
	s_xor_b64 s[4:5], exec, -1
; %bb.3119:
	s_or_b64 exec, exec, s[8:9]
	s_and_b64 s[4:5], s[4:5], exec
	s_or_saveexec_b64 s[6:7], s[6:7]
	v_mov_b32_e32 v20, s10
	s_xor_b64 exec, exec, s[6:7]
	s_cbranch_execz .LBB57_1070
.LBB57_3120:
	v_mov_b32_e32 v20, 0
	v_cmp_ne_u16_sdwa s[8:9], v14, v20 src0_sel:BYTE_0 src1_sel:DWORD
	s_andn2_b64 s[4:5], s[4:5], exec
	s_and_b64 s[8:9], s[8:9], exec
	s_or_b64 s[4:5], s[4:5], s[8:9]
	s_or_b64 exec, exec, s[6:7]
	s_and_saveexec_b64 s[6:7], s[4:5]
	s_cbranch_execnz .LBB57_1071
	s_branch .LBB57_1072
.LBB57_3121:
	s_movk_i32 s4, 0x80
	v_cmp_eq_u16_e32 vcc, s4, v14
	s_mov_b64 s[4:5], -1
                                        ; implicit-def: $sgpr10
	s_and_saveexec_b64 s[8:9], vcc
; %bb.3122:
	s_mov_b32 s10, 0x7f800001
	s_xor_b64 s[4:5], exec, -1
; %bb.3123:
	s_or_b64 exec, exec, s[8:9]
	s_and_b64 s[4:5], s[4:5], exec
                                        ; implicit-def: $vgpr14
	s_or_saveexec_b64 s[6:7], s[6:7]
	v_mov_b32_e32 v10, s10
	s_xor_b64 exec, exec, s[6:7]
	s_cbranch_execz .LBB57_1074
.LBB57_3124:
	v_cmp_ne_u16_e32 vcc, 0, v14
	s_andn2_b64 s[4:5], s[4:5], exec
	s_and_b64 s[8:9], vcc, exec
	v_mov_b32_e32 v10, 0
	s_or_b64 s[4:5], s[4:5], s[8:9]
	s_or_b64 exec, exec, s[6:7]
	s_and_saveexec_b64 s[6:7], s[4:5]
	s_cbranch_execnz .LBB57_1075
	s_branch .LBB57_1076
.LBB57_3125:
	s_movk_i32 s4, 0x80
	v_cmp_eq_u16_e32 vcc, s4, v14
	s_mov_b64 s[4:5], -1
                                        ; implicit-def: $sgpr10
	s_and_saveexec_b64 s[8:9], vcc
; %bb.3126:
	s_mov_b32 s10, 0x7f800001
	s_xor_b64 s[4:5], exec, -1
; %bb.3127:
	s_or_b64 exec, exec, s[8:9]
	s_and_b64 s[4:5], s[4:5], exec
                                        ; implicit-def: $vgpr14
	s_or_saveexec_b64 s[6:7], s[6:7]
	v_mov_b32_e32 v20, s10
	s_xor_b64 exec, exec, s[6:7]
	s_cbranch_execz .LBB57_1078
.LBB57_3128:
	v_cmp_ne_u16_e32 vcc, 0, v14
	s_andn2_b64 s[4:5], s[4:5], exec
	s_and_b64 s[8:9], vcc, exec
	v_mov_b32_e32 v20, 0
	s_or_b64 s[4:5], s[4:5], s[8:9]
	s_or_b64 exec, exec, s[6:7]
	s_and_saveexec_b64 s[6:7], s[4:5]
	s_cbranch_execnz .LBB57_1079
	s_branch .LBB57_1080
.LBB57_3129:
	s_movk_i32 s4, 0x80
	v_cmp_eq_u16_sdwa s[12:13], v15, s4 src0_sel:BYTE_3 src1_sel:DWORD
	s_mov_b64 s[4:5], -1
                                        ; implicit-def: $sgpr10
	s_and_saveexec_b64 s[8:9], s[12:13]
; %bb.3130:
	s_mov_b32 s10, 0x7f800001
	s_xor_b64 s[4:5], exec, -1
; %bb.3131:
	s_or_b64 exec, exec, s[8:9]
	s_and_b64 s[4:5], s[4:5], exec
	s_or_saveexec_b64 s[6:7], s[6:7]
	v_mov_b32_e32 v10, s10
	s_xor_b64 exec, exec, s[6:7]
	s_cbranch_execz .LBB57_1082
.LBB57_3132:
	v_mov_b32_e32 v10, 0
	v_cmp_ne_u16_sdwa s[8:9], v15, v10 src0_sel:BYTE_3 src1_sel:DWORD
	s_andn2_b64 s[4:5], s[4:5], exec
	s_and_b64 s[8:9], s[8:9], exec
	s_or_b64 s[4:5], s[4:5], s[8:9]
	s_or_b64 exec, exec, s[6:7]
	s_and_saveexec_b64 s[6:7], s[4:5]
	s_cbranch_execnz .LBB57_1083
	s_branch .LBB57_1084
.LBB57_3133:
	s_movk_i32 s4, 0x80
	v_cmp_eq_u16_sdwa s[12:13], v11, s4 src0_sel:BYTE_3 src1_sel:DWORD
	s_mov_b64 s[4:5], -1
                                        ; implicit-def: $sgpr10
	s_and_saveexec_b64 s[8:9], s[12:13]
; %bb.3134:
	s_mov_b32 s10, 0x7f800001
	s_xor_b64 s[4:5], exec, -1
; %bb.3135:
	s_or_b64 exec, exec, s[8:9]
	s_and_b64 s[4:5], s[4:5], exec
	s_or_saveexec_b64 s[6:7], s[6:7]
	v_mov_b32_e32 v14, s10
	s_xor_b64 exec, exec, s[6:7]
	s_cbranch_execz .LBB57_1086
.LBB57_3136:
	v_mov_b32_e32 v14, 0
	v_cmp_ne_u16_sdwa s[8:9], v11, v14 src0_sel:BYTE_3 src1_sel:DWORD
	s_andn2_b64 s[4:5], s[4:5], exec
	s_and_b64 s[8:9], s[8:9], exec
	s_or_b64 s[4:5], s[4:5], s[8:9]
	s_or_b64 exec, exec, s[6:7]
	s_and_saveexec_b64 s[6:7], s[4:5]
	s_cbranch_execnz .LBB57_1087
	s_branch .LBB57_1088
.LBB57_3137:
	s_movk_i32 s4, 0x80
	v_cmp_eq_u16_sdwa s[12:13], v16, s4 src0_sel:BYTE_0 src1_sel:DWORD
	s_mov_b64 s[4:5], -1
                                        ; implicit-def: $sgpr10
	s_and_saveexec_b64 s[8:9], s[12:13]
; %bb.3138:
	s_mov_b32 s10, 0x7f800001
	s_xor_b64 s[4:5], exec, -1
; %bb.3139:
	s_or_b64 exec, exec, s[8:9]
	s_and_b64 s[4:5], s[4:5], exec
	s_or_saveexec_b64 s[6:7], s[6:7]
	v_mov_b32_e32 v10, s10
	s_xor_b64 exec, exec, s[6:7]
	s_cbranch_execz .LBB57_1090
.LBB57_3140:
	v_mov_b32_e32 v10, 0
	v_cmp_ne_u16_sdwa s[8:9], v16, v10 src0_sel:BYTE_0 src1_sel:DWORD
	s_andn2_b64 s[4:5], s[4:5], exec
	s_and_b64 s[8:9], s[8:9], exec
	s_or_b64 s[4:5], s[4:5], s[8:9]
	s_or_b64 exec, exec, s[6:7]
	s_and_saveexec_b64 s[6:7], s[4:5]
	s_cbranch_execnz .LBB57_1091
	s_branch .LBB57_1092
.LBB57_3141:
	s_movk_i32 s4, 0x80
	v_cmp_eq_u16_sdwa s[12:13], v12, s4 src0_sel:BYTE_0 src1_sel:DWORD
	s_mov_b64 s[4:5], -1
                                        ; implicit-def: $sgpr10
	s_and_saveexec_b64 s[8:9], s[12:13]
; %bb.3142:
	s_mov_b32 s10, 0x7f800001
	s_xor_b64 s[4:5], exec, -1
; %bb.3143:
	s_or_b64 exec, exec, s[8:9]
	s_and_b64 s[4:5], s[4:5], exec
	s_or_saveexec_b64 s[6:7], s[6:7]
	v_mov_b32_e32 v11, s10
	s_xor_b64 exec, exec, s[6:7]
	s_cbranch_execz .LBB57_1094
.LBB57_3144:
	v_mov_b32_e32 v11, 0
	v_cmp_ne_u16_sdwa s[8:9], v12, v11 src0_sel:BYTE_0 src1_sel:DWORD
	s_andn2_b64 s[4:5], s[4:5], exec
	s_and_b64 s[8:9], s[8:9], exec
	s_or_b64 s[4:5], s[4:5], s[8:9]
	s_or_b64 exec, exec, s[6:7]
	s_and_saveexec_b64 s[6:7], s[4:5]
	s_cbranch_execnz .LBB57_1095
	s_branch .LBB57_1096
.LBB57_3145:
	s_movk_i32 s4, 0x80
	v_cmp_eq_u16_sdwa s[12:13], v11, s4 src0_sel:BYTE_0 src1_sel:DWORD
	s_mov_b64 s[4:5], -1
                                        ; implicit-def: $sgpr10
	s_and_saveexec_b64 s[8:9], s[12:13]
; %bb.3146:
	s_mov_b32 s10, 0x7f800001
	s_xor_b64 s[4:5], exec, -1
; %bb.3147:
	s_or_b64 exec, exec, s[8:9]
	s_and_b64 s[4:5], s[4:5], exec
	s_or_saveexec_b64 s[6:7], s[6:7]
	v_mov_b32_e32 v10, s10
	s_xor_b64 exec, exec, s[6:7]
	s_cbranch_execz .LBB57_1098
.LBB57_3148:
	v_mov_b32_e32 v10, 0
	v_cmp_ne_u16_sdwa s[8:9], v11, v10 src0_sel:BYTE_0 src1_sel:DWORD
	s_andn2_b64 s[4:5], s[4:5], exec
	s_and_b64 s[8:9], s[8:9], exec
	s_or_b64 s[4:5], s[4:5], s[8:9]
	s_or_b64 exec, exec, s[6:7]
	s_and_saveexec_b64 s[6:7], s[4:5]
	s_cbranch_execnz .LBB57_1099
	s_branch .LBB57_1100
.LBB57_3149:
	s_movk_i32 s4, 0x80
	v_cmp_eq_u16_sdwa s[12:13], v11, s4 src0_sel:BYTE_0 src1_sel:DWORD
	s_mov_b64 s[4:5], -1
                                        ; implicit-def: $sgpr10
	s_and_saveexec_b64 s[8:9], s[12:13]
; %bb.3150:
	s_mov_b32 s10, 0x7f800001
	s_xor_b64 s[4:5], exec, -1
; %bb.3151:
	s_or_b64 exec, exec, s[8:9]
	s_and_b64 s[4:5], s[4:5], exec
	s_or_saveexec_b64 s[6:7], s[6:7]
	v_mov_b32_e32 v14, s10
	s_xor_b64 exec, exec, s[6:7]
	s_cbranch_execz .LBB57_1102
.LBB57_3152:
	v_mov_b32_e32 v14, 0
	v_cmp_ne_u16_sdwa s[8:9], v11, v14 src0_sel:BYTE_0 src1_sel:DWORD
	s_andn2_b64 s[4:5], s[4:5], exec
	s_and_b64 s[8:9], s[8:9], exec
	s_or_b64 s[4:5], s[4:5], s[8:9]
	s_or_b64 exec, exec, s[6:7]
	s_and_saveexec_b64 s[6:7], s[4:5]
	s_cbranch_execnz .LBB57_1103
	s_branch .LBB57_1104
.LBB57_3153:
	s_movk_i32 s4, 0x80
	v_cmp_eq_u16_e32 vcc, s4, v11
	s_mov_b64 s[4:5], -1
                                        ; implicit-def: $sgpr10
	s_and_saveexec_b64 s[8:9], vcc
; %bb.3154:
	s_mov_b32 s10, 0x7f800001
	s_xor_b64 s[4:5], exec, -1
; %bb.3155:
	s_or_b64 exec, exec, s[8:9]
	s_and_b64 s[4:5], s[4:5], exec
                                        ; implicit-def: $vgpr11
	s_or_saveexec_b64 s[6:7], s[6:7]
	v_mov_b32_e32 v10, s10
	s_xor_b64 exec, exec, s[6:7]
	s_cbranch_execz .LBB57_1106
.LBB57_3156:
	v_cmp_ne_u16_e32 vcc, 0, v11
	s_andn2_b64 s[4:5], s[4:5], exec
	s_and_b64 s[8:9], vcc, exec
	v_mov_b32_e32 v10, 0
	s_or_b64 s[4:5], s[4:5], s[8:9]
	s_or_b64 exec, exec, s[6:7]
	s_and_saveexec_b64 s[6:7], s[4:5]
	s_cbranch_execnz .LBB57_1107
	s_branch .LBB57_1108
.LBB57_3157:
	s_movk_i32 s4, 0x80
	v_cmp_eq_u16_e32 vcc, s4, v11
	s_mov_b64 s[4:5], -1
                                        ; implicit-def: $sgpr10
	s_and_saveexec_b64 s[8:9], vcc
; %bb.3158:
	s_mov_b32 s10, 0x7f800001
	s_xor_b64 s[4:5], exec, -1
; %bb.3159:
	s_or_b64 exec, exec, s[8:9]
	s_and_b64 s[4:5], s[4:5], exec
                                        ; implicit-def: $vgpr11
	s_or_saveexec_b64 s[6:7], s[6:7]
	v_mov_b32_e32 v14, s10
	s_xor_b64 exec, exec, s[6:7]
	s_cbranch_execz .LBB57_1110
.LBB57_3160:
	v_cmp_ne_u16_e32 vcc, 0, v11
	s_andn2_b64 s[4:5], s[4:5], exec
	s_and_b64 s[8:9], vcc, exec
	v_mov_b32_e32 v14, 0
	s_or_b64 s[4:5], s[4:5], s[8:9]
	s_or_b64 exec, exec, s[6:7]
	s_and_saveexec_b64 s[6:7], s[4:5]
	s_cbranch_execnz .LBB57_1111
	s_branch .LBB57_1112
.LBB57_3161:
	s_movk_i32 s4, 0x80
	v_cmp_eq_u16_sdwa s[12:13], v16, s4 src0_sel:BYTE_3 src1_sel:DWORD
	s_mov_b64 s[4:5], -1
                                        ; implicit-def: $sgpr10
	s_and_saveexec_b64 s[8:9], s[12:13]
; %bb.3162:
	s_mov_b32 s10, 0x7f800001
	s_xor_b64 s[4:5], exec, -1
; %bb.3163:
	s_or_b64 exec, exec, s[8:9]
	s_and_b64 s[4:5], s[4:5], exec
	s_or_saveexec_b64 s[6:7], s[6:7]
	v_mov_b32_e32 v10, s10
	s_xor_b64 exec, exec, s[6:7]
	s_cbranch_execz .LBB57_1114
.LBB57_3164:
	v_mov_b32_e32 v10, 0
	v_cmp_ne_u16_sdwa s[8:9], v16, v10 src0_sel:BYTE_3 src1_sel:DWORD
	s_andn2_b64 s[4:5], s[4:5], exec
	s_and_b64 s[8:9], s[8:9], exec
	s_or_b64 s[4:5], s[4:5], s[8:9]
	s_or_b64 exec, exec, s[6:7]
	s_and_saveexec_b64 s[6:7], s[4:5]
	s_cbranch_execnz .LBB57_1115
	s_branch .LBB57_1116
.LBB57_3165:
	s_movk_i32 s4, 0x80
	v_cmp_eq_u16_sdwa s[12:13], v12, s4 src0_sel:BYTE_3 src1_sel:DWORD
	s_mov_b64 s[4:5], -1
                                        ; implicit-def: $sgpr10
	s_and_saveexec_b64 s[8:9], s[12:13]
; %bb.3166:
	s_mov_b32 s10, 0x7f800001
	s_xor_b64 s[4:5], exec, -1
; %bb.3167:
	s_or_b64 exec, exec, s[8:9]
	s_and_b64 s[4:5], s[4:5], exec
	s_or_saveexec_b64 s[6:7], s[6:7]
	v_mov_b32_e32 v11, s10
	s_xor_b64 exec, exec, s[6:7]
	s_cbranch_execz .LBB57_1118
.LBB57_3168:
	v_mov_b32_e32 v11, 0
	v_cmp_ne_u16_sdwa s[8:9], v12, v11 src0_sel:BYTE_3 src1_sel:DWORD
	s_andn2_b64 s[4:5], s[4:5], exec
	s_and_b64 s[8:9], s[8:9], exec
	s_or_b64 s[4:5], s[4:5], s[8:9]
	s_or_b64 exec, exec, s[6:7]
	s_and_saveexec_b64 s[6:7], s[4:5]
	s_cbranch_execnz .LBB57_1119
	s_branch .LBB57_1120
.LBB57_3169:
	s_movk_i32 s4, 0x80
	v_cmp_eq_u16_sdwa s[12:13], v17, s4 src0_sel:BYTE_0 src1_sel:DWORD
	s_mov_b64 s[4:5], -1
                                        ; implicit-def: $sgpr10
	s_and_saveexec_b64 s[8:9], s[12:13]
; %bb.3170:
	s_mov_b32 s10, 0x7f800001
	s_xor_b64 s[4:5], exec, -1
; %bb.3171:
	s_or_b64 exec, exec, s[8:9]
	s_and_b64 s[4:5], s[4:5], exec
	s_or_saveexec_b64 s[6:7], s[6:7]
	v_mov_b32_e32 v10, s10
	s_xor_b64 exec, exec, s[6:7]
	s_cbranch_execz .LBB57_1122
.LBB57_3172:
	v_mov_b32_e32 v10, 0
	v_cmp_ne_u16_sdwa s[8:9], v17, v10 src0_sel:BYTE_0 src1_sel:DWORD
	s_andn2_b64 s[4:5], s[4:5], exec
	s_and_b64 s[8:9], s[8:9], exec
	s_or_b64 s[4:5], s[4:5], s[8:9]
	s_or_b64 exec, exec, s[6:7]
	s_and_saveexec_b64 s[6:7], s[4:5]
	s_cbranch_execnz .LBB57_1123
	s_branch .LBB57_1124
.LBB57_3173:
	s_movk_i32 s4, 0x80
	v_cmp_eq_u16_sdwa s[12:13], v13, s4 src0_sel:BYTE_0 src1_sel:DWORD
	s_mov_b64 s[4:5], -1
                                        ; implicit-def: $sgpr10
	s_and_saveexec_b64 s[8:9], s[12:13]
; %bb.3174:
	s_mov_b32 s10, 0x7f800001
	s_xor_b64 s[4:5], exec, -1
; %bb.3175:
	s_or_b64 exec, exec, s[8:9]
	s_and_b64 s[4:5], s[4:5], exec
	s_or_saveexec_b64 s[6:7], s[6:7]
	v_mov_b32_e32 v11, s10
	s_xor_b64 exec, exec, s[6:7]
	s_cbranch_execz .LBB57_1126
.LBB57_3176:
	v_mov_b32_e32 v11, 0
	v_cmp_ne_u16_sdwa s[8:9], v13, v11 src0_sel:BYTE_0 src1_sel:DWORD
	s_andn2_b64 s[4:5], s[4:5], exec
	s_and_b64 s[8:9], s[8:9], exec
	s_or_b64 s[4:5], s[4:5], s[8:9]
	s_or_b64 exec, exec, s[6:7]
	s_and_saveexec_b64 s[6:7], s[4:5]
	s_cbranch_execnz .LBB57_1127
	s_branch .LBB57_1128
.LBB57_3177:
	s_movk_i32 s4, 0x80
	v_cmp_eq_u16_sdwa s[12:13], v11, s4 src0_sel:BYTE_0 src1_sel:DWORD
	s_mov_b64 s[4:5], -1
                                        ; implicit-def: $sgpr10
	s_and_saveexec_b64 s[8:9], s[12:13]
; %bb.3178:
	s_mov_b32 s10, 0x7f800001
	s_xor_b64 s[4:5], exec, -1
; %bb.3179:
	s_or_b64 exec, exec, s[8:9]
	s_and_b64 s[4:5], s[4:5], exec
	s_or_saveexec_b64 s[6:7], s[6:7]
	v_mov_b32_e32 v10, s10
	s_xor_b64 exec, exec, s[6:7]
	s_cbranch_execz .LBB57_1130
.LBB57_3180:
	v_mov_b32_e32 v10, 0
	v_cmp_ne_u16_sdwa s[8:9], v11, v10 src0_sel:BYTE_0 src1_sel:DWORD
	s_andn2_b64 s[4:5], s[4:5], exec
	s_and_b64 s[8:9], s[8:9], exec
	s_or_b64 s[4:5], s[4:5], s[8:9]
	s_or_b64 exec, exec, s[6:7]
	s_and_saveexec_b64 s[6:7], s[4:5]
	s_cbranch_execnz .LBB57_1131
	s_branch .LBB57_1132
.LBB57_3181:
	s_movk_i32 s4, 0x80
	v_cmp_eq_u16_sdwa s[12:13], v11, s4 src0_sel:BYTE_0 src1_sel:DWORD
	s_mov_b64 s[4:5], -1
                                        ; implicit-def: $sgpr10
	s_and_saveexec_b64 s[8:9], s[12:13]
; %bb.3182:
	s_mov_b32 s10, 0x7f800001
	s_xor_b64 s[4:5], exec, -1
; %bb.3183:
	s_or_b64 exec, exec, s[8:9]
	s_and_b64 s[4:5], s[4:5], exec
	s_or_saveexec_b64 s[6:7], s[6:7]
	v_mov_b32_e32 v12, s10
	s_xor_b64 exec, exec, s[6:7]
	s_cbranch_execz .LBB57_1134
.LBB57_3184:
	v_mov_b32_e32 v12, 0
	v_cmp_ne_u16_sdwa s[8:9], v11, v12 src0_sel:BYTE_0 src1_sel:DWORD
	s_andn2_b64 s[4:5], s[4:5], exec
	s_and_b64 s[8:9], s[8:9], exec
	s_or_b64 s[4:5], s[4:5], s[8:9]
	s_or_b64 exec, exec, s[6:7]
	s_and_saveexec_b64 s[6:7], s[4:5]
	s_cbranch_execnz .LBB57_1135
	s_branch .LBB57_1136
.LBB57_3185:
	s_movk_i32 s4, 0x80
	v_cmp_eq_u16_e32 vcc, s4, v11
	s_mov_b64 s[4:5], -1
                                        ; implicit-def: $sgpr10
	s_and_saveexec_b64 s[8:9], vcc
; %bb.3186:
	s_mov_b32 s10, 0x7f800001
	s_xor_b64 s[4:5], exec, -1
; %bb.3187:
	s_or_b64 exec, exec, s[8:9]
	s_and_b64 s[4:5], s[4:5], exec
                                        ; implicit-def: $vgpr11
	s_or_saveexec_b64 s[6:7], s[6:7]
	v_mov_b32_e32 v10, s10
	s_xor_b64 exec, exec, s[6:7]
	s_cbranch_execz .LBB57_1138
.LBB57_3188:
	v_cmp_ne_u16_e32 vcc, 0, v11
	s_andn2_b64 s[4:5], s[4:5], exec
	s_and_b64 s[8:9], vcc, exec
	v_mov_b32_e32 v10, 0
	s_or_b64 s[4:5], s[4:5], s[8:9]
	s_or_b64 exec, exec, s[6:7]
	s_and_saveexec_b64 s[6:7], s[4:5]
	s_cbranch_execnz .LBB57_1139
	s_branch .LBB57_1140
.LBB57_3189:
	s_movk_i32 s4, 0x80
	v_cmp_eq_u16_e32 vcc, s4, v11
	s_mov_b64 s[4:5], -1
                                        ; implicit-def: $sgpr10
	s_and_saveexec_b64 s[8:9], vcc
; %bb.3190:
	s_mov_b32 s10, 0x7f800001
	s_xor_b64 s[4:5], exec, -1
; %bb.3191:
	s_or_b64 exec, exec, s[8:9]
	s_and_b64 s[4:5], s[4:5], exec
                                        ; implicit-def: $vgpr11
	s_or_saveexec_b64 s[6:7], s[6:7]
	v_mov_b32_e32 v12, s10
	s_xor_b64 exec, exec, s[6:7]
	s_cbranch_execz .LBB57_1142
.LBB57_3192:
	v_cmp_ne_u16_e32 vcc, 0, v11
	s_andn2_b64 s[4:5], s[4:5], exec
	s_and_b64 s[8:9], vcc, exec
	v_mov_b32_e32 v12, 0
	s_or_b64 s[4:5], s[4:5], s[8:9]
	s_or_b64 exec, exec, s[6:7]
	s_and_saveexec_b64 s[6:7], s[4:5]
	s_cbranch_execnz .LBB57_1143
	s_branch .LBB57_1144
.LBB57_3193:
	s_movk_i32 s4, 0x80
	v_cmp_eq_u16_sdwa s[12:13], v17, s4 src0_sel:BYTE_3 src1_sel:DWORD
	s_mov_b64 s[4:5], -1
                                        ; implicit-def: $sgpr10
	s_and_saveexec_b64 s[8:9], s[12:13]
; %bb.3194:
	s_mov_b32 s10, 0x7f800001
	s_xor_b64 s[4:5], exec, -1
; %bb.3195:
	s_or_b64 exec, exec, s[8:9]
	s_and_b64 s[4:5], s[4:5], exec
	s_or_saveexec_b64 s[6:7], s[6:7]
	v_mov_b32_e32 v10, s10
	s_xor_b64 exec, exec, s[6:7]
	s_cbranch_execz .LBB57_1146
.LBB57_3196:
	v_mov_b32_e32 v10, 0
	v_cmp_ne_u16_sdwa s[8:9], v17, v10 src0_sel:BYTE_3 src1_sel:DWORD
	s_andn2_b64 s[4:5], s[4:5], exec
	s_and_b64 s[8:9], s[8:9], exec
	s_or_b64 s[4:5], s[4:5], s[8:9]
	s_or_b64 exec, exec, s[6:7]
	s_and_saveexec_b64 s[6:7], s[4:5]
	s_cbranch_execnz .LBB57_1147
	s_branch .LBB57_1148
.LBB57_3197:
	s_movk_i32 s4, 0x80
	v_cmp_eq_u16_sdwa s[12:13], v13, s4 src0_sel:BYTE_3 src1_sel:DWORD
	s_mov_b64 s[4:5], -1
                                        ; implicit-def: $sgpr10
	s_and_saveexec_b64 s[8:9], s[12:13]
; %bb.3198:
	s_mov_b32 s10, 0x7f800001
	s_xor_b64 s[4:5], exec, -1
; %bb.3199:
	s_or_b64 exec, exec, s[8:9]
	s_and_b64 s[4:5], s[4:5], exec
	s_or_saveexec_b64 s[6:7], s[6:7]
	v_mov_b32_e32 v11, s10
	s_xor_b64 exec, exec, s[6:7]
	s_cbranch_execz .LBB57_1150
.LBB57_3200:
	v_mov_b32_e32 v11, 0
	v_cmp_ne_u16_sdwa s[8:9], v13, v11 src0_sel:BYTE_3 src1_sel:DWORD
	s_andn2_b64 s[4:5], s[4:5], exec
	s_and_b64 s[8:9], s[8:9], exec
	s_or_b64 s[4:5], s[4:5], s[8:9]
	s_or_b64 exec, exec, s[6:7]
	s_and_saveexec_b64 s[6:7], s[4:5]
	s_cbranch_execnz .LBB57_1151
	s_branch .LBB57_1152
.LBB57_3201:
	s_movk_i32 s4, 0x80
	v_cmp_eq_u16_sdwa s[12:13], v6, s4 src0_sel:BYTE_0 src1_sel:DWORD
	s_mov_b64 s[4:5], -1
                                        ; implicit-def: $sgpr10
	s_and_saveexec_b64 s[8:9], s[12:13]
; %bb.3202:
	s_mov_b32 s10, 0x7f800001
	s_xor_b64 s[4:5], exec, -1
; %bb.3203:
	s_or_b64 exec, exec, s[8:9]
	s_and_b64 s[4:5], s[4:5], exec
	s_or_saveexec_b64 s[6:7], s[6:7]
	v_mov_b32_e32 v10, s10
	s_xor_b64 exec, exec, s[6:7]
	s_cbranch_execz .LBB57_1154
.LBB57_3204:
	v_mov_b32_e32 v10, 0
	v_cmp_ne_u16_sdwa s[8:9], v6, v10 src0_sel:BYTE_0 src1_sel:DWORD
	s_andn2_b64 s[4:5], s[4:5], exec
	s_and_b64 s[8:9], s[8:9], exec
	s_or_b64 s[4:5], s[4:5], s[8:9]
	s_or_b64 exec, exec, s[6:7]
	s_and_saveexec_b64 s[6:7], s[4:5]
	s_cbranch_execnz .LBB57_1155
	s_branch .LBB57_1156
.LBB57_3205:
	s_movk_i32 s4, 0x80
	v_cmp_eq_u16_sdwa s[12:13], v2, s4 src0_sel:BYTE_0 src1_sel:DWORD
	s_mov_b64 s[4:5], -1
                                        ; implicit-def: $sgpr10
	s_and_saveexec_b64 s[8:9], s[12:13]
; %bb.3206:
	s_mov_b32 s10, 0x7f800001
	s_xor_b64 s[4:5], exec, -1
; %bb.3207:
	s_or_b64 exec, exec, s[8:9]
	s_and_b64 s[4:5], s[4:5], exec
	s_or_saveexec_b64 s[6:7], s[6:7]
	v_mov_b32_e32 v11, s10
	s_xor_b64 exec, exec, s[6:7]
	s_cbranch_execz .LBB57_1158
.LBB57_3208:
	v_mov_b32_e32 v11, 0
	v_cmp_ne_u16_sdwa s[8:9], v2, v11 src0_sel:BYTE_0 src1_sel:DWORD
	s_andn2_b64 s[4:5], s[4:5], exec
	s_and_b64 s[8:9], s[8:9], exec
	s_or_b64 s[4:5], s[4:5], s[8:9]
	s_or_b64 exec, exec, s[6:7]
	s_and_saveexec_b64 s[6:7], s[4:5]
	s_cbranch_execnz .LBB57_1159
	s_branch .LBB57_1160
.LBB57_3209:
	s_movk_i32 s4, 0x80
	v_cmp_eq_u16_sdwa s[12:13], v11, s4 src0_sel:BYTE_0 src1_sel:DWORD
	s_mov_b64 s[4:5], -1
                                        ; implicit-def: $sgpr10
	s_and_saveexec_b64 s[8:9], s[12:13]
; %bb.3210:
	s_mov_b32 s10, 0x7f800001
	s_xor_b64 s[4:5], exec, -1
; %bb.3211:
	s_or_b64 exec, exec, s[8:9]
	s_and_b64 s[4:5], s[4:5], exec
	s_or_saveexec_b64 s[6:7], s[6:7]
	v_mov_b32_e32 v10, s10
	s_xor_b64 exec, exec, s[6:7]
	s_cbranch_execz .LBB57_1162
.LBB57_3212:
	v_mov_b32_e32 v10, 0
	v_cmp_ne_u16_sdwa s[8:9], v11, v10 src0_sel:BYTE_0 src1_sel:DWORD
	s_andn2_b64 s[4:5], s[4:5], exec
	s_and_b64 s[8:9], s[8:9], exec
	s_or_b64 s[4:5], s[4:5], s[8:9]
	s_or_b64 exec, exec, s[6:7]
	s_and_saveexec_b64 s[6:7], s[4:5]
	s_cbranch_execnz .LBB57_1163
	s_branch .LBB57_1164
.LBB57_3213:
	s_movk_i32 s4, 0x80
	v_cmp_eq_u16_sdwa s[12:13], v11, s4 src0_sel:BYTE_0 src1_sel:DWORD
	s_mov_b64 s[4:5], -1
                                        ; implicit-def: $sgpr10
	s_and_saveexec_b64 s[8:9], s[12:13]
; %bb.3214:
	s_mov_b32 s10, 0x7f800001
	s_xor_b64 s[4:5], exec, -1
; %bb.3215:
	s_or_b64 exec, exec, s[8:9]
	s_and_b64 s[4:5], s[4:5], exec
	s_or_saveexec_b64 s[6:7], s[6:7]
	v_mov_b32_e32 v12, s10
	s_xor_b64 exec, exec, s[6:7]
	s_cbranch_execz .LBB57_1166
.LBB57_3216:
	v_mov_b32_e32 v12, 0
	v_cmp_ne_u16_sdwa s[8:9], v11, v12 src0_sel:BYTE_0 src1_sel:DWORD
	s_andn2_b64 s[4:5], s[4:5], exec
	s_and_b64 s[8:9], s[8:9], exec
	s_or_b64 s[4:5], s[4:5], s[8:9]
	s_or_b64 exec, exec, s[6:7]
	s_and_saveexec_b64 s[6:7], s[4:5]
	s_cbranch_execnz .LBB57_1167
	s_branch .LBB57_1168
.LBB57_3217:
	s_movk_i32 s4, 0x80
	v_cmp_eq_u16_e32 vcc, s4, v11
	s_mov_b64 s[4:5], -1
                                        ; implicit-def: $sgpr10
	s_and_saveexec_b64 s[8:9], vcc
; %bb.3218:
	s_mov_b32 s10, 0x7f800001
	s_xor_b64 s[4:5], exec, -1
; %bb.3219:
	s_or_b64 exec, exec, s[8:9]
	s_and_b64 s[4:5], s[4:5], exec
                                        ; implicit-def: $vgpr11
	s_or_saveexec_b64 s[6:7], s[6:7]
	v_mov_b32_e32 v10, s10
	s_xor_b64 exec, exec, s[6:7]
	s_cbranch_execz .LBB57_1170
.LBB57_3220:
	v_cmp_ne_u16_e32 vcc, 0, v11
	s_andn2_b64 s[4:5], s[4:5], exec
	s_and_b64 s[8:9], vcc, exec
	v_mov_b32_e32 v10, 0
	s_or_b64 s[4:5], s[4:5], s[8:9]
	s_or_b64 exec, exec, s[6:7]
	s_and_saveexec_b64 s[6:7], s[4:5]
	s_cbranch_execnz .LBB57_1171
	s_branch .LBB57_1172
.LBB57_3221:
	s_movk_i32 s4, 0x80
	v_cmp_eq_u16_e32 vcc, s4, v11
	s_mov_b64 s[4:5], -1
                                        ; implicit-def: $sgpr10
	s_and_saveexec_b64 s[8:9], vcc
; %bb.3222:
	s_mov_b32 s10, 0x7f800001
	s_xor_b64 s[4:5], exec, -1
; %bb.3223:
	s_or_b64 exec, exec, s[8:9]
	s_and_b64 s[4:5], s[4:5], exec
                                        ; implicit-def: $vgpr11
	s_or_saveexec_b64 s[6:7], s[6:7]
	v_mov_b32_e32 v12, s10
	s_xor_b64 exec, exec, s[6:7]
	s_cbranch_execz .LBB57_1174
.LBB57_3224:
	v_cmp_ne_u16_e32 vcc, 0, v11
	s_andn2_b64 s[4:5], s[4:5], exec
	s_and_b64 s[8:9], vcc, exec
	v_mov_b32_e32 v12, 0
	s_or_b64 s[4:5], s[4:5], s[8:9]
	s_or_b64 exec, exec, s[6:7]
	s_and_saveexec_b64 s[6:7], s[4:5]
	s_cbranch_execnz .LBB57_1175
	s_branch .LBB57_1176
.LBB57_3225:
	s_movk_i32 s4, 0x80
	v_cmp_eq_u16_sdwa s[12:13], v6, s4 src0_sel:BYTE_3 src1_sel:DWORD
	s_mov_b64 s[4:5], -1
                                        ; implicit-def: $sgpr10
	s_and_saveexec_b64 s[8:9], s[12:13]
; %bb.3226:
	s_mov_b32 s10, 0x7f800001
	s_xor_b64 s[4:5], exec, -1
; %bb.3227:
	s_or_b64 exec, exec, s[8:9]
	s_and_b64 s[4:5], s[4:5], exec
	s_or_saveexec_b64 s[6:7], s[6:7]
	v_mov_b32_e32 v10, s10
	s_xor_b64 exec, exec, s[6:7]
	s_cbranch_execz .LBB57_1178
.LBB57_3228:
	v_mov_b32_e32 v10, 0
	v_cmp_ne_u16_sdwa s[8:9], v6, v10 src0_sel:BYTE_3 src1_sel:DWORD
	s_andn2_b64 s[4:5], s[4:5], exec
	s_and_b64 s[8:9], s[8:9], exec
	s_or_b64 s[4:5], s[4:5], s[8:9]
	s_or_b64 exec, exec, s[6:7]
	s_and_saveexec_b64 s[6:7], s[4:5]
	s_cbranch_execnz .LBB57_1179
	s_branch .LBB57_1180
.LBB57_3229:
	s_movk_i32 s4, 0x80
	v_cmp_eq_u16_sdwa s[12:13], v2, s4 src0_sel:BYTE_3 src1_sel:DWORD
	s_mov_b64 s[4:5], -1
                                        ; implicit-def: $sgpr10
	s_and_saveexec_b64 s[8:9], s[12:13]
; %bb.3230:
	s_mov_b32 s10, 0x7f800001
	s_xor_b64 s[4:5], exec, -1
; %bb.3231:
	s_or_b64 exec, exec, s[8:9]
	s_and_b64 s[4:5], s[4:5], exec
	s_or_saveexec_b64 s[6:7], s[6:7]
	v_mov_b32_e32 v6, s10
	s_xor_b64 exec, exec, s[6:7]
	s_cbranch_execz .LBB57_1182
.LBB57_3232:
	v_mov_b32_e32 v6, 0
	v_cmp_ne_u16_sdwa s[8:9], v2, v6 src0_sel:BYTE_3 src1_sel:DWORD
	s_andn2_b64 s[4:5], s[4:5], exec
	s_and_b64 s[8:9], s[8:9], exec
	s_or_b64 s[4:5], s[4:5], s[8:9]
	s_or_b64 exec, exec, s[6:7]
	s_and_saveexec_b64 s[6:7], s[4:5]
	s_cbranch_execnz .LBB57_1183
	s_branch .LBB57_1184
.LBB57_3233:
	s_movk_i32 s4, 0x80
	v_cmp_eq_u16_sdwa s[12:13], v7, s4 src0_sel:BYTE_0 src1_sel:DWORD
	s_mov_b64 s[4:5], -1
                                        ; implicit-def: $sgpr10
	s_and_saveexec_b64 s[8:9], s[12:13]
; %bb.3234:
	s_mov_b32 s10, 0x7f800001
	s_xor_b64 s[4:5], exec, -1
; %bb.3235:
	s_or_b64 exec, exec, s[8:9]
	s_and_b64 s[4:5], s[4:5], exec
	s_or_saveexec_b64 s[6:7], s[6:7]
	v_mov_b32_e32 v2, s10
	s_xor_b64 exec, exec, s[6:7]
	s_cbranch_execz .LBB57_1186
.LBB57_3236:
	v_mov_b32_e32 v2, 0
	v_cmp_ne_u16_sdwa s[8:9], v7, v2 src0_sel:BYTE_0 src1_sel:DWORD
	s_andn2_b64 s[4:5], s[4:5], exec
	s_and_b64 s[8:9], s[8:9], exec
	s_or_b64 s[4:5], s[4:5], s[8:9]
	s_or_b64 exec, exec, s[6:7]
	s_and_saveexec_b64 s[6:7], s[4:5]
	s_cbranch_execnz .LBB57_1187
	s_branch .LBB57_1188
.LBB57_3237:
	s_movk_i32 s4, 0x80
	v_cmp_eq_u16_sdwa s[12:13], v3, s4 src0_sel:BYTE_0 src1_sel:DWORD
	s_mov_b64 s[4:5], -1
                                        ; implicit-def: $sgpr10
	s_and_saveexec_b64 s[8:9], s[12:13]
; %bb.3238:
	s_mov_b32 s10, 0x7f800001
	s_xor_b64 s[4:5], exec, -1
; %bb.3239:
	s_or_b64 exec, exec, s[8:9]
	s_and_b64 s[4:5], s[4:5], exec
	s_or_saveexec_b64 s[6:7], s[6:7]
	v_mov_b32_e32 v6, s10
	s_xor_b64 exec, exec, s[6:7]
	s_cbranch_execz .LBB57_1190
.LBB57_3240:
	v_mov_b32_e32 v6, 0
	v_cmp_ne_u16_sdwa s[8:9], v3, v6 src0_sel:BYTE_0 src1_sel:DWORD
	s_andn2_b64 s[4:5], s[4:5], exec
	s_and_b64 s[8:9], s[8:9], exec
	s_or_b64 s[4:5], s[4:5], s[8:9]
	s_or_b64 exec, exec, s[6:7]
	s_and_saveexec_b64 s[6:7], s[4:5]
	s_cbranch_execnz .LBB57_1191
	s_branch .LBB57_1192
.LBB57_3241:
	s_movk_i32 s4, 0x80
	v_cmp_eq_u16_sdwa s[12:13], v6, s4 src0_sel:BYTE_0 src1_sel:DWORD
	s_mov_b64 s[4:5], -1
                                        ; implicit-def: $sgpr10
	s_and_saveexec_b64 s[8:9], s[12:13]
; %bb.3242:
	s_mov_b32 s10, 0x7f800001
	s_xor_b64 s[4:5], exec, -1
; %bb.3243:
	s_or_b64 exec, exec, s[8:9]
	s_and_b64 s[4:5], s[4:5], exec
	s_or_saveexec_b64 s[6:7], s[6:7]
	v_mov_b32_e32 v2, s10
	s_xor_b64 exec, exec, s[6:7]
	s_cbranch_execz .LBB57_1194
.LBB57_3244:
	v_mov_b32_e32 v2, 0
	v_cmp_ne_u16_sdwa s[8:9], v6, v2 src0_sel:BYTE_0 src1_sel:DWORD
	s_andn2_b64 s[4:5], s[4:5], exec
	s_and_b64 s[8:9], s[8:9], exec
	s_or_b64 s[4:5], s[4:5], s[8:9]
	s_or_b64 exec, exec, s[6:7]
	s_and_saveexec_b64 s[6:7], s[4:5]
	s_cbranch_execnz .LBB57_1195
	s_branch .LBB57_1196
.LBB57_3245:
	s_movk_i32 s4, 0x80
	v_cmp_eq_u16_sdwa s[12:13], v6, s4 src0_sel:BYTE_0 src1_sel:DWORD
	s_mov_b64 s[4:5], -1
                                        ; implicit-def: $sgpr10
	s_and_saveexec_b64 s[8:9], s[12:13]
; %bb.3246:
	s_mov_b32 s10, 0x7f800001
	s_xor_b64 s[4:5], exec, -1
; %bb.3247:
	s_or_b64 exec, exec, s[8:9]
	s_and_b64 s[4:5], s[4:5], exec
	s_or_saveexec_b64 s[6:7], s[6:7]
	v_mov_b32_e32 v10, s10
	s_xor_b64 exec, exec, s[6:7]
	s_cbranch_execz .LBB57_1198
.LBB57_3248:
	v_mov_b32_e32 v10, 0
	v_cmp_ne_u16_sdwa s[8:9], v6, v10 src0_sel:BYTE_0 src1_sel:DWORD
	s_andn2_b64 s[4:5], s[4:5], exec
	s_and_b64 s[8:9], s[8:9], exec
	s_or_b64 s[4:5], s[4:5], s[8:9]
	s_or_b64 exec, exec, s[6:7]
	s_and_saveexec_b64 s[6:7], s[4:5]
	s_cbranch_execnz .LBB57_1199
	s_branch .LBB57_1200
.LBB57_3249:
	s_movk_i32 s4, 0x80
	v_cmp_eq_u16_e32 vcc, s4, v6
	s_mov_b64 s[4:5], -1
                                        ; implicit-def: $sgpr10
	s_and_saveexec_b64 s[8:9], vcc
; %bb.3250:
	s_mov_b32 s10, 0x7f800001
	s_xor_b64 s[4:5], exec, -1
; %bb.3251:
	s_or_b64 exec, exec, s[8:9]
	s_and_b64 s[4:5], s[4:5], exec
                                        ; implicit-def: $vgpr6
	s_or_saveexec_b64 s[6:7], s[6:7]
	v_mov_b32_e32 v2, s10
	s_xor_b64 exec, exec, s[6:7]
	s_cbranch_execz .LBB57_1202
.LBB57_3252:
	v_cmp_ne_u16_e32 vcc, 0, v6
	s_andn2_b64 s[4:5], s[4:5], exec
	s_and_b64 s[8:9], vcc, exec
	v_mov_b32_e32 v2, 0
	s_or_b64 s[4:5], s[4:5], s[8:9]
	s_or_b64 exec, exec, s[6:7]
	s_and_saveexec_b64 s[6:7], s[4:5]
	s_cbranch_execnz .LBB57_1203
	s_branch .LBB57_1204
.LBB57_3253:
	s_movk_i32 s4, 0x80
	v_cmp_eq_u16_e32 vcc, s4, v6
	s_mov_b64 s[4:5], -1
                                        ; implicit-def: $sgpr10
	s_and_saveexec_b64 s[8:9], vcc
; %bb.3254:
	s_mov_b32 s10, 0x7f800001
	s_xor_b64 s[4:5], exec, -1
; %bb.3255:
	s_or_b64 exec, exec, s[8:9]
	s_and_b64 s[4:5], s[4:5], exec
                                        ; implicit-def: $vgpr6
	s_or_saveexec_b64 s[6:7], s[6:7]
	v_mov_b32_e32 v10, s10
	s_xor_b64 exec, exec, s[6:7]
	s_cbranch_execz .LBB57_1206
.LBB57_3256:
	v_cmp_ne_u16_e32 vcc, 0, v6
	s_andn2_b64 s[4:5], s[4:5], exec
	s_and_b64 s[8:9], vcc, exec
	v_mov_b32_e32 v10, 0
	s_or_b64 s[4:5], s[4:5], s[8:9]
	s_or_b64 exec, exec, s[6:7]
	s_and_saveexec_b64 s[6:7], s[4:5]
	s_cbranch_execnz .LBB57_1207
	s_branch .LBB57_1208
.LBB57_3257:
	s_movk_i32 s4, 0x80
	v_cmp_eq_u16_sdwa s[12:13], v7, s4 src0_sel:BYTE_3 src1_sel:DWORD
	s_mov_b64 s[4:5], -1
                                        ; implicit-def: $sgpr10
	s_and_saveexec_b64 s[8:9], s[12:13]
; %bb.3258:
	s_mov_b32 s10, 0x7f800001
	s_xor_b64 s[4:5], exec, -1
; %bb.3259:
	s_or_b64 exec, exec, s[8:9]
	s_and_b64 s[4:5], s[4:5], exec
	s_or_saveexec_b64 s[6:7], s[6:7]
	v_mov_b32_e32 v2, s10
	s_xor_b64 exec, exec, s[6:7]
	s_cbranch_execz .LBB57_1210
.LBB57_3260:
	v_mov_b32_e32 v2, 0
	v_cmp_ne_u16_sdwa s[8:9], v7, v2 src0_sel:BYTE_3 src1_sel:DWORD
	s_andn2_b64 s[4:5], s[4:5], exec
	s_and_b64 s[8:9], s[8:9], exec
	s_or_b64 s[4:5], s[4:5], s[8:9]
	s_or_b64 exec, exec, s[6:7]
	s_and_saveexec_b64 s[6:7], s[4:5]
	s_cbranch_execnz .LBB57_1211
	s_branch .LBB57_1212
.LBB57_3261:
	s_movk_i32 s4, 0x80
	v_cmp_eq_u16_sdwa s[12:13], v3, s4 src0_sel:BYTE_3 src1_sel:DWORD
	s_mov_b64 s[4:5], -1
                                        ; implicit-def: $sgpr10
	s_and_saveexec_b64 s[8:9], s[12:13]
; %bb.3262:
	s_mov_b32 s10, 0x7f800001
	s_xor_b64 s[4:5], exec, -1
; %bb.3263:
	s_or_b64 exec, exec, s[8:9]
	s_and_b64 s[4:5], s[4:5], exec
	s_or_saveexec_b64 s[6:7], s[6:7]
	v_mov_b32_e32 v6, s10
	s_xor_b64 exec, exec, s[6:7]
	s_cbranch_execz .LBB57_1214
.LBB57_3264:
	v_mov_b32_e32 v6, 0
	v_cmp_ne_u16_sdwa s[8:9], v3, v6 src0_sel:BYTE_3 src1_sel:DWORD
	s_andn2_b64 s[4:5], s[4:5], exec
	s_and_b64 s[8:9], s[8:9], exec
	s_or_b64 s[4:5], s[4:5], s[8:9]
	s_or_b64 exec, exec, s[6:7]
	s_and_saveexec_b64 s[6:7], s[4:5]
	s_cbranch_execnz .LBB57_1215
	s_branch .LBB57_1216
.LBB57_3265:
	s_movk_i32 s4, 0x80
	v_cmp_eq_u16_sdwa s[12:13], v8, s4 src0_sel:BYTE_0 src1_sel:DWORD
	s_mov_b64 s[4:5], -1
                                        ; implicit-def: $sgpr10
	s_and_saveexec_b64 s[8:9], s[12:13]
; %bb.3266:
	s_mov_b32 s10, 0x7f800001
	s_xor_b64 s[4:5], exec, -1
; %bb.3267:
	s_or_b64 exec, exec, s[8:9]
	s_and_b64 s[4:5], s[4:5], exec
	s_or_saveexec_b64 s[6:7], s[6:7]
	v_mov_b32_e32 v2, s10
	s_xor_b64 exec, exec, s[6:7]
	s_cbranch_execz .LBB57_1218
.LBB57_3268:
	v_mov_b32_e32 v2, 0
	v_cmp_ne_u16_sdwa s[8:9], v8, v2 src0_sel:BYTE_0 src1_sel:DWORD
	s_andn2_b64 s[4:5], s[4:5], exec
	s_and_b64 s[8:9], s[8:9], exec
	s_or_b64 s[4:5], s[4:5], s[8:9]
	s_or_b64 exec, exec, s[6:7]
	s_and_saveexec_b64 s[6:7], s[4:5]
	s_cbranch_execnz .LBB57_1219
	s_branch .LBB57_1220
.LBB57_3269:
	s_movk_i32 s4, 0x80
	v_cmp_eq_u16_sdwa s[12:13], v4, s4 src0_sel:BYTE_0 src1_sel:DWORD
	s_mov_b64 s[4:5], -1
                                        ; implicit-def: $sgpr10
	s_and_saveexec_b64 s[8:9], s[12:13]
; %bb.3270:
	s_mov_b32 s10, 0x7f800001
	s_xor_b64 s[4:5], exec, -1
; %bb.3271:
	s_or_b64 exec, exec, s[8:9]
	s_and_b64 s[4:5], s[4:5], exec
	s_or_saveexec_b64 s[6:7], s[6:7]
	v_mov_b32_e32 v3, s10
	s_xor_b64 exec, exec, s[6:7]
	s_cbranch_execz .LBB57_1222
.LBB57_3272:
	v_mov_b32_e32 v3, 0
	v_cmp_ne_u16_sdwa s[8:9], v4, v3 src0_sel:BYTE_0 src1_sel:DWORD
	s_andn2_b64 s[4:5], s[4:5], exec
	s_and_b64 s[8:9], s[8:9], exec
	s_or_b64 s[4:5], s[4:5], s[8:9]
	s_or_b64 exec, exec, s[6:7]
	s_and_saveexec_b64 s[6:7], s[4:5]
	s_cbranch_execnz .LBB57_1223
	s_branch .LBB57_1224
.LBB57_3273:
	s_movk_i32 s4, 0x80
	v_cmp_eq_u16_sdwa s[12:13], v3, s4 src0_sel:BYTE_0 src1_sel:DWORD
	s_mov_b64 s[4:5], -1
                                        ; implicit-def: $sgpr10
	s_and_saveexec_b64 s[8:9], s[12:13]
; %bb.3274:
	s_mov_b32 s10, 0x7f800001
	s_xor_b64 s[4:5], exec, -1
; %bb.3275:
	s_or_b64 exec, exec, s[8:9]
	s_and_b64 s[4:5], s[4:5], exec
	s_or_saveexec_b64 s[6:7], s[6:7]
	v_mov_b32_e32 v2, s10
	s_xor_b64 exec, exec, s[6:7]
	s_cbranch_execz .LBB57_1226
.LBB57_3276:
	v_mov_b32_e32 v2, 0
	v_cmp_ne_u16_sdwa s[8:9], v3, v2 src0_sel:BYTE_0 src1_sel:DWORD
	s_andn2_b64 s[4:5], s[4:5], exec
	s_and_b64 s[8:9], s[8:9], exec
	s_or_b64 s[4:5], s[4:5], s[8:9]
	s_or_b64 exec, exec, s[6:7]
	s_and_saveexec_b64 s[6:7], s[4:5]
	s_cbranch_execnz .LBB57_1227
	s_branch .LBB57_1228
.LBB57_3277:
	s_movk_i32 s4, 0x80
	v_cmp_eq_u16_sdwa s[12:13], v3, s4 src0_sel:BYTE_0 src1_sel:DWORD
	s_mov_b64 s[4:5], -1
                                        ; implicit-def: $sgpr10
	s_and_saveexec_b64 s[8:9], s[12:13]
; %bb.3278:
	s_mov_b32 s10, 0x7f800001
	s_xor_b64 s[4:5], exec, -1
; %bb.3279:
	s_or_b64 exec, exec, s[8:9]
	s_and_b64 s[4:5], s[4:5], exec
	s_or_saveexec_b64 s[6:7], s[6:7]
	v_mov_b32_e32 v6, s10
	s_xor_b64 exec, exec, s[6:7]
	s_cbranch_execz .LBB57_1230
.LBB57_3280:
	v_mov_b32_e32 v6, 0
	v_cmp_ne_u16_sdwa s[8:9], v3, v6 src0_sel:BYTE_0 src1_sel:DWORD
	s_andn2_b64 s[4:5], s[4:5], exec
	s_and_b64 s[8:9], s[8:9], exec
	s_or_b64 s[4:5], s[4:5], s[8:9]
	s_or_b64 exec, exec, s[6:7]
	s_and_saveexec_b64 s[6:7], s[4:5]
	s_cbranch_execnz .LBB57_1231
	s_branch .LBB57_1232
.LBB57_3281:
	s_movk_i32 s4, 0x80
	v_cmp_eq_u16_e32 vcc, s4, v3
	s_mov_b64 s[4:5], -1
                                        ; implicit-def: $sgpr10
	s_and_saveexec_b64 s[8:9], vcc
; %bb.3282:
	s_mov_b32 s10, 0x7f800001
	s_xor_b64 s[4:5], exec, -1
; %bb.3283:
	s_or_b64 exec, exec, s[8:9]
	s_and_b64 s[4:5], s[4:5], exec
                                        ; implicit-def: $vgpr3
	s_or_saveexec_b64 s[6:7], s[6:7]
	v_mov_b32_e32 v2, s10
	s_xor_b64 exec, exec, s[6:7]
	s_cbranch_execz .LBB57_1234
.LBB57_3284:
	v_cmp_ne_u16_e32 vcc, 0, v3
	s_andn2_b64 s[4:5], s[4:5], exec
	s_and_b64 s[8:9], vcc, exec
	v_mov_b32_e32 v2, 0
	s_or_b64 s[4:5], s[4:5], s[8:9]
	s_or_b64 exec, exec, s[6:7]
	s_and_saveexec_b64 s[6:7], s[4:5]
	s_cbranch_execnz .LBB57_1235
	s_branch .LBB57_1236
.LBB57_3285:
	s_movk_i32 s4, 0x80
	v_cmp_eq_u16_e32 vcc, s4, v3
	s_mov_b64 s[4:5], -1
                                        ; implicit-def: $sgpr10
	s_and_saveexec_b64 s[8:9], vcc
; %bb.3286:
	s_mov_b32 s10, 0x7f800001
	s_xor_b64 s[4:5], exec, -1
; %bb.3287:
	s_or_b64 exec, exec, s[8:9]
	s_and_b64 s[4:5], s[4:5], exec
                                        ; implicit-def: $vgpr3
	s_or_saveexec_b64 s[6:7], s[6:7]
	v_mov_b32_e32 v6, s10
	s_xor_b64 exec, exec, s[6:7]
	s_cbranch_execz .LBB57_1238
.LBB57_3288:
	v_cmp_ne_u16_e32 vcc, 0, v3
	s_andn2_b64 s[4:5], s[4:5], exec
	s_and_b64 s[8:9], vcc, exec
	v_mov_b32_e32 v6, 0
	s_or_b64 s[4:5], s[4:5], s[8:9]
	s_or_b64 exec, exec, s[6:7]
	s_and_saveexec_b64 s[6:7], s[4:5]
	s_cbranch_execnz .LBB57_1239
	s_branch .LBB57_1240
.LBB57_3289:
	s_movk_i32 s4, 0x80
	v_cmp_eq_u16_sdwa s[12:13], v8, s4 src0_sel:BYTE_3 src1_sel:DWORD
	s_mov_b64 s[4:5], -1
                                        ; implicit-def: $sgpr10
	s_and_saveexec_b64 s[8:9], s[12:13]
; %bb.3290:
	s_mov_b32 s10, 0x7f800001
	s_xor_b64 s[4:5], exec, -1
; %bb.3291:
	s_or_b64 exec, exec, s[8:9]
	s_and_b64 s[4:5], s[4:5], exec
	s_or_saveexec_b64 s[6:7], s[6:7]
	v_mov_b32_e32 v2, s10
	s_xor_b64 exec, exec, s[6:7]
	s_cbranch_execz .LBB57_1242
.LBB57_3292:
	v_mov_b32_e32 v2, 0
	v_cmp_ne_u16_sdwa s[8:9], v8, v2 src0_sel:BYTE_3 src1_sel:DWORD
	s_andn2_b64 s[4:5], s[4:5], exec
	s_and_b64 s[8:9], s[8:9], exec
	s_or_b64 s[4:5], s[4:5], s[8:9]
	s_or_b64 exec, exec, s[6:7]
	s_and_saveexec_b64 s[6:7], s[4:5]
	s_cbranch_execnz .LBB57_1243
	s_branch .LBB57_1244
.LBB57_3293:
	s_movk_i32 s4, 0x80
	v_cmp_eq_u16_sdwa s[12:13], v4, s4 src0_sel:BYTE_3 src1_sel:DWORD
	s_mov_b64 s[4:5], -1
                                        ; implicit-def: $sgpr10
	s_and_saveexec_b64 s[8:9], s[12:13]
; %bb.3294:
	s_mov_b32 s10, 0x7f800001
	s_xor_b64 s[4:5], exec, -1
; %bb.3295:
	s_or_b64 exec, exec, s[8:9]
	s_and_b64 s[4:5], s[4:5], exec
	s_or_saveexec_b64 s[6:7], s[6:7]
	v_mov_b32_e32 v3, s10
	s_xor_b64 exec, exec, s[6:7]
	s_cbranch_execz .LBB57_1246
.LBB57_3296:
	v_mov_b32_e32 v3, 0
	v_cmp_ne_u16_sdwa s[8:9], v4, v3 src0_sel:BYTE_3 src1_sel:DWORD
	s_andn2_b64 s[4:5], s[4:5], exec
	s_and_b64 s[8:9], s[8:9], exec
	s_or_b64 s[4:5], s[4:5], s[8:9]
	s_or_b64 exec, exec, s[6:7]
	s_and_saveexec_b64 s[6:7], s[4:5]
	s_cbranch_execnz .LBB57_1247
	s_branch .LBB57_1248
.LBB57_3297:
	s_movk_i32 s4, 0x80
	v_cmp_eq_u16_sdwa s[12:13], v9, s4 src0_sel:BYTE_0 src1_sel:DWORD
	s_mov_b64 s[4:5], -1
                                        ; implicit-def: $sgpr10
	s_and_saveexec_b64 s[8:9], s[12:13]
; %bb.3298:
	s_mov_b32 s10, 0x7f800001
	s_xor_b64 s[4:5], exec, -1
; %bb.3299:
	s_or_b64 exec, exec, s[8:9]
	s_and_b64 s[4:5], s[4:5], exec
	s_or_saveexec_b64 s[6:7], s[6:7]
	v_mov_b32_e32 v2, s10
	s_xor_b64 exec, exec, s[6:7]
	s_cbranch_execz .LBB57_1250
.LBB57_3300:
	v_mov_b32_e32 v2, 0
	v_cmp_ne_u16_sdwa s[8:9], v9, v2 src0_sel:BYTE_0 src1_sel:DWORD
	s_andn2_b64 s[4:5], s[4:5], exec
	s_and_b64 s[8:9], s[8:9], exec
	s_or_b64 s[4:5], s[4:5], s[8:9]
	s_or_b64 exec, exec, s[6:7]
	s_and_saveexec_b64 s[6:7], s[4:5]
	s_cbranch_execnz .LBB57_1251
	s_branch .LBB57_1252
.LBB57_3301:
	s_movk_i32 s4, 0x80
	v_cmp_eq_u16_sdwa s[12:13], v5, s4 src0_sel:BYTE_0 src1_sel:DWORD
	s_mov_b64 s[4:5], -1
                                        ; implicit-def: $sgpr10
	s_and_saveexec_b64 s[8:9], s[12:13]
; %bb.3302:
	s_mov_b32 s10, 0x7f800001
	s_xor_b64 s[4:5], exec, -1
; %bb.3303:
	s_or_b64 exec, exec, s[8:9]
	s_and_b64 s[4:5], s[4:5], exec
	s_or_saveexec_b64 s[6:7], s[6:7]
	v_mov_b32_e32 v3, s10
	s_xor_b64 exec, exec, s[6:7]
	s_cbranch_execz .LBB57_1254
.LBB57_3304:
	v_mov_b32_e32 v3, 0
	v_cmp_ne_u16_sdwa s[8:9], v5, v3 src0_sel:BYTE_0 src1_sel:DWORD
	s_andn2_b64 s[4:5], s[4:5], exec
	s_and_b64 s[8:9], s[8:9], exec
	s_or_b64 s[4:5], s[4:5], s[8:9]
	s_or_b64 exec, exec, s[6:7]
	s_and_saveexec_b64 s[6:7], s[4:5]
	s_cbranch_execnz .LBB57_1255
	s_branch .LBB57_1256
.LBB57_3305:
	s_movk_i32 s4, 0x80
	v_cmp_eq_u16_sdwa s[12:13], v3, s4 src0_sel:BYTE_0 src1_sel:DWORD
	s_mov_b64 s[4:5], -1
                                        ; implicit-def: $sgpr10
	s_and_saveexec_b64 s[8:9], s[12:13]
; %bb.3306:
	s_mov_b32 s10, 0x7f800001
	s_xor_b64 s[4:5], exec, -1
; %bb.3307:
	s_or_b64 exec, exec, s[8:9]
	s_and_b64 s[4:5], s[4:5], exec
	s_or_saveexec_b64 s[6:7], s[6:7]
	v_mov_b32_e32 v2, s10
	s_xor_b64 exec, exec, s[6:7]
	s_cbranch_execz .LBB57_1258
.LBB57_3308:
	v_mov_b32_e32 v2, 0
	v_cmp_ne_u16_sdwa s[8:9], v3, v2 src0_sel:BYTE_0 src1_sel:DWORD
	s_andn2_b64 s[4:5], s[4:5], exec
	s_and_b64 s[8:9], s[8:9], exec
	s_or_b64 s[4:5], s[4:5], s[8:9]
	s_or_b64 exec, exec, s[6:7]
	s_and_saveexec_b64 s[6:7], s[4:5]
	s_cbranch_execnz .LBB57_1259
	s_branch .LBB57_1260
.LBB57_3309:
	s_movk_i32 s4, 0x80
	v_cmp_eq_u16_sdwa s[12:13], v3, s4 src0_sel:BYTE_0 src1_sel:DWORD
	s_mov_b64 s[4:5], -1
                                        ; implicit-def: $sgpr10
	s_and_saveexec_b64 s[8:9], s[12:13]
; %bb.3310:
	s_mov_b32 s10, 0x7f800001
	s_xor_b64 s[4:5], exec, -1
; %bb.3311:
	s_or_b64 exec, exec, s[8:9]
	s_and_b64 s[4:5], s[4:5], exec
	s_or_saveexec_b64 s[6:7], s[6:7]
	v_mov_b32_e32 v4, s10
	s_xor_b64 exec, exec, s[6:7]
	s_cbranch_execz .LBB57_1262
.LBB57_3312:
	v_mov_b32_e32 v4, 0
	v_cmp_ne_u16_sdwa s[8:9], v3, v4 src0_sel:BYTE_0 src1_sel:DWORD
	s_andn2_b64 s[4:5], s[4:5], exec
	s_and_b64 s[8:9], s[8:9], exec
	s_or_b64 s[4:5], s[4:5], s[8:9]
	s_or_b64 exec, exec, s[6:7]
	s_and_saveexec_b64 s[6:7], s[4:5]
	s_cbranch_execnz .LBB57_1263
	s_branch .LBB57_1264
.LBB57_3313:
	s_movk_i32 s4, 0x80
	v_cmp_eq_u16_e32 vcc, s4, v3
	s_mov_b64 s[4:5], -1
                                        ; implicit-def: $sgpr10
	s_and_saveexec_b64 s[8:9], vcc
; %bb.3314:
	s_mov_b32 s10, 0x7f800001
	s_xor_b64 s[4:5], exec, -1
; %bb.3315:
	s_or_b64 exec, exec, s[8:9]
	s_and_b64 s[4:5], s[4:5], exec
                                        ; implicit-def: $vgpr3
	s_or_saveexec_b64 s[6:7], s[6:7]
	v_mov_b32_e32 v2, s10
	s_xor_b64 exec, exec, s[6:7]
	s_cbranch_execz .LBB57_1266
.LBB57_3316:
	v_cmp_ne_u16_e32 vcc, 0, v3
	s_andn2_b64 s[4:5], s[4:5], exec
	s_and_b64 s[8:9], vcc, exec
	v_mov_b32_e32 v2, 0
	s_or_b64 s[4:5], s[4:5], s[8:9]
	s_or_b64 exec, exec, s[6:7]
	s_and_saveexec_b64 s[6:7], s[4:5]
	s_cbranch_execnz .LBB57_1267
	s_branch .LBB57_1268
.LBB57_3317:
	s_movk_i32 s4, 0x80
	v_cmp_eq_u16_e32 vcc, s4, v3
	s_mov_b64 s[4:5], -1
                                        ; implicit-def: $sgpr10
	s_and_saveexec_b64 s[8:9], vcc
; %bb.3318:
	s_mov_b32 s10, 0x7f800001
	s_xor_b64 s[4:5], exec, -1
; %bb.3319:
	s_or_b64 exec, exec, s[8:9]
	s_and_b64 s[4:5], s[4:5], exec
                                        ; implicit-def: $vgpr3
	s_or_saveexec_b64 s[6:7], s[6:7]
	v_mov_b32_e32 v4, s10
	s_xor_b64 exec, exec, s[6:7]
	s_cbranch_execz .LBB57_1270
.LBB57_3320:
	v_cmp_ne_u16_e32 vcc, 0, v3
	s_andn2_b64 s[4:5], s[4:5], exec
	s_and_b64 s[8:9], vcc, exec
	v_mov_b32_e32 v4, 0
	s_or_b64 s[4:5], s[4:5], s[8:9]
	s_or_b64 exec, exec, s[6:7]
	s_and_saveexec_b64 s[6:7], s[4:5]
	s_cbranch_execnz .LBB57_1271
	s_branch .LBB57_1272
.LBB57_3321:
	s_movk_i32 s4, 0x80
	v_cmp_eq_u16_sdwa s[12:13], v9, s4 src0_sel:BYTE_3 src1_sel:DWORD
	s_mov_b64 s[4:5], -1
                                        ; implicit-def: $sgpr10
	s_and_saveexec_b64 s[8:9], s[12:13]
; %bb.3322:
	s_mov_b32 s10, 0x7f800001
	s_xor_b64 s[4:5], exec, -1
; %bb.3323:
	s_or_b64 exec, exec, s[8:9]
	s_and_b64 s[4:5], s[4:5], exec
	s_or_saveexec_b64 s[6:7], s[6:7]
	v_mov_b32_e32 v2, s10
	s_xor_b64 exec, exec, s[6:7]
	s_cbranch_execz .LBB57_1274
.LBB57_3324:
	v_mov_b32_e32 v2, 0
	v_cmp_ne_u16_sdwa s[8:9], v9, v2 src0_sel:BYTE_3 src1_sel:DWORD
	s_andn2_b64 s[4:5], s[4:5], exec
	s_and_b64 s[8:9], s[8:9], exec
	s_or_b64 s[4:5], s[4:5], s[8:9]
	s_or_b64 exec, exec, s[6:7]
	s_and_saveexec_b64 s[6:7], s[4:5]
	s_cbranch_execnz .LBB57_1275
	s_branch .LBB57_1276
.LBB57_3325:
	s_movk_i32 s4, 0x80
	v_cmp_eq_u16_sdwa s[12:13], v5, s4 src0_sel:BYTE_3 src1_sel:DWORD
	s_mov_b64 s[4:5], -1
                                        ; implicit-def: $sgpr10
	s_and_saveexec_b64 s[8:9], s[12:13]
; %bb.3326:
	s_mov_b32 s10, 0x7f800001
	s_xor_b64 s[4:5], exec, -1
; %bb.3327:
	s_or_b64 exec, exec, s[8:9]
	s_and_b64 s[4:5], s[4:5], exec
	s_or_saveexec_b64 s[6:7], s[6:7]
	v_mov_b32_e32 v3, s10
	s_xor_b64 exec, exec, s[6:7]
	s_cbranch_execz .LBB57_1278
.LBB57_3328:
	v_mov_b32_e32 v3, 0
	v_cmp_ne_u16_sdwa s[8:9], v5, v3 src0_sel:BYTE_3 src1_sel:DWORD
	s_andn2_b64 s[4:5], s[4:5], exec
	s_and_b64 s[8:9], s[8:9], exec
	s_or_b64 s[4:5], s[4:5], s[8:9]
	s_or_b64 exec, exec, s[6:7]
	s_and_saveexec_b64 s[6:7], s[4:5]
	s_cbranch_execnz .LBB57_1279
	s_branch .LBB57_1280
.LBB57_3329:
	s_movk_i32 s4, 0x80
	v_cmp_eq_u16_sdwa s[12:13], v14, s4 src0_sel:BYTE_0 src1_sel:DWORD
	s_mov_b64 s[4:5], -1
                                        ; implicit-def: $sgpr10
	s_and_saveexec_b64 s[8:9], s[12:13]
; %bb.3330:
	s_mov_b32 s10, 0x7f800001
	s_xor_b64 s[4:5], exec, -1
; %bb.3331:
	s_or_b64 exec, exec, s[8:9]
	s_and_b64 s[4:5], s[4:5], exec
	s_or_saveexec_b64 s[6:7], s[6:7]
	v_mov_b32_e32 v20, s10
	s_xor_b64 exec, exec, s[6:7]
	s_cbranch_execz .LBB57_1282
.LBB57_3332:
	v_mov_b32_e32 v20, 0
	v_cmp_ne_u16_sdwa s[8:9], v14, v20 src0_sel:BYTE_0 src1_sel:DWORD
	s_andn2_b64 s[4:5], s[4:5], exec
	s_and_b64 s[8:9], s[8:9], exec
	s_or_b64 s[4:5], s[4:5], s[8:9]
	s_or_b64 exec, exec, s[6:7]
	s_and_saveexec_b64 s[6:7], s[4:5]
	s_cbranch_execnz .LBB57_1283
	s_branch .LBB57_1284
.LBB57_3333:
	s_movk_i32 s4, 0x80
	v_cmp_eq_u16_sdwa s[12:13], v10, s4 src0_sel:BYTE_0 src1_sel:DWORD
	s_mov_b64 s[4:5], -1
                                        ; implicit-def: $sgpr10
	s_and_saveexec_b64 s[8:9], s[12:13]
; %bb.3334:
	s_mov_b32 s10, 0x7f800001
	s_xor_b64 s[4:5], exec, -1
; %bb.3335:
	s_or_b64 exec, exec, s[8:9]
	s_and_b64 s[4:5], s[4:5], exec
	s_or_saveexec_b64 s[6:7], s[6:7]
	v_mov_b32_e32 v21, s10
	s_xor_b64 exec, exec, s[6:7]
	s_cbranch_execz .LBB57_1286
.LBB57_3336:
	v_mov_b32_e32 v21, 0
	v_cmp_ne_u16_sdwa s[8:9], v10, v21 src0_sel:BYTE_0 src1_sel:DWORD
	s_andn2_b64 s[4:5], s[4:5], exec
	s_and_b64 s[8:9], s[8:9], exec
	s_or_b64 s[4:5], s[4:5], s[8:9]
	s_or_b64 exec, exec, s[6:7]
	s_and_saveexec_b64 s[6:7], s[4:5]
	s_cbranch_execnz .LBB57_1287
	s_branch .LBB57_1288
.LBB57_3337:
	s_movk_i32 s4, 0x80
	v_cmp_eq_u16_sdwa s[12:13], v21, s4 src0_sel:BYTE_0 src1_sel:DWORD
	s_mov_b64 s[4:5], -1
                                        ; implicit-def: $sgpr10
	s_and_saveexec_b64 s[8:9], s[12:13]
; %bb.3338:
	s_mov_b32 s10, 0x7f800001
	s_xor_b64 s[4:5], exec, -1
; %bb.3339:
	s_or_b64 exec, exec, s[8:9]
	s_and_b64 s[4:5], s[4:5], exec
	s_or_saveexec_b64 s[6:7], s[6:7]
	v_mov_b32_e32 v20, s10
	s_xor_b64 exec, exec, s[6:7]
	s_cbranch_execz .LBB57_1290
.LBB57_3340:
	v_mov_b32_e32 v20, 0
	v_cmp_ne_u16_sdwa s[8:9], v21, v20 src0_sel:BYTE_0 src1_sel:DWORD
	s_andn2_b64 s[4:5], s[4:5], exec
	s_and_b64 s[8:9], s[8:9], exec
	s_or_b64 s[4:5], s[4:5], s[8:9]
	s_or_b64 exec, exec, s[6:7]
	s_and_saveexec_b64 s[6:7], s[4:5]
	s_cbranch_execnz .LBB57_1291
	s_branch .LBB57_1292
.LBB57_3341:
	s_movk_i32 s4, 0x80
	v_cmp_eq_u16_sdwa s[12:13], v21, s4 src0_sel:BYTE_0 src1_sel:DWORD
	s_mov_b64 s[4:5], -1
                                        ; implicit-def: $sgpr10
	s_and_saveexec_b64 s[8:9], s[12:13]
; %bb.3342:
	s_mov_b32 s10, 0x7f800001
	s_xor_b64 s[4:5], exec, -1
; %bb.3343:
	s_or_b64 exec, exec, s[8:9]
	s_and_b64 s[4:5], s[4:5], exec
	s_or_saveexec_b64 s[6:7], s[6:7]
	v_mov_b32_e32 v22, s10
	s_xor_b64 exec, exec, s[6:7]
	s_cbranch_execz .LBB57_1294
.LBB57_3344:
	v_mov_b32_e32 v22, 0
	v_cmp_ne_u16_sdwa s[8:9], v21, v22 src0_sel:BYTE_0 src1_sel:DWORD
	s_andn2_b64 s[4:5], s[4:5], exec
	s_and_b64 s[8:9], s[8:9], exec
	s_or_b64 s[4:5], s[4:5], s[8:9]
	s_or_b64 exec, exec, s[6:7]
	s_and_saveexec_b64 s[6:7], s[4:5]
	s_cbranch_execnz .LBB57_1295
	s_branch .LBB57_1296
.LBB57_3345:
	s_movk_i32 s4, 0x80
	v_cmp_eq_u16_e32 vcc, s4, v21
	s_mov_b64 s[4:5], -1
                                        ; implicit-def: $sgpr10
	s_and_saveexec_b64 s[8:9], vcc
; %bb.3346:
	s_mov_b32 s10, 0x7f800001
	s_xor_b64 s[4:5], exec, -1
; %bb.3347:
	s_or_b64 exec, exec, s[8:9]
	s_and_b64 s[4:5], s[4:5], exec
                                        ; implicit-def: $vgpr21
	s_or_saveexec_b64 s[6:7], s[6:7]
	v_mov_b32_e32 v20, s10
	s_xor_b64 exec, exec, s[6:7]
	s_cbranch_execz .LBB57_1298
.LBB57_3348:
	v_cmp_ne_u16_e32 vcc, 0, v21
	s_andn2_b64 s[4:5], s[4:5], exec
	s_and_b64 s[8:9], vcc, exec
	v_mov_b32_e32 v20, 0
	s_or_b64 s[4:5], s[4:5], s[8:9]
	s_or_b64 exec, exec, s[6:7]
	s_and_saveexec_b64 s[6:7], s[4:5]
	s_cbranch_execnz .LBB57_1299
	s_branch .LBB57_1300
.LBB57_3349:
	s_movk_i32 s4, 0x80
	v_cmp_eq_u16_e32 vcc, s4, v21
	s_mov_b64 s[4:5], -1
                                        ; implicit-def: $sgpr10
	s_and_saveexec_b64 s[8:9], vcc
; %bb.3350:
	s_mov_b32 s10, 0x7f800001
	s_xor_b64 s[4:5], exec, -1
; %bb.3351:
	s_or_b64 exec, exec, s[8:9]
	s_and_b64 s[4:5], s[4:5], exec
                                        ; implicit-def: $vgpr21
	s_or_saveexec_b64 s[6:7], s[6:7]
	v_mov_b32_e32 v22, s10
	s_xor_b64 exec, exec, s[6:7]
	s_cbranch_execz .LBB57_1302
.LBB57_3352:
	v_cmp_ne_u16_e32 vcc, 0, v21
	s_andn2_b64 s[4:5], s[4:5], exec
	s_and_b64 s[8:9], vcc, exec
	v_mov_b32_e32 v22, 0
	s_or_b64 s[4:5], s[4:5], s[8:9]
	s_or_b64 exec, exec, s[6:7]
	s_and_saveexec_b64 s[6:7], s[4:5]
	s_cbranch_execnz .LBB57_1303
	s_branch .LBB57_1304
.LBB57_3353:
	s_movk_i32 s4, 0x80
	v_cmp_eq_u16_sdwa s[12:13], v14, s4 src0_sel:BYTE_3 src1_sel:DWORD
	s_mov_b64 s[4:5], -1
                                        ; implicit-def: $sgpr10
	s_and_saveexec_b64 s[8:9], s[12:13]
; %bb.3354:
	s_mov_b32 s10, 0x7f800001
	s_xor_b64 s[4:5], exec, -1
; %bb.3355:
	s_or_b64 exec, exec, s[8:9]
	s_and_b64 s[4:5], s[4:5], exec
	s_or_saveexec_b64 s[6:7], s[6:7]
	v_mov_b32_e32 v20, s10
	s_xor_b64 exec, exec, s[6:7]
	s_cbranch_execz .LBB57_1306
.LBB57_3356:
	v_mov_b32_e32 v20, 0
	v_cmp_ne_u16_sdwa s[8:9], v14, v20 src0_sel:BYTE_3 src1_sel:DWORD
	s_andn2_b64 s[4:5], s[4:5], exec
	s_and_b64 s[8:9], s[8:9], exec
	s_or_b64 s[4:5], s[4:5], s[8:9]
	s_or_b64 exec, exec, s[6:7]
	s_and_saveexec_b64 s[6:7], s[4:5]
	s_cbranch_execnz .LBB57_1307
	s_branch .LBB57_1308
.LBB57_3357:
	s_movk_i32 s4, 0x80
	v_cmp_eq_u16_sdwa s[12:13], v10, s4 src0_sel:BYTE_3 src1_sel:DWORD
	s_mov_b64 s[4:5], -1
                                        ; implicit-def: $sgpr10
	s_and_saveexec_b64 s[8:9], s[12:13]
; %bb.3358:
	s_mov_b32 s10, 0x7f800001
	s_xor_b64 s[4:5], exec, -1
; %bb.3359:
	s_or_b64 exec, exec, s[8:9]
	s_and_b64 s[4:5], s[4:5], exec
	s_or_saveexec_b64 s[6:7], s[6:7]
	v_mov_b32_e32 v14, s10
	s_xor_b64 exec, exec, s[6:7]
	s_cbranch_execz .LBB57_1310
.LBB57_3360:
	v_mov_b32_e32 v14, 0
	v_cmp_ne_u16_sdwa s[8:9], v10, v14 src0_sel:BYTE_3 src1_sel:DWORD
	s_andn2_b64 s[4:5], s[4:5], exec
	s_and_b64 s[8:9], s[8:9], exec
	s_or_b64 s[4:5], s[4:5], s[8:9]
	s_or_b64 exec, exec, s[6:7]
	s_and_saveexec_b64 s[6:7], s[4:5]
	s_cbranch_execnz .LBB57_1311
	s_branch .LBB57_1312
.LBB57_3361:
	s_movk_i32 s4, 0x80
	v_cmp_eq_u16_sdwa s[12:13], v15, s4 src0_sel:BYTE_0 src1_sel:DWORD
	s_mov_b64 s[4:5], -1
                                        ; implicit-def: $sgpr10
	s_and_saveexec_b64 s[8:9], s[12:13]
; %bb.3362:
	s_mov_b32 s10, 0x7f800001
	s_xor_b64 s[4:5], exec, -1
; %bb.3363:
	s_or_b64 exec, exec, s[8:9]
	s_and_b64 s[4:5], s[4:5], exec
	s_or_saveexec_b64 s[6:7], s[6:7]
	v_mov_b32_e32 v10, s10
	s_xor_b64 exec, exec, s[6:7]
	s_cbranch_execz .LBB57_1314
.LBB57_3364:
	v_mov_b32_e32 v10, 0
	v_cmp_ne_u16_sdwa s[8:9], v15, v10 src0_sel:BYTE_0 src1_sel:DWORD
	s_andn2_b64 s[4:5], s[4:5], exec
	s_and_b64 s[8:9], s[8:9], exec
	s_or_b64 s[4:5], s[4:5], s[8:9]
	s_or_b64 exec, exec, s[6:7]
	s_and_saveexec_b64 s[6:7], s[4:5]
	s_cbranch_execnz .LBB57_1315
	s_branch .LBB57_1316
.LBB57_3365:
	s_movk_i32 s4, 0x80
	v_cmp_eq_u16_sdwa s[12:13], v11, s4 src0_sel:BYTE_0 src1_sel:DWORD
	s_mov_b64 s[4:5], -1
                                        ; implicit-def: $sgpr10
	s_and_saveexec_b64 s[8:9], s[12:13]
; %bb.3366:
	s_mov_b32 s10, 0x7f800001
	s_xor_b64 s[4:5], exec, -1
; %bb.3367:
	s_or_b64 exec, exec, s[8:9]
	s_and_b64 s[4:5], s[4:5], exec
	s_or_saveexec_b64 s[6:7], s[6:7]
	v_mov_b32_e32 v14, s10
	s_xor_b64 exec, exec, s[6:7]
	s_cbranch_execz .LBB57_1318
.LBB57_3368:
	v_mov_b32_e32 v14, 0
	v_cmp_ne_u16_sdwa s[8:9], v11, v14 src0_sel:BYTE_0 src1_sel:DWORD
	s_andn2_b64 s[4:5], s[4:5], exec
	s_and_b64 s[8:9], s[8:9], exec
	s_or_b64 s[4:5], s[4:5], s[8:9]
	s_or_b64 exec, exec, s[6:7]
	s_and_saveexec_b64 s[6:7], s[4:5]
	s_cbranch_execnz .LBB57_1319
	s_branch .LBB57_1320
.LBB57_3369:
	s_movk_i32 s4, 0x80
	v_cmp_eq_u16_sdwa s[12:13], v14, s4 src0_sel:BYTE_0 src1_sel:DWORD
	s_mov_b64 s[4:5], -1
                                        ; implicit-def: $sgpr10
	s_and_saveexec_b64 s[8:9], s[12:13]
; %bb.3370:
	s_mov_b32 s10, 0x7f800001
	s_xor_b64 s[4:5], exec, -1
; %bb.3371:
	s_or_b64 exec, exec, s[8:9]
	s_and_b64 s[4:5], s[4:5], exec
	s_or_saveexec_b64 s[6:7], s[6:7]
	v_mov_b32_e32 v10, s10
	s_xor_b64 exec, exec, s[6:7]
	s_cbranch_execz .LBB57_1322
.LBB57_3372:
	v_mov_b32_e32 v10, 0
	v_cmp_ne_u16_sdwa s[8:9], v14, v10 src0_sel:BYTE_0 src1_sel:DWORD
	s_andn2_b64 s[4:5], s[4:5], exec
	s_and_b64 s[8:9], s[8:9], exec
	s_or_b64 s[4:5], s[4:5], s[8:9]
	s_or_b64 exec, exec, s[6:7]
	s_and_saveexec_b64 s[6:7], s[4:5]
	s_cbranch_execnz .LBB57_1323
	s_branch .LBB57_1324
.LBB57_3373:
	s_movk_i32 s4, 0x80
	v_cmp_eq_u16_sdwa s[12:13], v14, s4 src0_sel:BYTE_0 src1_sel:DWORD
	s_mov_b64 s[4:5], -1
                                        ; implicit-def: $sgpr10
	s_and_saveexec_b64 s[8:9], s[12:13]
; %bb.3374:
	s_mov_b32 s10, 0x7f800001
	s_xor_b64 s[4:5], exec, -1
; %bb.3375:
	s_or_b64 exec, exec, s[8:9]
	s_and_b64 s[4:5], s[4:5], exec
	s_or_saveexec_b64 s[6:7], s[6:7]
	v_mov_b32_e32 v20, s10
	s_xor_b64 exec, exec, s[6:7]
	s_cbranch_execz .LBB57_1326
.LBB57_3376:
	v_mov_b32_e32 v20, 0
	v_cmp_ne_u16_sdwa s[8:9], v14, v20 src0_sel:BYTE_0 src1_sel:DWORD
	s_andn2_b64 s[4:5], s[4:5], exec
	s_and_b64 s[8:9], s[8:9], exec
	s_or_b64 s[4:5], s[4:5], s[8:9]
	s_or_b64 exec, exec, s[6:7]
	s_and_saveexec_b64 s[6:7], s[4:5]
	s_cbranch_execnz .LBB57_1327
	s_branch .LBB57_1328
.LBB57_3377:
	s_movk_i32 s4, 0x80
	v_cmp_eq_u16_e32 vcc, s4, v14
	s_mov_b64 s[4:5], -1
                                        ; implicit-def: $sgpr10
	s_and_saveexec_b64 s[8:9], vcc
; %bb.3378:
	s_mov_b32 s10, 0x7f800001
	s_xor_b64 s[4:5], exec, -1
; %bb.3379:
	s_or_b64 exec, exec, s[8:9]
	s_and_b64 s[4:5], s[4:5], exec
                                        ; implicit-def: $vgpr14
	s_or_saveexec_b64 s[6:7], s[6:7]
	v_mov_b32_e32 v10, s10
	s_xor_b64 exec, exec, s[6:7]
	s_cbranch_execz .LBB57_1330
.LBB57_3380:
	v_cmp_ne_u16_e32 vcc, 0, v14
	s_andn2_b64 s[4:5], s[4:5], exec
	s_and_b64 s[8:9], vcc, exec
	v_mov_b32_e32 v10, 0
	s_or_b64 s[4:5], s[4:5], s[8:9]
	s_or_b64 exec, exec, s[6:7]
	s_and_saveexec_b64 s[6:7], s[4:5]
	s_cbranch_execnz .LBB57_1331
	s_branch .LBB57_1332
.LBB57_3381:
	s_movk_i32 s4, 0x80
	v_cmp_eq_u16_e32 vcc, s4, v14
	s_mov_b64 s[4:5], -1
                                        ; implicit-def: $sgpr10
	s_and_saveexec_b64 s[8:9], vcc
; %bb.3382:
	s_mov_b32 s10, 0x7f800001
	s_xor_b64 s[4:5], exec, -1
; %bb.3383:
	s_or_b64 exec, exec, s[8:9]
	s_and_b64 s[4:5], s[4:5], exec
                                        ; implicit-def: $vgpr14
	s_or_saveexec_b64 s[6:7], s[6:7]
	v_mov_b32_e32 v20, s10
	s_xor_b64 exec, exec, s[6:7]
	s_cbranch_execz .LBB57_1334
.LBB57_3384:
	v_cmp_ne_u16_e32 vcc, 0, v14
	s_andn2_b64 s[4:5], s[4:5], exec
	s_and_b64 s[8:9], vcc, exec
	v_mov_b32_e32 v20, 0
	s_or_b64 s[4:5], s[4:5], s[8:9]
	s_or_b64 exec, exec, s[6:7]
	s_and_saveexec_b64 s[6:7], s[4:5]
	s_cbranch_execnz .LBB57_1335
	s_branch .LBB57_1336
.LBB57_3385:
	s_movk_i32 s4, 0x80
	v_cmp_eq_u16_sdwa s[12:13], v15, s4 src0_sel:BYTE_3 src1_sel:DWORD
	s_mov_b64 s[4:5], -1
                                        ; implicit-def: $sgpr10
	s_and_saveexec_b64 s[8:9], s[12:13]
; %bb.3386:
	s_mov_b32 s10, 0x7f800001
	s_xor_b64 s[4:5], exec, -1
; %bb.3387:
	s_or_b64 exec, exec, s[8:9]
	s_and_b64 s[4:5], s[4:5], exec
	s_or_saveexec_b64 s[6:7], s[6:7]
	v_mov_b32_e32 v10, s10
	s_xor_b64 exec, exec, s[6:7]
	s_cbranch_execz .LBB57_1338
.LBB57_3388:
	v_mov_b32_e32 v10, 0
	v_cmp_ne_u16_sdwa s[8:9], v15, v10 src0_sel:BYTE_3 src1_sel:DWORD
	s_andn2_b64 s[4:5], s[4:5], exec
	s_and_b64 s[8:9], s[8:9], exec
	s_or_b64 s[4:5], s[4:5], s[8:9]
	s_or_b64 exec, exec, s[6:7]
	s_and_saveexec_b64 s[6:7], s[4:5]
	s_cbranch_execnz .LBB57_1339
	s_branch .LBB57_1340
.LBB57_3389:
	s_movk_i32 s4, 0x80
	v_cmp_eq_u16_sdwa s[12:13], v11, s4 src0_sel:BYTE_3 src1_sel:DWORD
	s_mov_b64 s[4:5], -1
                                        ; implicit-def: $sgpr10
	s_and_saveexec_b64 s[8:9], s[12:13]
; %bb.3390:
	s_mov_b32 s10, 0x7f800001
	s_xor_b64 s[4:5], exec, -1
; %bb.3391:
	s_or_b64 exec, exec, s[8:9]
	s_and_b64 s[4:5], s[4:5], exec
	s_or_saveexec_b64 s[6:7], s[6:7]
	v_mov_b32_e32 v14, s10
	s_xor_b64 exec, exec, s[6:7]
	s_cbranch_execz .LBB57_1342
.LBB57_3392:
	v_mov_b32_e32 v14, 0
	v_cmp_ne_u16_sdwa s[8:9], v11, v14 src0_sel:BYTE_3 src1_sel:DWORD
	s_andn2_b64 s[4:5], s[4:5], exec
	s_and_b64 s[8:9], s[8:9], exec
	s_or_b64 s[4:5], s[4:5], s[8:9]
	s_or_b64 exec, exec, s[6:7]
	s_and_saveexec_b64 s[6:7], s[4:5]
	s_cbranch_execnz .LBB57_1343
	s_branch .LBB57_1344
.LBB57_3393:
	s_movk_i32 s4, 0x80
	v_cmp_eq_u16_sdwa s[12:13], v16, s4 src0_sel:BYTE_0 src1_sel:DWORD
	s_mov_b64 s[4:5], -1
                                        ; implicit-def: $sgpr10
	s_and_saveexec_b64 s[8:9], s[12:13]
; %bb.3394:
	s_mov_b32 s10, 0x7f800001
	s_xor_b64 s[4:5], exec, -1
; %bb.3395:
	s_or_b64 exec, exec, s[8:9]
	s_and_b64 s[4:5], s[4:5], exec
	s_or_saveexec_b64 s[6:7], s[6:7]
	v_mov_b32_e32 v10, s10
	s_xor_b64 exec, exec, s[6:7]
	s_cbranch_execz .LBB57_1346
.LBB57_3396:
	v_mov_b32_e32 v10, 0
	v_cmp_ne_u16_sdwa s[8:9], v16, v10 src0_sel:BYTE_0 src1_sel:DWORD
	s_andn2_b64 s[4:5], s[4:5], exec
	s_and_b64 s[8:9], s[8:9], exec
	s_or_b64 s[4:5], s[4:5], s[8:9]
	s_or_b64 exec, exec, s[6:7]
	s_and_saveexec_b64 s[6:7], s[4:5]
	s_cbranch_execnz .LBB57_1347
	s_branch .LBB57_1348
.LBB57_3397:
	s_movk_i32 s4, 0x80
	v_cmp_eq_u16_sdwa s[12:13], v12, s4 src0_sel:BYTE_0 src1_sel:DWORD
	s_mov_b64 s[4:5], -1
                                        ; implicit-def: $sgpr10
	s_and_saveexec_b64 s[8:9], s[12:13]
; %bb.3398:
	s_mov_b32 s10, 0x7f800001
	s_xor_b64 s[4:5], exec, -1
; %bb.3399:
	s_or_b64 exec, exec, s[8:9]
	s_and_b64 s[4:5], s[4:5], exec
	s_or_saveexec_b64 s[6:7], s[6:7]
	v_mov_b32_e32 v11, s10
	s_xor_b64 exec, exec, s[6:7]
	s_cbranch_execz .LBB57_1350
.LBB57_3400:
	v_mov_b32_e32 v11, 0
	v_cmp_ne_u16_sdwa s[8:9], v12, v11 src0_sel:BYTE_0 src1_sel:DWORD
	s_andn2_b64 s[4:5], s[4:5], exec
	s_and_b64 s[8:9], s[8:9], exec
	s_or_b64 s[4:5], s[4:5], s[8:9]
	s_or_b64 exec, exec, s[6:7]
	s_and_saveexec_b64 s[6:7], s[4:5]
	s_cbranch_execnz .LBB57_1351
	s_branch .LBB57_1352
.LBB57_3401:
	s_movk_i32 s4, 0x80
	v_cmp_eq_u16_sdwa s[12:13], v11, s4 src0_sel:BYTE_0 src1_sel:DWORD
	s_mov_b64 s[4:5], -1
                                        ; implicit-def: $sgpr10
	s_and_saveexec_b64 s[8:9], s[12:13]
; %bb.3402:
	s_mov_b32 s10, 0x7f800001
	s_xor_b64 s[4:5], exec, -1
; %bb.3403:
	s_or_b64 exec, exec, s[8:9]
	s_and_b64 s[4:5], s[4:5], exec
	s_or_saveexec_b64 s[6:7], s[6:7]
	v_mov_b32_e32 v10, s10
	s_xor_b64 exec, exec, s[6:7]
	s_cbranch_execz .LBB57_1354
.LBB57_3404:
	v_mov_b32_e32 v10, 0
	v_cmp_ne_u16_sdwa s[8:9], v11, v10 src0_sel:BYTE_0 src1_sel:DWORD
	s_andn2_b64 s[4:5], s[4:5], exec
	s_and_b64 s[8:9], s[8:9], exec
	s_or_b64 s[4:5], s[4:5], s[8:9]
	s_or_b64 exec, exec, s[6:7]
	s_and_saveexec_b64 s[6:7], s[4:5]
	s_cbranch_execnz .LBB57_1355
	s_branch .LBB57_1356
.LBB57_3405:
	s_movk_i32 s4, 0x80
	v_cmp_eq_u16_sdwa s[12:13], v11, s4 src0_sel:BYTE_0 src1_sel:DWORD
	s_mov_b64 s[4:5], -1
                                        ; implicit-def: $sgpr10
	s_and_saveexec_b64 s[8:9], s[12:13]
; %bb.3406:
	s_mov_b32 s10, 0x7f800001
	s_xor_b64 s[4:5], exec, -1
; %bb.3407:
	s_or_b64 exec, exec, s[8:9]
	s_and_b64 s[4:5], s[4:5], exec
	s_or_saveexec_b64 s[6:7], s[6:7]
	v_mov_b32_e32 v14, s10
	s_xor_b64 exec, exec, s[6:7]
	s_cbranch_execz .LBB57_1358
.LBB57_3408:
	v_mov_b32_e32 v14, 0
	v_cmp_ne_u16_sdwa s[8:9], v11, v14 src0_sel:BYTE_0 src1_sel:DWORD
	s_andn2_b64 s[4:5], s[4:5], exec
	s_and_b64 s[8:9], s[8:9], exec
	s_or_b64 s[4:5], s[4:5], s[8:9]
	s_or_b64 exec, exec, s[6:7]
	s_and_saveexec_b64 s[6:7], s[4:5]
	s_cbranch_execnz .LBB57_1359
	s_branch .LBB57_1360
.LBB57_3409:
	s_movk_i32 s4, 0x80
	v_cmp_eq_u16_e32 vcc, s4, v11
	s_mov_b64 s[4:5], -1
                                        ; implicit-def: $sgpr10
	s_and_saveexec_b64 s[8:9], vcc
; %bb.3410:
	s_mov_b32 s10, 0x7f800001
	s_xor_b64 s[4:5], exec, -1
; %bb.3411:
	s_or_b64 exec, exec, s[8:9]
	s_and_b64 s[4:5], s[4:5], exec
                                        ; implicit-def: $vgpr11
	s_or_saveexec_b64 s[6:7], s[6:7]
	v_mov_b32_e32 v10, s10
	s_xor_b64 exec, exec, s[6:7]
	s_cbranch_execz .LBB57_1362
.LBB57_3412:
	v_cmp_ne_u16_e32 vcc, 0, v11
	s_andn2_b64 s[4:5], s[4:5], exec
	s_and_b64 s[8:9], vcc, exec
	v_mov_b32_e32 v10, 0
	s_or_b64 s[4:5], s[4:5], s[8:9]
	s_or_b64 exec, exec, s[6:7]
	s_and_saveexec_b64 s[6:7], s[4:5]
	s_cbranch_execnz .LBB57_1363
	s_branch .LBB57_1364
.LBB57_3413:
	s_movk_i32 s4, 0x80
	v_cmp_eq_u16_e32 vcc, s4, v11
	s_mov_b64 s[4:5], -1
                                        ; implicit-def: $sgpr10
	s_and_saveexec_b64 s[8:9], vcc
; %bb.3414:
	s_mov_b32 s10, 0x7f800001
	s_xor_b64 s[4:5], exec, -1
; %bb.3415:
	s_or_b64 exec, exec, s[8:9]
	s_and_b64 s[4:5], s[4:5], exec
                                        ; implicit-def: $vgpr11
	s_or_saveexec_b64 s[6:7], s[6:7]
	v_mov_b32_e32 v14, s10
	s_xor_b64 exec, exec, s[6:7]
	s_cbranch_execz .LBB57_1366
.LBB57_3416:
	v_cmp_ne_u16_e32 vcc, 0, v11
	s_andn2_b64 s[4:5], s[4:5], exec
	s_and_b64 s[8:9], vcc, exec
	v_mov_b32_e32 v14, 0
	s_or_b64 s[4:5], s[4:5], s[8:9]
	s_or_b64 exec, exec, s[6:7]
	s_and_saveexec_b64 s[6:7], s[4:5]
	s_cbranch_execnz .LBB57_1367
	s_branch .LBB57_1368
.LBB57_3417:
	s_movk_i32 s4, 0x80
	v_cmp_eq_u16_sdwa s[12:13], v16, s4 src0_sel:BYTE_3 src1_sel:DWORD
	s_mov_b64 s[4:5], -1
                                        ; implicit-def: $sgpr10
	s_and_saveexec_b64 s[8:9], s[12:13]
; %bb.3418:
	s_mov_b32 s10, 0x7f800001
	s_xor_b64 s[4:5], exec, -1
; %bb.3419:
	s_or_b64 exec, exec, s[8:9]
	s_and_b64 s[4:5], s[4:5], exec
	s_or_saveexec_b64 s[6:7], s[6:7]
	v_mov_b32_e32 v10, s10
	s_xor_b64 exec, exec, s[6:7]
	s_cbranch_execz .LBB57_1370
.LBB57_3420:
	v_mov_b32_e32 v10, 0
	v_cmp_ne_u16_sdwa s[8:9], v16, v10 src0_sel:BYTE_3 src1_sel:DWORD
	s_andn2_b64 s[4:5], s[4:5], exec
	s_and_b64 s[8:9], s[8:9], exec
	s_or_b64 s[4:5], s[4:5], s[8:9]
	s_or_b64 exec, exec, s[6:7]
	s_and_saveexec_b64 s[6:7], s[4:5]
	s_cbranch_execnz .LBB57_1371
	s_branch .LBB57_1372
.LBB57_3421:
	s_movk_i32 s4, 0x80
	v_cmp_eq_u16_sdwa s[12:13], v12, s4 src0_sel:BYTE_3 src1_sel:DWORD
	s_mov_b64 s[4:5], -1
                                        ; implicit-def: $sgpr10
	s_and_saveexec_b64 s[8:9], s[12:13]
; %bb.3422:
	s_mov_b32 s10, 0x7f800001
	s_xor_b64 s[4:5], exec, -1
; %bb.3423:
	s_or_b64 exec, exec, s[8:9]
	s_and_b64 s[4:5], s[4:5], exec
	s_or_saveexec_b64 s[6:7], s[6:7]
	v_mov_b32_e32 v11, s10
	s_xor_b64 exec, exec, s[6:7]
	s_cbranch_execz .LBB57_1374
.LBB57_3424:
	v_mov_b32_e32 v11, 0
	v_cmp_ne_u16_sdwa s[8:9], v12, v11 src0_sel:BYTE_3 src1_sel:DWORD
	s_andn2_b64 s[4:5], s[4:5], exec
	s_and_b64 s[8:9], s[8:9], exec
	s_or_b64 s[4:5], s[4:5], s[8:9]
	s_or_b64 exec, exec, s[6:7]
	s_and_saveexec_b64 s[6:7], s[4:5]
	s_cbranch_execnz .LBB57_1375
	s_branch .LBB57_1376
.LBB57_3425:
	s_movk_i32 s4, 0x80
	v_cmp_eq_u16_sdwa s[12:13], v17, s4 src0_sel:BYTE_0 src1_sel:DWORD
	s_mov_b64 s[4:5], -1
                                        ; implicit-def: $sgpr10
	s_and_saveexec_b64 s[8:9], s[12:13]
; %bb.3426:
	s_mov_b32 s10, 0x7f800001
	s_xor_b64 s[4:5], exec, -1
; %bb.3427:
	s_or_b64 exec, exec, s[8:9]
	s_and_b64 s[4:5], s[4:5], exec
	s_or_saveexec_b64 s[6:7], s[6:7]
	v_mov_b32_e32 v10, s10
	s_xor_b64 exec, exec, s[6:7]
	s_cbranch_execz .LBB57_1378
.LBB57_3428:
	v_mov_b32_e32 v10, 0
	v_cmp_ne_u16_sdwa s[8:9], v17, v10 src0_sel:BYTE_0 src1_sel:DWORD
	s_andn2_b64 s[4:5], s[4:5], exec
	s_and_b64 s[8:9], s[8:9], exec
	s_or_b64 s[4:5], s[4:5], s[8:9]
	s_or_b64 exec, exec, s[6:7]
	s_and_saveexec_b64 s[6:7], s[4:5]
	s_cbranch_execnz .LBB57_1379
	s_branch .LBB57_1380
.LBB57_3429:
	s_movk_i32 s4, 0x80
	v_cmp_eq_u16_sdwa s[12:13], v13, s4 src0_sel:BYTE_0 src1_sel:DWORD
	s_mov_b64 s[4:5], -1
                                        ; implicit-def: $sgpr10
	s_and_saveexec_b64 s[8:9], s[12:13]
; %bb.3430:
	s_mov_b32 s10, 0x7f800001
	s_xor_b64 s[4:5], exec, -1
; %bb.3431:
	s_or_b64 exec, exec, s[8:9]
	s_and_b64 s[4:5], s[4:5], exec
	s_or_saveexec_b64 s[6:7], s[6:7]
	v_mov_b32_e32 v11, s10
	s_xor_b64 exec, exec, s[6:7]
	s_cbranch_execz .LBB57_1382
.LBB57_3432:
	v_mov_b32_e32 v11, 0
	v_cmp_ne_u16_sdwa s[8:9], v13, v11 src0_sel:BYTE_0 src1_sel:DWORD
	s_andn2_b64 s[4:5], s[4:5], exec
	s_and_b64 s[8:9], s[8:9], exec
	s_or_b64 s[4:5], s[4:5], s[8:9]
	s_or_b64 exec, exec, s[6:7]
	s_and_saveexec_b64 s[6:7], s[4:5]
	s_cbranch_execnz .LBB57_1383
	s_branch .LBB57_1384
.LBB57_3433:
	s_movk_i32 s4, 0x80
	v_cmp_eq_u16_sdwa s[12:13], v11, s4 src0_sel:BYTE_0 src1_sel:DWORD
	s_mov_b64 s[4:5], -1
                                        ; implicit-def: $sgpr10
	s_and_saveexec_b64 s[8:9], s[12:13]
; %bb.3434:
	s_mov_b32 s10, 0x7f800001
	s_xor_b64 s[4:5], exec, -1
; %bb.3435:
	s_or_b64 exec, exec, s[8:9]
	s_and_b64 s[4:5], s[4:5], exec
	s_or_saveexec_b64 s[6:7], s[6:7]
	v_mov_b32_e32 v10, s10
	s_xor_b64 exec, exec, s[6:7]
	s_cbranch_execz .LBB57_1386
.LBB57_3436:
	v_mov_b32_e32 v10, 0
	v_cmp_ne_u16_sdwa s[8:9], v11, v10 src0_sel:BYTE_0 src1_sel:DWORD
	s_andn2_b64 s[4:5], s[4:5], exec
	s_and_b64 s[8:9], s[8:9], exec
	s_or_b64 s[4:5], s[4:5], s[8:9]
	s_or_b64 exec, exec, s[6:7]
	s_and_saveexec_b64 s[6:7], s[4:5]
	s_cbranch_execnz .LBB57_1387
	s_branch .LBB57_1388
.LBB57_3437:
	s_movk_i32 s4, 0x80
	v_cmp_eq_u16_sdwa s[12:13], v11, s4 src0_sel:BYTE_0 src1_sel:DWORD
	s_mov_b64 s[4:5], -1
                                        ; implicit-def: $sgpr10
	s_and_saveexec_b64 s[8:9], s[12:13]
; %bb.3438:
	s_mov_b32 s10, 0x7f800001
	s_xor_b64 s[4:5], exec, -1
; %bb.3439:
	s_or_b64 exec, exec, s[8:9]
	s_and_b64 s[4:5], s[4:5], exec
	s_or_saveexec_b64 s[6:7], s[6:7]
	v_mov_b32_e32 v12, s10
	s_xor_b64 exec, exec, s[6:7]
	s_cbranch_execz .LBB57_1390
.LBB57_3440:
	v_mov_b32_e32 v12, 0
	v_cmp_ne_u16_sdwa s[8:9], v11, v12 src0_sel:BYTE_0 src1_sel:DWORD
	s_andn2_b64 s[4:5], s[4:5], exec
	s_and_b64 s[8:9], s[8:9], exec
	s_or_b64 s[4:5], s[4:5], s[8:9]
	s_or_b64 exec, exec, s[6:7]
	s_and_saveexec_b64 s[6:7], s[4:5]
	s_cbranch_execnz .LBB57_1391
	s_branch .LBB57_1392
.LBB57_3441:
	s_movk_i32 s4, 0x80
	v_cmp_eq_u16_e32 vcc, s4, v11
	s_mov_b64 s[4:5], -1
                                        ; implicit-def: $sgpr10
	s_and_saveexec_b64 s[8:9], vcc
; %bb.3442:
	s_mov_b32 s10, 0x7f800001
	s_xor_b64 s[4:5], exec, -1
; %bb.3443:
	s_or_b64 exec, exec, s[8:9]
	s_and_b64 s[4:5], s[4:5], exec
                                        ; implicit-def: $vgpr11
	s_or_saveexec_b64 s[6:7], s[6:7]
	v_mov_b32_e32 v10, s10
	s_xor_b64 exec, exec, s[6:7]
	s_cbranch_execz .LBB57_1394
.LBB57_3444:
	v_cmp_ne_u16_e32 vcc, 0, v11
	s_andn2_b64 s[4:5], s[4:5], exec
	s_and_b64 s[8:9], vcc, exec
	v_mov_b32_e32 v10, 0
	s_or_b64 s[4:5], s[4:5], s[8:9]
	s_or_b64 exec, exec, s[6:7]
	s_and_saveexec_b64 s[6:7], s[4:5]
	s_cbranch_execnz .LBB57_1395
	s_branch .LBB57_1396
.LBB57_3445:
	s_movk_i32 s4, 0x80
	v_cmp_eq_u16_e32 vcc, s4, v11
	s_mov_b64 s[4:5], -1
                                        ; implicit-def: $sgpr10
	s_and_saveexec_b64 s[8:9], vcc
; %bb.3446:
	s_mov_b32 s10, 0x7f800001
	s_xor_b64 s[4:5], exec, -1
; %bb.3447:
	s_or_b64 exec, exec, s[8:9]
	s_and_b64 s[4:5], s[4:5], exec
                                        ; implicit-def: $vgpr11
	s_or_saveexec_b64 s[6:7], s[6:7]
	v_mov_b32_e32 v12, s10
	s_xor_b64 exec, exec, s[6:7]
	s_cbranch_execz .LBB57_1398
.LBB57_3448:
	v_cmp_ne_u16_e32 vcc, 0, v11
	s_andn2_b64 s[4:5], s[4:5], exec
	s_and_b64 s[8:9], vcc, exec
	v_mov_b32_e32 v12, 0
	s_or_b64 s[4:5], s[4:5], s[8:9]
	s_or_b64 exec, exec, s[6:7]
	s_and_saveexec_b64 s[6:7], s[4:5]
	s_cbranch_execnz .LBB57_1399
	s_branch .LBB57_1400
.LBB57_3449:
	s_movk_i32 s4, 0x80
	v_cmp_eq_u16_sdwa s[12:13], v17, s4 src0_sel:BYTE_3 src1_sel:DWORD
	s_mov_b64 s[4:5], -1
                                        ; implicit-def: $sgpr10
	s_and_saveexec_b64 s[8:9], s[12:13]
; %bb.3450:
	s_mov_b32 s10, 0x7f800001
	s_xor_b64 s[4:5], exec, -1
; %bb.3451:
	s_or_b64 exec, exec, s[8:9]
	s_and_b64 s[4:5], s[4:5], exec
	s_or_saveexec_b64 s[6:7], s[6:7]
	v_mov_b32_e32 v10, s10
	s_xor_b64 exec, exec, s[6:7]
	s_cbranch_execz .LBB57_1402
.LBB57_3452:
	v_mov_b32_e32 v10, 0
	v_cmp_ne_u16_sdwa s[8:9], v17, v10 src0_sel:BYTE_3 src1_sel:DWORD
	s_andn2_b64 s[4:5], s[4:5], exec
	s_and_b64 s[8:9], s[8:9], exec
	s_or_b64 s[4:5], s[4:5], s[8:9]
	s_or_b64 exec, exec, s[6:7]
	s_and_saveexec_b64 s[6:7], s[4:5]
	s_cbranch_execnz .LBB57_1403
	s_branch .LBB57_1404
.LBB57_3453:
	s_movk_i32 s4, 0x80
	v_cmp_eq_u16_sdwa s[12:13], v13, s4 src0_sel:BYTE_3 src1_sel:DWORD
	s_mov_b64 s[4:5], -1
                                        ; implicit-def: $sgpr10
	s_and_saveexec_b64 s[8:9], s[12:13]
; %bb.3454:
	s_mov_b32 s10, 0x7f800001
	s_xor_b64 s[4:5], exec, -1
; %bb.3455:
	s_or_b64 exec, exec, s[8:9]
	s_and_b64 s[4:5], s[4:5], exec
	s_or_saveexec_b64 s[6:7], s[6:7]
	v_mov_b32_e32 v11, s10
	s_xor_b64 exec, exec, s[6:7]
	s_cbranch_execz .LBB57_1406
.LBB57_3456:
	v_mov_b32_e32 v11, 0
	v_cmp_ne_u16_sdwa s[8:9], v13, v11 src0_sel:BYTE_3 src1_sel:DWORD
	s_andn2_b64 s[4:5], s[4:5], exec
	s_and_b64 s[8:9], s[8:9], exec
	s_or_b64 s[4:5], s[4:5], s[8:9]
	s_or_b64 exec, exec, s[6:7]
	s_and_saveexec_b64 s[6:7], s[4:5]
	s_cbranch_execnz .LBB57_1407
	s_branch .LBB57_1408
.LBB57_3457:
	s_movk_i32 s4, 0x80
	v_cmp_eq_u16_sdwa s[12:13], v6, s4 src0_sel:BYTE_0 src1_sel:DWORD
	s_mov_b64 s[4:5], -1
                                        ; implicit-def: $sgpr10
	s_and_saveexec_b64 s[8:9], s[12:13]
; %bb.3458:
	s_mov_b32 s10, 0x7f800001
	s_xor_b64 s[4:5], exec, -1
; %bb.3459:
	s_or_b64 exec, exec, s[8:9]
	s_and_b64 s[4:5], s[4:5], exec
	s_or_saveexec_b64 s[6:7], s[6:7]
	v_mov_b32_e32 v10, s10
	s_xor_b64 exec, exec, s[6:7]
	s_cbranch_execz .LBB57_1410
.LBB57_3460:
	v_mov_b32_e32 v10, 0
	v_cmp_ne_u16_sdwa s[8:9], v6, v10 src0_sel:BYTE_0 src1_sel:DWORD
	s_andn2_b64 s[4:5], s[4:5], exec
	s_and_b64 s[8:9], s[8:9], exec
	s_or_b64 s[4:5], s[4:5], s[8:9]
	s_or_b64 exec, exec, s[6:7]
	s_and_saveexec_b64 s[6:7], s[4:5]
	s_cbranch_execnz .LBB57_1411
	s_branch .LBB57_1412
.LBB57_3461:
	s_movk_i32 s4, 0x80
	v_cmp_eq_u16_sdwa s[12:13], v2, s4 src0_sel:BYTE_0 src1_sel:DWORD
	s_mov_b64 s[4:5], -1
                                        ; implicit-def: $sgpr10
	s_and_saveexec_b64 s[8:9], s[12:13]
; %bb.3462:
	s_mov_b32 s10, 0x7f800001
	s_xor_b64 s[4:5], exec, -1
; %bb.3463:
	s_or_b64 exec, exec, s[8:9]
	s_and_b64 s[4:5], s[4:5], exec
	s_or_saveexec_b64 s[6:7], s[6:7]
	v_mov_b32_e32 v11, s10
	s_xor_b64 exec, exec, s[6:7]
	s_cbranch_execz .LBB57_1414
.LBB57_3464:
	v_mov_b32_e32 v11, 0
	v_cmp_ne_u16_sdwa s[8:9], v2, v11 src0_sel:BYTE_0 src1_sel:DWORD
	s_andn2_b64 s[4:5], s[4:5], exec
	s_and_b64 s[8:9], s[8:9], exec
	s_or_b64 s[4:5], s[4:5], s[8:9]
	s_or_b64 exec, exec, s[6:7]
	s_and_saveexec_b64 s[6:7], s[4:5]
	s_cbranch_execnz .LBB57_1415
	s_branch .LBB57_1416
.LBB57_3465:
	s_movk_i32 s4, 0x80
	v_cmp_eq_u16_sdwa s[12:13], v11, s4 src0_sel:BYTE_0 src1_sel:DWORD
	s_mov_b64 s[4:5], -1
                                        ; implicit-def: $sgpr10
	s_and_saveexec_b64 s[8:9], s[12:13]
; %bb.3466:
	s_mov_b32 s10, 0x7f800001
	s_xor_b64 s[4:5], exec, -1
; %bb.3467:
	s_or_b64 exec, exec, s[8:9]
	s_and_b64 s[4:5], s[4:5], exec
	s_or_saveexec_b64 s[6:7], s[6:7]
	v_mov_b32_e32 v10, s10
	s_xor_b64 exec, exec, s[6:7]
	s_cbranch_execz .LBB57_1418
.LBB57_3468:
	v_mov_b32_e32 v10, 0
	v_cmp_ne_u16_sdwa s[8:9], v11, v10 src0_sel:BYTE_0 src1_sel:DWORD
	s_andn2_b64 s[4:5], s[4:5], exec
	s_and_b64 s[8:9], s[8:9], exec
	s_or_b64 s[4:5], s[4:5], s[8:9]
	s_or_b64 exec, exec, s[6:7]
	s_and_saveexec_b64 s[6:7], s[4:5]
	s_cbranch_execnz .LBB57_1419
	s_branch .LBB57_1420
.LBB57_3469:
	s_movk_i32 s4, 0x80
	v_cmp_eq_u16_sdwa s[12:13], v11, s4 src0_sel:BYTE_0 src1_sel:DWORD
	s_mov_b64 s[4:5], -1
                                        ; implicit-def: $sgpr10
	s_and_saveexec_b64 s[8:9], s[12:13]
; %bb.3470:
	s_mov_b32 s10, 0x7f800001
	s_xor_b64 s[4:5], exec, -1
; %bb.3471:
	s_or_b64 exec, exec, s[8:9]
	s_and_b64 s[4:5], s[4:5], exec
	s_or_saveexec_b64 s[6:7], s[6:7]
	v_mov_b32_e32 v12, s10
	s_xor_b64 exec, exec, s[6:7]
	s_cbranch_execz .LBB57_1422
.LBB57_3472:
	v_mov_b32_e32 v12, 0
	v_cmp_ne_u16_sdwa s[8:9], v11, v12 src0_sel:BYTE_0 src1_sel:DWORD
	s_andn2_b64 s[4:5], s[4:5], exec
	s_and_b64 s[8:9], s[8:9], exec
	s_or_b64 s[4:5], s[4:5], s[8:9]
	s_or_b64 exec, exec, s[6:7]
	s_and_saveexec_b64 s[6:7], s[4:5]
	s_cbranch_execnz .LBB57_1423
	s_branch .LBB57_1424
.LBB57_3473:
	s_movk_i32 s4, 0x80
	v_cmp_eq_u16_e32 vcc, s4, v11
	s_mov_b64 s[4:5], -1
                                        ; implicit-def: $sgpr10
	s_and_saveexec_b64 s[8:9], vcc
; %bb.3474:
	s_mov_b32 s10, 0x7f800001
	s_xor_b64 s[4:5], exec, -1
; %bb.3475:
	s_or_b64 exec, exec, s[8:9]
	s_and_b64 s[4:5], s[4:5], exec
                                        ; implicit-def: $vgpr11
	s_or_saveexec_b64 s[6:7], s[6:7]
	v_mov_b32_e32 v10, s10
	s_xor_b64 exec, exec, s[6:7]
	s_cbranch_execz .LBB57_1426
.LBB57_3476:
	v_cmp_ne_u16_e32 vcc, 0, v11
	s_andn2_b64 s[4:5], s[4:5], exec
	s_and_b64 s[8:9], vcc, exec
	v_mov_b32_e32 v10, 0
	s_or_b64 s[4:5], s[4:5], s[8:9]
	s_or_b64 exec, exec, s[6:7]
	s_and_saveexec_b64 s[6:7], s[4:5]
	s_cbranch_execnz .LBB57_1427
	s_branch .LBB57_1428
.LBB57_3477:
	s_movk_i32 s4, 0x80
	v_cmp_eq_u16_e32 vcc, s4, v11
	s_mov_b64 s[4:5], -1
                                        ; implicit-def: $sgpr10
	s_and_saveexec_b64 s[8:9], vcc
; %bb.3478:
	s_mov_b32 s10, 0x7f800001
	s_xor_b64 s[4:5], exec, -1
; %bb.3479:
	s_or_b64 exec, exec, s[8:9]
	s_and_b64 s[4:5], s[4:5], exec
                                        ; implicit-def: $vgpr11
	s_or_saveexec_b64 s[6:7], s[6:7]
	v_mov_b32_e32 v12, s10
	s_xor_b64 exec, exec, s[6:7]
	s_cbranch_execz .LBB57_1430
.LBB57_3480:
	v_cmp_ne_u16_e32 vcc, 0, v11
	s_andn2_b64 s[4:5], s[4:5], exec
	s_and_b64 s[8:9], vcc, exec
	v_mov_b32_e32 v12, 0
	s_or_b64 s[4:5], s[4:5], s[8:9]
	s_or_b64 exec, exec, s[6:7]
	s_and_saveexec_b64 s[6:7], s[4:5]
	s_cbranch_execnz .LBB57_1431
	s_branch .LBB57_1432
.LBB57_3481:
	s_movk_i32 s4, 0x80
	v_cmp_eq_u16_sdwa s[12:13], v6, s4 src0_sel:BYTE_3 src1_sel:DWORD
	s_mov_b64 s[4:5], -1
                                        ; implicit-def: $sgpr10
	s_and_saveexec_b64 s[8:9], s[12:13]
; %bb.3482:
	s_mov_b32 s10, 0x7f800001
	s_xor_b64 s[4:5], exec, -1
; %bb.3483:
	s_or_b64 exec, exec, s[8:9]
	s_and_b64 s[4:5], s[4:5], exec
	s_or_saveexec_b64 s[6:7], s[6:7]
	v_mov_b32_e32 v10, s10
	s_xor_b64 exec, exec, s[6:7]
	s_cbranch_execz .LBB57_1434
.LBB57_3484:
	v_mov_b32_e32 v10, 0
	v_cmp_ne_u16_sdwa s[8:9], v6, v10 src0_sel:BYTE_3 src1_sel:DWORD
	s_andn2_b64 s[4:5], s[4:5], exec
	s_and_b64 s[8:9], s[8:9], exec
	s_or_b64 s[4:5], s[4:5], s[8:9]
	s_or_b64 exec, exec, s[6:7]
	s_and_saveexec_b64 s[6:7], s[4:5]
	s_cbranch_execnz .LBB57_1435
	s_branch .LBB57_1436
.LBB57_3485:
	s_movk_i32 s4, 0x80
	v_cmp_eq_u16_sdwa s[12:13], v2, s4 src0_sel:BYTE_3 src1_sel:DWORD
	s_mov_b64 s[4:5], -1
                                        ; implicit-def: $sgpr10
	s_and_saveexec_b64 s[8:9], s[12:13]
; %bb.3486:
	s_mov_b32 s10, 0x7f800001
	s_xor_b64 s[4:5], exec, -1
; %bb.3487:
	s_or_b64 exec, exec, s[8:9]
	s_and_b64 s[4:5], s[4:5], exec
	s_or_saveexec_b64 s[6:7], s[6:7]
	v_mov_b32_e32 v6, s10
	s_xor_b64 exec, exec, s[6:7]
	s_cbranch_execz .LBB57_1438
.LBB57_3488:
	v_mov_b32_e32 v6, 0
	v_cmp_ne_u16_sdwa s[8:9], v2, v6 src0_sel:BYTE_3 src1_sel:DWORD
	s_andn2_b64 s[4:5], s[4:5], exec
	s_and_b64 s[8:9], s[8:9], exec
	s_or_b64 s[4:5], s[4:5], s[8:9]
	s_or_b64 exec, exec, s[6:7]
	s_and_saveexec_b64 s[6:7], s[4:5]
	s_cbranch_execnz .LBB57_1439
	s_branch .LBB57_1440
.LBB57_3489:
	s_movk_i32 s4, 0x80
	v_cmp_eq_u16_sdwa s[12:13], v7, s4 src0_sel:BYTE_0 src1_sel:DWORD
	s_mov_b64 s[4:5], -1
                                        ; implicit-def: $sgpr10
	s_and_saveexec_b64 s[8:9], s[12:13]
; %bb.3490:
	s_mov_b32 s10, 0x7f800001
	s_xor_b64 s[4:5], exec, -1
; %bb.3491:
	s_or_b64 exec, exec, s[8:9]
	s_and_b64 s[4:5], s[4:5], exec
	s_or_saveexec_b64 s[6:7], s[6:7]
	v_mov_b32_e32 v2, s10
	s_xor_b64 exec, exec, s[6:7]
	s_cbranch_execz .LBB57_1442
.LBB57_3492:
	v_mov_b32_e32 v2, 0
	v_cmp_ne_u16_sdwa s[8:9], v7, v2 src0_sel:BYTE_0 src1_sel:DWORD
	s_andn2_b64 s[4:5], s[4:5], exec
	s_and_b64 s[8:9], s[8:9], exec
	s_or_b64 s[4:5], s[4:5], s[8:9]
	s_or_b64 exec, exec, s[6:7]
	s_and_saveexec_b64 s[6:7], s[4:5]
	s_cbranch_execnz .LBB57_1443
	s_branch .LBB57_1444
.LBB57_3493:
	s_movk_i32 s4, 0x80
	v_cmp_eq_u16_sdwa s[12:13], v3, s4 src0_sel:BYTE_0 src1_sel:DWORD
	s_mov_b64 s[4:5], -1
                                        ; implicit-def: $sgpr10
	s_and_saveexec_b64 s[8:9], s[12:13]
; %bb.3494:
	s_mov_b32 s10, 0x7f800001
	s_xor_b64 s[4:5], exec, -1
; %bb.3495:
	s_or_b64 exec, exec, s[8:9]
	s_and_b64 s[4:5], s[4:5], exec
	s_or_saveexec_b64 s[6:7], s[6:7]
	v_mov_b32_e32 v6, s10
	s_xor_b64 exec, exec, s[6:7]
	s_cbranch_execz .LBB57_1446
.LBB57_3496:
	v_mov_b32_e32 v6, 0
	v_cmp_ne_u16_sdwa s[8:9], v3, v6 src0_sel:BYTE_0 src1_sel:DWORD
	s_andn2_b64 s[4:5], s[4:5], exec
	s_and_b64 s[8:9], s[8:9], exec
	s_or_b64 s[4:5], s[4:5], s[8:9]
	s_or_b64 exec, exec, s[6:7]
	s_and_saveexec_b64 s[6:7], s[4:5]
	s_cbranch_execnz .LBB57_1447
	s_branch .LBB57_1448
.LBB57_3497:
	s_movk_i32 s4, 0x80
	v_cmp_eq_u16_sdwa s[12:13], v6, s4 src0_sel:BYTE_0 src1_sel:DWORD
	s_mov_b64 s[4:5], -1
                                        ; implicit-def: $sgpr10
	s_and_saveexec_b64 s[8:9], s[12:13]
; %bb.3498:
	s_mov_b32 s10, 0x7f800001
	s_xor_b64 s[4:5], exec, -1
; %bb.3499:
	s_or_b64 exec, exec, s[8:9]
	s_and_b64 s[4:5], s[4:5], exec
	s_or_saveexec_b64 s[6:7], s[6:7]
	v_mov_b32_e32 v2, s10
	s_xor_b64 exec, exec, s[6:7]
	s_cbranch_execz .LBB57_1450
.LBB57_3500:
	v_mov_b32_e32 v2, 0
	v_cmp_ne_u16_sdwa s[8:9], v6, v2 src0_sel:BYTE_0 src1_sel:DWORD
	s_andn2_b64 s[4:5], s[4:5], exec
	s_and_b64 s[8:9], s[8:9], exec
	s_or_b64 s[4:5], s[4:5], s[8:9]
	s_or_b64 exec, exec, s[6:7]
	s_and_saveexec_b64 s[6:7], s[4:5]
	s_cbranch_execnz .LBB57_1451
	s_branch .LBB57_1452
.LBB57_3501:
	s_movk_i32 s4, 0x80
	v_cmp_eq_u16_sdwa s[12:13], v6, s4 src0_sel:BYTE_0 src1_sel:DWORD
	s_mov_b64 s[4:5], -1
                                        ; implicit-def: $sgpr10
	s_and_saveexec_b64 s[8:9], s[12:13]
; %bb.3502:
	s_mov_b32 s10, 0x7f800001
	s_xor_b64 s[4:5], exec, -1
; %bb.3503:
	s_or_b64 exec, exec, s[8:9]
	s_and_b64 s[4:5], s[4:5], exec
	s_or_saveexec_b64 s[6:7], s[6:7]
	v_mov_b32_e32 v10, s10
	s_xor_b64 exec, exec, s[6:7]
	s_cbranch_execz .LBB57_1454
.LBB57_3504:
	v_mov_b32_e32 v10, 0
	v_cmp_ne_u16_sdwa s[8:9], v6, v10 src0_sel:BYTE_0 src1_sel:DWORD
	s_andn2_b64 s[4:5], s[4:5], exec
	s_and_b64 s[8:9], s[8:9], exec
	s_or_b64 s[4:5], s[4:5], s[8:9]
	s_or_b64 exec, exec, s[6:7]
	s_and_saveexec_b64 s[6:7], s[4:5]
	s_cbranch_execnz .LBB57_1455
	s_branch .LBB57_1456
.LBB57_3505:
	s_movk_i32 s4, 0x80
	v_cmp_eq_u16_e32 vcc, s4, v6
	s_mov_b64 s[4:5], -1
                                        ; implicit-def: $sgpr10
	s_and_saveexec_b64 s[8:9], vcc
; %bb.3506:
	s_mov_b32 s10, 0x7f800001
	s_xor_b64 s[4:5], exec, -1
; %bb.3507:
	s_or_b64 exec, exec, s[8:9]
	s_and_b64 s[4:5], s[4:5], exec
                                        ; implicit-def: $vgpr6
	s_or_saveexec_b64 s[6:7], s[6:7]
	v_mov_b32_e32 v2, s10
	s_xor_b64 exec, exec, s[6:7]
	s_cbranch_execz .LBB57_1458
.LBB57_3508:
	v_cmp_ne_u16_e32 vcc, 0, v6
	s_andn2_b64 s[4:5], s[4:5], exec
	s_and_b64 s[8:9], vcc, exec
	v_mov_b32_e32 v2, 0
	s_or_b64 s[4:5], s[4:5], s[8:9]
	s_or_b64 exec, exec, s[6:7]
	s_and_saveexec_b64 s[6:7], s[4:5]
	s_cbranch_execnz .LBB57_1459
	s_branch .LBB57_1460
.LBB57_3509:
	s_movk_i32 s4, 0x80
	v_cmp_eq_u16_e32 vcc, s4, v6
	s_mov_b64 s[4:5], -1
                                        ; implicit-def: $sgpr10
	s_and_saveexec_b64 s[8:9], vcc
; %bb.3510:
	s_mov_b32 s10, 0x7f800001
	s_xor_b64 s[4:5], exec, -1
; %bb.3511:
	s_or_b64 exec, exec, s[8:9]
	s_and_b64 s[4:5], s[4:5], exec
                                        ; implicit-def: $vgpr6
	s_or_saveexec_b64 s[6:7], s[6:7]
	v_mov_b32_e32 v10, s10
	s_xor_b64 exec, exec, s[6:7]
	s_cbranch_execz .LBB57_1462
.LBB57_3512:
	v_cmp_ne_u16_e32 vcc, 0, v6
	s_andn2_b64 s[4:5], s[4:5], exec
	s_and_b64 s[8:9], vcc, exec
	v_mov_b32_e32 v10, 0
	s_or_b64 s[4:5], s[4:5], s[8:9]
	s_or_b64 exec, exec, s[6:7]
	s_and_saveexec_b64 s[6:7], s[4:5]
	s_cbranch_execnz .LBB57_1463
	s_branch .LBB57_1464
.LBB57_3513:
	s_movk_i32 s4, 0x80
	v_cmp_eq_u16_sdwa s[12:13], v7, s4 src0_sel:BYTE_3 src1_sel:DWORD
	s_mov_b64 s[4:5], -1
                                        ; implicit-def: $sgpr10
	s_and_saveexec_b64 s[8:9], s[12:13]
; %bb.3514:
	s_mov_b32 s10, 0x7f800001
	s_xor_b64 s[4:5], exec, -1
; %bb.3515:
	s_or_b64 exec, exec, s[8:9]
	s_and_b64 s[4:5], s[4:5], exec
	s_or_saveexec_b64 s[6:7], s[6:7]
	v_mov_b32_e32 v2, s10
	s_xor_b64 exec, exec, s[6:7]
	s_cbranch_execz .LBB57_1466
.LBB57_3516:
	v_mov_b32_e32 v2, 0
	v_cmp_ne_u16_sdwa s[8:9], v7, v2 src0_sel:BYTE_3 src1_sel:DWORD
	s_andn2_b64 s[4:5], s[4:5], exec
	s_and_b64 s[8:9], s[8:9], exec
	s_or_b64 s[4:5], s[4:5], s[8:9]
	s_or_b64 exec, exec, s[6:7]
	s_and_saveexec_b64 s[6:7], s[4:5]
	s_cbranch_execnz .LBB57_1467
	s_branch .LBB57_1468
.LBB57_3517:
	s_movk_i32 s4, 0x80
	v_cmp_eq_u16_sdwa s[12:13], v3, s4 src0_sel:BYTE_3 src1_sel:DWORD
	s_mov_b64 s[4:5], -1
                                        ; implicit-def: $sgpr10
	s_and_saveexec_b64 s[8:9], s[12:13]
; %bb.3518:
	s_mov_b32 s10, 0x7f800001
	s_xor_b64 s[4:5], exec, -1
; %bb.3519:
	s_or_b64 exec, exec, s[8:9]
	s_and_b64 s[4:5], s[4:5], exec
	s_or_saveexec_b64 s[6:7], s[6:7]
	v_mov_b32_e32 v6, s10
	s_xor_b64 exec, exec, s[6:7]
	s_cbranch_execz .LBB57_1470
.LBB57_3520:
	v_mov_b32_e32 v6, 0
	v_cmp_ne_u16_sdwa s[8:9], v3, v6 src0_sel:BYTE_3 src1_sel:DWORD
	s_andn2_b64 s[4:5], s[4:5], exec
	s_and_b64 s[8:9], s[8:9], exec
	s_or_b64 s[4:5], s[4:5], s[8:9]
	s_or_b64 exec, exec, s[6:7]
	s_and_saveexec_b64 s[6:7], s[4:5]
	s_cbranch_execnz .LBB57_1471
	s_branch .LBB57_1472
.LBB57_3521:
	s_movk_i32 s4, 0x80
	v_cmp_eq_u16_sdwa s[12:13], v8, s4 src0_sel:BYTE_0 src1_sel:DWORD
	s_mov_b64 s[4:5], -1
                                        ; implicit-def: $sgpr10
	s_and_saveexec_b64 s[8:9], s[12:13]
; %bb.3522:
	s_mov_b32 s10, 0x7f800001
	s_xor_b64 s[4:5], exec, -1
; %bb.3523:
	s_or_b64 exec, exec, s[8:9]
	s_and_b64 s[4:5], s[4:5], exec
	s_or_saveexec_b64 s[6:7], s[6:7]
	v_mov_b32_e32 v2, s10
	s_xor_b64 exec, exec, s[6:7]
	s_cbranch_execz .LBB57_1474
.LBB57_3524:
	v_mov_b32_e32 v2, 0
	v_cmp_ne_u16_sdwa s[8:9], v8, v2 src0_sel:BYTE_0 src1_sel:DWORD
	s_andn2_b64 s[4:5], s[4:5], exec
	s_and_b64 s[8:9], s[8:9], exec
	s_or_b64 s[4:5], s[4:5], s[8:9]
	s_or_b64 exec, exec, s[6:7]
	s_and_saveexec_b64 s[6:7], s[4:5]
	s_cbranch_execnz .LBB57_1475
	s_branch .LBB57_1476
.LBB57_3525:
	s_movk_i32 s4, 0x80
	v_cmp_eq_u16_sdwa s[12:13], v4, s4 src0_sel:BYTE_0 src1_sel:DWORD
	s_mov_b64 s[4:5], -1
                                        ; implicit-def: $sgpr10
	s_and_saveexec_b64 s[8:9], s[12:13]
; %bb.3526:
	s_mov_b32 s10, 0x7f800001
	s_xor_b64 s[4:5], exec, -1
; %bb.3527:
	s_or_b64 exec, exec, s[8:9]
	s_and_b64 s[4:5], s[4:5], exec
	s_or_saveexec_b64 s[6:7], s[6:7]
	v_mov_b32_e32 v3, s10
	s_xor_b64 exec, exec, s[6:7]
	s_cbranch_execz .LBB57_1478
.LBB57_3528:
	v_mov_b32_e32 v3, 0
	v_cmp_ne_u16_sdwa s[8:9], v4, v3 src0_sel:BYTE_0 src1_sel:DWORD
	s_andn2_b64 s[4:5], s[4:5], exec
	s_and_b64 s[8:9], s[8:9], exec
	s_or_b64 s[4:5], s[4:5], s[8:9]
	s_or_b64 exec, exec, s[6:7]
	s_and_saveexec_b64 s[6:7], s[4:5]
	s_cbranch_execnz .LBB57_1479
	s_branch .LBB57_1480
.LBB57_3529:
	s_movk_i32 s4, 0x80
	v_cmp_eq_u16_sdwa s[12:13], v3, s4 src0_sel:BYTE_0 src1_sel:DWORD
	s_mov_b64 s[4:5], -1
                                        ; implicit-def: $sgpr10
	s_and_saveexec_b64 s[8:9], s[12:13]
; %bb.3530:
	s_mov_b32 s10, 0x7f800001
	s_xor_b64 s[4:5], exec, -1
; %bb.3531:
	s_or_b64 exec, exec, s[8:9]
	s_and_b64 s[4:5], s[4:5], exec
	s_or_saveexec_b64 s[6:7], s[6:7]
	v_mov_b32_e32 v2, s10
	s_xor_b64 exec, exec, s[6:7]
	s_cbranch_execz .LBB57_1482
.LBB57_3532:
	v_mov_b32_e32 v2, 0
	v_cmp_ne_u16_sdwa s[8:9], v3, v2 src0_sel:BYTE_0 src1_sel:DWORD
	s_andn2_b64 s[4:5], s[4:5], exec
	s_and_b64 s[8:9], s[8:9], exec
	s_or_b64 s[4:5], s[4:5], s[8:9]
	s_or_b64 exec, exec, s[6:7]
	s_and_saveexec_b64 s[6:7], s[4:5]
	s_cbranch_execnz .LBB57_1483
	s_branch .LBB57_1484
.LBB57_3533:
	s_movk_i32 s4, 0x80
	v_cmp_eq_u16_sdwa s[12:13], v3, s4 src0_sel:BYTE_0 src1_sel:DWORD
	s_mov_b64 s[4:5], -1
                                        ; implicit-def: $sgpr10
	s_and_saveexec_b64 s[8:9], s[12:13]
; %bb.3534:
	s_mov_b32 s10, 0x7f800001
	s_xor_b64 s[4:5], exec, -1
; %bb.3535:
	s_or_b64 exec, exec, s[8:9]
	s_and_b64 s[4:5], s[4:5], exec
	s_or_saveexec_b64 s[6:7], s[6:7]
	v_mov_b32_e32 v6, s10
	s_xor_b64 exec, exec, s[6:7]
	s_cbranch_execz .LBB57_1486
.LBB57_3536:
	v_mov_b32_e32 v6, 0
	v_cmp_ne_u16_sdwa s[8:9], v3, v6 src0_sel:BYTE_0 src1_sel:DWORD
	s_andn2_b64 s[4:5], s[4:5], exec
	s_and_b64 s[8:9], s[8:9], exec
	s_or_b64 s[4:5], s[4:5], s[8:9]
	s_or_b64 exec, exec, s[6:7]
	s_and_saveexec_b64 s[6:7], s[4:5]
	s_cbranch_execnz .LBB57_1487
	s_branch .LBB57_1488
.LBB57_3537:
	s_movk_i32 s4, 0x80
	v_cmp_eq_u16_e32 vcc, s4, v3
	s_mov_b64 s[4:5], -1
                                        ; implicit-def: $sgpr10
	s_and_saveexec_b64 s[8:9], vcc
; %bb.3538:
	s_mov_b32 s10, 0x7f800001
	s_xor_b64 s[4:5], exec, -1
; %bb.3539:
	s_or_b64 exec, exec, s[8:9]
	s_and_b64 s[4:5], s[4:5], exec
                                        ; implicit-def: $vgpr3
	s_or_saveexec_b64 s[6:7], s[6:7]
	v_mov_b32_e32 v2, s10
	s_xor_b64 exec, exec, s[6:7]
	s_cbranch_execz .LBB57_1490
.LBB57_3540:
	v_cmp_ne_u16_e32 vcc, 0, v3
	s_andn2_b64 s[4:5], s[4:5], exec
	s_and_b64 s[8:9], vcc, exec
	v_mov_b32_e32 v2, 0
	s_or_b64 s[4:5], s[4:5], s[8:9]
	s_or_b64 exec, exec, s[6:7]
	s_and_saveexec_b64 s[6:7], s[4:5]
	s_cbranch_execnz .LBB57_1491
	s_branch .LBB57_1492
.LBB57_3541:
	s_movk_i32 s4, 0x80
	v_cmp_eq_u16_e32 vcc, s4, v3
	s_mov_b64 s[4:5], -1
                                        ; implicit-def: $sgpr10
	s_and_saveexec_b64 s[8:9], vcc
; %bb.3542:
	s_mov_b32 s10, 0x7f800001
	s_xor_b64 s[4:5], exec, -1
; %bb.3543:
	s_or_b64 exec, exec, s[8:9]
	s_and_b64 s[4:5], s[4:5], exec
                                        ; implicit-def: $vgpr3
	s_or_saveexec_b64 s[6:7], s[6:7]
	v_mov_b32_e32 v6, s10
	s_xor_b64 exec, exec, s[6:7]
	s_cbranch_execz .LBB57_1494
.LBB57_3544:
	v_cmp_ne_u16_e32 vcc, 0, v3
	s_andn2_b64 s[4:5], s[4:5], exec
	s_and_b64 s[8:9], vcc, exec
	v_mov_b32_e32 v6, 0
	s_or_b64 s[4:5], s[4:5], s[8:9]
	s_or_b64 exec, exec, s[6:7]
	s_and_saveexec_b64 s[6:7], s[4:5]
	s_cbranch_execnz .LBB57_1495
	s_branch .LBB57_1496
.LBB57_3545:
	s_movk_i32 s4, 0x80
	v_cmp_eq_u16_sdwa s[12:13], v8, s4 src0_sel:BYTE_3 src1_sel:DWORD
	s_mov_b64 s[4:5], -1
                                        ; implicit-def: $sgpr10
	s_and_saveexec_b64 s[8:9], s[12:13]
; %bb.3546:
	s_mov_b32 s10, 0x7f800001
	s_xor_b64 s[4:5], exec, -1
; %bb.3547:
	s_or_b64 exec, exec, s[8:9]
	s_and_b64 s[4:5], s[4:5], exec
	s_or_saveexec_b64 s[6:7], s[6:7]
	v_mov_b32_e32 v2, s10
	s_xor_b64 exec, exec, s[6:7]
	s_cbranch_execz .LBB57_1498
.LBB57_3548:
	v_mov_b32_e32 v2, 0
	v_cmp_ne_u16_sdwa s[8:9], v8, v2 src0_sel:BYTE_3 src1_sel:DWORD
	s_andn2_b64 s[4:5], s[4:5], exec
	s_and_b64 s[8:9], s[8:9], exec
	s_or_b64 s[4:5], s[4:5], s[8:9]
	s_or_b64 exec, exec, s[6:7]
	s_and_saveexec_b64 s[6:7], s[4:5]
	s_cbranch_execnz .LBB57_1499
	s_branch .LBB57_1500
.LBB57_3549:
	s_movk_i32 s4, 0x80
	v_cmp_eq_u16_sdwa s[12:13], v4, s4 src0_sel:BYTE_3 src1_sel:DWORD
	s_mov_b64 s[4:5], -1
                                        ; implicit-def: $sgpr10
	s_and_saveexec_b64 s[8:9], s[12:13]
; %bb.3550:
	s_mov_b32 s10, 0x7f800001
	s_xor_b64 s[4:5], exec, -1
; %bb.3551:
	s_or_b64 exec, exec, s[8:9]
	s_and_b64 s[4:5], s[4:5], exec
	s_or_saveexec_b64 s[6:7], s[6:7]
	v_mov_b32_e32 v3, s10
	s_xor_b64 exec, exec, s[6:7]
	s_cbranch_execz .LBB57_1502
.LBB57_3552:
	v_mov_b32_e32 v3, 0
	v_cmp_ne_u16_sdwa s[8:9], v4, v3 src0_sel:BYTE_3 src1_sel:DWORD
	s_andn2_b64 s[4:5], s[4:5], exec
	s_and_b64 s[8:9], s[8:9], exec
	s_or_b64 s[4:5], s[4:5], s[8:9]
	s_or_b64 exec, exec, s[6:7]
	s_and_saveexec_b64 s[6:7], s[4:5]
	s_cbranch_execnz .LBB57_1503
	s_branch .LBB57_1504
.LBB57_3553:
	s_movk_i32 s4, 0x80
	v_cmp_eq_u16_sdwa s[12:13], v9, s4 src0_sel:BYTE_0 src1_sel:DWORD
	s_mov_b64 s[4:5], -1
                                        ; implicit-def: $sgpr10
	s_and_saveexec_b64 s[8:9], s[12:13]
; %bb.3554:
	s_mov_b32 s10, 0x7f800001
	s_xor_b64 s[4:5], exec, -1
; %bb.3555:
	s_or_b64 exec, exec, s[8:9]
	s_and_b64 s[4:5], s[4:5], exec
	s_or_saveexec_b64 s[6:7], s[6:7]
	v_mov_b32_e32 v2, s10
	s_xor_b64 exec, exec, s[6:7]
	s_cbranch_execz .LBB57_1506
.LBB57_3556:
	v_mov_b32_e32 v2, 0
	v_cmp_ne_u16_sdwa s[8:9], v9, v2 src0_sel:BYTE_0 src1_sel:DWORD
	s_andn2_b64 s[4:5], s[4:5], exec
	s_and_b64 s[8:9], s[8:9], exec
	s_or_b64 s[4:5], s[4:5], s[8:9]
	s_or_b64 exec, exec, s[6:7]
	s_and_saveexec_b64 s[6:7], s[4:5]
	s_cbranch_execnz .LBB57_1507
	s_branch .LBB57_1508
.LBB57_3557:
	s_movk_i32 s4, 0x80
	v_cmp_eq_u16_sdwa s[12:13], v5, s4 src0_sel:BYTE_0 src1_sel:DWORD
	s_mov_b64 s[4:5], -1
                                        ; implicit-def: $sgpr10
	s_and_saveexec_b64 s[8:9], s[12:13]
; %bb.3558:
	s_mov_b32 s10, 0x7f800001
	s_xor_b64 s[4:5], exec, -1
; %bb.3559:
	s_or_b64 exec, exec, s[8:9]
	s_and_b64 s[4:5], s[4:5], exec
	s_or_saveexec_b64 s[6:7], s[6:7]
	v_mov_b32_e32 v3, s10
	s_xor_b64 exec, exec, s[6:7]
	s_cbranch_execz .LBB57_1510
.LBB57_3560:
	v_mov_b32_e32 v3, 0
	v_cmp_ne_u16_sdwa s[8:9], v5, v3 src0_sel:BYTE_0 src1_sel:DWORD
	s_andn2_b64 s[4:5], s[4:5], exec
	s_and_b64 s[8:9], s[8:9], exec
	s_or_b64 s[4:5], s[4:5], s[8:9]
	s_or_b64 exec, exec, s[6:7]
	s_and_saveexec_b64 s[6:7], s[4:5]
	s_cbranch_execnz .LBB57_1511
	s_branch .LBB57_1512
.LBB57_3561:
	s_movk_i32 s4, 0x80
	v_cmp_eq_u16_sdwa s[12:13], v3, s4 src0_sel:BYTE_0 src1_sel:DWORD
	s_mov_b64 s[4:5], -1
                                        ; implicit-def: $sgpr10
	s_and_saveexec_b64 s[8:9], s[12:13]
; %bb.3562:
	s_mov_b32 s10, 0x7f800001
	s_xor_b64 s[4:5], exec, -1
; %bb.3563:
	s_or_b64 exec, exec, s[8:9]
	s_and_b64 s[4:5], s[4:5], exec
	s_or_saveexec_b64 s[6:7], s[6:7]
	v_mov_b32_e32 v2, s10
	s_xor_b64 exec, exec, s[6:7]
	s_cbranch_execz .LBB57_1514
.LBB57_3564:
	v_mov_b32_e32 v2, 0
	v_cmp_ne_u16_sdwa s[8:9], v3, v2 src0_sel:BYTE_0 src1_sel:DWORD
	s_andn2_b64 s[4:5], s[4:5], exec
	s_and_b64 s[8:9], s[8:9], exec
	s_or_b64 s[4:5], s[4:5], s[8:9]
	s_or_b64 exec, exec, s[6:7]
	s_and_saveexec_b64 s[6:7], s[4:5]
	s_cbranch_execnz .LBB57_1515
	s_branch .LBB57_1516
.LBB57_3565:
	s_movk_i32 s4, 0x80
	v_cmp_eq_u16_sdwa s[12:13], v3, s4 src0_sel:BYTE_0 src1_sel:DWORD
	s_mov_b64 s[4:5], -1
                                        ; implicit-def: $sgpr10
	s_and_saveexec_b64 s[8:9], s[12:13]
; %bb.3566:
	s_mov_b32 s10, 0x7f800001
	s_xor_b64 s[4:5], exec, -1
; %bb.3567:
	s_or_b64 exec, exec, s[8:9]
	s_and_b64 s[4:5], s[4:5], exec
	s_or_saveexec_b64 s[6:7], s[6:7]
	v_mov_b32_e32 v4, s10
	s_xor_b64 exec, exec, s[6:7]
	s_cbranch_execz .LBB57_1518
.LBB57_3568:
	v_mov_b32_e32 v4, 0
	v_cmp_ne_u16_sdwa s[8:9], v3, v4 src0_sel:BYTE_0 src1_sel:DWORD
	s_andn2_b64 s[4:5], s[4:5], exec
	s_and_b64 s[8:9], s[8:9], exec
	s_or_b64 s[4:5], s[4:5], s[8:9]
	s_or_b64 exec, exec, s[6:7]
	s_and_saveexec_b64 s[6:7], s[4:5]
	s_cbranch_execnz .LBB57_1519
	s_branch .LBB57_1520
.LBB57_3569:
	s_movk_i32 s4, 0x80
	v_cmp_eq_u16_e32 vcc, s4, v3
	s_mov_b64 s[4:5], -1
                                        ; implicit-def: $sgpr10
	s_and_saveexec_b64 s[8:9], vcc
; %bb.3570:
	s_mov_b32 s10, 0x7f800001
	s_xor_b64 s[4:5], exec, -1
; %bb.3571:
	s_or_b64 exec, exec, s[8:9]
	s_and_b64 s[4:5], s[4:5], exec
                                        ; implicit-def: $vgpr3
	s_or_saveexec_b64 s[6:7], s[6:7]
	v_mov_b32_e32 v2, s10
	s_xor_b64 exec, exec, s[6:7]
	s_cbranch_execz .LBB57_1522
.LBB57_3572:
	v_cmp_ne_u16_e32 vcc, 0, v3
	s_andn2_b64 s[4:5], s[4:5], exec
	s_and_b64 s[8:9], vcc, exec
	v_mov_b32_e32 v2, 0
	s_or_b64 s[4:5], s[4:5], s[8:9]
	s_or_b64 exec, exec, s[6:7]
	s_and_saveexec_b64 s[6:7], s[4:5]
	s_cbranch_execnz .LBB57_1523
	s_branch .LBB57_1524
.LBB57_3573:
	s_movk_i32 s4, 0x80
	v_cmp_eq_u16_e32 vcc, s4, v3
	s_mov_b64 s[4:5], -1
                                        ; implicit-def: $sgpr10
	s_and_saveexec_b64 s[8:9], vcc
; %bb.3574:
	s_mov_b32 s10, 0x7f800001
	s_xor_b64 s[4:5], exec, -1
; %bb.3575:
	s_or_b64 exec, exec, s[8:9]
	s_and_b64 s[4:5], s[4:5], exec
                                        ; implicit-def: $vgpr3
	s_or_saveexec_b64 s[6:7], s[6:7]
	v_mov_b32_e32 v4, s10
	s_xor_b64 exec, exec, s[6:7]
	s_cbranch_execz .LBB57_1526
.LBB57_3576:
	v_cmp_ne_u16_e32 vcc, 0, v3
	s_andn2_b64 s[4:5], s[4:5], exec
	s_and_b64 s[8:9], vcc, exec
	v_mov_b32_e32 v4, 0
	s_or_b64 s[4:5], s[4:5], s[8:9]
	s_or_b64 exec, exec, s[6:7]
	s_and_saveexec_b64 s[6:7], s[4:5]
	s_cbranch_execnz .LBB57_1527
	s_branch .LBB57_1528
.LBB57_3577:
	s_movk_i32 s4, 0x80
	v_cmp_eq_u16_sdwa s[12:13], v9, s4 src0_sel:BYTE_3 src1_sel:DWORD
	s_mov_b64 s[4:5], -1
                                        ; implicit-def: $sgpr10
	s_and_saveexec_b64 s[8:9], s[12:13]
; %bb.3578:
	s_mov_b32 s10, 0x7f800001
	s_xor_b64 s[4:5], exec, -1
; %bb.3579:
	s_or_b64 exec, exec, s[8:9]
	s_and_b64 s[4:5], s[4:5], exec
	s_or_saveexec_b64 s[6:7], s[6:7]
	v_mov_b32_e32 v2, s10
	s_xor_b64 exec, exec, s[6:7]
	s_cbranch_execz .LBB57_1530
.LBB57_3580:
	v_mov_b32_e32 v2, 0
	v_cmp_ne_u16_sdwa s[8:9], v9, v2 src0_sel:BYTE_3 src1_sel:DWORD
	s_andn2_b64 s[4:5], s[4:5], exec
	s_and_b64 s[8:9], s[8:9], exec
	s_or_b64 s[4:5], s[4:5], s[8:9]
	s_or_b64 exec, exec, s[6:7]
	s_and_saveexec_b64 s[6:7], s[4:5]
	s_cbranch_execnz .LBB57_1531
	s_branch .LBB57_1532
.LBB57_3581:
	s_movk_i32 s4, 0x80
	v_cmp_eq_u16_sdwa s[12:13], v5, s4 src0_sel:BYTE_3 src1_sel:DWORD
	s_mov_b64 s[4:5], -1
                                        ; implicit-def: $sgpr10
	s_and_saveexec_b64 s[8:9], s[12:13]
; %bb.3582:
	s_mov_b32 s10, 0x7f800001
	s_xor_b64 s[4:5], exec, -1
; %bb.3583:
	s_or_b64 exec, exec, s[8:9]
	s_and_b64 s[4:5], s[4:5], exec
	s_or_saveexec_b64 s[6:7], s[6:7]
	v_mov_b32_e32 v3, s10
	s_xor_b64 exec, exec, s[6:7]
	s_cbranch_execz .LBB57_1534
.LBB57_3584:
	v_mov_b32_e32 v3, 0
	v_cmp_ne_u16_sdwa s[8:9], v5, v3 src0_sel:BYTE_3 src1_sel:DWORD
	s_andn2_b64 s[4:5], s[4:5], exec
	s_and_b64 s[8:9], s[8:9], exec
	s_or_b64 s[4:5], s[4:5], s[8:9]
	s_or_b64 exec, exec, s[6:7]
	s_and_saveexec_b64 s[6:7], s[4:5]
	s_cbranch_execnz .LBB57_1535
	s_branch .LBB57_1536
.LBB57_3585:
	s_movk_i32 s4, 0x80
	v_cmp_eq_u16_sdwa s[12:13], v14, s4 src0_sel:BYTE_0 src1_sel:DWORD
	s_mov_b64 s[4:5], -1
                                        ; implicit-def: $sgpr10
	s_and_saveexec_b64 s[8:9], s[12:13]
; %bb.3586:
	s_mov_b32 s10, 0x7f800001
	s_xor_b64 s[4:5], exec, -1
; %bb.3587:
	s_or_b64 exec, exec, s[8:9]
	s_and_b64 s[4:5], s[4:5], exec
	s_or_saveexec_b64 s[6:7], s[6:7]
	v_mov_b32_e32 v20, s10
	s_xor_b64 exec, exec, s[6:7]
	s_cbranch_execz .LBB57_1538
.LBB57_3588:
	v_mov_b32_e32 v20, 0
	v_cmp_ne_u16_sdwa s[8:9], v14, v20 src0_sel:BYTE_0 src1_sel:DWORD
	s_andn2_b64 s[4:5], s[4:5], exec
	s_and_b64 s[8:9], s[8:9], exec
	s_or_b64 s[4:5], s[4:5], s[8:9]
	s_or_b64 exec, exec, s[6:7]
	s_and_saveexec_b64 s[6:7], s[4:5]
	s_cbranch_execnz .LBB57_1539
	s_branch .LBB57_1540
.LBB57_3589:
	s_movk_i32 s4, 0x80
	v_cmp_eq_u16_sdwa s[12:13], v10, s4 src0_sel:BYTE_0 src1_sel:DWORD
	s_mov_b64 s[4:5], -1
                                        ; implicit-def: $sgpr10
	s_and_saveexec_b64 s[8:9], s[12:13]
; %bb.3590:
	s_mov_b32 s10, 0x7f800001
	s_xor_b64 s[4:5], exec, -1
; %bb.3591:
	s_or_b64 exec, exec, s[8:9]
	s_and_b64 s[4:5], s[4:5], exec
	s_or_saveexec_b64 s[6:7], s[6:7]
	v_mov_b32_e32 v21, s10
	s_xor_b64 exec, exec, s[6:7]
	s_cbranch_execz .LBB57_1542
.LBB57_3592:
	v_mov_b32_e32 v21, 0
	v_cmp_ne_u16_sdwa s[8:9], v10, v21 src0_sel:BYTE_0 src1_sel:DWORD
	s_andn2_b64 s[4:5], s[4:5], exec
	s_and_b64 s[8:9], s[8:9], exec
	s_or_b64 s[4:5], s[4:5], s[8:9]
	s_or_b64 exec, exec, s[6:7]
	s_and_saveexec_b64 s[6:7], s[4:5]
	s_cbranch_execnz .LBB57_1543
	s_branch .LBB57_1544
.LBB57_3593:
	s_movk_i32 s4, 0x80
	v_cmp_eq_u16_sdwa s[12:13], v21, s4 src0_sel:BYTE_0 src1_sel:DWORD
	s_mov_b64 s[4:5], -1
                                        ; implicit-def: $sgpr10
	s_and_saveexec_b64 s[8:9], s[12:13]
; %bb.3594:
	s_mov_b32 s10, 0x7f800001
	s_xor_b64 s[4:5], exec, -1
; %bb.3595:
	s_or_b64 exec, exec, s[8:9]
	s_and_b64 s[4:5], s[4:5], exec
	s_or_saveexec_b64 s[6:7], s[6:7]
	v_mov_b32_e32 v20, s10
	s_xor_b64 exec, exec, s[6:7]
	s_cbranch_execz .LBB57_1546
.LBB57_3596:
	v_mov_b32_e32 v20, 0
	v_cmp_ne_u16_sdwa s[8:9], v21, v20 src0_sel:BYTE_0 src1_sel:DWORD
	s_andn2_b64 s[4:5], s[4:5], exec
	s_and_b64 s[8:9], s[8:9], exec
	s_or_b64 s[4:5], s[4:5], s[8:9]
	s_or_b64 exec, exec, s[6:7]
	s_and_saveexec_b64 s[6:7], s[4:5]
	s_cbranch_execnz .LBB57_1547
	s_branch .LBB57_1548
.LBB57_3597:
	s_movk_i32 s4, 0x80
	v_cmp_eq_u16_sdwa s[12:13], v21, s4 src0_sel:BYTE_0 src1_sel:DWORD
	s_mov_b64 s[4:5], -1
                                        ; implicit-def: $sgpr10
	s_and_saveexec_b64 s[8:9], s[12:13]
; %bb.3598:
	s_mov_b32 s10, 0x7f800001
	s_xor_b64 s[4:5], exec, -1
; %bb.3599:
	s_or_b64 exec, exec, s[8:9]
	s_and_b64 s[4:5], s[4:5], exec
	s_or_saveexec_b64 s[6:7], s[6:7]
	v_mov_b32_e32 v22, s10
	s_xor_b64 exec, exec, s[6:7]
	s_cbranch_execz .LBB57_1550
.LBB57_3600:
	v_mov_b32_e32 v22, 0
	v_cmp_ne_u16_sdwa s[8:9], v21, v22 src0_sel:BYTE_0 src1_sel:DWORD
	s_andn2_b64 s[4:5], s[4:5], exec
	s_and_b64 s[8:9], s[8:9], exec
	s_or_b64 s[4:5], s[4:5], s[8:9]
	s_or_b64 exec, exec, s[6:7]
	s_and_saveexec_b64 s[6:7], s[4:5]
	s_cbranch_execnz .LBB57_1551
	s_branch .LBB57_1552
.LBB57_3601:
	s_movk_i32 s4, 0x80
	v_cmp_eq_u16_e32 vcc, s4, v21
	s_mov_b64 s[4:5], -1
                                        ; implicit-def: $sgpr10
	s_and_saveexec_b64 s[8:9], vcc
; %bb.3602:
	s_mov_b32 s10, 0x7f800001
	s_xor_b64 s[4:5], exec, -1
; %bb.3603:
	s_or_b64 exec, exec, s[8:9]
	s_and_b64 s[4:5], s[4:5], exec
                                        ; implicit-def: $vgpr21
	s_or_saveexec_b64 s[6:7], s[6:7]
	v_mov_b32_e32 v20, s10
	s_xor_b64 exec, exec, s[6:7]
	s_cbranch_execz .LBB57_1554
.LBB57_3604:
	v_cmp_ne_u16_e32 vcc, 0, v21
	s_andn2_b64 s[4:5], s[4:5], exec
	s_and_b64 s[8:9], vcc, exec
	v_mov_b32_e32 v20, 0
	s_or_b64 s[4:5], s[4:5], s[8:9]
	s_or_b64 exec, exec, s[6:7]
	s_and_saveexec_b64 s[6:7], s[4:5]
	s_cbranch_execnz .LBB57_1555
	s_branch .LBB57_1556
.LBB57_3605:
	s_movk_i32 s4, 0x80
	v_cmp_eq_u16_e32 vcc, s4, v21
	s_mov_b64 s[4:5], -1
                                        ; implicit-def: $sgpr10
	s_and_saveexec_b64 s[8:9], vcc
; %bb.3606:
	s_mov_b32 s10, 0x7f800001
	s_xor_b64 s[4:5], exec, -1
; %bb.3607:
	s_or_b64 exec, exec, s[8:9]
	s_and_b64 s[4:5], s[4:5], exec
                                        ; implicit-def: $vgpr21
	s_or_saveexec_b64 s[6:7], s[6:7]
	v_mov_b32_e32 v22, s10
	s_xor_b64 exec, exec, s[6:7]
	s_cbranch_execz .LBB57_1558
.LBB57_3608:
	v_cmp_ne_u16_e32 vcc, 0, v21
	s_andn2_b64 s[4:5], s[4:5], exec
	s_and_b64 s[8:9], vcc, exec
	v_mov_b32_e32 v22, 0
	s_or_b64 s[4:5], s[4:5], s[8:9]
	s_or_b64 exec, exec, s[6:7]
	s_and_saveexec_b64 s[6:7], s[4:5]
	s_cbranch_execnz .LBB57_1559
	s_branch .LBB57_1560
.LBB57_3609:
	s_movk_i32 s4, 0x80
	v_cmp_eq_u16_sdwa s[12:13], v14, s4 src0_sel:BYTE_3 src1_sel:DWORD
	s_mov_b64 s[4:5], -1
                                        ; implicit-def: $sgpr10
	s_and_saveexec_b64 s[8:9], s[12:13]
; %bb.3610:
	s_mov_b32 s10, 0x7f800001
	s_xor_b64 s[4:5], exec, -1
; %bb.3611:
	s_or_b64 exec, exec, s[8:9]
	s_and_b64 s[4:5], s[4:5], exec
	s_or_saveexec_b64 s[6:7], s[6:7]
	v_mov_b32_e32 v20, s10
	s_xor_b64 exec, exec, s[6:7]
	s_cbranch_execz .LBB57_1562
.LBB57_3612:
	v_mov_b32_e32 v20, 0
	v_cmp_ne_u16_sdwa s[8:9], v14, v20 src0_sel:BYTE_3 src1_sel:DWORD
	s_andn2_b64 s[4:5], s[4:5], exec
	s_and_b64 s[8:9], s[8:9], exec
	s_or_b64 s[4:5], s[4:5], s[8:9]
	s_or_b64 exec, exec, s[6:7]
	s_and_saveexec_b64 s[6:7], s[4:5]
	s_cbranch_execnz .LBB57_1563
	s_branch .LBB57_1564
.LBB57_3613:
	s_movk_i32 s4, 0x80
	v_cmp_eq_u16_sdwa s[12:13], v10, s4 src0_sel:BYTE_3 src1_sel:DWORD
	s_mov_b64 s[4:5], -1
                                        ; implicit-def: $sgpr10
	s_and_saveexec_b64 s[8:9], s[12:13]
; %bb.3614:
	s_mov_b32 s10, 0x7f800001
	s_xor_b64 s[4:5], exec, -1
; %bb.3615:
	s_or_b64 exec, exec, s[8:9]
	s_and_b64 s[4:5], s[4:5], exec
	s_or_saveexec_b64 s[6:7], s[6:7]
	v_mov_b32_e32 v14, s10
	s_xor_b64 exec, exec, s[6:7]
	s_cbranch_execz .LBB57_1566
.LBB57_3616:
	v_mov_b32_e32 v14, 0
	v_cmp_ne_u16_sdwa s[8:9], v10, v14 src0_sel:BYTE_3 src1_sel:DWORD
	s_andn2_b64 s[4:5], s[4:5], exec
	s_and_b64 s[8:9], s[8:9], exec
	s_or_b64 s[4:5], s[4:5], s[8:9]
	s_or_b64 exec, exec, s[6:7]
	s_and_saveexec_b64 s[6:7], s[4:5]
	s_cbranch_execnz .LBB57_1567
	s_branch .LBB57_1568
.LBB57_3617:
	s_movk_i32 s4, 0x80
	v_cmp_eq_u16_sdwa s[12:13], v15, s4 src0_sel:BYTE_0 src1_sel:DWORD
	s_mov_b64 s[4:5], -1
                                        ; implicit-def: $sgpr10
	s_and_saveexec_b64 s[8:9], s[12:13]
; %bb.3618:
	s_mov_b32 s10, 0x7f800001
	s_xor_b64 s[4:5], exec, -1
; %bb.3619:
	s_or_b64 exec, exec, s[8:9]
	s_and_b64 s[4:5], s[4:5], exec
	s_or_saveexec_b64 s[6:7], s[6:7]
	v_mov_b32_e32 v10, s10
	s_xor_b64 exec, exec, s[6:7]
	s_cbranch_execz .LBB57_1570
.LBB57_3620:
	v_mov_b32_e32 v10, 0
	v_cmp_ne_u16_sdwa s[8:9], v15, v10 src0_sel:BYTE_0 src1_sel:DWORD
	s_andn2_b64 s[4:5], s[4:5], exec
	s_and_b64 s[8:9], s[8:9], exec
	s_or_b64 s[4:5], s[4:5], s[8:9]
	s_or_b64 exec, exec, s[6:7]
	s_and_saveexec_b64 s[6:7], s[4:5]
	s_cbranch_execnz .LBB57_1571
	s_branch .LBB57_1572
.LBB57_3621:
	s_movk_i32 s4, 0x80
	v_cmp_eq_u16_sdwa s[12:13], v11, s4 src0_sel:BYTE_0 src1_sel:DWORD
	s_mov_b64 s[4:5], -1
                                        ; implicit-def: $sgpr10
	s_and_saveexec_b64 s[8:9], s[12:13]
; %bb.3622:
	s_mov_b32 s10, 0x7f800001
	s_xor_b64 s[4:5], exec, -1
; %bb.3623:
	s_or_b64 exec, exec, s[8:9]
	s_and_b64 s[4:5], s[4:5], exec
	s_or_saveexec_b64 s[6:7], s[6:7]
	v_mov_b32_e32 v14, s10
	s_xor_b64 exec, exec, s[6:7]
	s_cbranch_execz .LBB57_1574
.LBB57_3624:
	v_mov_b32_e32 v14, 0
	v_cmp_ne_u16_sdwa s[8:9], v11, v14 src0_sel:BYTE_0 src1_sel:DWORD
	s_andn2_b64 s[4:5], s[4:5], exec
	s_and_b64 s[8:9], s[8:9], exec
	s_or_b64 s[4:5], s[4:5], s[8:9]
	s_or_b64 exec, exec, s[6:7]
	s_and_saveexec_b64 s[6:7], s[4:5]
	s_cbranch_execnz .LBB57_1575
	s_branch .LBB57_1576
.LBB57_3625:
	s_movk_i32 s4, 0x80
	v_cmp_eq_u16_sdwa s[12:13], v14, s4 src0_sel:BYTE_0 src1_sel:DWORD
	s_mov_b64 s[4:5], -1
                                        ; implicit-def: $sgpr10
	s_and_saveexec_b64 s[8:9], s[12:13]
; %bb.3626:
	s_mov_b32 s10, 0x7f800001
	s_xor_b64 s[4:5], exec, -1
; %bb.3627:
	s_or_b64 exec, exec, s[8:9]
	s_and_b64 s[4:5], s[4:5], exec
	s_or_saveexec_b64 s[6:7], s[6:7]
	v_mov_b32_e32 v10, s10
	s_xor_b64 exec, exec, s[6:7]
	s_cbranch_execz .LBB57_1578
.LBB57_3628:
	v_mov_b32_e32 v10, 0
	v_cmp_ne_u16_sdwa s[8:9], v14, v10 src0_sel:BYTE_0 src1_sel:DWORD
	s_andn2_b64 s[4:5], s[4:5], exec
	s_and_b64 s[8:9], s[8:9], exec
	s_or_b64 s[4:5], s[4:5], s[8:9]
	s_or_b64 exec, exec, s[6:7]
	s_and_saveexec_b64 s[6:7], s[4:5]
	s_cbranch_execnz .LBB57_1579
	s_branch .LBB57_1580
.LBB57_3629:
	s_movk_i32 s4, 0x80
	v_cmp_eq_u16_sdwa s[12:13], v14, s4 src0_sel:BYTE_0 src1_sel:DWORD
	s_mov_b64 s[4:5], -1
                                        ; implicit-def: $sgpr10
	s_and_saveexec_b64 s[8:9], s[12:13]
; %bb.3630:
	s_mov_b32 s10, 0x7f800001
	s_xor_b64 s[4:5], exec, -1
; %bb.3631:
	s_or_b64 exec, exec, s[8:9]
	s_and_b64 s[4:5], s[4:5], exec
	s_or_saveexec_b64 s[6:7], s[6:7]
	v_mov_b32_e32 v20, s10
	s_xor_b64 exec, exec, s[6:7]
	s_cbranch_execz .LBB57_1582
.LBB57_3632:
	v_mov_b32_e32 v20, 0
	v_cmp_ne_u16_sdwa s[8:9], v14, v20 src0_sel:BYTE_0 src1_sel:DWORD
	s_andn2_b64 s[4:5], s[4:5], exec
	s_and_b64 s[8:9], s[8:9], exec
	s_or_b64 s[4:5], s[4:5], s[8:9]
	s_or_b64 exec, exec, s[6:7]
	s_and_saveexec_b64 s[6:7], s[4:5]
	s_cbranch_execnz .LBB57_1583
	s_branch .LBB57_1584
.LBB57_3633:
	s_movk_i32 s4, 0x80
	v_cmp_eq_u16_e32 vcc, s4, v14
	s_mov_b64 s[4:5], -1
                                        ; implicit-def: $sgpr10
	s_and_saveexec_b64 s[8:9], vcc
; %bb.3634:
	s_mov_b32 s10, 0x7f800001
	s_xor_b64 s[4:5], exec, -1
; %bb.3635:
	s_or_b64 exec, exec, s[8:9]
	s_and_b64 s[4:5], s[4:5], exec
                                        ; implicit-def: $vgpr14
	s_or_saveexec_b64 s[6:7], s[6:7]
	v_mov_b32_e32 v10, s10
	s_xor_b64 exec, exec, s[6:7]
	s_cbranch_execz .LBB57_1586
.LBB57_3636:
	v_cmp_ne_u16_e32 vcc, 0, v14
	s_andn2_b64 s[4:5], s[4:5], exec
	s_and_b64 s[8:9], vcc, exec
	v_mov_b32_e32 v10, 0
	s_or_b64 s[4:5], s[4:5], s[8:9]
	s_or_b64 exec, exec, s[6:7]
	s_and_saveexec_b64 s[6:7], s[4:5]
	s_cbranch_execnz .LBB57_1587
	s_branch .LBB57_1588
.LBB57_3637:
	s_movk_i32 s4, 0x80
	v_cmp_eq_u16_e32 vcc, s4, v14
	s_mov_b64 s[4:5], -1
                                        ; implicit-def: $sgpr10
	s_and_saveexec_b64 s[8:9], vcc
; %bb.3638:
	s_mov_b32 s10, 0x7f800001
	s_xor_b64 s[4:5], exec, -1
; %bb.3639:
	s_or_b64 exec, exec, s[8:9]
	s_and_b64 s[4:5], s[4:5], exec
                                        ; implicit-def: $vgpr14
	s_or_saveexec_b64 s[6:7], s[6:7]
	v_mov_b32_e32 v20, s10
	s_xor_b64 exec, exec, s[6:7]
	s_cbranch_execz .LBB57_1590
.LBB57_3640:
	v_cmp_ne_u16_e32 vcc, 0, v14
	s_andn2_b64 s[4:5], s[4:5], exec
	s_and_b64 s[8:9], vcc, exec
	v_mov_b32_e32 v20, 0
	s_or_b64 s[4:5], s[4:5], s[8:9]
	s_or_b64 exec, exec, s[6:7]
	s_and_saveexec_b64 s[6:7], s[4:5]
	s_cbranch_execnz .LBB57_1591
	s_branch .LBB57_1592
.LBB57_3641:
	s_movk_i32 s4, 0x80
	v_cmp_eq_u16_sdwa s[12:13], v15, s4 src0_sel:BYTE_3 src1_sel:DWORD
	s_mov_b64 s[4:5], -1
                                        ; implicit-def: $sgpr10
	s_and_saveexec_b64 s[8:9], s[12:13]
; %bb.3642:
	s_mov_b32 s10, 0x7f800001
	s_xor_b64 s[4:5], exec, -1
; %bb.3643:
	s_or_b64 exec, exec, s[8:9]
	s_and_b64 s[4:5], s[4:5], exec
	s_or_saveexec_b64 s[6:7], s[6:7]
	v_mov_b32_e32 v10, s10
	s_xor_b64 exec, exec, s[6:7]
	s_cbranch_execz .LBB57_1594
.LBB57_3644:
	v_mov_b32_e32 v10, 0
	v_cmp_ne_u16_sdwa s[8:9], v15, v10 src0_sel:BYTE_3 src1_sel:DWORD
	s_andn2_b64 s[4:5], s[4:5], exec
	s_and_b64 s[8:9], s[8:9], exec
	s_or_b64 s[4:5], s[4:5], s[8:9]
	s_or_b64 exec, exec, s[6:7]
	s_and_saveexec_b64 s[6:7], s[4:5]
	s_cbranch_execnz .LBB57_1595
	s_branch .LBB57_1596
.LBB57_3645:
	s_movk_i32 s4, 0x80
	v_cmp_eq_u16_sdwa s[12:13], v11, s4 src0_sel:BYTE_3 src1_sel:DWORD
	s_mov_b64 s[4:5], -1
                                        ; implicit-def: $sgpr10
	s_and_saveexec_b64 s[8:9], s[12:13]
; %bb.3646:
	s_mov_b32 s10, 0x7f800001
	s_xor_b64 s[4:5], exec, -1
; %bb.3647:
	s_or_b64 exec, exec, s[8:9]
	s_and_b64 s[4:5], s[4:5], exec
	s_or_saveexec_b64 s[6:7], s[6:7]
	v_mov_b32_e32 v14, s10
	s_xor_b64 exec, exec, s[6:7]
	s_cbranch_execz .LBB57_1598
.LBB57_3648:
	v_mov_b32_e32 v14, 0
	v_cmp_ne_u16_sdwa s[8:9], v11, v14 src0_sel:BYTE_3 src1_sel:DWORD
	s_andn2_b64 s[4:5], s[4:5], exec
	s_and_b64 s[8:9], s[8:9], exec
	s_or_b64 s[4:5], s[4:5], s[8:9]
	s_or_b64 exec, exec, s[6:7]
	s_and_saveexec_b64 s[6:7], s[4:5]
	s_cbranch_execnz .LBB57_1599
	s_branch .LBB57_1600
.LBB57_3649:
	s_movk_i32 s4, 0x80
	v_cmp_eq_u16_sdwa s[12:13], v16, s4 src0_sel:BYTE_0 src1_sel:DWORD
	s_mov_b64 s[4:5], -1
                                        ; implicit-def: $sgpr10
	s_and_saveexec_b64 s[8:9], s[12:13]
; %bb.3650:
	s_mov_b32 s10, 0x7f800001
	s_xor_b64 s[4:5], exec, -1
; %bb.3651:
	s_or_b64 exec, exec, s[8:9]
	s_and_b64 s[4:5], s[4:5], exec
	s_or_saveexec_b64 s[6:7], s[6:7]
	v_mov_b32_e32 v10, s10
	s_xor_b64 exec, exec, s[6:7]
	s_cbranch_execz .LBB57_1602
.LBB57_3652:
	v_mov_b32_e32 v10, 0
	v_cmp_ne_u16_sdwa s[8:9], v16, v10 src0_sel:BYTE_0 src1_sel:DWORD
	s_andn2_b64 s[4:5], s[4:5], exec
	s_and_b64 s[8:9], s[8:9], exec
	s_or_b64 s[4:5], s[4:5], s[8:9]
	s_or_b64 exec, exec, s[6:7]
	s_and_saveexec_b64 s[6:7], s[4:5]
	s_cbranch_execnz .LBB57_1603
	s_branch .LBB57_1604
.LBB57_3653:
	s_movk_i32 s4, 0x80
	v_cmp_eq_u16_sdwa s[12:13], v12, s4 src0_sel:BYTE_0 src1_sel:DWORD
	s_mov_b64 s[4:5], -1
                                        ; implicit-def: $sgpr10
	s_and_saveexec_b64 s[8:9], s[12:13]
; %bb.3654:
	s_mov_b32 s10, 0x7f800001
	s_xor_b64 s[4:5], exec, -1
; %bb.3655:
	s_or_b64 exec, exec, s[8:9]
	s_and_b64 s[4:5], s[4:5], exec
	s_or_saveexec_b64 s[6:7], s[6:7]
	v_mov_b32_e32 v11, s10
	s_xor_b64 exec, exec, s[6:7]
	s_cbranch_execz .LBB57_1606
.LBB57_3656:
	v_mov_b32_e32 v11, 0
	v_cmp_ne_u16_sdwa s[8:9], v12, v11 src0_sel:BYTE_0 src1_sel:DWORD
	s_andn2_b64 s[4:5], s[4:5], exec
	s_and_b64 s[8:9], s[8:9], exec
	s_or_b64 s[4:5], s[4:5], s[8:9]
	s_or_b64 exec, exec, s[6:7]
	s_and_saveexec_b64 s[6:7], s[4:5]
	s_cbranch_execnz .LBB57_1607
	s_branch .LBB57_1608
.LBB57_3657:
	s_movk_i32 s4, 0x80
	v_cmp_eq_u16_sdwa s[12:13], v11, s4 src0_sel:BYTE_0 src1_sel:DWORD
	s_mov_b64 s[4:5], -1
                                        ; implicit-def: $sgpr10
	s_and_saveexec_b64 s[8:9], s[12:13]
; %bb.3658:
	s_mov_b32 s10, 0x7f800001
	s_xor_b64 s[4:5], exec, -1
; %bb.3659:
	s_or_b64 exec, exec, s[8:9]
	s_and_b64 s[4:5], s[4:5], exec
	s_or_saveexec_b64 s[6:7], s[6:7]
	v_mov_b32_e32 v10, s10
	s_xor_b64 exec, exec, s[6:7]
	s_cbranch_execz .LBB57_1610
.LBB57_3660:
	v_mov_b32_e32 v10, 0
	v_cmp_ne_u16_sdwa s[8:9], v11, v10 src0_sel:BYTE_0 src1_sel:DWORD
	s_andn2_b64 s[4:5], s[4:5], exec
	s_and_b64 s[8:9], s[8:9], exec
	s_or_b64 s[4:5], s[4:5], s[8:9]
	s_or_b64 exec, exec, s[6:7]
	s_and_saveexec_b64 s[6:7], s[4:5]
	s_cbranch_execnz .LBB57_1611
	s_branch .LBB57_1612
.LBB57_3661:
	s_movk_i32 s4, 0x80
	v_cmp_eq_u16_sdwa s[12:13], v11, s4 src0_sel:BYTE_0 src1_sel:DWORD
	s_mov_b64 s[4:5], -1
                                        ; implicit-def: $sgpr10
	s_and_saveexec_b64 s[8:9], s[12:13]
; %bb.3662:
	s_mov_b32 s10, 0x7f800001
	s_xor_b64 s[4:5], exec, -1
; %bb.3663:
	s_or_b64 exec, exec, s[8:9]
	s_and_b64 s[4:5], s[4:5], exec
	s_or_saveexec_b64 s[6:7], s[6:7]
	v_mov_b32_e32 v14, s10
	s_xor_b64 exec, exec, s[6:7]
	s_cbranch_execz .LBB57_1614
.LBB57_3664:
	v_mov_b32_e32 v14, 0
	v_cmp_ne_u16_sdwa s[8:9], v11, v14 src0_sel:BYTE_0 src1_sel:DWORD
	s_andn2_b64 s[4:5], s[4:5], exec
	s_and_b64 s[8:9], s[8:9], exec
	s_or_b64 s[4:5], s[4:5], s[8:9]
	s_or_b64 exec, exec, s[6:7]
	s_and_saveexec_b64 s[6:7], s[4:5]
	s_cbranch_execnz .LBB57_1615
	s_branch .LBB57_1616
.LBB57_3665:
	s_movk_i32 s4, 0x80
	v_cmp_eq_u16_e32 vcc, s4, v11
	s_mov_b64 s[4:5], -1
                                        ; implicit-def: $sgpr10
	s_and_saveexec_b64 s[8:9], vcc
; %bb.3666:
	s_mov_b32 s10, 0x7f800001
	s_xor_b64 s[4:5], exec, -1
; %bb.3667:
	s_or_b64 exec, exec, s[8:9]
	s_and_b64 s[4:5], s[4:5], exec
                                        ; implicit-def: $vgpr11
	s_or_saveexec_b64 s[6:7], s[6:7]
	v_mov_b32_e32 v10, s10
	s_xor_b64 exec, exec, s[6:7]
	s_cbranch_execz .LBB57_1618
.LBB57_3668:
	v_cmp_ne_u16_e32 vcc, 0, v11
	s_andn2_b64 s[4:5], s[4:5], exec
	s_and_b64 s[8:9], vcc, exec
	v_mov_b32_e32 v10, 0
	s_or_b64 s[4:5], s[4:5], s[8:9]
	s_or_b64 exec, exec, s[6:7]
	s_and_saveexec_b64 s[6:7], s[4:5]
	s_cbranch_execnz .LBB57_1619
	s_branch .LBB57_1620
.LBB57_3669:
	s_movk_i32 s4, 0x80
	v_cmp_eq_u16_e32 vcc, s4, v11
	s_mov_b64 s[4:5], -1
                                        ; implicit-def: $sgpr10
	s_and_saveexec_b64 s[8:9], vcc
; %bb.3670:
	s_mov_b32 s10, 0x7f800001
	s_xor_b64 s[4:5], exec, -1
; %bb.3671:
	s_or_b64 exec, exec, s[8:9]
	s_and_b64 s[4:5], s[4:5], exec
                                        ; implicit-def: $vgpr11
	s_or_saveexec_b64 s[6:7], s[6:7]
	v_mov_b32_e32 v14, s10
	s_xor_b64 exec, exec, s[6:7]
	s_cbranch_execz .LBB57_1622
.LBB57_3672:
	v_cmp_ne_u16_e32 vcc, 0, v11
	s_andn2_b64 s[4:5], s[4:5], exec
	s_and_b64 s[8:9], vcc, exec
	v_mov_b32_e32 v14, 0
	s_or_b64 s[4:5], s[4:5], s[8:9]
	s_or_b64 exec, exec, s[6:7]
	s_and_saveexec_b64 s[6:7], s[4:5]
	s_cbranch_execnz .LBB57_1623
	s_branch .LBB57_1624
.LBB57_3673:
	s_movk_i32 s4, 0x80
	v_cmp_eq_u16_sdwa s[12:13], v16, s4 src0_sel:BYTE_3 src1_sel:DWORD
	s_mov_b64 s[4:5], -1
                                        ; implicit-def: $sgpr10
	s_and_saveexec_b64 s[8:9], s[12:13]
; %bb.3674:
	s_mov_b32 s10, 0x7f800001
	s_xor_b64 s[4:5], exec, -1
; %bb.3675:
	s_or_b64 exec, exec, s[8:9]
	s_and_b64 s[4:5], s[4:5], exec
	s_or_saveexec_b64 s[6:7], s[6:7]
	v_mov_b32_e32 v10, s10
	s_xor_b64 exec, exec, s[6:7]
	s_cbranch_execz .LBB57_1626
.LBB57_3676:
	v_mov_b32_e32 v10, 0
	v_cmp_ne_u16_sdwa s[8:9], v16, v10 src0_sel:BYTE_3 src1_sel:DWORD
	s_andn2_b64 s[4:5], s[4:5], exec
	s_and_b64 s[8:9], s[8:9], exec
	s_or_b64 s[4:5], s[4:5], s[8:9]
	s_or_b64 exec, exec, s[6:7]
	s_and_saveexec_b64 s[6:7], s[4:5]
	s_cbranch_execnz .LBB57_1627
	s_branch .LBB57_1628
.LBB57_3677:
	s_movk_i32 s4, 0x80
	v_cmp_eq_u16_sdwa s[12:13], v12, s4 src0_sel:BYTE_3 src1_sel:DWORD
	s_mov_b64 s[4:5], -1
                                        ; implicit-def: $sgpr10
	s_and_saveexec_b64 s[8:9], s[12:13]
; %bb.3678:
	s_mov_b32 s10, 0x7f800001
	s_xor_b64 s[4:5], exec, -1
; %bb.3679:
	s_or_b64 exec, exec, s[8:9]
	s_and_b64 s[4:5], s[4:5], exec
	s_or_saveexec_b64 s[6:7], s[6:7]
	v_mov_b32_e32 v11, s10
	s_xor_b64 exec, exec, s[6:7]
	s_cbranch_execz .LBB57_1630
.LBB57_3680:
	v_mov_b32_e32 v11, 0
	v_cmp_ne_u16_sdwa s[8:9], v12, v11 src0_sel:BYTE_3 src1_sel:DWORD
	s_andn2_b64 s[4:5], s[4:5], exec
	s_and_b64 s[8:9], s[8:9], exec
	s_or_b64 s[4:5], s[4:5], s[8:9]
	s_or_b64 exec, exec, s[6:7]
	s_and_saveexec_b64 s[6:7], s[4:5]
	s_cbranch_execnz .LBB57_1631
	s_branch .LBB57_1632
.LBB57_3681:
	s_movk_i32 s4, 0x80
	v_cmp_eq_u16_sdwa s[12:13], v17, s4 src0_sel:BYTE_0 src1_sel:DWORD
	s_mov_b64 s[4:5], -1
                                        ; implicit-def: $sgpr10
	s_and_saveexec_b64 s[8:9], s[12:13]
; %bb.3682:
	s_mov_b32 s10, 0x7f800001
	s_xor_b64 s[4:5], exec, -1
; %bb.3683:
	s_or_b64 exec, exec, s[8:9]
	s_and_b64 s[4:5], s[4:5], exec
	s_or_saveexec_b64 s[6:7], s[6:7]
	v_mov_b32_e32 v10, s10
	s_xor_b64 exec, exec, s[6:7]
	s_cbranch_execz .LBB57_1634
.LBB57_3684:
	v_mov_b32_e32 v10, 0
	v_cmp_ne_u16_sdwa s[8:9], v17, v10 src0_sel:BYTE_0 src1_sel:DWORD
	s_andn2_b64 s[4:5], s[4:5], exec
	s_and_b64 s[8:9], s[8:9], exec
	s_or_b64 s[4:5], s[4:5], s[8:9]
	s_or_b64 exec, exec, s[6:7]
	s_and_saveexec_b64 s[6:7], s[4:5]
	s_cbranch_execnz .LBB57_1635
	s_branch .LBB57_1636
.LBB57_3685:
	s_movk_i32 s4, 0x80
	v_cmp_eq_u16_sdwa s[12:13], v13, s4 src0_sel:BYTE_0 src1_sel:DWORD
	s_mov_b64 s[4:5], -1
                                        ; implicit-def: $sgpr10
	s_and_saveexec_b64 s[8:9], s[12:13]
; %bb.3686:
	s_mov_b32 s10, 0x7f800001
	s_xor_b64 s[4:5], exec, -1
; %bb.3687:
	s_or_b64 exec, exec, s[8:9]
	s_and_b64 s[4:5], s[4:5], exec
	s_or_saveexec_b64 s[6:7], s[6:7]
	v_mov_b32_e32 v11, s10
	s_xor_b64 exec, exec, s[6:7]
	s_cbranch_execz .LBB57_1638
.LBB57_3688:
	v_mov_b32_e32 v11, 0
	v_cmp_ne_u16_sdwa s[8:9], v13, v11 src0_sel:BYTE_0 src1_sel:DWORD
	s_andn2_b64 s[4:5], s[4:5], exec
	s_and_b64 s[8:9], s[8:9], exec
	s_or_b64 s[4:5], s[4:5], s[8:9]
	s_or_b64 exec, exec, s[6:7]
	s_and_saveexec_b64 s[6:7], s[4:5]
	s_cbranch_execnz .LBB57_1639
	s_branch .LBB57_1640
.LBB57_3689:
	s_movk_i32 s4, 0x80
	v_cmp_eq_u16_sdwa s[12:13], v11, s4 src0_sel:BYTE_0 src1_sel:DWORD
	s_mov_b64 s[4:5], -1
                                        ; implicit-def: $sgpr10
	s_and_saveexec_b64 s[8:9], s[12:13]
; %bb.3690:
	s_mov_b32 s10, 0x7f800001
	s_xor_b64 s[4:5], exec, -1
; %bb.3691:
	s_or_b64 exec, exec, s[8:9]
	s_and_b64 s[4:5], s[4:5], exec
	s_or_saveexec_b64 s[6:7], s[6:7]
	v_mov_b32_e32 v10, s10
	s_xor_b64 exec, exec, s[6:7]
	s_cbranch_execz .LBB57_1642
.LBB57_3692:
	v_mov_b32_e32 v10, 0
	v_cmp_ne_u16_sdwa s[8:9], v11, v10 src0_sel:BYTE_0 src1_sel:DWORD
	s_andn2_b64 s[4:5], s[4:5], exec
	s_and_b64 s[8:9], s[8:9], exec
	s_or_b64 s[4:5], s[4:5], s[8:9]
	s_or_b64 exec, exec, s[6:7]
	s_and_saveexec_b64 s[6:7], s[4:5]
	s_cbranch_execnz .LBB57_1643
	s_branch .LBB57_1644
.LBB57_3693:
	s_movk_i32 s4, 0x80
	v_cmp_eq_u16_sdwa s[12:13], v11, s4 src0_sel:BYTE_0 src1_sel:DWORD
	s_mov_b64 s[4:5], -1
                                        ; implicit-def: $sgpr10
	s_and_saveexec_b64 s[8:9], s[12:13]
; %bb.3694:
	s_mov_b32 s10, 0x7f800001
	s_xor_b64 s[4:5], exec, -1
; %bb.3695:
	s_or_b64 exec, exec, s[8:9]
	s_and_b64 s[4:5], s[4:5], exec
	s_or_saveexec_b64 s[6:7], s[6:7]
	v_mov_b32_e32 v12, s10
	s_xor_b64 exec, exec, s[6:7]
	s_cbranch_execz .LBB57_1646
.LBB57_3696:
	v_mov_b32_e32 v12, 0
	v_cmp_ne_u16_sdwa s[8:9], v11, v12 src0_sel:BYTE_0 src1_sel:DWORD
	s_andn2_b64 s[4:5], s[4:5], exec
	s_and_b64 s[8:9], s[8:9], exec
	s_or_b64 s[4:5], s[4:5], s[8:9]
	s_or_b64 exec, exec, s[6:7]
	s_and_saveexec_b64 s[6:7], s[4:5]
	s_cbranch_execnz .LBB57_1647
	s_branch .LBB57_1648
.LBB57_3697:
	s_movk_i32 s4, 0x80
	v_cmp_eq_u16_e32 vcc, s4, v11
	s_mov_b64 s[4:5], -1
                                        ; implicit-def: $sgpr10
	s_and_saveexec_b64 s[8:9], vcc
; %bb.3698:
	s_mov_b32 s10, 0x7f800001
	s_xor_b64 s[4:5], exec, -1
; %bb.3699:
	s_or_b64 exec, exec, s[8:9]
	s_and_b64 s[4:5], s[4:5], exec
                                        ; implicit-def: $vgpr11
	s_or_saveexec_b64 s[6:7], s[6:7]
	v_mov_b32_e32 v10, s10
	s_xor_b64 exec, exec, s[6:7]
	s_cbranch_execz .LBB57_1650
.LBB57_3700:
	v_cmp_ne_u16_e32 vcc, 0, v11
	s_andn2_b64 s[4:5], s[4:5], exec
	s_and_b64 s[8:9], vcc, exec
	v_mov_b32_e32 v10, 0
	s_or_b64 s[4:5], s[4:5], s[8:9]
	s_or_b64 exec, exec, s[6:7]
	s_and_saveexec_b64 s[6:7], s[4:5]
	s_cbranch_execnz .LBB57_1651
	s_branch .LBB57_1652
.LBB57_3701:
	s_movk_i32 s4, 0x80
	v_cmp_eq_u16_e32 vcc, s4, v11
	s_mov_b64 s[4:5], -1
                                        ; implicit-def: $sgpr10
	s_and_saveexec_b64 s[8:9], vcc
; %bb.3702:
	s_mov_b32 s10, 0x7f800001
	s_xor_b64 s[4:5], exec, -1
; %bb.3703:
	s_or_b64 exec, exec, s[8:9]
	s_and_b64 s[4:5], s[4:5], exec
                                        ; implicit-def: $vgpr11
	s_or_saveexec_b64 s[6:7], s[6:7]
	v_mov_b32_e32 v12, s10
	s_xor_b64 exec, exec, s[6:7]
	s_cbranch_execz .LBB57_1654
.LBB57_3704:
	v_cmp_ne_u16_e32 vcc, 0, v11
	s_andn2_b64 s[4:5], s[4:5], exec
	s_and_b64 s[8:9], vcc, exec
	v_mov_b32_e32 v12, 0
	s_or_b64 s[4:5], s[4:5], s[8:9]
	s_or_b64 exec, exec, s[6:7]
	s_and_saveexec_b64 s[6:7], s[4:5]
	s_cbranch_execnz .LBB57_1655
	s_branch .LBB57_1656
.LBB57_3705:
	s_movk_i32 s4, 0x80
	v_cmp_eq_u16_sdwa s[12:13], v17, s4 src0_sel:BYTE_3 src1_sel:DWORD
	s_mov_b64 s[4:5], -1
                                        ; implicit-def: $sgpr10
	s_and_saveexec_b64 s[8:9], s[12:13]
; %bb.3706:
	s_mov_b32 s10, 0x7f800001
	s_xor_b64 s[4:5], exec, -1
; %bb.3707:
	s_or_b64 exec, exec, s[8:9]
	s_and_b64 s[4:5], s[4:5], exec
	s_or_saveexec_b64 s[6:7], s[6:7]
	v_mov_b32_e32 v10, s10
	s_xor_b64 exec, exec, s[6:7]
	s_cbranch_execz .LBB57_1658
.LBB57_3708:
	v_mov_b32_e32 v10, 0
	v_cmp_ne_u16_sdwa s[8:9], v17, v10 src0_sel:BYTE_3 src1_sel:DWORD
	s_andn2_b64 s[4:5], s[4:5], exec
	s_and_b64 s[8:9], s[8:9], exec
	s_or_b64 s[4:5], s[4:5], s[8:9]
	s_or_b64 exec, exec, s[6:7]
	s_and_saveexec_b64 s[6:7], s[4:5]
	s_cbranch_execnz .LBB57_1659
	s_branch .LBB57_1660
.LBB57_3709:
	s_movk_i32 s4, 0x80
	v_cmp_eq_u16_sdwa s[12:13], v13, s4 src0_sel:BYTE_3 src1_sel:DWORD
	s_mov_b64 s[4:5], -1
                                        ; implicit-def: $sgpr10
	s_and_saveexec_b64 s[8:9], s[12:13]
; %bb.3710:
	s_mov_b32 s10, 0x7f800001
	s_xor_b64 s[4:5], exec, -1
; %bb.3711:
	s_or_b64 exec, exec, s[8:9]
	s_and_b64 s[4:5], s[4:5], exec
	s_or_saveexec_b64 s[6:7], s[6:7]
	v_mov_b32_e32 v11, s10
	s_xor_b64 exec, exec, s[6:7]
	s_cbranch_execz .LBB57_1662
.LBB57_3712:
	v_mov_b32_e32 v11, 0
	v_cmp_ne_u16_sdwa s[8:9], v13, v11 src0_sel:BYTE_3 src1_sel:DWORD
	s_andn2_b64 s[4:5], s[4:5], exec
	s_and_b64 s[8:9], s[8:9], exec
	s_or_b64 s[4:5], s[4:5], s[8:9]
	s_or_b64 exec, exec, s[6:7]
	s_and_saveexec_b64 s[6:7], s[4:5]
	s_cbranch_execnz .LBB57_1663
	s_branch .LBB57_1664
.LBB57_3713:
	s_movk_i32 s4, 0x80
	v_cmp_eq_u16_sdwa s[12:13], v6, s4 src0_sel:BYTE_0 src1_sel:DWORD
	s_mov_b64 s[4:5], -1
                                        ; implicit-def: $sgpr10
	s_and_saveexec_b64 s[8:9], s[12:13]
; %bb.3714:
	s_mov_b32 s10, 0x7f800001
	s_xor_b64 s[4:5], exec, -1
; %bb.3715:
	s_or_b64 exec, exec, s[8:9]
	s_and_b64 s[4:5], s[4:5], exec
	s_or_saveexec_b64 s[6:7], s[6:7]
	v_mov_b32_e32 v10, s10
	s_xor_b64 exec, exec, s[6:7]
	s_cbranch_execz .LBB57_1666
.LBB57_3716:
	v_mov_b32_e32 v10, 0
	v_cmp_ne_u16_sdwa s[8:9], v6, v10 src0_sel:BYTE_0 src1_sel:DWORD
	s_andn2_b64 s[4:5], s[4:5], exec
	s_and_b64 s[8:9], s[8:9], exec
	s_or_b64 s[4:5], s[4:5], s[8:9]
	s_or_b64 exec, exec, s[6:7]
	s_and_saveexec_b64 s[6:7], s[4:5]
	s_cbranch_execnz .LBB57_1667
	s_branch .LBB57_1668
.LBB57_3717:
	s_movk_i32 s4, 0x80
	v_cmp_eq_u16_sdwa s[12:13], v2, s4 src0_sel:BYTE_0 src1_sel:DWORD
	s_mov_b64 s[4:5], -1
                                        ; implicit-def: $sgpr10
	s_and_saveexec_b64 s[8:9], s[12:13]
; %bb.3718:
	s_mov_b32 s10, 0x7f800001
	s_xor_b64 s[4:5], exec, -1
; %bb.3719:
	s_or_b64 exec, exec, s[8:9]
	s_and_b64 s[4:5], s[4:5], exec
	s_or_saveexec_b64 s[6:7], s[6:7]
	v_mov_b32_e32 v11, s10
	s_xor_b64 exec, exec, s[6:7]
	s_cbranch_execz .LBB57_1670
.LBB57_3720:
	v_mov_b32_e32 v11, 0
	v_cmp_ne_u16_sdwa s[8:9], v2, v11 src0_sel:BYTE_0 src1_sel:DWORD
	s_andn2_b64 s[4:5], s[4:5], exec
	s_and_b64 s[8:9], s[8:9], exec
	s_or_b64 s[4:5], s[4:5], s[8:9]
	s_or_b64 exec, exec, s[6:7]
	s_and_saveexec_b64 s[6:7], s[4:5]
	s_cbranch_execnz .LBB57_1671
	s_branch .LBB57_1672
.LBB57_3721:
	s_movk_i32 s4, 0x80
	v_cmp_eq_u16_sdwa s[12:13], v11, s4 src0_sel:BYTE_0 src1_sel:DWORD
	s_mov_b64 s[4:5], -1
                                        ; implicit-def: $sgpr10
	s_and_saveexec_b64 s[8:9], s[12:13]
; %bb.3722:
	s_mov_b32 s10, 0x7f800001
	s_xor_b64 s[4:5], exec, -1
; %bb.3723:
	s_or_b64 exec, exec, s[8:9]
	s_and_b64 s[4:5], s[4:5], exec
	s_or_saveexec_b64 s[6:7], s[6:7]
	v_mov_b32_e32 v10, s10
	s_xor_b64 exec, exec, s[6:7]
	s_cbranch_execz .LBB57_1674
.LBB57_3724:
	v_mov_b32_e32 v10, 0
	v_cmp_ne_u16_sdwa s[8:9], v11, v10 src0_sel:BYTE_0 src1_sel:DWORD
	s_andn2_b64 s[4:5], s[4:5], exec
	s_and_b64 s[8:9], s[8:9], exec
	s_or_b64 s[4:5], s[4:5], s[8:9]
	s_or_b64 exec, exec, s[6:7]
	s_and_saveexec_b64 s[6:7], s[4:5]
	s_cbranch_execnz .LBB57_1675
	s_branch .LBB57_1676
.LBB57_3725:
	s_movk_i32 s4, 0x80
	v_cmp_eq_u16_sdwa s[12:13], v11, s4 src0_sel:BYTE_0 src1_sel:DWORD
	s_mov_b64 s[4:5], -1
                                        ; implicit-def: $sgpr10
	s_and_saveexec_b64 s[8:9], s[12:13]
; %bb.3726:
	s_mov_b32 s10, 0x7f800001
	s_xor_b64 s[4:5], exec, -1
; %bb.3727:
	s_or_b64 exec, exec, s[8:9]
	s_and_b64 s[4:5], s[4:5], exec
	s_or_saveexec_b64 s[6:7], s[6:7]
	v_mov_b32_e32 v12, s10
	s_xor_b64 exec, exec, s[6:7]
	s_cbranch_execz .LBB57_1678
.LBB57_3728:
	v_mov_b32_e32 v12, 0
	v_cmp_ne_u16_sdwa s[8:9], v11, v12 src0_sel:BYTE_0 src1_sel:DWORD
	s_andn2_b64 s[4:5], s[4:5], exec
	s_and_b64 s[8:9], s[8:9], exec
	s_or_b64 s[4:5], s[4:5], s[8:9]
	s_or_b64 exec, exec, s[6:7]
	s_and_saveexec_b64 s[6:7], s[4:5]
	s_cbranch_execnz .LBB57_1679
	s_branch .LBB57_1680
.LBB57_3729:
	s_movk_i32 s4, 0x80
	v_cmp_eq_u16_e32 vcc, s4, v11
	s_mov_b64 s[4:5], -1
                                        ; implicit-def: $sgpr10
	s_and_saveexec_b64 s[8:9], vcc
; %bb.3730:
	s_mov_b32 s10, 0x7f800001
	s_xor_b64 s[4:5], exec, -1
; %bb.3731:
	s_or_b64 exec, exec, s[8:9]
	s_and_b64 s[4:5], s[4:5], exec
                                        ; implicit-def: $vgpr11
	s_or_saveexec_b64 s[6:7], s[6:7]
	v_mov_b32_e32 v10, s10
	s_xor_b64 exec, exec, s[6:7]
	s_cbranch_execz .LBB57_1682
.LBB57_3732:
	v_cmp_ne_u16_e32 vcc, 0, v11
	s_andn2_b64 s[4:5], s[4:5], exec
	s_and_b64 s[8:9], vcc, exec
	v_mov_b32_e32 v10, 0
	s_or_b64 s[4:5], s[4:5], s[8:9]
	s_or_b64 exec, exec, s[6:7]
	s_and_saveexec_b64 s[6:7], s[4:5]
	s_cbranch_execnz .LBB57_1683
	s_branch .LBB57_1684
.LBB57_3733:
	s_movk_i32 s4, 0x80
	v_cmp_eq_u16_e32 vcc, s4, v11
	s_mov_b64 s[4:5], -1
                                        ; implicit-def: $sgpr10
	s_and_saveexec_b64 s[8:9], vcc
; %bb.3734:
	s_mov_b32 s10, 0x7f800001
	s_xor_b64 s[4:5], exec, -1
; %bb.3735:
	s_or_b64 exec, exec, s[8:9]
	s_and_b64 s[4:5], s[4:5], exec
                                        ; implicit-def: $vgpr11
	s_or_saveexec_b64 s[6:7], s[6:7]
	v_mov_b32_e32 v12, s10
	s_xor_b64 exec, exec, s[6:7]
	s_cbranch_execz .LBB57_1686
.LBB57_3736:
	v_cmp_ne_u16_e32 vcc, 0, v11
	s_andn2_b64 s[4:5], s[4:5], exec
	s_and_b64 s[8:9], vcc, exec
	v_mov_b32_e32 v12, 0
	s_or_b64 s[4:5], s[4:5], s[8:9]
	s_or_b64 exec, exec, s[6:7]
	s_and_saveexec_b64 s[6:7], s[4:5]
	s_cbranch_execnz .LBB57_1687
	s_branch .LBB57_1688
.LBB57_3737:
	s_movk_i32 s4, 0x80
	v_cmp_eq_u16_sdwa s[12:13], v6, s4 src0_sel:BYTE_3 src1_sel:DWORD
	s_mov_b64 s[4:5], -1
                                        ; implicit-def: $sgpr10
	s_and_saveexec_b64 s[8:9], s[12:13]
; %bb.3738:
	s_mov_b32 s10, 0x7f800001
	s_xor_b64 s[4:5], exec, -1
; %bb.3739:
	s_or_b64 exec, exec, s[8:9]
	s_and_b64 s[4:5], s[4:5], exec
	s_or_saveexec_b64 s[6:7], s[6:7]
	v_mov_b32_e32 v10, s10
	s_xor_b64 exec, exec, s[6:7]
	s_cbranch_execz .LBB57_1690
.LBB57_3740:
	v_mov_b32_e32 v10, 0
	v_cmp_ne_u16_sdwa s[8:9], v6, v10 src0_sel:BYTE_3 src1_sel:DWORD
	s_andn2_b64 s[4:5], s[4:5], exec
	s_and_b64 s[8:9], s[8:9], exec
	s_or_b64 s[4:5], s[4:5], s[8:9]
	s_or_b64 exec, exec, s[6:7]
	s_and_saveexec_b64 s[6:7], s[4:5]
	s_cbranch_execnz .LBB57_1691
	s_branch .LBB57_1692
.LBB57_3741:
	s_movk_i32 s4, 0x80
	v_cmp_eq_u16_sdwa s[12:13], v2, s4 src0_sel:BYTE_3 src1_sel:DWORD
	s_mov_b64 s[4:5], -1
                                        ; implicit-def: $sgpr10
	s_and_saveexec_b64 s[8:9], s[12:13]
; %bb.3742:
	s_mov_b32 s10, 0x7f800001
	s_xor_b64 s[4:5], exec, -1
; %bb.3743:
	s_or_b64 exec, exec, s[8:9]
	s_and_b64 s[4:5], s[4:5], exec
	s_or_saveexec_b64 s[6:7], s[6:7]
	v_mov_b32_e32 v6, s10
	s_xor_b64 exec, exec, s[6:7]
	s_cbranch_execz .LBB57_1694
.LBB57_3744:
	v_mov_b32_e32 v6, 0
	v_cmp_ne_u16_sdwa s[8:9], v2, v6 src0_sel:BYTE_3 src1_sel:DWORD
	s_andn2_b64 s[4:5], s[4:5], exec
	s_and_b64 s[8:9], s[8:9], exec
	s_or_b64 s[4:5], s[4:5], s[8:9]
	s_or_b64 exec, exec, s[6:7]
	s_and_saveexec_b64 s[6:7], s[4:5]
	s_cbranch_execnz .LBB57_1695
	s_branch .LBB57_1696
.LBB57_3745:
	s_movk_i32 s4, 0x80
	v_cmp_eq_u16_sdwa s[12:13], v7, s4 src0_sel:BYTE_0 src1_sel:DWORD
	s_mov_b64 s[4:5], -1
                                        ; implicit-def: $sgpr10
	s_and_saveexec_b64 s[8:9], s[12:13]
; %bb.3746:
	s_mov_b32 s10, 0x7f800001
	s_xor_b64 s[4:5], exec, -1
; %bb.3747:
	s_or_b64 exec, exec, s[8:9]
	s_and_b64 s[4:5], s[4:5], exec
	s_or_saveexec_b64 s[6:7], s[6:7]
	v_mov_b32_e32 v2, s10
	s_xor_b64 exec, exec, s[6:7]
	s_cbranch_execz .LBB57_1698
.LBB57_3748:
	v_mov_b32_e32 v2, 0
	v_cmp_ne_u16_sdwa s[8:9], v7, v2 src0_sel:BYTE_0 src1_sel:DWORD
	s_andn2_b64 s[4:5], s[4:5], exec
	s_and_b64 s[8:9], s[8:9], exec
	s_or_b64 s[4:5], s[4:5], s[8:9]
	s_or_b64 exec, exec, s[6:7]
	s_and_saveexec_b64 s[6:7], s[4:5]
	s_cbranch_execnz .LBB57_1699
	s_branch .LBB57_1700
.LBB57_3749:
	s_movk_i32 s4, 0x80
	v_cmp_eq_u16_sdwa s[12:13], v3, s4 src0_sel:BYTE_0 src1_sel:DWORD
	s_mov_b64 s[4:5], -1
                                        ; implicit-def: $sgpr10
	s_and_saveexec_b64 s[8:9], s[12:13]
; %bb.3750:
	s_mov_b32 s10, 0x7f800001
	s_xor_b64 s[4:5], exec, -1
; %bb.3751:
	s_or_b64 exec, exec, s[8:9]
	s_and_b64 s[4:5], s[4:5], exec
	s_or_saveexec_b64 s[6:7], s[6:7]
	v_mov_b32_e32 v6, s10
	s_xor_b64 exec, exec, s[6:7]
	s_cbranch_execz .LBB57_1702
.LBB57_3752:
	v_mov_b32_e32 v6, 0
	v_cmp_ne_u16_sdwa s[8:9], v3, v6 src0_sel:BYTE_0 src1_sel:DWORD
	s_andn2_b64 s[4:5], s[4:5], exec
	s_and_b64 s[8:9], s[8:9], exec
	s_or_b64 s[4:5], s[4:5], s[8:9]
	s_or_b64 exec, exec, s[6:7]
	s_and_saveexec_b64 s[6:7], s[4:5]
	s_cbranch_execnz .LBB57_1703
	s_branch .LBB57_1704
.LBB57_3753:
	s_movk_i32 s4, 0x80
	v_cmp_eq_u16_sdwa s[12:13], v6, s4 src0_sel:BYTE_0 src1_sel:DWORD
	s_mov_b64 s[4:5], -1
                                        ; implicit-def: $sgpr10
	s_and_saveexec_b64 s[8:9], s[12:13]
; %bb.3754:
	s_mov_b32 s10, 0x7f800001
	s_xor_b64 s[4:5], exec, -1
; %bb.3755:
	s_or_b64 exec, exec, s[8:9]
	s_and_b64 s[4:5], s[4:5], exec
	s_or_saveexec_b64 s[6:7], s[6:7]
	v_mov_b32_e32 v2, s10
	s_xor_b64 exec, exec, s[6:7]
	s_cbranch_execz .LBB57_1706
.LBB57_3756:
	v_mov_b32_e32 v2, 0
	v_cmp_ne_u16_sdwa s[8:9], v6, v2 src0_sel:BYTE_0 src1_sel:DWORD
	s_andn2_b64 s[4:5], s[4:5], exec
	s_and_b64 s[8:9], s[8:9], exec
	s_or_b64 s[4:5], s[4:5], s[8:9]
	s_or_b64 exec, exec, s[6:7]
	s_and_saveexec_b64 s[6:7], s[4:5]
	s_cbranch_execnz .LBB57_1707
	s_branch .LBB57_1708
.LBB57_3757:
	s_movk_i32 s4, 0x80
	v_cmp_eq_u16_sdwa s[12:13], v6, s4 src0_sel:BYTE_0 src1_sel:DWORD
	s_mov_b64 s[4:5], -1
                                        ; implicit-def: $sgpr10
	s_and_saveexec_b64 s[8:9], s[12:13]
; %bb.3758:
	s_mov_b32 s10, 0x7f800001
	s_xor_b64 s[4:5], exec, -1
; %bb.3759:
	s_or_b64 exec, exec, s[8:9]
	s_and_b64 s[4:5], s[4:5], exec
	s_or_saveexec_b64 s[6:7], s[6:7]
	v_mov_b32_e32 v10, s10
	s_xor_b64 exec, exec, s[6:7]
	s_cbranch_execz .LBB57_1710
.LBB57_3760:
	v_mov_b32_e32 v10, 0
	v_cmp_ne_u16_sdwa s[8:9], v6, v10 src0_sel:BYTE_0 src1_sel:DWORD
	s_andn2_b64 s[4:5], s[4:5], exec
	s_and_b64 s[8:9], s[8:9], exec
	s_or_b64 s[4:5], s[4:5], s[8:9]
	s_or_b64 exec, exec, s[6:7]
	s_and_saveexec_b64 s[6:7], s[4:5]
	s_cbranch_execnz .LBB57_1711
	s_branch .LBB57_1712
.LBB57_3761:
	s_movk_i32 s4, 0x80
	v_cmp_eq_u16_e32 vcc, s4, v6
	s_mov_b64 s[4:5], -1
                                        ; implicit-def: $sgpr10
	s_and_saveexec_b64 s[8:9], vcc
; %bb.3762:
	s_mov_b32 s10, 0x7f800001
	s_xor_b64 s[4:5], exec, -1
; %bb.3763:
	s_or_b64 exec, exec, s[8:9]
	s_and_b64 s[4:5], s[4:5], exec
                                        ; implicit-def: $vgpr6
	s_or_saveexec_b64 s[6:7], s[6:7]
	v_mov_b32_e32 v2, s10
	s_xor_b64 exec, exec, s[6:7]
	s_cbranch_execz .LBB57_1714
.LBB57_3764:
	v_cmp_ne_u16_e32 vcc, 0, v6
	s_andn2_b64 s[4:5], s[4:5], exec
	s_and_b64 s[8:9], vcc, exec
	v_mov_b32_e32 v2, 0
	s_or_b64 s[4:5], s[4:5], s[8:9]
	s_or_b64 exec, exec, s[6:7]
	s_and_saveexec_b64 s[6:7], s[4:5]
	s_cbranch_execnz .LBB57_1715
	s_branch .LBB57_1716
.LBB57_3765:
	s_movk_i32 s4, 0x80
	v_cmp_eq_u16_e32 vcc, s4, v6
	s_mov_b64 s[4:5], -1
                                        ; implicit-def: $sgpr10
	s_and_saveexec_b64 s[8:9], vcc
; %bb.3766:
	s_mov_b32 s10, 0x7f800001
	s_xor_b64 s[4:5], exec, -1
; %bb.3767:
	s_or_b64 exec, exec, s[8:9]
	s_and_b64 s[4:5], s[4:5], exec
                                        ; implicit-def: $vgpr6
	s_or_saveexec_b64 s[6:7], s[6:7]
	v_mov_b32_e32 v10, s10
	s_xor_b64 exec, exec, s[6:7]
	s_cbranch_execz .LBB57_1718
.LBB57_3768:
	v_cmp_ne_u16_e32 vcc, 0, v6
	s_andn2_b64 s[4:5], s[4:5], exec
	s_and_b64 s[8:9], vcc, exec
	v_mov_b32_e32 v10, 0
	s_or_b64 s[4:5], s[4:5], s[8:9]
	s_or_b64 exec, exec, s[6:7]
	s_and_saveexec_b64 s[6:7], s[4:5]
	s_cbranch_execnz .LBB57_1719
	s_branch .LBB57_1720
.LBB57_3769:
	s_movk_i32 s4, 0x80
	v_cmp_eq_u16_sdwa s[12:13], v7, s4 src0_sel:BYTE_3 src1_sel:DWORD
	s_mov_b64 s[4:5], -1
                                        ; implicit-def: $sgpr10
	s_and_saveexec_b64 s[8:9], s[12:13]
; %bb.3770:
	s_mov_b32 s10, 0x7f800001
	s_xor_b64 s[4:5], exec, -1
; %bb.3771:
	s_or_b64 exec, exec, s[8:9]
	s_and_b64 s[4:5], s[4:5], exec
	s_or_saveexec_b64 s[6:7], s[6:7]
	v_mov_b32_e32 v2, s10
	s_xor_b64 exec, exec, s[6:7]
	s_cbranch_execz .LBB57_1722
.LBB57_3772:
	v_mov_b32_e32 v2, 0
	v_cmp_ne_u16_sdwa s[8:9], v7, v2 src0_sel:BYTE_3 src1_sel:DWORD
	s_andn2_b64 s[4:5], s[4:5], exec
	s_and_b64 s[8:9], s[8:9], exec
	s_or_b64 s[4:5], s[4:5], s[8:9]
	s_or_b64 exec, exec, s[6:7]
	s_and_saveexec_b64 s[6:7], s[4:5]
	s_cbranch_execnz .LBB57_1723
	s_branch .LBB57_1724
.LBB57_3773:
	s_movk_i32 s4, 0x80
	v_cmp_eq_u16_sdwa s[12:13], v3, s4 src0_sel:BYTE_3 src1_sel:DWORD
	s_mov_b64 s[4:5], -1
                                        ; implicit-def: $sgpr10
	s_and_saveexec_b64 s[8:9], s[12:13]
; %bb.3774:
	s_mov_b32 s10, 0x7f800001
	s_xor_b64 s[4:5], exec, -1
; %bb.3775:
	s_or_b64 exec, exec, s[8:9]
	s_and_b64 s[4:5], s[4:5], exec
	s_or_saveexec_b64 s[6:7], s[6:7]
	v_mov_b32_e32 v6, s10
	s_xor_b64 exec, exec, s[6:7]
	s_cbranch_execz .LBB57_1726
.LBB57_3776:
	v_mov_b32_e32 v6, 0
	v_cmp_ne_u16_sdwa s[8:9], v3, v6 src0_sel:BYTE_3 src1_sel:DWORD
	s_andn2_b64 s[4:5], s[4:5], exec
	s_and_b64 s[8:9], s[8:9], exec
	s_or_b64 s[4:5], s[4:5], s[8:9]
	s_or_b64 exec, exec, s[6:7]
	s_and_saveexec_b64 s[6:7], s[4:5]
	s_cbranch_execnz .LBB57_1727
	s_branch .LBB57_1728
.LBB57_3777:
	s_movk_i32 s4, 0x80
	v_cmp_eq_u16_sdwa s[12:13], v8, s4 src0_sel:BYTE_0 src1_sel:DWORD
	s_mov_b64 s[4:5], -1
                                        ; implicit-def: $sgpr10
	s_and_saveexec_b64 s[8:9], s[12:13]
; %bb.3778:
	s_mov_b32 s10, 0x7f800001
	s_xor_b64 s[4:5], exec, -1
; %bb.3779:
	s_or_b64 exec, exec, s[8:9]
	s_and_b64 s[4:5], s[4:5], exec
	s_or_saveexec_b64 s[6:7], s[6:7]
	v_mov_b32_e32 v2, s10
	s_xor_b64 exec, exec, s[6:7]
	s_cbranch_execz .LBB57_1730
.LBB57_3780:
	v_mov_b32_e32 v2, 0
	v_cmp_ne_u16_sdwa s[8:9], v8, v2 src0_sel:BYTE_0 src1_sel:DWORD
	s_andn2_b64 s[4:5], s[4:5], exec
	s_and_b64 s[8:9], s[8:9], exec
	s_or_b64 s[4:5], s[4:5], s[8:9]
	s_or_b64 exec, exec, s[6:7]
	s_and_saveexec_b64 s[6:7], s[4:5]
	s_cbranch_execnz .LBB57_1731
	s_branch .LBB57_1732
.LBB57_3781:
	s_movk_i32 s4, 0x80
	v_cmp_eq_u16_sdwa s[12:13], v4, s4 src0_sel:BYTE_0 src1_sel:DWORD
	s_mov_b64 s[4:5], -1
                                        ; implicit-def: $sgpr10
	s_and_saveexec_b64 s[8:9], s[12:13]
; %bb.3782:
	s_mov_b32 s10, 0x7f800001
	s_xor_b64 s[4:5], exec, -1
; %bb.3783:
	s_or_b64 exec, exec, s[8:9]
	s_and_b64 s[4:5], s[4:5], exec
	s_or_saveexec_b64 s[6:7], s[6:7]
	v_mov_b32_e32 v3, s10
	s_xor_b64 exec, exec, s[6:7]
	s_cbranch_execz .LBB57_1734
.LBB57_3784:
	v_mov_b32_e32 v3, 0
	v_cmp_ne_u16_sdwa s[8:9], v4, v3 src0_sel:BYTE_0 src1_sel:DWORD
	s_andn2_b64 s[4:5], s[4:5], exec
	s_and_b64 s[8:9], s[8:9], exec
	s_or_b64 s[4:5], s[4:5], s[8:9]
	s_or_b64 exec, exec, s[6:7]
	s_and_saveexec_b64 s[6:7], s[4:5]
	s_cbranch_execnz .LBB57_1735
	s_branch .LBB57_1736
.LBB57_3785:
	s_movk_i32 s4, 0x80
	v_cmp_eq_u16_sdwa s[12:13], v3, s4 src0_sel:BYTE_0 src1_sel:DWORD
	s_mov_b64 s[4:5], -1
                                        ; implicit-def: $sgpr10
	s_and_saveexec_b64 s[8:9], s[12:13]
; %bb.3786:
	s_mov_b32 s10, 0x7f800001
	s_xor_b64 s[4:5], exec, -1
; %bb.3787:
	s_or_b64 exec, exec, s[8:9]
	s_and_b64 s[4:5], s[4:5], exec
	s_or_saveexec_b64 s[6:7], s[6:7]
	v_mov_b32_e32 v2, s10
	s_xor_b64 exec, exec, s[6:7]
	s_cbranch_execz .LBB57_1738
.LBB57_3788:
	v_mov_b32_e32 v2, 0
	v_cmp_ne_u16_sdwa s[8:9], v3, v2 src0_sel:BYTE_0 src1_sel:DWORD
	s_andn2_b64 s[4:5], s[4:5], exec
	s_and_b64 s[8:9], s[8:9], exec
	s_or_b64 s[4:5], s[4:5], s[8:9]
	s_or_b64 exec, exec, s[6:7]
	s_and_saveexec_b64 s[6:7], s[4:5]
	s_cbranch_execnz .LBB57_1739
	s_branch .LBB57_1740
.LBB57_3789:
	s_movk_i32 s4, 0x80
	v_cmp_eq_u16_sdwa s[12:13], v3, s4 src0_sel:BYTE_0 src1_sel:DWORD
	s_mov_b64 s[4:5], -1
                                        ; implicit-def: $sgpr10
	s_and_saveexec_b64 s[8:9], s[12:13]
; %bb.3790:
	s_mov_b32 s10, 0x7f800001
	s_xor_b64 s[4:5], exec, -1
; %bb.3791:
	s_or_b64 exec, exec, s[8:9]
	s_and_b64 s[4:5], s[4:5], exec
	s_or_saveexec_b64 s[6:7], s[6:7]
	v_mov_b32_e32 v6, s10
	s_xor_b64 exec, exec, s[6:7]
	s_cbranch_execz .LBB57_1742
.LBB57_3792:
	v_mov_b32_e32 v6, 0
	v_cmp_ne_u16_sdwa s[8:9], v3, v6 src0_sel:BYTE_0 src1_sel:DWORD
	s_andn2_b64 s[4:5], s[4:5], exec
	s_and_b64 s[8:9], s[8:9], exec
	s_or_b64 s[4:5], s[4:5], s[8:9]
	s_or_b64 exec, exec, s[6:7]
	s_and_saveexec_b64 s[6:7], s[4:5]
	s_cbranch_execnz .LBB57_1743
	s_branch .LBB57_1744
.LBB57_3793:
	s_movk_i32 s4, 0x80
	v_cmp_eq_u16_e32 vcc, s4, v3
	s_mov_b64 s[4:5], -1
                                        ; implicit-def: $sgpr10
	s_and_saveexec_b64 s[8:9], vcc
; %bb.3794:
	s_mov_b32 s10, 0x7f800001
	s_xor_b64 s[4:5], exec, -1
; %bb.3795:
	s_or_b64 exec, exec, s[8:9]
	s_and_b64 s[4:5], s[4:5], exec
                                        ; implicit-def: $vgpr3
	s_or_saveexec_b64 s[6:7], s[6:7]
	v_mov_b32_e32 v2, s10
	s_xor_b64 exec, exec, s[6:7]
	s_cbranch_execz .LBB57_1746
.LBB57_3796:
	v_cmp_ne_u16_e32 vcc, 0, v3
	s_andn2_b64 s[4:5], s[4:5], exec
	s_and_b64 s[8:9], vcc, exec
	v_mov_b32_e32 v2, 0
	s_or_b64 s[4:5], s[4:5], s[8:9]
	s_or_b64 exec, exec, s[6:7]
	s_and_saveexec_b64 s[6:7], s[4:5]
	s_cbranch_execnz .LBB57_1747
	s_branch .LBB57_1748
.LBB57_3797:
	s_movk_i32 s4, 0x80
	v_cmp_eq_u16_e32 vcc, s4, v3
	s_mov_b64 s[4:5], -1
                                        ; implicit-def: $sgpr10
	s_and_saveexec_b64 s[8:9], vcc
; %bb.3798:
	s_mov_b32 s10, 0x7f800001
	s_xor_b64 s[4:5], exec, -1
; %bb.3799:
	s_or_b64 exec, exec, s[8:9]
	s_and_b64 s[4:5], s[4:5], exec
                                        ; implicit-def: $vgpr3
	s_or_saveexec_b64 s[6:7], s[6:7]
	v_mov_b32_e32 v6, s10
	s_xor_b64 exec, exec, s[6:7]
	s_cbranch_execz .LBB57_1750
.LBB57_3800:
	v_cmp_ne_u16_e32 vcc, 0, v3
	s_andn2_b64 s[4:5], s[4:5], exec
	s_and_b64 s[8:9], vcc, exec
	v_mov_b32_e32 v6, 0
	s_or_b64 s[4:5], s[4:5], s[8:9]
	s_or_b64 exec, exec, s[6:7]
	s_and_saveexec_b64 s[6:7], s[4:5]
	s_cbranch_execnz .LBB57_1751
	s_branch .LBB57_1752
.LBB57_3801:
	s_movk_i32 s4, 0x80
	v_cmp_eq_u16_sdwa s[12:13], v8, s4 src0_sel:BYTE_3 src1_sel:DWORD
	s_mov_b64 s[4:5], -1
                                        ; implicit-def: $sgpr10
	s_and_saveexec_b64 s[8:9], s[12:13]
; %bb.3802:
	s_mov_b32 s10, 0x7f800001
	s_xor_b64 s[4:5], exec, -1
; %bb.3803:
	s_or_b64 exec, exec, s[8:9]
	s_and_b64 s[4:5], s[4:5], exec
	s_or_saveexec_b64 s[6:7], s[6:7]
	v_mov_b32_e32 v2, s10
	s_xor_b64 exec, exec, s[6:7]
	s_cbranch_execz .LBB57_1754
.LBB57_3804:
	v_mov_b32_e32 v2, 0
	v_cmp_ne_u16_sdwa s[8:9], v8, v2 src0_sel:BYTE_3 src1_sel:DWORD
	s_andn2_b64 s[4:5], s[4:5], exec
	s_and_b64 s[8:9], s[8:9], exec
	s_or_b64 s[4:5], s[4:5], s[8:9]
	s_or_b64 exec, exec, s[6:7]
	s_and_saveexec_b64 s[6:7], s[4:5]
	s_cbranch_execnz .LBB57_1755
	s_branch .LBB57_1756
.LBB57_3805:
	s_movk_i32 s4, 0x80
	v_cmp_eq_u16_sdwa s[12:13], v4, s4 src0_sel:BYTE_3 src1_sel:DWORD
	s_mov_b64 s[4:5], -1
                                        ; implicit-def: $sgpr10
	s_and_saveexec_b64 s[8:9], s[12:13]
; %bb.3806:
	s_mov_b32 s10, 0x7f800001
	s_xor_b64 s[4:5], exec, -1
; %bb.3807:
	s_or_b64 exec, exec, s[8:9]
	s_and_b64 s[4:5], s[4:5], exec
	s_or_saveexec_b64 s[6:7], s[6:7]
	v_mov_b32_e32 v3, s10
	s_xor_b64 exec, exec, s[6:7]
	s_cbranch_execz .LBB57_1758
.LBB57_3808:
	v_mov_b32_e32 v3, 0
	v_cmp_ne_u16_sdwa s[8:9], v4, v3 src0_sel:BYTE_3 src1_sel:DWORD
	s_andn2_b64 s[4:5], s[4:5], exec
	s_and_b64 s[8:9], s[8:9], exec
	s_or_b64 s[4:5], s[4:5], s[8:9]
	s_or_b64 exec, exec, s[6:7]
	s_and_saveexec_b64 s[6:7], s[4:5]
	s_cbranch_execnz .LBB57_1759
	s_branch .LBB57_1760
.LBB57_3809:
	s_movk_i32 s4, 0x80
	v_cmp_eq_u16_sdwa s[12:13], v9, s4 src0_sel:BYTE_0 src1_sel:DWORD
	s_mov_b64 s[4:5], -1
                                        ; implicit-def: $sgpr10
	s_and_saveexec_b64 s[8:9], s[12:13]
; %bb.3810:
	s_mov_b32 s10, 0x7f800001
	s_xor_b64 s[4:5], exec, -1
; %bb.3811:
	s_or_b64 exec, exec, s[8:9]
	s_and_b64 s[4:5], s[4:5], exec
	s_or_saveexec_b64 s[6:7], s[6:7]
	v_mov_b32_e32 v2, s10
	s_xor_b64 exec, exec, s[6:7]
	s_cbranch_execz .LBB57_1762
.LBB57_3812:
	v_mov_b32_e32 v2, 0
	v_cmp_ne_u16_sdwa s[8:9], v9, v2 src0_sel:BYTE_0 src1_sel:DWORD
	s_andn2_b64 s[4:5], s[4:5], exec
	s_and_b64 s[8:9], s[8:9], exec
	s_or_b64 s[4:5], s[4:5], s[8:9]
	s_or_b64 exec, exec, s[6:7]
	s_and_saveexec_b64 s[6:7], s[4:5]
	s_cbranch_execnz .LBB57_1763
	s_branch .LBB57_1764
.LBB57_3813:
	s_movk_i32 s4, 0x80
	v_cmp_eq_u16_sdwa s[12:13], v5, s4 src0_sel:BYTE_0 src1_sel:DWORD
	s_mov_b64 s[4:5], -1
                                        ; implicit-def: $sgpr10
	s_and_saveexec_b64 s[8:9], s[12:13]
; %bb.3814:
	s_mov_b32 s10, 0x7f800001
	s_xor_b64 s[4:5], exec, -1
; %bb.3815:
	s_or_b64 exec, exec, s[8:9]
	s_and_b64 s[4:5], s[4:5], exec
	s_or_saveexec_b64 s[6:7], s[6:7]
	v_mov_b32_e32 v3, s10
	s_xor_b64 exec, exec, s[6:7]
	s_cbranch_execz .LBB57_1766
.LBB57_3816:
	v_mov_b32_e32 v3, 0
	v_cmp_ne_u16_sdwa s[8:9], v5, v3 src0_sel:BYTE_0 src1_sel:DWORD
	s_andn2_b64 s[4:5], s[4:5], exec
	s_and_b64 s[8:9], s[8:9], exec
	s_or_b64 s[4:5], s[4:5], s[8:9]
	s_or_b64 exec, exec, s[6:7]
	s_and_saveexec_b64 s[6:7], s[4:5]
	s_cbranch_execnz .LBB57_1767
	s_branch .LBB57_1768
.LBB57_3817:
	s_movk_i32 s4, 0x80
	v_cmp_eq_u16_sdwa s[12:13], v3, s4 src0_sel:BYTE_0 src1_sel:DWORD
	s_mov_b64 s[4:5], -1
                                        ; implicit-def: $sgpr10
	s_and_saveexec_b64 s[8:9], s[12:13]
; %bb.3818:
	s_mov_b32 s10, 0x7f800001
	s_xor_b64 s[4:5], exec, -1
; %bb.3819:
	s_or_b64 exec, exec, s[8:9]
	s_and_b64 s[4:5], s[4:5], exec
	s_or_saveexec_b64 s[6:7], s[6:7]
	v_mov_b32_e32 v2, s10
	s_xor_b64 exec, exec, s[6:7]
	s_cbranch_execz .LBB57_1770
.LBB57_3820:
	v_mov_b32_e32 v2, 0
	v_cmp_ne_u16_sdwa s[8:9], v3, v2 src0_sel:BYTE_0 src1_sel:DWORD
	s_andn2_b64 s[4:5], s[4:5], exec
	s_and_b64 s[8:9], s[8:9], exec
	s_or_b64 s[4:5], s[4:5], s[8:9]
	s_or_b64 exec, exec, s[6:7]
	s_and_saveexec_b64 s[6:7], s[4:5]
	s_cbranch_execnz .LBB57_1771
	s_branch .LBB57_1772
.LBB57_3821:
	s_movk_i32 s4, 0x80
	v_cmp_eq_u16_sdwa s[12:13], v3, s4 src0_sel:BYTE_0 src1_sel:DWORD
	s_mov_b64 s[4:5], -1
                                        ; implicit-def: $sgpr10
	s_and_saveexec_b64 s[8:9], s[12:13]
; %bb.3822:
	s_mov_b32 s10, 0x7f800001
	s_xor_b64 s[4:5], exec, -1
; %bb.3823:
	s_or_b64 exec, exec, s[8:9]
	s_and_b64 s[4:5], s[4:5], exec
	s_or_saveexec_b64 s[6:7], s[6:7]
	v_mov_b32_e32 v4, s10
	s_xor_b64 exec, exec, s[6:7]
	s_cbranch_execz .LBB57_1774
.LBB57_3824:
	v_mov_b32_e32 v4, 0
	v_cmp_ne_u16_sdwa s[8:9], v3, v4 src0_sel:BYTE_0 src1_sel:DWORD
	s_andn2_b64 s[4:5], s[4:5], exec
	s_and_b64 s[8:9], s[8:9], exec
	s_or_b64 s[4:5], s[4:5], s[8:9]
	s_or_b64 exec, exec, s[6:7]
	s_and_saveexec_b64 s[6:7], s[4:5]
	s_cbranch_execnz .LBB57_1775
	s_branch .LBB57_1776
.LBB57_3825:
	s_movk_i32 s4, 0x80
	v_cmp_eq_u16_e32 vcc, s4, v3
	s_mov_b64 s[4:5], -1
                                        ; implicit-def: $sgpr10
	s_and_saveexec_b64 s[8:9], vcc
; %bb.3826:
	s_mov_b32 s10, 0x7f800001
	s_xor_b64 s[4:5], exec, -1
; %bb.3827:
	s_or_b64 exec, exec, s[8:9]
	s_and_b64 s[4:5], s[4:5], exec
                                        ; implicit-def: $vgpr3
	s_or_saveexec_b64 s[6:7], s[6:7]
	v_mov_b32_e32 v2, s10
	s_xor_b64 exec, exec, s[6:7]
	s_cbranch_execz .LBB57_1778
.LBB57_3828:
	v_cmp_ne_u16_e32 vcc, 0, v3
	s_andn2_b64 s[4:5], s[4:5], exec
	s_and_b64 s[8:9], vcc, exec
	v_mov_b32_e32 v2, 0
	s_or_b64 s[4:5], s[4:5], s[8:9]
	s_or_b64 exec, exec, s[6:7]
	s_and_saveexec_b64 s[6:7], s[4:5]
	s_cbranch_execnz .LBB57_1779
	s_branch .LBB57_1780
.LBB57_3829:
	s_movk_i32 s4, 0x80
	v_cmp_eq_u16_e32 vcc, s4, v3
	s_mov_b64 s[4:5], -1
                                        ; implicit-def: $sgpr10
	s_and_saveexec_b64 s[8:9], vcc
; %bb.3830:
	s_mov_b32 s10, 0x7f800001
	s_xor_b64 s[4:5], exec, -1
; %bb.3831:
	s_or_b64 exec, exec, s[8:9]
	s_and_b64 s[4:5], s[4:5], exec
                                        ; implicit-def: $vgpr3
	s_or_saveexec_b64 s[6:7], s[6:7]
	v_mov_b32_e32 v4, s10
	s_xor_b64 exec, exec, s[6:7]
	s_cbranch_execz .LBB57_1782
.LBB57_3832:
	v_cmp_ne_u16_e32 vcc, 0, v3
	s_andn2_b64 s[4:5], s[4:5], exec
	s_and_b64 s[8:9], vcc, exec
	v_mov_b32_e32 v4, 0
	s_or_b64 s[4:5], s[4:5], s[8:9]
	s_or_b64 exec, exec, s[6:7]
	s_and_saveexec_b64 s[6:7], s[4:5]
	s_cbranch_execnz .LBB57_1783
	s_branch .LBB57_1784
.LBB57_3833:
	s_movk_i32 s4, 0x80
	v_cmp_eq_u16_sdwa s[12:13], v9, s4 src0_sel:BYTE_3 src1_sel:DWORD
	s_mov_b64 s[4:5], -1
                                        ; implicit-def: $sgpr10
	s_and_saveexec_b64 s[8:9], s[12:13]
; %bb.3834:
	s_mov_b32 s10, 0x7f800001
	s_xor_b64 s[4:5], exec, -1
; %bb.3835:
	s_or_b64 exec, exec, s[8:9]
	s_and_b64 s[4:5], s[4:5], exec
	s_or_saveexec_b64 s[6:7], s[6:7]
	v_mov_b32_e32 v2, s10
	s_xor_b64 exec, exec, s[6:7]
	s_cbranch_execz .LBB57_1786
.LBB57_3836:
	v_mov_b32_e32 v2, 0
	v_cmp_ne_u16_sdwa s[8:9], v9, v2 src0_sel:BYTE_3 src1_sel:DWORD
	s_andn2_b64 s[4:5], s[4:5], exec
	s_and_b64 s[8:9], s[8:9], exec
	s_or_b64 s[4:5], s[4:5], s[8:9]
	s_or_b64 exec, exec, s[6:7]
	s_and_saveexec_b64 s[6:7], s[4:5]
	s_cbranch_execnz .LBB57_1787
	s_branch .LBB57_1788
.LBB57_3837:
	s_movk_i32 s4, 0x80
	v_cmp_eq_u16_sdwa s[12:13], v5, s4 src0_sel:BYTE_3 src1_sel:DWORD
	s_mov_b64 s[4:5], -1
                                        ; implicit-def: $sgpr10
	s_and_saveexec_b64 s[8:9], s[12:13]
; %bb.3838:
	s_mov_b32 s10, 0x7f800001
	s_xor_b64 s[4:5], exec, -1
; %bb.3839:
	s_or_b64 exec, exec, s[8:9]
	s_and_b64 s[4:5], s[4:5], exec
	s_or_saveexec_b64 s[6:7], s[6:7]
	v_mov_b32_e32 v3, s10
	s_xor_b64 exec, exec, s[6:7]
	s_cbranch_execz .LBB57_1790
.LBB57_3840:
	v_mov_b32_e32 v3, 0
	v_cmp_ne_u16_sdwa s[8:9], v5, v3 src0_sel:BYTE_3 src1_sel:DWORD
	s_andn2_b64 s[4:5], s[4:5], exec
	s_and_b64 s[8:9], s[8:9], exec
	s_or_b64 s[4:5], s[4:5], s[8:9]
	s_or_b64 exec, exec, s[6:7]
	s_and_saveexec_b64 s[6:7], s[4:5]
	s_cbranch_execnz .LBB57_1791
	s_branch .LBB57_1792
.LBB57_3841:
	s_movk_i32 s4, 0x80
	v_cmp_eq_u16_sdwa s[12:13], v12, s4 src0_sel:BYTE_0 src1_sel:DWORD
	s_mov_b64 s[4:5], -1
                                        ; implicit-def: $sgpr10
	s_and_saveexec_b64 s[8:9], s[12:13]
; %bb.3842:
	s_mov_b32 s10, 0x7f800001
	s_xor_b64 s[4:5], exec, -1
; %bb.3843:
	s_or_b64 exec, exec, s[8:9]
	s_and_b64 s[4:5], s[4:5], exec
	s_or_saveexec_b64 s[6:7], s[6:7]
	v_mov_b32_e32 v18, s10
	s_xor_b64 exec, exec, s[6:7]
	s_cbranch_execz .LBB57_1794
.LBB57_3844:
	v_mov_b32_e32 v18, 0
	v_cmp_ne_u16_sdwa s[8:9], v12, v18 src0_sel:BYTE_0 src1_sel:DWORD
	s_andn2_b64 s[4:5], s[4:5], exec
	s_and_b64 s[8:9], s[8:9], exec
	s_or_b64 s[4:5], s[4:5], s[8:9]
	s_or_b64 exec, exec, s[6:7]
	s_and_saveexec_b64 s[6:7], s[4:5]
	s_cbranch_execnz .LBB57_1795
	s_branch .LBB57_1796
.LBB57_3845:
	s_movk_i32 s4, 0x80
	v_cmp_eq_u16_sdwa s[12:13], v8, s4 src0_sel:BYTE_0 src1_sel:DWORD
	s_mov_b64 s[4:5], -1
                                        ; implicit-def: $sgpr10
	s_and_saveexec_b64 s[8:9], s[12:13]
; %bb.3846:
	s_mov_b32 s10, 0x7f800001
	s_xor_b64 s[4:5], exec, -1
; %bb.3847:
	s_or_b64 exec, exec, s[8:9]
	s_and_b64 s[4:5], s[4:5], exec
	s_or_saveexec_b64 s[6:7], s[6:7]
	v_mov_b32_e32 v19, s10
	s_xor_b64 exec, exec, s[6:7]
	s_cbranch_execz .LBB57_1798
.LBB57_3848:
	v_mov_b32_e32 v19, 0
	v_cmp_ne_u16_sdwa s[8:9], v8, v19 src0_sel:BYTE_0 src1_sel:DWORD
	s_andn2_b64 s[4:5], s[4:5], exec
	s_and_b64 s[8:9], s[8:9], exec
	s_or_b64 s[4:5], s[4:5], s[8:9]
	s_or_b64 exec, exec, s[6:7]
	s_and_saveexec_b64 s[6:7], s[4:5]
	s_cbranch_execnz .LBB57_1799
	s_branch .LBB57_1800
.LBB57_3849:
	s_movk_i32 s4, 0x80
	v_cmp_eq_u16_sdwa s[12:13], v19, s4 src0_sel:BYTE_0 src1_sel:DWORD
	s_mov_b64 s[4:5], -1
                                        ; implicit-def: $sgpr10
	s_and_saveexec_b64 s[8:9], s[12:13]
; %bb.3850:
	s_mov_b32 s10, 0x7f800001
	s_xor_b64 s[4:5], exec, -1
; %bb.3851:
	s_or_b64 exec, exec, s[8:9]
	s_and_b64 s[4:5], s[4:5], exec
	s_or_saveexec_b64 s[6:7], s[6:7]
	v_mov_b32_e32 v18, s10
	s_xor_b64 exec, exec, s[6:7]
	s_cbranch_execz .LBB57_1802
.LBB57_3852:
	v_mov_b32_e32 v18, 0
	v_cmp_ne_u16_sdwa s[8:9], v19, v18 src0_sel:BYTE_0 src1_sel:DWORD
	s_andn2_b64 s[4:5], s[4:5], exec
	s_and_b64 s[8:9], s[8:9], exec
	s_or_b64 s[4:5], s[4:5], s[8:9]
	s_or_b64 exec, exec, s[6:7]
	s_and_saveexec_b64 s[6:7], s[4:5]
	s_cbranch_execnz .LBB57_1803
	s_branch .LBB57_1804
.LBB57_3853:
	s_movk_i32 s4, 0x80
	v_cmp_eq_u16_sdwa s[12:13], v19, s4 src0_sel:BYTE_0 src1_sel:DWORD
	s_mov_b64 s[4:5], -1
                                        ; implicit-def: $sgpr10
	s_and_saveexec_b64 s[8:9], s[12:13]
; %bb.3854:
	s_mov_b32 s10, 0x7f800001
	s_xor_b64 s[4:5], exec, -1
; %bb.3855:
	s_or_b64 exec, exec, s[8:9]
	s_and_b64 s[4:5], s[4:5], exec
	s_or_saveexec_b64 s[6:7], s[6:7]
	v_mov_b32_e32 v20, s10
	s_xor_b64 exec, exec, s[6:7]
	s_cbranch_execz .LBB57_1806
.LBB57_3856:
	v_mov_b32_e32 v20, 0
	v_cmp_ne_u16_sdwa s[8:9], v19, v20 src0_sel:BYTE_0 src1_sel:DWORD
	s_andn2_b64 s[4:5], s[4:5], exec
	s_and_b64 s[8:9], s[8:9], exec
	s_or_b64 s[4:5], s[4:5], s[8:9]
	s_or_b64 exec, exec, s[6:7]
	s_and_saveexec_b64 s[6:7], s[4:5]
	s_cbranch_execnz .LBB57_1807
	s_branch .LBB57_1808
.LBB57_3857:
	s_movk_i32 s4, 0x80
	v_cmp_eq_u16_e32 vcc, s4, v19
	s_mov_b64 s[4:5], -1
                                        ; implicit-def: $sgpr10
	s_and_saveexec_b64 s[8:9], vcc
; %bb.3858:
	s_mov_b32 s10, 0x7f800001
	s_xor_b64 s[4:5], exec, -1
; %bb.3859:
	s_or_b64 exec, exec, s[8:9]
	s_and_b64 s[4:5], s[4:5], exec
                                        ; implicit-def: $vgpr19
	s_or_saveexec_b64 s[6:7], s[6:7]
	v_mov_b32_e32 v18, s10
	s_xor_b64 exec, exec, s[6:7]
	s_cbranch_execz .LBB57_1810
.LBB57_3860:
	v_cmp_ne_u16_e32 vcc, 0, v19
	s_andn2_b64 s[4:5], s[4:5], exec
	s_and_b64 s[8:9], vcc, exec
	v_mov_b32_e32 v18, 0
	s_or_b64 s[4:5], s[4:5], s[8:9]
	s_or_b64 exec, exec, s[6:7]
	s_and_saveexec_b64 s[6:7], s[4:5]
	s_cbranch_execnz .LBB57_1811
	s_branch .LBB57_1812
.LBB57_3861:
	s_movk_i32 s4, 0x80
	v_cmp_eq_u16_e32 vcc, s4, v19
	s_mov_b64 s[4:5], -1
                                        ; implicit-def: $sgpr10
	s_and_saveexec_b64 s[8:9], vcc
; %bb.3862:
	s_mov_b32 s10, 0x7f800001
	s_xor_b64 s[4:5], exec, -1
; %bb.3863:
	s_or_b64 exec, exec, s[8:9]
	s_and_b64 s[4:5], s[4:5], exec
                                        ; implicit-def: $vgpr19
	s_or_saveexec_b64 s[6:7], s[6:7]
	v_mov_b32_e32 v20, s10
	s_xor_b64 exec, exec, s[6:7]
	s_cbranch_execz .LBB57_1814
.LBB57_3864:
	v_cmp_ne_u16_e32 vcc, 0, v19
	s_andn2_b64 s[4:5], s[4:5], exec
	s_and_b64 s[8:9], vcc, exec
	v_mov_b32_e32 v20, 0
	s_or_b64 s[4:5], s[4:5], s[8:9]
	s_or_b64 exec, exec, s[6:7]
	s_and_saveexec_b64 s[6:7], s[4:5]
	s_cbranch_execnz .LBB57_1815
	s_branch .LBB57_1816
.LBB57_3865:
	s_movk_i32 s4, 0x80
	v_cmp_eq_u16_sdwa s[12:13], v12, s4 src0_sel:BYTE_3 src1_sel:DWORD
	s_mov_b64 s[4:5], -1
                                        ; implicit-def: $sgpr10
	s_and_saveexec_b64 s[8:9], s[12:13]
; %bb.3866:
	s_mov_b32 s10, 0x7f800001
	s_xor_b64 s[4:5], exec, -1
; %bb.3867:
	s_or_b64 exec, exec, s[8:9]
	s_and_b64 s[4:5], s[4:5], exec
	s_or_saveexec_b64 s[6:7], s[6:7]
	v_mov_b32_e32 v18, s10
	s_xor_b64 exec, exec, s[6:7]
	s_cbranch_execz .LBB57_1818
.LBB57_3868:
	v_mov_b32_e32 v18, 0
	v_cmp_ne_u16_sdwa s[8:9], v12, v18 src0_sel:BYTE_3 src1_sel:DWORD
	s_andn2_b64 s[4:5], s[4:5], exec
	s_and_b64 s[8:9], s[8:9], exec
	s_or_b64 s[4:5], s[4:5], s[8:9]
	s_or_b64 exec, exec, s[6:7]
	s_and_saveexec_b64 s[6:7], s[4:5]
	s_cbranch_execnz .LBB57_1819
	s_branch .LBB57_1820
.LBB57_3869:
	s_movk_i32 s4, 0x80
	v_cmp_eq_u16_sdwa s[12:13], v8, s4 src0_sel:BYTE_3 src1_sel:DWORD
	s_mov_b64 s[4:5], -1
                                        ; implicit-def: $sgpr10
	s_and_saveexec_b64 s[8:9], s[12:13]
; %bb.3870:
	s_mov_b32 s10, 0x7f800001
	s_xor_b64 s[4:5], exec, -1
; %bb.3871:
	s_or_b64 exec, exec, s[8:9]
	s_and_b64 s[4:5], s[4:5], exec
	s_or_saveexec_b64 s[6:7], s[6:7]
	v_mov_b32_e32 v12, s10
	s_xor_b64 exec, exec, s[6:7]
	s_cbranch_execz .LBB57_1822
.LBB57_3872:
	v_mov_b32_e32 v12, 0
	v_cmp_ne_u16_sdwa s[8:9], v8, v12 src0_sel:BYTE_3 src1_sel:DWORD
	s_andn2_b64 s[4:5], s[4:5], exec
	s_and_b64 s[8:9], s[8:9], exec
	s_or_b64 s[4:5], s[4:5], s[8:9]
	s_or_b64 exec, exec, s[6:7]
	s_and_saveexec_b64 s[6:7], s[4:5]
	s_cbranch_execnz .LBB57_1823
	s_branch .LBB57_1824
.LBB57_3873:
	s_movk_i32 s4, 0x80
	v_cmp_eq_u16_sdwa s[12:13], v13, s4 src0_sel:BYTE_0 src1_sel:DWORD
	s_mov_b64 s[4:5], -1
                                        ; implicit-def: $sgpr10
	s_and_saveexec_b64 s[8:9], s[12:13]
; %bb.3874:
	s_mov_b32 s10, 0x7f800001
	s_xor_b64 s[4:5], exec, -1
; %bb.3875:
	s_or_b64 exec, exec, s[8:9]
	s_and_b64 s[4:5], s[4:5], exec
	s_or_saveexec_b64 s[6:7], s[6:7]
	v_mov_b32_e32 v8, s10
	s_xor_b64 exec, exec, s[6:7]
	s_cbranch_execz .LBB57_1826
.LBB57_3876:
	v_mov_b32_e32 v8, 0
	v_cmp_ne_u16_sdwa s[8:9], v13, v8 src0_sel:BYTE_0 src1_sel:DWORD
	s_andn2_b64 s[4:5], s[4:5], exec
	s_and_b64 s[8:9], s[8:9], exec
	s_or_b64 s[4:5], s[4:5], s[8:9]
	s_or_b64 exec, exec, s[6:7]
	s_and_saveexec_b64 s[6:7], s[4:5]
	s_cbranch_execnz .LBB57_1827
	s_branch .LBB57_1828
.LBB57_3877:
	s_movk_i32 s4, 0x80
	v_cmp_eq_u16_sdwa s[12:13], v9, s4 src0_sel:BYTE_0 src1_sel:DWORD
	s_mov_b64 s[4:5], -1
                                        ; implicit-def: $sgpr10
	s_and_saveexec_b64 s[8:9], s[12:13]
; %bb.3878:
	s_mov_b32 s10, 0x7f800001
	s_xor_b64 s[4:5], exec, -1
; %bb.3879:
	s_or_b64 exec, exec, s[8:9]
	s_and_b64 s[4:5], s[4:5], exec
	s_or_saveexec_b64 s[6:7], s[6:7]
	v_mov_b32_e32 v12, s10
	s_xor_b64 exec, exec, s[6:7]
	s_cbranch_execz .LBB57_1830
.LBB57_3880:
	v_mov_b32_e32 v12, 0
	v_cmp_ne_u16_sdwa s[8:9], v9, v12 src0_sel:BYTE_0 src1_sel:DWORD
	s_andn2_b64 s[4:5], s[4:5], exec
	s_and_b64 s[8:9], s[8:9], exec
	s_or_b64 s[4:5], s[4:5], s[8:9]
	s_or_b64 exec, exec, s[6:7]
	s_and_saveexec_b64 s[6:7], s[4:5]
	s_cbranch_execnz .LBB57_1831
	s_branch .LBB57_1832
.LBB57_3881:
	s_movk_i32 s4, 0x80
	v_cmp_eq_u16_sdwa s[12:13], v12, s4 src0_sel:BYTE_0 src1_sel:DWORD
	s_mov_b64 s[4:5], -1
                                        ; implicit-def: $sgpr10
	s_and_saveexec_b64 s[8:9], s[12:13]
; %bb.3882:
	s_mov_b32 s10, 0x7f800001
	s_xor_b64 s[4:5], exec, -1
; %bb.3883:
	s_or_b64 exec, exec, s[8:9]
	s_and_b64 s[4:5], s[4:5], exec
	s_or_saveexec_b64 s[6:7], s[6:7]
	v_mov_b32_e32 v8, s10
	s_xor_b64 exec, exec, s[6:7]
	s_cbranch_execz .LBB57_1834
.LBB57_3884:
	v_mov_b32_e32 v8, 0
	v_cmp_ne_u16_sdwa s[8:9], v12, v8 src0_sel:BYTE_0 src1_sel:DWORD
	s_andn2_b64 s[4:5], s[4:5], exec
	s_and_b64 s[8:9], s[8:9], exec
	s_or_b64 s[4:5], s[4:5], s[8:9]
	s_or_b64 exec, exec, s[6:7]
	s_and_saveexec_b64 s[6:7], s[4:5]
	s_cbranch_execnz .LBB57_1835
	s_branch .LBB57_1836
.LBB57_3885:
	s_movk_i32 s4, 0x80
	v_cmp_eq_u16_sdwa s[12:13], v12, s4 src0_sel:BYTE_0 src1_sel:DWORD
	s_mov_b64 s[4:5], -1
                                        ; implicit-def: $sgpr10
	s_and_saveexec_b64 s[8:9], s[12:13]
; %bb.3886:
	s_mov_b32 s10, 0x7f800001
	s_xor_b64 s[4:5], exec, -1
; %bb.3887:
	s_or_b64 exec, exec, s[8:9]
	s_and_b64 s[4:5], s[4:5], exec
	s_or_saveexec_b64 s[6:7], s[6:7]
	v_mov_b32_e32 v18, s10
	s_xor_b64 exec, exec, s[6:7]
	s_cbranch_execz .LBB57_1838
.LBB57_3888:
	v_mov_b32_e32 v18, 0
	v_cmp_ne_u16_sdwa s[8:9], v12, v18 src0_sel:BYTE_0 src1_sel:DWORD
	s_andn2_b64 s[4:5], s[4:5], exec
	s_and_b64 s[8:9], s[8:9], exec
	s_or_b64 s[4:5], s[4:5], s[8:9]
	s_or_b64 exec, exec, s[6:7]
	s_and_saveexec_b64 s[6:7], s[4:5]
	s_cbranch_execnz .LBB57_1839
	s_branch .LBB57_1840
.LBB57_3889:
	s_movk_i32 s4, 0x80
	v_cmp_eq_u16_e32 vcc, s4, v12
	s_mov_b64 s[4:5], -1
                                        ; implicit-def: $sgpr10
	s_and_saveexec_b64 s[8:9], vcc
; %bb.3890:
	s_mov_b32 s10, 0x7f800001
	s_xor_b64 s[4:5], exec, -1
; %bb.3891:
	s_or_b64 exec, exec, s[8:9]
	s_and_b64 s[4:5], s[4:5], exec
                                        ; implicit-def: $vgpr12
	s_or_saveexec_b64 s[6:7], s[6:7]
	v_mov_b32_e32 v8, s10
	s_xor_b64 exec, exec, s[6:7]
	s_cbranch_execz .LBB57_1842
.LBB57_3892:
	v_cmp_ne_u16_e32 vcc, 0, v12
	s_andn2_b64 s[4:5], s[4:5], exec
	s_and_b64 s[8:9], vcc, exec
	v_mov_b32_e32 v8, 0
	s_or_b64 s[4:5], s[4:5], s[8:9]
	s_or_b64 exec, exec, s[6:7]
	s_and_saveexec_b64 s[6:7], s[4:5]
	s_cbranch_execnz .LBB57_1843
	s_branch .LBB57_1844
.LBB57_3893:
	s_movk_i32 s4, 0x80
	v_cmp_eq_u16_e32 vcc, s4, v12
	s_mov_b64 s[4:5], -1
                                        ; implicit-def: $sgpr10
	s_and_saveexec_b64 s[8:9], vcc
; %bb.3894:
	s_mov_b32 s10, 0x7f800001
	s_xor_b64 s[4:5], exec, -1
; %bb.3895:
	s_or_b64 exec, exec, s[8:9]
	s_and_b64 s[4:5], s[4:5], exec
                                        ; implicit-def: $vgpr12
	s_or_saveexec_b64 s[6:7], s[6:7]
	v_mov_b32_e32 v18, s10
	s_xor_b64 exec, exec, s[6:7]
	s_cbranch_execz .LBB57_1846
.LBB57_3896:
	v_cmp_ne_u16_e32 vcc, 0, v12
	s_andn2_b64 s[4:5], s[4:5], exec
	s_and_b64 s[8:9], vcc, exec
	v_mov_b32_e32 v18, 0
	s_or_b64 s[4:5], s[4:5], s[8:9]
	s_or_b64 exec, exec, s[6:7]
	s_and_saveexec_b64 s[6:7], s[4:5]
	s_cbranch_execnz .LBB57_1847
	s_branch .LBB57_1848
.LBB57_3897:
	s_movk_i32 s4, 0x80
	v_cmp_eq_u16_sdwa s[12:13], v13, s4 src0_sel:BYTE_3 src1_sel:DWORD
	s_mov_b64 s[4:5], -1
                                        ; implicit-def: $sgpr10
	s_and_saveexec_b64 s[8:9], s[12:13]
; %bb.3898:
	s_mov_b32 s10, 0x7f800001
	s_xor_b64 s[4:5], exec, -1
; %bb.3899:
	s_or_b64 exec, exec, s[8:9]
	s_and_b64 s[4:5], s[4:5], exec
	s_or_saveexec_b64 s[6:7], s[6:7]
	v_mov_b32_e32 v8, s10
	s_xor_b64 exec, exec, s[6:7]
	s_cbranch_execz .LBB57_1850
.LBB57_3900:
	v_mov_b32_e32 v8, 0
	v_cmp_ne_u16_sdwa s[8:9], v13, v8 src0_sel:BYTE_3 src1_sel:DWORD
	s_andn2_b64 s[4:5], s[4:5], exec
	s_and_b64 s[8:9], s[8:9], exec
	s_or_b64 s[4:5], s[4:5], s[8:9]
	s_or_b64 exec, exec, s[6:7]
	s_and_saveexec_b64 s[6:7], s[4:5]
	s_cbranch_execnz .LBB57_1851
	s_branch .LBB57_1852
.LBB57_3901:
	s_movk_i32 s4, 0x80
	v_cmp_eq_u16_sdwa s[12:13], v9, s4 src0_sel:BYTE_3 src1_sel:DWORD
	s_mov_b64 s[4:5], -1
                                        ; implicit-def: $sgpr10
	s_and_saveexec_b64 s[8:9], s[12:13]
; %bb.3902:
	s_mov_b32 s10, 0x7f800001
	s_xor_b64 s[4:5], exec, -1
; %bb.3903:
	s_or_b64 exec, exec, s[8:9]
	s_and_b64 s[4:5], s[4:5], exec
	s_or_saveexec_b64 s[6:7], s[6:7]
	v_mov_b32_e32 v12, s10
	s_xor_b64 exec, exec, s[6:7]
	s_cbranch_execz .LBB57_1854
.LBB57_3904:
	v_mov_b32_e32 v12, 0
	v_cmp_ne_u16_sdwa s[8:9], v9, v12 src0_sel:BYTE_3 src1_sel:DWORD
	s_andn2_b64 s[4:5], s[4:5], exec
	s_and_b64 s[8:9], s[8:9], exec
	s_or_b64 s[4:5], s[4:5], s[8:9]
	s_or_b64 exec, exec, s[6:7]
	s_and_saveexec_b64 s[6:7], s[4:5]
	s_cbranch_execnz .LBB57_1855
	s_branch .LBB57_1856
.LBB57_3905:
	s_movk_i32 s4, 0x80
	v_cmp_eq_u16_sdwa s[12:13], v14, s4 src0_sel:BYTE_0 src1_sel:DWORD
	s_mov_b64 s[4:5], -1
                                        ; implicit-def: $sgpr10
	s_and_saveexec_b64 s[8:9], s[12:13]
; %bb.3906:
	s_mov_b32 s10, 0x7f800001
	s_xor_b64 s[4:5], exec, -1
; %bb.3907:
	s_or_b64 exec, exec, s[8:9]
	s_and_b64 s[4:5], s[4:5], exec
	s_or_saveexec_b64 s[6:7], s[6:7]
	v_mov_b32_e32 v8, s10
	s_xor_b64 exec, exec, s[6:7]
	s_cbranch_execz .LBB57_1858
.LBB57_3908:
	v_mov_b32_e32 v8, 0
	v_cmp_ne_u16_sdwa s[8:9], v14, v8 src0_sel:BYTE_0 src1_sel:DWORD
	s_andn2_b64 s[4:5], s[4:5], exec
	s_and_b64 s[8:9], s[8:9], exec
	s_or_b64 s[4:5], s[4:5], s[8:9]
	s_or_b64 exec, exec, s[6:7]
	s_and_saveexec_b64 s[6:7], s[4:5]
	s_cbranch_execnz .LBB57_1859
	s_branch .LBB57_1860
.LBB57_3909:
	s_movk_i32 s4, 0x80
	v_cmp_eq_u16_sdwa s[12:13], v10, s4 src0_sel:BYTE_0 src1_sel:DWORD
	s_mov_b64 s[4:5], -1
                                        ; implicit-def: $sgpr10
	s_and_saveexec_b64 s[8:9], s[12:13]
; %bb.3910:
	s_mov_b32 s10, 0x7f800001
	s_xor_b64 s[4:5], exec, -1
; %bb.3911:
	s_or_b64 exec, exec, s[8:9]
	s_and_b64 s[4:5], s[4:5], exec
	s_or_saveexec_b64 s[6:7], s[6:7]
	v_mov_b32_e32 v9, s10
	s_xor_b64 exec, exec, s[6:7]
	s_cbranch_execz .LBB57_1862
.LBB57_3912:
	v_mov_b32_e32 v9, 0
	v_cmp_ne_u16_sdwa s[8:9], v10, v9 src0_sel:BYTE_0 src1_sel:DWORD
	s_andn2_b64 s[4:5], s[4:5], exec
	s_and_b64 s[8:9], s[8:9], exec
	s_or_b64 s[4:5], s[4:5], s[8:9]
	s_or_b64 exec, exec, s[6:7]
	s_and_saveexec_b64 s[6:7], s[4:5]
	s_cbranch_execnz .LBB57_1863
	s_branch .LBB57_1864
.LBB57_3913:
	s_movk_i32 s4, 0x80
	v_cmp_eq_u16_sdwa s[12:13], v9, s4 src0_sel:BYTE_0 src1_sel:DWORD
	s_mov_b64 s[4:5], -1
                                        ; implicit-def: $sgpr10
	s_and_saveexec_b64 s[8:9], s[12:13]
; %bb.3914:
	s_mov_b32 s10, 0x7f800001
	s_xor_b64 s[4:5], exec, -1
; %bb.3915:
	s_or_b64 exec, exec, s[8:9]
	s_and_b64 s[4:5], s[4:5], exec
	s_or_saveexec_b64 s[6:7], s[6:7]
	v_mov_b32_e32 v8, s10
	s_xor_b64 exec, exec, s[6:7]
	s_cbranch_execz .LBB57_1866
.LBB57_3916:
	v_mov_b32_e32 v8, 0
	v_cmp_ne_u16_sdwa s[8:9], v9, v8 src0_sel:BYTE_0 src1_sel:DWORD
	s_andn2_b64 s[4:5], s[4:5], exec
	s_and_b64 s[8:9], s[8:9], exec
	s_or_b64 s[4:5], s[4:5], s[8:9]
	s_or_b64 exec, exec, s[6:7]
	s_and_saveexec_b64 s[6:7], s[4:5]
	s_cbranch_execnz .LBB57_1867
	s_branch .LBB57_1868
.LBB57_3917:
	s_movk_i32 s4, 0x80
	v_cmp_eq_u16_sdwa s[12:13], v9, s4 src0_sel:BYTE_0 src1_sel:DWORD
	s_mov_b64 s[4:5], -1
                                        ; implicit-def: $sgpr10
	s_and_saveexec_b64 s[8:9], s[12:13]
; %bb.3918:
	s_mov_b32 s10, 0x7f800001
	s_xor_b64 s[4:5], exec, -1
; %bb.3919:
	s_or_b64 exec, exec, s[8:9]
	s_and_b64 s[4:5], s[4:5], exec
	s_or_saveexec_b64 s[6:7], s[6:7]
	v_mov_b32_e32 v12, s10
	s_xor_b64 exec, exec, s[6:7]
	s_cbranch_execz .LBB57_1870
.LBB57_3920:
	v_mov_b32_e32 v12, 0
	v_cmp_ne_u16_sdwa s[8:9], v9, v12 src0_sel:BYTE_0 src1_sel:DWORD
	s_andn2_b64 s[4:5], s[4:5], exec
	s_and_b64 s[8:9], s[8:9], exec
	s_or_b64 s[4:5], s[4:5], s[8:9]
	s_or_b64 exec, exec, s[6:7]
	s_and_saveexec_b64 s[6:7], s[4:5]
	s_cbranch_execnz .LBB57_1871
	s_branch .LBB57_1872
.LBB57_3921:
	s_movk_i32 s4, 0x80
	v_cmp_eq_u16_e32 vcc, s4, v9
	s_mov_b64 s[4:5], -1
                                        ; implicit-def: $sgpr10
	s_and_saveexec_b64 s[8:9], vcc
; %bb.3922:
	s_mov_b32 s10, 0x7f800001
	s_xor_b64 s[4:5], exec, -1
; %bb.3923:
	s_or_b64 exec, exec, s[8:9]
	s_and_b64 s[4:5], s[4:5], exec
                                        ; implicit-def: $vgpr9
	s_or_saveexec_b64 s[6:7], s[6:7]
	v_mov_b32_e32 v8, s10
	s_xor_b64 exec, exec, s[6:7]
	s_cbranch_execz .LBB57_1874
.LBB57_3924:
	v_cmp_ne_u16_e32 vcc, 0, v9
	s_andn2_b64 s[4:5], s[4:5], exec
	s_and_b64 s[8:9], vcc, exec
	v_mov_b32_e32 v8, 0
	s_or_b64 s[4:5], s[4:5], s[8:9]
	s_or_b64 exec, exec, s[6:7]
	s_and_saveexec_b64 s[6:7], s[4:5]
	s_cbranch_execnz .LBB57_1875
	s_branch .LBB57_1876
.LBB57_3925:
	s_movk_i32 s4, 0x80
	v_cmp_eq_u16_e32 vcc, s4, v9
	s_mov_b64 s[4:5], -1
                                        ; implicit-def: $sgpr10
	s_and_saveexec_b64 s[8:9], vcc
; %bb.3926:
	s_mov_b32 s10, 0x7f800001
	s_xor_b64 s[4:5], exec, -1
; %bb.3927:
	s_or_b64 exec, exec, s[8:9]
	s_and_b64 s[4:5], s[4:5], exec
                                        ; implicit-def: $vgpr9
	s_or_saveexec_b64 s[6:7], s[6:7]
	v_mov_b32_e32 v12, s10
	s_xor_b64 exec, exec, s[6:7]
	s_cbranch_execz .LBB57_1878
.LBB57_3928:
	v_cmp_ne_u16_e32 vcc, 0, v9
	s_andn2_b64 s[4:5], s[4:5], exec
	s_and_b64 s[8:9], vcc, exec
	v_mov_b32_e32 v12, 0
	s_or_b64 s[4:5], s[4:5], s[8:9]
	s_or_b64 exec, exec, s[6:7]
	s_and_saveexec_b64 s[6:7], s[4:5]
	s_cbranch_execnz .LBB57_1879
	s_branch .LBB57_1880
.LBB57_3929:
	s_movk_i32 s4, 0x80
	v_cmp_eq_u16_sdwa s[12:13], v14, s4 src0_sel:BYTE_3 src1_sel:DWORD
	s_mov_b64 s[4:5], -1
                                        ; implicit-def: $sgpr10
	s_and_saveexec_b64 s[8:9], s[12:13]
; %bb.3930:
	s_mov_b32 s10, 0x7f800001
	s_xor_b64 s[4:5], exec, -1
; %bb.3931:
	s_or_b64 exec, exec, s[8:9]
	s_and_b64 s[4:5], s[4:5], exec
	s_or_saveexec_b64 s[6:7], s[6:7]
	v_mov_b32_e32 v8, s10
	s_xor_b64 exec, exec, s[6:7]
	s_cbranch_execz .LBB57_1882
.LBB57_3932:
	v_mov_b32_e32 v8, 0
	v_cmp_ne_u16_sdwa s[8:9], v14, v8 src0_sel:BYTE_3 src1_sel:DWORD
	s_andn2_b64 s[4:5], s[4:5], exec
	s_and_b64 s[8:9], s[8:9], exec
	s_or_b64 s[4:5], s[4:5], s[8:9]
	s_or_b64 exec, exec, s[6:7]
	s_and_saveexec_b64 s[6:7], s[4:5]
	s_cbranch_execnz .LBB57_1883
	s_branch .LBB57_1884
.LBB57_3933:
	s_movk_i32 s4, 0x80
	v_cmp_eq_u16_sdwa s[12:13], v10, s4 src0_sel:BYTE_3 src1_sel:DWORD
	s_mov_b64 s[4:5], -1
                                        ; implicit-def: $sgpr10
	s_and_saveexec_b64 s[8:9], s[12:13]
; %bb.3934:
	s_mov_b32 s10, 0x7f800001
	s_xor_b64 s[4:5], exec, -1
; %bb.3935:
	s_or_b64 exec, exec, s[8:9]
	s_and_b64 s[4:5], s[4:5], exec
	s_or_saveexec_b64 s[6:7], s[6:7]
	v_mov_b32_e32 v9, s10
	s_xor_b64 exec, exec, s[6:7]
	s_cbranch_execz .LBB57_1886
.LBB57_3936:
	v_mov_b32_e32 v9, 0
	v_cmp_ne_u16_sdwa s[8:9], v10, v9 src0_sel:BYTE_3 src1_sel:DWORD
	s_andn2_b64 s[4:5], s[4:5], exec
	s_and_b64 s[8:9], s[8:9], exec
	s_or_b64 s[4:5], s[4:5], s[8:9]
	s_or_b64 exec, exec, s[6:7]
	s_and_saveexec_b64 s[6:7], s[4:5]
	s_cbranch_execnz .LBB57_1887
	s_branch .LBB57_1888
.LBB57_3937:
	s_movk_i32 s4, 0x80
	v_cmp_eq_u16_sdwa s[12:13], v15, s4 src0_sel:BYTE_0 src1_sel:DWORD
	s_mov_b64 s[4:5], -1
                                        ; implicit-def: $sgpr10
	s_and_saveexec_b64 s[8:9], s[12:13]
; %bb.3938:
	s_mov_b32 s10, 0x7f800001
	s_xor_b64 s[4:5], exec, -1
; %bb.3939:
	s_or_b64 exec, exec, s[8:9]
	s_and_b64 s[4:5], s[4:5], exec
	s_or_saveexec_b64 s[6:7], s[6:7]
	v_mov_b32_e32 v8, s10
	s_xor_b64 exec, exec, s[6:7]
	s_cbranch_execz .LBB57_1890
.LBB57_3940:
	v_mov_b32_e32 v8, 0
	v_cmp_ne_u16_sdwa s[8:9], v15, v8 src0_sel:BYTE_0 src1_sel:DWORD
	s_andn2_b64 s[4:5], s[4:5], exec
	s_and_b64 s[8:9], s[8:9], exec
	s_or_b64 s[4:5], s[4:5], s[8:9]
	s_or_b64 exec, exec, s[6:7]
	s_and_saveexec_b64 s[6:7], s[4:5]
	s_cbranch_execnz .LBB57_1891
	s_branch .LBB57_1892
.LBB57_3941:
	s_movk_i32 s4, 0x80
	v_cmp_eq_u16_sdwa s[12:13], v11, s4 src0_sel:BYTE_0 src1_sel:DWORD
	s_mov_b64 s[4:5], -1
                                        ; implicit-def: $sgpr10
	s_and_saveexec_b64 s[8:9], s[12:13]
; %bb.3942:
	s_mov_b32 s10, 0x7f800001
	s_xor_b64 s[4:5], exec, -1
; %bb.3943:
	s_or_b64 exec, exec, s[8:9]
	s_and_b64 s[4:5], s[4:5], exec
	s_or_saveexec_b64 s[6:7], s[6:7]
	v_mov_b32_e32 v9, s10
	s_xor_b64 exec, exec, s[6:7]
	s_cbranch_execz .LBB57_1894
.LBB57_3944:
	v_mov_b32_e32 v9, 0
	v_cmp_ne_u16_sdwa s[8:9], v11, v9 src0_sel:BYTE_0 src1_sel:DWORD
	s_andn2_b64 s[4:5], s[4:5], exec
	s_and_b64 s[8:9], s[8:9], exec
	s_or_b64 s[4:5], s[4:5], s[8:9]
	s_or_b64 exec, exec, s[6:7]
	s_and_saveexec_b64 s[6:7], s[4:5]
	s_cbranch_execnz .LBB57_1895
	s_branch .LBB57_1896
.LBB57_3945:
	s_movk_i32 s4, 0x80
	v_cmp_eq_u16_sdwa s[12:13], v9, s4 src0_sel:BYTE_0 src1_sel:DWORD
	s_mov_b64 s[4:5], -1
                                        ; implicit-def: $sgpr10
	s_and_saveexec_b64 s[8:9], s[12:13]
; %bb.3946:
	s_mov_b32 s10, 0x7f800001
	s_xor_b64 s[4:5], exec, -1
; %bb.3947:
	s_or_b64 exec, exec, s[8:9]
	s_and_b64 s[4:5], s[4:5], exec
	s_or_saveexec_b64 s[6:7], s[6:7]
	v_mov_b32_e32 v8, s10
	s_xor_b64 exec, exec, s[6:7]
	s_cbranch_execz .LBB57_1898
.LBB57_3948:
	v_mov_b32_e32 v8, 0
	v_cmp_ne_u16_sdwa s[8:9], v9, v8 src0_sel:BYTE_0 src1_sel:DWORD
	s_andn2_b64 s[4:5], s[4:5], exec
	s_and_b64 s[8:9], s[8:9], exec
	s_or_b64 s[4:5], s[4:5], s[8:9]
	s_or_b64 exec, exec, s[6:7]
	s_and_saveexec_b64 s[6:7], s[4:5]
	s_cbranch_execnz .LBB57_1899
	s_branch .LBB57_1900
.LBB57_3949:
	s_movk_i32 s4, 0x80
	v_cmp_eq_u16_sdwa s[12:13], v9, s4 src0_sel:BYTE_0 src1_sel:DWORD
	s_mov_b64 s[4:5], -1
                                        ; implicit-def: $sgpr10
	s_and_saveexec_b64 s[8:9], s[12:13]
; %bb.3950:
	s_mov_b32 s10, 0x7f800001
	s_xor_b64 s[4:5], exec, -1
; %bb.3951:
	s_or_b64 exec, exec, s[8:9]
	s_and_b64 s[4:5], s[4:5], exec
	s_or_saveexec_b64 s[6:7], s[6:7]
	v_mov_b32_e32 v10, s10
	s_xor_b64 exec, exec, s[6:7]
	s_cbranch_execz .LBB57_1902
.LBB57_3952:
	v_mov_b32_e32 v10, 0
	v_cmp_ne_u16_sdwa s[8:9], v9, v10 src0_sel:BYTE_0 src1_sel:DWORD
	s_andn2_b64 s[4:5], s[4:5], exec
	s_and_b64 s[8:9], s[8:9], exec
	s_or_b64 s[4:5], s[4:5], s[8:9]
	s_or_b64 exec, exec, s[6:7]
	s_and_saveexec_b64 s[6:7], s[4:5]
	s_cbranch_execnz .LBB57_1903
	s_branch .LBB57_1904
.LBB57_3953:
	s_movk_i32 s4, 0x80
	v_cmp_eq_u16_e32 vcc, s4, v9
	s_mov_b64 s[4:5], -1
                                        ; implicit-def: $sgpr10
	s_and_saveexec_b64 s[8:9], vcc
; %bb.3954:
	s_mov_b32 s10, 0x7f800001
	s_xor_b64 s[4:5], exec, -1
; %bb.3955:
	s_or_b64 exec, exec, s[8:9]
	s_and_b64 s[4:5], s[4:5], exec
                                        ; implicit-def: $vgpr9
	s_or_saveexec_b64 s[6:7], s[6:7]
	v_mov_b32_e32 v8, s10
	s_xor_b64 exec, exec, s[6:7]
	s_cbranch_execz .LBB57_1906
.LBB57_3956:
	v_cmp_ne_u16_e32 vcc, 0, v9
	s_andn2_b64 s[4:5], s[4:5], exec
	s_and_b64 s[8:9], vcc, exec
	v_mov_b32_e32 v8, 0
	s_or_b64 s[4:5], s[4:5], s[8:9]
	s_or_b64 exec, exec, s[6:7]
	s_and_saveexec_b64 s[6:7], s[4:5]
	s_cbranch_execnz .LBB57_1907
	s_branch .LBB57_1908
.LBB57_3957:
	s_movk_i32 s4, 0x80
	v_cmp_eq_u16_e32 vcc, s4, v9
	s_mov_b64 s[4:5], -1
                                        ; implicit-def: $sgpr10
	s_and_saveexec_b64 s[8:9], vcc
; %bb.3958:
	s_mov_b32 s10, 0x7f800001
	s_xor_b64 s[4:5], exec, -1
; %bb.3959:
	s_or_b64 exec, exec, s[8:9]
	s_and_b64 s[4:5], s[4:5], exec
                                        ; implicit-def: $vgpr9
	s_or_saveexec_b64 s[6:7], s[6:7]
	v_mov_b32_e32 v10, s10
	s_xor_b64 exec, exec, s[6:7]
	s_cbranch_execz .LBB57_1910
.LBB57_3960:
	v_cmp_ne_u16_e32 vcc, 0, v9
	s_andn2_b64 s[4:5], s[4:5], exec
	s_and_b64 s[8:9], vcc, exec
	v_mov_b32_e32 v10, 0
	s_or_b64 s[4:5], s[4:5], s[8:9]
	s_or_b64 exec, exec, s[6:7]
	s_and_saveexec_b64 s[6:7], s[4:5]
	s_cbranch_execnz .LBB57_1911
	s_branch .LBB57_1912
.LBB57_3961:
	s_movk_i32 s4, 0x80
	v_cmp_eq_u16_sdwa s[12:13], v15, s4 src0_sel:BYTE_3 src1_sel:DWORD
	s_mov_b64 s[4:5], -1
                                        ; implicit-def: $sgpr10
	s_and_saveexec_b64 s[8:9], s[12:13]
; %bb.3962:
	s_mov_b32 s10, 0x7f800001
	s_xor_b64 s[4:5], exec, -1
; %bb.3963:
	s_or_b64 exec, exec, s[8:9]
	s_and_b64 s[4:5], s[4:5], exec
	s_or_saveexec_b64 s[6:7], s[6:7]
	v_mov_b32_e32 v8, s10
	s_xor_b64 exec, exec, s[6:7]
	s_cbranch_execz .LBB57_1914
.LBB57_3964:
	v_mov_b32_e32 v8, 0
	v_cmp_ne_u16_sdwa s[8:9], v15, v8 src0_sel:BYTE_3 src1_sel:DWORD
	s_andn2_b64 s[4:5], s[4:5], exec
	s_and_b64 s[8:9], s[8:9], exec
	s_or_b64 s[4:5], s[4:5], s[8:9]
	s_or_b64 exec, exec, s[6:7]
	s_and_saveexec_b64 s[6:7], s[4:5]
	s_cbranch_execnz .LBB57_1915
	s_branch .LBB57_1916
.LBB57_3965:
	s_movk_i32 s4, 0x80
	v_cmp_eq_u16_sdwa s[12:13], v11, s4 src0_sel:BYTE_3 src1_sel:DWORD
	s_mov_b64 s[4:5], -1
                                        ; implicit-def: $sgpr10
	s_and_saveexec_b64 s[8:9], s[12:13]
; %bb.3966:
	s_mov_b32 s10, 0x7f800001
	s_xor_b64 s[4:5], exec, -1
; %bb.3967:
	s_or_b64 exec, exec, s[8:9]
	s_and_b64 s[4:5], s[4:5], exec
	s_or_saveexec_b64 s[6:7], s[6:7]
	v_mov_b32_e32 v9, s10
	s_xor_b64 exec, exec, s[6:7]
	s_cbranch_execz .LBB57_1918
.LBB57_3968:
	v_mov_b32_e32 v9, 0
	v_cmp_ne_u16_sdwa s[8:9], v11, v9 src0_sel:BYTE_3 src1_sel:DWORD
	s_andn2_b64 s[4:5], s[4:5], exec
	s_and_b64 s[8:9], s[8:9], exec
	s_or_b64 s[4:5], s[4:5], s[8:9]
	s_or_b64 exec, exec, s[6:7]
	s_and_saveexec_b64 s[6:7], s[4:5]
	s_cbranch_execnz .LBB57_1919
	s_branch .LBB57_1920
.LBB57_3969:
	s_movk_i32 s4, 0x80
	v_cmp_eq_u16_sdwa s[12:13], v4, s4 src0_sel:BYTE_0 src1_sel:DWORD
	s_mov_b64 s[4:5], -1
                                        ; implicit-def: $sgpr10
	s_and_saveexec_b64 s[8:9], s[12:13]
; %bb.3970:
	s_mov_b32 s10, 0x7f800001
	s_xor_b64 s[4:5], exec, -1
; %bb.3971:
	s_or_b64 exec, exec, s[8:9]
	s_and_b64 s[4:5], s[4:5], exec
	s_or_saveexec_b64 s[6:7], s[6:7]
	v_mov_b32_e32 v8, s10
	s_xor_b64 exec, exec, s[6:7]
	s_cbranch_execz .LBB57_1922
.LBB57_3972:
	v_mov_b32_e32 v8, 0
	v_cmp_ne_u16_sdwa s[8:9], v4, v8 src0_sel:BYTE_0 src1_sel:DWORD
	s_andn2_b64 s[4:5], s[4:5], exec
	s_and_b64 s[8:9], s[8:9], exec
	s_or_b64 s[4:5], s[4:5], s[8:9]
	s_or_b64 exec, exec, s[6:7]
	s_and_saveexec_b64 s[6:7], s[4:5]
	s_cbranch_execnz .LBB57_1923
	s_branch .LBB57_1924
.LBB57_3973:
	s_movk_i32 s4, 0x80
	v_cmp_eq_u16_sdwa s[12:13], v0, s4 src0_sel:BYTE_0 src1_sel:DWORD
	s_mov_b64 s[4:5], -1
                                        ; implicit-def: $sgpr10
	s_and_saveexec_b64 s[8:9], s[12:13]
; %bb.3974:
	s_mov_b32 s10, 0x7f800001
	s_xor_b64 s[4:5], exec, -1
; %bb.3975:
	s_or_b64 exec, exec, s[8:9]
	s_and_b64 s[4:5], s[4:5], exec
	s_or_saveexec_b64 s[6:7], s[6:7]
	v_mov_b32_e32 v9, s10
	s_xor_b64 exec, exec, s[6:7]
	s_cbranch_execz .LBB57_1926
.LBB57_3976:
	v_mov_b32_e32 v9, 0
	v_cmp_ne_u16_sdwa s[8:9], v0, v9 src0_sel:BYTE_0 src1_sel:DWORD
	s_andn2_b64 s[4:5], s[4:5], exec
	s_and_b64 s[8:9], s[8:9], exec
	s_or_b64 s[4:5], s[4:5], s[8:9]
	s_or_b64 exec, exec, s[6:7]
	s_and_saveexec_b64 s[6:7], s[4:5]
	s_cbranch_execnz .LBB57_1927
	s_branch .LBB57_1928
.LBB57_3977:
	s_movk_i32 s4, 0x80
	v_cmp_eq_u16_sdwa s[12:13], v9, s4 src0_sel:BYTE_0 src1_sel:DWORD
	s_mov_b64 s[4:5], -1
                                        ; implicit-def: $sgpr10
	s_and_saveexec_b64 s[8:9], s[12:13]
; %bb.3978:
	s_mov_b32 s10, 0x7f800001
	s_xor_b64 s[4:5], exec, -1
; %bb.3979:
	s_or_b64 exec, exec, s[8:9]
	s_and_b64 s[4:5], s[4:5], exec
	s_or_saveexec_b64 s[6:7], s[6:7]
	v_mov_b32_e32 v8, s10
	s_xor_b64 exec, exec, s[6:7]
	s_cbranch_execz .LBB57_1930
.LBB57_3980:
	v_mov_b32_e32 v8, 0
	v_cmp_ne_u16_sdwa s[8:9], v9, v8 src0_sel:BYTE_0 src1_sel:DWORD
	s_andn2_b64 s[4:5], s[4:5], exec
	s_and_b64 s[8:9], s[8:9], exec
	s_or_b64 s[4:5], s[4:5], s[8:9]
	s_or_b64 exec, exec, s[6:7]
	s_and_saveexec_b64 s[6:7], s[4:5]
	s_cbranch_execnz .LBB57_1931
	s_branch .LBB57_1932
.LBB57_3981:
	s_movk_i32 s4, 0x80
	v_cmp_eq_u16_sdwa s[12:13], v9, s4 src0_sel:BYTE_0 src1_sel:DWORD
	s_mov_b64 s[4:5], -1
                                        ; implicit-def: $sgpr10
	s_and_saveexec_b64 s[8:9], s[12:13]
; %bb.3982:
	s_mov_b32 s10, 0x7f800001
	s_xor_b64 s[4:5], exec, -1
; %bb.3983:
	s_or_b64 exec, exec, s[8:9]
	s_and_b64 s[4:5], s[4:5], exec
	s_or_saveexec_b64 s[6:7], s[6:7]
	v_mov_b32_e32 v10, s10
	s_xor_b64 exec, exec, s[6:7]
	s_cbranch_execz .LBB57_1934
.LBB57_3984:
	v_mov_b32_e32 v10, 0
	v_cmp_ne_u16_sdwa s[8:9], v9, v10 src0_sel:BYTE_0 src1_sel:DWORD
	s_andn2_b64 s[4:5], s[4:5], exec
	s_and_b64 s[8:9], s[8:9], exec
	s_or_b64 s[4:5], s[4:5], s[8:9]
	s_or_b64 exec, exec, s[6:7]
	s_and_saveexec_b64 s[6:7], s[4:5]
	s_cbranch_execnz .LBB57_1935
	s_branch .LBB57_1936
.LBB57_3985:
	s_movk_i32 s4, 0x80
	v_cmp_eq_u16_e32 vcc, s4, v9
	s_mov_b64 s[4:5], -1
                                        ; implicit-def: $sgpr10
	s_and_saveexec_b64 s[8:9], vcc
; %bb.3986:
	s_mov_b32 s10, 0x7f800001
	s_xor_b64 s[4:5], exec, -1
; %bb.3987:
	s_or_b64 exec, exec, s[8:9]
	s_and_b64 s[4:5], s[4:5], exec
                                        ; implicit-def: $vgpr9
	s_or_saveexec_b64 s[6:7], s[6:7]
	v_mov_b32_e32 v8, s10
	s_xor_b64 exec, exec, s[6:7]
	s_cbranch_execz .LBB57_1938
.LBB57_3988:
	v_cmp_ne_u16_e32 vcc, 0, v9
	s_andn2_b64 s[4:5], s[4:5], exec
	s_and_b64 s[8:9], vcc, exec
	v_mov_b32_e32 v8, 0
	s_or_b64 s[4:5], s[4:5], s[8:9]
	s_or_b64 exec, exec, s[6:7]
	s_and_saveexec_b64 s[6:7], s[4:5]
	s_cbranch_execnz .LBB57_1939
	s_branch .LBB57_1940
.LBB57_3989:
	s_movk_i32 s4, 0x80
	v_cmp_eq_u16_e32 vcc, s4, v9
	s_mov_b64 s[4:5], -1
                                        ; implicit-def: $sgpr10
	s_and_saveexec_b64 s[8:9], vcc
; %bb.3990:
	s_mov_b32 s10, 0x7f800001
	s_xor_b64 s[4:5], exec, -1
; %bb.3991:
	s_or_b64 exec, exec, s[8:9]
	s_and_b64 s[4:5], s[4:5], exec
                                        ; implicit-def: $vgpr9
	s_or_saveexec_b64 s[6:7], s[6:7]
	v_mov_b32_e32 v10, s10
	s_xor_b64 exec, exec, s[6:7]
	s_cbranch_execz .LBB57_1942
.LBB57_3992:
	v_cmp_ne_u16_e32 vcc, 0, v9
	s_andn2_b64 s[4:5], s[4:5], exec
	s_and_b64 s[8:9], vcc, exec
	v_mov_b32_e32 v10, 0
	s_or_b64 s[4:5], s[4:5], s[8:9]
	s_or_b64 exec, exec, s[6:7]
	s_and_saveexec_b64 s[6:7], s[4:5]
	s_cbranch_execnz .LBB57_1943
	s_branch .LBB57_1944
.LBB57_3993:
	s_movk_i32 s4, 0x80
	v_cmp_eq_u16_sdwa s[12:13], v4, s4 src0_sel:BYTE_3 src1_sel:DWORD
	s_mov_b64 s[4:5], -1
                                        ; implicit-def: $sgpr10
	s_and_saveexec_b64 s[8:9], s[12:13]
; %bb.3994:
	s_mov_b32 s10, 0x7f800001
	s_xor_b64 s[4:5], exec, -1
; %bb.3995:
	s_or_b64 exec, exec, s[8:9]
	s_and_b64 s[4:5], s[4:5], exec
	s_or_saveexec_b64 s[6:7], s[6:7]
	v_mov_b32_e32 v8, s10
	s_xor_b64 exec, exec, s[6:7]
	s_cbranch_execz .LBB57_1946
.LBB57_3996:
	v_mov_b32_e32 v8, 0
	v_cmp_ne_u16_sdwa s[8:9], v4, v8 src0_sel:BYTE_3 src1_sel:DWORD
	s_andn2_b64 s[4:5], s[4:5], exec
	s_and_b64 s[8:9], s[8:9], exec
	s_or_b64 s[4:5], s[4:5], s[8:9]
	s_or_b64 exec, exec, s[6:7]
	s_and_saveexec_b64 s[6:7], s[4:5]
	s_cbranch_execnz .LBB57_1947
	s_branch .LBB57_1948
.LBB57_3997:
	s_movk_i32 s4, 0x80
	v_cmp_eq_u16_sdwa s[12:13], v0, s4 src0_sel:BYTE_3 src1_sel:DWORD
	s_mov_b64 s[4:5], -1
                                        ; implicit-def: $sgpr10
	s_and_saveexec_b64 s[8:9], s[12:13]
; %bb.3998:
	s_mov_b32 s10, 0x7f800001
	s_xor_b64 s[4:5], exec, -1
; %bb.3999:
	s_or_b64 exec, exec, s[8:9]
	s_and_b64 s[4:5], s[4:5], exec
	s_or_saveexec_b64 s[6:7], s[6:7]
	v_mov_b32_e32 v4, s10
	s_xor_b64 exec, exec, s[6:7]
	s_cbranch_execz .LBB57_1950
.LBB57_4000:
	v_mov_b32_e32 v4, 0
	v_cmp_ne_u16_sdwa s[8:9], v0, v4 src0_sel:BYTE_3 src1_sel:DWORD
	s_andn2_b64 s[4:5], s[4:5], exec
	s_and_b64 s[8:9], s[8:9], exec
	s_or_b64 s[4:5], s[4:5], s[8:9]
	s_or_b64 exec, exec, s[6:7]
	s_and_saveexec_b64 s[6:7], s[4:5]
	s_cbranch_execnz .LBB57_1951
	s_branch .LBB57_1952
.LBB57_4001:
	s_movk_i32 s4, 0x80
	v_cmp_eq_u16_sdwa s[12:13], v5, s4 src0_sel:BYTE_0 src1_sel:DWORD
	s_mov_b64 s[4:5], -1
                                        ; implicit-def: $sgpr10
	s_and_saveexec_b64 s[8:9], s[12:13]
; %bb.4002:
	s_mov_b32 s10, 0x7f800001
	s_xor_b64 s[4:5], exec, -1
; %bb.4003:
	s_or_b64 exec, exec, s[8:9]
	s_and_b64 s[4:5], s[4:5], exec
	s_or_saveexec_b64 s[6:7], s[6:7]
	v_mov_b32_e32 v0, s10
	s_xor_b64 exec, exec, s[6:7]
	s_cbranch_execz .LBB57_1954
.LBB57_4004:
	v_mov_b32_e32 v0, 0
	v_cmp_ne_u16_sdwa s[8:9], v5, v0 src0_sel:BYTE_0 src1_sel:DWORD
	s_andn2_b64 s[4:5], s[4:5], exec
	s_and_b64 s[8:9], s[8:9], exec
	s_or_b64 s[4:5], s[4:5], s[8:9]
	s_or_b64 exec, exec, s[6:7]
	s_and_saveexec_b64 s[6:7], s[4:5]
	s_cbranch_execnz .LBB57_1955
	s_branch .LBB57_1956
.LBB57_4005:
	s_movk_i32 s4, 0x80
	v_cmp_eq_u16_sdwa s[12:13], v1, s4 src0_sel:BYTE_0 src1_sel:DWORD
	s_mov_b64 s[4:5], -1
                                        ; implicit-def: $sgpr10
	s_and_saveexec_b64 s[8:9], s[12:13]
; %bb.4006:
	s_mov_b32 s10, 0x7f800001
	s_xor_b64 s[4:5], exec, -1
; %bb.4007:
	s_or_b64 exec, exec, s[8:9]
	s_and_b64 s[4:5], s[4:5], exec
	s_or_saveexec_b64 s[6:7], s[6:7]
	v_mov_b32_e32 v4, s10
	s_xor_b64 exec, exec, s[6:7]
	s_cbranch_execz .LBB57_1958
.LBB57_4008:
	v_mov_b32_e32 v4, 0
	v_cmp_ne_u16_sdwa s[8:9], v1, v4 src0_sel:BYTE_0 src1_sel:DWORD
	s_andn2_b64 s[4:5], s[4:5], exec
	s_and_b64 s[8:9], s[8:9], exec
	s_or_b64 s[4:5], s[4:5], s[8:9]
	s_or_b64 exec, exec, s[6:7]
	s_and_saveexec_b64 s[6:7], s[4:5]
	s_cbranch_execnz .LBB57_1959
	s_branch .LBB57_1960
.LBB57_4009:
	s_movk_i32 s4, 0x80
	v_cmp_eq_u16_sdwa s[12:13], v4, s4 src0_sel:BYTE_0 src1_sel:DWORD
	s_mov_b64 s[4:5], -1
                                        ; implicit-def: $sgpr10
	s_and_saveexec_b64 s[8:9], s[12:13]
; %bb.4010:
	s_mov_b32 s10, 0x7f800001
	s_xor_b64 s[4:5], exec, -1
; %bb.4011:
	s_or_b64 exec, exec, s[8:9]
	s_and_b64 s[4:5], s[4:5], exec
	s_or_saveexec_b64 s[6:7], s[6:7]
	v_mov_b32_e32 v0, s10
	s_xor_b64 exec, exec, s[6:7]
	s_cbranch_execz .LBB57_1962
.LBB57_4012:
	v_mov_b32_e32 v0, 0
	v_cmp_ne_u16_sdwa s[8:9], v4, v0 src0_sel:BYTE_0 src1_sel:DWORD
	s_andn2_b64 s[4:5], s[4:5], exec
	s_and_b64 s[8:9], s[8:9], exec
	s_or_b64 s[4:5], s[4:5], s[8:9]
	s_or_b64 exec, exec, s[6:7]
	s_and_saveexec_b64 s[6:7], s[4:5]
	s_cbranch_execnz .LBB57_1963
	s_branch .LBB57_1964
.LBB57_4013:
	s_movk_i32 s4, 0x80
	v_cmp_eq_u16_sdwa s[12:13], v4, s4 src0_sel:BYTE_0 src1_sel:DWORD
	s_mov_b64 s[4:5], -1
                                        ; implicit-def: $sgpr10
	s_and_saveexec_b64 s[8:9], s[12:13]
; %bb.4014:
	s_mov_b32 s10, 0x7f800001
	s_xor_b64 s[4:5], exec, -1
; %bb.4015:
	s_or_b64 exec, exec, s[8:9]
	s_and_b64 s[4:5], s[4:5], exec
	s_or_saveexec_b64 s[6:7], s[6:7]
	v_mov_b32_e32 v8, s10
	s_xor_b64 exec, exec, s[6:7]
	s_cbranch_execz .LBB57_1966
.LBB57_4016:
	v_mov_b32_e32 v8, 0
	v_cmp_ne_u16_sdwa s[8:9], v4, v8 src0_sel:BYTE_0 src1_sel:DWORD
	s_andn2_b64 s[4:5], s[4:5], exec
	s_and_b64 s[8:9], s[8:9], exec
	s_or_b64 s[4:5], s[4:5], s[8:9]
	s_or_b64 exec, exec, s[6:7]
	s_and_saveexec_b64 s[6:7], s[4:5]
	s_cbranch_execnz .LBB57_1967
	s_branch .LBB57_1968
.LBB57_4017:
	s_movk_i32 s4, 0x80
	v_cmp_eq_u16_e32 vcc, s4, v4
	s_mov_b64 s[4:5], -1
                                        ; implicit-def: $sgpr10
	s_and_saveexec_b64 s[8:9], vcc
; %bb.4018:
	s_mov_b32 s10, 0x7f800001
	s_xor_b64 s[4:5], exec, -1
; %bb.4019:
	s_or_b64 exec, exec, s[8:9]
	s_and_b64 s[4:5], s[4:5], exec
                                        ; implicit-def: $vgpr4
	s_or_saveexec_b64 s[6:7], s[6:7]
	v_mov_b32_e32 v0, s10
	s_xor_b64 exec, exec, s[6:7]
	s_cbranch_execz .LBB57_1970
.LBB57_4020:
	v_cmp_ne_u16_e32 vcc, 0, v4
	s_andn2_b64 s[4:5], s[4:5], exec
	s_and_b64 s[8:9], vcc, exec
	v_mov_b32_e32 v0, 0
	s_or_b64 s[4:5], s[4:5], s[8:9]
	s_or_b64 exec, exec, s[6:7]
	s_and_saveexec_b64 s[6:7], s[4:5]
	s_cbranch_execnz .LBB57_1971
	s_branch .LBB57_1972
.LBB57_4021:
	s_movk_i32 s4, 0x80
	v_cmp_eq_u16_e32 vcc, s4, v4
	s_mov_b64 s[4:5], -1
                                        ; implicit-def: $sgpr10
	s_and_saveexec_b64 s[8:9], vcc
; %bb.4022:
	s_mov_b32 s10, 0x7f800001
	s_xor_b64 s[4:5], exec, -1
; %bb.4023:
	s_or_b64 exec, exec, s[8:9]
	s_and_b64 s[4:5], s[4:5], exec
                                        ; implicit-def: $vgpr4
	s_or_saveexec_b64 s[6:7], s[6:7]
	v_mov_b32_e32 v8, s10
	s_xor_b64 exec, exec, s[6:7]
	s_cbranch_execz .LBB57_1974
.LBB57_4024:
	v_cmp_ne_u16_e32 vcc, 0, v4
	s_andn2_b64 s[4:5], s[4:5], exec
	s_and_b64 s[8:9], vcc, exec
	v_mov_b32_e32 v8, 0
	s_or_b64 s[4:5], s[4:5], s[8:9]
	s_or_b64 exec, exec, s[6:7]
	s_and_saveexec_b64 s[6:7], s[4:5]
	s_cbranch_execnz .LBB57_1975
	s_branch .LBB57_1976
.LBB57_4025:
	s_movk_i32 s4, 0x80
	v_cmp_eq_u16_sdwa s[12:13], v5, s4 src0_sel:BYTE_3 src1_sel:DWORD
	s_mov_b64 s[4:5], -1
                                        ; implicit-def: $sgpr10
	s_and_saveexec_b64 s[8:9], s[12:13]
; %bb.4026:
	s_mov_b32 s10, 0x7f800001
	s_xor_b64 s[4:5], exec, -1
; %bb.4027:
	s_or_b64 exec, exec, s[8:9]
	s_and_b64 s[4:5], s[4:5], exec
	s_or_saveexec_b64 s[6:7], s[6:7]
	v_mov_b32_e32 v0, s10
	s_xor_b64 exec, exec, s[6:7]
	s_cbranch_execz .LBB57_1978
.LBB57_4028:
	v_mov_b32_e32 v0, 0
	v_cmp_ne_u16_sdwa s[8:9], v5, v0 src0_sel:BYTE_3 src1_sel:DWORD
	s_andn2_b64 s[4:5], s[4:5], exec
	s_and_b64 s[8:9], s[8:9], exec
	s_or_b64 s[4:5], s[4:5], s[8:9]
	s_or_b64 exec, exec, s[6:7]
	s_and_saveexec_b64 s[6:7], s[4:5]
	s_cbranch_execnz .LBB57_1979
	s_branch .LBB57_1980
.LBB57_4029:
	s_movk_i32 s4, 0x80
	v_cmp_eq_u16_sdwa s[12:13], v1, s4 src0_sel:BYTE_3 src1_sel:DWORD
	s_mov_b64 s[4:5], -1
                                        ; implicit-def: $sgpr10
	s_and_saveexec_b64 s[8:9], s[12:13]
; %bb.4030:
	s_mov_b32 s10, 0x7f800001
	s_xor_b64 s[4:5], exec, -1
; %bb.4031:
	s_or_b64 exec, exec, s[8:9]
	s_and_b64 s[4:5], s[4:5], exec
	s_or_saveexec_b64 s[6:7], s[6:7]
	v_mov_b32_e32 v4, s10
	s_xor_b64 exec, exec, s[6:7]
	s_cbranch_execz .LBB57_1982
.LBB57_4032:
	v_mov_b32_e32 v4, 0
	v_cmp_ne_u16_sdwa s[8:9], v1, v4 src0_sel:BYTE_3 src1_sel:DWORD
	s_andn2_b64 s[4:5], s[4:5], exec
	s_and_b64 s[8:9], s[8:9], exec
	s_or_b64 s[4:5], s[4:5], s[8:9]
	s_or_b64 exec, exec, s[6:7]
	s_and_saveexec_b64 s[6:7], s[4:5]
	s_cbranch_execnz .LBB57_1983
	s_branch .LBB57_1984
.LBB57_4033:
	s_movk_i32 s4, 0x80
	v_cmp_eq_u16_sdwa s[12:13], v6, s4 src0_sel:BYTE_0 src1_sel:DWORD
	s_mov_b64 s[4:5], -1
                                        ; implicit-def: $sgpr10
	s_and_saveexec_b64 s[8:9], s[12:13]
; %bb.4034:
	s_mov_b32 s10, 0x7f800001
	s_xor_b64 s[4:5], exec, -1
; %bb.4035:
	s_or_b64 exec, exec, s[8:9]
	s_and_b64 s[4:5], s[4:5], exec
	s_or_saveexec_b64 s[6:7], s[6:7]
	v_mov_b32_e32 v0, s10
	s_xor_b64 exec, exec, s[6:7]
	s_cbranch_execz .LBB57_1986
.LBB57_4036:
	v_mov_b32_e32 v0, 0
	v_cmp_ne_u16_sdwa s[8:9], v6, v0 src0_sel:BYTE_0 src1_sel:DWORD
	s_andn2_b64 s[4:5], s[4:5], exec
	s_and_b64 s[8:9], s[8:9], exec
	s_or_b64 s[4:5], s[4:5], s[8:9]
	s_or_b64 exec, exec, s[6:7]
	s_and_saveexec_b64 s[6:7], s[4:5]
	s_cbranch_execnz .LBB57_1987
	s_branch .LBB57_1988
.LBB57_4037:
	s_movk_i32 s4, 0x80
	v_cmp_eq_u16_sdwa s[12:13], v2, s4 src0_sel:BYTE_0 src1_sel:DWORD
	s_mov_b64 s[4:5], -1
                                        ; implicit-def: $sgpr10
	s_and_saveexec_b64 s[8:9], s[12:13]
; %bb.4038:
	s_mov_b32 s10, 0x7f800001
	s_xor_b64 s[4:5], exec, -1
; %bb.4039:
	s_or_b64 exec, exec, s[8:9]
	s_and_b64 s[4:5], s[4:5], exec
	s_or_saveexec_b64 s[6:7], s[6:7]
	v_mov_b32_e32 v1, s10
	s_xor_b64 exec, exec, s[6:7]
	s_cbranch_execz .LBB57_1990
.LBB57_4040:
	v_mov_b32_e32 v1, 0
	v_cmp_ne_u16_sdwa s[8:9], v2, v1 src0_sel:BYTE_0 src1_sel:DWORD
	s_andn2_b64 s[4:5], s[4:5], exec
	s_and_b64 s[8:9], s[8:9], exec
	s_or_b64 s[4:5], s[4:5], s[8:9]
	s_or_b64 exec, exec, s[6:7]
	s_and_saveexec_b64 s[6:7], s[4:5]
	s_cbranch_execnz .LBB57_1991
	s_branch .LBB57_1992
.LBB57_4041:
	s_movk_i32 s4, 0x80
	v_cmp_eq_u16_sdwa s[12:13], v1, s4 src0_sel:BYTE_0 src1_sel:DWORD
	s_mov_b64 s[4:5], -1
                                        ; implicit-def: $sgpr10
	s_and_saveexec_b64 s[8:9], s[12:13]
; %bb.4042:
	s_mov_b32 s10, 0x7f800001
	s_xor_b64 s[4:5], exec, -1
; %bb.4043:
	s_or_b64 exec, exec, s[8:9]
	s_and_b64 s[4:5], s[4:5], exec
	s_or_saveexec_b64 s[6:7], s[6:7]
	v_mov_b32_e32 v0, s10
	s_xor_b64 exec, exec, s[6:7]
	s_cbranch_execz .LBB57_1994
.LBB57_4044:
	v_mov_b32_e32 v0, 0
	v_cmp_ne_u16_sdwa s[8:9], v1, v0 src0_sel:BYTE_0 src1_sel:DWORD
	s_andn2_b64 s[4:5], s[4:5], exec
	s_and_b64 s[8:9], s[8:9], exec
	s_or_b64 s[4:5], s[4:5], s[8:9]
	s_or_b64 exec, exec, s[6:7]
	s_and_saveexec_b64 s[6:7], s[4:5]
	s_cbranch_execnz .LBB57_1995
	s_branch .LBB57_1996
.LBB57_4045:
	s_movk_i32 s4, 0x80
	v_cmp_eq_u16_sdwa s[12:13], v1, s4 src0_sel:BYTE_0 src1_sel:DWORD
	s_mov_b64 s[4:5], -1
                                        ; implicit-def: $sgpr10
	s_and_saveexec_b64 s[8:9], s[12:13]
; %bb.4046:
	s_mov_b32 s10, 0x7f800001
	s_xor_b64 s[4:5], exec, -1
; %bb.4047:
	s_or_b64 exec, exec, s[8:9]
	s_and_b64 s[4:5], s[4:5], exec
	s_or_saveexec_b64 s[6:7], s[6:7]
	v_mov_b32_e32 v4, s10
	s_xor_b64 exec, exec, s[6:7]
	s_cbranch_execz .LBB57_1998
.LBB57_4048:
	v_mov_b32_e32 v4, 0
	v_cmp_ne_u16_sdwa s[8:9], v1, v4 src0_sel:BYTE_0 src1_sel:DWORD
	s_andn2_b64 s[4:5], s[4:5], exec
	s_and_b64 s[8:9], s[8:9], exec
	s_or_b64 s[4:5], s[4:5], s[8:9]
	s_or_b64 exec, exec, s[6:7]
	s_and_saveexec_b64 s[6:7], s[4:5]
	s_cbranch_execnz .LBB57_1999
	s_branch .LBB57_2000
.LBB57_4049:
	s_movk_i32 s4, 0x80
	v_cmp_eq_u16_e32 vcc, s4, v1
	s_mov_b64 s[4:5], -1
                                        ; implicit-def: $sgpr10
	s_and_saveexec_b64 s[8:9], vcc
; %bb.4050:
	s_mov_b32 s10, 0x7f800001
	s_xor_b64 s[4:5], exec, -1
; %bb.4051:
	s_or_b64 exec, exec, s[8:9]
	s_and_b64 s[4:5], s[4:5], exec
                                        ; implicit-def: $vgpr1
	s_or_saveexec_b64 s[6:7], s[6:7]
	v_mov_b32_e32 v0, s10
	s_xor_b64 exec, exec, s[6:7]
	s_cbranch_execz .LBB57_2002
.LBB57_4052:
	v_cmp_ne_u16_e32 vcc, 0, v1
	s_andn2_b64 s[4:5], s[4:5], exec
	s_and_b64 s[8:9], vcc, exec
	v_mov_b32_e32 v0, 0
	s_or_b64 s[4:5], s[4:5], s[8:9]
	s_or_b64 exec, exec, s[6:7]
	s_and_saveexec_b64 s[6:7], s[4:5]
	s_cbranch_execnz .LBB57_2003
	s_branch .LBB57_2004
.LBB57_4053:
	s_movk_i32 s4, 0x80
	v_cmp_eq_u16_e32 vcc, s4, v1
	s_mov_b64 s[4:5], -1
                                        ; implicit-def: $sgpr10
	s_and_saveexec_b64 s[8:9], vcc
; %bb.4054:
	s_mov_b32 s10, 0x7f800001
	s_xor_b64 s[4:5], exec, -1
; %bb.4055:
	s_or_b64 exec, exec, s[8:9]
	s_and_b64 s[4:5], s[4:5], exec
                                        ; implicit-def: $vgpr1
	s_or_saveexec_b64 s[6:7], s[6:7]
	v_mov_b32_e32 v4, s10
	s_xor_b64 exec, exec, s[6:7]
	s_cbranch_execz .LBB57_2006
.LBB57_4056:
	v_cmp_ne_u16_e32 vcc, 0, v1
	s_andn2_b64 s[4:5], s[4:5], exec
	s_and_b64 s[8:9], vcc, exec
	v_mov_b32_e32 v4, 0
	s_or_b64 s[4:5], s[4:5], s[8:9]
	s_or_b64 exec, exec, s[6:7]
	s_and_saveexec_b64 s[6:7], s[4:5]
	s_cbranch_execnz .LBB57_2007
	s_branch .LBB57_2008
.LBB57_4057:
	s_movk_i32 s4, 0x80
	v_cmp_eq_u16_sdwa s[12:13], v6, s4 src0_sel:BYTE_3 src1_sel:DWORD
	s_mov_b64 s[4:5], -1
                                        ; implicit-def: $sgpr10
	s_and_saveexec_b64 s[8:9], s[12:13]
; %bb.4058:
	s_mov_b32 s10, 0x7f800001
	s_xor_b64 s[4:5], exec, -1
; %bb.4059:
	s_or_b64 exec, exec, s[8:9]
	s_and_b64 s[4:5], s[4:5], exec
	s_or_saveexec_b64 s[6:7], s[6:7]
	v_mov_b32_e32 v0, s10
	s_xor_b64 exec, exec, s[6:7]
	s_cbranch_execz .LBB57_2010
.LBB57_4060:
	v_mov_b32_e32 v0, 0
	v_cmp_ne_u16_sdwa s[8:9], v6, v0 src0_sel:BYTE_3 src1_sel:DWORD
	s_andn2_b64 s[4:5], s[4:5], exec
	s_and_b64 s[8:9], s[8:9], exec
	s_or_b64 s[4:5], s[4:5], s[8:9]
	s_or_b64 exec, exec, s[6:7]
	s_and_saveexec_b64 s[6:7], s[4:5]
	s_cbranch_execnz .LBB57_2011
	s_branch .LBB57_2012
.LBB57_4061:
	s_movk_i32 s4, 0x80
	v_cmp_eq_u16_sdwa s[12:13], v2, s4 src0_sel:BYTE_3 src1_sel:DWORD
	s_mov_b64 s[4:5], -1
                                        ; implicit-def: $sgpr10
	s_and_saveexec_b64 s[8:9], s[12:13]
; %bb.4062:
	s_mov_b32 s10, 0x7f800001
	s_xor_b64 s[4:5], exec, -1
; %bb.4063:
	s_or_b64 exec, exec, s[8:9]
	s_and_b64 s[4:5], s[4:5], exec
	s_or_saveexec_b64 s[6:7], s[6:7]
	v_mov_b32_e32 v1, s10
	s_xor_b64 exec, exec, s[6:7]
	s_cbranch_execz .LBB57_2014
.LBB57_4064:
	v_mov_b32_e32 v1, 0
	v_cmp_ne_u16_sdwa s[8:9], v2, v1 src0_sel:BYTE_3 src1_sel:DWORD
	s_andn2_b64 s[4:5], s[4:5], exec
	s_and_b64 s[8:9], s[8:9], exec
	s_or_b64 s[4:5], s[4:5], s[8:9]
	s_or_b64 exec, exec, s[6:7]
	s_and_saveexec_b64 s[6:7], s[4:5]
	s_cbranch_execnz .LBB57_2015
	s_branch .LBB57_2016
.LBB57_4065:
	s_movk_i32 s4, 0x80
	v_cmp_eq_u16_sdwa s[12:13], v7, s4 src0_sel:BYTE_0 src1_sel:DWORD
	s_mov_b64 s[4:5], -1
                                        ; implicit-def: $sgpr10
	s_and_saveexec_b64 s[8:9], s[12:13]
; %bb.4066:
	s_mov_b32 s10, 0x7f800001
	s_xor_b64 s[4:5], exec, -1
; %bb.4067:
	s_or_b64 exec, exec, s[8:9]
	s_and_b64 s[4:5], s[4:5], exec
	s_or_saveexec_b64 s[6:7], s[6:7]
	v_mov_b32_e32 v0, s10
	s_xor_b64 exec, exec, s[6:7]
	s_cbranch_execz .LBB57_2018
.LBB57_4068:
	v_mov_b32_e32 v0, 0
	v_cmp_ne_u16_sdwa s[8:9], v7, v0 src0_sel:BYTE_0 src1_sel:DWORD
	s_andn2_b64 s[4:5], s[4:5], exec
	s_and_b64 s[8:9], s[8:9], exec
	s_or_b64 s[4:5], s[4:5], s[8:9]
	s_or_b64 exec, exec, s[6:7]
	s_and_saveexec_b64 s[6:7], s[4:5]
	s_cbranch_execnz .LBB57_2019
	s_branch .LBB57_2020
.LBB57_4069:
	s_movk_i32 s4, 0x80
	v_cmp_eq_u16_sdwa s[12:13], v3, s4 src0_sel:BYTE_0 src1_sel:DWORD
	s_mov_b64 s[4:5], -1
                                        ; implicit-def: $sgpr10
	s_and_saveexec_b64 s[8:9], s[12:13]
; %bb.4070:
	s_mov_b32 s10, 0x7f800001
	s_xor_b64 s[4:5], exec, -1
; %bb.4071:
	s_or_b64 exec, exec, s[8:9]
	s_and_b64 s[4:5], s[4:5], exec
	s_or_saveexec_b64 s[6:7], s[6:7]
	v_mov_b32_e32 v1, s10
	s_xor_b64 exec, exec, s[6:7]
	s_cbranch_execz .LBB57_2022
.LBB57_4072:
	v_mov_b32_e32 v1, 0
	v_cmp_ne_u16_sdwa s[8:9], v3, v1 src0_sel:BYTE_0 src1_sel:DWORD
	s_andn2_b64 s[4:5], s[4:5], exec
	s_and_b64 s[8:9], s[8:9], exec
	s_or_b64 s[4:5], s[4:5], s[8:9]
	s_or_b64 exec, exec, s[6:7]
	s_and_saveexec_b64 s[6:7], s[4:5]
	s_cbranch_execnz .LBB57_2023
	s_branch .LBB57_2024
.LBB57_4073:
	s_movk_i32 s4, 0x80
	v_cmp_eq_u16_sdwa s[12:13], v1, s4 src0_sel:BYTE_0 src1_sel:DWORD
	s_mov_b64 s[4:5], -1
                                        ; implicit-def: $sgpr10
	s_and_saveexec_b64 s[8:9], s[12:13]
; %bb.4074:
	s_mov_b32 s10, 0x7f800001
	s_xor_b64 s[4:5], exec, -1
; %bb.4075:
	s_or_b64 exec, exec, s[8:9]
	s_and_b64 s[4:5], s[4:5], exec
	s_or_saveexec_b64 s[6:7], s[6:7]
	v_mov_b32_e32 v0, s10
	s_xor_b64 exec, exec, s[6:7]
	s_cbranch_execz .LBB57_2026
.LBB57_4076:
	v_mov_b32_e32 v0, 0
	v_cmp_ne_u16_sdwa s[8:9], v1, v0 src0_sel:BYTE_0 src1_sel:DWORD
	s_andn2_b64 s[4:5], s[4:5], exec
	s_and_b64 s[8:9], s[8:9], exec
	s_or_b64 s[4:5], s[4:5], s[8:9]
	s_or_b64 exec, exec, s[6:7]
	s_and_saveexec_b64 s[6:7], s[4:5]
	s_cbranch_execnz .LBB57_2027
	s_branch .LBB57_2028
.LBB57_4077:
	s_movk_i32 s4, 0x80
	v_cmp_eq_u16_sdwa s[12:13], v1, s4 src0_sel:BYTE_0 src1_sel:DWORD
	s_mov_b64 s[4:5], -1
                                        ; implicit-def: $sgpr10
	s_and_saveexec_b64 s[8:9], s[12:13]
; %bb.4078:
	s_mov_b32 s10, 0x7f800001
	s_xor_b64 s[4:5], exec, -1
; %bb.4079:
	s_or_b64 exec, exec, s[8:9]
	s_and_b64 s[4:5], s[4:5], exec
	s_or_saveexec_b64 s[6:7], s[6:7]
	v_mov_b32_e32 v2, s10
	s_xor_b64 exec, exec, s[6:7]
	s_cbranch_execz .LBB57_2030
.LBB57_4080:
	v_mov_b32_e32 v2, 0
	v_cmp_ne_u16_sdwa s[8:9], v1, v2 src0_sel:BYTE_0 src1_sel:DWORD
	s_andn2_b64 s[4:5], s[4:5], exec
	s_and_b64 s[8:9], s[8:9], exec
	s_or_b64 s[4:5], s[4:5], s[8:9]
	s_or_b64 exec, exec, s[6:7]
	s_and_saveexec_b64 s[6:7], s[4:5]
	s_cbranch_execnz .LBB57_2031
	s_branch .LBB57_2032
.LBB57_4081:
	s_movk_i32 s4, 0x80
	v_cmp_eq_u16_e32 vcc, s4, v1
	s_mov_b64 s[4:5], -1
                                        ; implicit-def: $sgpr10
	s_and_saveexec_b64 s[8:9], vcc
; %bb.4082:
	s_mov_b32 s10, 0x7f800001
	s_xor_b64 s[4:5], exec, -1
; %bb.4083:
	s_or_b64 exec, exec, s[8:9]
	s_and_b64 s[4:5], s[4:5], exec
                                        ; implicit-def: $vgpr1
	s_or_saveexec_b64 s[6:7], s[6:7]
	v_mov_b32_e32 v0, s10
	s_xor_b64 exec, exec, s[6:7]
	s_cbranch_execz .LBB57_2034
.LBB57_4084:
	v_cmp_ne_u16_e32 vcc, 0, v1
	s_andn2_b64 s[4:5], s[4:5], exec
	s_and_b64 s[8:9], vcc, exec
	v_mov_b32_e32 v0, 0
	s_or_b64 s[4:5], s[4:5], s[8:9]
	s_or_b64 exec, exec, s[6:7]
	s_and_saveexec_b64 s[6:7], s[4:5]
	s_cbranch_execnz .LBB57_2035
	s_branch .LBB57_2036
.LBB57_4085:
	s_movk_i32 s4, 0x80
	v_cmp_eq_u16_e32 vcc, s4, v1
	s_mov_b64 s[4:5], -1
                                        ; implicit-def: $sgpr10
	s_and_saveexec_b64 s[8:9], vcc
; %bb.4086:
	s_mov_b32 s10, 0x7f800001
	s_xor_b64 s[4:5], exec, -1
; %bb.4087:
	s_or_b64 exec, exec, s[8:9]
	s_and_b64 s[4:5], s[4:5], exec
                                        ; implicit-def: $vgpr1
	s_or_saveexec_b64 s[6:7], s[6:7]
	v_mov_b32_e32 v2, s10
	s_xor_b64 exec, exec, s[6:7]
	s_cbranch_execz .LBB57_2038
.LBB57_4088:
	v_cmp_ne_u16_e32 vcc, 0, v1
	s_andn2_b64 s[4:5], s[4:5], exec
	s_and_b64 s[8:9], vcc, exec
	v_mov_b32_e32 v2, 0
	s_or_b64 s[4:5], s[4:5], s[8:9]
	s_or_b64 exec, exec, s[6:7]
	s_and_saveexec_b64 s[6:7], s[4:5]
	s_cbranch_execnz .LBB57_2039
	s_branch .LBB57_2040
.LBB57_4089:
	s_movk_i32 s4, 0x80
	v_cmp_eq_u16_sdwa s[12:13], v7, s4 src0_sel:BYTE_3 src1_sel:DWORD
	s_mov_b64 s[4:5], -1
                                        ; implicit-def: $sgpr10
	s_and_saveexec_b64 s[8:9], s[12:13]
; %bb.4090:
	s_mov_b32 s10, 0x7f800001
	s_xor_b64 s[4:5], exec, -1
; %bb.4091:
	s_or_b64 exec, exec, s[8:9]
	s_and_b64 s[4:5], s[4:5], exec
	s_or_saveexec_b64 s[6:7], s[6:7]
	v_mov_b32_e32 v0, s10
	s_xor_b64 exec, exec, s[6:7]
	s_cbranch_execz .LBB57_2042
.LBB57_4092:
	v_mov_b32_e32 v0, 0
	v_cmp_ne_u16_sdwa s[8:9], v7, v0 src0_sel:BYTE_3 src1_sel:DWORD
	s_andn2_b64 s[4:5], s[4:5], exec
	s_and_b64 s[8:9], s[8:9], exec
	s_or_b64 s[4:5], s[4:5], s[8:9]
	s_or_b64 exec, exec, s[6:7]
	s_and_saveexec_b64 s[6:7], s[4:5]
	s_cbranch_execnz .LBB57_2043
	s_branch .LBB57_2044
.LBB57_4093:
	s_movk_i32 s4, 0x80
	v_cmp_eq_u16_sdwa s[12:13], v3, s4 src0_sel:BYTE_3 src1_sel:DWORD
	s_mov_b64 s[4:5], -1
                                        ; implicit-def: $sgpr10
	s_and_saveexec_b64 s[8:9], s[12:13]
; %bb.4094:
	s_mov_b32 s10, 0x7f800001
	s_xor_b64 s[4:5], exec, -1
; %bb.4095:
	s_or_b64 exec, exec, s[8:9]
	s_and_b64 s[4:5], s[4:5], exec
	s_or_saveexec_b64 s[6:7], s[6:7]
	v_mov_b32_e32 v1, s10
	s_xor_b64 exec, exec, s[6:7]
	s_cbranch_execz .LBB57_2046
.LBB57_4096:
	v_mov_b32_e32 v1, 0
	v_cmp_ne_u16_sdwa s[8:9], v3, v1 src0_sel:BYTE_3 src1_sel:DWORD
	s_andn2_b64 s[4:5], s[4:5], exec
	s_and_b64 s[8:9], s[8:9], exec
	s_or_b64 s[4:5], s[4:5], s[8:9]
	s_or_b64 exec, exec, s[6:7]
	s_and_saveexec_b64 s[6:7], s[4:5]
	s_cbranch_execnz .LBB57_2047
	s_branch .LBB57_2048
.Lfunc_end57:
	.size	_ZNK2ck6detail7applierIiJLi0ELi1ELi2ELi3ELi4ELi5ELi6ELi7EEEclIZNKS_11static_fordINS_8SequenceIJLi1ELi8EEEENS5_IJLi0ELi1EEEEEclIZZNKS_52BlockwiseGemmXdlops_pipeline_bpreshuffle_bdequant_v3ILNS_26BlockGemmPipelineSchedulerE0ELi256ENS_9f8_fnuz_tENS_7pk_i4_tESC_fNS_16TensorDescriptorINS_5TupleIJNS_5EmbedINSF_IJNS_17integral_constantIiLi8EEENSH_IiLi256EEENSH_IiLi16EEEEEENSF_IJSK_NSH_IiLi128EEENSH_IiLi1EEEEEELb0EEENS_3XorINSF_IJSJ_SI_EEELb1EEENS_11PassThroughISK_EENS_7UnMergeINSF_IJSI_SN_EEELb0EEENST_ISJ_EESU_NST_ISI_EENS_21Merge_v3_division_modINSF_IJSJ_SN_EEEEESU_EEENSF_IJNS5_IJLi0EEEENS5_IJLi2ELi1EEEENS5_IJLi3EEEENS5_IJLi5EEEENS5_IJLi4EEEENS5_IJLi6EEEENS5_IJLi7EEEENS5_IJLi9ELi8EEEENS5_IJLi10EEEEEEENSF_IJNS5_IJLi1ELi2ELi3EEEENS5_IJLi4ELi5EEEES19_NS5_IJLi7ELi8EEEENS5_IJLi9EEEES1C_NS5_IJLi11EEEENS5_IJLi12EEEENS5_IJLi13EEEEEEENS5_IJLi11ELi12ELi13EEEENSH_IlLl32768EEEEENSE_INSF_IJNSV_INSF_IJSI_SN_SN_NSH_IiLi32EEEEEELb0EEEEEENSF_IJS14_EEENSF_IJNS5_IJLi1ELi2ELi3ELi4EEEEEEES1U_NSH_IlLl256EEEEENSE_INSF_IJSP_SS_SU_SX_SY_SU_SZ_S12_SU_NS10_INSF_IJSI_SK_EEEEENSV_INSF_IJSI_NSH_IiLi2EEESK_EEELb0EEEEEENSF_IJS14_S15_S16_S17_S18_S19_S1A_S1B_S1C_NS5_IJLi11ELi13EEEES1J_EEENSF_IJS1E_S1F_S19_S1G_S1H_S1C_S1I_S1J_S1K_NS5_IJLi14EEEENS5_IJLi15ELi16ELi17EEEEEEENS5_IJLi15ELi16ELi17ELi14EEEES1N_EENSE_INSF_IJS1R_NS10_ISW_EES22_EEENSF_IJS14_NS5_IJLi1ELi3EEEENS5_IJLi2EEEEEEENSF_IJS1U_S17_NS5_IJLi6ELi7ELi8EEEEEEENS5_IJLi6ELi7ELi8ELi5EEEES1W_EELi16ELi32ELi256ELi256ELi128ELi16ELi16ELi8ELi8ELi32ELb0EE3RunILb1ELNS_10TailNumberE1ENSE_INSF_IJNSG_INSF_IJiiEEENSF_IJiSN_EEELb0EEENSV_IS2N_Lb0EEENST_IiEEEEENSF_IJS14_S2E_NS5_IJLi1EEEEEEENSF_IJNS5_IJLi1ELi2EEEENS5_IJLi3ELi4EEEES17_EEENS5_IJLi3ELi5ELi4EEEElEES1O_NS_35ThreadGroupTensorSliceTransfer_v4r1INS_15ThisThreadBlockILi256EEENS_16tensor_operation12element_wise11PassThroughES35_LNS_25InMemoryDataOperationEnumE0ENS5_IJLi8ELi256ELi16EEEENS5_IJLi8ELi32ELi1EEEENS5_IJLi1ELi0ELi2EEEESC_SC_RKS2Z_KS1O_S39_NS5_IJLi0ELi1ELi2EEEELi2ELi2ELi16ELi16ELi1ELi1ELb0ELb1ELi2EiEENS_13DynamicBufferILNS_16AddressSpaceEnumE1EKSC_lLb1ELNS_22AmdBufferCoherenceEnumE0EiEENSF_IJNS3F_ILS3G_2ESC_S1N_Lb1ELS3I_0EiEES3K_EEENSF_IJiiiEEENSE_INSF_IJNSG_INSF_IJiiiiEEENSF_IJiiiSN_EEELb0EEEEEES1T_S1V_S1U_lEENS_32ThreadwiseTensorSliceTransfer_v2ISD_SD_RKS3R_KS1X_NS5_IJLi8ELi1ELi1ELi32EEEENS5_IJLi1ELi2ELi0ELi3EEEELi3ELi32ELi0ELb1ELb0ELb0EEENS3F_ILS3G_1EKSD_lLb1ELS3I_0EiEENSF_IJNS_12StaticBufferILS3G_4ESD_Li256ELb1EEES42_EEES3N_NS_25StaticBufferTupleOfVectorILS3G_4EfLi64ELi4ELb1ELb0EEEEEvRKT1_RKT2_RT3_RKT4_RT5_RKT6_RKT7_RT8_RKT9_RT10_RKT11_RT12_iENKUlT_E1_clINSH_IiLi5EEEEEDaS51_EUlS51_E_EEvS51_EUlS51_E_EEvS51_, .Lfunc_end57-_ZNK2ck6detail7applierIiJLi0ELi1ELi2ELi3ELi4ELi5ELi6ELi7EEEclIZNKS_11static_fordINS_8SequenceIJLi1ELi8EEEENS5_IJLi0ELi1EEEEEclIZZNKS_52BlockwiseGemmXdlops_pipeline_bpreshuffle_bdequant_v3ILNS_26BlockGemmPipelineSchedulerE0ELi256ENS_9f8_fnuz_tENS_7pk_i4_tESC_fNS_16TensorDescriptorINS_5TupleIJNS_5EmbedINSF_IJNS_17integral_constantIiLi8EEENSH_IiLi256EEENSH_IiLi16EEEEEENSF_IJSK_NSH_IiLi128EEENSH_IiLi1EEEEEELb0EEENS_3XorINSF_IJSJ_SI_EEELb1EEENS_11PassThroughISK_EENS_7UnMergeINSF_IJSI_SN_EEELb0EEENST_ISJ_EESU_NST_ISI_EENS_21Merge_v3_division_modINSF_IJSJ_SN_EEEEESU_EEENSF_IJNS5_IJLi0EEEENS5_IJLi2ELi1EEEENS5_IJLi3EEEENS5_IJLi5EEEENS5_IJLi4EEEENS5_IJLi6EEEENS5_IJLi7EEEENS5_IJLi9ELi8EEEENS5_IJLi10EEEEEEENSF_IJNS5_IJLi1ELi2ELi3EEEENS5_IJLi4ELi5EEEES19_NS5_IJLi7ELi8EEEENS5_IJLi9EEEES1C_NS5_IJLi11EEEENS5_IJLi12EEEENS5_IJLi13EEEEEEENS5_IJLi11ELi12ELi13EEEENSH_IlLl32768EEEEENSE_INSF_IJNSV_INSF_IJSI_SN_SN_NSH_IiLi32EEEEEELb0EEEEEENSF_IJS14_EEENSF_IJNS5_IJLi1ELi2ELi3ELi4EEEEEEES1U_NSH_IlLl256EEEEENSE_INSF_IJSP_SS_SU_SX_SY_SU_SZ_S12_SU_NS10_INSF_IJSI_SK_EEEEENSV_INSF_IJSI_NSH_IiLi2EEESK_EEELb0EEEEEENSF_IJS14_S15_S16_S17_S18_S19_S1A_S1B_S1C_NS5_IJLi11ELi13EEEES1J_EEENSF_IJS1E_S1F_S19_S1G_S1H_S1C_S1I_S1J_S1K_NS5_IJLi14EEEENS5_IJLi15ELi16ELi17EEEEEEENS5_IJLi15ELi16ELi17ELi14EEEES1N_EENSE_INSF_IJS1R_NS10_ISW_EES22_EEENSF_IJS14_NS5_IJLi1ELi3EEEENS5_IJLi2EEEEEEENSF_IJS1U_S17_NS5_IJLi6ELi7ELi8EEEEEEENS5_IJLi6ELi7ELi8ELi5EEEES1W_EELi16ELi32ELi256ELi256ELi128ELi16ELi16ELi8ELi8ELi32ELb0EE3RunILb1ELNS_10TailNumberE1ENSE_INSF_IJNSG_INSF_IJiiEEENSF_IJiSN_EEELb0EEENSV_IS2N_Lb0EEENST_IiEEEEENSF_IJS14_S2E_NS5_IJLi1EEEEEEENSF_IJNS5_IJLi1ELi2EEEENS5_IJLi3ELi4EEEES17_EEENS5_IJLi3ELi5ELi4EEEElEES1O_NS_35ThreadGroupTensorSliceTransfer_v4r1INS_15ThisThreadBlockILi256EEENS_16tensor_operation12element_wise11PassThroughES35_LNS_25InMemoryDataOperationEnumE0ENS5_IJLi8ELi256ELi16EEEENS5_IJLi8ELi32ELi1EEEENS5_IJLi1ELi0ELi2EEEESC_SC_RKS2Z_KS1O_S39_NS5_IJLi0ELi1ELi2EEEELi2ELi2ELi16ELi16ELi1ELi1ELb0ELb1ELi2EiEENS_13DynamicBufferILNS_16AddressSpaceEnumE1EKSC_lLb1ELNS_22AmdBufferCoherenceEnumE0EiEENSF_IJNS3F_ILS3G_2ESC_S1N_Lb1ELS3I_0EiEES3K_EEENSF_IJiiiEEENSE_INSF_IJNSG_INSF_IJiiiiEEENSF_IJiiiSN_EEELb0EEEEEES1T_S1V_S1U_lEENS_32ThreadwiseTensorSliceTransfer_v2ISD_SD_RKS3R_KS1X_NS5_IJLi8ELi1ELi1ELi32EEEENS5_IJLi1ELi2ELi0ELi3EEEELi3ELi32ELi0ELb1ELb0ELb0EEENS3F_ILS3G_1EKSD_lLb1ELS3I_0EiEENSF_IJNS_12StaticBufferILS3G_4ESD_Li256ELb1EEES42_EEES3N_NS_25StaticBufferTupleOfVectorILS3G_4EfLi64ELi4ELb1ELb0EEEEEvRKT1_RKT2_RT3_RKT4_RT5_RKT6_RKT7_RT8_RKT9_RT10_RKT11_RT12_iENKUlT_E1_clINSH_IiLi5EEEEEDaS51_EUlS51_E_EEvS51_EUlS51_E_EEvS51_
                                        ; -- End function
	.section	.AMDGPU.csdata,"",@progbits
; Function info:
; codeLenInByte = 133608
; NumSgprs: 36
; NumVgprs: 26
; NumAgprs: 4
; TotalNumVgprs: 32
; ScratchSize: 0
; MemoryBound: 1
	.text
	.p2align	2                               ; -- Begin function _ZNK2ck6detail7applierIiJLi0ELi1ELi2ELi3ELi4ELi5ELi6ELi7EEEclIZNKS_11static_fordINS_8SequenceIJLi1ELi8EEEENS5_IJLi0ELi1EEEEEclIZZNKS_52BlockwiseGemmXdlops_pipeline_bpreshuffle_bdequant_v3ILNS_26BlockGemmPipelineSchedulerE0ELi256ENS_9f8_fnuz_tENS_7pk_i4_tESC_fNS_16TensorDescriptorINS_5TupleIJNS_5EmbedINSF_IJNS_17integral_constantIiLi8EEENSH_IiLi256EEENSH_IiLi16EEEEEENSF_IJSK_NSH_IiLi128EEENSH_IiLi1EEEEEELb0EEENS_3XorINSF_IJSJ_SI_EEELb1EEENS_11PassThroughISK_EENS_7UnMergeINSF_IJSI_SN_EEELb0EEENST_ISJ_EESU_NST_ISI_EENS_21Merge_v3_division_modINSF_IJSJ_SN_EEEEESU_EEENSF_IJNS5_IJLi0EEEENS5_IJLi2ELi1EEEENS5_IJLi3EEEENS5_IJLi5EEEENS5_IJLi4EEEENS5_IJLi6EEEENS5_IJLi7EEEENS5_IJLi9ELi8EEEENS5_IJLi10EEEEEEENSF_IJNS5_IJLi1ELi2ELi3EEEENS5_IJLi4ELi5EEEES19_NS5_IJLi7ELi8EEEENS5_IJLi9EEEES1C_NS5_IJLi11EEEENS5_IJLi12EEEENS5_IJLi13EEEEEEENS5_IJLi11ELi12ELi13EEEENSH_IlLl32768EEEEENSE_INSF_IJNSV_INSF_IJSI_SN_SN_NSH_IiLi32EEEEEELb0EEEEEENSF_IJS14_EEENSF_IJNS5_IJLi1ELi2ELi3ELi4EEEEEEES1U_NSH_IlLl256EEEEENSE_INSF_IJSP_SS_SU_SX_SY_SU_SZ_S12_SU_NS10_INSF_IJSI_SK_EEEEENSV_INSF_IJSI_NSH_IiLi2EEESK_EEELb0EEEEEENSF_IJS14_S15_S16_S17_S18_S19_S1A_S1B_S1C_NS5_IJLi11ELi13EEEES1J_EEENSF_IJS1E_S1F_S19_S1G_S1H_S1C_S1I_S1J_S1K_NS5_IJLi14EEEENS5_IJLi15ELi16ELi17EEEEEEENS5_IJLi15ELi16ELi17ELi14EEEES1N_EENSE_INSF_IJS1R_NS10_ISW_EES22_EEENSF_IJS14_NS5_IJLi1ELi3EEEENS5_IJLi2EEEEEEENSF_IJS1U_S17_NS5_IJLi6ELi7ELi8EEEEEEENS5_IJLi6ELi7ELi8ELi5EEEES1W_EELi16ELi32ELi256ELi256ELi128ELi16ELi16ELi8ELi8ELi32ELb0EE3RunILb1ELNS_10TailNumberE1ENSE_INSF_IJNSG_INSF_IJiiEEENSF_IJiSN_EEELb0EEENSV_IS2N_Lb0EEENST_IiEEEEENSF_IJS14_S2E_NS5_IJLi1EEEEEEENSF_IJNS5_IJLi1ELi2EEEENS5_IJLi3ELi4EEEES17_EEENS5_IJLi3ELi5ELi4EEEElEES1O_NS_35ThreadGroupTensorSliceTransfer_v4r1INS_15ThisThreadBlockILi256EEENS_16tensor_operation12element_wise11PassThroughES35_LNS_25InMemoryDataOperationEnumE0ENS5_IJLi8ELi256ELi16EEEENS5_IJLi8ELi32ELi1EEEENS5_IJLi1ELi0ELi2EEEESC_SC_RKS2Z_KS1O_S39_NS5_IJLi0ELi1ELi2EEEELi2ELi2ELi16ELi16ELi1ELi1ELb0ELb1ELi2EiEENS_13DynamicBufferILNS_16AddressSpaceEnumE1EKSC_lLb1ELNS_22AmdBufferCoherenceEnumE0EiEENSF_IJNS3F_ILS3G_2ESC_S1N_Lb1ELS3I_0EiEES3K_EEENSF_IJiiiEEENSE_INSF_IJNSG_INSF_IJiiiiEEENSF_IJiiiSN_EEELb0EEEEEES1T_S1V_S1U_lEENS_32ThreadwiseTensorSliceTransfer_v2ISD_SD_RKS3R_KS1X_NS5_IJLi8ELi1ELi1ELi32EEEENS5_IJLi1ELi2ELi0ELi3EEEELi3ELi32ELi0ELb1ELb0ELb0EEENS3F_ILS3G_1EKSD_lLb1ELS3I_0EiEENSF_IJNS_12StaticBufferILS3G_4ESD_Li256ELb1EEES42_EEES3N_NS_25StaticBufferTupleOfVectorILS3G_4EfLi64ELi4ELb1ELb0EEEEEvRKT1_RKT2_RT3_RKT4_RT5_RKT6_RKT7_RT8_RKT9_RT10_RKT11_RT12_iENKUlT_E1_clINSH_IiLi6EEEEEDaS51_EUlS51_E_EEvS51_EUlS51_E_EEvS51_
	.type	_ZNK2ck6detail7applierIiJLi0ELi1ELi2ELi3ELi4ELi5ELi6ELi7EEEclIZNKS_11static_fordINS_8SequenceIJLi1ELi8EEEENS5_IJLi0ELi1EEEEEclIZZNKS_52BlockwiseGemmXdlops_pipeline_bpreshuffle_bdequant_v3ILNS_26BlockGemmPipelineSchedulerE0ELi256ENS_9f8_fnuz_tENS_7pk_i4_tESC_fNS_16TensorDescriptorINS_5TupleIJNS_5EmbedINSF_IJNS_17integral_constantIiLi8EEENSH_IiLi256EEENSH_IiLi16EEEEEENSF_IJSK_NSH_IiLi128EEENSH_IiLi1EEEEEELb0EEENS_3XorINSF_IJSJ_SI_EEELb1EEENS_11PassThroughISK_EENS_7UnMergeINSF_IJSI_SN_EEELb0EEENST_ISJ_EESU_NST_ISI_EENS_21Merge_v3_division_modINSF_IJSJ_SN_EEEEESU_EEENSF_IJNS5_IJLi0EEEENS5_IJLi2ELi1EEEENS5_IJLi3EEEENS5_IJLi5EEEENS5_IJLi4EEEENS5_IJLi6EEEENS5_IJLi7EEEENS5_IJLi9ELi8EEEENS5_IJLi10EEEEEEENSF_IJNS5_IJLi1ELi2ELi3EEEENS5_IJLi4ELi5EEEES19_NS5_IJLi7ELi8EEEENS5_IJLi9EEEES1C_NS5_IJLi11EEEENS5_IJLi12EEEENS5_IJLi13EEEEEEENS5_IJLi11ELi12ELi13EEEENSH_IlLl32768EEEEENSE_INSF_IJNSV_INSF_IJSI_SN_SN_NSH_IiLi32EEEEEELb0EEEEEENSF_IJS14_EEENSF_IJNS5_IJLi1ELi2ELi3ELi4EEEEEEES1U_NSH_IlLl256EEEEENSE_INSF_IJSP_SS_SU_SX_SY_SU_SZ_S12_SU_NS10_INSF_IJSI_SK_EEEEENSV_INSF_IJSI_NSH_IiLi2EEESK_EEELb0EEEEEENSF_IJS14_S15_S16_S17_S18_S19_S1A_S1B_S1C_NS5_IJLi11ELi13EEEES1J_EEENSF_IJS1E_S1F_S19_S1G_S1H_S1C_S1I_S1J_S1K_NS5_IJLi14EEEENS5_IJLi15ELi16ELi17EEEEEEENS5_IJLi15ELi16ELi17ELi14EEEES1N_EENSE_INSF_IJS1R_NS10_ISW_EES22_EEENSF_IJS14_NS5_IJLi1ELi3EEEENS5_IJLi2EEEEEEENSF_IJS1U_S17_NS5_IJLi6ELi7ELi8EEEEEEENS5_IJLi6ELi7ELi8ELi5EEEES1W_EELi16ELi32ELi256ELi256ELi128ELi16ELi16ELi8ELi8ELi32ELb0EE3RunILb1ELNS_10TailNumberE1ENSE_INSF_IJNSG_INSF_IJiiEEENSF_IJiSN_EEELb0EEENSV_IS2N_Lb0EEENST_IiEEEEENSF_IJS14_S2E_NS5_IJLi1EEEEEEENSF_IJNS5_IJLi1ELi2EEEENS5_IJLi3ELi4EEEES17_EEENS5_IJLi3ELi5ELi4EEEElEES1O_NS_35ThreadGroupTensorSliceTransfer_v4r1INS_15ThisThreadBlockILi256EEENS_16tensor_operation12element_wise11PassThroughES35_LNS_25InMemoryDataOperationEnumE0ENS5_IJLi8ELi256ELi16EEEENS5_IJLi8ELi32ELi1EEEENS5_IJLi1ELi0ELi2EEEESC_SC_RKS2Z_KS1O_S39_NS5_IJLi0ELi1ELi2EEEELi2ELi2ELi16ELi16ELi1ELi1ELb0ELb1ELi2EiEENS_13DynamicBufferILNS_16AddressSpaceEnumE1EKSC_lLb1ELNS_22AmdBufferCoherenceEnumE0EiEENSF_IJNS3F_ILS3G_2ESC_S1N_Lb1ELS3I_0EiEES3K_EEENSF_IJiiiEEENSE_INSF_IJNSG_INSF_IJiiiiEEENSF_IJiiiSN_EEELb0EEEEEES1T_S1V_S1U_lEENS_32ThreadwiseTensorSliceTransfer_v2ISD_SD_RKS3R_KS1X_NS5_IJLi8ELi1ELi1ELi32EEEENS5_IJLi1ELi2ELi0ELi3EEEELi3ELi32ELi0ELb1ELb0ELb0EEENS3F_ILS3G_1EKSD_lLb1ELS3I_0EiEENSF_IJNS_12StaticBufferILS3G_4ESD_Li256ELb1EEES42_EEES3N_NS_25StaticBufferTupleOfVectorILS3G_4EfLi64ELi4ELb1ELb0EEEEEvRKT1_RKT2_RT3_RKT4_RT5_RKT6_RKT7_RT8_RKT9_RT10_RKT11_RT12_iENKUlT_E1_clINSH_IiLi6EEEEEDaS51_EUlS51_E_EEvS51_EUlS51_E_EEvS51_,@function
_ZNK2ck6detail7applierIiJLi0ELi1ELi2ELi3ELi4ELi5ELi6ELi7EEEclIZNKS_11static_fordINS_8SequenceIJLi1ELi8EEEENS5_IJLi0ELi1EEEEEclIZZNKS_52BlockwiseGemmXdlops_pipeline_bpreshuffle_bdequant_v3ILNS_26BlockGemmPipelineSchedulerE0ELi256ENS_9f8_fnuz_tENS_7pk_i4_tESC_fNS_16TensorDescriptorINS_5TupleIJNS_5EmbedINSF_IJNS_17integral_constantIiLi8EEENSH_IiLi256EEENSH_IiLi16EEEEEENSF_IJSK_NSH_IiLi128EEENSH_IiLi1EEEEEELb0EEENS_3XorINSF_IJSJ_SI_EEELb1EEENS_11PassThroughISK_EENS_7UnMergeINSF_IJSI_SN_EEELb0EEENST_ISJ_EESU_NST_ISI_EENS_21Merge_v3_division_modINSF_IJSJ_SN_EEEEESU_EEENSF_IJNS5_IJLi0EEEENS5_IJLi2ELi1EEEENS5_IJLi3EEEENS5_IJLi5EEEENS5_IJLi4EEEENS5_IJLi6EEEENS5_IJLi7EEEENS5_IJLi9ELi8EEEENS5_IJLi10EEEEEEENSF_IJNS5_IJLi1ELi2ELi3EEEENS5_IJLi4ELi5EEEES19_NS5_IJLi7ELi8EEEENS5_IJLi9EEEES1C_NS5_IJLi11EEEENS5_IJLi12EEEENS5_IJLi13EEEEEEENS5_IJLi11ELi12ELi13EEEENSH_IlLl32768EEEEENSE_INSF_IJNSV_INSF_IJSI_SN_SN_NSH_IiLi32EEEEEELb0EEEEEENSF_IJS14_EEENSF_IJNS5_IJLi1ELi2ELi3ELi4EEEEEEES1U_NSH_IlLl256EEEEENSE_INSF_IJSP_SS_SU_SX_SY_SU_SZ_S12_SU_NS10_INSF_IJSI_SK_EEEEENSV_INSF_IJSI_NSH_IiLi2EEESK_EEELb0EEEEEENSF_IJS14_S15_S16_S17_S18_S19_S1A_S1B_S1C_NS5_IJLi11ELi13EEEES1J_EEENSF_IJS1E_S1F_S19_S1G_S1H_S1C_S1I_S1J_S1K_NS5_IJLi14EEEENS5_IJLi15ELi16ELi17EEEEEEENS5_IJLi15ELi16ELi17ELi14EEEES1N_EENSE_INSF_IJS1R_NS10_ISW_EES22_EEENSF_IJS14_NS5_IJLi1ELi3EEEENS5_IJLi2EEEEEEENSF_IJS1U_S17_NS5_IJLi6ELi7ELi8EEEEEEENS5_IJLi6ELi7ELi8ELi5EEEES1W_EELi16ELi32ELi256ELi256ELi128ELi16ELi16ELi8ELi8ELi32ELb0EE3RunILb1ELNS_10TailNumberE1ENSE_INSF_IJNSG_INSF_IJiiEEENSF_IJiSN_EEELb0EEENSV_IS2N_Lb0EEENST_IiEEEEENSF_IJS14_S2E_NS5_IJLi1EEEEEEENSF_IJNS5_IJLi1ELi2EEEENS5_IJLi3ELi4EEEES17_EEENS5_IJLi3ELi5ELi4EEEElEES1O_NS_35ThreadGroupTensorSliceTransfer_v4r1INS_15ThisThreadBlockILi256EEENS_16tensor_operation12element_wise11PassThroughES35_LNS_25InMemoryDataOperationEnumE0ENS5_IJLi8ELi256ELi16EEEENS5_IJLi8ELi32ELi1EEEENS5_IJLi1ELi0ELi2EEEESC_SC_RKS2Z_KS1O_S39_NS5_IJLi0ELi1ELi2EEEELi2ELi2ELi16ELi16ELi1ELi1ELb0ELb1ELi2EiEENS_13DynamicBufferILNS_16AddressSpaceEnumE1EKSC_lLb1ELNS_22AmdBufferCoherenceEnumE0EiEENSF_IJNS3F_ILS3G_2ESC_S1N_Lb1ELS3I_0EiEES3K_EEENSF_IJiiiEEENSE_INSF_IJNSG_INSF_IJiiiiEEENSF_IJiiiSN_EEELb0EEEEEES1T_S1V_S1U_lEENS_32ThreadwiseTensorSliceTransfer_v2ISD_SD_RKS3R_KS1X_NS5_IJLi8ELi1ELi1ELi32EEEENS5_IJLi1ELi2ELi0ELi3EEEELi3ELi32ELi0ELb1ELb0ELb0EEENS3F_ILS3G_1EKSD_lLb1ELS3I_0EiEENSF_IJNS_12StaticBufferILS3G_4ESD_Li256ELb1EEES42_EEES3N_NS_25StaticBufferTupleOfVectorILS3G_4EfLi64ELi4ELb1ELb0EEEEEvRKT1_RKT2_RT3_RKT4_RT5_RKT6_RKT7_RT8_RKT9_RT10_RKT11_RT12_iENKUlT_E1_clINSH_IiLi6EEEEEDaS51_EUlS51_E_EEvS51_EUlS51_E_EEvS51_: ; @_ZNK2ck6detail7applierIiJLi0ELi1ELi2ELi3ELi4ELi5ELi6ELi7EEEclIZNKS_11static_fordINS_8SequenceIJLi1ELi8EEEENS5_IJLi0ELi1EEEEEclIZZNKS_52BlockwiseGemmXdlops_pipeline_bpreshuffle_bdequant_v3ILNS_26BlockGemmPipelineSchedulerE0ELi256ENS_9f8_fnuz_tENS_7pk_i4_tESC_fNS_16TensorDescriptorINS_5TupleIJNS_5EmbedINSF_IJNS_17integral_constantIiLi8EEENSH_IiLi256EEENSH_IiLi16EEEEEENSF_IJSK_NSH_IiLi128EEENSH_IiLi1EEEEEELb0EEENS_3XorINSF_IJSJ_SI_EEELb1EEENS_11PassThroughISK_EENS_7UnMergeINSF_IJSI_SN_EEELb0EEENST_ISJ_EESU_NST_ISI_EENS_21Merge_v3_division_modINSF_IJSJ_SN_EEEEESU_EEENSF_IJNS5_IJLi0EEEENS5_IJLi2ELi1EEEENS5_IJLi3EEEENS5_IJLi5EEEENS5_IJLi4EEEENS5_IJLi6EEEENS5_IJLi7EEEENS5_IJLi9ELi8EEEENS5_IJLi10EEEEEEENSF_IJNS5_IJLi1ELi2ELi3EEEENS5_IJLi4ELi5EEEES19_NS5_IJLi7ELi8EEEENS5_IJLi9EEEES1C_NS5_IJLi11EEEENS5_IJLi12EEEENS5_IJLi13EEEEEEENS5_IJLi11ELi12ELi13EEEENSH_IlLl32768EEEEENSE_INSF_IJNSV_INSF_IJSI_SN_SN_NSH_IiLi32EEEEEELb0EEEEEENSF_IJS14_EEENSF_IJNS5_IJLi1ELi2ELi3ELi4EEEEEEES1U_NSH_IlLl256EEEEENSE_INSF_IJSP_SS_SU_SX_SY_SU_SZ_S12_SU_NS10_INSF_IJSI_SK_EEEEENSV_INSF_IJSI_NSH_IiLi2EEESK_EEELb0EEEEEENSF_IJS14_S15_S16_S17_S18_S19_S1A_S1B_S1C_NS5_IJLi11ELi13EEEES1J_EEENSF_IJS1E_S1F_S19_S1G_S1H_S1C_S1I_S1J_S1K_NS5_IJLi14EEEENS5_IJLi15ELi16ELi17EEEEEEENS5_IJLi15ELi16ELi17ELi14EEEES1N_EENSE_INSF_IJS1R_NS10_ISW_EES22_EEENSF_IJS14_NS5_IJLi1ELi3EEEENS5_IJLi2EEEEEEENSF_IJS1U_S17_NS5_IJLi6ELi7ELi8EEEEEEENS5_IJLi6ELi7ELi8ELi5EEEES1W_EELi16ELi32ELi256ELi256ELi128ELi16ELi16ELi8ELi8ELi32ELb0EE3RunILb1ELNS_10TailNumberE1ENSE_INSF_IJNSG_INSF_IJiiEEENSF_IJiSN_EEELb0EEENSV_IS2N_Lb0EEENST_IiEEEEENSF_IJS14_S2E_NS5_IJLi1EEEEEEENSF_IJNS5_IJLi1ELi2EEEENS5_IJLi3ELi4EEEES17_EEENS5_IJLi3ELi5ELi4EEEElEES1O_NS_35ThreadGroupTensorSliceTransfer_v4r1INS_15ThisThreadBlockILi256EEENS_16tensor_operation12element_wise11PassThroughES35_LNS_25InMemoryDataOperationEnumE0ENS5_IJLi8ELi256ELi16EEEENS5_IJLi8ELi32ELi1EEEENS5_IJLi1ELi0ELi2EEEESC_SC_RKS2Z_KS1O_S39_NS5_IJLi0ELi1ELi2EEEELi2ELi2ELi16ELi16ELi1ELi1ELb0ELb1ELi2EiEENS_13DynamicBufferILNS_16AddressSpaceEnumE1EKSC_lLb1ELNS_22AmdBufferCoherenceEnumE0EiEENSF_IJNS3F_ILS3G_2ESC_S1N_Lb1ELS3I_0EiEES3K_EEENSF_IJiiiEEENSE_INSF_IJNSG_INSF_IJiiiiEEENSF_IJiiiSN_EEELb0EEEEEES1T_S1V_S1U_lEENS_32ThreadwiseTensorSliceTransfer_v2ISD_SD_RKS3R_KS1X_NS5_IJLi8ELi1ELi1ELi32EEEENS5_IJLi1ELi2ELi0ELi3EEEELi3ELi32ELi0ELb1ELb0ELb0EEENS3F_ILS3G_1EKSD_lLb1ELS3I_0EiEENSF_IJNS_12StaticBufferILS3G_4ESD_Li256ELb1EEES42_EEES3N_NS_25StaticBufferTupleOfVectorILS3G_4EfLi64ELi4ELb1ELb0EEEEEvRKT1_RKT2_RT3_RKT4_RT5_RKT6_RKT7_RT8_RKT9_RT10_RKT11_RT12_iENKUlT_E1_clINSH_IiLi6EEEEEDaS51_EUlS51_E_EEvS51_EUlS51_E_EEvS51_
; %bb.0:
	s_waitcnt vmcnt(0) expcnt(0) lgkmcnt(0)
	flat_load_dwordx4 v[20:23], v[0:1] offset:8
	flat_load_dwordx2 v[18:19], v[0:1] offset:24
	s_movk_i32 s4, 0x7f
                                        ; implicit-def: $sgpr10
	s_waitcnt vmcnt(0) lgkmcnt(0)
	flat_load_dwordx4 v[14:17], v[20:21]
	flat_load_dwordx4 v[6:9], v[20:21] offset:16
	flat_load_dwordx4 v[10:13], v[22:23] offset:256
	;; [unrolled: 1-line block ×3, first 2 shown]
	s_waitcnt vmcnt(0) lgkmcnt(0)
	v_cmp_gt_i16_sdwa s[6:7], v14, s4 src0_sel:BYTE_0 src1_sel:DWORD
	s_mov_b64 s[4:5], 0
	s_and_saveexec_b64 s[8:9], s[6:7]
	s_xor_b64 s[6:7], exec, s[8:9]
	s_cbranch_execnz .LBB58_2049
; %bb.1:
	s_or_saveexec_b64 s[6:7], s[6:7]
	v_mov_b32_e32 v20, s10
	s_xor_b64 exec, exec, s[6:7]
	s_cbranch_execnz .LBB58_2052
.LBB58_2:
	s_or_b64 exec, exec, s[6:7]
	s_and_saveexec_b64 s[6:7], s[4:5]
	s_cbranch_execz .LBB58_4
.LBB58_3:
	v_and_b32_e32 v20, 7, v14
	v_ffbh_u32_e32 v22, v20
	v_min_u32_e32 v22, 32, v22
	v_lshrrev_b16_e32 v21, 3, v14
	v_subrev_u32_e32 v23, 28, v22
	v_and_b32_e32 v21, 15, v21
	v_lshlrev_b32_e32 v23, v23, v14
	v_sub_u32_e32 v22, 29, v22
	v_and_b32_e32 v23, 7, v23
	v_cmp_eq_u16_e32 vcc, 0, v21
	v_cndmask_b32_e32 v20, v20, v23, vcc
	v_cndmask_b32_e32 v21, v21, v22, vcc
	v_lshlrev_b32_e32 v22, 24, v14
	v_mov_b32_e32 v23, 0x3b800000
	v_lshlrev_b32_e32 v20, 20, v20
	v_and_b32_e32 v22, 0x80000000, v22
	v_lshl_add_u32 v21, v21, 23, v23
	v_or3_b32 v20, v22, v21, v20
.LBB58_4:
	s_or_b64 exec, exec, s[6:7]
	s_movk_i32 s4, 0x7f
	v_cmp_gt_i16_sdwa s[6:7], v10, s4 src0_sel:BYTE_0 src1_sel:DWORD
	s_mov_b64 s[4:5], 0
                                        ; implicit-def: $sgpr10
	s_and_saveexec_b64 s[8:9], s[6:7]
	s_xor_b64 s[6:7], exec, s[8:9]
	s_cbranch_execnz .LBB58_2053
; %bb.5:
	s_or_saveexec_b64 s[6:7], s[6:7]
	v_mov_b32_e32 v21, s10
	s_xor_b64 exec, exec, s[6:7]
	s_cbranch_execnz .LBB58_2056
.LBB58_6:
	s_or_b64 exec, exec, s[6:7]
	s_and_saveexec_b64 s[6:7], s[4:5]
	s_cbranch_execz .LBB58_8
.LBB58_7:
	v_and_b32_e32 v21, 7, v10
	v_ffbh_u32_e32 v23, v21
	v_min_u32_e32 v23, 32, v23
	v_lshrrev_b16_e32 v22, 3, v10
	v_subrev_u32_e32 v24, 28, v23
	v_and_b32_e32 v22, 15, v22
	v_lshlrev_b32_e32 v24, v24, v10
	v_sub_u32_e32 v23, 29, v23
	v_and_b32_e32 v24, 7, v24
	v_cmp_eq_u16_e32 vcc, 0, v22
	v_cndmask_b32_e32 v21, v21, v24, vcc
	v_cndmask_b32_e32 v22, v22, v23, vcc
	v_lshlrev_b32_e32 v23, 24, v10
	v_mov_b32_e32 v24, 0x3b800000
	v_lshlrev_b32_e32 v21, 20, v21
	v_and_b32_e32 v23, 0x80000000, v23
	v_lshl_add_u32 v22, v22, 23, v24
	v_or3_b32 v21, v23, v22, v21
.LBB58_8:
	s_or_b64 exec, exec, s[6:7]
	flat_load_dwordx4 a[0:3], v[18:19] offset:768
	s_movk_i32 s4, 0x7f
                                        ; implicit-def: $sgpr10
	s_waitcnt vmcnt(0) lgkmcnt(0)
	v_mfma_f32_16x16x4f32 a[0:3], v20, v21, a[0:3]
	v_lshrrev_b32_e32 v21, 8, v14
	v_cmp_gt_i16_sdwa s[6:7], v21, s4 src0_sel:BYTE_0 src1_sel:DWORD
	s_mov_b64 s[4:5], 0
	s_and_saveexec_b64 s[8:9], s[6:7]
	s_xor_b64 s[6:7], exec, s[8:9]
	s_cbranch_execnz .LBB58_2057
; %bb.9:
	s_or_saveexec_b64 s[6:7], s[6:7]
	v_mov_b32_e32 v20, s10
	s_xor_b64 exec, exec, s[6:7]
	s_cbranch_execnz .LBB58_2060
.LBB58_10:
	s_or_b64 exec, exec, s[6:7]
	s_and_saveexec_b64 s[6:7], s[4:5]
	s_cbranch_execz .LBB58_12
.LBB58_11:
	v_bfe_u32 v20, v14, 8, 3
	v_ffbh_u32_e32 v23, v20
	v_min_u32_e32 v23, 32, v23
	v_lshrrev_b16_e32 v22, 3, v21
	v_subrev_u32_e32 v24, 28, v23
	v_and_b32_e32 v22, 15, v22
	v_lshlrev_b32_e32 v21, v24, v21
	v_sub_u32_e32 v23, 29, v23
	v_and_b32_e32 v21, 7, v21
	v_cmp_eq_u16_e32 vcc, 0, v22
	v_cndmask_b32_e32 v20, v20, v21, vcc
	v_cndmask_b32_e32 v21, v22, v23, vcc
	v_lshlrev_b32_e32 v22, 16, v14
	v_mov_b32_e32 v23, 0x3b800000
	v_lshlrev_b32_e32 v20, 20, v20
	v_and_b32_e32 v22, 0x80000000, v22
	v_lshl_add_u32 v21, v21, 23, v23
	v_or3_b32 v20, v22, v21, v20
.LBB58_12:
	s_or_b64 exec, exec, s[6:7]
	v_lshrrev_b32_e32 v21, 8, v10
	s_movk_i32 s4, 0x7f
	v_cmp_gt_i16_sdwa s[6:7], v21, s4 src0_sel:BYTE_0 src1_sel:DWORD
	s_mov_b64 s[4:5], 0
                                        ; implicit-def: $sgpr10
	s_and_saveexec_b64 s[8:9], s[6:7]
	s_xor_b64 s[6:7], exec, s[8:9]
	s_cbranch_execnz .LBB58_2061
; %bb.13:
	s_or_saveexec_b64 s[6:7], s[6:7]
	v_mov_b32_e32 v22, s10
	s_xor_b64 exec, exec, s[6:7]
	s_cbranch_execnz .LBB58_2064
.LBB58_14:
	s_or_b64 exec, exec, s[6:7]
	s_and_saveexec_b64 s[6:7], s[4:5]
	s_cbranch_execz .LBB58_16
.LBB58_15:
	v_bfe_u32 v22, v10, 8, 3
	v_ffbh_u32_e32 v24, v22
	v_min_u32_e32 v24, 32, v24
	v_lshrrev_b16_e32 v23, 3, v21
	v_subrev_u32_e32 v25, 28, v24
	v_and_b32_e32 v23, 15, v23
	v_lshlrev_b32_e32 v21, v25, v21
	v_sub_u32_e32 v24, 29, v24
	v_and_b32_e32 v21, 7, v21
	v_cmp_eq_u16_e32 vcc, 0, v23
	v_cndmask_b32_e32 v21, v22, v21, vcc
	v_cndmask_b32_e32 v22, v23, v24, vcc
	v_lshlrev_b32_e32 v23, 16, v10
	v_mov_b32_e32 v24, 0x3b800000
	v_lshlrev_b32_e32 v21, 20, v21
	v_and_b32_e32 v23, 0x80000000, v23
	v_lshl_add_u32 v22, v22, 23, v24
	v_or3_b32 v22, v23, v22, v21
.LBB58_16:
	s_or_b64 exec, exec, s[6:7]
	s_nop 0
	v_mfma_f32_16x16x4f32 a[0:3], v20, v22, a[0:3]
	s_movk_i32 s4, 0xff
	v_and_b32_sdwa v21, v14, s4 dst_sel:DWORD dst_unused:UNUSED_PAD src0_sel:WORD_1 src1_sel:DWORD
	s_movk_i32 s4, 0x7f
	v_cmp_lt_i16_e32 vcc, s4, v21
	s_mov_b64 s[4:5], 0
                                        ; implicit-def: $sgpr10
	s_and_saveexec_b64 s[6:7], vcc
	s_xor_b64 s[6:7], exec, s[6:7]
	s_cbranch_execnz .LBB58_2065
; %bb.17:
	s_or_saveexec_b64 s[6:7], s[6:7]
	v_mov_b32_e32 v20, s10
	s_xor_b64 exec, exec, s[6:7]
	s_cbranch_execnz .LBB58_2068
.LBB58_18:
	s_or_b64 exec, exec, s[6:7]
	s_and_saveexec_b64 s[6:7], s[4:5]
	s_cbranch_execz .LBB58_20
.LBB58_19:
	v_bfe_u32 v20, v14, 16, 3
	v_ffbh_u32_e32 v23, v20
	v_min_u32_e32 v23, 32, v23
	v_lshrrev_b32_e32 v21, 19, v14
	v_subrev_u32_e32 v24, 28, v23
	v_and_b32_e32 v21, 15, v21
	v_lshlrev_b32_sdwa v24, v24, v14 dst_sel:DWORD dst_unused:UNUSED_PAD src0_sel:DWORD src1_sel:WORD_1
	v_bfe_u32 v22, v14, 19, 4
	v_sub_u32_e32 v23, 29, v23
	v_and_b32_e32 v24, 7, v24
	v_cmp_eq_u16_e32 vcc, 0, v21
	v_cndmask_b32_e32 v20, v20, v24, vcc
	v_cndmask_b32_e32 v21, v22, v23, vcc
	v_lshlrev_b32_e32 v22, 8, v14
	v_mov_b32_e32 v23, 0x3b800000
	v_lshlrev_b32_e32 v20, 20, v20
	v_and_b32_e32 v22, 0x80000000, v22
	v_lshl_add_u32 v21, v21, 23, v23
	v_or3_b32 v20, v22, v21, v20
.LBB58_20:
	s_or_b64 exec, exec, s[6:7]
	s_movk_i32 s4, 0xff
	v_and_b32_sdwa v21, v10, s4 dst_sel:DWORD dst_unused:UNUSED_PAD src0_sel:WORD_1 src1_sel:DWORD
	s_movk_i32 s4, 0x7f
	v_cmp_lt_i16_e32 vcc, s4, v21
	s_mov_b64 s[4:5], 0
                                        ; implicit-def: $sgpr10
	s_and_saveexec_b64 s[6:7], vcc
	s_xor_b64 s[6:7], exec, s[6:7]
	s_cbranch_execnz .LBB58_2069
; %bb.21:
	s_or_saveexec_b64 s[6:7], s[6:7]
	v_mov_b32_e32 v22, s10
	s_xor_b64 exec, exec, s[6:7]
	s_cbranch_execnz .LBB58_2072
.LBB58_22:
	s_or_b64 exec, exec, s[6:7]
	s_and_saveexec_b64 s[6:7], s[4:5]
	s_cbranch_execz .LBB58_24
.LBB58_23:
	v_bfe_u32 v21, v10, 16, 3
	v_ffbh_u32_e32 v24, v21
	v_min_u32_e32 v24, 32, v24
	v_lshrrev_b32_e32 v22, 19, v10
	v_subrev_u32_e32 v25, 28, v24
	v_and_b32_e32 v22, 15, v22
	v_lshlrev_b32_sdwa v25, v25, v10 dst_sel:DWORD dst_unused:UNUSED_PAD src0_sel:DWORD src1_sel:WORD_1
	v_bfe_u32 v23, v10, 19, 4
	v_sub_u32_e32 v24, 29, v24
	v_and_b32_e32 v25, 7, v25
	v_cmp_eq_u16_e32 vcc, 0, v22
	v_cndmask_b32_e32 v21, v21, v25, vcc
	v_cndmask_b32_e32 v22, v23, v24, vcc
	v_lshlrev_b32_e32 v23, 8, v10
	v_mov_b32_e32 v24, 0x3b800000
	v_lshlrev_b32_e32 v21, 20, v21
	v_and_b32_e32 v23, 0x80000000, v23
	v_lshl_add_u32 v22, v22, 23, v24
	v_or3_b32 v22, v23, v22, v21
.LBB58_24:
	s_or_b64 exec, exec, s[6:7]
	s_nop 0
	v_mfma_f32_16x16x4f32 a[0:3], v20, v22, a[0:3]
	s_movk_i32 s4, 0x7f
	v_cmp_gt_i16_sdwa s[6:7], v14, s4 src0_sel:BYTE_3 src1_sel:DWORD
	s_mov_b64 s[4:5], 0
                                        ; implicit-def: $sgpr10
	s_and_saveexec_b64 s[8:9], s[6:7]
	s_xor_b64 s[6:7], exec, s[8:9]
	s_cbranch_execnz .LBB58_2073
; %bb.25:
	s_or_saveexec_b64 s[6:7], s[6:7]
	v_mov_b32_e32 v20, s10
	s_xor_b64 exec, exec, s[6:7]
	s_cbranch_execnz .LBB58_2076
.LBB58_26:
	s_or_b64 exec, exec, s[6:7]
	s_and_saveexec_b64 s[6:7], s[4:5]
	s_cbranch_execz .LBB58_28
.LBB58_27:
	v_bfe_u32 v20, v14, 24, 3
	v_ffbh_u32_e32 v24, v20
	v_min_u32_e32 v24, 32, v24
	v_lshrrev_b32_e32 v22, 27, v14
	v_subrev_u32_e32 v25, 28, v24
	v_and_b32_e32 v21, 0x80000000, v14
	v_and_b32_e32 v22, 15, v22
	v_bfe_u32 v23, v14, 27, 4
	v_lshlrev_b32_sdwa v14, v25, v14 dst_sel:DWORD dst_unused:UNUSED_PAD src0_sel:DWORD src1_sel:BYTE_3
	v_sub_u32_e32 v24, 29, v24
	v_and_b32_e32 v14, 7, v14
	v_cmp_eq_u16_e32 vcc, 0, v22
	v_cndmask_b32_e32 v14, v20, v14, vcc
	v_cndmask_b32_e32 v20, v23, v24, vcc
	v_mov_b32_e32 v22, 0x3b800000
	v_lshlrev_b32_e32 v14, 20, v14
	v_lshl_add_u32 v20, v20, 23, v22
	v_or3_b32 v20, v21, v20, v14
.LBB58_28:
	s_or_b64 exec, exec, s[6:7]
	s_movk_i32 s4, 0x7f
	v_cmp_gt_i16_sdwa s[6:7], v10, s4 src0_sel:BYTE_3 src1_sel:DWORD
	s_mov_b64 s[4:5], 0
                                        ; implicit-def: $sgpr10
	s_and_saveexec_b64 s[8:9], s[6:7]
	s_xor_b64 s[6:7], exec, s[8:9]
	s_cbranch_execnz .LBB58_2077
; %bb.29:
	s_or_saveexec_b64 s[6:7], s[6:7]
	v_mov_b32_e32 v14, s10
	s_xor_b64 exec, exec, s[6:7]
	s_cbranch_execnz .LBB58_2080
.LBB58_30:
	s_or_b64 exec, exec, s[6:7]
	s_and_saveexec_b64 s[6:7], s[4:5]
	s_cbranch_execz .LBB58_32
.LBB58_31:
	v_bfe_u32 v14, v10, 24, 3
	v_ffbh_u32_e32 v24, v14
	v_min_u32_e32 v24, 32, v24
	v_lshrrev_b32_e32 v22, 27, v10
	v_subrev_u32_e32 v25, 28, v24
	v_and_b32_e32 v21, 0x80000000, v10
	v_and_b32_e32 v22, 15, v22
	v_bfe_u32 v23, v10, 27, 4
	v_lshlrev_b32_sdwa v10, v25, v10 dst_sel:DWORD dst_unused:UNUSED_PAD src0_sel:DWORD src1_sel:BYTE_3
	v_sub_u32_e32 v24, 29, v24
	v_and_b32_e32 v10, 7, v10
	v_cmp_eq_u16_e32 vcc, 0, v22
	v_cndmask_b32_e32 v10, v14, v10, vcc
	v_cndmask_b32_e32 v14, v23, v24, vcc
	v_mov_b32_e32 v22, 0x3b800000
	v_lshlrev_b32_e32 v10, 20, v10
	v_lshl_add_u32 v14, v14, 23, v22
	v_or3_b32 v14, v21, v14, v10
.LBB58_32:
	s_or_b64 exec, exec, s[6:7]
	s_nop 0
	v_mfma_f32_16x16x4f32 a[0:3], v20, v14, a[0:3]
	s_movk_i32 s4, 0x7f
	v_cmp_gt_i16_sdwa s[6:7], v15, s4 src0_sel:BYTE_0 src1_sel:DWORD
	s_mov_b64 s[4:5], 0
                                        ; implicit-def: $sgpr10
	s_and_saveexec_b64 s[8:9], s[6:7]
	s_xor_b64 s[6:7], exec, s[8:9]
	s_cbranch_execnz .LBB58_2081
; %bb.33:
	s_or_saveexec_b64 s[6:7], s[6:7]
	v_mov_b32_e32 v10, s10
	s_xor_b64 exec, exec, s[6:7]
	s_cbranch_execnz .LBB58_2084
.LBB58_34:
	s_or_b64 exec, exec, s[6:7]
	s_and_saveexec_b64 s[6:7], s[4:5]
	s_cbranch_execz .LBB58_36
.LBB58_35:
	v_and_b32_e32 v10, 7, v15
	v_ffbh_u32_e32 v20, v10
	v_min_u32_e32 v20, 32, v20
	v_lshrrev_b16_e32 v14, 3, v15
	v_subrev_u32_e32 v21, 28, v20
	v_and_b32_e32 v14, 15, v14
	v_lshlrev_b32_e32 v21, v21, v15
	v_sub_u32_e32 v20, 29, v20
	v_and_b32_e32 v21, 7, v21
	v_cmp_eq_u16_e32 vcc, 0, v14
	v_cndmask_b32_e32 v10, v10, v21, vcc
	v_cndmask_b32_e32 v14, v14, v20, vcc
	v_lshlrev_b32_e32 v20, 24, v15
	v_mov_b32_e32 v21, 0x3b800000
	v_lshlrev_b32_e32 v10, 20, v10
	v_and_b32_e32 v20, 0x80000000, v20
	v_lshl_add_u32 v14, v14, 23, v21
	v_or3_b32 v10, v20, v14, v10
.LBB58_36:
	s_or_b64 exec, exec, s[6:7]
	s_movk_i32 s4, 0x7f
	v_cmp_gt_i16_sdwa s[6:7], v11, s4 src0_sel:BYTE_0 src1_sel:DWORD
	s_mov_b64 s[4:5], 0
                                        ; implicit-def: $sgpr10
	s_and_saveexec_b64 s[8:9], s[6:7]
	s_xor_b64 s[6:7], exec, s[8:9]
	s_cbranch_execnz .LBB58_2085
; %bb.37:
	s_or_saveexec_b64 s[6:7], s[6:7]
	v_mov_b32_e32 v14, s10
	s_xor_b64 exec, exec, s[6:7]
	s_cbranch_execnz .LBB58_2088
.LBB58_38:
	s_or_b64 exec, exec, s[6:7]
	s_and_saveexec_b64 s[6:7], s[4:5]
	s_cbranch_execz .LBB58_40
.LBB58_39:
	v_and_b32_e32 v14, 7, v11
	v_ffbh_u32_e32 v21, v14
	v_min_u32_e32 v21, 32, v21
	v_lshrrev_b16_e32 v20, 3, v11
	v_subrev_u32_e32 v22, 28, v21
	v_and_b32_e32 v20, 15, v20
	v_lshlrev_b32_e32 v22, v22, v11
	v_sub_u32_e32 v21, 29, v21
	v_and_b32_e32 v22, 7, v22
	v_cmp_eq_u16_e32 vcc, 0, v20
	v_cndmask_b32_e32 v14, v14, v22, vcc
	v_cndmask_b32_e32 v20, v20, v21, vcc
	v_lshlrev_b32_e32 v21, 24, v11
	v_mov_b32_e32 v22, 0x3b800000
	v_lshlrev_b32_e32 v14, 20, v14
	v_and_b32_e32 v21, 0x80000000, v21
	v_lshl_add_u32 v20, v20, 23, v22
	v_or3_b32 v14, v21, v20, v14
.LBB58_40:
	s_or_b64 exec, exec, s[6:7]
	s_nop 0
	v_mfma_f32_16x16x4f32 a[0:3], v10, v14, a[0:3]
	v_lshrrev_b32_e32 v14, 8, v15
	s_movk_i32 s4, 0x7f
	v_cmp_gt_i16_sdwa s[6:7], v14, s4 src0_sel:BYTE_0 src1_sel:DWORD
	s_mov_b64 s[4:5], 0
                                        ; implicit-def: $sgpr10
	s_and_saveexec_b64 s[8:9], s[6:7]
	s_xor_b64 s[6:7], exec, s[8:9]
	s_cbranch_execnz .LBB58_2089
; %bb.41:
	s_or_saveexec_b64 s[6:7], s[6:7]
	v_mov_b32_e32 v10, s10
	s_xor_b64 exec, exec, s[6:7]
	s_cbranch_execnz .LBB58_2092
.LBB58_42:
	s_or_b64 exec, exec, s[6:7]
	s_and_saveexec_b64 s[6:7], s[4:5]
	s_cbranch_execz .LBB58_44
.LBB58_43:
	v_bfe_u32 v10, v15, 8, 3
	v_ffbh_u32_e32 v21, v10
	v_min_u32_e32 v21, 32, v21
	v_lshrrev_b16_e32 v20, 3, v14
	v_subrev_u32_e32 v22, 28, v21
	v_and_b32_e32 v20, 15, v20
	v_lshlrev_b32_e32 v14, v22, v14
	v_sub_u32_e32 v21, 29, v21
	v_and_b32_e32 v14, 7, v14
	v_cmp_eq_u16_e32 vcc, 0, v20
	v_cndmask_b32_e32 v10, v10, v14, vcc
	v_cndmask_b32_e32 v14, v20, v21, vcc
	v_lshlrev_b32_e32 v20, 16, v15
	v_mov_b32_e32 v21, 0x3b800000
	v_lshlrev_b32_e32 v10, 20, v10
	v_and_b32_e32 v20, 0x80000000, v20
	v_lshl_add_u32 v14, v14, 23, v21
	v_or3_b32 v10, v20, v14, v10
.LBB58_44:
	s_or_b64 exec, exec, s[6:7]
	v_lshrrev_b32_e32 v14, 8, v11
	s_movk_i32 s4, 0x7f
	v_cmp_gt_i16_sdwa s[6:7], v14, s4 src0_sel:BYTE_0 src1_sel:DWORD
	s_mov_b64 s[4:5], 0
                                        ; implicit-def: $sgpr10
	s_and_saveexec_b64 s[8:9], s[6:7]
	s_xor_b64 s[6:7], exec, s[8:9]
	s_cbranch_execnz .LBB58_2093
; %bb.45:
	s_or_saveexec_b64 s[6:7], s[6:7]
	v_mov_b32_e32 v20, s10
	s_xor_b64 exec, exec, s[6:7]
	s_cbranch_execnz .LBB58_2096
.LBB58_46:
	s_or_b64 exec, exec, s[6:7]
	s_and_saveexec_b64 s[6:7], s[4:5]
	s_cbranch_execz .LBB58_48
.LBB58_47:
	v_bfe_u32 v20, v11, 8, 3
	v_ffbh_u32_e32 v22, v20
	v_min_u32_e32 v22, 32, v22
	v_lshrrev_b16_e32 v21, 3, v14
	v_subrev_u32_e32 v23, 28, v22
	v_and_b32_e32 v21, 15, v21
	v_lshlrev_b32_e32 v14, v23, v14
	v_sub_u32_e32 v22, 29, v22
	v_and_b32_e32 v14, 7, v14
	v_cmp_eq_u16_e32 vcc, 0, v21
	v_cndmask_b32_e32 v14, v20, v14, vcc
	v_cndmask_b32_e32 v20, v21, v22, vcc
	v_lshlrev_b32_e32 v21, 16, v11
	v_mov_b32_e32 v22, 0x3b800000
	v_lshlrev_b32_e32 v14, 20, v14
	v_and_b32_e32 v21, 0x80000000, v21
	v_lshl_add_u32 v20, v20, 23, v22
	v_or3_b32 v20, v21, v20, v14
.LBB58_48:
	s_or_b64 exec, exec, s[6:7]
	s_nop 0
	v_mfma_f32_16x16x4f32 a[0:3], v10, v20, a[0:3]
	s_movk_i32 s4, 0xff
	v_and_b32_sdwa v14, v15, s4 dst_sel:DWORD dst_unused:UNUSED_PAD src0_sel:WORD_1 src1_sel:DWORD
	s_movk_i32 s4, 0x7f
	v_cmp_lt_i16_e32 vcc, s4, v14
	s_mov_b64 s[4:5], 0
                                        ; implicit-def: $sgpr10
	s_and_saveexec_b64 s[6:7], vcc
	s_xor_b64 s[6:7], exec, s[6:7]
	s_cbranch_execnz .LBB58_2097
; %bb.49:
	s_or_saveexec_b64 s[6:7], s[6:7]
	v_mov_b32_e32 v10, s10
	s_xor_b64 exec, exec, s[6:7]
	s_cbranch_execnz .LBB58_2100
.LBB58_50:
	s_or_b64 exec, exec, s[6:7]
	s_and_saveexec_b64 s[6:7], s[4:5]
	s_cbranch_execz .LBB58_52
.LBB58_51:
	v_bfe_u32 v10, v15, 16, 3
	v_ffbh_u32_e32 v21, v10
	v_min_u32_e32 v21, 32, v21
	v_lshrrev_b32_e32 v14, 19, v15
	v_subrev_u32_e32 v22, 28, v21
	v_and_b32_e32 v14, 15, v14
	v_lshlrev_b32_sdwa v22, v22, v15 dst_sel:DWORD dst_unused:UNUSED_PAD src0_sel:DWORD src1_sel:WORD_1
	v_bfe_u32 v20, v15, 19, 4
	v_sub_u32_e32 v21, 29, v21
	v_and_b32_e32 v22, 7, v22
	v_cmp_eq_u16_e32 vcc, 0, v14
	v_cndmask_b32_e32 v10, v10, v22, vcc
	v_cndmask_b32_e32 v14, v20, v21, vcc
	v_lshlrev_b32_e32 v20, 8, v15
	v_mov_b32_e32 v21, 0x3b800000
	v_lshlrev_b32_e32 v10, 20, v10
	v_and_b32_e32 v20, 0x80000000, v20
	v_lshl_add_u32 v14, v14, 23, v21
	v_or3_b32 v10, v20, v14, v10
.LBB58_52:
	s_or_b64 exec, exec, s[6:7]
	s_movk_i32 s4, 0xff
	v_and_b32_sdwa v14, v11, s4 dst_sel:DWORD dst_unused:UNUSED_PAD src0_sel:WORD_1 src1_sel:DWORD
	s_movk_i32 s4, 0x7f
	v_cmp_lt_i16_e32 vcc, s4, v14
	s_mov_b64 s[4:5], 0
                                        ; implicit-def: $sgpr10
	s_and_saveexec_b64 s[6:7], vcc
	s_xor_b64 s[6:7], exec, s[6:7]
	s_cbranch_execnz .LBB58_2101
; %bb.53:
	s_or_saveexec_b64 s[6:7], s[6:7]
	v_mov_b32_e32 v20, s10
	s_xor_b64 exec, exec, s[6:7]
	s_cbranch_execnz .LBB58_2104
.LBB58_54:
	s_or_b64 exec, exec, s[6:7]
	s_and_saveexec_b64 s[6:7], s[4:5]
	s_cbranch_execz .LBB58_56
.LBB58_55:
	v_bfe_u32 v14, v11, 16, 3
	v_ffbh_u32_e32 v22, v14
	v_min_u32_e32 v22, 32, v22
	v_lshrrev_b32_e32 v20, 19, v11
	v_subrev_u32_e32 v23, 28, v22
	v_and_b32_e32 v20, 15, v20
	v_lshlrev_b32_sdwa v23, v23, v11 dst_sel:DWORD dst_unused:UNUSED_PAD src0_sel:DWORD src1_sel:WORD_1
	v_bfe_u32 v21, v11, 19, 4
	v_sub_u32_e32 v22, 29, v22
	v_and_b32_e32 v23, 7, v23
	v_cmp_eq_u16_e32 vcc, 0, v20
	v_cndmask_b32_e32 v14, v14, v23, vcc
	v_cndmask_b32_e32 v20, v21, v22, vcc
	v_lshlrev_b32_e32 v21, 8, v11
	v_mov_b32_e32 v22, 0x3b800000
	v_lshlrev_b32_e32 v14, 20, v14
	v_and_b32_e32 v21, 0x80000000, v21
	v_lshl_add_u32 v20, v20, 23, v22
	v_or3_b32 v20, v21, v20, v14
.LBB58_56:
	s_or_b64 exec, exec, s[6:7]
	s_nop 0
	v_mfma_f32_16x16x4f32 a[0:3], v10, v20, a[0:3]
	s_movk_i32 s4, 0x7f
	v_cmp_gt_i16_sdwa s[6:7], v15, s4 src0_sel:BYTE_3 src1_sel:DWORD
	s_mov_b64 s[4:5], 0
                                        ; implicit-def: $sgpr10
	s_and_saveexec_b64 s[8:9], s[6:7]
	s_xor_b64 s[6:7], exec, s[8:9]
	s_cbranch_execnz .LBB58_2105
; %bb.57:
	s_or_saveexec_b64 s[6:7], s[6:7]
	v_mov_b32_e32 v10, s10
	s_xor_b64 exec, exec, s[6:7]
	s_cbranch_execnz .LBB58_2108
.LBB58_58:
	s_or_b64 exec, exec, s[6:7]
	s_and_saveexec_b64 s[6:7], s[4:5]
	s_cbranch_execz .LBB58_60
.LBB58_59:
	v_bfe_u32 v10, v15, 24, 3
	v_ffbh_u32_e32 v22, v10
	v_min_u32_e32 v22, 32, v22
	v_lshrrev_b32_e32 v20, 27, v15
	v_subrev_u32_e32 v23, 28, v22
	v_and_b32_e32 v14, 0x80000000, v15
	v_and_b32_e32 v20, 15, v20
	v_bfe_u32 v21, v15, 27, 4
	v_lshlrev_b32_sdwa v15, v23, v15 dst_sel:DWORD dst_unused:UNUSED_PAD src0_sel:DWORD src1_sel:BYTE_3
	v_sub_u32_e32 v22, 29, v22
	v_and_b32_e32 v15, 7, v15
	v_cmp_eq_u16_e32 vcc, 0, v20
	v_cndmask_b32_e32 v10, v10, v15, vcc
	v_cndmask_b32_e32 v15, v21, v22, vcc
	v_mov_b32_e32 v20, 0x3b800000
	v_lshlrev_b32_e32 v10, 20, v10
	v_lshl_add_u32 v15, v15, 23, v20
	v_or3_b32 v10, v14, v15, v10
.LBB58_60:
	s_or_b64 exec, exec, s[6:7]
	s_movk_i32 s4, 0x7f
	v_cmp_gt_i16_sdwa s[6:7], v11, s4 src0_sel:BYTE_3 src1_sel:DWORD
	s_mov_b64 s[4:5], 0
                                        ; implicit-def: $sgpr10
	s_and_saveexec_b64 s[8:9], s[6:7]
	s_xor_b64 s[6:7], exec, s[8:9]
	s_cbranch_execnz .LBB58_2109
; %bb.61:
	s_or_saveexec_b64 s[6:7], s[6:7]
	v_mov_b32_e32 v14, s10
	s_xor_b64 exec, exec, s[6:7]
	s_cbranch_execnz .LBB58_2112
.LBB58_62:
	s_or_b64 exec, exec, s[6:7]
	s_and_saveexec_b64 s[6:7], s[4:5]
	s_cbranch_execz .LBB58_64
.LBB58_63:
	v_bfe_u32 v14, v11, 24, 3
	v_ffbh_u32_e32 v22, v14
	v_min_u32_e32 v22, 32, v22
	v_lshrrev_b32_e32 v20, 27, v11
	v_subrev_u32_e32 v23, 28, v22
	v_and_b32_e32 v15, 0x80000000, v11
	v_and_b32_e32 v20, 15, v20
	v_bfe_u32 v21, v11, 27, 4
	v_lshlrev_b32_sdwa v11, v23, v11 dst_sel:DWORD dst_unused:UNUSED_PAD src0_sel:DWORD src1_sel:BYTE_3
	v_sub_u32_e32 v22, 29, v22
	v_and_b32_e32 v11, 7, v11
	v_cmp_eq_u16_e32 vcc, 0, v20
	v_cndmask_b32_e32 v11, v14, v11, vcc
	v_cndmask_b32_e32 v14, v21, v22, vcc
	v_mov_b32_e32 v20, 0x3b800000
	v_lshlrev_b32_e32 v11, 20, v11
	v_lshl_add_u32 v14, v14, 23, v20
	v_or3_b32 v14, v15, v14, v11
.LBB58_64:
	s_or_b64 exec, exec, s[6:7]
	s_nop 0
	v_mfma_f32_16x16x4f32 a[0:3], v10, v14, a[0:3]
	s_movk_i32 s4, 0x7f
	v_cmp_gt_i16_sdwa s[6:7], v16, s4 src0_sel:BYTE_0 src1_sel:DWORD
	s_mov_b64 s[4:5], 0
                                        ; implicit-def: $sgpr10
	s_and_saveexec_b64 s[8:9], s[6:7]
	s_xor_b64 s[6:7], exec, s[8:9]
	s_cbranch_execnz .LBB58_2113
; %bb.65:
	s_or_saveexec_b64 s[6:7], s[6:7]
	v_mov_b32_e32 v10, s10
	s_xor_b64 exec, exec, s[6:7]
	s_cbranch_execnz .LBB58_2116
.LBB58_66:
	s_or_b64 exec, exec, s[6:7]
	s_and_saveexec_b64 s[6:7], s[4:5]
	s_cbranch_execz .LBB58_68
.LBB58_67:
	v_and_b32_e32 v10, 7, v16
	v_ffbh_u32_e32 v14, v10
	v_min_u32_e32 v14, 32, v14
	v_lshrrev_b16_e32 v11, 3, v16
	v_subrev_u32_e32 v15, 28, v14
	v_and_b32_e32 v11, 15, v11
	v_lshlrev_b32_e32 v15, v15, v16
	v_sub_u32_e32 v14, 29, v14
	v_and_b32_e32 v15, 7, v15
	v_cmp_eq_u16_e32 vcc, 0, v11
	v_cndmask_b32_e32 v10, v10, v15, vcc
	v_cndmask_b32_e32 v11, v11, v14, vcc
	v_lshlrev_b32_e32 v14, 24, v16
	v_mov_b32_e32 v15, 0x3b800000
	v_lshlrev_b32_e32 v10, 20, v10
	v_and_b32_e32 v14, 0x80000000, v14
	v_lshl_add_u32 v11, v11, 23, v15
	v_or3_b32 v10, v14, v11, v10
.LBB58_68:
	s_or_b64 exec, exec, s[6:7]
	s_movk_i32 s4, 0x7f
	v_cmp_gt_i16_sdwa s[6:7], v12, s4 src0_sel:BYTE_0 src1_sel:DWORD
	s_mov_b64 s[4:5], 0
                                        ; implicit-def: $sgpr10
	s_and_saveexec_b64 s[8:9], s[6:7]
	s_xor_b64 s[6:7], exec, s[8:9]
	s_cbranch_execnz .LBB58_2117
; %bb.69:
	s_or_saveexec_b64 s[6:7], s[6:7]
	v_mov_b32_e32 v11, s10
	s_xor_b64 exec, exec, s[6:7]
	s_cbranch_execnz .LBB58_2120
.LBB58_70:
	s_or_b64 exec, exec, s[6:7]
	s_and_saveexec_b64 s[6:7], s[4:5]
	s_cbranch_execz .LBB58_72
.LBB58_71:
	v_and_b32_e32 v11, 7, v12
	v_ffbh_u32_e32 v15, v11
	v_min_u32_e32 v15, 32, v15
	v_lshrrev_b16_e32 v14, 3, v12
	v_subrev_u32_e32 v20, 28, v15
	v_and_b32_e32 v14, 15, v14
	v_lshlrev_b32_e32 v20, v20, v12
	v_sub_u32_e32 v15, 29, v15
	v_and_b32_e32 v20, 7, v20
	v_cmp_eq_u16_e32 vcc, 0, v14
	v_cndmask_b32_e32 v11, v11, v20, vcc
	v_cndmask_b32_e32 v14, v14, v15, vcc
	v_lshlrev_b32_e32 v15, 24, v12
	v_mov_b32_e32 v20, 0x3b800000
	v_lshlrev_b32_e32 v11, 20, v11
	v_and_b32_e32 v15, 0x80000000, v15
	v_lshl_add_u32 v14, v14, 23, v20
	v_or3_b32 v11, v15, v14, v11
.LBB58_72:
	s_or_b64 exec, exec, s[6:7]
	s_nop 0
	v_mfma_f32_16x16x4f32 a[0:3], v10, v11, a[0:3]
	v_lshrrev_b32_e32 v11, 8, v16
	s_movk_i32 s4, 0x7f
	v_cmp_gt_i16_sdwa s[6:7], v11, s4 src0_sel:BYTE_0 src1_sel:DWORD
	s_mov_b64 s[4:5], 0
                                        ; implicit-def: $sgpr10
	s_and_saveexec_b64 s[8:9], s[6:7]
	s_xor_b64 s[6:7], exec, s[8:9]
	s_cbranch_execnz .LBB58_2121
; %bb.73:
	s_or_saveexec_b64 s[6:7], s[6:7]
	v_mov_b32_e32 v10, s10
	s_xor_b64 exec, exec, s[6:7]
	s_cbranch_execnz .LBB58_2124
.LBB58_74:
	s_or_b64 exec, exec, s[6:7]
	s_and_saveexec_b64 s[6:7], s[4:5]
	s_cbranch_execz .LBB58_76
.LBB58_75:
	v_bfe_u32 v10, v16, 8, 3
	v_ffbh_u32_e32 v15, v10
	v_min_u32_e32 v15, 32, v15
	v_lshrrev_b16_e32 v14, 3, v11
	v_subrev_u32_e32 v20, 28, v15
	v_and_b32_e32 v14, 15, v14
	v_lshlrev_b32_e32 v11, v20, v11
	v_sub_u32_e32 v15, 29, v15
	v_and_b32_e32 v11, 7, v11
	v_cmp_eq_u16_e32 vcc, 0, v14
	v_cndmask_b32_e32 v10, v10, v11, vcc
	v_cndmask_b32_e32 v11, v14, v15, vcc
	v_lshlrev_b32_e32 v14, 16, v16
	v_mov_b32_e32 v15, 0x3b800000
	v_lshlrev_b32_e32 v10, 20, v10
	v_and_b32_e32 v14, 0x80000000, v14
	v_lshl_add_u32 v11, v11, 23, v15
	v_or3_b32 v10, v14, v11, v10
.LBB58_76:
	s_or_b64 exec, exec, s[6:7]
	v_lshrrev_b32_e32 v11, 8, v12
	s_movk_i32 s4, 0x7f
	v_cmp_gt_i16_sdwa s[6:7], v11, s4 src0_sel:BYTE_0 src1_sel:DWORD
	s_mov_b64 s[4:5], 0
                                        ; implicit-def: $sgpr10
	s_and_saveexec_b64 s[8:9], s[6:7]
	s_xor_b64 s[6:7], exec, s[8:9]
	s_cbranch_execnz .LBB58_2125
; %bb.77:
	s_or_saveexec_b64 s[6:7], s[6:7]
	v_mov_b32_e32 v14, s10
	s_xor_b64 exec, exec, s[6:7]
	s_cbranch_execnz .LBB58_2128
.LBB58_78:
	s_or_b64 exec, exec, s[6:7]
	s_and_saveexec_b64 s[6:7], s[4:5]
	s_cbranch_execz .LBB58_80
.LBB58_79:
	v_bfe_u32 v14, v12, 8, 3
	v_ffbh_u32_e32 v20, v14
	v_min_u32_e32 v20, 32, v20
	v_lshrrev_b16_e32 v15, 3, v11
	v_subrev_u32_e32 v21, 28, v20
	v_and_b32_e32 v15, 15, v15
	v_lshlrev_b32_e32 v11, v21, v11
	v_sub_u32_e32 v20, 29, v20
	v_and_b32_e32 v11, 7, v11
	v_cmp_eq_u16_e32 vcc, 0, v15
	v_cndmask_b32_e32 v11, v14, v11, vcc
	v_cndmask_b32_e32 v14, v15, v20, vcc
	v_lshlrev_b32_e32 v15, 16, v12
	v_mov_b32_e32 v20, 0x3b800000
	v_lshlrev_b32_e32 v11, 20, v11
	v_and_b32_e32 v15, 0x80000000, v15
	v_lshl_add_u32 v14, v14, 23, v20
	v_or3_b32 v14, v15, v14, v11
.LBB58_80:
	s_or_b64 exec, exec, s[6:7]
	s_nop 0
	v_mfma_f32_16x16x4f32 a[0:3], v10, v14, a[0:3]
	s_movk_i32 s4, 0xff
	v_and_b32_sdwa v11, v16, s4 dst_sel:DWORD dst_unused:UNUSED_PAD src0_sel:WORD_1 src1_sel:DWORD
	s_movk_i32 s4, 0x7f
	v_cmp_lt_i16_e32 vcc, s4, v11
	s_mov_b64 s[4:5], 0
                                        ; implicit-def: $sgpr10
	s_and_saveexec_b64 s[6:7], vcc
	s_xor_b64 s[6:7], exec, s[6:7]
	s_cbranch_execnz .LBB58_2129
; %bb.81:
	s_or_saveexec_b64 s[6:7], s[6:7]
	v_mov_b32_e32 v10, s10
	s_xor_b64 exec, exec, s[6:7]
	s_cbranch_execnz .LBB58_2132
.LBB58_82:
	s_or_b64 exec, exec, s[6:7]
	s_and_saveexec_b64 s[6:7], s[4:5]
	s_cbranch_execz .LBB58_84
.LBB58_83:
	v_bfe_u32 v10, v16, 16, 3
	v_ffbh_u32_e32 v15, v10
	v_min_u32_e32 v15, 32, v15
	v_lshrrev_b32_e32 v11, 19, v16
	v_subrev_u32_e32 v20, 28, v15
	v_and_b32_e32 v11, 15, v11
	v_lshlrev_b32_sdwa v20, v20, v16 dst_sel:DWORD dst_unused:UNUSED_PAD src0_sel:DWORD src1_sel:WORD_1
	v_bfe_u32 v14, v16, 19, 4
	v_sub_u32_e32 v15, 29, v15
	v_and_b32_e32 v20, 7, v20
	v_cmp_eq_u16_e32 vcc, 0, v11
	v_cndmask_b32_e32 v10, v10, v20, vcc
	v_cndmask_b32_e32 v11, v14, v15, vcc
	v_lshlrev_b32_e32 v14, 8, v16
	v_mov_b32_e32 v15, 0x3b800000
	v_lshlrev_b32_e32 v10, 20, v10
	v_and_b32_e32 v14, 0x80000000, v14
	v_lshl_add_u32 v11, v11, 23, v15
	v_or3_b32 v10, v14, v11, v10
.LBB58_84:
	s_or_b64 exec, exec, s[6:7]
	s_movk_i32 s4, 0xff
	v_and_b32_sdwa v11, v12, s4 dst_sel:DWORD dst_unused:UNUSED_PAD src0_sel:WORD_1 src1_sel:DWORD
	s_movk_i32 s4, 0x7f
	v_cmp_lt_i16_e32 vcc, s4, v11
	s_mov_b64 s[4:5], 0
                                        ; implicit-def: $sgpr10
	s_and_saveexec_b64 s[6:7], vcc
	s_xor_b64 s[6:7], exec, s[6:7]
	s_cbranch_execnz .LBB58_2133
; %bb.85:
	s_or_saveexec_b64 s[6:7], s[6:7]
	v_mov_b32_e32 v14, s10
	s_xor_b64 exec, exec, s[6:7]
	s_cbranch_execnz .LBB58_2136
.LBB58_86:
	s_or_b64 exec, exec, s[6:7]
	s_and_saveexec_b64 s[6:7], s[4:5]
	s_cbranch_execz .LBB58_88
.LBB58_87:
	v_bfe_u32 v11, v12, 16, 3
	v_ffbh_u32_e32 v20, v11
	v_min_u32_e32 v20, 32, v20
	v_lshrrev_b32_e32 v14, 19, v12
	v_subrev_u32_e32 v21, 28, v20
	v_and_b32_e32 v14, 15, v14
	v_lshlrev_b32_sdwa v21, v21, v12 dst_sel:DWORD dst_unused:UNUSED_PAD src0_sel:DWORD src1_sel:WORD_1
	v_bfe_u32 v15, v12, 19, 4
	v_sub_u32_e32 v20, 29, v20
	v_and_b32_e32 v21, 7, v21
	v_cmp_eq_u16_e32 vcc, 0, v14
	v_cndmask_b32_e32 v11, v11, v21, vcc
	v_cndmask_b32_e32 v14, v15, v20, vcc
	v_lshlrev_b32_e32 v15, 8, v12
	v_mov_b32_e32 v20, 0x3b800000
	v_lshlrev_b32_e32 v11, 20, v11
	v_and_b32_e32 v15, 0x80000000, v15
	v_lshl_add_u32 v14, v14, 23, v20
	v_or3_b32 v14, v15, v14, v11
.LBB58_88:
	s_or_b64 exec, exec, s[6:7]
	s_nop 0
	v_mfma_f32_16x16x4f32 a[0:3], v10, v14, a[0:3]
	s_movk_i32 s4, 0x7f
	v_cmp_gt_i16_sdwa s[6:7], v16, s4 src0_sel:BYTE_3 src1_sel:DWORD
	s_mov_b64 s[4:5], 0
                                        ; implicit-def: $sgpr10
	s_and_saveexec_b64 s[8:9], s[6:7]
	s_xor_b64 s[6:7], exec, s[8:9]
	s_cbranch_execnz .LBB58_2137
; %bb.89:
	s_or_saveexec_b64 s[6:7], s[6:7]
	v_mov_b32_e32 v10, s10
	s_xor_b64 exec, exec, s[6:7]
	s_cbranch_execnz .LBB58_2140
.LBB58_90:
	s_or_b64 exec, exec, s[6:7]
	s_and_saveexec_b64 s[6:7], s[4:5]
	s_cbranch_execz .LBB58_92
.LBB58_91:
	v_bfe_u32 v10, v16, 24, 3
	v_ffbh_u32_e32 v20, v10
	v_min_u32_e32 v20, 32, v20
	v_lshrrev_b32_e32 v14, 27, v16
	v_subrev_u32_e32 v21, 28, v20
	v_and_b32_e32 v11, 0x80000000, v16
	v_and_b32_e32 v14, 15, v14
	v_bfe_u32 v15, v16, 27, 4
	v_lshlrev_b32_sdwa v16, v21, v16 dst_sel:DWORD dst_unused:UNUSED_PAD src0_sel:DWORD src1_sel:BYTE_3
	v_sub_u32_e32 v20, 29, v20
	v_and_b32_e32 v16, 7, v16
	v_cmp_eq_u16_e32 vcc, 0, v14
	v_cndmask_b32_e32 v10, v10, v16, vcc
	v_cndmask_b32_e32 v14, v15, v20, vcc
	v_mov_b32_e32 v15, 0x3b800000
	v_lshlrev_b32_e32 v10, 20, v10
	v_lshl_add_u32 v14, v14, 23, v15
	v_or3_b32 v10, v11, v14, v10
.LBB58_92:
	s_or_b64 exec, exec, s[6:7]
	s_movk_i32 s4, 0x7f
	v_cmp_gt_i16_sdwa s[6:7], v12, s4 src0_sel:BYTE_3 src1_sel:DWORD
	s_mov_b64 s[4:5], 0
                                        ; implicit-def: $sgpr10
	s_and_saveexec_b64 s[8:9], s[6:7]
	s_xor_b64 s[6:7], exec, s[8:9]
	s_cbranch_execnz .LBB58_2141
; %bb.93:
	s_or_saveexec_b64 s[6:7], s[6:7]
	v_mov_b32_e32 v11, s10
	s_xor_b64 exec, exec, s[6:7]
	s_cbranch_execnz .LBB58_2144
.LBB58_94:
	s_or_b64 exec, exec, s[6:7]
	s_and_saveexec_b64 s[6:7], s[4:5]
	s_cbranch_execz .LBB58_96
.LBB58_95:
	v_bfe_u32 v11, v12, 24, 3
	v_ffbh_u32_e32 v20, v11
	v_min_u32_e32 v20, 32, v20
	v_lshrrev_b32_e32 v15, 27, v12
	v_subrev_u32_e32 v21, 28, v20
	v_and_b32_e32 v14, 0x80000000, v12
	v_and_b32_e32 v15, 15, v15
	v_bfe_u32 v16, v12, 27, 4
	v_lshlrev_b32_sdwa v12, v21, v12 dst_sel:DWORD dst_unused:UNUSED_PAD src0_sel:DWORD src1_sel:BYTE_3
	v_sub_u32_e32 v20, 29, v20
	v_and_b32_e32 v12, 7, v12
	v_cmp_eq_u16_e32 vcc, 0, v15
	v_cndmask_b32_e32 v11, v11, v12, vcc
	v_cndmask_b32_e32 v12, v16, v20, vcc
	v_mov_b32_e32 v15, 0x3b800000
	v_lshlrev_b32_e32 v11, 20, v11
	v_lshl_add_u32 v12, v12, 23, v15
	v_or3_b32 v11, v14, v12, v11
.LBB58_96:
	s_or_b64 exec, exec, s[6:7]
	s_nop 0
	v_mfma_f32_16x16x4f32 a[0:3], v10, v11, a[0:3]
	s_movk_i32 s4, 0x7f
	v_cmp_gt_i16_sdwa s[6:7], v17, s4 src0_sel:BYTE_0 src1_sel:DWORD
	s_mov_b64 s[4:5], 0
                                        ; implicit-def: $sgpr10
	s_and_saveexec_b64 s[8:9], s[6:7]
	s_xor_b64 s[6:7], exec, s[8:9]
	s_cbranch_execnz .LBB58_2145
; %bb.97:
	s_or_saveexec_b64 s[6:7], s[6:7]
	v_mov_b32_e32 v10, s10
	s_xor_b64 exec, exec, s[6:7]
	s_cbranch_execnz .LBB58_2148
.LBB58_98:
	s_or_b64 exec, exec, s[6:7]
	s_and_saveexec_b64 s[6:7], s[4:5]
	s_cbranch_execz .LBB58_100
.LBB58_99:
	v_and_b32_e32 v10, 7, v17
	v_ffbh_u32_e32 v12, v10
	v_min_u32_e32 v12, 32, v12
	v_lshrrev_b16_e32 v11, 3, v17
	v_subrev_u32_e32 v14, 28, v12
	v_and_b32_e32 v11, 15, v11
	v_lshlrev_b32_e32 v14, v14, v17
	v_sub_u32_e32 v12, 29, v12
	v_and_b32_e32 v14, 7, v14
	v_cmp_eq_u16_e32 vcc, 0, v11
	v_cndmask_b32_e32 v10, v10, v14, vcc
	v_cndmask_b32_e32 v11, v11, v12, vcc
	v_lshlrev_b32_e32 v12, 24, v17
	v_mov_b32_e32 v14, 0x3b800000
	v_lshlrev_b32_e32 v10, 20, v10
	v_and_b32_e32 v12, 0x80000000, v12
	v_lshl_add_u32 v11, v11, 23, v14
	v_or3_b32 v10, v12, v11, v10
.LBB58_100:
	s_or_b64 exec, exec, s[6:7]
	s_movk_i32 s4, 0x7f
	v_cmp_gt_i16_sdwa s[6:7], v13, s4 src0_sel:BYTE_0 src1_sel:DWORD
	s_mov_b64 s[4:5], 0
                                        ; implicit-def: $sgpr10
	s_and_saveexec_b64 s[8:9], s[6:7]
	s_xor_b64 s[6:7], exec, s[8:9]
	s_cbranch_execnz .LBB58_2149
; %bb.101:
	s_or_saveexec_b64 s[6:7], s[6:7]
	v_mov_b32_e32 v11, s10
	s_xor_b64 exec, exec, s[6:7]
	s_cbranch_execnz .LBB58_2152
.LBB58_102:
	s_or_b64 exec, exec, s[6:7]
	s_and_saveexec_b64 s[6:7], s[4:5]
	s_cbranch_execz .LBB58_104
.LBB58_103:
	v_and_b32_e32 v11, 7, v13
	v_ffbh_u32_e32 v14, v11
	v_min_u32_e32 v14, 32, v14
	v_lshrrev_b16_e32 v12, 3, v13
	v_subrev_u32_e32 v15, 28, v14
	v_and_b32_e32 v12, 15, v12
	v_lshlrev_b32_e32 v15, v15, v13
	v_sub_u32_e32 v14, 29, v14
	v_and_b32_e32 v15, 7, v15
	v_cmp_eq_u16_e32 vcc, 0, v12
	v_cndmask_b32_e32 v11, v11, v15, vcc
	v_cndmask_b32_e32 v12, v12, v14, vcc
	v_lshlrev_b32_e32 v14, 24, v13
	v_mov_b32_e32 v15, 0x3b800000
	v_lshlrev_b32_e32 v11, 20, v11
	v_and_b32_e32 v14, 0x80000000, v14
	v_lshl_add_u32 v12, v12, 23, v15
	v_or3_b32 v11, v14, v12, v11
.LBB58_104:
	s_or_b64 exec, exec, s[6:7]
	s_nop 0
	v_mfma_f32_16x16x4f32 a[0:3], v10, v11, a[0:3]
	v_lshrrev_b32_e32 v11, 8, v17
	s_movk_i32 s4, 0x7f
	v_cmp_gt_i16_sdwa s[6:7], v11, s4 src0_sel:BYTE_0 src1_sel:DWORD
	s_mov_b64 s[4:5], 0
                                        ; implicit-def: $sgpr10
	s_and_saveexec_b64 s[8:9], s[6:7]
	s_xor_b64 s[6:7], exec, s[8:9]
	s_cbranch_execnz .LBB58_2153
; %bb.105:
	s_or_saveexec_b64 s[6:7], s[6:7]
	v_mov_b32_e32 v10, s10
	s_xor_b64 exec, exec, s[6:7]
	s_cbranch_execnz .LBB58_2156
.LBB58_106:
	s_or_b64 exec, exec, s[6:7]
	s_and_saveexec_b64 s[6:7], s[4:5]
	s_cbranch_execz .LBB58_108
.LBB58_107:
	v_bfe_u32 v10, v17, 8, 3
	v_ffbh_u32_e32 v14, v10
	v_min_u32_e32 v14, 32, v14
	v_lshrrev_b16_e32 v12, 3, v11
	v_subrev_u32_e32 v15, 28, v14
	v_and_b32_e32 v12, 15, v12
	v_lshlrev_b32_e32 v11, v15, v11
	v_sub_u32_e32 v14, 29, v14
	v_and_b32_e32 v11, 7, v11
	v_cmp_eq_u16_e32 vcc, 0, v12
	v_cndmask_b32_e32 v10, v10, v11, vcc
	v_cndmask_b32_e32 v11, v12, v14, vcc
	v_lshlrev_b32_e32 v12, 16, v17
	v_mov_b32_e32 v14, 0x3b800000
	v_lshlrev_b32_e32 v10, 20, v10
	v_and_b32_e32 v12, 0x80000000, v12
	v_lshl_add_u32 v11, v11, 23, v14
	v_or3_b32 v10, v12, v11, v10
.LBB58_108:
	s_or_b64 exec, exec, s[6:7]
	v_lshrrev_b32_e32 v11, 8, v13
	s_movk_i32 s4, 0x7f
	v_cmp_gt_i16_sdwa s[6:7], v11, s4 src0_sel:BYTE_0 src1_sel:DWORD
	s_mov_b64 s[4:5], 0
                                        ; implicit-def: $sgpr10
	s_and_saveexec_b64 s[8:9], s[6:7]
	s_xor_b64 s[6:7], exec, s[8:9]
	s_cbranch_execnz .LBB58_2157
; %bb.109:
	s_or_saveexec_b64 s[6:7], s[6:7]
	v_mov_b32_e32 v12, s10
	s_xor_b64 exec, exec, s[6:7]
	s_cbranch_execnz .LBB58_2160
.LBB58_110:
	s_or_b64 exec, exec, s[6:7]
	s_and_saveexec_b64 s[6:7], s[4:5]
	s_cbranch_execz .LBB58_112
.LBB58_111:
	v_bfe_u32 v12, v13, 8, 3
	v_ffbh_u32_e32 v15, v12
	v_min_u32_e32 v15, 32, v15
	v_lshrrev_b16_e32 v14, 3, v11
	v_subrev_u32_e32 v16, 28, v15
	v_and_b32_e32 v14, 15, v14
	v_lshlrev_b32_e32 v11, v16, v11
	v_sub_u32_e32 v15, 29, v15
	v_and_b32_e32 v11, 7, v11
	v_cmp_eq_u16_e32 vcc, 0, v14
	v_cndmask_b32_e32 v11, v12, v11, vcc
	v_cndmask_b32_e32 v12, v14, v15, vcc
	v_lshlrev_b32_e32 v14, 16, v13
	v_mov_b32_e32 v15, 0x3b800000
	v_lshlrev_b32_e32 v11, 20, v11
	v_and_b32_e32 v14, 0x80000000, v14
	v_lshl_add_u32 v12, v12, 23, v15
	v_or3_b32 v12, v14, v12, v11
.LBB58_112:
	s_or_b64 exec, exec, s[6:7]
	s_nop 0
	v_mfma_f32_16x16x4f32 a[0:3], v10, v12, a[0:3]
	s_movk_i32 s4, 0xff
	v_and_b32_sdwa v11, v17, s4 dst_sel:DWORD dst_unused:UNUSED_PAD src0_sel:WORD_1 src1_sel:DWORD
	s_movk_i32 s4, 0x7f
	v_cmp_lt_i16_e32 vcc, s4, v11
	s_mov_b64 s[4:5], 0
                                        ; implicit-def: $sgpr10
	s_and_saveexec_b64 s[6:7], vcc
	s_xor_b64 s[6:7], exec, s[6:7]
	s_cbranch_execnz .LBB58_2161
; %bb.113:
	s_or_saveexec_b64 s[6:7], s[6:7]
	v_mov_b32_e32 v10, s10
	s_xor_b64 exec, exec, s[6:7]
	s_cbranch_execnz .LBB58_2164
.LBB58_114:
	s_or_b64 exec, exec, s[6:7]
	s_and_saveexec_b64 s[6:7], s[4:5]
	s_cbranch_execz .LBB58_116
.LBB58_115:
	v_bfe_u32 v10, v17, 16, 3
	v_ffbh_u32_e32 v14, v10
	v_min_u32_e32 v14, 32, v14
	v_lshrrev_b32_e32 v11, 19, v17
	v_subrev_u32_e32 v15, 28, v14
	v_and_b32_e32 v11, 15, v11
	v_lshlrev_b32_sdwa v15, v15, v17 dst_sel:DWORD dst_unused:UNUSED_PAD src0_sel:DWORD src1_sel:WORD_1
	v_bfe_u32 v12, v17, 19, 4
	v_sub_u32_e32 v14, 29, v14
	v_and_b32_e32 v15, 7, v15
	v_cmp_eq_u16_e32 vcc, 0, v11
	v_cndmask_b32_e32 v10, v10, v15, vcc
	v_cndmask_b32_e32 v11, v12, v14, vcc
	v_lshlrev_b32_e32 v12, 8, v17
	v_mov_b32_e32 v14, 0x3b800000
	v_lshlrev_b32_e32 v10, 20, v10
	v_and_b32_e32 v12, 0x80000000, v12
	v_lshl_add_u32 v11, v11, 23, v14
	v_or3_b32 v10, v12, v11, v10
.LBB58_116:
	s_or_b64 exec, exec, s[6:7]
	s_movk_i32 s4, 0xff
	v_and_b32_sdwa v11, v13, s4 dst_sel:DWORD dst_unused:UNUSED_PAD src0_sel:WORD_1 src1_sel:DWORD
	s_movk_i32 s4, 0x7f
	v_cmp_lt_i16_e32 vcc, s4, v11
	s_mov_b64 s[4:5], 0
                                        ; implicit-def: $sgpr10
	s_and_saveexec_b64 s[6:7], vcc
	s_xor_b64 s[6:7], exec, s[6:7]
	s_cbranch_execnz .LBB58_2165
; %bb.117:
	s_or_saveexec_b64 s[6:7], s[6:7]
	v_mov_b32_e32 v12, s10
	s_xor_b64 exec, exec, s[6:7]
	s_cbranch_execnz .LBB58_2168
.LBB58_118:
	s_or_b64 exec, exec, s[6:7]
	s_and_saveexec_b64 s[6:7], s[4:5]
	s_cbranch_execz .LBB58_120
.LBB58_119:
	v_bfe_u32 v11, v13, 16, 3
	v_ffbh_u32_e32 v15, v11
	v_min_u32_e32 v15, 32, v15
	v_lshrrev_b32_e32 v12, 19, v13
	v_subrev_u32_e32 v16, 28, v15
	v_and_b32_e32 v12, 15, v12
	v_lshlrev_b32_sdwa v16, v16, v13 dst_sel:DWORD dst_unused:UNUSED_PAD src0_sel:DWORD src1_sel:WORD_1
	v_bfe_u32 v14, v13, 19, 4
	v_sub_u32_e32 v15, 29, v15
	v_and_b32_e32 v16, 7, v16
	v_cmp_eq_u16_e32 vcc, 0, v12
	v_cndmask_b32_e32 v11, v11, v16, vcc
	v_cndmask_b32_e32 v12, v14, v15, vcc
	v_lshlrev_b32_e32 v14, 8, v13
	v_mov_b32_e32 v15, 0x3b800000
	v_lshlrev_b32_e32 v11, 20, v11
	v_and_b32_e32 v14, 0x80000000, v14
	v_lshl_add_u32 v12, v12, 23, v15
	v_or3_b32 v12, v14, v12, v11
.LBB58_120:
	s_or_b64 exec, exec, s[6:7]
	s_nop 0
	v_mfma_f32_16x16x4f32 a[0:3], v10, v12, a[0:3]
	s_movk_i32 s4, 0x7f
	v_cmp_gt_i16_sdwa s[6:7], v17, s4 src0_sel:BYTE_3 src1_sel:DWORD
	s_mov_b64 s[4:5], 0
                                        ; implicit-def: $sgpr10
	s_and_saveexec_b64 s[8:9], s[6:7]
	s_xor_b64 s[6:7], exec, s[8:9]
	s_cbranch_execnz .LBB58_2169
; %bb.121:
	s_or_saveexec_b64 s[6:7], s[6:7]
	v_mov_b32_e32 v10, s10
	s_xor_b64 exec, exec, s[6:7]
	s_cbranch_execnz .LBB58_2172
.LBB58_122:
	s_or_b64 exec, exec, s[6:7]
	s_and_saveexec_b64 s[6:7], s[4:5]
	s_cbranch_execz .LBB58_124
.LBB58_123:
	v_bfe_u32 v10, v17, 24, 3
	v_ffbh_u32_e32 v15, v10
	v_min_u32_e32 v15, 32, v15
	v_lshrrev_b32_e32 v12, 27, v17
	v_subrev_u32_e32 v16, 28, v15
	v_and_b32_e32 v12, 15, v12
	v_lshlrev_b32_sdwa v16, v16, v17 dst_sel:DWORD dst_unused:UNUSED_PAD src0_sel:DWORD src1_sel:BYTE_3
	v_bfe_u32 v14, v17, 27, 4
	v_sub_u32_e32 v15, 29, v15
	v_and_b32_e32 v16, 7, v16
	v_cmp_eq_u16_e32 vcc, 0, v12
	v_cndmask_b32_e32 v10, v10, v16, vcc
	v_cndmask_b32_e32 v12, v14, v15, vcc
	v_mov_b32_e32 v14, 0x3b800000
	v_and_b32_e32 v11, 0x80000000, v17
	v_lshlrev_b32_e32 v10, 20, v10
	v_lshl_add_u32 v12, v12, 23, v14
	v_or3_b32 v10, v11, v12, v10
.LBB58_124:
	s_or_b64 exec, exec, s[6:7]
	s_movk_i32 s4, 0x7f
	v_cmp_gt_i16_sdwa s[6:7], v13, s4 src0_sel:BYTE_3 src1_sel:DWORD
	s_mov_b64 s[4:5], 0
                                        ; implicit-def: $sgpr10
	s_and_saveexec_b64 s[8:9], s[6:7]
	s_xor_b64 s[6:7], exec, s[8:9]
	s_cbranch_execnz .LBB58_2173
; %bb.125:
	s_or_saveexec_b64 s[6:7], s[6:7]
	v_mov_b32_e32 v11, s10
	s_xor_b64 exec, exec, s[6:7]
	s_cbranch_execnz .LBB58_2176
.LBB58_126:
	s_or_b64 exec, exec, s[6:7]
	s_and_saveexec_b64 s[6:7], s[4:5]
	s_cbranch_execz .LBB58_128
.LBB58_127:
	v_bfe_u32 v11, v13, 24, 3
	v_ffbh_u32_e32 v16, v11
	v_min_u32_e32 v16, 32, v16
	v_lshrrev_b32_e32 v14, 27, v13
	v_subrev_u32_e32 v17, 28, v16
	v_and_b32_e32 v12, 0x80000000, v13
	v_and_b32_e32 v14, 15, v14
	v_bfe_u32 v15, v13, 27, 4
	v_lshlrev_b32_sdwa v13, v17, v13 dst_sel:DWORD dst_unused:UNUSED_PAD src0_sel:DWORD src1_sel:BYTE_3
	v_sub_u32_e32 v16, 29, v16
	v_and_b32_e32 v13, 7, v13
	v_cmp_eq_u16_e32 vcc, 0, v14
	v_cndmask_b32_e32 v11, v11, v13, vcc
	v_cndmask_b32_e32 v13, v15, v16, vcc
	v_mov_b32_e32 v14, 0x3b800000
	v_lshlrev_b32_e32 v11, 20, v11
	v_lshl_add_u32 v13, v13, 23, v14
	v_or3_b32 v11, v12, v13, v11
.LBB58_128:
	s_or_b64 exec, exec, s[6:7]
	s_nop 0
	v_mfma_f32_16x16x4f32 a[0:3], v10, v11, a[0:3]
	s_movk_i32 s4, 0x7f
	v_cmp_gt_i16_sdwa s[6:7], v6, s4 src0_sel:BYTE_0 src1_sel:DWORD
	s_mov_b64 s[4:5], 0
                                        ; implicit-def: $sgpr10
	s_and_saveexec_b64 s[8:9], s[6:7]
	s_xor_b64 s[6:7], exec, s[8:9]
	s_cbranch_execnz .LBB58_2177
; %bb.129:
	s_or_saveexec_b64 s[6:7], s[6:7]
	v_mov_b32_e32 v10, s10
	s_xor_b64 exec, exec, s[6:7]
	s_cbranch_execnz .LBB58_2180
.LBB58_130:
	s_or_b64 exec, exec, s[6:7]
	s_and_saveexec_b64 s[6:7], s[4:5]
	s_cbranch_execz .LBB58_132
.LBB58_131:
	v_and_b32_e32 v10, 7, v6
	v_ffbh_u32_e32 v12, v10
	v_min_u32_e32 v12, 32, v12
	v_lshrrev_b16_e32 v11, 3, v6
	v_subrev_u32_e32 v13, 28, v12
	v_and_b32_e32 v11, 15, v11
	v_lshlrev_b32_e32 v13, v13, v6
	v_sub_u32_e32 v12, 29, v12
	v_and_b32_e32 v13, 7, v13
	v_cmp_eq_u16_e32 vcc, 0, v11
	v_cndmask_b32_e32 v10, v10, v13, vcc
	v_cndmask_b32_e32 v11, v11, v12, vcc
	v_lshlrev_b32_e32 v12, 24, v6
	v_mov_b32_e32 v13, 0x3b800000
	v_lshlrev_b32_e32 v10, 20, v10
	v_and_b32_e32 v12, 0x80000000, v12
	v_lshl_add_u32 v11, v11, 23, v13
	v_or3_b32 v10, v12, v11, v10
.LBB58_132:
	s_or_b64 exec, exec, s[6:7]
	s_movk_i32 s4, 0x7f
	v_cmp_gt_i16_sdwa s[6:7], v2, s4 src0_sel:BYTE_0 src1_sel:DWORD
	s_mov_b64 s[4:5], 0
                                        ; implicit-def: $sgpr10
	s_and_saveexec_b64 s[8:9], s[6:7]
	s_xor_b64 s[6:7], exec, s[8:9]
	s_cbranch_execnz .LBB58_2181
; %bb.133:
	s_or_saveexec_b64 s[6:7], s[6:7]
	v_mov_b32_e32 v11, s10
	s_xor_b64 exec, exec, s[6:7]
	s_cbranch_execnz .LBB58_2184
.LBB58_134:
	s_or_b64 exec, exec, s[6:7]
	s_and_saveexec_b64 s[6:7], s[4:5]
	s_cbranch_execz .LBB58_136
.LBB58_135:
	v_and_b32_e32 v11, 7, v2
	v_ffbh_u32_e32 v13, v11
	v_min_u32_e32 v13, 32, v13
	v_lshrrev_b16_e32 v12, 3, v2
	v_subrev_u32_e32 v14, 28, v13
	v_and_b32_e32 v12, 15, v12
	v_lshlrev_b32_e32 v14, v14, v2
	v_sub_u32_e32 v13, 29, v13
	v_and_b32_e32 v14, 7, v14
	v_cmp_eq_u16_e32 vcc, 0, v12
	v_cndmask_b32_e32 v11, v11, v14, vcc
	v_cndmask_b32_e32 v12, v12, v13, vcc
	v_lshlrev_b32_e32 v13, 24, v2
	v_mov_b32_e32 v14, 0x3b800000
	v_lshlrev_b32_e32 v11, 20, v11
	v_and_b32_e32 v13, 0x80000000, v13
	v_lshl_add_u32 v12, v12, 23, v14
	v_or3_b32 v11, v13, v12, v11
.LBB58_136:
	s_or_b64 exec, exec, s[6:7]
	s_nop 0
	v_mfma_f32_16x16x4f32 a[0:3], v10, v11, a[0:3]
	v_lshrrev_b32_e32 v11, 8, v6
	s_movk_i32 s4, 0x7f
	v_cmp_gt_i16_sdwa s[6:7], v11, s4 src0_sel:BYTE_0 src1_sel:DWORD
	s_mov_b64 s[4:5], 0
                                        ; implicit-def: $sgpr10
	s_and_saveexec_b64 s[8:9], s[6:7]
	s_xor_b64 s[6:7], exec, s[8:9]
	s_cbranch_execnz .LBB58_2185
; %bb.137:
	s_or_saveexec_b64 s[6:7], s[6:7]
	v_mov_b32_e32 v10, s10
	s_xor_b64 exec, exec, s[6:7]
	s_cbranch_execnz .LBB58_2188
.LBB58_138:
	s_or_b64 exec, exec, s[6:7]
	s_and_saveexec_b64 s[6:7], s[4:5]
	s_cbranch_execz .LBB58_140
.LBB58_139:
	v_bfe_u32 v10, v6, 8, 3
	v_ffbh_u32_e32 v13, v10
	v_min_u32_e32 v13, 32, v13
	v_lshrrev_b16_e32 v12, 3, v11
	v_subrev_u32_e32 v14, 28, v13
	v_and_b32_e32 v12, 15, v12
	v_lshlrev_b32_e32 v11, v14, v11
	v_sub_u32_e32 v13, 29, v13
	v_and_b32_e32 v11, 7, v11
	v_cmp_eq_u16_e32 vcc, 0, v12
	v_cndmask_b32_e32 v10, v10, v11, vcc
	v_cndmask_b32_e32 v11, v12, v13, vcc
	v_lshlrev_b32_e32 v12, 16, v6
	v_mov_b32_e32 v13, 0x3b800000
	v_lshlrev_b32_e32 v10, 20, v10
	v_and_b32_e32 v12, 0x80000000, v12
	v_lshl_add_u32 v11, v11, 23, v13
	v_or3_b32 v10, v12, v11, v10
.LBB58_140:
	s_or_b64 exec, exec, s[6:7]
	v_lshrrev_b32_e32 v11, 8, v2
	s_movk_i32 s4, 0x7f
	v_cmp_gt_i16_sdwa s[6:7], v11, s4 src0_sel:BYTE_0 src1_sel:DWORD
	s_mov_b64 s[4:5], 0
                                        ; implicit-def: $sgpr10
	s_and_saveexec_b64 s[8:9], s[6:7]
	s_xor_b64 s[6:7], exec, s[8:9]
	s_cbranch_execnz .LBB58_2189
; %bb.141:
	s_or_saveexec_b64 s[6:7], s[6:7]
	v_mov_b32_e32 v12, s10
	s_xor_b64 exec, exec, s[6:7]
	s_cbranch_execnz .LBB58_2192
.LBB58_142:
	s_or_b64 exec, exec, s[6:7]
	s_and_saveexec_b64 s[6:7], s[4:5]
	s_cbranch_execz .LBB58_144
.LBB58_143:
	v_bfe_u32 v12, v2, 8, 3
	v_ffbh_u32_e32 v14, v12
	v_min_u32_e32 v14, 32, v14
	v_lshrrev_b16_e32 v13, 3, v11
	v_subrev_u32_e32 v15, 28, v14
	v_and_b32_e32 v13, 15, v13
	v_lshlrev_b32_e32 v11, v15, v11
	v_sub_u32_e32 v14, 29, v14
	v_and_b32_e32 v11, 7, v11
	v_cmp_eq_u16_e32 vcc, 0, v13
	v_cndmask_b32_e32 v11, v12, v11, vcc
	v_cndmask_b32_e32 v12, v13, v14, vcc
	v_lshlrev_b32_e32 v13, 16, v2
	v_mov_b32_e32 v14, 0x3b800000
	v_lshlrev_b32_e32 v11, 20, v11
	v_and_b32_e32 v13, 0x80000000, v13
	v_lshl_add_u32 v12, v12, 23, v14
	v_or3_b32 v12, v13, v12, v11
.LBB58_144:
	s_or_b64 exec, exec, s[6:7]
	s_nop 0
	v_mfma_f32_16x16x4f32 a[0:3], v10, v12, a[0:3]
	s_movk_i32 s4, 0xff
	v_and_b32_sdwa v11, v6, s4 dst_sel:DWORD dst_unused:UNUSED_PAD src0_sel:WORD_1 src1_sel:DWORD
	s_movk_i32 s4, 0x7f
	v_cmp_lt_i16_e32 vcc, s4, v11
	s_mov_b64 s[4:5], 0
                                        ; implicit-def: $sgpr10
	s_and_saveexec_b64 s[6:7], vcc
	s_xor_b64 s[6:7], exec, s[6:7]
	s_cbranch_execnz .LBB58_2193
; %bb.145:
	s_or_saveexec_b64 s[6:7], s[6:7]
	v_mov_b32_e32 v10, s10
	s_xor_b64 exec, exec, s[6:7]
	s_cbranch_execnz .LBB58_2196
.LBB58_146:
	s_or_b64 exec, exec, s[6:7]
	s_and_saveexec_b64 s[6:7], s[4:5]
	s_cbranch_execz .LBB58_148
.LBB58_147:
	v_bfe_u32 v10, v6, 16, 3
	v_ffbh_u32_e32 v13, v10
	v_min_u32_e32 v13, 32, v13
	v_lshrrev_b32_e32 v11, 19, v6
	v_subrev_u32_e32 v14, 28, v13
	v_and_b32_e32 v11, 15, v11
	v_lshlrev_b32_sdwa v14, v14, v6 dst_sel:DWORD dst_unused:UNUSED_PAD src0_sel:DWORD src1_sel:WORD_1
	v_bfe_u32 v12, v6, 19, 4
	v_sub_u32_e32 v13, 29, v13
	v_and_b32_e32 v14, 7, v14
	v_cmp_eq_u16_e32 vcc, 0, v11
	v_cndmask_b32_e32 v10, v10, v14, vcc
	v_cndmask_b32_e32 v11, v12, v13, vcc
	v_lshlrev_b32_e32 v12, 8, v6
	v_mov_b32_e32 v13, 0x3b800000
	v_lshlrev_b32_e32 v10, 20, v10
	v_and_b32_e32 v12, 0x80000000, v12
	v_lshl_add_u32 v11, v11, 23, v13
	v_or3_b32 v10, v12, v11, v10
.LBB58_148:
	s_or_b64 exec, exec, s[6:7]
	s_movk_i32 s4, 0xff
	v_and_b32_sdwa v11, v2, s4 dst_sel:DWORD dst_unused:UNUSED_PAD src0_sel:WORD_1 src1_sel:DWORD
	s_movk_i32 s4, 0x7f
	v_cmp_lt_i16_e32 vcc, s4, v11
	s_mov_b64 s[4:5], 0
                                        ; implicit-def: $sgpr10
	s_and_saveexec_b64 s[6:7], vcc
	s_xor_b64 s[6:7], exec, s[6:7]
	s_cbranch_execnz .LBB58_2197
; %bb.149:
	s_or_saveexec_b64 s[6:7], s[6:7]
	v_mov_b32_e32 v12, s10
	s_xor_b64 exec, exec, s[6:7]
	s_cbranch_execnz .LBB58_2200
.LBB58_150:
	s_or_b64 exec, exec, s[6:7]
	s_and_saveexec_b64 s[6:7], s[4:5]
	s_cbranch_execz .LBB58_152
.LBB58_151:
	v_bfe_u32 v11, v2, 16, 3
	v_ffbh_u32_e32 v14, v11
	v_min_u32_e32 v14, 32, v14
	v_lshrrev_b32_e32 v12, 19, v2
	v_subrev_u32_e32 v15, 28, v14
	v_and_b32_e32 v12, 15, v12
	v_lshlrev_b32_sdwa v15, v15, v2 dst_sel:DWORD dst_unused:UNUSED_PAD src0_sel:DWORD src1_sel:WORD_1
	v_bfe_u32 v13, v2, 19, 4
	v_sub_u32_e32 v14, 29, v14
	v_and_b32_e32 v15, 7, v15
	v_cmp_eq_u16_e32 vcc, 0, v12
	v_cndmask_b32_e32 v11, v11, v15, vcc
	v_cndmask_b32_e32 v12, v13, v14, vcc
	v_lshlrev_b32_e32 v13, 8, v2
	v_mov_b32_e32 v14, 0x3b800000
	v_lshlrev_b32_e32 v11, 20, v11
	v_and_b32_e32 v13, 0x80000000, v13
	v_lshl_add_u32 v12, v12, 23, v14
	v_or3_b32 v12, v13, v12, v11
.LBB58_152:
	s_or_b64 exec, exec, s[6:7]
	s_nop 0
	v_mfma_f32_16x16x4f32 a[0:3], v10, v12, a[0:3]
	s_movk_i32 s4, 0x7f
	v_cmp_gt_i16_sdwa s[6:7], v6, s4 src0_sel:BYTE_3 src1_sel:DWORD
	s_mov_b64 s[4:5], 0
                                        ; implicit-def: $sgpr10
	s_and_saveexec_b64 s[8:9], s[6:7]
	s_xor_b64 s[6:7], exec, s[8:9]
	s_cbranch_execnz .LBB58_2201
; %bb.153:
	s_or_saveexec_b64 s[6:7], s[6:7]
	v_mov_b32_e32 v10, s10
	s_xor_b64 exec, exec, s[6:7]
	s_cbranch_execnz .LBB58_2204
.LBB58_154:
	s_or_b64 exec, exec, s[6:7]
	s_and_saveexec_b64 s[6:7], s[4:5]
	s_cbranch_execz .LBB58_156
.LBB58_155:
	v_bfe_u32 v10, v6, 24, 3
	v_ffbh_u32_e32 v14, v10
	v_min_u32_e32 v14, 32, v14
	v_lshrrev_b32_e32 v12, 27, v6
	v_subrev_u32_e32 v15, 28, v14
	v_and_b32_e32 v11, 0x80000000, v6
	v_and_b32_e32 v12, 15, v12
	v_bfe_u32 v13, v6, 27, 4
	v_lshlrev_b32_sdwa v6, v15, v6 dst_sel:DWORD dst_unused:UNUSED_PAD src0_sel:DWORD src1_sel:BYTE_3
	v_sub_u32_e32 v14, 29, v14
	v_and_b32_e32 v6, 7, v6
	v_cmp_eq_u16_e32 vcc, 0, v12
	v_cndmask_b32_e32 v6, v10, v6, vcc
	v_cndmask_b32_e32 v10, v13, v14, vcc
	v_mov_b32_e32 v12, 0x3b800000
	v_lshlrev_b32_e32 v6, 20, v6
	v_lshl_add_u32 v10, v10, 23, v12
	v_or3_b32 v10, v11, v10, v6
.LBB58_156:
	s_or_b64 exec, exec, s[6:7]
	s_movk_i32 s4, 0x7f
	v_cmp_gt_i16_sdwa s[6:7], v2, s4 src0_sel:BYTE_3 src1_sel:DWORD
	s_mov_b64 s[4:5], 0
                                        ; implicit-def: $sgpr10
	s_and_saveexec_b64 s[8:9], s[6:7]
	s_xor_b64 s[6:7], exec, s[8:9]
	s_cbranch_execnz .LBB58_2205
; %bb.157:
	s_or_saveexec_b64 s[6:7], s[6:7]
	v_mov_b32_e32 v6, s10
	s_xor_b64 exec, exec, s[6:7]
	s_cbranch_execnz .LBB58_2208
.LBB58_158:
	s_or_b64 exec, exec, s[6:7]
	s_and_saveexec_b64 s[6:7], s[4:5]
	s_cbranch_execz .LBB58_160
.LBB58_159:
	v_bfe_u32 v6, v2, 24, 3
	v_ffbh_u32_e32 v14, v6
	v_min_u32_e32 v14, 32, v14
	v_lshrrev_b32_e32 v12, 27, v2
	v_subrev_u32_e32 v15, 28, v14
	v_and_b32_e32 v11, 0x80000000, v2
	v_and_b32_e32 v12, 15, v12
	v_bfe_u32 v13, v2, 27, 4
	v_lshlrev_b32_sdwa v2, v15, v2 dst_sel:DWORD dst_unused:UNUSED_PAD src0_sel:DWORD src1_sel:BYTE_3
	v_sub_u32_e32 v14, 29, v14
	v_and_b32_e32 v2, 7, v2
	v_cmp_eq_u16_e32 vcc, 0, v12
	v_cndmask_b32_e32 v2, v6, v2, vcc
	v_cndmask_b32_e32 v6, v13, v14, vcc
	v_mov_b32_e32 v12, 0x3b800000
	v_lshlrev_b32_e32 v2, 20, v2
	v_lshl_add_u32 v6, v6, 23, v12
	v_or3_b32 v6, v11, v6, v2
.LBB58_160:
	s_or_b64 exec, exec, s[6:7]
	s_nop 0
	v_mfma_f32_16x16x4f32 a[0:3], v10, v6, a[0:3]
	s_movk_i32 s4, 0x7f
	v_cmp_gt_i16_sdwa s[6:7], v7, s4 src0_sel:BYTE_0 src1_sel:DWORD
	s_mov_b64 s[4:5], 0
                                        ; implicit-def: $sgpr10
	s_and_saveexec_b64 s[8:9], s[6:7]
	s_xor_b64 s[6:7], exec, s[8:9]
	s_cbranch_execnz .LBB58_2209
; %bb.161:
	s_or_saveexec_b64 s[6:7], s[6:7]
	v_mov_b32_e32 v2, s10
	s_xor_b64 exec, exec, s[6:7]
	s_cbranch_execnz .LBB58_2212
.LBB58_162:
	s_or_b64 exec, exec, s[6:7]
	s_and_saveexec_b64 s[6:7], s[4:5]
	s_cbranch_execz .LBB58_164
.LBB58_163:
	v_and_b32_e32 v2, 7, v7
	v_ffbh_u32_e32 v10, v2
	v_min_u32_e32 v10, 32, v10
	v_lshrrev_b16_e32 v6, 3, v7
	v_subrev_u32_e32 v11, 28, v10
	v_and_b32_e32 v6, 15, v6
	v_lshlrev_b32_e32 v11, v11, v7
	v_sub_u32_e32 v10, 29, v10
	v_and_b32_e32 v11, 7, v11
	v_cmp_eq_u16_e32 vcc, 0, v6
	v_cndmask_b32_e32 v2, v2, v11, vcc
	v_cndmask_b32_e32 v6, v6, v10, vcc
	v_lshlrev_b32_e32 v10, 24, v7
	v_mov_b32_e32 v11, 0x3b800000
	v_lshlrev_b32_e32 v2, 20, v2
	v_and_b32_e32 v10, 0x80000000, v10
	v_lshl_add_u32 v6, v6, 23, v11
	v_or3_b32 v2, v10, v6, v2
.LBB58_164:
	s_or_b64 exec, exec, s[6:7]
	s_movk_i32 s4, 0x7f
	v_cmp_gt_i16_sdwa s[6:7], v3, s4 src0_sel:BYTE_0 src1_sel:DWORD
	s_mov_b64 s[4:5], 0
                                        ; implicit-def: $sgpr10
	s_and_saveexec_b64 s[8:9], s[6:7]
	s_xor_b64 s[6:7], exec, s[8:9]
	s_cbranch_execnz .LBB58_2213
; %bb.165:
	s_or_saveexec_b64 s[6:7], s[6:7]
	v_mov_b32_e32 v6, s10
	s_xor_b64 exec, exec, s[6:7]
	s_cbranch_execnz .LBB58_2216
.LBB58_166:
	s_or_b64 exec, exec, s[6:7]
	s_and_saveexec_b64 s[6:7], s[4:5]
	s_cbranch_execz .LBB58_168
.LBB58_167:
	v_and_b32_e32 v6, 7, v3
	v_ffbh_u32_e32 v11, v6
	v_min_u32_e32 v11, 32, v11
	v_lshrrev_b16_e32 v10, 3, v3
	v_subrev_u32_e32 v12, 28, v11
	v_and_b32_e32 v10, 15, v10
	v_lshlrev_b32_e32 v12, v12, v3
	v_sub_u32_e32 v11, 29, v11
	v_and_b32_e32 v12, 7, v12
	v_cmp_eq_u16_e32 vcc, 0, v10
	v_cndmask_b32_e32 v6, v6, v12, vcc
	v_cndmask_b32_e32 v10, v10, v11, vcc
	v_lshlrev_b32_e32 v11, 24, v3
	v_mov_b32_e32 v12, 0x3b800000
	v_lshlrev_b32_e32 v6, 20, v6
	v_and_b32_e32 v11, 0x80000000, v11
	v_lshl_add_u32 v10, v10, 23, v12
	v_or3_b32 v6, v11, v10, v6
.LBB58_168:
	s_or_b64 exec, exec, s[6:7]
	s_nop 0
	v_mfma_f32_16x16x4f32 a[0:3], v2, v6, a[0:3]
	v_lshrrev_b32_e32 v6, 8, v7
	s_movk_i32 s4, 0x7f
	v_cmp_gt_i16_sdwa s[6:7], v6, s4 src0_sel:BYTE_0 src1_sel:DWORD
	s_mov_b64 s[4:5], 0
                                        ; implicit-def: $sgpr10
	s_and_saveexec_b64 s[8:9], s[6:7]
	s_xor_b64 s[6:7], exec, s[8:9]
	s_cbranch_execnz .LBB58_2217
; %bb.169:
	s_or_saveexec_b64 s[6:7], s[6:7]
	v_mov_b32_e32 v2, s10
	s_xor_b64 exec, exec, s[6:7]
	s_cbranch_execnz .LBB58_2220
.LBB58_170:
	s_or_b64 exec, exec, s[6:7]
	s_and_saveexec_b64 s[6:7], s[4:5]
	s_cbranch_execz .LBB58_172
.LBB58_171:
	v_bfe_u32 v2, v7, 8, 3
	v_ffbh_u32_e32 v11, v2
	v_min_u32_e32 v11, 32, v11
	v_lshrrev_b16_e32 v10, 3, v6
	v_subrev_u32_e32 v12, 28, v11
	v_and_b32_e32 v10, 15, v10
	v_lshlrev_b32_e32 v6, v12, v6
	v_sub_u32_e32 v11, 29, v11
	v_and_b32_e32 v6, 7, v6
	v_cmp_eq_u16_e32 vcc, 0, v10
	v_cndmask_b32_e32 v2, v2, v6, vcc
	v_cndmask_b32_e32 v6, v10, v11, vcc
	v_lshlrev_b32_e32 v10, 16, v7
	v_mov_b32_e32 v11, 0x3b800000
	v_lshlrev_b32_e32 v2, 20, v2
	v_and_b32_e32 v10, 0x80000000, v10
	v_lshl_add_u32 v6, v6, 23, v11
	v_or3_b32 v2, v10, v6, v2
.LBB58_172:
	s_or_b64 exec, exec, s[6:7]
	v_lshrrev_b32_e32 v6, 8, v3
	s_movk_i32 s4, 0x7f
	v_cmp_gt_i16_sdwa s[6:7], v6, s4 src0_sel:BYTE_0 src1_sel:DWORD
	s_mov_b64 s[4:5], 0
                                        ; implicit-def: $sgpr10
	s_and_saveexec_b64 s[8:9], s[6:7]
	s_xor_b64 s[6:7], exec, s[8:9]
	s_cbranch_execnz .LBB58_2221
; %bb.173:
	s_or_saveexec_b64 s[6:7], s[6:7]
	v_mov_b32_e32 v10, s10
	s_xor_b64 exec, exec, s[6:7]
	s_cbranch_execnz .LBB58_2224
.LBB58_174:
	s_or_b64 exec, exec, s[6:7]
	s_and_saveexec_b64 s[6:7], s[4:5]
	s_cbranch_execz .LBB58_176
.LBB58_175:
	v_bfe_u32 v10, v3, 8, 3
	v_ffbh_u32_e32 v12, v10
	v_min_u32_e32 v12, 32, v12
	v_lshrrev_b16_e32 v11, 3, v6
	v_subrev_u32_e32 v13, 28, v12
	v_and_b32_e32 v11, 15, v11
	v_lshlrev_b32_e32 v6, v13, v6
	v_sub_u32_e32 v12, 29, v12
	v_and_b32_e32 v6, 7, v6
	v_cmp_eq_u16_e32 vcc, 0, v11
	v_cndmask_b32_e32 v6, v10, v6, vcc
	v_cndmask_b32_e32 v10, v11, v12, vcc
	v_lshlrev_b32_e32 v11, 16, v3
	v_mov_b32_e32 v12, 0x3b800000
	v_lshlrev_b32_e32 v6, 20, v6
	v_and_b32_e32 v11, 0x80000000, v11
	v_lshl_add_u32 v10, v10, 23, v12
	v_or3_b32 v10, v11, v10, v6
.LBB58_176:
	s_or_b64 exec, exec, s[6:7]
	s_nop 0
	v_mfma_f32_16x16x4f32 a[0:3], v2, v10, a[0:3]
	s_movk_i32 s4, 0xff
	v_and_b32_sdwa v6, v7, s4 dst_sel:DWORD dst_unused:UNUSED_PAD src0_sel:WORD_1 src1_sel:DWORD
	s_movk_i32 s4, 0x7f
	v_cmp_lt_i16_e32 vcc, s4, v6
	s_mov_b64 s[4:5], 0
                                        ; implicit-def: $sgpr10
	s_and_saveexec_b64 s[6:7], vcc
	s_xor_b64 s[6:7], exec, s[6:7]
	s_cbranch_execnz .LBB58_2225
; %bb.177:
	s_or_saveexec_b64 s[6:7], s[6:7]
	v_mov_b32_e32 v2, s10
	s_xor_b64 exec, exec, s[6:7]
	s_cbranch_execnz .LBB58_2228
.LBB58_178:
	s_or_b64 exec, exec, s[6:7]
	s_and_saveexec_b64 s[6:7], s[4:5]
	s_cbranch_execz .LBB58_180
.LBB58_179:
	v_bfe_u32 v2, v7, 16, 3
	v_ffbh_u32_e32 v11, v2
	v_min_u32_e32 v11, 32, v11
	v_lshrrev_b32_e32 v6, 19, v7
	v_subrev_u32_e32 v12, 28, v11
	v_and_b32_e32 v6, 15, v6
	v_lshlrev_b32_sdwa v12, v12, v7 dst_sel:DWORD dst_unused:UNUSED_PAD src0_sel:DWORD src1_sel:WORD_1
	v_bfe_u32 v10, v7, 19, 4
	v_sub_u32_e32 v11, 29, v11
	v_and_b32_e32 v12, 7, v12
	v_cmp_eq_u16_e32 vcc, 0, v6
	v_cndmask_b32_e32 v2, v2, v12, vcc
	v_cndmask_b32_e32 v6, v10, v11, vcc
	v_lshlrev_b32_e32 v10, 8, v7
	v_mov_b32_e32 v11, 0x3b800000
	v_lshlrev_b32_e32 v2, 20, v2
	v_and_b32_e32 v10, 0x80000000, v10
	v_lshl_add_u32 v6, v6, 23, v11
	v_or3_b32 v2, v10, v6, v2
.LBB58_180:
	s_or_b64 exec, exec, s[6:7]
	s_movk_i32 s4, 0xff
	v_and_b32_sdwa v6, v3, s4 dst_sel:DWORD dst_unused:UNUSED_PAD src0_sel:WORD_1 src1_sel:DWORD
	s_movk_i32 s4, 0x7f
	v_cmp_lt_i16_e32 vcc, s4, v6
	s_mov_b64 s[4:5], 0
                                        ; implicit-def: $sgpr10
	s_and_saveexec_b64 s[6:7], vcc
	s_xor_b64 s[6:7], exec, s[6:7]
	s_cbranch_execnz .LBB58_2229
; %bb.181:
	s_or_saveexec_b64 s[6:7], s[6:7]
	v_mov_b32_e32 v10, s10
	s_xor_b64 exec, exec, s[6:7]
	s_cbranch_execnz .LBB58_2232
.LBB58_182:
	s_or_b64 exec, exec, s[6:7]
	s_and_saveexec_b64 s[6:7], s[4:5]
	s_cbranch_execz .LBB58_184
.LBB58_183:
	v_bfe_u32 v6, v3, 16, 3
	v_ffbh_u32_e32 v12, v6
	v_min_u32_e32 v12, 32, v12
	v_lshrrev_b32_e32 v10, 19, v3
	v_subrev_u32_e32 v13, 28, v12
	v_and_b32_e32 v10, 15, v10
	v_lshlrev_b32_sdwa v13, v13, v3 dst_sel:DWORD dst_unused:UNUSED_PAD src0_sel:DWORD src1_sel:WORD_1
	v_bfe_u32 v11, v3, 19, 4
	v_sub_u32_e32 v12, 29, v12
	v_and_b32_e32 v13, 7, v13
	v_cmp_eq_u16_e32 vcc, 0, v10
	v_cndmask_b32_e32 v6, v6, v13, vcc
	v_cndmask_b32_e32 v10, v11, v12, vcc
	v_lshlrev_b32_e32 v11, 8, v3
	v_mov_b32_e32 v12, 0x3b800000
	v_lshlrev_b32_e32 v6, 20, v6
	v_and_b32_e32 v11, 0x80000000, v11
	v_lshl_add_u32 v10, v10, 23, v12
	v_or3_b32 v10, v11, v10, v6
.LBB58_184:
	s_or_b64 exec, exec, s[6:7]
	s_nop 0
	v_mfma_f32_16x16x4f32 a[0:3], v2, v10, a[0:3]
	s_movk_i32 s4, 0x7f
	v_cmp_gt_i16_sdwa s[6:7], v7, s4 src0_sel:BYTE_3 src1_sel:DWORD
	s_mov_b64 s[4:5], 0
                                        ; implicit-def: $sgpr10
	s_and_saveexec_b64 s[8:9], s[6:7]
	s_xor_b64 s[6:7], exec, s[8:9]
	s_cbranch_execnz .LBB58_2233
; %bb.185:
	s_or_saveexec_b64 s[6:7], s[6:7]
	v_mov_b32_e32 v2, s10
	s_xor_b64 exec, exec, s[6:7]
	s_cbranch_execnz .LBB58_2236
.LBB58_186:
	s_or_b64 exec, exec, s[6:7]
	s_and_saveexec_b64 s[6:7], s[4:5]
	s_cbranch_execz .LBB58_188
.LBB58_187:
	v_bfe_u32 v2, v7, 24, 3
	v_ffbh_u32_e32 v12, v2
	v_min_u32_e32 v12, 32, v12
	v_lshrrev_b32_e32 v10, 27, v7
	v_subrev_u32_e32 v13, 28, v12
	v_and_b32_e32 v6, 0x80000000, v7
	v_and_b32_e32 v10, 15, v10
	v_bfe_u32 v11, v7, 27, 4
	v_lshlrev_b32_sdwa v7, v13, v7 dst_sel:DWORD dst_unused:UNUSED_PAD src0_sel:DWORD src1_sel:BYTE_3
	v_sub_u32_e32 v12, 29, v12
	v_and_b32_e32 v7, 7, v7
	v_cmp_eq_u16_e32 vcc, 0, v10
	v_cndmask_b32_e32 v2, v2, v7, vcc
	v_cndmask_b32_e32 v7, v11, v12, vcc
	v_mov_b32_e32 v10, 0x3b800000
	v_lshlrev_b32_e32 v2, 20, v2
	v_lshl_add_u32 v7, v7, 23, v10
	v_or3_b32 v2, v6, v7, v2
.LBB58_188:
	s_or_b64 exec, exec, s[6:7]
	s_movk_i32 s4, 0x7f
	v_cmp_gt_i16_sdwa s[6:7], v3, s4 src0_sel:BYTE_3 src1_sel:DWORD
	s_mov_b64 s[4:5], 0
                                        ; implicit-def: $sgpr10
	s_and_saveexec_b64 s[8:9], s[6:7]
	s_xor_b64 s[6:7], exec, s[8:9]
	s_cbranch_execnz .LBB58_2237
; %bb.189:
	s_or_saveexec_b64 s[6:7], s[6:7]
	v_mov_b32_e32 v6, s10
	s_xor_b64 exec, exec, s[6:7]
	s_cbranch_execnz .LBB58_2240
.LBB58_190:
	s_or_b64 exec, exec, s[6:7]
	s_and_saveexec_b64 s[6:7], s[4:5]
	s_cbranch_execz .LBB58_192
.LBB58_191:
	v_bfe_u32 v6, v3, 24, 3
	v_ffbh_u32_e32 v12, v6
	v_min_u32_e32 v12, 32, v12
	v_lshrrev_b32_e32 v10, 27, v3
	v_subrev_u32_e32 v13, 28, v12
	v_and_b32_e32 v7, 0x80000000, v3
	v_and_b32_e32 v10, 15, v10
	v_bfe_u32 v11, v3, 27, 4
	v_lshlrev_b32_sdwa v3, v13, v3 dst_sel:DWORD dst_unused:UNUSED_PAD src0_sel:DWORD src1_sel:BYTE_3
	v_sub_u32_e32 v12, 29, v12
	v_and_b32_e32 v3, 7, v3
	v_cmp_eq_u16_e32 vcc, 0, v10
	v_cndmask_b32_e32 v3, v6, v3, vcc
	v_cndmask_b32_e32 v6, v11, v12, vcc
	v_mov_b32_e32 v10, 0x3b800000
	v_lshlrev_b32_e32 v3, 20, v3
	v_lshl_add_u32 v6, v6, 23, v10
	v_or3_b32 v6, v7, v6, v3
.LBB58_192:
	s_or_b64 exec, exec, s[6:7]
	s_nop 0
	v_mfma_f32_16x16x4f32 a[0:3], v2, v6, a[0:3]
	s_movk_i32 s4, 0x7f
	v_cmp_gt_i16_sdwa s[6:7], v8, s4 src0_sel:BYTE_0 src1_sel:DWORD
	s_mov_b64 s[4:5], 0
                                        ; implicit-def: $sgpr10
	s_and_saveexec_b64 s[8:9], s[6:7]
	s_xor_b64 s[6:7], exec, s[8:9]
	s_cbranch_execnz .LBB58_2241
; %bb.193:
	s_or_saveexec_b64 s[6:7], s[6:7]
	v_mov_b32_e32 v2, s10
	s_xor_b64 exec, exec, s[6:7]
	s_cbranch_execnz .LBB58_2244
.LBB58_194:
	s_or_b64 exec, exec, s[6:7]
	s_and_saveexec_b64 s[6:7], s[4:5]
	s_cbranch_execz .LBB58_196
.LBB58_195:
	v_and_b32_e32 v2, 7, v8
	v_ffbh_u32_e32 v6, v2
	v_min_u32_e32 v6, 32, v6
	v_lshrrev_b16_e32 v3, 3, v8
	v_subrev_u32_e32 v7, 28, v6
	v_and_b32_e32 v3, 15, v3
	v_lshlrev_b32_e32 v7, v7, v8
	v_sub_u32_e32 v6, 29, v6
	v_and_b32_e32 v7, 7, v7
	v_cmp_eq_u16_e32 vcc, 0, v3
	v_cndmask_b32_e32 v2, v2, v7, vcc
	v_cndmask_b32_e32 v3, v3, v6, vcc
	v_lshlrev_b32_e32 v6, 24, v8
	v_mov_b32_e32 v7, 0x3b800000
	v_lshlrev_b32_e32 v2, 20, v2
	v_and_b32_e32 v6, 0x80000000, v6
	v_lshl_add_u32 v3, v3, 23, v7
	v_or3_b32 v2, v6, v3, v2
.LBB58_196:
	s_or_b64 exec, exec, s[6:7]
	s_movk_i32 s4, 0x7f
	v_cmp_gt_i16_sdwa s[6:7], v4, s4 src0_sel:BYTE_0 src1_sel:DWORD
	s_mov_b64 s[4:5], 0
                                        ; implicit-def: $sgpr10
	s_and_saveexec_b64 s[8:9], s[6:7]
	s_xor_b64 s[6:7], exec, s[8:9]
	s_cbranch_execnz .LBB58_2245
; %bb.197:
	s_or_saveexec_b64 s[6:7], s[6:7]
	v_mov_b32_e32 v3, s10
	s_xor_b64 exec, exec, s[6:7]
	s_cbranch_execnz .LBB58_2248
.LBB58_198:
	s_or_b64 exec, exec, s[6:7]
	s_and_saveexec_b64 s[6:7], s[4:5]
	s_cbranch_execz .LBB58_200
.LBB58_199:
	v_and_b32_e32 v3, 7, v4
	v_ffbh_u32_e32 v7, v3
	v_min_u32_e32 v7, 32, v7
	v_lshrrev_b16_e32 v6, 3, v4
	v_subrev_u32_e32 v10, 28, v7
	v_and_b32_e32 v6, 15, v6
	v_lshlrev_b32_e32 v10, v10, v4
	v_sub_u32_e32 v7, 29, v7
	v_and_b32_e32 v10, 7, v10
	v_cmp_eq_u16_e32 vcc, 0, v6
	v_cndmask_b32_e32 v3, v3, v10, vcc
	v_cndmask_b32_e32 v6, v6, v7, vcc
	v_lshlrev_b32_e32 v7, 24, v4
	v_mov_b32_e32 v10, 0x3b800000
	v_lshlrev_b32_e32 v3, 20, v3
	v_and_b32_e32 v7, 0x80000000, v7
	v_lshl_add_u32 v6, v6, 23, v10
	v_or3_b32 v3, v7, v6, v3
.LBB58_200:
	s_or_b64 exec, exec, s[6:7]
	s_nop 0
	v_mfma_f32_16x16x4f32 a[0:3], v2, v3, a[0:3]
	v_lshrrev_b32_e32 v3, 8, v8
	s_movk_i32 s4, 0x7f
	v_cmp_gt_i16_sdwa s[6:7], v3, s4 src0_sel:BYTE_0 src1_sel:DWORD
	s_mov_b64 s[4:5], 0
                                        ; implicit-def: $sgpr10
	s_and_saveexec_b64 s[8:9], s[6:7]
	s_xor_b64 s[6:7], exec, s[8:9]
	s_cbranch_execnz .LBB58_2249
; %bb.201:
	s_or_saveexec_b64 s[6:7], s[6:7]
	v_mov_b32_e32 v2, s10
	s_xor_b64 exec, exec, s[6:7]
	s_cbranch_execnz .LBB58_2252
.LBB58_202:
	s_or_b64 exec, exec, s[6:7]
	s_and_saveexec_b64 s[6:7], s[4:5]
	s_cbranch_execz .LBB58_204
.LBB58_203:
	v_bfe_u32 v2, v8, 8, 3
	v_ffbh_u32_e32 v7, v2
	v_min_u32_e32 v7, 32, v7
	v_lshrrev_b16_e32 v6, 3, v3
	v_subrev_u32_e32 v10, 28, v7
	v_and_b32_e32 v6, 15, v6
	v_lshlrev_b32_e32 v3, v10, v3
	v_sub_u32_e32 v7, 29, v7
	v_and_b32_e32 v3, 7, v3
	v_cmp_eq_u16_e32 vcc, 0, v6
	v_cndmask_b32_e32 v2, v2, v3, vcc
	v_cndmask_b32_e32 v3, v6, v7, vcc
	v_lshlrev_b32_e32 v6, 16, v8
	v_mov_b32_e32 v7, 0x3b800000
	v_lshlrev_b32_e32 v2, 20, v2
	v_and_b32_e32 v6, 0x80000000, v6
	v_lshl_add_u32 v3, v3, 23, v7
	v_or3_b32 v2, v6, v3, v2
.LBB58_204:
	s_or_b64 exec, exec, s[6:7]
	v_lshrrev_b32_e32 v3, 8, v4
	s_movk_i32 s4, 0x7f
	v_cmp_gt_i16_sdwa s[6:7], v3, s4 src0_sel:BYTE_0 src1_sel:DWORD
	s_mov_b64 s[4:5], 0
                                        ; implicit-def: $sgpr10
	s_and_saveexec_b64 s[8:9], s[6:7]
	s_xor_b64 s[6:7], exec, s[8:9]
	s_cbranch_execnz .LBB58_2253
; %bb.205:
	s_or_saveexec_b64 s[6:7], s[6:7]
	v_mov_b32_e32 v6, s10
	s_xor_b64 exec, exec, s[6:7]
	s_cbranch_execnz .LBB58_2256
.LBB58_206:
	s_or_b64 exec, exec, s[6:7]
	s_and_saveexec_b64 s[6:7], s[4:5]
	s_cbranch_execz .LBB58_208
.LBB58_207:
	v_bfe_u32 v6, v4, 8, 3
	v_ffbh_u32_e32 v10, v6
	v_min_u32_e32 v10, 32, v10
	v_lshrrev_b16_e32 v7, 3, v3
	v_subrev_u32_e32 v11, 28, v10
	v_and_b32_e32 v7, 15, v7
	v_lshlrev_b32_e32 v3, v11, v3
	v_sub_u32_e32 v10, 29, v10
	v_and_b32_e32 v3, 7, v3
	v_cmp_eq_u16_e32 vcc, 0, v7
	v_cndmask_b32_e32 v3, v6, v3, vcc
	v_cndmask_b32_e32 v6, v7, v10, vcc
	v_lshlrev_b32_e32 v7, 16, v4
	v_mov_b32_e32 v10, 0x3b800000
	v_lshlrev_b32_e32 v3, 20, v3
	v_and_b32_e32 v7, 0x80000000, v7
	v_lshl_add_u32 v6, v6, 23, v10
	v_or3_b32 v6, v7, v6, v3
.LBB58_208:
	s_or_b64 exec, exec, s[6:7]
	s_nop 0
	v_mfma_f32_16x16x4f32 a[0:3], v2, v6, a[0:3]
	s_movk_i32 s4, 0xff
	v_and_b32_sdwa v3, v8, s4 dst_sel:DWORD dst_unused:UNUSED_PAD src0_sel:WORD_1 src1_sel:DWORD
	s_movk_i32 s4, 0x7f
	v_cmp_lt_i16_e32 vcc, s4, v3
	s_mov_b64 s[4:5], 0
                                        ; implicit-def: $sgpr10
	s_and_saveexec_b64 s[6:7], vcc
	s_xor_b64 s[6:7], exec, s[6:7]
	s_cbranch_execnz .LBB58_2257
; %bb.209:
	s_or_saveexec_b64 s[6:7], s[6:7]
	v_mov_b32_e32 v2, s10
	s_xor_b64 exec, exec, s[6:7]
	s_cbranch_execnz .LBB58_2260
.LBB58_210:
	s_or_b64 exec, exec, s[6:7]
	s_and_saveexec_b64 s[6:7], s[4:5]
	s_cbranch_execz .LBB58_212
.LBB58_211:
	v_bfe_u32 v2, v8, 16, 3
	v_ffbh_u32_e32 v7, v2
	v_min_u32_e32 v7, 32, v7
	v_lshrrev_b32_e32 v3, 19, v8
	v_subrev_u32_e32 v10, 28, v7
	v_and_b32_e32 v3, 15, v3
	v_lshlrev_b32_sdwa v10, v10, v8 dst_sel:DWORD dst_unused:UNUSED_PAD src0_sel:DWORD src1_sel:WORD_1
	v_bfe_u32 v6, v8, 19, 4
	v_sub_u32_e32 v7, 29, v7
	v_and_b32_e32 v10, 7, v10
	v_cmp_eq_u16_e32 vcc, 0, v3
	v_cndmask_b32_e32 v2, v2, v10, vcc
	v_cndmask_b32_e32 v3, v6, v7, vcc
	v_lshlrev_b32_e32 v6, 8, v8
	v_mov_b32_e32 v7, 0x3b800000
	v_lshlrev_b32_e32 v2, 20, v2
	v_and_b32_e32 v6, 0x80000000, v6
	v_lshl_add_u32 v3, v3, 23, v7
	v_or3_b32 v2, v6, v3, v2
.LBB58_212:
	s_or_b64 exec, exec, s[6:7]
	s_movk_i32 s4, 0xff
	v_and_b32_sdwa v3, v4, s4 dst_sel:DWORD dst_unused:UNUSED_PAD src0_sel:WORD_1 src1_sel:DWORD
	s_movk_i32 s4, 0x7f
	v_cmp_lt_i16_e32 vcc, s4, v3
	s_mov_b64 s[4:5], 0
                                        ; implicit-def: $sgpr10
	s_and_saveexec_b64 s[6:7], vcc
	s_xor_b64 s[6:7], exec, s[6:7]
	s_cbranch_execnz .LBB58_2261
; %bb.213:
	s_or_saveexec_b64 s[6:7], s[6:7]
	v_mov_b32_e32 v6, s10
	s_xor_b64 exec, exec, s[6:7]
	s_cbranch_execnz .LBB58_2264
.LBB58_214:
	s_or_b64 exec, exec, s[6:7]
	s_and_saveexec_b64 s[6:7], s[4:5]
	s_cbranch_execz .LBB58_216
.LBB58_215:
	v_bfe_u32 v3, v4, 16, 3
	v_ffbh_u32_e32 v10, v3
	v_min_u32_e32 v10, 32, v10
	v_lshrrev_b32_e32 v6, 19, v4
	v_subrev_u32_e32 v11, 28, v10
	v_and_b32_e32 v6, 15, v6
	v_lshlrev_b32_sdwa v11, v11, v4 dst_sel:DWORD dst_unused:UNUSED_PAD src0_sel:DWORD src1_sel:WORD_1
	v_bfe_u32 v7, v4, 19, 4
	v_sub_u32_e32 v10, 29, v10
	v_and_b32_e32 v11, 7, v11
	v_cmp_eq_u16_e32 vcc, 0, v6
	v_cndmask_b32_e32 v3, v3, v11, vcc
	v_cndmask_b32_e32 v6, v7, v10, vcc
	v_lshlrev_b32_e32 v7, 8, v4
	v_mov_b32_e32 v10, 0x3b800000
	v_lshlrev_b32_e32 v3, 20, v3
	v_and_b32_e32 v7, 0x80000000, v7
	v_lshl_add_u32 v6, v6, 23, v10
	v_or3_b32 v6, v7, v6, v3
.LBB58_216:
	s_or_b64 exec, exec, s[6:7]
	s_nop 0
	v_mfma_f32_16x16x4f32 a[0:3], v2, v6, a[0:3]
	s_movk_i32 s4, 0x7f
	v_cmp_gt_i16_sdwa s[6:7], v8, s4 src0_sel:BYTE_3 src1_sel:DWORD
	s_mov_b64 s[4:5], 0
                                        ; implicit-def: $sgpr10
	s_and_saveexec_b64 s[8:9], s[6:7]
	s_xor_b64 s[6:7], exec, s[8:9]
	s_cbranch_execnz .LBB58_2265
; %bb.217:
	s_or_saveexec_b64 s[6:7], s[6:7]
	v_mov_b32_e32 v2, s10
	s_xor_b64 exec, exec, s[6:7]
	s_cbranch_execnz .LBB58_2268
.LBB58_218:
	s_or_b64 exec, exec, s[6:7]
	s_and_saveexec_b64 s[6:7], s[4:5]
	s_cbranch_execz .LBB58_220
.LBB58_219:
	v_bfe_u32 v2, v8, 24, 3
	v_ffbh_u32_e32 v10, v2
	v_min_u32_e32 v10, 32, v10
	v_lshrrev_b32_e32 v6, 27, v8
	v_subrev_u32_e32 v11, 28, v10
	v_and_b32_e32 v3, 0x80000000, v8
	v_and_b32_e32 v6, 15, v6
	v_bfe_u32 v7, v8, 27, 4
	v_lshlrev_b32_sdwa v8, v11, v8 dst_sel:DWORD dst_unused:UNUSED_PAD src0_sel:DWORD src1_sel:BYTE_3
	v_sub_u32_e32 v10, 29, v10
	v_and_b32_e32 v8, 7, v8
	v_cmp_eq_u16_e32 vcc, 0, v6
	v_cndmask_b32_e32 v2, v2, v8, vcc
	v_cndmask_b32_e32 v6, v7, v10, vcc
	v_mov_b32_e32 v7, 0x3b800000
	v_lshlrev_b32_e32 v2, 20, v2
	v_lshl_add_u32 v6, v6, 23, v7
	v_or3_b32 v2, v3, v6, v2
.LBB58_220:
	s_or_b64 exec, exec, s[6:7]
	s_movk_i32 s4, 0x7f
	v_cmp_gt_i16_sdwa s[6:7], v4, s4 src0_sel:BYTE_3 src1_sel:DWORD
	s_mov_b64 s[4:5], 0
                                        ; implicit-def: $sgpr10
	s_and_saveexec_b64 s[8:9], s[6:7]
	s_xor_b64 s[6:7], exec, s[8:9]
	s_cbranch_execnz .LBB58_2269
; %bb.221:
	s_or_saveexec_b64 s[6:7], s[6:7]
	v_mov_b32_e32 v3, s10
	s_xor_b64 exec, exec, s[6:7]
	s_cbranch_execnz .LBB58_2272
.LBB58_222:
	s_or_b64 exec, exec, s[6:7]
	s_and_saveexec_b64 s[6:7], s[4:5]
	s_cbranch_execz .LBB58_224
.LBB58_223:
	v_bfe_u32 v3, v4, 24, 3
	v_ffbh_u32_e32 v10, v3
	v_min_u32_e32 v10, 32, v10
	v_lshrrev_b32_e32 v7, 27, v4
	v_subrev_u32_e32 v11, 28, v10
	v_and_b32_e32 v6, 0x80000000, v4
	v_and_b32_e32 v7, 15, v7
	v_bfe_u32 v8, v4, 27, 4
	v_lshlrev_b32_sdwa v4, v11, v4 dst_sel:DWORD dst_unused:UNUSED_PAD src0_sel:DWORD src1_sel:BYTE_3
	v_sub_u32_e32 v10, 29, v10
	v_and_b32_e32 v4, 7, v4
	v_cmp_eq_u16_e32 vcc, 0, v7
	v_cndmask_b32_e32 v3, v3, v4, vcc
	v_cndmask_b32_e32 v4, v8, v10, vcc
	v_mov_b32_e32 v7, 0x3b800000
	v_lshlrev_b32_e32 v3, 20, v3
	v_lshl_add_u32 v4, v4, 23, v7
	v_or3_b32 v3, v6, v4, v3
.LBB58_224:
	s_or_b64 exec, exec, s[6:7]
	s_nop 0
	v_mfma_f32_16x16x4f32 a[0:3], v2, v3, a[0:3]
	s_movk_i32 s4, 0x7f
	v_cmp_gt_i16_sdwa s[6:7], v9, s4 src0_sel:BYTE_0 src1_sel:DWORD
	s_mov_b64 s[4:5], 0
                                        ; implicit-def: $sgpr10
	s_and_saveexec_b64 s[8:9], s[6:7]
	s_xor_b64 s[6:7], exec, s[8:9]
	s_cbranch_execnz .LBB58_2273
; %bb.225:
	s_or_saveexec_b64 s[6:7], s[6:7]
	v_mov_b32_e32 v2, s10
	s_xor_b64 exec, exec, s[6:7]
	s_cbranch_execnz .LBB58_2276
.LBB58_226:
	s_or_b64 exec, exec, s[6:7]
	s_and_saveexec_b64 s[6:7], s[4:5]
	s_cbranch_execz .LBB58_228
.LBB58_227:
	v_mov_b32_e32 v2, 8
	v_and_b32_e32 v3, 7, v9
	v_lshrrev_b32_sdwa v2, v2, v9 dst_sel:BYTE_1 dst_unused:UNUSED_PAD src0_sel:DWORD src1_sel:DWORD
	v_ffbh_u32_e32 v4, v3
	v_or_b32_sdwa v2, v9, v2 dst_sel:DWORD dst_unused:UNUSED_PAD src0_sel:BYTE_0 src1_sel:DWORD
	v_min_u32_e32 v4, 32, v4
	v_lshrrev_b16_e32 v2, 3, v2
	v_subrev_u32_e32 v6, 28, v4
	v_and_b32_e32 v2, 15, v2
	v_lshlrev_b32_e32 v6, v6, v9
	v_sub_u32_e32 v4, 29, v4
	v_and_b32_e32 v6, 7, v6
	v_cmp_eq_u16_e32 vcc, 0, v2
	v_cndmask_b32_e32 v3, v3, v6, vcc
	v_cndmask_b32_e32 v2, v2, v4, vcc
	v_lshlrev_b32_e32 v4, 24, v9
	v_mov_b32_e32 v6, 0x3b800000
	v_lshlrev_b32_e32 v3, 20, v3
	v_and_b32_e32 v4, 0x80000000, v4
	v_lshl_add_u32 v2, v2, 23, v6
	v_or3_b32 v2, v4, v2, v3
.LBB58_228:
	s_or_b64 exec, exec, s[6:7]
	s_movk_i32 s4, 0x7f
	v_cmp_gt_i16_sdwa s[6:7], v5, s4 src0_sel:BYTE_0 src1_sel:DWORD
	s_mov_b64 s[4:5], 0
                                        ; implicit-def: $sgpr10
	s_and_saveexec_b64 s[8:9], s[6:7]
	s_xor_b64 s[6:7], exec, s[8:9]
	s_cbranch_execnz .LBB58_2277
; %bb.229:
	s_or_saveexec_b64 s[6:7], s[6:7]
	v_mov_b32_e32 v3, s10
	s_xor_b64 exec, exec, s[6:7]
	s_cbranch_execnz .LBB58_2280
.LBB58_230:
	s_or_b64 exec, exec, s[6:7]
	s_and_saveexec_b64 s[6:7], s[4:5]
	s_cbranch_execz .LBB58_232
.LBB58_231:
	v_mov_b32_e32 v3, 8
	v_and_b32_e32 v4, 7, v5
	v_lshrrev_b32_sdwa v3, v3, v5 dst_sel:BYTE_1 dst_unused:UNUSED_PAD src0_sel:DWORD src1_sel:DWORD
	v_ffbh_u32_e32 v6, v4
	v_or_b32_sdwa v3, v5, v3 dst_sel:DWORD dst_unused:UNUSED_PAD src0_sel:BYTE_0 src1_sel:DWORD
	v_min_u32_e32 v6, 32, v6
	v_lshrrev_b16_e32 v3, 3, v3
	v_subrev_u32_e32 v7, 28, v6
	v_and_b32_e32 v3, 15, v3
	v_lshlrev_b32_e32 v7, v7, v5
	v_sub_u32_e32 v6, 29, v6
	v_and_b32_e32 v7, 7, v7
	v_cmp_eq_u16_e32 vcc, 0, v3
	v_cndmask_b32_e32 v4, v4, v7, vcc
	v_cndmask_b32_e32 v3, v3, v6, vcc
	v_lshlrev_b32_e32 v6, 24, v5
	v_mov_b32_e32 v7, 0x3b800000
	v_lshlrev_b32_e32 v4, 20, v4
	v_and_b32_e32 v6, 0x80000000, v6
	v_lshl_add_u32 v3, v3, 23, v7
	v_or3_b32 v3, v6, v3, v4
.LBB58_232:
	s_or_b64 exec, exec, s[6:7]
	s_nop 0
	v_mfma_f32_16x16x4f32 a[0:3], v2, v3, a[0:3]
	v_lshrrev_b32_e32 v3, 8, v9
	s_movk_i32 s4, 0x7f
	v_cmp_gt_i16_sdwa s[6:7], v3, s4 src0_sel:BYTE_0 src1_sel:DWORD
	s_mov_b64 s[4:5], 0
                                        ; implicit-def: $sgpr10
	s_and_saveexec_b64 s[8:9], s[6:7]
	s_xor_b64 s[6:7], exec, s[8:9]
	s_cbranch_execnz .LBB58_2281
; %bb.233:
	s_or_saveexec_b64 s[6:7], s[6:7]
	v_mov_b32_e32 v2, s10
	s_xor_b64 exec, exec, s[6:7]
	s_cbranch_execnz .LBB58_2284
.LBB58_234:
	s_or_b64 exec, exec, s[6:7]
	s_and_saveexec_b64 s[6:7], s[4:5]
	s_cbranch_execz .LBB58_236
.LBB58_235:
	v_bfe_u32 v2, v9, 8, 3
	v_ffbh_u32_e32 v6, v2
	v_min_u32_e32 v6, 32, v6
	v_lshrrev_b16_e32 v4, 3, v3
	v_subrev_u32_e32 v7, 28, v6
	v_and_b32_e32 v4, 15, v4
	v_lshlrev_b32_e32 v3, v7, v3
	v_sub_u32_e32 v6, 29, v6
	v_and_b32_e32 v3, 7, v3
	v_cmp_eq_u16_e32 vcc, 0, v4
	v_cndmask_b32_e32 v2, v2, v3, vcc
	v_cndmask_b32_e32 v3, v4, v6, vcc
	v_lshlrev_b32_e32 v4, 16, v9
	v_mov_b32_e32 v6, 0x3b800000
	v_lshlrev_b32_e32 v2, 20, v2
	v_and_b32_e32 v4, 0x80000000, v4
	v_lshl_add_u32 v3, v3, 23, v6
	v_or3_b32 v2, v4, v3, v2
.LBB58_236:
	s_or_b64 exec, exec, s[6:7]
	v_lshrrev_b32_e32 v3, 8, v5
	s_movk_i32 s4, 0x7f
	v_cmp_gt_i16_sdwa s[6:7], v3, s4 src0_sel:BYTE_0 src1_sel:DWORD
	s_mov_b64 s[4:5], 0
                                        ; implicit-def: $sgpr10
	s_and_saveexec_b64 s[8:9], s[6:7]
	s_xor_b64 s[6:7], exec, s[8:9]
	s_cbranch_execnz .LBB58_2285
; %bb.237:
	s_or_saveexec_b64 s[6:7], s[6:7]
	v_mov_b32_e32 v4, s10
	s_xor_b64 exec, exec, s[6:7]
	s_cbranch_execnz .LBB58_2288
.LBB58_238:
	s_or_b64 exec, exec, s[6:7]
	s_and_saveexec_b64 s[6:7], s[4:5]
	s_cbranch_execz .LBB58_240
.LBB58_239:
	v_bfe_u32 v4, v5, 8, 3
	v_ffbh_u32_e32 v7, v4
	v_min_u32_e32 v7, 32, v7
	v_lshrrev_b16_e32 v6, 3, v3
	v_subrev_u32_e32 v8, 28, v7
	v_and_b32_e32 v6, 15, v6
	v_lshlrev_b32_e32 v3, v8, v3
	v_sub_u32_e32 v7, 29, v7
	v_and_b32_e32 v3, 7, v3
	v_cmp_eq_u16_e32 vcc, 0, v6
	v_cndmask_b32_e32 v3, v4, v3, vcc
	v_cndmask_b32_e32 v4, v6, v7, vcc
	v_lshlrev_b32_e32 v6, 16, v5
	v_mov_b32_e32 v7, 0x3b800000
	v_lshlrev_b32_e32 v3, 20, v3
	v_and_b32_e32 v6, 0x80000000, v6
	v_lshl_add_u32 v4, v4, 23, v7
	v_or3_b32 v4, v6, v4, v3
.LBB58_240:
	s_or_b64 exec, exec, s[6:7]
	s_nop 0
	v_mfma_f32_16x16x4f32 a[0:3], v2, v4, a[0:3]
	s_movk_i32 s4, 0xff
	v_and_b32_sdwa v3, v9, s4 dst_sel:DWORD dst_unused:UNUSED_PAD src0_sel:WORD_1 src1_sel:DWORD
	s_movk_i32 s4, 0x7f
	v_cmp_lt_i16_e32 vcc, s4, v3
	s_mov_b64 s[4:5], 0
                                        ; implicit-def: $sgpr10
	s_and_saveexec_b64 s[6:7], vcc
	s_xor_b64 s[6:7], exec, s[6:7]
	s_cbranch_execnz .LBB58_2289
; %bb.241:
	s_or_saveexec_b64 s[6:7], s[6:7]
	v_mov_b32_e32 v2, s10
	s_xor_b64 exec, exec, s[6:7]
	s_cbranch_execnz .LBB58_2292
.LBB58_242:
	s_or_b64 exec, exec, s[6:7]
	s_and_saveexec_b64 s[6:7], s[4:5]
	s_cbranch_execz .LBB58_244
.LBB58_243:
	v_bfe_u32 v2, v9, 16, 3
	v_ffbh_u32_e32 v6, v2
	v_min_u32_e32 v6, 32, v6
	v_lshrrev_b32_e32 v3, 19, v9
	v_subrev_u32_e32 v7, 28, v6
	v_and_b32_e32 v3, 15, v3
	v_lshlrev_b32_sdwa v7, v7, v9 dst_sel:DWORD dst_unused:UNUSED_PAD src0_sel:DWORD src1_sel:WORD_1
	v_bfe_u32 v4, v9, 19, 4
	v_sub_u32_e32 v6, 29, v6
	v_and_b32_e32 v7, 7, v7
	v_cmp_eq_u16_e32 vcc, 0, v3
	v_cndmask_b32_e32 v2, v2, v7, vcc
	v_cndmask_b32_e32 v3, v4, v6, vcc
	v_lshlrev_b32_e32 v4, 8, v9
	v_mov_b32_e32 v6, 0x3b800000
	v_lshlrev_b32_e32 v2, 20, v2
	v_and_b32_e32 v4, 0x80000000, v4
	v_lshl_add_u32 v3, v3, 23, v6
	v_or3_b32 v2, v4, v3, v2
.LBB58_244:
	s_or_b64 exec, exec, s[6:7]
	s_movk_i32 s4, 0xff
	v_and_b32_sdwa v3, v5, s4 dst_sel:DWORD dst_unused:UNUSED_PAD src0_sel:WORD_1 src1_sel:DWORD
	s_movk_i32 s4, 0x7f
	v_cmp_lt_i16_e32 vcc, s4, v3
	s_mov_b64 s[4:5], 0
                                        ; implicit-def: $sgpr10
	s_and_saveexec_b64 s[6:7], vcc
	s_xor_b64 s[6:7], exec, s[6:7]
	s_cbranch_execnz .LBB58_2293
; %bb.245:
	s_or_saveexec_b64 s[6:7], s[6:7]
	v_mov_b32_e32 v4, s10
	s_xor_b64 exec, exec, s[6:7]
	s_cbranch_execnz .LBB58_2296
.LBB58_246:
	s_or_b64 exec, exec, s[6:7]
	s_and_saveexec_b64 s[6:7], s[4:5]
	s_cbranch_execz .LBB58_248
.LBB58_247:
	v_bfe_u32 v3, v5, 16, 3
	v_ffbh_u32_e32 v7, v3
	v_min_u32_e32 v7, 32, v7
	v_lshrrev_b32_e32 v4, 19, v5
	v_subrev_u32_e32 v8, 28, v7
	v_and_b32_e32 v4, 15, v4
	v_lshlrev_b32_sdwa v8, v8, v5 dst_sel:DWORD dst_unused:UNUSED_PAD src0_sel:DWORD src1_sel:WORD_1
	v_bfe_u32 v6, v5, 19, 4
	v_sub_u32_e32 v7, 29, v7
	v_and_b32_e32 v8, 7, v8
	v_cmp_eq_u16_e32 vcc, 0, v4
	v_cndmask_b32_e32 v3, v3, v8, vcc
	v_cndmask_b32_e32 v4, v6, v7, vcc
	v_lshlrev_b32_e32 v6, 8, v5
	v_mov_b32_e32 v7, 0x3b800000
	v_lshlrev_b32_e32 v3, 20, v3
	v_and_b32_e32 v6, 0x80000000, v6
	v_lshl_add_u32 v4, v4, 23, v7
	v_or3_b32 v4, v6, v4, v3
.LBB58_248:
	s_or_b64 exec, exec, s[6:7]
	s_nop 0
	v_mfma_f32_16x16x4f32 a[0:3], v2, v4, a[0:3]
	s_movk_i32 s4, 0x7f
	v_cmp_gt_i16_sdwa s[6:7], v9, s4 src0_sel:BYTE_3 src1_sel:DWORD
	s_mov_b64 s[4:5], 0
                                        ; implicit-def: $sgpr10
	s_and_saveexec_b64 s[8:9], s[6:7]
	s_xor_b64 s[6:7], exec, s[8:9]
	s_cbranch_execnz .LBB58_2297
; %bb.249:
	s_or_saveexec_b64 s[6:7], s[6:7]
	v_mov_b32_e32 v2, s10
	s_xor_b64 exec, exec, s[6:7]
	s_cbranch_execnz .LBB58_2300
.LBB58_250:
	s_or_b64 exec, exec, s[6:7]
	s_and_saveexec_b64 s[6:7], s[4:5]
	s_cbranch_execz .LBB58_252
.LBB58_251:
	v_bfe_u32 v2, v9, 24, 3
	v_ffbh_u32_e32 v7, v2
	v_min_u32_e32 v7, 32, v7
	v_lshrrev_b32_e32 v4, 27, v9
	v_subrev_u32_e32 v8, 28, v7
	v_and_b32_e32 v4, 15, v4
	v_lshlrev_b32_sdwa v8, v8, v9 dst_sel:DWORD dst_unused:UNUSED_PAD src0_sel:DWORD src1_sel:BYTE_3
	v_bfe_u32 v6, v9, 27, 4
	v_sub_u32_e32 v7, 29, v7
	v_and_b32_e32 v8, 7, v8
	v_cmp_eq_u16_e32 vcc, 0, v4
	v_cndmask_b32_e32 v2, v2, v8, vcc
	v_cndmask_b32_e32 v4, v6, v7, vcc
	v_mov_b32_e32 v6, 0x3b800000
	v_and_b32_e32 v3, 0x80000000, v9
	v_lshlrev_b32_e32 v2, 20, v2
	v_lshl_add_u32 v4, v4, 23, v6
	v_or3_b32 v2, v3, v4, v2
.LBB58_252:
	s_or_b64 exec, exec, s[6:7]
	s_movk_i32 s4, 0x7f
	v_cmp_gt_i16_sdwa s[6:7], v5, s4 src0_sel:BYTE_3 src1_sel:DWORD
	s_mov_b64 s[4:5], 0
                                        ; implicit-def: $sgpr10
	s_and_saveexec_b64 s[8:9], s[6:7]
	s_xor_b64 s[6:7], exec, s[8:9]
	s_cbranch_execnz .LBB58_2301
; %bb.253:
	s_or_saveexec_b64 s[6:7], s[6:7]
	v_mov_b32_e32 v3, s10
	s_xor_b64 exec, exec, s[6:7]
	s_cbranch_execnz .LBB58_2304
.LBB58_254:
	s_or_b64 exec, exec, s[6:7]
	s_and_saveexec_b64 s[6:7], s[4:5]
	s_cbranch_execz .LBB58_256
.LBB58_255:
	v_bfe_u32 v3, v5, 24, 3
	v_ffbh_u32_e32 v8, v3
	v_min_u32_e32 v8, 32, v8
	v_lshrrev_b32_e32 v6, 27, v5
	v_subrev_u32_e32 v9, 28, v8
	v_and_b32_e32 v4, 0x80000000, v5
	v_and_b32_e32 v6, 15, v6
	v_bfe_u32 v7, v5, 27, 4
	v_lshlrev_b32_sdwa v5, v9, v5 dst_sel:DWORD dst_unused:UNUSED_PAD src0_sel:DWORD src1_sel:BYTE_3
	v_sub_u32_e32 v8, 29, v8
	v_and_b32_e32 v5, 7, v5
	v_cmp_eq_u16_e32 vcc, 0, v6
	v_cndmask_b32_e32 v3, v3, v5, vcc
	v_cndmask_b32_e32 v5, v7, v8, vcc
	v_mov_b32_e32 v6, 0x3b800000
	v_lshlrev_b32_e32 v3, 20, v3
	v_lshl_add_u32 v5, v5, 23, v6
	v_or3_b32 v3, v4, v5, v3
.LBB58_256:
	s_or_b64 exec, exec, s[6:7]
	s_nop 0
	v_mfma_f32_16x16x4f32 a[0:3], v2, v3, a[0:3]
	s_movk_i32 s4, 0x7f
                                        ; implicit-def: $sgpr10
	s_nop 7
	s_nop 1
	flat_store_dwordx4 v[18:19], a[0:3] offset:768
	flat_load_dwordx4 v[20:23], v[0:1] offset:8
	s_nop 0
	flat_load_dwordx2 v[18:19], v[0:1] offset:24
	s_waitcnt vmcnt(0) lgkmcnt(0)
	flat_load_dwordx4 v[14:17], v[20:21]
	flat_load_dwordx4 v[6:9], v[20:21] offset:16
	flat_load_dwordx4 v[10:13], v[22:23] offset:288
	;; [unrolled: 1-line block ×3, first 2 shown]
	s_waitcnt vmcnt(0) lgkmcnt(0)
	v_cmp_gt_i16_sdwa s[6:7], v14, s4 src0_sel:BYTE_0 src1_sel:DWORD
	s_mov_b64 s[4:5], 0
	s_and_saveexec_b64 s[8:9], s[6:7]
	s_xor_b64 s[6:7], exec, s[8:9]
	s_cbranch_execnz .LBB58_2305
; %bb.257:
	s_or_saveexec_b64 s[6:7], s[6:7]
	v_mov_b32_e32 v20, s10
	s_xor_b64 exec, exec, s[6:7]
	s_cbranch_execnz .LBB58_2308
.LBB58_258:
	s_or_b64 exec, exec, s[6:7]
	s_and_saveexec_b64 s[6:7], s[4:5]
	s_cbranch_execz .LBB58_260
.LBB58_259:
	v_and_b32_e32 v20, 7, v14
	v_ffbh_u32_e32 v22, v20
	v_min_u32_e32 v22, 32, v22
	v_lshrrev_b16_e32 v21, 3, v14
	v_subrev_u32_e32 v23, 28, v22
	v_and_b32_e32 v21, 15, v21
	v_lshlrev_b32_e32 v23, v23, v14
	v_sub_u32_e32 v22, 29, v22
	v_and_b32_e32 v23, 7, v23
	v_cmp_eq_u16_e32 vcc, 0, v21
	v_cndmask_b32_e32 v20, v20, v23, vcc
	v_cndmask_b32_e32 v21, v21, v22, vcc
	v_lshlrev_b32_e32 v22, 24, v14
	v_mov_b32_e32 v23, 0x3b800000
	v_lshlrev_b32_e32 v20, 20, v20
	v_and_b32_e32 v22, 0x80000000, v22
	v_lshl_add_u32 v21, v21, 23, v23
	v_or3_b32 v20, v22, v21, v20
.LBB58_260:
	s_or_b64 exec, exec, s[6:7]
	s_movk_i32 s4, 0x7f
	v_cmp_gt_i16_sdwa s[6:7], v10, s4 src0_sel:BYTE_0 src1_sel:DWORD
	s_mov_b64 s[4:5], 0
                                        ; implicit-def: $sgpr10
	s_and_saveexec_b64 s[8:9], s[6:7]
	s_xor_b64 s[6:7], exec, s[8:9]
	s_cbranch_execnz .LBB58_2309
; %bb.261:
	s_or_saveexec_b64 s[6:7], s[6:7]
	v_mov_b32_e32 v21, s10
	s_xor_b64 exec, exec, s[6:7]
	s_cbranch_execnz .LBB58_2312
.LBB58_262:
	s_or_b64 exec, exec, s[6:7]
	s_and_saveexec_b64 s[6:7], s[4:5]
	s_cbranch_execz .LBB58_264
.LBB58_263:
	v_and_b32_e32 v21, 7, v10
	v_ffbh_u32_e32 v23, v21
	v_min_u32_e32 v23, 32, v23
	v_lshrrev_b16_e32 v22, 3, v10
	v_subrev_u32_e32 v24, 28, v23
	v_and_b32_e32 v22, 15, v22
	v_lshlrev_b32_e32 v24, v24, v10
	v_sub_u32_e32 v23, 29, v23
	v_and_b32_e32 v24, 7, v24
	v_cmp_eq_u16_e32 vcc, 0, v22
	v_cndmask_b32_e32 v21, v21, v24, vcc
	v_cndmask_b32_e32 v22, v22, v23, vcc
	v_lshlrev_b32_e32 v23, 24, v10
	v_mov_b32_e32 v24, 0x3b800000
	v_lshlrev_b32_e32 v21, 20, v21
	v_and_b32_e32 v23, 0x80000000, v23
	v_lshl_add_u32 v22, v22, 23, v24
	v_or3_b32 v21, v23, v22, v21
.LBB58_264:
	s_or_b64 exec, exec, s[6:7]
	flat_load_dwordx4 a[0:3], v[18:19] offset:784
	s_movk_i32 s4, 0x7f
                                        ; implicit-def: $sgpr10
	s_waitcnt vmcnt(0) lgkmcnt(0)
	v_mfma_f32_16x16x4f32 a[0:3], v20, v21, a[0:3]
	v_lshrrev_b32_e32 v21, 8, v14
	v_cmp_gt_i16_sdwa s[6:7], v21, s4 src0_sel:BYTE_0 src1_sel:DWORD
	s_mov_b64 s[4:5], 0
	s_and_saveexec_b64 s[8:9], s[6:7]
	s_xor_b64 s[6:7], exec, s[8:9]
	s_cbranch_execnz .LBB58_2313
; %bb.265:
	s_or_saveexec_b64 s[6:7], s[6:7]
	v_mov_b32_e32 v20, s10
	s_xor_b64 exec, exec, s[6:7]
	s_cbranch_execnz .LBB58_2316
.LBB58_266:
	s_or_b64 exec, exec, s[6:7]
	s_and_saveexec_b64 s[6:7], s[4:5]
	s_cbranch_execz .LBB58_268
.LBB58_267:
	v_bfe_u32 v20, v14, 8, 3
	v_ffbh_u32_e32 v23, v20
	v_min_u32_e32 v23, 32, v23
	v_lshrrev_b16_e32 v22, 3, v21
	v_subrev_u32_e32 v24, 28, v23
	v_and_b32_e32 v22, 15, v22
	v_lshlrev_b32_e32 v21, v24, v21
	v_sub_u32_e32 v23, 29, v23
	v_and_b32_e32 v21, 7, v21
	v_cmp_eq_u16_e32 vcc, 0, v22
	v_cndmask_b32_e32 v20, v20, v21, vcc
	v_cndmask_b32_e32 v21, v22, v23, vcc
	v_lshlrev_b32_e32 v22, 16, v14
	v_mov_b32_e32 v23, 0x3b800000
	v_lshlrev_b32_e32 v20, 20, v20
	v_and_b32_e32 v22, 0x80000000, v22
	v_lshl_add_u32 v21, v21, 23, v23
	v_or3_b32 v20, v22, v21, v20
.LBB58_268:
	s_or_b64 exec, exec, s[6:7]
	v_lshrrev_b32_e32 v21, 8, v10
	s_movk_i32 s4, 0x7f
	v_cmp_gt_i16_sdwa s[6:7], v21, s4 src0_sel:BYTE_0 src1_sel:DWORD
	s_mov_b64 s[4:5], 0
                                        ; implicit-def: $sgpr10
	s_and_saveexec_b64 s[8:9], s[6:7]
	s_xor_b64 s[6:7], exec, s[8:9]
	s_cbranch_execnz .LBB58_2317
; %bb.269:
	s_or_saveexec_b64 s[6:7], s[6:7]
	v_mov_b32_e32 v22, s10
	s_xor_b64 exec, exec, s[6:7]
	s_cbranch_execnz .LBB58_2320
.LBB58_270:
	s_or_b64 exec, exec, s[6:7]
	s_and_saveexec_b64 s[6:7], s[4:5]
	s_cbranch_execz .LBB58_272
.LBB58_271:
	v_bfe_u32 v22, v10, 8, 3
	v_ffbh_u32_e32 v24, v22
	v_min_u32_e32 v24, 32, v24
	v_lshrrev_b16_e32 v23, 3, v21
	v_subrev_u32_e32 v25, 28, v24
	v_and_b32_e32 v23, 15, v23
	v_lshlrev_b32_e32 v21, v25, v21
	v_sub_u32_e32 v24, 29, v24
	v_and_b32_e32 v21, 7, v21
	v_cmp_eq_u16_e32 vcc, 0, v23
	v_cndmask_b32_e32 v21, v22, v21, vcc
	v_cndmask_b32_e32 v22, v23, v24, vcc
	v_lshlrev_b32_e32 v23, 16, v10
	v_mov_b32_e32 v24, 0x3b800000
	v_lshlrev_b32_e32 v21, 20, v21
	v_and_b32_e32 v23, 0x80000000, v23
	v_lshl_add_u32 v22, v22, 23, v24
	v_or3_b32 v22, v23, v22, v21
.LBB58_272:
	s_or_b64 exec, exec, s[6:7]
	s_nop 0
	v_mfma_f32_16x16x4f32 a[0:3], v20, v22, a[0:3]
	s_movk_i32 s4, 0xff
	v_and_b32_sdwa v21, v14, s4 dst_sel:DWORD dst_unused:UNUSED_PAD src0_sel:WORD_1 src1_sel:DWORD
	s_movk_i32 s4, 0x7f
	v_cmp_lt_i16_e32 vcc, s4, v21
	s_mov_b64 s[4:5], 0
                                        ; implicit-def: $sgpr10
	s_and_saveexec_b64 s[6:7], vcc
	s_xor_b64 s[6:7], exec, s[6:7]
	s_cbranch_execnz .LBB58_2321
; %bb.273:
	s_or_saveexec_b64 s[6:7], s[6:7]
	v_mov_b32_e32 v20, s10
	s_xor_b64 exec, exec, s[6:7]
	s_cbranch_execnz .LBB58_2324
.LBB58_274:
	s_or_b64 exec, exec, s[6:7]
	s_and_saveexec_b64 s[6:7], s[4:5]
	s_cbranch_execz .LBB58_276
.LBB58_275:
	v_bfe_u32 v20, v14, 16, 3
	v_ffbh_u32_e32 v23, v20
	v_min_u32_e32 v23, 32, v23
	v_lshrrev_b32_e32 v21, 19, v14
	v_subrev_u32_e32 v24, 28, v23
	v_and_b32_e32 v21, 15, v21
	v_lshlrev_b32_sdwa v24, v24, v14 dst_sel:DWORD dst_unused:UNUSED_PAD src0_sel:DWORD src1_sel:WORD_1
	v_bfe_u32 v22, v14, 19, 4
	v_sub_u32_e32 v23, 29, v23
	v_and_b32_e32 v24, 7, v24
	v_cmp_eq_u16_e32 vcc, 0, v21
	v_cndmask_b32_e32 v20, v20, v24, vcc
	v_cndmask_b32_e32 v21, v22, v23, vcc
	v_lshlrev_b32_e32 v22, 8, v14
	v_mov_b32_e32 v23, 0x3b800000
	v_lshlrev_b32_e32 v20, 20, v20
	v_and_b32_e32 v22, 0x80000000, v22
	v_lshl_add_u32 v21, v21, 23, v23
	v_or3_b32 v20, v22, v21, v20
.LBB58_276:
	s_or_b64 exec, exec, s[6:7]
	s_movk_i32 s4, 0xff
	v_and_b32_sdwa v21, v10, s4 dst_sel:DWORD dst_unused:UNUSED_PAD src0_sel:WORD_1 src1_sel:DWORD
	s_movk_i32 s4, 0x7f
	v_cmp_lt_i16_e32 vcc, s4, v21
	s_mov_b64 s[4:5], 0
                                        ; implicit-def: $sgpr10
	s_and_saveexec_b64 s[6:7], vcc
	s_xor_b64 s[6:7], exec, s[6:7]
	s_cbranch_execnz .LBB58_2325
; %bb.277:
	s_or_saveexec_b64 s[6:7], s[6:7]
	v_mov_b32_e32 v22, s10
	s_xor_b64 exec, exec, s[6:7]
	s_cbranch_execnz .LBB58_2328
.LBB58_278:
	s_or_b64 exec, exec, s[6:7]
	s_and_saveexec_b64 s[6:7], s[4:5]
	s_cbranch_execz .LBB58_280
.LBB58_279:
	v_bfe_u32 v21, v10, 16, 3
	v_ffbh_u32_e32 v24, v21
	v_min_u32_e32 v24, 32, v24
	v_lshrrev_b32_e32 v22, 19, v10
	v_subrev_u32_e32 v25, 28, v24
	v_and_b32_e32 v22, 15, v22
	v_lshlrev_b32_sdwa v25, v25, v10 dst_sel:DWORD dst_unused:UNUSED_PAD src0_sel:DWORD src1_sel:WORD_1
	v_bfe_u32 v23, v10, 19, 4
	v_sub_u32_e32 v24, 29, v24
	v_and_b32_e32 v25, 7, v25
	v_cmp_eq_u16_e32 vcc, 0, v22
	v_cndmask_b32_e32 v21, v21, v25, vcc
	v_cndmask_b32_e32 v22, v23, v24, vcc
	v_lshlrev_b32_e32 v23, 8, v10
	v_mov_b32_e32 v24, 0x3b800000
	v_lshlrev_b32_e32 v21, 20, v21
	v_and_b32_e32 v23, 0x80000000, v23
	v_lshl_add_u32 v22, v22, 23, v24
	v_or3_b32 v22, v23, v22, v21
.LBB58_280:
	s_or_b64 exec, exec, s[6:7]
	s_nop 0
	v_mfma_f32_16x16x4f32 a[0:3], v20, v22, a[0:3]
	s_movk_i32 s4, 0x7f
	v_cmp_gt_i16_sdwa s[6:7], v14, s4 src0_sel:BYTE_3 src1_sel:DWORD
	s_mov_b64 s[4:5], 0
                                        ; implicit-def: $sgpr10
	s_and_saveexec_b64 s[8:9], s[6:7]
	s_xor_b64 s[6:7], exec, s[8:9]
	s_cbranch_execnz .LBB58_2329
; %bb.281:
	s_or_saveexec_b64 s[6:7], s[6:7]
	v_mov_b32_e32 v20, s10
	s_xor_b64 exec, exec, s[6:7]
	s_cbranch_execnz .LBB58_2332
.LBB58_282:
	s_or_b64 exec, exec, s[6:7]
	s_and_saveexec_b64 s[6:7], s[4:5]
	s_cbranch_execz .LBB58_284
.LBB58_283:
	v_bfe_u32 v20, v14, 24, 3
	v_ffbh_u32_e32 v24, v20
	v_min_u32_e32 v24, 32, v24
	v_lshrrev_b32_e32 v22, 27, v14
	v_subrev_u32_e32 v25, 28, v24
	v_and_b32_e32 v21, 0x80000000, v14
	v_and_b32_e32 v22, 15, v22
	v_bfe_u32 v23, v14, 27, 4
	v_lshlrev_b32_sdwa v14, v25, v14 dst_sel:DWORD dst_unused:UNUSED_PAD src0_sel:DWORD src1_sel:BYTE_3
	v_sub_u32_e32 v24, 29, v24
	v_and_b32_e32 v14, 7, v14
	v_cmp_eq_u16_e32 vcc, 0, v22
	v_cndmask_b32_e32 v14, v20, v14, vcc
	v_cndmask_b32_e32 v20, v23, v24, vcc
	v_mov_b32_e32 v22, 0x3b800000
	v_lshlrev_b32_e32 v14, 20, v14
	v_lshl_add_u32 v20, v20, 23, v22
	v_or3_b32 v20, v21, v20, v14
.LBB58_284:
	s_or_b64 exec, exec, s[6:7]
	s_movk_i32 s4, 0x7f
	v_cmp_gt_i16_sdwa s[6:7], v10, s4 src0_sel:BYTE_3 src1_sel:DWORD
	s_mov_b64 s[4:5], 0
                                        ; implicit-def: $sgpr10
	s_and_saveexec_b64 s[8:9], s[6:7]
	s_xor_b64 s[6:7], exec, s[8:9]
	s_cbranch_execnz .LBB58_2333
; %bb.285:
	s_or_saveexec_b64 s[6:7], s[6:7]
	v_mov_b32_e32 v14, s10
	s_xor_b64 exec, exec, s[6:7]
	s_cbranch_execnz .LBB58_2336
.LBB58_286:
	s_or_b64 exec, exec, s[6:7]
	s_and_saveexec_b64 s[6:7], s[4:5]
	s_cbranch_execz .LBB58_288
.LBB58_287:
	v_bfe_u32 v14, v10, 24, 3
	v_ffbh_u32_e32 v24, v14
	v_min_u32_e32 v24, 32, v24
	v_lshrrev_b32_e32 v22, 27, v10
	v_subrev_u32_e32 v25, 28, v24
	v_and_b32_e32 v21, 0x80000000, v10
	v_and_b32_e32 v22, 15, v22
	v_bfe_u32 v23, v10, 27, 4
	v_lshlrev_b32_sdwa v10, v25, v10 dst_sel:DWORD dst_unused:UNUSED_PAD src0_sel:DWORD src1_sel:BYTE_3
	v_sub_u32_e32 v24, 29, v24
	v_and_b32_e32 v10, 7, v10
	v_cmp_eq_u16_e32 vcc, 0, v22
	v_cndmask_b32_e32 v10, v14, v10, vcc
	v_cndmask_b32_e32 v14, v23, v24, vcc
	v_mov_b32_e32 v22, 0x3b800000
	v_lshlrev_b32_e32 v10, 20, v10
	v_lshl_add_u32 v14, v14, 23, v22
	v_or3_b32 v14, v21, v14, v10
.LBB58_288:
	s_or_b64 exec, exec, s[6:7]
	s_nop 0
	v_mfma_f32_16x16x4f32 a[0:3], v20, v14, a[0:3]
	s_movk_i32 s4, 0x7f
	v_cmp_gt_i16_sdwa s[6:7], v15, s4 src0_sel:BYTE_0 src1_sel:DWORD
	s_mov_b64 s[4:5], 0
                                        ; implicit-def: $sgpr10
	s_and_saveexec_b64 s[8:9], s[6:7]
	s_xor_b64 s[6:7], exec, s[8:9]
	s_cbranch_execnz .LBB58_2337
; %bb.289:
	s_or_saveexec_b64 s[6:7], s[6:7]
	v_mov_b32_e32 v10, s10
	s_xor_b64 exec, exec, s[6:7]
	s_cbranch_execnz .LBB58_2340
.LBB58_290:
	s_or_b64 exec, exec, s[6:7]
	s_and_saveexec_b64 s[6:7], s[4:5]
	s_cbranch_execz .LBB58_292
.LBB58_291:
	v_and_b32_e32 v10, 7, v15
	v_ffbh_u32_e32 v20, v10
	v_min_u32_e32 v20, 32, v20
	v_lshrrev_b16_e32 v14, 3, v15
	v_subrev_u32_e32 v21, 28, v20
	v_and_b32_e32 v14, 15, v14
	v_lshlrev_b32_e32 v21, v21, v15
	v_sub_u32_e32 v20, 29, v20
	v_and_b32_e32 v21, 7, v21
	v_cmp_eq_u16_e32 vcc, 0, v14
	v_cndmask_b32_e32 v10, v10, v21, vcc
	v_cndmask_b32_e32 v14, v14, v20, vcc
	v_lshlrev_b32_e32 v20, 24, v15
	v_mov_b32_e32 v21, 0x3b800000
	v_lshlrev_b32_e32 v10, 20, v10
	v_and_b32_e32 v20, 0x80000000, v20
	v_lshl_add_u32 v14, v14, 23, v21
	v_or3_b32 v10, v20, v14, v10
.LBB58_292:
	s_or_b64 exec, exec, s[6:7]
	s_movk_i32 s4, 0x7f
	v_cmp_gt_i16_sdwa s[6:7], v11, s4 src0_sel:BYTE_0 src1_sel:DWORD
	s_mov_b64 s[4:5], 0
                                        ; implicit-def: $sgpr10
	s_and_saveexec_b64 s[8:9], s[6:7]
	s_xor_b64 s[6:7], exec, s[8:9]
	s_cbranch_execnz .LBB58_2341
; %bb.293:
	s_or_saveexec_b64 s[6:7], s[6:7]
	v_mov_b32_e32 v14, s10
	s_xor_b64 exec, exec, s[6:7]
	s_cbranch_execnz .LBB58_2344
.LBB58_294:
	s_or_b64 exec, exec, s[6:7]
	s_and_saveexec_b64 s[6:7], s[4:5]
	s_cbranch_execz .LBB58_296
.LBB58_295:
	v_and_b32_e32 v14, 7, v11
	v_ffbh_u32_e32 v21, v14
	v_min_u32_e32 v21, 32, v21
	v_lshrrev_b16_e32 v20, 3, v11
	v_subrev_u32_e32 v22, 28, v21
	v_and_b32_e32 v20, 15, v20
	v_lshlrev_b32_e32 v22, v22, v11
	v_sub_u32_e32 v21, 29, v21
	v_and_b32_e32 v22, 7, v22
	v_cmp_eq_u16_e32 vcc, 0, v20
	v_cndmask_b32_e32 v14, v14, v22, vcc
	v_cndmask_b32_e32 v20, v20, v21, vcc
	v_lshlrev_b32_e32 v21, 24, v11
	v_mov_b32_e32 v22, 0x3b800000
	v_lshlrev_b32_e32 v14, 20, v14
	v_and_b32_e32 v21, 0x80000000, v21
	v_lshl_add_u32 v20, v20, 23, v22
	v_or3_b32 v14, v21, v20, v14
.LBB58_296:
	s_or_b64 exec, exec, s[6:7]
	s_nop 0
	v_mfma_f32_16x16x4f32 a[0:3], v10, v14, a[0:3]
	v_lshrrev_b32_e32 v14, 8, v15
	s_movk_i32 s4, 0x7f
	v_cmp_gt_i16_sdwa s[6:7], v14, s4 src0_sel:BYTE_0 src1_sel:DWORD
	s_mov_b64 s[4:5], 0
                                        ; implicit-def: $sgpr10
	s_and_saveexec_b64 s[8:9], s[6:7]
	s_xor_b64 s[6:7], exec, s[8:9]
	s_cbranch_execnz .LBB58_2345
; %bb.297:
	s_or_saveexec_b64 s[6:7], s[6:7]
	v_mov_b32_e32 v10, s10
	s_xor_b64 exec, exec, s[6:7]
	s_cbranch_execnz .LBB58_2348
.LBB58_298:
	s_or_b64 exec, exec, s[6:7]
	s_and_saveexec_b64 s[6:7], s[4:5]
	s_cbranch_execz .LBB58_300
.LBB58_299:
	v_bfe_u32 v10, v15, 8, 3
	v_ffbh_u32_e32 v21, v10
	v_min_u32_e32 v21, 32, v21
	v_lshrrev_b16_e32 v20, 3, v14
	v_subrev_u32_e32 v22, 28, v21
	v_and_b32_e32 v20, 15, v20
	v_lshlrev_b32_e32 v14, v22, v14
	v_sub_u32_e32 v21, 29, v21
	v_and_b32_e32 v14, 7, v14
	v_cmp_eq_u16_e32 vcc, 0, v20
	v_cndmask_b32_e32 v10, v10, v14, vcc
	v_cndmask_b32_e32 v14, v20, v21, vcc
	v_lshlrev_b32_e32 v20, 16, v15
	v_mov_b32_e32 v21, 0x3b800000
	v_lshlrev_b32_e32 v10, 20, v10
	v_and_b32_e32 v20, 0x80000000, v20
	v_lshl_add_u32 v14, v14, 23, v21
	v_or3_b32 v10, v20, v14, v10
.LBB58_300:
	s_or_b64 exec, exec, s[6:7]
	v_lshrrev_b32_e32 v14, 8, v11
	s_movk_i32 s4, 0x7f
	v_cmp_gt_i16_sdwa s[6:7], v14, s4 src0_sel:BYTE_0 src1_sel:DWORD
	s_mov_b64 s[4:5], 0
                                        ; implicit-def: $sgpr10
	s_and_saveexec_b64 s[8:9], s[6:7]
	s_xor_b64 s[6:7], exec, s[8:9]
	s_cbranch_execnz .LBB58_2349
; %bb.301:
	s_or_saveexec_b64 s[6:7], s[6:7]
	v_mov_b32_e32 v20, s10
	s_xor_b64 exec, exec, s[6:7]
	s_cbranch_execnz .LBB58_2352
.LBB58_302:
	s_or_b64 exec, exec, s[6:7]
	s_and_saveexec_b64 s[6:7], s[4:5]
	s_cbranch_execz .LBB58_304
.LBB58_303:
	v_bfe_u32 v20, v11, 8, 3
	v_ffbh_u32_e32 v22, v20
	v_min_u32_e32 v22, 32, v22
	v_lshrrev_b16_e32 v21, 3, v14
	v_subrev_u32_e32 v23, 28, v22
	v_and_b32_e32 v21, 15, v21
	v_lshlrev_b32_e32 v14, v23, v14
	v_sub_u32_e32 v22, 29, v22
	v_and_b32_e32 v14, 7, v14
	v_cmp_eq_u16_e32 vcc, 0, v21
	v_cndmask_b32_e32 v14, v20, v14, vcc
	v_cndmask_b32_e32 v20, v21, v22, vcc
	v_lshlrev_b32_e32 v21, 16, v11
	v_mov_b32_e32 v22, 0x3b800000
	v_lshlrev_b32_e32 v14, 20, v14
	v_and_b32_e32 v21, 0x80000000, v21
	v_lshl_add_u32 v20, v20, 23, v22
	v_or3_b32 v20, v21, v20, v14
.LBB58_304:
	s_or_b64 exec, exec, s[6:7]
	s_nop 0
	v_mfma_f32_16x16x4f32 a[0:3], v10, v20, a[0:3]
	s_movk_i32 s4, 0xff
	v_and_b32_sdwa v14, v15, s4 dst_sel:DWORD dst_unused:UNUSED_PAD src0_sel:WORD_1 src1_sel:DWORD
	s_movk_i32 s4, 0x7f
	v_cmp_lt_i16_e32 vcc, s4, v14
	s_mov_b64 s[4:5], 0
                                        ; implicit-def: $sgpr10
	s_and_saveexec_b64 s[6:7], vcc
	s_xor_b64 s[6:7], exec, s[6:7]
	s_cbranch_execnz .LBB58_2353
; %bb.305:
	s_or_saveexec_b64 s[6:7], s[6:7]
	v_mov_b32_e32 v10, s10
	s_xor_b64 exec, exec, s[6:7]
	s_cbranch_execnz .LBB58_2356
.LBB58_306:
	s_or_b64 exec, exec, s[6:7]
	s_and_saveexec_b64 s[6:7], s[4:5]
	s_cbranch_execz .LBB58_308
.LBB58_307:
	v_bfe_u32 v10, v15, 16, 3
	v_ffbh_u32_e32 v21, v10
	v_min_u32_e32 v21, 32, v21
	v_lshrrev_b32_e32 v14, 19, v15
	v_subrev_u32_e32 v22, 28, v21
	v_and_b32_e32 v14, 15, v14
	v_lshlrev_b32_sdwa v22, v22, v15 dst_sel:DWORD dst_unused:UNUSED_PAD src0_sel:DWORD src1_sel:WORD_1
	v_bfe_u32 v20, v15, 19, 4
	v_sub_u32_e32 v21, 29, v21
	v_and_b32_e32 v22, 7, v22
	v_cmp_eq_u16_e32 vcc, 0, v14
	v_cndmask_b32_e32 v10, v10, v22, vcc
	v_cndmask_b32_e32 v14, v20, v21, vcc
	v_lshlrev_b32_e32 v20, 8, v15
	v_mov_b32_e32 v21, 0x3b800000
	v_lshlrev_b32_e32 v10, 20, v10
	v_and_b32_e32 v20, 0x80000000, v20
	v_lshl_add_u32 v14, v14, 23, v21
	v_or3_b32 v10, v20, v14, v10
.LBB58_308:
	s_or_b64 exec, exec, s[6:7]
	s_movk_i32 s4, 0xff
	v_and_b32_sdwa v14, v11, s4 dst_sel:DWORD dst_unused:UNUSED_PAD src0_sel:WORD_1 src1_sel:DWORD
	s_movk_i32 s4, 0x7f
	v_cmp_lt_i16_e32 vcc, s4, v14
	s_mov_b64 s[4:5], 0
                                        ; implicit-def: $sgpr10
	s_and_saveexec_b64 s[6:7], vcc
	s_xor_b64 s[6:7], exec, s[6:7]
	s_cbranch_execnz .LBB58_2357
; %bb.309:
	s_or_saveexec_b64 s[6:7], s[6:7]
	v_mov_b32_e32 v20, s10
	s_xor_b64 exec, exec, s[6:7]
	s_cbranch_execnz .LBB58_2360
.LBB58_310:
	s_or_b64 exec, exec, s[6:7]
	s_and_saveexec_b64 s[6:7], s[4:5]
	s_cbranch_execz .LBB58_312
.LBB58_311:
	v_bfe_u32 v14, v11, 16, 3
	v_ffbh_u32_e32 v22, v14
	v_min_u32_e32 v22, 32, v22
	v_lshrrev_b32_e32 v20, 19, v11
	v_subrev_u32_e32 v23, 28, v22
	v_and_b32_e32 v20, 15, v20
	v_lshlrev_b32_sdwa v23, v23, v11 dst_sel:DWORD dst_unused:UNUSED_PAD src0_sel:DWORD src1_sel:WORD_1
	v_bfe_u32 v21, v11, 19, 4
	v_sub_u32_e32 v22, 29, v22
	v_and_b32_e32 v23, 7, v23
	v_cmp_eq_u16_e32 vcc, 0, v20
	v_cndmask_b32_e32 v14, v14, v23, vcc
	v_cndmask_b32_e32 v20, v21, v22, vcc
	v_lshlrev_b32_e32 v21, 8, v11
	v_mov_b32_e32 v22, 0x3b800000
	v_lshlrev_b32_e32 v14, 20, v14
	v_and_b32_e32 v21, 0x80000000, v21
	v_lshl_add_u32 v20, v20, 23, v22
	v_or3_b32 v20, v21, v20, v14
.LBB58_312:
	s_or_b64 exec, exec, s[6:7]
	s_nop 0
	v_mfma_f32_16x16x4f32 a[0:3], v10, v20, a[0:3]
	s_movk_i32 s4, 0x7f
	v_cmp_gt_i16_sdwa s[6:7], v15, s4 src0_sel:BYTE_3 src1_sel:DWORD
	s_mov_b64 s[4:5], 0
                                        ; implicit-def: $sgpr10
	s_and_saveexec_b64 s[8:9], s[6:7]
	s_xor_b64 s[6:7], exec, s[8:9]
	s_cbranch_execnz .LBB58_2361
; %bb.313:
	s_or_saveexec_b64 s[6:7], s[6:7]
	v_mov_b32_e32 v10, s10
	s_xor_b64 exec, exec, s[6:7]
	s_cbranch_execnz .LBB58_2364
.LBB58_314:
	s_or_b64 exec, exec, s[6:7]
	s_and_saveexec_b64 s[6:7], s[4:5]
	s_cbranch_execz .LBB58_316
.LBB58_315:
	v_bfe_u32 v10, v15, 24, 3
	v_ffbh_u32_e32 v22, v10
	v_min_u32_e32 v22, 32, v22
	v_lshrrev_b32_e32 v20, 27, v15
	v_subrev_u32_e32 v23, 28, v22
	v_and_b32_e32 v14, 0x80000000, v15
	v_and_b32_e32 v20, 15, v20
	v_bfe_u32 v21, v15, 27, 4
	v_lshlrev_b32_sdwa v15, v23, v15 dst_sel:DWORD dst_unused:UNUSED_PAD src0_sel:DWORD src1_sel:BYTE_3
	v_sub_u32_e32 v22, 29, v22
	v_and_b32_e32 v15, 7, v15
	v_cmp_eq_u16_e32 vcc, 0, v20
	v_cndmask_b32_e32 v10, v10, v15, vcc
	v_cndmask_b32_e32 v15, v21, v22, vcc
	v_mov_b32_e32 v20, 0x3b800000
	v_lshlrev_b32_e32 v10, 20, v10
	v_lshl_add_u32 v15, v15, 23, v20
	v_or3_b32 v10, v14, v15, v10
.LBB58_316:
	s_or_b64 exec, exec, s[6:7]
	s_movk_i32 s4, 0x7f
	v_cmp_gt_i16_sdwa s[6:7], v11, s4 src0_sel:BYTE_3 src1_sel:DWORD
	s_mov_b64 s[4:5], 0
                                        ; implicit-def: $sgpr10
	s_and_saveexec_b64 s[8:9], s[6:7]
	s_xor_b64 s[6:7], exec, s[8:9]
	s_cbranch_execnz .LBB58_2365
; %bb.317:
	s_or_saveexec_b64 s[6:7], s[6:7]
	v_mov_b32_e32 v14, s10
	s_xor_b64 exec, exec, s[6:7]
	s_cbranch_execnz .LBB58_2368
.LBB58_318:
	s_or_b64 exec, exec, s[6:7]
	s_and_saveexec_b64 s[6:7], s[4:5]
	s_cbranch_execz .LBB58_320
.LBB58_319:
	v_bfe_u32 v14, v11, 24, 3
	v_ffbh_u32_e32 v22, v14
	v_min_u32_e32 v22, 32, v22
	v_lshrrev_b32_e32 v20, 27, v11
	v_subrev_u32_e32 v23, 28, v22
	v_and_b32_e32 v15, 0x80000000, v11
	v_and_b32_e32 v20, 15, v20
	v_bfe_u32 v21, v11, 27, 4
	v_lshlrev_b32_sdwa v11, v23, v11 dst_sel:DWORD dst_unused:UNUSED_PAD src0_sel:DWORD src1_sel:BYTE_3
	v_sub_u32_e32 v22, 29, v22
	v_and_b32_e32 v11, 7, v11
	v_cmp_eq_u16_e32 vcc, 0, v20
	v_cndmask_b32_e32 v11, v14, v11, vcc
	v_cndmask_b32_e32 v14, v21, v22, vcc
	v_mov_b32_e32 v20, 0x3b800000
	v_lshlrev_b32_e32 v11, 20, v11
	v_lshl_add_u32 v14, v14, 23, v20
	v_or3_b32 v14, v15, v14, v11
.LBB58_320:
	s_or_b64 exec, exec, s[6:7]
	s_nop 0
	v_mfma_f32_16x16x4f32 a[0:3], v10, v14, a[0:3]
	s_movk_i32 s4, 0x7f
	v_cmp_gt_i16_sdwa s[6:7], v16, s4 src0_sel:BYTE_0 src1_sel:DWORD
	s_mov_b64 s[4:5], 0
                                        ; implicit-def: $sgpr10
	s_and_saveexec_b64 s[8:9], s[6:7]
	s_xor_b64 s[6:7], exec, s[8:9]
	s_cbranch_execnz .LBB58_2369
; %bb.321:
	s_or_saveexec_b64 s[6:7], s[6:7]
	v_mov_b32_e32 v10, s10
	s_xor_b64 exec, exec, s[6:7]
	s_cbranch_execnz .LBB58_2372
.LBB58_322:
	s_or_b64 exec, exec, s[6:7]
	s_and_saveexec_b64 s[6:7], s[4:5]
	s_cbranch_execz .LBB58_324
.LBB58_323:
	v_and_b32_e32 v10, 7, v16
	v_ffbh_u32_e32 v14, v10
	v_min_u32_e32 v14, 32, v14
	v_lshrrev_b16_e32 v11, 3, v16
	v_subrev_u32_e32 v15, 28, v14
	v_and_b32_e32 v11, 15, v11
	v_lshlrev_b32_e32 v15, v15, v16
	v_sub_u32_e32 v14, 29, v14
	v_and_b32_e32 v15, 7, v15
	v_cmp_eq_u16_e32 vcc, 0, v11
	v_cndmask_b32_e32 v10, v10, v15, vcc
	v_cndmask_b32_e32 v11, v11, v14, vcc
	v_lshlrev_b32_e32 v14, 24, v16
	v_mov_b32_e32 v15, 0x3b800000
	v_lshlrev_b32_e32 v10, 20, v10
	v_and_b32_e32 v14, 0x80000000, v14
	v_lshl_add_u32 v11, v11, 23, v15
	v_or3_b32 v10, v14, v11, v10
.LBB58_324:
	s_or_b64 exec, exec, s[6:7]
	s_movk_i32 s4, 0x7f
	v_cmp_gt_i16_sdwa s[6:7], v12, s4 src0_sel:BYTE_0 src1_sel:DWORD
	s_mov_b64 s[4:5], 0
                                        ; implicit-def: $sgpr10
	s_and_saveexec_b64 s[8:9], s[6:7]
	s_xor_b64 s[6:7], exec, s[8:9]
	s_cbranch_execnz .LBB58_2373
; %bb.325:
	s_or_saveexec_b64 s[6:7], s[6:7]
	v_mov_b32_e32 v11, s10
	s_xor_b64 exec, exec, s[6:7]
	s_cbranch_execnz .LBB58_2376
.LBB58_326:
	s_or_b64 exec, exec, s[6:7]
	s_and_saveexec_b64 s[6:7], s[4:5]
	s_cbranch_execz .LBB58_328
.LBB58_327:
	v_and_b32_e32 v11, 7, v12
	v_ffbh_u32_e32 v15, v11
	v_min_u32_e32 v15, 32, v15
	v_lshrrev_b16_e32 v14, 3, v12
	v_subrev_u32_e32 v20, 28, v15
	v_and_b32_e32 v14, 15, v14
	v_lshlrev_b32_e32 v20, v20, v12
	v_sub_u32_e32 v15, 29, v15
	v_and_b32_e32 v20, 7, v20
	v_cmp_eq_u16_e32 vcc, 0, v14
	v_cndmask_b32_e32 v11, v11, v20, vcc
	v_cndmask_b32_e32 v14, v14, v15, vcc
	v_lshlrev_b32_e32 v15, 24, v12
	v_mov_b32_e32 v20, 0x3b800000
	v_lshlrev_b32_e32 v11, 20, v11
	v_and_b32_e32 v15, 0x80000000, v15
	v_lshl_add_u32 v14, v14, 23, v20
	v_or3_b32 v11, v15, v14, v11
.LBB58_328:
	s_or_b64 exec, exec, s[6:7]
	s_nop 0
	v_mfma_f32_16x16x4f32 a[0:3], v10, v11, a[0:3]
	v_lshrrev_b32_e32 v11, 8, v16
	s_movk_i32 s4, 0x7f
	v_cmp_gt_i16_sdwa s[6:7], v11, s4 src0_sel:BYTE_0 src1_sel:DWORD
	s_mov_b64 s[4:5], 0
                                        ; implicit-def: $sgpr10
	s_and_saveexec_b64 s[8:9], s[6:7]
	s_xor_b64 s[6:7], exec, s[8:9]
	s_cbranch_execnz .LBB58_2377
; %bb.329:
	s_or_saveexec_b64 s[6:7], s[6:7]
	v_mov_b32_e32 v10, s10
	s_xor_b64 exec, exec, s[6:7]
	s_cbranch_execnz .LBB58_2380
.LBB58_330:
	s_or_b64 exec, exec, s[6:7]
	s_and_saveexec_b64 s[6:7], s[4:5]
	s_cbranch_execz .LBB58_332
.LBB58_331:
	v_bfe_u32 v10, v16, 8, 3
	v_ffbh_u32_e32 v15, v10
	v_min_u32_e32 v15, 32, v15
	v_lshrrev_b16_e32 v14, 3, v11
	v_subrev_u32_e32 v20, 28, v15
	v_and_b32_e32 v14, 15, v14
	v_lshlrev_b32_e32 v11, v20, v11
	v_sub_u32_e32 v15, 29, v15
	v_and_b32_e32 v11, 7, v11
	v_cmp_eq_u16_e32 vcc, 0, v14
	v_cndmask_b32_e32 v10, v10, v11, vcc
	v_cndmask_b32_e32 v11, v14, v15, vcc
	v_lshlrev_b32_e32 v14, 16, v16
	v_mov_b32_e32 v15, 0x3b800000
	v_lshlrev_b32_e32 v10, 20, v10
	v_and_b32_e32 v14, 0x80000000, v14
	v_lshl_add_u32 v11, v11, 23, v15
	v_or3_b32 v10, v14, v11, v10
.LBB58_332:
	s_or_b64 exec, exec, s[6:7]
	v_lshrrev_b32_e32 v11, 8, v12
	s_movk_i32 s4, 0x7f
	v_cmp_gt_i16_sdwa s[6:7], v11, s4 src0_sel:BYTE_0 src1_sel:DWORD
	s_mov_b64 s[4:5], 0
                                        ; implicit-def: $sgpr10
	s_and_saveexec_b64 s[8:9], s[6:7]
	s_xor_b64 s[6:7], exec, s[8:9]
	s_cbranch_execnz .LBB58_2381
; %bb.333:
	s_or_saveexec_b64 s[6:7], s[6:7]
	v_mov_b32_e32 v14, s10
	s_xor_b64 exec, exec, s[6:7]
	s_cbranch_execnz .LBB58_2384
.LBB58_334:
	s_or_b64 exec, exec, s[6:7]
	s_and_saveexec_b64 s[6:7], s[4:5]
	s_cbranch_execz .LBB58_336
.LBB58_335:
	v_bfe_u32 v14, v12, 8, 3
	v_ffbh_u32_e32 v20, v14
	v_min_u32_e32 v20, 32, v20
	v_lshrrev_b16_e32 v15, 3, v11
	v_subrev_u32_e32 v21, 28, v20
	v_and_b32_e32 v15, 15, v15
	v_lshlrev_b32_e32 v11, v21, v11
	v_sub_u32_e32 v20, 29, v20
	v_and_b32_e32 v11, 7, v11
	v_cmp_eq_u16_e32 vcc, 0, v15
	v_cndmask_b32_e32 v11, v14, v11, vcc
	v_cndmask_b32_e32 v14, v15, v20, vcc
	v_lshlrev_b32_e32 v15, 16, v12
	v_mov_b32_e32 v20, 0x3b800000
	v_lshlrev_b32_e32 v11, 20, v11
	v_and_b32_e32 v15, 0x80000000, v15
	v_lshl_add_u32 v14, v14, 23, v20
	v_or3_b32 v14, v15, v14, v11
.LBB58_336:
	s_or_b64 exec, exec, s[6:7]
	s_nop 0
	v_mfma_f32_16x16x4f32 a[0:3], v10, v14, a[0:3]
	s_movk_i32 s4, 0xff
	v_and_b32_sdwa v11, v16, s4 dst_sel:DWORD dst_unused:UNUSED_PAD src0_sel:WORD_1 src1_sel:DWORD
	s_movk_i32 s4, 0x7f
	v_cmp_lt_i16_e32 vcc, s4, v11
	s_mov_b64 s[4:5], 0
                                        ; implicit-def: $sgpr10
	s_and_saveexec_b64 s[6:7], vcc
	s_xor_b64 s[6:7], exec, s[6:7]
	s_cbranch_execnz .LBB58_2385
; %bb.337:
	s_or_saveexec_b64 s[6:7], s[6:7]
	v_mov_b32_e32 v10, s10
	s_xor_b64 exec, exec, s[6:7]
	s_cbranch_execnz .LBB58_2388
.LBB58_338:
	s_or_b64 exec, exec, s[6:7]
	s_and_saveexec_b64 s[6:7], s[4:5]
	s_cbranch_execz .LBB58_340
.LBB58_339:
	v_bfe_u32 v10, v16, 16, 3
	v_ffbh_u32_e32 v15, v10
	v_min_u32_e32 v15, 32, v15
	v_lshrrev_b32_e32 v11, 19, v16
	v_subrev_u32_e32 v20, 28, v15
	v_and_b32_e32 v11, 15, v11
	v_lshlrev_b32_sdwa v20, v20, v16 dst_sel:DWORD dst_unused:UNUSED_PAD src0_sel:DWORD src1_sel:WORD_1
	v_bfe_u32 v14, v16, 19, 4
	v_sub_u32_e32 v15, 29, v15
	v_and_b32_e32 v20, 7, v20
	v_cmp_eq_u16_e32 vcc, 0, v11
	v_cndmask_b32_e32 v10, v10, v20, vcc
	v_cndmask_b32_e32 v11, v14, v15, vcc
	v_lshlrev_b32_e32 v14, 8, v16
	v_mov_b32_e32 v15, 0x3b800000
	v_lshlrev_b32_e32 v10, 20, v10
	v_and_b32_e32 v14, 0x80000000, v14
	v_lshl_add_u32 v11, v11, 23, v15
	v_or3_b32 v10, v14, v11, v10
.LBB58_340:
	s_or_b64 exec, exec, s[6:7]
	s_movk_i32 s4, 0xff
	v_and_b32_sdwa v11, v12, s4 dst_sel:DWORD dst_unused:UNUSED_PAD src0_sel:WORD_1 src1_sel:DWORD
	s_movk_i32 s4, 0x7f
	v_cmp_lt_i16_e32 vcc, s4, v11
	s_mov_b64 s[4:5], 0
                                        ; implicit-def: $sgpr10
	s_and_saveexec_b64 s[6:7], vcc
	s_xor_b64 s[6:7], exec, s[6:7]
	s_cbranch_execnz .LBB58_2389
; %bb.341:
	s_or_saveexec_b64 s[6:7], s[6:7]
	v_mov_b32_e32 v14, s10
	s_xor_b64 exec, exec, s[6:7]
	s_cbranch_execnz .LBB58_2392
.LBB58_342:
	s_or_b64 exec, exec, s[6:7]
	s_and_saveexec_b64 s[6:7], s[4:5]
	s_cbranch_execz .LBB58_344
.LBB58_343:
	v_bfe_u32 v11, v12, 16, 3
	v_ffbh_u32_e32 v20, v11
	v_min_u32_e32 v20, 32, v20
	v_lshrrev_b32_e32 v14, 19, v12
	v_subrev_u32_e32 v21, 28, v20
	v_and_b32_e32 v14, 15, v14
	v_lshlrev_b32_sdwa v21, v21, v12 dst_sel:DWORD dst_unused:UNUSED_PAD src0_sel:DWORD src1_sel:WORD_1
	v_bfe_u32 v15, v12, 19, 4
	v_sub_u32_e32 v20, 29, v20
	v_and_b32_e32 v21, 7, v21
	v_cmp_eq_u16_e32 vcc, 0, v14
	v_cndmask_b32_e32 v11, v11, v21, vcc
	v_cndmask_b32_e32 v14, v15, v20, vcc
	v_lshlrev_b32_e32 v15, 8, v12
	v_mov_b32_e32 v20, 0x3b800000
	v_lshlrev_b32_e32 v11, 20, v11
	v_and_b32_e32 v15, 0x80000000, v15
	v_lshl_add_u32 v14, v14, 23, v20
	v_or3_b32 v14, v15, v14, v11
.LBB58_344:
	s_or_b64 exec, exec, s[6:7]
	s_nop 0
	v_mfma_f32_16x16x4f32 a[0:3], v10, v14, a[0:3]
	s_movk_i32 s4, 0x7f
	v_cmp_gt_i16_sdwa s[6:7], v16, s4 src0_sel:BYTE_3 src1_sel:DWORD
	s_mov_b64 s[4:5], 0
                                        ; implicit-def: $sgpr10
	s_and_saveexec_b64 s[8:9], s[6:7]
	s_xor_b64 s[6:7], exec, s[8:9]
	s_cbranch_execnz .LBB58_2393
; %bb.345:
	s_or_saveexec_b64 s[6:7], s[6:7]
	v_mov_b32_e32 v10, s10
	s_xor_b64 exec, exec, s[6:7]
	s_cbranch_execnz .LBB58_2396
.LBB58_346:
	s_or_b64 exec, exec, s[6:7]
	s_and_saveexec_b64 s[6:7], s[4:5]
	s_cbranch_execz .LBB58_348
.LBB58_347:
	v_bfe_u32 v10, v16, 24, 3
	v_ffbh_u32_e32 v20, v10
	v_min_u32_e32 v20, 32, v20
	v_lshrrev_b32_e32 v14, 27, v16
	v_subrev_u32_e32 v21, 28, v20
	v_and_b32_e32 v11, 0x80000000, v16
	v_and_b32_e32 v14, 15, v14
	v_bfe_u32 v15, v16, 27, 4
	v_lshlrev_b32_sdwa v16, v21, v16 dst_sel:DWORD dst_unused:UNUSED_PAD src0_sel:DWORD src1_sel:BYTE_3
	v_sub_u32_e32 v20, 29, v20
	v_and_b32_e32 v16, 7, v16
	v_cmp_eq_u16_e32 vcc, 0, v14
	v_cndmask_b32_e32 v10, v10, v16, vcc
	v_cndmask_b32_e32 v14, v15, v20, vcc
	v_mov_b32_e32 v15, 0x3b800000
	v_lshlrev_b32_e32 v10, 20, v10
	v_lshl_add_u32 v14, v14, 23, v15
	v_or3_b32 v10, v11, v14, v10
.LBB58_348:
	s_or_b64 exec, exec, s[6:7]
	s_movk_i32 s4, 0x7f
	v_cmp_gt_i16_sdwa s[6:7], v12, s4 src0_sel:BYTE_3 src1_sel:DWORD
	s_mov_b64 s[4:5], 0
                                        ; implicit-def: $sgpr10
	s_and_saveexec_b64 s[8:9], s[6:7]
	s_xor_b64 s[6:7], exec, s[8:9]
	s_cbranch_execnz .LBB58_2397
; %bb.349:
	s_or_saveexec_b64 s[6:7], s[6:7]
	v_mov_b32_e32 v11, s10
	s_xor_b64 exec, exec, s[6:7]
	s_cbranch_execnz .LBB58_2400
.LBB58_350:
	s_or_b64 exec, exec, s[6:7]
	s_and_saveexec_b64 s[6:7], s[4:5]
	s_cbranch_execz .LBB58_352
.LBB58_351:
	v_bfe_u32 v11, v12, 24, 3
	v_ffbh_u32_e32 v20, v11
	v_min_u32_e32 v20, 32, v20
	v_lshrrev_b32_e32 v15, 27, v12
	v_subrev_u32_e32 v21, 28, v20
	v_and_b32_e32 v14, 0x80000000, v12
	v_and_b32_e32 v15, 15, v15
	v_bfe_u32 v16, v12, 27, 4
	v_lshlrev_b32_sdwa v12, v21, v12 dst_sel:DWORD dst_unused:UNUSED_PAD src0_sel:DWORD src1_sel:BYTE_3
	v_sub_u32_e32 v20, 29, v20
	v_and_b32_e32 v12, 7, v12
	v_cmp_eq_u16_e32 vcc, 0, v15
	v_cndmask_b32_e32 v11, v11, v12, vcc
	v_cndmask_b32_e32 v12, v16, v20, vcc
	v_mov_b32_e32 v15, 0x3b800000
	v_lshlrev_b32_e32 v11, 20, v11
	v_lshl_add_u32 v12, v12, 23, v15
	v_or3_b32 v11, v14, v12, v11
.LBB58_352:
	s_or_b64 exec, exec, s[6:7]
	s_nop 0
	v_mfma_f32_16x16x4f32 a[0:3], v10, v11, a[0:3]
	s_movk_i32 s4, 0x7f
	v_cmp_gt_i16_sdwa s[6:7], v17, s4 src0_sel:BYTE_0 src1_sel:DWORD
	s_mov_b64 s[4:5], 0
                                        ; implicit-def: $sgpr10
	s_and_saveexec_b64 s[8:9], s[6:7]
	s_xor_b64 s[6:7], exec, s[8:9]
	s_cbranch_execnz .LBB58_2401
; %bb.353:
	s_or_saveexec_b64 s[6:7], s[6:7]
	v_mov_b32_e32 v10, s10
	s_xor_b64 exec, exec, s[6:7]
	s_cbranch_execnz .LBB58_2404
.LBB58_354:
	s_or_b64 exec, exec, s[6:7]
	s_and_saveexec_b64 s[6:7], s[4:5]
	s_cbranch_execz .LBB58_356
.LBB58_355:
	v_and_b32_e32 v10, 7, v17
	v_ffbh_u32_e32 v12, v10
	v_min_u32_e32 v12, 32, v12
	v_lshrrev_b16_e32 v11, 3, v17
	v_subrev_u32_e32 v14, 28, v12
	v_and_b32_e32 v11, 15, v11
	v_lshlrev_b32_e32 v14, v14, v17
	v_sub_u32_e32 v12, 29, v12
	v_and_b32_e32 v14, 7, v14
	v_cmp_eq_u16_e32 vcc, 0, v11
	v_cndmask_b32_e32 v10, v10, v14, vcc
	v_cndmask_b32_e32 v11, v11, v12, vcc
	v_lshlrev_b32_e32 v12, 24, v17
	v_mov_b32_e32 v14, 0x3b800000
	v_lshlrev_b32_e32 v10, 20, v10
	v_and_b32_e32 v12, 0x80000000, v12
	v_lshl_add_u32 v11, v11, 23, v14
	v_or3_b32 v10, v12, v11, v10
.LBB58_356:
	s_or_b64 exec, exec, s[6:7]
	s_movk_i32 s4, 0x7f
	v_cmp_gt_i16_sdwa s[6:7], v13, s4 src0_sel:BYTE_0 src1_sel:DWORD
	s_mov_b64 s[4:5], 0
                                        ; implicit-def: $sgpr10
	s_and_saveexec_b64 s[8:9], s[6:7]
	s_xor_b64 s[6:7], exec, s[8:9]
	s_cbranch_execnz .LBB58_2405
; %bb.357:
	s_or_saveexec_b64 s[6:7], s[6:7]
	v_mov_b32_e32 v11, s10
	s_xor_b64 exec, exec, s[6:7]
	s_cbranch_execnz .LBB58_2408
.LBB58_358:
	s_or_b64 exec, exec, s[6:7]
	s_and_saveexec_b64 s[6:7], s[4:5]
	s_cbranch_execz .LBB58_360
.LBB58_359:
	v_and_b32_e32 v11, 7, v13
	v_ffbh_u32_e32 v14, v11
	v_min_u32_e32 v14, 32, v14
	v_lshrrev_b16_e32 v12, 3, v13
	v_subrev_u32_e32 v15, 28, v14
	v_and_b32_e32 v12, 15, v12
	v_lshlrev_b32_e32 v15, v15, v13
	v_sub_u32_e32 v14, 29, v14
	v_and_b32_e32 v15, 7, v15
	v_cmp_eq_u16_e32 vcc, 0, v12
	v_cndmask_b32_e32 v11, v11, v15, vcc
	v_cndmask_b32_e32 v12, v12, v14, vcc
	v_lshlrev_b32_e32 v14, 24, v13
	v_mov_b32_e32 v15, 0x3b800000
	v_lshlrev_b32_e32 v11, 20, v11
	v_and_b32_e32 v14, 0x80000000, v14
	v_lshl_add_u32 v12, v12, 23, v15
	v_or3_b32 v11, v14, v12, v11
.LBB58_360:
	s_or_b64 exec, exec, s[6:7]
	s_nop 0
	v_mfma_f32_16x16x4f32 a[0:3], v10, v11, a[0:3]
	v_lshrrev_b32_e32 v11, 8, v17
	s_movk_i32 s4, 0x7f
	v_cmp_gt_i16_sdwa s[6:7], v11, s4 src0_sel:BYTE_0 src1_sel:DWORD
	s_mov_b64 s[4:5], 0
                                        ; implicit-def: $sgpr10
	s_and_saveexec_b64 s[8:9], s[6:7]
	s_xor_b64 s[6:7], exec, s[8:9]
	s_cbranch_execnz .LBB58_2409
; %bb.361:
	s_or_saveexec_b64 s[6:7], s[6:7]
	v_mov_b32_e32 v10, s10
	s_xor_b64 exec, exec, s[6:7]
	s_cbranch_execnz .LBB58_2412
.LBB58_362:
	s_or_b64 exec, exec, s[6:7]
	s_and_saveexec_b64 s[6:7], s[4:5]
	s_cbranch_execz .LBB58_364
.LBB58_363:
	v_bfe_u32 v10, v17, 8, 3
	v_ffbh_u32_e32 v14, v10
	v_min_u32_e32 v14, 32, v14
	v_lshrrev_b16_e32 v12, 3, v11
	v_subrev_u32_e32 v15, 28, v14
	v_and_b32_e32 v12, 15, v12
	v_lshlrev_b32_e32 v11, v15, v11
	v_sub_u32_e32 v14, 29, v14
	v_and_b32_e32 v11, 7, v11
	v_cmp_eq_u16_e32 vcc, 0, v12
	v_cndmask_b32_e32 v10, v10, v11, vcc
	v_cndmask_b32_e32 v11, v12, v14, vcc
	v_lshlrev_b32_e32 v12, 16, v17
	v_mov_b32_e32 v14, 0x3b800000
	v_lshlrev_b32_e32 v10, 20, v10
	v_and_b32_e32 v12, 0x80000000, v12
	v_lshl_add_u32 v11, v11, 23, v14
	v_or3_b32 v10, v12, v11, v10
.LBB58_364:
	s_or_b64 exec, exec, s[6:7]
	v_lshrrev_b32_e32 v11, 8, v13
	s_movk_i32 s4, 0x7f
	v_cmp_gt_i16_sdwa s[6:7], v11, s4 src0_sel:BYTE_0 src1_sel:DWORD
	s_mov_b64 s[4:5], 0
                                        ; implicit-def: $sgpr10
	s_and_saveexec_b64 s[8:9], s[6:7]
	s_xor_b64 s[6:7], exec, s[8:9]
	s_cbranch_execnz .LBB58_2413
; %bb.365:
	s_or_saveexec_b64 s[6:7], s[6:7]
	v_mov_b32_e32 v12, s10
	s_xor_b64 exec, exec, s[6:7]
	s_cbranch_execnz .LBB58_2416
.LBB58_366:
	s_or_b64 exec, exec, s[6:7]
	s_and_saveexec_b64 s[6:7], s[4:5]
	s_cbranch_execz .LBB58_368
.LBB58_367:
	v_bfe_u32 v12, v13, 8, 3
	v_ffbh_u32_e32 v15, v12
	v_min_u32_e32 v15, 32, v15
	v_lshrrev_b16_e32 v14, 3, v11
	v_subrev_u32_e32 v16, 28, v15
	v_and_b32_e32 v14, 15, v14
	v_lshlrev_b32_e32 v11, v16, v11
	v_sub_u32_e32 v15, 29, v15
	v_and_b32_e32 v11, 7, v11
	v_cmp_eq_u16_e32 vcc, 0, v14
	v_cndmask_b32_e32 v11, v12, v11, vcc
	v_cndmask_b32_e32 v12, v14, v15, vcc
	v_lshlrev_b32_e32 v14, 16, v13
	v_mov_b32_e32 v15, 0x3b800000
	v_lshlrev_b32_e32 v11, 20, v11
	v_and_b32_e32 v14, 0x80000000, v14
	v_lshl_add_u32 v12, v12, 23, v15
	v_or3_b32 v12, v14, v12, v11
.LBB58_368:
	s_or_b64 exec, exec, s[6:7]
	s_nop 0
	v_mfma_f32_16x16x4f32 a[0:3], v10, v12, a[0:3]
	s_movk_i32 s4, 0xff
	v_and_b32_sdwa v11, v17, s4 dst_sel:DWORD dst_unused:UNUSED_PAD src0_sel:WORD_1 src1_sel:DWORD
	s_movk_i32 s4, 0x7f
	v_cmp_lt_i16_e32 vcc, s4, v11
	s_mov_b64 s[4:5], 0
                                        ; implicit-def: $sgpr10
	s_and_saveexec_b64 s[6:7], vcc
	s_xor_b64 s[6:7], exec, s[6:7]
	s_cbranch_execnz .LBB58_2417
; %bb.369:
	s_or_saveexec_b64 s[6:7], s[6:7]
	v_mov_b32_e32 v10, s10
	s_xor_b64 exec, exec, s[6:7]
	s_cbranch_execnz .LBB58_2420
.LBB58_370:
	s_or_b64 exec, exec, s[6:7]
	s_and_saveexec_b64 s[6:7], s[4:5]
	s_cbranch_execz .LBB58_372
.LBB58_371:
	v_bfe_u32 v10, v17, 16, 3
	v_ffbh_u32_e32 v14, v10
	v_min_u32_e32 v14, 32, v14
	v_lshrrev_b32_e32 v11, 19, v17
	v_subrev_u32_e32 v15, 28, v14
	v_and_b32_e32 v11, 15, v11
	v_lshlrev_b32_sdwa v15, v15, v17 dst_sel:DWORD dst_unused:UNUSED_PAD src0_sel:DWORD src1_sel:WORD_1
	v_bfe_u32 v12, v17, 19, 4
	v_sub_u32_e32 v14, 29, v14
	v_and_b32_e32 v15, 7, v15
	v_cmp_eq_u16_e32 vcc, 0, v11
	v_cndmask_b32_e32 v10, v10, v15, vcc
	v_cndmask_b32_e32 v11, v12, v14, vcc
	v_lshlrev_b32_e32 v12, 8, v17
	v_mov_b32_e32 v14, 0x3b800000
	v_lshlrev_b32_e32 v10, 20, v10
	v_and_b32_e32 v12, 0x80000000, v12
	v_lshl_add_u32 v11, v11, 23, v14
	v_or3_b32 v10, v12, v11, v10
.LBB58_372:
	s_or_b64 exec, exec, s[6:7]
	s_movk_i32 s4, 0xff
	v_and_b32_sdwa v11, v13, s4 dst_sel:DWORD dst_unused:UNUSED_PAD src0_sel:WORD_1 src1_sel:DWORD
	s_movk_i32 s4, 0x7f
	v_cmp_lt_i16_e32 vcc, s4, v11
	s_mov_b64 s[4:5], 0
                                        ; implicit-def: $sgpr10
	s_and_saveexec_b64 s[6:7], vcc
	s_xor_b64 s[6:7], exec, s[6:7]
	s_cbranch_execnz .LBB58_2421
; %bb.373:
	s_or_saveexec_b64 s[6:7], s[6:7]
	v_mov_b32_e32 v12, s10
	s_xor_b64 exec, exec, s[6:7]
	s_cbranch_execnz .LBB58_2424
.LBB58_374:
	s_or_b64 exec, exec, s[6:7]
	s_and_saveexec_b64 s[6:7], s[4:5]
	s_cbranch_execz .LBB58_376
.LBB58_375:
	v_bfe_u32 v11, v13, 16, 3
	v_ffbh_u32_e32 v15, v11
	v_min_u32_e32 v15, 32, v15
	v_lshrrev_b32_e32 v12, 19, v13
	v_subrev_u32_e32 v16, 28, v15
	v_and_b32_e32 v12, 15, v12
	v_lshlrev_b32_sdwa v16, v16, v13 dst_sel:DWORD dst_unused:UNUSED_PAD src0_sel:DWORD src1_sel:WORD_1
	v_bfe_u32 v14, v13, 19, 4
	v_sub_u32_e32 v15, 29, v15
	v_and_b32_e32 v16, 7, v16
	v_cmp_eq_u16_e32 vcc, 0, v12
	v_cndmask_b32_e32 v11, v11, v16, vcc
	v_cndmask_b32_e32 v12, v14, v15, vcc
	v_lshlrev_b32_e32 v14, 8, v13
	v_mov_b32_e32 v15, 0x3b800000
	v_lshlrev_b32_e32 v11, 20, v11
	v_and_b32_e32 v14, 0x80000000, v14
	v_lshl_add_u32 v12, v12, 23, v15
	v_or3_b32 v12, v14, v12, v11
.LBB58_376:
	s_or_b64 exec, exec, s[6:7]
	s_nop 0
	v_mfma_f32_16x16x4f32 a[0:3], v10, v12, a[0:3]
	s_movk_i32 s4, 0x7f
	v_cmp_gt_i16_sdwa s[6:7], v17, s4 src0_sel:BYTE_3 src1_sel:DWORD
	s_mov_b64 s[4:5], 0
                                        ; implicit-def: $sgpr10
	s_and_saveexec_b64 s[8:9], s[6:7]
	s_xor_b64 s[6:7], exec, s[8:9]
	s_cbranch_execnz .LBB58_2425
; %bb.377:
	s_or_saveexec_b64 s[6:7], s[6:7]
	v_mov_b32_e32 v10, s10
	s_xor_b64 exec, exec, s[6:7]
	s_cbranch_execnz .LBB58_2428
.LBB58_378:
	s_or_b64 exec, exec, s[6:7]
	s_and_saveexec_b64 s[6:7], s[4:5]
	s_cbranch_execz .LBB58_380
.LBB58_379:
	v_bfe_u32 v10, v17, 24, 3
	v_ffbh_u32_e32 v15, v10
	v_min_u32_e32 v15, 32, v15
	v_lshrrev_b32_e32 v12, 27, v17
	v_subrev_u32_e32 v16, 28, v15
	v_and_b32_e32 v12, 15, v12
	v_lshlrev_b32_sdwa v16, v16, v17 dst_sel:DWORD dst_unused:UNUSED_PAD src0_sel:DWORD src1_sel:BYTE_3
	v_bfe_u32 v14, v17, 27, 4
	v_sub_u32_e32 v15, 29, v15
	v_and_b32_e32 v16, 7, v16
	v_cmp_eq_u16_e32 vcc, 0, v12
	v_cndmask_b32_e32 v10, v10, v16, vcc
	v_cndmask_b32_e32 v12, v14, v15, vcc
	v_mov_b32_e32 v14, 0x3b800000
	v_and_b32_e32 v11, 0x80000000, v17
	v_lshlrev_b32_e32 v10, 20, v10
	v_lshl_add_u32 v12, v12, 23, v14
	v_or3_b32 v10, v11, v12, v10
.LBB58_380:
	s_or_b64 exec, exec, s[6:7]
	s_movk_i32 s4, 0x7f
	v_cmp_gt_i16_sdwa s[6:7], v13, s4 src0_sel:BYTE_3 src1_sel:DWORD
	s_mov_b64 s[4:5], 0
                                        ; implicit-def: $sgpr10
	s_and_saveexec_b64 s[8:9], s[6:7]
	s_xor_b64 s[6:7], exec, s[8:9]
	s_cbranch_execnz .LBB58_2429
; %bb.381:
	s_or_saveexec_b64 s[6:7], s[6:7]
	v_mov_b32_e32 v11, s10
	s_xor_b64 exec, exec, s[6:7]
	s_cbranch_execnz .LBB58_2432
.LBB58_382:
	s_or_b64 exec, exec, s[6:7]
	s_and_saveexec_b64 s[6:7], s[4:5]
	s_cbranch_execz .LBB58_384
.LBB58_383:
	v_bfe_u32 v11, v13, 24, 3
	v_ffbh_u32_e32 v16, v11
	v_min_u32_e32 v16, 32, v16
	v_lshrrev_b32_e32 v14, 27, v13
	v_subrev_u32_e32 v17, 28, v16
	v_and_b32_e32 v12, 0x80000000, v13
	v_and_b32_e32 v14, 15, v14
	v_bfe_u32 v15, v13, 27, 4
	v_lshlrev_b32_sdwa v13, v17, v13 dst_sel:DWORD dst_unused:UNUSED_PAD src0_sel:DWORD src1_sel:BYTE_3
	v_sub_u32_e32 v16, 29, v16
	v_and_b32_e32 v13, 7, v13
	v_cmp_eq_u16_e32 vcc, 0, v14
	v_cndmask_b32_e32 v11, v11, v13, vcc
	v_cndmask_b32_e32 v13, v15, v16, vcc
	v_mov_b32_e32 v14, 0x3b800000
	v_lshlrev_b32_e32 v11, 20, v11
	v_lshl_add_u32 v13, v13, 23, v14
	v_or3_b32 v11, v12, v13, v11
.LBB58_384:
	s_or_b64 exec, exec, s[6:7]
	s_nop 0
	v_mfma_f32_16x16x4f32 a[0:3], v10, v11, a[0:3]
	s_movk_i32 s4, 0x7f
	v_cmp_gt_i16_sdwa s[6:7], v6, s4 src0_sel:BYTE_0 src1_sel:DWORD
	s_mov_b64 s[4:5], 0
                                        ; implicit-def: $sgpr10
	s_and_saveexec_b64 s[8:9], s[6:7]
	s_xor_b64 s[6:7], exec, s[8:9]
	s_cbranch_execnz .LBB58_2433
; %bb.385:
	s_or_saveexec_b64 s[6:7], s[6:7]
	v_mov_b32_e32 v10, s10
	s_xor_b64 exec, exec, s[6:7]
	s_cbranch_execnz .LBB58_2436
.LBB58_386:
	s_or_b64 exec, exec, s[6:7]
	s_and_saveexec_b64 s[6:7], s[4:5]
	s_cbranch_execz .LBB58_388
.LBB58_387:
	v_and_b32_e32 v10, 7, v6
	v_ffbh_u32_e32 v12, v10
	v_min_u32_e32 v12, 32, v12
	v_lshrrev_b16_e32 v11, 3, v6
	v_subrev_u32_e32 v13, 28, v12
	v_and_b32_e32 v11, 15, v11
	v_lshlrev_b32_e32 v13, v13, v6
	v_sub_u32_e32 v12, 29, v12
	v_and_b32_e32 v13, 7, v13
	v_cmp_eq_u16_e32 vcc, 0, v11
	v_cndmask_b32_e32 v10, v10, v13, vcc
	v_cndmask_b32_e32 v11, v11, v12, vcc
	v_lshlrev_b32_e32 v12, 24, v6
	v_mov_b32_e32 v13, 0x3b800000
	v_lshlrev_b32_e32 v10, 20, v10
	v_and_b32_e32 v12, 0x80000000, v12
	v_lshl_add_u32 v11, v11, 23, v13
	v_or3_b32 v10, v12, v11, v10
.LBB58_388:
	s_or_b64 exec, exec, s[6:7]
	s_movk_i32 s4, 0x7f
	v_cmp_gt_i16_sdwa s[6:7], v2, s4 src0_sel:BYTE_0 src1_sel:DWORD
	s_mov_b64 s[4:5], 0
                                        ; implicit-def: $sgpr10
	s_and_saveexec_b64 s[8:9], s[6:7]
	s_xor_b64 s[6:7], exec, s[8:9]
	s_cbranch_execnz .LBB58_2437
; %bb.389:
	s_or_saveexec_b64 s[6:7], s[6:7]
	v_mov_b32_e32 v11, s10
	s_xor_b64 exec, exec, s[6:7]
	s_cbranch_execnz .LBB58_2440
.LBB58_390:
	s_or_b64 exec, exec, s[6:7]
	s_and_saveexec_b64 s[6:7], s[4:5]
	s_cbranch_execz .LBB58_392
.LBB58_391:
	v_and_b32_e32 v11, 7, v2
	v_ffbh_u32_e32 v13, v11
	v_min_u32_e32 v13, 32, v13
	v_lshrrev_b16_e32 v12, 3, v2
	v_subrev_u32_e32 v14, 28, v13
	v_and_b32_e32 v12, 15, v12
	v_lshlrev_b32_e32 v14, v14, v2
	v_sub_u32_e32 v13, 29, v13
	v_and_b32_e32 v14, 7, v14
	v_cmp_eq_u16_e32 vcc, 0, v12
	v_cndmask_b32_e32 v11, v11, v14, vcc
	v_cndmask_b32_e32 v12, v12, v13, vcc
	v_lshlrev_b32_e32 v13, 24, v2
	v_mov_b32_e32 v14, 0x3b800000
	v_lshlrev_b32_e32 v11, 20, v11
	v_and_b32_e32 v13, 0x80000000, v13
	v_lshl_add_u32 v12, v12, 23, v14
	v_or3_b32 v11, v13, v12, v11
.LBB58_392:
	s_or_b64 exec, exec, s[6:7]
	s_nop 0
	v_mfma_f32_16x16x4f32 a[0:3], v10, v11, a[0:3]
	v_lshrrev_b32_e32 v11, 8, v6
	s_movk_i32 s4, 0x7f
	v_cmp_gt_i16_sdwa s[6:7], v11, s4 src0_sel:BYTE_0 src1_sel:DWORD
	s_mov_b64 s[4:5], 0
                                        ; implicit-def: $sgpr10
	s_and_saveexec_b64 s[8:9], s[6:7]
	s_xor_b64 s[6:7], exec, s[8:9]
	s_cbranch_execnz .LBB58_2441
; %bb.393:
	s_or_saveexec_b64 s[6:7], s[6:7]
	v_mov_b32_e32 v10, s10
	s_xor_b64 exec, exec, s[6:7]
	s_cbranch_execnz .LBB58_2444
.LBB58_394:
	s_or_b64 exec, exec, s[6:7]
	s_and_saveexec_b64 s[6:7], s[4:5]
	s_cbranch_execz .LBB58_396
.LBB58_395:
	v_bfe_u32 v10, v6, 8, 3
	v_ffbh_u32_e32 v13, v10
	v_min_u32_e32 v13, 32, v13
	v_lshrrev_b16_e32 v12, 3, v11
	v_subrev_u32_e32 v14, 28, v13
	v_and_b32_e32 v12, 15, v12
	v_lshlrev_b32_e32 v11, v14, v11
	v_sub_u32_e32 v13, 29, v13
	v_and_b32_e32 v11, 7, v11
	v_cmp_eq_u16_e32 vcc, 0, v12
	v_cndmask_b32_e32 v10, v10, v11, vcc
	v_cndmask_b32_e32 v11, v12, v13, vcc
	v_lshlrev_b32_e32 v12, 16, v6
	v_mov_b32_e32 v13, 0x3b800000
	v_lshlrev_b32_e32 v10, 20, v10
	v_and_b32_e32 v12, 0x80000000, v12
	v_lshl_add_u32 v11, v11, 23, v13
	v_or3_b32 v10, v12, v11, v10
.LBB58_396:
	s_or_b64 exec, exec, s[6:7]
	v_lshrrev_b32_e32 v11, 8, v2
	s_movk_i32 s4, 0x7f
	v_cmp_gt_i16_sdwa s[6:7], v11, s4 src0_sel:BYTE_0 src1_sel:DWORD
	s_mov_b64 s[4:5], 0
                                        ; implicit-def: $sgpr10
	s_and_saveexec_b64 s[8:9], s[6:7]
	s_xor_b64 s[6:7], exec, s[8:9]
	s_cbranch_execnz .LBB58_2445
; %bb.397:
	s_or_saveexec_b64 s[6:7], s[6:7]
	v_mov_b32_e32 v12, s10
	s_xor_b64 exec, exec, s[6:7]
	s_cbranch_execnz .LBB58_2448
.LBB58_398:
	s_or_b64 exec, exec, s[6:7]
	s_and_saveexec_b64 s[6:7], s[4:5]
	s_cbranch_execz .LBB58_400
.LBB58_399:
	v_bfe_u32 v12, v2, 8, 3
	v_ffbh_u32_e32 v14, v12
	v_min_u32_e32 v14, 32, v14
	v_lshrrev_b16_e32 v13, 3, v11
	v_subrev_u32_e32 v15, 28, v14
	v_and_b32_e32 v13, 15, v13
	v_lshlrev_b32_e32 v11, v15, v11
	v_sub_u32_e32 v14, 29, v14
	v_and_b32_e32 v11, 7, v11
	v_cmp_eq_u16_e32 vcc, 0, v13
	v_cndmask_b32_e32 v11, v12, v11, vcc
	v_cndmask_b32_e32 v12, v13, v14, vcc
	v_lshlrev_b32_e32 v13, 16, v2
	v_mov_b32_e32 v14, 0x3b800000
	v_lshlrev_b32_e32 v11, 20, v11
	v_and_b32_e32 v13, 0x80000000, v13
	v_lshl_add_u32 v12, v12, 23, v14
	v_or3_b32 v12, v13, v12, v11
.LBB58_400:
	s_or_b64 exec, exec, s[6:7]
	s_nop 0
	v_mfma_f32_16x16x4f32 a[0:3], v10, v12, a[0:3]
	s_movk_i32 s4, 0xff
	v_and_b32_sdwa v11, v6, s4 dst_sel:DWORD dst_unused:UNUSED_PAD src0_sel:WORD_1 src1_sel:DWORD
	s_movk_i32 s4, 0x7f
	v_cmp_lt_i16_e32 vcc, s4, v11
	s_mov_b64 s[4:5], 0
                                        ; implicit-def: $sgpr10
	s_and_saveexec_b64 s[6:7], vcc
	s_xor_b64 s[6:7], exec, s[6:7]
	s_cbranch_execnz .LBB58_2449
; %bb.401:
	s_or_saveexec_b64 s[6:7], s[6:7]
	v_mov_b32_e32 v10, s10
	s_xor_b64 exec, exec, s[6:7]
	s_cbranch_execnz .LBB58_2452
.LBB58_402:
	s_or_b64 exec, exec, s[6:7]
	s_and_saveexec_b64 s[6:7], s[4:5]
	s_cbranch_execz .LBB58_404
.LBB58_403:
	v_bfe_u32 v10, v6, 16, 3
	v_ffbh_u32_e32 v13, v10
	v_min_u32_e32 v13, 32, v13
	v_lshrrev_b32_e32 v11, 19, v6
	v_subrev_u32_e32 v14, 28, v13
	v_and_b32_e32 v11, 15, v11
	v_lshlrev_b32_sdwa v14, v14, v6 dst_sel:DWORD dst_unused:UNUSED_PAD src0_sel:DWORD src1_sel:WORD_1
	v_bfe_u32 v12, v6, 19, 4
	v_sub_u32_e32 v13, 29, v13
	v_and_b32_e32 v14, 7, v14
	v_cmp_eq_u16_e32 vcc, 0, v11
	v_cndmask_b32_e32 v10, v10, v14, vcc
	v_cndmask_b32_e32 v11, v12, v13, vcc
	v_lshlrev_b32_e32 v12, 8, v6
	v_mov_b32_e32 v13, 0x3b800000
	v_lshlrev_b32_e32 v10, 20, v10
	v_and_b32_e32 v12, 0x80000000, v12
	v_lshl_add_u32 v11, v11, 23, v13
	v_or3_b32 v10, v12, v11, v10
.LBB58_404:
	s_or_b64 exec, exec, s[6:7]
	s_movk_i32 s4, 0xff
	v_and_b32_sdwa v11, v2, s4 dst_sel:DWORD dst_unused:UNUSED_PAD src0_sel:WORD_1 src1_sel:DWORD
	s_movk_i32 s4, 0x7f
	v_cmp_lt_i16_e32 vcc, s4, v11
	s_mov_b64 s[4:5], 0
                                        ; implicit-def: $sgpr10
	s_and_saveexec_b64 s[6:7], vcc
	s_xor_b64 s[6:7], exec, s[6:7]
	s_cbranch_execnz .LBB58_2453
; %bb.405:
	s_or_saveexec_b64 s[6:7], s[6:7]
	v_mov_b32_e32 v12, s10
	s_xor_b64 exec, exec, s[6:7]
	s_cbranch_execnz .LBB58_2456
.LBB58_406:
	s_or_b64 exec, exec, s[6:7]
	s_and_saveexec_b64 s[6:7], s[4:5]
	s_cbranch_execz .LBB58_408
.LBB58_407:
	v_bfe_u32 v11, v2, 16, 3
	v_ffbh_u32_e32 v14, v11
	v_min_u32_e32 v14, 32, v14
	v_lshrrev_b32_e32 v12, 19, v2
	v_subrev_u32_e32 v15, 28, v14
	v_and_b32_e32 v12, 15, v12
	v_lshlrev_b32_sdwa v15, v15, v2 dst_sel:DWORD dst_unused:UNUSED_PAD src0_sel:DWORD src1_sel:WORD_1
	v_bfe_u32 v13, v2, 19, 4
	v_sub_u32_e32 v14, 29, v14
	v_and_b32_e32 v15, 7, v15
	v_cmp_eq_u16_e32 vcc, 0, v12
	v_cndmask_b32_e32 v11, v11, v15, vcc
	v_cndmask_b32_e32 v12, v13, v14, vcc
	v_lshlrev_b32_e32 v13, 8, v2
	v_mov_b32_e32 v14, 0x3b800000
	v_lshlrev_b32_e32 v11, 20, v11
	v_and_b32_e32 v13, 0x80000000, v13
	v_lshl_add_u32 v12, v12, 23, v14
	v_or3_b32 v12, v13, v12, v11
.LBB58_408:
	s_or_b64 exec, exec, s[6:7]
	s_nop 0
	v_mfma_f32_16x16x4f32 a[0:3], v10, v12, a[0:3]
	s_movk_i32 s4, 0x7f
	v_cmp_gt_i16_sdwa s[6:7], v6, s4 src0_sel:BYTE_3 src1_sel:DWORD
	s_mov_b64 s[4:5], 0
                                        ; implicit-def: $sgpr10
	s_and_saveexec_b64 s[8:9], s[6:7]
	s_xor_b64 s[6:7], exec, s[8:9]
	s_cbranch_execnz .LBB58_2457
; %bb.409:
	s_or_saveexec_b64 s[6:7], s[6:7]
	v_mov_b32_e32 v10, s10
	s_xor_b64 exec, exec, s[6:7]
	s_cbranch_execnz .LBB58_2460
.LBB58_410:
	s_or_b64 exec, exec, s[6:7]
	s_and_saveexec_b64 s[6:7], s[4:5]
	s_cbranch_execz .LBB58_412
.LBB58_411:
	v_bfe_u32 v10, v6, 24, 3
	v_ffbh_u32_e32 v14, v10
	v_min_u32_e32 v14, 32, v14
	v_lshrrev_b32_e32 v12, 27, v6
	v_subrev_u32_e32 v15, 28, v14
	v_and_b32_e32 v11, 0x80000000, v6
	v_and_b32_e32 v12, 15, v12
	v_bfe_u32 v13, v6, 27, 4
	v_lshlrev_b32_sdwa v6, v15, v6 dst_sel:DWORD dst_unused:UNUSED_PAD src0_sel:DWORD src1_sel:BYTE_3
	v_sub_u32_e32 v14, 29, v14
	v_and_b32_e32 v6, 7, v6
	v_cmp_eq_u16_e32 vcc, 0, v12
	v_cndmask_b32_e32 v6, v10, v6, vcc
	v_cndmask_b32_e32 v10, v13, v14, vcc
	v_mov_b32_e32 v12, 0x3b800000
	v_lshlrev_b32_e32 v6, 20, v6
	v_lshl_add_u32 v10, v10, 23, v12
	v_or3_b32 v10, v11, v10, v6
.LBB58_412:
	s_or_b64 exec, exec, s[6:7]
	s_movk_i32 s4, 0x7f
	v_cmp_gt_i16_sdwa s[6:7], v2, s4 src0_sel:BYTE_3 src1_sel:DWORD
	s_mov_b64 s[4:5], 0
                                        ; implicit-def: $sgpr10
	s_and_saveexec_b64 s[8:9], s[6:7]
	s_xor_b64 s[6:7], exec, s[8:9]
	s_cbranch_execnz .LBB58_2461
; %bb.413:
	s_or_saveexec_b64 s[6:7], s[6:7]
	v_mov_b32_e32 v6, s10
	s_xor_b64 exec, exec, s[6:7]
	s_cbranch_execnz .LBB58_2464
.LBB58_414:
	s_or_b64 exec, exec, s[6:7]
	s_and_saveexec_b64 s[6:7], s[4:5]
	s_cbranch_execz .LBB58_416
.LBB58_415:
	v_bfe_u32 v6, v2, 24, 3
	v_ffbh_u32_e32 v14, v6
	v_min_u32_e32 v14, 32, v14
	v_lshrrev_b32_e32 v12, 27, v2
	v_subrev_u32_e32 v15, 28, v14
	v_and_b32_e32 v11, 0x80000000, v2
	v_and_b32_e32 v12, 15, v12
	v_bfe_u32 v13, v2, 27, 4
	v_lshlrev_b32_sdwa v2, v15, v2 dst_sel:DWORD dst_unused:UNUSED_PAD src0_sel:DWORD src1_sel:BYTE_3
	v_sub_u32_e32 v14, 29, v14
	v_and_b32_e32 v2, 7, v2
	v_cmp_eq_u16_e32 vcc, 0, v12
	v_cndmask_b32_e32 v2, v6, v2, vcc
	v_cndmask_b32_e32 v6, v13, v14, vcc
	v_mov_b32_e32 v12, 0x3b800000
	v_lshlrev_b32_e32 v2, 20, v2
	v_lshl_add_u32 v6, v6, 23, v12
	v_or3_b32 v6, v11, v6, v2
.LBB58_416:
	s_or_b64 exec, exec, s[6:7]
	s_nop 0
	v_mfma_f32_16x16x4f32 a[0:3], v10, v6, a[0:3]
	s_movk_i32 s4, 0x7f
	v_cmp_gt_i16_sdwa s[6:7], v7, s4 src0_sel:BYTE_0 src1_sel:DWORD
	s_mov_b64 s[4:5], 0
                                        ; implicit-def: $sgpr10
	s_and_saveexec_b64 s[8:9], s[6:7]
	s_xor_b64 s[6:7], exec, s[8:9]
	s_cbranch_execnz .LBB58_2465
; %bb.417:
	s_or_saveexec_b64 s[6:7], s[6:7]
	v_mov_b32_e32 v2, s10
	s_xor_b64 exec, exec, s[6:7]
	s_cbranch_execnz .LBB58_2468
.LBB58_418:
	s_or_b64 exec, exec, s[6:7]
	s_and_saveexec_b64 s[6:7], s[4:5]
	s_cbranch_execz .LBB58_420
.LBB58_419:
	v_and_b32_e32 v2, 7, v7
	v_ffbh_u32_e32 v10, v2
	v_min_u32_e32 v10, 32, v10
	v_lshrrev_b16_e32 v6, 3, v7
	v_subrev_u32_e32 v11, 28, v10
	v_and_b32_e32 v6, 15, v6
	v_lshlrev_b32_e32 v11, v11, v7
	v_sub_u32_e32 v10, 29, v10
	v_and_b32_e32 v11, 7, v11
	v_cmp_eq_u16_e32 vcc, 0, v6
	v_cndmask_b32_e32 v2, v2, v11, vcc
	v_cndmask_b32_e32 v6, v6, v10, vcc
	v_lshlrev_b32_e32 v10, 24, v7
	v_mov_b32_e32 v11, 0x3b800000
	v_lshlrev_b32_e32 v2, 20, v2
	v_and_b32_e32 v10, 0x80000000, v10
	v_lshl_add_u32 v6, v6, 23, v11
	v_or3_b32 v2, v10, v6, v2
.LBB58_420:
	s_or_b64 exec, exec, s[6:7]
	s_movk_i32 s4, 0x7f
	v_cmp_gt_i16_sdwa s[6:7], v3, s4 src0_sel:BYTE_0 src1_sel:DWORD
	s_mov_b64 s[4:5], 0
                                        ; implicit-def: $sgpr10
	s_and_saveexec_b64 s[8:9], s[6:7]
	s_xor_b64 s[6:7], exec, s[8:9]
	s_cbranch_execnz .LBB58_2469
; %bb.421:
	s_or_saveexec_b64 s[6:7], s[6:7]
	v_mov_b32_e32 v6, s10
	s_xor_b64 exec, exec, s[6:7]
	s_cbranch_execnz .LBB58_2472
.LBB58_422:
	s_or_b64 exec, exec, s[6:7]
	s_and_saveexec_b64 s[6:7], s[4:5]
	s_cbranch_execz .LBB58_424
.LBB58_423:
	v_and_b32_e32 v6, 7, v3
	v_ffbh_u32_e32 v11, v6
	v_min_u32_e32 v11, 32, v11
	v_lshrrev_b16_e32 v10, 3, v3
	v_subrev_u32_e32 v12, 28, v11
	v_and_b32_e32 v10, 15, v10
	v_lshlrev_b32_e32 v12, v12, v3
	v_sub_u32_e32 v11, 29, v11
	v_and_b32_e32 v12, 7, v12
	v_cmp_eq_u16_e32 vcc, 0, v10
	v_cndmask_b32_e32 v6, v6, v12, vcc
	v_cndmask_b32_e32 v10, v10, v11, vcc
	v_lshlrev_b32_e32 v11, 24, v3
	v_mov_b32_e32 v12, 0x3b800000
	v_lshlrev_b32_e32 v6, 20, v6
	v_and_b32_e32 v11, 0x80000000, v11
	v_lshl_add_u32 v10, v10, 23, v12
	v_or3_b32 v6, v11, v10, v6
.LBB58_424:
	s_or_b64 exec, exec, s[6:7]
	s_nop 0
	v_mfma_f32_16x16x4f32 a[0:3], v2, v6, a[0:3]
	v_lshrrev_b32_e32 v6, 8, v7
	s_movk_i32 s4, 0x7f
	v_cmp_gt_i16_sdwa s[6:7], v6, s4 src0_sel:BYTE_0 src1_sel:DWORD
	s_mov_b64 s[4:5], 0
                                        ; implicit-def: $sgpr10
	s_and_saveexec_b64 s[8:9], s[6:7]
	s_xor_b64 s[6:7], exec, s[8:9]
	s_cbranch_execnz .LBB58_2473
; %bb.425:
	s_or_saveexec_b64 s[6:7], s[6:7]
	v_mov_b32_e32 v2, s10
	s_xor_b64 exec, exec, s[6:7]
	s_cbranch_execnz .LBB58_2476
.LBB58_426:
	s_or_b64 exec, exec, s[6:7]
	s_and_saveexec_b64 s[6:7], s[4:5]
	s_cbranch_execz .LBB58_428
.LBB58_427:
	v_bfe_u32 v2, v7, 8, 3
	v_ffbh_u32_e32 v11, v2
	v_min_u32_e32 v11, 32, v11
	v_lshrrev_b16_e32 v10, 3, v6
	v_subrev_u32_e32 v12, 28, v11
	v_and_b32_e32 v10, 15, v10
	v_lshlrev_b32_e32 v6, v12, v6
	v_sub_u32_e32 v11, 29, v11
	v_and_b32_e32 v6, 7, v6
	v_cmp_eq_u16_e32 vcc, 0, v10
	v_cndmask_b32_e32 v2, v2, v6, vcc
	v_cndmask_b32_e32 v6, v10, v11, vcc
	v_lshlrev_b32_e32 v10, 16, v7
	v_mov_b32_e32 v11, 0x3b800000
	v_lshlrev_b32_e32 v2, 20, v2
	v_and_b32_e32 v10, 0x80000000, v10
	v_lshl_add_u32 v6, v6, 23, v11
	v_or3_b32 v2, v10, v6, v2
.LBB58_428:
	s_or_b64 exec, exec, s[6:7]
	v_lshrrev_b32_e32 v6, 8, v3
	s_movk_i32 s4, 0x7f
	v_cmp_gt_i16_sdwa s[6:7], v6, s4 src0_sel:BYTE_0 src1_sel:DWORD
	s_mov_b64 s[4:5], 0
                                        ; implicit-def: $sgpr10
	s_and_saveexec_b64 s[8:9], s[6:7]
	s_xor_b64 s[6:7], exec, s[8:9]
	s_cbranch_execnz .LBB58_2477
; %bb.429:
	s_or_saveexec_b64 s[6:7], s[6:7]
	v_mov_b32_e32 v10, s10
	s_xor_b64 exec, exec, s[6:7]
	s_cbranch_execnz .LBB58_2480
.LBB58_430:
	s_or_b64 exec, exec, s[6:7]
	s_and_saveexec_b64 s[6:7], s[4:5]
	s_cbranch_execz .LBB58_432
.LBB58_431:
	v_bfe_u32 v10, v3, 8, 3
	v_ffbh_u32_e32 v12, v10
	v_min_u32_e32 v12, 32, v12
	v_lshrrev_b16_e32 v11, 3, v6
	v_subrev_u32_e32 v13, 28, v12
	v_and_b32_e32 v11, 15, v11
	v_lshlrev_b32_e32 v6, v13, v6
	v_sub_u32_e32 v12, 29, v12
	v_and_b32_e32 v6, 7, v6
	v_cmp_eq_u16_e32 vcc, 0, v11
	v_cndmask_b32_e32 v6, v10, v6, vcc
	v_cndmask_b32_e32 v10, v11, v12, vcc
	v_lshlrev_b32_e32 v11, 16, v3
	v_mov_b32_e32 v12, 0x3b800000
	v_lshlrev_b32_e32 v6, 20, v6
	v_and_b32_e32 v11, 0x80000000, v11
	v_lshl_add_u32 v10, v10, 23, v12
	v_or3_b32 v10, v11, v10, v6
.LBB58_432:
	s_or_b64 exec, exec, s[6:7]
	s_nop 0
	v_mfma_f32_16x16x4f32 a[0:3], v2, v10, a[0:3]
	s_movk_i32 s4, 0xff
	v_and_b32_sdwa v6, v7, s4 dst_sel:DWORD dst_unused:UNUSED_PAD src0_sel:WORD_1 src1_sel:DWORD
	s_movk_i32 s4, 0x7f
	v_cmp_lt_i16_e32 vcc, s4, v6
	s_mov_b64 s[4:5], 0
                                        ; implicit-def: $sgpr10
	s_and_saveexec_b64 s[6:7], vcc
	s_xor_b64 s[6:7], exec, s[6:7]
	s_cbranch_execnz .LBB58_2481
; %bb.433:
	s_or_saveexec_b64 s[6:7], s[6:7]
	v_mov_b32_e32 v2, s10
	s_xor_b64 exec, exec, s[6:7]
	s_cbranch_execnz .LBB58_2484
.LBB58_434:
	s_or_b64 exec, exec, s[6:7]
	s_and_saveexec_b64 s[6:7], s[4:5]
	s_cbranch_execz .LBB58_436
.LBB58_435:
	v_bfe_u32 v2, v7, 16, 3
	v_ffbh_u32_e32 v11, v2
	v_min_u32_e32 v11, 32, v11
	v_lshrrev_b32_e32 v6, 19, v7
	v_subrev_u32_e32 v12, 28, v11
	v_and_b32_e32 v6, 15, v6
	v_lshlrev_b32_sdwa v12, v12, v7 dst_sel:DWORD dst_unused:UNUSED_PAD src0_sel:DWORD src1_sel:WORD_1
	v_bfe_u32 v10, v7, 19, 4
	v_sub_u32_e32 v11, 29, v11
	v_and_b32_e32 v12, 7, v12
	v_cmp_eq_u16_e32 vcc, 0, v6
	v_cndmask_b32_e32 v2, v2, v12, vcc
	v_cndmask_b32_e32 v6, v10, v11, vcc
	v_lshlrev_b32_e32 v10, 8, v7
	v_mov_b32_e32 v11, 0x3b800000
	v_lshlrev_b32_e32 v2, 20, v2
	v_and_b32_e32 v10, 0x80000000, v10
	v_lshl_add_u32 v6, v6, 23, v11
	v_or3_b32 v2, v10, v6, v2
.LBB58_436:
	s_or_b64 exec, exec, s[6:7]
	s_movk_i32 s4, 0xff
	v_and_b32_sdwa v6, v3, s4 dst_sel:DWORD dst_unused:UNUSED_PAD src0_sel:WORD_1 src1_sel:DWORD
	s_movk_i32 s4, 0x7f
	v_cmp_lt_i16_e32 vcc, s4, v6
	s_mov_b64 s[4:5], 0
                                        ; implicit-def: $sgpr10
	s_and_saveexec_b64 s[6:7], vcc
	s_xor_b64 s[6:7], exec, s[6:7]
	s_cbranch_execnz .LBB58_2485
; %bb.437:
	s_or_saveexec_b64 s[6:7], s[6:7]
	v_mov_b32_e32 v10, s10
	s_xor_b64 exec, exec, s[6:7]
	s_cbranch_execnz .LBB58_2488
.LBB58_438:
	s_or_b64 exec, exec, s[6:7]
	s_and_saveexec_b64 s[6:7], s[4:5]
	s_cbranch_execz .LBB58_440
.LBB58_439:
	v_bfe_u32 v6, v3, 16, 3
	v_ffbh_u32_e32 v12, v6
	v_min_u32_e32 v12, 32, v12
	v_lshrrev_b32_e32 v10, 19, v3
	v_subrev_u32_e32 v13, 28, v12
	v_and_b32_e32 v10, 15, v10
	v_lshlrev_b32_sdwa v13, v13, v3 dst_sel:DWORD dst_unused:UNUSED_PAD src0_sel:DWORD src1_sel:WORD_1
	v_bfe_u32 v11, v3, 19, 4
	v_sub_u32_e32 v12, 29, v12
	v_and_b32_e32 v13, 7, v13
	v_cmp_eq_u16_e32 vcc, 0, v10
	v_cndmask_b32_e32 v6, v6, v13, vcc
	v_cndmask_b32_e32 v10, v11, v12, vcc
	v_lshlrev_b32_e32 v11, 8, v3
	v_mov_b32_e32 v12, 0x3b800000
	v_lshlrev_b32_e32 v6, 20, v6
	v_and_b32_e32 v11, 0x80000000, v11
	v_lshl_add_u32 v10, v10, 23, v12
	v_or3_b32 v10, v11, v10, v6
.LBB58_440:
	s_or_b64 exec, exec, s[6:7]
	s_nop 0
	v_mfma_f32_16x16x4f32 a[0:3], v2, v10, a[0:3]
	s_movk_i32 s4, 0x7f
	v_cmp_gt_i16_sdwa s[6:7], v7, s4 src0_sel:BYTE_3 src1_sel:DWORD
	s_mov_b64 s[4:5], 0
                                        ; implicit-def: $sgpr10
	s_and_saveexec_b64 s[8:9], s[6:7]
	s_xor_b64 s[6:7], exec, s[8:9]
	s_cbranch_execnz .LBB58_2489
; %bb.441:
	s_or_saveexec_b64 s[6:7], s[6:7]
	v_mov_b32_e32 v2, s10
	s_xor_b64 exec, exec, s[6:7]
	s_cbranch_execnz .LBB58_2492
.LBB58_442:
	s_or_b64 exec, exec, s[6:7]
	s_and_saveexec_b64 s[6:7], s[4:5]
	s_cbranch_execz .LBB58_444
.LBB58_443:
	v_bfe_u32 v2, v7, 24, 3
	v_ffbh_u32_e32 v12, v2
	v_min_u32_e32 v12, 32, v12
	v_lshrrev_b32_e32 v10, 27, v7
	v_subrev_u32_e32 v13, 28, v12
	v_and_b32_e32 v6, 0x80000000, v7
	v_and_b32_e32 v10, 15, v10
	v_bfe_u32 v11, v7, 27, 4
	v_lshlrev_b32_sdwa v7, v13, v7 dst_sel:DWORD dst_unused:UNUSED_PAD src0_sel:DWORD src1_sel:BYTE_3
	v_sub_u32_e32 v12, 29, v12
	v_and_b32_e32 v7, 7, v7
	v_cmp_eq_u16_e32 vcc, 0, v10
	v_cndmask_b32_e32 v2, v2, v7, vcc
	v_cndmask_b32_e32 v7, v11, v12, vcc
	v_mov_b32_e32 v10, 0x3b800000
	v_lshlrev_b32_e32 v2, 20, v2
	v_lshl_add_u32 v7, v7, 23, v10
	v_or3_b32 v2, v6, v7, v2
.LBB58_444:
	s_or_b64 exec, exec, s[6:7]
	s_movk_i32 s4, 0x7f
	v_cmp_gt_i16_sdwa s[6:7], v3, s4 src0_sel:BYTE_3 src1_sel:DWORD
	s_mov_b64 s[4:5], 0
                                        ; implicit-def: $sgpr10
	s_and_saveexec_b64 s[8:9], s[6:7]
	s_xor_b64 s[6:7], exec, s[8:9]
	s_cbranch_execnz .LBB58_2493
; %bb.445:
	s_or_saveexec_b64 s[6:7], s[6:7]
	v_mov_b32_e32 v6, s10
	s_xor_b64 exec, exec, s[6:7]
	s_cbranch_execnz .LBB58_2496
.LBB58_446:
	s_or_b64 exec, exec, s[6:7]
	s_and_saveexec_b64 s[6:7], s[4:5]
	s_cbranch_execz .LBB58_448
.LBB58_447:
	v_bfe_u32 v6, v3, 24, 3
	v_ffbh_u32_e32 v12, v6
	v_min_u32_e32 v12, 32, v12
	v_lshrrev_b32_e32 v10, 27, v3
	v_subrev_u32_e32 v13, 28, v12
	v_and_b32_e32 v7, 0x80000000, v3
	v_and_b32_e32 v10, 15, v10
	v_bfe_u32 v11, v3, 27, 4
	v_lshlrev_b32_sdwa v3, v13, v3 dst_sel:DWORD dst_unused:UNUSED_PAD src0_sel:DWORD src1_sel:BYTE_3
	v_sub_u32_e32 v12, 29, v12
	v_and_b32_e32 v3, 7, v3
	v_cmp_eq_u16_e32 vcc, 0, v10
	v_cndmask_b32_e32 v3, v6, v3, vcc
	v_cndmask_b32_e32 v6, v11, v12, vcc
	v_mov_b32_e32 v10, 0x3b800000
	v_lshlrev_b32_e32 v3, 20, v3
	v_lshl_add_u32 v6, v6, 23, v10
	v_or3_b32 v6, v7, v6, v3
.LBB58_448:
	s_or_b64 exec, exec, s[6:7]
	s_nop 0
	v_mfma_f32_16x16x4f32 a[0:3], v2, v6, a[0:3]
	s_movk_i32 s4, 0x7f
	v_cmp_gt_i16_sdwa s[6:7], v8, s4 src0_sel:BYTE_0 src1_sel:DWORD
	s_mov_b64 s[4:5], 0
                                        ; implicit-def: $sgpr10
	s_and_saveexec_b64 s[8:9], s[6:7]
	s_xor_b64 s[6:7], exec, s[8:9]
	s_cbranch_execnz .LBB58_2497
; %bb.449:
	s_or_saveexec_b64 s[6:7], s[6:7]
	v_mov_b32_e32 v2, s10
	s_xor_b64 exec, exec, s[6:7]
	s_cbranch_execnz .LBB58_2500
.LBB58_450:
	s_or_b64 exec, exec, s[6:7]
	s_and_saveexec_b64 s[6:7], s[4:5]
	s_cbranch_execz .LBB58_452
.LBB58_451:
	v_and_b32_e32 v2, 7, v8
	v_ffbh_u32_e32 v6, v2
	v_min_u32_e32 v6, 32, v6
	v_lshrrev_b16_e32 v3, 3, v8
	v_subrev_u32_e32 v7, 28, v6
	v_and_b32_e32 v3, 15, v3
	v_lshlrev_b32_e32 v7, v7, v8
	v_sub_u32_e32 v6, 29, v6
	v_and_b32_e32 v7, 7, v7
	v_cmp_eq_u16_e32 vcc, 0, v3
	v_cndmask_b32_e32 v2, v2, v7, vcc
	v_cndmask_b32_e32 v3, v3, v6, vcc
	v_lshlrev_b32_e32 v6, 24, v8
	v_mov_b32_e32 v7, 0x3b800000
	v_lshlrev_b32_e32 v2, 20, v2
	v_and_b32_e32 v6, 0x80000000, v6
	v_lshl_add_u32 v3, v3, 23, v7
	v_or3_b32 v2, v6, v3, v2
.LBB58_452:
	s_or_b64 exec, exec, s[6:7]
	s_movk_i32 s4, 0x7f
	v_cmp_gt_i16_sdwa s[6:7], v4, s4 src0_sel:BYTE_0 src1_sel:DWORD
	s_mov_b64 s[4:5], 0
                                        ; implicit-def: $sgpr10
	s_and_saveexec_b64 s[8:9], s[6:7]
	s_xor_b64 s[6:7], exec, s[8:9]
	s_cbranch_execnz .LBB58_2501
; %bb.453:
	s_or_saveexec_b64 s[6:7], s[6:7]
	v_mov_b32_e32 v3, s10
	s_xor_b64 exec, exec, s[6:7]
	s_cbranch_execnz .LBB58_2504
.LBB58_454:
	s_or_b64 exec, exec, s[6:7]
	s_and_saveexec_b64 s[6:7], s[4:5]
	s_cbranch_execz .LBB58_456
.LBB58_455:
	v_and_b32_e32 v3, 7, v4
	v_ffbh_u32_e32 v7, v3
	v_min_u32_e32 v7, 32, v7
	v_lshrrev_b16_e32 v6, 3, v4
	v_subrev_u32_e32 v10, 28, v7
	v_and_b32_e32 v6, 15, v6
	v_lshlrev_b32_e32 v10, v10, v4
	v_sub_u32_e32 v7, 29, v7
	v_and_b32_e32 v10, 7, v10
	v_cmp_eq_u16_e32 vcc, 0, v6
	v_cndmask_b32_e32 v3, v3, v10, vcc
	v_cndmask_b32_e32 v6, v6, v7, vcc
	v_lshlrev_b32_e32 v7, 24, v4
	v_mov_b32_e32 v10, 0x3b800000
	v_lshlrev_b32_e32 v3, 20, v3
	v_and_b32_e32 v7, 0x80000000, v7
	v_lshl_add_u32 v6, v6, 23, v10
	v_or3_b32 v3, v7, v6, v3
.LBB58_456:
	s_or_b64 exec, exec, s[6:7]
	s_nop 0
	v_mfma_f32_16x16x4f32 a[0:3], v2, v3, a[0:3]
	v_lshrrev_b32_e32 v3, 8, v8
	s_movk_i32 s4, 0x7f
	v_cmp_gt_i16_sdwa s[6:7], v3, s4 src0_sel:BYTE_0 src1_sel:DWORD
	s_mov_b64 s[4:5], 0
                                        ; implicit-def: $sgpr10
	s_and_saveexec_b64 s[8:9], s[6:7]
	s_xor_b64 s[6:7], exec, s[8:9]
	s_cbranch_execnz .LBB58_2505
; %bb.457:
	s_or_saveexec_b64 s[6:7], s[6:7]
	v_mov_b32_e32 v2, s10
	s_xor_b64 exec, exec, s[6:7]
	s_cbranch_execnz .LBB58_2508
.LBB58_458:
	s_or_b64 exec, exec, s[6:7]
	s_and_saveexec_b64 s[6:7], s[4:5]
	s_cbranch_execz .LBB58_460
.LBB58_459:
	v_bfe_u32 v2, v8, 8, 3
	v_ffbh_u32_e32 v7, v2
	v_min_u32_e32 v7, 32, v7
	v_lshrrev_b16_e32 v6, 3, v3
	v_subrev_u32_e32 v10, 28, v7
	v_and_b32_e32 v6, 15, v6
	v_lshlrev_b32_e32 v3, v10, v3
	v_sub_u32_e32 v7, 29, v7
	v_and_b32_e32 v3, 7, v3
	v_cmp_eq_u16_e32 vcc, 0, v6
	v_cndmask_b32_e32 v2, v2, v3, vcc
	v_cndmask_b32_e32 v3, v6, v7, vcc
	v_lshlrev_b32_e32 v6, 16, v8
	v_mov_b32_e32 v7, 0x3b800000
	v_lshlrev_b32_e32 v2, 20, v2
	v_and_b32_e32 v6, 0x80000000, v6
	v_lshl_add_u32 v3, v3, 23, v7
	v_or3_b32 v2, v6, v3, v2
.LBB58_460:
	s_or_b64 exec, exec, s[6:7]
	v_lshrrev_b32_e32 v3, 8, v4
	s_movk_i32 s4, 0x7f
	v_cmp_gt_i16_sdwa s[6:7], v3, s4 src0_sel:BYTE_0 src1_sel:DWORD
	s_mov_b64 s[4:5], 0
                                        ; implicit-def: $sgpr10
	s_and_saveexec_b64 s[8:9], s[6:7]
	s_xor_b64 s[6:7], exec, s[8:9]
	s_cbranch_execnz .LBB58_2509
; %bb.461:
	s_or_saveexec_b64 s[6:7], s[6:7]
	v_mov_b32_e32 v6, s10
	s_xor_b64 exec, exec, s[6:7]
	s_cbranch_execnz .LBB58_2512
.LBB58_462:
	s_or_b64 exec, exec, s[6:7]
	s_and_saveexec_b64 s[6:7], s[4:5]
	s_cbranch_execz .LBB58_464
.LBB58_463:
	v_bfe_u32 v6, v4, 8, 3
	v_ffbh_u32_e32 v10, v6
	v_min_u32_e32 v10, 32, v10
	v_lshrrev_b16_e32 v7, 3, v3
	v_subrev_u32_e32 v11, 28, v10
	v_and_b32_e32 v7, 15, v7
	v_lshlrev_b32_e32 v3, v11, v3
	v_sub_u32_e32 v10, 29, v10
	v_and_b32_e32 v3, 7, v3
	v_cmp_eq_u16_e32 vcc, 0, v7
	v_cndmask_b32_e32 v3, v6, v3, vcc
	v_cndmask_b32_e32 v6, v7, v10, vcc
	v_lshlrev_b32_e32 v7, 16, v4
	v_mov_b32_e32 v10, 0x3b800000
	v_lshlrev_b32_e32 v3, 20, v3
	v_and_b32_e32 v7, 0x80000000, v7
	v_lshl_add_u32 v6, v6, 23, v10
	v_or3_b32 v6, v7, v6, v3
.LBB58_464:
	s_or_b64 exec, exec, s[6:7]
	s_nop 0
	v_mfma_f32_16x16x4f32 a[0:3], v2, v6, a[0:3]
	s_movk_i32 s4, 0xff
	v_and_b32_sdwa v3, v8, s4 dst_sel:DWORD dst_unused:UNUSED_PAD src0_sel:WORD_1 src1_sel:DWORD
	s_movk_i32 s4, 0x7f
	v_cmp_lt_i16_e32 vcc, s4, v3
	s_mov_b64 s[4:5], 0
                                        ; implicit-def: $sgpr10
	s_and_saveexec_b64 s[6:7], vcc
	s_xor_b64 s[6:7], exec, s[6:7]
	s_cbranch_execnz .LBB58_2513
; %bb.465:
	s_or_saveexec_b64 s[6:7], s[6:7]
	v_mov_b32_e32 v2, s10
	s_xor_b64 exec, exec, s[6:7]
	s_cbranch_execnz .LBB58_2516
.LBB58_466:
	s_or_b64 exec, exec, s[6:7]
	s_and_saveexec_b64 s[6:7], s[4:5]
	s_cbranch_execz .LBB58_468
.LBB58_467:
	v_bfe_u32 v2, v8, 16, 3
	v_ffbh_u32_e32 v7, v2
	v_min_u32_e32 v7, 32, v7
	v_lshrrev_b32_e32 v3, 19, v8
	v_subrev_u32_e32 v10, 28, v7
	v_and_b32_e32 v3, 15, v3
	v_lshlrev_b32_sdwa v10, v10, v8 dst_sel:DWORD dst_unused:UNUSED_PAD src0_sel:DWORD src1_sel:WORD_1
	v_bfe_u32 v6, v8, 19, 4
	v_sub_u32_e32 v7, 29, v7
	v_and_b32_e32 v10, 7, v10
	v_cmp_eq_u16_e32 vcc, 0, v3
	v_cndmask_b32_e32 v2, v2, v10, vcc
	v_cndmask_b32_e32 v3, v6, v7, vcc
	v_lshlrev_b32_e32 v6, 8, v8
	v_mov_b32_e32 v7, 0x3b800000
	v_lshlrev_b32_e32 v2, 20, v2
	v_and_b32_e32 v6, 0x80000000, v6
	v_lshl_add_u32 v3, v3, 23, v7
	v_or3_b32 v2, v6, v3, v2
.LBB58_468:
	s_or_b64 exec, exec, s[6:7]
	s_movk_i32 s4, 0xff
	v_and_b32_sdwa v3, v4, s4 dst_sel:DWORD dst_unused:UNUSED_PAD src0_sel:WORD_1 src1_sel:DWORD
	s_movk_i32 s4, 0x7f
	v_cmp_lt_i16_e32 vcc, s4, v3
	s_mov_b64 s[4:5], 0
                                        ; implicit-def: $sgpr10
	s_and_saveexec_b64 s[6:7], vcc
	s_xor_b64 s[6:7], exec, s[6:7]
	s_cbranch_execnz .LBB58_2517
; %bb.469:
	s_or_saveexec_b64 s[6:7], s[6:7]
	v_mov_b32_e32 v6, s10
	s_xor_b64 exec, exec, s[6:7]
	s_cbranch_execnz .LBB58_2520
.LBB58_470:
	s_or_b64 exec, exec, s[6:7]
	s_and_saveexec_b64 s[6:7], s[4:5]
	s_cbranch_execz .LBB58_472
.LBB58_471:
	v_bfe_u32 v3, v4, 16, 3
	v_ffbh_u32_e32 v10, v3
	v_min_u32_e32 v10, 32, v10
	v_lshrrev_b32_e32 v6, 19, v4
	v_subrev_u32_e32 v11, 28, v10
	v_and_b32_e32 v6, 15, v6
	v_lshlrev_b32_sdwa v11, v11, v4 dst_sel:DWORD dst_unused:UNUSED_PAD src0_sel:DWORD src1_sel:WORD_1
	v_bfe_u32 v7, v4, 19, 4
	v_sub_u32_e32 v10, 29, v10
	v_and_b32_e32 v11, 7, v11
	v_cmp_eq_u16_e32 vcc, 0, v6
	v_cndmask_b32_e32 v3, v3, v11, vcc
	v_cndmask_b32_e32 v6, v7, v10, vcc
	v_lshlrev_b32_e32 v7, 8, v4
	v_mov_b32_e32 v10, 0x3b800000
	v_lshlrev_b32_e32 v3, 20, v3
	v_and_b32_e32 v7, 0x80000000, v7
	v_lshl_add_u32 v6, v6, 23, v10
	v_or3_b32 v6, v7, v6, v3
.LBB58_472:
	s_or_b64 exec, exec, s[6:7]
	s_nop 0
	v_mfma_f32_16x16x4f32 a[0:3], v2, v6, a[0:3]
	s_movk_i32 s4, 0x7f
	v_cmp_gt_i16_sdwa s[6:7], v8, s4 src0_sel:BYTE_3 src1_sel:DWORD
	s_mov_b64 s[4:5], 0
                                        ; implicit-def: $sgpr10
	s_and_saveexec_b64 s[8:9], s[6:7]
	s_xor_b64 s[6:7], exec, s[8:9]
	s_cbranch_execnz .LBB58_2521
; %bb.473:
	s_or_saveexec_b64 s[6:7], s[6:7]
	v_mov_b32_e32 v2, s10
	s_xor_b64 exec, exec, s[6:7]
	s_cbranch_execnz .LBB58_2524
.LBB58_474:
	s_or_b64 exec, exec, s[6:7]
	s_and_saveexec_b64 s[6:7], s[4:5]
	s_cbranch_execz .LBB58_476
.LBB58_475:
	v_bfe_u32 v2, v8, 24, 3
	v_ffbh_u32_e32 v10, v2
	v_min_u32_e32 v10, 32, v10
	v_lshrrev_b32_e32 v6, 27, v8
	v_subrev_u32_e32 v11, 28, v10
	v_and_b32_e32 v3, 0x80000000, v8
	v_and_b32_e32 v6, 15, v6
	v_bfe_u32 v7, v8, 27, 4
	v_lshlrev_b32_sdwa v8, v11, v8 dst_sel:DWORD dst_unused:UNUSED_PAD src0_sel:DWORD src1_sel:BYTE_3
	v_sub_u32_e32 v10, 29, v10
	v_and_b32_e32 v8, 7, v8
	v_cmp_eq_u16_e32 vcc, 0, v6
	v_cndmask_b32_e32 v2, v2, v8, vcc
	v_cndmask_b32_e32 v6, v7, v10, vcc
	v_mov_b32_e32 v7, 0x3b800000
	v_lshlrev_b32_e32 v2, 20, v2
	v_lshl_add_u32 v6, v6, 23, v7
	v_or3_b32 v2, v3, v6, v2
.LBB58_476:
	s_or_b64 exec, exec, s[6:7]
	s_movk_i32 s4, 0x7f
	v_cmp_gt_i16_sdwa s[6:7], v4, s4 src0_sel:BYTE_3 src1_sel:DWORD
	s_mov_b64 s[4:5], 0
                                        ; implicit-def: $sgpr10
	s_and_saveexec_b64 s[8:9], s[6:7]
	s_xor_b64 s[6:7], exec, s[8:9]
	s_cbranch_execnz .LBB58_2525
; %bb.477:
	s_or_saveexec_b64 s[6:7], s[6:7]
	v_mov_b32_e32 v3, s10
	s_xor_b64 exec, exec, s[6:7]
	s_cbranch_execnz .LBB58_2528
.LBB58_478:
	s_or_b64 exec, exec, s[6:7]
	s_and_saveexec_b64 s[6:7], s[4:5]
	s_cbranch_execz .LBB58_480
.LBB58_479:
	v_bfe_u32 v3, v4, 24, 3
	v_ffbh_u32_e32 v10, v3
	v_min_u32_e32 v10, 32, v10
	v_lshrrev_b32_e32 v7, 27, v4
	v_subrev_u32_e32 v11, 28, v10
	v_and_b32_e32 v6, 0x80000000, v4
	v_and_b32_e32 v7, 15, v7
	v_bfe_u32 v8, v4, 27, 4
	v_lshlrev_b32_sdwa v4, v11, v4 dst_sel:DWORD dst_unused:UNUSED_PAD src0_sel:DWORD src1_sel:BYTE_3
	v_sub_u32_e32 v10, 29, v10
	v_and_b32_e32 v4, 7, v4
	v_cmp_eq_u16_e32 vcc, 0, v7
	v_cndmask_b32_e32 v3, v3, v4, vcc
	v_cndmask_b32_e32 v4, v8, v10, vcc
	v_mov_b32_e32 v7, 0x3b800000
	v_lshlrev_b32_e32 v3, 20, v3
	v_lshl_add_u32 v4, v4, 23, v7
	v_or3_b32 v3, v6, v4, v3
.LBB58_480:
	s_or_b64 exec, exec, s[6:7]
	s_nop 0
	v_mfma_f32_16x16x4f32 a[0:3], v2, v3, a[0:3]
	s_movk_i32 s4, 0x7f
	v_cmp_gt_i16_sdwa s[6:7], v9, s4 src0_sel:BYTE_0 src1_sel:DWORD
	s_mov_b64 s[4:5], 0
                                        ; implicit-def: $sgpr10
	s_and_saveexec_b64 s[8:9], s[6:7]
	s_xor_b64 s[6:7], exec, s[8:9]
	s_cbranch_execnz .LBB58_2529
; %bb.481:
	s_or_saveexec_b64 s[6:7], s[6:7]
	v_mov_b32_e32 v2, s10
	s_xor_b64 exec, exec, s[6:7]
	s_cbranch_execnz .LBB58_2532
.LBB58_482:
	s_or_b64 exec, exec, s[6:7]
	s_and_saveexec_b64 s[6:7], s[4:5]
	s_cbranch_execz .LBB58_484
.LBB58_483:
	v_mov_b32_e32 v2, 8
	v_and_b32_e32 v3, 7, v9
	v_lshrrev_b32_sdwa v2, v2, v9 dst_sel:BYTE_1 dst_unused:UNUSED_PAD src0_sel:DWORD src1_sel:DWORD
	v_ffbh_u32_e32 v4, v3
	v_or_b32_sdwa v2, v9, v2 dst_sel:DWORD dst_unused:UNUSED_PAD src0_sel:BYTE_0 src1_sel:DWORD
	v_min_u32_e32 v4, 32, v4
	v_lshrrev_b16_e32 v2, 3, v2
	v_subrev_u32_e32 v6, 28, v4
	v_and_b32_e32 v2, 15, v2
	v_lshlrev_b32_e32 v6, v6, v9
	v_sub_u32_e32 v4, 29, v4
	v_and_b32_e32 v6, 7, v6
	v_cmp_eq_u16_e32 vcc, 0, v2
	v_cndmask_b32_e32 v3, v3, v6, vcc
	v_cndmask_b32_e32 v2, v2, v4, vcc
	v_lshlrev_b32_e32 v4, 24, v9
	v_mov_b32_e32 v6, 0x3b800000
	v_lshlrev_b32_e32 v3, 20, v3
	v_and_b32_e32 v4, 0x80000000, v4
	v_lshl_add_u32 v2, v2, 23, v6
	v_or3_b32 v2, v4, v2, v3
.LBB58_484:
	s_or_b64 exec, exec, s[6:7]
	s_movk_i32 s4, 0x7f
	v_cmp_gt_i16_sdwa s[6:7], v5, s4 src0_sel:BYTE_0 src1_sel:DWORD
	s_mov_b64 s[4:5], 0
                                        ; implicit-def: $sgpr10
	s_and_saveexec_b64 s[8:9], s[6:7]
	s_xor_b64 s[6:7], exec, s[8:9]
	s_cbranch_execnz .LBB58_2533
; %bb.485:
	s_or_saveexec_b64 s[6:7], s[6:7]
	v_mov_b32_e32 v3, s10
	s_xor_b64 exec, exec, s[6:7]
	s_cbranch_execnz .LBB58_2536
.LBB58_486:
	s_or_b64 exec, exec, s[6:7]
	s_and_saveexec_b64 s[6:7], s[4:5]
	s_cbranch_execz .LBB58_488
.LBB58_487:
	v_mov_b32_e32 v3, 8
	v_and_b32_e32 v4, 7, v5
	v_lshrrev_b32_sdwa v3, v3, v5 dst_sel:BYTE_1 dst_unused:UNUSED_PAD src0_sel:DWORD src1_sel:DWORD
	v_ffbh_u32_e32 v6, v4
	v_or_b32_sdwa v3, v5, v3 dst_sel:DWORD dst_unused:UNUSED_PAD src0_sel:BYTE_0 src1_sel:DWORD
	v_min_u32_e32 v6, 32, v6
	v_lshrrev_b16_e32 v3, 3, v3
	v_subrev_u32_e32 v7, 28, v6
	v_and_b32_e32 v3, 15, v3
	v_lshlrev_b32_e32 v7, v7, v5
	v_sub_u32_e32 v6, 29, v6
	v_and_b32_e32 v7, 7, v7
	v_cmp_eq_u16_e32 vcc, 0, v3
	v_cndmask_b32_e32 v4, v4, v7, vcc
	v_cndmask_b32_e32 v3, v3, v6, vcc
	v_lshlrev_b32_e32 v6, 24, v5
	v_mov_b32_e32 v7, 0x3b800000
	v_lshlrev_b32_e32 v4, 20, v4
	v_and_b32_e32 v6, 0x80000000, v6
	v_lshl_add_u32 v3, v3, 23, v7
	v_or3_b32 v3, v6, v3, v4
.LBB58_488:
	s_or_b64 exec, exec, s[6:7]
	s_nop 0
	v_mfma_f32_16x16x4f32 a[0:3], v2, v3, a[0:3]
	v_lshrrev_b32_e32 v3, 8, v9
	s_movk_i32 s4, 0x7f
	v_cmp_gt_i16_sdwa s[6:7], v3, s4 src0_sel:BYTE_0 src1_sel:DWORD
	s_mov_b64 s[4:5], 0
                                        ; implicit-def: $sgpr10
	s_and_saveexec_b64 s[8:9], s[6:7]
	s_xor_b64 s[6:7], exec, s[8:9]
	s_cbranch_execnz .LBB58_2537
; %bb.489:
	s_or_saveexec_b64 s[6:7], s[6:7]
	v_mov_b32_e32 v2, s10
	s_xor_b64 exec, exec, s[6:7]
	s_cbranch_execnz .LBB58_2540
.LBB58_490:
	s_or_b64 exec, exec, s[6:7]
	s_and_saveexec_b64 s[6:7], s[4:5]
	s_cbranch_execz .LBB58_492
.LBB58_491:
	v_bfe_u32 v2, v9, 8, 3
	v_ffbh_u32_e32 v6, v2
	v_min_u32_e32 v6, 32, v6
	v_lshrrev_b16_e32 v4, 3, v3
	v_subrev_u32_e32 v7, 28, v6
	v_and_b32_e32 v4, 15, v4
	v_lshlrev_b32_e32 v3, v7, v3
	v_sub_u32_e32 v6, 29, v6
	v_and_b32_e32 v3, 7, v3
	v_cmp_eq_u16_e32 vcc, 0, v4
	v_cndmask_b32_e32 v2, v2, v3, vcc
	v_cndmask_b32_e32 v3, v4, v6, vcc
	v_lshlrev_b32_e32 v4, 16, v9
	v_mov_b32_e32 v6, 0x3b800000
	v_lshlrev_b32_e32 v2, 20, v2
	v_and_b32_e32 v4, 0x80000000, v4
	v_lshl_add_u32 v3, v3, 23, v6
	v_or3_b32 v2, v4, v3, v2
.LBB58_492:
	s_or_b64 exec, exec, s[6:7]
	v_lshrrev_b32_e32 v3, 8, v5
	s_movk_i32 s4, 0x7f
	v_cmp_gt_i16_sdwa s[6:7], v3, s4 src0_sel:BYTE_0 src1_sel:DWORD
	s_mov_b64 s[4:5], 0
                                        ; implicit-def: $sgpr10
	s_and_saveexec_b64 s[8:9], s[6:7]
	s_xor_b64 s[6:7], exec, s[8:9]
	s_cbranch_execnz .LBB58_2541
; %bb.493:
	s_or_saveexec_b64 s[6:7], s[6:7]
	v_mov_b32_e32 v4, s10
	s_xor_b64 exec, exec, s[6:7]
	s_cbranch_execnz .LBB58_2544
.LBB58_494:
	s_or_b64 exec, exec, s[6:7]
	s_and_saveexec_b64 s[6:7], s[4:5]
	s_cbranch_execz .LBB58_496
.LBB58_495:
	v_bfe_u32 v4, v5, 8, 3
	v_ffbh_u32_e32 v7, v4
	v_min_u32_e32 v7, 32, v7
	v_lshrrev_b16_e32 v6, 3, v3
	v_subrev_u32_e32 v8, 28, v7
	v_and_b32_e32 v6, 15, v6
	v_lshlrev_b32_e32 v3, v8, v3
	v_sub_u32_e32 v7, 29, v7
	v_and_b32_e32 v3, 7, v3
	v_cmp_eq_u16_e32 vcc, 0, v6
	v_cndmask_b32_e32 v3, v4, v3, vcc
	v_cndmask_b32_e32 v4, v6, v7, vcc
	v_lshlrev_b32_e32 v6, 16, v5
	v_mov_b32_e32 v7, 0x3b800000
	v_lshlrev_b32_e32 v3, 20, v3
	v_and_b32_e32 v6, 0x80000000, v6
	v_lshl_add_u32 v4, v4, 23, v7
	v_or3_b32 v4, v6, v4, v3
.LBB58_496:
	s_or_b64 exec, exec, s[6:7]
	s_nop 0
	v_mfma_f32_16x16x4f32 a[0:3], v2, v4, a[0:3]
	s_movk_i32 s4, 0xff
	v_and_b32_sdwa v3, v9, s4 dst_sel:DWORD dst_unused:UNUSED_PAD src0_sel:WORD_1 src1_sel:DWORD
	s_movk_i32 s4, 0x7f
	v_cmp_lt_i16_e32 vcc, s4, v3
	s_mov_b64 s[4:5], 0
                                        ; implicit-def: $sgpr10
	s_and_saveexec_b64 s[6:7], vcc
	s_xor_b64 s[6:7], exec, s[6:7]
	s_cbranch_execnz .LBB58_2545
; %bb.497:
	s_or_saveexec_b64 s[6:7], s[6:7]
	v_mov_b32_e32 v2, s10
	s_xor_b64 exec, exec, s[6:7]
	s_cbranch_execnz .LBB58_2548
.LBB58_498:
	s_or_b64 exec, exec, s[6:7]
	s_and_saveexec_b64 s[6:7], s[4:5]
	s_cbranch_execz .LBB58_500
.LBB58_499:
	v_bfe_u32 v2, v9, 16, 3
	v_ffbh_u32_e32 v6, v2
	v_min_u32_e32 v6, 32, v6
	v_lshrrev_b32_e32 v3, 19, v9
	v_subrev_u32_e32 v7, 28, v6
	v_and_b32_e32 v3, 15, v3
	v_lshlrev_b32_sdwa v7, v7, v9 dst_sel:DWORD dst_unused:UNUSED_PAD src0_sel:DWORD src1_sel:WORD_1
	v_bfe_u32 v4, v9, 19, 4
	v_sub_u32_e32 v6, 29, v6
	v_and_b32_e32 v7, 7, v7
	v_cmp_eq_u16_e32 vcc, 0, v3
	v_cndmask_b32_e32 v2, v2, v7, vcc
	v_cndmask_b32_e32 v3, v4, v6, vcc
	v_lshlrev_b32_e32 v4, 8, v9
	v_mov_b32_e32 v6, 0x3b800000
	v_lshlrev_b32_e32 v2, 20, v2
	v_and_b32_e32 v4, 0x80000000, v4
	v_lshl_add_u32 v3, v3, 23, v6
	v_or3_b32 v2, v4, v3, v2
.LBB58_500:
	s_or_b64 exec, exec, s[6:7]
	s_movk_i32 s4, 0xff
	v_and_b32_sdwa v3, v5, s4 dst_sel:DWORD dst_unused:UNUSED_PAD src0_sel:WORD_1 src1_sel:DWORD
	s_movk_i32 s4, 0x7f
	v_cmp_lt_i16_e32 vcc, s4, v3
	s_mov_b64 s[4:5], 0
                                        ; implicit-def: $sgpr10
	s_and_saveexec_b64 s[6:7], vcc
	s_xor_b64 s[6:7], exec, s[6:7]
	s_cbranch_execnz .LBB58_2549
; %bb.501:
	s_or_saveexec_b64 s[6:7], s[6:7]
	v_mov_b32_e32 v4, s10
	s_xor_b64 exec, exec, s[6:7]
	s_cbranch_execnz .LBB58_2552
.LBB58_502:
	s_or_b64 exec, exec, s[6:7]
	s_and_saveexec_b64 s[6:7], s[4:5]
	s_cbranch_execz .LBB58_504
.LBB58_503:
	v_bfe_u32 v3, v5, 16, 3
	v_ffbh_u32_e32 v7, v3
	v_min_u32_e32 v7, 32, v7
	v_lshrrev_b32_e32 v4, 19, v5
	v_subrev_u32_e32 v8, 28, v7
	v_and_b32_e32 v4, 15, v4
	v_lshlrev_b32_sdwa v8, v8, v5 dst_sel:DWORD dst_unused:UNUSED_PAD src0_sel:DWORD src1_sel:WORD_1
	v_bfe_u32 v6, v5, 19, 4
	v_sub_u32_e32 v7, 29, v7
	v_and_b32_e32 v8, 7, v8
	v_cmp_eq_u16_e32 vcc, 0, v4
	v_cndmask_b32_e32 v3, v3, v8, vcc
	v_cndmask_b32_e32 v4, v6, v7, vcc
	v_lshlrev_b32_e32 v6, 8, v5
	v_mov_b32_e32 v7, 0x3b800000
	v_lshlrev_b32_e32 v3, 20, v3
	v_and_b32_e32 v6, 0x80000000, v6
	v_lshl_add_u32 v4, v4, 23, v7
	v_or3_b32 v4, v6, v4, v3
.LBB58_504:
	s_or_b64 exec, exec, s[6:7]
	s_nop 0
	v_mfma_f32_16x16x4f32 a[0:3], v2, v4, a[0:3]
	s_movk_i32 s4, 0x7f
	v_cmp_gt_i16_sdwa s[6:7], v9, s4 src0_sel:BYTE_3 src1_sel:DWORD
	s_mov_b64 s[4:5], 0
                                        ; implicit-def: $sgpr10
	s_and_saveexec_b64 s[8:9], s[6:7]
	s_xor_b64 s[6:7], exec, s[8:9]
	s_cbranch_execnz .LBB58_2553
; %bb.505:
	s_or_saveexec_b64 s[6:7], s[6:7]
	v_mov_b32_e32 v2, s10
	s_xor_b64 exec, exec, s[6:7]
	s_cbranch_execnz .LBB58_2556
.LBB58_506:
	s_or_b64 exec, exec, s[6:7]
	s_and_saveexec_b64 s[6:7], s[4:5]
	s_cbranch_execz .LBB58_508
.LBB58_507:
	v_bfe_u32 v2, v9, 24, 3
	v_ffbh_u32_e32 v7, v2
	v_min_u32_e32 v7, 32, v7
	v_lshrrev_b32_e32 v4, 27, v9
	v_subrev_u32_e32 v8, 28, v7
	v_and_b32_e32 v4, 15, v4
	v_lshlrev_b32_sdwa v8, v8, v9 dst_sel:DWORD dst_unused:UNUSED_PAD src0_sel:DWORD src1_sel:BYTE_3
	v_bfe_u32 v6, v9, 27, 4
	v_sub_u32_e32 v7, 29, v7
	v_and_b32_e32 v8, 7, v8
	v_cmp_eq_u16_e32 vcc, 0, v4
	v_cndmask_b32_e32 v2, v2, v8, vcc
	v_cndmask_b32_e32 v4, v6, v7, vcc
	v_mov_b32_e32 v6, 0x3b800000
	v_and_b32_e32 v3, 0x80000000, v9
	v_lshlrev_b32_e32 v2, 20, v2
	v_lshl_add_u32 v4, v4, 23, v6
	v_or3_b32 v2, v3, v4, v2
.LBB58_508:
	s_or_b64 exec, exec, s[6:7]
	s_movk_i32 s4, 0x7f
	v_cmp_gt_i16_sdwa s[6:7], v5, s4 src0_sel:BYTE_3 src1_sel:DWORD
	s_mov_b64 s[4:5], 0
                                        ; implicit-def: $sgpr10
	s_and_saveexec_b64 s[8:9], s[6:7]
	s_xor_b64 s[6:7], exec, s[8:9]
	s_cbranch_execnz .LBB58_2557
; %bb.509:
	s_or_saveexec_b64 s[6:7], s[6:7]
	v_mov_b32_e32 v3, s10
	s_xor_b64 exec, exec, s[6:7]
	s_cbranch_execnz .LBB58_2560
.LBB58_510:
	s_or_b64 exec, exec, s[6:7]
	s_and_saveexec_b64 s[6:7], s[4:5]
	s_cbranch_execz .LBB58_512
.LBB58_511:
	v_bfe_u32 v3, v5, 24, 3
	v_ffbh_u32_e32 v8, v3
	v_min_u32_e32 v8, 32, v8
	v_lshrrev_b32_e32 v6, 27, v5
	v_subrev_u32_e32 v9, 28, v8
	v_and_b32_e32 v4, 0x80000000, v5
	v_and_b32_e32 v6, 15, v6
	v_bfe_u32 v7, v5, 27, 4
	v_lshlrev_b32_sdwa v5, v9, v5 dst_sel:DWORD dst_unused:UNUSED_PAD src0_sel:DWORD src1_sel:BYTE_3
	v_sub_u32_e32 v8, 29, v8
	v_and_b32_e32 v5, 7, v5
	v_cmp_eq_u16_e32 vcc, 0, v6
	v_cndmask_b32_e32 v3, v3, v5, vcc
	v_cndmask_b32_e32 v5, v7, v8, vcc
	v_mov_b32_e32 v6, 0x3b800000
	v_lshlrev_b32_e32 v3, 20, v3
	v_lshl_add_u32 v5, v5, 23, v6
	v_or3_b32 v3, v4, v5, v3
.LBB58_512:
	s_or_b64 exec, exec, s[6:7]
	s_nop 0
	v_mfma_f32_16x16x4f32 a[0:3], v2, v3, a[0:3]
	s_movk_i32 s4, 0x7f
                                        ; implicit-def: $sgpr10
	s_nop 7
	s_nop 1
	flat_store_dwordx4 v[18:19], a[0:3] offset:784
	flat_load_dwordx4 v[20:23], v[0:1] offset:8
	s_nop 0
	flat_load_dwordx2 v[18:19], v[0:1] offset:24
	s_waitcnt vmcnt(0) lgkmcnt(0)
	flat_load_dwordx4 v[14:17], v[20:21]
	flat_load_dwordx4 v[6:9], v[20:21] offset:16
	flat_load_dwordx4 v[10:13], v[22:23] offset:320
	;; [unrolled: 1-line block ×3, first 2 shown]
	s_waitcnt vmcnt(0) lgkmcnt(0)
	v_cmp_gt_i16_sdwa s[6:7], v14, s4 src0_sel:BYTE_0 src1_sel:DWORD
	s_mov_b64 s[4:5], 0
	s_and_saveexec_b64 s[8:9], s[6:7]
	s_xor_b64 s[6:7], exec, s[8:9]
	s_cbranch_execnz .LBB58_2561
; %bb.513:
	s_or_saveexec_b64 s[6:7], s[6:7]
	v_mov_b32_e32 v20, s10
	s_xor_b64 exec, exec, s[6:7]
	s_cbranch_execnz .LBB58_2564
.LBB58_514:
	s_or_b64 exec, exec, s[6:7]
	s_and_saveexec_b64 s[6:7], s[4:5]
	s_cbranch_execz .LBB58_516
.LBB58_515:
	v_and_b32_e32 v20, 7, v14
	v_ffbh_u32_e32 v22, v20
	v_min_u32_e32 v22, 32, v22
	v_lshrrev_b16_e32 v21, 3, v14
	v_subrev_u32_e32 v23, 28, v22
	v_and_b32_e32 v21, 15, v21
	v_lshlrev_b32_e32 v23, v23, v14
	v_sub_u32_e32 v22, 29, v22
	v_and_b32_e32 v23, 7, v23
	v_cmp_eq_u16_e32 vcc, 0, v21
	v_cndmask_b32_e32 v20, v20, v23, vcc
	v_cndmask_b32_e32 v21, v21, v22, vcc
	v_lshlrev_b32_e32 v22, 24, v14
	v_mov_b32_e32 v23, 0x3b800000
	v_lshlrev_b32_e32 v20, 20, v20
	v_and_b32_e32 v22, 0x80000000, v22
	v_lshl_add_u32 v21, v21, 23, v23
	v_or3_b32 v20, v22, v21, v20
.LBB58_516:
	s_or_b64 exec, exec, s[6:7]
	s_movk_i32 s4, 0x7f
	v_cmp_gt_i16_sdwa s[6:7], v10, s4 src0_sel:BYTE_0 src1_sel:DWORD
	s_mov_b64 s[4:5], 0
                                        ; implicit-def: $sgpr10
	s_and_saveexec_b64 s[8:9], s[6:7]
	s_xor_b64 s[6:7], exec, s[8:9]
	s_cbranch_execnz .LBB58_2565
; %bb.517:
	s_or_saveexec_b64 s[6:7], s[6:7]
	v_mov_b32_e32 v21, s10
	s_xor_b64 exec, exec, s[6:7]
	s_cbranch_execnz .LBB58_2568
.LBB58_518:
	s_or_b64 exec, exec, s[6:7]
	s_and_saveexec_b64 s[6:7], s[4:5]
	s_cbranch_execz .LBB58_520
.LBB58_519:
	v_and_b32_e32 v21, 7, v10
	v_ffbh_u32_e32 v23, v21
	v_min_u32_e32 v23, 32, v23
	v_lshrrev_b16_e32 v22, 3, v10
	v_subrev_u32_e32 v24, 28, v23
	v_and_b32_e32 v22, 15, v22
	v_lshlrev_b32_e32 v24, v24, v10
	v_sub_u32_e32 v23, 29, v23
	v_and_b32_e32 v24, 7, v24
	v_cmp_eq_u16_e32 vcc, 0, v22
	v_cndmask_b32_e32 v21, v21, v24, vcc
	v_cndmask_b32_e32 v22, v22, v23, vcc
	v_lshlrev_b32_e32 v23, 24, v10
	v_mov_b32_e32 v24, 0x3b800000
	v_lshlrev_b32_e32 v21, 20, v21
	v_and_b32_e32 v23, 0x80000000, v23
	v_lshl_add_u32 v22, v22, 23, v24
	v_or3_b32 v21, v23, v22, v21
.LBB58_520:
	s_or_b64 exec, exec, s[6:7]
	flat_load_dwordx4 a[0:3], v[18:19] offset:800
	s_movk_i32 s4, 0x7f
                                        ; implicit-def: $sgpr10
	s_waitcnt vmcnt(0) lgkmcnt(0)
	v_mfma_f32_16x16x4f32 a[0:3], v20, v21, a[0:3]
	v_lshrrev_b32_e32 v21, 8, v14
	v_cmp_gt_i16_sdwa s[6:7], v21, s4 src0_sel:BYTE_0 src1_sel:DWORD
	s_mov_b64 s[4:5], 0
	s_and_saveexec_b64 s[8:9], s[6:7]
	s_xor_b64 s[6:7], exec, s[8:9]
	s_cbranch_execnz .LBB58_2569
; %bb.521:
	s_or_saveexec_b64 s[6:7], s[6:7]
	v_mov_b32_e32 v20, s10
	s_xor_b64 exec, exec, s[6:7]
	s_cbranch_execnz .LBB58_2572
.LBB58_522:
	s_or_b64 exec, exec, s[6:7]
	s_and_saveexec_b64 s[6:7], s[4:5]
	s_cbranch_execz .LBB58_524
.LBB58_523:
	v_bfe_u32 v20, v14, 8, 3
	v_ffbh_u32_e32 v23, v20
	v_min_u32_e32 v23, 32, v23
	v_lshrrev_b16_e32 v22, 3, v21
	v_subrev_u32_e32 v24, 28, v23
	v_and_b32_e32 v22, 15, v22
	v_lshlrev_b32_e32 v21, v24, v21
	v_sub_u32_e32 v23, 29, v23
	v_and_b32_e32 v21, 7, v21
	v_cmp_eq_u16_e32 vcc, 0, v22
	v_cndmask_b32_e32 v20, v20, v21, vcc
	v_cndmask_b32_e32 v21, v22, v23, vcc
	v_lshlrev_b32_e32 v22, 16, v14
	v_mov_b32_e32 v23, 0x3b800000
	v_lshlrev_b32_e32 v20, 20, v20
	v_and_b32_e32 v22, 0x80000000, v22
	v_lshl_add_u32 v21, v21, 23, v23
	v_or3_b32 v20, v22, v21, v20
.LBB58_524:
	s_or_b64 exec, exec, s[6:7]
	v_lshrrev_b32_e32 v21, 8, v10
	s_movk_i32 s4, 0x7f
	v_cmp_gt_i16_sdwa s[6:7], v21, s4 src0_sel:BYTE_0 src1_sel:DWORD
	s_mov_b64 s[4:5], 0
                                        ; implicit-def: $sgpr10
	s_and_saveexec_b64 s[8:9], s[6:7]
	s_xor_b64 s[6:7], exec, s[8:9]
	s_cbranch_execnz .LBB58_2573
; %bb.525:
	s_or_saveexec_b64 s[6:7], s[6:7]
	v_mov_b32_e32 v22, s10
	s_xor_b64 exec, exec, s[6:7]
	s_cbranch_execnz .LBB58_2576
.LBB58_526:
	s_or_b64 exec, exec, s[6:7]
	s_and_saveexec_b64 s[6:7], s[4:5]
	s_cbranch_execz .LBB58_528
.LBB58_527:
	v_bfe_u32 v22, v10, 8, 3
	v_ffbh_u32_e32 v24, v22
	v_min_u32_e32 v24, 32, v24
	v_lshrrev_b16_e32 v23, 3, v21
	v_subrev_u32_e32 v25, 28, v24
	v_and_b32_e32 v23, 15, v23
	v_lshlrev_b32_e32 v21, v25, v21
	v_sub_u32_e32 v24, 29, v24
	v_and_b32_e32 v21, 7, v21
	v_cmp_eq_u16_e32 vcc, 0, v23
	v_cndmask_b32_e32 v21, v22, v21, vcc
	v_cndmask_b32_e32 v22, v23, v24, vcc
	v_lshlrev_b32_e32 v23, 16, v10
	v_mov_b32_e32 v24, 0x3b800000
	v_lshlrev_b32_e32 v21, 20, v21
	v_and_b32_e32 v23, 0x80000000, v23
	v_lshl_add_u32 v22, v22, 23, v24
	v_or3_b32 v22, v23, v22, v21
.LBB58_528:
	s_or_b64 exec, exec, s[6:7]
	s_nop 0
	v_mfma_f32_16x16x4f32 a[0:3], v20, v22, a[0:3]
	s_movk_i32 s4, 0xff
	v_and_b32_sdwa v21, v14, s4 dst_sel:DWORD dst_unused:UNUSED_PAD src0_sel:WORD_1 src1_sel:DWORD
	s_movk_i32 s4, 0x7f
	v_cmp_lt_i16_e32 vcc, s4, v21
	s_mov_b64 s[4:5], 0
                                        ; implicit-def: $sgpr10
	s_and_saveexec_b64 s[6:7], vcc
	s_xor_b64 s[6:7], exec, s[6:7]
	s_cbranch_execnz .LBB58_2577
; %bb.529:
	s_or_saveexec_b64 s[6:7], s[6:7]
	v_mov_b32_e32 v20, s10
	s_xor_b64 exec, exec, s[6:7]
	s_cbranch_execnz .LBB58_2580
.LBB58_530:
	s_or_b64 exec, exec, s[6:7]
	s_and_saveexec_b64 s[6:7], s[4:5]
	s_cbranch_execz .LBB58_532
.LBB58_531:
	v_bfe_u32 v20, v14, 16, 3
	v_ffbh_u32_e32 v23, v20
	v_min_u32_e32 v23, 32, v23
	v_lshrrev_b32_e32 v21, 19, v14
	v_subrev_u32_e32 v24, 28, v23
	v_and_b32_e32 v21, 15, v21
	v_lshlrev_b32_sdwa v24, v24, v14 dst_sel:DWORD dst_unused:UNUSED_PAD src0_sel:DWORD src1_sel:WORD_1
	v_bfe_u32 v22, v14, 19, 4
	v_sub_u32_e32 v23, 29, v23
	v_and_b32_e32 v24, 7, v24
	v_cmp_eq_u16_e32 vcc, 0, v21
	v_cndmask_b32_e32 v20, v20, v24, vcc
	v_cndmask_b32_e32 v21, v22, v23, vcc
	v_lshlrev_b32_e32 v22, 8, v14
	v_mov_b32_e32 v23, 0x3b800000
	v_lshlrev_b32_e32 v20, 20, v20
	v_and_b32_e32 v22, 0x80000000, v22
	v_lshl_add_u32 v21, v21, 23, v23
	v_or3_b32 v20, v22, v21, v20
.LBB58_532:
	s_or_b64 exec, exec, s[6:7]
	s_movk_i32 s4, 0xff
	v_and_b32_sdwa v21, v10, s4 dst_sel:DWORD dst_unused:UNUSED_PAD src0_sel:WORD_1 src1_sel:DWORD
	s_movk_i32 s4, 0x7f
	v_cmp_lt_i16_e32 vcc, s4, v21
	s_mov_b64 s[4:5], 0
                                        ; implicit-def: $sgpr10
	s_and_saveexec_b64 s[6:7], vcc
	s_xor_b64 s[6:7], exec, s[6:7]
	s_cbranch_execnz .LBB58_2581
; %bb.533:
	s_or_saveexec_b64 s[6:7], s[6:7]
	v_mov_b32_e32 v22, s10
	s_xor_b64 exec, exec, s[6:7]
	s_cbranch_execnz .LBB58_2584
.LBB58_534:
	s_or_b64 exec, exec, s[6:7]
	s_and_saveexec_b64 s[6:7], s[4:5]
	s_cbranch_execz .LBB58_536
.LBB58_535:
	v_bfe_u32 v21, v10, 16, 3
	v_ffbh_u32_e32 v24, v21
	v_min_u32_e32 v24, 32, v24
	v_lshrrev_b32_e32 v22, 19, v10
	v_subrev_u32_e32 v25, 28, v24
	v_and_b32_e32 v22, 15, v22
	v_lshlrev_b32_sdwa v25, v25, v10 dst_sel:DWORD dst_unused:UNUSED_PAD src0_sel:DWORD src1_sel:WORD_1
	v_bfe_u32 v23, v10, 19, 4
	v_sub_u32_e32 v24, 29, v24
	v_and_b32_e32 v25, 7, v25
	v_cmp_eq_u16_e32 vcc, 0, v22
	v_cndmask_b32_e32 v21, v21, v25, vcc
	v_cndmask_b32_e32 v22, v23, v24, vcc
	v_lshlrev_b32_e32 v23, 8, v10
	v_mov_b32_e32 v24, 0x3b800000
	v_lshlrev_b32_e32 v21, 20, v21
	v_and_b32_e32 v23, 0x80000000, v23
	v_lshl_add_u32 v22, v22, 23, v24
	v_or3_b32 v22, v23, v22, v21
.LBB58_536:
	s_or_b64 exec, exec, s[6:7]
	s_nop 0
	v_mfma_f32_16x16x4f32 a[0:3], v20, v22, a[0:3]
	s_movk_i32 s4, 0x7f
	v_cmp_gt_i16_sdwa s[6:7], v14, s4 src0_sel:BYTE_3 src1_sel:DWORD
	s_mov_b64 s[4:5], 0
                                        ; implicit-def: $sgpr10
	s_and_saveexec_b64 s[8:9], s[6:7]
	s_xor_b64 s[6:7], exec, s[8:9]
	s_cbranch_execnz .LBB58_2585
; %bb.537:
	s_or_saveexec_b64 s[6:7], s[6:7]
	v_mov_b32_e32 v20, s10
	s_xor_b64 exec, exec, s[6:7]
	s_cbranch_execnz .LBB58_2588
.LBB58_538:
	s_or_b64 exec, exec, s[6:7]
	s_and_saveexec_b64 s[6:7], s[4:5]
	s_cbranch_execz .LBB58_540
.LBB58_539:
	v_bfe_u32 v20, v14, 24, 3
	v_ffbh_u32_e32 v24, v20
	v_min_u32_e32 v24, 32, v24
	v_lshrrev_b32_e32 v22, 27, v14
	v_subrev_u32_e32 v25, 28, v24
	v_and_b32_e32 v21, 0x80000000, v14
	v_and_b32_e32 v22, 15, v22
	v_bfe_u32 v23, v14, 27, 4
	v_lshlrev_b32_sdwa v14, v25, v14 dst_sel:DWORD dst_unused:UNUSED_PAD src0_sel:DWORD src1_sel:BYTE_3
	v_sub_u32_e32 v24, 29, v24
	v_and_b32_e32 v14, 7, v14
	v_cmp_eq_u16_e32 vcc, 0, v22
	v_cndmask_b32_e32 v14, v20, v14, vcc
	v_cndmask_b32_e32 v20, v23, v24, vcc
	v_mov_b32_e32 v22, 0x3b800000
	v_lshlrev_b32_e32 v14, 20, v14
	v_lshl_add_u32 v20, v20, 23, v22
	v_or3_b32 v20, v21, v20, v14
.LBB58_540:
	s_or_b64 exec, exec, s[6:7]
	s_movk_i32 s4, 0x7f
	v_cmp_gt_i16_sdwa s[6:7], v10, s4 src0_sel:BYTE_3 src1_sel:DWORD
	s_mov_b64 s[4:5], 0
                                        ; implicit-def: $sgpr10
	s_and_saveexec_b64 s[8:9], s[6:7]
	s_xor_b64 s[6:7], exec, s[8:9]
	s_cbranch_execnz .LBB58_2589
; %bb.541:
	s_or_saveexec_b64 s[6:7], s[6:7]
	v_mov_b32_e32 v14, s10
	s_xor_b64 exec, exec, s[6:7]
	s_cbranch_execnz .LBB58_2592
.LBB58_542:
	s_or_b64 exec, exec, s[6:7]
	s_and_saveexec_b64 s[6:7], s[4:5]
	s_cbranch_execz .LBB58_544
.LBB58_543:
	v_bfe_u32 v14, v10, 24, 3
	v_ffbh_u32_e32 v24, v14
	v_min_u32_e32 v24, 32, v24
	v_lshrrev_b32_e32 v22, 27, v10
	v_subrev_u32_e32 v25, 28, v24
	v_and_b32_e32 v21, 0x80000000, v10
	v_and_b32_e32 v22, 15, v22
	v_bfe_u32 v23, v10, 27, 4
	v_lshlrev_b32_sdwa v10, v25, v10 dst_sel:DWORD dst_unused:UNUSED_PAD src0_sel:DWORD src1_sel:BYTE_3
	v_sub_u32_e32 v24, 29, v24
	v_and_b32_e32 v10, 7, v10
	v_cmp_eq_u16_e32 vcc, 0, v22
	v_cndmask_b32_e32 v10, v14, v10, vcc
	v_cndmask_b32_e32 v14, v23, v24, vcc
	v_mov_b32_e32 v22, 0x3b800000
	v_lshlrev_b32_e32 v10, 20, v10
	v_lshl_add_u32 v14, v14, 23, v22
	v_or3_b32 v14, v21, v14, v10
.LBB58_544:
	s_or_b64 exec, exec, s[6:7]
	s_nop 0
	v_mfma_f32_16x16x4f32 a[0:3], v20, v14, a[0:3]
	s_movk_i32 s4, 0x7f
	v_cmp_gt_i16_sdwa s[6:7], v15, s4 src0_sel:BYTE_0 src1_sel:DWORD
	s_mov_b64 s[4:5], 0
                                        ; implicit-def: $sgpr10
	s_and_saveexec_b64 s[8:9], s[6:7]
	s_xor_b64 s[6:7], exec, s[8:9]
	s_cbranch_execnz .LBB58_2593
; %bb.545:
	s_or_saveexec_b64 s[6:7], s[6:7]
	v_mov_b32_e32 v10, s10
	s_xor_b64 exec, exec, s[6:7]
	s_cbranch_execnz .LBB58_2596
.LBB58_546:
	s_or_b64 exec, exec, s[6:7]
	s_and_saveexec_b64 s[6:7], s[4:5]
	s_cbranch_execz .LBB58_548
.LBB58_547:
	v_and_b32_e32 v10, 7, v15
	v_ffbh_u32_e32 v20, v10
	v_min_u32_e32 v20, 32, v20
	v_lshrrev_b16_e32 v14, 3, v15
	v_subrev_u32_e32 v21, 28, v20
	v_and_b32_e32 v14, 15, v14
	v_lshlrev_b32_e32 v21, v21, v15
	v_sub_u32_e32 v20, 29, v20
	v_and_b32_e32 v21, 7, v21
	v_cmp_eq_u16_e32 vcc, 0, v14
	v_cndmask_b32_e32 v10, v10, v21, vcc
	v_cndmask_b32_e32 v14, v14, v20, vcc
	v_lshlrev_b32_e32 v20, 24, v15
	v_mov_b32_e32 v21, 0x3b800000
	v_lshlrev_b32_e32 v10, 20, v10
	v_and_b32_e32 v20, 0x80000000, v20
	v_lshl_add_u32 v14, v14, 23, v21
	v_or3_b32 v10, v20, v14, v10
.LBB58_548:
	s_or_b64 exec, exec, s[6:7]
	s_movk_i32 s4, 0x7f
	v_cmp_gt_i16_sdwa s[6:7], v11, s4 src0_sel:BYTE_0 src1_sel:DWORD
	s_mov_b64 s[4:5], 0
                                        ; implicit-def: $sgpr10
	s_and_saveexec_b64 s[8:9], s[6:7]
	s_xor_b64 s[6:7], exec, s[8:9]
	s_cbranch_execnz .LBB58_2597
; %bb.549:
	s_or_saveexec_b64 s[6:7], s[6:7]
	v_mov_b32_e32 v14, s10
	s_xor_b64 exec, exec, s[6:7]
	s_cbranch_execnz .LBB58_2600
.LBB58_550:
	s_or_b64 exec, exec, s[6:7]
	s_and_saveexec_b64 s[6:7], s[4:5]
	s_cbranch_execz .LBB58_552
.LBB58_551:
	v_and_b32_e32 v14, 7, v11
	v_ffbh_u32_e32 v21, v14
	v_min_u32_e32 v21, 32, v21
	v_lshrrev_b16_e32 v20, 3, v11
	v_subrev_u32_e32 v22, 28, v21
	v_and_b32_e32 v20, 15, v20
	v_lshlrev_b32_e32 v22, v22, v11
	v_sub_u32_e32 v21, 29, v21
	v_and_b32_e32 v22, 7, v22
	v_cmp_eq_u16_e32 vcc, 0, v20
	v_cndmask_b32_e32 v14, v14, v22, vcc
	v_cndmask_b32_e32 v20, v20, v21, vcc
	v_lshlrev_b32_e32 v21, 24, v11
	v_mov_b32_e32 v22, 0x3b800000
	v_lshlrev_b32_e32 v14, 20, v14
	v_and_b32_e32 v21, 0x80000000, v21
	v_lshl_add_u32 v20, v20, 23, v22
	v_or3_b32 v14, v21, v20, v14
.LBB58_552:
	s_or_b64 exec, exec, s[6:7]
	s_nop 0
	v_mfma_f32_16x16x4f32 a[0:3], v10, v14, a[0:3]
	v_lshrrev_b32_e32 v14, 8, v15
	s_movk_i32 s4, 0x7f
	v_cmp_gt_i16_sdwa s[6:7], v14, s4 src0_sel:BYTE_0 src1_sel:DWORD
	s_mov_b64 s[4:5], 0
                                        ; implicit-def: $sgpr10
	s_and_saveexec_b64 s[8:9], s[6:7]
	s_xor_b64 s[6:7], exec, s[8:9]
	s_cbranch_execnz .LBB58_2601
; %bb.553:
	s_or_saveexec_b64 s[6:7], s[6:7]
	v_mov_b32_e32 v10, s10
	s_xor_b64 exec, exec, s[6:7]
	s_cbranch_execnz .LBB58_2604
.LBB58_554:
	s_or_b64 exec, exec, s[6:7]
	s_and_saveexec_b64 s[6:7], s[4:5]
	s_cbranch_execz .LBB58_556
.LBB58_555:
	v_bfe_u32 v10, v15, 8, 3
	v_ffbh_u32_e32 v21, v10
	v_min_u32_e32 v21, 32, v21
	v_lshrrev_b16_e32 v20, 3, v14
	v_subrev_u32_e32 v22, 28, v21
	v_and_b32_e32 v20, 15, v20
	v_lshlrev_b32_e32 v14, v22, v14
	v_sub_u32_e32 v21, 29, v21
	v_and_b32_e32 v14, 7, v14
	v_cmp_eq_u16_e32 vcc, 0, v20
	v_cndmask_b32_e32 v10, v10, v14, vcc
	v_cndmask_b32_e32 v14, v20, v21, vcc
	v_lshlrev_b32_e32 v20, 16, v15
	v_mov_b32_e32 v21, 0x3b800000
	v_lshlrev_b32_e32 v10, 20, v10
	v_and_b32_e32 v20, 0x80000000, v20
	v_lshl_add_u32 v14, v14, 23, v21
	v_or3_b32 v10, v20, v14, v10
.LBB58_556:
	s_or_b64 exec, exec, s[6:7]
	v_lshrrev_b32_e32 v14, 8, v11
	s_movk_i32 s4, 0x7f
	v_cmp_gt_i16_sdwa s[6:7], v14, s4 src0_sel:BYTE_0 src1_sel:DWORD
	s_mov_b64 s[4:5], 0
                                        ; implicit-def: $sgpr10
	s_and_saveexec_b64 s[8:9], s[6:7]
	s_xor_b64 s[6:7], exec, s[8:9]
	s_cbranch_execnz .LBB58_2605
; %bb.557:
	s_or_saveexec_b64 s[6:7], s[6:7]
	v_mov_b32_e32 v20, s10
	s_xor_b64 exec, exec, s[6:7]
	s_cbranch_execnz .LBB58_2608
.LBB58_558:
	s_or_b64 exec, exec, s[6:7]
	s_and_saveexec_b64 s[6:7], s[4:5]
	s_cbranch_execz .LBB58_560
.LBB58_559:
	v_bfe_u32 v20, v11, 8, 3
	v_ffbh_u32_e32 v22, v20
	v_min_u32_e32 v22, 32, v22
	v_lshrrev_b16_e32 v21, 3, v14
	v_subrev_u32_e32 v23, 28, v22
	v_and_b32_e32 v21, 15, v21
	v_lshlrev_b32_e32 v14, v23, v14
	v_sub_u32_e32 v22, 29, v22
	v_and_b32_e32 v14, 7, v14
	v_cmp_eq_u16_e32 vcc, 0, v21
	v_cndmask_b32_e32 v14, v20, v14, vcc
	v_cndmask_b32_e32 v20, v21, v22, vcc
	v_lshlrev_b32_e32 v21, 16, v11
	v_mov_b32_e32 v22, 0x3b800000
	v_lshlrev_b32_e32 v14, 20, v14
	v_and_b32_e32 v21, 0x80000000, v21
	v_lshl_add_u32 v20, v20, 23, v22
	v_or3_b32 v20, v21, v20, v14
.LBB58_560:
	s_or_b64 exec, exec, s[6:7]
	s_nop 0
	v_mfma_f32_16x16x4f32 a[0:3], v10, v20, a[0:3]
	s_movk_i32 s4, 0xff
	v_and_b32_sdwa v14, v15, s4 dst_sel:DWORD dst_unused:UNUSED_PAD src0_sel:WORD_1 src1_sel:DWORD
	s_movk_i32 s4, 0x7f
	v_cmp_lt_i16_e32 vcc, s4, v14
	s_mov_b64 s[4:5], 0
                                        ; implicit-def: $sgpr10
	s_and_saveexec_b64 s[6:7], vcc
	s_xor_b64 s[6:7], exec, s[6:7]
	s_cbranch_execnz .LBB58_2609
; %bb.561:
	s_or_saveexec_b64 s[6:7], s[6:7]
	v_mov_b32_e32 v10, s10
	s_xor_b64 exec, exec, s[6:7]
	s_cbranch_execnz .LBB58_2612
.LBB58_562:
	s_or_b64 exec, exec, s[6:7]
	s_and_saveexec_b64 s[6:7], s[4:5]
	s_cbranch_execz .LBB58_564
.LBB58_563:
	v_bfe_u32 v10, v15, 16, 3
	v_ffbh_u32_e32 v21, v10
	v_min_u32_e32 v21, 32, v21
	v_lshrrev_b32_e32 v14, 19, v15
	v_subrev_u32_e32 v22, 28, v21
	v_and_b32_e32 v14, 15, v14
	v_lshlrev_b32_sdwa v22, v22, v15 dst_sel:DWORD dst_unused:UNUSED_PAD src0_sel:DWORD src1_sel:WORD_1
	v_bfe_u32 v20, v15, 19, 4
	v_sub_u32_e32 v21, 29, v21
	v_and_b32_e32 v22, 7, v22
	v_cmp_eq_u16_e32 vcc, 0, v14
	v_cndmask_b32_e32 v10, v10, v22, vcc
	v_cndmask_b32_e32 v14, v20, v21, vcc
	v_lshlrev_b32_e32 v20, 8, v15
	v_mov_b32_e32 v21, 0x3b800000
	v_lshlrev_b32_e32 v10, 20, v10
	v_and_b32_e32 v20, 0x80000000, v20
	v_lshl_add_u32 v14, v14, 23, v21
	v_or3_b32 v10, v20, v14, v10
.LBB58_564:
	s_or_b64 exec, exec, s[6:7]
	s_movk_i32 s4, 0xff
	v_and_b32_sdwa v14, v11, s4 dst_sel:DWORD dst_unused:UNUSED_PAD src0_sel:WORD_1 src1_sel:DWORD
	s_movk_i32 s4, 0x7f
	v_cmp_lt_i16_e32 vcc, s4, v14
	s_mov_b64 s[4:5], 0
                                        ; implicit-def: $sgpr10
	s_and_saveexec_b64 s[6:7], vcc
	s_xor_b64 s[6:7], exec, s[6:7]
	s_cbranch_execnz .LBB58_2613
; %bb.565:
	s_or_saveexec_b64 s[6:7], s[6:7]
	v_mov_b32_e32 v20, s10
	s_xor_b64 exec, exec, s[6:7]
	s_cbranch_execnz .LBB58_2616
.LBB58_566:
	s_or_b64 exec, exec, s[6:7]
	s_and_saveexec_b64 s[6:7], s[4:5]
	s_cbranch_execz .LBB58_568
.LBB58_567:
	v_bfe_u32 v14, v11, 16, 3
	v_ffbh_u32_e32 v22, v14
	v_min_u32_e32 v22, 32, v22
	v_lshrrev_b32_e32 v20, 19, v11
	v_subrev_u32_e32 v23, 28, v22
	v_and_b32_e32 v20, 15, v20
	v_lshlrev_b32_sdwa v23, v23, v11 dst_sel:DWORD dst_unused:UNUSED_PAD src0_sel:DWORD src1_sel:WORD_1
	v_bfe_u32 v21, v11, 19, 4
	v_sub_u32_e32 v22, 29, v22
	v_and_b32_e32 v23, 7, v23
	v_cmp_eq_u16_e32 vcc, 0, v20
	v_cndmask_b32_e32 v14, v14, v23, vcc
	v_cndmask_b32_e32 v20, v21, v22, vcc
	v_lshlrev_b32_e32 v21, 8, v11
	v_mov_b32_e32 v22, 0x3b800000
	v_lshlrev_b32_e32 v14, 20, v14
	v_and_b32_e32 v21, 0x80000000, v21
	v_lshl_add_u32 v20, v20, 23, v22
	v_or3_b32 v20, v21, v20, v14
.LBB58_568:
	s_or_b64 exec, exec, s[6:7]
	s_nop 0
	v_mfma_f32_16x16x4f32 a[0:3], v10, v20, a[0:3]
	s_movk_i32 s4, 0x7f
	v_cmp_gt_i16_sdwa s[6:7], v15, s4 src0_sel:BYTE_3 src1_sel:DWORD
	s_mov_b64 s[4:5], 0
                                        ; implicit-def: $sgpr10
	s_and_saveexec_b64 s[8:9], s[6:7]
	s_xor_b64 s[6:7], exec, s[8:9]
	s_cbranch_execnz .LBB58_2617
; %bb.569:
	s_or_saveexec_b64 s[6:7], s[6:7]
	v_mov_b32_e32 v10, s10
	s_xor_b64 exec, exec, s[6:7]
	s_cbranch_execnz .LBB58_2620
.LBB58_570:
	s_or_b64 exec, exec, s[6:7]
	s_and_saveexec_b64 s[6:7], s[4:5]
	s_cbranch_execz .LBB58_572
.LBB58_571:
	v_bfe_u32 v10, v15, 24, 3
	v_ffbh_u32_e32 v22, v10
	v_min_u32_e32 v22, 32, v22
	v_lshrrev_b32_e32 v20, 27, v15
	v_subrev_u32_e32 v23, 28, v22
	v_and_b32_e32 v14, 0x80000000, v15
	v_and_b32_e32 v20, 15, v20
	v_bfe_u32 v21, v15, 27, 4
	v_lshlrev_b32_sdwa v15, v23, v15 dst_sel:DWORD dst_unused:UNUSED_PAD src0_sel:DWORD src1_sel:BYTE_3
	v_sub_u32_e32 v22, 29, v22
	v_and_b32_e32 v15, 7, v15
	v_cmp_eq_u16_e32 vcc, 0, v20
	v_cndmask_b32_e32 v10, v10, v15, vcc
	v_cndmask_b32_e32 v15, v21, v22, vcc
	v_mov_b32_e32 v20, 0x3b800000
	v_lshlrev_b32_e32 v10, 20, v10
	v_lshl_add_u32 v15, v15, 23, v20
	v_or3_b32 v10, v14, v15, v10
.LBB58_572:
	s_or_b64 exec, exec, s[6:7]
	s_movk_i32 s4, 0x7f
	v_cmp_gt_i16_sdwa s[6:7], v11, s4 src0_sel:BYTE_3 src1_sel:DWORD
	s_mov_b64 s[4:5], 0
                                        ; implicit-def: $sgpr10
	s_and_saveexec_b64 s[8:9], s[6:7]
	s_xor_b64 s[6:7], exec, s[8:9]
	s_cbranch_execnz .LBB58_2621
; %bb.573:
	s_or_saveexec_b64 s[6:7], s[6:7]
	v_mov_b32_e32 v14, s10
	s_xor_b64 exec, exec, s[6:7]
	s_cbranch_execnz .LBB58_2624
.LBB58_574:
	s_or_b64 exec, exec, s[6:7]
	s_and_saveexec_b64 s[6:7], s[4:5]
	s_cbranch_execz .LBB58_576
.LBB58_575:
	v_bfe_u32 v14, v11, 24, 3
	v_ffbh_u32_e32 v22, v14
	v_min_u32_e32 v22, 32, v22
	v_lshrrev_b32_e32 v20, 27, v11
	v_subrev_u32_e32 v23, 28, v22
	v_and_b32_e32 v15, 0x80000000, v11
	v_and_b32_e32 v20, 15, v20
	v_bfe_u32 v21, v11, 27, 4
	v_lshlrev_b32_sdwa v11, v23, v11 dst_sel:DWORD dst_unused:UNUSED_PAD src0_sel:DWORD src1_sel:BYTE_3
	v_sub_u32_e32 v22, 29, v22
	v_and_b32_e32 v11, 7, v11
	v_cmp_eq_u16_e32 vcc, 0, v20
	v_cndmask_b32_e32 v11, v14, v11, vcc
	v_cndmask_b32_e32 v14, v21, v22, vcc
	v_mov_b32_e32 v20, 0x3b800000
	v_lshlrev_b32_e32 v11, 20, v11
	v_lshl_add_u32 v14, v14, 23, v20
	v_or3_b32 v14, v15, v14, v11
.LBB58_576:
	s_or_b64 exec, exec, s[6:7]
	s_nop 0
	v_mfma_f32_16x16x4f32 a[0:3], v10, v14, a[0:3]
	s_movk_i32 s4, 0x7f
	v_cmp_gt_i16_sdwa s[6:7], v16, s4 src0_sel:BYTE_0 src1_sel:DWORD
	s_mov_b64 s[4:5], 0
                                        ; implicit-def: $sgpr10
	s_and_saveexec_b64 s[8:9], s[6:7]
	s_xor_b64 s[6:7], exec, s[8:9]
	s_cbranch_execnz .LBB58_2625
; %bb.577:
	s_or_saveexec_b64 s[6:7], s[6:7]
	v_mov_b32_e32 v10, s10
	s_xor_b64 exec, exec, s[6:7]
	s_cbranch_execnz .LBB58_2628
.LBB58_578:
	s_or_b64 exec, exec, s[6:7]
	s_and_saveexec_b64 s[6:7], s[4:5]
	s_cbranch_execz .LBB58_580
.LBB58_579:
	v_and_b32_e32 v10, 7, v16
	v_ffbh_u32_e32 v14, v10
	v_min_u32_e32 v14, 32, v14
	v_lshrrev_b16_e32 v11, 3, v16
	v_subrev_u32_e32 v15, 28, v14
	v_and_b32_e32 v11, 15, v11
	v_lshlrev_b32_e32 v15, v15, v16
	v_sub_u32_e32 v14, 29, v14
	v_and_b32_e32 v15, 7, v15
	v_cmp_eq_u16_e32 vcc, 0, v11
	v_cndmask_b32_e32 v10, v10, v15, vcc
	v_cndmask_b32_e32 v11, v11, v14, vcc
	v_lshlrev_b32_e32 v14, 24, v16
	v_mov_b32_e32 v15, 0x3b800000
	v_lshlrev_b32_e32 v10, 20, v10
	v_and_b32_e32 v14, 0x80000000, v14
	v_lshl_add_u32 v11, v11, 23, v15
	v_or3_b32 v10, v14, v11, v10
.LBB58_580:
	s_or_b64 exec, exec, s[6:7]
	s_movk_i32 s4, 0x7f
	v_cmp_gt_i16_sdwa s[6:7], v12, s4 src0_sel:BYTE_0 src1_sel:DWORD
	s_mov_b64 s[4:5], 0
                                        ; implicit-def: $sgpr10
	s_and_saveexec_b64 s[8:9], s[6:7]
	s_xor_b64 s[6:7], exec, s[8:9]
	s_cbranch_execnz .LBB58_2629
; %bb.581:
	s_or_saveexec_b64 s[6:7], s[6:7]
	v_mov_b32_e32 v11, s10
	s_xor_b64 exec, exec, s[6:7]
	s_cbranch_execnz .LBB58_2632
.LBB58_582:
	s_or_b64 exec, exec, s[6:7]
	s_and_saveexec_b64 s[6:7], s[4:5]
	s_cbranch_execz .LBB58_584
.LBB58_583:
	v_and_b32_e32 v11, 7, v12
	v_ffbh_u32_e32 v15, v11
	v_min_u32_e32 v15, 32, v15
	v_lshrrev_b16_e32 v14, 3, v12
	v_subrev_u32_e32 v20, 28, v15
	v_and_b32_e32 v14, 15, v14
	v_lshlrev_b32_e32 v20, v20, v12
	v_sub_u32_e32 v15, 29, v15
	v_and_b32_e32 v20, 7, v20
	v_cmp_eq_u16_e32 vcc, 0, v14
	v_cndmask_b32_e32 v11, v11, v20, vcc
	v_cndmask_b32_e32 v14, v14, v15, vcc
	v_lshlrev_b32_e32 v15, 24, v12
	v_mov_b32_e32 v20, 0x3b800000
	v_lshlrev_b32_e32 v11, 20, v11
	v_and_b32_e32 v15, 0x80000000, v15
	v_lshl_add_u32 v14, v14, 23, v20
	v_or3_b32 v11, v15, v14, v11
.LBB58_584:
	s_or_b64 exec, exec, s[6:7]
	s_nop 0
	v_mfma_f32_16x16x4f32 a[0:3], v10, v11, a[0:3]
	v_lshrrev_b32_e32 v11, 8, v16
	s_movk_i32 s4, 0x7f
	v_cmp_gt_i16_sdwa s[6:7], v11, s4 src0_sel:BYTE_0 src1_sel:DWORD
	s_mov_b64 s[4:5], 0
                                        ; implicit-def: $sgpr10
	s_and_saveexec_b64 s[8:9], s[6:7]
	s_xor_b64 s[6:7], exec, s[8:9]
	s_cbranch_execnz .LBB58_2633
; %bb.585:
	s_or_saveexec_b64 s[6:7], s[6:7]
	v_mov_b32_e32 v10, s10
	s_xor_b64 exec, exec, s[6:7]
	s_cbranch_execnz .LBB58_2636
.LBB58_586:
	s_or_b64 exec, exec, s[6:7]
	s_and_saveexec_b64 s[6:7], s[4:5]
	s_cbranch_execz .LBB58_588
.LBB58_587:
	v_bfe_u32 v10, v16, 8, 3
	v_ffbh_u32_e32 v15, v10
	v_min_u32_e32 v15, 32, v15
	v_lshrrev_b16_e32 v14, 3, v11
	v_subrev_u32_e32 v20, 28, v15
	v_and_b32_e32 v14, 15, v14
	v_lshlrev_b32_e32 v11, v20, v11
	v_sub_u32_e32 v15, 29, v15
	v_and_b32_e32 v11, 7, v11
	v_cmp_eq_u16_e32 vcc, 0, v14
	v_cndmask_b32_e32 v10, v10, v11, vcc
	v_cndmask_b32_e32 v11, v14, v15, vcc
	v_lshlrev_b32_e32 v14, 16, v16
	v_mov_b32_e32 v15, 0x3b800000
	v_lshlrev_b32_e32 v10, 20, v10
	v_and_b32_e32 v14, 0x80000000, v14
	v_lshl_add_u32 v11, v11, 23, v15
	v_or3_b32 v10, v14, v11, v10
.LBB58_588:
	s_or_b64 exec, exec, s[6:7]
	v_lshrrev_b32_e32 v11, 8, v12
	s_movk_i32 s4, 0x7f
	v_cmp_gt_i16_sdwa s[6:7], v11, s4 src0_sel:BYTE_0 src1_sel:DWORD
	s_mov_b64 s[4:5], 0
                                        ; implicit-def: $sgpr10
	s_and_saveexec_b64 s[8:9], s[6:7]
	s_xor_b64 s[6:7], exec, s[8:9]
	s_cbranch_execnz .LBB58_2637
; %bb.589:
	s_or_saveexec_b64 s[6:7], s[6:7]
	v_mov_b32_e32 v14, s10
	s_xor_b64 exec, exec, s[6:7]
	s_cbranch_execnz .LBB58_2640
.LBB58_590:
	s_or_b64 exec, exec, s[6:7]
	s_and_saveexec_b64 s[6:7], s[4:5]
	s_cbranch_execz .LBB58_592
.LBB58_591:
	v_bfe_u32 v14, v12, 8, 3
	v_ffbh_u32_e32 v20, v14
	v_min_u32_e32 v20, 32, v20
	v_lshrrev_b16_e32 v15, 3, v11
	v_subrev_u32_e32 v21, 28, v20
	v_and_b32_e32 v15, 15, v15
	v_lshlrev_b32_e32 v11, v21, v11
	v_sub_u32_e32 v20, 29, v20
	v_and_b32_e32 v11, 7, v11
	v_cmp_eq_u16_e32 vcc, 0, v15
	v_cndmask_b32_e32 v11, v14, v11, vcc
	v_cndmask_b32_e32 v14, v15, v20, vcc
	v_lshlrev_b32_e32 v15, 16, v12
	v_mov_b32_e32 v20, 0x3b800000
	v_lshlrev_b32_e32 v11, 20, v11
	v_and_b32_e32 v15, 0x80000000, v15
	v_lshl_add_u32 v14, v14, 23, v20
	v_or3_b32 v14, v15, v14, v11
.LBB58_592:
	s_or_b64 exec, exec, s[6:7]
	s_nop 0
	v_mfma_f32_16x16x4f32 a[0:3], v10, v14, a[0:3]
	s_movk_i32 s4, 0xff
	v_and_b32_sdwa v11, v16, s4 dst_sel:DWORD dst_unused:UNUSED_PAD src0_sel:WORD_1 src1_sel:DWORD
	s_movk_i32 s4, 0x7f
	v_cmp_lt_i16_e32 vcc, s4, v11
	s_mov_b64 s[4:5], 0
                                        ; implicit-def: $sgpr10
	s_and_saveexec_b64 s[6:7], vcc
	s_xor_b64 s[6:7], exec, s[6:7]
	s_cbranch_execnz .LBB58_2641
; %bb.593:
	s_or_saveexec_b64 s[6:7], s[6:7]
	v_mov_b32_e32 v10, s10
	s_xor_b64 exec, exec, s[6:7]
	s_cbranch_execnz .LBB58_2644
.LBB58_594:
	s_or_b64 exec, exec, s[6:7]
	s_and_saveexec_b64 s[6:7], s[4:5]
	s_cbranch_execz .LBB58_596
.LBB58_595:
	v_bfe_u32 v10, v16, 16, 3
	v_ffbh_u32_e32 v15, v10
	v_min_u32_e32 v15, 32, v15
	v_lshrrev_b32_e32 v11, 19, v16
	v_subrev_u32_e32 v20, 28, v15
	v_and_b32_e32 v11, 15, v11
	v_lshlrev_b32_sdwa v20, v20, v16 dst_sel:DWORD dst_unused:UNUSED_PAD src0_sel:DWORD src1_sel:WORD_1
	v_bfe_u32 v14, v16, 19, 4
	v_sub_u32_e32 v15, 29, v15
	v_and_b32_e32 v20, 7, v20
	v_cmp_eq_u16_e32 vcc, 0, v11
	v_cndmask_b32_e32 v10, v10, v20, vcc
	v_cndmask_b32_e32 v11, v14, v15, vcc
	v_lshlrev_b32_e32 v14, 8, v16
	v_mov_b32_e32 v15, 0x3b800000
	v_lshlrev_b32_e32 v10, 20, v10
	v_and_b32_e32 v14, 0x80000000, v14
	v_lshl_add_u32 v11, v11, 23, v15
	v_or3_b32 v10, v14, v11, v10
.LBB58_596:
	s_or_b64 exec, exec, s[6:7]
	s_movk_i32 s4, 0xff
	v_and_b32_sdwa v11, v12, s4 dst_sel:DWORD dst_unused:UNUSED_PAD src0_sel:WORD_1 src1_sel:DWORD
	s_movk_i32 s4, 0x7f
	v_cmp_lt_i16_e32 vcc, s4, v11
	s_mov_b64 s[4:5], 0
                                        ; implicit-def: $sgpr10
	s_and_saveexec_b64 s[6:7], vcc
	s_xor_b64 s[6:7], exec, s[6:7]
	s_cbranch_execnz .LBB58_2645
; %bb.597:
	s_or_saveexec_b64 s[6:7], s[6:7]
	v_mov_b32_e32 v14, s10
	s_xor_b64 exec, exec, s[6:7]
	s_cbranch_execnz .LBB58_2648
.LBB58_598:
	s_or_b64 exec, exec, s[6:7]
	s_and_saveexec_b64 s[6:7], s[4:5]
	s_cbranch_execz .LBB58_600
.LBB58_599:
	v_bfe_u32 v11, v12, 16, 3
	v_ffbh_u32_e32 v20, v11
	v_min_u32_e32 v20, 32, v20
	v_lshrrev_b32_e32 v14, 19, v12
	v_subrev_u32_e32 v21, 28, v20
	v_and_b32_e32 v14, 15, v14
	v_lshlrev_b32_sdwa v21, v21, v12 dst_sel:DWORD dst_unused:UNUSED_PAD src0_sel:DWORD src1_sel:WORD_1
	v_bfe_u32 v15, v12, 19, 4
	v_sub_u32_e32 v20, 29, v20
	v_and_b32_e32 v21, 7, v21
	v_cmp_eq_u16_e32 vcc, 0, v14
	v_cndmask_b32_e32 v11, v11, v21, vcc
	v_cndmask_b32_e32 v14, v15, v20, vcc
	v_lshlrev_b32_e32 v15, 8, v12
	v_mov_b32_e32 v20, 0x3b800000
	v_lshlrev_b32_e32 v11, 20, v11
	v_and_b32_e32 v15, 0x80000000, v15
	v_lshl_add_u32 v14, v14, 23, v20
	v_or3_b32 v14, v15, v14, v11
.LBB58_600:
	s_or_b64 exec, exec, s[6:7]
	s_nop 0
	v_mfma_f32_16x16x4f32 a[0:3], v10, v14, a[0:3]
	s_movk_i32 s4, 0x7f
	v_cmp_gt_i16_sdwa s[6:7], v16, s4 src0_sel:BYTE_3 src1_sel:DWORD
	s_mov_b64 s[4:5], 0
                                        ; implicit-def: $sgpr10
	s_and_saveexec_b64 s[8:9], s[6:7]
	s_xor_b64 s[6:7], exec, s[8:9]
	s_cbranch_execnz .LBB58_2649
; %bb.601:
	s_or_saveexec_b64 s[6:7], s[6:7]
	v_mov_b32_e32 v10, s10
	s_xor_b64 exec, exec, s[6:7]
	s_cbranch_execnz .LBB58_2652
.LBB58_602:
	s_or_b64 exec, exec, s[6:7]
	s_and_saveexec_b64 s[6:7], s[4:5]
	s_cbranch_execz .LBB58_604
.LBB58_603:
	v_bfe_u32 v10, v16, 24, 3
	v_ffbh_u32_e32 v20, v10
	v_min_u32_e32 v20, 32, v20
	v_lshrrev_b32_e32 v14, 27, v16
	v_subrev_u32_e32 v21, 28, v20
	v_and_b32_e32 v11, 0x80000000, v16
	v_and_b32_e32 v14, 15, v14
	v_bfe_u32 v15, v16, 27, 4
	v_lshlrev_b32_sdwa v16, v21, v16 dst_sel:DWORD dst_unused:UNUSED_PAD src0_sel:DWORD src1_sel:BYTE_3
	v_sub_u32_e32 v20, 29, v20
	v_and_b32_e32 v16, 7, v16
	v_cmp_eq_u16_e32 vcc, 0, v14
	v_cndmask_b32_e32 v10, v10, v16, vcc
	v_cndmask_b32_e32 v14, v15, v20, vcc
	v_mov_b32_e32 v15, 0x3b800000
	v_lshlrev_b32_e32 v10, 20, v10
	v_lshl_add_u32 v14, v14, 23, v15
	v_or3_b32 v10, v11, v14, v10
.LBB58_604:
	s_or_b64 exec, exec, s[6:7]
	s_movk_i32 s4, 0x7f
	v_cmp_gt_i16_sdwa s[6:7], v12, s4 src0_sel:BYTE_3 src1_sel:DWORD
	s_mov_b64 s[4:5], 0
                                        ; implicit-def: $sgpr10
	s_and_saveexec_b64 s[8:9], s[6:7]
	s_xor_b64 s[6:7], exec, s[8:9]
	s_cbranch_execnz .LBB58_2653
; %bb.605:
	s_or_saveexec_b64 s[6:7], s[6:7]
	v_mov_b32_e32 v11, s10
	s_xor_b64 exec, exec, s[6:7]
	s_cbranch_execnz .LBB58_2656
.LBB58_606:
	s_or_b64 exec, exec, s[6:7]
	s_and_saveexec_b64 s[6:7], s[4:5]
	s_cbranch_execz .LBB58_608
.LBB58_607:
	v_bfe_u32 v11, v12, 24, 3
	v_ffbh_u32_e32 v20, v11
	v_min_u32_e32 v20, 32, v20
	v_lshrrev_b32_e32 v15, 27, v12
	v_subrev_u32_e32 v21, 28, v20
	v_and_b32_e32 v14, 0x80000000, v12
	v_and_b32_e32 v15, 15, v15
	v_bfe_u32 v16, v12, 27, 4
	v_lshlrev_b32_sdwa v12, v21, v12 dst_sel:DWORD dst_unused:UNUSED_PAD src0_sel:DWORD src1_sel:BYTE_3
	v_sub_u32_e32 v20, 29, v20
	v_and_b32_e32 v12, 7, v12
	v_cmp_eq_u16_e32 vcc, 0, v15
	v_cndmask_b32_e32 v11, v11, v12, vcc
	v_cndmask_b32_e32 v12, v16, v20, vcc
	v_mov_b32_e32 v15, 0x3b800000
	v_lshlrev_b32_e32 v11, 20, v11
	v_lshl_add_u32 v12, v12, 23, v15
	v_or3_b32 v11, v14, v12, v11
.LBB58_608:
	s_or_b64 exec, exec, s[6:7]
	s_nop 0
	v_mfma_f32_16x16x4f32 a[0:3], v10, v11, a[0:3]
	s_movk_i32 s4, 0x7f
	v_cmp_gt_i16_sdwa s[6:7], v17, s4 src0_sel:BYTE_0 src1_sel:DWORD
	s_mov_b64 s[4:5], 0
                                        ; implicit-def: $sgpr10
	s_and_saveexec_b64 s[8:9], s[6:7]
	s_xor_b64 s[6:7], exec, s[8:9]
	s_cbranch_execnz .LBB58_2657
; %bb.609:
	s_or_saveexec_b64 s[6:7], s[6:7]
	v_mov_b32_e32 v10, s10
	s_xor_b64 exec, exec, s[6:7]
	s_cbranch_execnz .LBB58_2660
.LBB58_610:
	s_or_b64 exec, exec, s[6:7]
	s_and_saveexec_b64 s[6:7], s[4:5]
	s_cbranch_execz .LBB58_612
.LBB58_611:
	v_and_b32_e32 v10, 7, v17
	v_ffbh_u32_e32 v12, v10
	v_min_u32_e32 v12, 32, v12
	v_lshrrev_b16_e32 v11, 3, v17
	v_subrev_u32_e32 v14, 28, v12
	v_and_b32_e32 v11, 15, v11
	v_lshlrev_b32_e32 v14, v14, v17
	v_sub_u32_e32 v12, 29, v12
	v_and_b32_e32 v14, 7, v14
	v_cmp_eq_u16_e32 vcc, 0, v11
	v_cndmask_b32_e32 v10, v10, v14, vcc
	v_cndmask_b32_e32 v11, v11, v12, vcc
	v_lshlrev_b32_e32 v12, 24, v17
	v_mov_b32_e32 v14, 0x3b800000
	v_lshlrev_b32_e32 v10, 20, v10
	v_and_b32_e32 v12, 0x80000000, v12
	v_lshl_add_u32 v11, v11, 23, v14
	v_or3_b32 v10, v12, v11, v10
.LBB58_612:
	s_or_b64 exec, exec, s[6:7]
	s_movk_i32 s4, 0x7f
	v_cmp_gt_i16_sdwa s[6:7], v13, s4 src0_sel:BYTE_0 src1_sel:DWORD
	s_mov_b64 s[4:5], 0
                                        ; implicit-def: $sgpr10
	s_and_saveexec_b64 s[8:9], s[6:7]
	s_xor_b64 s[6:7], exec, s[8:9]
	s_cbranch_execnz .LBB58_2661
; %bb.613:
	s_or_saveexec_b64 s[6:7], s[6:7]
	v_mov_b32_e32 v11, s10
	s_xor_b64 exec, exec, s[6:7]
	s_cbranch_execnz .LBB58_2664
.LBB58_614:
	s_or_b64 exec, exec, s[6:7]
	s_and_saveexec_b64 s[6:7], s[4:5]
	s_cbranch_execz .LBB58_616
.LBB58_615:
	v_and_b32_e32 v11, 7, v13
	v_ffbh_u32_e32 v14, v11
	v_min_u32_e32 v14, 32, v14
	v_lshrrev_b16_e32 v12, 3, v13
	v_subrev_u32_e32 v15, 28, v14
	v_and_b32_e32 v12, 15, v12
	v_lshlrev_b32_e32 v15, v15, v13
	v_sub_u32_e32 v14, 29, v14
	v_and_b32_e32 v15, 7, v15
	v_cmp_eq_u16_e32 vcc, 0, v12
	v_cndmask_b32_e32 v11, v11, v15, vcc
	v_cndmask_b32_e32 v12, v12, v14, vcc
	v_lshlrev_b32_e32 v14, 24, v13
	v_mov_b32_e32 v15, 0x3b800000
	v_lshlrev_b32_e32 v11, 20, v11
	v_and_b32_e32 v14, 0x80000000, v14
	v_lshl_add_u32 v12, v12, 23, v15
	v_or3_b32 v11, v14, v12, v11
.LBB58_616:
	s_or_b64 exec, exec, s[6:7]
	s_nop 0
	v_mfma_f32_16x16x4f32 a[0:3], v10, v11, a[0:3]
	v_lshrrev_b32_e32 v11, 8, v17
	s_movk_i32 s4, 0x7f
	v_cmp_gt_i16_sdwa s[6:7], v11, s4 src0_sel:BYTE_0 src1_sel:DWORD
	s_mov_b64 s[4:5], 0
                                        ; implicit-def: $sgpr10
	s_and_saveexec_b64 s[8:9], s[6:7]
	s_xor_b64 s[6:7], exec, s[8:9]
	s_cbranch_execnz .LBB58_2665
; %bb.617:
	s_or_saveexec_b64 s[6:7], s[6:7]
	v_mov_b32_e32 v10, s10
	s_xor_b64 exec, exec, s[6:7]
	s_cbranch_execnz .LBB58_2668
.LBB58_618:
	s_or_b64 exec, exec, s[6:7]
	s_and_saveexec_b64 s[6:7], s[4:5]
	s_cbranch_execz .LBB58_620
.LBB58_619:
	v_bfe_u32 v10, v17, 8, 3
	v_ffbh_u32_e32 v14, v10
	v_min_u32_e32 v14, 32, v14
	v_lshrrev_b16_e32 v12, 3, v11
	v_subrev_u32_e32 v15, 28, v14
	v_and_b32_e32 v12, 15, v12
	v_lshlrev_b32_e32 v11, v15, v11
	v_sub_u32_e32 v14, 29, v14
	v_and_b32_e32 v11, 7, v11
	v_cmp_eq_u16_e32 vcc, 0, v12
	v_cndmask_b32_e32 v10, v10, v11, vcc
	v_cndmask_b32_e32 v11, v12, v14, vcc
	v_lshlrev_b32_e32 v12, 16, v17
	v_mov_b32_e32 v14, 0x3b800000
	v_lshlrev_b32_e32 v10, 20, v10
	v_and_b32_e32 v12, 0x80000000, v12
	v_lshl_add_u32 v11, v11, 23, v14
	v_or3_b32 v10, v12, v11, v10
.LBB58_620:
	s_or_b64 exec, exec, s[6:7]
	v_lshrrev_b32_e32 v11, 8, v13
	s_movk_i32 s4, 0x7f
	v_cmp_gt_i16_sdwa s[6:7], v11, s4 src0_sel:BYTE_0 src1_sel:DWORD
	s_mov_b64 s[4:5], 0
                                        ; implicit-def: $sgpr10
	s_and_saveexec_b64 s[8:9], s[6:7]
	s_xor_b64 s[6:7], exec, s[8:9]
	s_cbranch_execnz .LBB58_2669
; %bb.621:
	s_or_saveexec_b64 s[6:7], s[6:7]
	v_mov_b32_e32 v12, s10
	s_xor_b64 exec, exec, s[6:7]
	s_cbranch_execnz .LBB58_2672
.LBB58_622:
	s_or_b64 exec, exec, s[6:7]
	s_and_saveexec_b64 s[6:7], s[4:5]
	s_cbranch_execz .LBB58_624
.LBB58_623:
	v_bfe_u32 v12, v13, 8, 3
	v_ffbh_u32_e32 v15, v12
	v_min_u32_e32 v15, 32, v15
	v_lshrrev_b16_e32 v14, 3, v11
	v_subrev_u32_e32 v16, 28, v15
	v_and_b32_e32 v14, 15, v14
	v_lshlrev_b32_e32 v11, v16, v11
	v_sub_u32_e32 v15, 29, v15
	v_and_b32_e32 v11, 7, v11
	v_cmp_eq_u16_e32 vcc, 0, v14
	v_cndmask_b32_e32 v11, v12, v11, vcc
	v_cndmask_b32_e32 v12, v14, v15, vcc
	v_lshlrev_b32_e32 v14, 16, v13
	v_mov_b32_e32 v15, 0x3b800000
	v_lshlrev_b32_e32 v11, 20, v11
	v_and_b32_e32 v14, 0x80000000, v14
	v_lshl_add_u32 v12, v12, 23, v15
	v_or3_b32 v12, v14, v12, v11
.LBB58_624:
	s_or_b64 exec, exec, s[6:7]
	s_nop 0
	v_mfma_f32_16x16x4f32 a[0:3], v10, v12, a[0:3]
	s_movk_i32 s4, 0xff
	v_and_b32_sdwa v11, v17, s4 dst_sel:DWORD dst_unused:UNUSED_PAD src0_sel:WORD_1 src1_sel:DWORD
	s_movk_i32 s4, 0x7f
	v_cmp_lt_i16_e32 vcc, s4, v11
	s_mov_b64 s[4:5], 0
                                        ; implicit-def: $sgpr10
	s_and_saveexec_b64 s[6:7], vcc
	s_xor_b64 s[6:7], exec, s[6:7]
	s_cbranch_execnz .LBB58_2673
; %bb.625:
	s_or_saveexec_b64 s[6:7], s[6:7]
	v_mov_b32_e32 v10, s10
	s_xor_b64 exec, exec, s[6:7]
	s_cbranch_execnz .LBB58_2676
.LBB58_626:
	s_or_b64 exec, exec, s[6:7]
	s_and_saveexec_b64 s[6:7], s[4:5]
	s_cbranch_execz .LBB58_628
.LBB58_627:
	v_bfe_u32 v10, v17, 16, 3
	v_ffbh_u32_e32 v14, v10
	v_min_u32_e32 v14, 32, v14
	v_lshrrev_b32_e32 v11, 19, v17
	v_subrev_u32_e32 v15, 28, v14
	v_and_b32_e32 v11, 15, v11
	v_lshlrev_b32_sdwa v15, v15, v17 dst_sel:DWORD dst_unused:UNUSED_PAD src0_sel:DWORD src1_sel:WORD_1
	v_bfe_u32 v12, v17, 19, 4
	v_sub_u32_e32 v14, 29, v14
	v_and_b32_e32 v15, 7, v15
	v_cmp_eq_u16_e32 vcc, 0, v11
	v_cndmask_b32_e32 v10, v10, v15, vcc
	v_cndmask_b32_e32 v11, v12, v14, vcc
	v_lshlrev_b32_e32 v12, 8, v17
	v_mov_b32_e32 v14, 0x3b800000
	v_lshlrev_b32_e32 v10, 20, v10
	v_and_b32_e32 v12, 0x80000000, v12
	v_lshl_add_u32 v11, v11, 23, v14
	v_or3_b32 v10, v12, v11, v10
.LBB58_628:
	s_or_b64 exec, exec, s[6:7]
	s_movk_i32 s4, 0xff
	v_and_b32_sdwa v11, v13, s4 dst_sel:DWORD dst_unused:UNUSED_PAD src0_sel:WORD_1 src1_sel:DWORD
	s_movk_i32 s4, 0x7f
	v_cmp_lt_i16_e32 vcc, s4, v11
	s_mov_b64 s[4:5], 0
                                        ; implicit-def: $sgpr10
	s_and_saveexec_b64 s[6:7], vcc
	s_xor_b64 s[6:7], exec, s[6:7]
	s_cbranch_execnz .LBB58_2677
; %bb.629:
	s_or_saveexec_b64 s[6:7], s[6:7]
	v_mov_b32_e32 v12, s10
	s_xor_b64 exec, exec, s[6:7]
	s_cbranch_execnz .LBB58_2680
.LBB58_630:
	s_or_b64 exec, exec, s[6:7]
	s_and_saveexec_b64 s[6:7], s[4:5]
	s_cbranch_execz .LBB58_632
.LBB58_631:
	v_bfe_u32 v11, v13, 16, 3
	v_ffbh_u32_e32 v15, v11
	v_min_u32_e32 v15, 32, v15
	v_lshrrev_b32_e32 v12, 19, v13
	v_subrev_u32_e32 v16, 28, v15
	v_and_b32_e32 v12, 15, v12
	v_lshlrev_b32_sdwa v16, v16, v13 dst_sel:DWORD dst_unused:UNUSED_PAD src0_sel:DWORD src1_sel:WORD_1
	v_bfe_u32 v14, v13, 19, 4
	v_sub_u32_e32 v15, 29, v15
	v_and_b32_e32 v16, 7, v16
	v_cmp_eq_u16_e32 vcc, 0, v12
	v_cndmask_b32_e32 v11, v11, v16, vcc
	v_cndmask_b32_e32 v12, v14, v15, vcc
	v_lshlrev_b32_e32 v14, 8, v13
	v_mov_b32_e32 v15, 0x3b800000
	v_lshlrev_b32_e32 v11, 20, v11
	v_and_b32_e32 v14, 0x80000000, v14
	v_lshl_add_u32 v12, v12, 23, v15
	v_or3_b32 v12, v14, v12, v11
.LBB58_632:
	s_or_b64 exec, exec, s[6:7]
	s_nop 0
	v_mfma_f32_16x16x4f32 a[0:3], v10, v12, a[0:3]
	s_movk_i32 s4, 0x7f
	v_cmp_gt_i16_sdwa s[6:7], v17, s4 src0_sel:BYTE_3 src1_sel:DWORD
	s_mov_b64 s[4:5], 0
                                        ; implicit-def: $sgpr10
	s_and_saveexec_b64 s[8:9], s[6:7]
	s_xor_b64 s[6:7], exec, s[8:9]
	s_cbranch_execnz .LBB58_2681
; %bb.633:
	s_or_saveexec_b64 s[6:7], s[6:7]
	v_mov_b32_e32 v10, s10
	s_xor_b64 exec, exec, s[6:7]
	s_cbranch_execnz .LBB58_2684
.LBB58_634:
	s_or_b64 exec, exec, s[6:7]
	s_and_saveexec_b64 s[6:7], s[4:5]
	s_cbranch_execz .LBB58_636
.LBB58_635:
	v_bfe_u32 v10, v17, 24, 3
	v_ffbh_u32_e32 v15, v10
	v_min_u32_e32 v15, 32, v15
	v_lshrrev_b32_e32 v12, 27, v17
	v_subrev_u32_e32 v16, 28, v15
	v_and_b32_e32 v12, 15, v12
	v_lshlrev_b32_sdwa v16, v16, v17 dst_sel:DWORD dst_unused:UNUSED_PAD src0_sel:DWORD src1_sel:BYTE_3
	v_bfe_u32 v14, v17, 27, 4
	v_sub_u32_e32 v15, 29, v15
	v_and_b32_e32 v16, 7, v16
	v_cmp_eq_u16_e32 vcc, 0, v12
	v_cndmask_b32_e32 v10, v10, v16, vcc
	v_cndmask_b32_e32 v12, v14, v15, vcc
	v_mov_b32_e32 v14, 0x3b800000
	v_and_b32_e32 v11, 0x80000000, v17
	v_lshlrev_b32_e32 v10, 20, v10
	v_lshl_add_u32 v12, v12, 23, v14
	v_or3_b32 v10, v11, v12, v10
.LBB58_636:
	s_or_b64 exec, exec, s[6:7]
	s_movk_i32 s4, 0x7f
	v_cmp_gt_i16_sdwa s[6:7], v13, s4 src0_sel:BYTE_3 src1_sel:DWORD
	s_mov_b64 s[4:5], 0
                                        ; implicit-def: $sgpr10
	s_and_saveexec_b64 s[8:9], s[6:7]
	s_xor_b64 s[6:7], exec, s[8:9]
	s_cbranch_execnz .LBB58_2685
; %bb.637:
	s_or_saveexec_b64 s[6:7], s[6:7]
	v_mov_b32_e32 v11, s10
	s_xor_b64 exec, exec, s[6:7]
	s_cbranch_execnz .LBB58_2688
.LBB58_638:
	s_or_b64 exec, exec, s[6:7]
	s_and_saveexec_b64 s[6:7], s[4:5]
	s_cbranch_execz .LBB58_640
.LBB58_639:
	v_bfe_u32 v11, v13, 24, 3
	v_ffbh_u32_e32 v16, v11
	v_min_u32_e32 v16, 32, v16
	v_lshrrev_b32_e32 v14, 27, v13
	v_subrev_u32_e32 v17, 28, v16
	v_and_b32_e32 v12, 0x80000000, v13
	v_and_b32_e32 v14, 15, v14
	v_bfe_u32 v15, v13, 27, 4
	v_lshlrev_b32_sdwa v13, v17, v13 dst_sel:DWORD dst_unused:UNUSED_PAD src0_sel:DWORD src1_sel:BYTE_3
	v_sub_u32_e32 v16, 29, v16
	v_and_b32_e32 v13, 7, v13
	v_cmp_eq_u16_e32 vcc, 0, v14
	v_cndmask_b32_e32 v11, v11, v13, vcc
	v_cndmask_b32_e32 v13, v15, v16, vcc
	v_mov_b32_e32 v14, 0x3b800000
	v_lshlrev_b32_e32 v11, 20, v11
	v_lshl_add_u32 v13, v13, 23, v14
	v_or3_b32 v11, v12, v13, v11
.LBB58_640:
	s_or_b64 exec, exec, s[6:7]
	s_nop 0
	v_mfma_f32_16x16x4f32 a[0:3], v10, v11, a[0:3]
	s_movk_i32 s4, 0x7f
	v_cmp_gt_i16_sdwa s[6:7], v6, s4 src0_sel:BYTE_0 src1_sel:DWORD
	s_mov_b64 s[4:5], 0
                                        ; implicit-def: $sgpr10
	s_and_saveexec_b64 s[8:9], s[6:7]
	s_xor_b64 s[6:7], exec, s[8:9]
	s_cbranch_execnz .LBB58_2689
; %bb.641:
	s_or_saveexec_b64 s[6:7], s[6:7]
	v_mov_b32_e32 v10, s10
	s_xor_b64 exec, exec, s[6:7]
	s_cbranch_execnz .LBB58_2692
.LBB58_642:
	s_or_b64 exec, exec, s[6:7]
	s_and_saveexec_b64 s[6:7], s[4:5]
	s_cbranch_execz .LBB58_644
.LBB58_643:
	v_and_b32_e32 v10, 7, v6
	v_ffbh_u32_e32 v12, v10
	v_min_u32_e32 v12, 32, v12
	v_lshrrev_b16_e32 v11, 3, v6
	v_subrev_u32_e32 v13, 28, v12
	v_and_b32_e32 v11, 15, v11
	v_lshlrev_b32_e32 v13, v13, v6
	v_sub_u32_e32 v12, 29, v12
	v_and_b32_e32 v13, 7, v13
	v_cmp_eq_u16_e32 vcc, 0, v11
	v_cndmask_b32_e32 v10, v10, v13, vcc
	v_cndmask_b32_e32 v11, v11, v12, vcc
	v_lshlrev_b32_e32 v12, 24, v6
	v_mov_b32_e32 v13, 0x3b800000
	v_lshlrev_b32_e32 v10, 20, v10
	v_and_b32_e32 v12, 0x80000000, v12
	v_lshl_add_u32 v11, v11, 23, v13
	v_or3_b32 v10, v12, v11, v10
.LBB58_644:
	s_or_b64 exec, exec, s[6:7]
	s_movk_i32 s4, 0x7f
	v_cmp_gt_i16_sdwa s[6:7], v2, s4 src0_sel:BYTE_0 src1_sel:DWORD
	s_mov_b64 s[4:5], 0
                                        ; implicit-def: $sgpr10
	s_and_saveexec_b64 s[8:9], s[6:7]
	s_xor_b64 s[6:7], exec, s[8:9]
	s_cbranch_execnz .LBB58_2693
; %bb.645:
	s_or_saveexec_b64 s[6:7], s[6:7]
	v_mov_b32_e32 v11, s10
	s_xor_b64 exec, exec, s[6:7]
	s_cbranch_execnz .LBB58_2696
.LBB58_646:
	s_or_b64 exec, exec, s[6:7]
	s_and_saveexec_b64 s[6:7], s[4:5]
	s_cbranch_execz .LBB58_648
.LBB58_647:
	v_and_b32_e32 v11, 7, v2
	v_ffbh_u32_e32 v13, v11
	v_min_u32_e32 v13, 32, v13
	v_lshrrev_b16_e32 v12, 3, v2
	v_subrev_u32_e32 v14, 28, v13
	v_and_b32_e32 v12, 15, v12
	v_lshlrev_b32_e32 v14, v14, v2
	v_sub_u32_e32 v13, 29, v13
	v_and_b32_e32 v14, 7, v14
	v_cmp_eq_u16_e32 vcc, 0, v12
	v_cndmask_b32_e32 v11, v11, v14, vcc
	v_cndmask_b32_e32 v12, v12, v13, vcc
	v_lshlrev_b32_e32 v13, 24, v2
	v_mov_b32_e32 v14, 0x3b800000
	v_lshlrev_b32_e32 v11, 20, v11
	v_and_b32_e32 v13, 0x80000000, v13
	v_lshl_add_u32 v12, v12, 23, v14
	v_or3_b32 v11, v13, v12, v11
.LBB58_648:
	s_or_b64 exec, exec, s[6:7]
	s_nop 0
	v_mfma_f32_16x16x4f32 a[0:3], v10, v11, a[0:3]
	v_lshrrev_b32_e32 v11, 8, v6
	s_movk_i32 s4, 0x7f
	v_cmp_gt_i16_sdwa s[6:7], v11, s4 src0_sel:BYTE_0 src1_sel:DWORD
	s_mov_b64 s[4:5], 0
                                        ; implicit-def: $sgpr10
	s_and_saveexec_b64 s[8:9], s[6:7]
	s_xor_b64 s[6:7], exec, s[8:9]
	s_cbranch_execnz .LBB58_2697
; %bb.649:
	s_or_saveexec_b64 s[6:7], s[6:7]
	v_mov_b32_e32 v10, s10
	s_xor_b64 exec, exec, s[6:7]
	s_cbranch_execnz .LBB58_2700
.LBB58_650:
	s_or_b64 exec, exec, s[6:7]
	s_and_saveexec_b64 s[6:7], s[4:5]
	s_cbranch_execz .LBB58_652
.LBB58_651:
	v_bfe_u32 v10, v6, 8, 3
	v_ffbh_u32_e32 v13, v10
	v_min_u32_e32 v13, 32, v13
	v_lshrrev_b16_e32 v12, 3, v11
	v_subrev_u32_e32 v14, 28, v13
	v_and_b32_e32 v12, 15, v12
	v_lshlrev_b32_e32 v11, v14, v11
	v_sub_u32_e32 v13, 29, v13
	v_and_b32_e32 v11, 7, v11
	v_cmp_eq_u16_e32 vcc, 0, v12
	v_cndmask_b32_e32 v10, v10, v11, vcc
	v_cndmask_b32_e32 v11, v12, v13, vcc
	v_lshlrev_b32_e32 v12, 16, v6
	v_mov_b32_e32 v13, 0x3b800000
	v_lshlrev_b32_e32 v10, 20, v10
	v_and_b32_e32 v12, 0x80000000, v12
	v_lshl_add_u32 v11, v11, 23, v13
	v_or3_b32 v10, v12, v11, v10
.LBB58_652:
	s_or_b64 exec, exec, s[6:7]
	v_lshrrev_b32_e32 v11, 8, v2
	s_movk_i32 s4, 0x7f
	v_cmp_gt_i16_sdwa s[6:7], v11, s4 src0_sel:BYTE_0 src1_sel:DWORD
	s_mov_b64 s[4:5], 0
                                        ; implicit-def: $sgpr10
	s_and_saveexec_b64 s[8:9], s[6:7]
	s_xor_b64 s[6:7], exec, s[8:9]
	s_cbranch_execnz .LBB58_2701
; %bb.653:
	s_or_saveexec_b64 s[6:7], s[6:7]
	v_mov_b32_e32 v12, s10
	s_xor_b64 exec, exec, s[6:7]
	s_cbranch_execnz .LBB58_2704
.LBB58_654:
	s_or_b64 exec, exec, s[6:7]
	s_and_saveexec_b64 s[6:7], s[4:5]
	s_cbranch_execz .LBB58_656
.LBB58_655:
	v_bfe_u32 v12, v2, 8, 3
	v_ffbh_u32_e32 v14, v12
	v_min_u32_e32 v14, 32, v14
	v_lshrrev_b16_e32 v13, 3, v11
	v_subrev_u32_e32 v15, 28, v14
	v_and_b32_e32 v13, 15, v13
	v_lshlrev_b32_e32 v11, v15, v11
	v_sub_u32_e32 v14, 29, v14
	v_and_b32_e32 v11, 7, v11
	v_cmp_eq_u16_e32 vcc, 0, v13
	v_cndmask_b32_e32 v11, v12, v11, vcc
	v_cndmask_b32_e32 v12, v13, v14, vcc
	v_lshlrev_b32_e32 v13, 16, v2
	v_mov_b32_e32 v14, 0x3b800000
	v_lshlrev_b32_e32 v11, 20, v11
	v_and_b32_e32 v13, 0x80000000, v13
	v_lshl_add_u32 v12, v12, 23, v14
	v_or3_b32 v12, v13, v12, v11
.LBB58_656:
	s_or_b64 exec, exec, s[6:7]
	s_nop 0
	v_mfma_f32_16x16x4f32 a[0:3], v10, v12, a[0:3]
	s_movk_i32 s4, 0xff
	v_and_b32_sdwa v11, v6, s4 dst_sel:DWORD dst_unused:UNUSED_PAD src0_sel:WORD_1 src1_sel:DWORD
	s_movk_i32 s4, 0x7f
	v_cmp_lt_i16_e32 vcc, s4, v11
	s_mov_b64 s[4:5], 0
                                        ; implicit-def: $sgpr10
	s_and_saveexec_b64 s[6:7], vcc
	s_xor_b64 s[6:7], exec, s[6:7]
	s_cbranch_execnz .LBB58_2705
; %bb.657:
	s_or_saveexec_b64 s[6:7], s[6:7]
	v_mov_b32_e32 v10, s10
	s_xor_b64 exec, exec, s[6:7]
	s_cbranch_execnz .LBB58_2708
.LBB58_658:
	s_or_b64 exec, exec, s[6:7]
	s_and_saveexec_b64 s[6:7], s[4:5]
	s_cbranch_execz .LBB58_660
.LBB58_659:
	v_bfe_u32 v10, v6, 16, 3
	v_ffbh_u32_e32 v13, v10
	v_min_u32_e32 v13, 32, v13
	v_lshrrev_b32_e32 v11, 19, v6
	v_subrev_u32_e32 v14, 28, v13
	v_and_b32_e32 v11, 15, v11
	v_lshlrev_b32_sdwa v14, v14, v6 dst_sel:DWORD dst_unused:UNUSED_PAD src0_sel:DWORD src1_sel:WORD_1
	v_bfe_u32 v12, v6, 19, 4
	v_sub_u32_e32 v13, 29, v13
	v_and_b32_e32 v14, 7, v14
	v_cmp_eq_u16_e32 vcc, 0, v11
	v_cndmask_b32_e32 v10, v10, v14, vcc
	v_cndmask_b32_e32 v11, v12, v13, vcc
	v_lshlrev_b32_e32 v12, 8, v6
	v_mov_b32_e32 v13, 0x3b800000
	v_lshlrev_b32_e32 v10, 20, v10
	v_and_b32_e32 v12, 0x80000000, v12
	v_lshl_add_u32 v11, v11, 23, v13
	v_or3_b32 v10, v12, v11, v10
.LBB58_660:
	s_or_b64 exec, exec, s[6:7]
	s_movk_i32 s4, 0xff
	v_and_b32_sdwa v11, v2, s4 dst_sel:DWORD dst_unused:UNUSED_PAD src0_sel:WORD_1 src1_sel:DWORD
	s_movk_i32 s4, 0x7f
	v_cmp_lt_i16_e32 vcc, s4, v11
	s_mov_b64 s[4:5], 0
                                        ; implicit-def: $sgpr10
	s_and_saveexec_b64 s[6:7], vcc
	s_xor_b64 s[6:7], exec, s[6:7]
	s_cbranch_execnz .LBB58_2709
; %bb.661:
	s_or_saveexec_b64 s[6:7], s[6:7]
	v_mov_b32_e32 v12, s10
	s_xor_b64 exec, exec, s[6:7]
	s_cbranch_execnz .LBB58_2712
.LBB58_662:
	s_or_b64 exec, exec, s[6:7]
	s_and_saveexec_b64 s[6:7], s[4:5]
	s_cbranch_execz .LBB58_664
.LBB58_663:
	v_bfe_u32 v11, v2, 16, 3
	v_ffbh_u32_e32 v14, v11
	v_min_u32_e32 v14, 32, v14
	v_lshrrev_b32_e32 v12, 19, v2
	v_subrev_u32_e32 v15, 28, v14
	v_and_b32_e32 v12, 15, v12
	v_lshlrev_b32_sdwa v15, v15, v2 dst_sel:DWORD dst_unused:UNUSED_PAD src0_sel:DWORD src1_sel:WORD_1
	v_bfe_u32 v13, v2, 19, 4
	v_sub_u32_e32 v14, 29, v14
	v_and_b32_e32 v15, 7, v15
	v_cmp_eq_u16_e32 vcc, 0, v12
	v_cndmask_b32_e32 v11, v11, v15, vcc
	v_cndmask_b32_e32 v12, v13, v14, vcc
	v_lshlrev_b32_e32 v13, 8, v2
	v_mov_b32_e32 v14, 0x3b800000
	v_lshlrev_b32_e32 v11, 20, v11
	v_and_b32_e32 v13, 0x80000000, v13
	v_lshl_add_u32 v12, v12, 23, v14
	v_or3_b32 v12, v13, v12, v11
.LBB58_664:
	s_or_b64 exec, exec, s[6:7]
	s_nop 0
	v_mfma_f32_16x16x4f32 a[0:3], v10, v12, a[0:3]
	s_movk_i32 s4, 0x7f
	v_cmp_gt_i16_sdwa s[6:7], v6, s4 src0_sel:BYTE_3 src1_sel:DWORD
	s_mov_b64 s[4:5], 0
                                        ; implicit-def: $sgpr10
	s_and_saveexec_b64 s[8:9], s[6:7]
	s_xor_b64 s[6:7], exec, s[8:9]
	s_cbranch_execnz .LBB58_2713
; %bb.665:
	s_or_saveexec_b64 s[6:7], s[6:7]
	v_mov_b32_e32 v10, s10
	s_xor_b64 exec, exec, s[6:7]
	s_cbranch_execnz .LBB58_2716
.LBB58_666:
	s_or_b64 exec, exec, s[6:7]
	s_and_saveexec_b64 s[6:7], s[4:5]
	s_cbranch_execz .LBB58_668
.LBB58_667:
	v_bfe_u32 v10, v6, 24, 3
	v_ffbh_u32_e32 v14, v10
	v_min_u32_e32 v14, 32, v14
	v_lshrrev_b32_e32 v12, 27, v6
	v_subrev_u32_e32 v15, 28, v14
	v_and_b32_e32 v11, 0x80000000, v6
	v_and_b32_e32 v12, 15, v12
	v_bfe_u32 v13, v6, 27, 4
	v_lshlrev_b32_sdwa v6, v15, v6 dst_sel:DWORD dst_unused:UNUSED_PAD src0_sel:DWORD src1_sel:BYTE_3
	v_sub_u32_e32 v14, 29, v14
	v_and_b32_e32 v6, 7, v6
	v_cmp_eq_u16_e32 vcc, 0, v12
	v_cndmask_b32_e32 v6, v10, v6, vcc
	v_cndmask_b32_e32 v10, v13, v14, vcc
	v_mov_b32_e32 v12, 0x3b800000
	v_lshlrev_b32_e32 v6, 20, v6
	v_lshl_add_u32 v10, v10, 23, v12
	v_or3_b32 v10, v11, v10, v6
.LBB58_668:
	s_or_b64 exec, exec, s[6:7]
	s_movk_i32 s4, 0x7f
	v_cmp_gt_i16_sdwa s[6:7], v2, s4 src0_sel:BYTE_3 src1_sel:DWORD
	s_mov_b64 s[4:5], 0
                                        ; implicit-def: $sgpr10
	s_and_saveexec_b64 s[8:9], s[6:7]
	s_xor_b64 s[6:7], exec, s[8:9]
	s_cbranch_execnz .LBB58_2717
; %bb.669:
	s_or_saveexec_b64 s[6:7], s[6:7]
	v_mov_b32_e32 v6, s10
	s_xor_b64 exec, exec, s[6:7]
	s_cbranch_execnz .LBB58_2720
.LBB58_670:
	s_or_b64 exec, exec, s[6:7]
	s_and_saveexec_b64 s[6:7], s[4:5]
	s_cbranch_execz .LBB58_672
.LBB58_671:
	v_bfe_u32 v6, v2, 24, 3
	v_ffbh_u32_e32 v14, v6
	v_min_u32_e32 v14, 32, v14
	v_lshrrev_b32_e32 v12, 27, v2
	v_subrev_u32_e32 v15, 28, v14
	v_and_b32_e32 v11, 0x80000000, v2
	v_and_b32_e32 v12, 15, v12
	v_bfe_u32 v13, v2, 27, 4
	v_lshlrev_b32_sdwa v2, v15, v2 dst_sel:DWORD dst_unused:UNUSED_PAD src0_sel:DWORD src1_sel:BYTE_3
	v_sub_u32_e32 v14, 29, v14
	v_and_b32_e32 v2, 7, v2
	v_cmp_eq_u16_e32 vcc, 0, v12
	v_cndmask_b32_e32 v2, v6, v2, vcc
	v_cndmask_b32_e32 v6, v13, v14, vcc
	v_mov_b32_e32 v12, 0x3b800000
	v_lshlrev_b32_e32 v2, 20, v2
	v_lshl_add_u32 v6, v6, 23, v12
	v_or3_b32 v6, v11, v6, v2
.LBB58_672:
	s_or_b64 exec, exec, s[6:7]
	s_nop 0
	v_mfma_f32_16x16x4f32 a[0:3], v10, v6, a[0:3]
	s_movk_i32 s4, 0x7f
	v_cmp_gt_i16_sdwa s[6:7], v7, s4 src0_sel:BYTE_0 src1_sel:DWORD
	s_mov_b64 s[4:5], 0
                                        ; implicit-def: $sgpr10
	s_and_saveexec_b64 s[8:9], s[6:7]
	s_xor_b64 s[6:7], exec, s[8:9]
	s_cbranch_execnz .LBB58_2721
; %bb.673:
	s_or_saveexec_b64 s[6:7], s[6:7]
	v_mov_b32_e32 v2, s10
	s_xor_b64 exec, exec, s[6:7]
	s_cbranch_execnz .LBB58_2724
.LBB58_674:
	s_or_b64 exec, exec, s[6:7]
	s_and_saveexec_b64 s[6:7], s[4:5]
	s_cbranch_execz .LBB58_676
.LBB58_675:
	v_and_b32_e32 v2, 7, v7
	v_ffbh_u32_e32 v10, v2
	v_min_u32_e32 v10, 32, v10
	v_lshrrev_b16_e32 v6, 3, v7
	v_subrev_u32_e32 v11, 28, v10
	v_and_b32_e32 v6, 15, v6
	v_lshlrev_b32_e32 v11, v11, v7
	v_sub_u32_e32 v10, 29, v10
	v_and_b32_e32 v11, 7, v11
	v_cmp_eq_u16_e32 vcc, 0, v6
	v_cndmask_b32_e32 v2, v2, v11, vcc
	v_cndmask_b32_e32 v6, v6, v10, vcc
	v_lshlrev_b32_e32 v10, 24, v7
	v_mov_b32_e32 v11, 0x3b800000
	v_lshlrev_b32_e32 v2, 20, v2
	v_and_b32_e32 v10, 0x80000000, v10
	v_lshl_add_u32 v6, v6, 23, v11
	v_or3_b32 v2, v10, v6, v2
.LBB58_676:
	s_or_b64 exec, exec, s[6:7]
	s_movk_i32 s4, 0x7f
	v_cmp_gt_i16_sdwa s[6:7], v3, s4 src0_sel:BYTE_0 src1_sel:DWORD
	s_mov_b64 s[4:5], 0
                                        ; implicit-def: $sgpr10
	s_and_saveexec_b64 s[8:9], s[6:7]
	s_xor_b64 s[6:7], exec, s[8:9]
	s_cbranch_execnz .LBB58_2725
; %bb.677:
	s_or_saveexec_b64 s[6:7], s[6:7]
	v_mov_b32_e32 v6, s10
	s_xor_b64 exec, exec, s[6:7]
	s_cbranch_execnz .LBB58_2728
.LBB58_678:
	s_or_b64 exec, exec, s[6:7]
	s_and_saveexec_b64 s[6:7], s[4:5]
	s_cbranch_execz .LBB58_680
.LBB58_679:
	v_and_b32_e32 v6, 7, v3
	v_ffbh_u32_e32 v11, v6
	v_min_u32_e32 v11, 32, v11
	v_lshrrev_b16_e32 v10, 3, v3
	v_subrev_u32_e32 v12, 28, v11
	v_and_b32_e32 v10, 15, v10
	v_lshlrev_b32_e32 v12, v12, v3
	v_sub_u32_e32 v11, 29, v11
	v_and_b32_e32 v12, 7, v12
	v_cmp_eq_u16_e32 vcc, 0, v10
	v_cndmask_b32_e32 v6, v6, v12, vcc
	v_cndmask_b32_e32 v10, v10, v11, vcc
	v_lshlrev_b32_e32 v11, 24, v3
	v_mov_b32_e32 v12, 0x3b800000
	v_lshlrev_b32_e32 v6, 20, v6
	v_and_b32_e32 v11, 0x80000000, v11
	v_lshl_add_u32 v10, v10, 23, v12
	v_or3_b32 v6, v11, v10, v6
.LBB58_680:
	s_or_b64 exec, exec, s[6:7]
	s_nop 0
	v_mfma_f32_16x16x4f32 a[0:3], v2, v6, a[0:3]
	v_lshrrev_b32_e32 v6, 8, v7
	s_movk_i32 s4, 0x7f
	v_cmp_gt_i16_sdwa s[6:7], v6, s4 src0_sel:BYTE_0 src1_sel:DWORD
	s_mov_b64 s[4:5], 0
                                        ; implicit-def: $sgpr10
	s_and_saveexec_b64 s[8:9], s[6:7]
	s_xor_b64 s[6:7], exec, s[8:9]
	s_cbranch_execnz .LBB58_2729
; %bb.681:
	s_or_saveexec_b64 s[6:7], s[6:7]
	v_mov_b32_e32 v2, s10
	s_xor_b64 exec, exec, s[6:7]
	s_cbranch_execnz .LBB58_2732
.LBB58_682:
	s_or_b64 exec, exec, s[6:7]
	s_and_saveexec_b64 s[6:7], s[4:5]
	s_cbranch_execz .LBB58_684
.LBB58_683:
	v_bfe_u32 v2, v7, 8, 3
	v_ffbh_u32_e32 v11, v2
	v_min_u32_e32 v11, 32, v11
	v_lshrrev_b16_e32 v10, 3, v6
	v_subrev_u32_e32 v12, 28, v11
	v_and_b32_e32 v10, 15, v10
	v_lshlrev_b32_e32 v6, v12, v6
	v_sub_u32_e32 v11, 29, v11
	v_and_b32_e32 v6, 7, v6
	v_cmp_eq_u16_e32 vcc, 0, v10
	v_cndmask_b32_e32 v2, v2, v6, vcc
	v_cndmask_b32_e32 v6, v10, v11, vcc
	v_lshlrev_b32_e32 v10, 16, v7
	v_mov_b32_e32 v11, 0x3b800000
	v_lshlrev_b32_e32 v2, 20, v2
	v_and_b32_e32 v10, 0x80000000, v10
	v_lshl_add_u32 v6, v6, 23, v11
	v_or3_b32 v2, v10, v6, v2
.LBB58_684:
	s_or_b64 exec, exec, s[6:7]
	v_lshrrev_b32_e32 v6, 8, v3
	s_movk_i32 s4, 0x7f
	v_cmp_gt_i16_sdwa s[6:7], v6, s4 src0_sel:BYTE_0 src1_sel:DWORD
	s_mov_b64 s[4:5], 0
                                        ; implicit-def: $sgpr10
	s_and_saveexec_b64 s[8:9], s[6:7]
	s_xor_b64 s[6:7], exec, s[8:9]
	s_cbranch_execnz .LBB58_2733
; %bb.685:
	s_or_saveexec_b64 s[6:7], s[6:7]
	v_mov_b32_e32 v10, s10
	s_xor_b64 exec, exec, s[6:7]
	s_cbranch_execnz .LBB58_2736
.LBB58_686:
	s_or_b64 exec, exec, s[6:7]
	s_and_saveexec_b64 s[6:7], s[4:5]
	s_cbranch_execz .LBB58_688
.LBB58_687:
	v_bfe_u32 v10, v3, 8, 3
	v_ffbh_u32_e32 v12, v10
	v_min_u32_e32 v12, 32, v12
	v_lshrrev_b16_e32 v11, 3, v6
	v_subrev_u32_e32 v13, 28, v12
	v_and_b32_e32 v11, 15, v11
	v_lshlrev_b32_e32 v6, v13, v6
	v_sub_u32_e32 v12, 29, v12
	v_and_b32_e32 v6, 7, v6
	v_cmp_eq_u16_e32 vcc, 0, v11
	v_cndmask_b32_e32 v6, v10, v6, vcc
	v_cndmask_b32_e32 v10, v11, v12, vcc
	v_lshlrev_b32_e32 v11, 16, v3
	v_mov_b32_e32 v12, 0x3b800000
	v_lshlrev_b32_e32 v6, 20, v6
	v_and_b32_e32 v11, 0x80000000, v11
	v_lshl_add_u32 v10, v10, 23, v12
	v_or3_b32 v10, v11, v10, v6
.LBB58_688:
	s_or_b64 exec, exec, s[6:7]
	s_nop 0
	v_mfma_f32_16x16x4f32 a[0:3], v2, v10, a[0:3]
	s_movk_i32 s4, 0xff
	v_and_b32_sdwa v6, v7, s4 dst_sel:DWORD dst_unused:UNUSED_PAD src0_sel:WORD_1 src1_sel:DWORD
	s_movk_i32 s4, 0x7f
	v_cmp_lt_i16_e32 vcc, s4, v6
	s_mov_b64 s[4:5], 0
                                        ; implicit-def: $sgpr10
	s_and_saveexec_b64 s[6:7], vcc
	s_xor_b64 s[6:7], exec, s[6:7]
	s_cbranch_execnz .LBB58_2737
; %bb.689:
	s_or_saveexec_b64 s[6:7], s[6:7]
	v_mov_b32_e32 v2, s10
	s_xor_b64 exec, exec, s[6:7]
	s_cbranch_execnz .LBB58_2740
.LBB58_690:
	s_or_b64 exec, exec, s[6:7]
	s_and_saveexec_b64 s[6:7], s[4:5]
	s_cbranch_execz .LBB58_692
.LBB58_691:
	v_bfe_u32 v2, v7, 16, 3
	v_ffbh_u32_e32 v11, v2
	v_min_u32_e32 v11, 32, v11
	v_lshrrev_b32_e32 v6, 19, v7
	v_subrev_u32_e32 v12, 28, v11
	v_and_b32_e32 v6, 15, v6
	v_lshlrev_b32_sdwa v12, v12, v7 dst_sel:DWORD dst_unused:UNUSED_PAD src0_sel:DWORD src1_sel:WORD_1
	v_bfe_u32 v10, v7, 19, 4
	v_sub_u32_e32 v11, 29, v11
	v_and_b32_e32 v12, 7, v12
	v_cmp_eq_u16_e32 vcc, 0, v6
	v_cndmask_b32_e32 v2, v2, v12, vcc
	v_cndmask_b32_e32 v6, v10, v11, vcc
	v_lshlrev_b32_e32 v10, 8, v7
	v_mov_b32_e32 v11, 0x3b800000
	v_lshlrev_b32_e32 v2, 20, v2
	v_and_b32_e32 v10, 0x80000000, v10
	v_lshl_add_u32 v6, v6, 23, v11
	v_or3_b32 v2, v10, v6, v2
.LBB58_692:
	s_or_b64 exec, exec, s[6:7]
	s_movk_i32 s4, 0xff
	v_and_b32_sdwa v6, v3, s4 dst_sel:DWORD dst_unused:UNUSED_PAD src0_sel:WORD_1 src1_sel:DWORD
	s_movk_i32 s4, 0x7f
	v_cmp_lt_i16_e32 vcc, s4, v6
	s_mov_b64 s[4:5], 0
                                        ; implicit-def: $sgpr10
	s_and_saveexec_b64 s[6:7], vcc
	s_xor_b64 s[6:7], exec, s[6:7]
	s_cbranch_execnz .LBB58_2741
; %bb.693:
	s_or_saveexec_b64 s[6:7], s[6:7]
	v_mov_b32_e32 v10, s10
	s_xor_b64 exec, exec, s[6:7]
	s_cbranch_execnz .LBB58_2744
.LBB58_694:
	s_or_b64 exec, exec, s[6:7]
	s_and_saveexec_b64 s[6:7], s[4:5]
	s_cbranch_execz .LBB58_696
.LBB58_695:
	v_bfe_u32 v6, v3, 16, 3
	v_ffbh_u32_e32 v12, v6
	v_min_u32_e32 v12, 32, v12
	v_lshrrev_b32_e32 v10, 19, v3
	v_subrev_u32_e32 v13, 28, v12
	v_and_b32_e32 v10, 15, v10
	v_lshlrev_b32_sdwa v13, v13, v3 dst_sel:DWORD dst_unused:UNUSED_PAD src0_sel:DWORD src1_sel:WORD_1
	v_bfe_u32 v11, v3, 19, 4
	v_sub_u32_e32 v12, 29, v12
	v_and_b32_e32 v13, 7, v13
	v_cmp_eq_u16_e32 vcc, 0, v10
	v_cndmask_b32_e32 v6, v6, v13, vcc
	v_cndmask_b32_e32 v10, v11, v12, vcc
	v_lshlrev_b32_e32 v11, 8, v3
	v_mov_b32_e32 v12, 0x3b800000
	v_lshlrev_b32_e32 v6, 20, v6
	v_and_b32_e32 v11, 0x80000000, v11
	v_lshl_add_u32 v10, v10, 23, v12
	v_or3_b32 v10, v11, v10, v6
.LBB58_696:
	s_or_b64 exec, exec, s[6:7]
	s_nop 0
	v_mfma_f32_16x16x4f32 a[0:3], v2, v10, a[0:3]
	s_movk_i32 s4, 0x7f
	v_cmp_gt_i16_sdwa s[6:7], v7, s4 src0_sel:BYTE_3 src1_sel:DWORD
	s_mov_b64 s[4:5], 0
                                        ; implicit-def: $sgpr10
	s_and_saveexec_b64 s[8:9], s[6:7]
	s_xor_b64 s[6:7], exec, s[8:9]
	s_cbranch_execnz .LBB58_2745
; %bb.697:
	s_or_saveexec_b64 s[6:7], s[6:7]
	v_mov_b32_e32 v2, s10
	s_xor_b64 exec, exec, s[6:7]
	s_cbranch_execnz .LBB58_2748
.LBB58_698:
	s_or_b64 exec, exec, s[6:7]
	s_and_saveexec_b64 s[6:7], s[4:5]
	s_cbranch_execz .LBB58_700
.LBB58_699:
	v_bfe_u32 v2, v7, 24, 3
	v_ffbh_u32_e32 v12, v2
	v_min_u32_e32 v12, 32, v12
	v_lshrrev_b32_e32 v10, 27, v7
	v_subrev_u32_e32 v13, 28, v12
	v_and_b32_e32 v6, 0x80000000, v7
	v_and_b32_e32 v10, 15, v10
	v_bfe_u32 v11, v7, 27, 4
	v_lshlrev_b32_sdwa v7, v13, v7 dst_sel:DWORD dst_unused:UNUSED_PAD src0_sel:DWORD src1_sel:BYTE_3
	v_sub_u32_e32 v12, 29, v12
	v_and_b32_e32 v7, 7, v7
	v_cmp_eq_u16_e32 vcc, 0, v10
	v_cndmask_b32_e32 v2, v2, v7, vcc
	v_cndmask_b32_e32 v7, v11, v12, vcc
	v_mov_b32_e32 v10, 0x3b800000
	v_lshlrev_b32_e32 v2, 20, v2
	v_lshl_add_u32 v7, v7, 23, v10
	v_or3_b32 v2, v6, v7, v2
.LBB58_700:
	s_or_b64 exec, exec, s[6:7]
	s_movk_i32 s4, 0x7f
	v_cmp_gt_i16_sdwa s[6:7], v3, s4 src0_sel:BYTE_3 src1_sel:DWORD
	s_mov_b64 s[4:5], 0
                                        ; implicit-def: $sgpr10
	s_and_saveexec_b64 s[8:9], s[6:7]
	s_xor_b64 s[6:7], exec, s[8:9]
	s_cbranch_execnz .LBB58_2749
; %bb.701:
	s_or_saveexec_b64 s[6:7], s[6:7]
	v_mov_b32_e32 v6, s10
	s_xor_b64 exec, exec, s[6:7]
	s_cbranch_execnz .LBB58_2752
.LBB58_702:
	s_or_b64 exec, exec, s[6:7]
	s_and_saveexec_b64 s[6:7], s[4:5]
	s_cbranch_execz .LBB58_704
.LBB58_703:
	v_bfe_u32 v6, v3, 24, 3
	v_ffbh_u32_e32 v12, v6
	v_min_u32_e32 v12, 32, v12
	v_lshrrev_b32_e32 v10, 27, v3
	v_subrev_u32_e32 v13, 28, v12
	v_and_b32_e32 v7, 0x80000000, v3
	v_and_b32_e32 v10, 15, v10
	v_bfe_u32 v11, v3, 27, 4
	v_lshlrev_b32_sdwa v3, v13, v3 dst_sel:DWORD dst_unused:UNUSED_PAD src0_sel:DWORD src1_sel:BYTE_3
	v_sub_u32_e32 v12, 29, v12
	v_and_b32_e32 v3, 7, v3
	v_cmp_eq_u16_e32 vcc, 0, v10
	v_cndmask_b32_e32 v3, v6, v3, vcc
	v_cndmask_b32_e32 v6, v11, v12, vcc
	v_mov_b32_e32 v10, 0x3b800000
	v_lshlrev_b32_e32 v3, 20, v3
	v_lshl_add_u32 v6, v6, 23, v10
	v_or3_b32 v6, v7, v6, v3
.LBB58_704:
	s_or_b64 exec, exec, s[6:7]
	s_nop 0
	v_mfma_f32_16x16x4f32 a[0:3], v2, v6, a[0:3]
	s_movk_i32 s4, 0x7f
	v_cmp_gt_i16_sdwa s[6:7], v8, s4 src0_sel:BYTE_0 src1_sel:DWORD
	s_mov_b64 s[4:5], 0
                                        ; implicit-def: $sgpr10
	s_and_saveexec_b64 s[8:9], s[6:7]
	s_xor_b64 s[6:7], exec, s[8:9]
	s_cbranch_execnz .LBB58_2753
; %bb.705:
	s_or_saveexec_b64 s[6:7], s[6:7]
	v_mov_b32_e32 v2, s10
	s_xor_b64 exec, exec, s[6:7]
	s_cbranch_execnz .LBB58_2756
.LBB58_706:
	s_or_b64 exec, exec, s[6:7]
	s_and_saveexec_b64 s[6:7], s[4:5]
	s_cbranch_execz .LBB58_708
.LBB58_707:
	v_and_b32_e32 v2, 7, v8
	v_ffbh_u32_e32 v6, v2
	v_min_u32_e32 v6, 32, v6
	v_lshrrev_b16_e32 v3, 3, v8
	v_subrev_u32_e32 v7, 28, v6
	v_and_b32_e32 v3, 15, v3
	v_lshlrev_b32_e32 v7, v7, v8
	v_sub_u32_e32 v6, 29, v6
	v_and_b32_e32 v7, 7, v7
	v_cmp_eq_u16_e32 vcc, 0, v3
	v_cndmask_b32_e32 v2, v2, v7, vcc
	v_cndmask_b32_e32 v3, v3, v6, vcc
	v_lshlrev_b32_e32 v6, 24, v8
	v_mov_b32_e32 v7, 0x3b800000
	v_lshlrev_b32_e32 v2, 20, v2
	v_and_b32_e32 v6, 0x80000000, v6
	v_lshl_add_u32 v3, v3, 23, v7
	v_or3_b32 v2, v6, v3, v2
.LBB58_708:
	s_or_b64 exec, exec, s[6:7]
	s_movk_i32 s4, 0x7f
	v_cmp_gt_i16_sdwa s[6:7], v4, s4 src0_sel:BYTE_0 src1_sel:DWORD
	s_mov_b64 s[4:5], 0
                                        ; implicit-def: $sgpr10
	s_and_saveexec_b64 s[8:9], s[6:7]
	s_xor_b64 s[6:7], exec, s[8:9]
	s_cbranch_execnz .LBB58_2757
; %bb.709:
	s_or_saveexec_b64 s[6:7], s[6:7]
	v_mov_b32_e32 v3, s10
	s_xor_b64 exec, exec, s[6:7]
	s_cbranch_execnz .LBB58_2760
.LBB58_710:
	s_or_b64 exec, exec, s[6:7]
	s_and_saveexec_b64 s[6:7], s[4:5]
	s_cbranch_execz .LBB58_712
.LBB58_711:
	v_and_b32_e32 v3, 7, v4
	v_ffbh_u32_e32 v7, v3
	v_min_u32_e32 v7, 32, v7
	v_lshrrev_b16_e32 v6, 3, v4
	v_subrev_u32_e32 v10, 28, v7
	v_and_b32_e32 v6, 15, v6
	v_lshlrev_b32_e32 v10, v10, v4
	v_sub_u32_e32 v7, 29, v7
	v_and_b32_e32 v10, 7, v10
	v_cmp_eq_u16_e32 vcc, 0, v6
	v_cndmask_b32_e32 v3, v3, v10, vcc
	v_cndmask_b32_e32 v6, v6, v7, vcc
	v_lshlrev_b32_e32 v7, 24, v4
	v_mov_b32_e32 v10, 0x3b800000
	v_lshlrev_b32_e32 v3, 20, v3
	v_and_b32_e32 v7, 0x80000000, v7
	v_lshl_add_u32 v6, v6, 23, v10
	v_or3_b32 v3, v7, v6, v3
.LBB58_712:
	s_or_b64 exec, exec, s[6:7]
	s_nop 0
	v_mfma_f32_16x16x4f32 a[0:3], v2, v3, a[0:3]
	v_lshrrev_b32_e32 v3, 8, v8
	s_movk_i32 s4, 0x7f
	v_cmp_gt_i16_sdwa s[6:7], v3, s4 src0_sel:BYTE_0 src1_sel:DWORD
	s_mov_b64 s[4:5], 0
                                        ; implicit-def: $sgpr10
	s_and_saveexec_b64 s[8:9], s[6:7]
	s_xor_b64 s[6:7], exec, s[8:9]
	s_cbranch_execnz .LBB58_2761
; %bb.713:
	s_or_saveexec_b64 s[6:7], s[6:7]
	v_mov_b32_e32 v2, s10
	s_xor_b64 exec, exec, s[6:7]
	s_cbranch_execnz .LBB58_2764
.LBB58_714:
	s_or_b64 exec, exec, s[6:7]
	s_and_saveexec_b64 s[6:7], s[4:5]
	s_cbranch_execz .LBB58_716
.LBB58_715:
	v_bfe_u32 v2, v8, 8, 3
	v_ffbh_u32_e32 v7, v2
	v_min_u32_e32 v7, 32, v7
	v_lshrrev_b16_e32 v6, 3, v3
	v_subrev_u32_e32 v10, 28, v7
	v_and_b32_e32 v6, 15, v6
	v_lshlrev_b32_e32 v3, v10, v3
	v_sub_u32_e32 v7, 29, v7
	v_and_b32_e32 v3, 7, v3
	v_cmp_eq_u16_e32 vcc, 0, v6
	v_cndmask_b32_e32 v2, v2, v3, vcc
	v_cndmask_b32_e32 v3, v6, v7, vcc
	v_lshlrev_b32_e32 v6, 16, v8
	v_mov_b32_e32 v7, 0x3b800000
	v_lshlrev_b32_e32 v2, 20, v2
	v_and_b32_e32 v6, 0x80000000, v6
	v_lshl_add_u32 v3, v3, 23, v7
	v_or3_b32 v2, v6, v3, v2
.LBB58_716:
	s_or_b64 exec, exec, s[6:7]
	v_lshrrev_b32_e32 v3, 8, v4
	s_movk_i32 s4, 0x7f
	v_cmp_gt_i16_sdwa s[6:7], v3, s4 src0_sel:BYTE_0 src1_sel:DWORD
	s_mov_b64 s[4:5], 0
                                        ; implicit-def: $sgpr10
	s_and_saveexec_b64 s[8:9], s[6:7]
	s_xor_b64 s[6:7], exec, s[8:9]
	s_cbranch_execnz .LBB58_2765
; %bb.717:
	s_or_saveexec_b64 s[6:7], s[6:7]
	v_mov_b32_e32 v6, s10
	s_xor_b64 exec, exec, s[6:7]
	s_cbranch_execnz .LBB58_2768
.LBB58_718:
	s_or_b64 exec, exec, s[6:7]
	s_and_saveexec_b64 s[6:7], s[4:5]
	s_cbranch_execz .LBB58_720
.LBB58_719:
	v_bfe_u32 v6, v4, 8, 3
	v_ffbh_u32_e32 v10, v6
	v_min_u32_e32 v10, 32, v10
	v_lshrrev_b16_e32 v7, 3, v3
	v_subrev_u32_e32 v11, 28, v10
	v_and_b32_e32 v7, 15, v7
	v_lshlrev_b32_e32 v3, v11, v3
	v_sub_u32_e32 v10, 29, v10
	v_and_b32_e32 v3, 7, v3
	v_cmp_eq_u16_e32 vcc, 0, v7
	v_cndmask_b32_e32 v3, v6, v3, vcc
	v_cndmask_b32_e32 v6, v7, v10, vcc
	v_lshlrev_b32_e32 v7, 16, v4
	v_mov_b32_e32 v10, 0x3b800000
	v_lshlrev_b32_e32 v3, 20, v3
	v_and_b32_e32 v7, 0x80000000, v7
	v_lshl_add_u32 v6, v6, 23, v10
	v_or3_b32 v6, v7, v6, v3
.LBB58_720:
	s_or_b64 exec, exec, s[6:7]
	s_nop 0
	v_mfma_f32_16x16x4f32 a[0:3], v2, v6, a[0:3]
	s_movk_i32 s4, 0xff
	v_and_b32_sdwa v3, v8, s4 dst_sel:DWORD dst_unused:UNUSED_PAD src0_sel:WORD_1 src1_sel:DWORD
	s_movk_i32 s4, 0x7f
	v_cmp_lt_i16_e32 vcc, s4, v3
	s_mov_b64 s[4:5], 0
                                        ; implicit-def: $sgpr10
	s_and_saveexec_b64 s[6:7], vcc
	s_xor_b64 s[6:7], exec, s[6:7]
	s_cbranch_execnz .LBB58_2769
; %bb.721:
	s_or_saveexec_b64 s[6:7], s[6:7]
	v_mov_b32_e32 v2, s10
	s_xor_b64 exec, exec, s[6:7]
	s_cbranch_execnz .LBB58_2772
.LBB58_722:
	s_or_b64 exec, exec, s[6:7]
	s_and_saveexec_b64 s[6:7], s[4:5]
	s_cbranch_execz .LBB58_724
.LBB58_723:
	v_bfe_u32 v2, v8, 16, 3
	v_ffbh_u32_e32 v7, v2
	v_min_u32_e32 v7, 32, v7
	v_lshrrev_b32_e32 v3, 19, v8
	v_subrev_u32_e32 v10, 28, v7
	v_and_b32_e32 v3, 15, v3
	v_lshlrev_b32_sdwa v10, v10, v8 dst_sel:DWORD dst_unused:UNUSED_PAD src0_sel:DWORD src1_sel:WORD_1
	v_bfe_u32 v6, v8, 19, 4
	v_sub_u32_e32 v7, 29, v7
	v_and_b32_e32 v10, 7, v10
	v_cmp_eq_u16_e32 vcc, 0, v3
	v_cndmask_b32_e32 v2, v2, v10, vcc
	v_cndmask_b32_e32 v3, v6, v7, vcc
	v_lshlrev_b32_e32 v6, 8, v8
	v_mov_b32_e32 v7, 0x3b800000
	v_lshlrev_b32_e32 v2, 20, v2
	v_and_b32_e32 v6, 0x80000000, v6
	v_lshl_add_u32 v3, v3, 23, v7
	v_or3_b32 v2, v6, v3, v2
.LBB58_724:
	s_or_b64 exec, exec, s[6:7]
	s_movk_i32 s4, 0xff
	v_and_b32_sdwa v3, v4, s4 dst_sel:DWORD dst_unused:UNUSED_PAD src0_sel:WORD_1 src1_sel:DWORD
	s_movk_i32 s4, 0x7f
	v_cmp_lt_i16_e32 vcc, s4, v3
	s_mov_b64 s[4:5], 0
                                        ; implicit-def: $sgpr10
	s_and_saveexec_b64 s[6:7], vcc
	s_xor_b64 s[6:7], exec, s[6:7]
	s_cbranch_execnz .LBB58_2773
; %bb.725:
	s_or_saveexec_b64 s[6:7], s[6:7]
	v_mov_b32_e32 v6, s10
	s_xor_b64 exec, exec, s[6:7]
	s_cbranch_execnz .LBB58_2776
.LBB58_726:
	s_or_b64 exec, exec, s[6:7]
	s_and_saveexec_b64 s[6:7], s[4:5]
	s_cbranch_execz .LBB58_728
.LBB58_727:
	v_bfe_u32 v3, v4, 16, 3
	v_ffbh_u32_e32 v10, v3
	v_min_u32_e32 v10, 32, v10
	v_lshrrev_b32_e32 v6, 19, v4
	v_subrev_u32_e32 v11, 28, v10
	v_and_b32_e32 v6, 15, v6
	v_lshlrev_b32_sdwa v11, v11, v4 dst_sel:DWORD dst_unused:UNUSED_PAD src0_sel:DWORD src1_sel:WORD_1
	v_bfe_u32 v7, v4, 19, 4
	v_sub_u32_e32 v10, 29, v10
	v_and_b32_e32 v11, 7, v11
	v_cmp_eq_u16_e32 vcc, 0, v6
	v_cndmask_b32_e32 v3, v3, v11, vcc
	v_cndmask_b32_e32 v6, v7, v10, vcc
	v_lshlrev_b32_e32 v7, 8, v4
	v_mov_b32_e32 v10, 0x3b800000
	v_lshlrev_b32_e32 v3, 20, v3
	v_and_b32_e32 v7, 0x80000000, v7
	v_lshl_add_u32 v6, v6, 23, v10
	v_or3_b32 v6, v7, v6, v3
.LBB58_728:
	s_or_b64 exec, exec, s[6:7]
	s_nop 0
	v_mfma_f32_16x16x4f32 a[0:3], v2, v6, a[0:3]
	s_movk_i32 s4, 0x7f
	v_cmp_gt_i16_sdwa s[6:7], v8, s4 src0_sel:BYTE_3 src1_sel:DWORD
	s_mov_b64 s[4:5], 0
                                        ; implicit-def: $sgpr10
	s_and_saveexec_b64 s[8:9], s[6:7]
	s_xor_b64 s[6:7], exec, s[8:9]
	s_cbranch_execnz .LBB58_2777
; %bb.729:
	s_or_saveexec_b64 s[6:7], s[6:7]
	v_mov_b32_e32 v2, s10
	s_xor_b64 exec, exec, s[6:7]
	s_cbranch_execnz .LBB58_2780
.LBB58_730:
	s_or_b64 exec, exec, s[6:7]
	s_and_saveexec_b64 s[6:7], s[4:5]
	s_cbranch_execz .LBB58_732
.LBB58_731:
	v_bfe_u32 v2, v8, 24, 3
	v_ffbh_u32_e32 v10, v2
	v_min_u32_e32 v10, 32, v10
	v_lshrrev_b32_e32 v6, 27, v8
	v_subrev_u32_e32 v11, 28, v10
	v_and_b32_e32 v3, 0x80000000, v8
	v_and_b32_e32 v6, 15, v6
	v_bfe_u32 v7, v8, 27, 4
	v_lshlrev_b32_sdwa v8, v11, v8 dst_sel:DWORD dst_unused:UNUSED_PAD src0_sel:DWORD src1_sel:BYTE_3
	v_sub_u32_e32 v10, 29, v10
	v_and_b32_e32 v8, 7, v8
	v_cmp_eq_u16_e32 vcc, 0, v6
	v_cndmask_b32_e32 v2, v2, v8, vcc
	v_cndmask_b32_e32 v6, v7, v10, vcc
	v_mov_b32_e32 v7, 0x3b800000
	v_lshlrev_b32_e32 v2, 20, v2
	v_lshl_add_u32 v6, v6, 23, v7
	v_or3_b32 v2, v3, v6, v2
.LBB58_732:
	s_or_b64 exec, exec, s[6:7]
	s_movk_i32 s4, 0x7f
	v_cmp_gt_i16_sdwa s[6:7], v4, s4 src0_sel:BYTE_3 src1_sel:DWORD
	s_mov_b64 s[4:5], 0
                                        ; implicit-def: $sgpr10
	s_and_saveexec_b64 s[8:9], s[6:7]
	s_xor_b64 s[6:7], exec, s[8:9]
	s_cbranch_execnz .LBB58_2781
; %bb.733:
	s_or_saveexec_b64 s[6:7], s[6:7]
	v_mov_b32_e32 v3, s10
	s_xor_b64 exec, exec, s[6:7]
	s_cbranch_execnz .LBB58_2784
.LBB58_734:
	s_or_b64 exec, exec, s[6:7]
	s_and_saveexec_b64 s[6:7], s[4:5]
	s_cbranch_execz .LBB58_736
.LBB58_735:
	v_bfe_u32 v3, v4, 24, 3
	v_ffbh_u32_e32 v10, v3
	v_min_u32_e32 v10, 32, v10
	v_lshrrev_b32_e32 v7, 27, v4
	v_subrev_u32_e32 v11, 28, v10
	v_and_b32_e32 v6, 0x80000000, v4
	v_and_b32_e32 v7, 15, v7
	v_bfe_u32 v8, v4, 27, 4
	v_lshlrev_b32_sdwa v4, v11, v4 dst_sel:DWORD dst_unused:UNUSED_PAD src0_sel:DWORD src1_sel:BYTE_3
	v_sub_u32_e32 v10, 29, v10
	v_and_b32_e32 v4, 7, v4
	v_cmp_eq_u16_e32 vcc, 0, v7
	v_cndmask_b32_e32 v3, v3, v4, vcc
	v_cndmask_b32_e32 v4, v8, v10, vcc
	v_mov_b32_e32 v7, 0x3b800000
	v_lshlrev_b32_e32 v3, 20, v3
	v_lshl_add_u32 v4, v4, 23, v7
	v_or3_b32 v3, v6, v4, v3
.LBB58_736:
	s_or_b64 exec, exec, s[6:7]
	s_nop 0
	v_mfma_f32_16x16x4f32 a[0:3], v2, v3, a[0:3]
	s_movk_i32 s4, 0x7f
	v_cmp_gt_i16_sdwa s[6:7], v9, s4 src0_sel:BYTE_0 src1_sel:DWORD
	s_mov_b64 s[4:5], 0
                                        ; implicit-def: $sgpr10
	s_and_saveexec_b64 s[8:9], s[6:7]
	s_xor_b64 s[6:7], exec, s[8:9]
	s_cbranch_execnz .LBB58_2785
; %bb.737:
	s_or_saveexec_b64 s[6:7], s[6:7]
	v_mov_b32_e32 v2, s10
	s_xor_b64 exec, exec, s[6:7]
	s_cbranch_execnz .LBB58_2788
.LBB58_738:
	s_or_b64 exec, exec, s[6:7]
	s_and_saveexec_b64 s[6:7], s[4:5]
	s_cbranch_execz .LBB58_740
.LBB58_739:
	v_mov_b32_e32 v2, 8
	v_and_b32_e32 v3, 7, v9
	v_lshrrev_b32_sdwa v2, v2, v9 dst_sel:BYTE_1 dst_unused:UNUSED_PAD src0_sel:DWORD src1_sel:DWORD
	v_ffbh_u32_e32 v4, v3
	v_or_b32_sdwa v2, v9, v2 dst_sel:DWORD dst_unused:UNUSED_PAD src0_sel:BYTE_0 src1_sel:DWORD
	v_min_u32_e32 v4, 32, v4
	v_lshrrev_b16_e32 v2, 3, v2
	v_subrev_u32_e32 v6, 28, v4
	v_and_b32_e32 v2, 15, v2
	v_lshlrev_b32_e32 v6, v6, v9
	v_sub_u32_e32 v4, 29, v4
	v_and_b32_e32 v6, 7, v6
	v_cmp_eq_u16_e32 vcc, 0, v2
	v_cndmask_b32_e32 v3, v3, v6, vcc
	v_cndmask_b32_e32 v2, v2, v4, vcc
	v_lshlrev_b32_e32 v4, 24, v9
	v_mov_b32_e32 v6, 0x3b800000
	v_lshlrev_b32_e32 v3, 20, v3
	v_and_b32_e32 v4, 0x80000000, v4
	v_lshl_add_u32 v2, v2, 23, v6
	v_or3_b32 v2, v4, v2, v3
.LBB58_740:
	s_or_b64 exec, exec, s[6:7]
	s_movk_i32 s4, 0x7f
	v_cmp_gt_i16_sdwa s[6:7], v5, s4 src0_sel:BYTE_0 src1_sel:DWORD
	s_mov_b64 s[4:5], 0
                                        ; implicit-def: $sgpr10
	s_and_saveexec_b64 s[8:9], s[6:7]
	s_xor_b64 s[6:7], exec, s[8:9]
	s_cbranch_execnz .LBB58_2789
; %bb.741:
	s_or_saveexec_b64 s[6:7], s[6:7]
	v_mov_b32_e32 v3, s10
	s_xor_b64 exec, exec, s[6:7]
	s_cbranch_execnz .LBB58_2792
.LBB58_742:
	s_or_b64 exec, exec, s[6:7]
	s_and_saveexec_b64 s[6:7], s[4:5]
	s_cbranch_execz .LBB58_744
.LBB58_743:
	v_mov_b32_e32 v3, 8
	v_and_b32_e32 v4, 7, v5
	v_lshrrev_b32_sdwa v3, v3, v5 dst_sel:BYTE_1 dst_unused:UNUSED_PAD src0_sel:DWORD src1_sel:DWORD
	v_ffbh_u32_e32 v6, v4
	v_or_b32_sdwa v3, v5, v3 dst_sel:DWORD dst_unused:UNUSED_PAD src0_sel:BYTE_0 src1_sel:DWORD
	v_min_u32_e32 v6, 32, v6
	v_lshrrev_b16_e32 v3, 3, v3
	v_subrev_u32_e32 v7, 28, v6
	v_and_b32_e32 v3, 15, v3
	v_lshlrev_b32_e32 v7, v7, v5
	v_sub_u32_e32 v6, 29, v6
	v_and_b32_e32 v7, 7, v7
	v_cmp_eq_u16_e32 vcc, 0, v3
	v_cndmask_b32_e32 v4, v4, v7, vcc
	v_cndmask_b32_e32 v3, v3, v6, vcc
	v_lshlrev_b32_e32 v6, 24, v5
	v_mov_b32_e32 v7, 0x3b800000
	v_lshlrev_b32_e32 v4, 20, v4
	v_and_b32_e32 v6, 0x80000000, v6
	v_lshl_add_u32 v3, v3, 23, v7
	v_or3_b32 v3, v6, v3, v4
.LBB58_744:
	s_or_b64 exec, exec, s[6:7]
	s_nop 0
	v_mfma_f32_16x16x4f32 a[0:3], v2, v3, a[0:3]
	v_lshrrev_b32_e32 v3, 8, v9
	s_movk_i32 s4, 0x7f
	v_cmp_gt_i16_sdwa s[6:7], v3, s4 src0_sel:BYTE_0 src1_sel:DWORD
	s_mov_b64 s[4:5], 0
                                        ; implicit-def: $sgpr10
	s_and_saveexec_b64 s[8:9], s[6:7]
	s_xor_b64 s[6:7], exec, s[8:9]
	s_cbranch_execnz .LBB58_2793
; %bb.745:
	s_or_saveexec_b64 s[6:7], s[6:7]
	v_mov_b32_e32 v2, s10
	s_xor_b64 exec, exec, s[6:7]
	s_cbranch_execnz .LBB58_2796
.LBB58_746:
	s_or_b64 exec, exec, s[6:7]
	s_and_saveexec_b64 s[6:7], s[4:5]
	s_cbranch_execz .LBB58_748
.LBB58_747:
	v_bfe_u32 v2, v9, 8, 3
	v_ffbh_u32_e32 v6, v2
	v_min_u32_e32 v6, 32, v6
	v_lshrrev_b16_e32 v4, 3, v3
	v_subrev_u32_e32 v7, 28, v6
	v_and_b32_e32 v4, 15, v4
	v_lshlrev_b32_e32 v3, v7, v3
	v_sub_u32_e32 v6, 29, v6
	v_and_b32_e32 v3, 7, v3
	v_cmp_eq_u16_e32 vcc, 0, v4
	v_cndmask_b32_e32 v2, v2, v3, vcc
	v_cndmask_b32_e32 v3, v4, v6, vcc
	v_lshlrev_b32_e32 v4, 16, v9
	v_mov_b32_e32 v6, 0x3b800000
	v_lshlrev_b32_e32 v2, 20, v2
	v_and_b32_e32 v4, 0x80000000, v4
	v_lshl_add_u32 v3, v3, 23, v6
	v_or3_b32 v2, v4, v3, v2
.LBB58_748:
	s_or_b64 exec, exec, s[6:7]
	v_lshrrev_b32_e32 v3, 8, v5
	s_movk_i32 s4, 0x7f
	v_cmp_gt_i16_sdwa s[6:7], v3, s4 src0_sel:BYTE_0 src1_sel:DWORD
	s_mov_b64 s[4:5], 0
                                        ; implicit-def: $sgpr10
	s_and_saveexec_b64 s[8:9], s[6:7]
	s_xor_b64 s[6:7], exec, s[8:9]
	s_cbranch_execnz .LBB58_2797
; %bb.749:
	s_or_saveexec_b64 s[6:7], s[6:7]
	v_mov_b32_e32 v4, s10
	s_xor_b64 exec, exec, s[6:7]
	s_cbranch_execnz .LBB58_2800
.LBB58_750:
	s_or_b64 exec, exec, s[6:7]
	s_and_saveexec_b64 s[6:7], s[4:5]
	s_cbranch_execz .LBB58_752
.LBB58_751:
	v_bfe_u32 v4, v5, 8, 3
	v_ffbh_u32_e32 v7, v4
	v_min_u32_e32 v7, 32, v7
	v_lshrrev_b16_e32 v6, 3, v3
	v_subrev_u32_e32 v8, 28, v7
	v_and_b32_e32 v6, 15, v6
	v_lshlrev_b32_e32 v3, v8, v3
	v_sub_u32_e32 v7, 29, v7
	v_and_b32_e32 v3, 7, v3
	v_cmp_eq_u16_e32 vcc, 0, v6
	v_cndmask_b32_e32 v3, v4, v3, vcc
	v_cndmask_b32_e32 v4, v6, v7, vcc
	v_lshlrev_b32_e32 v6, 16, v5
	v_mov_b32_e32 v7, 0x3b800000
	v_lshlrev_b32_e32 v3, 20, v3
	v_and_b32_e32 v6, 0x80000000, v6
	v_lshl_add_u32 v4, v4, 23, v7
	v_or3_b32 v4, v6, v4, v3
.LBB58_752:
	s_or_b64 exec, exec, s[6:7]
	s_nop 0
	v_mfma_f32_16x16x4f32 a[0:3], v2, v4, a[0:3]
	s_movk_i32 s4, 0xff
	v_and_b32_sdwa v3, v9, s4 dst_sel:DWORD dst_unused:UNUSED_PAD src0_sel:WORD_1 src1_sel:DWORD
	s_movk_i32 s4, 0x7f
	v_cmp_lt_i16_e32 vcc, s4, v3
	s_mov_b64 s[4:5], 0
                                        ; implicit-def: $sgpr10
	s_and_saveexec_b64 s[6:7], vcc
	s_xor_b64 s[6:7], exec, s[6:7]
	s_cbranch_execnz .LBB58_2801
; %bb.753:
	s_or_saveexec_b64 s[6:7], s[6:7]
	v_mov_b32_e32 v2, s10
	s_xor_b64 exec, exec, s[6:7]
	s_cbranch_execnz .LBB58_2804
.LBB58_754:
	s_or_b64 exec, exec, s[6:7]
	s_and_saveexec_b64 s[6:7], s[4:5]
	s_cbranch_execz .LBB58_756
.LBB58_755:
	v_bfe_u32 v2, v9, 16, 3
	v_ffbh_u32_e32 v6, v2
	v_min_u32_e32 v6, 32, v6
	v_lshrrev_b32_e32 v3, 19, v9
	v_subrev_u32_e32 v7, 28, v6
	v_and_b32_e32 v3, 15, v3
	v_lshlrev_b32_sdwa v7, v7, v9 dst_sel:DWORD dst_unused:UNUSED_PAD src0_sel:DWORD src1_sel:WORD_1
	v_bfe_u32 v4, v9, 19, 4
	v_sub_u32_e32 v6, 29, v6
	v_and_b32_e32 v7, 7, v7
	v_cmp_eq_u16_e32 vcc, 0, v3
	v_cndmask_b32_e32 v2, v2, v7, vcc
	v_cndmask_b32_e32 v3, v4, v6, vcc
	v_lshlrev_b32_e32 v4, 8, v9
	v_mov_b32_e32 v6, 0x3b800000
	v_lshlrev_b32_e32 v2, 20, v2
	v_and_b32_e32 v4, 0x80000000, v4
	v_lshl_add_u32 v3, v3, 23, v6
	v_or3_b32 v2, v4, v3, v2
.LBB58_756:
	s_or_b64 exec, exec, s[6:7]
	s_movk_i32 s4, 0xff
	v_and_b32_sdwa v3, v5, s4 dst_sel:DWORD dst_unused:UNUSED_PAD src0_sel:WORD_1 src1_sel:DWORD
	s_movk_i32 s4, 0x7f
	v_cmp_lt_i16_e32 vcc, s4, v3
	s_mov_b64 s[4:5], 0
                                        ; implicit-def: $sgpr10
	s_and_saveexec_b64 s[6:7], vcc
	s_xor_b64 s[6:7], exec, s[6:7]
	s_cbranch_execnz .LBB58_2805
; %bb.757:
	s_or_saveexec_b64 s[6:7], s[6:7]
	v_mov_b32_e32 v4, s10
	s_xor_b64 exec, exec, s[6:7]
	s_cbranch_execnz .LBB58_2808
.LBB58_758:
	s_or_b64 exec, exec, s[6:7]
	s_and_saveexec_b64 s[6:7], s[4:5]
	s_cbranch_execz .LBB58_760
.LBB58_759:
	v_bfe_u32 v3, v5, 16, 3
	v_ffbh_u32_e32 v7, v3
	v_min_u32_e32 v7, 32, v7
	v_lshrrev_b32_e32 v4, 19, v5
	v_subrev_u32_e32 v8, 28, v7
	v_and_b32_e32 v4, 15, v4
	v_lshlrev_b32_sdwa v8, v8, v5 dst_sel:DWORD dst_unused:UNUSED_PAD src0_sel:DWORD src1_sel:WORD_1
	v_bfe_u32 v6, v5, 19, 4
	v_sub_u32_e32 v7, 29, v7
	v_and_b32_e32 v8, 7, v8
	v_cmp_eq_u16_e32 vcc, 0, v4
	v_cndmask_b32_e32 v3, v3, v8, vcc
	v_cndmask_b32_e32 v4, v6, v7, vcc
	v_lshlrev_b32_e32 v6, 8, v5
	v_mov_b32_e32 v7, 0x3b800000
	v_lshlrev_b32_e32 v3, 20, v3
	v_and_b32_e32 v6, 0x80000000, v6
	v_lshl_add_u32 v4, v4, 23, v7
	v_or3_b32 v4, v6, v4, v3
.LBB58_760:
	s_or_b64 exec, exec, s[6:7]
	s_nop 0
	v_mfma_f32_16x16x4f32 a[0:3], v2, v4, a[0:3]
	s_movk_i32 s4, 0x7f
	v_cmp_gt_i16_sdwa s[6:7], v9, s4 src0_sel:BYTE_3 src1_sel:DWORD
	s_mov_b64 s[4:5], 0
                                        ; implicit-def: $sgpr10
	s_and_saveexec_b64 s[8:9], s[6:7]
	s_xor_b64 s[6:7], exec, s[8:9]
	s_cbranch_execnz .LBB58_2809
; %bb.761:
	s_or_saveexec_b64 s[6:7], s[6:7]
	v_mov_b32_e32 v2, s10
	s_xor_b64 exec, exec, s[6:7]
	s_cbranch_execnz .LBB58_2812
.LBB58_762:
	s_or_b64 exec, exec, s[6:7]
	s_and_saveexec_b64 s[6:7], s[4:5]
	s_cbranch_execz .LBB58_764
.LBB58_763:
	v_bfe_u32 v2, v9, 24, 3
	v_ffbh_u32_e32 v7, v2
	v_min_u32_e32 v7, 32, v7
	v_lshrrev_b32_e32 v4, 27, v9
	v_subrev_u32_e32 v8, 28, v7
	v_and_b32_e32 v4, 15, v4
	v_lshlrev_b32_sdwa v8, v8, v9 dst_sel:DWORD dst_unused:UNUSED_PAD src0_sel:DWORD src1_sel:BYTE_3
	v_bfe_u32 v6, v9, 27, 4
	v_sub_u32_e32 v7, 29, v7
	v_and_b32_e32 v8, 7, v8
	v_cmp_eq_u16_e32 vcc, 0, v4
	v_cndmask_b32_e32 v2, v2, v8, vcc
	v_cndmask_b32_e32 v4, v6, v7, vcc
	v_mov_b32_e32 v6, 0x3b800000
	v_and_b32_e32 v3, 0x80000000, v9
	v_lshlrev_b32_e32 v2, 20, v2
	v_lshl_add_u32 v4, v4, 23, v6
	v_or3_b32 v2, v3, v4, v2
.LBB58_764:
	s_or_b64 exec, exec, s[6:7]
	s_movk_i32 s4, 0x7f
	v_cmp_gt_i16_sdwa s[6:7], v5, s4 src0_sel:BYTE_3 src1_sel:DWORD
	s_mov_b64 s[4:5], 0
                                        ; implicit-def: $sgpr10
	s_and_saveexec_b64 s[8:9], s[6:7]
	s_xor_b64 s[6:7], exec, s[8:9]
	s_cbranch_execnz .LBB58_2813
; %bb.765:
	s_or_saveexec_b64 s[6:7], s[6:7]
	v_mov_b32_e32 v3, s10
	s_xor_b64 exec, exec, s[6:7]
	s_cbranch_execnz .LBB58_2816
.LBB58_766:
	s_or_b64 exec, exec, s[6:7]
	s_and_saveexec_b64 s[6:7], s[4:5]
	s_cbranch_execz .LBB58_768
.LBB58_767:
	v_bfe_u32 v3, v5, 24, 3
	v_ffbh_u32_e32 v8, v3
	v_min_u32_e32 v8, 32, v8
	v_lshrrev_b32_e32 v6, 27, v5
	v_subrev_u32_e32 v9, 28, v8
	v_and_b32_e32 v4, 0x80000000, v5
	v_and_b32_e32 v6, 15, v6
	v_bfe_u32 v7, v5, 27, 4
	v_lshlrev_b32_sdwa v5, v9, v5 dst_sel:DWORD dst_unused:UNUSED_PAD src0_sel:DWORD src1_sel:BYTE_3
	v_sub_u32_e32 v8, 29, v8
	v_and_b32_e32 v5, 7, v5
	v_cmp_eq_u16_e32 vcc, 0, v6
	v_cndmask_b32_e32 v3, v3, v5, vcc
	v_cndmask_b32_e32 v5, v7, v8, vcc
	v_mov_b32_e32 v6, 0x3b800000
	v_lshlrev_b32_e32 v3, 20, v3
	v_lshl_add_u32 v5, v5, 23, v6
	v_or3_b32 v3, v4, v5, v3
.LBB58_768:
	s_or_b64 exec, exec, s[6:7]
	s_nop 0
	v_mfma_f32_16x16x4f32 a[0:3], v2, v3, a[0:3]
	s_movk_i32 s4, 0x7f
                                        ; implicit-def: $sgpr10
	s_nop 7
	s_nop 1
	flat_store_dwordx4 v[18:19], a[0:3] offset:800
	flat_load_dwordx4 v[20:23], v[0:1] offset:8
	s_nop 0
	flat_load_dwordx2 v[18:19], v[0:1] offset:24
	s_waitcnt vmcnt(0) lgkmcnt(0)
	flat_load_dwordx4 v[14:17], v[20:21]
	flat_load_dwordx4 v[6:9], v[20:21] offset:16
	flat_load_dwordx4 v[10:13], v[22:23] offset:352
	;; [unrolled: 1-line block ×3, first 2 shown]
	s_waitcnt vmcnt(0) lgkmcnt(0)
	v_cmp_gt_i16_sdwa s[6:7], v14, s4 src0_sel:BYTE_0 src1_sel:DWORD
	s_mov_b64 s[4:5], 0
	s_and_saveexec_b64 s[8:9], s[6:7]
	s_xor_b64 s[6:7], exec, s[8:9]
	s_cbranch_execnz .LBB58_2817
; %bb.769:
	s_or_saveexec_b64 s[6:7], s[6:7]
	v_mov_b32_e32 v20, s10
	s_xor_b64 exec, exec, s[6:7]
	s_cbranch_execnz .LBB58_2820
.LBB58_770:
	s_or_b64 exec, exec, s[6:7]
	s_and_saveexec_b64 s[6:7], s[4:5]
	s_cbranch_execz .LBB58_772
.LBB58_771:
	v_and_b32_e32 v20, 7, v14
	v_ffbh_u32_e32 v22, v20
	v_min_u32_e32 v22, 32, v22
	v_lshrrev_b16_e32 v21, 3, v14
	v_subrev_u32_e32 v23, 28, v22
	v_and_b32_e32 v21, 15, v21
	v_lshlrev_b32_e32 v23, v23, v14
	v_sub_u32_e32 v22, 29, v22
	v_and_b32_e32 v23, 7, v23
	v_cmp_eq_u16_e32 vcc, 0, v21
	v_cndmask_b32_e32 v20, v20, v23, vcc
	v_cndmask_b32_e32 v21, v21, v22, vcc
	v_lshlrev_b32_e32 v22, 24, v14
	v_mov_b32_e32 v23, 0x3b800000
	v_lshlrev_b32_e32 v20, 20, v20
	v_and_b32_e32 v22, 0x80000000, v22
	v_lshl_add_u32 v21, v21, 23, v23
	v_or3_b32 v20, v22, v21, v20
.LBB58_772:
	s_or_b64 exec, exec, s[6:7]
	s_movk_i32 s4, 0x7f
	v_cmp_gt_i16_sdwa s[6:7], v10, s4 src0_sel:BYTE_0 src1_sel:DWORD
	s_mov_b64 s[4:5], 0
                                        ; implicit-def: $sgpr10
	s_and_saveexec_b64 s[8:9], s[6:7]
	s_xor_b64 s[6:7], exec, s[8:9]
	s_cbranch_execnz .LBB58_2821
; %bb.773:
	s_or_saveexec_b64 s[6:7], s[6:7]
	v_mov_b32_e32 v21, s10
	s_xor_b64 exec, exec, s[6:7]
	s_cbranch_execnz .LBB58_2824
.LBB58_774:
	s_or_b64 exec, exec, s[6:7]
	s_and_saveexec_b64 s[6:7], s[4:5]
	s_cbranch_execz .LBB58_776
.LBB58_775:
	v_and_b32_e32 v21, 7, v10
	v_ffbh_u32_e32 v23, v21
	v_min_u32_e32 v23, 32, v23
	v_lshrrev_b16_e32 v22, 3, v10
	v_subrev_u32_e32 v24, 28, v23
	v_and_b32_e32 v22, 15, v22
	v_lshlrev_b32_e32 v24, v24, v10
	v_sub_u32_e32 v23, 29, v23
	v_and_b32_e32 v24, 7, v24
	v_cmp_eq_u16_e32 vcc, 0, v22
	v_cndmask_b32_e32 v21, v21, v24, vcc
	v_cndmask_b32_e32 v22, v22, v23, vcc
	v_lshlrev_b32_e32 v23, 24, v10
	v_mov_b32_e32 v24, 0x3b800000
	v_lshlrev_b32_e32 v21, 20, v21
	v_and_b32_e32 v23, 0x80000000, v23
	v_lshl_add_u32 v22, v22, 23, v24
	v_or3_b32 v21, v23, v22, v21
.LBB58_776:
	s_or_b64 exec, exec, s[6:7]
	flat_load_dwordx4 a[0:3], v[18:19] offset:816
	s_movk_i32 s4, 0x7f
                                        ; implicit-def: $sgpr10
	s_waitcnt vmcnt(0) lgkmcnt(0)
	v_mfma_f32_16x16x4f32 a[0:3], v20, v21, a[0:3]
	v_lshrrev_b32_e32 v21, 8, v14
	v_cmp_gt_i16_sdwa s[6:7], v21, s4 src0_sel:BYTE_0 src1_sel:DWORD
	s_mov_b64 s[4:5], 0
	s_and_saveexec_b64 s[8:9], s[6:7]
	s_xor_b64 s[6:7], exec, s[8:9]
	s_cbranch_execnz .LBB58_2825
; %bb.777:
	s_or_saveexec_b64 s[6:7], s[6:7]
	v_mov_b32_e32 v20, s10
	s_xor_b64 exec, exec, s[6:7]
	s_cbranch_execnz .LBB58_2828
.LBB58_778:
	s_or_b64 exec, exec, s[6:7]
	s_and_saveexec_b64 s[6:7], s[4:5]
	s_cbranch_execz .LBB58_780
.LBB58_779:
	v_bfe_u32 v20, v14, 8, 3
	v_ffbh_u32_e32 v23, v20
	v_min_u32_e32 v23, 32, v23
	v_lshrrev_b16_e32 v22, 3, v21
	v_subrev_u32_e32 v24, 28, v23
	v_and_b32_e32 v22, 15, v22
	v_lshlrev_b32_e32 v21, v24, v21
	v_sub_u32_e32 v23, 29, v23
	v_and_b32_e32 v21, 7, v21
	v_cmp_eq_u16_e32 vcc, 0, v22
	v_cndmask_b32_e32 v20, v20, v21, vcc
	v_cndmask_b32_e32 v21, v22, v23, vcc
	v_lshlrev_b32_e32 v22, 16, v14
	v_mov_b32_e32 v23, 0x3b800000
	v_lshlrev_b32_e32 v20, 20, v20
	v_and_b32_e32 v22, 0x80000000, v22
	v_lshl_add_u32 v21, v21, 23, v23
	v_or3_b32 v20, v22, v21, v20
.LBB58_780:
	s_or_b64 exec, exec, s[6:7]
	v_lshrrev_b32_e32 v21, 8, v10
	s_movk_i32 s4, 0x7f
	v_cmp_gt_i16_sdwa s[6:7], v21, s4 src0_sel:BYTE_0 src1_sel:DWORD
	s_mov_b64 s[4:5], 0
                                        ; implicit-def: $sgpr10
	s_and_saveexec_b64 s[8:9], s[6:7]
	s_xor_b64 s[6:7], exec, s[8:9]
	s_cbranch_execnz .LBB58_2829
; %bb.781:
	s_or_saveexec_b64 s[6:7], s[6:7]
	v_mov_b32_e32 v22, s10
	s_xor_b64 exec, exec, s[6:7]
	s_cbranch_execnz .LBB58_2832
.LBB58_782:
	s_or_b64 exec, exec, s[6:7]
	s_and_saveexec_b64 s[6:7], s[4:5]
	s_cbranch_execz .LBB58_784
.LBB58_783:
	v_bfe_u32 v22, v10, 8, 3
	v_ffbh_u32_e32 v24, v22
	v_min_u32_e32 v24, 32, v24
	v_lshrrev_b16_e32 v23, 3, v21
	v_subrev_u32_e32 v25, 28, v24
	v_and_b32_e32 v23, 15, v23
	v_lshlrev_b32_e32 v21, v25, v21
	v_sub_u32_e32 v24, 29, v24
	v_and_b32_e32 v21, 7, v21
	v_cmp_eq_u16_e32 vcc, 0, v23
	v_cndmask_b32_e32 v21, v22, v21, vcc
	v_cndmask_b32_e32 v22, v23, v24, vcc
	v_lshlrev_b32_e32 v23, 16, v10
	v_mov_b32_e32 v24, 0x3b800000
	v_lshlrev_b32_e32 v21, 20, v21
	v_and_b32_e32 v23, 0x80000000, v23
	v_lshl_add_u32 v22, v22, 23, v24
	v_or3_b32 v22, v23, v22, v21
.LBB58_784:
	s_or_b64 exec, exec, s[6:7]
	s_nop 0
	v_mfma_f32_16x16x4f32 a[0:3], v20, v22, a[0:3]
	s_movk_i32 s4, 0xff
	v_and_b32_sdwa v21, v14, s4 dst_sel:DWORD dst_unused:UNUSED_PAD src0_sel:WORD_1 src1_sel:DWORD
	s_movk_i32 s4, 0x7f
	v_cmp_lt_i16_e32 vcc, s4, v21
	s_mov_b64 s[4:5], 0
                                        ; implicit-def: $sgpr10
	s_and_saveexec_b64 s[6:7], vcc
	s_xor_b64 s[6:7], exec, s[6:7]
	s_cbranch_execnz .LBB58_2833
; %bb.785:
	s_or_saveexec_b64 s[6:7], s[6:7]
	v_mov_b32_e32 v20, s10
	s_xor_b64 exec, exec, s[6:7]
	s_cbranch_execnz .LBB58_2836
.LBB58_786:
	s_or_b64 exec, exec, s[6:7]
	s_and_saveexec_b64 s[6:7], s[4:5]
	s_cbranch_execz .LBB58_788
.LBB58_787:
	v_bfe_u32 v20, v14, 16, 3
	v_ffbh_u32_e32 v23, v20
	v_min_u32_e32 v23, 32, v23
	v_lshrrev_b32_e32 v21, 19, v14
	v_subrev_u32_e32 v24, 28, v23
	v_and_b32_e32 v21, 15, v21
	v_lshlrev_b32_sdwa v24, v24, v14 dst_sel:DWORD dst_unused:UNUSED_PAD src0_sel:DWORD src1_sel:WORD_1
	v_bfe_u32 v22, v14, 19, 4
	v_sub_u32_e32 v23, 29, v23
	v_and_b32_e32 v24, 7, v24
	v_cmp_eq_u16_e32 vcc, 0, v21
	v_cndmask_b32_e32 v20, v20, v24, vcc
	v_cndmask_b32_e32 v21, v22, v23, vcc
	v_lshlrev_b32_e32 v22, 8, v14
	v_mov_b32_e32 v23, 0x3b800000
	v_lshlrev_b32_e32 v20, 20, v20
	v_and_b32_e32 v22, 0x80000000, v22
	v_lshl_add_u32 v21, v21, 23, v23
	v_or3_b32 v20, v22, v21, v20
.LBB58_788:
	s_or_b64 exec, exec, s[6:7]
	s_movk_i32 s4, 0xff
	v_and_b32_sdwa v21, v10, s4 dst_sel:DWORD dst_unused:UNUSED_PAD src0_sel:WORD_1 src1_sel:DWORD
	s_movk_i32 s4, 0x7f
	v_cmp_lt_i16_e32 vcc, s4, v21
	s_mov_b64 s[4:5], 0
                                        ; implicit-def: $sgpr10
	s_and_saveexec_b64 s[6:7], vcc
	s_xor_b64 s[6:7], exec, s[6:7]
	s_cbranch_execnz .LBB58_2837
; %bb.789:
	s_or_saveexec_b64 s[6:7], s[6:7]
	v_mov_b32_e32 v22, s10
	s_xor_b64 exec, exec, s[6:7]
	s_cbranch_execnz .LBB58_2840
.LBB58_790:
	s_or_b64 exec, exec, s[6:7]
	s_and_saveexec_b64 s[6:7], s[4:5]
	s_cbranch_execz .LBB58_792
.LBB58_791:
	v_bfe_u32 v21, v10, 16, 3
	v_ffbh_u32_e32 v24, v21
	v_min_u32_e32 v24, 32, v24
	v_lshrrev_b32_e32 v22, 19, v10
	v_subrev_u32_e32 v25, 28, v24
	v_and_b32_e32 v22, 15, v22
	v_lshlrev_b32_sdwa v25, v25, v10 dst_sel:DWORD dst_unused:UNUSED_PAD src0_sel:DWORD src1_sel:WORD_1
	v_bfe_u32 v23, v10, 19, 4
	v_sub_u32_e32 v24, 29, v24
	v_and_b32_e32 v25, 7, v25
	v_cmp_eq_u16_e32 vcc, 0, v22
	v_cndmask_b32_e32 v21, v21, v25, vcc
	v_cndmask_b32_e32 v22, v23, v24, vcc
	v_lshlrev_b32_e32 v23, 8, v10
	v_mov_b32_e32 v24, 0x3b800000
	v_lshlrev_b32_e32 v21, 20, v21
	v_and_b32_e32 v23, 0x80000000, v23
	v_lshl_add_u32 v22, v22, 23, v24
	v_or3_b32 v22, v23, v22, v21
.LBB58_792:
	s_or_b64 exec, exec, s[6:7]
	s_nop 0
	v_mfma_f32_16x16x4f32 a[0:3], v20, v22, a[0:3]
	s_movk_i32 s4, 0x7f
	v_cmp_gt_i16_sdwa s[6:7], v14, s4 src0_sel:BYTE_3 src1_sel:DWORD
	s_mov_b64 s[4:5], 0
                                        ; implicit-def: $sgpr10
	s_and_saveexec_b64 s[8:9], s[6:7]
	s_xor_b64 s[6:7], exec, s[8:9]
	s_cbranch_execnz .LBB58_2841
; %bb.793:
	s_or_saveexec_b64 s[6:7], s[6:7]
	v_mov_b32_e32 v20, s10
	s_xor_b64 exec, exec, s[6:7]
	s_cbranch_execnz .LBB58_2844
.LBB58_794:
	s_or_b64 exec, exec, s[6:7]
	s_and_saveexec_b64 s[6:7], s[4:5]
	s_cbranch_execz .LBB58_796
.LBB58_795:
	v_bfe_u32 v20, v14, 24, 3
	v_ffbh_u32_e32 v24, v20
	v_min_u32_e32 v24, 32, v24
	v_lshrrev_b32_e32 v22, 27, v14
	v_subrev_u32_e32 v25, 28, v24
	v_and_b32_e32 v21, 0x80000000, v14
	v_and_b32_e32 v22, 15, v22
	v_bfe_u32 v23, v14, 27, 4
	v_lshlrev_b32_sdwa v14, v25, v14 dst_sel:DWORD dst_unused:UNUSED_PAD src0_sel:DWORD src1_sel:BYTE_3
	v_sub_u32_e32 v24, 29, v24
	v_and_b32_e32 v14, 7, v14
	v_cmp_eq_u16_e32 vcc, 0, v22
	v_cndmask_b32_e32 v14, v20, v14, vcc
	v_cndmask_b32_e32 v20, v23, v24, vcc
	v_mov_b32_e32 v22, 0x3b800000
	v_lshlrev_b32_e32 v14, 20, v14
	v_lshl_add_u32 v20, v20, 23, v22
	v_or3_b32 v20, v21, v20, v14
.LBB58_796:
	s_or_b64 exec, exec, s[6:7]
	s_movk_i32 s4, 0x7f
	v_cmp_gt_i16_sdwa s[6:7], v10, s4 src0_sel:BYTE_3 src1_sel:DWORD
	s_mov_b64 s[4:5], 0
                                        ; implicit-def: $sgpr10
	s_and_saveexec_b64 s[8:9], s[6:7]
	s_xor_b64 s[6:7], exec, s[8:9]
	s_cbranch_execnz .LBB58_2845
; %bb.797:
	s_or_saveexec_b64 s[6:7], s[6:7]
	v_mov_b32_e32 v14, s10
	s_xor_b64 exec, exec, s[6:7]
	s_cbranch_execnz .LBB58_2848
.LBB58_798:
	s_or_b64 exec, exec, s[6:7]
	s_and_saveexec_b64 s[6:7], s[4:5]
	s_cbranch_execz .LBB58_800
.LBB58_799:
	v_bfe_u32 v14, v10, 24, 3
	v_ffbh_u32_e32 v24, v14
	v_min_u32_e32 v24, 32, v24
	v_lshrrev_b32_e32 v22, 27, v10
	v_subrev_u32_e32 v25, 28, v24
	v_and_b32_e32 v21, 0x80000000, v10
	v_and_b32_e32 v22, 15, v22
	v_bfe_u32 v23, v10, 27, 4
	v_lshlrev_b32_sdwa v10, v25, v10 dst_sel:DWORD dst_unused:UNUSED_PAD src0_sel:DWORD src1_sel:BYTE_3
	v_sub_u32_e32 v24, 29, v24
	v_and_b32_e32 v10, 7, v10
	v_cmp_eq_u16_e32 vcc, 0, v22
	v_cndmask_b32_e32 v10, v14, v10, vcc
	v_cndmask_b32_e32 v14, v23, v24, vcc
	v_mov_b32_e32 v22, 0x3b800000
	v_lshlrev_b32_e32 v10, 20, v10
	v_lshl_add_u32 v14, v14, 23, v22
	v_or3_b32 v14, v21, v14, v10
.LBB58_800:
	s_or_b64 exec, exec, s[6:7]
	s_nop 0
	v_mfma_f32_16x16x4f32 a[0:3], v20, v14, a[0:3]
	s_movk_i32 s4, 0x7f
	v_cmp_gt_i16_sdwa s[6:7], v15, s4 src0_sel:BYTE_0 src1_sel:DWORD
	s_mov_b64 s[4:5], 0
                                        ; implicit-def: $sgpr10
	s_and_saveexec_b64 s[8:9], s[6:7]
	s_xor_b64 s[6:7], exec, s[8:9]
	s_cbranch_execnz .LBB58_2849
; %bb.801:
	s_or_saveexec_b64 s[6:7], s[6:7]
	v_mov_b32_e32 v10, s10
	s_xor_b64 exec, exec, s[6:7]
	s_cbranch_execnz .LBB58_2852
.LBB58_802:
	s_or_b64 exec, exec, s[6:7]
	s_and_saveexec_b64 s[6:7], s[4:5]
	s_cbranch_execz .LBB58_804
.LBB58_803:
	v_and_b32_e32 v10, 7, v15
	v_ffbh_u32_e32 v20, v10
	v_min_u32_e32 v20, 32, v20
	v_lshrrev_b16_e32 v14, 3, v15
	v_subrev_u32_e32 v21, 28, v20
	v_and_b32_e32 v14, 15, v14
	v_lshlrev_b32_e32 v21, v21, v15
	v_sub_u32_e32 v20, 29, v20
	v_and_b32_e32 v21, 7, v21
	v_cmp_eq_u16_e32 vcc, 0, v14
	v_cndmask_b32_e32 v10, v10, v21, vcc
	v_cndmask_b32_e32 v14, v14, v20, vcc
	v_lshlrev_b32_e32 v20, 24, v15
	v_mov_b32_e32 v21, 0x3b800000
	v_lshlrev_b32_e32 v10, 20, v10
	v_and_b32_e32 v20, 0x80000000, v20
	v_lshl_add_u32 v14, v14, 23, v21
	v_or3_b32 v10, v20, v14, v10
.LBB58_804:
	s_or_b64 exec, exec, s[6:7]
	s_movk_i32 s4, 0x7f
	v_cmp_gt_i16_sdwa s[6:7], v11, s4 src0_sel:BYTE_0 src1_sel:DWORD
	s_mov_b64 s[4:5], 0
                                        ; implicit-def: $sgpr10
	s_and_saveexec_b64 s[8:9], s[6:7]
	s_xor_b64 s[6:7], exec, s[8:9]
	s_cbranch_execnz .LBB58_2853
; %bb.805:
	s_or_saveexec_b64 s[6:7], s[6:7]
	v_mov_b32_e32 v14, s10
	s_xor_b64 exec, exec, s[6:7]
	s_cbranch_execnz .LBB58_2856
.LBB58_806:
	s_or_b64 exec, exec, s[6:7]
	s_and_saveexec_b64 s[6:7], s[4:5]
	s_cbranch_execz .LBB58_808
.LBB58_807:
	v_and_b32_e32 v14, 7, v11
	v_ffbh_u32_e32 v21, v14
	v_min_u32_e32 v21, 32, v21
	v_lshrrev_b16_e32 v20, 3, v11
	v_subrev_u32_e32 v22, 28, v21
	v_and_b32_e32 v20, 15, v20
	v_lshlrev_b32_e32 v22, v22, v11
	v_sub_u32_e32 v21, 29, v21
	v_and_b32_e32 v22, 7, v22
	v_cmp_eq_u16_e32 vcc, 0, v20
	v_cndmask_b32_e32 v14, v14, v22, vcc
	v_cndmask_b32_e32 v20, v20, v21, vcc
	v_lshlrev_b32_e32 v21, 24, v11
	v_mov_b32_e32 v22, 0x3b800000
	v_lshlrev_b32_e32 v14, 20, v14
	v_and_b32_e32 v21, 0x80000000, v21
	v_lshl_add_u32 v20, v20, 23, v22
	v_or3_b32 v14, v21, v20, v14
.LBB58_808:
	s_or_b64 exec, exec, s[6:7]
	s_nop 0
	v_mfma_f32_16x16x4f32 a[0:3], v10, v14, a[0:3]
	v_lshrrev_b32_e32 v14, 8, v15
	s_movk_i32 s4, 0x7f
	v_cmp_gt_i16_sdwa s[6:7], v14, s4 src0_sel:BYTE_0 src1_sel:DWORD
	s_mov_b64 s[4:5], 0
                                        ; implicit-def: $sgpr10
	s_and_saveexec_b64 s[8:9], s[6:7]
	s_xor_b64 s[6:7], exec, s[8:9]
	s_cbranch_execnz .LBB58_2857
; %bb.809:
	s_or_saveexec_b64 s[6:7], s[6:7]
	v_mov_b32_e32 v10, s10
	s_xor_b64 exec, exec, s[6:7]
	s_cbranch_execnz .LBB58_2860
.LBB58_810:
	s_or_b64 exec, exec, s[6:7]
	s_and_saveexec_b64 s[6:7], s[4:5]
	s_cbranch_execz .LBB58_812
.LBB58_811:
	v_bfe_u32 v10, v15, 8, 3
	v_ffbh_u32_e32 v21, v10
	v_min_u32_e32 v21, 32, v21
	v_lshrrev_b16_e32 v20, 3, v14
	v_subrev_u32_e32 v22, 28, v21
	v_and_b32_e32 v20, 15, v20
	v_lshlrev_b32_e32 v14, v22, v14
	v_sub_u32_e32 v21, 29, v21
	v_and_b32_e32 v14, 7, v14
	v_cmp_eq_u16_e32 vcc, 0, v20
	v_cndmask_b32_e32 v10, v10, v14, vcc
	v_cndmask_b32_e32 v14, v20, v21, vcc
	v_lshlrev_b32_e32 v20, 16, v15
	v_mov_b32_e32 v21, 0x3b800000
	v_lshlrev_b32_e32 v10, 20, v10
	v_and_b32_e32 v20, 0x80000000, v20
	v_lshl_add_u32 v14, v14, 23, v21
	v_or3_b32 v10, v20, v14, v10
.LBB58_812:
	s_or_b64 exec, exec, s[6:7]
	v_lshrrev_b32_e32 v14, 8, v11
	s_movk_i32 s4, 0x7f
	v_cmp_gt_i16_sdwa s[6:7], v14, s4 src0_sel:BYTE_0 src1_sel:DWORD
	s_mov_b64 s[4:5], 0
                                        ; implicit-def: $sgpr10
	s_and_saveexec_b64 s[8:9], s[6:7]
	s_xor_b64 s[6:7], exec, s[8:9]
	s_cbranch_execnz .LBB58_2861
; %bb.813:
	s_or_saveexec_b64 s[6:7], s[6:7]
	v_mov_b32_e32 v20, s10
	s_xor_b64 exec, exec, s[6:7]
	s_cbranch_execnz .LBB58_2864
.LBB58_814:
	s_or_b64 exec, exec, s[6:7]
	s_and_saveexec_b64 s[6:7], s[4:5]
	s_cbranch_execz .LBB58_816
.LBB58_815:
	v_bfe_u32 v20, v11, 8, 3
	v_ffbh_u32_e32 v22, v20
	v_min_u32_e32 v22, 32, v22
	v_lshrrev_b16_e32 v21, 3, v14
	v_subrev_u32_e32 v23, 28, v22
	v_and_b32_e32 v21, 15, v21
	v_lshlrev_b32_e32 v14, v23, v14
	v_sub_u32_e32 v22, 29, v22
	v_and_b32_e32 v14, 7, v14
	v_cmp_eq_u16_e32 vcc, 0, v21
	v_cndmask_b32_e32 v14, v20, v14, vcc
	v_cndmask_b32_e32 v20, v21, v22, vcc
	v_lshlrev_b32_e32 v21, 16, v11
	v_mov_b32_e32 v22, 0x3b800000
	v_lshlrev_b32_e32 v14, 20, v14
	v_and_b32_e32 v21, 0x80000000, v21
	v_lshl_add_u32 v20, v20, 23, v22
	v_or3_b32 v20, v21, v20, v14
.LBB58_816:
	s_or_b64 exec, exec, s[6:7]
	s_nop 0
	v_mfma_f32_16x16x4f32 a[0:3], v10, v20, a[0:3]
	s_movk_i32 s4, 0xff
	v_and_b32_sdwa v14, v15, s4 dst_sel:DWORD dst_unused:UNUSED_PAD src0_sel:WORD_1 src1_sel:DWORD
	s_movk_i32 s4, 0x7f
	v_cmp_lt_i16_e32 vcc, s4, v14
	s_mov_b64 s[4:5], 0
                                        ; implicit-def: $sgpr10
	s_and_saveexec_b64 s[6:7], vcc
	s_xor_b64 s[6:7], exec, s[6:7]
	s_cbranch_execnz .LBB58_2865
; %bb.817:
	s_or_saveexec_b64 s[6:7], s[6:7]
	v_mov_b32_e32 v10, s10
	s_xor_b64 exec, exec, s[6:7]
	s_cbranch_execnz .LBB58_2868
.LBB58_818:
	s_or_b64 exec, exec, s[6:7]
	s_and_saveexec_b64 s[6:7], s[4:5]
	s_cbranch_execz .LBB58_820
.LBB58_819:
	v_bfe_u32 v10, v15, 16, 3
	v_ffbh_u32_e32 v21, v10
	v_min_u32_e32 v21, 32, v21
	v_lshrrev_b32_e32 v14, 19, v15
	v_subrev_u32_e32 v22, 28, v21
	v_and_b32_e32 v14, 15, v14
	v_lshlrev_b32_sdwa v22, v22, v15 dst_sel:DWORD dst_unused:UNUSED_PAD src0_sel:DWORD src1_sel:WORD_1
	v_bfe_u32 v20, v15, 19, 4
	v_sub_u32_e32 v21, 29, v21
	v_and_b32_e32 v22, 7, v22
	v_cmp_eq_u16_e32 vcc, 0, v14
	v_cndmask_b32_e32 v10, v10, v22, vcc
	v_cndmask_b32_e32 v14, v20, v21, vcc
	v_lshlrev_b32_e32 v20, 8, v15
	v_mov_b32_e32 v21, 0x3b800000
	v_lshlrev_b32_e32 v10, 20, v10
	v_and_b32_e32 v20, 0x80000000, v20
	v_lshl_add_u32 v14, v14, 23, v21
	v_or3_b32 v10, v20, v14, v10
.LBB58_820:
	s_or_b64 exec, exec, s[6:7]
	s_movk_i32 s4, 0xff
	v_and_b32_sdwa v14, v11, s4 dst_sel:DWORD dst_unused:UNUSED_PAD src0_sel:WORD_1 src1_sel:DWORD
	s_movk_i32 s4, 0x7f
	v_cmp_lt_i16_e32 vcc, s4, v14
	s_mov_b64 s[4:5], 0
                                        ; implicit-def: $sgpr10
	s_and_saveexec_b64 s[6:7], vcc
	s_xor_b64 s[6:7], exec, s[6:7]
	s_cbranch_execnz .LBB58_2869
; %bb.821:
	s_or_saveexec_b64 s[6:7], s[6:7]
	v_mov_b32_e32 v20, s10
	s_xor_b64 exec, exec, s[6:7]
	s_cbranch_execnz .LBB58_2872
.LBB58_822:
	s_or_b64 exec, exec, s[6:7]
	s_and_saveexec_b64 s[6:7], s[4:5]
	s_cbranch_execz .LBB58_824
.LBB58_823:
	v_bfe_u32 v14, v11, 16, 3
	v_ffbh_u32_e32 v22, v14
	v_min_u32_e32 v22, 32, v22
	v_lshrrev_b32_e32 v20, 19, v11
	v_subrev_u32_e32 v23, 28, v22
	v_and_b32_e32 v20, 15, v20
	v_lshlrev_b32_sdwa v23, v23, v11 dst_sel:DWORD dst_unused:UNUSED_PAD src0_sel:DWORD src1_sel:WORD_1
	v_bfe_u32 v21, v11, 19, 4
	v_sub_u32_e32 v22, 29, v22
	v_and_b32_e32 v23, 7, v23
	v_cmp_eq_u16_e32 vcc, 0, v20
	v_cndmask_b32_e32 v14, v14, v23, vcc
	v_cndmask_b32_e32 v20, v21, v22, vcc
	v_lshlrev_b32_e32 v21, 8, v11
	v_mov_b32_e32 v22, 0x3b800000
	v_lshlrev_b32_e32 v14, 20, v14
	v_and_b32_e32 v21, 0x80000000, v21
	v_lshl_add_u32 v20, v20, 23, v22
	v_or3_b32 v20, v21, v20, v14
.LBB58_824:
	s_or_b64 exec, exec, s[6:7]
	s_nop 0
	v_mfma_f32_16x16x4f32 a[0:3], v10, v20, a[0:3]
	s_movk_i32 s4, 0x7f
	v_cmp_gt_i16_sdwa s[6:7], v15, s4 src0_sel:BYTE_3 src1_sel:DWORD
	s_mov_b64 s[4:5], 0
                                        ; implicit-def: $sgpr10
	s_and_saveexec_b64 s[8:9], s[6:7]
	s_xor_b64 s[6:7], exec, s[8:9]
	s_cbranch_execnz .LBB58_2873
; %bb.825:
	s_or_saveexec_b64 s[6:7], s[6:7]
	v_mov_b32_e32 v10, s10
	s_xor_b64 exec, exec, s[6:7]
	s_cbranch_execnz .LBB58_2876
.LBB58_826:
	s_or_b64 exec, exec, s[6:7]
	s_and_saveexec_b64 s[6:7], s[4:5]
	s_cbranch_execz .LBB58_828
.LBB58_827:
	v_bfe_u32 v10, v15, 24, 3
	v_ffbh_u32_e32 v22, v10
	v_min_u32_e32 v22, 32, v22
	v_lshrrev_b32_e32 v20, 27, v15
	v_subrev_u32_e32 v23, 28, v22
	v_and_b32_e32 v14, 0x80000000, v15
	v_and_b32_e32 v20, 15, v20
	v_bfe_u32 v21, v15, 27, 4
	v_lshlrev_b32_sdwa v15, v23, v15 dst_sel:DWORD dst_unused:UNUSED_PAD src0_sel:DWORD src1_sel:BYTE_3
	v_sub_u32_e32 v22, 29, v22
	v_and_b32_e32 v15, 7, v15
	v_cmp_eq_u16_e32 vcc, 0, v20
	v_cndmask_b32_e32 v10, v10, v15, vcc
	v_cndmask_b32_e32 v15, v21, v22, vcc
	v_mov_b32_e32 v20, 0x3b800000
	v_lshlrev_b32_e32 v10, 20, v10
	v_lshl_add_u32 v15, v15, 23, v20
	v_or3_b32 v10, v14, v15, v10
.LBB58_828:
	s_or_b64 exec, exec, s[6:7]
	s_movk_i32 s4, 0x7f
	v_cmp_gt_i16_sdwa s[6:7], v11, s4 src0_sel:BYTE_3 src1_sel:DWORD
	s_mov_b64 s[4:5], 0
                                        ; implicit-def: $sgpr10
	s_and_saveexec_b64 s[8:9], s[6:7]
	s_xor_b64 s[6:7], exec, s[8:9]
	s_cbranch_execnz .LBB58_2877
; %bb.829:
	s_or_saveexec_b64 s[6:7], s[6:7]
	v_mov_b32_e32 v14, s10
	s_xor_b64 exec, exec, s[6:7]
	s_cbranch_execnz .LBB58_2880
.LBB58_830:
	s_or_b64 exec, exec, s[6:7]
	s_and_saveexec_b64 s[6:7], s[4:5]
	s_cbranch_execz .LBB58_832
.LBB58_831:
	v_bfe_u32 v14, v11, 24, 3
	v_ffbh_u32_e32 v22, v14
	v_min_u32_e32 v22, 32, v22
	v_lshrrev_b32_e32 v20, 27, v11
	v_subrev_u32_e32 v23, 28, v22
	v_and_b32_e32 v15, 0x80000000, v11
	v_and_b32_e32 v20, 15, v20
	v_bfe_u32 v21, v11, 27, 4
	v_lshlrev_b32_sdwa v11, v23, v11 dst_sel:DWORD dst_unused:UNUSED_PAD src0_sel:DWORD src1_sel:BYTE_3
	v_sub_u32_e32 v22, 29, v22
	v_and_b32_e32 v11, 7, v11
	v_cmp_eq_u16_e32 vcc, 0, v20
	v_cndmask_b32_e32 v11, v14, v11, vcc
	v_cndmask_b32_e32 v14, v21, v22, vcc
	v_mov_b32_e32 v20, 0x3b800000
	v_lshlrev_b32_e32 v11, 20, v11
	v_lshl_add_u32 v14, v14, 23, v20
	v_or3_b32 v14, v15, v14, v11
.LBB58_832:
	s_or_b64 exec, exec, s[6:7]
	s_nop 0
	v_mfma_f32_16x16x4f32 a[0:3], v10, v14, a[0:3]
	s_movk_i32 s4, 0x7f
	v_cmp_gt_i16_sdwa s[6:7], v16, s4 src0_sel:BYTE_0 src1_sel:DWORD
	s_mov_b64 s[4:5], 0
                                        ; implicit-def: $sgpr10
	s_and_saveexec_b64 s[8:9], s[6:7]
	s_xor_b64 s[6:7], exec, s[8:9]
	s_cbranch_execnz .LBB58_2881
; %bb.833:
	s_or_saveexec_b64 s[6:7], s[6:7]
	v_mov_b32_e32 v10, s10
	s_xor_b64 exec, exec, s[6:7]
	s_cbranch_execnz .LBB58_2884
.LBB58_834:
	s_or_b64 exec, exec, s[6:7]
	s_and_saveexec_b64 s[6:7], s[4:5]
	s_cbranch_execz .LBB58_836
.LBB58_835:
	v_and_b32_e32 v10, 7, v16
	v_ffbh_u32_e32 v14, v10
	v_min_u32_e32 v14, 32, v14
	v_lshrrev_b16_e32 v11, 3, v16
	v_subrev_u32_e32 v15, 28, v14
	v_and_b32_e32 v11, 15, v11
	v_lshlrev_b32_e32 v15, v15, v16
	v_sub_u32_e32 v14, 29, v14
	v_and_b32_e32 v15, 7, v15
	v_cmp_eq_u16_e32 vcc, 0, v11
	v_cndmask_b32_e32 v10, v10, v15, vcc
	v_cndmask_b32_e32 v11, v11, v14, vcc
	v_lshlrev_b32_e32 v14, 24, v16
	v_mov_b32_e32 v15, 0x3b800000
	v_lshlrev_b32_e32 v10, 20, v10
	v_and_b32_e32 v14, 0x80000000, v14
	v_lshl_add_u32 v11, v11, 23, v15
	v_or3_b32 v10, v14, v11, v10
.LBB58_836:
	s_or_b64 exec, exec, s[6:7]
	s_movk_i32 s4, 0x7f
	v_cmp_gt_i16_sdwa s[6:7], v12, s4 src0_sel:BYTE_0 src1_sel:DWORD
	s_mov_b64 s[4:5], 0
                                        ; implicit-def: $sgpr10
	s_and_saveexec_b64 s[8:9], s[6:7]
	s_xor_b64 s[6:7], exec, s[8:9]
	s_cbranch_execnz .LBB58_2885
; %bb.837:
	s_or_saveexec_b64 s[6:7], s[6:7]
	v_mov_b32_e32 v11, s10
	s_xor_b64 exec, exec, s[6:7]
	s_cbranch_execnz .LBB58_2888
.LBB58_838:
	s_or_b64 exec, exec, s[6:7]
	s_and_saveexec_b64 s[6:7], s[4:5]
	s_cbranch_execz .LBB58_840
.LBB58_839:
	v_and_b32_e32 v11, 7, v12
	v_ffbh_u32_e32 v15, v11
	v_min_u32_e32 v15, 32, v15
	v_lshrrev_b16_e32 v14, 3, v12
	v_subrev_u32_e32 v20, 28, v15
	v_and_b32_e32 v14, 15, v14
	v_lshlrev_b32_e32 v20, v20, v12
	v_sub_u32_e32 v15, 29, v15
	v_and_b32_e32 v20, 7, v20
	v_cmp_eq_u16_e32 vcc, 0, v14
	v_cndmask_b32_e32 v11, v11, v20, vcc
	v_cndmask_b32_e32 v14, v14, v15, vcc
	v_lshlrev_b32_e32 v15, 24, v12
	v_mov_b32_e32 v20, 0x3b800000
	v_lshlrev_b32_e32 v11, 20, v11
	v_and_b32_e32 v15, 0x80000000, v15
	v_lshl_add_u32 v14, v14, 23, v20
	v_or3_b32 v11, v15, v14, v11
.LBB58_840:
	s_or_b64 exec, exec, s[6:7]
	s_nop 0
	v_mfma_f32_16x16x4f32 a[0:3], v10, v11, a[0:3]
	v_lshrrev_b32_e32 v11, 8, v16
	s_movk_i32 s4, 0x7f
	v_cmp_gt_i16_sdwa s[6:7], v11, s4 src0_sel:BYTE_0 src1_sel:DWORD
	s_mov_b64 s[4:5], 0
                                        ; implicit-def: $sgpr10
	s_and_saveexec_b64 s[8:9], s[6:7]
	s_xor_b64 s[6:7], exec, s[8:9]
	s_cbranch_execnz .LBB58_2889
; %bb.841:
	s_or_saveexec_b64 s[6:7], s[6:7]
	v_mov_b32_e32 v10, s10
	s_xor_b64 exec, exec, s[6:7]
	s_cbranch_execnz .LBB58_2892
.LBB58_842:
	s_or_b64 exec, exec, s[6:7]
	s_and_saveexec_b64 s[6:7], s[4:5]
	s_cbranch_execz .LBB58_844
.LBB58_843:
	v_bfe_u32 v10, v16, 8, 3
	v_ffbh_u32_e32 v15, v10
	v_min_u32_e32 v15, 32, v15
	v_lshrrev_b16_e32 v14, 3, v11
	v_subrev_u32_e32 v20, 28, v15
	v_and_b32_e32 v14, 15, v14
	v_lshlrev_b32_e32 v11, v20, v11
	v_sub_u32_e32 v15, 29, v15
	v_and_b32_e32 v11, 7, v11
	v_cmp_eq_u16_e32 vcc, 0, v14
	v_cndmask_b32_e32 v10, v10, v11, vcc
	v_cndmask_b32_e32 v11, v14, v15, vcc
	v_lshlrev_b32_e32 v14, 16, v16
	v_mov_b32_e32 v15, 0x3b800000
	v_lshlrev_b32_e32 v10, 20, v10
	v_and_b32_e32 v14, 0x80000000, v14
	v_lshl_add_u32 v11, v11, 23, v15
	v_or3_b32 v10, v14, v11, v10
.LBB58_844:
	s_or_b64 exec, exec, s[6:7]
	v_lshrrev_b32_e32 v11, 8, v12
	s_movk_i32 s4, 0x7f
	v_cmp_gt_i16_sdwa s[6:7], v11, s4 src0_sel:BYTE_0 src1_sel:DWORD
	s_mov_b64 s[4:5], 0
                                        ; implicit-def: $sgpr10
	s_and_saveexec_b64 s[8:9], s[6:7]
	s_xor_b64 s[6:7], exec, s[8:9]
	s_cbranch_execnz .LBB58_2893
; %bb.845:
	s_or_saveexec_b64 s[6:7], s[6:7]
	v_mov_b32_e32 v14, s10
	s_xor_b64 exec, exec, s[6:7]
	s_cbranch_execnz .LBB58_2896
.LBB58_846:
	s_or_b64 exec, exec, s[6:7]
	s_and_saveexec_b64 s[6:7], s[4:5]
	s_cbranch_execz .LBB58_848
.LBB58_847:
	v_bfe_u32 v14, v12, 8, 3
	v_ffbh_u32_e32 v20, v14
	v_min_u32_e32 v20, 32, v20
	v_lshrrev_b16_e32 v15, 3, v11
	v_subrev_u32_e32 v21, 28, v20
	v_and_b32_e32 v15, 15, v15
	v_lshlrev_b32_e32 v11, v21, v11
	v_sub_u32_e32 v20, 29, v20
	v_and_b32_e32 v11, 7, v11
	v_cmp_eq_u16_e32 vcc, 0, v15
	v_cndmask_b32_e32 v11, v14, v11, vcc
	v_cndmask_b32_e32 v14, v15, v20, vcc
	v_lshlrev_b32_e32 v15, 16, v12
	v_mov_b32_e32 v20, 0x3b800000
	v_lshlrev_b32_e32 v11, 20, v11
	v_and_b32_e32 v15, 0x80000000, v15
	v_lshl_add_u32 v14, v14, 23, v20
	v_or3_b32 v14, v15, v14, v11
.LBB58_848:
	s_or_b64 exec, exec, s[6:7]
	s_nop 0
	v_mfma_f32_16x16x4f32 a[0:3], v10, v14, a[0:3]
	s_movk_i32 s4, 0xff
	v_and_b32_sdwa v11, v16, s4 dst_sel:DWORD dst_unused:UNUSED_PAD src0_sel:WORD_1 src1_sel:DWORD
	s_movk_i32 s4, 0x7f
	v_cmp_lt_i16_e32 vcc, s4, v11
	s_mov_b64 s[4:5], 0
                                        ; implicit-def: $sgpr10
	s_and_saveexec_b64 s[6:7], vcc
	s_xor_b64 s[6:7], exec, s[6:7]
	s_cbranch_execnz .LBB58_2897
; %bb.849:
	s_or_saveexec_b64 s[6:7], s[6:7]
	v_mov_b32_e32 v10, s10
	s_xor_b64 exec, exec, s[6:7]
	s_cbranch_execnz .LBB58_2900
.LBB58_850:
	s_or_b64 exec, exec, s[6:7]
	s_and_saveexec_b64 s[6:7], s[4:5]
	s_cbranch_execz .LBB58_852
.LBB58_851:
	v_bfe_u32 v10, v16, 16, 3
	v_ffbh_u32_e32 v15, v10
	v_min_u32_e32 v15, 32, v15
	v_lshrrev_b32_e32 v11, 19, v16
	v_subrev_u32_e32 v20, 28, v15
	v_and_b32_e32 v11, 15, v11
	v_lshlrev_b32_sdwa v20, v20, v16 dst_sel:DWORD dst_unused:UNUSED_PAD src0_sel:DWORD src1_sel:WORD_1
	v_bfe_u32 v14, v16, 19, 4
	v_sub_u32_e32 v15, 29, v15
	v_and_b32_e32 v20, 7, v20
	v_cmp_eq_u16_e32 vcc, 0, v11
	v_cndmask_b32_e32 v10, v10, v20, vcc
	v_cndmask_b32_e32 v11, v14, v15, vcc
	v_lshlrev_b32_e32 v14, 8, v16
	v_mov_b32_e32 v15, 0x3b800000
	v_lshlrev_b32_e32 v10, 20, v10
	v_and_b32_e32 v14, 0x80000000, v14
	v_lshl_add_u32 v11, v11, 23, v15
	v_or3_b32 v10, v14, v11, v10
.LBB58_852:
	s_or_b64 exec, exec, s[6:7]
	s_movk_i32 s4, 0xff
	v_and_b32_sdwa v11, v12, s4 dst_sel:DWORD dst_unused:UNUSED_PAD src0_sel:WORD_1 src1_sel:DWORD
	s_movk_i32 s4, 0x7f
	v_cmp_lt_i16_e32 vcc, s4, v11
	s_mov_b64 s[4:5], 0
                                        ; implicit-def: $sgpr10
	s_and_saveexec_b64 s[6:7], vcc
	s_xor_b64 s[6:7], exec, s[6:7]
	s_cbranch_execnz .LBB58_2901
; %bb.853:
	s_or_saveexec_b64 s[6:7], s[6:7]
	v_mov_b32_e32 v14, s10
	s_xor_b64 exec, exec, s[6:7]
	s_cbranch_execnz .LBB58_2904
.LBB58_854:
	s_or_b64 exec, exec, s[6:7]
	s_and_saveexec_b64 s[6:7], s[4:5]
	s_cbranch_execz .LBB58_856
.LBB58_855:
	v_bfe_u32 v11, v12, 16, 3
	v_ffbh_u32_e32 v20, v11
	v_min_u32_e32 v20, 32, v20
	v_lshrrev_b32_e32 v14, 19, v12
	v_subrev_u32_e32 v21, 28, v20
	v_and_b32_e32 v14, 15, v14
	v_lshlrev_b32_sdwa v21, v21, v12 dst_sel:DWORD dst_unused:UNUSED_PAD src0_sel:DWORD src1_sel:WORD_1
	v_bfe_u32 v15, v12, 19, 4
	v_sub_u32_e32 v20, 29, v20
	v_and_b32_e32 v21, 7, v21
	v_cmp_eq_u16_e32 vcc, 0, v14
	v_cndmask_b32_e32 v11, v11, v21, vcc
	v_cndmask_b32_e32 v14, v15, v20, vcc
	v_lshlrev_b32_e32 v15, 8, v12
	v_mov_b32_e32 v20, 0x3b800000
	v_lshlrev_b32_e32 v11, 20, v11
	v_and_b32_e32 v15, 0x80000000, v15
	v_lshl_add_u32 v14, v14, 23, v20
	v_or3_b32 v14, v15, v14, v11
.LBB58_856:
	s_or_b64 exec, exec, s[6:7]
	s_nop 0
	v_mfma_f32_16x16x4f32 a[0:3], v10, v14, a[0:3]
	s_movk_i32 s4, 0x7f
	v_cmp_gt_i16_sdwa s[6:7], v16, s4 src0_sel:BYTE_3 src1_sel:DWORD
	s_mov_b64 s[4:5], 0
                                        ; implicit-def: $sgpr10
	s_and_saveexec_b64 s[8:9], s[6:7]
	s_xor_b64 s[6:7], exec, s[8:9]
	s_cbranch_execnz .LBB58_2905
; %bb.857:
	s_or_saveexec_b64 s[6:7], s[6:7]
	v_mov_b32_e32 v10, s10
	s_xor_b64 exec, exec, s[6:7]
	s_cbranch_execnz .LBB58_2908
.LBB58_858:
	s_or_b64 exec, exec, s[6:7]
	s_and_saveexec_b64 s[6:7], s[4:5]
	s_cbranch_execz .LBB58_860
.LBB58_859:
	v_bfe_u32 v10, v16, 24, 3
	v_ffbh_u32_e32 v20, v10
	v_min_u32_e32 v20, 32, v20
	v_lshrrev_b32_e32 v14, 27, v16
	v_subrev_u32_e32 v21, 28, v20
	v_and_b32_e32 v11, 0x80000000, v16
	v_and_b32_e32 v14, 15, v14
	v_bfe_u32 v15, v16, 27, 4
	v_lshlrev_b32_sdwa v16, v21, v16 dst_sel:DWORD dst_unused:UNUSED_PAD src0_sel:DWORD src1_sel:BYTE_3
	v_sub_u32_e32 v20, 29, v20
	v_and_b32_e32 v16, 7, v16
	v_cmp_eq_u16_e32 vcc, 0, v14
	v_cndmask_b32_e32 v10, v10, v16, vcc
	v_cndmask_b32_e32 v14, v15, v20, vcc
	v_mov_b32_e32 v15, 0x3b800000
	v_lshlrev_b32_e32 v10, 20, v10
	v_lshl_add_u32 v14, v14, 23, v15
	v_or3_b32 v10, v11, v14, v10
.LBB58_860:
	s_or_b64 exec, exec, s[6:7]
	s_movk_i32 s4, 0x7f
	v_cmp_gt_i16_sdwa s[6:7], v12, s4 src0_sel:BYTE_3 src1_sel:DWORD
	s_mov_b64 s[4:5], 0
                                        ; implicit-def: $sgpr10
	s_and_saveexec_b64 s[8:9], s[6:7]
	s_xor_b64 s[6:7], exec, s[8:9]
	s_cbranch_execnz .LBB58_2909
; %bb.861:
	s_or_saveexec_b64 s[6:7], s[6:7]
	v_mov_b32_e32 v11, s10
	s_xor_b64 exec, exec, s[6:7]
	s_cbranch_execnz .LBB58_2912
.LBB58_862:
	s_or_b64 exec, exec, s[6:7]
	s_and_saveexec_b64 s[6:7], s[4:5]
	s_cbranch_execz .LBB58_864
.LBB58_863:
	v_bfe_u32 v11, v12, 24, 3
	v_ffbh_u32_e32 v20, v11
	v_min_u32_e32 v20, 32, v20
	v_lshrrev_b32_e32 v15, 27, v12
	v_subrev_u32_e32 v21, 28, v20
	v_and_b32_e32 v14, 0x80000000, v12
	v_and_b32_e32 v15, 15, v15
	v_bfe_u32 v16, v12, 27, 4
	v_lshlrev_b32_sdwa v12, v21, v12 dst_sel:DWORD dst_unused:UNUSED_PAD src0_sel:DWORD src1_sel:BYTE_3
	v_sub_u32_e32 v20, 29, v20
	v_and_b32_e32 v12, 7, v12
	v_cmp_eq_u16_e32 vcc, 0, v15
	v_cndmask_b32_e32 v11, v11, v12, vcc
	v_cndmask_b32_e32 v12, v16, v20, vcc
	v_mov_b32_e32 v15, 0x3b800000
	v_lshlrev_b32_e32 v11, 20, v11
	v_lshl_add_u32 v12, v12, 23, v15
	v_or3_b32 v11, v14, v12, v11
.LBB58_864:
	s_or_b64 exec, exec, s[6:7]
	s_nop 0
	v_mfma_f32_16x16x4f32 a[0:3], v10, v11, a[0:3]
	s_movk_i32 s4, 0x7f
	v_cmp_gt_i16_sdwa s[6:7], v17, s4 src0_sel:BYTE_0 src1_sel:DWORD
	s_mov_b64 s[4:5], 0
                                        ; implicit-def: $sgpr10
	s_and_saveexec_b64 s[8:9], s[6:7]
	s_xor_b64 s[6:7], exec, s[8:9]
	s_cbranch_execnz .LBB58_2913
; %bb.865:
	s_or_saveexec_b64 s[6:7], s[6:7]
	v_mov_b32_e32 v10, s10
	s_xor_b64 exec, exec, s[6:7]
	s_cbranch_execnz .LBB58_2916
.LBB58_866:
	s_or_b64 exec, exec, s[6:7]
	s_and_saveexec_b64 s[6:7], s[4:5]
	s_cbranch_execz .LBB58_868
.LBB58_867:
	v_and_b32_e32 v10, 7, v17
	v_ffbh_u32_e32 v12, v10
	v_min_u32_e32 v12, 32, v12
	v_lshrrev_b16_e32 v11, 3, v17
	v_subrev_u32_e32 v14, 28, v12
	v_and_b32_e32 v11, 15, v11
	v_lshlrev_b32_e32 v14, v14, v17
	v_sub_u32_e32 v12, 29, v12
	v_and_b32_e32 v14, 7, v14
	v_cmp_eq_u16_e32 vcc, 0, v11
	v_cndmask_b32_e32 v10, v10, v14, vcc
	v_cndmask_b32_e32 v11, v11, v12, vcc
	v_lshlrev_b32_e32 v12, 24, v17
	v_mov_b32_e32 v14, 0x3b800000
	v_lshlrev_b32_e32 v10, 20, v10
	v_and_b32_e32 v12, 0x80000000, v12
	v_lshl_add_u32 v11, v11, 23, v14
	v_or3_b32 v10, v12, v11, v10
.LBB58_868:
	s_or_b64 exec, exec, s[6:7]
	s_movk_i32 s4, 0x7f
	v_cmp_gt_i16_sdwa s[6:7], v13, s4 src0_sel:BYTE_0 src1_sel:DWORD
	s_mov_b64 s[4:5], 0
                                        ; implicit-def: $sgpr10
	s_and_saveexec_b64 s[8:9], s[6:7]
	s_xor_b64 s[6:7], exec, s[8:9]
	s_cbranch_execnz .LBB58_2917
; %bb.869:
	s_or_saveexec_b64 s[6:7], s[6:7]
	v_mov_b32_e32 v11, s10
	s_xor_b64 exec, exec, s[6:7]
	s_cbranch_execnz .LBB58_2920
.LBB58_870:
	s_or_b64 exec, exec, s[6:7]
	s_and_saveexec_b64 s[6:7], s[4:5]
	s_cbranch_execz .LBB58_872
.LBB58_871:
	v_and_b32_e32 v11, 7, v13
	v_ffbh_u32_e32 v14, v11
	v_min_u32_e32 v14, 32, v14
	v_lshrrev_b16_e32 v12, 3, v13
	v_subrev_u32_e32 v15, 28, v14
	v_and_b32_e32 v12, 15, v12
	v_lshlrev_b32_e32 v15, v15, v13
	v_sub_u32_e32 v14, 29, v14
	v_and_b32_e32 v15, 7, v15
	v_cmp_eq_u16_e32 vcc, 0, v12
	v_cndmask_b32_e32 v11, v11, v15, vcc
	v_cndmask_b32_e32 v12, v12, v14, vcc
	v_lshlrev_b32_e32 v14, 24, v13
	v_mov_b32_e32 v15, 0x3b800000
	v_lshlrev_b32_e32 v11, 20, v11
	v_and_b32_e32 v14, 0x80000000, v14
	v_lshl_add_u32 v12, v12, 23, v15
	v_or3_b32 v11, v14, v12, v11
.LBB58_872:
	s_or_b64 exec, exec, s[6:7]
	s_nop 0
	v_mfma_f32_16x16x4f32 a[0:3], v10, v11, a[0:3]
	v_lshrrev_b32_e32 v11, 8, v17
	s_movk_i32 s4, 0x7f
	v_cmp_gt_i16_sdwa s[6:7], v11, s4 src0_sel:BYTE_0 src1_sel:DWORD
	s_mov_b64 s[4:5], 0
                                        ; implicit-def: $sgpr10
	s_and_saveexec_b64 s[8:9], s[6:7]
	s_xor_b64 s[6:7], exec, s[8:9]
	s_cbranch_execnz .LBB58_2921
; %bb.873:
	s_or_saveexec_b64 s[6:7], s[6:7]
	v_mov_b32_e32 v10, s10
	s_xor_b64 exec, exec, s[6:7]
	s_cbranch_execnz .LBB58_2924
.LBB58_874:
	s_or_b64 exec, exec, s[6:7]
	s_and_saveexec_b64 s[6:7], s[4:5]
	s_cbranch_execz .LBB58_876
.LBB58_875:
	v_bfe_u32 v10, v17, 8, 3
	v_ffbh_u32_e32 v14, v10
	v_min_u32_e32 v14, 32, v14
	v_lshrrev_b16_e32 v12, 3, v11
	v_subrev_u32_e32 v15, 28, v14
	v_and_b32_e32 v12, 15, v12
	v_lshlrev_b32_e32 v11, v15, v11
	v_sub_u32_e32 v14, 29, v14
	v_and_b32_e32 v11, 7, v11
	v_cmp_eq_u16_e32 vcc, 0, v12
	v_cndmask_b32_e32 v10, v10, v11, vcc
	v_cndmask_b32_e32 v11, v12, v14, vcc
	v_lshlrev_b32_e32 v12, 16, v17
	v_mov_b32_e32 v14, 0x3b800000
	v_lshlrev_b32_e32 v10, 20, v10
	v_and_b32_e32 v12, 0x80000000, v12
	v_lshl_add_u32 v11, v11, 23, v14
	v_or3_b32 v10, v12, v11, v10
.LBB58_876:
	s_or_b64 exec, exec, s[6:7]
	v_lshrrev_b32_e32 v11, 8, v13
	s_movk_i32 s4, 0x7f
	v_cmp_gt_i16_sdwa s[6:7], v11, s4 src0_sel:BYTE_0 src1_sel:DWORD
	s_mov_b64 s[4:5], 0
                                        ; implicit-def: $sgpr10
	s_and_saveexec_b64 s[8:9], s[6:7]
	s_xor_b64 s[6:7], exec, s[8:9]
	s_cbranch_execnz .LBB58_2925
; %bb.877:
	s_or_saveexec_b64 s[6:7], s[6:7]
	v_mov_b32_e32 v12, s10
	s_xor_b64 exec, exec, s[6:7]
	s_cbranch_execnz .LBB58_2928
.LBB58_878:
	s_or_b64 exec, exec, s[6:7]
	s_and_saveexec_b64 s[6:7], s[4:5]
	s_cbranch_execz .LBB58_880
.LBB58_879:
	v_bfe_u32 v12, v13, 8, 3
	v_ffbh_u32_e32 v15, v12
	v_min_u32_e32 v15, 32, v15
	v_lshrrev_b16_e32 v14, 3, v11
	v_subrev_u32_e32 v16, 28, v15
	v_and_b32_e32 v14, 15, v14
	v_lshlrev_b32_e32 v11, v16, v11
	v_sub_u32_e32 v15, 29, v15
	v_and_b32_e32 v11, 7, v11
	v_cmp_eq_u16_e32 vcc, 0, v14
	v_cndmask_b32_e32 v11, v12, v11, vcc
	v_cndmask_b32_e32 v12, v14, v15, vcc
	v_lshlrev_b32_e32 v14, 16, v13
	v_mov_b32_e32 v15, 0x3b800000
	v_lshlrev_b32_e32 v11, 20, v11
	v_and_b32_e32 v14, 0x80000000, v14
	v_lshl_add_u32 v12, v12, 23, v15
	v_or3_b32 v12, v14, v12, v11
.LBB58_880:
	s_or_b64 exec, exec, s[6:7]
	s_nop 0
	v_mfma_f32_16x16x4f32 a[0:3], v10, v12, a[0:3]
	s_movk_i32 s4, 0xff
	v_and_b32_sdwa v11, v17, s4 dst_sel:DWORD dst_unused:UNUSED_PAD src0_sel:WORD_1 src1_sel:DWORD
	s_movk_i32 s4, 0x7f
	v_cmp_lt_i16_e32 vcc, s4, v11
	s_mov_b64 s[4:5], 0
                                        ; implicit-def: $sgpr10
	s_and_saveexec_b64 s[6:7], vcc
	s_xor_b64 s[6:7], exec, s[6:7]
	s_cbranch_execnz .LBB58_2929
; %bb.881:
	s_or_saveexec_b64 s[6:7], s[6:7]
	v_mov_b32_e32 v10, s10
	s_xor_b64 exec, exec, s[6:7]
	s_cbranch_execnz .LBB58_2932
.LBB58_882:
	s_or_b64 exec, exec, s[6:7]
	s_and_saveexec_b64 s[6:7], s[4:5]
	s_cbranch_execz .LBB58_884
.LBB58_883:
	v_bfe_u32 v10, v17, 16, 3
	v_ffbh_u32_e32 v14, v10
	v_min_u32_e32 v14, 32, v14
	v_lshrrev_b32_e32 v11, 19, v17
	v_subrev_u32_e32 v15, 28, v14
	v_and_b32_e32 v11, 15, v11
	v_lshlrev_b32_sdwa v15, v15, v17 dst_sel:DWORD dst_unused:UNUSED_PAD src0_sel:DWORD src1_sel:WORD_1
	v_bfe_u32 v12, v17, 19, 4
	v_sub_u32_e32 v14, 29, v14
	v_and_b32_e32 v15, 7, v15
	v_cmp_eq_u16_e32 vcc, 0, v11
	v_cndmask_b32_e32 v10, v10, v15, vcc
	v_cndmask_b32_e32 v11, v12, v14, vcc
	v_lshlrev_b32_e32 v12, 8, v17
	v_mov_b32_e32 v14, 0x3b800000
	v_lshlrev_b32_e32 v10, 20, v10
	v_and_b32_e32 v12, 0x80000000, v12
	v_lshl_add_u32 v11, v11, 23, v14
	v_or3_b32 v10, v12, v11, v10
.LBB58_884:
	s_or_b64 exec, exec, s[6:7]
	s_movk_i32 s4, 0xff
	v_and_b32_sdwa v11, v13, s4 dst_sel:DWORD dst_unused:UNUSED_PAD src0_sel:WORD_1 src1_sel:DWORD
	s_movk_i32 s4, 0x7f
	v_cmp_lt_i16_e32 vcc, s4, v11
	s_mov_b64 s[4:5], 0
                                        ; implicit-def: $sgpr10
	s_and_saveexec_b64 s[6:7], vcc
	s_xor_b64 s[6:7], exec, s[6:7]
	s_cbranch_execnz .LBB58_2933
; %bb.885:
	s_or_saveexec_b64 s[6:7], s[6:7]
	v_mov_b32_e32 v12, s10
	s_xor_b64 exec, exec, s[6:7]
	s_cbranch_execnz .LBB58_2936
.LBB58_886:
	s_or_b64 exec, exec, s[6:7]
	s_and_saveexec_b64 s[6:7], s[4:5]
	s_cbranch_execz .LBB58_888
.LBB58_887:
	v_bfe_u32 v11, v13, 16, 3
	v_ffbh_u32_e32 v15, v11
	v_min_u32_e32 v15, 32, v15
	v_lshrrev_b32_e32 v12, 19, v13
	v_subrev_u32_e32 v16, 28, v15
	v_and_b32_e32 v12, 15, v12
	v_lshlrev_b32_sdwa v16, v16, v13 dst_sel:DWORD dst_unused:UNUSED_PAD src0_sel:DWORD src1_sel:WORD_1
	v_bfe_u32 v14, v13, 19, 4
	v_sub_u32_e32 v15, 29, v15
	v_and_b32_e32 v16, 7, v16
	v_cmp_eq_u16_e32 vcc, 0, v12
	v_cndmask_b32_e32 v11, v11, v16, vcc
	v_cndmask_b32_e32 v12, v14, v15, vcc
	v_lshlrev_b32_e32 v14, 8, v13
	v_mov_b32_e32 v15, 0x3b800000
	v_lshlrev_b32_e32 v11, 20, v11
	v_and_b32_e32 v14, 0x80000000, v14
	v_lshl_add_u32 v12, v12, 23, v15
	v_or3_b32 v12, v14, v12, v11
.LBB58_888:
	s_or_b64 exec, exec, s[6:7]
	s_nop 0
	v_mfma_f32_16x16x4f32 a[0:3], v10, v12, a[0:3]
	s_movk_i32 s4, 0x7f
	v_cmp_gt_i16_sdwa s[6:7], v17, s4 src0_sel:BYTE_3 src1_sel:DWORD
	s_mov_b64 s[4:5], 0
                                        ; implicit-def: $sgpr10
	s_and_saveexec_b64 s[8:9], s[6:7]
	s_xor_b64 s[6:7], exec, s[8:9]
	s_cbranch_execnz .LBB58_2937
; %bb.889:
	s_or_saveexec_b64 s[6:7], s[6:7]
	v_mov_b32_e32 v10, s10
	s_xor_b64 exec, exec, s[6:7]
	s_cbranch_execnz .LBB58_2940
.LBB58_890:
	s_or_b64 exec, exec, s[6:7]
	s_and_saveexec_b64 s[6:7], s[4:5]
	s_cbranch_execz .LBB58_892
.LBB58_891:
	v_bfe_u32 v10, v17, 24, 3
	v_ffbh_u32_e32 v15, v10
	v_min_u32_e32 v15, 32, v15
	v_lshrrev_b32_e32 v12, 27, v17
	v_subrev_u32_e32 v16, 28, v15
	v_and_b32_e32 v12, 15, v12
	v_lshlrev_b32_sdwa v16, v16, v17 dst_sel:DWORD dst_unused:UNUSED_PAD src0_sel:DWORD src1_sel:BYTE_3
	v_bfe_u32 v14, v17, 27, 4
	v_sub_u32_e32 v15, 29, v15
	v_and_b32_e32 v16, 7, v16
	v_cmp_eq_u16_e32 vcc, 0, v12
	v_cndmask_b32_e32 v10, v10, v16, vcc
	v_cndmask_b32_e32 v12, v14, v15, vcc
	v_mov_b32_e32 v14, 0x3b800000
	v_and_b32_e32 v11, 0x80000000, v17
	v_lshlrev_b32_e32 v10, 20, v10
	v_lshl_add_u32 v12, v12, 23, v14
	v_or3_b32 v10, v11, v12, v10
.LBB58_892:
	s_or_b64 exec, exec, s[6:7]
	s_movk_i32 s4, 0x7f
	v_cmp_gt_i16_sdwa s[6:7], v13, s4 src0_sel:BYTE_3 src1_sel:DWORD
	s_mov_b64 s[4:5], 0
                                        ; implicit-def: $sgpr10
	s_and_saveexec_b64 s[8:9], s[6:7]
	s_xor_b64 s[6:7], exec, s[8:9]
	s_cbranch_execnz .LBB58_2941
; %bb.893:
	s_or_saveexec_b64 s[6:7], s[6:7]
	v_mov_b32_e32 v11, s10
	s_xor_b64 exec, exec, s[6:7]
	s_cbranch_execnz .LBB58_2944
.LBB58_894:
	s_or_b64 exec, exec, s[6:7]
	s_and_saveexec_b64 s[6:7], s[4:5]
	s_cbranch_execz .LBB58_896
.LBB58_895:
	v_bfe_u32 v11, v13, 24, 3
	v_ffbh_u32_e32 v16, v11
	v_min_u32_e32 v16, 32, v16
	v_lshrrev_b32_e32 v14, 27, v13
	v_subrev_u32_e32 v17, 28, v16
	v_and_b32_e32 v12, 0x80000000, v13
	v_and_b32_e32 v14, 15, v14
	v_bfe_u32 v15, v13, 27, 4
	v_lshlrev_b32_sdwa v13, v17, v13 dst_sel:DWORD dst_unused:UNUSED_PAD src0_sel:DWORD src1_sel:BYTE_3
	v_sub_u32_e32 v16, 29, v16
	v_and_b32_e32 v13, 7, v13
	v_cmp_eq_u16_e32 vcc, 0, v14
	v_cndmask_b32_e32 v11, v11, v13, vcc
	v_cndmask_b32_e32 v13, v15, v16, vcc
	v_mov_b32_e32 v14, 0x3b800000
	v_lshlrev_b32_e32 v11, 20, v11
	v_lshl_add_u32 v13, v13, 23, v14
	v_or3_b32 v11, v12, v13, v11
.LBB58_896:
	s_or_b64 exec, exec, s[6:7]
	s_nop 0
	v_mfma_f32_16x16x4f32 a[0:3], v10, v11, a[0:3]
	s_movk_i32 s4, 0x7f
	v_cmp_gt_i16_sdwa s[6:7], v6, s4 src0_sel:BYTE_0 src1_sel:DWORD
	s_mov_b64 s[4:5], 0
                                        ; implicit-def: $sgpr10
	s_and_saveexec_b64 s[8:9], s[6:7]
	s_xor_b64 s[6:7], exec, s[8:9]
	s_cbranch_execnz .LBB58_2945
; %bb.897:
	s_or_saveexec_b64 s[6:7], s[6:7]
	v_mov_b32_e32 v10, s10
	s_xor_b64 exec, exec, s[6:7]
	s_cbranch_execnz .LBB58_2948
.LBB58_898:
	s_or_b64 exec, exec, s[6:7]
	s_and_saveexec_b64 s[6:7], s[4:5]
	s_cbranch_execz .LBB58_900
.LBB58_899:
	v_and_b32_e32 v10, 7, v6
	v_ffbh_u32_e32 v12, v10
	v_min_u32_e32 v12, 32, v12
	v_lshrrev_b16_e32 v11, 3, v6
	v_subrev_u32_e32 v13, 28, v12
	v_and_b32_e32 v11, 15, v11
	v_lshlrev_b32_e32 v13, v13, v6
	v_sub_u32_e32 v12, 29, v12
	v_and_b32_e32 v13, 7, v13
	v_cmp_eq_u16_e32 vcc, 0, v11
	v_cndmask_b32_e32 v10, v10, v13, vcc
	v_cndmask_b32_e32 v11, v11, v12, vcc
	v_lshlrev_b32_e32 v12, 24, v6
	v_mov_b32_e32 v13, 0x3b800000
	v_lshlrev_b32_e32 v10, 20, v10
	v_and_b32_e32 v12, 0x80000000, v12
	v_lshl_add_u32 v11, v11, 23, v13
	v_or3_b32 v10, v12, v11, v10
.LBB58_900:
	s_or_b64 exec, exec, s[6:7]
	s_movk_i32 s4, 0x7f
	v_cmp_gt_i16_sdwa s[6:7], v2, s4 src0_sel:BYTE_0 src1_sel:DWORD
	s_mov_b64 s[4:5], 0
                                        ; implicit-def: $sgpr10
	s_and_saveexec_b64 s[8:9], s[6:7]
	s_xor_b64 s[6:7], exec, s[8:9]
	s_cbranch_execnz .LBB58_2949
; %bb.901:
	s_or_saveexec_b64 s[6:7], s[6:7]
	v_mov_b32_e32 v11, s10
	s_xor_b64 exec, exec, s[6:7]
	s_cbranch_execnz .LBB58_2952
.LBB58_902:
	s_or_b64 exec, exec, s[6:7]
	s_and_saveexec_b64 s[6:7], s[4:5]
	s_cbranch_execz .LBB58_904
.LBB58_903:
	v_and_b32_e32 v11, 7, v2
	v_ffbh_u32_e32 v13, v11
	v_min_u32_e32 v13, 32, v13
	v_lshrrev_b16_e32 v12, 3, v2
	v_subrev_u32_e32 v14, 28, v13
	v_and_b32_e32 v12, 15, v12
	v_lshlrev_b32_e32 v14, v14, v2
	v_sub_u32_e32 v13, 29, v13
	v_and_b32_e32 v14, 7, v14
	v_cmp_eq_u16_e32 vcc, 0, v12
	v_cndmask_b32_e32 v11, v11, v14, vcc
	v_cndmask_b32_e32 v12, v12, v13, vcc
	v_lshlrev_b32_e32 v13, 24, v2
	v_mov_b32_e32 v14, 0x3b800000
	v_lshlrev_b32_e32 v11, 20, v11
	v_and_b32_e32 v13, 0x80000000, v13
	v_lshl_add_u32 v12, v12, 23, v14
	v_or3_b32 v11, v13, v12, v11
.LBB58_904:
	s_or_b64 exec, exec, s[6:7]
	s_nop 0
	v_mfma_f32_16x16x4f32 a[0:3], v10, v11, a[0:3]
	v_lshrrev_b32_e32 v11, 8, v6
	s_movk_i32 s4, 0x7f
	v_cmp_gt_i16_sdwa s[6:7], v11, s4 src0_sel:BYTE_0 src1_sel:DWORD
	s_mov_b64 s[4:5], 0
                                        ; implicit-def: $sgpr10
	s_and_saveexec_b64 s[8:9], s[6:7]
	s_xor_b64 s[6:7], exec, s[8:9]
	s_cbranch_execnz .LBB58_2953
; %bb.905:
	s_or_saveexec_b64 s[6:7], s[6:7]
	v_mov_b32_e32 v10, s10
	s_xor_b64 exec, exec, s[6:7]
	s_cbranch_execnz .LBB58_2956
.LBB58_906:
	s_or_b64 exec, exec, s[6:7]
	s_and_saveexec_b64 s[6:7], s[4:5]
	s_cbranch_execz .LBB58_908
.LBB58_907:
	v_bfe_u32 v10, v6, 8, 3
	v_ffbh_u32_e32 v13, v10
	v_min_u32_e32 v13, 32, v13
	v_lshrrev_b16_e32 v12, 3, v11
	v_subrev_u32_e32 v14, 28, v13
	v_and_b32_e32 v12, 15, v12
	v_lshlrev_b32_e32 v11, v14, v11
	v_sub_u32_e32 v13, 29, v13
	v_and_b32_e32 v11, 7, v11
	v_cmp_eq_u16_e32 vcc, 0, v12
	v_cndmask_b32_e32 v10, v10, v11, vcc
	v_cndmask_b32_e32 v11, v12, v13, vcc
	v_lshlrev_b32_e32 v12, 16, v6
	v_mov_b32_e32 v13, 0x3b800000
	v_lshlrev_b32_e32 v10, 20, v10
	v_and_b32_e32 v12, 0x80000000, v12
	v_lshl_add_u32 v11, v11, 23, v13
	v_or3_b32 v10, v12, v11, v10
.LBB58_908:
	s_or_b64 exec, exec, s[6:7]
	v_lshrrev_b32_e32 v11, 8, v2
	s_movk_i32 s4, 0x7f
	v_cmp_gt_i16_sdwa s[6:7], v11, s4 src0_sel:BYTE_0 src1_sel:DWORD
	s_mov_b64 s[4:5], 0
                                        ; implicit-def: $sgpr10
	s_and_saveexec_b64 s[8:9], s[6:7]
	s_xor_b64 s[6:7], exec, s[8:9]
	s_cbranch_execnz .LBB58_2957
; %bb.909:
	s_or_saveexec_b64 s[6:7], s[6:7]
	v_mov_b32_e32 v12, s10
	s_xor_b64 exec, exec, s[6:7]
	s_cbranch_execnz .LBB58_2960
.LBB58_910:
	s_or_b64 exec, exec, s[6:7]
	s_and_saveexec_b64 s[6:7], s[4:5]
	s_cbranch_execz .LBB58_912
.LBB58_911:
	v_bfe_u32 v12, v2, 8, 3
	v_ffbh_u32_e32 v14, v12
	v_min_u32_e32 v14, 32, v14
	v_lshrrev_b16_e32 v13, 3, v11
	v_subrev_u32_e32 v15, 28, v14
	v_and_b32_e32 v13, 15, v13
	v_lshlrev_b32_e32 v11, v15, v11
	v_sub_u32_e32 v14, 29, v14
	v_and_b32_e32 v11, 7, v11
	v_cmp_eq_u16_e32 vcc, 0, v13
	v_cndmask_b32_e32 v11, v12, v11, vcc
	v_cndmask_b32_e32 v12, v13, v14, vcc
	v_lshlrev_b32_e32 v13, 16, v2
	v_mov_b32_e32 v14, 0x3b800000
	v_lshlrev_b32_e32 v11, 20, v11
	v_and_b32_e32 v13, 0x80000000, v13
	v_lshl_add_u32 v12, v12, 23, v14
	v_or3_b32 v12, v13, v12, v11
.LBB58_912:
	s_or_b64 exec, exec, s[6:7]
	s_nop 0
	v_mfma_f32_16x16x4f32 a[0:3], v10, v12, a[0:3]
	s_movk_i32 s4, 0xff
	v_and_b32_sdwa v11, v6, s4 dst_sel:DWORD dst_unused:UNUSED_PAD src0_sel:WORD_1 src1_sel:DWORD
	s_movk_i32 s4, 0x7f
	v_cmp_lt_i16_e32 vcc, s4, v11
	s_mov_b64 s[4:5], 0
                                        ; implicit-def: $sgpr10
	s_and_saveexec_b64 s[6:7], vcc
	s_xor_b64 s[6:7], exec, s[6:7]
	s_cbranch_execnz .LBB58_2961
; %bb.913:
	s_or_saveexec_b64 s[6:7], s[6:7]
	v_mov_b32_e32 v10, s10
	s_xor_b64 exec, exec, s[6:7]
	s_cbranch_execnz .LBB58_2964
.LBB58_914:
	s_or_b64 exec, exec, s[6:7]
	s_and_saveexec_b64 s[6:7], s[4:5]
	s_cbranch_execz .LBB58_916
.LBB58_915:
	v_bfe_u32 v10, v6, 16, 3
	v_ffbh_u32_e32 v13, v10
	v_min_u32_e32 v13, 32, v13
	v_lshrrev_b32_e32 v11, 19, v6
	v_subrev_u32_e32 v14, 28, v13
	v_and_b32_e32 v11, 15, v11
	v_lshlrev_b32_sdwa v14, v14, v6 dst_sel:DWORD dst_unused:UNUSED_PAD src0_sel:DWORD src1_sel:WORD_1
	v_bfe_u32 v12, v6, 19, 4
	v_sub_u32_e32 v13, 29, v13
	v_and_b32_e32 v14, 7, v14
	v_cmp_eq_u16_e32 vcc, 0, v11
	v_cndmask_b32_e32 v10, v10, v14, vcc
	v_cndmask_b32_e32 v11, v12, v13, vcc
	v_lshlrev_b32_e32 v12, 8, v6
	v_mov_b32_e32 v13, 0x3b800000
	v_lshlrev_b32_e32 v10, 20, v10
	v_and_b32_e32 v12, 0x80000000, v12
	v_lshl_add_u32 v11, v11, 23, v13
	v_or3_b32 v10, v12, v11, v10
.LBB58_916:
	s_or_b64 exec, exec, s[6:7]
	s_movk_i32 s4, 0xff
	v_and_b32_sdwa v11, v2, s4 dst_sel:DWORD dst_unused:UNUSED_PAD src0_sel:WORD_1 src1_sel:DWORD
	s_movk_i32 s4, 0x7f
	v_cmp_lt_i16_e32 vcc, s4, v11
	s_mov_b64 s[4:5], 0
                                        ; implicit-def: $sgpr10
	s_and_saveexec_b64 s[6:7], vcc
	s_xor_b64 s[6:7], exec, s[6:7]
	s_cbranch_execnz .LBB58_2965
; %bb.917:
	s_or_saveexec_b64 s[6:7], s[6:7]
	v_mov_b32_e32 v12, s10
	s_xor_b64 exec, exec, s[6:7]
	s_cbranch_execnz .LBB58_2968
.LBB58_918:
	s_or_b64 exec, exec, s[6:7]
	s_and_saveexec_b64 s[6:7], s[4:5]
	s_cbranch_execz .LBB58_920
.LBB58_919:
	v_bfe_u32 v11, v2, 16, 3
	v_ffbh_u32_e32 v14, v11
	v_min_u32_e32 v14, 32, v14
	v_lshrrev_b32_e32 v12, 19, v2
	v_subrev_u32_e32 v15, 28, v14
	v_and_b32_e32 v12, 15, v12
	v_lshlrev_b32_sdwa v15, v15, v2 dst_sel:DWORD dst_unused:UNUSED_PAD src0_sel:DWORD src1_sel:WORD_1
	v_bfe_u32 v13, v2, 19, 4
	v_sub_u32_e32 v14, 29, v14
	v_and_b32_e32 v15, 7, v15
	v_cmp_eq_u16_e32 vcc, 0, v12
	v_cndmask_b32_e32 v11, v11, v15, vcc
	v_cndmask_b32_e32 v12, v13, v14, vcc
	v_lshlrev_b32_e32 v13, 8, v2
	v_mov_b32_e32 v14, 0x3b800000
	v_lshlrev_b32_e32 v11, 20, v11
	v_and_b32_e32 v13, 0x80000000, v13
	v_lshl_add_u32 v12, v12, 23, v14
	v_or3_b32 v12, v13, v12, v11
.LBB58_920:
	s_or_b64 exec, exec, s[6:7]
	s_nop 0
	v_mfma_f32_16x16x4f32 a[0:3], v10, v12, a[0:3]
	s_movk_i32 s4, 0x7f
	v_cmp_gt_i16_sdwa s[6:7], v6, s4 src0_sel:BYTE_3 src1_sel:DWORD
	s_mov_b64 s[4:5], 0
                                        ; implicit-def: $sgpr10
	s_and_saveexec_b64 s[8:9], s[6:7]
	s_xor_b64 s[6:7], exec, s[8:9]
	s_cbranch_execnz .LBB58_2969
; %bb.921:
	s_or_saveexec_b64 s[6:7], s[6:7]
	v_mov_b32_e32 v10, s10
	s_xor_b64 exec, exec, s[6:7]
	s_cbranch_execnz .LBB58_2972
.LBB58_922:
	s_or_b64 exec, exec, s[6:7]
	s_and_saveexec_b64 s[6:7], s[4:5]
	s_cbranch_execz .LBB58_924
.LBB58_923:
	v_bfe_u32 v10, v6, 24, 3
	v_ffbh_u32_e32 v14, v10
	v_min_u32_e32 v14, 32, v14
	v_lshrrev_b32_e32 v12, 27, v6
	v_subrev_u32_e32 v15, 28, v14
	v_and_b32_e32 v11, 0x80000000, v6
	v_and_b32_e32 v12, 15, v12
	v_bfe_u32 v13, v6, 27, 4
	v_lshlrev_b32_sdwa v6, v15, v6 dst_sel:DWORD dst_unused:UNUSED_PAD src0_sel:DWORD src1_sel:BYTE_3
	v_sub_u32_e32 v14, 29, v14
	v_and_b32_e32 v6, 7, v6
	v_cmp_eq_u16_e32 vcc, 0, v12
	v_cndmask_b32_e32 v6, v10, v6, vcc
	v_cndmask_b32_e32 v10, v13, v14, vcc
	v_mov_b32_e32 v12, 0x3b800000
	v_lshlrev_b32_e32 v6, 20, v6
	v_lshl_add_u32 v10, v10, 23, v12
	v_or3_b32 v10, v11, v10, v6
.LBB58_924:
	s_or_b64 exec, exec, s[6:7]
	s_movk_i32 s4, 0x7f
	v_cmp_gt_i16_sdwa s[6:7], v2, s4 src0_sel:BYTE_3 src1_sel:DWORD
	s_mov_b64 s[4:5], 0
                                        ; implicit-def: $sgpr10
	s_and_saveexec_b64 s[8:9], s[6:7]
	s_xor_b64 s[6:7], exec, s[8:9]
	s_cbranch_execnz .LBB58_2973
; %bb.925:
	s_or_saveexec_b64 s[6:7], s[6:7]
	v_mov_b32_e32 v6, s10
	s_xor_b64 exec, exec, s[6:7]
	s_cbranch_execnz .LBB58_2976
.LBB58_926:
	s_or_b64 exec, exec, s[6:7]
	s_and_saveexec_b64 s[6:7], s[4:5]
	s_cbranch_execz .LBB58_928
.LBB58_927:
	v_bfe_u32 v6, v2, 24, 3
	v_ffbh_u32_e32 v14, v6
	v_min_u32_e32 v14, 32, v14
	v_lshrrev_b32_e32 v12, 27, v2
	v_subrev_u32_e32 v15, 28, v14
	v_and_b32_e32 v11, 0x80000000, v2
	v_and_b32_e32 v12, 15, v12
	v_bfe_u32 v13, v2, 27, 4
	v_lshlrev_b32_sdwa v2, v15, v2 dst_sel:DWORD dst_unused:UNUSED_PAD src0_sel:DWORD src1_sel:BYTE_3
	v_sub_u32_e32 v14, 29, v14
	v_and_b32_e32 v2, 7, v2
	v_cmp_eq_u16_e32 vcc, 0, v12
	v_cndmask_b32_e32 v2, v6, v2, vcc
	v_cndmask_b32_e32 v6, v13, v14, vcc
	v_mov_b32_e32 v12, 0x3b800000
	v_lshlrev_b32_e32 v2, 20, v2
	v_lshl_add_u32 v6, v6, 23, v12
	v_or3_b32 v6, v11, v6, v2
.LBB58_928:
	s_or_b64 exec, exec, s[6:7]
	s_nop 0
	v_mfma_f32_16x16x4f32 a[0:3], v10, v6, a[0:3]
	s_movk_i32 s4, 0x7f
	v_cmp_gt_i16_sdwa s[6:7], v7, s4 src0_sel:BYTE_0 src1_sel:DWORD
	s_mov_b64 s[4:5], 0
                                        ; implicit-def: $sgpr10
	s_and_saveexec_b64 s[8:9], s[6:7]
	s_xor_b64 s[6:7], exec, s[8:9]
	s_cbranch_execnz .LBB58_2977
; %bb.929:
	s_or_saveexec_b64 s[6:7], s[6:7]
	v_mov_b32_e32 v2, s10
	s_xor_b64 exec, exec, s[6:7]
	s_cbranch_execnz .LBB58_2980
.LBB58_930:
	s_or_b64 exec, exec, s[6:7]
	s_and_saveexec_b64 s[6:7], s[4:5]
	s_cbranch_execz .LBB58_932
.LBB58_931:
	v_and_b32_e32 v2, 7, v7
	v_ffbh_u32_e32 v10, v2
	v_min_u32_e32 v10, 32, v10
	v_lshrrev_b16_e32 v6, 3, v7
	v_subrev_u32_e32 v11, 28, v10
	v_and_b32_e32 v6, 15, v6
	v_lshlrev_b32_e32 v11, v11, v7
	v_sub_u32_e32 v10, 29, v10
	v_and_b32_e32 v11, 7, v11
	v_cmp_eq_u16_e32 vcc, 0, v6
	v_cndmask_b32_e32 v2, v2, v11, vcc
	v_cndmask_b32_e32 v6, v6, v10, vcc
	v_lshlrev_b32_e32 v10, 24, v7
	v_mov_b32_e32 v11, 0x3b800000
	v_lshlrev_b32_e32 v2, 20, v2
	v_and_b32_e32 v10, 0x80000000, v10
	v_lshl_add_u32 v6, v6, 23, v11
	v_or3_b32 v2, v10, v6, v2
.LBB58_932:
	s_or_b64 exec, exec, s[6:7]
	s_movk_i32 s4, 0x7f
	v_cmp_gt_i16_sdwa s[6:7], v3, s4 src0_sel:BYTE_0 src1_sel:DWORD
	s_mov_b64 s[4:5], 0
                                        ; implicit-def: $sgpr10
	s_and_saveexec_b64 s[8:9], s[6:7]
	s_xor_b64 s[6:7], exec, s[8:9]
	s_cbranch_execnz .LBB58_2981
; %bb.933:
	s_or_saveexec_b64 s[6:7], s[6:7]
	v_mov_b32_e32 v6, s10
	s_xor_b64 exec, exec, s[6:7]
	s_cbranch_execnz .LBB58_2984
.LBB58_934:
	s_or_b64 exec, exec, s[6:7]
	s_and_saveexec_b64 s[6:7], s[4:5]
	s_cbranch_execz .LBB58_936
.LBB58_935:
	v_and_b32_e32 v6, 7, v3
	v_ffbh_u32_e32 v11, v6
	v_min_u32_e32 v11, 32, v11
	v_lshrrev_b16_e32 v10, 3, v3
	v_subrev_u32_e32 v12, 28, v11
	v_and_b32_e32 v10, 15, v10
	v_lshlrev_b32_e32 v12, v12, v3
	v_sub_u32_e32 v11, 29, v11
	v_and_b32_e32 v12, 7, v12
	v_cmp_eq_u16_e32 vcc, 0, v10
	v_cndmask_b32_e32 v6, v6, v12, vcc
	v_cndmask_b32_e32 v10, v10, v11, vcc
	v_lshlrev_b32_e32 v11, 24, v3
	v_mov_b32_e32 v12, 0x3b800000
	v_lshlrev_b32_e32 v6, 20, v6
	v_and_b32_e32 v11, 0x80000000, v11
	v_lshl_add_u32 v10, v10, 23, v12
	v_or3_b32 v6, v11, v10, v6
.LBB58_936:
	s_or_b64 exec, exec, s[6:7]
	s_nop 0
	v_mfma_f32_16x16x4f32 a[0:3], v2, v6, a[0:3]
	v_lshrrev_b32_e32 v6, 8, v7
	s_movk_i32 s4, 0x7f
	v_cmp_gt_i16_sdwa s[6:7], v6, s4 src0_sel:BYTE_0 src1_sel:DWORD
	s_mov_b64 s[4:5], 0
                                        ; implicit-def: $sgpr10
	s_and_saveexec_b64 s[8:9], s[6:7]
	s_xor_b64 s[6:7], exec, s[8:9]
	s_cbranch_execnz .LBB58_2985
; %bb.937:
	s_or_saveexec_b64 s[6:7], s[6:7]
	v_mov_b32_e32 v2, s10
	s_xor_b64 exec, exec, s[6:7]
	s_cbranch_execnz .LBB58_2988
.LBB58_938:
	s_or_b64 exec, exec, s[6:7]
	s_and_saveexec_b64 s[6:7], s[4:5]
	s_cbranch_execz .LBB58_940
.LBB58_939:
	v_bfe_u32 v2, v7, 8, 3
	v_ffbh_u32_e32 v11, v2
	v_min_u32_e32 v11, 32, v11
	v_lshrrev_b16_e32 v10, 3, v6
	v_subrev_u32_e32 v12, 28, v11
	v_and_b32_e32 v10, 15, v10
	v_lshlrev_b32_e32 v6, v12, v6
	v_sub_u32_e32 v11, 29, v11
	v_and_b32_e32 v6, 7, v6
	v_cmp_eq_u16_e32 vcc, 0, v10
	v_cndmask_b32_e32 v2, v2, v6, vcc
	v_cndmask_b32_e32 v6, v10, v11, vcc
	v_lshlrev_b32_e32 v10, 16, v7
	v_mov_b32_e32 v11, 0x3b800000
	v_lshlrev_b32_e32 v2, 20, v2
	v_and_b32_e32 v10, 0x80000000, v10
	v_lshl_add_u32 v6, v6, 23, v11
	v_or3_b32 v2, v10, v6, v2
.LBB58_940:
	s_or_b64 exec, exec, s[6:7]
	v_lshrrev_b32_e32 v6, 8, v3
	s_movk_i32 s4, 0x7f
	v_cmp_gt_i16_sdwa s[6:7], v6, s4 src0_sel:BYTE_0 src1_sel:DWORD
	s_mov_b64 s[4:5], 0
                                        ; implicit-def: $sgpr10
	s_and_saveexec_b64 s[8:9], s[6:7]
	s_xor_b64 s[6:7], exec, s[8:9]
	s_cbranch_execnz .LBB58_2989
; %bb.941:
	s_or_saveexec_b64 s[6:7], s[6:7]
	v_mov_b32_e32 v10, s10
	s_xor_b64 exec, exec, s[6:7]
	s_cbranch_execnz .LBB58_2992
.LBB58_942:
	s_or_b64 exec, exec, s[6:7]
	s_and_saveexec_b64 s[6:7], s[4:5]
	s_cbranch_execz .LBB58_944
.LBB58_943:
	v_bfe_u32 v10, v3, 8, 3
	v_ffbh_u32_e32 v12, v10
	v_min_u32_e32 v12, 32, v12
	v_lshrrev_b16_e32 v11, 3, v6
	v_subrev_u32_e32 v13, 28, v12
	v_and_b32_e32 v11, 15, v11
	v_lshlrev_b32_e32 v6, v13, v6
	v_sub_u32_e32 v12, 29, v12
	v_and_b32_e32 v6, 7, v6
	v_cmp_eq_u16_e32 vcc, 0, v11
	v_cndmask_b32_e32 v6, v10, v6, vcc
	v_cndmask_b32_e32 v10, v11, v12, vcc
	v_lshlrev_b32_e32 v11, 16, v3
	v_mov_b32_e32 v12, 0x3b800000
	v_lshlrev_b32_e32 v6, 20, v6
	v_and_b32_e32 v11, 0x80000000, v11
	v_lshl_add_u32 v10, v10, 23, v12
	v_or3_b32 v10, v11, v10, v6
.LBB58_944:
	s_or_b64 exec, exec, s[6:7]
	s_nop 0
	v_mfma_f32_16x16x4f32 a[0:3], v2, v10, a[0:3]
	s_movk_i32 s4, 0xff
	v_and_b32_sdwa v6, v7, s4 dst_sel:DWORD dst_unused:UNUSED_PAD src0_sel:WORD_1 src1_sel:DWORD
	s_movk_i32 s4, 0x7f
	v_cmp_lt_i16_e32 vcc, s4, v6
	s_mov_b64 s[4:5], 0
                                        ; implicit-def: $sgpr10
	s_and_saveexec_b64 s[6:7], vcc
	s_xor_b64 s[6:7], exec, s[6:7]
	s_cbranch_execnz .LBB58_2993
; %bb.945:
	s_or_saveexec_b64 s[6:7], s[6:7]
	v_mov_b32_e32 v2, s10
	s_xor_b64 exec, exec, s[6:7]
	s_cbranch_execnz .LBB58_2996
.LBB58_946:
	s_or_b64 exec, exec, s[6:7]
	s_and_saveexec_b64 s[6:7], s[4:5]
	s_cbranch_execz .LBB58_948
.LBB58_947:
	v_bfe_u32 v2, v7, 16, 3
	v_ffbh_u32_e32 v11, v2
	v_min_u32_e32 v11, 32, v11
	v_lshrrev_b32_e32 v6, 19, v7
	v_subrev_u32_e32 v12, 28, v11
	v_and_b32_e32 v6, 15, v6
	v_lshlrev_b32_sdwa v12, v12, v7 dst_sel:DWORD dst_unused:UNUSED_PAD src0_sel:DWORD src1_sel:WORD_1
	v_bfe_u32 v10, v7, 19, 4
	v_sub_u32_e32 v11, 29, v11
	v_and_b32_e32 v12, 7, v12
	v_cmp_eq_u16_e32 vcc, 0, v6
	v_cndmask_b32_e32 v2, v2, v12, vcc
	v_cndmask_b32_e32 v6, v10, v11, vcc
	v_lshlrev_b32_e32 v10, 8, v7
	v_mov_b32_e32 v11, 0x3b800000
	v_lshlrev_b32_e32 v2, 20, v2
	v_and_b32_e32 v10, 0x80000000, v10
	v_lshl_add_u32 v6, v6, 23, v11
	v_or3_b32 v2, v10, v6, v2
.LBB58_948:
	s_or_b64 exec, exec, s[6:7]
	s_movk_i32 s4, 0xff
	v_and_b32_sdwa v6, v3, s4 dst_sel:DWORD dst_unused:UNUSED_PAD src0_sel:WORD_1 src1_sel:DWORD
	s_movk_i32 s4, 0x7f
	v_cmp_lt_i16_e32 vcc, s4, v6
	s_mov_b64 s[4:5], 0
                                        ; implicit-def: $sgpr10
	s_and_saveexec_b64 s[6:7], vcc
	s_xor_b64 s[6:7], exec, s[6:7]
	s_cbranch_execnz .LBB58_2997
; %bb.949:
	s_or_saveexec_b64 s[6:7], s[6:7]
	v_mov_b32_e32 v10, s10
	s_xor_b64 exec, exec, s[6:7]
	s_cbranch_execnz .LBB58_3000
.LBB58_950:
	s_or_b64 exec, exec, s[6:7]
	s_and_saveexec_b64 s[6:7], s[4:5]
	s_cbranch_execz .LBB58_952
.LBB58_951:
	v_bfe_u32 v6, v3, 16, 3
	v_ffbh_u32_e32 v12, v6
	v_min_u32_e32 v12, 32, v12
	v_lshrrev_b32_e32 v10, 19, v3
	v_subrev_u32_e32 v13, 28, v12
	v_and_b32_e32 v10, 15, v10
	v_lshlrev_b32_sdwa v13, v13, v3 dst_sel:DWORD dst_unused:UNUSED_PAD src0_sel:DWORD src1_sel:WORD_1
	v_bfe_u32 v11, v3, 19, 4
	v_sub_u32_e32 v12, 29, v12
	v_and_b32_e32 v13, 7, v13
	v_cmp_eq_u16_e32 vcc, 0, v10
	v_cndmask_b32_e32 v6, v6, v13, vcc
	v_cndmask_b32_e32 v10, v11, v12, vcc
	v_lshlrev_b32_e32 v11, 8, v3
	v_mov_b32_e32 v12, 0x3b800000
	v_lshlrev_b32_e32 v6, 20, v6
	v_and_b32_e32 v11, 0x80000000, v11
	v_lshl_add_u32 v10, v10, 23, v12
	v_or3_b32 v10, v11, v10, v6
.LBB58_952:
	s_or_b64 exec, exec, s[6:7]
	s_nop 0
	v_mfma_f32_16x16x4f32 a[0:3], v2, v10, a[0:3]
	s_movk_i32 s4, 0x7f
	v_cmp_gt_i16_sdwa s[6:7], v7, s4 src0_sel:BYTE_3 src1_sel:DWORD
	s_mov_b64 s[4:5], 0
                                        ; implicit-def: $sgpr10
	s_and_saveexec_b64 s[8:9], s[6:7]
	s_xor_b64 s[6:7], exec, s[8:9]
	s_cbranch_execnz .LBB58_3001
; %bb.953:
	s_or_saveexec_b64 s[6:7], s[6:7]
	v_mov_b32_e32 v2, s10
	s_xor_b64 exec, exec, s[6:7]
	s_cbranch_execnz .LBB58_3004
.LBB58_954:
	s_or_b64 exec, exec, s[6:7]
	s_and_saveexec_b64 s[6:7], s[4:5]
	s_cbranch_execz .LBB58_956
.LBB58_955:
	v_bfe_u32 v2, v7, 24, 3
	v_ffbh_u32_e32 v12, v2
	v_min_u32_e32 v12, 32, v12
	v_lshrrev_b32_e32 v10, 27, v7
	v_subrev_u32_e32 v13, 28, v12
	v_and_b32_e32 v6, 0x80000000, v7
	v_and_b32_e32 v10, 15, v10
	v_bfe_u32 v11, v7, 27, 4
	v_lshlrev_b32_sdwa v7, v13, v7 dst_sel:DWORD dst_unused:UNUSED_PAD src0_sel:DWORD src1_sel:BYTE_3
	v_sub_u32_e32 v12, 29, v12
	v_and_b32_e32 v7, 7, v7
	v_cmp_eq_u16_e32 vcc, 0, v10
	v_cndmask_b32_e32 v2, v2, v7, vcc
	v_cndmask_b32_e32 v7, v11, v12, vcc
	v_mov_b32_e32 v10, 0x3b800000
	v_lshlrev_b32_e32 v2, 20, v2
	v_lshl_add_u32 v7, v7, 23, v10
	v_or3_b32 v2, v6, v7, v2
.LBB58_956:
	s_or_b64 exec, exec, s[6:7]
	s_movk_i32 s4, 0x7f
	v_cmp_gt_i16_sdwa s[6:7], v3, s4 src0_sel:BYTE_3 src1_sel:DWORD
	s_mov_b64 s[4:5], 0
                                        ; implicit-def: $sgpr10
	s_and_saveexec_b64 s[8:9], s[6:7]
	s_xor_b64 s[6:7], exec, s[8:9]
	s_cbranch_execnz .LBB58_3005
; %bb.957:
	s_or_saveexec_b64 s[6:7], s[6:7]
	v_mov_b32_e32 v6, s10
	s_xor_b64 exec, exec, s[6:7]
	s_cbranch_execnz .LBB58_3008
.LBB58_958:
	s_or_b64 exec, exec, s[6:7]
	s_and_saveexec_b64 s[6:7], s[4:5]
	s_cbranch_execz .LBB58_960
.LBB58_959:
	v_bfe_u32 v6, v3, 24, 3
	v_ffbh_u32_e32 v12, v6
	v_min_u32_e32 v12, 32, v12
	v_lshrrev_b32_e32 v10, 27, v3
	v_subrev_u32_e32 v13, 28, v12
	v_and_b32_e32 v7, 0x80000000, v3
	v_and_b32_e32 v10, 15, v10
	v_bfe_u32 v11, v3, 27, 4
	v_lshlrev_b32_sdwa v3, v13, v3 dst_sel:DWORD dst_unused:UNUSED_PAD src0_sel:DWORD src1_sel:BYTE_3
	v_sub_u32_e32 v12, 29, v12
	v_and_b32_e32 v3, 7, v3
	v_cmp_eq_u16_e32 vcc, 0, v10
	v_cndmask_b32_e32 v3, v6, v3, vcc
	v_cndmask_b32_e32 v6, v11, v12, vcc
	v_mov_b32_e32 v10, 0x3b800000
	v_lshlrev_b32_e32 v3, 20, v3
	v_lshl_add_u32 v6, v6, 23, v10
	v_or3_b32 v6, v7, v6, v3
.LBB58_960:
	s_or_b64 exec, exec, s[6:7]
	s_nop 0
	v_mfma_f32_16x16x4f32 a[0:3], v2, v6, a[0:3]
	s_movk_i32 s4, 0x7f
	v_cmp_gt_i16_sdwa s[6:7], v8, s4 src0_sel:BYTE_0 src1_sel:DWORD
	s_mov_b64 s[4:5], 0
                                        ; implicit-def: $sgpr10
	s_and_saveexec_b64 s[8:9], s[6:7]
	s_xor_b64 s[6:7], exec, s[8:9]
	s_cbranch_execnz .LBB58_3009
; %bb.961:
	s_or_saveexec_b64 s[6:7], s[6:7]
	v_mov_b32_e32 v2, s10
	s_xor_b64 exec, exec, s[6:7]
	s_cbranch_execnz .LBB58_3012
.LBB58_962:
	s_or_b64 exec, exec, s[6:7]
	s_and_saveexec_b64 s[6:7], s[4:5]
	s_cbranch_execz .LBB58_964
.LBB58_963:
	v_and_b32_e32 v2, 7, v8
	v_ffbh_u32_e32 v6, v2
	v_min_u32_e32 v6, 32, v6
	v_lshrrev_b16_e32 v3, 3, v8
	v_subrev_u32_e32 v7, 28, v6
	v_and_b32_e32 v3, 15, v3
	v_lshlrev_b32_e32 v7, v7, v8
	v_sub_u32_e32 v6, 29, v6
	v_and_b32_e32 v7, 7, v7
	v_cmp_eq_u16_e32 vcc, 0, v3
	v_cndmask_b32_e32 v2, v2, v7, vcc
	v_cndmask_b32_e32 v3, v3, v6, vcc
	v_lshlrev_b32_e32 v6, 24, v8
	v_mov_b32_e32 v7, 0x3b800000
	v_lshlrev_b32_e32 v2, 20, v2
	v_and_b32_e32 v6, 0x80000000, v6
	v_lshl_add_u32 v3, v3, 23, v7
	v_or3_b32 v2, v6, v3, v2
.LBB58_964:
	s_or_b64 exec, exec, s[6:7]
	s_movk_i32 s4, 0x7f
	v_cmp_gt_i16_sdwa s[6:7], v4, s4 src0_sel:BYTE_0 src1_sel:DWORD
	s_mov_b64 s[4:5], 0
                                        ; implicit-def: $sgpr10
	s_and_saveexec_b64 s[8:9], s[6:7]
	s_xor_b64 s[6:7], exec, s[8:9]
	s_cbranch_execnz .LBB58_3013
; %bb.965:
	s_or_saveexec_b64 s[6:7], s[6:7]
	v_mov_b32_e32 v3, s10
	s_xor_b64 exec, exec, s[6:7]
	s_cbranch_execnz .LBB58_3016
.LBB58_966:
	s_or_b64 exec, exec, s[6:7]
	s_and_saveexec_b64 s[6:7], s[4:5]
	s_cbranch_execz .LBB58_968
.LBB58_967:
	v_and_b32_e32 v3, 7, v4
	v_ffbh_u32_e32 v7, v3
	v_min_u32_e32 v7, 32, v7
	v_lshrrev_b16_e32 v6, 3, v4
	v_subrev_u32_e32 v10, 28, v7
	v_and_b32_e32 v6, 15, v6
	v_lshlrev_b32_e32 v10, v10, v4
	v_sub_u32_e32 v7, 29, v7
	v_and_b32_e32 v10, 7, v10
	v_cmp_eq_u16_e32 vcc, 0, v6
	v_cndmask_b32_e32 v3, v3, v10, vcc
	v_cndmask_b32_e32 v6, v6, v7, vcc
	v_lshlrev_b32_e32 v7, 24, v4
	v_mov_b32_e32 v10, 0x3b800000
	v_lshlrev_b32_e32 v3, 20, v3
	v_and_b32_e32 v7, 0x80000000, v7
	v_lshl_add_u32 v6, v6, 23, v10
	v_or3_b32 v3, v7, v6, v3
.LBB58_968:
	s_or_b64 exec, exec, s[6:7]
	s_nop 0
	v_mfma_f32_16x16x4f32 a[0:3], v2, v3, a[0:3]
	v_lshrrev_b32_e32 v3, 8, v8
	s_movk_i32 s4, 0x7f
	v_cmp_gt_i16_sdwa s[6:7], v3, s4 src0_sel:BYTE_0 src1_sel:DWORD
	s_mov_b64 s[4:5], 0
                                        ; implicit-def: $sgpr10
	s_and_saveexec_b64 s[8:9], s[6:7]
	s_xor_b64 s[6:7], exec, s[8:9]
	s_cbranch_execnz .LBB58_3017
; %bb.969:
	s_or_saveexec_b64 s[6:7], s[6:7]
	v_mov_b32_e32 v2, s10
	s_xor_b64 exec, exec, s[6:7]
	s_cbranch_execnz .LBB58_3020
.LBB58_970:
	s_or_b64 exec, exec, s[6:7]
	s_and_saveexec_b64 s[6:7], s[4:5]
	s_cbranch_execz .LBB58_972
.LBB58_971:
	v_bfe_u32 v2, v8, 8, 3
	v_ffbh_u32_e32 v7, v2
	v_min_u32_e32 v7, 32, v7
	v_lshrrev_b16_e32 v6, 3, v3
	v_subrev_u32_e32 v10, 28, v7
	v_and_b32_e32 v6, 15, v6
	v_lshlrev_b32_e32 v3, v10, v3
	v_sub_u32_e32 v7, 29, v7
	v_and_b32_e32 v3, 7, v3
	v_cmp_eq_u16_e32 vcc, 0, v6
	v_cndmask_b32_e32 v2, v2, v3, vcc
	v_cndmask_b32_e32 v3, v6, v7, vcc
	v_lshlrev_b32_e32 v6, 16, v8
	v_mov_b32_e32 v7, 0x3b800000
	v_lshlrev_b32_e32 v2, 20, v2
	v_and_b32_e32 v6, 0x80000000, v6
	v_lshl_add_u32 v3, v3, 23, v7
	v_or3_b32 v2, v6, v3, v2
.LBB58_972:
	s_or_b64 exec, exec, s[6:7]
	v_lshrrev_b32_e32 v3, 8, v4
	s_movk_i32 s4, 0x7f
	v_cmp_gt_i16_sdwa s[6:7], v3, s4 src0_sel:BYTE_0 src1_sel:DWORD
	s_mov_b64 s[4:5], 0
                                        ; implicit-def: $sgpr10
	s_and_saveexec_b64 s[8:9], s[6:7]
	s_xor_b64 s[6:7], exec, s[8:9]
	s_cbranch_execnz .LBB58_3021
; %bb.973:
	s_or_saveexec_b64 s[6:7], s[6:7]
	v_mov_b32_e32 v6, s10
	s_xor_b64 exec, exec, s[6:7]
	s_cbranch_execnz .LBB58_3024
.LBB58_974:
	s_or_b64 exec, exec, s[6:7]
	s_and_saveexec_b64 s[6:7], s[4:5]
	s_cbranch_execz .LBB58_976
.LBB58_975:
	v_bfe_u32 v6, v4, 8, 3
	v_ffbh_u32_e32 v10, v6
	v_min_u32_e32 v10, 32, v10
	v_lshrrev_b16_e32 v7, 3, v3
	v_subrev_u32_e32 v11, 28, v10
	v_and_b32_e32 v7, 15, v7
	v_lshlrev_b32_e32 v3, v11, v3
	v_sub_u32_e32 v10, 29, v10
	v_and_b32_e32 v3, 7, v3
	v_cmp_eq_u16_e32 vcc, 0, v7
	v_cndmask_b32_e32 v3, v6, v3, vcc
	v_cndmask_b32_e32 v6, v7, v10, vcc
	v_lshlrev_b32_e32 v7, 16, v4
	v_mov_b32_e32 v10, 0x3b800000
	v_lshlrev_b32_e32 v3, 20, v3
	v_and_b32_e32 v7, 0x80000000, v7
	v_lshl_add_u32 v6, v6, 23, v10
	v_or3_b32 v6, v7, v6, v3
.LBB58_976:
	s_or_b64 exec, exec, s[6:7]
	s_nop 0
	v_mfma_f32_16x16x4f32 a[0:3], v2, v6, a[0:3]
	s_movk_i32 s4, 0xff
	v_and_b32_sdwa v3, v8, s4 dst_sel:DWORD dst_unused:UNUSED_PAD src0_sel:WORD_1 src1_sel:DWORD
	s_movk_i32 s4, 0x7f
	v_cmp_lt_i16_e32 vcc, s4, v3
	s_mov_b64 s[4:5], 0
                                        ; implicit-def: $sgpr10
	s_and_saveexec_b64 s[6:7], vcc
	s_xor_b64 s[6:7], exec, s[6:7]
	s_cbranch_execnz .LBB58_3025
; %bb.977:
	s_or_saveexec_b64 s[6:7], s[6:7]
	v_mov_b32_e32 v2, s10
	s_xor_b64 exec, exec, s[6:7]
	s_cbranch_execnz .LBB58_3028
.LBB58_978:
	s_or_b64 exec, exec, s[6:7]
	s_and_saveexec_b64 s[6:7], s[4:5]
	s_cbranch_execz .LBB58_980
.LBB58_979:
	v_bfe_u32 v2, v8, 16, 3
	v_ffbh_u32_e32 v7, v2
	v_min_u32_e32 v7, 32, v7
	v_lshrrev_b32_e32 v3, 19, v8
	v_subrev_u32_e32 v10, 28, v7
	v_and_b32_e32 v3, 15, v3
	v_lshlrev_b32_sdwa v10, v10, v8 dst_sel:DWORD dst_unused:UNUSED_PAD src0_sel:DWORD src1_sel:WORD_1
	v_bfe_u32 v6, v8, 19, 4
	v_sub_u32_e32 v7, 29, v7
	v_and_b32_e32 v10, 7, v10
	v_cmp_eq_u16_e32 vcc, 0, v3
	v_cndmask_b32_e32 v2, v2, v10, vcc
	v_cndmask_b32_e32 v3, v6, v7, vcc
	v_lshlrev_b32_e32 v6, 8, v8
	v_mov_b32_e32 v7, 0x3b800000
	v_lshlrev_b32_e32 v2, 20, v2
	v_and_b32_e32 v6, 0x80000000, v6
	v_lshl_add_u32 v3, v3, 23, v7
	v_or3_b32 v2, v6, v3, v2
.LBB58_980:
	s_or_b64 exec, exec, s[6:7]
	s_movk_i32 s4, 0xff
	v_and_b32_sdwa v3, v4, s4 dst_sel:DWORD dst_unused:UNUSED_PAD src0_sel:WORD_1 src1_sel:DWORD
	s_movk_i32 s4, 0x7f
	v_cmp_lt_i16_e32 vcc, s4, v3
	s_mov_b64 s[4:5], 0
                                        ; implicit-def: $sgpr10
	s_and_saveexec_b64 s[6:7], vcc
	s_xor_b64 s[6:7], exec, s[6:7]
	s_cbranch_execnz .LBB58_3029
; %bb.981:
	s_or_saveexec_b64 s[6:7], s[6:7]
	v_mov_b32_e32 v6, s10
	s_xor_b64 exec, exec, s[6:7]
	s_cbranch_execnz .LBB58_3032
.LBB58_982:
	s_or_b64 exec, exec, s[6:7]
	s_and_saveexec_b64 s[6:7], s[4:5]
	s_cbranch_execz .LBB58_984
.LBB58_983:
	v_bfe_u32 v3, v4, 16, 3
	v_ffbh_u32_e32 v10, v3
	v_min_u32_e32 v10, 32, v10
	v_lshrrev_b32_e32 v6, 19, v4
	v_subrev_u32_e32 v11, 28, v10
	v_and_b32_e32 v6, 15, v6
	v_lshlrev_b32_sdwa v11, v11, v4 dst_sel:DWORD dst_unused:UNUSED_PAD src0_sel:DWORD src1_sel:WORD_1
	v_bfe_u32 v7, v4, 19, 4
	v_sub_u32_e32 v10, 29, v10
	v_and_b32_e32 v11, 7, v11
	v_cmp_eq_u16_e32 vcc, 0, v6
	v_cndmask_b32_e32 v3, v3, v11, vcc
	v_cndmask_b32_e32 v6, v7, v10, vcc
	v_lshlrev_b32_e32 v7, 8, v4
	v_mov_b32_e32 v10, 0x3b800000
	v_lshlrev_b32_e32 v3, 20, v3
	v_and_b32_e32 v7, 0x80000000, v7
	v_lshl_add_u32 v6, v6, 23, v10
	v_or3_b32 v6, v7, v6, v3
.LBB58_984:
	s_or_b64 exec, exec, s[6:7]
	s_nop 0
	v_mfma_f32_16x16x4f32 a[0:3], v2, v6, a[0:3]
	s_movk_i32 s4, 0x7f
	v_cmp_gt_i16_sdwa s[6:7], v8, s4 src0_sel:BYTE_3 src1_sel:DWORD
	s_mov_b64 s[4:5], 0
                                        ; implicit-def: $sgpr10
	s_and_saveexec_b64 s[8:9], s[6:7]
	s_xor_b64 s[6:7], exec, s[8:9]
	s_cbranch_execnz .LBB58_3033
; %bb.985:
	s_or_saveexec_b64 s[6:7], s[6:7]
	v_mov_b32_e32 v2, s10
	s_xor_b64 exec, exec, s[6:7]
	s_cbranch_execnz .LBB58_3036
.LBB58_986:
	s_or_b64 exec, exec, s[6:7]
	s_and_saveexec_b64 s[6:7], s[4:5]
	s_cbranch_execz .LBB58_988
.LBB58_987:
	v_bfe_u32 v2, v8, 24, 3
	v_ffbh_u32_e32 v10, v2
	v_min_u32_e32 v10, 32, v10
	v_lshrrev_b32_e32 v6, 27, v8
	v_subrev_u32_e32 v11, 28, v10
	v_and_b32_e32 v3, 0x80000000, v8
	v_and_b32_e32 v6, 15, v6
	v_bfe_u32 v7, v8, 27, 4
	v_lshlrev_b32_sdwa v8, v11, v8 dst_sel:DWORD dst_unused:UNUSED_PAD src0_sel:DWORD src1_sel:BYTE_3
	v_sub_u32_e32 v10, 29, v10
	v_and_b32_e32 v8, 7, v8
	v_cmp_eq_u16_e32 vcc, 0, v6
	v_cndmask_b32_e32 v2, v2, v8, vcc
	v_cndmask_b32_e32 v6, v7, v10, vcc
	v_mov_b32_e32 v7, 0x3b800000
	v_lshlrev_b32_e32 v2, 20, v2
	v_lshl_add_u32 v6, v6, 23, v7
	v_or3_b32 v2, v3, v6, v2
.LBB58_988:
	s_or_b64 exec, exec, s[6:7]
	s_movk_i32 s4, 0x7f
	v_cmp_gt_i16_sdwa s[6:7], v4, s4 src0_sel:BYTE_3 src1_sel:DWORD
	s_mov_b64 s[4:5], 0
                                        ; implicit-def: $sgpr10
	s_and_saveexec_b64 s[8:9], s[6:7]
	s_xor_b64 s[6:7], exec, s[8:9]
	s_cbranch_execnz .LBB58_3037
; %bb.989:
	s_or_saveexec_b64 s[6:7], s[6:7]
	v_mov_b32_e32 v3, s10
	s_xor_b64 exec, exec, s[6:7]
	s_cbranch_execnz .LBB58_3040
.LBB58_990:
	s_or_b64 exec, exec, s[6:7]
	s_and_saveexec_b64 s[6:7], s[4:5]
	s_cbranch_execz .LBB58_992
.LBB58_991:
	v_bfe_u32 v3, v4, 24, 3
	v_ffbh_u32_e32 v10, v3
	v_min_u32_e32 v10, 32, v10
	v_lshrrev_b32_e32 v7, 27, v4
	v_subrev_u32_e32 v11, 28, v10
	v_and_b32_e32 v6, 0x80000000, v4
	v_and_b32_e32 v7, 15, v7
	v_bfe_u32 v8, v4, 27, 4
	v_lshlrev_b32_sdwa v4, v11, v4 dst_sel:DWORD dst_unused:UNUSED_PAD src0_sel:DWORD src1_sel:BYTE_3
	v_sub_u32_e32 v10, 29, v10
	v_and_b32_e32 v4, 7, v4
	v_cmp_eq_u16_e32 vcc, 0, v7
	v_cndmask_b32_e32 v3, v3, v4, vcc
	v_cndmask_b32_e32 v4, v8, v10, vcc
	v_mov_b32_e32 v7, 0x3b800000
	v_lshlrev_b32_e32 v3, 20, v3
	v_lshl_add_u32 v4, v4, 23, v7
	v_or3_b32 v3, v6, v4, v3
.LBB58_992:
	s_or_b64 exec, exec, s[6:7]
	s_nop 0
	v_mfma_f32_16x16x4f32 a[0:3], v2, v3, a[0:3]
	s_movk_i32 s4, 0x7f
	v_cmp_gt_i16_sdwa s[6:7], v9, s4 src0_sel:BYTE_0 src1_sel:DWORD
	s_mov_b64 s[4:5], 0
                                        ; implicit-def: $sgpr10
	s_and_saveexec_b64 s[8:9], s[6:7]
	s_xor_b64 s[6:7], exec, s[8:9]
	s_cbranch_execnz .LBB58_3041
; %bb.993:
	s_or_saveexec_b64 s[6:7], s[6:7]
	v_mov_b32_e32 v2, s10
	s_xor_b64 exec, exec, s[6:7]
	s_cbranch_execnz .LBB58_3044
.LBB58_994:
	s_or_b64 exec, exec, s[6:7]
	s_and_saveexec_b64 s[6:7], s[4:5]
	s_cbranch_execz .LBB58_996
.LBB58_995:
	v_mov_b32_e32 v2, 8
	v_and_b32_e32 v3, 7, v9
	v_lshrrev_b32_sdwa v2, v2, v9 dst_sel:BYTE_1 dst_unused:UNUSED_PAD src0_sel:DWORD src1_sel:DWORD
	v_ffbh_u32_e32 v4, v3
	v_or_b32_sdwa v2, v9, v2 dst_sel:DWORD dst_unused:UNUSED_PAD src0_sel:BYTE_0 src1_sel:DWORD
	v_min_u32_e32 v4, 32, v4
	v_lshrrev_b16_e32 v2, 3, v2
	v_subrev_u32_e32 v6, 28, v4
	v_and_b32_e32 v2, 15, v2
	v_lshlrev_b32_e32 v6, v6, v9
	v_sub_u32_e32 v4, 29, v4
	v_and_b32_e32 v6, 7, v6
	v_cmp_eq_u16_e32 vcc, 0, v2
	v_cndmask_b32_e32 v3, v3, v6, vcc
	v_cndmask_b32_e32 v2, v2, v4, vcc
	v_lshlrev_b32_e32 v4, 24, v9
	v_mov_b32_e32 v6, 0x3b800000
	v_lshlrev_b32_e32 v3, 20, v3
	v_and_b32_e32 v4, 0x80000000, v4
	v_lshl_add_u32 v2, v2, 23, v6
	v_or3_b32 v2, v4, v2, v3
.LBB58_996:
	s_or_b64 exec, exec, s[6:7]
	s_movk_i32 s4, 0x7f
	v_cmp_gt_i16_sdwa s[6:7], v5, s4 src0_sel:BYTE_0 src1_sel:DWORD
	s_mov_b64 s[4:5], 0
                                        ; implicit-def: $sgpr10
	s_and_saveexec_b64 s[8:9], s[6:7]
	s_xor_b64 s[6:7], exec, s[8:9]
	s_cbranch_execnz .LBB58_3045
; %bb.997:
	s_or_saveexec_b64 s[6:7], s[6:7]
	v_mov_b32_e32 v3, s10
	s_xor_b64 exec, exec, s[6:7]
	s_cbranch_execnz .LBB58_3048
.LBB58_998:
	s_or_b64 exec, exec, s[6:7]
	s_and_saveexec_b64 s[6:7], s[4:5]
	s_cbranch_execz .LBB58_1000
.LBB58_999:
	v_mov_b32_e32 v3, 8
	v_and_b32_e32 v4, 7, v5
	v_lshrrev_b32_sdwa v3, v3, v5 dst_sel:BYTE_1 dst_unused:UNUSED_PAD src0_sel:DWORD src1_sel:DWORD
	v_ffbh_u32_e32 v6, v4
	v_or_b32_sdwa v3, v5, v3 dst_sel:DWORD dst_unused:UNUSED_PAD src0_sel:BYTE_0 src1_sel:DWORD
	v_min_u32_e32 v6, 32, v6
	v_lshrrev_b16_e32 v3, 3, v3
	v_subrev_u32_e32 v7, 28, v6
	v_and_b32_e32 v3, 15, v3
	v_lshlrev_b32_e32 v7, v7, v5
	v_sub_u32_e32 v6, 29, v6
	v_and_b32_e32 v7, 7, v7
	v_cmp_eq_u16_e32 vcc, 0, v3
	v_cndmask_b32_e32 v4, v4, v7, vcc
	v_cndmask_b32_e32 v3, v3, v6, vcc
	v_lshlrev_b32_e32 v6, 24, v5
	v_mov_b32_e32 v7, 0x3b800000
	v_lshlrev_b32_e32 v4, 20, v4
	v_and_b32_e32 v6, 0x80000000, v6
	v_lshl_add_u32 v3, v3, 23, v7
	v_or3_b32 v3, v6, v3, v4
.LBB58_1000:
	s_or_b64 exec, exec, s[6:7]
	s_nop 0
	v_mfma_f32_16x16x4f32 a[0:3], v2, v3, a[0:3]
	v_lshrrev_b32_e32 v3, 8, v9
	s_movk_i32 s4, 0x7f
	v_cmp_gt_i16_sdwa s[6:7], v3, s4 src0_sel:BYTE_0 src1_sel:DWORD
	s_mov_b64 s[4:5], 0
                                        ; implicit-def: $sgpr10
	s_and_saveexec_b64 s[8:9], s[6:7]
	s_xor_b64 s[6:7], exec, s[8:9]
	s_cbranch_execnz .LBB58_3049
; %bb.1001:
	s_or_saveexec_b64 s[6:7], s[6:7]
	v_mov_b32_e32 v2, s10
	s_xor_b64 exec, exec, s[6:7]
	s_cbranch_execnz .LBB58_3052
.LBB58_1002:
	s_or_b64 exec, exec, s[6:7]
	s_and_saveexec_b64 s[6:7], s[4:5]
	s_cbranch_execz .LBB58_1004
.LBB58_1003:
	v_bfe_u32 v2, v9, 8, 3
	v_ffbh_u32_e32 v6, v2
	v_min_u32_e32 v6, 32, v6
	v_lshrrev_b16_e32 v4, 3, v3
	v_subrev_u32_e32 v7, 28, v6
	v_and_b32_e32 v4, 15, v4
	v_lshlrev_b32_e32 v3, v7, v3
	v_sub_u32_e32 v6, 29, v6
	v_and_b32_e32 v3, 7, v3
	v_cmp_eq_u16_e32 vcc, 0, v4
	v_cndmask_b32_e32 v2, v2, v3, vcc
	v_cndmask_b32_e32 v3, v4, v6, vcc
	v_lshlrev_b32_e32 v4, 16, v9
	v_mov_b32_e32 v6, 0x3b800000
	v_lshlrev_b32_e32 v2, 20, v2
	v_and_b32_e32 v4, 0x80000000, v4
	v_lshl_add_u32 v3, v3, 23, v6
	v_or3_b32 v2, v4, v3, v2
.LBB58_1004:
	s_or_b64 exec, exec, s[6:7]
	v_lshrrev_b32_e32 v3, 8, v5
	s_movk_i32 s4, 0x7f
	v_cmp_gt_i16_sdwa s[6:7], v3, s4 src0_sel:BYTE_0 src1_sel:DWORD
	s_mov_b64 s[4:5], 0
                                        ; implicit-def: $sgpr10
	s_and_saveexec_b64 s[8:9], s[6:7]
	s_xor_b64 s[6:7], exec, s[8:9]
	s_cbranch_execnz .LBB58_3053
; %bb.1005:
	s_or_saveexec_b64 s[6:7], s[6:7]
	v_mov_b32_e32 v4, s10
	s_xor_b64 exec, exec, s[6:7]
	s_cbranch_execnz .LBB58_3056
.LBB58_1006:
	s_or_b64 exec, exec, s[6:7]
	s_and_saveexec_b64 s[6:7], s[4:5]
	s_cbranch_execz .LBB58_1008
.LBB58_1007:
	v_bfe_u32 v4, v5, 8, 3
	v_ffbh_u32_e32 v7, v4
	v_min_u32_e32 v7, 32, v7
	v_lshrrev_b16_e32 v6, 3, v3
	v_subrev_u32_e32 v8, 28, v7
	v_and_b32_e32 v6, 15, v6
	v_lshlrev_b32_e32 v3, v8, v3
	v_sub_u32_e32 v7, 29, v7
	v_and_b32_e32 v3, 7, v3
	v_cmp_eq_u16_e32 vcc, 0, v6
	v_cndmask_b32_e32 v3, v4, v3, vcc
	v_cndmask_b32_e32 v4, v6, v7, vcc
	v_lshlrev_b32_e32 v6, 16, v5
	v_mov_b32_e32 v7, 0x3b800000
	v_lshlrev_b32_e32 v3, 20, v3
	v_and_b32_e32 v6, 0x80000000, v6
	v_lshl_add_u32 v4, v4, 23, v7
	v_or3_b32 v4, v6, v4, v3
.LBB58_1008:
	s_or_b64 exec, exec, s[6:7]
	s_nop 0
	v_mfma_f32_16x16x4f32 a[0:3], v2, v4, a[0:3]
	s_movk_i32 s4, 0xff
	v_and_b32_sdwa v3, v9, s4 dst_sel:DWORD dst_unused:UNUSED_PAD src0_sel:WORD_1 src1_sel:DWORD
	s_movk_i32 s4, 0x7f
	v_cmp_lt_i16_e32 vcc, s4, v3
	s_mov_b64 s[4:5], 0
                                        ; implicit-def: $sgpr10
	s_and_saveexec_b64 s[6:7], vcc
	s_xor_b64 s[6:7], exec, s[6:7]
	s_cbranch_execnz .LBB58_3057
; %bb.1009:
	s_or_saveexec_b64 s[6:7], s[6:7]
	v_mov_b32_e32 v2, s10
	s_xor_b64 exec, exec, s[6:7]
	s_cbranch_execnz .LBB58_3060
.LBB58_1010:
	s_or_b64 exec, exec, s[6:7]
	s_and_saveexec_b64 s[6:7], s[4:5]
	s_cbranch_execz .LBB58_1012
.LBB58_1011:
	v_bfe_u32 v2, v9, 16, 3
	v_ffbh_u32_e32 v6, v2
	v_min_u32_e32 v6, 32, v6
	v_lshrrev_b32_e32 v3, 19, v9
	v_subrev_u32_e32 v7, 28, v6
	v_and_b32_e32 v3, 15, v3
	v_lshlrev_b32_sdwa v7, v7, v9 dst_sel:DWORD dst_unused:UNUSED_PAD src0_sel:DWORD src1_sel:WORD_1
	v_bfe_u32 v4, v9, 19, 4
	v_sub_u32_e32 v6, 29, v6
	v_and_b32_e32 v7, 7, v7
	v_cmp_eq_u16_e32 vcc, 0, v3
	v_cndmask_b32_e32 v2, v2, v7, vcc
	v_cndmask_b32_e32 v3, v4, v6, vcc
	v_lshlrev_b32_e32 v4, 8, v9
	v_mov_b32_e32 v6, 0x3b800000
	v_lshlrev_b32_e32 v2, 20, v2
	v_and_b32_e32 v4, 0x80000000, v4
	v_lshl_add_u32 v3, v3, 23, v6
	v_or3_b32 v2, v4, v3, v2
.LBB58_1012:
	s_or_b64 exec, exec, s[6:7]
	s_movk_i32 s4, 0xff
	v_and_b32_sdwa v3, v5, s4 dst_sel:DWORD dst_unused:UNUSED_PAD src0_sel:WORD_1 src1_sel:DWORD
	s_movk_i32 s4, 0x7f
	v_cmp_lt_i16_e32 vcc, s4, v3
	s_mov_b64 s[4:5], 0
                                        ; implicit-def: $sgpr10
	s_and_saveexec_b64 s[6:7], vcc
	s_xor_b64 s[6:7], exec, s[6:7]
	s_cbranch_execnz .LBB58_3061
; %bb.1013:
	s_or_saveexec_b64 s[6:7], s[6:7]
	v_mov_b32_e32 v4, s10
	s_xor_b64 exec, exec, s[6:7]
	s_cbranch_execnz .LBB58_3064
.LBB58_1014:
	s_or_b64 exec, exec, s[6:7]
	s_and_saveexec_b64 s[6:7], s[4:5]
	s_cbranch_execz .LBB58_1016
.LBB58_1015:
	v_bfe_u32 v3, v5, 16, 3
	v_ffbh_u32_e32 v7, v3
	v_min_u32_e32 v7, 32, v7
	v_lshrrev_b32_e32 v4, 19, v5
	v_subrev_u32_e32 v8, 28, v7
	v_and_b32_e32 v4, 15, v4
	v_lshlrev_b32_sdwa v8, v8, v5 dst_sel:DWORD dst_unused:UNUSED_PAD src0_sel:DWORD src1_sel:WORD_1
	v_bfe_u32 v6, v5, 19, 4
	v_sub_u32_e32 v7, 29, v7
	v_and_b32_e32 v8, 7, v8
	v_cmp_eq_u16_e32 vcc, 0, v4
	v_cndmask_b32_e32 v3, v3, v8, vcc
	v_cndmask_b32_e32 v4, v6, v7, vcc
	v_lshlrev_b32_e32 v6, 8, v5
	v_mov_b32_e32 v7, 0x3b800000
	v_lshlrev_b32_e32 v3, 20, v3
	v_and_b32_e32 v6, 0x80000000, v6
	v_lshl_add_u32 v4, v4, 23, v7
	v_or3_b32 v4, v6, v4, v3
.LBB58_1016:
	s_or_b64 exec, exec, s[6:7]
	s_nop 0
	v_mfma_f32_16x16x4f32 a[0:3], v2, v4, a[0:3]
	s_movk_i32 s4, 0x7f
	v_cmp_gt_i16_sdwa s[6:7], v9, s4 src0_sel:BYTE_3 src1_sel:DWORD
	s_mov_b64 s[4:5], 0
                                        ; implicit-def: $sgpr10
	s_and_saveexec_b64 s[8:9], s[6:7]
	s_xor_b64 s[6:7], exec, s[8:9]
	s_cbranch_execnz .LBB58_3065
; %bb.1017:
	s_or_saveexec_b64 s[6:7], s[6:7]
	v_mov_b32_e32 v2, s10
	s_xor_b64 exec, exec, s[6:7]
	s_cbranch_execnz .LBB58_3068
.LBB58_1018:
	s_or_b64 exec, exec, s[6:7]
	s_and_saveexec_b64 s[6:7], s[4:5]
	s_cbranch_execz .LBB58_1020
.LBB58_1019:
	v_bfe_u32 v2, v9, 24, 3
	v_ffbh_u32_e32 v7, v2
	v_min_u32_e32 v7, 32, v7
	v_lshrrev_b32_e32 v4, 27, v9
	v_subrev_u32_e32 v8, 28, v7
	v_and_b32_e32 v4, 15, v4
	v_lshlrev_b32_sdwa v8, v8, v9 dst_sel:DWORD dst_unused:UNUSED_PAD src0_sel:DWORD src1_sel:BYTE_3
	v_bfe_u32 v6, v9, 27, 4
	v_sub_u32_e32 v7, 29, v7
	v_and_b32_e32 v8, 7, v8
	v_cmp_eq_u16_e32 vcc, 0, v4
	v_cndmask_b32_e32 v2, v2, v8, vcc
	v_cndmask_b32_e32 v4, v6, v7, vcc
	v_mov_b32_e32 v6, 0x3b800000
	v_and_b32_e32 v3, 0x80000000, v9
	v_lshlrev_b32_e32 v2, 20, v2
	v_lshl_add_u32 v4, v4, 23, v6
	v_or3_b32 v2, v3, v4, v2
.LBB58_1020:
	s_or_b64 exec, exec, s[6:7]
	s_movk_i32 s4, 0x7f
	v_cmp_gt_i16_sdwa s[6:7], v5, s4 src0_sel:BYTE_3 src1_sel:DWORD
	s_mov_b64 s[4:5], 0
                                        ; implicit-def: $sgpr10
	s_and_saveexec_b64 s[8:9], s[6:7]
	s_xor_b64 s[6:7], exec, s[8:9]
	s_cbranch_execnz .LBB58_3069
; %bb.1021:
	s_or_saveexec_b64 s[6:7], s[6:7]
	v_mov_b32_e32 v3, s10
	s_xor_b64 exec, exec, s[6:7]
	s_cbranch_execnz .LBB58_3072
.LBB58_1022:
	s_or_b64 exec, exec, s[6:7]
	s_and_saveexec_b64 s[6:7], s[4:5]
	s_cbranch_execz .LBB58_1024
.LBB58_1023:
	v_bfe_u32 v3, v5, 24, 3
	v_ffbh_u32_e32 v8, v3
	v_min_u32_e32 v8, 32, v8
	v_lshrrev_b32_e32 v6, 27, v5
	v_subrev_u32_e32 v9, 28, v8
	v_and_b32_e32 v4, 0x80000000, v5
	v_and_b32_e32 v6, 15, v6
	v_bfe_u32 v7, v5, 27, 4
	v_lshlrev_b32_sdwa v5, v9, v5 dst_sel:DWORD dst_unused:UNUSED_PAD src0_sel:DWORD src1_sel:BYTE_3
	v_sub_u32_e32 v8, 29, v8
	v_and_b32_e32 v5, 7, v5
	v_cmp_eq_u16_e32 vcc, 0, v6
	v_cndmask_b32_e32 v3, v3, v5, vcc
	v_cndmask_b32_e32 v5, v7, v8, vcc
	v_mov_b32_e32 v6, 0x3b800000
	v_lshlrev_b32_e32 v3, 20, v3
	v_lshl_add_u32 v5, v5, 23, v6
	v_or3_b32 v3, v4, v5, v3
.LBB58_1024:
	s_or_b64 exec, exec, s[6:7]
	s_nop 0
	v_mfma_f32_16x16x4f32 a[0:3], v2, v3, a[0:3]
	s_movk_i32 s4, 0x7f
                                        ; implicit-def: $sgpr10
	s_nop 7
	s_nop 1
	flat_store_dwordx4 v[18:19], a[0:3] offset:816
	flat_load_dwordx4 v[20:23], v[0:1] offset:8
	s_nop 0
	flat_load_dwordx2 v[18:19], v[0:1] offset:24
	s_waitcnt vmcnt(0) lgkmcnt(0)
	flat_load_dwordx4 v[14:17], v[20:21]
	flat_load_dwordx4 v[6:9], v[20:21] offset:16
	flat_load_dwordx4 v[10:13], v[22:23] offset:384
	flat_load_dwordx4 v[2:5], v[22:23] offset:400
	s_waitcnt vmcnt(0) lgkmcnt(0)
	v_cmp_gt_i16_sdwa s[6:7], v14, s4 src0_sel:BYTE_0 src1_sel:DWORD
	s_mov_b64 s[4:5], 0
	s_and_saveexec_b64 s[8:9], s[6:7]
	s_xor_b64 s[6:7], exec, s[8:9]
	s_cbranch_execnz .LBB58_3073
; %bb.1025:
	s_or_saveexec_b64 s[6:7], s[6:7]
	v_mov_b32_e32 v20, s10
	s_xor_b64 exec, exec, s[6:7]
	s_cbranch_execnz .LBB58_3076
.LBB58_1026:
	s_or_b64 exec, exec, s[6:7]
	s_and_saveexec_b64 s[6:7], s[4:5]
	s_cbranch_execz .LBB58_1028
.LBB58_1027:
	v_and_b32_e32 v20, 7, v14
	v_ffbh_u32_e32 v22, v20
	v_min_u32_e32 v22, 32, v22
	v_lshrrev_b16_e32 v21, 3, v14
	v_subrev_u32_e32 v23, 28, v22
	v_and_b32_e32 v21, 15, v21
	v_lshlrev_b32_e32 v23, v23, v14
	v_sub_u32_e32 v22, 29, v22
	v_and_b32_e32 v23, 7, v23
	v_cmp_eq_u16_e32 vcc, 0, v21
	v_cndmask_b32_e32 v20, v20, v23, vcc
	v_cndmask_b32_e32 v21, v21, v22, vcc
	v_lshlrev_b32_e32 v22, 24, v14
	v_mov_b32_e32 v23, 0x3b800000
	v_lshlrev_b32_e32 v20, 20, v20
	v_and_b32_e32 v22, 0x80000000, v22
	v_lshl_add_u32 v21, v21, 23, v23
	v_or3_b32 v20, v22, v21, v20
.LBB58_1028:
	s_or_b64 exec, exec, s[6:7]
	s_movk_i32 s4, 0x7f
	v_cmp_gt_i16_sdwa s[6:7], v10, s4 src0_sel:BYTE_0 src1_sel:DWORD
	s_mov_b64 s[4:5], 0
                                        ; implicit-def: $sgpr10
	s_and_saveexec_b64 s[8:9], s[6:7]
	s_xor_b64 s[6:7], exec, s[8:9]
	s_cbranch_execnz .LBB58_3077
; %bb.1029:
	s_or_saveexec_b64 s[6:7], s[6:7]
	v_mov_b32_e32 v21, s10
	s_xor_b64 exec, exec, s[6:7]
	s_cbranch_execnz .LBB58_3080
.LBB58_1030:
	s_or_b64 exec, exec, s[6:7]
	s_and_saveexec_b64 s[6:7], s[4:5]
	s_cbranch_execz .LBB58_1032
.LBB58_1031:
	v_and_b32_e32 v21, 7, v10
	v_ffbh_u32_e32 v23, v21
	v_min_u32_e32 v23, 32, v23
	v_lshrrev_b16_e32 v22, 3, v10
	v_subrev_u32_e32 v24, 28, v23
	v_and_b32_e32 v22, 15, v22
	v_lshlrev_b32_e32 v24, v24, v10
	v_sub_u32_e32 v23, 29, v23
	v_and_b32_e32 v24, 7, v24
	v_cmp_eq_u16_e32 vcc, 0, v22
	v_cndmask_b32_e32 v21, v21, v24, vcc
	v_cndmask_b32_e32 v22, v22, v23, vcc
	v_lshlrev_b32_e32 v23, 24, v10
	v_mov_b32_e32 v24, 0x3b800000
	v_lshlrev_b32_e32 v21, 20, v21
	v_and_b32_e32 v23, 0x80000000, v23
	v_lshl_add_u32 v22, v22, 23, v24
	v_or3_b32 v21, v23, v22, v21
.LBB58_1032:
	s_or_b64 exec, exec, s[6:7]
	flat_load_dwordx4 a[0:3], v[18:19] offset:832
	s_movk_i32 s4, 0x7f
                                        ; implicit-def: $sgpr10
	s_waitcnt vmcnt(0) lgkmcnt(0)
	v_mfma_f32_16x16x4f32 a[0:3], v20, v21, a[0:3]
	v_lshrrev_b32_e32 v21, 8, v14
	v_cmp_gt_i16_sdwa s[6:7], v21, s4 src0_sel:BYTE_0 src1_sel:DWORD
	s_mov_b64 s[4:5], 0
	s_and_saveexec_b64 s[8:9], s[6:7]
	s_xor_b64 s[6:7], exec, s[8:9]
	s_cbranch_execnz .LBB58_3081
; %bb.1033:
	s_or_saveexec_b64 s[6:7], s[6:7]
	v_mov_b32_e32 v20, s10
	s_xor_b64 exec, exec, s[6:7]
	s_cbranch_execnz .LBB58_3084
.LBB58_1034:
	s_or_b64 exec, exec, s[6:7]
	s_and_saveexec_b64 s[6:7], s[4:5]
	s_cbranch_execz .LBB58_1036
.LBB58_1035:
	v_bfe_u32 v20, v14, 8, 3
	v_ffbh_u32_e32 v23, v20
	v_min_u32_e32 v23, 32, v23
	v_lshrrev_b16_e32 v22, 3, v21
	v_subrev_u32_e32 v24, 28, v23
	v_and_b32_e32 v22, 15, v22
	v_lshlrev_b32_e32 v21, v24, v21
	v_sub_u32_e32 v23, 29, v23
	v_and_b32_e32 v21, 7, v21
	v_cmp_eq_u16_e32 vcc, 0, v22
	v_cndmask_b32_e32 v20, v20, v21, vcc
	v_cndmask_b32_e32 v21, v22, v23, vcc
	v_lshlrev_b32_e32 v22, 16, v14
	v_mov_b32_e32 v23, 0x3b800000
	v_lshlrev_b32_e32 v20, 20, v20
	v_and_b32_e32 v22, 0x80000000, v22
	v_lshl_add_u32 v21, v21, 23, v23
	v_or3_b32 v20, v22, v21, v20
.LBB58_1036:
	s_or_b64 exec, exec, s[6:7]
	v_lshrrev_b32_e32 v21, 8, v10
	s_movk_i32 s4, 0x7f
	v_cmp_gt_i16_sdwa s[6:7], v21, s4 src0_sel:BYTE_0 src1_sel:DWORD
	s_mov_b64 s[4:5], 0
                                        ; implicit-def: $sgpr10
	s_and_saveexec_b64 s[8:9], s[6:7]
	s_xor_b64 s[6:7], exec, s[8:9]
	s_cbranch_execnz .LBB58_3085
; %bb.1037:
	s_or_saveexec_b64 s[6:7], s[6:7]
	v_mov_b32_e32 v22, s10
	s_xor_b64 exec, exec, s[6:7]
	s_cbranch_execnz .LBB58_3088
.LBB58_1038:
	s_or_b64 exec, exec, s[6:7]
	s_and_saveexec_b64 s[6:7], s[4:5]
	s_cbranch_execz .LBB58_1040
.LBB58_1039:
	v_bfe_u32 v22, v10, 8, 3
	v_ffbh_u32_e32 v24, v22
	v_min_u32_e32 v24, 32, v24
	v_lshrrev_b16_e32 v23, 3, v21
	v_subrev_u32_e32 v25, 28, v24
	v_and_b32_e32 v23, 15, v23
	v_lshlrev_b32_e32 v21, v25, v21
	v_sub_u32_e32 v24, 29, v24
	v_and_b32_e32 v21, 7, v21
	v_cmp_eq_u16_e32 vcc, 0, v23
	v_cndmask_b32_e32 v21, v22, v21, vcc
	v_cndmask_b32_e32 v22, v23, v24, vcc
	v_lshlrev_b32_e32 v23, 16, v10
	v_mov_b32_e32 v24, 0x3b800000
	v_lshlrev_b32_e32 v21, 20, v21
	v_and_b32_e32 v23, 0x80000000, v23
	v_lshl_add_u32 v22, v22, 23, v24
	v_or3_b32 v22, v23, v22, v21
.LBB58_1040:
	s_or_b64 exec, exec, s[6:7]
	s_nop 0
	v_mfma_f32_16x16x4f32 a[0:3], v20, v22, a[0:3]
	s_movk_i32 s4, 0xff
	v_and_b32_sdwa v21, v14, s4 dst_sel:DWORD dst_unused:UNUSED_PAD src0_sel:WORD_1 src1_sel:DWORD
	s_movk_i32 s4, 0x7f
	v_cmp_lt_i16_e32 vcc, s4, v21
	s_mov_b64 s[4:5], 0
                                        ; implicit-def: $sgpr10
	s_and_saveexec_b64 s[6:7], vcc
	s_xor_b64 s[6:7], exec, s[6:7]
	s_cbranch_execnz .LBB58_3089
; %bb.1041:
	s_or_saveexec_b64 s[6:7], s[6:7]
	v_mov_b32_e32 v20, s10
	s_xor_b64 exec, exec, s[6:7]
	s_cbranch_execnz .LBB58_3092
.LBB58_1042:
	s_or_b64 exec, exec, s[6:7]
	s_and_saveexec_b64 s[6:7], s[4:5]
	s_cbranch_execz .LBB58_1044
.LBB58_1043:
	v_bfe_u32 v20, v14, 16, 3
	v_ffbh_u32_e32 v23, v20
	v_min_u32_e32 v23, 32, v23
	v_lshrrev_b32_e32 v21, 19, v14
	v_subrev_u32_e32 v24, 28, v23
	v_and_b32_e32 v21, 15, v21
	v_lshlrev_b32_sdwa v24, v24, v14 dst_sel:DWORD dst_unused:UNUSED_PAD src0_sel:DWORD src1_sel:WORD_1
	v_bfe_u32 v22, v14, 19, 4
	v_sub_u32_e32 v23, 29, v23
	v_and_b32_e32 v24, 7, v24
	v_cmp_eq_u16_e32 vcc, 0, v21
	v_cndmask_b32_e32 v20, v20, v24, vcc
	v_cndmask_b32_e32 v21, v22, v23, vcc
	v_lshlrev_b32_e32 v22, 8, v14
	v_mov_b32_e32 v23, 0x3b800000
	v_lshlrev_b32_e32 v20, 20, v20
	v_and_b32_e32 v22, 0x80000000, v22
	v_lshl_add_u32 v21, v21, 23, v23
	v_or3_b32 v20, v22, v21, v20
.LBB58_1044:
	s_or_b64 exec, exec, s[6:7]
	s_movk_i32 s4, 0xff
	v_and_b32_sdwa v21, v10, s4 dst_sel:DWORD dst_unused:UNUSED_PAD src0_sel:WORD_1 src1_sel:DWORD
	s_movk_i32 s4, 0x7f
	v_cmp_lt_i16_e32 vcc, s4, v21
	s_mov_b64 s[4:5], 0
                                        ; implicit-def: $sgpr10
	s_and_saveexec_b64 s[6:7], vcc
	s_xor_b64 s[6:7], exec, s[6:7]
	s_cbranch_execnz .LBB58_3093
; %bb.1045:
	s_or_saveexec_b64 s[6:7], s[6:7]
	v_mov_b32_e32 v22, s10
	s_xor_b64 exec, exec, s[6:7]
	s_cbranch_execnz .LBB58_3096
.LBB58_1046:
	s_or_b64 exec, exec, s[6:7]
	s_and_saveexec_b64 s[6:7], s[4:5]
	s_cbranch_execz .LBB58_1048
.LBB58_1047:
	v_bfe_u32 v21, v10, 16, 3
	v_ffbh_u32_e32 v24, v21
	v_min_u32_e32 v24, 32, v24
	v_lshrrev_b32_e32 v22, 19, v10
	v_subrev_u32_e32 v25, 28, v24
	v_and_b32_e32 v22, 15, v22
	v_lshlrev_b32_sdwa v25, v25, v10 dst_sel:DWORD dst_unused:UNUSED_PAD src0_sel:DWORD src1_sel:WORD_1
	v_bfe_u32 v23, v10, 19, 4
	v_sub_u32_e32 v24, 29, v24
	v_and_b32_e32 v25, 7, v25
	v_cmp_eq_u16_e32 vcc, 0, v22
	v_cndmask_b32_e32 v21, v21, v25, vcc
	v_cndmask_b32_e32 v22, v23, v24, vcc
	v_lshlrev_b32_e32 v23, 8, v10
	v_mov_b32_e32 v24, 0x3b800000
	v_lshlrev_b32_e32 v21, 20, v21
	v_and_b32_e32 v23, 0x80000000, v23
	v_lshl_add_u32 v22, v22, 23, v24
	v_or3_b32 v22, v23, v22, v21
.LBB58_1048:
	s_or_b64 exec, exec, s[6:7]
	s_nop 0
	v_mfma_f32_16x16x4f32 a[0:3], v20, v22, a[0:3]
	s_movk_i32 s4, 0x7f
	v_cmp_gt_i16_sdwa s[6:7], v14, s4 src0_sel:BYTE_3 src1_sel:DWORD
	s_mov_b64 s[4:5], 0
                                        ; implicit-def: $sgpr10
	s_and_saveexec_b64 s[8:9], s[6:7]
	s_xor_b64 s[6:7], exec, s[8:9]
	s_cbranch_execnz .LBB58_3097
; %bb.1049:
	s_or_saveexec_b64 s[6:7], s[6:7]
	v_mov_b32_e32 v20, s10
	s_xor_b64 exec, exec, s[6:7]
	s_cbranch_execnz .LBB58_3100
.LBB58_1050:
	s_or_b64 exec, exec, s[6:7]
	s_and_saveexec_b64 s[6:7], s[4:5]
	s_cbranch_execz .LBB58_1052
.LBB58_1051:
	v_bfe_u32 v20, v14, 24, 3
	v_ffbh_u32_e32 v24, v20
	v_min_u32_e32 v24, 32, v24
	v_lshrrev_b32_e32 v22, 27, v14
	v_subrev_u32_e32 v25, 28, v24
	v_and_b32_e32 v21, 0x80000000, v14
	v_and_b32_e32 v22, 15, v22
	v_bfe_u32 v23, v14, 27, 4
	v_lshlrev_b32_sdwa v14, v25, v14 dst_sel:DWORD dst_unused:UNUSED_PAD src0_sel:DWORD src1_sel:BYTE_3
	v_sub_u32_e32 v24, 29, v24
	v_and_b32_e32 v14, 7, v14
	v_cmp_eq_u16_e32 vcc, 0, v22
	v_cndmask_b32_e32 v14, v20, v14, vcc
	v_cndmask_b32_e32 v20, v23, v24, vcc
	v_mov_b32_e32 v22, 0x3b800000
	v_lshlrev_b32_e32 v14, 20, v14
	v_lshl_add_u32 v20, v20, 23, v22
	v_or3_b32 v20, v21, v20, v14
.LBB58_1052:
	s_or_b64 exec, exec, s[6:7]
	s_movk_i32 s4, 0x7f
	v_cmp_gt_i16_sdwa s[6:7], v10, s4 src0_sel:BYTE_3 src1_sel:DWORD
	s_mov_b64 s[4:5], 0
                                        ; implicit-def: $sgpr10
	s_and_saveexec_b64 s[8:9], s[6:7]
	s_xor_b64 s[6:7], exec, s[8:9]
	s_cbranch_execnz .LBB58_3101
; %bb.1053:
	s_or_saveexec_b64 s[6:7], s[6:7]
	v_mov_b32_e32 v14, s10
	s_xor_b64 exec, exec, s[6:7]
	s_cbranch_execnz .LBB58_3104
.LBB58_1054:
	s_or_b64 exec, exec, s[6:7]
	s_and_saveexec_b64 s[6:7], s[4:5]
	s_cbranch_execz .LBB58_1056
.LBB58_1055:
	v_bfe_u32 v14, v10, 24, 3
	v_ffbh_u32_e32 v24, v14
	v_min_u32_e32 v24, 32, v24
	v_lshrrev_b32_e32 v22, 27, v10
	v_subrev_u32_e32 v25, 28, v24
	v_and_b32_e32 v21, 0x80000000, v10
	v_and_b32_e32 v22, 15, v22
	v_bfe_u32 v23, v10, 27, 4
	v_lshlrev_b32_sdwa v10, v25, v10 dst_sel:DWORD dst_unused:UNUSED_PAD src0_sel:DWORD src1_sel:BYTE_3
	v_sub_u32_e32 v24, 29, v24
	v_and_b32_e32 v10, 7, v10
	v_cmp_eq_u16_e32 vcc, 0, v22
	v_cndmask_b32_e32 v10, v14, v10, vcc
	v_cndmask_b32_e32 v14, v23, v24, vcc
	v_mov_b32_e32 v22, 0x3b800000
	v_lshlrev_b32_e32 v10, 20, v10
	v_lshl_add_u32 v14, v14, 23, v22
	v_or3_b32 v14, v21, v14, v10
.LBB58_1056:
	s_or_b64 exec, exec, s[6:7]
	s_nop 0
	v_mfma_f32_16x16x4f32 a[0:3], v20, v14, a[0:3]
	s_movk_i32 s4, 0x7f
	v_cmp_gt_i16_sdwa s[6:7], v15, s4 src0_sel:BYTE_0 src1_sel:DWORD
	s_mov_b64 s[4:5], 0
                                        ; implicit-def: $sgpr10
	s_and_saveexec_b64 s[8:9], s[6:7]
	s_xor_b64 s[6:7], exec, s[8:9]
	s_cbranch_execnz .LBB58_3105
; %bb.1057:
	s_or_saveexec_b64 s[6:7], s[6:7]
	v_mov_b32_e32 v10, s10
	s_xor_b64 exec, exec, s[6:7]
	s_cbranch_execnz .LBB58_3108
.LBB58_1058:
	s_or_b64 exec, exec, s[6:7]
	s_and_saveexec_b64 s[6:7], s[4:5]
	s_cbranch_execz .LBB58_1060
.LBB58_1059:
	v_and_b32_e32 v10, 7, v15
	v_ffbh_u32_e32 v20, v10
	v_min_u32_e32 v20, 32, v20
	v_lshrrev_b16_e32 v14, 3, v15
	v_subrev_u32_e32 v21, 28, v20
	v_and_b32_e32 v14, 15, v14
	v_lshlrev_b32_e32 v21, v21, v15
	v_sub_u32_e32 v20, 29, v20
	v_and_b32_e32 v21, 7, v21
	v_cmp_eq_u16_e32 vcc, 0, v14
	v_cndmask_b32_e32 v10, v10, v21, vcc
	v_cndmask_b32_e32 v14, v14, v20, vcc
	v_lshlrev_b32_e32 v20, 24, v15
	v_mov_b32_e32 v21, 0x3b800000
	v_lshlrev_b32_e32 v10, 20, v10
	v_and_b32_e32 v20, 0x80000000, v20
	v_lshl_add_u32 v14, v14, 23, v21
	v_or3_b32 v10, v20, v14, v10
.LBB58_1060:
	s_or_b64 exec, exec, s[6:7]
	s_movk_i32 s4, 0x7f
	v_cmp_gt_i16_sdwa s[6:7], v11, s4 src0_sel:BYTE_0 src1_sel:DWORD
	s_mov_b64 s[4:5], 0
                                        ; implicit-def: $sgpr10
	s_and_saveexec_b64 s[8:9], s[6:7]
	s_xor_b64 s[6:7], exec, s[8:9]
	s_cbranch_execnz .LBB58_3109
; %bb.1061:
	s_or_saveexec_b64 s[6:7], s[6:7]
	v_mov_b32_e32 v14, s10
	s_xor_b64 exec, exec, s[6:7]
	s_cbranch_execnz .LBB58_3112
.LBB58_1062:
	s_or_b64 exec, exec, s[6:7]
	s_and_saveexec_b64 s[6:7], s[4:5]
	s_cbranch_execz .LBB58_1064
.LBB58_1063:
	v_and_b32_e32 v14, 7, v11
	v_ffbh_u32_e32 v21, v14
	v_min_u32_e32 v21, 32, v21
	v_lshrrev_b16_e32 v20, 3, v11
	v_subrev_u32_e32 v22, 28, v21
	v_and_b32_e32 v20, 15, v20
	v_lshlrev_b32_e32 v22, v22, v11
	v_sub_u32_e32 v21, 29, v21
	v_and_b32_e32 v22, 7, v22
	v_cmp_eq_u16_e32 vcc, 0, v20
	v_cndmask_b32_e32 v14, v14, v22, vcc
	v_cndmask_b32_e32 v20, v20, v21, vcc
	v_lshlrev_b32_e32 v21, 24, v11
	v_mov_b32_e32 v22, 0x3b800000
	v_lshlrev_b32_e32 v14, 20, v14
	v_and_b32_e32 v21, 0x80000000, v21
	v_lshl_add_u32 v20, v20, 23, v22
	v_or3_b32 v14, v21, v20, v14
.LBB58_1064:
	s_or_b64 exec, exec, s[6:7]
	s_nop 0
	v_mfma_f32_16x16x4f32 a[0:3], v10, v14, a[0:3]
	v_lshrrev_b32_e32 v14, 8, v15
	s_movk_i32 s4, 0x7f
	v_cmp_gt_i16_sdwa s[6:7], v14, s4 src0_sel:BYTE_0 src1_sel:DWORD
	s_mov_b64 s[4:5], 0
                                        ; implicit-def: $sgpr10
	s_and_saveexec_b64 s[8:9], s[6:7]
	s_xor_b64 s[6:7], exec, s[8:9]
	s_cbranch_execnz .LBB58_3113
; %bb.1065:
	s_or_saveexec_b64 s[6:7], s[6:7]
	v_mov_b32_e32 v10, s10
	s_xor_b64 exec, exec, s[6:7]
	s_cbranch_execnz .LBB58_3116
.LBB58_1066:
	s_or_b64 exec, exec, s[6:7]
	s_and_saveexec_b64 s[6:7], s[4:5]
	s_cbranch_execz .LBB58_1068
.LBB58_1067:
	v_bfe_u32 v10, v15, 8, 3
	v_ffbh_u32_e32 v21, v10
	v_min_u32_e32 v21, 32, v21
	v_lshrrev_b16_e32 v20, 3, v14
	v_subrev_u32_e32 v22, 28, v21
	v_and_b32_e32 v20, 15, v20
	v_lshlrev_b32_e32 v14, v22, v14
	v_sub_u32_e32 v21, 29, v21
	v_and_b32_e32 v14, 7, v14
	v_cmp_eq_u16_e32 vcc, 0, v20
	v_cndmask_b32_e32 v10, v10, v14, vcc
	v_cndmask_b32_e32 v14, v20, v21, vcc
	v_lshlrev_b32_e32 v20, 16, v15
	v_mov_b32_e32 v21, 0x3b800000
	v_lshlrev_b32_e32 v10, 20, v10
	v_and_b32_e32 v20, 0x80000000, v20
	v_lshl_add_u32 v14, v14, 23, v21
	v_or3_b32 v10, v20, v14, v10
.LBB58_1068:
	s_or_b64 exec, exec, s[6:7]
	v_lshrrev_b32_e32 v14, 8, v11
	s_movk_i32 s4, 0x7f
	v_cmp_gt_i16_sdwa s[6:7], v14, s4 src0_sel:BYTE_0 src1_sel:DWORD
	s_mov_b64 s[4:5], 0
                                        ; implicit-def: $sgpr10
	s_and_saveexec_b64 s[8:9], s[6:7]
	s_xor_b64 s[6:7], exec, s[8:9]
	s_cbranch_execnz .LBB58_3117
; %bb.1069:
	s_or_saveexec_b64 s[6:7], s[6:7]
	v_mov_b32_e32 v20, s10
	s_xor_b64 exec, exec, s[6:7]
	s_cbranch_execnz .LBB58_3120
.LBB58_1070:
	s_or_b64 exec, exec, s[6:7]
	s_and_saveexec_b64 s[6:7], s[4:5]
	s_cbranch_execz .LBB58_1072
.LBB58_1071:
	v_bfe_u32 v20, v11, 8, 3
	v_ffbh_u32_e32 v22, v20
	v_min_u32_e32 v22, 32, v22
	v_lshrrev_b16_e32 v21, 3, v14
	v_subrev_u32_e32 v23, 28, v22
	v_and_b32_e32 v21, 15, v21
	v_lshlrev_b32_e32 v14, v23, v14
	v_sub_u32_e32 v22, 29, v22
	v_and_b32_e32 v14, 7, v14
	v_cmp_eq_u16_e32 vcc, 0, v21
	v_cndmask_b32_e32 v14, v20, v14, vcc
	v_cndmask_b32_e32 v20, v21, v22, vcc
	v_lshlrev_b32_e32 v21, 16, v11
	v_mov_b32_e32 v22, 0x3b800000
	v_lshlrev_b32_e32 v14, 20, v14
	v_and_b32_e32 v21, 0x80000000, v21
	v_lshl_add_u32 v20, v20, 23, v22
	v_or3_b32 v20, v21, v20, v14
.LBB58_1072:
	s_or_b64 exec, exec, s[6:7]
	s_nop 0
	v_mfma_f32_16x16x4f32 a[0:3], v10, v20, a[0:3]
	s_movk_i32 s4, 0xff
	v_and_b32_sdwa v14, v15, s4 dst_sel:DWORD dst_unused:UNUSED_PAD src0_sel:WORD_1 src1_sel:DWORD
	s_movk_i32 s4, 0x7f
	v_cmp_lt_i16_e32 vcc, s4, v14
	s_mov_b64 s[4:5], 0
                                        ; implicit-def: $sgpr10
	s_and_saveexec_b64 s[6:7], vcc
	s_xor_b64 s[6:7], exec, s[6:7]
	s_cbranch_execnz .LBB58_3121
; %bb.1073:
	s_or_saveexec_b64 s[6:7], s[6:7]
	v_mov_b32_e32 v10, s10
	s_xor_b64 exec, exec, s[6:7]
	s_cbranch_execnz .LBB58_3124
.LBB58_1074:
	s_or_b64 exec, exec, s[6:7]
	s_and_saveexec_b64 s[6:7], s[4:5]
	s_cbranch_execz .LBB58_1076
.LBB58_1075:
	v_bfe_u32 v10, v15, 16, 3
	v_ffbh_u32_e32 v21, v10
	v_min_u32_e32 v21, 32, v21
	v_lshrrev_b32_e32 v14, 19, v15
	v_subrev_u32_e32 v22, 28, v21
	v_and_b32_e32 v14, 15, v14
	v_lshlrev_b32_sdwa v22, v22, v15 dst_sel:DWORD dst_unused:UNUSED_PAD src0_sel:DWORD src1_sel:WORD_1
	v_bfe_u32 v20, v15, 19, 4
	v_sub_u32_e32 v21, 29, v21
	v_and_b32_e32 v22, 7, v22
	v_cmp_eq_u16_e32 vcc, 0, v14
	v_cndmask_b32_e32 v10, v10, v22, vcc
	v_cndmask_b32_e32 v14, v20, v21, vcc
	v_lshlrev_b32_e32 v20, 8, v15
	v_mov_b32_e32 v21, 0x3b800000
	v_lshlrev_b32_e32 v10, 20, v10
	v_and_b32_e32 v20, 0x80000000, v20
	v_lshl_add_u32 v14, v14, 23, v21
	v_or3_b32 v10, v20, v14, v10
.LBB58_1076:
	s_or_b64 exec, exec, s[6:7]
	s_movk_i32 s4, 0xff
	v_and_b32_sdwa v14, v11, s4 dst_sel:DWORD dst_unused:UNUSED_PAD src0_sel:WORD_1 src1_sel:DWORD
	s_movk_i32 s4, 0x7f
	v_cmp_lt_i16_e32 vcc, s4, v14
	s_mov_b64 s[4:5], 0
                                        ; implicit-def: $sgpr10
	s_and_saveexec_b64 s[6:7], vcc
	s_xor_b64 s[6:7], exec, s[6:7]
	s_cbranch_execnz .LBB58_3125
; %bb.1077:
	s_or_saveexec_b64 s[6:7], s[6:7]
	v_mov_b32_e32 v20, s10
	s_xor_b64 exec, exec, s[6:7]
	s_cbranch_execnz .LBB58_3128
.LBB58_1078:
	s_or_b64 exec, exec, s[6:7]
	s_and_saveexec_b64 s[6:7], s[4:5]
	s_cbranch_execz .LBB58_1080
.LBB58_1079:
	v_bfe_u32 v14, v11, 16, 3
	v_ffbh_u32_e32 v22, v14
	v_min_u32_e32 v22, 32, v22
	v_lshrrev_b32_e32 v20, 19, v11
	v_subrev_u32_e32 v23, 28, v22
	v_and_b32_e32 v20, 15, v20
	v_lshlrev_b32_sdwa v23, v23, v11 dst_sel:DWORD dst_unused:UNUSED_PAD src0_sel:DWORD src1_sel:WORD_1
	v_bfe_u32 v21, v11, 19, 4
	v_sub_u32_e32 v22, 29, v22
	v_and_b32_e32 v23, 7, v23
	v_cmp_eq_u16_e32 vcc, 0, v20
	v_cndmask_b32_e32 v14, v14, v23, vcc
	v_cndmask_b32_e32 v20, v21, v22, vcc
	v_lshlrev_b32_e32 v21, 8, v11
	v_mov_b32_e32 v22, 0x3b800000
	v_lshlrev_b32_e32 v14, 20, v14
	v_and_b32_e32 v21, 0x80000000, v21
	v_lshl_add_u32 v20, v20, 23, v22
	v_or3_b32 v20, v21, v20, v14
.LBB58_1080:
	s_or_b64 exec, exec, s[6:7]
	s_nop 0
	v_mfma_f32_16x16x4f32 a[0:3], v10, v20, a[0:3]
	s_movk_i32 s4, 0x7f
	v_cmp_gt_i16_sdwa s[6:7], v15, s4 src0_sel:BYTE_3 src1_sel:DWORD
	s_mov_b64 s[4:5], 0
                                        ; implicit-def: $sgpr10
	s_and_saveexec_b64 s[8:9], s[6:7]
	s_xor_b64 s[6:7], exec, s[8:9]
	s_cbranch_execnz .LBB58_3129
; %bb.1081:
	s_or_saveexec_b64 s[6:7], s[6:7]
	v_mov_b32_e32 v10, s10
	s_xor_b64 exec, exec, s[6:7]
	s_cbranch_execnz .LBB58_3132
.LBB58_1082:
	s_or_b64 exec, exec, s[6:7]
	s_and_saveexec_b64 s[6:7], s[4:5]
	s_cbranch_execz .LBB58_1084
.LBB58_1083:
	v_bfe_u32 v10, v15, 24, 3
	v_ffbh_u32_e32 v22, v10
	v_min_u32_e32 v22, 32, v22
	v_lshrrev_b32_e32 v20, 27, v15
	v_subrev_u32_e32 v23, 28, v22
	v_and_b32_e32 v14, 0x80000000, v15
	v_and_b32_e32 v20, 15, v20
	v_bfe_u32 v21, v15, 27, 4
	v_lshlrev_b32_sdwa v15, v23, v15 dst_sel:DWORD dst_unused:UNUSED_PAD src0_sel:DWORD src1_sel:BYTE_3
	v_sub_u32_e32 v22, 29, v22
	v_and_b32_e32 v15, 7, v15
	v_cmp_eq_u16_e32 vcc, 0, v20
	v_cndmask_b32_e32 v10, v10, v15, vcc
	v_cndmask_b32_e32 v15, v21, v22, vcc
	v_mov_b32_e32 v20, 0x3b800000
	v_lshlrev_b32_e32 v10, 20, v10
	v_lshl_add_u32 v15, v15, 23, v20
	v_or3_b32 v10, v14, v15, v10
.LBB58_1084:
	s_or_b64 exec, exec, s[6:7]
	s_movk_i32 s4, 0x7f
	v_cmp_gt_i16_sdwa s[6:7], v11, s4 src0_sel:BYTE_3 src1_sel:DWORD
	s_mov_b64 s[4:5], 0
                                        ; implicit-def: $sgpr10
	s_and_saveexec_b64 s[8:9], s[6:7]
	s_xor_b64 s[6:7], exec, s[8:9]
	s_cbranch_execnz .LBB58_3133
; %bb.1085:
	s_or_saveexec_b64 s[6:7], s[6:7]
	v_mov_b32_e32 v14, s10
	s_xor_b64 exec, exec, s[6:7]
	s_cbranch_execnz .LBB58_3136
.LBB58_1086:
	s_or_b64 exec, exec, s[6:7]
	s_and_saveexec_b64 s[6:7], s[4:5]
	s_cbranch_execz .LBB58_1088
.LBB58_1087:
	v_bfe_u32 v14, v11, 24, 3
	v_ffbh_u32_e32 v22, v14
	v_min_u32_e32 v22, 32, v22
	v_lshrrev_b32_e32 v20, 27, v11
	v_subrev_u32_e32 v23, 28, v22
	v_and_b32_e32 v15, 0x80000000, v11
	v_and_b32_e32 v20, 15, v20
	v_bfe_u32 v21, v11, 27, 4
	v_lshlrev_b32_sdwa v11, v23, v11 dst_sel:DWORD dst_unused:UNUSED_PAD src0_sel:DWORD src1_sel:BYTE_3
	v_sub_u32_e32 v22, 29, v22
	v_and_b32_e32 v11, 7, v11
	v_cmp_eq_u16_e32 vcc, 0, v20
	v_cndmask_b32_e32 v11, v14, v11, vcc
	v_cndmask_b32_e32 v14, v21, v22, vcc
	v_mov_b32_e32 v20, 0x3b800000
	v_lshlrev_b32_e32 v11, 20, v11
	v_lshl_add_u32 v14, v14, 23, v20
	v_or3_b32 v14, v15, v14, v11
.LBB58_1088:
	s_or_b64 exec, exec, s[6:7]
	s_nop 0
	v_mfma_f32_16x16x4f32 a[0:3], v10, v14, a[0:3]
	s_movk_i32 s4, 0x7f
	v_cmp_gt_i16_sdwa s[6:7], v16, s4 src0_sel:BYTE_0 src1_sel:DWORD
	s_mov_b64 s[4:5], 0
                                        ; implicit-def: $sgpr10
	s_and_saveexec_b64 s[8:9], s[6:7]
	s_xor_b64 s[6:7], exec, s[8:9]
	s_cbranch_execnz .LBB58_3137
; %bb.1089:
	s_or_saveexec_b64 s[6:7], s[6:7]
	v_mov_b32_e32 v10, s10
	s_xor_b64 exec, exec, s[6:7]
	s_cbranch_execnz .LBB58_3140
.LBB58_1090:
	s_or_b64 exec, exec, s[6:7]
	s_and_saveexec_b64 s[6:7], s[4:5]
	s_cbranch_execz .LBB58_1092
.LBB58_1091:
	v_and_b32_e32 v10, 7, v16
	v_ffbh_u32_e32 v14, v10
	v_min_u32_e32 v14, 32, v14
	v_lshrrev_b16_e32 v11, 3, v16
	v_subrev_u32_e32 v15, 28, v14
	v_and_b32_e32 v11, 15, v11
	v_lshlrev_b32_e32 v15, v15, v16
	v_sub_u32_e32 v14, 29, v14
	v_and_b32_e32 v15, 7, v15
	v_cmp_eq_u16_e32 vcc, 0, v11
	v_cndmask_b32_e32 v10, v10, v15, vcc
	v_cndmask_b32_e32 v11, v11, v14, vcc
	v_lshlrev_b32_e32 v14, 24, v16
	v_mov_b32_e32 v15, 0x3b800000
	v_lshlrev_b32_e32 v10, 20, v10
	v_and_b32_e32 v14, 0x80000000, v14
	v_lshl_add_u32 v11, v11, 23, v15
	v_or3_b32 v10, v14, v11, v10
.LBB58_1092:
	s_or_b64 exec, exec, s[6:7]
	s_movk_i32 s4, 0x7f
	v_cmp_gt_i16_sdwa s[6:7], v12, s4 src0_sel:BYTE_0 src1_sel:DWORD
	s_mov_b64 s[4:5], 0
                                        ; implicit-def: $sgpr10
	s_and_saveexec_b64 s[8:9], s[6:7]
	s_xor_b64 s[6:7], exec, s[8:9]
	s_cbranch_execnz .LBB58_3141
; %bb.1093:
	s_or_saveexec_b64 s[6:7], s[6:7]
	v_mov_b32_e32 v11, s10
	s_xor_b64 exec, exec, s[6:7]
	s_cbranch_execnz .LBB58_3144
.LBB58_1094:
	s_or_b64 exec, exec, s[6:7]
	s_and_saveexec_b64 s[6:7], s[4:5]
	s_cbranch_execz .LBB58_1096
.LBB58_1095:
	v_and_b32_e32 v11, 7, v12
	v_ffbh_u32_e32 v15, v11
	v_min_u32_e32 v15, 32, v15
	v_lshrrev_b16_e32 v14, 3, v12
	v_subrev_u32_e32 v20, 28, v15
	v_and_b32_e32 v14, 15, v14
	v_lshlrev_b32_e32 v20, v20, v12
	v_sub_u32_e32 v15, 29, v15
	v_and_b32_e32 v20, 7, v20
	v_cmp_eq_u16_e32 vcc, 0, v14
	v_cndmask_b32_e32 v11, v11, v20, vcc
	v_cndmask_b32_e32 v14, v14, v15, vcc
	v_lshlrev_b32_e32 v15, 24, v12
	v_mov_b32_e32 v20, 0x3b800000
	v_lshlrev_b32_e32 v11, 20, v11
	v_and_b32_e32 v15, 0x80000000, v15
	v_lshl_add_u32 v14, v14, 23, v20
	v_or3_b32 v11, v15, v14, v11
.LBB58_1096:
	s_or_b64 exec, exec, s[6:7]
	s_nop 0
	v_mfma_f32_16x16x4f32 a[0:3], v10, v11, a[0:3]
	v_lshrrev_b32_e32 v11, 8, v16
	s_movk_i32 s4, 0x7f
	v_cmp_gt_i16_sdwa s[6:7], v11, s4 src0_sel:BYTE_0 src1_sel:DWORD
	s_mov_b64 s[4:5], 0
                                        ; implicit-def: $sgpr10
	s_and_saveexec_b64 s[8:9], s[6:7]
	s_xor_b64 s[6:7], exec, s[8:9]
	s_cbranch_execnz .LBB58_3145
; %bb.1097:
	s_or_saveexec_b64 s[6:7], s[6:7]
	v_mov_b32_e32 v10, s10
	s_xor_b64 exec, exec, s[6:7]
	s_cbranch_execnz .LBB58_3148
.LBB58_1098:
	s_or_b64 exec, exec, s[6:7]
	s_and_saveexec_b64 s[6:7], s[4:5]
	s_cbranch_execz .LBB58_1100
.LBB58_1099:
	v_bfe_u32 v10, v16, 8, 3
	v_ffbh_u32_e32 v15, v10
	v_min_u32_e32 v15, 32, v15
	v_lshrrev_b16_e32 v14, 3, v11
	v_subrev_u32_e32 v20, 28, v15
	v_and_b32_e32 v14, 15, v14
	v_lshlrev_b32_e32 v11, v20, v11
	v_sub_u32_e32 v15, 29, v15
	v_and_b32_e32 v11, 7, v11
	v_cmp_eq_u16_e32 vcc, 0, v14
	v_cndmask_b32_e32 v10, v10, v11, vcc
	v_cndmask_b32_e32 v11, v14, v15, vcc
	v_lshlrev_b32_e32 v14, 16, v16
	v_mov_b32_e32 v15, 0x3b800000
	v_lshlrev_b32_e32 v10, 20, v10
	v_and_b32_e32 v14, 0x80000000, v14
	v_lshl_add_u32 v11, v11, 23, v15
	v_or3_b32 v10, v14, v11, v10
.LBB58_1100:
	s_or_b64 exec, exec, s[6:7]
	v_lshrrev_b32_e32 v11, 8, v12
	s_movk_i32 s4, 0x7f
	v_cmp_gt_i16_sdwa s[6:7], v11, s4 src0_sel:BYTE_0 src1_sel:DWORD
	s_mov_b64 s[4:5], 0
                                        ; implicit-def: $sgpr10
	s_and_saveexec_b64 s[8:9], s[6:7]
	s_xor_b64 s[6:7], exec, s[8:9]
	s_cbranch_execnz .LBB58_3149
; %bb.1101:
	s_or_saveexec_b64 s[6:7], s[6:7]
	v_mov_b32_e32 v14, s10
	s_xor_b64 exec, exec, s[6:7]
	s_cbranch_execnz .LBB58_3152
.LBB58_1102:
	s_or_b64 exec, exec, s[6:7]
	s_and_saveexec_b64 s[6:7], s[4:5]
	s_cbranch_execz .LBB58_1104
.LBB58_1103:
	v_bfe_u32 v14, v12, 8, 3
	v_ffbh_u32_e32 v20, v14
	v_min_u32_e32 v20, 32, v20
	v_lshrrev_b16_e32 v15, 3, v11
	v_subrev_u32_e32 v21, 28, v20
	v_and_b32_e32 v15, 15, v15
	v_lshlrev_b32_e32 v11, v21, v11
	v_sub_u32_e32 v20, 29, v20
	v_and_b32_e32 v11, 7, v11
	v_cmp_eq_u16_e32 vcc, 0, v15
	v_cndmask_b32_e32 v11, v14, v11, vcc
	v_cndmask_b32_e32 v14, v15, v20, vcc
	v_lshlrev_b32_e32 v15, 16, v12
	v_mov_b32_e32 v20, 0x3b800000
	v_lshlrev_b32_e32 v11, 20, v11
	v_and_b32_e32 v15, 0x80000000, v15
	v_lshl_add_u32 v14, v14, 23, v20
	v_or3_b32 v14, v15, v14, v11
.LBB58_1104:
	s_or_b64 exec, exec, s[6:7]
	s_nop 0
	v_mfma_f32_16x16x4f32 a[0:3], v10, v14, a[0:3]
	s_movk_i32 s4, 0xff
	v_and_b32_sdwa v11, v16, s4 dst_sel:DWORD dst_unused:UNUSED_PAD src0_sel:WORD_1 src1_sel:DWORD
	s_movk_i32 s4, 0x7f
	v_cmp_lt_i16_e32 vcc, s4, v11
	s_mov_b64 s[4:5], 0
                                        ; implicit-def: $sgpr10
	s_and_saveexec_b64 s[6:7], vcc
	s_xor_b64 s[6:7], exec, s[6:7]
	s_cbranch_execnz .LBB58_3153
; %bb.1105:
	s_or_saveexec_b64 s[6:7], s[6:7]
	v_mov_b32_e32 v10, s10
	s_xor_b64 exec, exec, s[6:7]
	s_cbranch_execnz .LBB58_3156
.LBB58_1106:
	s_or_b64 exec, exec, s[6:7]
	s_and_saveexec_b64 s[6:7], s[4:5]
	s_cbranch_execz .LBB58_1108
.LBB58_1107:
	v_bfe_u32 v10, v16, 16, 3
	v_ffbh_u32_e32 v15, v10
	v_min_u32_e32 v15, 32, v15
	v_lshrrev_b32_e32 v11, 19, v16
	v_subrev_u32_e32 v20, 28, v15
	v_and_b32_e32 v11, 15, v11
	v_lshlrev_b32_sdwa v20, v20, v16 dst_sel:DWORD dst_unused:UNUSED_PAD src0_sel:DWORD src1_sel:WORD_1
	v_bfe_u32 v14, v16, 19, 4
	v_sub_u32_e32 v15, 29, v15
	v_and_b32_e32 v20, 7, v20
	v_cmp_eq_u16_e32 vcc, 0, v11
	v_cndmask_b32_e32 v10, v10, v20, vcc
	v_cndmask_b32_e32 v11, v14, v15, vcc
	v_lshlrev_b32_e32 v14, 8, v16
	v_mov_b32_e32 v15, 0x3b800000
	v_lshlrev_b32_e32 v10, 20, v10
	v_and_b32_e32 v14, 0x80000000, v14
	v_lshl_add_u32 v11, v11, 23, v15
	v_or3_b32 v10, v14, v11, v10
.LBB58_1108:
	s_or_b64 exec, exec, s[6:7]
	s_movk_i32 s4, 0xff
	v_and_b32_sdwa v11, v12, s4 dst_sel:DWORD dst_unused:UNUSED_PAD src0_sel:WORD_1 src1_sel:DWORD
	s_movk_i32 s4, 0x7f
	v_cmp_lt_i16_e32 vcc, s4, v11
	s_mov_b64 s[4:5], 0
                                        ; implicit-def: $sgpr10
	s_and_saveexec_b64 s[6:7], vcc
	s_xor_b64 s[6:7], exec, s[6:7]
	s_cbranch_execnz .LBB58_3157
; %bb.1109:
	s_or_saveexec_b64 s[6:7], s[6:7]
	v_mov_b32_e32 v14, s10
	s_xor_b64 exec, exec, s[6:7]
	s_cbranch_execnz .LBB58_3160
.LBB58_1110:
	s_or_b64 exec, exec, s[6:7]
	s_and_saveexec_b64 s[6:7], s[4:5]
	s_cbranch_execz .LBB58_1112
.LBB58_1111:
	v_bfe_u32 v11, v12, 16, 3
	v_ffbh_u32_e32 v20, v11
	v_min_u32_e32 v20, 32, v20
	v_lshrrev_b32_e32 v14, 19, v12
	v_subrev_u32_e32 v21, 28, v20
	v_and_b32_e32 v14, 15, v14
	v_lshlrev_b32_sdwa v21, v21, v12 dst_sel:DWORD dst_unused:UNUSED_PAD src0_sel:DWORD src1_sel:WORD_1
	v_bfe_u32 v15, v12, 19, 4
	v_sub_u32_e32 v20, 29, v20
	v_and_b32_e32 v21, 7, v21
	v_cmp_eq_u16_e32 vcc, 0, v14
	v_cndmask_b32_e32 v11, v11, v21, vcc
	v_cndmask_b32_e32 v14, v15, v20, vcc
	v_lshlrev_b32_e32 v15, 8, v12
	v_mov_b32_e32 v20, 0x3b800000
	v_lshlrev_b32_e32 v11, 20, v11
	v_and_b32_e32 v15, 0x80000000, v15
	v_lshl_add_u32 v14, v14, 23, v20
	v_or3_b32 v14, v15, v14, v11
.LBB58_1112:
	s_or_b64 exec, exec, s[6:7]
	s_nop 0
	v_mfma_f32_16x16x4f32 a[0:3], v10, v14, a[0:3]
	s_movk_i32 s4, 0x7f
	v_cmp_gt_i16_sdwa s[6:7], v16, s4 src0_sel:BYTE_3 src1_sel:DWORD
	s_mov_b64 s[4:5], 0
                                        ; implicit-def: $sgpr10
	s_and_saveexec_b64 s[8:9], s[6:7]
	s_xor_b64 s[6:7], exec, s[8:9]
	s_cbranch_execnz .LBB58_3161
; %bb.1113:
	s_or_saveexec_b64 s[6:7], s[6:7]
	v_mov_b32_e32 v10, s10
	s_xor_b64 exec, exec, s[6:7]
	s_cbranch_execnz .LBB58_3164
.LBB58_1114:
	s_or_b64 exec, exec, s[6:7]
	s_and_saveexec_b64 s[6:7], s[4:5]
	s_cbranch_execz .LBB58_1116
.LBB58_1115:
	v_bfe_u32 v10, v16, 24, 3
	v_ffbh_u32_e32 v20, v10
	v_min_u32_e32 v20, 32, v20
	v_lshrrev_b32_e32 v14, 27, v16
	v_subrev_u32_e32 v21, 28, v20
	v_and_b32_e32 v11, 0x80000000, v16
	v_and_b32_e32 v14, 15, v14
	v_bfe_u32 v15, v16, 27, 4
	v_lshlrev_b32_sdwa v16, v21, v16 dst_sel:DWORD dst_unused:UNUSED_PAD src0_sel:DWORD src1_sel:BYTE_3
	v_sub_u32_e32 v20, 29, v20
	v_and_b32_e32 v16, 7, v16
	v_cmp_eq_u16_e32 vcc, 0, v14
	v_cndmask_b32_e32 v10, v10, v16, vcc
	v_cndmask_b32_e32 v14, v15, v20, vcc
	v_mov_b32_e32 v15, 0x3b800000
	v_lshlrev_b32_e32 v10, 20, v10
	v_lshl_add_u32 v14, v14, 23, v15
	v_or3_b32 v10, v11, v14, v10
.LBB58_1116:
	s_or_b64 exec, exec, s[6:7]
	s_movk_i32 s4, 0x7f
	v_cmp_gt_i16_sdwa s[6:7], v12, s4 src0_sel:BYTE_3 src1_sel:DWORD
	s_mov_b64 s[4:5], 0
                                        ; implicit-def: $sgpr10
	s_and_saveexec_b64 s[8:9], s[6:7]
	s_xor_b64 s[6:7], exec, s[8:9]
	s_cbranch_execnz .LBB58_3165
; %bb.1117:
	s_or_saveexec_b64 s[6:7], s[6:7]
	v_mov_b32_e32 v11, s10
	s_xor_b64 exec, exec, s[6:7]
	s_cbranch_execnz .LBB58_3168
.LBB58_1118:
	s_or_b64 exec, exec, s[6:7]
	s_and_saveexec_b64 s[6:7], s[4:5]
	s_cbranch_execz .LBB58_1120
.LBB58_1119:
	v_bfe_u32 v11, v12, 24, 3
	v_ffbh_u32_e32 v20, v11
	v_min_u32_e32 v20, 32, v20
	v_lshrrev_b32_e32 v15, 27, v12
	v_subrev_u32_e32 v21, 28, v20
	v_and_b32_e32 v14, 0x80000000, v12
	v_and_b32_e32 v15, 15, v15
	v_bfe_u32 v16, v12, 27, 4
	v_lshlrev_b32_sdwa v12, v21, v12 dst_sel:DWORD dst_unused:UNUSED_PAD src0_sel:DWORD src1_sel:BYTE_3
	v_sub_u32_e32 v20, 29, v20
	v_and_b32_e32 v12, 7, v12
	v_cmp_eq_u16_e32 vcc, 0, v15
	v_cndmask_b32_e32 v11, v11, v12, vcc
	v_cndmask_b32_e32 v12, v16, v20, vcc
	v_mov_b32_e32 v15, 0x3b800000
	v_lshlrev_b32_e32 v11, 20, v11
	v_lshl_add_u32 v12, v12, 23, v15
	v_or3_b32 v11, v14, v12, v11
.LBB58_1120:
	s_or_b64 exec, exec, s[6:7]
	s_nop 0
	v_mfma_f32_16x16x4f32 a[0:3], v10, v11, a[0:3]
	s_movk_i32 s4, 0x7f
	v_cmp_gt_i16_sdwa s[6:7], v17, s4 src0_sel:BYTE_0 src1_sel:DWORD
	s_mov_b64 s[4:5], 0
                                        ; implicit-def: $sgpr10
	s_and_saveexec_b64 s[8:9], s[6:7]
	s_xor_b64 s[6:7], exec, s[8:9]
	s_cbranch_execnz .LBB58_3169
; %bb.1121:
	s_or_saveexec_b64 s[6:7], s[6:7]
	v_mov_b32_e32 v10, s10
	s_xor_b64 exec, exec, s[6:7]
	s_cbranch_execnz .LBB58_3172
.LBB58_1122:
	s_or_b64 exec, exec, s[6:7]
	s_and_saveexec_b64 s[6:7], s[4:5]
	s_cbranch_execz .LBB58_1124
.LBB58_1123:
	v_and_b32_e32 v10, 7, v17
	v_ffbh_u32_e32 v12, v10
	v_min_u32_e32 v12, 32, v12
	v_lshrrev_b16_e32 v11, 3, v17
	v_subrev_u32_e32 v14, 28, v12
	v_and_b32_e32 v11, 15, v11
	v_lshlrev_b32_e32 v14, v14, v17
	v_sub_u32_e32 v12, 29, v12
	v_and_b32_e32 v14, 7, v14
	v_cmp_eq_u16_e32 vcc, 0, v11
	v_cndmask_b32_e32 v10, v10, v14, vcc
	v_cndmask_b32_e32 v11, v11, v12, vcc
	v_lshlrev_b32_e32 v12, 24, v17
	v_mov_b32_e32 v14, 0x3b800000
	v_lshlrev_b32_e32 v10, 20, v10
	v_and_b32_e32 v12, 0x80000000, v12
	v_lshl_add_u32 v11, v11, 23, v14
	v_or3_b32 v10, v12, v11, v10
.LBB58_1124:
	s_or_b64 exec, exec, s[6:7]
	s_movk_i32 s4, 0x7f
	v_cmp_gt_i16_sdwa s[6:7], v13, s4 src0_sel:BYTE_0 src1_sel:DWORD
	s_mov_b64 s[4:5], 0
                                        ; implicit-def: $sgpr10
	s_and_saveexec_b64 s[8:9], s[6:7]
	s_xor_b64 s[6:7], exec, s[8:9]
	s_cbranch_execnz .LBB58_3173
; %bb.1125:
	s_or_saveexec_b64 s[6:7], s[6:7]
	v_mov_b32_e32 v11, s10
	s_xor_b64 exec, exec, s[6:7]
	s_cbranch_execnz .LBB58_3176
.LBB58_1126:
	s_or_b64 exec, exec, s[6:7]
	s_and_saveexec_b64 s[6:7], s[4:5]
	s_cbranch_execz .LBB58_1128
.LBB58_1127:
	v_and_b32_e32 v11, 7, v13
	v_ffbh_u32_e32 v14, v11
	v_min_u32_e32 v14, 32, v14
	v_lshrrev_b16_e32 v12, 3, v13
	v_subrev_u32_e32 v15, 28, v14
	v_and_b32_e32 v12, 15, v12
	v_lshlrev_b32_e32 v15, v15, v13
	v_sub_u32_e32 v14, 29, v14
	v_and_b32_e32 v15, 7, v15
	v_cmp_eq_u16_e32 vcc, 0, v12
	v_cndmask_b32_e32 v11, v11, v15, vcc
	v_cndmask_b32_e32 v12, v12, v14, vcc
	v_lshlrev_b32_e32 v14, 24, v13
	v_mov_b32_e32 v15, 0x3b800000
	v_lshlrev_b32_e32 v11, 20, v11
	v_and_b32_e32 v14, 0x80000000, v14
	v_lshl_add_u32 v12, v12, 23, v15
	v_or3_b32 v11, v14, v12, v11
.LBB58_1128:
	s_or_b64 exec, exec, s[6:7]
	s_nop 0
	v_mfma_f32_16x16x4f32 a[0:3], v10, v11, a[0:3]
	v_lshrrev_b32_e32 v11, 8, v17
	s_movk_i32 s4, 0x7f
	v_cmp_gt_i16_sdwa s[6:7], v11, s4 src0_sel:BYTE_0 src1_sel:DWORD
	s_mov_b64 s[4:5], 0
                                        ; implicit-def: $sgpr10
	s_and_saveexec_b64 s[8:9], s[6:7]
	s_xor_b64 s[6:7], exec, s[8:9]
	s_cbranch_execnz .LBB58_3177
; %bb.1129:
	s_or_saveexec_b64 s[6:7], s[6:7]
	v_mov_b32_e32 v10, s10
	s_xor_b64 exec, exec, s[6:7]
	s_cbranch_execnz .LBB58_3180
.LBB58_1130:
	s_or_b64 exec, exec, s[6:7]
	s_and_saveexec_b64 s[6:7], s[4:5]
	s_cbranch_execz .LBB58_1132
.LBB58_1131:
	v_bfe_u32 v10, v17, 8, 3
	v_ffbh_u32_e32 v14, v10
	v_min_u32_e32 v14, 32, v14
	v_lshrrev_b16_e32 v12, 3, v11
	v_subrev_u32_e32 v15, 28, v14
	v_and_b32_e32 v12, 15, v12
	v_lshlrev_b32_e32 v11, v15, v11
	v_sub_u32_e32 v14, 29, v14
	v_and_b32_e32 v11, 7, v11
	v_cmp_eq_u16_e32 vcc, 0, v12
	v_cndmask_b32_e32 v10, v10, v11, vcc
	v_cndmask_b32_e32 v11, v12, v14, vcc
	v_lshlrev_b32_e32 v12, 16, v17
	v_mov_b32_e32 v14, 0x3b800000
	v_lshlrev_b32_e32 v10, 20, v10
	v_and_b32_e32 v12, 0x80000000, v12
	v_lshl_add_u32 v11, v11, 23, v14
	v_or3_b32 v10, v12, v11, v10
.LBB58_1132:
	s_or_b64 exec, exec, s[6:7]
	v_lshrrev_b32_e32 v11, 8, v13
	s_movk_i32 s4, 0x7f
	v_cmp_gt_i16_sdwa s[6:7], v11, s4 src0_sel:BYTE_0 src1_sel:DWORD
	s_mov_b64 s[4:5], 0
                                        ; implicit-def: $sgpr10
	s_and_saveexec_b64 s[8:9], s[6:7]
	s_xor_b64 s[6:7], exec, s[8:9]
	s_cbranch_execnz .LBB58_3181
; %bb.1133:
	s_or_saveexec_b64 s[6:7], s[6:7]
	v_mov_b32_e32 v12, s10
	s_xor_b64 exec, exec, s[6:7]
	s_cbranch_execnz .LBB58_3184
.LBB58_1134:
	s_or_b64 exec, exec, s[6:7]
	s_and_saveexec_b64 s[6:7], s[4:5]
	s_cbranch_execz .LBB58_1136
.LBB58_1135:
	v_bfe_u32 v12, v13, 8, 3
	v_ffbh_u32_e32 v15, v12
	v_min_u32_e32 v15, 32, v15
	v_lshrrev_b16_e32 v14, 3, v11
	v_subrev_u32_e32 v16, 28, v15
	v_and_b32_e32 v14, 15, v14
	v_lshlrev_b32_e32 v11, v16, v11
	v_sub_u32_e32 v15, 29, v15
	v_and_b32_e32 v11, 7, v11
	v_cmp_eq_u16_e32 vcc, 0, v14
	v_cndmask_b32_e32 v11, v12, v11, vcc
	v_cndmask_b32_e32 v12, v14, v15, vcc
	v_lshlrev_b32_e32 v14, 16, v13
	v_mov_b32_e32 v15, 0x3b800000
	v_lshlrev_b32_e32 v11, 20, v11
	v_and_b32_e32 v14, 0x80000000, v14
	v_lshl_add_u32 v12, v12, 23, v15
	v_or3_b32 v12, v14, v12, v11
.LBB58_1136:
	s_or_b64 exec, exec, s[6:7]
	s_nop 0
	v_mfma_f32_16x16x4f32 a[0:3], v10, v12, a[0:3]
	s_movk_i32 s4, 0xff
	v_and_b32_sdwa v11, v17, s4 dst_sel:DWORD dst_unused:UNUSED_PAD src0_sel:WORD_1 src1_sel:DWORD
	s_movk_i32 s4, 0x7f
	v_cmp_lt_i16_e32 vcc, s4, v11
	s_mov_b64 s[4:5], 0
                                        ; implicit-def: $sgpr10
	s_and_saveexec_b64 s[6:7], vcc
	s_xor_b64 s[6:7], exec, s[6:7]
	s_cbranch_execnz .LBB58_3185
; %bb.1137:
	s_or_saveexec_b64 s[6:7], s[6:7]
	v_mov_b32_e32 v10, s10
	s_xor_b64 exec, exec, s[6:7]
	s_cbranch_execnz .LBB58_3188
.LBB58_1138:
	s_or_b64 exec, exec, s[6:7]
	s_and_saveexec_b64 s[6:7], s[4:5]
	s_cbranch_execz .LBB58_1140
.LBB58_1139:
	v_bfe_u32 v10, v17, 16, 3
	v_ffbh_u32_e32 v14, v10
	v_min_u32_e32 v14, 32, v14
	v_lshrrev_b32_e32 v11, 19, v17
	v_subrev_u32_e32 v15, 28, v14
	v_and_b32_e32 v11, 15, v11
	v_lshlrev_b32_sdwa v15, v15, v17 dst_sel:DWORD dst_unused:UNUSED_PAD src0_sel:DWORD src1_sel:WORD_1
	v_bfe_u32 v12, v17, 19, 4
	v_sub_u32_e32 v14, 29, v14
	v_and_b32_e32 v15, 7, v15
	v_cmp_eq_u16_e32 vcc, 0, v11
	v_cndmask_b32_e32 v10, v10, v15, vcc
	v_cndmask_b32_e32 v11, v12, v14, vcc
	v_lshlrev_b32_e32 v12, 8, v17
	v_mov_b32_e32 v14, 0x3b800000
	v_lshlrev_b32_e32 v10, 20, v10
	v_and_b32_e32 v12, 0x80000000, v12
	v_lshl_add_u32 v11, v11, 23, v14
	v_or3_b32 v10, v12, v11, v10
.LBB58_1140:
	s_or_b64 exec, exec, s[6:7]
	s_movk_i32 s4, 0xff
	v_and_b32_sdwa v11, v13, s4 dst_sel:DWORD dst_unused:UNUSED_PAD src0_sel:WORD_1 src1_sel:DWORD
	s_movk_i32 s4, 0x7f
	v_cmp_lt_i16_e32 vcc, s4, v11
	s_mov_b64 s[4:5], 0
                                        ; implicit-def: $sgpr10
	s_and_saveexec_b64 s[6:7], vcc
	s_xor_b64 s[6:7], exec, s[6:7]
	s_cbranch_execnz .LBB58_3189
; %bb.1141:
	s_or_saveexec_b64 s[6:7], s[6:7]
	v_mov_b32_e32 v12, s10
	s_xor_b64 exec, exec, s[6:7]
	s_cbranch_execnz .LBB58_3192
.LBB58_1142:
	s_or_b64 exec, exec, s[6:7]
	s_and_saveexec_b64 s[6:7], s[4:5]
	s_cbranch_execz .LBB58_1144
.LBB58_1143:
	v_bfe_u32 v11, v13, 16, 3
	v_ffbh_u32_e32 v15, v11
	v_min_u32_e32 v15, 32, v15
	v_lshrrev_b32_e32 v12, 19, v13
	v_subrev_u32_e32 v16, 28, v15
	v_and_b32_e32 v12, 15, v12
	v_lshlrev_b32_sdwa v16, v16, v13 dst_sel:DWORD dst_unused:UNUSED_PAD src0_sel:DWORD src1_sel:WORD_1
	v_bfe_u32 v14, v13, 19, 4
	v_sub_u32_e32 v15, 29, v15
	v_and_b32_e32 v16, 7, v16
	v_cmp_eq_u16_e32 vcc, 0, v12
	v_cndmask_b32_e32 v11, v11, v16, vcc
	v_cndmask_b32_e32 v12, v14, v15, vcc
	v_lshlrev_b32_e32 v14, 8, v13
	v_mov_b32_e32 v15, 0x3b800000
	v_lshlrev_b32_e32 v11, 20, v11
	v_and_b32_e32 v14, 0x80000000, v14
	v_lshl_add_u32 v12, v12, 23, v15
	v_or3_b32 v12, v14, v12, v11
.LBB58_1144:
	s_or_b64 exec, exec, s[6:7]
	s_nop 0
	v_mfma_f32_16x16x4f32 a[0:3], v10, v12, a[0:3]
	s_movk_i32 s4, 0x7f
	v_cmp_gt_i16_sdwa s[6:7], v17, s4 src0_sel:BYTE_3 src1_sel:DWORD
	s_mov_b64 s[4:5], 0
                                        ; implicit-def: $sgpr10
	s_and_saveexec_b64 s[8:9], s[6:7]
	s_xor_b64 s[6:7], exec, s[8:9]
	s_cbranch_execnz .LBB58_3193
; %bb.1145:
	s_or_saveexec_b64 s[6:7], s[6:7]
	v_mov_b32_e32 v10, s10
	s_xor_b64 exec, exec, s[6:7]
	s_cbranch_execnz .LBB58_3196
.LBB58_1146:
	s_or_b64 exec, exec, s[6:7]
	s_and_saveexec_b64 s[6:7], s[4:5]
	s_cbranch_execz .LBB58_1148
.LBB58_1147:
	v_bfe_u32 v10, v17, 24, 3
	v_ffbh_u32_e32 v15, v10
	v_min_u32_e32 v15, 32, v15
	v_lshrrev_b32_e32 v12, 27, v17
	v_subrev_u32_e32 v16, 28, v15
	v_and_b32_e32 v12, 15, v12
	v_lshlrev_b32_sdwa v16, v16, v17 dst_sel:DWORD dst_unused:UNUSED_PAD src0_sel:DWORD src1_sel:BYTE_3
	v_bfe_u32 v14, v17, 27, 4
	v_sub_u32_e32 v15, 29, v15
	v_and_b32_e32 v16, 7, v16
	v_cmp_eq_u16_e32 vcc, 0, v12
	v_cndmask_b32_e32 v10, v10, v16, vcc
	v_cndmask_b32_e32 v12, v14, v15, vcc
	v_mov_b32_e32 v14, 0x3b800000
	v_and_b32_e32 v11, 0x80000000, v17
	v_lshlrev_b32_e32 v10, 20, v10
	v_lshl_add_u32 v12, v12, 23, v14
	v_or3_b32 v10, v11, v12, v10
.LBB58_1148:
	s_or_b64 exec, exec, s[6:7]
	s_movk_i32 s4, 0x7f
	v_cmp_gt_i16_sdwa s[6:7], v13, s4 src0_sel:BYTE_3 src1_sel:DWORD
	s_mov_b64 s[4:5], 0
                                        ; implicit-def: $sgpr10
	s_and_saveexec_b64 s[8:9], s[6:7]
	s_xor_b64 s[6:7], exec, s[8:9]
	s_cbranch_execnz .LBB58_3197
; %bb.1149:
	s_or_saveexec_b64 s[6:7], s[6:7]
	v_mov_b32_e32 v11, s10
	s_xor_b64 exec, exec, s[6:7]
	s_cbranch_execnz .LBB58_3200
.LBB58_1150:
	s_or_b64 exec, exec, s[6:7]
	s_and_saveexec_b64 s[6:7], s[4:5]
	s_cbranch_execz .LBB58_1152
.LBB58_1151:
	v_bfe_u32 v11, v13, 24, 3
	v_ffbh_u32_e32 v16, v11
	v_min_u32_e32 v16, 32, v16
	v_lshrrev_b32_e32 v14, 27, v13
	v_subrev_u32_e32 v17, 28, v16
	v_and_b32_e32 v12, 0x80000000, v13
	v_and_b32_e32 v14, 15, v14
	v_bfe_u32 v15, v13, 27, 4
	v_lshlrev_b32_sdwa v13, v17, v13 dst_sel:DWORD dst_unused:UNUSED_PAD src0_sel:DWORD src1_sel:BYTE_3
	v_sub_u32_e32 v16, 29, v16
	v_and_b32_e32 v13, 7, v13
	v_cmp_eq_u16_e32 vcc, 0, v14
	v_cndmask_b32_e32 v11, v11, v13, vcc
	v_cndmask_b32_e32 v13, v15, v16, vcc
	v_mov_b32_e32 v14, 0x3b800000
	v_lshlrev_b32_e32 v11, 20, v11
	v_lshl_add_u32 v13, v13, 23, v14
	v_or3_b32 v11, v12, v13, v11
.LBB58_1152:
	s_or_b64 exec, exec, s[6:7]
	s_nop 0
	v_mfma_f32_16x16x4f32 a[0:3], v10, v11, a[0:3]
	s_movk_i32 s4, 0x7f
	v_cmp_gt_i16_sdwa s[6:7], v6, s4 src0_sel:BYTE_0 src1_sel:DWORD
	s_mov_b64 s[4:5], 0
                                        ; implicit-def: $sgpr10
	s_and_saveexec_b64 s[8:9], s[6:7]
	s_xor_b64 s[6:7], exec, s[8:9]
	s_cbranch_execnz .LBB58_3201
; %bb.1153:
	s_or_saveexec_b64 s[6:7], s[6:7]
	v_mov_b32_e32 v10, s10
	s_xor_b64 exec, exec, s[6:7]
	s_cbranch_execnz .LBB58_3204
.LBB58_1154:
	s_or_b64 exec, exec, s[6:7]
	s_and_saveexec_b64 s[6:7], s[4:5]
	s_cbranch_execz .LBB58_1156
.LBB58_1155:
	v_and_b32_e32 v10, 7, v6
	v_ffbh_u32_e32 v12, v10
	v_min_u32_e32 v12, 32, v12
	v_lshrrev_b16_e32 v11, 3, v6
	v_subrev_u32_e32 v13, 28, v12
	v_and_b32_e32 v11, 15, v11
	v_lshlrev_b32_e32 v13, v13, v6
	v_sub_u32_e32 v12, 29, v12
	v_and_b32_e32 v13, 7, v13
	v_cmp_eq_u16_e32 vcc, 0, v11
	v_cndmask_b32_e32 v10, v10, v13, vcc
	v_cndmask_b32_e32 v11, v11, v12, vcc
	v_lshlrev_b32_e32 v12, 24, v6
	v_mov_b32_e32 v13, 0x3b800000
	v_lshlrev_b32_e32 v10, 20, v10
	v_and_b32_e32 v12, 0x80000000, v12
	v_lshl_add_u32 v11, v11, 23, v13
	v_or3_b32 v10, v12, v11, v10
.LBB58_1156:
	s_or_b64 exec, exec, s[6:7]
	s_movk_i32 s4, 0x7f
	v_cmp_gt_i16_sdwa s[6:7], v2, s4 src0_sel:BYTE_0 src1_sel:DWORD
	s_mov_b64 s[4:5], 0
                                        ; implicit-def: $sgpr10
	s_and_saveexec_b64 s[8:9], s[6:7]
	s_xor_b64 s[6:7], exec, s[8:9]
	s_cbranch_execnz .LBB58_3205
; %bb.1157:
	s_or_saveexec_b64 s[6:7], s[6:7]
	v_mov_b32_e32 v11, s10
	s_xor_b64 exec, exec, s[6:7]
	s_cbranch_execnz .LBB58_3208
.LBB58_1158:
	s_or_b64 exec, exec, s[6:7]
	s_and_saveexec_b64 s[6:7], s[4:5]
	s_cbranch_execz .LBB58_1160
.LBB58_1159:
	v_and_b32_e32 v11, 7, v2
	v_ffbh_u32_e32 v13, v11
	v_min_u32_e32 v13, 32, v13
	v_lshrrev_b16_e32 v12, 3, v2
	v_subrev_u32_e32 v14, 28, v13
	v_and_b32_e32 v12, 15, v12
	v_lshlrev_b32_e32 v14, v14, v2
	v_sub_u32_e32 v13, 29, v13
	v_and_b32_e32 v14, 7, v14
	v_cmp_eq_u16_e32 vcc, 0, v12
	v_cndmask_b32_e32 v11, v11, v14, vcc
	v_cndmask_b32_e32 v12, v12, v13, vcc
	v_lshlrev_b32_e32 v13, 24, v2
	v_mov_b32_e32 v14, 0x3b800000
	v_lshlrev_b32_e32 v11, 20, v11
	v_and_b32_e32 v13, 0x80000000, v13
	v_lshl_add_u32 v12, v12, 23, v14
	v_or3_b32 v11, v13, v12, v11
.LBB58_1160:
	s_or_b64 exec, exec, s[6:7]
	s_nop 0
	v_mfma_f32_16x16x4f32 a[0:3], v10, v11, a[0:3]
	v_lshrrev_b32_e32 v11, 8, v6
	s_movk_i32 s4, 0x7f
	v_cmp_gt_i16_sdwa s[6:7], v11, s4 src0_sel:BYTE_0 src1_sel:DWORD
	s_mov_b64 s[4:5], 0
                                        ; implicit-def: $sgpr10
	s_and_saveexec_b64 s[8:9], s[6:7]
	s_xor_b64 s[6:7], exec, s[8:9]
	s_cbranch_execnz .LBB58_3209
; %bb.1161:
	s_or_saveexec_b64 s[6:7], s[6:7]
	v_mov_b32_e32 v10, s10
	s_xor_b64 exec, exec, s[6:7]
	s_cbranch_execnz .LBB58_3212
.LBB58_1162:
	s_or_b64 exec, exec, s[6:7]
	s_and_saveexec_b64 s[6:7], s[4:5]
	s_cbranch_execz .LBB58_1164
.LBB58_1163:
	v_bfe_u32 v10, v6, 8, 3
	v_ffbh_u32_e32 v13, v10
	v_min_u32_e32 v13, 32, v13
	v_lshrrev_b16_e32 v12, 3, v11
	v_subrev_u32_e32 v14, 28, v13
	v_and_b32_e32 v12, 15, v12
	v_lshlrev_b32_e32 v11, v14, v11
	v_sub_u32_e32 v13, 29, v13
	v_and_b32_e32 v11, 7, v11
	v_cmp_eq_u16_e32 vcc, 0, v12
	v_cndmask_b32_e32 v10, v10, v11, vcc
	v_cndmask_b32_e32 v11, v12, v13, vcc
	v_lshlrev_b32_e32 v12, 16, v6
	v_mov_b32_e32 v13, 0x3b800000
	v_lshlrev_b32_e32 v10, 20, v10
	v_and_b32_e32 v12, 0x80000000, v12
	v_lshl_add_u32 v11, v11, 23, v13
	v_or3_b32 v10, v12, v11, v10
.LBB58_1164:
	s_or_b64 exec, exec, s[6:7]
	v_lshrrev_b32_e32 v11, 8, v2
	s_movk_i32 s4, 0x7f
	v_cmp_gt_i16_sdwa s[6:7], v11, s4 src0_sel:BYTE_0 src1_sel:DWORD
	s_mov_b64 s[4:5], 0
                                        ; implicit-def: $sgpr10
	s_and_saveexec_b64 s[8:9], s[6:7]
	s_xor_b64 s[6:7], exec, s[8:9]
	s_cbranch_execnz .LBB58_3213
; %bb.1165:
	s_or_saveexec_b64 s[6:7], s[6:7]
	v_mov_b32_e32 v12, s10
	s_xor_b64 exec, exec, s[6:7]
	s_cbranch_execnz .LBB58_3216
.LBB58_1166:
	s_or_b64 exec, exec, s[6:7]
	s_and_saveexec_b64 s[6:7], s[4:5]
	s_cbranch_execz .LBB58_1168
.LBB58_1167:
	v_bfe_u32 v12, v2, 8, 3
	v_ffbh_u32_e32 v14, v12
	v_min_u32_e32 v14, 32, v14
	v_lshrrev_b16_e32 v13, 3, v11
	v_subrev_u32_e32 v15, 28, v14
	v_and_b32_e32 v13, 15, v13
	v_lshlrev_b32_e32 v11, v15, v11
	v_sub_u32_e32 v14, 29, v14
	v_and_b32_e32 v11, 7, v11
	v_cmp_eq_u16_e32 vcc, 0, v13
	v_cndmask_b32_e32 v11, v12, v11, vcc
	v_cndmask_b32_e32 v12, v13, v14, vcc
	v_lshlrev_b32_e32 v13, 16, v2
	v_mov_b32_e32 v14, 0x3b800000
	v_lshlrev_b32_e32 v11, 20, v11
	v_and_b32_e32 v13, 0x80000000, v13
	v_lshl_add_u32 v12, v12, 23, v14
	v_or3_b32 v12, v13, v12, v11
.LBB58_1168:
	s_or_b64 exec, exec, s[6:7]
	s_nop 0
	v_mfma_f32_16x16x4f32 a[0:3], v10, v12, a[0:3]
	s_movk_i32 s4, 0xff
	v_and_b32_sdwa v11, v6, s4 dst_sel:DWORD dst_unused:UNUSED_PAD src0_sel:WORD_1 src1_sel:DWORD
	s_movk_i32 s4, 0x7f
	v_cmp_lt_i16_e32 vcc, s4, v11
	s_mov_b64 s[4:5], 0
                                        ; implicit-def: $sgpr10
	s_and_saveexec_b64 s[6:7], vcc
	s_xor_b64 s[6:7], exec, s[6:7]
	s_cbranch_execnz .LBB58_3217
; %bb.1169:
	s_or_saveexec_b64 s[6:7], s[6:7]
	v_mov_b32_e32 v10, s10
	s_xor_b64 exec, exec, s[6:7]
	s_cbranch_execnz .LBB58_3220
.LBB58_1170:
	s_or_b64 exec, exec, s[6:7]
	s_and_saveexec_b64 s[6:7], s[4:5]
	s_cbranch_execz .LBB58_1172
.LBB58_1171:
	v_bfe_u32 v10, v6, 16, 3
	v_ffbh_u32_e32 v13, v10
	v_min_u32_e32 v13, 32, v13
	v_lshrrev_b32_e32 v11, 19, v6
	v_subrev_u32_e32 v14, 28, v13
	v_and_b32_e32 v11, 15, v11
	v_lshlrev_b32_sdwa v14, v14, v6 dst_sel:DWORD dst_unused:UNUSED_PAD src0_sel:DWORD src1_sel:WORD_1
	v_bfe_u32 v12, v6, 19, 4
	v_sub_u32_e32 v13, 29, v13
	v_and_b32_e32 v14, 7, v14
	v_cmp_eq_u16_e32 vcc, 0, v11
	v_cndmask_b32_e32 v10, v10, v14, vcc
	v_cndmask_b32_e32 v11, v12, v13, vcc
	v_lshlrev_b32_e32 v12, 8, v6
	v_mov_b32_e32 v13, 0x3b800000
	v_lshlrev_b32_e32 v10, 20, v10
	v_and_b32_e32 v12, 0x80000000, v12
	v_lshl_add_u32 v11, v11, 23, v13
	v_or3_b32 v10, v12, v11, v10
.LBB58_1172:
	s_or_b64 exec, exec, s[6:7]
	s_movk_i32 s4, 0xff
	v_and_b32_sdwa v11, v2, s4 dst_sel:DWORD dst_unused:UNUSED_PAD src0_sel:WORD_1 src1_sel:DWORD
	s_movk_i32 s4, 0x7f
	v_cmp_lt_i16_e32 vcc, s4, v11
	s_mov_b64 s[4:5], 0
                                        ; implicit-def: $sgpr10
	s_and_saveexec_b64 s[6:7], vcc
	s_xor_b64 s[6:7], exec, s[6:7]
	s_cbranch_execnz .LBB58_3221
; %bb.1173:
	s_or_saveexec_b64 s[6:7], s[6:7]
	v_mov_b32_e32 v12, s10
	s_xor_b64 exec, exec, s[6:7]
	s_cbranch_execnz .LBB58_3224
.LBB58_1174:
	s_or_b64 exec, exec, s[6:7]
	s_and_saveexec_b64 s[6:7], s[4:5]
	s_cbranch_execz .LBB58_1176
.LBB58_1175:
	v_bfe_u32 v11, v2, 16, 3
	v_ffbh_u32_e32 v14, v11
	v_min_u32_e32 v14, 32, v14
	v_lshrrev_b32_e32 v12, 19, v2
	v_subrev_u32_e32 v15, 28, v14
	v_and_b32_e32 v12, 15, v12
	v_lshlrev_b32_sdwa v15, v15, v2 dst_sel:DWORD dst_unused:UNUSED_PAD src0_sel:DWORD src1_sel:WORD_1
	v_bfe_u32 v13, v2, 19, 4
	v_sub_u32_e32 v14, 29, v14
	v_and_b32_e32 v15, 7, v15
	v_cmp_eq_u16_e32 vcc, 0, v12
	v_cndmask_b32_e32 v11, v11, v15, vcc
	v_cndmask_b32_e32 v12, v13, v14, vcc
	v_lshlrev_b32_e32 v13, 8, v2
	v_mov_b32_e32 v14, 0x3b800000
	v_lshlrev_b32_e32 v11, 20, v11
	v_and_b32_e32 v13, 0x80000000, v13
	v_lshl_add_u32 v12, v12, 23, v14
	v_or3_b32 v12, v13, v12, v11
.LBB58_1176:
	s_or_b64 exec, exec, s[6:7]
	s_nop 0
	v_mfma_f32_16x16x4f32 a[0:3], v10, v12, a[0:3]
	s_movk_i32 s4, 0x7f
	v_cmp_gt_i16_sdwa s[6:7], v6, s4 src0_sel:BYTE_3 src1_sel:DWORD
	s_mov_b64 s[4:5], 0
                                        ; implicit-def: $sgpr10
	s_and_saveexec_b64 s[8:9], s[6:7]
	s_xor_b64 s[6:7], exec, s[8:9]
	s_cbranch_execnz .LBB58_3225
; %bb.1177:
	s_or_saveexec_b64 s[6:7], s[6:7]
	v_mov_b32_e32 v10, s10
	s_xor_b64 exec, exec, s[6:7]
	s_cbranch_execnz .LBB58_3228
.LBB58_1178:
	s_or_b64 exec, exec, s[6:7]
	s_and_saveexec_b64 s[6:7], s[4:5]
	s_cbranch_execz .LBB58_1180
.LBB58_1179:
	v_bfe_u32 v10, v6, 24, 3
	v_ffbh_u32_e32 v14, v10
	v_min_u32_e32 v14, 32, v14
	v_lshrrev_b32_e32 v12, 27, v6
	v_subrev_u32_e32 v15, 28, v14
	v_and_b32_e32 v11, 0x80000000, v6
	v_and_b32_e32 v12, 15, v12
	v_bfe_u32 v13, v6, 27, 4
	v_lshlrev_b32_sdwa v6, v15, v6 dst_sel:DWORD dst_unused:UNUSED_PAD src0_sel:DWORD src1_sel:BYTE_3
	v_sub_u32_e32 v14, 29, v14
	v_and_b32_e32 v6, 7, v6
	v_cmp_eq_u16_e32 vcc, 0, v12
	v_cndmask_b32_e32 v6, v10, v6, vcc
	v_cndmask_b32_e32 v10, v13, v14, vcc
	v_mov_b32_e32 v12, 0x3b800000
	v_lshlrev_b32_e32 v6, 20, v6
	v_lshl_add_u32 v10, v10, 23, v12
	v_or3_b32 v10, v11, v10, v6
.LBB58_1180:
	s_or_b64 exec, exec, s[6:7]
	s_movk_i32 s4, 0x7f
	v_cmp_gt_i16_sdwa s[6:7], v2, s4 src0_sel:BYTE_3 src1_sel:DWORD
	s_mov_b64 s[4:5], 0
                                        ; implicit-def: $sgpr10
	s_and_saveexec_b64 s[8:9], s[6:7]
	s_xor_b64 s[6:7], exec, s[8:9]
	s_cbranch_execnz .LBB58_3229
; %bb.1181:
	s_or_saveexec_b64 s[6:7], s[6:7]
	v_mov_b32_e32 v6, s10
	s_xor_b64 exec, exec, s[6:7]
	s_cbranch_execnz .LBB58_3232
.LBB58_1182:
	s_or_b64 exec, exec, s[6:7]
	s_and_saveexec_b64 s[6:7], s[4:5]
	s_cbranch_execz .LBB58_1184
.LBB58_1183:
	v_bfe_u32 v6, v2, 24, 3
	v_ffbh_u32_e32 v14, v6
	v_min_u32_e32 v14, 32, v14
	v_lshrrev_b32_e32 v12, 27, v2
	v_subrev_u32_e32 v15, 28, v14
	v_and_b32_e32 v11, 0x80000000, v2
	v_and_b32_e32 v12, 15, v12
	v_bfe_u32 v13, v2, 27, 4
	v_lshlrev_b32_sdwa v2, v15, v2 dst_sel:DWORD dst_unused:UNUSED_PAD src0_sel:DWORD src1_sel:BYTE_3
	v_sub_u32_e32 v14, 29, v14
	v_and_b32_e32 v2, 7, v2
	v_cmp_eq_u16_e32 vcc, 0, v12
	v_cndmask_b32_e32 v2, v6, v2, vcc
	v_cndmask_b32_e32 v6, v13, v14, vcc
	v_mov_b32_e32 v12, 0x3b800000
	v_lshlrev_b32_e32 v2, 20, v2
	v_lshl_add_u32 v6, v6, 23, v12
	v_or3_b32 v6, v11, v6, v2
.LBB58_1184:
	s_or_b64 exec, exec, s[6:7]
	s_nop 0
	v_mfma_f32_16x16x4f32 a[0:3], v10, v6, a[0:3]
	s_movk_i32 s4, 0x7f
	v_cmp_gt_i16_sdwa s[6:7], v7, s4 src0_sel:BYTE_0 src1_sel:DWORD
	s_mov_b64 s[4:5], 0
                                        ; implicit-def: $sgpr10
	s_and_saveexec_b64 s[8:9], s[6:7]
	s_xor_b64 s[6:7], exec, s[8:9]
	s_cbranch_execnz .LBB58_3233
; %bb.1185:
	s_or_saveexec_b64 s[6:7], s[6:7]
	v_mov_b32_e32 v2, s10
	s_xor_b64 exec, exec, s[6:7]
	s_cbranch_execnz .LBB58_3236
.LBB58_1186:
	s_or_b64 exec, exec, s[6:7]
	s_and_saveexec_b64 s[6:7], s[4:5]
	s_cbranch_execz .LBB58_1188
.LBB58_1187:
	v_and_b32_e32 v2, 7, v7
	v_ffbh_u32_e32 v10, v2
	v_min_u32_e32 v10, 32, v10
	v_lshrrev_b16_e32 v6, 3, v7
	v_subrev_u32_e32 v11, 28, v10
	v_and_b32_e32 v6, 15, v6
	v_lshlrev_b32_e32 v11, v11, v7
	v_sub_u32_e32 v10, 29, v10
	v_and_b32_e32 v11, 7, v11
	v_cmp_eq_u16_e32 vcc, 0, v6
	v_cndmask_b32_e32 v2, v2, v11, vcc
	v_cndmask_b32_e32 v6, v6, v10, vcc
	v_lshlrev_b32_e32 v10, 24, v7
	v_mov_b32_e32 v11, 0x3b800000
	v_lshlrev_b32_e32 v2, 20, v2
	v_and_b32_e32 v10, 0x80000000, v10
	v_lshl_add_u32 v6, v6, 23, v11
	v_or3_b32 v2, v10, v6, v2
.LBB58_1188:
	s_or_b64 exec, exec, s[6:7]
	s_movk_i32 s4, 0x7f
	v_cmp_gt_i16_sdwa s[6:7], v3, s4 src0_sel:BYTE_0 src1_sel:DWORD
	s_mov_b64 s[4:5], 0
                                        ; implicit-def: $sgpr10
	s_and_saveexec_b64 s[8:9], s[6:7]
	s_xor_b64 s[6:7], exec, s[8:9]
	s_cbranch_execnz .LBB58_3237
; %bb.1189:
	s_or_saveexec_b64 s[6:7], s[6:7]
	v_mov_b32_e32 v6, s10
	s_xor_b64 exec, exec, s[6:7]
	s_cbranch_execnz .LBB58_3240
.LBB58_1190:
	s_or_b64 exec, exec, s[6:7]
	s_and_saveexec_b64 s[6:7], s[4:5]
	s_cbranch_execz .LBB58_1192
.LBB58_1191:
	v_and_b32_e32 v6, 7, v3
	v_ffbh_u32_e32 v11, v6
	v_min_u32_e32 v11, 32, v11
	v_lshrrev_b16_e32 v10, 3, v3
	v_subrev_u32_e32 v12, 28, v11
	v_and_b32_e32 v10, 15, v10
	v_lshlrev_b32_e32 v12, v12, v3
	v_sub_u32_e32 v11, 29, v11
	v_and_b32_e32 v12, 7, v12
	v_cmp_eq_u16_e32 vcc, 0, v10
	v_cndmask_b32_e32 v6, v6, v12, vcc
	v_cndmask_b32_e32 v10, v10, v11, vcc
	v_lshlrev_b32_e32 v11, 24, v3
	v_mov_b32_e32 v12, 0x3b800000
	v_lshlrev_b32_e32 v6, 20, v6
	v_and_b32_e32 v11, 0x80000000, v11
	v_lshl_add_u32 v10, v10, 23, v12
	v_or3_b32 v6, v11, v10, v6
.LBB58_1192:
	s_or_b64 exec, exec, s[6:7]
	s_nop 0
	v_mfma_f32_16x16x4f32 a[0:3], v2, v6, a[0:3]
	v_lshrrev_b32_e32 v6, 8, v7
	s_movk_i32 s4, 0x7f
	v_cmp_gt_i16_sdwa s[6:7], v6, s4 src0_sel:BYTE_0 src1_sel:DWORD
	s_mov_b64 s[4:5], 0
                                        ; implicit-def: $sgpr10
	s_and_saveexec_b64 s[8:9], s[6:7]
	s_xor_b64 s[6:7], exec, s[8:9]
	s_cbranch_execnz .LBB58_3241
; %bb.1193:
	s_or_saveexec_b64 s[6:7], s[6:7]
	v_mov_b32_e32 v2, s10
	s_xor_b64 exec, exec, s[6:7]
	s_cbranch_execnz .LBB58_3244
.LBB58_1194:
	s_or_b64 exec, exec, s[6:7]
	s_and_saveexec_b64 s[6:7], s[4:5]
	s_cbranch_execz .LBB58_1196
.LBB58_1195:
	v_bfe_u32 v2, v7, 8, 3
	v_ffbh_u32_e32 v11, v2
	v_min_u32_e32 v11, 32, v11
	v_lshrrev_b16_e32 v10, 3, v6
	v_subrev_u32_e32 v12, 28, v11
	v_and_b32_e32 v10, 15, v10
	v_lshlrev_b32_e32 v6, v12, v6
	v_sub_u32_e32 v11, 29, v11
	v_and_b32_e32 v6, 7, v6
	v_cmp_eq_u16_e32 vcc, 0, v10
	v_cndmask_b32_e32 v2, v2, v6, vcc
	v_cndmask_b32_e32 v6, v10, v11, vcc
	v_lshlrev_b32_e32 v10, 16, v7
	v_mov_b32_e32 v11, 0x3b800000
	v_lshlrev_b32_e32 v2, 20, v2
	v_and_b32_e32 v10, 0x80000000, v10
	v_lshl_add_u32 v6, v6, 23, v11
	v_or3_b32 v2, v10, v6, v2
.LBB58_1196:
	s_or_b64 exec, exec, s[6:7]
	v_lshrrev_b32_e32 v6, 8, v3
	s_movk_i32 s4, 0x7f
	v_cmp_gt_i16_sdwa s[6:7], v6, s4 src0_sel:BYTE_0 src1_sel:DWORD
	s_mov_b64 s[4:5], 0
                                        ; implicit-def: $sgpr10
	s_and_saveexec_b64 s[8:9], s[6:7]
	s_xor_b64 s[6:7], exec, s[8:9]
	s_cbranch_execnz .LBB58_3245
; %bb.1197:
	s_or_saveexec_b64 s[6:7], s[6:7]
	v_mov_b32_e32 v10, s10
	s_xor_b64 exec, exec, s[6:7]
	s_cbranch_execnz .LBB58_3248
.LBB58_1198:
	s_or_b64 exec, exec, s[6:7]
	s_and_saveexec_b64 s[6:7], s[4:5]
	s_cbranch_execz .LBB58_1200
.LBB58_1199:
	v_bfe_u32 v10, v3, 8, 3
	v_ffbh_u32_e32 v12, v10
	v_min_u32_e32 v12, 32, v12
	v_lshrrev_b16_e32 v11, 3, v6
	v_subrev_u32_e32 v13, 28, v12
	v_and_b32_e32 v11, 15, v11
	v_lshlrev_b32_e32 v6, v13, v6
	v_sub_u32_e32 v12, 29, v12
	v_and_b32_e32 v6, 7, v6
	v_cmp_eq_u16_e32 vcc, 0, v11
	v_cndmask_b32_e32 v6, v10, v6, vcc
	v_cndmask_b32_e32 v10, v11, v12, vcc
	v_lshlrev_b32_e32 v11, 16, v3
	v_mov_b32_e32 v12, 0x3b800000
	v_lshlrev_b32_e32 v6, 20, v6
	v_and_b32_e32 v11, 0x80000000, v11
	v_lshl_add_u32 v10, v10, 23, v12
	v_or3_b32 v10, v11, v10, v6
.LBB58_1200:
	s_or_b64 exec, exec, s[6:7]
	s_nop 0
	v_mfma_f32_16x16x4f32 a[0:3], v2, v10, a[0:3]
	s_movk_i32 s4, 0xff
	v_and_b32_sdwa v6, v7, s4 dst_sel:DWORD dst_unused:UNUSED_PAD src0_sel:WORD_1 src1_sel:DWORD
	s_movk_i32 s4, 0x7f
	v_cmp_lt_i16_e32 vcc, s4, v6
	s_mov_b64 s[4:5], 0
                                        ; implicit-def: $sgpr10
	s_and_saveexec_b64 s[6:7], vcc
	s_xor_b64 s[6:7], exec, s[6:7]
	s_cbranch_execnz .LBB58_3249
; %bb.1201:
	s_or_saveexec_b64 s[6:7], s[6:7]
	v_mov_b32_e32 v2, s10
	s_xor_b64 exec, exec, s[6:7]
	s_cbranch_execnz .LBB58_3252
.LBB58_1202:
	s_or_b64 exec, exec, s[6:7]
	s_and_saveexec_b64 s[6:7], s[4:5]
	s_cbranch_execz .LBB58_1204
.LBB58_1203:
	v_bfe_u32 v2, v7, 16, 3
	v_ffbh_u32_e32 v11, v2
	v_min_u32_e32 v11, 32, v11
	v_lshrrev_b32_e32 v6, 19, v7
	v_subrev_u32_e32 v12, 28, v11
	v_and_b32_e32 v6, 15, v6
	v_lshlrev_b32_sdwa v12, v12, v7 dst_sel:DWORD dst_unused:UNUSED_PAD src0_sel:DWORD src1_sel:WORD_1
	v_bfe_u32 v10, v7, 19, 4
	v_sub_u32_e32 v11, 29, v11
	v_and_b32_e32 v12, 7, v12
	v_cmp_eq_u16_e32 vcc, 0, v6
	v_cndmask_b32_e32 v2, v2, v12, vcc
	v_cndmask_b32_e32 v6, v10, v11, vcc
	v_lshlrev_b32_e32 v10, 8, v7
	v_mov_b32_e32 v11, 0x3b800000
	v_lshlrev_b32_e32 v2, 20, v2
	v_and_b32_e32 v10, 0x80000000, v10
	v_lshl_add_u32 v6, v6, 23, v11
	v_or3_b32 v2, v10, v6, v2
.LBB58_1204:
	s_or_b64 exec, exec, s[6:7]
	s_movk_i32 s4, 0xff
	v_and_b32_sdwa v6, v3, s4 dst_sel:DWORD dst_unused:UNUSED_PAD src0_sel:WORD_1 src1_sel:DWORD
	s_movk_i32 s4, 0x7f
	v_cmp_lt_i16_e32 vcc, s4, v6
	s_mov_b64 s[4:5], 0
                                        ; implicit-def: $sgpr10
	s_and_saveexec_b64 s[6:7], vcc
	s_xor_b64 s[6:7], exec, s[6:7]
	s_cbranch_execnz .LBB58_3253
; %bb.1205:
	s_or_saveexec_b64 s[6:7], s[6:7]
	v_mov_b32_e32 v10, s10
	s_xor_b64 exec, exec, s[6:7]
	s_cbranch_execnz .LBB58_3256
.LBB58_1206:
	s_or_b64 exec, exec, s[6:7]
	s_and_saveexec_b64 s[6:7], s[4:5]
	s_cbranch_execz .LBB58_1208
.LBB58_1207:
	v_bfe_u32 v6, v3, 16, 3
	v_ffbh_u32_e32 v12, v6
	v_min_u32_e32 v12, 32, v12
	v_lshrrev_b32_e32 v10, 19, v3
	v_subrev_u32_e32 v13, 28, v12
	v_and_b32_e32 v10, 15, v10
	v_lshlrev_b32_sdwa v13, v13, v3 dst_sel:DWORD dst_unused:UNUSED_PAD src0_sel:DWORD src1_sel:WORD_1
	v_bfe_u32 v11, v3, 19, 4
	v_sub_u32_e32 v12, 29, v12
	v_and_b32_e32 v13, 7, v13
	v_cmp_eq_u16_e32 vcc, 0, v10
	v_cndmask_b32_e32 v6, v6, v13, vcc
	v_cndmask_b32_e32 v10, v11, v12, vcc
	v_lshlrev_b32_e32 v11, 8, v3
	v_mov_b32_e32 v12, 0x3b800000
	v_lshlrev_b32_e32 v6, 20, v6
	v_and_b32_e32 v11, 0x80000000, v11
	v_lshl_add_u32 v10, v10, 23, v12
	v_or3_b32 v10, v11, v10, v6
.LBB58_1208:
	s_or_b64 exec, exec, s[6:7]
	s_nop 0
	v_mfma_f32_16x16x4f32 a[0:3], v2, v10, a[0:3]
	s_movk_i32 s4, 0x7f
	v_cmp_gt_i16_sdwa s[6:7], v7, s4 src0_sel:BYTE_3 src1_sel:DWORD
	s_mov_b64 s[4:5], 0
                                        ; implicit-def: $sgpr10
	s_and_saveexec_b64 s[8:9], s[6:7]
	s_xor_b64 s[6:7], exec, s[8:9]
	s_cbranch_execnz .LBB58_3257
; %bb.1209:
	s_or_saveexec_b64 s[6:7], s[6:7]
	v_mov_b32_e32 v2, s10
	s_xor_b64 exec, exec, s[6:7]
	s_cbranch_execnz .LBB58_3260
.LBB58_1210:
	s_or_b64 exec, exec, s[6:7]
	s_and_saveexec_b64 s[6:7], s[4:5]
	s_cbranch_execz .LBB58_1212
.LBB58_1211:
	v_bfe_u32 v2, v7, 24, 3
	v_ffbh_u32_e32 v12, v2
	v_min_u32_e32 v12, 32, v12
	v_lshrrev_b32_e32 v10, 27, v7
	v_subrev_u32_e32 v13, 28, v12
	v_and_b32_e32 v6, 0x80000000, v7
	v_and_b32_e32 v10, 15, v10
	v_bfe_u32 v11, v7, 27, 4
	v_lshlrev_b32_sdwa v7, v13, v7 dst_sel:DWORD dst_unused:UNUSED_PAD src0_sel:DWORD src1_sel:BYTE_3
	v_sub_u32_e32 v12, 29, v12
	v_and_b32_e32 v7, 7, v7
	v_cmp_eq_u16_e32 vcc, 0, v10
	v_cndmask_b32_e32 v2, v2, v7, vcc
	v_cndmask_b32_e32 v7, v11, v12, vcc
	v_mov_b32_e32 v10, 0x3b800000
	v_lshlrev_b32_e32 v2, 20, v2
	v_lshl_add_u32 v7, v7, 23, v10
	v_or3_b32 v2, v6, v7, v2
.LBB58_1212:
	s_or_b64 exec, exec, s[6:7]
	s_movk_i32 s4, 0x7f
	v_cmp_gt_i16_sdwa s[6:7], v3, s4 src0_sel:BYTE_3 src1_sel:DWORD
	s_mov_b64 s[4:5], 0
                                        ; implicit-def: $sgpr10
	s_and_saveexec_b64 s[8:9], s[6:7]
	s_xor_b64 s[6:7], exec, s[8:9]
	s_cbranch_execnz .LBB58_3261
; %bb.1213:
	s_or_saveexec_b64 s[6:7], s[6:7]
	v_mov_b32_e32 v6, s10
	s_xor_b64 exec, exec, s[6:7]
	s_cbranch_execnz .LBB58_3264
.LBB58_1214:
	s_or_b64 exec, exec, s[6:7]
	s_and_saveexec_b64 s[6:7], s[4:5]
	s_cbranch_execz .LBB58_1216
.LBB58_1215:
	v_bfe_u32 v6, v3, 24, 3
	v_ffbh_u32_e32 v12, v6
	v_min_u32_e32 v12, 32, v12
	v_lshrrev_b32_e32 v10, 27, v3
	v_subrev_u32_e32 v13, 28, v12
	v_and_b32_e32 v7, 0x80000000, v3
	v_and_b32_e32 v10, 15, v10
	v_bfe_u32 v11, v3, 27, 4
	v_lshlrev_b32_sdwa v3, v13, v3 dst_sel:DWORD dst_unused:UNUSED_PAD src0_sel:DWORD src1_sel:BYTE_3
	v_sub_u32_e32 v12, 29, v12
	v_and_b32_e32 v3, 7, v3
	v_cmp_eq_u16_e32 vcc, 0, v10
	v_cndmask_b32_e32 v3, v6, v3, vcc
	v_cndmask_b32_e32 v6, v11, v12, vcc
	v_mov_b32_e32 v10, 0x3b800000
	v_lshlrev_b32_e32 v3, 20, v3
	v_lshl_add_u32 v6, v6, 23, v10
	v_or3_b32 v6, v7, v6, v3
.LBB58_1216:
	s_or_b64 exec, exec, s[6:7]
	s_nop 0
	v_mfma_f32_16x16x4f32 a[0:3], v2, v6, a[0:3]
	s_movk_i32 s4, 0x7f
	v_cmp_gt_i16_sdwa s[6:7], v8, s4 src0_sel:BYTE_0 src1_sel:DWORD
	s_mov_b64 s[4:5], 0
                                        ; implicit-def: $sgpr10
	s_and_saveexec_b64 s[8:9], s[6:7]
	s_xor_b64 s[6:7], exec, s[8:9]
	s_cbranch_execnz .LBB58_3265
; %bb.1217:
	s_or_saveexec_b64 s[6:7], s[6:7]
	v_mov_b32_e32 v2, s10
	s_xor_b64 exec, exec, s[6:7]
	s_cbranch_execnz .LBB58_3268
.LBB58_1218:
	s_or_b64 exec, exec, s[6:7]
	s_and_saveexec_b64 s[6:7], s[4:5]
	s_cbranch_execz .LBB58_1220
.LBB58_1219:
	v_and_b32_e32 v2, 7, v8
	v_ffbh_u32_e32 v6, v2
	v_min_u32_e32 v6, 32, v6
	v_lshrrev_b16_e32 v3, 3, v8
	v_subrev_u32_e32 v7, 28, v6
	v_and_b32_e32 v3, 15, v3
	v_lshlrev_b32_e32 v7, v7, v8
	v_sub_u32_e32 v6, 29, v6
	v_and_b32_e32 v7, 7, v7
	v_cmp_eq_u16_e32 vcc, 0, v3
	v_cndmask_b32_e32 v2, v2, v7, vcc
	v_cndmask_b32_e32 v3, v3, v6, vcc
	v_lshlrev_b32_e32 v6, 24, v8
	v_mov_b32_e32 v7, 0x3b800000
	v_lshlrev_b32_e32 v2, 20, v2
	v_and_b32_e32 v6, 0x80000000, v6
	v_lshl_add_u32 v3, v3, 23, v7
	v_or3_b32 v2, v6, v3, v2
.LBB58_1220:
	s_or_b64 exec, exec, s[6:7]
	s_movk_i32 s4, 0x7f
	v_cmp_gt_i16_sdwa s[6:7], v4, s4 src0_sel:BYTE_0 src1_sel:DWORD
	s_mov_b64 s[4:5], 0
                                        ; implicit-def: $sgpr10
	s_and_saveexec_b64 s[8:9], s[6:7]
	s_xor_b64 s[6:7], exec, s[8:9]
	s_cbranch_execnz .LBB58_3269
; %bb.1221:
	s_or_saveexec_b64 s[6:7], s[6:7]
	v_mov_b32_e32 v3, s10
	s_xor_b64 exec, exec, s[6:7]
	s_cbranch_execnz .LBB58_3272
.LBB58_1222:
	s_or_b64 exec, exec, s[6:7]
	s_and_saveexec_b64 s[6:7], s[4:5]
	s_cbranch_execz .LBB58_1224
.LBB58_1223:
	v_and_b32_e32 v3, 7, v4
	v_ffbh_u32_e32 v7, v3
	v_min_u32_e32 v7, 32, v7
	v_lshrrev_b16_e32 v6, 3, v4
	v_subrev_u32_e32 v10, 28, v7
	v_and_b32_e32 v6, 15, v6
	v_lshlrev_b32_e32 v10, v10, v4
	v_sub_u32_e32 v7, 29, v7
	v_and_b32_e32 v10, 7, v10
	v_cmp_eq_u16_e32 vcc, 0, v6
	v_cndmask_b32_e32 v3, v3, v10, vcc
	v_cndmask_b32_e32 v6, v6, v7, vcc
	v_lshlrev_b32_e32 v7, 24, v4
	v_mov_b32_e32 v10, 0x3b800000
	v_lshlrev_b32_e32 v3, 20, v3
	v_and_b32_e32 v7, 0x80000000, v7
	v_lshl_add_u32 v6, v6, 23, v10
	v_or3_b32 v3, v7, v6, v3
.LBB58_1224:
	s_or_b64 exec, exec, s[6:7]
	s_nop 0
	v_mfma_f32_16x16x4f32 a[0:3], v2, v3, a[0:3]
	v_lshrrev_b32_e32 v3, 8, v8
	s_movk_i32 s4, 0x7f
	v_cmp_gt_i16_sdwa s[6:7], v3, s4 src0_sel:BYTE_0 src1_sel:DWORD
	s_mov_b64 s[4:5], 0
                                        ; implicit-def: $sgpr10
	s_and_saveexec_b64 s[8:9], s[6:7]
	s_xor_b64 s[6:7], exec, s[8:9]
	s_cbranch_execnz .LBB58_3273
; %bb.1225:
	s_or_saveexec_b64 s[6:7], s[6:7]
	v_mov_b32_e32 v2, s10
	s_xor_b64 exec, exec, s[6:7]
	s_cbranch_execnz .LBB58_3276
.LBB58_1226:
	s_or_b64 exec, exec, s[6:7]
	s_and_saveexec_b64 s[6:7], s[4:5]
	s_cbranch_execz .LBB58_1228
.LBB58_1227:
	v_bfe_u32 v2, v8, 8, 3
	v_ffbh_u32_e32 v7, v2
	v_min_u32_e32 v7, 32, v7
	v_lshrrev_b16_e32 v6, 3, v3
	v_subrev_u32_e32 v10, 28, v7
	v_and_b32_e32 v6, 15, v6
	v_lshlrev_b32_e32 v3, v10, v3
	v_sub_u32_e32 v7, 29, v7
	v_and_b32_e32 v3, 7, v3
	v_cmp_eq_u16_e32 vcc, 0, v6
	v_cndmask_b32_e32 v2, v2, v3, vcc
	v_cndmask_b32_e32 v3, v6, v7, vcc
	v_lshlrev_b32_e32 v6, 16, v8
	v_mov_b32_e32 v7, 0x3b800000
	v_lshlrev_b32_e32 v2, 20, v2
	v_and_b32_e32 v6, 0x80000000, v6
	v_lshl_add_u32 v3, v3, 23, v7
	v_or3_b32 v2, v6, v3, v2
.LBB58_1228:
	s_or_b64 exec, exec, s[6:7]
	v_lshrrev_b32_e32 v3, 8, v4
	s_movk_i32 s4, 0x7f
	v_cmp_gt_i16_sdwa s[6:7], v3, s4 src0_sel:BYTE_0 src1_sel:DWORD
	s_mov_b64 s[4:5], 0
                                        ; implicit-def: $sgpr10
	s_and_saveexec_b64 s[8:9], s[6:7]
	s_xor_b64 s[6:7], exec, s[8:9]
	s_cbranch_execnz .LBB58_3277
; %bb.1229:
	s_or_saveexec_b64 s[6:7], s[6:7]
	v_mov_b32_e32 v6, s10
	s_xor_b64 exec, exec, s[6:7]
	s_cbranch_execnz .LBB58_3280
.LBB58_1230:
	s_or_b64 exec, exec, s[6:7]
	s_and_saveexec_b64 s[6:7], s[4:5]
	s_cbranch_execz .LBB58_1232
.LBB58_1231:
	v_bfe_u32 v6, v4, 8, 3
	v_ffbh_u32_e32 v10, v6
	v_min_u32_e32 v10, 32, v10
	v_lshrrev_b16_e32 v7, 3, v3
	v_subrev_u32_e32 v11, 28, v10
	v_and_b32_e32 v7, 15, v7
	v_lshlrev_b32_e32 v3, v11, v3
	v_sub_u32_e32 v10, 29, v10
	v_and_b32_e32 v3, 7, v3
	v_cmp_eq_u16_e32 vcc, 0, v7
	v_cndmask_b32_e32 v3, v6, v3, vcc
	v_cndmask_b32_e32 v6, v7, v10, vcc
	v_lshlrev_b32_e32 v7, 16, v4
	v_mov_b32_e32 v10, 0x3b800000
	v_lshlrev_b32_e32 v3, 20, v3
	v_and_b32_e32 v7, 0x80000000, v7
	v_lshl_add_u32 v6, v6, 23, v10
	v_or3_b32 v6, v7, v6, v3
.LBB58_1232:
	s_or_b64 exec, exec, s[6:7]
	s_nop 0
	v_mfma_f32_16x16x4f32 a[0:3], v2, v6, a[0:3]
	s_movk_i32 s4, 0xff
	v_and_b32_sdwa v3, v8, s4 dst_sel:DWORD dst_unused:UNUSED_PAD src0_sel:WORD_1 src1_sel:DWORD
	s_movk_i32 s4, 0x7f
	v_cmp_lt_i16_e32 vcc, s4, v3
	s_mov_b64 s[4:5], 0
                                        ; implicit-def: $sgpr10
	s_and_saveexec_b64 s[6:7], vcc
	s_xor_b64 s[6:7], exec, s[6:7]
	s_cbranch_execnz .LBB58_3281
; %bb.1233:
	s_or_saveexec_b64 s[6:7], s[6:7]
	v_mov_b32_e32 v2, s10
	s_xor_b64 exec, exec, s[6:7]
	s_cbranch_execnz .LBB58_3284
.LBB58_1234:
	s_or_b64 exec, exec, s[6:7]
	s_and_saveexec_b64 s[6:7], s[4:5]
	s_cbranch_execz .LBB58_1236
.LBB58_1235:
	v_bfe_u32 v2, v8, 16, 3
	v_ffbh_u32_e32 v7, v2
	v_min_u32_e32 v7, 32, v7
	v_lshrrev_b32_e32 v3, 19, v8
	v_subrev_u32_e32 v10, 28, v7
	v_and_b32_e32 v3, 15, v3
	v_lshlrev_b32_sdwa v10, v10, v8 dst_sel:DWORD dst_unused:UNUSED_PAD src0_sel:DWORD src1_sel:WORD_1
	v_bfe_u32 v6, v8, 19, 4
	v_sub_u32_e32 v7, 29, v7
	v_and_b32_e32 v10, 7, v10
	v_cmp_eq_u16_e32 vcc, 0, v3
	v_cndmask_b32_e32 v2, v2, v10, vcc
	v_cndmask_b32_e32 v3, v6, v7, vcc
	v_lshlrev_b32_e32 v6, 8, v8
	v_mov_b32_e32 v7, 0x3b800000
	v_lshlrev_b32_e32 v2, 20, v2
	v_and_b32_e32 v6, 0x80000000, v6
	v_lshl_add_u32 v3, v3, 23, v7
	v_or3_b32 v2, v6, v3, v2
.LBB58_1236:
	s_or_b64 exec, exec, s[6:7]
	s_movk_i32 s4, 0xff
	v_and_b32_sdwa v3, v4, s4 dst_sel:DWORD dst_unused:UNUSED_PAD src0_sel:WORD_1 src1_sel:DWORD
	s_movk_i32 s4, 0x7f
	v_cmp_lt_i16_e32 vcc, s4, v3
	s_mov_b64 s[4:5], 0
                                        ; implicit-def: $sgpr10
	s_and_saveexec_b64 s[6:7], vcc
	s_xor_b64 s[6:7], exec, s[6:7]
	s_cbranch_execnz .LBB58_3285
; %bb.1237:
	s_or_saveexec_b64 s[6:7], s[6:7]
	v_mov_b32_e32 v6, s10
	s_xor_b64 exec, exec, s[6:7]
	s_cbranch_execnz .LBB58_3288
.LBB58_1238:
	s_or_b64 exec, exec, s[6:7]
	s_and_saveexec_b64 s[6:7], s[4:5]
	s_cbranch_execz .LBB58_1240
.LBB58_1239:
	v_bfe_u32 v3, v4, 16, 3
	v_ffbh_u32_e32 v10, v3
	v_min_u32_e32 v10, 32, v10
	v_lshrrev_b32_e32 v6, 19, v4
	v_subrev_u32_e32 v11, 28, v10
	v_and_b32_e32 v6, 15, v6
	v_lshlrev_b32_sdwa v11, v11, v4 dst_sel:DWORD dst_unused:UNUSED_PAD src0_sel:DWORD src1_sel:WORD_1
	v_bfe_u32 v7, v4, 19, 4
	v_sub_u32_e32 v10, 29, v10
	v_and_b32_e32 v11, 7, v11
	v_cmp_eq_u16_e32 vcc, 0, v6
	v_cndmask_b32_e32 v3, v3, v11, vcc
	v_cndmask_b32_e32 v6, v7, v10, vcc
	v_lshlrev_b32_e32 v7, 8, v4
	v_mov_b32_e32 v10, 0x3b800000
	v_lshlrev_b32_e32 v3, 20, v3
	v_and_b32_e32 v7, 0x80000000, v7
	v_lshl_add_u32 v6, v6, 23, v10
	v_or3_b32 v6, v7, v6, v3
.LBB58_1240:
	s_or_b64 exec, exec, s[6:7]
	s_nop 0
	v_mfma_f32_16x16x4f32 a[0:3], v2, v6, a[0:3]
	s_movk_i32 s4, 0x7f
	v_cmp_gt_i16_sdwa s[6:7], v8, s4 src0_sel:BYTE_3 src1_sel:DWORD
	s_mov_b64 s[4:5], 0
                                        ; implicit-def: $sgpr10
	s_and_saveexec_b64 s[8:9], s[6:7]
	s_xor_b64 s[6:7], exec, s[8:9]
	s_cbranch_execnz .LBB58_3289
; %bb.1241:
	s_or_saveexec_b64 s[6:7], s[6:7]
	v_mov_b32_e32 v2, s10
	s_xor_b64 exec, exec, s[6:7]
	s_cbranch_execnz .LBB58_3292
.LBB58_1242:
	s_or_b64 exec, exec, s[6:7]
	s_and_saveexec_b64 s[6:7], s[4:5]
	s_cbranch_execz .LBB58_1244
.LBB58_1243:
	v_bfe_u32 v2, v8, 24, 3
	v_ffbh_u32_e32 v10, v2
	v_min_u32_e32 v10, 32, v10
	v_lshrrev_b32_e32 v6, 27, v8
	v_subrev_u32_e32 v11, 28, v10
	v_and_b32_e32 v3, 0x80000000, v8
	v_and_b32_e32 v6, 15, v6
	v_bfe_u32 v7, v8, 27, 4
	v_lshlrev_b32_sdwa v8, v11, v8 dst_sel:DWORD dst_unused:UNUSED_PAD src0_sel:DWORD src1_sel:BYTE_3
	v_sub_u32_e32 v10, 29, v10
	v_and_b32_e32 v8, 7, v8
	v_cmp_eq_u16_e32 vcc, 0, v6
	v_cndmask_b32_e32 v2, v2, v8, vcc
	v_cndmask_b32_e32 v6, v7, v10, vcc
	v_mov_b32_e32 v7, 0x3b800000
	v_lshlrev_b32_e32 v2, 20, v2
	v_lshl_add_u32 v6, v6, 23, v7
	v_or3_b32 v2, v3, v6, v2
.LBB58_1244:
	s_or_b64 exec, exec, s[6:7]
	s_movk_i32 s4, 0x7f
	v_cmp_gt_i16_sdwa s[6:7], v4, s4 src0_sel:BYTE_3 src1_sel:DWORD
	s_mov_b64 s[4:5], 0
                                        ; implicit-def: $sgpr10
	s_and_saveexec_b64 s[8:9], s[6:7]
	s_xor_b64 s[6:7], exec, s[8:9]
	s_cbranch_execnz .LBB58_3293
; %bb.1245:
	s_or_saveexec_b64 s[6:7], s[6:7]
	v_mov_b32_e32 v3, s10
	s_xor_b64 exec, exec, s[6:7]
	s_cbranch_execnz .LBB58_3296
.LBB58_1246:
	s_or_b64 exec, exec, s[6:7]
	s_and_saveexec_b64 s[6:7], s[4:5]
	s_cbranch_execz .LBB58_1248
.LBB58_1247:
	v_bfe_u32 v3, v4, 24, 3
	v_ffbh_u32_e32 v10, v3
	v_min_u32_e32 v10, 32, v10
	v_lshrrev_b32_e32 v7, 27, v4
	v_subrev_u32_e32 v11, 28, v10
	v_and_b32_e32 v6, 0x80000000, v4
	v_and_b32_e32 v7, 15, v7
	v_bfe_u32 v8, v4, 27, 4
	v_lshlrev_b32_sdwa v4, v11, v4 dst_sel:DWORD dst_unused:UNUSED_PAD src0_sel:DWORD src1_sel:BYTE_3
	v_sub_u32_e32 v10, 29, v10
	v_and_b32_e32 v4, 7, v4
	v_cmp_eq_u16_e32 vcc, 0, v7
	v_cndmask_b32_e32 v3, v3, v4, vcc
	v_cndmask_b32_e32 v4, v8, v10, vcc
	v_mov_b32_e32 v7, 0x3b800000
	v_lshlrev_b32_e32 v3, 20, v3
	v_lshl_add_u32 v4, v4, 23, v7
	v_or3_b32 v3, v6, v4, v3
.LBB58_1248:
	s_or_b64 exec, exec, s[6:7]
	s_nop 0
	v_mfma_f32_16x16x4f32 a[0:3], v2, v3, a[0:3]
	s_movk_i32 s4, 0x7f
	v_cmp_gt_i16_sdwa s[6:7], v9, s4 src0_sel:BYTE_0 src1_sel:DWORD
	s_mov_b64 s[4:5], 0
                                        ; implicit-def: $sgpr10
	s_and_saveexec_b64 s[8:9], s[6:7]
	s_xor_b64 s[6:7], exec, s[8:9]
	s_cbranch_execnz .LBB58_3297
; %bb.1249:
	s_or_saveexec_b64 s[6:7], s[6:7]
	v_mov_b32_e32 v2, s10
	s_xor_b64 exec, exec, s[6:7]
	s_cbranch_execnz .LBB58_3300
.LBB58_1250:
	s_or_b64 exec, exec, s[6:7]
	s_and_saveexec_b64 s[6:7], s[4:5]
	s_cbranch_execz .LBB58_1252
.LBB58_1251:
	v_mov_b32_e32 v2, 8
	v_and_b32_e32 v3, 7, v9
	v_lshrrev_b32_sdwa v2, v2, v9 dst_sel:BYTE_1 dst_unused:UNUSED_PAD src0_sel:DWORD src1_sel:DWORD
	v_ffbh_u32_e32 v4, v3
	v_or_b32_sdwa v2, v9, v2 dst_sel:DWORD dst_unused:UNUSED_PAD src0_sel:BYTE_0 src1_sel:DWORD
	v_min_u32_e32 v4, 32, v4
	v_lshrrev_b16_e32 v2, 3, v2
	v_subrev_u32_e32 v6, 28, v4
	v_and_b32_e32 v2, 15, v2
	v_lshlrev_b32_e32 v6, v6, v9
	v_sub_u32_e32 v4, 29, v4
	v_and_b32_e32 v6, 7, v6
	v_cmp_eq_u16_e32 vcc, 0, v2
	v_cndmask_b32_e32 v3, v3, v6, vcc
	v_cndmask_b32_e32 v2, v2, v4, vcc
	v_lshlrev_b32_e32 v4, 24, v9
	v_mov_b32_e32 v6, 0x3b800000
	v_lshlrev_b32_e32 v3, 20, v3
	v_and_b32_e32 v4, 0x80000000, v4
	v_lshl_add_u32 v2, v2, 23, v6
	v_or3_b32 v2, v4, v2, v3
.LBB58_1252:
	s_or_b64 exec, exec, s[6:7]
	s_movk_i32 s4, 0x7f
	v_cmp_gt_i16_sdwa s[6:7], v5, s4 src0_sel:BYTE_0 src1_sel:DWORD
	s_mov_b64 s[4:5], 0
                                        ; implicit-def: $sgpr10
	s_and_saveexec_b64 s[8:9], s[6:7]
	s_xor_b64 s[6:7], exec, s[8:9]
	s_cbranch_execnz .LBB58_3301
; %bb.1253:
	s_or_saveexec_b64 s[6:7], s[6:7]
	v_mov_b32_e32 v3, s10
	s_xor_b64 exec, exec, s[6:7]
	s_cbranch_execnz .LBB58_3304
.LBB58_1254:
	s_or_b64 exec, exec, s[6:7]
	s_and_saveexec_b64 s[6:7], s[4:5]
	s_cbranch_execz .LBB58_1256
.LBB58_1255:
	v_mov_b32_e32 v3, 8
	v_and_b32_e32 v4, 7, v5
	v_lshrrev_b32_sdwa v3, v3, v5 dst_sel:BYTE_1 dst_unused:UNUSED_PAD src0_sel:DWORD src1_sel:DWORD
	v_ffbh_u32_e32 v6, v4
	v_or_b32_sdwa v3, v5, v3 dst_sel:DWORD dst_unused:UNUSED_PAD src0_sel:BYTE_0 src1_sel:DWORD
	v_min_u32_e32 v6, 32, v6
	v_lshrrev_b16_e32 v3, 3, v3
	v_subrev_u32_e32 v7, 28, v6
	v_and_b32_e32 v3, 15, v3
	v_lshlrev_b32_e32 v7, v7, v5
	v_sub_u32_e32 v6, 29, v6
	v_and_b32_e32 v7, 7, v7
	v_cmp_eq_u16_e32 vcc, 0, v3
	v_cndmask_b32_e32 v4, v4, v7, vcc
	v_cndmask_b32_e32 v3, v3, v6, vcc
	v_lshlrev_b32_e32 v6, 24, v5
	v_mov_b32_e32 v7, 0x3b800000
	v_lshlrev_b32_e32 v4, 20, v4
	v_and_b32_e32 v6, 0x80000000, v6
	v_lshl_add_u32 v3, v3, 23, v7
	v_or3_b32 v3, v6, v3, v4
.LBB58_1256:
	s_or_b64 exec, exec, s[6:7]
	s_nop 0
	v_mfma_f32_16x16x4f32 a[0:3], v2, v3, a[0:3]
	v_lshrrev_b32_e32 v3, 8, v9
	s_movk_i32 s4, 0x7f
	v_cmp_gt_i16_sdwa s[6:7], v3, s4 src0_sel:BYTE_0 src1_sel:DWORD
	s_mov_b64 s[4:5], 0
                                        ; implicit-def: $sgpr10
	s_and_saveexec_b64 s[8:9], s[6:7]
	s_xor_b64 s[6:7], exec, s[8:9]
	s_cbranch_execnz .LBB58_3305
; %bb.1257:
	s_or_saveexec_b64 s[6:7], s[6:7]
	v_mov_b32_e32 v2, s10
	s_xor_b64 exec, exec, s[6:7]
	s_cbranch_execnz .LBB58_3308
.LBB58_1258:
	s_or_b64 exec, exec, s[6:7]
	s_and_saveexec_b64 s[6:7], s[4:5]
	s_cbranch_execz .LBB58_1260
.LBB58_1259:
	v_bfe_u32 v2, v9, 8, 3
	v_ffbh_u32_e32 v6, v2
	v_min_u32_e32 v6, 32, v6
	v_lshrrev_b16_e32 v4, 3, v3
	v_subrev_u32_e32 v7, 28, v6
	v_and_b32_e32 v4, 15, v4
	v_lshlrev_b32_e32 v3, v7, v3
	v_sub_u32_e32 v6, 29, v6
	v_and_b32_e32 v3, 7, v3
	v_cmp_eq_u16_e32 vcc, 0, v4
	v_cndmask_b32_e32 v2, v2, v3, vcc
	v_cndmask_b32_e32 v3, v4, v6, vcc
	v_lshlrev_b32_e32 v4, 16, v9
	v_mov_b32_e32 v6, 0x3b800000
	v_lshlrev_b32_e32 v2, 20, v2
	v_and_b32_e32 v4, 0x80000000, v4
	v_lshl_add_u32 v3, v3, 23, v6
	v_or3_b32 v2, v4, v3, v2
.LBB58_1260:
	s_or_b64 exec, exec, s[6:7]
	v_lshrrev_b32_e32 v3, 8, v5
	s_movk_i32 s4, 0x7f
	v_cmp_gt_i16_sdwa s[6:7], v3, s4 src0_sel:BYTE_0 src1_sel:DWORD
	s_mov_b64 s[4:5], 0
                                        ; implicit-def: $sgpr10
	s_and_saveexec_b64 s[8:9], s[6:7]
	s_xor_b64 s[6:7], exec, s[8:9]
	s_cbranch_execnz .LBB58_3309
; %bb.1261:
	s_or_saveexec_b64 s[6:7], s[6:7]
	v_mov_b32_e32 v4, s10
	s_xor_b64 exec, exec, s[6:7]
	s_cbranch_execnz .LBB58_3312
.LBB58_1262:
	s_or_b64 exec, exec, s[6:7]
	s_and_saveexec_b64 s[6:7], s[4:5]
	s_cbranch_execz .LBB58_1264
.LBB58_1263:
	v_bfe_u32 v4, v5, 8, 3
	v_ffbh_u32_e32 v7, v4
	v_min_u32_e32 v7, 32, v7
	v_lshrrev_b16_e32 v6, 3, v3
	v_subrev_u32_e32 v8, 28, v7
	v_and_b32_e32 v6, 15, v6
	v_lshlrev_b32_e32 v3, v8, v3
	v_sub_u32_e32 v7, 29, v7
	v_and_b32_e32 v3, 7, v3
	v_cmp_eq_u16_e32 vcc, 0, v6
	v_cndmask_b32_e32 v3, v4, v3, vcc
	v_cndmask_b32_e32 v4, v6, v7, vcc
	v_lshlrev_b32_e32 v6, 16, v5
	v_mov_b32_e32 v7, 0x3b800000
	v_lshlrev_b32_e32 v3, 20, v3
	v_and_b32_e32 v6, 0x80000000, v6
	v_lshl_add_u32 v4, v4, 23, v7
	v_or3_b32 v4, v6, v4, v3
.LBB58_1264:
	s_or_b64 exec, exec, s[6:7]
	s_nop 0
	v_mfma_f32_16x16x4f32 a[0:3], v2, v4, a[0:3]
	s_movk_i32 s4, 0xff
	v_and_b32_sdwa v3, v9, s4 dst_sel:DWORD dst_unused:UNUSED_PAD src0_sel:WORD_1 src1_sel:DWORD
	s_movk_i32 s4, 0x7f
	v_cmp_lt_i16_e32 vcc, s4, v3
	s_mov_b64 s[4:5], 0
                                        ; implicit-def: $sgpr10
	s_and_saveexec_b64 s[6:7], vcc
	s_xor_b64 s[6:7], exec, s[6:7]
	s_cbranch_execnz .LBB58_3313
; %bb.1265:
	s_or_saveexec_b64 s[6:7], s[6:7]
	v_mov_b32_e32 v2, s10
	s_xor_b64 exec, exec, s[6:7]
	s_cbranch_execnz .LBB58_3316
.LBB58_1266:
	s_or_b64 exec, exec, s[6:7]
	s_and_saveexec_b64 s[6:7], s[4:5]
	s_cbranch_execz .LBB58_1268
.LBB58_1267:
	v_bfe_u32 v2, v9, 16, 3
	v_ffbh_u32_e32 v6, v2
	v_min_u32_e32 v6, 32, v6
	v_lshrrev_b32_e32 v3, 19, v9
	v_subrev_u32_e32 v7, 28, v6
	v_and_b32_e32 v3, 15, v3
	v_lshlrev_b32_sdwa v7, v7, v9 dst_sel:DWORD dst_unused:UNUSED_PAD src0_sel:DWORD src1_sel:WORD_1
	v_bfe_u32 v4, v9, 19, 4
	v_sub_u32_e32 v6, 29, v6
	v_and_b32_e32 v7, 7, v7
	v_cmp_eq_u16_e32 vcc, 0, v3
	v_cndmask_b32_e32 v2, v2, v7, vcc
	v_cndmask_b32_e32 v3, v4, v6, vcc
	v_lshlrev_b32_e32 v4, 8, v9
	v_mov_b32_e32 v6, 0x3b800000
	v_lshlrev_b32_e32 v2, 20, v2
	v_and_b32_e32 v4, 0x80000000, v4
	v_lshl_add_u32 v3, v3, 23, v6
	v_or3_b32 v2, v4, v3, v2
.LBB58_1268:
	s_or_b64 exec, exec, s[6:7]
	s_movk_i32 s4, 0xff
	v_and_b32_sdwa v3, v5, s4 dst_sel:DWORD dst_unused:UNUSED_PAD src0_sel:WORD_1 src1_sel:DWORD
	s_movk_i32 s4, 0x7f
	v_cmp_lt_i16_e32 vcc, s4, v3
	s_mov_b64 s[4:5], 0
                                        ; implicit-def: $sgpr10
	s_and_saveexec_b64 s[6:7], vcc
	s_xor_b64 s[6:7], exec, s[6:7]
	s_cbranch_execnz .LBB58_3317
; %bb.1269:
	s_or_saveexec_b64 s[6:7], s[6:7]
	v_mov_b32_e32 v4, s10
	s_xor_b64 exec, exec, s[6:7]
	s_cbranch_execnz .LBB58_3320
.LBB58_1270:
	s_or_b64 exec, exec, s[6:7]
	s_and_saveexec_b64 s[6:7], s[4:5]
	s_cbranch_execz .LBB58_1272
.LBB58_1271:
	v_bfe_u32 v3, v5, 16, 3
	v_ffbh_u32_e32 v7, v3
	v_min_u32_e32 v7, 32, v7
	v_lshrrev_b32_e32 v4, 19, v5
	v_subrev_u32_e32 v8, 28, v7
	v_and_b32_e32 v4, 15, v4
	v_lshlrev_b32_sdwa v8, v8, v5 dst_sel:DWORD dst_unused:UNUSED_PAD src0_sel:DWORD src1_sel:WORD_1
	v_bfe_u32 v6, v5, 19, 4
	v_sub_u32_e32 v7, 29, v7
	v_and_b32_e32 v8, 7, v8
	v_cmp_eq_u16_e32 vcc, 0, v4
	v_cndmask_b32_e32 v3, v3, v8, vcc
	v_cndmask_b32_e32 v4, v6, v7, vcc
	v_lshlrev_b32_e32 v6, 8, v5
	v_mov_b32_e32 v7, 0x3b800000
	v_lshlrev_b32_e32 v3, 20, v3
	v_and_b32_e32 v6, 0x80000000, v6
	v_lshl_add_u32 v4, v4, 23, v7
	v_or3_b32 v4, v6, v4, v3
.LBB58_1272:
	s_or_b64 exec, exec, s[6:7]
	s_nop 0
	v_mfma_f32_16x16x4f32 a[0:3], v2, v4, a[0:3]
	s_movk_i32 s4, 0x7f
	v_cmp_gt_i16_sdwa s[6:7], v9, s4 src0_sel:BYTE_3 src1_sel:DWORD
	s_mov_b64 s[4:5], 0
                                        ; implicit-def: $sgpr10
	s_and_saveexec_b64 s[8:9], s[6:7]
	s_xor_b64 s[6:7], exec, s[8:9]
	s_cbranch_execnz .LBB58_3321
; %bb.1273:
	s_or_saveexec_b64 s[6:7], s[6:7]
	v_mov_b32_e32 v2, s10
	s_xor_b64 exec, exec, s[6:7]
	s_cbranch_execnz .LBB58_3324
.LBB58_1274:
	s_or_b64 exec, exec, s[6:7]
	s_and_saveexec_b64 s[6:7], s[4:5]
	s_cbranch_execz .LBB58_1276
.LBB58_1275:
	v_bfe_u32 v2, v9, 24, 3
	v_ffbh_u32_e32 v7, v2
	v_min_u32_e32 v7, 32, v7
	v_lshrrev_b32_e32 v4, 27, v9
	v_subrev_u32_e32 v8, 28, v7
	v_and_b32_e32 v4, 15, v4
	v_lshlrev_b32_sdwa v8, v8, v9 dst_sel:DWORD dst_unused:UNUSED_PAD src0_sel:DWORD src1_sel:BYTE_3
	v_bfe_u32 v6, v9, 27, 4
	v_sub_u32_e32 v7, 29, v7
	v_and_b32_e32 v8, 7, v8
	v_cmp_eq_u16_e32 vcc, 0, v4
	v_cndmask_b32_e32 v2, v2, v8, vcc
	v_cndmask_b32_e32 v4, v6, v7, vcc
	v_mov_b32_e32 v6, 0x3b800000
	v_and_b32_e32 v3, 0x80000000, v9
	v_lshlrev_b32_e32 v2, 20, v2
	v_lshl_add_u32 v4, v4, 23, v6
	v_or3_b32 v2, v3, v4, v2
.LBB58_1276:
	s_or_b64 exec, exec, s[6:7]
	s_movk_i32 s4, 0x7f
	v_cmp_gt_i16_sdwa s[6:7], v5, s4 src0_sel:BYTE_3 src1_sel:DWORD
	s_mov_b64 s[4:5], 0
                                        ; implicit-def: $sgpr10
	s_and_saveexec_b64 s[8:9], s[6:7]
	s_xor_b64 s[6:7], exec, s[8:9]
	s_cbranch_execnz .LBB58_3325
; %bb.1277:
	s_or_saveexec_b64 s[6:7], s[6:7]
	v_mov_b32_e32 v3, s10
	s_xor_b64 exec, exec, s[6:7]
	s_cbranch_execnz .LBB58_3328
.LBB58_1278:
	s_or_b64 exec, exec, s[6:7]
	s_and_saveexec_b64 s[6:7], s[4:5]
	s_cbranch_execz .LBB58_1280
.LBB58_1279:
	v_bfe_u32 v3, v5, 24, 3
	v_ffbh_u32_e32 v8, v3
	v_min_u32_e32 v8, 32, v8
	v_lshrrev_b32_e32 v6, 27, v5
	v_subrev_u32_e32 v9, 28, v8
	v_and_b32_e32 v4, 0x80000000, v5
	v_and_b32_e32 v6, 15, v6
	v_bfe_u32 v7, v5, 27, 4
	v_lshlrev_b32_sdwa v5, v9, v5 dst_sel:DWORD dst_unused:UNUSED_PAD src0_sel:DWORD src1_sel:BYTE_3
	v_sub_u32_e32 v8, 29, v8
	v_and_b32_e32 v5, 7, v5
	v_cmp_eq_u16_e32 vcc, 0, v6
	v_cndmask_b32_e32 v3, v3, v5, vcc
	v_cndmask_b32_e32 v5, v7, v8, vcc
	v_mov_b32_e32 v6, 0x3b800000
	v_lshlrev_b32_e32 v3, 20, v3
	v_lshl_add_u32 v5, v5, 23, v6
	v_or3_b32 v3, v4, v5, v3
.LBB58_1280:
	s_or_b64 exec, exec, s[6:7]
	s_nop 0
	v_mfma_f32_16x16x4f32 a[0:3], v2, v3, a[0:3]
	s_movk_i32 s4, 0x7f
                                        ; implicit-def: $sgpr10
	s_nop 7
	s_nop 1
	flat_store_dwordx4 v[18:19], a[0:3] offset:832
	flat_load_dwordx4 v[20:23], v[0:1] offset:8
	s_nop 0
	flat_load_dwordx2 v[18:19], v[0:1] offset:24
	s_waitcnt vmcnt(0) lgkmcnt(0)
	flat_load_dwordx4 v[14:17], v[20:21]
	flat_load_dwordx4 v[6:9], v[20:21] offset:16
	flat_load_dwordx4 v[10:13], v[22:23] offset:416
	;; [unrolled: 1-line block ×3, first 2 shown]
	s_waitcnt vmcnt(0) lgkmcnt(0)
	v_cmp_gt_i16_sdwa s[6:7], v14, s4 src0_sel:BYTE_0 src1_sel:DWORD
	s_mov_b64 s[4:5], 0
	s_and_saveexec_b64 s[8:9], s[6:7]
	s_xor_b64 s[6:7], exec, s[8:9]
	s_cbranch_execnz .LBB58_3329
; %bb.1281:
	s_or_saveexec_b64 s[6:7], s[6:7]
	v_mov_b32_e32 v20, s10
	s_xor_b64 exec, exec, s[6:7]
	s_cbranch_execnz .LBB58_3332
.LBB58_1282:
	s_or_b64 exec, exec, s[6:7]
	s_and_saveexec_b64 s[6:7], s[4:5]
	s_cbranch_execz .LBB58_1284
.LBB58_1283:
	v_and_b32_e32 v20, 7, v14
	v_ffbh_u32_e32 v22, v20
	v_min_u32_e32 v22, 32, v22
	v_lshrrev_b16_e32 v21, 3, v14
	v_subrev_u32_e32 v23, 28, v22
	v_and_b32_e32 v21, 15, v21
	v_lshlrev_b32_e32 v23, v23, v14
	v_sub_u32_e32 v22, 29, v22
	v_and_b32_e32 v23, 7, v23
	v_cmp_eq_u16_e32 vcc, 0, v21
	v_cndmask_b32_e32 v20, v20, v23, vcc
	v_cndmask_b32_e32 v21, v21, v22, vcc
	v_lshlrev_b32_e32 v22, 24, v14
	v_mov_b32_e32 v23, 0x3b800000
	v_lshlrev_b32_e32 v20, 20, v20
	v_and_b32_e32 v22, 0x80000000, v22
	v_lshl_add_u32 v21, v21, 23, v23
	v_or3_b32 v20, v22, v21, v20
.LBB58_1284:
	s_or_b64 exec, exec, s[6:7]
	s_movk_i32 s4, 0x7f
	v_cmp_gt_i16_sdwa s[6:7], v10, s4 src0_sel:BYTE_0 src1_sel:DWORD
	s_mov_b64 s[4:5], 0
                                        ; implicit-def: $sgpr10
	s_and_saveexec_b64 s[8:9], s[6:7]
	s_xor_b64 s[6:7], exec, s[8:9]
	s_cbranch_execnz .LBB58_3333
; %bb.1285:
	s_or_saveexec_b64 s[6:7], s[6:7]
	v_mov_b32_e32 v21, s10
	s_xor_b64 exec, exec, s[6:7]
	s_cbranch_execnz .LBB58_3336
.LBB58_1286:
	s_or_b64 exec, exec, s[6:7]
	s_and_saveexec_b64 s[6:7], s[4:5]
	s_cbranch_execz .LBB58_1288
.LBB58_1287:
	v_and_b32_e32 v21, 7, v10
	v_ffbh_u32_e32 v23, v21
	v_min_u32_e32 v23, 32, v23
	v_lshrrev_b16_e32 v22, 3, v10
	v_subrev_u32_e32 v24, 28, v23
	v_and_b32_e32 v22, 15, v22
	v_lshlrev_b32_e32 v24, v24, v10
	v_sub_u32_e32 v23, 29, v23
	v_and_b32_e32 v24, 7, v24
	v_cmp_eq_u16_e32 vcc, 0, v22
	v_cndmask_b32_e32 v21, v21, v24, vcc
	v_cndmask_b32_e32 v22, v22, v23, vcc
	v_lshlrev_b32_e32 v23, 24, v10
	v_mov_b32_e32 v24, 0x3b800000
	v_lshlrev_b32_e32 v21, 20, v21
	v_and_b32_e32 v23, 0x80000000, v23
	v_lshl_add_u32 v22, v22, 23, v24
	v_or3_b32 v21, v23, v22, v21
.LBB58_1288:
	s_or_b64 exec, exec, s[6:7]
	flat_load_dwordx4 a[0:3], v[18:19] offset:848
	s_movk_i32 s4, 0x7f
                                        ; implicit-def: $sgpr10
	s_waitcnt vmcnt(0) lgkmcnt(0)
	v_mfma_f32_16x16x4f32 a[0:3], v20, v21, a[0:3]
	v_lshrrev_b32_e32 v21, 8, v14
	v_cmp_gt_i16_sdwa s[6:7], v21, s4 src0_sel:BYTE_0 src1_sel:DWORD
	s_mov_b64 s[4:5], 0
	s_and_saveexec_b64 s[8:9], s[6:7]
	s_xor_b64 s[6:7], exec, s[8:9]
	s_cbranch_execnz .LBB58_3337
; %bb.1289:
	s_or_saveexec_b64 s[6:7], s[6:7]
	v_mov_b32_e32 v20, s10
	s_xor_b64 exec, exec, s[6:7]
	s_cbranch_execnz .LBB58_3340
.LBB58_1290:
	s_or_b64 exec, exec, s[6:7]
	s_and_saveexec_b64 s[6:7], s[4:5]
	s_cbranch_execz .LBB58_1292
.LBB58_1291:
	v_bfe_u32 v20, v14, 8, 3
	v_ffbh_u32_e32 v23, v20
	v_min_u32_e32 v23, 32, v23
	v_lshrrev_b16_e32 v22, 3, v21
	v_subrev_u32_e32 v24, 28, v23
	v_and_b32_e32 v22, 15, v22
	v_lshlrev_b32_e32 v21, v24, v21
	v_sub_u32_e32 v23, 29, v23
	v_and_b32_e32 v21, 7, v21
	v_cmp_eq_u16_e32 vcc, 0, v22
	v_cndmask_b32_e32 v20, v20, v21, vcc
	v_cndmask_b32_e32 v21, v22, v23, vcc
	v_lshlrev_b32_e32 v22, 16, v14
	v_mov_b32_e32 v23, 0x3b800000
	v_lshlrev_b32_e32 v20, 20, v20
	v_and_b32_e32 v22, 0x80000000, v22
	v_lshl_add_u32 v21, v21, 23, v23
	v_or3_b32 v20, v22, v21, v20
.LBB58_1292:
	s_or_b64 exec, exec, s[6:7]
	v_lshrrev_b32_e32 v21, 8, v10
	s_movk_i32 s4, 0x7f
	v_cmp_gt_i16_sdwa s[6:7], v21, s4 src0_sel:BYTE_0 src1_sel:DWORD
	s_mov_b64 s[4:5], 0
                                        ; implicit-def: $sgpr10
	s_and_saveexec_b64 s[8:9], s[6:7]
	s_xor_b64 s[6:7], exec, s[8:9]
	s_cbranch_execnz .LBB58_3341
; %bb.1293:
	s_or_saveexec_b64 s[6:7], s[6:7]
	v_mov_b32_e32 v22, s10
	s_xor_b64 exec, exec, s[6:7]
	s_cbranch_execnz .LBB58_3344
.LBB58_1294:
	s_or_b64 exec, exec, s[6:7]
	s_and_saveexec_b64 s[6:7], s[4:5]
	s_cbranch_execz .LBB58_1296
.LBB58_1295:
	v_bfe_u32 v22, v10, 8, 3
	v_ffbh_u32_e32 v24, v22
	v_min_u32_e32 v24, 32, v24
	v_lshrrev_b16_e32 v23, 3, v21
	v_subrev_u32_e32 v25, 28, v24
	v_and_b32_e32 v23, 15, v23
	v_lshlrev_b32_e32 v21, v25, v21
	v_sub_u32_e32 v24, 29, v24
	v_and_b32_e32 v21, 7, v21
	v_cmp_eq_u16_e32 vcc, 0, v23
	v_cndmask_b32_e32 v21, v22, v21, vcc
	v_cndmask_b32_e32 v22, v23, v24, vcc
	v_lshlrev_b32_e32 v23, 16, v10
	v_mov_b32_e32 v24, 0x3b800000
	v_lshlrev_b32_e32 v21, 20, v21
	v_and_b32_e32 v23, 0x80000000, v23
	v_lshl_add_u32 v22, v22, 23, v24
	v_or3_b32 v22, v23, v22, v21
.LBB58_1296:
	s_or_b64 exec, exec, s[6:7]
	s_nop 0
	v_mfma_f32_16x16x4f32 a[0:3], v20, v22, a[0:3]
	s_movk_i32 s4, 0xff
	v_and_b32_sdwa v21, v14, s4 dst_sel:DWORD dst_unused:UNUSED_PAD src0_sel:WORD_1 src1_sel:DWORD
	s_movk_i32 s4, 0x7f
	v_cmp_lt_i16_e32 vcc, s4, v21
	s_mov_b64 s[4:5], 0
                                        ; implicit-def: $sgpr10
	s_and_saveexec_b64 s[6:7], vcc
	s_xor_b64 s[6:7], exec, s[6:7]
	s_cbranch_execnz .LBB58_3345
; %bb.1297:
	s_or_saveexec_b64 s[6:7], s[6:7]
	v_mov_b32_e32 v20, s10
	s_xor_b64 exec, exec, s[6:7]
	s_cbranch_execnz .LBB58_3348
.LBB58_1298:
	s_or_b64 exec, exec, s[6:7]
	s_and_saveexec_b64 s[6:7], s[4:5]
	s_cbranch_execz .LBB58_1300
.LBB58_1299:
	v_bfe_u32 v20, v14, 16, 3
	v_ffbh_u32_e32 v23, v20
	v_min_u32_e32 v23, 32, v23
	v_lshrrev_b32_e32 v21, 19, v14
	v_subrev_u32_e32 v24, 28, v23
	v_and_b32_e32 v21, 15, v21
	v_lshlrev_b32_sdwa v24, v24, v14 dst_sel:DWORD dst_unused:UNUSED_PAD src0_sel:DWORD src1_sel:WORD_1
	v_bfe_u32 v22, v14, 19, 4
	v_sub_u32_e32 v23, 29, v23
	v_and_b32_e32 v24, 7, v24
	v_cmp_eq_u16_e32 vcc, 0, v21
	v_cndmask_b32_e32 v20, v20, v24, vcc
	v_cndmask_b32_e32 v21, v22, v23, vcc
	v_lshlrev_b32_e32 v22, 8, v14
	v_mov_b32_e32 v23, 0x3b800000
	v_lshlrev_b32_e32 v20, 20, v20
	v_and_b32_e32 v22, 0x80000000, v22
	v_lshl_add_u32 v21, v21, 23, v23
	v_or3_b32 v20, v22, v21, v20
.LBB58_1300:
	s_or_b64 exec, exec, s[6:7]
	s_movk_i32 s4, 0xff
	v_and_b32_sdwa v21, v10, s4 dst_sel:DWORD dst_unused:UNUSED_PAD src0_sel:WORD_1 src1_sel:DWORD
	s_movk_i32 s4, 0x7f
	v_cmp_lt_i16_e32 vcc, s4, v21
	s_mov_b64 s[4:5], 0
                                        ; implicit-def: $sgpr10
	s_and_saveexec_b64 s[6:7], vcc
	s_xor_b64 s[6:7], exec, s[6:7]
	s_cbranch_execnz .LBB58_3349
; %bb.1301:
	s_or_saveexec_b64 s[6:7], s[6:7]
	v_mov_b32_e32 v22, s10
	s_xor_b64 exec, exec, s[6:7]
	s_cbranch_execnz .LBB58_3352
.LBB58_1302:
	s_or_b64 exec, exec, s[6:7]
	s_and_saveexec_b64 s[6:7], s[4:5]
	s_cbranch_execz .LBB58_1304
.LBB58_1303:
	v_bfe_u32 v21, v10, 16, 3
	v_ffbh_u32_e32 v24, v21
	v_min_u32_e32 v24, 32, v24
	v_lshrrev_b32_e32 v22, 19, v10
	v_subrev_u32_e32 v25, 28, v24
	v_and_b32_e32 v22, 15, v22
	v_lshlrev_b32_sdwa v25, v25, v10 dst_sel:DWORD dst_unused:UNUSED_PAD src0_sel:DWORD src1_sel:WORD_1
	v_bfe_u32 v23, v10, 19, 4
	v_sub_u32_e32 v24, 29, v24
	v_and_b32_e32 v25, 7, v25
	v_cmp_eq_u16_e32 vcc, 0, v22
	v_cndmask_b32_e32 v21, v21, v25, vcc
	v_cndmask_b32_e32 v22, v23, v24, vcc
	v_lshlrev_b32_e32 v23, 8, v10
	v_mov_b32_e32 v24, 0x3b800000
	v_lshlrev_b32_e32 v21, 20, v21
	v_and_b32_e32 v23, 0x80000000, v23
	v_lshl_add_u32 v22, v22, 23, v24
	v_or3_b32 v22, v23, v22, v21
.LBB58_1304:
	s_or_b64 exec, exec, s[6:7]
	s_nop 0
	v_mfma_f32_16x16x4f32 a[0:3], v20, v22, a[0:3]
	s_movk_i32 s4, 0x7f
	v_cmp_gt_i16_sdwa s[6:7], v14, s4 src0_sel:BYTE_3 src1_sel:DWORD
	s_mov_b64 s[4:5], 0
                                        ; implicit-def: $sgpr10
	s_and_saveexec_b64 s[8:9], s[6:7]
	s_xor_b64 s[6:7], exec, s[8:9]
	s_cbranch_execnz .LBB58_3353
; %bb.1305:
	s_or_saveexec_b64 s[6:7], s[6:7]
	v_mov_b32_e32 v20, s10
	s_xor_b64 exec, exec, s[6:7]
	s_cbranch_execnz .LBB58_3356
.LBB58_1306:
	s_or_b64 exec, exec, s[6:7]
	s_and_saveexec_b64 s[6:7], s[4:5]
	s_cbranch_execz .LBB58_1308
.LBB58_1307:
	v_bfe_u32 v20, v14, 24, 3
	v_ffbh_u32_e32 v24, v20
	v_min_u32_e32 v24, 32, v24
	v_lshrrev_b32_e32 v22, 27, v14
	v_subrev_u32_e32 v25, 28, v24
	v_and_b32_e32 v21, 0x80000000, v14
	v_and_b32_e32 v22, 15, v22
	v_bfe_u32 v23, v14, 27, 4
	v_lshlrev_b32_sdwa v14, v25, v14 dst_sel:DWORD dst_unused:UNUSED_PAD src0_sel:DWORD src1_sel:BYTE_3
	v_sub_u32_e32 v24, 29, v24
	v_and_b32_e32 v14, 7, v14
	v_cmp_eq_u16_e32 vcc, 0, v22
	v_cndmask_b32_e32 v14, v20, v14, vcc
	v_cndmask_b32_e32 v20, v23, v24, vcc
	v_mov_b32_e32 v22, 0x3b800000
	v_lshlrev_b32_e32 v14, 20, v14
	v_lshl_add_u32 v20, v20, 23, v22
	v_or3_b32 v20, v21, v20, v14
.LBB58_1308:
	s_or_b64 exec, exec, s[6:7]
	s_movk_i32 s4, 0x7f
	v_cmp_gt_i16_sdwa s[6:7], v10, s4 src0_sel:BYTE_3 src1_sel:DWORD
	s_mov_b64 s[4:5], 0
                                        ; implicit-def: $sgpr10
	s_and_saveexec_b64 s[8:9], s[6:7]
	s_xor_b64 s[6:7], exec, s[8:9]
	s_cbranch_execnz .LBB58_3357
; %bb.1309:
	s_or_saveexec_b64 s[6:7], s[6:7]
	v_mov_b32_e32 v14, s10
	s_xor_b64 exec, exec, s[6:7]
	s_cbranch_execnz .LBB58_3360
.LBB58_1310:
	s_or_b64 exec, exec, s[6:7]
	s_and_saveexec_b64 s[6:7], s[4:5]
	s_cbranch_execz .LBB58_1312
.LBB58_1311:
	v_bfe_u32 v14, v10, 24, 3
	v_ffbh_u32_e32 v24, v14
	v_min_u32_e32 v24, 32, v24
	v_lshrrev_b32_e32 v22, 27, v10
	v_subrev_u32_e32 v25, 28, v24
	v_and_b32_e32 v21, 0x80000000, v10
	v_and_b32_e32 v22, 15, v22
	v_bfe_u32 v23, v10, 27, 4
	v_lshlrev_b32_sdwa v10, v25, v10 dst_sel:DWORD dst_unused:UNUSED_PAD src0_sel:DWORD src1_sel:BYTE_3
	v_sub_u32_e32 v24, 29, v24
	v_and_b32_e32 v10, 7, v10
	v_cmp_eq_u16_e32 vcc, 0, v22
	v_cndmask_b32_e32 v10, v14, v10, vcc
	v_cndmask_b32_e32 v14, v23, v24, vcc
	v_mov_b32_e32 v22, 0x3b800000
	v_lshlrev_b32_e32 v10, 20, v10
	v_lshl_add_u32 v14, v14, 23, v22
	v_or3_b32 v14, v21, v14, v10
.LBB58_1312:
	s_or_b64 exec, exec, s[6:7]
	s_nop 0
	v_mfma_f32_16x16x4f32 a[0:3], v20, v14, a[0:3]
	s_movk_i32 s4, 0x7f
	v_cmp_gt_i16_sdwa s[6:7], v15, s4 src0_sel:BYTE_0 src1_sel:DWORD
	s_mov_b64 s[4:5], 0
                                        ; implicit-def: $sgpr10
	s_and_saveexec_b64 s[8:9], s[6:7]
	s_xor_b64 s[6:7], exec, s[8:9]
	s_cbranch_execnz .LBB58_3361
; %bb.1313:
	s_or_saveexec_b64 s[6:7], s[6:7]
	v_mov_b32_e32 v10, s10
	s_xor_b64 exec, exec, s[6:7]
	s_cbranch_execnz .LBB58_3364
.LBB58_1314:
	s_or_b64 exec, exec, s[6:7]
	s_and_saveexec_b64 s[6:7], s[4:5]
	s_cbranch_execz .LBB58_1316
.LBB58_1315:
	v_and_b32_e32 v10, 7, v15
	v_ffbh_u32_e32 v20, v10
	v_min_u32_e32 v20, 32, v20
	v_lshrrev_b16_e32 v14, 3, v15
	v_subrev_u32_e32 v21, 28, v20
	v_and_b32_e32 v14, 15, v14
	v_lshlrev_b32_e32 v21, v21, v15
	v_sub_u32_e32 v20, 29, v20
	v_and_b32_e32 v21, 7, v21
	v_cmp_eq_u16_e32 vcc, 0, v14
	v_cndmask_b32_e32 v10, v10, v21, vcc
	v_cndmask_b32_e32 v14, v14, v20, vcc
	v_lshlrev_b32_e32 v20, 24, v15
	v_mov_b32_e32 v21, 0x3b800000
	v_lshlrev_b32_e32 v10, 20, v10
	v_and_b32_e32 v20, 0x80000000, v20
	v_lshl_add_u32 v14, v14, 23, v21
	v_or3_b32 v10, v20, v14, v10
.LBB58_1316:
	s_or_b64 exec, exec, s[6:7]
	s_movk_i32 s4, 0x7f
	v_cmp_gt_i16_sdwa s[6:7], v11, s4 src0_sel:BYTE_0 src1_sel:DWORD
	s_mov_b64 s[4:5], 0
                                        ; implicit-def: $sgpr10
	s_and_saveexec_b64 s[8:9], s[6:7]
	s_xor_b64 s[6:7], exec, s[8:9]
	s_cbranch_execnz .LBB58_3365
; %bb.1317:
	s_or_saveexec_b64 s[6:7], s[6:7]
	v_mov_b32_e32 v14, s10
	s_xor_b64 exec, exec, s[6:7]
	s_cbranch_execnz .LBB58_3368
.LBB58_1318:
	s_or_b64 exec, exec, s[6:7]
	s_and_saveexec_b64 s[6:7], s[4:5]
	s_cbranch_execz .LBB58_1320
.LBB58_1319:
	v_and_b32_e32 v14, 7, v11
	v_ffbh_u32_e32 v21, v14
	v_min_u32_e32 v21, 32, v21
	v_lshrrev_b16_e32 v20, 3, v11
	v_subrev_u32_e32 v22, 28, v21
	v_and_b32_e32 v20, 15, v20
	v_lshlrev_b32_e32 v22, v22, v11
	v_sub_u32_e32 v21, 29, v21
	v_and_b32_e32 v22, 7, v22
	v_cmp_eq_u16_e32 vcc, 0, v20
	v_cndmask_b32_e32 v14, v14, v22, vcc
	v_cndmask_b32_e32 v20, v20, v21, vcc
	v_lshlrev_b32_e32 v21, 24, v11
	v_mov_b32_e32 v22, 0x3b800000
	v_lshlrev_b32_e32 v14, 20, v14
	v_and_b32_e32 v21, 0x80000000, v21
	v_lshl_add_u32 v20, v20, 23, v22
	v_or3_b32 v14, v21, v20, v14
.LBB58_1320:
	s_or_b64 exec, exec, s[6:7]
	s_nop 0
	v_mfma_f32_16x16x4f32 a[0:3], v10, v14, a[0:3]
	v_lshrrev_b32_e32 v14, 8, v15
	s_movk_i32 s4, 0x7f
	v_cmp_gt_i16_sdwa s[6:7], v14, s4 src0_sel:BYTE_0 src1_sel:DWORD
	s_mov_b64 s[4:5], 0
                                        ; implicit-def: $sgpr10
	s_and_saveexec_b64 s[8:9], s[6:7]
	s_xor_b64 s[6:7], exec, s[8:9]
	s_cbranch_execnz .LBB58_3369
; %bb.1321:
	s_or_saveexec_b64 s[6:7], s[6:7]
	v_mov_b32_e32 v10, s10
	s_xor_b64 exec, exec, s[6:7]
	s_cbranch_execnz .LBB58_3372
.LBB58_1322:
	s_or_b64 exec, exec, s[6:7]
	s_and_saveexec_b64 s[6:7], s[4:5]
	s_cbranch_execz .LBB58_1324
.LBB58_1323:
	v_bfe_u32 v10, v15, 8, 3
	v_ffbh_u32_e32 v21, v10
	v_min_u32_e32 v21, 32, v21
	v_lshrrev_b16_e32 v20, 3, v14
	v_subrev_u32_e32 v22, 28, v21
	v_and_b32_e32 v20, 15, v20
	v_lshlrev_b32_e32 v14, v22, v14
	v_sub_u32_e32 v21, 29, v21
	v_and_b32_e32 v14, 7, v14
	v_cmp_eq_u16_e32 vcc, 0, v20
	v_cndmask_b32_e32 v10, v10, v14, vcc
	v_cndmask_b32_e32 v14, v20, v21, vcc
	v_lshlrev_b32_e32 v20, 16, v15
	v_mov_b32_e32 v21, 0x3b800000
	v_lshlrev_b32_e32 v10, 20, v10
	v_and_b32_e32 v20, 0x80000000, v20
	v_lshl_add_u32 v14, v14, 23, v21
	v_or3_b32 v10, v20, v14, v10
.LBB58_1324:
	s_or_b64 exec, exec, s[6:7]
	v_lshrrev_b32_e32 v14, 8, v11
	s_movk_i32 s4, 0x7f
	v_cmp_gt_i16_sdwa s[6:7], v14, s4 src0_sel:BYTE_0 src1_sel:DWORD
	s_mov_b64 s[4:5], 0
                                        ; implicit-def: $sgpr10
	s_and_saveexec_b64 s[8:9], s[6:7]
	s_xor_b64 s[6:7], exec, s[8:9]
	s_cbranch_execnz .LBB58_3373
; %bb.1325:
	s_or_saveexec_b64 s[6:7], s[6:7]
	v_mov_b32_e32 v20, s10
	s_xor_b64 exec, exec, s[6:7]
	s_cbranch_execnz .LBB58_3376
.LBB58_1326:
	s_or_b64 exec, exec, s[6:7]
	s_and_saveexec_b64 s[6:7], s[4:5]
	s_cbranch_execz .LBB58_1328
.LBB58_1327:
	v_bfe_u32 v20, v11, 8, 3
	v_ffbh_u32_e32 v22, v20
	v_min_u32_e32 v22, 32, v22
	v_lshrrev_b16_e32 v21, 3, v14
	v_subrev_u32_e32 v23, 28, v22
	v_and_b32_e32 v21, 15, v21
	v_lshlrev_b32_e32 v14, v23, v14
	v_sub_u32_e32 v22, 29, v22
	v_and_b32_e32 v14, 7, v14
	v_cmp_eq_u16_e32 vcc, 0, v21
	v_cndmask_b32_e32 v14, v20, v14, vcc
	v_cndmask_b32_e32 v20, v21, v22, vcc
	v_lshlrev_b32_e32 v21, 16, v11
	v_mov_b32_e32 v22, 0x3b800000
	v_lshlrev_b32_e32 v14, 20, v14
	v_and_b32_e32 v21, 0x80000000, v21
	v_lshl_add_u32 v20, v20, 23, v22
	v_or3_b32 v20, v21, v20, v14
.LBB58_1328:
	s_or_b64 exec, exec, s[6:7]
	s_nop 0
	v_mfma_f32_16x16x4f32 a[0:3], v10, v20, a[0:3]
	s_movk_i32 s4, 0xff
	v_and_b32_sdwa v14, v15, s4 dst_sel:DWORD dst_unused:UNUSED_PAD src0_sel:WORD_1 src1_sel:DWORD
	s_movk_i32 s4, 0x7f
	v_cmp_lt_i16_e32 vcc, s4, v14
	s_mov_b64 s[4:5], 0
                                        ; implicit-def: $sgpr10
	s_and_saveexec_b64 s[6:7], vcc
	s_xor_b64 s[6:7], exec, s[6:7]
	s_cbranch_execnz .LBB58_3377
; %bb.1329:
	s_or_saveexec_b64 s[6:7], s[6:7]
	v_mov_b32_e32 v10, s10
	s_xor_b64 exec, exec, s[6:7]
	s_cbranch_execnz .LBB58_3380
.LBB58_1330:
	s_or_b64 exec, exec, s[6:7]
	s_and_saveexec_b64 s[6:7], s[4:5]
	s_cbranch_execz .LBB58_1332
.LBB58_1331:
	v_bfe_u32 v10, v15, 16, 3
	v_ffbh_u32_e32 v21, v10
	v_min_u32_e32 v21, 32, v21
	v_lshrrev_b32_e32 v14, 19, v15
	v_subrev_u32_e32 v22, 28, v21
	v_and_b32_e32 v14, 15, v14
	v_lshlrev_b32_sdwa v22, v22, v15 dst_sel:DWORD dst_unused:UNUSED_PAD src0_sel:DWORD src1_sel:WORD_1
	v_bfe_u32 v20, v15, 19, 4
	v_sub_u32_e32 v21, 29, v21
	v_and_b32_e32 v22, 7, v22
	v_cmp_eq_u16_e32 vcc, 0, v14
	v_cndmask_b32_e32 v10, v10, v22, vcc
	v_cndmask_b32_e32 v14, v20, v21, vcc
	v_lshlrev_b32_e32 v20, 8, v15
	v_mov_b32_e32 v21, 0x3b800000
	v_lshlrev_b32_e32 v10, 20, v10
	v_and_b32_e32 v20, 0x80000000, v20
	v_lshl_add_u32 v14, v14, 23, v21
	v_or3_b32 v10, v20, v14, v10
.LBB58_1332:
	s_or_b64 exec, exec, s[6:7]
	s_movk_i32 s4, 0xff
	v_and_b32_sdwa v14, v11, s4 dst_sel:DWORD dst_unused:UNUSED_PAD src0_sel:WORD_1 src1_sel:DWORD
	s_movk_i32 s4, 0x7f
	v_cmp_lt_i16_e32 vcc, s4, v14
	s_mov_b64 s[4:5], 0
                                        ; implicit-def: $sgpr10
	s_and_saveexec_b64 s[6:7], vcc
	s_xor_b64 s[6:7], exec, s[6:7]
	s_cbranch_execnz .LBB58_3381
; %bb.1333:
	s_or_saveexec_b64 s[6:7], s[6:7]
	v_mov_b32_e32 v20, s10
	s_xor_b64 exec, exec, s[6:7]
	s_cbranch_execnz .LBB58_3384
.LBB58_1334:
	s_or_b64 exec, exec, s[6:7]
	s_and_saveexec_b64 s[6:7], s[4:5]
	s_cbranch_execz .LBB58_1336
.LBB58_1335:
	v_bfe_u32 v14, v11, 16, 3
	v_ffbh_u32_e32 v22, v14
	v_min_u32_e32 v22, 32, v22
	v_lshrrev_b32_e32 v20, 19, v11
	v_subrev_u32_e32 v23, 28, v22
	v_and_b32_e32 v20, 15, v20
	v_lshlrev_b32_sdwa v23, v23, v11 dst_sel:DWORD dst_unused:UNUSED_PAD src0_sel:DWORD src1_sel:WORD_1
	v_bfe_u32 v21, v11, 19, 4
	v_sub_u32_e32 v22, 29, v22
	v_and_b32_e32 v23, 7, v23
	v_cmp_eq_u16_e32 vcc, 0, v20
	v_cndmask_b32_e32 v14, v14, v23, vcc
	v_cndmask_b32_e32 v20, v21, v22, vcc
	v_lshlrev_b32_e32 v21, 8, v11
	v_mov_b32_e32 v22, 0x3b800000
	v_lshlrev_b32_e32 v14, 20, v14
	v_and_b32_e32 v21, 0x80000000, v21
	v_lshl_add_u32 v20, v20, 23, v22
	v_or3_b32 v20, v21, v20, v14
.LBB58_1336:
	s_or_b64 exec, exec, s[6:7]
	s_nop 0
	v_mfma_f32_16x16x4f32 a[0:3], v10, v20, a[0:3]
	s_movk_i32 s4, 0x7f
	v_cmp_gt_i16_sdwa s[6:7], v15, s4 src0_sel:BYTE_3 src1_sel:DWORD
	s_mov_b64 s[4:5], 0
                                        ; implicit-def: $sgpr10
	s_and_saveexec_b64 s[8:9], s[6:7]
	s_xor_b64 s[6:7], exec, s[8:9]
	s_cbranch_execnz .LBB58_3385
; %bb.1337:
	s_or_saveexec_b64 s[6:7], s[6:7]
	v_mov_b32_e32 v10, s10
	s_xor_b64 exec, exec, s[6:7]
	s_cbranch_execnz .LBB58_3388
.LBB58_1338:
	s_or_b64 exec, exec, s[6:7]
	s_and_saveexec_b64 s[6:7], s[4:5]
	s_cbranch_execz .LBB58_1340
.LBB58_1339:
	v_bfe_u32 v10, v15, 24, 3
	v_ffbh_u32_e32 v22, v10
	v_min_u32_e32 v22, 32, v22
	v_lshrrev_b32_e32 v20, 27, v15
	v_subrev_u32_e32 v23, 28, v22
	v_and_b32_e32 v14, 0x80000000, v15
	v_and_b32_e32 v20, 15, v20
	v_bfe_u32 v21, v15, 27, 4
	v_lshlrev_b32_sdwa v15, v23, v15 dst_sel:DWORD dst_unused:UNUSED_PAD src0_sel:DWORD src1_sel:BYTE_3
	v_sub_u32_e32 v22, 29, v22
	v_and_b32_e32 v15, 7, v15
	v_cmp_eq_u16_e32 vcc, 0, v20
	v_cndmask_b32_e32 v10, v10, v15, vcc
	v_cndmask_b32_e32 v15, v21, v22, vcc
	v_mov_b32_e32 v20, 0x3b800000
	v_lshlrev_b32_e32 v10, 20, v10
	v_lshl_add_u32 v15, v15, 23, v20
	v_or3_b32 v10, v14, v15, v10
.LBB58_1340:
	s_or_b64 exec, exec, s[6:7]
	s_movk_i32 s4, 0x7f
	v_cmp_gt_i16_sdwa s[6:7], v11, s4 src0_sel:BYTE_3 src1_sel:DWORD
	s_mov_b64 s[4:5], 0
                                        ; implicit-def: $sgpr10
	s_and_saveexec_b64 s[8:9], s[6:7]
	s_xor_b64 s[6:7], exec, s[8:9]
	s_cbranch_execnz .LBB58_3389
; %bb.1341:
	s_or_saveexec_b64 s[6:7], s[6:7]
	v_mov_b32_e32 v14, s10
	s_xor_b64 exec, exec, s[6:7]
	s_cbranch_execnz .LBB58_3392
.LBB58_1342:
	s_or_b64 exec, exec, s[6:7]
	s_and_saveexec_b64 s[6:7], s[4:5]
	s_cbranch_execz .LBB58_1344
.LBB58_1343:
	v_bfe_u32 v14, v11, 24, 3
	v_ffbh_u32_e32 v22, v14
	v_min_u32_e32 v22, 32, v22
	v_lshrrev_b32_e32 v20, 27, v11
	v_subrev_u32_e32 v23, 28, v22
	v_and_b32_e32 v15, 0x80000000, v11
	v_and_b32_e32 v20, 15, v20
	v_bfe_u32 v21, v11, 27, 4
	v_lshlrev_b32_sdwa v11, v23, v11 dst_sel:DWORD dst_unused:UNUSED_PAD src0_sel:DWORD src1_sel:BYTE_3
	v_sub_u32_e32 v22, 29, v22
	v_and_b32_e32 v11, 7, v11
	v_cmp_eq_u16_e32 vcc, 0, v20
	v_cndmask_b32_e32 v11, v14, v11, vcc
	v_cndmask_b32_e32 v14, v21, v22, vcc
	v_mov_b32_e32 v20, 0x3b800000
	v_lshlrev_b32_e32 v11, 20, v11
	v_lshl_add_u32 v14, v14, 23, v20
	v_or3_b32 v14, v15, v14, v11
.LBB58_1344:
	s_or_b64 exec, exec, s[6:7]
	s_nop 0
	v_mfma_f32_16x16x4f32 a[0:3], v10, v14, a[0:3]
	s_movk_i32 s4, 0x7f
	v_cmp_gt_i16_sdwa s[6:7], v16, s4 src0_sel:BYTE_0 src1_sel:DWORD
	s_mov_b64 s[4:5], 0
                                        ; implicit-def: $sgpr10
	s_and_saveexec_b64 s[8:9], s[6:7]
	s_xor_b64 s[6:7], exec, s[8:9]
	s_cbranch_execnz .LBB58_3393
; %bb.1345:
	s_or_saveexec_b64 s[6:7], s[6:7]
	v_mov_b32_e32 v10, s10
	s_xor_b64 exec, exec, s[6:7]
	s_cbranch_execnz .LBB58_3396
.LBB58_1346:
	s_or_b64 exec, exec, s[6:7]
	s_and_saveexec_b64 s[6:7], s[4:5]
	s_cbranch_execz .LBB58_1348
.LBB58_1347:
	v_and_b32_e32 v10, 7, v16
	v_ffbh_u32_e32 v14, v10
	v_min_u32_e32 v14, 32, v14
	v_lshrrev_b16_e32 v11, 3, v16
	v_subrev_u32_e32 v15, 28, v14
	v_and_b32_e32 v11, 15, v11
	v_lshlrev_b32_e32 v15, v15, v16
	v_sub_u32_e32 v14, 29, v14
	v_and_b32_e32 v15, 7, v15
	v_cmp_eq_u16_e32 vcc, 0, v11
	v_cndmask_b32_e32 v10, v10, v15, vcc
	v_cndmask_b32_e32 v11, v11, v14, vcc
	v_lshlrev_b32_e32 v14, 24, v16
	v_mov_b32_e32 v15, 0x3b800000
	v_lshlrev_b32_e32 v10, 20, v10
	v_and_b32_e32 v14, 0x80000000, v14
	v_lshl_add_u32 v11, v11, 23, v15
	v_or3_b32 v10, v14, v11, v10
.LBB58_1348:
	s_or_b64 exec, exec, s[6:7]
	s_movk_i32 s4, 0x7f
	v_cmp_gt_i16_sdwa s[6:7], v12, s4 src0_sel:BYTE_0 src1_sel:DWORD
	s_mov_b64 s[4:5], 0
                                        ; implicit-def: $sgpr10
	s_and_saveexec_b64 s[8:9], s[6:7]
	s_xor_b64 s[6:7], exec, s[8:9]
	s_cbranch_execnz .LBB58_3397
; %bb.1349:
	s_or_saveexec_b64 s[6:7], s[6:7]
	v_mov_b32_e32 v11, s10
	s_xor_b64 exec, exec, s[6:7]
	s_cbranch_execnz .LBB58_3400
.LBB58_1350:
	s_or_b64 exec, exec, s[6:7]
	s_and_saveexec_b64 s[6:7], s[4:5]
	s_cbranch_execz .LBB58_1352
.LBB58_1351:
	v_and_b32_e32 v11, 7, v12
	v_ffbh_u32_e32 v15, v11
	v_min_u32_e32 v15, 32, v15
	v_lshrrev_b16_e32 v14, 3, v12
	v_subrev_u32_e32 v20, 28, v15
	v_and_b32_e32 v14, 15, v14
	v_lshlrev_b32_e32 v20, v20, v12
	v_sub_u32_e32 v15, 29, v15
	v_and_b32_e32 v20, 7, v20
	v_cmp_eq_u16_e32 vcc, 0, v14
	v_cndmask_b32_e32 v11, v11, v20, vcc
	v_cndmask_b32_e32 v14, v14, v15, vcc
	v_lshlrev_b32_e32 v15, 24, v12
	v_mov_b32_e32 v20, 0x3b800000
	v_lshlrev_b32_e32 v11, 20, v11
	v_and_b32_e32 v15, 0x80000000, v15
	v_lshl_add_u32 v14, v14, 23, v20
	v_or3_b32 v11, v15, v14, v11
.LBB58_1352:
	s_or_b64 exec, exec, s[6:7]
	s_nop 0
	v_mfma_f32_16x16x4f32 a[0:3], v10, v11, a[0:3]
	v_lshrrev_b32_e32 v11, 8, v16
	s_movk_i32 s4, 0x7f
	v_cmp_gt_i16_sdwa s[6:7], v11, s4 src0_sel:BYTE_0 src1_sel:DWORD
	s_mov_b64 s[4:5], 0
                                        ; implicit-def: $sgpr10
	s_and_saveexec_b64 s[8:9], s[6:7]
	s_xor_b64 s[6:7], exec, s[8:9]
	s_cbranch_execnz .LBB58_3401
; %bb.1353:
	s_or_saveexec_b64 s[6:7], s[6:7]
	v_mov_b32_e32 v10, s10
	s_xor_b64 exec, exec, s[6:7]
	s_cbranch_execnz .LBB58_3404
.LBB58_1354:
	s_or_b64 exec, exec, s[6:7]
	s_and_saveexec_b64 s[6:7], s[4:5]
	s_cbranch_execz .LBB58_1356
.LBB58_1355:
	v_bfe_u32 v10, v16, 8, 3
	v_ffbh_u32_e32 v15, v10
	v_min_u32_e32 v15, 32, v15
	v_lshrrev_b16_e32 v14, 3, v11
	v_subrev_u32_e32 v20, 28, v15
	v_and_b32_e32 v14, 15, v14
	v_lshlrev_b32_e32 v11, v20, v11
	v_sub_u32_e32 v15, 29, v15
	v_and_b32_e32 v11, 7, v11
	v_cmp_eq_u16_e32 vcc, 0, v14
	v_cndmask_b32_e32 v10, v10, v11, vcc
	v_cndmask_b32_e32 v11, v14, v15, vcc
	v_lshlrev_b32_e32 v14, 16, v16
	v_mov_b32_e32 v15, 0x3b800000
	v_lshlrev_b32_e32 v10, 20, v10
	v_and_b32_e32 v14, 0x80000000, v14
	v_lshl_add_u32 v11, v11, 23, v15
	v_or3_b32 v10, v14, v11, v10
.LBB58_1356:
	s_or_b64 exec, exec, s[6:7]
	v_lshrrev_b32_e32 v11, 8, v12
	s_movk_i32 s4, 0x7f
	v_cmp_gt_i16_sdwa s[6:7], v11, s4 src0_sel:BYTE_0 src1_sel:DWORD
	s_mov_b64 s[4:5], 0
                                        ; implicit-def: $sgpr10
	s_and_saveexec_b64 s[8:9], s[6:7]
	s_xor_b64 s[6:7], exec, s[8:9]
	s_cbranch_execnz .LBB58_3405
; %bb.1357:
	s_or_saveexec_b64 s[6:7], s[6:7]
	v_mov_b32_e32 v14, s10
	s_xor_b64 exec, exec, s[6:7]
	s_cbranch_execnz .LBB58_3408
.LBB58_1358:
	s_or_b64 exec, exec, s[6:7]
	s_and_saveexec_b64 s[6:7], s[4:5]
	s_cbranch_execz .LBB58_1360
.LBB58_1359:
	v_bfe_u32 v14, v12, 8, 3
	v_ffbh_u32_e32 v20, v14
	v_min_u32_e32 v20, 32, v20
	v_lshrrev_b16_e32 v15, 3, v11
	v_subrev_u32_e32 v21, 28, v20
	v_and_b32_e32 v15, 15, v15
	v_lshlrev_b32_e32 v11, v21, v11
	v_sub_u32_e32 v20, 29, v20
	v_and_b32_e32 v11, 7, v11
	v_cmp_eq_u16_e32 vcc, 0, v15
	v_cndmask_b32_e32 v11, v14, v11, vcc
	v_cndmask_b32_e32 v14, v15, v20, vcc
	v_lshlrev_b32_e32 v15, 16, v12
	v_mov_b32_e32 v20, 0x3b800000
	v_lshlrev_b32_e32 v11, 20, v11
	v_and_b32_e32 v15, 0x80000000, v15
	v_lshl_add_u32 v14, v14, 23, v20
	v_or3_b32 v14, v15, v14, v11
.LBB58_1360:
	s_or_b64 exec, exec, s[6:7]
	s_nop 0
	v_mfma_f32_16x16x4f32 a[0:3], v10, v14, a[0:3]
	s_movk_i32 s4, 0xff
	v_and_b32_sdwa v11, v16, s4 dst_sel:DWORD dst_unused:UNUSED_PAD src0_sel:WORD_1 src1_sel:DWORD
	s_movk_i32 s4, 0x7f
	v_cmp_lt_i16_e32 vcc, s4, v11
	s_mov_b64 s[4:5], 0
                                        ; implicit-def: $sgpr10
	s_and_saveexec_b64 s[6:7], vcc
	s_xor_b64 s[6:7], exec, s[6:7]
	s_cbranch_execnz .LBB58_3409
; %bb.1361:
	s_or_saveexec_b64 s[6:7], s[6:7]
	v_mov_b32_e32 v10, s10
	s_xor_b64 exec, exec, s[6:7]
	s_cbranch_execnz .LBB58_3412
.LBB58_1362:
	s_or_b64 exec, exec, s[6:7]
	s_and_saveexec_b64 s[6:7], s[4:5]
	s_cbranch_execz .LBB58_1364
.LBB58_1363:
	v_bfe_u32 v10, v16, 16, 3
	v_ffbh_u32_e32 v15, v10
	v_min_u32_e32 v15, 32, v15
	v_lshrrev_b32_e32 v11, 19, v16
	v_subrev_u32_e32 v20, 28, v15
	v_and_b32_e32 v11, 15, v11
	v_lshlrev_b32_sdwa v20, v20, v16 dst_sel:DWORD dst_unused:UNUSED_PAD src0_sel:DWORD src1_sel:WORD_1
	v_bfe_u32 v14, v16, 19, 4
	v_sub_u32_e32 v15, 29, v15
	v_and_b32_e32 v20, 7, v20
	v_cmp_eq_u16_e32 vcc, 0, v11
	v_cndmask_b32_e32 v10, v10, v20, vcc
	v_cndmask_b32_e32 v11, v14, v15, vcc
	v_lshlrev_b32_e32 v14, 8, v16
	v_mov_b32_e32 v15, 0x3b800000
	v_lshlrev_b32_e32 v10, 20, v10
	v_and_b32_e32 v14, 0x80000000, v14
	v_lshl_add_u32 v11, v11, 23, v15
	v_or3_b32 v10, v14, v11, v10
.LBB58_1364:
	s_or_b64 exec, exec, s[6:7]
	s_movk_i32 s4, 0xff
	v_and_b32_sdwa v11, v12, s4 dst_sel:DWORD dst_unused:UNUSED_PAD src0_sel:WORD_1 src1_sel:DWORD
	s_movk_i32 s4, 0x7f
	v_cmp_lt_i16_e32 vcc, s4, v11
	s_mov_b64 s[4:5], 0
                                        ; implicit-def: $sgpr10
	s_and_saveexec_b64 s[6:7], vcc
	s_xor_b64 s[6:7], exec, s[6:7]
	s_cbranch_execnz .LBB58_3413
; %bb.1365:
	s_or_saveexec_b64 s[6:7], s[6:7]
	v_mov_b32_e32 v14, s10
	s_xor_b64 exec, exec, s[6:7]
	s_cbranch_execnz .LBB58_3416
.LBB58_1366:
	s_or_b64 exec, exec, s[6:7]
	s_and_saveexec_b64 s[6:7], s[4:5]
	s_cbranch_execz .LBB58_1368
.LBB58_1367:
	v_bfe_u32 v11, v12, 16, 3
	v_ffbh_u32_e32 v20, v11
	v_min_u32_e32 v20, 32, v20
	v_lshrrev_b32_e32 v14, 19, v12
	v_subrev_u32_e32 v21, 28, v20
	v_and_b32_e32 v14, 15, v14
	v_lshlrev_b32_sdwa v21, v21, v12 dst_sel:DWORD dst_unused:UNUSED_PAD src0_sel:DWORD src1_sel:WORD_1
	v_bfe_u32 v15, v12, 19, 4
	v_sub_u32_e32 v20, 29, v20
	v_and_b32_e32 v21, 7, v21
	v_cmp_eq_u16_e32 vcc, 0, v14
	v_cndmask_b32_e32 v11, v11, v21, vcc
	v_cndmask_b32_e32 v14, v15, v20, vcc
	v_lshlrev_b32_e32 v15, 8, v12
	v_mov_b32_e32 v20, 0x3b800000
	v_lshlrev_b32_e32 v11, 20, v11
	v_and_b32_e32 v15, 0x80000000, v15
	v_lshl_add_u32 v14, v14, 23, v20
	v_or3_b32 v14, v15, v14, v11
.LBB58_1368:
	s_or_b64 exec, exec, s[6:7]
	s_nop 0
	v_mfma_f32_16x16x4f32 a[0:3], v10, v14, a[0:3]
	s_movk_i32 s4, 0x7f
	v_cmp_gt_i16_sdwa s[6:7], v16, s4 src0_sel:BYTE_3 src1_sel:DWORD
	s_mov_b64 s[4:5], 0
                                        ; implicit-def: $sgpr10
	s_and_saveexec_b64 s[8:9], s[6:7]
	s_xor_b64 s[6:7], exec, s[8:9]
	s_cbranch_execnz .LBB58_3417
; %bb.1369:
	s_or_saveexec_b64 s[6:7], s[6:7]
	v_mov_b32_e32 v10, s10
	s_xor_b64 exec, exec, s[6:7]
	s_cbranch_execnz .LBB58_3420
.LBB58_1370:
	s_or_b64 exec, exec, s[6:7]
	s_and_saveexec_b64 s[6:7], s[4:5]
	s_cbranch_execz .LBB58_1372
.LBB58_1371:
	v_bfe_u32 v10, v16, 24, 3
	v_ffbh_u32_e32 v20, v10
	v_min_u32_e32 v20, 32, v20
	v_lshrrev_b32_e32 v14, 27, v16
	v_subrev_u32_e32 v21, 28, v20
	v_and_b32_e32 v11, 0x80000000, v16
	v_and_b32_e32 v14, 15, v14
	v_bfe_u32 v15, v16, 27, 4
	v_lshlrev_b32_sdwa v16, v21, v16 dst_sel:DWORD dst_unused:UNUSED_PAD src0_sel:DWORD src1_sel:BYTE_3
	v_sub_u32_e32 v20, 29, v20
	v_and_b32_e32 v16, 7, v16
	v_cmp_eq_u16_e32 vcc, 0, v14
	v_cndmask_b32_e32 v10, v10, v16, vcc
	v_cndmask_b32_e32 v14, v15, v20, vcc
	v_mov_b32_e32 v15, 0x3b800000
	v_lshlrev_b32_e32 v10, 20, v10
	v_lshl_add_u32 v14, v14, 23, v15
	v_or3_b32 v10, v11, v14, v10
.LBB58_1372:
	s_or_b64 exec, exec, s[6:7]
	s_movk_i32 s4, 0x7f
	v_cmp_gt_i16_sdwa s[6:7], v12, s4 src0_sel:BYTE_3 src1_sel:DWORD
	s_mov_b64 s[4:5], 0
                                        ; implicit-def: $sgpr10
	s_and_saveexec_b64 s[8:9], s[6:7]
	s_xor_b64 s[6:7], exec, s[8:9]
	s_cbranch_execnz .LBB58_3421
; %bb.1373:
	s_or_saveexec_b64 s[6:7], s[6:7]
	v_mov_b32_e32 v11, s10
	s_xor_b64 exec, exec, s[6:7]
	s_cbranch_execnz .LBB58_3424
.LBB58_1374:
	s_or_b64 exec, exec, s[6:7]
	s_and_saveexec_b64 s[6:7], s[4:5]
	s_cbranch_execz .LBB58_1376
.LBB58_1375:
	v_bfe_u32 v11, v12, 24, 3
	v_ffbh_u32_e32 v20, v11
	v_min_u32_e32 v20, 32, v20
	v_lshrrev_b32_e32 v15, 27, v12
	v_subrev_u32_e32 v21, 28, v20
	v_and_b32_e32 v14, 0x80000000, v12
	v_and_b32_e32 v15, 15, v15
	v_bfe_u32 v16, v12, 27, 4
	v_lshlrev_b32_sdwa v12, v21, v12 dst_sel:DWORD dst_unused:UNUSED_PAD src0_sel:DWORD src1_sel:BYTE_3
	v_sub_u32_e32 v20, 29, v20
	v_and_b32_e32 v12, 7, v12
	v_cmp_eq_u16_e32 vcc, 0, v15
	v_cndmask_b32_e32 v11, v11, v12, vcc
	v_cndmask_b32_e32 v12, v16, v20, vcc
	v_mov_b32_e32 v15, 0x3b800000
	v_lshlrev_b32_e32 v11, 20, v11
	v_lshl_add_u32 v12, v12, 23, v15
	v_or3_b32 v11, v14, v12, v11
.LBB58_1376:
	s_or_b64 exec, exec, s[6:7]
	s_nop 0
	v_mfma_f32_16x16x4f32 a[0:3], v10, v11, a[0:3]
	s_movk_i32 s4, 0x7f
	v_cmp_gt_i16_sdwa s[6:7], v17, s4 src0_sel:BYTE_0 src1_sel:DWORD
	s_mov_b64 s[4:5], 0
                                        ; implicit-def: $sgpr10
	s_and_saveexec_b64 s[8:9], s[6:7]
	s_xor_b64 s[6:7], exec, s[8:9]
	s_cbranch_execnz .LBB58_3425
; %bb.1377:
	s_or_saveexec_b64 s[6:7], s[6:7]
	v_mov_b32_e32 v10, s10
	s_xor_b64 exec, exec, s[6:7]
	s_cbranch_execnz .LBB58_3428
.LBB58_1378:
	s_or_b64 exec, exec, s[6:7]
	s_and_saveexec_b64 s[6:7], s[4:5]
	s_cbranch_execz .LBB58_1380
.LBB58_1379:
	v_and_b32_e32 v10, 7, v17
	v_ffbh_u32_e32 v12, v10
	v_min_u32_e32 v12, 32, v12
	v_lshrrev_b16_e32 v11, 3, v17
	v_subrev_u32_e32 v14, 28, v12
	v_and_b32_e32 v11, 15, v11
	v_lshlrev_b32_e32 v14, v14, v17
	v_sub_u32_e32 v12, 29, v12
	v_and_b32_e32 v14, 7, v14
	v_cmp_eq_u16_e32 vcc, 0, v11
	v_cndmask_b32_e32 v10, v10, v14, vcc
	v_cndmask_b32_e32 v11, v11, v12, vcc
	v_lshlrev_b32_e32 v12, 24, v17
	v_mov_b32_e32 v14, 0x3b800000
	v_lshlrev_b32_e32 v10, 20, v10
	v_and_b32_e32 v12, 0x80000000, v12
	v_lshl_add_u32 v11, v11, 23, v14
	v_or3_b32 v10, v12, v11, v10
.LBB58_1380:
	s_or_b64 exec, exec, s[6:7]
	s_movk_i32 s4, 0x7f
	v_cmp_gt_i16_sdwa s[6:7], v13, s4 src0_sel:BYTE_0 src1_sel:DWORD
	s_mov_b64 s[4:5], 0
                                        ; implicit-def: $sgpr10
	s_and_saveexec_b64 s[8:9], s[6:7]
	s_xor_b64 s[6:7], exec, s[8:9]
	s_cbranch_execnz .LBB58_3429
; %bb.1381:
	s_or_saveexec_b64 s[6:7], s[6:7]
	v_mov_b32_e32 v11, s10
	s_xor_b64 exec, exec, s[6:7]
	s_cbranch_execnz .LBB58_3432
.LBB58_1382:
	s_or_b64 exec, exec, s[6:7]
	s_and_saveexec_b64 s[6:7], s[4:5]
	s_cbranch_execz .LBB58_1384
.LBB58_1383:
	v_and_b32_e32 v11, 7, v13
	v_ffbh_u32_e32 v14, v11
	v_min_u32_e32 v14, 32, v14
	v_lshrrev_b16_e32 v12, 3, v13
	v_subrev_u32_e32 v15, 28, v14
	v_and_b32_e32 v12, 15, v12
	v_lshlrev_b32_e32 v15, v15, v13
	v_sub_u32_e32 v14, 29, v14
	v_and_b32_e32 v15, 7, v15
	v_cmp_eq_u16_e32 vcc, 0, v12
	v_cndmask_b32_e32 v11, v11, v15, vcc
	v_cndmask_b32_e32 v12, v12, v14, vcc
	v_lshlrev_b32_e32 v14, 24, v13
	v_mov_b32_e32 v15, 0x3b800000
	v_lshlrev_b32_e32 v11, 20, v11
	v_and_b32_e32 v14, 0x80000000, v14
	v_lshl_add_u32 v12, v12, 23, v15
	v_or3_b32 v11, v14, v12, v11
.LBB58_1384:
	s_or_b64 exec, exec, s[6:7]
	s_nop 0
	v_mfma_f32_16x16x4f32 a[0:3], v10, v11, a[0:3]
	v_lshrrev_b32_e32 v11, 8, v17
	s_movk_i32 s4, 0x7f
	v_cmp_gt_i16_sdwa s[6:7], v11, s4 src0_sel:BYTE_0 src1_sel:DWORD
	s_mov_b64 s[4:5], 0
                                        ; implicit-def: $sgpr10
	s_and_saveexec_b64 s[8:9], s[6:7]
	s_xor_b64 s[6:7], exec, s[8:9]
	s_cbranch_execnz .LBB58_3433
; %bb.1385:
	s_or_saveexec_b64 s[6:7], s[6:7]
	v_mov_b32_e32 v10, s10
	s_xor_b64 exec, exec, s[6:7]
	s_cbranch_execnz .LBB58_3436
.LBB58_1386:
	s_or_b64 exec, exec, s[6:7]
	s_and_saveexec_b64 s[6:7], s[4:5]
	s_cbranch_execz .LBB58_1388
.LBB58_1387:
	v_bfe_u32 v10, v17, 8, 3
	v_ffbh_u32_e32 v14, v10
	v_min_u32_e32 v14, 32, v14
	v_lshrrev_b16_e32 v12, 3, v11
	v_subrev_u32_e32 v15, 28, v14
	v_and_b32_e32 v12, 15, v12
	v_lshlrev_b32_e32 v11, v15, v11
	v_sub_u32_e32 v14, 29, v14
	v_and_b32_e32 v11, 7, v11
	v_cmp_eq_u16_e32 vcc, 0, v12
	v_cndmask_b32_e32 v10, v10, v11, vcc
	v_cndmask_b32_e32 v11, v12, v14, vcc
	v_lshlrev_b32_e32 v12, 16, v17
	v_mov_b32_e32 v14, 0x3b800000
	v_lshlrev_b32_e32 v10, 20, v10
	v_and_b32_e32 v12, 0x80000000, v12
	v_lshl_add_u32 v11, v11, 23, v14
	v_or3_b32 v10, v12, v11, v10
.LBB58_1388:
	s_or_b64 exec, exec, s[6:7]
	v_lshrrev_b32_e32 v11, 8, v13
	s_movk_i32 s4, 0x7f
	v_cmp_gt_i16_sdwa s[6:7], v11, s4 src0_sel:BYTE_0 src1_sel:DWORD
	s_mov_b64 s[4:5], 0
                                        ; implicit-def: $sgpr10
	s_and_saveexec_b64 s[8:9], s[6:7]
	s_xor_b64 s[6:7], exec, s[8:9]
	s_cbranch_execnz .LBB58_3437
; %bb.1389:
	s_or_saveexec_b64 s[6:7], s[6:7]
	v_mov_b32_e32 v12, s10
	s_xor_b64 exec, exec, s[6:7]
	s_cbranch_execnz .LBB58_3440
.LBB58_1390:
	s_or_b64 exec, exec, s[6:7]
	s_and_saveexec_b64 s[6:7], s[4:5]
	s_cbranch_execz .LBB58_1392
.LBB58_1391:
	v_bfe_u32 v12, v13, 8, 3
	v_ffbh_u32_e32 v15, v12
	v_min_u32_e32 v15, 32, v15
	v_lshrrev_b16_e32 v14, 3, v11
	v_subrev_u32_e32 v16, 28, v15
	v_and_b32_e32 v14, 15, v14
	v_lshlrev_b32_e32 v11, v16, v11
	v_sub_u32_e32 v15, 29, v15
	v_and_b32_e32 v11, 7, v11
	v_cmp_eq_u16_e32 vcc, 0, v14
	v_cndmask_b32_e32 v11, v12, v11, vcc
	v_cndmask_b32_e32 v12, v14, v15, vcc
	v_lshlrev_b32_e32 v14, 16, v13
	v_mov_b32_e32 v15, 0x3b800000
	v_lshlrev_b32_e32 v11, 20, v11
	v_and_b32_e32 v14, 0x80000000, v14
	v_lshl_add_u32 v12, v12, 23, v15
	v_or3_b32 v12, v14, v12, v11
.LBB58_1392:
	s_or_b64 exec, exec, s[6:7]
	s_nop 0
	v_mfma_f32_16x16x4f32 a[0:3], v10, v12, a[0:3]
	s_movk_i32 s4, 0xff
	v_and_b32_sdwa v11, v17, s4 dst_sel:DWORD dst_unused:UNUSED_PAD src0_sel:WORD_1 src1_sel:DWORD
	s_movk_i32 s4, 0x7f
	v_cmp_lt_i16_e32 vcc, s4, v11
	s_mov_b64 s[4:5], 0
                                        ; implicit-def: $sgpr10
	s_and_saveexec_b64 s[6:7], vcc
	s_xor_b64 s[6:7], exec, s[6:7]
	s_cbranch_execnz .LBB58_3441
; %bb.1393:
	s_or_saveexec_b64 s[6:7], s[6:7]
	v_mov_b32_e32 v10, s10
	s_xor_b64 exec, exec, s[6:7]
	s_cbranch_execnz .LBB58_3444
.LBB58_1394:
	s_or_b64 exec, exec, s[6:7]
	s_and_saveexec_b64 s[6:7], s[4:5]
	s_cbranch_execz .LBB58_1396
.LBB58_1395:
	v_bfe_u32 v10, v17, 16, 3
	v_ffbh_u32_e32 v14, v10
	v_min_u32_e32 v14, 32, v14
	v_lshrrev_b32_e32 v11, 19, v17
	v_subrev_u32_e32 v15, 28, v14
	v_and_b32_e32 v11, 15, v11
	v_lshlrev_b32_sdwa v15, v15, v17 dst_sel:DWORD dst_unused:UNUSED_PAD src0_sel:DWORD src1_sel:WORD_1
	v_bfe_u32 v12, v17, 19, 4
	v_sub_u32_e32 v14, 29, v14
	v_and_b32_e32 v15, 7, v15
	v_cmp_eq_u16_e32 vcc, 0, v11
	v_cndmask_b32_e32 v10, v10, v15, vcc
	v_cndmask_b32_e32 v11, v12, v14, vcc
	v_lshlrev_b32_e32 v12, 8, v17
	v_mov_b32_e32 v14, 0x3b800000
	v_lshlrev_b32_e32 v10, 20, v10
	v_and_b32_e32 v12, 0x80000000, v12
	v_lshl_add_u32 v11, v11, 23, v14
	v_or3_b32 v10, v12, v11, v10
.LBB58_1396:
	s_or_b64 exec, exec, s[6:7]
	s_movk_i32 s4, 0xff
	v_and_b32_sdwa v11, v13, s4 dst_sel:DWORD dst_unused:UNUSED_PAD src0_sel:WORD_1 src1_sel:DWORD
	s_movk_i32 s4, 0x7f
	v_cmp_lt_i16_e32 vcc, s4, v11
	s_mov_b64 s[4:5], 0
                                        ; implicit-def: $sgpr10
	s_and_saveexec_b64 s[6:7], vcc
	s_xor_b64 s[6:7], exec, s[6:7]
	s_cbranch_execnz .LBB58_3445
; %bb.1397:
	s_or_saveexec_b64 s[6:7], s[6:7]
	v_mov_b32_e32 v12, s10
	s_xor_b64 exec, exec, s[6:7]
	s_cbranch_execnz .LBB58_3448
.LBB58_1398:
	s_or_b64 exec, exec, s[6:7]
	s_and_saveexec_b64 s[6:7], s[4:5]
	s_cbranch_execz .LBB58_1400
.LBB58_1399:
	v_bfe_u32 v11, v13, 16, 3
	v_ffbh_u32_e32 v15, v11
	v_min_u32_e32 v15, 32, v15
	v_lshrrev_b32_e32 v12, 19, v13
	v_subrev_u32_e32 v16, 28, v15
	v_and_b32_e32 v12, 15, v12
	v_lshlrev_b32_sdwa v16, v16, v13 dst_sel:DWORD dst_unused:UNUSED_PAD src0_sel:DWORD src1_sel:WORD_1
	v_bfe_u32 v14, v13, 19, 4
	v_sub_u32_e32 v15, 29, v15
	v_and_b32_e32 v16, 7, v16
	v_cmp_eq_u16_e32 vcc, 0, v12
	v_cndmask_b32_e32 v11, v11, v16, vcc
	v_cndmask_b32_e32 v12, v14, v15, vcc
	v_lshlrev_b32_e32 v14, 8, v13
	v_mov_b32_e32 v15, 0x3b800000
	v_lshlrev_b32_e32 v11, 20, v11
	v_and_b32_e32 v14, 0x80000000, v14
	v_lshl_add_u32 v12, v12, 23, v15
	v_or3_b32 v12, v14, v12, v11
.LBB58_1400:
	s_or_b64 exec, exec, s[6:7]
	s_nop 0
	v_mfma_f32_16x16x4f32 a[0:3], v10, v12, a[0:3]
	s_movk_i32 s4, 0x7f
	v_cmp_gt_i16_sdwa s[6:7], v17, s4 src0_sel:BYTE_3 src1_sel:DWORD
	s_mov_b64 s[4:5], 0
                                        ; implicit-def: $sgpr10
	s_and_saveexec_b64 s[8:9], s[6:7]
	s_xor_b64 s[6:7], exec, s[8:9]
	s_cbranch_execnz .LBB58_3449
; %bb.1401:
	s_or_saveexec_b64 s[6:7], s[6:7]
	v_mov_b32_e32 v10, s10
	s_xor_b64 exec, exec, s[6:7]
	s_cbranch_execnz .LBB58_3452
.LBB58_1402:
	s_or_b64 exec, exec, s[6:7]
	s_and_saveexec_b64 s[6:7], s[4:5]
	s_cbranch_execz .LBB58_1404
.LBB58_1403:
	v_bfe_u32 v10, v17, 24, 3
	v_ffbh_u32_e32 v15, v10
	v_min_u32_e32 v15, 32, v15
	v_lshrrev_b32_e32 v12, 27, v17
	v_subrev_u32_e32 v16, 28, v15
	v_and_b32_e32 v12, 15, v12
	v_lshlrev_b32_sdwa v16, v16, v17 dst_sel:DWORD dst_unused:UNUSED_PAD src0_sel:DWORD src1_sel:BYTE_3
	v_bfe_u32 v14, v17, 27, 4
	v_sub_u32_e32 v15, 29, v15
	v_and_b32_e32 v16, 7, v16
	v_cmp_eq_u16_e32 vcc, 0, v12
	v_cndmask_b32_e32 v10, v10, v16, vcc
	v_cndmask_b32_e32 v12, v14, v15, vcc
	v_mov_b32_e32 v14, 0x3b800000
	v_and_b32_e32 v11, 0x80000000, v17
	v_lshlrev_b32_e32 v10, 20, v10
	v_lshl_add_u32 v12, v12, 23, v14
	v_or3_b32 v10, v11, v12, v10
.LBB58_1404:
	s_or_b64 exec, exec, s[6:7]
	s_movk_i32 s4, 0x7f
	v_cmp_gt_i16_sdwa s[6:7], v13, s4 src0_sel:BYTE_3 src1_sel:DWORD
	s_mov_b64 s[4:5], 0
                                        ; implicit-def: $sgpr10
	s_and_saveexec_b64 s[8:9], s[6:7]
	s_xor_b64 s[6:7], exec, s[8:9]
	s_cbranch_execnz .LBB58_3453
; %bb.1405:
	s_or_saveexec_b64 s[6:7], s[6:7]
	v_mov_b32_e32 v11, s10
	s_xor_b64 exec, exec, s[6:7]
	s_cbranch_execnz .LBB58_3456
.LBB58_1406:
	s_or_b64 exec, exec, s[6:7]
	s_and_saveexec_b64 s[6:7], s[4:5]
	s_cbranch_execz .LBB58_1408
.LBB58_1407:
	v_bfe_u32 v11, v13, 24, 3
	v_ffbh_u32_e32 v16, v11
	v_min_u32_e32 v16, 32, v16
	v_lshrrev_b32_e32 v14, 27, v13
	v_subrev_u32_e32 v17, 28, v16
	v_and_b32_e32 v12, 0x80000000, v13
	v_and_b32_e32 v14, 15, v14
	v_bfe_u32 v15, v13, 27, 4
	v_lshlrev_b32_sdwa v13, v17, v13 dst_sel:DWORD dst_unused:UNUSED_PAD src0_sel:DWORD src1_sel:BYTE_3
	v_sub_u32_e32 v16, 29, v16
	v_and_b32_e32 v13, 7, v13
	v_cmp_eq_u16_e32 vcc, 0, v14
	v_cndmask_b32_e32 v11, v11, v13, vcc
	v_cndmask_b32_e32 v13, v15, v16, vcc
	v_mov_b32_e32 v14, 0x3b800000
	v_lshlrev_b32_e32 v11, 20, v11
	v_lshl_add_u32 v13, v13, 23, v14
	v_or3_b32 v11, v12, v13, v11
.LBB58_1408:
	s_or_b64 exec, exec, s[6:7]
	s_nop 0
	v_mfma_f32_16x16x4f32 a[0:3], v10, v11, a[0:3]
	s_movk_i32 s4, 0x7f
	v_cmp_gt_i16_sdwa s[6:7], v6, s4 src0_sel:BYTE_0 src1_sel:DWORD
	s_mov_b64 s[4:5], 0
                                        ; implicit-def: $sgpr10
	s_and_saveexec_b64 s[8:9], s[6:7]
	s_xor_b64 s[6:7], exec, s[8:9]
	s_cbranch_execnz .LBB58_3457
; %bb.1409:
	s_or_saveexec_b64 s[6:7], s[6:7]
	v_mov_b32_e32 v10, s10
	s_xor_b64 exec, exec, s[6:7]
	s_cbranch_execnz .LBB58_3460
.LBB58_1410:
	s_or_b64 exec, exec, s[6:7]
	s_and_saveexec_b64 s[6:7], s[4:5]
	s_cbranch_execz .LBB58_1412
.LBB58_1411:
	v_and_b32_e32 v10, 7, v6
	v_ffbh_u32_e32 v12, v10
	v_min_u32_e32 v12, 32, v12
	v_lshrrev_b16_e32 v11, 3, v6
	v_subrev_u32_e32 v13, 28, v12
	v_and_b32_e32 v11, 15, v11
	v_lshlrev_b32_e32 v13, v13, v6
	v_sub_u32_e32 v12, 29, v12
	v_and_b32_e32 v13, 7, v13
	v_cmp_eq_u16_e32 vcc, 0, v11
	v_cndmask_b32_e32 v10, v10, v13, vcc
	v_cndmask_b32_e32 v11, v11, v12, vcc
	v_lshlrev_b32_e32 v12, 24, v6
	v_mov_b32_e32 v13, 0x3b800000
	v_lshlrev_b32_e32 v10, 20, v10
	v_and_b32_e32 v12, 0x80000000, v12
	v_lshl_add_u32 v11, v11, 23, v13
	v_or3_b32 v10, v12, v11, v10
.LBB58_1412:
	s_or_b64 exec, exec, s[6:7]
	s_movk_i32 s4, 0x7f
	v_cmp_gt_i16_sdwa s[6:7], v2, s4 src0_sel:BYTE_0 src1_sel:DWORD
	s_mov_b64 s[4:5], 0
                                        ; implicit-def: $sgpr10
	s_and_saveexec_b64 s[8:9], s[6:7]
	s_xor_b64 s[6:7], exec, s[8:9]
	s_cbranch_execnz .LBB58_3461
; %bb.1413:
	s_or_saveexec_b64 s[6:7], s[6:7]
	v_mov_b32_e32 v11, s10
	s_xor_b64 exec, exec, s[6:7]
	s_cbranch_execnz .LBB58_3464
.LBB58_1414:
	s_or_b64 exec, exec, s[6:7]
	s_and_saveexec_b64 s[6:7], s[4:5]
	s_cbranch_execz .LBB58_1416
.LBB58_1415:
	v_and_b32_e32 v11, 7, v2
	v_ffbh_u32_e32 v13, v11
	v_min_u32_e32 v13, 32, v13
	v_lshrrev_b16_e32 v12, 3, v2
	v_subrev_u32_e32 v14, 28, v13
	v_and_b32_e32 v12, 15, v12
	v_lshlrev_b32_e32 v14, v14, v2
	v_sub_u32_e32 v13, 29, v13
	v_and_b32_e32 v14, 7, v14
	v_cmp_eq_u16_e32 vcc, 0, v12
	v_cndmask_b32_e32 v11, v11, v14, vcc
	v_cndmask_b32_e32 v12, v12, v13, vcc
	v_lshlrev_b32_e32 v13, 24, v2
	v_mov_b32_e32 v14, 0x3b800000
	v_lshlrev_b32_e32 v11, 20, v11
	v_and_b32_e32 v13, 0x80000000, v13
	v_lshl_add_u32 v12, v12, 23, v14
	v_or3_b32 v11, v13, v12, v11
.LBB58_1416:
	s_or_b64 exec, exec, s[6:7]
	s_nop 0
	v_mfma_f32_16x16x4f32 a[0:3], v10, v11, a[0:3]
	v_lshrrev_b32_e32 v11, 8, v6
	s_movk_i32 s4, 0x7f
	v_cmp_gt_i16_sdwa s[6:7], v11, s4 src0_sel:BYTE_0 src1_sel:DWORD
	s_mov_b64 s[4:5], 0
                                        ; implicit-def: $sgpr10
	s_and_saveexec_b64 s[8:9], s[6:7]
	s_xor_b64 s[6:7], exec, s[8:9]
	s_cbranch_execnz .LBB58_3465
; %bb.1417:
	s_or_saveexec_b64 s[6:7], s[6:7]
	v_mov_b32_e32 v10, s10
	s_xor_b64 exec, exec, s[6:7]
	s_cbranch_execnz .LBB58_3468
.LBB58_1418:
	s_or_b64 exec, exec, s[6:7]
	s_and_saveexec_b64 s[6:7], s[4:5]
	s_cbranch_execz .LBB58_1420
.LBB58_1419:
	v_bfe_u32 v10, v6, 8, 3
	v_ffbh_u32_e32 v13, v10
	v_min_u32_e32 v13, 32, v13
	v_lshrrev_b16_e32 v12, 3, v11
	v_subrev_u32_e32 v14, 28, v13
	v_and_b32_e32 v12, 15, v12
	v_lshlrev_b32_e32 v11, v14, v11
	v_sub_u32_e32 v13, 29, v13
	v_and_b32_e32 v11, 7, v11
	v_cmp_eq_u16_e32 vcc, 0, v12
	v_cndmask_b32_e32 v10, v10, v11, vcc
	v_cndmask_b32_e32 v11, v12, v13, vcc
	v_lshlrev_b32_e32 v12, 16, v6
	v_mov_b32_e32 v13, 0x3b800000
	v_lshlrev_b32_e32 v10, 20, v10
	v_and_b32_e32 v12, 0x80000000, v12
	v_lshl_add_u32 v11, v11, 23, v13
	v_or3_b32 v10, v12, v11, v10
.LBB58_1420:
	s_or_b64 exec, exec, s[6:7]
	v_lshrrev_b32_e32 v11, 8, v2
	s_movk_i32 s4, 0x7f
	v_cmp_gt_i16_sdwa s[6:7], v11, s4 src0_sel:BYTE_0 src1_sel:DWORD
	s_mov_b64 s[4:5], 0
                                        ; implicit-def: $sgpr10
	s_and_saveexec_b64 s[8:9], s[6:7]
	s_xor_b64 s[6:7], exec, s[8:9]
	s_cbranch_execnz .LBB58_3469
; %bb.1421:
	s_or_saveexec_b64 s[6:7], s[6:7]
	v_mov_b32_e32 v12, s10
	s_xor_b64 exec, exec, s[6:7]
	s_cbranch_execnz .LBB58_3472
.LBB58_1422:
	s_or_b64 exec, exec, s[6:7]
	s_and_saveexec_b64 s[6:7], s[4:5]
	s_cbranch_execz .LBB58_1424
.LBB58_1423:
	v_bfe_u32 v12, v2, 8, 3
	v_ffbh_u32_e32 v14, v12
	v_min_u32_e32 v14, 32, v14
	v_lshrrev_b16_e32 v13, 3, v11
	v_subrev_u32_e32 v15, 28, v14
	v_and_b32_e32 v13, 15, v13
	v_lshlrev_b32_e32 v11, v15, v11
	v_sub_u32_e32 v14, 29, v14
	v_and_b32_e32 v11, 7, v11
	v_cmp_eq_u16_e32 vcc, 0, v13
	v_cndmask_b32_e32 v11, v12, v11, vcc
	v_cndmask_b32_e32 v12, v13, v14, vcc
	v_lshlrev_b32_e32 v13, 16, v2
	v_mov_b32_e32 v14, 0x3b800000
	v_lshlrev_b32_e32 v11, 20, v11
	v_and_b32_e32 v13, 0x80000000, v13
	v_lshl_add_u32 v12, v12, 23, v14
	v_or3_b32 v12, v13, v12, v11
.LBB58_1424:
	s_or_b64 exec, exec, s[6:7]
	s_nop 0
	v_mfma_f32_16x16x4f32 a[0:3], v10, v12, a[0:3]
	s_movk_i32 s4, 0xff
	v_and_b32_sdwa v11, v6, s4 dst_sel:DWORD dst_unused:UNUSED_PAD src0_sel:WORD_1 src1_sel:DWORD
	s_movk_i32 s4, 0x7f
	v_cmp_lt_i16_e32 vcc, s4, v11
	s_mov_b64 s[4:5], 0
                                        ; implicit-def: $sgpr10
	s_and_saveexec_b64 s[6:7], vcc
	s_xor_b64 s[6:7], exec, s[6:7]
	s_cbranch_execnz .LBB58_3473
; %bb.1425:
	s_or_saveexec_b64 s[6:7], s[6:7]
	v_mov_b32_e32 v10, s10
	s_xor_b64 exec, exec, s[6:7]
	s_cbranch_execnz .LBB58_3476
.LBB58_1426:
	s_or_b64 exec, exec, s[6:7]
	s_and_saveexec_b64 s[6:7], s[4:5]
	s_cbranch_execz .LBB58_1428
.LBB58_1427:
	v_bfe_u32 v10, v6, 16, 3
	v_ffbh_u32_e32 v13, v10
	v_min_u32_e32 v13, 32, v13
	v_lshrrev_b32_e32 v11, 19, v6
	v_subrev_u32_e32 v14, 28, v13
	v_and_b32_e32 v11, 15, v11
	v_lshlrev_b32_sdwa v14, v14, v6 dst_sel:DWORD dst_unused:UNUSED_PAD src0_sel:DWORD src1_sel:WORD_1
	v_bfe_u32 v12, v6, 19, 4
	v_sub_u32_e32 v13, 29, v13
	v_and_b32_e32 v14, 7, v14
	v_cmp_eq_u16_e32 vcc, 0, v11
	v_cndmask_b32_e32 v10, v10, v14, vcc
	v_cndmask_b32_e32 v11, v12, v13, vcc
	v_lshlrev_b32_e32 v12, 8, v6
	v_mov_b32_e32 v13, 0x3b800000
	v_lshlrev_b32_e32 v10, 20, v10
	v_and_b32_e32 v12, 0x80000000, v12
	v_lshl_add_u32 v11, v11, 23, v13
	v_or3_b32 v10, v12, v11, v10
.LBB58_1428:
	s_or_b64 exec, exec, s[6:7]
	s_movk_i32 s4, 0xff
	v_and_b32_sdwa v11, v2, s4 dst_sel:DWORD dst_unused:UNUSED_PAD src0_sel:WORD_1 src1_sel:DWORD
	s_movk_i32 s4, 0x7f
	v_cmp_lt_i16_e32 vcc, s4, v11
	s_mov_b64 s[4:5], 0
                                        ; implicit-def: $sgpr10
	s_and_saveexec_b64 s[6:7], vcc
	s_xor_b64 s[6:7], exec, s[6:7]
	s_cbranch_execnz .LBB58_3477
; %bb.1429:
	s_or_saveexec_b64 s[6:7], s[6:7]
	v_mov_b32_e32 v12, s10
	s_xor_b64 exec, exec, s[6:7]
	s_cbranch_execnz .LBB58_3480
.LBB58_1430:
	s_or_b64 exec, exec, s[6:7]
	s_and_saveexec_b64 s[6:7], s[4:5]
	s_cbranch_execz .LBB58_1432
.LBB58_1431:
	v_bfe_u32 v11, v2, 16, 3
	v_ffbh_u32_e32 v14, v11
	v_min_u32_e32 v14, 32, v14
	v_lshrrev_b32_e32 v12, 19, v2
	v_subrev_u32_e32 v15, 28, v14
	v_and_b32_e32 v12, 15, v12
	v_lshlrev_b32_sdwa v15, v15, v2 dst_sel:DWORD dst_unused:UNUSED_PAD src0_sel:DWORD src1_sel:WORD_1
	v_bfe_u32 v13, v2, 19, 4
	v_sub_u32_e32 v14, 29, v14
	v_and_b32_e32 v15, 7, v15
	v_cmp_eq_u16_e32 vcc, 0, v12
	v_cndmask_b32_e32 v11, v11, v15, vcc
	v_cndmask_b32_e32 v12, v13, v14, vcc
	v_lshlrev_b32_e32 v13, 8, v2
	v_mov_b32_e32 v14, 0x3b800000
	v_lshlrev_b32_e32 v11, 20, v11
	v_and_b32_e32 v13, 0x80000000, v13
	v_lshl_add_u32 v12, v12, 23, v14
	v_or3_b32 v12, v13, v12, v11
.LBB58_1432:
	s_or_b64 exec, exec, s[6:7]
	s_nop 0
	v_mfma_f32_16x16x4f32 a[0:3], v10, v12, a[0:3]
	s_movk_i32 s4, 0x7f
	v_cmp_gt_i16_sdwa s[6:7], v6, s4 src0_sel:BYTE_3 src1_sel:DWORD
	s_mov_b64 s[4:5], 0
                                        ; implicit-def: $sgpr10
	s_and_saveexec_b64 s[8:9], s[6:7]
	s_xor_b64 s[6:7], exec, s[8:9]
	s_cbranch_execnz .LBB58_3481
; %bb.1433:
	s_or_saveexec_b64 s[6:7], s[6:7]
	v_mov_b32_e32 v10, s10
	s_xor_b64 exec, exec, s[6:7]
	s_cbranch_execnz .LBB58_3484
.LBB58_1434:
	s_or_b64 exec, exec, s[6:7]
	s_and_saveexec_b64 s[6:7], s[4:5]
	s_cbranch_execz .LBB58_1436
.LBB58_1435:
	v_bfe_u32 v10, v6, 24, 3
	v_ffbh_u32_e32 v14, v10
	v_min_u32_e32 v14, 32, v14
	v_lshrrev_b32_e32 v12, 27, v6
	v_subrev_u32_e32 v15, 28, v14
	v_and_b32_e32 v11, 0x80000000, v6
	v_and_b32_e32 v12, 15, v12
	v_bfe_u32 v13, v6, 27, 4
	v_lshlrev_b32_sdwa v6, v15, v6 dst_sel:DWORD dst_unused:UNUSED_PAD src0_sel:DWORD src1_sel:BYTE_3
	v_sub_u32_e32 v14, 29, v14
	v_and_b32_e32 v6, 7, v6
	v_cmp_eq_u16_e32 vcc, 0, v12
	v_cndmask_b32_e32 v6, v10, v6, vcc
	v_cndmask_b32_e32 v10, v13, v14, vcc
	v_mov_b32_e32 v12, 0x3b800000
	v_lshlrev_b32_e32 v6, 20, v6
	v_lshl_add_u32 v10, v10, 23, v12
	v_or3_b32 v10, v11, v10, v6
.LBB58_1436:
	s_or_b64 exec, exec, s[6:7]
	s_movk_i32 s4, 0x7f
	v_cmp_gt_i16_sdwa s[6:7], v2, s4 src0_sel:BYTE_3 src1_sel:DWORD
	s_mov_b64 s[4:5], 0
                                        ; implicit-def: $sgpr10
	s_and_saveexec_b64 s[8:9], s[6:7]
	s_xor_b64 s[6:7], exec, s[8:9]
	s_cbranch_execnz .LBB58_3485
; %bb.1437:
	s_or_saveexec_b64 s[6:7], s[6:7]
	v_mov_b32_e32 v6, s10
	s_xor_b64 exec, exec, s[6:7]
	s_cbranch_execnz .LBB58_3488
.LBB58_1438:
	s_or_b64 exec, exec, s[6:7]
	s_and_saveexec_b64 s[6:7], s[4:5]
	s_cbranch_execz .LBB58_1440
.LBB58_1439:
	v_bfe_u32 v6, v2, 24, 3
	v_ffbh_u32_e32 v14, v6
	v_min_u32_e32 v14, 32, v14
	v_lshrrev_b32_e32 v12, 27, v2
	v_subrev_u32_e32 v15, 28, v14
	v_and_b32_e32 v11, 0x80000000, v2
	v_and_b32_e32 v12, 15, v12
	v_bfe_u32 v13, v2, 27, 4
	v_lshlrev_b32_sdwa v2, v15, v2 dst_sel:DWORD dst_unused:UNUSED_PAD src0_sel:DWORD src1_sel:BYTE_3
	v_sub_u32_e32 v14, 29, v14
	v_and_b32_e32 v2, 7, v2
	v_cmp_eq_u16_e32 vcc, 0, v12
	v_cndmask_b32_e32 v2, v6, v2, vcc
	v_cndmask_b32_e32 v6, v13, v14, vcc
	v_mov_b32_e32 v12, 0x3b800000
	v_lshlrev_b32_e32 v2, 20, v2
	v_lshl_add_u32 v6, v6, 23, v12
	v_or3_b32 v6, v11, v6, v2
.LBB58_1440:
	s_or_b64 exec, exec, s[6:7]
	s_nop 0
	v_mfma_f32_16x16x4f32 a[0:3], v10, v6, a[0:3]
	s_movk_i32 s4, 0x7f
	v_cmp_gt_i16_sdwa s[6:7], v7, s4 src0_sel:BYTE_0 src1_sel:DWORD
	s_mov_b64 s[4:5], 0
                                        ; implicit-def: $sgpr10
	s_and_saveexec_b64 s[8:9], s[6:7]
	s_xor_b64 s[6:7], exec, s[8:9]
	s_cbranch_execnz .LBB58_3489
; %bb.1441:
	s_or_saveexec_b64 s[6:7], s[6:7]
	v_mov_b32_e32 v2, s10
	s_xor_b64 exec, exec, s[6:7]
	s_cbranch_execnz .LBB58_3492
.LBB58_1442:
	s_or_b64 exec, exec, s[6:7]
	s_and_saveexec_b64 s[6:7], s[4:5]
	s_cbranch_execz .LBB58_1444
.LBB58_1443:
	v_and_b32_e32 v2, 7, v7
	v_ffbh_u32_e32 v10, v2
	v_min_u32_e32 v10, 32, v10
	v_lshrrev_b16_e32 v6, 3, v7
	v_subrev_u32_e32 v11, 28, v10
	v_and_b32_e32 v6, 15, v6
	v_lshlrev_b32_e32 v11, v11, v7
	v_sub_u32_e32 v10, 29, v10
	v_and_b32_e32 v11, 7, v11
	v_cmp_eq_u16_e32 vcc, 0, v6
	v_cndmask_b32_e32 v2, v2, v11, vcc
	v_cndmask_b32_e32 v6, v6, v10, vcc
	v_lshlrev_b32_e32 v10, 24, v7
	v_mov_b32_e32 v11, 0x3b800000
	v_lshlrev_b32_e32 v2, 20, v2
	v_and_b32_e32 v10, 0x80000000, v10
	v_lshl_add_u32 v6, v6, 23, v11
	v_or3_b32 v2, v10, v6, v2
.LBB58_1444:
	s_or_b64 exec, exec, s[6:7]
	s_movk_i32 s4, 0x7f
	v_cmp_gt_i16_sdwa s[6:7], v3, s4 src0_sel:BYTE_0 src1_sel:DWORD
	s_mov_b64 s[4:5], 0
                                        ; implicit-def: $sgpr10
	s_and_saveexec_b64 s[8:9], s[6:7]
	s_xor_b64 s[6:7], exec, s[8:9]
	s_cbranch_execnz .LBB58_3493
; %bb.1445:
	s_or_saveexec_b64 s[6:7], s[6:7]
	v_mov_b32_e32 v6, s10
	s_xor_b64 exec, exec, s[6:7]
	s_cbranch_execnz .LBB58_3496
.LBB58_1446:
	s_or_b64 exec, exec, s[6:7]
	s_and_saveexec_b64 s[6:7], s[4:5]
	s_cbranch_execz .LBB58_1448
.LBB58_1447:
	v_and_b32_e32 v6, 7, v3
	v_ffbh_u32_e32 v11, v6
	v_min_u32_e32 v11, 32, v11
	v_lshrrev_b16_e32 v10, 3, v3
	v_subrev_u32_e32 v12, 28, v11
	v_and_b32_e32 v10, 15, v10
	v_lshlrev_b32_e32 v12, v12, v3
	v_sub_u32_e32 v11, 29, v11
	v_and_b32_e32 v12, 7, v12
	v_cmp_eq_u16_e32 vcc, 0, v10
	v_cndmask_b32_e32 v6, v6, v12, vcc
	v_cndmask_b32_e32 v10, v10, v11, vcc
	v_lshlrev_b32_e32 v11, 24, v3
	v_mov_b32_e32 v12, 0x3b800000
	v_lshlrev_b32_e32 v6, 20, v6
	v_and_b32_e32 v11, 0x80000000, v11
	v_lshl_add_u32 v10, v10, 23, v12
	v_or3_b32 v6, v11, v10, v6
.LBB58_1448:
	s_or_b64 exec, exec, s[6:7]
	s_nop 0
	v_mfma_f32_16x16x4f32 a[0:3], v2, v6, a[0:3]
	v_lshrrev_b32_e32 v6, 8, v7
	s_movk_i32 s4, 0x7f
	v_cmp_gt_i16_sdwa s[6:7], v6, s4 src0_sel:BYTE_0 src1_sel:DWORD
	s_mov_b64 s[4:5], 0
                                        ; implicit-def: $sgpr10
	s_and_saveexec_b64 s[8:9], s[6:7]
	s_xor_b64 s[6:7], exec, s[8:9]
	s_cbranch_execnz .LBB58_3497
; %bb.1449:
	s_or_saveexec_b64 s[6:7], s[6:7]
	v_mov_b32_e32 v2, s10
	s_xor_b64 exec, exec, s[6:7]
	s_cbranch_execnz .LBB58_3500
.LBB58_1450:
	s_or_b64 exec, exec, s[6:7]
	s_and_saveexec_b64 s[6:7], s[4:5]
	s_cbranch_execz .LBB58_1452
.LBB58_1451:
	v_bfe_u32 v2, v7, 8, 3
	v_ffbh_u32_e32 v11, v2
	v_min_u32_e32 v11, 32, v11
	v_lshrrev_b16_e32 v10, 3, v6
	v_subrev_u32_e32 v12, 28, v11
	v_and_b32_e32 v10, 15, v10
	v_lshlrev_b32_e32 v6, v12, v6
	v_sub_u32_e32 v11, 29, v11
	v_and_b32_e32 v6, 7, v6
	v_cmp_eq_u16_e32 vcc, 0, v10
	v_cndmask_b32_e32 v2, v2, v6, vcc
	v_cndmask_b32_e32 v6, v10, v11, vcc
	v_lshlrev_b32_e32 v10, 16, v7
	v_mov_b32_e32 v11, 0x3b800000
	v_lshlrev_b32_e32 v2, 20, v2
	v_and_b32_e32 v10, 0x80000000, v10
	v_lshl_add_u32 v6, v6, 23, v11
	v_or3_b32 v2, v10, v6, v2
.LBB58_1452:
	s_or_b64 exec, exec, s[6:7]
	v_lshrrev_b32_e32 v6, 8, v3
	s_movk_i32 s4, 0x7f
	v_cmp_gt_i16_sdwa s[6:7], v6, s4 src0_sel:BYTE_0 src1_sel:DWORD
	s_mov_b64 s[4:5], 0
                                        ; implicit-def: $sgpr10
	s_and_saveexec_b64 s[8:9], s[6:7]
	s_xor_b64 s[6:7], exec, s[8:9]
	s_cbranch_execnz .LBB58_3501
; %bb.1453:
	s_or_saveexec_b64 s[6:7], s[6:7]
	v_mov_b32_e32 v10, s10
	s_xor_b64 exec, exec, s[6:7]
	s_cbranch_execnz .LBB58_3504
.LBB58_1454:
	s_or_b64 exec, exec, s[6:7]
	s_and_saveexec_b64 s[6:7], s[4:5]
	s_cbranch_execz .LBB58_1456
.LBB58_1455:
	v_bfe_u32 v10, v3, 8, 3
	v_ffbh_u32_e32 v12, v10
	v_min_u32_e32 v12, 32, v12
	v_lshrrev_b16_e32 v11, 3, v6
	v_subrev_u32_e32 v13, 28, v12
	v_and_b32_e32 v11, 15, v11
	v_lshlrev_b32_e32 v6, v13, v6
	v_sub_u32_e32 v12, 29, v12
	v_and_b32_e32 v6, 7, v6
	v_cmp_eq_u16_e32 vcc, 0, v11
	v_cndmask_b32_e32 v6, v10, v6, vcc
	v_cndmask_b32_e32 v10, v11, v12, vcc
	v_lshlrev_b32_e32 v11, 16, v3
	v_mov_b32_e32 v12, 0x3b800000
	v_lshlrev_b32_e32 v6, 20, v6
	v_and_b32_e32 v11, 0x80000000, v11
	v_lshl_add_u32 v10, v10, 23, v12
	v_or3_b32 v10, v11, v10, v6
.LBB58_1456:
	s_or_b64 exec, exec, s[6:7]
	s_nop 0
	v_mfma_f32_16x16x4f32 a[0:3], v2, v10, a[0:3]
	s_movk_i32 s4, 0xff
	v_and_b32_sdwa v6, v7, s4 dst_sel:DWORD dst_unused:UNUSED_PAD src0_sel:WORD_1 src1_sel:DWORD
	s_movk_i32 s4, 0x7f
	v_cmp_lt_i16_e32 vcc, s4, v6
	s_mov_b64 s[4:5], 0
                                        ; implicit-def: $sgpr10
	s_and_saveexec_b64 s[6:7], vcc
	s_xor_b64 s[6:7], exec, s[6:7]
	s_cbranch_execnz .LBB58_3505
; %bb.1457:
	s_or_saveexec_b64 s[6:7], s[6:7]
	v_mov_b32_e32 v2, s10
	s_xor_b64 exec, exec, s[6:7]
	s_cbranch_execnz .LBB58_3508
.LBB58_1458:
	s_or_b64 exec, exec, s[6:7]
	s_and_saveexec_b64 s[6:7], s[4:5]
	s_cbranch_execz .LBB58_1460
.LBB58_1459:
	v_bfe_u32 v2, v7, 16, 3
	v_ffbh_u32_e32 v11, v2
	v_min_u32_e32 v11, 32, v11
	v_lshrrev_b32_e32 v6, 19, v7
	v_subrev_u32_e32 v12, 28, v11
	v_and_b32_e32 v6, 15, v6
	v_lshlrev_b32_sdwa v12, v12, v7 dst_sel:DWORD dst_unused:UNUSED_PAD src0_sel:DWORD src1_sel:WORD_1
	v_bfe_u32 v10, v7, 19, 4
	v_sub_u32_e32 v11, 29, v11
	v_and_b32_e32 v12, 7, v12
	v_cmp_eq_u16_e32 vcc, 0, v6
	v_cndmask_b32_e32 v2, v2, v12, vcc
	v_cndmask_b32_e32 v6, v10, v11, vcc
	v_lshlrev_b32_e32 v10, 8, v7
	v_mov_b32_e32 v11, 0x3b800000
	v_lshlrev_b32_e32 v2, 20, v2
	v_and_b32_e32 v10, 0x80000000, v10
	v_lshl_add_u32 v6, v6, 23, v11
	v_or3_b32 v2, v10, v6, v2
.LBB58_1460:
	s_or_b64 exec, exec, s[6:7]
	s_movk_i32 s4, 0xff
	v_and_b32_sdwa v6, v3, s4 dst_sel:DWORD dst_unused:UNUSED_PAD src0_sel:WORD_1 src1_sel:DWORD
	s_movk_i32 s4, 0x7f
	v_cmp_lt_i16_e32 vcc, s4, v6
	s_mov_b64 s[4:5], 0
                                        ; implicit-def: $sgpr10
	s_and_saveexec_b64 s[6:7], vcc
	s_xor_b64 s[6:7], exec, s[6:7]
	s_cbranch_execnz .LBB58_3509
; %bb.1461:
	s_or_saveexec_b64 s[6:7], s[6:7]
	v_mov_b32_e32 v10, s10
	s_xor_b64 exec, exec, s[6:7]
	s_cbranch_execnz .LBB58_3512
.LBB58_1462:
	s_or_b64 exec, exec, s[6:7]
	s_and_saveexec_b64 s[6:7], s[4:5]
	s_cbranch_execz .LBB58_1464
.LBB58_1463:
	v_bfe_u32 v6, v3, 16, 3
	v_ffbh_u32_e32 v12, v6
	v_min_u32_e32 v12, 32, v12
	v_lshrrev_b32_e32 v10, 19, v3
	v_subrev_u32_e32 v13, 28, v12
	v_and_b32_e32 v10, 15, v10
	v_lshlrev_b32_sdwa v13, v13, v3 dst_sel:DWORD dst_unused:UNUSED_PAD src0_sel:DWORD src1_sel:WORD_1
	v_bfe_u32 v11, v3, 19, 4
	v_sub_u32_e32 v12, 29, v12
	v_and_b32_e32 v13, 7, v13
	v_cmp_eq_u16_e32 vcc, 0, v10
	v_cndmask_b32_e32 v6, v6, v13, vcc
	v_cndmask_b32_e32 v10, v11, v12, vcc
	v_lshlrev_b32_e32 v11, 8, v3
	v_mov_b32_e32 v12, 0x3b800000
	v_lshlrev_b32_e32 v6, 20, v6
	v_and_b32_e32 v11, 0x80000000, v11
	v_lshl_add_u32 v10, v10, 23, v12
	v_or3_b32 v10, v11, v10, v6
.LBB58_1464:
	s_or_b64 exec, exec, s[6:7]
	s_nop 0
	v_mfma_f32_16x16x4f32 a[0:3], v2, v10, a[0:3]
	s_movk_i32 s4, 0x7f
	v_cmp_gt_i16_sdwa s[6:7], v7, s4 src0_sel:BYTE_3 src1_sel:DWORD
	s_mov_b64 s[4:5], 0
                                        ; implicit-def: $sgpr10
	s_and_saveexec_b64 s[8:9], s[6:7]
	s_xor_b64 s[6:7], exec, s[8:9]
	s_cbranch_execnz .LBB58_3513
; %bb.1465:
	s_or_saveexec_b64 s[6:7], s[6:7]
	v_mov_b32_e32 v2, s10
	s_xor_b64 exec, exec, s[6:7]
	s_cbranch_execnz .LBB58_3516
.LBB58_1466:
	s_or_b64 exec, exec, s[6:7]
	s_and_saveexec_b64 s[6:7], s[4:5]
	s_cbranch_execz .LBB58_1468
.LBB58_1467:
	v_bfe_u32 v2, v7, 24, 3
	v_ffbh_u32_e32 v12, v2
	v_min_u32_e32 v12, 32, v12
	v_lshrrev_b32_e32 v10, 27, v7
	v_subrev_u32_e32 v13, 28, v12
	v_and_b32_e32 v6, 0x80000000, v7
	v_and_b32_e32 v10, 15, v10
	v_bfe_u32 v11, v7, 27, 4
	v_lshlrev_b32_sdwa v7, v13, v7 dst_sel:DWORD dst_unused:UNUSED_PAD src0_sel:DWORD src1_sel:BYTE_3
	v_sub_u32_e32 v12, 29, v12
	v_and_b32_e32 v7, 7, v7
	v_cmp_eq_u16_e32 vcc, 0, v10
	v_cndmask_b32_e32 v2, v2, v7, vcc
	v_cndmask_b32_e32 v7, v11, v12, vcc
	v_mov_b32_e32 v10, 0x3b800000
	v_lshlrev_b32_e32 v2, 20, v2
	v_lshl_add_u32 v7, v7, 23, v10
	v_or3_b32 v2, v6, v7, v2
.LBB58_1468:
	s_or_b64 exec, exec, s[6:7]
	s_movk_i32 s4, 0x7f
	v_cmp_gt_i16_sdwa s[6:7], v3, s4 src0_sel:BYTE_3 src1_sel:DWORD
	s_mov_b64 s[4:5], 0
                                        ; implicit-def: $sgpr10
	s_and_saveexec_b64 s[8:9], s[6:7]
	s_xor_b64 s[6:7], exec, s[8:9]
	s_cbranch_execnz .LBB58_3517
; %bb.1469:
	s_or_saveexec_b64 s[6:7], s[6:7]
	v_mov_b32_e32 v6, s10
	s_xor_b64 exec, exec, s[6:7]
	s_cbranch_execnz .LBB58_3520
.LBB58_1470:
	s_or_b64 exec, exec, s[6:7]
	s_and_saveexec_b64 s[6:7], s[4:5]
	s_cbranch_execz .LBB58_1472
.LBB58_1471:
	v_bfe_u32 v6, v3, 24, 3
	v_ffbh_u32_e32 v12, v6
	v_min_u32_e32 v12, 32, v12
	v_lshrrev_b32_e32 v10, 27, v3
	v_subrev_u32_e32 v13, 28, v12
	v_and_b32_e32 v7, 0x80000000, v3
	v_and_b32_e32 v10, 15, v10
	v_bfe_u32 v11, v3, 27, 4
	v_lshlrev_b32_sdwa v3, v13, v3 dst_sel:DWORD dst_unused:UNUSED_PAD src0_sel:DWORD src1_sel:BYTE_3
	v_sub_u32_e32 v12, 29, v12
	v_and_b32_e32 v3, 7, v3
	v_cmp_eq_u16_e32 vcc, 0, v10
	v_cndmask_b32_e32 v3, v6, v3, vcc
	v_cndmask_b32_e32 v6, v11, v12, vcc
	v_mov_b32_e32 v10, 0x3b800000
	v_lshlrev_b32_e32 v3, 20, v3
	v_lshl_add_u32 v6, v6, 23, v10
	v_or3_b32 v6, v7, v6, v3
.LBB58_1472:
	s_or_b64 exec, exec, s[6:7]
	s_nop 0
	v_mfma_f32_16x16x4f32 a[0:3], v2, v6, a[0:3]
	s_movk_i32 s4, 0x7f
	v_cmp_gt_i16_sdwa s[6:7], v8, s4 src0_sel:BYTE_0 src1_sel:DWORD
	s_mov_b64 s[4:5], 0
                                        ; implicit-def: $sgpr10
	s_and_saveexec_b64 s[8:9], s[6:7]
	s_xor_b64 s[6:7], exec, s[8:9]
	s_cbranch_execnz .LBB58_3521
; %bb.1473:
	s_or_saveexec_b64 s[6:7], s[6:7]
	v_mov_b32_e32 v2, s10
	s_xor_b64 exec, exec, s[6:7]
	s_cbranch_execnz .LBB58_3524
.LBB58_1474:
	s_or_b64 exec, exec, s[6:7]
	s_and_saveexec_b64 s[6:7], s[4:5]
	s_cbranch_execz .LBB58_1476
.LBB58_1475:
	v_and_b32_e32 v2, 7, v8
	v_ffbh_u32_e32 v6, v2
	v_min_u32_e32 v6, 32, v6
	v_lshrrev_b16_e32 v3, 3, v8
	v_subrev_u32_e32 v7, 28, v6
	v_and_b32_e32 v3, 15, v3
	v_lshlrev_b32_e32 v7, v7, v8
	v_sub_u32_e32 v6, 29, v6
	v_and_b32_e32 v7, 7, v7
	v_cmp_eq_u16_e32 vcc, 0, v3
	v_cndmask_b32_e32 v2, v2, v7, vcc
	v_cndmask_b32_e32 v3, v3, v6, vcc
	v_lshlrev_b32_e32 v6, 24, v8
	v_mov_b32_e32 v7, 0x3b800000
	v_lshlrev_b32_e32 v2, 20, v2
	v_and_b32_e32 v6, 0x80000000, v6
	v_lshl_add_u32 v3, v3, 23, v7
	v_or3_b32 v2, v6, v3, v2
.LBB58_1476:
	s_or_b64 exec, exec, s[6:7]
	s_movk_i32 s4, 0x7f
	v_cmp_gt_i16_sdwa s[6:7], v4, s4 src0_sel:BYTE_0 src1_sel:DWORD
	s_mov_b64 s[4:5], 0
                                        ; implicit-def: $sgpr10
	s_and_saveexec_b64 s[8:9], s[6:7]
	s_xor_b64 s[6:7], exec, s[8:9]
	s_cbranch_execnz .LBB58_3525
; %bb.1477:
	s_or_saveexec_b64 s[6:7], s[6:7]
	v_mov_b32_e32 v3, s10
	s_xor_b64 exec, exec, s[6:7]
	s_cbranch_execnz .LBB58_3528
.LBB58_1478:
	s_or_b64 exec, exec, s[6:7]
	s_and_saveexec_b64 s[6:7], s[4:5]
	s_cbranch_execz .LBB58_1480
.LBB58_1479:
	v_and_b32_e32 v3, 7, v4
	v_ffbh_u32_e32 v7, v3
	v_min_u32_e32 v7, 32, v7
	v_lshrrev_b16_e32 v6, 3, v4
	v_subrev_u32_e32 v10, 28, v7
	v_and_b32_e32 v6, 15, v6
	v_lshlrev_b32_e32 v10, v10, v4
	v_sub_u32_e32 v7, 29, v7
	v_and_b32_e32 v10, 7, v10
	v_cmp_eq_u16_e32 vcc, 0, v6
	v_cndmask_b32_e32 v3, v3, v10, vcc
	v_cndmask_b32_e32 v6, v6, v7, vcc
	v_lshlrev_b32_e32 v7, 24, v4
	v_mov_b32_e32 v10, 0x3b800000
	v_lshlrev_b32_e32 v3, 20, v3
	v_and_b32_e32 v7, 0x80000000, v7
	v_lshl_add_u32 v6, v6, 23, v10
	v_or3_b32 v3, v7, v6, v3
.LBB58_1480:
	s_or_b64 exec, exec, s[6:7]
	s_nop 0
	v_mfma_f32_16x16x4f32 a[0:3], v2, v3, a[0:3]
	v_lshrrev_b32_e32 v3, 8, v8
	s_movk_i32 s4, 0x7f
	v_cmp_gt_i16_sdwa s[6:7], v3, s4 src0_sel:BYTE_0 src1_sel:DWORD
	s_mov_b64 s[4:5], 0
                                        ; implicit-def: $sgpr10
	s_and_saveexec_b64 s[8:9], s[6:7]
	s_xor_b64 s[6:7], exec, s[8:9]
	s_cbranch_execnz .LBB58_3529
; %bb.1481:
	s_or_saveexec_b64 s[6:7], s[6:7]
	v_mov_b32_e32 v2, s10
	s_xor_b64 exec, exec, s[6:7]
	s_cbranch_execnz .LBB58_3532
.LBB58_1482:
	s_or_b64 exec, exec, s[6:7]
	s_and_saveexec_b64 s[6:7], s[4:5]
	s_cbranch_execz .LBB58_1484
.LBB58_1483:
	v_bfe_u32 v2, v8, 8, 3
	v_ffbh_u32_e32 v7, v2
	v_min_u32_e32 v7, 32, v7
	v_lshrrev_b16_e32 v6, 3, v3
	v_subrev_u32_e32 v10, 28, v7
	v_and_b32_e32 v6, 15, v6
	v_lshlrev_b32_e32 v3, v10, v3
	v_sub_u32_e32 v7, 29, v7
	v_and_b32_e32 v3, 7, v3
	v_cmp_eq_u16_e32 vcc, 0, v6
	v_cndmask_b32_e32 v2, v2, v3, vcc
	v_cndmask_b32_e32 v3, v6, v7, vcc
	v_lshlrev_b32_e32 v6, 16, v8
	v_mov_b32_e32 v7, 0x3b800000
	v_lshlrev_b32_e32 v2, 20, v2
	v_and_b32_e32 v6, 0x80000000, v6
	v_lshl_add_u32 v3, v3, 23, v7
	v_or3_b32 v2, v6, v3, v2
.LBB58_1484:
	s_or_b64 exec, exec, s[6:7]
	v_lshrrev_b32_e32 v3, 8, v4
	s_movk_i32 s4, 0x7f
	v_cmp_gt_i16_sdwa s[6:7], v3, s4 src0_sel:BYTE_0 src1_sel:DWORD
	s_mov_b64 s[4:5], 0
                                        ; implicit-def: $sgpr10
	s_and_saveexec_b64 s[8:9], s[6:7]
	s_xor_b64 s[6:7], exec, s[8:9]
	s_cbranch_execnz .LBB58_3533
; %bb.1485:
	s_or_saveexec_b64 s[6:7], s[6:7]
	v_mov_b32_e32 v6, s10
	s_xor_b64 exec, exec, s[6:7]
	s_cbranch_execnz .LBB58_3536
.LBB58_1486:
	s_or_b64 exec, exec, s[6:7]
	s_and_saveexec_b64 s[6:7], s[4:5]
	s_cbranch_execz .LBB58_1488
.LBB58_1487:
	v_bfe_u32 v6, v4, 8, 3
	v_ffbh_u32_e32 v10, v6
	v_min_u32_e32 v10, 32, v10
	v_lshrrev_b16_e32 v7, 3, v3
	v_subrev_u32_e32 v11, 28, v10
	v_and_b32_e32 v7, 15, v7
	v_lshlrev_b32_e32 v3, v11, v3
	v_sub_u32_e32 v10, 29, v10
	v_and_b32_e32 v3, 7, v3
	v_cmp_eq_u16_e32 vcc, 0, v7
	v_cndmask_b32_e32 v3, v6, v3, vcc
	v_cndmask_b32_e32 v6, v7, v10, vcc
	v_lshlrev_b32_e32 v7, 16, v4
	v_mov_b32_e32 v10, 0x3b800000
	v_lshlrev_b32_e32 v3, 20, v3
	v_and_b32_e32 v7, 0x80000000, v7
	v_lshl_add_u32 v6, v6, 23, v10
	v_or3_b32 v6, v7, v6, v3
.LBB58_1488:
	s_or_b64 exec, exec, s[6:7]
	s_nop 0
	v_mfma_f32_16x16x4f32 a[0:3], v2, v6, a[0:3]
	s_movk_i32 s4, 0xff
	v_and_b32_sdwa v3, v8, s4 dst_sel:DWORD dst_unused:UNUSED_PAD src0_sel:WORD_1 src1_sel:DWORD
	s_movk_i32 s4, 0x7f
	v_cmp_lt_i16_e32 vcc, s4, v3
	s_mov_b64 s[4:5], 0
                                        ; implicit-def: $sgpr10
	s_and_saveexec_b64 s[6:7], vcc
	s_xor_b64 s[6:7], exec, s[6:7]
	s_cbranch_execnz .LBB58_3537
; %bb.1489:
	s_or_saveexec_b64 s[6:7], s[6:7]
	v_mov_b32_e32 v2, s10
	s_xor_b64 exec, exec, s[6:7]
	s_cbranch_execnz .LBB58_3540
.LBB58_1490:
	s_or_b64 exec, exec, s[6:7]
	s_and_saveexec_b64 s[6:7], s[4:5]
	s_cbranch_execz .LBB58_1492
.LBB58_1491:
	v_bfe_u32 v2, v8, 16, 3
	v_ffbh_u32_e32 v7, v2
	v_min_u32_e32 v7, 32, v7
	v_lshrrev_b32_e32 v3, 19, v8
	v_subrev_u32_e32 v10, 28, v7
	v_and_b32_e32 v3, 15, v3
	v_lshlrev_b32_sdwa v10, v10, v8 dst_sel:DWORD dst_unused:UNUSED_PAD src0_sel:DWORD src1_sel:WORD_1
	v_bfe_u32 v6, v8, 19, 4
	v_sub_u32_e32 v7, 29, v7
	v_and_b32_e32 v10, 7, v10
	v_cmp_eq_u16_e32 vcc, 0, v3
	v_cndmask_b32_e32 v2, v2, v10, vcc
	v_cndmask_b32_e32 v3, v6, v7, vcc
	v_lshlrev_b32_e32 v6, 8, v8
	v_mov_b32_e32 v7, 0x3b800000
	v_lshlrev_b32_e32 v2, 20, v2
	v_and_b32_e32 v6, 0x80000000, v6
	v_lshl_add_u32 v3, v3, 23, v7
	v_or3_b32 v2, v6, v3, v2
.LBB58_1492:
	s_or_b64 exec, exec, s[6:7]
	s_movk_i32 s4, 0xff
	v_and_b32_sdwa v3, v4, s4 dst_sel:DWORD dst_unused:UNUSED_PAD src0_sel:WORD_1 src1_sel:DWORD
	s_movk_i32 s4, 0x7f
	v_cmp_lt_i16_e32 vcc, s4, v3
	s_mov_b64 s[4:5], 0
                                        ; implicit-def: $sgpr10
	s_and_saveexec_b64 s[6:7], vcc
	s_xor_b64 s[6:7], exec, s[6:7]
	s_cbranch_execnz .LBB58_3541
; %bb.1493:
	s_or_saveexec_b64 s[6:7], s[6:7]
	v_mov_b32_e32 v6, s10
	s_xor_b64 exec, exec, s[6:7]
	s_cbranch_execnz .LBB58_3544
.LBB58_1494:
	s_or_b64 exec, exec, s[6:7]
	s_and_saveexec_b64 s[6:7], s[4:5]
	s_cbranch_execz .LBB58_1496
.LBB58_1495:
	v_bfe_u32 v3, v4, 16, 3
	v_ffbh_u32_e32 v10, v3
	v_min_u32_e32 v10, 32, v10
	v_lshrrev_b32_e32 v6, 19, v4
	v_subrev_u32_e32 v11, 28, v10
	v_and_b32_e32 v6, 15, v6
	v_lshlrev_b32_sdwa v11, v11, v4 dst_sel:DWORD dst_unused:UNUSED_PAD src0_sel:DWORD src1_sel:WORD_1
	v_bfe_u32 v7, v4, 19, 4
	v_sub_u32_e32 v10, 29, v10
	v_and_b32_e32 v11, 7, v11
	v_cmp_eq_u16_e32 vcc, 0, v6
	v_cndmask_b32_e32 v3, v3, v11, vcc
	v_cndmask_b32_e32 v6, v7, v10, vcc
	v_lshlrev_b32_e32 v7, 8, v4
	v_mov_b32_e32 v10, 0x3b800000
	v_lshlrev_b32_e32 v3, 20, v3
	v_and_b32_e32 v7, 0x80000000, v7
	v_lshl_add_u32 v6, v6, 23, v10
	v_or3_b32 v6, v7, v6, v3
.LBB58_1496:
	s_or_b64 exec, exec, s[6:7]
	s_nop 0
	v_mfma_f32_16x16x4f32 a[0:3], v2, v6, a[0:3]
	s_movk_i32 s4, 0x7f
	v_cmp_gt_i16_sdwa s[6:7], v8, s4 src0_sel:BYTE_3 src1_sel:DWORD
	s_mov_b64 s[4:5], 0
                                        ; implicit-def: $sgpr10
	s_and_saveexec_b64 s[8:9], s[6:7]
	s_xor_b64 s[6:7], exec, s[8:9]
	s_cbranch_execnz .LBB58_3545
; %bb.1497:
	s_or_saveexec_b64 s[6:7], s[6:7]
	v_mov_b32_e32 v2, s10
	s_xor_b64 exec, exec, s[6:7]
	s_cbranch_execnz .LBB58_3548
.LBB58_1498:
	s_or_b64 exec, exec, s[6:7]
	s_and_saveexec_b64 s[6:7], s[4:5]
	s_cbranch_execz .LBB58_1500
.LBB58_1499:
	v_bfe_u32 v2, v8, 24, 3
	v_ffbh_u32_e32 v10, v2
	v_min_u32_e32 v10, 32, v10
	v_lshrrev_b32_e32 v6, 27, v8
	v_subrev_u32_e32 v11, 28, v10
	v_and_b32_e32 v3, 0x80000000, v8
	v_and_b32_e32 v6, 15, v6
	v_bfe_u32 v7, v8, 27, 4
	v_lshlrev_b32_sdwa v8, v11, v8 dst_sel:DWORD dst_unused:UNUSED_PAD src0_sel:DWORD src1_sel:BYTE_3
	v_sub_u32_e32 v10, 29, v10
	v_and_b32_e32 v8, 7, v8
	v_cmp_eq_u16_e32 vcc, 0, v6
	v_cndmask_b32_e32 v2, v2, v8, vcc
	v_cndmask_b32_e32 v6, v7, v10, vcc
	v_mov_b32_e32 v7, 0x3b800000
	v_lshlrev_b32_e32 v2, 20, v2
	v_lshl_add_u32 v6, v6, 23, v7
	v_or3_b32 v2, v3, v6, v2
.LBB58_1500:
	s_or_b64 exec, exec, s[6:7]
	s_movk_i32 s4, 0x7f
	v_cmp_gt_i16_sdwa s[6:7], v4, s4 src0_sel:BYTE_3 src1_sel:DWORD
	s_mov_b64 s[4:5], 0
                                        ; implicit-def: $sgpr10
	s_and_saveexec_b64 s[8:9], s[6:7]
	s_xor_b64 s[6:7], exec, s[8:9]
	s_cbranch_execnz .LBB58_3549
; %bb.1501:
	s_or_saveexec_b64 s[6:7], s[6:7]
	v_mov_b32_e32 v3, s10
	s_xor_b64 exec, exec, s[6:7]
	s_cbranch_execnz .LBB58_3552
.LBB58_1502:
	s_or_b64 exec, exec, s[6:7]
	s_and_saveexec_b64 s[6:7], s[4:5]
	s_cbranch_execz .LBB58_1504
.LBB58_1503:
	v_bfe_u32 v3, v4, 24, 3
	v_ffbh_u32_e32 v10, v3
	v_min_u32_e32 v10, 32, v10
	v_lshrrev_b32_e32 v7, 27, v4
	v_subrev_u32_e32 v11, 28, v10
	v_and_b32_e32 v6, 0x80000000, v4
	v_and_b32_e32 v7, 15, v7
	v_bfe_u32 v8, v4, 27, 4
	v_lshlrev_b32_sdwa v4, v11, v4 dst_sel:DWORD dst_unused:UNUSED_PAD src0_sel:DWORD src1_sel:BYTE_3
	v_sub_u32_e32 v10, 29, v10
	v_and_b32_e32 v4, 7, v4
	v_cmp_eq_u16_e32 vcc, 0, v7
	v_cndmask_b32_e32 v3, v3, v4, vcc
	v_cndmask_b32_e32 v4, v8, v10, vcc
	v_mov_b32_e32 v7, 0x3b800000
	v_lshlrev_b32_e32 v3, 20, v3
	v_lshl_add_u32 v4, v4, 23, v7
	v_or3_b32 v3, v6, v4, v3
.LBB58_1504:
	s_or_b64 exec, exec, s[6:7]
	s_nop 0
	v_mfma_f32_16x16x4f32 a[0:3], v2, v3, a[0:3]
	s_movk_i32 s4, 0x7f
	v_cmp_gt_i16_sdwa s[6:7], v9, s4 src0_sel:BYTE_0 src1_sel:DWORD
	s_mov_b64 s[4:5], 0
                                        ; implicit-def: $sgpr10
	s_and_saveexec_b64 s[8:9], s[6:7]
	s_xor_b64 s[6:7], exec, s[8:9]
	s_cbranch_execnz .LBB58_3553
; %bb.1505:
	s_or_saveexec_b64 s[6:7], s[6:7]
	v_mov_b32_e32 v2, s10
	s_xor_b64 exec, exec, s[6:7]
	s_cbranch_execnz .LBB58_3556
.LBB58_1506:
	s_or_b64 exec, exec, s[6:7]
	s_and_saveexec_b64 s[6:7], s[4:5]
	s_cbranch_execz .LBB58_1508
.LBB58_1507:
	v_mov_b32_e32 v2, 8
	v_and_b32_e32 v3, 7, v9
	v_lshrrev_b32_sdwa v2, v2, v9 dst_sel:BYTE_1 dst_unused:UNUSED_PAD src0_sel:DWORD src1_sel:DWORD
	v_ffbh_u32_e32 v4, v3
	v_or_b32_sdwa v2, v9, v2 dst_sel:DWORD dst_unused:UNUSED_PAD src0_sel:BYTE_0 src1_sel:DWORD
	v_min_u32_e32 v4, 32, v4
	v_lshrrev_b16_e32 v2, 3, v2
	v_subrev_u32_e32 v6, 28, v4
	v_and_b32_e32 v2, 15, v2
	v_lshlrev_b32_e32 v6, v6, v9
	v_sub_u32_e32 v4, 29, v4
	v_and_b32_e32 v6, 7, v6
	v_cmp_eq_u16_e32 vcc, 0, v2
	v_cndmask_b32_e32 v3, v3, v6, vcc
	v_cndmask_b32_e32 v2, v2, v4, vcc
	v_lshlrev_b32_e32 v4, 24, v9
	v_mov_b32_e32 v6, 0x3b800000
	v_lshlrev_b32_e32 v3, 20, v3
	v_and_b32_e32 v4, 0x80000000, v4
	v_lshl_add_u32 v2, v2, 23, v6
	v_or3_b32 v2, v4, v2, v3
.LBB58_1508:
	s_or_b64 exec, exec, s[6:7]
	s_movk_i32 s4, 0x7f
	v_cmp_gt_i16_sdwa s[6:7], v5, s4 src0_sel:BYTE_0 src1_sel:DWORD
	s_mov_b64 s[4:5], 0
                                        ; implicit-def: $sgpr10
	s_and_saveexec_b64 s[8:9], s[6:7]
	s_xor_b64 s[6:7], exec, s[8:9]
	s_cbranch_execnz .LBB58_3557
; %bb.1509:
	s_or_saveexec_b64 s[6:7], s[6:7]
	v_mov_b32_e32 v3, s10
	s_xor_b64 exec, exec, s[6:7]
	s_cbranch_execnz .LBB58_3560
.LBB58_1510:
	s_or_b64 exec, exec, s[6:7]
	s_and_saveexec_b64 s[6:7], s[4:5]
	s_cbranch_execz .LBB58_1512
.LBB58_1511:
	v_mov_b32_e32 v3, 8
	v_and_b32_e32 v4, 7, v5
	v_lshrrev_b32_sdwa v3, v3, v5 dst_sel:BYTE_1 dst_unused:UNUSED_PAD src0_sel:DWORD src1_sel:DWORD
	v_ffbh_u32_e32 v6, v4
	v_or_b32_sdwa v3, v5, v3 dst_sel:DWORD dst_unused:UNUSED_PAD src0_sel:BYTE_0 src1_sel:DWORD
	v_min_u32_e32 v6, 32, v6
	v_lshrrev_b16_e32 v3, 3, v3
	v_subrev_u32_e32 v7, 28, v6
	v_and_b32_e32 v3, 15, v3
	v_lshlrev_b32_e32 v7, v7, v5
	v_sub_u32_e32 v6, 29, v6
	v_and_b32_e32 v7, 7, v7
	v_cmp_eq_u16_e32 vcc, 0, v3
	v_cndmask_b32_e32 v4, v4, v7, vcc
	v_cndmask_b32_e32 v3, v3, v6, vcc
	v_lshlrev_b32_e32 v6, 24, v5
	v_mov_b32_e32 v7, 0x3b800000
	v_lshlrev_b32_e32 v4, 20, v4
	v_and_b32_e32 v6, 0x80000000, v6
	v_lshl_add_u32 v3, v3, 23, v7
	v_or3_b32 v3, v6, v3, v4
.LBB58_1512:
	s_or_b64 exec, exec, s[6:7]
	s_nop 0
	v_mfma_f32_16x16x4f32 a[0:3], v2, v3, a[0:3]
	v_lshrrev_b32_e32 v3, 8, v9
	s_movk_i32 s4, 0x7f
	v_cmp_gt_i16_sdwa s[6:7], v3, s4 src0_sel:BYTE_0 src1_sel:DWORD
	s_mov_b64 s[4:5], 0
                                        ; implicit-def: $sgpr10
	s_and_saveexec_b64 s[8:9], s[6:7]
	s_xor_b64 s[6:7], exec, s[8:9]
	s_cbranch_execnz .LBB58_3561
; %bb.1513:
	s_or_saveexec_b64 s[6:7], s[6:7]
	v_mov_b32_e32 v2, s10
	s_xor_b64 exec, exec, s[6:7]
	s_cbranch_execnz .LBB58_3564
.LBB58_1514:
	s_or_b64 exec, exec, s[6:7]
	s_and_saveexec_b64 s[6:7], s[4:5]
	s_cbranch_execz .LBB58_1516
.LBB58_1515:
	v_bfe_u32 v2, v9, 8, 3
	v_ffbh_u32_e32 v6, v2
	v_min_u32_e32 v6, 32, v6
	v_lshrrev_b16_e32 v4, 3, v3
	v_subrev_u32_e32 v7, 28, v6
	v_and_b32_e32 v4, 15, v4
	v_lshlrev_b32_e32 v3, v7, v3
	v_sub_u32_e32 v6, 29, v6
	v_and_b32_e32 v3, 7, v3
	v_cmp_eq_u16_e32 vcc, 0, v4
	v_cndmask_b32_e32 v2, v2, v3, vcc
	v_cndmask_b32_e32 v3, v4, v6, vcc
	v_lshlrev_b32_e32 v4, 16, v9
	v_mov_b32_e32 v6, 0x3b800000
	v_lshlrev_b32_e32 v2, 20, v2
	v_and_b32_e32 v4, 0x80000000, v4
	v_lshl_add_u32 v3, v3, 23, v6
	v_or3_b32 v2, v4, v3, v2
.LBB58_1516:
	s_or_b64 exec, exec, s[6:7]
	v_lshrrev_b32_e32 v3, 8, v5
	s_movk_i32 s4, 0x7f
	v_cmp_gt_i16_sdwa s[6:7], v3, s4 src0_sel:BYTE_0 src1_sel:DWORD
	s_mov_b64 s[4:5], 0
                                        ; implicit-def: $sgpr10
	s_and_saveexec_b64 s[8:9], s[6:7]
	s_xor_b64 s[6:7], exec, s[8:9]
	s_cbranch_execnz .LBB58_3565
; %bb.1517:
	s_or_saveexec_b64 s[6:7], s[6:7]
	v_mov_b32_e32 v4, s10
	s_xor_b64 exec, exec, s[6:7]
	s_cbranch_execnz .LBB58_3568
.LBB58_1518:
	s_or_b64 exec, exec, s[6:7]
	s_and_saveexec_b64 s[6:7], s[4:5]
	s_cbranch_execz .LBB58_1520
.LBB58_1519:
	v_bfe_u32 v4, v5, 8, 3
	v_ffbh_u32_e32 v7, v4
	v_min_u32_e32 v7, 32, v7
	v_lshrrev_b16_e32 v6, 3, v3
	v_subrev_u32_e32 v8, 28, v7
	v_and_b32_e32 v6, 15, v6
	v_lshlrev_b32_e32 v3, v8, v3
	v_sub_u32_e32 v7, 29, v7
	v_and_b32_e32 v3, 7, v3
	v_cmp_eq_u16_e32 vcc, 0, v6
	v_cndmask_b32_e32 v3, v4, v3, vcc
	v_cndmask_b32_e32 v4, v6, v7, vcc
	v_lshlrev_b32_e32 v6, 16, v5
	v_mov_b32_e32 v7, 0x3b800000
	v_lshlrev_b32_e32 v3, 20, v3
	v_and_b32_e32 v6, 0x80000000, v6
	v_lshl_add_u32 v4, v4, 23, v7
	v_or3_b32 v4, v6, v4, v3
.LBB58_1520:
	s_or_b64 exec, exec, s[6:7]
	s_nop 0
	v_mfma_f32_16x16x4f32 a[0:3], v2, v4, a[0:3]
	s_movk_i32 s4, 0xff
	v_and_b32_sdwa v3, v9, s4 dst_sel:DWORD dst_unused:UNUSED_PAD src0_sel:WORD_1 src1_sel:DWORD
	s_movk_i32 s4, 0x7f
	v_cmp_lt_i16_e32 vcc, s4, v3
	s_mov_b64 s[4:5], 0
                                        ; implicit-def: $sgpr10
	s_and_saveexec_b64 s[6:7], vcc
	s_xor_b64 s[6:7], exec, s[6:7]
	s_cbranch_execnz .LBB58_3569
; %bb.1521:
	s_or_saveexec_b64 s[6:7], s[6:7]
	v_mov_b32_e32 v2, s10
	s_xor_b64 exec, exec, s[6:7]
	s_cbranch_execnz .LBB58_3572
.LBB58_1522:
	s_or_b64 exec, exec, s[6:7]
	s_and_saveexec_b64 s[6:7], s[4:5]
	s_cbranch_execz .LBB58_1524
.LBB58_1523:
	v_bfe_u32 v2, v9, 16, 3
	v_ffbh_u32_e32 v6, v2
	v_min_u32_e32 v6, 32, v6
	v_lshrrev_b32_e32 v3, 19, v9
	v_subrev_u32_e32 v7, 28, v6
	v_and_b32_e32 v3, 15, v3
	v_lshlrev_b32_sdwa v7, v7, v9 dst_sel:DWORD dst_unused:UNUSED_PAD src0_sel:DWORD src1_sel:WORD_1
	v_bfe_u32 v4, v9, 19, 4
	v_sub_u32_e32 v6, 29, v6
	v_and_b32_e32 v7, 7, v7
	v_cmp_eq_u16_e32 vcc, 0, v3
	v_cndmask_b32_e32 v2, v2, v7, vcc
	v_cndmask_b32_e32 v3, v4, v6, vcc
	v_lshlrev_b32_e32 v4, 8, v9
	v_mov_b32_e32 v6, 0x3b800000
	v_lshlrev_b32_e32 v2, 20, v2
	v_and_b32_e32 v4, 0x80000000, v4
	v_lshl_add_u32 v3, v3, 23, v6
	v_or3_b32 v2, v4, v3, v2
.LBB58_1524:
	s_or_b64 exec, exec, s[6:7]
	s_movk_i32 s4, 0xff
	v_and_b32_sdwa v3, v5, s4 dst_sel:DWORD dst_unused:UNUSED_PAD src0_sel:WORD_1 src1_sel:DWORD
	s_movk_i32 s4, 0x7f
	v_cmp_lt_i16_e32 vcc, s4, v3
	s_mov_b64 s[4:5], 0
                                        ; implicit-def: $sgpr10
	s_and_saveexec_b64 s[6:7], vcc
	s_xor_b64 s[6:7], exec, s[6:7]
	s_cbranch_execnz .LBB58_3573
; %bb.1525:
	s_or_saveexec_b64 s[6:7], s[6:7]
	v_mov_b32_e32 v4, s10
	s_xor_b64 exec, exec, s[6:7]
	s_cbranch_execnz .LBB58_3576
.LBB58_1526:
	s_or_b64 exec, exec, s[6:7]
	s_and_saveexec_b64 s[6:7], s[4:5]
	s_cbranch_execz .LBB58_1528
.LBB58_1527:
	v_bfe_u32 v3, v5, 16, 3
	v_ffbh_u32_e32 v7, v3
	v_min_u32_e32 v7, 32, v7
	v_lshrrev_b32_e32 v4, 19, v5
	v_subrev_u32_e32 v8, 28, v7
	v_and_b32_e32 v4, 15, v4
	v_lshlrev_b32_sdwa v8, v8, v5 dst_sel:DWORD dst_unused:UNUSED_PAD src0_sel:DWORD src1_sel:WORD_1
	v_bfe_u32 v6, v5, 19, 4
	v_sub_u32_e32 v7, 29, v7
	v_and_b32_e32 v8, 7, v8
	v_cmp_eq_u16_e32 vcc, 0, v4
	v_cndmask_b32_e32 v3, v3, v8, vcc
	v_cndmask_b32_e32 v4, v6, v7, vcc
	v_lshlrev_b32_e32 v6, 8, v5
	v_mov_b32_e32 v7, 0x3b800000
	v_lshlrev_b32_e32 v3, 20, v3
	v_and_b32_e32 v6, 0x80000000, v6
	v_lshl_add_u32 v4, v4, 23, v7
	v_or3_b32 v4, v6, v4, v3
.LBB58_1528:
	s_or_b64 exec, exec, s[6:7]
	s_nop 0
	v_mfma_f32_16x16x4f32 a[0:3], v2, v4, a[0:3]
	s_movk_i32 s4, 0x7f
	v_cmp_gt_i16_sdwa s[6:7], v9, s4 src0_sel:BYTE_3 src1_sel:DWORD
	s_mov_b64 s[4:5], 0
                                        ; implicit-def: $sgpr10
	s_and_saveexec_b64 s[8:9], s[6:7]
	s_xor_b64 s[6:7], exec, s[8:9]
	s_cbranch_execnz .LBB58_3577
; %bb.1529:
	s_or_saveexec_b64 s[6:7], s[6:7]
	v_mov_b32_e32 v2, s10
	s_xor_b64 exec, exec, s[6:7]
	s_cbranch_execnz .LBB58_3580
.LBB58_1530:
	s_or_b64 exec, exec, s[6:7]
	s_and_saveexec_b64 s[6:7], s[4:5]
	s_cbranch_execz .LBB58_1532
.LBB58_1531:
	v_bfe_u32 v2, v9, 24, 3
	v_ffbh_u32_e32 v7, v2
	v_min_u32_e32 v7, 32, v7
	v_lshrrev_b32_e32 v4, 27, v9
	v_subrev_u32_e32 v8, 28, v7
	v_and_b32_e32 v4, 15, v4
	v_lshlrev_b32_sdwa v8, v8, v9 dst_sel:DWORD dst_unused:UNUSED_PAD src0_sel:DWORD src1_sel:BYTE_3
	v_bfe_u32 v6, v9, 27, 4
	v_sub_u32_e32 v7, 29, v7
	v_and_b32_e32 v8, 7, v8
	v_cmp_eq_u16_e32 vcc, 0, v4
	v_cndmask_b32_e32 v2, v2, v8, vcc
	v_cndmask_b32_e32 v4, v6, v7, vcc
	v_mov_b32_e32 v6, 0x3b800000
	v_and_b32_e32 v3, 0x80000000, v9
	v_lshlrev_b32_e32 v2, 20, v2
	v_lshl_add_u32 v4, v4, 23, v6
	v_or3_b32 v2, v3, v4, v2
.LBB58_1532:
	s_or_b64 exec, exec, s[6:7]
	s_movk_i32 s4, 0x7f
	v_cmp_gt_i16_sdwa s[6:7], v5, s4 src0_sel:BYTE_3 src1_sel:DWORD
	s_mov_b64 s[4:5], 0
                                        ; implicit-def: $sgpr10
	s_and_saveexec_b64 s[8:9], s[6:7]
	s_xor_b64 s[6:7], exec, s[8:9]
	s_cbranch_execnz .LBB58_3581
; %bb.1533:
	s_or_saveexec_b64 s[6:7], s[6:7]
	v_mov_b32_e32 v3, s10
	s_xor_b64 exec, exec, s[6:7]
	s_cbranch_execnz .LBB58_3584
.LBB58_1534:
	s_or_b64 exec, exec, s[6:7]
	s_and_saveexec_b64 s[6:7], s[4:5]
	s_cbranch_execz .LBB58_1536
.LBB58_1535:
	v_bfe_u32 v3, v5, 24, 3
	v_ffbh_u32_e32 v8, v3
	v_min_u32_e32 v8, 32, v8
	v_lshrrev_b32_e32 v6, 27, v5
	v_subrev_u32_e32 v9, 28, v8
	v_and_b32_e32 v4, 0x80000000, v5
	v_and_b32_e32 v6, 15, v6
	v_bfe_u32 v7, v5, 27, 4
	v_lshlrev_b32_sdwa v5, v9, v5 dst_sel:DWORD dst_unused:UNUSED_PAD src0_sel:DWORD src1_sel:BYTE_3
	v_sub_u32_e32 v8, 29, v8
	v_and_b32_e32 v5, 7, v5
	v_cmp_eq_u16_e32 vcc, 0, v6
	v_cndmask_b32_e32 v3, v3, v5, vcc
	v_cndmask_b32_e32 v5, v7, v8, vcc
	v_mov_b32_e32 v6, 0x3b800000
	v_lshlrev_b32_e32 v3, 20, v3
	v_lshl_add_u32 v5, v5, 23, v6
	v_or3_b32 v3, v4, v5, v3
.LBB58_1536:
	s_or_b64 exec, exec, s[6:7]
	s_nop 0
	v_mfma_f32_16x16x4f32 a[0:3], v2, v3, a[0:3]
	s_movk_i32 s4, 0x7f
                                        ; implicit-def: $sgpr10
	s_nop 7
	s_nop 1
	flat_store_dwordx4 v[18:19], a[0:3] offset:848
	flat_load_dwordx4 v[20:23], v[0:1] offset:8
	s_nop 0
	flat_load_dwordx2 v[18:19], v[0:1] offset:24
	s_waitcnt vmcnt(0) lgkmcnt(0)
	flat_load_dwordx4 v[14:17], v[20:21]
	flat_load_dwordx4 v[6:9], v[20:21] offset:16
	flat_load_dwordx4 v[10:13], v[22:23] offset:448
	;; [unrolled: 1-line block ×3, first 2 shown]
	s_waitcnt vmcnt(0) lgkmcnt(0)
	v_cmp_gt_i16_sdwa s[6:7], v14, s4 src0_sel:BYTE_0 src1_sel:DWORD
	s_mov_b64 s[4:5], 0
	s_and_saveexec_b64 s[8:9], s[6:7]
	s_xor_b64 s[6:7], exec, s[8:9]
	s_cbranch_execnz .LBB58_3585
; %bb.1537:
	s_or_saveexec_b64 s[6:7], s[6:7]
	v_mov_b32_e32 v20, s10
	s_xor_b64 exec, exec, s[6:7]
	s_cbranch_execnz .LBB58_3588
.LBB58_1538:
	s_or_b64 exec, exec, s[6:7]
	s_and_saveexec_b64 s[6:7], s[4:5]
	s_cbranch_execz .LBB58_1540
.LBB58_1539:
	v_and_b32_e32 v20, 7, v14
	v_ffbh_u32_e32 v22, v20
	v_min_u32_e32 v22, 32, v22
	v_lshrrev_b16_e32 v21, 3, v14
	v_subrev_u32_e32 v23, 28, v22
	v_and_b32_e32 v21, 15, v21
	v_lshlrev_b32_e32 v23, v23, v14
	v_sub_u32_e32 v22, 29, v22
	v_and_b32_e32 v23, 7, v23
	v_cmp_eq_u16_e32 vcc, 0, v21
	v_cndmask_b32_e32 v20, v20, v23, vcc
	v_cndmask_b32_e32 v21, v21, v22, vcc
	v_lshlrev_b32_e32 v22, 24, v14
	v_mov_b32_e32 v23, 0x3b800000
	v_lshlrev_b32_e32 v20, 20, v20
	v_and_b32_e32 v22, 0x80000000, v22
	v_lshl_add_u32 v21, v21, 23, v23
	v_or3_b32 v20, v22, v21, v20
.LBB58_1540:
	s_or_b64 exec, exec, s[6:7]
	s_movk_i32 s4, 0x7f
	v_cmp_gt_i16_sdwa s[6:7], v10, s4 src0_sel:BYTE_0 src1_sel:DWORD
	s_mov_b64 s[4:5], 0
                                        ; implicit-def: $sgpr10
	s_and_saveexec_b64 s[8:9], s[6:7]
	s_xor_b64 s[6:7], exec, s[8:9]
	s_cbranch_execnz .LBB58_3589
; %bb.1541:
	s_or_saveexec_b64 s[6:7], s[6:7]
	v_mov_b32_e32 v21, s10
	s_xor_b64 exec, exec, s[6:7]
	s_cbranch_execnz .LBB58_3592
.LBB58_1542:
	s_or_b64 exec, exec, s[6:7]
	s_and_saveexec_b64 s[6:7], s[4:5]
	s_cbranch_execz .LBB58_1544
.LBB58_1543:
	v_and_b32_e32 v21, 7, v10
	v_ffbh_u32_e32 v23, v21
	v_min_u32_e32 v23, 32, v23
	v_lshrrev_b16_e32 v22, 3, v10
	v_subrev_u32_e32 v24, 28, v23
	v_and_b32_e32 v22, 15, v22
	v_lshlrev_b32_e32 v24, v24, v10
	v_sub_u32_e32 v23, 29, v23
	v_and_b32_e32 v24, 7, v24
	v_cmp_eq_u16_e32 vcc, 0, v22
	v_cndmask_b32_e32 v21, v21, v24, vcc
	v_cndmask_b32_e32 v22, v22, v23, vcc
	v_lshlrev_b32_e32 v23, 24, v10
	v_mov_b32_e32 v24, 0x3b800000
	v_lshlrev_b32_e32 v21, 20, v21
	v_and_b32_e32 v23, 0x80000000, v23
	v_lshl_add_u32 v22, v22, 23, v24
	v_or3_b32 v21, v23, v22, v21
.LBB58_1544:
	s_or_b64 exec, exec, s[6:7]
	flat_load_dwordx4 a[0:3], v[18:19] offset:864
	s_movk_i32 s4, 0x7f
                                        ; implicit-def: $sgpr10
	s_waitcnt vmcnt(0) lgkmcnt(0)
	v_mfma_f32_16x16x4f32 a[0:3], v20, v21, a[0:3]
	v_lshrrev_b32_e32 v21, 8, v14
	v_cmp_gt_i16_sdwa s[6:7], v21, s4 src0_sel:BYTE_0 src1_sel:DWORD
	s_mov_b64 s[4:5], 0
	s_and_saveexec_b64 s[8:9], s[6:7]
	s_xor_b64 s[6:7], exec, s[8:9]
	s_cbranch_execnz .LBB58_3593
; %bb.1545:
	s_or_saveexec_b64 s[6:7], s[6:7]
	v_mov_b32_e32 v20, s10
	s_xor_b64 exec, exec, s[6:7]
	s_cbranch_execnz .LBB58_3596
.LBB58_1546:
	s_or_b64 exec, exec, s[6:7]
	s_and_saveexec_b64 s[6:7], s[4:5]
	s_cbranch_execz .LBB58_1548
.LBB58_1547:
	v_bfe_u32 v20, v14, 8, 3
	v_ffbh_u32_e32 v23, v20
	v_min_u32_e32 v23, 32, v23
	v_lshrrev_b16_e32 v22, 3, v21
	v_subrev_u32_e32 v24, 28, v23
	v_and_b32_e32 v22, 15, v22
	v_lshlrev_b32_e32 v21, v24, v21
	v_sub_u32_e32 v23, 29, v23
	v_and_b32_e32 v21, 7, v21
	v_cmp_eq_u16_e32 vcc, 0, v22
	v_cndmask_b32_e32 v20, v20, v21, vcc
	v_cndmask_b32_e32 v21, v22, v23, vcc
	v_lshlrev_b32_e32 v22, 16, v14
	v_mov_b32_e32 v23, 0x3b800000
	v_lshlrev_b32_e32 v20, 20, v20
	v_and_b32_e32 v22, 0x80000000, v22
	v_lshl_add_u32 v21, v21, 23, v23
	v_or3_b32 v20, v22, v21, v20
.LBB58_1548:
	s_or_b64 exec, exec, s[6:7]
	v_lshrrev_b32_e32 v21, 8, v10
	s_movk_i32 s4, 0x7f
	v_cmp_gt_i16_sdwa s[6:7], v21, s4 src0_sel:BYTE_0 src1_sel:DWORD
	s_mov_b64 s[4:5], 0
                                        ; implicit-def: $sgpr10
	s_and_saveexec_b64 s[8:9], s[6:7]
	s_xor_b64 s[6:7], exec, s[8:9]
	s_cbranch_execnz .LBB58_3597
; %bb.1549:
	s_or_saveexec_b64 s[6:7], s[6:7]
	v_mov_b32_e32 v22, s10
	s_xor_b64 exec, exec, s[6:7]
	s_cbranch_execnz .LBB58_3600
.LBB58_1550:
	s_or_b64 exec, exec, s[6:7]
	s_and_saveexec_b64 s[6:7], s[4:5]
	s_cbranch_execz .LBB58_1552
.LBB58_1551:
	v_bfe_u32 v22, v10, 8, 3
	v_ffbh_u32_e32 v24, v22
	v_min_u32_e32 v24, 32, v24
	v_lshrrev_b16_e32 v23, 3, v21
	v_subrev_u32_e32 v25, 28, v24
	v_and_b32_e32 v23, 15, v23
	v_lshlrev_b32_e32 v21, v25, v21
	v_sub_u32_e32 v24, 29, v24
	v_and_b32_e32 v21, 7, v21
	v_cmp_eq_u16_e32 vcc, 0, v23
	v_cndmask_b32_e32 v21, v22, v21, vcc
	v_cndmask_b32_e32 v22, v23, v24, vcc
	v_lshlrev_b32_e32 v23, 16, v10
	v_mov_b32_e32 v24, 0x3b800000
	v_lshlrev_b32_e32 v21, 20, v21
	v_and_b32_e32 v23, 0x80000000, v23
	v_lshl_add_u32 v22, v22, 23, v24
	v_or3_b32 v22, v23, v22, v21
.LBB58_1552:
	s_or_b64 exec, exec, s[6:7]
	s_nop 0
	v_mfma_f32_16x16x4f32 a[0:3], v20, v22, a[0:3]
	s_movk_i32 s4, 0xff
	v_and_b32_sdwa v21, v14, s4 dst_sel:DWORD dst_unused:UNUSED_PAD src0_sel:WORD_1 src1_sel:DWORD
	s_movk_i32 s4, 0x7f
	v_cmp_lt_i16_e32 vcc, s4, v21
	s_mov_b64 s[4:5], 0
                                        ; implicit-def: $sgpr10
	s_and_saveexec_b64 s[6:7], vcc
	s_xor_b64 s[6:7], exec, s[6:7]
	s_cbranch_execnz .LBB58_3601
; %bb.1553:
	s_or_saveexec_b64 s[6:7], s[6:7]
	v_mov_b32_e32 v20, s10
	s_xor_b64 exec, exec, s[6:7]
	s_cbranch_execnz .LBB58_3604
.LBB58_1554:
	s_or_b64 exec, exec, s[6:7]
	s_and_saveexec_b64 s[6:7], s[4:5]
	s_cbranch_execz .LBB58_1556
.LBB58_1555:
	v_bfe_u32 v20, v14, 16, 3
	v_ffbh_u32_e32 v23, v20
	v_min_u32_e32 v23, 32, v23
	v_lshrrev_b32_e32 v21, 19, v14
	v_subrev_u32_e32 v24, 28, v23
	v_and_b32_e32 v21, 15, v21
	v_lshlrev_b32_sdwa v24, v24, v14 dst_sel:DWORD dst_unused:UNUSED_PAD src0_sel:DWORD src1_sel:WORD_1
	v_bfe_u32 v22, v14, 19, 4
	v_sub_u32_e32 v23, 29, v23
	v_and_b32_e32 v24, 7, v24
	v_cmp_eq_u16_e32 vcc, 0, v21
	v_cndmask_b32_e32 v20, v20, v24, vcc
	v_cndmask_b32_e32 v21, v22, v23, vcc
	v_lshlrev_b32_e32 v22, 8, v14
	v_mov_b32_e32 v23, 0x3b800000
	v_lshlrev_b32_e32 v20, 20, v20
	v_and_b32_e32 v22, 0x80000000, v22
	v_lshl_add_u32 v21, v21, 23, v23
	v_or3_b32 v20, v22, v21, v20
.LBB58_1556:
	s_or_b64 exec, exec, s[6:7]
	s_movk_i32 s4, 0xff
	v_and_b32_sdwa v21, v10, s4 dst_sel:DWORD dst_unused:UNUSED_PAD src0_sel:WORD_1 src1_sel:DWORD
	s_movk_i32 s4, 0x7f
	v_cmp_lt_i16_e32 vcc, s4, v21
	s_mov_b64 s[4:5], 0
                                        ; implicit-def: $sgpr10
	s_and_saveexec_b64 s[6:7], vcc
	s_xor_b64 s[6:7], exec, s[6:7]
	s_cbranch_execnz .LBB58_3605
; %bb.1557:
	s_or_saveexec_b64 s[6:7], s[6:7]
	v_mov_b32_e32 v22, s10
	s_xor_b64 exec, exec, s[6:7]
	s_cbranch_execnz .LBB58_3608
.LBB58_1558:
	s_or_b64 exec, exec, s[6:7]
	s_and_saveexec_b64 s[6:7], s[4:5]
	s_cbranch_execz .LBB58_1560
.LBB58_1559:
	v_bfe_u32 v21, v10, 16, 3
	v_ffbh_u32_e32 v24, v21
	v_min_u32_e32 v24, 32, v24
	v_lshrrev_b32_e32 v22, 19, v10
	v_subrev_u32_e32 v25, 28, v24
	v_and_b32_e32 v22, 15, v22
	v_lshlrev_b32_sdwa v25, v25, v10 dst_sel:DWORD dst_unused:UNUSED_PAD src0_sel:DWORD src1_sel:WORD_1
	v_bfe_u32 v23, v10, 19, 4
	v_sub_u32_e32 v24, 29, v24
	v_and_b32_e32 v25, 7, v25
	v_cmp_eq_u16_e32 vcc, 0, v22
	v_cndmask_b32_e32 v21, v21, v25, vcc
	v_cndmask_b32_e32 v22, v23, v24, vcc
	v_lshlrev_b32_e32 v23, 8, v10
	v_mov_b32_e32 v24, 0x3b800000
	v_lshlrev_b32_e32 v21, 20, v21
	v_and_b32_e32 v23, 0x80000000, v23
	v_lshl_add_u32 v22, v22, 23, v24
	v_or3_b32 v22, v23, v22, v21
.LBB58_1560:
	s_or_b64 exec, exec, s[6:7]
	s_nop 0
	v_mfma_f32_16x16x4f32 a[0:3], v20, v22, a[0:3]
	s_movk_i32 s4, 0x7f
	v_cmp_gt_i16_sdwa s[6:7], v14, s4 src0_sel:BYTE_3 src1_sel:DWORD
	s_mov_b64 s[4:5], 0
                                        ; implicit-def: $sgpr10
	s_and_saveexec_b64 s[8:9], s[6:7]
	s_xor_b64 s[6:7], exec, s[8:9]
	s_cbranch_execnz .LBB58_3609
; %bb.1561:
	s_or_saveexec_b64 s[6:7], s[6:7]
	v_mov_b32_e32 v20, s10
	s_xor_b64 exec, exec, s[6:7]
	s_cbranch_execnz .LBB58_3612
.LBB58_1562:
	s_or_b64 exec, exec, s[6:7]
	s_and_saveexec_b64 s[6:7], s[4:5]
	s_cbranch_execz .LBB58_1564
.LBB58_1563:
	v_bfe_u32 v20, v14, 24, 3
	v_ffbh_u32_e32 v24, v20
	v_min_u32_e32 v24, 32, v24
	v_lshrrev_b32_e32 v22, 27, v14
	v_subrev_u32_e32 v25, 28, v24
	v_and_b32_e32 v21, 0x80000000, v14
	v_and_b32_e32 v22, 15, v22
	v_bfe_u32 v23, v14, 27, 4
	v_lshlrev_b32_sdwa v14, v25, v14 dst_sel:DWORD dst_unused:UNUSED_PAD src0_sel:DWORD src1_sel:BYTE_3
	v_sub_u32_e32 v24, 29, v24
	v_and_b32_e32 v14, 7, v14
	v_cmp_eq_u16_e32 vcc, 0, v22
	v_cndmask_b32_e32 v14, v20, v14, vcc
	v_cndmask_b32_e32 v20, v23, v24, vcc
	v_mov_b32_e32 v22, 0x3b800000
	v_lshlrev_b32_e32 v14, 20, v14
	v_lshl_add_u32 v20, v20, 23, v22
	v_or3_b32 v20, v21, v20, v14
.LBB58_1564:
	s_or_b64 exec, exec, s[6:7]
	s_movk_i32 s4, 0x7f
	v_cmp_gt_i16_sdwa s[6:7], v10, s4 src0_sel:BYTE_3 src1_sel:DWORD
	s_mov_b64 s[4:5], 0
                                        ; implicit-def: $sgpr10
	s_and_saveexec_b64 s[8:9], s[6:7]
	s_xor_b64 s[6:7], exec, s[8:9]
	s_cbranch_execnz .LBB58_3613
; %bb.1565:
	s_or_saveexec_b64 s[6:7], s[6:7]
	v_mov_b32_e32 v14, s10
	s_xor_b64 exec, exec, s[6:7]
	s_cbranch_execnz .LBB58_3616
.LBB58_1566:
	s_or_b64 exec, exec, s[6:7]
	s_and_saveexec_b64 s[6:7], s[4:5]
	s_cbranch_execz .LBB58_1568
.LBB58_1567:
	v_bfe_u32 v14, v10, 24, 3
	v_ffbh_u32_e32 v24, v14
	v_min_u32_e32 v24, 32, v24
	v_lshrrev_b32_e32 v22, 27, v10
	v_subrev_u32_e32 v25, 28, v24
	v_and_b32_e32 v21, 0x80000000, v10
	v_and_b32_e32 v22, 15, v22
	v_bfe_u32 v23, v10, 27, 4
	v_lshlrev_b32_sdwa v10, v25, v10 dst_sel:DWORD dst_unused:UNUSED_PAD src0_sel:DWORD src1_sel:BYTE_3
	v_sub_u32_e32 v24, 29, v24
	v_and_b32_e32 v10, 7, v10
	v_cmp_eq_u16_e32 vcc, 0, v22
	v_cndmask_b32_e32 v10, v14, v10, vcc
	v_cndmask_b32_e32 v14, v23, v24, vcc
	v_mov_b32_e32 v22, 0x3b800000
	v_lshlrev_b32_e32 v10, 20, v10
	v_lshl_add_u32 v14, v14, 23, v22
	v_or3_b32 v14, v21, v14, v10
.LBB58_1568:
	s_or_b64 exec, exec, s[6:7]
	s_nop 0
	v_mfma_f32_16x16x4f32 a[0:3], v20, v14, a[0:3]
	s_movk_i32 s4, 0x7f
	v_cmp_gt_i16_sdwa s[6:7], v15, s4 src0_sel:BYTE_0 src1_sel:DWORD
	s_mov_b64 s[4:5], 0
                                        ; implicit-def: $sgpr10
	s_and_saveexec_b64 s[8:9], s[6:7]
	s_xor_b64 s[6:7], exec, s[8:9]
	s_cbranch_execnz .LBB58_3617
; %bb.1569:
	s_or_saveexec_b64 s[6:7], s[6:7]
	v_mov_b32_e32 v10, s10
	s_xor_b64 exec, exec, s[6:7]
	s_cbranch_execnz .LBB58_3620
.LBB58_1570:
	s_or_b64 exec, exec, s[6:7]
	s_and_saveexec_b64 s[6:7], s[4:5]
	s_cbranch_execz .LBB58_1572
.LBB58_1571:
	v_and_b32_e32 v10, 7, v15
	v_ffbh_u32_e32 v20, v10
	v_min_u32_e32 v20, 32, v20
	v_lshrrev_b16_e32 v14, 3, v15
	v_subrev_u32_e32 v21, 28, v20
	v_and_b32_e32 v14, 15, v14
	v_lshlrev_b32_e32 v21, v21, v15
	v_sub_u32_e32 v20, 29, v20
	v_and_b32_e32 v21, 7, v21
	v_cmp_eq_u16_e32 vcc, 0, v14
	v_cndmask_b32_e32 v10, v10, v21, vcc
	v_cndmask_b32_e32 v14, v14, v20, vcc
	v_lshlrev_b32_e32 v20, 24, v15
	v_mov_b32_e32 v21, 0x3b800000
	v_lshlrev_b32_e32 v10, 20, v10
	v_and_b32_e32 v20, 0x80000000, v20
	v_lshl_add_u32 v14, v14, 23, v21
	v_or3_b32 v10, v20, v14, v10
.LBB58_1572:
	s_or_b64 exec, exec, s[6:7]
	s_movk_i32 s4, 0x7f
	v_cmp_gt_i16_sdwa s[6:7], v11, s4 src0_sel:BYTE_0 src1_sel:DWORD
	s_mov_b64 s[4:5], 0
                                        ; implicit-def: $sgpr10
	s_and_saveexec_b64 s[8:9], s[6:7]
	s_xor_b64 s[6:7], exec, s[8:9]
	s_cbranch_execnz .LBB58_3621
; %bb.1573:
	s_or_saveexec_b64 s[6:7], s[6:7]
	v_mov_b32_e32 v14, s10
	s_xor_b64 exec, exec, s[6:7]
	s_cbranch_execnz .LBB58_3624
.LBB58_1574:
	s_or_b64 exec, exec, s[6:7]
	s_and_saveexec_b64 s[6:7], s[4:5]
	s_cbranch_execz .LBB58_1576
.LBB58_1575:
	v_and_b32_e32 v14, 7, v11
	v_ffbh_u32_e32 v21, v14
	v_min_u32_e32 v21, 32, v21
	v_lshrrev_b16_e32 v20, 3, v11
	v_subrev_u32_e32 v22, 28, v21
	v_and_b32_e32 v20, 15, v20
	v_lshlrev_b32_e32 v22, v22, v11
	v_sub_u32_e32 v21, 29, v21
	v_and_b32_e32 v22, 7, v22
	v_cmp_eq_u16_e32 vcc, 0, v20
	v_cndmask_b32_e32 v14, v14, v22, vcc
	v_cndmask_b32_e32 v20, v20, v21, vcc
	v_lshlrev_b32_e32 v21, 24, v11
	v_mov_b32_e32 v22, 0x3b800000
	v_lshlrev_b32_e32 v14, 20, v14
	v_and_b32_e32 v21, 0x80000000, v21
	v_lshl_add_u32 v20, v20, 23, v22
	v_or3_b32 v14, v21, v20, v14
.LBB58_1576:
	s_or_b64 exec, exec, s[6:7]
	s_nop 0
	v_mfma_f32_16x16x4f32 a[0:3], v10, v14, a[0:3]
	v_lshrrev_b32_e32 v14, 8, v15
	s_movk_i32 s4, 0x7f
	v_cmp_gt_i16_sdwa s[6:7], v14, s4 src0_sel:BYTE_0 src1_sel:DWORD
	s_mov_b64 s[4:5], 0
                                        ; implicit-def: $sgpr10
	s_and_saveexec_b64 s[8:9], s[6:7]
	s_xor_b64 s[6:7], exec, s[8:9]
	s_cbranch_execnz .LBB58_3625
; %bb.1577:
	s_or_saveexec_b64 s[6:7], s[6:7]
	v_mov_b32_e32 v10, s10
	s_xor_b64 exec, exec, s[6:7]
	s_cbranch_execnz .LBB58_3628
.LBB58_1578:
	s_or_b64 exec, exec, s[6:7]
	s_and_saveexec_b64 s[6:7], s[4:5]
	s_cbranch_execz .LBB58_1580
.LBB58_1579:
	v_bfe_u32 v10, v15, 8, 3
	v_ffbh_u32_e32 v21, v10
	v_min_u32_e32 v21, 32, v21
	v_lshrrev_b16_e32 v20, 3, v14
	v_subrev_u32_e32 v22, 28, v21
	v_and_b32_e32 v20, 15, v20
	v_lshlrev_b32_e32 v14, v22, v14
	v_sub_u32_e32 v21, 29, v21
	v_and_b32_e32 v14, 7, v14
	v_cmp_eq_u16_e32 vcc, 0, v20
	v_cndmask_b32_e32 v10, v10, v14, vcc
	v_cndmask_b32_e32 v14, v20, v21, vcc
	v_lshlrev_b32_e32 v20, 16, v15
	v_mov_b32_e32 v21, 0x3b800000
	v_lshlrev_b32_e32 v10, 20, v10
	v_and_b32_e32 v20, 0x80000000, v20
	v_lshl_add_u32 v14, v14, 23, v21
	v_or3_b32 v10, v20, v14, v10
.LBB58_1580:
	s_or_b64 exec, exec, s[6:7]
	v_lshrrev_b32_e32 v14, 8, v11
	s_movk_i32 s4, 0x7f
	v_cmp_gt_i16_sdwa s[6:7], v14, s4 src0_sel:BYTE_0 src1_sel:DWORD
	s_mov_b64 s[4:5], 0
                                        ; implicit-def: $sgpr10
	s_and_saveexec_b64 s[8:9], s[6:7]
	s_xor_b64 s[6:7], exec, s[8:9]
	s_cbranch_execnz .LBB58_3629
; %bb.1581:
	s_or_saveexec_b64 s[6:7], s[6:7]
	v_mov_b32_e32 v20, s10
	s_xor_b64 exec, exec, s[6:7]
	s_cbranch_execnz .LBB58_3632
.LBB58_1582:
	s_or_b64 exec, exec, s[6:7]
	s_and_saveexec_b64 s[6:7], s[4:5]
	s_cbranch_execz .LBB58_1584
.LBB58_1583:
	v_bfe_u32 v20, v11, 8, 3
	v_ffbh_u32_e32 v22, v20
	v_min_u32_e32 v22, 32, v22
	v_lshrrev_b16_e32 v21, 3, v14
	v_subrev_u32_e32 v23, 28, v22
	v_and_b32_e32 v21, 15, v21
	v_lshlrev_b32_e32 v14, v23, v14
	v_sub_u32_e32 v22, 29, v22
	v_and_b32_e32 v14, 7, v14
	v_cmp_eq_u16_e32 vcc, 0, v21
	v_cndmask_b32_e32 v14, v20, v14, vcc
	v_cndmask_b32_e32 v20, v21, v22, vcc
	v_lshlrev_b32_e32 v21, 16, v11
	v_mov_b32_e32 v22, 0x3b800000
	v_lshlrev_b32_e32 v14, 20, v14
	v_and_b32_e32 v21, 0x80000000, v21
	v_lshl_add_u32 v20, v20, 23, v22
	v_or3_b32 v20, v21, v20, v14
.LBB58_1584:
	s_or_b64 exec, exec, s[6:7]
	s_nop 0
	v_mfma_f32_16x16x4f32 a[0:3], v10, v20, a[0:3]
	s_movk_i32 s4, 0xff
	v_and_b32_sdwa v14, v15, s4 dst_sel:DWORD dst_unused:UNUSED_PAD src0_sel:WORD_1 src1_sel:DWORD
	s_movk_i32 s4, 0x7f
	v_cmp_lt_i16_e32 vcc, s4, v14
	s_mov_b64 s[4:5], 0
                                        ; implicit-def: $sgpr10
	s_and_saveexec_b64 s[6:7], vcc
	s_xor_b64 s[6:7], exec, s[6:7]
	s_cbranch_execnz .LBB58_3633
; %bb.1585:
	s_or_saveexec_b64 s[6:7], s[6:7]
	v_mov_b32_e32 v10, s10
	s_xor_b64 exec, exec, s[6:7]
	s_cbranch_execnz .LBB58_3636
.LBB58_1586:
	s_or_b64 exec, exec, s[6:7]
	s_and_saveexec_b64 s[6:7], s[4:5]
	s_cbranch_execz .LBB58_1588
.LBB58_1587:
	v_bfe_u32 v10, v15, 16, 3
	v_ffbh_u32_e32 v21, v10
	v_min_u32_e32 v21, 32, v21
	v_lshrrev_b32_e32 v14, 19, v15
	v_subrev_u32_e32 v22, 28, v21
	v_and_b32_e32 v14, 15, v14
	v_lshlrev_b32_sdwa v22, v22, v15 dst_sel:DWORD dst_unused:UNUSED_PAD src0_sel:DWORD src1_sel:WORD_1
	v_bfe_u32 v20, v15, 19, 4
	v_sub_u32_e32 v21, 29, v21
	v_and_b32_e32 v22, 7, v22
	v_cmp_eq_u16_e32 vcc, 0, v14
	v_cndmask_b32_e32 v10, v10, v22, vcc
	v_cndmask_b32_e32 v14, v20, v21, vcc
	v_lshlrev_b32_e32 v20, 8, v15
	v_mov_b32_e32 v21, 0x3b800000
	v_lshlrev_b32_e32 v10, 20, v10
	v_and_b32_e32 v20, 0x80000000, v20
	v_lshl_add_u32 v14, v14, 23, v21
	v_or3_b32 v10, v20, v14, v10
.LBB58_1588:
	s_or_b64 exec, exec, s[6:7]
	s_movk_i32 s4, 0xff
	v_and_b32_sdwa v14, v11, s4 dst_sel:DWORD dst_unused:UNUSED_PAD src0_sel:WORD_1 src1_sel:DWORD
	s_movk_i32 s4, 0x7f
	v_cmp_lt_i16_e32 vcc, s4, v14
	s_mov_b64 s[4:5], 0
                                        ; implicit-def: $sgpr10
	s_and_saveexec_b64 s[6:7], vcc
	s_xor_b64 s[6:7], exec, s[6:7]
	s_cbranch_execnz .LBB58_3637
; %bb.1589:
	s_or_saveexec_b64 s[6:7], s[6:7]
	v_mov_b32_e32 v20, s10
	s_xor_b64 exec, exec, s[6:7]
	s_cbranch_execnz .LBB58_3640
.LBB58_1590:
	s_or_b64 exec, exec, s[6:7]
	s_and_saveexec_b64 s[6:7], s[4:5]
	s_cbranch_execz .LBB58_1592
.LBB58_1591:
	v_bfe_u32 v14, v11, 16, 3
	v_ffbh_u32_e32 v22, v14
	v_min_u32_e32 v22, 32, v22
	v_lshrrev_b32_e32 v20, 19, v11
	v_subrev_u32_e32 v23, 28, v22
	v_and_b32_e32 v20, 15, v20
	v_lshlrev_b32_sdwa v23, v23, v11 dst_sel:DWORD dst_unused:UNUSED_PAD src0_sel:DWORD src1_sel:WORD_1
	v_bfe_u32 v21, v11, 19, 4
	v_sub_u32_e32 v22, 29, v22
	v_and_b32_e32 v23, 7, v23
	v_cmp_eq_u16_e32 vcc, 0, v20
	v_cndmask_b32_e32 v14, v14, v23, vcc
	v_cndmask_b32_e32 v20, v21, v22, vcc
	v_lshlrev_b32_e32 v21, 8, v11
	v_mov_b32_e32 v22, 0x3b800000
	v_lshlrev_b32_e32 v14, 20, v14
	v_and_b32_e32 v21, 0x80000000, v21
	v_lshl_add_u32 v20, v20, 23, v22
	v_or3_b32 v20, v21, v20, v14
.LBB58_1592:
	s_or_b64 exec, exec, s[6:7]
	s_nop 0
	v_mfma_f32_16x16x4f32 a[0:3], v10, v20, a[0:3]
	s_movk_i32 s4, 0x7f
	v_cmp_gt_i16_sdwa s[6:7], v15, s4 src0_sel:BYTE_3 src1_sel:DWORD
	s_mov_b64 s[4:5], 0
                                        ; implicit-def: $sgpr10
	s_and_saveexec_b64 s[8:9], s[6:7]
	s_xor_b64 s[6:7], exec, s[8:9]
	s_cbranch_execnz .LBB58_3641
; %bb.1593:
	s_or_saveexec_b64 s[6:7], s[6:7]
	v_mov_b32_e32 v10, s10
	s_xor_b64 exec, exec, s[6:7]
	s_cbranch_execnz .LBB58_3644
.LBB58_1594:
	s_or_b64 exec, exec, s[6:7]
	s_and_saveexec_b64 s[6:7], s[4:5]
	s_cbranch_execz .LBB58_1596
.LBB58_1595:
	v_bfe_u32 v10, v15, 24, 3
	v_ffbh_u32_e32 v22, v10
	v_min_u32_e32 v22, 32, v22
	v_lshrrev_b32_e32 v20, 27, v15
	v_subrev_u32_e32 v23, 28, v22
	v_and_b32_e32 v14, 0x80000000, v15
	v_and_b32_e32 v20, 15, v20
	v_bfe_u32 v21, v15, 27, 4
	v_lshlrev_b32_sdwa v15, v23, v15 dst_sel:DWORD dst_unused:UNUSED_PAD src0_sel:DWORD src1_sel:BYTE_3
	v_sub_u32_e32 v22, 29, v22
	v_and_b32_e32 v15, 7, v15
	v_cmp_eq_u16_e32 vcc, 0, v20
	v_cndmask_b32_e32 v10, v10, v15, vcc
	v_cndmask_b32_e32 v15, v21, v22, vcc
	v_mov_b32_e32 v20, 0x3b800000
	v_lshlrev_b32_e32 v10, 20, v10
	v_lshl_add_u32 v15, v15, 23, v20
	v_or3_b32 v10, v14, v15, v10
.LBB58_1596:
	s_or_b64 exec, exec, s[6:7]
	s_movk_i32 s4, 0x7f
	v_cmp_gt_i16_sdwa s[6:7], v11, s4 src0_sel:BYTE_3 src1_sel:DWORD
	s_mov_b64 s[4:5], 0
                                        ; implicit-def: $sgpr10
	s_and_saveexec_b64 s[8:9], s[6:7]
	s_xor_b64 s[6:7], exec, s[8:9]
	s_cbranch_execnz .LBB58_3645
; %bb.1597:
	s_or_saveexec_b64 s[6:7], s[6:7]
	v_mov_b32_e32 v14, s10
	s_xor_b64 exec, exec, s[6:7]
	s_cbranch_execnz .LBB58_3648
.LBB58_1598:
	s_or_b64 exec, exec, s[6:7]
	s_and_saveexec_b64 s[6:7], s[4:5]
	s_cbranch_execz .LBB58_1600
.LBB58_1599:
	v_bfe_u32 v14, v11, 24, 3
	v_ffbh_u32_e32 v22, v14
	v_min_u32_e32 v22, 32, v22
	v_lshrrev_b32_e32 v20, 27, v11
	v_subrev_u32_e32 v23, 28, v22
	v_and_b32_e32 v15, 0x80000000, v11
	v_and_b32_e32 v20, 15, v20
	v_bfe_u32 v21, v11, 27, 4
	v_lshlrev_b32_sdwa v11, v23, v11 dst_sel:DWORD dst_unused:UNUSED_PAD src0_sel:DWORD src1_sel:BYTE_3
	v_sub_u32_e32 v22, 29, v22
	v_and_b32_e32 v11, 7, v11
	v_cmp_eq_u16_e32 vcc, 0, v20
	v_cndmask_b32_e32 v11, v14, v11, vcc
	v_cndmask_b32_e32 v14, v21, v22, vcc
	v_mov_b32_e32 v20, 0x3b800000
	v_lshlrev_b32_e32 v11, 20, v11
	v_lshl_add_u32 v14, v14, 23, v20
	v_or3_b32 v14, v15, v14, v11
.LBB58_1600:
	s_or_b64 exec, exec, s[6:7]
	s_nop 0
	v_mfma_f32_16x16x4f32 a[0:3], v10, v14, a[0:3]
	s_movk_i32 s4, 0x7f
	v_cmp_gt_i16_sdwa s[6:7], v16, s4 src0_sel:BYTE_0 src1_sel:DWORD
	s_mov_b64 s[4:5], 0
                                        ; implicit-def: $sgpr10
	s_and_saveexec_b64 s[8:9], s[6:7]
	s_xor_b64 s[6:7], exec, s[8:9]
	s_cbranch_execnz .LBB58_3649
; %bb.1601:
	s_or_saveexec_b64 s[6:7], s[6:7]
	v_mov_b32_e32 v10, s10
	s_xor_b64 exec, exec, s[6:7]
	s_cbranch_execnz .LBB58_3652
.LBB58_1602:
	s_or_b64 exec, exec, s[6:7]
	s_and_saveexec_b64 s[6:7], s[4:5]
	s_cbranch_execz .LBB58_1604
.LBB58_1603:
	v_and_b32_e32 v10, 7, v16
	v_ffbh_u32_e32 v14, v10
	v_min_u32_e32 v14, 32, v14
	v_lshrrev_b16_e32 v11, 3, v16
	v_subrev_u32_e32 v15, 28, v14
	v_and_b32_e32 v11, 15, v11
	v_lshlrev_b32_e32 v15, v15, v16
	v_sub_u32_e32 v14, 29, v14
	v_and_b32_e32 v15, 7, v15
	v_cmp_eq_u16_e32 vcc, 0, v11
	v_cndmask_b32_e32 v10, v10, v15, vcc
	v_cndmask_b32_e32 v11, v11, v14, vcc
	v_lshlrev_b32_e32 v14, 24, v16
	v_mov_b32_e32 v15, 0x3b800000
	v_lshlrev_b32_e32 v10, 20, v10
	v_and_b32_e32 v14, 0x80000000, v14
	v_lshl_add_u32 v11, v11, 23, v15
	v_or3_b32 v10, v14, v11, v10
.LBB58_1604:
	s_or_b64 exec, exec, s[6:7]
	s_movk_i32 s4, 0x7f
	v_cmp_gt_i16_sdwa s[6:7], v12, s4 src0_sel:BYTE_0 src1_sel:DWORD
	s_mov_b64 s[4:5], 0
                                        ; implicit-def: $sgpr10
	s_and_saveexec_b64 s[8:9], s[6:7]
	s_xor_b64 s[6:7], exec, s[8:9]
	s_cbranch_execnz .LBB58_3653
; %bb.1605:
	s_or_saveexec_b64 s[6:7], s[6:7]
	v_mov_b32_e32 v11, s10
	s_xor_b64 exec, exec, s[6:7]
	s_cbranch_execnz .LBB58_3656
.LBB58_1606:
	s_or_b64 exec, exec, s[6:7]
	s_and_saveexec_b64 s[6:7], s[4:5]
	s_cbranch_execz .LBB58_1608
.LBB58_1607:
	v_and_b32_e32 v11, 7, v12
	v_ffbh_u32_e32 v15, v11
	v_min_u32_e32 v15, 32, v15
	v_lshrrev_b16_e32 v14, 3, v12
	v_subrev_u32_e32 v20, 28, v15
	v_and_b32_e32 v14, 15, v14
	v_lshlrev_b32_e32 v20, v20, v12
	v_sub_u32_e32 v15, 29, v15
	v_and_b32_e32 v20, 7, v20
	v_cmp_eq_u16_e32 vcc, 0, v14
	v_cndmask_b32_e32 v11, v11, v20, vcc
	v_cndmask_b32_e32 v14, v14, v15, vcc
	v_lshlrev_b32_e32 v15, 24, v12
	v_mov_b32_e32 v20, 0x3b800000
	v_lshlrev_b32_e32 v11, 20, v11
	v_and_b32_e32 v15, 0x80000000, v15
	v_lshl_add_u32 v14, v14, 23, v20
	v_or3_b32 v11, v15, v14, v11
.LBB58_1608:
	s_or_b64 exec, exec, s[6:7]
	s_nop 0
	v_mfma_f32_16x16x4f32 a[0:3], v10, v11, a[0:3]
	v_lshrrev_b32_e32 v11, 8, v16
	s_movk_i32 s4, 0x7f
	v_cmp_gt_i16_sdwa s[6:7], v11, s4 src0_sel:BYTE_0 src1_sel:DWORD
	s_mov_b64 s[4:5], 0
                                        ; implicit-def: $sgpr10
	s_and_saveexec_b64 s[8:9], s[6:7]
	s_xor_b64 s[6:7], exec, s[8:9]
	s_cbranch_execnz .LBB58_3657
; %bb.1609:
	s_or_saveexec_b64 s[6:7], s[6:7]
	v_mov_b32_e32 v10, s10
	s_xor_b64 exec, exec, s[6:7]
	s_cbranch_execnz .LBB58_3660
.LBB58_1610:
	s_or_b64 exec, exec, s[6:7]
	s_and_saveexec_b64 s[6:7], s[4:5]
	s_cbranch_execz .LBB58_1612
.LBB58_1611:
	v_bfe_u32 v10, v16, 8, 3
	v_ffbh_u32_e32 v15, v10
	v_min_u32_e32 v15, 32, v15
	v_lshrrev_b16_e32 v14, 3, v11
	v_subrev_u32_e32 v20, 28, v15
	v_and_b32_e32 v14, 15, v14
	v_lshlrev_b32_e32 v11, v20, v11
	v_sub_u32_e32 v15, 29, v15
	v_and_b32_e32 v11, 7, v11
	v_cmp_eq_u16_e32 vcc, 0, v14
	v_cndmask_b32_e32 v10, v10, v11, vcc
	v_cndmask_b32_e32 v11, v14, v15, vcc
	v_lshlrev_b32_e32 v14, 16, v16
	v_mov_b32_e32 v15, 0x3b800000
	v_lshlrev_b32_e32 v10, 20, v10
	v_and_b32_e32 v14, 0x80000000, v14
	v_lshl_add_u32 v11, v11, 23, v15
	v_or3_b32 v10, v14, v11, v10
.LBB58_1612:
	s_or_b64 exec, exec, s[6:7]
	v_lshrrev_b32_e32 v11, 8, v12
	s_movk_i32 s4, 0x7f
	v_cmp_gt_i16_sdwa s[6:7], v11, s4 src0_sel:BYTE_0 src1_sel:DWORD
	s_mov_b64 s[4:5], 0
                                        ; implicit-def: $sgpr10
	s_and_saveexec_b64 s[8:9], s[6:7]
	s_xor_b64 s[6:7], exec, s[8:9]
	s_cbranch_execnz .LBB58_3661
; %bb.1613:
	s_or_saveexec_b64 s[6:7], s[6:7]
	v_mov_b32_e32 v14, s10
	s_xor_b64 exec, exec, s[6:7]
	s_cbranch_execnz .LBB58_3664
.LBB58_1614:
	s_or_b64 exec, exec, s[6:7]
	s_and_saveexec_b64 s[6:7], s[4:5]
	s_cbranch_execz .LBB58_1616
.LBB58_1615:
	v_bfe_u32 v14, v12, 8, 3
	v_ffbh_u32_e32 v20, v14
	v_min_u32_e32 v20, 32, v20
	v_lshrrev_b16_e32 v15, 3, v11
	v_subrev_u32_e32 v21, 28, v20
	v_and_b32_e32 v15, 15, v15
	v_lshlrev_b32_e32 v11, v21, v11
	v_sub_u32_e32 v20, 29, v20
	v_and_b32_e32 v11, 7, v11
	v_cmp_eq_u16_e32 vcc, 0, v15
	v_cndmask_b32_e32 v11, v14, v11, vcc
	v_cndmask_b32_e32 v14, v15, v20, vcc
	v_lshlrev_b32_e32 v15, 16, v12
	v_mov_b32_e32 v20, 0x3b800000
	v_lshlrev_b32_e32 v11, 20, v11
	v_and_b32_e32 v15, 0x80000000, v15
	v_lshl_add_u32 v14, v14, 23, v20
	v_or3_b32 v14, v15, v14, v11
.LBB58_1616:
	s_or_b64 exec, exec, s[6:7]
	s_nop 0
	v_mfma_f32_16x16x4f32 a[0:3], v10, v14, a[0:3]
	s_movk_i32 s4, 0xff
	v_and_b32_sdwa v11, v16, s4 dst_sel:DWORD dst_unused:UNUSED_PAD src0_sel:WORD_1 src1_sel:DWORD
	s_movk_i32 s4, 0x7f
	v_cmp_lt_i16_e32 vcc, s4, v11
	s_mov_b64 s[4:5], 0
                                        ; implicit-def: $sgpr10
	s_and_saveexec_b64 s[6:7], vcc
	s_xor_b64 s[6:7], exec, s[6:7]
	s_cbranch_execnz .LBB58_3665
; %bb.1617:
	s_or_saveexec_b64 s[6:7], s[6:7]
	v_mov_b32_e32 v10, s10
	s_xor_b64 exec, exec, s[6:7]
	s_cbranch_execnz .LBB58_3668
.LBB58_1618:
	s_or_b64 exec, exec, s[6:7]
	s_and_saveexec_b64 s[6:7], s[4:5]
	s_cbranch_execz .LBB58_1620
.LBB58_1619:
	v_bfe_u32 v10, v16, 16, 3
	v_ffbh_u32_e32 v15, v10
	v_min_u32_e32 v15, 32, v15
	v_lshrrev_b32_e32 v11, 19, v16
	v_subrev_u32_e32 v20, 28, v15
	v_and_b32_e32 v11, 15, v11
	v_lshlrev_b32_sdwa v20, v20, v16 dst_sel:DWORD dst_unused:UNUSED_PAD src0_sel:DWORD src1_sel:WORD_1
	v_bfe_u32 v14, v16, 19, 4
	v_sub_u32_e32 v15, 29, v15
	v_and_b32_e32 v20, 7, v20
	v_cmp_eq_u16_e32 vcc, 0, v11
	v_cndmask_b32_e32 v10, v10, v20, vcc
	v_cndmask_b32_e32 v11, v14, v15, vcc
	v_lshlrev_b32_e32 v14, 8, v16
	v_mov_b32_e32 v15, 0x3b800000
	v_lshlrev_b32_e32 v10, 20, v10
	v_and_b32_e32 v14, 0x80000000, v14
	v_lshl_add_u32 v11, v11, 23, v15
	v_or3_b32 v10, v14, v11, v10
.LBB58_1620:
	s_or_b64 exec, exec, s[6:7]
	s_movk_i32 s4, 0xff
	v_and_b32_sdwa v11, v12, s4 dst_sel:DWORD dst_unused:UNUSED_PAD src0_sel:WORD_1 src1_sel:DWORD
	s_movk_i32 s4, 0x7f
	v_cmp_lt_i16_e32 vcc, s4, v11
	s_mov_b64 s[4:5], 0
                                        ; implicit-def: $sgpr10
	s_and_saveexec_b64 s[6:7], vcc
	s_xor_b64 s[6:7], exec, s[6:7]
	s_cbranch_execnz .LBB58_3669
; %bb.1621:
	s_or_saveexec_b64 s[6:7], s[6:7]
	v_mov_b32_e32 v14, s10
	s_xor_b64 exec, exec, s[6:7]
	s_cbranch_execnz .LBB58_3672
.LBB58_1622:
	s_or_b64 exec, exec, s[6:7]
	s_and_saveexec_b64 s[6:7], s[4:5]
	s_cbranch_execz .LBB58_1624
.LBB58_1623:
	v_bfe_u32 v11, v12, 16, 3
	v_ffbh_u32_e32 v20, v11
	v_min_u32_e32 v20, 32, v20
	v_lshrrev_b32_e32 v14, 19, v12
	v_subrev_u32_e32 v21, 28, v20
	v_and_b32_e32 v14, 15, v14
	v_lshlrev_b32_sdwa v21, v21, v12 dst_sel:DWORD dst_unused:UNUSED_PAD src0_sel:DWORD src1_sel:WORD_1
	v_bfe_u32 v15, v12, 19, 4
	v_sub_u32_e32 v20, 29, v20
	v_and_b32_e32 v21, 7, v21
	v_cmp_eq_u16_e32 vcc, 0, v14
	v_cndmask_b32_e32 v11, v11, v21, vcc
	v_cndmask_b32_e32 v14, v15, v20, vcc
	v_lshlrev_b32_e32 v15, 8, v12
	v_mov_b32_e32 v20, 0x3b800000
	v_lshlrev_b32_e32 v11, 20, v11
	v_and_b32_e32 v15, 0x80000000, v15
	v_lshl_add_u32 v14, v14, 23, v20
	v_or3_b32 v14, v15, v14, v11
.LBB58_1624:
	s_or_b64 exec, exec, s[6:7]
	s_nop 0
	v_mfma_f32_16x16x4f32 a[0:3], v10, v14, a[0:3]
	s_movk_i32 s4, 0x7f
	v_cmp_gt_i16_sdwa s[6:7], v16, s4 src0_sel:BYTE_3 src1_sel:DWORD
	s_mov_b64 s[4:5], 0
                                        ; implicit-def: $sgpr10
	s_and_saveexec_b64 s[8:9], s[6:7]
	s_xor_b64 s[6:7], exec, s[8:9]
	s_cbranch_execnz .LBB58_3673
; %bb.1625:
	s_or_saveexec_b64 s[6:7], s[6:7]
	v_mov_b32_e32 v10, s10
	s_xor_b64 exec, exec, s[6:7]
	s_cbranch_execnz .LBB58_3676
.LBB58_1626:
	s_or_b64 exec, exec, s[6:7]
	s_and_saveexec_b64 s[6:7], s[4:5]
	s_cbranch_execz .LBB58_1628
.LBB58_1627:
	v_bfe_u32 v10, v16, 24, 3
	v_ffbh_u32_e32 v20, v10
	v_min_u32_e32 v20, 32, v20
	v_lshrrev_b32_e32 v14, 27, v16
	v_subrev_u32_e32 v21, 28, v20
	v_and_b32_e32 v11, 0x80000000, v16
	v_and_b32_e32 v14, 15, v14
	v_bfe_u32 v15, v16, 27, 4
	v_lshlrev_b32_sdwa v16, v21, v16 dst_sel:DWORD dst_unused:UNUSED_PAD src0_sel:DWORD src1_sel:BYTE_3
	v_sub_u32_e32 v20, 29, v20
	v_and_b32_e32 v16, 7, v16
	v_cmp_eq_u16_e32 vcc, 0, v14
	v_cndmask_b32_e32 v10, v10, v16, vcc
	v_cndmask_b32_e32 v14, v15, v20, vcc
	v_mov_b32_e32 v15, 0x3b800000
	v_lshlrev_b32_e32 v10, 20, v10
	v_lshl_add_u32 v14, v14, 23, v15
	v_or3_b32 v10, v11, v14, v10
.LBB58_1628:
	s_or_b64 exec, exec, s[6:7]
	s_movk_i32 s4, 0x7f
	v_cmp_gt_i16_sdwa s[6:7], v12, s4 src0_sel:BYTE_3 src1_sel:DWORD
	s_mov_b64 s[4:5], 0
                                        ; implicit-def: $sgpr10
	s_and_saveexec_b64 s[8:9], s[6:7]
	s_xor_b64 s[6:7], exec, s[8:9]
	s_cbranch_execnz .LBB58_3677
; %bb.1629:
	s_or_saveexec_b64 s[6:7], s[6:7]
	v_mov_b32_e32 v11, s10
	s_xor_b64 exec, exec, s[6:7]
	s_cbranch_execnz .LBB58_3680
.LBB58_1630:
	s_or_b64 exec, exec, s[6:7]
	s_and_saveexec_b64 s[6:7], s[4:5]
	s_cbranch_execz .LBB58_1632
.LBB58_1631:
	v_bfe_u32 v11, v12, 24, 3
	v_ffbh_u32_e32 v20, v11
	v_min_u32_e32 v20, 32, v20
	v_lshrrev_b32_e32 v15, 27, v12
	v_subrev_u32_e32 v21, 28, v20
	v_and_b32_e32 v14, 0x80000000, v12
	v_and_b32_e32 v15, 15, v15
	v_bfe_u32 v16, v12, 27, 4
	v_lshlrev_b32_sdwa v12, v21, v12 dst_sel:DWORD dst_unused:UNUSED_PAD src0_sel:DWORD src1_sel:BYTE_3
	v_sub_u32_e32 v20, 29, v20
	v_and_b32_e32 v12, 7, v12
	v_cmp_eq_u16_e32 vcc, 0, v15
	v_cndmask_b32_e32 v11, v11, v12, vcc
	v_cndmask_b32_e32 v12, v16, v20, vcc
	v_mov_b32_e32 v15, 0x3b800000
	v_lshlrev_b32_e32 v11, 20, v11
	v_lshl_add_u32 v12, v12, 23, v15
	v_or3_b32 v11, v14, v12, v11
.LBB58_1632:
	s_or_b64 exec, exec, s[6:7]
	s_nop 0
	v_mfma_f32_16x16x4f32 a[0:3], v10, v11, a[0:3]
	s_movk_i32 s4, 0x7f
	v_cmp_gt_i16_sdwa s[6:7], v17, s4 src0_sel:BYTE_0 src1_sel:DWORD
	s_mov_b64 s[4:5], 0
                                        ; implicit-def: $sgpr10
	s_and_saveexec_b64 s[8:9], s[6:7]
	s_xor_b64 s[6:7], exec, s[8:9]
	s_cbranch_execnz .LBB58_3681
; %bb.1633:
	s_or_saveexec_b64 s[6:7], s[6:7]
	v_mov_b32_e32 v10, s10
	s_xor_b64 exec, exec, s[6:7]
	s_cbranch_execnz .LBB58_3684
.LBB58_1634:
	s_or_b64 exec, exec, s[6:7]
	s_and_saveexec_b64 s[6:7], s[4:5]
	s_cbranch_execz .LBB58_1636
.LBB58_1635:
	v_and_b32_e32 v10, 7, v17
	v_ffbh_u32_e32 v12, v10
	v_min_u32_e32 v12, 32, v12
	v_lshrrev_b16_e32 v11, 3, v17
	v_subrev_u32_e32 v14, 28, v12
	v_and_b32_e32 v11, 15, v11
	v_lshlrev_b32_e32 v14, v14, v17
	v_sub_u32_e32 v12, 29, v12
	v_and_b32_e32 v14, 7, v14
	v_cmp_eq_u16_e32 vcc, 0, v11
	v_cndmask_b32_e32 v10, v10, v14, vcc
	v_cndmask_b32_e32 v11, v11, v12, vcc
	v_lshlrev_b32_e32 v12, 24, v17
	v_mov_b32_e32 v14, 0x3b800000
	v_lshlrev_b32_e32 v10, 20, v10
	v_and_b32_e32 v12, 0x80000000, v12
	v_lshl_add_u32 v11, v11, 23, v14
	v_or3_b32 v10, v12, v11, v10
.LBB58_1636:
	s_or_b64 exec, exec, s[6:7]
	s_movk_i32 s4, 0x7f
	v_cmp_gt_i16_sdwa s[6:7], v13, s4 src0_sel:BYTE_0 src1_sel:DWORD
	s_mov_b64 s[4:5], 0
                                        ; implicit-def: $sgpr10
	s_and_saveexec_b64 s[8:9], s[6:7]
	s_xor_b64 s[6:7], exec, s[8:9]
	s_cbranch_execnz .LBB58_3685
; %bb.1637:
	s_or_saveexec_b64 s[6:7], s[6:7]
	v_mov_b32_e32 v11, s10
	s_xor_b64 exec, exec, s[6:7]
	s_cbranch_execnz .LBB58_3688
.LBB58_1638:
	s_or_b64 exec, exec, s[6:7]
	s_and_saveexec_b64 s[6:7], s[4:5]
	s_cbranch_execz .LBB58_1640
.LBB58_1639:
	v_and_b32_e32 v11, 7, v13
	v_ffbh_u32_e32 v14, v11
	v_min_u32_e32 v14, 32, v14
	v_lshrrev_b16_e32 v12, 3, v13
	v_subrev_u32_e32 v15, 28, v14
	v_and_b32_e32 v12, 15, v12
	v_lshlrev_b32_e32 v15, v15, v13
	v_sub_u32_e32 v14, 29, v14
	v_and_b32_e32 v15, 7, v15
	v_cmp_eq_u16_e32 vcc, 0, v12
	v_cndmask_b32_e32 v11, v11, v15, vcc
	v_cndmask_b32_e32 v12, v12, v14, vcc
	v_lshlrev_b32_e32 v14, 24, v13
	v_mov_b32_e32 v15, 0x3b800000
	v_lshlrev_b32_e32 v11, 20, v11
	v_and_b32_e32 v14, 0x80000000, v14
	v_lshl_add_u32 v12, v12, 23, v15
	v_or3_b32 v11, v14, v12, v11
.LBB58_1640:
	s_or_b64 exec, exec, s[6:7]
	s_nop 0
	v_mfma_f32_16x16x4f32 a[0:3], v10, v11, a[0:3]
	v_lshrrev_b32_e32 v11, 8, v17
	s_movk_i32 s4, 0x7f
	v_cmp_gt_i16_sdwa s[6:7], v11, s4 src0_sel:BYTE_0 src1_sel:DWORD
	s_mov_b64 s[4:5], 0
                                        ; implicit-def: $sgpr10
	s_and_saveexec_b64 s[8:9], s[6:7]
	s_xor_b64 s[6:7], exec, s[8:9]
	s_cbranch_execnz .LBB58_3689
; %bb.1641:
	s_or_saveexec_b64 s[6:7], s[6:7]
	v_mov_b32_e32 v10, s10
	s_xor_b64 exec, exec, s[6:7]
	s_cbranch_execnz .LBB58_3692
.LBB58_1642:
	s_or_b64 exec, exec, s[6:7]
	s_and_saveexec_b64 s[6:7], s[4:5]
	s_cbranch_execz .LBB58_1644
.LBB58_1643:
	v_bfe_u32 v10, v17, 8, 3
	v_ffbh_u32_e32 v14, v10
	v_min_u32_e32 v14, 32, v14
	v_lshrrev_b16_e32 v12, 3, v11
	v_subrev_u32_e32 v15, 28, v14
	v_and_b32_e32 v12, 15, v12
	v_lshlrev_b32_e32 v11, v15, v11
	v_sub_u32_e32 v14, 29, v14
	v_and_b32_e32 v11, 7, v11
	v_cmp_eq_u16_e32 vcc, 0, v12
	v_cndmask_b32_e32 v10, v10, v11, vcc
	v_cndmask_b32_e32 v11, v12, v14, vcc
	v_lshlrev_b32_e32 v12, 16, v17
	v_mov_b32_e32 v14, 0x3b800000
	v_lshlrev_b32_e32 v10, 20, v10
	v_and_b32_e32 v12, 0x80000000, v12
	v_lshl_add_u32 v11, v11, 23, v14
	v_or3_b32 v10, v12, v11, v10
.LBB58_1644:
	s_or_b64 exec, exec, s[6:7]
	v_lshrrev_b32_e32 v11, 8, v13
	s_movk_i32 s4, 0x7f
	v_cmp_gt_i16_sdwa s[6:7], v11, s4 src0_sel:BYTE_0 src1_sel:DWORD
	s_mov_b64 s[4:5], 0
                                        ; implicit-def: $sgpr10
	s_and_saveexec_b64 s[8:9], s[6:7]
	s_xor_b64 s[6:7], exec, s[8:9]
	s_cbranch_execnz .LBB58_3693
; %bb.1645:
	s_or_saveexec_b64 s[6:7], s[6:7]
	v_mov_b32_e32 v12, s10
	s_xor_b64 exec, exec, s[6:7]
	s_cbranch_execnz .LBB58_3696
.LBB58_1646:
	s_or_b64 exec, exec, s[6:7]
	s_and_saveexec_b64 s[6:7], s[4:5]
	s_cbranch_execz .LBB58_1648
.LBB58_1647:
	v_bfe_u32 v12, v13, 8, 3
	v_ffbh_u32_e32 v15, v12
	v_min_u32_e32 v15, 32, v15
	v_lshrrev_b16_e32 v14, 3, v11
	v_subrev_u32_e32 v16, 28, v15
	v_and_b32_e32 v14, 15, v14
	v_lshlrev_b32_e32 v11, v16, v11
	v_sub_u32_e32 v15, 29, v15
	v_and_b32_e32 v11, 7, v11
	v_cmp_eq_u16_e32 vcc, 0, v14
	v_cndmask_b32_e32 v11, v12, v11, vcc
	v_cndmask_b32_e32 v12, v14, v15, vcc
	v_lshlrev_b32_e32 v14, 16, v13
	v_mov_b32_e32 v15, 0x3b800000
	v_lshlrev_b32_e32 v11, 20, v11
	v_and_b32_e32 v14, 0x80000000, v14
	v_lshl_add_u32 v12, v12, 23, v15
	v_or3_b32 v12, v14, v12, v11
.LBB58_1648:
	s_or_b64 exec, exec, s[6:7]
	s_nop 0
	v_mfma_f32_16x16x4f32 a[0:3], v10, v12, a[0:3]
	s_movk_i32 s4, 0xff
	v_and_b32_sdwa v11, v17, s4 dst_sel:DWORD dst_unused:UNUSED_PAD src0_sel:WORD_1 src1_sel:DWORD
	s_movk_i32 s4, 0x7f
	v_cmp_lt_i16_e32 vcc, s4, v11
	s_mov_b64 s[4:5], 0
                                        ; implicit-def: $sgpr10
	s_and_saveexec_b64 s[6:7], vcc
	s_xor_b64 s[6:7], exec, s[6:7]
	s_cbranch_execnz .LBB58_3697
; %bb.1649:
	s_or_saveexec_b64 s[6:7], s[6:7]
	v_mov_b32_e32 v10, s10
	s_xor_b64 exec, exec, s[6:7]
	s_cbranch_execnz .LBB58_3700
.LBB58_1650:
	s_or_b64 exec, exec, s[6:7]
	s_and_saveexec_b64 s[6:7], s[4:5]
	s_cbranch_execz .LBB58_1652
.LBB58_1651:
	v_bfe_u32 v10, v17, 16, 3
	v_ffbh_u32_e32 v14, v10
	v_min_u32_e32 v14, 32, v14
	v_lshrrev_b32_e32 v11, 19, v17
	v_subrev_u32_e32 v15, 28, v14
	v_and_b32_e32 v11, 15, v11
	v_lshlrev_b32_sdwa v15, v15, v17 dst_sel:DWORD dst_unused:UNUSED_PAD src0_sel:DWORD src1_sel:WORD_1
	v_bfe_u32 v12, v17, 19, 4
	v_sub_u32_e32 v14, 29, v14
	v_and_b32_e32 v15, 7, v15
	v_cmp_eq_u16_e32 vcc, 0, v11
	v_cndmask_b32_e32 v10, v10, v15, vcc
	v_cndmask_b32_e32 v11, v12, v14, vcc
	v_lshlrev_b32_e32 v12, 8, v17
	v_mov_b32_e32 v14, 0x3b800000
	v_lshlrev_b32_e32 v10, 20, v10
	v_and_b32_e32 v12, 0x80000000, v12
	v_lshl_add_u32 v11, v11, 23, v14
	v_or3_b32 v10, v12, v11, v10
.LBB58_1652:
	s_or_b64 exec, exec, s[6:7]
	s_movk_i32 s4, 0xff
	v_and_b32_sdwa v11, v13, s4 dst_sel:DWORD dst_unused:UNUSED_PAD src0_sel:WORD_1 src1_sel:DWORD
	s_movk_i32 s4, 0x7f
	v_cmp_lt_i16_e32 vcc, s4, v11
	s_mov_b64 s[4:5], 0
                                        ; implicit-def: $sgpr10
	s_and_saveexec_b64 s[6:7], vcc
	s_xor_b64 s[6:7], exec, s[6:7]
	s_cbranch_execnz .LBB58_3701
; %bb.1653:
	s_or_saveexec_b64 s[6:7], s[6:7]
	v_mov_b32_e32 v12, s10
	s_xor_b64 exec, exec, s[6:7]
	s_cbranch_execnz .LBB58_3704
.LBB58_1654:
	s_or_b64 exec, exec, s[6:7]
	s_and_saveexec_b64 s[6:7], s[4:5]
	s_cbranch_execz .LBB58_1656
.LBB58_1655:
	v_bfe_u32 v11, v13, 16, 3
	v_ffbh_u32_e32 v15, v11
	v_min_u32_e32 v15, 32, v15
	v_lshrrev_b32_e32 v12, 19, v13
	v_subrev_u32_e32 v16, 28, v15
	v_and_b32_e32 v12, 15, v12
	v_lshlrev_b32_sdwa v16, v16, v13 dst_sel:DWORD dst_unused:UNUSED_PAD src0_sel:DWORD src1_sel:WORD_1
	v_bfe_u32 v14, v13, 19, 4
	v_sub_u32_e32 v15, 29, v15
	v_and_b32_e32 v16, 7, v16
	v_cmp_eq_u16_e32 vcc, 0, v12
	v_cndmask_b32_e32 v11, v11, v16, vcc
	v_cndmask_b32_e32 v12, v14, v15, vcc
	v_lshlrev_b32_e32 v14, 8, v13
	v_mov_b32_e32 v15, 0x3b800000
	v_lshlrev_b32_e32 v11, 20, v11
	v_and_b32_e32 v14, 0x80000000, v14
	v_lshl_add_u32 v12, v12, 23, v15
	v_or3_b32 v12, v14, v12, v11
.LBB58_1656:
	s_or_b64 exec, exec, s[6:7]
	s_nop 0
	v_mfma_f32_16x16x4f32 a[0:3], v10, v12, a[0:3]
	s_movk_i32 s4, 0x7f
	v_cmp_gt_i16_sdwa s[6:7], v17, s4 src0_sel:BYTE_3 src1_sel:DWORD
	s_mov_b64 s[4:5], 0
                                        ; implicit-def: $sgpr10
	s_and_saveexec_b64 s[8:9], s[6:7]
	s_xor_b64 s[6:7], exec, s[8:9]
	s_cbranch_execnz .LBB58_3705
; %bb.1657:
	s_or_saveexec_b64 s[6:7], s[6:7]
	v_mov_b32_e32 v10, s10
	s_xor_b64 exec, exec, s[6:7]
	s_cbranch_execnz .LBB58_3708
.LBB58_1658:
	s_or_b64 exec, exec, s[6:7]
	s_and_saveexec_b64 s[6:7], s[4:5]
	s_cbranch_execz .LBB58_1660
.LBB58_1659:
	v_bfe_u32 v10, v17, 24, 3
	v_ffbh_u32_e32 v15, v10
	v_min_u32_e32 v15, 32, v15
	v_lshrrev_b32_e32 v12, 27, v17
	v_subrev_u32_e32 v16, 28, v15
	v_and_b32_e32 v12, 15, v12
	v_lshlrev_b32_sdwa v16, v16, v17 dst_sel:DWORD dst_unused:UNUSED_PAD src0_sel:DWORD src1_sel:BYTE_3
	v_bfe_u32 v14, v17, 27, 4
	v_sub_u32_e32 v15, 29, v15
	v_and_b32_e32 v16, 7, v16
	v_cmp_eq_u16_e32 vcc, 0, v12
	v_cndmask_b32_e32 v10, v10, v16, vcc
	v_cndmask_b32_e32 v12, v14, v15, vcc
	v_mov_b32_e32 v14, 0x3b800000
	v_and_b32_e32 v11, 0x80000000, v17
	v_lshlrev_b32_e32 v10, 20, v10
	v_lshl_add_u32 v12, v12, 23, v14
	v_or3_b32 v10, v11, v12, v10
.LBB58_1660:
	s_or_b64 exec, exec, s[6:7]
	s_movk_i32 s4, 0x7f
	v_cmp_gt_i16_sdwa s[6:7], v13, s4 src0_sel:BYTE_3 src1_sel:DWORD
	s_mov_b64 s[4:5], 0
                                        ; implicit-def: $sgpr10
	s_and_saveexec_b64 s[8:9], s[6:7]
	s_xor_b64 s[6:7], exec, s[8:9]
	s_cbranch_execnz .LBB58_3709
; %bb.1661:
	s_or_saveexec_b64 s[6:7], s[6:7]
	v_mov_b32_e32 v11, s10
	s_xor_b64 exec, exec, s[6:7]
	s_cbranch_execnz .LBB58_3712
.LBB58_1662:
	s_or_b64 exec, exec, s[6:7]
	s_and_saveexec_b64 s[6:7], s[4:5]
	s_cbranch_execz .LBB58_1664
.LBB58_1663:
	v_bfe_u32 v11, v13, 24, 3
	v_ffbh_u32_e32 v16, v11
	v_min_u32_e32 v16, 32, v16
	v_lshrrev_b32_e32 v14, 27, v13
	v_subrev_u32_e32 v17, 28, v16
	v_and_b32_e32 v12, 0x80000000, v13
	v_and_b32_e32 v14, 15, v14
	v_bfe_u32 v15, v13, 27, 4
	v_lshlrev_b32_sdwa v13, v17, v13 dst_sel:DWORD dst_unused:UNUSED_PAD src0_sel:DWORD src1_sel:BYTE_3
	v_sub_u32_e32 v16, 29, v16
	v_and_b32_e32 v13, 7, v13
	v_cmp_eq_u16_e32 vcc, 0, v14
	v_cndmask_b32_e32 v11, v11, v13, vcc
	v_cndmask_b32_e32 v13, v15, v16, vcc
	v_mov_b32_e32 v14, 0x3b800000
	v_lshlrev_b32_e32 v11, 20, v11
	v_lshl_add_u32 v13, v13, 23, v14
	v_or3_b32 v11, v12, v13, v11
.LBB58_1664:
	s_or_b64 exec, exec, s[6:7]
	s_nop 0
	v_mfma_f32_16x16x4f32 a[0:3], v10, v11, a[0:3]
	s_movk_i32 s4, 0x7f
	v_cmp_gt_i16_sdwa s[6:7], v6, s4 src0_sel:BYTE_0 src1_sel:DWORD
	s_mov_b64 s[4:5], 0
                                        ; implicit-def: $sgpr10
	s_and_saveexec_b64 s[8:9], s[6:7]
	s_xor_b64 s[6:7], exec, s[8:9]
	s_cbranch_execnz .LBB58_3713
; %bb.1665:
	s_or_saveexec_b64 s[6:7], s[6:7]
	v_mov_b32_e32 v10, s10
	s_xor_b64 exec, exec, s[6:7]
	s_cbranch_execnz .LBB58_3716
.LBB58_1666:
	s_or_b64 exec, exec, s[6:7]
	s_and_saveexec_b64 s[6:7], s[4:5]
	s_cbranch_execz .LBB58_1668
.LBB58_1667:
	v_and_b32_e32 v10, 7, v6
	v_ffbh_u32_e32 v12, v10
	v_min_u32_e32 v12, 32, v12
	v_lshrrev_b16_e32 v11, 3, v6
	v_subrev_u32_e32 v13, 28, v12
	v_and_b32_e32 v11, 15, v11
	v_lshlrev_b32_e32 v13, v13, v6
	v_sub_u32_e32 v12, 29, v12
	v_and_b32_e32 v13, 7, v13
	v_cmp_eq_u16_e32 vcc, 0, v11
	v_cndmask_b32_e32 v10, v10, v13, vcc
	v_cndmask_b32_e32 v11, v11, v12, vcc
	v_lshlrev_b32_e32 v12, 24, v6
	v_mov_b32_e32 v13, 0x3b800000
	v_lshlrev_b32_e32 v10, 20, v10
	v_and_b32_e32 v12, 0x80000000, v12
	v_lshl_add_u32 v11, v11, 23, v13
	v_or3_b32 v10, v12, v11, v10
.LBB58_1668:
	s_or_b64 exec, exec, s[6:7]
	s_movk_i32 s4, 0x7f
	v_cmp_gt_i16_sdwa s[6:7], v2, s4 src0_sel:BYTE_0 src1_sel:DWORD
	s_mov_b64 s[4:5], 0
                                        ; implicit-def: $sgpr10
	s_and_saveexec_b64 s[8:9], s[6:7]
	s_xor_b64 s[6:7], exec, s[8:9]
	s_cbranch_execnz .LBB58_3717
; %bb.1669:
	s_or_saveexec_b64 s[6:7], s[6:7]
	v_mov_b32_e32 v11, s10
	s_xor_b64 exec, exec, s[6:7]
	s_cbranch_execnz .LBB58_3720
.LBB58_1670:
	s_or_b64 exec, exec, s[6:7]
	s_and_saveexec_b64 s[6:7], s[4:5]
	s_cbranch_execz .LBB58_1672
.LBB58_1671:
	v_and_b32_e32 v11, 7, v2
	v_ffbh_u32_e32 v13, v11
	v_min_u32_e32 v13, 32, v13
	v_lshrrev_b16_e32 v12, 3, v2
	v_subrev_u32_e32 v14, 28, v13
	v_and_b32_e32 v12, 15, v12
	v_lshlrev_b32_e32 v14, v14, v2
	v_sub_u32_e32 v13, 29, v13
	v_and_b32_e32 v14, 7, v14
	v_cmp_eq_u16_e32 vcc, 0, v12
	v_cndmask_b32_e32 v11, v11, v14, vcc
	v_cndmask_b32_e32 v12, v12, v13, vcc
	v_lshlrev_b32_e32 v13, 24, v2
	v_mov_b32_e32 v14, 0x3b800000
	v_lshlrev_b32_e32 v11, 20, v11
	v_and_b32_e32 v13, 0x80000000, v13
	v_lshl_add_u32 v12, v12, 23, v14
	v_or3_b32 v11, v13, v12, v11
.LBB58_1672:
	s_or_b64 exec, exec, s[6:7]
	s_nop 0
	v_mfma_f32_16x16x4f32 a[0:3], v10, v11, a[0:3]
	v_lshrrev_b32_e32 v11, 8, v6
	s_movk_i32 s4, 0x7f
	v_cmp_gt_i16_sdwa s[6:7], v11, s4 src0_sel:BYTE_0 src1_sel:DWORD
	s_mov_b64 s[4:5], 0
                                        ; implicit-def: $sgpr10
	s_and_saveexec_b64 s[8:9], s[6:7]
	s_xor_b64 s[6:7], exec, s[8:9]
	s_cbranch_execnz .LBB58_3721
; %bb.1673:
	s_or_saveexec_b64 s[6:7], s[6:7]
	v_mov_b32_e32 v10, s10
	s_xor_b64 exec, exec, s[6:7]
	s_cbranch_execnz .LBB58_3724
.LBB58_1674:
	s_or_b64 exec, exec, s[6:7]
	s_and_saveexec_b64 s[6:7], s[4:5]
	s_cbranch_execz .LBB58_1676
.LBB58_1675:
	v_bfe_u32 v10, v6, 8, 3
	v_ffbh_u32_e32 v13, v10
	v_min_u32_e32 v13, 32, v13
	v_lshrrev_b16_e32 v12, 3, v11
	v_subrev_u32_e32 v14, 28, v13
	v_and_b32_e32 v12, 15, v12
	v_lshlrev_b32_e32 v11, v14, v11
	v_sub_u32_e32 v13, 29, v13
	v_and_b32_e32 v11, 7, v11
	v_cmp_eq_u16_e32 vcc, 0, v12
	v_cndmask_b32_e32 v10, v10, v11, vcc
	v_cndmask_b32_e32 v11, v12, v13, vcc
	v_lshlrev_b32_e32 v12, 16, v6
	v_mov_b32_e32 v13, 0x3b800000
	v_lshlrev_b32_e32 v10, 20, v10
	v_and_b32_e32 v12, 0x80000000, v12
	v_lshl_add_u32 v11, v11, 23, v13
	v_or3_b32 v10, v12, v11, v10
.LBB58_1676:
	s_or_b64 exec, exec, s[6:7]
	v_lshrrev_b32_e32 v11, 8, v2
	s_movk_i32 s4, 0x7f
	v_cmp_gt_i16_sdwa s[6:7], v11, s4 src0_sel:BYTE_0 src1_sel:DWORD
	s_mov_b64 s[4:5], 0
                                        ; implicit-def: $sgpr10
	s_and_saveexec_b64 s[8:9], s[6:7]
	s_xor_b64 s[6:7], exec, s[8:9]
	s_cbranch_execnz .LBB58_3725
; %bb.1677:
	s_or_saveexec_b64 s[6:7], s[6:7]
	v_mov_b32_e32 v12, s10
	s_xor_b64 exec, exec, s[6:7]
	s_cbranch_execnz .LBB58_3728
.LBB58_1678:
	s_or_b64 exec, exec, s[6:7]
	s_and_saveexec_b64 s[6:7], s[4:5]
	s_cbranch_execz .LBB58_1680
.LBB58_1679:
	v_bfe_u32 v12, v2, 8, 3
	v_ffbh_u32_e32 v14, v12
	v_min_u32_e32 v14, 32, v14
	v_lshrrev_b16_e32 v13, 3, v11
	v_subrev_u32_e32 v15, 28, v14
	v_and_b32_e32 v13, 15, v13
	v_lshlrev_b32_e32 v11, v15, v11
	v_sub_u32_e32 v14, 29, v14
	v_and_b32_e32 v11, 7, v11
	v_cmp_eq_u16_e32 vcc, 0, v13
	v_cndmask_b32_e32 v11, v12, v11, vcc
	v_cndmask_b32_e32 v12, v13, v14, vcc
	v_lshlrev_b32_e32 v13, 16, v2
	v_mov_b32_e32 v14, 0x3b800000
	v_lshlrev_b32_e32 v11, 20, v11
	v_and_b32_e32 v13, 0x80000000, v13
	v_lshl_add_u32 v12, v12, 23, v14
	v_or3_b32 v12, v13, v12, v11
.LBB58_1680:
	s_or_b64 exec, exec, s[6:7]
	s_nop 0
	v_mfma_f32_16x16x4f32 a[0:3], v10, v12, a[0:3]
	s_movk_i32 s4, 0xff
	v_and_b32_sdwa v11, v6, s4 dst_sel:DWORD dst_unused:UNUSED_PAD src0_sel:WORD_1 src1_sel:DWORD
	s_movk_i32 s4, 0x7f
	v_cmp_lt_i16_e32 vcc, s4, v11
	s_mov_b64 s[4:5], 0
                                        ; implicit-def: $sgpr10
	s_and_saveexec_b64 s[6:7], vcc
	s_xor_b64 s[6:7], exec, s[6:7]
	s_cbranch_execnz .LBB58_3729
; %bb.1681:
	s_or_saveexec_b64 s[6:7], s[6:7]
	v_mov_b32_e32 v10, s10
	s_xor_b64 exec, exec, s[6:7]
	s_cbranch_execnz .LBB58_3732
.LBB58_1682:
	s_or_b64 exec, exec, s[6:7]
	s_and_saveexec_b64 s[6:7], s[4:5]
	s_cbranch_execz .LBB58_1684
.LBB58_1683:
	v_bfe_u32 v10, v6, 16, 3
	v_ffbh_u32_e32 v13, v10
	v_min_u32_e32 v13, 32, v13
	v_lshrrev_b32_e32 v11, 19, v6
	v_subrev_u32_e32 v14, 28, v13
	v_and_b32_e32 v11, 15, v11
	v_lshlrev_b32_sdwa v14, v14, v6 dst_sel:DWORD dst_unused:UNUSED_PAD src0_sel:DWORD src1_sel:WORD_1
	v_bfe_u32 v12, v6, 19, 4
	v_sub_u32_e32 v13, 29, v13
	v_and_b32_e32 v14, 7, v14
	v_cmp_eq_u16_e32 vcc, 0, v11
	v_cndmask_b32_e32 v10, v10, v14, vcc
	v_cndmask_b32_e32 v11, v12, v13, vcc
	v_lshlrev_b32_e32 v12, 8, v6
	v_mov_b32_e32 v13, 0x3b800000
	v_lshlrev_b32_e32 v10, 20, v10
	v_and_b32_e32 v12, 0x80000000, v12
	v_lshl_add_u32 v11, v11, 23, v13
	v_or3_b32 v10, v12, v11, v10
.LBB58_1684:
	s_or_b64 exec, exec, s[6:7]
	s_movk_i32 s4, 0xff
	v_and_b32_sdwa v11, v2, s4 dst_sel:DWORD dst_unused:UNUSED_PAD src0_sel:WORD_1 src1_sel:DWORD
	s_movk_i32 s4, 0x7f
	v_cmp_lt_i16_e32 vcc, s4, v11
	s_mov_b64 s[4:5], 0
                                        ; implicit-def: $sgpr10
	s_and_saveexec_b64 s[6:7], vcc
	s_xor_b64 s[6:7], exec, s[6:7]
	s_cbranch_execnz .LBB58_3733
; %bb.1685:
	s_or_saveexec_b64 s[6:7], s[6:7]
	v_mov_b32_e32 v12, s10
	s_xor_b64 exec, exec, s[6:7]
	s_cbranch_execnz .LBB58_3736
.LBB58_1686:
	s_or_b64 exec, exec, s[6:7]
	s_and_saveexec_b64 s[6:7], s[4:5]
	s_cbranch_execz .LBB58_1688
.LBB58_1687:
	v_bfe_u32 v11, v2, 16, 3
	v_ffbh_u32_e32 v14, v11
	v_min_u32_e32 v14, 32, v14
	v_lshrrev_b32_e32 v12, 19, v2
	v_subrev_u32_e32 v15, 28, v14
	v_and_b32_e32 v12, 15, v12
	v_lshlrev_b32_sdwa v15, v15, v2 dst_sel:DWORD dst_unused:UNUSED_PAD src0_sel:DWORD src1_sel:WORD_1
	v_bfe_u32 v13, v2, 19, 4
	v_sub_u32_e32 v14, 29, v14
	v_and_b32_e32 v15, 7, v15
	v_cmp_eq_u16_e32 vcc, 0, v12
	v_cndmask_b32_e32 v11, v11, v15, vcc
	v_cndmask_b32_e32 v12, v13, v14, vcc
	v_lshlrev_b32_e32 v13, 8, v2
	v_mov_b32_e32 v14, 0x3b800000
	v_lshlrev_b32_e32 v11, 20, v11
	v_and_b32_e32 v13, 0x80000000, v13
	v_lshl_add_u32 v12, v12, 23, v14
	v_or3_b32 v12, v13, v12, v11
.LBB58_1688:
	s_or_b64 exec, exec, s[6:7]
	s_nop 0
	v_mfma_f32_16x16x4f32 a[0:3], v10, v12, a[0:3]
	s_movk_i32 s4, 0x7f
	v_cmp_gt_i16_sdwa s[6:7], v6, s4 src0_sel:BYTE_3 src1_sel:DWORD
	s_mov_b64 s[4:5], 0
                                        ; implicit-def: $sgpr10
	s_and_saveexec_b64 s[8:9], s[6:7]
	s_xor_b64 s[6:7], exec, s[8:9]
	s_cbranch_execnz .LBB58_3737
; %bb.1689:
	s_or_saveexec_b64 s[6:7], s[6:7]
	v_mov_b32_e32 v10, s10
	s_xor_b64 exec, exec, s[6:7]
	s_cbranch_execnz .LBB58_3740
.LBB58_1690:
	s_or_b64 exec, exec, s[6:7]
	s_and_saveexec_b64 s[6:7], s[4:5]
	s_cbranch_execz .LBB58_1692
.LBB58_1691:
	v_bfe_u32 v10, v6, 24, 3
	v_ffbh_u32_e32 v14, v10
	v_min_u32_e32 v14, 32, v14
	v_lshrrev_b32_e32 v12, 27, v6
	v_subrev_u32_e32 v15, 28, v14
	v_and_b32_e32 v11, 0x80000000, v6
	v_and_b32_e32 v12, 15, v12
	v_bfe_u32 v13, v6, 27, 4
	v_lshlrev_b32_sdwa v6, v15, v6 dst_sel:DWORD dst_unused:UNUSED_PAD src0_sel:DWORD src1_sel:BYTE_3
	v_sub_u32_e32 v14, 29, v14
	v_and_b32_e32 v6, 7, v6
	v_cmp_eq_u16_e32 vcc, 0, v12
	v_cndmask_b32_e32 v6, v10, v6, vcc
	v_cndmask_b32_e32 v10, v13, v14, vcc
	v_mov_b32_e32 v12, 0x3b800000
	v_lshlrev_b32_e32 v6, 20, v6
	v_lshl_add_u32 v10, v10, 23, v12
	v_or3_b32 v10, v11, v10, v6
.LBB58_1692:
	s_or_b64 exec, exec, s[6:7]
	s_movk_i32 s4, 0x7f
	v_cmp_gt_i16_sdwa s[6:7], v2, s4 src0_sel:BYTE_3 src1_sel:DWORD
	s_mov_b64 s[4:5], 0
                                        ; implicit-def: $sgpr10
	s_and_saveexec_b64 s[8:9], s[6:7]
	s_xor_b64 s[6:7], exec, s[8:9]
	s_cbranch_execnz .LBB58_3741
; %bb.1693:
	s_or_saveexec_b64 s[6:7], s[6:7]
	v_mov_b32_e32 v6, s10
	s_xor_b64 exec, exec, s[6:7]
	s_cbranch_execnz .LBB58_3744
.LBB58_1694:
	s_or_b64 exec, exec, s[6:7]
	s_and_saveexec_b64 s[6:7], s[4:5]
	s_cbranch_execz .LBB58_1696
.LBB58_1695:
	v_bfe_u32 v6, v2, 24, 3
	v_ffbh_u32_e32 v14, v6
	v_min_u32_e32 v14, 32, v14
	v_lshrrev_b32_e32 v12, 27, v2
	v_subrev_u32_e32 v15, 28, v14
	v_and_b32_e32 v11, 0x80000000, v2
	v_and_b32_e32 v12, 15, v12
	v_bfe_u32 v13, v2, 27, 4
	v_lshlrev_b32_sdwa v2, v15, v2 dst_sel:DWORD dst_unused:UNUSED_PAD src0_sel:DWORD src1_sel:BYTE_3
	v_sub_u32_e32 v14, 29, v14
	v_and_b32_e32 v2, 7, v2
	v_cmp_eq_u16_e32 vcc, 0, v12
	v_cndmask_b32_e32 v2, v6, v2, vcc
	v_cndmask_b32_e32 v6, v13, v14, vcc
	v_mov_b32_e32 v12, 0x3b800000
	v_lshlrev_b32_e32 v2, 20, v2
	v_lshl_add_u32 v6, v6, 23, v12
	v_or3_b32 v6, v11, v6, v2
.LBB58_1696:
	s_or_b64 exec, exec, s[6:7]
	s_nop 0
	v_mfma_f32_16x16x4f32 a[0:3], v10, v6, a[0:3]
	s_movk_i32 s4, 0x7f
	v_cmp_gt_i16_sdwa s[6:7], v7, s4 src0_sel:BYTE_0 src1_sel:DWORD
	s_mov_b64 s[4:5], 0
                                        ; implicit-def: $sgpr10
	s_and_saveexec_b64 s[8:9], s[6:7]
	s_xor_b64 s[6:7], exec, s[8:9]
	s_cbranch_execnz .LBB58_3745
; %bb.1697:
	s_or_saveexec_b64 s[6:7], s[6:7]
	v_mov_b32_e32 v2, s10
	s_xor_b64 exec, exec, s[6:7]
	s_cbranch_execnz .LBB58_3748
.LBB58_1698:
	s_or_b64 exec, exec, s[6:7]
	s_and_saveexec_b64 s[6:7], s[4:5]
	s_cbranch_execz .LBB58_1700
.LBB58_1699:
	v_and_b32_e32 v2, 7, v7
	v_ffbh_u32_e32 v10, v2
	v_min_u32_e32 v10, 32, v10
	v_lshrrev_b16_e32 v6, 3, v7
	v_subrev_u32_e32 v11, 28, v10
	v_and_b32_e32 v6, 15, v6
	v_lshlrev_b32_e32 v11, v11, v7
	v_sub_u32_e32 v10, 29, v10
	v_and_b32_e32 v11, 7, v11
	v_cmp_eq_u16_e32 vcc, 0, v6
	v_cndmask_b32_e32 v2, v2, v11, vcc
	v_cndmask_b32_e32 v6, v6, v10, vcc
	v_lshlrev_b32_e32 v10, 24, v7
	v_mov_b32_e32 v11, 0x3b800000
	v_lshlrev_b32_e32 v2, 20, v2
	v_and_b32_e32 v10, 0x80000000, v10
	v_lshl_add_u32 v6, v6, 23, v11
	v_or3_b32 v2, v10, v6, v2
.LBB58_1700:
	s_or_b64 exec, exec, s[6:7]
	s_movk_i32 s4, 0x7f
	v_cmp_gt_i16_sdwa s[6:7], v3, s4 src0_sel:BYTE_0 src1_sel:DWORD
	s_mov_b64 s[4:5], 0
                                        ; implicit-def: $sgpr10
	s_and_saveexec_b64 s[8:9], s[6:7]
	s_xor_b64 s[6:7], exec, s[8:9]
	s_cbranch_execnz .LBB58_3749
; %bb.1701:
	s_or_saveexec_b64 s[6:7], s[6:7]
	v_mov_b32_e32 v6, s10
	s_xor_b64 exec, exec, s[6:7]
	s_cbranch_execnz .LBB58_3752
.LBB58_1702:
	s_or_b64 exec, exec, s[6:7]
	s_and_saveexec_b64 s[6:7], s[4:5]
	s_cbranch_execz .LBB58_1704
.LBB58_1703:
	v_and_b32_e32 v6, 7, v3
	v_ffbh_u32_e32 v11, v6
	v_min_u32_e32 v11, 32, v11
	v_lshrrev_b16_e32 v10, 3, v3
	v_subrev_u32_e32 v12, 28, v11
	v_and_b32_e32 v10, 15, v10
	v_lshlrev_b32_e32 v12, v12, v3
	v_sub_u32_e32 v11, 29, v11
	v_and_b32_e32 v12, 7, v12
	v_cmp_eq_u16_e32 vcc, 0, v10
	v_cndmask_b32_e32 v6, v6, v12, vcc
	v_cndmask_b32_e32 v10, v10, v11, vcc
	v_lshlrev_b32_e32 v11, 24, v3
	v_mov_b32_e32 v12, 0x3b800000
	v_lshlrev_b32_e32 v6, 20, v6
	v_and_b32_e32 v11, 0x80000000, v11
	v_lshl_add_u32 v10, v10, 23, v12
	v_or3_b32 v6, v11, v10, v6
.LBB58_1704:
	s_or_b64 exec, exec, s[6:7]
	s_nop 0
	v_mfma_f32_16x16x4f32 a[0:3], v2, v6, a[0:3]
	v_lshrrev_b32_e32 v6, 8, v7
	s_movk_i32 s4, 0x7f
	v_cmp_gt_i16_sdwa s[6:7], v6, s4 src0_sel:BYTE_0 src1_sel:DWORD
	s_mov_b64 s[4:5], 0
                                        ; implicit-def: $sgpr10
	s_and_saveexec_b64 s[8:9], s[6:7]
	s_xor_b64 s[6:7], exec, s[8:9]
	s_cbranch_execnz .LBB58_3753
; %bb.1705:
	s_or_saveexec_b64 s[6:7], s[6:7]
	v_mov_b32_e32 v2, s10
	s_xor_b64 exec, exec, s[6:7]
	s_cbranch_execnz .LBB58_3756
.LBB58_1706:
	s_or_b64 exec, exec, s[6:7]
	s_and_saveexec_b64 s[6:7], s[4:5]
	s_cbranch_execz .LBB58_1708
.LBB58_1707:
	v_bfe_u32 v2, v7, 8, 3
	v_ffbh_u32_e32 v11, v2
	v_min_u32_e32 v11, 32, v11
	v_lshrrev_b16_e32 v10, 3, v6
	v_subrev_u32_e32 v12, 28, v11
	v_and_b32_e32 v10, 15, v10
	v_lshlrev_b32_e32 v6, v12, v6
	v_sub_u32_e32 v11, 29, v11
	v_and_b32_e32 v6, 7, v6
	v_cmp_eq_u16_e32 vcc, 0, v10
	v_cndmask_b32_e32 v2, v2, v6, vcc
	v_cndmask_b32_e32 v6, v10, v11, vcc
	v_lshlrev_b32_e32 v10, 16, v7
	v_mov_b32_e32 v11, 0x3b800000
	v_lshlrev_b32_e32 v2, 20, v2
	v_and_b32_e32 v10, 0x80000000, v10
	v_lshl_add_u32 v6, v6, 23, v11
	v_or3_b32 v2, v10, v6, v2
.LBB58_1708:
	s_or_b64 exec, exec, s[6:7]
	v_lshrrev_b32_e32 v6, 8, v3
	s_movk_i32 s4, 0x7f
	v_cmp_gt_i16_sdwa s[6:7], v6, s4 src0_sel:BYTE_0 src1_sel:DWORD
	s_mov_b64 s[4:5], 0
                                        ; implicit-def: $sgpr10
	s_and_saveexec_b64 s[8:9], s[6:7]
	s_xor_b64 s[6:7], exec, s[8:9]
	s_cbranch_execnz .LBB58_3757
; %bb.1709:
	s_or_saveexec_b64 s[6:7], s[6:7]
	v_mov_b32_e32 v10, s10
	s_xor_b64 exec, exec, s[6:7]
	s_cbranch_execnz .LBB58_3760
.LBB58_1710:
	s_or_b64 exec, exec, s[6:7]
	s_and_saveexec_b64 s[6:7], s[4:5]
	s_cbranch_execz .LBB58_1712
.LBB58_1711:
	v_bfe_u32 v10, v3, 8, 3
	v_ffbh_u32_e32 v12, v10
	v_min_u32_e32 v12, 32, v12
	v_lshrrev_b16_e32 v11, 3, v6
	v_subrev_u32_e32 v13, 28, v12
	v_and_b32_e32 v11, 15, v11
	v_lshlrev_b32_e32 v6, v13, v6
	v_sub_u32_e32 v12, 29, v12
	v_and_b32_e32 v6, 7, v6
	v_cmp_eq_u16_e32 vcc, 0, v11
	v_cndmask_b32_e32 v6, v10, v6, vcc
	v_cndmask_b32_e32 v10, v11, v12, vcc
	v_lshlrev_b32_e32 v11, 16, v3
	v_mov_b32_e32 v12, 0x3b800000
	v_lshlrev_b32_e32 v6, 20, v6
	v_and_b32_e32 v11, 0x80000000, v11
	v_lshl_add_u32 v10, v10, 23, v12
	v_or3_b32 v10, v11, v10, v6
.LBB58_1712:
	s_or_b64 exec, exec, s[6:7]
	s_nop 0
	v_mfma_f32_16x16x4f32 a[0:3], v2, v10, a[0:3]
	s_movk_i32 s4, 0xff
	v_and_b32_sdwa v6, v7, s4 dst_sel:DWORD dst_unused:UNUSED_PAD src0_sel:WORD_1 src1_sel:DWORD
	s_movk_i32 s4, 0x7f
	v_cmp_lt_i16_e32 vcc, s4, v6
	s_mov_b64 s[4:5], 0
                                        ; implicit-def: $sgpr10
	s_and_saveexec_b64 s[6:7], vcc
	s_xor_b64 s[6:7], exec, s[6:7]
	s_cbranch_execnz .LBB58_3761
; %bb.1713:
	s_or_saveexec_b64 s[6:7], s[6:7]
	v_mov_b32_e32 v2, s10
	s_xor_b64 exec, exec, s[6:7]
	s_cbranch_execnz .LBB58_3764
.LBB58_1714:
	s_or_b64 exec, exec, s[6:7]
	s_and_saveexec_b64 s[6:7], s[4:5]
	s_cbranch_execz .LBB58_1716
.LBB58_1715:
	v_bfe_u32 v2, v7, 16, 3
	v_ffbh_u32_e32 v11, v2
	v_min_u32_e32 v11, 32, v11
	v_lshrrev_b32_e32 v6, 19, v7
	v_subrev_u32_e32 v12, 28, v11
	v_and_b32_e32 v6, 15, v6
	v_lshlrev_b32_sdwa v12, v12, v7 dst_sel:DWORD dst_unused:UNUSED_PAD src0_sel:DWORD src1_sel:WORD_1
	v_bfe_u32 v10, v7, 19, 4
	v_sub_u32_e32 v11, 29, v11
	v_and_b32_e32 v12, 7, v12
	v_cmp_eq_u16_e32 vcc, 0, v6
	v_cndmask_b32_e32 v2, v2, v12, vcc
	v_cndmask_b32_e32 v6, v10, v11, vcc
	v_lshlrev_b32_e32 v10, 8, v7
	v_mov_b32_e32 v11, 0x3b800000
	v_lshlrev_b32_e32 v2, 20, v2
	v_and_b32_e32 v10, 0x80000000, v10
	v_lshl_add_u32 v6, v6, 23, v11
	v_or3_b32 v2, v10, v6, v2
.LBB58_1716:
	s_or_b64 exec, exec, s[6:7]
	s_movk_i32 s4, 0xff
	v_and_b32_sdwa v6, v3, s4 dst_sel:DWORD dst_unused:UNUSED_PAD src0_sel:WORD_1 src1_sel:DWORD
	s_movk_i32 s4, 0x7f
	v_cmp_lt_i16_e32 vcc, s4, v6
	s_mov_b64 s[4:5], 0
                                        ; implicit-def: $sgpr10
	s_and_saveexec_b64 s[6:7], vcc
	s_xor_b64 s[6:7], exec, s[6:7]
	s_cbranch_execnz .LBB58_3765
; %bb.1717:
	s_or_saveexec_b64 s[6:7], s[6:7]
	v_mov_b32_e32 v10, s10
	s_xor_b64 exec, exec, s[6:7]
	s_cbranch_execnz .LBB58_3768
.LBB58_1718:
	s_or_b64 exec, exec, s[6:7]
	s_and_saveexec_b64 s[6:7], s[4:5]
	s_cbranch_execz .LBB58_1720
.LBB58_1719:
	v_bfe_u32 v6, v3, 16, 3
	v_ffbh_u32_e32 v12, v6
	v_min_u32_e32 v12, 32, v12
	v_lshrrev_b32_e32 v10, 19, v3
	v_subrev_u32_e32 v13, 28, v12
	v_and_b32_e32 v10, 15, v10
	v_lshlrev_b32_sdwa v13, v13, v3 dst_sel:DWORD dst_unused:UNUSED_PAD src0_sel:DWORD src1_sel:WORD_1
	v_bfe_u32 v11, v3, 19, 4
	v_sub_u32_e32 v12, 29, v12
	v_and_b32_e32 v13, 7, v13
	v_cmp_eq_u16_e32 vcc, 0, v10
	v_cndmask_b32_e32 v6, v6, v13, vcc
	v_cndmask_b32_e32 v10, v11, v12, vcc
	v_lshlrev_b32_e32 v11, 8, v3
	v_mov_b32_e32 v12, 0x3b800000
	v_lshlrev_b32_e32 v6, 20, v6
	v_and_b32_e32 v11, 0x80000000, v11
	v_lshl_add_u32 v10, v10, 23, v12
	v_or3_b32 v10, v11, v10, v6
.LBB58_1720:
	s_or_b64 exec, exec, s[6:7]
	s_nop 0
	v_mfma_f32_16x16x4f32 a[0:3], v2, v10, a[0:3]
	s_movk_i32 s4, 0x7f
	v_cmp_gt_i16_sdwa s[6:7], v7, s4 src0_sel:BYTE_3 src1_sel:DWORD
	s_mov_b64 s[4:5], 0
                                        ; implicit-def: $sgpr10
	s_and_saveexec_b64 s[8:9], s[6:7]
	s_xor_b64 s[6:7], exec, s[8:9]
	s_cbranch_execnz .LBB58_3769
; %bb.1721:
	s_or_saveexec_b64 s[6:7], s[6:7]
	v_mov_b32_e32 v2, s10
	s_xor_b64 exec, exec, s[6:7]
	s_cbranch_execnz .LBB58_3772
.LBB58_1722:
	s_or_b64 exec, exec, s[6:7]
	s_and_saveexec_b64 s[6:7], s[4:5]
	s_cbranch_execz .LBB58_1724
.LBB58_1723:
	v_bfe_u32 v2, v7, 24, 3
	v_ffbh_u32_e32 v12, v2
	v_min_u32_e32 v12, 32, v12
	v_lshrrev_b32_e32 v10, 27, v7
	v_subrev_u32_e32 v13, 28, v12
	v_and_b32_e32 v6, 0x80000000, v7
	v_and_b32_e32 v10, 15, v10
	v_bfe_u32 v11, v7, 27, 4
	v_lshlrev_b32_sdwa v7, v13, v7 dst_sel:DWORD dst_unused:UNUSED_PAD src0_sel:DWORD src1_sel:BYTE_3
	v_sub_u32_e32 v12, 29, v12
	v_and_b32_e32 v7, 7, v7
	v_cmp_eq_u16_e32 vcc, 0, v10
	v_cndmask_b32_e32 v2, v2, v7, vcc
	v_cndmask_b32_e32 v7, v11, v12, vcc
	v_mov_b32_e32 v10, 0x3b800000
	v_lshlrev_b32_e32 v2, 20, v2
	v_lshl_add_u32 v7, v7, 23, v10
	v_or3_b32 v2, v6, v7, v2
.LBB58_1724:
	s_or_b64 exec, exec, s[6:7]
	s_movk_i32 s4, 0x7f
	v_cmp_gt_i16_sdwa s[6:7], v3, s4 src0_sel:BYTE_3 src1_sel:DWORD
	s_mov_b64 s[4:5], 0
                                        ; implicit-def: $sgpr10
	s_and_saveexec_b64 s[8:9], s[6:7]
	s_xor_b64 s[6:7], exec, s[8:9]
	s_cbranch_execnz .LBB58_3773
; %bb.1725:
	s_or_saveexec_b64 s[6:7], s[6:7]
	v_mov_b32_e32 v6, s10
	s_xor_b64 exec, exec, s[6:7]
	s_cbranch_execnz .LBB58_3776
.LBB58_1726:
	s_or_b64 exec, exec, s[6:7]
	s_and_saveexec_b64 s[6:7], s[4:5]
	s_cbranch_execz .LBB58_1728
.LBB58_1727:
	v_bfe_u32 v6, v3, 24, 3
	v_ffbh_u32_e32 v12, v6
	v_min_u32_e32 v12, 32, v12
	v_lshrrev_b32_e32 v10, 27, v3
	v_subrev_u32_e32 v13, 28, v12
	v_and_b32_e32 v7, 0x80000000, v3
	v_and_b32_e32 v10, 15, v10
	v_bfe_u32 v11, v3, 27, 4
	v_lshlrev_b32_sdwa v3, v13, v3 dst_sel:DWORD dst_unused:UNUSED_PAD src0_sel:DWORD src1_sel:BYTE_3
	v_sub_u32_e32 v12, 29, v12
	v_and_b32_e32 v3, 7, v3
	v_cmp_eq_u16_e32 vcc, 0, v10
	v_cndmask_b32_e32 v3, v6, v3, vcc
	v_cndmask_b32_e32 v6, v11, v12, vcc
	v_mov_b32_e32 v10, 0x3b800000
	v_lshlrev_b32_e32 v3, 20, v3
	v_lshl_add_u32 v6, v6, 23, v10
	v_or3_b32 v6, v7, v6, v3
.LBB58_1728:
	s_or_b64 exec, exec, s[6:7]
	s_nop 0
	v_mfma_f32_16x16x4f32 a[0:3], v2, v6, a[0:3]
	s_movk_i32 s4, 0x7f
	v_cmp_gt_i16_sdwa s[6:7], v8, s4 src0_sel:BYTE_0 src1_sel:DWORD
	s_mov_b64 s[4:5], 0
                                        ; implicit-def: $sgpr10
	s_and_saveexec_b64 s[8:9], s[6:7]
	s_xor_b64 s[6:7], exec, s[8:9]
	s_cbranch_execnz .LBB58_3777
; %bb.1729:
	s_or_saveexec_b64 s[6:7], s[6:7]
	v_mov_b32_e32 v2, s10
	s_xor_b64 exec, exec, s[6:7]
	s_cbranch_execnz .LBB58_3780
.LBB58_1730:
	s_or_b64 exec, exec, s[6:7]
	s_and_saveexec_b64 s[6:7], s[4:5]
	s_cbranch_execz .LBB58_1732
.LBB58_1731:
	v_and_b32_e32 v2, 7, v8
	v_ffbh_u32_e32 v6, v2
	v_min_u32_e32 v6, 32, v6
	v_lshrrev_b16_e32 v3, 3, v8
	v_subrev_u32_e32 v7, 28, v6
	v_and_b32_e32 v3, 15, v3
	v_lshlrev_b32_e32 v7, v7, v8
	v_sub_u32_e32 v6, 29, v6
	v_and_b32_e32 v7, 7, v7
	v_cmp_eq_u16_e32 vcc, 0, v3
	v_cndmask_b32_e32 v2, v2, v7, vcc
	v_cndmask_b32_e32 v3, v3, v6, vcc
	v_lshlrev_b32_e32 v6, 24, v8
	v_mov_b32_e32 v7, 0x3b800000
	v_lshlrev_b32_e32 v2, 20, v2
	v_and_b32_e32 v6, 0x80000000, v6
	v_lshl_add_u32 v3, v3, 23, v7
	v_or3_b32 v2, v6, v3, v2
.LBB58_1732:
	s_or_b64 exec, exec, s[6:7]
	s_movk_i32 s4, 0x7f
	v_cmp_gt_i16_sdwa s[6:7], v4, s4 src0_sel:BYTE_0 src1_sel:DWORD
	s_mov_b64 s[4:5], 0
                                        ; implicit-def: $sgpr10
	s_and_saveexec_b64 s[8:9], s[6:7]
	s_xor_b64 s[6:7], exec, s[8:9]
	s_cbranch_execnz .LBB58_3781
; %bb.1733:
	s_or_saveexec_b64 s[6:7], s[6:7]
	v_mov_b32_e32 v3, s10
	s_xor_b64 exec, exec, s[6:7]
	s_cbranch_execnz .LBB58_3784
.LBB58_1734:
	s_or_b64 exec, exec, s[6:7]
	s_and_saveexec_b64 s[6:7], s[4:5]
	s_cbranch_execz .LBB58_1736
.LBB58_1735:
	v_and_b32_e32 v3, 7, v4
	v_ffbh_u32_e32 v7, v3
	v_min_u32_e32 v7, 32, v7
	v_lshrrev_b16_e32 v6, 3, v4
	v_subrev_u32_e32 v10, 28, v7
	v_and_b32_e32 v6, 15, v6
	v_lshlrev_b32_e32 v10, v10, v4
	v_sub_u32_e32 v7, 29, v7
	v_and_b32_e32 v10, 7, v10
	v_cmp_eq_u16_e32 vcc, 0, v6
	v_cndmask_b32_e32 v3, v3, v10, vcc
	v_cndmask_b32_e32 v6, v6, v7, vcc
	v_lshlrev_b32_e32 v7, 24, v4
	v_mov_b32_e32 v10, 0x3b800000
	v_lshlrev_b32_e32 v3, 20, v3
	v_and_b32_e32 v7, 0x80000000, v7
	v_lshl_add_u32 v6, v6, 23, v10
	v_or3_b32 v3, v7, v6, v3
.LBB58_1736:
	s_or_b64 exec, exec, s[6:7]
	s_nop 0
	v_mfma_f32_16x16x4f32 a[0:3], v2, v3, a[0:3]
	v_lshrrev_b32_e32 v3, 8, v8
	s_movk_i32 s4, 0x7f
	v_cmp_gt_i16_sdwa s[6:7], v3, s4 src0_sel:BYTE_0 src1_sel:DWORD
	s_mov_b64 s[4:5], 0
                                        ; implicit-def: $sgpr10
	s_and_saveexec_b64 s[8:9], s[6:7]
	s_xor_b64 s[6:7], exec, s[8:9]
	s_cbranch_execnz .LBB58_3785
; %bb.1737:
	s_or_saveexec_b64 s[6:7], s[6:7]
	v_mov_b32_e32 v2, s10
	s_xor_b64 exec, exec, s[6:7]
	s_cbranch_execnz .LBB58_3788
.LBB58_1738:
	s_or_b64 exec, exec, s[6:7]
	s_and_saveexec_b64 s[6:7], s[4:5]
	s_cbranch_execz .LBB58_1740
.LBB58_1739:
	v_bfe_u32 v2, v8, 8, 3
	v_ffbh_u32_e32 v7, v2
	v_min_u32_e32 v7, 32, v7
	v_lshrrev_b16_e32 v6, 3, v3
	v_subrev_u32_e32 v10, 28, v7
	v_and_b32_e32 v6, 15, v6
	v_lshlrev_b32_e32 v3, v10, v3
	v_sub_u32_e32 v7, 29, v7
	v_and_b32_e32 v3, 7, v3
	v_cmp_eq_u16_e32 vcc, 0, v6
	v_cndmask_b32_e32 v2, v2, v3, vcc
	v_cndmask_b32_e32 v3, v6, v7, vcc
	v_lshlrev_b32_e32 v6, 16, v8
	v_mov_b32_e32 v7, 0x3b800000
	v_lshlrev_b32_e32 v2, 20, v2
	v_and_b32_e32 v6, 0x80000000, v6
	v_lshl_add_u32 v3, v3, 23, v7
	v_or3_b32 v2, v6, v3, v2
.LBB58_1740:
	s_or_b64 exec, exec, s[6:7]
	v_lshrrev_b32_e32 v3, 8, v4
	s_movk_i32 s4, 0x7f
	v_cmp_gt_i16_sdwa s[6:7], v3, s4 src0_sel:BYTE_0 src1_sel:DWORD
	s_mov_b64 s[4:5], 0
                                        ; implicit-def: $sgpr10
	s_and_saveexec_b64 s[8:9], s[6:7]
	s_xor_b64 s[6:7], exec, s[8:9]
	s_cbranch_execnz .LBB58_3789
; %bb.1741:
	s_or_saveexec_b64 s[6:7], s[6:7]
	v_mov_b32_e32 v6, s10
	s_xor_b64 exec, exec, s[6:7]
	s_cbranch_execnz .LBB58_3792
.LBB58_1742:
	s_or_b64 exec, exec, s[6:7]
	s_and_saveexec_b64 s[6:7], s[4:5]
	s_cbranch_execz .LBB58_1744
.LBB58_1743:
	v_bfe_u32 v6, v4, 8, 3
	v_ffbh_u32_e32 v10, v6
	v_min_u32_e32 v10, 32, v10
	v_lshrrev_b16_e32 v7, 3, v3
	v_subrev_u32_e32 v11, 28, v10
	v_and_b32_e32 v7, 15, v7
	v_lshlrev_b32_e32 v3, v11, v3
	v_sub_u32_e32 v10, 29, v10
	v_and_b32_e32 v3, 7, v3
	v_cmp_eq_u16_e32 vcc, 0, v7
	v_cndmask_b32_e32 v3, v6, v3, vcc
	v_cndmask_b32_e32 v6, v7, v10, vcc
	v_lshlrev_b32_e32 v7, 16, v4
	v_mov_b32_e32 v10, 0x3b800000
	v_lshlrev_b32_e32 v3, 20, v3
	v_and_b32_e32 v7, 0x80000000, v7
	v_lshl_add_u32 v6, v6, 23, v10
	v_or3_b32 v6, v7, v6, v3
.LBB58_1744:
	s_or_b64 exec, exec, s[6:7]
	s_nop 0
	v_mfma_f32_16x16x4f32 a[0:3], v2, v6, a[0:3]
	s_movk_i32 s4, 0xff
	v_and_b32_sdwa v3, v8, s4 dst_sel:DWORD dst_unused:UNUSED_PAD src0_sel:WORD_1 src1_sel:DWORD
	s_movk_i32 s4, 0x7f
	v_cmp_lt_i16_e32 vcc, s4, v3
	s_mov_b64 s[4:5], 0
                                        ; implicit-def: $sgpr10
	s_and_saveexec_b64 s[6:7], vcc
	s_xor_b64 s[6:7], exec, s[6:7]
	s_cbranch_execnz .LBB58_3793
; %bb.1745:
	s_or_saveexec_b64 s[6:7], s[6:7]
	v_mov_b32_e32 v2, s10
	s_xor_b64 exec, exec, s[6:7]
	s_cbranch_execnz .LBB58_3796
.LBB58_1746:
	s_or_b64 exec, exec, s[6:7]
	s_and_saveexec_b64 s[6:7], s[4:5]
	s_cbranch_execz .LBB58_1748
.LBB58_1747:
	v_bfe_u32 v2, v8, 16, 3
	v_ffbh_u32_e32 v7, v2
	v_min_u32_e32 v7, 32, v7
	v_lshrrev_b32_e32 v3, 19, v8
	v_subrev_u32_e32 v10, 28, v7
	v_and_b32_e32 v3, 15, v3
	v_lshlrev_b32_sdwa v10, v10, v8 dst_sel:DWORD dst_unused:UNUSED_PAD src0_sel:DWORD src1_sel:WORD_1
	v_bfe_u32 v6, v8, 19, 4
	v_sub_u32_e32 v7, 29, v7
	v_and_b32_e32 v10, 7, v10
	v_cmp_eq_u16_e32 vcc, 0, v3
	v_cndmask_b32_e32 v2, v2, v10, vcc
	v_cndmask_b32_e32 v3, v6, v7, vcc
	v_lshlrev_b32_e32 v6, 8, v8
	v_mov_b32_e32 v7, 0x3b800000
	v_lshlrev_b32_e32 v2, 20, v2
	v_and_b32_e32 v6, 0x80000000, v6
	v_lshl_add_u32 v3, v3, 23, v7
	v_or3_b32 v2, v6, v3, v2
.LBB58_1748:
	s_or_b64 exec, exec, s[6:7]
	s_movk_i32 s4, 0xff
	v_and_b32_sdwa v3, v4, s4 dst_sel:DWORD dst_unused:UNUSED_PAD src0_sel:WORD_1 src1_sel:DWORD
	s_movk_i32 s4, 0x7f
	v_cmp_lt_i16_e32 vcc, s4, v3
	s_mov_b64 s[4:5], 0
                                        ; implicit-def: $sgpr10
	s_and_saveexec_b64 s[6:7], vcc
	s_xor_b64 s[6:7], exec, s[6:7]
	s_cbranch_execnz .LBB58_3797
; %bb.1749:
	s_or_saveexec_b64 s[6:7], s[6:7]
	v_mov_b32_e32 v6, s10
	s_xor_b64 exec, exec, s[6:7]
	s_cbranch_execnz .LBB58_3800
.LBB58_1750:
	s_or_b64 exec, exec, s[6:7]
	s_and_saveexec_b64 s[6:7], s[4:5]
	s_cbranch_execz .LBB58_1752
.LBB58_1751:
	v_bfe_u32 v3, v4, 16, 3
	v_ffbh_u32_e32 v10, v3
	v_min_u32_e32 v10, 32, v10
	v_lshrrev_b32_e32 v6, 19, v4
	v_subrev_u32_e32 v11, 28, v10
	v_and_b32_e32 v6, 15, v6
	v_lshlrev_b32_sdwa v11, v11, v4 dst_sel:DWORD dst_unused:UNUSED_PAD src0_sel:DWORD src1_sel:WORD_1
	v_bfe_u32 v7, v4, 19, 4
	v_sub_u32_e32 v10, 29, v10
	v_and_b32_e32 v11, 7, v11
	v_cmp_eq_u16_e32 vcc, 0, v6
	v_cndmask_b32_e32 v3, v3, v11, vcc
	v_cndmask_b32_e32 v6, v7, v10, vcc
	v_lshlrev_b32_e32 v7, 8, v4
	v_mov_b32_e32 v10, 0x3b800000
	v_lshlrev_b32_e32 v3, 20, v3
	v_and_b32_e32 v7, 0x80000000, v7
	v_lshl_add_u32 v6, v6, 23, v10
	v_or3_b32 v6, v7, v6, v3
.LBB58_1752:
	s_or_b64 exec, exec, s[6:7]
	s_nop 0
	v_mfma_f32_16x16x4f32 a[0:3], v2, v6, a[0:3]
	s_movk_i32 s4, 0x7f
	v_cmp_gt_i16_sdwa s[6:7], v8, s4 src0_sel:BYTE_3 src1_sel:DWORD
	s_mov_b64 s[4:5], 0
                                        ; implicit-def: $sgpr10
	s_and_saveexec_b64 s[8:9], s[6:7]
	s_xor_b64 s[6:7], exec, s[8:9]
	s_cbranch_execnz .LBB58_3801
; %bb.1753:
	s_or_saveexec_b64 s[6:7], s[6:7]
	v_mov_b32_e32 v2, s10
	s_xor_b64 exec, exec, s[6:7]
	s_cbranch_execnz .LBB58_3804
.LBB58_1754:
	s_or_b64 exec, exec, s[6:7]
	s_and_saveexec_b64 s[6:7], s[4:5]
	s_cbranch_execz .LBB58_1756
.LBB58_1755:
	v_bfe_u32 v2, v8, 24, 3
	v_ffbh_u32_e32 v10, v2
	v_min_u32_e32 v10, 32, v10
	v_lshrrev_b32_e32 v6, 27, v8
	v_subrev_u32_e32 v11, 28, v10
	v_and_b32_e32 v3, 0x80000000, v8
	v_and_b32_e32 v6, 15, v6
	v_bfe_u32 v7, v8, 27, 4
	v_lshlrev_b32_sdwa v8, v11, v8 dst_sel:DWORD dst_unused:UNUSED_PAD src0_sel:DWORD src1_sel:BYTE_3
	v_sub_u32_e32 v10, 29, v10
	v_and_b32_e32 v8, 7, v8
	v_cmp_eq_u16_e32 vcc, 0, v6
	v_cndmask_b32_e32 v2, v2, v8, vcc
	v_cndmask_b32_e32 v6, v7, v10, vcc
	v_mov_b32_e32 v7, 0x3b800000
	v_lshlrev_b32_e32 v2, 20, v2
	v_lshl_add_u32 v6, v6, 23, v7
	v_or3_b32 v2, v3, v6, v2
.LBB58_1756:
	s_or_b64 exec, exec, s[6:7]
	s_movk_i32 s4, 0x7f
	v_cmp_gt_i16_sdwa s[6:7], v4, s4 src0_sel:BYTE_3 src1_sel:DWORD
	s_mov_b64 s[4:5], 0
                                        ; implicit-def: $sgpr10
	s_and_saveexec_b64 s[8:9], s[6:7]
	s_xor_b64 s[6:7], exec, s[8:9]
	s_cbranch_execnz .LBB58_3805
; %bb.1757:
	s_or_saveexec_b64 s[6:7], s[6:7]
	v_mov_b32_e32 v3, s10
	s_xor_b64 exec, exec, s[6:7]
	s_cbranch_execnz .LBB58_3808
.LBB58_1758:
	s_or_b64 exec, exec, s[6:7]
	s_and_saveexec_b64 s[6:7], s[4:5]
	s_cbranch_execz .LBB58_1760
.LBB58_1759:
	v_bfe_u32 v3, v4, 24, 3
	v_ffbh_u32_e32 v10, v3
	v_min_u32_e32 v10, 32, v10
	v_lshrrev_b32_e32 v7, 27, v4
	v_subrev_u32_e32 v11, 28, v10
	v_and_b32_e32 v6, 0x80000000, v4
	v_and_b32_e32 v7, 15, v7
	v_bfe_u32 v8, v4, 27, 4
	v_lshlrev_b32_sdwa v4, v11, v4 dst_sel:DWORD dst_unused:UNUSED_PAD src0_sel:DWORD src1_sel:BYTE_3
	v_sub_u32_e32 v10, 29, v10
	v_and_b32_e32 v4, 7, v4
	v_cmp_eq_u16_e32 vcc, 0, v7
	v_cndmask_b32_e32 v3, v3, v4, vcc
	v_cndmask_b32_e32 v4, v8, v10, vcc
	v_mov_b32_e32 v7, 0x3b800000
	v_lshlrev_b32_e32 v3, 20, v3
	v_lshl_add_u32 v4, v4, 23, v7
	v_or3_b32 v3, v6, v4, v3
.LBB58_1760:
	s_or_b64 exec, exec, s[6:7]
	s_nop 0
	v_mfma_f32_16x16x4f32 a[0:3], v2, v3, a[0:3]
	s_movk_i32 s4, 0x7f
	v_cmp_gt_i16_sdwa s[6:7], v9, s4 src0_sel:BYTE_0 src1_sel:DWORD
	s_mov_b64 s[4:5], 0
                                        ; implicit-def: $sgpr10
	s_and_saveexec_b64 s[8:9], s[6:7]
	s_xor_b64 s[6:7], exec, s[8:9]
	s_cbranch_execnz .LBB58_3809
; %bb.1761:
	s_or_saveexec_b64 s[6:7], s[6:7]
	v_mov_b32_e32 v2, s10
	s_xor_b64 exec, exec, s[6:7]
	s_cbranch_execnz .LBB58_3812
.LBB58_1762:
	s_or_b64 exec, exec, s[6:7]
	s_and_saveexec_b64 s[6:7], s[4:5]
	s_cbranch_execz .LBB58_1764
.LBB58_1763:
	v_mov_b32_e32 v2, 8
	v_and_b32_e32 v3, 7, v9
	v_lshrrev_b32_sdwa v2, v2, v9 dst_sel:BYTE_1 dst_unused:UNUSED_PAD src0_sel:DWORD src1_sel:DWORD
	v_ffbh_u32_e32 v4, v3
	v_or_b32_sdwa v2, v9, v2 dst_sel:DWORD dst_unused:UNUSED_PAD src0_sel:BYTE_0 src1_sel:DWORD
	v_min_u32_e32 v4, 32, v4
	v_lshrrev_b16_e32 v2, 3, v2
	v_subrev_u32_e32 v6, 28, v4
	v_and_b32_e32 v2, 15, v2
	v_lshlrev_b32_e32 v6, v6, v9
	v_sub_u32_e32 v4, 29, v4
	v_and_b32_e32 v6, 7, v6
	v_cmp_eq_u16_e32 vcc, 0, v2
	v_cndmask_b32_e32 v3, v3, v6, vcc
	v_cndmask_b32_e32 v2, v2, v4, vcc
	v_lshlrev_b32_e32 v4, 24, v9
	v_mov_b32_e32 v6, 0x3b800000
	v_lshlrev_b32_e32 v3, 20, v3
	v_and_b32_e32 v4, 0x80000000, v4
	v_lshl_add_u32 v2, v2, 23, v6
	v_or3_b32 v2, v4, v2, v3
.LBB58_1764:
	s_or_b64 exec, exec, s[6:7]
	s_movk_i32 s4, 0x7f
	v_cmp_gt_i16_sdwa s[6:7], v5, s4 src0_sel:BYTE_0 src1_sel:DWORD
	s_mov_b64 s[4:5], 0
                                        ; implicit-def: $sgpr10
	s_and_saveexec_b64 s[8:9], s[6:7]
	s_xor_b64 s[6:7], exec, s[8:9]
	s_cbranch_execnz .LBB58_3813
; %bb.1765:
	s_or_saveexec_b64 s[6:7], s[6:7]
	v_mov_b32_e32 v3, s10
	s_xor_b64 exec, exec, s[6:7]
	s_cbranch_execnz .LBB58_3816
.LBB58_1766:
	s_or_b64 exec, exec, s[6:7]
	s_and_saveexec_b64 s[6:7], s[4:5]
	s_cbranch_execz .LBB58_1768
.LBB58_1767:
	v_mov_b32_e32 v3, 8
	v_and_b32_e32 v4, 7, v5
	v_lshrrev_b32_sdwa v3, v3, v5 dst_sel:BYTE_1 dst_unused:UNUSED_PAD src0_sel:DWORD src1_sel:DWORD
	v_ffbh_u32_e32 v6, v4
	v_or_b32_sdwa v3, v5, v3 dst_sel:DWORD dst_unused:UNUSED_PAD src0_sel:BYTE_0 src1_sel:DWORD
	v_min_u32_e32 v6, 32, v6
	v_lshrrev_b16_e32 v3, 3, v3
	v_subrev_u32_e32 v7, 28, v6
	v_and_b32_e32 v3, 15, v3
	v_lshlrev_b32_e32 v7, v7, v5
	v_sub_u32_e32 v6, 29, v6
	v_and_b32_e32 v7, 7, v7
	v_cmp_eq_u16_e32 vcc, 0, v3
	v_cndmask_b32_e32 v4, v4, v7, vcc
	v_cndmask_b32_e32 v3, v3, v6, vcc
	v_lshlrev_b32_e32 v6, 24, v5
	v_mov_b32_e32 v7, 0x3b800000
	v_lshlrev_b32_e32 v4, 20, v4
	v_and_b32_e32 v6, 0x80000000, v6
	v_lshl_add_u32 v3, v3, 23, v7
	v_or3_b32 v3, v6, v3, v4
.LBB58_1768:
	s_or_b64 exec, exec, s[6:7]
	s_nop 0
	v_mfma_f32_16x16x4f32 a[0:3], v2, v3, a[0:3]
	v_lshrrev_b32_e32 v3, 8, v9
	s_movk_i32 s4, 0x7f
	v_cmp_gt_i16_sdwa s[6:7], v3, s4 src0_sel:BYTE_0 src1_sel:DWORD
	s_mov_b64 s[4:5], 0
                                        ; implicit-def: $sgpr10
	s_and_saveexec_b64 s[8:9], s[6:7]
	s_xor_b64 s[6:7], exec, s[8:9]
	s_cbranch_execnz .LBB58_3817
; %bb.1769:
	s_or_saveexec_b64 s[6:7], s[6:7]
	v_mov_b32_e32 v2, s10
	s_xor_b64 exec, exec, s[6:7]
	s_cbranch_execnz .LBB58_3820
.LBB58_1770:
	s_or_b64 exec, exec, s[6:7]
	s_and_saveexec_b64 s[6:7], s[4:5]
	s_cbranch_execz .LBB58_1772
.LBB58_1771:
	v_bfe_u32 v2, v9, 8, 3
	v_ffbh_u32_e32 v6, v2
	v_min_u32_e32 v6, 32, v6
	v_lshrrev_b16_e32 v4, 3, v3
	v_subrev_u32_e32 v7, 28, v6
	v_and_b32_e32 v4, 15, v4
	v_lshlrev_b32_e32 v3, v7, v3
	v_sub_u32_e32 v6, 29, v6
	v_and_b32_e32 v3, 7, v3
	v_cmp_eq_u16_e32 vcc, 0, v4
	v_cndmask_b32_e32 v2, v2, v3, vcc
	v_cndmask_b32_e32 v3, v4, v6, vcc
	v_lshlrev_b32_e32 v4, 16, v9
	v_mov_b32_e32 v6, 0x3b800000
	v_lshlrev_b32_e32 v2, 20, v2
	v_and_b32_e32 v4, 0x80000000, v4
	v_lshl_add_u32 v3, v3, 23, v6
	v_or3_b32 v2, v4, v3, v2
.LBB58_1772:
	s_or_b64 exec, exec, s[6:7]
	v_lshrrev_b32_e32 v3, 8, v5
	s_movk_i32 s4, 0x7f
	v_cmp_gt_i16_sdwa s[6:7], v3, s4 src0_sel:BYTE_0 src1_sel:DWORD
	s_mov_b64 s[4:5], 0
                                        ; implicit-def: $sgpr10
	s_and_saveexec_b64 s[8:9], s[6:7]
	s_xor_b64 s[6:7], exec, s[8:9]
	s_cbranch_execnz .LBB58_3821
; %bb.1773:
	s_or_saveexec_b64 s[6:7], s[6:7]
	v_mov_b32_e32 v4, s10
	s_xor_b64 exec, exec, s[6:7]
	s_cbranch_execnz .LBB58_3824
.LBB58_1774:
	s_or_b64 exec, exec, s[6:7]
	s_and_saveexec_b64 s[6:7], s[4:5]
	s_cbranch_execz .LBB58_1776
.LBB58_1775:
	v_bfe_u32 v4, v5, 8, 3
	v_ffbh_u32_e32 v7, v4
	v_min_u32_e32 v7, 32, v7
	v_lshrrev_b16_e32 v6, 3, v3
	v_subrev_u32_e32 v8, 28, v7
	v_and_b32_e32 v6, 15, v6
	v_lshlrev_b32_e32 v3, v8, v3
	v_sub_u32_e32 v7, 29, v7
	v_and_b32_e32 v3, 7, v3
	v_cmp_eq_u16_e32 vcc, 0, v6
	v_cndmask_b32_e32 v3, v4, v3, vcc
	v_cndmask_b32_e32 v4, v6, v7, vcc
	v_lshlrev_b32_e32 v6, 16, v5
	v_mov_b32_e32 v7, 0x3b800000
	v_lshlrev_b32_e32 v3, 20, v3
	v_and_b32_e32 v6, 0x80000000, v6
	v_lshl_add_u32 v4, v4, 23, v7
	v_or3_b32 v4, v6, v4, v3
.LBB58_1776:
	s_or_b64 exec, exec, s[6:7]
	s_nop 0
	v_mfma_f32_16x16x4f32 a[0:3], v2, v4, a[0:3]
	s_movk_i32 s4, 0xff
	v_and_b32_sdwa v3, v9, s4 dst_sel:DWORD dst_unused:UNUSED_PAD src0_sel:WORD_1 src1_sel:DWORD
	s_movk_i32 s4, 0x7f
	v_cmp_lt_i16_e32 vcc, s4, v3
	s_mov_b64 s[4:5], 0
                                        ; implicit-def: $sgpr10
	s_and_saveexec_b64 s[6:7], vcc
	s_xor_b64 s[6:7], exec, s[6:7]
	s_cbranch_execnz .LBB58_3825
; %bb.1777:
	s_or_saveexec_b64 s[6:7], s[6:7]
	v_mov_b32_e32 v2, s10
	s_xor_b64 exec, exec, s[6:7]
	s_cbranch_execnz .LBB58_3828
.LBB58_1778:
	s_or_b64 exec, exec, s[6:7]
	s_and_saveexec_b64 s[6:7], s[4:5]
	s_cbranch_execz .LBB58_1780
.LBB58_1779:
	v_bfe_u32 v2, v9, 16, 3
	v_ffbh_u32_e32 v6, v2
	v_min_u32_e32 v6, 32, v6
	v_lshrrev_b32_e32 v3, 19, v9
	v_subrev_u32_e32 v7, 28, v6
	v_and_b32_e32 v3, 15, v3
	v_lshlrev_b32_sdwa v7, v7, v9 dst_sel:DWORD dst_unused:UNUSED_PAD src0_sel:DWORD src1_sel:WORD_1
	v_bfe_u32 v4, v9, 19, 4
	v_sub_u32_e32 v6, 29, v6
	v_and_b32_e32 v7, 7, v7
	v_cmp_eq_u16_e32 vcc, 0, v3
	v_cndmask_b32_e32 v2, v2, v7, vcc
	v_cndmask_b32_e32 v3, v4, v6, vcc
	v_lshlrev_b32_e32 v4, 8, v9
	v_mov_b32_e32 v6, 0x3b800000
	v_lshlrev_b32_e32 v2, 20, v2
	v_and_b32_e32 v4, 0x80000000, v4
	v_lshl_add_u32 v3, v3, 23, v6
	v_or3_b32 v2, v4, v3, v2
.LBB58_1780:
	s_or_b64 exec, exec, s[6:7]
	s_movk_i32 s4, 0xff
	v_and_b32_sdwa v3, v5, s4 dst_sel:DWORD dst_unused:UNUSED_PAD src0_sel:WORD_1 src1_sel:DWORD
	s_movk_i32 s4, 0x7f
	v_cmp_lt_i16_e32 vcc, s4, v3
	s_mov_b64 s[4:5], 0
                                        ; implicit-def: $sgpr10
	s_and_saveexec_b64 s[6:7], vcc
	s_xor_b64 s[6:7], exec, s[6:7]
	s_cbranch_execnz .LBB58_3829
; %bb.1781:
	s_or_saveexec_b64 s[6:7], s[6:7]
	v_mov_b32_e32 v4, s10
	s_xor_b64 exec, exec, s[6:7]
	s_cbranch_execnz .LBB58_3832
.LBB58_1782:
	s_or_b64 exec, exec, s[6:7]
	s_and_saveexec_b64 s[6:7], s[4:5]
	s_cbranch_execz .LBB58_1784
.LBB58_1783:
	v_bfe_u32 v3, v5, 16, 3
	v_ffbh_u32_e32 v7, v3
	v_min_u32_e32 v7, 32, v7
	v_lshrrev_b32_e32 v4, 19, v5
	v_subrev_u32_e32 v8, 28, v7
	v_and_b32_e32 v4, 15, v4
	v_lshlrev_b32_sdwa v8, v8, v5 dst_sel:DWORD dst_unused:UNUSED_PAD src0_sel:DWORD src1_sel:WORD_1
	v_bfe_u32 v6, v5, 19, 4
	v_sub_u32_e32 v7, 29, v7
	v_and_b32_e32 v8, 7, v8
	v_cmp_eq_u16_e32 vcc, 0, v4
	v_cndmask_b32_e32 v3, v3, v8, vcc
	v_cndmask_b32_e32 v4, v6, v7, vcc
	v_lshlrev_b32_e32 v6, 8, v5
	v_mov_b32_e32 v7, 0x3b800000
	v_lshlrev_b32_e32 v3, 20, v3
	v_and_b32_e32 v6, 0x80000000, v6
	v_lshl_add_u32 v4, v4, 23, v7
	v_or3_b32 v4, v6, v4, v3
.LBB58_1784:
	s_or_b64 exec, exec, s[6:7]
	s_nop 0
	v_mfma_f32_16x16x4f32 a[0:3], v2, v4, a[0:3]
	s_movk_i32 s4, 0x7f
	v_cmp_gt_i16_sdwa s[6:7], v9, s4 src0_sel:BYTE_3 src1_sel:DWORD
	s_mov_b64 s[4:5], 0
                                        ; implicit-def: $sgpr10
	s_and_saveexec_b64 s[8:9], s[6:7]
	s_xor_b64 s[6:7], exec, s[8:9]
	s_cbranch_execnz .LBB58_3833
; %bb.1785:
	s_or_saveexec_b64 s[6:7], s[6:7]
	v_mov_b32_e32 v2, s10
	s_xor_b64 exec, exec, s[6:7]
	s_cbranch_execnz .LBB58_3836
.LBB58_1786:
	s_or_b64 exec, exec, s[6:7]
	s_and_saveexec_b64 s[6:7], s[4:5]
	s_cbranch_execz .LBB58_1788
.LBB58_1787:
	v_bfe_u32 v2, v9, 24, 3
	v_ffbh_u32_e32 v7, v2
	v_min_u32_e32 v7, 32, v7
	v_lshrrev_b32_e32 v4, 27, v9
	v_subrev_u32_e32 v8, 28, v7
	v_and_b32_e32 v4, 15, v4
	v_lshlrev_b32_sdwa v8, v8, v9 dst_sel:DWORD dst_unused:UNUSED_PAD src0_sel:DWORD src1_sel:BYTE_3
	v_bfe_u32 v6, v9, 27, 4
	v_sub_u32_e32 v7, 29, v7
	v_and_b32_e32 v8, 7, v8
	v_cmp_eq_u16_e32 vcc, 0, v4
	v_cndmask_b32_e32 v2, v2, v8, vcc
	v_cndmask_b32_e32 v4, v6, v7, vcc
	v_mov_b32_e32 v6, 0x3b800000
	v_and_b32_e32 v3, 0x80000000, v9
	v_lshlrev_b32_e32 v2, 20, v2
	v_lshl_add_u32 v4, v4, 23, v6
	v_or3_b32 v2, v3, v4, v2
.LBB58_1788:
	s_or_b64 exec, exec, s[6:7]
	s_movk_i32 s4, 0x7f
	v_cmp_gt_i16_sdwa s[6:7], v5, s4 src0_sel:BYTE_3 src1_sel:DWORD
	s_mov_b64 s[4:5], 0
                                        ; implicit-def: $sgpr10
	s_and_saveexec_b64 s[8:9], s[6:7]
	s_xor_b64 s[6:7], exec, s[8:9]
	s_cbranch_execnz .LBB58_3837
; %bb.1789:
	s_or_saveexec_b64 s[6:7], s[6:7]
	v_mov_b32_e32 v3, s10
	s_xor_b64 exec, exec, s[6:7]
	s_cbranch_execnz .LBB58_3840
.LBB58_1790:
	s_or_b64 exec, exec, s[6:7]
	s_and_saveexec_b64 s[6:7], s[4:5]
	s_cbranch_execz .LBB58_1792
.LBB58_1791:
	v_bfe_u32 v3, v5, 24, 3
	v_ffbh_u32_e32 v8, v3
	v_min_u32_e32 v8, 32, v8
	v_lshrrev_b32_e32 v6, 27, v5
	v_subrev_u32_e32 v9, 28, v8
	v_and_b32_e32 v4, 0x80000000, v5
	v_and_b32_e32 v6, 15, v6
	v_bfe_u32 v7, v5, 27, 4
	v_lshlrev_b32_sdwa v5, v9, v5 dst_sel:DWORD dst_unused:UNUSED_PAD src0_sel:DWORD src1_sel:BYTE_3
	v_sub_u32_e32 v8, 29, v8
	v_and_b32_e32 v5, 7, v5
	v_cmp_eq_u16_e32 vcc, 0, v6
	v_cndmask_b32_e32 v3, v3, v5, vcc
	v_cndmask_b32_e32 v5, v7, v8, vcc
	v_mov_b32_e32 v6, 0x3b800000
	v_lshlrev_b32_e32 v3, 20, v3
	v_lshl_add_u32 v5, v5, 23, v6
	v_or3_b32 v3, v4, v5, v3
.LBB58_1792:
	s_or_b64 exec, exec, s[6:7]
	s_nop 0
	v_mfma_f32_16x16x4f32 a[0:3], v2, v3, a[0:3]
	s_movk_i32 s4, 0x7f
                                        ; implicit-def: $sgpr10
	s_nop 7
	s_nop 1
	flat_store_dwordx4 v[18:19], a[0:3] offset:864
	flat_load_dwordx4 v[18:21], v[0:1] offset:8
	s_nop 0
	flat_load_dwordx2 v[16:17], v[0:1] offset:24
	s_waitcnt vmcnt(0) lgkmcnt(0)
	flat_load_dwordx4 v[12:15], v[18:19]
	flat_load_dwordx4 v[4:7], v[18:19] offset:16
	flat_load_dwordx4 v[8:11], v[20:21] offset:480
	;; [unrolled: 1-line block ×3, first 2 shown]
	s_waitcnt vmcnt(0) lgkmcnt(0)
	v_cmp_gt_i16_sdwa s[6:7], v12, s4 src0_sel:BYTE_0 src1_sel:DWORD
	s_mov_b64 s[4:5], 0
	s_and_saveexec_b64 s[8:9], s[6:7]
	s_xor_b64 s[6:7], exec, s[8:9]
	s_cbranch_execnz .LBB58_3841
; %bb.1793:
	s_or_saveexec_b64 s[6:7], s[6:7]
	v_mov_b32_e32 v18, s10
	s_xor_b64 exec, exec, s[6:7]
	s_cbranch_execnz .LBB58_3844
.LBB58_1794:
	s_or_b64 exec, exec, s[6:7]
	s_and_saveexec_b64 s[6:7], s[4:5]
	s_cbranch_execz .LBB58_1796
.LBB58_1795:
	v_and_b32_e32 v18, 7, v12
	v_ffbh_u32_e32 v20, v18
	v_min_u32_e32 v20, 32, v20
	v_lshrrev_b16_e32 v19, 3, v12
	v_subrev_u32_e32 v21, 28, v20
	v_and_b32_e32 v19, 15, v19
	v_lshlrev_b32_e32 v21, v21, v12
	v_sub_u32_e32 v20, 29, v20
	v_and_b32_e32 v21, 7, v21
	v_cmp_eq_u16_e32 vcc, 0, v19
	v_cndmask_b32_e32 v18, v18, v21, vcc
	v_cndmask_b32_e32 v19, v19, v20, vcc
	v_lshlrev_b32_e32 v20, 24, v12
	v_mov_b32_e32 v21, 0x3b800000
	v_lshlrev_b32_e32 v18, 20, v18
	v_and_b32_e32 v20, 0x80000000, v20
	v_lshl_add_u32 v19, v19, 23, v21
	v_or3_b32 v18, v20, v19, v18
.LBB58_1796:
	s_or_b64 exec, exec, s[6:7]
	s_movk_i32 s4, 0x7f
	v_cmp_gt_i16_sdwa s[6:7], v8, s4 src0_sel:BYTE_0 src1_sel:DWORD
	s_mov_b64 s[4:5], 0
                                        ; implicit-def: $sgpr10
	s_and_saveexec_b64 s[8:9], s[6:7]
	s_xor_b64 s[6:7], exec, s[8:9]
	s_cbranch_execnz .LBB58_3845
; %bb.1797:
	s_or_saveexec_b64 s[6:7], s[6:7]
	v_mov_b32_e32 v19, s10
	s_xor_b64 exec, exec, s[6:7]
	s_cbranch_execnz .LBB58_3848
.LBB58_1798:
	s_or_b64 exec, exec, s[6:7]
	s_and_saveexec_b64 s[6:7], s[4:5]
	s_cbranch_execz .LBB58_1800
.LBB58_1799:
	v_and_b32_e32 v19, 7, v8
	v_ffbh_u32_e32 v21, v19
	v_min_u32_e32 v21, 32, v21
	v_lshrrev_b16_e32 v20, 3, v8
	v_subrev_u32_e32 v22, 28, v21
	v_and_b32_e32 v20, 15, v20
	v_lshlrev_b32_e32 v22, v22, v8
	v_sub_u32_e32 v21, 29, v21
	v_and_b32_e32 v22, 7, v22
	v_cmp_eq_u16_e32 vcc, 0, v20
	v_cndmask_b32_e32 v19, v19, v22, vcc
	v_cndmask_b32_e32 v20, v20, v21, vcc
	v_lshlrev_b32_e32 v21, 24, v8
	v_mov_b32_e32 v22, 0x3b800000
	v_lshlrev_b32_e32 v19, 20, v19
	v_and_b32_e32 v21, 0x80000000, v21
	v_lshl_add_u32 v20, v20, 23, v22
	v_or3_b32 v19, v21, v20, v19
.LBB58_1800:
	s_or_b64 exec, exec, s[6:7]
	flat_load_dwordx4 a[0:3], v[16:17] offset:880
	s_movk_i32 s4, 0x7f
                                        ; implicit-def: $sgpr10
	s_waitcnt vmcnt(0) lgkmcnt(0)
	v_mfma_f32_16x16x4f32 a[0:3], v18, v19, a[0:3]
	v_lshrrev_b32_e32 v19, 8, v12
	v_cmp_gt_i16_sdwa s[6:7], v19, s4 src0_sel:BYTE_0 src1_sel:DWORD
	s_mov_b64 s[4:5], 0
	s_and_saveexec_b64 s[8:9], s[6:7]
	s_xor_b64 s[6:7], exec, s[8:9]
	s_cbranch_execnz .LBB58_3849
; %bb.1801:
	s_or_saveexec_b64 s[6:7], s[6:7]
	v_mov_b32_e32 v18, s10
	s_xor_b64 exec, exec, s[6:7]
	s_cbranch_execnz .LBB58_3852
.LBB58_1802:
	s_or_b64 exec, exec, s[6:7]
	s_and_saveexec_b64 s[6:7], s[4:5]
	s_cbranch_execz .LBB58_1804
.LBB58_1803:
	v_bfe_u32 v18, v12, 8, 3
	v_ffbh_u32_e32 v21, v18
	v_min_u32_e32 v21, 32, v21
	v_lshrrev_b16_e32 v20, 3, v19
	v_subrev_u32_e32 v22, 28, v21
	v_and_b32_e32 v20, 15, v20
	v_lshlrev_b32_e32 v19, v22, v19
	v_sub_u32_e32 v21, 29, v21
	v_and_b32_e32 v19, 7, v19
	v_cmp_eq_u16_e32 vcc, 0, v20
	v_cndmask_b32_e32 v18, v18, v19, vcc
	v_cndmask_b32_e32 v19, v20, v21, vcc
	v_lshlrev_b32_e32 v20, 16, v12
	v_mov_b32_e32 v21, 0x3b800000
	v_lshlrev_b32_e32 v18, 20, v18
	v_and_b32_e32 v20, 0x80000000, v20
	v_lshl_add_u32 v19, v19, 23, v21
	v_or3_b32 v18, v20, v19, v18
.LBB58_1804:
	s_or_b64 exec, exec, s[6:7]
	v_lshrrev_b32_e32 v19, 8, v8
	s_movk_i32 s4, 0x7f
	v_cmp_gt_i16_sdwa s[6:7], v19, s4 src0_sel:BYTE_0 src1_sel:DWORD
	s_mov_b64 s[4:5], 0
                                        ; implicit-def: $sgpr10
	s_and_saveexec_b64 s[8:9], s[6:7]
	s_xor_b64 s[6:7], exec, s[8:9]
	s_cbranch_execnz .LBB58_3853
; %bb.1805:
	s_or_saveexec_b64 s[6:7], s[6:7]
	v_mov_b32_e32 v20, s10
	s_xor_b64 exec, exec, s[6:7]
	s_cbranch_execnz .LBB58_3856
.LBB58_1806:
	s_or_b64 exec, exec, s[6:7]
	s_and_saveexec_b64 s[6:7], s[4:5]
	s_cbranch_execz .LBB58_1808
.LBB58_1807:
	v_bfe_u32 v20, v8, 8, 3
	v_ffbh_u32_e32 v22, v20
	v_min_u32_e32 v22, 32, v22
	v_lshrrev_b16_e32 v21, 3, v19
	v_subrev_u32_e32 v23, 28, v22
	v_and_b32_e32 v21, 15, v21
	v_lshlrev_b32_e32 v19, v23, v19
	v_sub_u32_e32 v22, 29, v22
	v_and_b32_e32 v19, 7, v19
	v_cmp_eq_u16_e32 vcc, 0, v21
	v_cndmask_b32_e32 v19, v20, v19, vcc
	v_cndmask_b32_e32 v20, v21, v22, vcc
	v_lshlrev_b32_e32 v21, 16, v8
	v_mov_b32_e32 v22, 0x3b800000
	v_lshlrev_b32_e32 v19, 20, v19
	v_and_b32_e32 v21, 0x80000000, v21
	v_lshl_add_u32 v20, v20, 23, v22
	v_or3_b32 v20, v21, v20, v19
.LBB58_1808:
	s_or_b64 exec, exec, s[6:7]
	s_nop 0
	v_mfma_f32_16x16x4f32 a[0:3], v18, v20, a[0:3]
	s_movk_i32 s4, 0xff
	v_and_b32_sdwa v19, v12, s4 dst_sel:DWORD dst_unused:UNUSED_PAD src0_sel:WORD_1 src1_sel:DWORD
	s_movk_i32 s4, 0x7f
	v_cmp_lt_i16_e32 vcc, s4, v19
	s_mov_b64 s[4:5], 0
                                        ; implicit-def: $sgpr10
	s_and_saveexec_b64 s[6:7], vcc
	s_xor_b64 s[6:7], exec, s[6:7]
	s_cbranch_execnz .LBB58_3857
; %bb.1809:
	s_or_saveexec_b64 s[6:7], s[6:7]
	v_mov_b32_e32 v18, s10
	s_xor_b64 exec, exec, s[6:7]
	s_cbranch_execnz .LBB58_3860
.LBB58_1810:
	s_or_b64 exec, exec, s[6:7]
	s_and_saveexec_b64 s[6:7], s[4:5]
	s_cbranch_execz .LBB58_1812
.LBB58_1811:
	v_bfe_u32 v18, v12, 16, 3
	v_ffbh_u32_e32 v21, v18
	v_min_u32_e32 v21, 32, v21
	v_lshrrev_b32_e32 v19, 19, v12
	v_subrev_u32_e32 v22, 28, v21
	v_and_b32_e32 v19, 15, v19
	v_lshlrev_b32_sdwa v22, v22, v12 dst_sel:DWORD dst_unused:UNUSED_PAD src0_sel:DWORD src1_sel:WORD_1
	v_bfe_u32 v20, v12, 19, 4
	v_sub_u32_e32 v21, 29, v21
	v_and_b32_e32 v22, 7, v22
	v_cmp_eq_u16_e32 vcc, 0, v19
	v_cndmask_b32_e32 v18, v18, v22, vcc
	v_cndmask_b32_e32 v19, v20, v21, vcc
	v_lshlrev_b32_e32 v20, 8, v12
	v_mov_b32_e32 v21, 0x3b800000
	v_lshlrev_b32_e32 v18, 20, v18
	v_and_b32_e32 v20, 0x80000000, v20
	v_lshl_add_u32 v19, v19, 23, v21
	v_or3_b32 v18, v20, v19, v18
.LBB58_1812:
	s_or_b64 exec, exec, s[6:7]
	s_movk_i32 s4, 0xff
	v_and_b32_sdwa v19, v8, s4 dst_sel:DWORD dst_unused:UNUSED_PAD src0_sel:WORD_1 src1_sel:DWORD
	s_movk_i32 s4, 0x7f
	v_cmp_lt_i16_e32 vcc, s4, v19
	s_mov_b64 s[4:5], 0
                                        ; implicit-def: $sgpr10
	s_and_saveexec_b64 s[6:7], vcc
	s_xor_b64 s[6:7], exec, s[6:7]
	s_cbranch_execnz .LBB58_3861
; %bb.1813:
	s_or_saveexec_b64 s[6:7], s[6:7]
	v_mov_b32_e32 v20, s10
	s_xor_b64 exec, exec, s[6:7]
	s_cbranch_execnz .LBB58_3864
.LBB58_1814:
	s_or_b64 exec, exec, s[6:7]
	s_and_saveexec_b64 s[6:7], s[4:5]
	s_cbranch_execz .LBB58_1816
.LBB58_1815:
	v_bfe_u32 v19, v8, 16, 3
	v_ffbh_u32_e32 v22, v19
	v_min_u32_e32 v22, 32, v22
	v_lshrrev_b32_e32 v20, 19, v8
	v_subrev_u32_e32 v23, 28, v22
	v_and_b32_e32 v20, 15, v20
	v_lshlrev_b32_sdwa v23, v23, v8 dst_sel:DWORD dst_unused:UNUSED_PAD src0_sel:DWORD src1_sel:WORD_1
	v_bfe_u32 v21, v8, 19, 4
	v_sub_u32_e32 v22, 29, v22
	v_and_b32_e32 v23, 7, v23
	v_cmp_eq_u16_e32 vcc, 0, v20
	v_cndmask_b32_e32 v19, v19, v23, vcc
	v_cndmask_b32_e32 v20, v21, v22, vcc
	v_lshlrev_b32_e32 v21, 8, v8
	v_mov_b32_e32 v22, 0x3b800000
	v_lshlrev_b32_e32 v19, 20, v19
	v_and_b32_e32 v21, 0x80000000, v21
	v_lshl_add_u32 v20, v20, 23, v22
	v_or3_b32 v20, v21, v20, v19
.LBB58_1816:
	s_or_b64 exec, exec, s[6:7]
	s_nop 0
	v_mfma_f32_16x16x4f32 a[0:3], v18, v20, a[0:3]
	s_movk_i32 s4, 0x7f
	v_cmp_gt_i16_sdwa s[6:7], v12, s4 src0_sel:BYTE_3 src1_sel:DWORD
	s_mov_b64 s[4:5], 0
                                        ; implicit-def: $sgpr10
	s_and_saveexec_b64 s[8:9], s[6:7]
	s_xor_b64 s[6:7], exec, s[8:9]
	s_cbranch_execnz .LBB58_3865
; %bb.1817:
	s_or_saveexec_b64 s[6:7], s[6:7]
	v_mov_b32_e32 v18, s10
	s_xor_b64 exec, exec, s[6:7]
	s_cbranch_execnz .LBB58_3868
.LBB58_1818:
	s_or_b64 exec, exec, s[6:7]
	s_and_saveexec_b64 s[6:7], s[4:5]
	s_cbranch_execz .LBB58_1820
.LBB58_1819:
	v_bfe_u32 v18, v12, 24, 3
	v_ffbh_u32_e32 v22, v18
	v_min_u32_e32 v22, 32, v22
	v_lshrrev_b32_e32 v20, 27, v12
	v_subrev_u32_e32 v23, 28, v22
	v_and_b32_e32 v19, 0x80000000, v12
	v_and_b32_e32 v20, 15, v20
	v_bfe_u32 v21, v12, 27, 4
	v_lshlrev_b32_sdwa v12, v23, v12 dst_sel:DWORD dst_unused:UNUSED_PAD src0_sel:DWORD src1_sel:BYTE_3
	v_sub_u32_e32 v22, 29, v22
	v_and_b32_e32 v12, 7, v12
	v_cmp_eq_u16_e32 vcc, 0, v20
	v_cndmask_b32_e32 v12, v18, v12, vcc
	v_cndmask_b32_e32 v18, v21, v22, vcc
	v_mov_b32_e32 v20, 0x3b800000
	v_lshlrev_b32_e32 v12, 20, v12
	v_lshl_add_u32 v18, v18, 23, v20
	v_or3_b32 v18, v19, v18, v12
.LBB58_1820:
	s_or_b64 exec, exec, s[6:7]
	s_movk_i32 s4, 0x7f
	v_cmp_gt_i16_sdwa s[6:7], v8, s4 src0_sel:BYTE_3 src1_sel:DWORD
	s_mov_b64 s[4:5], 0
                                        ; implicit-def: $sgpr10
	s_and_saveexec_b64 s[8:9], s[6:7]
	s_xor_b64 s[6:7], exec, s[8:9]
	s_cbranch_execnz .LBB58_3869
; %bb.1821:
	s_or_saveexec_b64 s[6:7], s[6:7]
	v_mov_b32_e32 v12, s10
	s_xor_b64 exec, exec, s[6:7]
	s_cbranch_execnz .LBB58_3872
.LBB58_1822:
	s_or_b64 exec, exec, s[6:7]
	s_and_saveexec_b64 s[6:7], s[4:5]
	s_cbranch_execz .LBB58_1824
.LBB58_1823:
	v_bfe_u32 v12, v8, 24, 3
	v_ffbh_u32_e32 v22, v12
	v_min_u32_e32 v22, 32, v22
	v_lshrrev_b32_e32 v20, 27, v8
	v_subrev_u32_e32 v23, 28, v22
	v_and_b32_e32 v19, 0x80000000, v8
	v_and_b32_e32 v20, 15, v20
	v_bfe_u32 v21, v8, 27, 4
	v_lshlrev_b32_sdwa v8, v23, v8 dst_sel:DWORD dst_unused:UNUSED_PAD src0_sel:DWORD src1_sel:BYTE_3
	v_sub_u32_e32 v22, 29, v22
	v_and_b32_e32 v8, 7, v8
	v_cmp_eq_u16_e32 vcc, 0, v20
	v_cndmask_b32_e32 v8, v12, v8, vcc
	v_cndmask_b32_e32 v12, v21, v22, vcc
	v_mov_b32_e32 v20, 0x3b800000
	v_lshlrev_b32_e32 v8, 20, v8
	v_lshl_add_u32 v12, v12, 23, v20
	v_or3_b32 v12, v19, v12, v8
.LBB58_1824:
	s_or_b64 exec, exec, s[6:7]
	s_nop 0
	v_mfma_f32_16x16x4f32 a[0:3], v18, v12, a[0:3]
	s_movk_i32 s4, 0x7f
	v_cmp_gt_i16_sdwa s[6:7], v13, s4 src0_sel:BYTE_0 src1_sel:DWORD
	s_mov_b64 s[4:5], 0
                                        ; implicit-def: $sgpr10
	s_and_saveexec_b64 s[8:9], s[6:7]
	s_xor_b64 s[6:7], exec, s[8:9]
	s_cbranch_execnz .LBB58_3873
; %bb.1825:
	s_or_saveexec_b64 s[6:7], s[6:7]
	v_mov_b32_e32 v8, s10
	s_xor_b64 exec, exec, s[6:7]
	s_cbranch_execnz .LBB58_3876
.LBB58_1826:
	s_or_b64 exec, exec, s[6:7]
	s_and_saveexec_b64 s[6:7], s[4:5]
	s_cbranch_execz .LBB58_1828
.LBB58_1827:
	v_and_b32_e32 v8, 7, v13
	v_ffbh_u32_e32 v18, v8
	v_min_u32_e32 v18, 32, v18
	v_lshrrev_b16_e32 v12, 3, v13
	v_subrev_u32_e32 v19, 28, v18
	v_and_b32_e32 v12, 15, v12
	v_lshlrev_b32_e32 v19, v19, v13
	v_sub_u32_e32 v18, 29, v18
	v_and_b32_e32 v19, 7, v19
	v_cmp_eq_u16_e32 vcc, 0, v12
	v_cndmask_b32_e32 v8, v8, v19, vcc
	v_cndmask_b32_e32 v12, v12, v18, vcc
	v_lshlrev_b32_e32 v18, 24, v13
	v_mov_b32_e32 v19, 0x3b800000
	v_lshlrev_b32_e32 v8, 20, v8
	v_and_b32_e32 v18, 0x80000000, v18
	v_lshl_add_u32 v12, v12, 23, v19
	v_or3_b32 v8, v18, v12, v8
.LBB58_1828:
	s_or_b64 exec, exec, s[6:7]
	s_movk_i32 s4, 0x7f
	v_cmp_gt_i16_sdwa s[6:7], v9, s4 src0_sel:BYTE_0 src1_sel:DWORD
	s_mov_b64 s[4:5], 0
                                        ; implicit-def: $sgpr10
	s_and_saveexec_b64 s[8:9], s[6:7]
	s_xor_b64 s[6:7], exec, s[8:9]
	s_cbranch_execnz .LBB58_3877
; %bb.1829:
	s_or_saveexec_b64 s[6:7], s[6:7]
	v_mov_b32_e32 v12, s10
	s_xor_b64 exec, exec, s[6:7]
	s_cbranch_execnz .LBB58_3880
.LBB58_1830:
	s_or_b64 exec, exec, s[6:7]
	s_and_saveexec_b64 s[6:7], s[4:5]
	s_cbranch_execz .LBB58_1832
.LBB58_1831:
	v_and_b32_e32 v12, 7, v9
	v_ffbh_u32_e32 v19, v12
	v_min_u32_e32 v19, 32, v19
	v_lshrrev_b16_e32 v18, 3, v9
	v_subrev_u32_e32 v20, 28, v19
	v_and_b32_e32 v18, 15, v18
	v_lshlrev_b32_e32 v20, v20, v9
	v_sub_u32_e32 v19, 29, v19
	v_and_b32_e32 v20, 7, v20
	v_cmp_eq_u16_e32 vcc, 0, v18
	v_cndmask_b32_e32 v12, v12, v20, vcc
	v_cndmask_b32_e32 v18, v18, v19, vcc
	v_lshlrev_b32_e32 v19, 24, v9
	v_mov_b32_e32 v20, 0x3b800000
	v_lshlrev_b32_e32 v12, 20, v12
	v_and_b32_e32 v19, 0x80000000, v19
	v_lshl_add_u32 v18, v18, 23, v20
	v_or3_b32 v12, v19, v18, v12
.LBB58_1832:
	s_or_b64 exec, exec, s[6:7]
	s_nop 0
	v_mfma_f32_16x16x4f32 a[0:3], v8, v12, a[0:3]
	v_lshrrev_b32_e32 v12, 8, v13
	s_movk_i32 s4, 0x7f
	v_cmp_gt_i16_sdwa s[6:7], v12, s4 src0_sel:BYTE_0 src1_sel:DWORD
	s_mov_b64 s[4:5], 0
                                        ; implicit-def: $sgpr10
	s_and_saveexec_b64 s[8:9], s[6:7]
	s_xor_b64 s[6:7], exec, s[8:9]
	s_cbranch_execnz .LBB58_3881
; %bb.1833:
	s_or_saveexec_b64 s[6:7], s[6:7]
	v_mov_b32_e32 v8, s10
	s_xor_b64 exec, exec, s[6:7]
	s_cbranch_execnz .LBB58_3884
.LBB58_1834:
	s_or_b64 exec, exec, s[6:7]
	s_and_saveexec_b64 s[6:7], s[4:5]
	s_cbranch_execz .LBB58_1836
.LBB58_1835:
	v_bfe_u32 v8, v13, 8, 3
	v_ffbh_u32_e32 v19, v8
	v_min_u32_e32 v19, 32, v19
	v_lshrrev_b16_e32 v18, 3, v12
	v_subrev_u32_e32 v20, 28, v19
	v_and_b32_e32 v18, 15, v18
	v_lshlrev_b32_e32 v12, v20, v12
	v_sub_u32_e32 v19, 29, v19
	v_and_b32_e32 v12, 7, v12
	v_cmp_eq_u16_e32 vcc, 0, v18
	v_cndmask_b32_e32 v8, v8, v12, vcc
	v_cndmask_b32_e32 v12, v18, v19, vcc
	v_lshlrev_b32_e32 v18, 16, v13
	v_mov_b32_e32 v19, 0x3b800000
	v_lshlrev_b32_e32 v8, 20, v8
	v_and_b32_e32 v18, 0x80000000, v18
	v_lshl_add_u32 v12, v12, 23, v19
	v_or3_b32 v8, v18, v12, v8
.LBB58_1836:
	s_or_b64 exec, exec, s[6:7]
	v_lshrrev_b32_e32 v12, 8, v9
	s_movk_i32 s4, 0x7f
	v_cmp_gt_i16_sdwa s[6:7], v12, s4 src0_sel:BYTE_0 src1_sel:DWORD
	s_mov_b64 s[4:5], 0
                                        ; implicit-def: $sgpr10
	s_and_saveexec_b64 s[8:9], s[6:7]
	s_xor_b64 s[6:7], exec, s[8:9]
	s_cbranch_execnz .LBB58_3885
; %bb.1837:
	s_or_saveexec_b64 s[6:7], s[6:7]
	v_mov_b32_e32 v18, s10
	s_xor_b64 exec, exec, s[6:7]
	s_cbranch_execnz .LBB58_3888
.LBB58_1838:
	s_or_b64 exec, exec, s[6:7]
	s_and_saveexec_b64 s[6:7], s[4:5]
	s_cbranch_execz .LBB58_1840
.LBB58_1839:
	v_bfe_u32 v18, v9, 8, 3
	v_ffbh_u32_e32 v20, v18
	v_min_u32_e32 v20, 32, v20
	v_lshrrev_b16_e32 v19, 3, v12
	v_subrev_u32_e32 v21, 28, v20
	v_and_b32_e32 v19, 15, v19
	v_lshlrev_b32_e32 v12, v21, v12
	v_sub_u32_e32 v20, 29, v20
	v_and_b32_e32 v12, 7, v12
	v_cmp_eq_u16_e32 vcc, 0, v19
	v_cndmask_b32_e32 v12, v18, v12, vcc
	v_cndmask_b32_e32 v18, v19, v20, vcc
	v_lshlrev_b32_e32 v19, 16, v9
	v_mov_b32_e32 v20, 0x3b800000
	v_lshlrev_b32_e32 v12, 20, v12
	v_and_b32_e32 v19, 0x80000000, v19
	v_lshl_add_u32 v18, v18, 23, v20
	v_or3_b32 v18, v19, v18, v12
.LBB58_1840:
	s_or_b64 exec, exec, s[6:7]
	s_nop 0
	v_mfma_f32_16x16x4f32 a[0:3], v8, v18, a[0:3]
	s_movk_i32 s4, 0xff
	v_and_b32_sdwa v12, v13, s4 dst_sel:DWORD dst_unused:UNUSED_PAD src0_sel:WORD_1 src1_sel:DWORD
	s_movk_i32 s4, 0x7f
	v_cmp_lt_i16_e32 vcc, s4, v12
	s_mov_b64 s[4:5], 0
                                        ; implicit-def: $sgpr10
	s_and_saveexec_b64 s[6:7], vcc
	s_xor_b64 s[6:7], exec, s[6:7]
	s_cbranch_execnz .LBB58_3889
; %bb.1841:
	s_or_saveexec_b64 s[6:7], s[6:7]
	v_mov_b32_e32 v8, s10
	s_xor_b64 exec, exec, s[6:7]
	s_cbranch_execnz .LBB58_3892
.LBB58_1842:
	s_or_b64 exec, exec, s[6:7]
	s_and_saveexec_b64 s[6:7], s[4:5]
	s_cbranch_execz .LBB58_1844
.LBB58_1843:
	v_bfe_u32 v8, v13, 16, 3
	v_ffbh_u32_e32 v19, v8
	v_min_u32_e32 v19, 32, v19
	v_lshrrev_b32_e32 v12, 19, v13
	v_subrev_u32_e32 v20, 28, v19
	v_and_b32_e32 v12, 15, v12
	v_lshlrev_b32_sdwa v20, v20, v13 dst_sel:DWORD dst_unused:UNUSED_PAD src0_sel:DWORD src1_sel:WORD_1
	v_bfe_u32 v18, v13, 19, 4
	v_sub_u32_e32 v19, 29, v19
	v_and_b32_e32 v20, 7, v20
	v_cmp_eq_u16_e32 vcc, 0, v12
	v_cndmask_b32_e32 v8, v8, v20, vcc
	v_cndmask_b32_e32 v12, v18, v19, vcc
	v_lshlrev_b32_e32 v18, 8, v13
	v_mov_b32_e32 v19, 0x3b800000
	v_lshlrev_b32_e32 v8, 20, v8
	v_and_b32_e32 v18, 0x80000000, v18
	v_lshl_add_u32 v12, v12, 23, v19
	v_or3_b32 v8, v18, v12, v8
.LBB58_1844:
	s_or_b64 exec, exec, s[6:7]
	s_movk_i32 s4, 0xff
	v_and_b32_sdwa v12, v9, s4 dst_sel:DWORD dst_unused:UNUSED_PAD src0_sel:WORD_1 src1_sel:DWORD
	s_movk_i32 s4, 0x7f
	v_cmp_lt_i16_e32 vcc, s4, v12
	s_mov_b64 s[4:5], 0
                                        ; implicit-def: $sgpr10
	s_and_saveexec_b64 s[6:7], vcc
	s_xor_b64 s[6:7], exec, s[6:7]
	s_cbranch_execnz .LBB58_3893
; %bb.1845:
	s_or_saveexec_b64 s[6:7], s[6:7]
	v_mov_b32_e32 v18, s10
	s_xor_b64 exec, exec, s[6:7]
	s_cbranch_execnz .LBB58_3896
.LBB58_1846:
	s_or_b64 exec, exec, s[6:7]
	s_and_saveexec_b64 s[6:7], s[4:5]
	s_cbranch_execz .LBB58_1848
.LBB58_1847:
	v_bfe_u32 v12, v9, 16, 3
	v_ffbh_u32_e32 v20, v12
	v_min_u32_e32 v20, 32, v20
	v_lshrrev_b32_e32 v18, 19, v9
	v_subrev_u32_e32 v21, 28, v20
	v_and_b32_e32 v18, 15, v18
	v_lshlrev_b32_sdwa v21, v21, v9 dst_sel:DWORD dst_unused:UNUSED_PAD src0_sel:DWORD src1_sel:WORD_1
	v_bfe_u32 v19, v9, 19, 4
	v_sub_u32_e32 v20, 29, v20
	v_and_b32_e32 v21, 7, v21
	v_cmp_eq_u16_e32 vcc, 0, v18
	v_cndmask_b32_e32 v12, v12, v21, vcc
	v_cndmask_b32_e32 v18, v19, v20, vcc
	v_lshlrev_b32_e32 v19, 8, v9
	v_mov_b32_e32 v20, 0x3b800000
	v_lshlrev_b32_e32 v12, 20, v12
	v_and_b32_e32 v19, 0x80000000, v19
	v_lshl_add_u32 v18, v18, 23, v20
	v_or3_b32 v18, v19, v18, v12
.LBB58_1848:
	s_or_b64 exec, exec, s[6:7]
	s_nop 0
	v_mfma_f32_16x16x4f32 a[0:3], v8, v18, a[0:3]
	s_movk_i32 s4, 0x7f
	v_cmp_gt_i16_sdwa s[6:7], v13, s4 src0_sel:BYTE_3 src1_sel:DWORD
	s_mov_b64 s[4:5], 0
                                        ; implicit-def: $sgpr10
	s_and_saveexec_b64 s[8:9], s[6:7]
	s_xor_b64 s[6:7], exec, s[8:9]
	s_cbranch_execnz .LBB58_3897
; %bb.1849:
	s_or_saveexec_b64 s[6:7], s[6:7]
	v_mov_b32_e32 v8, s10
	s_xor_b64 exec, exec, s[6:7]
	s_cbranch_execnz .LBB58_3900
.LBB58_1850:
	s_or_b64 exec, exec, s[6:7]
	s_and_saveexec_b64 s[6:7], s[4:5]
	s_cbranch_execz .LBB58_1852
.LBB58_1851:
	v_bfe_u32 v8, v13, 24, 3
	v_ffbh_u32_e32 v20, v8
	v_min_u32_e32 v20, 32, v20
	v_lshrrev_b32_e32 v18, 27, v13
	v_subrev_u32_e32 v21, 28, v20
	v_and_b32_e32 v12, 0x80000000, v13
	v_and_b32_e32 v18, 15, v18
	v_bfe_u32 v19, v13, 27, 4
	v_lshlrev_b32_sdwa v13, v21, v13 dst_sel:DWORD dst_unused:UNUSED_PAD src0_sel:DWORD src1_sel:BYTE_3
	v_sub_u32_e32 v20, 29, v20
	v_and_b32_e32 v13, 7, v13
	v_cmp_eq_u16_e32 vcc, 0, v18
	v_cndmask_b32_e32 v8, v8, v13, vcc
	v_cndmask_b32_e32 v13, v19, v20, vcc
	v_mov_b32_e32 v18, 0x3b800000
	v_lshlrev_b32_e32 v8, 20, v8
	v_lshl_add_u32 v13, v13, 23, v18
	v_or3_b32 v8, v12, v13, v8
.LBB58_1852:
	s_or_b64 exec, exec, s[6:7]
	s_movk_i32 s4, 0x7f
	v_cmp_gt_i16_sdwa s[6:7], v9, s4 src0_sel:BYTE_3 src1_sel:DWORD
	s_mov_b64 s[4:5], 0
                                        ; implicit-def: $sgpr10
	s_and_saveexec_b64 s[8:9], s[6:7]
	s_xor_b64 s[6:7], exec, s[8:9]
	s_cbranch_execnz .LBB58_3901
; %bb.1853:
	s_or_saveexec_b64 s[6:7], s[6:7]
	v_mov_b32_e32 v12, s10
	s_xor_b64 exec, exec, s[6:7]
	s_cbranch_execnz .LBB58_3904
.LBB58_1854:
	s_or_b64 exec, exec, s[6:7]
	s_and_saveexec_b64 s[6:7], s[4:5]
	s_cbranch_execz .LBB58_1856
.LBB58_1855:
	v_bfe_u32 v12, v9, 24, 3
	v_ffbh_u32_e32 v20, v12
	v_min_u32_e32 v20, 32, v20
	v_lshrrev_b32_e32 v18, 27, v9
	v_subrev_u32_e32 v21, 28, v20
	v_and_b32_e32 v13, 0x80000000, v9
	v_and_b32_e32 v18, 15, v18
	v_bfe_u32 v19, v9, 27, 4
	v_lshlrev_b32_sdwa v9, v21, v9 dst_sel:DWORD dst_unused:UNUSED_PAD src0_sel:DWORD src1_sel:BYTE_3
	v_sub_u32_e32 v20, 29, v20
	v_and_b32_e32 v9, 7, v9
	v_cmp_eq_u16_e32 vcc, 0, v18
	v_cndmask_b32_e32 v9, v12, v9, vcc
	v_cndmask_b32_e32 v12, v19, v20, vcc
	v_mov_b32_e32 v18, 0x3b800000
	v_lshlrev_b32_e32 v9, 20, v9
	v_lshl_add_u32 v12, v12, 23, v18
	v_or3_b32 v12, v13, v12, v9
.LBB58_1856:
	s_or_b64 exec, exec, s[6:7]
	s_nop 0
	v_mfma_f32_16x16x4f32 a[0:3], v8, v12, a[0:3]
	s_movk_i32 s4, 0x7f
	v_cmp_gt_i16_sdwa s[6:7], v14, s4 src0_sel:BYTE_0 src1_sel:DWORD
	s_mov_b64 s[4:5], 0
                                        ; implicit-def: $sgpr10
	s_and_saveexec_b64 s[8:9], s[6:7]
	s_xor_b64 s[6:7], exec, s[8:9]
	s_cbranch_execnz .LBB58_3905
; %bb.1857:
	s_or_saveexec_b64 s[6:7], s[6:7]
	v_mov_b32_e32 v8, s10
	s_xor_b64 exec, exec, s[6:7]
	s_cbranch_execnz .LBB58_3908
.LBB58_1858:
	s_or_b64 exec, exec, s[6:7]
	s_and_saveexec_b64 s[6:7], s[4:5]
	s_cbranch_execz .LBB58_1860
.LBB58_1859:
	v_and_b32_e32 v8, 7, v14
	v_ffbh_u32_e32 v12, v8
	v_min_u32_e32 v12, 32, v12
	v_lshrrev_b16_e32 v9, 3, v14
	v_subrev_u32_e32 v13, 28, v12
	v_and_b32_e32 v9, 15, v9
	v_lshlrev_b32_e32 v13, v13, v14
	v_sub_u32_e32 v12, 29, v12
	v_and_b32_e32 v13, 7, v13
	v_cmp_eq_u16_e32 vcc, 0, v9
	v_cndmask_b32_e32 v8, v8, v13, vcc
	v_cndmask_b32_e32 v9, v9, v12, vcc
	v_lshlrev_b32_e32 v12, 24, v14
	v_mov_b32_e32 v13, 0x3b800000
	v_lshlrev_b32_e32 v8, 20, v8
	v_and_b32_e32 v12, 0x80000000, v12
	v_lshl_add_u32 v9, v9, 23, v13
	v_or3_b32 v8, v12, v9, v8
.LBB58_1860:
	s_or_b64 exec, exec, s[6:7]
	s_movk_i32 s4, 0x7f
	v_cmp_gt_i16_sdwa s[6:7], v10, s4 src0_sel:BYTE_0 src1_sel:DWORD
	s_mov_b64 s[4:5], 0
                                        ; implicit-def: $sgpr10
	s_and_saveexec_b64 s[8:9], s[6:7]
	s_xor_b64 s[6:7], exec, s[8:9]
	s_cbranch_execnz .LBB58_3909
; %bb.1861:
	s_or_saveexec_b64 s[6:7], s[6:7]
	v_mov_b32_e32 v9, s10
	s_xor_b64 exec, exec, s[6:7]
	s_cbranch_execnz .LBB58_3912
.LBB58_1862:
	s_or_b64 exec, exec, s[6:7]
	s_and_saveexec_b64 s[6:7], s[4:5]
	s_cbranch_execz .LBB58_1864
.LBB58_1863:
	v_and_b32_e32 v9, 7, v10
	v_ffbh_u32_e32 v13, v9
	v_min_u32_e32 v13, 32, v13
	v_lshrrev_b16_e32 v12, 3, v10
	v_subrev_u32_e32 v18, 28, v13
	v_and_b32_e32 v12, 15, v12
	v_lshlrev_b32_e32 v18, v18, v10
	v_sub_u32_e32 v13, 29, v13
	v_and_b32_e32 v18, 7, v18
	v_cmp_eq_u16_e32 vcc, 0, v12
	v_cndmask_b32_e32 v9, v9, v18, vcc
	v_cndmask_b32_e32 v12, v12, v13, vcc
	v_lshlrev_b32_e32 v13, 24, v10
	v_mov_b32_e32 v18, 0x3b800000
	v_lshlrev_b32_e32 v9, 20, v9
	v_and_b32_e32 v13, 0x80000000, v13
	v_lshl_add_u32 v12, v12, 23, v18
	v_or3_b32 v9, v13, v12, v9
.LBB58_1864:
	s_or_b64 exec, exec, s[6:7]
	s_nop 0
	v_mfma_f32_16x16x4f32 a[0:3], v8, v9, a[0:3]
	v_lshrrev_b32_e32 v9, 8, v14
	s_movk_i32 s4, 0x7f
	v_cmp_gt_i16_sdwa s[6:7], v9, s4 src0_sel:BYTE_0 src1_sel:DWORD
	s_mov_b64 s[4:5], 0
                                        ; implicit-def: $sgpr10
	s_and_saveexec_b64 s[8:9], s[6:7]
	s_xor_b64 s[6:7], exec, s[8:9]
	s_cbranch_execnz .LBB58_3913
; %bb.1865:
	s_or_saveexec_b64 s[6:7], s[6:7]
	v_mov_b32_e32 v8, s10
	s_xor_b64 exec, exec, s[6:7]
	s_cbranch_execnz .LBB58_3916
.LBB58_1866:
	s_or_b64 exec, exec, s[6:7]
	s_and_saveexec_b64 s[6:7], s[4:5]
	s_cbranch_execz .LBB58_1868
.LBB58_1867:
	v_bfe_u32 v8, v14, 8, 3
	v_ffbh_u32_e32 v13, v8
	v_min_u32_e32 v13, 32, v13
	v_lshrrev_b16_e32 v12, 3, v9
	v_subrev_u32_e32 v18, 28, v13
	v_and_b32_e32 v12, 15, v12
	v_lshlrev_b32_e32 v9, v18, v9
	v_sub_u32_e32 v13, 29, v13
	v_and_b32_e32 v9, 7, v9
	v_cmp_eq_u16_e32 vcc, 0, v12
	v_cndmask_b32_e32 v8, v8, v9, vcc
	v_cndmask_b32_e32 v9, v12, v13, vcc
	v_lshlrev_b32_e32 v12, 16, v14
	v_mov_b32_e32 v13, 0x3b800000
	v_lshlrev_b32_e32 v8, 20, v8
	v_and_b32_e32 v12, 0x80000000, v12
	v_lshl_add_u32 v9, v9, 23, v13
	v_or3_b32 v8, v12, v9, v8
.LBB58_1868:
	s_or_b64 exec, exec, s[6:7]
	v_lshrrev_b32_e32 v9, 8, v10
	s_movk_i32 s4, 0x7f
	v_cmp_gt_i16_sdwa s[6:7], v9, s4 src0_sel:BYTE_0 src1_sel:DWORD
	s_mov_b64 s[4:5], 0
                                        ; implicit-def: $sgpr10
	s_and_saveexec_b64 s[8:9], s[6:7]
	s_xor_b64 s[6:7], exec, s[8:9]
	s_cbranch_execnz .LBB58_3917
; %bb.1869:
	s_or_saveexec_b64 s[6:7], s[6:7]
	v_mov_b32_e32 v12, s10
	s_xor_b64 exec, exec, s[6:7]
	s_cbranch_execnz .LBB58_3920
.LBB58_1870:
	s_or_b64 exec, exec, s[6:7]
	s_and_saveexec_b64 s[6:7], s[4:5]
	s_cbranch_execz .LBB58_1872
.LBB58_1871:
	v_bfe_u32 v12, v10, 8, 3
	v_ffbh_u32_e32 v18, v12
	v_min_u32_e32 v18, 32, v18
	v_lshrrev_b16_e32 v13, 3, v9
	v_subrev_u32_e32 v19, 28, v18
	v_and_b32_e32 v13, 15, v13
	v_lshlrev_b32_e32 v9, v19, v9
	v_sub_u32_e32 v18, 29, v18
	v_and_b32_e32 v9, 7, v9
	v_cmp_eq_u16_e32 vcc, 0, v13
	v_cndmask_b32_e32 v9, v12, v9, vcc
	v_cndmask_b32_e32 v12, v13, v18, vcc
	v_lshlrev_b32_e32 v13, 16, v10
	v_mov_b32_e32 v18, 0x3b800000
	v_lshlrev_b32_e32 v9, 20, v9
	v_and_b32_e32 v13, 0x80000000, v13
	v_lshl_add_u32 v12, v12, 23, v18
	v_or3_b32 v12, v13, v12, v9
.LBB58_1872:
	s_or_b64 exec, exec, s[6:7]
	s_nop 0
	v_mfma_f32_16x16x4f32 a[0:3], v8, v12, a[0:3]
	s_movk_i32 s4, 0xff
	v_and_b32_sdwa v9, v14, s4 dst_sel:DWORD dst_unused:UNUSED_PAD src0_sel:WORD_1 src1_sel:DWORD
	s_movk_i32 s4, 0x7f
	v_cmp_lt_i16_e32 vcc, s4, v9
	s_mov_b64 s[4:5], 0
                                        ; implicit-def: $sgpr10
	s_and_saveexec_b64 s[6:7], vcc
	s_xor_b64 s[6:7], exec, s[6:7]
	s_cbranch_execnz .LBB58_3921
; %bb.1873:
	s_or_saveexec_b64 s[6:7], s[6:7]
	v_mov_b32_e32 v8, s10
	s_xor_b64 exec, exec, s[6:7]
	s_cbranch_execnz .LBB58_3924
.LBB58_1874:
	s_or_b64 exec, exec, s[6:7]
	s_and_saveexec_b64 s[6:7], s[4:5]
	s_cbranch_execz .LBB58_1876
.LBB58_1875:
	v_bfe_u32 v8, v14, 16, 3
	v_ffbh_u32_e32 v13, v8
	v_min_u32_e32 v13, 32, v13
	v_lshrrev_b32_e32 v9, 19, v14
	v_subrev_u32_e32 v18, 28, v13
	v_and_b32_e32 v9, 15, v9
	v_lshlrev_b32_sdwa v18, v18, v14 dst_sel:DWORD dst_unused:UNUSED_PAD src0_sel:DWORD src1_sel:WORD_1
	v_bfe_u32 v12, v14, 19, 4
	v_sub_u32_e32 v13, 29, v13
	v_and_b32_e32 v18, 7, v18
	v_cmp_eq_u16_e32 vcc, 0, v9
	v_cndmask_b32_e32 v8, v8, v18, vcc
	v_cndmask_b32_e32 v9, v12, v13, vcc
	v_lshlrev_b32_e32 v12, 8, v14
	v_mov_b32_e32 v13, 0x3b800000
	v_lshlrev_b32_e32 v8, 20, v8
	v_and_b32_e32 v12, 0x80000000, v12
	v_lshl_add_u32 v9, v9, 23, v13
	v_or3_b32 v8, v12, v9, v8
.LBB58_1876:
	s_or_b64 exec, exec, s[6:7]
	s_movk_i32 s4, 0xff
	v_and_b32_sdwa v9, v10, s4 dst_sel:DWORD dst_unused:UNUSED_PAD src0_sel:WORD_1 src1_sel:DWORD
	s_movk_i32 s4, 0x7f
	v_cmp_lt_i16_e32 vcc, s4, v9
	s_mov_b64 s[4:5], 0
                                        ; implicit-def: $sgpr10
	s_and_saveexec_b64 s[6:7], vcc
	s_xor_b64 s[6:7], exec, s[6:7]
	s_cbranch_execnz .LBB58_3925
; %bb.1877:
	s_or_saveexec_b64 s[6:7], s[6:7]
	v_mov_b32_e32 v12, s10
	s_xor_b64 exec, exec, s[6:7]
	s_cbranch_execnz .LBB58_3928
.LBB58_1878:
	s_or_b64 exec, exec, s[6:7]
	s_and_saveexec_b64 s[6:7], s[4:5]
	s_cbranch_execz .LBB58_1880
.LBB58_1879:
	v_bfe_u32 v9, v10, 16, 3
	v_ffbh_u32_e32 v18, v9
	v_min_u32_e32 v18, 32, v18
	v_lshrrev_b32_e32 v12, 19, v10
	v_subrev_u32_e32 v19, 28, v18
	v_and_b32_e32 v12, 15, v12
	v_lshlrev_b32_sdwa v19, v19, v10 dst_sel:DWORD dst_unused:UNUSED_PAD src0_sel:DWORD src1_sel:WORD_1
	v_bfe_u32 v13, v10, 19, 4
	v_sub_u32_e32 v18, 29, v18
	v_and_b32_e32 v19, 7, v19
	v_cmp_eq_u16_e32 vcc, 0, v12
	v_cndmask_b32_e32 v9, v9, v19, vcc
	v_cndmask_b32_e32 v12, v13, v18, vcc
	v_lshlrev_b32_e32 v13, 8, v10
	v_mov_b32_e32 v18, 0x3b800000
	v_lshlrev_b32_e32 v9, 20, v9
	v_and_b32_e32 v13, 0x80000000, v13
	v_lshl_add_u32 v12, v12, 23, v18
	v_or3_b32 v12, v13, v12, v9
.LBB58_1880:
	s_or_b64 exec, exec, s[6:7]
	s_nop 0
	v_mfma_f32_16x16x4f32 a[0:3], v8, v12, a[0:3]
	s_movk_i32 s4, 0x7f
	v_cmp_gt_i16_sdwa s[6:7], v14, s4 src0_sel:BYTE_3 src1_sel:DWORD
	s_mov_b64 s[4:5], 0
                                        ; implicit-def: $sgpr10
	s_and_saveexec_b64 s[8:9], s[6:7]
	s_xor_b64 s[6:7], exec, s[8:9]
	s_cbranch_execnz .LBB58_3929
; %bb.1881:
	s_or_saveexec_b64 s[6:7], s[6:7]
	v_mov_b32_e32 v8, s10
	s_xor_b64 exec, exec, s[6:7]
	s_cbranch_execnz .LBB58_3932
.LBB58_1882:
	s_or_b64 exec, exec, s[6:7]
	s_and_saveexec_b64 s[6:7], s[4:5]
	s_cbranch_execz .LBB58_1884
.LBB58_1883:
	v_bfe_u32 v8, v14, 24, 3
	v_ffbh_u32_e32 v18, v8
	v_min_u32_e32 v18, 32, v18
	v_lshrrev_b32_e32 v12, 27, v14
	v_subrev_u32_e32 v19, 28, v18
	v_and_b32_e32 v9, 0x80000000, v14
	v_and_b32_e32 v12, 15, v12
	v_bfe_u32 v13, v14, 27, 4
	v_lshlrev_b32_sdwa v14, v19, v14 dst_sel:DWORD dst_unused:UNUSED_PAD src0_sel:DWORD src1_sel:BYTE_3
	v_sub_u32_e32 v18, 29, v18
	v_and_b32_e32 v14, 7, v14
	v_cmp_eq_u16_e32 vcc, 0, v12
	v_cndmask_b32_e32 v8, v8, v14, vcc
	v_cndmask_b32_e32 v12, v13, v18, vcc
	v_mov_b32_e32 v13, 0x3b800000
	v_lshlrev_b32_e32 v8, 20, v8
	v_lshl_add_u32 v12, v12, 23, v13
	v_or3_b32 v8, v9, v12, v8
.LBB58_1884:
	s_or_b64 exec, exec, s[6:7]
	s_movk_i32 s4, 0x7f
	v_cmp_gt_i16_sdwa s[6:7], v10, s4 src0_sel:BYTE_3 src1_sel:DWORD
	s_mov_b64 s[4:5], 0
                                        ; implicit-def: $sgpr10
	s_and_saveexec_b64 s[8:9], s[6:7]
	s_xor_b64 s[6:7], exec, s[8:9]
	s_cbranch_execnz .LBB58_3933
; %bb.1885:
	s_or_saveexec_b64 s[6:7], s[6:7]
	v_mov_b32_e32 v9, s10
	s_xor_b64 exec, exec, s[6:7]
	s_cbranch_execnz .LBB58_3936
.LBB58_1886:
	s_or_b64 exec, exec, s[6:7]
	s_and_saveexec_b64 s[6:7], s[4:5]
	s_cbranch_execz .LBB58_1888
.LBB58_1887:
	v_bfe_u32 v9, v10, 24, 3
	v_ffbh_u32_e32 v18, v9
	v_min_u32_e32 v18, 32, v18
	v_lshrrev_b32_e32 v13, 27, v10
	v_subrev_u32_e32 v19, 28, v18
	v_and_b32_e32 v12, 0x80000000, v10
	v_and_b32_e32 v13, 15, v13
	v_bfe_u32 v14, v10, 27, 4
	v_lshlrev_b32_sdwa v10, v19, v10 dst_sel:DWORD dst_unused:UNUSED_PAD src0_sel:DWORD src1_sel:BYTE_3
	v_sub_u32_e32 v18, 29, v18
	v_and_b32_e32 v10, 7, v10
	v_cmp_eq_u16_e32 vcc, 0, v13
	v_cndmask_b32_e32 v9, v9, v10, vcc
	v_cndmask_b32_e32 v10, v14, v18, vcc
	v_mov_b32_e32 v13, 0x3b800000
	v_lshlrev_b32_e32 v9, 20, v9
	v_lshl_add_u32 v10, v10, 23, v13
	v_or3_b32 v9, v12, v10, v9
.LBB58_1888:
	s_or_b64 exec, exec, s[6:7]
	s_nop 0
	v_mfma_f32_16x16x4f32 a[0:3], v8, v9, a[0:3]
	s_movk_i32 s4, 0x7f
	v_cmp_gt_i16_sdwa s[6:7], v15, s4 src0_sel:BYTE_0 src1_sel:DWORD
	s_mov_b64 s[4:5], 0
                                        ; implicit-def: $sgpr10
	s_and_saveexec_b64 s[8:9], s[6:7]
	s_xor_b64 s[6:7], exec, s[8:9]
	s_cbranch_execnz .LBB58_3937
; %bb.1889:
	s_or_saveexec_b64 s[6:7], s[6:7]
	v_mov_b32_e32 v8, s10
	s_xor_b64 exec, exec, s[6:7]
	s_cbranch_execnz .LBB58_3940
.LBB58_1890:
	s_or_b64 exec, exec, s[6:7]
	s_and_saveexec_b64 s[6:7], s[4:5]
	s_cbranch_execz .LBB58_1892
.LBB58_1891:
	v_and_b32_e32 v8, 7, v15
	v_ffbh_u32_e32 v10, v8
	v_min_u32_e32 v10, 32, v10
	v_lshrrev_b16_e32 v9, 3, v15
	v_subrev_u32_e32 v12, 28, v10
	v_and_b32_e32 v9, 15, v9
	v_lshlrev_b32_e32 v12, v12, v15
	v_sub_u32_e32 v10, 29, v10
	v_and_b32_e32 v12, 7, v12
	v_cmp_eq_u16_e32 vcc, 0, v9
	v_cndmask_b32_e32 v8, v8, v12, vcc
	v_cndmask_b32_e32 v9, v9, v10, vcc
	v_lshlrev_b32_e32 v10, 24, v15
	v_mov_b32_e32 v12, 0x3b800000
	v_lshlrev_b32_e32 v8, 20, v8
	v_and_b32_e32 v10, 0x80000000, v10
	v_lshl_add_u32 v9, v9, 23, v12
	v_or3_b32 v8, v10, v9, v8
.LBB58_1892:
	s_or_b64 exec, exec, s[6:7]
	s_movk_i32 s4, 0x7f
	v_cmp_gt_i16_sdwa s[6:7], v11, s4 src0_sel:BYTE_0 src1_sel:DWORD
	s_mov_b64 s[4:5], 0
                                        ; implicit-def: $sgpr10
	s_and_saveexec_b64 s[8:9], s[6:7]
	s_xor_b64 s[6:7], exec, s[8:9]
	s_cbranch_execnz .LBB58_3941
; %bb.1893:
	s_or_saveexec_b64 s[6:7], s[6:7]
	v_mov_b32_e32 v9, s10
	s_xor_b64 exec, exec, s[6:7]
	s_cbranch_execnz .LBB58_3944
.LBB58_1894:
	s_or_b64 exec, exec, s[6:7]
	s_and_saveexec_b64 s[6:7], s[4:5]
	s_cbranch_execz .LBB58_1896
.LBB58_1895:
	v_and_b32_e32 v9, 7, v11
	v_ffbh_u32_e32 v12, v9
	v_min_u32_e32 v12, 32, v12
	v_lshrrev_b16_e32 v10, 3, v11
	v_subrev_u32_e32 v13, 28, v12
	v_and_b32_e32 v10, 15, v10
	v_lshlrev_b32_e32 v13, v13, v11
	v_sub_u32_e32 v12, 29, v12
	v_and_b32_e32 v13, 7, v13
	v_cmp_eq_u16_e32 vcc, 0, v10
	v_cndmask_b32_e32 v9, v9, v13, vcc
	v_cndmask_b32_e32 v10, v10, v12, vcc
	v_lshlrev_b32_e32 v12, 24, v11
	v_mov_b32_e32 v13, 0x3b800000
	v_lshlrev_b32_e32 v9, 20, v9
	v_and_b32_e32 v12, 0x80000000, v12
	v_lshl_add_u32 v10, v10, 23, v13
	v_or3_b32 v9, v12, v10, v9
.LBB58_1896:
	s_or_b64 exec, exec, s[6:7]
	s_nop 0
	v_mfma_f32_16x16x4f32 a[0:3], v8, v9, a[0:3]
	v_lshrrev_b32_e32 v9, 8, v15
	s_movk_i32 s4, 0x7f
	v_cmp_gt_i16_sdwa s[6:7], v9, s4 src0_sel:BYTE_0 src1_sel:DWORD
	s_mov_b64 s[4:5], 0
                                        ; implicit-def: $sgpr10
	s_and_saveexec_b64 s[8:9], s[6:7]
	s_xor_b64 s[6:7], exec, s[8:9]
	s_cbranch_execnz .LBB58_3945
; %bb.1897:
	s_or_saveexec_b64 s[6:7], s[6:7]
	v_mov_b32_e32 v8, s10
	s_xor_b64 exec, exec, s[6:7]
	s_cbranch_execnz .LBB58_3948
.LBB58_1898:
	s_or_b64 exec, exec, s[6:7]
	s_and_saveexec_b64 s[6:7], s[4:5]
	s_cbranch_execz .LBB58_1900
.LBB58_1899:
	v_bfe_u32 v8, v15, 8, 3
	v_ffbh_u32_e32 v12, v8
	v_min_u32_e32 v12, 32, v12
	v_lshrrev_b16_e32 v10, 3, v9
	v_subrev_u32_e32 v13, 28, v12
	v_and_b32_e32 v10, 15, v10
	v_lshlrev_b32_e32 v9, v13, v9
	v_sub_u32_e32 v12, 29, v12
	v_and_b32_e32 v9, 7, v9
	v_cmp_eq_u16_e32 vcc, 0, v10
	v_cndmask_b32_e32 v8, v8, v9, vcc
	v_cndmask_b32_e32 v9, v10, v12, vcc
	v_lshlrev_b32_e32 v10, 16, v15
	v_mov_b32_e32 v12, 0x3b800000
	v_lshlrev_b32_e32 v8, 20, v8
	v_and_b32_e32 v10, 0x80000000, v10
	v_lshl_add_u32 v9, v9, 23, v12
	v_or3_b32 v8, v10, v9, v8
.LBB58_1900:
	s_or_b64 exec, exec, s[6:7]
	v_lshrrev_b32_e32 v9, 8, v11
	s_movk_i32 s4, 0x7f
	v_cmp_gt_i16_sdwa s[6:7], v9, s4 src0_sel:BYTE_0 src1_sel:DWORD
	s_mov_b64 s[4:5], 0
                                        ; implicit-def: $sgpr10
	s_and_saveexec_b64 s[8:9], s[6:7]
	s_xor_b64 s[6:7], exec, s[8:9]
	s_cbranch_execnz .LBB58_3949
; %bb.1901:
	s_or_saveexec_b64 s[6:7], s[6:7]
	v_mov_b32_e32 v10, s10
	s_xor_b64 exec, exec, s[6:7]
	s_cbranch_execnz .LBB58_3952
.LBB58_1902:
	s_or_b64 exec, exec, s[6:7]
	s_and_saveexec_b64 s[6:7], s[4:5]
	s_cbranch_execz .LBB58_1904
.LBB58_1903:
	v_bfe_u32 v10, v11, 8, 3
	v_ffbh_u32_e32 v13, v10
	v_min_u32_e32 v13, 32, v13
	v_lshrrev_b16_e32 v12, 3, v9
	v_subrev_u32_e32 v14, 28, v13
	v_and_b32_e32 v12, 15, v12
	v_lshlrev_b32_e32 v9, v14, v9
	v_sub_u32_e32 v13, 29, v13
	v_and_b32_e32 v9, 7, v9
	v_cmp_eq_u16_e32 vcc, 0, v12
	v_cndmask_b32_e32 v9, v10, v9, vcc
	v_cndmask_b32_e32 v10, v12, v13, vcc
	v_lshlrev_b32_e32 v12, 16, v11
	v_mov_b32_e32 v13, 0x3b800000
	v_lshlrev_b32_e32 v9, 20, v9
	v_and_b32_e32 v12, 0x80000000, v12
	v_lshl_add_u32 v10, v10, 23, v13
	v_or3_b32 v10, v12, v10, v9
.LBB58_1904:
	s_or_b64 exec, exec, s[6:7]
	s_nop 0
	v_mfma_f32_16x16x4f32 a[0:3], v8, v10, a[0:3]
	s_movk_i32 s4, 0xff
	v_and_b32_sdwa v9, v15, s4 dst_sel:DWORD dst_unused:UNUSED_PAD src0_sel:WORD_1 src1_sel:DWORD
	s_movk_i32 s4, 0x7f
	v_cmp_lt_i16_e32 vcc, s4, v9
	s_mov_b64 s[4:5], 0
                                        ; implicit-def: $sgpr10
	s_and_saveexec_b64 s[6:7], vcc
	s_xor_b64 s[6:7], exec, s[6:7]
	s_cbranch_execnz .LBB58_3953
; %bb.1905:
	s_or_saveexec_b64 s[6:7], s[6:7]
	v_mov_b32_e32 v8, s10
	s_xor_b64 exec, exec, s[6:7]
	s_cbranch_execnz .LBB58_3956
.LBB58_1906:
	s_or_b64 exec, exec, s[6:7]
	s_and_saveexec_b64 s[6:7], s[4:5]
	s_cbranch_execz .LBB58_1908
.LBB58_1907:
	v_bfe_u32 v8, v15, 16, 3
	v_ffbh_u32_e32 v12, v8
	v_min_u32_e32 v12, 32, v12
	v_lshrrev_b32_e32 v9, 19, v15
	v_subrev_u32_e32 v13, 28, v12
	v_and_b32_e32 v9, 15, v9
	v_lshlrev_b32_sdwa v13, v13, v15 dst_sel:DWORD dst_unused:UNUSED_PAD src0_sel:DWORD src1_sel:WORD_1
	v_bfe_u32 v10, v15, 19, 4
	v_sub_u32_e32 v12, 29, v12
	v_and_b32_e32 v13, 7, v13
	v_cmp_eq_u16_e32 vcc, 0, v9
	v_cndmask_b32_e32 v8, v8, v13, vcc
	v_cndmask_b32_e32 v9, v10, v12, vcc
	v_lshlrev_b32_e32 v10, 8, v15
	v_mov_b32_e32 v12, 0x3b800000
	v_lshlrev_b32_e32 v8, 20, v8
	v_and_b32_e32 v10, 0x80000000, v10
	v_lshl_add_u32 v9, v9, 23, v12
	v_or3_b32 v8, v10, v9, v8
.LBB58_1908:
	s_or_b64 exec, exec, s[6:7]
	s_movk_i32 s4, 0xff
	v_and_b32_sdwa v9, v11, s4 dst_sel:DWORD dst_unused:UNUSED_PAD src0_sel:WORD_1 src1_sel:DWORD
	s_movk_i32 s4, 0x7f
	v_cmp_lt_i16_e32 vcc, s4, v9
	s_mov_b64 s[4:5], 0
                                        ; implicit-def: $sgpr10
	s_and_saveexec_b64 s[6:7], vcc
	s_xor_b64 s[6:7], exec, s[6:7]
	s_cbranch_execnz .LBB58_3957
; %bb.1909:
	s_or_saveexec_b64 s[6:7], s[6:7]
	v_mov_b32_e32 v10, s10
	s_xor_b64 exec, exec, s[6:7]
	s_cbranch_execnz .LBB58_3960
.LBB58_1910:
	s_or_b64 exec, exec, s[6:7]
	s_and_saveexec_b64 s[6:7], s[4:5]
	s_cbranch_execz .LBB58_1912
.LBB58_1911:
	v_bfe_u32 v9, v11, 16, 3
	v_ffbh_u32_e32 v13, v9
	v_min_u32_e32 v13, 32, v13
	v_lshrrev_b32_e32 v10, 19, v11
	v_subrev_u32_e32 v14, 28, v13
	v_and_b32_e32 v10, 15, v10
	v_lshlrev_b32_sdwa v14, v14, v11 dst_sel:DWORD dst_unused:UNUSED_PAD src0_sel:DWORD src1_sel:WORD_1
	v_bfe_u32 v12, v11, 19, 4
	v_sub_u32_e32 v13, 29, v13
	v_and_b32_e32 v14, 7, v14
	v_cmp_eq_u16_e32 vcc, 0, v10
	v_cndmask_b32_e32 v9, v9, v14, vcc
	v_cndmask_b32_e32 v10, v12, v13, vcc
	v_lshlrev_b32_e32 v12, 8, v11
	v_mov_b32_e32 v13, 0x3b800000
	v_lshlrev_b32_e32 v9, 20, v9
	v_and_b32_e32 v12, 0x80000000, v12
	v_lshl_add_u32 v10, v10, 23, v13
	v_or3_b32 v10, v12, v10, v9
.LBB58_1912:
	s_or_b64 exec, exec, s[6:7]
	s_nop 0
	v_mfma_f32_16x16x4f32 a[0:3], v8, v10, a[0:3]
	s_movk_i32 s4, 0x7f
	v_cmp_gt_i16_sdwa s[6:7], v15, s4 src0_sel:BYTE_3 src1_sel:DWORD
	s_mov_b64 s[4:5], 0
                                        ; implicit-def: $sgpr10
	s_and_saveexec_b64 s[8:9], s[6:7]
	s_xor_b64 s[6:7], exec, s[8:9]
	s_cbranch_execnz .LBB58_3961
; %bb.1913:
	s_or_saveexec_b64 s[6:7], s[6:7]
	v_mov_b32_e32 v8, s10
	s_xor_b64 exec, exec, s[6:7]
	s_cbranch_execnz .LBB58_3964
.LBB58_1914:
	s_or_b64 exec, exec, s[6:7]
	s_and_saveexec_b64 s[6:7], s[4:5]
	s_cbranch_execz .LBB58_1916
.LBB58_1915:
	v_bfe_u32 v8, v15, 24, 3
	v_ffbh_u32_e32 v13, v8
	v_min_u32_e32 v13, 32, v13
	v_lshrrev_b32_e32 v10, 27, v15
	v_subrev_u32_e32 v14, 28, v13
	v_and_b32_e32 v10, 15, v10
	v_lshlrev_b32_sdwa v14, v14, v15 dst_sel:DWORD dst_unused:UNUSED_PAD src0_sel:DWORD src1_sel:BYTE_3
	v_bfe_u32 v12, v15, 27, 4
	v_sub_u32_e32 v13, 29, v13
	v_and_b32_e32 v14, 7, v14
	v_cmp_eq_u16_e32 vcc, 0, v10
	v_cndmask_b32_e32 v8, v8, v14, vcc
	v_cndmask_b32_e32 v10, v12, v13, vcc
	v_mov_b32_e32 v12, 0x3b800000
	v_and_b32_e32 v9, 0x80000000, v15
	v_lshlrev_b32_e32 v8, 20, v8
	v_lshl_add_u32 v10, v10, 23, v12
	v_or3_b32 v8, v9, v10, v8
.LBB58_1916:
	s_or_b64 exec, exec, s[6:7]
	s_movk_i32 s4, 0x7f
	v_cmp_gt_i16_sdwa s[6:7], v11, s4 src0_sel:BYTE_3 src1_sel:DWORD
	s_mov_b64 s[4:5], 0
                                        ; implicit-def: $sgpr10
	s_and_saveexec_b64 s[8:9], s[6:7]
	s_xor_b64 s[6:7], exec, s[8:9]
	s_cbranch_execnz .LBB58_3965
; %bb.1917:
	s_or_saveexec_b64 s[6:7], s[6:7]
	v_mov_b32_e32 v9, s10
	s_xor_b64 exec, exec, s[6:7]
	s_cbranch_execnz .LBB58_3968
.LBB58_1918:
	s_or_b64 exec, exec, s[6:7]
	s_and_saveexec_b64 s[6:7], s[4:5]
	s_cbranch_execz .LBB58_1920
.LBB58_1919:
	v_bfe_u32 v9, v11, 24, 3
	v_ffbh_u32_e32 v14, v9
	v_min_u32_e32 v14, 32, v14
	v_lshrrev_b32_e32 v12, 27, v11
	v_subrev_u32_e32 v15, 28, v14
	v_and_b32_e32 v10, 0x80000000, v11
	v_and_b32_e32 v12, 15, v12
	v_bfe_u32 v13, v11, 27, 4
	v_lshlrev_b32_sdwa v11, v15, v11 dst_sel:DWORD dst_unused:UNUSED_PAD src0_sel:DWORD src1_sel:BYTE_3
	v_sub_u32_e32 v14, 29, v14
	v_and_b32_e32 v11, 7, v11
	v_cmp_eq_u16_e32 vcc, 0, v12
	v_cndmask_b32_e32 v9, v9, v11, vcc
	v_cndmask_b32_e32 v11, v13, v14, vcc
	v_mov_b32_e32 v12, 0x3b800000
	v_lshlrev_b32_e32 v9, 20, v9
	v_lshl_add_u32 v11, v11, 23, v12
	v_or3_b32 v9, v10, v11, v9
.LBB58_1920:
	s_or_b64 exec, exec, s[6:7]
	s_nop 0
	v_mfma_f32_16x16x4f32 a[0:3], v8, v9, a[0:3]
	s_movk_i32 s4, 0x7f
	v_cmp_gt_i16_sdwa s[6:7], v4, s4 src0_sel:BYTE_0 src1_sel:DWORD
	s_mov_b64 s[4:5], 0
                                        ; implicit-def: $sgpr10
	s_and_saveexec_b64 s[8:9], s[6:7]
	s_xor_b64 s[6:7], exec, s[8:9]
	s_cbranch_execnz .LBB58_3969
; %bb.1921:
	s_or_saveexec_b64 s[6:7], s[6:7]
	v_mov_b32_e32 v8, s10
	s_xor_b64 exec, exec, s[6:7]
	s_cbranch_execnz .LBB58_3972
.LBB58_1922:
	s_or_b64 exec, exec, s[6:7]
	s_and_saveexec_b64 s[6:7], s[4:5]
	s_cbranch_execz .LBB58_1924
.LBB58_1923:
	v_and_b32_e32 v8, 7, v4
	v_ffbh_u32_e32 v10, v8
	v_min_u32_e32 v10, 32, v10
	v_lshrrev_b16_e32 v9, 3, v4
	v_subrev_u32_e32 v11, 28, v10
	v_and_b32_e32 v9, 15, v9
	v_lshlrev_b32_e32 v11, v11, v4
	v_sub_u32_e32 v10, 29, v10
	v_and_b32_e32 v11, 7, v11
	v_cmp_eq_u16_e32 vcc, 0, v9
	v_cndmask_b32_e32 v8, v8, v11, vcc
	v_cndmask_b32_e32 v9, v9, v10, vcc
	v_lshlrev_b32_e32 v10, 24, v4
	v_mov_b32_e32 v11, 0x3b800000
	v_lshlrev_b32_e32 v8, 20, v8
	v_and_b32_e32 v10, 0x80000000, v10
	v_lshl_add_u32 v9, v9, 23, v11
	v_or3_b32 v8, v10, v9, v8
.LBB58_1924:
	s_or_b64 exec, exec, s[6:7]
	s_movk_i32 s4, 0x7f
	v_cmp_gt_i16_sdwa s[6:7], v0, s4 src0_sel:BYTE_0 src1_sel:DWORD
	s_mov_b64 s[4:5], 0
                                        ; implicit-def: $sgpr10
	s_and_saveexec_b64 s[8:9], s[6:7]
	s_xor_b64 s[6:7], exec, s[8:9]
	s_cbranch_execnz .LBB58_3973
; %bb.1925:
	s_or_saveexec_b64 s[6:7], s[6:7]
	v_mov_b32_e32 v9, s10
	s_xor_b64 exec, exec, s[6:7]
	s_cbranch_execnz .LBB58_3976
.LBB58_1926:
	s_or_b64 exec, exec, s[6:7]
	s_and_saveexec_b64 s[6:7], s[4:5]
	s_cbranch_execz .LBB58_1928
.LBB58_1927:
	v_and_b32_e32 v9, 7, v0
	v_ffbh_u32_e32 v11, v9
	v_min_u32_e32 v11, 32, v11
	v_lshrrev_b16_e32 v10, 3, v0
	v_subrev_u32_e32 v12, 28, v11
	v_and_b32_e32 v10, 15, v10
	v_lshlrev_b32_e32 v12, v12, v0
	v_sub_u32_e32 v11, 29, v11
	v_and_b32_e32 v12, 7, v12
	v_cmp_eq_u16_e32 vcc, 0, v10
	v_cndmask_b32_e32 v9, v9, v12, vcc
	v_cndmask_b32_e32 v10, v10, v11, vcc
	v_lshlrev_b32_e32 v11, 24, v0
	v_mov_b32_e32 v12, 0x3b800000
	v_lshlrev_b32_e32 v9, 20, v9
	v_and_b32_e32 v11, 0x80000000, v11
	v_lshl_add_u32 v10, v10, 23, v12
	v_or3_b32 v9, v11, v10, v9
.LBB58_1928:
	s_or_b64 exec, exec, s[6:7]
	s_nop 0
	v_mfma_f32_16x16x4f32 a[0:3], v8, v9, a[0:3]
	v_lshrrev_b32_e32 v9, 8, v4
	s_movk_i32 s4, 0x7f
	v_cmp_gt_i16_sdwa s[6:7], v9, s4 src0_sel:BYTE_0 src1_sel:DWORD
	s_mov_b64 s[4:5], 0
                                        ; implicit-def: $sgpr10
	s_and_saveexec_b64 s[8:9], s[6:7]
	s_xor_b64 s[6:7], exec, s[8:9]
	s_cbranch_execnz .LBB58_3977
; %bb.1929:
	s_or_saveexec_b64 s[6:7], s[6:7]
	v_mov_b32_e32 v8, s10
	s_xor_b64 exec, exec, s[6:7]
	s_cbranch_execnz .LBB58_3980
.LBB58_1930:
	s_or_b64 exec, exec, s[6:7]
	s_and_saveexec_b64 s[6:7], s[4:5]
	s_cbranch_execz .LBB58_1932
.LBB58_1931:
	v_bfe_u32 v8, v4, 8, 3
	v_ffbh_u32_e32 v11, v8
	v_min_u32_e32 v11, 32, v11
	v_lshrrev_b16_e32 v10, 3, v9
	v_subrev_u32_e32 v12, 28, v11
	v_and_b32_e32 v10, 15, v10
	v_lshlrev_b32_e32 v9, v12, v9
	v_sub_u32_e32 v11, 29, v11
	v_and_b32_e32 v9, 7, v9
	v_cmp_eq_u16_e32 vcc, 0, v10
	v_cndmask_b32_e32 v8, v8, v9, vcc
	v_cndmask_b32_e32 v9, v10, v11, vcc
	v_lshlrev_b32_e32 v10, 16, v4
	v_mov_b32_e32 v11, 0x3b800000
	v_lshlrev_b32_e32 v8, 20, v8
	v_and_b32_e32 v10, 0x80000000, v10
	v_lshl_add_u32 v9, v9, 23, v11
	v_or3_b32 v8, v10, v9, v8
.LBB58_1932:
	s_or_b64 exec, exec, s[6:7]
	v_lshrrev_b32_e32 v9, 8, v0
	s_movk_i32 s4, 0x7f
	v_cmp_gt_i16_sdwa s[6:7], v9, s4 src0_sel:BYTE_0 src1_sel:DWORD
	s_mov_b64 s[4:5], 0
                                        ; implicit-def: $sgpr10
	s_and_saveexec_b64 s[8:9], s[6:7]
	s_xor_b64 s[6:7], exec, s[8:9]
	s_cbranch_execnz .LBB58_3981
; %bb.1933:
	s_or_saveexec_b64 s[6:7], s[6:7]
	v_mov_b32_e32 v10, s10
	s_xor_b64 exec, exec, s[6:7]
	s_cbranch_execnz .LBB58_3984
.LBB58_1934:
	s_or_b64 exec, exec, s[6:7]
	s_and_saveexec_b64 s[6:7], s[4:5]
	s_cbranch_execz .LBB58_1936
.LBB58_1935:
	v_bfe_u32 v10, v0, 8, 3
	v_ffbh_u32_e32 v12, v10
	v_min_u32_e32 v12, 32, v12
	v_lshrrev_b16_e32 v11, 3, v9
	v_subrev_u32_e32 v13, 28, v12
	v_and_b32_e32 v11, 15, v11
	v_lshlrev_b32_e32 v9, v13, v9
	v_sub_u32_e32 v12, 29, v12
	v_and_b32_e32 v9, 7, v9
	v_cmp_eq_u16_e32 vcc, 0, v11
	v_cndmask_b32_e32 v9, v10, v9, vcc
	v_cndmask_b32_e32 v10, v11, v12, vcc
	v_lshlrev_b32_e32 v11, 16, v0
	v_mov_b32_e32 v12, 0x3b800000
	v_lshlrev_b32_e32 v9, 20, v9
	v_and_b32_e32 v11, 0x80000000, v11
	v_lshl_add_u32 v10, v10, 23, v12
	v_or3_b32 v10, v11, v10, v9
.LBB58_1936:
	s_or_b64 exec, exec, s[6:7]
	s_nop 0
	v_mfma_f32_16x16x4f32 a[0:3], v8, v10, a[0:3]
	s_movk_i32 s4, 0xff
	v_and_b32_sdwa v9, v4, s4 dst_sel:DWORD dst_unused:UNUSED_PAD src0_sel:WORD_1 src1_sel:DWORD
	s_movk_i32 s4, 0x7f
	v_cmp_lt_i16_e32 vcc, s4, v9
	s_mov_b64 s[4:5], 0
                                        ; implicit-def: $sgpr10
	s_and_saveexec_b64 s[6:7], vcc
	s_xor_b64 s[6:7], exec, s[6:7]
	s_cbranch_execnz .LBB58_3985
; %bb.1937:
	s_or_saveexec_b64 s[6:7], s[6:7]
	v_mov_b32_e32 v8, s10
	s_xor_b64 exec, exec, s[6:7]
	s_cbranch_execnz .LBB58_3988
.LBB58_1938:
	s_or_b64 exec, exec, s[6:7]
	s_and_saveexec_b64 s[6:7], s[4:5]
	s_cbranch_execz .LBB58_1940
.LBB58_1939:
	v_bfe_u32 v8, v4, 16, 3
	v_ffbh_u32_e32 v11, v8
	v_min_u32_e32 v11, 32, v11
	v_lshrrev_b32_e32 v9, 19, v4
	v_subrev_u32_e32 v12, 28, v11
	v_and_b32_e32 v9, 15, v9
	v_lshlrev_b32_sdwa v12, v12, v4 dst_sel:DWORD dst_unused:UNUSED_PAD src0_sel:DWORD src1_sel:WORD_1
	v_bfe_u32 v10, v4, 19, 4
	v_sub_u32_e32 v11, 29, v11
	v_and_b32_e32 v12, 7, v12
	v_cmp_eq_u16_e32 vcc, 0, v9
	v_cndmask_b32_e32 v8, v8, v12, vcc
	v_cndmask_b32_e32 v9, v10, v11, vcc
	v_lshlrev_b32_e32 v10, 8, v4
	v_mov_b32_e32 v11, 0x3b800000
	v_lshlrev_b32_e32 v8, 20, v8
	v_and_b32_e32 v10, 0x80000000, v10
	v_lshl_add_u32 v9, v9, 23, v11
	v_or3_b32 v8, v10, v9, v8
.LBB58_1940:
	s_or_b64 exec, exec, s[6:7]
	s_movk_i32 s4, 0xff
	v_and_b32_sdwa v9, v0, s4 dst_sel:DWORD dst_unused:UNUSED_PAD src0_sel:WORD_1 src1_sel:DWORD
	s_movk_i32 s4, 0x7f
	v_cmp_lt_i16_e32 vcc, s4, v9
	s_mov_b64 s[4:5], 0
                                        ; implicit-def: $sgpr10
	s_and_saveexec_b64 s[6:7], vcc
	s_xor_b64 s[6:7], exec, s[6:7]
	s_cbranch_execnz .LBB58_3989
; %bb.1941:
	s_or_saveexec_b64 s[6:7], s[6:7]
	v_mov_b32_e32 v10, s10
	s_xor_b64 exec, exec, s[6:7]
	s_cbranch_execnz .LBB58_3992
.LBB58_1942:
	s_or_b64 exec, exec, s[6:7]
	s_and_saveexec_b64 s[6:7], s[4:5]
	s_cbranch_execz .LBB58_1944
.LBB58_1943:
	v_bfe_u32 v9, v0, 16, 3
	v_ffbh_u32_e32 v12, v9
	v_min_u32_e32 v12, 32, v12
	v_lshrrev_b32_e32 v10, 19, v0
	v_subrev_u32_e32 v13, 28, v12
	v_and_b32_e32 v10, 15, v10
	v_lshlrev_b32_sdwa v13, v13, v0 dst_sel:DWORD dst_unused:UNUSED_PAD src0_sel:DWORD src1_sel:WORD_1
	v_bfe_u32 v11, v0, 19, 4
	v_sub_u32_e32 v12, 29, v12
	v_and_b32_e32 v13, 7, v13
	v_cmp_eq_u16_e32 vcc, 0, v10
	v_cndmask_b32_e32 v9, v9, v13, vcc
	v_cndmask_b32_e32 v10, v11, v12, vcc
	v_lshlrev_b32_e32 v11, 8, v0
	v_mov_b32_e32 v12, 0x3b800000
	v_lshlrev_b32_e32 v9, 20, v9
	v_and_b32_e32 v11, 0x80000000, v11
	v_lshl_add_u32 v10, v10, 23, v12
	v_or3_b32 v10, v11, v10, v9
.LBB58_1944:
	s_or_b64 exec, exec, s[6:7]
	s_nop 0
	v_mfma_f32_16x16x4f32 a[0:3], v8, v10, a[0:3]
	s_movk_i32 s4, 0x7f
	v_cmp_gt_i16_sdwa s[6:7], v4, s4 src0_sel:BYTE_3 src1_sel:DWORD
	s_mov_b64 s[4:5], 0
                                        ; implicit-def: $sgpr10
	s_and_saveexec_b64 s[8:9], s[6:7]
	s_xor_b64 s[6:7], exec, s[8:9]
	s_cbranch_execnz .LBB58_3993
; %bb.1945:
	s_or_saveexec_b64 s[6:7], s[6:7]
	v_mov_b32_e32 v8, s10
	s_xor_b64 exec, exec, s[6:7]
	s_cbranch_execnz .LBB58_3996
.LBB58_1946:
	s_or_b64 exec, exec, s[6:7]
	s_and_saveexec_b64 s[6:7], s[4:5]
	s_cbranch_execz .LBB58_1948
.LBB58_1947:
	v_bfe_u32 v8, v4, 24, 3
	v_ffbh_u32_e32 v12, v8
	v_min_u32_e32 v12, 32, v12
	v_lshrrev_b32_e32 v10, 27, v4
	v_subrev_u32_e32 v13, 28, v12
	v_and_b32_e32 v9, 0x80000000, v4
	v_and_b32_e32 v10, 15, v10
	v_bfe_u32 v11, v4, 27, 4
	v_lshlrev_b32_sdwa v4, v13, v4 dst_sel:DWORD dst_unused:UNUSED_PAD src0_sel:DWORD src1_sel:BYTE_3
	v_sub_u32_e32 v12, 29, v12
	v_and_b32_e32 v4, 7, v4
	v_cmp_eq_u16_e32 vcc, 0, v10
	v_cndmask_b32_e32 v4, v8, v4, vcc
	v_cndmask_b32_e32 v8, v11, v12, vcc
	v_mov_b32_e32 v10, 0x3b800000
	v_lshlrev_b32_e32 v4, 20, v4
	v_lshl_add_u32 v8, v8, 23, v10
	v_or3_b32 v8, v9, v8, v4
.LBB58_1948:
	s_or_b64 exec, exec, s[6:7]
	s_movk_i32 s4, 0x7f
	v_cmp_gt_i16_sdwa s[6:7], v0, s4 src0_sel:BYTE_3 src1_sel:DWORD
	s_mov_b64 s[4:5], 0
                                        ; implicit-def: $sgpr10
	s_and_saveexec_b64 s[8:9], s[6:7]
	s_xor_b64 s[6:7], exec, s[8:9]
	s_cbranch_execnz .LBB58_3997
; %bb.1949:
	s_or_saveexec_b64 s[6:7], s[6:7]
	v_mov_b32_e32 v4, s10
	s_xor_b64 exec, exec, s[6:7]
	s_cbranch_execnz .LBB58_4000
.LBB58_1950:
	s_or_b64 exec, exec, s[6:7]
	s_and_saveexec_b64 s[6:7], s[4:5]
	s_cbranch_execz .LBB58_1952
.LBB58_1951:
	v_bfe_u32 v4, v0, 24, 3
	v_ffbh_u32_e32 v12, v4
	v_min_u32_e32 v12, 32, v12
	v_lshrrev_b32_e32 v10, 27, v0
	v_subrev_u32_e32 v13, 28, v12
	v_and_b32_e32 v9, 0x80000000, v0
	v_and_b32_e32 v10, 15, v10
	v_bfe_u32 v11, v0, 27, 4
	v_lshlrev_b32_sdwa v0, v13, v0 dst_sel:DWORD dst_unused:UNUSED_PAD src0_sel:DWORD src1_sel:BYTE_3
	v_sub_u32_e32 v12, 29, v12
	v_and_b32_e32 v0, 7, v0
	v_cmp_eq_u16_e32 vcc, 0, v10
	v_cndmask_b32_e32 v0, v4, v0, vcc
	v_cndmask_b32_e32 v4, v11, v12, vcc
	v_mov_b32_e32 v10, 0x3b800000
	v_lshlrev_b32_e32 v0, 20, v0
	v_lshl_add_u32 v4, v4, 23, v10
	v_or3_b32 v4, v9, v4, v0
.LBB58_1952:
	s_or_b64 exec, exec, s[6:7]
	s_nop 0
	v_mfma_f32_16x16x4f32 a[0:3], v8, v4, a[0:3]
	s_movk_i32 s4, 0x7f
	v_cmp_gt_i16_sdwa s[6:7], v5, s4 src0_sel:BYTE_0 src1_sel:DWORD
	s_mov_b64 s[4:5], 0
                                        ; implicit-def: $sgpr10
	s_and_saveexec_b64 s[8:9], s[6:7]
	s_xor_b64 s[6:7], exec, s[8:9]
	s_cbranch_execnz .LBB58_4001
; %bb.1953:
	s_or_saveexec_b64 s[6:7], s[6:7]
	v_mov_b32_e32 v0, s10
	s_xor_b64 exec, exec, s[6:7]
	s_cbranch_execnz .LBB58_4004
.LBB58_1954:
	s_or_b64 exec, exec, s[6:7]
	s_and_saveexec_b64 s[6:7], s[4:5]
	s_cbranch_execz .LBB58_1956
.LBB58_1955:
	v_and_b32_e32 v0, 7, v5
	v_ffbh_u32_e32 v8, v0
	v_min_u32_e32 v8, 32, v8
	v_lshrrev_b16_e32 v4, 3, v5
	v_subrev_u32_e32 v9, 28, v8
	v_and_b32_e32 v4, 15, v4
	v_lshlrev_b32_e32 v9, v9, v5
	v_sub_u32_e32 v8, 29, v8
	v_and_b32_e32 v9, 7, v9
	v_cmp_eq_u16_e32 vcc, 0, v4
	v_cndmask_b32_e32 v0, v0, v9, vcc
	v_cndmask_b32_e32 v4, v4, v8, vcc
	v_lshlrev_b32_e32 v8, 24, v5
	v_mov_b32_e32 v9, 0x3b800000
	v_lshlrev_b32_e32 v0, 20, v0
	v_and_b32_e32 v8, 0x80000000, v8
	v_lshl_add_u32 v4, v4, 23, v9
	v_or3_b32 v0, v8, v4, v0
.LBB58_1956:
	s_or_b64 exec, exec, s[6:7]
	s_movk_i32 s4, 0x7f
	v_cmp_gt_i16_sdwa s[6:7], v1, s4 src0_sel:BYTE_0 src1_sel:DWORD
	s_mov_b64 s[4:5], 0
                                        ; implicit-def: $sgpr10
	s_and_saveexec_b64 s[8:9], s[6:7]
	s_xor_b64 s[6:7], exec, s[8:9]
	s_cbranch_execnz .LBB58_4005
; %bb.1957:
	s_or_saveexec_b64 s[6:7], s[6:7]
	v_mov_b32_e32 v4, s10
	s_xor_b64 exec, exec, s[6:7]
	s_cbranch_execnz .LBB58_4008
.LBB58_1958:
	s_or_b64 exec, exec, s[6:7]
	s_and_saveexec_b64 s[6:7], s[4:5]
	s_cbranch_execz .LBB58_1960
.LBB58_1959:
	v_and_b32_e32 v4, 7, v1
	v_ffbh_u32_e32 v9, v4
	v_min_u32_e32 v9, 32, v9
	v_lshrrev_b16_e32 v8, 3, v1
	v_subrev_u32_e32 v10, 28, v9
	v_and_b32_e32 v8, 15, v8
	v_lshlrev_b32_e32 v10, v10, v1
	v_sub_u32_e32 v9, 29, v9
	v_and_b32_e32 v10, 7, v10
	v_cmp_eq_u16_e32 vcc, 0, v8
	v_cndmask_b32_e32 v4, v4, v10, vcc
	v_cndmask_b32_e32 v8, v8, v9, vcc
	v_lshlrev_b32_e32 v9, 24, v1
	v_mov_b32_e32 v10, 0x3b800000
	v_lshlrev_b32_e32 v4, 20, v4
	v_and_b32_e32 v9, 0x80000000, v9
	v_lshl_add_u32 v8, v8, 23, v10
	v_or3_b32 v4, v9, v8, v4
.LBB58_1960:
	s_or_b64 exec, exec, s[6:7]
	s_nop 0
	v_mfma_f32_16x16x4f32 a[0:3], v0, v4, a[0:3]
	v_lshrrev_b32_e32 v4, 8, v5
	s_movk_i32 s4, 0x7f
	v_cmp_gt_i16_sdwa s[6:7], v4, s4 src0_sel:BYTE_0 src1_sel:DWORD
	s_mov_b64 s[4:5], 0
                                        ; implicit-def: $sgpr10
	s_and_saveexec_b64 s[8:9], s[6:7]
	s_xor_b64 s[6:7], exec, s[8:9]
	s_cbranch_execnz .LBB58_4009
; %bb.1961:
	s_or_saveexec_b64 s[6:7], s[6:7]
	v_mov_b32_e32 v0, s10
	s_xor_b64 exec, exec, s[6:7]
	s_cbranch_execnz .LBB58_4012
.LBB58_1962:
	s_or_b64 exec, exec, s[6:7]
	s_and_saveexec_b64 s[6:7], s[4:5]
	s_cbranch_execz .LBB58_1964
.LBB58_1963:
	v_bfe_u32 v0, v5, 8, 3
	v_ffbh_u32_e32 v9, v0
	v_min_u32_e32 v9, 32, v9
	v_lshrrev_b16_e32 v8, 3, v4
	v_subrev_u32_e32 v10, 28, v9
	v_and_b32_e32 v8, 15, v8
	v_lshlrev_b32_e32 v4, v10, v4
	v_sub_u32_e32 v9, 29, v9
	v_and_b32_e32 v4, 7, v4
	v_cmp_eq_u16_e32 vcc, 0, v8
	v_cndmask_b32_e32 v0, v0, v4, vcc
	v_cndmask_b32_e32 v4, v8, v9, vcc
	v_lshlrev_b32_e32 v8, 16, v5
	v_mov_b32_e32 v9, 0x3b800000
	v_lshlrev_b32_e32 v0, 20, v0
	v_and_b32_e32 v8, 0x80000000, v8
	v_lshl_add_u32 v4, v4, 23, v9
	v_or3_b32 v0, v8, v4, v0
.LBB58_1964:
	s_or_b64 exec, exec, s[6:7]
	v_lshrrev_b32_e32 v4, 8, v1
	s_movk_i32 s4, 0x7f
	v_cmp_gt_i16_sdwa s[6:7], v4, s4 src0_sel:BYTE_0 src1_sel:DWORD
	s_mov_b64 s[4:5], 0
                                        ; implicit-def: $sgpr10
	s_and_saveexec_b64 s[8:9], s[6:7]
	s_xor_b64 s[6:7], exec, s[8:9]
	s_cbranch_execnz .LBB58_4013
; %bb.1965:
	s_or_saveexec_b64 s[6:7], s[6:7]
	v_mov_b32_e32 v8, s10
	s_xor_b64 exec, exec, s[6:7]
	s_cbranch_execnz .LBB58_4016
.LBB58_1966:
	s_or_b64 exec, exec, s[6:7]
	s_and_saveexec_b64 s[6:7], s[4:5]
	s_cbranch_execz .LBB58_1968
.LBB58_1967:
	v_bfe_u32 v8, v1, 8, 3
	v_ffbh_u32_e32 v10, v8
	v_min_u32_e32 v10, 32, v10
	v_lshrrev_b16_e32 v9, 3, v4
	v_subrev_u32_e32 v11, 28, v10
	v_and_b32_e32 v9, 15, v9
	v_lshlrev_b32_e32 v4, v11, v4
	v_sub_u32_e32 v10, 29, v10
	v_and_b32_e32 v4, 7, v4
	v_cmp_eq_u16_e32 vcc, 0, v9
	v_cndmask_b32_e32 v4, v8, v4, vcc
	v_cndmask_b32_e32 v8, v9, v10, vcc
	v_lshlrev_b32_e32 v9, 16, v1
	v_mov_b32_e32 v10, 0x3b800000
	v_lshlrev_b32_e32 v4, 20, v4
	v_and_b32_e32 v9, 0x80000000, v9
	v_lshl_add_u32 v8, v8, 23, v10
	v_or3_b32 v8, v9, v8, v4
.LBB58_1968:
	s_or_b64 exec, exec, s[6:7]
	s_nop 0
	v_mfma_f32_16x16x4f32 a[0:3], v0, v8, a[0:3]
	s_movk_i32 s4, 0xff
	v_and_b32_sdwa v4, v5, s4 dst_sel:DWORD dst_unused:UNUSED_PAD src0_sel:WORD_1 src1_sel:DWORD
	s_movk_i32 s4, 0x7f
	v_cmp_lt_i16_e32 vcc, s4, v4
	s_mov_b64 s[4:5], 0
                                        ; implicit-def: $sgpr10
	s_and_saveexec_b64 s[6:7], vcc
	s_xor_b64 s[6:7], exec, s[6:7]
	s_cbranch_execnz .LBB58_4017
; %bb.1969:
	s_or_saveexec_b64 s[6:7], s[6:7]
	v_mov_b32_e32 v0, s10
	s_xor_b64 exec, exec, s[6:7]
	s_cbranch_execnz .LBB58_4020
.LBB58_1970:
	s_or_b64 exec, exec, s[6:7]
	s_and_saveexec_b64 s[6:7], s[4:5]
	s_cbranch_execz .LBB58_1972
.LBB58_1971:
	v_bfe_u32 v0, v5, 16, 3
	v_ffbh_u32_e32 v9, v0
	v_min_u32_e32 v9, 32, v9
	v_lshrrev_b32_e32 v4, 19, v5
	v_subrev_u32_e32 v10, 28, v9
	v_and_b32_e32 v4, 15, v4
	v_lshlrev_b32_sdwa v10, v10, v5 dst_sel:DWORD dst_unused:UNUSED_PAD src0_sel:DWORD src1_sel:WORD_1
	v_bfe_u32 v8, v5, 19, 4
	v_sub_u32_e32 v9, 29, v9
	v_and_b32_e32 v10, 7, v10
	v_cmp_eq_u16_e32 vcc, 0, v4
	v_cndmask_b32_e32 v0, v0, v10, vcc
	v_cndmask_b32_e32 v4, v8, v9, vcc
	v_lshlrev_b32_e32 v8, 8, v5
	v_mov_b32_e32 v9, 0x3b800000
	v_lshlrev_b32_e32 v0, 20, v0
	v_and_b32_e32 v8, 0x80000000, v8
	v_lshl_add_u32 v4, v4, 23, v9
	v_or3_b32 v0, v8, v4, v0
.LBB58_1972:
	s_or_b64 exec, exec, s[6:7]
	s_movk_i32 s4, 0xff
	v_and_b32_sdwa v4, v1, s4 dst_sel:DWORD dst_unused:UNUSED_PAD src0_sel:WORD_1 src1_sel:DWORD
	s_movk_i32 s4, 0x7f
	v_cmp_lt_i16_e32 vcc, s4, v4
	s_mov_b64 s[4:5], 0
                                        ; implicit-def: $sgpr10
	s_and_saveexec_b64 s[6:7], vcc
	s_xor_b64 s[6:7], exec, s[6:7]
	s_cbranch_execnz .LBB58_4021
; %bb.1973:
	s_or_saveexec_b64 s[6:7], s[6:7]
	v_mov_b32_e32 v8, s10
	s_xor_b64 exec, exec, s[6:7]
	s_cbranch_execnz .LBB58_4024
.LBB58_1974:
	s_or_b64 exec, exec, s[6:7]
	s_and_saveexec_b64 s[6:7], s[4:5]
	s_cbranch_execz .LBB58_1976
.LBB58_1975:
	v_bfe_u32 v4, v1, 16, 3
	v_ffbh_u32_e32 v10, v4
	v_min_u32_e32 v10, 32, v10
	v_lshrrev_b32_e32 v8, 19, v1
	v_subrev_u32_e32 v11, 28, v10
	v_and_b32_e32 v8, 15, v8
	v_lshlrev_b32_sdwa v11, v11, v1 dst_sel:DWORD dst_unused:UNUSED_PAD src0_sel:DWORD src1_sel:WORD_1
	v_bfe_u32 v9, v1, 19, 4
	v_sub_u32_e32 v10, 29, v10
	v_and_b32_e32 v11, 7, v11
	v_cmp_eq_u16_e32 vcc, 0, v8
	v_cndmask_b32_e32 v4, v4, v11, vcc
	v_cndmask_b32_e32 v8, v9, v10, vcc
	v_lshlrev_b32_e32 v9, 8, v1
	v_mov_b32_e32 v10, 0x3b800000
	v_lshlrev_b32_e32 v4, 20, v4
	v_and_b32_e32 v9, 0x80000000, v9
	v_lshl_add_u32 v8, v8, 23, v10
	v_or3_b32 v8, v9, v8, v4
.LBB58_1976:
	s_or_b64 exec, exec, s[6:7]
	s_nop 0
	v_mfma_f32_16x16x4f32 a[0:3], v0, v8, a[0:3]
	s_movk_i32 s4, 0x7f
	v_cmp_gt_i16_sdwa s[6:7], v5, s4 src0_sel:BYTE_3 src1_sel:DWORD
	s_mov_b64 s[4:5], 0
                                        ; implicit-def: $sgpr10
	s_and_saveexec_b64 s[8:9], s[6:7]
	s_xor_b64 s[6:7], exec, s[8:9]
	s_cbranch_execnz .LBB58_4025
; %bb.1977:
	s_or_saveexec_b64 s[6:7], s[6:7]
	v_mov_b32_e32 v0, s10
	s_xor_b64 exec, exec, s[6:7]
	s_cbranch_execnz .LBB58_4028
.LBB58_1978:
	s_or_b64 exec, exec, s[6:7]
	s_and_saveexec_b64 s[6:7], s[4:5]
	s_cbranch_execz .LBB58_1980
.LBB58_1979:
	v_bfe_u32 v0, v5, 24, 3
	v_ffbh_u32_e32 v10, v0
	v_min_u32_e32 v10, 32, v10
	v_lshrrev_b32_e32 v8, 27, v5
	v_subrev_u32_e32 v11, 28, v10
	v_and_b32_e32 v4, 0x80000000, v5
	v_and_b32_e32 v8, 15, v8
	v_bfe_u32 v9, v5, 27, 4
	v_lshlrev_b32_sdwa v5, v11, v5 dst_sel:DWORD dst_unused:UNUSED_PAD src0_sel:DWORD src1_sel:BYTE_3
	v_sub_u32_e32 v10, 29, v10
	v_and_b32_e32 v5, 7, v5
	v_cmp_eq_u16_e32 vcc, 0, v8
	v_cndmask_b32_e32 v0, v0, v5, vcc
	v_cndmask_b32_e32 v5, v9, v10, vcc
	v_mov_b32_e32 v8, 0x3b800000
	v_lshlrev_b32_e32 v0, 20, v0
	v_lshl_add_u32 v5, v5, 23, v8
	v_or3_b32 v0, v4, v5, v0
.LBB58_1980:
	s_or_b64 exec, exec, s[6:7]
	s_movk_i32 s4, 0x7f
	v_cmp_gt_i16_sdwa s[6:7], v1, s4 src0_sel:BYTE_3 src1_sel:DWORD
	s_mov_b64 s[4:5], 0
                                        ; implicit-def: $sgpr10
	s_and_saveexec_b64 s[8:9], s[6:7]
	s_xor_b64 s[6:7], exec, s[8:9]
	s_cbranch_execnz .LBB58_4029
; %bb.1981:
	s_or_saveexec_b64 s[6:7], s[6:7]
	v_mov_b32_e32 v4, s10
	s_xor_b64 exec, exec, s[6:7]
	s_cbranch_execnz .LBB58_4032
.LBB58_1982:
	s_or_b64 exec, exec, s[6:7]
	s_and_saveexec_b64 s[6:7], s[4:5]
	s_cbranch_execz .LBB58_1984
.LBB58_1983:
	v_bfe_u32 v4, v1, 24, 3
	v_ffbh_u32_e32 v10, v4
	v_min_u32_e32 v10, 32, v10
	v_lshrrev_b32_e32 v8, 27, v1
	v_subrev_u32_e32 v11, 28, v10
	v_and_b32_e32 v5, 0x80000000, v1
	v_and_b32_e32 v8, 15, v8
	v_bfe_u32 v9, v1, 27, 4
	v_lshlrev_b32_sdwa v1, v11, v1 dst_sel:DWORD dst_unused:UNUSED_PAD src0_sel:DWORD src1_sel:BYTE_3
	v_sub_u32_e32 v10, 29, v10
	v_and_b32_e32 v1, 7, v1
	v_cmp_eq_u16_e32 vcc, 0, v8
	v_cndmask_b32_e32 v1, v4, v1, vcc
	v_cndmask_b32_e32 v4, v9, v10, vcc
	v_mov_b32_e32 v8, 0x3b800000
	v_lshlrev_b32_e32 v1, 20, v1
	v_lshl_add_u32 v4, v4, 23, v8
	v_or3_b32 v4, v5, v4, v1
.LBB58_1984:
	s_or_b64 exec, exec, s[6:7]
	s_nop 0
	v_mfma_f32_16x16x4f32 a[0:3], v0, v4, a[0:3]
	s_movk_i32 s4, 0x7f
	v_cmp_gt_i16_sdwa s[6:7], v6, s4 src0_sel:BYTE_0 src1_sel:DWORD
	s_mov_b64 s[4:5], 0
                                        ; implicit-def: $sgpr10
	s_and_saveexec_b64 s[8:9], s[6:7]
	s_xor_b64 s[6:7], exec, s[8:9]
	s_cbranch_execnz .LBB58_4033
; %bb.1985:
	s_or_saveexec_b64 s[6:7], s[6:7]
	v_mov_b32_e32 v0, s10
	s_xor_b64 exec, exec, s[6:7]
	s_cbranch_execnz .LBB58_4036
.LBB58_1986:
	s_or_b64 exec, exec, s[6:7]
	s_and_saveexec_b64 s[6:7], s[4:5]
	s_cbranch_execz .LBB58_1988
.LBB58_1987:
	v_and_b32_e32 v0, 7, v6
	v_ffbh_u32_e32 v4, v0
	v_min_u32_e32 v4, 32, v4
	v_lshrrev_b16_e32 v1, 3, v6
	v_subrev_u32_e32 v5, 28, v4
	v_and_b32_e32 v1, 15, v1
	v_lshlrev_b32_e32 v5, v5, v6
	v_sub_u32_e32 v4, 29, v4
	v_and_b32_e32 v5, 7, v5
	v_cmp_eq_u16_e32 vcc, 0, v1
	v_cndmask_b32_e32 v0, v0, v5, vcc
	v_cndmask_b32_e32 v1, v1, v4, vcc
	v_lshlrev_b32_e32 v4, 24, v6
	v_mov_b32_e32 v5, 0x3b800000
	v_lshlrev_b32_e32 v0, 20, v0
	v_and_b32_e32 v4, 0x80000000, v4
	v_lshl_add_u32 v1, v1, 23, v5
	v_or3_b32 v0, v4, v1, v0
.LBB58_1988:
	s_or_b64 exec, exec, s[6:7]
	s_movk_i32 s4, 0x7f
	v_cmp_gt_i16_sdwa s[6:7], v2, s4 src0_sel:BYTE_0 src1_sel:DWORD
	s_mov_b64 s[4:5], 0
                                        ; implicit-def: $sgpr10
	s_and_saveexec_b64 s[8:9], s[6:7]
	s_xor_b64 s[6:7], exec, s[8:9]
	s_cbranch_execnz .LBB58_4037
; %bb.1989:
	s_or_saveexec_b64 s[6:7], s[6:7]
	v_mov_b32_e32 v1, s10
	s_xor_b64 exec, exec, s[6:7]
	s_cbranch_execnz .LBB58_4040
.LBB58_1990:
	s_or_b64 exec, exec, s[6:7]
	s_and_saveexec_b64 s[6:7], s[4:5]
	s_cbranch_execz .LBB58_1992
.LBB58_1991:
	v_and_b32_e32 v1, 7, v2
	v_ffbh_u32_e32 v5, v1
	v_min_u32_e32 v5, 32, v5
	v_lshrrev_b16_e32 v4, 3, v2
	v_subrev_u32_e32 v8, 28, v5
	v_and_b32_e32 v4, 15, v4
	v_lshlrev_b32_e32 v8, v8, v2
	v_sub_u32_e32 v5, 29, v5
	v_and_b32_e32 v8, 7, v8
	v_cmp_eq_u16_e32 vcc, 0, v4
	v_cndmask_b32_e32 v1, v1, v8, vcc
	v_cndmask_b32_e32 v4, v4, v5, vcc
	v_lshlrev_b32_e32 v5, 24, v2
	v_mov_b32_e32 v8, 0x3b800000
	v_lshlrev_b32_e32 v1, 20, v1
	v_and_b32_e32 v5, 0x80000000, v5
	v_lshl_add_u32 v4, v4, 23, v8
	v_or3_b32 v1, v5, v4, v1
.LBB58_1992:
	s_or_b64 exec, exec, s[6:7]
	s_nop 0
	v_mfma_f32_16x16x4f32 a[0:3], v0, v1, a[0:3]
	v_lshrrev_b32_e32 v1, 8, v6
	s_movk_i32 s4, 0x7f
	v_cmp_gt_i16_sdwa s[6:7], v1, s4 src0_sel:BYTE_0 src1_sel:DWORD
	s_mov_b64 s[4:5], 0
                                        ; implicit-def: $sgpr10
	s_and_saveexec_b64 s[8:9], s[6:7]
	s_xor_b64 s[6:7], exec, s[8:9]
	s_cbranch_execnz .LBB58_4041
; %bb.1993:
	s_or_saveexec_b64 s[6:7], s[6:7]
	v_mov_b32_e32 v0, s10
	s_xor_b64 exec, exec, s[6:7]
	s_cbranch_execnz .LBB58_4044
.LBB58_1994:
	s_or_b64 exec, exec, s[6:7]
	s_and_saveexec_b64 s[6:7], s[4:5]
	s_cbranch_execz .LBB58_1996
.LBB58_1995:
	v_bfe_u32 v0, v6, 8, 3
	v_ffbh_u32_e32 v5, v0
	v_min_u32_e32 v5, 32, v5
	v_lshrrev_b16_e32 v4, 3, v1
	v_subrev_u32_e32 v8, 28, v5
	v_and_b32_e32 v4, 15, v4
	v_lshlrev_b32_e32 v1, v8, v1
	v_sub_u32_e32 v5, 29, v5
	v_and_b32_e32 v1, 7, v1
	v_cmp_eq_u16_e32 vcc, 0, v4
	v_cndmask_b32_e32 v0, v0, v1, vcc
	v_cndmask_b32_e32 v1, v4, v5, vcc
	v_lshlrev_b32_e32 v4, 16, v6
	v_mov_b32_e32 v5, 0x3b800000
	v_lshlrev_b32_e32 v0, 20, v0
	v_and_b32_e32 v4, 0x80000000, v4
	v_lshl_add_u32 v1, v1, 23, v5
	v_or3_b32 v0, v4, v1, v0
.LBB58_1996:
	s_or_b64 exec, exec, s[6:7]
	v_lshrrev_b32_e32 v1, 8, v2
	s_movk_i32 s4, 0x7f
	v_cmp_gt_i16_sdwa s[6:7], v1, s4 src0_sel:BYTE_0 src1_sel:DWORD
	s_mov_b64 s[4:5], 0
                                        ; implicit-def: $sgpr10
	s_and_saveexec_b64 s[8:9], s[6:7]
	s_xor_b64 s[6:7], exec, s[8:9]
	s_cbranch_execnz .LBB58_4045
; %bb.1997:
	s_or_saveexec_b64 s[6:7], s[6:7]
	v_mov_b32_e32 v4, s10
	s_xor_b64 exec, exec, s[6:7]
	s_cbranch_execnz .LBB58_4048
.LBB58_1998:
	s_or_b64 exec, exec, s[6:7]
	s_and_saveexec_b64 s[6:7], s[4:5]
	s_cbranch_execz .LBB58_2000
.LBB58_1999:
	v_bfe_u32 v4, v2, 8, 3
	v_ffbh_u32_e32 v8, v4
	v_min_u32_e32 v8, 32, v8
	v_lshrrev_b16_e32 v5, 3, v1
	v_subrev_u32_e32 v9, 28, v8
	v_and_b32_e32 v5, 15, v5
	v_lshlrev_b32_e32 v1, v9, v1
	v_sub_u32_e32 v8, 29, v8
	v_and_b32_e32 v1, 7, v1
	v_cmp_eq_u16_e32 vcc, 0, v5
	v_cndmask_b32_e32 v1, v4, v1, vcc
	v_cndmask_b32_e32 v4, v5, v8, vcc
	v_lshlrev_b32_e32 v5, 16, v2
	v_mov_b32_e32 v8, 0x3b800000
	v_lshlrev_b32_e32 v1, 20, v1
	v_and_b32_e32 v5, 0x80000000, v5
	v_lshl_add_u32 v4, v4, 23, v8
	v_or3_b32 v4, v5, v4, v1
.LBB58_2000:
	s_or_b64 exec, exec, s[6:7]
	s_nop 0
	v_mfma_f32_16x16x4f32 a[0:3], v0, v4, a[0:3]
	s_movk_i32 s4, 0xff
	v_and_b32_sdwa v1, v6, s4 dst_sel:DWORD dst_unused:UNUSED_PAD src0_sel:WORD_1 src1_sel:DWORD
	s_movk_i32 s4, 0x7f
	v_cmp_lt_i16_e32 vcc, s4, v1
	s_mov_b64 s[4:5], 0
                                        ; implicit-def: $sgpr10
	s_and_saveexec_b64 s[6:7], vcc
	s_xor_b64 s[6:7], exec, s[6:7]
	s_cbranch_execnz .LBB58_4049
; %bb.2001:
	s_or_saveexec_b64 s[6:7], s[6:7]
	v_mov_b32_e32 v0, s10
	s_xor_b64 exec, exec, s[6:7]
	s_cbranch_execnz .LBB58_4052
.LBB58_2002:
	s_or_b64 exec, exec, s[6:7]
	s_and_saveexec_b64 s[6:7], s[4:5]
	s_cbranch_execz .LBB58_2004
.LBB58_2003:
	v_bfe_u32 v0, v6, 16, 3
	v_ffbh_u32_e32 v5, v0
	v_min_u32_e32 v5, 32, v5
	v_lshrrev_b32_e32 v1, 19, v6
	v_subrev_u32_e32 v8, 28, v5
	v_and_b32_e32 v1, 15, v1
	v_lshlrev_b32_sdwa v8, v8, v6 dst_sel:DWORD dst_unused:UNUSED_PAD src0_sel:DWORD src1_sel:WORD_1
	v_bfe_u32 v4, v6, 19, 4
	v_sub_u32_e32 v5, 29, v5
	v_and_b32_e32 v8, 7, v8
	v_cmp_eq_u16_e32 vcc, 0, v1
	v_cndmask_b32_e32 v0, v0, v8, vcc
	v_cndmask_b32_e32 v1, v4, v5, vcc
	v_lshlrev_b32_e32 v4, 8, v6
	v_mov_b32_e32 v5, 0x3b800000
	v_lshlrev_b32_e32 v0, 20, v0
	v_and_b32_e32 v4, 0x80000000, v4
	v_lshl_add_u32 v1, v1, 23, v5
	v_or3_b32 v0, v4, v1, v0
.LBB58_2004:
	s_or_b64 exec, exec, s[6:7]
	s_movk_i32 s4, 0xff
	v_and_b32_sdwa v1, v2, s4 dst_sel:DWORD dst_unused:UNUSED_PAD src0_sel:WORD_1 src1_sel:DWORD
	s_movk_i32 s4, 0x7f
	v_cmp_lt_i16_e32 vcc, s4, v1
	s_mov_b64 s[4:5], 0
                                        ; implicit-def: $sgpr10
	s_and_saveexec_b64 s[6:7], vcc
	s_xor_b64 s[6:7], exec, s[6:7]
	s_cbranch_execnz .LBB58_4053
; %bb.2005:
	s_or_saveexec_b64 s[6:7], s[6:7]
	v_mov_b32_e32 v4, s10
	s_xor_b64 exec, exec, s[6:7]
	s_cbranch_execnz .LBB58_4056
.LBB58_2006:
	s_or_b64 exec, exec, s[6:7]
	s_and_saveexec_b64 s[6:7], s[4:5]
	s_cbranch_execz .LBB58_2008
.LBB58_2007:
	v_bfe_u32 v1, v2, 16, 3
	v_ffbh_u32_e32 v8, v1
	v_min_u32_e32 v8, 32, v8
	v_lshrrev_b32_e32 v4, 19, v2
	v_subrev_u32_e32 v9, 28, v8
	v_and_b32_e32 v4, 15, v4
	v_lshlrev_b32_sdwa v9, v9, v2 dst_sel:DWORD dst_unused:UNUSED_PAD src0_sel:DWORD src1_sel:WORD_1
	v_bfe_u32 v5, v2, 19, 4
	v_sub_u32_e32 v8, 29, v8
	v_and_b32_e32 v9, 7, v9
	v_cmp_eq_u16_e32 vcc, 0, v4
	v_cndmask_b32_e32 v1, v1, v9, vcc
	v_cndmask_b32_e32 v4, v5, v8, vcc
	v_lshlrev_b32_e32 v5, 8, v2
	v_mov_b32_e32 v8, 0x3b800000
	v_lshlrev_b32_e32 v1, 20, v1
	v_and_b32_e32 v5, 0x80000000, v5
	v_lshl_add_u32 v4, v4, 23, v8
	v_or3_b32 v4, v5, v4, v1
.LBB58_2008:
	s_or_b64 exec, exec, s[6:7]
	s_nop 0
	v_mfma_f32_16x16x4f32 a[0:3], v0, v4, a[0:3]
	s_movk_i32 s4, 0x7f
	v_cmp_gt_i16_sdwa s[6:7], v6, s4 src0_sel:BYTE_3 src1_sel:DWORD
	s_mov_b64 s[4:5], 0
                                        ; implicit-def: $sgpr10
	s_and_saveexec_b64 s[8:9], s[6:7]
	s_xor_b64 s[6:7], exec, s[8:9]
	s_cbranch_execnz .LBB58_4057
; %bb.2009:
	s_or_saveexec_b64 s[6:7], s[6:7]
	v_mov_b32_e32 v0, s10
	s_xor_b64 exec, exec, s[6:7]
	s_cbranch_execnz .LBB58_4060
.LBB58_2010:
	s_or_b64 exec, exec, s[6:7]
	s_and_saveexec_b64 s[6:7], s[4:5]
	s_cbranch_execz .LBB58_2012
.LBB58_2011:
	v_bfe_u32 v0, v6, 24, 3
	v_ffbh_u32_e32 v8, v0
	v_min_u32_e32 v8, 32, v8
	v_lshrrev_b32_e32 v4, 27, v6
	v_subrev_u32_e32 v9, 28, v8
	v_and_b32_e32 v1, 0x80000000, v6
	v_and_b32_e32 v4, 15, v4
	v_bfe_u32 v5, v6, 27, 4
	v_lshlrev_b32_sdwa v6, v9, v6 dst_sel:DWORD dst_unused:UNUSED_PAD src0_sel:DWORD src1_sel:BYTE_3
	v_sub_u32_e32 v8, 29, v8
	v_and_b32_e32 v6, 7, v6
	v_cmp_eq_u16_e32 vcc, 0, v4
	v_cndmask_b32_e32 v0, v0, v6, vcc
	v_cndmask_b32_e32 v4, v5, v8, vcc
	v_mov_b32_e32 v5, 0x3b800000
	v_lshlrev_b32_e32 v0, 20, v0
	v_lshl_add_u32 v4, v4, 23, v5
	v_or3_b32 v0, v1, v4, v0
.LBB58_2012:
	s_or_b64 exec, exec, s[6:7]
	s_movk_i32 s4, 0x7f
	v_cmp_gt_i16_sdwa s[6:7], v2, s4 src0_sel:BYTE_3 src1_sel:DWORD
	s_mov_b64 s[4:5], 0
                                        ; implicit-def: $sgpr10
	s_and_saveexec_b64 s[8:9], s[6:7]
	s_xor_b64 s[6:7], exec, s[8:9]
	s_cbranch_execnz .LBB58_4061
; %bb.2013:
	s_or_saveexec_b64 s[6:7], s[6:7]
	v_mov_b32_e32 v1, s10
	s_xor_b64 exec, exec, s[6:7]
	s_cbranch_execnz .LBB58_4064
.LBB58_2014:
	s_or_b64 exec, exec, s[6:7]
	s_and_saveexec_b64 s[6:7], s[4:5]
	s_cbranch_execz .LBB58_2016
.LBB58_2015:
	v_bfe_u32 v1, v2, 24, 3
	v_ffbh_u32_e32 v8, v1
	v_min_u32_e32 v8, 32, v8
	v_lshrrev_b32_e32 v5, 27, v2
	v_subrev_u32_e32 v9, 28, v8
	v_and_b32_e32 v4, 0x80000000, v2
	v_and_b32_e32 v5, 15, v5
	v_bfe_u32 v6, v2, 27, 4
	v_lshlrev_b32_sdwa v2, v9, v2 dst_sel:DWORD dst_unused:UNUSED_PAD src0_sel:DWORD src1_sel:BYTE_3
	v_sub_u32_e32 v8, 29, v8
	v_and_b32_e32 v2, 7, v2
	v_cmp_eq_u16_e32 vcc, 0, v5
	v_cndmask_b32_e32 v1, v1, v2, vcc
	v_cndmask_b32_e32 v2, v6, v8, vcc
	v_mov_b32_e32 v5, 0x3b800000
	v_lshlrev_b32_e32 v1, 20, v1
	v_lshl_add_u32 v2, v2, 23, v5
	v_or3_b32 v1, v4, v2, v1
.LBB58_2016:
	s_or_b64 exec, exec, s[6:7]
	s_nop 0
	v_mfma_f32_16x16x4f32 a[0:3], v0, v1, a[0:3]
	s_movk_i32 s4, 0x7f
	v_cmp_gt_i16_sdwa s[6:7], v7, s4 src0_sel:BYTE_0 src1_sel:DWORD
	s_mov_b64 s[4:5], 0
                                        ; implicit-def: $sgpr10
	s_and_saveexec_b64 s[8:9], s[6:7]
	s_xor_b64 s[6:7], exec, s[8:9]
	s_cbranch_execnz .LBB58_4065
; %bb.2017:
	s_or_saveexec_b64 s[6:7], s[6:7]
	v_mov_b32_e32 v0, s10
	s_xor_b64 exec, exec, s[6:7]
	s_cbranch_execnz .LBB58_4068
.LBB58_2018:
	s_or_b64 exec, exec, s[6:7]
	s_and_saveexec_b64 s[6:7], s[4:5]
	s_cbranch_execz .LBB58_2020
.LBB58_2019:
	v_mov_b32_e32 v0, 8
	v_and_b32_e32 v1, 7, v7
	v_lshrrev_b32_sdwa v0, v0, v7 dst_sel:BYTE_1 dst_unused:UNUSED_PAD src0_sel:DWORD src1_sel:DWORD
	v_ffbh_u32_e32 v2, v1
	v_or_b32_sdwa v0, v7, v0 dst_sel:DWORD dst_unused:UNUSED_PAD src0_sel:BYTE_0 src1_sel:DWORD
	v_min_u32_e32 v2, 32, v2
	v_lshrrev_b16_e32 v0, 3, v0
	v_subrev_u32_e32 v4, 28, v2
	v_and_b32_e32 v0, 15, v0
	v_lshlrev_b32_e32 v4, v4, v7
	v_sub_u32_e32 v2, 29, v2
	v_and_b32_e32 v4, 7, v4
	v_cmp_eq_u16_e32 vcc, 0, v0
	v_cndmask_b32_e32 v1, v1, v4, vcc
	v_cndmask_b32_e32 v0, v0, v2, vcc
	v_lshlrev_b32_e32 v2, 24, v7
	v_mov_b32_e32 v4, 0x3b800000
	v_lshlrev_b32_e32 v1, 20, v1
	v_and_b32_e32 v2, 0x80000000, v2
	v_lshl_add_u32 v0, v0, 23, v4
	v_or3_b32 v0, v2, v0, v1
.LBB58_2020:
	s_or_b64 exec, exec, s[6:7]
	s_movk_i32 s4, 0x7f
	v_cmp_gt_i16_sdwa s[6:7], v3, s4 src0_sel:BYTE_0 src1_sel:DWORD
	s_mov_b64 s[4:5], 0
                                        ; implicit-def: $sgpr10
	s_and_saveexec_b64 s[8:9], s[6:7]
	s_xor_b64 s[6:7], exec, s[8:9]
	s_cbranch_execnz .LBB58_4069
; %bb.2021:
	s_or_saveexec_b64 s[6:7], s[6:7]
	v_mov_b32_e32 v1, s10
	s_xor_b64 exec, exec, s[6:7]
	s_cbranch_execnz .LBB58_4072
.LBB58_2022:
	s_or_b64 exec, exec, s[6:7]
	s_and_saveexec_b64 s[6:7], s[4:5]
	s_cbranch_execz .LBB58_2024
.LBB58_2023:
	v_mov_b32_e32 v1, 8
	v_and_b32_e32 v2, 7, v3
	v_lshrrev_b32_sdwa v1, v1, v3 dst_sel:BYTE_1 dst_unused:UNUSED_PAD src0_sel:DWORD src1_sel:DWORD
	v_ffbh_u32_e32 v4, v2
	v_or_b32_sdwa v1, v3, v1 dst_sel:DWORD dst_unused:UNUSED_PAD src0_sel:BYTE_0 src1_sel:DWORD
	v_min_u32_e32 v4, 32, v4
	v_lshrrev_b16_e32 v1, 3, v1
	v_subrev_u32_e32 v5, 28, v4
	v_and_b32_e32 v1, 15, v1
	v_lshlrev_b32_e32 v5, v5, v3
	v_sub_u32_e32 v4, 29, v4
	v_and_b32_e32 v5, 7, v5
	v_cmp_eq_u16_e32 vcc, 0, v1
	v_cndmask_b32_e32 v2, v2, v5, vcc
	v_cndmask_b32_e32 v1, v1, v4, vcc
	v_lshlrev_b32_e32 v4, 24, v3
	v_mov_b32_e32 v5, 0x3b800000
	v_lshlrev_b32_e32 v2, 20, v2
	v_and_b32_e32 v4, 0x80000000, v4
	v_lshl_add_u32 v1, v1, 23, v5
	v_or3_b32 v1, v4, v1, v2
.LBB58_2024:
	s_or_b64 exec, exec, s[6:7]
	s_nop 0
	v_mfma_f32_16x16x4f32 a[0:3], v0, v1, a[0:3]
	v_lshrrev_b32_e32 v1, 8, v7
	s_movk_i32 s4, 0x7f
	v_cmp_gt_i16_sdwa s[6:7], v1, s4 src0_sel:BYTE_0 src1_sel:DWORD
	s_mov_b64 s[4:5], 0
                                        ; implicit-def: $sgpr10
	s_and_saveexec_b64 s[8:9], s[6:7]
	s_xor_b64 s[6:7], exec, s[8:9]
	s_cbranch_execnz .LBB58_4073
; %bb.2025:
	s_or_saveexec_b64 s[6:7], s[6:7]
	v_mov_b32_e32 v0, s10
	s_xor_b64 exec, exec, s[6:7]
	s_cbranch_execnz .LBB58_4076
.LBB58_2026:
	s_or_b64 exec, exec, s[6:7]
	s_and_saveexec_b64 s[6:7], s[4:5]
	s_cbranch_execz .LBB58_2028
.LBB58_2027:
	v_bfe_u32 v0, v7, 8, 3
	v_ffbh_u32_e32 v4, v0
	v_min_u32_e32 v4, 32, v4
	v_lshrrev_b16_e32 v2, 3, v1
	v_subrev_u32_e32 v5, 28, v4
	v_and_b32_e32 v2, 15, v2
	v_lshlrev_b32_e32 v1, v5, v1
	v_sub_u32_e32 v4, 29, v4
	v_and_b32_e32 v1, 7, v1
	v_cmp_eq_u16_e32 vcc, 0, v2
	v_cndmask_b32_e32 v0, v0, v1, vcc
	v_cndmask_b32_e32 v1, v2, v4, vcc
	v_lshlrev_b32_e32 v2, 16, v7
	v_mov_b32_e32 v4, 0x3b800000
	v_lshlrev_b32_e32 v0, 20, v0
	v_and_b32_e32 v2, 0x80000000, v2
	v_lshl_add_u32 v1, v1, 23, v4
	v_or3_b32 v0, v2, v1, v0
.LBB58_2028:
	s_or_b64 exec, exec, s[6:7]
	v_lshrrev_b32_e32 v1, 8, v3
	s_movk_i32 s4, 0x7f
	v_cmp_gt_i16_sdwa s[6:7], v1, s4 src0_sel:BYTE_0 src1_sel:DWORD
	s_mov_b64 s[4:5], 0
                                        ; implicit-def: $sgpr10
	s_and_saveexec_b64 s[8:9], s[6:7]
	s_xor_b64 s[6:7], exec, s[8:9]
	s_cbranch_execnz .LBB58_4077
; %bb.2029:
	s_or_saveexec_b64 s[6:7], s[6:7]
	v_mov_b32_e32 v2, s10
	s_xor_b64 exec, exec, s[6:7]
	s_cbranch_execnz .LBB58_4080
.LBB58_2030:
	s_or_b64 exec, exec, s[6:7]
	s_and_saveexec_b64 s[6:7], s[4:5]
	s_cbranch_execz .LBB58_2032
.LBB58_2031:
	v_bfe_u32 v2, v3, 8, 3
	v_ffbh_u32_e32 v5, v2
	v_min_u32_e32 v5, 32, v5
	v_lshrrev_b16_e32 v4, 3, v1
	v_subrev_u32_e32 v6, 28, v5
	v_and_b32_e32 v4, 15, v4
	v_lshlrev_b32_e32 v1, v6, v1
	v_sub_u32_e32 v5, 29, v5
	v_and_b32_e32 v1, 7, v1
	v_cmp_eq_u16_e32 vcc, 0, v4
	v_cndmask_b32_e32 v1, v2, v1, vcc
	v_cndmask_b32_e32 v2, v4, v5, vcc
	v_lshlrev_b32_e32 v4, 16, v3
	v_mov_b32_e32 v5, 0x3b800000
	v_lshlrev_b32_e32 v1, 20, v1
	v_and_b32_e32 v4, 0x80000000, v4
	v_lshl_add_u32 v2, v2, 23, v5
	v_or3_b32 v2, v4, v2, v1
.LBB58_2032:
	s_or_b64 exec, exec, s[6:7]
	s_nop 0
	v_mfma_f32_16x16x4f32 a[0:3], v0, v2, a[0:3]
	s_movk_i32 s4, 0xff
	v_and_b32_sdwa v1, v7, s4 dst_sel:DWORD dst_unused:UNUSED_PAD src0_sel:WORD_1 src1_sel:DWORD
	s_movk_i32 s4, 0x7f
	v_cmp_lt_i16_e32 vcc, s4, v1
	s_mov_b64 s[4:5], 0
                                        ; implicit-def: $sgpr10
	s_and_saveexec_b64 s[6:7], vcc
	s_xor_b64 s[6:7], exec, s[6:7]
	s_cbranch_execnz .LBB58_4081
; %bb.2033:
	s_or_saveexec_b64 s[6:7], s[6:7]
	v_mov_b32_e32 v0, s10
	s_xor_b64 exec, exec, s[6:7]
	s_cbranch_execnz .LBB58_4084
.LBB58_2034:
	s_or_b64 exec, exec, s[6:7]
	s_and_saveexec_b64 s[6:7], s[4:5]
	s_cbranch_execz .LBB58_2036
.LBB58_2035:
	v_bfe_u32 v0, v7, 16, 3
	v_ffbh_u32_e32 v4, v0
	v_min_u32_e32 v4, 32, v4
	v_lshrrev_b32_e32 v1, 19, v7
	v_subrev_u32_e32 v5, 28, v4
	v_and_b32_e32 v1, 15, v1
	v_lshlrev_b32_sdwa v5, v5, v7 dst_sel:DWORD dst_unused:UNUSED_PAD src0_sel:DWORD src1_sel:WORD_1
	v_bfe_u32 v2, v7, 19, 4
	v_sub_u32_e32 v4, 29, v4
	v_and_b32_e32 v5, 7, v5
	v_cmp_eq_u16_e32 vcc, 0, v1
	v_cndmask_b32_e32 v0, v0, v5, vcc
	v_cndmask_b32_e32 v1, v2, v4, vcc
	v_lshlrev_b32_e32 v2, 8, v7
	v_mov_b32_e32 v4, 0x3b800000
	v_lshlrev_b32_e32 v0, 20, v0
	v_and_b32_e32 v2, 0x80000000, v2
	v_lshl_add_u32 v1, v1, 23, v4
	v_or3_b32 v0, v2, v1, v0
.LBB58_2036:
	s_or_b64 exec, exec, s[6:7]
	s_movk_i32 s4, 0xff
	v_and_b32_sdwa v1, v3, s4 dst_sel:DWORD dst_unused:UNUSED_PAD src0_sel:WORD_1 src1_sel:DWORD
	s_movk_i32 s4, 0x7f
	v_cmp_lt_i16_e32 vcc, s4, v1
	s_mov_b64 s[4:5], 0
                                        ; implicit-def: $sgpr10
	s_and_saveexec_b64 s[6:7], vcc
	s_xor_b64 s[6:7], exec, s[6:7]
	s_cbranch_execnz .LBB58_4085
; %bb.2037:
	s_or_saveexec_b64 s[6:7], s[6:7]
	v_mov_b32_e32 v2, s10
	s_xor_b64 exec, exec, s[6:7]
	s_cbranch_execnz .LBB58_4088
.LBB58_2038:
	s_or_b64 exec, exec, s[6:7]
	s_and_saveexec_b64 s[6:7], s[4:5]
	s_cbranch_execz .LBB58_2040
.LBB58_2039:
	v_bfe_u32 v1, v3, 16, 3
	v_ffbh_u32_e32 v5, v1
	v_min_u32_e32 v5, 32, v5
	v_lshrrev_b32_e32 v2, 19, v3
	v_subrev_u32_e32 v6, 28, v5
	v_and_b32_e32 v2, 15, v2
	v_lshlrev_b32_sdwa v6, v6, v3 dst_sel:DWORD dst_unused:UNUSED_PAD src0_sel:DWORD src1_sel:WORD_1
	v_bfe_u32 v4, v3, 19, 4
	v_sub_u32_e32 v5, 29, v5
	v_and_b32_e32 v6, 7, v6
	v_cmp_eq_u16_e32 vcc, 0, v2
	v_cndmask_b32_e32 v1, v1, v6, vcc
	v_cndmask_b32_e32 v2, v4, v5, vcc
	v_lshlrev_b32_e32 v4, 8, v3
	v_mov_b32_e32 v5, 0x3b800000
	v_lshlrev_b32_e32 v1, 20, v1
	v_and_b32_e32 v4, 0x80000000, v4
	v_lshl_add_u32 v2, v2, 23, v5
	v_or3_b32 v2, v4, v2, v1
.LBB58_2040:
	s_or_b64 exec, exec, s[6:7]
	s_nop 0
	v_mfma_f32_16x16x4f32 a[0:3], v0, v2, a[0:3]
	s_movk_i32 s4, 0x7f
	v_cmp_gt_i16_sdwa s[6:7], v7, s4 src0_sel:BYTE_3 src1_sel:DWORD
	s_mov_b64 s[4:5], 0
                                        ; implicit-def: $sgpr10
	s_and_saveexec_b64 s[8:9], s[6:7]
	s_xor_b64 s[6:7], exec, s[8:9]
	s_cbranch_execnz .LBB58_4089
; %bb.2041:
	s_or_saveexec_b64 s[6:7], s[6:7]
	v_mov_b32_e32 v0, s10
	s_xor_b64 exec, exec, s[6:7]
	s_cbranch_execnz .LBB58_4092
.LBB58_2042:
	s_or_b64 exec, exec, s[6:7]
	s_and_saveexec_b64 s[6:7], s[4:5]
	s_cbranch_execz .LBB58_2044
.LBB58_2043:
	v_bfe_u32 v0, v7, 24, 3
	v_ffbh_u32_e32 v5, v0
	v_min_u32_e32 v5, 32, v5
	v_lshrrev_b32_e32 v2, 27, v7
	v_subrev_u32_e32 v6, 28, v5
	v_and_b32_e32 v2, 15, v2
	v_lshlrev_b32_sdwa v6, v6, v7 dst_sel:DWORD dst_unused:UNUSED_PAD src0_sel:DWORD src1_sel:BYTE_3
	v_bfe_u32 v4, v7, 27, 4
	v_sub_u32_e32 v5, 29, v5
	v_and_b32_e32 v6, 7, v6
	v_cmp_eq_u16_e32 vcc, 0, v2
	v_cndmask_b32_e32 v0, v0, v6, vcc
	v_cndmask_b32_e32 v2, v4, v5, vcc
	v_mov_b32_e32 v4, 0x3b800000
	v_and_b32_e32 v1, 0x80000000, v7
	v_lshlrev_b32_e32 v0, 20, v0
	v_lshl_add_u32 v2, v2, 23, v4
	v_or3_b32 v0, v1, v2, v0
.LBB58_2044:
	s_or_b64 exec, exec, s[6:7]
	s_movk_i32 s4, 0x7f
	v_cmp_gt_i16_sdwa s[6:7], v3, s4 src0_sel:BYTE_3 src1_sel:DWORD
	s_mov_b64 s[4:5], 0
                                        ; implicit-def: $sgpr10
	s_and_saveexec_b64 s[8:9], s[6:7]
	s_xor_b64 s[6:7], exec, s[8:9]
	s_cbranch_execnz .LBB58_4093
; %bb.2045:
	s_or_saveexec_b64 s[6:7], s[6:7]
	v_mov_b32_e32 v1, s10
	s_xor_b64 exec, exec, s[6:7]
	s_cbranch_execnz .LBB58_4096
.LBB58_2046:
	s_or_b64 exec, exec, s[6:7]
	s_and_saveexec_b64 s[6:7], s[4:5]
	s_cbranch_execz .LBB58_2048
.LBB58_2047:
	v_bfe_u32 v1, v3, 24, 3
	v_ffbh_u32_e32 v6, v1
	v_min_u32_e32 v6, 32, v6
	v_lshrrev_b32_e32 v4, 27, v3
	v_subrev_u32_e32 v7, 28, v6
	v_and_b32_e32 v2, 0x80000000, v3
	v_and_b32_e32 v4, 15, v4
	v_bfe_u32 v5, v3, 27, 4
	v_lshlrev_b32_sdwa v3, v7, v3 dst_sel:DWORD dst_unused:UNUSED_PAD src0_sel:DWORD src1_sel:BYTE_3
	v_sub_u32_e32 v6, 29, v6
	v_and_b32_e32 v3, 7, v3
	v_cmp_eq_u16_e32 vcc, 0, v4
	v_cndmask_b32_e32 v1, v1, v3, vcc
	v_cndmask_b32_e32 v3, v5, v6, vcc
	v_mov_b32_e32 v4, 0x3b800000
	v_lshlrev_b32_e32 v1, 20, v1
	v_lshl_add_u32 v3, v3, 23, v4
	v_or3_b32 v1, v2, v3, v1
.LBB58_2048:
	s_or_b64 exec, exec, s[6:7]
	s_nop 0
	v_mfma_f32_16x16x4f32 a[0:3], v0, v1, a[0:3]
	s_nop 7
	s_nop 2
	flat_store_dwordx4 v[16:17], a[0:3] offset:880
	s_waitcnt vmcnt(0) lgkmcnt(0)
	s_setpc_b64 s[30:31]
.LBB58_2049:
	s_movk_i32 s4, 0x80
	v_cmp_eq_u16_sdwa s[12:13], v14, s4 src0_sel:BYTE_0 src1_sel:DWORD
	s_mov_b64 s[4:5], -1
                                        ; implicit-def: $sgpr10
	s_and_saveexec_b64 s[8:9], s[12:13]
; %bb.2050:
	s_mov_b32 s10, 0x7f800001
	s_xor_b64 s[4:5], exec, -1
; %bb.2051:
	s_or_b64 exec, exec, s[8:9]
	s_and_b64 s[4:5], s[4:5], exec
	s_or_saveexec_b64 s[6:7], s[6:7]
	v_mov_b32_e32 v20, s10
	s_xor_b64 exec, exec, s[6:7]
	s_cbranch_execz .LBB58_2
.LBB58_2052:
	v_mov_b32_e32 v20, 0
	v_cmp_ne_u16_sdwa s[8:9], v14, v20 src0_sel:BYTE_0 src1_sel:DWORD
	s_andn2_b64 s[4:5], s[4:5], exec
	s_and_b64 s[8:9], s[8:9], exec
	s_or_b64 s[4:5], s[4:5], s[8:9]
	s_or_b64 exec, exec, s[6:7]
	s_and_saveexec_b64 s[6:7], s[4:5]
	s_cbranch_execnz .LBB58_3
	s_branch .LBB58_4
.LBB58_2053:
	s_movk_i32 s4, 0x80
	v_cmp_eq_u16_sdwa s[12:13], v10, s4 src0_sel:BYTE_0 src1_sel:DWORD
	s_mov_b64 s[4:5], -1
                                        ; implicit-def: $sgpr10
	s_and_saveexec_b64 s[8:9], s[12:13]
; %bb.2054:
	s_mov_b32 s10, 0x7f800001
	s_xor_b64 s[4:5], exec, -1
; %bb.2055:
	s_or_b64 exec, exec, s[8:9]
	s_and_b64 s[4:5], s[4:5], exec
	s_or_saveexec_b64 s[6:7], s[6:7]
	v_mov_b32_e32 v21, s10
	s_xor_b64 exec, exec, s[6:7]
	s_cbranch_execz .LBB58_6
.LBB58_2056:
	v_mov_b32_e32 v21, 0
	v_cmp_ne_u16_sdwa s[8:9], v10, v21 src0_sel:BYTE_0 src1_sel:DWORD
	s_andn2_b64 s[4:5], s[4:5], exec
	s_and_b64 s[8:9], s[8:9], exec
	s_or_b64 s[4:5], s[4:5], s[8:9]
	s_or_b64 exec, exec, s[6:7]
	s_and_saveexec_b64 s[6:7], s[4:5]
	s_cbranch_execnz .LBB58_7
	s_branch .LBB58_8
.LBB58_2057:
	s_movk_i32 s4, 0x80
	v_cmp_eq_u16_sdwa s[12:13], v21, s4 src0_sel:BYTE_0 src1_sel:DWORD
	s_mov_b64 s[4:5], -1
                                        ; implicit-def: $sgpr10
	s_and_saveexec_b64 s[8:9], s[12:13]
; %bb.2058:
	s_mov_b32 s10, 0x7f800001
	s_xor_b64 s[4:5], exec, -1
; %bb.2059:
	s_or_b64 exec, exec, s[8:9]
	s_and_b64 s[4:5], s[4:5], exec
	s_or_saveexec_b64 s[6:7], s[6:7]
	v_mov_b32_e32 v20, s10
	s_xor_b64 exec, exec, s[6:7]
	s_cbranch_execz .LBB58_10
.LBB58_2060:
	v_mov_b32_e32 v20, 0
	v_cmp_ne_u16_sdwa s[8:9], v21, v20 src0_sel:BYTE_0 src1_sel:DWORD
	s_andn2_b64 s[4:5], s[4:5], exec
	s_and_b64 s[8:9], s[8:9], exec
	s_or_b64 s[4:5], s[4:5], s[8:9]
	s_or_b64 exec, exec, s[6:7]
	s_and_saveexec_b64 s[6:7], s[4:5]
	s_cbranch_execnz .LBB58_11
	s_branch .LBB58_12
.LBB58_2061:
	s_movk_i32 s4, 0x80
	v_cmp_eq_u16_sdwa s[12:13], v21, s4 src0_sel:BYTE_0 src1_sel:DWORD
	s_mov_b64 s[4:5], -1
                                        ; implicit-def: $sgpr10
	s_and_saveexec_b64 s[8:9], s[12:13]
; %bb.2062:
	s_mov_b32 s10, 0x7f800001
	s_xor_b64 s[4:5], exec, -1
; %bb.2063:
	s_or_b64 exec, exec, s[8:9]
	s_and_b64 s[4:5], s[4:5], exec
	s_or_saveexec_b64 s[6:7], s[6:7]
	v_mov_b32_e32 v22, s10
	s_xor_b64 exec, exec, s[6:7]
	s_cbranch_execz .LBB58_14
.LBB58_2064:
	v_mov_b32_e32 v22, 0
	v_cmp_ne_u16_sdwa s[8:9], v21, v22 src0_sel:BYTE_0 src1_sel:DWORD
	s_andn2_b64 s[4:5], s[4:5], exec
	s_and_b64 s[8:9], s[8:9], exec
	s_or_b64 s[4:5], s[4:5], s[8:9]
	s_or_b64 exec, exec, s[6:7]
	s_and_saveexec_b64 s[6:7], s[4:5]
	s_cbranch_execnz .LBB58_15
	s_branch .LBB58_16
.LBB58_2065:
	s_movk_i32 s4, 0x80
	v_cmp_eq_u16_e32 vcc, s4, v21
	s_mov_b64 s[4:5], -1
                                        ; implicit-def: $sgpr10
	s_and_saveexec_b64 s[8:9], vcc
; %bb.2066:
	s_mov_b32 s10, 0x7f800001
	s_xor_b64 s[4:5], exec, -1
; %bb.2067:
	s_or_b64 exec, exec, s[8:9]
	s_and_b64 s[4:5], s[4:5], exec
                                        ; implicit-def: $vgpr21
	s_or_saveexec_b64 s[6:7], s[6:7]
	v_mov_b32_e32 v20, s10
	s_xor_b64 exec, exec, s[6:7]
	s_cbranch_execz .LBB58_18
.LBB58_2068:
	v_cmp_ne_u16_e32 vcc, 0, v21
	s_andn2_b64 s[4:5], s[4:5], exec
	s_and_b64 s[8:9], vcc, exec
	v_mov_b32_e32 v20, 0
	s_or_b64 s[4:5], s[4:5], s[8:9]
	s_or_b64 exec, exec, s[6:7]
	s_and_saveexec_b64 s[6:7], s[4:5]
	s_cbranch_execnz .LBB58_19
	s_branch .LBB58_20
.LBB58_2069:
	s_movk_i32 s4, 0x80
	v_cmp_eq_u16_e32 vcc, s4, v21
	s_mov_b64 s[4:5], -1
                                        ; implicit-def: $sgpr10
	s_and_saveexec_b64 s[8:9], vcc
; %bb.2070:
	s_mov_b32 s10, 0x7f800001
	s_xor_b64 s[4:5], exec, -1
; %bb.2071:
	s_or_b64 exec, exec, s[8:9]
	s_and_b64 s[4:5], s[4:5], exec
                                        ; implicit-def: $vgpr21
	s_or_saveexec_b64 s[6:7], s[6:7]
	v_mov_b32_e32 v22, s10
	s_xor_b64 exec, exec, s[6:7]
	s_cbranch_execz .LBB58_22
.LBB58_2072:
	v_cmp_ne_u16_e32 vcc, 0, v21
	s_andn2_b64 s[4:5], s[4:5], exec
	s_and_b64 s[8:9], vcc, exec
	v_mov_b32_e32 v22, 0
	s_or_b64 s[4:5], s[4:5], s[8:9]
	s_or_b64 exec, exec, s[6:7]
	s_and_saveexec_b64 s[6:7], s[4:5]
	s_cbranch_execnz .LBB58_23
	s_branch .LBB58_24
.LBB58_2073:
	s_movk_i32 s4, 0x80
	v_cmp_eq_u16_sdwa s[12:13], v14, s4 src0_sel:BYTE_3 src1_sel:DWORD
	s_mov_b64 s[4:5], -1
                                        ; implicit-def: $sgpr10
	s_and_saveexec_b64 s[8:9], s[12:13]
; %bb.2074:
	s_mov_b32 s10, 0x7f800001
	s_xor_b64 s[4:5], exec, -1
; %bb.2075:
	s_or_b64 exec, exec, s[8:9]
	s_and_b64 s[4:5], s[4:5], exec
	s_or_saveexec_b64 s[6:7], s[6:7]
	v_mov_b32_e32 v20, s10
	s_xor_b64 exec, exec, s[6:7]
	s_cbranch_execz .LBB58_26
.LBB58_2076:
	v_mov_b32_e32 v20, 0
	v_cmp_ne_u16_sdwa s[8:9], v14, v20 src0_sel:BYTE_3 src1_sel:DWORD
	s_andn2_b64 s[4:5], s[4:5], exec
	s_and_b64 s[8:9], s[8:9], exec
	s_or_b64 s[4:5], s[4:5], s[8:9]
	s_or_b64 exec, exec, s[6:7]
	s_and_saveexec_b64 s[6:7], s[4:5]
	s_cbranch_execnz .LBB58_27
	s_branch .LBB58_28
.LBB58_2077:
	s_movk_i32 s4, 0x80
	v_cmp_eq_u16_sdwa s[12:13], v10, s4 src0_sel:BYTE_3 src1_sel:DWORD
	s_mov_b64 s[4:5], -1
                                        ; implicit-def: $sgpr10
	s_and_saveexec_b64 s[8:9], s[12:13]
; %bb.2078:
	s_mov_b32 s10, 0x7f800001
	s_xor_b64 s[4:5], exec, -1
; %bb.2079:
	s_or_b64 exec, exec, s[8:9]
	s_and_b64 s[4:5], s[4:5], exec
	s_or_saveexec_b64 s[6:7], s[6:7]
	v_mov_b32_e32 v14, s10
	s_xor_b64 exec, exec, s[6:7]
	s_cbranch_execz .LBB58_30
.LBB58_2080:
	v_mov_b32_e32 v14, 0
	v_cmp_ne_u16_sdwa s[8:9], v10, v14 src0_sel:BYTE_3 src1_sel:DWORD
	s_andn2_b64 s[4:5], s[4:5], exec
	s_and_b64 s[8:9], s[8:9], exec
	s_or_b64 s[4:5], s[4:5], s[8:9]
	s_or_b64 exec, exec, s[6:7]
	s_and_saveexec_b64 s[6:7], s[4:5]
	s_cbranch_execnz .LBB58_31
	s_branch .LBB58_32
.LBB58_2081:
	s_movk_i32 s4, 0x80
	v_cmp_eq_u16_sdwa s[12:13], v15, s4 src0_sel:BYTE_0 src1_sel:DWORD
	s_mov_b64 s[4:5], -1
                                        ; implicit-def: $sgpr10
	s_and_saveexec_b64 s[8:9], s[12:13]
; %bb.2082:
	s_mov_b32 s10, 0x7f800001
	s_xor_b64 s[4:5], exec, -1
; %bb.2083:
	s_or_b64 exec, exec, s[8:9]
	s_and_b64 s[4:5], s[4:5], exec
	s_or_saveexec_b64 s[6:7], s[6:7]
	v_mov_b32_e32 v10, s10
	s_xor_b64 exec, exec, s[6:7]
	s_cbranch_execz .LBB58_34
.LBB58_2084:
	v_mov_b32_e32 v10, 0
	v_cmp_ne_u16_sdwa s[8:9], v15, v10 src0_sel:BYTE_0 src1_sel:DWORD
	s_andn2_b64 s[4:5], s[4:5], exec
	s_and_b64 s[8:9], s[8:9], exec
	s_or_b64 s[4:5], s[4:5], s[8:9]
	s_or_b64 exec, exec, s[6:7]
	s_and_saveexec_b64 s[6:7], s[4:5]
	s_cbranch_execnz .LBB58_35
	s_branch .LBB58_36
.LBB58_2085:
	s_movk_i32 s4, 0x80
	v_cmp_eq_u16_sdwa s[12:13], v11, s4 src0_sel:BYTE_0 src1_sel:DWORD
	s_mov_b64 s[4:5], -1
                                        ; implicit-def: $sgpr10
	s_and_saveexec_b64 s[8:9], s[12:13]
; %bb.2086:
	s_mov_b32 s10, 0x7f800001
	s_xor_b64 s[4:5], exec, -1
; %bb.2087:
	s_or_b64 exec, exec, s[8:9]
	s_and_b64 s[4:5], s[4:5], exec
	s_or_saveexec_b64 s[6:7], s[6:7]
	v_mov_b32_e32 v14, s10
	s_xor_b64 exec, exec, s[6:7]
	s_cbranch_execz .LBB58_38
.LBB58_2088:
	v_mov_b32_e32 v14, 0
	v_cmp_ne_u16_sdwa s[8:9], v11, v14 src0_sel:BYTE_0 src1_sel:DWORD
	s_andn2_b64 s[4:5], s[4:5], exec
	s_and_b64 s[8:9], s[8:9], exec
	s_or_b64 s[4:5], s[4:5], s[8:9]
	s_or_b64 exec, exec, s[6:7]
	s_and_saveexec_b64 s[6:7], s[4:5]
	s_cbranch_execnz .LBB58_39
	s_branch .LBB58_40
.LBB58_2089:
	s_movk_i32 s4, 0x80
	v_cmp_eq_u16_sdwa s[12:13], v14, s4 src0_sel:BYTE_0 src1_sel:DWORD
	s_mov_b64 s[4:5], -1
                                        ; implicit-def: $sgpr10
	s_and_saveexec_b64 s[8:9], s[12:13]
; %bb.2090:
	s_mov_b32 s10, 0x7f800001
	s_xor_b64 s[4:5], exec, -1
; %bb.2091:
	s_or_b64 exec, exec, s[8:9]
	s_and_b64 s[4:5], s[4:5], exec
	s_or_saveexec_b64 s[6:7], s[6:7]
	v_mov_b32_e32 v10, s10
	s_xor_b64 exec, exec, s[6:7]
	s_cbranch_execz .LBB58_42
.LBB58_2092:
	v_mov_b32_e32 v10, 0
	v_cmp_ne_u16_sdwa s[8:9], v14, v10 src0_sel:BYTE_0 src1_sel:DWORD
	s_andn2_b64 s[4:5], s[4:5], exec
	s_and_b64 s[8:9], s[8:9], exec
	s_or_b64 s[4:5], s[4:5], s[8:9]
	s_or_b64 exec, exec, s[6:7]
	s_and_saveexec_b64 s[6:7], s[4:5]
	s_cbranch_execnz .LBB58_43
	s_branch .LBB58_44
.LBB58_2093:
	s_movk_i32 s4, 0x80
	v_cmp_eq_u16_sdwa s[12:13], v14, s4 src0_sel:BYTE_0 src1_sel:DWORD
	s_mov_b64 s[4:5], -1
                                        ; implicit-def: $sgpr10
	s_and_saveexec_b64 s[8:9], s[12:13]
; %bb.2094:
	s_mov_b32 s10, 0x7f800001
	s_xor_b64 s[4:5], exec, -1
; %bb.2095:
	s_or_b64 exec, exec, s[8:9]
	s_and_b64 s[4:5], s[4:5], exec
	s_or_saveexec_b64 s[6:7], s[6:7]
	v_mov_b32_e32 v20, s10
	s_xor_b64 exec, exec, s[6:7]
	s_cbranch_execz .LBB58_46
.LBB58_2096:
	v_mov_b32_e32 v20, 0
	v_cmp_ne_u16_sdwa s[8:9], v14, v20 src0_sel:BYTE_0 src1_sel:DWORD
	s_andn2_b64 s[4:5], s[4:5], exec
	s_and_b64 s[8:9], s[8:9], exec
	s_or_b64 s[4:5], s[4:5], s[8:9]
	s_or_b64 exec, exec, s[6:7]
	s_and_saveexec_b64 s[6:7], s[4:5]
	s_cbranch_execnz .LBB58_47
	s_branch .LBB58_48
.LBB58_2097:
	s_movk_i32 s4, 0x80
	v_cmp_eq_u16_e32 vcc, s4, v14
	s_mov_b64 s[4:5], -1
                                        ; implicit-def: $sgpr10
	s_and_saveexec_b64 s[8:9], vcc
; %bb.2098:
	s_mov_b32 s10, 0x7f800001
	s_xor_b64 s[4:5], exec, -1
; %bb.2099:
	s_or_b64 exec, exec, s[8:9]
	s_and_b64 s[4:5], s[4:5], exec
                                        ; implicit-def: $vgpr14
	s_or_saveexec_b64 s[6:7], s[6:7]
	v_mov_b32_e32 v10, s10
	s_xor_b64 exec, exec, s[6:7]
	s_cbranch_execz .LBB58_50
.LBB58_2100:
	v_cmp_ne_u16_e32 vcc, 0, v14
	s_andn2_b64 s[4:5], s[4:5], exec
	s_and_b64 s[8:9], vcc, exec
	v_mov_b32_e32 v10, 0
	s_or_b64 s[4:5], s[4:5], s[8:9]
	s_or_b64 exec, exec, s[6:7]
	s_and_saveexec_b64 s[6:7], s[4:5]
	s_cbranch_execnz .LBB58_51
	s_branch .LBB58_52
.LBB58_2101:
	s_movk_i32 s4, 0x80
	v_cmp_eq_u16_e32 vcc, s4, v14
	s_mov_b64 s[4:5], -1
                                        ; implicit-def: $sgpr10
	s_and_saveexec_b64 s[8:9], vcc
; %bb.2102:
	s_mov_b32 s10, 0x7f800001
	s_xor_b64 s[4:5], exec, -1
; %bb.2103:
	s_or_b64 exec, exec, s[8:9]
	s_and_b64 s[4:5], s[4:5], exec
                                        ; implicit-def: $vgpr14
	s_or_saveexec_b64 s[6:7], s[6:7]
	v_mov_b32_e32 v20, s10
	s_xor_b64 exec, exec, s[6:7]
	s_cbranch_execz .LBB58_54
.LBB58_2104:
	v_cmp_ne_u16_e32 vcc, 0, v14
	s_andn2_b64 s[4:5], s[4:5], exec
	s_and_b64 s[8:9], vcc, exec
	v_mov_b32_e32 v20, 0
	s_or_b64 s[4:5], s[4:5], s[8:9]
	s_or_b64 exec, exec, s[6:7]
	s_and_saveexec_b64 s[6:7], s[4:5]
	s_cbranch_execnz .LBB58_55
	s_branch .LBB58_56
.LBB58_2105:
	s_movk_i32 s4, 0x80
	v_cmp_eq_u16_sdwa s[12:13], v15, s4 src0_sel:BYTE_3 src1_sel:DWORD
	s_mov_b64 s[4:5], -1
                                        ; implicit-def: $sgpr10
	s_and_saveexec_b64 s[8:9], s[12:13]
; %bb.2106:
	s_mov_b32 s10, 0x7f800001
	s_xor_b64 s[4:5], exec, -1
; %bb.2107:
	s_or_b64 exec, exec, s[8:9]
	s_and_b64 s[4:5], s[4:5], exec
	s_or_saveexec_b64 s[6:7], s[6:7]
	v_mov_b32_e32 v10, s10
	s_xor_b64 exec, exec, s[6:7]
	s_cbranch_execz .LBB58_58
.LBB58_2108:
	v_mov_b32_e32 v10, 0
	v_cmp_ne_u16_sdwa s[8:9], v15, v10 src0_sel:BYTE_3 src1_sel:DWORD
	s_andn2_b64 s[4:5], s[4:5], exec
	s_and_b64 s[8:9], s[8:9], exec
	s_or_b64 s[4:5], s[4:5], s[8:9]
	s_or_b64 exec, exec, s[6:7]
	s_and_saveexec_b64 s[6:7], s[4:5]
	s_cbranch_execnz .LBB58_59
	s_branch .LBB58_60
.LBB58_2109:
	s_movk_i32 s4, 0x80
	v_cmp_eq_u16_sdwa s[12:13], v11, s4 src0_sel:BYTE_3 src1_sel:DWORD
	s_mov_b64 s[4:5], -1
                                        ; implicit-def: $sgpr10
	s_and_saveexec_b64 s[8:9], s[12:13]
; %bb.2110:
	s_mov_b32 s10, 0x7f800001
	s_xor_b64 s[4:5], exec, -1
; %bb.2111:
	s_or_b64 exec, exec, s[8:9]
	s_and_b64 s[4:5], s[4:5], exec
	s_or_saveexec_b64 s[6:7], s[6:7]
	v_mov_b32_e32 v14, s10
	s_xor_b64 exec, exec, s[6:7]
	s_cbranch_execz .LBB58_62
.LBB58_2112:
	v_mov_b32_e32 v14, 0
	v_cmp_ne_u16_sdwa s[8:9], v11, v14 src0_sel:BYTE_3 src1_sel:DWORD
	s_andn2_b64 s[4:5], s[4:5], exec
	s_and_b64 s[8:9], s[8:9], exec
	s_or_b64 s[4:5], s[4:5], s[8:9]
	s_or_b64 exec, exec, s[6:7]
	s_and_saveexec_b64 s[6:7], s[4:5]
	s_cbranch_execnz .LBB58_63
	s_branch .LBB58_64
.LBB58_2113:
	s_movk_i32 s4, 0x80
	v_cmp_eq_u16_sdwa s[12:13], v16, s4 src0_sel:BYTE_0 src1_sel:DWORD
	s_mov_b64 s[4:5], -1
                                        ; implicit-def: $sgpr10
	s_and_saveexec_b64 s[8:9], s[12:13]
; %bb.2114:
	s_mov_b32 s10, 0x7f800001
	s_xor_b64 s[4:5], exec, -1
; %bb.2115:
	s_or_b64 exec, exec, s[8:9]
	s_and_b64 s[4:5], s[4:5], exec
	s_or_saveexec_b64 s[6:7], s[6:7]
	v_mov_b32_e32 v10, s10
	s_xor_b64 exec, exec, s[6:7]
	s_cbranch_execz .LBB58_66
.LBB58_2116:
	v_mov_b32_e32 v10, 0
	v_cmp_ne_u16_sdwa s[8:9], v16, v10 src0_sel:BYTE_0 src1_sel:DWORD
	s_andn2_b64 s[4:5], s[4:5], exec
	s_and_b64 s[8:9], s[8:9], exec
	s_or_b64 s[4:5], s[4:5], s[8:9]
	s_or_b64 exec, exec, s[6:7]
	s_and_saveexec_b64 s[6:7], s[4:5]
	s_cbranch_execnz .LBB58_67
	s_branch .LBB58_68
.LBB58_2117:
	s_movk_i32 s4, 0x80
	v_cmp_eq_u16_sdwa s[12:13], v12, s4 src0_sel:BYTE_0 src1_sel:DWORD
	s_mov_b64 s[4:5], -1
                                        ; implicit-def: $sgpr10
	s_and_saveexec_b64 s[8:9], s[12:13]
; %bb.2118:
	s_mov_b32 s10, 0x7f800001
	s_xor_b64 s[4:5], exec, -1
; %bb.2119:
	s_or_b64 exec, exec, s[8:9]
	s_and_b64 s[4:5], s[4:5], exec
	s_or_saveexec_b64 s[6:7], s[6:7]
	v_mov_b32_e32 v11, s10
	s_xor_b64 exec, exec, s[6:7]
	s_cbranch_execz .LBB58_70
.LBB58_2120:
	v_mov_b32_e32 v11, 0
	v_cmp_ne_u16_sdwa s[8:9], v12, v11 src0_sel:BYTE_0 src1_sel:DWORD
	s_andn2_b64 s[4:5], s[4:5], exec
	s_and_b64 s[8:9], s[8:9], exec
	s_or_b64 s[4:5], s[4:5], s[8:9]
	s_or_b64 exec, exec, s[6:7]
	s_and_saveexec_b64 s[6:7], s[4:5]
	s_cbranch_execnz .LBB58_71
	s_branch .LBB58_72
.LBB58_2121:
	s_movk_i32 s4, 0x80
	v_cmp_eq_u16_sdwa s[12:13], v11, s4 src0_sel:BYTE_0 src1_sel:DWORD
	s_mov_b64 s[4:5], -1
                                        ; implicit-def: $sgpr10
	s_and_saveexec_b64 s[8:9], s[12:13]
; %bb.2122:
	s_mov_b32 s10, 0x7f800001
	s_xor_b64 s[4:5], exec, -1
; %bb.2123:
	s_or_b64 exec, exec, s[8:9]
	s_and_b64 s[4:5], s[4:5], exec
	s_or_saveexec_b64 s[6:7], s[6:7]
	v_mov_b32_e32 v10, s10
	s_xor_b64 exec, exec, s[6:7]
	s_cbranch_execz .LBB58_74
.LBB58_2124:
	v_mov_b32_e32 v10, 0
	v_cmp_ne_u16_sdwa s[8:9], v11, v10 src0_sel:BYTE_0 src1_sel:DWORD
	s_andn2_b64 s[4:5], s[4:5], exec
	s_and_b64 s[8:9], s[8:9], exec
	s_or_b64 s[4:5], s[4:5], s[8:9]
	s_or_b64 exec, exec, s[6:7]
	s_and_saveexec_b64 s[6:7], s[4:5]
	s_cbranch_execnz .LBB58_75
	s_branch .LBB58_76
.LBB58_2125:
	s_movk_i32 s4, 0x80
	v_cmp_eq_u16_sdwa s[12:13], v11, s4 src0_sel:BYTE_0 src1_sel:DWORD
	s_mov_b64 s[4:5], -1
                                        ; implicit-def: $sgpr10
	s_and_saveexec_b64 s[8:9], s[12:13]
; %bb.2126:
	s_mov_b32 s10, 0x7f800001
	s_xor_b64 s[4:5], exec, -1
; %bb.2127:
	s_or_b64 exec, exec, s[8:9]
	s_and_b64 s[4:5], s[4:5], exec
	s_or_saveexec_b64 s[6:7], s[6:7]
	v_mov_b32_e32 v14, s10
	s_xor_b64 exec, exec, s[6:7]
	s_cbranch_execz .LBB58_78
.LBB58_2128:
	v_mov_b32_e32 v14, 0
	v_cmp_ne_u16_sdwa s[8:9], v11, v14 src0_sel:BYTE_0 src1_sel:DWORD
	s_andn2_b64 s[4:5], s[4:5], exec
	s_and_b64 s[8:9], s[8:9], exec
	s_or_b64 s[4:5], s[4:5], s[8:9]
	s_or_b64 exec, exec, s[6:7]
	s_and_saveexec_b64 s[6:7], s[4:5]
	s_cbranch_execnz .LBB58_79
	s_branch .LBB58_80
.LBB58_2129:
	s_movk_i32 s4, 0x80
	v_cmp_eq_u16_e32 vcc, s4, v11
	s_mov_b64 s[4:5], -1
                                        ; implicit-def: $sgpr10
	s_and_saveexec_b64 s[8:9], vcc
; %bb.2130:
	s_mov_b32 s10, 0x7f800001
	s_xor_b64 s[4:5], exec, -1
; %bb.2131:
	s_or_b64 exec, exec, s[8:9]
	s_and_b64 s[4:5], s[4:5], exec
                                        ; implicit-def: $vgpr11
	s_or_saveexec_b64 s[6:7], s[6:7]
	v_mov_b32_e32 v10, s10
	s_xor_b64 exec, exec, s[6:7]
	s_cbranch_execz .LBB58_82
.LBB58_2132:
	v_cmp_ne_u16_e32 vcc, 0, v11
	s_andn2_b64 s[4:5], s[4:5], exec
	s_and_b64 s[8:9], vcc, exec
	v_mov_b32_e32 v10, 0
	s_or_b64 s[4:5], s[4:5], s[8:9]
	s_or_b64 exec, exec, s[6:7]
	s_and_saveexec_b64 s[6:7], s[4:5]
	s_cbranch_execnz .LBB58_83
	s_branch .LBB58_84
.LBB58_2133:
	s_movk_i32 s4, 0x80
	v_cmp_eq_u16_e32 vcc, s4, v11
	s_mov_b64 s[4:5], -1
                                        ; implicit-def: $sgpr10
	s_and_saveexec_b64 s[8:9], vcc
; %bb.2134:
	s_mov_b32 s10, 0x7f800001
	s_xor_b64 s[4:5], exec, -1
; %bb.2135:
	s_or_b64 exec, exec, s[8:9]
	s_and_b64 s[4:5], s[4:5], exec
                                        ; implicit-def: $vgpr11
	s_or_saveexec_b64 s[6:7], s[6:7]
	v_mov_b32_e32 v14, s10
	s_xor_b64 exec, exec, s[6:7]
	s_cbranch_execz .LBB58_86
.LBB58_2136:
	v_cmp_ne_u16_e32 vcc, 0, v11
	s_andn2_b64 s[4:5], s[4:5], exec
	s_and_b64 s[8:9], vcc, exec
	v_mov_b32_e32 v14, 0
	s_or_b64 s[4:5], s[4:5], s[8:9]
	s_or_b64 exec, exec, s[6:7]
	s_and_saveexec_b64 s[6:7], s[4:5]
	s_cbranch_execnz .LBB58_87
	s_branch .LBB58_88
.LBB58_2137:
	s_movk_i32 s4, 0x80
	v_cmp_eq_u16_sdwa s[12:13], v16, s4 src0_sel:BYTE_3 src1_sel:DWORD
	s_mov_b64 s[4:5], -1
                                        ; implicit-def: $sgpr10
	s_and_saveexec_b64 s[8:9], s[12:13]
; %bb.2138:
	s_mov_b32 s10, 0x7f800001
	s_xor_b64 s[4:5], exec, -1
; %bb.2139:
	s_or_b64 exec, exec, s[8:9]
	s_and_b64 s[4:5], s[4:5], exec
	s_or_saveexec_b64 s[6:7], s[6:7]
	v_mov_b32_e32 v10, s10
	s_xor_b64 exec, exec, s[6:7]
	s_cbranch_execz .LBB58_90
.LBB58_2140:
	v_mov_b32_e32 v10, 0
	v_cmp_ne_u16_sdwa s[8:9], v16, v10 src0_sel:BYTE_3 src1_sel:DWORD
	s_andn2_b64 s[4:5], s[4:5], exec
	s_and_b64 s[8:9], s[8:9], exec
	s_or_b64 s[4:5], s[4:5], s[8:9]
	s_or_b64 exec, exec, s[6:7]
	s_and_saveexec_b64 s[6:7], s[4:5]
	s_cbranch_execnz .LBB58_91
	s_branch .LBB58_92
.LBB58_2141:
	s_movk_i32 s4, 0x80
	v_cmp_eq_u16_sdwa s[12:13], v12, s4 src0_sel:BYTE_3 src1_sel:DWORD
	s_mov_b64 s[4:5], -1
                                        ; implicit-def: $sgpr10
	s_and_saveexec_b64 s[8:9], s[12:13]
; %bb.2142:
	s_mov_b32 s10, 0x7f800001
	s_xor_b64 s[4:5], exec, -1
; %bb.2143:
	s_or_b64 exec, exec, s[8:9]
	s_and_b64 s[4:5], s[4:5], exec
	s_or_saveexec_b64 s[6:7], s[6:7]
	v_mov_b32_e32 v11, s10
	s_xor_b64 exec, exec, s[6:7]
	s_cbranch_execz .LBB58_94
.LBB58_2144:
	v_mov_b32_e32 v11, 0
	v_cmp_ne_u16_sdwa s[8:9], v12, v11 src0_sel:BYTE_3 src1_sel:DWORD
	s_andn2_b64 s[4:5], s[4:5], exec
	s_and_b64 s[8:9], s[8:9], exec
	s_or_b64 s[4:5], s[4:5], s[8:9]
	s_or_b64 exec, exec, s[6:7]
	s_and_saveexec_b64 s[6:7], s[4:5]
	s_cbranch_execnz .LBB58_95
	s_branch .LBB58_96
.LBB58_2145:
	s_movk_i32 s4, 0x80
	v_cmp_eq_u16_sdwa s[12:13], v17, s4 src0_sel:BYTE_0 src1_sel:DWORD
	s_mov_b64 s[4:5], -1
                                        ; implicit-def: $sgpr10
	s_and_saveexec_b64 s[8:9], s[12:13]
; %bb.2146:
	s_mov_b32 s10, 0x7f800001
	s_xor_b64 s[4:5], exec, -1
; %bb.2147:
	s_or_b64 exec, exec, s[8:9]
	s_and_b64 s[4:5], s[4:5], exec
	s_or_saveexec_b64 s[6:7], s[6:7]
	v_mov_b32_e32 v10, s10
	s_xor_b64 exec, exec, s[6:7]
	s_cbranch_execz .LBB58_98
.LBB58_2148:
	v_mov_b32_e32 v10, 0
	v_cmp_ne_u16_sdwa s[8:9], v17, v10 src0_sel:BYTE_0 src1_sel:DWORD
	s_andn2_b64 s[4:5], s[4:5], exec
	s_and_b64 s[8:9], s[8:9], exec
	s_or_b64 s[4:5], s[4:5], s[8:9]
	s_or_b64 exec, exec, s[6:7]
	s_and_saveexec_b64 s[6:7], s[4:5]
	s_cbranch_execnz .LBB58_99
	s_branch .LBB58_100
.LBB58_2149:
	s_movk_i32 s4, 0x80
	v_cmp_eq_u16_sdwa s[12:13], v13, s4 src0_sel:BYTE_0 src1_sel:DWORD
	s_mov_b64 s[4:5], -1
                                        ; implicit-def: $sgpr10
	s_and_saveexec_b64 s[8:9], s[12:13]
; %bb.2150:
	s_mov_b32 s10, 0x7f800001
	s_xor_b64 s[4:5], exec, -1
; %bb.2151:
	s_or_b64 exec, exec, s[8:9]
	s_and_b64 s[4:5], s[4:5], exec
	s_or_saveexec_b64 s[6:7], s[6:7]
	v_mov_b32_e32 v11, s10
	s_xor_b64 exec, exec, s[6:7]
	s_cbranch_execz .LBB58_102
.LBB58_2152:
	v_mov_b32_e32 v11, 0
	v_cmp_ne_u16_sdwa s[8:9], v13, v11 src0_sel:BYTE_0 src1_sel:DWORD
	s_andn2_b64 s[4:5], s[4:5], exec
	s_and_b64 s[8:9], s[8:9], exec
	s_or_b64 s[4:5], s[4:5], s[8:9]
	s_or_b64 exec, exec, s[6:7]
	s_and_saveexec_b64 s[6:7], s[4:5]
	s_cbranch_execnz .LBB58_103
	s_branch .LBB58_104
.LBB58_2153:
	s_movk_i32 s4, 0x80
	v_cmp_eq_u16_sdwa s[12:13], v11, s4 src0_sel:BYTE_0 src1_sel:DWORD
	s_mov_b64 s[4:5], -1
                                        ; implicit-def: $sgpr10
	s_and_saveexec_b64 s[8:9], s[12:13]
; %bb.2154:
	s_mov_b32 s10, 0x7f800001
	s_xor_b64 s[4:5], exec, -1
; %bb.2155:
	s_or_b64 exec, exec, s[8:9]
	s_and_b64 s[4:5], s[4:5], exec
	s_or_saveexec_b64 s[6:7], s[6:7]
	v_mov_b32_e32 v10, s10
	s_xor_b64 exec, exec, s[6:7]
	s_cbranch_execz .LBB58_106
.LBB58_2156:
	v_mov_b32_e32 v10, 0
	v_cmp_ne_u16_sdwa s[8:9], v11, v10 src0_sel:BYTE_0 src1_sel:DWORD
	s_andn2_b64 s[4:5], s[4:5], exec
	s_and_b64 s[8:9], s[8:9], exec
	s_or_b64 s[4:5], s[4:5], s[8:9]
	s_or_b64 exec, exec, s[6:7]
	s_and_saveexec_b64 s[6:7], s[4:5]
	s_cbranch_execnz .LBB58_107
	s_branch .LBB58_108
.LBB58_2157:
	s_movk_i32 s4, 0x80
	v_cmp_eq_u16_sdwa s[12:13], v11, s4 src0_sel:BYTE_0 src1_sel:DWORD
	s_mov_b64 s[4:5], -1
                                        ; implicit-def: $sgpr10
	s_and_saveexec_b64 s[8:9], s[12:13]
; %bb.2158:
	s_mov_b32 s10, 0x7f800001
	s_xor_b64 s[4:5], exec, -1
; %bb.2159:
	s_or_b64 exec, exec, s[8:9]
	s_and_b64 s[4:5], s[4:5], exec
	s_or_saveexec_b64 s[6:7], s[6:7]
	v_mov_b32_e32 v12, s10
	s_xor_b64 exec, exec, s[6:7]
	s_cbranch_execz .LBB58_110
.LBB58_2160:
	v_mov_b32_e32 v12, 0
	v_cmp_ne_u16_sdwa s[8:9], v11, v12 src0_sel:BYTE_0 src1_sel:DWORD
	s_andn2_b64 s[4:5], s[4:5], exec
	s_and_b64 s[8:9], s[8:9], exec
	s_or_b64 s[4:5], s[4:5], s[8:9]
	s_or_b64 exec, exec, s[6:7]
	s_and_saveexec_b64 s[6:7], s[4:5]
	s_cbranch_execnz .LBB58_111
	s_branch .LBB58_112
.LBB58_2161:
	s_movk_i32 s4, 0x80
	v_cmp_eq_u16_e32 vcc, s4, v11
	s_mov_b64 s[4:5], -1
                                        ; implicit-def: $sgpr10
	s_and_saveexec_b64 s[8:9], vcc
; %bb.2162:
	s_mov_b32 s10, 0x7f800001
	s_xor_b64 s[4:5], exec, -1
; %bb.2163:
	s_or_b64 exec, exec, s[8:9]
	s_and_b64 s[4:5], s[4:5], exec
                                        ; implicit-def: $vgpr11
	s_or_saveexec_b64 s[6:7], s[6:7]
	v_mov_b32_e32 v10, s10
	s_xor_b64 exec, exec, s[6:7]
	s_cbranch_execz .LBB58_114
.LBB58_2164:
	v_cmp_ne_u16_e32 vcc, 0, v11
	s_andn2_b64 s[4:5], s[4:5], exec
	s_and_b64 s[8:9], vcc, exec
	v_mov_b32_e32 v10, 0
	s_or_b64 s[4:5], s[4:5], s[8:9]
	s_or_b64 exec, exec, s[6:7]
	s_and_saveexec_b64 s[6:7], s[4:5]
	s_cbranch_execnz .LBB58_115
	s_branch .LBB58_116
.LBB58_2165:
	s_movk_i32 s4, 0x80
	v_cmp_eq_u16_e32 vcc, s4, v11
	s_mov_b64 s[4:5], -1
                                        ; implicit-def: $sgpr10
	s_and_saveexec_b64 s[8:9], vcc
; %bb.2166:
	s_mov_b32 s10, 0x7f800001
	s_xor_b64 s[4:5], exec, -1
; %bb.2167:
	s_or_b64 exec, exec, s[8:9]
	s_and_b64 s[4:5], s[4:5], exec
                                        ; implicit-def: $vgpr11
	s_or_saveexec_b64 s[6:7], s[6:7]
	v_mov_b32_e32 v12, s10
	s_xor_b64 exec, exec, s[6:7]
	s_cbranch_execz .LBB58_118
.LBB58_2168:
	v_cmp_ne_u16_e32 vcc, 0, v11
	s_andn2_b64 s[4:5], s[4:5], exec
	s_and_b64 s[8:9], vcc, exec
	v_mov_b32_e32 v12, 0
	s_or_b64 s[4:5], s[4:5], s[8:9]
	s_or_b64 exec, exec, s[6:7]
	s_and_saveexec_b64 s[6:7], s[4:5]
	s_cbranch_execnz .LBB58_119
	s_branch .LBB58_120
.LBB58_2169:
	s_movk_i32 s4, 0x80
	v_cmp_eq_u16_sdwa s[12:13], v17, s4 src0_sel:BYTE_3 src1_sel:DWORD
	s_mov_b64 s[4:5], -1
                                        ; implicit-def: $sgpr10
	s_and_saveexec_b64 s[8:9], s[12:13]
; %bb.2170:
	s_mov_b32 s10, 0x7f800001
	s_xor_b64 s[4:5], exec, -1
; %bb.2171:
	s_or_b64 exec, exec, s[8:9]
	s_and_b64 s[4:5], s[4:5], exec
	s_or_saveexec_b64 s[6:7], s[6:7]
	v_mov_b32_e32 v10, s10
	s_xor_b64 exec, exec, s[6:7]
	s_cbranch_execz .LBB58_122
.LBB58_2172:
	v_mov_b32_e32 v10, 0
	v_cmp_ne_u16_sdwa s[8:9], v17, v10 src0_sel:BYTE_3 src1_sel:DWORD
	s_andn2_b64 s[4:5], s[4:5], exec
	s_and_b64 s[8:9], s[8:9], exec
	s_or_b64 s[4:5], s[4:5], s[8:9]
	s_or_b64 exec, exec, s[6:7]
	s_and_saveexec_b64 s[6:7], s[4:5]
	s_cbranch_execnz .LBB58_123
	s_branch .LBB58_124
.LBB58_2173:
	s_movk_i32 s4, 0x80
	v_cmp_eq_u16_sdwa s[12:13], v13, s4 src0_sel:BYTE_3 src1_sel:DWORD
	s_mov_b64 s[4:5], -1
                                        ; implicit-def: $sgpr10
	s_and_saveexec_b64 s[8:9], s[12:13]
; %bb.2174:
	s_mov_b32 s10, 0x7f800001
	s_xor_b64 s[4:5], exec, -1
; %bb.2175:
	s_or_b64 exec, exec, s[8:9]
	s_and_b64 s[4:5], s[4:5], exec
	s_or_saveexec_b64 s[6:7], s[6:7]
	v_mov_b32_e32 v11, s10
	s_xor_b64 exec, exec, s[6:7]
	s_cbranch_execz .LBB58_126
.LBB58_2176:
	v_mov_b32_e32 v11, 0
	v_cmp_ne_u16_sdwa s[8:9], v13, v11 src0_sel:BYTE_3 src1_sel:DWORD
	s_andn2_b64 s[4:5], s[4:5], exec
	s_and_b64 s[8:9], s[8:9], exec
	s_or_b64 s[4:5], s[4:5], s[8:9]
	s_or_b64 exec, exec, s[6:7]
	s_and_saveexec_b64 s[6:7], s[4:5]
	s_cbranch_execnz .LBB58_127
	s_branch .LBB58_128
.LBB58_2177:
	s_movk_i32 s4, 0x80
	v_cmp_eq_u16_sdwa s[12:13], v6, s4 src0_sel:BYTE_0 src1_sel:DWORD
	s_mov_b64 s[4:5], -1
                                        ; implicit-def: $sgpr10
	s_and_saveexec_b64 s[8:9], s[12:13]
; %bb.2178:
	s_mov_b32 s10, 0x7f800001
	s_xor_b64 s[4:5], exec, -1
; %bb.2179:
	s_or_b64 exec, exec, s[8:9]
	s_and_b64 s[4:5], s[4:5], exec
	s_or_saveexec_b64 s[6:7], s[6:7]
	v_mov_b32_e32 v10, s10
	s_xor_b64 exec, exec, s[6:7]
	s_cbranch_execz .LBB58_130
.LBB58_2180:
	v_mov_b32_e32 v10, 0
	v_cmp_ne_u16_sdwa s[8:9], v6, v10 src0_sel:BYTE_0 src1_sel:DWORD
	s_andn2_b64 s[4:5], s[4:5], exec
	s_and_b64 s[8:9], s[8:9], exec
	s_or_b64 s[4:5], s[4:5], s[8:9]
	s_or_b64 exec, exec, s[6:7]
	s_and_saveexec_b64 s[6:7], s[4:5]
	s_cbranch_execnz .LBB58_131
	s_branch .LBB58_132
.LBB58_2181:
	s_movk_i32 s4, 0x80
	v_cmp_eq_u16_sdwa s[12:13], v2, s4 src0_sel:BYTE_0 src1_sel:DWORD
	s_mov_b64 s[4:5], -1
                                        ; implicit-def: $sgpr10
	s_and_saveexec_b64 s[8:9], s[12:13]
; %bb.2182:
	s_mov_b32 s10, 0x7f800001
	s_xor_b64 s[4:5], exec, -1
; %bb.2183:
	s_or_b64 exec, exec, s[8:9]
	s_and_b64 s[4:5], s[4:5], exec
	s_or_saveexec_b64 s[6:7], s[6:7]
	v_mov_b32_e32 v11, s10
	s_xor_b64 exec, exec, s[6:7]
	s_cbranch_execz .LBB58_134
.LBB58_2184:
	v_mov_b32_e32 v11, 0
	v_cmp_ne_u16_sdwa s[8:9], v2, v11 src0_sel:BYTE_0 src1_sel:DWORD
	s_andn2_b64 s[4:5], s[4:5], exec
	s_and_b64 s[8:9], s[8:9], exec
	s_or_b64 s[4:5], s[4:5], s[8:9]
	s_or_b64 exec, exec, s[6:7]
	s_and_saveexec_b64 s[6:7], s[4:5]
	s_cbranch_execnz .LBB58_135
	s_branch .LBB58_136
.LBB58_2185:
	s_movk_i32 s4, 0x80
	v_cmp_eq_u16_sdwa s[12:13], v11, s4 src0_sel:BYTE_0 src1_sel:DWORD
	s_mov_b64 s[4:5], -1
                                        ; implicit-def: $sgpr10
	s_and_saveexec_b64 s[8:9], s[12:13]
; %bb.2186:
	s_mov_b32 s10, 0x7f800001
	s_xor_b64 s[4:5], exec, -1
; %bb.2187:
	s_or_b64 exec, exec, s[8:9]
	s_and_b64 s[4:5], s[4:5], exec
	s_or_saveexec_b64 s[6:7], s[6:7]
	v_mov_b32_e32 v10, s10
	s_xor_b64 exec, exec, s[6:7]
	s_cbranch_execz .LBB58_138
.LBB58_2188:
	v_mov_b32_e32 v10, 0
	v_cmp_ne_u16_sdwa s[8:9], v11, v10 src0_sel:BYTE_0 src1_sel:DWORD
	s_andn2_b64 s[4:5], s[4:5], exec
	s_and_b64 s[8:9], s[8:9], exec
	s_or_b64 s[4:5], s[4:5], s[8:9]
	s_or_b64 exec, exec, s[6:7]
	s_and_saveexec_b64 s[6:7], s[4:5]
	s_cbranch_execnz .LBB58_139
	s_branch .LBB58_140
.LBB58_2189:
	s_movk_i32 s4, 0x80
	v_cmp_eq_u16_sdwa s[12:13], v11, s4 src0_sel:BYTE_0 src1_sel:DWORD
	s_mov_b64 s[4:5], -1
                                        ; implicit-def: $sgpr10
	s_and_saveexec_b64 s[8:9], s[12:13]
; %bb.2190:
	s_mov_b32 s10, 0x7f800001
	s_xor_b64 s[4:5], exec, -1
; %bb.2191:
	s_or_b64 exec, exec, s[8:9]
	s_and_b64 s[4:5], s[4:5], exec
	s_or_saveexec_b64 s[6:7], s[6:7]
	v_mov_b32_e32 v12, s10
	s_xor_b64 exec, exec, s[6:7]
	s_cbranch_execz .LBB58_142
.LBB58_2192:
	v_mov_b32_e32 v12, 0
	v_cmp_ne_u16_sdwa s[8:9], v11, v12 src0_sel:BYTE_0 src1_sel:DWORD
	s_andn2_b64 s[4:5], s[4:5], exec
	s_and_b64 s[8:9], s[8:9], exec
	s_or_b64 s[4:5], s[4:5], s[8:9]
	s_or_b64 exec, exec, s[6:7]
	s_and_saveexec_b64 s[6:7], s[4:5]
	s_cbranch_execnz .LBB58_143
	s_branch .LBB58_144
.LBB58_2193:
	s_movk_i32 s4, 0x80
	v_cmp_eq_u16_e32 vcc, s4, v11
	s_mov_b64 s[4:5], -1
                                        ; implicit-def: $sgpr10
	s_and_saveexec_b64 s[8:9], vcc
; %bb.2194:
	s_mov_b32 s10, 0x7f800001
	s_xor_b64 s[4:5], exec, -1
; %bb.2195:
	s_or_b64 exec, exec, s[8:9]
	s_and_b64 s[4:5], s[4:5], exec
                                        ; implicit-def: $vgpr11
	s_or_saveexec_b64 s[6:7], s[6:7]
	v_mov_b32_e32 v10, s10
	s_xor_b64 exec, exec, s[6:7]
	s_cbranch_execz .LBB58_146
.LBB58_2196:
	v_cmp_ne_u16_e32 vcc, 0, v11
	s_andn2_b64 s[4:5], s[4:5], exec
	s_and_b64 s[8:9], vcc, exec
	v_mov_b32_e32 v10, 0
	s_or_b64 s[4:5], s[4:5], s[8:9]
	s_or_b64 exec, exec, s[6:7]
	s_and_saveexec_b64 s[6:7], s[4:5]
	s_cbranch_execnz .LBB58_147
	s_branch .LBB58_148
.LBB58_2197:
	s_movk_i32 s4, 0x80
	v_cmp_eq_u16_e32 vcc, s4, v11
	s_mov_b64 s[4:5], -1
                                        ; implicit-def: $sgpr10
	s_and_saveexec_b64 s[8:9], vcc
; %bb.2198:
	s_mov_b32 s10, 0x7f800001
	s_xor_b64 s[4:5], exec, -1
; %bb.2199:
	s_or_b64 exec, exec, s[8:9]
	s_and_b64 s[4:5], s[4:5], exec
                                        ; implicit-def: $vgpr11
	s_or_saveexec_b64 s[6:7], s[6:7]
	v_mov_b32_e32 v12, s10
	s_xor_b64 exec, exec, s[6:7]
	s_cbranch_execz .LBB58_150
.LBB58_2200:
	v_cmp_ne_u16_e32 vcc, 0, v11
	s_andn2_b64 s[4:5], s[4:5], exec
	s_and_b64 s[8:9], vcc, exec
	v_mov_b32_e32 v12, 0
	s_or_b64 s[4:5], s[4:5], s[8:9]
	s_or_b64 exec, exec, s[6:7]
	s_and_saveexec_b64 s[6:7], s[4:5]
	s_cbranch_execnz .LBB58_151
	s_branch .LBB58_152
.LBB58_2201:
	s_movk_i32 s4, 0x80
	v_cmp_eq_u16_sdwa s[12:13], v6, s4 src0_sel:BYTE_3 src1_sel:DWORD
	s_mov_b64 s[4:5], -1
                                        ; implicit-def: $sgpr10
	s_and_saveexec_b64 s[8:9], s[12:13]
; %bb.2202:
	s_mov_b32 s10, 0x7f800001
	s_xor_b64 s[4:5], exec, -1
; %bb.2203:
	s_or_b64 exec, exec, s[8:9]
	s_and_b64 s[4:5], s[4:5], exec
	s_or_saveexec_b64 s[6:7], s[6:7]
	v_mov_b32_e32 v10, s10
	s_xor_b64 exec, exec, s[6:7]
	s_cbranch_execz .LBB58_154
.LBB58_2204:
	v_mov_b32_e32 v10, 0
	v_cmp_ne_u16_sdwa s[8:9], v6, v10 src0_sel:BYTE_3 src1_sel:DWORD
	s_andn2_b64 s[4:5], s[4:5], exec
	s_and_b64 s[8:9], s[8:9], exec
	s_or_b64 s[4:5], s[4:5], s[8:9]
	s_or_b64 exec, exec, s[6:7]
	s_and_saveexec_b64 s[6:7], s[4:5]
	s_cbranch_execnz .LBB58_155
	s_branch .LBB58_156
.LBB58_2205:
	s_movk_i32 s4, 0x80
	v_cmp_eq_u16_sdwa s[12:13], v2, s4 src0_sel:BYTE_3 src1_sel:DWORD
	s_mov_b64 s[4:5], -1
                                        ; implicit-def: $sgpr10
	s_and_saveexec_b64 s[8:9], s[12:13]
; %bb.2206:
	s_mov_b32 s10, 0x7f800001
	s_xor_b64 s[4:5], exec, -1
; %bb.2207:
	s_or_b64 exec, exec, s[8:9]
	s_and_b64 s[4:5], s[4:5], exec
	s_or_saveexec_b64 s[6:7], s[6:7]
	v_mov_b32_e32 v6, s10
	s_xor_b64 exec, exec, s[6:7]
	s_cbranch_execz .LBB58_158
.LBB58_2208:
	v_mov_b32_e32 v6, 0
	v_cmp_ne_u16_sdwa s[8:9], v2, v6 src0_sel:BYTE_3 src1_sel:DWORD
	s_andn2_b64 s[4:5], s[4:5], exec
	s_and_b64 s[8:9], s[8:9], exec
	s_or_b64 s[4:5], s[4:5], s[8:9]
	s_or_b64 exec, exec, s[6:7]
	s_and_saveexec_b64 s[6:7], s[4:5]
	s_cbranch_execnz .LBB58_159
	s_branch .LBB58_160
.LBB58_2209:
	s_movk_i32 s4, 0x80
	v_cmp_eq_u16_sdwa s[12:13], v7, s4 src0_sel:BYTE_0 src1_sel:DWORD
	s_mov_b64 s[4:5], -1
                                        ; implicit-def: $sgpr10
	s_and_saveexec_b64 s[8:9], s[12:13]
; %bb.2210:
	s_mov_b32 s10, 0x7f800001
	s_xor_b64 s[4:5], exec, -1
; %bb.2211:
	s_or_b64 exec, exec, s[8:9]
	s_and_b64 s[4:5], s[4:5], exec
	s_or_saveexec_b64 s[6:7], s[6:7]
	v_mov_b32_e32 v2, s10
	s_xor_b64 exec, exec, s[6:7]
	s_cbranch_execz .LBB58_162
.LBB58_2212:
	v_mov_b32_e32 v2, 0
	v_cmp_ne_u16_sdwa s[8:9], v7, v2 src0_sel:BYTE_0 src1_sel:DWORD
	s_andn2_b64 s[4:5], s[4:5], exec
	s_and_b64 s[8:9], s[8:9], exec
	s_or_b64 s[4:5], s[4:5], s[8:9]
	s_or_b64 exec, exec, s[6:7]
	s_and_saveexec_b64 s[6:7], s[4:5]
	s_cbranch_execnz .LBB58_163
	s_branch .LBB58_164
.LBB58_2213:
	s_movk_i32 s4, 0x80
	v_cmp_eq_u16_sdwa s[12:13], v3, s4 src0_sel:BYTE_0 src1_sel:DWORD
	s_mov_b64 s[4:5], -1
                                        ; implicit-def: $sgpr10
	s_and_saveexec_b64 s[8:9], s[12:13]
; %bb.2214:
	s_mov_b32 s10, 0x7f800001
	s_xor_b64 s[4:5], exec, -1
; %bb.2215:
	s_or_b64 exec, exec, s[8:9]
	s_and_b64 s[4:5], s[4:5], exec
	s_or_saveexec_b64 s[6:7], s[6:7]
	v_mov_b32_e32 v6, s10
	s_xor_b64 exec, exec, s[6:7]
	s_cbranch_execz .LBB58_166
.LBB58_2216:
	v_mov_b32_e32 v6, 0
	v_cmp_ne_u16_sdwa s[8:9], v3, v6 src0_sel:BYTE_0 src1_sel:DWORD
	s_andn2_b64 s[4:5], s[4:5], exec
	s_and_b64 s[8:9], s[8:9], exec
	s_or_b64 s[4:5], s[4:5], s[8:9]
	s_or_b64 exec, exec, s[6:7]
	s_and_saveexec_b64 s[6:7], s[4:5]
	s_cbranch_execnz .LBB58_167
	s_branch .LBB58_168
.LBB58_2217:
	s_movk_i32 s4, 0x80
	v_cmp_eq_u16_sdwa s[12:13], v6, s4 src0_sel:BYTE_0 src1_sel:DWORD
	s_mov_b64 s[4:5], -1
                                        ; implicit-def: $sgpr10
	s_and_saveexec_b64 s[8:9], s[12:13]
; %bb.2218:
	s_mov_b32 s10, 0x7f800001
	s_xor_b64 s[4:5], exec, -1
; %bb.2219:
	s_or_b64 exec, exec, s[8:9]
	s_and_b64 s[4:5], s[4:5], exec
	s_or_saveexec_b64 s[6:7], s[6:7]
	v_mov_b32_e32 v2, s10
	s_xor_b64 exec, exec, s[6:7]
	s_cbranch_execz .LBB58_170
.LBB58_2220:
	v_mov_b32_e32 v2, 0
	v_cmp_ne_u16_sdwa s[8:9], v6, v2 src0_sel:BYTE_0 src1_sel:DWORD
	s_andn2_b64 s[4:5], s[4:5], exec
	s_and_b64 s[8:9], s[8:9], exec
	s_or_b64 s[4:5], s[4:5], s[8:9]
	s_or_b64 exec, exec, s[6:7]
	s_and_saveexec_b64 s[6:7], s[4:5]
	s_cbranch_execnz .LBB58_171
	s_branch .LBB58_172
.LBB58_2221:
	s_movk_i32 s4, 0x80
	v_cmp_eq_u16_sdwa s[12:13], v6, s4 src0_sel:BYTE_0 src1_sel:DWORD
	s_mov_b64 s[4:5], -1
                                        ; implicit-def: $sgpr10
	s_and_saveexec_b64 s[8:9], s[12:13]
; %bb.2222:
	s_mov_b32 s10, 0x7f800001
	s_xor_b64 s[4:5], exec, -1
; %bb.2223:
	s_or_b64 exec, exec, s[8:9]
	s_and_b64 s[4:5], s[4:5], exec
	s_or_saveexec_b64 s[6:7], s[6:7]
	v_mov_b32_e32 v10, s10
	s_xor_b64 exec, exec, s[6:7]
	s_cbranch_execz .LBB58_174
.LBB58_2224:
	v_mov_b32_e32 v10, 0
	v_cmp_ne_u16_sdwa s[8:9], v6, v10 src0_sel:BYTE_0 src1_sel:DWORD
	s_andn2_b64 s[4:5], s[4:5], exec
	s_and_b64 s[8:9], s[8:9], exec
	s_or_b64 s[4:5], s[4:5], s[8:9]
	s_or_b64 exec, exec, s[6:7]
	s_and_saveexec_b64 s[6:7], s[4:5]
	s_cbranch_execnz .LBB58_175
	s_branch .LBB58_176
.LBB58_2225:
	s_movk_i32 s4, 0x80
	v_cmp_eq_u16_e32 vcc, s4, v6
	s_mov_b64 s[4:5], -1
                                        ; implicit-def: $sgpr10
	s_and_saveexec_b64 s[8:9], vcc
; %bb.2226:
	s_mov_b32 s10, 0x7f800001
	s_xor_b64 s[4:5], exec, -1
; %bb.2227:
	s_or_b64 exec, exec, s[8:9]
	s_and_b64 s[4:5], s[4:5], exec
                                        ; implicit-def: $vgpr6
	s_or_saveexec_b64 s[6:7], s[6:7]
	v_mov_b32_e32 v2, s10
	s_xor_b64 exec, exec, s[6:7]
	s_cbranch_execz .LBB58_178
.LBB58_2228:
	v_cmp_ne_u16_e32 vcc, 0, v6
	s_andn2_b64 s[4:5], s[4:5], exec
	s_and_b64 s[8:9], vcc, exec
	v_mov_b32_e32 v2, 0
	s_or_b64 s[4:5], s[4:5], s[8:9]
	s_or_b64 exec, exec, s[6:7]
	s_and_saveexec_b64 s[6:7], s[4:5]
	s_cbranch_execnz .LBB58_179
	s_branch .LBB58_180
.LBB58_2229:
	s_movk_i32 s4, 0x80
	v_cmp_eq_u16_e32 vcc, s4, v6
	s_mov_b64 s[4:5], -1
                                        ; implicit-def: $sgpr10
	s_and_saveexec_b64 s[8:9], vcc
; %bb.2230:
	s_mov_b32 s10, 0x7f800001
	s_xor_b64 s[4:5], exec, -1
; %bb.2231:
	s_or_b64 exec, exec, s[8:9]
	s_and_b64 s[4:5], s[4:5], exec
                                        ; implicit-def: $vgpr6
	s_or_saveexec_b64 s[6:7], s[6:7]
	v_mov_b32_e32 v10, s10
	s_xor_b64 exec, exec, s[6:7]
	s_cbranch_execz .LBB58_182
.LBB58_2232:
	v_cmp_ne_u16_e32 vcc, 0, v6
	s_andn2_b64 s[4:5], s[4:5], exec
	s_and_b64 s[8:9], vcc, exec
	v_mov_b32_e32 v10, 0
	s_or_b64 s[4:5], s[4:5], s[8:9]
	s_or_b64 exec, exec, s[6:7]
	s_and_saveexec_b64 s[6:7], s[4:5]
	s_cbranch_execnz .LBB58_183
	s_branch .LBB58_184
.LBB58_2233:
	s_movk_i32 s4, 0x80
	v_cmp_eq_u16_sdwa s[12:13], v7, s4 src0_sel:BYTE_3 src1_sel:DWORD
	s_mov_b64 s[4:5], -1
                                        ; implicit-def: $sgpr10
	s_and_saveexec_b64 s[8:9], s[12:13]
; %bb.2234:
	s_mov_b32 s10, 0x7f800001
	s_xor_b64 s[4:5], exec, -1
; %bb.2235:
	s_or_b64 exec, exec, s[8:9]
	s_and_b64 s[4:5], s[4:5], exec
	s_or_saveexec_b64 s[6:7], s[6:7]
	v_mov_b32_e32 v2, s10
	s_xor_b64 exec, exec, s[6:7]
	s_cbranch_execz .LBB58_186
.LBB58_2236:
	v_mov_b32_e32 v2, 0
	v_cmp_ne_u16_sdwa s[8:9], v7, v2 src0_sel:BYTE_3 src1_sel:DWORD
	s_andn2_b64 s[4:5], s[4:5], exec
	s_and_b64 s[8:9], s[8:9], exec
	s_or_b64 s[4:5], s[4:5], s[8:9]
	s_or_b64 exec, exec, s[6:7]
	s_and_saveexec_b64 s[6:7], s[4:5]
	s_cbranch_execnz .LBB58_187
	s_branch .LBB58_188
.LBB58_2237:
	s_movk_i32 s4, 0x80
	v_cmp_eq_u16_sdwa s[12:13], v3, s4 src0_sel:BYTE_3 src1_sel:DWORD
	s_mov_b64 s[4:5], -1
                                        ; implicit-def: $sgpr10
	s_and_saveexec_b64 s[8:9], s[12:13]
; %bb.2238:
	s_mov_b32 s10, 0x7f800001
	s_xor_b64 s[4:5], exec, -1
; %bb.2239:
	s_or_b64 exec, exec, s[8:9]
	s_and_b64 s[4:5], s[4:5], exec
	s_or_saveexec_b64 s[6:7], s[6:7]
	v_mov_b32_e32 v6, s10
	s_xor_b64 exec, exec, s[6:7]
	s_cbranch_execz .LBB58_190
.LBB58_2240:
	v_mov_b32_e32 v6, 0
	v_cmp_ne_u16_sdwa s[8:9], v3, v6 src0_sel:BYTE_3 src1_sel:DWORD
	s_andn2_b64 s[4:5], s[4:5], exec
	s_and_b64 s[8:9], s[8:9], exec
	s_or_b64 s[4:5], s[4:5], s[8:9]
	s_or_b64 exec, exec, s[6:7]
	s_and_saveexec_b64 s[6:7], s[4:5]
	s_cbranch_execnz .LBB58_191
	s_branch .LBB58_192
.LBB58_2241:
	s_movk_i32 s4, 0x80
	v_cmp_eq_u16_sdwa s[12:13], v8, s4 src0_sel:BYTE_0 src1_sel:DWORD
	s_mov_b64 s[4:5], -1
                                        ; implicit-def: $sgpr10
	s_and_saveexec_b64 s[8:9], s[12:13]
; %bb.2242:
	s_mov_b32 s10, 0x7f800001
	s_xor_b64 s[4:5], exec, -1
; %bb.2243:
	s_or_b64 exec, exec, s[8:9]
	s_and_b64 s[4:5], s[4:5], exec
	s_or_saveexec_b64 s[6:7], s[6:7]
	v_mov_b32_e32 v2, s10
	s_xor_b64 exec, exec, s[6:7]
	s_cbranch_execz .LBB58_194
.LBB58_2244:
	v_mov_b32_e32 v2, 0
	v_cmp_ne_u16_sdwa s[8:9], v8, v2 src0_sel:BYTE_0 src1_sel:DWORD
	s_andn2_b64 s[4:5], s[4:5], exec
	s_and_b64 s[8:9], s[8:9], exec
	s_or_b64 s[4:5], s[4:5], s[8:9]
	s_or_b64 exec, exec, s[6:7]
	s_and_saveexec_b64 s[6:7], s[4:5]
	s_cbranch_execnz .LBB58_195
	s_branch .LBB58_196
.LBB58_2245:
	s_movk_i32 s4, 0x80
	v_cmp_eq_u16_sdwa s[12:13], v4, s4 src0_sel:BYTE_0 src1_sel:DWORD
	s_mov_b64 s[4:5], -1
                                        ; implicit-def: $sgpr10
	s_and_saveexec_b64 s[8:9], s[12:13]
; %bb.2246:
	s_mov_b32 s10, 0x7f800001
	s_xor_b64 s[4:5], exec, -1
; %bb.2247:
	s_or_b64 exec, exec, s[8:9]
	s_and_b64 s[4:5], s[4:5], exec
	s_or_saveexec_b64 s[6:7], s[6:7]
	v_mov_b32_e32 v3, s10
	s_xor_b64 exec, exec, s[6:7]
	s_cbranch_execz .LBB58_198
.LBB58_2248:
	v_mov_b32_e32 v3, 0
	v_cmp_ne_u16_sdwa s[8:9], v4, v3 src0_sel:BYTE_0 src1_sel:DWORD
	s_andn2_b64 s[4:5], s[4:5], exec
	s_and_b64 s[8:9], s[8:9], exec
	s_or_b64 s[4:5], s[4:5], s[8:9]
	s_or_b64 exec, exec, s[6:7]
	s_and_saveexec_b64 s[6:7], s[4:5]
	s_cbranch_execnz .LBB58_199
	s_branch .LBB58_200
.LBB58_2249:
	s_movk_i32 s4, 0x80
	v_cmp_eq_u16_sdwa s[12:13], v3, s4 src0_sel:BYTE_0 src1_sel:DWORD
	s_mov_b64 s[4:5], -1
                                        ; implicit-def: $sgpr10
	s_and_saveexec_b64 s[8:9], s[12:13]
; %bb.2250:
	s_mov_b32 s10, 0x7f800001
	s_xor_b64 s[4:5], exec, -1
; %bb.2251:
	s_or_b64 exec, exec, s[8:9]
	s_and_b64 s[4:5], s[4:5], exec
	s_or_saveexec_b64 s[6:7], s[6:7]
	v_mov_b32_e32 v2, s10
	s_xor_b64 exec, exec, s[6:7]
	s_cbranch_execz .LBB58_202
.LBB58_2252:
	v_mov_b32_e32 v2, 0
	v_cmp_ne_u16_sdwa s[8:9], v3, v2 src0_sel:BYTE_0 src1_sel:DWORD
	s_andn2_b64 s[4:5], s[4:5], exec
	s_and_b64 s[8:9], s[8:9], exec
	s_or_b64 s[4:5], s[4:5], s[8:9]
	s_or_b64 exec, exec, s[6:7]
	s_and_saveexec_b64 s[6:7], s[4:5]
	s_cbranch_execnz .LBB58_203
	s_branch .LBB58_204
.LBB58_2253:
	s_movk_i32 s4, 0x80
	v_cmp_eq_u16_sdwa s[12:13], v3, s4 src0_sel:BYTE_0 src1_sel:DWORD
	s_mov_b64 s[4:5], -1
                                        ; implicit-def: $sgpr10
	s_and_saveexec_b64 s[8:9], s[12:13]
; %bb.2254:
	s_mov_b32 s10, 0x7f800001
	s_xor_b64 s[4:5], exec, -1
; %bb.2255:
	s_or_b64 exec, exec, s[8:9]
	s_and_b64 s[4:5], s[4:5], exec
	s_or_saveexec_b64 s[6:7], s[6:7]
	v_mov_b32_e32 v6, s10
	s_xor_b64 exec, exec, s[6:7]
	s_cbranch_execz .LBB58_206
.LBB58_2256:
	v_mov_b32_e32 v6, 0
	v_cmp_ne_u16_sdwa s[8:9], v3, v6 src0_sel:BYTE_0 src1_sel:DWORD
	s_andn2_b64 s[4:5], s[4:5], exec
	s_and_b64 s[8:9], s[8:9], exec
	s_or_b64 s[4:5], s[4:5], s[8:9]
	s_or_b64 exec, exec, s[6:7]
	s_and_saveexec_b64 s[6:7], s[4:5]
	s_cbranch_execnz .LBB58_207
	s_branch .LBB58_208
.LBB58_2257:
	s_movk_i32 s4, 0x80
	v_cmp_eq_u16_e32 vcc, s4, v3
	s_mov_b64 s[4:5], -1
                                        ; implicit-def: $sgpr10
	s_and_saveexec_b64 s[8:9], vcc
; %bb.2258:
	s_mov_b32 s10, 0x7f800001
	s_xor_b64 s[4:5], exec, -1
; %bb.2259:
	s_or_b64 exec, exec, s[8:9]
	s_and_b64 s[4:5], s[4:5], exec
                                        ; implicit-def: $vgpr3
	s_or_saveexec_b64 s[6:7], s[6:7]
	v_mov_b32_e32 v2, s10
	s_xor_b64 exec, exec, s[6:7]
	s_cbranch_execz .LBB58_210
.LBB58_2260:
	v_cmp_ne_u16_e32 vcc, 0, v3
	s_andn2_b64 s[4:5], s[4:5], exec
	s_and_b64 s[8:9], vcc, exec
	v_mov_b32_e32 v2, 0
	s_or_b64 s[4:5], s[4:5], s[8:9]
	s_or_b64 exec, exec, s[6:7]
	s_and_saveexec_b64 s[6:7], s[4:5]
	s_cbranch_execnz .LBB58_211
	s_branch .LBB58_212
.LBB58_2261:
	s_movk_i32 s4, 0x80
	v_cmp_eq_u16_e32 vcc, s4, v3
	s_mov_b64 s[4:5], -1
                                        ; implicit-def: $sgpr10
	s_and_saveexec_b64 s[8:9], vcc
; %bb.2262:
	s_mov_b32 s10, 0x7f800001
	s_xor_b64 s[4:5], exec, -1
; %bb.2263:
	s_or_b64 exec, exec, s[8:9]
	s_and_b64 s[4:5], s[4:5], exec
                                        ; implicit-def: $vgpr3
	s_or_saveexec_b64 s[6:7], s[6:7]
	v_mov_b32_e32 v6, s10
	s_xor_b64 exec, exec, s[6:7]
	s_cbranch_execz .LBB58_214
.LBB58_2264:
	v_cmp_ne_u16_e32 vcc, 0, v3
	s_andn2_b64 s[4:5], s[4:5], exec
	s_and_b64 s[8:9], vcc, exec
	v_mov_b32_e32 v6, 0
	s_or_b64 s[4:5], s[4:5], s[8:9]
	s_or_b64 exec, exec, s[6:7]
	s_and_saveexec_b64 s[6:7], s[4:5]
	s_cbranch_execnz .LBB58_215
	s_branch .LBB58_216
.LBB58_2265:
	s_movk_i32 s4, 0x80
	v_cmp_eq_u16_sdwa s[12:13], v8, s4 src0_sel:BYTE_3 src1_sel:DWORD
	s_mov_b64 s[4:5], -1
                                        ; implicit-def: $sgpr10
	s_and_saveexec_b64 s[8:9], s[12:13]
; %bb.2266:
	s_mov_b32 s10, 0x7f800001
	s_xor_b64 s[4:5], exec, -1
; %bb.2267:
	s_or_b64 exec, exec, s[8:9]
	s_and_b64 s[4:5], s[4:5], exec
	s_or_saveexec_b64 s[6:7], s[6:7]
	v_mov_b32_e32 v2, s10
	s_xor_b64 exec, exec, s[6:7]
	s_cbranch_execz .LBB58_218
.LBB58_2268:
	v_mov_b32_e32 v2, 0
	v_cmp_ne_u16_sdwa s[8:9], v8, v2 src0_sel:BYTE_3 src1_sel:DWORD
	s_andn2_b64 s[4:5], s[4:5], exec
	s_and_b64 s[8:9], s[8:9], exec
	s_or_b64 s[4:5], s[4:5], s[8:9]
	s_or_b64 exec, exec, s[6:7]
	s_and_saveexec_b64 s[6:7], s[4:5]
	s_cbranch_execnz .LBB58_219
	s_branch .LBB58_220
.LBB58_2269:
	s_movk_i32 s4, 0x80
	v_cmp_eq_u16_sdwa s[12:13], v4, s4 src0_sel:BYTE_3 src1_sel:DWORD
	s_mov_b64 s[4:5], -1
                                        ; implicit-def: $sgpr10
	s_and_saveexec_b64 s[8:9], s[12:13]
; %bb.2270:
	s_mov_b32 s10, 0x7f800001
	s_xor_b64 s[4:5], exec, -1
; %bb.2271:
	s_or_b64 exec, exec, s[8:9]
	s_and_b64 s[4:5], s[4:5], exec
	s_or_saveexec_b64 s[6:7], s[6:7]
	v_mov_b32_e32 v3, s10
	s_xor_b64 exec, exec, s[6:7]
	s_cbranch_execz .LBB58_222
.LBB58_2272:
	v_mov_b32_e32 v3, 0
	v_cmp_ne_u16_sdwa s[8:9], v4, v3 src0_sel:BYTE_3 src1_sel:DWORD
	s_andn2_b64 s[4:5], s[4:5], exec
	s_and_b64 s[8:9], s[8:9], exec
	s_or_b64 s[4:5], s[4:5], s[8:9]
	s_or_b64 exec, exec, s[6:7]
	s_and_saveexec_b64 s[6:7], s[4:5]
	s_cbranch_execnz .LBB58_223
	s_branch .LBB58_224
.LBB58_2273:
	s_movk_i32 s4, 0x80
	v_cmp_eq_u16_sdwa s[12:13], v9, s4 src0_sel:BYTE_0 src1_sel:DWORD
	s_mov_b64 s[4:5], -1
                                        ; implicit-def: $sgpr10
	s_and_saveexec_b64 s[8:9], s[12:13]
; %bb.2274:
	s_mov_b32 s10, 0x7f800001
	s_xor_b64 s[4:5], exec, -1
; %bb.2275:
	s_or_b64 exec, exec, s[8:9]
	s_and_b64 s[4:5], s[4:5], exec
	s_or_saveexec_b64 s[6:7], s[6:7]
	v_mov_b32_e32 v2, s10
	s_xor_b64 exec, exec, s[6:7]
	s_cbranch_execz .LBB58_226
.LBB58_2276:
	v_mov_b32_e32 v2, 0
	v_cmp_ne_u16_sdwa s[8:9], v9, v2 src0_sel:BYTE_0 src1_sel:DWORD
	s_andn2_b64 s[4:5], s[4:5], exec
	s_and_b64 s[8:9], s[8:9], exec
	s_or_b64 s[4:5], s[4:5], s[8:9]
	s_or_b64 exec, exec, s[6:7]
	s_and_saveexec_b64 s[6:7], s[4:5]
	s_cbranch_execnz .LBB58_227
	s_branch .LBB58_228
.LBB58_2277:
	s_movk_i32 s4, 0x80
	v_cmp_eq_u16_sdwa s[12:13], v5, s4 src0_sel:BYTE_0 src1_sel:DWORD
	s_mov_b64 s[4:5], -1
                                        ; implicit-def: $sgpr10
	s_and_saveexec_b64 s[8:9], s[12:13]
; %bb.2278:
	s_mov_b32 s10, 0x7f800001
	s_xor_b64 s[4:5], exec, -1
; %bb.2279:
	s_or_b64 exec, exec, s[8:9]
	s_and_b64 s[4:5], s[4:5], exec
	s_or_saveexec_b64 s[6:7], s[6:7]
	v_mov_b32_e32 v3, s10
	s_xor_b64 exec, exec, s[6:7]
	s_cbranch_execz .LBB58_230
.LBB58_2280:
	v_mov_b32_e32 v3, 0
	v_cmp_ne_u16_sdwa s[8:9], v5, v3 src0_sel:BYTE_0 src1_sel:DWORD
	s_andn2_b64 s[4:5], s[4:5], exec
	s_and_b64 s[8:9], s[8:9], exec
	s_or_b64 s[4:5], s[4:5], s[8:9]
	s_or_b64 exec, exec, s[6:7]
	s_and_saveexec_b64 s[6:7], s[4:5]
	s_cbranch_execnz .LBB58_231
	s_branch .LBB58_232
.LBB58_2281:
	s_movk_i32 s4, 0x80
	v_cmp_eq_u16_sdwa s[12:13], v3, s4 src0_sel:BYTE_0 src1_sel:DWORD
	s_mov_b64 s[4:5], -1
                                        ; implicit-def: $sgpr10
	s_and_saveexec_b64 s[8:9], s[12:13]
; %bb.2282:
	s_mov_b32 s10, 0x7f800001
	s_xor_b64 s[4:5], exec, -1
; %bb.2283:
	s_or_b64 exec, exec, s[8:9]
	s_and_b64 s[4:5], s[4:5], exec
	s_or_saveexec_b64 s[6:7], s[6:7]
	v_mov_b32_e32 v2, s10
	s_xor_b64 exec, exec, s[6:7]
	s_cbranch_execz .LBB58_234
.LBB58_2284:
	v_mov_b32_e32 v2, 0
	v_cmp_ne_u16_sdwa s[8:9], v3, v2 src0_sel:BYTE_0 src1_sel:DWORD
	s_andn2_b64 s[4:5], s[4:5], exec
	s_and_b64 s[8:9], s[8:9], exec
	s_or_b64 s[4:5], s[4:5], s[8:9]
	s_or_b64 exec, exec, s[6:7]
	s_and_saveexec_b64 s[6:7], s[4:5]
	s_cbranch_execnz .LBB58_235
	s_branch .LBB58_236
.LBB58_2285:
	s_movk_i32 s4, 0x80
	v_cmp_eq_u16_sdwa s[12:13], v3, s4 src0_sel:BYTE_0 src1_sel:DWORD
	s_mov_b64 s[4:5], -1
                                        ; implicit-def: $sgpr10
	s_and_saveexec_b64 s[8:9], s[12:13]
; %bb.2286:
	s_mov_b32 s10, 0x7f800001
	s_xor_b64 s[4:5], exec, -1
; %bb.2287:
	s_or_b64 exec, exec, s[8:9]
	s_and_b64 s[4:5], s[4:5], exec
	s_or_saveexec_b64 s[6:7], s[6:7]
	v_mov_b32_e32 v4, s10
	s_xor_b64 exec, exec, s[6:7]
	s_cbranch_execz .LBB58_238
.LBB58_2288:
	v_mov_b32_e32 v4, 0
	v_cmp_ne_u16_sdwa s[8:9], v3, v4 src0_sel:BYTE_0 src1_sel:DWORD
	s_andn2_b64 s[4:5], s[4:5], exec
	s_and_b64 s[8:9], s[8:9], exec
	s_or_b64 s[4:5], s[4:5], s[8:9]
	s_or_b64 exec, exec, s[6:7]
	s_and_saveexec_b64 s[6:7], s[4:5]
	s_cbranch_execnz .LBB58_239
	s_branch .LBB58_240
.LBB58_2289:
	s_movk_i32 s4, 0x80
	v_cmp_eq_u16_e32 vcc, s4, v3
	s_mov_b64 s[4:5], -1
                                        ; implicit-def: $sgpr10
	s_and_saveexec_b64 s[8:9], vcc
; %bb.2290:
	s_mov_b32 s10, 0x7f800001
	s_xor_b64 s[4:5], exec, -1
; %bb.2291:
	s_or_b64 exec, exec, s[8:9]
	s_and_b64 s[4:5], s[4:5], exec
                                        ; implicit-def: $vgpr3
	s_or_saveexec_b64 s[6:7], s[6:7]
	v_mov_b32_e32 v2, s10
	s_xor_b64 exec, exec, s[6:7]
	s_cbranch_execz .LBB58_242
.LBB58_2292:
	v_cmp_ne_u16_e32 vcc, 0, v3
	s_andn2_b64 s[4:5], s[4:5], exec
	s_and_b64 s[8:9], vcc, exec
	v_mov_b32_e32 v2, 0
	s_or_b64 s[4:5], s[4:5], s[8:9]
	s_or_b64 exec, exec, s[6:7]
	s_and_saveexec_b64 s[6:7], s[4:5]
	s_cbranch_execnz .LBB58_243
	s_branch .LBB58_244
.LBB58_2293:
	s_movk_i32 s4, 0x80
	v_cmp_eq_u16_e32 vcc, s4, v3
	s_mov_b64 s[4:5], -1
                                        ; implicit-def: $sgpr10
	s_and_saveexec_b64 s[8:9], vcc
; %bb.2294:
	s_mov_b32 s10, 0x7f800001
	s_xor_b64 s[4:5], exec, -1
; %bb.2295:
	s_or_b64 exec, exec, s[8:9]
	s_and_b64 s[4:5], s[4:5], exec
                                        ; implicit-def: $vgpr3
	s_or_saveexec_b64 s[6:7], s[6:7]
	v_mov_b32_e32 v4, s10
	s_xor_b64 exec, exec, s[6:7]
	s_cbranch_execz .LBB58_246
.LBB58_2296:
	v_cmp_ne_u16_e32 vcc, 0, v3
	s_andn2_b64 s[4:5], s[4:5], exec
	s_and_b64 s[8:9], vcc, exec
	v_mov_b32_e32 v4, 0
	s_or_b64 s[4:5], s[4:5], s[8:9]
	s_or_b64 exec, exec, s[6:7]
	s_and_saveexec_b64 s[6:7], s[4:5]
	s_cbranch_execnz .LBB58_247
	s_branch .LBB58_248
.LBB58_2297:
	s_movk_i32 s4, 0x80
	v_cmp_eq_u16_sdwa s[12:13], v9, s4 src0_sel:BYTE_3 src1_sel:DWORD
	s_mov_b64 s[4:5], -1
                                        ; implicit-def: $sgpr10
	s_and_saveexec_b64 s[8:9], s[12:13]
; %bb.2298:
	s_mov_b32 s10, 0x7f800001
	s_xor_b64 s[4:5], exec, -1
; %bb.2299:
	s_or_b64 exec, exec, s[8:9]
	s_and_b64 s[4:5], s[4:5], exec
	s_or_saveexec_b64 s[6:7], s[6:7]
	v_mov_b32_e32 v2, s10
	s_xor_b64 exec, exec, s[6:7]
	s_cbranch_execz .LBB58_250
.LBB58_2300:
	v_mov_b32_e32 v2, 0
	v_cmp_ne_u16_sdwa s[8:9], v9, v2 src0_sel:BYTE_3 src1_sel:DWORD
	s_andn2_b64 s[4:5], s[4:5], exec
	s_and_b64 s[8:9], s[8:9], exec
	s_or_b64 s[4:5], s[4:5], s[8:9]
	s_or_b64 exec, exec, s[6:7]
	s_and_saveexec_b64 s[6:7], s[4:5]
	s_cbranch_execnz .LBB58_251
	s_branch .LBB58_252
.LBB58_2301:
	s_movk_i32 s4, 0x80
	v_cmp_eq_u16_sdwa s[12:13], v5, s4 src0_sel:BYTE_3 src1_sel:DWORD
	s_mov_b64 s[4:5], -1
                                        ; implicit-def: $sgpr10
	s_and_saveexec_b64 s[8:9], s[12:13]
; %bb.2302:
	s_mov_b32 s10, 0x7f800001
	s_xor_b64 s[4:5], exec, -1
; %bb.2303:
	s_or_b64 exec, exec, s[8:9]
	s_and_b64 s[4:5], s[4:5], exec
	s_or_saveexec_b64 s[6:7], s[6:7]
	v_mov_b32_e32 v3, s10
	s_xor_b64 exec, exec, s[6:7]
	s_cbranch_execz .LBB58_254
.LBB58_2304:
	v_mov_b32_e32 v3, 0
	v_cmp_ne_u16_sdwa s[8:9], v5, v3 src0_sel:BYTE_3 src1_sel:DWORD
	s_andn2_b64 s[4:5], s[4:5], exec
	s_and_b64 s[8:9], s[8:9], exec
	s_or_b64 s[4:5], s[4:5], s[8:9]
	s_or_b64 exec, exec, s[6:7]
	s_and_saveexec_b64 s[6:7], s[4:5]
	s_cbranch_execnz .LBB58_255
	s_branch .LBB58_256
.LBB58_2305:
	s_movk_i32 s4, 0x80
	v_cmp_eq_u16_sdwa s[12:13], v14, s4 src0_sel:BYTE_0 src1_sel:DWORD
	s_mov_b64 s[4:5], -1
                                        ; implicit-def: $sgpr10
	s_and_saveexec_b64 s[8:9], s[12:13]
; %bb.2306:
	s_mov_b32 s10, 0x7f800001
	s_xor_b64 s[4:5], exec, -1
; %bb.2307:
	s_or_b64 exec, exec, s[8:9]
	s_and_b64 s[4:5], s[4:5], exec
	s_or_saveexec_b64 s[6:7], s[6:7]
	v_mov_b32_e32 v20, s10
	s_xor_b64 exec, exec, s[6:7]
	s_cbranch_execz .LBB58_258
.LBB58_2308:
	v_mov_b32_e32 v20, 0
	v_cmp_ne_u16_sdwa s[8:9], v14, v20 src0_sel:BYTE_0 src1_sel:DWORD
	s_andn2_b64 s[4:5], s[4:5], exec
	s_and_b64 s[8:9], s[8:9], exec
	s_or_b64 s[4:5], s[4:5], s[8:9]
	s_or_b64 exec, exec, s[6:7]
	s_and_saveexec_b64 s[6:7], s[4:5]
	s_cbranch_execnz .LBB58_259
	s_branch .LBB58_260
.LBB58_2309:
	s_movk_i32 s4, 0x80
	v_cmp_eq_u16_sdwa s[12:13], v10, s4 src0_sel:BYTE_0 src1_sel:DWORD
	s_mov_b64 s[4:5], -1
                                        ; implicit-def: $sgpr10
	s_and_saveexec_b64 s[8:9], s[12:13]
; %bb.2310:
	s_mov_b32 s10, 0x7f800001
	s_xor_b64 s[4:5], exec, -1
; %bb.2311:
	s_or_b64 exec, exec, s[8:9]
	s_and_b64 s[4:5], s[4:5], exec
	s_or_saveexec_b64 s[6:7], s[6:7]
	v_mov_b32_e32 v21, s10
	s_xor_b64 exec, exec, s[6:7]
	s_cbranch_execz .LBB58_262
.LBB58_2312:
	v_mov_b32_e32 v21, 0
	v_cmp_ne_u16_sdwa s[8:9], v10, v21 src0_sel:BYTE_0 src1_sel:DWORD
	s_andn2_b64 s[4:5], s[4:5], exec
	s_and_b64 s[8:9], s[8:9], exec
	s_or_b64 s[4:5], s[4:5], s[8:9]
	s_or_b64 exec, exec, s[6:7]
	s_and_saveexec_b64 s[6:7], s[4:5]
	s_cbranch_execnz .LBB58_263
	s_branch .LBB58_264
.LBB58_2313:
	s_movk_i32 s4, 0x80
	v_cmp_eq_u16_sdwa s[12:13], v21, s4 src0_sel:BYTE_0 src1_sel:DWORD
	s_mov_b64 s[4:5], -1
                                        ; implicit-def: $sgpr10
	s_and_saveexec_b64 s[8:9], s[12:13]
; %bb.2314:
	s_mov_b32 s10, 0x7f800001
	s_xor_b64 s[4:5], exec, -1
; %bb.2315:
	s_or_b64 exec, exec, s[8:9]
	s_and_b64 s[4:5], s[4:5], exec
	s_or_saveexec_b64 s[6:7], s[6:7]
	v_mov_b32_e32 v20, s10
	s_xor_b64 exec, exec, s[6:7]
	s_cbranch_execz .LBB58_266
.LBB58_2316:
	v_mov_b32_e32 v20, 0
	v_cmp_ne_u16_sdwa s[8:9], v21, v20 src0_sel:BYTE_0 src1_sel:DWORD
	s_andn2_b64 s[4:5], s[4:5], exec
	s_and_b64 s[8:9], s[8:9], exec
	s_or_b64 s[4:5], s[4:5], s[8:9]
	s_or_b64 exec, exec, s[6:7]
	s_and_saveexec_b64 s[6:7], s[4:5]
	s_cbranch_execnz .LBB58_267
	s_branch .LBB58_268
.LBB58_2317:
	s_movk_i32 s4, 0x80
	v_cmp_eq_u16_sdwa s[12:13], v21, s4 src0_sel:BYTE_0 src1_sel:DWORD
	s_mov_b64 s[4:5], -1
                                        ; implicit-def: $sgpr10
	s_and_saveexec_b64 s[8:9], s[12:13]
; %bb.2318:
	s_mov_b32 s10, 0x7f800001
	s_xor_b64 s[4:5], exec, -1
; %bb.2319:
	s_or_b64 exec, exec, s[8:9]
	s_and_b64 s[4:5], s[4:5], exec
	s_or_saveexec_b64 s[6:7], s[6:7]
	v_mov_b32_e32 v22, s10
	s_xor_b64 exec, exec, s[6:7]
	s_cbranch_execz .LBB58_270
.LBB58_2320:
	v_mov_b32_e32 v22, 0
	v_cmp_ne_u16_sdwa s[8:9], v21, v22 src0_sel:BYTE_0 src1_sel:DWORD
	s_andn2_b64 s[4:5], s[4:5], exec
	s_and_b64 s[8:9], s[8:9], exec
	s_or_b64 s[4:5], s[4:5], s[8:9]
	s_or_b64 exec, exec, s[6:7]
	s_and_saveexec_b64 s[6:7], s[4:5]
	s_cbranch_execnz .LBB58_271
	s_branch .LBB58_272
.LBB58_2321:
	s_movk_i32 s4, 0x80
	v_cmp_eq_u16_e32 vcc, s4, v21
	s_mov_b64 s[4:5], -1
                                        ; implicit-def: $sgpr10
	s_and_saveexec_b64 s[8:9], vcc
; %bb.2322:
	s_mov_b32 s10, 0x7f800001
	s_xor_b64 s[4:5], exec, -1
; %bb.2323:
	s_or_b64 exec, exec, s[8:9]
	s_and_b64 s[4:5], s[4:5], exec
                                        ; implicit-def: $vgpr21
	s_or_saveexec_b64 s[6:7], s[6:7]
	v_mov_b32_e32 v20, s10
	s_xor_b64 exec, exec, s[6:7]
	s_cbranch_execz .LBB58_274
.LBB58_2324:
	v_cmp_ne_u16_e32 vcc, 0, v21
	s_andn2_b64 s[4:5], s[4:5], exec
	s_and_b64 s[8:9], vcc, exec
	v_mov_b32_e32 v20, 0
	s_or_b64 s[4:5], s[4:5], s[8:9]
	s_or_b64 exec, exec, s[6:7]
	s_and_saveexec_b64 s[6:7], s[4:5]
	s_cbranch_execnz .LBB58_275
	s_branch .LBB58_276
.LBB58_2325:
	s_movk_i32 s4, 0x80
	v_cmp_eq_u16_e32 vcc, s4, v21
	s_mov_b64 s[4:5], -1
                                        ; implicit-def: $sgpr10
	s_and_saveexec_b64 s[8:9], vcc
; %bb.2326:
	s_mov_b32 s10, 0x7f800001
	s_xor_b64 s[4:5], exec, -1
; %bb.2327:
	s_or_b64 exec, exec, s[8:9]
	s_and_b64 s[4:5], s[4:5], exec
                                        ; implicit-def: $vgpr21
	s_or_saveexec_b64 s[6:7], s[6:7]
	v_mov_b32_e32 v22, s10
	s_xor_b64 exec, exec, s[6:7]
	s_cbranch_execz .LBB58_278
.LBB58_2328:
	v_cmp_ne_u16_e32 vcc, 0, v21
	s_andn2_b64 s[4:5], s[4:5], exec
	s_and_b64 s[8:9], vcc, exec
	v_mov_b32_e32 v22, 0
	s_or_b64 s[4:5], s[4:5], s[8:9]
	s_or_b64 exec, exec, s[6:7]
	s_and_saveexec_b64 s[6:7], s[4:5]
	s_cbranch_execnz .LBB58_279
	s_branch .LBB58_280
.LBB58_2329:
	s_movk_i32 s4, 0x80
	v_cmp_eq_u16_sdwa s[12:13], v14, s4 src0_sel:BYTE_3 src1_sel:DWORD
	s_mov_b64 s[4:5], -1
                                        ; implicit-def: $sgpr10
	s_and_saveexec_b64 s[8:9], s[12:13]
; %bb.2330:
	s_mov_b32 s10, 0x7f800001
	s_xor_b64 s[4:5], exec, -1
; %bb.2331:
	s_or_b64 exec, exec, s[8:9]
	s_and_b64 s[4:5], s[4:5], exec
	s_or_saveexec_b64 s[6:7], s[6:7]
	v_mov_b32_e32 v20, s10
	s_xor_b64 exec, exec, s[6:7]
	s_cbranch_execz .LBB58_282
.LBB58_2332:
	v_mov_b32_e32 v20, 0
	v_cmp_ne_u16_sdwa s[8:9], v14, v20 src0_sel:BYTE_3 src1_sel:DWORD
	s_andn2_b64 s[4:5], s[4:5], exec
	s_and_b64 s[8:9], s[8:9], exec
	s_or_b64 s[4:5], s[4:5], s[8:9]
	s_or_b64 exec, exec, s[6:7]
	s_and_saveexec_b64 s[6:7], s[4:5]
	s_cbranch_execnz .LBB58_283
	s_branch .LBB58_284
.LBB58_2333:
	s_movk_i32 s4, 0x80
	v_cmp_eq_u16_sdwa s[12:13], v10, s4 src0_sel:BYTE_3 src1_sel:DWORD
	s_mov_b64 s[4:5], -1
                                        ; implicit-def: $sgpr10
	s_and_saveexec_b64 s[8:9], s[12:13]
; %bb.2334:
	s_mov_b32 s10, 0x7f800001
	s_xor_b64 s[4:5], exec, -1
; %bb.2335:
	s_or_b64 exec, exec, s[8:9]
	s_and_b64 s[4:5], s[4:5], exec
	s_or_saveexec_b64 s[6:7], s[6:7]
	v_mov_b32_e32 v14, s10
	s_xor_b64 exec, exec, s[6:7]
	s_cbranch_execz .LBB58_286
.LBB58_2336:
	v_mov_b32_e32 v14, 0
	v_cmp_ne_u16_sdwa s[8:9], v10, v14 src0_sel:BYTE_3 src1_sel:DWORD
	s_andn2_b64 s[4:5], s[4:5], exec
	s_and_b64 s[8:9], s[8:9], exec
	s_or_b64 s[4:5], s[4:5], s[8:9]
	s_or_b64 exec, exec, s[6:7]
	s_and_saveexec_b64 s[6:7], s[4:5]
	s_cbranch_execnz .LBB58_287
	s_branch .LBB58_288
.LBB58_2337:
	s_movk_i32 s4, 0x80
	v_cmp_eq_u16_sdwa s[12:13], v15, s4 src0_sel:BYTE_0 src1_sel:DWORD
	s_mov_b64 s[4:5], -1
                                        ; implicit-def: $sgpr10
	s_and_saveexec_b64 s[8:9], s[12:13]
; %bb.2338:
	s_mov_b32 s10, 0x7f800001
	s_xor_b64 s[4:5], exec, -1
; %bb.2339:
	s_or_b64 exec, exec, s[8:9]
	s_and_b64 s[4:5], s[4:5], exec
	s_or_saveexec_b64 s[6:7], s[6:7]
	v_mov_b32_e32 v10, s10
	s_xor_b64 exec, exec, s[6:7]
	s_cbranch_execz .LBB58_290
.LBB58_2340:
	v_mov_b32_e32 v10, 0
	v_cmp_ne_u16_sdwa s[8:9], v15, v10 src0_sel:BYTE_0 src1_sel:DWORD
	s_andn2_b64 s[4:5], s[4:5], exec
	s_and_b64 s[8:9], s[8:9], exec
	s_or_b64 s[4:5], s[4:5], s[8:9]
	s_or_b64 exec, exec, s[6:7]
	s_and_saveexec_b64 s[6:7], s[4:5]
	s_cbranch_execnz .LBB58_291
	s_branch .LBB58_292
.LBB58_2341:
	s_movk_i32 s4, 0x80
	v_cmp_eq_u16_sdwa s[12:13], v11, s4 src0_sel:BYTE_0 src1_sel:DWORD
	s_mov_b64 s[4:5], -1
                                        ; implicit-def: $sgpr10
	s_and_saveexec_b64 s[8:9], s[12:13]
; %bb.2342:
	s_mov_b32 s10, 0x7f800001
	s_xor_b64 s[4:5], exec, -1
; %bb.2343:
	s_or_b64 exec, exec, s[8:9]
	s_and_b64 s[4:5], s[4:5], exec
	s_or_saveexec_b64 s[6:7], s[6:7]
	v_mov_b32_e32 v14, s10
	s_xor_b64 exec, exec, s[6:7]
	s_cbranch_execz .LBB58_294
.LBB58_2344:
	v_mov_b32_e32 v14, 0
	v_cmp_ne_u16_sdwa s[8:9], v11, v14 src0_sel:BYTE_0 src1_sel:DWORD
	s_andn2_b64 s[4:5], s[4:5], exec
	s_and_b64 s[8:9], s[8:9], exec
	s_or_b64 s[4:5], s[4:5], s[8:9]
	s_or_b64 exec, exec, s[6:7]
	s_and_saveexec_b64 s[6:7], s[4:5]
	s_cbranch_execnz .LBB58_295
	s_branch .LBB58_296
.LBB58_2345:
	s_movk_i32 s4, 0x80
	v_cmp_eq_u16_sdwa s[12:13], v14, s4 src0_sel:BYTE_0 src1_sel:DWORD
	s_mov_b64 s[4:5], -1
                                        ; implicit-def: $sgpr10
	s_and_saveexec_b64 s[8:9], s[12:13]
; %bb.2346:
	s_mov_b32 s10, 0x7f800001
	s_xor_b64 s[4:5], exec, -1
; %bb.2347:
	s_or_b64 exec, exec, s[8:9]
	s_and_b64 s[4:5], s[4:5], exec
	s_or_saveexec_b64 s[6:7], s[6:7]
	v_mov_b32_e32 v10, s10
	s_xor_b64 exec, exec, s[6:7]
	s_cbranch_execz .LBB58_298
.LBB58_2348:
	v_mov_b32_e32 v10, 0
	v_cmp_ne_u16_sdwa s[8:9], v14, v10 src0_sel:BYTE_0 src1_sel:DWORD
	s_andn2_b64 s[4:5], s[4:5], exec
	s_and_b64 s[8:9], s[8:9], exec
	s_or_b64 s[4:5], s[4:5], s[8:9]
	s_or_b64 exec, exec, s[6:7]
	s_and_saveexec_b64 s[6:7], s[4:5]
	s_cbranch_execnz .LBB58_299
	s_branch .LBB58_300
.LBB58_2349:
	s_movk_i32 s4, 0x80
	v_cmp_eq_u16_sdwa s[12:13], v14, s4 src0_sel:BYTE_0 src1_sel:DWORD
	s_mov_b64 s[4:5], -1
                                        ; implicit-def: $sgpr10
	s_and_saveexec_b64 s[8:9], s[12:13]
; %bb.2350:
	s_mov_b32 s10, 0x7f800001
	s_xor_b64 s[4:5], exec, -1
; %bb.2351:
	s_or_b64 exec, exec, s[8:9]
	s_and_b64 s[4:5], s[4:5], exec
	s_or_saveexec_b64 s[6:7], s[6:7]
	v_mov_b32_e32 v20, s10
	s_xor_b64 exec, exec, s[6:7]
	s_cbranch_execz .LBB58_302
.LBB58_2352:
	v_mov_b32_e32 v20, 0
	v_cmp_ne_u16_sdwa s[8:9], v14, v20 src0_sel:BYTE_0 src1_sel:DWORD
	s_andn2_b64 s[4:5], s[4:5], exec
	s_and_b64 s[8:9], s[8:9], exec
	s_or_b64 s[4:5], s[4:5], s[8:9]
	s_or_b64 exec, exec, s[6:7]
	s_and_saveexec_b64 s[6:7], s[4:5]
	s_cbranch_execnz .LBB58_303
	s_branch .LBB58_304
.LBB58_2353:
	s_movk_i32 s4, 0x80
	v_cmp_eq_u16_e32 vcc, s4, v14
	s_mov_b64 s[4:5], -1
                                        ; implicit-def: $sgpr10
	s_and_saveexec_b64 s[8:9], vcc
; %bb.2354:
	s_mov_b32 s10, 0x7f800001
	s_xor_b64 s[4:5], exec, -1
; %bb.2355:
	s_or_b64 exec, exec, s[8:9]
	s_and_b64 s[4:5], s[4:5], exec
                                        ; implicit-def: $vgpr14
	s_or_saveexec_b64 s[6:7], s[6:7]
	v_mov_b32_e32 v10, s10
	s_xor_b64 exec, exec, s[6:7]
	s_cbranch_execz .LBB58_306
.LBB58_2356:
	v_cmp_ne_u16_e32 vcc, 0, v14
	s_andn2_b64 s[4:5], s[4:5], exec
	s_and_b64 s[8:9], vcc, exec
	v_mov_b32_e32 v10, 0
	s_or_b64 s[4:5], s[4:5], s[8:9]
	s_or_b64 exec, exec, s[6:7]
	s_and_saveexec_b64 s[6:7], s[4:5]
	s_cbranch_execnz .LBB58_307
	s_branch .LBB58_308
.LBB58_2357:
	s_movk_i32 s4, 0x80
	v_cmp_eq_u16_e32 vcc, s4, v14
	s_mov_b64 s[4:5], -1
                                        ; implicit-def: $sgpr10
	s_and_saveexec_b64 s[8:9], vcc
; %bb.2358:
	s_mov_b32 s10, 0x7f800001
	s_xor_b64 s[4:5], exec, -1
; %bb.2359:
	s_or_b64 exec, exec, s[8:9]
	s_and_b64 s[4:5], s[4:5], exec
                                        ; implicit-def: $vgpr14
	s_or_saveexec_b64 s[6:7], s[6:7]
	v_mov_b32_e32 v20, s10
	s_xor_b64 exec, exec, s[6:7]
	s_cbranch_execz .LBB58_310
.LBB58_2360:
	v_cmp_ne_u16_e32 vcc, 0, v14
	s_andn2_b64 s[4:5], s[4:5], exec
	s_and_b64 s[8:9], vcc, exec
	v_mov_b32_e32 v20, 0
	s_or_b64 s[4:5], s[4:5], s[8:9]
	s_or_b64 exec, exec, s[6:7]
	s_and_saveexec_b64 s[6:7], s[4:5]
	s_cbranch_execnz .LBB58_311
	s_branch .LBB58_312
.LBB58_2361:
	s_movk_i32 s4, 0x80
	v_cmp_eq_u16_sdwa s[12:13], v15, s4 src0_sel:BYTE_3 src1_sel:DWORD
	s_mov_b64 s[4:5], -1
                                        ; implicit-def: $sgpr10
	s_and_saveexec_b64 s[8:9], s[12:13]
; %bb.2362:
	s_mov_b32 s10, 0x7f800001
	s_xor_b64 s[4:5], exec, -1
; %bb.2363:
	s_or_b64 exec, exec, s[8:9]
	s_and_b64 s[4:5], s[4:5], exec
	s_or_saveexec_b64 s[6:7], s[6:7]
	v_mov_b32_e32 v10, s10
	s_xor_b64 exec, exec, s[6:7]
	s_cbranch_execz .LBB58_314
.LBB58_2364:
	v_mov_b32_e32 v10, 0
	v_cmp_ne_u16_sdwa s[8:9], v15, v10 src0_sel:BYTE_3 src1_sel:DWORD
	s_andn2_b64 s[4:5], s[4:5], exec
	s_and_b64 s[8:9], s[8:9], exec
	s_or_b64 s[4:5], s[4:5], s[8:9]
	s_or_b64 exec, exec, s[6:7]
	s_and_saveexec_b64 s[6:7], s[4:5]
	s_cbranch_execnz .LBB58_315
	s_branch .LBB58_316
.LBB58_2365:
	s_movk_i32 s4, 0x80
	v_cmp_eq_u16_sdwa s[12:13], v11, s4 src0_sel:BYTE_3 src1_sel:DWORD
	s_mov_b64 s[4:5], -1
                                        ; implicit-def: $sgpr10
	s_and_saveexec_b64 s[8:9], s[12:13]
; %bb.2366:
	s_mov_b32 s10, 0x7f800001
	s_xor_b64 s[4:5], exec, -1
; %bb.2367:
	s_or_b64 exec, exec, s[8:9]
	s_and_b64 s[4:5], s[4:5], exec
	s_or_saveexec_b64 s[6:7], s[6:7]
	v_mov_b32_e32 v14, s10
	s_xor_b64 exec, exec, s[6:7]
	s_cbranch_execz .LBB58_318
.LBB58_2368:
	v_mov_b32_e32 v14, 0
	v_cmp_ne_u16_sdwa s[8:9], v11, v14 src0_sel:BYTE_3 src1_sel:DWORD
	s_andn2_b64 s[4:5], s[4:5], exec
	s_and_b64 s[8:9], s[8:9], exec
	s_or_b64 s[4:5], s[4:5], s[8:9]
	s_or_b64 exec, exec, s[6:7]
	s_and_saveexec_b64 s[6:7], s[4:5]
	s_cbranch_execnz .LBB58_319
	s_branch .LBB58_320
.LBB58_2369:
	s_movk_i32 s4, 0x80
	v_cmp_eq_u16_sdwa s[12:13], v16, s4 src0_sel:BYTE_0 src1_sel:DWORD
	s_mov_b64 s[4:5], -1
                                        ; implicit-def: $sgpr10
	s_and_saveexec_b64 s[8:9], s[12:13]
; %bb.2370:
	s_mov_b32 s10, 0x7f800001
	s_xor_b64 s[4:5], exec, -1
; %bb.2371:
	s_or_b64 exec, exec, s[8:9]
	s_and_b64 s[4:5], s[4:5], exec
	s_or_saveexec_b64 s[6:7], s[6:7]
	v_mov_b32_e32 v10, s10
	s_xor_b64 exec, exec, s[6:7]
	s_cbranch_execz .LBB58_322
.LBB58_2372:
	v_mov_b32_e32 v10, 0
	v_cmp_ne_u16_sdwa s[8:9], v16, v10 src0_sel:BYTE_0 src1_sel:DWORD
	s_andn2_b64 s[4:5], s[4:5], exec
	s_and_b64 s[8:9], s[8:9], exec
	s_or_b64 s[4:5], s[4:5], s[8:9]
	s_or_b64 exec, exec, s[6:7]
	s_and_saveexec_b64 s[6:7], s[4:5]
	s_cbranch_execnz .LBB58_323
	s_branch .LBB58_324
.LBB58_2373:
	s_movk_i32 s4, 0x80
	v_cmp_eq_u16_sdwa s[12:13], v12, s4 src0_sel:BYTE_0 src1_sel:DWORD
	s_mov_b64 s[4:5], -1
                                        ; implicit-def: $sgpr10
	s_and_saveexec_b64 s[8:9], s[12:13]
; %bb.2374:
	s_mov_b32 s10, 0x7f800001
	s_xor_b64 s[4:5], exec, -1
; %bb.2375:
	s_or_b64 exec, exec, s[8:9]
	s_and_b64 s[4:5], s[4:5], exec
	s_or_saveexec_b64 s[6:7], s[6:7]
	v_mov_b32_e32 v11, s10
	s_xor_b64 exec, exec, s[6:7]
	s_cbranch_execz .LBB58_326
.LBB58_2376:
	v_mov_b32_e32 v11, 0
	v_cmp_ne_u16_sdwa s[8:9], v12, v11 src0_sel:BYTE_0 src1_sel:DWORD
	s_andn2_b64 s[4:5], s[4:5], exec
	s_and_b64 s[8:9], s[8:9], exec
	s_or_b64 s[4:5], s[4:5], s[8:9]
	s_or_b64 exec, exec, s[6:7]
	s_and_saveexec_b64 s[6:7], s[4:5]
	s_cbranch_execnz .LBB58_327
	s_branch .LBB58_328
.LBB58_2377:
	s_movk_i32 s4, 0x80
	v_cmp_eq_u16_sdwa s[12:13], v11, s4 src0_sel:BYTE_0 src1_sel:DWORD
	s_mov_b64 s[4:5], -1
                                        ; implicit-def: $sgpr10
	s_and_saveexec_b64 s[8:9], s[12:13]
; %bb.2378:
	s_mov_b32 s10, 0x7f800001
	s_xor_b64 s[4:5], exec, -1
; %bb.2379:
	s_or_b64 exec, exec, s[8:9]
	s_and_b64 s[4:5], s[4:5], exec
	s_or_saveexec_b64 s[6:7], s[6:7]
	v_mov_b32_e32 v10, s10
	s_xor_b64 exec, exec, s[6:7]
	s_cbranch_execz .LBB58_330
.LBB58_2380:
	v_mov_b32_e32 v10, 0
	v_cmp_ne_u16_sdwa s[8:9], v11, v10 src0_sel:BYTE_0 src1_sel:DWORD
	s_andn2_b64 s[4:5], s[4:5], exec
	s_and_b64 s[8:9], s[8:9], exec
	s_or_b64 s[4:5], s[4:5], s[8:9]
	s_or_b64 exec, exec, s[6:7]
	s_and_saveexec_b64 s[6:7], s[4:5]
	s_cbranch_execnz .LBB58_331
	s_branch .LBB58_332
.LBB58_2381:
	s_movk_i32 s4, 0x80
	v_cmp_eq_u16_sdwa s[12:13], v11, s4 src0_sel:BYTE_0 src1_sel:DWORD
	s_mov_b64 s[4:5], -1
                                        ; implicit-def: $sgpr10
	s_and_saveexec_b64 s[8:9], s[12:13]
; %bb.2382:
	s_mov_b32 s10, 0x7f800001
	s_xor_b64 s[4:5], exec, -1
; %bb.2383:
	s_or_b64 exec, exec, s[8:9]
	s_and_b64 s[4:5], s[4:5], exec
	s_or_saveexec_b64 s[6:7], s[6:7]
	v_mov_b32_e32 v14, s10
	s_xor_b64 exec, exec, s[6:7]
	s_cbranch_execz .LBB58_334
.LBB58_2384:
	v_mov_b32_e32 v14, 0
	v_cmp_ne_u16_sdwa s[8:9], v11, v14 src0_sel:BYTE_0 src1_sel:DWORD
	s_andn2_b64 s[4:5], s[4:5], exec
	s_and_b64 s[8:9], s[8:9], exec
	s_or_b64 s[4:5], s[4:5], s[8:9]
	s_or_b64 exec, exec, s[6:7]
	s_and_saveexec_b64 s[6:7], s[4:5]
	s_cbranch_execnz .LBB58_335
	s_branch .LBB58_336
.LBB58_2385:
	s_movk_i32 s4, 0x80
	v_cmp_eq_u16_e32 vcc, s4, v11
	s_mov_b64 s[4:5], -1
                                        ; implicit-def: $sgpr10
	s_and_saveexec_b64 s[8:9], vcc
; %bb.2386:
	s_mov_b32 s10, 0x7f800001
	s_xor_b64 s[4:5], exec, -1
; %bb.2387:
	s_or_b64 exec, exec, s[8:9]
	s_and_b64 s[4:5], s[4:5], exec
                                        ; implicit-def: $vgpr11
	s_or_saveexec_b64 s[6:7], s[6:7]
	v_mov_b32_e32 v10, s10
	s_xor_b64 exec, exec, s[6:7]
	s_cbranch_execz .LBB58_338
.LBB58_2388:
	v_cmp_ne_u16_e32 vcc, 0, v11
	s_andn2_b64 s[4:5], s[4:5], exec
	s_and_b64 s[8:9], vcc, exec
	v_mov_b32_e32 v10, 0
	s_or_b64 s[4:5], s[4:5], s[8:9]
	s_or_b64 exec, exec, s[6:7]
	s_and_saveexec_b64 s[6:7], s[4:5]
	s_cbranch_execnz .LBB58_339
	s_branch .LBB58_340
.LBB58_2389:
	s_movk_i32 s4, 0x80
	v_cmp_eq_u16_e32 vcc, s4, v11
	s_mov_b64 s[4:5], -1
                                        ; implicit-def: $sgpr10
	s_and_saveexec_b64 s[8:9], vcc
; %bb.2390:
	s_mov_b32 s10, 0x7f800001
	s_xor_b64 s[4:5], exec, -1
; %bb.2391:
	s_or_b64 exec, exec, s[8:9]
	s_and_b64 s[4:5], s[4:5], exec
                                        ; implicit-def: $vgpr11
	s_or_saveexec_b64 s[6:7], s[6:7]
	v_mov_b32_e32 v14, s10
	s_xor_b64 exec, exec, s[6:7]
	s_cbranch_execz .LBB58_342
.LBB58_2392:
	v_cmp_ne_u16_e32 vcc, 0, v11
	s_andn2_b64 s[4:5], s[4:5], exec
	s_and_b64 s[8:9], vcc, exec
	v_mov_b32_e32 v14, 0
	s_or_b64 s[4:5], s[4:5], s[8:9]
	s_or_b64 exec, exec, s[6:7]
	s_and_saveexec_b64 s[6:7], s[4:5]
	s_cbranch_execnz .LBB58_343
	s_branch .LBB58_344
.LBB58_2393:
	s_movk_i32 s4, 0x80
	v_cmp_eq_u16_sdwa s[12:13], v16, s4 src0_sel:BYTE_3 src1_sel:DWORD
	s_mov_b64 s[4:5], -1
                                        ; implicit-def: $sgpr10
	s_and_saveexec_b64 s[8:9], s[12:13]
; %bb.2394:
	s_mov_b32 s10, 0x7f800001
	s_xor_b64 s[4:5], exec, -1
; %bb.2395:
	s_or_b64 exec, exec, s[8:9]
	s_and_b64 s[4:5], s[4:5], exec
	s_or_saveexec_b64 s[6:7], s[6:7]
	v_mov_b32_e32 v10, s10
	s_xor_b64 exec, exec, s[6:7]
	s_cbranch_execz .LBB58_346
.LBB58_2396:
	v_mov_b32_e32 v10, 0
	v_cmp_ne_u16_sdwa s[8:9], v16, v10 src0_sel:BYTE_3 src1_sel:DWORD
	s_andn2_b64 s[4:5], s[4:5], exec
	s_and_b64 s[8:9], s[8:9], exec
	s_or_b64 s[4:5], s[4:5], s[8:9]
	s_or_b64 exec, exec, s[6:7]
	s_and_saveexec_b64 s[6:7], s[4:5]
	s_cbranch_execnz .LBB58_347
	s_branch .LBB58_348
.LBB58_2397:
	s_movk_i32 s4, 0x80
	v_cmp_eq_u16_sdwa s[12:13], v12, s4 src0_sel:BYTE_3 src1_sel:DWORD
	s_mov_b64 s[4:5], -1
                                        ; implicit-def: $sgpr10
	s_and_saveexec_b64 s[8:9], s[12:13]
; %bb.2398:
	s_mov_b32 s10, 0x7f800001
	s_xor_b64 s[4:5], exec, -1
; %bb.2399:
	s_or_b64 exec, exec, s[8:9]
	s_and_b64 s[4:5], s[4:5], exec
	s_or_saveexec_b64 s[6:7], s[6:7]
	v_mov_b32_e32 v11, s10
	s_xor_b64 exec, exec, s[6:7]
	s_cbranch_execz .LBB58_350
.LBB58_2400:
	v_mov_b32_e32 v11, 0
	v_cmp_ne_u16_sdwa s[8:9], v12, v11 src0_sel:BYTE_3 src1_sel:DWORD
	s_andn2_b64 s[4:5], s[4:5], exec
	s_and_b64 s[8:9], s[8:9], exec
	s_or_b64 s[4:5], s[4:5], s[8:9]
	s_or_b64 exec, exec, s[6:7]
	s_and_saveexec_b64 s[6:7], s[4:5]
	s_cbranch_execnz .LBB58_351
	s_branch .LBB58_352
.LBB58_2401:
	s_movk_i32 s4, 0x80
	v_cmp_eq_u16_sdwa s[12:13], v17, s4 src0_sel:BYTE_0 src1_sel:DWORD
	s_mov_b64 s[4:5], -1
                                        ; implicit-def: $sgpr10
	s_and_saveexec_b64 s[8:9], s[12:13]
; %bb.2402:
	s_mov_b32 s10, 0x7f800001
	s_xor_b64 s[4:5], exec, -1
; %bb.2403:
	s_or_b64 exec, exec, s[8:9]
	s_and_b64 s[4:5], s[4:5], exec
	s_or_saveexec_b64 s[6:7], s[6:7]
	v_mov_b32_e32 v10, s10
	s_xor_b64 exec, exec, s[6:7]
	s_cbranch_execz .LBB58_354
.LBB58_2404:
	v_mov_b32_e32 v10, 0
	v_cmp_ne_u16_sdwa s[8:9], v17, v10 src0_sel:BYTE_0 src1_sel:DWORD
	s_andn2_b64 s[4:5], s[4:5], exec
	s_and_b64 s[8:9], s[8:9], exec
	s_or_b64 s[4:5], s[4:5], s[8:9]
	s_or_b64 exec, exec, s[6:7]
	s_and_saveexec_b64 s[6:7], s[4:5]
	s_cbranch_execnz .LBB58_355
	s_branch .LBB58_356
.LBB58_2405:
	s_movk_i32 s4, 0x80
	v_cmp_eq_u16_sdwa s[12:13], v13, s4 src0_sel:BYTE_0 src1_sel:DWORD
	s_mov_b64 s[4:5], -1
                                        ; implicit-def: $sgpr10
	s_and_saveexec_b64 s[8:9], s[12:13]
; %bb.2406:
	s_mov_b32 s10, 0x7f800001
	s_xor_b64 s[4:5], exec, -1
; %bb.2407:
	s_or_b64 exec, exec, s[8:9]
	s_and_b64 s[4:5], s[4:5], exec
	s_or_saveexec_b64 s[6:7], s[6:7]
	v_mov_b32_e32 v11, s10
	s_xor_b64 exec, exec, s[6:7]
	s_cbranch_execz .LBB58_358
.LBB58_2408:
	v_mov_b32_e32 v11, 0
	v_cmp_ne_u16_sdwa s[8:9], v13, v11 src0_sel:BYTE_0 src1_sel:DWORD
	s_andn2_b64 s[4:5], s[4:5], exec
	s_and_b64 s[8:9], s[8:9], exec
	s_or_b64 s[4:5], s[4:5], s[8:9]
	s_or_b64 exec, exec, s[6:7]
	s_and_saveexec_b64 s[6:7], s[4:5]
	s_cbranch_execnz .LBB58_359
	s_branch .LBB58_360
.LBB58_2409:
	s_movk_i32 s4, 0x80
	v_cmp_eq_u16_sdwa s[12:13], v11, s4 src0_sel:BYTE_0 src1_sel:DWORD
	s_mov_b64 s[4:5], -1
                                        ; implicit-def: $sgpr10
	s_and_saveexec_b64 s[8:9], s[12:13]
; %bb.2410:
	s_mov_b32 s10, 0x7f800001
	s_xor_b64 s[4:5], exec, -1
; %bb.2411:
	s_or_b64 exec, exec, s[8:9]
	s_and_b64 s[4:5], s[4:5], exec
	s_or_saveexec_b64 s[6:7], s[6:7]
	v_mov_b32_e32 v10, s10
	s_xor_b64 exec, exec, s[6:7]
	s_cbranch_execz .LBB58_362
.LBB58_2412:
	v_mov_b32_e32 v10, 0
	v_cmp_ne_u16_sdwa s[8:9], v11, v10 src0_sel:BYTE_0 src1_sel:DWORD
	s_andn2_b64 s[4:5], s[4:5], exec
	s_and_b64 s[8:9], s[8:9], exec
	s_or_b64 s[4:5], s[4:5], s[8:9]
	s_or_b64 exec, exec, s[6:7]
	s_and_saveexec_b64 s[6:7], s[4:5]
	s_cbranch_execnz .LBB58_363
	s_branch .LBB58_364
.LBB58_2413:
	s_movk_i32 s4, 0x80
	v_cmp_eq_u16_sdwa s[12:13], v11, s4 src0_sel:BYTE_0 src1_sel:DWORD
	s_mov_b64 s[4:5], -1
                                        ; implicit-def: $sgpr10
	s_and_saveexec_b64 s[8:9], s[12:13]
; %bb.2414:
	s_mov_b32 s10, 0x7f800001
	s_xor_b64 s[4:5], exec, -1
; %bb.2415:
	s_or_b64 exec, exec, s[8:9]
	s_and_b64 s[4:5], s[4:5], exec
	s_or_saveexec_b64 s[6:7], s[6:7]
	v_mov_b32_e32 v12, s10
	s_xor_b64 exec, exec, s[6:7]
	s_cbranch_execz .LBB58_366
.LBB58_2416:
	v_mov_b32_e32 v12, 0
	v_cmp_ne_u16_sdwa s[8:9], v11, v12 src0_sel:BYTE_0 src1_sel:DWORD
	s_andn2_b64 s[4:5], s[4:5], exec
	s_and_b64 s[8:9], s[8:9], exec
	s_or_b64 s[4:5], s[4:5], s[8:9]
	s_or_b64 exec, exec, s[6:7]
	s_and_saveexec_b64 s[6:7], s[4:5]
	s_cbranch_execnz .LBB58_367
	s_branch .LBB58_368
.LBB58_2417:
	s_movk_i32 s4, 0x80
	v_cmp_eq_u16_e32 vcc, s4, v11
	s_mov_b64 s[4:5], -1
                                        ; implicit-def: $sgpr10
	s_and_saveexec_b64 s[8:9], vcc
; %bb.2418:
	s_mov_b32 s10, 0x7f800001
	s_xor_b64 s[4:5], exec, -1
; %bb.2419:
	s_or_b64 exec, exec, s[8:9]
	s_and_b64 s[4:5], s[4:5], exec
                                        ; implicit-def: $vgpr11
	s_or_saveexec_b64 s[6:7], s[6:7]
	v_mov_b32_e32 v10, s10
	s_xor_b64 exec, exec, s[6:7]
	s_cbranch_execz .LBB58_370
.LBB58_2420:
	v_cmp_ne_u16_e32 vcc, 0, v11
	s_andn2_b64 s[4:5], s[4:5], exec
	s_and_b64 s[8:9], vcc, exec
	v_mov_b32_e32 v10, 0
	s_or_b64 s[4:5], s[4:5], s[8:9]
	s_or_b64 exec, exec, s[6:7]
	s_and_saveexec_b64 s[6:7], s[4:5]
	s_cbranch_execnz .LBB58_371
	s_branch .LBB58_372
.LBB58_2421:
	s_movk_i32 s4, 0x80
	v_cmp_eq_u16_e32 vcc, s4, v11
	s_mov_b64 s[4:5], -1
                                        ; implicit-def: $sgpr10
	s_and_saveexec_b64 s[8:9], vcc
; %bb.2422:
	s_mov_b32 s10, 0x7f800001
	s_xor_b64 s[4:5], exec, -1
; %bb.2423:
	s_or_b64 exec, exec, s[8:9]
	s_and_b64 s[4:5], s[4:5], exec
                                        ; implicit-def: $vgpr11
	s_or_saveexec_b64 s[6:7], s[6:7]
	v_mov_b32_e32 v12, s10
	s_xor_b64 exec, exec, s[6:7]
	s_cbranch_execz .LBB58_374
.LBB58_2424:
	v_cmp_ne_u16_e32 vcc, 0, v11
	s_andn2_b64 s[4:5], s[4:5], exec
	s_and_b64 s[8:9], vcc, exec
	v_mov_b32_e32 v12, 0
	s_or_b64 s[4:5], s[4:5], s[8:9]
	s_or_b64 exec, exec, s[6:7]
	s_and_saveexec_b64 s[6:7], s[4:5]
	s_cbranch_execnz .LBB58_375
	s_branch .LBB58_376
.LBB58_2425:
	s_movk_i32 s4, 0x80
	v_cmp_eq_u16_sdwa s[12:13], v17, s4 src0_sel:BYTE_3 src1_sel:DWORD
	s_mov_b64 s[4:5], -1
                                        ; implicit-def: $sgpr10
	s_and_saveexec_b64 s[8:9], s[12:13]
; %bb.2426:
	s_mov_b32 s10, 0x7f800001
	s_xor_b64 s[4:5], exec, -1
; %bb.2427:
	s_or_b64 exec, exec, s[8:9]
	s_and_b64 s[4:5], s[4:5], exec
	s_or_saveexec_b64 s[6:7], s[6:7]
	v_mov_b32_e32 v10, s10
	s_xor_b64 exec, exec, s[6:7]
	s_cbranch_execz .LBB58_378
.LBB58_2428:
	v_mov_b32_e32 v10, 0
	v_cmp_ne_u16_sdwa s[8:9], v17, v10 src0_sel:BYTE_3 src1_sel:DWORD
	s_andn2_b64 s[4:5], s[4:5], exec
	s_and_b64 s[8:9], s[8:9], exec
	s_or_b64 s[4:5], s[4:5], s[8:9]
	s_or_b64 exec, exec, s[6:7]
	s_and_saveexec_b64 s[6:7], s[4:5]
	s_cbranch_execnz .LBB58_379
	s_branch .LBB58_380
.LBB58_2429:
	s_movk_i32 s4, 0x80
	v_cmp_eq_u16_sdwa s[12:13], v13, s4 src0_sel:BYTE_3 src1_sel:DWORD
	s_mov_b64 s[4:5], -1
                                        ; implicit-def: $sgpr10
	s_and_saveexec_b64 s[8:9], s[12:13]
; %bb.2430:
	s_mov_b32 s10, 0x7f800001
	s_xor_b64 s[4:5], exec, -1
; %bb.2431:
	s_or_b64 exec, exec, s[8:9]
	s_and_b64 s[4:5], s[4:5], exec
	s_or_saveexec_b64 s[6:7], s[6:7]
	v_mov_b32_e32 v11, s10
	s_xor_b64 exec, exec, s[6:7]
	s_cbranch_execz .LBB58_382
.LBB58_2432:
	v_mov_b32_e32 v11, 0
	v_cmp_ne_u16_sdwa s[8:9], v13, v11 src0_sel:BYTE_3 src1_sel:DWORD
	s_andn2_b64 s[4:5], s[4:5], exec
	s_and_b64 s[8:9], s[8:9], exec
	s_or_b64 s[4:5], s[4:5], s[8:9]
	s_or_b64 exec, exec, s[6:7]
	s_and_saveexec_b64 s[6:7], s[4:5]
	s_cbranch_execnz .LBB58_383
	s_branch .LBB58_384
.LBB58_2433:
	s_movk_i32 s4, 0x80
	v_cmp_eq_u16_sdwa s[12:13], v6, s4 src0_sel:BYTE_0 src1_sel:DWORD
	s_mov_b64 s[4:5], -1
                                        ; implicit-def: $sgpr10
	s_and_saveexec_b64 s[8:9], s[12:13]
; %bb.2434:
	s_mov_b32 s10, 0x7f800001
	s_xor_b64 s[4:5], exec, -1
; %bb.2435:
	s_or_b64 exec, exec, s[8:9]
	s_and_b64 s[4:5], s[4:5], exec
	s_or_saveexec_b64 s[6:7], s[6:7]
	v_mov_b32_e32 v10, s10
	s_xor_b64 exec, exec, s[6:7]
	s_cbranch_execz .LBB58_386
.LBB58_2436:
	v_mov_b32_e32 v10, 0
	v_cmp_ne_u16_sdwa s[8:9], v6, v10 src0_sel:BYTE_0 src1_sel:DWORD
	s_andn2_b64 s[4:5], s[4:5], exec
	s_and_b64 s[8:9], s[8:9], exec
	s_or_b64 s[4:5], s[4:5], s[8:9]
	s_or_b64 exec, exec, s[6:7]
	s_and_saveexec_b64 s[6:7], s[4:5]
	s_cbranch_execnz .LBB58_387
	s_branch .LBB58_388
.LBB58_2437:
	s_movk_i32 s4, 0x80
	v_cmp_eq_u16_sdwa s[12:13], v2, s4 src0_sel:BYTE_0 src1_sel:DWORD
	s_mov_b64 s[4:5], -1
                                        ; implicit-def: $sgpr10
	s_and_saveexec_b64 s[8:9], s[12:13]
; %bb.2438:
	s_mov_b32 s10, 0x7f800001
	s_xor_b64 s[4:5], exec, -1
; %bb.2439:
	s_or_b64 exec, exec, s[8:9]
	s_and_b64 s[4:5], s[4:5], exec
	s_or_saveexec_b64 s[6:7], s[6:7]
	v_mov_b32_e32 v11, s10
	s_xor_b64 exec, exec, s[6:7]
	s_cbranch_execz .LBB58_390
.LBB58_2440:
	v_mov_b32_e32 v11, 0
	v_cmp_ne_u16_sdwa s[8:9], v2, v11 src0_sel:BYTE_0 src1_sel:DWORD
	s_andn2_b64 s[4:5], s[4:5], exec
	s_and_b64 s[8:9], s[8:9], exec
	s_or_b64 s[4:5], s[4:5], s[8:9]
	s_or_b64 exec, exec, s[6:7]
	s_and_saveexec_b64 s[6:7], s[4:5]
	s_cbranch_execnz .LBB58_391
	s_branch .LBB58_392
.LBB58_2441:
	s_movk_i32 s4, 0x80
	v_cmp_eq_u16_sdwa s[12:13], v11, s4 src0_sel:BYTE_0 src1_sel:DWORD
	s_mov_b64 s[4:5], -1
                                        ; implicit-def: $sgpr10
	s_and_saveexec_b64 s[8:9], s[12:13]
; %bb.2442:
	s_mov_b32 s10, 0x7f800001
	s_xor_b64 s[4:5], exec, -1
; %bb.2443:
	s_or_b64 exec, exec, s[8:9]
	s_and_b64 s[4:5], s[4:5], exec
	s_or_saveexec_b64 s[6:7], s[6:7]
	v_mov_b32_e32 v10, s10
	s_xor_b64 exec, exec, s[6:7]
	s_cbranch_execz .LBB58_394
.LBB58_2444:
	v_mov_b32_e32 v10, 0
	v_cmp_ne_u16_sdwa s[8:9], v11, v10 src0_sel:BYTE_0 src1_sel:DWORD
	s_andn2_b64 s[4:5], s[4:5], exec
	s_and_b64 s[8:9], s[8:9], exec
	s_or_b64 s[4:5], s[4:5], s[8:9]
	s_or_b64 exec, exec, s[6:7]
	s_and_saveexec_b64 s[6:7], s[4:5]
	s_cbranch_execnz .LBB58_395
	s_branch .LBB58_396
.LBB58_2445:
	s_movk_i32 s4, 0x80
	v_cmp_eq_u16_sdwa s[12:13], v11, s4 src0_sel:BYTE_0 src1_sel:DWORD
	s_mov_b64 s[4:5], -1
                                        ; implicit-def: $sgpr10
	s_and_saveexec_b64 s[8:9], s[12:13]
; %bb.2446:
	s_mov_b32 s10, 0x7f800001
	s_xor_b64 s[4:5], exec, -1
; %bb.2447:
	s_or_b64 exec, exec, s[8:9]
	s_and_b64 s[4:5], s[4:5], exec
	s_or_saveexec_b64 s[6:7], s[6:7]
	v_mov_b32_e32 v12, s10
	s_xor_b64 exec, exec, s[6:7]
	s_cbranch_execz .LBB58_398
.LBB58_2448:
	v_mov_b32_e32 v12, 0
	v_cmp_ne_u16_sdwa s[8:9], v11, v12 src0_sel:BYTE_0 src1_sel:DWORD
	s_andn2_b64 s[4:5], s[4:5], exec
	s_and_b64 s[8:9], s[8:9], exec
	s_or_b64 s[4:5], s[4:5], s[8:9]
	s_or_b64 exec, exec, s[6:7]
	s_and_saveexec_b64 s[6:7], s[4:5]
	s_cbranch_execnz .LBB58_399
	s_branch .LBB58_400
.LBB58_2449:
	s_movk_i32 s4, 0x80
	v_cmp_eq_u16_e32 vcc, s4, v11
	s_mov_b64 s[4:5], -1
                                        ; implicit-def: $sgpr10
	s_and_saveexec_b64 s[8:9], vcc
; %bb.2450:
	s_mov_b32 s10, 0x7f800001
	s_xor_b64 s[4:5], exec, -1
; %bb.2451:
	s_or_b64 exec, exec, s[8:9]
	s_and_b64 s[4:5], s[4:5], exec
                                        ; implicit-def: $vgpr11
	s_or_saveexec_b64 s[6:7], s[6:7]
	v_mov_b32_e32 v10, s10
	s_xor_b64 exec, exec, s[6:7]
	s_cbranch_execz .LBB58_402
.LBB58_2452:
	v_cmp_ne_u16_e32 vcc, 0, v11
	s_andn2_b64 s[4:5], s[4:5], exec
	s_and_b64 s[8:9], vcc, exec
	v_mov_b32_e32 v10, 0
	s_or_b64 s[4:5], s[4:5], s[8:9]
	s_or_b64 exec, exec, s[6:7]
	s_and_saveexec_b64 s[6:7], s[4:5]
	s_cbranch_execnz .LBB58_403
	s_branch .LBB58_404
.LBB58_2453:
	s_movk_i32 s4, 0x80
	v_cmp_eq_u16_e32 vcc, s4, v11
	s_mov_b64 s[4:5], -1
                                        ; implicit-def: $sgpr10
	s_and_saveexec_b64 s[8:9], vcc
; %bb.2454:
	s_mov_b32 s10, 0x7f800001
	s_xor_b64 s[4:5], exec, -1
; %bb.2455:
	s_or_b64 exec, exec, s[8:9]
	s_and_b64 s[4:5], s[4:5], exec
                                        ; implicit-def: $vgpr11
	s_or_saveexec_b64 s[6:7], s[6:7]
	v_mov_b32_e32 v12, s10
	s_xor_b64 exec, exec, s[6:7]
	s_cbranch_execz .LBB58_406
.LBB58_2456:
	v_cmp_ne_u16_e32 vcc, 0, v11
	s_andn2_b64 s[4:5], s[4:5], exec
	s_and_b64 s[8:9], vcc, exec
	v_mov_b32_e32 v12, 0
	s_or_b64 s[4:5], s[4:5], s[8:9]
	s_or_b64 exec, exec, s[6:7]
	s_and_saveexec_b64 s[6:7], s[4:5]
	s_cbranch_execnz .LBB58_407
	s_branch .LBB58_408
.LBB58_2457:
	s_movk_i32 s4, 0x80
	v_cmp_eq_u16_sdwa s[12:13], v6, s4 src0_sel:BYTE_3 src1_sel:DWORD
	s_mov_b64 s[4:5], -1
                                        ; implicit-def: $sgpr10
	s_and_saveexec_b64 s[8:9], s[12:13]
; %bb.2458:
	s_mov_b32 s10, 0x7f800001
	s_xor_b64 s[4:5], exec, -1
; %bb.2459:
	s_or_b64 exec, exec, s[8:9]
	s_and_b64 s[4:5], s[4:5], exec
	s_or_saveexec_b64 s[6:7], s[6:7]
	v_mov_b32_e32 v10, s10
	s_xor_b64 exec, exec, s[6:7]
	s_cbranch_execz .LBB58_410
.LBB58_2460:
	v_mov_b32_e32 v10, 0
	v_cmp_ne_u16_sdwa s[8:9], v6, v10 src0_sel:BYTE_3 src1_sel:DWORD
	s_andn2_b64 s[4:5], s[4:5], exec
	s_and_b64 s[8:9], s[8:9], exec
	s_or_b64 s[4:5], s[4:5], s[8:9]
	s_or_b64 exec, exec, s[6:7]
	s_and_saveexec_b64 s[6:7], s[4:5]
	s_cbranch_execnz .LBB58_411
	s_branch .LBB58_412
.LBB58_2461:
	s_movk_i32 s4, 0x80
	v_cmp_eq_u16_sdwa s[12:13], v2, s4 src0_sel:BYTE_3 src1_sel:DWORD
	s_mov_b64 s[4:5], -1
                                        ; implicit-def: $sgpr10
	s_and_saveexec_b64 s[8:9], s[12:13]
; %bb.2462:
	s_mov_b32 s10, 0x7f800001
	s_xor_b64 s[4:5], exec, -1
; %bb.2463:
	s_or_b64 exec, exec, s[8:9]
	s_and_b64 s[4:5], s[4:5], exec
	s_or_saveexec_b64 s[6:7], s[6:7]
	v_mov_b32_e32 v6, s10
	s_xor_b64 exec, exec, s[6:7]
	s_cbranch_execz .LBB58_414
.LBB58_2464:
	v_mov_b32_e32 v6, 0
	v_cmp_ne_u16_sdwa s[8:9], v2, v6 src0_sel:BYTE_3 src1_sel:DWORD
	s_andn2_b64 s[4:5], s[4:5], exec
	s_and_b64 s[8:9], s[8:9], exec
	s_or_b64 s[4:5], s[4:5], s[8:9]
	s_or_b64 exec, exec, s[6:7]
	s_and_saveexec_b64 s[6:7], s[4:5]
	s_cbranch_execnz .LBB58_415
	s_branch .LBB58_416
.LBB58_2465:
	s_movk_i32 s4, 0x80
	v_cmp_eq_u16_sdwa s[12:13], v7, s4 src0_sel:BYTE_0 src1_sel:DWORD
	s_mov_b64 s[4:5], -1
                                        ; implicit-def: $sgpr10
	s_and_saveexec_b64 s[8:9], s[12:13]
; %bb.2466:
	s_mov_b32 s10, 0x7f800001
	s_xor_b64 s[4:5], exec, -1
; %bb.2467:
	s_or_b64 exec, exec, s[8:9]
	s_and_b64 s[4:5], s[4:5], exec
	s_or_saveexec_b64 s[6:7], s[6:7]
	v_mov_b32_e32 v2, s10
	s_xor_b64 exec, exec, s[6:7]
	s_cbranch_execz .LBB58_418
.LBB58_2468:
	v_mov_b32_e32 v2, 0
	v_cmp_ne_u16_sdwa s[8:9], v7, v2 src0_sel:BYTE_0 src1_sel:DWORD
	s_andn2_b64 s[4:5], s[4:5], exec
	s_and_b64 s[8:9], s[8:9], exec
	s_or_b64 s[4:5], s[4:5], s[8:9]
	s_or_b64 exec, exec, s[6:7]
	s_and_saveexec_b64 s[6:7], s[4:5]
	s_cbranch_execnz .LBB58_419
	s_branch .LBB58_420
.LBB58_2469:
	s_movk_i32 s4, 0x80
	v_cmp_eq_u16_sdwa s[12:13], v3, s4 src0_sel:BYTE_0 src1_sel:DWORD
	s_mov_b64 s[4:5], -1
                                        ; implicit-def: $sgpr10
	s_and_saveexec_b64 s[8:9], s[12:13]
; %bb.2470:
	s_mov_b32 s10, 0x7f800001
	s_xor_b64 s[4:5], exec, -1
; %bb.2471:
	s_or_b64 exec, exec, s[8:9]
	s_and_b64 s[4:5], s[4:5], exec
	s_or_saveexec_b64 s[6:7], s[6:7]
	v_mov_b32_e32 v6, s10
	s_xor_b64 exec, exec, s[6:7]
	s_cbranch_execz .LBB58_422
.LBB58_2472:
	v_mov_b32_e32 v6, 0
	v_cmp_ne_u16_sdwa s[8:9], v3, v6 src0_sel:BYTE_0 src1_sel:DWORD
	s_andn2_b64 s[4:5], s[4:5], exec
	s_and_b64 s[8:9], s[8:9], exec
	s_or_b64 s[4:5], s[4:5], s[8:9]
	s_or_b64 exec, exec, s[6:7]
	s_and_saveexec_b64 s[6:7], s[4:5]
	s_cbranch_execnz .LBB58_423
	s_branch .LBB58_424
.LBB58_2473:
	s_movk_i32 s4, 0x80
	v_cmp_eq_u16_sdwa s[12:13], v6, s4 src0_sel:BYTE_0 src1_sel:DWORD
	s_mov_b64 s[4:5], -1
                                        ; implicit-def: $sgpr10
	s_and_saveexec_b64 s[8:9], s[12:13]
; %bb.2474:
	s_mov_b32 s10, 0x7f800001
	s_xor_b64 s[4:5], exec, -1
; %bb.2475:
	s_or_b64 exec, exec, s[8:9]
	s_and_b64 s[4:5], s[4:5], exec
	s_or_saveexec_b64 s[6:7], s[6:7]
	v_mov_b32_e32 v2, s10
	s_xor_b64 exec, exec, s[6:7]
	s_cbranch_execz .LBB58_426
.LBB58_2476:
	v_mov_b32_e32 v2, 0
	v_cmp_ne_u16_sdwa s[8:9], v6, v2 src0_sel:BYTE_0 src1_sel:DWORD
	s_andn2_b64 s[4:5], s[4:5], exec
	s_and_b64 s[8:9], s[8:9], exec
	s_or_b64 s[4:5], s[4:5], s[8:9]
	s_or_b64 exec, exec, s[6:7]
	s_and_saveexec_b64 s[6:7], s[4:5]
	s_cbranch_execnz .LBB58_427
	s_branch .LBB58_428
.LBB58_2477:
	s_movk_i32 s4, 0x80
	v_cmp_eq_u16_sdwa s[12:13], v6, s4 src0_sel:BYTE_0 src1_sel:DWORD
	s_mov_b64 s[4:5], -1
                                        ; implicit-def: $sgpr10
	s_and_saveexec_b64 s[8:9], s[12:13]
; %bb.2478:
	s_mov_b32 s10, 0x7f800001
	s_xor_b64 s[4:5], exec, -1
; %bb.2479:
	s_or_b64 exec, exec, s[8:9]
	s_and_b64 s[4:5], s[4:5], exec
	s_or_saveexec_b64 s[6:7], s[6:7]
	v_mov_b32_e32 v10, s10
	s_xor_b64 exec, exec, s[6:7]
	s_cbranch_execz .LBB58_430
.LBB58_2480:
	v_mov_b32_e32 v10, 0
	v_cmp_ne_u16_sdwa s[8:9], v6, v10 src0_sel:BYTE_0 src1_sel:DWORD
	s_andn2_b64 s[4:5], s[4:5], exec
	s_and_b64 s[8:9], s[8:9], exec
	s_or_b64 s[4:5], s[4:5], s[8:9]
	s_or_b64 exec, exec, s[6:7]
	s_and_saveexec_b64 s[6:7], s[4:5]
	s_cbranch_execnz .LBB58_431
	s_branch .LBB58_432
.LBB58_2481:
	s_movk_i32 s4, 0x80
	v_cmp_eq_u16_e32 vcc, s4, v6
	s_mov_b64 s[4:5], -1
                                        ; implicit-def: $sgpr10
	s_and_saveexec_b64 s[8:9], vcc
; %bb.2482:
	s_mov_b32 s10, 0x7f800001
	s_xor_b64 s[4:5], exec, -1
; %bb.2483:
	s_or_b64 exec, exec, s[8:9]
	s_and_b64 s[4:5], s[4:5], exec
                                        ; implicit-def: $vgpr6
	s_or_saveexec_b64 s[6:7], s[6:7]
	v_mov_b32_e32 v2, s10
	s_xor_b64 exec, exec, s[6:7]
	s_cbranch_execz .LBB58_434
.LBB58_2484:
	v_cmp_ne_u16_e32 vcc, 0, v6
	s_andn2_b64 s[4:5], s[4:5], exec
	s_and_b64 s[8:9], vcc, exec
	v_mov_b32_e32 v2, 0
	s_or_b64 s[4:5], s[4:5], s[8:9]
	s_or_b64 exec, exec, s[6:7]
	s_and_saveexec_b64 s[6:7], s[4:5]
	s_cbranch_execnz .LBB58_435
	s_branch .LBB58_436
.LBB58_2485:
	s_movk_i32 s4, 0x80
	v_cmp_eq_u16_e32 vcc, s4, v6
	s_mov_b64 s[4:5], -1
                                        ; implicit-def: $sgpr10
	s_and_saveexec_b64 s[8:9], vcc
; %bb.2486:
	s_mov_b32 s10, 0x7f800001
	s_xor_b64 s[4:5], exec, -1
; %bb.2487:
	s_or_b64 exec, exec, s[8:9]
	s_and_b64 s[4:5], s[4:5], exec
                                        ; implicit-def: $vgpr6
	s_or_saveexec_b64 s[6:7], s[6:7]
	v_mov_b32_e32 v10, s10
	s_xor_b64 exec, exec, s[6:7]
	s_cbranch_execz .LBB58_438
.LBB58_2488:
	v_cmp_ne_u16_e32 vcc, 0, v6
	s_andn2_b64 s[4:5], s[4:5], exec
	s_and_b64 s[8:9], vcc, exec
	v_mov_b32_e32 v10, 0
	s_or_b64 s[4:5], s[4:5], s[8:9]
	s_or_b64 exec, exec, s[6:7]
	s_and_saveexec_b64 s[6:7], s[4:5]
	s_cbranch_execnz .LBB58_439
	s_branch .LBB58_440
.LBB58_2489:
	s_movk_i32 s4, 0x80
	v_cmp_eq_u16_sdwa s[12:13], v7, s4 src0_sel:BYTE_3 src1_sel:DWORD
	s_mov_b64 s[4:5], -1
                                        ; implicit-def: $sgpr10
	s_and_saveexec_b64 s[8:9], s[12:13]
; %bb.2490:
	s_mov_b32 s10, 0x7f800001
	s_xor_b64 s[4:5], exec, -1
; %bb.2491:
	s_or_b64 exec, exec, s[8:9]
	s_and_b64 s[4:5], s[4:5], exec
	s_or_saveexec_b64 s[6:7], s[6:7]
	v_mov_b32_e32 v2, s10
	s_xor_b64 exec, exec, s[6:7]
	s_cbranch_execz .LBB58_442
.LBB58_2492:
	v_mov_b32_e32 v2, 0
	v_cmp_ne_u16_sdwa s[8:9], v7, v2 src0_sel:BYTE_3 src1_sel:DWORD
	s_andn2_b64 s[4:5], s[4:5], exec
	s_and_b64 s[8:9], s[8:9], exec
	s_or_b64 s[4:5], s[4:5], s[8:9]
	s_or_b64 exec, exec, s[6:7]
	s_and_saveexec_b64 s[6:7], s[4:5]
	s_cbranch_execnz .LBB58_443
	s_branch .LBB58_444
.LBB58_2493:
	s_movk_i32 s4, 0x80
	v_cmp_eq_u16_sdwa s[12:13], v3, s4 src0_sel:BYTE_3 src1_sel:DWORD
	s_mov_b64 s[4:5], -1
                                        ; implicit-def: $sgpr10
	s_and_saveexec_b64 s[8:9], s[12:13]
; %bb.2494:
	s_mov_b32 s10, 0x7f800001
	s_xor_b64 s[4:5], exec, -1
; %bb.2495:
	s_or_b64 exec, exec, s[8:9]
	s_and_b64 s[4:5], s[4:5], exec
	s_or_saveexec_b64 s[6:7], s[6:7]
	v_mov_b32_e32 v6, s10
	s_xor_b64 exec, exec, s[6:7]
	s_cbranch_execz .LBB58_446
.LBB58_2496:
	v_mov_b32_e32 v6, 0
	v_cmp_ne_u16_sdwa s[8:9], v3, v6 src0_sel:BYTE_3 src1_sel:DWORD
	s_andn2_b64 s[4:5], s[4:5], exec
	s_and_b64 s[8:9], s[8:9], exec
	s_or_b64 s[4:5], s[4:5], s[8:9]
	s_or_b64 exec, exec, s[6:7]
	s_and_saveexec_b64 s[6:7], s[4:5]
	s_cbranch_execnz .LBB58_447
	s_branch .LBB58_448
.LBB58_2497:
	s_movk_i32 s4, 0x80
	v_cmp_eq_u16_sdwa s[12:13], v8, s4 src0_sel:BYTE_0 src1_sel:DWORD
	s_mov_b64 s[4:5], -1
                                        ; implicit-def: $sgpr10
	s_and_saveexec_b64 s[8:9], s[12:13]
; %bb.2498:
	s_mov_b32 s10, 0x7f800001
	s_xor_b64 s[4:5], exec, -1
; %bb.2499:
	s_or_b64 exec, exec, s[8:9]
	s_and_b64 s[4:5], s[4:5], exec
	s_or_saveexec_b64 s[6:7], s[6:7]
	v_mov_b32_e32 v2, s10
	s_xor_b64 exec, exec, s[6:7]
	s_cbranch_execz .LBB58_450
.LBB58_2500:
	v_mov_b32_e32 v2, 0
	v_cmp_ne_u16_sdwa s[8:9], v8, v2 src0_sel:BYTE_0 src1_sel:DWORD
	s_andn2_b64 s[4:5], s[4:5], exec
	s_and_b64 s[8:9], s[8:9], exec
	s_or_b64 s[4:5], s[4:5], s[8:9]
	s_or_b64 exec, exec, s[6:7]
	s_and_saveexec_b64 s[6:7], s[4:5]
	s_cbranch_execnz .LBB58_451
	s_branch .LBB58_452
.LBB58_2501:
	s_movk_i32 s4, 0x80
	v_cmp_eq_u16_sdwa s[12:13], v4, s4 src0_sel:BYTE_0 src1_sel:DWORD
	s_mov_b64 s[4:5], -1
                                        ; implicit-def: $sgpr10
	s_and_saveexec_b64 s[8:9], s[12:13]
; %bb.2502:
	s_mov_b32 s10, 0x7f800001
	s_xor_b64 s[4:5], exec, -1
; %bb.2503:
	s_or_b64 exec, exec, s[8:9]
	s_and_b64 s[4:5], s[4:5], exec
	s_or_saveexec_b64 s[6:7], s[6:7]
	v_mov_b32_e32 v3, s10
	s_xor_b64 exec, exec, s[6:7]
	s_cbranch_execz .LBB58_454
.LBB58_2504:
	v_mov_b32_e32 v3, 0
	v_cmp_ne_u16_sdwa s[8:9], v4, v3 src0_sel:BYTE_0 src1_sel:DWORD
	s_andn2_b64 s[4:5], s[4:5], exec
	s_and_b64 s[8:9], s[8:9], exec
	s_or_b64 s[4:5], s[4:5], s[8:9]
	s_or_b64 exec, exec, s[6:7]
	s_and_saveexec_b64 s[6:7], s[4:5]
	s_cbranch_execnz .LBB58_455
	s_branch .LBB58_456
.LBB58_2505:
	s_movk_i32 s4, 0x80
	v_cmp_eq_u16_sdwa s[12:13], v3, s4 src0_sel:BYTE_0 src1_sel:DWORD
	s_mov_b64 s[4:5], -1
                                        ; implicit-def: $sgpr10
	s_and_saveexec_b64 s[8:9], s[12:13]
; %bb.2506:
	s_mov_b32 s10, 0x7f800001
	s_xor_b64 s[4:5], exec, -1
; %bb.2507:
	s_or_b64 exec, exec, s[8:9]
	s_and_b64 s[4:5], s[4:5], exec
	s_or_saveexec_b64 s[6:7], s[6:7]
	v_mov_b32_e32 v2, s10
	s_xor_b64 exec, exec, s[6:7]
	s_cbranch_execz .LBB58_458
.LBB58_2508:
	v_mov_b32_e32 v2, 0
	v_cmp_ne_u16_sdwa s[8:9], v3, v2 src0_sel:BYTE_0 src1_sel:DWORD
	s_andn2_b64 s[4:5], s[4:5], exec
	s_and_b64 s[8:9], s[8:9], exec
	s_or_b64 s[4:5], s[4:5], s[8:9]
	s_or_b64 exec, exec, s[6:7]
	s_and_saveexec_b64 s[6:7], s[4:5]
	s_cbranch_execnz .LBB58_459
	s_branch .LBB58_460
.LBB58_2509:
	s_movk_i32 s4, 0x80
	v_cmp_eq_u16_sdwa s[12:13], v3, s4 src0_sel:BYTE_0 src1_sel:DWORD
	s_mov_b64 s[4:5], -1
                                        ; implicit-def: $sgpr10
	s_and_saveexec_b64 s[8:9], s[12:13]
; %bb.2510:
	s_mov_b32 s10, 0x7f800001
	s_xor_b64 s[4:5], exec, -1
; %bb.2511:
	s_or_b64 exec, exec, s[8:9]
	s_and_b64 s[4:5], s[4:5], exec
	s_or_saveexec_b64 s[6:7], s[6:7]
	v_mov_b32_e32 v6, s10
	s_xor_b64 exec, exec, s[6:7]
	s_cbranch_execz .LBB58_462
.LBB58_2512:
	v_mov_b32_e32 v6, 0
	v_cmp_ne_u16_sdwa s[8:9], v3, v6 src0_sel:BYTE_0 src1_sel:DWORD
	s_andn2_b64 s[4:5], s[4:5], exec
	s_and_b64 s[8:9], s[8:9], exec
	s_or_b64 s[4:5], s[4:5], s[8:9]
	s_or_b64 exec, exec, s[6:7]
	s_and_saveexec_b64 s[6:7], s[4:5]
	s_cbranch_execnz .LBB58_463
	s_branch .LBB58_464
.LBB58_2513:
	s_movk_i32 s4, 0x80
	v_cmp_eq_u16_e32 vcc, s4, v3
	s_mov_b64 s[4:5], -1
                                        ; implicit-def: $sgpr10
	s_and_saveexec_b64 s[8:9], vcc
; %bb.2514:
	s_mov_b32 s10, 0x7f800001
	s_xor_b64 s[4:5], exec, -1
; %bb.2515:
	s_or_b64 exec, exec, s[8:9]
	s_and_b64 s[4:5], s[4:5], exec
                                        ; implicit-def: $vgpr3
	s_or_saveexec_b64 s[6:7], s[6:7]
	v_mov_b32_e32 v2, s10
	s_xor_b64 exec, exec, s[6:7]
	s_cbranch_execz .LBB58_466
.LBB58_2516:
	v_cmp_ne_u16_e32 vcc, 0, v3
	s_andn2_b64 s[4:5], s[4:5], exec
	s_and_b64 s[8:9], vcc, exec
	v_mov_b32_e32 v2, 0
	s_or_b64 s[4:5], s[4:5], s[8:9]
	s_or_b64 exec, exec, s[6:7]
	s_and_saveexec_b64 s[6:7], s[4:5]
	s_cbranch_execnz .LBB58_467
	s_branch .LBB58_468
.LBB58_2517:
	s_movk_i32 s4, 0x80
	v_cmp_eq_u16_e32 vcc, s4, v3
	s_mov_b64 s[4:5], -1
                                        ; implicit-def: $sgpr10
	s_and_saveexec_b64 s[8:9], vcc
; %bb.2518:
	s_mov_b32 s10, 0x7f800001
	s_xor_b64 s[4:5], exec, -1
; %bb.2519:
	s_or_b64 exec, exec, s[8:9]
	s_and_b64 s[4:5], s[4:5], exec
                                        ; implicit-def: $vgpr3
	s_or_saveexec_b64 s[6:7], s[6:7]
	v_mov_b32_e32 v6, s10
	s_xor_b64 exec, exec, s[6:7]
	s_cbranch_execz .LBB58_470
.LBB58_2520:
	v_cmp_ne_u16_e32 vcc, 0, v3
	s_andn2_b64 s[4:5], s[4:5], exec
	s_and_b64 s[8:9], vcc, exec
	v_mov_b32_e32 v6, 0
	s_or_b64 s[4:5], s[4:5], s[8:9]
	s_or_b64 exec, exec, s[6:7]
	s_and_saveexec_b64 s[6:7], s[4:5]
	s_cbranch_execnz .LBB58_471
	s_branch .LBB58_472
.LBB58_2521:
	s_movk_i32 s4, 0x80
	v_cmp_eq_u16_sdwa s[12:13], v8, s4 src0_sel:BYTE_3 src1_sel:DWORD
	s_mov_b64 s[4:5], -1
                                        ; implicit-def: $sgpr10
	s_and_saveexec_b64 s[8:9], s[12:13]
; %bb.2522:
	s_mov_b32 s10, 0x7f800001
	s_xor_b64 s[4:5], exec, -1
; %bb.2523:
	s_or_b64 exec, exec, s[8:9]
	s_and_b64 s[4:5], s[4:5], exec
	s_or_saveexec_b64 s[6:7], s[6:7]
	v_mov_b32_e32 v2, s10
	s_xor_b64 exec, exec, s[6:7]
	s_cbranch_execz .LBB58_474
.LBB58_2524:
	v_mov_b32_e32 v2, 0
	v_cmp_ne_u16_sdwa s[8:9], v8, v2 src0_sel:BYTE_3 src1_sel:DWORD
	s_andn2_b64 s[4:5], s[4:5], exec
	s_and_b64 s[8:9], s[8:9], exec
	s_or_b64 s[4:5], s[4:5], s[8:9]
	s_or_b64 exec, exec, s[6:7]
	s_and_saveexec_b64 s[6:7], s[4:5]
	s_cbranch_execnz .LBB58_475
	s_branch .LBB58_476
.LBB58_2525:
	s_movk_i32 s4, 0x80
	v_cmp_eq_u16_sdwa s[12:13], v4, s4 src0_sel:BYTE_3 src1_sel:DWORD
	s_mov_b64 s[4:5], -1
                                        ; implicit-def: $sgpr10
	s_and_saveexec_b64 s[8:9], s[12:13]
; %bb.2526:
	s_mov_b32 s10, 0x7f800001
	s_xor_b64 s[4:5], exec, -1
; %bb.2527:
	s_or_b64 exec, exec, s[8:9]
	s_and_b64 s[4:5], s[4:5], exec
	s_or_saveexec_b64 s[6:7], s[6:7]
	v_mov_b32_e32 v3, s10
	s_xor_b64 exec, exec, s[6:7]
	s_cbranch_execz .LBB58_478
.LBB58_2528:
	v_mov_b32_e32 v3, 0
	v_cmp_ne_u16_sdwa s[8:9], v4, v3 src0_sel:BYTE_3 src1_sel:DWORD
	s_andn2_b64 s[4:5], s[4:5], exec
	s_and_b64 s[8:9], s[8:9], exec
	s_or_b64 s[4:5], s[4:5], s[8:9]
	s_or_b64 exec, exec, s[6:7]
	s_and_saveexec_b64 s[6:7], s[4:5]
	s_cbranch_execnz .LBB58_479
	s_branch .LBB58_480
.LBB58_2529:
	s_movk_i32 s4, 0x80
	v_cmp_eq_u16_sdwa s[12:13], v9, s4 src0_sel:BYTE_0 src1_sel:DWORD
	s_mov_b64 s[4:5], -1
                                        ; implicit-def: $sgpr10
	s_and_saveexec_b64 s[8:9], s[12:13]
; %bb.2530:
	s_mov_b32 s10, 0x7f800001
	s_xor_b64 s[4:5], exec, -1
; %bb.2531:
	s_or_b64 exec, exec, s[8:9]
	s_and_b64 s[4:5], s[4:5], exec
	s_or_saveexec_b64 s[6:7], s[6:7]
	v_mov_b32_e32 v2, s10
	s_xor_b64 exec, exec, s[6:7]
	s_cbranch_execz .LBB58_482
.LBB58_2532:
	v_mov_b32_e32 v2, 0
	v_cmp_ne_u16_sdwa s[8:9], v9, v2 src0_sel:BYTE_0 src1_sel:DWORD
	s_andn2_b64 s[4:5], s[4:5], exec
	s_and_b64 s[8:9], s[8:9], exec
	s_or_b64 s[4:5], s[4:5], s[8:9]
	s_or_b64 exec, exec, s[6:7]
	s_and_saveexec_b64 s[6:7], s[4:5]
	s_cbranch_execnz .LBB58_483
	s_branch .LBB58_484
.LBB58_2533:
	s_movk_i32 s4, 0x80
	v_cmp_eq_u16_sdwa s[12:13], v5, s4 src0_sel:BYTE_0 src1_sel:DWORD
	s_mov_b64 s[4:5], -1
                                        ; implicit-def: $sgpr10
	s_and_saveexec_b64 s[8:9], s[12:13]
; %bb.2534:
	s_mov_b32 s10, 0x7f800001
	s_xor_b64 s[4:5], exec, -1
; %bb.2535:
	s_or_b64 exec, exec, s[8:9]
	s_and_b64 s[4:5], s[4:5], exec
	s_or_saveexec_b64 s[6:7], s[6:7]
	v_mov_b32_e32 v3, s10
	s_xor_b64 exec, exec, s[6:7]
	s_cbranch_execz .LBB58_486
.LBB58_2536:
	v_mov_b32_e32 v3, 0
	v_cmp_ne_u16_sdwa s[8:9], v5, v3 src0_sel:BYTE_0 src1_sel:DWORD
	s_andn2_b64 s[4:5], s[4:5], exec
	s_and_b64 s[8:9], s[8:9], exec
	s_or_b64 s[4:5], s[4:5], s[8:9]
	s_or_b64 exec, exec, s[6:7]
	s_and_saveexec_b64 s[6:7], s[4:5]
	s_cbranch_execnz .LBB58_487
	s_branch .LBB58_488
.LBB58_2537:
	s_movk_i32 s4, 0x80
	v_cmp_eq_u16_sdwa s[12:13], v3, s4 src0_sel:BYTE_0 src1_sel:DWORD
	s_mov_b64 s[4:5], -1
                                        ; implicit-def: $sgpr10
	s_and_saveexec_b64 s[8:9], s[12:13]
; %bb.2538:
	s_mov_b32 s10, 0x7f800001
	s_xor_b64 s[4:5], exec, -1
; %bb.2539:
	s_or_b64 exec, exec, s[8:9]
	s_and_b64 s[4:5], s[4:5], exec
	s_or_saveexec_b64 s[6:7], s[6:7]
	v_mov_b32_e32 v2, s10
	s_xor_b64 exec, exec, s[6:7]
	s_cbranch_execz .LBB58_490
.LBB58_2540:
	v_mov_b32_e32 v2, 0
	v_cmp_ne_u16_sdwa s[8:9], v3, v2 src0_sel:BYTE_0 src1_sel:DWORD
	s_andn2_b64 s[4:5], s[4:5], exec
	s_and_b64 s[8:9], s[8:9], exec
	s_or_b64 s[4:5], s[4:5], s[8:9]
	s_or_b64 exec, exec, s[6:7]
	s_and_saveexec_b64 s[6:7], s[4:5]
	s_cbranch_execnz .LBB58_491
	s_branch .LBB58_492
.LBB58_2541:
	s_movk_i32 s4, 0x80
	v_cmp_eq_u16_sdwa s[12:13], v3, s4 src0_sel:BYTE_0 src1_sel:DWORD
	s_mov_b64 s[4:5], -1
                                        ; implicit-def: $sgpr10
	s_and_saveexec_b64 s[8:9], s[12:13]
; %bb.2542:
	s_mov_b32 s10, 0x7f800001
	s_xor_b64 s[4:5], exec, -1
; %bb.2543:
	s_or_b64 exec, exec, s[8:9]
	s_and_b64 s[4:5], s[4:5], exec
	s_or_saveexec_b64 s[6:7], s[6:7]
	v_mov_b32_e32 v4, s10
	s_xor_b64 exec, exec, s[6:7]
	s_cbranch_execz .LBB58_494
.LBB58_2544:
	v_mov_b32_e32 v4, 0
	v_cmp_ne_u16_sdwa s[8:9], v3, v4 src0_sel:BYTE_0 src1_sel:DWORD
	s_andn2_b64 s[4:5], s[4:5], exec
	s_and_b64 s[8:9], s[8:9], exec
	s_or_b64 s[4:5], s[4:5], s[8:9]
	s_or_b64 exec, exec, s[6:7]
	s_and_saveexec_b64 s[6:7], s[4:5]
	s_cbranch_execnz .LBB58_495
	s_branch .LBB58_496
.LBB58_2545:
	s_movk_i32 s4, 0x80
	v_cmp_eq_u16_e32 vcc, s4, v3
	s_mov_b64 s[4:5], -1
                                        ; implicit-def: $sgpr10
	s_and_saveexec_b64 s[8:9], vcc
; %bb.2546:
	s_mov_b32 s10, 0x7f800001
	s_xor_b64 s[4:5], exec, -1
; %bb.2547:
	s_or_b64 exec, exec, s[8:9]
	s_and_b64 s[4:5], s[4:5], exec
                                        ; implicit-def: $vgpr3
	s_or_saveexec_b64 s[6:7], s[6:7]
	v_mov_b32_e32 v2, s10
	s_xor_b64 exec, exec, s[6:7]
	s_cbranch_execz .LBB58_498
.LBB58_2548:
	v_cmp_ne_u16_e32 vcc, 0, v3
	s_andn2_b64 s[4:5], s[4:5], exec
	s_and_b64 s[8:9], vcc, exec
	v_mov_b32_e32 v2, 0
	s_or_b64 s[4:5], s[4:5], s[8:9]
	s_or_b64 exec, exec, s[6:7]
	s_and_saveexec_b64 s[6:7], s[4:5]
	s_cbranch_execnz .LBB58_499
	s_branch .LBB58_500
.LBB58_2549:
	s_movk_i32 s4, 0x80
	v_cmp_eq_u16_e32 vcc, s4, v3
	s_mov_b64 s[4:5], -1
                                        ; implicit-def: $sgpr10
	s_and_saveexec_b64 s[8:9], vcc
; %bb.2550:
	s_mov_b32 s10, 0x7f800001
	s_xor_b64 s[4:5], exec, -1
; %bb.2551:
	s_or_b64 exec, exec, s[8:9]
	s_and_b64 s[4:5], s[4:5], exec
                                        ; implicit-def: $vgpr3
	s_or_saveexec_b64 s[6:7], s[6:7]
	v_mov_b32_e32 v4, s10
	s_xor_b64 exec, exec, s[6:7]
	s_cbranch_execz .LBB58_502
.LBB58_2552:
	v_cmp_ne_u16_e32 vcc, 0, v3
	s_andn2_b64 s[4:5], s[4:5], exec
	s_and_b64 s[8:9], vcc, exec
	v_mov_b32_e32 v4, 0
	s_or_b64 s[4:5], s[4:5], s[8:9]
	s_or_b64 exec, exec, s[6:7]
	s_and_saveexec_b64 s[6:7], s[4:5]
	s_cbranch_execnz .LBB58_503
	s_branch .LBB58_504
.LBB58_2553:
	s_movk_i32 s4, 0x80
	v_cmp_eq_u16_sdwa s[12:13], v9, s4 src0_sel:BYTE_3 src1_sel:DWORD
	s_mov_b64 s[4:5], -1
                                        ; implicit-def: $sgpr10
	s_and_saveexec_b64 s[8:9], s[12:13]
; %bb.2554:
	s_mov_b32 s10, 0x7f800001
	s_xor_b64 s[4:5], exec, -1
; %bb.2555:
	s_or_b64 exec, exec, s[8:9]
	s_and_b64 s[4:5], s[4:5], exec
	s_or_saveexec_b64 s[6:7], s[6:7]
	v_mov_b32_e32 v2, s10
	s_xor_b64 exec, exec, s[6:7]
	s_cbranch_execz .LBB58_506
.LBB58_2556:
	v_mov_b32_e32 v2, 0
	v_cmp_ne_u16_sdwa s[8:9], v9, v2 src0_sel:BYTE_3 src1_sel:DWORD
	s_andn2_b64 s[4:5], s[4:5], exec
	s_and_b64 s[8:9], s[8:9], exec
	s_or_b64 s[4:5], s[4:5], s[8:9]
	s_or_b64 exec, exec, s[6:7]
	s_and_saveexec_b64 s[6:7], s[4:5]
	s_cbranch_execnz .LBB58_507
	s_branch .LBB58_508
.LBB58_2557:
	s_movk_i32 s4, 0x80
	v_cmp_eq_u16_sdwa s[12:13], v5, s4 src0_sel:BYTE_3 src1_sel:DWORD
	s_mov_b64 s[4:5], -1
                                        ; implicit-def: $sgpr10
	s_and_saveexec_b64 s[8:9], s[12:13]
; %bb.2558:
	s_mov_b32 s10, 0x7f800001
	s_xor_b64 s[4:5], exec, -1
; %bb.2559:
	s_or_b64 exec, exec, s[8:9]
	s_and_b64 s[4:5], s[4:5], exec
	s_or_saveexec_b64 s[6:7], s[6:7]
	v_mov_b32_e32 v3, s10
	s_xor_b64 exec, exec, s[6:7]
	s_cbranch_execz .LBB58_510
.LBB58_2560:
	v_mov_b32_e32 v3, 0
	v_cmp_ne_u16_sdwa s[8:9], v5, v3 src0_sel:BYTE_3 src1_sel:DWORD
	s_andn2_b64 s[4:5], s[4:5], exec
	s_and_b64 s[8:9], s[8:9], exec
	s_or_b64 s[4:5], s[4:5], s[8:9]
	s_or_b64 exec, exec, s[6:7]
	s_and_saveexec_b64 s[6:7], s[4:5]
	s_cbranch_execnz .LBB58_511
	s_branch .LBB58_512
.LBB58_2561:
	s_movk_i32 s4, 0x80
	v_cmp_eq_u16_sdwa s[12:13], v14, s4 src0_sel:BYTE_0 src1_sel:DWORD
	s_mov_b64 s[4:5], -1
                                        ; implicit-def: $sgpr10
	s_and_saveexec_b64 s[8:9], s[12:13]
; %bb.2562:
	s_mov_b32 s10, 0x7f800001
	s_xor_b64 s[4:5], exec, -1
; %bb.2563:
	s_or_b64 exec, exec, s[8:9]
	s_and_b64 s[4:5], s[4:5], exec
	s_or_saveexec_b64 s[6:7], s[6:7]
	v_mov_b32_e32 v20, s10
	s_xor_b64 exec, exec, s[6:7]
	s_cbranch_execz .LBB58_514
.LBB58_2564:
	v_mov_b32_e32 v20, 0
	v_cmp_ne_u16_sdwa s[8:9], v14, v20 src0_sel:BYTE_0 src1_sel:DWORD
	s_andn2_b64 s[4:5], s[4:5], exec
	s_and_b64 s[8:9], s[8:9], exec
	s_or_b64 s[4:5], s[4:5], s[8:9]
	s_or_b64 exec, exec, s[6:7]
	s_and_saveexec_b64 s[6:7], s[4:5]
	s_cbranch_execnz .LBB58_515
	s_branch .LBB58_516
.LBB58_2565:
	s_movk_i32 s4, 0x80
	v_cmp_eq_u16_sdwa s[12:13], v10, s4 src0_sel:BYTE_0 src1_sel:DWORD
	s_mov_b64 s[4:5], -1
                                        ; implicit-def: $sgpr10
	s_and_saveexec_b64 s[8:9], s[12:13]
; %bb.2566:
	s_mov_b32 s10, 0x7f800001
	s_xor_b64 s[4:5], exec, -1
; %bb.2567:
	s_or_b64 exec, exec, s[8:9]
	s_and_b64 s[4:5], s[4:5], exec
	s_or_saveexec_b64 s[6:7], s[6:7]
	v_mov_b32_e32 v21, s10
	s_xor_b64 exec, exec, s[6:7]
	s_cbranch_execz .LBB58_518
.LBB58_2568:
	v_mov_b32_e32 v21, 0
	v_cmp_ne_u16_sdwa s[8:9], v10, v21 src0_sel:BYTE_0 src1_sel:DWORD
	s_andn2_b64 s[4:5], s[4:5], exec
	s_and_b64 s[8:9], s[8:9], exec
	s_or_b64 s[4:5], s[4:5], s[8:9]
	s_or_b64 exec, exec, s[6:7]
	s_and_saveexec_b64 s[6:7], s[4:5]
	s_cbranch_execnz .LBB58_519
	s_branch .LBB58_520
.LBB58_2569:
	s_movk_i32 s4, 0x80
	v_cmp_eq_u16_sdwa s[12:13], v21, s4 src0_sel:BYTE_0 src1_sel:DWORD
	s_mov_b64 s[4:5], -1
                                        ; implicit-def: $sgpr10
	s_and_saveexec_b64 s[8:9], s[12:13]
; %bb.2570:
	s_mov_b32 s10, 0x7f800001
	s_xor_b64 s[4:5], exec, -1
; %bb.2571:
	s_or_b64 exec, exec, s[8:9]
	s_and_b64 s[4:5], s[4:5], exec
	s_or_saveexec_b64 s[6:7], s[6:7]
	v_mov_b32_e32 v20, s10
	s_xor_b64 exec, exec, s[6:7]
	s_cbranch_execz .LBB58_522
.LBB58_2572:
	v_mov_b32_e32 v20, 0
	v_cmp_ne_u16_sdwa s[8:9], v21, v20 src0_sel:BYTE_0 src1_sel:DWORD
	s_andn2_b64 s[4:5], s[4:5], exec
	s_and_b64 s[8:9], s[8:9], exec
	s_or_b64 s[4:5], s[4:5], s[8:9]
	s_or_b64 exec, exec, s[6:7]
	s_and_saveexec_b64 s[6:7], s[4:5]
	s_cbranch_execnz .LBB58_523
	s_branch .LBB58_524
.LBB58_2573:
	s_movk_i32 s4, 0x80
	v_cmp_eq_u16_sdwa s[12:13], v21, s4 src0_sel:BYTE_0 src1_sel:DWORD
	s_mov_b64 s[4:5], -1
                                        ; implicit-def: $sgpr10
	s_and_saveexec_b64 s[8:9], s[12:13]
; %bb.2574:
	s_mov_b32 s10, 0x7f800001
	s_xor_b64 s[4:5], exec, -1
; %bb.2575:
	s_or_b64 exec, exec, s[8:9]
	s_and_b64 s[4:5], s[4:5], exec
	s_or_saveexec_b64 s[6:7], s[6:7]
	v_mov_b32_e32 v22, s10
	s_xor_b64 exec, exec, s[6:7]
	s_cbranch_execz .LBB58_526
.LBB58_2576:
	v_mov_b32_e32 v22, 0
	v_cmp_ne_u16_sdwa s[8:9], v21, v22 src0_sel:BYTE_0 src1_sel:DWORD
	s_andn2_b64 s[4:5], s[4:5], exec
	s_and_b64 s[8:9], s[8:9], exec
	s_or_b64 s[4:5], s[4:5], s[8:9]
	s_or_b64 exec, exec, s[6:7]
	s_and_saveexec_b64 s[6:7], s[4:5]
	s_cbranch_execnz .LBB58_527
	s_branch .LBB58_528
.LBB58_2577:
	s_movk_i32 s4, 0x80
	v_cmp_eq_u16_e32 vcc, s4, v21
	s_mov_b64 s[4:5], -1
                                        ; implicit-def: $sgpr10
	s_and_saveexec_b64 s[8:9], vcc
; %bb.2578:
	s_mov_b32 s10, 0x7f800001
	s_xor_b64 s[4:5], exec, -1
; %bb.2579:
	s_or_b64 exec, exec, s[8:9]
	s_and_b64 s[4:5], s[4:5], exec
                                        ; implicit-def: $vgpr21
	s_or_saveexec_b64 s[6:7], s[6:7]
	v_mov_b32_e32 v20, s10
	s_xor_b64 exec, exec, s[6:7]
	s_cbranch_execz .LBB58_530
.LBB58_2580:
	v_cmp_ne_u16_e32 vcc, 0, v21
	s_andn2_b64 s[4:5], s[4:5], exec
	s_and_b64 s[8:9], vcc, exec
	v_mov_b32_e32 v20, 0
	s_or_b64 s[4:5], s[4:5], s[8:9]
	s_or_b64 exec, exec, s[6:7]
	s_and_saveexec_b64 s[6:7], s[4:5]
	s_cbranch_execnz .LBB58_531
	s_branch .LBB58_532
.LBB58_2581:
	s_movk_i32 s4, 0x80
	v_cmp_eq_u16_e32 vcc, s4, v21
	s_mov_b64 s[4:5], -1
                                        ; implicit-def: $sgpr10
	s_and_saveexec_b64 s[8:9], vcc
; %bb.2582:
	s_mov_b32 s10, 0x7f800001
	s_xor_b64 s[4:5], exec, -1
; %bb.2583:
	s_or_b64 exec, exec, s[8:9]
	s_and_b64 s[4:5], s[4:5], exec
                                        ; implicit-def: $vgpr21
	s_or_saveexec_b64 s[6:7], s[6:7]
	v_mov_b32_e32 v22, s10
	s_xor_b64 exec, exec, s[6:7]
	s_cbranch_execz .LBB58_534
.LBB58_2584:
	v_cmp_ne_u16_e32 vcc, 0, v21
	s_andn2_b64 s[4:5], s[4:5], exec
	s_and_b64 s[8:9], vcc, exec
	v_mov_b32_e32 v22, 0
	s_or_b64 s[4:5], s[4:5], s[8:9]
	s_or_b64 exec, exec, s[6:7]
	s_and_saveexec_b64 s[6:7], s[4:5]
	s_cbranch_execnz .LBB58_535
	s_branch .LBB58_536
.LBB58_2585:
	s_movk_i32 s4, 0x80
	v_cmp_eq_u16_sdwa s[12:13], v14, s4 src0_sel:BYTE_3 src1_sel:DWORD
	s_mov_b64 s[4:5], -1
                                        ; implicit-def: $sgpr10
	s_and_saveexec_b64 s[8:9], s[12:13]
; %bb.2586:
	s_mov_b32 s10, 0x7f800001
	s_xor_b64 s[4:5], exec, -1
; %bb.2587:
	s_or_b64 exec, exec, s[8:9]
	s_and_b64 s[4:5], s[4:5], exec
	s_or_saveexec_b64 s[6:7], s[6:7]
	v_mov_b32_e32 v20, s10
	s_xor_b64 exec, exec, s[6:7]
	s_cbranch_execz .LBB58_538
.LBB58_2588:
	v_mov_b32_e32 v20, 0
	v_cmp_ne_u16_sdwa s[8:9], v14, v20 src0_sel:BYTE_3 src1_sel:DWORD
	s_andn2_b64 s[4:5], s[4:5], exec
	s_and_b64 s[8:9], s[8:9], exec
	s_or_b64 s[4:5], s[4:5], s[8:9]
	s_or_b64 exec, exec, s[6:7]
	s_and_saveexec_b64 s[6:7], s[4:5]
	s_cbranch_execnz .LBB58_539
	s_branch .LBB58_540
.LBB58_2589:
	s_movk_i32 s4, 0x80
	v_cmp_eq_u16_sdwa s[12:13], v10, s4 src0_sel:BYTE_3 src1_sel:DWORD
	s_mov_b64 s[4:5], -1
                                        ; implicit-def: $sgpr10
	s_and_saveexec_b64 s[8:9], s[12:13]
; %bb.2590:
	s_mov_b32 s10, 0x7f800001
	s_xor_b64 s[4:5], exec, -1
; %bb.2591:
	s_or_b64 exec, exec, s[8:9]
	s_and_b64 s[4:5], s[4:5], exec
	s_or_saveexec_b64 s[6:7], s[6:7]
	v_mov_b32_e32 v14, s10
	s_xor_b64 exec, exec, s[6:7]
	s_cbranch_execz .LBB58_542
.LBB58_2592:
	v_mov_b32_e32 v14, 0
	v_cmp_ne_u16_sdwa s[8:9], v10, v14 src0_sel:BYTE_3 src1_sel:DWORD
	s_andn2_b64 s[4:5], s[4:5], exec
	s_and_b64 s[8:9], s[8:9], exec
	s_or_b64 s[4:5], s[4:5], s[8:9]
	s_or_b64 exec, exec, s[6:7]
	s_and_saveexec_b64 s[6:7], s[4:5]
	s_cbranch_execnz .LBB58_543
	s_branch .LBB58_544
.LBB58_2593:
	s_movk_i32 s4, 0x80
	v_cmp_eq_u16_sdwa s[12:13], v15, s4 src0_sel:BYTE_0 src1_sel:DWORD
	s_mov_b64 s[4:5], -1
                                        ; implicit-def: $sgpr10
	s_and_saveexec_b64 s[8:9], s[12:13]
; %bb.2594:
	s_mov_b32 s10, 0x7f800001
	s_xor_b64 s[4:5], exec, -1
; %bb.2595:
	s_or_b64 exec, exec, s[8:9]
	s_and_b64 s[4:5], s[4:5], exec
	s_or_saveexec_b64 s[6:7], s[6:7]
	v_mov_b32_e32 v10, s10
	s_xor_b64 exec, exec, s[6:7]
	s_cbranch_execz .LBB58_546
.LBB58_2596:
	v_mov_b32_e32 v10, 0
	v_cmp_ne_u16_sdwa s[8:9], v15, v10 src0_sel:BYTE_0 src1_sel:DWORD
	s_andn2_b64 s[4:5], s[4:5], exec
	s_and_b64 s[8:9], s[8:9], exec
	s_or_b64 s[4:5], s[4:5], s[8:9]
	s_or_b64 exec, exec, s[6:7]
	s_and_saveexec_b64 s[6:7], s[4:5]
	s_cbranch_execnz .LBB58_547
	s_branch .LBB58_548
.LBB58_2597:
	s_movk_i32 s4, 0x80
	v_cmp_eq_u16_sdwa s[12:13], v11, s4 src0_sel:BYTE_0 src1_sel:DWORD
	s_mov_b64 s[4:5], -1
                                        ; implicit-def: $sgpr10
	s_and_saveexec_b64 s[8:9], s[12:13]
; %bb.2598:
	s_mov_b32 s10, 0x7f800001
	s_xor_b64 s[4:5], exec, -1
; %bb.2599:
	s_or_b64 exec, exec, s[8:9]
	s_and_b64 s[4:5], s[4:5], exec
	s_or_saveexec_b64 s[6:7], s[6:7]
	v_mov_b32_e32 v14, s10
	s_xor_b64 exec, exec, s[6:7]
	s_cbranch_execz .LBB58_550
.LBB58_2600:
	v_mov_b32_e32 v14, 0
	v_cmp_ne_u16_sdwa s[8:9], v11, v14 src0_sel:BYTE_0 src1_sel:DWORD
	s_andn2_b64 s[4:5], s[4:5], exec
	s_and_b64 s[8:9], s[8:9], exec
	s_or_b64 s[4:5], s[4:5], s[8:9]
	s_or_b64 exec, exec, s[6:7]
	s_and_saveexec_b64 s[6:7], s[4:5]
	s_cbranch_execnz .LBB58_551
	s_branch .LBB58_552
.LBB58_2601:
	s_movk_i32 s4, 0x80
	v_cmp_eq_u16_sdwa s[12:13], v14, s4 src0_sel:BYTE_0 src1_sel:DWORD
	s_mov_b64 s[4:5], -1
                                        ; implicit-def: $sgpr10
	s_and_saveexec_b64 s[8:9], s[12:13]
; %bb.2602:
	s_mov_b32 s10, 0x7f800001
	s_xor_b64 s[4:5], exec, -1
; %bb.2603:
	s_or_b64 exec, exec, s[8:9]
	s_and_b64 s[4:5], s[4:5], exec
	s_or_saveexec_b64 s[6:7], s[6:7]
	v_mov_b32_e32 v10, s10
	s_xor_b64 exec, exec, s[6:7]
	s_cbranch_execz .LBB58_554
.LBB58_2604:
	v_mov_b32_e32 v10, 0
	v_cmp_ne_u16_sdwa s[8:9], v14, v10 src0_sel:BYTE_0 src1_sel:DWORD
	s_andn2_b64 s[4:5], s[4:5], exec
	s_and_b64 s[8:9], s[8:9], exec
	s_or_b64 s[4:5], s[4:5], s[8:9]
	s_or_b64 exec, exec, s[6:7]
	s_and_saveexec_b64 s[6:7], s[4:5]
	s_cbranch_execnz .LBB58_555
	s_branch .LBB58_556
.LBB58_2605:
	s_movk_i32 s4, 0x80
	v_cmp_eq_u16_sdwa s[12:13], v14, s4 src0_sel:BYTE_0 src1_sel:DWORD
	s_mov_b64 s[4:5], -1
                                        ; implicit-def: $sgpr10
	s_and_saveexec_b64 s[8:9], s[12:13]
; %bb.2606:
	s_mov_b32 s10, 0x7f800001
	s_xor_b64 s[4:5], exec, -1
; %bb.2607:
	s_or_b64 exec, exec, s[8:9]
	s_and_b64 s[4:5], s[4:5], exec
	s_or_saveexec_b64 s[6:7], s[6:7]
	v_mov_b32_e32 v20, s10
	s_xor_b64 exec, exec, s[6:7]
	s_cbranch_execz .LBB58_558
.LBB58_2608:
	v_mov_b32_e32 v20, 0
	v_cmp_ne_u16_sdwa s[8:9], v14, v20 src0_sel:BYTE_0 src1_sel:DWORD
	s_andn2_b64 s[4:5], s[4:5], exec
	s_and_b64 s[8:9], s[8:9], exec
	s_or_b64 s[4:5], s[4:5], s[8:9]
	s_or_b64 exec, exec, s[6:7]
	s_and_saveexec_b64 s[6:7], s[4:5]
	s_cbranch_execnz .LBB58_559
	s_branch .LBB58_560
.LBB58_2609:
	s_movk_i32 s4, 0x80
	v_cmp_eq_u16_e32 vcc, s4, v14
	s_mov_b64 s[4:5], -1
                                        ; implicit-def: $sgpr10
	s_and_saveexec_b64 s[8:9], vcc
; %bb.2610:
	s_mov_b32 s10, 0x7f800001
	s_xor_b64 s[4:5], exec, -1
; %bb.2611:
	s_or_b64 exec, exec, s[8:9]
	s_and_b64 s[4:5], s[4:5], exec
                                        ; implicit-def: $vgpr14
	s_or_saveexec_b64 s[6:7], s[6:7]
	v_mov_b32_e32 v10, s10
	s_xor_b64 exec, exec, s[6:7]
	s_cbranch_execz .LBB58_562
.LBB58_2612:
	v_cmp_ne_u16_e32 vcc, 0, v14
	s_andn2_b64 s[4:5], s[4:5], exec
	s_and_b64 s[8:9], vcc, exec
	v_mov_b32_e32 v10, 0
	s_or_b64 s[4:5], s[4:5], s[8:9]
	s_or_b64 exec, exec, s[6:7]
	s_and_saveexec_b64 s[6:7], s[4:5]
	s_cbranch_execnz .LBB58_563
	s_branch .LBB58_564
.LBB58_2613:
	s_movk_i32 s4, 0x80
	v_cmp_eq_u16_e32 vcc, s4, v14
	s_mov_b64 s[4:5], -1
                                        ; implicit-def: $sgpr10
	s_and_saveexec_b64 s[8:9], vcc
; %bb.2614:
	s_mov_b32 s10, 0x7f800001
	s_xor_b64 s[4:5], exec, -1
; %bb.2615:
	s_or_b64 exec, exec, s[8:9]
	s_and_b64 s[4:5], s[4:5], exec
                                        ; implicit-def: $vgpr14
	s_or_saveexec_b64 s[6:7], s[6:7]
	v_mov_b32_e32 v20, s10
	s_xor_b64 exec, exec, s[6:7]
	s_cbranch_execz .LBB58_566
.LBB58_2616:
	v_cmp_ne_u16_e32 vcc, 0, v14
	s_andn2_b64 s[4:5], s[4:5], exec
	s_and_b64 s[8:9], vcc, exec
	v_mov_b32_e32 v20, 0
	s_or_b64 s[4:5], s[4:5], s[8:9]
	s_or_b64 exec, exec, s[6:7]
	s_and_saveexec_b64 s[6:7], s[4:5]
	s_cbranch_execnz .LBB58_567
	s_branch .LBB58_568
.LBB58_2617:
	s_movk_i32 s4, 0x80
	v_cmp_eq_u16_sdwa s[12:13], v15, s4 src0_sel:BYTE_3 src1_sel:DWORD
	s_mov_b64 s[4:5], -1
                                        ; implicit-def: $sgpr10
	s_and_saveexec_b64 s[8:9], s[12:13]
; %bb.2618:
	s_mov_b32 s10, 0x7f800001
	s_xor_b64 s[4:5], exec, -1
; %bb.2619:
	s_or_b64 exec, exec, s[8:9]
	s_and_b64 s[4:5], s[4:5], exec
	s_or_saveexec_b64 s[6:7], s[6:7]
	v_mov_b32_e32 v10, s10
	s_xor_b64 exec, exec, s[6:7]
	s_cbranch_execz .LBB58_570
.LBB58_2620:
	v_mov_b32_e32 v10, 0
	v_cmp_ne_u16_sdwa s[8:9], v15, v10 src0_sel:BYTE_3 src1_sel:DWORD
	s_andn2_b64 s[4:5], s[4:5], exec
	s_and_b64 s[8:9], s[8:9], exec
	s_or_b64 s[4:5], s[4:5], s[8:9]
	s_or_b64 exec, exec, s[6:7]
	s_and_saveexec_b64 s[6:7], s[4:5]
	s_cbranch_execnz .LBB58_571
	s_branch .LBB58_572
.LBB58_2621:
	s_movk_i32 s4, 0x80
	v_cmp_eq_u16_sdwa s[12:13], v11, s4 src0_sel:BYTE_3 src1_sel:DWORD
	s_mov_b64 s[4:5], -1
                                        ; implicit-def: $sgpr10
	s_and_saveexec_b64 s[8:9], s[12:13]
; %bb.2622:
	s_mov_b32 s10, 0x7f800001
	s_xor_b64 s[4:5], exec, -1
; %bb.2623:
	s_or_b64 exec, exec, s[8:9]
	s_and_b64 s[4:5], s[4:5], exec
	s_or_saveexec_b64 s[6:7], s[6:7]
	v_mov_b32_e32 v14, s10
	s_xor_b64 exec, exec, s[6:7]
	s_cbranch_execz .LBB58_574
.LBB58_2624:
	v_mov_b32_e32 v14, 0
	v_cmp_ne_u16_sdwa s[8:9], v11, v14 src0_sel:BYTE_3 src1_sel:DWORD
	s_andn2_b64 s[4:5], s[4:5], exec
	s_and_b64 s[8:9], s[8:9], exec
	s_or_b64 s[4:5], s[4:5], s[8:9]
	s_or_b64 exec, exec, s[6:7]
	s_and_saveexec_b64 s[6:7], s[4:5]
	s_cbranch_execnz .LBB58_575
	s_branch .LBB58_576
.LBB58_2625:
	s_movk_i32 s4, 0x80
	v_cmp_eq_u16_sdwa s[12:13], v16, s4 src0_sel:BYTE_0 src1_sel:DWORD
	s_mov_b64 s[4:5], -1
                                        ; implicit-def: $sgpr10
	s_and_saveexec_b64 s[8:9], s[12:13]
; %bb.2626:
	s_mov_b32 s10, 0x7f800001
	s_xor_b64 s[4:5], exec, -1
; %bb.2627:
	s_or_b64 exec, exec, s[8:9]
	s_and_b64 s[4:5], s[4:5], exec
	s_or_saveexec_b64 s[6:7], s[6:7]
	v_mov_b32_e32 v10, s10
	s_xor_b64 exec, exec, s[6:7]
	s_cbranch_execz .LBB58_578
.LBB58_2628:
	v_mov_b32_e32 v10, 0
	v_cmp_ne_u16_sdwa s[8:9], v16, v10 src0_sel:BYTE_0 src1_sel:DWORD
	s_andn2_b64 s[4:5], s[4:5], exec
	s_and_b64 s[8:9], s[8:9], exec
	s_or_b64 s[4:5], s[4:5], s[8:9]
	s_or_b64 exec, exec, s[6:7]
	s_and_saveexec_b64 s[6:7], s[4:5]
	s_cbranch_execnz .LBB58_579
	s_branch .LBB58_580
.LBB58_2629:
	s_movk_i32 s4, 0x80
	v_cmp_eq_u16_sdwa s[12:13], v12, s4 src0_sel:BYTE_0 src1_sel:DWORD
	s_mov_b64 s[4:5], -1
                                        ; implicit-def: $sgpr10
	s_and_saveexec_b64 s[8:9], s[12:13]
; %bb.2630:
	s_mov_b32 s10, 0x7f800001
	s_xor_b64 s[4:5], exec, -1
; %bb.2631:
	s_or_b64 exec, exec, s[8:9]
	s_and_b64 s[4:5], s[4:5], exec
	s_or_saveexec_b64 s[6:7], s[6:7]
	v_mov_b32_e32 v11, s10
	s_xor_b64 exec, exec, s[6:7]
	s_cbranch_execz .LBB58_582
.LBB58_2632:
	v_mov_b32_e32 v11, 0
	v_cmp_ne_u16_sdwa s[8:9], v12, v11 src0_sel:BYTE_0 src1_sel:DWORD
	s_andn2_b64 s[4:5], s[4:5], exec
	s_and_b64 s[8:9], s[8:9], exec
	s_or_b64 s[4:5], s[4:5], s[8:9]
	s_or_b64 exec, exec, s[6:7]
	s_and_saveexec_b64 s[6:7], s[4:5]
	s_cbranch_execnz .LBB58_583
	s_branch .LBB58_584
.LBB58_2633:
	s_movk_i32 s4, 0x80
	v_cmp_eq_u16_sdwa s[12:13], v11, s4 src0_sel:BYTE_0 src1_sel:DWORD
	s_mov_b64 s[4:5], -1
                                        ; implicit-def: $sgpr10
	s_and_saveexec_b64 s[8:9], s[12:13]
; %bb.2634:
	s_mov_b32 s10, 0x7f800001
	s_xor_b64 s[4:5], exec, -1
; %bb.2635:
	s_or_b64 exec, exec, s[8:9]
	s_and_b64 s[4:5], s[4:5], exec
	s_or_saveexec_b64 s[6:7], s[6:7]
	v_mov_b32_e32 v10, s10
	s_xor_b64 exec, exec, s[6:7]
	s_cbranch_execz .LBB58_586
.LBB58_2636:
	v_mov_b32_e32 v10, 0
	v_cmp_ne_u16_sdwa s[8:9], v11, v10 src0_sel:BYTE_0 src1_sel:DWORD
	s_andn2_b64 s[4:5], s[4:5], exec
	s_and_b64 s[8:9], s[8:9], exec
	s_or_b64 s[4:5], s[4:5], s[8:9]
	s_or_b64 exec, exec, s[6:7]
	s_and_saveexec_b64 s[6:7], s[4:5]
	s_cbranch_execnz .LBB58_587
	s_branch .LBB58_588
.LBB58_2637:
	s_movk_i32 s4, 0x80
	v_cmp_eq_u16_sdwa s[12:13], v11, s4 src0_sel:BYTE_0 src1_sel:DWORD
	s_mov_b64 s[4:5], -1
                                        ; implicit-def: $sgpr10
	s_and_saveexec_b64 s[8:9], s[12:13]
; %bb.2638:
	s_mov_b32 s10, 0x7f800001
	s_xor_b64 s[4:5], exec, -1
; %bb.2639:
	s_or_b64 exec, exec, s[8:9]
	s_and_b64 s[4:5], s[4:5], exec
	s_or_saveexec_b64 s[6:7], s[6:7]
	v_mov_b32_e32 v14, s10
	s_xor_b64 exec, exec, s[6:7]
	s_cbranch_execz .LBB58_590
.LBB58_2640:
	v_mov_b32_e32 v14, 0
	v_cmp_ne_u16_sdwa s[8:9], v11, v14 src0_sel:BYTE_0 src1_sel:DWORD
	s_andn2_b64 s[4:5], s[4:5], exec
	s_and_b64 s[8:9], s[8:9], exec
	s_or_b64 s[4:5], s[4:5], s[8:9]
	s_or_b64 exec, exec, s[6:7]
	s_and_saveexec_b64 s[6:7], s[4:5]
	s_cbranch_execnz .LBB58_591
	s_branch .LBB58_592
.LBB58_2641:
	s_movk_i32 s4, 0x80
	v_cmp_eq_u16_e32 vcc, s4, v11
	s_mov_b64 s[4:5], -1
                                        ; implicit-def: $sgpr10
	s_and_saveexec_b64 s[8:9], vcc
; %bb.2642:
	s_mov_b32 s10, 0x7f800001
	s_xor_b64 s[4:5], exec, -1
; %bb.2643:
	s_or_b64 exec, exec, s[8:9]
	s_and_b64 s[4:5], s[4:5], exec
                                        ; implicit-def: $vgpr11
	s_or_saveexec_b64 s[6:7], s[6:7]
	v_mov_b32_e32 v10, s10
	s_xor_b64 exec, exec, s[6:7]
	s_cbranch_execz .LBB58_594
.LBB58_2644:
	v_cmp_ne_u16_e32 vcc, 0, v11
	s_andn2_b64 s[4:5], s[4:5], exec
	s_and_b64 s[8:9], vcc, exec
	v_mov_b32_e32 v10, 0
	s_or_b64 s[4:5], s[4:5], s[8:9]
	s_or_b64 exec, exec, s[6:7]
	s_and_saveexec_b64 s[6:7], s[4:5]
	s_cbranch_execnz .LBB58_595
	s_branch .LBB58_596
.LBB58_2645:
	s_movk_i32 s4, 0x80
	v_cmp_eq_u16_e32 vcc, s4, v11
	s_mov_b64 s[4:5], -1
                                        ; implicit-def: $sgpr10
	s_and_saveexec_b64 s[8:9], vcc
; %bb.2646:
	s_mov_b32 s10, 0x7f800001
	s_xor_b64 s[4:5], exec, -1
; %bb.2647:
	s_or_b64 exec, exec, s[8:9]
	s_and_b64 s[4:5], s[4:5], exec
                                        ; implicit-def: $vgpr11
	s_or_saveexec_b64 s[6:7], s[6:7]
	v_mov_b32_e32 v14, s10
	s_xor_b64 exec, exec, s[6:7]
	s_cbranch_execz .LBB58_598
.LBB58_2648:
	v_cmp_ne_u16_e32 vcc, 0, v11
	s_andn2_b64 s[4:5], s[4:5], exec
	s_and_b64 s[8:9], vcc, exec
	v_mov_b32_e32 v14, 0
	s_or_b64 s[4:5], s[4:5], s[8:9]
	s_or_b64 exec, exec, s[6:7]
	s_and_saveexec_b64 s[6:7], s[4:5]
	s_cbranch_execnz .LBB58_599
	s_branch .LBB58_600
.LBB58_2649:
	s_movk_i32 s4, 0x80
	v_cmp_eq_u16_sdwa s[12:13], v16, s4 src0_sel:BYTE_3 src1_sel:DWORD
	s_mov_b64 s[4:5], -1
                                        ; implicit-def: $sgpr10
	s_and_saveexec_b64 s[8:9], s[12:13]
; %bb.2650:
	s_mov_b32 s10, 0x7f800001
	s_xor_b64 s[4:5], exec, -1
; %bb.2651:
	s_or_b64 exec, exec, s[8:9]
	s_and_b64 s[4:5], s[4:5], exec
	s_or_saveexec_b64 s[6:7], s[6:7]
	v_mov_b32_e32 v10, s10
	s_xor_b64 exec, exec, s[6:7]
	s_cbranch_execz .LBB58_602
.LBB58_2652:
	v_mov_b32_e32 v10, 0
	v_cmp_ne_u16_sdwa s[8:9], v16, v10 src0_sel:BYTE_3 src1_sel:DWORD
	s_andn2_b64 s[4:5], s[4:5], exec
	s_and_b64 s[8:9], s[8:9], exec
	s_or_b64 s[4:5], s[4:5], s[8:9]
	s_or_b64 exec, exec, s[6:7]
	s_and_saveexec_b64 s[6:7], s[4:5]
	s_cbranch_execnz .LBB58_603
	s_branch .LBB58_604
.LBB58_2653:
	s_movk_i32 s4, 0x80
	v_cmp_eq_u16_sdwa s[12:13], v12, s4 src0_sel:BYTE_3 src1_sel:DWORD
	s_mov_b64 s[4:5], -1
                                        ; implicit-def: $sgpr10
	s_and_saveexec_b64 s[8:9], s[12:13]
; %bb.2654:
	s_mov_b32 s10, 0x7f800001
	s_xor_b64 s[4:5], exec, -1
; %bb.2655:
	s_or_b64 exec, exec, s[8:9]
	s_and_b64 s[4:5], s[4:5], exec
	s_or_saveexec_b64 s[6:7], s[6:7]
	v_mov_b32_e32 v11, s10
	s_xor_b64 exec, exec, s[6:7]
	s_cbranch_execz .LBB58_606
.LBB58_2656:
	v_mov_b32_e32 v11, 0
	v_cmp_ne_u16_sdwa s[8:9], v12, v11 src0_sel:BYTE_3 src1_sel:DWORD
	s_andn2_b64 s[4:5], s[4:5], exec
	s_and_b64 s[8:9], s[8:9], exec
	s_or_b64 s[4:5], s[4:5], s[8:9]
	s_or_b64 exec, exec, s[6:7]
	s_and_saveexec_b64 s[6:7], s[4:5]
	s_cbranch_execnz .LBB58_607
	s_branch .LBB58_608
.LBB58_2657:
	s_movk_i32 s4, 0x80
	v_cmp_eq_u16_sdwa s[12:13], v17, s4 src0_sel:BYTE_0 src1_sel:DWORD
	s_mov_b64 s[4:5], -1
                                        ; implicit-def: $sgpr10
	s_and_saveexec_b64 s[8:9], s[12:13]
; %bb.2658:
	s_mov_b32 s10, 0x7f800001
	s_xor_b64 s[4:5], exec, -1
; %bb.2659:
	s_or_b64 exec, exec, s[8:9]
	s_and_b64 s[4:5], s[4:5], exec
	s_or_saveexec_b64 s[6:7], s[6:7]
	v_mov_b32_e32 v10, s10
	s_xor_b64 exec, exec, s[6:7]
	s_cbranch_execz .LBB58_610
.LBB58_2660:
	v_mov_b32_e32 v10, 0
	v_cmp_ne_u16_sdwa s[8:9], v17, v10 src0_sel:BYTE_0 src1_sel:DWORD
	s_andn2_b64 s[4:5], s[4:5], exec
	s_and_b64 s[8:9], s[8:9], exec
	s_or_b64 s[4:5], s[4:5], s[8:9]
	s_or_b64 exec, exec, s[6:7]
	s_and_saveexec_b64 s[6:7], s[4:5]
	s_cbranch_execnz .LBB58_611
	s_branch .LBB58_612
.LBB58_2661:
	s_movk_i32 s4, 0x80
	v_cmp_eq_u16_sdwa s[12:13], v13, s4 src0_sel:BYTE_0 src1_sel:DWORD
	s_mov_b64 s[4:5], -1
                                        ; implicit-def: $sgpr10
	s_and_saveexec_b64 s[8:9], s[12:13]
; %bb.2662:
	s_mov_b32 s10, 0x7f800001
	s_xor_b64 s[4:5], exec, -1
; %bb.2663:
	s_or_b64 exec, exec, s[8:9]
	s_and_b64 s[4:5], s[4:5], exec
	s_or_saveexec_b64 s[6:7], s[6:7]
	v_mov_b32_e32 v11, s10
	s_xor_b64 exec, exec, s[6:7]
	s_cbranch_execz .LBB58_614
.LBB58_2664:
	v_mov_b32_e32 v11, 0
	v_cmp_ne_u16_sdwa s[8:9], v13, v11 src0_sel:BYTE_0 src1_sel:DWORD
	s_andn2_b64 s[4:5], s[4:5], exec
	s_and_b64 s[8:9], s[8:9], exec
	s_or_b64 s[4:5], s[4:5], s[8:9]
	s_or_b64 exec, exec, s[6:7]
	s_and_saveexec_b64 s[6:7], s[4:5]
	s_cbranch_execnz .LBB58_615
	s_branch .LBB58_616
.LBB58_2665:
	s_movk_i32 s4, 0x80
	v_cmp_eq_u16_sdwa s[12:13], v11, s4 src0_sel:BYTE_0 src1_sel:DWORD
	s_mov_b64 s[4:5], -1
                                        ; implicit-def: $sgpr10
	s_and_saveexec_b64 s[8:9], s[12:13]
; %bb.2666:
	s_mov_b32 s10, 0x7f800001
	s_xor_b64 s[4:5], exec, -1
; %bb.2667:
	s_or_b64 exec, exec, s[8:9]
	s_and_b64 s[4:5], s[4:5], exec
	s_or_saveexec_b64 s[6:7], s[6:7]
	v_mov_b32_e32 v10, s10
	s_xor_b64 exec, exec, s[6:7]
	s_cbranch_execz .LBB58_618
.LBB58_2668:
	v_mov_b32_e32 v10, 0
	v_cmp_ne_u16_sdwa s[8:9], v11, v10 src0_sel:BYTE_0 src1_sel:DWORD
	s_andn2_b64 s[4:5], s[4:5], exec
	s_and_b64 s[8:9], s[8:9], exec
	s_or_b64 s[4:5], s[4:5], s[8:9]
	s_or_b64 exec, exec, s[6:7]
	s_and_saveexec_b64 s[6:7], s[4:5]
	s_cbranch_execnz .LBB58_619
	s_branch .LBB58_620
.LBB58_2669:
	s_movk_i32 s4, 0x80
	v_cmp_eq_u16_sdwa s[12:13], v11, s4 src0_sel:BYTE_0 src1_sel:DWORD
	s_mov_b64 s[4:5], -1
                                        ; implicit-def: $sgpr10
	s_and_saveexec_b64 s[8:9], s[12:13]
; %bb.2670:
	s_mov_b32 s10, 0x7f800001
	s_xor_b64 s[4:5], exec, -1
; %bb.2671:
	s_or_b64 exec, exec, s[8:9]
	s_and_b64 s[4:5], s[4:5], exec
	s_or_saveexec_b64 s[6:7], s[6:7]
	v_mov_b32_e32 v12, s10
	s_xor_b64 exec, exec, s[6:7]
	s_cbranch_execz .LBB58_622
.LBB58_2672:
	v_mov_b32_e32 v12, 0
	v_cmp_ne_u16_sdwa s[8:9], v11, v12 src0_sel:BYTE_0 src1_sel:DWORD
	s_andn2_b64 s[4:5], s[4:5], exec
	s_and_b64 s[8:9], s[8:9], exec
	s_or_b64 s[4:5], s[4:5], s[8:9]
	s_or_b64 exec, exec, s[6:7]
	s_and_saveexec_b64 s[6:7], s[4:5]
	s_cbranch_execnz .LBB58_623
	s_branch .LBB58_624
.LBB58_2673:
	s_movk_i32 s4, 0x80
	v_cmp_eq_u16_e32 vcc, s4, v11
	s_mov_b64 s[4:5], -1
                                        ; implicit-def: $sgpr10
	s_and_saveexec_b64 s[8:9], vcc
; %bb.2674:
	s_mov_b32 s10, 0x7f800001
	s_xor_b64 s[4:5], exec, -1
; %bb.2675:
	s_or_b64 exec, exec, s[8:9]
	s_and_b64 s[4:5], s[4:5], exec
                                        ; implicit-def: $vgpr11
	s_or_saveexec_b64 s[6:7], s[6:7]
	v_mov_b32_e32 v10, s10
	s_xor_b64 exec, exec, s[6:7]
	s_cbranch_execz .LBB58_626
.LBB58_2676:
	v_cmp_ne_u16_e32 vcc, 0, v11
	s_andn2_b64 s[4:5], s[4:5], exec
	s_and_b64 s[8:9], vcc, exec
	v_mov_b32_e32 v10, 0
	s_or_b64 s[4:5], s[4:5], s[8:9]
	s_or_b64 exec, exec, s[6:7]
	s_and_saveexec_b64 s[6:7], s[4:5]
	s_cbranch_execnz .LBB58_627
	s_branch .LBB58_628
.LBB58_2677:
	s_movk_i32 s4, 0x80
	v_cmp_eq_u16_e32 vcc, s4, v11
	s_mov_b64 s[4:5], -1
                                        ; implicit-def: $sgpr10
	s_and_saveexec_b64 s[8:9], vcc
; %bb.2678:
	s_mov_b32 s10, 0x7f800001
	s_xor_b64 s[4:5], exec, -1
; %bb.2679:
	s_or_b64 exec, exec, s[8:9]
	s_and_b64 s[4:5], s[4:5], exec
                                        ; implicit-def: $vgpr11
	s_or_saveexec_b64 s[6:7], s[6:7]
	v_mov_b32_e32 v12, s10
	s_xor_b64 exec, exec, s[6:7]
	s_cbranch_execz .LBB58_630
.LBB58_2680:
	v_cmp_ne_u16_e32 vcc, 0, v11
	s_andn2_b64 s[4:5], s[4:5], exec
	s_and_b64 s[8:9], vcc, exec
	v_mov_b32_e32 v12, 0
	s_or_b64 s[4:5], s[4:5], s[8:9]
	s_or_b64 exec, exec, s[6:7]
	s_and_saveexec_b64 s[6:7], s[4:5]
	s_cbranch_execnz .LBB58_631
	s_branch .LBB58_632
.LBB58_2681:
	s_movk_i32 s4, 0x80
	v_cmp_eq_u16_sdwa s[12:13], v17, s4 src0_sel:BYTE_3 src1_sel:DWORD
	s_mov_b64 s[4:5], -1
                                        ; implicit-def: $sgpr10
	s_and_saveexec_b64 s[8:9], s[12:13]
; %bb.2682:
	s_mov_b32 s10, 0x7f800001
	s_xor_b64 s[4:5], exec, -1
; %bb.2683:
	s_or_b64 exec, exec, s[8:9]
	s_and_b64 s[4:5], s[4:5], exec
	s_or_saveexec_b64 s[6:7], s[6:7]
	v_mov_b32_e32 v10, s10
	s_xor_b64 exec, exec, s[6:7]
	s_cbranch_execz .LBB58_634
.LBB58_2684:
	v_mov_b32_e32 v10, 0
	v_cmp_ne_u16_sdwa s[8:9], v17, v10 src0_sel:BYTE_3 src1_sel:DWORD
	s_andn2_b64 s[4:5], s[4:5], exec
	s_and_b64 s[8:9], s[8:9], exec
	s_or_b64 s[4:5], s[4:5], s[8:9]
	s_or_b64 exec, exec, s[6:7]
	s_and_saveexec_b64 s[6:7], s[4:5]
	s_cbranch_execnz .LBB58_635
	s_branch .LBB58_636
.LBB58_2685:
	s_movk_i32 s4, 0x80
	v_cmp_eq_u16_sdwa s[12:13], v13, s4 src0_sel:BYTE_3 src1_sel:DWORD
	s_mov_b64 s[4:5], -1
                                        ; implicit-def: $sgpr10
	s_and_saveexec_b64 s[8:9], s[12:13]
; %bb.2686:
	s_mov_b32 s10, 0x7f800001
	s_xor_b64 s[4:5], exec, -1
; %bb.2687:
	s_or_b64 exec, exec, s[8:9]
	s_and_b64 s[4:5], s[4:5], exec
	s_or_saveexec_b64 s[6:7], s[6:7]
	v_mov_b32_e32 v11, s10
	s_xor_b64 exec, exec, s[6:7]
	s_cbranch_execz .LBB58_638
.LBB58_2688:
	v_mov_b32_e32 v11, 0
	v_cmp_ne_u16_sdwa s[8:9], v13, v11 src0_sel:BYTE_3 src1_sel:DWORD
	s_andn2_b64 s[4:5], s[4:5], exec
	s_and_b64 s[8:9], s[8:9], exec
	s_or_b64 s[4:5], s[4:5], s[8:9]
	s_or_b64 exec, exec, s[6:7]
	s_and_saveexec_b64 s[6:7], s[4:5]
	s_cbranch_execnz .LBB58_639
	s_branch .LBB58_640
.LBB58_2689:
	s_movk_i32 s4, 0x80
	v_cmp_eq_u16_sdwa s[12:13], v6, s4 src0_sel:BYTE_0 src1_sel:DWORD
	s_mov_b64 s[4:5], -1
                                        ; implicit-def: $sgpr10
	s_and_saveexec_b64 s[8:9], s[12:13]
; %bb.2690:
	s_mov_b32 s10, 0x7f800001
	s_xor_b64 s[4:5], exec, -1
; %bb.2691:
	s_or_b64 exec, exec, s[8:9]
	s_and_b64 s[4:5], s[4:5], exec
	s_or_saveexec_b64 s[6:7], s[6:7]
	v_mov_b32_e32 v10, s10
	s_xor_b64 exec, exec, s[6:7]
	s_cbranch_execz .LBB58_642
.LBB58_2692:
	v_mov_b32_e32 v10, 0
	v_cmp_ne_u16_sdwa s[8:9], v6, v10 src0_sel:BYTE_0 src1_sel:DWORD
	s_andn2_b64 s[4:5], s[4:5], exec
	s_and_b64 s[8:9], s[8:9], exec
	s_or_b64 s[4:5], s[4:5], s[8:9]
	s_or_b64 exec, exec, s[6:7]
	s_and_saveexec_b64 s[6:7], s[4:5]
	s_cbranch_execnz .LBB58_643
	s_branch .LBB58_644
.LBB58_2693:
	s_movk_i32 s4, 0x80
	v_cmp_eq_u16_sdwa s[12:13], v2, s4 src0_sel:BYTE_0 src1_sel:DWORD
	s_mov_b64 s[4:5], -1
                                        ; implicit-def: $sgpr10
	s_and_saveexec_b64 s[8:9], s[12:13]
; %bb.2694:
	s_mov_b32 s10, 0x7f800001
	s_xor_b64 s[4:5], exec, -1
; %bb.2695:
	s_or_b64 exec, exec, s[8:9]
	s_and_b64 s[4:5], s[4:5], exec
	s_or_saveexec_b64 s[6:7], s[6:7]
	v_mov_b32_e32 v11, s10
	s_xor_b64 exec, exec, s[6:7]
	s_cbranch_execz .LBB58_646
.LBB58_2696:
	v_mov_b32_e32 v11, 0
	v_cmp_ne_u16_sdwa s[8:9], v2, v11 src0_sel:BYTE_0 src1_sel:DWORD
	s_andn2_b64 s[4:5], s[4:5], exec
	s_and_b64 s[8:9], s[8:9], exec
	s_or_b64 s[4:5], s[4:5], s[8:9]
	s_or_b64 exec, exec, s[6:7]
	s_and_saveexec_b64 s[6:7], s[4:5]
	s_cbranch_execnz .LBB58_647
	s_branch .LBB58_648
.LBB58_2697:
	s_movk_i32 s4, 0x80
	v_cmp_eq_u16_sdwa s[12:13], v11, s4 src0_sel:BYTE_0 src1_sel:DWORD
	s_mov_b64 s[4:5], -1
                                        ; implicit-def: $sgpr10
	s_and_saveexec_b64 s[8:9], s[12:13]
; %bb.2698:
	s_mov_b32 s10, 0x7f800001
	s_xor_b64 s[4:5], exec, -1
; %bb.2699:
	s_or_b64 exec, exec, s[8:9]
	s_and_b64 s[4:5], s[4:5], exec
	s_or_saveexec_b64 s[6:7], s[6:7]
	v_mov_b32_e32 v10, s10
	s_xor_b64 exec, exec, s[6:7]
	s_cbranch_execz .LBB58_650
.LBB58_2700:
	v_mov_b32_e32 v10, 0
	v_cmp_ne_u16_sdwa s[8:9], v11, v10 src0_sel:BYTE_0 src1_sel:DWORD
	s_andn2_b64 s[4:5], s[4:5], exec
	s_and_b64 s[8:9], s[8:9], exec
	s_or_b64 s[4:5], s[4:5], s[8:9]
	s_or_b64 exec, exec, s[6:7]
	s_and_saveexec_b64 s[6:7], s[4:5]
	s_cbranch_execnz .LBB58_651
	s_branch .LBB58_652
.LBB58_2701:
	s_movk_i32 s4, 0x80
	v_cmp_eq_u16_sdwa s[12:13], v11, s4 src0_sel:BYTE_0 src1_sel:DWORD
	s_mov_b64 s[4:5], -1
                                        ; implicit-def: $sgpr10
	s_and_saveexec_b64 s[8:9], s[12:13]
; %bb.2702:
	s_mov_b32 s10, 0x7f800001
	s_xor_b64 s[4:5], exec, -1
; %bb.2703:
	s_or_b64 exec, exec, s[8:9]
	s_and_b64 s[4:5], s[4:5], exec
	s_or_saveexec_b64 s[6:7], s[6:7]
	v_mov_b32_e32 v12, s10
	s_xor_b64 exec, exec, s[6:7]
	s_cbranch_execz .LBB58_654
.LBB58_2704:
	v_mov_b32_e32 v12, 0
	v_cmp_ne_u16_sdwa s[8:9], v11, v12 src0_sel:BYTE_0 src1_sel:DWORD
	s_andn2_b64 s[4:5], s[4:5], exec
	s_and_b64 s[8:9], s[8:9], exec
	s_or_b64 s[4:5], s[4:5], s[8:9]
	s_or_b64 exec, exec, s[6:7]
	s_and_saveexec_b64 s[6:7], s[4:5]
	s_cbranch_execnz .LBB58_655
	s_branch .LBB58_656
.LBB58_2705:
	s_movk_i32 s4, 0x80
	v_cmp_eq_u16_e32 vcc, s4, v11
	s_mov_b64 s[4:5], -1
                                        ; implicit-def: $sgpr10
	s_and_saveexec_b64 s[8:9], vcc
; %bb.2706:
	s_mov_b32 s10, 0x7f800001
	s_xor_b64 s[4:5], exec, -1
; %bb.2707:
	s_or_b64 exec, exec, s[8:9]
	s_and_b64 s[4:5], s[4:5], exec
                                        ; implicit-def: $vgpr11
	s_or_saveexec_b64 s[6:7], s[6:7]
	v_mov_b32_e32 v10, s10
	s_xor_b64 exec, exec, s[6:7]
	s_cbranch_execz .LBB58_658
.LBB58_2708:
	v_cmp_ne_u16_e32 vcc, 0, v11
	s_andn2_b64 s[4:5], s[4:5], exec
	s_and_b64 s[8:9], vcc, exec
	v_mov_b32_e32 v10, 0
	s_or_b64 s[4:5], s[4:5], s[8:9]
	s_or_b64 exec, exec, s[6:7]
	s_and_saveexec_b64 s[6:7], s[4:5]
	s_cbranch_execnz .LBB58_659
	s_branch .LBB58_660
.LBB58_2709:
	s_movk_i32 s4, 0x80
	v_cmp_eq_u16_e32 vcc, s4, v11
	s_mov_b64 s[4:5], -1
                                        ; implicit-def: $sgpr10
	s_and_saveexec_b64 s[8:9], vcc
; %bb.2710:
	s_mov_b32 s10, 0x7f800001
	s_xor_b64 s[4:5], exec, -1
; %bb.2711:
	s_or_b64 exec, exec, s[8:9]
	s_and_b64 s[4:5], s[4:5], exec
                                        ; implicit-def: $vgpr11
	s_or_saveexec_b64 s[6:7], s[6:7]
	v_mov_b32_e32 v12, s10
	s_xor_b64 exec, exec, s[6:7]
	s_cbranch_execz .LBB58_662
.LBB58_2712:
	v_cmp_ne_u16_e32 vcc, 0, v11
	s_andn2_b64 s[4:5], s[4:5], exec
	s_and_b64 s[8:9], vcc, exec
	v_mov_b32_e32 v12, 0
	s_or_b64 s[4:5], s[4:5], s[8:9]
	s_or_b64 exec, exec, s[6:7]
	s_and_saveexec_b64 s[6:7], s[4:5]
	s_cbranch_execnz .LBB58_663
	s_branch .LBB58_664
.LBB58_2713:
	s_movk_i32 s4, 0x80
	v_cmp_eq_u16_sdwa s[12:13], v6, s4 src0_sel:BYTE_3 src1_sel:DWORD
	s_mov_b64 s[4:5], -1
                                        ; implicit-def: $sgpr10
	s_and_saveexec_b64 s[8:9], s[12:13]
; %bb.2714:
	s_mov_b32 s10, 0x7f800001
	s_xor_b64 s[4:5], exec, -1
; %bb.2715:
	s_or_b64 exec, exec, s[8:9]
	s_and_b64 s[4:5], s[4:5], exec
	s_or_saveexec_b64 s[6:7], s[6:7]
	v_mov_b32_e32 v10, s10
	s_xor_b64 exec, exec, s[6:7]
	s_cbranch_execz .LBB58_666
.LBB58_2716:
	v_mov_b32_e32 v10, 0
	v_cmp_ne_u16_sdwa s[8:9], v6, v10 src0_sel:BYTE_3 src1_sel:DWORD
	s_andn2_b64 s[4:5], s[4:5], exec
	s_and_b64 s[8:9], s[8:9], exec
	s_or_b64 s[4:5], s[4:5], s[8:9]
	s_or_b64 exec, exec, s[6:7]
	s_and_saveexec_b64 s[6:7], s[4:5]
	s_cbranch_execnz .LBB58_667
	s_branch .LBB58_668
.LBB58_2717:
	s_movk_i32 s4, 0x80
	v_cmp_eq_u16_sdwa s[12:13], v2, s4 src0_sel:BYTE_3 src1_sel:DWORD
	s_mov_b64 s[4:5], -1
                                        ; implicit-def: $sgpr10
	s_and_saveexec_b64 s[8:9], s[12:13]
; %bb.2718:
	s_mov_b32 s10, 0x7f800001
	s_xor_b64 s[4:5], exec, -1
; %bb.2719:
	s_or_b64 exec, exec, s[8:9]
	s_and_b64 s[4:5], s[4:5], exec
	s_or_saveexec_b64 s[6:7], s[6:7]
	v_mov_b32_e32 v6, s10
	s_xor_b64 exec, exec, s[6:7]
	s_cbranch_execz .LBB58_670
.LBB58_2720:
	v_mov_b32_e32 v6, 0
	v_cmp_ne_u16_sdwa s[8:9], v2, v6 src0_sel:BYTE_3 src1_sel:DWORD
	s_andn2_b64 s[4:5], s[4:5], exec
	s_and_b64 s[8:9], s[8:9], exec
	s_or_b64 s[4:5], s[4:5], s[8:9]
	s_or_b64 exec, exec, s[6:7]
	s_and_saveexec_b64 s[6:7], s[4:5]
	s_cbranch_execnz .LBB58_671
	s_branch .LBB58_672
.LBB58_2721:
	s_movk_i32 s4, 0x80
	v_cmp_eq_u16_sdwa s[12:13], v7, s4 src0_sel:BYTE_0 src1_sel:DWORD
	s_mov_b64 s[4:5], -1
                                        ; implicit-def: $sgpr10
	s_and_saveexec_b64 s[8:9], s[12:13]
; %bb.2722:
	s_mov_b32 s10, 0x7f800001
	s_xor_b64 s[4:5], exec, -1
; %bb.2723:
	s_or_b64 exec, exec, s[8:9]
	s_and_b64 s[4:5], s[4:5], exec
	s_or_saveexec_b64 s[6:7], s[6:7]
	v_mov_b32_e32 v2, s10
	s_xor_b64 exec, exec, s[6:7]
	s_cbranch_execz .LBB58_674
.LBB58_2724:
	v_mov_b32_e32 v2, 0
	v_cmp_ne_u16_sdwa s[8:9], v7, v2 src0_sel:BYTE_0 src1_sel:DWORD
	s_andn2_b64 s[4:5], s[4:5], exec
	s_and_b64 s[8:9], s[8:9], exec
	s_or_b64 s[4:5], s[4:5], s[8:9]
	s_or_b64 exec, exec, s[6:7]
	s_and_saveexec_b64 s[6:7], s[4:5]
	s_cbranch_execnz .LBB58_675
	s_branch .LBB58_676
.LBB58_2725:
	s_movk_i32 s4, 0x80
	v_cmp_eq_u16_sdwa s[12:13], v3, s4 src0_sel:BYTE_0 src1_sel:DWORD
	s_mov_b64 s[4:5], -1
                                        ; implicit-def: $sgpr10
	s_and_saveexec_b64 s[8:9], s[12:13]
; %bb.2726:
	s_mov_b32 s10, 0x7f800001
	s_xor_b64 s[4:5], exec, -1
; %bb.2727:
	s_or_b64 exec, exec, s[8:9]
	s_and_b64 s[4:5], s[4:5], exec
	s_or_saveexec_b64 s[6:7], s[6:7]
	v_mov_b32_e32 v6, s10
	s_xor_b64 exec, exec, s[6:7]
	s_cbranch_execz .LBB58_678
.LBB58_2728:
	v_mov_b32_e32 v6, 0
	v_cmp_ne_u16_sdwa s[8:9], v3, v6 src0_sel:BYTE_0 src1_sel:DWORD
	s_andn2_b64 s[4:5], s[4:5], exec
	s_and_b64 s[8:9], s[8:9], exec
	s_or_b64 s[4:5], s[4:5], s[8:9]
	s_or_b64 exec, exec, s[6:7]
	s_and_saveexec_b64 s[6:7], s[4:5]
	s_cbranch_execnz .LBB58_679
	s_branch .LBB58_680
.LBB58_2729:
	s_movk_i32 s4, 0x80
	v_cmp_eq_u16_sdwa s[12:13], v6, s4 src0_sel:BYTE_0 src1_sel:DWORD
	s_mov_b64 s[4:5], -1
                                        ; implicit-def: $sgpr10
	s_and_saveexec_b64 s[8:9], s[12:13]
; %bb.2730:
	s_mov_b32 s10, 0x7f800001
	s_xor_b64 s[4:5], exec, -1
; %bb.2731:
	s_or_b64 exec, exec, s[8:9]
	s_and_b64 s[4:5], s[4:5], exec
	s_or_saveexec_b64 s[6:7], s[6:7]
	v_mov_b32_e32 v2, s10
	s_xor_b64 exec, exec, s[6:7]
	s_cbranch_execz .LBB58_682
.LBB58_2732:
	v_mov_b32_e32 v2, 0
	v_cmp_ne_u16_sdwa s[8:9], v6, v2 src0_sel:BYTE_0 src1_sel:DWORD
	s_andn2_b64 s[4:5], s[4:5], exec
	s_and_b64 s[8:9], s[8:9], exec
	s_or_b64 s[4:5], s[4:5], s[8:9]
	s_or_b64 exec, exec, s[6:7]
	s_and_saveexec_b64 s[6:7], s[4:5]
	s_cbranch_execnz .LBB58_683
	s_branch .LBB58_684
.LBB58_2733:
	s_movk_i32 s4, 0x80
	v_cmp_eq_u16_sdwa s[12:13], v6, s4 src0_sel:BYTE_0 src1_sel:DWORD
	s_mov_b64 s[4:5], -1
                                        ; implicit-def: $sgpr10
	s_and_saveexec_b64 s[8:9], s[12:13]
; %bb.2734:
	s_mov_b32 s10, 0x7f800001
	s_xor_b64 s[4:5], exec, -1
; %bb.2735:
	s_or_b64 exec, exec, s[8:9]
	s_and_b64 s[4:5], s[4:5], exec
	s_or_saveexec_b64 s[6:7], s[6:7]
	v_mov_b32_e32 v10, s10
	s_xor_b64 exec, exec, s[6:7]
	s_cbranch_execz .LBB58_686
.LBB58_2736:
	v_mov_b32_e32 v10, 0
	v_cmp_ne_u16_sdwa s[8:9], v6, v10 src0_sel:BYTE_0 src1_sel:DWORD
	s_andn2_b64 s[4:5], s[4:5], exec
	s_and_b64 s[8:9], s[8:9], exec
	s_or_b64 s[4:5], s[4:5], s[8:9]
	s_or_b64 exec, exec, s[6:7]
	s_and_saveexec_b64 s[6:7], s[4:5]
	s_cbranch_execnz .LBB58_687
	s_branch .LBB58_688
.LBB58_2737:
	s_movk_i32 s4, 0x80
	v_cmp_eq_u16_e32 vcc, s4, v6
	s_mov_b64 s[4:5], -1
                                        ; implicit-def: $sgpr10
	s_and_saveexec_b64 s[8:9], vcc
; %bb.2738:
	s_mov_b32 s10, 0x7f800001
	s_xor_b64 s[4:5], exec, -1
; %bb.2739:
	s_or_b64 exec, exec, s[8:9]
	s_and_b64 s[4:5], s[4:5], exec
                                        ; implicit-def: $vgpr6
	s_or_saveexec_b64 s[6:7], s[6:7]
	v_mov_b32_e32 v2, s10
	s_xor_b64 exec, exec, s[6:7]
	s_cbranch_execz .LBB58_690
.LBB58_2740:
	v_cmp_ne_u16_e32 vcc, 0, v6
	s_andn2_b64 s[4:5], s[4:5], exec
	s_and_b64 s[8:9], vcc, exec
	v_mov_b32_e32 v2, 0
	s_or_b64 s[4:5], s[4:5], s[8:9]
	s_or_b64 exec, exec, s[6:7]
	s_and_saveexec_b64 s[6:7], s[4:5]
	s_cbranch_execnz .LBB58_691
	s_branch .LBB58_692
.LBB58_2741:
	s_movk_i32 s4, 0x80
	v_cmp_eq_u16_e32 vcc, s4, v6
	s_mov_b64 s[4:5], -1
                                        ; implicit-def: $sgpr10
	s_and_saveexec_b64 s[8:9], vcc
; %bb.2742:
	s_mov_b32 s10, 0x7f800001
	s_xor_b64 s[4:5], exec, -1
; %bb.2743:
	s_or_b64 exec, exec, s[8:9]
	s_and_b64 s[4:5], s[4:5], exec
                                        ; implicit-def: $vgpr6
	s_or_saveexec_b64 s[6:7], s[6:7]
	v_mov_b32_e32 v10, s10
	s_xor_b64 exec, exec, s[6:7]
	s_cbranch_execz .LBB58_694
.LBB58_2744:
	v_cmp_ne_u16_e32 vcc, 0, v6
	s_andn2_b64 s[4:5], s[4:5], exec
	s_and_b64 s[8:9], vcc, exec
	v_mov_b32_e32 v10, 0
	s_or_b64 s[4:5], s[4:5], s[8:9]
	s_or_b64 exec, exec, s[6:7]
	s_and_saveexec_b64 s[6:7], s[4:5]
	s_cbranch_execnz .LBB58_695
	s_branch .LBB58_696
.LBB58_2745:
	s_movk_i32 s4, 0x80
	v_cmp_eq_u16_sdwa s[12:13], v7, s4 src0_sel:BYTE_3 src1_sel:DWORD
	s_mov_b64 s[4:5], -1
                                        ; implicit-def: $sgpr10
	s_and_saveexec_b64 s[8:9], s[12:13]
; %bb.2746:
	s_mov_b32 s10, 0x7f800001
	s_xor_b64 s[4:5], exec, -1
; %bb.2747:
	s_or_b64 exec, exec, s[8:9]
	s_and_b64 s[4:5], s[4:5], exec
	s_or_saveexec_b64 s[6:7], s[6:7]
	v_mov_b32_e32 v2, s10
	s_xor_b64 exec, exec, s[6:7]
	s_cbranch_execz .LBB58_698
.LBB58_2748:
	v_mov_b32_e32 v2, 0
	v_cmp_ne_u16_sdwa s[8:9], v7, v2 src0_sel:BYTE_3 src1_sel:DWORD
	s_andn2_b64 s[4:5], s[4:5], exec
	s_and_b64 s[8:9], s[8:9], exec
	s_or_b64 s[4:5], s[4:5], s[8:9]
	s_or_b64 exec, exec, s[6:7]
	s_and_saveexec_b64 s[6:7], s[4:5]
	s_cbranch_execnz .LBB58_699
	s_branch .LBB58_700
.LBB58_2749:
	s_movk_i32 s4, 0x80
	v_cmp_eq_u16_sdwa s[12:13], v3, s4 src0_sel:BYTE_3 src1_sel:DWORD
	s_mov_b64 s[4:5], -1
                                        ; implicit-def: $sgpr10
	s_and_saveexec_b64 s[8:9], s[12:13]
; %bb.2750:
	s_mov_b32 s10, 0x7f800001
	s_xor_b64 s[4:5], exec, -1
; %bb.2751:
	s_or_b64 exec, exec, s[8:9]
	s_and_b64 s[4:5], s[4:5], exec
	s_or_saveexec_b64 s[6:7], s[6:7]
	v_mov_b32_e32 v6, s10
	s_xor_b64 exec, exec, s[6:7]
	s_cbranch_execz .LBB58_702
.LBB58_2752:
	v_mov_b32_e32 v6, 0
	v_cmp_ne_u16_sdwa s[8:9], v3, v6 src0_sel:BYTE_3 src1_sel:DWORD
	s_andn2_b64 s[4:5], s[4:5], exec
	s_and_b64 s[8:9], s[8:9], exec
	s_or_b64 s[4:5], s[4:5], s[8:9]
	s_or_b64 exec, exec, s[6:7]
	s_and_saveexec_b64 s[6:7], s[4:5]
	s_cbranch_execnz .LBB58_703
	s_branch .LBB58_704
.LBB58_2753:
	s_movk_i32 s4, 0x80
	v_cmp_eq_u16_sdwa s[12:13], v8, s4 src0_sel:BYTE_0 src1_sel:DWORD
	s_mov_b64 s[4:5], -1
                                        ; implicit-def: $sgpr10
	s_and_saveexec_b64 s[8:9], s[12:13]
; %bb.2754:
	s_mov_b32 s10, 0x7f800001
	s_xor_b64 s[4:5], exec, -1
; %bb.2755:
	s_or_b64 exec, exec, s[8:9]
	s_and_b64 s[4:5], s[4:5], exec
	s_or_saveexec_b64 s[6:7], s[6:7]
	v_mov_b32_e32 v2, s10
	s_xor_b64 exec, exec, s[6:7]
	s_cbranch_execz .LBB58_706
.LBB58_2756:
	v_mov_b32_e32 v2, 0
	v_cmp_ne_u16_sdwa s[8:9], v8, v2 src0_sel:BYTE_0 src1_sel:DWORD
	s_andn2_b64 s[4:5], s[4:5], exec
	s_and_b64 s[8:9], s[8:9], exec
	s_or_b64 s[4:5], s[4:5], s[8:9]
	s_or_b64 exec, exec, s[6:7]
	s_and_saveexec_b64 s[6:7], s[4:5]
	s_cbranch_execnz .LBB58_707
	s_branch .LBB58_708
.LBB58_2757:
	s_movk_i32 s4, 0x80
	v_cmp_eq_u16_sdwa s[12:13], v4, s4 src0_sel:BYTE_0 src1_sel:DWORD
	s_mov_b64 s[4:5], -1
                                        ; implicit-def: $sgpr10
	s_and_saveexec_b64 s[8:9], s[12:13]
; %bb.2758:
	s_mov_b32 s10, 0x7f800001
	s_xor_b64 s[4:5], exec, -1
; %bb.2759:
	s_or_b64 exec, exec, s[8:9]
	s_and_b64 s[4:5], s[4:5], exec
	s_or_saveexec_b64 s[6:7], s[6:7]
	v_mov_b32_e32 v3, s10
	s_xor_b64 exec, exec, s[6:7]
	s_cbranch_execz .LBB58_710
.LBB58_2760:
	v_mov_b32_e32 v3, 0
	v_cmp_ne_u16_sdwa s[8:9], v4, v3 src0_sel:BYTE_0 src1_sel:DWORD
	s_andn2_b64 s[4:5], s[4:5], exec
	s_and_b64 s[8:9], s[8:9], exec
	s_or_b64 s[4:5], s[4:5], s[8:9]
	s_or_b64 exec, exec, s[6:7]
	s_and_saveexec_b64 s[6:7], s[4:5]
	s_cbranch_execnz .LBB58_711
	s_branch .LBB58_712
.LBB58_2761:
	s_movk_i32 s4, 0x80
	v_cmp_eq_u16_sdwa s[12:13], v3, s4 src0_sel:BYTE_0 src1_sel:DWORD
	s_mov_b64 s[4:5], -1
                                        ; implicit-def: $sgpr10
	s_and_saveexec_b64 s[8:9], s[12:13]
; %bb.2762:
	s_mov_b32 s10, 0x7f800001
	s_xor_b64 s[4:5], exec, -1
; %bb.2763:
	s_or_b64 exec, exec, s[8:9]
	s_and_b64 s[4:5], s[4:5], exec
	s_or_saveexec_b64 s[6:7], s[6:7]
	v_mov_b32_e32 v2, s10
	s_xor_b64 exec, exec, s[6:7]
	s_cbranch_execz .LBB58_714
.LBB58_2764:
	v_mov_b32_e32 v2, 0
	v_cmp_ne_u16_sdwa s[8:9], v3, v2 src0_sel:BYTE_0 src1_sel:DWORD
	s_andn2_b64 s[4:5], s[4:5], exec
	s_and_b64 s[8:9], s[8:9], exec
	s_or_b64 s[4:5], s[4:5], s[8:9]
	s_or_b64 exec, exec, s[6:7]
	s_and_saveexec_b64 s[6:7], s[4:5]
	s_cbranch_execnz .LBB58_715
	s_branch .LBB58_716
.LBB58_2765:
	s_movk_i32 s4, 0x80
	v_cmp_eq_u16_sdwa s[12:13], v3, s4 src0_sel:BYTE_0 src1_sel:DWORD
	s_mov_b64 s[4:5], -1
                                        ; implicit-def: $sgpr10
	s_and_saveexec_b64 s[8:9], s[12:13]
; %bb.2766:
	s_mov_b32 s10, 0x7f800001
	s_xor_b64 s[4:5], exec, -1
; %bb.2767:
	s_or_b64 exec, exec, s[8:9]
	s_and_b64 s[4:5], s[4:5], exec
	s_or_saveexec_b64 s[6:7], s[6:7]
	v_mov_b32_e32 v6, s10
	s_xor_b64 exec, exec, s[6:7]
	s_cbranch_execz .LBB58_718
.LBB58_2768:
	v_mov_b32_e32 v6, 0
	v_cmp_ne_u16_sdwa s[8:9], v3, v6 src0_sel:BYTE_0 src1_sel:DWORD
	s_andn2_b64 s[4:5], s[4:5], exec
	s_and_b64 s[8:9], s[8:9], exec
	s_or_b64 s[4:5], s[4:5], s[8:9]
	s_or_b64 exec, exec, s[6:7]
	s_and_saveexec_b64 s[6:7], s[4:5]
	s_cbranch_execnz .LBB58_719
	s_branch .LBB58_720
.LBB58_2769:
	s_movk_i32 s4, 0x80
	v_cmp_eq_u16_e32 vcc, s4, v3
	s_mov_b64 s[4:5], -1
                                        ; implicit-def: $sgpr10
	s_and_saveexec_b64 s[8:9], vcc
; %bb.2770:
	s_mov_b32 s10, 0x7f800001
	s_xor_b64 s[4:5], exec, -1
; %bb.2771:
	s_or_b64 exec, exec, s[8:9]
	s_and_b64 s[4:5], s[4:5], exec
                                        ; implicit-def: $vgpr3
	s_or_saveexec_b64 s[6:7], s[6:7]
	v_mov_b32_e32 v2, s10
	s_xor_b64 exec, exec, s[6:7]
	s_cbranch_execz .LBB58_722
.LBB58_2772:
	v_cmp_ne_u16_e32 vcc, 0, v3
	s_andn2_b64 s[4:5], s[4:5], exec
	s_and_b64 s[8:9], vcc, exec
	v_mov_b32_e32 v2, 0
	s_or_b64 s[4:5], s[4:5], s[8:9]
	s_or_b64 exec, exec, s[6:7]
	s_and_saveexec_b64 s[6:7], s[4:5]
	s_cbranch_execnz .LBB58_723
	s_branch .LBB58_724
.LBB58_2773:
	s_movk_i32 s4, 0x80
	v_cmp_eq_u16_e32 vcc, s4, v3
	s_mov_b64 s[4:5], -1
                                        ; implicit-def: $sgpr10
	s_and_saveexec_b64 s[8:9], vcc
; %bb.2774:
	s_mov_b32 s10, 0x7f800001
	s_xor_b64 s[4:5], exec, -1
; %bb.2775:
	s_or_b64 exec, exec, s[8:9]
	s_and_b64 s[4:5], s[4:5], exec
                                        ; implicit-def: $vgpr3
	s_or_saveexec_b64 s[6:7], s[6:7]
	v_mov_b32_e32 v6, s10
	s_xor_b64 exec, exec, s[6:7]
	s_cbranch_execz .LBB58_726
.LBB58_2776:
	v_cmp_ne_u16_e32 vcc, 0, v3
	s_andn2_b64 s[4:5], s[4:5], exec
	s_and_b64 s[8:9], vcc, exec
	v_mov_b32_e32 v6, 0
	s_or_b64 s[4:5], s[4:5], s[8:9]
	s_or_b64 exec, exec, s[6:7]
	s_and_saveexec_b64 s[6:7], s[4:5]
	s_cbranch_execnz .LBB58_727
	s_branch .LBB58_728
.LBB58_2777:
	s_movk_i32 s4, 0x80
	v_cmp_eq_u16_sdwa s[12:13], v8, s4 src0_sel:BYTE_3 src1_sel:DWORD
	s_mov_b64 s[4:5], -1
                                        ; implicit-def: $sgpr10
	s_and_saveexec_b64 s[8:9], s[12:13]
; %bb.2778:
	s_mov_b32 s10, 0x7f800001
	s_xor_b64 s[4:5], exec, -1
; %bb.2779:
	s_or_b64 exec, exec, s[8:9]
	s_and_b64 s[4:5], s[4:5], exec
	s_or_saveexec_b64 s[6:7], s[6:7]
	v_mov_b32_e32 v2, s10
	s_xor_b64 exec, exec, s[6:7]
	s_cbranch_execz .LBB58_730
.LBB58_2780:
	v_mov_b32_e32 v2, 0
	v_cmp_ne_u16_sdwa s[8:9], v8, v2 src0_sel:BYTE_3 src1_sel:DWORD
	s_andn2_b64 s[4:5], s[4:5], exec
	s_and_b64 s[8:9], s[8:9], exec
	s_or_b64 s[4:5], s[4:5], s[8:9]
	s_or_b64 exec, exec, s[6:7]
	s_and_saveexec_b64 s[6:7], s[4:5]
	s_cbranch_execnz .LBB58_731
	s_branch .LBB58_732
.LBB58_2781:
	s_movk_i32 s4, 0x80
	v_cmp_eq_u16_sdwa s[12:13], v4, s4 src0_sel:BYTE_3 src1_sel:DWORD
	s_mov_b64 s[4:5], -1
                                        ; implicit-def: $sgpr10
	s_and_saveexec_b64 s[8:9], s[12:13]
; %bb.2782:
	s_mov_b32 s10, 0x7f800001
	s_xor_b64 s[4:5], exec, -1
; %bb.2783:
	s_or_b64 exec, exec, s[8:9]
	s_and_b64 s[4:5], s[4:5], exec
	s_or_saveexec_b64 s[6:7], s[6:7]
	v_mov_b32_e32 v3, s10
	s_xor_b64 exec, exec, s[6:7]
	s_cbranch_execz .LBB58_734
.LBB58_2784:
	v_mov_b32_e32 v3, 0
	v_cmp_ne_u16_sdwa s[8:9], v4, v3 src0_sel:BYTE_3 src1_sel:DWORD
	s_andn2_b64 s[4:5], s[4:5], exec
	s_and_b64 s[8:9], s[8:9], exec
	s_or_b64 s[4:5], s[4:5], s[8:9]
	s_or_b64 exec, exec, s[6:7]
	s_and_saveexec_b64 s[6:7], s[4:5]
	s_cbranch_execnz .LBB58_735
	s_branch .LBB58_736
.LBB58_2785:
	s_movk_i32 s4, 0x80
	v_cmp_eq_u16_sdwa s[12:13], v9, s4 src0_sel:BYTE_0 src1_sel:DWORD
	s_mov_b64 s[4:5], -1
                                        ; implicit-def: $sgpr10
	s_and_saveexec_b64 s[8:9], s[12:13]
; %bb.2786:
	s_mov_b32 s10, 0x7f800001
	s_xor_b64 s[4:5], exec, -1
; %bb.2787:
	s_or_b64 exec, exec, s[8:9]
	s_and_b64 s[4:5], s[4:5], exec
	s_or_saveexec_b64 s[6:7], s[6:7]
	v_mov_b32_e32 v2, s10
	s_xor_b64 exec, exec, s[6:7]
	s_cbranch_execz .LBB58_738
.LBB58_2788:
	v_mov_b32_e32 v2, 0
	v_cmp_ne_u16_sdwa s[8:9], v9, v2 src0_sel:BYTE_0 src1_sel:DWORD
	s_andn2_b64 s[4:5], s[4:5], exec
	s_and_b64 s[8:9], s[8:9], exec
	s_or_b64 s[4:5], s[4:5], s[8:9]
	s_or_b64 exec, exec, s[6:7]
	s_and_saveexec_b64 s[6:7], s[4:5]
	s_cbranch_execnz .LBB58_739
	s_branch .LBB58_740
.LBB58_2789:
	s_movk_i32 s4, 0x80
	v_cmp_eq_u16_sdwa s[12:13], v5, s4 src0_sel:BYTE_0 src1_sel:DWORD
	s_mov_b64 s[4:5], -1
                                        ; implicit-def: $sgpr10
	s_and_saveexec_b64 s[8:9], s[12:13]
; %bb.2790:
	s_mov_b32 s10, 0x7f800001
	s_xor_b64 s[4:5], exec, -1
; %bb.2791:
	s_or_b64 exec, exec, s[8:9]
	s_and_b64 s[4:5], s[4:5], exec
	s_or_saveexec_b64 s[6:7], s[6:7]
	v_mov_b32_e32 v3, s10
	s_xor_b64 exec, exec, s[6:7]
	s_cbranch_execz .LBB58_742
.LBB58_2792:
	v_mov_b32_e32 v3, 0
	v_cmp_ne_u16_sdwa s[8:9], v5, v3 src0_sel:BYTE_0 src1_sel:DWORD
	s_andn2_b64 s[4:5], s[4:5], exec
	s_and_b64 s[8:9], s[8:9], exec
	s_or_b64 s[4:5], s[4:5], s[8:9]
	s_or_b64 exec, exec, s[6:7]
	s_and_saveexec_b64 s[6:7], s[4:5]
	s_cbranch_execnz .LBB58_743
	s_branch .LBB58_744
.LBB58_2793:
	s_movk_i32 s4, 0x80
	v_cmp_eq_u16_sdwa s[12:13], v3, s4 src0_sel:BYTE_0 src1_sel:DWORD
	s_mov_b64 s[4:5], -1
                                        ; implicit-def: $sgpr10
	s_and_saveexec_b64 s[8:9], s[12:13]
; %bb.2794:
	s_mov_b32 s10, 0x7f800001
	s_xor_b64 s[4:5], exec, -1
; %bb.2795:
	s_or_b64 exec, exec, s[8:9]
	s_and_b64 s[4:5], s[4:5], exec
	s_or_saveexec_b64 s[6:7], s[6:7]
	v_mov_b32_e32 v2, s10
	s_xor_b64 exec, exec, s[6:7]
	s_cbranch_execz .LBB58_746
.LBB58_2796:
	v_mov_b32_e32 v2, 0
	v_cmp_ne_u16_sdwa s[8:9], v3, v2 src0_sel:BYTE_0 src1_sel:DWORD
	s_andn2_b64 s[4:5], s[4:5], exec
	s_and_b64 s[8:9], s[8:9], exec
	s_or_b64 s[4:5], s[4:5], s[8:9]
	s_or_b64 exec, exec, s[6:7]
	s_and_saveexec_b64 s[6:7], s[4:5]
	s_cbranch_execnz .LBB58_747
	s_branch .LBB58_748
.LBB58_2797:
	s_movk_i32 s4, 0x80
	v_cmp_eq_u16_sdwa s[12:13], v3, s4 src0_sel:BYTE_0 src1_sel:DWORD
	s_mov_b64 s[4:5], -1
                                        ; implicit-def: $sgpr10
	s_and_saveexec_b64 s[8:9], s[12:13]
; %bb.2798:
	s_mov_b32 s10, 0x7f800001
	s_xor_b64 s[4:5], exec, -1
; %bb.2799:
	s_or_b64 exec, exec, s[8:9]
	s_and_b64 s[4:5], s[4:5], exec
	s_or_saveexec_b64 s[6:7], s[6:7]
	v_mov_b32_e32 v4, s10
	s_xor_b64 exec, exec, s[6:7]
	s_cbranch_execz .LBB58_750
.LBB58_2800:
	v_mov_b32_e32 v4, 0
	v_cmp_ne_u16_sdwa s[8:9], v3, v4 src0_sel:BYTE_0 src1_sel:DWORD
	s_andn2_b64 s[4:5], s[4:5], exec
	s_and_b64 s[8:9], s[8:9], exec
	s_or_b64 s[4:5], s[4:5], s[8:9]
	s_or_b64 exec, exec, s[6:7]
	s_and_saveexec_b64 s[6:7], s[4:5]
	s_cbranch_execnz .LBB58_751
	s_branch .LBB58_752
.LBB58_2801:
	s_movk_i32 s4, 0x80
	v_cmp_eq_u16_e32 vcc, s4, v3
	s_mov_b64 s[4:5], -1
                                        ; implicit-def: $sgpr10
	s_and_saveexec_b64 s[8:9], vcc
; %bb.2802:
	s_mov_b32 s10, 0x7f800001
	s_xor_b64 s[4:5], exec, -1
; %bb.2803:
	s_or_b64 exec, exec, s[8:9]
	s_and_b64 s[4:5], s[4:5], exec
                                        ; implicit-def: $vgpr3
	s_or_saveexec_b64 s[6:7], s[6:7]
	v_mov_b32_e32 v2, s10
	s_xor_b64 exec, exec, s[6:7]
	s_cbranch_execz .LBB58_754
.LBB58_2804:
	v_cmp_ne_u16_e32 vcc, 0, v3
	s_andn2_b64 s[4:5], s[4:5], exec
	s_and_b64 s[8:9], vcc, exec
	v_mov_b32_e32 v2, 0
	s_or_b64 s[4:5], s[4:5], s[8:9]
	s_or_b64 exec, exec, s[6:7]
	s_and_saveexec_b64 s[6:7], s[4:5]
	s_cbranch_execnz .LBB58_755
	s_branch .LBB58_756
.LBB58_2805:
	s_movk_i32 s4, 0x80
	v_cmp_eq_u16_e32 vcc, s4, v3
	s_mov_b64 s[4:5], -1
                                        ; implicit-def: $sgpr10
	s_and_saveexec_b64 s[8:9], vcc
; %bb.2806:
	s_mov_b32 s10, 0x7f800001
	s_xor_b64 s[4:5], exec, -1
; %bb.2807:
	s_or_b64 exec, exec, s[8:9]
	s_and_b64 s[4:5], s[4:5], exec
                                        ; implicit-def: $vgpr3
	s_or_saveexec_b64 s[6:7], s[6:7]
	v_mov_b32_e32 v4, s10
	s_xor_b64 exec, exec, s[6:7]
	s_cbranch_execz .LBB58_758
.LBB58_2808:
	v_cmp_ne_u16_e32 vcc, 0, v3
	s_andn2_b64 s[4:5], s[4:5], exec
	s_and_b64 s[8:9], vcc, exec
	v_mov_b32_e32 v4, 0
	s_or_b64 s[4:5], s[4:5], s[8:9]
	s_or_b64 exec, exec, s[6:7]
	s_and_saveexec_b64 s[6:7], s[4:5]
	s_cbranch_execnz .LBB58_759
	s_branch .LBB58_760
.LBB58_2809:
	s_movk_i32 s4, 0x80
	v_cmp_eq_u16_sdwa s[12:13], v9, s4 src0_sel:BYTE_3 src1_sel:DWORD
	s_mov_b64 s[4:5], -1
                                        ; implicit-def: $sgpr10
	s_and_saveexec_b64 s[8:9], s[12:13]
; %bb.2810:
	s_mov_b32 s10, 0x7f800001
	s_xor_b64 s[4:5], exec, -1
; %bb.2811:
	s_or_b64 exec, exec, s[8:9]
	s_and_b64 s[4:5], s[4:5], exec
	s_or_saveexec_b64 s[6:7], s[6:7]
	v_mov_b32_e32 v2, s10
	s_xor_b64 exec, exec, s[6:7]
	s_cbranch_execz .LBB58_762
.LBB58_2812:
	v_mov_b32_e32 v2, 0
	v_cmp_ne_u16_sdwa s[8:9], v9, v2 src0_sel:BYTE_3 src1_sel:DWORD
	s_andn2_b64 s[4:5], s[4:5], exec
	s_and_b64 s[8:9], s[8:9], exec
	s_or_b64 s[4:5], s[4:5], s[8:9]
	s_or_b64 exec, exec, s[6:7]
	s_and_saveexec_b64 s[6:7], s[4:5]
	s_cbranch_execnz .LBB58_763
	s_branch .LBB58_764
.LBB58_2813:
	s_movk_i32 s4, 0x80
	v_cmp_eq_u16_sdwa s[12:13], v5, s4 src0_sel:BYTE_3 src1_sel:DWORD
	s_mov_b64 s[4:5], -1
                                        ; implicit-def: $sgpr10
	s_and_saveexec_b64 s[8:9], s[12:13]
; %bb.2814:
	s_mov_b32 s10, 0x7f800001
	s_xor_b64 s[4:5], exec, -1
; %bb.2815:
	s_or_b64 exec, exec, s[8:9]
	s_and_b64 s[4:5], s[4:5], exec
	s_or_saveexec_b64 s[6:7], s[6:7]
	v_mov_b32_e32 v3, s10
	s_xor_b64 exec, exec, s[6:7]
	s_cbranch_execz .LBB58_766
.LBB58_2816:
	v_mov_b32_e32 v3, 0
	v_cmp_ne_u16_sdwa s[8:9], v5, v3 src0_sel:BYTE_3 src1_sel:DWORD
	s_andn2_b64 s[4:5], s[4:5], exec
	s_and_b64 s[8:9], s[8:9], exec
	s_or_b64 s[4:5], s[4:5], s[8:9]
	s_or_b64 exec, exec, s[6:7]
	s_and_saveexec_b64 s[6:7], s[4:5]
	s_cbranch_execnz .LBB58_767
	s_branch .LBB58_768
.LBB58_2817:
	s_movk_i32 s4, 0x80
	v_cmp_eq_u16_sdwa s[12:13], v14, s4 src0_sel:BYTE_0 src1_sel:DWORD
	s_mov_b64 s[4:5], -1
                                        ; implicit-def: $sgpr10
	s_and_saveexec_b64 s[8:9], s[12:13]
; %bb.2818:
	s_mov_b32 s10, 0x7f800001
	s_xor_b64 s[4:5], exec, -1
; %bb.2819:
	s_or_b64 exec, exec, s[8:9]
	s_and_b64 s[4:5], s[4:5], exec
	s_or_saveexec_b64 s[6:7], s[6:7]
	v_mov_b32_e32 v20, s10
	s_xor_b64 exec, exec, s[6:7]
	s_cbranch_execz .LBB58_770
.LBB58_2820:
	v_mov_b32_e32 v20, 0
	v_cmp_ne_u16_sdwa s[8:9], v14, v20 src0_sel:BYTE_0 src1_sel:DWORD
	s_andn2_b64 s[4:5], s[4:5], exec
	s_and_b64 s[8:9], s[8:9], exec
	s_or_b64 s[4:5], s[4:5], s[8:9]
	s_or_b64 exec, exec, s[6:7]
	s_and_saveexec_b64 s[6:7], s[4:5]
	s_cbranch_execnz .LBB58_771
	s_branch .LBB58_772
.LBB58_2821:
	s_movk_i32 s4, 0x80
	v_cmp_eq_u16_sdwa s[12:13], v10, s4 src0_sel:BYTE_0 src1_sel:DWORD
	s_mov_b64 s[4:5], -1
                                        ; implicit-def: $sgpr10
	s_and_saveexec_b64 s[8:9], s[12:13]
; %bb.2822:
	s_mov_b32 s10, 0x7f800001
	s_xor_b64 s[4:5], exec, -1
; %bb.2823:
	s_or_b64 exec, exec, s[8:9]
	s_and_b64 s[4:5], s[4:5], exec
	s_or_saveexec_b64 s[6:7], s[6:7]
	v_mov_b32_e32 v21, s10
	s_xor_b64 exec, exec, s[6:7]
	s_cbranch_execz .LBB58_774
.LBB58_2824:
	v_mov_b32_e32 v21, 0
	v_cmp_ne_u16_sdwa s[8:9], v10, v21 src0_sel:BYTE_0 src1_sel:DWORD
	s_andn2_b64 s[4:5], s[4:5], exec
	s_and_b64 s[8:9], s[8:9], exec
	s_or_b64 s[4:5], s[4:5], s[8:9]
	s_or_b64 exec, exec, s[6:7]
	s_and_saveexec_b64 s[6:7], s[4:5]
	s_cbranch_execnz .LBB58_775
	s_branch .LBB58_776
.LBB58_2825:
	s_movk_i32 s4, 0x80
	v_cmp_eq_u16_sdwa s[12:13], v21, s4 src0_sel:BYTE_0 src1_sel:DWORD
	s_mov_b64 s[4:5], -1
                                        ; implicit-def: $sgpr10
	s_and_saveexec_b64 s[8:9], s[12:13]
; %bb.2826:
	s_mov_b32 s10, 0x7f800001
	s_xor_b64 s[4:5], exec, -1
; %bb.2827:
	s_or_b64 exec, exec, s[8:9]
	s_and_b64 s[4:5], s[4:5], exec
	s_or_saveexec_b64 s[6:7], s[6:7]
	v_mov_b32_e32 v20, s10
	s_xor_b64 exec, exec, s[6:7]
	s_cbranch_execz .LBB58_778
.LBB58_2828:
	v_mov_b32_e32 v20, 0
	v_cmp_ne_u16_sdwa s[8:9], v21, v20 src0_sel:BYTE_0 src1_sel:DWORD
	s_andn2_b64 s[4:5], s[4:5], exec
	s_and_b64 s[8:9], s[8:9], exec
	s_or_b64 s[4:5], s[4:5], s[8:9]
	s_or_b64 exec, exec, s[6:7]
	s_and_saveexec_b64 s[6:7], s[4:5]
	s_cbranch_execnz .LBB58_779
	s_branch .LBB58_780
.LBB58_2829:
	s_movk_i32 s4, 0x80
	v_cmp_eq_u16_sdwa s[12:13], v21, s4 src0_sel:BYTE_0 src1_sel:DWORD
	s_mov_b64 s[4:5], -1
                                        ; implicit-def: $sgpr10
	s_and_saveexec_b64 s[8:9], s[12:13]
; %bb.2830:
	s_mov_b32 s10, 0x7f800001
	s_xor_b64 s[4:5], exec, -1
; %bb.2831:
	s_or_b64 exec, exec, s[8:9]
	s_and_b64 s[4:5], s[4:5], exec
	s_or_saveexec_b64 s[6:7], s[6:7]
	v_mov_b32_e32 v22, s10
	s_xor_b64 exec, exec, s[6:7]
	s_cbranch_execz .LBB58_782
.LBB58_2832:
	v_mov_b32_e32 v22, 0
	v_cmp_ne_u16_sdwa s[8:9], v21, v22 src0_sel:BYTE_0 src1_sel:DWORD
	s_andn2_b64 s[4:5], s[4:5], exec
	s_and_b64 s[8:9], s[8:9], exec
	s_or_b64 s[4:5], s[4:5], s[8:9]
	s_or_b64 exec, exec, s[6:7]
	s_and_saveexec_b64 s[6:7], s[4:5]
	s_cbranch_execnz .LBB58_783
	s_branch .LBB58_784
.LBB58_2833:
	s_movk_i32 s4, 0x80
	v_cmp_eq_u16_e32 vcc, s4, v21
	s_mov_b64 s[4:5], -1
                                        ; implicit-def: $sgpr10
	s_and_saveexec_b64 s[8:9], vcc
; %bb.2834:
	s_mov_b32 s10, 0x7f800001
	s_xor_b64 s[4:5], exec, -1
; %bb.2835:
	s_or_b64 exec, exec, s[8:9]
	s_and_b64 s[4:5], s[4:5], exec
                                        ; implicit-def: $vgpr21
	s_or_saveexec_b64 s[6:7], s[6:7]
	v_mov_b32_e32 v20, s10
	s_xor_b64 exec, exec, s[6:7]
	s_cbranch_execz .LBB58_786
.LBB58_2836:
	v_cmp_ne_u16_e32 vcc, 0, v21
	s_andn2_b64 s[4:5], s[4:5], exec
	s_and_b64 s[8:9], vcc, exec
	v_mov_b32_e32 v20, 0
	s_or_b64 s[4:5], s[4:5], s[8:9]
	s_or_b64 exec, exec, s[6:7]
	s_and_saveexec_b64 s[6:7], s[4:5]
	s_cbranch_execnz .LBB58_787
	s_branch .LBB58_788
.LBB58_2837:
	s_movk_i32 s4, 0x80
	v_cmp_eq_u16_e32 vcc, s4, v21
	s_mov_b64 s[4:5], -1
                                        ; implicit-def: $sgpr10
	s_and_saveexec_b64 s[8:9], vcc
; %bb.2838:
	s_mov_b32 s10, 0x7f800001
	s_xor_b64 s[4:5], exec, -1
; %bb.2839:
	s_or_b64 exec, exec, s[8:9]
	s_and_b64 s[4:5], s[4:5], exec
                                        ; implicit-def: $vgpr21
	s_or_saveexec_b64 s[6:7], s[6:7]
	v_mov_b32_e32 v22, s10
	s_xor_b64 exec, exec, s[6:7]
	s_cbranch_execz .LBB58_790
.LBB58_2840:
	v_cmp_ne_u16_e32 vcc, 0, v21
	s_andn2_b64 s[4:5], s[4:5], exec
	s_and_b64 s[8:9], vcc, exec
	v_mov_b32_e32 v22, 0
	s_or_b64 s[4:5], s[4:5], s[8:9]
	s_or_b64 exec, exec, s[6:7]
	s_and_saveexec_b64 s[6:7], s[4:5]
	s_cbranch_execnz .LBB58_791
	s_branch .LBB58_792
.LBB58_2841:
	s_movk_i32 s4, 0x80
	v_cmp_eq_u16_sdwa s[12:13], v14, s4 src0_sel:BYTE_3 src1_sel:DWORD
	s_mov_b64 s[4:5], -1
                                        ; implicit-def: $sgpr10
	s_and_saveexec_b64 s[8:9], s[12:13]
; %bb.2842:
	s_mov_b32 s10, 0x7f800001
	s_xor_b64 s[4:5], exec, -1
; %bb.2843:
	s_or_b64 exec, exec, s[8:9]
	s_and_b64 s[4:5], s[4:5], exec
	s_or_saveexec_b64 s[6:7], s[6:7]
	v_mov_b32_e32 v20, s10
	s_xor_b64 exec, exec, s[6:7]
	s_cbranch_execz .LBB58_794
.LBB58_2844:
	v_mov_b32_e32 v20, 0
	v_cmp_ne_u16_sdwa s[8:9], v14, v20 src0_sel:BYTE_3 src1_sel:DWORD
	s_andn2_b64 s[4:5], s[4:5], exec
	s_and_b64 s[8:9], s[8:9], exec
	s_or_b64 s[4:5], s[4:5], s[8:9]
	s_or_b64 exec, exec, s[6:7]
	s_and_saveexec_b64 s[6:7], s[4:5]
	s_cbranch_execnz .LBB58_795
	s_branch .LBB58_796
.LBB58_2845:
	s_movk_i32 s4, 0x80
	v_cmp_eq_u16_sdwa s[12:13], v10, s4 src0_sel:BYTE_3 src1_sel:DWORD
	s_mov_b64 s[4:5], -1
                                        ; implicit-def: $sgpr10
	s_and_saveexec_b64 s[8:9], s[12:13]
; %bb.2846:
	s_mov_b32 s10, 0x7f800001
	s_xor_b64 s[4:5], exec, -1
; %bb.2847:
	s_or_b64 exec, exec, s[8:9]
	s_and_b64 s[4:5], s[4:5], exec
	s_or_saveexec_b64 s[6:7], s[6:7]
	v_mov_b32_e32 v14, s10
	s_xor_b64 exec, exec, s[6:7]
	s_cbranch_execz .LBB58_798
.LBB58_2848:
	v_mov_b32_e32 v14, 0
	v_cmp_ne_u16_sdwa s[8:9], v10, v14 src0_sel:BYTE_3 src1_sel:DWORD
	s_andn2_b64 s[4:5], s[4:5], exec
	s_and_b64 s[8:9], s[8:9], exec
	s_or_b64 s[4:5], s[4:5], s[8:9]
	s_or_b64 exec, exec, s[6:7]
	s_and_saveexec_b64 s[6:7], s[4:5]
	s_cbranch_execnz .LBB58_799
	s_branch .LBB58_800
.LBB58_2849:
	s_movk_i32 s4, 0x80
	v_cmp_eq_u16_sdwa s[12:13], v15, s4 src0_sel:BYTE_0 src1_sel:DWORD
	s_mov_b64 s[4:5], -1
                                        ; implicit-def: $sgpr10
	s_and_saveexec_b64 s[8:9], s[12:13]
; %bb.2850:
	s_mov_b32 s10, 0x7f800001
	s_xor_b64 s[4:5], exec, -1
; %bb.2851:
	s_or_b64 exec, exec, s[8:9]
	s_and_b64 s[4:5], s[4:5], exec
	s_or_saveexec_b64 s[6:7], s[6:7]
	v_mov_b32_e32 v10, s10
	s_xor_b64 exec, exec, s[6:7]
	s_cbranch_execz .LBB58_802
.LBB58_2852:
	v_mov_b32_e32 v10, 0
	v_cmp_ne_u16_sdwa s[8:9], v15, v10 src0_sel:BYTE_0 src1_sel:DWORD
	s_andn2_b64 s[4:5], s[4:5], exec
	s_and_b64 s[8:9], s[8:9], exec
	s_or_b64 s[4:5], s[4:5], s[8:9]
	s_or_b64 exec, exec, s[6:7]
	s_and_saveexec_b64 s[6:7], s[4:5]
	s_cbranch_execnz .LBB58_803
	s_branch .LBB58_804
.LBB58_2853:
	s_movk_i32 s4, 0x80
	v_cmp_eq_u16_sdwa s[12:13], v11, s4 src0_sel:BYTE_0 src1_sel:DWORD
	s_mov_b64 s[4:5], -1
                                        ; implicit-def: $sgpr10
	s_and_saveexec_b64 s[8:9], s[12:13]
; %bb.2854:
	s_mov_b32 s10, 0x7f800001
	s_xor_b64 s[4:5], exec, -1
; %bb.2855:
	s_or_b64 exec, exec, s[8:9]
	s_and_b64 s[4:5], s[4:5], exec
	s_or_saveexec_b64 s[6:7], s[6:7]
	v_mov_b32_e32 v14, s10
	s_xor_b64 exec, exec, s[6:7]
	s_cbranch_execz .LBB58_806
.LBB58_2856:
	v_mov_b32_e32 v14, 0
	v_cmp_ne_u16_sdwa s[8:9], v11, v14 src0_sel:BYTE_0 src1_sel:DWORD
	s_andn2_b64 s[4:5], s[4:5], exec
	s_and_b64 s[8:9], s[8:9], exec
	s_or_b64 s[4:5], s[4:5], s[8:9]
	s_or_b64 exec, exec, s[6:7]
	s_and_saveexec_b64 s[6:7], s[4:5]
	s_cbranch_execnz .LBB58_807
	s_branch .LBB58_808
.LBB58_2857:
	s_movk_i32 s4, 0x80
	v_cmp_eq_u16_sdwa s[12:13], v14, s4 src0_sel:BYTE_0 src1_sel:DWORD
	s_mov_b64 s[4:5], -1
                                        ; implicit-def: $sgpr10
	s_and_saveexec_b64 s[8:9], s[12:13]
; %bb.2858:
	s_mov_b32 s10, 0x7f800001
	s_xor_b64 s[4:5], exec, -1
; %bb.2859:
	s_or_b64 exec, exec, s[8:9]
	s_and_b64 s[4:5], s[4:5], exec
	s_or_saveexec_b64 s[6:7], s[6:7]
	v_mov_b32_e32 v10, s10
	s_xor_b64 exec, exec, s[6:7]
	s_cbranch_execz .LBB58_810
.LBB58_2860:
	v_mov_b32_e32 v10, 0
	v_cmp_ne_u16_sdwa s[8:9], v14, v10 src0_sel:BYTE_0 src1_sel:DWORD
	s_andn2_b64 s[4:5], s[4:5], exec
	s_and_b64 s[8:9], s[8:9], exec
	s_or_b64 s[4:5], s[4:5], s[8:9]
	s_or_b64 exec, exec, s[6:7]
	s_and_saveexec_b64 s[6:7], s[4:5]
	s_cbranch_execnz .LBB58_811
	s_branch .LBB58_812
.LBB58_2861:
	s_movk_i32 s4, 0x80
	v_cmp_eq_u16_sdwa s[12:13], v14, s4 src0_sel:BYTE_0 src1_sel:DWORD
	s_mov_b64 s[4:5], -1
                                        ; implicit-def: $sgpr10
	s_and_saveexec_b64 s[8:9], s[12:13]
; %bb.2862:
	s_mov_b32 s10, 0x7f800001
	s_xor_b64 s[4:5], exec, -1
; %bb.2863:
	s_or_b64 exec, exec, s[8:9]
	s_and_b64 s[4:5], s[4:5], exec
	s_or_saveexec_b64 s[6:7], s[6:7]
	v_mov_b32_e32 v20, s10
	s_xor_b64 exec, exec, s[6:7]
	s_cbranch_execz .LBB58_814
.LBB58_2864:
	v_mov_b32_e32 v20, 0
	v_cmp_ne_u16_sdwa s[8:9], v14, v20 src0_sel:BYTE_0 src1_sel:DWORD
	s_andn2_b64 s[4:5], s[4:5], exec
	s_and_b64 s[8:9], s[8:9], exec
	s_or_b64 s[4:5], s[4:5], s[8:9]
	s_or_b64 exec, exec, s[6:7]
	s_and_saveexec_b64 s[6:7], s[4:5]
	s_cbranch_execnz .LBB58_815
	s_branch .LBB58_816
.LBB58_2865:
	s_movk_i32 s4, 0x80
	v_cmp_eq_u16_e32 vcc, s4, v14
	s_mov_b64 s[4:5], -1
                                        ; implicit-def: $sgpr10
	s_and_saveexec_b64 s[8:9], vcc
; %bb.2866:
	s_mov_b32 s10, 0x7f800001
	s_xor_b64 s[4:5], exec, -1
; %bb.2867:
	s_or_b64 exec, exec, s[8:9]
	s_and_b64 s[4:5], s[4:5], exec
                                        ; implicit-def: $vgpr14
	s_or_saveexec_b64 s[6:7], s[6:7]
	v_mov_b32_e32 v10, s10
	s_xor_b64 exec, exec, s[6:7]
	s_cbranch_execz .LBB58_818
.LBB58_2868:
	v_cmp_ne_u16_e32 vcc, 0, v14
	s_andn2_b64 s[4:5], s[4:5], exec
	s_and_b64 s[8:9], vcc, exec
	v_mov_b32_e32 v10, 0
	s_or_b64 s[4:5], s[4:5], s[8:9]
	s_or_b64 exec, exec, s[6:7]
	s_and_saveexec_b64 s[6:7], s[4:5]
	s_cbranch_execnz .LBB58_819
	s_branch .LBB58_820
.LBB58_2869:
	s_movk_i32 s4, 0x80
	v_cmp_eq_u16_e32 vcc, s4, v14
	s_mov_b64 s[4:5], -1
                                        ; implicit-def: $sgpr10
	s_and_saveexec_b64 s[8:9], vcc
; %bb.2870:
	s_mov_b32 s10, 0x7f800001
	s_xor_b64 s[4:5], exec, -1
; %bb.2871:
	s_or_b64 exec, exec, s[8:9]
	s_and_b64 s[4:5], s[4:5], exec
                                        ; implicit-def: $vgpr14
	s_or_saveexec_b64 s[6:7], s[6:7]
	v_mov_b32_e32 v20, s10
	s_xor_b64 exec, exec, s[6:7]
	s_cbranch_execz .LBB58_822
.LBB58_2872:
	v_cmp_ne_u16_e32 vcc, 0, v14
	s_andn2_b64 s[4:5], s[4:5], exec
	s_and_b64 s[8:9], vcc, exec
	v_mov_b32_e32 v20, 0
	s_or_b64 s[4:5], s[4:5], s[8:9]
	s_or_b64 exec, exec, s[6:7]
	s_and_saveexec_b64 s[6:7], s[4:5]
	s_cbranch_execnz .LBB58_823
	s_branch .LBB58_824
.LBB58_2873:
	s_movk_i32 s4, 0x80
	v_cmp_eq_u16_sdwa s[12:13], v15, s4 src0_sel:BYTE_3 src1_sel:DWORD
	s_mov_b64 s[4:5], -1
                                        ; implicit-def: $sgpr10
	s_and_saveexec_b64 s[8:9], s[12:13]
; %bb.2874:
	s_mov_b32 s10, 0x7f800001
	s_xor_b64 s[4:5], exec, -1
; %bb.2875:
	s_or_b64 exec, exec, s[8:9]
	s_and_b64 s[4:5], s[4:5], exec
	s_or_saveexec_b64 s[6:7], s[6:7]
	v_mov_b32_e32 v10, s10
	s_xor_b64 exec, exec, s[6:7]
	s_cbranch_execz .LBB58_826
.LBB58_2876:
	v_mov_b32_e32 v10, 0
	v_cmp_ne_u16_sdwa s[8:9], v15, v10 src0_sel:BYTE_3 src1_sel:DWORD
	s_andn2_b64 s[4:5], s[4:5], exec
	s_and_b64 s[8:9], s[8:9], exec
	s_or_b64 s[4:5], s[4:5], s[8:9]
	s_or_b64 exec, exec, s[6:7]
	s_and_saveexec_b64 s[6:7], s[4:5]
	s_cbranch_execnz .LBB58_827
	s_branch .LBB58_828
.LBB58_2877:
	s_movk_i32 s4, 0x80
	v_cmp_eq_u16_sdwa s[12:13], v11, s4 src0_sel:BYTE_3 src1_sel:DWORD
	s_mov_b64 s[4:5], -1
                                        ; implicit-def: $sgpr10
	s_and_saveexec_b64 s[8:9], s[12:13]
; %bb.2878:
	s_mov_b32 s10, 0x7f800001
	s_xor_b64 s[4:5], exec, -1
; %bb.2879:
	s_or_b64 exec, exec, s[8:9]
	s_and_b64 s[4:5], s[4:5], exec
	s_or_saveexec_b64 s[6:7], s[6:7]
	v_mov_b32_e32 v14, s10
	s_xor_b64 exec, exec, s[6:7]
	s_cbranch_execz .LBB58_830
.LBB58_2880:
	v_mov_b32_e32 v14, 0
	v_cmp_ne_u16_sdwa s[8:9], v11, v14 src0_sel:BYTE_3 src1_sel:DWORD
	s_andn2_b64 s[4:5], s[4:5], exec
	s_and_b64 s[8:9], s[8:9], exec
	s_or_b64 s[4:5], s[4:5], s[8:9]
	s_or_b64 exec, exec, s[6:7]
	s_and_saveexec_b64 s[6:7], s[4:5]
	s_cbranch_execnz .LBB58_831
	s_branch .LBB58_832
.LBB58_2881:
	s_movk_i32 s4, 0x80
	v_cmp_eq_u16_sdwa s[12:13], v16, s4 src0_sel:BYTE_0 src1_sel:DWORD
	s_mov_b64 s[4:5], -1
                                        ; implicit-def: $sgpr10
	s_and_saveexec_b64 s[8:9], s[12:13]
; %bb.2882:
	s_mov_b32 s10, 0x7f800001
	s_xor_b64 s[4:5], exec, -1
; %bb.2883:
	s_or_b64 exec, exec, s[8:9]
	s_and_b64 s[4:5], s[4:5], exec
	s_or_saveexec_b64 s[6:7], s[6:7]
	v_mov_b32_e32 v10, s10
	s_xor_b64 exec, exec, s[6:7]
	s_cbranch_execz .LBB58_834
.LBB58_2884:
	v_mov_b32_e32 v10, 0
	v_cmp_ne_u16_sdwa s[8:9], v16, v10 src0_sel:BYTE_0 src1_sel:DWORD
	s_andn2_b64 s[4:5], s[4:5], exec
	s_and_b64 s[8:9], s[8:9], exec
	s_or_b64 s[4:5], s[4:5], s[8:9]
	s_or_b64 exec, exec, s[6:7]
	s_and_saveexec_b64 s[6:7], s[4:5]
	s_cbranch_execnz .LBB58_835
	s_branch .LBB58_836
.LBB58_2885:
	s_movk_i32 s4, 0x80
	v_cmp_eq_u16_sdwa s[12:13], v12, s4 src0_sel:BYTE_0 src1_sel:DWORD
	s_mov_b64 s[4:5], -1
                                        ; implicit-def: $sgpr10
	s_and_saveexec_b64 s[8:9], s[12:13]
; %bb.2886:
	s_mov_b32 s10, 0x7f800001
	s_xor_b64 s[4:5], exec, -1
; %bb.2887:
	s_or_b64 exec, exec, s[8:9]
	s_and_b64 s[4:5], s[4:5], exec
	s_or_saveexec_b64 s[6:7], s[6:7]
	v_mov_b32_e32 v11, s10
	s_xor_b64 exec, exec, s[6:7]
	s_cbranch_execz .LBB58_838
.LBB58_2888:
	v_mov_b32_e32 v11, 0
	v_cmp_ne_u16_sdwa s[8:9], v12, v11 src0_sel:BYTE_0 src1_sel:DWORD
	s_andn2_b64 s[4:5], s[4:5], exec
	s_and_b64 s[8:9], s[8:9], exec
	s_or_b64 s[4:5], s[4:5], s[8:9]
	s_or_b64 exec, exec, s[6:7]
	s_and_saveexec_b64 s[6:7], s[4:5]
	s_cbranch_execnz .LBB58_839
	s_branch .LBB58_840
.LBB58_2889:
	s_movk_i32 s4, 0x80
	v_cmp_eq_u16_sdwa s[12:13], v11, s4 src0_sel:BYTE_0 src1_sel:DWORD
	s_mov_b64 s[4:5], -1
                                        ; implicit-def: $sgpr10
	s_and_saveexec_b64 s[8:9], s[12:13]
; %bb.2890:
	s_mov_b32 s10, 0x7f800001
	s_xor_b64 s[4:5], exec, -1
; %bb.2891:
	s_or_b64 exec, exec, s[8:9]
	s_and_b64 s[4:5], s[4:5], exec
	s_or_saveexec_b64 s[6:7], s[6:7]
	v_mov_b32_e32 v10, s10
	s_xor_b64 exec, exec, s[6:7]
	s_cbranch_execz .LBB58_842
.LBB58_2892:
	v_mov_b32_e32 v10, 0
	v_cmp_ne_u16_sdwa s[8:9], v11, v10 src0_sel:BYTE_0 src1_sel:DWORD
	s_andn2_b64 s[4:5], s[4:5], exec
	s_and_b64 s[8:9], s[8:9], exec
	s_or_b64 s[4:5], s[4:5], s[8:9]
	s_or_b64 exec, exec, s[6:7]
	s_and_saveexec_b64 s[6:7], s[4:5]
	s_cbranch_execnz .LBB58_843
	s_branch .LBB58_844
.LBB58_2893:
	s_movk_i32 s4, 0x80
	v_cmp_eq_u16_sdwa s[12:13], v11, s4 src0_sel:BYTE_0 src1_sel:DWORD
	s_mov_b64 s[4:5], -1
                                        ; implicit-def: $sgpr10
	s_and_saveexec_b64 s[8:9], s[12:13]
; %bb.2894:
	s_mov_b32 s10, 0x7f800001
	s_xor_b64 s[4:5], exec, -1
; %bb.2895:
	s_or_b64 exec, exec, s[8:9]
	s_and_b64 s[4:5], s[4:5], exec
	s_or_saveexec_b64 s[6:7], s[6:7]
	v_mov_b32_e32 v14, s10
	s_xor_b64 exec, exec, s[6:7]
	s_cbranch_execz .LBB58_846
.LBB58_2896:
	v_mov_b32_e32 v14, 0
	v_cmp_ne_u16_sdwa s[8:9], v11, v14 src0_sel:BYTE_0 src1_sel:DWORD
	s_andn2_b64 s[4:5], s[4:5], exec
	s_and_b64 s[8:9], s[8:9], exec
	s_or_b64 s[4:5], s[4:5], s[8:9]
	s_or_b64 exec, exec, s[6:7]
	s_and_saveexec_b64 s[6:7], s[4:5]
	s_cbranch_execnz .LBB58_847
	s_branch .LBB58_848
.LBB58_2897:
	s_movk_i32 s4, 0x80
	v_cmp_eq_u16_e32 vcc, s4, v11
	s_mov_b64 s[4:5], -1
                                        ; implicit-def: $sgpr10
	s_and_saveexec_b64 s[8:9], vcc
; %bb.2898:
	s_mov_b32 s10, 0x7f800001
	s_xor_b64 s[4:5], exec, -1
; %bb.2899:
	s_or_b64 exec, exec, s[8:9]
	s_and_b64 s[4:5], s[4:5], exec
                                        ; implicit-def: $vgpr11
	s_or_saveexec_b64 s[6:7], s[6:7]
	v_mov_b32_e32 v10, s10
	s_xor_b64 exec, exec, s[6:7]
	s_cbranch_execz .LBB58_850
.LBB58_2900:
	v_cmp_ne_u16_e32 vcc, 0, v11
	s_andn2_b64 s[4:5], s[4:5], exec
	s_and_b64 s[8:9], vcc, exec
	v_mov_b32_e32 v10, 0
	s_or_b64 s[4:5], s[4:5], s[8:9]
	s_or_b64 exec, exec, s[6:7]
	s_and_saveexec_b64 s[6:7], s[4:5]
	s_cbranch_execnz .LBB58_851
	s_branch .LBB58_852
.LBB58_2901:
	s_movk_i32 s4, 0x80
	v_cmp_eq_u16_e32 vcc, s4, v11
	s_mov_b64 s[4:5], -1
                                        ; implicit-def: $sgpr10
	s_and_saveexec_b64 s[8:9], vcc
; %bb.2902:
	s_mov_b32 s10, 0x7f800001
	s_xor_b64 s[4:5], exec, -1
; %bb.2903:
	s_or_b64 exec, exec, s[8:9]
	s_and_b64 s[4:5], s[4:5], exec
                                        ; implicit-def: $vgpr11
	s_or_saveexec_b64 s[6:7], s[6:7]
	v_mov_b32_e32 v14, s10
	s_xor_b64 exec, exec, s[6:7]
	s_cbranch_execz .LBB58_854
.LBB58_2904:
	v_cmp_ne_u16_e32 vcc, 0, v11
	s_andn2_b64 s[4:5], s[4:5], exec
	s_and_b64 s[8:9], vcc, exec
	v_mov_b32_e32 v14, 0
	s_or_b64 s[4:5], s[4:5], s[8:9]
	s_or_b64 exec, exec, s[6:7]
	s_and_saveexec_b64 s[6:7], s[4:5]
	s_cbranch_execnz .LBB58_855
	s_branch .LBB58_856
.LBB58_2905:
	s_movk_i32 s4, 0x80
	v_cmp_eq_u16_sdwa s[12:13], v16, s4 src0_sel:BYTE_3 src1_sel:DWORD
	s_mov_b64 s[4:5], -1
                                        ; implicit-def: $sgpr10
	s_and_saveexec_b64 s[8:9], s[12:13]
; %bb.2906:
	s_mov_b32 s10, 0x7f800001
	s_xor_b64 s[4:5], exec, -1
; %bb.2907:
	s_or_b64 exec, exec, s[8:9]
	s_and_b64 s[4:5], s[4:5], exec
	s_or_saveexec_b64 s[6:7], s[6:7]
	v_mov_b32_e32 v10, s10
	s_xor_b64 exec, exec, s[6:7]
	s_cbranch_execz .LBB58_858
.LBB58_2908:
	v_mov_b32_e32 v10, 0
	v_cmp_ne_u16_sdwa s[8:9], v16, v10 src0_sel:BYTE_3 src1_sel:DWORD
	s_andn2_b64 s[4:5], s[4:5], exec
	s_and_b64 s[8:9], s[8:9], exec
	s_or_b64 s[4:5], s[4:5], s[8:9]
	s_or_b64 exec, exec, s[6:7]
	s_and_saveexec_b64 s[6:7], s[4:5]
	s_cbranch_execnz .LBB58_859
	s_branch .LBB58_860
.LBB58_2909:
	s_movk_i32 s4, 0x80
	v_cmp_eq_u16_sdwa s[12:13], v12, s4 src0_sel:BYTE_3 src1_sel:DWORD
	s_mov_b64 s[4:5], -1
                                        ; implicit-def: $sgpr10
	s_and_saveexec_b64 s[8:9], s[12:13]
; %bb.2910:
	s_mov_b32 s10, 0x7f800001
	s_xor_b64 s[4:5], exec, -1
; %bb.2911:
	s_or_b64 exec, exec, s[8:9]
	s_and_b64 s[4:5], s[4:5], exec
	s_or_saveexec_b64 s[6:7], s[6:7]
	v_mov_b32_e32 v11, s10
	s_xor_b64 exec, exec, s[6:7]
	s_cbranch_execz .LBB58_862
.LBB58_2912:
	v_mov_b32_e32 v11, 0
	v_cmp_ne_u16_sdwa s[8:9], v12, v11 src0_sel:BYTE_3 src1_sel:DWORD
	s_andn2_b64 s[4:5], s[4:5], exec
	s_and_b64 s[8:9], s[8:9], exec
	s_or_b64 s[4:5], s[4:5], s[8:9]
	s_or_b64 exec, exec, s[6:7]
	s_and_saveexec_b64 s[6:7], s[4:5]
	s_cbranch_execnz .LBB58_863
	s_branch .LBB58_864
.LBB58_2913:
	s_movk_i32 s4, 0x80
	v_cmp_eq_u16_sdwa s[12:13], v17, s4 src0_sel:BYTE_0 src1_sel:DWORD
	s_mov_b64 s[4:5], -1
                                        ; implicit-def: $sgpr10
	s_and_saveexec_b64 s[8:9], s[12:13]
; %bb.2914:
	s_mov_b32 s10, 0x7f800001
	s_xor_b64 s[4:5], exec, -1
; %bb.2915:
	s_or_b64 exec, exec, s[8:9]
	s_and_b64 s[4:5], s[4:5], exec
	s_or_saveexec_b64 s[6:7], s[6:7]
	v_mov_b32_e32 v10, s10
	s_xor_b64 exec, exec, s[6:7]
	s_cbranch_execz .LBB58_866
.LBB58_2916:
	v_mov_b32_e32 v10, 0
	v_cmp_ne_u16_sdwa s[8:9], v17, v10 src0_sel:BYTE_0 src1_sel:DWORD
	s_andn2_b64 s[4:5], s[4:5], exec
	s_and_b64 s[8:9], s[8:9], exec
	s_or_b64 s[4:5], s[4:5], s[8:9]
	s_or_b64 exec, exec, s[6:7]
	s_and_saveexec_b64 s[6:7], s[4:5]
	s_cbranch_execnz .LBB58_867
	s_branch .LBB58_868
.LBB58_2917:
	s_movk_i32 s4, 0x80
	v_cmp_eq_u16_sdwa s[12:13], v13, s4 src0_sel:BYTE_0 src1_sel:DWORD
	s_mov_b64 s[4:5], -1
                                        ; implicit-def: $sgpr10
	s_and_saveexec_b64 s[8:9], s[12:13]
; %bb.2918:
	s_mov_b32 s10, 0x7f800001
	s_xor_b64 s[4:5], exec, -1
; %bb.2919:
	s_or_b64 exec, exec, s[8:9]
	s_and_b64 s[4:5], s[4:5], exec
	s_or_saveexec_b64 s[6:7], s[6:7]
	v_mov_b32_e32 v11, s10
	s_xor_b64 exec, exec, s[6:7]
	s_cbranch_execz .LBB58_870
.LBB58_2920:
	v_mov_b32_e32 v11, 0
	v_cmp_ne_u16_sdwa s[8:9], v13, v11 src0_sel:BYTE_0 src1_sel:DWORD
	s_andn2_b64 s[4:5], s[4:5], exec
	s_and_b64 s[8:9], s[8:9], exec
	s_or_b64 s[4:5], s[4:5], s[8:9]
	s_or_b64 exec, exec, s[6:7]
	s_and_saveexec_b64 s[6:7], s[4:5]
	s_cbranch_execnz .LBB58_871
	s_branch .LBB58_872
.LBB58_2921:
	s_movk_i32 s4, 0x80
	v_cmp_eq_u16_sdwa s[12:13], v11, s4 src0_sel:BYTE_0 src1_sel:DWORD
	s_mov_b64 s[4:5], -1
                                        ; implicit-def: $sgpr10
	s_and_saveexec_b64 s[8:9], s[12:13]
; %bb.2922:
	s_mov_b32 s10, 0x7f800001
	s_xor_b64 s[4:5], exec, -1
; %bb.2923:
	s_or_b64 exec, exec, s[8:9]
	s_and_b64 s[4:5], s[4:5], exec
	s_or_saveexec_b64 s[6:7], s[6:7]
	v_mov_b32_e32 v10, s10
	s_xor_b64 exec, exec, s[6:7]
	s_cbranch_execz .LBB58_874
.LBB58_2924:
	v_mov_b32_e32 v10, 0
	v_cmp_ne_u16_sdwa s[8:9], v11, v10 src0_sel:BYTE_0 src1_sel:DWORD
	s_andn2_b64 s[4:5], s[4:5], exec
	s_and_b64 s[8:9], s[8:9], exec
	s_or_b64 s[4:5], s[4:5], s[8:9]
	s_or_b64 exec, exec, s[6:7]
	s_and_saveexec_b64 s[6:7], s[4:5]
	s_cbranch_execnz .LBB58_875
	s_branch .LBB58_876
.LBB58_2925:
	s_movk_i32 s4, 0x80
	v_cmp_eq_u16_sdwa s[12:13], v11, s4 src0_sel:BYTE_0 src1_sel:DWORD
	s_mov_b64 s[4:5], -1
                                        ; implicit-def: $sgpr10
	s_and_saveexec_b64 s[8:9], s[12:13]
; %bb.2926:
	s_mov_b32 s10, 0x7f800001
	s_xor_b64 s[4:5], exec, -1
; %bb.2927:
	s_or_b64 exec, exec, s[8:9]
	s_and_b64 s[4:5], s[4:5], exec
	s_or_saveexec_b64 s[6:7], s[6:7]
	v_mov_b32_e32 v12, s10
	s_xor_b64 exec, exec, s[6:7]
	s_cbranch_execz .LBB58_878
.LBB58_2928:
	v_mov_b32_e32 v12, 0
	v_cmp_ne_u16_sdwa s[8:9], v11, v12 src0_sel:BYTE_0 src1_sel:DWORD
	s_andn2_b64 s[4:5], s[4:5], exec
	s_and_b64 s[8:9], s[8:9], exec
	s_or_b64 s[4:5], s[4:5], s[8:9]
	s_or_b64 exec, exec, s[6:7]
	s_and_saveexec_b64 s[6:7], s[4:5]
	s_cbranch_execnz .LBB58_879
	s_branch .LBB58_880
.LBB58_2929:
	s_movk_i32 s4, 0x80
	v_cmp_eq_u16_e32 vcc, s4, v11
	s_mov_b64 s[4:5], -1
                                        ; implicit-def: $sgpr10
	s_and_saveexec_b64 s[8:9], vcc
; %bb.2930:
	s_mov_b32 s10, 0x7f800001
	s_xor_b64 s[4:5], exec, -1
; %bb.2931:
	s_or_b64 exec, exec, s[8:9]
	s_and_b64 s[4:5], s[4:5], exec
                                        ; implicit-def: $vgpr11
	s_or_saveexec_b64 s[6:7], s[6:7]
	v_mov_b32_e32 v10, s10
	s_xor_b64 exec, exec, s[6:7]
	s_cbranch_execz .LBB58_882
.LBB58_2932:
	v_cmp_ne_u16_e32 vcc, 0, v11
	s_andn2_b64 s[4:5], s[4:5], exec
	s_and_b64 s[8:9], vcc, exec
	v_mov_b32_e32 v10, 0
	s_or_b64 s[4:5], s[4:5], s[8:9]
	s_or_b64 exec, exec, s[6:7]
	s_and_saveexec_b64 s[6:7], s[4:5]
	s_cbranch_execnz .LBB58_883
	s_branch .LBB58_884
.LBB58_2933:
	s_movk_i32 s4, 0x80
	v_cmp_eq_u16_e32 vcc, s4, v11
	s_mov_b64 s[4:5], -1
                                        ; implicit-def: $sgpr10
	s_and_saveexec_b64 s[8:9], vcc
; %bb.2934:
	s_mov_b32 s10, 0x7f800001
	s_xor_b64 s[4:5], exec, -1
; %bb.2935:
	s_or_b64 exec, exec, s[8:9]
	s_and_b64 s[4:5], s[4:5], exec
                                        ; implicit-def: $vgpr11
	s_or_saveexec_b64 s[6:7], s[6:7]
	v_mov_b32_e32 v12, s10
	s_xor_b64 exec, exec, s[6:7]
	s_cbranch_execz .LBB58_886
.LBB58_2936:
	v_cmp_ne_u16_e32 vcc, 0, v11
	s_andn2_b64 s[4:5], s[4:5], exec
	s_and_b64 s[8:9], vcc, exec
	v_mov_b32_e32 v12, 0
	s_or_b64 s[4:5], s[4:5], s[8:9]
	s_or_b64 exec, exec, s[6:7]
	s_and_saveexec_b64 s[6:7], s[4:5]
	s_cbranch_execnz .LBB58_887
	s_branch .LBB58_888
.LBB58_2937:
	s_movk_i32 s4, 0x80
	v_cmp_eq_u16_sdwa s[12:13], v17, s4 src0_sel:BYTE_3 src1_sel:DWORD
	s_mov_b64 s[4:5], -1
                                        ; implicit-def: $sgpr10
	s_and_saveexec_b64 s[8:9], s[12:13]
; %bb.2938:
	s_mov_b32 s10, 0x7f800001
	s_xor_b64 s[4:5], exec, -1
; %bb.2939:
	s_or_b64 exec, exec, s[8:9]
	s_and_b64 s[4:5], s[4:5], exec
	s_or_saveexec_b64 s[6:7], s[6:7]
	v_mov_b32_e32 v10, s10
	s_xor_b64 exec, exec, s[6:7]
	s_cbranch_execz .LBB58_890
.LBB58_2940:
	v_mov_b32_e32 v10, 0
	v_cmp_ne_u16_sdwa s[8:9], v17, v10 src0_sel:BYTE_3 src1_sel:DWORD
	s_andn2_b64 s[4:5], s[4:5], exec
	s_and_b64 s[8:9], s[8:9], exec
	s_or_b64 s[4:5], s[4:5], s[8:9]
	s_or_b64 exec, exec, s[6:7]
	s_and_saveexec_b64 s[6:7], s[4:5]
	s_cbranch_execnz .LBB58_891
	s_branch .LBB58_892
.LBB58_2941:
	s_movk_i32 s4, 0x80
	v_cmp_eq_u16_sdwa s[12:13], v13, s4 src0_sel:BYTE_3 src1_sel:DWORD
	s_mov_b64 s[4:5], -1
                                        ; implicit-def: $sgpr10
	s_and_saveexec_b64 s[8:9], s[12:13]
; %bb.2942:
	s_mov_b32 s10, 0x7f800001
	s_xor_b64 s[4:5], exec, -1
; %bb.2943:
	s_or_b64 exec, exec, s[8:9]
	s_and_b64 s[4:5], s[4:5], exec
	s_or_saveexec_b64 s[6:7], s[6:7]
	v_mov_b32_e32 v11, s10
	s_xor_b64 exec, exec, s[6:7]
	s_cbranch_execz .LBB58_894
.LBB58_2944:
	v_mov_b32_e32 v11, 0
	v_cmp_ne_u16_sdwa s[8:9], v13, v11 src0_sel:BYTE_3 src1_sel:DWORD
	s_andn2_b64 s[4:5], s[4:5], exec
	s_and_b64 s[8:9], s[8:9], exec
	s_or_b64 s[4:5], s[4:5], s[8:9]
	s_or_b64 exec, exec, s[6:7]
	s_and_saveexec_b64 s[6:7], s[4:5]
	s_cbranch_execnz .LBB58_895
	s_branch .LBB58_896
.LBB58_2945:
	s_movk_i32 s4, 0x80
	v_cmp_eq_u16_sdwa s[12:13], v6, s4 src0_sel:BYTE_0 src1_sel:DWORD
	s_mov_b64 s[4:5], -1
                                        ; implicit-def: $sgpr10
	s_and_saveexec_b64 s[8:9], s[12:13]
; %bb.2946:
	s_mov_b32 s10, 0x7f800001
	s_xor_b64 s[4:5], exec, -1
; %bb.2947:
	s_or_b64 exec, exec, s[8:9]
	s_and_b64 s[4:5], s[4:5], exec
	s_or_saveexec_b64 s[6:7], s[6:7]
	v_mov_b32_e32 v10, s10
	s_xor_b64 exec, exec, s[6:7]
	s_cbranch_execz .LBB58_898
.LBB58_2948:
	v_mov_b32_e32 v10, 0
	v_cmp_ne_u16_sdwa s[8:9], v6, v10 src0_sel:BYTE_0 src1_sel:DWORD
	s_andn2_b64 s[4:5], s[4:5], exec
	s_and_b64 s[8:9], s[8:9], exec
	s_or_b64 s[4:5], s[4:5], s[8:9]
	s_or_b64 exec, exec, s[6:7]
	s_and_saveexec_b64 s[6:7], s[4:5]
	s_cbranch_execnz .LBB58_899
	s_branch .LBB58_900
.LBB58_2949:
	s_movk_i32 s4, 0x80
	v_cmp_eq_u16_sdwa s[12:13], v2, s4 src0_sel:BYTE_0 src1_sel:DWORD
	s_mov_b64 s[4:5], -1
                                        ; implicit-def: $sgpr10
	s_and_saveexec_b64 s[8:9], s[12:13]
; %bb.2950:
	s_mov_b32 s10, 0x7f800001
	s_xor_b64 s[4:5], exec, -1
; %bb.2951:
	s_or_b64 exec, exec, s[8:9]
	s_and_b64 s[4:5], s[4:5], exec
	s_or_saveexec_b64 s[6:7], s[6:7]
	v_mov_b32_e32 v11, s10
	s_xor_b64 exec, exec, s[6:7]
	s_cbranch_execz .LBB58_902
.LBB58_2952:
	v_mov_b32_e32 v11, 0
	v_cmp_ne_u16_sdwa s[8:9], v2, v11 src0_sel:BYTE_0 src1_sel:DWORD
	s_andn2_b64 s[4:5], s[4:5], exec
	s_and_b64 s[8:9], s[8:9], exec
	s_or_b64 s[4:5], s[4:5], s[8:9]
	s_or_b64 exec, exec, s[6:7]
	s_and_saveexec_b64 s[6:7], s[4:5]
	s_cbranch_execnz .LBB58_903
	s_branch .LBB58_904
.LBB58_2953:
	s_movk_i32 s4, 0x80
	v_cmp_eq_u16_sdwa s[12:13], v11, s4 src0_sel:BYTE_0 src1_sel:DWORD
	s_mov_b64 s[4:5], -1
                                        ; implicit-def: $sgpr10
	s_and_saveexec_b64 s[8:9], s[12:13]
; %bb.2954:
	s_mov_b32 s10, 0x7f800001
	s_xor_b64 s[4:5], exec, -1
; %bb.2955:
	s_or_b64 exec, exec, s[8:9]
	s_and_b64 s[4:5], s[4:5], exec
	s_or_saveexec_b64 s[6:7], s[6:7]
	v_mov_b32_e32 v10, s10
	s_xor_b64 exec, exec, s[6:7]
	s_cbranch_execz .LBB58_906
.LBB58_2956:
	v_mov_b32_e32 v10, 0
	v_cmp_ne_u16_sdwa s[8:9], v11, v10 src0_sel:BYTE_0 src1_sel:DWORD
	s_andn2_b64 s[4:5], s[4:5], exec
	s_and_b64 s[8:9], s[8:9], exec
	s_or_b64 s[4:5], s[4:5], s[8:9]
	s_or_b64 exec, exec, s[6:7]
	s_and_saveexec_b64 s[6:7], s[4:5]
	s_cbranch_execnz .LBB58_907
	s_branch .LBB58_908
.LBB58_2957:
	s_movk_i32 s4, 0x80
	v_cmp_eq_u16_sdwa s[12:13], v11, s4 src0_sel:BYTE_0 src1_sel:DWORD
	s_mov_b64 s[4:5], -1
                                        ; implicit-def: $sgpr10
	s_and_saveexec_b64 s[8:9], s[12:13]
; %bb.2958:
	s_mov_b32 s10, 0x7f800001
	s_xor_b64 s[4:5], exec, -1
; %bb.2959:
	s_or_b64 exec, exec, s[8:9]
	s_and_b64 s[4:5], s[4:5], exec
	s_or_saveexec_b64 s[6:7], s[6:7]
	v_mov_b32_e32 v12, s10
	s_xor_b64 exec, exec, s[6:7]
	s_cbranch_execz .LBB58_910
.LBB58_2960:
	v_mov_b32_e32 v12, 0
	v_cmp_ne_u16_sdwa s[8:9], v11, v12 src0_sel:BYTE_0 src1_sel:DWORD
	s_andn2_b64 s[4:5], s[4:5], exec
	s_and_b64 s[8:9], s[8:9], exec
	s_or_b64 s[4:5], s[4:5], s[8:9]
	s_or_b64 exec, exec, s[6:7]
	s_and_saveexec_b64 s[6:7], s[4:5]
	s_cbranch_execnz .LBB58_911
	s_branch .LBB58_912
.LBB58_2961:
	s_movk_i32 s4, 0x80
	v_cmp_eq_u16_e32 vcc, s4, v11
	s_mov_b64 s[4:5], -1
                                        ; implicit-def: $sgpr10
	s_and_saveexec_b64 s[8:9], vcc
; %bb.2962:
	s_mov_b32 s10, 0x7f800001
	s_xor_b64 s[4:5], exec, -1
; %bb.2963:
	s_or_b64 exec, exec, s[8:9]
	s_and_b64 s[4:5], s[4:5], exec
                                        ; implicit-def: $vgpr11
	s_or_saveexec_b64 s[6:7], s[6:7]
	v_mov_b32_e32 v10, s10
	s_xor_b64 exec, exec, s[6:7]
	s_cbranch_execz .LBB58_914
.LBB58_2964:
	v_cmp_ne_u16_e32 vcc, 0, v11
	s_andn2_b64 s[4:5], s[4:5], exec
	s_and_b64 s[8:9], vcc, exec
	v_mov_b32_e32 v10, 0
	s_or_b64 s[4:5], s[4:5], s[8:9]
	s_or_b64 exec, exec, s[6:7]
	s_and_saveexec_b64 s[6:7], s[4:5]
	s_cbranch_execnz .LBB58_915
	s_branch .LBB58_916
.LBB58_2965:
	s_movk_i32 s4, 0x80
	v_cmp_eq_u16_e32 vcc, s4, v11
	s_mov_b64 s[4:5], -1
                                        ; implicit-def: $sgpr10
	s_and_saveexec_b64 s[8:9], vcc
; %bb.2966:
	s_mov_b32 s10, 0x7f800001
	s_xor_b64 s[4:5], exec, -1
; %bb.2967:
	s_or_b64 exec, exec, s[8:9]
	s_and_b64 s[4:5], s[4:5], exec
                                        ; implicit-def: $vgpr11
	s_or_saveexec_b64 s[6:7], s[6:7]
	v_mov_b32_e32 v12, s10
	s_xor_b64 exec, exec, s[6:7]
	s_cbranch_execz .LBB58_918
.LBB58_2968:
	v_cmp_ne_u16_e32 vcc, 0, v11
	s_andn2_b64 s[4:5], s[4:5], exec
	s_and_b64 s[8:9], vcc, exec
	v_mov_b32_e32 v12, 0
	s_or_b64 s[4:5], s[4:5], s[8:9]
	s_or_b64 exec, exec, s[6:7]
	s_and_saveexec_b64 s[6:7], s[4:5]
	s_cbranch_execnz .LBB58_919
	s_branch .LBB58_920
.LBB58_2969:
	s_movk_i32 s4, 0x80
	v_cmp_eq_u16_sdwa s[12:13], v6, s4 src0_sel:BYTE_3 src1_sel:DWORD
	s_mov_b64 s[4:5], -1
                                        ; implicit-def: $sgpr10
	s_and_saveexec_b64 s[8:9], s[12:13]
; %bb.2970:
	s_mov_b32 s10, 0x7f800001
	s_xor_b64 s[4:5], exec, -1
; %bb.2971:
	s_or_b64 exec, exec, s[8:9]
	s_and_b64 s[4:5], s[4:5], exec
	s_or_saveexec_b64 s[6:7], s[6:7]
	v_mov_b32_e32 v10, s10
	s_xor_b64 exec, exec, s[6:7]
	s_cbranch_execz .LBB58_922
.LBB58_2972:
	v_mov_b32_e32 v10, 0
	v_cmp_ne_u16_sdwa s[8:9], v6, v10 src0_sel:BYTE_3 src1_sel:DWORD
	s_andn2_b64 s[4:5], s[4:5], exec
	s_and_b64 s[8:9], s[8:9], exec
	s_or_b64 s[4:5], s[4:5], s[8:9]
	s_or_b64 exec, exec, s[6:7]
	s_and_saveexec_b64 s[6:7], s[4:5]
	s_cbranch_execnz .LBB58_923
	s_branch .LBB58_924
.LBB58_2973:
	s_movk_i32 s4, 0x80
	v_cmp_eq_u16_sdwa s[12:13], v2, s4 src0_sel:BYTE_3 src1_sel:DWORD
	s_mov_b64 s[4:5], -1
                                        ; implicit-def: $sgpr10
	s_and_saveexec_b64 s[8:9], s[12:13]
; %bb.2974:
	s_mov_b32 s10, 0x7f800001
	s_xor_b64 s[4:5], exec, -1
; %bb.2975:
	s_or_b64 exec, exec, s[8:9]
	s_and_b64 s[4:5], s[4:5], exec
	s_or_saveexec_b64 s[6:7], s[6:7]
	v_mov_b32_e32 v6, s10
	s_xor_b64 exec, exec, s[6:7]
	s_cbranch_execz .LBB58_926
.LBB58_2976:
	v_mov_b32_e32 v6, 0
	v_cmp_ne_u16_sdwa s[8:9], v2, v6 src0_sel:BYTE_3 src1_sel:DWORD
	s_andn2_b64 s[4:5], s[4:5], exec
	s_and_b64 s[8:9], s[8:9], exec
	s_or_b64 s[4:5], s[4:5], s[8:9]
	s_or_b64 exec, exec, s[6:7]
	s_and_saveexec_b64 s[6:7], s[4:5]
	s_cbranch_execnz .LBB58_927
	s_branch .LBB58_928
.LBB58_2977:
	s_movk_i32 s4, 0x80
	v_cmp_eq_u16_sdwa s[12:13], v7, s4 src0_sel:BYTE_0 src1_sel:DWORD
	s_mov_b64 s[4:5], -1
                                        ; implicit-def: $sgpr10
	s_and_saveexec_b64 s[8:9], s[12:13]
; %bb.2978:
	s_mov_b32 s10, 0x7f800001
	s_xor_b64 s[4:5], exec, -1
; %bb.2979:
	s_or_b64 exec, exec, s[8:9]
	s_and_b64 s[4:5], s[4:5], exec
	s_or_saveexec_b64 s[6:7], s[6:7]
	v_mov_b32_e32 v2, s10
	s_xor_b64 exec, exec, s[6:7]
	s_cbranch_execz .LBB58_930
.LBB58_2980:
	v_mov_b32_e32 v2, 0
	v_cmp_ne_u16_sdwa s[8:9], v7, v2 src0_sel:BYTE_0 src1_sel:DWORD
	s_andn2_b64 s[4:5], s[4:5], exec
	s_and_b64 s[8:9], s[8:9], exec
	s_or_b64 s[4:5], s[4:5], s[8:9]
	s_or_b64 exec, exec, s[6:7]
	s_and_saveexec_b64 s[6:7], s[4:5]
	s_cbranch_execnz .LBB58_931
	s_branch .LBB58_932
.LBB58_2981:
	s_movk_i32 s4, 0x80
	v_cmp_eq_u16_sdwa s[12:13], v3, s4 src0_sel:BYTE_0 src1_sel:DWORD
	s_mov_b64 s[4:5], -1
                                        ; implicit-def: $sgpr10
	s_and_saveexec_b64 s[8:9], s[12:13]
; %bb.2982:
	s_mov_b32 s10, 0x7f800001
	s_xor_b64 s[4:5], exec, -1
; %bb.2983:
	s_or_b64 exec, exec, s[8:9]
	s_and_b64 s[4:5], s[4:5], exec
	s_or_saveexec_b64 s[6:7], s[6:7]
	v_mov_b32_e32 v6, s10
	s_xor_b64 exec, exec, s[6:7]
	s_cbranch_execz .LBB58_934
.LBB58_2984:
	v_mov_b32_e32 v6, 0
	v_cmp_ne_u16_sdwa s[8:9], v3, v6 src0_sel:BYTE_0 src1_sel:DWORD
	s_andn2_b64 s[4:5], s[4:5], exec
	s_and_b64 s[8:9], s[8:9], exec
	s_or_b64 s[4:5], s[4:5], s[8:9]
	s_or_b64 exec, exec, s[6:7]
	s_and_saveexec_b64 s[6:7], s[4:5]
	s_cbranch_execnz .LBB58_935
	s_branch .LBB58_936
.LBB58_2985:
	s_movk_i32 s4, 0x80
	v_cmp_eq_u16_sdwa s[12:13], v6, s4 src0_sel:BYTE_0 src1_sel:DWORD
	s_mov_b64 s[4:5], -1
                                        ; implicit-def: $sgpr10
	s_and_saveexec_b64 s[8:9], s[12:13]
; %bb.2986:
	s_mov_b32 s10, 0x7f800001
	s_xor_b64 s[4:5], exec, -1
; %bb.2987:
	s_or_b64 exec, exec, s[8:9]
	s_and_b64 s[4:5], s[4:5], exec
	s_or_saveexec_b64 s[6:7], s[6:7]
	v_mov_b32_e32 v2, s10
	s_xor_b64 exec, exec, s[6:7]
	s_cbranch_execz .LBB58_938
.LBB58_2988:
	v_mov_b32_e32 v2, 0
	v_cmp_ne_u16_sdwa s[8:9], v6, v2 src0_sel:BYTE_0 src1_sel:DWORD
	s_andn2_b64 s[4:5], s[4:5], exec
	s_and_b64 s[8:9], s[8:9], exec
	s_or_b64 s[4:5], s[4:5], s[8:9]
	s_or_b64 exec, exec, s[6:7]
	s_and_saveexec_b64 s[6:7], s[4:5]
	s_cbranch_execnz .LBB58_939
	s_branch .LBB58_940
.LBB58_2989:
	s_movk_i32 s4, 0x80
	v_cmp_eq_u16_sdwa s[12:13], v6, s4 src0_sel:BYTE_0 src1_sel:DWORD
	s_mov_b64 s[4:5], -1
                                        ; implicit-def: $sgpr10
	s_and_saveexec_b64 s[8:9], s[12:13]
; %bb.2990:
	s_mov_b32 s10, 0x7f800001
	s_xor_b64 s[4:5], exec, -1
; %bb.2991:
	s_or_b64 exec, exec, s[8:9]
	s_and_b64 s[4:5], s[4:5], exec
	s_or_saveexec_b64 s[6:7], s[6:7]
	v_mov_b32_e32 v10, s10
	s_xor_b64 exec, exec, s[6:7]
	s_cbranch_execz .LBB58_942
.LBB58_2992:
	v_mov_b32_e32 v10, 0
	v_cmp_ne_u16_sdwa s[8:9], v6, v10 src0_sel:BYTE_0 src1_sel:DWORD
	s_andn2_b64 s[4:5], s[4:5], exec
	s_and_b64 s[8:9], s[8:9], exec
	s_or_b64 s[4:5], s[4:5], s[8:9]
	s_or_b64 exec, exec, s[6:7]
	s_and_saveexec_b64 s[6:7], s[4:5]
	s_cbranch_execnz .LBB58_943
	s_branch .LBB58_944
.LBB58_2993:
	s_movk_i32 s4, 0x80
	v_cmp_eq_u16_e32 vcc, s4, v6
	s_mov_b64 s[4:5], -1
                                        ; implicit-def: $sgpr10
	s_and_saveexec_b64 s[8:9], vcc
; %bb.2994:
	s_mov_b32 s10, 0x7f800001
	s_xor_b64 s[4:5], exec, -1
; %bb.2995:
	s_or_b64 exec, exec, s[8:9]
	s_and_b64 s[4:5], s[4:5], exec
                                        ; implicit-def: $vgpr6
	s_or_saveexec_b64 s[6:7], s[6:7]
	v_mov_b32_e32 v2, s10
	s_xor_b64 exec, exec, s[6:7]
	s_cbranch_execz .LBB58_946
.LBB58_2996:
	v_cmp_ne_u16_e32 vcc, 0, v6
	s_andn2_b64 s[4:5], s[4:5], exec
	s_and_b64 s[8:9], vcc, exec
	v_mov_b32_e32 v2, 0
	s_or_b64 s[4:5], s[4:5], s[8:9]
	s_or_b64 exec, exec, s[6:7]
	s_and_saveexec_b64 s[6:7], s[4:5]
	s_cbranch_execnz .LBB58_947
	s_branch .LBB58_948
.LBB58_2997:
	s_movk_i32 s4, 0x80
	v_cmp_eq_u16_e32 vcc, s4, v6
	s_mov_b64 s[4:5], -1
                                        ; implicit-def: $sgpr10
	s_and_saveexec_b64 s[8:9], vcc
; %bb.2998:
	s_mov_b32 s10, 0x7f800001
	s_xor_b64 s[4:5], exec, -1
; %bb.2999:
	s_or_b64 exec, exec, s[8:9]
	s_and_b64 s[4:5], s[4:5], exec
                                        ; implicit-def: $vgpr6
	s_or_saveexec_b64 s[6:7], s[6:7]
	v_mov_b32_e32 v10, s10
	s_xor_b64 exec, exec, s[6:7]
	s_cbranch_execz .LBB58_950
.LBB58_3000:
	v_cmp_ne_u16_e32 vcc, 0, v6
	s_andn2_b64 s[4:5], s[4:5], exec
	s_and_b64 s[8:9], vcc, exec
	v_mov_b32_e32 v10, 0
	s_or_b64 s[4:5], s[4:5], s[8:9]
	s_or_b64 exec, exec, s[6:7]
	s_and_saveexec_b64 s[6:7], s[4:5]
	s_cbranch_execnz .LBB58_951
	s_branch .LBB58_952
.LBB58_3001:
	s_movk_i32 s4, 0x80
	v_cmp_eq_u16_sdwa s[12:13], v7, s4 src0_sel:BYTE_3 src1_sel:DWORD
	s_mov_b64 s[4:5], -1
                                        ; implicit-def: $sgpr10
	s_and_saveexec_b64 s[8:9], s[12:13]
; %bb.3002:
	s_mov_b32 s10, 0x7f800001
	s_xor_b64 s[4:5], exec, -1
; %bb.3003:
	s_or_b64 exec, exec, s[8:9]
	s_and_b64 s[4:5], s[4:5], exec
	s_or_saveexec_b64 s[6:7], s[6:7]
	v_mov_b32_e32 v2, s10
	s_xor_b64 exec, exec, s[6:7]
	s_cbranch_execz .LBB58_954
.LBB58_3004:
	v_mov_b32_e32 v2, 0
	v_cmp_ne_u16_sdwa s[8:9], v7, v2 src0_sel:BYTE_3 src1_sel:DWORD
	s_andn2_b64 s[4:5], s[4:5], exec
	s_and_b64 s[8:9], s[8:9], exec
	s_or_b64 s[4:5], s[4:5], s[8:9]
	s_or_b64 exec, exec, s[6:7]
	s_and_saveexec_b64 s[6:7], s[4:5]
	s_cbranch_execnz .LBB58_955
	s_branch .LBB58_956
.LBB58_3005:
	s_movk_i32 s4, 0x80
	v_cmp_eq_u16_sdwa s[12:13], v3, s4 src0_sel:BYTE_3 src1_sel:DWORD
	s_mov_b64 s[4:5], -1
                                        ; implicit-def: $sgpr10
	s_and_saveexec_b64 s[8:9], s[12:13]
; %bb.3006:
	s_mov_b32 s10, 0x7f800001
	s_xor_b64 s[4:5], exec, -1
; %bb.3007:
	s_or_b64 exec, exec, s[8:9]
	s_and_b64 s[4:5], s[4:5], exec
	s_or_saveexec_b64 s[6:7], s[6:7]
	v_mov_b32_e32 v6, s10
	s_xor_b64 exec, exec, s[6:7]
	s_cbranch_execz .LBB58_958
.LBB58_3008:
	v_mov_b32_e32 v6, 0
	v_cmp_ne_u16_sdwa s[8:9], v3, v6 src0_sel:BYTE_3 src1_sel:DWORD
	s_andn2_b64 s[4:5], s[4:5], exec
	s_and_b64 s[8:9], s[8:9], exec
	s_or_b64 s[4:5], s[4:5], s[8:9]
	s_or_b64 exec, exec, s[6:7]
	s_and_saveexec_b64 s[6:7], s[4:5]
	s_cbranch_execnz .LBB58_959
	s_branch .LBB58_960
.LBB58_3009:
	s_movk_i32 s4, 0x80
	v_cmp_eq_u16_sdwa s[12:13], v8, s4 src0_sel:BYTE_0 src1_sel:DWORD
	s_mov_b64 s[4:5], -1
                                        ; implicit-def: $sgpr10
	s_and_saveexec_b64 s[8:9], s[12:13]
; %bb.3010:
	s_mov_b32 s10, 0x7f800001
	s_xor_b64 s[4:5], exec, -1
; %bb.3011:
	s_or_b64 exec, exec, s[8:9]
	s_and_b64 s[4:5], s[4:5], exec
	s_or_saveexec_b64 s[6:7], s[6:7]
	v_mov_b32_e32 v2, s10
	s_xor_b64 exec, exec, s[6:7]
	s_cbranch_execz .LBB58_962
.LBB58_3012:
	v_mov_b32_e32 v2, 0
	v_cmp_ne_u16_sdwa s[8:9], v8, v2 src0_sel:BYTE_0 src1_sel:DWORD
	s_andn2_b64 s[4:5], s[4:5], exec
	s_and_b64 s[8:9], s[8:9], exec
	s_or_b64 s[4:5], s[4:5], s[8:9]
	s_or_b64 exec, exec, s[6:7]
	s_and_saveexec_b64 s[6:7], s[4:5]
	s_cbranch_execnz .LBB58_963
	s_branch .LBB58_964
.LBB58_3013:
	s_movk_i32 s4, 0x80
	v_cmp_eq_u16_sdwa s[12:13], v4, s4 src0_sel:BYTE_0 src1_sel:DWORD
	s_mov_b64 s[4:5], -1
                                        ; implicit-def: $sgpr10
	s_and_saveexec_b64 s[8:9], s[12:13]
; %bb.3014:
	s_mov_b32 s10, 0x7f800001
	s_xor_b64 s[4:5], exec, -1
; %bb.3015:
	s_or_b64 exec, exec, s[8:9]
	s_and_b64 s[4:5], s[4:5], exec
	s_or_saveexec_b64 s[6:7], s[6:7]
	v_mov_b32_e32 v3, s10
	s_xor_b64 exec, exec, s[6:7]
	s_cbranch_execz .LBB58_966
.LBB58_3016:
	v_mov_b32_e32 v3, 0
	v_cmp_ne_u16_sdwa s[8:9], v4, v3 src0_sel:BYTE_0 src1_sel:DWORD
	s_andn2_b64 s[4:5], s[4:5], exec
	s_and_b64 s[8:9], s[8:9], exec
	s_or_b64 s[4:5], s[4:5], s[8:9]
	s_or_b64 exec, exec, s[6:7]
	s_and_saveexec_b64 s[6:7], s[4:5]
	s_cbranch_execnz .LBB58_967
	s_branch .LBB58_968
.LBB58_3017:
	s_movk_i32 s4, 0x80
	v_cmp_eq_u16_sdwa s[12:13], v3, s4 src0_sel:BYTE_0 src1_sel:DWORD
	s_mov_b64 s[4:5], -1
                                        ; implicit-def: $sgpr10
	s_and_saveexec_b64 s[8:9], s[12:13]
; %bb.3018:
	s_mov_b32 s10, 0x7f800001
	s_xor_b64 s[4:5], exec, -1
; %bb.3019:
	s_or_b64 exec, exec, s[8:9]
	s_and_b64 s[4:5], s[4:5], exec
	s_or_saveexec_b64 s[6:7], s[6:7]
	v_mov_b32_e32 v2, s10
	s_xor_b64 exec, exec, s[6:7]
	s_cbranch_execz .LBB58_970
.LBB58_3020:
	v_mov_b32_e32 v2, 0
	v_cmp_ne_u16_sdwa s[8:9], v3, v2 src0_sel:BYTE_0 src1_sel:DWORD
	s_andn2_b64 s[4:5], s[4:5], exec
	s_and_b64 s[8:9], s[8:9], exec
	s_or_b64 s[4:5], s[4:5], s[8:9]
	s_or_b64 exec, exec, s[6:7]
	s_and_saveexec_b64 s[6:7], s[4:5]
	s_cbranch_execnz .LBB58_971
	s_branch .LBB58_972
.LBB58_3021:
	s_movk_i32 s4, 0x80
	v_cmp_eq_u16_sdwa s[12:13], v3, s4 src0_sel:BYTE_0 src1_sel:DWORD
	s_mov_b64 s[4:5], -1
                                        ; implicit-def: $sgpr10
	s_and_saveexec_b64 s[8:9], s[12:13]
; %bb.3022:
	s_mov_b32 s10, 0x7f800001
	s_xor_b64 s[4:5], exec, -1
; %bb.3023:
	s_or_b64 exec, exec, s[8:9]
	s_and_b64 s[4:5], s[4:5], exec
	s_or_saveexec_b64 s[6:7], s[6:7]
	v_mov_b32_e32 v6, s10
	s_xor_b64 exec, exec, s[6:7]
	s_cbranch_execz .LBB58_974
.LBB58_3024:
	v_mov_b32_e32 v6, 0
	v_cmp_ne_u16_sdwa s[8:9], v3, v6 src0_sel:BYTE_0 src1_sel:DWORD
	s_andn2_b64 s[4:5], s[4:5], exec
	s_and_b64 s[8:9], s[8:9], exec
	s_or_b64 s[4:5], s[4:5], s[8:9]
	s_or_b64 exec, exec, s[6:7]
	s_and_saveexec_b64 s[6:7], s[4:5]
	s_cbranch_execnz .LBB58_975
	s_branch .LBB58_976
.LBB58_3025:
	s_movk_i32 s4, 0x80
	v_cmp_eq_u16_e32 vcc, s4, v3
	s_mov_b64 s[4:5], -1
                                        ; implicit-def: $sgpr10
	s_and_saveexec_b64 s[8:9], vcc
; %bb.3026:
	s_mov_b32 s10, 0x7f800001
	s_xor_b64 s[4:5], exec, -1
; %bb.3027:
	s_or_b64 exec, exec, s[8:9]
	s_and_b64 s[4:5], s[4:5], exec
                                        ; implicit-def: $vgpr3
	s_or_saveexec_b64 s[6:7], s[6:7]
	v_mov_b32_e32 v2, s10
	s_xor_b64 exec, exec, s[6:7]
	s_cbranch_execz .LBB58_978
.LBB58_3028:
	v_cmp_ne_u16_e32 vcc, 0, v3
	s_andn2_b64 s[4:5], s[4:5], exec
	s_and_b64 s[8:9], vcc, exec
	v_mov_b32_e32 v2, 0
	s_or_b64 s[4:5], s[4:5], s[8:9]
	s_or_b64 exec, exec, s[6:7]
	s_and_saveexec_b64 s[6:7], s[4:5]
	s_cbranch_execnz .LBB58_979
	s_branch .LBB58_980
.LBB58_3029:
	s_movk_i32 s4, 0x80
	v_cmp_eq_u16_e32 vcc, s4, v3
	s_mov_b64 s[4:5], -1
                                        ; implicit-def: $sgpr10
	s_and_saveexec_b64 s[8:9], vcc
; %bb.3030:
	s_mov_b32 s10, 0x7f800001
	s_xor_b64 s[4:5], exec, -1
; %bb.3031:
	s_or_b64 exec, exec, s[8:9]
	s_and_b64 s[4:5], s[4:5], exec
                                        ; implicit-def: $vgpr3
	s_or_saveexec_b64 s[6:7], s[6:7]
	v_mov_b32_e32 v6, s10
	s_xor_b64 exec, exec, s[6:7]
	s_cbranch_execz .LBB58_982
.LBB58_3032:
	v_cmp_ne_u16_e32 vcc, 0, v3
	s_andn2_b64 s[4:5], s[4:5], exec
	s_and_b64 s[8:9], vcc, exec
	v_mov_b32_e32 v6, 0
	s_or_b64 s[4:5], s[4:5], s[8:9]
	s_or_b64 exec, exec, s[6:7]
	s_and_saveexec_b64 s[6:7], s[4:5]
	s_cbranch_execnz .LBB58_983
	s_branch .LBB58_984
.LBB58_3033:
	s_movk_i32 s4, 0x80
	v_cmp_eq_u16_sdwa s[12:13], v8, s4 src0_sel:BYTE_3 src1_sel:DWORD
	s_mov_b64 s[4:5], -1
                                        ; implicit-def: $sgpr10
	s_and_saveexec_b64 s[8:9], s[12:13]
; %bb.3034:
	s_mov_b32 s10, 0x7f800001
	s_xor_b64 s[4:5], exec, -1
; %bb.3035:
	s_or_b64 exec, exec, s[8:9]
	s_and_b64 s[4:5], s[4:5], exec
	s_or_saveexec_b64 s[6:7], s[6:7]
	v_mov_b32_e32 v2, s10
	s_xor_b64 exec, exec, s[6:7]
	s_cbranch_execz .LBB58_986
.LBB58_3036:
	v_mov_b32_e32 v2, 0
	v_cmp_ne_u16_sdwa s[8:9], v8, v2 src0_sel:BYTE_3 src1_sel:DWORD
	s_andn2_b64 s[4:5], s[4:5], exec
	s_and_b64 s[8:9], s[8:9], exec
	s_or_b64 s[4:5], s[4:5], s[8:9]
	s_or_b64 exec, exec, s[6:7]
	s_and_saveexec_b64 s[6:7], s[4:5]
	s_cbranch_execnz .LBB58_987
	s_branch .LBB58_988
.LBB58_3037:
	s_movk_i32 s4, 0x80
	v_cmp_eq_u16_sdwa s[12:13], v4, s4 src0_sel:BYTE_3 src1_sel:DWORD
	s_mov_b64 s[4:5], -1
                                        ; implicit-def: $sgpr10
	s_and_saveexec_b64 s[8:9], s[12:13]
; %bb.3038:
	s_mov_b32 s10, 0x7f800001
	s_xor_b64 s[4:5], exec, -1
; %bb.3039:
	s_or_b64 exec, exec, s[8:9]
	s_and_b64 s[4:5], s[4:5], exec
	s_or_saveexec_b64 s[6:7], s[6:7]
	v_mov_b32_e32 v3, s10
	s_xor_b64 exec, exec, s[6:7]
	s_cbranch_execz .LBB58_990
.LBB58_3040:
	v_mov_b32_e32 v3, 0
	v_cmp_ne_u16_sdwa s[8:9], v4, v3 src0_sel:BYTE_3 src1_sel:DWORD
	s_andn2_b64 s[4:5], s[4:5], exec
	s_and_b64 s[8:9], s[8:9], exec
	s_or_b64 s[4:5], s[4:5], s[8:9]
	s_or_b64 exec, exec, s[6:7]
	s_and_saveexec_b64 s[6:7], s[4:5]
	s_cbranch_execnz .LBB58_991
	s_branch .LBB58_992
.LBB58_3041:
	s_movk_i32 s4, 0x80
	v_cmp_eq_u16_sdwa s[12:13], v9, s4 src0_sel:BYTE_0 src1_sel:DWORD
	s_mov_b64 s[4:5], -1
                                        ; implicit-def: $sgpr10
	s_and_saveexec_b64 s[8:9], s[12:13]
; %bb.3042:
	s_mov_b32 s10, 0x7f800001
	s_xor_b64 s[4:5], exec, -1
; %bb.3043:
	s_or_b64 exec, exec, s[8:9]
	s_and_b64 s[4:5], s[4:5], exec
	s_or_saveexec_b64 s[6:7], s[6:7]
	v_mov_b32_e32 v2, s10
	s_xor_b64 exec, exec, s[6:7]
	s_cbranch_execz .LBB58_994
.LBB58_3044:
	v_mov_b32_e32 v2, 0
	v_cmp_ne_u16_sdwa s[8:9], v9, v2 src0_sel:BYTE_0 src1_sel:DWORD
	s_andn2_b64 s[4:5], s[4:5], exec
	s_and_b64 s[8:9], s[8:9], exec
	s_or_b64 s[4:5], s[4:5], s[8:9]
	s_or_b64 exec, exec, s[6:7]
	s_and_saveexec_b64 s[6:7], s[4:5]
	s_cbranch_execnz .LBB58_995
	s_branch .LBB58_996
.LBB58_3045:
	s_movk_i32 s4, 0x80
	v_cmp_eq_u16_sdwa s[12:13], v5, s4 src0_sel:BYTE_0 src1_sel:DWORD
	s_mov_b64 s[4:5], -1
                                        ; implicit-def: $sgpr10
	s_and_saveexec_b64 s[8:9], s[12:13]
; %bb.3046:
	s_mov_b32 s10, 0x7f800001
	s_xor_b64 s[4:5], exec, -1
; %bb.3047:
	s_or_b64 exec, exec, s[8:9]
	s_and_b64 s[4:5], s[4:5], exec
	s_or_saveexec_b64 s[6:7], s[6:7]
	v_mov_b32_e32 v3, s10
	s_xor_b64 exec, exec, s[6:7]
	s_cbranch_execz .LBB58_998
.LBB58_3048:
	v_mov_b32_e32 v3, 0
	v_cmp_ne_u16_sdwa s[8:9], v5, v3 src0_sel:BYTE_0 src1_sel:DWORD
	s_andn2_b64 s[4:5], s[4:5], exec
	s_and_b64 s[8:9], s[8:9], exec
	s_or_b64 s[4:5], s[4:5], s[8:9]
	s_or_b64 exec, exec, s[6:7]
	s_and_saveexec_b64 s[6:7], s[4:5]
	s_cbranch_execnz .LBB58_999
	s_branch .LBB58_1000
.LBB58_3049:
	s_movk_i32 s4, 0x80
	v_cmp_eq_u16_sdwa s[12:13], v3, s4 src0_sel:BYTE_0 src1_sel:DWORD
	s_mov_b64 s[4:5], -1
                                        ; implicit-def: $sgpr10
	s_and_saveexec_b64 s[8:9], s[12:13]
; %bb.3050:
	s_mov_b32 s10, 0x7f800001
	s_xor_b64 s[4:5], exec, -1
; %bb.3051:
	s_or_b64 exec, exec, s[8:9]
	s_and_b64 s[4:5], s[4:5], exec
	s_or_saveexec_b64 s[6:7], s[6:7]
	v_mov_b32_e32 v2, s10
	s_xor_b64 exec, exec, s[6:7]
	s_cbranch_execz .LBB58_1002
.LBB58_3052:
	v_mov_b32_e32 v2, 0
	v_cmp_ne_u16_sdwa s[8:9], v3, v2 src0_sel:BYTE_0 src1_sel:DWORD
	s_andn2_b64 s[4:5], s[4:5], exec
	s_and_b64 s[8:9], s[8:9], exec
	s_or_b64 s[4:5], s[4:5], s[8:9]
	s_or_b64 exec, exec, s[6:7]
	s_and_saveexec_b64 s[6:7], s[4:5]
	s_cbranch_execnz .LBB58_1003
	s_branch .LBB58_1004
.LBB58_3053:
	s_movk_i32 s4, 0x80
	v_cmp_eq_u16_sdwa s[12:13], v3, s4 src0_sel:BYTE_0 src1_sel:DWORD
	s_mov_b64 s[4:5], -1
                                        ; implicit-def: $sgpr10
	s_and_saveexec_b64 s[8:9], s[12:13]
; %bb.3054:
	s_mov_b32 s10, 0x7f800001
	s_xor_b64 s[4:5], exec, -1
; %bb.3055:
	s_or_b64 exec, exec, s[8:9]
	s_and_b64 s[4:5], s[4:5], exec
	s_or_saveexec_b64 s[6:7], s[6:7]
	v_mov_b32_e32 v4, s10
	s_xor_b64 exec, exec, s[6:7]
	s_cbranch_execz .LBB58_1006
.LBB58_3056:
	v_mov_b32_e32 v4, 0
	v_cmp_ne_u16_sdwa s[8:9], v3, v4 src0_sel:BYTE_0 src1_sel:DWORD
	s_andn2_b64 s[4:5], s[4:5], exec
	s_and_b64 s[8:9], s[8:9], exec
	s_or_b64 s[4:5], s[4:5], s[8:9]
	s_or_b64 exec, exec, s[6:7]
	s_and_saveexec_b64 s[6:7], s[4:5]
	s_cbranch_execnz .LBB58_1007
	s_branch .LBB58_1008
.LBB58_3057:
	s_movk_i32 s4, 0x80
	v_cmp_eq_u16_e32 vcc, s4, v3
	s_mov_b64 s[4:5], -1
                                        ; implicit-def: $sgpr10
	s_and_saveexec_b64 s[8:9], vcc
; %bb.3058:
	s_mov_b32 s10, 0x7f800001
	s_xor_b64 s[4:5], exec, -1
; %bb.3059:
	s_or_b64 exec, exec, s[8:9]
	s_and_b64 s[4:5], s[4:5], exec
                                        ; implicit-def: $vgpr3
	s_or_saveexec_b64 s[6:7], s[6:7]
	v_mov_b32_e32 v2, s10
	s_xor_b64 exec, exec, s[6:7]
	s_cbranch_execz .LBB58_1010
.LBB58_3060:
	v_cmp_ne_u16_e32 vcc, 0, v3
	s_andn2_b64 s[4:5], s[4:5], exec
	s_and_b64 s[8:9], vcc, exec
	v_mov_b32_e32 v2, 0
	s_or_b64 s[4:5], s[4:5], s[8:9]
	s_or_b64 exec, exec, s[6:7]
	s_and_saveexec_b64 s[6:7], s[4:5]
	s_cbranch_execnz .LBB58_1011
	s_branch .LBB58_1012
.LBB58_3061:
	s_movk_i32 s4, 0x80
	v_cmp_eq_u16_e32 vcc, s4, v3
	s_mov_b64 s[4:5], -1
                                        ; implicit-def: $sgpr10
	s_and_saveexec_b64 s[8:9], vcc
; %bb.3062:
	s_mov_b32 s10, 0x7f800001
	s_xor_b64 s[4:5], exec, -1
; %bb.3063:
	s_or_b64 exec, exec, s[8:9]
	s_and_b64 s[4:5], s[4:5], exec
                                        ; implicit-def: $vgpr3
	s_or_saveexec_b64 s[6:7], s[6:7]
	v_mov_b32_e32 v4, s10
	s_xor_b64 exec, exec, s[6:7]
	s_cbranch_execz .LBB58_1014
.LBB58_3064:
	v_cmp_ne_u16_e32 vcc, 0, v3
	s_andn2_b64 s[4:5], s[4:5], exec
	s_and_b64 s[8:9], vcc, exec
	v_mov_b32_e32 v4, 0
	s_or_b64 s[4:5], s[4:5], s[8:9]
	s_or_b64 exec, exec, s[6:7]
	s_and_saveexec_b64 s[6:7], s[4:5]
	s_cbranch_execnz .LBB58_1015
	s_branch .LBB58_1016
.LBB58_3065:
	s_movk_i32 s4, 0x80
	v_cmp_eq_u16_sdwa s[12:13], v9, s4 src0_sel:BYTE_3 src1_sel:DWORD
	s_mov_b64 s[4:5], -1
                                        ; implicit-def: $sgpr10
	s_and_saveexec_b64 s[8:9], s[12:13]
; %bb.3066:
	s_mov_b32 s10, 0x7f800001
	s_xor_b64 s[4:5], exec, -1
; %bb.3067:
	s_or_b64 exec, exec, s[8:9]
	s_and_b64 s[4:5], s[4:5], exec
	s_or_saveexec_b64 s[6:7], s[6:7]
	v_mov_b32_e32 v2, s10
	s_xor_b64 exec, exec, s[6:7]
	s_cbranch_execz .LBB58_1018
.LBB58_3068:
	v_mov_b32_e32 v2, 0
	v_cmp_ne_u16_sdwa s[8:9], v9, v2 src0_sel:BYTE_3 src1_sel:DWORD
	s_andn2_b64 s[4:5], s[4:5], exec
	s_and_b64 s[8:9], s[8:9], exec
	s_or_b64 s[4:5], s[4:5], s[8:9]
	s_or_b64 exec, exec, s[6:7]
	s_and_saveexec_b64 s[6:7], s[4:5]
	s_cbranch_execnz .LBB58_1019
	s_branch .LBB58_1020
.LBB58_3069:
	s_movk_i32 s4, 0x80
	v_cmp_eq_u16_sdwa s[12:13], v5, s4 src0_sel:BYTE_3 src1_sel:DWORD
	s_mov_b64 s[4:5], -1
                                        ; implicit-def: $sgpr10
	s_and_saveexec_b64 s[8:9], s[12:13]
; %bb.3070:
	s_mov_b32 s10, 0x7f800001
	s_xor_b64 s[4:5], exec, -1
; %bb.3071:
	s_or_b64 exec, exec, s[8:9]
	s_and_b64 s[4:5], s[4:5], exec
	s_or_saveexec_b64 s[6:7], s[6:7]
	v_mov_b32_e32 v3, s10
	s_xor_b64 exec, exec, s[6:7]
	s_cbranch_execz .LBB58_1022
.LBB58_3072:
	v_mov_b32_e32 v3, 0
	v_cmp_ne_u16_sdwa s[8:9], v5, v3 src0_sel:BYTE_3 src1_sel:DWORD
	s_andn2_b64 s[4:5], s[4:5], exec
	s_and_b64 s[8:9], s[8:9], exec
	s_or_b64 s[4:5], s[4:5], s[8:9]
	s_or_b64 exec, exec, s[6:7]
	s_and_saveexec_b64 s[6:7], s[4:5]
	s_cbranch_execnz .LBB58_1023
	s_branch .LBB58_1024
.LBB58_3073:
	s_movk_i32 s4, 0x80
	v_cmp_eq_u16_sdwa s[12:13], v14, s4 src0_sel:BYTE_0 src1_sel:DWORD
	s_mov_b64 s[4:5], -1
                                        ; implicit-def: $sgpr10
	s_and_saveexec_b64 s[8:9], s[12:13]
; %bb.3074:
	s_mov_b32 s10, 0x7f800001
	s_xor_b64 s[4:5], exec, -1
; %bb.3075:
	s_or_b64 exec, exec, s[8:9]
	s_and_b64 s[4:5], s[4:5], exec
	s_or_saveexec_b64 s[6:7], s[6:7]
	v_mov_b32_e32 v20, s10
	s_xor_b64 exec, exec, s[6:7]
	s_cbranch_execz .LBB58_1026
.LBB58_3076:
	v_mov_b32_e32 v20, 0
	v_cmp_ne_u16_sdwa s[8:9], v14, v20 src0_sel:BYTE_0 src1_sel:DWORD
	s_andn2_b64 s[4:5], s[4:5], exec
	s_and_b64 s[8:9], s[8:9], exec
	s_or_b64 s[4:5], s[4:5], s[8:9]
	s_or_b64 exec, exec, s[6:7]
	s_and_saveexec_b64 s[6:7], s[4:5]
	s_cbranch_execnz .LBB58_1027
	s_branch .LBB58_1028
.LBB58_3077:
	s_movk_i32 s4, 0x80
	v_cmp_eq_u16_sdwa s[12:13], v10, s4 src0_sel:BYTE_0 src1_sel:DWORD
	s_mov_b64 s[4:5], -1
                                        ; implicit-def: $sgpr10
	s_and_saveexec_b64 s[8:9], s[12:13]
; %bb.3078:
	s_mov_b32 s10, 0x7f800001
	s_xor_b64 s[4:5], exec, -1
; %bb.3079:
	s_or_b64 exec, exec, s[8:9]
	s_and_b64 s[4:5], s[4:5], exec
	s_or_saveexec_b64 s[6:7], s[6:7]
	v_mov_b32_e32 v21, s10
	s_xor_b64 exec, exec, s[6:7]
	s_cbranch_execz .LBB58_1030
.LBB58_3080:
	v_mov_b32_e32 v21, 0
	v_cmp_ne_u16_sdwa s[8:9], v10, v21 src0_sel:BYTE_0 src1_sel:DWORD
	s_andn2_b64 s[4:5], s[4:5], exec
	s_and_b64 s[8:9], s[8:9], exec
	s_or_b64 s[4:5], s[4:5], s[8:9]
	s_or_b64 exec, exec, s[6:7]
	s_and_saveexec_b64 s[6:7], s[4:5]
	s_cbranch_execnz .LBB58_1031
	s_branch .LBB58_1032
.LBB58_3081:
	s_movk_i32 s4, 0x80
	v_cmp_eq_u16_sdwa s[12:13], v21, s4 src0_sel:BYTE_0 src1_sel:DWORD
	s_mov_b64 s[4:5], -1
                                        ; implicit-def: $sgpr10
	s_and_saveexec_b64 s[8:9], s[12:13]
; %bb.3082:
	s_mov_b32 s10, 0x7f800001
	s_xor_b64 s[4:5], exec, -1
; %bb.3083:
	s_or_b64 exec, exec, s[8:9]
	s_and_b64 s[4:5], s[4:5], exec
	s_or_saveexec_b64 s[6:7], s[6:7]
	v_mov_b32_e32 v20, s10
	s_xor_b64 exec, exec, s[6:7]
	s_cbranch_execz .LBB58_1034
.LBB58_3084:
	v_mov_b32_e32 v20, 0
	v_cmp_ne_u16_sdwa s[8:9], v21, v20 src0_sel:BYTE_0 src1_sel:DWORD
	s_andn2_b64 s[4:5], s[4:5], exec
	s_and_b64 s[8:9], s[8:9], exec
	s_or_b64 s[4:5], s[4:5], s[8:9]
	s_or_b64 exec, exec, s[6:7]
	s_and_saveexec_b64 s[6:7], s[4:5]
	s_cbranch_execnz .LBB58_1035
	s_branch .LBB58_1036
.LBB58_3085:
	s_movk_i32 s4, 0x80
	v_cmp_eq_u16_sdwa s[12:13], v21, s4 src0_sel:BYTE_0 src1_sel:DWORD
	s_mov_b64 s[4:5], -1
                                        ; implicit-def: $sgpr10
	s_and_saveexec_b64 s[8:9], s[12:13]
; %bb.3086:
	s_mov_b32 s10, 0x7f800001
	s_xor_b64 s[4:5], exec, -1
; %bb.3087:
	s_or_b64 exec, exec, s[8:9]
	s_and_b64 s[4:5], s[4:5], exec
	s_or_saveexec_b64 s[6:7], s[6:7]
	v_mov_b32_e32 v22, s10
	s_xor_b64 exec, exec, s[6:7]
	s_cbranch_execz .LBB58_1038
.LBB58_3088:
	v_mov_b32_e32 v22, 0
	v_cmp_ne_u16_sdwa s[8:9], v21, v22 src0_sel:BYTE_0 src1_sel:DWORD
	s_andn2_b64 s[4:5], s[4:5], exec
	s_and_b64 s[8:9], s[8:9], exec
	s_or_b64 s[4:5], s[4:5], s[8:9]
	s_or_b64 exec, exec, s[6:7]
	s_and_saveexec_b64 s[6:7], s[4:5]
	s_cbranch_execnz .LBB58_1039
	s_branch .LBB58_1040
.LBB58_3089:
	s_movk_i32 s4, 0x80
	v_cmp_eq_u16_e32 vcc, s4, v21
	s_mov_b64 s[4:5], -1
                                        ; implicit-def: $sgpr10
	s_and_saveexec_b64 s[8:9], vcc
; %bb.3090:
	s_mov_b32 s10, 0x7f800001
	s_xor_b64 s[4:5], exec, -1
; %bb.3091:
	s_or_b64 exec, exec, s[8:9]
	s_and_b64 s[4:5], s[4:5], exec
                                        ; implicit-def: $vgpr21
	s_or_saveexec_b64 s[6:7], s[6:7]
	v_mov_b32_e32 v20, s10
	s_xor_b64 exec, exec, s[6:7]
	s_cbranch_execz .LBB58_1042
.LBB58_3092:
	v_cmp_ne_u16_e32 vcc, 0, v21
	s_andn2_b64 s[4:5], s[4:5], exec
	s_and_b64 s[8:9], vcc, exec
	v_mov_b32_e32 v20, 0
	s_or_b64 s[4:5], s[4:5], s[8:9]
	s_or_b64 exec, exec, s[6:7]
	s_and_saveexec_b64 s[6:7], s[4:5]
	s_cbranch_execnz .LBB58_1043
	s_branch .LBB58_1044
.LBB58_3093:
	s_movk_i32 s4, 0x80
	v_cmp_eq_u16_e32 vcc, s4, v21
	s_mov_b64 s[4:5], -1
                                        ; implicit-def: $sgpr10
	s_and_saveexec_b64 s[8:9], vcc
; %bb.3094:
	s_mov_b32 s10, 0x7f800001
	s_xor_b64 s[4:5], exec, -1
; %bb.3095:
	s_or_b64 exec, exec, s[8:9]
	s_and_b64 s[4:5], s[4:5], exec
                                        ; implicit-def: $vgpr21
	s_or_saveexec_b64 s[6:7], s[6:7]
	v_mov_b32_e32 v22, s10
	s_xor_b64 exec, exec, s[6:7]
	s_cbranch_execz .LBB58_1046
.LBB58_3096:
	v_cmp_ne_u16_e32 vcc, 0, v21
	s_andn2_b64 s[4:5], s[4:5], exec
	s_and_b64 s[8:9], vcc, exec
	v_mov_b32_e32 v22, 0
	s_or_b64 s[4:5], s[4:5], s[8:9]
	s_or_b64 exec, exec, s[6:7]
	s_and_saveexec_b64 s[6:7], s[4:5]
	s_cbranch_execnz .LBB58_1047
	s_branch .LBB58_1048
.LBB58_3097:
	s_movk_i32 s4, 0x80
	v_cmp_eq_u16_sdwa s[12:13], v14, s4 src0_sel:BYTE_3 src1_sel:DWORD
	s_mov_b64 s[4:5], -1
                                        ; implicit-def: $sgpr10
	s_and_saveexec_b64 s[8:9], s[12:13]
; %bb.3098:
	s_mov_b32 s10, 0x7f800001
	s_xor_b64 s[4:5], exec, -1
; %bb.3099:
	s_or_b64 exec, exec, s[8:9]
	s_and_b64 s[4:5], s[4:5], exec
	s_or_saveexec_b64 s[6:7], s[6:7]
	v_mov_b32_e32 v20, s10
	s_xor_b64 exec, exec, s[6:7]
	s_cbranch_execz .LBB58_1050
.LBB58_3100:
	v_mov_b32_e32 v20, 0
	v_cmp_ne_u16_sdwa s[8:9], v14, v20 src0_sel:BYTE_3 src1_sel:DWORD
	s_andn2_b64 s[4:5], s[4:5], exec
	s_and_b64 s[8:9], s[8:9], exec
	s_or_b64 s[4:5], s[4:5], s[8:9]
	s_or_b64 exec, exec, s[6:7]
	s_and_saveexec_b64 s[6:7], s[4:5]
	s_cbranch_execnz .LBB58_1051
	s_branch .LBB58_1052
.LBB58_3101:
	s_movk_i32 s4, 0x80
	v_cmp_eq_u16_sdwa s[12:13], v10, s4 src0_sel:BYTE_3 src1_sel:DWORD
	s_mov_b64 s[4:5], -1
                                        ; implicit-def: $sgpr10
	s_and_saveexec_b64 s[8:9], s[12:13]
; %bb.3102:
	s_mov_b32 s10, 0x7f800001
	s_xor_b64 s[4:5], exec, -1
; %bb.3103:
	s_or_b64 exec, exec, s[8:9]
	s_and_b64 s[4:5], s[4:5], exec
	s_or_saveexec_b64 s[6:7], s[6:7]
	v_mov_b32_e32 v14, s10
	s_xor_b64 exec, exec, s[6:7]
	s_cbranch_execz .LBB58_1054
.LBB58_3104:
	v_mov_b32_e32 v14, 0
	v_cmp_ne_u16_sdwa s[8:9], v10, v14 src0_sel:BYTE_3 src1_sel:DWORD
	s_andn2_b64 s[4:5], s[4:5], exec
	s_and_b64 s[8:9], s[8:9], exec
	s_or_b64 s[4:5], s[4:5], s[8:9]
	s_or_b64 exec, exec, s[6:7]
	s_and_saveexec_b64 s[6:7], s[4:5]
	s_cbranch_execnz .LBB58_1055
	s_branch .LBB58_1056
.LBB58_3105:
	s_movk_i32 s4, 0x80
	v_cmp_eq_u16_sdwa s[12:13], v15, s4 src0_sel:BYTE_0 src1_sel:DWORD
	s_mov_b64 s[4:5], -1
                                        ; implicit-def: $sgpr10
	s_and_saveexec_b64 s[8:9], s[12:13]
; %bb.3106:
	s_mov_b32 s10, 0x7f800001
	s_xor_b64 s[4:5], exec, -1
; %bb.3107:
	s_or_b64 exec, exec, s[8:9]
	s_and_b64 s[4:5], s[4:5], exec
	s_or_saveexec_b64 s[6:7], s[6:7]
	v_mov_b32_e32 v10, s10
	s_xor_b64 exec, exec, s[6:7]
	s_cbranch_execz .LBB58_1058
.LBB58_3108:
	v_mov_b32_e32 v10, 0
	v_cmp_ne_u16_sdwa s[8:9], v15, v10 src0_sel:BYTE_0 src1_sel:DWORD
	s_andn2_b64 s[4:5], s[4:5], exec
	s_and_b64 s[8:9], s[8:9], exec
	s_or_b64 s[4:5], s[4:5], s[8:9]
	s_or_b64 exec, exec, s[6:7]
	s_and_saveexec_b64 s[6:7], s[4:5]
	s_cbranch_execnz .LBB58_1059
	s_branch .LBB58_1060
.LBB58_3109:
	s_movk_i32 s4, 0x80
	v_cmp_eq_u16_sdwa s[12:13], v11, s4 src0_sel:BYTE_0 src1_sel:DWORD
	s_mov_b64 s[4:5], -1
                                        ; implicit-def: $sgpr10
	s_and_saveexec_b64 s[8:9], s[12:13]
; %bb.3110:
	s_mov_b32 s10, 0x7f800001
	s_xor_b64 s[4:5], exec, -1
; %bb.3111:
	s_or_b64 exec, exec, s[8:9]
	s_and_b64 s[4:5], s[4:5], exec
	s_or_saveexec_b64 s[6:7], s[6:7]
	v_mov_b32_e32 v14, s10
	s_xor_b64 exec, exec, s[6:7]
	s_cbranch_execz .LBB58_1062
.LBB58_3112:
	v_mov_b32_e32 v14, 0
	v_cmp_ne_u16_sdwa s[8:9], v11, v14 src0_sel:BYTE_0 src1_sel:DWORD
	s_andn2_b64 s[4:5], s[4:5], exec
	s_and_b64 s[8:9], s[8:9], exec
	s_or_b64 s[4:5], s[4:5], s[8:9]
	s_or_b64 exec, exec, s[6:7]
	s_and_saveexec_b64 s[6:7], s[4:5]
	s_cbranch_execnz .LBB58_1063
	s_branch .LBB58_1064
.LBB58_3113:
	s_movk_i32 s4, 0x80
	v_cmp_eq_u16_sdwa s[12:13], v14, s4 src0_sel:BYTE_0 src1_sel:DWORD
	s_mov_b64 s[4:5], -1
                                        ; implicit-def: $sgpr10
	s_and_saveexec_b64 s[8:9], s[12:13]
; %bb.3114:
	s_mov_b32 s10, 0x7f800001
	s_xor_b64 s[4:5], exec, -1
; %bb.3115:
	s_or_b64 exec, exec, s[8:9]
	s_and_b64 s[4:5], s[4:5], exec
	s_or_saveexec_b64 s[6:7], s[6:7]
	v_mov_b32_e32 v10, s10
	s_xor_b64 exec, exec, s[6:7]
	s_cbranch_execz .LBB58_1066
.LBB58_3116:
	v_mov_b32_e32 v10, 0
	v_cmp_ne_u16_sdwa s[8:9], v14, v10 src0_sel:BYTE_0 src1_sel:DWORD
	s_andn2_b64 s[4:5], s[4:5], exec
	s_and_b64 s[8:9], s[8:9], exec
	s_or_b64 s[4:5], s[4:5], s[8:9]
	s_or_b64 exec, exec, s[6:7]
	s_and_saveexec_b64 s[6:7], s[4:5]
	s_cbranch_execnz .LBB58_1067
	s_branch .LBB58_1068
.LBB58_3117:
	s_movk_i32 s4, 0x80
	v_cmp_eq_u16_sdwa s[12:13], v14, s4 src0_sel:BYTE_0 src1_sel:DWORD
	s_mov_b64 s[4:5], -1
                                        ; implicit-def: $sgpr10
	s_and_saveexec_b64 s[8:9], s[12:13]
; %bb.3118:
	s_mov_b32 s10, 0x7f800001
	s_xor_b64 s[4:5], exec, -1
; %bb.3119:
	s_or_b64 exec, exec, s[8:9]
	s_and_b64 s[4:5], s[4:5], exec
	s_or_saveexec_b64 s[6:7], s[6:7]
	v_mov_b32_e32 v20, s10
	s_xor_b64 exec, exec, s[6:7]
	s_cbranch_execz .LBB58_1070
.LBB58_3120:
	v_mov_b32_e32 v20, 0
	v_cmp_ne_u16_sdwa s[8:9], v14, v20 src0_sel:BYTE_0 src1_sel:DWORD
	s_andn2_b64 s[4:5], s[4:5], exec
	s_and_b64 s[8:9], s[8:9], exec
	s_or_b64 s[4:5], s[4:5], s[8:9]
	s_or_b64 exec, exec, s[6:7]
	s_and_saveexec_b64 s[6:7], s[4:5]
	s_cbranch_execnz .LBB58_1071
	s_branch .LBB58_1072
.LBB58_3121:
	s_movk_i32 s4, 0x80
	v_cmp_eq_u16_e32 vcc, s4, v14
	s_mov_b64 s[4:5], -1
                                        ; implicit-def: $sgpr10
	s_and_saveexec_b64 s[8:9], vcc
; %bb.3122:
	s_mov_b32 s10, 0x7f800001
	s_xor_b64 s[4:5], exec, -1
; %bb.3123:
	s_or_b64 exec, exec, s[8:9]
	s_and_b64 s[4:5], s[4:5], exec
                                        ; implicit-def: $vgpr14
	s_or_saveexec_b64 s[6:7], s[6:7]
	v_mov_b32_e32 v10, s10
	s_xor_b64 exec, exec, s[6:7]
	s_cbranch_execz .LBB58_1074
.LBB58_3124:
	v_cmp_ne_u16_e32 vcc, 0, v14
	s_andn2_b64 s[4:5], s[4:5], exec
	s_and_b64 s[8:9], vcc, exec
	v_mov_b32_e32 v10, 0
	s_or_b64 s[4:5], s[4:5], s[8:9]
	s_or_b64 exec, exec, s[6:7]
	s_and_saveexec_b64 s[6:7], s[4:5]
	s_cbranch_execnz .LBB58_1075
	s_branch .LBB58_1076
.LBB58_3125:
	s_movk_i32 s4, 0x80
	v_cmp_eq_u16_e32 vcc, s4, v14
	s_mov_b64 s[4:5], -1
                                        ; implicit-def: $sgpr10
	s_and_saveexec_b64 s[8:9], vcc
; %bb.3126:
	s_mov_b32 s10, 0x7f800001
	s_xor_b64 s[4:5], exec, -1
; %bb.3127:
	s_or_b64 exec, exec, s[8:9]
	s_and_b64 s[4:5], s[4:5], exec
                                        ; implicit-def: $vgpr14
	s_or_saveexec_b64 s[6:7], s[6:7]
	v_mov_b32_e32 v20, s10
	s_xor_b64 exec, exec, s[6:7]
	s_cbranch_execz .LBB58_1078
.LBB58_3128:
	v_cmp_ne_u16_e32 vcc, 0, v14
	s_andn2_b64 s[4:5], s[4:5], exec
	s_and_b64 s[8:9], vcc, exec
	v_mov_b32_e32 v20, 0
	s_or_b64 s[4:5], s[4:5], s[8:9]
	s_or_b64 exec, exec, s[6:7]
	s_and_saveexec_b64 s[6:7], s[4:5]
	s_cbranch_execnz .LBB58_1079
	s_branch .LBB58_1080
.LBB58_3129:
	s_movk_i32 s4, 0x80
	v_cmp_eq_u16_sdwa s[12:13], v15, s4 src0_sel:BYTE_3 src1_sel:DWORD
	s_mov_b64 s[4:5], -1
                                        ; implicit-def: $sgpr10
	s_and_saveexec_b64 s[8:9], s[12:13]
; %bb.3130:
	s_mov_b32 s10, 0x7f800001
	s_xor_b64 s[4:5], exec, -1
; %bb.3131:
	s_or_b64 exec, exec, s[8:9]
	s_and_b64 s[4:5], s[4:5], exec
	s_or_saveexec_b64 s[6:7], s[6:7]
	v_mov_b32_e32 v10, s10
	s_xor_b64 exec, exec, s[6:7]
	s_cbranch_execz .LBB58_1082
.LBB58_3132:
	v_mov_b32_e32 v10, 0
	v_cmp_ne_u16_sdwa s[8:9], v15, v10 src0_sel:BYTE_3 src1_sel:DWORD
	s_andn2_b64 s[4:5], s[4:5], exec
	s_and_b64 s[8:9], s[8:9], exec
	s_or_b64 s[4:5], s[4:5], s[8:9]
	s_or_b64 exec, exec, s[6:7]
	s_and_saveexec_b64 s[6:7], s[4:5]
	s_cbranch_execnz .LBB58_1083
	s_branch .LBB58_1084
.LBB58_3133:
	s_movk_i32 s4, 0x80
	v_cmp_eq_u16_sdwa s[12:13], v11, s4 src0_sel:BYTE_3 src1_sel:DWORD
	s_mov_b64 s[4:5], -1
                                        ; implicit-def: $sgpr10
	s_and_saveexec_b64 s[8:9], s[12:13]
; %bb.3134:
	s_mov_b32 s10, 0x7f800001
	s_xor_b64 s[4:5], exec, -1
; %bb.3135:
	s_or_b64 exec, exec, s[8:9]
	s_and_b64 s[4:5], s[4:5], exec
	s_or_saveexec_b64 s[6:7], s[6:7]
	v_mov_b32_e32 v14, s10
	s_xor_b64 exec, exec, s[6:7]
	s_cbranch_execz .LBB58_1086
.LBB58_3136:
	v_mov_b32_e32 v14, 0
	v_cmp_ne_u16_sdwa s[8:9], v11, v14 src0_sel:BYTE_3 src1_sel:DWORD
	s_andn2_b64 s[4:5], s[4:5], exec
	s_and_b64 s[8:9], s[8:9], exec
	s_or_b64 s[4:5], s[4:5], s[8:9]
	s_or_b64 exec, exec, s[6:7]
	s_and_saveexec_b64 s[6:7], s[4:5]
	s_cbranch_execnz .LBB58_1087
	s_branch .LBB58_1088
.LBB58_3137:
	s_movk_i32 s4, 0x80
	v_cmp_eq_u16_sdwa s[12:13], v16, s4 src0_sel:BYTE_0 src1_sel:DWORD
	s_mov_b64 s[4:5], -1
                                        ; implicit-def: $sgpr10
	s_and_saveexec_b64 s[8:9], s[12:13]
; %bb.3138:
	s_mov_b32 s10, 0x7f800001
	s_xor_b64 s[4:5], exec, -1
; %bb.3139:
	s_or_b64 exec, exec, s[8:9]
	s_and_b64 s[4:5], s[4:5], exec
	s_or_saveexec_b64 s[6:7], s[6:7]
	v_mov_b32_e32 v10, s10
	s_xor_b64 exec, exec, s[6:7]
	s_cbranch_execz .LBB58_1090
.LBB58_3140:
	v_mov_b32_e32 v10, 0
	v_cmp_ne_u16_sdwa s[8:9], v16, v10 src0_sel:BYTE_0 src1_sel:DWORD
	s_andn2_b64 s[4:5], s[4:5], exec
	s_and_b64 s[8:9], s[8:9], exec
	s_or_b64 s[4:5], s[4:5], s[8:9]
	s_or_b64 exec, exec, s[6:7]
	s_and_saveexec_b64 s[6:7], s[4:5]
	s_cbranch_execnz .LBB58_1091
	s_branch .LBB58_1092
.LBB58_3141:
	s_movk_i32 s4, 0x80
	v_cmp_eq_u16_sdwa s[12:13], v12, s4 src0_sel:BYTE_0 src1_sel:DWORD
	s_mov_b64 s[4:5], -1
                                        ; implicit-def: $sgpr10
	s_and_saveexec_b64 s[8:9], s[12:13]
; %bb.3142:
	s_mov_b32 s10, 0x7f800001
	s_xor_b64 s[4:5], exec, -1
; %bb.3143:
	s_or_b64 exec, exec, s[8:9]
	s_and_b64 s[4:5], s[4:5], exec
	s_or_saveexec_b64 s[6:7], s[6:7]
	v_mov_b32_e32 v11, s10
	s_xor_b64 exec, exec, s[6:7]
	s_cbranch_execz .LBB58_1094
.LBB58_3144:
	v_mov_b32_e32 v11, 0
	v_cmp_ne_u16_sdwa s[8:9], v12, v11 src0_sel:BYTE_0 src1_sel:DWORD
	s_andn2_b64 s[4:5], s[4:5], exec
	s_and_b64 s[8:9], s[8:9], exec
	s_or_b64 s[4:5], s[4:5], s[8:9]
	s_or_b64 exec, exec, s[6:7]
	s_and_saveexec_b64 s[6:7], s[4:5]
	s_cbranch_execnz .LBB58_1095
	s_branch .LBB58_1096
.LBB58_3145:
	s_movk_i32 s4, 0x80
	v_cmp_eq_u16_sdwa s[12:13], v11, s4 src0_sel:BYTE_0 src1_sel:DWORD
	s_mov_b64 s[4:5], -1
                                        ; implicit-def: $sgpr10
	s_and_saveexec_b64 s[8:9], s[12:13]
; %bb.3146:
	s_mov_b32 s10, 0x7f800001
	s_xor_b64 s[4:5], exec, -1
; %bb.3147:
	s_or_b64 exec, exec, s[8:9]
	s_and_b64 s[4:5], s[4:5], exec
	s_or_saveexec_b64 s[6:7], s[6:7]
	v_mov_b32_e32 v10, s10
	s_xor_b64 exec, exec, s[6:7]
	s_cbranch_execz .LBB58_1098
.LBB58_3148:
	v_mov_b32_e32 v10, 0
	v_cmp_ne_u16_sdwa s[8:9], v11, v10 src0_sel:BYTE_0 src1_sel:DWORD
	s_andn2_b64 s[4:5], s[4:5], exec
	s_and_b64 s[8:9], s[8:9], exec
	s_or_b64 s[4:5], s[4:5], s[8:9]
	s_or_b64 exec, exec, s[6:7]
	s_and_saveexec_b64 s[6:7], s[4:5]
	s_cbranch_execnz .LBB58_1099
	s_branch .LBB58_1100
.LBB58_3149:
	s_movk_i32 s4, 0x80
	v_cmp_eq_u16_sdwa s[12:13], v11, s4 src0_sel:BYTE_0 src1_sel:DWORD
	s_mov_b64 s[4:5], -1
                                        ; implicit-def: $sgpr10
	s_and_saveexec_b64 s[8:9], s[12:13]
; %bb.3150:
	s_mov_b32 s10, 0x7f800001
	s_xor_b64 s[4:5], exec, -1
; %bb.3151:
	s_or_b64 exec, exec, s[8:9]
	s_and_b64 s[4:5], s[4:5], exec
	s_or_saveexec_b64 s[6:7], s[6:7]
	v_mov_b32_e32 v14, s10
	s_xor_b64 exec, exec, s[6:7]
	s_cbranch_execz .LBB58_1102
.LBB58_3152:
	v_mov_b32_e32 v14, 0
	v_cmp_ne_u16_sdwa s[8:9], v11, v14 src0_sel:BYTE_0 src1_sel:DWORD
	s_andn2_b64 s[4:5], s[4:5], exec
	s_and_b64 s[8:9], s[8:9], exec
	s_or_b64 s[4:5], s[4:5], s[8:9]
	s_or_b64 exec, exec, s[6:7]
	s_and_saveexec_b64 s[6:7], s[4:5]
	s_cbranch_execnz .LBB58_1103
	s_branch .LBB58_1104
.LBB58_3153:
	s_movk_i32 s4, 0x80
	v_cmp_eq_u16_e32 vcc, s4, v11
	s_mov_b64 s[4:5], -1
                                        ; implicit-def: $sgpr10
	s_and_saveexec_b64 s[8:9], vcc
; %bb.3154:
	s_mov_b32 s10, 0x7f800001
	s_xor_b64 s[4:5], exec, -1
; %bb.3155:
	s_or_b64 exec, exec, s[8:9]
	s_and_b64 s[4:5], s[4:5], exec
                                        ; implicit-def: $vgpr11
	s_or_saveexec_b64 s[6:7], s[6:7]
	v_mov_b32_e32 v10, s10
	s_xor_b64 exec, exec, s[6:7]
	s_cbranch_execz .LBB58_1106
.LBB58_3156:
	v_cmp_ne_u16_e32 vcc, 0, v11
	s_andn2_b64 s[4:5], s[4:5], exec
	s_and_b64 s[8:9], vcc, exec
	v_mov_b32_e32 v10, 0
	s_or_b64 s[4:5], s[4:5], s[8:9]
	s_or_b64 exec, exec, s[6:7]
	s_and_saveexec_b64 s[6:7], s[4:5]
	s_cbranch_execnz .LBB58_1107
	s_branch .LBB58_1108
.LBB58_3157:
	s_movk_i32 s4, 0x80
	v_cmp_eq_u16_e32 vcc, s4, v11
	s_mov_b64 s[4:5], -1
                                        ; implicit-def: $sgpr10
	s_and_saveexec_b64 s[8:9], vcc
; %bb.3158:
	s_mov_b32 s10, 0x7f800001
	s_xor_b64 s[4:5], exec, -1
; %bb.3159:
	s_or_b64 exec, exec, s[8:9]
	s_and_b64 s[4:5], s[4:5], exec
                                        ; implicit-def: $vgpr11
	s_or_saveexec_b64 s[6:7], s[6:7]
	v_mov_b32_e32 v14, s10
	s_xor_b64 exec, exec, s[6:7]
	s_cbranch_execz .LBB58_1110
.LBB58_3160:
	v_cmp_ne_u16_e32 vcc, 0, v11
	s_andn2_b64 s[4:5], s[4:5], exec
	s_and_b64 s[8:9], vcc, exec
	v_mov_b32_e32 v14, 0
	s_or_b64 s[4:5], s[4:5], s[8:9]
	s_or_b64 exec, exec, s[6:7]
	s_and_saveexec_b64 s[6:7], s[4:5]
	s_cbranch_execnz .LBB58_1111
	s_branch .LBB58_1112
.LBB58_3161:
	s_movk_i32 s4, 0x80
	v_cmp_eq_u16_sdwa s[12:13], v16, s4 src0_sel:BYTE_3 src1_sel:DWORD
	s_mov_b64 s[4:5], -1
                                        ; implicit-def: $sgpr10
	s_and_saveexec_b64 s[8:9], s[12:13]
; %bb.3162:
	s_mov_b32 s10, 0x7f800001
	s_xor_b64 s[4:5], exec, -1
; %bb.3163:
	s_or_b64 exec, exec, s[8:9]
	s_and_b64 s[4:5], s[4:5], exec
	s_or_saveexec_b64 s[6:7], s[6:7]
	v_mov_b32_e32 v10, s10
	s_xor_b64 exec, exec, s[6:7]
	s_cbranch_execz .LBB58_1114
.LBB58_3164:
	v_mov_b32_e32 v10, 0
	v_cmp_ne_u16_sdwa s[8:9], v16, v10 src0_sel:BYTE_3 src1_sel:DWORD
	s_andn2_b64 s[4:5], s[4:5], exec
	s_and_b64 s[8:9], s[8:9], exec
	s_or_b64 s[4:5], s[4:5], s[8:9]
	s_or_b64 exec, exec, s[6:7]
	s_and_saveexec_b64 s[6:7], s[4:5]
	s_cbranch_execnz .LBB58_1115
	s_branch .LBB58_1116
.LBB58_3165:
	s_movk_i32 s4, 0x80
	v_cmp_eq_u16_sdwa s[12:13], v12, s4 src0_sel:BYTE_3 src1_sel:DWORD
	s_mov_b64 s[4:5], -1
                                        ; implicit-def: $sgpr10
	s_and_saveexec_b64 s[8:9], s[12:13]
; %bb.3166:
	s_mov_b32 s10, 0x7f800001
	s_xor_b64 s[4:5], exec, -1
; %bb.3167:
	s_or_b64 exec, exec, s[8:9]
	s_and_b64 s[4:5], s[4:5], exec
	s_or_saveexec_b64 s[6:7], s[6:7]
	v_mov_b32_e32 v11, s10
	s_xor_b64 exec, exec, s[6:7]
	s_cbranch_execz .LBB58_1118
.LBB58_3168:
	v_mov_b32_e32 v11, 0
	v_cmp_ne_u16_sdwa s[8:9], v12, v11 src0_sel:BYTE_3 src1_sel:DWORD
	s_andn2_b64 s[4:5], s[4:5], exec
	s_and_b64 s[8:9], s[8:9], exec
	s_or_b64 s[4:5], s[4:5], s[8:9]
	s_or_b64 exec, exec, s[6:7]
	s_and_saveexec_b64 s[6:7], s[4:5]
	s_cbranch_execnz .LBB58_1119
	s_branch .LBB58_1120
.LBB58_3169:
	s_movk_i32 s4, 0x80
	v_cmp_eq_u16_sdwa s[12:13], v17, s4 src0_sel:BYTE_0 src1_sel:DWORD
	s_mov_b64 s[4:5], -1
                                        ; implicit-def: $sgpr10
	s_and_saveexec_b64 s[8:9], s[12:13]
; %bb.3170:
	s_mov_b32 s10, 0x7f800001
	s_xor_b64 s[4:5], exec, -1
; %bb.3171:
	s_or_b64 exec, exec, s[8:9]
	s_and_b64 s[4:5], s[4:5], exec
	s_or_saveexec_b64 s[6:7], s[6:7]
	v_mov_b32_e32 v10, s10
	s_xor_b64 exec, exec, s[6:7]
	s_cbranch_execz .LBB58_1122
.LBB58_3172:
	v_mov_b32_e32 v10, 0
	v_cmp_ne_u16_sdwa s[8:9], v17, v10 src0_sel:BYTE_0 src1_sel:DWORD
	s_andn2_b64 s[4:5], s[4:5], exec
	s_and_b64 s[8:9], s[8:9], exec
	s_or_b64 s[4:5], s[4:5], s[8:9]
	s_or_b64 exec, exec, s[6:7]
	s_and_saveexec_b64 s[6:7], s[4:5]
	s_cbranch_execnz .LBB58_1123
	s_branch .LBB58_1124
.LBB58_3173:
	s_movk_i32 s4, 0x80
	v_cmp_eq_u16_sdwa s[12:13], v13, s4 src0_sel:BYTE_0 src1_sel:DWORD
	s_mov_b64 s[4:5], -1
                                        ; implicit-def: $sgpr10
	s_and_saveexec_b64 s[8:9], s[12:13]
; %bb.3174:
	s_mov_b32 s10, 0x7f800001
	s_xor_b64 s[4:5], exec, -1
; %bb.3175:
	s_or_b64 exec, exec, s[8:9]
	s_and_b64 s[4:5], s[4:5], exec
	s_or_saveexec_b64 s[6:7], s[6:7]
	v_mov_b32_e32 v11, s10
	s_xor_b64 exec, exec, s[6:7]
	s_cbranch_execz .LBB58_1126
.LBB58_3176:
	v_mov_b32_e32 v11, 0
	v_cmp_ne_u16_sdwa s[8:9], v13, v11 src0_sel:BYTE_0 src1_sel:DWORD
	s_andn2_b64 s[4:5], s[4:5], exec
	s_and_b64 s[8:9], s[8:9], exec
	s_or_b64 s[4:5], s[4:5], s[8:9]
	s_or_b64 exec, exec, s[6:7]
	s_and_saveexec_b64 s[6:7], s[4:5]
	s_cbranch_execnz .LBB58_1127
	s_branch .LBB58_1128
.LBB58_3177:
	s_movk_i32 s4, 0x80
	v_cmp_eq_u16_sdwa s[12:13], v11, s4 src0_sel:BYTE_0 src1_sel:DWORD
	s_mov_b64 s[4:5], -1
                                        ; implicit-def: $sgpr10
	s_and_saveexec_b64 s[8:9], s[12:13]
; %bb.3178:
	s_mov_b32 s10, 0x7f800001
	s_xor_b64 s[4:5], exec, -1
; %bb.3179:
	s_or_b64 exec, exec, s[8:9]
	s_and_b64 s[4:5], s[4:5], exec
	s_or_saveexec_b64 s[6:7], s[6:7]
	v_mov_b32_e32 v10, s10
	s_xor_b64 exec, exec, s[6:7]
	s_cbranch_execz .LBB58_1130
.LBB58_3180:
	v_mov_b32_e32 v10, 0
	v_cmp_ne_u16_sdwa s[8:9], v11, v10 src0_sel:BYTE_0 src1_sel:DWORD
	s_andn2_b64 s[4:5], s[4:5], exec
	s_and_b64 s[8:9], s[8:9], exec
	s_or_b64 s[4:5], s[4:5], s[8:9]
	s_or_b64 exec, exec, s[6:7]
	s_and_saveexec_b64 s[6:7], s[4:5]
	s_cbranch_execnz .LBB58_1131
	s_branch .LBB58_1132
.LBB58_3181:
	s_movk_i32 s4, 0x80
	v_cmp_eq_u16_sdwa s[12:13], v11, s4 src0_sel:BYTE_0 src1_sel:DWORD
	s_mov_b64 s[4:5], -1
                                        ; implicit-def: $sgpr10
	s_and_saveexec_b64 s[8:9], s[12:13]
; %bb.3182:
	s_mov_b32 s10, 0x7f800001
	s_xor_b64 s[4:5], exec, -1
; %bb.3183:
	s_or_b64 exec, exec, s[8:9]
	s_and_b64 s[4:5], s[4:5], exec
	s_or_saveexec_b64 s[6:7], s[6:7]
	v_mov_b32_e32 v12, s10
	s_xor_b64 exec, exec, s[6:7]
	s_cbranch_execz .LBB58_1134
.LBB58_3184:
	v_mov_b32_e32 v12, 0
	v_cmp_ne_u16_sdwa s[8:9], v11, v12 src0_sel:BYTE_0 src1_sel:DWORD
	s_andn2_b64 s[4:5], s[4:5], exec
	s_and_b64 s[8:9], s[8:9], exec
	s_or_b64 s[4:5], s[4:5], s[8:9]
	s_or_b64 exec, exec, s[6:7]
	s_and_saveexec_b64 s[6:7], s[4:5]
	s_cbranch_execnz .LBB58_1135
	s_branch .LBB58_1136
.LBB58_3185:
	s_movk_i32 s4, 0x80
	v_cmp_eq_u16_e32 vcc, s4, v11
	s_mov_b64 s[4:5], -1
                                        ; implicit-def: $sgpr10
	s_and_saveexec_b64 s[8:9], vcc
; %bb.3186:
	s_mov_b32 s10, 0x7f800001
	s_xor_b64 s[4:5], exec, -1
; %bb.3187:
	s_or_b64 exec, exec, s[8:9]
	s_and_b64 s[4:5], s[4:5], exec
                                        ; implicit-def: $vgpr11
	s_or_saveexec_b64 s[6:7], s[6:7]
	v_mov_b32_e32 v10, s10
	s_xor_b64 exec, exec, s[6:7]
	s_cbranch_execz .LBB58_1138
.LBB58_3188:
	v_cmp_ne_u16_e32 vcc, 0, v11
	s_andn2_b64 s[4:5], s[4:5], exec
	s_and_b64 s[8:9], vcc, exec
	v_mov_b32_e32 v10, 0
	s_or_b64 s[4:5], s[4:5], s[8:9]
	s_or_b64 exec, exec, s[6:7]
	s_and_saveexec_b64 s[6:7], s[4:5]
	s_cbranch_execnz .LBB58_1139
	s_branch .LBB58_1140
.LBB58_3189:
	s_movk_i32 s4, 0x80
	v_cmp_eq_u16_e32 vcc, s4, v11
	s_mov_b64 s[4:5], -1
                                        ; implicit-def: $sgpr10
	s_and_saveexec_b64 s[8:9], vcc
; %bb.3190:
	s_mov_b32 s10, 0x7f800001
	s_xor_b64 s[4:5], exec, -1
; %bb.3191:
	s_or_b64 exec, exec, s[8:9]
	s_and_b64 s[4:5], s[4:5], exec
                                        ; implicit-def: $vgpr11
	s_or_saveexec_b64 s[6:7], s[6:7]
	v_mov_b32_e32 v12, s10
	s_xor_b64 exec, exec, s[6:7]
	s_cbranch_execz .LBB58_1142
.LBB58_3192:
	v_cmp_ne_u16_e32 vcc, 0, v11
	s_andn2_b64 s[4:5], s[4:5], exec
	s_and_b64 s[8:9], vcc, exec
	v_mov_b32_e32 v12, 0
	s_or_b64 s[4:5], s[4:5], s[8:9]
	s_or_b64 exec, exec, s[6:7]
	s_and_saveexec_b64 s[6:7], s[4:5]
	s_cbranch_execnz .LBB58_1143
	s_branch .LBB58_1144
.LBB58_3193:
	s_movk_i32 s4, 0x80
	v_cmp_eq_u16_sdwa s[12:13], v17, s4 src0_sel:BYTE_3 src1_sel:DWORD
	s_mov_b64 s[4:5], -1
                                        ; implicit-def: $sgpr10
	s_and_saveexec_b64 s[8:9], s[12:13]
; %bb.3194:
	s_mov_b32 s10, 0x7f800001
	s_xor_b64 s[4:5], exec, -1
; %bb.3195:
	s_or_b64 exec, exec, s[8:9]
	s_and_b64 s[4:5], s[4:5], exec
	s_or_saveexec_b64 s[6:7], s[6:7]
	v_mov_b32_e32 v10, s10
	s_xor_b64 exec, exec, s[6:7]
	s_cbranch_execz .LBB58_1146
.LBB58_3196:
	v_mov_b32_e32 v10, 0
	v_cmp_ne_u16_sdwa s[8:9], v17, v10 src0_sel:BYTE_3 src1_sel:DWORD
	s_andn2_b64 s[4:5], s[4:5], exec
	s_and_b64 s[8:9], s[8:9], exec
	s_or_b64 s[4:5], s[4:5], s[8:9]
	s_or_b64 exec, exec, s[6:7]
	s_and_saveexec_b64 s[6:7], s[4:5]
	s_cbranch_execnz .LBB58_1147
	s_branch .LBB58_1148
.LBB58_3197:
	s_movk_i32 s4, 0x80
	v_cmp_eq_u16_sdwa s[12:13], v13, s4 src0_sel:BYTE_3 src1_sel:DWORD
	s_mov_b64 s[4:5], -1
                                        ; implicit-def: $sgpr10
	s_and_saveexec_b64 s[8:9], s[12:13]
; %bb.3198:
	s_mov_b32 s10, 0x7f800001
	s_xor_b64 s[4:5], exec, -1
; %bb.3199:
	s_or_b64 exec, exec, s[8:9]
	s_and_b64 s[4:5], s[4:5], exec
	s_or_saveexec_b64 s[6:7], s[6:7]
	v_mov_b32_e32 v11, s10
	s_xor_b64 exec, exec, s[6:7]
	s_cbranch_execz .LBB58_1150
.LBB58_3200:
	v_mov_b32_e32 v11, 0
	v_cmp_ne_u16_sdwa s[8:9], v13, v11 src0_sel:BYTE_3 src1_sel:DWORD
	s_andn2_b64 s[4:5], s[4:5], exec
	s_and_b64 s[8:9], s[8:9], exec
	s_or_b64 s[4:5], s[4:5], s[8:9]
	s_or_b64 exec, exec, s[6:7]
	s_and_saveexec_b64 s[6:7], s[4:5]
	s_cbranch_execnz .LBB58_1151
	s_branch .LBB58_1152
.LBB58_3201:
	s_movk_i32 s4, 0x80
	v_cmp_eq_u16_sdwa s[12:13], v6, s4 src0_sel:BYTE_0 src1_sel:DWORD
	s_mov_b64 s[4:5], -1
                                        ; implicit-def: $sgpr10
	s_and_saveexec_b64 s[8:9], s[12:13]
; %bb.3202:
	s_mov_b32 s10, 0x7f800001
	s_xor_b64 s[4:5], exec, -1
; %bb.3203:
	s_or_b64 exec, exec, s[8:9]
	s_and_b64 s[4:5], s[4:5], exec
	s_or_saveexec_b64 s[6:7], s[6:7]
	v_mov_b32_e32 v10, s10
	s_xor_b64 exec, exec, s[6:7]
	s_cbranch_execz .LBB58_1154
.LBB58_3204:
	v_mov_b32_e32 v10, 0
	v_cmp_ne_u16_sdwa s[8:9], v6, v10 src0_sel:BYTE_0 src1_sel:DWORD
	s_andn2_b64 s[4:5], s[4:5], exec
	s_and_b64 s[8:9], s[8:9], exec
	s_or_b64 s[4:5], s[4:5], s[8:9]
	s_or_b64 exec, exec, s[6:7]
	s_and_saveexec_b64 s[6:7], s[4:5]
	s_cbranch_execnz .LBB58_1155
	s_branch .LBB58_1156
.LBB58_3205:
	s_movk_i32 s4, 0x80
	v_cmp_eq_u16_sdwa s[12:13], v2, s4 src0_sel:BYTE_0 src1_sel:DWORD
	s_mov_b64 s[4:5], -1
                                        ; implicit-def: $sgpr10
	s_and_saveexec_b64 s[8:9], s[12:13]
; %bb.3206:
	s_mov_b32 s10, 0x7f800001
	s_xor_b64 s[4:5], exec, -1
; %bb.3207:
	s_or_b64 exec, exec, s[8:9]
	s_and_b64 s[4:5], s[4:5], exec
	s_or_saveexec_b64 s[6:7], s[6:7]
	v_mov_b32_e32 v11, s10
	s_xor_b64 exec, exec, s[6:7]
	s_cbranch_execz .LBB58_1158
.LBB58_3208:
	v_mov_b32_e32 v11, 0
	v_cmp_ne_u16_sdwa s[8:9], v2, v11 src0_sel:BYTE_0 src1_sel:DWORD
	s_andn2_b64 s[4:5], s[4:5], exec
	s_and_b64 s[8:9], s[8:9], exec
	s_or_b64 s[4:5], s[4:5], s[8:9]
	s_or_b64 exec, exec, s[6:7]
	s_and_saveexec_b64 s[6:7], s[4:5]
	s_cbranch_execnz .LBB58_1159
	s_branch .LBB58_1160
.LBB58_3209:
	s_movk_i32 s4, 0x80
	v_cmp_eq_u16_sdwa s[12:13], v11, s4 src0_sel:BYTE_0 src1_sel:DWORD
	s_mov_b64 s[4:5], -1
                                        ; implicit-def: $sgpr10
	s_and_saveexec_b64 s[8:9], s[12:13]
; %bb.3210:
	s_mov_b32 s10, 0x7f800001
	s_xor_b64 s[4:5], exec, -1
; %bb.3211:
	s_or_b64 exec, exec, s[8:9]
	s_and_b64 s[4:5], s[4:5], exec
	s_or_saveexec_b64 s[6:7], s[6:7]
	v_mov_b32_e32 v10, s10
	s_xor_b64 exec, exec, s[6:7]
	s_cbranch_execz .LBB58_1162
.LBB58_3212:
	v_mov_b32_e32 v10, 0
	v_cmp_ne_u16_sdwa s[8:9], v11, v10 src0_sel:BYTE_0 src1_sel:DWORD
	s_andn2_b64 s[4:5], s[4:5], exec
	s_and_b64 s[8:9], s[8:9], exec
	s_or_b64 s[4:5], s[4:5], s[8:9]
	s_or_b64 exec, exec, s[6:7]
	s_and_saveexec_b64 s[6:7], s[4:5]
	s_cbranch_execnz .LBB58_1163
	s_branch .LBB58_1164
.LBB58_3213:
	s_movk_i32 s4, 0x80
	v_cmp_eq_u16_sdwa s[12:13], v11, s4 src0_sel:BYTE_0 src1_sel:DWORD
	s_mov_b64 s[4:5], -1
                                        ; implicit-def: $sgpr10
	s_and_saveexec_b64 s[8:9], s[12:13]
; %bb.3214:
	s_mov_b32 s10, 0x7f800001
	s_xor_b64 s[4:5], exec, -1
; %bb.3215:
	s_or_b64 exec, exec, s[8:9]
	s_and_b64 s[4:5], s[4:5], exec
	s_or_saveexec_b64 s[6:7], s[6:7]
	v_mov_b32_e32 v12, s10
	s_xor_b64 exec, exec, s[6:7]
	s_cbranch_execz .LBB58_1166
.LBB58_3216:
	v_mov_b32_e32 v12, 0
	v_cmp_ne_u16_sdwa s[8:9], v11, v12 src0_sel:BYTE_0 src1_sel:DWORD
	s_andn2_b64 s[4:5], s[4:5], exec
	s_and_b64 s[8:9], s[8:9], exec
	s_or_b64 s[4:5], s[4:5], s[8:9]
	s_or_b64 exec, exec, s[6:7]
	s_and_saveexec_b64 s[6:7], s[4:5]
	s_cbranch_execnz .LBB58_1167
	s_branch .LBB58_1168
.LBB58_3217:
	s_movk_i32 s4, 0x80
	v_cmp_eq_u16_e32 vcc, s4, v11
	s_mov_b64 s[4:5], -1
                                        ; implicit-def: $sgpr10
	s_and_saveexec_b64 s[8:9], vcc
; %bb.3218:
	s_mov_b32 s10, 0x7f800001
	s_xor_b64 s[4:5], exec, -1
; %bb.3219:
	s_or_b64 exec, exec, s[8:9]
	s_and_b64 s[4:5], s[4:5], exec
                                        ; implicit-def: $vgpr11
	s_or_saveexec_b64 s[6:7], s[6:7]
	v_mov_b32_e32 v10, s10
	s_xor_b64 exec, exec, s[6:7]
	s_cbranch_execz .LBB58_1170
.LBB58_3220:
	v_cmp_ne_u16_e32 vcc, 0, v11
	s_andn2_b64 s[4:5], s[4:5], exec
	s_and_b64 s[8:9], vcc, exec
	v_mov_b32_e32 v10, 0
	s_or_b64 s[4:5], s[4:5], s[8:9]
	s_or_b64 exec, exec, s[6:7]
	s_and_saveexec_b64 s[6:7], s[4:5]
	s_cbranch_execnz .LBB58_1171
	s_branch .LBB58_1172
.LBB58_3221:
	s_movk_i32 s4, 0x80
	v_cmp_eq_u16_e32 vcc, s4, v11
	s_mov_b64 s[4:5], -1
                                        ; implicit-def: $sgpr10
	s_and_saveexec_b64 s[8:9], vcc
; %bb.3222:
	s_mov_b32 s10, 0x7f800001
	s_xor_b64 s[4:5], exec, -1
; %bb.3223:
	s_or_b64 exec, exec, s[8:9]
	s_and_b64 s[4:5], s[4:5], exec
                                        ; implicit-def: $vgpr11
	s_or_saveexec_b64 s[6:7], s[6:7]
	v_mov_b32_e32 v12, s10
	s_xor_b64 exec, exec, s[6:7]
	s_cbranch_execz .LBB58_1174
.LBB58_3224:
	v_cmp_ne_u16_e32 vcc, 0, v11
	s_andn2_b64 s[4:5], s[4:5], exec
	s_and_b64 s[8:9], vcc, exec
	v_mov_b32_e32 v12, 0
	s_or_b64 s[4:5], s[4:5], s[8:9]
	s_or_b64 exec, exec, s[6:7]
	s_and_saveexec_b64 s[6:7], s[4:5]
	s_cbranch_execnz .LBB58_1175
	s_branch .LBB58_1176
.LBB58_3225:
	s_movk_i32 s4, 0x80
	v_cmp_eq_u16_sdwa s[12:13], v6, s4 src0_sel:BYTE_3 src1_sel:DWORD
	s_mov_b64 s[4:5], -1
                                        ; implicit-def: $sgpr10
	s_and_saveexec_b64 s[8:9], s[12:13]
; %bb.3226:
	s_mov_b32 s10, 0x7f800001
	s_xor_b64 s[4:5], exec, -1
; %bb.3227:
	s_or_b64 exec, exec, s[8:9]
	s_and_b64 s[4:5], s[4:5], exec
	s_or_saveexec_b64 s[6:7], s[6:7]
	v_mov_b32_e32 v10, s10
	s_xor_b64 exec, exec, s[6:7]
	s_cbranch_execz .LBB58_1178
.LBB58_3228:
	v_mov_b32_e32 v10, 0
	v_cmp_ne_u16_sdwa s[8:9], v6, v10 src0_sel:BYTE_3 src1_sel:DWORD
	s_andn2_b64 s[4:5], s[4:5], exec
	s_and_b64 s[8:9], s[8:9], exec
	s_or_b64 s[4:5], s[4:5], s[8:9]
	s_or_b64 exec, exec, s[6:7]
	s_and_saveexec_b64 s[6:7], s[4:5]
	s_cbranch_execnz .LBB58_1179
	s_branch .LBB58_1180
.LBB58_3229:
	s_movk_i32 s4, 0x80
	v_cmp_eq_u16_sdwa s[12:13], v2, s4 src0_sel:BYTE_3 src1_sel:DWORD
	s_mov_b64 s[4:5], -1
                                        ; implicit-def: $sgpr10
	s_and_saveexec_b64 s[8:9], s[12:13]
; %bb.3230:
	s_mov_b32 s10, 0x7f800001
	s_xor_b64 s[4:5], exec, -1
; %bb.3231:
	s_or_b64 exec, exec, s[8:9]
	s_and_b64 s[4:5], s[4:5], exec
	s_or_saveexec_b64 s[6:7], s[6:7]
	v_mov_b32_e32 v6, s10
	s_xor_b64 exec, exec, s[6:7]
	s_cbranch_execz .LBB58_1182
.LBB58_3232:
	v_mov_b32_e32 v6, 0
	v_cmp_ne_u16_sdwa s[8:9], v2, v6 src0_sel:BYTE_3 src1_sel:DWORD
	s_andn2_b64 s[4:5], s[4:5], exec
	s_and_b64 s[8:9], s[8:9], exec
	s_or_b64 s[4:5], s[4:5], s[8:9]
	s_or_b64 exec, exec, s[6:7]
	s_and_saveexec_b64 s[6:7], s[4:5]
	s_cbranch_execnz .LBB58_1183
	s_branch .LBB58_1184
.LBB58_3233:
	s_movk_i32 s4, 0x80
	v_cmp_eq_u16_sdwa s[12:13], v7, s4 src0_sel:BYTE_0 src1_sel:DWORD
	s_mov_b64 s[4:5], -1
                                        ; implicit-def: $sgpr10
	s_and_saveexec_b64 s[8:9], s[12:13]
; %bb.3234:
	s_mov_b32 s10, 0x7f800001
	s_xor_b64 s[4:5], exec, -1
; %bb.3235:
	s_or_b64 exec, exec, s[8:9]
	s_and_b64 s[4:5], s[4:5], exec
	s_or_saveexec_b64 s[6:7], s[6:7]
	v_mov_b32_e32 v2, s10
	s_xor_b64 exec, exec, s[6:7]
	s_cbranch_execz .LBB58_1186
.LBB58_3236:
	v_mov_b32_e32 v2, 0
	v_cmp_ne_u16_sdwa s[8:9], v7, v2 src0_sel:BYTE_0 src1_sel:DWORD
	s_andn2_b64 s[4:5], s[4:5], exec
	s_and_b64 s[8:9], s[8:9], exec
	s_or_b64 s[4:5], s[4:5], s[8:9]
	s_or_b64 exec, exec, s[6:7]
	s_and_saveexec_b64 s[6:7], s[4:5]
	s_cbranch_execnz .LBB58_1187
	s_branch .LBB58_1188
.LBB58_3237:
	s_movk_i32 s4, 0x80
	v_cmp_eq_u16_sdwa s[12:13], v3, s4 src0_sel:BYTE_0 src1_sel:DWORD
	s_mov_b64 s[4:5], -1
                                        ; implicit-def: $sgpr10
	s_and_saveexec_b64 s[8:9], s[12:13]
; %bb.3238:
	s_mov_b32 s10, 0x7f800001
	s_xor_b64 s[4:5], exec, -1
; %bb.3239:
	s_or_b64 exec, exec, s[8:9]
	s_and_b64 s[4:5], s[4:5], exec
	s_or_saveexec_b64 s[6:7], s[6:7]
	v_mov_b32_e32 v6, s10
	s_xor_b64 exec, exec, s[6:7]
	s_cbranch_execz .LBB58_1190
.LBB58_3240:
	v_mov_b32_e32 v6, 0
	v_cmp_ne_u16_sdwa s[8:9], v3, v6 src0_sel:BYTE_0 src1_sel:DWORD
	s_andn2_b64 s[4:5], s[4:5], exec
	s_and_b64 s[8:9], s[8:9], exec
	s_or_b64 s[4:5], s[4:5], s[8:9]
	s_or_b64 exec, exec, s[6:7]
	s_and_saveexec_b64 s[6:7], s[4:5]
	s_cbranch_execnz .LBB58_1191
	s_branch .LBB58_1192
.LBB58_3241:
	s_movk_i32 s4, 0x80
	v_cmp_eq_u16_sdwa s[12:13], v6, s4 src0_sel:BYTE_0 src1_sel:DWORD
	s_mov_b64 s[4:5], -1
                                        ; implicit-def: $sgpr10
	s_and_saveexec_b64 s[8:9], s[12:13]
; %bb.3242:
	s_mov_b32 s10, 0x7f800001
	s_xor_b64 s[4:5], exec, -1
; %bb.3243:
	s_or_b64 exec, exec, s[8:9]
	s_and_b64 s[4:5], s[4:5], exec
	s_or_saveexec_b64 s[6:7], s[6:7]
	v_mov_b32_e32 v2, s10
	s_xor_b64 exec, exec, s[6:7]
	s_cbranch_execz .LBB58_1194
.LBB58_3244:
	v_mov_b32_e32 v2, 0
	v_cmp_ne_u16_sdwa s[8:9], v6, v2 src0_sel:BYTE_0 src1_sel:DWORD
	s_andn2_b64 s[4:5], s[4:5], exec
	s_and_b64 s[8:9], s[8:9], exec
	s_or_b64 s[4:5], s[4:5], s[8:9]
	s_or_b64 exec, exec, s[6:7]
	s_and_saveexec_b64 s[6:7], s[4:5]
	s_cbranch_execnz .LBB58_1195
	s_branch .LBB58_1196
.LBB58_3245:
	s_movk_i32 s4, 0x80
	v_cmp_eq_u16_sdwa s[12:13], v6, s4 src0_sel:BYTE_0 src1_sel:DWORD
	s_mov_b64 s[4:5], -1
                                        ; implicit-def: $sgpr10
	s_and_saveexec_b64 s[8:9], s[12:13]
; %bb.3246:
	s_mov_b32 s10, 0x7f800001
	s_xor_b64 s[4:5], exec, -1
; %bb.3247:
	s_or_b64 exec, exec, s[8:9]
	s_and_b64 s[4:5], s[4:5], exec
	s_or_saveexec_b64 s[6:7], s[6:7]
	v_mov_b32_e32 v10, s10
	s_xor_b64 exec, exec, s[6:7]
	s_cbranch_execz .LBB58_1198
.LBB58_3248:
	v_mov_b32_e32 v10, 0
	v_cmp_ne_u16_sdwa s[8:9], v6, v10 src0_sel:BYTE_0 src1_sel:DWORD
	s_andn2_b64 s[4:5], s[4:5], exec
	s_and_b64 s[8:9], s[8:9], exec
	s_or_b64 s[4:5], s[4:5], s[8:9]
	s_or_b64 exec, exec, s[6:7]
	s_and_saveexec_b64 s[6:7], s[4:5]
	s_cbranch_execnz .LBB58_1199
	s_branch .LBB58_1200
.LBB58_3249:
	s_movk_i32 s4, 0x80
	v_cmp_eq_u16_e32 vcc, s4, v6
	s_mov_b64 s[4:5], -1
                                        ; implicit-def: $sgpr10
	s_and_saveexec_b64 s[8:9], vcc
; %bb.3250:
	s_mov_b32 s10, 0x7f800001
	s_xor_b64 s[4:5], exec, -1
; %bb.3251:
	s_or_b64 exec, exec, s[8:9]
	s_and_b64 s[4:5], s[4:5], exec
                                        ; implicit-def: $vgpr6
	s_or_saveexec_b64 s[6:7], s[6:7]
	v_mov_b32_e32 v2, s10
	s_xor_b64 exec, exec, s[6:7]
	s_cbranch_execz .LBB58_1202
.LBB58_3252:
	v_cmp_ne_u16_e32 vcc, 0, v6
	s_andn2_b64 s[4:5], s[4:5], exec
	s_and_b64 s[8:9], vcc, exec
	v_mov_b32_e32 v2, 0
	s_or_b64 s[4:5], s[4:5], s[8:9]
	s_or_b64 exec, exec, s[6:7]
	s_and_saveexec_b64 s[6:7], s[4:5]
	s_cbranch_execnz .LBB58_1203
	s_branch .LBB58_1204
.LBB58_3253:
	s_movk_i32 s4, 0x80
	v_cmp_eq_u16_e32 vcc, s4, v6
	s_mov_b64 s[4:5], -1
                                        ; implicit-def: $sgpr10
	s_and_saveexec_b64 s[8:9], vcc
; %bb.3254:
	s_mov_b32 s10, 0x7f800001
	s_xor_b64 s[4:5], exec, -1
; %bb.3255:
	s_or_b64 exec, exec, s[8:9]
	s_and_b64 s[4:5], s[4:5], exec
                                        ; implicit-def: $vgpr6
	s_or_saveexec_b64 s[6:7], s[6:7]
	v_mov_b32_e32 v10, s10
	s_xor_b64 exec, exec, s[6:7]
	s_cbranch_execz .LBB58_1206
.LBB58_3256:
	v_cmp_ne_u16_e32 vcc, 0, v6
	s_andn2_b64 s[4:5], s[4:5], exec
	s_and_b64 s[8:9], vcc, exec
	v_mov_b32_e32 v10, 0
	s_or_b64 s[4:5], s[4:5], s[8:9]
	s_or_b64 exec, exec, s[6:7]
	s_and_saveexec_b64 s[6:7], s[4:5]
	s_cbranch_execnz .LBB58_1207
	s_branch .LBB58_1208
.LBB58_3257:
	s_movk_i32 s4, 0x80
	v_cmp_eq_u16_sdwa s[12:13], v7, s4 src0_sel:BYTE_3 src1_sel:DWORD
	s_mov_b64 s[4:5], -1
                                        ; implicit-def: $sgpr10
	s_and_saveexec_b64 s[8:9], s[12:13]
; %bb.3258:
	s_mov_b32 s10, 0x7f800001
	s_xor_b64 s[4:5], exec, -1
; %bb.3259:
	s_or_b64 exec, exec, s[8:9]
	s_and_b64 s[4:5], s[4:5], exec
	s_or_saveexec_b64 s[6:7], s[6:7]
	v_mov_b32_e32 v2, s10
	s_xor_b64 exec, exec, s[6:7]
	s_cbranch_execz .LBB58_1210
.LBB58_3260:
	v_mov_b32_e32 v2, 0
	v_cmp_ne_u16_sdwa s[8:9], v7, v2 src0_sel:BYTE_3 src1_sel:DWORD
	s_andn2_b64 s[4:5], s[4:5], exec
	s_and_b64 s[8:9], s[8:9], exec
	s_or_b64 s[4:5], s[4:5], s[8:9]
	s_or_b64 exec, exec, s[6:7]
	s_and_saveexec_b64 s[6:7], s[4:5]
	s_cbranch_execnz .LBB58_1211
	s_branch .LBB58_1212
.LBB58_3261:
	s_movk_i32 s4, 0x80
	v_cmp_eq_u16_sdwa s[12:13], v3, s4 src0_sel:BYTE_3 src1_sel:DWORD
	s_mov_b64 s[4:5], -1
                                        ; implicit-def: $sgpr10
	s_and_saveexec_b64 s[8:9], s[12:13]
; %bb.3262:
	s_mov_b32 s10, 0x7f800001
	s_xor_b64 s[4:5], exec, -1
; %bb.3263:
	s_or_b64 exec, exec, s[8:9]
	s_and_b64 s[4:5], s[4:5], exec
	s_or_saveexec_b64 s[6:7], s[6:7]
	v_mov_b32_e32 v6, s10
	s_xor_b64 exec, exec, s[6:7]
	s_cbranch_execz .LBB58_1214
.LBB58_3264:
	v_mov_b32_e32 v6, 0
	v_cmp_ne_u16_sdwa s[8:9], v3, v6 src0_sel:BYTE_3 src1_sel:DWORD
	s_andn2_b64 s[4:5], s[4:5], exec
	s_and_b64 s[8:9], s[8:9], exec
	s_or_b64 s[4:5], s[4:5], s[8:9]
	s_or_b64 exec, exec, s[6:7]
	s_and_saveexec_b64 s[6:7], s[4:5]
	s_cbranch_execnz .LBB58_1215
	s_branch .LBB58_1216
.LBB58_3265:
	s_movk_i32 s4, 0x80
	v_cmp_eq_u16_sdwa s[12:13], v8, s4 src0_sel:BYTE_0 src1_sel:DWORD
	s_mov_b64 s[4:5], -1
                                        ; implicit-def: $sgpr10
	s_and_saveexec_b64 s[8:9], s[12:13]
; %bb.3266:
	s_mov_b32 s10, 0x7f800001
	s_xor_b64 s[4:5], exec, -1
; %bb.3267:
	s_or_b64 exec, exec, s[8:9]
	s_and_b64 s[4:5], s[4:5], exec
	s_or_saveexec_b64 s[6:7], s[6:7]
	v_mov_b32_e32 v2, s10
	s_xor_b64 exec, exec, s[6:7]
	s_cbranch_execz .LBB58_1218
.LBB58_3268:
	v_mov_b32_e32 v2, 0
	v_cmp_ne_u16_sdwa s[8:9], v8, v2 src0_sel:BYTE_0 src1_sel:DWORD
	s_andn2_b64 s[4:5], s[4:5], exec
	s_and_b64 s[8:9], s[8:9], exec
	s_or_b64 s[4:5], s[4:5], s[8:9]
	s_or_b64 exec, exec, s[6:7]
	s_and_saveexec_b64 s[6:7], s[4:5]
	s_cbranch_execnz .LBB58_1219
	s_branch .LBB58_1220
.LBB58_3269:
	s_movk_i32 s4, 0x80
	v_cmp_eq_u16_sdwa s[12:13], v4, s4 src0_sel:BYTE_0 src1_sel:DWORD
	s_mov_b64 s[4:5], -1
                                        ; implicit-def: $sgpr10
	s_and_saveexec_b64 s[8:9], s[12:13]
; %bb.3270:
	s_mov_b32 s10, 0x7f800001
	s_xor_b64 s[4:5], exec, -1
; %bb.3271:
	s_or_b64 exec, exec, s[8:9]
	s_and_b64 s[4:5], s[4:5], exec
	s_or_saveexec_b64 s[6:7], s[6:7]
	v_mov_b32_e32 v3, s10
	s_xor_b64 exec, exec, s[6:7]
	s_cbranch_execz .LBB58_1222
.LBB58_3272:
	v_mov_b32_e32 v3, 0
	v_cmp_ne_u16_sdwa s[8:9], v4, v3 src0_sel:BYTE_0 src1_sel:DWORD
	s_andn2_b64 s[4:5], s[4:5], exec
	s_and_b64 s[8:9], s[8:9], exec
	s_or_b64 s[4:5], s[4:5], s[8:9]
	s_or_b64 exec, exec, s[6:7]
	s_and_saveexec_b64 s[6:7], s[4:5]
	s_cbranch_execnz .LBB58_1223
	s_branch .LBB58_1224
.LBB58_3273:
	s_movk_i32 s4, 0x80
	v_cmp_eq_u16_sdwa s[12:13], v3, s4 src0_sel:BYTE_0 src1_sel:DWORD
	s_mov_b64 s[4:5], -1
                                        ; implicit-def: $sgpr10
	s_and_saveexec_b64 s[8:9], s[12:13]
; %bb.3274:
	s_mov_b32 s10, 0x7f800001
	s_xor_b64 s[4:5], exec, -1
; %bb.3275:
	s_or_b64 exec, exec, s[8:9]
	s_and_b64 s[4:5], s[4:5], exec
	s_or_saveexec_b64 s[6:7], s[6:7]
	v_mov_b32_e32 v2, s10
	s_xor_b64 exec, exec, s[6:7]
	s_cbranch_execz .LBB58_1226
.LBB58_3276:
	v_mov_b32_e32 v2, 0
	v_cmp_ne_u16_sdwa s[8:9], v3, v2 src0_sel:BYTE_0 src1_sel:DWORD
	s_andn2_b64 s[4:5], s[4:5], exec
	s_and_b64 s[8:9], s[8:9], exec
	s_or_b64 s[4:5], s[4:5], s[8:9]
	s_or_b64 exec, exec, s[6:7]
	s_and_saveexec_b64 s[6:7], s[4:5]
	s_cbranch_execnz .LBB58_1227
	s_branch .LBB58_1228
.LBB58_3277:
	s_movk_i32 s4, 0x80
	v_cmp_eq_u16_sdwa s[12:13], v3, s4 src0_sel:BYTE_0 src1_sel:DWORD
	s_mov_b64 s[4:5], -1
                                        ; implicit-def: $sgpr10
	s_and_saveexec_b64 s[8:9], s[12:13]
; %bb.3278:
	s_mov_b32 s10, 0x7f800001
	s_xor_b64 s[4:5], exec, -1
; %bb.3279:
	s_or_b64 exec, exec, s[8:9]
	s_and_b64 s[4:5], s[4:5], exec
	s_or_saveexec_b64 s[6:7], s[6:7]
	v_mov_b32_e32 v6, s10
	s_xor_b64 exec, exec, s[6:7]
	s_cbranch_execz .LBB58_1230
.LBB58_3280:
	v_mov_b32_e32 v6, 0
	v_cmp_ne_u16_sdwa s[8:9], v3, v6 src0_sel:BYTE_0 src1_sel:DWORD
	s_andn2_b64 s[4:5], s[4:5], exec
	s_and_b64 s[8:9], s[8:9], exec
	s_or_b64 s[4:5], s[4:5], s[8:9]
	s_or_b64 exec, exec, s[6:7]
	s_and_saveexec_b64 s[6:7], s[4:5]
	s_cbranch_execnz .LBB58_1231
	s_branch .LBB58_1232
.LBB58_3281:
	s_movk_i32 s4, 0x80
	v_cmp_eq_u16_e32 vcc, s4, v3
	s_mov_b64 s[4:5], -1
                                        ; implicit-def: $sgpr10
	s_and_saveexec_b64 s[8:9], vcc
; %bb.3282:
	s_mov_b32 s10, 0x7f800001
	s_xor_b64 s[4:5], exec, -1
; %bb.3283:
	s_or_b64 exec, exec, s[8:9]
	s_and_b64 s[4:5], s[4:5], exec
                                        ; implicit-def: $vgpr3
	s_or_saveexec_b64 s[6:7], s[6:7]
	v_mov_b32_e32 v2, s10
	s_xor_b64 exec, exec, s[6:7]
	s_cbranch_execz .LBB58_1234
.LBB58_3284:
	v_cmp_ne_u16_e32 vcc, 0, v3
	s_andn2_b64 s[4:5], s[4:5], exec
	s_and_b64 s[8:9], vcc, exec
	v_mov_b32_e32 v2, 0
	s_or_b64 s[4:5], s[4:5], s[8:9]
	s_or_b64 exec, exec, s[6:7]
	s_and_saveexec_b64 s[6:7], s[4:5]
	s_cbranch_execnz .LBB58_1235
	s_branch .LBB58_1236
.LBB58_3285:
	s_movk_i32 s4, 0x80
	v_cmp_eq_u16_e32 vcc, s4, v3
	s_mov_b64 s[4:5], -1
                                        ; implicit-def: $sgpr10
	s_and_saveexec_b64 s[8:9], vcc
; %bb.3286:
	s_mov_b32 s10, 0x7f800001
	s_xor_b64 s[4:5], exec, -1
; %bb.3287:
	s_or_b64 exec, exec, s[8:9]
	s_and_b64 s[4:5], s[4:5], exec
                                        ; implicit-def: $vgpr3
	s_or_saveexec_b64 s[6:7], s[6:7]
	v_mov_b32_e32 v6, s10
	s_xor_b64 exec, exec, s[6:7]
	s_cbranch_execz .LBB58_1238
.LBB58_3288:
	v_cmp_ne_u16_e32 vcc, 0, v3
	s_andn2_b64 s[4:5], s[4:5], exec
	s_and_b64 s[8:9], vcc, exec
	v_mov_b32_e32 v6, 0
	s_or_b64 s[4:5], s[4:5], s[8:9]
	s_or_b64 exec, exec, s[6:7]
	s_and_saveexec_b64 s[6:7], s[4:5]
	s_cbranch_execnz .LBB58_1239
	s_branch .LBB58_1240
.LBB58_3289:
	s_movk_i32 s4, 0x80
	v_cmp_eq_u16_sdwa s[12:13], v8, s4 src0_sel:BYTE_3 src1_sel:DWORD
	s_mov_b64 s[4:5], -1
                                        ; implicit-def: $sgpr10
	s_and_saveexec_b64 s[8:9], s[12:13]
; %bb.3290:
	s_mov_b32 s10, 0x7f800001
	s_xor_b64 s[4:5], exec, -1
; %bb.3291:
	s_or_b64 exec, exec, s[8:9]
	s_and_b64 s[4:5], s[4:5], exec
	s_or_saveexec_b64 s[6:7], s[6:7]
	v_mov_b32_e32 v2, s10
	s_xor_b64 exec, exec, s[6:7]
	s_cbranch_execz .LBB58_1242
.LBB58_3292:
	v_mov_b32_e32 v2, 0
	v_cmp_ne_u16_sdwa s[8:9], v8, v2 src0_sel:BYTE_3 src1_sel:DWORD
	s_andn2_b64 s[4:5], s[4:5], exec
	s_and_b64 s[8:9], s[8:9], exec
	s_or_b64 s[4:5], s[4:5], s[8:9]
	s_or_b64 exec, exec, s[6:7]
	s_and_saveexec_b64 s[6:7], s[4:5]
	s_cbranch_execnz .LBB58_1243
	s_branch .LBB58_1244
.LBB58_3293:
	s_movk_i32 s4, 0x80
	v_cmp_eq_u16_sdwa s[12:13], v4, s4 src0_sel:BYTE_3 src1_sel:DWORD
	s_mov_b64 s[4:5], -1
                                        ; implicit-def: $sgpr10
	s_and_saveexec_b64 s[8:9], s[12:13]
; %bb.3294:
	s_mov_b32 s10, 0x7f800001
	s_xor_b64 s[4:5], exec, -1
; %bb.3295:
	s_or_b64 exec, exec, s[8:9]
	s_and_b64 s[4:5], s[4:5], exec
	s_or_saveexec_b64 s[6:7], s[6:7]
	v_mov_b32_e32 v3, s10
	s_xor_b64 exec, exec, s[6:7]
	s_cbranch_execz .LBB58_1246
.LBB58_3296:
	v_mov_b32_e32 v3, 0
	v_cmp_ne_u16_sdwa s[8:9], v4, v3 src0_sel:BYTE_3 src1_sel:DWORD
	s_andn2_b64 s[4:5], s[4:5], exec
	s_and_b64 s[8:9], s[8:9], exec
	s_or_b64 s[4:5], s[4:5], s[8:9]
	s_or_b64 exec, exec, s[6:7]
	s_and_saveexec_b64 s[6:7], s[4:5]
	s_cbranch_execnz .LBB58_1247
	s_branch .LBB58_1248
.LBB58_3297:
	s_movk_i32 s4, 0x80
	v_cmp_eq_u16_sdwa s[12:13], v9, s4 src0_sel:BYTE_0 src1_sel:DWORD
	s_mov_b64 s[4:5], -1
                                        ; implicit-def: $sgpr10
	s_and_saveexec_b64 s[8:9], s[12:13]
; %bb.3298:
	s_mov_b32 s10, 0x7f800001
	s_xor_b64 s[4:5], exec, -1
; %bb.3299:
	s_or_b64 exec, exec, s[8:9]
	s_and_b64 s[4:5], s[4:5], exec
	s_or_saveexec_b64 s[6:7], s[6:7]
	v_mov_b32_e32 v2, s10
	s_xor_b64 exec, exec, s[6:7]
	s_cbranch_execz .LBB58_1250
.LBB58_3300:
	v_mov_b32_e32 v2, 0
	v_cmp_ne_u16_sdwa s[8:9], v9, v2 src0_sel:BYTE_0 src1_sel:DWORD
	s_andn2_b64 s[4:5], s[4:5], exec
	s_and_b64 s[8:9], s[8:9], exec
	s_or_b64 s[4:5], s[4:5], s[8:9]
	s_or_b64 exec, exec, s[6:7]
	s_and_saveexec_b64 s[6:7], s[4:5]
	s_cbranch_execnz .LBB58_1251
	s_branch .LBB58_1252
.LBB58_3301:
	s_movk_i32 s4, 0x80
	v_cmp_eq_u16_sdwa s[12:13], v5, s4 src0_sel:BYTE_0 src1_sel:DWORD
	s_mov_b64 s[4:5], -1
                                        ; implicit-def: $sgpr10
	s_and_saveexec_b64 s[8:9], s[12:13]
; %bb.3302:
	s_mov_b32 s10, 0x7f800001
	s_xor_b64 s[4:5], exec, -1
; %bb.3303:
	s_or_b64 exec, exec, s[8:9]
	s_and_b64 s[4:5], s[4:5], exec
	s_or_saveexec_b64 s[6:7], s[6:7]
	v_mov_b32_e32 v3, s10
	s_xor_b64 exec, exec, s[6:7]
	s_cbranch_execz .LBB58_1254
.LBB58_3304:
	v_mov_b32_e32 v3, 0
	v_cmp_ne_u16_sdwa s[8:9], v5, v3 src0_sel:BYTE_0 src1_sel:DWORD
	s_andn2_b64 s[4:5], s[4:5], exec
	s_and_b64 s[8:9], s[8:9], exec
	s_or_b64 s[4:5], s[4:5], s[8:9]
	s_or_b64 exec, exec, s[6:7]
	s_and_saveexec_b64 s[6:7], s[4:5]
	s_cbranch_execnz .LBB58_1255
	s_branch .LBB58_1256
.LBB58_3305:
	s_movk_i32 s4, 0x80
	v_cmp_eq_u16_sdwa s[12:13], v3, s4 src0_sel:BYTE_0 src1_sel:DWORD
	s_mov_b64 s[4:5], -1
                                        ; implicit-def: $sgpr10
	s_and_saveexec_b64 s[8:9], s[12:13]
; %bb.3306:
	s_mov_b32 s10, 0x7f800001
	s_xor_b64 s[4:5], exec, -1
; %bb.3307:
	s_or_b64 exec, exec, s[8:9]
	s_and_b64 s[4:5], s[4:5], exec
	s_or_saveexec_b64 s[6:7], s[6:7]
	v_mov_b32_e32 v2, s10
	s_xor_b64 exec, exec, s[6:7]
	s_cbranch_execz .LBB58_1258
.LBB58_3308:
	v_mov_b32_e32 v2, 0
	v_cmp_ne_u16_sdwa s[8:9], v3, v2 src0_sel:BYTE_0 src1_sel:DWORD
	s_andn2_b64 s[4:5], s[4:5], exec
	s_and_b64 s[8:9], s[8:9], exec
	s_or_b64 s[4:5], s[4:5], s[8:9]
	s_or_b64 exec, exec, s[6:7]
	s_and_saveexec_b64 s[6:7], s[4:5]
	s_cbranch_execnz .LBB58_1259
	s_branch .LBB58_1260
.LBB58_3309:
	s_movk_i32 s4, 0x80
	v_cmp_eq_u16_sdwa s[12:13], v3, s4 src0_sel:BYTE_0 src1_sel:DWORD
	s_mov_b64 s[4:5], -1
                                        ; implicit-def: $sgpr10
	s_and_saveexec_b64 s[8:9], s[12:13]
; %bb.3310:
	s_mov_b32 s10, 0x7f800001
	s_xor_b64 s[4:5], exec, -1
; %bb.3311:
	s_or_b64 exec, exec, s[8:9]
	s_and_b64 s[4:5], s[4:5], exec
	s_or_saveexec_b64 s[6:7], s[6:7]
	v_mov_b32_e32 v4, s10
	s_xor_b64 exec, exec, s[6:7]
	s_cbranch_execz .LBB58_1262
.LBB58_3312:
	v_mov_b32_e32 v4, 0
	v_cmp_ne_u16_sdwa s[8:9], v3, v4 src0_sel:BYTE_0 src1_sel:DWORD
	s_andn2_b64 s[4:5], s[4:5], exec
	s_and_b64 s[8:9], s[8:9], exec
	s_or_b64 s[4:5], s[4:5], s[8:9]
	s_or_b64 exec, exec, s[6:7]
	s_and_saveexec_b64 s[6:7], s[4:5]
	s_cbranch_execnz .LBB58_1263
	s_branch .LBB58_1264
.LBB58_3313:
	s_movk_i32 s4, 0x80
	v_cmp_eq_u16_e32 vcc, s4, v3
	s_mov_b64 s[4:5], -1
                                        ; implicit-def: $sgpr10
	s_and_saveexec_b64 s[8:9], vcc
; %bb.3314:
	s_mov_b32 s10, 0x7f800001
	s_xor_b64 s[4:5], exec, -1
; %bb.3315:
	s_or_b64 exec, exec, s[8:9]
	s_and_b64 s[4:5], s[4:5], exec
                                        ; implicit-def: $vgpr3
	s_or_saveexec_b64 s[6:7], s[6:7]
	v_mov_b32_e32 v2, s10
	s_xor_b64 exec, exec, s[6:7]
	s_cbranch_execz .LBB58_1266
.LBB58_3316:
	v_cmp_ne_u16_e32 vcc, 0, v3
	s_andn2_b64 s[4:5], s[4:5], exec
	s_and_b64 s[8:9], vcc, exec
	v_mov_b32_e32 v2, 0
	s_or_b64 s[4:5], s[4:5], s[8:9]
	s_or_b64 exec, exec, s[6:7]
	s_and_saveexec_b64 s[6:7], s[4:5]
	s_cbranch_execnz .LBB58_1267
	s_branch .LBB58_1268
.LBB58_3317:
	s_movk_i32 s4, 0x80
	v_cmp_eq_u16_e32 vcc, s4, v3
	s_mov_b64 s[4:5], -1
                                        ; implicit-def: $sgpr10
	s_and_saveexec_b64 s[8:9], vcc
; %bb.3318:
	s_mov_b32 s10, 0x7f800001
	s_xor_b64 s[4:5], exec, -1
; %bb.3319:
	s_or_b64 exec, exec, s[8:9]
	s_and_b64 s[4:5], s[4:5], exec
                                        ; implicit-def: $vgpr3
	s_or_saveexec_b64 s[6:7], s[6:7]
	v_mov_b32_e32 v4, s10
	s_xor_b64 exec, exec, s[6:7]
	s_cbranch_execz .LBB58_1270
.LBB58_3320:
	v_cmp_ne_u16_e32 vcc, 0, v3
	s_andn2_b64 s[4:5], s[4:5], exec
	s_and_b64 s[8:9], vcc, exec
	v_mov_b32_e32 v4, 0
	s_or_b64 s[4:5], s[4:5], s[8:9]
	s_or_b64 exec, exec, s[6:7]
	s_and_saveexec_b64 s[6:7], s[4:5]
	s_cbranch_execnz .LBB58_1271
	s_branch .LBB58_1272
.LBB58_3321:
	s_movk_i32 s4, 0x80
	v_cmp_eq_u16_sdwa s[12:13], v9, s4 src0_sel:BYTE_3 src1_sel:DWORD
	s_mov_b64 s[4:5], -1
                                        ; implicit-def: $sgpr10
	s_and_saveexec_b64 s[8:9], s[12:13]
; %bb.3322:
	s_mov_b32 s10, 0x7f800001
	s_xor_b64 s[4:5], exec, -1
; %bb.3323:
	s_or_b64 exec, exec, s[8:9]
	s_and_b64 s[4:5], s[4:5], exec
	s_or_saveexec_b64 s[6:7], s[6:7]
	v_mov_b32_e32 v2, s10
	s_xor_b64 exec, exec, s[6:7]
	s_cbranch_execz .LBB58_1274
.LBB58_3324:
	v_mov_b32_e32 v2, 0
	v_cmp_ne_u16_sdwa s[8:9], v9, v2 src0_sel:BYTE_3 src1_sel:DWORD
	s_andn2_b64 s[4:5], s[4:5], exec
	s_and_b64 s[8:9], s[8:9], exec
	s_or_b64 s[4:5], s[4:5], s[8:9]
	s_or_b64 exec, exec, s[6:7]
	s_and_saveexec_b64 s[6:7], s[4:5]
	s_cbranch_execnz .LBB58_1275
	s_branch .LBB58_1276
.LBB58_3325:
	s_movk_i32 s4, 0x80
	v_cmp_eq_u16_sdwa s[12:13], v5, s4 src0_sel:BYTE_3 src1_sel:DWORD
	s_mov_b64 s[4:5], -1
                                        ; implicit-def: $sgpr10
	s_and_saveexec_b64 s[8:9], s[12:13]
; %bb.3326:
	s_mov_b32 s10, 0x7f800001
	s_xor_b64 s[4:5], exec, -1
; %bb.3327:
	s_or_b64 exec, exec, s[8:9]
	s_and_b64 s[4:5], s[4:5], exec
	s_or_saveexec_b64 s[6:7], s[6:7]
	v_mov_b32_e32 v3, s10
	s_xor_b64 exec, exec, s[6:7]
	s_cbranch_execz .LBB58_1278
.LBB58_3328:
	v_mov_b32_e32 v3, 0
	v_cmp_ne_u16_sdwa s[8:9], v5, v3 src0_sel:BYTE_3 src1_sel:DWORD
	s_andn2_b64 s[4:5], s[4:5], exec
	s_and_b64 s[8:9], s[8:9], exec
	s_or_b64 s[4:5], s[4:5], s[8:9]
	s_or_b64 exec, exec, s[6:7]
	s_and_saveexec_b64 s[6:7], s[4:5]
	s_cbranch_execnz .LBB58_1279
	s_branch .LBB58_1280
.LBB58_3329:
	s_movk_i32 s4, 0x80
	v_cmp_eq_u16_sdwa s[12:13], v14, s4 src0_sel:BYTE_0 src1_sel:DWORD
	s_mov_b64 s[4:5], -1
                                        ; implicit-def: $sgpr10
	s_and_saveexec_b64 s[8:9], s[12:13]
; %bb.3330:
	s_mov_b32 s10, 0x7f800001
	s_xor_b64 s[4:5], exec, -1
; %bb.3331:
	s_or_b64 exec, exec, s[8:9]
	s_and_b64 s[4:5], s[4:5], exec
	s_or_saveexec_b64 s[6:7], s[6:7]
	v_mov_b32_e32 v20, s10
	s_xor_b64 exec, exec, s[6:7]
	s_cbranch_execz .LBB58_1282
.LBB58_3332:
	v_mov_b32_e32 v20, 0
	v_cmp_ne_u16_sdwa s[8:9], v14, v20 src0_sel:BYTE_0 src1_sel:DWORD
	s_andn2_b64 s[4:5], s[4:5], exec
	s_and_b64 s[8:9], s[8:9], exec
	s_or_b64 s[4:5], s[4:5], s[8:9]
	s_or_b64 exec, exec, s[6:7]
	s_and_saveexec_b64 s[6:7], s[4:5]
	s_cbranch_execnz .LBB58_1283
	s_branch .LBB58_1284
.LBB58_3333:
	s_movk_i32 s4, 0x80
	v_cmp_eq_u16_sdwa s[12:13], v10, s4 src0_sel:BYTE_0 src1_sel:DWORD
	s_mov_b64 s[4:5], -1
                                        ; implicit-def: $sgpr10
	s_and_saveexec_b64 s[8:9], s[12:13]
; %bb.3334:
	s_mov_b32 s10, 0x7f800001
	s_xor_b64 s[4:5], exec, -1
; %bb.3335:
	s_or_b64 exec, exec, s[8:9]
	s_and_b64 s[4:5], s[4:5], exec
	s_or_saveexec_b64 s[6:7], s[6:7]
	v_mov_b32_e32 v21, s10
	s_xor_b64 exec, exec, s[6:7]
	s_cbranch_execz .LBB58_1286
.LBB58_3336:
	v_mov_b32_e32 v21, 0
	v_cmp_ne_u16_sdwa s[8:9], v10, v21 src0_sel:BYTE_0 src1_sel:DWORD
	s_andn2_b64 s[4:5], s[4:5], exec
	s_and_b64 s[8:9], s[8:9], exec
	s_or_b64 s[4:5], s[4:5], s[8:9]
	s_or_b64 exec, exec, s[6:7]
	s_and_saveexec_b64 s[6:7], s[4:5]
	s_cbranch_execnz .LBB58_1287
	s_branch .LBB58_1288
.LBB58_3337:
	s_movk_i32 s4, 0x80
	v_cmp_eq_u16_sdwa s[12:13], v21, s4 src0_sel:BYTE_0 src1_sel:DWORD
	s_mov_b64 s[4:5], -1
                                        ; implicit-def: $sgpr10
	s_and_saveexec_b64 s[8:9], s[12:13]
; %bb.3338:
	s_mov_b32 s10, 0x7f800001
	s_xor_b64 s[4:5], exec, -1
; %bb.3339:
	s_or_b64 exec, exec, s[8:9]
	s_and_b64 s[4:5], s[4:5], exec
	s_or_saveexec_b64 s[6:7], s[6:7]
	v_mov_b32_e32 v20, s10
	s_xor_b64 exec, exec, s[6:7]
	s_cbranch_execz .LBB58_1290
.LBB58_3340:
	v_mov_b32_e32 v20, 0
	v_cmp_ne_u16_sdwa s[8:9], v21, v20 src0_sel:BYTE_0 src1_sel:DWORD
	s_andn2_b64 s[4:5], s[4:5], exec
	s_and_b64 s[8:9], s[8:9], exec
	s_or_b64 s[4:5], s[4:5], s[8:9]
	s_or_b64 exec, exec, s[6:7]
	s_and_saveexec_b64 s[6:7], s[4:5]
	s_cbranch_execnz .LBB58_1291
	s_branch .LBB58_1292
.LBB58_3341:
	s_movk_i32 s4, 0x80
	v_cmp_eq_u16_sdwa s[12:13], v21, s4 src0_sel:BYTE_0 src1_sel:DWORD
	s_mov_b64 s[4:5], -1
                                        ; implicit-def: $sgpr10
	s_and_saveexec_b64 s[8:9], s[12:13]
; %bb.3342:
	s_mov_b32 s10, 0x7f800001
	s_xor_b64 s[4:5], exec, -1
; %bb.3343:
	s_or_b64 exec, exec, s[8:9]
	s_and_b64 s[4:5], s[4:5], exec
	s_or_saveexec_b64 s[6:7], s[6:7]
	v_mov_b32_e32 v22, s10
	s_xor_b64 exec, exec, s[6:7]
	s_cbranch_execz .LBB58_1294
.LBB58_3344:
	v_mov_b32_e32 v22, 0
	v_cmp_ne_u16_sdwa s[8:9], v21, v22 src0_sel:BYTE_0 src1_sel:DWORD
	s_andn2_b64 s[4:5], s[4:5], exec
	s_and_b64 s[8:9], s[8:9], exec
	s_or_b64 s[4:5], s[4:5], s[8:9]
	s_or_b64 exec, exec, s[6:7]
	s_and_saveexec_b64 s[6:7], s[4:5]
	s_cbranch_execnz .LBB58_1295
	s_branch .LBB58_1296
.LBB58_3345:
	s_movk_i32 s4, 0x80
	v_cmp_eq_u16_e32 vcc, s4, v21
	s_mov_b64 s[4:5], -1
                                        ; implicit-def: $sgpr10
	s_and_saveexec_b64 s[8:9], vcc
; %bb.3346:
	s_mov_b32 s10, 0x7f800001
	s_xor_b64 s[4:5], exec, -1
; %bb.3347:
	s_or_b64 exec, exec, s[8:9]
	s_and_b64 s[4:5], s[4:5], exec
                                        ; implicit-def: $vgpr21
	s_or_saveexec_b64 s[6:7], s[6:7]
	v_mov_b32_e32 v20, s10
	s_xor_b64 exec, exec, s[6:7]
	s_cbranch_execz .LBB58_1298
.LBB58_3348:
	v_cmp_ne_u16_e32 vcc, 0, v21
	s_andn2_b64 s[4:5], s[4:5], exec
	s_and_b64 s[8:9], vcc, exec
	v_mov_b32_e32 v20, 0
	s_or_b64 s[4:5], s[4:5], s[8:9]
	s_or_b64 exec, exec, s[6:7]
	s_and_saveexec_b64 s[6:7], s[4:5]
	s_cbranch_execnz .LBB58_1299
	s_branch .LBB58_1300
.LBB58_3349:
	s_movk_i32 s4, 0x80
	v_cmp_eq_u16_e32 vcc, s4, v21
	s_mov_b64 s[4:5], -1
                                        ; implicit-def: $sgpr10
	s_and_saveexec_b64 s[8:9], vcc
; %bb.3350:
	s_mov_b32 s10, 0x7f800001
	s_xor_b64 s[4:5], exec, -1
; %bb.3351:
	s_or_b64 exec, exec, s[8:9]
	s_and_b64 s[4:5], s[4:5], exec
                                        ; implicit-def: $vgpr21
	s_or_saveexec_b64 s[6:7], s[6:7]
	v_mov_b32_e32 v22, s10
	s_xor_b64 exec, exec, s[6:7]
	s_cbranch_execz .LBB58_1302
.LBB58_3352:
	v_cmp_ne_u16_e32 vcc, 0, v21
	s_andn2_b64 s[4:5], s[4:5], exec
	s_and_b64 s[8:9], vcc, exec
	v_mov_b32_e32 v22, 0
	s_or_b64 s[4:5], s[4:5], s[8:9]
	s_or_b64 exec, exec, s[6:7]
	s_and_saveexec_b64 s[6:7], s[4:5]
	s_cbranch_execnz .LBB58_1303
	s_branch .LBB58_1304
.LBB58_3353:
	s_movk_i32 s4, 0x80
	v_cmp_eq_u16_sdwa s[12:13], v14, s4 src0_sel:BYTE_3 src1_sel:DWORD
	s_mov_b64 s[4:5], -1
                                        ; implicit-def: $sgpr10
	s_and_saveexec_b64 s[8:9], s[12:13]
; %bb.3354:
	s_mov_b32 s10, 0x7f800001
	s_xor_b64 s[4:5], exec, -1
; %bb.3355:
	s_or_b64 exec, exec, s[8:9]
	s_and_b64 s[4:5], s[4:5], exec
	s_or_saveexec_b64 s[6:7], s[6:7]
	v_mov_b32_e32 v20, s10
	s_xor_b64 exec, exec, s[6:7]
	s_cbranch_execz .LBB58_1306
.LBB58_3356:
	v_mov_b32_e32 v20, 0
	v_cmp_ne_u16_sdwa s[8:9], v14, v20 src0_sel:BYTE_3 src1_sel:DWORD
	s_andn2_b64 s[4:5], s[4:5], exec
	s_and_b64 s[8:9], s[8:9], exec
	s_or_b64 s[4:5], s[4:5], s[8:9]
	s_or_b64 exec, exec, s[6:7]
	s_and_saveexec_b64 s[6:7], s[4:5]
	s_cbranch_execnz .LBB58_1307
	s_branch .LBB58_1308
.LBB58_3357:
	s_movk_i32 s4, 0x80
	v_cmp_eq_u16_sdwa s[12:13], v10, s4 src0_sel:BYTE_3 src1_sel:DWORD
	s_mov_b64 s[4:5], -1
                                        ; implicit-def: $sgpr10
	s_and_saveexec_b64 s[8:9], s[12:13]
; %bb.3358:
	s_mov_b32 s10, 0x7f800001
	s_xor_b64 s[4:5], exec, -1
; %bb.3359:
	s_or_b64 exec, exec, s[8:9]
	s_and_b64 s[4:5], s[4:5], exec
	s_or_saveexec_b64 s[6:7], s[6:7]
	v_mov_b32_e32 v14, s10
	s_xor_b64 exec, exec, s[6:7]
	s_cbranch_execz .LBB58_1310
.LBB58_3360:
	v_mov_b32_e32 v14, 0
	v_cmp_ne_u16_sdwa s[8:9], v10, v14 src0_sel:BYTE_3 src1_sel:DWORD
	s_andn2_b64 s[4:5], s[4:5], exec
	s_and_b64 s[8:9], s[8:9], exec
	s_or_b64 s[4:5], s[4:5], s[8:9]
	s_or_b64 exec, exec, s[6:7]
	s_and_saveexec_b64 s[6:7], s[4:5]
	s_cbranch_execnz .LBB58_1311
	s_branch .LBB58_1312
.LBB58_3361:
	s_movk_i32 s4, 0x80
	v_cmp_eq_u16_sdwa s[12:13], v15, s4 src0_sel:BYTE_0 src1_sel:DWORD
	s_mov_b64 s[4:5], -1
                                        ; implicit-def: $sgpr10
	s_and_saveexec_b64 s[8:9], s[12:13]
; %bb.3362:
	s_mov_b32 s10, 0x7f800001
	s_xor_b64 s[4:5], exec, -1
; %bb.3363:
	s_or_b64 exec, exec, s[8:9]
	s_and_b64 s[4:5], s[4:5], exec
	s_or_saveexec_b64 s[6:7], s[6:7]
	v_mov_b32_e32 v10, s10
	s_xor_b64 exec, exec, s[6:7]
	s_cbranch_execz .LBB58_1314
.LBB58_3364:
	v_mov_b32_e32 v10, 0
	v_cmp_ne_u16_sdwa s[8:9], v15, v10 src0_sel:BYTE_0 src1_sel:DWORD
	s_andn2_b64 s[4:5], s[4:5], exec
	s_and_b64 s[8:9], s[8:9], exec
	s_or_b64 s[4:5], s[4:5], s[8:9]
	s_or_b64 exec, exec, s[6:7]
	s_and_saveexec_b64 s[6:7], s[4:5]
	s_cbranch_execnz .LBB58_1315
	s_branch .LBB58_1316
.LBB58_3365:
	s_movk_i32 s4, 0x80
	v_cmp_eq_u16_sdwa s[12:13], v11, s4 src0_sel:BYTE_0 src1_sel:DWORD
	s_mov_b64 s[4:5], -1
                                        ; implicit-def: $sgpr10
	s_and_saveexec_b64 s[8:9], s[12:13]
; %bb.3366:
	s_mov_b32 s10, 0x7f800001
	s_xor_b64 s[4:5], exec, -1
; %bb.3367:
	s_or_b64 exec, exec, s[8:9]
	s_and_b64 s[4:5], s[4:5], exec
	s_or_saveexec_b64 s[6:7], s[6:7]
	v_mov_b32_e32 v14, s10
	s_xor_b64 exec, exec, s[6:7]
	s_cbranch_execz .LBB58_1318
.LBB58_3368:
	v_mov_b32_e32 v14, 0
	v_cmp_ne_u16_sdwa s[8:9], v11, v14 src0_sel:BYTE_0 src1_sel:DWORD
	s_andn2_b64 s[4:5], s[4:5], exec
	s_and_b64 s[8:9], s[8:9], exec
	s_or_b64 s[4:5], s[4:5], s[8:9]
	s_or_b64 exec, exec, s[6:7]
	s_and_saveexec_b64 s[6:7], s[4:5]
	s_cbranch_execnz .LBB58_1319
	s_branch .LBB58_1320
.LBB58_3369:
	s_movk_i32 s4, 0x80
	v_cmp_eq_u16_sdwa s[12:13], v14, s4 src0_sel:BYTE_0 src1_sel:DWORD
	s_mov_b64 s[4:5], -1
                                        ; implicit-def: $sgpr10
	s_and_saveexec_b64 s[8:9], s[12:13]
; %bb.3370:
	s_mov_b32 s10, 0x7f800001
	s_xor_b64 s[4:5], exec, -1
; %bb.3371:
	s_or_b64 exec, exec, s[8:9]
	s_and_b64 s[4:5], s[4:5], exec
	s_or_saveexec_b64 s[6:7], s[6:7]
	v_mov_b32_e32 v10, s10
	s_xor_b64 exec, exec, s[6:7]
	s_cbranch_execz .LBB58_1322
.LBB58_3372:
	v_mov_b32_e32 v10, 0
	v_cmp_ne_u16_sdwa s[8:9], v14, v10 src0_sel:BYTE_0 src1_sel:DWORD
	s_andn2_b64 s[4:5], s[4:5], exec
	s_and_b64 s[8:9], s[8:9], exec
	s_or_b64 s[4:5], s[4:5], s[8:9]
	s_or_b64 exec, exec, s[6:7]
	s_and_saveexec_b64 s[6:7], s[4:5]
	s_cbranch_execnz .LBB58_1323
	s_branch .LBB58_1324
.LBB58_3373:
	s_movk_i32 s4, 0x80
	v_cmp_eq_u16_sdwa s[12:13], v14, s4 src0_sel:BYTE_0 src1_sel:DWORD
	s_mov_b64 s[4:5], -1
                                        ; implicit-def: $sgpr10
	s_and_saveexec_b64 s[8:9], s[12:13]
; %bb.3374:
	s_mov_b32 s10, 0x7f800001
	s_xor_b64 s[4:5], exec, -1
; %bb.3375:
	s_or_b64 exec, exec, s[8:9]
	s_and_b64 s[4:5], s[4:5], exec
	s_or_saveexec_b64 s[6:7], s[6:7]
	v_mov_b32_e32 v20, s10
	s_xor_b64 exec, exec, s[6:7]
	s_cbranch_execz .LBB58_1326
.LBB58_3376:
	v_mov_b32_e32 v20, 0
	v_cmp_ne_u16_sdwa s[8:9], v14, v20 src0_sel:BYTE_0 src1_sel:DWORD
	s_andn2_b64 s[4:5], s[4:5], exec
	s_and_b64 s[8:9], s[8:9], exec
	s_or_b64 s[4:5], s[4:5], s[8:9]
	s_or_b64 exec, exec, s[6:7]
	s_and_saveexec_b64 s[6:7], s[4:5]
	s_cbranch_execnz .LBB58_1327
	s_branch .LBB58_1328
.LBB58_3377:
	s_movk_i32 s4, 0x80
	v_cmp_eq_u16_e32 vcc, s4, v14
	s_mov_b64 s[4:5], -1
                                        ; implicit-def: $sgpr10
	s_and_saveexec_b64 s[8:9], vcc
; %bb.3378:
	s_mov_b32 s10, 0x7f800001
	s_xor_b64 s[4:5], exec, -1
; %bb.3379:
	s_or_b64 exec, exec, s[8:9]
	s_and_b64 s[4:5], s[4:5], exec
                                        ; implicit-def: $vgpr14
	s_or_saveexec_b64 s[6:7], s[6:7]
	v_mov_b32_e32 v10, s10
	s_xor_b64 exec, exec, s[6:7]
	s_cbranch_execz .LBB58_1330
.LBB58_3380:
	v_cmp_ne_u16_e32 vcc, 0, v14
	s_andn2_b64 s[4:5], s[4:5], exec
	s_and_b64 s[8:9], vcc, exec
	v_mov_b32_e32 v10, 0
	s_or_b64 s[4:5], s[4:5], s[8:9]
	s_or_b64 exec, exec, s[6:7]
	s_and_saveexec_b64 s[6:7], s[4:5]
	s_cbranch_execnz .LBB58_1331
	s_branch .LBB58_1332
.LBB58_3381:
	s_movk_i32 s4, 0x80
	v_cmp_eq_u16_e32 vcc, s4, v14
	s_mov_b64 s[4:5], -1
                                        ; implicit-def: $sgpr10
	s_and_saveexec_b64 s[8:9], vcc
; %bb.3382:
	s_mov_b32 s10, 0x7f800001
	s_xor_b64 s[4:5], exec, -1
; %bb.3383:
	s_or_b64 exec, exec, s[8:9]
	s_and_b64 s[4:5], s[4:5], exec
                                        ; implicit-def: $vgpr14
	s_or_saveexec_b64 s[6:7], s[6:7]
	v_mov_b32_e32 v20, s10
	s_xor_b64 exec, exec, s[6:7]
	s_cbranch_execz .LBB58_1334
.LBB58_3384:
	v_cmp_ne_u16_e32 vcc, 0, v14
	s_andn2_b64 s[4:5], s[4:5], exec
	s_and_b64 s[8:9], vcc, exec
	v_mov_b32_e32 v20, 0
	s_or_b64 s[4:5], s[4:5], s[8:9]
	s_or_b64 exec, exec, s[6:7]
	s_and_saveexec_b64 s[6:7], s[4:5]
	s_cbranch_execnz .LBB58_1335
	s_branch .LBB58_1336
.LBB58_3385:
	s_movk_i32 s4, 0x80
	v_cmp_eq_u16_sdwa s[12:13], v15, s4 src0_sel:BYTE_3 src1_sel:DWORD
	s_mov_b64 s[4:5], -1
                                        ; implicit-def: $sgpr10
	s_and_saveexec_b64 s[8:9], s[12:13]
; %bb.3386:
	s_mov_b32 s10, 0x7f800001
	s_xor_b64 s[4:5], exec, -1
; %bb.3387:
	s_or_b64 exec, exec, s[8:9]
	s_and_b64 s[4:5], s[4:5], exec
	s_or_saveexec_b64 s[6:7], s[6:7]
	v_mov_b32_e32 v10, s10
	s_xor_b64 exec, exec, s[6:7]
	s_cbranch_execz .LBB58_1338
.LBB58_3388:
	v_mov_b32_e32 v10, 0
	v_cmp_ne_u16_sdwa s[8:9], v15, v10 src0_sel:BYTE_3 src1_sel:DWORD
	s_andn2_b64 s[4:5], s[4:5], exec
	s_and_b64 s[8:9], s[8:9], exec
	s_or_b64 s[4:5], s[4:5], s[8:9]
	s_or_b64 exec, exec, s[6:7]
	s_and_saveexec_b64 s[6:7], s[4:5]
	s_cbranch_execnz .LBB58_1339
	s_branch .LBB58_1340
.LBB58_3389:
	s_movk_i32 s4, 0x80
	v_cmp_eq_u16_sdwa s[12:13], v11, s4 src0_sel:BYTE_3 src1_sel:DWORD
	s_mov_b64 s[4:5], -1
                                        ; implicit-def: $sgpr10
	s_and_saveexec_b64 s[8:9], s[12:13]
; %bb.3390:
	s_mov_b32 s10, 0x7f800001
	s_xor_b64 s[4:5], exec, -1
; %bb.3391:
	s_or_b64 exec, exec, s[8:9]
	s_and_b64 s[4:5], s[4:5], exec
	s_or_saveexec_b64 s[6:7], s[6:7]
	v_mov_b32_e32 v14, s10
	s_xor_b64 exec, exec, s[6:7]
	s_cbranch_execz .LBB58_1342
.LBB58_3392:
	v_mov_b32_e32 v14, 0
	v_cmp_ne_u16_sdwa s[8:9], v11, v14 src0_sel:BYTE_3 src1_sel:DWORD
	s_andn2_b64 s[4:5], s[4:5], exec
	s_and_b64 s[8:9], s[8:9], exec
	s_or_b64 s[4:5], s[4:5], s[8:9]
	s_or_b64 exec, exec, s[6:7]
	s_and_saveexec_b64 s[6:7], s[4:5]
	s_cbranch_execnz .LBB58_1343
	s_branch .LBB58_1344
.LBB58_3393:
	s_movk_i32 s4, 0x80
	v_cmp_eq_u16_sdwa s[12:13], v16, s4 src0_sel:BYTE_0 src1_sel:DWORD
	s_mov_b64 s[4:5], -1
                                        ; implicit-def: $sgpr10
	s_and_saveexec_b64 s[8:9], s[12:13]
; %bb.3394:
	s_mov_b32 s10, 0x7f800001
	s_xor_b64 s[4:5], exec, -1
; %bb.3395:
	s_or_b64 exec, exec, s[8:9]
	s_and_b64 s[4:5], s[4:5], exec
	s_or_saveexec_b64 s[6:7], s[6:7]
	v_mov_b32_e32 v10, s10
	s_xor_b64 exec, exec, s[6:7]
	s_cbranch_execz .LBB58_1346
.LBB58_3396:
	v_mov_b32_e32 v10, 0
	v_cmp_ne_u16_sdwa s[8:9], v16, v10 src0_sel:BYTE_0 src1_sel:DWORD
	s_andn2_b64 s[4:5], s[4:5], exec
	s_and_b64 s[8:9], s[8:9], exec
	s_or_b64 s[4:5], s[4:5], s[8:9]
	s_or_b64 exec, exec, s[6:7]
	s_and_saveexec_b64 s[6:7], s[4:5]
	s_cbranch_execnz .LBB58_1347
	s_branch .LBB58_1348
.LBB58_3397:
	s_movk_i32 s4, 0x80
	v_cmp_eq_u16_sdwa s[12:13], v12, s4 src0_sel:BYTE_0 src1_sel:DWORD
	s_mov_b64 s[4:5], -1
                                        ; implicit-def: $sgpr10
	s_and_saveexec_b64 s[8:9], s[12:13]
; %bb.3398:
	s_mov_b32 s10, 0x7f800001
	s_xor_b64 s[4:5], exec, -1
; %bb.3399:
	s_or_b64 exec, exec, s[8:9]
	s_and_b64 s[4:5], s[4:5], exec
	s_or_saveexec_b64 s[6:7], s[6:7]
	v_mov_b32_e32 v11, s10
	s_xor_b64 exec, exec, s[6:7]
	s_cbranch_execz .LBB58_1350
.LBB58_3400:
	v_mov_b32_e32 v11, 0
	v_cmp_ne_u16_sdwa s[8:9], v12, v11 src0_sel:BYTE_0 src1_sel:DWORD
	s_andn2_b64 s[4:5], s[4:5], exec
	s_and_b64 s[8:9], s[8:9], exec
	s_or_b64 s[4:5], s[4:5], s[8:9]
	s_or_b64 exec, exec, s[6:7]
	s_and_saveexec_b64 s[6:7], s[4:5]
	s_cbranch_execnz .LBB58_1351
	s_branch .LBB58_1352
.LBB58_3401:
	s_movk_i32 s4, 0x80
	v_cmp_eq_u16_sdwa s[12:13], v11, s4 src0_sel:BYTE_0 src1_sel:DWORD
	s_mov_b64 s[4:5], -1
                                        ; implicit-def: $sgpr10
	s_and_saveexec_b64 s[8:9], s[12:13]
; %bb.3402:
	s_mov_b32 s10, 0x7f800001
	s_xor_b64 s[4:5], exec, -1
; %bb.3403:
	s_or_b64 exec, exec, s[8:9]
	s_and_b64 s[4:5], s[4:5], exec
	s_or_saveexec_b64 s[6:7], s[6:7]
	v_mov_b32_e32 v10, s10
	s_xor_b64 exec, exec, s[6:7]
	s_cbranch_execz .LBB58_1354
.LBB58_3404:
	v_mov_b32_e32 v10, 0
	v_cmp_ne_u16_sdwa s[8:9], v11, v10 src0_sel:BYTE_0 src1_sel:DWORD
	s_andn2_b64 s[4:5], s[4:5], exec
	s_and_b64 s[8:9], s[8:9], exec
	s_or_b64 s[4:5], s[4:5], s[8:9]
	s_or_b64 exec, exec, s[6:7]
	s_and_saveexec_b64 s[6:7], s[4:5]
	s_cbranch_execnz .LBB58_1355
	s_branch .LBB58_1356
.LBB58_3405:
	s_movk_i32 s4, 0x80
	v_cmp_eq_u16_sdwa s[12:13], v11, s4 src0_sel:BYTE_0 src1_sel:DWORD
	s_mov_b64 s[4:5], -1
                                        ; implicit-def: $sgpr10
	s_and_saveexec_b64 s[8:9], s[12:13]
; %bb.3406:
	s_mov_b32 s10, 0x7f800001
	s_xor_b64 s[4:5], exec, -1
; %bb.3407:
	s_or_b64 exec, exec, s[8:9]
	s_and_b64 s[4:5], s[4:5], exec
	s_or_saveexec_b64 s[6:7], s[6:7]
	v_mov_b32_e32 v14, s10
	s_xor_b64 exec, exec, s[6:7]
	s_cbranch_execz .LBB58_1358
.LBB58_3408:
	v_mov_b32_e32 v14, 0
	v_cmp_ne_u16_sdwa s[8:9], v11, v14 src0_sel:BYTE_0 src1_sel:DWORD
	s_andn2_b64 s[4:5], s[4:5], exec
	s_and_b64 s[8:9], s[8:9], exec
	s_or_b64 s[4:5], s[4:5], s[8:9]
	s_or_b64 exec, exec, s[6:7]
	s_and_saveexec_b64 s[6:7], s[4:5]
	s_cbranch_execnz .LBB58_1359
	s_branch .LBB58_1360
.LBB58_3409:
	s_movk_i32 s4, 0x80
	v_cmp_eq_u16_e32 vcc, s4, v11
	s_mov_b64 s[4:5], -1
                                        ; implicit-def: $sgpr10
	s_and_saveexec_b64 s[8:9], vcc
; %bb.3410:
	s_mov_b32 s10, 0x7f800001
	s_xor_b64 s[4:5], exec, -1
; %bb.3411:
	s_or_b64 exec, exec, s[8:9]
	s_and_b64 s[4:5], s[4:5], exec
                                        ; implicit-def: $vgpr11
	s_or_saveexec_b64 s[6:7], s[6:7]
	v_mov_b32_e32 v10, s10
	s_xor_b64 exec, exec, s[6:7]
	s_cbranch_execz .LBB58_1362
.LBB58_3412:
	v_cmp_ne_u16_e32 vcc, 0, v11
	s_andn2_b64 s[4:5], s[4:5], exec
	s_and_b64 s[8:9], vcc, exec
	v_mov_b32_e32 v10, 0
	s_or_b64 s[4:5], s[4:5], s[8:9]
	s_or_b64 exec, exec, s[6:7]
	s_and_saveexec_b64 s[6:7], s[4:5]
	s_cbranch_execnz .LBB58_1363
	s_branch .LBB58_1364
.LBB58_3413:
	s_movk_i32 s4, 0x80
	v_cmp_eq_u16_e32 vcc, s4, v11
	s_mov_b64 s[4:5], -1
                                        ; implicit-def: $sgpr10
	s_and_saveexec_b64 s[8:9], vcc
; %bb.3414:
	s_mov_b32 s10, 0x7f800001
	s_xor_b64 s[4:5], exec, -1
; %bb.3415:
	s_or_b64 exec, exec, s[8:9]
	s_and_b64 s[4:5], s[4:5], exec
                                        ; implicit-def: $vgpr11
	s_or_saveexec_b64 s[6:7], s[6:7]
	v_mov_b32_e32 v14, s10
	s_xor_b64 exec, exec, s[6:7]
	s_cbranch_execz .LBB58_1366
.LBB58_3416:
	v_cmp_ne_u16_e32 vcc, 0, v11
	s_andn2_b64 s[4:5], s[4:5], exec
	s_and_b64 s[8:9], vcc, exec
	v_mov_b32_e32 v14, 0
	s_or_b64 s[4:5], s[4:5], s[8:9]
	s_or_b64 exec, exec, s[6:7]
	s_and_saveexec_b64 s[6:7], s[4:5]
	s_cbranch_execnz .LBB58_1367
	s_branch .LBB58_1368
.LBB58_3417:
	s_movk_i32 s4, 0x80
	v_cmp_eq_u16_sdwa s[12:13], v16, s4 src0_sel:BYTE_3 src1_sel:DWORD
	s_mov_b64 s[4:5], -1
                                        ; implicit-def: $sgpr10
	s_and_saveexec_b64 s[8:9], s[12:13]
; %bb.3418:
	s_mov_b32 s10, 0x7f800001
	s_xor_b64 s[4:5], exec, -1
; %bb.3419:
	s_or_b64 exec, exec, s[8:9]
	s_and_b64 s[4:5], s[4:5], exec
	s_or_saveexec_b64 s[6:7], s[6:7]
	v_mov_b32_e32 v10, s10
	s_xor_b64 exec, exec, s[6:7]
	s_cbranch_execz .LBB58_1370
.LBB58_3420:
	v_mov_b32_e32 v10, 0
	v_cmp_ne_u16_sdwa s[8:9], v16, v10 src0_sel:BYTE_3 src1_sel:DWORD
	s_andn2_b64 s[4:5], s[4:5], exec
	s_and_b64 s[8:9], s[8:9], exec
	s_or_b64 s[4:5], s[4:5], s[8:9]
	s_or_b64 exec, exec, s[6:7]
	s_and_saveexec_b64 s[6:7], s[4:5]
	s_cbranch_execnz .LBB58_1371
	s_branch .LBB58_1372
.LBB58_3421:
	s_movk_i32 s4, 0x80
	v_cmp_eq_u16_sdwa s[12:13], v12, s4 src0_sel:BYTE_3 src1_sel:DWORD
	s_mov_b64 s[4:5], -1
                                        ; implicit-def: $sgpr10
	s_and_saveexec_b64 s[8:9], s[12:13]
; %bb.3422:
	s_mov_b32 s10, 0x7f800001
	s_xor_b64 s[4:5], exec, -1
; %bb.3423:
	s_or_b64 exec, exec, s[8:9]
	s_and_b64 s[4:5], s[4:5], exec
	s_or_saveexec_b64 s[6:7], s[6:7]
	v_mov_b32_e32 v11, s10
	s_xor_b64 exec, exec, s[6:7]
	s_cbranch_execz .LBB58_1374
.LBB58_3424:
	v_mov_b32_e32 v11, 0
	v_cmp_ne_u16_sdwa s[8:9], v12, v11 src0_sel:BYTE_3 src1_sel:DWORD
	s_andn2_b64 s[4:5], s[4:5], exec
	s_and_b64 s[8:9], s[8:9], exec
	s_or_b64 s[4:5], s[4:5], s[8:9]
	s_or_b64 exec, exec, s[6:7]
	s_and_saveexec_b64 s[6:7], s[4:5]
	s_cbranch_execnz .LBB58_1375
	s_branch .LBB58_1376
.LBB58_3425:
	s_movk_i32 s4, 0x80
	v_cmp_eq_u16_sdwa s[12:13], v17, s4 src0_sel:BYTE_0 src1_sel:DWORD
	s_mov_b64 s[4:5], -1
                                        ; implicit-def: $sgpr10
	s_and_saveexec_b64 s[8:9], s[12:13]
; %bb.3426:
	s_mov_b32 s10, 0x7f800001
	s_xor_b64 s[4:5], exec, -1
; %bb.3427:
	s_or_b64 exec, exec, s[8:9]
	s_and_b64 s[4:5], s[4:5], exec
	s_or_saveexec_b64 s[6:7], s[6:7]
	v_mov_b32_e32 v10, s10
	s_xor_b64 exec, exec, s[6:7]
	s_cbranch_execz .LBB58_1378
.LBB58_3428:
	v_mov_b32_e32 v10, 0
	v_cmp_ne_u16_sdwa s[8:9], v17, v10 src0_sel:BYTE_0 src1_sel:DWORD
	s_andn2_b64 s[4:5], s[4:5], exec
	s_and_b64 s[8:9], s[8:9], exec
	s_or_b64 s[4:5], s[4:5], s[8:9]
	s_or_b64 exec, exec, s[6:7]
	s_and_saveexec_b64 s[6:7], s[4:5]
	s_cbranch_execnz .LBB58_1379
	s_branch .LBB58_1380
.LBB58_3429:
	s_movk_i32 s4, 0x80
	v_cmp_eq_u16_sdwa s[12:13], v13, s4 src0_sel:BYTE_0 src1_sel:DWORD
	s_mov_b64 s[4:5], -1
                                        ; implicit-def: $sgpr10
	s_and_saveexec_b64 s[8:9], s[12:13]
; %bb.3430:
	s_mov_b32 s10, 0x7f800001
	s_xor_b64 s[4:5], exec, -1
; %bb.3431:
	s_or_b64 exec, exec, s[8:9]
	s_and_b64 s[4:5], s[4:5], exec
	s_or_saveexec_b64 s[6:7], s[6:7]
	v_mov_b32_e32 v11, s10
	s_xor_b64 exec, exec, s[6:7]
	s_cbranch_execz .LBB58_1382
.LBB58_3432:
	v_mov_b32_e32 v11, 0
	v_cmp_ne_u16_sdwa s[8:9], v13, v11 src0_sel:BYTE_0 src1_sel:DWORD
	s_andn2_b64 s[4:5], s[4:5], exec
	s_and_b64 s[8:9], s[8:9], exec
	s_or_b64 s[4:5], s[4:5], s[8:9]
	s_or_b64 exec, exec, s[6:7]
	s_and_saveexec_b64 s[6:7], s[4:5]
	s_cbranch_execnz .LBB58_1383
	s_branch .LBB58_1384
.LBB58_3433:
	s_movk_i32 s4, 0x80
	v_cmp_eq_u16_sdwa s[12:13], v11, s4 src0_sel:BYTE_0 src1_sel:DWORD
	s_mov_b64 s[4:5], -1
                                        ; implicit-def: $sgpr10
	s_and_saveexec_b64 s[8:9], s[12:13]
; %bb.3434:
	s_mov_b32 s10, 0x7f800001
	s_xor_b64 s[4:5], exec, -1
; %bb.3435:
	s_or_b64 exec, exec, s[8:9]
	s_and_b64 s[4:5], s[4:5], exec
	s_or_saveexec_b64 s[6:7], s[6:7]
	v_mov_b32_e32 v10, s10
	s_xor_b64 exec, exec, s[6:7]
	s_cbranch_execz .LBB58_1386
.LBB58_3436:
	v_mov_b32_e32 v10, 0
	v_cmp_ne_u16_sdwa s[8:9], v11, v10 src0_sel:BYTE_0 src1_sel:DWORD
	s_andn2_b64 s[4:5], s[4:5], exec
	s_and_b64 s[8:9], s[8:9], exec
	s_or_b64 s[4:5], s[4:5], s[8:9]
	s_or_b64 exec, exec, s[6:7]
	s_and_saveexec_b64 s[6:7], s[4:5]
	s_cbranch_execnz .LBB58_1387
	s_branch .LBB58_1388
.LBB58_3437:
	s_movk_i32 s4, 0x80
	v_cmp_eq_u16_sdwa s[12:13], v11, s4 src0_sel:BYTE_0 src1_sel:DWORD
	s_mov_b64 s[4:5], -1
                                        ; implicit-def: $sgpr10
	s_and_saveexec_b64 s[8:9], s[12:13]
; %bb.3438:
	s_mov_b32 s10, 0x7f800001
	s_xor_b64 s[4:5], exec, -1
; %bb.3439:
	s_or_b64 exec, exec, s[8:9]
	s_and_b64 s[4:5], s[4:5], exec
	s_or_saveexec_b64 s[6:7], s[6:7]
	v_mov_b32_e32 v12, s10
	s_xor_b64 exec, exec, s[6:7]
	s_cbranch_execz .LBB58_1390
.LBB58_3440:
	v_mov_b32_e32 v12, 0
	v_cmp_ne_u16_sdwa s[8:9], v11, v12 src0_sel:BYTE_0 src1_sel:DWORD
	s_andn2_b64 s[4:5], s[4:5], exec
	s_and_b64 s[8:9], s[8:9], exec
	s_or_b64 s[4:5], s[4:5], s[8:9]
	s_or_b64 exec, exec, s[6:7]
	s_and_saveexec_b64 s[6:7], s[4:5]
	s_cbranch_execnz .LBB58_1391
	s_branch .LBB58_1392
.LBB58_3441:
	s_movk_i32 s4, 0x80
	v_cmp_eq_u16_e32 vcc, s4, v11
	s_mov_b64 s[4:5], -1
                                        ; implicit-def: $sgpr10
	s_and_saveexec_b64 s[8:9], vcc
; %bb.3442:
	s_mov_b32 s10, 0x7f800001
	s_xor_b64 s[4:5], exec, -1
; %bb.3443:
	s_or_b64 exec, exec, s[8:9]
	s_and_b64 s[4:5], s[4:5], exec
                                        ; implicit-def: $vgpr11
	s_or_saveexec_b64 s[6:7], s[6:7]
	v_mov_b32_e32 v10, s10
	s_xor_b64 exec, exec, s[6:7]
	s_cbranch_execz .LBB58_1394
.LBB58_3444:
	v_cmp_ne_u16_e32 vcc, 0, v11
	s_andn2_b64 s[4:5], s[4:5], exec
	s_and_b64 s[8:9], vcc, exec
	v_mov_b32_e32 v10, 0
	s_or_b64 s[4:5], s[4:5], s[8:9]
	s_or_b64 exec, exec, s[6:7]
	s_and_saveexec_b64 s[6:7], s[4:5]
	s_cbranch_execnz .LBB58_1395
	s_branch .LBB58_1396
.LBB58_3445:
	s_movk_i32 s4, 0x80
	v_cmp_eq_u16_e32 vcc, s4, v11
	s_mov_b64 s[4:5], -1
                                        ; implicit-def: $sgpr10
	s_and_saveexec_b64 s[8:9], vcc
; %bb.3446:
	s_mov_b32 s10, 0x7f800001
	s_xor_b64 s[4:5], exec, -1
; %bb.3447:
	s_or_b64 exec, exec, s[8:9]
	s_and_b64 s[4:5], s[4:5], exec
                                        ; implicit-def: $vgpr11
	s_or_saveexec_b64 s[6:7], s[6:7]
	v_mov_b32_e32 v12, s10
	s_xor_b64 exec, exec, s[6:7]
	s_cbranch_execz .LBB58_1398
.LBB58_3448:
	v_cmp_ne_u16_e32 vcc, 0, v11
	s_andn2_b64 s[4:5], s[4:5], exec
	s_and_b64 s[8:9], vcc, exec
	v_mov_b32_e32 v12, 0
	s_or_b64 s[4:5], s[4:5], s[8:9]
	s_or_b64 exec, exec, s[6:7]
	s_and_saveexec_b64 s[6:7], s[4:5]
	s_cbranch_execnz .LBB58_1399
	s_branch .LBB58_1400
.LBB58_3449:
	s_movk_i32 s4, 0x80
	v_cmp_eq_u16_sdwa s[12:13], v17, s4 src0_sel:BYTE_3 src1_sel:DWORD
	s_mov_b64 s[4:5], -1
                                        ; implicit-def: $sgpr10
	s_and_saveexec_b64 s[8:9], s[12:13]
; %bb.3450:
	s_mov_b32 s10, 0x7f800001
	s_xor_b64 s[4:5], exec, -1
; %bb.3451:
	s_or_b64 exec, exec, s[8:9]
	s_and_b64 s[4:5], s[4:5], exec
	s_or_saveexec_b64 s[6:7], s[6:7]
	v_mov_b32_e32 v10, s10
	s_xor_b64 exec, exec, s[6:7]
	s_cbranch_execz .LBB58_1402
.LBB58_3452:
	v_mov_b32_e32 v10, 0
	v_cmp_ne_u16_sdwa s[8:9], v17, v10 src0_sel:BYTE_3 src1_sel:DWORD
	s_andn2_b64 s[4:5], s[4:5], exec
	s_and_b64 s[8:9], s[8:9], exec
	s_or_b64 s[4:5], s[4:5], s[8:9]
	s_or_b64 exec, exec, s[6:7]
	s_and_saveexec_b64 s[6:7], s[4:5]
	s_cbranch_execnz .LBB58_1403
	s_branch .LBB58_1404
.LBB58_3453:
	s_movk_i32 s4, 0x80
	v_cmp_eq_u16_sdwa s[12:13], v13, s4 src0_sel:BYTE_3 src1_sel:DWORD
	s_mov_b64 s[4:5], -1
                                        ; implicit-def: $sgpr10
	s_and_saveexec_b64 s[8:9], s[12:13]
; %bb.3454:
	s_mov_b32 s10, 0x7f800001
	s_xor_b64 s[4:5], exec, -1
; %bb.3455:
	s_or_b64 exec, exec, s[8:9]
	s_and_b64 s[4:5], s[4:5], exec
	s_or_saveexec_b64 s[6:7], s[6:7]
	v_mov_b32_e32 v11, s10
	s_xor_b64 exec, exec, s[6:7]
	s_cbranch_execz .LBB58_1406
.LBB58_3456:
	v_mov_b32_e32 v11, 0
	v_cmp_ne_u16_sdwa s[8:9], v13, v11 src0_sel:BYTE_3 src1_sel:DWORD
	s_andn2_b64 s[4:5], s[4:5], exec
	s_and_b64 s[8:9], s[8:9], exec
	s_or_b64 s[4:5], s[4:5], s[8:9]
	s_or_b64 exec, exec, s[6:7]
	s_and_saveexec_b64 s[6:7], s[4:5]
	s_cbranch_execnz .LBB58_1407
	s_branch .LBB58_1408
.LBB58_3457:
	s_movk_i32 s4, 0x80
	v_cmp_eq_u16_sdwa s[12:13], v6, s4 src0_sel:BYTE_0 src1_sel:DWORD
	s_mov_b64 s[4:5], -1
                                        ; implicit-def: $sgpr10
	s_and_saveexec_b64 s[8:9], s[12:13]
; %bb.3458:
	s_mov_b32 s10, 0x7f800001
	s_xor_b64 s[4:5], exec, -1
; %bb.3459:
	s_or_b64 exec, exec, s[8:9]
	s_and_b64 s[4:5], s[4:5], exec
	s_or_saveexec_b64 s[6:7], s[6:7]
	v_mov_b32_e32 v10, s10
	s_xor_b64 exec, exec, s[6:7]
	s_cbranch_execz .LBB58_1410
.LBB58_3460:
	v_mov_b32_e32 v10, 0
	v_cmp_ne_u16_sdwa s[8:9], v6, v10 src0_sel:BYTE_0 src1_sel:DWORD
	s_andn2_b64 s[4:5], s[4:5], exec
	s_and_b64 s[8:9], s[8:9], exec
	s_or_b64 s[4:5], s[4:5], s[8:9]
	s_or_b64 exec, exec, s[6:7]
	s_and_saveexec_b64 s[6:7], s[4:5]
	s_cbranch_execnz .LBB58_1411
	s_branch .LBB58_1412
.LBB58_3461:
	s_movk_i32 s4, 0x80
	v_cmp_eq_u16_sdwa s[12:13], v2, s4 src0_sel:BYTE_0 src1_sel:DWORD
	s_mov_b64 s[4:5], -1
                                        ; implicit-def: $sgpr10
	s_and_saveexec_b64 s[8:9], s[12:13]
; %bb.3462:
	s_mov_b32 s10, 0x7f800001
	s_xor_b64 s[4:5], exec, -1
; %bb.3463:
	s_or_b64 exec, exec, s[8:9]
	s_and_b64 s[4:5], s[4:5], exec
	s_or_saveexec_b64 s[6:7], s[6:7]
	v_mov_b32_e32 v11, s10
	s_xor_b64 exec, exec, s[6:7]
	s_cbranch_execz .LBB58_1414
.LBB58_3464:
	v_mov_b32_e32 v11, 0
	v_cmp_ne_u16_sdwa s[8:9], v2, v11 src0_sel:BYTE_0 src1_sel:DWORD
	s_andn2_b64 s[4:5], s[4:5], exec
	s_and_b64 s[8:9], s[8:9], exec
	s_or_b64 s[4:5], s[4:5], s[8:9]
	s_or_b64 exec, exec, s[6:7]
	s_and_saveexec_b64 s[6:7], s[4:5]
	s_cbranch_execnz .LBB58_1415
	s_branch .LBB58_1416
.LBB58_3465:
	s_movk_i32 s4, 0x80
	v_cmp_eq_u16_sdwa s[12:13], v11, s4 src0_sel:BYTE_0 src1_sel:DWORD
	s_mov_b64 s[4:5], -1
                                        ; implicit-def: $sgpr10
	s_and_saveexec_b64 s[8:9], s[12:13]
; %bb.3466:
	s_mov_b32 s10, 0x7f800001
	s_xor_b64 s[4:5], exec, -1
; %bb.3467:
	s_or_b64 exec, exec, s[8:9]
	s_and_b64 s[4:5], s[4:5], exec
	s_or_saveexec_b64 s[6:7], s[6:7]
	v_mov_b32_e32 v10, s10
	s_xor_b64 exec, exec, s[6:7]
	s_cbranch_execz .LBB58_1418
.LBB58_3468:
	v_mov_b32_e32 v10, 0
	v_cmp_ne_u16_sdwa s[8:9], v11, v10 src0_sel:BYTE_0 src1_sel:DWORD
	s_andn2_b64 s[4:5], s[4:5], exec
	s_and_b64 s[8:9], s[8:9], exec
	s_or_b64 s[4:5], s[4:5], s[8:9]
	s_or_b64 exec, exec, s[6:7]
	s_and_saveexec_b64 s[6:7], s[4:5]
	s_cbranch_execnz .LBB58_1419
	s_branch .LBB58_1420
.LBB58_3469:
	s_movk_i32 s4, 0x80
	v_cmp_eq_u16_sdwa s[12:13], v11, s4 src0_sel:BYTE_0 src1_sel:DWORD
	s_mov_b64 s[4:5], -1
                                        ; implicit-def: $sgpr10
	s_and_saveexec_b64 s[8:9], s[12:13]
; %bb.3470:
	s_mov_b32 s10, 0x7f800001
	s_xor_b64 s[4:5], exec, -1
; %bb.3471:
	s_or_b64 exec, exec, s[8:9]
	s_and_b64 s[4:5], s[4:5], exec
	s_or_saveexec_b64 s[6:7], s[6:7]
	v_mov_b32_e32 v12, s10
	s_xor_b64 exec, exec, s[6:7]
	s_cbranch_execz .LBB58_1422
.LBB58_3472:
	v_mov_b32_e32 v12, 0
	v_cmp_ne_u16_sdwa s[8:9], v11, v12 src0_sel:BYTE_0 src1_sel:DWORD
	s_andn2_b64 s[4:5], s[4:5], exec
	s_and_b64 s[8:9], s[8:9], exec
	s_or_b64 s[4:5], s[4:5], s[8:9]
	s_or_b64 exec, exec, s[6:7]
	s_and_saveexec_b64 s[6:7], s[4:5]
	s_cbranch_execnz .LBB58_1423
	s_branch .LBB58_1424
.LBB58_3473:
	s_movk_i32 s4, 0x80
	v_cmp_eq_u16_e32 vcc, s4, v11
	s_mov_b64 s[4:5], -1
                                        ; implicit-def: $sgpr10
	s_and_saveexec_b64 s[8:9], vcc
; %bb.3474:
	s_mov_b32 s10, 0x7f800001
	s_xor_b64 s[4:5], exec, -1
; %bb.3475:
	s_or_b64 exec, exec, s[8:9]
	s_and_b64 s[4:5], s[4:5], exec
                                        ; implicit-def: $vgpr11
	s_or_saveexec_b64 s[6:7], s[6:7]
	v_mov_b32_e32 v10, s10
	s_xor_b64 exec, exec, s[6:7]
	s_cbranch_execz .LBB58_1426
.LBB58_3476:
	v_cmp_ne_u16_e32 vcc, 0, v11
	s_andn2_b64 s[4:5], s[4:5], exec
	s_and_b64 s[8:9], vcc, exec
	v_mov_b32_e32 v10, 0
	s_or_b64 s[4:5], s[4:5], s[8:9]
	s_or_b64 exec, exec, s[6:7]
	s_and_saveexec_b64 s[6:7], s[4:5]
	s_cbranch_execnz .LBB58_1427
	s_branch .LBB58_1428
.LBB58_3477:
	s_movk_i32 s4, 0x80
	v_cmp_eq_u16_e32 vcc, s4, v11
	s_mov_b64 s[4:5], -1
                                        ; implicit-def: $sgpr10
	s_and_saveexec_b64 s[8:9], vcc
; %bb.3478:
	s_mov_b32 s10, 0x7f800001
	s_xor_b64 s[4:5], exec, -1
; %bb.3479:
	s_or_b64 exec, exec, s[8:9]
	s_and_b64 s[4:5], s[4:5], exec
                                        ; implicit-def: $vgpr11
	s_or_saveexec_b64 s[6:7], s[6:7]
	v_mov_b32_e32 v12, s10
	s_xor_b64 exec, exec, s[6:7]
	s_cbranch_execz .LBB58_1430
.LBB58_3480:
	v_cmp_ne_u16_e32 vcc, 0, v11
	s_andn2_b64 s[4:5], s[4:5], exec
	s_and_b64 s[8:9], vcc, exec
	v_mov_b32_e32 v12, 0
	s_or_b64 s[4:5], s[4:5], s[8:9]
	s_or_b64 exec, exec, s[6:7]
	s_and_saveexec_b64 s[6:7], s[4:5]
	s_cbranch_execnz .LBB58_1431
	s_branch .LBB58_1432
.LBB58_3481:
	s_movk_i32 s4, 0x80
	v_cmp_eq_u16_sdwa s[12:13], v6, s4 src0_sel:BYTE_3 src1_sel:DWORD
	s_mov_b64 s[4:5], -1
                                        ; implicit-def: $sgpr10
	s_and_saveexec_b64 s[8:9], s[12:13]
; %bb.3482:
	s_mov_b32 s10, 0x7f800001
	s_xor_b64 s[4:5], exec, -1
; %bb.3483:
	s_or_b64 exec, exec, s[8:9]
	s_and_b64 s[4:5], s[4:5], exec
	s_or_saveexec_b64 s[6:7], s[6:7]
	v_mov_b32_e32 v10, s10
	s_xor_b64 exec, exec, s[6:7]
	s_cbranch_execz .LBB58_1434
.LBB58_3484:
	v_mov_b32_e32 v10, 0
	v_cmp_ne_u16_sdwa s[8:9], v6, v10 src0_sel:BYTE_3 src1_sel:DWORD
	s_andn2_b64 s[4:5], s[4:5], exec
	s_and_b64 s[8:9], s[8:9], exec
	s_or_b64 s[4:5], s[4:5], s[8:9]
	s_or_b64 exec, exec, s[6:7]
	s_and_saveexec_b64 s[6:7], s[4:5]
	s_cbranch_execnz .LBB58_1435
	s_branch .LBB58_1436
.LBB58_3485:
	s_movk_i32 s4, 0x80
	v_cmp_eq_u16_sdwa s[12:13], v2, s4 src0_sel:BYTE_3 src1_sel:DWORD
	s_mov_b64 s[4:5], -1
                                        ; implicit-def: $sgpr10
	s_and_saveexec_b64 s[8:9], s[12:13]
; %bb.3486:
	s_mov_b32 s10, 0x7f800001
	s_xor_b64 s[4:5], exec, -1
; %bb.3487:
	s_or_b64 exec, exec, s[8:9]
	s_and_b64 s[4:5], s[4:5], exec
	s_or_saveexec_b64 s[6:7], s[6:7]
	v_mov_b32_e32 v6, s10
	s_xor_b64 exec, exec, s[6:7]
	s_cbranch_execz .LBB58_1438
.LBB58_3488:
	v_mov_b32_e32 v6, 0
	v_cmp_ne_u16_sdwa s[8:9], v2, v6 src0_sel:BYTE_3 src1_sel:DWORD
	s_andn2_b64 s[4:5], s[4:5], exec
	s_and_b64 s[8:9], s[8:9], exec
	s_or_b64 s[4:5], s[4:5], s[8:9]
	s_or_b64 exec, exec, s[6:7]
	s_and_saveexec_b64 s[6:7], s[4:5]
	s_cbranch_execnz .LBB58_1439
	s_branch .LBB58_1440
.LBB58_3489:
	s_movk_i32 s4, 0x80
	v_cmp_eq_u16_sdwa s[12:13], v7, s4 src0_sel:BYTE_0 src1_sel:DWORD
	s_mov_b64 s[4:5], -1
                                        ; implicit-def: $sgpr10
	s_and_saveexec_b64 s[8:9], s[12:13]
; %bb.3490:
	s_mov_b32 s10, 0x7f800001
	s_xor_b64 s[4:5], exec, -1
; %bb.3491:
	s_or_b64 exec, exec, s[8:9]
	s_and_b64 s[4:5], s[4:5], exec
	s_or_saveexec_b64 s[6:7], s[6:7]
	v_mov_b32_e32 v2, s10
	s_xor_b64 exec, exec, s[6:7]
	s_cbranch_execz .LBB58_1442
.LBB58_3492:
	v_mov_b32_e32 v2, 0
	v_cmp_ne_u16_sdwa s[8:9], v7, v2 src0_sel:BYTE_0 src1_sel:DWORD
	s_andn2_b64 s[4:5], s[4:5], exec
	s_and_b64 s[8:9], s[8:9], exec
	s_or_b64 s[4:5], s[4:5], s[8:9]
	s_or_b64 exec, exec, s[6:7]
	s_and_saveexec_b64 s[6:7], s[4:5]
	s_cbranch_execnz .LBB58_1443
	s_branch .LBB58_1444
.LBB58_3493:
	s_movk_i32 s4, 0x80
	v_cmp_eq_u16_sdwa s[12:13], v3, s4 src0_sel:BYTE_0 src1_sel:DWORD
	s_mov_b64 s[4:5], -1
                                        ; implicit-def: $sgpr10
	s_and_saveexec_b64 s[8:9], s[12:13]
; %bb.3494:
	s_mov_b32 s10, 0x7f800001
	s_xor_b64 s[4:5], exec, -1
; %bb.3495:
	s_or_b64 exec, exec, s[8:9]
	s_and_b64 s[4:5], s[4:5], exec
	s_or_saveexec_b64 s[6:7], s[6:7]
	v_mov_b32_e32 v6, s10
	s_xor_b64 exec, exec, s[6:7]
	s_cbranch_execz .LBB58_1446
.LBB58_3496:
	v_mov_b32_e32 v6, 0
	v_cmp_ne_u16_sdwa s[8:9], v3, v6 src0_sel:BYTE_0 src1_sel:DWORD
	s_andn2_b64 s[4:5], s[4:5], exec
	s_and_b64 s[8:9], s[8:9], exec
	s_or_b64 s[4:5], s[4:5], s[8:9]
	s_or_b64 exec, exec, s[6:7]
	s_and_saveexec_b64 s[6:7], s[4:5]
	s_cbranch_execnz .LBB58_1447
	s_branch .LBB58_1448
.LBB58_3497:
	s_movk_i32 s4, 0x80
	v_cmp_eq_u16_sdwa s[12:13], v6, s4 src0_sel:BYTE_0 src1_sel:DWORD
	s_mov_b64 s[4:5], -1
                                        ; implicit-def: $sgpr10
	s_and_saveexec_b64 s[8:9], s[12:13]
; %bb.3498:
	s_mov_b32 s10, 0x7f800001
	s_xor_b64 s[4:5], exec, -1
; %bb.3499:
	s_or_b64 exec, exec, s[8:9]
	s_and_b64 s[4:5], s[4:5], exec
	s_or_saveexec_b64 s[6:7], s[6:7]
	v_mov_b32_e32 v2, s10
	s_xor_b64 exec, exec, s[6:7]
	s_cbranch_execz .LBB58_1450
.LBB58_3500:
	v_mov_b32_e32 v2, 0
	v_cmp_ne_u16_sdwa s[8:9], v6, v2 src0_sel:BYTE_0 src1_sel:DWORD
	s_andn2_b64 s[4:5], s[4:5], exec
	s_and_b64 s[8:9], s[8:9], exec
	s_or_b64 s[4:5], s[4:5], s[8:9]
	s_or_b64 exec, exec, s[6:7]
	s_and_saveexec_b64 s[6:7], s[4:5]
	s_cbranch_execnz .LBB58_1451
	s_branch .LBB58_1452
.LBB58_3501:
	s_movk_i32 s4, 0x80
	v_cmp_eq_u16_sdwa s[12:13], v6, s4 src0_sel:BYTE_0 src1_sel:DWORD
	s_mov_b64 s[4:5], -1
                                        ; implicit-def: $sgpr10
	s_and_saveexec_b64 s[8:9], s[12:13]
; %bb.3502:
	s_mov_b32 s10, 0x7f800001
	s_xor_b64 s[4:5], exec, -1
; %bb.3503:
	s_or_b64 exec, exec, s[8:9]
	s_and_b64 s[4:5], s[4:5], exec
	s_or_saveexec_b64 s[6:7], s[6:7]
	v_mov_b32_e32 v10, s10
	s_xor_b64 exec, exec, s[6:7]
	s_cbranch_execz .LBB58_1454
.LBB58_3504:
	v_mov_b32_e32 v10, 0
	v_cmp_ne_u16_sdwa s[8:9], v6, v10 src0_sel:BYTE_0 src1_sel:DWORD
	s_andn2_b64 s[4:5], s[4:5], exec
	s_and_b64 s[8:9], s[8:9], exec
	s_or_b64 s[4:5], s[4:5], s[8:9]
	s_or_b64 exec, exec, s[6:7]
	s_and_saveexec_b64 s[6:7], s[4:5]
	s_cbranch_execnz .LBB58_1455
	s_branch .LBB58_1456
.LBB58_3505:
	s_movk_i32 s4, 0x80
	v_cmp_eq_u16_e32 vcc, s4, v6
	s_mov_b64 s[4:5], -1
                                        ; implicit-def: $sgpr10
	s_and_saveexec_b64 s[8:9], vcc
; %bb.3506:
	s_mov_b32 s10, 0x7f800001
	s_xor_b64 s[4:5], exec, -1
; %bb.3507:
	s_or_b64 exec, exec, s[8:9]
	s_and_b64 s[4:5], s[4:5], exec
                                        ; implicit-def: $vgpr6
	s_or_saveexec_b64 s[6:7], s[6:7]
	v_mov_b32_e32 v2, s10
	s_xor_b64 exec, exec, s[6:7]
	s_cbranch_execz .LBB58_1458
.LBB58_3508:
	v_cmp_ne_u16_e32 vcc, 0, v6
	s_andn2_b64 s[4:5], s[4:5], exec
	s_and_b64 s[8:9], vcc, exec
	v_mov_b32_e32 v2, 0
	s_or_b64 s[4:5], s[4:5], s[8:9]
	s_or_b64 exec, exec, s[6:7]
	s_and_saveexec_b64 s[6:7], s[4:5]
	s_cbranch_execnz .LBB58_1459
	s_branch .LBB58_1460
.LBB58_3509:
	s_movk_i32 s4, 0x80
	v_cmp_eq_u16_e32 vcc, s4, v6
	s_mov_b64 s[4:5], -1
                                        ; implicit-def: $sgpr10
	s_and_saveexec_b64 s[8:9], vcc
; %bb.3510:
	s_mov_b32 s10, 0x7f800001
	s_xor_b64 s[4:5], exec, -1
; %bb.3511:
	s_or_b64 exec, exec, s[8:9]
	s_and_b64 s[4:5], s[4:5], exec
                                        ; implicit-def: $vgpr6
	s_or_saveexec_b64 s[6:7], s[6:7]
	v_mov_b32_e32 v10, s10
	s_xor_b64 exec, exec, s[6:7]
	s_cbranch_execz .LBB58_1462
.LBB58_3512:
	v_cmp_ne_u16_e32 vcc, 0, v6
	s_andn2_b64 s[4:5], s[4:5], exec
	s_and_b64 s[8:9], vcc, exec
	v_mov_b32_e32 v10, 0
	s_or_b64 s[4:5], s[4:5], s[8:9]
	s_or_b64 exec, exec, s[6:7]
	s_and_saveexec_b64 s[6:7], s[4:5]
	s_cbranch_execnz .LBB58_1463
	s_branch .LBB58_1464
.LBB58_3513:
	s_movk_i32 s4, 0x80
	v_cmp_eq_u16_sdwa s[12:13], v7, s4 src0_sel:BYTE_3 src1_sel:DWORD
	s_mov_b64 s[4:5], -1
                                        ; implicit-def: $sgpr10
	s_and_saveexec_b64 s[8:9], s[12:13]
; %bb.3514:
	s_mov_b32 s10, 0x7f800001
	s_xor_b64 s[4:5], exec, -1
; %bb.3515:
	s_or_b64 exec, exec, s[8:9]
	s_and_b64 s[4:5], s[4:5], exec
	s_or_saveexec_b64 s[6:7], s[6:7]
	v_mov_b32_e32 v2, s10
	s_xor_b64 exec, exec, s[6:7]
	s_cbranch_execz .LBB58_1466
.LBB58_3516:
	v_mov_b32_e32 v2, 0
	v_cmp_ne_u16_sdwa s[8:9], v7, v2 src0_sel:BYTE_3 src1_sel:DWORD
	s_andn2_b64 s[4:5], s[4:5], exec
	s_and_b64 s[8:9], s[8:9], exec
	s_or_b64 s[4:5], s[4:5], s[8:9]
	s_or_b64 exec, exec, s[6:7]
	s_and_saveexec_b64 s[6:7], s[4:5]
	s_cbranch_execnz .LBB58_1467
	s_branch .LBB58_1468
.LBB58_3517:
	s_movk_i32 s4, 0x80
	v_cmp_eq_u16_sdwa s[12:13], v3, s4 src0_sel:BYTE_3 src1_sel:DWORD
	s_mov_b64 s[4:5], -1
                                        ; implicit-def: $sgpr10
	s_and_saveexec_b64 s[8:9], s[12:13]
; %bb.3518:
	s_mov_b32 s10, 0x7f800001
	s_xor_b64 s[4:5], exec, -1
; %bb.3519:
	s_or_b64 exec, exec, s[8:9]
	s_and_b64 s[4:5], s[4:5], exec
	s_or_saveexec_b64 s[6:7], s[6:7]
	v_mov_b32_e32 v6, s10
	s_xor_b64 exec, exec, s[6:7]
	s_cbranch_execz .LBB58_1470
.LBB58_3520:
	v_mov_b32_e32 v6, 0
	v_cmp_ne_u16_sdwa s[8:9], v3, v6 src0_sel:BYTE_3 src1_sel:DWORD
	s_andn2_b64 s[4:5], s[4:5], exec
	s_and_b64 s[8:9], s[8:9], exec
	s_or_b64 s[4:5], s[4:5], s[8:9]
	s_or_b64 exec, exec, s[6:7]
	s_and_saveexec_b64 s[6:7], s[4:5]
	s_cbranch_execnz .LBB58_1471
	s_branch .LBB58_1472
.LBB58_3521:
	s_movk_i32 s4, 0x80
	v_cmp_eq_u16_sdwa s[12:13], v8, s4 src0_sel:BYTE_0 src1_sel:DWORD
	s_mov_b64 s[4:5], -1
                                        ; implicit-def: $sgpr10
	s_and_saveexec_b64 s[8:9], s[12:13]
; %bb.3522:
	s_mov_b32 s10, 0x7f800001
	s_xor_b64 s[4:5], exec, -1
; %bb.3523:
	s_or_b64 exec, exec, s[8:9]
	s_and_b64 s[4:5], s[4:5], exec
	s_or_saveexec_b64 s[6:7], s[6:7]
	v_mov_b32_e32 v2, s10
	s_xor_b64 exec, exec, s[6:7]
	s_cbranch_execz .LBB58_1474
.LBB58_3524:
	v_mov_b32_e32 v2, 0
	v_cmp_ne_u16_sdwa s[8:9], v8, v2 src0_sel:BYTE_0 src1_sel:DWORD
	s_andn2_b64 s[4:5], s[4:5], exec
	s_and_b64 s[8:9], s[8:9], exec
	s_or_b64 s[4:5], s[4:5], s[8:9]
	s_or_b64 exec, exec, s[6:7]
	s_and_saveexec_b64 s[6:7], s[4:5]
	s_cbranch_execnz .LBB58_1475
	s_branch .LBB58_1476
.LBB58_3525:
	s_movk_i32 s4, 0x80
	v_cmp_eq_u16_sdwa s[12:13], v4, s4 src0_sel:BYTE_0 src1_sel:DWORD
	s_mov_b64 s[4:5], -1
                                        ; implicit-def: $sgpr10
	s_and_saveexec_b64 s[8:9], s[12:13]
; %bb.3526:
	s_mov_b32 s10, 0x7f800001
	s_xor_b64 s[4:5], exec, -1
; %bb.3527:
	s_or_b64 exec, exec, s[8:9]
	s_and_b64 s[4:5], s[4:5], exec
	s_or_saveexec_b64 s[6:7], s[6:7]
	v_mov_b32_e32 v3, s10
	s_xor_b64 exec, exec, s[6:7]
	s_cbranch_execz .LBB58_1478
.LBB58_3528:
	v_mov_b32_e32 v3, 0
	v_cmp_ne_u16_sdwa s[8:9], v4, v3 src0_sel:BYTE_0 src1_sel:DWORD
	s_andn2_b64 s[4:5], s[4:5], exec
	s_and_b64 s[8:9], s[8:9], exec
	s_or_b64 s[4:5], s[4:5], s[8:9]
	s_or_b64 exec, exec, s[6:7]
	s_and_saveexec_b64 s[6:7], s[4:5]
	s_cbranch_execnz .LBB58_1479
	s_branch .LBB58_1480
.LBB58_3529:
	s_movk_i32 s4, 0x80
	v_cmp_eq_u16_sdwa s[12:13], v3, s4 src0_sel:BYTE_0 src1_sel:DWORD
	s_mov_b64 s[4:5], -1
                                        ; implicit-def: $sgpr10
	s_and_saveexec_b64 s[8:9], s[12:13]
; %bb.3530:
	s_mov_b32 s10, 0x7f800001
	s_xor_b64 s[4:5], exec, -1
; %bb.3531:
	s_or_b64 exec, exec, s[8:9]
	s_and_b64 s[4:5], s[4:5], exec
	s_or_saveexec_b64 s[6:7], s[6:7]
	v_mov_b32_e32 v2, s10
	s_xor_b64 exec, exec, s[6:7]
	s_cbranch_execz .LBB58_1482
.LBB58_3532:
	v_mov_b32_e32 v2, 0
	v_cmp_ne_u16_sdwa s[8:9], v3, v2 src0_sel:BYTE_0 src1_sel:DWORD
	s_andn2_b64 s[4:5], s[4:5], exec
	s_and_b64 s[8:9], s[8:9], exec
	s_or_b64 s[4:5], s[4:5], s[8:9]
	s_or_b64 exec, exec, s[6:7]
	s_and_saveexec_b64 s[6:7], s[4:5]
	s_cbranch_execnz .LBB58_1483
	s_branch .LBB58_1484
.LBB58_3533:
	s_movk_i32 s4, 0x80
	v_cmp_eq_u16_sdwa s[12:13], v3, s4 src0_sel:BYTE_0 src1_sel:DWORD
	s_mov_b64 s[4:5], -1
                                        ; implicit-def: $sgpr10
	s_and_saveexec_b64 s[8:9], s[12:13]
; %bb.3534:
	s_mov_b32 s10, 0x7f800001
	s_xor_b64 s[4:5], exec, -1
; %bb.3535:
	s_or_b64 exec, exec, s[8:9]
	s_and_b64 s[4:5], s[4:5], exec
	s_or_saveexec_b64 s[6:7], s[6:7]
	v_mov_b32_e32 v6, s10
	s_xor_b64 exec, exec, s[6:7]
	s_cbranch_execz .LBB58_1486
.LBB58_3536:
	v_mov_b32_e32 v6, 0
	v_cmp_ne_u16_sdwa s[8:9], v3, v6 src0_sel:BYTE_0 src1_sel:DWORD
	s_andn2_b64 s[4:5], s[4:5], exec
	s_and_b64 s[8:9], s[8:9], exec
	s_or_b64 s[4:5], s[4:5], s[8:9]
	s_or_b64 exec, exec, s[6:7]
	s_and_saveexec_b64 s[6:7], s[4:5]
	s_cbranch_execnz .LBB58_1487
	s_branch .LBB58_1488
.LBB58_3537:
	s_movk_i32 s4, 0x80
	v_cmp_eq_u16_e32 vcc, s4, v3
	s_mov_b64 s[4:5], -1
                                        ; implicit-def: $sgpr10
	s_and_saveexec_b64 s[8:9], vcc
; %bb.3538:
	s_mov_b32 s10, 0x7f800001
	s_xor_b64 s[4:5], exec, -1
; %bb.3539:
	s_or_b64 exec, exec, s[8:9]
	s_and_b64 s[4:5], s[4:5], exec
                                        ; implicit-def: $vgpr3
	s_or_saveexec_b64 s[6:7], s[6:7]
	v_mov_b32_e32 v2, s10
	s_xor_b64 exec, exec, s[6:7]
	s_cbranch_execz .LBB58_1490
.LBB58_3540:
	v_cmp_ne_u16_e32 vcc, 0, v3
	s_andn2_b64 s[4:5], s[4:5], exec
	s_and_b64 s[8:9], vcc, exec
	v_mov_b32_e32 v2, 0
	s_or_b64 s[4:5], s[4:5], s[8:9]
	s_or_b64 exec, exec, s[6:7]
	s_and_saveexec_b64 s[6:7], s[4:5]
	s_cbranch_execnz .LBB58_1491
	s_branch .LBB58_1492
.LBB58_3541:
	s_movk_i32 s4, 0x80
	v_cmp_eq_u16_e32 vcc, s4, v3
	s_mov_b64 s[4:5], -1
                                        ; implicit-def: $sgpr10
	s_and_saveexec_b64 s[8:9], vcc
; %bb.3542:
	s_mov_b32 s10, 0x7f800001
	s_xor_b64 s[4:5], exec, -1
; %bb.3543:
	s_or_b64 exec, exec, s[8:9]
	s_and_b64 s[4:5], s[4:5], exec
                                        ; implicit-def: $vgpr3
	s_or_saveexec_b64 s[6:7], s[6:7]
	v_mov_b32_e32 v6, s10
	s_xor_b64 exec, exec, s[6:7]
	s_cbranch_execz .LBB58_1494
.LBB58_3544:
	v_cmp_ne_u16_e32 vcc, 0, v3
	s_andn2_b64 s[4:5], s[4:5], exec
	s_and_b64 s[8:9], vcc, exec
	v_mov_b32_e32 v6, 0
	s_or_b64 s[4:5], s[4:5], s[8:9]
	s_or_b64 exec, exec, s[6:7]
	s_and_saveexec_b64 s[6:7], s[4:5]
	s_cbranch_execnz .LBB58_1495
	s_branch .LBB58_1496
.LBB58_3545:
	s_movk_i32 s4, 0x80
	v_cmp_eq_u16_sdwa s[12:13], v8, s4 src0_sel:BYTE_3 src1_sel:DWORD
	s_mov_b64 s[4:5], -1
                                        ; implicit-def: $sgpr10
	s_and_saveexec_b64 s[8:9], s[12:13]
; %bb.3546:
	s_mov_b32 s10, 0x7f800001
	s_xor_b64 s[4:5], exec, -1
; %bb.3547:
	s_or_b64 exec, exec, s[8:9]
	s_and_b64 s[4:5], s[4:5], exec
	s_or_saveexec_b64 s[6:7], s[6:7]
	v_mov_b32_e32 v2, s10
	s_xor_b64 exec, exec, s[6:7]
	s_cbranch_execz .LBB58_1498
.LBB58_3548:
	v_mov_b32_e32 v2, 0
	v_cmp_ne_u16_sdwa s[8:9], v8, v2 src0_sel:BYTE_3 src1_sel:DWORD
	s_andn2_b64 s[4:5], s[4:5], exec
	s_and_b64 s[8:9], s[8:9], exec
	s_or_b64 s[4:5], s[4:5], s[8:9]
	s_or_b64 exec, exec, s[6:7]
	s_and_saveexec_b64 s[6:7], s[4:5]
	s_cbranch_execnz .LBB58_1499
	s_branch .LBB58_1500
.LBB58_3549:
	s_movk_i32 s4, 0x80
	v_cmp_eq_u16_sdwa s[12:13], v4, s4 src0_sel:BYTE_3 src1_sel:DWORD
	s_mov_b64 s[4:5], -1
                                        ; implicit-def: $sgpr10
	s_and_saveexec_b64 s[8:9], s[12:13]
; %bb.3550:
	s_mov_b32 s10, 0x7f800001
	s_xor_b64 s[4:5], exec, -1
; %bb.3551:
	s_or_b64 exec, exec, s[8:9]
	s_and_b64 s[4:5], s[4:5], exec
	s_or_saveexec_b64 s[6:7], s[6:7]
	v_mov_b32_e32 v3, s10
	s_xor_b64 exec, exec, s[6:7]
	s_cbranch_execz .LBB58_1502
.LBB58_3552:
	v_mov_b32_e32 v3, 0
	v_cmp_ne_u16_sdwa s[8:9], v4, v3 src0_sel:BYTE_3 src1_sel:DWORD
	s_andn2_b64 s[4:5], s[4:5], exec
	s_and_b64 s[8:9], s[8:9], exec
	s_or_b64 s[4:5], s[4:5], s[8:9]
	s_or_b64 exec, exec, s[6:7]
	s_and_saveexec_b64 s[6:7], s[4:5]
	s_cbranch_execnz .LBB58_1503
	s_branch .LBB58_1504
.LBB58_3553:
	s_movk_i32 s4, 0x80
	v_cmp_eq_u16_sdwa s[12:13], v9, s4 src0_sel:BYTE_0 src1_sel:DWORD
	s_mov_b64 s[4:5], -1
                                        ; implicit-def: $sgpr10
	s_and_saveexec_b64 s[8:9], s[12:13]
; %bb.3554:
	s_mov_b32 s10, 0x7f800001
	s_xor_b64 s[4:5], exec, -1
; %bb.3555:
	s_or_b64 exec, exec, s[8:9]
	s_and_b64 s[4:5], s[4:5], exec
	s_or_saveexec_b64 s[6:7], s[6:7]
	v_mov_b32_e32 v2, s10
	s_xor_b64 exec, exec, s[6:7]
	s_cbranch_execz .LBB58_1506
.LBB58_3556:
	v_mov_b32_e32 v2, 0
	v_cmp_ne_u16_sdwa s[8:9], v9, v2 src0_sel:BYTE_0 src1_sel:DWORD
	s_andn2_b64 s[4:5], s[4:5], exec
	s_and_b64 s[8:9], s[8:9], exec
	s_or_b64 s[4:5], s[4:5], s[8:9]
	s_or_b64 exec, exec, s[6:7]
	s_and_saveexec_b64 s[6:7], s[4:5]
	s_cbranch_execnz .LBB58_1507
	s_branch .LBB58_1508
.LBB58_3557:
	s_movk_i32 s4, 0x80
	v_cmp_eq_u16_sdwa s[12:13], v5, s4 src0_sel:BYTE_0 src1_sel:DWORD
	s_mov_b64 s[4:5], -1
                                        ; implicit-def: $sgpr10
	s_and_saveexec_b64 s[8:9], s[12:13]
; %bb.3558:
	s_mov_b32 s10, 0x7f800001
	s_xor_b64 s[4:5], exec, -1
; %bb.3559:
	s_or_b64 exec, exec, s[8:9]
	s_and_b64 s[4:5], s[4:5], exec
	s_or_saveexec_b64 s[6:7], s[6:7]
	v_mov_b32_e32 v3, s10
	s_xor_b64 exec, exec, s[6:7]
	s_cbranch_execz .LBB58_1510
.LBB58_3560:
	v_mov_b32_e32 v3, 0
	v_cmp_ne_u16_sdwa s[8:9], v5, v3 src0_sel:BYTE_0 src1_sel:DWORD
	s_andn2_b64 s[4:5], s[4:5], exec
	s_and_b64 s[8:9], s[8:9], exec
	s_or_b64 s[4:5], s[4:5], s[8:9]
	s_or_b64 exec, exec, s[6:7]
	s_and_saveexec_b64 s[6:7], s[4:5]
	s_cbranch_execnz .LBB58_1511
	s_branch .LBB58_1512
.LBB58_3561:
	s_movk_i32 s4, 0x80
	v_cmp_eq_u16_sdwa s[12:13], v3, s4 src0_sel:BYTE_0 src1_sel:DWORD
	s_mov_b64 s[4:5], -1
                                        ; implicit-def: $sgpr10
	s_and_saveexec_b64 s[8:9], s[12:13]
; %bb.3562:
	s_mov_b32 s10, 0x7f800001
	s_xor_b64 s[4:5], exec, -1
; %bb.3563:
	s_or_b64 exec, exec, s[8:9]
	s_and_b64 s[4:5], s[4:5], exec
	s_or_saveexec_b64 s[6:7], s[6:7]
	v_mov_b32_e32 v2, s10
	s_xor_b64 exec, exec, s[6:7]
	s_cbranch_execz .LBB58_1514
.LBB58_3564:
	v_mov_b32_e32 v2, 0
	v_cmp_ne_u16_sdwa s[8:9], v3, v2 src0_sel:BYTE_0 src1_sel:DWORD
	s_andn2_b64 s[4:5], s[4:5], exec
	s_and_b64 s[8:9], s[8:9], exec
	s_or_b64 s[4:5], s[4:5], s[8:9]
	s_or_b64 exec, exec, s[6:7]
	s_and_saveexec_b64 s[6:7], s[4:5]
	s_cbranch_execnz .LBB58_1515
	s_branch .LBB58_1516
.LBB58_3565:
	s_movk_i32 s4, 0x80
	v_cmp_eq_u16_sdwa s[12:13], v3, s4 src0_sel:BYTE_0 src1_sel:DWORD
	s_mov_b64 s[4:5], -1
                                        ; implicit-def: $sgpr10
	s_and_saveexec_b64 s[8:9], s[12:13]
; %bb.3566:
	s_mov_b32 s10, 0x7f800001
	s_xor_b64 s[4:5], exec, -1
; %bb.3567:
	s_or_b64 exec, exec, s[8:9]
	s_and_b64 s[4:5], s[4:5], exec
	s_or_saveexec_b64 s[6:7], s[6:7]
	v_mov_b32_e32 v4, s10
	s_xor_b64 exec, exec, s[6:7]
	s_cbranch_execz .LBB58_1518
.LBB58_3568:
	v_mov_b32_e32 v4, 0
	v_cmp_ne_u16_sdwa s[8:9], v3, v4 src0_sel:BYTE_0 src1_sel:DWORD
	s_andn2_b64 s[4:5], s[4:5], exec
	s_and_b64 s[8:9], s[8:9], exec
	s_or_b64 s[4:5], s[4:5], s[8:9]
	s_or_b64 exec, exec, s[6:7]
	s_and_saveexec_b64 s[6:7], s[4:5]
	s_cbranch_execnz .LBB58_1519
	s_branch .LBB58_1520
.LBB58_3569:
	s_movk_i32 s4, 0x80
	v_cmp_eq_u16_e32 vcc, s4, v3
	s_mov_b64 s[4:5], -1
                                        ; implicit-def: $sgpr10
	s_and_saveexec_b64 s[8:9], vcc
; %bb.3570:
	s_mov_b32 s10, 0x7f800001
	s_xor_b64 s[4:5], exec, -1
; %bb.3571:
	s_or_b64 exec, exec, s[8:9]
	s_and_b64 s[4:5], s[4:5], exec
                                        ; implicit-def: $vgpr3
	s_or_saveexec_b64 s[6:7], s[6:7]
	v_mov_b32_e32 v2, s10
	s_xor_b64 exec, exec, s[6:7]
	s_cbranch_execz .LBB58_1522
.LBB58_3572:
	v_cmp_ne_u16_e32 vcc, 0, v3
	s_andn2_b64 s[4:5], s[4:5], exec
	s_and_b64 s[8:9], vcc, exec
	v_mov_b32_e32 v2, 0
	s_or_b64 s[4:5], s[4:5], s[8:9]
	s_or_b64 exec, exec, s[6:7]
	s_and_saveexec_b64 s[6:7], s[4:5]
	s_cbranch_execnz .LBB58_1523
	s_branch .LBB58_1524
.LBB58_3573:
	s_movk_i32 s4, 0x80
	v_cmp_eq_u16_e32 vcc, s4, v3
	s_mov_b64 s[4:5], -1
                                        ; implicit-def: $sgpr10
	s_and_saveexec_b64 s[8:9], vcc
; %bb.3574:
	s_mov_b32 s10, 0x7f800001
	s_xor_b64 s[4:5], exec, -1
; %bb.3575:
	s_or_b64 exec, exec, s[8:9]
	s_and_b64 s[4:5], s[4:5], exec
                                        ; implicit-def: $vgpr3
	s_or_saveexec_b64 s[6:7], s[6:7]
	v_mov_b32_e32 v4, s10
	s_xor_b64 exec, exec, s[6:7]
	s_cbranch_execz .LBB58_1526
.LBB58_3576:
	v_cmp_ne_u16_e32 vcc, 0, v3
	s_andn2_b64 s[4:5], s[4:5], exec
	s_and_b64 s[8:9], vcc, exec
	v_mov_b32_e32 v4, 0
	s_or_b64 s[4:5], s[4:5], s[8:9]
	s_or_b64 exec, exec, s[6:7]
	s_and_saveexec_b64 s[6:7], s[4:5]
	s_cbranch_execnz .LBB58_1527
	s_branch .LBB58_1528
.LBB58_3577:
	s_movk_i32 s4, 0x80
	v_cmp_eq_u16_sdwa s[12:13], v9, s4 src0_sel:BYTE_3 src1_sel:DWORD
	s_mov_b64 s[4:5], -1
                                        ; implicit-def: $sgpr10
	s_and_saveexec_b64 s[8:9], s[12:13]
; %bb.3578:
	s_mov_b32 s10, 0x7f800001
	s_xor_b64 s[4:5], exec, -1
; %bb.3579:
	s_or_b64 exec, exec, s[8:9]
	s_and_b64 s[4:5], s[4:5], exec
	s_or_saveexec_b64 s[6:7], s[6:7]
	v_mov_b32_e32 v2, s10
	s_xor_b64 exec, exec, s[6:7]
	s_cbranch_execz .LBB58_1530
.LBB58_3580:
	v_mov_b32_e32 v2, 0
	v_cmp_ne_u16_sdwa s[8:9], v9, v2 src0_sel:BYTE_3 src1_sel:DWORD
	s_andn2_b64 s[4:5], s[4:5], exec
	s_and_b64 s[8:9], s[8:9], exec
	s_or_b64 s[4:5], s[4:5], s[8:9]
	s_or_b64 exec, exec, s[6:7]
	s_and_saveexec_b64 s[6:7], s[4:5]
	s_cbranch_execnz .LBB58_1531
	s_branch .LBB58_1532
.LBB58_3581:
	s_movk_i32 s4, 0x80
	v_cmp_eq_u16_sdwa s[12:13], v5, s4 src0_sel:BYTE_3 src1_sel:DWORD
	s_mov_b64 s[4:5], -1
                                        ; implicit-def: $sgpr10
	s_and_saveexec_b64 s[8:9], s[12:13]
; %bb.3582:
	s_mov_b32 s10, 0x7f800001
	s_xor_b64 s[4:5], exec, -1
; %bb.3583:
	s_or_b64 exec, exec, s[8:9]
	s_and_b64 s[4:5], s[4:5], exec
	s_or_saveexec_b64 s[6:7], s[6:7]
	v_mov_b32_e32 v3, s10
	s_xor_b64 exec, exec, s[6:7]
	s_cbranch_execz .LBB58_1534
.LBB58_3584:
	v_mov_b32_e32 v3, 0
	v_cmp_ne_u16_sdwa s[8:9], v5, v3 src0_sel:BYTE_3 src1_sel:DWORD
	s_andn2_b64 s[4:5], s[4:5], exec
	s_and_b64 s[8:9], s[8:9], exec
	s_or_b64 s[4:5], s[4:5], s[8:9]
	s_or_b64 exec, exec, s[6:7]
	s_and_saveexec_b64 s[6:7], s[4:5]
	s_cbranch_execnz .LBB58_1535
	s_branch .LBB58_1536
.LBB58_3585:
	s_movk_i32 s4, 0x80
	v_cmp_eq_u16_sdwa s[12:13], v14, s4 src0_sel:BYTE_0 src1_sel:DWORD
	s_mov_b64 s[4:5], -1
                                        ; implicit-def: $sgpr10
	s_and_saveexec_b64 s[8:9], s[12:13]
; %bb.3586:
	s_mov_b32 s10, 0x7f800001
	s_xor_b64 s[4:5], exec, -1
; %bb.3587:
	s_or_b64 exec, exec, s[8:9]
	s_and_b64 s[4:5], s[4:5], exec
	s_or_saveexec_b64 s[6:7], s[6:7]
	v_mov_b32_e32 v20, s10
	s_xor_b64 exec, exec, s[6:7]
	s_cbranch_execz .LBB58_1538
.LBB58_3588:
	v_mov_b32_e32 v20, 0
	v_cmp_ne_u16_sdwa s[8:9], v14, v20 src0_sel:BYTE_0 src1_sel:DWORD
	s_andn2_b64 s[4:5], s[4:5], exec
	s_and_b64 s[8:9], s[8:9], exec
	s_or_b64 s[4:5], s[4:5], s[8:9]
	s_or_b64 exec, exec, s[6:7]
	s_and_saveexec_b64 s[6:7], s[4:5]
	s_cbranch_execnz .LBB58_1539
	s_branch .LBB58_1540
.LBB58_3589:
	s_movk_i32 s4, 0x80
	v_cmp_eq_u16_sdwa s[12:13], v10, s4 src0_sel:BYTE_0 src1_sel:DWORD
	s_mov_b64 s[4:5], -1
                                        ; implicit-def: $sgpr10
	s_and_saveexec_b64 s[8:9], s[12:13]
; %bb.3590:
	s_mov_b32 s10, 0x7f800001
	s_xor_b64 s[4:5], exec, -1
; %bb.3591:
	s_or_b64 exec, exec, s[8:9]
	s_and_b64 s[4:5], s[4:5], exec
	s_or_saveexec_b64 s[6:7], s[6:7]
	v_mov_b32_e32 v21, s10
	s_xor_b64 exec, exec, s[6:7]
	s_cbranch_execz .LBB58_1542
.LBB58_3592:
	v_mov_b32_e32 v21, 0
	v_cmp_ne_u16_sdwa s[8:9], v10, v21 src0_sel:BYTE_0 src1_sel:DWORD
	s_andn2_b64 s[4:5], s[4:5], exec
	s_and_b64 s[8:9], s[8:9], exec
	s_or_b64 s[4:5], s[4:5], s[8:9]
	s_or_b64 exec, exec, s[6:7]
	s_and_saveexec_b64 s[6:7], s[4:5]
	s_cbranch_execnz .LBB58_1543
	s_branch .LBB58_1544
.LBB58_3593:
	s_movk_i32 s4, 0x80
	v_cmp_eq_u16_sdwa s[12:13], v21, s4 src0_sel:BYTE_0 src1_sel:DWORD
	s_mov_b64 s[4:5], -1
                                        ; implicit-def: $sgpr10
	s_and_saveexec_b64 s[8:9], s[12:13]
; %bb.3594:
	s_mov_b32 s10, 0x7f800001
	s_xor_b64 s[4:5], exec, -1
; %bb.3595:
	s_or_b64 exec, exec, s[8:9]
	s_and_b64 s[4:5], s[4:5], exec
	s_or_saveexec_b64 s[6:7], s[6:7]
	v_mov_b32_e32 v20, s10
	s_xor_b64 exec, exec, s[6:7]
	s_cbranch_execz .LBB58_1546
.LBB58_3596:
	v_mov_b32_e32 v20, 0
	v_cmp_ne_u16_sdwa s[8:9], v21, v20 src0_sel:BYTE_0 src1_sel:DWORD
	s_andn2_b64 s[4:5], s[4:5], exec
	s_and_b64 s[8:9], s[8:9], exec
	s_or_b64 s[4:5], s[4:5], s[8:9]
	s_or_b64 exec, exec, s[6:7]
	s_and_saveexec_b64 s[6:7], s[4:5]
	s_cbranch_execnz .LBB58_1547
	s_branch .LBB58_1548
.LBB58_3597:
	s_movk_i32 s4, 0x80
	v_cmp_eq_u16_sdwa s[12:13], v21, s4 src0_sel:BYTE_0 src1_sel:DWORD
	s_mov_b64 s[4:5], -1
                                        ; implicit-def: $sgpr10
	s_and_saveexec_b64 s[8:9], s[12:13]
; %bb.3598:
	s_mov_b32 s10, 0x7f800001
	s_xor_b64 s[4:5], exec, -1
; %bb.3599:
	s_or_b64 exec, exec, s[8:9]
	s_and_b64 s[4:5], s[4:5], exec
	s_or_saveexec_b64 s[6:7], s[6:7]
	v_mov_b32_e32 v22, s10
	s_xor_b64 exec, exec, s[6:7]
	s_cbranch_execz .LBB58_1550
.LBB58_3600:
	v_mov_b32_e32 v22, 0
	v_cmp_ne_u16_sdwa s[8:9], v21, v22 src0_sel:BYTE_0 src1_sel:DWORD
	s_andn2_b64 s[4:5], s[4:5], exec
	s_and_b64 s[8:9], s[8:9], exec
	s_or_b64 s[4:5], s[4:5], s[8:9]
	s_or_b64 exec, exec, s[6:7]
	s_and_saveexec_b64 s[6:7], s[4:5]
	s_cbranch_execnz .LBB58_1551
	s_branch .LBB58_1552
.LBB58_3601:
	s_movk_i32 s4, 0x80
	v_cmp_eq_u16_e32 vcc, s4, v21
	s_mov_b64 s[4:5], -1
                                        ; implicit-def: $sgpr10
	s_and_saveexec_b64 s[8:9], vcc
; %bb.3602:
	s_mov_b32 s10, 0x7f800001
	s_xor_b64 s[4:5], exec, -1
; %bb.3603:
	s_or_b64 exec, exec, s[8:9]
	s_and_b64 s[4:5], s[4:5], exec
                                        ; implicit-def: $vgpr21
	s_or_saveexec_b64 s[6:7], s[6:7]
	v_mov_b32_e32 v20, s10
	s_xor_b64 exec, exec, s[6:7]
	s_cbranch_execz .LBB58_1554
.LBB58_3604:
	v_cmp_ne_u16_e32 vcc, 0, v21
	s_andn2_b64 s[4:5], s[4:5], exec
	s_and_b64 s[8:9], vcc, exec
	v_mov_b32_e32 v20, 0
	s_or_b64 s[4:5], s[4:5], s[8:9]
	s_or_b64 exec, exec, s[6:7]
	s_and_saveexec_b64 s[6:7], s[4:5]
	s_cbranch_execnz .LBB58_1555
	s_branch .LBB58_1556
.LBB58_3605:
	s_movk_i32 s4, 0x80
	v_cmp_eq_u16_e32 vcc, s4, v21
	s_mov_b64 s[4:5], -1
                                        ; implicit-def: $sgpr10
	s_and_saveexec_b64 s[8:9], vcc
; %bb.3606:
	s_mov_b32 s10, 0x7f800001
	s_xor_b64 s[4:5], exec, -1
; %bb.3607:
	s_or_b64 exec, exec, s[8:9]
	s_and_b64 s[4:5], s[4:5], exec
                                        ; implicit-def: $vgpr21
	s_or_saveexec_b64 s[6:7], s[6:7]
	v_mov_b32_e32 v22, s10
	s_xor_b64 exec, exec, s[6:7]
	s_cbranch_execz .LBB58_1558
.LBB58_3608:
	v_cmp_ne_u16_e32 vcc, 0, v21
	s_andn2_b64 s[4:5], s[4:5], exec
	s_and_b64 s[8:9], vcc, exec
	v_mov_b32_e32 v22, 0
	s_or_b64 s[4:5], s[4:5], s[8:9]
	s_or_b64 exec, exec, s[6:7]
	s_and_saveexec_b64 s[6:7], s[4:5]
	s_cbranch_execnz .LBB58_1559
	s_branch .LBB58_1560
.LBB58_3609:
	s_movk_i32 s4, 0x80
	v_cmp_eq_u16_sdwa s[12:13], v14, s4 src0_sel:BYTE_3 src1_sel:DWORD
	s_mov_b64 s[4:5], -1
                                        ; implicit-def: $sgpr10
	s_and_saveexec_b64 s[8:9], s[12:13]
; %bb.3610:
	s_mov_b32 s10, 0x7f800001
	s_xor_b64 s[4:5], exec, -1
; %bb.3611:
	s_or_b64 exec, exec, s[8:9]
	s_and_b64 s[4:5], s[4:5], exec
	s_or_saveexec_b64 s[6:7], s[6:7]
	v_mov_b32_e32 v20, s10
	s_xor_b64 exec, exec, s[6:7]
	s_cbranch_execz .LBB58_1562
.LBB58_3612:
	v_mov_b32_e32 v20, 0
	v_cmp_ne_u16_sdwa s[8:9], v14, v20 src0_sel:BYTE_3 src1_sel:DWORD
	s_andn2_b64 s[4:5], s[4:5], exec
	s_and_b64 s[8:9], s[8:9], exec
	s_or_b64 s[4:5], s[4:5], s[8:9]
	s_or_b64 exec, exec, s[6:7]
	s_and_saveexec_b64 s[6:7], s[4:5]
	s_cbranch_execnz .LBB58_1563
	s_branch .LBB58_1564
.LBB58_3613:
	s_movk_i32 s4, 0x80
	v_cmp_eq_u16_sdwa s[12:13], v10, s4 src0_sel:BYTE_3 src1_sel:DWORD
	s_mov_b64 s[4:5], -1
                                        ; implicit-def: $sgpr10
	s_and_saveexec_b64 s[8:9], s[12:13]
; %bb.3614:
	s_mov_b32 s10, 0x7f800001
	s_xor_b64 s[4:5], exec, -1
; %bb.3615:
	s_or_b64 exec, exec, s[8:9]
	s_and_b64 s[4:5], s[4:5], exec
	s_or_saveexec_b64 s[6:7], s[6:7]
	v_mov_b32_e32 v14, s10
	s_xor_b64 exec, exec, s[6:7]
	s_cbranch_execz .LBB58_1566
.LBB58_3616:
	v_mov_b32_e32 v14, 0
	v_cmp_ne_u16_sdwa s[8:9], v10, v14 src0_sel:BYTE_3 src1_sel:DWORD
	s_andn2_b64 s[4:5], s[4:5], exec
	s_and_b64 s[8:9], s[8:9], exec
	s_or_b64 s[4:5], s[4:5], s[8:9]
	s_or_b64 exec, exec, s[6:7]
	s_and_saveexec_b64 s[6:7], s[4:5]
	s_cbranch_execnz .LBB58_1567
	s_branch .LBB58_1568
.LBB58_3617:
	s_movk_i32 s4, 0x80
	v_cmp_eq_u16_sdwa s[12:13], v15, s4 src0_sel:BYTE_0 src1_sel:DWORD
	s_mov_b64 s[4:5], -1
                                        ; implicit-def: $sgpr10
	s_and_saveexec_b64 s[8:9], s[12:13]
; %bb.3618:
	s_mov_b32 s10, 0x7f800001
	s_xor_b64 s[4:5], exec, -1
; %bb.3619:
	s_or_b64 exec, exec, s[8:9]
	s_and_b64 s[4:5], s[4:5], exec
	s_or_saveexec_b64 s[6:7], s[6:7]
	v_mov_b32_e32 v10, s10
	s_xor_b64 exec, exec, s[6:7]
	s_cbranch_execz .LBB58_1570
.LBB58_3620:
	v_mov_b32_e32 v10, 0
	v_cmp_ne_u16_sdwa s[8:9], v15, v10 src0_sel:BYTE_0 src1_sel:DWORD
	s_andn2_b64 s[4:5], s[4:5], exec
	s_and_b64 s[8:9], s[8:9], exec
	s_or_b64 s[4:5], s[4:5], s[8:9]
	s_or_b64 exec, exec, s[6:7]
	s_and_saveexec_b64 s[6:7], s[4:5]
	s_cbranch_execnz .LBB58_1571
	s_branch .LBB58_1572
.LBB58_3621:
	s_movk_i32 s4, 0x80
	v_cmp_eq_u16_sdwa s[12:13], v11, s4 src0_sel:BYTE_0 src1_sel:DWORD
	s_mov_b64 s[4:5], -1
                                        ; implicit-def: $sgpr10
	s_and_saveexec_b64 s[8:9], s[12:13]
; %bb.3622:
	s_mov_b32 s10, 0x7f800001
	s_xor_b64 s[4:5], exec, -1
; %bb.3623:
	s_or_b64 exec, exec, s[8:9]
	s_and_b64 s[4:5], s[4:5], exec
	s_or_saveexec_b64 s[6:7], s[6:7]
	v_mov_b32_e32 v14, s10
	s_xor_b64 exec, exec, s[6:7]
	s_cbranch_execz .LBB58_1574
.LBB58_3624:
	v_mov_b32_e32 v14, 0
	v_cmp_ne_u16_sdwa s[8:9], v11, v14 src0_sel:BYTE_0 src1_sel:DWORD
	s_andn2_b64 s[4:5], s[4:5], exec
	s_and_b64 s[8:9], s[8:9], exec
	s_or_b64 s[4:5], s[4:5], s[8:9]
	s_or_b64 exec, exec, s[6:7]
	s_and_saveexec_b64 s[6:7], s[4:5]
	s_cbranch_execnz .LBB58_1575
	s_branch .LBB58_1576
.LBB58_3625:
	s_movk_i32 s4, 0x80
	v_cmp_eq_u16_sdwa s[12:13], v14, s4 src0_sel:BYTE_0 src1_sel:DWORD
	s_mov_b64 s[4:5], -1
                                        ; implicit-def: $sgpr10
	s_and_saveexec_b64 s[8:9], s[12:13]
; %bb.3626:
	s_mov_b32 s10, 0x7f800001
	s_xor_b64 s[4:5], exec, -1
; %bb.3627:
	s_or_b64 exec, exec, s[8:9]
	s_and_b64 s[4:5], s[4:5], exec
	s_or_saveexec_b64 s[6:7], s[6:7]
	v_mov_b32_e32 v10, s10
	s_xor_b64 exec, exec, s[6:7]
	s_cbranch_execz .LBB58_1578
.LBB58_3628:
	v_mov_b32_e32 v10, 0
	v_cmp_ne_u16_sdwa s[8:9], v14, v10 src0_sel:BYTE_0 src1_sel:DWORD
	s_andn2_b64 s[4:5], s[4:5], exec
	s_and_b64 s[8:9], s[8:9], exec
	s_or_b64 s[4:5], s[4:5], s[8:9]
	s_or_b64 exec, exec, s[6:7]
	s_and_saveexec_b64 s[6:7], s[4:5]
	s_cbranch_execnz .LBB58_1579
	s_branch .LBB58_1580
.LBB58_3629:
	s_movk_i32 s4, 0x80
	v_cmp_eq_u16_sdwa s[12:13], v14, s4 src0_sel:BYTE_0 src1_sel:DWORD
	s_mov_b64 s[4:5], -1
                                        ; implicit-def: $sgpr10
	s_and_saveexec_b64 s[8:9], s[12:13]
; %bb.3630:
	s_mov_b32 s10, 0x7f800001
	s_xor_b64 s[4:5], exec, -1
; %bb.3631:
	s_or_b64 exec, exec, s[8:9]
	s_and_b64 s[4:5], s[4:5], exec
	s_or_saveexec_b64 s[6:7], s[6:7]
	v_mov_b32_e32 v20, s10
	s_xor_b64 exec, exec, s[6:7]
	s_cbranch_execz .LBB58_1582
.LBB58_3632:
	v_mov_b32_e32 v20, 0
	v_cmp_ne_u16_sdwa s[8:9], v14, v20 src0_sel:BYTE_0 src1_sel:DWORD
	s_andn2_b64 s[4:5], s[4:5], exec
	s_and_b64 s[8:9], s[8:9], exec
	s_or_b64 s[4:5], s[4:5], s[8:9]
	s_or_b64 exec, exec, s[6:7]
	s_and_saveexec_b64 s[6:7], s[4:5]
	s_cbranch_execnz .LBB58_1583
	s_branch .LBB58_1584
.LBB58_3633:
	s_movk_i32 s4, 0x80
	v_cmp_eq_u16_e32 vcc, s4, v14
	s_mov_b64 s[4:5], -1
                                        ; implicit-def: $sgpr10
	s_and_saveexec_b64 s[8:9], vcc
; %bb.3634:
	s_mov_b32 s10, 0x7f800001
	s_xor_b64 s[4:5], exec, -1
; %bb.3635:
	s_or_b64 exec, exec, s[8:9]
	s_and_b64 s[4:5], s[4:5], exec
                                        ; implicit-def: $vgpr14
	s_or_saveexec_b64 s[6:7], s[6:7]
	v_mov_b32_e32 v10, s10
	s_xor_b64 exec, exec, s[6:7]
	s_cbranch_execz .LBB58_1586
.LBB58_3636:
	v_cmp_ne_u16_e32 vcc, 0, v14
	s_andn2_b64 s[4:5], s[4:5], exec
	s_and_b64 s[8:9], vcc, exec
	v_mov_b32_e32 v10, 0
	s_or_b64 s[4:5], s[4:5], s[8:9]
	s_or_b64 exec, exec, s[6:7]
	s_and_saveexec_b64 s[6:7], s[4:5]
	s_cbranch_execnz .LBB58_1587
	s_branch .LBB58_1588
.LBB58_3637:
	s_movk_i32 s4, 0x80
	v_cmp_eq_u16_e32 vcc, s4, v14
	s_mov_b64 s[4:5], -1
                                        ; implicit-def: $sgpr10
	s_and_saveexec_b64 s[8:9], vcc
; %bb.3638:
	s_mov_b32 s10, 0x7f800001
	s_xor_b64 s[4:5], exec, -1
; %bb.3639:
	s_or_b64 exec, exec, s[8:9]
	s_and_b64 s[4:5], s[4:5], exec
                                        ; implicit-def: $vgpr14
	s_or_saveexec_b64 s[6:7], s[6:7]
	v_mov_b32_e32 v20, s10
	s_xor_b64 exec, exec, s[6:7]
	s_cbranch_execz .LBB58_1590
.LBB58_3640:
	v_cmp_ne_u16_e32 vcc, 0, v14
	s_andn2_b64 s[4:5], s[4:5], exec
	s_and_b64 s[8:9], vcc, exec
	v_mov_b32_e32 v20, 0
	s_or_b64 s[4:5], s[4:5], s[8:9]
	s_or_b64 exec, exec, s[6:7]
	s_and_saveexec_b64 s[6:7], s[4:5]
	s_cbranch_execnz .LBB58_1591
	s_branch .LBB58_1592
.LBB58_3641:
	s_movk_i32 s4, 0x80
	v_cmp_eq_u16_sdwa s[12:13], v15, s4 src0_sel:BYTE_3 src1_sel:DWORD
	s_mov_b64 s[4:5], -1
                                        ; implicit-def: $sgpr10
	s_and_saveexec_b64 s[8:9], s[12:13]
; %bb.3642:
	s_mov_b32 s10, 0x7f800001
	s_xor_b64 s[4:5], exec, -1
; %bb.3643:
	s_or_b64 exec, exec, s[8:9]
	s_and_b64 s[4:5], s[4:5], exec
	s_or_saveexec_b64 s[6:7], s[6:7]
	v_mov_b32_e32 v10, s10
	s_xor_b64 exec, exec, s[6:7]
	s_cbranch_execz .LBB58_1594
.LBB58_3644:
	v_mov_b32_e32 v10, 0
	v_cmp_ne_u16_sdwa s[8:9], v15, v10 src0_sel:BYTE_3 src1_sel:DWORD
	s_andn2_b64 s[4:5], s[4:5], exec
	s_and_b64 s[8:9], s[8:9], exec
	s_or_b64 s[4:5], s[4:5], s[8:9]
	s_or_b64 exec, exec, s[6:7]
	s_and_saveexec_b64 s[6:7], s[4:5]
	s_cbranch_execnz .LBB58_1595
	s_branch .LBB58_1596
.LBB58_3645:
	s_movk_i32 s4, 0x80
	v_cmp_eq_u16_sdwa s[12:13], v11, s4 src0_sel:BYTE_3 src1_sel:DWORD
	s_mov_b64 s[4:5], -1
                                        ; implicit-def: $sgpr10
	s_and_saveexec_b64 s[8:9], s[12:13]
; %bb.3646:
	s_mov_b32 s10, 0x7f800001
	s_xor_b64 s[4:5], exec, -1
; %bb.3647:
	s_or_b64 exec, exec, s[8:9]
	s_and_b64 s[4:5], s[4:5], exec
	s_or_saveexec_b64 s[6:7], s[6:7]
	v_mov_b32_e32 v14, s10
	s_xor_b64 exec, exec, s[6:7]
	s_cbranch_execz .LBB58_1598
.LBB58_3648:
	v_mov_b32_e32 v14, 0
	v_cmp_ne_u16_sdwa s[8:9], v11, v14 src0_sel:BYTE_3 src1_sel:DWORD
	s_andn2_b64 s[4:5], s[4:5], exec
	s_and_b64 s[8:9], s[8:9], exec
	s_or_b64 s[4:5], s[4:5], s[8:9]
	s_or_b64 exec, exec, s[6:7]
	s_and_saveexec_b64 s[6:7], s[4:5]
	s_cbranch_execnz .LBB58_1599
	s_branch .LBB58_1600
.LBB58_3649:
	s_movk_i32 s4, 0x80
	v_cmp_eq_u16_sdwa s[12:13], v16, s4 src0_sel:BYTE_0 src1_sel:DWORD
	s_mov_b64 s[4:5], -1
                                        ; implicit-def: $sgpr10
	s_and_saveexec_b64 s[8:9], s[12:13]
; %bb.3650:
	s_mov_b32 s10, 0x7f800001
	s_xor_b64 s[4:5], exec, -1
; %bb.3651:
	s_or_b64 exec, exec, s[8:9]
	s_and_b64 s[4:5], s[4:5], exec
	s_or_saveexec_b64 s[6:7], s[6:7]
	v_mov_b32_e32 v10, s10
	s_xor_b64 exec, exec, s[6:7]
	s_cbranch_execz .LBB58_1602
.LBB58_3652:
	v_mov_b32_e32 v10, 0
	v_cmp_ne_u16_sdwa s[8:9], v16, v10 src0_sel:BYTE_0 src1_sel:DWORD
	s_andn2_b64 s[4:5], s[4:5], exec
	s_and_b64 s[8:9], s[8:9], exec
	s_or_b64 s[4:5], s[4:5], s[8:9]
	s_or_b64 exec, exec, s[6:7]
	s_and_saveexec_b64 s[6:7], s[4:5]
	s_cbranch_execnz .LBB58_1603
	s_branch .LBB58_1604
.LBB58_3653:
	s_movk_i32 s4, 0x80
	v_cmp_eq_u16_sdwa s[12:13], v12, s4 src0_sel:BYTE_0 src1_sel:DWORD
	s_mov_b64 s[4:5], -1
                                        ; implicit-def: $sgpr10
	s_and_saveexec_b64 s[8:9], s[12:13]
; %bb.3654:
	s_mov_b32 s10, 0x7f800001
	s_xor_b64 s[4:5], exec, -1
; %bb.3655:
	s_or_b64 exec, exec, s[8:9]
	s_and_b64 s[4:5], s[4:5], exec
	s_or_saveexec_b64 s[6:7], s[6:7]
	v_mov_b32_e32 v11, s10
	s_xor_b64 exec, exec, s[6:7]
	s_cbranch_execz .LBB58_1606
.LBB58_3656:
	v_mov_b32_e32 v11, 0
	v_cmp_ne_u16_sdwa s[8:9], v12, v11 src0_sel:BYTE_0 src1_sel:DWORD
	s_andn2_b64 s[4:5], s[4:5], exec
	s_and_b64 s[8:9], s[8:9], exec
	s_or_b64 s[4:5], s[4:5], s[8:9]
	s_or_b64 exec, exec, s[6:7]
	s_and_saveexec_b64 s[6:7], s[4:5]
	s_cbranch_execnz .LBB58_1607
	s_branch .LBB58_1608
.LBB58_3657:
	s_movk_i32 s4, 0x80
	v_cmp_eq_u16_sdwa s[12:13], v11, s4 src0_sel:BYTE_0 src1_sel:DWORD
	s_mov_b64 s[4:5], -1
                                        ; implicit-def: $sgpr10
	s_and_saveexec_b64 s[8:9], s[12:13]
; %bb.3658:
	s_mov_b32 s10, 0x7f800001
	s_xor_b64 s[4:5], exec, -1
; %bb.3659:
	s_or_b64 exec, exec, s[8:9]
	s_and_b64 s[4:5], s[4:5], exec
	s_or_saveexec_b64 s[6:7], s[6:7]
	v_mov_b32_e32 v10, s10
	s_xor_b64 exec, exec, s[6:7]
	s_cbranch_execz .LBB58_1610
.LBB58_3660:
	v_mov_b32_e32 v10, 0
	v_cmp_ne_u16_sdwa s[8:9], v11, v10 src0_sel:BYTE_0 src1_sel:DWORD
	s_andn2_b64 s[4:5], s[4:5], exec
	s_and_b64 s[8:9], s[8:9], exec
	s_or_b64 s[4:5], s[4:5], s[8:9]
	s_or_b64 exec, exec, s[6:7]
	s_and_saveexec_b64 s[6:7], s[4:5]
	s_cbranch_execnz .LBB58_1611
	s_branch .LBB58_1612
.LBB58_3661:
	s_movk_i32 s4, 0x80
	v_cmp_eq_u16_sdwa s[12:13], v11, s4 src0_sel:BYTE_0 src1_sel:DWORD
	s_mov_b64 s[4:5], -1
                                        ; implicit-def: $sgpr10
	s_and_saveexec_b64 s[8:9], s[12:13]
; %bb.3662:
	s_mov_b32 s10, 0x7f800001
	s_xor_b64 s[4:5], exec, -1
; %bb.3663:
	s_or_b64 exec, exec, s[8:9]
	s_and_b64 s[4:5], s[4:5], exec
	s_or_saveexec_b64 s[6:7], s[6:7]
	v_mov_b32_e32 v14, s10
	s_xor_b64 exec, exec, s[6:7]
	s_cbranch_execz .LBB58_1614
.LBB58_3664:
	v_mov_b32_e32 v14, 0
	v_cmp_ne_u16_sdwa s[8:9], v11, v14 src0_sel:BYTE_0 src1_sel:DWORD
	s_andn2_b64 s[4:5], s[4:5], exec
	s_and_b64 s[8:9], s[8:9], exec
	s_or_b64 s[4:5], s[4:5], s[8:9]
	s_or_b64 exec, exec, s[6:7]
	s_and_saveexec_b64 s[6:7], s[4:5]
	s_cbranch_execnz .LBB58_1615
	s_branch .LBB58_1616
.LBB58_3665:
	s_movk_i32 s4, 0x80
	v_cmp_eq_u16_e32 vcc, s4, v11
	s_mov_b64 s[4:5], -1
                                        ; implicit-def: $sgpr10
	s_and_saveexec_b64 s[8:9], vcc
; %bb.3666:
	s_mov_b32 s10, 0x7f800001
	s_xor_b64 s[4:5], exec, -1
; %bb.3667:
	s_or_b64 exec, exec, s[8:9]
	s_and_b64 s[4:5], s[4:5], exec
                                        ; implicit-def: $vgpr11
	s_or_saveexec_b64 s[6:7], s[6:7]
	v_mov_b32_e32 v10, s10
	s_xor_b64 exec, exec, s[6:7]
	s_cbranch_execz .LBB58_1618
.LBB58_3668:
	v_cmp_ne_u16_e32 vcc, 0, v11
	s_andn2_b64 s[4:5], s[4:5], exec
	s_and_b64 s[8:9], vcc, exec
	v_mov_b32_e32 v10, 0
	s_or_b64 s[4:5], s[4:5], s[8:9]
	s_or_b64 exec, exec, s[6:7]
	s_and_saveexec_b64 s[6:7], s[4:5]
	s_cbranch_execnz .LBB58_1619
	s_branch .LBB58_1620
.LBB58_3669:
	s_movk_i32 s4, 0x80
	v_cmp_eq_u16_e32 vcc, s4, v11
	s_mov_b64 s[4:5], -1
                                        ; implicit-def: $sgpr10
	s_and_saveexec_b64 s[8:9], vcc
; %bb.3670:
	s_mov_b32 s10, 0x7f800001
	s_xor_b64 s[4:5], exec, -1
; %bb.3671:
	s_or_b64 exec, exec, s[8:9]
	s_and_b64 s[4:5], s[4:5], exec
                                        ; implicit-def: $vgpr11
	s_or_saveexec_b64 s[6:7], s[6:7]
	v_mov_b32_e32 v14, s10
	s_xor_b64 exec, exec, s[6:7]
	s_cbranch_execz .LBB58_1622
.LBB58_3672:
	v_cmp_ne_u16_e32 vcc, 0, v11
	s_andn2_b64 s[4:5], s[4:5], exec
	s_and_b64 s[8:9], vcc, exec
	v_mov_b32_e32 v14, 0
	s_or_b64 s[4:5], s[4:5], s[8:9]
	s_or_b64 exec, exec, s[6:7]
	s_and_saveexec_b64 s[6:7], s[4:5]
	s_cbranch_execnz .LBB58_1623
	s_branch .LBB58_1624
.LBB58_3673:
	s_movk_i32 s4, 0x80
	v_cmp_eq_u16_sdwa s[12:13], v16, s4 src0_sel:BYTE_3 src1_sel:DWORD
	s_mov_b64 s[4:5], -1
                                        ; implicit-def: $sgpr10
	s_and_saveexec_b64 s[8:9], s[12:13]
; %bb.3674:
	s_mov_b32 s10, 0x7f800001
	s_xor_b64 s[4:5], exec, -1
; %bb.3675:
	s_or_b64 exec, exec, s[8:9]
	s_and_b64 s[4:5], s[4:5], exec
	s_or_saveexec_b64 s[6:7], s[6:7]
	v_mov_b32_e32 v10, s10
	s_xor_b64 exec, exec, s[6:7]
	s_cbranch_execz .LBB58_1626
.LBB58_3676:
	v_mov_b32_e32 v10, 0
	v_cmp_ne_u16_sdwa s[8:9], v16, v10 src0_sel:BYTE_3 src1_sel:DWORD
	s_andn2_b64 s[4:5], s[4:5], exec
	s_and_b64 s[8:9], s[8:9], exec
	s_or_b64 s[4:5], s[4:5], s[8:9]
	s_or_b64 exec, exec, s[6:7]
	s_and_saveexec_b64 s[6:7], s[4:5]
	s_cbranch_execnz .LBB58_1627
	s_branch .LBB58_1628
.LBB58_3677:
	s_movk_i32 s4, 0x80
	v_cmp_eq_u16_sdwa s[12:13], v12, s4 src0_sel:BYTE_3 src1_sel:DWORD
	s_mov_b64 s[4:5], -1
                                        ; implicit-def: $sgpr10
	s_and_saveexec_b64 s[8:9], s[12:13]
; %bb.3678:
	s_mov_b32 s10, 0x7f800001
	s_xor_b64 s[4:5], exec, -1
; %bb.3679:
	s_or_b64 exec, exec, s[8:9]
	s_and_b64 s[4:5], s[4:5], exec
	s_or_saveexec_b64 s[6:7], s[6:7]
	v_mov_b32_e32 v11, s10
	s_xor_b64 exec, exec, s[6:7]
	s_cbranch_execz .LBB58_1630
.LBB58_3680:
	v_mov_b32_e32 v11, 0
	v_cmp_ne_u16_sdwa s[8:9], v12, v11 src0_sel:BYTE_3 src1_sel:DWORD
	s_andn2_b64 s[4:5], s[4:5], exec
	s_and_b64 s[8:9], s[8:9], exec
	s_or_b64 s[4:5], s[4:5], s[8:9]
	s_or_b64 exec, exec, s[6:7]
	s_and_saveexec_b64 s[6:7], s[4:5]
	s_cbranch_execnz .LBB58_1631
	s_branch .LBB58_1632
.LBB58_3681:
	s_movk_i32 s4, 0x80
	v_cmp_eq_u16_sdwa s[12:13], v17, s4 src0_sel:BYTE_0 src1_sel:DWORD
	s_mov_b64 s[4:5], -1
                                        ; implicit-def: $sgpr10
	s_and_saveexec_b64 s[8:9], s[12:13]
; %bb.3682:
	s_mov_b32 s10, 0x7f800001
	s_xor_b64 s[4:5], exec, -1
; %bb.3683:
	s_or_b64 exec, exec, s[8:9]
	s_and_b64 s[4:5], s[4:5], exec
	s_or_saveexec_b64 s[6:7], s[6:7]
	v_mov_b32_e32 v10, s10
	s_xor_b64 exec, exec, s[6:7]
	s_cbranch_execz .LBB58_1634
.LBB58_3684:
	v_mov_b32_e32 v10, 0
	v_cmp_ne_u16_sdwa s[8:9], v17, v10 src0_sel:BYTE_0 src1_sel:DWORD
	s_andn2_b64 s[4:5], s[4:5], exec
	s_and_b64 s[8:9], s[8:9], exec
	s_or_b64 s[4:5], s[4:5], s[8:9]
	s_or_b64 exec, exec, s[6:7]
	s_and_saveexec_b64 s[6:7], s[4:5]
	s_cbranch_execnz .LBB58_1635
	s_branch .LBB58_1636
.LBB58_3685:
	s_movk_i32 s4, 0x80
	v_cmp_eq_u16_sdwa s[12:13], v13, s4 src0_sel:BYTE_0 src1_sel:DWORD
	s_mov_b64 s[4:5], -1
                                        ; implicit-def: $sgpr10
	s_and_saveexec_b64 s[8:9], s[12:13]
; %bb.3686:
	s_mov_b32 s10, 0x7f800001
	s_xor_b64 s[4:5], exec, -1
; %bb.3687:
	s_or_b64 exec, exec, s[8:9]
	s_and_b64 s[4:5], s[4:5], exec
	s_or_saveexec_b64 s[6:7], s[6:7]
	v_mov_b32_e32 v11, s10
	s_xor_b64 exec, exec, s[6:7]
	s_cbranch_execz .LBB58_1638
.LBB58_3688:
	v_mov_b32_e32 v11, 0
	v_cmp_ne_u16_sdwa s[8:9], v13, v11 src0_sel:BYTE_0 src1_sel:DWORD
	s_andn2_b64 s[4:5], s[4:5], exec
	s_and_b64 s[8:9], s[8:9], exec
	s_or_b64 s[4:5], s[4:5], s[8:9]
	s_or_b64 exec, exec, s[6:7]
	s_and_saveexec_b64 s[6:7], s[4:5]
	s_cbranch_execnz .LBB58_1639
	s_branch .LBB58_1640
.LBB58_3689:
	s_movk_i32 s4, 0x80
	v_cmp_eq_u16_sdwa s[12:13], v11, s4 src0_sel:BYTE_0 src1_sel:DWORD
	s_mov_b64 s[4:5], -1
                                        ; implicit-def: $sgpr10
	s_and_saveexec_b64 s[8:9], s[12:13]
; %bb.3690:
	s_mov_b32 s10, 0x7f800001
	s_xor_b64 s[4:5], exec, -1
; %bb.3691:
	s_or_b64 exec, exec, s[8:9]
	s_and_b64 s[4:5], s[4:5], exec
	s_or_saveexec_b64 s[6:7], s[6:7]
	v_mov_b32_e32 v10, s10
	s_xor_b64 exec, exec, s[6:7]
	s_cbranch_execz .LBB58_1642
.LBB58_3692:
	v_mov_b32_e32 v10, 0
	v_cmp_ne_u16_sdwa s[8:9], v11, v10 src0_sel:BYTE_0 src1_sel:DWORD
	s_andn2_b64 s[4:5], s[4:5], exec
	s_and_b64 s[8:9], s[8:9], exec
	s_or_b64 s[4:5], s[4:5], s[8:9]
	s_or_b64 exec, exec, s[6:7]
	s_and_saveexec_b64 s[6:7], s[4:5]
	s_cbranch_execnz .LBB58_1643
	s_branch .LBB58_1644
.LBB58_3693:
	s_movk_i32 s4, 0x80
	v_cmp_eq_u16_sdwa s[12:13], v11, s4 src0_sel:BYTE_0 src1_sel:DWORD
	s_mov_b64 s[4:5], -1
                                        ; implicit-def: $sgpr10
	s_and_saveexec_b64 s[8:9], s[12:13]
; %bb.3694:
	s_mov_b32 s10, 0x7f800001
	s_xor_b64 s[4:5], exec, -1
; %bb.3695:
	s_or_b64 exec, exec, s[8:9]
	s_and_b64 s[4:5], s[4:5], exec
	s_or_saveexec_b64 s[6:7], s[6:7]
	v_mov_b32_e32 v12, s10
	s_xor_b64 exec, exec, s[6:7]
	s_cbranch_execz .LBB58_1646
.LBB58_3696:
	v_mov_b32_e32 v12, 0
	v_cmp_ne_u16_sdwa s[8:9], v11, v12 src0_sel:BYTE_0 src1_sel:DWORD
	s_andn2_b64 s[4:5], s[4:5], exec
	s_and_b64 s[8:9], s[8:9], exec
	s_or_b64 s[4:5], s[4:5], s[8:9]
	s_or_b64 exec, exec, s[6:7]
	s_and_saveexec_b64 s[6:7], s[4:5]
	s_cbranch_execnz .LBB58_1647
	s_branch .LBB58_1648
.LBB58_3697:
	s_movk_i32 s4, 0x80
	v_cmp_eq_u16_e32 vcc, s4, v11
	s_mov_b64 s[4:5], -1
                                        ; implicit-def: $sgpr10
	s_and_saveexec_b64 s[8:9], vcc
; %bb.3698:
	s_mov_b32 s10, 0x7f800001
	s_xor_b64 s[4:5], exec, -1
; %bb.3699:
	s_or_b64 exec, exec, s[8:9]
	s_and_b64 s[4:5], s[4:5], exec
                                        ; implicit-def: $vgpr11
	s_or_saveexec_b64 s[6:7], s[6:7]
	v_mov_b32_e32 v10, s10
	s_xor_b64 exec, exec, s[6:7]
	s_cbranch_execz .LBB58_1650
.LBB58_3700:
	v_cmp_ne_u16_e32 vcc, 0, v11
	s_andn2_b64 s[4:5], s[4:5], exec
	s_and_b64 s[8:9], vcc, exec
	v_mov_b32_e32 v10, 0
	s_or_b64 s[4:5], s[4:5], s[8:9]
	s_or_b64 exec, exec, s[6:7]
	s_and_saveexec_b64 s[6:7], s[4:5]
	s_cbranch_execnz .LBB58_1651
	s_branch .LBB58_1652
.LBB58_3701:
	s_movk_i32 s4, 0x80
	v_cmp_eq_u16_e32 vcc, s4, v11
	s_mov_b64 s[4:5], -1
                                        ; implicit-def: $sgpr10
	s_and_saveexec_b64 s[8:9], vcc
; %bb.3702:
	s_mov_b32 s10, 0x7f800001
	s_xor_b64 s[4:5], exec, -1
; %bb.3703:
	s_or_b64 exec, exec, s[8:9]
	s_and_b64 s[4:5], s[4:5], exec
                                        ; implicit-def: $vgpr11
	s_or_saveexec_b64 s[6:7], s[6:7]
	v_mov_b32_e32 v12, s10
	s_xor_b64 exec, exec, s[6:7]
	s_cbranch_execz .LBB58_1654
.LBB58_3704:
	v_cmp_ne_u16_e32 vcc, 0, v11
	s_andn2_b64 s[4:5], s[4:5], exec
	s_and_b64 s[8:9], vcc, exec
	v_mov_b32_e32 v12, 0
	s_or_b64 s[4:5], s[4:5], s[8:9]
	s_or_b64 exec, exec, s[6:7]
	s_and_saveexec_b64 s[6:7], s[4:5]
	s_cbranch_execnz .LBB58_1655
	s_branch .LBB58_1656
.LBB58_3705:
	s_movk_i32 s4, 0x80
	v_cmp_eq_u16_sdwa s[12:13], v17, s4 src0_sel:BYTE_3 src1_sel:DWORD
	s_mov_b64 s[4:5], -1
                                        ; implicit-def: $sgpr10
	s_and_saveexec_b64 s[8:9], s[12:13]
; %bb.3706:
	s_mov_b32 s10, 0x7f800001
	s_xor_b64 s[4:5], exec, -1
; %bb.3707:
	s_or_b64 exec, exec, s[8:9]
	s_and_b64 s[4:5], s[4:5], exec
	s_or_saveexec_b64 s[6:7], s[6:7]
	v_mov_b32_e32 v10, s10
	s_xor_b64 exec, exec, s[6:7]
	s_cbranch_execz .LBB58_1658
.LBB58_3708:
	v_mov_b32_e32 v10, 0
	v_cmp_ne_u16_sdwa s[8:9], v17, v10 src0_sel:BYTE_3 src1_sel:DWORD
	s_andn2_b64 s[4:5], s[4:5], exec
	s_and_b64 s[8:9], s[8:9], exec
	s_or_b64 s[4:5], s[4:5], s[8:9]
	s_or_b64 exec, exec, s[6:7]
	s_and_saveexec_b64 s[6:7], s[4:5]
	s_cbranch_execnz .LBB58_1659
	s_branch .LBB58_1660
.LBB58_3709:
	s_movk_i32 s4, 0x80
	v_cmp_eq_u16_sdwa s[12:13], v13, s4 src0_sel:BYTE_3 src1_sel:DWORD
	s_mov_b64 s[4:5], -1
                                        ; implicit-def: $sgpr10
	s_and_saveexec_b64 s[8:9], s[12:13]
; %bb.3710:
	s_mov_b32 s10, 0x7f800001
	s_xor_b64 s[4:5], exec, -1
; %bb.3711:
	s_or_b64 exec, exec, s[8:9]
	s_and_b64 s[4:5], s[4:5], exec
	s_or_saveexec_b64 s[6:7], s[6:7]
	v_mov_b32_e32 v11, s10
	s_xor_b64 exec, exec, s[6:7]
	s_cbranch_execz .LBB58_1662
.LBB58_3712:
	v_mov_b32_e32 v11, 0
	v_cmp_ne_u16_sdwa s[8:9], v13, v11 src0_sel:BYTE_3 src1_sel:DWORD
	s_andn2_b64 s[4:5], s[4:5], exec
	s_and_b64 s[8:9], s[8:9], exec
	s_or_b64 s[4:5], s[4:5], s[8:9]
	s_or_b64 exec, exec, s[6:7]
	s_and_saveexec_b64 s[6:7], s[4:5]
	s_cbranch_execnz .LBB58_1663
	s_branch .LBB58_1664
.LBB58_3713:
	s_movk_i32 s4, 0x80
	v_cmp_eq_u16_sdwa s[12:13], v6, s4 src0_sel:BYTE_0 src1_sel:DWORD
	s_mov_b64 s[4:5], -1
                                        ; implicit-def: $sgpr10
	s_and_saveexec_b64 s[8:9], s[12:13]
; %bb.3714:
	s_mov_b32 s10, 0x7f800001
	s_xor_b64 s[4:5], exec, -1
; %bb.3715:
	s_or_b64 exec, exec, s[8:9]
	s_and_b64 s[4:5], s[4:5], exec
	s_or_saveexec_b64 s[6:7], s[6:7]
	v_mov_b32_e32 v10, s10
	s_xor_b64 exec, exec, s[6:7]
	s_cbranch_execz .LBB58_1666
.LBB58_3716:
	v_mov_b32_e32 v10, 0
	v_cmp_ne_u16_sdwa s[8:9], v6, v10 src0_sel:BYTE_0 src1_sel:DWORD
	s_andn2_b64 s[4:5], s[4:5], exec
	s_and_b64 s[8:9], s[8:9], exec
	s_or_b64 s[4:5], s[4:5], s[8:9]
	s_or_b64 exec, exec, s[6:7]
	s_and_saveexec_b64 s[6:7], s[4:5]
	s_cbranch_execnz .LBB58_1667
	s_branch .LBB58_1668
.LBB58_3717:
	s_movk_i32 s4, 0x80
	v_cmp_eq_u16_sdwa s[12:13], v2, s4 src0_sel:BYTE_0 src1_sel:DWORD
	s_mov_b64 s[4:5], -1
                                        ; implicit-def: $sgpr10
	s_and_saveexec_b64 s[8:9], s[12:13]
; %bb.3718:
	s_mov_b32 s10, 0x7f800001
	s_xor_b64 s[4:5], exec, -1
; %bb.3719:
	s_or_b64 exec, exec, s[8:9]
	s_and_b64 s[4:5], s[4:5], exec
	s_or_saveexec_b64 s[6:7], s[6:7]
	v_mov_b32_e32 v11, s10
	s_xor_b64 exec, exec, s[6:7]
	s_cbranch_execz .LBB58_1670
.LBB58_3720:
	v_mov_b32_e32 v11, 0
	v_cmp_ne_u16_sdwa s[8:9], v2, v11 src0_sel:BYTE_0 src1_sel:DWORD
	s_andn2_b64 s[4:5], s[4:5], exec
	s_and_b64 s[8:9], s[8:9], exec
	s_or_b64 s[4:5], s[4:5], s[8:9]
	s_or_b64 exec, exec, s[6:7]
	s_and_saveexec_b64 s[6:7], s[4:5]
	s_cbranch_execnz .LBB58_1671
	s_branch .LBB58_1672
.LBB58_3721:
	s_movk_i32 s4, 0x80
	v_cmp_eq_u16_sdwa s[12:13], v11, s4 src0_sel:BYTE_0 src1_sel:DWORD
	s_mov_b64 s[4:5], -1
                                        ; implicit-def: $sgpr10
	s_and_saveexec_b64 s[8:9], s[12:13]
; %bb.3722:
	s_mov_b32 s10, 0x7f800001
	s_xor_b64 s[4:5], exec, -1
; %bb.3723:
	s_or_b64 exec, exec, s[8:9]
	s_and_b64 s[4:5], s[4:5], exec
	s_or_saveexec_b64 s[6:7], s[6:7]
	v_mov_b32_e32 v10, s10
	s_xor_b64 exec, exec, s[6:7]
	s_cbranch_execz .LBB58_1674
.LBB58_3724:
	v_mov_b32_e32 v10, 0
	v_cmp_ne_u16_sdwa s[8:9], v11, v10 src0_sel:BYTE_0 src1_sel:DWORD
	s_andn2_b64 s[4:5], s[4:5], exec
	s_and_b64 s[8:9], s[8:9], exec
	s_or_b64 s[4:5], s[4:5], s[8:9]
	s_or_b64 exec, exec, s[6:7]
	s_and_saveexec_b64 s[6:7], s[4:5]
	s_cbranch_execnz .LBB58_1675
	s_branch .LBB58_1676
.LBB58_3725:
	s_movk_i32 s4, 0x80
	v_cmp_eq_u16_sdwa s[12:13], v11, s4 src0_sel:BYTE_0 src1_sel:DWORD
	s_mov_b64 s[4:5], -1
                                        ; implicit-def: $sgpr10
	s_and_saveexec_b64 s[8:9], s[12:13]
; %bb.3726:
	s_mov_b32 s10, 0x7f800001
	s_xor_b64 s[4:5], exec, -1
; %bb.3727:
	s_or_b64 exec, exec, s[8:9]
	s_and_b64 s[4:5], s[4:5], exec
	s_or_saveexec_b64 s[6:7], s[6:7]
	v_mov_b32_e32 v12, s10
	s_xor_b64 exec, exec, s[6:7]
	s_cbranch_execz .LBB58_1678
.LBB58_3728:
	v_mov_b32_e32 v12, 0
	v_cmp_ne_u16_sdwa s[8:9], v11, v12 src0_sel:BYTE_0 src1_sel:DWORD
	s_andn2_b64 s[4:5], s[4:5], exec
	s_and_b64 s[8:9], s[8:9], exec
	s_or_b64 s[4:5], s[4:5], s[8:9]
	s_or_b64 exec, exec, s[6:7]
	s_and_saveexec_b64 s[6:7], s[4:5]
	s_cbranch_execnz .LBB58_1679
	s_branch .LBB58_1680
.LBB58_3729:
	s_movk_i32 s4, 0x80
	v_cmp_eq_u16_e32 vcc, s4, v11
	s_mov_b64 s[4:5], -1
                                        ; implicit-def: $sgpr10
	s_and_saveexec_b64 s[8:9], vcc
; %bb.3730:
	s_mov_b32 s10, 0x7f800001
	s_xor_b64 s[4:5], exec, -1
; %bb.3731:
	s_or_b64 exec, exec, s[8:9]
	s_and_b64 s[4:5], s[4:5], exec
                                        ; implicit-def: $vgpr11
	s_or_saveexec_b64 s[6:7], s[6:7]
	v_mov_b32_e32 v10, s10
	s_xor_b64 exec, exec, s[6:7]
	s_cbranch_execz .LBB58_1682
.LBB58_3732:
	v_cmp_ne_u16_e32 vcc, 0, v11
	s_andn2_b64 s[4:5], s[4:5], exec
	s_and_b64 s[8:9], vcc, exec
	v_mov_b32_e32 v10, 0
	s_or_b64 s[4:5], s[4:5], s[8:9]
	s_or_b64 exec, exec, s[6:7]
	s_and_saveexec_b64 s[6:7], s[4:5]
	s_cbranch_execnz .LBB58_1683
	s_branch .LBB58_1684
.LBB58_3733:
	s_movk_i32 s4, 0x80
	v_cmp_eq_u16_e32 vcc, s4, v11
	s_mov_b64 s[4:5], -1
                                        ; implicit-def: $sgpr10
	s_and_saveexec_b64 s[8:9], vcc
; %bb.3734:
	s_mov_b32 s10, 0x7f800001
	s_xor_b64 s[4:5], exec, -1
; %bb.3735:
	s_or_b64 exec, exec, s[8:9]
	s_and_b64 s[4:5], s[4:5], exec
                                        ; implicit-def: $vgpr11
	s_or_saveexec_b64 s[6:7], s[6:7]
	v_mov_b32_e32 v12, s10
	s_xor_b64 exec, exec, s[6:7]
	s_cbranch_execz .LBB58_1686
.LBB58_3736:
	v_cmp_ne_u16_e32 vcc, 0, v11
	s_andn2_b64 s[4:5], s[4:5], exec
	s_and_b64 s[8:9], vcc, exec
	v_mov_b32_e32 v12, 0
	s_or_b64 s[4:5], s[4:5], s[8:9]
	s_or_b64 exec, exec, s[6:7]
	s_and_saveexec_b64 s[6:7], s[4:5]
	s_cbranch_execnz .LBB58_1687
	s_branch .LBB58_1688
.LBB58_3737:
	s_movk_i32 s4, 0x80
	v_cmp_eq_u16_sdwa s[12:13], v6, s4 src0_sel:BYTE_3 src1_sel:DWORD
	s_mov_b64 s[4:5], -1
                                        ; implicit-def: $sgpr10
	s_and_saveexec_b64 s[8:9], s[12:13]
; %bb.3738:
	s_mov_b32 s10, 0x7f800001
	s_xor_b64 s[4:5], exec, -1
; %bb.3739:
	s_or_b64 exec, exec, s[8:9]
	s_and_b64 s[4:5], s[4:5], exec
	s_or_saveexec_b64 s[6:7], s[6:7]
	v_mov_b32_e32 v10, s10
	s_xor_b64 exec, exec, s[6:7]
	s_cbranch_execz .LBB58_1690
.LBB58_3740:
	v_mov_b32_e32 v10, 0
	v_cmp_ne_u16_sdwa s[8:9], v6, v10 src0_sel:BYTE_3 src1_sel:DWORD
	s_andn2_b64 s[4:5], s[4:5], exec
	s_and_b64 s[8:9], s[8:9], exec
	s_or_b64 s[4:5], s[4:5], s[8:9]
	s_or_b64 exec, exec, s[6:7]
	s_and_saveexec_b64 s[6:7], s[4:5]
	s_cbranch_execnz .LBB58_1691
	s_branch .LBB58_1692
.LBB58_3741:
	s_movk_i32 s4, 0x80
	v_cmp_eq_u16_sdwa s[12:13], v2, s4 src0_sel:BYTE_3 src1_sel:DWORD
	s_mov_b64 s[4:5], -1
                                        ; implicit-def: $sgpr10
	s_and_saveexec_b64 s[8:9], s[12:13]
; %bb.3742:
	s_mov_b32 s10, 0x7f800001
	s_xor_b64 s[4:5], exec, -1
; %bb.3743:
	s_or_b64 exec, exec, s[8:9]
	s_and_b64 s[4:5], s[4:5], exec
	s_or_saveexec_b64 s[6:7], s[6:7]
	v_mov_b32_e32 v6, s10
	s_xor_b64 exec, exec, s[6:7]
	s_cbranch_execz .LBB58_1694
.LBB58_3744:
	v_mov_b32_e32 v6, 0
	v_cmp_ne_u16_sdwa s[8:9], v2, v6 src0_sel:BYTE_3 src1_sel:DWORD
	s_andn2_b64 s[4:5], s[4:5], exec
	s_and_b64 s[8:9], s[8:9], exec
	s_or_b64 s[4:5], s[4:5], s[8:9]
	s_or_b64 exec, exec, s[6:7]
	s_and_saveexec_b64 s[6:7], s[4:5]
	s_cbranch_execnz .LBB58_1695
	s_branch .LBB58_1696
.LBB58_3745:
	s_movk_i32 s4, 0x80
	v_cmp_eq_u16_sdwa s[12:13], v7, s4 src0_sel:BYTE_0 src1_sel:DWORD
	s_mov_b64 s[4:5], -1
                                        ; implicit-def: $sgpr10
	s_and_saveexec_b64 s[8:9], s[12:13]
; %bb.3746:
	s_mov_b32 s10, 0x7f800001
	s_xor_b64 s[4:5], exec, -1
; %bb.3747:
	s_or_b64 exec, exec, s[8:9]
	s_and_b64 s[4:5], s[4:5], exec
	s_or_saveexec_b64 s[6:7], s[6:7]
	v_mov_b32_e32 v2, s10
	s_xor_b64 exec, exec, s[6:7]
	s_cbranch_execz .LBB58_1698
.LBB58_3748:
	v_mov_b32_e32 v2, 0
	v_cmp_ne_u16_sdwa s[8:9], v7, v2 src0_sel:BYTE_0 src1_sel:DWORD
	s_andn2_b64 s[4:5], s[4:5], exec
	s_and_b64 s[8:9], s[8:9], exec
	s_or_b64 s[4:5], s[4:5], s[8:9]
	s_or_b64 exec, exec, s[6:7]
	s_and_saveexec_b64 s[6:7], s[4:5]
	s_cbranch_execnz .LBB58_1699
	s_branch .LBB58_1700
.LBB58_3749:
	s_movk_i32 s4, 0x80
	v_cmp_eq_u16_sdwa s[12:13], v3, s4 src0_sel:BYTE_0 src1_sel:DWORD
	s_mov_b64 s[4:5], -1
                                        ; implicit-def: $sgpr10
	s_and_saveexec_b64 s[8:9], s[12:13]
; %bb.3750:
	s_mov_b32 s10, 0x7f800001
	s_xor_b64 s[4:5], exec, -1
; %bb.3751:
	s_or_b64 exec, exec, s[8:9]
	s_and_b64 s[4:5], s[4:5], exec
	s_or_saveexec_b64 s[6:7], s[6:7]
	v_mov_b32_e32 v6, s10
	s_xor_b64 exec, exec, s[6:7]
	s_cbranch_execz .LBB58_1702
.LBB58_3752:
	v_mov_b32_e32 v6, 0
	v_cmp_ne_u16_sdwa s[8:9], v3, v6 src0_sel:BYTE_0 src1_sel:DWORD
	s_andn2_b64 s[4:5], s[4:5], exec
	s_and_b64 s[8:9], s[8:9], exec
	s_or_b64 s[4:5], s[4:5], s[8:9]
	s_or_b64 exec, exec, s[6:7]
	s_and_saveexec_b64 s[6:7], s[4:5]
	s_cbranch_execnz .LBB58_1703
	s_branch .LBB58_1704
.LBB58_3753:
	s_movk_i32 s4, 0x80
	v_cmp_eq_u16_sdwa s[12:13], v6, s4 src0_sel:BYTE_0 src1_sel:DWORD
	s_mov_b64 s[4:5], -1
                                        ; implicit-def: $sgpr10
	s_and_saveexec_b64 s[8:9], s[12:13]
; %bb.3754:
	s_mov_b32 s10, 0x7f800001
	s_xor_b64 s[4:5], exec, -1
; %bb.3755:
	s_or_b64 exec, exec, s[8:9]
	s_and_b64 s[4:5], s[4:5], exec
	s_or_saveexec_b64 s[6:7], s[6:7]
	v_mov_b32_e32 v2, s10
	s_xor_b64 exec, exec, s[6:7]
	s_cbranch_execz .LBB58_1706
.LBB58_3756:
	v_mov_b32_e32 v2, 0
	v_cmp_ne_u16_sdwa s[8:9], v6, v2 src0_sel:BYTE_0 src1_sel:DWORD
	s_andn2_b64 s[4:5], s[4:5], exec
	s_and_b64 s[8:9], s[8:9], exec
	s_or_b64 s[4:5], s[4:5], s[8:9]
	s_or_b64 exec, exec, s[6:7]
	s_and_saveexec_b64 s[6:7], s[4:5]
	s_cbranch_execnz .LBB58_1707
	s_branch .LBB58_1708
.LBB58_3757:
	s_movk_i32 s4, 0x80
	v_cmp_eq_u16_sdwa s[12:13], v6, s4 src0_sel:BYTE_0 src1_sel:DWORD
	s_mov_b64 s[4:5], -1
                                        ; implicit-def: $sgpr10
	s_and_saveexec_b64 s[8:9], s[12:13]
; %bb.3758:
	s_mov_b32 s10, 0x7f800001
	s_xor_b64 s[4:5], exec, -1
; %bb.3759:
	s_or_b64 exec, exec, s[8:9]
	s_and_b64 s[4:5], s[4:5], exec
	s_or_saveexec_b64 s[6:7], s[6:7]
	v_mov_b32_e32 v10, s10
	s_xor_b64 exec, exec, s[6:7]
	s_cbranch_execz .LBB58_1710
.LBB58_3760:
	v_mov_b32_e32 v10, 0
	v_cmp_ne_u16_sdwa s[8:9], v6, v10 src0_sel:BYTE_0 src1_sel:DWORD
	s_andn2_b64 s[4:5], s[4:5], exec
	s_and_b64 s[8:9], s[8:9], exec
	s_or_b64 s[4:5], s[4:5], s[8:9]
	s_or_b64 exec, exec, s[6:7]
	s_and_saveexec_b64 s[6:7], s[4:5]
	s_cbranch_execnz .LBB58_1711
	s_branch .LBB58_1712
.LBB58_3761:
	s_movk_i32 s4, 0x80
	v_cmp_eq_u16_e32 vcc, s4, v6
	s_mov_b64 s[4:5], -1
                                        ; implicit-def: $sgpr10
	s_and_saveexec_b64 s[8:9], vcc
; %bb.3762:
	s_mov_b32 s10, 0x7f800001
	s_xor_b64 s[4:5], exec, -1
; %bb.3763:
	s_or_b64 exec, exec, s[8:9]
	s_and_b64 s[4:5], s[4:5], exec
                                        ; implicit-def: $vgpr6
	s_or_saveexec_b64 s[6:7], s[6:7]
	v_mov_b32_e32 v2, s10
	s_xor_b64 exec, exec, s[6:7]
	s_cbranch_execz .LBB58_1714
.LBB58_3764:
	v_cmp_ne_u16_e32 vcc, 0, v6
	s_andn2_b64 s[4:5], s[4:5], exec
	s_and_b64 s[8:9], vcc, exec
	v_mov_b32_e32 v2, 0
	s_or_b64 s[4:5], s[4:5], s[8:9]
	s_or_b64 exec, exec, s[6:7]
	s_and_saveexec_b64 s[6:7], s[4:5]
	s_cbranch_execnz .LBB58_1715
	s_branch .LBB58_1716
.LBB58_3765:
	s_movk_i32 s4, 0x80
	v_cmp_eq_u16_e32 vcc, s4, v6
	s_mov_b64 s[4:5], -1
                                        ; implicit-def: $sgpr10
	s_and_saveexec_b64 s[8:9], vcc
; %bb.3766:
	s_mov_b32 s10, 0x7f800001
	s_xor_b64 s[4:5], exec, -1
; %bb.3767:
	s_or_b64 exec, exec, s[8:9]
	s_and_b64 s[4:5], s[4:5], exec
                                        ; implicit-def: $vgpr6
	s_or_saveexec_b64 s[6:7], s[6:7]
	v_mov_b32_e32 v10, s10
	s_xor_b64 exec, exec, s[6:7]
	s_cbranch_execz .LBB58_1718
.LBB58_3768:
	v_cmp_ne_u16_e32 vcc, 0, v6
	s_andn2_b64 s[4:5], s[4:5], exec
	s_and_b64 s[8:9], vcc, exec
	v_mov_b32_e32 v10, 0
	s_or_b64 s[4:5], s[4:5], s[8:9]
	s_or_b64 exec, exec, s[6:7]
	s_and_saveexec_b64 s[6:7], s[4:5]
	s_cbranch_execnz .LBB58_1719
	s_branch .LBB58_1720
.LBB58_3769:
	s_movk_i32 s4, 0x80
	v_cmp_eq_u16_sdwa s[12:13], v7, s4 src0_sel:BYTE_3 src1_sel:DWORD
	s_mov_b64 s[4:5], -1
                                        ; implicit-def: $sgpr10
	s_and_saveexec_b64 s[8:9], s[12:13]
; %bb.3770:
	s_mov_b32 s10, 0x7f800001
	s_xor_b64 s[4:5], exec, -1
; %bb.3771:
	s_or_b64 exec, exec, s[8:9]
	s_and_b64 s[4:5], s[4:5], exec
	s_or_saveexec_b64 s[6:7], s[6:7]
	v_mov_b32_e32 v2, s10
	s_xor_b64 exec, exec, s[6:7]
	s_cbranch_execz .LBB58_1722
.LBB58_3772:
	v_mov_b32_e32 v2, 0
	v_cmp_ne_u16_sdwa s[8:9], v7, v2 src0_sel:BYTE_3 src1_sel:DWORD
	s_andn2_b64 s[4:5], s[4:5], exec
	s_and_b64 s[8:9], s[8:9], exec
	s_or_b64 s[4:5], s[4:5], s[8:9]
	s_or_b64 exec, exec, s[6:7]
	s_and_saveexec_b64 s[6:7], s[4:5]
	s_cbranch_execnz .LBB58_1723
	s_branch .LBB58_1724
.LBB58_3773:
	s_movk_i32 s4, 0x80
	v_cmp_eq_u16_sdwa s[12:13], v3, s4 src0_sel:BYTE_3 src1_sel:DWORD
	s_mov_b64 s[4:5], -1
                                        ; implicit-def: $sgpr10
	s_and_saveexec_b64 s[8:9], s[12:13]
; %bb.3774:
	s_mov_b32 s10, 0x7f800001
	s_xor_b64 s[4:5], exec, -1
; %bb.3775:
	s_or_b64 exec, exec, s[8:9]
	s_and_b64 s[4:5], s[4:5], exec
	s_or_saveexec_b64 s[6:7], s[6:7]
	v_mov_b32_e32 v6, s10
	s_xor_b64 exec, exec, s[6:7]
	s_cbranch_execz .LBB58_1726
.LBB58_3776:
	v_mov_b32_e32 v6, 0
	v_cmp_ne_u16_sdwa s[8:9], v3, v6 src0_sel:BYTE_3 src1_sel:DWORD
	s_andn2_b64 s[4:5], s[4:5], exec
	s_and_b64 s[8:9], s[8:9], exec
	s_or_b64 s[4:5], s[4:5], s[8:9]
	s_or_b64 exec, exec, s[6:7]
	s_and_saveexec_b64 s[6:7], s[4:5]
	s_cbranch_execnz .LBB58_1727
	s_branch .LBB58_1728
.LBB58_3777:
	s_movk_i32 s4, 0x80
	v_cmp_eq_u16_sdwa s[12:13], v8, s4 src0_sel:BYTE_0 src1_sel:DWORD
	s_mov_b64 s[4:5], -1
                                        ; implicit-def: $sgpr10
	s_and_saveexec_b64 s[8:9], s[12:13]
; %bb.3778:
	s_mov_b32 s10, 0x7f800001
	s_xor_b64 s[4:5], exec, -1
; %bb.3779:
	s_or_b64 exec, exec, s[8:9]
	s_and_b64 s[4:5], s[4:5], exec
	s_or_saveexec_b64 s[6:7], s[6:7]
	v_mov_b32_e32 v2, s10
	s_xor_b64 exec, exec, s[6:7]
	s_cbranch_execz .LBB58_1730
.LBB58_3780:
	v_mov_b32_e32 v2, 0
	v_cmp_ne_u16_sdwa s[8:9], v8, v2 src0_sel:BYTE_0 src1_sel:DWORD
	s_andn2_b64 s[4:5], s[4:5], exec
	s_and_b64 s[8:9], s[8:9], exec
	s_or_b64 s[4:5], s[4:5], s[8:9]
	s_or_b64 exec, exec, s[6:7]
	s_and_saveexec_b64 s[6:7], s[4:5]
	s_cbranch_execnz .LBB58_1731
	s_branch .LBB58_1732
.LBB58_3781:
	s_movk_i32 s4, 0x80
	v_cmp_eq_u16_sdwa s[12:13], v4, s4 src0_sel:BYTE_0 src1_sel:DWORD
	s_mov_b64 s[4:5], -1
                                        ; implicit-def: $sgpr10
	s_and_saveexec_b64 s[8:9], s[12:13]
; %bb.3782:
	s_mov_b32 s10, 0x7f800001
	s_xor_b64 s[4:5], exec, -1
; %bb.3783:
	s_or_b64 exec, exec, s[8:9]
	s_and_b64 s[4:5], s[4:5], exec
	s_or_saveexec_b64 s[6:7], s[6:7]
	v_mov_b32_e32 v3, s10
	s_xor_b64 exec, exec, s[6:7]
	s_cbranch_execz .LBB58_1734
.LBB58_3784:
	v_mov_b32_e32 v3, 0
	v_cmp_ne_u16_sdwa s[8:9], v4, v3 src0_sel:BYTE_0 src1_sel:DWORD
	s_andn2_b64 s[4:5], s[4:5], exec
	s_and_b64 s[8:9], s[8:9], exec
	s_or_b64 s[4:5], s[4:5], s[8:9]
	s_or_b64 exec, exec, s[6:7]
	s_and_saveexec_b64 s[6:7], s[4:5]
	s_cbranch_execnz .LBB58_1735
	s_branch .LBB58_1736
.LBB58_3785:
	s_movk_i32 s4, 0x80
	v_cmp_eq_u16_sdwa s[12:13], v3, s4 src0_sel:BYTE_0 src1_sel:DWORD
	s_mov_b64 s[4:5], -1
                                        ; implicit-def: $sgpr10
	s_and_saveexec_b64 s[8:9], s[12:13]
; %bb.3786:
	s_mov_b32 s10, 0x7f800001
	s_xor_b64 s[4:5], exec, -1
; %bb.3787:
	s_or_b64 exec, exec, s[8:9]
	s_and_b64 s[4:5], s[4:5], exec
	s_or_saveexec_b64 s[6:7], s[6:7]
	v_mov_b32_e32 v2, s10
	s_xor_b64 exec, exec, s[6:7]
	s_cbranch_execz .LBB58_1738
.LBB58_3788:
	v_mov_b32_e32 v2, 0
	v_cmp_ne_u16_sdwa s[8:9], v3, v2 src0_sel:BYTE_0 src1_sel:DWORD
	s_andn2_b64 s[4:5], s[4:5], exec
	s_and_b64 s[8:9], s[8:9], exec
	s_or_b64 s[4:5], s[4:5], s[8:9]
	s_or_b64 exec, exec, s[6:7]
	s_and_saveexec_b64 s[6:7], s[4:5]
	s_cbranch_execnz .LBB58_1739
	s_branch .LBB58_1740
.LBB58_3789:
	s_movk_i32 s4, 0x80
	v_cmp_eq_u16_sdwa s[12:13], v3, s4 src0_sel:BYTE_0 src1_sel:DWORD
	s_mov_b64 s[4:5], -1
                                        ; implicit-def: $sgpr10
	s_and_saveexec_b64 s[8:9], s[12:13]
; %bb.3790:
	s_mov_b32 s10, 0x7f800001
	s_xor_b64 s[4:5], exec, -1
; %bb.3791:
	s_or_b64 exec, exec, s[8:9]
	s_and_b64 s[4:5], s[4:5], exec
	s_or_saveexec_b64 s[6:7], s[6:7]
	v_mov_b32_e32 v6, s10
	s_xor_b64 exec, exec, s[6:7]
	s_cbranch_execz .LBB58_1742
.LBB58_3792:
	v_mov_b32_e32 v6, 0
	v_cmp_ne_u16_sdwa s[8:9], v3, v6 src0_sel:BYTE_0 src1_sel:DWORD
	s_andn2_b64 s[4:5], s[4:5], exec
	s_and_b64 s[8:9], s[8:9], exec
	s_or_b64 s[4:5], s[4:5], s[8:9]
	s_or_b64 exec, exec, s[6:7]
	s_and_saveexec_b64 s[6:7], s[4:5]
	s_cbranch_execnz .LBB58_1743
	s_branch .LBB58_1744
.LBB58_3793:
	s_movk_i32 s4, 0x80
	v_cmp_eq_u16_e32 vcc, s4, v3
	s_mov_b64 s[4:5], -1
                                        ; implicit-def: $sgpr10
	s_and_saveexec_b64 s[8:9], vcc
; %bb.3794:
	s_mov_b32 s10, 0x7f800001
	s_xor_b64 s[4:5], exec, -1
; %bb.3795:
	s_or_b64 exec, exec, s[8:9]
	s_and_b64 s[4:5], s[4:5], exec
                                        ; implicit-def: $vgpr3
	s_or_saveexec_b64 s[6:7], s[6:7]
	v_mov_b32_e32 v2, s10
	s_xor_b64 exec, exec, s[6:7]
	s_cbranch_execz .LBB58_1746
.LBB58_3796:
	v_cmp_ne_u16_e32 vcc, 0, v3
	s_andn2_b64 s[4:5], s[4:5], exec
	s_and_b64 s[8:9], vcc, exec
	v_mov_b32_e32 v2, 0
	s_or_b64 s[4:5], s[4:5], s[8:9]
	s_or_b64 exec, exec, s[6:7]
	s_and_saveexec_b64 s[6:7], s[4:5]
	s_cbranch_execnz .LBB58_1747
	s_branch .LBB58_1748
.LBB58_3797:
	s_movk_i32 s4, 0x80
	v_cmp_eq_u16_e32 vcc, s4, v3
	s_mov_b64 s[4:5], -1
                                        ; implicit-def: $sgpr10
	s_and_saveexec_b64 s[8:9], vcc
; %bb.3798:
	s_mov_b32 s10, 0x7f800001
	s_xor_b64 s[4:5], exec, -1
; %bb.3799:
	s_or_b64 exec, exec, s[8:9]
	s_and_b64 s[4:5], s[4:5], exec
                                        ; implicit-def: $vgpr3
	s_or_saveexec_b64 s[6:7], s[6:7]
	v_mov_b32_e32 v6, s10
	s_xor_b64 exec, exec, s[6:7]
	s_cbranch_execz .LBB58_1750
.LBB58_3800:
	v_cmp_ne_u16_e32 vcc, 0, v3
	s_andn2_b64 s[4:5], s[4:5], exec
	s_and_b64 s[8:9], vcc, exec
	v_mov_b32_e32 v6, 0
	s_or_b64 s[4:5], s[4:5], s[8:9]
	s_or_b64 exec, exec, s[6:7]
	s_and_saveexec_b64 s[6:7], s[4:5]
	s_cbranch_execnz .LBB58_1751
	s_branch .LBB58_1752
.LBB58_3801:
	s_movk_i32 s4, 0x80
	v_cmp_eq_u16_sdwa s[12:13], v8, s4 src0_sel:BYTE_3 src1_sel:DWORD
	s_mov_b64 s[4:5], -1
                                        ; implicit-def: $sgpr10
	s_and_saveexec_b64 s[8:9], s[12:13]
; %bb.3802:
	s_mov_b32 s10, 0x7f800001
	s_xor_b64 s[4:5], exec, -1
; %bb.3803:
	s_or_b64 exec, exec, s[8:9]
	s_and_b64 s[4:5], s[4:5], exec
	s_or_saveexec_b64 s[6:7], s[6:7]
	v_mov_b32_e32 v2, s10
	s_xor_b64 exec, exec, s[6:7]
	s_cbranch_execz .LBB58_1754
.LBB58_3804:
	v_mov_b32_e32 v2, 0
	v_cmp_ne_u16_sdwa s[8:9], v8, v2 src0_sel:BYTE_3 src1_sel:DWORD
	s_andn2_b64 s[4:5], s[4:5], exec
	s_and_b64 s[8:9], s[8:9], exec
	s_or_b64 s[4:5], s[4:5], s[8:9]
	s_or_b64 exec, exec, s[6:7]
	s_and_saveexec_b64 s[6:7], s[4:5]
	s_cbranch_execnz .LBB58_1755
	s_branch .LBB58_1756
.LBB58_3805:
	s_movk_i32 s4, 0x80
	v_cmp_eq_u16_sdwa s[12:13], v4, s4 src0_sel:BYTE_3 src1_sel:DWORD
	s_mov_b64 s[4:5], -1
                                        ; implicit-def: $sgpr10
	s_and_saveexec_b64 s[8:9], s[12:13]
; %bb.3806:
	s_mov_b32 s10, 0x7f800001
	s_xor_b64 s[4:5], exec, -1
; %bb.3807:
	s_or_b64 exec, exec, s[8:9]
	s_and_b64 s[4:5], s[4:5], exec
	s_or_saveexec_b64 s[6:7], s[6:7]
	v_mov_b32_e32 v3, s10
	s_xor_b64 exec, exec, s[6:7]
	s_cbranch_execz .LBB58_1758
.LBB58_3808:
	v_mov_b32_e32 v3, 0
	v_cmp_ne_u16_sdwa s[8:9], v4, v3 src0_sel:BYTE_3 src1_sel:DWORD
	s_andn2_b64 s[4:5], s[4:5], exec
	s_and_b64 s[8:9], s[8:9], exec
	s_or_b64 s[4:5], s[4:5], s[8:9]
	s_or_b64 exec, exec, s[6:7]
	s_and_saveexec_b64 s[6:7], s[4:5]
	s_cbranch_execnz .LBB58_1759
	s_branch .LBB58_1760
.LBB58_3809:
	s_movk_i32 s4, 0x80
	v_cmp_eq_u16_sdwa s[12:13], v9, s4 src0_sel:BYTE_0 src1_sel:DWORD
	s_mov_b64 s[4:5], -1
                                        ; implicit-def: $sgpr10
	s_and_saveexec_b64 s[8:9], s[12:13]
; %bb.3810:
	s_mov_b32 s10, 0x7f800001
	s_xor_b64 s[4:5], exec, -1
; %bb.3811:
	s_or_b64 exec, exec, s[8:9]
	s_and_b64 s[4:5], s[4:5], exec
	s_or_saveexec_b64 s[6:7], s[6:7]
	v_mov_b32_e32 v2, s10
	s_xor_b64 exec, exec, s[6:7]
	s_cbranch_execz .LBB58_1762
.LBB58_3812:
	v_mov_b32_e32 v2, 0
	v_cmp_ne_u16_sdwa s[8:9], v9, v2 src0_sel:BYTE_0 src1_sel:DWORD
	s_andn2_b64 s[4:5], s[4:5], exec
	s_and_b64 s[8:9], s[8:9], exec
	s_or_b64 s[4:5], s[4:5], s[8:9]
	s_or_b64 exec, exec, s[6:7]
	s_and_saveexec_b64 s[6:7], s[4:5]
	s_cbranch_execnz .LBB58_1763
	s_branch .LBB58_1764
.LBB58_3813:
	s_movk_i32 s4, 0x80
	v_cmp_eq_u16_sdwa s[12:13], v5, s4 src0_sel:BYTE_0 src1_sel:DWORD
	s_mov_b64 s[4:5], -1
                                        ; implicit-def: $sgpr10
	s_and_saveexec_b64 s[8:9], s[12:13]
; %bb.3814:
	s_mov_b32 s10, 0x7f800001
	s_xor_b64 s[4:5], exec, -1
; %bb.3815:
	s_or_b64 exec, exec, s[8:9]
	s_and_b64 s[4:5], s[4:5], exec
	s_or_saveexec_b64 s[6:7], s[6:7]
	v_mov_b32_e32 v3, s10
	s_xor_b64 exec, exec, s[6:7]
	s_cbranch_execz .LBB58_1766
.LBB58_3816:
	v_mov_b32_e32 v3, 0
	v_cmp_ne_u16_sdwa s[8:9], v5, v3 src0_sel:BYTE_0 src1_sel:DWORD
	s_andn2_b64 s[4:5], s[4:5], exec
	s_and_b64 s[8:9], s[8:9], exec
	s_or_b64 s[4:5], s[4:5], s[8:9]
	s_or_b64 exec, exec, s[6:7]
	s_and_saveexec_b64 s[6:7], s[4:5]
	s_cbranch_execnz .LBB58_1767
	s_branch .LBB58_1768
.LBB58_3817:
	s_movk_i32 s4, 0x80
	v_cmp_eq_u16_sdwa s[12:13], v3, s4 src0_sel:BYTE_0 src1_sel:DWORD
	s_mov_b64 s[4:5], -1
                                        ; implicit-def: $sgpr10
	s_and_saveexec_b64 s[8:9], s[12:13]
; %bb.3818:
	s_mov_b32 s10, 0x7f800001
	s_xor_b64 s[4:5], exec, -1
; %bb.3819:
	s_or_b64 exec, exec, s[8:9]
	s_and_b64 s[4:5], s[4:5], exec
	s_or_saveexec_b64 s[6:7], s[6:7]
	v_mov_b32_e32 v2, s10
	s_xor_b64 exec, exec, s[6:7]
	s_cbranch_execz .LBB58_1770
.LBB58_3820:
	v_mov_b32_e32 v2, 0
	v_cmp_ne_u16_sdwa s[8:9], v3, v2 src0_sel:BYTE_0 src1_sel:DWORD
	s_andn2_b64 s[4:5], s[4:5], exec
	s_and_b64 s[8:9], s[8:9], exec
	s_or_b64 s[4:5], s[4:5], s[8:9]
	s_or_b64 exec, exec, s[6:7]
	s_and_saveexec_b64 s[6:7], s[4:5]
	s_cbranch_execnz .LBB58_1771
	s_branch .LBB58_1772
.LBB58_3821:
	s_movk_i32 s4, 0x80
	v_cmp_eq_u16_sdwa s[12:13], v3, s4 src0_sel:BYTE_0 src1_sel:DWORD
	s_mov_b64 s[4:5], -1
                                        ; implicit-def: $sgpr10
	s_and_saveexec_b64 s[8:9], s[12:13]
; %bb.3822:
	s_mov_b32 s10, 0x7f800001
	s_xor_b64 s[4:5], exec, -1
; %bb.3823:
	s_or_b64 exec, exec, s[8:9]
	s_and_b64 s[4:5], s[4:5], exec
	s_or_saveexec_b64 s[6:7], s[6:7]
	v_mov_b32_e32 v4, s10
	s_xor_b64 exec, exec, s[6:7]
	s_cbranch_execz .LBB58_1774
.LBB58_3824:
	v_mov_b32_e32 v4, 0
	v_cmp_ne_u16_sdwa s[8:9], v3, v4 src0_sel:BYTE_0 src1_sel:DWORD
	s_andn2_b64 s[4:5], s[4:5], exec
	s_and_b64 s[8:9], s[8:9], exec
	s_or_b64 s[4:5], s[4:5], s[8:9]
	s_or_b64 exec, exec, s[6:7]
	s_and_saveexec_b64 s[6:7], s[4:5]
	s_cbranch_execnz .LBB58_1775
	s_branch .LBB58_1776
.LBB58_3825:
	s_movk_i32 s4, 0x80
	v_cmp_eq_u16_e32 vcc, s4, v3
	s_mov_b64 s[4:5], -1
                                        ; implicit-def: $sgpr10
	s_and_saveexec_b64 s[8:9], vcc
; %bb.3826:
	s_mov_b32 s10, 0x7f800001
	s_xor_b64 s[4:5], exec, -1
; %bb.3827:
	s_or_b64 exec, exec, s[8:9]
	s_and_b64 s[4:5], s[4:5], exec
                                        ; implicit-def: $vgpr3
	s_or_saveexec_b64 s[6:7], s[6:7]
	v_mov_b32_e32 v2, s10
	s_xor_b64 exec, exec, s[6:7]
	s_cbranch_execz .LBB58_1778
.LBB58_3828:
	v_cmp_ne_u16_e32 vcc, 0, v3
	s_andn2_b64 s[4:5], s[4:5], exec
	s_and_b64 s[8:9], vcc, exec
	v_mov_b32_e32 v2, 0
	s_or_b64 s[4:5], s[4:5], s[8:9]
	s_or_b64 exec, exec, s[6:7]
	s_and_saveexec_b64 s[6:7], s[4:5]
	s_cbranch_execnz .LBB58_1779
	s_branch .LBB58_1780
.LBB58_3829:
	s_movk_i32 s4, 0x80
	v_cmp_eq_u16_e32 vcc, s4, v3
	s_mov_b64 s[4:5], -1
                                        ; implicit-def: $sgpr10
	s_and_saveexec_b64 s[8:9], vcc
; %bb.3830:
	s_mov_b32 s10, 0x7f800001
	s_xor_b64 s[4:5], exec, -1
; %bb.3831:
	s_or_b64 exec, exec, s[8:9]
	s_and_b64 s[4:5], s[4:5], exec
                                        ; implicit-def: $vgpr3
	s_or_saveexec_b64 s[6:7], s[6:7]
	v_mov_b32_e32 v4, s10
	s_xor_b64 exec, exec, s[6:7]
	s_cbranch_execz .LBB58_1782
.LBB58_3832:
	v_cmp_ne_u16_e32 vcc, 0, v3
	s_andn2_b64 s[4:5], s[4:5], exec
	s_and_b64 s[8:9], vcc, exec
	v_mov_b32_e32 v4, 0
	s_or_b64 s[4:5], s[4:5], s[8:9]
	s_or_b64 exec, exec, s[6:7]
	s_and_saveexec_b64 s[6:7], s[4:5]
	s_cbranch_execnz .LBB58_1783
	s_branch .LBB58_1784
.LBB58_3833:
	s_movk_i32 s4, 0x80
	v_cmp_eq_u16_sdwa s[12:13], v9, s4 src0_sel:BYTE_3 src1_sel:DWORD
	s_mov_b64 s[4:5], -1
                                        ; implicit-def: $sgpr10
	s_and_saveexec_b64 s[8:9], s[12:13]
; %bb.3834:
	s_mov_b32 s10, 0x7f800001
	s_xor_b64 s[4:5], exec, -1
; %bb.3835:
	s_or_b64 exec, exec, s[8:9]
	s_and_b64 s[4:5], s[4:5], exec
	s_or_saveexec_b64 s[6:7], s[6:7]
	v_mov_b32_e32 v2, s10
	s_xor_b64 exec, exec, s[6:7]
	s_cbranch_execz .LBB58_1786
.LBB58_3836:
	v_mov_b32_e32 v2, 0
	v_cmp_ne_u16_sdwa s[8:9], v9, v2 src0_sel:BYTE_3 src1_sel:DWORD
	s_andn2_b64 s[4:5], s[4:5], exec
	s_and_b64 s[8:9], s[8:9], exec
	s_or_b64 s[4:5], s[4:5], s[8:9]
	s_or_b64 exec, exec, s[6:7]
	s_and_saveexec_b64 s[6:7], s[4:5]
	s_cbranch_execnz .LBB58_1787
	s_branch .LBB58_1788
.LBB58_3837:
	s_movk_i32 s4, 0x80
	v_cmp_eq_u16_sdwa s[12:13], v5, s4 src0_sel:BYTE_3 src1_sel:DWORD
	s_mov_b64 s[4:5], -1
                                        ; implicit-def: $sgpr10
	s_and_saveexec_b64 s[8:9], s[12:13]
; %bb.3838:
	s_mov_b32 s10, 0x7f800001
	s_xor_b64 s[4:5], exec, -1
; %bb.3839:
	s_or_b64 exec, exec, s[8:9]
	s_and_b64 s[4:5], s[4:5], exec
	s_or_saveexec_b64 s[6:7], s[6:7]
	v_mov_b32_e32 v3, s10
	s_xor_b64 exec, exec, s[6:7]
	s_cbranch_execz .LBB58_1790
.LBB58_3840:
	v_mov_b32_e32 v3, 0
	v_cmp_ne_u16_sdwa s[8:9], v5, v3 src0_sel:BYTE_3 src1_sel:DWORD
	s_andn2_b64 s[4:5], s[4:5], exec
	s_and_b64 s[8:9], s[8:9], exec
	s_or_b64 s[4:5], s[4:5], s[8:9]
	s_or_b64 exec, exec, s[6:7]
	s_and_saveexec_b64 s[6:7], s[4:5]
	s_cbranch_execnz .LBB58_1791
	s_branch .LBB58_1792
.LBB58_3841:
	s_movk_i32 s4, 0x80
	v_cmp_eq_u16_sdwa s[12:13], v12, s4 src0_sel:BYTE_0 src1_sel:DWORD
	s_mov_b64 s[4:5], -1
                                        ; implicit-def: $sgpr10
	s_and_saveexec_b64 s[8:9], s[12:13]
; %bb.3842:
	s_mov_b32 s10, 0x7f800001
	s_xor_b64 s[4:5], exec, -1
; %bb.3843:
	s_or_b64 exec, exec, s[8:9]
	s_and_b64 s[4:5], s[4:5], exec
	s_or_saveexec_b64 s[6:7], s[6:7]
	v_mov_b32_e32 v18, s10
	s_xor_b64 exec, exec, s[6:7]
	s_cbranch_execz .LBB58_1794
.LBB58_3844:
	v_mov_b32_e32 v18, 0
	v_cmp_ne_u16_sdwa s[8:9], v12, v18 src0_sel:BYTE_0 src1_sel:DWORD
	s_andn2_b64 s[4:5], s[4:5], exec
	s_and_b64 s[8:9], s[8:9], exec
	s_or_b64 s[4:5], s[4:5], s[8:9]
	s_or_b64 exec, exec, s[6:7]
	s_and_saveexec_b64 s[6:7], s[4:5]
	s_cbranch_execnz .LBB58_1795
	s_branch .LBB58_1796
.LBB58_3845:
	s_movk_i32 s4, 0x80
	v_cmp_eq_u16_sdwa s[12:13], v8, s4 src0_sel:BYTE_0 src1_sel:DWORD
	s_mov_b64 s[4:5], -1
                                        ; implicit-def: $sgpr10
	s_and_saveexec_b64 s[8:9], s[12:13]
; %bb.3846:
	s_mov_b32 s10, 0x7f800001
	s_xor_b64 s[4:5], exec, -1
; %bb.3847:
	s_or_b64 exec, exec, s[8:9]
	s_and_b64 s[4:5], s[4:5], exec
	s_or_saveexec_b64 s[6:7], s[6:7]
	v_mov_b32_e32 v19, s10
	s_xor_b64 exec, exec, s[6:7]
	s_cbranch_execz .LBB58_1798
.LBB58_3848:
	v_mov_b32_e32 v19, 0
	v_cmp_ne_u16_sdwa s[8:9], v8, v19 src0_sel:BYTE_0 src1_sel:DWORD
	s_andn2_b64 s[4:5], s[4:5], exec
	s_and_b64 s[8:9], s[8:9], exec
	s_or_b64 s[4:5], s[4:5], s[8:9]
	s_or_b64 exec, exec, s[6:7]
	s_and_saveexec_b64 s[6:7], s[4:5]
	s_cbranch_execnz .LBB58_1799
	s_branch .LBB58_1800
.LBB58_3849:
	s_movk_i32 s4, 0x80
	v_cmp_eq_u16_sdwa s[12:13], v19, s4 src0_sel:BYTE_0 src1_sel:DWORD
	s_mov_b64 s[4:5], -1
                                        ; implicit-def: $sgpr10
	s_and_saveexec_b64 s[8:9], s[12:13]
; %bb.3850:
	s_mov_b32 s10, 0x7f800001
	s_xor_b64 s[4:5], exec, -1
; %bb.3851:
	s_or_b64 exec, exec, s[8:9]
	s_and_b64 s[4:5], s[4:5], exec
	s_or_saveexec_b64 s[6:7], s[6:7]
	v_mov_b32_e32 v18, s10
	s_xor_b64 exec, exec, s[6:7]
	s_cbranch_execz .LBB58_1802
.LBB58_3852:
	v_mov_b32_e32 v18, 0
	v_cmp_ne_u16_sdwa s[8:9], v19, v18 src0_sel:BYTE_0 src1_sel:DWORD
	s_andn2_b64 s[4:5], s[4:5], exec
	s_and_b64 s[8:9], s[8:9], exec
	s_or_b64 s[4:5], s[4:5], s[8:9]
	s_or_b64 exec, exec, s[6:7]
	s_and_saveexec_b64 s[6:7], s[4:5]
	s_cbranch_execnz .LBB58_1803
	s_branch .LBB58_1804
.LBB58_3853:
	s_movk_i32 s4, 0x80
	v_cmp_eq_u16_sdwa s[12:13], v19, s4 src0_sel:BYTE_0 src1_sel:DWORD
	s_mov_b64 s[4:5], -1
                                        ; implicit-def: $sgpr10
	s_and_saveexec_b64 s[8:9], s[12:13]
; %bb.3854:
	s_mov_b32 s10, 0x7f800001
	s_xor_b64 s[4:5], exec, -1
; %bb.3855:
	s_or_b64 exec, exec, s[8:9]
	s_and_b64 s[4:5], s[4:5], exec
	s_or_saveexec_b64 s[6:7], s[6:7]
	v_mov_b32_e32 v20, s10
	s_xor_b64 exec, exec, s[6:7]
	s_cbranch_execz .LBB58_1806
.LBB58_3856:
	v_mov_b32_e32 v20, 0
	v_cmp_ne_u16_sdwa s[8:9], v19, v20 src0_sel:BYTE_0 src1_sel:DWORD
	s_andn2_b64 s[4:5], s[4:5], exec
	s_and_b64 s[8:9], s[8:9], exec
	s_or_b64 s[4:5], s[4:5], s[8:9]
	s_or_b64 exec, exec, s[6:7]
	s_and_saveexec_b64 s[6:7], s[4:5]
	s_cbranch_execnz .LBB58_1807
	s_branch .LBB58_1808
.LBB58_3857:
	s_movk_i32 s4, 0x80
	v_cmp_eq_u16_e32 vcc, s4, v19
	s_mov_b64 s[4:5], -1
                                        ; implicit-def: $sgpr10
	s_and_saveexec_b64 s[8:9], vcc
; %bb.3858:
	s_mov_b32 s10, 0x7f800001
	s_xor_b64 s[4:5], exec, -1
; %bb.3859:
	s_or_b64 exec, exec, s[8:9]
	s_and_b64 s[4:5], s[4:5], exec
                                        ; implicit-def: $vgpr19
	s_or_saveexec_b64 s[6:7], s[6:7]
	v_mov_b32_e32 v18, s10
	s_xor_b64 exec, exec, s[6:7]
	s_cbranch_execz .LBB58_1810
.LBB58_3860:
	v_cmp_ne_u16_e32 vcc, 0, v19
	s_andn2_b64 s[4:5], s[4:5], exec
	s_and_b64 s[8:9], vcc, exec
	v_mov_b32_e32 v18, 0
	s_or_b64 s[4:5], s[4:5], s[8:9]
	s_or_b64 exec, exec, s[6:7]
	s_and_saveexec_b64 s[6:7], s[4:5]
	s_cbranch_execnz .LBB58_1811
	s_branch .LBB58_1812
.LBB58_3861:
	s_movk_i32 s4, 0x80
	v_cmp_eq_u16_e32 vcc, s4, v19
	s_mov_b64 s[4:5], -1
                                        ; implicit-def: $sgpr10
	s_and_saveexec_b64 s[8:9], vcc
; %bb.3862:
	s_mov_b32 s10, 0x7f800001
	s_xor_b64 s[4:5], exec, -1
; %bb.3863:
	s_or_b64 exec, exec, s[8:9]
	s_and_b64 s[4:5], s[4:5], exec
                                        ; implicit-def: $vgpr19
	s_or_saveexec_b64 s[6:7], s[6:7]
	v_mov_b32_e32 v20, s10
	s_xor_b64 exec, exec, s[6:7]
	s_cbranch_execz .LBB58_1814
.LBB58_3864:
	v_cmp_ne_u16_e32 vcc, 0, v19
	s_andn2_b64 s[4:5], s[4:5], exec
	s_and_b64 s[8:9], vcc, exec
	v_mov_b32_e32 v20, 0
	s_or_b64 s[4:5], s[4:5], s[8:9]
	s_or_b64 exec, exec, s[6:7]
	s_and_saveexec_b64 s[6:7], s[4:5]
	s_cbranch_execnz .LBB58_1815
	s_branch .LBB58_1816
.LBB58_3865:
	s_movk_i32 s4, 0x80
	v_cmp_eq_u16_sdwa s[12:13], v12, s4 src0_sel:BYTE_3 src1_sel:DWORD
	s_mov_b64 s[4:5], -1
                                        ; implicit-def: $sgpr10
	s_and_saveexec_b64 s[8:9], s[12:13]
; %bb.3866:
	s_mov_b32 s10, 0x7f800001
	s_xor_b64 s[4:5], exec, -1
; %bb.3867:
	s_or_b64 exec, exec, s[8:9]
	s_and_b64 s[4:5], s[4:5], exec
	s_or_saveexec_b64 s[6:7], s[6:7]
	v_mov_b32_e32 v18, s10
	s_xor_b64 exec, exec, s[6:7]
	s_cbranch_execz .LBB58_1818
.LBB58_3868:
	v_mov_b32_e32 v18, 0
	v_cmp_ne_u16_sdwa s[8:9], v12, v18 src0_sel:BYTE_3 src1_sel:DWORD
	s_andn2_b64 s[4:5], s[4:5], exec
	s_and_b64 s[8:9], s[8:9], exec
	s_or_b64 s[4:5], s[4:5], s[8:9]
	s_or_b64 exec, exec, s[6:7]
	s_and_saveexec_b64 s[6:7], s[4:5]
	s_cbranch_execnz .LBB58_1819
	s_branch .LBB58_1820
.LBB58_3869:
	s_movk_i32 s4, 0x80
	v_cmp_eq_u16_sdwa s[12:13], v8, s4 src0_sel:BYTE_3 src1_sel:DWORD
	s_mov_b64 s[4:5], -1
                                        ; implicit-def: $sgpr10
	s_and_saveexec_b64 s[8:9], s[12:13]
; %bb.3870:
	s_mov_b32 s10, 0x7f800001
	s_xor_b64 s[4:5], exec, -1
; %bb.3871:
	s_or_b64 exec, exec, s[8:9]
	s_and_b64 s[4:5], s[4:5], exec
	s_or_saveexec_b64 s[6:7], s[6:7]
	v_mov_b32_e32 v12, s10
	s_xor_b64 exec, exec, s[6:7]
	s_cbranch_execz .LBB58_1822
.LBB58_3872:
	v_mov_b32_e32 v12, 0
	v_cmp_ne_u16_sdwa s[8:9], v8, v12 src0_sel:BYTE_3 src1_sel:DWORD
	s_andn2_b64 s[4:5], s[4:5], exec
	s_and_b64 s[8:9], s[8:9], exec
	s_or_b64 s[4:5], s[4:5], s[8:9]
	s_or_b64 exec, exec, s[6:7]
	s_and_saveexec_b64 s[6:7], s[4:5]
	s_cbranch_execnz .LBB58_1823
	s_branch .LBB58_1824
.LBB58_3873:
	s_movk_i32 s4, 0x80
	v_cmp_eq_u16_sdwa s[12:13], v13, s4 src0_sel:BYTE_0 src1_sel:DWORD
	s_mov_b64 s[4:5], -1
                                        ; implicit-def: $sgpr10
	s_and_saveexec_b64 s[8:9], s[12:13]
; %bb.3874:
	s_mov_b32 s10, 0x7f800001
	s_xor_b64 s[4:5], exec, -1
; %bb.3875:
	s_or_b64 exec, exec, s[8:9]
	s_and_b64 s[4:5], s[4:5], exec
	s_or_saveexec_b64 s[6:7], s[6:7]
	v_mov_b32_e32 v8, s10
	s_xor_b64 exec, exec, s[6:7]
	s_cbranch_execz .LBB58_1826
.LBB58_3876:
	v_mov_b32_e32 v8, 0
	v_cmp_ne_u16_sdwa s[8:9], v13, v8 src0_sel:BYTE_0 src1_sel:DWORD
	s_andn2_b64 s[4:5], s[4:5], exec
	s_and_b64 s[8:9], s[8:9], exec
	s_or_b64 s[4:5], s[4:5], s[8:9]
	s_or_b64 exec, exec, s[6:7]
	s_and_saveexec_b64 s[6:7], s[4:5]
	s_cbranch_execnz .LBB58_1827
	s_branch .LBB58_1828
.LBB58_3877:
	s_movk_i32 s4, 0x80
	v_cmp_eq_u16_sdwa s[12:13], v9, s4 src0_sel:BYTE_0 src1_sel:DWORD
	s_mov_b64 s[4:5], -1
                                        ; implicit-def: $sgpr10
	s_and_saveexec_b64 s[8:9], s[12:13]
; %bb.3878:
	s_mov_b32 s10, 0x7f800001
	s_xor_b64 s[4:5], exec, -1
; %bb.3879:
	s_or_b64 exec, exec, s[8:9]
	s_and_b64 s[4:5], s[4:5], exec
	s_or_saveexec_b64 s[6:7], s[6:7]
	v_mov_b32_e32 v12, s10
	s_xor_b64 exec, exec, s[6:7]
	s_cbranch_execz .LBB58_1830
.LBB58_3880:
	v_mov_b32_e32 v12, 0
	v_cmp_ne_u16_sdwa s[8:9], v9, v12 src0_sel:BYTE_0 src1_sel:DWORD
	s_andn2_b64 s[4:5], s[4:5], exec
	s_and_b64 s[8:9], s[8:9], exec
	s_or_b64 s[4:5], s[4:5], s[8:9]
	s_or_b64 exec, exec, s[6:7]
	s_and_saveexec_b64 s[6:7], s[4:5]
	s_cbranch_execnz .LBB58_1831
	s_branch .LBB58_1832
.LBB58_3881:
	s_movk_i32 s4, 0x80
	v_cmp_eq_u16_sdwa s[12:13], v12, s4 src0_sel:BYTE_0 src1_sel:DWORD
	s_mov_b64 s[4:5], -1
                                        ; implicit-def: $sgpr10
	s_and_saveexec_b64 s[8:9], s[12:13]
; %bb.3882:
	s_mov_b32 s10, 0x7f800001
	s_xor_b64 s[4:5], exec, -1
; %bb.3883:
	s_or_b64 exec, exec, s[8:9]
	s_and_b64 s[4:5], s[4:5], exec
	s_or_saveexec_b64 s[6:7], s[6:7]
	v_mov_b32_e32 v8, s10
	s_xor_b64 exec, exec, s[6:7]
	s_cbranch_execz .LBB58_1834
.LBB58_3884:
	v_mov_b32_e32 v8, 0
	v_cmp_ne_u16_sdwa s[8:9], v12, v8 src0_sel:BYTE_0 src1_sel:DWORD
	s_andn2_b64 s[4:5], s[4:5], exec
	s_and_b64 s[8:9], s[8:9], exec
	s_or_b64 s[4:5], s[4:5], s[8:9]
	s_or_b64 exec, exec, s[6:7]
	s_and_saveexec_b64 s[6:7], s[4:5]
	s_cbranch_execnz .LBB58_1835
	s_branch .LBB58_1836
.LBB58_3885:
	s_movk_i32 s4, 0x80
	v_cmp_eq_u16_sdwa s[12:13], v12, s4 src0_sel:BYTE_0 src1_sel:DWORD
	s_mov_b64 s[4:5], -1
                                        ; implicit-def: $sgpr10
	s_and_saveexec_b64 s[8:9], s[12:13]
; %bb.3886:
	s_mov_b32 s10, 0x7f800001
	s_xor_b64 s[4:5], exec, -1
; %bb.3887:
	s_or_b64 exec, exec, s[8:9]
	s_and_b64 s[4:5], s[4:5], exec
	s_or_saveexec_b64 s[6:7], s[6:7]
	v_mov_b32_e32 v18, s10
	s_xor_b64 exec, exec, s[6:7]
	s_cbranch_execz .LBB58_1838
.LBB58_3888:
	v_mov_b32_e32 v18, 0
	v_cmp_ne_u16_sdwa s[8:9], v12, v18 src0_sel:BYTE_0 src1_sel:DWORD
	s_andn2_b64 s[4:5], s[4:5], exec
	s_and_b64 s[8:9], s[8:9], exec
	s_or_b64 s[4:5], s[4:5], s[8:9]
	s_or_b64 exec, exec, s[6:7]
	s_and_saveexec_b64 s[6:7], s[4:5]
	s_cbranch_execnz .LBB58_1839
	s_branch .LBB58_1840
.LBB58_3889:
	s_movk_i32 s4, 0x80
	v_cmp_eq_u16_e32 vcc, s4, v12
	s_mov_b64 s[4:5], -1
                                        ; implicit-def: $sgpr10
	s_and_saveexec_b64 s[8:9], vcc
; %bb.3890:
	s_mov_b32 s10, 0x7f800001
	s_xor_b64 s[4:5], exec, -1
; %bb.3891:
	s_or_b64 exec, exec, s[8:9]
	s_and_b64 s[4:5], s[4:5], exec
                                        ; implicit-def: $vgpr12
	s_or_saveexec_b64 s[6:7], s[6:7]
	v_mov_b32_e32 v8, s10
	s_xor_b64 exec, exec, s[6:7]
	s_cbranch_execz .LBB58_1842
.LBB58_3892:
	v_cmp_ne_u16_e32 vcc, 0, v12
	s_andn2_b64 s[4:5], s[4:5], exec
	s_and_b64 s[8:9], vcc, exec
	v_mov_b32_e32 v8, 0
	s_or_b64 s[4:5], s[4:5], s[8:9]
	s_or_b64 exec, exec, s[6:7]
	s_and_saveexec_b64 s[6:7], s[4:5]
	s_cbranch_execnz .LBB58_1843
	s_branch .LBB58_1844
.LBB58_3893:
	s_movk_i32 s4, 0x80
	v_cmp_eq_u16_e32 vcc, s4, v12
	s_mov_b64 s[4:5], -1
                                        ; implicit-def: $sgpr10
	s_and_saveexec_b64 s[8:9], vcc
; %bb.3894:
	s_mov_b32 s10, 0x7f800001
	s_xor_b64 s[4:5], exec, -1
; %bb.3895:
	s_or_b64 exec, exec, s[8:9]
	s_and_b64 s[4:5], s[4:5], exec
                                        ; implicit-def: $vgpr12
	s_or_saveexec_b64 s[6:7], s[6:7]
	v_mov_b32_e32 v18, s10
	s_xor_b64 exec, exec, s[6:7]
	s_cbranch_execz .LBB58_1846
.LBB58_3896:
	v_cmp_ne_u16_e32 vcc, 0, v12
	s_andn2_b64 s[4:5], s[4:5], exec
	s_and_b64 s[8:9], vcc, exec
	v_mov_b32_e32 v18, 0
	s_or_b64 s[4:5], s[4:5], s[8:9]
	s_or_b64 exec, exec, s[6:7]
	s_and_saveexec_b64 s[6:7], s[4:5]
	s_cbranch_execnz .LBB58_1847
	s_branch .LBB58_1848
.LBB58_3897:
	s_movk_i32 s4, 0x80
	v_cmp_eq_u16_sdwa s[12:13], v13, s4 src0_sel:BYTE_3 src1_sel:DWORD
	s_mov_b64 s[4:5], -1
                                        ; implicit-def: $sgpr10
	s_and_saveexec_b64 s[8:9], s[12:13]
; %bb.3898:
	s_mov_b32 s10, 0x7f800001
	s_xor_b64 s[4:5], exec, -1
; %bb.3899:
	s_or_b64 exec, exec, s[8:9]
	s_and_b64 s[4:5], s[4:5], exec
	s_or_saveexec_b64 s[6:7], s[6:7]
	v_mov_b32_e32 v8, s10
	s_xor_b64 exec, exec, s[6:7]
	s_cbranch_execz .LBB58_1850
.LBB58_3900:
	v_mov_b32_e32 v8, 0
	v_cmp_ne_u16_sdwa s[8:9], v13, v8 src0_sel:BYTE_3 src1_sel:DWORD
	s_andn2_b64 s[4:5], s[4:5], exec
	s_and_b64 s[8:9], s[8:9], exec
	s_or_b64 s[4:5], s[4:5], s[8:9]
	s_or_b64 exec, exec, s[6:7]
	s_and_saveexec_b64 s[6:7], s[4:5]
	s_cbranch_execnz .LBB58_1851
	s_branch .LBB58_1852
.LBB58_3901:
	s_movk_i32 s4, 0x80
	v_cmp_eq_u16_sdwa s[12:13], v9, s4 src0_sel:BYTE_3 src1_sel:DWORD
	s_mov_b64 s[4:5], -1
                                        ; implicit-def: $sgpr10
	s_and_saveexec_b64 s[8:9], s[12:13]
; %bb.3902:
	s_mov_b32 s10, 0x7f800001
	s_xor_b64 s[4:5], exec, -1
; %bb.3903:
	s_or_b64 exec, exec, s[8:9]
	s_and_b64 s[4:5], s[4:5], exec
	s_or_saveexec_b64 s[6:7], s[6:7]
	v_mov_b32_e32 v12, s10
	s_xor_b64 exec, exec, s[6:7]
	s_cbranch_execz .LBB58_1854
.LBB58_3904:
	v_mov_b32_e32 v12, 0
	v_cmp_ne_u16_sdwa s[8:9], v9, v12 src0_sel:BYTE_3 src1_sel:DWORD
	s_andn2_b64 s[4:5], s[4:5], exec
	s_and_b64 s[8:9], s[8:9], exec
	s_or_b64 s[4:5], s[4:5], s[8:9]
	s_or_b64 exec, exec, s[6:7]
	s_and_saveexec_b64 s[6:7], s[4:5]
	s_cbranch_execnz .LBB58_1855
	s_branch .LBB58_1856
.LBB58_3905:
	s_movk_i32 s4, 0x80
	v_cmp_eq_u16_sdwa s[12:13], v14, s4 src0_sel:BYTE_0 src1_sel:DWORD
	s_mov_b64 s[4:5], -1
                                        ; implicit-def: $sgpr10
	s_and_saveexec_b64 s[8:9], s[12:13]
; %bb.3906:
	s_mov_b32 s10, 0x7f800001
	s_xor_b64 s[4:5], exec, -1
; %bb.3907:
	s_or_b64 exec, exec, s[8:9]
	s_and_b64 s[4:5], s[4:5], exec
	s_or_saveexec_b64 s[6:7], s[6:7]
	v_mov_b32_e32 v8, s10
	s_xor_b64 exec, exec, s[6:7]
	s_cbranch_execz .LBB58_1858
.LBB58_3908:
	v_mov_b32_e32 v8, 0
	v_cmp_ne_u16_sdwa s[8:9], v14, v8 src0_sel:BYTE_0 src1_sel:DWORD
	s_andn2_b64 s[4:5], s[4:5], exec
	s_and_b64 s[8:9], s[8:9], exec
	s_or_b64 s[4:5], s[4:5], s[8:9]
	s_or_b64 exec, exec, s[6:7]
	s_and_saveexec_b64 s[6:7], s[4:5]
	s_cbranch_execnz .LBB58_1859
	s_branch .LBB58_1860
.LBB58_3909:
	s_movk_i32 s4, 0x80
	v_cmp_eq_u16_sdwa s[12:13], v10, s4 src0_sel:BYTE_0 src1_sel:DWORD
	s_mov_b64 s[4:5], -1
                                        ; implicit-def: $sgpr10
	s_and_saveexec_b64 s[8:9], s[12:13]
; %bb.3910:
	s_mov_b32 s10, 0x7f800001
	s_xor_b64 s[4:5], exec, -1
; %bb.3911:
	s_or_b64 exec, exec, s[8:9]
	s_and_b64 s[4:5], s[4:5], exec
	s_or_saveexec_b64 s[6:7], s[6:7]
	v_mov_b32_e32 v9, s10
	s_xor_b64 exec, exec, s[6:7]
	s_cbranch_execz .LBB58_1862
.LBB58_3912:
	v_mov_b32_e32 v9, 0
	v_cmp_ne_u16_sdwa s[8:9], v10, v9 src0_sel:BYTE_0 src1_sel:DWORD
	s_andn2_b64 s[4:5], s[4:5], exec
	s_and_b64 s[8:9], s[8:9], exec
	s_or_b64 s[4:5], s[4:5], s[8:9]
	s_or_b64 exec, exec, s[6:7]
	s_and_saveexec_b64 s[6:7], s[4:5]
	s_cbranch_execnz .LBB58_1863
	s_branch .LBB58_1864
.LBB58_3913:
	s_movk_i32 s4, 0x80
	v_cmp_eq_u16_sdwa s[12:13], v9, s4 src0_sel:BYTE_0 src1_sel:DWORD
	s_mov_b64 s[4:5], -1
                                        ; implicit-def: $sgpr10
	s_and_saveexec_b64 s[8:9], s[12:13]
; %bb.3914:
	s_mov_b32 s10, 0x7f800001
	s_xor_b64 s[4:5], exec, -1
; %bb.3915:
	s_or_b64 exec, exec, s[8:9]
	s_and_b64 s[4:5], s[4:5], exec
	s_or_saveexec_b64 s[6:7], s[6:7]
	v_mov_b32_e32 v8, s10
	s_xor_b64 exec, exec, s[6:7]
	s_cbranch_execz .LBB58_1866
.LBB58_3916:
	v_mov_b32_e32 v8, 0
	v_cmp_ne_u16_sdwa s[8:9], v9, v8 src0_sel:BYTE_0 src1_sel:DWORD
	s_andn2_b64 s[4:5], s[4:5], exec
	s_and_b64 s[8:9], s[8:9], exec
	s_or_b64 s[4:5], s[4:5], s[8:9]
	s_or_b64 exec, exec, s[6:7]
	s_and_saveexec_b64 s[6:7], s[4:5]
	s_cbranch_execnz .LBB58_1867
	s_branch .LBB58_1868
.LBB58_3917:
	s_movk_i32 s4, 0x80
	v_cmp_eq_u16_sdwa s[12:13], v9, s4 src0_sel:BYTE_0 src1_sel:DWORD
	s_mov_b64 s[4:5], -1
                                        ; implicit-def: $sgpr10
	s_and_saveexec_b64 s[8:9], s[12:13]
; %bb.3918:
	s_mov_b32 s10, 0x7f800001
	s_xor_b64 s[4:5], exec, -1
; %bb.3919:
	s_or_b64 exec, exec, s[8:9]
	s_and_b64 s[4:5], s[4:5], exec
	s_or_saveexec_b64 s[6:7], s[6:7]
	v_mov_b32_e32 v12, s10
	s_xor_b64 exec, exec, s[6:7]
	s_cbranch_execz .LBB58_1870
.LBB58_3920:
	v_mov_b32_e32 v12, 0
	v_cmp_ne_u16_sdwa s[8:9], v9, v12 src0_sel:BYTE_0 src1_sel:DWORD
	s_andn2_b64 s[4:5], s[4:5], exec
	s_and_b64 s[8:9], s[8:9], exec
	s_or_b64 s[4:5], s[4:5], s[8:9]
	s_or_b64 exec, exec, s[6:7]
	s_and_saveexec_b64 s[6:7], s[4:5]
	s_cbranch_execnz .LBB58_1871
	s_branch .LBB58_1872
.LBB58_3921:
	s_movk_i32 s4, 0x80
	v_cmp_eq_u16_e32 vcc, s4, v9
	s_mov_b64 s[4:5], -1
                                        ; implicit-def: $sgpr10
	s_and_saveexec_b64 s[8:9], vcc
; %bb.3922:
	s_mov_b32 s10, 0x7f800001
	s_xor_b64 s[4:5], exec, -1
; %bb.3923:
	s_or_b64 exec, exec, s[8:9]
	s_and_b64 s[4:5], s[4:5], exec
                                        ; implicit-def: $vgpr9
	s_or_saveexec_b64 s[6:7], s[6:7]
	v_mov_b32_e32 v8, s10
	s_xor_b64 exec, exec, s[6:7]
	s_cbranch_execz .LBB58_1874
.LBB58_3924:
	v_cmp_ne_u16_e32 vcc, 0, v9
	s_andn2_b64 s[4:5], s[4:5], exec
	s_and_b64 s[8:9], vcc, exec
	v_mov_b32_e32 v8, 0
	s_or_b64 s[4:5], s[4:5], s[8:9]
	s_or_b64 exec, exec, s[6:7]
	s_and_saveexec_b64 s[6:7], s[4:5]
	s_cbranch_execnz .LBB58_1875
	s_branch .LBB58_1876
.LBB58_3925:
	s_movk_i32 s4, 0x80
	v_cmp_eq_u16_e32 vcc, s4, v9
	s_mov_b64 s[4:5], -1
                                        ; implicit-def: $sgpr10
	s_and_saveexec_b64 s[8:9], vcc
; %bb.3926:
	s_mov_b32 s10, 0x7f800001
	s_xor_b64 s[4:5], exec, -1
; %bb.3927:
	s_or_b64 exec, exec, s[8:9]
	s_and_b64 s[4:5], s[4:5], exec
                                        ; implicit-def: $vgpr9
	s_or_saveexec_b64 s[6:7], s[6:7]
	v_mov_b32_e32 v12, s10
	s_xor_b64 exec, exec, s[6:7]
	s_cbranch_execz .LBB58_1878
.LBB58_3928:
	v_cmp_ne_u16_e32 vcc, 0, v9
	s_andn2_b64 s[4:5], s[4:5], exec
	s_and_b64 s[8:9], vcc, exec
	v_mov_b32_e32 v12, 0
	s_or_b64 s[4:5], s[4:5], s[8:9]
	s_or_b64 exec, exec, s[6:7]
	s_and_saveexec_b64 s[6:7], s[4:5]
	s_cbranch_execnz .LBB58_1879
	s_branch .LBB58_1880
.LBB58_3929:
	s_movk_i32 s4, 0x80
	v_cmp_eq_u16_sdwa s[12:13], v14, s4 src0_sel:BYTE_3 src1_sel:DWORD
	s_mov_b64 s[4:5], -1
                                        ; implicit-def: $sgpr10
	s_and_saveexec_b64 s[8:9], s[12:13]
; %bb.3930:
	s_mov_b32 s10, 0x7f800001
	s_xor_b64 s[4:5], exec, -1
; %bb.3931:
	s_or_b64 exec, exec, s[8:9]
	s_and_b64 s[4:5], s[4:5], exec
	s_or_saveexec_b64 s[6:7], s[6:7]
	v_mov_b32_e32 v8, s10
	s_xor_b64 exec, exec, s[6:7]
	s_cbranch_execz .LBB58_1882
.LBB58_3932:
	v_mov_b32_e32 v8, 0
	v_cmp_ne_u16_sdwa s[8:9], v14, v8 src0_sel:BYTE_3 src1_sel:DWORD
	s_andn2_b64 s[4:5], s[4:5], exec
	s_and_b64 s[8:9], s[8:9], exec
	s_or_b64 s[4:5], s[4:5], s[8:9]
	s_or_b64 exec, exec, s[6:7]
	s_and_saveexec_b64 s[6:7], s[4:5]
	s_cbranch_execnz .LBB58_1883
	s_branch .LBB58_1884
.LBB58_3933:
	s_movk_i32 s4, 0x80
	v_cmp_eq_u16_sdwa s[12:13], v10, s4 src0_sel:BYTE_3 src1_sel:DWORD
	s_mov_b64 s[4:5], -1
                                        ; implicit-def: $sgpr10
	s_and_saveexec_b64 s[8:9], s[12:13]
; %bb.3934:
	s_mov_b32 s10, 0x7f800001
	s_xor_b64 s[4:5], exec, -1
; %bb.3935:
	s_or_b64 exec, exec, s[8:9]
	s_and_b64 s[4:5], s[4:5], exec
	s_or_saveexec_b64 s[6:7], s[6:7]
	v_mov_b32_e32 v9, s10
	s_xor_b64 exec, exec, s[6:7]
	s_cbranch_execz .LBB58_1886
.LBB58_3936:
	v_mov_b32_e32 v9, 0
	v_cmp_ne_u16_sdwa s[8:9], v10, v9 src0_sel:BYTE_3 src1_sel:DWORD
	s_andn2_b64 s[4:5], s[4:5], exec
	s_and_b64 s[8:9], s[8:9], exec
	s_or_b64 s[4:5], s[4:5], s[8:9]
	s_or_b64 exec, exec, s[6:7]
	s_and_saveexec_b64 s[6:7], s[4:5]
	s_cbranch_execnz .LBB58_1887
	s_branch .LBB58_1888
.LBB58_3937:
	s_movk_i32 s4, 0x80
	v_cmp_eq_u16_sdwa s[12:13], v15, s4 src0_sel:BYTE_0 src1_sel:DWORD
	s_mov_b64 s[4:5], -1
                                        ; implicit-def: $sgpr10
	s_and_saveexec_b64 s[8:9], s[12:13]
; %bb.3938:
	s_mov_b32 s10, 0x7f800001
	s_xor_b64 s[4:5], exec, -1
; %bb.3939:
	s_or_b64 exec, exec, s[8:9]
	s_and_b64 s[4:5], s[4:5], exec
	s_or_saveexec_b64 s[6:7], s[6:7]
	v_mov_b32_e32 v8, s10
	s_xor_b64 exec, exec, s[6:7]
	s_cbranch_execz .LBB58_1890
.LBB58_3940:
	v_mov_b32_e32 v8, 0
	v_cmp_ne_u16_sdwa s[8:9], v15, v8 src0_sel:BYTE_0 src1_sel:DWORD
	s_andn2_b64 s[4:5], s[4:5], exec
	s_and_b64 s[8:9], s[8:9], exec
	s_or_b64 s[4:5], s[4:5], s[8:9]
	s_or_b64 exec, exec, s[6:7]
	s_and_saveexec_b64 s[6:7], s[4:5]
	s_cbranch_execnz .LBB58_1891
	s_branch .LBB58_1892
.LBB58_3941:
	s_movk_i32 s4, 0x80
	v_cmp_eq_u16_sdwa s[12:13], v11, s4 src0_sel:BYTE_0 src1_sel:DWORD
	s_mov_b64 s[4:5], -1
                                        ; implicit-def: $sgpr10
	s_and_saveexec_b64 s[8:9], s[12:13]
; %bb.3942:
	s_mov_b32 s10, 0x7f800001
	s_xor_b64 s[4:5], exec, -1
; %bb.3943:
	s_or_b64 exec, exec, s[8:9]
	s_and_b64 s[4:5], s[4:5], exec
	s_or_saveexec_b64 s[6:7], s[6:7]
	v_mov_b32_e32 v9, s10
	s_xor_b64 exec, exec, s[6:7]
	s_cbranch_execz .LBB58_1894
.LBB58_3944:
	v_mov_b32_e32 v9, 0
	v_cmp_ne_u16_sdwa s[8:9], v11, v9 src0_sel:BYTE_0 src1_sel:DWORD
	s_andn2_b64 s[4:5], s[4:5], exec
	s_and_b64 s[8:9], s[8:9], exec
	s_or_b64 s[4:5], s[4:5], s[8:9]
	s_or_b64 exec, exec, s[6:7]
	s_and_saveexec_b64 s[6:7], s[4:5]
	s_cbranch_execnz .LBB58_1895
	s_branch .LBB58_1896
.LBB58_3945:
	s_movk_i32 s4, 0x80
	v_cmp_eq_u16_sdwa s[12:13], v9, s4 src0_sel:BYTE_0 src1_sel:DWORD
	s_mov_b64 s[4:5], -1
                                        ; implicit-def: $sgpr10
	s_and_saveexec_b64 s[8:9], s[12:13]
; %bb.3946:
	s_mov_b32 s10, 0x7f800001
	s_xor_b64 s[4:5], exec, -1
; %bb.3947:
	s_or_b64 exec, exec, s[8:9]
	s_and_b64 s[4:5], s[4:5], exec
	s_or_saveexec_b64 s[6:7], s[6:7]
	v_mov_b32_e32 v8, s10
	s_xor_b64 exec, exec, s[6:7]
	s_cbranch_execz .LBB58_1898
.LBB58_3948:
	v_mov_b32_e32 v8, 0
	v_cmp_ne_u16_sdwa s[8:9], v9, v8 src0_sel:BYTE_0 src1_sel:DWORD
	s_andn2_b64 s[4:5], s[4:5], exec
	s_and_b64 s[8:9], s[8:9], exec
	s_or_b64 s[4:5], s[4:5], s[8:9]
	s_or_b64 exec, exec, s[6:7]
	s_and_saveexec_b64 s[6:7], s[4:5]
	s_cbranch_execnz .LBB58_1899
	s_branch .LBB58_1900
.LBB58_3949:
	s_movk_i32 s4, 0x80
	v_cmp_eq_u16_sdwa s[12:13], v9, s4 src0_sel:BYTE_0 src1_sel:DWORD
	s_mov_b64 s[4:5], -1
                                        ; implicit-def: $sgpr10
	s_and_saveexec_b64 s[8:9], s[12:13]
; %bb.3950:
	s_mov_b32 s10, 0x7f800001
	s_xor_b64 s[4:5], exec, -1
; %bb.3951:
	s_or_b64 exec, exec, s[8:9]
	s_and_b64 s[4:5], s[4:5], exec
	s_or_saveexec_b64 s[6:7], s[6:7]
	v_mov_b32_e32 v10, s10
	s_xor_b64 exec, exec, s[6:7]
	s_cbranch_execz .LBB58_1902
.LBB58_3952:
	v_mov_b32_e32 v10, 0
	v_cmp_ne_u16_sdwa s[8:9], v9, v10 src0_sel:BYTE_0 src1_sel:DWORD
	s_andn2_b64 s[4:5], s[4:5], exec
	s_and_b64 s[8:9], s[8:9], exec
	s_or_b64 s[4:5], s[4:5], s[8:9]
	s_or_b64 exec, exec, s[6:7]
	s_and_saveexec_b64 s[6:7], s[4:5]
	s_cbranch_execnz .LBB58_1903
	s_branch .LBB58_1904
.LBB58_3953:
	s_movk_i32 s4, 0x80
	v_cmp_eq_u16_e32 vcc, s4, v9
	s_mov_b64 s[4:5], -1
                                        ; implicit-def: $sgpr10
	s_and_saveexec_b64 s[8:9], vcc
; %bb.3954:
	s_mov_b32 s10, 0x7f800001
	s_xor_b64 s[4:5], exec, -1
; %bb.3955:
	s_or_b64 exec, exec, s[8:9]
	s_and_b64 s[4:5], s[4:5], exec
                                        ; implicit-def: $vgpr9
	s_or_saveexec_b64 s[6:7], s[6:7]
	v_mov_b32_e32 v8, s10
	s_xor_b64 exec, exec, s[6:7]
	s_cbranch_execz .LBB58_1906
.LBB58_3956:
	v_cmp_ne_u16_e32 vcc, 0, v9
	s_andn2_b64 s[4:5], s[4:5], exec
	s_and_b64 s[8:9], vcc, exec
	v_mov_b32_e32 v8, 0
	s_or_b64 s[4:5], s[4:5], s[8:9]
	s_or_b64 exec, exec, s[6:7]
	s_and_saveexec_b64 s[6:7], s[4:5]
	s_cbranch_execnz .LBB58_1907
	s_branch .LBB58_1908
.LBB58_3957:
	s_movk_i32 s4, 0x80
	v_cmp_eq_u16_e32 vcc, s4, v9
	s_mov_b64 s[4:5], -1
                                        ; implicit-def: $sgpr10
	s_and_saveexec_b64 s[8:9], vcc
; %bb.3958:
	s_mov_b32 s10, 0x7f800001
	s_xor_b64 s[4:5], exec, -1
; %bb.3959:
	s_or_b64 exec, exec, s[8:9]
	s_and_b64 s[4:5], s[4:5], exec
                                        ; implicit-def: $vgpr9
	s_or_saveexec_b64 s[6:7], s[6:7]
	v_mov_b32_e32 v10, s10
	s_xor_b64 exec, exec, s[6:7]
	s_cbranch_execz .LBB58_1910
.LBB58_3960:
	v_cmp_ne_u16_e32 vcc, 0, v9
	s_andn2_b64 s[4:5], s[4:5], exec
	s_and_b64 s[8:9], vcc, exec
	v_mov_b32_e32 v10, 0
	s_or_b64 s[4:5], s[4:5], s[8:9]
	s_or_b64 exec, exec, s[6:7]
	s_and_saveexec_b64 s[6:7], s[4:5]
	s_cbranch_execnz .LBB58_1911
	s_branch .LBB58_1912
.LBB58_3961:
	s_movk_i32 s4, 0x80
	v_cmp_eq_u16_sdwa s[12:13], v15, s4 src0_sel:BYTE_3 src1_sel:DWORD
	s_mov_b64 s[4:5], -1
                                        ; implicit-def: $sgpr10
	s_and_saveexec_b64 s[8:9], s[12:13]
; %bb.3962:
	s_mov_b32 s10, 0x7f800001
	s_xor_b64 s[4:5], exec, -1
; %bb.3963:
	s_or_b64 exec, exec, s[8:9]
	s_and_b64 s[4:5], s[4:5], exec
	s_or_saveexec_b64 s[6:7], s[6:7]
	v_mov_b32_e32 v8, s10
	s_xor_b64 exec, exec, s[6:7]
	s_cbranch_execz .LBB58_1914
.LBB58_3964:
	v_mov_b32_e32 v8, 0
	v_cmp_ne_u16_sdwa s[8:9], v15, v8 src0_sel:BYTE_3 src1_sel:DWORD
	s_andn2_b64 s[4:5], s[4:5], exec
	s_and_b64 s[8:9], s[8:9], exec
	s_or_b64 s[4:5], s[4:5], s[8:9]
	s_or_b64 exec, exec, s[6:7]
	s_and_saveexec_b64 s[6:7], s[4:5]
	s_cbranch_execnz .LBB58_1915
	s_branch .LBB58_1916
.LBB58_3965:
	s_movk_i32 s4, 0x80
	v_cmp_eq_u16_sdwa s[12:13], v11, s4 src0_sel:BYTE_3 src1_sel:DWORD
	s_mov_b64 s[4:5], -1
                                        ; implicit-def: $sgpr10
	s_and_saveexec_b64 s[8:9], s[12:13]
; %bb.3966:
	s_mov_b32 s10, 0x7f800001
	s_xor_b64 s[4:5], exec, -1
; %bb.3967:
	s_or_b64 exec, exec, s[8:9]
	s_and_b64 s[4:5], s[4:5], exec
	s_or_saveexec_b64 s[6:7], s[6:7]
	v_mov_b32_e32 v9, s10
	s_xor_b64 exec, exec, s[6:7]
	s_cbranch_execz .LBB58_1918
.LBB58_3968:
	v_mov_b32_e32 v9, 0
	v_cmp_ne_u16_sdwa s[8:9], v11, v9 src0_sel:BYTE_3 src1_sel:DWORD
	s_andn2_b64 s[4:5], s[4:5], exec
	s_and_b64 s[8:9], s[8:9], exec
	s_or_b64 s[4:5], s[4:5], s[8:9]
	s_or_b64 exec, exec, s[6:7]
	s_and_saveexec_b64 s[6:7], s[4:5]
	s_cbranch_execnz .LBB58_1919
	s_branch .LBB58_1920
.LBB58_3969:
	s_movk_i32 s4, 0x80
	v_cmp_eq_u16_sdwa s[12:13], v4, s4 src0_sel:BYTE_0 src1_sel:DWORD
	s_mov_b64 s[4:5], -1
                                        ; implicit-def: $sgpr10
	s_and_saveexec_b64 s[8:9], s[12:13]
; %bb.3970:
	s_mov_b32 s10, 0x7f800001
	s_xor_b64 s[4:5], exec, -1
; %bb.3971:
	s_or_b64 exec, exec, s[8:9]
	s_and_b64 s[4:5], s[4:5], exec
	s_or_saveexec_b64 s[6:7], s[6:7]
	v_mov_b32_e32 v8, s10
	s_xor_b64 exec, exec, s[6:7]
	s_cbranch_execz .LBB58_1922
.LBB58_3972:
	v_mov_b32_e32 v8, 0
	v_cmp_ne_u16_sdwa s[8:9], v4, v8 src0_sel:BYTE_0 src1_sel:DWORD
	s_andn2_b64 s[4:5], s[4:5], exec
	s_and_b64 s[8:9], s[8:9], exec
	s_or_b64 s[4:5], s[4:5], s[8:9]
	s_or_b64 exec, exec, s[6:7]
	s_and_saveexec_b64 s[6:7], s[4:5]
	s_cbranch_execnz .LBB58_1923
	s_branch .LBB58_1924
.LBB58_3973:
	s_movk_i32 s4, 0x80
	v_cmp_eq_u16_sdwa s[12:13], v0, s4 src0_sel:BYTE_0 src1_sel:DWORD
	s_mov_b64 s[4:5], -1
                                        ; implicit-def: $sgpr10
	s_and_saveexec_b64 s[8:9], s[12:13]
; %bb.3974:
	s_mov_b32 s10, 0x7f800001
	s_xor_b64 s[4:5], exec, -1
; %bb.3975:
	s_or_b64 exec, exec, s[8:9]
	s_and_b64 s[4:5], s[4:5], exec
	s_or_saveexec_b64 s[6:7], s[6:7]
	v_mov_b32_e32 v9, s10
	s_xor_b64 exec, exec, s[6:7]
	s_cbranch_execz .LBB58_1926
.LBB58_3976:
	v_mov_b32_e32 v9, 0
	v_cmp_ne_u16_sdwa s[8:9], v0, v9 src0_sel:BYTE_0 src1_sel:DWORD
	s_andn2_b64 s[4:5], s[4:5], exec
	s_and_b64 s[8:9], s[8:9], exec
	s_or_b64 s[4:5], s[4:5], s[8:9]
	s_or_b64 exec, exec, s[6:7]
	s_and_saveexec_b64 s[6:7], s[4:5]
	s_cbranch_execnz .LBB58_1927
	s_branch .LBB58_1928
.LBB58_3977:
	s_movk_i32 s4, 0x80
	v_cmp_eq_u16_sdwa s[12:13], v9, s4 src0_sel:BYTE_0 src1_sel:DWORD
	s_mov_b64 s[4:5], -1
                                        ; implicit-def: $sgpr10
	s_and_saveexec_b64 s[8:9], s[12:13]
; %bb.3978:
	s_mov_b32 s10, 0x7f800001
	s_xor_b64 s[4:5], exec, -1
; %bb.3979:
	s_or_b64 exec, exec, s[8:9]
	s_and_b64 s[4:5], s[4:5], exec
	s_or_saveexec_b64 s[6:7], s[6:7]
	v_mov_b32_e32 v8, s10
	s_xor_b64 exec, exec, s[6:7]
	s_cbranch_execz .LBB58_1930
.LBB58_3980:
	v_mov_b32_e32 v8, 0
	v_cmp_ne_u16_sdwa s[8:9], v9, v8 src0_sel:BYTE_0 src1_sel:DWORD
	s_andn2_b64 s[4:5], s[4:5], exec
	s_and_b64 s[8:9], s[8:9], exec
	s_or_b64 s[4:5], s[4:5], s[8:9]
	s_or_b64 exec, exec, s[6:7]
	s_and_saveexec_b64 s[6:7], s[4:5]
	s_cbranch_execnz .LBB58_1931
	s_branch .LBB58_1932
.LBB58_3981:
	s_movk_i32 s4, 0x80
	v_cmp_eq_u16_sdwa s[12:13], v9, s4 src0_sel:BYTE_0 src1_sel:DWORD
	s_mov_b64 s[4:5], -1
                                        ; implicit-def: $sgpr10
	s_and_saveexec_b64 s[8:9], s[12:13]
; %bb.3982:
	s_mov_b32 s10, 0x7f800001
	s_xor_b64 s[4:5], exec, -1
; %bb.3983:
	s_or_b64 exec, exec, s[8:9]
	s_and_b64 s[4:5], s[4:5], exec
	s_or_saveexec_b64 s[6:7], s[6:7]
	v_mov_b32_e32 v10, s10
	s_xor_b64 exec, exec, s[6:7]
	s_cbranch_execz .LBB58_1934
.LBB58_3984:
	v_mov_b32_e32 v10, 0
	v_cmp_ne_u16_sdwa s[8:9], v9, v10 src0_sel:BYTE_0 src1_sel:DWORD
	s_andn2_b64 s[4:5], s[4:5], exec
	s_and_b64 s[8:9], s[8:9], exec
	s_or_b64 s[4:5], s[4:5], s[8:9]
	s_or_b64 exec, exec, s[6:7]
	s_and_saveexec_b64 s[6:7], s[4:5]
	s_cbranch_execnz .LBB58_1935
	s_branch .LBB58_1936
.LBB58_3985:
	s_movk_i32 s4, 0x80
	v_cmp_eq_u16_e32 vcc, s4, v9
	s_mov_b64 s[4:5], -1
                                        ; implicit-def: $sgpr10
	s_and_saveexec_b64 s[8:9], vcc
; %bb.3986:
	s_mov_b32 s10, 0x7f800001
	s_xor_b64 s[4:5], exec, -1
; %bb.3987:
	s_or_b64 exec, exec, s[8:9]
	s_and_b64 s[4:5], s[4:5], exec
                                        ; implicit-def: $vgpr9
	s_or_saveexec_b64 s[6:7], s[6:7]
	v_mov_b32_e32 v8, s10
	s_xor_b64 exec, exec, s[6:7]
	s_cbranch_execz .LBB58_1938
.LBB58_3988:
	v_cmp_ne_u16_e32 vcc, 0, v9
	s_andn2_b64 s[4:5], s[4:5], exec
	s_and_b64 s[8:9], vcc, exec
	v_mov_b32_e32 v8, 0
	s_or_b64 s[4:5], s[4:5], s[8:9]
	s_or_b64 exec, exec, s[6:7]
	s_and_saveexec_b64 s[6:7], s[4:5]
	s_cbranch_execnz .LBB58_1939
	s_branch .LBB58_1940
.LBB58_3989:
	s_movk_i32 s4, 0x80
	v_cmp_eq_u16_e32 vcc, s4, v9
	s_mov_b64 s[4:5], -1
                                        ; implicit-def: $sgpr10
	s_and_saveexec_b64 s[8:9], vcc
; %bb.3990:
	s_mov_b32 s10, 0x7f800001
	s_xor_b64 s[4:5], exec, -1
; %bb.3991:
	s_or_b64 exec, exec, s[8:9]
	s_and_b64 s[4:5], s[4:5], exec
                                        ; implicit-def: $vgpr9
	s_or_saveexec_b64 s[6:7], s[6:7]
	v_mov_b32_e32 v10, s10
	s_xor_b64 exec, exec, s[6:7]
	s_cbranch_execz .LBB58_1942
.LBB58_3992:
	v_cmp_ne_u16_e32 vcc, 0, v9
	s_andn2_b64 s[4:5], s[4:5], exec
	s_and_b64 s[8:9], vcc, exec
	v_mov_b32_e32 v10, 0
	s_or_b64 s[4:5], s[4:5], s[8:9]
	s_or_b64 exec, exec, s[6:7]
	s_and_saveexec_b64 s[6:7], s[4:5]
	s_cbranch_execnz .LBB58_1943
	s_branch .LBB58_1944
.LBB58_3993:
	s_movk_i32 s4, 0x80
	v_cmp_eq_u16_sdwa s[12:13], v4, s4 src0_sel:BYTE_3 src1_sel:DWORD
	s_mov_b64 s[4:5], -1
                                        ; implicit-def: $sgpr10
	s_and_saveexec_b64 s[8:9], s[12:13]
; %bb.3994:
	s_mov_b32 s10, 0x7f800001
	s_xor_b64 s[4:5], exec, -1
; %bb.3995:
	s_or_b64 exec, exec, s[8:9]
	s_and_b64 s[4:5], s[4:5], exec
	s_or_saveexec_b64 s[6:7], s[6:7]
	v_mov_b32_e32 v8, s10
	s_xor_b64 exec, exec, s[6:7]
	s_cbranch_execz .LBB58_1946
.LBB58_3996:
	v_mov_b32_e32 v8, 0
	v_cmp_ne_u16_sdwa s[8:9], v4, v8 src0_sel:BYTE_3 src1_sel:DWORD
	s_andn2_b64 s[4:5], s[4:5], exec
	s_and_b64 s[8:9], s[8:9], exec
	s_or_b64 s[4:5], s[4:5], s[8:9]
	s_or_b64 exec, exec, s[6:7]
	s_and_saveexec_b64 s[6:7], s[4:5]
	s_cbranch_execnz .LBB58_1947
	s_branch .LBB58_1948
.LBB58_3997:
	s_movk_i32 s4, 0x80
	v_cmp_eq_u16_sdwa s[12:13], v0, s4 src0_sel:BYTE_3 src1_sel:DWORD
	s_mov_b64 s[4:5], -1
                                        ; implicit-def: $sgpr10
	s_and_saveexec_b64 s[8:9], s[12:13]
; %bb.3998:
	s_mov_b32 s10, 0x7f800001
	s_xor_b64 s[4:5], exec, -1
; %bb.3999:
	s_or_b64 exec, exec, s[8:9]
	s_and_b64 s[4:5], s[4:5], exec
	s_or_saveexec_b64 s[6:7], s[6:7]
	v_mov_b32_e32 v4, s10
	s_xor_b64 exec, exec, s[6:7]
	s_cbranch_execz .LBB58_1950
.LBB58_4000:
	v_mov_b32_e32 v4, 0
	v_cmp_ne_u16_sdwa s[8:9], v0, v4 src0_sel:BYTE_3 src1_sel:DWORD
	s_andn2_b64 s[4:5], s[4:5], exec
	s_and_b64 s[8:9], s[8:9], exec
	s_or_b64 s[4:5], s[4:5], s[8:9]
	s_or_b64 exec, exec, s[6:7]
	s_and_saveexec_b64 s[6:7], s[4:5]
	s_cbranch_execnz .LBB58_1951
	s_branch .LBB58_1952
.LBB58_4001:
	s_movk_i32 s4, 0x80
	v_cmp_eq_u16_sdwa s[12:13], v5, s4 src0_sel:BYTE_0 src1_sel:DWORD
	s_mov_b64 s[4:5], -1
                                        ; implicit-def: $sgpr10
	s_and_saveexec_b64 s[8:9], s[12:13]
; %bb.4002:
	s_mov_b32 s10, 0x7f800001
	s_xor_b64 s[4:5], exec, -1
; %bb.4003:
	s_or_b64 exec, exec, s[8:9]
	s_and_b64 s[4:5], s[4:5], exec
	s_or_saveexec_b64 s[6:7], s[6:7]
	v_mov_b32_e32 v0, s10
	s_xor_b64 exec, exec, s[6:7]
	s_cbranch_execz .LBB58_1954
.LBB58_4004:
	v_mov_b32_e32 v0, 0
	v_cmp_ne_u16_sdwa s[8:9], v5, v0 src0_sel:BYTE_0 src1_sel:DWORD
	s_andn2_b64 s[4:5], s[4:5], exec
	s_and_b64 s[8:9], s[8:9], exec
	s_or_b64 s[4:5], s[4:5], s[8:9]
	s_or_b64 exec, exec, s[6:7]
	s_and_saveexec_b64 s[6:7], s[4:5]
	s_cbranch_execnz .LBB58_1955
	s_branch .LBB58_1956
.LBB58_4005:
	s_movk_i32 s4, 0x80
	v_cmp_eq_u16_sdwa s[12:13], v1, s4 src0_sel:BYTE_0 src1_sel:DWORD
	s_mov_b64 s[4:5], -1
                                        ; implicit-def: $sgpr10
	s_and_saveexec_b64 s[8:9], s[12:13]
; %bb.4006:
	s_mov_b32 s10, 0x7f800001
	s_xor_b64 s[4:5], exec, -1
; %bb.4007:
	s_or_b64 exec, exec, s[8:9]
	s_and_b64 s[4:5], s[4:5], exec
	s_or_saveexec_b64 s[6:7], s[6:7]
	v_mov_b32_e32 v4, s10
	s_xor_b64 exec, exec, s[6:7]
	s_cbranch_execz .LBB58_1958
.LBB58_4008:
	v_mov_b32_e32 v4, 0
	v_cmp_ne_u16_sdwa s[8:9], v1, v4 src0_sel:BYTE_0 src1_sel:DWORD
	s_andn2_b64 s[4:5], s[4:5], exec
	s_and_b64 s[8:9], s[8:9], exec
	s_or_b64 s[4:5], s[4:5], s[8:9]
	s_or_b64 exec, exec, s[6:7]
	s_and_saveexec_b64 s[6:7], s[4:5]
	s_cbranch_execnz .LBB58_1959
	s_branch .LBB58_1960
.LBB58_4009:
	s_movk_i32 s4, 0x80
	v_cmp_eq_u16_sdwa s[12:13], v4, s4 src0_sel:BYTE_0 src1_sel:DWORD
	s_mov_b64 s[4:5], -1
                                        ; implicit-def: $sgpr10
	s_and_saveexec_b64 s[8:9], s[12:13]
; %bb.4010:
	s_mov_b32 s10, 0x7f800001
	s_xor_b64 s[4:5], exec, -1
; %bb.4011:
	s_or_b64 exec, exec, s[8:9]
	s_and_b64 s[4:5], s[4:5], exec
	s_or_saveexec_b64 s[6:7], s[6:7]
	v_mov_b32_e32 v0, s10
	s_xor_b64 exec, exec, s[6:7]
	s_cbranch_execz .LBB58_1962
.LBB58_4012:
	v_mov_b32_e32 v0, 0
	v_cmp_ne_u16_sdwa s[8:9], v4, v0 src0_sel:BYTE_0 src1_sel:DWORD
	s_andn2_b64 s[4:5], s[4:5], exec
	s_and_b64 s[8:9], s[8:9], exec
	s_or_b64 s[4:5], s[4:5], s[8:9]
	s_or_b64 exec, exec, s[6:7]
	s_and_saveexec_b64 s[6:7], s[4:5]
	s_cbranch_execnz .LBB58_1963
	s_branch .LBB58_1964
.LBB58_4013:
	s_movk_i32 s4, 0x80
	v_cmp_eq_u16_sdwa s[12:13], v4, s4 src0_sel:BYTE_0 src1_sel:DWORD
	s_mov_b64 s[4:5], -1
                                        ; implicit-def: $sgpr10
	s_and_saveexec_b64 s[8:9], s[12:13]
; %bb.4014:
	s_mov_b32 s10, 0x7f800001
	s_xor_b64 s[4:5], exec, -1
; %bb.4015:
	s_or_b64 exec, exec, s[8:9]
	s_and_b64 s[4:5], s[4:5], exec
	s_or_saveexec_b64 s[6:7], s[6:7]
	v_mov_b32_e32 v8, s10
	s_xor_b64 exec, exec, s[6:7]
	s_cbranch_execz .LBB58_1966
.LBB58_4016:
	v_mov_b32_e32 v8, 0
	v_cmp_ne_u16_sdwa s[8:9], v4, v8 src0_sel:BYTE_0 src1_sel:DWORD
	s_andn2_b64 s[4:5], s[4:5], exec
	s_and_b64 s[8:9], s[8:9], exec
	s_or_b64 s[4:5], s[4:5], s[8:9]
	s_or_b64 exec, exec, s[6:7]
	s_and_saveexec_b64 s[6:7], s[4:5]
	s_cbranch_execnz .LBB58_1967
	s_branch .LBB58_1968
.LBB58_4017:
	s_movk_i32 s4, 0x80
	v_cmp_eq_u16_e32 vcc, s4, v4
	s_mov_b64 s[4:5], -1
                                        ; implicit-def: $sgpr10
	s_and_saveexec_b64 s[8:9], vcc
; %bb.4018:
	s_mov_b32 s10, 0x7f800001
	s_xor_b64 s[4:5], exec, -1
; %bb.4019:
	s_or_b64 exec, exec, s[8:9]
	s_and_b64 s[4:5], s[4:5], exec
                                        ; implicit-def: $vgpr4
	s_or_saveexec_b64 s[6:7], s[6:7]
	v_mov_b32_e32 v0, s10
	s_xor_b64 exec, exec, s[6:7]
	s_cbranch_execz .LBB58_1970
.LBB58_4020:
	v_cmp_ne_u16_e32 vcc, 0, v4
	s_andn2_b64 s[4:5], s[4:5], exec
	s_and_b64 s[8:9], vcc, exec
	v_mov_b32_e32 v0, 0
	s_or_b64 s[4:5], s[4:5], s[8:9]
	s_or_b64 exec, exec, s[6:7]
	s_and_saveexec_b64 s[6:7], s[4:5]
	s_cbranch_execnz .LBB58_1971
	s_branch .LBB58_1972
.LBB58_4021:
	s_movk_i32 s4, 0x80
	v_cmp_eq_u16_e32 vcc, s4, v4
	s_mov_b64 s[4:5], -1
                                        ; implicit-def: $sgpr10
	s_and_saveexec_b64 s[8:9], vcc
; %bb.4022:
	s_mov_b32 s10, 0x7f800001
	s_xor_b64 s[4:5], exec, -1
; %bb.4023:
	s_or_b64 exec, exec, s[8:9]
	s_and_b64 s[4:5], s[4:5], exec
                                        ; implicit-def: $vgpr4
	s_or_saveexec_b64 s[6:7], s[6:7]
	v_mov_b32_e32 v8, s10
	s_xor_b64 exec, exec, s[6:7]
	s_cbranch_execz .LBB58_1974
.LBB58_4024:
	v_cmp_ne_u16_e32 vcc, 0, v4
	s_andn2_b64 s[4:5], s[4:5], exec
	s_and_b64 s[8:9], vcc, exec
	v_mov_b32_e32 v8, 0
	s_or_b64 s[4:5], s[4:5], s[8:9]
	s_or_b64 exec, exec, s[6:7]
	s_and_saveexec_b64 s[6:7], s[4:5]
	s_cbranch_execnz .LBB58_1975
	s_branch .LBB58_1976
.LBB58_4025:
	s_movk_i32 s4, 0x80
	v_cmp_eq_u16_sdwa s[12:13], v5, s4 src0_sel:BYTE_3 src1_sel:DWORD
	s_mov_b64 s[4:5], -1
                                        ; implicit-def: $sgpr10
	s_and_saveexec_b64 s[8:9], s[12:13]
; %bb.4026:
	s_mov_b32 s10, 0x7f800001
	s_xor_b64 s[4:5], exec, -1
; %bb.4027:
	s_or_b64 exec, exec, s[8:9]
	s_and_b64 s[4:5], s[4:5], exec
	s_or_saveexec_b64 s[6:7], s[6:7]
	v_mov_b32_e32 v0, s10
	s_xor_b64 exec, exec, s[6:7]
	s_cbranch_execz .LBB58_1978
.LBB58_4028:
	v_mov_b32_e32 v0, 0
	v_cmp_ne_u16_sdwa s[8:9], v5, v0 src0_sel:BYTE_3 src1_sel:DWORD
	s_andn2_b64 s[4:5], s[4:5], exec
	s_and_b64 s[8:9], s[8:9], exec
	s_or_b64 s[4:5], s[4:5], s[8:9]
	s_or_b64 exec, exec, s[6:7]
	s_and_saveexec_b64 s[6:7], s[4:5]
	s_cbranch_execnz .LBB58_1979
	s_branch .LBB58_1980
.LBB58_4029:
	s_movk_i32 s4, 0x80
	v_cmp_eq_u16_sdwa s[12:13], v1, s4 src0_sel:BYTE_3 src1_sel:DWORD
	s_mov_b64 s[4:5], -1
                                        ; implicit-def: $sgpr10
	s_and_saveexec_b64 s[8:9], s[12:13]
; %bb.4030:
	s_mov_b32 s10, 0x7f800001
	s_xor_b64 s[4:5], exec, -1
; %bb.4031:
	s_or_b64 exec, exec, s[8:9]
	s_and_b64 s[4:5], s[4:5], exec
	s_or_saveexec_b64 s[6:7], s[6:7]
	v_mov_b32_e32 v4, s10
	s_xor_b64 exec, exec, s[6:7]
	s_cbranch_execz .LBB58_1982
.LBB58_4032:
	v_mov_b32_e32 v4, 0
	v_cmp_ne_u16_sdwa s[8:9], v1, v4 src0_sel:BYTE_3 src1_sel:DWORD
	s_andn2_b64 s[4:5], s[4:5], exec
	s_and_b64 s[8:9], s[8:9], exec
	s_or_b64 s[4:5], s[4:5], s[8:9]
	s_or_b64 exec, exec, s[6:7]
	s_and_saveexec_b64 s[6:7], s[4:5]
	s_cbranch_execnz .LBB58_1983
	s_branch .LBB58_1984
.LBB58_4033:
	s_movk_i32 s4, 0x80
	v_cmp_eq_u16_sdwa s[12:13], v6, s4 src0_sel:BYTE_0 src1_sel:DWORD
	s_mov_b64 s[4:5], -1
                                        ; implicit-def: $sgpr10
	s_and_saveexec_b64 s[8:9], s[12:13]
; %bb.4034:
	s_mov_b32 s10, 0x7f800001
	s_xor_b64 s[4:5], exec, -1
; %bb.4035:
	s_or_b64 exec, exec, s[8:9]
	s_and_b64 s[4:5], s[4:5], exec
	s_or_saveexec_b64 s[6:7], s[6:7]
	v_mov_b32_e32 v0, s10
	s_xor_b64 exec, exec, s[6:7]
	s_cbranch_execz .LBB58_1986
.LBB58_4036:
	v_mov_b32_e32 v0, 0
	v_cmp_ne_u16_sdwa s[8:9], v6, v0 src0_sel:BYTE_0 src1_sel:DWORD
	s_andn2_b64 s[4:5], s[4:5], exec
	s_and_b64 s[8:9], s[8:9], exec
	s_or_b64 s[4:5], s[4:5], s[8:9]
	s_or_b64 exec, exec, s[6:7]
	s_and_saveexec_b64 s[6:7], s[4:5]
	s_cbranch_execnz .LBB58_1987
	s_branch .LBB58_1988
.LBB58_4037:
	s_movk_i32 s4, 0x80
	v_cmp_eq_u16_sdwa s[12:13], v2, s4 src0_sel:BYTE_0 src1_sel:DWORD
	s_mov_b64 s[4:5], -1
                                        ; implicit-def: $sgpr10
	s_and_saveexec_b64 s[8:9], s[12:13]
; %bb.4038:
	s_mov_b32 s10, 0x7f800001
	s_xor_b64 s[4:5], exec, -1
; %bb.4039:
	s_or_b64 exec, exec, s[8:9]
	s_and_b64 s[4:5], s[4:5], exec
	s_or_saveexec_b64 s[6:7], s[6:7]
	v_mov_b32_e32 v1, s10
	s_xor_b64 exec, exec, s[6:7]
	s_cbranch_execz .LBB58_1990
.LBB58_4040:
	v_mov_b32_e32 v1, 0
	v_cmp_ne_u16_sdwa s[8:9], v2, v1 src0_sel:BYTE_0 src1_sel:DWORD
	s_andn2_b64 s[4:5], s[4:5], exec
	s_and_b64 s[8:9], s[8:9], exec
	s_or_b64 s[4:5], s[4:5], s[8:9]
	s_or_b64 exec, exec, s[6:7]
	s_and_saveexec_b64 s[6:7], s[4:5]
	s_cbranch_execnz .LBB58_1991
	s_branch .LBB58_1992
.LBB58_4041:
	s_movk_i32 s4, 0x80
	v_cmp_eq_u16_sdwa s[12:13], v1, s4 src0_sel:BYTE_0 src1_sel:DWORD
	s_mov_b64 s[4:5], -1
                                        ; implicit-def: $sgpr10
	s_and_saveexec_b64 s[8:9], s[12:13]
; %bb.4042:
	s_mov_b32 s10, 0x7f800001
	s_xor_b64 s[4:5], exec, -1
; %bb.4043:
	s_or_b64 exec, exec, s[8:9]
	s_and_b64 s[4:5], s[4:5], exec
	s_or_saveexec_b64 s[6:7], s[6:7]
	v_mov_b32_e32 v0, s10
	s_xor_b64 exec, exec, s[6:7]
	s_cbranch_execz .LBB58_1994
.LBB58_4044:
	v_mov_b32_e32 v0, 0
	v_cmp_ne_u16_sdwa s[8:9], v1, v0 src0_sel:BYTE_0 src1_sel:DWORD
	s_andn2_b64 s[4:5], s[4:5], exec
	s_and_b64 s[8:9], s[8:9], exec
	s_or_b64 s[4:5], s[4:5], s[8:9]
	s_or_b64 exec, exec, s[6:7]
	s_and_saveexec_b64 s[6:7], s[4:5]
	s_cbranch_execnz .LBB58_1995
	s_branch .LBB58_1996
.LBB58_4045:
	s_movk_i32 s4, 0x80
	v_cmp_eq_u16_sdwa s[12:13], v1, s4 src0_sel:BYTE_0 src1_sel:DWORD
	s_mov_b64 s[4:5], -1
                                        ; implicit-def: $sgpr10
	s_and_saveexec_b64 s[8:9], s[12:13]
; %bb.4046:
	s_mov_b32 s10, 0x7f800001
	s_xor_b64 s[4:5], exec, -1
; %bb.4047:
	s_or_b64 exec, exec, s[8:9]
	s_and_b64 s[4:5], s[4:5], exec
	s_or_saveexec_b64 s[6:7], s[6:7]
	v_mov_b32_e32 v4, s10
	s_xor_b64 exec, exec, s[6:7]
	s_cbranch_execz .LBB58_1998
.LBB58_4048:
	v_mov_b32_e32 v4, 0
	v_cmp_ne_u16_sdwa s[8:9], v1, v4 src0_sel:BYTE_0 src1_sel:DWORD
	s_andn2_b64 s[4:5], s[4:5], exec
	s_and_b64 s[8:9], s[8:9], exec
	s_or_b64 s[4:5], s[4:5], s[8:9]
	s_or_b64 exec, exec, s[6:7]
	s_and_saveexec_b64 s[6:7], s[4:5]
	s_cbranch_execnz .LBB58_1999
	s_branch .LBB58_2000
.LBB58_4049:
	s_movk_i32 s4, 0x80
	v_cmp_eq_u16_e32 vcc, s4, v1
	s_mov_b64 s[4:5], -1
                                        ; implicit-def: $sgpr10
	s_and_saveexec_b64 s[8:9], vcc
; %bb.4050:
	s_mov_b32 s10, 0x7f800001
	s_xor_b64 s[4:5], exec, -1
; %bb.4051:
	s_or_b64 exec, exec, s[8:9]
	s_and_b64 s[4:5], s[4:5], exec
                                        ; implicit-def: $vgpr1
	s_or_saveexec_b64 s[6:7], s[6:7]
	v_mov_b32_e32 v0, s10
	s_xor_b64 exec, exec, s[6:7]
	s_cbranch_execz .LBB58_2002
.LBB58_4052:
	v_cmp_ne_u16_e32 vcc, 0, v1
	s_andn2_b64 s[4:5], s[4:5], exec
	s_and_b64 s[8:9], vcc, exec
	v_mov_b32_e32 v0, 0
	s_or_b64 s[4:5], s[4:5], s[8:9]
	s_or_b64 exec, exec, s[6:7]
	s_and_saveexec_b64 s[6:7], s[4:5]
	s_cbranch_execnz .LBB58_2003
	s_branch .LBB58_2004
.LBB58_4053:
	s_movk_i32 s4, 0x80
	v_cmp_eq_u16_e32 vcc, s4, v1
	s_mov_b64 s[4:5], -1
                                        ; implicit-def: $sgpr10
	s_and_saveexec_b64 s[8:9], vcc
; %bb.4054:
	s_mov_b32 s10, 0x7f800001
	s_xor_b64 s[4:5], exec, -1
; %bb.4055:
	s_or_b64 exec, exec, s[8:9]
	s_and_b64 s[4:5], s[4:5], exec
                                        ; implicit-def: $vgpr1
	s_or_saveexec_b64 s[6:7], s[6:7]
	v_mov_b32_e32 v4, s10
	s_xor_b64 exec, exec, s[6:7]
	s_cbranch_execz .LBB58_2006
.LBB58_4056:
	v_cmp_ne_u16_e32 vcc, 0, v1
	s_andn2_b64 s[4:5], s[4:5], exec
	s_and_b64 s[8:9], vcc, exec
	v_mov_b32_e32 v4, 0
	s_or_b64 s[4:5], s[4:5], s[8:9]
	s_or_b64 exec, exec, s[6:7]
	s_and_saveexec_b64 s[6:7], s[4:5]
	s_cbranch_execnz .LBB58_2007
	s_branch .LBB58_2008
.LBB58_4057:
	s_movk_i32 s4, 0x80
	v_cmp_eq_u16_sdwa s[12:13], v6, s4 src0_sel:BYTE_3 src1_sel:DWORD
	s_mov_b64 s[4:5], -1
                                        ; implicit-def: $sgpr10
	s_and_saveexec_b64 s[8:9], s[12:13]
; %bb.4058:
	s_mov_b32 s10, 0x7f800001
	s_xor_b64 s[4:5], exec, -1
; %bb.4059:
	s_or_b64 exec, exec, s[8:9]
	s_and_b64 s[4:5], s[4:5], exec
	s_or_saveexec_b64 s[6:7], s[6:7]
	v_mov_b32_e32 v0, s10
	s_xor_b64 exec, exec, s[6:7]
	s_cbranch_execz .LBB58_2010
.LBB58_4060:
	v_mov_b32_e32 v0, 0
	v_cmp_ne_u16_sdwa s[8:9], v6, v0 src0_sel:BYTE_3 src1_sel:DWORD
	s_andn2_b64 s[4:5], s[4:5], exec
	s_and_b64 s[8:9], s[8:9], exec
	s_or_b64 s[4:5], s[4:5], s[8:9]
	s_or_b64 exec, exec, s[6:7]
	s_and_saveexec_b64 s[6:7], s[4:5]
	s_cbranch_execnz .LBB58_2011
	s_branch .LBB58_2012
.LBB58_4061:
	s_movk_i32 s4, 0x80
	v_cmp_eq_u16_sdwa s[12:13], v2, s4 src0_sel:BYTE_3 src1_sel:DWORD
	s_mov_b64 s[4:5], -1
                                        ; implicit-def: $sgpr10
	s_and_saveexec_b64 s[8:9], s[12:13]
; %bb.4062:
	s_mov_b32 s10, 0x7f800001
	s_xor_b64 s[4:5], exec, -1
; %bb.4063:
	s_or_b64 exec, exec, s[8:9]
	s_and_b64 s[4:5], s[4:5], exec
	s_or_saveexec_b64 s[6:7], s[6:7]
	v_mov_b32_e32 v1, s10
	s_xor_b64 exec, exec, s[6:7]
	s_cbranch_execz .LBB58_2014
.LBB58_4064:
	v_mov_b32_e32 v1, 0
	v_cmp_ne_u16_sdwa s[8:9], v2, v1 src0_sel:BYTE_3 src1_sel:DWORD
	s_andn2_b64 s[4:5], s[4:5], exec
	s_and_b64 s[8:9], s[8:9], exec
	s_or_b64 s[4:5], s[4:5], s[8:9]
	s_or_b64 exec, exec, s[6:7]
	s_and_saveexec_b64 s[6:7], s[4:5]
	s_cbranch_execnz .LBB58_2015
	s_branch .LBB58_2016
.LBB58_4065:
	s_movk_i32 s4, 0x80
	v_cmp_eq_u16_sdwa s[12:13], v7, s4 src0_sel:BYTE_0 src1_sel:DWORD
	s_mov_b64 s[4:5], -1
                                        ; implicit-def: $sgpr10
	s_and_saveexec_b64 s[8:9], s[12:13]
; %bb.4066:
	s_mov_b32 s10, 0x7f800001
	s_xor_b64 s[4:5], exec, -1
; %bb.4067:
	s_or_b64 exec, exec, s[8:9]
	s_and_b64 s[4:5], s[4:5], exec
	s_or_saveexec_b64 s[6:7], s[6:7]
	v_mov_b32_e32 v0, s10
	s_xor_b64 exec, exec, s[6:7]
	s_cbranch_execz .LBB58_2018
.LBB58_4068:
	v_mov_b32_e32 v0, 0
	v_cmp_ne_u16_sdwa s[8:9], v7, v0 src0_sel:BYTE_0 src1_sel:DWORD
	s_andn2_b64 s[4:5], s[4:5], exec
	s_and_b64 s[8:9], s[8:9], exec
	s_or_b64 s[4:5], s[4:5], s[8:9]
	s_or_b64 exec, exec, s[6:7]
	s_and_saveexec_b64 s[6:7], s[4:5]
	s_cbranch_execnz .LBB58_2019
	s_branch .LBB58_2020
.LBB58_4069:
	s_movk_i32 s4, 0x80
	v_cmp_eq_u16_sdwa s[12:13], v3, s4 src0_sel:BYTE_0 src1_sel:DWORD
	s_mov_b64 s[4:5], -1
                                        ; implicit-def: $sgpr10
	s_and_saveexec_b64 s[8:9], s[12:13]
; %bb.4070:
	s_mov_b32 s10, 0x7f800001
	s_xor_b64 s[4:5], exec, -1
; %bb.4071:
	s_or_b64 exec, exec, s[8:9]
	s_and_b64 s[4:5], s[4:5], exec
	s_or_saveexec_b64 s[6:7], s[6:7]
	v_mov_b32_e32 v1, s10
	s_xor_b64 exec, exec, s[6:7]
	s_cbranch_execz .LBB58_2022
.LBB58_4072:
	v_mov_b32_e32 v1, 0
	v_cmp_ne_u16_sdwa s[8:9], v3, v1 src0_sel:BYTE_0 src1_sel:DWORD
	s_andn2_b64 s[4:5], s[4:5], exec
	s_and_b64 s[8:9], s[8:9], exec
	s_or_b64 s[4:5], s[4:5], s[8:9]
	s_or_b64 exec, exec, s[6:7]
	s_and_saveexec_b64 s[6:7], s[4:5]
	s_cbranch_execnz .LBB58_2023
	s_branch .LBB58_2024
.LBB58_4073:
	s_movk_i32 s4, 0x80
	v_cmp_eq_u16_sdwa s[12:13], v1, s4 src0_sel:BYTE_0 src1_sel:DWORD
	s_mov_b64 s[4:5], -1
                                        ; implicit-def: $sgpr10
	s_and_saveexec_b64 s[8:9], s[12:13]
; %bb.4074:
	s_mov_b32 s10, 0x7f800001
	s_xor_b64 s[4:5], exec, -1
; %bb.4075:
	s_or_b64 exec, exec, s[8:9]
	s_and_b64 s[4:5], s[4:5], exec
	s_or_saveexec_b64 s[6:7], s[6:7]
	v_mov_b32_e32 v0, s10
	s_xor_b64 exec, exec, s[6:7]
	s_cbranch_execz .LBB58_2026
.LBB58_4076:
	v_mov_b32_e32 v0, 0
	v_cmp_ne_u16_sdwa s[8:9], v1, v0 src0_sel:BYTE_0 src1_sel:DWORD
	s_andn2_b64 s[4:5], s[4:5], exec
	s_and_b64 s[8:9], s[8:9], exec
	s_or_b64 s[4:5], s[4:5], s[8:9]
	s_or_b64 exec, exec, s[6:7]
	s_and_saveexec_b64 s[6:7], s[4:5]
	s_cbranch_execnz .LBB58_2027
	s_branch .LBB58_2028
.LBB58_4077:
	s_movk_i32 s4, 0x80
	v_cmp_eq_u16_sdwa s[12:13], v1, s4 src0_sel:BYTE_0 src1_sel:DWORD
	s_mov_b64 s[4:5], -1
                                        ; implicit-def: $sgpr10
	s_and_saveexec_b64 s[8:9], s[12:13]
; %bb.4078:
	s_mov_b32 s10, 0x7f800001
	s_xor_b64 s[4:5], exec, -1
; %bb.4079:
	s_or_b64 exec, exec, s[8:9]
	s_and_b64 s[4:5], s[4:5], exec
	s_or_saveexec_b64 s[6:7], s[6:7]
	v_mov_b32_e32 v2, s10
	s_xor_b64 exec, exec, s[6:7]
	s_cbranch_execz .LBB58_2030
.LBB58_4080:
	v_mov_b32_e32 v2, 0
	v_cmp_ne_u16_sdwa s[8:9], v1, v2 src0_sel:BYTE_0 src1_sel:DWORD
	s_andn2_b64 s[4:5], s[4:5], exec
	s_and_b64 s[8:9], s[8:9], exec
	s_or_b64 s[4:5], s[4:5], s[8:9]
	s_or_b64 exec, exec, s[6:7]
	s_and_saveexec_b64 s[6:7], s[4:5]
	s_cbranch_execnz .LBB58_2031
	s_branch .LBB58_2032
.LBB58_4081:
	s_movk_i32 s4, 0x80
	v_cmp_eq_u16_e32 vcc, s4, v1
	s_mov_b64 s[4:5], -1
                                        ; implicit-def: $sgpr10
	s_and_saveexec_b64 s[8:9], vcc
; %bb.4082:
	s_mov_b32 s10, 0x7f800001
	s_xor_b64 s[4:5], exec, -1
; %bb.4083:
	s_or_b64 exec, exec, s[8:9]
	s_and_b64 s[4:5], s[4:5], exec
                                        ; implicit-def: $vgpr1
	s_or_saveexec_b64 s[6:7], s[6:7]
	v_mov_b32_e32 v0, s10
	s_xor_b64 exec, exec, s[6:7]
	s_cbranch_execz .LBB58_2034
.LBB58_4084:
	v_cmp_ne_u16_e32 vcc, 0, v1
	s_andn2_b64 s[4:5], s[4:5], exec
	s_and_b64 s[8:9], vcc, exec
	v_mov_b32_e32 v0, 0
	s_or_b64 s[4:5], s[4:5], s[8:9]
	s_or_b64 exec, exec, s[6:7]
	s_and_saveexec_b64 s[6:7], s[4:5]
	s_cbranch_execnz .LBB58_2035
	s_branch .LBB58_2036
.LBB58_4085:
	s_movk_i32 s4, 0x80
	v_cmp_eq_u16_e32 vcc, s4, v1
	s_mov_b64 s[4:5], -1
                                        ; implicit-def: $sgpr10
	s_and_saveexec_b64 s[8:9], vcc
; %bb.4086:
	s_mov_b32 s10, 0x7f800001
	s_xor_b64 s[4:5], exec, -1
; %bb.4087:
	s_or_b64 exec, exec, s[8:9]
	s_and_b64 s[4:5], s[4:5], exec
                                        ; implicit-def: $vgpr1
	s_or_saveexec_b64 s[6:7], s[6:7]
	v_mov_b32_e32 v2, s10
	s_xor_b64 exec, exec, s[6:7]
	s_cbranch_execz .LBB58_2038
.LBB58_4088:
	v_cmp_ne_u16_e32 vcc, 0, v1
	s_andn2_b64 s[4:5], s[4:5], exec
	s_and_b64 s[8:9], vcc, exec
	v_mov_b32_e32 v2, 0
	s_or_b64 s[4:5], s[4:5], s[8:9]
	s_or_b64 exec, exec, s[6:7]
	s_and_saveexec_b64 s[6:7], s[4:5]
	s_cbranch_execnz .LBB58_2039
	s_branch .LBB58_2040
.LBB58_4089:
	s_movk_i32 s4, 0x80
	v_cmp_eq_u16_sdwa s[12:13], v7, s4 src0_sel:BYTE_3 src1_sel:DWORD
	s_mov_b64 s[4:5], -1
                                        ; implicit-def: $sgpr10
	s_and_saveexec_b64 s[8:9], s[12:13]
; %bb.4090:
	s_mov_b32 s10, 0x7f800001
	s_xor_b64 s[4:5], exec, -1
; %bb.4091:
	s_or_b64 exec, exec, s[8:9]
	s_and_b64 s[4:5], s[4:5], exec
	s_or_saveexec_b64 s[6:7], s[6:7]
	v_mov_b32_e32 v0, s10
	s_xor_b64 exec, exec, s[6:7]
	s_cbranch_execz .LBB58_2042
.LBB58_4092:
	v_mov_b32_e32 v0, 0
	v_cmp_ne_u16_sdwa s[8:9], v7, v0 src0_sel:BYTE_3 src1_sel:DWORD
	s_andn2_b64 s[4:5], s[4:5], exec
	s_and_b64 s[8:9], s[8:9], exec
	s_or_b64 s[4:5], s[4:5], s[8:9]
	s_or_b64 exec, exec, s[6:7]
	s_and_saveexec_b64 s[6:7], s[4:5]
	s_cbranch_execnz .LBB58_2043
	s_branch .LBB58_2044
.LBB58_4093:
	s_movk_i32 s4, 0x80
	v_cmp_eq_u16_sdwa s[12:13], v3, s4 src0_sel:BYTE_3 src1_sel:DWORD
	s_mov_b64 s[4:5], -1
                                        ; implicit-def: $sgpr10
	s_and_saveexec_b64 s[8:9], s[12:13]
; %bb.4094:
	s_mov_b32 s10, 0x7f800001
	s_xor_b64 s[4:5], exec, -1
; %bb.4095:
	s_or_b64 exec, exec, s[8:9]
	s_and_b64 s[4:5], s[4:5], exec
	s_or_saveexec_b64 s[6:7], s[6:7]
	v_mov_b32_e32 v1, s10
	s_xor_b64 exec, exec, s[6:7]
	s_cbranch_execz .LBB58_2046
.LBB58_4096:
	v_mov_b32_e32 v1, 0
	v_cmp_ne_u16_sdwa s[8:9], v3, v1 src0_sel:BYTE_3 src1_sel:DWORD
	s_andn2_b64 s[4:5], s[4:5], exec
	s_and_b64 s[8:9], s[8:9], exec
	s_or_b64 s[4:5], s[4:5], s[8:9]
	s_or_b64 exec, exec, s[6:7]
	s_and_saveexec_b64 s[6:7], s[4:5]
	s_cbranch_execnz .LBB58_2047
	s_branch .LBB58_2048
.Lfunc_end58:
	.size	_ZNK2ck6detail7applierIiJLi0ELi1ELi2ELi3ELi4ELi5ELi6ELi7EEEclIZNKS_11static_fordINS_8SequenceIJLi1ELi8EEEENS5_IJLi0ELi1EEEEEclIZZNKS_52BlockwiseGemmXdlops_pipeline_bpreshuffle_bdequant_v3ILNS_26BlockGemmPipelineSchedulerE0ELi256ENS_9f8_fnuz_tENS_7pk_i4_tESC_fNS_16TensorDescriptorINS_5TupleIJNS_5EmbedINSF_IJNS_17integral_constantIiLi8EEENSH_IiLi256EEENSH_IiLi16EEEEEENSF_IJSK_NSH_IiLi128EEENSH_IiLi1EEEEEELb0EEENS_3XorINSF_IJSJ_SI_EEELb1EEENS_11PassThroughISK_EENS_7UnMergeINSF_IJSI_SN_EEELb0EEENST_ISJ_EESU_NST_ISI_EENS_21Merge_v3_division_modINSF_IJSJ_SN_EEEEESU_EEENSF_IJNS5_IJLi0EEEENS5_IJLi2ELi1EEEENS5_IJLi3EEEENS5_IJLi5EEEENS5_IJLi4EEEENS5_IJLi6EEEENS5_IJLi7EEEENS5_IJLi9ELi8EEEENS5_IJLi10EEEEEEENSF_IJNS5_IJLi1ELi2ELi3EEEENS5_IJLi4ELi5EEEES19_NS5_IJLi7ELi8EEEENS5_IJLi9EEEES1C_NS5_IJLi11EEEENS5_IJLi12EEEENS5_IJLi13EEEEEEENS5_IJLi11ELi12ELi13EEEENSH_IlLl32768EEEEENSE_INSF_IJNSV_INSF_IJSI_SN_SN_NSH_IiLi32EEEEEELb0EEEEEENSF_IJS14_EEENSF_IJNS5_IJLi1ELi2ELi3ELi4EEEEEEES1U_NSH_IlLl256EEEEENSE_INSF_IJSP_SS_SU_SX_SY_SU_SZ_S12_SU_NS10_INSF_IJSI_SK_EEEEENSV_INSF_IJSI_NSH_IiLi2EEESK_EEELb0EEEEEENSF_IJS14_S15_S16_S17_S18_S19_S1A_S1B_S1C_NS5_IJLi11ELi13EEEES1J_EEENSF_IJS1E_S1F_S19_S1G_S1H_S1C_S1I_S1J_S1K_NS5_IJLi14EEEENS5_IJLi15ELi16ELi17EEEEEEENS5_IJLi15ELi16ELi17ELi14EEEES1N_EENSE_INSF_IJS1R_NS10_ISW_EES22_EEENSF_IJS14_NS5_IJLi1ELi3EEEENS5_IJLi2EEEEEEENSF_IJS1U_S17_NS5_IJLi6ELi7ELi8EEEEEEENS5_IJLi6ELi7ELi8ELi5EEEES1W_EELi16ELi32ELi256ELi256ELi128ELi16ELi16ELi8ELi8ELi32ELb0EE3RunILb1ELNS_10TailNumberE1ENSE_INSF_IJNSG_INSF_IJiiEEENSF_IJiSN_EEELb0EEENSV_IS2N_Lb0EEENST_IiEEEEENSF_IJS14_S2E_NS5_IJLi1EEEEEEENSF_IJNS5_IJLi1ELi2EEEENS5_IJLi3ELi4EEEES17_EEENS5_IJLi3ELi5ELi4EEEElEES1O_NS_35ThreadGroupTensorSliceTransfer_v4r1INS_15ThisThreadBlockILi256EEENS_16tensor_operation12element_wise11PassThroughES35_LNS_25InMemoryDataOperationEnumE0ENS5_IJLi8ELi256ELi16EEEENS5_IJLi8ELi32ELi1EEEENS5_IJLi1ELi0ELi2EEEESC_SC_RKS2Z_KS1O_S39_NS5_IJLi0ELi1ELi2EEEELi2ELi2ELi16ELi16ELi1ELi1ELb0ELb1ELi2EiEENS_13DynamicBufferILNS_16AddressSpaceEnumE1EKSC_lLb1ELNS_22AmdBufferCoherenceEnumE0EiEENSF_IJNS3F_ILS3G_2ESC_S1N_Lb1ELS3I_0EiEES3K_EEENSF_IJiiiEEENSE_INSF_IJNSG_INSF_IJiiiiEEENSF_IJiiiSN_EEELb0EEEEEES1T_S1V_S1U_lEENS_32ThreadwiseTensorSliceTransfer_v2ISD_SD_RKS3R_KS1X_NS5_IJLi8ELi1ELi1ELi32EEEENS5_IJLi1ELi2ELi0ELi3EEEELi3ELi32ELi0ELb1ELb0ELb0EEENS3F_ILS3G_1EKSD_lLb1ELS3I_0EiEENSF_IJNS_12StaticBufferILS3G_4ESD_Li256ELb1EEES42_EEES3N_NS_25StaticBufferTupleOfVectorILS3G_4EfLi64ELi4ELb1ELb0EEEEEvRKT1_RKT2_RT3_RKT4_RT5_RKT6_RKT7_RT8_RKT9_RT10_RKT11_RT12_iENKUlT_E1_clINSH_IiLi6EEEEEDaS51_EUlS51_E_EEvS51_EUlS51_E_EEvS51_, .Lfunc_end58-_ZNK2ck6detail7applierIiJLi0ELi1ELi2ELi3ELi4ELi5ELi6ELi7EEEclIZNKS_11static_fordINS_8SequenceIJLi1ELi8EEEENS5_IJLi0ELi1EEEEEclIZZNKS_52BlockwiseGemmXdlops_pipeline_bpreshuffle_bdequant_v3ILNS_26BlockGemmPipelineSchedulerE0ELi256ENS_9f8_fnuz_tENS_7pk_i4_tESC_fNS_16TensorDescriptorINS_5TupleIJNS_5EmbedINSF_IJNS_17integral_constantIiLi8EEENSH_IiLi256EEENSH_IiLi16EEEEEENSF_IJSK_NSH_IiLi128EEENSH_IiLi1EEEEEELb0EEENS_3XorINSF_IJSJ_SI_EEELb1EEENS_11PassThroughISK_EENS_7UnMergeINSF_IJSI_SN_EEELb0EEENST_ISJ_EESU_NST_ISI_EENS_21Merge_v3_division_modINSF_IJSJ_SN_EEEEESU_EEENSF_IJNS5_IJLi0EEEENS5_IJLi2ELi1EEEENS5_IJLi3EEEENS5_IJLi5EEEENS5_IJLi4EEEENS5_IJLi6EEEENS5_IJLi7EEEENS5_IJLi9ELi8EEEENS5_IJLi10EEEEEEENSF_IJNS5_IJLi1ELi2ELi3EEEENS5_IJLi4ELi5EEEES19_NS5_IJLi7ELi8EEEENS5_IJLi9EEEES1C_NS5_IJLi11EEEENS5_IJLi12EEEENS5_IJLi13EEEEEEENS5_IJLi11ELi12ELi13EEEENSH_IlLl32768EEEEENSE_INSF_IJNSV_INSF_IJSI_SN_SN_NSH_IiLi32EEEEEELb0EEEEEENSF_IJS14_EEENSF_IJNS5_IJLi1ELi2ELi3ELi4EEEEEEES1U_NSH_IlLl256EEEEENSE_INSF_IJSP_SS_SU_SX_SY_SU_SZ_S12_SU_NS10_INSF_IJSI_SK_EEEEENSV_INSF_IJSI_NSH_IiLi2EEESK_EEELb0EEEEEENSF_IJS14_S15_S16_S17_S18_S19_S1A_S1B_S1C_NS5_IJLi11ELi13EEEES1J_EEENSF_IJS1E_S1F_S19_S1G_S1H_S1C_S1I_S1J_S1K_NS5_IJLi14EEEENS5_IJLi15ELi16ELi17EEEEEEENS5_IJLi15ELi16ELi17ELi14EEEES1N_EENSE_INSF_IJS1R_NS10_ISW_EES22_EEENSF_IJS14_NS5_IJLi1ELi3EEEENS5_IJLi2EEEEEEENSF_IJS1U_S17_NS5_IJLi6ELi7ELi8EEEEEEENS5_IJLi6ELi7ELi8ELi5EEEES1W_EELi16ELi32ELi256ELi256ELi128ELi16ELi16ELi8ELi8ELi32ELb0EE3RunILb1ELNS_10TailNumberE1ENSE_INSF_IJNSG_INSF_IJiiEEENSF_IJiSN_EEELb0EEENSV_IS2N_Lb0EEENST_IiEEEEENSF_IJS14_S2E_NS5_IJLi1EEEEEEENSF_IJNS5_IJLi1ELi2EEEENS5_IJLi3ELi4EEEES17_EEENS5_IJLi3ELi5ELi4EEEElEES1O_NS_35ThreadGroupTensorSliceTransfer_v4r1INS_15ThisThreadBlockILi256EEENS_16tensor_operation12element_wise11PassThroughES35_LNS_25InMemoryDataOperationEnumE0ENS5_IJLi8ELi256ELi16EEEENS5_IJLi8ELi32ELi1EEEENS5_IJLi1ELi0ELi2EEEESC_SC_RKS2Z_KS1O_S39_NS5_IJLi0ELi1ELi2EEEELi2ELi2ELi16ELi16ELi1ELi1ELb0ELb1ELi2EiEENS_13DynamicBufferILNS_16AddressSpaceEnumE1EKSC_lLb1ELNS_22AmdBufferCoherenceEnumE0EiEENSF_IJNS3F_ILS3G_2ESC_S1N_Lb1ELS3I_0EiEES3K_EEENSF_IJiiiEEENSE_INSF_IJNSG_INSF_IJiiiiEEENSF_IJiiiSN_EEELb0EEEEEES1T_S1V_S1U_lEENS_32ThreadwiseTensorSliceTransfer_v2ISD_SD_RKS3R_KS1X_NS5_IJLi8ELi1ELi1ELi32EEEENS5_IJLi1ELi2ELi0ELi3EEEELi3ELi32ELi0ELb1ELb0ELb0EEENS3F_ILS3G_1EKSD_lLb1ELS3I_0EiEENSF_IJNS_12StaticBufferILS3G_4ESD_Li256ELb1EEES42_EEES3N_NS_25StaticBufferTupleOfVectorILS3G_4EfLi64ELi4ELb1ELb0EEEEEvRKT1_RKT2_RT3_RKT4_RT5_RKT6_RKT7_RT8_RKT9_RT10_RKT11_RT12_iENKUlT_E1_clINSH_IiLi6EEEEEDaS51_EUlS51_E_EEvS51_EUlS51_E_EEvS51_
                                        ; -- End function
	.section	.AMDGPU.csdata,"",@progbits
; Function info:
; codeLenInByte = 133608
; NumSgprs: 36
; NumVgprs: 26
; NumAgprs: 4
; TotalNumVgprs: 32
; ScratchSize: 0
; MemoryBound: 1
	.text
	.p2align	2                               ; -- Begin function _ZNK2ck6detail7applierIiJLi0ELi1ELi2ELi3ELi4ELi5ELi6ELi7EEEclIZNKS_11static_fordINS_8SequenceIJLi1ELi8EEEENS5_IJLi0ELi1EEEEEclIZZNKS_52BlockwiseGemmXdlops_pipeline_bpreshuffle_bdequant_v3ILNS_26BlockGemmPipelineSchedulerE0ELi256ENS_9f8_fnuz_tENS_7pk_i4_tESC_fNS_16TensorDescriptorINS_5TupleIJNS_5EmbedINSF_IJNS_17integral_constantIiLi8EEENSH_IiLi256EEENSH_IiLi16EEEEEENSF_IJSK_NSH_IiLi128EEENSH_IiLi1EEEEEELb0EEENS_3XorINSF_IJSJ_SI_EEELb1EEENS_11PassThroughISK_EENS_7UnMergeINSF_IJSI_SN_EEELb0EEENST_ISJ_EESU_NST_ISI_EENS_21Merge_v3_division_modINSF_IJSJ_SN_EEEEESU_EEENSF_IJNS5_IJLi0EEEENS5_IJLi2ELi1EEEENS5_IJLi3EEEENS5_IJLi5EEEENS5_IJLi4EEEENS5_IJLi6EEEENS5_IJLi7EEEENS5_IJLi9ELi8EEEENS5_IJLi10EEEEEEENSF_IJNS5_IJLi1ELi2ELi3EEEENS5_IJLi4ELi5EEEES19_NS5_IJLi7ELi8EEEENS5_IJLi9EEEES1C_NS5_IJLi11EEEENS5_IJLi12EEEENS5_IJLi13EEEEEEENS5_IJLi11ELi12ELi13EEEENSH_IlLl32768EEEEENSE_INSF_IJNSV_INSF_IJSI_SN_SN_NSH_IiLi32EEEEEELb0EEEEEENSF_IJS14_EEENSF_IJNS5_IJLi1ELi2ELi3ELi4EEEEEEES1U_NSH_IlLl256EEEEENSE_INSF_IJSP_SS_SU_SX_SY_SU_SZ_S12_SU_NS10_INSF_IJSI_SK_EEEEENSV_INSF_IJSI_NSH_IiLi2EEESK_EEELb0EEEEEENSF_IJS14_S15_S16_S17_S18_S19_S1A_S1B_S1C_NS5_IJLi11ELi13EEEES1J_EEENSF_IJS1E_S1F_S19_S1G_S1H_S1C_S1I_S1J_S1K_NS5_IJLi14EEEENS5_IJLi15ELi16ELi17EEEEEEENS5_IJLi15ELi16ELi17ELi14EEEES1N_EENSE_INSF_IJS1R_NS10_ISW_EES22_EEENSF_IJS14_NS5_IJLi1ELi3EEEENS5_IJLi2EEEEEEENSF_IJS1U_S17_NS5_IJLi6ELi7ELi8EEEEEEENS5_IJLi6ELi7ELi8ELi5EEEES1W_EELi16ELi32ELi256ELi256ELi128ELi16ELi16ELi8ELi8ELi32ELb0EE3RunILb1ELNS_10TailNumberE1ENSE_INSF_IJNSG_INSF_IJiiEEENSF_IJiSN_EEELb0EEENSV_IS2N_Lb0EEENST_IiEEEEENSF_IJS14_S2E_NS5_IJLi1EEEEEEENSF_IJNS5_IJLi1ELi2EEEENS5_IJLi3ELi4EEEES17_EEENS5_IJLi3ELi5ELi4EEEElEES1O_NS_35ThreadGroupTensorSliceTransfer_v4r1INS_15ThisThreadBlockILi256EEENS_16tensor_operation12element_wise11PassThroughES35_LNS_25InMemoryDataOperationEnumE0ENS5_IJLi8ELi256ELi16EEEENS5_IJLi8ELi32ELi1EEEENS5_IJLi1ELi0ELi2EEEESC_SC_RKS2Z_KS1O_S39_NS5_IJLi0ELi1ELi2EEEELi2ELi2ELi16ELi16ELi1ELi1ELb0ELb1ELi2EiEENS_13DynamicBufferILNS_16AddressSpaceEnumE1EKSC_lLb1ELNS_22AmdBufferCoherenceEnumE0EiEENSF_IJNS3F_ILS3G_2ESC_S1N_Lb1ELS3I_0EiEES3K_EEENSF_IJiiiEEENSE_INSF_IJNSG_INSF_IJiiiiEEENSF_IJiiiSN_EEELb0EEEEEES1T_S1V_S1U_lEENS_32ThreadwiseTensorSliceTransfer_v2ISD_SD_RKS3R_KS1X_NS5_IJLi8ELi1ELi1ELi32EEEENS5_IJLi1ELi2ELi0ELi3EEEELi3ELi32ELi0ELb1ELb0ELb0EEENS3F_ILS3G_1EKSD_lLb1ELS3I_0EiEENSF_IJNS_12StaticBufferILS3G_4ESD_Li256ELb1EEES42_EEES3N_NS_25StaticBufferTupleOfVectorILS3G_4EfLi64ELi4ELb1ELb0EEEEEvRKT1_RKT2_RT3_RKT4_RT5_RKT6_RKT7_RT8_RKT9_RT10_RKT11_RT12_iENKUlT_E1_clINSH_IiLi7EEEEEDaS51_EUlS51_E_EEvS51_EUlS51_E_EEvS51_
	.type	_ZNK2ck6detail7applierIiJLi0ELi1ELi2ELi3ELi4ELi5ELi6ELi7EEEclIZNKS_11static_fordINS_8SequenceIJLi1ELi8EEEENS5_IJLi0ELi1EEEEEclIZZNKS_52BlockwiseGemmXdlops_pipeline_bpreshuffle_bdequant_v3ILNS_26BlockGemmPipelineSchedulerE0ELi256ENS_9f8_fnuz_tENS_7pk_i4_tESC_fNS_16TensorDescriptorINS_5TupleIJNS_5EmbedINSF_IJNS_17integral_constantIiLi8EEENSH_IiLi256EEENSH_IiLi16EEEEEENSF_IJSK_NSH_IiLi128EEENSH_IiLi1EEEEEELb0EEENS_3XorINSF_IJSJ_SI_EEELb1EEENS_11PassThroughISK_EENS_7UnMergeINSF_IJSI_SN_EEELb0EEENST_ISJ_EESU_NST_ISI_EENS_21Merge_v3_division_modINSF_IJSJ_SN_EEEEESU_EEENSF_IJNS5_IJLi0EEEENS5_IJLi2ELi1EEEENS5_IJLi3EEEENS5_IJLi5EEEENS5_IJLi4EEEENS5_IJLi6EEEENS5_IJLi7EEEENS5_IJLi9ELi8EEEENS5_IJLi10EEEEEEENSF_IJNS5_IJLi1ELi2ELi3EEEENS5_IJLi4ELi5EEEES19_NS5_IJLi7ELi8EEEENS5_IJLi9EEEES1C_NS5_IJLi11EEEENS5_IJLi12EEEENS5_IJLi13EEEEEEENS5_IJLi11ELi12ELi13EEEENSH_IlLl32768EEEEENSE_INSF_IJNSV_INSF_IJSI_SN_SN_NSH_IiLi32EEEEEELb0EEEEEENSF_IJS14_EEENSF_IJNS5_IJLi1ELi2ELi3ELi4EEEEEEES1U_NSH_IlLl256EEEEENSE_INSF_IJSP_SS_SU_SX_SY_SU_SZ_S12_SU_NS10_INSF_IJSI_SK_EEEEENSV_INSF_IJSI_NSH_IiLi2EEESK_EEELb0EEEEEENSF_IJS14_S15_S16_S17_S18_S19_S1A_S1B_S1C_NS5_IJLi11ELi13EEEES1J_EEENSF_IJS1E_S1F_S19_S1G_S1H_S1C_S1I_S1J_S1K_NS5_IJLi14EEEENS5_IJLi15ELi16ELi17EEEEEEENS5_IJLi15ELi16ELi17ELi14EEEES1N_EENSE_INSF_IJS1R_NS10_ISW_EES22_EEENSF_IJS14_NS5_IJLi1ELi3EEEENS5_IJLi2EEEEEEENSF_IJS1U_S17_NS5_IJLi6ELi7ELi8EEEEEEENS5_IJLi6ELi7ELi8ELi5EEEES1W_EELi16ELi32ELi256ELi256ELi128ELi16ELi16ELi8ELi8ELi32ELb0EE3RunILb1ELNS_10TailNumberE1ENSE_INSF_IJNSG_INSF_IJiiEEENSF_IJiSN_EEELb0EEENSV_IS2N_Lb0EEENST_IiEEEEENSF_IJS14_S2E_NS5_IJLi1EEEEEEENSF_IJNS5_IJLi1ELi2EEEENS5_IJLi3ELi4EEEES17_EEENS5_IJLi3ELi5ELi4EEEElEES1O_NS_35ThreadGroupTensorSliceTransfer_v4r1INS_15ThisThreadBlockILi256EEENS_16tensor_operation12element_wise11PassThroughES35_LNS_25InMemoryDataOperationEnumE0ENS5_IJLi8ELi256ELi16EEEENS5_IJLi8ELi32ELi1EEEENS5_IJLi1ELi0ELi2EEEESC_SC_RKS2Z_KS1O_S39_NS5_IJLi0ELi1ELi2EEEELi2ELi2ELi16ELi16ELi1ELi1ELb0ELb1ELi2EiEENS_13DynamicBufferILNS_16AddressSpaceEnumE1EKSC_lLb1ELNS_22AmdBufferCoherenceEnumE0EiEENSF_IJNS3F_ILS3G_2ESC_S1N_Lb1ELS3I_0EiEES3K_EEENSF_IJiiiEEENSE_INSF_IJNSG_INSF_IJiiiiEEENSF_IJiiiSN_EEELb0EEEEEES1T_S1V_S1U_lEENS_32ThreadwiseTensorSliceTransfer_v2ISD_SD_RKS3R_KS1X_NS5_IJLi8ELi1ELi1ELi32EEEENS5_IJLi1ELi2ELi0ELi3EEEELi3ELi32ELi0ELb1ELb0ELb0EEENS3F_ILS3G_1EKSD_lLb1ELS3I_0EiEENSF_IJNS_12StaticBufferILS3G_4ESD_Li256ELb1EEES42_EEES3N_NS_25StaticBufferTupleOfVectorILS3G_4EfLi64ELi4ELb1ELb0EEEEEvRKT1_RKT2_RT3_RKT4_RT5_RKT6_RKT7_RT8_RKT9_RT10_RKT11_RT12_iENKUlT_E1_clINSH_IiLi7EEEEEDaS51_EUlS51_E_EEvS51_EUlS51_E_EEvS51_,@function
_ZNK2ck6detail7applierIiJLi0ELi1ELi2ELi3ELi4ELi5ELi6ELi7EEEclIZNKS_11static_fordINS_8SequenceIJLi1ELi8EEEENS5_IJLi0ELi1EEEEEclIZZNKS_52BlockwiseGemmXdlops_pipeline_bpreshuffle_bdequant_v3ILNS_26BlockGemmPipelineSchedulerE0ELi256ENS_9f8_fnuz_tENS_7pk_i4_tESC_fNS_16TensorDescriptorINS_5TupleIJNS_5EmbedINSF_IJNS_17integral_constantIiLi8EEENSH_IiLi256EEENSH_IiLi16EEEEEENSF_IJSK_NSH_IiLi128EEENSH_IiLi1EEEEEELb0EEENS_3XorINSF_IJSJ_SI_EEELb1EEENS_11PassThroughISK_EENS_7UnMergeINSF_IJSI_SN_EEELb0EEENST_ISJ_EESU_NST_ISI_EENS_21Merge_v3_division_modINSF_IJSJ_SN_EEEEESU_EEENSF_IJNS5_IJLi0EEEENS5_IJLi2ELi1EEEENS5_IJLi3EEEENS5_IJLi5EEEENS5_IJLi4EEEENS5_IJLi6EEEENS5_IJLi7EEEENS5_IJLi9ELi8EEEENS5_IJLi10EEEEEEENSF_IJNS5_IJLi1ELi2ELi3EEEENS5_IJLi4ELi5EEEES19_NS5_IJLi7ELi8EEEENS5_IJLi9EEEES1C_NS5_IJLi11EEEENS5_IJLi12EEEENS5_IJLi13EEEEEEENS5_IJLi11ELi12ELi13EEEENSH_IlLl32768EEEEENSE_INSF_IJNSV_INSF_IJSI_SN_SN_NSH_IiLi32EEEEEELb0EEEEEENSF_IJS14_EEENSF_IJNS5_IJLi1ELi2ELi3ELi4EEEEEEES1U_NSH_IlLl256EEEEENSE_INSF_IJSP_SS_SU_SX_SY_SU_SZ_S12_SU_NS10_INSF_IJSI_SK_EEEEENSV_INSF_IJSI_NSH_IiLi2EEESK_EEELb0EEEEEENSF_IJS14_S15_S16_S17_S18_S19_S1A_S1B_S1C_NS5_IJLi11ELi13EEEES1J_EEENSF_IJS1E_S1F_S19_S1G_S1H_S1C_S1I_S1J_S1K_NS5_IJLi14EEEENS5_IJLi15ELi16ELi17EEEEEEENS5_IJLi15ELi16ELi17ELi14EEEES1N_EENSE_INSF_IJS1R_NS10_ISW_EES22_EEENSF_IJS14_NS5_IJLi1ELi3EEEENS5_IJLi2EEEEEEENSF_IJS1U_S17_NS5_IJLi6ELi7ELi8EEEEEEENS5_IJLi6ELi7ELi8ELi5EEEES1W_EELi16ELi32ELi256ELi256ELi128ELi16ELi16ELi8ELi8ELi32ELb0EE3RunILb1ELNS_10TailNumberE1ENSE_INSF_IJNSG_INSF_IJiiEEENSF_IJiSN_EEELb0EEENSV_IS2N_Lb0EEENST_IiEEEEENSF_IJS14_S2E_NS5_IJLi1EEEEEEENSF_IJNS5_IJLi1ELi2EEEENS5_IJLi3ELi4EEEES17_EEENS5_IJLi3ELi5ELi4EEEElEES1O_NS_35ThreadGroupTensorSliceTransfer_v4r1INS_15ThisThreadBlockILi256EEENS_16tensor_operation12element_wise11PassThroughES35_LNS_25InMemoryDataOperationEnumE0ENS5_IJLi8ELi256ELi16EEEENS5_IJLi8ELi32ELi1EEEENS5_IJLi1ELi0ELi2EEEESC_SC_RKS2Z_KS1O_S39_NS5_IJLi0ELi1ELi2EEEELi2ELi2ELi16ELi16ELi1ELi1ELb0ELb1ELi2EiEENS_13DynamicBufferILNS_16AddressSpaceEnumE1EKSC_lLb1ELNS_22AmdBufferCoherenceEnumE0EiEENSF_IJNS3F_ILS3G_2ESC_S1N_Lb1ELS3I_0EiEES3K_EEENSF_IJiiiEEENSE_INSF_IJNSG_INSF_IJiiiiEEENSF_IJiiiSN_EEELb0EEEEEES1T_S1V_S1U_lEENS_32ThreadwiseTensorSliceTransfer_v2ISD_SD_RKS3R_KS1X_NS5_IJLi8ELi1ELi1ELi32EEEENS5_IJLi1ELi2ELi0ELi3EEEELi3ELi32ELi0ELb1ELb0ELb0EEENS3F_ILS3G_1EKSD_lLb1ELS3I_0EiEENSF_IJNS_12StaticBufferILS3G_4ESD_Li256ELb1EEES42_EEES3N_NS_25StaticBufferTupleOfVectorILS3G_4EfLi64ELi4ELb1ELb0EEEEEvRKT1_RKT2_RT3_RKT4_RT5_RKT6_RKT7_RT8_RKT9_RT10_RKT11_RT12_iENKUlT_E1_clINSH_IiLi7EEEEEDaS51_EUlS51_E_EEvS51_EUlS51_E_EEvS51_: ; @_ZNK2ck6detail7applierIiJLi0ELi1ELi2ELi3ELi4ELi5ELi6ELi7EEEclIZNKS_11static_fordINS_8SequenceIJLi1ELi8EEEENS5_IJLi0ELi1EEEEEclIZZNKS_52BlockwiseGemmXdlops_pipeline_bpreshuffle_bdequant_v3ILNS_26BlockGemmPipelineSchedulerE0ELi256ENS_9f8_fnuz_tENS_7pk_i4_tESC_fNS_16TensorDescriptorINS_5TupleIJNS_5EmbedINSF_IJNS_17integral_constantIiLi8EEENSH_IiLi256EEENSH_IiLi16EEEEEENSF_IJSK_NSH_IiLi128EEENSH_IiLi1EEEEEELb0EEENS_3XorINSF_IJSJ_SI_EEELb1EEENS_11PassThroughISK_EENS_7UnMergeINSF_IJSI_SN_EEELb0EEENST_ISJ_EESU_NST_ISI_EENS_21Merge_v3_division_modINSF_IJSJ_SN_EEEEESU_EEENSF_IJNS5_IJLi0EEEENS5_IJLi2ELi1EEEENS5_IJLi3EEEENS5_IJLi5EEEENS5_IJLi4EEEENS5_IJLi6EEEENS5_IJLi7EEEENS5_IJLi9ELi8EEEENS5_IJLi10EEEEEEENSF_IJNS5_IJLi1ELi2ELi3EEEENS5_IJLi4ELi5EEEES19_NS5_IJLi7ELi8EEEENS5_IJLi9EEEES1C_NS5_IJLi11EEEENS5_IJLi12EEEENS5_IJLi13EEEEEEENS5_IJLi11ELi12ELi13EEEENSH_IlLl32768EEEEENSE_INSF_IJNSV_INSF_IJSI_SN_SN_NSH_IiLi32EEEEEELb0EEEEEENSF_IJS14_EEENSF_IJNS5_IJLi1ELi2ELi3ELi4EEEEEEES1U_NSH_IlLl256EEEEENSE_INSF_IJSP_SS_SU_SX_SY_SU_SZ_S12_SU_NS10_INSF_IJSI_SK_EEEEENSV_INSF_IJSI_NSH_IiLi2EEESK_EEELb0EEEEEENSF_IJS14_S15_S16_S17_S18_S19_S1A_S1B_S1C_NS5_IJLi11ELi13EEEES1J_EEENSF_IJS1E_S1F_S19_S1G_S1H_S1C_S1I_S1J_S1K_NS5_IJLi14EEEENS5_IJLi15ELi16ELi17EEEEEEENS5_IJLi15ELi16ELi17ELi14EEEES1N_EENSE_INSF_IJS1R_NS10_ISW_EES22_EEENSF_IJS14_NS5_IJLi1ELi3EEEENS5_IJLi2EEEEEEENSF_IJS1U_S17_NS5_IJLi6ELi7ELi8EEEEEEENS5_IJLi6ELi7ELi8ELi5EEEES1W_EELi16ELi32ELi256ELi256ELi128ELi16ELi16ELi8ELi8ELi32ELb0EE3RunILb1ELNS_10TailNumberE1ENSE_INSF_IJNSG_INSF_IJiiEEENSF_IJiSN_EEELb0EEENSV_IS2N_Lb0EEENST_IiEEEEENSF_IJS14_S2E_NS5_IJLi1EEEEEEENSF_IJNS5_IJLi1ELi2EEEENS5_IJLi3ELi4EEEES17_EEENS5_IJLi3ELi5ELi4EEEElEES1O_NS_35ThreadGroupTensorSliceTransfer_v4r1INS_15ThisThreadBlockILi256EEENS_16tensor_operation12element_wise11PassThroughES35_LNS_25InMemoryDataOperationEnumE0ENS5_IJLi8ELi256ELi16EEEENS5_IJLi8ELi32ELi1EEEENS5_IJLi1ELi0ELi2EEEESC_SC_RKS2Z_KS1O_S39_NS5_IJLi0ELi1ELi2EEEELi2ELi2ELi16ELi16ELi1ELi1ELb0ELb1ELi2EiEENS_13DynamicBufferILNS_16AddressSpaceEnumE1EKSC_lLb1ELNS_22AmdBufferCoherenceEnumE0EiEENSF_IJNS3F_ILS3G_2ESC_S1N_Lb1ELS3I_0EiEES3K_EEENSF_IJiiiEEENSE_INSF_IJNSG_INSF_IJiiiiEEENSF_IJiiiSN_EEELb0EEEEEES1T_S1V_S1U_lEENS_32ThreadwiseTensorSliceTransfer_v2ISD_SD_RKS3R_KS1X_NS5_IJLi8ELi1ELi1ELi32EEEENS5_IJLi1ELi2ELi0ELi3EEEELi3ELi32ELi0ELb1ELb0ELb0EEENS3F_ILS3G_1EKSD_lLb1ELS3I_0EiEENSF_IJNS_12StaticBufferILS3G_4ESD_Li256ELb1EEES42_EEES3N_NS_25StaticBufferTupleOfVectorILS3G_4EfLi64ELi4ELb1ELb0EEEEEvRKT1_RKT2_RT3_RKT4_RT5_RKT6_RKT7_RT8_RKT9_RT10_RKT11_RT12_iENKUlT_E1_clINSH_IiLi7EEEEEDaS51_EUlS51_E_EEvS51_EUlS51_E_EEvS51_
; %bb.0:
	s_waitcnt vmcnt(0) expcnt(0) lgkmcnt(0)
	flat_load_dwordx4 v[20:23], v[0:1] offset:8
	flat_load_dwordx2 v[18:19], v[0:1] offset:24
	s_movk_i32 s4, 0x7f
                                        ; implicit-def: $sgpr10
	s_waitcnt vmcnt(0) lgkmcnt(0)
	flat_load_dwordx4 v[14:17], v[20:21] offset:32
	flat_load_dwordx4 v[6:9], v[20:21] offset:48
	;; [unrolled: 1-line block ×4, first 2 shown]
	s_waitcnt vmcnt(0) lgkmcnt(0)
	v_cmp_gt_i16_sdwa s[6:7], v14, s4 src0_sel:BYTE_0 src1_sel:DWORD
	s_mov_b64 s[4:5], 0
	s_and_saveexec_b64 s[8:9], s[6:7]
	s_xor_b64 s[6:7], exec, s[8:9]
	s_cbranch_execnz .LBB59_2049
; %bb.1:
	s_or_saveexec_b64 s[6:7], s[6:7]
	v_mov_b32_e32 v20, s10
	s_xor_b64 exec, exec, s[6:7]
	s_cbranch_execnz .LBB59_2052
.LBB59_2:
	s_or_b64 exec, exec, s[6:7]
	s_and_saveexec_b64 s[6:7], s[4:5]
	s_cbranch_execz .LBB59_4
.LBB59_3:
	v_and_b32_e32 v20, 7, v14
	v_ffbh_u32_e32 v22, v20
	v_min_u32_e32 v22, 32, v22
	v_lshrrev_b16_e32 v21, 3, v14
	v_subrev_u32_e32 v23, 28, v22
	v_and_b32_e32 v21, 15, v21
	v_lshlrev_b32_e32 v23, v23, v14
	v_sub_u32_e32 v22, 29, v22
	v_and_b32_e32 v23, 7, v23
	v_cmp_eq_u16_e32 vcc, 0, v21
	v_cndmask_b32_e32 v20, v20, v23, vcc
	v_cndmask_b32_e32 v21, v21, v22, vcc
	v_lshlrev_b32_e32 v22, 24, v14
	v_mov_b32_e32 v23, 0x3b800000
	v_lshlrev_b32_e32 v20, 20, v20
	v_and_b32_e32 v22, 0x80000000, v22
	v_lshl_add_u32 v21, v21, 23, v23
	v_or3_b32 v20, v22, v21, v20
.LBB59_4:
	s_or_b64 exec, exec, s[6:7]
	s_movk_i32 s4, 0x7f
	v_cmp_gt_i16_sdwa s[6:7], v10, s4 src0_sel:BYTE_0 src1_sel:DWORD
	s_mov_b64 s[4:5], 0
                                        ; implicit-def: $sgpr10
	s_and_saveexec_b64 s[8:9], s[6:7]
	s_xor_b64 s[6:7], exec, s[8:9]
	s_cbranch_execnz .LBB59_2053
; %bb.5:
	s_or_saveexec_b64 s[6:7], s[6:7]
	v_mov_b32_e32 v21, s10
	s_xor_b64 exec, exec, s[6:7]
	s_cbranch_execnz .LBB59_2056
.LBB59_6:
	s_or_b64 exec, exec, s[6:7]
	s_and_saveexec_b64 s[6:7], s[4:5]
	s_cbranch_execz .LBB59_8
.LBB59_7:
	v_and_b32_e32 v21, 7, v10
	v_ffbh_u32_e32 v23, v21
	v_min_u32_e32 v23, 32, v23
	v_lshrrev_b16_e32 v22, 3, v10
	v_subrev_u32_e32 v24, 28, v23
	v_and_b32_e32 v22, 15, v22
	v_lshlrev_b32_e32 v24, v24, v10
	v_sub_u32_e32 v23, 29, v23
	v_and_b32_e32 v24, 7, v24
	v_cmp_eq_u16_e32 vcc, 0, v22
	v_cndmask_b32_e32 v21, v21, v24, vcc
	v_cndmask_b32_e32 v22, v22, v23, vcc
	v_lshlrev_b32_e32 v23, 24, v10
	v_mov_b32_e32 v24, 0x3b800000
	v_lshlrev_b32_e32 v21, 20, v21
	v_and_b32_e32 v23, 0x80000000, v23
	v_lshl_add_u32 v22, v22, 23, v24
	v_or3_b32 v21, v23, v22, v21
.LBB59_8:
	s_or_b64 exec, exec, s[6:7]
	flat_load_dwordx4 a[0:3], v[18:19] offset:896
	s_movk_i32 s4, 0x7f
                                        ; implicit-def: $sgpr10
	s_waitcnt vmcnt(0) lgkmcnt(0)
	v_mfma_f32_16x16x4f32 a[0:3], v20, v21, a[0:3]
	v_lshrrev_b32_e32 v21, 8, v14
	v_cmp_gt_i16_sdwa s[6:7], v21, s4 src0_sel:BYTE_0 src1_sel:DWORD
	s_mov_b64 s[4:5], 0
	s_and_saveexec_b64 s[8:9], s[6:7]
	s_xor_b64 s[6:7], exec, s[8:9]
	s_cbranch_execnz .LBB59_2057
; %bb.9:
	s_or_saveexec_b64 s[6:7], s[6:7]
	v_mov_b32_e32 v20, s10
	s_xor_b64 exec, exec, s[6:7]
	s_cbranch_execnz .LBB59_2060
.LBB59_10:
	s_or_b64 exec, exec, s[6:7]
	s_and_saveexec_b64 s[6:7], s[4:5]
	s_cbranch_execz .LBB59_12
.LBB59_11:
	v_bfe_u32 v20, v14, 8, 3
	v_ffbh_u32_e32 v23, v20
	v_min_u32_e32 v23, 32, v23
	v_lshrrev_b16_e32 v22, 3, v21
	v_subrev_u32_e32 v24, 28, v23
	v_and_b32_e32 v22, 15, v22
	v_lshlrev_b32_e32 v21, v24, v21
	v_sub_u32_e32 v23, 29, v23
	v_and_b32_e32 v21, 7, v21
	v_cmp_eq_u16_e32 vcc, 0, v22
	v_cndmask_b32_e32 v20, v20, v21, vcc
	v_cndmask_b32_e32 v21, v22, v23, vcc
	v_lshlrev_b32_e32 v22, 16, v14
	v_mov_b32_e32 v23, 0x3b800000
	v_lshlrev_b32_e32 v20, 20, v20
	v_and_b32_e32 v22, 0x80000000, v22
	v_lshl_add_u32 v21, v21, 23, v23
	v_or3_b32 v20, v22, v21, v20
.LBB59_12:
	s_or_b64 exec, exec, s[6:7]
	v_lshrrev_b32_e32 v21, 8, v10
	s_movk_i32 s4, 0x7f
	v_cmp_gt_i16_sdwa s[6:7], v21, s4 src0_sel:BYTE_0 src1_sel:DWORD
	s_mov_b64 s[4:5], 0
                                        ; implicit-def: $sgpr10
	s_and_saveexec_b64 s[8:9], s[6:7]
	s_xor_b64 s[6:7], exec, s[8:9]
	s_cbranch_execnz .LBB59_2061
; %bb.13:
	s_or_saveexec_b64 s[6:7], s[6:7]
	v_mov_b32_e32 v22, s10
	s_xor_b64 exec, exec, s[6:7]
	s_cbranch_execnz .LBB59_2064
.LBB59_14:
	s_or_b64 exec, exec, s[6:7]
	s_and_saveexec_b64 s[6:7], s[4:5]
	s_cbranch_execz .LBB59_16
.LBB59_15:
	v_bfe_u32 v22, v10, 8, 3
	v_ffbh_u32_e32 v24, v22
	v_min_u32_e32 v24, 32, v24
	v_lshrrev_b16_e32 v23, 3, v21
	v_subrev_u32_e32 v25, 28, v24
	v_and_b32_e32 v23, 15, v23
	v_lshlrev_b32_e32 v21, v25, v21
	v_sub_u32_e32 v24, 29, v24
	v_and_b32_e32 v21, 7, v21
	v_cmp_eq_u16_e32 vcc, 0, v23
	v_cndmask_b32_e32 v21, v22, v21, vcc
	v_cndmask_b32_e32 v22, v23, v24, vcc
	v_lshlrev_b32_e32 v23, 16, v10
	v_mov_b32_e32 v24, 0x3b800000
	v_lshlrev_b32_e32 v21, 20, v21
	v_and_b32_e32 v23, 0x80000000, v23
	v_lshl_add_u32 v22, v22, 23, v24
	v_or3_b32 v22, v23, v22, v21
.LBB59_16:
	s_or_b64 exec, exec, s[6:7]
	s_nop 0
	v_mfma_f32_16x16x4f32 a[0:3], v20, v22, a[0:3]
	s_movk_i32 s4, 0xff
	v_and_b32_sdwa v21, v14, s4 dst_sel:DWORD dst_unused:UNUSED_PAD src0_sel:WORD_1 src1_sel:DWORD
	s_movk_i32 s4, 0x7f
	v_cmp_lt_i16_e32 vcc, s4, v21
	s_mov_b64 s[4:5], 0
                                        ; implicit-def: $sgpr10
	s_and_saveexec_b64 s[6:7], vcc
	s_xor_b64 s[6:7], exec, s[6:7]
	s_cbranch_execnz .LBB59_2065
; %bb.17:
	s_or_saveexec_b64 s[6:7], s[6:7]
	v_mov_b32_e32 v20, s10
	s_xor_b64 exec, exec, s[6:7]
	s_cbranch_execnz .LBB59_2068
.LBB59_18:
	s_or_b64 exec, exec, s[6:7]
	s_and_saveexec_b64 s[6:7], s[4:5]
	s_cbranch_execz .LBB59_20
.LBB59_19:
	v_bfe_u32 v20, v14, 16, 3
	v_ffbh_u32_e32 v23, v20
	v_min_u32_e32 v23, 32, v23
	v_lshrrev_b32_e32 v21, 19, v14
	v_subrev_u32_e32 v24, 28, v23
	v_and_b32_e32 v21, 15, v21
	v_lshlrev_b32_sdwa v24, v24, v14 dst_sel:DWORD dst_unused:UNUSED_PAD src0_sel:DWORD src1_sel:WORD_1
	v_bfe_u32 v22, v14, 19, 4
	v_sub_u32_e32 v23, 29, v23
	v_and_b32_e32 v24, 7, v24
	v_cmp_eq_u16_e32 vcc, 0, v21
	v_cndmask_b32_e32 v20, v20, v24, vcc
	v_cndmask_b32_e32 v21, v22, v23, vcc
	v_lshlrev_b32_e32 v22, 8, v14
	v_mov_b32_e32 v23, 0x3b800000
	v_lshlrev_b32_e32 v20, 20, v20
	v_and_b32_e32 v22, 0x80000000, v22
	v_lshl_add_u32 v21, v21, 23, v23
	v_or3_b32 v20, v22, v21, v20
.LBB59_20:
	s_or_b64 exec, exec, s[6:7]
	s_movk_i32 s4, 0xff
	v_and_b32_sdwa v21, v10, s4 dst_sel:DWORD dst_unused:UNUSED_PAD src0_sel:WORD_1 src1_sel:DWORD
	s_movk_i32 s4, 0x7f
	v_cmp_lt_i16_e32 vcc, s4, v21
	s_mov_b64 s[4:5], 0
                                        ; implicit-def: $sgpr10
	s_and_saveexec_b64 s[6:7], vcc
	s_xor_b64 s[6:7], exec, s[6:7]
	s_cbranch_execnz .LBB59_2069
; %bb.21:
	s_or_saveexec_b64 s[6:7], s[6:7]
	v_mov_b32_e32 v22, s10
	s_xor_b64 exec, exec, s[6:7]
	s_cbranch_execnz .LBB59_2072
.LBB59_22:
	s_or_b64 exec, exec, s[6:7]
	s_and_saveexec_b64 s[6:7], s[4:5]
	s_cbranch_execz .LBB59_24
.LBB59_23:
	v_bfe_u32 v21, v10, 16, 3
	v_ffbh_u32_e32 v24, v21
	v_min_u32_e32 v24, 32, v24
	v_lshrrev_b32_e32 v22, 19, v10
	v_subrev_u32_e32 v25, 28, v24
	v_and_b32_e32 v22, 15, v22
	v_lshlrev_b32_sdwa v25, v25, v10 dst_sel:DWORD dst_unused:UNUSED_PAD src0_sel:DWORD src1_sel:WORD_1
	v_bfe_u32 v23, v10, 19, 4
	v_sub_u32_e32 v24, 29, v24
	v_and_b32_e32 v25, 7, v25
	v_cmp_eq_u16_e32 vcc, 0, v22
	v_cndmask_b32_e32 v21, v21, v25, vcc
	v_cndmask_b32_e32 v22, v23, v24, vcc
	v_lshlrev_b32_e32 v23, 8, v10
	v_mov_b32_e32 v24, 0x3b800000
	v_lshlrev_b32_e32 v21, 20, v21
	v_and_b32_e32 v23, 0x80000000, v23
	v_lshl_add_u32 v22, v22, 23, v24
	v_or3_b32 v22, v23, v22, v21
.LBB59_24:
	s_or_b64 exec, exec, s[6:7]
	s_nop 0
	v_mfma_f32_16x16x4f32 a[0:3], v20, v22, a[0:3]
	s_movk_i32 s4, 0x7f
	v_cmp_gt_i16_sdwa s[6:7], v14, s4 src0_sel:BYTE_3 src1_sel:DWORD
	s_mov_b64 s[4:5], 0
                                        ; implicit-def: $sgpr10
	s_and_saveexec_b64 s[8:9], s[6:7]
	s_xor_b64 s[6:7], exec, s[8:9]
	s_cbranch_execnz .LBB59_2073
; %bb.25:
	s_or_saveexec_b64 s[6:7], s[6:7]
	v_mov_b32_e32 v20, s10
	s_xor_b64 exec, exec, s[6:7]
	s_cbranch_execnz .LBB59_2076
.LBB59_26:
	s_or_b64 exec, exec, s[6:7]
	s_and_saveexec_b64 s[6:7], s[4:5]
	s_cbranch_execz .LBB59_28
.LBB59_27:
	v_bfe_u32 v20, v14, 24, 3
	v_ffbh_u32_e32 v24, v20
	v_min_u32_e32 v24, 32, v24
	v_lshrrev_b32_e32 v22, 27, v14
	v_subrev_u32_e32 v25, 28, v24
	v_and_b32_e32 v21, 0x80000000, v14
	v_and_b32_e32 v22, 15, v22
	v_bfe_u32 v23, v14, 27, 4
	v_lshlrev_b32_sdwa v14, v25, v14 dst_sel:DWORD dst_unused:UNUSED_PAD src0_sel:DWORD src1_sel:BYTE_3
	v_sub_u32_e32 v24, 29, v24
	v_and_b32_e32 v14, 7, v14
	v_cmp_eq_u16_e32 vcc, 0, v22
	v_cndmask_b32_e32 v14, v20, v14, vcc
	v_cndmask_b32_e32 v20, v23, v24, vcc
	v_mov_b32_e32 v22, 0x3b800000
	v_lshlrev_b32_e32 v14, 20, v14
	v_lshl_add_u32 v20, v20, 23, v22
	v_or3_b32 v20, v21, v20, v14
.LBB59_28:
	s_or_b64 exec, exec, s[6:7]
	s_movk_i32 s4, 0x7f
	v_cmp_gt_i16_sdwa s[6:7], v10, s4 src0_sel:BYTE_3 src1_sel:DWORD
	s_mov_b64 s[4:5], 0
                                        ; implicit-def: $sgpr10
	s_and_saveexec_b64 s[8:9], s[6:7]
	s_xor_b64 s[6:7], exec, s[8:9]
	s_cbranch_execnz .LBB59_2077
; %bb.29:
	s_or_saveexec_b64 s[6:7], s[6:7]
	v_mov_b32_e32 v14, s10
	s_xor_b64 exec, exec, s[6:7]
	s_cbranch_execnz .LBB59_2080
.LBB59_30:
	s_or_b64 exec, exec, s[6:7]
	s_and_saveexec_b64 s[6:7], s[4:5]
	s_cbranch_execz .LBB59_32
.LBB59_31:
	v_bfe_u32 v14, v10, 24, 3
	v_ffbh_u32_e32 v24, v14
	v_min_u32_e32 v24, 32, v24
	v_lshrrev_b32_e32 v22, 27, v10
	v_subrev_u32_e32 v25, 28, v24
	v_and_b32_e32 v21, 0x80000000, v10
	v_and_b32_e32 v22, 15, v22
	v_bfe_u32 v23, v10, 27, 4
	v_lshlrev_b32_sdwa v10, v25, v10 dst_sel:DWORD dst_unused:UNUSED_PAD src0_sel:DWORD src1_sel:BYTE_3
	v_sub_u32_e32 v24, 29, v24
	v_and_b32_e32 v10, 7, v10
	v_cmp_eq_u16_e32 vcc, 0, v22
	v_cndmask_b32_e32 v10, v14, v10, vcc
	v_cndmask_b32_e32 v14, v23, v24, vcc
	v_mov_b32_e32 v22, 0x3b800000
	v_lshlrev_b32_e32 v10, 20, v10
	v_lshl_add_u32 v14, v14, 23, v22
	v_or3_b32 v14, v21, v14, v10
.LBB59_32:
	s_or_b64 exec, exec, s[6:7]
	s_nop 0
	v_mfma_f32_16x16x4f32 a[0:3], v20, v14, a[0:3]
	s_movk_i32 s4, 0x7f
	v_cmp_gt_i16_sdwa s[6:7], v15, s4 src0_sel:BYTE_0 src1_sel:DWORD
	s_mov_b64 s[4:5], 0
                                        ; implicit-def: $sgpr10
	s_and_saveexec_b64 s[8:9], s[6:7]
	s_xor_b64 s[6:7], exec, s[8:9]
	s_cbranch_execnz .LBB59_2081
; %bb.33:
	s_or_saveexec_b64 s[6:7], s[6:7]
	v_mov_b32_e32 v10, s10
	s_xor_b64 exec, exec, s[6:7]
	s_cbranch_execnz .LBB59_2084
.LBB59_34:
	s_or_b64 exec, exec, s[6:7]
	s_and_saveexec_b64 s[6:7], s[4:5]
	s_cbranch_execz .LBB59_36
.LBB59_35:
	v_and_b32_e32 v10, 7, v15
	v_ffbh_u32_e32 v20, v10
	v_min_u32_e32 v20, 32, v20
	v_lshrrev_b16_e32 v14, 3, v15
	v_subrev_u32_e32 v21, 28, v20
	v_and_b32_e32 v14, 15, v14
	v_lshlrev_b32_e32 v21, v21, v15
	v_sub_u32_e32 v20, 29, v20
	v_and_b32_e32 v21, 7, v21
	v_cmp_eq_u16_e32 vcc, 0, v14
	v_cndmask_b32_e32 v10, v10, v21, vcc
	v_cndmask_b32_e32 v14, v14, v20, vcc
	v_lshlrev_b32_e32 v20, 24, v15
	v_mov_b32_e32 v21, 0x3b800000
	v_lshlrev_b32_e32 v10, 20, v10
	v_and_b32_e32 v20, 0x80000000, v20
	v_lshl_add_u32 v14, v14, 23, v21
	v_or3_b32 v10, v20, v14, v10
.LBB59_36:
	s_or_b64 exec, exec, s[6:7]
	s_movk_i32 s4, 0x7f
	v_cmp_gt_i16_sdwa s[6:7], v11, s4 src0_sel:BYTE_0 src1_sel:DWORD
	s_mov_b64 s[4:5], 0
                                        ; implicit-def: $sgpr10
	s_and_saveexec_b64 s[8:9], s[6:7]
	s_xor_b64 s[6:7], exec, s[8:9]
	s_cbranch_execnz .LBB59_2085
; %bb.37:
	s_or_saveexec_b64 s[6:7], s[6:7]
	v_mov_b32_e32 v14, s10
	s_xor_b64 exec, exec, s[6:7]
	s_cbranch_execnz .LBB59_2088
.LBB59_38:
	s_or_b64 exec, exec, s[6:7]
	s_and_saveexec_b64 s[6:7], s[4:5]
	s_cbranch_execz .LBB59_40
.LBB59_39:
	v_and_b32_e32 v14, 7, v11
	v_ffbh_u32_e32 v21, v14
	v_min_u32_e32 v21, 32, v21
	v_lshrrev_b16_e32 v20, 3, v11
	v_subrev_u32_e32 v22, 28, v21
	v_and_b32_e32 v20, 15, v20
	v_lshlrev_b32_e32 v22, v22, v11
	v_sub_u32_e32 v21, 29, v21
	v_and_b32_e32 v22, 7, v22
	v_cmp_eq_u16_e32 vcc, 0, v20
	v_cndmask_b32_e32 v14, v14, v22, vcc
	v_cndmask_b32_e32 v20, v20, v21, vcc
	v_lshlrev_b32_e32 v21, 24, v11
	v_mov_b32_e32 v22, 0x3b800000
	v_lshlrev_b32_e32 v14, 20, v14
	v_and_b32_e32 v21, 0x80000000, v21
	v_lshl_add_u32 v20, v20, 23, v22
	v_or3_b32 v14, v21, v20, v14
.LBB59_40:
	s_or_b64 exec, exec, s[6:7]
	s_nop 0
	v_mfma_f32_16x16x4f32 a[0:3], v10, v14, a[0:3]
	v_lshrrev_b32_e32 v14, 8, v15
	s_movk_i32 s4, 0x7f
	v_cmp_gt_i16_sdwa s[6:7], v14, s4 src0_sel:BYTE_0 src1_sel:DWORD
	s_mov_b64 s[4:5], 0
                                        ; implicit-def: $sgpr10
	s_and_saveexec_b64 s[8:9], s[6:7]
	s_xor_b64 s[6:7], exec, s[8:9]
	s_cbranch_execnz .LBB59_2089
; %bb.41:
	s_or_saveexec_b64 s[6:7], s[6:7]
	v_mov_b32_e32 v10, s10
	s_xor_b64 exec, exec, s[6:7]
	s_cbranch_execnz .LBB59_2092
.LBB59_42:
	s_or_b64 exec, exec, s[6:7]
	s_and_saveexec_b64 s[6:7], s[4:5]
	s_cbranch_execz .LBB59_44
.LBB59_43:
	v_bfe_u32 v10, v15, 8, 3
	v_ffbh_u32_e32 v21, v10
	v_min_u32_e32 v21, 32, v21
	v_lshrrev_b16_e32 v20, 3, v14
	v_subrev_u32_e32 v22, 28, v21
	v_and_b32_e32 v20, 15, v20
	v_lshlrev_b32_e32 v14, v22, v14
	v_sub_u32_e32 v21, 29, v21
	v_and_b32_e32 v14, 7, v14
	v_cmp_eq_u16_e32 vcc, 0, v20
	v_cndmask_b32_e32 v10, v10, v14, vcc
	v_cndmask_b32_e32 v14, v20, v21, vcc
	v_lshlrev_b32_e32 v20, 16, v15
	v_mov_b32_e32 v21, 0x3b800000
	v_lshlrev_b32_e32 v10, 20, v10
	v_and_b32_e32 v20, 0x80000000, v20
	v_lshl_add_u32 v14, v14, 23, v21
	v_or3_b32 v10, v20, v14, v10
.LBB59_44:
	s_or_b64 exec, exec, s[6:7]
	v_lshrrev_b32_e32 v14, 8, v11
	s_movk_i32 s4, 0x7f
	v_cmp_gt_i16_sdwa s[6:7], v14, s4 src0_sel:BYTE_0 src1_sel:DWORD
	s_mov_b64 s[4:5], 0
                                        ; implicit-def: $sgpr10
	s_and_saveexec_b64 s[8:9], s[6:7]
	s_xor_b64 s[6:7], exec, s[8:9]
	s_cbranch_execnz .LBB59_2093
; %bb.45:
	s_or_saveexec_b64 s[6:7], s[6:7]
	v_mov_b32_e32 v20, s10
	s_xor_b64 exec, exec, s[6:7]
	s_cbranch_execnz .LBB59_2096
.LBB59_46:
	s_or_b64 exec, exec, s[6:7]
	s_and_saveexec_b64 s[6:7], s[4:5]
	s_cbranch_execz .LBB59_48
.LBB59_47:
	v_bfe_u32 v20, v11, 8, 3
	v_ffbh_u32_e32 v22, v20
	v_min_u32_e32 v22, 32, v22
	v_lshrrev_b16_e32 v21, 3, v14
	v_subrev_u32_e32 v23, 28, v22
	v_and_b32_e32 v21, 15, v21
	v_lshlrev_b32_e32 v14, v23, v14
	v_sub_u32_e32 v22, 29, v22
	v_and_b32_e32 v14, 7, v14
	v_cmp_eq_u16_e32 vcc, 0, v21
	v_cndmask_b32_e32 v14, v20, v14, vcc
	v_cndmask_b32_e32 v20, v21, v22, vcc
	v_lshlrev_b32_e32 v21, 16, v11
	v_mov_b32_e32 v22, 0x3b800000
	v_lshlrev_b32_e32 v14, 20, v14
	v_and_b32_e32 v21, 0x80000000, v21
	v_lshl_add_u32 v20, v20, 23, v22
	v_or3_b32 v20, v21, v20, v14
.LBB59_48:
	s_or_b64 exec, exec, s[6:7]
	s_nop 0
	v_mfma_f32_16x16x4f32 a[0:3], v10, v20, a[0:3]
	s_movk_i32 s4, 0xff
	v_and_b32_sdwa v14, v15, s4 dst_sel:DWORD dst_unused:UNUSED_PAD src0_sel:WORD_1 src1_sel:DWORD
	s_movk_i32 s4, 0x7f
	v_cmp_lt_i16_e32 vcc, s4, v14
	s_mov_b64 s[4:5], 0
                                        ; implicit-def: $sgpr10
	s_and_saveexec_b64 s[6:7], vcc
	s_xor_b64 s[6:7], exec, s[6:7]
	s_cbranch_execnz .LBB59_2097
; %bb.49:
	s_or_saveexec_b64 s[6:7], s[6:7]
	v_mov_b32_e32 v10, s10
	s_xor_b64 exec, exec, s[6:7]
	s_cbranch_execnz .LBB59_2100
.LBB59_50:
	s_or_b64 exec, exec, s[6:7]
	s_and_saveexec_b64 s[6:7], s[4:5]
	s_cbranch_execz .LBB59_52
.LBB59_51:
	v_bfe_u32 v10, v15, 16, 3
	v_ffbh_u32_e32 v21, v10
	v_min_u32_e32 v21, 32, v21
	v_lshrrev_b32_e32 v14, 19, v15
	v_subrev_u32_e32 v22, 28, v21
	v_and_b32_e32 v14, 15, v14
	v_lshlrev_b32_sdwa v22, v22, v15 dst_sel:DWORD dst_unused:UNUSED_PAD src0_sel:DWORD src1_sel:WORD_1
	v_bfe_u32 v20, v15, 19, 4
	v_sub_u32_e32 v21, 29, v21
	v_and_b32_e32 v22, 7, v22
	v_cmp_eq_u16_e32 vcc, 0, v14
	v_cndmask_b32_e32 v10, v10, v22, vcc
	v_cndmask_b32_e32 v14, v20, v21, vcc
	v_lshlrev_b32_e32 v20, 8, v15
	v_mov_b32_e32 v21, 0x3b800000
	v_lshlrev_b32_e32 v10, 20, v10
	v_and_b32_e32 v20, 0x80000000, v20
	v_lshl_add_u32 v14, v14, 23, v21
	v_or3_b32 v10, v20, v14, v10
.LBB59_52:
	s_or_b64 exec, exec, s[6:7]
	s_movk_i32 s4, 0xff
	v_and_b32_sdwa v14, v11, s4 dst_sel:DWORD dst_unused:UNUSED_PAD src0_sel:WORD_1 src1_sel:DWORD
	s_movk_i32 s4, 0x7f
	v_cmp_lt_i16_e32 vcc, s4, v14
	s_mov_b64 s[4:5], 0
                                        ; implicit-def: $sgpr10
	s_and_saveexec_b64 s[6:7], vcc
	s_xor_b64 s[6:7], exec, s[6:7]
	s_cbranch_execnz .LBB59_2101
; %bb.53:
	s_or_saveexec_b64 s[6:7], s[6:7]
	v_mov_b32_e32 v20, s10
	s_xor_b64 exec, exec, s[6:7]
	s_cbranch_execnz .LBB59_2104
.LBB59_54:
	s_or_b64 exec, exec, s[6:7]
	s_and_saveexec_b64 s[6:7], s[4:5]
	s_cbranch_execz .LBB59_56
.LBB59_55:
	v_bfe_u32 v14, v11, 16, 3
	v_ffbh_u32_e32 v22, v14
	v_min_u32_e32 v22, 32, v22
	v_lshrrev_b32_e32 v20, 19, v11
	v_subrev_u32_e32 v23, 28, v22
	v_and_b32_e32 v20, 15, v20
	v_lshlrev_b32_sdwa v23, v23, v11 dst_sel:DWORD dst_unused:UNUSED_PAD src0_sel:DWORD src1_sel:WORD_1
	v_bfe_u32 v21, v11, 19, 4
	v_sub_u32_e32 v22, 29, v22
	v_and_b32_e32 v23, 7, v23
	v_cmp_eq_u16_e32 vcc, 0, v20
	v_cndmask_b32_e32 v14, v14, v23, vcc
	v_cndmask_b32_e32 v20, v21, v22, vcc
	v_lshlrev_b32_e32 v21, 8, v11
	v_mov_b32_e32 v22, 0x3b800000
	v_lshlrev_b32_e32 v14, 20, v14
	v_and_b32_e32 v21, 0x80000000, v21
	v_lshl_add_u32 v20, v20, 23, v22
	v_or3_b32 v20, v21, v20, v14
.LBB59_56:
	s_or_b64 exec, exec, s[6:7]
	s_nop 0
	v_mfma_f32_16x16x4f32 a[0:3], v10, v20, a[0:3]
	s_movk_i32 s4, 0x7f
	v_cmp_gt_i16_sdwa s[6:7], v15, s4 src0_sel:BYTE_3 src1_sel:DWORD
	s_mov_b64 s[4:5], 0
                                        ; implicit-def: $sgpr10
	s_and_saveexec_b64 s[8:9], s[6:7]
	s_xor_b64 s[6:7], exec, s[8:9]
	s_cbranch_execnz .LBB59_2105
; %bb.57:
	s_or_saveexec_b64 s[6:7], s[6:7]
	v_mov_b32_e32 v10, s10
	s_xor_b64 exec, exec, s[6:7]
	s_cbranch_execnz .LBB59_2108
.LBB59_58:
	s_or_b64 exec, exec, s[6:7]
	s_and_saveexec_b64 s[6:7], s[4:5]
	s_cbranch_execz .LBB59_60
.LBB59_59:
	v_bfe_u32 v10, v15, 24, 3
	v_ffbh_u32_e32 v22, v10
	v_min_u32_e32 v22, 32, v22
	v_lshrrev_b32_e32 v20, 27, v15
	v_subrev_u32_e32 v23, 28, v22
	v_and_b32_e32 v14, 0x80000000, v15
	v_and_b32_e32 v20, 15, v20
	v_bfe_u32 v21, v15, 27, 4
	v_lshlrev_b32_sdwa v15, v23, v15 dst_sel:DWORD dst_unused:UNUSED_PAD src0_sel:DWORD src1_sel:BYTE_3
	v_sub_u32_e32 v22, 29, v22
	v_and_b32_e32 v15, 7, v15
	v_cmp_eq_u16_e32 vcc, 0, v20
	v_cndmask_b32_e32 v10, v10, v15, vcc
	v_cndmask_b32_e32 v15, v21, v22, vcc
	v_mov_b32_e32 v20, 0x3b800000
	v_lshlrev_b32_e32 v10, 20, v10
	v_lshl_add_u32 v15, v15, 23, v20
	v_or3_b32 v10, v14, v15, v10
.LBB59_60:
	s_or_b64 exec, exec, s[6:7]
	s_movk_i32 s4, 0x7f
	v_cmp_gt_i16_sdwa s[6:7], v11, s4 src0_sel:BYTE_3 src1_sel:DWORD
	s_mov_b64 s[4:5], 0
                                        ; implicit-def: $sgpr10
	s_and_saveexec_b64 s[8:9], s[6:7]
	s_xor_b64 s[6:7], exec, s[8:9]
	s_cbranch_execnz .LBB59_2109
; %bb.61:
	s_or_saveexec_b64 s[6:7], s[6:7]
	v_mov_b32_e32 v14, s10
	s_xor_b64 exec, exec, s[6:7]
	s_cbranch_execnz .LBB59_2112
.LBB59_62:
	s_or_b64 exec, exec, s[6:7]
	s_and_saveexec_b64 s[6:7], s[4:5]
	s_cbranch_execz .LBB59_64
.LBB59_63:
	v_bfe_u32 v14, v11, 24, 3
	v_ffbh_u32_e32 v22, v14
	v_min_u32_e32 v22, 32, v22
	v_lshrrev_b32_e32 v20, 27, v11
	v_subrev_u32_e32 v23, 28, v22
	v_and_b32_e32 v15, 0x80000000, v11
	v_and_b32_e32 v20, 15, v20
	v_bfe_u32 v21, v11, 27, 4
	v_lshlrev_b32_sdwa v11, v23, v11 dst_sel:DWORD dst_unused:UNUSED_PAD src0_sel:DWORD src1_sel:BYTE_3
	v_sub_u32_e32 v22, 29, v22
	v_and_b32_e32 v11, 7, v11
	v_cmp_eq_u16_e32 vcc, 0, v20
	v_cndmask_b32_e32 v11, v14, v11, vcc
	v_cndmask_b32_e32 v14, v21, v22, vcc
	v_mov_b32_e32 v20, 0x3b800000
	v_lshlrev_b32_e32 v11, 20, v11
	v_lshl_add_u32 v14, v14, 23, v20
	v_or3_b32 v14, v15, v14, v11
.LBB59_64:
	s_or_b64 exec, exec, s[6:7]
	s_nop 0
	v_mfma_f32_16x16x4f32 a[0:3], v10, v14, a[0:3]
	s_movk_i32 s4, 0x7f
	v_cmp_gt_i16_sdwa s[6:7], v16, s4 src0_sel:BYTE_0 src1_sel:DWORD
	s_mov_b64 s[4:5], 0
                                        ; implicit-def: $sgpr10
	s_and_saveexec_b64 s[8:9], s[6:7]
	s_xor_b64 s[6:7], exec, s[8:9]
	s_cbranch_execnz .LBB59_2113
; %bb.65:
	s_or_saveexec_b64 s[6:7], s[6:7]
	v_mov_b32_e32 v10, s10
	s_xor_b64 exec, exec, s[6:7]
	s_cbranch_execnz .LBB59_2116
.LBB59_66:
	s_or_b64 exec, exec, s[6:7]
	s_and_saveexec_b64 s[6:7], s[4:5]
	s_cbranch_execz .LBB59_68
.LBB59_67:
	v_and_b32_e32 v10, 7, v16
	v_ffbh_u32_e32 v14, v10
	v_min_u32_e32 v14, 32, v14
	v_lshrrev_b16_e32 v11, 3, v16
	v_subrev_u32_e32 v15, 28, v14
	v_and_b32_e32 v11, 15, v11
	v_lshlrev_b32_e32 v15, v15, v16
	v_sub_u32_e32 v14, 29, v14
	v_and_b32_e32 v15, 7, v15
	v_cmp_eq_u16_e32 vcc, 0, v11
	v_cndmask_b32_e32 v10, v10, v15, vcc
	v_cndmask_b32_e32 v11, v11, v14, vcc
	v_lshlrev_b32_e32 v14, 24, v16
	v_mov_b32_e32 v15, 0x3b800000
	v_lshlrev_b32_e32 v10, 20, v10
	v_and_b32_e32 v14, 0x80000000, v14
	v_lshl_add_u32 v11, v11, 23, v15
	v_or3_b32 v10, v14, v11, v10
.LBB59_68:
	s_or_b64 exec, exec, s[6:7]
	s_movk_i32 s4, 0x7f
	v_cmp_gt_i16_sdwa s[6:7], v12, s4 src0_sel:BYTE_0 src1_sel:DWORD
	s_mov_b64 s[4:5], 0
                                        ; implicit-def: $sgpr10
	s_and_saveexec_b64 s[8:9], s[6:7]
	s_xor_b64 s[6:7], exec, s[8:9]
	s_cbranch_execnz .LBB59_2117
; %bb.69:
	s_or_saveexec_b64 s[6:7], s[6:7]
	v_mov_b32_e32 v11, s10
	s_xor_b64 exec, exec, s[6:7]
	s_cbranch_execnz .LBB59_2120
.LBB59_70:
	s_or_b64 exec, exec, s[6:7]
	s_and_saveexec_b64 s[6:7], s[4:5]
	s_cbranch_execz .LBB59_72
.LBB59_71:
	v_and_b32_e32 v11, 7, v12
	v_ffbh_u32_e32 v15, v11
	v_min_u32_e32 v15, 32, v15
	v_lshrrev_b16_e32 v14, 3, v12
	v_subrev_u32_e32 v20, 28, v15
	v_and_b32_e32 v14, 15, v14
	v_lshlrev_b32_e32 v20, v20, v12
	v_sub_u32_e32 v15, 29, v15
	v_and_b32_e32 v20, 7, v20
	v_cmp_eq_u16_e32 vcc, 0, v14
	v_cndmask_b32_e32 v11, v11, v20, vcc
	v_cndmask_b32_e32 v14, v14, v15, vcc
	v_lshlrev_b32_e32 v15, 24, v12
	v_mov_b32_e32 v20, 0x3b800000
	v_lshlrev_b32_e32 v11, 20, v11
	v_and_b32_e32 v15, 0x80000000, v15
	v_lshl_add_u32 v14, v14, 23, v20
	v_or3_b32 v11, v15, v14, v11
.LBB59_72:
	s_or_b64 exec, exec, s[6:7]
	s_nop 0
	v_mfma_f32_16x16x4f32 a[0:3], v10, v11, a[0:3]
	v_lshrrev_b32_e32 v11, 8, v16
	s_movk_i32 s4, 0x7f
	v_cmp_gt_i16_sdwa s[6:7], v11, s4 src0_sel:BYTE_0 src1_sel:DWORD
	s_mov_b64 s[4:5], 0
                                        ; implicit-def: $sgpr10
	s_and_saveexec_b64 s[8:9], s[6:7]
	s_xor_b64 s[6:7], exec, s[8:9]
	s_cbranch_execnz .LBB59_2121
; %bb.73:
	s_or_saveexec_b64 s[6:7], s[6:7]
	v_mov_b32_e32 v10, s10
	s_xor_b64 exec, exec, s[6:7]
	s_cbranch_execnz .LBB59_2124
.LBB59_74:
	s_or_b64 exec, exec, s[6:7]
	s_and_saveexec_b64 s[6:7], s[4:5]
	s_cbranch_execz .LBB59_76
.LBB59_75:
	v_bfe_u32 v10, v16, 8, 3
	v_ffbh_u32_e32 v15, v10
	v_min_u32_e32 v15, 32, v15
	v_lshrrev_b16_e32 v14, 3, v11
	v_subrev_u32_e32 v20, 28, v15
	v_and_b32_e32 v14, 15, v14
	v_lshlrev_b32_e32 v11, v20, v11
	v_sub_u32_e32 v15, 29, v15
	v_and_b32_e32 v11, 7, v11
	v_cmp_eq_u16_e32 vcc, 0, v14
	v_cndmask_b32_e32 v10, v10, v11, vcc
	v_cndmask_b32_e32 v11, v14, v15, vcc
	v_lshlrev_b32_e32 v14, 16, v16
	v_mov_b32_e32 v15, 0x3b800000
	v_lshlrev_b32_e32 v10, 20, v10
	v_and_b32_e32 v14, 0x80000000, v14
	v_lshl_add_u32 v11, v11, 23, v15
	v_or3_b32 v10, v14, v11, v10
.LBB59_76:
	s_or_b64 exec, exec, s[6:7]
	v_lshrrev_b32_e32 v11, 8, v12
	s_movk_i32 s4, 0x7f
	v_cmp_gt_i16_sdwa s[6:7], v11, s4 src0_sel:BYTE_0 src1_sel:DWORD
	s_mov_b64 s[4:5], 0
                                        ; implicit-def: $sgpr10
	s_and_saveexec_b64 s[8:9], s[6:7]
	s_xor_b64 s[6:7], exec, s[8:9]
	s_cbranch_execnz .LBB59_2125
; %bb.77:
	s_or_saveexec_b64 s[6:7], s[6:7]
	v_mov_b32_e32 v14, s10
	s_xor_b64 exec, exec, s[6:7]
	s_cbranch_execnz .LBB59_2128
.LBB59_78:
	s_or_b64 exec, exec, s[6:7]
	s_and_saveexec_b64 s[6:7], s[4:5]
	s_cbranch_execz .LBB59_80
.LBB59_79:
	v_bfe_u32 v14, v12, 8, 3
	v_ffbh_u32_e32 v20, v14
	v_min_u32_e32 v20, 32, v20
	v_lshrrev_b16_e32 v15, 3, v11
	v_subrev_u32_e32 v21, 28, v20
	v_and_b32_e32 v15, 15, v15
	v_lshlrev_b32_e32 v11, v21, v11
	v_sub_u32_e32 v20, 29, v20
	v_and_b32_e32 v11, 7, v11
	v_cmp_eq_u16_e32 vcc, 0, v15
	v_cndmask_b32_e32 v11, v14, v11, vcc
	v_cndmask_b32_e32 v14, v15, v20, vcc
	v_lshlrev_b32_e32 v15, 16, v12
	v_mov_b32_e32 v20, 0x3b800000
	v_lshlrev_b32_e32 v11, 20, v11
	v_and_b32_e32 v15, 0x80000000, v15
	v_lshl_add_u32 v14, v14, 23, v20
	v_or3_b32 v14, v15, v14, v11
.LBB59_80:
	s_or_b64 exec, exec, s[6:7]
	s_nop 0
	v_mfma_f32_16x16x4f32 a[0:3], v10, v14, a[0:3]
	s_movk_i32 s4, 0xff
	v_and_b32_sdwa v11, v16, s4 dst_sel:DWORD dst_unused:UNUSED_PAD src0_sel:WORD_1 src1_sel:DWORD
	s_movk_i32 s4, 0x7f
	v_cmp_lt_i16_e32 vcc, s4, v11
	s_mov_b64 s[4:5], 0
                                        ; implicit-def: $sgpr10
	s_and_saveexec_b64 s[6:7], vcc
	s_xor_b64 s[6:7], exec, s[6:7]
	s_cbranch_execnz .LBB59_2129
; %bb.81:
	s_or_saveexec_b64 s[6:7], s[6:7]
	v_mov_b32_e32 v10, s10
	s_xor_b64 exec, exec, s[6:7]
	s_cbranch_execnz .LBB59_2132
.LBB59_82:
	s_or_b64 exec, exec, s[6:7]
	s_and_saveexec_b64 s[6:7], s[4:5]
	s_cbranch_execz .LBB59_84
.LBB59_83:
	v_bfe_u32 v10, v16, 16, 3
	v_ffbh_u32_e32 v15, v10
	v_min_u32_e32 v15, 32, v15
	v_lshrrev_b32_e32 v11, 19, v16
	v_subrev_u32_e32 v20, 28, v15
	v_and_b32_e32 v11, 15, v11
	v_lshlrev_b32_sdwa v20, v20, v16 dst_sel:DWORD dst_unused:UNUSED_PAD src0_sel:DWORD src1_sel:WORD_1
	v_bfe_u32 v14, v16, 19, 4
	v_sub_u32_e32 v15, 29, v15
	v_and_b32_e32 v20, 7, v20
	v_cmp_eq_u16_e32 vcc, 0, v11
	v_cndmask_b32_e32 v10, v10, v20, vcc
	v_cndmask_b32_e32 v11, v14, v15, vcc
	v_lshlrev_b32_e32 v14, 8, v16
	v_mov_b32_e32 v15, 0x3b800000
	v_lshlrev_b32_e32 v10, 20, v10
	v_and_b32_e32 v14, 0x80000000, v14
	v_lshl_add_u32 v11, v11, 23, v15
	v_or3_b32 v10, v14, v11, v10
.LBB59_84:
	s_or_b64 exec, exec, s[6:7]
	s_movk_i32 s4, 0xff
	v_and_b32_sdwa v11, v12, s4 dst_sel:DWORD dst_unused:UNUSED_PAD src0_sel:WORD_1 src1_sel:DWORD
	s_movk_i32 s4, 0x7f
	v_cmp_lt_i16_e32 vcc, s4, v11
	s_mov_b64 s[4:5], 0
                                        ; implicit-def: $sgpr10
	s_and_saveexec_b64 s[6:7], vcc
	s_xor_b64 s[6:7], exec, s[6:7]
	s_cbranch_execnz .LBB59_2133
; %bb.85:
	s_or_saveexec_b64 s[6:7], s[6:7]
	v_mov_b32_e32 v14, s10
	s_xor_b64 exec, exec, s[6:7]
	s_cbranch_execnz .LBB59_2136
.LBB59_86:
	s_or_b64 exec, exec, s[6:7]
	s_and_saveexec_b64 s[6:7], s[4:5]
	s_cbranch_execz .LBB59_88
.LBB59_87:
	v_bfe_u32 v11, v12, 16, 3
	v_ffbh_u32_e32 v20, v11
	v_min_u32_e32 v20, 32, v20
	v_lshrrev_b32_e32 v14, 19, v12
	v_subrev_u32_e32 v21, 28, v20
	v_and_b32_e32 v14, 15, v14
	v_lshlrev_b32_sdwa v21, v21, v12 dst_sel:DWORD dst_unused:UNUSED_PAD src0_sel:DWORD src1_sel:WORD_1
	v_bfe_u32 v15, v12, 19, 4
	v_sub_u32_e32 v20, 29, v20
	v_and_b32_e32 v21, 7, v21
	v_cmp_eq_u16_e32 vcc, 0, v14
	v_cndmask_b32_e32 v11, v11, v21, vcc
	v_cndmask_b32_e32 v14, v15, v20, vcc
	v_lshlrev_b32_e32 v15, 8, v12
	v_mov_b32_e32 v20, 0x3b800000
	v_lshlrev_b32_e32 v11, 20, v11
	v_and_b32_e32 v15, 0x80000000, v15
	v_lshl_add_u32 v14, v14, 23, v20
	v_or3_b32 v14, v15, v14, v11
.LBB59_88:
	s_or_b64 exec, exec, s[6:7]
	s_nop 0
	v_mfma_f32_16x16x4f32 a[0:3], v10, v14, a[0:3]
	s_movk_i32 s4, 0x7f
	v_cmp_gt_i16_sdwa s[6:7], v16, s4 src0_sel:BYTE_3 src1_sel:DWORD
	s_mov_b64 s[4:5], 0
                                        ; implicit-def: $sgpr10
	s_and_saveexec_b64 s[8:9], s[6:7]
	s_xor_b64 s[6:7], exec, s[8:9]
	s_cbranch_execnz .LBB59_2137
; %bb.89:
	s_or_saveexec_b64 s[6:7], s[6:7]
	v_mov_b32_e32 v10, s10
	s_xor_b64 exec, exec, s[6:7]
	s_cbranch_execnz .LBB59_2140
.LBB59_90:
	s_or_b64 exec, exec, s[6:7]
	s_and_saveexec_b64 s[6:7], s[4:5]
	s_cbranch_execz .LBB59_92
.LBB59_91:
	v_bfe_u32 v10, v16, 24, 3
	v_ffbh_u32_e32 v20, v10
	v_min_u32_e32 v20, 32, v20
	v_lshrrev_b32_e32 v14, 27, v16
	v_subrev_u32_e32 v21, 28, v20
	v_and_b32_e32 v11, 0x80000000, v16
	v_and_b32_e32 v14, 15, v14
	v_bfe_u32 v15, v16, 27, 4
	v_lshlrev_b32_sdwa v16, v21, v16 dst_sel:DWORD dst_unused:UNUSED_PAD src0_sel:DWORD src1_sel:BYTE_3
	v_sub_u32_e32 v20, 29, v20
	v_and_b32_e32 v16, 7, v16
	v_cmp_eq_u16_e32 vcc, 0, v14
	v_cndmask_b32_e32 v10, v10, v16, vcc
	v_cndmask_b32_e32 v14, v15, v20, vcc
	v_mov_b32_e32 v15, 0x3b800000
	v_lshlrev_b32_e32 v10, 20, v10
	v_lshl_add_u32 v14, v14, 23, v15
	v_or3_b32 v10, v11, v14, v10
.LBB59_92:
	s_or_b64 exec, exec, s[6:7]
	s_movk_i32 s4, 0x7f
	v_cmp_gt_i16_sdwa s[6:7], v12, s4 src0_sel:BYTE_3 src1_sel:DWORD
	s_mov_b64 s[4:5], 0
                                        ; implicit-def: $sgpr10
	s_and_saveexec_b64 s[8:9], s[6:7]
	s_xor_b64 s[6:7], exec, s[8:9]
	s_cbranch_execnz .LBB59_2141
; %bb.93:
	s_or_saveexec_b64 s[6:7], s[6:7]
	v_mov_b32_e32 v11, s10
	s_xor_b64 exec, exec, s[6:7]
	s_cbranch_execnz .LBB59_2144
.LBB59_94:
	s_or_b64 exec, exec, s[6:7]
	s_and_saveexec_b64 s[6:7], s[4:5]
	s_cbranch_execz .LBB59_96
.LBB59_95:
	v_bfe_u32 v11, v12, 24, 3
	v_ffbh_u32_e32 v20, v11
	v_min_u32_e32 v20, 32, v20
	v_lshrrev_b32_e32 v15, 27, v12
	v_subrev_u32_e32 v21, 28, v20
	v_and_b32_e32 v14, 0x80000000, v12
	v_and_b32_e32 v15, 15, v15
	v_bfe_u32 v16, v12, 27, 4
	v_lshlrev_b32_sdwa v12, v21, v12 dst_sel:DWORD dst_unused:UNUSED_PAD src0_sel:DWORD src1_sel:BYTE_3
	v_sub_u32_e32 v20, 29, v20
	v_and_b32_e32 v12, 7, v12
	v_cmp_eq_u16_e32 vcc, 0, v15
	v_cndmask_b32_e32 v11, v11, v12, vcc
	v_cndmask_b32_e32 v12, v16, v20, vcc
	v_mov_b32_e32 v15, 0x3b800000
	v_lshlrev_b32_e32 v11, 20, v11
	v_lshl_add_u32 v12, v12, 23, v15
	v_or3_b32 v11, v14, v12, v11
.LBB59_96:
	s_or_b64 exec, exec, s[6:7]
	s_nop 0
	v_mfma_f32_16x16x4f32 a[0:3], v10, v11, a[0:3]
	s_movk_i32 s4, 0x7f
	v_cmp_gt_i16_sdwa s[6:7], v17, s4 src0_sel:BYTE_0 src1_sel:DWORD
	s_mov_b64 s[4:5], 0
                                        ; implicit-def: $sgpr10
	s_and_saveexec_b64 s[8:9], s[6:7]
	s_xor_b64 s[6:7], exec, s[8:9]
	s_cbranch_execnz .LBB59_2145
; %bb.97:
	s_or_saveexec_b64 s[6:7], s[6:7]
	v_mov_b32_e32 v10, s10
	s_xor_b64 exec, exec, s[6:7]
	s_cbranch_execnz .LBB59_2148
.LBB59_98:
	s_or_b64 exec, exec, s[6:7]
	s_and_saveexec_b64 s[6:7], s[4:5]
	s_cbranch_execz .LBB59_100
.LBB59_99:
	v_and_b32_e32 v10, 7, v17
	v_ffbh_u32_e32 v12, v10
	v_min_u32_e32 v12, 32, v12
	v_lshrrev_b16_e32 v11, 3, v17
	v_subrev_u32_e32 v14, 28, v12
	v_and_b32_e32 v11, 15, v11
	v_lshlrev_b32_e32 v14, v14, v17
	v_sub_u32_e32 v12, 29, v12
	v_and_b32_e32 v14, 7, v14
	v_cmp_eq_u16_e32 vcc, 0, v11
	v_cndmask_b32_e32 v10, v10, v14, vcc
	v_cndmask_b32_e32 v11, v11, v12, vcc
	v_lshlrev_b32_e32 v12, 24, v17
	v_mov_b32_e32 v14, 0x3b800000
	v_lshlrev_b32_e32 v10, 20, v10
	v_and_b32_e32 v12, 0x80000000, v12
	v_lshl_add_u32 v11, v11, 23, v14
	v_or3_b32 v10, v12, v11, v10
.LBB59_100:
	s_or_b64 exec, exec, s[6:7]
	s_movk_i32 s4, 0x7f
	v_cmp_gt_i16_sdwa s[6:7], v13, s4 src0_sel:BYTE_0 src1_sel:DWORD
	s_mov_b64 s[4:5], 0
                                        ; implicit-def: $sgpr10
	s_and_saveexec_b64 s[8:9], s[6:7]
	s_xor_b64 s[6:7], exec, s[8:9]
	s_cbranch_execnz .LBB59_2149
; %bb.101:
	s_or_saveexec_b64 s[6:7], s[6:7]
	v_mov_b32_e32 v11, s10
	s_xor_b64 exec, exec, s[6:7]
	s_cbranch_execnz .LBB59_2152
.LBB59_102:
	s_or_b64 exec, exec, s[6:7]
	s_and_saveexec_b64 s[6:7], s[4:5]
	s_cbranch_execz .LBB59_104
.LBB59_103:
	v_and_b32_e32 v11, 7, v13
	v_ffbh_u32_e32 v14, v11
	v_min_u32_e32 v14, 32, v14
	v_lshrrev_b16_e32 v12, 3, v13
	v_subrev_u32_e32 v15, 28, v14
	v_and_b32_e32 v12, 15, v12
	v_lshlrev_b32_e32 v15, v15, v13
	v_sub_u32_e32 v14, 29, v14
	v_and_b32_e32 v15, 7, v15
	v_cmp_eq_u16_e32 vcc, 0, v12
	v_cndmask_b32_e32 v11, v11, v15, vcc
	v_cndmask_b32_e32 v12, v12, v14, vcc
	v_lshlrev_b32_e32 v14, 24, v13
	v_mov_b32_e32 v15, 0x3b800000
	v_lshlrev_b32_e32 v11, 20, v11
	v_and_b32_e32 v14, 0x80000000, v14
	v_lshl_add_u32 v12, v12, 23, v15
	v_or3_b32 v11, v14, v12, v11
.LBB59_104:
	s_or_b64 exec, exec, s[6:7]
	s_nop 0
	v_mfma_f32_16x16x4f32 a[0:3], v10, v11, a[0:3]
	v_lshrrev_b32_e32 v11, 8, v17
	s_movk_i32 s4, 0x7f
	v_cmp_gt_i16_sdwa s[6:7], v11, s4 src0_sel:BYTE_0 src1_sel:DWORD
	s_mov_b64 s[4:5], 0
                                        ; implicit-def: $sgpr10
	s_and_saveexec_b64 s[8:9], s[6:7]
	s_xor_b64 s[6:7], exec, s[8:9]
	s_cbranch_execnz .LBB59_2153
; %bb.105:
	s_or_saveexec_b64 s[6:7], s[6:7]
	v_mov_b32_e32 v10, s10
	s_xor_b64 exec, exec, s[6:7]
	s_cbranch_execnz .LBB59_2156
.LBB59_106:
	s_or_b64 exec, exec, s[6:7]
	s_and_saveexec_b64 s[6:7], s[4:5]
	s_cbranch_execz .LBB59_108
.LBB59_107:
	v_bfe_u32 v10, v17, 8, 3
	v_ffbh_u32_e32 v14, v10
	v_min_u32_e32 v14, 32, v14
	v_lshrrev_b16_e32 v12, 3, v11
	v_subrev_u32_e32 v15, 28, v14
	v_and_b32_e32 v12, 15, v12
	v_lshlrev_b32_e32 v11, v15, v11
	v_sub_u32_e32 v14, 29, v14
	v_and_b32_e32 v11, 7, v11
	v_cmp_eq_u16_e32 vcc, 0, v12
	v_cndmask_b32_e32 v10, v10, v11, vcc
	v_cndmask_b32_e32 v11, v12, v14, vcc
	v_lshlrev_b32_e32 v12, 16, v17
	v_mov_b32_e32 v14, 0x3b800000
	v_lshlrev_b32_e32 v10, 20, v10
	v_and_b32_e32 v12, 0x80000000, v12
	v_lshl_add_u32 v11, v11, 23, v14
	v_or3_b32 v10, v12, v11, v10
.LBB59_108:
	s_or_b64 exec, exec, s[6:7]
	v_lshrrev_b32_e32 v11, 8, v13
	s_movk_i32 s4, 0x7f
	v_cmp_gt_i16_sdwa s[6:7], v11, s4 src0_sel:BYTE_0 src1_sel:DWORD
	s_mov_b64 s[4:5], 0
                                        ; implicit-def: $sgpr10
	s_and_saveexec_b64 s[8:9], s[6:7]
	s_xor_b64 s[6:7], exec, s[8:9]
	s_cbranch_execnz .LBB59_2157
; %bb.109:
	s_or_saveexec_b64 s[6:7], s[6:7]
	v_mov_b32_e32 v12, s10
	s_xor_b64 exec, exec, s[6:7]
	s_cbranch_execnz .LBB59_2160
.LBB59_110:
	s_or_b64 exec, exec, s[6:7]
	s_and_saveexec_b64 s[6:7], s[4:5]
	s_cbranch_execz .LBB59_112
.LBB59_111:
	v_bfe_u32 v12, v13, 8, 3
	v_ffbh_u32_e32 v15, v12
	v_min_u32_e32 v15, 32, v15
	v_lshrrev_b16_e32 v14, 3, v11
	v_subrev_u32_e32 v16, 28, v15
	v_and_b32_e32 v14, 15, v14
	v_lshlrev_b32_e32 v11, v16, v11
	v_sub_u32_e32 v15, 29, v15
	v_and_b32_e32 v11, 7, v11
	v_cmp_eq_u16_e32 vcc, 0, v14
	v_cndmask_b32_e32 v11, v12, v11, vcc
	v_cndmask_b32_e32 v12, v14, v15, vcc
	v_lshlrev_b32_e32 v14, 16, v13
	v_mov_b32_e32 v15, 0x3b800000
	v_lshlrev_b32_e32 v11, 20, v11
	v_and_b32_e32 v14, 0x80000000, v14
	v_lshl_add_u32 v12, v12, 23, v15
	v_or3_b32 v12, v14, v12, v11
.LBB59_112:
	s_or_b64 exec, exec, s[6:7]
	s_nop 0
	v_mfma_f32_16x16x4f32 a[0:3], v10, v12, a[0:3]
	s_movk_i32 s4, 0xff
	v_and_b32_sdwa v11, v17, s4 dst_sel:DWORD dst_unused:UNUSED_PAD src0_sel:WORD_1 src1_sel:DWORD
	s_movk_i32 s4, 0x7f
	v_cmp_lt_i16_e32 vcc, s4, v11
	s_mov_b64 s[4:5], 0
                                        ; implicit-def: $sgpr10
	s_and_saveexec_b64 s[6:7], vcc
	s_xor_b64 s[6:7], exec, s[6:7]
	s_cbranch_execnz .LBB59_2161
; %bb.113:
	s_or_saveexec_b64 s[6:7], s[6:7]
	v_mov_b32_e32 v10, s10
	s_xor_b64 exec, exec, s[6:7]
	s_cbranch_execnz .LBB59_2164
.LBB59_114:
	s_or_b64 exec, exec, s[6:7]
	s_and_saveexec_b64 s[6:7], s[4:5]
	s_cbranch_execz .LBB59_116
.LBB59_115:
	v_bfe_u32 v10, v17, 16, 3
	v_ffbh_u32_e32 v14, v10
	v_min_u32_e32 v14, 32, v14
	v_lshrrev_b32_e32 v11, 19, v17
	v_subrev_u32_e32 v15, 28, v14
	v_and_b32_e32 v11, 15, v11
	v_lshlrev_b32_sdwa v15, v15, v17 dst_sel:DWORD dst_unused:UNUSED_PAD src0_sel:DWORD src1_sel:WORD_1
	v_bfe_u32 v12, v17, 19, 4
	v_sub_u32_e32 v14, 29, v14
	v_and_b32_e32 v15, 7, v15
	v_cmp_eq_u16_e32 vcc, 0, v11
	v_cndmask_b32_e32 v10, v10, v15, vcc
	v_cndmask_b32_e32 v11, v12, v14, vcc
	v_lshlrev_b32_e32 v12, 8, v17
	v_mov_b32_e32 v14, 0x3b800000
	v_lshlrev_b32_e32 v10, 20, v10
	v_and_b32_e32 v12, 0x80000000, v12
	v_lshl_add_u32 v11, v11, 23, v14
	v_or3_b32 v10, v12, v11, v10
.LBB59_116:
	s_or_b64 exec, exec, s[6:7]
	s_movk_i32 s4, 0xff
	v_and_b32_sdwa v11, v13, s4 dst_sel:DWORD dst_unused:UNUSED_PAD src0_sel:WORD_1 src1_sel:DWORD
	s_movk_i32 s4, 0x7f
	v_cmp_lt_i16_e32 vcc, s4, v11
	s_mov_b64 s[4:5], 0
                                        ; implicit-def: $sgpr10
	s_and_saveexec_b64 s[6:7], vcc
	s_xor_b64 s[6:7], exec, s[6:7]
	s_cbranch_execnz .LBB59_2165
; %bb.117:
	s_or_saveexec_b64 s[6:7], s[6:7]
	v_mov_b32_e32 v12, s10
	s_xor_b64 exec, exec, s[6:7]
	s_cbranch_execnz .LBB59_2168
.LBB59_118:
	s_or_b64 exec, exec, s[6:7]
	s_and_saveexec_b64 s[6:7], s[4:5]
	s_cbranch_execz .LBB59_120
.LBB59_119:
	v_bfe_u32 v11, v13, 16, 3
	v_ffbh_u32_e32 v15, v11
	v_min_u32_e32 v15, 32, v15
	v_lshrrev_b32_e32 v12, 19, v13
	v_subrev_u32_e32 v16, 28, v15
	v_and_b32_e32 v12, 15, v12
	v_lshlrev_b32_sdwa v16, v16, v13 dst_sel:DWORD dst_unused:UNUSED_PAD src0_sel:DWORD src1_sel:WORD_1
	v_bfe_u32 v14, v13, 19, 4
	v_sub_u32_e32 v15, 29, v15
	v_and_b32_e32 v16, 7, v16
	v_cmp_eq_u16_e32 vcc, 0, v12
	v_cndmask_b32_e32 v11, v11, v16, vcc
	v_cndmask_b32_e32 v12, v14, v15, vcc
	v_lshlrev_b32_e32 v14, 8, v13
	v_mov_b32_e32 v15, 0x3b800000
	v_lshlrev_b32_e32 v11, 20, v11
	v_and_b32_e32 v14, 0x80000000, v14
	v_lshl_add_u32 v12, v12, 23, v15
	v_or3_b32 v12, v14, v12, v11
.LBB59_120:
	s_or_b64 exec, exec, s[6:7]
	s_nop 0
	v_mfma_f32_16x16x4f32 a[0:3], v10, v12, a[0:3]
	s_movk_i32 s4, 0x7f
	v_cmp_gt_i16_sdwa s[6:7], v17, s4 src0_sel:BYTE_3 src1_sel:DWORD
	s_mov_b64 s[4:5], 0
                                        ; implicit-def: $sgpr10
	s_and_saveexec_b64 s[8:9], s[6:7]
	s_xor_b64 s[6:7], exec, s[8:9]
	s_cbranch_execnz .LBB59_2169
; %bb.121:
	s_or_saveexec_b64 s[6:7], s[6:7]
	v_mov_b32_e32 v10, s10
	s_xor_b64 exec, exec, s[6:7]
	s_cbranch_execnz .LBB59_2172
.LBB59_122:
	s_or_b64 exec, exec, s[6:7]
	s_and_saveexec_b64 s[6:7], s[4:5]
	s_cbranch_execz .LBB59_124
.LBB59_123:
	v_bfe_u32 v10, v17, 24, 3
	v_ffbh_u32_e32 v15, v10
	v_min_u32_e32 v15, 32, v15
	v_lshrrev_b32_e32 v12, 27, v17
	v_subrev_u32_e32 v16, 28, v15
	v_and_b32_e32 v12, 15, v12
	v_lshlrev_b32_sdwa v16, v16, v17 dst_sel:DWORD dst_unused:UNUSED_PAD src0_sel:DWORD src1_sel:BYTE_3
	v_bfe_u32 v14, v17, 27, 4
	v_sub_u32_e32 v15, 29, v15
	v_and_b32_e32 v16, 7, v16
	v_cmp_eq_u16_e32 vcc, 0, v12
	v_cndmask_b32_e32 v10, v10, v16, vcc
	v_cndmask_b32_e32 v12, v14, v15, vcc
	v_mov_b32_e32 v14, 0x3b800000
	v_and_b32_e32 v11, 0x80000000, v17
	v_lshlrev_b32_e32 v10, 20, v10
	v_lshl_add_u32 v12, v12, 23, v14
	v_or3_b32 v10, v11, v12, v10
.LBB59_124:
	s_or_b64 exec, exec, s[6:7]
	s_movk_i32 s4, 0x7f
	v_cmp_gt_i16_sdwa s[6:7], v13, s4 src0_sel:BYTE_3 src1_sel:DWORD
	s_mov_b64 s[4:5], 0
                                        ; implicit-def: $sgpr10
	s_and_saveexec_b64 s[8:9], s[6:7]
	s_xor_b64 s[6:7], exec, s[8:9]
	s_cbranch_execnz .LBB59_2173
; %bb.125:
	s_or_saveexec_b64 s[6:7], s[6:7]
	v_mov_b32_e32 v11, s10
	s_xor_b64 exec, exec, s[6:7]
	s_cbranch_execnz .LBB59_2176
.LBB59_126:
	s_or_b64 exec, exec, s[6:7]
	s_and_saveexec_b64 s[6:7], s[4:5]
	s_cbranch_execz .LBB59_128
.LBB59_127:
	v_bfe_u32 v11, v13, 24, 3
	v_ffbh_u32_e32 v16, v11
	v_min_u32_e32 v16, 32, v16
	v_lshrrev_b32_e32 v14, 27, v13
	v_subrev_u32_e32 v17, 28, v16
	v_and_b32_e32 v12, 0x80000000, v13
	v_and_b32_e32 v14, 15, v14
	v_bfe_u32 v15, v13, 27, 4
	v_lshlrev_b32_sdwa v13, v17, v13 dst_sel:DWORD dst_unused:UNUSED_PAD src0_sel:DWORD src1_sel:BYTE_3
	v_sub_u32_e32 v16, 29, v16
	v_and_b32_e32 v13, 7, v13
	v_cmp_eq_u16_e32 vcc, 0, v14
	v_cndmask_b32_e32 v11, v11, v13, vcc
	v_cndmask_b32_e32 v13, v15, v16, vcc
	v_mov_b32_e32 v14, 0x3b800000
	v_lshlrev_b32_e32 v11, 20, v11
	v_lshl_add_u32 v13, v13, 23, v14
	v_or3_b32 v11, v12, v13, v11
.LBB59_128:
	s_or_b64 exec, exec, s[6:7]
	s_nop 0
	v_mfma_f32_16x16x4f32 a[0:3], v10, v11, a[0:3]
	s_movk_i32 s4, 0x7f
	v_cmp_gt_i16_sdwa s[6:7], v6, s4 src0_sel:BYTE_0 src1_sel:DWORD
	s_mov_b64 s[4:5], 0
                                        ; implicit-def: $sgpr10
	s_and_saveexec_b64 s[8:9], s[6:7]
	s_xor_b64 s[6:7], exec, s[8:9]
	s_cbranch_execnz .LBB59_2177
; %bb.129:
	s_or_saveexec_b64 s[6:7], s[6:7]
	v_mov_b32_e32 v10, s10
	s_xor_b64 exec, exec, s[6:7]
	s_cbranch_execnz .LBB59_2180
.LBB59_130:
	s_or_b64 exec, exec, s[6:7]
	s_and_saveexec_b64 s[6:7], s[4:5]
	s_cbranch_execz .LBB59_132
.LBB59_131:
	v_and_b32_e32 v10, 7, v6
	v_ffbh_u32_e32 v12, v10
	v_min_u32_e32 v12, 32, v12
	v_lshrrev_b16_e32 v11, 3, v6
	v_subrev_u32_e32 v13, 28, v12
	v_and_b32_e32 v11, 15, v11
	v_lshlrev_b32_e32 v13, v13, v6
	v_sub_u32_e32 v12, 29, v12
	v_and_b32_e32 v13, 7, v13
	v_cmp_eq_u16_e32 vcc, 0, v11
	v_cndmask_b32_e32 v10, v10, v13, vcc
	v_cndmask_b32_e32 v11, v11, v12, vcc
	v_lshlrev_b32_e32 v12, 24, v6
	v_mov_b32_e32 v13, 0x3b800000
	v_lshlrev_b32_e32 v10, 20, v10
	v_and_b32_e32 v12, 0x80000000, v12
	v_lshl_add_u32 v11, v11, 23, v13
	v_or3_b32 v10, v12, v11, v10
.LBB59_132:
	s_or_b64 exec, exec, s[6:7]
	s_movk_i32 s4, 0x7f
	v_cmp_gt_i16_sdwa s[6:7], v2, s4 src0_sel:BYTE_0 src1_sel:DWORD
	s_mov_b64 s[4:5], 0
                                        ; implicit-def: $sgpr10
	s_and_saveexec_b64 s[8:9], s[6:7]
	s_xor_b64 s[6:7], exec, s[8:9]
	s_cbranch_execnz .LBB59_2181
; %bb.133:
	s_or_saveexec_b64 s[6:7], s[6:7]
	v_mov_b32_e32 v11, s10
	s_xor_b64 exec, exec, s[6:7]
	s_cbranch_execnz .LBB59_2184
.LBB59_134:
	s_or_b64 exec, exec, s[6:7]
	s_and_saveexec_b64 s[6:7], s[4:5]
	s_cbranch_execz .LBB59_136
.LBB59_135:
	v_and_b32_e32 v11, 7, v2
	v_ffbh_u32_e32 v13, v11
	v_min_u32_e32 v13, 32, v13
	v_lshrrev_b16_e32 v12, 3, v2
	v_subrev_u32_e32 v14, 28, v13
	v_and_b32_e32 v12, 15, v12
	v_lshlrev_b32_e32 v14, v14, v2
	v_sub_u32_e32 v13, 29, v13
	v_and_b32_e32 v14, 7, v14
	v_cmp_eq_u16_e32 vcc, 0, v12
	v_cndmask_b32_e32 v11, v11, v14, vcc
	v_cndmask_b32_e32 v12, v12, v13, vcc
	v_lshlrev_b32_e32 v13, 24, v2
	v_mov_b32_e32 v14, 0x3b800000
	v_lshlrev_b32_e32 v11, 20, v11
	v_and_b32_e32 v13, 0x80000000, v13
	v_lshl_add_u32 v12, v12, 23, v14
	v_or3_b32 v11, v13, v12, v11
.LBB59_136:
	s_or_b64 exec, exec, s[6:7]
	s_nop 0
	v_mfma_f32_16x16x4f32 a[0:3], v10, v11, a[0:3]
	v_lshrrev_b32_e32 v11, 8, v6
	s_movk_i32 s4, 0x7f
	v_cmp_gt_i16_sdwa s[6:7], v11, s4 src0_sel:BYTE_0 src1_sel:DWORD
	s_mov_b64 s[4:5], 0
                                        ; implicit-def: $sgpr10
	s_and_saveexec_b64 s[8:9], s[6:7]
	s_xor_b64 s[6:7], exec, s[8:9]
	s_cbranch_execnz .LBB59_2185
; %bb.137:
	s_or_saveexec_b64 s[6:7], s[6:7]
	v_mov_b32_e32 v10, s10
	s_xor_b64 exec, exec, s[6:7]
	s_cbranch_execnz .LBB59_2188
.LBB59_138:
	s_or_b64 exec, exec, s[6:7]
	s_and_saveexec_b64 s[6:7], s[4:5]
	s_cbranch_execz .LBB59_140
.LBB59_139:
	v_bfe_u32 v10, v6, 8, 3
	v_ffbh_u32_e32 v13, v10
	v_min_u32_e32 v13, 32, v13
	v_lshrrev_b16_e32 v12, 3, v11
	v_subrev_u32_e32 v14, 28, v13
	v_and_b32_e32 v12, 15, v12
	v_lshlrev_b32_e32 v11, v14, v11
	v_sub_u32_e32 v13, 29, v13
	v_and_b32_e32 v11, 7, v11
	v_cmp_eq_u16_e32 vcc, 0, v12
	v_cndmask_b32_e32 v10, v10, v11, vcc
	v_cndmask_b32_e32 v11, v12, v13, vcc
	v_lshlrev_b32_e32 v12, 16, v6
	v_mov_b32_e32 v13, 0x3b800000
	v_lshlrev_b32_e32 v10, 20, v10
	v_and_b32_e32 v12, 0x80000000, v12
	v_lshl_add_u32 v11, v11, 23, v13
	v_or3_b32 v10, v12, v11, v10
.LBB59_140:
	s_or_b64 exec, exec, s[6:7]
	v_lshrrev_b32_e32 v11, 8, v2
	s_movk_i32 s4, 0x7f
	v_cmp_gt_i16_sdwa s[6:7], v11, s4 src0_sel:BYTE_0 src1_sel:DWORD
	s_mov_b64 s[4:5], 0
                                        ; implicit-def: $sgpr10
	s_and_saveexec_b64 s[8:9], s[6:7]
	s_xor_b64 s[6:7], exec, s[8:9]
	s_cbranch_execnz .LBB59_2189
; %bb.141:
	s_or_saveexec_b64 s[6:7], s[6:7]
	v_mov_b32_e32 v12, s10
	s_xor_b64 exec, exec, s[6:7]
	s_cbranch_execnz .LBB59_2192
.LBB59_142:
	s_or_b64 exec, exec, s[6:7]
	s_and_saveexec_b64 s[6:7], s[4:5]
	s_cbranch_execz .LBB59_144
.LBB59_143:
	v_bfe_u32 v12, v2, 8, 3
	v_ffbh_u32_e32 v14, v12
	v_min_u32_e32 v14, 32, v14
	v_lshrrev_b16_e32 v13, 3, v11
	v_subrev_u32_e32 v15, 28, v14
	v_and_b32_e32 v13, 15, v13
	v_lshlrev_b32_e32 v11, v15, v11
	v_sub_u32_e32 v14, 29, v14
	v_and_b32_e32 v11, 7, v11
	v_cmp_eq_u16_e32 vcc, 0, v13
	v_cndmask_b32_e32 v11, v12, v11, vcc
	v_cndmask_b32_e32 v12, v13, v14, vcc
	v_lshlrev_b32_e32 v13, 16, v2
	v_mov_b32_e32 v14, 0x3b800000
	v_lshlrev_b32_e32 v11, 20, v11
	v_and_b32_e32 v13, 0x80000000, v13
	v_lshl_add_u32 v12, v12, 23, v14
	v_or3_b32 v12, v13, v12, v11
.LBB59_144:
	s_or_b64 exec, exec, s[6:7]
	s_nop 0
	v_mfma_f32_16x16x4f32 a[0:3], v10, v12, a[0:3]
	s_movk_i32 s4, 0xff
	v_and_b32_sdwa v11, v6, s4 dst_sel:DWORD dst_unused:UNUSED_PAD src0_sel:WORD_1 src1_sel:DWORD
	s_movk_i32 s4, 0x7f
	v_cmp_lt_i16_e32 vcc, s4, v11
	s_mov_b64 s[4:5], 0
                                        ; implicit-def: $sgpr10
	s_and_saveexec_b64 s[6:7], vcc
	s_xor_b64 s[6:7], exec, s[6:7]
	s_cbranch_execnz .LBB59_2193
; %bb.145:
	s_or_saveexec_b64 s[6:7], s[6:7]
	v_mov_b32_e32 v10, s10
	s_xor_b64 exec, exec, s[6:7]
	s_cbranch_execnz .LBB59_2196
.LBB59_146:
	s_or_b64 exec, exec, s[6:7]
	s_and_saveexec_b64 s[6:7], s[4:5]
	s_cbranch_execz .LBB59_148
.LBB59_147:
	v_bfe_u32 v10, v6, 16, 3
	v_ffbh_u32_e32 v13, v10
	v_min_u32_e32 v13, 32, v13
	v_lshrrev_b32_e32 v11, 19, v6
	v_subrev_u32_e32 v14, 28, v13
	v_and_b32_e32 v11, 15, v11
	v_lshlrev_b32_sdwa v14, v14, v6 dst_sel:DWORD dst_unused:UNUSED_PAD src0_sel:DWORD src1_sel:WORD_1
	v_bfe_u32 v12, v6, 19, 4
	v_sub_u32_e32 v13, 29, v13
	v_and_b32_e32 v14, 7, v14
	v_cmp_eq_u16_e32 vcc, 0, v11
	v_cndmask_b32_e32 v10, v10, v14, vcc
	v_cndmask_b32_e32 v11, v12, v13, vcc
	v_lshlrev_b32_e32 v12, 8, v6
	v_mov_b32_e32 v13, 0x3b800000
	v_lshlrev_b32_e32 v10, 20, v10
	v_and_b32_e32 v12, 0x80000000, v12
	v_lshl_add_u32 v11, v11, 23, v13
	v_or3_b32 v10, v12, v11, v10
.LBB59_148:
	s_or_b64 exec, exec, s[6:7]
	s_movk_i32 s4, 0xff
	v_and_b32_sdwa v11, v2, s4 dst_sel:DWORD dst_unused:UNUSED_PAD src0_sel:WORD_1 src1_sel:DWORD
	s_movk_i32 s4, 0x7f
	v_cmp_lt_i16_e32 vcc, s4, v11
	s_mov_b64 s[4:5], 0
                                        ; implicit-def: $sgpr10
	s_and_saveexec_b64 s[6:7], vcc
	s_xor_b64 s[6:7], exec, s[6:7]
	s_cbranch_execnz .LBB59_2197
; %bb.149:
	s_or_saveexec_b64 s[6:7], s[6:7]
	v_mov_b32_e32 v12, s10
	s_xor_b64 exec, exec, s[6:7]
	s_cbranch_execnz .LBB59_2200
.LBB59_150:
	s_or_b64 exec, exec, s[6:7]
	s_and_saveexec_b64 s[6:7], s[4:5]
	s_cbranch_execz .LBB59_152
.LBB59_151:
	v_bfe_u32 v11, v2, 16, 3
	v_ffbh_u32_e32 v14, v11
	v_min_u32_e32 v14, 32, v14
	v_lshrrev_b32_e32 v12, 19, v2
	v_subrev_u32_e32 v15, 28, v14
	v_and_b32_e32 v12, 15, v12
	v_lshlrev_b32_sdwa v15, v15, v2 dst_sel:DWORD dst_unused:UNUSED_PAD src0_sel:DWORD src1_sel:WORD_1
	v_bfe_u32 v13, v2, 19, 4
	v_sub_u32_e32 v14, 29, v14
	v_and_b32_e32 v15, 7, v15
	v_cmp_eq_u16_e32 vcc, 0, v12
	v_cndmask_b32_e32 v11, v11, v15, vcc
	v_cndmask_b32_e32 v12, v13, v14, vcc
	v_lshlrev_b32_e32 v13, 8, v2
	v_mov_b32_e32 v14, 0x3b800000
	v_lshlrev_b32_e32 v11, 20, v11
	v_and_b32_e32 v13, 0x80000000, v13
	v_lshl_add_u32 v12, v12, 23, v14
	v_or3_b32 v12, v13, v12, v11
.LBB59_152:
	s_or_b64 exec, exec, s[6:7]
	s_nop 0
	v_mfma_f32_16x16x4f32 a[0:3], v10, v12, a[0:3]
	s_movk_i32 s4, 0x7f
	v_cmp_gt_i16_sdwa s[6:7], v6, s4 src0_sel:BYTE_3 src1_sel:DWORD
	s_mov_b64 s[4:5], 0
                                        ; implicit-def: $sgpr10
	s_and_saveexec_b64 s[8:9], s[6:7]
	s_xor_b64 s[6:7], exec, s[8:9]
	s_cbranch_execnz .LBB59_2201
; %bb.153:
	s_or_saveexec_b64 s[6:7], s[6:7]
	v_mov_b32_e32 v10, s10
	s_xor_b64 exec, exec, s[6:7]
	s_cbranch_execnz .LBB59_2204
.LBB59_154:
	s_or_b64 exec, exec, s[6:7]
	s_and_saveexec_b64 s[6:7], s[4:5]
	s_cbranch_execz .LBB59_156
.LBB59_155:
	v_bfe_u32 v10, v6, 24, 3
	v_ffbh_u32_e32 v14, v10
	v_min_u32_e32 v14, 32, v14
	v_lshrrev_b32_e32 v12, 27, v6
	v_subrev_u32_e32 v15, 28, v14
	v_and_b32_e32 v11, 0x80000000, v6
	v_and_b32_e32 v12, 15, v12
	v_bfe_u32 v13, v6, 27, 4
	v_lshlrev_b32_sdwa v6, v15, v6 dst_sel:DWORD dst_unused:UNUSED_PAD src0_sel:DWORD src1_sel:BYTE_3
	v_sub_u32_e32 v14, 29, v14
	v_and_b32_e32 v6, 7, v6
	v_cmp_eq_u16_e32 vcc, 0, v12
	v_cndmask_b32_e32 v6, v10, v6, vcc
	v_cndmask_b32_e32 v10, v13, v14, vcc
	v_mov_b32_e32 v12, 0x3b800000
	v_lshlrev_b32_e32 v6, 20, v6
	v_lshl_add_u32 v10, v10, 23, v12
	v_or3_b32 v10, v11, v10, v6
.LBB59_156:
	s_or_b64 exec, exec, s[6:7]
	s_movk_i32 s4, 0x7f
	v_cmp_gt_i16_sdwa s[6:7], v2, s4 src0_sel:BYTE_3 src1_sel:DWORD
	s_mov_b64 s[4:5], 0
                                        ; implicit-def: $sgpr10
	s_and_saveexec_b64 s[8:9], s[6:7]
	s_xor_b64 s[6:7], exec, s[8:9]
	s_cbranch_execnz .LBB59_2205
; %bb.157:
	s_or_saveexec_b64 s[6:7], s[6:7]
	v_mov_b32_e32 v6, s10
	s_xor_b64 exec, exec, s[6:7]
	s_cbranch_execnz .LBB59_2208
.LBB59_158:
	s_or_b64 exec, exec, s[6:7]
	s_and_saveexec_b64 s[6:7], s[4:5]
	s_cbranch_execz .LBB59_160
.LBB59_159:
	v_bfe_u32 v6, v2, 24, 3
	v_ffbh_u32_e32 v14, v6
	v_min_u32_e32 v14, 32, v14
	v_lshrrev_b32_e32 v12, 27, v2
	v_subrev_u32_e32 v15, 28, v14
	v_and_b32_e32 v11, 0x80000000, v2
	v_and_b32_e32 v12, 15, v12
	v_bfe_u32 v13, v2, 27, 4
	v_lshlrev_b32_sdwa v2, v15, v2 dst_sel:DWORD dst_unused:UNUSED_PAD src0_sel:DWORD src1_sel:BYTE_3
	v_sub_u32_e32 v14, 29, v14
	v_and_b32_e32 v2, 7, v2
	v_cmp_eq_u16_e32 vcc, 0, v12
	v_cndmask_b32_e32 v2, v6, v2, vcc
	v_cndmask_b32_e32 v6, v13, v14, vcc
	v_mov_b32_e32 v12, 0x3b800000
	v_lshlrev_b32_e32 v2, 20, v2
	v_lshl_add_u32 v6, v6, 23, v12
	v_or3_b32 v6, v11, v6, v2
.LBB59_160:
	s_or_b64 exec, exec, s[6:7]
	s_nop 0
	v_mfma_f32_16x16x4f32 a[0:3], v10, v6, a[0:3]
	s_movk_i32 s4, 0x7f
	v_cmp_gt_i16_sdwa s[6:7], v7, s4 src0_sel:BYTE_0 src1_sel:DWORD
	s_mov_b64 s[4:5], 0
                                        ; implicit-def: $sgpr10
	s_and_saveexec_b64 s[8:9], s[6:7]
	s_xor_b64 s[6:7], exec, s[8:9]
	s_cbranch_execnz .LBB59_2209
; %bb.161:
	s_or_saveexec_b64 s[6:7], s[6:7]
	v_mov_b32_e32 v2, s10
	s_xor_b64 exec, exec, s[6:7]
	s_cbranch_execnz .LBB59_2212
.LBB59_162:
	s_or_b64 exec, exec, s[6:7]
	s_and_saveexec_b64 s[6:7], s[4:5]
	s_cbranch_execz .LBB59_164
.LBB59_163:
	v_and_b32_e32 v2, 7, v7
	v_ffbh_u32_e32 v10, v2
	v_min_u32_e32 v10, 32, v10
	v_lshrrev_b16_e32 v6, 3, v7
	v_subrev_u32_e32 v11, 28, v10
	v_and_b32_e32 v6, 15, v6
	v_lshlrev_b32_e32 v11, v11, v7
	v_sub_u32_e32 v10, 29, v10
	v_and_b32_e32 v11, 7, v11
	v_cmp_eq_u16_e32 vcc, 0, v6
	v_cndmask_b32_e32 v2, v2, v11, vcc
	v_cndmask_b32_e32 v6, v6, v10, vcc
	v_lshlrev_b32_e32 v10, 24, v7
	v_mov_b32_e32 v11, 0x3b800000
	v_lshlrev_b32_e32 v2, 20, v2
	v_and_b32_e32 v10, 0x80000000, v10
	v_lshl_add_u32 v6, v6, 23, v11
	v_or3_b32 v2, v10, v6, v2
.LBB59_164:
	s_or_b64 exec, exec, s[6:7]
	s_movk_i32 s4, 0x7f
	v_cmp_gt_i16_sdwa s[6:7], v3, s4 src0_sel:BYTE_0 src1_sel:DWORD
	s_mov_b64 s[4:5], 0
                                        ; implicit-def: $sgpr10
	s_and_saveexec_b64 s[8:9], s[6:7]
	s_xor_b64 s[6:7], exec, s[8:9]
	s_cbranch_execnz .LBB59_2213
; %bb.165:
	s_or_saveexec_b64 s[6:7], s[6:7]
	v_mov_b32_e32 v6, s10
	s_xor_b64 exec, exec, s[6:7]
	s_cbranch_execnz .LBB59_2216
.LBB59_166:
	s_or_b64 exec, exec, s[6:7]
	s_and_saveexec_b64 s[6:7], s[4:5]
	s_cbranch_execz .LBB59_168
.LBB59_167:
	v_and_b32_e32 v6, 7, v3
	v_ffbh_u32_e32 v11, v6
	v_min_u32_e32 v11, 32, v11
	v_lshrrev_b16_e32 v10, 3, v3
	v_subrev_u32_e32 v12, 28, v11
	v_and_b32_e32 v10, 15, v10
	v_lshlrev_b32_e32 v12, v12, v3
	v_sub_u32_e32 v11, 29, v11
	v_and_b32_e32 v12, 7, v12
	v_cmp_eq_u16_e32 vcc, 0, v10
	v_cndmask_b32_e32 v6, v6, v12, vcc
	v_cndmask_b32_e32 v10, v10, v11, vcc
	v_lshlrev_b32_e32 v11, 24, v3
	v_mov_b32_e32 v12, 0x3b800000
	v_lshlrev_b32_e32 v6, 20, v6
	v_and_b32_e32 v11, 0x80000000, v11
	v_lshl_add_u32 v10, v10, 23, v12
	v_or3_b32 v6, v11, v10, v6
.LBB59_168:
	s_or_b64 exec, exec, s[6:7]
	s_nop 0
	v_mfma_f32_16x16x4f32 a[0:3], v2, v6, a[0:3]
	v_lshrrev_b32_e32 v6, 8, v7
	s_movk_i32 s4, 0x7f
	v_cmp_gt_i16_sdwa s[6:7], v6, s4 src0_sel:BYTE_0 src1_sel:DWORD
	s_mov_b64 s[4:5], 0
                                        ; implicit-def: $sgpr10
	s_and_saveexec_b64 s[8:9], s[6:7]
	s_xor_b64 s[6:7], exec, s[8:9]
	s_cbranch_execnz .LBB59_2217
; %bb.169:
	s_or_saveexec_b64 s[6:7], s[6:7]
	v_mov_b32_e32 v2, s10
	s_xor_b64 exec, exec, s[6:7]
	s_cbranch_execnz .LBB59_2220
.LBB59_170:
	s_or_b64 exec, exec, s[6:7]
	s_and_saveexec_b64 s[6:7], s[4:5]
	s_cbranch_execz .LBB59_172
.LBB59_171:
	v_bfe_u32 v2, v7, 8, 3
	v_ffbh_u32_e32 v11, v2
	v_min_u32_e32 v11, 32, v11
	v_lshrrev_b16_e32 v10, 3, v6
	v_subrev_u32_e32 v12, 28, v11
	v_and_b32_e32 v10, 15, v10
	v_lshlrev_b32_e32 v6, v12, v6
	v_sub_u32_e32 v11, 29, v11
	v_and_b32_e32 v6, 7, v6
	v_cmp_eq_u16_e32 vcc, 0, v10
	v_cndmask_b32_e32 v2, v2, v6, vcc
	v_cndmask_b32_e32 v6, v10, v11, vcc
	v_lshlrev_b32_e32 v10, 16, v7
	v_mov_b32_e32 v11, 0x3b800000
	v_lshlrev_b32_e32 v2, 20, v2
	v_and_b32_e32 v10, 0x80000000, v10
	v_lshl_add_u32 v6, v6, 23, v11
	v_or3_b32 v2, v10, v6, v2
.LBB59_172:
	s_or_b64 exec, exec, s[6:7]
	v_lshrrev_b32_e32 v6, 8, v3
	s_movk_i32 s4, 0x7f
	v_cmp_gt_i16_sdwa s[6:7], v6, s4 src0_sel:BYTE_0 src1_sel:DWORD
	s_mov_b64 s[4:5], 0
                                        ; implicit-def: $sgpr10
	s_and_saveexec_b64 s[8:9], s[6:7]
	s_xor_b64 s[6:7], exec, s[8:9]
	s_cbranch_execnz .LBB59_2221
; %bb.173:
	s_or_saveexec_b64 s[6:7], s[6:7]
	v_mov_b32_e32 v10, s10
	s_xor_b64 exec, exec, s[6:7]
	s_cbranch_execnz .LBB59_2224
.LBB59_174:
	s_or_b64 exec, exec, s[6:7]
	s_and_saveexec_b64 s[6:7], s[4:5]
	s_cbranch_execz .LBB59_176
.LBB59_175:
	v_bfe_u32 v10, v3, 8, 3
	v_ffbh_u32_e32 v12, v10
	v_min_u32_e32 v12, 32, v12
	v_lshrrev_b16_e32 v11, 3, v6
	v_subrev_u32_e32 v13, 28, v12
	v_and_b32_e32 v11, 15, v11
	v_lshlrev_b32_e32 v6, v13, v6
	v_sub_u32_e32 v12, 29, v12
	v_and_b32_e32 v6, 7, v6
	v_cmp_eq_u16_e32 vcc, 0, v11
	v_cndmask_b32_e32 v6, v10, v6, vcc
	v_cndmask_b32_e32 v10, v11, v12, vcc
	v_lshlrev_b32_e32 v11, 16, v3
	v_mov_b32_e32 v12, 0x3b800000
	v_lshlrev_b32_e32 v6, 20, v6
	v_and_b32_e32 v11, 0x80000000, v11
	v_lshl_add_u32 v10, v10, 23, v12
	v_or3_b32 v10, v11, v10, v6
.LBB59_176:
	s_or_b64 exec, exec, s[6:7]
	s_nop 0
	v_mfma_f32_16x16x4f32 a[0:3], v2, v10, a[0:3]
	s_movk_i32 s4, 0xff
	v_and_b32_sdwa v6, v7, s4 dst_sel:DWORD dst_unused:UNUSED_PAD src0_sel:WORD_1 src1_sel:DWORD
	s_movk_i32 s4, 0x7f
	v_cmp_lt_i16_e32 vcc, s4, v6
	s_mov_b64 s[4:5], 0
                                        ; implicit-def: $sgpr10
	s_and_saveexec_b64 s[6:7], vcc
	s_xor_b64 s[6:7], exec, s[6:7]
	s_cbranch_execnz .LBB59_2225
; %bb.177:
	s_or_saveexec_b64 s[6:7], s[6:7]
	v_mov_b32_e32 v2, s10
	s_xor_b64 exec, exec, s[6:7]
	s_cbranch_execnz .LBB59_2228
.LBB59_178:
	s_or_b64 exec, exec, s[6:7]
	s_and_saveexec_b64 s[6:7], s[4:5]
	s_cbranch_execz .LBB59_180
.LBB59_179:
	v_bfe_u32 v2, v7, 16, 3
	v_ffbh_u32_e32 v11, v2
	v_min_u32_e32 v11, 32, v11
	v_lshrrev_b32_e32 v6, 19, v7
	v_subrev_u32_e32 v12, 28, v11
	v_and_b32_e32 v6, 15, v6
	v_lshlrev_b32_sdwa v12, v12, v7 dst_sel:DWORD dst_unused:UNUSED_PAD src0_sel:DWORD src1_sel:WORD_1
	v_bfe_u32 v10, v7, 19, 4
	v_sub_u32_e32 v11, 29, v11
	v_and_b32_e32 v12, 7, v12
	v_cmp_eq_u16_e32 vcc, 0, v6
	v_cndmask_b32_e32 v2, v2, v12, vcc
	v_cndmask_b32_e32 v6, v10, v11, vcc
	v_lshlrev_b32_e32 v10, 8, v7
	v_mov_b32_e32 v11, 0x3b800000
	v_lshlrev_b32_e32 v2, 20, v2
	v_and_b32_e32 v10, 0x80000000, v10
	v_lshl_add_u32 v6, v6, 23, v11
	v_or3_b32 v2, v10, v6, v2
.LBB59_180:
	s_or_b64 exec, exec, s[6:7]
	s_movk_i32 s4, 0xff
	v_and_b32_sdwa v6, v3, s4 dst_sel:DWORD dst_unused:UNUSED_PAD src0_sel:WORD_1 src1_sel:DWORD
	s_movk_i32 s4, 0x7f
	v_cmp_lt_i16_e32 vcc, s4, v6
	s_mov_b64 s[4:5], 0
                                        ; implicit-def: $sgpr10
	s_and_saveexec_b64 s[6:7], vcc
	s_xor_b64 s[6:7], exec, s[6:7]
	s_cbranch_execnz .LBB59_2229
; %bb.181:
	s_or_saveexec_b64 s[6:7], s[6:7]
	v_mov_b32_e32 v10, s10
	s_xor_b64 exec, exec, s[6:7]
	s_cbranch_execnz .LBB59_2232
.LBB59_182:
	s_or_b64 exec, exec, s[6:7]
	s_and_saveexec_b64 s[6:7], s[4:5]
	s_cbranch_execz .LBB59_184
.LBB59_183:
	v_bfe_u32 v6, v3, 16, 3
	v_ffbh_u32_e32 v12, v6
	v_min_u32_e32 v12, 32, v12
	v_lshrrev_b32_e32 v10, 19, v3
	v_subrev_u32_e32 v13, 28, v12
	v_and_b32_e32 v10, 15, v10
	v_lshlrev_b32_sdwa v13, v13, v3 dst_sel:DWORD dst_unused:UNUSED_PAD src0_sel:DWORD src1_sel:WORD_1
	v_bfe_u32 v11, v3, 19, 4
	v_sub_u32_e32 v12, 29, v12
	v_and_b32_e32 v13, 7, v13
	v_cmp_eq_u16_e32 vcc, 0, v10
	v_cndmask_b32_e32 v6, v6, v13, vcc
	v_cndmask_b32_e32 v10, v11, v12, vcc
	v_lshlrev_b32_e32 v11, 8, v3
	v_mov_b32_e32 v12, 0x3b800000
	v_lshlrev_b32_e32 v6, 20, v6
	v_and_b32_e32 v11, 0x80000000, v11
	v_lshl_add_u32 v10, v10, 23, v12
	v_or3_b32 v10, v11, v10, v6
.LBB59_184:
	s_or_b64 exec, exec, s[6:7]
	s_nop 0
	v_mfma_f32_16x16x4f32 a[0:3], v2, v10, a[0:3]
	s_movk_i32 s4, 0x7f
	v_cmp_gt_i16_sdwa s[6:7], v7, s4 src0_sel:BYTE_3 src1_sel:DWORD
	s_mov_b64 s[4:5], 0
                                        ; implicit-def: $sgpr10
	s_and_saveexec_b64 s[8:9], s[6:7]
	s_xor_b64 s[6:7], exec, s[8:9]
	s_cbranch_execnz .LBB59_2233
; %bb.185:
	s_or_saveexec_b64 s[6:7], s[6:7]
	v_mov_b32_e32 v2, s10
	s_xor_b64 exec, exec, s[6:7]
	s_cbranch_execnz .LBB59_2236
.LBB59_186:
	s_or_b64 exec, exec, s[6:7]
	s_and_saveexec_b64 s[6:7], s[4:5]
	s_cbranch_execz .LBB59_188
.LBB59_187:
	v_bfe_u32 v2, v7, 24, 3
	v_ffbh_u32_e32 v12, v2
	v_min_u32_e32 v12, 32, v12
	v_lshrrev_b32_e32 v10, 27, v7
	v_subrev_u32_e32 v13, 28, v12
	v_and_b32_e32 v6, 0x80000000, v7
	v_and_b32_e32 v10, 15, v10
	v_bfe_u32 v11, v7, 27, 4
	v_lshlrev_b32_sdwa v7, v13, v7 dst_sel:DWORD dst_unused:UNUSED_PAD src0_sel:DWORD src1_sel:BYTE_3
	v_sub_u32_e32 v12, 29, v12
	v_and_b32_e32 v7, 7, v7
	v_cmp_eq_u16_e32 vcc, 0, v10
	v_cndmask_b32_e32 v2, v2, v7, vcc
	v_cndmask_b32_e32 v7, v11, v12, vcc
	v_mov_b32_e32 v10, 0x3b800000
	v_lshlrev_b32_e32 v2, 20, v2
	v_lshl_add_u32 v7, v7, 23, v10
	v_or3_b32 v2, v6, v7, v2
.LBB59_188:
	s_or_b64 exec, exec, s[6:7]
	s_movk_i32 s4, 0x7f
	v_cmp_gt_i16_sdwa s[6:7], v3, s4 src0_sel:BYTE_3 src1_sel:DWORD
	s_mov_b64 s[4:5], 0
                                        ; implicit-def: $sgpr10
	s_and_saveexec_b64 s[8:9], s[6:7]
	s_xor_b64 s[6:7], exec, s[8:9]
	s_cbranch_execnz .LBB59_2237
; %bb.189:
	s_or_saveexec_b64 s[6:7], s[6:7]
	v_mov_b32_e32 v6, s10
	s_xor_b64 exec, exec, s[6:7]
	s_cbranch_execnz .LBB59_2240
.LBB59_190:
	s_or_b64 exec, exec, s[6:7]
	s_and_saveexec_b64 s[6:7], s[4:5]
	s_cbranch_execz .LBB59_192
.LBB59_191:
	v_bfe_u32 v6, v3, 24, 3
	v_ffbh_u32_e32 v12, v6
	v_min_u32_e32 v12, 32, v12
	v_lshrrev_b32_e32 v10, 27, v3
	v_subrev_u32_e32 v13, 28, v12
	v_and_b32_e32 v7, 0x80000000, v3
	v_and_b32_e32 v10, 15, v10
	v_bfe_u32 v11, v3, 27, 4
	v_lshlrev_b32_sdwa v3, v13, v3 dst_sel:DWORD dst_unused:UNUSED_PAD src0_sel:DWORD src1_sel:BYTE_3
	v_sub_u32_e32 v12, 29, v12
	v_and_b32_e32 v3, 7, v3
	v_cmp_eq_u16_e32 vcc, 0, v10
	v_cndmask_b32_e32 v3, v6, v3, vcc
	v_cndmask_b32_e32 v6, v11, v12, vcc
	v_mov_b32_e32 v10, 0x3b800000
	v_lshlrev_b32_e32 v3, 20, v3
	v_lshl_add_u32 v6, v6, 23, v10
	v_or3_b32 v6, v7, v6, v3
.LBB59_192:
	s_or_b64 exec, exec, s[6:7]
	s_nop 0
	v_mfma_f32_16x16x4f32 a[0:3], v2, v6, a[0:3]
	s_movk_i32 s4, 0x7f
	v_cmp_gt_i16_sdwa s[6:7], v8, s4 src0_sel:BYTE_0 src1_sel:DWORD
	s_mov_b64 s[4:5], 0
                                        ; implicit-def: $sgpr10
	s_and_saveexec_b64 s[8:9], s[6:7]
	s_xor_b64 s[6:7], exec, s[8:9]
	s_cbranch_execnz .LBB59_2241
; %bb.193:
	s_or_saveexec_b64 s[6:7], s[6:7]
	v_mov_b32_e32 v2, s10
	s_xor_b64 exec, exec, s[6:7]
	s_cbranch_execnz .LBB59_2244
.LBB59_194:
	s_or_b64 exec, exec, s[6:7]
	s_and_saveexec_b64 s[6:7], s[4:5]
	s_cbranch_execz .LBB59_196
.LBB59_195:
	v_and_b32_e32 v2, 7, v8
	v_ffbh_u32_e32 v6, v2
	v_min_u32_e32 v6, 32, v6
	v_lshrrev_b16_e32 v3, 3, v8
	v_subrev_u32_e32 v7, 28, v6
	v_and_b32_e32 v3, 15, v3
	v_lshlrev_b32_e32 v7, v7, v8
	v_sub_u32_e32 v6, 29, v6
	v_and_b32_e32 v7, 7, v7
	v_cmp_eq_u16_e32 vcc, 0, v3
	v_cndmask_b32_e32 v2, v2, v7, vcc
	v_cndmask_b32_e32 v3, v3, v6, vcc
	v_lshlrev_b32_e32 v6, 24, v8
	v_mov_b32_e32 v7, 0x3b800000
	v_lshlrev_b32_e32 v2, 20, v2
	v_and_b32_e32 v6, 0x80000000, v6
	v_lshl_add_u32 v3, v3, 23, v7
	v_or3_b32 v2, v6, v3, v2
.LBB59_196:
	s_or_b64 exec, exec, s[6:7]
	s_movk_i32 s4, 0x7f
	v_cmp_gt_i16_sdwa s[6:7], v4, s4 src0_sel:BYTE_0 src1_sel:DWORD
	s_mov_b64 s[4:5], 0
                                        ; implicit-def: $sgpr10
	s_and_saveexec_b64 s[8:9], s[6:7]
	s_xor_b64 s[6:7], exec, s[8:9]
	s_cbranch_execnz .LBB59_2245
; %bb.197:
	s_or_saveexec_b64 s[6:7], s[6:7]
	v_mov_b32_e32 v3, s10
	s_xor_b64 exec, exec, s[6:7]
	s_cbranch_execnz .LBB59_2248
.LBB59_198:
	s_or_b64 exec, exec, s[6:7]
	s_and_saveexec_b64 s[6:7], s[4:5]
	s_cbranch_execz .LBB59_200
.LBB59_199:
	v_and_b32_e32 v3, 7, v4
	v_ffbh_u32_e32 v7, v3
	v_min_u32_e32 v7, 32, v7
	v_lshrrev_b16_e32 v6, 3, v4
	v_subrev_u32_e32 v10, 28, v7
	v_and_b32_e32 v6, 15, v6
	v_lshlrev_b32_e32 v10, v10, v4
	v_sub_u32_e32 v7, 29, v7
	v_and_b32_e32 v10, 7, v10
	v_cmp_eq_u16_e32 vcc, 0, v6
	v_cndmask_b32_e32 v3, v3, v10, vcc
	v_cndmask_b32_e32 v6, v6, v7, vcc
	v_lshlrev_b32_e32 v7, 24, v4
	v_mov_b32_e32 v10, 0x3b800000
	v_lshlrev_b32_e32 v3, 20, v3
	v_and_b32_e32 v7, 0x80000000, v7
	v_lshl_add_u32 v6, v6, 23, v10
	v_or3_b32 v3, v7, v6, v3
.LBB59_200:
	s_or_b64 exec, exec, s[6:7]
	s_nop 0
	v_mfma_f32_16x16x4f32 a[0:3], v2, v3, a[0:3]
	v_lshrrev_b32_e32 v3, 8, v8
	s_movk_i32 s4, 0x7f
	v_cmp_gt_i16_sdwa s[6:7], v3, s4 src0_sel:BYTE_0 src1_sel:DWORD
	s_mov_b64 s[4:5], 0
                                        ; implicit-def: $sgpr10
	s_and_saveexec_b64 s[8:9], s[6:7]
	s_xor_b64 s[6:7], exec, s[8:9]
	s_cbranch_execnz .LBB59_2249
; %bb.201:
	s_or_saveexec_b64 s[6:7], s[6:7]
	v_mov_b32_e32 v2, s10
	s_xor_b64 exec, exec, s[6:7]
	s_cbranch_execnz .LBB59_2252
.LBB59_202:
	s_or_b64 exec, exec, s[6:7]
	s_and_saveexec_b64 s[6:7], s[4:5]
	s_cbranch_execz .LBB59_204
.LBB59_203:
	v_bfe_u32 v2, v8, 8, 3
	v_ffbh_u32_e32 v7, v2
	v_min_u32_e32 v7, 32, v7
	v_lshrrev_b16_e32 v6, 3, v3
	v_subrev_u32_e32 v10, 28, v7
	v_and_b32_e32 v6, 15, v6
	v_lshlrev_b32_e32 v3, v10, v3
	v_sub_u32_e32 v7, 29, v7
	v_and_b32_e32 v3, 7, v3
	v_cmp_eq_u16_e32 vcc, 0, v6
	v_cndmask_b32_e32 v2, v2, v3, vcc
	v_cndmask_b32_e32 v3, v6, v7, vcc
	v_lshlrev_b32_e32 v6, 16, v8
	v_mov_b32_e32 v7, 0x3b800000
	v_lshlrev_b32_e32 v2, 20, v2
	v_and_b32_e32 v6, 0x80000000, v6
	v_lshl_add_u32 v3, v3, 23, v7
	v_or3_b32 v2, v6, v3, v2
.LBB59_204:
	s_or_b64 exec, exec, s[6:7]
	v_lshrrev_b32_e32 v3, 8, v4
	s_movk_i32 s4, 0x7f
	v_cmp_gt_i16_sdwa s[6:7], v3, s4 src0_sel:BYTE_0 src1_sel:DWORD
	s_mov_b64 s[4:5], 0
                                        ; implicit-def: $sgpr10
	s_and_saveexec_b64 s[8:9], s[6:7]
	s_xor_b64 s[6:7], exec, s[8:9]
	s_cbranch_execnz .LBB59_2253
; %bb.205:
	s_or_saveexec_b64 s[6:7], s[6:7]
	v_mov_b32_e32 v6, s10
	s_xor_b64 exec, exec, s[6:7]
	s_cbranch_execnz .LBB59_2256
.LBB59_206:
	s_or_b64 exec, exec, s[6:7]
	s_and_saveexec_b64 s[6:7], s[4:5]
	s_cbranch_execz .LBB59_208
.LBB59_207:
	v_bfe_u32 v6, v4, 8, 3
	v_ffbh_u32_e32 v10, v6
	v_min_u32_e32 v10, 32, v10
	v_lshrrev_b16_e32 v7, 3, v3
	v_subrev_u32_e32 v11, 28, v10
	v_and_b32_e32 v7, 15, v7
	v_lshlrev_b32_e32 v3, v11, v3
	v_sub_u32_e32 v10, 29, v10
	v_and_b32_e32 v3, 7, v3
	v_cmp_eq_u16_e32 vcc, 0, v7
	v_cndmask_b32_e32 v3, v6, v3, vcc
	v_cndmask_b32_e32 v6, v7, v10, vcc
	v_lshlrev_b32_e32 v7, 16, v4
	v_mov_b32_e32 v10, 0x3b800000
	v_lshlrev_b32_e32 v3, 20, v3
	v_and_b32_e32 v7, 0x80000000, v7
	v_lshl_add_u32 v6, v6, 23, v10
	v_or3_b32 v6, v7, v6, v3
.LBB59_208:
	s_or_b64 exec, exec, s[6:7]
	s_nop 0
	v_mfma_f32_16x16x4f32 a[0:3], v2, v6, a[0:3]
	s_movk_i32 s4, 0xff
	v_and_b32_sdwa v3, v8, s4 dst_sel:DWORD dst_unused:UNUSED_PAD src0_sel:WORD_1 src1_sel:DWORD
	s_movk_i32 s4, 0x7f
	v_cmp_lt_i16_e32 vcc, s4, v3
	s_mov_b64 s[4:5], 0
                                        ; implicit-def: $sgpr10
	s_and_saveexec_b64 s[6:7], vcc
	s_xor_b64 s[6:7], exec, s[6:7]
	s_cbranch_execnz .LBB59_2257
; %bb.209:
	s_or_saveexec_b64 s[6:7], s[6:7]
	v_mov_b32_e32 v2, s10
	s_xor_b64 exec, exec, s[6:7]
	s_cbranch_execnz .LBB59_2260
.LBB59_210:
	s_or_b64 exec, exec, s[6:7]
	s_and_saveexec_b64 s[6:7], s[4:5]
	s_cbranch_execz .LBB59_212
.LBB59_211:
	v_bfe_u32 v2, v8, 16, 3
	v_ffbh_u32_e32 v7, v2
	v_min_u32_e32 v7, 32, v7
	v_lshrrev_b32_e32 v3, 19, v8
	v_subrev_u32_e32 v10, 28, v7
	v_and_b32_e32 v3, 15, v3
	v_lshlrev_b32_sdwa v10, v10, v8 dst_sel:DWORD dst_unused:UNUSED_PAD src0_sel:DWORD src1_sel:WORD_1
	v_bfe_u32 v6, v8, 19, 4
	v_sub_u32_e32 v7, 29, v7
	v_and_b32_e32 v10, 7, v10
	v_cmp_eq_u16_e32 vcc, 0, v3
	v_cndmask_b32_e32 v2, v2, v10, vcc
	v_cndmask_b32_e32 v3, v6, v7, vcc
	v_lshlrev_b32_e32 v6, 8, v8
	v_mov_b32_e32 v7, 0x3b800000
	v_lshlrev_b32_e32 v2, 20, v2
	v_and_b32_e32 v6, 0x80000000, v6
	v_lshl_add_u32 v3, v3, 23, v7
	v_or3_b32 v2, v6, v3, v2
.LBB59_212:
	s_or_b64 exec, exec, s[6:7]
	s_movk_i32 s4, 0xff
	v_and_b32_sdwa v3, v4, s4 dst_sel:DWORD dst_unused:UNUSED_PAD src0_sel:WORD_1 src1_sel:DWORD
	s_movk_i32 s4, 0x7f
	v_cmp_lt_i16_e32 vcc, s4, v3
	s_mov_b64 s[4:5], 0
                                        ; implicit-def: $sgpr10
	s_and_saveexec_b64 s[6:7], vcc
	s_xor_b64 s[6:7], exec, s[6:7]
	s_cbranch_execnz .LBB59_2261
; %bb.213:
	s_or_saveexec_b64 s[6:7], s[6:7]
	v_mov_b32_e32 v6, s10
	s_xor_b64 exec, exec, s[6:7]
	s_cbranch_execnz .LBB59_2264
.LBB59_214:
	s_or_b64 exec, exec, s[6:7]
	s_and_saveexec_b64 s[6:7], s[4:5]
	s_cbranch_execz .LBB59_216
.LBB59_215:
	v_bfe_u32 v3, v4, 16, 3
	v_ffbh_u32_e32 v10, v3
	v_min_u32_e32 v10, 32, v10
	v_lshrrev_b32_e32 v6, 19, v4
	v_subrev_u32_e32 v11, 28, v10
	v_and_b32_e32 v6, 15, v6
	v_lshlrev_b32_sdwa v11, v11, v4 dst_sel:DWORD dst_unused:UNUSED_PAD src0_sel:DWORD src1_sel:WORD_1
	v_bfe_u32 v7, v4, 19, 4
	v_sub_u32_e32 v10, 29, v10
	v_and_b32_e32 v11, 7, v11
	v_cmp_eq_u16_e32 vcc, 0, v6
	v_cndmask_b32_e32 v3, v3, v11, vcc
	v_cndmask_b32_e32 v6, v7, v10, vcc
	v_lshlrev_b32_e32 v7, 8, v4
	v_mov_b32_e32 v10, 0x3b800000
	v_lshlrev_b32_e32 v3, 20, v3
	v_and_b32_e32 v7, 0x80000000, v7
	v_lshl_add_u32 v6, v6, 23, v10
	v_or3_b32 v6, v7, v6, v3
.LBB59_216:
	s_or_b64 exec, exec, s[6:7]
	s_nop 0
	v_mfma_f32_16x16x4f32 a[0:3], v2, v6, a[0:3]
	s_movk_i32 s4, 0x7f
	v_cmp_gt_i16_sdwa s[6:7], v8, s4 src0_sel:BYTE_3 src1_sel:DWORD
	s_mov_b64 s[4:5], 0
                                        ; implicit-def: $sgpr10
	s_and_saveexec_b64 s[8:9], s[6:7]
	s_xor_b64 s[6:7], exec, s[8:9]
	s_cbranch_execnz .LBB59_2265
; %bb.217:
	s_or_saveexec_b64 s[6:7], s[6:7]
	v_mov_b32_e32 v2, s10
	s_xor_b64 exec, exec, s[6:7]
	s_cbranch_execnz .LBB59_2268
.LBB59_218:
	s_or_b64 exec, exec, s[6:7]
	s_and_saveexec_b64 s[6:7], s[4:5]
	s_cbranch_execz .LBB59_220
.LBB59_219:
	v_bfe_u32 v2, v8, 24, 3
	v_ffbh_u32_e32 v10, v2
	v_min_u32_e32 v10, 32, v10
	v_lshrrev_b32_e32 v6, 27, v8
	v_subrev_u32_e32 v11, 28, v10
	v_and_b32_e32 v3, 0x80000000, v8
	v_and_b32_e32 v6, 15, v6
	v_bfe_u32 v7, v8, 27, 4
	v_lshlrev_b32_sdwa v8, v11, v8 dst_sel:DWORD dst_unused:UNUSED_PAD src0_sel:DWORD src1_sel:BYTE_3
	v_sub_u32_e32 v10, 29, v10
	v_and_b32_e32 v8, 7, v8
	v_cmp_eq_u16_e32 vcc, 0, v6
	v_cndmask_b32_e32 v2, v2, v8, vcc
	v_cndmask_b32_e32 v6, v7, v10, vcc
	v_mov_b32_e32 v7, 0x3b800000
	v_lshlrev_b32_e32 v2, 20, v2
	v_lshl_add_u32 v6, v6, 23, v7
	v_or3_b32 v2, v3, v6, v2
.LBB59_220:
	s_or_b64 exec, exec, s[6:7]
	s_movk_i32 s4, 0x7f
	v_cmp_gt_i16_sdwa s[6:7], v4, s4 src0_sel:BYTE_3 src1_sel:DWORD
	s_mov_b64 s[4:5], 0
                                        ; implicit-def: $sgpr10
	s_and_saveexec_b64 s[8:9], s[6:7]
	s_xor_b64 s[6:7], exec, s[8:9]
	s_cbranch_execnz .LBB59_2269
; %bb.221:
	s_or_saveexec_b64 s[6:7], s[6:7]
	v_mov_b32_e32 v3, s10
	s_xor_b64 exec, exec, s[6:7]
	s_cbranch_execnz .LBB59_2272
.LBB59_222:
	s_or_b64 exec, exec, s[6:7]
	s_and_saveexec_b64 s[6:7], s[4:5]
	s_cbranch_execz .LBB59_224
.LBB59_223:
	v_bfe_u32 v3, v4, 24, 3
	v_ffbh_u32_e32 v10, v3
	v_min_u32_e32 v10, 32, v10
	v_lshrrev_b32_e32 v7, 27, v4
	v_subrev_u32_e32 v11, 28, v10
	v_and_b32_e32 v6, 0x80000000, v4
	v_and_b32_e32 v7, 15, v7
	v_bfe_u32 v8, v4, 27, 4
	v_lshlrev_b32_sdwa v4, v11, v4 dst_sel:DWORD dst_unused:UNUSED_PAD src0_sel:DWORD src1_sel:BYTE_3
	v_sub_u32_e32 v10, 29, v10
	v_and_b32_e32 v4, 7, v4
	v_cmp_eq_u16_e32 vcc, 0, v7
	v_cndmask_b32_e32 v3, v3, v4, vcc
	v_cndmask_b32_e32 v4, v8, v10, vcc
	v_mov_b32_e32 v7, 0x3b800000
	v_lshlrev_b32_e32 v3, 20, v3
	v_lshl_add_u32 v4, v4, 23, v7
	v_or3_b32 v3, v6, v4, v3
.LBB59_224:
	s_or_b64 exec, exec, s[6:7]
	s_nop 0
	v_mfma_f32_16x16x4f32 a[0:3], v2, v3, a[0:3]
	s_movk_i32 s4, 0x7f
	v_cmp_gt_i16_sdwa s[6:7], v9, s4 src0_sel:BYTE_0 src1_sel:DWORD
	s_mov_b64 s[4:5], 0
                                        ; implicit-def: $sgpr10
	s_and_saveexec_b64 s[8:9], s[6:7]
	s_xor_b64 s[6:7], exec, s[8:9]
	s_cbranch_execnz .LBB59_2273
; %bb.225:
	s_or_saveexec_b64 s[6:7], s[6:7]
	v_mov_b32_e32 v2, s10
	s_xor_b64 exec, exec, s[6:7]
	s_cbranch_execnz .LBB59_2276
.LBB59_226:
	s_or_b64 exec, exec, s[6:7]
	s_and_saveexec_b64 s[6:7], s[4:5]
	s_cbranch_execz .LBB59_228
.LBB59_227:
	v_mov_b32_e32 v2, 8
	v_and_b32_e32 v3, 7, v9
	v_lshrrev_b32_sdwa v2, v2, v9 dst_sel:BYTE_1 dst_unused:UNUSED_PAD src0_sel:DWORD src1_sel:DWORD
	v_ffbh_u32_e32 v4, v3
	v_or_b32_sdwa v2, v9, v2 dst_sel:DWORD dst_unused:UNUSED_PAD src0_sel:BYTE_0 src1_sel:DWORD
	v_min_u32_e32 v4, 32, v4
	v_lshrrev_b16_e32 v2, 3, v2
	v_subrev_u32_e32 v6, 28, v4
	v_and_b32_e32 v2, 15, v2
	v_lshlrev_b32_e32 v6, v6, v9
	v_sub_u32_e32 v4, 29, v4
	v_and_b32_e32 v6, 7, v6
	v_cmp_eq_u16_e32 vcc, 0, v2
	v_cndmask_b32_e32 v3, v3, v6, vcc
	v_cndmask_b32_e32 v2, v2, v4, vcc
	v_lshlrev_b32_e32 v4, 24, v9
	v_mov_b32_e32 v6, 0x3b800000
	v_lshlrev_b32_e32 v3, 20, v3
	v_and_b32_e32 v4, 0x80000000, v4
	v_lshl_add_u32 v2, v2, 23, v6
	v_or3_b32 v2, v4, v2, v3
.LBB59_228:
	s_or_b64 exec, exec, s[6:7]
	s_movk_i32 s4, 0x7f
	v_cmp_gt_i16_sdwa s[6:7], v5, s4 src0_sel:BYTE_0 src1_sel:DWORD
	s_mov_b64 s[4:5], 0
                                        ; implicit-def: $sgpr10
	s_and_saveexec_b64 s[8:9], s[6:7]
	s_xor_b64 s[6:7], exec, s[8:9]
	s_cbranch_execnz .LBB59_2277
; %bb.229:
	s_or_saveexec_b64 s[6:7], s[6:7]
	v_mov_b32_e32 v3, s10
	s_xor_b64 exec, exec, s[6:7]
	s_cbranch_execnz .LBB59_2280
.LBB59_230:
	s_or_b64 exec, exec, s[6:7]
	s_and_saveexec_b64 s[6:7], s[4:5]
	s_cbranch_execz .LBB59_232
.LBB59_231:
	v_mov_b32_e32 v3, 8
	v_and_b32_e32 v4, 7, v5
	v_lshrrev_b32_sdwa v3, v3, v5 dst_sel:BYTE_1 dst_unused:UNUSED_PAD src0_sel:DWORD src1_sel:DWORD
	v_ffbh_u32_e32 v6, v4
	v_or_b32_sdwa v3, v5, v3 dst_sel:DWORD dst_unused:UNUSED_PAD src0_sel:BYTE_0 src1_sel:DWORD
	v_min_u32_e32 v6, 32, v6
	v_lshrrev_b16_e32 v3, 3, v3
	v_subrev_u32_e32 v7, 28, v6
	v_and_b32_e32 v3, 15, v3
	v_lshlrev_b32_e32 v7, v7, v5
	v_sub_u32_e32 v6, 29, v6
	v_and_b32_e32 v7, 7, v7
	v_cmp_eq_u16_e32 vcc, 0, v3
	v_cndmask_b32_e32 v4, v4, v7, vcc
	v_cndmask_b32_e32 v3, v3, v6, vcc
	v_lshlrev_b32_e32 v6, 24, v5
	v_mov_b32_e32 v7, 0x3b800000
	v_lshlrev_b32_e32 v4, 20, v4
	v_and_b32_e32 v6, 0x80000000, v6
	v_lshl_add_u32 v3, v3, 23, v7
	v_or3_b32 v3, v6, v3, v4
.LBB59_232:
	s_or_b64 exec, exec, s[6:7]
	s_nop 0
	v_mfma_f32_16x16x4f32 a[0:3], v2, v3, a[0:3]
	v_lshrrev_b32_e32 v3, 8, v9
	s_movk_i32 s4, 0x7f
	v_cmp_gt_i16_sdwa s[6:7], v3, s4 src0_sel:BYTE_0 src1_sel:DWORD
	s_mov_b64 s[4:5], 0
                                        ; implicit-def: $sgpr10
	s_and_saveexec_b64 s[8:9], s[6:7]
	s_xor_b64 s[6:7], exec, s[8:9]
	s_cbranch_execnz .LBB59_2281
; %bb.233:
	s_or_saveexec_b64 s[6:7], s[6:7]
	v_mov_b32_e32 v2, s10
	s_xor_b64 exec, exec, s[6:7]
	s_cbranch_execnz .LBB59_2284
.LBB59_234:
	s_or_b64 exec, exec, s[6:7]
	s_and_saveexec_b64 s[6:7], s[4:5]
	s_cbranch_execz .LBB59_236
.LBB59_235:
	v_bfe_u32 v2, v9, 8, 3
	v_ffbh_u32_e32 v6, v2
	v_min_u32_e32 v6, 32, v6
	v_lshrrev_b16_e32 v4, 3, v3
	v_subrev_u32_e32 v7, 28, v6
	v_and_b32_e32 v4, 15, v4
	v_lshlrev_b32_e32 v3, v7, v3
	v_sub_u32_e32 v6, 29, v6
	v_and_b32_e32 v3, 7, v3
	v_cmp_eq_u16_e32 vcc, 0, v4
	v_cndmask_b32_e32 v2, v2, v3, vcc
	v_cndmask_b32_e32 v3, v4, v6, vcc
	v_lshlrev_b32_e32 v4, 16, v9
	v_mov_b32_e32 v6, 0x3b800000
	v_lshlrev_b32_e32 v2, 20, v2
	v_and_b32_e32 v4, 0x80000000, v4
	v_lshl_add_u32 v3, v3, 23, v6
	v_or3_b32 v2, v4, v3, v2
.LBB59_236:
	s_or_b64 exec, exec, s[6:7]
	v_lshrrev_b32_e32 v3, 8, v5
	s_movk_i32 s4, 0x7f
	v_cmp_gt_i16_sdwa s[6:7], v3, s4 src0_sel:BYTE_0 src1_sel:DWORD
	s_mov_b64 s[4:5], 0
                                        ; implicit-def: $sgpr10
	s_and_saveexec_b64 s[8:9], s[6:7]
	s_xor_b64 s[6:7], exec, s[8:9]
	s_cbranch_execnz .LBB59_2285
; %bb.237:
	s_or_saveexec_b64 s[6:7], s[6:7]
	v_mov_b32_e32 v4, s10
	s_xor_b64 exec, exec, s[6:7]
	s_cbranch_execnz .LBB59_2288
.LBB59_238:
	s_or_b64 exec, exec, s[6:7]
	s_and_saveexec_b64 s[6:7], s[4:5]
	s_cbranch_execz .LBB59_240
.LBB59_239:
	v_bfe_u32 v4, v5, 8, 3
	v_ffbh_u32_e32 v7, v4
	v_min_u32_e32 v7, 32, v7
	v_lshrrev_b16_e32 v6, 3, v3
	v_subrev_u32_e32 v8, 28, v7
	v_and_b32_e32 v6, 15, v6
	v_lshlrev_b32_e32 v3, v8, v3
	v_sub_u32_e32 v7, 29, v7
	v_and_b32_e32 v3, 7, v3
	v_cmp_eq_u16_e32 vcc, 0, v6
	v_cndmask_b32_e32 v3, v4, v3, vcc
	v_cndmask_b32_e32 v4, v6, v7, vcc
	v_lshlrev_b32_e32 v6, 16, v5
	v_mov_b32_e32 v7, 0x3b800000
	v_lshlrev_b32_e32 v3, 20, v3
	v_and_b32_e32 v6, 0x80000000, v6
	v_lshl_add_u32 v4, v4, 23, v7
	v_or3_b32 v4, v6, v4, v3
.LBB59_240:
	s_or_b64 exec, exec, s[6:7]
	s_nop 0
	v_mfma_f32_16x16x4f32 a[0:3], v2, v4, a[0:3]
	s_movk_i32 s4, 0xff
	v_and_b32_sdwa v3, v9, s4 dst_sel:DWORD dst_unused:UNUSED_PAD src0_sel:WORD_1 src1_sel:DWORD
	s_movk_i32 s4, 0x7f
	v_cmp_lt_i16_e32 vcc, s4, v3
	s_mov_b64 s[4:5], 0
                                        ; implicit-def: $sgpr10
	s_and_saveexec_b64 s[6:7], vcc
	s_xor_b64 s[6:7], exec, s[6:7]
	s_cbranch_execnz .LBB59_2289
; %bb.241:
	s_or_saveexec_b64 s[6:7], s[6:7]
	v_mov_b32_e32 v2, s10
	s_xor_b64 exec, exec, s[6:7]
	s_cbranch_execnz .LBB59_2292
.LBB59_242:
	s_or_b64 exec, exec, s[6:7]
	s_and_saveexec_b64 s[6:7], s[4:5]
	s_cbranch_execz .LBB59_244
.LBB59_243:
	v_bfe_u32 v2, v9, 16, 3
	v_ffbh_u32_e32 v6, v2
	v_min_u32_e32 v6, 32, v6
	v_lshrrev_b32_e32 v3, 19, v9
	v_subrev_u32_e32 v7, 28, v6
	v_and_b32_e32 v3, 15, v3
	v_lshlrev_b32_sdwa v7, v7, v9 dst_sel:DWORD dst_unused:UNUSED_PAD src0_sel:DWORD src1_sel:WORD_1
	v_bfe_u32 v4, v9, 19, 4
	v_sub_u32_e32 v6, 29, v6
	v_and_b32_e32 v7, 7, v7
	v_cmp_eq_u16_e32 vcc, 0, v3
	v_cndmask_b32_e32 v2, v2, v7, vcc
	v_cndmask_b32_e32 v3, v4, v6, vcc
	v_lshlrev_b32_e32 v4, 8, v9
	v_mov_b32_e32 v6, 0x3b800000
	v_lshlrev_b32_e32 v2, 20, v2
	v_and_b32_e32 v4, 0x80000000, v4
	v_lshl_add_u32 v3, v3, 23, v6
	v_or3_b32 v2, v4, v3, v2
.LBB59_244:
	s_or_b64 exec, exec, s[6:7]
	s_movk_i32 s4, 0xff
	v_and_b32_sdwa v3, v5, s4 dst_sel:DWORD dst_unused:UNUSED_PAD src0_sel:WORD_1 src1_sel:DWORD
	s_movk_i32 s4, 0x7f
	v_cmp_lt_i16_e32 vcc, s4, v3
	s_mov_b64 s[4:5], 0
                                        ; implicit-def: $sgpr10
	s_and_saveexec_b64 s[6:7], vcc
	s_xor_b64 s[6:7], exec, s[6:7]
	s_cbranch_execnz .LBB59_2293
; %bb.245:
	s_or_saveexec_b64 s[6:7], s[6:7]
	v_mov_b32_e32 v4, s10
	s_xor_b64 exec, exec, s[6:7]
	s_cbranch_execnz .LBB59_2296
.LBB59_246:
	s_or_b64 exec, exec, s[6:7]
	s_and_saveexec_b64 s[6:7], s[4:5]
	s_cbranch_execz .LBB59_248
.LBB59_247:
	v_bfe_u32 v3, v5, 16, 3
	v_ffbh_u32_e32 v7, v3
	v_min_u32_e32 v7, 32, v7
	v_lshrrev_b32_e32 v4, 19, v5
	v_subrev_u32_e32 v8, 28, v7
	v_and_b32_e32 v4, 15, v4
	v_lshlrev_b32_sdwa v8, v8, v5 dst_sel:DWORD dst_unused:UNUSED_PAD src0_sel:DWORD src1_sel:WORD_1
	v_bfe_u32 v6, v5, 19, 4
	v_sub_u32_e32 v7, 29, v7
	v_and_b32_e32 v8, 7, v8
	v_cmp_eq_u16_e32 vcc, 0, v4
	v_cndmask_b32_e32 v3, v3, v8, vcc
	v_cndmask_b32_e32 v4, v6, v7, vcc
	v_lshlrev_b32_e32 v6, 8, v5
	v_mov_b32_e32 v7, 0x3b800000
	v_lshlrev_b32_e32 v3, 20, v3
	v_and_b32_e32 v6, 0x80000000, v6
	v_lshl_add_u32 v4, v4, 23, v7
	v_or3_b32 v4, v6, v4, v3
.LBB59_248:
	s_or_b64 exec, exec, s[6:7]
	s_nop 0
	v_mfma_f32_16x16x4f32 a[0:3], v2, v4, a[0:3]
	s_movk_i32 s4, 0x7f
	v_cmp_gt_i16_sdwa s[6:7], v9, s4 src0_sel:BYTE_3 src1_sel:DWORD
	s_mov_b64 s[4:5], 0
                                        ; implicit-def: $sgpr10
	s_and_saveexec_b64 s[8:9], s[6:7]
	s_xor_b64 s[6:7], exec, s[8:9]
	s_cbranch_execnz .LBB59_2297
; %bb.249:
	s_or_saveexec_b64 s[6:7], s[6:7]
	v_mov_b32_e32 v2, s10
	s_xor_b64 exec, exec, s[6:7]
	s_cbranch_execnz .LBB59_2300
.LBB59_250:
	s_or_b64 exec, exec, s[6:7]
	s_and_saveexec_b64 s[6:7], s[4:5]
	s_cbranch_execz .LBB59_252
.LBB59_251:
	v_bfe_u32 v2, v9, 24, 3
	v_ffbh_u32_e32 v7, v2
	v_min_u32_e32 v7, 32, v7
	v_lshrrev_b32_e32 v4, 27, v9
	v_subrev_u32_e32 v8, 28, v7
	v_and_b32_e32 v4, 15, v4
	v_lshlrev_b32_sdwa v8, v8, v9 dst_sel:DWORD dst_unused:UNUSED_PAD src0_sel:DWORD src1_sel:BYTE_3
	v_bfe_u32 v6, v9, 27, 4
	v_sub_u32_e32 v7, 29, v7
	v_and_b32_e32 v8, 7, v8
	v_cmp_eq_u16_e32 vcc, 0, v4
	v_cndmask_b32_e32 v2, v2, v8, vcc
	v_cndmask_b32_e32 v4, v6, v7, vcc
	v_mov_b32_e32 v6, 0x3b800000
	v_and_b32_e32 v3, 0x80000000, v9
	v_lshlrev_b32_e32 v2, 20, v2
	v_lshl_add_u32 v4, v4, 23, v6
	v_or3_b32 v2, v3, v4, v2
.LBB59_252:
	s_or_b64 exec, exec, s[6:7]
	s_movk_i32 s4, 0x7f
	v_cmp_gt_i16_sdwa s[6:7], v5, s4 src0_sel:BYTE_3 src1_sel:DWORD
	s_mov_b64 s[4:5], 0
                                        ; implicit-def: $sgpr10
	s_and_saveexec_b64 s[8:9], s[6:7]
	s_xor_b64 s[6:7], exec, s[8:9]
	s_cbranch_execnz .LBB59_2301
; %bb.253:
	s_or_saveexec_b64 s[6:7], s[6:7]
	v_mov_b32_e32 v3, s10
	s_xor_b64 exec, exec, s[6:7]
	s_cbranch_execnz .LBB59_2304
.LBB59_254:
	s_or_b64 exec, exec, s[6:7]
	s_and_saveexec_b64 s[6:7], s[4:5]
	s_cbranch_execz .LBB59_256
.LBB59_255:
	v_bfe_u32 v3, v5, 24, 3
	v_ffbh_u32_e32 v8, v3
	v_min_u32_e32 v8, 32, v8
	v_lshrrev_b32_e32 v6, 27, v5
	v_subrev_u32_e32 v9, 28, v8
	v_and_b32_e32 v4, 0x80000000, v5
	v_and_b32_e32 v6, 15, v6
	v_bfe_u32 v7, v5, 27, 4
	v_lshlrev_b32_sdwa v5, v9, v5 dst_sel:DWORD dst_unused:UNUSED_PAD src0_sel:DWORD src1_sel:BYTE_3
	v_sub_u32_e32 v8, 29, v8
	v_and_b32_e32 v5, 7, v5
	v_cmp_eq_u16_e32 vcc, 0, v6
	v_cndmask_b32_e32 v3, v3, v5, vcc
	v_cndmask_b32_e32 v5, v7, v8, vcc
	v_mov_b32_e32 v6, 0x3b800000
	v_lshlrev_b32_e32 v3, 20, v3
	v_lshl_add_u32 v5, v5, 23, v6
	v_or3_b32 v3, v4, v5, v3
.LBB59_256:
	s_or_b64 exec, exec, s[6:7]
	s_nop 0
	v_mfma_f32_16x16x4f32 a[0:3], v2, v3, a[0:3]
	s_movk_i32 s4, 0x7f
                                        ; implicit-def: $sgpr10
	s_nop 7
	s_nop 1
	flat_store_dwordx4 v[18:19], a[0:3] offset:896
	flat_load_dwordx4 v[20:23], v[0:1] offset:8
	s_nop 0
	flat_load_dwordx2 v[18:19], v[0:1] offset:24
	s_waitcnt vmcnt(0) lgkmcnt(0)
	flat_load_dwordx4 v[14:17], v[20:21] offset:32
	flat_load_dwordx4 v[6:9], v[20:21] offset:48
	;; [unrolled: 1-line block ×4, first 2 shown]
	s_waitcnt vmcnt(0) lgkmcnt(0)
	v_cmp_gt_i16_sdwa s[6:7], v14, s4 src0_sel:BYTE_0 src1_sel:DWORD
	s_mov_b64 s[4:5], 0
	s_and_saveexec_b64 s[8:9], s[6:7]
	s_xor_b64 s[6:7], exec, s[8:9]
	s_cbranch_execnz .LBB59_2305
; %bb.257:
	s_or_saveexec_b64 s[6:7], s[6:7]
	v_mov_b32_e32 v20, s10
	s_xor_b64 exec, exec, s[6:7]
	s_cbranch_execnz .LBB59_2308
.LBB59_258:
	s_or_b64 exec, exec, s[6:7]
	s_and_saveexec_b64 s[6:7], s[4:5]
	s_cbranch_execz .LBB59_260
.LBB59_259:
	v_and_b32_e32 v20, 7, v14
	v_ffbh_u32_e32 v22, v20
	v_min_u32_e32 v22, 32, v22
	v_lshrrev_b16_e32 v21, 3, v14
	v_subrev_u32_e32 v23, 28, v22
	v_and_b32_e32 v21, 15, v21
	v_lshlrev_b32_e32 v23, v23, v14
	v_sub_u32_e32 v22, 29, v22
	v_and_b32_e32 v23, 7, v23
	v_cmp_eq_u16_e32 vcc, 0, v21
	v_cndmask_b32_e32 v20, v20, v23, vcc
	v_cndmask_b32_e32 v21, v21, v22, vcc
	v_lshlrev_b32_e32 v22, 24, v14
	v_mov_b32_e32 v23, 0x3b800000
	v_lshlrev_b32_e32 v20, 20, v20
	v_and_b32_e32 v22, 0x80000000, v22
	v_lshl_add_u32 v21, v21, 23, v23
	v_or3_b32 v20, v22, v21, v20
.LBB59_260:
	s_or_b64 exec, exec, s[6:7]
	s_movk_i32 s4, 0x7f
	v_cmp_gt_i16_sdwa s[6:7], v10, s4 src0_sel:BYTE_0 src1_sel:DWORD
	s_mov_b64 s[4:5], 0
                                        ; implicit-def: $sgpr10
	s_and_saveexec_b64 s[8:9], s[6:7]
	s_xor_b64 s[6:7], exec, s[8:9]
	s_cbranch_execnz .LBB59_2309
; %bb.261:
	s_or_saveexec_b64 s[6:7], s[6:7]
	v_mov_b32_e32 v21, s10
	s_xor_b64 exec, exec, s[6:7]
	s_cbranch_execnz .LBB59_2312
.LBB59_262:
	s_or_b64 exec, exec, s[6:7]
	s_and_saveexec_b64 s[6:7], s[4:5]
	s_cbranch_execz .LBB59_264
.LBB59_263:
	v_and_b32_e32 v21, 7, v10
	v_ffbh_u32_e32 v23, v21
	v_min_u32_e32 v23, 32, v23
	v_lshrrev_b16_e32 v22, 3, v10
	v_subrev_u32_e32 v24, 28, v23
	v_and_b32_e32 v22, 15, v22
	v_lshlrev_b32_e32 v24, v24, v10
	v_sub_u32_e32 v23, 29, v23
	v_and_b32_e32 v24, 7, v24
	v_cmp_eq_u16_e32 vcc, 0, v22
	v_cndmask_b32_e32 v21, v21, v24, vcc
	v_cndmask_b32_e32 v22, v22, v23, vcc
	v_lshlrev_b32_e32 v23, 24, v10
	v_mov_b32_e32 v24, 0x3b800000
	v_lshlrev_b32_e32 v21, 20, v21
	v_and_b32_e32 v23, 0x80000000, v23
	v_lshl_add_u32 v22, v22, 23, v24
	v_or3_b32 v21, v23, v22, v21
.LBB59_264:
	s_or_b64 exec, exec, s[6:7]
	flat_load_dwordx4 a[0:3], v[18:19] offset:912
	s_movk_i32 s4, 0x7f
                                        ; implicit-def: $sgpr10
	s_waitcnt vmcnt(0) lgkmcnt(0)
	v_mfma_f32_16x16x4f32 a[0:3], v20, v21, a[0:3]
	v_lshrrev_b32_e32 v21, 8, v14
	v_cmp_gt_i16_sdwa s[6:7], v21, s4 src0_sel:BYTE_0 src1_sel:DWORD
	s_mov_b64 s[4:5], 0
	s_and_saveexec_b64 s[8:9], s[6:7]
	s_xor_b64 s[6:7], exec, s[8:9]
	s_cbranch_execnz .LBB59_2313
; %bb.265:
	s_or_saveexec_b64 s[6:7], s[6:7]
	v_mov_b32_e32 v20, s10
	s_xor_b64 exec, exec, s[6:7]
	s_cbranch_execnz .LBB59_2316
.LBB59_266:
	s_or_b64 exec, exec, s[6:7]
	s_and_saveexec_b64 s[6:7], s[4:5]
	s_cbranch_execz .LBB59_268
.LBB59_267:
	v_bfe_u32 v20, v14, 8, 3
	v_ffbh_u32_e32 v23, v20
	v_min_u32_e32 v23, 32, v23
	v_lshrrev_b16_e32 v22, 3, v21
	v_subrev_u32_e32 v24, 28, v23
	v_and_b32_e32 v22, 15, v22
	v_lshlrev_b32_e32 v21, v24, v21
	v_sub_u32_e32 v23, 29, v23
	v_and_b32_e32 v21, 7, v21
	v_cmp_eq_u16_e32 vcc, 0, v22
	v_cndmask_b32_e32 v20, v20, v21, vcc
	v_cndmask_b32_e32 v21, v22, v23, vcc
	v_lshlrev_b32_e32 v22, 16, v14
	v_mov_b32_e32 v23, 0x3b800000
	v_lshlrev_b32_e32 v20, 20, v20
	v_and_b32_e32 v22, 0x80000000, v22
	v_lshl_add_u32 v21, v21, 23, v23
	v_or3_b32 v20, v22, v21, v20
.LBB59_268:
	s_or_b64 exec, exec, s[6:7]
	v_lshrrev_b32_e32 v21, 8, v10
	s_movk_i32 s4, 0x7f
	v_cmp_gt_i16_sdwa s[6:7], v21, s4 src0_sel:BYTE_0 src1_sel:DWORD
	s_mov_b64 s[4:5], 0
                                        ; implicit-def: $sgpr10
	s_and_saveexec_b64 s[8:9], s[6:7]
	s_xor_b64 s[6:7], exec, s[8:9]
	s_cbranch_execnz .LBB59_2317
; %bb.269:
	s_or_saveexec_b64 s[6:7], s[6:7]
	v_mov_b32_e32 v22, s10
	s_xor_b64 exec, exec, s[6:7]
	s_cbranch_execnz .LBB59_2320
.LBB59_270:
	s_or_b64 exec, exec, s[6:7]
	s_and_saveexec_b64 s[6:7], s[4:5]
	s_cbranch_execz .LBB59_272
.LBB59_271:
	v_bfe_u32 v22, v10, 8, 3
	v_ffbh_u32_e32 v24, v22
	v_min_u32_e32 v24, 32, v24
	v_lshrrev_b16_e32 v23, 3, v21
	v_subrev_u32_e32 v25, 28, v24
	v_and_b32_e32 v23, 15, v23
	v_lshlrev_b32_e32 v21, v25, v21
	v_sub_u32_e32 v24, 29, v24
	v_and_b32_e32 v21, 7, v21
	v_cmp_eq_u16_e32 vcc, 0, v23
	v_cndmask_b32_e32 v21, v22, v21, vcc
	v_cndmask_b32_e32 v22, v23, v24, vcc
	v_lshlrev_b32_e32 v23, 16, v10
	v_mov_b32_e32 v24, 0x3b800000
	v_lshlrev_b32_e32 v21, 20, v21
	v_and_b32_e32 v23, 0x80000000, v23
	v_lshl_add_u32 v22, v22, 23, v24
	v_or3_b32 v22, v23, v22, v21
.LBB59_272:
	s_or_b64 exec, exec, s[6:7]
	s_nop 0
	v_mfma_f32_16x16x4f32 a[0:3], v20, v22, a[0:3]
	s_movk_i32 s4, 0xff
	v_and_b32_sdwa v21, v14, s4 dst_sel:DWORD dst_unused:UNUSED_PAD src0_sel:WORD_1 src1_sel:DWORD
	s_movk_i32 s4, 0x7f
	v_cmp_lt_i16_e32 vcc, s4, v21
	s_mov_b64 s[4:5], 0
                                        ; implicit-def: $sgpr10
	s_and_saveexec_b64 s[6:7], vcc
	s_xor_b64 s[6:7], exec, s[6:7]
	s_cbranch_execnz .LBB59_2321
; %bb.273:
	s_or_saveexec_b64 s[6:7], s[6:7]
	v_mov_b32_e32 v20, s10
	s_xor_b64 exec, exec, s[6:7]
	s_cbranch_execnz .LBB59_2324
.LBB59_274:
	s_or_b64 exec, exec, s[6:7]
	s_and_saveexec_b64 s[6:7], s[4:5]
	s_cbranch_execz .LBB59_276
.LBB59_275:
	v_bfe_u32 v20, v14, 16, 3
	v_ffbh_u32_e32 v23, v20
	v_min_u32_e32 v23, 32, v23
	v_lshrrev_b32_e32 v21, 19, v14
	v_subrev_u32_e32 v24, 28, v23
	v_and_b32_e32 v21, 15, v21
	v_lshlrev_b32_sdwa v24, v24, v14 dst_sel:DWORD dst_unused:UNUSED_PAD src0_sel:DWORD src1_sel:WORD_1
	v_bfe_u32 v22, v14, 19, 4
	v_sub_u32_e32 v23, 29, v23
	v_and_b32_e32 v24, 7, v24
	v_cmp_eq_u16_e32 vcc, 0, v21
	v_cndmask_b32_e32 v20, v20, v24, vcc
	v_cndmask_b32_e32 v21, v22, v23, vcc
	v_lshlrev_b32_e32 v22, 8, v14
	v_mov_b32_e32 v23, 0x3b800000
	v_lshlrev_b32_e32 v20, 20, v20
	v_and_b32_e32 v22, 0x80000000, v22
	v_lshl_add_u32 v21, v21, 23, v23
	v_or3_b32 v20, v22, v21, v20
.LBB59_276:
	s_or_b64 exec, exec, s[6:7]
	s_movk_i32 s4, 0xff
	v_and_b32_sdwa v21, v10, s4 dst_sel:DWORD dst_unused:UNUSED_PAD src0_sel:WORD_1 src1_sel:DWORD
	s_movk_i32 s4, 0x7f
	v_cmp_lt_i16_e32 vcc, s4, v21
	s_mov_b64 s[4:5], 0
                                        ; implicit-def: $sgpr10
	s_and_saveexec_b64 s[6:7], vcc
	s_xor_b64 s[6:7], exec, s[6:7]
	s_cbranch_execnz .LBB59_2325
; %bb.277:
	s_or_saveexec_b64 s[6:7], s[6:7]
	v_mov_b32_e32 v22, s10
	s_xor_b64 exec, exec, s[6:7]
	s_cbranch_execnz .LBB59_2328
.LBB59_278:
	s_or_b64 exec, exec, s[6:7]
	s_and_saveexec_b64 s[6:7], s[4:5]
	s_cbranch_execz .LBB59_280
.LBB59_279:
	v_bfe_u32 v21, v10, 16, 3
	v_ffbh_u32_e32 v24, v21
	v_min_u32_e32 v24, 32, v24
	v_lshrrev_b32_e32 v22, 19, v10
	v_subrev_u32_e32 v25, 28, v24
	v_and_b32_e32 v22, 15, v22
	v_lshlrev_b32_sdwa v25, v25, v10 dst_sel:DWORD dst_unused:UNUSED_PAD src0_sel:DWORD src1_sel:WORD_1
	v_bfe_u32 v23, v10, 19, 4
	v_sub_u32_e32 v24, 29, v24
	v_and_b32_e32 v25, 7, v25
	v_cmp_eq_u16_e32 vcc, 0, v22
	v_cndmask_b32_e32 v21, v21, v25, vcc
	v_cndmask_b32_e32 v22, v23, v24, vcc
	v_lshlrev_b32_e32 v23, 8, v10
	v_mov_b32_e32 v24, 0x3b800000
	v_lshlrev_b32_e32 v21, 20, v21
	v_and_b32_e32 v23, 0x80000000, v23
	v_lshl_add_u32 v22, v22, 23, v24
	v_or3_b32 v22, v23, v22, v21
.LBB59_280:
	s_or_b64 exec, exec, s[6:7]
	s_nop 0
	v_mfma_f32_16x16x4f32 a[0:3], v20, v22, a[0:3]
	s_movk_i32 s4, 0x7f
	v_cmp_gt_i16_sdwa s[6:7], v14, s4 src0_sel:BYTE_3 src1_sel:DWORD
	s_mov_b64 s[4:5], 0
                                        ; implicit-def: $sgpr10
	s_and_saveexec_b64 s[8:9], s[6:7]
	s_xor_b64 s[6:7], exec, s[8:9]
	s_cbranch_execnz .LBB59_2329
; %bb.281:
	s_or_saveexec_b64 s[6:7], s[6:7]
	v_mov_b32_e32 v20, s10
	s_xor_b64 exec, exec, s[6:7]
	s_cbranch_execnz .LBB59_2332
.LBB59_282:
	s_or_b64 exec, exec, s[6:7]
	s_and_saveexec_b64 s[6:7], s[4:5]
	s_cbranch_execz .LBB59_284
.LBB59_283:
	v_bfe_u32 v20, v14, 24, 3
	v_ffbh_u32_e32 v24, v20
	v_min_u32_e32 v24, 32, v24
	v_lshrrev_b32_e32 v22, 27, v14
	v_subrev_u32_e32 v25, 28, v24
	v_and_b32_e32 v21, 0x80000000, v14
	v_and_b32_e32 v22, 15, v22
	v_bfe_u32 v23, v14, 27, 4
	v_lshlrev_b32_sdwa v14, v25, v14 dst_sel:DWORD dst_unused:UNUSED_PAD src0_sel:DWORD src1_sel:BYTE_3
	v_sub_u32_e32 v24, 29, v24
	v_and_b32_e32 v14, 7, v14
	v_cmp_eq_u16_e32 vcc, 0, v22
	v_cndmask_b32_e32 v14, v20, v14, vcc
	v_cndmask_b32_e32 v20, v23, v24, vcc
	v_mov_b32_e32 v22, 0x3b800000
	v_lshlrev_b32_e32 v14, 20, v14
	v_lshl_add_u32 v20, v20, 23, v22
	v_or3_b32 v20, v21, v20, v14
.LBB59_284:
	s_or_b64 exec, exec, s[6:7]
	s_movk_i32 s4, 0x7f
	v_cmp_gt_i16_sdwa s[6:7], v10, s4 src0_sel:BYTE_3 src1_sel:DWORD
	s_mov_b64 s[4:5], 0
                                        ; implicit-def: $sgpr10
	s_and_saveexec_b64 s[8:9], s[6:7]
	s_xor_b64 s[6:7], exec, s[8:9]
	s_cbranch_execnz .LBB59_2333
; %bb.285:
	s_or_saveexec_b64 s[6:7], s[6:7]
	v_mov_b32_e32 v14, s10
	s_xor_b64 exec, exec, s[6:7]
	s_cbranch_execnz .LBB59_2336
.LBB59_286:
	s_or_b64 exec, exec, s[6:7]
	s_and_saveexec_b64 s[6:7], s[4:5]
	s_cbranch_execz .LBB59_288
.LBB59_287:
	v_bfe_u32 v14, v10, 24, 3
	v_ffbh_u32_e32 v24, v14
	v_min_u32_e32 v24, 32, v24
	v_lshrrev_b32_e32 v22, 27, v10
	v_subrev_u32_e32 v25, 28, v24
	v_and_b32_e32 v21, 0x80000000, v10
	v_and_b32_e32 v22, 15, v22
	v_bfe_u32 v23, v10, 27, 4
	v_lshlrev_b32_sdwa v10, v25, v10 dst_sel:DWORD dst_unused:UNUSED_PAD src0_sel:DWORD src1_sel:BYTE_3
	v_sub_u32_e32 v24, 29, v24
	v_and_b32_e32 v10, 7, v10
	v_cmp_eq_u16_e32 vcc, 0, v22
	v_cndmask_b32_e32 v10, v14, v10, vcc
	v_cndmask_b32_e32 v14, v23, v24, vcc
	v_mov_b32_e32 v22, 0x3b800000
	v_lshlrev_b32_e32 v10, 20, v10
	v_lshl_add_u32 v14, v14, 23, v22
	v_or3_b32 v14, v21, v14, v10
.LBB59_288:
	s_or_b64 exec, exec, s[6:7]
	s_nop 0
	v_mfma_f32_16x16x4f32 a[0:3], v20, v14, a[0:3]
	s_movk_i32 s4, 0x7f
	v_cmp_gt_i16_sdwa s[6:7], v15, s4 src0_sel:BYTE_0 src1_sel:DWORD
	s_mov_b64 s[4:5], 0
                                        ; implicit-def: $sgpr10
	s_and_saveexec_b64 s[8:9], s[6:7]
	s_xor_b64 s[6:7], exec, s[8:9]
	s_cbranch_execnz .LBB59_2337
; %bb.289:
	s_or_saveexec_b64 s[6:7], s[6:7]
	v_mov_b32_e32 v10, s10
	s_xor_b64 exec, exec, s[6:7]
	s_cbranch_execnz .LBB59_2340
.LBB59_290:
	s_or_b64 exec, exec, s[6:7]
	s_and_saveexec_b64 s[6:7], s[4:5]
	s_cbranch_execz .LBB59_292
.LBB59_291:
	v_and_b32_e32 v10, 7, v15
	v_ffbh_u32_e32 v20, v10
	v_min_u32_e32 v20, 32, v20
	v_lshrrev_b16_e32 v14, 3, v15
	v_subrev_u32_e32 v21, 28, v20
	v_and_b32_e32 v14, 15, v14
	v_lshlrev_b32_e32 v21, v21, v15
	v_sub_u32_e32 v20, 29, v20
	v_and_b32_e32 v21, 7, v21
	v_cmp_eq_u16_e32 vcc, 0, v14
	v_cndmask_b32_e32 v10, v10, v21, vcc
	v_cndmask_b32_e32 v14, v14, v20, vcc
	v_lshlrev_b32_e32 v20, 24, v15
	v_mov_b32_e32 v21, 0x3b800000
	v_lshlrev_b32_e32 v10, 20, v10
	v_and_b32_e32 v20, 0x80000000, v20
	v_lshl_add_u32 v14, v14, 23, v21
	v_or3_b32 v10, v20, v14, v10
.LBB59_292:
	s_or_b64 exec, exec, s[6:7]
	s_movk_i32 s4, 0x7f
	v_cmp_gt_i16_sdwa s[6:7], v11, s4 src0_sel:BYTE_0 src1_sel:DWORD
	s_mov_b64 s[4:5], 0
                                        ; implicit-def: $sgpr10
	s_and_saveexec_b64 s[8:9], s[6:7]
	s_xor_b64 s[6:7], exec, s[8:9]
	s_cbranch_execnz .LBB59_2341
; %bb.293:
	s_or_saveexec_b64 s[6:7], s[6:7]
	v_mov_b32_e32 v14, s10
	s_xor_b64 exec, exec, s[6:7]
	s_cbranch_execnz .LBB59_2344
.LBB59_294:
	s_or_b64 exec, exec, s[6:7]
	s_and_saveexec_b64 s[6:7], s[4:5]
	s_cbranch_execz .LBB59_296
.LBB59_295:
	v_and_b32_e32 v14, 7, v11
	v_ffbh_u32_e32 v21, v14
	v_min_u32_e32 v21, 32, v21
	v_lshrrev_b16_e32 v20, 3, v11
	v_subrev_u32_e32 v22, 28, v21
	v_and_b32_e32 v20, 15, v20
	v_lshlrev_b32_e32 v22, v22, v11
	v_sub_u32_e32 v21, 29, v21
	v_and_b32_e32 v22, 7, v22
	v_cmp_eq_u16_e32 vcc, 0, v20
	v_cndmask_b32_e32 v14, v14, v22, vcc
	v_cndmask_b32_e32 v20, v20, v21, vcc
	v_lshlrev_b32_e32 v21, 24, v11
	v_mov_b32_e32 v22, 0x3b800000
	v_lshlrev_b32_e32 v14, 20, v14
	v_and_b32_e32 v21, 0x80000000, v21
	v_lshl_add_u32 v20, v20, 23, v22
	v_or3_b32 v14, v21, v20, v14
.LBB59_296:
	s_or_b64 exec, exec, s[6:7]
	s_nop 0
	v_mfma_f32_16x16x4f32 a[0:3], v10, v14, a[0:3]
	v_lshrrev_b32_e32 v14, 8, v15
	s_movk_i32 s4, 0x7f
	v_cmp_gt_i16_sdwa s[6:7], v14, s4 src0_sel:BYTE_0 src1_sel:DWORD
	s_mov_b64 s[4:5], 0
                                        ; implicit-def: $sgpr10
	s_and_saveexec_b64 s[8:9], s[6:7]
	s_xor_b64 s[6:7], exec, s[8:9]
	s_cbranch_execnz .LBB59_2345
; %bb.297:
	s_or_saveexec_b64 s[6:7], s[6:7]
	v_mov_b32_e32 v10, s10
	s_xor_b64 exec, exec, s[6:7]
	s_cbranch_execnz .LBB59_2348
.LBB59_298:
	s_or_b64 exec, exec, s[6:7]
	s_and_saveexec_b64 s[6:7], s[4:5]
	s_cbranch_execz .LBB59_300
.LBB59_299:
	v_bfe_u32 v10, v15, 8, 3
	v_ffbh_u32_e32 v21, v10
	v_min_u32_e32 v21, 32, v21
	v_lshrrev_b16_e32 v20, 3, v14
	v_subrev_u32_e32 v22, 28, v21
	v_and_b32_e32 v20, 15, v20
	v_lshlrev_b32_e32 v14, v22, v14
	v_sub_u32_e32 v21, 29, v21
	v_and_b32_e32 v14, 7, v14
	v_cmp_eq_u16_e32 vcc, 0, v20
	v_cndmask_b32_e32 v10, v10, v14, vcc
	v_cndmask_b32_e32 v14, v20, v21, vcc
	v_lshlrev_b32_e32 v20, 16, v15
	v_mov_b32_e32 v21, 0x3b800000
	v_lshlrev_b32_e32 v10, 20, v10
	v_and_b32_e32 v20, 0x80000000, v20
	v_lshl_add_u32 v14, v14, 23, v21
	v_or3_b32 v10, v20, v14, v10
.LBB59_300:
	s_or_b64 exec, exec, s[6:7]
	v_lshrrev_b32_e32 v14, 8, v11
	s_movk_i32 s4, 0x7f
	v_cmp_gt_i16_sdwa s[6:7], v14, s4 src0_sel:BYTE_0 src1_sel:DWORD
	s_mov_b64 s[4:5], 0
                                        ; implicit-def: $sgpr10
	s_and_saveexec_b64 s[8:9], s[6:7]
	s_xor_b64 s[6:7], exec, s[8:9]
	s_cbranch_execnz .LBB59_2349
; %bb.301:
	s_or_saveexec_b64 s[6:7], s[6:7]
	v_mov_b32_e32 v20, s10
	s_xor_b64 exec, exec, s[6:7]
	s_cbranch_execnz .LBB59_2352
.LBB59_302:
	s_or_b64 exec, exec, s[6:7]
	s_and_saveexec_b64 s[6:7], s[4:5]
	s_cbranch_execz .LBB59_304
.LBB59_303:
	v_bfe_u32 v20, v11, 8, 3
	v_ffbh_u32_e32 v22, v20
	v_min_u32_e32 v22, 32, v22
	v_lshrrev_b16_e32 v21, 3, v14
	v_subrev_u32_e32 v23, 28, v22
	v_and_b32_e32 v21, 15, v21
	v_lshlrev_b32_e32 v14, v23, v14
	v_sub_u32_e32 v22, 29, v22
	v_and_b32_e32 v14, 7, v14
	v_cmp_eq_u16_e32 vcc, 0, v21
	v_cndmask_b32_e32 v14, v20, v14, vcc
	v_cndmask_b32_e32 v20, v21, v22, vcc
	v_lshlrev_b32_e32 v21, 16, v11
	v_mov_b32_e32 v22, 0x3b800000
	v_lshlrev_b32_e32 v14, 20, v14
	v_and_b32_e32 v21, 0x80000000, v21
	v_lshl_add_u32 v20, v20, 23, v22
	v_or3_b32 v20, v21, v20, v14
.LBB59_304:
	s_or_b64 exec, exec, s[6:7]
	s_nop 0
	v_mfma_f32_16x16x4f32 a[0:3], v10, v20, a[0:3]
	s_movk_i32 s4, 0xff
	v_and_b32_sdwa v14, v15, s4 dst_sel:DWORD dst_unused:UNUSED_PAD src0_sel:WORD_1 src1_sel:DWORD
	s_movk_i32 s4, 0x7f
	v_cmp_lt_i16_e32 vcc, s4, v14
	s_mov_b64 s[4:5], 0
                                        ; implicit-def: $sgpr10
	s_and_saveexec_b64 s[6:7], vcc
	s_xor_b64 s[6:7], exec, s[6:7]
	s_cbranch_execnz .LBB59_2353
; %bb.305:
	s_or_saveexec_b64 s[6:7], s[6:7]
	v_mov_b32_e32 v10, s10
	s_xor_b64 exec, exec, s[6:7]
	s_cbranch_execnz .LBB59_2356
.LBB59_306:
	s_or_b64 exec, exec, s[6:7]
	s_and_saveexec_b64 s[6:7], s[4:5]
	s_cbranch_execz .LBB59_308
.LBB59_307:
	v_bfe_u32 v10, v15, 16, 3
	v_ffbh_u32_e32 v21, v10
	v_min_u32_e32 v21, 32, v21
	v_lshrrev_b32_e32 v14, 19, v15
	v_subrev_u32_e32 v22, 28, v21
	v_and_b32_e32 v14, 15, v14
	v_lshlrev_b32_sdwa v22, v22, v15 dst_sel:DWORD dst_unused:UNUSED_PAD src0_sel:DWORD src1_sel:WORD_1
	v_bfe_u32 v20, v15, 19, 4
	v_sub_u32_e32 v21, 29, v21
	v_and_b32_e32 v22, 7, v22
	v_cmp_eq_u16_e32 vcc, 0, v14
	v_cndmask_b32_e32 v10, v10, v22, vcc
	v_cndmask_b32_e32 v14, v20, v21, vcc
	v_lshlrev_b32_e32 v20, 8, v15
	v_mov_b32_e32 v21, 0x3b800000
	v_lshlrev_b32_e32 v10, 20, v10
	v_and_b32_e32 v20, 0x80000000, v20
	v_lshl_add_u32 v14, v14, 23, v21
	v_or3_b32 v10, v20, v14, v10
.LBB59_308:
	s_or_b64 exec, exec, s[6:7]
	s_movk_i32 s4, 0xff
	v_and_b32_sdwa v14, v11, s4 dst_sel:DWORD dst_unused:UNUSED_PAD src0_sel:WORD_1 src1_sel:DWORD
	s_movk_i32 s4, 0x7f
	v_cmp_lt_i16_e32 vcc, s4, v14
	s_mov_b64 s[4:5], 0
                                        ; implicit-def: $sgpr10
	s_and_saveexec_b64 s[6:7], vcc
	s_xor_b64 s[6:7], exec, s[6:7]
	s_cbranch_execnz .LBB59_2357
; %bb.309:
	s_or_saveexec_b64 s[6:7], s[6:7]
	v_mov_b32_e32 v20, s10
	s_xor_b64 exec, exec, s[6:7]
	s_cbranch_execnz .LBB59_2360
.LBB59_310:
	s_or_b64 exec, exec, s[6:7]
	s_and_saveexec_b64 s[6:7], s[4:5]
	s_cbranch_execz .LBB59_312
.LBB59_311:
	v_bfe_u32 v14, v11, 16, 3
	v_ffbh_u32_e32 v22, v14
	v_min_u32_e32 v22, 32, v22
	v_lshrrev_b32_e32 v20, 19, v11
	v_subrev_u32_e32 v23, 28, v22
	v_and_b32_e32 v20, 15, v20
	v_lshlrev_b32_sdwa v23, v23, v11 dst_sel:DWORD dst_unused:UNUSED_PAD src0_sel:DWORD src1_sel:WORD_1
	v_bfe_u32 v21, v11, 19, 4
	v_sub_u32_e32 v22, 29, v22
	v_and_b32_e32 v23, 7, v23
	v_cmp_eq_u16_e32 vcc, 0, v20
	v_cndmask_b32_e32 v14, v14, v23, vcc
	v_cndmask_b32_e32 v20, v21, v22, vcc
	v_lshlrev_b32_e32 v21, 8, v11
	v_mov_b32_e32 v22, 0x3b800000
	v_lshlrev_b32_e32 v14, 20, v14
	v_and_b32_e32 v21, 0x80000000, v21
	v_lshl_add_u32 v20, v20, 23, v22
	v_or3_b32 v20, v21, v20, v14
.LBB59_312:
	s_or_b64 exec, exec, s[6:7]
	s_nop 0
	v_mfma_f32_16x16x4f32 a[0:3], v10, v20, a[0:3]
	s_movk_i32 s4, 0x7f
	v_cmp_gt_i16_sdwa s[6:7], v15, s4 src0_sel:BYTE_3 src1_sel:DWORD
	s_mov_b64 s[4:5], 0
                                        ; implicit-def: $sgpr10
	s_and_saveexec_b64 s[8:9], s[6:7]
	s_xor_b64 s[6:7], exec, s[8:9]
	s_cbranch_execnz .LBB59_2361
; %bb.313:
	s_or_saveexec_b64 s[6:7], s[6:7]
	v_mov_b32_e32 v10, s10
	s_xor_b64 exec, exec, s[6:7]
	s_cbranch_execnz .LBB59_2364
.LBB59_314:
	s_or_b64 exec, exec, s[6:7]
	s_and_saveexec_b64 s[6:7], s[4:5]
	s_cbranch_execz .LBB59_316
.LBB59_315:
	v_bfe_u32 v10, v15, 24, 3
	v_ffbh_u32_e32 v22, v10
	v_min_u32_e32 v22, 32, v22
	v_lshrrev_b32_e32 v20, 27, v15
	v_subrev_u32_e32 v23, 28, v22
	v_and_b32_e32 v14, 0x80000000, v15
	v_and_b32_e32 v20, 15, v20
	v_bfe_u32 v21, v15, 27, 4
	v_lshlrev_b32_sdwa v15, v23, v15 dst_sel:DWORD dst_unused:UNUSED_PAD src0_sel:DWORD src1_sel:BYTE_3
	v_sub_u32_e32 v22, 29, v22
	v_and_b32_e32 v15, 7, v15
	v_cmp_eq_u16_e32 vcc, 0, v20
	v_cndmask_b32_e32 v10, v10, v15, vcc
	v_cndmask_b32_e32 v15, v21, v22, vcc
	v_mov_b32_e32 v20, 0x3b800000
	v_lshlrev_b32_e32 v10, 20, v10
	v_lshl_add_u32 v15, v15, 23, v20
	v_or3_b32 v10, v14, v15, v10
.LBB59_316:
	s_or_b64 exec, exec, s[6:7]
	s_movk_i32 s4, 0x7f
	v_cmp_gt_i16_sdwa s[6:7], v11, s4 src0_sel:BYTE_3 src1_sel:DWORD
	s_mov_b64 s[4:5], 0
                                        ; implicit-def: $sgpr10
	s_and_saveexec_b64 s[8:9], s[6:7]
	s_xor_b64 s[6:7], exec, s[8:9]
	s_cbranch_execnz .LBB59_2365
; %bb.317:
	s_or_saveexec_b64 s[6:7], s[6:7]
	v_mov_b32_e32 v14, s10
	s_xor_b64 exec, exec, s[6:7]
	s_cbranch_execnz .LBB59_2368
.LBB59_318:
	s_or_b64 exec, exec, s[6:7]
	s_and_saveexec_b64 s[6:7], s[4:5]
	s_cbranch_execz .LBB59_320
.LBB59_319:
	v_bfe_u32 v14, v11, 24, 3
	v_ffbh_u32_e32 v22, v14
	v_min_u32_e32 v22, 32, v22
	v_lshrrev_b32_e32 v20, 27, v11
	v_subrev_u32_e32 v23, 28, v22
	v_and_b32_e32 v15, 0x80000000, v11
	v_and_b32_e32 v20, 15, v20
	v_bfe_u32 v21, v11, 27, 4
	v_lshlrev_b32_sdwa v11, v23, v11 dst_sel:DWORD dst_unused:UNUSED_PAD src0_sel:DWORD src1_sel:BYTE_3
	v_sub_u32_e32 v22, 29, v22
	v_and_b32_e32 v11, 7, v11
	v_cmp_eq_u16_e32 vcc, 0, v20
	v_cndmask_b32_e32 v11, v14, v11, vcc
	v_cndmask_b32_e32 v14, v21, v22, vcc
	v_mov_b32_e32 v20, 0x3b800000
	v_lshlrev_b32_e32 v11, 20, v11
	v_lshl_add_u32 v14, v14, 23, v20
	v_or3_b32 v14, v15, v14, v11
.LBB59_320:
	s_or_b64 exec, exec, s[6:7]
	s_nop 0
	v_mfma_f32_16x16x4f32 a[0:3], v10, v14, a[0:3]
	s_movk_i32 s4, 0x7f
	v_cmp_gt_i16_sdwa s[6:7], v16, s4 src0_sel:BYTE_0 src1_sel:DWORD
	s_mov_b64 s[4:5], 0
                                        ; implicit-def: $sgpr10
	s_and_saveexec_b64 s[8:9], s[6:7]
	s_xor_b64 s[6:7], exec, s[8:9]
	s_cbranch_execnz .LBB59_2369
; %bb.321:
	s_or_saveexec_b64 s[6:7], s[6:7]
	v_mov_b32_e32 v10, s10
	s_xor_b64 exec, exec, s[6:7]
	s_cbranch_execnz .LBB59_2372
.LBB59_322:
	s_or_b64 exec, exec, s[6:7]
	s_and_saveexec_b64 s[6:7], s[4:5]
	s_cbranch_execz .LBB59_324
.LBB59_323:
	v_and_b32_e32 v10, 7, v16
	v_ffbh_u32_e32 v14, v10
	v_min_u32_e32 v14, 32, v14
	v_lshrrev_b16_e32 v11, 3, v16
	v_subrev_u32_e32 v15, 28, v14
	v_and_b32_e32 v11, 15, v11
	v_lshlrev_b32_e32 v15, v15, v16
	v_sub_u32_e32 v14, 29, v14
	v_and_b32_e32 v15, 7, v15
	v_cmp_eq_u16_e32 vcc, 0, v11
	v_cndmask_b32_e32 v10, v10, v15, vcc
	v_cndmask_b32_e32 v11, v11, v14, vcc
	v_lshlrev_b32_e32 v14, 24, v16
	v_mov_b32_e32 v15, 0x3b800000
	v_lshlrev_b32_e32 v10, 20, v10
	v_and_b32_e32 v14, 0x80000000, v14
	v_lshl_add_u32 v11, v11, 23, v15
	v_or3_b32 v10, v14, v11, v10
.LBB59_324:
	s_or_b64 exec, exec, s[6:7]
	s_movk_i32 s4, 0x7f
	v_cmp_gt_i16_sdwa s[6:7], v12, s4 src0_sel:BYTE_0 src1_sel:DWORD
	s_mov_b64 s[4:5], 0
                                        ; implicit-def: $sgpr10
	s_and_saveexec_b64 s[8:9], s[6:7]
	s_xor_b64 s[6:7], exec, s[8:9]
	s_cbranch_execnz .LBB59_2373
; %bb.325:
	s_or_saveexec_b64 s[6:7], s[6:7]
	v_mov_b32_e32 v11, s10
	s_xor_b64 exec, exec, s[6:7]
	s_cbranch_execnz .LBB59_2376
.LBB59_326:
	s_or_b64 exec, exec, s[6:7]
	s_and_saveexec_b64 s[6:7], s[4:5]
	s_cbranch_execz .LBB59_328
.LBB59_327:
	v_and_b32_e32 v11, 7, v12
	v_ffbh_u32_e32 v15, v11
	v_min_u32_e32 v15, 32, v15
	v_lshrrev_b16_e32 v14, 3, v12
	v_subrev_u32_e32 v20, 28, v15
	v_and_b32_e32 v14, 15, v14
	v_lshlrev_b32_e32 v20, v20, v12
	v_sub_u32_e32 v15, 29, v15
	v_and_b32_e32 v20, 7, v20
	v_cmp_eq_u16_e32 vcc, 0, v14
	v_cndmask_b32_e32 v11, v11, v20, vcc
	v_cndmask_b32_e32 v14, v14, v15, vcc
	v_lshlrev_b32_e32 v15, 24, v12
	v_mov_b32_e32 v20, 0x3b800000
	v_lshlrev_b32_e32 v11, 20, v11
	v_and_b32_e32 v15, 0x80000000, v15
	v_lshl_add_u32 v14, v14, 23, v20
	v_or3_b32 v11, v15, v14, v11
.LBB59_328:
	s_or_b64 exec, exec, s[6:7]
	s_nop 0
	v_mfma_f32_16x16x4f32 a[0:3], v10, v11, a[0:3]
	v_lshrrev_b32_e32 v11, 8, v16
	s_movk_i32 s4, 0x7f
	v_cmp_gt_i16_sdwa s[6:7], v11, s4 src0_sel:BYTE_0 src1_sel:DWORD
	s_mov_b64 s[4:5], 0
                                        ; implicit-def: $sgpr10
	s_and_saveexec_b64 s[8:9], s[6:7]
	s_xor_b64 s[6:7], exec, s[8:9]
	s_cbranch_execnz .LBB59_2377
; %bb.329:
	s_or_saveexec_b64 s[6:7], s[6:7]
	v_mov_b32_e32 v10, s10
	s_xor_b64 exec, exec, s[6:7]
	s_cbranch_execnz .LBB59_2380
.LBB59_330:
	s_or_b64 exec, exec, s[6:7]
	s_and_saveexec_b64 s[6:7], s[4:5]
	s_cbranch_execz .LBB59_332
.LBB59_331:
	v_bfe_u32 v10, v16, 8, 3
	v_ffbh_u32_e32 v15, v10
	v_min_u32_e32 v15, 32, v15
	v_lshrrev_b16_e32 v14, 3, v11
	v_subrev_u32_e32 v20, 28, v15
	v_and_b32_e32 v14, 15, v14
	v_lshlrev_b32_e32 v11, v20, v11
	v_sub_u32_e32 v15, 29, v15
	v_and_b32_e32 v11, 7, v11
	v_cmp_eq_u16_e32 vcc, 0, v14
	v_cndmask_b32_e32 v10, v10, v11, vcc
	v_cndmask_b32_e32 v11, v14, v15, vcc
	v_lshlrev_b32_e32 v14, 16, v16
	v_mov_b32_e32 v15, 0x3b800000
	v_lshlrev_b32_e32 v10, 20, v10
	v_and_b32_e32 v14, 0x80000000, v14
	v_lshl_add_u32 v11, v11, 23, v15
	v_or3_b32 v10, v14, v11, v10
.LBB59_332:
	s_or_b64 exec, exec, s[6:7]
	v_lshrrev_b32_e32 v11, 8, v12
	s_movk_i32 s4, 0x7f
	v_cmp_gt_i16_sdwa s[6:7], v11, s4 src0_sel:BYTE_0 src1_sel:DWORD
	s_mov_b64 s[4:5], 0
                                        ; implicit-def: $sgpr10
	s_and_saveexec_b64 s[8:9], s[6:7]
	s_xor_b64 s[6:7], exec, s[8:9]
	s_cbranch_execnz .LBB59_2381
; %bb.333:
	s_or_saveexec_b64 s[6:7], s[6:7]
	v_mov_b32_e32 v14, s10
	s_xor_b64 exec, exec, s[6:7]
	s_cbranch_execnz .LBB59_2384
.LBB59_334:
	s_or_b64 exec, exec, s[6:7]
	s_and_saveexec_b64 s[6:7], s[4:5]
	s_cbranch_execz .LBB59_336
.LBB59_335:
	v_bfe_u32 v14, v12, 8, 3
	v_ffbh_u32_e32 v20, v14
	v_min_u32_e32 v20, 32, v20
	v_lshrrev_b16_e32 v15, 3, v11
	v_subrev_u32_e32 v21, 28, v20
	v_and_b32_e32 v15, 15, v15
	v_lshlrev_b32_e32 v11, v21, v11
	v_sub_u32_e32 v20, 29, v20
	v_and_b32_e32 v11, 7, v11
	v_cmp_eq_u16_e32 vcc, 0, v15
	v_cndmask_b32_e32 v11, v14, v11, vcc
	v_cndmask_b32_e32 v14, v15, v20, vcc
	v_lshlrev_b32_e32 v15, 16, v12
	v_mov_b32_e32 v20, 0x3b800000
	v_lshlrev_b32_e32 v11, 20, v11
	v_and_b32_e32 v15, 0x80000000, v15
	v_lshl_add_u32 v14, v14, 23, v20
	v_or3_b32 v14, v15, v14, v11
.LBB59_336:
	s_or_b64 exec, exec, s[6:7]
	s_nop 0
	v_mfma_f32_16x16x4f32 a[0:3], v10, v14, a[0:3]
	s_movk_i32 s4, 0xff
	v_and_b32_sdwa v11, v16, s4 dst_sel:DWORD dst_unused:UNUSED_PAD src0_sel:WORD_1 src1_sel:DWORD
	s_movk_i32 s4, 0x7f
	v_cmp_lt_i16_e32 vcc, s4, v11
	s_mov_b64 s[4:5], 0
                                        ; implicit-def: $sgpr10
	s_and_saveexec_b64 s[6:7], vcc
	s_xor_b64 s[6:7], exec, s[6:7]
	s_cbranch_execnz .LBB59_2385
; %bb.337:
	s_or_saveexec_b64 s[6:7], s[6:7]
	v_mov_b32_e32 v10, s10
	s_xor_b64 exec, exec, s[6:7]
	s_cbranch_execnz .LBB59_2388
.LBB59_338:
	s_or_b64 exec, exec, s[6:7]
	s_and_saveexec_b64 s[6:7], s[4:5]
	s_cbranch_execz .LBB59_340
.LBB59_339:
	v_bfe_u32 v10, v16, 16, 3
	v_ffbh_u32_e32 v15, v10
	v_min_u32_e32 v15, 32, v15
	v_lshrrev_b32_e32 v11, 19, v16
	v_subrev_u32_e32 v20, 28, v15
	v_and_b32_e32 v11, 15, v11
	v_lshlrev_b32_sdwa v20, v20, v16 dst_sel:DWORD dst_unused:UNUSED_PAD src0_sel:DWORD src1_sel:WORD_1
	v_bfe_u32 v14, v16, 19, 4
	v_sub_u32_e32 v15, 29, v15
	v_and_b32_e32 v20, 7, v20
	v_cmp_eq_u16_e32 vcc, 0, v11
	v_cndmask_b32_e32 v10, v10, v20, vcc
	v_cndmask_b32_e32 v11, v14, v15, vcc
	v_lshlrev_b32_e32 v14, 8, v16
	v_mov_b32_e32 v15, 0x3b800000
	v_lshlrev_b32_e32 v10, 20, v10
	v_and_b32_e32 v14, 0x80000000, v14
	v_lshl_add_u32 v11, v11, 23, v15
	v_or3_b32 v10, v14, v11, v10
.LBB59_340:
	s_or_b64 exec, exec, s[6:7]
	s_movk_i32 s4, 0xff
	v_and_b32_sdwa v11, v12, s4 dst_sel:DWORD dst_unused:UNUSED_PAD src0_sel:WORD_1 src1_sel:DWORD
	s_movk_i32 s4, 0x7f
	v_cmp_lt_i16_e32 vcc, s4, v11
	s_mov_b64 s[4:5], 0
                                        ; implicit-def: $sgpr10
	s_and_saveexec_b64 s[6:7], vcc
	s_xor_b64 s[6:7], exec, s[6:7]
	s_cbranch_execnz .LBB59_2389
; %bb.341:
	s_or_saveexec_b64 s[6:7], s[6:7]
	v_mov_b32_e32 v14, s10
	s_xor_b64 exec, exec, s[6:7]
	s_cbranch_execnz .LBB59_2392
.LBB59_342:
	s_or_b64 exec, exec, s[6:7]
	s_and_saveexec_b64 s[6:7], s[4:5]
	s_cbranch_execz .LBB59_344
.LBB59_343:
	v_bfe_u32 v11, v12, 16, 3
	v_ffbh_u32_e32 v20, v11
	v_min_u32_e32 v20, 32, v20
	v_lshrrev_b32_e32 v14, 19, v12
	v_subrev_u32_e32 v21, 28, v20
	v_and_b32_e32 v14, 15, v14
	v_lshlrev_b32_sdwa v21, v21, v12 dst_sel:DWORD dst_unused:UNUSED_PAD src0_sel:DWORD src1_sel:WORD_1
	v_bfe_u32 v15, v12, 19, 4
	v_sub_u32_e32 v20, 29, v20
	v_and_b32_e32 v21, 7, v21
	v_cmp_eq_u16_e32 vcc, 0, v14
	v_cndmask_b32_e32 v11, v11, v21, vcc
	v_cndmask_b32_e32 v14, v15, v20, vcc
	v_lshlrev_b32_e32 v15, 8, v12
	v_mov_b32_e32 v20, 0x3b800000
	v_lshlrev_b32_e32 v11, 20, v11
	v_and_b32_e32 v15, 0x80000000, v15
	v_lshl_add_u32 v14, v14, 23, v20
	v_or3_b32 v14, v15, v14, v11
.LBB59_344:
	s_or_b64 exec, exec, s[6:7]
	s_nop 0
	v_mfma_f32_16x16x4f32 a[0:3], v10, v14, a[0:3]
	s_movk_i32 s4, 0x7f
	v_cmp_gt_i16_sdwa s[6:7], v16, s4 src0_sel:BYTE_3 src1_sel:DWORD
	s_mov_b64 s[4:5], 0
                                        ; implicit-def: $sgpr10
	s_and_saveexec_b64 s[8:9], s[6:7]
	s_xor_b64 s[6:7], exec, s[8:9]
	s_cbranch_execnz .LBB59_2393
; %bb.345:
	s_or_saveexec_b64 s[6:7], s[6:7]
	v_mov_b32_e32 v10, s10
	s_xor_b64 exec, exec, s[6:7]
	s_cbranch_execnz .LBB59_2396
.LBB59_346:
	s_or_b64 exec, exec, s[6:7]
	s_and_saveexec_b64 s[6:7], s[4:5]
	s_cbranch_execz .LBB59_348
.LBB59_347:
	v_bfe_u32 v10, v16, 24, 3
	v_ffbh_u32_e32 v20, v10
	v_min_u32_e32 v20, 32, v20
	v_lshrrev_b32_e32 v14, 27, v16
	v_subrev_u32_e32 v21, 28, v20
	v_and_b32_e32 v11, 0x80000000, v16
	v_and_b32_e32 v14, 15, v14
	v_bfe_u32 v15, v16, 27, 4
	v_lshlrev_b32_sdwa v16, v21, v16 dst_sel:DWORD dst_unused:UNUSED_PAD src0_sel:DWORD src1_sel:BYTE_3
	v_sub_u32_e32 v20, 29, v20
	v_and_b32_e32 v16, 7, v16
	v_cmp_eq_u16_e32 vcc, 0, v14
	v_cndmask_b32_e32 v10, v10, v16, vcc
	v_cndmask_b32_e32 v14, v15, v20, vcc
	v_mov_b32_e32 v15, 0x3b800000
	v_lshlrev_b32_e32 v10, 20, v10
	v_lshl_add_u32 v14, v14, 23, v15
	v_or3_b32 v10, v11, v14, v10
.LBB59_348:
	s_or_b64 exec, exec, s[6:7]
	s_movk_i32 s4, 0x7f
	v_cmp_gt_i16_sdwa s[6:7], v12, s4 src0_sel:BYTE_3 src1_sel:DWORD
	s_mov_b64 s[4:5], 0
                                        ; implicit-def: $sgpr10
	s_and_saveexec_b64 s[8:9], s[6:7]
	s_xor_b64 s[6:7], exec, s[8:9]
	s_cbranch_execnz .LBB59_2397
; %bb.349:
	s_or_saveexec_b64 s[6:7], s[6:7]
	v_mov_b32_e32 v11, s10
	s_xor_b64 exec, exec, s[6:7]
	s_cbranch_execnz .LBB59_2400
.LBB59_350:
	s_or_b64 exec, exec, s[6:7]
	s_and_saveexec_b64 s[6:7], s[4:5]
	s_cbranch_execz .LBB59_352
.LBB59_351:
	v_bfe_u32 v11, v12, 24, 3
	v_ffbh_u32_e32 v20, v11
	v_min_u32_e32 v20, 32, v20
	v_lshrrev_b32_e32 v15, 27, v12
	v_subrev_u32_e32 v21, 28, v20
	v_and_b32_e32 v14, 0x80000000, v12
	v_and_b32_e32 v15, 15, v15
	v_bfe_u32 v16, v12, 27, 4
	v_lshlrev_b32_sdwa v12, v21, v12 dst_sel:DWORD dst_unused:UNUSED_PAD src0_sel:DWORD src1_sel:BYTE_3
	v_sub_u32_e32 v20, 29, v20
	v_and_b32_e32 v12, 7, v12
	v_cmp_eq_u16_e32 vcc, 0, v15
	v_cndmask_b32_e32 v11, v11, v12, vcc
	v_cndmask_b32_e32 v12, v16, v20, vcc
	v_mov_b32_e32 v15, 0x3b800000
	v_lshlrev_b32_e32 v11, 20, v11
	v_lshl_add_u32 v12, v12, 23, v15
	v_or3_b32 v11, v14, v12, v11
.LBB59_352:
	s_or_b64 exec, exec, s[6:7]
	s_nop 0
	v_mfma_f32_16x16x4f32 a[0:3], v10, v11, a[0:3]
	s_movk_i32 s4, 0x7f
	v_cmp_gt_i16_sdwa s[6:7], v17, s4 src0_sel:BYTE_0 src1_sel:DWORD
	s_mov_b64 s[4:5], 0
                                        ; implicit-def: $sgpr10
	s_and_saveexec_b64 s[8:9], s[6:7]
	s_xor_b64 s[6:7], exec, s[8:9]
	s_cbranch_execnz .LBB59_2401
; %bb.353:
	s_or_saveexec_b64 s[6:7], s[6:7]
	v_mov_b32_e32 v10, s10
	s_xor_b64 exec, exec, s[6:7]
	s_cbranch_execnz .LBB59_2404
.LBB59_354:
	s_or_b64 exec, exec, s[6:7]
	s_and_saveexec_b64 s[6:7], s[4:5]
	s_cbranch_execz .LBB59_356
.LBB59_355:
	v_and_b32_e32 v10, 7, v17
	v_ffbh_u32_e32 v12, v10
	v_min_u32_e32 v12, 32, v12
	v_lshrrev_b16_e32 v11, 3, v17
	v_subrev_u32_e32 v14, 28, v12
	v_and_b32_e32 v11, 15, v11
	v_lshlrev_b32_e32 v14, v14, v17
	v_sub_u32_e32 v12, 29, v12
	v_and_b32_e32 v14, 7, v14
	v_cmp_eq_u16_e32 vcc, 0, v11
	v_cndmask_b32_e32 v10, v10, v14, vcc
	v_cndmask_b32_e32 v11, v11, v12, vcc
	v_lshlrev_b32_e32 v12, 24, v17
	v_mov_b32_e32 v14, 0x3b800000
	v_lshlrev_b32_e32 v10, 20, v10
	v_and_b32_e32 v12, 0x80000000, v12
	v_lshl_add_u32 v11, v11, 23, v14
	v_or3_b32 v10, v12, v11, v10
.LBB59_356:
	s_or_b64 exec, exec, s[6:7]
	s_movk_i32 s4, 0x7f
	v_cmp_gt_i16_sdwa s[6:7], v13, s4 src0_sel:BYTE_0 src1_sel:DWORD
	s_mov_b64 s[4:5], 0
                                        ; implicit-def: $sgpr10
	s_and_saveexec_b64 s[8:9], s[6:7]
	s_xor_b64 s[6:7], exec, s[8:9]
	s_cbranch_execnz .LBB59_2405
; %bb.357:
	s_or_saveexec_b64 s[6:7], s[6:7]
	v_mov_b32_e32 v11, s10
	s_xor_b64 exec, exec, s[6:7]
	s_cbranch_execnz .LBB59_2408
.LBB59_358:
	s_or_b64 exec, exec, s[6:7]
	s_and_saveexec_b64 s[6:7], s[4:5]
	s_cbranch_execz .LBB59_360
.LBB59_359:
	v_and_b32_e32 v11, 7, v13
	v_ffbh_u32_e32 v14, v11
	v_min_u32_e32 v14, 32, v14
	v_lshrrev_b16_e32 v12, 3, v13
	v_subrev_u32_e32 v15, 28, v14
	v_and_b32_e32 v12, 15, v12
	v_lshlrev_b32_e32 v15, v15, v13
	v_sub_u32_e32 v14, 29, v14
	v_and_b32_e32 v15, 7, v15
	v_cmp_eq_u16_e32 vcc, 0, v12
	v_cndmask_b32_e32 v11, v11, v15, vcc
	v_cndmask_b32_e32 v12, v12, v14, vcc
	v_lshlrev_b32_e32 v14, 24, v13
	v_mov_b32_e32 v15, 0x3b800000
	v_lshlrev_b32_e32 v11, 20, v11
	v_and_b32_e32 v14, 0x80000000, v14
	v_lshl_add_u32 v12, v12, 23, v15
	v_or3_b32 v11, v14, v12, v11
.LBB59_360:
	s_or_b64 exec, exec, s[6:7]
	s_nop 0
	v_mfma_f32_16x16x4f32 a[0:3], v10, v11, a[0:3]
	v_lshrrev_b32_e32 v11, 8, v17
	s_movk_i32 s4, 0x7f
	v_cmp_gt_i16_sdwa s[6:7], v11, s4 src0_sel:BYTE_0 src1_sel:DWORD
	s_mov_b64 s[4:5], 0
                                        ; implicit-def: $sgpr10
	s_and_saveexec_b64 s[8:9], s[6:7]
	s_xor_b64 s[6:7], exec, s[8:9]
	s_cbranch_execnz .LBB59_2409
; %bb.361:
	s_or_saveexec_b64 s[6:7], s[6:7]
	v_mov_b32_e32 v10, s10
	s_xor_b64 exec, exec, s[6:7]
	s_cbranch_execnz .LBB59_2412
.LBB59_362:
	s_or_b64 exec, exec, s[6:7]
	s_and_saveexec_b64 s[6:7], s[4:5]
	s_cbranch_execz .LBB59_364
.LBB59_363:
	v_bfe_u32 v10, v17, 8, 3
	v_ffbh_u32_e32 v14, v10
	v_min_u32_e32 v14, 32, v14
	v_lshrrev_b16_e32 v12, 3, v11
	v_subrev_u32_e32 v15, 28, v14
	v_and_b32_e32 v12, 15, v12
	v_lshlrev_b32_e32 v11, v15, v11
	v_sub_u32_e32 v14, 29, v14
	v_and_b32_e32 v11, 7, v11
	v_cmp_eq_u16_e32 vcc, 0, v12
	v_cndmask_b32_e32 v10, v10, v11, vcc
	v_cndmask_b32_e32 v11, v12, v14, vcc
	v_lshlrev_b32_e32 v12, 16, v17
	v_mov_b32_e32 v14, 0x3b800000
	v_lshlrev_b32_e32 v10, 20, v10
	v_and_b32_e32 v12, 0x80000000, v12
	v_lshl_add_u32 v11, v11, 23, v14
	v_or3_b32 v10, v12, v11, v10
.LBB59_364:
	s_or_b64 exec, exec, s[6:7]
	v_lshrrev_b32_e32 v11, 8, v13
	s_movk_i32 s4, 0x7f
	v_cmp_gt_i16_sdwa s[6:7], v11, s4 src0_sel:BYTE_0 src1_sel:DWORD
	s_mov_b64 s[4:5], 0
                                        ; implicit-def: $sgpr10
	s_and_saveexec_b64 s[8:9], s[6:7]
	s_xor_b64 s[6:7], exec, s[8:9]
	s_cbranch_execnz .LBB59_2413
; %bb.365:
	s_or_saveexec_b64 s[6:7], s[6:7]
	v_mov_b32_e32 v12, s10
	s_xor_b64 exec, exec, s[6:7]
	s_cbranch_execnz .LBB59_2416
.LBB59_366:
	s_or_b64 exec, exec, s[6:7]
	s_and_saveexec_b64 s[6:7], s[4:5]
	s_cbranch_execz .LBB59_368
.LBB59_367:
	v_bfe_u32 v12, v13, 8, 3
	v_ffbh_u32_e32 v15, v12
	v_min_u32_e32 v15, 32, v15
	v_lshrrev_b16_e32 v14, 3, v11
	v_subrev_u32_e32 v16, 28, v15
	v_and_b32_e32 v14, 15, v14
	v_lshlrev_b32_e32 v11, v16, v11
	v_sub_u32_e32 v15, 29, v15
	v_and_b32_e32 v11, 7, v11
	v_cmp_eq_u16_e32 vcc, 0, v14
	v_cndmask_b32_e32 v11, v12, v11, vcc
	v_cndmask_b32_e32 v12, v14, v15, vcc
	v_lshlrev_b32_e32 v14, 16, v13
	v_mov_b32_e32 v15, 0x3b800000
	v_lshlrev_b32_e32 v11, 20, v11
	v_and_b32_e32 v14, 0x80000000, v14
	v_lshl_add_u32 v12, v12, 23, v15
	v_or3_b32 v12, v14, v12, v11
.LBB59_368:
	s_or_b64 exec, exec, s[6:7]
	s_nop 0
	v_mfma_f32_16x16x4f32 a[0:3], v10, v12, a[0:3]
	s_movk_i32 s4, 0xff
	v_and_b32_sdwa v11, v17, s4 dst_sel:DWORD dst_unused:UNUSED_PAD src0_sel:WORD_1 src1_sel:DWORD
	s_movk_i32 s4, 0x7f
	v_cmp_lt_i16_e32 vcc, s4, v11
	s_mov_b64 s[4:5], 0
                                        ; implicit-def: $sgpr10
	s_and_saveexec_b64 s[6:7], vcc
	s_xor_b64 s[6:7], exec, s[6:7]
	s_cbranch_execnz .LBB59_2417
; %bb.369:
	s_or_saveexec_b64 s[6:7], s[6:7]
	v_mov_b32_e32 v10, s10
	s_xor_b64 exec, exec, s[6:7]
	s_cbranch_execnz .LBB59_2420
.LBB59_370:
	s_or_b64 exec, exec, s[6:7]
	s_and_saveexec_b64 s[6:7], s[4:5]
	s_cbranch_execz .LBB59_372
.LBB59_371:
	v_bfe_u32 v10, v17, 16, 3
	v_ffbh_u32_e32 v14, v10
	v_min_u32_e32 v14, 32, v14
	v_lshrrev_b32_e32 v11, 19, v17
	v_subrev_u32_e32 v15, 28, v14
	v_and_b32_e32 v11, 15, v11
	v_lshlrev_b32_sdwa v15, v15, v17 dst_sel:DWORD dst_unused:UNUSED_PAD src0_sel:DWORD src1_sel:WORD_1
	v_bfe_u32 v12, v17, 19, 4
	v_sub_u32_e32 v14, 29, v14
	v_and_b32_e32 v15, 7, v15
	v_cmp_eq_u16_e32 vcc, 0, v11
	v_cndmask_b32_e32 v10, v10, v15, vcc
	v_cndmask_b32_e32 v11, v12, v14, vcc
	v_lshlrev_b32_e32 v12, 8, v17
	v_mov_b32_e32 v14, 0x3b800000
	v_lshlrev_b32_e32 v10, 20, v10
	v_and_b32_e32 v12, 0x80000000, v12
	v_lshl_add_u32 v11, v11, 23, v14
	v_or3_b32 v10, v12, v11, v10
.LBB59_372:
	s_or_b64 exec, exec, s[6:7]
	s_movk_i32 s4, 0xff
	v_and_b32_sdwa v11, v13, s4 dst_sel:DWORD dst_unused:UNUSED_PAD src0_sel:WORD_1 src1_sel:DWORD
	s_movk_i32 s4, 0x7f
	v_cmp_lt_i16_e32 vcc, s4, v11
	s_mov_b64 s[4:5], 0
                                        ; implicit-def: $sgpr10
	s_and_saveexec_b64 s[6:7], vcc
	s_xor_b64 s[6:7], exec, s[6:7]
	s_cbranch_execnz .LBB59_2421
; %bb.373:
	s_or_saveexec_b64 s[6:7], s[6:7]
	v_mov_b32_e32 v12, s10
	s_xor_b64 exec, exec, s[6:7]
	s_cbranch_execnz .LBB59_2424
.LBB59_374:
	s_or_b64 exec, exec, s[6:7]
	s_and_saveexec_b64 s[6:7], s[4:5]
	s_cbranch_execz .LBB59_376
.LBB59_375:
	v_bfe_u32 v11, v13, 16, 3
	v_ffbh_u32_e32 v15, v11
	v_min_u32_e32 v15, 32, v15
	v_lshrrev_b32_e32 v12, 19, v13
	v_subrev_u32_e32 v16, 28, v15
	v_and_b32_e32 v12, 15, v12
	v_lshlrev_b32_sdwa v16, v16, v13 dst_sel:DWORD dst_unused:UNUSED_PAD src0_sel:DWORD src1_sel:WORD_1
	v_bfe_u32 v14, v13, 19, 4
	v_sub_u32_e32 v15, 29, v15
	v_and_b32_e32 v16, 7, v16
	v_cmp_eq_u16_e32 vcc, 0, v12
	v_cndmask_b32_e32 v11, v11, v16, vcc
	v_cndmask_b32_e32 v12, v14, v15, vcc
	v_lshlrev_b32_e32 v14, 8, v13
	v_mov_b32_e32 v15, 0x3b800000
	v_lshlrev_b32_e32 v11, 20, v11
	v_and_b32_e32 v14, 0x80000000, v14
	v_lshl_add_u32 v12, v12, 23, v15
	v_or3_b32 v12, v14, v12, v11
.LBB59_376:
	s_or_b64 exec, exec, s[6:7]
	s_nop 0
	v_mfma_f32_16x16x4f32 a[0:3], v10, v12, a[0:3]
	s_movk_i32 s4, 0x7f
	v_cmp_gt_i16_sdwa s[6:7], v17, s4 src0_sel:BYTE_3 src1_sel:DWORD
	s_mov_b64 s[4:5], 0
                                        ; implicit-def: $sgpr10
	s_and_saveexec_b64 s[8:9], s[6:7]
	s_xor_b64 s[6:7], exec, s[8:9]
	s_cbranch_execnz .LBB59_2425
; %bb.377:
	s_or_saveexec_b64 s[6:7], s[6:7]
	v_mov_b32_e32 v10, s10
	s_xor_b64 exec, exec, s[6:7]
	s_cbranch_execnz .LBB59_2428
.LBB59_378:
	s_or_b64 exec, exec, s[6:7]
	s_and_saveexec_b64 s[6:7], s[4:5]
	s_cbranch_execz .LBB59_380
.LBB59_379:
	v_bfe_u32 v10, v17, 24, 3
	v_ffbh_u32_e32 v15, v10
	v_min_u32_e32 v15, 32, v15
	v_lshrrev_b32_e32 v12, 27, v17
	v_subrev_u32_e32 v16, 28, v15
	v_and_b32_e32 v12, 15, v12
	v_lshlrev_b32_sdwa v16, v16, v17 dst_sel:DWORD dst_unused:UNUSED_PAD src0_sel:DWORD src1_sel:BYTE_3
	v_bfe_u32 v14, v17, 27, 4
	v_sub_u32_e32 v15, 29, v15
	v_and_b32_e32 v16, 7, v16
	v_cmp_eq_u16_e32 vcc, 0, v12
	v_cndmask_b32_e32 v10, v10, v16, vcc
	v_cndmask_b32_e32 v12, v14, v15, vcc
	v_mov_b32_e32 v14, 0x3b800000
	v_and_b32_e32 v11, 0x80000000, v17
	v_lshlrev_b32_e32 v10, 20, v10
	v_lshl_add_u32 v12, v12, 23, v14
	v_or3_b32 v10, v11, v12, v10
.LBB59_380:
	s_or_b64 exec, exec, s[6:7]
	s_movk_i32 s4, 0x7f
	v_cmp_gt_i16_sdwa s[6:7], v13, s4 src0_sel:BYTE_3 src1_sel:DWORD
	s_mov_b64 s[4:5], 0
                                        ; implicit-def: $sgpr10
	s_and_saveexec_b64 s[8:9], s[6:7]
	s_xor_b64 s[6:7], exec, s[8:9]
	s_cbranch_execnz .LBB59_2429
; %bb.381:
	s_or_saveexec_b64 s[6:7], s[6:7]
	v_mov_b32_e32 v11, s10
	s_xor_b64 exec, exec, s[6:7]
	s_cbranch_execnz .LBB59_2432
.LBB59_382:
	s_or_b64 exec, exec, s[6:7]
	s_and_saveexec_b64 s[6:7], s[4:5]
	s_cbranch_execz .LBB59_384
.LBB59_383:
	v_bfe_u32 v11, v13, 24, 3
	v_ffbh_u32_e32 v16, v11
	v_min_u32_e32 v16, 32, v16
	v_lshrrev_b32_e32 v14, 27, v13
	v_subrev_u32_e32 v17, 28, v16
	v_and_b32_e32 v12, 0x80000000, v13
	v_and_b32_e32 v14, 15, v14
	v_bfe_u32 v15, v13, 27, 4
	v_lshlrev_b32_sdwa v13, v17, v13 dst_sel:DWORD dst_unused:UNUSED_PAD src0_sel:DWORD src1_sel:BYTE_3
	v_sub_u32_e32 v16, 29, v16
	v_and_b32_e32 v13, 7, v13
	v_cmp_eq_u16_e32 vcc, 0, v14
	v_cndmask_b32_e32 v11, v11, v13, vcc
	v_cndmask_b32_e32 v13, v15, v16, vcc
	v_mov_b32_e32 v14, 0x3b800000
	v_lshlrev_b32_e32 v11, 20, v11
	v_lshl_add_u32 v13, v13, 23, v14
	v_or3_b32 v11, v12, v13, v11
.LBB59_384:
	s_or_b64 exec, exec, s[6:7]
	s_nop 0
	v_mfma_f32_16x16x4f32 a[0:3], v10, v11, a[0:3]
	s_movk_i32 s4, 0x7f
	v_cmp_gt_i16_sdwa s[6:7], v6, s4 src0_sel:BYTE_0 src1_sel:DWORD
	s_mov_b64 s[4:5], 0
                                        ; implicit-def: $sgpr10
	s_and_saveexec_b64 s[8:9], s[6:7]
	s_xor_b64 s[6:7], exec, s[8:9]
	s_cbranch_execnz .LBB59_2433
; %bb.385:
	s_or_saveexec_b64 s[6:7], s[6:7]
	v_mov_b32_e32 v10, s10
	s_xor_b64 exec, exec, s[6:7]
	s_cbranch_execnz .LBB59_2436
.LBB59_386:
	s_or_b64 exec, exec, s[6:7]
	s_and_saveexec_b64 s[6:7], s[4:5]
	s_cbranch_execz .LBB59_388
.LBB59_387:
	v_and_b32_e32 v10, 7, v6
	v_ffbh_u32_e32 v12, v10
	v_min_u32_e32 v12, 32, v12
	v_lshrrev_b16_e32 v11, 3, v6
	v_subrev_u32_e32 v13, 28, v12
	v_and_b32_e32 v11, 15, v11
	v_lshlrev_b32_e32 v13, v13, v6
	v_sub_u32_e32 v12, 29, v12
	v_and_b32_e32 v13, 7, v13
	v_cmp_eq_u16_e32 vcc, 0, v11
	v_cndmask_b32_e32 v10, v10, v13, vcc
	v_cndmask_b32_e32 v11, v11, v12, vcc
	v_lshlrev_b32_e32 v12, 24, v6
	v_mov_b32_e32 v13, 0x3b800000
	v_lshlrev_b32_e32 v10, 20, v10
	v_and_b32_e32 v12, 0x80000000, v12
	v_lshl_add_u32 v11, v11, 23, v13
	v_or3_b32 v10, v12, v11, v10
.LBB59_388:
	s_or_b64 exec, exec, s[6:7]
	s_movk_i32 s4, 0x7f
	v_cmp_gt_i16_sdwa s[6:7], v2, s4 src0_sel:BYTE_0 src1_sel:DWORD
	s_mov_b64 s[4:5], 0
                                        ; implicit-def: $sgpr10
	s_and_saveexec_b64 s[8:9], s[6:7]
	s_xor_b64 s[6:7], exec, s[8:9]
	s_cbranch_execnz .LBB59_2437
; %bb.389:
	s_or_saveexec_b64 s[6:7], s[6:7]
	v_mov_b32_e32 v11, s10
	s_xor_b64 exec, exec, s[6:7]
	s_cbranch_execnz .LBB59_2440
.LBB59_390:
	s_or_b64 exec, exec, s[6:7]
	s_and_saveexec_b64 s[6:7], s[4:5]
	s_cbranch_execz .LBB59_392
.LBB59_391:
	v_and_b32_e32 v11, 7, v2
	v_ffbh_u32_e32 v13, v11
	v_min_u32_e32 v13, 32, v13
	v_lshrrev_b16_e32 v12, 3, v2
	v_subrev_u32_e32 v14, 28, v13
	v_and_b32_e32 v12, 15, v12
	v_lshlrev_b32_e32 v14, v14, v2
	v_sub_u32_e32 v13, 29, v13
	v_and_b32_e32 v14, 7, v14
	v_cmp_eq_u16_e32 vcc, 0, v12
	v_cndmask_b32_e32 v11, v11, v14, vcc
	v_cndmask_b32_e32 v12, v12, v13, vcc
	v_lshlrev_b32_e32 v13, 24, v2
	v_mov_b32_e32 v14, 0x3b800000
	v_lshlrev_b32_e32 v11, 20, v11
	v_and_b32_e32 v13, 0x80000000, v13
	v_lshl_add_u32 v12, v12, 23, v14
	v_or3_b32 v11, v13, v12, v11
.LBB59_392:
	s_or_b64 exec, exec, s[6:7]
	s_nop 0
	v_mfma_f32_16x16x4f32 a[0:3], v10, v11, a[0:3]
	v_lshrrev_b32_e32 v11, 8, v6
	s_movk_i32 s4, 0x7f
	v_cmp_gt_i16_sdwa s[6:7], v11, s4 src0_sel:BYTE_0 src1_sel:DWORD
	s_mov_b64 s[4:5], 0
                                        ; implicit-def: $sgpr10
	s_and_saveexec_b64 s[8:9], s[6:7]
	s_xor_b64 s[6:7], exec, s[8:9]
	s_cbranch_execnz .LBB59_2441
; %bb.393:
	s_or_saveexec_b64 s[6:7], s[6:7]
	v_mov_b32_e32 v10, s10
	s_xor_b64 exec, exec, s[6:7]
	s_cbranch_execnz .LBB59_2444
.LBB59_394:
	s_or_b64 exec, exec, s[6:7]
	s_and_saveexec_b64 s[6:7], s[4:5]
	s_cbranch_execz .LBB59_396
.LBB59_395:
	v_bfe_u32 v10, v6, 8, 3
	v_ffbh_u32_e32 v13, v10
	v_min_u32_e32 v13, 32, v13
	v_lshrrev_b16_e32 v12, 3, v11
	v_subrev_u32_e32 v14, 28, v13
	v_and_b32_e32 v12, 15, v12
	v_lshlrev_b32_e32 v11, v14, v11
	v_sub_u32_e32 v13, 29, v13
	v_and_b32_e32 v11, 7, v11
	v_cmp_eq_u16_e32 vcc, 0, v12
	v_cndmask_b32_e32 v10, v10, v11, vcc
	v_cndmask_b32_e32 v11, v12, v13, vcc
	v_lshlrev_b32_e32 v12, 16, v6
	v_mov_b32_e32 v13, 0x3b800000
	v_lshlrev_b32_e32 v10, 20, v10
	v_and_b32_e32 v12, 0x80000000, v12
	v_lshl_add_u32 v11, v11, 23, v13
	v_or3_b32 v10, v12, v11, v10
.LBB59_396:
	s_or_b64 exec, exec, s[6:7]
	v_lshrrev_b32_e32 v11, 8, v2
	s_movk_i32 s4, 0x7f
	v_cmp_gt_i16_sdwa s[6:7], v11, s4 src0_sel:BYTE_0 src1_sel:DWORD
	s_mov_b64 s[4:5], 0
                                        ; implicit-def: $sgpr10
	s_and_saveexec_b64 s[8:9], s[6:7]
	s_xor_b64 s[6:7], exec, s[8:9]
	s_cbranch_execnz .LBB59_2445
; %bb.397:
	s_or_saveexec_b64 s[6:7], s[6:7]
	v_mov_b32_e32 v12, s10
	s_xor_b64 exec, exec, s[6:7]
	s_cbranch_execnz .LBB59_2448
.LBB59_398:
	s_or_b64 exec, exec, s[6:7]
	s_and_saveexec_b64 s[6:7], s[4:5]
	s_cbranch_execz .LBB59_400
.LBB59_399:
	v_bfe_u32 v12, v2, 8, 3
	v_ffbh_u32_e32 v14, v12
	v_min_u32_e32 v14, 32, v14
	v_lshrrev_b16_e32 v13, 3, v11
	v_subrev_u32_e32 v15, 28, v14
	v_and_b32_e32 v13, 15, v13
	v_lshlrev_b32_e32 v11, v15, v11
	v_sub_u32_e32 v14, 29, v14
	v_and_b32_e32 v11, 7, v11
	v_cmp_eq_u16_e32 vcc, 0, v13
	v_cndmask_b32_e32 v11, v12, v11, vcc
	v_cndmask_b32_e32 v12, v13, v14, vcc
	v_lshlrev_b32_e32 v13, 16, v2
	v_mov_b32_e32 v14, 0x3b800000
	v_lshlrev_b32_e32 v11, 20, v11
	v_and_b32_e32 v13, 0x80000000, v13
	v_lshl_add_u32 v12, v12, 23, v14
	v_or3_b32 v12, v13, v12, v11
.LBB59_400:
	s_or_b64 exec, exec, s[6:7]
	s_nop 0
	v_mfma_f32_16x16x4f32 a[0:3], v10, v12, a[0:3]
	s_movk_i32 s4, 0xff
	v_and_b32_sdwa v11, v6, s4 dst_sel:DWORD dst_unused:UNUSED_PAD src0_sel:WORD_1 src1_sel:DWORD
	s_movk_i32 s4, 0x7f
	v_cmp_lt_i16_e32 vcc, s4, v11
	s_mov_b64 s[4:5], 0
                                        ; implicit-def: $sgpr10
	s_and_saveexec_b64 s[6:7], vcc
	s_xor_b64 s[6:7], exec, s[6:7]
	s_cbranch_execnz .LBB59_2449
; %bb.401:
	s_or_saveexec_b64 s[6:7], s[6:7]
	v_mov_b32_e32 v10, s10
	s_xor_b64 exec, exec, s[6:7]
	s_cbranch_execnz .LBB59_2452
.LBB59_402:
	s_or_b64 exec, exec, s[6:7]
	s_and_saveexec_b64 s[6:7], s[4:5]
	s_cbranch_execz .LBB59_404
.LBB59_403:
	v_bfe_u32 v10, v6, 16, 3
	v_ffbh_u32_e32 v13, v10
	v_min_u32_e32 v13, 32, v13
	v_lshrrev_b32_e32 v11, 19, v6
	v_subrev_u32_e32 v14, 28, v13
	v_and_b32_e32 v11, 15, v11
	v_lshlrev_b32_sdwa v14, v14, v6 dst_sel:DWORD dst_unused:UNUSED_PAD src0_sel:DWORD src1_sel:WORD_1
	v_bfe_u32 v12, v6, 19, 4
	v_sub_u32_e32 v13, 29, v13
	v_and_b32_e32 v14, 7, v14
	v_cmp_eq_u16_e32 vcc, 0, v11
	v_cndmask_b32_e32 v10, v10, v14, vcc
	v_cndmask_b32_e32 v11, v12, v13, vcc
	v_lshlrev_b32_e32 v12, 8, v6
	v_mov_b32_e32 v13, 0x3b800000
	v_lshlrev_b32_e32 v10, 20, v10
	v_and_b32_e32 v12, 0x80000000, v12
	v_lshl_add_u32 v11, v11, 23, v13
	v_or3_b32 v10, v12, v11, v10
.LBB59_404:
	s_or_b64 exec, exec, s[6:7]
	s_movk_i32 s4, 0xff
	v_and_b32_sdwa v11, v2, s4 dst_sel:DWORD dst_unused:UNUSED_PAD src0_sel:WORD_1 src1_sel:DWORD
	s_movk_i32 s4, 0x7f
	v_cmp_lt_i16_e32 vcc, s4, v11
	s_mov_b64 s[4:5], 0
                                        ; implicit-def: $sgpr10
	s_and_saveexec_b64 s[6:7], vcc
	s_xor_b64 s[6:7], exec, s[6:7]
	s_cbranch_execnz .LBB59_2453
; %bb.405:
	s_or_saveexec_b64 s[6:7], s[6:7]
	v_mov_b32_e32 v12, s10
	s_xor_b64 exec, exec, s[6:7]
	s_cbranch_execnz .LBB59_2456
.LBB59_406:
	s_or_b64 exec, exec, s[6:7]
	s_and_saveexec_b64 s[6:7], s[4:5]
	s_cbranch_execz .LBB59_408
.LBB59_407:
	v_bfe_u32 v11, v2, 16, 3
	v_ffbh_u32_e32 v14, v11
	v_min_u32_e32 v14, 32, v14
	v_lshrrev_b32_e32 v12, 19, v2
	v_subrev_u32_e32 v15, 28, v14
	v_and_b32_e32 v12, 15, v12
	v_lshlrev_b32_sdwa v15, v15, v2 dst_sel:DWORD dst_unused:UNUSED_PAD src0_sel:DWORD src1_sel:WORD_1
	v_bfe_u32 v13, v2, 19, 4
	v_sub_u32_e32 v14, 29, v14
	v_and_b32_e32 v15, 7, v15
	v_cmp_eq_u16_e32 vcc, 0, v12
	v_cndmask_b32_e32 v11, v11, v15, vcc
	v_cndmask_b32_e32 v12, v13, v14, vcc
	v_lshlrev_b32_e32 v13, 8, v2
	v_mov_b32_e32 v14, 0x3b800000
	v_lshlrev_b32_e32 v11, 20, v11
	v_and_b32_e32 v13, 0x80000000, v13
	v_lshl_add_u32 v12, v12, 23, v14
	v_or3_b32 v12, v13, v12, v11
.LBB59_408:
	s_or_b64 exec, exec, s[6:7]
	s_nop 0
	v_mfma_f32_16x16x4f32 a[0:3], v10, v12, a[0:3]
	s_movk_i32 s4, 0x7f
	v_cmp_gt_i16_sdwa s[6:7], v6, s4 src0_sel:BYTE_3 src1_sel:DWORD
	s_mov_b64 s[4:5], 0
                                        ; implicit-def: $sgpr10
	s_and_saveexec_b64 s[8:9], s[6:7]
	s_xor_b64 s[6:7], exec, s[8:9]
	s_cbranch_execnz .LBB59_2457
; %bb.409:
	s_or_saveexec_b64 s[6:7], s[6:7]
	v_mov_b32_e32 v10, s10
	s_xor_b64 exec, exec, s[6:7]
	s_cbranch_execnz .LBB59_2460
.LBB59_410:
	s_or_b64 exec, exec, s[6:7]
	s_and_saveexec_b64 s[6:7], s[4:5]
	s_cbranch_execz .LBB59_412
.LBB59_411:
	v_bfe_u32 v10, v6, 24, 3
	v_ffbh_u32_e32 v14, v10
	v_min_u32_e32 v14, 32, v14
	v_lshrrev_b32_e32 v12, 27, v6
	v_subrev_u32_e32 v15, 28, v14
	v_and_b32_e32 v11, 0x80000000, v6
	v_and_b32_e32 v12, 15, v12
	v_bfe_u32 v13, v6, 27, 4
	v_lshlrev_b32_sdwa v6, v15, v6 dst_sel:DWORD dst_unused:UNUSED_PAD src0_sel:DWORD src1_sel:BYTE_3
	v_sub_u32_e32 v14, 29, v14
	v_and_b32_e32 v6, 7, v6
	v_cmp_eq_u16_e32 vcc, 0, v12
	v_cndmask_b32_e32 v6, v10, v6, vcc
	v_cndmask_b32_e32 v10, v13, v14, vcc
	v_mov_b32_e32 v12, 0x3b800000
	v_lshlrev_b32_e32 v6, 20, v6
	v_lshl_add_u32 v10, v10, 23, v12
	v_or3_b32 v10, v11, v10, v6
.LBB59_412:
	s_or_b64 exec, exec, s[6:7]
	s_movk_i32 s4, 0x7f
	v_cmp_gt_i16_sdwa s[6:7], v2, s4 src0_sel:BYTE_3 src1_sel:DWORD
	s_mov_b64 s[4:5], 0
                                        ; implicit-def: $sgpr10
	s_and_saveexec_b64 s[8:9], s[6:7]
	s_xor_b64 s[6:7], exec, s[8:9]
	s_cbranch_execnz .LBB59_2461
; %bb.413:
	s_or_saveexec_b64 s[6:7], s[6:7]
	v_mov_b32_e32 v6, s10
	s_xor_b64 exec, exec, s[6:7]
	s_cbranch_execnz .LBB59_2464
.LBB59_414:
	s_or_b64 exec, exec, s[6:7]
	s_and_saveexec_b64 s[6:7], s[4:5]
	s_cbranch_execz .LBB59_416
.LBB59_415:
	v_bfe_u32 v6, v2, 24, 3
	v_ffbh_u32_e32 v14, v6
	v_min_u32_e32 v14, 32, v14
	v_lshrrev_b32_e32 v12, 27, v2
	v_subrev_u32_e32 v15, 28, v14
	v_and_b32_e32 v11, 0x80000000, v2
	v_and_b32_e32 v12, 15, v12
	v_bfe_u32 v13, v2, 27, 4
	v_lshlrev_b32_sdwa v2, v15, v2 dst_sel:DWORD dst_unused:UNUSED_PAD src0_sel:DWORD src1_sel:BYTE_3
	v_sub_u32_e32 v14, 29, v14
	v_and_b32_e32 v2, 7, v2
	v_cmp_eq_u16_e32 vcc, 0, v12
	v_cndmask_b32_e32 v2, v6, v2, vcc
	v_cndmask_b32_e32 v6, v13, v14, vcc
	v_mov_b32_e32 v12, 0x3b800000
	v_lshlrev_b32_e32 v2, 20, v2
	v_lshl_add_u32 v6, v6, 23, v12
	v_or3_b32 v6, v11, v6, v2
.LBB59_416:
	s_or_b64 exec, exec, s[6:7]
	s_nop 0
	v_mfma_f32_16x16x4f32 a[0:3], v10, v6, a[0:3]
	s_movk_i32 s4, 0x7f
	v_cmp_gt_i16_sdwa s[6:7], v7, s4 src0_sel:BYTE_0 src1_sel:DWORD
	s_mov_b64 s[4:5], 0
                                        ; implicit-def: $sgpr10
	s_and_saveexec_b64 s[8:9], s[6:7]
	s_xor_b64 s[6:7], exec, s[8:9]
	s_cbranch_execnz .LBB59_2465
; %bb.417:
	s_or_saveexec_b64 s[6:7], s[6:7]
	v_mov_b32_e32 v2, s10
	s_xor_b64 exec, exec, s[6:7]
	s_cbranch_execnz .LBB59_2468
.LBB59_418:
	s_or_b64 exec, exec, s[6:7]
	s_and_saveexec_b64 s[6:7], s[4:5]
	s_cbranch_execz .LBB59_420
.LBB59_419:
	v_and_b32_e32 v2, 7, v7
	v_ffbh_u32_e32 v10, v2
	v_min_u32_e32 v10, 32, v10
	v_lshrrev_b16_e32 v6, 3, v7
	v_subrev_u32_e32 v11, 28, v10
	v_and_b32_e32 v6, 15, v6
	v_lshlrev_b32_e32 v11, v11, v7
	v_sub_u32_e32 v10, 29, v10
	v_and_b32_e32 v11, 7, v11
	v_cmp_eq_u16_e32 vcc, 0, v6
	v_cndmask_b32_e32 v2, v2, v11, vcc
	v_cndmask_b32_e32 v6, v6, v10, vcc
	v_lshlrev_b32_e32 v10, 24, v7
	v_mov_b32_e32 v11, 0x3b800000
	v_lshlrev_b32_e32 v2, 20, v2
	v_and_b32_e32 v10, 0x80000000, v10
	v_lshl_add_u32 v6, v6, 23, v11
	v_or3_b32 v2, v10, v6, v2
.LBB59_420:
	s_or_b64 exec, exec, s[6:7]
	s_movk_i32 s4, 0x7f
	v_cmp_gt_i16_sdwa s[6:7], v3, s4 src0_sel:BYTE_0 src1_sel:DWORD
	s_mov_b64 s[4:5], 0
                                        ; implicit-def: $sgpr10
	s_and_saveexec_b64 s[8:9], s[6:7]
	s_xor_b64 s[6:7], exec, s[8:9]
	s_cbranch_execnz .LBB59_2469
; %bb.421:
	s_or_saveexec_b64 s[6:7], s[6:7]
	v_mov_b32_e32 v6, s10
	s_xor_b64 exec, exec, s[6:7]
	s_cbranch_execnz .LBB59_2472
.LBB59_422:
	s_or_b64 exec, exec, s[6:7]
	s_and_saveexec_b64 s[6:7], s[4:5]
	s_cbranch_execz .LBB59_424
.LBB59_423:
	v_and_b32_e32 v6, 7, v3
	v_ffbh_u32_e32 v11, v6
	v_min_u32_e32 v11, 32, v11
	v_lshrrev_b16_e32 v10, 3, v3
	v_subrev_u32_e32 v12, 28, v11
	v_and_b32_e32 v10, 15, v10
	v_lshlrev_b32_e32 v12, v12, v3
	v_sub_u32_e32 v11, 29, v11
	v_and_b32_e32 v12, 7, v12
	v_cmp_eq_u16_e32 vcc, 0, v10
	v_cndmask_b32_e32 v6, v6, v12, vcc
	v_cndmask_b32_e32 v10, v10, v11, vcc
	v_lshlrev_b32_e32 v11, 24, v3
	v_mov_b32_e32 v12, 0x3b800000
	v_lshlrev_b32_e32 v6, 20, v6
	v_and_b32_e32 v11, 0x80000000, v11
	v_lshl_add_u32 v10, v10, 23, v12
	v_or3_b32 v6, v11, v10, v6
.LBB59_424:
	s_or_b64 exec, exec, s[6:7]
	s_nop 0
	v_mfma_f32_16x16x4f32 a[0:3], v2, v6, a[0:3]
	v_lshrrev_b32_e32 v6, 8, v7
	s_movk_i32 s4, 0x7f
	v_cmp_gt_i16_sdwa s[6:7], v6, s4 src0_sel:BYTE_0 src1_sel:DWORD
	s_mov_b64 s[4:5], 0
                                        ; implicit-def: $sgpr10
	s_and_saveexec_b64 s[8:9], s[6:7]
	s_xor_b64 s[6:7], exec, s[8:9]
	s_cbranch_execnz .LBB59_2473
; %bb.425:
	s_or_saveexec_b64 s[6:7], s[6:7]
	v_mov_b32_e32 v2, s10
	s_xor_b64 exec, exec, s[6:7]
	s_cbranch_execnz .LBB59_2476
.LBB59_426:
	s_or_b64 exec, exec, s[6:7]
	s_and_saveexec_b64 s[6:7], s[4:5]
	s_cbranch_execz .LBB59_428
.LBB59_427:
	v_bfe_u32 v2, v7, 8, 3
	v_ffbh_u32_e32 v11, v2
	v_min_u32_e32 v11, 32, v11
	v_lshrrev_b16_e32 v10, 3, v6
	v_subrev_u32_e32 v12, 28, v11
	v_and_b32_e32 v10, 15, v10
	v_lshlrev_b32_e32 v6, v12, v6
	v_sub_u32_e32 v11, 29, v11
	v_and_b32_e32 v6, 7, v6
	v_cmp_eq_u16_e32 vcc, 0, v10
	v_cndmask_b32_e32 v2, v2, v6, vcc
	v_cndmask_b32_e32 v6, v10, v11, vcc
	v_lshlrev_b32_e32 v10, 16, v7
	v_mov_b32_e32 v11, 0x3b800000
	v_lshlrev_b32_e32 v2, 20, v2
	v_and_b32_e32 v10, 0x80000000, v10
	v_lshl_add_u32 v6, v6, 23, v11
	v_or3_b32 v2, v10, v6, v2
.LBB59_428:
	s_or_b64 exec, exec, s[6:7]
	v_lshrrev_b32_e32 v6, 8, v3
	s_movk_i32 s4, 0x7f
	v_cmp_gt_i16_sdwa s[6:7], v6, s4 src0_sel:BYTE_0 src1_sel:DWORD
	s_mov_b64 s[4:5], 0
                                        ; implicit-def: $sgpr10
	s_and_saveexec_b64 s[8:9], s[6:7]
	s_xor_b64 s[6:7], exec, s[8:9]
	s_cbranch_execnz .LBB59_2477
; %bb.429:
	s_or_saveexec_b64 s[6:7], s[6:7]
	v_mov_b32_e32 v10, s10
	s_xor_b64 exec, exec, s[6:7]
	s_cbranch_execnz .LBB59_2480
.LBB59_430:
	s_or_b64 exec, exec, s[6:7]
	s_and_saveexec_b64 s[6:7], s[4:5]
	s_cbranch_execz .LBB59_432
.LBB59_431:
	v_bfe_u32 v10, v3, 8, 3
	v_ffbh_u32_e32 v12, v10
	v_min_u32_e32 v12, 32, v12
	v_lshrrev_b16_e32 v11, 3, v6
	v_subrev_u32_e32 v13, 28, v12
	v_and_b32_e32 v11, 15, v11
	v_lshlrev_b32_e32 v6, v13, v6
	v_sub_u32_e32 v12, 29, v12
	v_and_b32_e32 v6, 7, v6
	v_cmp_eq_u16_e32 vcc, 0, v11
	v_cndmask_b32_e32 v6, v10, v6, vcc
	v_cndmask_b32_e32 v10, v11, v12, vcc
	v_lshlrev_b32_e32 v11, 16, v3
	v_mov_b32_e32 v12, 0x3b800000
	v_lshlrev_b32_e32 v6, 20, v6
	v_and_b32_e32 v11, 0x80000000, v11
	v_lshl_add_u32 v10, v10, 23, v12
	v_or3_b32 v10, v11, v10, v6
.LBB59_432:
	s_or_b64 exec, exec, s[6:7]
	s_nop 0
	v_mfma_f32_16x16x4f32 a[0:3], v2, v10, a[0:3]
	s_movk_i32 s4, 0xff
	v_and_b32_sdwa v6, v7, s4 dst_sel:DWORD dst_unused:UNUSED_PAD src0_sel:WORD_1 src1_sel:DWORD
	s_movk_i32 s4, 0x7f
	v_cmp_lt_i16_e32 vcc, s4, v6
	s_mov_b64 s[4:5], 0
                                        ; implicit-def: $sgpr10
	s_and_saveexec_b64 s[6:7], vcc
	s_xor_b64 s[6:7], exec, s[6:7]
	s_cbranch_execnz .LBB59_2481
; %bb.433:
	s_or_saveexec_b64 s[6:7], s[6:7]
	v_mov_b32_e32 v2, s10
	s_xor_b64 exec, exec, s[6:7]
	s_cbranch_execnz .LBB59_2484
.LBB59_434:
	s_or_b64 exec, exec, s[6:7]
	s_and_saveexec_b64 s[6:7], s[4:5]
	s_cbranch_execz .LBB59_436
.LBB59_435:
	v_bfe_u32 v2, v7, 16, 3
	v_ffbh_u32_e32 v11, v2
	v_min_u32_e32 v11, 32, v11
	v_lshrrev_b32_e32 v6, 19, v7
	v_subrev_u32_e32 v12, 28, v11
	v_and_b32_e32 v6, 15, v6
	v_lshlrev_b32_sdwa v12, v12, v7 dst_sel:DWORD dst_unused:UNUSED_PAD src0_sel:DWORD src1_sel:WORD_1
	v_bfe_u32 v10, v7, 19, 4
	v_sub_u32_e32 v11, 29, v11
	v_and_b32_e32 v12, 7, v12
	v_cmp_eq_u16_e32 vcc, 0, v6
	v_cndmask_b32_e32 v2, v2, v12, vcc
	v_cndmask_b32_e32 v6, v10, v11, vcc
	v_lshlrev_b32_e32 v10, 8, v7
	v_mov_b32_e32 v11, 0x3b800000
	v_lshlrev_b32_e32 v2, 20, v2
	v_and_b32_e32 v10, 0x80000000, v10
	v_lshl_add_u32 v6, v6, 23, v11
	v_or3_b32 v2, v10, v6, v2
.LBB59_436:
	s_or_b64 exec, exec, s[6:7]
	s_movk_i32 s4, 0xff
	v_and_b32_sdwa v6, v3, s4 dst_sel:DWORD dst_unused:UNUSED_PAD src0_sel:WORD_1 src1_sel:DWORD
	s_movk_i32 s4, 0x7f
	v_cmp_lt_i16_e32 vcc, s4, v6
	s_mov_b64 s[4:5], 0
                                        ; implicit-def: $sgpr10
	s_and_saveexec_b64 s[6:7], vcc
	s_xor_b64 s[6:7], exec, s[6:7]
	s_cbranch_execnz .LBB59_2485
; %bb.437:
	s_or_saveexec_b64 s[6:7], s[6:7]
	v_mov_b32_e32 v10, s10
	s_xor_b64 exec, exec, s[6:7]
	s_cbranch_execnz .LBB59_2488
.LBB59_438:
	s_or_b64 exec, exec, s[6:7]
	s_and_saveexec_b64 s[6:7], s[4:5]
	s_cbranch_execz .LBB59_440
.LBB59_439:
	v_bfe_u32 v6, v3, 16, 3
	v_ffbh_u32_e32 v12, v6
	v_min_u32_e32 v12, 32, v12
	v_lshrrev_b32_e32 v10, 19, v3
	v_subrev_u32_e32 v13, 28, v12
	v_and_b32_e32 v10, 15, v10
	v_lshlrev_b32_sdwa v13, v13, v3 dst_sel:DWORD dst_unused:UNUSED_PAD src0_sel:DWORD src1_sel:WORD_1
	v_bfe_u32 v11, v3, 19, 4
	v_sub_u32_e32 v12, 29, v12
	v_and_b32_e32 v13, 7, v13
	v_cmp_eq_u16_e32 vcc, 0, v10
	v_cndmask_b32_e32 v6, v6, v13, vcc
	v_cndmask_b32_e32 v10, v11, v12, vcc
	v_lshlrev_b32_e32 v11, 8, v3
	v_mov_b32_e32 v12, 0x3b800000
	v_lshlrev_b32_e32 v6, 20, v6
	v_and_b32_e32 v11, 0x80000000, v11
	v_lshl_add_u32 v10, v10, 23, v12
	v_or3_b32 v10, v11, v10, v6
.LBB59_440:
	s_or_b64 exec, exec, s[6:7]
	s_nop 0
	v_mfma_f32_16x16x4f32 a[0:3], v2, v10, a[0:3]
	s_movk_i32 s4, 0x7f
	v_cmp_gt_i16_sdwa s[6:7], v7, s4 src0_sel:BYTE_3 src1_sel:DWORD
	s_mov_b64 s[4:5], 0
                                        ; implicit-def: $sgpr10
	s_and_saveexec_b64 s[8:9], s[6:7]
	s_xor_b64 s[6:7], exec, s[8:9]
	s_cbranch_execnz .LBB59_2489
; %bb.441:
	s_or_saveexec_b64 s[6:7], s[6:7]
	v_mov_b32_e32 v2, s10
	s_xor_b64 exec, exec, s[6:7]
	s_cbranch_execnz .LBB59_2492
.LBB59_442:
	s_or_b64 exec, exec, s[6:7]
	s_and_saveexec_b64 s[6:7], s[4:5]
	s_cbranch_execz .LBB59_444
.LBB59_443:
	v_bfe_u32 v2, v7, 24, 3
	v_ffbh_u32_e32 v12, v2
	v_min_u32_e32 v12, 32, v12
	v_lshrrev_b32_e32 v10, 27, v7
	v_subrev_u32_e32 v13, 28, v12
	v_and_b32_e32 v6, 0x80000000, v7
	v_and_b32_e32 v10, 15, v10
	v_bfe_u32 v11, v7, 27, 4
	v_lshlrev_b32_sdwa v7, v13, v7 dst_sel:DWORD dst_unused:UNUSED_PAD src0_sel:DWORD src1_sel:BYTE_3
	v_sub_u32_e32 v12, 29, v12
	v_and_b32_e32 v7, 7, v7
	v_cmp_eq_u16_e32 vcc, 0, v10
	v_cndmask_b32_e32 v2, v2, v7, vcc
	v_cndmask_b32_e32 v7, v11, v12, vcc
	v_mov_b32_e32 v10, 0x3b800000
	v_lshlrev_b32_e32 v2, 20, v2
	v_lshl_add_u32 v7, v7, 23, v10
	v_or3_b32 v2, v6, v7, v2
.LBB59_444:
	s_or_b64 exec, exec, s[6:7]
	s_movk_i32 s4, 0x7f
	v_cmp_gt_i16_sdwa s[6:7], v3, s4 src0_sel:BYTE_3 src1_sel:DWORD
	s_mov_b64 s[4:5], 0
                                        ; implicit-def: $sgpr10
	s_and_saveexec_b64 s[8:9], s[6:7]
	s_xor_b64 s[6:7], exec, s[8:9]
	s_cbranch_execnz .LBB59_2493
; %bb.445:
	s_or_saveexec_b64 s[6:7], s[6:7]
	v_mov_b32_e32 v6, s10
	s_xor_b64 exec, exec, s[6:7]
	s_cbranch_execnz .LBB59_2496
.LBB59_446:
	s_or_b64 exec, exec, s[6:7]
	s_and_saveexec_b64 s[6:7], s[4:5]
	s_cbranch_execz .LBB59_448
.LBB59_447:
	v_bfe_u32 v6, v3, 24, 3
	v_ffbh_u32_e32 v12, v6
	v_min_u32_e32 v12, 32, v12
	v_lshrrev_b32_e32 v10, 27, v3
	v_subrev_u32_e32 v13, 28, v12
	v_and_b32_e32 v7, 0x80000000, v3
	v_and_b32_e32 v10, 15, v10
	v_bfe_u32 v11, v3, 27, 4
	v_lshlrev_b32_sdwa v3, v13, v3 dst_sel:DWORD dst_unused:UNUSED_PAD src0_sel:DWORD src1_sel:BYTE_3
	v_sub_u32_e32 v12, 29, v12
	v_and_b32_e32 v3, 7, v3
	v_cmp_eq_u16_e32 vcc, 0, v10
	v_cndmask_b32_e32 v3, v6, v3, vcc
	v_cndmask_b32_e32 v6, v11, v12, vcc
	v_mov_b32_e32 v10, 0x3b800000
	v_lshlrev_b32_e32 v3, 20, v3
	v_lshl_add_u32 v6, v6, 23, v10
	v_or3_b32 v6, v7, v6, v3
.LBB59_448:
	s_or_b64 exec, exec, s[6:7]
	s_nop 0
	v_mfma_f32_16x16x4f32 a[0:3], v2, v6, a[0:3]
	s_movk_i32 s4, 0x7f
	v_cmp_gt_i16_sdwa s[6:7], v8, s4 src0_sel:BYTE_0 src1_sel:DWORD
	s_mov_b64 s[4:5], 0
                                        ; implicit-def: $sgpr10
	s_and_saveexec_b64 s[8:9], s[6:7]
	s_xor_b64 s[6:7], exec, s[8:9]
	s_cbranch_execnz .LBB59_2497
; %bb.449:
	s_or_saveexec_b64 s[6:7], s[6:7]
	v_mov_b32_e32 v2, s10
	s_xor_b64 exec, exec, s[6:7]
	s_cbranch_execnz .LBB59_2500
.LBB59_450:
	s_or_b64 exec, exec, s[6:7]
	s_and_saveexec_b64 s[6:7], s[4:5]
	s_cbranch_execz .LBB59_452
.LBB59_451:
	v_and_b32_e32 v2, 7, v8
	v_ffbh_u32_e32 v6, v2
	v_min_u32_e32 v6, 32, v6
	v_lshrrev_b16_e32 v3, 3, v8
	v_subrev_u32_e32 v7, 28, v6
	v_and_b32_e32 v3, 15, v3
	v_lshlrev_b32_e32 v7, v7, v8
	v_sub_u32_e32 v6, 29, v6
	v_and_b32_e32 v7, 7, v7
	v_cmp_eq_u16_e32 vcc, 0, v3
	v_cndmask_b32_e32 v2, v2, v7, vcc
	v_cndmask_b32_e32 v3, v3, v6, vcc
	v_lshlrev_b32_e32 v6, 24, v8
	v_mov_b32_e32 v7, 0x3b800000
	v_lshlrev_b32_e32 v2, 20, v2
	v_and_b32_e32 v6, 0x80000000, v6
	v_lshl_add_u32 v3, v3, 23, v7
	v_or3_b32 v2, v6, v3, v2
.LBB59_452:
	s_or_b64 exec, exec, s[6:7]
	s_movk_i32 s4, 0x7f
	v_cmp_gt_i16_sdwa s[6:7], v4, s4 src0_sel:BYTE_0 src1_sel:DWORD
	s_mov_b64 s[4:5], 0
                                        ; implicit-def: $sgpr10
	s_and_saveexec_b64 s[8:9], s[6:7]
	s_xor_b64 s[6:7], exec, s[8:9]
	s_cbranch_execnz .LBB59_2501
; %bb.453:
	s_or_saveexec_b64 s[6:7], s[6:7]
	v_mov_b32_e32 v3, s10
	s_xor_b64 exec, exec, s[6:7]
	s_cbranch_execnz .LBB59_2504
.LBB59_454:
	s_or_b64 exec, exec, s[6:7]
	s_and_saveexec_b64 s[6:7], s[4:5]
	s_cbranch_execz .LBB59_456
.LBB59_455:
	v_and_b32_e32 v3, 7, v4
	v_ffbh_u32_e32 v7, v3
	v_min_u32_e32 v7, 32, v7
	v_lshrrev_b16_e32 v6, 3, v4
	v_subrev_u32_e32 v10, 28, v7
	v_and_b32_e32 v6, 15, v6
	v_lshlrev_b32_e32 v10, v10, v4
	v_sub_u32_e32 v7, 29, v7
	v_and_b32_e32 v10, 7, v10
	v_cmp_eq_u16_e32 vcc, 0, v6
	v_cndmask_b32_e32 v3, v3, v10, vcc
	v_cndmask_b32_e32 v6, v6, v7, vcc
	v_lshlrev_b32_e32 v7, 24, v4
	v_mov_b32_e32 v10, 0x3b800000
	v_lshlrev_b32_e32 v3, 20, v3
	v_and_b32_e32 v7, 0x80000000, v7
	v_lshl_add_u32 v6, v6, 23, v10
	v_or3_b32 v3, v7, v6, v3
.LBB59_456:
	s_or_b64 exec, exec, s[6:7]
	s_nop 0
	v_mfma_f32_16x16x4f32 a[0:3], v2, v3, a[0:3]
	v_lshrrev_b32_e32 v3, 8, v8
	s_movk_i32 s4, 0x7f
	v_cmp_gt_i16_sdwa s[6:7], v3, s4 src0_sel:BYTE_0 src1_sel:DWORD
	s_mov_b64 s[4:5], 0
                                        ; implicit-def: $sgpr10
	s_and_saveexec_b64 s[8:9], s[6:7]
	s_xor_b64 s[6:7], exec, s[8:9]
	s_cbranch_execnz .LBB59_2505
; %bb.457:
	s_or_saveexec_b64 s[6:7], s[6:7]
	v_mov_b32_e32 v2, s10
	s_xor_b64 exec, exec, s[6:7]
	s_cbranch_execnz .LBB59_2508
.LBB59_458:
	s_or_b64 exec, exec, s[6:7]
	s_and_saveexec_b64 s[6:7], s[4:5]
	s_cbranch_execz .LBB59_460
.LBB59_459:
	v_bfe_u32 v2, v8, 8, 3
	v_ffbh_u32_e32 v7, v2
	v_min_u32_e32 v7, 32, v7
	v_lshrrev_b16_e32 v6, 3, v3
	v_subrev_u32_e32 v10, 28, v7
	v_and_b32_e32 v6, 15, v6
	v_lshlrev_b32_e32 v3, v10, v3
	v_sub_u32_e32 v7, 29, v7
	v_and_b32_e32 v3, 7, v3
	v_cmp_eq_u16_e32 vcc, 0, v6
	v_cndmask_b32_e32 v2, v2, v3, vcc
	v_cndmask_b32_e32 v3, v6, v7, vcc
	v_lshlrev_b32_e32 v6, 16, v8
	v_mov_b32_e32 v7, 0x3b800000
	v_lshlrev_b32_e32 v2, 20, v2
	v_and_b32_e32 v6, 0x80000000, v6
	v_lshl_add_u32 v3, v3, 23, v7
	v_or3_b32 v2, v6, v3, v2
.LBB59_460:
	s_or_b64 exec, exec, s[6:7]
	v_lshrrev_b32_e32 v3, 8, v4
	s_movk_i32 s4, 0x7f
	v_cmp_gt_i16_sdwa s[6:7], v3, s4 src0_sel:BYTE_0 src1_sel:DWORD
	s_mov_b64 s[4:5], 0
                                        ; implicit-def: $sgpr10
	s_and_saveexec_b64 s[8:9], s[6:7]
	s_xor_b64 s[6:7], exec, s[8:9]
	s_cbranch_execnz .LBB59_2509
; %bb.461:
	s_or_saveexec_b64 s[6:7], s[6:7]
	v_mov_b32_e32 v6, s10
	s_xor_b64 exec, exec, s[6:7]
	s_cbranch_execnz .LBB59_2512
.LBB59_462:
	s_or_b64 exec, exec, s[6:7]
	s_and_saveexec_b64 s[6:7], s[4:5]
	s_cbranch_execz .LBB59_464
.LBB59_463:
	v_bfe_u32 v6, v4, 8, 3
	v_ffbh_u32_e32 v10, v6
	v_min_u32_e32 v10, 32, v10
	v_lshrrev_b16_e32 v7, 3, v3
	v_subrev_u32_e32 v11, 28, v10
	v_and_b32_e32 v7, 15, v7
	v_lshlrev_b32_e32 v3, v11, v3
	v_sub_u32_e32 v10, 29, v10
	v_and_b32_e32 v3, 7, v3
	v_cmp_eq_u16_e32 vcc, 0, v7
	v_cndmask_b32_e32 v3, v6, v3, vcc
	v_cndmask_b32_e32 v6, v7, v10, vcc
	v_lshlrev_b32_e32 v7, 16, v4
	v_mov_b32_e32 v10, 0x3b800000
	v_lshlrev_b32_e32 v3, 20, v3
	v_and_b32_e32 v7, 0x80000000, v7
	v_lshl_add_u32 v6, v6, 23, v10
	v_or3_b32 v6, v7, v6, v3
.LBB59_464:
	s_or_b64 exec, exec, s[6:7]
	s_nop 0
	v_mfma_f32_16x16x4f32 a[0:3], v2, v6, a[0:3]
	s_movk_i32 s4, 0xff
	v_and_b32_sdwa v3, v8, s4 dst_sel:DWORD dst_unused:UNUSED_PAD src0_sel:WORD_1 src1_sel:DWORD
	s_movk_i32 s4, 0x7f
	v_cmp_lt_i16_e32 vcc, s4, v3
	s_mov_b64 s[4:5], 0
                                        ; implicit-def: $sgpr10
	s_and_saveexec_b64 s[6:7], vcc
	s_xor_b64 s[6:7], exec, s[6:7]
	s_cbranch_execnz .LBB59_2513
; %bb.465:
	s_or_saveexec_b64 s[6:7], s[6:7]
	v_mov_b32_e32 v2, s10
	s_xor_b64 exec, exec, s[6:7]
	s_cbranch_execnz .LBB59_2516
.LBB59_466:
	s_or_b64 exec, exec, s[6:7]
	s_and_saveexec_b64 s[6:7], s[4:5]
	s_cbranch_execz .LBB59_468
.LBB59_467:
	v_bfe_u32 v2, v8, 16, 3
	v_ffbh_u32_e32 v7, v2
	v_min_u32_e32 v7, 32, v7
	v_lshrrev_b32_e32 v3, 19, v8
	v_subrev_u32_e32 v10, 28, v7
	v_and_b32_e32 v3, 15, v3
	v_lshlrev_b32_sdwa v10, v10, v8 dst_sel:DWORD dst_unused:UNUSED_PAD src0_sel:DWORD src1_sel:WORD_1
	v_bfe_u32 v6, v8, 19, 4
	v_sub_u32_e32 v7, 29, v7
	v_and_b32_e32 v10, 7, v10
	v_cmp_eq_u16_e32 vcc, 0, v3
	v_cndmask_b32_e32 v2, v2, v10, vcc
	v_cndmask_b32_e32 v3, v6, v7, vcc
	v_lshlrev_b32_e32 v6, 8, v8
	v_mov_b32_e32 v7, 0x3b800000
	v_lshlrev_b32_e32 v2, 20, v2
	v_and_b32_e32 v6, 0x80000000, v6
	v_lshl_add_u32 v3, v3, 23, v7
	v_or3_b32 v2, v6, v3, v2
.LBB59_468:
	s_or_b64 exec, exec, s[6:7]
	s_movk_i32 s4, 0xff
	v_and_b32_sdwa v3, v4, s4 dst_sel:DWORD dst_unused:UNUSED_PAD src0_sel:WORD_1 src1_sel:DWORD
	s_movk_i32 s4, 0x7f
	v_cmp_lt_i16_e32 vcc, s4, v3
	s_mov_b64 s[4:5], 0
                                        ; implicit-def: $sgpr10
	s_and_saveexec_b64 s[6:7], vcc
	s_xor_b64 s[6:7], exec, s[6:7]
	s_cbranch_execnz .LBB59_2517
; %bb.469:
	s_or_saveexec_b64 s[6:7], s[6:7]
	v_mov_b32_e32 v6, s10
	s_xor_b64 exec, exec, s[6:7]
	s_cbranch_execnz .LBB59_2520
.LBB59_470:
	s_or_b64 exec, exec, s[6:7]
	s_and_saveexec_b64 s[6:7], s[4:5]
	s_cbranch_execz .LBB59_472
.LBB59_471:
	v_bfe_u32 v3, v4, 16, 3
	v_ffbh_u32_e32 v10, v3
	v_min_u32_e32 v10, 32, v10
	v_lshrrev_b32_e32 v6, 19, v4
	v_subrev_u32_e32 v11, 28, v10
	v_and_b32_e32 v6, 15, v6
	v_lshlrev_b32_sdwa v11, v11, v4 dst_sel:DWORD dst_unused:UNUSED_PAD src0_sel:DWORD src1_sel:WORD_1
	v_bfe_u32 v7, v4, 19, 4
	v_sub_u32_e32 v10, 29, v10
	v_and_b32_e32 v11, 7, v11
	v_cmp_eq_u16_e32 vcc, 0, v6
	v_cndmask_b32_e32 v3, v3, v11, vcc
	v_cndmask_b32_e32 v6, v7, v10, vcc
	v_lshlrev_b32_e32 v7, 8, v4
	v_mov_b32_e32 v10, 0x3b800000
	v_lshlrev_b32_e32 v3, 20, v3
	v_and_b32_e32 v7, 0x80000000, v7
	v_lshl_add_u32 v6, v6, 23, v10
	v_or3_b32 v6, v7, v6, v3
.LBB59_472:
	s_or_b64 exec, exec, s[6:7]
	s_nop 0
	v_mfma_f32_16x16x4f32 a[0:3], v2, v6, a[0:3]
	s_movk_i32 s4, 0x7f
	v_cmp_gt_i16_sdwa s[6:7], v8, s4 src0_sel:BYTE_3 src1_sel:DWORD
	s_mov_b64 s[4:5], 0
                                        ; implicit-def: $sgpr10
	s_and_saveexec_b64 s[8:9], s[6:7]
	s_xor_b64 s[6:7], exec, s[8:9]
	s_cbranch_execnz .LBB59_2521
; %bb.473:
	s_or_saveexec_b64 s[6:7], s[6:7]
	v_mov_b32_e32 v2, s10
	s_xor_b64 exec, exec, s[6:7]
	s_cbranch_execnz .LBB59_2524
.LBB59_474:
	s_or_b64 exec, exec, s[6:7]
	s_and_saveexec_b64 s[6:7], s[4:5]
	s_cbranch_execz .LBB59_476
.LBB59_475:
	v_bfe_u32 v2, v8, 24, 3
	v_ffbh_u32_e32 v10, v2
	v_min_u32_e32 v10, 32, v10
	v_lshrrev_b32_e32 v6, 27, v8
	v_subrev_u32_e32 v11, 28, v10
	v_and_b32_e32 v3, 0x80000000, v8
	v_and_b32_e32 v6, 15, v6
	v_bfe_u32 v7, v8, 27, 4
	v_lshlrev_b32_sdwa v8, v11, v8 dst_sel:DWORD dst_unused:UNUSED_PAD src0_sel:DWORD src1_sel:BYTE_3
	v_sub_u32_e32 v10, 29, v10
	v_and_b32_e32 v8, 7, v8
	v_cmp_eq_u16_e32 vcc, 0, v6
	v_cndmask_b32_e32 v2, v2, v8, vcc
	v_cndmask_b32_e32 v6, v7, v10, vcc
	v_mov_b32_e32 v7, 0x3b800000
	v_lshlrev_b32_e32 v2, 20, v2
	v_lshl_add_u32 v6, v6, 23, v7
	v_or3_b32 v2, v3, v6, v2
.LBB59_476:
	s_or_b64 exec, exec, s[6:7]
	s_movk_i32 s4, 0x7f
	v_cmp_gt_i16_sdwa s[6:7], v4, s4 src0_sel:BYTE_3 src1_sel:DWORD
	s_mov_b64 s[4:5], 0
                                        ; implicit-def: $sgpr10
	s_and_saveexec_b64 s[8:9], s[6:7]
	s_xor_b64 s[6:7], exec, s[8:9]
	s_cbranch_execnz .LBB59_2525
; %bb.477:
	s_or_saveexec_b64 s[6:7], s[6:7]
	v_mov_b32_e32 v3, s10
	s_xor_b64 exec, exec, s[6:7]
	s_cbranch_execnz .LBB59_2528
.LBB59_478:
	s_or_b64 exec, exec, s[6:7]
	s_and_saveexec_b64 s[6:7], s[4:5]
	s_cbranch_execz .LBB59_480
.LBB59_479:
	v_bfe_u32 v3, v4, 24, 3
	v_ffbh_u32_e32 v10, v3
	v_min_u32_e32 v10, 32, v10
	v_lshrrev_b32_e32 v7, 27, v4
	v_subrev_u32_e32 v11, 28, v10
	v_and_b32_e32 v6, 0x80000000, v4
	v_and_b32_e32 v7, 15, v7
	v_bfe_u32 v8, v4, 27, 4
	v_lshlrev_b32_sdwa v4, v11, v4 dst_sel:DWORD dst_unused:UNUSED_PAD src0_sel:DWORD src1_sel:BYTE_3
	v_sub_u32_e32 v10, 29, v10
	v_and_b32_e32 v4, 7, v4
	v_cmp_eq_u16_e32 vcc, 0, v7
	v_cndmask_b32_e32 v3, v3, v4, vcc
	v_cndmask_b32_e32 v4, v8, v10, vcc
	v_mov_b32_e32 v7, 0x3b800000
	v_lshlrev_b32_e32 v3, 20, v3
	v_lshl_add_u32 v4, v4, 23, v7
	v_or3_b32 v3, v6, v4, v3
.LBB59_480:
	s_or_b64 exec, exec, s[6:7]
	s_nop 0
	v_mfma_f32_16x16x4f32 a[0:3], v2, v3, a[0:3]
	s_movk_i32 s4, 0x7f
	v_cmp_gt_i16_sdwa s[6:7], v9, s4 src0_sel:BYTE_0 src1_sel:DWORD
	s_mov_b64 s[4:5], 0
                                        ; implicit-def: $sgpr10
	s_and_saveexec_b64 s[8:9], s[6:7]
	s_xor_b64 s[6:7], exec, s[8:9]
	s_cbranch_execnz .LBB59_2529
; %bb.481:
	s_or_saveexec_b64 s[6:7], s[6:7]
	v_mov_b32_e32 v2, s10
	s_xor_b64 exec, exec, s[6:7]
	s_cbranch_execnz .LBB59_2532
.LBB59_482:
	s_or_b64 exec, exec, s[6:7]
	s_and_saveexec_b64 s[6:7], s[4:5]
	s_cbranch_execz .LBB59_484
.LBB59_483:
	v_mov_b32_e32 v2, 8
	v_and_b32_e32 v3, 7, v9
	v_lshrrev_b32_sdwa v2, v2, v9 dst_sel:BYTE_1 dst_unused:UNUSED_PAD src0_sel:DWORD src1_sel:DWORD
	v_ffbh_u32_e32 v4, v3
	v_or_b32_sdwa v2, v9, v2 dst_sel:DWORD dst_unused:UNUSED_PAD src0_sel:BYTE_0 src1_sel:DWORD
	v_min_u32_e32 v4, 32, v4
	v_lshrrev_b16_e32 v2, 3, v2
	v_subrev_u32_e32 v6, 28, v4
	v_and_b32_e32 v2, 15, v2
	v_lshlrev_b32_e32 v6, v6, v9
	v_sub_u32_e32 v4, 29, v4
	v_and_b32_e32 v6, 7, v6
	v_cmp_eq_u16_e32 vcc, 0, v2
	v_cndmask_b32_e32 v3, v3, v6, vcc
	v_cndmask_b32_e32 v2, v2, v4, vcc
	v_lshlrev_b32_e32 v4, 24, v9
	v_mov_b32_e32 v6, 0x3b800000
	v_lshlrev_b32_e32 v3, 20, v3
	v_and_b32_e32 v4, 0x80000000, v4
	v_lshl_add_u32 v2, v2, 23, v6
	v_or3_b32 v2, v4, v2, v3
.LBB59_484:
	s_or_b64 exec, exec, s[6:7]
	s_movk_i32 s4, 0x7f
	v_cmp_gt_i16_sdwa s[6:7], v5, s4 src0_sel:BYTE_0 src1_sel:DWORD
	s_mov_b64 s[4:5], 0
                                        ; implicit-def: $sgpr10
	s_and_saveexec_b64 s[8:9], s[6:7]
	s_xor_b64 s[6:7], exec, s[8:9]
	s_cbranch_execnz .LBB59_2533
; %bb.485:
	s_or_saveexec_b64 s[6:7], s[6:7]
	v_mov_b32_e32 v3, s10
	s_xor_b64 exec, exec, s[6:7]
	s_cbranch_execnz .LBB59_2536
.LBB59_486:
	s_or_b64 exec, exec, s[6:7]
	s_and_saveexec_b64 s[6:7], s[4:5]
	s_cbranch_execz .LBB59_488
.LBB59_487:
	v_mov_b32_e32 v3, 8
	v_and_b32_e32 v4, 7, v5
	v_lshrrev_b32_sdwa v3, v3, v5 dst_sel:BYTE_1 dst_unused:UNUSED_PAD src0_sel:DWORD src1_sel:DWORD
	v_ffbh_u32_e32 v6, v4
	v_or_b32_sdwa v3, v5, v3 dst_sel:DWORD dst_unused:UNUSED_PAD src0_sel:BYTE_0 src1_sel:DWORD
	v_min_u32_e32 v6, 32, v6
	v_lshrrev_b16_e32 v3, 3, v3
	v_subrev_u32_e32 v7, 28, v6
	v_and_b32_e32 v3, 15, v3
	v_lshlrev_b32_e32 v7, v7, v5
	v_sub_u32_e32 v6, 29, v6
	v_and_b32_e32 v7, 7, v7
	v_cmp_eq_u16_e32 vcc, 0, v3
	v_cndmask_b32_e32 v4, v4, v7, vcc
	v_cndmask_b32_e32 v3, v3, v6, vcc
	v_lshlrev_b32_e32 v6, 24, v5
	v_mov_b32_e32 v7, 0x3b800000
	v_lshlrev_b32_e32 v4, 20, v4
	v_and_b32_e32 v6, 0x80000000, v6
	v_lshl_add_u32 v3, v3, 23, v7
	v_or3_b32 v3, v6, v3, v4
.LBB59_488:
	s_or_b64 exec, exec, s[6:7]
	s_nop 0
	v_mfma_f32_16x16x4f32 a[0:3], v2, v3, a[0:3]
	v_lshrrev_b32_e32 v3, 8, v9
	s_movk_i32 s4, 0x7f
	v_cmp_gt_i16_sdwa s[6:7], v3, s4 src0_sel:BYTE_0 src1_sel:DWORD
	s_mov_b64 s[4:5], 0
                                        ; implicit-def: $sgpr10
	s_and_saveexec_b64 s[8:9], s[6:7]
	s_xor_b64 s[6:7], exec, s[8:9]
	s_cbranch_execnz .LBB59_2537
; %bb.489:
	s_or_saveexec_b64 s[6:7], s[6:7]
	v_mov_b32_e32 v2, s10
	s_xor_b64 exec, exec, s[6:7]
	s_cbranch_execnz .LBB59_2540
.LBB59_490:
	s_or_b64 exec, exec, s[6:7]
	s_and_saveexec_b64 s[6:7], s[4:5]
	s_cbranch_execz .LBB59_492
.LBB59_491:
	v_bfe_u32 v2, v9, 8, 3
	v_ffbh_u32_e32 v6, v2
	v_min_u32_e32 v6, 32, v6
	v_lshrrev_b16_e32 v4, 3, v3
	v_subrev_u32_e32 v7, 28, v6
	v_and_b32_e32 v4, 15, v4
	v_lshlrev_b32_e32 v3, v7, v3
	v_sub_u32_e32 v6, 29, v6
	v_and_b32_e32 v3, 7, v3
	v_cmp_eq_u16_e32 vcc, 0, v4
	v_cndmask_b32_e32 v2, v2, v3, vcc
	v_cndmask_b32_e32 v3, v4, v6, vcc
	v_lshlrev_b32_e32 v4, 16, v9
	v_mov_b32_e32 v6, 0x3b800000
	v_lshlrev_b32_e32 v2, 20, v2
	v_and_b32_e32 v4, 0x80000000, v4
	v_lshl_add_u32 v3, v3, 23, v6
	v_or3_b32 v2, v4, v3, v2
.LBB59_492:
	s_or_b64 exec, exec, s[6:7]
	v_lshrrev_b32_e32 v3, 8, v5
	s_movk_i32 s4, 0x7f
	v_cmp_gt_i16_sdwa s[6:7], v3, s4 src0_sel:BYTE_0 src1_sel:DWORD
	s_mov_b64 s[4:5], 0
                                        ; implicit-def: $sgpr10
	s_and_saveexec_b64 s[8:9], s[6:7]
	s_xor_b64 s[6:7], exec, s[8:9]
	s_cbranch_execnz .LBB59_2541
; %bb.493:
	s_or_saveexec_b64 s[6:7], s[6:7]
	v_mov_b32_e32 v4, s10
	s_xor_b64 exec, exec, s[6:7]
	s_cbranch_execnz .LBB59_2544
.LBB59_494:
	s_or_b64 exec, exec, s[6:7]
	s_and_saveexec_b64 s[6:7], s[4:5]
	s_cbranch_execz .LBB59_496
.LBB59_495:
	v_bfe_u32 v4, v5, 8, 3
	v_ffbh_u32_e32 v7, v4
	v_min_u32_e32 v7, 32, v7
	v_lshrrev_b16_e32 v6, 3, v3
	v_subrev_u32_e32 v8, 28, v7
	v_and_b32_e32 v6, 15, v6
	v_lshlrev_b32_e32 v3, v8, v3
	v_sub_u32_e32 v7, 29, v7
	v_and_b32_e32 v3, 7, v3
	v_cmp_eq_u16_e32 vcc, 0, v6
	v_cndmask_b32_e32 v3, v4, v3, vcc
	v_cndmask_b32_e32 v4, v6, v7, vcc
	v_lshlrev_b32_e32 v6, 16, v5
	v_mov_b32_e32 v7, 0x3b800000
	v_lshlrev_b32_e32 v3, 20, v3
	v_and_b32_e32 v6, 0x80000000, v6
	v_lshl_add_u32 v4, v4, 23, v7
	v_or3_b32 v4, v6, v4, v3
.LBB59_496:
	s_or_b64 exec, exec, s[6:7]
	s_nop 0
	v_mfma_f32_16x16x4f32 a[0:3], v2, v4, a[0:3]
	s_movk_i32 s4, 0xff
	v_and_b32_sdwa v3, v9, s4 dst_sel:DWORD dst_unused:UNUSED_PAD src0_sel:WORD_1 src1_sel:DWORD
	s_movk_i32 s4, 0x7f
	v_cmp_lt_i16_e32 vcc, s4, v3
	s_mov_b64 s[4:5], 0
                                        ; implicit-def: $sgpr10
	s_and_saveexec_b64 s[6:7], vcc
	s_xor_b64 s[6:7], exec, s[6:7]
	s_cbranch_execnz .LBB59_2545
; %bb.497:
	s_or_saveexec_b64 s[6:7], s[6:7]
	v_mov_b32_e32 v2, s10
	s_xor_b64 exec, exec, s[6:7]
	s_cbranch_execnz .LBB59_2548
.LBB59_498:
	s_or_b64 exec, exec, s[6:7]
	s_and_saveexec_b64 s[6:7], s[4:5]
	s_cbranch_execz .LBB59_500
.LBB59_499:
	v_bfe_u32 v2, v9, 16, 3
	v_ffbh_u32_e32 v6, v2
	v_min_u32_e32 v6, 32, v6
	v_lshrrev_b32_e32 v3, 19, v9
	v_subrev_u32_e32 v7, 28, v6
	v_and_b32_e32 v3, 15, v3
	v_lshlrev_b32_sdwa v7, v7, v9 dst_sel:DWORD dst_unused:UNUSED_PAD src0_sel:DWORD src1_sel:WORD_1
	v_bfe_u32 v4, v9, 19, 4
	v_sub_u32_e32 v6, 29, v6
	v_and_b32_e32 v7, 7, v7
	v_cmp_eq_u16_e32 vcc, 0, v3
	v_cndmask_b32_e32 v2, v2, v7, vcc
	v_cndmask_b32_e32 v3, v4, v6, vcc
	v_lshlrev_b32_e32 v4, 8, v9
	v_mov_b32_e32 v6, 0x3b800000
	v_lshlrev_b32_e32 v2, 20, v2
	v_and_b32_e32 v4, 0x80000000, v4
	v_lshl_add_u32 v3, v3, 23, v6
	v_or3_b32 v2, v4, v3, v2
.LBB59_500:
	s_or_b64 exec, exec, s[6:7]
	s_movk_i32 s4, 0xff
	v_and_b32_sdwa v3, v5, s4 dst_sel:DWORD dst_unused:UNUSED_PAD src0_sel:WORD_1 src1_sel:DWORD
	s_movk_i32 s4, 0x7f
	v_cmp_lt_i16_e32 vcc, s4, v3
	s_mov_b64 s[4:5], 0
                                        ; implicit-def: $sgpr10
	s_and_saveexec_b64 s[6:7], vcc
	s_xor_b64 s[6:7], exec, s[6:7]
	s_cbranch_execnz .LBB59_2549
; %bb.501:
	s_or_saveexec_b64 s[6:7], s[6:7]
	v_mov_b32_e32 v4, s10
	s_xor_b64 exec, exec, s[6:7]
	s_cbranch_execnz .LBB59_2552
.LBB59_502:
	s_or_b64 exec, exec, s[6:7]
	s_and_saveexec_b64 s[6:7], s[4:5]
	s_cbranch_execz .LBB59_504
.LBB59_503:
	v_bfe_u32 v3, v5, 16, 3
	v_ffbh_u32_e32 v7, v3
	v_min_u32_e32 v7, 32, v7
	v_lshrrev_b32_e32 v4, 19, v5
	v_subrev_u32_e32 v8, 28, v7
	v_and_b32_e32 v4, 15, v4
	v_lshlrev_b32_sdwa v8, v8, v5 dst_sel:DWORD dst_unused:UNUSED_PAD src0_sel:DWORD src1_sel:WORD_1
	v_bfe_u32 v6, v5, 19, 4
	v_sub_u32_e32 v7, 29, v7
	v_and_b32_e32 v8, 7, v8
	v_cmp_eq_u16_e32 vcc, 0, v4
	v_cndmask_b32_e32 v3, v3, v8, vcc
	v_cndmask_b32_e32 v4, v6, v7, vcc
	v_lshlrev_b32_e32 v6, 8, v5
	v_mov_b32_e32 v7, 0x3b800000
	v_lshlrev_b32_e32 v3, 20, v3
	v_and_b32_e32 v6, 0x80000000, v6
	v_lshl_add_u32 v4, v4, 23, v7
	v_or3_b32 v4, v6, v4, v3
.LBB59_504:
	s_or_b64 exec, exec, s[6:7]
	s_nop 0
	v_mfma_f32_16x16x4f32 a[0:3], v2, v4, a[0:3]
	s_movk_i32 s4, 0x7f
	v_cmp_gt_i16_sdwa s[6:7], v9, s4 src0_sel:BYTE_3 src1_sel:DWORD
	s_mov_b64 s[4:5], 0
                                        ; implicit-def: $sgpr10
	s_and_saveexec_b64 s[8:9], s[6:7]
	s_xor_b64 s[6:7], exec, s[8:9]
	s_cbranch_execnz .LBB59_2553
; %bb.505:
	s_or_saveexec_b64 s[6:7], s[6:7]
	v_mov_b32_e32 v2, s10
	s_xor_b64 exec, exec, s[6:7]
	s_cbranch_execnz .LBB59_2556
.LBB59_506:
	s_or_b64 exec, exec, s[6:7]
	s_and_saveexec_b64 s[6:7], s[4:5]
	s_cbranch_execz .LBB59_508
.LBB59_507:
	v_bfe_u32 v2, v9, 24, 3
	v_ffbh_u32_e32 v7, v2
	v_min_u32_e32 v7, 32, v7
	v_lshrrev_b32_e32 v4, 27, v9
	v_subrev_u32_e32 v8, 28, v7
	v_and_b32_e32 v4, 15, v4
	v_lshlrev_b32_sdwa v8, v8, v9 dst_sel:DWORD dst_unused:UNUSED_PAD src0_sel:DWORD src1_sel:BYTE_3
	v_bfe_u32 v6, v9, 27, 4
	v_sub_u32_e32 v7, 29, v7
	v_and_b32_e32 v8, 7, v8
	v_cmp_eq_u16_e32 vcc, 0, v4
	v_cndmask_b32_e32 v2, v2, v8, vcc
	v_cndmask_b32_e32 v4, v6, v7, vcc
	v_mov_b32_e32 v6, 0x3b800000
	v_and_b32_e32 v3, 0x80000000, v9
	v_lshlrev_b32_e32 v2, 20, v2
	v_lshl_add_u32 v4, v4, 23, v6
	v_or3_b32 v2, v3, v4, v2
.LBB59_508:
	s_or_b64 exec, exec, s[6:7]
	s_movk_i32 s4, 0x7f
	v_cmp_gt_i16_sdwa s[6:7], v5, s4 src0_sel:BYTE_3 src1_sel:DWORD
	s_mov_b64 s[4:5], 0
                                        ; implicit-def: $sgpr10
	s_and_saveexec_b64 s[8:9], s[6:7]
	s_xor_b64 s[6:7], exec, s[8:9]
	s_cbranch_execnz .LBB59_2557
; %bb.509:
	s_or_saveexec_b64 s[6:7], s[6:7]
	v_mov_b32_e32 v3, s10
	s_xor_b64 exec, exec, s[6:7]
	s_cbranch_execnz .LBB59_2560
.LBB59_510:
	s_or_b64 exec, exec, s[6:7]
	s_and_saveexec_b64 s[6:7], s[4:5]
	s_cbranch_execz .LBB59_512
.LBB59_511:
	v_bfe_u32 v3, v5, 24, 3
	v_ffbh_u32_e32 v8, v3
	v_min_u32_e32 v8, 32, v8
	v_lshrrev_b32_e32 v6, 27, v5
	v_subrev_u32_e32 v9, 28, v8
	v_and_b32_e32 v4, 0x80000000, v5
	v_and_b32_e32 v6, 15, v6
	v_bfe_u32 v7, v5, 27, 4
	v_lshlrev_b32_sdwa v5, v9, v5 dst_sel:DWORD dst_unused:UNUSED_PAD src0_sel:DWORD src1_sel:BYTE_3
	v_sub_u32_e32 v8, 29, v8
	v_and_b32_e32 v5, 7, v5
	v_cmp_eq_u16_e32 vcc, 0, v6
	v_cndmask_b32_e32 v3, v3, v5, vcc
	v_cndmask_b32_e32 v5, v7, v8, vcc
	v_mov_b32_e32 v6, 0x3b800000
	v_lshlrev_b32_e32 v3, 20, v3
	v_lshl_add_u32 v5, v5, 23, v6
	v_or3_b32 v3, v4, v5, v3
.LBB59_512:
	s_or_b64 exec, exec, s[6:7]
	s_nop 0
	v_mfma_f32_16x16x4f32 a[0:3], v2, v3, a[0:3]
	s_movk_i32 s4, 0x7f
                                        ; implicit-def: $sgpr10
	s_nop 7
	s_nop 1
	flat_store_dwordx4 v[18:19], a[0:3] offset:912
	flat_load_dwordx4 v[20:23], v[0:1] offset:8
	s_nop 0
	flat_load_dwordx2 v[18:19], v[0:1] offset:24
	s_waitcnt vmcnt(0) lgkmcnt(0)
	flat_load_dwordx4 v[14:17], v[20:21] offset:32
	flat_load_dwordx4 v[6:9], v[20:21] offset:48
	;; [unrolled: 1-line block ×4, first 2 shown]
	s_waitcnt vmcnt(0) lgkmcnt(0)
	v_cmp_gt_i16_sdwa s[6:7], v14, s4 src0_sel:BYTE_0 src1_sel:DWORD
	s_mov_b64 s[4:5], 0
	s_and_saveexec_b64 s[8:9], s[6:7]
	s_xor_b64 s[6:7], exec, s[8:9]
	s_cbranch_execnz .LBB59_2561
; %bb.513:
	s_or_saveexec_b64 s[6:7], s[6:7]
	v_mov_b32_e32 v20, s10
	s_xor_b64 exec, exec, s[6:7]
	s_cbranch_execnz .LBB59_2564
.LBB59_514:
	s_or_b64 exec, exec, s[6:7]
	s_and_saveexec_b64 s[6:7], s[4:5]
	s_cbranch_execz .LBB59_516
.LBB59_515:
	v_and_b32_e32 v20, 7, v14
	v_ffbh_u32_e32 v22, v20
	v_min_u32_e32 v22, 32, v22
	v_lshrrev_b16_e32 v21, 3, v14
	v_subrev_u32_e32 v23, 28, v22
	v_and_b32_e32 v21, 15, v21
	v_lshlrev_b32_e32 v23, v23, v14
	v_sub_u32_e32 v22, 29, v22
	v_and_b32_e32 v23, 7, v23
	v_cmp_eq_u16_e32 vcc, 0, v21
	v_cndmask_b32_e32 v20, v20, v23, vcc
	v_cndmask_b32_e32 v21, v21, v22, vcc
	v_lshlrev_b32_e32 v22, 24, v14
	v_mov_b32_e32 v23, 0x3b800000
	v_lshlrev_b32_e32 v20, 20, v20
	v_and_b32_e32 v22, 0x80000000, v22
	v_lshl_add_u32 v21, v21, 23, v23
	v_or3_b32 v20, v22, v21, v20
.LBB59_516:
	s_or_b64 exec, exec, s[6:7]
	s_movk_i32 s4, 0x7f
	v_cmp_gt_i16_sdwa s[6:7], v10, s4 src0_sel:BYTE_0 src1_sel:DWORD
	s_mov_b64 s[4:5], 0
                                        ; implicit-def: $sgpr10
	s_and_saveexec_b64 s[8:9], s[6:7]
	s_xor_b64 s[6:7], exec, s[8:9]
	s_cbranch_execnz .LBB59_2565
; %bb.517:
	s_or_saveexec_b64 s[6:7], s[6:7]
	v_mov_b32_e32 v21, s10
	s_xor_b64 exec, exec, s[6:7]
	s_cbranch_execnz .LBB59_2568
.LBB59_518:
	s_or_b64 exec, exec, s[6:7]
	s_and_saveexec_b64 s[6:7], s[4:5]
	s_cbranch_execz .LBB59_520
.LBB59_519:
	v_and_b32_e32 v21, 7, v10
	v_ffbh_u32_e32 v23, v21
	v_min_u32_e32 v23, 32, v23
	v_lshrrev_b16_e32 v22, 3, v10
	v_subrev_u32_e32 v24, 28, v23
	v_and_b32_e32 v22, 15, v22
	v_lshlrev_b32_e32 v24, v24, v10
	v_sub_u32_e32 v23, 29, v23
	v_and_b32_e32 v24, 7, v24
	v_cmp_eq_u16_e32 vcc, 0, v22
	v_cndmask_b32_e32 v21, v21, v24, vcc
	v_cndmask_b32_e32 v22, v22, v23, vcc
	v_lshlrev_b32_e32 v23, 24, v10
	v_mov_b32_e32 v24, 0x3b800000
	v_lshlrev_b32_e32 v21, 20, v21
	v_and_b32_e32 v23, 0x80000000, v23
	v_lshl_add_u32 v22, v22, 23, v24
	v_or3_b32 v21, v23, v22, v21
.LBB59_520:
	s_or_b64 exec, exec, s[6:7]
	flat_load_dwordx4 a[0:3], v[18:19] offset:928
	s_movk_i32 s4, 0x7f
                                        ; implicit-def: $sgpr10
	s_waitcnt vmcnt(0) lgkmcnt(0)
	v_mfma_f32_16x16x4f32 a[0:3], v20, v21, a[0:3]
	v_lshrrev_b32_e32 v21, 8, v14
	v_cmp_gt_i16_sdwa s[6:7], v21, s4 src0_sel:BYTE_0 src1_sel:DWORD
	s_mov_b64 s[4:5], 0
	s_and_saveexec_b64 s[8:9], s[6:7]
	s_xor_b64 s[6:7], exec, s[8:9]
	s_cbranch_execnz .LBB59_2569
; %bb.521:
	s_or_saveexec_b64 s[6:7], s[6:7]
	v_mov_b32_e32 v20, s10
	s_xor_b64 exec, exec, s[6:7]
	s_cbranch_execnz .LBB59_2572
.LBB59_522:
	s_or_b64 exec, exec, s[6:7]
	s_and_saveexec_b64 s[6:7], s[4:5]
	s_cbranch_execz .LBB59_524
.LBB59_523:
	v_bfe_u32 v20, v14, 8, 3
	v_ffbh_u32_e32 v23, v20
	v_min_u32_e32 v23, 32, v23
	v_lshrrev_b16_e32 v22, 3, v21
	v_subrev_u32_e32 v24, 28, v23
	v_and_b32_e32 v22, 15, v22
	v_lshlrev_b32_e32 v21, v24, v21
	v_sub_u32_e32 v23, 29, v23
	v_and_b32_e32 v21, 7, v21
	v_cmp_eq_u16_e32 vcc, 0, v22
	v_cndmask_b32_e32 v20, v20, v21, vcc
	v_cndmask_b32_e32 v21, v22, v23, vcc
	v_lshlrev_b32_e32 v22, 16, v14
	v_mov_b32_e32 v23, 0x3b800000
	v_lshlrev_b32_e32 v20, 20, v20
	v_and_b32_e32 v22, 0x80000000, v22
	v_lshl_add_u32 v21, v21, 23, v23
	v_or3_b32 v20, v22, v21, v20
.LBB59_524:
	s_or_b64 exec, exec, s[6:7]
	v_lshrrev_b32_e32 v21, 8, v10
	s_movk_i32 s4, 0x7f
	v_cmp_gt_i16_sdwa s[6:7], v21, s4 src0_sel:BYTE_0 src1_sel:DWORD
	s_mov_b64 s[4:5], 0
                                        ; implicit-def: $sgpr10
	s_and_saveexec_b64 s[8:9], s[6:7]
	s_xor_b64 s[6:7], exec, s[8:9]
	s_cbranch_execnz .LBB59_2573
; %bb.525:
	s_or_saveexec_b64 s[6:7], s[6:7]
	v_mov_b32_e32 v22, s10
	s_xor_b64 exec, exec, s[6:7]
	s_cbranch_execnz .LBB59_2576
.LBB59_526:
	s_or_b64 exec, exec, s[6:7]
	s_and_saveexec_b64 s[6:7], s[4:5]
	s_cbranch_execz .LBB59_528
.LBB59_527:
	v_bfe_u32 v22, v10, 8, 3
	v_ffbh_u32_e32 v24, v22
	v_min_u32_e32 v24, 32, v24
	v_lshrrev_b16_e32 v23, 3, v21
	v_subrev_u32_e32 v25, 28, v24
	v_and_b32_e32 v23, 15, v23
	v_lshlrev_b32_e32 v21, v25, v21
	v_sub_u32_e32 v24, 29, v24
	v_and_b32_e32 v21, 7, v21
	v_cmp_eq_u16_e32 vcc, 0, v23
	v_cndmask_b32_e32 v21, v22, v21, vcc
	v_cndmask_b32_e32 v22, v23, v24, vcc
	v_lshlrev_b32_e32 v23, 16, v10
	v_mov_b32_e32 v24, 0x3b800000
	v_lshlrev_b32_e32 v21, 20, v21
	v_and_b32_e32 v23, 0x80000000, v23
	v_lshl_add_u32 v22, v22, 23, v24
	v_or3_b32 v22, v23, v22, v21
.LBB59_528:
	s_or_b64 exec, exec, s[6:7]
	s_nop 0
	v_mfma_f32_16x16x4f32 a[0:3], v20, v22, a[0:3]
	s_movk_i32 s4, 0xff
	v_and_b32_sdwa v21, v14, s4 dst_sel:DWORD dst_unused:UNUSED_PAD src0_sel:WORD_1 src1_sel:DWORD
	s_movk_i32 s4, 0x7f
	v_cmp_lt_i16_e32 vcc, s4, v21
	s_mov_b64 s[4:5], 0
                                        ; implicit-def: $sgpr10
	s_and_saveexec_b64 s[6:7], vcc
	s_xor_b64 s[6:7], exec, s[6:7]
	s_cbranch_execnz .LBB59_2577
; %bb.529:
	s_or_saveexec_b64 s[6:7], s[6:7]
	v_mov_b32_e32 v20, s10
	s_xor_b64 exec, exec, s[6:7]
	s_cbranch_execnz .LBB59_2580
.LBB59_530:
	s_or_b64 exec, exec, s[6:7]
	s_and_saveexec_b64 s[6:7], s[4:5]
	s_cbranch_execz .LBB59_532
.LBB59_531:
	v_bfe_u32 v20, v14, 16, 3
	v_ffbh_u32_e32 v23, v20
	v_min_u32_e32 v23, 32, v23
	v_lshrrev_b32_e32 v21, 19, v14
	v_subrev_u32_e32 v24, 28, v23
	v_and_b32_e32 v21, 15, v21
	v_lshlrev_b32_sdwa v24, v24, v14 dst_sel:DWORD dst_unused:UNUSED_PAD src0_sel:DWORD src1_sel:WORD_1
	v_bfe_u32 v22, v14, 19, 4
	v_sub_u32_e32 v23, 29, v23
	v_and_b32_e32 v24, 7, v24
	v_cmp_eq_u16_e32 vcc, 0, v21
	v_cndmask_b32_e32 v20, v20, v24, vcc
	v_cndmask_b32_e32 v21, v22, v23, vcc
	v_lshlrev_b32_e32 v22, 8, v14
	v_mov_b32_e32 v23, 0x3b800000
	v_lshlrev_b32_e32 v20, 20, v20
	v_and_b32_e32 v22, 0x80000000, v22
	v_lshl_add_u32 v21, v21, 23, v23
	v_or3_b32 v20, v22, v21, v20
.LBB59_532:
	s_or_b64 exec, exec, s[6:7]
	s_movk_i32 s4, 0xff
	v_and_b32_sdwa v21, v10, s4 dst_sel:DWORD dst_unused:UNUSED_PAD src0_sel:WORD_1 src1_sel:DWORD
	s_movk_i32 s4, 0x7f
	v_cmp_lt_i16_e32 vcc, s4, v21
	s_mov_b64 s[4:5], 0
                                        ; implicit-def: $sgpr10
	s_and_saveexec_b64 s[6:7], vcc
	s_xor_b64 s[6:7], exec, s[6:7]
	s_cbranch_execnz .LBB59_2581
; %bb.533:
	s_or_saveexec_b64 s[6:7], s[6:7]
	v_mov_b32_e32 v22, s10
	s_xor_b64 exec, exec, s[6:7]
	s_cbranch_execnz .LBB59_2584
.LBB59_534:
	s_or_b64 exec, exec, s[6:7]
	s_and_saveexec_b64 s[6:7], s[4:5]
	s_cbranch_execz .LBB59_536
.LBB59_535:
	v_bfe_u32 v21, v10, 16, 3
	v_ffbh_u32_e32 v24, v21
	v_min_u32_e32 v24, 32, v24
	v_lshrrev_b32_e32 v22, 19, v10
	v_subrev_u32_e32 v25, 28, v24
	v_and_b32_e32 v22, 15, v22
	v_lshlrev_b32_sdwa v25, v25, v10 dst_sel:DWORD dst_unused:UNUSED_PAD src0_sel:DWORD src1_sel:WORD_1
	v_bfe_u32 v23, v10, 19, 4
	v_sub_u32_e32 v24, 29, v24
	v_and_b32_e32 v25, 7, v25
	v_cmp_eq_u16_e32 vcc, 0, v22
	v_cndmask_b32_e32 v21, v21, v25, vcc
	v_cndmask_b32_e32 v22, v23, v24, vcc
	v_lshlrev_b32_e32 v23, 8, v10
	v_mov_b32_e32 v24, 0x3b800000
	v_lshlrev_b32_e32 v21, 20, v21
	v_and_b32_e32 v23, 0x80000000, v23
	v_lshl_add_u32 v22, v22, 23, v24
	v_or3_b32 v22, v23, v22, v21
.LBB59_536:
	s_or_b64 exec, exec, s[6:7]
	s_nop 0
	v_mfma_f32_16x16x4f32 a[0:3], v20, v22, a[0:3]
	s_movk_i32 s4, 0x7f
	v_cmp_gt_i16_sdwa s[6:7], v14, s4 src0_sel:BYTE_3 src1_sel:DWORD
	s_mov_b64 s[4:5], 0
                                        ; implicit-def: $sgpr10
	s_and_saveexec_b64 s[8:9], s[6:7]
	s_xor_b64 s[6:7], exec, s[8:9]
	s_cbranch_execnz .LBB59_2585
; %bb.537:
	s_or_saveexec_b64 s[6:7], s[6:7]
	v_mov_b32_e32 v20, s10
	s_xor_b64 exec, exec, s[6:7]
	s_cbranch_execnz .LBB59_2588
.LBB59_538:
	s_or_b64 exec, exec, s[6:7]
	s_and_saveexec_b64 s[6:7], s[4:5]
	s_cbranch_execz .LBB59_540
.LBB59_539:
	v_bfe_u32 v20, v14, 24, 3
	v_ffbh_u32_e32 v24, v20
	v_min_u32_e32 v24, 32, v24
	v_lshrrev_b32_e32 v22, 27, v14
	v_subrev_u32_e32 v25, 28, v24
	v_and_b32_e32 v21, 0x80000000, v14
	v_and_b32_e32 v22, 15, v22
	v_bfe_u32 v23, v14, 27, 4
	v_lshlrev_b32_sdwa v14, v25, v14 dst_sel:DWORD dst_unused:UNUSED_PAD src0_sel:DWORD src1_sel:BYTE_3
	v_sub_u32_e32 v24, 29, v24
	v_and_b32_e32 v14, 7, v14
	v_cmp_eq_u16_e32 vcc, 0, v22
	v_cndmask_b32_e32 v14, v20, v14, vcc
	v_cndmask_b32_e32 v20, v23, v24, vcc
	v_mov_b32_e32 v22, 0x3b800000
	v_lshlrev_b32_e32 v14, 20, v14
	v_lshl_add_u32 v20, v20, 23, v22
	v_or3_b32 v20, v21, v20, v14
.LBB59_540:
	s_or_b64 exec, exec, s[6:7]
	s_movk_i32 s4, 0x7f
	v_cmp_gt_i16_sdwa s[6:7], v10, s4 src0_sel:BYTE_3 src1_sel:DWORD
	s_mov_b64 s[4:5], 0
                                        ; implicit-def: $sgpr10
	s_and_saveexec_b64 s[8:9], s[6:7]
	s_xor_b64 s[6:7], exec, s[8:9]
	s_cbranch_execnz .LBB59_2589
; %bb.541:
	s_or_saveexec_b64 s[6:7], s[6:7]
	v_mov_b32_e32 v14, s10
	s_xor_b64 exec, exec, s[6:7]
	s_cbranch_execnz .LBB59_2592
.LBB59_542:
	s_or_b64 exec, exec, s[6:7]
	s_and_saveexec_b64 s[6:7], s[4:5]
	s_cbranch_execz .LBB59_544
.LBB59_543:
	v_bfe_u32 v14, v10, 24, 3
	v_ffbh_u32_e32 v24, v14
	v_min_u32_e32 v24, 32, v24
	v_lshrrev_b32_e32 v22, 27, v10
	v_subrev_u32_e32 v25, 28, v24
	v_and_b32_e32 v21, 0x80000000, v10
	v_and_b32_e32 v22, 15, v22
	v_bfe_u32 v23, v10, 27, 4
	v_lshlrev_b32_sdwa v10, v25, v10 dst_sel:DWORD dst_unused:UNUSED_PAD src0_sel:DWORD src1_sel:BYTE_3
	v_sub_u32_e32 v24, 29, v24
	v_and_b32_e32 v10, 7, v10
	v_cmp_eq_u16_e32 vcc, 0, v22
	v_cndmask_b32_e32 v10, v14, v10, vcc
	v_cndmask_b32_e32 v14, v23, v24, vcc
	v_mov_b32_e32 v22, 0x3b800000
	v_lshlrev_b32_e32 v10, 20, v10
	v_lshl_add_u32 v14, v14, 23, v22
	v_or3_b32 v14, v21, v14, v10
.LBB59_544:
	s_or_b64 exec, exec, s[6:7]
	s_nop 0
	v_mfma_f32_16x16x4f32 a[0:3], v20, v14, a[0:3]
	s_movk_i32 s4, 0x7f
	v_cmp_gt_i16_sdwa s[6:7], v15, s4 src0_sel:BYTE_0 src1_sel:DWORD
	s_mov_b64 s[4:5], 0
                                        ; implicit-def: $sgpr10
	s_and_saveexec_b64 s[8:9], s[6:7]
	s_xor_b64 s[6:7], exec, s[8:9]
	s_cbranch_execnz .LBB59_2593
; %bb.545:
	s_or_saveexec_b64 s[6:7], s[6:7]
	v_mov_b32_e32 v10, s10
	s_xor_b64 exec, exec, s[6:7]
	s_cbranch_execnz .LBB59_2596
.LBB59_546:
	s_or_b64 exec, exec, s[6:7]
	s_and_saveexec_b64 s[6:7], s[4:5]
	s_cbranch_execz .LBB59_548
.LBB59_547:
	v_and_b32_e32 v10, 7, v15
	v_ffbh_u32_e32 v20, v10
	v_min_u32_e32 v20, 32, v20
	v_lshrrev_b16_e32 v14, 3, v15
	v_subrev_u32_e32 v21, 28, v20
	v_and_b32_e32 v14, 15, v14
	v_lshlrev_b32_e32 v21, v21, v15
	v_sub_u32_e32 v20, 29, v20
	v_and_b32_e32 v21, 7, v21
	v_cmp_eq_u16_e32 vcc, 0, v14
	v_cndmask_b32_e32 v10, v10, v21, vcc
	v_cndmask_b32_e32 v14, v14, v20, vcc
	v_lshlrev_b32_e32 v20, 24, v15
	v_mov_b32_e32 v21, 0x3b800000
	v_lshlrev_b32_e32 v10, 20, v10
	v_and_b32_e32 v20, 0x80000000, v20
	v_lshl_add_u32 v14, v14, 23, v21
	v_or3_b32 v10, v20, v14, v10
.LBB59_548:
	s_or_b64 exec, exec, s[6:7]
	s_movk_i32 s4, 0x7f
	v_cmp_gt_i16_sdwa s[6:7], v11, s4 src0_sel:BYTE_0 src1_sel:DWORD
	s_mov_b64 s[4:5], 0
                                        ; implicit-def: $sgpr10
	s_and_saveexec_b64 s[8:9], s[6:7]
	s_xor_b64 s[6:7], exec, s[8:9]
	s_cbranch_execnz .LBB59_2597
; %bb.549:
	s_or_saveexec_b64 s[6:7], s[6:7]
	v_mov_b32_e32 v14, s10
	s_xor_b64 exec, exec, s[6:7]
	s_cbranch_execnz .LBB59_2600
.LBB59_550:
	s_or_b64 exec, exec, s[6:7]
	s_and_saveexec_b64 s[6:7], s[4:5]
	s_cbranch_execz .LBB59_552
.LBB59_551:
	v_and_b32_e32 v14, 7, v11
	v_ffbh_u32_e32 v21, v14
	v_min_u32_e32 v21, 32, v21
	v_lshrrev_b16_e32 v20, 3, v11
	v_subrev_u32_e32 v22, 28, v21
	v_and_b32_e32 v20, 15, v20
	v_lshlrev_b32_e32 v22, v22, v11
	v_sub_u32_e32 v21, 29, v21
	v_and_b32_e32 v22, 7, v22
	v_cmp_eq_u16_e32 vcc, 0, v20
	v_cndmask_b32_e32 v14, v14, v22, vcc
	v_cndmask_b32_e32 v20, v20, v21, vcc
	v_lshlrev_b32_e32 v21, 24, v11
	v_mov_b32_e32 v22, 0x3b800000
	v_lshlrev_b32_e32 v14, 20, v14
	v_and_b32_e32 v21, 0x80000000, v21
	v_lshl_add_u32 v20, v20, 23, v22
	v_or3_b32 v14, v21, v20, v14
.LBB59_552:
	s_or_b64 exec, exec, s[6:7]
	s_nop 0
	v_mfma_f32_16x16x4f32 a[0:3], v10, v14, a[0:3]
	v_lshrrev_b32_e32 v14, 8, v15
	s_movk_i32 s4, 0x7f
	v_cmp_gt_i16_sdwa s[6:7], v14, s4 src0_sel:BYTE_0 src1_sel:DWORD
	s_mov_b64 s[4:5], 0
                                        ; implicit-def: $sgpr10
	s_and_saveexec_b64 s[8:9], s[6:7]
	s_xor_b64 s[6:7], exec, s[8:9]
	s_cbranch_execnz .LBB59_2601
; %bb.553:
	s_or_saveexec_b64 s[6:7], s[6:7]
	v_mov_b32_e32 v10, s10
	s_xor_b64 exec, exec, s[6:7]
	s_cbranch_execnz .LBB59_2604
.LBB59_554:
	s_or_b64 exec, exec, s[6:7]
	s_and_saveexec_b64 s[6:7], s[4:5]
	s_cbranch_execz .LBB59_556
.LBB59_555:
	v_bfe_u32 v10, v15, 8, 3
	v_ffbh_u32_e32 v21, v10
	v_min_u32_e32 v21, 32, v21
	v_lshrrev_b16_e32 v20, 3, v14
	v_subrev_u32_e32 v22, 28, v21
	v_and_b32_e32 v20, 15, v20
	v_lshlrev_b32_e32 v14, v22, v14
	v_sub_u32_e32 v21, 29, v21
	v_and_b32_e32 v14, 7, v14
	v_cmp_eq_u16_e32 vcc, 0, v20
	v_cndmask_b32_e32 v10, v10, v14, vcc
	v_cndmask_b32_e32 v14, v20, v21, vcc
	v_lshlrev_b32_e32 v20, 16, v15
	v_mov_b32_e32 v21, 0x3b800000
	v_lshlrev_b32_e32 v10, 20, v10
	v_and_b32_e32 v20, 0x80000000, v20
	v_lshl_add_u32 v14, v14, 23, v21
	v_or3_b32 v10, v20, v14, v10
.LBB59_556:
	s_or_b64 exec, exec, s[6:7]
	v_lshrrev_b32_e32 v14, 8, v11
	s_movk_i32 s4, 0x7f
	v_cmp_gt_i16_sdwa s[6:7], v14, s4 src0_sel:BYTE_0 src1_sel:DWORD
	s_mov_b64 s[4:5], 0
                                        ; implicit-def: $sgpr10
	s_and_saveexec_b64 s[8:9], s[6:7]
	s_xor_b64 s[6:7], exec, s[8:9]
	s_cbranch_execnz .LBB59_2605
; %bb.557:
	s_or_saveexec_b64 s[6:7], s[6:7]
	v_mov_b32_e32 v20, s10
	s_xor_b64 exec, exec, s[6:7]
	s_cbranch_execnz .LBB59_2608
.LBB59_558:
	s_or_b64 exec, exec, s[6:7]
	s_and_saveexec_b64 s[6:7], s[4:5]
	s_cbranch_execz .LBB59_560
.LBB59_559:
	v_bfe_u32 v20, v11, 8, 3
	v_ffbh_u32_e32 v22, v20
	v_min_u32_e32 v22, 32, v22
	v_lshrrev_b16_e32 v21, 3, v14
	v_subrev_u32_e32 v23, 28, v22
	v_and_b32_e32 v21, 15, v21
	v_lshlrev_b32_e32 v14, v23, v14
	v_sub_u32_e32 v22, 29, v22
	v_and_b32_e32 v14, 7, v14
	v_cmp_eq_u16_e32 vcc, 0, v21
	v_cndmask_b32_e32 v14, v20, v14, vcc
	v_cndmask_b32_e32 v20, v21, v22, vcc
	v_lshlrev_b32_e32 v21, 16, v11
	v_mov_b32_e32 v22, 0x3b800000
	v_lshlrev_b32_e32 v14, 20, v14
	v_and_b32_e32 v21, 0x80000000, v21
	v_lshl_add_u32 v20, v20, 23, v22
	v_or3_b32 v20, v21, v20, v14
.LBB59_560:
	s_or_b64 exec, exec, s[6:7]
	s_nop 0
	v_mfma_f32_16x16x4f32 a[0:3], v10, v20, a[0:3]
	s_movk_i32 s4, 0xff
	v_and_b32_sdwa v14, v15, s4 dst_sel:DWORD dst_unused:UNUSED_PAD src0_sel:WORD_1 src1_sel:DWORD
	s_movk_i32 s4, 0x7f
	v_cmp_lt_i16_e32 vcc, s4, v14
	s_mov_b64 s[4:5], 0
                                        ; implicit-def: $sgpr10
	s_and_saveexec_b64 s[6:7], vcc
	s_xor_b64 s[6:7], exec, s[6:7]
	s_cbranch_execnz .LBB59_2609
; %bb.561:
	s_or_saveexec_b64 s[6:7], s[6:7]
	v_mov_b32_e32 v10, s10
	s_xor_b64 exec, exec, s[6:7]
	s_cbranch_execnz .LBB59_2612
.LBB59_562:
	s_or_b64 exec, exec, s[6:7]
	s_and_saveexec_b64 s[6:7], s[4:5]
	s_cbranch_execz .LBB59_564
.LBB59_563:
	v_bfe_u32 v10, v15, 16, 3
	v_ffbh_u32_e32 v21, v10
	v_min_u32_e32 v21, 32, v21
	v_lshrrev_b32_e32 v14, 19, v15
	v_subrev_u32_e32 v22, 28, v21
	v_and_b32_e32 v14, 15, v14
	v_lshlrev_b32_sdwa v22, v22, v15 dst_sel:DWORD dst_unused:UNUSED_PAD src0_sel:DWORD src1_sel:WORD_1
	v_bfe_u32 v20, v15, 19, 4
	v_sub_u32_e32 v21, 29, v21
	v_and_b32_e32 v22, 7, v22
	v_cmp_eq_u16_e32 vcc, 0, v14
	v_cndmask_b32_e32 v10, v10, v22, vcc
	v_cndmask_b32_e32 v14, v20, v21, vcc
	v_lshlrev_b32_e32 v20, 8, v15
	v_mov_b32_e32 v21, 0x3b800000
	v_lshlrev_b32_e32 v10, 20, v10
	v_and_b32_e32 v20, 0x80000000, v20
	v_lshl_add_u32 v14, v14, 23, v21
	v_or3_b32 v10, v20, v14, v10
.LBB59_564:
	s_or_b64 exec, exec, s[6:7]
	s_movk_i32 s4, 0xff
	v_and_b32_sdwa v14, v11, s4 dst_sel:DWORD dst_unused:UNUSED_PAD src0_sel:WORD_1 src1_sel:DWORD
	s_movk_i32 s4, 0x7f
	v_cmp_lt_i16_e32 vcc, s4, v14
	s_mov_b64 s[4:5], 0
                                        ; implicit-def: $sgpr10
	s_and_saveexec_b64 s[6:7], vcc
	s_xor_b64 s[6:7], exec, s[6:7]
	s_cbranch_execnz .LBB59_2613
; %bb.565:
	s_or_saveexec_b64 s[6:7], s[6:7]
	v_mov_b32_e32 v20, s10
	s_xor_b64 exec, exec, s[6:7]
	s_cbranch_execnz .LBB59_2616
.LBB59_566:
	s_or_b64 exec, exec, s[6:7]
	s_and_saveexec_b64 s[6:7], s[4:5]
	s_cbranch_execz .LBB59_568
.LBB59_567:
	v_bfe_u32 v14, v11, 16, 3
	v_ffbh_u32_e32 v22, v14
	v_min_u32_e32 v22, 32, v22
	v_lshrrev_b32_e32 v20, 19, v11
	v_subrev_u32_e32 v23, 28, v22
	v_and_b32_e32 v20, 15, v20
	v_lshlrev_b32_sdwa v23, v23, v11 dst_sel:DWORD dst_unused:UNUSED_PAD src0_sel:DWORD src1_sel:WORD_1
	v_bfe_u32 v21, v11, 19, 4
	v_sub_u32_e32 v22, 29, v22
	v_and_b32_e32 v23, 7, v23
	v_cmp_eq_u16_e32 vcc, 0, v20
	v_cndmask_b32_e32 v14, v14, v23, vcc
	v_cndmask_b32_e32 v20, v21, v22, vcc
	v_lshlrev_b32_e32 v21, 8, v11
	v_mov_b32_e32 v22, 0x3b800000
	v_lshlrev_b32_e32 v14, 20, v14
	v_and_b32_e32 v21, 0x80000000, v21
	v_lshl_add_u32 v20, v20, 23, v22
	v_or3_b32 v20, v21, v20, v14
.LBB59_568:
	s_or_b64 exec, exec, s[6:7]
	s_nop 0
	v_mfma_f32_16x16x4f32 a[0:3], v10, v20, a[0:3]
	s_movk_i32 s4, 0x7f
	v_cmp_gt_i16_sdwa s[6:7], v15, s4 src0_sel:BYTE_3 src1_sel:DWORD
	s_mov_b64 s[4:5], 0
                                        ; implicit-def: $sgpr10
	s_and_saveexec_b64 s[8:9], s[6:7]
	s_xor_b64 s[6:7], exec, s[8:9]
	s_cbranch_execnz .LBB59_2617
; %bb.569:
	s_or_saveexec_b64 s[6:7], s[6:7]
	v_mov_b32_e32 v10, s10
	s_xor_b64 exec, exec, s[6:7]
	s_cbranch_execnz .LBB59_2620
.LBB59_570:
	s_or_b64 exec, exec, s[6:7]
	s_and_saveexec_b64 s[6:7], s[4:5]
	s_cbranch_execz .LBB59_572
.LBB59_571:
	v_bfe_u32 v10, v15, 24, 3
	v_ffbh_u32_e32 v22, v10
	v_min_u32_e32 v22, 32, v22
	v_lshrrev_b32_e32 v20, 27, v15
	v_subrev_u32_e32 v23, 28, v22
	v_and_b32_e32 v14, 0x80000000, v15
	v_and_b32_e32 v20, 15, v20
	v_bfe_u32 v21, v15, 27, 4
	v_lshlrev_b32_sdwa v15, v23, v15 dst_sel:DWORD dst_unused:UNUSED_PAD src0_sel:DWORD src1_sel:BYTE_3
	v_sub_u32_e32 v22, 29, v22
	v_and_b32_e32 v15, 7, v15
	v_cmp_eq_u16_e32 vcc, 0, v20
	v_cndmask_b32_e32 v10, v10, v15, vcc
	v_cndmask_b32_e32 v15, v21, v22, vcc
	v_mov_b32_e32 v20, 0x3b800000
	v_lshlrev_b32_e32 v10, 20, v10
	v_lshl_add_u32 v15, v15, 23, v20
	v_or3_b32 v10, v14, v15, v10
.LBB59_572:
	s_or_b64 exec, exec, s[6:7]
	s_movk_i32 s4, 0x7f
	v_cmp_gt_i16_sdwa s[6:7], v11, s4 src0_sel:BYTE_3 src1_sel:DWORD
	s_mov_b64 s[4:5], 0
                                        ; implicit-def: $sgpr10
	s_and_saveexec_b64 s[8:9], s[6:7]
	s_xor_b64 s[6:7], exec, s[8:9]
	s_cbranch_execnz .LBB59_2621
; %bb.573:
	s_or_saveexec_b64 s[6:7], s[6:7]
	v_mov_b32_e32 v14, s10
	s_xor_b64 exec, exec, s[6:7]
	s_cbranch_execnz .LBB59_2624
.LBB59_574:
	s_or_b64 exec, exec, s[6:7]
	s_and_saveexec_b64 s[6:7], s[4:5]
	s_cbranch_execz .LBB59_576
.LBB59_575:
	v_bfe_u32 v14, v11, 24, 3
	v_ffbh_u32_e32 v22, v14
	v_min_u32_e32 v22, 32, v22
	v_lshrrev_b32_e32 v20, 27, v11
	v_subrev_u32_e32 v23, 28, v22
	v_and_b32_e32 v15, 0x80000000, v11
	v_and_b32_e32 v20, 15, v20
	v_bfe_u32 v21, v11, 27, 4
	v_lshlrev_b32_sdwa v11, v23, v11 dst_sel:DWORD dst_unused:UNUSED_PAD src0_sel:DWORD src1_sel:BYTE_3
	v_sub_u32_e32 v22, 29, v22
	v_and_b32_e32 v11, 7, v11
	v_cmp_eq_u16_e32 vcc, 0, v20
	v_cndmask_b32_e32 v11, v14, v11, vcc
	v_cndmask_b32_e32 v14, v21, v22, vcc
	v_mov_b32_e32 v20, 0x3b800000
	v_lshlrev_b32_e32 v11, 20, v11
	v_lshl_add_u32 v14, v14, 23, v20
	v_or3_b32 v14, v15, v14, v11
.LBB59_576:
	s_or_b64 exec, exec, s[6:7]
	s_nop 0
	v_mfma_f32_16x16x4f32 a[0:3], v10, v14, a[0:3]
	s_movk_i32 s4, 0x7f
	v_cmp_gt_i16_sdwa s[6:7], v16, s4 src0_sel:BYTE_0 src1_sel:DWORD
	s_mov_b64 s[4:5], 0
                                        ; implicit-def: $sgpr10
	s_and_saveexec_b64 s[8:9], s[6:7]
	s_xor_b64 s[6:7], exec, s[8:9]
	s_cbranch_execnz .LBB59_2625
; %bb.577:
	s_or_saveexec_b64 s[6:7], s[6:7]
	v_mov_b32_e32 v10, s10
	s_xor_b64 exec, exec, s[6:7]
	s_cbranch_execnz .LBB59_2628
.LBB59_578:
	s_or_b64 exec, exec, s[6:7]
	s_and_saveexec_b64 s[6:7], s[4:5]
	s_cbranch_execz .LBB59_580
.LBB59_579:
	v_and_b32_e32 v10, 7, v16
	v_ffbh_u32_e32 v14, v10
	v_min_u32_e32 v14, 32, v14
	v_lshrrev_b16_e32 v11, 3, v16
	v_subrev_u32_e32 v15, 28, v14
	v_and_b32_e32 v11, 15, v11
	v_lshlrev_b32_e32 v15, v15, v16
	v_sub_u32_e32 v14, 29, v14
	v_and_b32_e32 v15, 7, v15
	v_cmp_eq_u16_e32 vcc, 0, v11
	v_cndmask_b32_e32 v10, v10, v15, vcc
	v_cndmask_b32_e32 v11, v11, v14, vcc
	v_lshlrev_b32_e32 v14, 24, v16
	v_mov_b32_e32 v15, 0x3b800000
	v_lshlrev_b32_e32 v10, 20, v10
	v_and_b32_e32 v14, 0x80000000, v14
	v_lshl_add_u32 v11, v11, 23, v15
	v_or3_b32 v10, v14, v11, v10
.LBB59_580:
	s_or_b64 exec, exec, s[6:7]
	s_movk_i32 s4, 0x7f
	v_cmp_gt_i16_sdwa s[6:7], v12, s4 src0_sel:BYTE_0 src1_sel:DWORD
	s_mov_b64 s[4:5], 0
                                        ; implicit-def: $sgpr10
	s_and_saveexec_b64 s[8:9], s[6:7]
	s_xor_b64 s[6:7], exec, s[8:9]
	s_cbranch_execnz .LBB59_2629
; %bb.581:
	s_or_saveexec_b64 s[6:7], s[6:7]
	v_mov_b32_e32 v11, s10
	s_xor_b64 exec, exec, s[6:7]
	s_cbranch_execnz .LBB59_2632
.LBB59_582:
	s_or_b64 exec, exec, s[6:7]
	s_and_saveexec_b64 s[6:7], s[4:5]
	s_cbranch_execz .LBB59_584
.LBB59_583:
	v_and_b32_e32 v11, 7, v12
	v_ffbh_u32_e32 v15, v11
	v_min_u32_e32 v15, 32, v15
	v_lshrrev_b16_e32 v14, 3, v12
	v_subrev_u32_e32 v20, 28, v15
	v_and_b32_e32 v14, 15, v14
	v_lshlrev_b32_e32 v20, v20, v12
	v_sub_u32_e32 v15, 29, v15
	v_and_b32_e32 v20, 7, v20
	v_cmp_eq_u16_e32 vcc, 0, v14
	v_cndmask_b32_e32 v11, v11, v20, vcc
	v_cndmask_b32_e32 v14, v14, v15, vcc
	v_lshlrev_b32_e32 v15, 24, v12
	v_mov_b32_e32 v20, 0x3b800000
	v_lshlrev_b32_e32 v11, 20, v11
	v_and_b32_e32 v15, 0x80000000, v15
	v_lshl_add_u32 v14, v14, 23, v20
	v_or3_b32 v11, v15, v14, v11
.LBB59_584:
	s_or_b64 exec, exec, s[6:7]
	s_nop 0
	v_mfma_f32_16x16x4f32 a[0:3], v10, v11, a[0:3]
	v_lshrrev_b32_e32 v11, 8, v16
	s_movk_i32 s4, 0x7f
	v_cmp_gt_i16_sdwa s[6:7], v11, s4 src0_sel:BYTE_0 src1_sel:DWORD
	s_mov_b64 s[4:5], 0
                                        ; implicit-def: $sgpr10
	s_and_saveexec_b64 s[8:9], s[6:7]
	s_xor_b64 s[6:7], exec, s[8:9]
	s_cbranch_execnz .LBB59_2633
; %bb.585:
	s_or_saveexec_b64 s[6:7], s[6:7]
	v_mov_b32_e32 v10, s10
	s_xor_b64 exec, exec, s[6:7]
	s_cbranch_execnz .LBB59_2636
.LBB59_586:
	s_or_b64 exec, exec, s[6:7]
	s_and_saveexec_b64 s[6:7], s[4:5]
	s_cbranch_execz .LBB59_588
.LBB59_587:
	v_bfe_u32 v10, v16, 8, 3
	v_ffbh_u32_e32 v15, v10
	v_min_u32_e32 v15, 32, v15
	v_lshrrev_b16_e32 v14, 3, v11
	v_subrev_u32_e32 v20, 28, v15
	v_and_b32_e32 v14, 15, v14
	v_lshlrev_b32_e32 v11, v20, v11
	v_sub_u32_e32 v15, 29, v15
	v_and_b32_e32 v11, 7, v11
	v_cmp_eq_u16_e32 vcc, 0, v14
	v_cndmask_b32_e32 v10, v10, v11, vcc
	v_cndmask_b32_e32 v11, v14, v15, vcc
	v_lshlrev_b32_e32 v14, 16, v16
	v_mov_b32_e32 v15, 0x3b800000
	v_lshlrev_b32_e32 v10, 20, v10
	v_and_b32_e32 v14, 0x80000000, v14
	v_lshl_add_u32 v11, v11, 23, v15
	v_or3_b32 v10, v14, v11, v10
.LBB59_588:
	s_or_b64 exec, exec, s[6:7]
	v_lshrrev_b32_e32 v11, 8, v12
	s_movk_i32 s4, 0x7f
	v_cmp_gt_i16_sdwa s[6:7], v11, s4 src0_sel:BYTE_0 src1_sel:DWORD
	s_mov_b64 s[4:5], 0
                                        ; implicit-def: $sgpr10
	s_and_saveexec_b64 s[8:9], s[6:7]
	s_xor_b64 s[6:7], exec, s[8:9]
	s_cbranch_execnz .LBB59_2637
; %bb.589:
	s_or_saveexec_b64 s[6:7], s[6:7]
	v_mov_b32_e32 v14, s10
	s_xor_b64 exec, exec, s[6:7]
	s_cbranch_execnz .LBB59_2640
.LBB59_590:
	s_or_b64 exec, exec, s[6:7]
	s_and_saveexec_b64 s[6:7], s[4:5]
	s_cbranch_execz .LBB59_592
.LBB59_591:
	v_bfe_u32 v14, v12, 8, 3
	v_ffbh_u32_e32 v20, v14
	v_min_u32_e32 v20, 32, v20
	v_lshrrev_b16_e32 v15, 3, v11
	v_subrev_u32_e32 v21, 28, v20
	v_and_b32_e32 v15, 15, v15
	v_lshlrev_b32_e32 v11, v21, v11
	v_sub_u32_e32 v20, 29, v20
	v_and_b32_e32 v11, 7, v11
	v_cmp_eq_u16_e32 vcc, 0, v15
	v_cndmask_b32_e32 v11, v14, v11, vcc
	v_cndmask_b32_e32 v14, v15, v20, vcc
	v_lshlrev_b32_e32 v15, 16, v12
	v_mov_b32_e32 v20, 0x3b800000
	v_lshlrev_b32_e32 v11, 20, v11
	v_and_b32_e32 v15, 0x80000000, v15
	v_lshl_add_u32 v14, v14, 23, v20
	v_or3_b32 v14, v15, v14, v11
.LBB59_592:
	s_or_b64 exec, exec, s[6:7]
	s_nop 0
	v_mfma_f32_16x16x4f32 a[0:3], v10, v14, a[0:3]
	s_movk_i32 s4, 0xff
	v_and_b32_sdwa v11, v16, s4 dst_sel:DWORD dst_unused:UNUSED_PAD src0_sel:WORD_1 src1_sel:DWORD
	s_movk_i32 s4, 0x7f
	v_cmp_lt_i16_e32 vcc, s4, v11
	s_mov_b64 s[4:5], 0
                                        ; implicit-def: $sgpr10
	s_and_saveexec_b64 s[6:7], vcc
	s_xor_b64 s[6:7], exec, s[6:7]
	s_cbranch_execnz .LBB59_2641
; %bb.593:
	s_or_saveexec_b64 s[6:7], s[6:7]
	v_mov_b32_e32 v10, s10
	s_xor_b64 exec, exec, s[6:7]
	s_cbranch_execnz .LBB59_2644
.LBB59_594:
	s_or_b64 exec, exec, s[6:7]
	s_and_saveexec_b64 s[6:7], s[4:5]
	s_cbranch_execz .LBB59_596
.LBB59_595:
	v_bfe_u32 v10, v16, 16, 3
	v_ffbh_u32_e32 v15, v10
	v_min_u32_e32 v15, 32, v15
	v_lshrrev_b32_e32 v11, 19, v16
	v_subrev_u32_e32 v20, 28, v15
	v_and_b32_e32 v11, 15, v11
	v_lshlrev_b32_sdwa v20, v20, v16 dst_sel:DWORD dst_unused:UNUSED_PAD src0_sel:DWORD src1_sel:WORD_1
	v_bfe_u32 v14, v16, 19, 4
	v_sub_u32_e32 v15, 29, v15
	v_and_b32_e32 v20, 7, v20
	v_cmp_eq_u16_e32 vcc, 0, v11
	v_cndmask_b32_e32 v10, v10, v20, vcc
	v_cndmask_b32_e32 v11, v14, v15, vcc
	v_lshlrev_b32_e32 v14, 8, v16
	v_mov_b32_e32 v15, 0x3b800000
	v_lshlrev_b32_e32 v10, 20, v10
	v_and_b32_e32 v14, 0x80000000, v14
	v_lshl_add_u32 v11, v11, 23, v15
	v_or3_b32 v10, v14, v11, v10
.LBB59_596:
	s_or_b64 exec, exec, s[6:7]
	s_movk_i32 s4, 0xff
	v_and_b32_sdwa v11, v12, s4 dst_sel:DWORD dst_unused:UNUSED_PAD src0_sel:WORD_1 src1_sel:DWORD
	s_movk_i32 s4, 0x7f
	v_cmp_lt_i16_e32 vcc, s4, v11
	s_mov_b64 s[4:5], 0
                                        ; implicit-def: $sgpr10
	s_and_saveexec_b64 s[6:7], vcc
	s_xor_b64 s[6:7], exec, s[6:7]
	s_cbranch_execnz .LBB59_2645
; %bb.597:
	s_or_saveexec_b64 s[6:7], s[6:7]
	v_mov_b32_e32 v14, s10
	s_xor_b64 exec, exec, s[6:7]
	s_cbranch_execnz .LBB59_2648
.LBB59_598:
	s_or_b64 exec, exec, s[6:7]
	s_and_saveexec_b64 s[6:7], s[4:5]
	s_cbranch_execz .LBB59_600
.LBB59_599:
	v_bfe_u32 v11, v12, 16, 3
	v_ffbh_u32_e32 v20, v11
	v_min_u32_e32 v20, 32, v20
	v_lshrrev_b32_e32 v14, 19, v12
	v_subrev_u32_e32 v21, 28, v20
	v_and_b32_e32 v14, 15, v14
	v_lshlrev_b32_sdwa v21, v21, v12 dst_sel:DWORD dst_unused:UNUSED_PAD src0_sel:DWORD src1_sel:WORD_1
	v_bfe_u32 v15, v12, 19, 4
	v_sub_u32_e32 v20, 29, v20
	v_and_b32_e32 v21, 7, v21
	v_cmp_eq_u16_e32 vcc, 0, v14
	v_cndmask_b32_e32 v11, v11, v21, vcc
	v_cndmask_b32_e32 v14, v15, v20, vcc
	v_lshlrev_b32_e32 v15, 8, v12
	v_mov_b32_e32 v20, 0x3b800000
	v_lshlrev_b32_e32 v11, 20, v11
	v_and_b32_e32 v15, 0x80000000, v15
	v_lshl_add_u32 v14, v14, 23, v20
	v_or3_b32 v14, v15, v14, v11
.LBB59_600:
	s_or_b64 exec, exec, s[6:7]
	s_nop 0
	v_mfma_f32_16x16x4f32 a[0:3], v10, v14, a[0:3]
	s_movk_i32 s4, 0x7f
	v_cmp_gt_i16_sdwa s[6:7], v16, s4 src0_sel:BYTE_3 src1_sel:DWORD
	s_mov_b64 s[4:5], 0
                                        ; implicit-def: $sgpr10
	s_and_saveexec_b64 s[8:9], s[6:7]
	s_xor_b64 s[6:7], exec, s[8:9]
	s_cbranch_execnz .LBB59_2649
; %bb.601:
	s_or_saveexec_b64 s[6:7], s[6:7]
	v_mov_b32_e32 v10, s10
	s_xor_b64 exec, exec, s[6:7]
	s_cbranch_execnz .LBB59_2652
.LBB59_602:
	s_or_b64 exec, exec, s[6:7]
	s_and_saveexec_b64 s[6:7], s[4:5]
	s_cbranch_execz .LBB59_604
.LBB59_603:
	v_bfe_u32 v10, v16, 24, 3
	v_ffbh_u32_e32 v20, v10
	v_min_u32_e32 v20, 32, v20
	v_lshrrev_b32_e32 v14, 27, v16
	v_subrev_u32_e32 v21, 28, v20
	v_and_b32_e32 v11, 0x80000000, v16
	v_and_b32_e32 v14, 15, v14
	v_bfe_u32 v15, v16, 27, 4
	v_lshlrev_b32_sdwa v16, v21, v16 dst_sel:DWORD dst_unused:UNUSED_PAD src0_sel:DWORD src1_sel:BYTE_3
	v_sub_u32_e32 v20, 29, v20
	v_and_b32_e32 v16, 7, v16
	v_cmp_eq_u16_e32 vcc, 0, v14
	v_cndmask_b32_e32 v10, v10, v16, vcc
	v_cndmask_b32_e32 v14, v15, v20, vcc
	v_mov_b32_e32 v15, 0x3b800000
	v_lshlrev_b32_e32 v10, 20, v10
	v_lshl_add_u32 v14, v14, 23, v15
	v_or3_b32 v10, v11, v14, v10
.LBB59_604:
	s_or_b64 exec, exec, s[6:7]
	s_movk_i32 s4, 0x7f
	v_cmp_gt_i16_sdwa s[6:7], v12, s4 src0_sel:BYTE_3 src1_sel:DWORD
	s_mov_b64 s[4:5], 0
                                        ; implicit-def: $sgpr10
	s_and_saveexec_b64 s[8:9], s[6:7]
	s_xor_b64 s[6:7], exec, s[8:9]
	s_cbranch_execnz .LBB59_2653
; %bb.605:
	s_or_saveexec_b64 s[6:7], s[6:7]
	v_mov_b32_e32 v11, s10
	s_xor_b64 exec, exec, s[6:7]
	s_cbranch_execnz .LBB59_2656
.LBB59_606:
	s_or_b64 exec, exec, s[6:7]
	s_and_saveexec_b64 s[6:7], s[4:5]
	s_cbranch_execz .LBB59_608
.LBB59_607:
	v_bfe_u32 v11, v12, 24, 3
	v_ffbh_u32_e32 v20, v11
	v_min_u32_e32 v20, 32, v20
	v_lshrrev_b32_e32 v15, 27, v12
	v_subrev_u32_e32 v21, 28, v20
	v_and_b32_e32 v14, 0x80000000, v12
	v_and_b32_e32 v15, 15, v15
	v_bfe_u32 v16, v12, 27, 4
	v_lshlrev_b32_sdwa v12, v21, v12 dst_sel:DWORD dst_unused:UNUSED_PAD src0_sel:DWORD src1_sel:BYTE_3
	v_sub_u32_e32 v20, 29, v20
	v_and_b32_e32 v12, 7, v12
	v_cmp_eq_u16_e32 vcc, 0, v15
	v_cndmask_b32_e32 v11, v11, v12, vcc
	v_cndmask_b32_e32 v12, v16, v20, vcc
	v_mov_b32_e32 v15, 0x3b800000
	v_lshlrev_b32_e32 v11, 20, v11
	v_lshl_add_u32 v12, v12, 23, v15
	v_or3_b32 v11, v14, v12, v11
.LBB59_608:
	s_or_b64 exec, exec, s[6:7]
	s_nop 0
	v_mfma_f32_16x16x4f32 a[0:3], v10, v11, a[0:3]
	s_movk_i32 s4, 0x7f
	v_cmp_gt_i16_sdwa s[6:7], v17, s4 src0_sel:BYTE_0 src1_sel:DWORD
	s_mov_b64 s[4:5], 0
                                        ; implicit-def: $sgpr10
	s_and_saveexec_b64 s[8:9], s[6:7]
	s_xor_b64 s[6:7], exec, s[8:9]
	s_cbranch_execnz .LBB59_2657
; %bb.609:
	s_or_saveexec_b64 s[6:7], s[6:7]
	v_mov_b32_e32 v10, s10
	s_xor_b64 exec, exec, s[6:7]
	s_cbranch_execnz .LBB59_2660
.LBB59_610:
	s_or_b64 exec, exec, s[6:7]
	s_and_saveexec_b64 s[6:7], s[4:5]
	s_cbranch_execz .LBB59_612
.LBB59_611:
	v_and_b32_e32 v10, 7, v17
	v_ffbh_u32_e32 v12, v10
	v_min_u32_e32 v12, 32, v12
	v_lshrrev_b16_e32 v11, 3, v17
	v_subrev_u32_e32 v14, 28, v12
	v_and_b32_e32 v11, 15, v11
	v_lshlrev_b32_e32 v14, v14, v17
	v_sub_u32_e32 v12, 29, v12
	v_and_b32_e32 v14, 7, v14
	v_cmp_eq_u16_e32 vcc, 0, v11
	v_cndmask_b32_e32 v10, v10, v14, vcc
	v_cndmask_b32_e32 v11, v11, v12, vcc
	v_lshlrev_b32_e32 v12, 24, v17
	v_mov_b32_e32 v14, 0x3b800000
	v_lshlrev_b32_e32 v10, 20, v10
	v_and_b32_e32 v12, 0x80000000, v12
	v_lshl_add_u32 v11, v11, 23, v14
	v_or3_b32 v10, v12, v11, v10
.LBB59_612:
	s_or_b64 exec, exec, s[6:7]
	s_movk_i32 s4, 0x7f
	v_cmp_gt_i16_sdwa s[6:7], v13, s4 src0_sel:BYTE_0 src1_sel:DWORD
	s_mov_b64 s[4:5], 0
                                        ; implicit-def: $sgpr10
	s_and_saveexec_b64 s[8:9], s[6:7]
	s_xor_b64 s[6:7], exec, s[8:9]
	s_cbranch_execnz .LBB59_2661
; %bb.613:
	s_or_saveexec_b64 s[6:7], s[6:7]
	v_mov_b32_e32 v11, s10
	s_xor_b64 exec, exec, s[6:7]
	s_cbranch_execnz .LBB59_2664
.LBB59_614:
	s_or_b64 exec, exec, s[6:7]
	s_and_saveexec_b64 s[6:7], s[4:5]
	s_cbranch_execz .LBB59_616
.LBB59_615:
	v_and_b32_e32 v11, 7, v13
	v_ffbh_u32_e32 v14, v11
	v_min_u32_e32 v14, 32, v14
	v_lshrrev_b16_e32 v12, 3, v13
	v_subrev_u32_e32 v15, 28, v14
	v_and_b32_e32 v12, 15, v12
	v_lshlrev_b32_e32 v15, v15, v13
	v_sub_u32_e32 v14, 29, v14
	v_and_b32_e32 v15, 7, v15
	v_cmp_eq_u16_e32 vcc, 0, v12
	v_cndmask_b32_e32 v11, v11, v15, vcc
	v_cndmask_b32_e32 v12, v12, v14, vcc
	v_lshlrev_b32_e32 v14, 24, v13
	v_mov_b32_e32 v15, 0x3b800000
	v_lshlrev_b32_e32 v11, 20, v11
	v_and_b32_e32 v14, 0x80000000, v14
	v_lshl_add_u32 v12, v12, 23, v15
	v_or3_b32 v11, v14, v12, v11
.LBB59_616:
	s_or_b64 exec, exec, s[6:7]
	s_nop 0
	v_mfma_f32_16x16x4f32 a[0:3], v10, v11, a[0:3]
	v_lshrrev_b32_e32 v11, 8, v17
	s_movk_i32 s4, 0x7f
	v_cmp_gt_i16_sdwa s[6:7], v11, s4 src0_sel:BYTE_0 src1_sel:DWORD
	s_mov_b64 s[4:5], 0
                                        ; implicit-def: $sgpr10
	s_and_saveexec_b64 s[8:9], s[6:7]
	s_xor_b64 s[6:7], exec, s[8:9]
	s_cbranch_execnz .LBB59_2665
; %bb.617:
	s_or_saveexec_b64 s[6:7], s[6:7]
	v_mov_b32_e32 v10, s10
	s_xor_b64 exec, exec, s[6:7]
	s_cbranch_execnz .LBB59_2668
.LBB59_618:
	s_or_b64 exec, exec, s[6:7]
	s_and_saveexec_b64 s[6:7], s[4:5]
	s_cbranch_execz .LBB59_620
.LBB59_619:
	v_bfe_u32 v10, v17, 8, 3
	v_ffbh_u32_e32 v14, v10
	v_min_u32_e32 v14, 32, v14
	v_lshrrev_b16_e32 v12, 3, v11
	v_subrev_u32_e32 v15, 28, v14
	v_and_b32_e32 v12, 15, v12
	v_lshlrev_b32_e32 v11, v15, v11
	v_sub_u32_e32 v14, 29, v14
	v_and_b32_e32 v11, 7, v11
	v_cmp_eq_u16_e32 vcc, 0, v12
	v_cndmask_b32_e32 v10, v10, v11, vcc
	v_cndmask_b32_e32 v11, v12, v14, vcc
	v_lshlrev_b32_e32 v12, 16, v17
	v_mov_b32_e32 v14, 0x3b800000
	v_lshlrev_b32_e32 v10, 20, v10
	v_and_b32_e32 v12, 0x80000000, v12
	v_lshl_add_u32 v11, v11, 23, v14
	v_or3_b32 v10, v12, v11, v10
.LBB59_620:
	s_or_b64 exec, exec, s[6:7]
	v_lshrrev_b32_e32 v11, 8, v13
	s_movk_i32 s4, 0x7f
	v_cmp_gt_i16_sdwa s[6:7], v11, s4 src0_sel:BYTE_0 src1_sel:DWORD
	s_mov_b64 s[4:5], 0
                                        ; implicit-def: $sgpr10
	s_and_saveexec_b64 s[8:9], s[6:7]
	s_xor_b64 s[6:7], exec, s[8:9]
	s_cbranch_execnz .LBB59_2669
; %bb.621:
	s_or_saveexec_b64 s[6:7], s[6:7]
	v_mov_b32_e32 v12, s10
	s_xor_b64 exec, exec, s[6:7]
	s_cbranch_execnz .LBB59_2672
.LBB59_622:
	s_or_b64 exec, exec, s[6:7]
	s_and_saveexec_b64 s[6:7], s[4:5]
	s_cbranch_execz .LBB59_624
.LBB59_623:
	v_bfe_u32 v12, v13, 8, 3
	v_ffbh_u32_e32 v15, v12
	v_min_u32_e32 v15, 32, v15
	v_lshrrev_b16_e32 v14, 3, v11
	v_subrev_u32_e32 v16, 28, v15
	v_and_b32_e32 v14, 15, v14
	v_lshlrev_b32_e32 v11, v16, v11
	v_sub_u32_e32 v15, 29, v15
	v_and_b32_e32 v11, 7, v11
	v_cmp_eq_u16_e32 vcc, 0, v14
	v_cndmask_b32_e32 v11, v12, v11, vcc
	v_cndmask_b32_e32 v12, v14, v15, vcc
	v_lshlrev_b32_e32 v14, 16, v13
	v_mov_b32_e32 v15, 0x3b800000
	v_lshlrev_b32_e32 v11, 20, v11
	v_and_b32_e32 v14, 0x80000000, v14
	v_lshl_add_u32 v12, v12, 23, v15
	v_or3_b32 v12, v14, v12, v11
.LBB59_624:
	s_or_b64 exec, exec, s[6:7]
	s_nop 0
	v_mfma_f32_16x16x4f32 a[0:3], v10, v12, a[0:3]
	s_movk_i32 s4, 0xff
	v_and_b32_sdwa v11, v17, s4 dst_sel:DWORD dst_unused:UNUSED_PAD src0_sel:WORD_1 src1_sel:DWORD
	s_movk_i32 s4, 0x7f
	v_cmp_lt_i16_e32 vcc, s4, v11
	s_mov_b64 s[4:5], 0
                                        ; implicit-def: $sgpr10
	s_and_saveexec_b64 s[6:7], vcc
	s_xor_b64 s[6:7], exec, s[6:7]
	s_cbranch_execnz .LBB59_2673
; %bb.625:
	s_or_saveexec_b64 s[6:7], s[6:7]
	v_mov_b32_e32 v10, s10
	s_xor_b64 exec, exec, s[6:7]
	s_cbranch_execnz .LBB59_2676
.LBB59_626:
	s_or_b64 exec, exec, s[6:7]
	s_and_saveexec_b64 s[6:7], s[4:5]
	s_cbranch_execz .LBB59_628
.LBB59_627:
	v_bfe_u32 v10, v17, 16, 3
	v_ffbh_u32_e32 v14, v10
	v_min_u32_e32 v14, 32, v14
	v_lshrrev_b32_e32 v11, 19, v17
	v_subrev_u32_e32 v15, 28, v14
	v_and_b32_e32 v11, 15, v11
	v_lshlrev_b32_sdwa v15, v15, v17 dst_sel:DWORD dst_unused:UNUSED_PAD src0_sel:DWORD src1_sel:WORD_1
	v_bfe_u32 v12, v17, 19, 4
	v_sub_u32_e32 v14, 29, v14
	v_and_b32_e32 v15, 7, v15
	v_cmp_eq_u16_e32 vcc, 0, v11
	v_cndmask_b32_e32 v10, v10, v15, vcc
	v_cndmask_b32_e32 v11, v12, v14, vcc
	v_lshlrev_b32_e32 v12, 8, v17
	v_mov_b32_e32 v14, 0x3b800000
	v_lshlrev_b32_e32 v10, 20, v10
	v_and_b32_e32 v12, 0x80000000, v12
	v_lshl_add_u32 v11, v11, 23, v14
	v_or3_b32 v10, v12, v11, v10
.LBB59_628:
	s_or_b64 exec, exec, s[6:7]
	s_movk_i32 s4, 0xff
	v_and_b32_sdwa v11, v13, s4 dst_sel:DWORD dst_unused:UNUSED_PAD src0_sel:WORD_1 src1_sel:DWORD
	s_movk_i32 s4, 0x7f
	v_cmp_lt_i16_e32 vcc, s4, v11
	s_mov_b64 s[4:5], 0
                                        ; implicit-def: $sgpr10
	s_and_saveexec_b64 s[6:7], vcc
	s_xor_b64 s[6:7], exec, s[6:7]
	s_cbranch_execnz .LBB59_2677
; %bb.629:
	s_or_saveexec_b64 s[6:7], s[6:7]
	v_mov_b32_e32 v12, s10
	s_xor_b64 exec, exec, s[6:7]
	s_cbranch_execnz .LBB59_2680
.LBB59_630:
	s_or_b64 exec, exec, s[6:7]
	s_and_saveexec_b64 s[6:7], s[4:5]
	s_cbranch_execz .LBB59_632
.LBB59_631:
	v_bfe_u32 v11, v13, 16, 3
	v_ffbh_u32_e32 v15, v11
	v_min_u32_e32 v15, 32, v15
	v_lshrrev_b32_e32 v12, 19, v13
	v_subrev_u32_e32 v16, 28, v15
	v_and_b32_e32 v12, 15, v12
	v_lshlrev_b32_sdwa v16, v16, v13 dst_sel:DWORD dst_unused:UNUSED_PAD src0_sel:DWORD src1_sel:WORD_1
	v_bfe_u32 v14, v13, 19, 4
	v_sub_u32_e32 v15, 29, v15
	v_and_b32_e32 v16, 7, v16
	v_cmp_eq_u16_e32 vcc, 0, v12
	v_cndmask_b32_e32 v11, v11, v16, vcc
	v_cndmask_b32_e32 v12, v14, v15, vcc
	v_lshlrev_b32_e32 v14, 8, v13
	v_mov_b32_e32 v15, 0x3b800000
	v_lshlrev_b32_e32 v11, 20, v11
	v_and_b32_e32 v14, 0x80000000, v14
	v_lshl_add_u32 v12, v12, 23, v15
	v_or3_b32 v12, v14, v12, v11
.LBB59_632:
	s_or_b64 exec, exec, s[6:7]
	s_nop 0
	v_mfma_f32_16x16x4f32 a[0:3], v10, v12, a[0:3]
	s_movk_i32 s4, 0x7f
	v_cmp_gt_i16_sdwa s[6:7], v17, s4 src0_sel:BYTE_3 src1_sel:DWORD
	s_mov_b64 s[4:5], 0
                                        ; implicit-def: $sgpr10
	s_and_saveexec_b64 s[8:9], s[6:7]
	s_xor_b64 s[6:7], exec, s[8:9]
	s_cbranch_execnz .LBB59_2681
; %bb.633:
	s_or_saveexec_b64 s[6:7], s[6:7]
	v_mov_b32_e32 v10, s10
	s_xor_b64 exec, exec, s[6:7]
	s_cbranch_execnz .LBB59_2684
.LBB59_634:
	s_or_b64 exec, exec, s[6:7]
	s_and_saveexec_b64 s[6:7], s[4:5]
	s_cbranch_execz .LBB59_636
.LBB59_635:
	v_bfe_u32 v10, v17, 24, 3
	v_ffbh_u32_e32 v15, v10
	v_min_u32_e32 v15, 32, v15
	v_lshrrev_b32_e32 v12, 27, v17
	v_subrev_u32_e32 v16, 28, v15
	v_and_b32_e32 v12, 15, v12
	v_lshlrev_b32_sdwa v16, v16, v17 dst_sel:DWORD dst_unused:UNUSED_PAD src0_sel:DWORD src1_sel:BYTE_3
	v_bfe_u32 v14, v17, 27, 4
	v_sub_u32_e32 v15, 29, v15
	v_and_b32_e32 v16, 7, v16
	v_cmp_eq_u16_e32 vcc, 0, v12
	v_cndmask_b32_e32 v10, v10, v16, vcc
	v_cndmask_b32_e32 v12, v14, v15, vcc
	v_mov_b32_e32 v14, 0x3b800000
	v_and_b32_e32 v11, 0x80000000, v17
	v_lshlrev_b32_e32 v10, 20, v10
	v_lshl_add_u32 v12, v12, 23, v14
	v_or3_b32 v10, v11, v12, v10
.LBB59_636:
	s_or_b64 exec, exec, s[6:7]
	s_movk_i32 s4, 0x7f
	v_cmp_gt_i16_sdwa s[6:7], v13, s4 src0_sel:BYTE_3 src1_sel:DWORD
	s_mov_b64 s[4:5], 0
                                        ; implicit-def: $sgpr10
	s_and_saveexec_b64 s[8:9], s[6:7]
	s_xor_b64 s[6:7], exec, s[8:9]
	s_cbranch_execnz .LBB59_2685
; %bb.637:
	s_or_saveexec_b64 s[6:7], s[6:7]
	v_mov_b32_e32 v11, s10
	s_xor_b64 exec, exec, s[6:7]
	s_cbranch_execnz .LBB59_2688
.LBB59_638:
	s_or_b64 exec, exec, s[6:7]
	s_and_saveexec_b64 s[6:7], s[4:5]
	s_cbranch_execz .LBB59_640
.LBB59_639:
	v_bfe_u32 v11, v13, 24, 3
	v_ffbh_u32_e32 v16, v11
	v_min_u32_e32 v16, 32, v16
	v_lshrrev_b32_e32 v14, 27, v13
	v_subrev_u32_e32 v17, 28, v16
	v_and_b32_e32 v12, 0x80000000, v13
	v_and_b32_e32 v14, 15, v14
	v_bfe_u32 v15, v13, 27, 4
	v_lshlrev_b32_sdwa v13, v17, v13 dst_sel:DWORD dst_unused:UNUSED_PAD src0_sel:DWORD src1_sel:BYTE_3
	v_sub_u32_e32 v16, 29, v16
	v_and_b32_e32 v13, 7, v13
	v_cmp_eq_u16_e32 vcc, 0, v14
	v_cndmask_b32_e32 v11, v11, v13, vcc
	v_cndmask_b32_e32 v13, v15, v16, vcc
	v_mov_b32_e32 v14, 0x3b800000
	v_lshlrev_b32_e32 v11, 20, v11
	v_lshl_add_u32 v13, v13, 23, v14
	v_or3_b32 v11, v12, v13, v11
.LBB59_640:
	s_or_b64 exec, exec, s[6:7]
	s_nop 0
	v_mfma_f32_16x16x4f32 a[0:3], v10, v11, a[0:3]
	s_movk_i32 s4, 0x7f
	v_cmp_gt_i16_sdwa s[6:7], v6, s4 src0_sel:BYTE_0 src1_sel:DWORD
	s_mov_b64 s[4:5], 0
                                        ; implicit-def: $sgpr10
	s_and_saveexec_b64 s[8:9], s[6:7]
	s_xor_b64 s[6:7], exec, s[8:9]
	s_cbranch_execnz .LBB59_2689
; %bb.641:
	s_or_saveexec_b64 s[6:7], s[6:7]
	v_mov_b32_e32 v10, s10
	s_xor_b64 exec, exec, s[6:7]
	s_cbranch_execnz .LBB59_2692
.LBB59_642:
	s_or_b64 exec, exec, s[6:7]
	s_and_saveexec_b64 s[6:7], s[4:5]
	s_cbranch_execz .LBB59_644
.LBB59_643:
	v_and_b32_e32 v10, 7, v6
	v_ffbh_u32_e32 v12, v10
	v_min_u32_e32 v12, 32, v12
	v_lshrrev_b16_e32 v11, 3, v6
	v_subrev_u32_e32 v13, 28, v12
	v_and_b32_e32 v11, 15, v11
	v_lshlrev_b32_e32 v13, v13, v6
	v_sub_u32_e32 v12, 29, v12
	v_and_b32_e32 v13, 7, v13
	v_cmp_eq_u16_e32 vcc, 0, v11
	v_cndmask_b32_e32 v10, v10, v13, vcc
	v_cndmask_b32_e32 v11, v11, v12, vcc
	v_lshlrev_b32_e32 v12, 24, v6
	v_mov_b32_e32 v13, 0x3b800000
	v_lshlrev_b32_e32 v10, 20, v10
	v_and_b32_e32 v12, 0x80000000, v12
	v_lshl_add_u32 v11, v11, 23, v13
	v_or3_b32 v10, v12, v11, v10
.LBB59_644:
	s_or_b64 exec, exec, s[6:7]
	s_movk_i32 s4, 0x7f
	v_cmp_gt_i16_sdwa s[6:7], v2, s4 src0_sel:BYTE_0 src1_sel:DWORD
	s_mov_b64 s[4:5], 0
                                        ; implicit-def: $sgpr10
	s_and_saveexec_b64 s[8:9], s[6:7]
	s_xor_b64 s[6:7], exec, s[8:9]
	s_cbranch_execnz .LBB59_2693
; %bb.645:
	s_or_saveexec_b64 s[6:7], s[6:7]
	v_mov_b32_e32 v11, s10
	s_xor_b64 exec, exec, s[6:7]
	s_cbranch_execnz .LBB59_2696
.LBB59_646:
	s_or_b64 exec, exec, s[6:7]
	s_and_saveexec_b64 s[6:7], s[4:5]
	s_cbranch_execz .LBB59_648
.LBB59_647:
	v_and_b32_e32 v11, 7, v2
	v_ffbh_u32_e32 v13, v11
	v_min_u32_e32 v13, 32, v13
	v_lshrrev_b16_e32 v12, 3, v2
	v_subrev_u32_e32 v14, 28, v13
	v_and_b32_e32 v12, 15, v12
	v_lshlrev_b32_e32 v14, v14, v2
	v_sub_u32_e32 v13, 29, v13
	v_and_b32_e32 v14, 7, v14
	v_cmp_eq_u16_e32 vcc, 0, v12
	v_cndmask_b32_e32 v11, v11, v14, vcc
	v_cndmask_b32_e32 v12, v12, v13, vcc
	v_lshlrev_b32_e32 v13, 24, v2
	v_mov_b32_e32 v14, 0x3b800000
	v_lshlrev_b32_e32 v11, 20, v11
	v_and_b32_e32 v13, 0x80000000, v13
	v_lshl_add_u32 v12, v12, 23, v14
	v_or3_b32 v11, v13, v12, v11
.LBB59_648:
	s_or_b64 exec, exec, s[6:7]
	s_nop 0
	v_mfma_f32_16x16x4f32 a[0:3], v10, v11, a[0:3]
	v_lshrrev_b32_e32 v11, 8, v6
	s_movk_i32 s4, 0x7f
	v_cmp_gt_i16_sdwa s[6:7], v11, s4 src0_sel:BYTE_0 src1_sel:DWORD
	s_mov_b64 s[4:5], 0
                                        ; implicit-def: $sgpr10
	s_and_saveexec_b64 s[8:9], s[6:7]
	s_xor_b64 s[6:7], exec, s[8:9]
	s_cbranch_execnz .LBB59_2697
; %bb.649:
	s_or_saveexec_b64 s[6:7], s[6:7]
	v_mov_b32_e32 v10, s10
	s_xor_b64 exec, exec, s[6:7]
	s_cbranch_execnz .LBB59_2700
.LBB59_650:
	s_or_b64 exec, exec, s[6:7]
	s_and_saveexec_b64 s[6:7], s[4:5]
	s_cbranch_execz .LBB59_652
.LBB59_651:
	v_bfe_u32 v10, v6, 8, 3
	v_ffbh_u32_e32 v13, v10
	v_min_u32_e32 v13, 32, v13
	v_lshrrev_b16_e32 v12, 3, v11
	v_subrev_u32_e32 v14, 28, v13
	v_and_b32_e32 v12, 15, v12
	v_lshlrev_b32_e32 v11, v14, v11
	v_sub_u32_e32 v13, 29, v13
	v_and_b32_e32 v11, 7, v11
	v_cmp_eq_u16_e32 vcc, 0, v12
	v_cndmask_b32_e32 v10, v10, v11, vcc
	v_cndmask_b32_e32 v11, v12, v13, vcc
	v_lshlrev_b32_e32 v12, 16, v6
	v_mov_b32_e32 v13, 0x3b800000
	v_lshlrev_b32_e32 v10, 20, v10
	v_and_b32_e32 v12, 0x80000000, v12
	v_lshl_add_u32 v11, v11, 23, v13
	v_or3_b32 v10, v12, v11, v10
.LBB59_652:
	s_or_b64 exec, exec, s[6:7]
	v_lshrrev_b32_e32 v11, 8, v2
	s_movk_i32 s4, 0x7f
	v_cmp_gt_i16_sdwa s[6:7], v11, s4 src0_sel:BYTE_0 src1_sel:DWORD
	s_mov_b64 s[4:5], 0
                                        ; implicit-def: $sgpr10
	s_and_saveexec_b64 s[8:9], s[6:7]
	s_xor_b64 s[6:7], exec, s[8:9]
	s_cbranch_execnz .LBB59_2701
; %bb.653:
	s_or_saveexec_b64 s[6:7], s[6:7]
	v_mov_b32_e32 v12, s10
	s_xor_b64 exec, exec, s[6:7]
	s_cbranch_execnz .LBB59_2704
.LBB59_654:
	s_or_b64 exec, exec, s[6:7]
	s_and_saveexec_b64 s[6:7], s[4:5]
	s_cbranch_execz .LBB59_656
.LBB59_655:
	v_bfe_u32 v12, v2, 8, 3
	v_ffbh_u32_e32 v14, v12
	v_min_u32_e32 v14, 32, v14
	v_lshrrev_b16_e32 v13, 3, v11
	v_subrev_u32_e32 v15, 28, v14
	v_and_b32_e32 v13, 15, v13
	v_lshlrev_b32_e32 v11, v15, v11
	v_sub_u32_e32 v14, 29, v14
	v_and_b32_e32 v11, 7, v11
	v_cmp_eq_u16_e32 vcc, 0, v13
	v_cndmask_b32_e32 v11, v12, v11, vcc
	v_cndmask_b32_e32 v12, v13, v14, vcc
	v_lshlrev_b32_e32 v13, 16, v2
	v_mov_b32_e32 v14, 0x3b800000
	v_lshlrev_b32_e32 v11, 20, v11
	v_and_b32_e32 v13, 0x80000000, v13
	v_lshl_add_u32 v12, v12, 23, v14
	v_or3_b32 v12, v13, v12, v11
.LBB59_656:
	s_or_b64 exec, exec, s[6:7]
	s_nop 0
	v_mfma_f32_16x16x4f32 a[0:3], v10, v12, a[0:3]
	s_movk_i32 s4, 0xff
	v_and_b32_sdwa v11, v6, s4 dst_sel:DWORD dst_unused:UNUSED_PAD src0_sel:WORD_1 src1_sel:DWORD
	s_movk_i32 s4, 0x7f
	v_cmp_lt_i16_e32 vcc, s4, v11
	s_mov_b64 s[4:5], 0
                                        ; implicit-def: $sgpr10
	s_and_saveexec_b64 s[6:7], vcc
	s_xor_b64 s[6:7], exec, s[6:7]
	s_cbranch_execnz .LBB59_2705
; %bb.657:
	s_or_saveexec_b64 s[6:7], s[6:7]
	v_mov_b32_e32 v10, s10
	s_xor_b64 exec, exec, s[6:7]
	s_cbranch_execnz .LBB59_2708
.LBB59_658:
	s_or_b64 exec, exec, s[6:7]
	s_and_saveexec_b64 s[6:7], s[4:5]
	s_cbranch_execz .LBB59_660
.LBB59_659:
	v_bfe_u32 v10, v6, 16, 3
	v_ffbh_u32_e32 v13, v10
	v_min_u32_e32 v13, 32, v13
	v_lshrrev_b32_e32 v11, 19, v6
	v_subrev_u32_e32 v14, 28, v13
	v_and_b32_e32 v11, 15, v11
	v_lshlrev_b32_sdwa v14, v14, v6 dst_sel:DWORD dst_unused:UNUSED_PAD src0_sel:DWORD src1_sel:WORD_1
	v_bfe_u32 v12, v6, 19, 4
	v_sub_u32_e32 v13, 29, v13
	v_and_b32_e32 v14, 7, v14
	v_cmp_eq_u16_e32 vcc, 0, v11
	v_cndmask_b32_e32 v10, v10, v14, vcc
	v_cndmask_b32_e32 v11, v12, v13, vcc
	v_lshlrev_b32_e32 v12, 8, v6
	v_mov_b32_e32 v13, 0x3b800000
	v_lshlrev_b32_e32 v10, 20, v10
	v_and_b32_e32 v12, 0x80000000, v12
	v_lshl_add_u32 v11, v11, 23, v13
	v_or3_b32 v10, v12, v11, v10
.LBB59_660:
	s_or_b64 exec, exec, s[6:7]
	s_movk_i32 s4, 0xff
	v_and_b32_sdwa v11, v2, s4 dst_sel:DWORD dst_unused:UNUSED_PAD src0_sel:WORD_1 src1_sel:DWORD
	s_movk_i32 s4, 0x7f
	v_cmp_lt_i16_e32 vcc, s4, v11
	s_mov_b64 s[4:5], 0
                                        ; implicit-def: $sgpr10
	s_and_saveexec_b64 s[6:7], vcc
	s_xor_b64 s[6:7], exec, s[6:7]
	s_cbranch_execnz .LBB59_2709
; %bb.661:
	s_or_saveexec_b64 s[6:7], s[6:7]
	v_mov_b32_e32 v12, s10
	s_xor_b64 exec, exec, s[6:7]
	s_cbranch_execnz .LBB59_2712
.LBB59_662:
	s_or_b64 exec, exec, s[6:7]
	s_and_saveexec_b64 s[6:7], s[4:5]
	s_cbranch_execz .LBB59_664
.LBB59_663:
	v_bfe_u32 v11, v2, 16, 3
	v_ffbh_u32_e32 v14, v11
	v_min_u32_e32 v14, 32, v14
	v_lshrrev_b32_e32 v12, 19, v2
	v_subrev_u32_e32 v15, 28, v14
	v_and_b32_e32 v12, 15, v12
	v_lshlrev_b32_sdwa v15, v15, v2 dst_sel:DWORD dst_unused:UNUSED_PAD src0_sel:DWORD src1_sel:WORD_1
	v_bfe_u32 v13, v2, 19, 4
	v_sub_u32_e32 v14, 29, v14
	v_and_b32_e32 v15, 7, v15
	v_cmp_eq_u16_e32 vcc, 0, v12
	v_cndmask_b32_e32 v11, v11, v15, vcc
	v_cndmask_b32_e32 v12, v13, v14, vcc
	v_lshlrev_b32_e32 v13, 8, v2
	v_mov_b32_e32 v14, 0x3b800000
	v_lshlrev_b32_e32 v11, 20, v11
	v_and_b32_e32 v13, 0x80000000, v13
	v_lshl_add_u32 v12, v12, 23, v14
	v_or3_b32 v12, v13, v12, v11
.LBB59_664:
	s_or_b64 exec, exec, s[6:7]
	s_nop 0
	v_mfma_f32_16x16x4f32 a[0:3], v10, v12, a[0:3]
	s_movk_i32 s4, 0x7f
	v_cmp_gt_i16_sdwa s[6:7], v6, s4 src0_sel:BYTE_3 src1_sel:DWORD
	s_mov_b64 s[4:5], 0
                                        ; implicit-def: $sgpr10
	s_and_saveexec_b64 s[8:9], s[6:7]
	s_xor_b64 s[6:7], exec, s[8:9]
	s_cbranch_execnz .LBB59_2713
; %bb.665:
	s_or_saveexec_b64 s[6:7], s[6:7]
	v_mov_b32_e32 v10, s10
	s_xor_b64 exec, exec, s[6:7]
	s_cbranch_execnz .LBB59_2716
.LBB59_666:
	s_or_b64 exec, exec, s[6:7]
	s_and_saveexec_b64 s[6:7], s[4:5]
	s_cbranch_execz .LBB59_668
.LBB59_667:
	v_bfe_u32 v10, v6, 24, 3
	v_ffbh_u32_e32 v14, v10
	v_min_u32_e32 v14, 32, v14
	v_lshrrev_b32_e32 v12, 27, v6
	v_subrev_u32_e32 v15, 28, v14
	v_and_b32_e32 v11, 0x80000000, v6
	v_and_b32_e32 v12, 15, v12
	v_bfe_u32 v13, v6, 27, 4
	v_lshlrev_b32_sdwa v6, v15, v6 dst_sel:DWORD dst_unused:UNUSED_PAD src0_sel:DWORD src1_sel:BYTE_3
	v_sub_u32_e32 v14, 29, v14
	v_and_b32_e32 v6, 7, v6
	v_cmp_eq_u16_e32 vcc, 0, v12
	v_cndmask_b32_e32 v6, v10, v6, vcc
	v_cndmask_b32_e32 v10, v13, v14, vcc
	v_mov_b32_e32 v12, 0x3b800000
	v_lshlrev_b32_e32 v6, 20, v6
	v_lshl_add_u32 v10, v10, 23, v12
	v_or3_b32 v10, v11, v10, v6
.LBB59_668:
	s_or_b64 exec, exec, s[6:7]
	s_movk_i32 s4, 0x7f
	v_cmp_gt_i16_sdwa s[6:7], v2, s4 src0_sel:BYTE_3 src1_sel:DWORD
	s_mov_b64 s[4:5], 0
                                        ; implicit-def: $sgpr10
	s_and_saveexec_b64 s[8:9], s[6:7]
	s_xor_b64 s[6:7], exec, s[8:9]
	s_cbranch_execnz .LBB59_2717
; %bb.669:
	s_or_saveexec_b64 s[6:7], s[6:7]
	v_mov_b32_e32 v6, s10
	s_xor_b64 exec, exec, s[6:7]
	s_cbranch_execnz .LBB59_2720
.LBB59_670:
	s_or_b64 exec, exec, s[6:7]
	s_and_saveexec_b64 s[6:7], s[4:5]
	s_cbranch_execz .LBB59_672
.LBB59_671:
	v_bfe_u32 v6, v2, 24, 3
	v_ffbh_u32_e32 v14, v6
	v_min_u32_e32 v14, 32, v14
	v_lshrrev_b32_e32 v12, 27, v2
	v_subrev_u32_e32 v15, 28, v14
	v_and_b32_e32 v11, 0x80000000, v2
	v_and_b32_e32 v12, 15, v12
	v_bfe_u32 v13, v2, 27, 4
	v_lshlrev_b32_sdwa v2, v15, v2 dst_sel:DWORD dst_unused:UNUSED_PAD src0_sel:DWORD src1_sel:BYTE_3
	v_sub_u32_e32 v14, 29, v14
	v_and_b32_e32 v2, 7, v2
	v_cmp_eq_u16_e32 vcc, 0, v12
	v_cndmask_b32_e32 v2, v6, v2, vcc
	v_cndmask_b32_e32 v6, v13, v14, vcc
	v_mov_b32_e32 v12, 0x3b800000
	v_lshlrev_b32_e32 v2, 20, v2
	v_lshl_add_u32 v6, v6, 23, v12
	v_or3_b32 v6, v11, v6, v2
.LBB59_672:
	s_or_b64 exec, exec, s[6:7]
	s_nop 0
	v_mfma_f32_16x16x4f32 a[0:3], v10, v6, a[0:3]
	s_movk_i32 s4, 0x7f
	v_cmp_gt_i16_sdwa s[6:7], v7, s4 src0_sel:BYTE_0 src1_sel:DWORD
	s_mov_b64 s[4:5], 0
                                        ; implicit-def: $sgpr10
	s_and_saveexec_b64 s[8:9], s[6:7]
	s_xor_b64 s[6:7], exec, s[8:9]
	s_cbranch_execnz .LBB59_2721
; %bb.673:
	s_or_saveexec_b64 s[6:7], s[6:7]
	v_mov_b32_e32 v2, s10
	s_xor_b64 exec, exec, s[6:7]
	s_cbranch_execnz .LBB59_2724
.LBB59_674:
	s_or_b64 exec, exec, s[6:7]
	s_and_saveexec_b64 s[6:7], s[4:5]
	s_cbranch_execz .LBB59_676
.LBB59_675:
	v_and_b32_e32 v2, 7, v7
	v_ffbh_u32_e32 v10, v2
	v_min_u32_e32 v10, 32, v10
	v_lshrrev_b16_e32 v6, 3, v7
	v_subrev_u32_e32 v11, 28, v10
	v_and_b32_e32 v6, 15, v6
	v_lshlrev_b32_e32 v11, v11, v7
	v_sub_u32_e32 v10, 29, v10
	v_and_b32_e32 v11, 7, v11
	v_cmp_eq_u16_e32 vcc, 0, v6
	v_cndmask_b32_e32 v2, v2, v11, vcc
	v_cndmask_b32_e32 v6, v6, v10, vcc
	v_lshlrev_b32_e32 v10, 24, v7
	v_mov_b32_e32 v11, 0x3b800000
	v_lshlrev_b32_e32 v2, 20, v2
	v_and_b32_e32 v10, 0x80000000, v10
	v_lshl_add_u32 v6, v6, 23, v11
	v_or3_b32 v2, v10, v6, v2
.LBB59_676:
	s_or_b64 exec, exec, s[6:7]
	s_movk_i32 s4, 0x7f
	v_cmp_gt_i16_sdwa s[6:7], v3, s4 src0_sel:BYTE_0 src1_sel:DWORD
	s_mov_b64 s[4:5], 0
                                        ; implicit-def: $sgpr10
	s_and_saveexec_b64 s[8:9], s[6:7]
	s_xor_b64 s[6:7], exec, s[8:9]
	s_cbranch_execnz .LBB59_2725
; %bb.677:
	s_or_saveexec_b64 s[6:7], s[6:7]
	v_mov_b32_e32 v6, s10
	s_xor_b64 exec, exec, s[6:7]
	s_cbranch_execnz .LBB59_2728
.LBB59_678:
	s_or_b64 exec, exec, s[6:7]
	s_and_saveexec_b64 s[6:7], s[4:5]
	s_cbranch_execz .LBB59_680
.LBB59_679:
	v_and_b32_e32 v6, 7, v3
	v_ffbh_u32_e32 v11, v6
	v_min_u32_e32 v11, 32, v11
	v_lshrrev_b16_e32 v10, 3, v3
	v_subrev_u32_e32 v12, 28, v11
	v_and_b32_e32 v10, 15, v10
	v_lshlrev_b32_e32 v12, v12, v3
	v_sub_u32_e32 v11, 29, v11
	v_and_b32_e32 v12, 7, v12
	v_cmp_eq_u16_e32 vcc, 0, v10
	v_cndmask_b32_e32 v6, v6, v12, vcc
	v_cndmask_b32_e32 v10, v10, v11, vcc
	v_lshlrev_b32_e32 v11, 24, v3
	v_mov_b32_e32 v12, 0x3b800000
	v_lshlrev_b32_e32 v6, 20, v6
	v_and_b32_e32 v11, 0x80000000, v11
	v_lshl_add_u32 v10, v10, 23, v12
	v_or3_b32 v6, v11, v10, v6
.LBB59_680:
	s_or_b64 exec, exec, s[6:7]
	s_nop 0
	v_mfma_f32_16x16x4f32 a[0:3], v2, v6, a[0:3]
	v_lshrrev_b32_e32 v6, 8, v7
	s_movk_i32 s4, 0x7f
	v_cmp_gt_i16_sdwa s[6:7], v6, s4 src0_sel:BYTE_0 src1_sel:DWORD
	s_mov_b64 s[4:5], 0
                                        ; implicit-def: $sgpr10
	s_and_saveexec_b64 s[8:9], s[6:7]
	s_xor_b64 s[6:7], exec, s[8:9]
	s_cbranch_execnz .LBB59_2729
; %bb.681:
	s_or_saveexec_b64 s[6:7], s[6:7]
	v_mov_b32_e32 v2, s10
	s_xor_b64 exec, exec, s[6:7]
	s_cbranch_execnz .LBB59_2732
.LBB59_682:
	s_or_b64 exec, exec, s[6:7]
	s_and_saveexec_b64 s[6:7], s[4:5]
	s_cbranch_execz .LBB59_684
.LBB59_683:
	v_bfe_u32 v2, v7, 8, 3
	v_ffbh_u32_e32 v11, v2
	v_min_u32_e32 v11, 32, v11
	v_lshrrev_b16_e32 v10, 3, v6
	v_subrev_u32_e32 v12, 28, v11
	v_and_b32_e32 v10, 15, v10
	v_lshlrev_b32_e32 v6, v12, v6
	v_sub_u32_e32 v11, 29, v11
	v_and_b32_e32 v6, 7, v6
	v_cmp_eq_u16_e32 vcc, 0, v10
	v_cndmask_b32_e32 v2, v2, v6, vcc
	v_cndmask_b32_e32 v6, v10, v11, vcc
	v_lshlrev_b32_e32 v10, 16, v7
	v_mov_b32_e32 v11, 0x3b800000
	v_lshlrev_b32_e32 v2, 20, v2
	v_and_b32_e32 v10, 0x80000000, v10
	v_lshl_add_u32 v6, v6, 23, v11
	v_or3_b32 v2, v10, v6, v2
.LBB59_684:
	s_or_b64 exec, exec, s[6:7]
	v_lshrrev_b32_e32 v6, 8, v3
	s_movk_i32 s4, 0x7f
	v_cmp_gt_i16_sdwa s[6:7], v6, s4 src0_sel:BYTE_0 src1_sel:DWORD
	s_mov_b64 s[4:5], 0
                                        ; implicit-def: $sgpr10
	s_and_saveexec_b64 s[8:9], s[6:7]
	s_xor_b64 s[6:7], exec, s[8:9]
	s_cbranch_execnz .LBB59_2733
; %bb.685:
	s_or_saveexec_b64 s[6:7], s[6:7]
	v_mov_b32_e32 v10, s10
	s_xor_b64 exec, exec, s[6:7]
	s_cbranch_execnz .LBB59_2736
.LBB59_686:
	s_or_b64 exec, exec, s[6:7]
	s_and_saveexec_b64 s[6:7], s[4:5]
	s_cbranch_execz .LBB59_688
.LBB59_687:
	v_bfe_u32 v10, v3, 8, 3
	v_ffbh_u32_e32 v12, v10
	v_min_u32_e32 v12, 32, v12
	v_lshrrev_b16_e32 v11, 3, v6
	v_subrev_u32_e32 v13, 28, v12
	v_and_b32_e32 v11, 15, v11
	v_lshlrev_b32_e32 v6, v13, v6
	v_sub_u32_e32 v12, 29, v12
	v_and_b32_e32 v6, 7, v6
	v_cmp_eq_u16_e32 vcc, 0, v11
	v_cndmask_b32_e32 v6, v10, v6, vcc
	v_cndmask_b32_e32 v10, v11, v12, vcc
	v_lshlrev_b32_e32 v11, 16, v3
	v_mov_b32_e32 v12, 0x3b800000
	v_lshlrev_b32_e32 v6, 20, v6
	v_and_b32_e32 v11, 0x80000000, v11
	v_lshl_add_u32 v10, v10, 23, v12
	v_or3_b32 v10, v11, v10, v6
.LBB59_688:
	s_or_b64 exec, exec, s[6:7]
	s_nop 0
	v_mfma_f32_16x16x4f32 a[0:3], v2, v10, a[0:3]
	s_movk_i32 s4, 0xff
	v_and_b32_sdwa v6, v7, s4 dst_sel:DWORD dst_unused:UNUSED_PAD src0_sel:WORD_1 src1_sel:DWORD
	s_movk_i32 s4, 0x7f
	v_cmp_lt_i16_e32 vcc, s4, v6
	s_mov_b64 s[4:5], 0
                                        ; implicit-def: $sgpr10
	s_and_saveexec_b64 s[6:7], vcc
	s_xor_b64 s[6:7], exec, s[6:7]
	s_cbranch_execnz .LBB59_2737
; %bb.689:
	s_or_saveexec_b64 s[6:7], s[6:7]
	v_mov_b32_e32 v2, s10
	s_xor_b64 exec, exec, s[6:7]
	s_cbranch_execnz .LBB59_2740
.LBB59_690:
	s_or_b64 exec, exec, s[6:7]
	s_and_saveexec_b64 s[6:7], s[4:5]
	s_cbranch_execz .LBB59_692
.LBB59_691:
	v_bfe_u32 v2, v7, 16, 3
	v_ffbh_u32_e32 v11, v2
	v_min_u32_e32 v11, 32, v11
	v_lshrrev_b32_e32 v6, 19, v7
	v_subrev_u32_e32 v12, 28, v11
	v_and_b32_e32 v6, 15, v6
	v_lshlrev_b32_sdwa v12, v12, v7 dst_sel:DWORD dst_unused:UNUSED_PAD src0_sel:DWORD src1_sel:WORD_1
	v_bfe_u32 v10, v7, 19, 4
	v_sub_u32_e32 v11, 29, v11
	v_and_b32_e32 v12, 7, v12
	v_cmp_eq_u16_e32 vcc, 0, v6
	v_cndmask_b32_e32 v2, v2, v12, vcc
	v_cndmask_b32_e32 v6, v10, v11, vcc
	v_lshlrev_b32_e32 v10, 8, v7
	v_mov_b32_e32 v11, 0x3b800000
	v_lshlrev_b32_e32 v2, 20, v2
	v_and_b32_e32 v10, 0x80000000, v10
	v_lshl_add_u32 v6, v6, 23, v11
	v_or3_b32 v2, v10, v6, v2
.LBB59_692:
	s_or_b64 exec, exec, s[6:7]
	s_movk_i32 s4, 0xff
	v_and_b32_sdwa v6, v3, s4 dst_sel:DWORD dst_unused:UNUSED_PAD src0_sel:WORD_1 src1_sel:DWORD
	s_movk_i32 s4, 0x7f
	v_cmp_lt_i16_e32 vcc, s4, v6
	s_mov_b64 s[4:5], 0
                                        ; implicit-def: $sgpr10
	s_and_saveexec_b64 s[6:7], vcc
	s_xor_b64 s[6:7], exec, s[6:7]
	s_cbranch_execnz .LBB59_2741
; %bb.693:
	s_or_saveexec_b64 s[6:7], s[6:7]
	v_mov_b32_e32 v10, s10
	s_xor_b64 exec, exec, s[6:7]
	s_cbranch_execnz .LBB59_2744
.LBB59_694:
	s_or_b64 exec, exec, s[6:7]
	s_and_saveexec_b64 s[6:7], s[4:5]
	s_cbranch_execz .LBB59_696
.LBB59_695:
	v_bfe_u32 v6, v3, 16, 3
	v_ffbh_u32_e32 v12, v6
	v_min_u32_e32 v12, 32, v12
	v_lshrrev_b32_e32 v10, 19, v3
	v_subrev_u32_e32 v13, 28, v12
	v_and_b32_e32 v10, 15, v10
	v_lshlrev_b32_sdwa v13, v13, v3 dst_sel:DWORD dst_unused:UNUSED_PAD src0_sel:DWORD src1_sel:WORD_1
	v_bfe_u32 v11, v3, 19, 4
	v_sub_u32_e32 v12, 29, v12
	v_and_b32_e32 v13, 7, v13
	v_cmp_eq_u16_e32 vcc, 0, v10
	v_cndmask_b32_e32 v6, v6, v13, vcc
	v_cndmask_b32_e32 v10, v11, v12, vcc
	v_lshlrev_b32_e32 v11, 8, v3
	v_mov_b32_e32 v12, 0x3b800000
	v_lshlrev_b32_e32 v6, 20, v6
	v_and_b32_e32 v11, 0x80000000, v11
	v_lshl_add_u32 v10, v10, 23, v12
	v_or3_b32 v10, v11, v10, v6
.LBB59_696:
	s_or_b64 exec, exec, s[6:7]
	s_nop 0
	v_mfma_f32_16x16x4f32 a[0:3], v2, v10, a[0:3]
	s_movk_i32 s4, 0x7f
	v_cmp_gt_i16_sdwa s[6:7], v7, s4 src0_sel:BYTE_3 src1_sel:DWORD
	s_mov_b64 s[4:5], 0
                                        ; implicit-def: $sgpr10
	s_and_saveexec_b64 s[8:9], s[6:7]
	s_xor_b64 s[6:7], exec, s[8:9]
	s_cbranch_execnz .LBB59_2745
; %bb.697:
	s_or_saveexec_b64 s[6:7], s[6:7]
	v_mov_b32_e32 v2, s10
	s_xor_b64 exec, exec, s[6:7]
	s_cbranch_execnz .LBB59_2748
.LBB59_698:
	s_or_b64 exec, exec, s[6:7]
	s_and_saveexec_b64 s[6:7], s[4:5]
	s_cbranch_execz .LBB59_700
.LBB59_699:
	v_bfe_u32 v2, v7, 24, 3
	v_ffbh_u32_e32 v12, v2
	v_min_u32_e32 v12, 32, v12
	v_lshrrev_b32_e32 v10, 27, v7
	v_subrev_u32_e32 v13, 28, v12
	v_and_b32_e32 v6, 0x80000000, v7
	v_and_b32_e32 v10, 15, v10
	v_bfe_u32 v11, v7, 27, 4
	v_lshlrev_b32_sdwa v7, v13, v7 dst_sel:DWORD dst_unused:UNUSED_PAD src0_sel:DWORD src1_sel:BYTE_3
	v_sub_u32_e32 v12, 29, v12
	v_and_b32_e32 v7, 7, v7
	v_cmp_eq_u16_e32 vcc, 0, v10
	v_cndmask_b32_e32 v2, v2, v7, vcc
	v_cndmask_b32_e32 v7, v11, v12, vcc
	v_mov_b32_e32 v10, 0x3b800000
	v_lshlrev_b32_e32 v2, 20, v2
	v_lshl_add_u32 v7, v7, 23, v10
	v_or3_b32 v2, v6, v7, v2
.LBB59_700:
	s_or_b64 exec, exec, s[6:7]
	s_movk_i32 s4, 0x7f
	v_cmp_gt_i16_sdwa s[6:7], v3, s4 src0_sel:BYTE_3 src1_sel:DWORD
	s_mov_b64 s[4:5], 0
                                        ; implicit-def: $sgpr10
	s_and_saveexec_b64 s[8:9], s[6:7]
	s_xor_b64 s[6:7], exec, s[8:9]
	s_cbranch_execnz .LBB59_2749
; %bb.701:
	s_or_saveexec_b64 s[6:7], s[6:7]
	v_mov_b32_e32 v6, s10
	s_xor_b64 exec, exec, s[6:7]
	s_cbranch_execnz .LBB59_2752
.LBB59_702:
	s_or_b64 exec, exec, s[6:7]
	s_and_saveexec_b64 s[6:7], s[4:5]
	s_cbranch_execz .LBB59_704
.LBB59_703:
	v_bfe_u32 v6, v3, 24, 3
	v_ffbh_u32_e32 v12, v6
	v_min_u32_e32 v12, 32, v12
	v_lshrrev_b32_e32 v10, 27, v3
	v_subrev_u32_e32 v13, 28, v12
	v_and_b32_e32 v7, 0x80000000, v3
	v_and_b32_e32 v10, 15, v10
	v_bfe_u32 v11, v3, 27, 4
	v_lshlrev_b32_sdwa v3, v13, v3 dst_sel:DWORD dst_unused:UNUSED_PAD src0_sel:DWORD src1_sel:BYTE_3
	v_sub_u32_e32 v12, 29, v12
	v_and_b32_e32 v3, 7, v3
	v_cmp_eq_u16_e32 vcc, 0, v10
	v_cndmask_b32_e32 v3, v6, v3, vcc
	v_cndmask_b32_e32 v6, v11, v12, vcc
	v_mov_b32_e32 v10, 0x3b800000
	v_lshlrev_b32_e32 v3, 20, v3
	v_lshl_add_u32 v6, v6, 23, v10
	v_or3_b32 v6, v7, v6, v3
.LBB59_704:
	s_or_b64 exec, exec, s[6:7]
	s_nop 0
	v_mfma_f32_16x16x4f32 a[0:3], v2, v6, a[0:3]
	s_movk_i32 s4, 0x7f
	v_cmp_gt_i16_sdwa s[6:7], v8, s4 src0_sel:BYTE_0 src1_sel:DWORD
	s_mov_b64 s[4:5], 0
                                        ; implicit-def: $sgpr10
	s_and_saveexec_b64 s[8:9], s[6:7]
	s_xor_b64 s[6:7], exec, s[8:9]
	s_cbranch_execnz .LBB59_2753
; %bb.705:
	s_or_saveexec_b64 s[6:7], s[6:7]
	v_mov_b32_e32 v2, s10
	s_xor_b64 exec, exec, s[6:7]
	s_cbranch_execnz .LBB59_2756
.LBB59_706:
	s_or_b64 exec, exec, s[6:7]
	s_and_saveexec_b64 s[6:7], s[4:5]
	s_cbranch_execz .LBB59_708
.LBB59_707:
	v_and_b32_e32 v2, 7, v8
	v_ffbh_u32_e32 v6, v2
	v_min_u32_e32 v6, 32, v6
	v_lshrrev_b16_e32 v3, 3, v8
	v_subrev_u32_e32 v7, 28, v6
	v_and_b32_e32 v3, 15, v3
	v_lshlrev_b32_e32 v7, v7, v8
	v_sub_u32_e32 v6, 29, v6
	v_and_b32_e32 v7, 7, v7
	v_cmp_eq_u16_e32 vcc, 0, v3
	v_cndmask_b32_e32 v2, v2, v7, vcc
	v_cndmask_b32_e32 v3, v3, v6, vcc
	v_lshlrev_b32_e32 v6, 24, v8
	v_mov_b32_e32 v7, 0x3b800000
	v_lshlrev_b32_e32 v2, 20, v2
	v_and_b32_e32 v6, 0x80000000, v6
	v_lshl_add_u32 v3, v3, 23, v7
	v_or3_b32 v2, v6, v3, v2
.LBB59_708:
	s_or_b64 exec, exec, s[6:7]
	s_movk_i32 s4, 0x7f
	v_cmp_gt_i16_sdwa s[6:7], v4, s4 src0_sel:BYTE_0 src1_sel:DWORD
	s_mov_b64 s[4:5], 0
                                        ; implicit-def: $sgpr10
	s_and_saveexec_b64 s[8:9], s[6:7]
	s_xor_b64 s[6:7], exec, s[8:9]
	s_cbranch_execnz .LBB59_2757
; %bb.709:
	s_or_saveexec_b64 s[6:7], s[6:7]
	v_mov_b32_e32 v3, s10
	s_xor_b64 exec, exec, s[6:7]
	s_cbranch_execnz .LBB59_2760
.LBB59_710:
	s_or_b64 exec, exec, s[6:7]
	s_and_saveexec_b64 s[6:7], s[4:5]
	s_cbranch_execz .LBB59_712
.LBB59_711:
	v_and_b32_e32 v3, 7, v4
	v_ffbh_u32_e32 v7, v3
	v_min_u32_e32 v7, 32, v7
	v_lshrrev_b16_e32 v6, 3, v4
	v_subrev_u32_e32 v10, 28, v7
	v_and_b32_e32 v6, 15, v6
	v_lshlrev_b32_e32 v10, v10, v4
	v_sub_u32_e32 v7, 29, v7
	v_and_b32_e32 v10, 7, v10
	v_cmp_eq_u16_e32 vcc, 0, v6
	v_cndmask_b32_e32 v3, v3, v10, vcc
	v_cndmask_b32_e32 v6, v6, v7, vcc
	v_lshlrev_b32_e32 v7, 24, v4
	v_mov_b32_e32 v10, 0x3b800000
	v_lshlrev_b32_e32 v3, 20, v3
	v_and_b32_e32 v7, 0x80000000, v7
	v_lshl_add_u32 v6, v6, 23, v10
	v_or3_b32 v3, v7, v6, v3
.LBB59_712:
	s_or_b64 exec, exec, s[6:7]
	s_nop 0
	v_mfma_f32_16x16x4f32 a[0:3], v2, v3, a[0:3]
	v_lshrrev_b32_e32 v3, 8, v8
	s_movk_i32 s4, 0x7f
	v_cmp_gt_i16_sdwa s[6:7], v3, s4 src0_sel:BYTE_0 src1_sel:DWORD
	s_mov_b64 s[4:5], 0
                                        ; implicit-def: $sgpr10
	s_and_saveexec_b64 s[8:9], s[6:7]
	s_xor_b64 s[6:7], exec, s[8:9]
	s_cbranch_execnz .LBB59_2761
; %bb.713:
	s_or_saveexec_b64 s[6:7], s[6:7]
	v_mov_b32_e32 v2, s10
	s_xor_b64 exec, exec, s[6:7]
	s_cbranch_execnz .LBB59_2764
.LBB59_714:
	s_or_b64 exec, exec, s[6:7]
	s_and_saveexec_b64 s[6:7], s[4:5]
	s_cbranch_execz .LBB59_716
.LBB59_715:
	v_bfe_u32 v2, v8, 8, 3
	v_ffbh_u32_e32 v7, v2
	v_min_u32_e32 v7, 32, v7
	v_lshrrev_b16_e32 v6, 3, v3
	v_subrev_u32_e32 v10, 28, v7
	v_and_b32_e32 v6, 15, v6
	v_lshlrev_b32_e32 v3, v10, v3
	v_sub_u32_e32 v7, 29, v7
	v_and_b32_e32 v3, 7, v3
	v_cmp_eq_u16_e32 vcc, 0, v6
	v_cndmask_b32_e32 v2, v2, v3, vcc
	v_cndmask_b32_e32 v3, v6, v7, vcc
	v_lshlrev_b32_e32 v6, 16, v8
	v_mov_b32_e32 v7, 0x3b800000
	v_lshlrev_b32_e32 v2, 20, v2
	v_and_b32_e32 v6, 0x80000000, v6
	v_lshl_add_u32 v3, v3, 23, v7
	v_or3_b32 v2, v6, v3, v2
.LBB59_716:
	s_or_b64 exec, exec, s[6:7]
	v_lshrrev_b32_e32 v3, 8, v4
	s_movk_i32 s4, 0x7f
	v_cmp_gt_i16_sdwa s[6:7], v3, s4 src0_sel:BYTE_0 src1_sel:DWORD
	s_mov_b64 s[4:5], 0
                                        ; implicit-def: $sgpr10
	s_and_saveexec_b64 s[8:9], s[6:7]
	s_xor_b64 s[6:7], exec, s[8:9]
	s_cbranch_execnz .LBB59_2765
; %bb.717:
	s_or_saveexec_b64 s[6:7], s[6:7]
	v_mov_b32_e32 v6, s10
	s_xor_b64 exec, exec, s[6:7]
	s_cbranch_execnz .LBB59_2768
.LBB59_718:
	s_or_b64 exec, exec, s[6:7]
	s_and_saveexec_b64 s[6:7], s[4:5]
	s_cbranch_execz .LBB59_720
.LBB59_719:
	v_bfe_u32 v6, v4, 8, 3
	v_ffbh_u32_e32 v10, v6
	v_min_u32_e32 v10, 32, v10
	v_lshrrev_b16_e32 v7, 3, v3
	v_subrev_u32_e32 v11, 28, v10
	v_and_b32_e32 v7, 15, v7
	v_lshlrev_b32_e32 v3, v11, v3
	v_sub_u32_e32 v10, 29, v10
	v_and_b32_e32 v3, 7, v3
	v_cmp_eq_u16_e32 vcc, 0, v7
	v_cndmask_b32_e32 v3, v6, v3, vcc
	v_cndmask_b32_e32 v6, v7, v10, vcc
	v_lshlrev_b32_e32 v7, 16, v4
	v_mov_b32_e32 v10, 0x3b800000
	v_lshlrev_b32_e32 v3, 20, v3
	v_and_b32_e32 v7, 0x80000000, v7
	v_lshl_add_u32 v6, v6, 23, v10
	v_or3_b32 v6, v7, v6, v3
.LBB59_720:
	s_or_b64 exec, exec, s[6:7]
	s_nop 0
	v_mfma_f32_16x16x4f32 a[0:3], v2, v6, a[0:3]
	s_movk_i32 s4, 0xff
	v_and_b32_sdwa v3, v8, s4 dst_sel:DWORD dst_unused:UNUSED_PAD src0_sel:WORD_1 src1_sel:DWORD
	s_movk_i32 s4, 0x7f
	v_cmp_lt_i16_e32 vcc, s4, v3
	s_mov_b64 s[4:5], 0
                                        ; implicit-def: $sgpr10
	s_and_saveexec_b64 s[6:7], vcc
	s_xor_b64 s[6:7], exec, s[6:7]
	s_cbranch_execnz .LBB59_2769
; %bb.721:
	s_or_saveexec_b64 s[6:7], s[6:7]
	v_mov_b32_e32 v2, s10
	s_xor_b64 exec, exec, s[6:7]
	s_cbranch_execnz .LBB59_2772
.LBB59_722:
	s_or_b64 exec, exec, s[6:7]
	s_and_saveexec_b64 s[6:7], s[4:5]
	s_cbranch_execz .LBB59_724
.LBB59_723:
	v_bfe_u32 v2, v8, 16, 3
	v_ffbh_u32_e32 v7, v2
	v_min_u32_e32 v7, 32, v7
	v_lshrrev_b32_e32 v3, 19, v8
	v_subrev_u32_e32 v10, 28, v7
	v_and_b32_e32 v3, 15, v3
	v_lshlrev_b32_sdwa v10, v10, v8 dst_sel:DWORD dst_unused:UNUSED_PAD src0_sel:DWORD src1_sel:WORD_1
	v_bfe_u32 v6, v8, 19, 4
	v_sub_u32_e32 v7, 29, v7
	v_and_b32_e32 v10, 7, v10
	v_cmp_eq_u16_e32 vcc, 0, v3
	v_cndmask_b32_e32 v2, v2, v10, vcc
	v_cndmask_b32_e32 v3, v6, v7, vcc
	v_lshlrev_b32_e32 v6, 8, v8
	v_mov_b32_e32 v7, 0x3b800000
	v_lshlrev_b32_e32 v2, 20, v2
	v_and_b32_e32 v6, 0x80000000, v6
	v_lshl_add_u32 v3, v3, 23, v7
	v_or3_b32 v2, v6, v3, v2
.LBB59_724:
	s_or_b64 exec, exec, s[6:7]
	s_movk_i32 s4, 0xff
	v_and_b32_sdwa v3, v4, s4 dst_sel:DWORD dst_unused:UNUSED_PAD src0_sel:WORD_1 src1_sel:DWORD
	s_movk_i32 s4, 0x7f
	v_cmp_lt_i16_e32 vcc, s4, v3
	s_mov_b64 s[4:5], 0
                                        ; implicit-def: $sgpr10
	s_and_saveexec_b64 s[6:7], vcc
	s_xor_b64 s[6:7], exec, s[6:7]
	s_cbranch_execnz .LBB59_2773
; %bb.725:
	s_or_saveexec_b64 s[6:7], s[6:7]
	v_mov_b32_e32 v6, s10
	s_xor_b64 exec, exec, s[6:7]
	s_cbranch_execnz .LBB59_2776
.LBB59_726:
	s_or_b64 exec, exec, s[6:7]
	s_and_saveexec_b64 s[6:7], s[4:5]
	s_cbranch_execz .LBB59_728
.LBB59_727:
	v_bfe_u32 v3, v4, 16, 3
	v_ffbh_u32_e32 v10, v3
	v_min_u32_e32 v10, 32, v10
	v_lshrrev_b32_e32 v6, 19, v4
	v_subrev_u32_e32 v11, 28, v10
	v_and_b32_e32 v6, 15, v6
	v_lshlrev_b32_sdwa v11, v11, v4 dst_sel:DWORD dst_unused:UNUSED_PAD src0_sel:DWORD src1_sel:WORD_1
	v_bfe_u32 v7, v4, 19, 4
	v_sub_u32_e32 v10, 29, v10
	v_and_b32_e32 v11, 7, v11
	v_cmp_eq_u16_e32 vcc, 0, v6
	v_cndmask_b32_e32 v3, v3, v11, vcc
	v_cndmask_b32_e32 v6, v7, v10, vcc
	v_lshlrev_b32_e32 v7, 8, v4
	v_mov_b32_e32 v10, 0x3b800000
	v_lshlrev_b32_e32 v3, 20, v3
	v_and_b32_e32 v7, 0x80000000, v7
	v_lshl_add_u32 v6, v6, 23, v10
	v_or3_b32 v6, v7, v6, v3
.LBB59_728:
	s_or_b64 exec, exec, s[6:7]
	s_nop 0
	v_mfma_f32_16x16x4f32 a[0:3], v2, v6, a[0:3]
	s_movk_i32 s4, 0x7f
	v_cmp_gt_i16_sdwa s[6:7], v8, s4 src0_sel:BYTE_3 src1_sel:DWORD
	s_mov_b64 s[4:5], 0
                                        ; implicit-def: $sgpr10
	s_and_saveexec_b64 s[8:9], s[6:7]
	s_xor_b64 s[6:7], exec, s[8:9]
	s_cbranch_execnz .LBB59_2777
; %bb.729:
	s_or_saveexec_b64 s[6:7], s[6:7]
	v_mov_b32_e32 v2, s10
	s_xor_b64 exec, exec, s[6:7]
	s_cbranch_execnz .LBB59_2780
.LBB59_730:
	s_or_b64 exec, exec, s[6:7]
	s_and_saveexec_b64 s[6:7], s[4:5]
	s_cbranch_execz .LBB59_732
.LBB59_731:
	v_bfe_u32 v2, v8, 24, 3
	v_ffbh_u32_e32 v10, v2
	v_min_u32_e32 v10, 32, v10
	v_lshrrev_b32_e32 v6, 27, v8
	v_subrev_u32_e32 v11, 28, v10
	v_and_b32_e32 v3, 0x80000000, v8
	v_and_b32_e32 v6, 15, v6
	v_bfe_u32 v7, v8, 27, 4
	v_lshlrev_b32_sdwa v8, v11, v8 dst_sel:DWORD dst_unused:UNUSED_PAD src0_sel:DWORD src1_sel:BYTE_3
	v_sub_u32_e32 v10, 29, v10
	v_and_b32_e32 v8, 7, v8
	v_cmp_eq_u16_e32 vcc, 0, v6
	v_cndmask_b32_e32 v2, v2, v8, vcc
	v_cndmask_b32_e32 v6, v7, v10, vcc
	v_mov_b32_e32 v7, 0x3b800000
	v_lshlrev_b32_e32 v2, 20, v2
	v_lshl_add_u32 v6, v6, 23, v7
	v_or3_b32 v2, v3, v6, v2
.LBB59_732:
	s_or_b64 exec, exec, s[6:7]
	s_movk_i32 s4, 0x7f
	v_cmp_gt_i16_sdwa s[6:7], v4, s4 src0_sel:BYTE_3 src1_sel:DWORD
	s_mov_b64 s[4:5], 0
                                        ; implicit-def: $sgpr10
	s_and_saveexec_b64 s[8:9], s[6:7]
	s_xor_b64 s[6:7], exec, s[8:9]
	s_cbranch_execnz .LBB59_2781
; %bb.733:
	s_or_saveexec_b64 s[6:7], s[6:7]
	v_mov_b32_e32 v3, s10
	s_xor_b64 exec, exec, s[6:7]
	s_cbranch_execnz .LBB59_2784
.LBB59_734:
	s_or_b64 exec, exec, s[6:7]
	s_and_saveexec_b64 s[6:7], s[4:5]
	s_cbranch_execz .LBB59_736
.LBB59_735:
	v_bfe_u32 v3, v4, 24, 3
	v_ffbh_u32_e32 v10, v3
	v_min_u32_e32 v10, 32, v10
	v_lshrrev_b32_e32 v7, 27, v4
	v_subrev_u32_e32 v11, 28, v10
	v_and_b32_e32 v6, 0x80000000, v4
	v_and_b32_e32 v7, 15, v7
	v_bfe_u32 v8, v4, 27, 4
	v_lshlrev_b32_sdwa v4, v11, v4 dst_sel:DWORD dst_unused:UNUSED_PAD src0_sel:DWORD src1_sel:BYTE_3
	v_sub_u32_e32 v10, 29, v10
	v_and_b32_e32 v4, 7, v4
	v_cmp_eq_u16_e32 vcc, 0, v7
	v_cndmask_b32_e32 v3, v3, v4, vcc
	v_cndmask_b32_e32 v4, v8, v10, vcc
	v_mov_b32_e32 v7, 0x3b800000
	v_lshlrev_b32_e32 v3, 20, v3
	v_lshl_add_u32 v4, v4, 23, v7
	v_or3_b32 v3, v6, v4, v3
.LBB59_736:
	s_or_b64 exec, exec, s[6:7]
	s_nop 0
	v_mfma_f32_16x16x4f32 a[0:3], v2, v3, a[0:3]
	s_movk_i32 s4, 0x7f
	v_cmp_gt_i16_sdwa s[6:7], v9, s4 src0_sel:BYTE_0 src1_sel:DWORD
	s_mov_b64 s[4:5], 0
                                        ; implicit-def: $sgpr10
	s_and_saveexec_b64 s[8:9], s[6:7]
	s_xor_b64 s[6:7], exec, s[8:9]
	s_cbranch_execnz .LBB59_2785
; %bb.737:
	s_or_saveexec_b64 s[6:7], s[6:7]
	v_mov_b32_e32 v2, s10
	s_xor_b64 exec, exec, s[6:7]
	s_cbranch_execnz .LBB59_2788
.LBB59_738:
	s_or_b64 exec, exec, s[6:7]
	s_and_saveexec_b64 s[6:7], s[4:5]
	s_cbranch_execz .LBB59_740
.LBB59_739:
	v_mov_b32_e32 v2, 8
	v_and_b32_e32 v3, 7, v9
	v_lshrrev_b32_sdwa v2, v2, v9 dst_sel:BYTE_1 dst_unused:UNUSED_PAD src0_sel:DWORD src1_sel:DWORD
	v_ffbh_u32_e32 v4, v3
	v_or_b32_sdwa v2, v9, v2 dst_sel:DWORD dst_unused:UNUSED_PAD src0_sel:BYTE_0 src1_sel:DWORD
	v_min_u32_e32 v4, 32, v4
	v_lshrrev_b16_e32 v2, 3, v2
	v_subrev_u32_e32 v6, 28, v4
	v_and_b32_e32 v2, 15, v2
	v_lshlrev_b32_e32 v6, v6, v9
	v_sub_u32_e32 v4, 29, v4
	v_and_b32_e32 v6, 7, v6
	v_cmp_eq_u16_e32 vcc, 0, v2
	v_cndmask_b32_e32 v3, v3, v6, vcc
	v_cndmask_b32_e32 v2, v2, v4, vcc
	v_lshlrev_b32_e32 v4, 24, v9
	v_mov_b32_e32 v6, 0x3b800000
	v_lshlrev_b32_e32 v3, 20, v3
	v_and_b32_e32 v4, 0x80000000, v4
	v_lshl_add_u32 v2, v2, 23, v6
	v_or3_b32 v2, v4, v2, v3
.LBB59_740:
	s_or_b64 exec, exec, s[6:7]
	s_movk_i32 s4, 0x7f
	v_cmp_gt_i16_sdwa s[6:7], v5, s4 src0_sel:BYTE_0 src1_sel:DWORD
	s_mov_b64 s[4:5], 0
                                        ; implicit-def: $sgpr10
	s_and_saveexec_b64 s[8:9], s[6:7]
	s_xor_b64 s[6:7], exec, s[8:9]
	s_cbranch_execnz .LBB59_2789
; %bb.741:
	s_or_saveexec_b64 s[6:7], s[6:7]
	v_mov_b32_e32 v3, s10
	s_xor_b64 exec, exec, s[6:7]
	s_cbranch_execnz .LBB59_2792
.LBB59_742:
	s_or_b64 exec, exec, s[6:7]
	s_and_saveexec_b64 s[6:7], s[4:5]
	s_cbranch_execz .LBB59_744
.LBB59_743:
	v_mov_b32_e32 v3, 8
	v_and_b32_e32 v4, 7, v5
	v_lshrrev_b32_sdwa v3, v3, v5 dst_sel:BYTE_1 dst_unused:UNUSED_PAD src0_sel:DWORD src1_sel:DWORD
	v_ffbh_u32_e32 v6, v4
	v_or_b32_sdwa v3, v5, v3 dst_sel:DWORD dst_unused:UNUSED_PAD src0_sel:BYTE_0 src1_sel:DWORD
	v_min_u32_e32 v6, 32, v6
	v_lshrrev_b16_e32 v3, 3, v3
	v_subrev_u32_e32 v7, 28, v6
	v_and_b32_e32 v3, 15, v3
	v_lshlrev_b32_e32 v7, v7, v5
	v_sub_u32_e32 v6, 29, v6
	v_and_b32_e32 v7, 7, v7
	v_cmp_eq_u16_e32 vcc, 0, v3
	v_cndmask_b32_e32 v4, v4, v7, vcc
	v_cndmask_b32_e32 v3, v3, v6, vcc
	v_lshlrev_b32_e32 v6, 24, v5
	v_mov_b32_e32 v7, 0x3b800000
	v_lshlrev_b32_e32 v4, 20, v4
	v_and_b32_e32 v6, 0x80000000, v6
	v_lshl_add_u32 v3, v3, 23, v7
	v_or3_b32 v3, v6, v3, v4
.LBB59_744:
	s_or_b64 exec, exec, s[6:7]
	s_nop 0
	v_mfma_f32_16x16x4f32 a[0:3], v2, v3, a[0:3]
	v_lshrrev_b32_e32 v3, 8, v9
	s_movk_i32 s4, 0x7f
	v_cmp_gt_i16_sdwa s[6:7], v3, s4 src0_sel:BYTE_0 src1_sel:DWORD
	s_mov_b64 s[4:5], 0
                                        ; implicit-def: $sgpr10
	s_and_saveexec_b64 s[8:9], s[6:7]
	s_xor_b64 s[6:7], exec, s[8:9]
	s_cbranch_execnz .LBB59_2793
; %bb.745:
	s_or_saveexec_b64 s[6:7], s[6:7]
	v_mov_b32_e32 v2, s10
	s_xor_b64 exec, exec, s[6:7]
	s_cbranch_execnz .LBB59_2796
.LBB59_746:
	s_or_b64 exec, exec, s[6:7]
	s_and_saveexec_b64 s[6:7], s[4:5]
	s_cbranch_execz .LBB59_748
.LBB59_747:
	v_bfe_u32 v2, v9, 8, 3
	v_ffbh_u32_e32 v6, v2
	v_min_u32_e32 v6, 32, v6
	v_lshrrev_b16_e32 v4, 3, v3
	v_subrev_u32_e32 v7, 28, v6
	v_and_b32_e32 v4, 15, v4
	v_lshlrev_b32_e32 v3, v7, v3
	v_sub_u32_e32 v6, 29, v6
	v_and_b32_e32 v3, 7, v3
	v_cmp_eq_u16_e32 vcc, 0, v4
	v_cndmask_b32_e32 v2, v2, v3, vcc
	v_cndmask_b32_e32 v3, v4, v6, vcc
	v_lshlrev_b32_e32 v4, 16, v9
	v_mov_b32_e32 v6, 0x3b800000
	v_lshlrev_b32_e32 v2, 20, v2
	v_and_b32_e32 v4, 0x80000000, v4
	v_lshl_add_u32 v3, v3, 23, v6
	v_or3_b32 v2, v4, v3, v2
.LBB59_748:
	s_or_b64 exec, exec, s[6:7]
	v_lshrrev_b32_e32 v3, 8, v5
	s_movk_i32 s4, 0x7f
	v_cmp_gt_i16_sdwa s[6:7], v3, s4 src0_sel:BYTE_0 src1_sel:DWORD
	s_mov_b64 s[4:5], 0
                                        ; implicit-def: $sgpr10
	s_and_saveexec_b64 s[8:9], s[6:7]
	s_xor_b64 s[6:7], exec, s[8:9]
	s_cbranch_execnz .LBB59_2797
; %bb.749:
	s_or_saveexec_b64 s[6:7], s[6:7]
	v_mov_b32_e32 v4, s10
	s_xor_b64 exec, exec, s[6:7]
	s_cbranch_execnz .LBB59_2800
.LBB59_750:
	s_or_b64 exec, exec, s[6:7]
	s_and_saveexec_b64 s[6:7], s[4:5]
	s_cbranch_execz .LBB59_752
.LBB59_751:
	v_bfe_u32 v4, v5, 8, 3
	v_ffbh_u32_e32 v7, v4
	v_min_u32_e32 v7, 32, v7
	v_lshrrev_b16_e32 v6, 3, v3
	v_subrev_u32_e32 v8, 28, v7
	v_and_b32_e32 v6, 15, v6
	v_lshlrev_b32_e32 v3, v8, v3
	v_sub_u32_e32 v7, 29, v7
	v_and_b32_e32 v3, 7, v3
	v_cmp_eq_u16_e32 vcc, 0, v6
	v_cndmask_b32_e32 v3, v4, v3, vcc
	v_cndmask_b32_e32 v4, v6, v7, vcc
	v_lshlrev_b32_e32 v6, 16, v5
	v_mov_b32_e32 v7, 0x3b800000
	v_lshlrev_b32_e32 v3, 20, v3
	v_and_b32_e32 v6, 0x80000000, v6
	v_lshl_add_u32 v4, v4, 23, v7
	v_or3_b32 v4, v6, v4, v3
.LBB59_752:
	s_or_b64 exec, exec, s[6:7]
	s_nop 0
	v_mfma_f32_16x16x4f32 a[0:3], v2, v4, a[0:3]
	s_movk_i32 s4, 0xff
	v_and_b32_sdwa v3, v9, s4 dst_sel:DWORD dst_unused:UNUSED_PAD src0_sel:WORD_1 src1_sel:DWORD
	s_movk_i32 s4, 0x7f
	v_cmp_lt_i16_e32 vcc, s4, v3
	s_mov_b64 s[4:5], 0
                                        ; implicit-def: $sgpr10
	s_and_saveexec_b64 s[6:7], vcc
	s_xor_b64 s[6:7], exec, s[6:7]
	s_cbranch_execnz .LBB59_2801
; %bb.753:
	s_or_saveexec_b64 s[6:7], s[6:7]
	v_mov_b32_e32 v2, s10
	s_xor_b64 exec, exec, s[6:7]
	s_cbranch_execnz .LBB59_2804
.LBB59_754:
	s_or_b64 exec, exec, s[6:7]
	s_and_saveexec_b64 s[6:7], s[4:5]
	s_cbranch_execz .LBB59_756
.LBB59_755:
	v_bfe_u32 v2, v9, 16, 3
	v_ffbh_u32_e32 v6, v2
	v_min_u32_e32 v6, 32, v6
	v_lshrrev_b32_e32 v3, 19, v9
	v_subrev_u32_e32 v7, 28, v6
	v_and_b32_e32 v3, 15, v3
	v_lshlrev_b32_sdwa v7, v7, v9 dst_sel:DWORD dst_unused:UNUSED_PAD src0_sel:DWORD src1_sel:WORD_1
	v_bfe_u32 v4, v9, 19, 4
	v_sub_u32_e32 v6, 29, v6
	v_and_b32_e32 v7, 7, v7
	v_cmp_eq_u16_e32 vcc, 0, v3
	v_cndmask_b32_e32 v2, v2, v7, vcc
	v_cndmask_b32_e32 v3, v4, v6, vcc
	v_lshlrev_b32_e32 v4, 8, v9
	v_mov_b32_e32 v6, 0x3b800000
	v_lshlrev_b32_e32 v2, 20, v2
	v_and_b32_e32 v4, 0x80000000, v4
	v_lshl_add_u32 v3, v3, 23, v6
	v_or3_b32 v2, v4, v3, v2
.LBB59_756:
	s_or_b64 exec, exec, s[6:7]
	s_movk_i32 s4, 0xff
	v_and_b32_sdwa v3, v5, s4 dst_sel:DWORD dst_unused:UNUSED_PAD src0_sel:WORD_1 src1_sel:DWORD
	s_movk_i32 s4, 0x7f
	v_cmp_lt_i16_e32 vcc, s4, v3
	s_mov_b64 s[4:5], 0
                                        ; implicit-def: $sgpr10
	s_and_saveexec_b64 s[6:7], vcc
	s_xor_b64 s[6:7], exec, s[6:7]
	s_cbranch_execnz .LBB59_2805
; %bb.757:
	s_or_saveexec_b64 s[6:7], s[6:7]
	v_mov_b32_e32 v4, s10
	s_xor_b64 exec, exec, s[6:7]
	s_cbranch_execnz .LBB59_2808
.LBB59_758:
	s_or_b64 exec, exec, s[6:7]
	s_and_saveexec_b64 s[6:7], s[4:5]
	s_cbranch_execz .LBB59_760
.LBB59_759:
	v_bfe_u32 v3, v5, 16, 3
	v_ffbh_u32_e32 v7, v3
	v_min_u32_e32 v7, 32, v7
	v_lshrrev_b32_e32 v4, 19, v5
	v_subrev_u32_e32 v8, 28, v7
	v_and_b32_e32 v4, 15, v4
	v_lshlrev_b32_sdwa v8, v8, v5 dst_sel:DWORD dst_unused:UNUSED_PAD src0_sel:DWORD src1_sel:WORD_1
	v_bfe_u32 v6, v5, 19, 4
	v_sub_u32_e32 v7, 29, v7
	v_and_b32_e32 v8, 7, v8
	v_cmp_eq_u16_e32 vcc, 0, v4
	v_cndmask_b32_e32 v3, v3, v8, vcc
	v_cndmask_b32_e32 v4, v6, v7, vcc
	v_lshlrev_b32_e32 v6, 8, v5
	v_mov_b32_e32 v7, 0x3b800000
	v_lshlrev_b32_e32 v3, 20, v3
	v_and_b32_e32 v6, 0x80000000, v6
	v_lshl_add_u32 v4, v4, 23, v7
	v_or3_b32 v4, v6, v4, v3
.LBB59_760:
	s_or_b64 exec, exec, s[6:7]
	s_nop 0
	v_mfma_f32_16x16x4f32 a[0:3], v2, v4, a[0:3]
	s_movk_i32 s4, 0x7f
	v_cmp_gt_i16_sdwa s[6:7], v9, s4 src0_sel:BYTE_3 src1_sel:DWORD
	s_mov_b64 s[4:5], 0
                                        ; implicit-def: $sgpr10
	s_and_saveexec_b64 s[8:9], s[6:7]
	s_xor_b64 s[6:7], exec, s[8:9]
	s_cbranch_execnz .LBB59_2809
; %bb.761:
	s_or_saveexec_b64 s[6:7], s[6:7]
	v_mov_b32_e32 v2, s10
	s_xor_b64 exec, exec, s[6:7]
	s_cbranch_execnz .LBB59_2812
.LBB59_762:
	s_or_b64 exec, exec, s[6:7]
	s_and_saveexec_b64 s[6:7], s[4:5]
	s_cbranch_execz .LBB59_764
.LBB59_763:
	v_bfe_u32 v2, v9, 24, 3
	v_ffbh_u32_e32 v7, v2
	v_min_u32_e32 v7, 32, v7
	v_lshrrev_b32_e32 v4, 27, v9
	v_subrev_u32_e32 v8, 28, v7
	v_and_b32_e32 v4, 15, v4
	v_lshlrev_b32_sdwa v8, v8, v9 dst_sel:DWORD dst_unused:UNUSED_PAD src0_sel:DWORD src1_sel:BYTE_3
	v_bfe_u32 v6, v9, 27, 4
	v_sub_u32_e32 v7, 29, v7
	v_and_b32_e32 v8, 7, v8
	v_cmp_eq_u16_e32 vcc, 0, v4
	v_cndmask_b32_e32 v2, v2, v8, vcc
	v_cndmask_b32_e32 v4, v6, v7, vcc
	v_mov_b32_e32 v6, 0x3b800000
	v_and_b32_e32 v3, 0x80000000, v9
	v_lshlrev_b32_e32 v2, 20, v2
	v_lshl_add_u32 v4, v4, 23, v6
	v_or3_b32 v2, v3, v4, v2
.LBB59_764:
	s_or_b64 exec, exec, s[6:7]
	s_movk_i32 s4, 0x7f
	v_cmp_gt_i16_sdwa s[6:7], v5, s4 src0_sel:BYTE_3 src1_sel:DWORD
	s_mov_b64 s[4:5], 0
                                        ; implicit-def: $sgpr10
	s_and_saveexec_b64 s[8:9], s[6:7]
	s_xor_b64 s[6:7], exec, s[8:9]
	s_cbranch_execnz .LBB59_2813
; %bb.765:
	s_or_saveexec_b64 s[6:7], s[6:7]
	v_mov_b32_e32 v3, s10
	s_xor_b64 exec, exec, s[6:7]
	s_cbranch_execnz .LBB59_2816
.LBB59_766:
	s_or_b64 exec, exec, s[6:7]
	s_and_saveexec_b64 s[6:7], s[4:5]
	s_cbranch_execz .LBB59_768
.LBB59_767:
	v_bfe_u32 v3, v5, 24, 3
	v_ffbh_u32_e32 v8, v3
	v_min_u32_e32 v8, 32, v8
	v_lshrrev_b32_e32 v6, 27, v5
	v_subrev_u32_e32 v9, 28, v8
	v_and_b32_e32 v4, 0x80000000, v5
	v_and_b32_e32 v6, 15, v6
	v_bfe_u32 v7, v5, 27, 4
	v_lshlrev_b32_sdwa v5, v9, v5 dst_sel:DWORD dst_unused:UNUSED_PAD src0_sel:DWORD src1_sel:BYTE_3
	v_sub_u32_e32 v8, 29, v8
	v_and_b32_e32 v5, 7, v5
	v_cmp_eq_u16_e32 vcc, 0, v6
	v_cndmask_b32_e32 v3, v3, v5, vcc
	v_cndmask_b32_e32 v5, v7, v8, vcc
	v_mov_b32_e32 v6, 0x3b800000
	v_lshlrev_b32_e32 v3, 20, v3
	v_lshl_add_u32 v5, v5, 23, v6
	v_or3_b32 v3, v4, v5, v3
.LBB59_768:
	s_or_b64 exec, exec, s[6:7]
	s_nop 0
	v_mfma_f32_16x16x4f32 a[0:3], v2, v3, a[0:3]
	s_movk_i32 s4, 0x7f
                                        ; implicit-def: $sgpr10
	s_nop 7
	s_nop 1
	flat_store_dwordx4 v[18:19], a[0:3] offset:928
	flat_load_dwordx4 v[20:23], v[0:1] offset:8
	s_nop 0
	flat_load_dwordx2 v[18:19], v[0:1] offset:24
	s_waitcnt vmcnt(0) lgkmcnt(0)
	flat_load_dwordx4 v[14:17], v[20:21] offset:32
	flat_load_dwordx4 v[6:9], v[20:21] offset:48
	;; [unrolled: 1-line block ×4, first 2 shown]
	s_waitcnt vmcnt(0) lgkmcnt(0)
	v_cmp_gt_i16_sdwa s[6:7], v14, s4 src0_sel:BYTE_0 src1_sel:DWORD
	s_mov_b64 s[4:5], 0
	s_and_saveexec_b64 s[8:9], s[6:7]
	s_xor_b64 s[6:7], exec, s[8:9]
	s_cbranch_execnz .LBB59_2817
; %bb.769:
	s_or_saveexec_b64 s[6:7], s[6:7]
	v_mov_b32_e32 v20, s10
	s_xor_b64 exec, exec, s[6:7]
	s_cbranch_execnz .LBB59_2820
.LBB59_770:
	s_or_b64 exec, exec, s[6:7]
	s_and_saveexec_b64 s[6:7], s[4:5]
	s_cbranch_execz .LBB59_772
.LBB59_771:
	v_and_b32_e32 v20, 7, v14
	v_ffbh_u32_e32 v22, v20
	v_min_u32_e32 v22, 32, v22
	v_lshrrev_b16_e32 v21, 3, v14
	v_subrev_u32_e32 v23, 28, v22
	v_and_b32_e32 v21, 15, v21
	v_lshlrev_b32_e32 v23, v23, v14
	v_sub_u32_e32 v22, 29, v22
	v_and_b32_e32 v23, 7, v23
	v_cmp_eq_u16_e32 vcc, 0, v21
	v_cndmask_b32_e32 v20, v20, v23, vcc
	v_cndmask_b32_e32 v21, v21, v22, vcc
	v_lshlrev_b32_e32 v22, 24, v14
	v_mov_b32_e32 v23, 0x3b800000
	v_lshlrev_b32_e32 v20, 20, v20
	v_and_b32_e32 v22, 0x80000000, v22
	v_lshl_add_u32 v21, v21, 23, v23
	v_or3_b32 v20, v22, v21, v20
.LBB59_772:
	s_or_b64 exec, exec, s[6:7]
	s_movk_i32 s4, 0x7f
	v_cmp_gt_i16_sdwa s[6:7], v10, s4 src0_sel:BYTE_0 src1_sel:DWORD
	s_mov_b64 s[4:5], 0
                                        ; implicit-def: $sgpr10
	s_and_saveexec_b64 s[8:9], s[6:7]
	s_xor_b64 s[6:7], exec, s[8:9]
	s_cbranch_execnz .LBB59_2821
; %bb.773:
	s_or_saveexec_b64 s[6:7], s[6:7]
	v_mov_b32_e32 v21, s10
	s_xor_b64 exec, exec, s[6:7]
	s_cbranch_execnz .LBB59_2824
.LBB59_774:
	s_or_b64 exec, exec, s[6:7]
	s_and_saveexec_b64 s[6:7], s[4:5]
	s_cbranch_execz .LBB59_776
.LBB59_775:
	v_and_b32_e32 v21, 7, v10
	v_ffbh_u32_e32 v23, v21
	v_min_u32_e32 v23, 32, v23
	v_lshrrev_b16_e32 v22, 3, v10
	v_subrev_u32_e32 v24, 28, v23
	v_and_b32_e32 v22, 15, v22
	v_lshlrev_b32_e32 v24, v24, v10
	v_sub_u32_e32 v23, 29, v23
	v_and_b32_e32 v24, 7, v24
	v_cmp_eq_u16_e32 vcc, 0, v22
	v_cndmask_b32_e32 v21, v21, v24, vcc
	v_cndmask_b32_e32 v22, v22, v23, vcc
	v_lshlrev_b32_e32 v23, 24, v10
	v_mov_b32_e32 v24, 0x3b800000
	v_lshlrev_b32_e32 v21, 20, v21
	v_and_b32_e32 v23, 0x80000000, v23
	v_lshl_add_u32 v22, v22, 23, v24
	v_or3_b32 v21, v23, v22, v21
.LBB59_776:
	s_or_b64 exec, exec, s[6:7]
	flat_load_dwordx4 a[0:3], v[18:19] offset:944
	s_movk_i32 s4, 0x7f
                                        ; implicit-def: $sgpr10
	s_waitcnt vmcnt(0) lgkmcnt(0)
	v_mfma_f32_16x16x4f32 a[0:3], v20, v21, a[0:3]
	v_lshrrev_b32_e32 v21, 8, v14
	v_cmp_gt_i16_sdwa s[6:7], v21, s4 src0_sel:BYTE_0 src1_sel:DWORD
	s_mov_b64 s[4:5], 0
	s_and_saveexec_b64 s[8:9], s[6:7]
	s_xor_b64 s[6:7], exec, s[8:9]
	s_cbranch_execnz .LBB59_2825
; %bb.777:
	s_or_saveexec_b64 s[6:7], s[6:7]
	v_mov_b32_e32 v20, s10
	s_xor_b64 exec, exec, s[6:7]
	s_cbranch_execnz .LBB59_2828
.LBB59_778:
	s_or_b64 exec, exec, s[6:7]
	s_and_saveexec_b64 s[6:7], s[4:5]
	s_cbranch_execz .LBB59_780
.LBB59_779:
	v_bfe_u32 v20, v14, 8, 3
	v_ffbh_u32_e32 v23, v20
	v_min_u32_e32 v23, 32, v23
	v_lshrrev_b16_e32 v22, 3, v21
	v_subrev_u32_e32 v24, 28, v23
	v_and_b32_e32 v22, 15, v22
	v_lshlrev_b32_e32 v21, v24, v21
	v_sub_u32_e32 v23, 29, v23
	v_and_b32_e32 v21, 7, v21
	v_cmp_eq_u16_e32 vcc, 0, v22
	v_cndmask_b32_e32 v20, v20, v21, vcc
	v_cndmask_b32_e32 v21, v22, v23, vcc
	v_lshlrev_b32_e32 v22, 16, v14
	v_mov_b32_e32 v23, 0x3b800000
	v_lshlrev_b32_e32 v20, 20, v20
	v_and_b32_e32 v22, 0x80000000, v22
	v_lshl_add_u32 v21, v21, 23, v23
	v_or3_b32 v20, v22, v21, v20
.LBB59_780:
	s_or_b64 exec, exec, s[6:7]
	v_lshrrev_b32_e32 v21, 8, v10
	s_movk_i32 s4, 0x7f
	v_cmp_gt_i16_sdwa s[6:7], v21, s4 src0_sel:BYTE_0 src1_sel:DWORD
	s_mov_b64 s[4:5], 0
                                        ; implicit-def: $sgpr10
	s_and_saveexec_b64 s[8:9], s[6:7]
	s_xor_b64 s[6:7], exec, s[8:9]
	s_cbranch_execnz .LBB59_2829
; %bb.781:
	s_or_saveexec_b64 s[6:7], s[6:7]
	v_mov_b32_e32 v22, s10
	s_xor_b64 exec, exec, s[6:7]
	s_cbranch_execnz .LBB59_2832
.LBB59_782:
	s_or_b64 exec, exec, s[6:7]
	s_and_saveexec_b64 s[6:7], s[4:5]
	s_cbranch_execz .LBB59_784
.LBB59_783:
	v_bfe_u32 v22, v10, 8, 3
	v_ffbh_u32_e32 v24, v22
	v_min_u32_e32 v24, 32, v24
	v_lshrrev_b16_e32 v23, 3, v21
	v_subrev_u32_e32 v25, 28, v24
	v_and_b32_e32 v23, 15, v23
	v_lshlrev_b32_e32 v21, v25, v21
	v_sub_u32_e32 v24, 29, v24
	v_and_b32_e32 v21, 7, v21
	v_cmp_eq_u16_e32 vcc, 0, v23
	v_cndmask_b32_e32 v21, v22, v21, vcc
	v_cndmask_b32_e32 v22, v23, v24, vcc
	v_lshlrev_b32_e32 v23, 16, v10
	v_mov_b32_e32 v24, 0x3b800000
	v_lshlrev_b32_e32 v21, 20, v21
	v_and_b32_e32 v23, 0x80000000, v23
	v_lshl_add_u32 v22, v22, 23, v24
	v_or3_b32 v22, v23, v22, v21
.LBB59_784:
	s_or_b64 exec, exec, s[6:7]
	s_nop 0
	v_mfma_f32_16x16x4f32 a[0:3], v20, v22, a[0:3]
	s_movk_i32 s4, 0xff
	v_and_b32_sdwa v21, v14, s4 dst_sel:DWORD dst_unused:UNUSED_PAD src0_sel:WORD_1 src1_sel:DWORD
	s_movk_i32 s4, 0x7f
	v_cmp_lt_i16_e32 vcc, s4, v21
	s_mov_b64 s[4:5], 0
                                        ; implicit-def: $sgpr10
	s_and_saveexec_b64 s[6:7], vcc
	s_xor_b64 s[6:7], exec, s[6:7]
	s_cbranch_execnz .LBB59_2833
; %bb.785:
	s_or_saveexec_b64 s[6:7], s[6:7]
	v_mov_b32_e32 v20, s10
	s_xor_b64 exec, exec, s[6:7]
	s_cbranch_execnz .LBB59_2836
.LBB59_786:
	s_or_b64 exec, exec, s[6:7]
	s_and_saveexec_b64 s[6:7], s[4:5]
	s_cbranch_execz .LBB59_788
.LBB59_787:
	v_bfe_u32 v20, v14, 16, 3
	v_ffbh_u32_e32 v23, v20
	v_min_u32_e32 v23, 32, v23
	v_lshrrev_b32_e32 v21, 19, v14
	v_subrev_u32_e32 v24, 28, v23
	v_and_b32_e32 v21, 15, v21
	v_lshlrev_b32_sdwa v24, v24, v14 dst_sel:DWORD dst_unused:UNUSED_PAD src0_sel:DWORD src1_sel:WORD_1
	v_bfe_u32 v22, v14, 19, 4
	v_sub_u32_e32 v23, 29, v23
	v_and_b32_e32 v24, 7, v24
	v_cmp_eq_u16_e32 vcc, 0, v21
	v_cndmask_b32_e32 v20, v20, v24, vcc
	v_cndmask_b32_e32 v21, v22, v23, vcc
	v_lshlrev_b32_e32 v22, 8, v14
	v_mov_b32_e32 v23, 0x3b800000
	v_lshlrev_b32_e32 v20, 20, v20
	v_and_b32_e32 v22, 0x80000000, v22
	v_lshl_add_u32 v21, v21, 23, v23
	v_or3_b32 v20, v22, v21, v20
.LBB59_788:
	s_or_b64 exec, exec, s[6:7]
	s_movk_i32 s4, 0xff
	v_and_b32_sdwa v21, v10, s4 dst_sel:DWORD dst_unused:UNUSED_PAD src0_sel:WORD_1 src1_sel:DWORD
	s_movk_i32 s4, 0x7f
	v_cmp_lt_i16_e32 vcc, s4, v21
	s_mov_b64 s[4:5], 0
                                        ; implicit-def: $sgpr10
	s_and_saveexec_b64 s[6:7], vcc
	s_xor_b64 s[6:7], exec, s[6:7]
	s_cbranch_execnz .LBB59_2837
; %bb.789:
	s_or_saveexec_b64 s[6:7], s[6:7]
	v_mov_b32_e32 v22, s10
	s_xor_b64 exec, exec, s[6:7]
	s_cbranch_execnz .LBB59_2840
.LBB59_790:
	s_or_b64 exec, exec, s[6:7]
	s_and_saveexec_b64 s[6:7], s[4:5]
	s_cbranch_execz .LBB59_792
.LBB59_791:
	v_bfe_u32 v21, v10, 16, 3
	v_ffbh_u32_e32 v24, v21
	v_min_u32_e32 v24, 32, v24
	v_lshrrev_b32_e32 v22, 19, v10
	v_subrev_u32_e32 v25, 28, v24
	v_and_b32_e32 v22, 15, v22
	v_lshlrev_b32_sdwa v25, v25, v10 dst_sel:DWORD dst_unused:UNUSED_PAD src0_sel:DWORD src1_sel:WORD_1
	v_bfe_u32 v23, v10, 19, 4
	v_sub_u32_e32 v24, 29, v24
	v_and_b32_e32 v25, 7, v25
	v_cmp_eq_u16_e32 vcc, 0, v22
	v_cndmask_b32_e32 v21, v21, v25, vcc
	v_cndmask_b32_e32 v22, v23, v24, vcc
	v_lshlrev_b32_e32 v23, 8, v10
	v_mov_b32_e32 v24, 0x3b800000
	v_lshlrev_b32_e32 v21, 20, v21
	v_and_b32_e32 v23, 0x80000000, v23
	v_lshl_add_u32 v22, v22, 23, v24
	v_or3_b32 v22, v23, v22, v21
.LBB59_792:
	s_or_b64 exec, exec, s[6:7]
	s_nop 0
	v_mfma_f32_16x16x4f32 a[0:3], v20, v22, a[0:3]
	s_movk_i32 s4, 0x7f
	v_cmp_gt_i16_sdwa s[6:7], v14, s4 src0_sel:BYTE_3 src1_sel:DWORD
	s_mov_b64 s[4:5], 0
                                        ; implicit-def: $sgpr10
	s_and_saveexec_b64 s[8:9], s[6:7]
	s_xor_b64 s[6:7], exec, s[8:9]
	s_cbranch_execnz .LBB59_2841
; %bb.793:
	s_or_saveexec_b64 s[6:7], s[6:7]
	v_mov_b32_e32 v20, s10
	s_xor_b64 exec, exec, s[6:7]
	s_cbranch_execnz .LBB59_2844
.LBB59_794:
	s_or_b64 exec, exec, s[6:7]
	s_and_saveexec_b64 s[6:7], s[4:5]
	s_cbranch_execz .LBB59_796
.LBB59_795:
	v_bfe_u32 v20, v14, 24, 3
	v_ffbh_u32_e32 v24, v20
	v_min_u32_e32 v24, 32, v24
	v_lshrrev_b32_e32 v22, 27, v14
	v_subrev_u32_e32 v25, 28, v24
	v_and_b32_e32 v21, 0x80000000, v14
	v_and_b32_e32 v22, 15, v22
	v_bfe_u32 v23, v14, 27, 4
	v_lshlrev_b32_sdwa v14, v25, v14 dst_sel:DWORD dst_unused:UNUSED_PAD src0_sel:DWORD src1_sel:BYTE_3
	v_sub_u32_e32 v24, 29, v24
	v_and_b32_e32 v14, 7, v14
	v_cmp_eq_u16_e32 vcc, 0, v22
	v_cndmask_b32_e32 v14, v20, v14, vcc
	v_cndmask_b32_e32 v20, v23, v24, vcc
	v_mov_b32_e32 v22, 0x3b800000
	v_lshlrev_b32_e32 v14, 20, v14
	v_lshl_add_u32 v20, v20, 23, v22
	v_or3_b32 v20, v21, v20, v14
.LBB59_796:
	s_or_b64 exec, exec, s[6:7]
	s_movk_i32 s4, 0x7f
	v_cmp_gt_i16_sdwa s[6:7], v10, s4 src0_sel:BYTE_3 src1_sel:DWORD
	s_mov_b64 s[4:5], 0
                                        ; implicit-def: $sgpr10
	s_and_saveexec_b64 s[8:9], s[6:7]
	s_xor_b64 s[6:7], exec, s[8:9]
	s_cbranch_execnz .LBB59_2845
; %bb.797:
	s_or_saveexec_b64 s[6:7], s[6:7]
	v_mov_b32_e32 v14, s10
	s_xor_b64 exec, exec, s[6:7]
	s_cbranch_execnz .LBB59_2848
.LBB59_798:
	s_or_b64 exec, exec, s[6:7]
	s_and_saveexec_b64 s[6:7], s[4:5]
	s_cbranch_execz .LBB59_800
.LBB59_799:
	v_bfe_u32 v14, v10, 24, 3
	v_ffbh_u32_e32 v24, v14
	v_min_u32_e32 v24, 32, v24
	v_lshrrev_b32_e32 v22, 27, v10
	v_subrev_u32_e32 v25, 28, v24
	v_and_b32_e32 v21, 0x80000000, v10
	v_and_b32_e32 v22, 15, v22
	v_bfe_u32 v23, v10, 27, 4
	v_lshlrev_b32_sdwa v10, v25, v10 dst_sel:DWORD dst_unused:UNUSED_PAD src0_sel:DWORD src1_sel:BYTE_3
	v_sub_u32_e32 v24, 29, v24
	v_and_b32_e32 v10, 7, v10
	v_cmp_eq_u16_e32 vcc, 0, v22
	v_cndmask_b32_e32 v10, v14, v10, vcc
	v_cndmask_b32_e32 v14, v23, v24, vcc
	v_mov_b32_e32 v22, 0x3b800000
	v_lshlrev_b32_e32 v10, 20, v10
	v_lshl_add_u32 v14, v14, 23, v22
	v_or3_b32 v14, v21, v14, v10
.LBB59_800:
	s_or_b64 exec, exec, s[6:7]
	s_nop 0
	v_mfma_f32_16x16x4f32 a[0:3], v20, v14, a[0:3]
	s_movk_i32 s4, 0x7f
	v_cmp_gt_i16_sdwa s[6:7], v15, s4 src0_sel:BYTE_0 src1_sel:DWORD
	s_mov_b64 s[4:5], 0
                                        ; implicit-def: $sgpr10
	s_and_saveexec_b64 s[8:9], s[6:7]
	s_xor_b64 s[6:7], exec, s[8:9]
	s_cbranch_execnz .LBB59_2849
; %bb.801:
	s_or_saveexec_b64 s[6:7], s[6:7]
	v_mov_b32_e32 v10, s10
	s_xor_b64 exec, exec, s[6:7]
	s_cbranch_execnz .LBB59_2852
.LBB59_802:
	s_or_b64 exec, exec, s[6:7]
	s_and_saveexec_b64 s[6:7], s[4:5]
	s_cbranch_execz .LBB59_804
.LBB59_803:
	v_and_b32_e32 v10, 7, v15
	v_ffbh_u32_e32 v20, v10
	v_min_u32_e32 v20, 32, v20
	v_lshrrev_b16_e32 v14, 3, v15
	v_subrev_u32_e32 v21, 28, v20
	v_and_b32_e32 v14, 15, v14
	v_lshlrev_b32_e32 v21, v21, v15
	v_sub_u32_e32 v20, 29, v20
	v_and_b32_e32 v21, 7, v21
	v_cmp_eq_u16_e32 vcc, 0, v14
	v_cndmask_b32_e32 v10, v10, v21, vcc
	v_cndmask_b32_e32 v14, v14, v20, vcc
	v_lshlrev_b32_e32 v20, 24, v15
	v_mov_b32_e32 v21, 0x3b800000
	v_lshlrev_b32_e32 v10, 20, v10
	v_and_b32_e32 v20, 0x80000000, v20
	v_lshl_add_u32 v14, v14, 23, v21
	v_or3_b32 v10, v20, v14, v10
.LBB59_804:
	s_or_b64 exec, exec, s[6:7]
	s_movk_i32 s4, 0x7f
	v_cmp_gt_i16_sdwa s[6:7], v11, s4 src0_sel:BYTE_0 src1_sel:DWORD
	s_mov_b64 s[4:5], 0
                                        ; implicit-def: $sgpr10
	s_and_saveexec_b64 s[8:9], s[6:7]
	s_xor_b64 s[6:7], exec, s[8:9]
	s_cbranch_execnz .LBB59_2853
; %bb.805:
	s_or_saveexec_b64 s[6:7], s[6:7]
	v_mov_b32_e32 v14, s10
	s_xor_b64 exec, exec, s[6:7]
	s_cbranch_execnz .LBB59_2856
.LBB59_806:
	s_or_b64 exec, exec, s[6:7]
	s_and_saveexec_b64 s[6:7], s[4:5]
	s_cbranch_execz .LBB59_808
.LBB59_807:
	v_and_b32_e32 v14, 7, v11
	v_ffbh_u32_e32 v21, v14
	v_min_u32_e32 v21, 32, v21
	v_lshrrev_b16_e32 v20, 3, v11
	v_subrev_u32_e32 v22, 28, v21
	v_and_b32_e32 v20, 15, v20
	v_lshlrev_b32_e32 v22, v22, v11
	v_sub_u32_e32 v21, 29, v21
	v_and_b32_e32 v22, 7, v22
	v_cmp_eq_u16_e32 vcc, 0, v20
	v_cndmask_b32_e32 v14, v14, v22, vcc
	v_cndmask_b32_e32 v20, v20, v21, vcc
	v_lshlrev_b32_e32 v21, 24, v11
	v_mov_b32_e32 v22, 0x3b800000
	v_lshlrev_b32_e32 v14, 20, v14
	v_and_b32_e32 v21, 0x80000000, v21
	v_lshl_add_u32 v20, v20, 23, v22
	v_or3_b32 v14, v21, v20, v14
.LBB59_808:
	s_or_b64 exec, exec, s[6:7]
	s_nop 0
	v_mfma_f32_16x16x4f32 a[0:3], v10, v14, a[0:3]
	v_lshrrev_b32_e32 v14, 8, v15
	s_movk_i32 s4, 0x7f
	v_cmp_gt_i16_sdwa s[6:7], v14, s4 src0_sel:BYTE_0 src1_sel:DWORD
	s_mov_b64 s[4:5], 0
                                        ; implicit-def: $sgpr10
	s_and_saveexec_b64 s[8:9], s[6:7]
	s_xor_b64 s[6:7], exec, s[8:9]
	s_cbranch_execnz .LBB59_2857
; %bb.809:
	s_or_saveexec_b64 s[6:7], s[6:7]
	v_mov_b32_e32 v10, s10
	s_xor_b64 exec, exec, s[6:7]
	s_cbranch_execnz .LBB59_2860
.LBB59_810:
	s_or_b64 exec, exec, s[6:7]
	s_and_saveexec_b64 s[6:7], s[4:5]
	s_cbranch_execz .LBB59_812
.LBB59_811:
	v_bfe_u32 v10, v15, 8, 3
	v_ffbh_u32_e32 v21, v10
	v_min_u32_e32 v21, 32, v21
	v_lshrrev_b16_e32 v20, 3, v14
	v_subrev_u32_e32 v22, 28, v21
	v_and_b32_e32 v20, 15, v20
	v_lshlrev_b32_e32 v14, v22, v14
	v_sub_u32_e32 v21, 29, v21
	v_and_b32_e32 v14, 7, v14
	v_cmp_eq_u16_e32 vcc, 0, v20
	v_cndmask_b32_e32 v10, v10, v14, vcc
	v_cndmask_b32_e32 v14, v20, v21, vcc
	v_lshlrev_b32_e32 v20, 16, v15
	v_mov_b32_e32 v21, 0x3b800000
	v_lshlrev_b32_e32 v10, 20, v10
	v_and_b32_e32 v20, 0x80000000, v20
	v_lshl_add_u32 v14, v14, 23, v21
	v_or3_b32 v10, v20, v14, v10
.LBB59_812:
	s_or_b64 exec, exec, s[6:7]
	v_lshrrev_b32_e32 v14, 8, v11
	s_movk_i32 s4, 0x7f
	v_cmp_gt_i16_sdwa s[6:7], v14, s4 src0_sel:BYTE_0 src1_sel:DWORD
	s_mov_b64 s[4:5], 0
                                        ; implicit-def: $sgpr10
	s_and_saveexec_b64 s[8:9], s[6:7]
	s_xor_b64 s[6:7], exec, s[8:9]
	s_cbranch_execnz .LBB59_2861
; %bb.813:
	s_or_saveexec_b64 s[6:7], s[6:7]
	v_mov_b32_e32 v20, s10
	s_xor_b64 exec, exec, s[6:7]
	s_cbranch_execnz .LBB59_2864
.LBB59_814:
	s_or_b64 exec, exec, s[6:7]
	s_and_saveexec_b64 s[6:7], s[4:5]
	s_cbranch_execz .LBB59_816
.LBB59_815:
	v_bfe_u32 v20, v11, 8, 3
	v_ffbh_u32_e32 v22, v20
	v_min_u32_e32 v22, 32, v22
	v_lshrrev_b16_e32 v21, 3, v14
	v_subrev_u32_e32 v23, 28, v22
	v_and_b32_e32 v21, 15, v21
	v_lshlrev_b32_e32 v14, v23, v14
	v_sub_u32_e32 v22, 29, v22
	v_and_b32_e32 v14, 7, v14
	v_cmp_eq_u16_e32 vcc, 0, v21
	v_cndmask_b32_e32 v14, v20, v14, vcc
	v_cndmask_b32_e32 v20, v21, v22, vcc
	v_lshlrev_b32_e32 v21, 16, v11
	v_mov_b32_e32 v22, 0x3b800000
	v_lshlrev_b32_e32 v14, 20, v14
	v_and_b32_e32 v21, 0x80000000, v21
	v_lshl_add_u32 v20, v20, 23, v22
	v_or3_b32 v20, v21, v20, v14
.LBB59_816:
	s_or_b64 exec, exec, s[6:7]
	s_nop 0
	v_mfma_f32_16x16x4f32 a[0:3], v10, v20, a[0:3]
	s_movk_i32 s4, 0xff
	v_and_b32_sdwa v14, v15, s4 dst_sel:DWORD dst_unused:UNUSED_PAD src0_sel:WORD_1 src1_sel:DWORD
	s_movk_i32 s4, 0x7f
	v_cmp_lt_i16_e32 vcc, s4, v14
	s_mov_b64 s[4:5], 0
                                        ; implicit-def: $sgpr10
	s_and_saveexec_b64 s[6:7], vcc
	s_xor_b64 s[6:7], exec, s[6:7]
	s_cbranch_execnz .LBB59_2865
; %bb.817:
	s_or_saveexec_b64 s[6:7], s[6:7]
	v_mov_b32_e32 v10, s10
	s_xor_b64 exec, exec, s[6:7]
	s_cbranch_execnz .LBB59_2868
.LBB59_818:
	s_or_b64 exec, exec, s[6:7]
	s_and_saveexec_b64 s[6:7], s[4:5]
	s_cbranch_execz .LBB59_820
.LBB59_819:
	v_bfe_u32 v10, v15, 16, 3
	v_ffbh_u32_e32 v21, v10
	v_min_u32_e32 v21, 32, v21
	v_lshrrev_b32_e32 v14, 19, v15
	v_subrev_u32_e32 v22, 28, v21
	v_and_b32_e32 v14, 15, v14
	v_lshlrev_b32_sdwa v22, v22, v15 dst_sel:DWORD dst_unused:UNUSED_PAD src0_sel:DWORD src1_sel:WORD_1
	v_bfe_u32 v20, v15, 19, 4
	v_sub_u32_e32 v21, 29, v21
	v_and_b32_e32 v22, 7, v22
	v_cmp_eq_u16_e32 vcc, 0, v14
	v_cndmask_b32_e32 v10, v10, v22, vcc
	v_cndmask_b32_e32 v14, v20, v21, vcc
	v_lshlrev_b32_e32 v20, 8, v15
	v_mov_b32_e32 v21, 0x3b800000
	v_lshlrev_b32_e32 v10, 20, v10
	v_and_b32_e32 v20, 0x80000000, v20
	v_lshl_add_u32 v14, v14, 23, v21
	v_or3_b32 v10, v20, v14, v10
.LBB59_820:
	s_or_b64 exec, exec, s[6:7]
	s_movk_i32 s4, 0xff
	v_and_b32_sdwa v14, v11, s4 dst_sel:DWORD dst_unused:UNUSED_PAD src0_sel:WORD_1 src1_sel:DWORD
	s_movk_i32 s4, 0x7f
	v_cmp_lt_i16_e32 vcc, s4, v14
	s_mov_b64 s[4:5], 0
                                        ; implicit-def: $sgpr10
	s_and_saveexec_b64 s[6:7], vcc
	s_xor_b64 s[6:7], exec, s[6:7]
	s_cbranch_execnz .LBB59_2869
; %bb.821:
	s_or_saveexec_b64 s[6:7], s[6:7]
	v_mov_b32_e32 v20, s10
	s_xor_b64 exec, exec, s[6:7]
	s_cbranch_execnz .LBB59_2872
.LBB59_822:
	s_or_b64 exec, exec, s[6:7]
	s_and_saveexec_b64 s[6:7], s[4:5]
	s_cbranch_execz .LBB59_824
.LBB59_823:
	v_bfe_u32 v14, v11, 16, 3
	v_ffbh_u32_e32 v22, v14
	v_min_u32_e32 v22, 32, v22
	v_lshrrev_b32_e32 v20, 19, v11
	v_subrev_u32_e32 v23, 28, v22
	v_and_b32_e32 v20, 15, v20
	v_lshlrev_b32_sdwa v23, v23, v11 dst_sel:DWORD dst_unused:UNUSED_PAD src0_sel:DWORD src1_sel:WORD_1
	v_bfe_u32 v21, v11, 19, 4
	v_sub_u32_e32 v22, 29, v22
	v_and_b32_e32 v23, 7, v23
	v_cmp_eq_u16_e32 vcc, 0, v20
	v_cndmask_b32_e32 v14, v14, v23, vcc
	v_cndmask_b32_e32 v20, v21, v22, vcc
	v_lshlrev_b32_e32 v21, 8, v11
	v_mov_b32_e32 v22, 0x3b800000
	v_lshlrev_b32_e32 v14, 20, v14
	v_and_b32_e32 v21, 0x80000000, v21
	v_lshl_add_u32 v20, v20, 23, v22
	v_or3_b32 v20, v21, v20, v14
.LBB59_824:
	s_or_b64 exec, exec, s[6:7]
	s_nop 0
	v_mfma_f32_16x16x4f32 a[0:3], v10, v20, a[0:3]
	s_movk_i32 s4, 0x7f
	v_cmp_gt_i16_sdwa s[6:7], v15, s4 src0_sel:BYTE_3 src1_sel:DWORD
	s_mov_b64 s[4:5], 0
                                        ; implicit-def: $sgpr10
	s_and_saveexec_b64 s[8:9], s[6:7]
	s_xor_b64 s[6:7], exec, s[8:9]
	s_cbranch_execnz .LBB59_2873
; %bb.825:
	s_or_saveexec_b64 s[6:7], s[6:7]
	v_mov_b32_e32 v10, s10
	s_xor_b64 exec, exec, s[6:7]
	s_cbranch_execnz .LBB59_2876
.LBB59_826:
	s_or_b64 exec, exec, s[6:7]
	s_and_saveexec_b64 s[6:7], s[4:5]
	s_cbranch_execz .LBB59_828
.LBB59_827:
	v_bfe_u32 v10, v15, 24, 3
	v_ffbh_u32_e32 v22, v10
	v_min_u32_e32 v22, 32, v22
	v_lshrrev_b32_e32 v20, 27, v15
	v_subrev_u32_e32 v23, 28, v22
	v_and_b32_e32 v14, 0x80000000, v15
	v_and_b32_e32 v20, 15, v20
	v_bfe_u32 v21, v15, 27, 4
	v_lshlrev_b32_sdwa v15, v23, v15 dst_sel:DWORD dst_unused:UNUSED_PAD src0_sel:DWORD src1_sel:BYTE_3
	v_sub_u32_e32 v22, 29, v22
	v_and_b32_e32 v15, 7, v15
	v_cmp_eq_u16_e32 vcc, 0, v20
	v_cndmask_b32_e32 v10, v10, v15, vcc
	v_cndmask_b32_e32 v15, v21, v22, vcc
	v_mov_b32_e32 v20, 0x3b800000
	v_lshlrev_b32_e32 v10, 20, v10
	v_lshl_add_u32 v15, v15, 23, v20
	v_or3_b32 v10, v14, v15, v10
.LBB59_828:
	s_or_b64 exec, exec, s[6:7]
	s_movk_i32 s4, 0x7f
	v_cmp_gt_i16_sdwa s[6:7], v11, s4 src0_sel:BYTE_3 src1_sel:DWORD
	s_mov_b64 s[4:5], 0
                                        ; implicit-def: $sgpr10
	s_and_saveexec_b64 s[8:9], s[6:7]
	s_xor_b64 s[6:7], exec, s[8:9]
	s_cbranch_execnz .LBB59_2877
; %bb.829:
	s_or_saveexec_b64 s[6:7], s[6:7]
	v_mov_b32_e32 v14, s10
	s_xor_b64 exec, exec, s[6:7]
	s_cbranch_execnz .LBB59_2880
.LBB59_830:
	s_or_b64 exec, exec, s[6:7]
	s_and_saveexec_b64 s[6:7], s[4:5]
	s_cbranch_execz .LBB59_832
.LBB59_831:
	v_bfe_u32 v14, v11, 24, 3
	v_ffbh_u32_e32 v22, v14
	v_min_u32_e32 v22, 32, v22
	v_lshrrev_b32_e32 v20, 27, v11
	v_subrev_u32_e32 v23, 28, v22
	v_and_b32_e32 v15, 0x80000000, v11
	v_and_b32_e32 v20, 15, v20
	v_bfe_u32 v21, v11, 27, 4
	v_lshlrev_b32_sdwa v11, v23, v11 dst_sel:DWORD dst_unused:UNUSED_PAD src0_sel:DWORD src1_sel:BYTE_3
	v_sub_u32_e32 v22, 29, v22
	v_and_b32_e32 v11, 7, v11
	v_cmp_eq_u16_e32 vcc, 0, v20
	v_cndmask_b32_e32 v11, v14, v11, vcc
	v_cndmask_b32_e32 v14, v21, v22, vcc
	v_mov_b32_e32 v20, 0x3b800000
	v_lshlrev_b32_e32 v11, 20, v11
	v_lshl_add_u32 v14, v14, 23, v20
	v_or3_b32 v14, v15, v14, v11
.LBB59_832:
	s_or_b64 exec, exec, s[6:7]
	s_nop 0
	v_mfma_f32_16x16x4f32 a[0:3], v10, v14, a[0:3]
	s_movk_i32 s4, 0x7f
	v_cmp_gt_i16_sdwa s[6:7], v16, s4 src0_sel:BYTE_0 src1_sel:DWORD
	s_mov_b64 s[4:5], 0
                                        ; implicit-def: $sgpr10
	s_and_saveexec_b64 s[8:9], s[6:7]
	s_xor_b64 s[6:7], exec, s[8:9]
	s_cbranch_execnz .LBB59_2881
; %bb.833:
	s_or_saveexec_b64 s[6:7], s[6:7]
	v_mov_b32_e32 v10, s10
	s_xor_b64 exec, exec, s[6:7]
	s_cbranch_execnz .LBB59_2884
.LBB59_834:
	s_or_b64 exec, exec, s[6:7]
	s_and_saveexec_b64 s[6:7], s[4:5]
	s_cbranch_execz .LBB59_836
.LBB59_835:
	v_and_b32_e32 v10, 7, v16
	v_ffbh_u32_e32 v14, v10
	v_min_u32_e32 v14, 32, v14
	v_lshrrev_b16_e32 v11, 3, v16
	v_subrev_u32_e32 v15, 28, v14
	v_and_b32_e32 v11, 15, v11
	v_lshlrev_b32_e32 v15, v15, v16
	v_sub_u32_e32 v14, 29, v14
	v_and_b32_e32 v15, 7, v15
	v_cmp_eq_u16_e32 vcc, 0, v11
	v_cndmask_b32_e32 v10, v10, v15, vcc
	v_cndmask_b32_e32 v11, v11, v14, vcc
	v_lshlrev_b32_e32 v14, 24, v16
	v_mov_b32_e32 v15, 0x3b800000
	v_lshlrev_b32_e32 v10, 20, v10
	v_and_b32_e32 v14, 0x80000000, v14
	v_lshl_add_u32 v11, v11, 23, v15
	v_or3_b32 v10, v14, v11, v10
.LBB59_836:
	s_or_b64 exec, exec, s[6:7]
	s_movk_i32 s4, 0x7f
	v_cmp_gt_i16_sdwa s[6:7], v12, s4 src0_sel:BYTE_0 src1_sel:DWORD
	s_mov_b64 s[4:5], 0
                                        ; implicit-def: $sgpr10
	s_and_saveexec_b64 s[8:9], s[6:7]
	s_xor_b64 s[6:7], exec, s[8:9]
	s_cbranch_execnz .LBB59_2885
; %bb.837:
	s_or_saveexec_b64 s[6:7], s[6:7]
	v_mov_b32_e32 v11, s10
	s_xor_b64 exec, exec, s[6:7]
	s_cbranch_execnz .LBB59_2888
.LBB59_838:
	s_or_b64 exec, exec, s[6:7]
	s_and_saveexec_b64 s[6:7], s[4:5]
	s_cbranch_execz .LBB59_840
.LBB59_839:
	v_and_b32_e32 v11, 7, v12
	v_ffbh_u32_e32 v15, v11
	v_min_u32_e32 v15, 32, v15
	v_lshrrev_b16_e32 v14, 3, v12
	v_subrev_u32_e32 v20, 28, v15
	v_and_b32_e32 v14, 15, v14
	v_lshlrev_b32_e32 v20, v20, v12
	v_sub_u32_e32 v15, 29, v15
	v_and_b32_e32 v20, 7, v20
	v_cmp_eq_u16_e32 vcc, 0, v14
	v_cndmask_b32_e32 v11, v11, v20, vcc
	v_cndmask_b32_e32 v14, v14, v15, vcc
	v_lshlrev_b32_e32 v15, 24, v12
	v_mov_b32_e32 v20, 0x3b800000
	v_lshlrev_b32_e32 v11, 20, v11
	v_and_b32_e32 v15, 0x80000000, v15
	v_lshl_add_u32 v14, v14, 23, v20
	v_or3_b32 v11, v15, v14, v11
.LBB59_840:
	s_or_b64 exec, exec, s[6:7]
	s_nop 0
	v_mfma_f32_16x16x4f32 a[0:3], v10, v11, a[0:3]
	v_lshrrev_b32_e32 v11, 8, v16
	s_movk_i32 s4, 0x7f
	v_cmp_gt_i16_sdwa s[6:7], v11, s4 src0_sel:BYTE_0 src1_sel:DWORD
	s_mov_b64 s[4:5], 0
                                        ; implicit-def: $sgpr10
	s_and_saveexec_b64 s[8:9], s[6:7]
	s_xor_b64 s[6:7], exec, s[8:9]
	s_cbranch_execnz .LBB59_2889
; %bb.841:
	s_or_saveexec_b64 s[6:7], s[6:7]
	v_mov_b32_e32 v10, s10
	s_xor_b64 exec, exec, s[6:7]
	s_cbranch_execnz .LBB59_2892
.LBB59_842:
	s_or_b64 exec, exec, s[6:7]
	s_and_saveexec_b64 s[6:7], s[4:5]
	s_cbranch_execz .LBB59_844
.LBB59_843:
	v_bfe_u32 v10, v16, 8, 3
	v_ffbh_u32_e32 v15, v10
	v_min_u32_e32 v15, 32, v15
	v_lshrrev_b16_e32 v14, 3, v11
	v_subrev_u32_e32 v20, 28, v15
	v_and_b32_e32 v14, 15, v14
	v_lshlrev_b32_e32 v11, v20, v11
	v_sub_u32_e32 v15, 29, v15
	v_and_b32_e32 v11, 7, v11
	v_cmp_eq_u16_e32 vcc, 0, v14
	v_cndmask_b32_e32 v10, v10, v11, vcc
	v_cndmask_b32_e32 v11, v14, v15, vcc
	v_lshlrev_b32_e32 v14, 16, v16
	v_mov_b32_e32 v15, 0x3b800000
	v_lshlrev_b32_e32 v10, 20, v10
	v_and_b32_e32 v14, 0x80000000, v14
	v_lshl_add_u32 v11, v11, 23, v15
	v_or3_b32 v10, v14, v11, v10
.LBB59_844:
	s_or_b64 exec, exec, s[6:7]
	v_lshrrev_b32_e32 v11, 8, v12
	s_movk_i32 s4, 0x7f
	v_cmp_gt_i16_sdwa s[6:7], v11, s4 src0_sel:BYTE_0 src1_sel:DWORD
	s_mov_b64 s[4:5], 0
                                        ; implicit-def: $sgpr10
	s_and_saveexec_b64 s[8:9], s[6:7]
	s_xor_b64 s[6:7], exec, s[8:9]
	s_cbranch_execnz .LBB59_2893
; %bb.845:
	s_or_saveexec_b64 s[6:7], s[6:7]
	v_mov_b32_e32 v14, s10
	s_xor_b64 exec, exec, s[6:7]
	s_cbranch_execnz .LBB59_2896
.LBB59_846:
	s_or_b64 exec, exec, s[6:7]
	s_and_saveexec_b64 s[6:7], s[4:5]
	s_cbranch_execz .LBB59_848
.LBB59_847:
	v_bfe_u32 v14, v12, 8, 3
	v_ffbh_u32_e32 v20, v14
	v_min_u32_e32 v20, 32, v20
	v_lshrrev_b16_e32 v15, 3, v11
	v_subrev_u32_e32 v21, 28, v20
	v_and_b32_e32 v15, 15, v15
	v_lshlrev_b32_e32 v11, v21, v11
	v_sub_u32_e32 v20, 29, v20
	v_and_b32_e32 v11, 7, v11
	v_cmp_eq_u16_e32 vcc, 0, v15
	v_cndmask_b32_e32 v11, v14, v11, vcc
	v_cndmask_b32_e32 v14, v15, v20, vcc
	v_lshlrev_b32_e32 v15, 16, v12
	v_mov_b32_e32 v20, 0x3b800000
	v_lshlrev_b32_e32 v11, 20, v11
	v_and_b32_e32 v15, 0x80000000, v15
	v_lshl_add_u32 v14, v14, 23, v20
	v_or3_b32 v14, v15, v14, v11
.LBB59_848:
	s_or_b64 exec, exec, s[6:7]
	s_nop 0
	v_mfma_f32_16x16x4f32 a[0:3], v10, v14, a[0:3]
	s_movk_i32 s4, 0xff
	v_and_b32_sdwa v11, v16, s4 dst_sel:DWORD dst_unused:UNUSED_PAD src0_sel:WORD_1 src1_sel:DWORD
	s_movk_i32 s4, 0x7f
	v_cmp_lt_i16_e32 vcc, s4, v11
	s_mov_b64 s[4:5], 0
                                        ; implicit-def: $sgpr10
	s_and_saveexec_b64 s[6:7], vcc
	s_xor_b64 s[6:7], exec, s[6:7]
	s_cbranch_execnz .LBB59_2897
; %bb.849:
	s_or_saveexec_b64 s[6:7], s[6:7]
	v_mov_b32_e32 v10, s10
	s_xor_b64 exec, exec, s[6:7]
	s_cbranch_execnz .LBB59_2900
.LBB59_850:
	s_or_b64 exec, exec, s[6:7]
	s_and_saveexec_b64 s[6:7], s[4:5]
	s_cbranch_execz .LBB59_852
.LBB59_851:
	v_bfe_u32 v10, v16, 16, 3
	v_ffbh_u32_e32 v15, v10
	v_min_u32_e32 v15, 32, v15
	v_lshrrev_b32_e32 v11, 19, v16
	v_subrev_u32_e32 v20, 28, v15
	v_and_b32_e32 v11, 15, v11
	v_lshlrev_b32_sdwa v20, v20, v16 dst_sel:DWORD dst_unused:UNUSED_PAD src0_sel:DWORD src1_sel:WORD_1
	v_bfe_u32 v14, v16, 19, 4
	v_sub_u32_e32 v15, 29, v15
	v_and_b32_e32 v20, 7, v20
	v_cmp_eq_u16_e32 vcc, 0, v11
	v_cndmask_b32_e32 v10, v10, v20, vcc
	v_cndmask_b32_e32 v11, v14, v15, vcc
	v_lshlrev_b32_e32 v14, 8, v16
	v_mov_b32_e32 v15, 0x3b800000
	v_lshlrev_b32_e32 v10, 20, v10
	v_and_b32_e32 v14, 0x80000000, v14
	v_lshl_add_u32 v11, v11, 23, v15
	v_or3_b32 v10, v14, v11, v10
.LBB59_852:
	s_or_b64 exec, exec, s[6:7]
	s_movk_i32 s4, 0xff
	v_and_b32_sdwa v11, v12, s4 dst_sel:DWORD dst_unused:UNUSED_PAD src0_sel:WORD_1 src1_sel:DWORD
	s_movk_i32 s4, 0x7f
	v_cmp_lt_i16_e32 vcc, s4, v11
	s_mov_b64 s[4:5], 0
                                        ; implicit-def: $sgpr10
	s_and_saveexec_b64 s[6:7], vcc
	s_xor_b64 s[6:7], exec, s[6:7]
	s_cbranch_execnz .LBB59_2901
; %bb.853:
	s_or_saveexec_b64 s[6:7], s[6:7]
	v_mov_b32_e32 v14, s10
	s_xor_b64 exec, exec, s[6:7]
	s_cbranch_execnz .LBB59_2904
.LBB59_854:
	s_or_b64 exec, exec, s[6:7]
	s_and_saveexec_b64 s[6:7], s[4:5]
	s_cbranch_execz .LBB59_856
.LBB59_855:
	v_bfe_u32 v11, v12, 16, 3
	v_ffbh_u32_e32 v20, v11
	v_min_u32_e32 v20, 32, v20
	v_lshrrev_b32_e32 v14, 19, v12
	v_subrev_u32_e32 v21, 28, v20
	v_and_b32_e32 v14, 15, v14
	v_lshlrev_b32_sdwa v21, v21, v12 dst_sel:DWORD dst_unused:UNUSED_PAD src0_sel:DWORD src1_sel:WORD_1
	v_bfe_u32 v15, v12, 19, 4
	v_sub_u32_e32 v20, 29, v20
	v_and_b32_e32 v21, 7, v21
	v_cmp_eq_u16_e32 vcc, 0, v14
	v_cndmask_b32_e32 v11, v11, v21, vcc
	v_cndmask_b32_e32 v14, v15, v20, vcc
	v_lshlrev_b32_e32 v15, 8, v12
	v_mov_b32_e32 v20, 0x3b800000
	v_lshlrev_b32_e32 v11, 20, v11
	v_and_b32_e32 v15, 0x80000000, v15
	v_lshl_add_u32 v14, v14, 23, v20
	v_or3_b32 v14, v15, v14, v11
.LBB59_856:
	s_or_b64 exec, exec, s[6:7]
	s_nop 0
	v_mfma_f32_16x16x4f32 a[0:3], v10, v14, a[0:3]
	s_movk_i32 s4, 0x7f
	v_cmp_gt_i16_sdwa s[6:7], v16, s4 src0_sel:BYTE_3 src1_sel:DWORD
	s_mov_b64 s[4:5], 0
                                        ; implicit-def: $sgpr10
	s_and_saveexec_b64 s[8:9], s[6:7]
	s_xor_b64 s[6:7], exec, s[8:9]
	s_cbranch_execnz .LBB59_2905
; %bb.857:
	s_or_saveexec_b64 s[6:7], s[6:7]
	v_mov_b32_e32 v10, s10
	s_xor_b64 exec, exec, s[6:7]
	s_cbranch_execnz .LBB59_2908
.LBB59_858:
	s_or_b64 exec, exec, s[6:7]
	s_and_saveexec_b64 s[6:7], s[4:5]
	s_cbranch_execz .LBB59_860
.LBB59_859:
	v_bfe_u32 v10, v16, 24, 3
	v_ffbh_u32_e32 v20, v10
	v_min_u32_e32 v20, 32, v20
	v_lshrrev_b32_e32 v14, 27, v16
	v_subrev_u32_e32 v21, 28, v20
	v_and_b32_e32 v11, 0x80000000, v16
	v_and_b32_e32 v14, 15, v14
	v_bfe_u32 v15, v16, 27, 4
	v_lshlrev_b32_sdwa v16, v21, v16 dst_sel:DWORD dst_unused:UNUSED_PAD src0_sel:DWORD src1_sel:BYTE_3
	v_sub_u32_e32 v20, 29, v20
	v_and_b32_e32 v16, 7, v16
	v_cmp_eq_u16_e32 vcc, 0, v14
	v_cndmask_b32_e32 v10, v10, v16, vcc
	v_cndmask_b32_e32 v14, v15, v20, vcc
	v_mov_b32_e32 v15, 0x3b800000
	v_lshlrev_b32_e32 v10, 20, v10
	v_lshl_add_u32 v14, v14, 23, v15
	v_or3_b32 v10, v11, v14, v10
.LBB59_860:
	s_or_b64 exec, exec, s[6:7]
	s_movk_i32 s4, 0x7f
	v_cmp_gt_i16_sdwa s[6:7], v12, s4 src0_sel:BYTE_3 src1_sel:DWORD
	s_mov_b64 s[4:5], 0
                                        ; implicit-def: $sgpr10
	s_and_saveexec_b64 s[8:9], s[6:7]
	s_xor_b64 s[6:7], exec, s[8:9]
	s_cbranch_execnz .LBB59_2909
; %bb.861:
	s_or_saveexec_b64 s[6:7], s[6:7]
	v_mov_b32_e32 v11, s10
	s_xor_b64 exec, exec, s[6:7]
	s_cbranch_execnz .LBB59_2912
.LBB59_862:
	s_or_b64 exec, exec, s[6:7]
	s_and_saveexec_b64 s[6:7], s[4:5]
	s_cbranch_execz .LBB59_864
.LBB59_863:
	v_bfe_u32 v11, v12, 24, 3
	v_ffbh_u32_e32 v20, v11
	v_min_u32_e32 v20, 32, v20
	v_lshrrev_b32_e32 v15, 27, v12
	v_subrev_u32_e32 v21, 28, v20
	v_and_b32_e32 v14, 0x80000000, v12
	v_and_b32_e32 v15, 15, v15
	v_bfe_u32 v16, v12, 27, 4
	v_lshlrev_b32_sdwa v12, v21, v12 dst_sel:DWORD dst_unused:UNUSED_PAD src0_sel:DWORD src1_sel:BYTE_3
	v_sub_u32_e32 v20, 29, v20
	v_and_b32_e32 v12, 7, v12
	v_cmp_eq_u16_e32 vcc, 0, v15
	v_cndmask_b32_e32 v11, v11, v12, vcc
	v_cndmask_b32_e32 v12, v16, v20, vcc
	v_mov_b32_e32 v15, 0x3b800000
	v_lshlrev_b32_e32 v11, 20, v11
	v_lshl_add_u32 v12, v12, 23, v15
	v_or3_b32 v11, v14, v12, v11
.LBB59_864:
	s_or_b64 exec, exec, s[6:7]
	s_nop 0
	v_mfma_f32_16x16x4f32 a[0:3], v10, v11, a[0:3]
	s_movk_i32 s4, 0x7f
	v_cmp_gt_i16_sdwa s[6:7], v17, s4 src0_sel:BYTE_0 src1_sel:DWORD
	s_mov_b64 s[4:5], 0
                                        ; implicit-def: $sgpr10
	s_and_saveexec_b64 s[8:9], s[6:7]
	s_xor_b64 s[6:7], exec, s[8:9]
	s_cbranch_execnz .LBB59_2913
; %bb.865:
	s_or_saveexec_b64 s[6:7], s[6:7]
	v_mov_b32_e32 v10, s10
	s_xor_b64 exec, exec, s[6:7]
	s_cbranch_execnz .LBB59_2916
.LBB59_866:
	s_or_b64 exec, exec, s[6:7]
	s_and_saveexec_b64 s[6:7], s[4:5]
	s_cbranch_execz .LBB59_868
.LBB59_867:
	v_and_b32_e32 v10, 7, v17
	v_ffbh_u32_e32 v12, v10
	v_min_u32_e32 v12, 32, v12
	v_lshrrev_b16_e32 v11, 3, v17
	v_subrev_u32_e32 v14, 28, v12
	v_and_b32_e32 v11, 15, v11
	v_lshlrev_b32_e32 v14, v14, v17
	v_sub_u32_e32 v12, 29, v12
	v_and_b32_e32 v14, 7, v14
	v_cmp_eq_u16_e32 vcc, 0, v11
	v_cndmask_b32_e32 v10, v10, v14, vcc
	v_cndmask_b32_e32 v11, v11, v12, vcc
	v_lshlrev_b32_e32 v12, 24, v17
	v_mov_b32_e32 v14, 0x3b800000
	v_lshlrev_b32_e32 v10, 20, v10
	v_and_b32_e32 v12, 0x80000000, v12
	v_lshl_add_u32 v11, v11, 23, v14
	v_or3_b32 v10, v12, v11, v10
.LBB59_868:
	s_or_b64 exec, exec, s[6:7]
	s_movk_i32 s4, 0x7f
	v_cmp_gt_i16_sdwa s[6:7], v13, s4 src0_sel:BYTE_0 src1_sel:DWORD
	s_mov_b64 s[4:5], 0
                                        ; implicit-def: $sgpr10
	s_and_saveexec_b64 s[8:9], s[6:7]
	s_xor_b64 s[6:7], exec, s[8:9]
	s_cbranch_execnz .LBB59_2917
; %bb.869:
	s_or_saveexec_b64 s[6:7], s[6:7]
	v_mov_b32_e32 v11, s10
	s_xor_b64 exec, exec, s[6:7]
	s_cbranch_execnz .LBB59_2920
.LBB59_870:
	s_or_b64 exec, exec, s[6:7]
	s_and_saveexec_b64 s[6:7], s[4:5]
	s_cbranch_execz .LBB59_872
.LBB59_871:
	v_and_b32_e32 v11, 7, v13
	v_ffbh_u32_e32 v14, v11
	v_min_u32_e32 v14, 32, v14
	v_lshrrev_b16_e32 v12, 3, v13
	v_subrev_u32_e32 v15, 28, v14
	v_and_b32_e32 v12, 15, v12
	v_lshlrev_b32_e32 v15, v15, v13
	v_sub_u32_e32 v14, 29, v14
	v_and_b32_e32 v15, 7, v15
	v_cmp_eq_u16_e32 vcc, 0, v12
	v_cndmask_b32_e32 v11, v11, v15, vcc
	v_cndmask_b32_e32 v12, v12, v14, vcc
	v_lshlrev_b32_e32 v14, 24, v13
	v_mov_b32_e32 v15, 0x3b800000
	v_lshlrev_b32_e32 v11, 20, v11
	v_and_b32_e32 v14, 0x80000000, v14
	v_lshl_add_u32 v12, v12, 23, v15
	v_or3_b32 v11, v14, v12, v11
.LBB59_872:
	s_or_b64 exec, exec, s[6:7]
	s_nop 0
	v_mfma_f32_16x16x4f32 a[0:3], v10, v11, a[0:3]
	v_lshrrev_b32_e32 v11, 8, v17
	s_movk_i32 s4, 0x7f
	v_cmp_gt_i16_sdwa s[6:7], v11, s4 src0_sel:BYTE_0 src1_sel:DWORD
	s_mov_b64 s[4:5], 0
                                        ; implicit-def: $sgpr10
	s_and_saveexec_b64 s[8:9], s[6:7]
	s_xor_b64 s[6:7], exec, s[8:9]
	s_cbranch_execnz .LBB59_2921
; %bb.873:
	s_or_saveexec_b64 s[6:7], s[6:7]
	v_mov_b32_e32 v10, s10
	s_xor_b64 exec, exec, s[6:7]
	s_cbranch_execnz .LBB59_2924
.LBB59_874:
	s_or_b64 exec, exec, s[6:7]
	s_and_saveexec_b64 s[6:7], s[4:5]
	s_cbranch_execz .LBB59_876
.LBB59_875:
	v_bfe_u32 v10, v17, 8, 3
	v_ffbh_u32_e32 v14, v10
	v_min_u32_e32 v14, 32, v14
	v_lshrrev_b16_e32 v12, 3, v11
	v_subrev_u32_e32 v15, 28, v14
	v_and_b32_e32 v12, 15, v12
	v_lshlrev_b32_e32 v11, v15, v11
	v_sub_u32_e32 v14, 29, v14
	v_and_b32_e32 v11, 7, v11
	v_cmp_eq_u16_e32 vcc, 0, v12
	v_cndmask_b32_e32 v10, v10, v11, vcc
	v_cndmask_b32_e32 v11, v12, v14, vcc
	v_lshlrev_b32_e32 v12, 16, v17
	v_mov_b32_e32 v14, 0x3b800000
	v_lshlrev_b32_e32 v10, 20, v10
	v_and_b32_e32 v12, 0x80000000, v12
	v_lshl_add_u32 v11, v11, 23, v14
	v_or3_b32 v10, v12, v11, v10
.LBB59_876:
	s_or_b64 exec, exec, s[6:7]
	v_lshrrev_b32_e32 v11, 8, v13
	s_movk_i32 s4, 0x7f
	v_cmp_gt_i16_sdwa s[6:7], v11, s4 src0_sel:BYTE_0 src1_sel:DWORD
	s_mov_b64 s[4:5], 0
                                        ; implicit-def: $sgpr10
	s_and_saveexec_b64 s[8:9], s[6:7]
	s_xor_b64 s[6:7], exec, s[8:9]
	s_cbranch_execnz .LBB59_2925
; %bb.877:
	s_or_saveexec_b64 s[6:7], s[6:7]
	v_mov_b32_e32 v12, s10
	s_xor_b64 exec, exec, s[6:7]
	s_cbranch_execnz .LBB59_2928
.LBB59_878:
	s_or_b64 exec, exec, s[6:7]
	s_and_saveexec_b64 s[6:7], s[4:5]
	s_cbranch_execz .LBB59_880
.LBB59_879:
	v_bfe_u32 v12, v13, 8, 3
	v_ffbh_u32_e32 v15, v12
	v_min_u32_e32 v15, 32, v15
	v_lshrrev_b16_e32 v14, 3, v11
	v_subrev_u32_e32 v16, 28, v15
	v_and_b32_e32 v14, 15, v14
	v_lshlrev_b32_e32 v11, v16, v11
	v_sub_u32_e32 v15, 29, v15
	v_and_b32_e32 v11, 7, v11
	v_cmp_eq_u16_e32 vcc, 0, v14
	v_cndmask_b32_e32 v11, v12, v11, vcc
	v_cndmask_b32_e32 v12, v14, v15, vcc
	v_lshlrev_b32_e32 v14, 16, v13
	v_mov_b32_e32 v15, 0x3b800000
	v_lshlrev_b32_e32 v11, 20, v11
	v_and_b32_e32 v14, 0x80000000, v14
	v_lshl_add_u32 v12, v12, 23, v15
	v_or3_b32 v12, v14, v12, v11
.LBB59_880:
	s_or_b64 exec, exec, s[6:7]
	s_nop 0
	v_mfma_f32_16x16x4f32 a[0:3], v10, v12, a[0:3]
	s_movk_i32 s4, 0xff
	v_and_b32_sdwa v11, v17, s4 dst_sel:DWORD dst_unused:UNUSED_PAD src0_sel:WORD_1 src1_sel:DWORD
	s_movk_i32 s4, 0x7f
	v_cmp_lt_i16_e32 vcc, s4, v11
	s_mov_b64 s[4:5], 0
                                        ; implicit-def: $sgpr10
	s_and_saveexec_b64 s[6:7], vcc
	s_xor_b64 s[6:7], exec, s[6:7]
	s_cbranch_execnz .LBB59_2929
; %bb.881:
	s_or_saveexec_b64 s[6:7], s[6:7]
	v_mov_b32_e32 v10, s10
	s_xor_b64 exec, exec, s[6:7]
	s_cbranch_execnz .LBB59_2932
.LBB59_882:
	s_or_b64 exec, exec, s[6:7]
	s_and_saveexec_b64 s[6:7], s[4:5]
	s_cbranch_execz .LBB59_884
.LBB59_883:
	v_bfe_u32 v10, v17, 16, 3
	v_ffbh_u32_e32 v14, v10
	v_min_u32_e32 v14, 32, v14
	v_lshrrev_b32_e32 v11, 19, v17
	v_subrev_u32_e32 v15, 28, v14
	v_and_b32_e32 v11, 15, v11
	v_lshlrev_b32_sdwa v15, v15, v17 dst_sel:DWORD dst_unused:UNUSED_PAD src0_sel:DWORD src1_sel:WORD_1
	v_bfe_u32 v12, v17, 19, 4
	v_sub_u32_e32 v14, 29, v14
	v_and_b32_e32 v15, 7, v15
	v_cmp_eq_u16_e32 vcc, 0, v11
	v_cndmask_b32_e32 v10, v10, v15, vcc
	v_cndmask_b32_e32 v11, v12, v14, vcc
	v_lshlrev_b32_e32 v12, 8, v17
	v_mov_b32_e32 v14, 0x3b800000
	v_lshlrev_b32_e32 v10, 20, v10
	v_and_b32_e32 v12, 0x80000000, v12
	v_lshl_add_u32 v11, v11, 23, v14
	v_or3_b32 v10, v12, v11, v10
.LBB59_884:
	s_or_b64 exec, exec, s[6:7]
	s_movk_i32 s4, 0xff
	v_and_b32_sdwa v11, v13, s4 dst_sel:DWORD dst_unused:UNUSED_PAD src0_sel:WORD_1 src1_sel:DWORD
	s_movk_i32 s4, 0x7f
	v_cmp_lt_i16_e32 vcc, s4, v11
	s_mov_b64 s[4:5], 0
                                        ; implicit-def: $sgpr10
	s_and_saveexec_b64 s[6:7], vcc
	s_xor_b64 s[6:7], exec, s[6:7]
	s_cbranch_execnz .LBB59_2933
; %bb.885:
	s_or_saveexec_b64 s[6:7], s[6:7]
	v_mov_b32_e32 v12, s10
	s_xor_b64 exec, exec, s[6:7]
	s_cbranch_execnz .LBB59_2936
.LBB59_886:
	s_or_b64 exec, exec, s[6:7]
	s_and_saveexec_b64 s[6:7], s[4:5]
	s_cbranch_execz .LBB59_888
.LBB59_887:
	v_bfe_u32 v11, v13, 16, 3
	v_ffbh_u32_e32 v15, v11
	v_min_u32_e32 v15, 32, v15
	v_lshrrev_b32_e32 v12, 19, v13
	v_subrev_u32_e32 v16, 28, v15
	v_and_b32_e32 v12, 15, v12
	v_lshlrev_b32_sdwa v16, v16, v13 dst_sel:DWORD dst_unused:UNUSED_PAD src0_sel:DWORD src1_sel:WORD_1
	v_bfe_u32 v14, v13, 19, 4
	v_sub_u32_e32 v15, 29, v15
	v_and_b32_e32 v16, 7, v16
	v_cmp_eq_u16_e32 vcc, 0, v12
	v_cndmask_b32_e32 v11, v11, v16, vcc
	v_cndmask_b32_e32 v12, v14, v15, vcc
	v_lshlrev_b32_e32 v14, 8, v13
	v_mov_b32_e32 v15, 0x3b800000
	v_lshlrev_b32_e32 v11, 20, v11
	v_and_b32_e32 v14, 0x80000000, v14
	v_lshl_add_u32 v12, v12, 23, v15
	v_or3_b32 v12, v14, v12, v11
.LBB59_888:
	s_or_b64 exec, exec, s[6:7]
	s_nop 0
	v_mfma_f32_16x16x4f32 a[0:3], v10, v12, a[0:3]
	s_movk_i32 s4, 0x7f
	v_cmp_gt_i16_sdwa s[6:7], v17, s4 src0_sel:BYTE_3 src1_sel:DWORD
	s_mov_b64 s[4:5], 0
                                        ; implicit-def: $sgpr10
	s_and_saveexec_b64 s[8:9], s[6:7]
	s_xor_b64 s[6:7], exec, s[8:9]
	s_cbranch_execnz .LBB59_2937
; %bb.889:
	s_or_saveexec_b64 s[6:7], s[6:7]
	v_mov_b32_e32 v10, s10
	s_xor_b64 exec, exec, s[6:7]
	s_cbranch_execnz .LBB59_2940
.LBB59_890:
	s_or_b64 exec, exec, s[6:7]
	s_and_saveexec_b64 s[6:7], s[4:5]
	s_cbranch_execz .LBB59_892
.LBB59_891:
	v_bfe_u32 v10, v17, 24, 3
	v_ffbh_u32_e32 v15, v10
	v_min_u32_e32 v15, 32, v15
	v_lshrrev_b32_e32 v12, 27, v17
	v_subrev_u32_e32 v16, 28, v15
	v_and_b32_e32 v12, 15, v12
	v_lshlrev_b32_sdwa v16, v16, v17 dst_sel:DWORD dst_unused:UNUSED_PAD src0_sel:DWORD src1_sel:BYTE_3
	v_bfe_u32 v14, v17, 27, 4
	v_sub_u32_e32 v15, 29, v15
	v_and_b32_e32 v16, 7, v16
	v_cmp_eq_u16_e32 vcc, 0, v12
	v_cndmask_b32_e32 v10, v10, v16, vcc
	v_cndmask_b32_e32 v12, v14, v15, vcc
	v_mov_b32_e32 v14, 0x3b800000
	v_and_b32_e32 v11, 0x80000000, v17
	v_lshlrev_b32_e32 v10, 20, v10
	v_lshl_add_u32 v12, v12, 23, v14
	v_or3_b32 v10, v11, v12, v10
.LBB59_892:
	s_or_b64 exec, exec, s[6:7]
	s_movk_i32 s4, 0x7f
	v_cmp_gt_i16_sdwa s[6:7], v13, s4 src0_sel:BYTE_3 src1_sel:DWORD
	s_mov_b64 s[4:5], 0
                                        ; implicit-def: $sgpr10
	s_and_saveexec_b64 s[8:9], s[6:7]
	s_xor_b64 s[6:7], exec, s[8:9]
	s_cbranch_execnz .LBB59_2941
; %bb.893:
	s_or_saveexec_b64 s[6:7], s[6:7]
	v_mov_b32_e32 v11, s10
	s_xor_b64 exec, exec, s[6:7]
	s_cbranch_execnz .LBB59_2944
.LBB59_894:
	s_or_b64 exec, exec, s[6:7]
	s_and_saveexec_b64 s[6:7], s[4:5]
	s_cbranch_execz .LBB59_896
.LBB59_895:
	v_bfe_u32 v11, v13, 24, 3
	v_ffbh_u32_e32 v16, v11
	v_min_u32_e32 v16, 32, v16
	v_lshrrev_b32_e32 v14, 27, v13
	v_subrev_u32_e32 v17, 28, v16
	v_and_b32_e32 v12, 0x80000000, v13
	v_and_b32_e32 v14, 15, v14
	v_bfe_u32 v15, v13, 27, 4
	v_lshlrev_b32_sdwa v13, v17, v13 dst_sel:DWORD dst_unused:UNUSED_PAD src0_sel:DWORD src1_sel:BYTE_3
	v_sub_u32_e32 v16, 29, v16
	v_and_b32_e32 v13, 7, v13
	v_cmp_eq_u16_e32 vcc, 0, v14
	v_cndmask_b32_e32 v11, v11, v13, vcc
	v_cndmask_b32_e32 v13, v15, v16, vcc
	v_mov_b32_e32 v14, 0x3b800000
	v_lshlrev_b32_e32 v11, 20, v11
	v_lshl_add_u32 v13, v13, 23, v14
	v_or3_b32 v11, v12, v13, v11
.LBB59_896:
	s_or_b64 exec, exec, s[6:7]
	s_nop 0
	v_mfma_f32_16x16x4f32 a[0:3], v10, v11, a[0:3]
	s_movk_i32 s4, 0x7f
	v_cmp_gt_i16_sdwa s[6:7], v6, s4 src0_sel:BYTE_0 src1_sel:DWORD
	s_mov_b64 s[4:5], 0
                                        ; implicit-def: $sgpr10
	s_and_saveexec_b64 s[8:9], s[6:7]
	s_xor_b64 s[6:7], exec, s[8:9]
	s_cbranch_execnz .LBB59_2945
; %bb.897:
	s_or_saveexec_b64 s[6:7], s[6:7]
	v_mov_b32_e32 v10, s10
	s_xor_b64 exec, exec, s[6:7]
	s_cbranch_execnz .LBB59_2948
.LBB59_898:
	s_or_b64 exec, exec, s[6:7]
	s_and_saveexec_b64 s[6:7], s[4:5]
	s_cbranch_execz .LBB59_900
.LBB59_899:
	v_and_b32_e32 v10, 7, v6
	v_ffbh_u32_e32 v12, v10
	v_min_u32_e32 v12, 32, v12
	v_lshrrev_b16_e32 v11, 3, v6
	v_subrev_u32_e32 v13, 28, v12
	v_and_b32_e32 v11, 15, v11
	v_lshlrev_b32_e32 v13, v13, v6
	v_sub_u32_e32 v12, 29, v12
	v_and_b32_e32 v13, 7, v13
	v_cmp_eq_u16_e32 vcc, 0, v11
	v_cndmask_b32_e32 v10, v10, v13, vcc
	v_cndmask_b32_e32 v11, v11, v12, vcc
	v_lshlrev_b32_e32 v12, 24, v6
	v_mov_b32_e32 v13, 0x3b800000
	v_lshlrev_b32_e32 v10, 20, v10
	v_and_b32_e32 v12, 0x80000000, v12
	v_lshl_add_u32 v11, v11, 23, v13
	v_or3_b32 v10, v12, v11, v10
.LBB59_900:
	s_or_b64 exec, exec, s[6:7]
	s_movk_i32 s4, 0x7f
	v_cmp_gt_i16_sdwa s[6:7], v2, s4 src0_sel:BYTE_0 src1_sel:DWORD
	s_mov_b64 s[4:5], 0
                                        ; implicit-def: $sgpr10
	s_and_saveexec_b64 s[8:9], s[6:7]
	s_xor_b64 s[6:7], exec, s[8:9]
	s_cbranch_execnz .LBB59_2949
; %bb.901:
	s_or_saveexec_b64 s[6:7], s[6:7]
	v_mov_b32_e32 v11, s10
	s_xor_b64 exec, exec, s[6:7]
	s_cbranch_execnz .LBB59_2952
.LBB59_902:
	s_or_b64 exec, exec, s[6:7]
	s_and_saveexec_b64 s[6:7], s[4:5]
	s_cbranch_execz .LBB59_904
.LBB59_903:
	v_and_b32_e32 v11, 7, v2
	v_ffbh_u32_e32 v13, v11
	v_min_u32_e32 v13, 32, v13
	v_lshrrev_b16_e32 v12, 3, v2
	v_subrev_u32_e32 v14, 28, v13
	v_and_b32_e32 v12, 15, v12
	v_lshlrev_b32_e32 v14, v14, v2
	v_sub_u32_e32 v13, 29, v13
	v_and_b32_e32 v14, 7, v14
	v_cmp_eq_u16_e32 vcc, 0, v12
	v_cndmask_b32_e32 v11, v11, v14, vcc
	v_cndmask_b32_e32 v12, v12, v13, vcc
	v_lshlrev_b32_e32 v13, 24, v2
	v_mov_b32_e32 v14, 0x3b800000
	v_lshlrev_b32_e32 v11, 20, v11
	v_and_b32_e32 v13, 0x80000000, v13
	v_lshl_add_u32 v12, v12, 23, v14
	v_or3_b32 v11, v13, v12, v11
.LBB59_904:
	s_or_b64 exec, exec, s[6:7]
	s_nop 0
	v_mfma_f32_16x16x4f32 a[0:3], v10, v11, a[0:3]
	v_lshrrev_b32_e32 v11, 8, v6
	s_movk_i32 s4, 0x7f
	v_cmp_gt_i16_sdwa s[6:7], v11, s4 src0_sel:BYTE_0 src1_sel:DWORD
	s_mov_b64 s[4:5], 0
                                        ; implicit-def: $sgpr10
	s_and_saveexec_b64 s[8:9], s[6:7]
	s_xor_b64 s[6:7], exec, s[8:9]
	s_cbranch_execnz .LBB59_2953
; %bb.905:
	s_or_saveexec_b64 s[6:7], s[6:7]
	v_mov_b32_e32 v10, s10
	s_xor_b64 exec, exec, s[6:7]
	s_cbranch_execnz .LBB59_2956
.LBB59_906:
	s_or_b64 exec, exec, s[6:7]
	s_and_saveexec_b64 s[6:7], s[4:5]
	s_cbranch_execz .LBB59_908
.LBB59_907:
	v_bfe_u32 v10, v6, 8, 3
	v_ffbh_u32_e32 v13, v10
	v_min_u32_e32 v13, 32, v13
	v_lshrrev_b16_e32 v12, 3, v11
	v_subrev_u32_e32 v14, 28, v13
	v_and_b32_e32 v12, 15, v12
	v_lshlrev_b32_e32 v11, v14, v11
	v_sub_u32_e32 v13, 29, v13
	v_and_b32_e32 v11, 7, v11
	v_cmp_eq_u16_e32 vcc, 0, v12
	v_cndmask_b32_e32 v10, v10, v11, vcc
	v_cndmask_b32_e32 v11, v12, v13, vcc
	v_lshlrev_b32_e32 v12, 16, v6
	v_mov_b32_e32 v13, 0x3b800000
	v_lshlrev_b32_e32 v10, 20, v10
	v_and_b32_e32 v12, 0x80000000, v12
	v_lshl_add_u32 v11, v11, 23, v13
	v_or3_b32 v10, v12, v11, v10
.LBB59_908:
	s_or_b64 exec, exec, s[6:7]
	v_lshrrev_b32_e32 v11, 8, v2
	s_movk_i32 s4, 0x7f
	v_cmp_gt_i16_sdwa s[6:7], v11, s4 src0_sel:BYTE_0 src1_sel:DWORD
	s_mov_b64 s[4:5], 0
                                        ; implicit-def: $sgpr10
	s_and_saveexec_b64 s[8:9], s[6:7]
	s_xor_b64 s[6:7], exec, s[8:9]
	s_cbranch_execnz .LBB59_2957
; %bb.909:
	s_or_saveexec_b64 s[6:7], s[6:7]
	v_mov_b32_e32 v12, s10
	s_xor_b64 exec, exec, s[6:7]
	s_cbranch_execnz .LBB59_2960
.LBB59_910:
	s_or_b64 exec, exec, s[6:7]
	s_and_saveexec_b64 s[6:7], s[4:5]
	s_cbranch_execz .LBB59_912
.LBB59_911:
	v_bfe_u32 v12, v2, 8, 3
	v_ffbh_u32_e32 v14, v12
	v_min_u32_e32 v14, 32, v14
	v_lshrrev_b16_e32 v13, 3, v11
	v_subrev_u32_e32 v15, 28, v14
	v_and_b32_e32 v13, 15, v13
	v_lshlrev_b32_e32 v11, v15, v11
	v_sub_u32_e32 v14, 29, v14
	v_and_b32_e32 v11, 7, v11
	v_cmp_eq_u16_e32 vcc, 0, v13
	v_cndmask_b32_e32 v11, v12, v11, vcc
	v_cndmask_b32_e32 v12, v13, v14, vcc
	v_lshlrev_b32_e32 v13, 16, v2
	v_mov_b32_e32 v14, 0x3b800000
	v_lshlrev_b32_e32 v11, 20, v11
	v_and_b32_e32 v13, 0x80000000, v13
	v_lshl_add_u32 v12, v12, 23, v14
	v_or3_b32 v12, v13, v12, v11
.LBB59_912:
	s_or_b64 exec, exec, s[6:7]
	s_nop 0
	v_mfma_f32_16x16x4f32 a[0:3], v10, v12, a[0:3]
	s_movk_i32 s4, 0xff
	v_and_b32_sdwa v11, v6, s4 dst_sel:DWORD dst_unused:UNUSED_PAD src0_sel:WORD_1 src1_sel:DWORD
	s_movk_i32 s4, 0x7f
	v_cmp_lt_i16_e32 vcc, s4, v11
	s_mov_b64 s[4:5], 0
                                        ; implicit-def: $sgpr10
	s_and_saveexec_b64 s[6:7], vcc
	s_xor_b64 s[6:7], exec, s[6:7]
	s_cbranch_execnz .LBB59_2961
; %bb.913:
	s_or_saveexec_b64 s[6:7], s[6:7]
	v_mov_b32_e32 v10, s10
	s_xor_b64 exec, exec, s[6:7]
	s_cbranch_execnz .LBB59_2964
.LBB59_914:
	s_or_b64 exec, exec, s[6:7]
	s_and_saveexec_b64 s[6:7], s[4:5]
	s_cbranch_execz .LBB59_916
.LBB59_915:
	v_bfe_u32 v10, v6, 16, 3
	v_ffbh_u32_e32 v13, v10
	v_min_u32_e32 v13, 32, v13
	v_lshrrev_b32_e32 v11, 19, v6
	v_subrev_u32_e32 v14, 28, v13
	v_and_b32_e32 v11, 15, v11
	v_lshlrev_b32_sdwa v14, v14, v6 dst_sel:DWORD dst_unused:UNUSED_PAD src0_sel:DWORD src1_sel:WORD_1
	v_bfe_u32 v12, v6, 19, 4
	v_sub_u32_e32 v13, 29, v13
	v_and_b32_e32 v14, 7, v14
	v_cmp_eq_u16_e32 vcc, 0, v11
	v_cndmask_b32_e32 v10, v10, v14, vcc
	v_cndmask_b32_e32 v11, v12, v13, vcc
	v_lshlrev_b32_e32 v12, 8, v6
	v_mov_b32_e32 v13, 0x3b800000
	v_lshlrev_b32_e32 v10, 20, v10
	v_and_b32_e32 v12, 0x80000000, v12
	v_lshl_add_u32 v11, v11, 23, v13
	v_or3_b32 v10, v12, v11, v10
.LBB59_916:
	s_or_b64 exec, exec, s[6:7]
	s_movk_i32 s4, 0xff
	v_and_b32_sdwa v11, v2, s4 dst_sel:DWORD dst_unused:UNUSED_PAD src0_sel:WORD_1 src1_sel:DWORD
	s_movk_i32 s4, 0x7f
	v_cmp_lt_i16_e32 vcc, s4, v11
	s_mov_b64 s[4:5], 0
                                        ; implicit-def: $sgpr10
	s_and_saveexec_b64 s[6:7], vcc
	s_xor_b64 s[6:7], exec, s[6:7]
	s_cbranch_execnz .LBB59_2965
; %bb.917:
	s_or_saveexec_b64 s[6:7], s[6:7]
	v_mov_b32_e32 v12, s10
	s_xor_b64 exec, exec, s[6:7]
	s_cbranch_execnz .LBB59_2968
.LBB59_918:
	s_or_b64 exec, exec, s[6:7]
	s_and_saveexec_b64 s[6:7], s[4:5]
	s_cbranch_execz .LBB59_920
.LBB59_919:
	v_bfe_u32 v11, v2, 16, 3
	v_ffbh_u32_e32 v14, v11
	v_min_u32_e32 v14, 32, v14
	v_lshrrev_b32_e32 v12, 19, v2
	v_subrev_u32_e32 v15, 28, v14
	v_and_b32_e32 v12, 15, v12
	v_lshlrev_b32_sdwa v15, v15, v2 dst_sel:DWORD dst_unused:UNUSED_PAD src0_sel:DWORD src1_sel:WORD_1
	v_bfe_u32 v13, v2, 19, 4
	v_sub_u32_e32 v14, 29, v14
	v_and_b32_e32 v15, 7, v15
	v_cmp_eq_u16_e32 vcc, 0, v12
	v_cndmask_b32_e32 v11, v11, v15, vcc
	v_cndmask_b32_e32 v12, v13, v14, vcc
	v_lshlrev_b32_e32 v13, 8, v2
	v_mov_b32_e32 v14, 0x3b800000
	v_lshlrev_b32_e32 v11, 20, v11
	v_and_b32_e32 v13, 0x80000000, v13
	v_lshl_add_u32 v12, v12, 23, v14
	v_or3_b32 v12, v13, v12, v11
.LBB59_920:
	s_or_b64 exec, exec, s[6:7]
	s_nop 0
	v_mfma_f32_16x16x4f32 a[0:3], v10, v12, a[0:3]
	s_movk_i32 s4, 0x7f
	v_cmp_gt_i16_sdwa s[6:7], v6, s4 src0_sel:BYTE_3 src1_sel:DWORD
	s_mov_b64 s[4:5], 0
                                        ; implicit-def: $sgpr10
	s_and_saveexec_b64 s[8:9], s[6:7]
	s_xor_b64 s[6:7], exec, s[8:9]
	s_cbranch_execnz .LBB59_2969
; %bb.921:
	s_or_saveexec_b64 s[6:7], s[6:7]
	v_mov_b32_e32 v10, s10
	s_xor_b64 exec, exec, s[6:7]
	s_cbranch_execnz .LBB59_2972
.LBB59_922:
	s_or_b64 exec, exec, s[6:7]
	s_and_saveexec_b64 s[6:7], s[4:5]
	s_cbranch_execz .LBB59_924
.LBB59_923:
	v_bfe_u32 v10, v6, 24, 3
	v_ffbh_u32_e32 v14, v10
	v_min_u32_e32 v14, 32, v14
	v_lshrrev_b32_e32 v12, 27, v6
	v_subrev_u32_e32 v15, 28, v14
	v_and_b32_e32 v11, 0x80000000, v6
	v_and_b32_e32 v12, 15, v12
	v_bfe_u32 v13, v6, 27, 4
	v_lshlrev_b32_sdwa v6, v15, v6 dst_sel:DWORD dst_unused:UNUSED_PAD src0_sel:DWORD src1_sel:BYTE_3
	v_sub_u32_e32 v14, 29, v14
	v_and_b32_e32 v6, 7, v6
	v_cmp_eq_u16_e32 vcc, 0, v12
	v_cndmask_b32_e32 v6, v10, v6, vcc
	v_cndmask_b32_e32 v10, v13, v14, vcc
	v_mov_b32_e32 v12, 0x3b800000
	v_lshlrev_b32_e32 v6, 20, v6
	v_lshl_add_u32 v10, v10, 23, v12
	v_or3_b32 v10, v11, v10, v6
.LBB59_924:
	s_or_b64 exec, exec, s[6:7]
	s_movk_i32 s4, 0x7f
	v_cmp_gt_i16_sdwa s[6:7], v2, s4 src0_sel:BYTE_3 src1_sel:DWORD
	s_mov_b64 s[4:5], 0
                                        ; implicit-def: $sgpr10
	s_and_saveexec_b64 s[8:9], s[6:7]
	s_xor_b64 s[6:7], exec, s[8:9]
	s_cbranch_execnz .LBB59_2973
; %bb.925:
	s_or_saveexec_b64 s[6:7], s[6:7]
	v_mov_b32_e32 v6, s10
	s_xor_b64 exec, exec, s[6:7]
	s_cbranch_execnz .LBB59_2976
.LBB59_926:
	s_or_b64 exec, exec, s[6:7]
	s_and_saveexec_b64 s[6:7], s[4:5]
	s_cbranch_execz .LBB59_928
.LBB59_927:
	v_bfe_u32 v6, v2, 24, 3
	v_ffbh_u32_e32 v14, v6
	v_min_u32_e32 v14, 32, v14
	v_lshrrev_b32_e32 v12, 27, v2
	v_subrev_u32_e32 v15, 28, v14
	v_and_b32_e32 v11, 0x80000000, v2
	v_and_b32_e32 v12, 15, v12
	v_bfe_u32 v13, v2, 27, 4
	v_lshlrev_b32_sdwa v2, v15, v2 dst_sel:DWORD dst_unused:UNUSED_PAD src0_sel:DWORD src1_sel:BYTE_3
	v_sub_u32_e32 v14, 29, v14
	v_and_b32_e32 v2, 7, v2
	v_cmp_eq_u16_e32 vcc, 0, v12
	v_cndmask_b32_e32 v2, v6, v2, vcc
	v_cndmask_b32_e32 v6, v13, v14, vcc
	v_mov_b32_e32 v12, 0x3b800000
	v_lshlrev_b32_e32 v2, 20, v2
	v_lshl_add_u32 v6, v6, 23, v12
	v_or3_b32 v6, v11, v6, v2
.LBB59_928:
	s_or_b64 exec, exec, s[6:7]
	s_nop 0
	v_mfma_f32_16x16x4f32 a[0:3], v10, v6, a[0:3]
	s_movk_i32 s4, 0x7f
	v_cmp_gt_i16_sdwa s[6:7], v7, s4 src0_sel:BYTE_0 src1_sel:DWORD
	s_mov_b64 s[4:5], 0
                                        ; implicit-def: $sgpr10
	s_and_saveexec_b64 s[8:9], s[6:7]
	s_xor_b64 s[6:7], exec, s[8:9]
	s_cbranch_execnz .LBB59_2977
; %bb.929:
	s_or_saveexec_b64 s[6:7], s[6:7]
	v_mov_b32_e32 v2, s10
	s_xor_b64 exec, exec, s[6:7]
	s_cbranch_execnz .LBB59_2980
.LBB59_930:
	s_or_b64 exec, exec, s[6:7]
	s_and_saveexec_b64 s[6:7], s[4:5]
	s_cbranch_execz .LBB59_932
.LBB59_931:
	v_and_b32_e32 v2, 7, v7
	v_ffbh_u32_e32 v10, v2
	v_min_u32_e32 v10, 32, v10
	v_lshrrev_b16_e32 v6, 3, v7
	v_subrev_u32_e32 v11, 28, v10
	v_and_b32_e32 v6, 15, v6
	v_lshlrev_b32_e32 v11, v11, v7
	v_sub_u32_e32 v10, 29, v10
	v_and_b32_e32 v11, 7, v11
	v_cmp_eq_u16_e32 vcc, 0, v6
	v_cndmask_b32_e32 v2, v2, v11, vcc
	v_cndmask_b32_e32 v6, v6, v10, vcc
	v_lshlrev_b32_e32 v10, 24, v7
	v_mov_b32_e32 v11, 0x3b800000
	v_lshlrev_b32_e32 v2, 20, v2
	v_and_b32_e32 v10, 0x80000000, v10
	v_lshl_add_u32 v6, v6, 23, v11
	v_or3_b32 v2, v10, v6, v2
.LBB59_932:
	s_or_b64 exec, exec, s[6:7]
	s_movk_i32 s4, 0x7f
	v_cmp_gt_i16_sdwa s[6:7], v3, s4 src0_sel:BYTE_0 src1_sel:DWORD
	s_mov_b64 s[4:5], 0
                                        ; implicit-def: $sgpr10
	s_and_saveexec_b64 s[8:9], s[6:7]
	s_xor_b64 s[6:7], exec, s[8:9]
	s_cbranch_execnz .LBB59_2981
; %bb.933:
	s_or_saveexec_b64 s[6:7], s[6:7]
	v_mov_b32_e32 v6, s10
	s_xor_b64 exec, exec, s[6:7]
	s_cbranch_execnz .LBB59_2984
.LBB59_934:
	s_or_b64 exec, exec, s[6:7]
	s_and_saveexec_b64 s[6:7], s[4:5]
	s_cbranch_execz .LBB59_936
.LBB59_935:
	v_and_b32_e32 v6, 7, v3
	v_ffbh_u32_e32 v11, v6
	v_min_u32_e32 v11, 32, v11
	v_lshrrev_b16_e32 v10, 3, v3
	v_subrev_u32_e32 v12, 28, v11
	v_and_b32_e32 v10, 15, v10
	v_lshlrev_b32_e32 v12, v12, v3
	v_sub_u32_e32 v11, 29, v11
	v_and_b32_e32 v12, 7, v12
	v_cmp_eq_u16_e32 vcc, 0, v10
	v_cndmask_b32_e32 v6, v6, v12, vcc
	v_cndmask_b32_e32 v10, v10, v11, vcc
	v_lshlrev_b32_e32 v11, 24, v3
	v_mov_b32_e32 v12, 0x3b800000
	v_lshlrev_b32_e32 v6, 20, v6
	v_and_b32_e32 v11, 0x80000000, v11
	v_lshl_add_u32 v10, v10, 23, v12
	v_or3_b32 v6, v11, v10, v6
.LBB59_936:
	s_or_b64 exec, exec, s[6:7]
	s_nop 0
	v_mfma_f32_16x16x4f32 a[0:3], v2, v6, a[0:3]
	v_lshrrev_b32_e32 v6, 8, v7
	s_movk_i32 s4, 0x7f
	v_cmp_gt_i16_sdwa s[6:7], v6, s4 src0_sel:BYTE_0 src1_sel:DWORD
	s_mov_b64 s[4:5], 0
                                        ; implicit-def: $sgpr10
	s_and_saveexec_b64 s[8:9], s[6:7]
	s_xor_b64 s[6:7], exec, s[8:9]
	s_cbranch_execnz .LBB59_2985
; %bb.937:
	s_or_saveexec_b64 s[6:7], s[6:7]
	v_mov_b32_e32 v2, s10
	s_xor_b64 exec, exec, s[6:7]
	s_cbranch_execnz .LBB59_2988
.LBB59_938:
	s_or_b64 exec, exec, s[6:7]
	s_and_saveexec_b64 s[6:7], s[4:5]
	s_cbranch_execz .LBB59_940
.LBB59_939:
	v_bfe_u32 v2, v7, 8, 3
	v_ffbh_u32_e32 v11, v2
	v_min_u32_e32 v11, 32, v11
	v_lshrrev_b16_e32 v10, 3, v6
	v_subrev_u32_e32 v12, 28, v11
	v_and_b32_e32 v10, 15, v10
	v_lshlrev_b32_e32 v6, v12, v6
	v_sub_u32_e32 v11, 29, v11
	v_and_b32_e32 v6, 7, v6
	v_cmp_eq_u16_e32 vcc, 0, v10
	v_cndmask_b32_e32 v2, v2, v6, vcc
	v_cndmask_b32_e32 v6, v10, v11, vcc
	v_lshlrev_b32_e32 v10, 16, v7
	v_mov_b32_e32 v11, 0x3b800000
	v_lshlrev_b32_e32 v2, 20, v2
	v_and_b32_e32 v10, 0x80000000, v10
	v_lshl_add_u32 v6, v6, 23, v11
	v_or3_b32 v2, v10, v6, v2
.LBB59_940:
	s_or_b64 exec, exec, s[6:7]
	v_lshrrev_b32_e32 v6, 8, v3
	s_movk_i32 s4, 0x7f
	v_cmp_gt_i16_sdwa s[6:7], v6, s4 src0_sel:BYTE_0 src1_sel:DWORD
	s_mov_b64 s[4:5], 0
                                        ; implicit-def: $sgpr10
	s_and_saveexec_b64 s[8:9], s[6:7]
	s_xor_b64 s[6:7], exec, s[8:9]
	s_cbranch_execnz .LBB59_2989
; %bb.941:
	s_or_saveexec_b64 s[6:7], s[6:7]
	v_mov_b32_e32 v10, s10
	s_xor_b64 exec, exec, s[6:7]
	s_cbranch_execnz .LBB59_2992
.LBB59_942:
	s_or_b64 exec, exec, s[6:7]
	s_and_saveexec_b64 s[6:7], s[4:5]
	s_cbranch_execz .LBB59_944
.LBB59_943:
	v_bfe_u32 v10, v3, 8, 3
	v_ffbh_u32_e32 v12, v10
	v_min_u32_e32 v12, 32, v12
	v_lshrrev_b16_e32 v11, 3, v6
	v_subrev_u32_e32 v13, 28, v12
	v_and_b32_e32 v11, 15, v11
	v_lshlrev_b32_e32 v6, v13, v6
	v_sub_u32_e32 v12, 29, v12
	v_and_b32_e32 v6, 7, v6
	v_cmp_eq_u16_e32 vcc, 0, v11
	v_cndmask_b32_e32 v6, v10, v6, vcc
	v_cndmask_b32_e32 v10, v11, v12, vcc
	v_lshlrev_b32_e32 v11, 16, v3
	v_mov_b32_e32 v12, 0x3b800000
	v_lshlrev_b32_e32 v6, 20, v6
	v_and_b32_e32 v11, 0x80000000, v11
	v_lshl_add_u32 v10, v10, 23, v12
	v_or3_b32 v10, v11, v10, v6
.LBB59_944:
	s_or_b64 exec, exec, s[6:7]
	s_nop 0
	v_mfma_f32_16x16x4f32 a[0:3], v2, v10, a[0:3]
	s_movk_i32 s4, 0xff
	v_and_b32_sdwa v6, v7, s4 dst_sel:DWORD dst_unused:UNUSED_PAD src0_sel:WORD_1 src1_sel:DWORD
	s_movk_i32 s4, 0x7f
	v_cmp_lt_i16_e32 vcc, s4, v6
	s_mov_b64 s[4:5], 0
                                        ; implicit-def: $sgpr10
	s_and_saveexec_b64 s[6:7], vcc
	s_xor_b64 s[6:7], exec, s[6:7]
	s_cbranch_execnz .LBB59_2993
; %bb.945:
	s_or_saveexec_b64 s[6:7], s[6:7]
	v_mov_b32_e32 v2, s10
	s_xor_b64 exec, exec, s[6:7]
	s_cbranch_execnz .LBB59_2996
.LBB59_946:
	s_or_b64 exec, exec, s[6:7]
	s_and_saveexec_b64 s[6:7], s[4:5]
	s_cbranch_execz .LBB59_948
.LBB59_947:
	v_bfe_u32 v2, v7, 16, 3
	v_ffbh_u32_e32 v11, v2
	v_min_u32_e32 v11, 32, v11
	v_lshrrev_b32_e32 v6, 19, v7
	v_subrev_u32_e32 v12, 28, v11
	v_and_b32_e32 v6, 15, v6
	v_lshlrev_b32_sdwa v12, v12, v7 dst_sel:DWORD dst_unused:UNUSED_PAD src0_sel:DWORD src1_sel:WORD_1
	v_bfe_u32 v10, v7, 19, 4
	v_sub_u32_e32 v11, 29, v11
	v_and_b32_e32 v12, 7, v12
	v_cmp_eq_u16_e32 vcc, 0, v6
	v_cndmask_b32_e32 v2, v2, v12, vcc
	v_cndmask_b32_e32 v6, v10, v11, vcc
	v_lshlrev_b32_e32 v10, 8, v7
	v_mov_b32_e32 v11, 0x3b800000
	v_lshlrev_b32_e32 v2, 20, v2
	v_and_b32_e32 v10, 0x80000000, v10
	v_lshl_add_u32 v6, v6, 23, v11
	v_or3_b32 v2, v10, v6, v2
.LBB59_948:
	s_or_b64 exec, exec, s[6:7]
	s_movk_i32 s4, 0xff
	v_and_b32_sdwa v6, v3, s4 dst_sel:DWORD dst_unused:UNUSED_PAD src0_sel:WORD_1 src1_sel:DWORD
	s_movk_i32 s4, 0x7f
	v_cmp_lt_i16_e32 vcc, s4, v6
	s_mov_b64 s[4:5], 0
                                        ; implicit-def: $sgpr10
	s_and_saveexec_b64 s[6:7], vcc
	s_xor_b64 s[6:7], exec, s[6:7]
	s_cbranch_execnz .LBB59_2997
; %bb.949:
	s_or_saveexec_b64 s[6:7], s[6:7]
	v_mov_b32_e32 v10, s10
	s_xor_b64 exec, exec, s[6:7]
	s_cbranch_execnz .LBB59_3000
.LBB59_950:
	s_or_b64 exec, exec, s[6:7]
	s_and_saveexec_b64 s[6:7], s[4:5]
	s_cbranch_execz .LBB59_952
.LBB59_951:
	v_bfe_u32 v6, v3, 16, 3
	v_ffbh_u32_e32 v12, v6
	v_min_u32_e32 v12, 32, v12
	v_lshrrev_b32_e32 v10, 19, v3
	v_subrev_u32_e32 v13, 28, v12
	v_and_b32_e32 v10, 15, v10
	v_lshlrev_b32_sdwa v13, v13, v3 dst_sel:DWORD dst_unused:UNUSED_PAD src0_sel:DWORD src1_sel:WORD_1
	v_bfe_u32 v11, v3, 19, 4
	v_sub_u32_e32 v12, 29, v12
	v_and_b32_e32 v13, 7, v13
	v_cmp_eq_u16_e32 vcc, 0, v10
	v_cndmask_b32_e32 v6, v6, v13, vcc
	v_cndmask_b32_e32 v10, v11, v12, vcc
	v_lshlrev_b32_e32 v11, 8, v3
	v_mov_b32_e32 v12, 0x3b800000
	v_lshlrev_b32_e32 v6, 20, v6
	v_and_b32_e32 v11, 0x80000000, v11
	v_lshl_add_u32 v10, v10, 23, v12
	v_or3_b32 v10, v11, v10, v6
.LBB59_952:
	s_or_b64 exec, exec, s[6:7]
	s_nop 0
	v_mfma_f32_16x16x4f32 a[0:3], v2, v10, a[0:3]
	s_movk_i32 s4, 0x7f
	v_cmp_gt_i16_sdwa s[6:7], v7, s4 src0_sel:BYTE_3 src1_sel:DWORD
	s_mov_b64 s[4:5], 0
                                        ; implicit-def: $sgpr10
	s_and_saveexec_b64 s[8:9], s[6:7]
	s_xor_b64 s[6:7], exec, s[8:9]
	s_cbranch_execnz .LBB59_3001
; %bb.953:
	s_or_saveexec_b64 s[6:7], s[6:7]
	v_mov_b32_e32 v2, s10
	s_xor_b64 exec, exec, s[6:7]
	s_cbranch_execnz .LBB59_3004
.LBB59_954:
	s_or_b64 exec, exec, s[6:7]
	s_and_saveexec_b64 s[6:7], s[4:5]
	s_cbranch_execz .LBB59_956
.LBB59_955:
	v_bfe_u32 v2, v7, 24, 3
	v_ffbh_u32_e32 v12, v2
	v_min_u32_e32 v12, 32, v12
	v_lshrrev_b32_e32 v10, 27, v7
	v_subrev_u32_e32 v13, 28, v12
	v_and_b32_e32 v6, 0x80000000, v7
	v_and_b32_e32 v10, 15, v10
	v_bfe_u32 v11, v7, 27, 4
	v_lshlrev_b32_sdwa v7, v13, v7 dst_sel:DWORD dst_unused:UNUSED_PAD src0_sel:DWORD src1_sel:BYTE_3
	v_sub_u32_e32 v12, 29, v12
	v_and_b32_e32 v7, 7, v7
	v_cmp_eq_u16_e32 vcc, 0, v10
	v_cndmask_b32_e32 v2, v2, v7, vcc
	v_cndmask_b32_e32 v7, v11, v12, vcc
	v_mov_b32_e32 v10, 0x3b800000
	v_lshlrev_b32_e32 v2, 20, v2
	v_lshl_add_u32 v7, v7, 23, v10
	v_or3_b32 v2, v6, v7, v2
.LBB59_956:
	s_or_b64 exec, exec, s[6:7]
	s_movk_i32 s4, 0x7f
	v_cmp_gt_i16_sdwa s[6:7], v3, s4 src0_sel:BYTE_3 src1_sel:DWORD
	s_mov_b64 s[4:5], 0
                                        ; implicit-def: $sgpr10
	s_and_saveexec_b64 s[8:9], s[6:7]
	s_xor_b64 s[6:7], exec, s[8:9]
	s_cbranch_execnz .LBB59_3005
; %bb.957:
	s_or_saveexec_b64 s[6:7], s[6:7]
	v_mov_b32_e32 v6, s10
	s_xor_b64 exec, exec, s[6:7]
	s_cbranch_execnz .LBB59_3008
.LBB59_958:
	s_or_b64 exec, exec, s[6:7]
	s_and_saveexec_b64 s[6:7], s[4:5]
	s_cbranch_execz .LBB59_960
.LBB59_959:
	v_bfe_u32 v6, v3, 24, 3
	v_ffbh_u32_e32 v12, v6
	v_min_u32_e32 v12, 32, v12
	v_lshrrev_b32_e32 v10, 27, v3
	v_subrev_u32_e32 v13, 28, v12
	v_and_b32_e32 v7, 0x80000000, v3
	v_and_b32_e32 v10, 15, v10
	v_bfe_u32 v11, v3, 27, 4
	v_lshlrev_b32_sdwa v3, v13, v3 dst_sel:DWORD dst_unused:UNUSED_PAD src0_sel:DWORD src1_sel:BYTE_3
	v_sub_u32_e32 v12, 29, v12
	v_and_b32_e32 v3, 7, v3
	v_cmp_eq_u16_e32 vcc, 0, v10
	v_cndmask_b32_e32 v3, v6, v3, vcc
	v_cndmask_b32_e32 v6, v11, v12, vcc
	v_mov_b32_e32 v10, 0x3b800000
	v_lshlrev_b32_e32 v3, 20, v3
	v_lshl_add_u32 v6, v6, 23, v10
	v_or3_b32 v6, v7, v6, v3
.LBB59_960:
	s_or_b64 exec, exec, s[6:7]
	s_nop 0
	v_mfma_f32_16x16x4f32 a[0:3], v2, v6, a[0:3]
	s_movk_i32 s4, 0x7f
	v_cmp_gt_i16_sdwa s[6:7], v8, s4 src0_sel:BYTE_0 src1_sel:DWORD
	s_mov_b64 s[4:5], 0
                                        ; implicit-def: $sgpr10
	s_and_saveexec_b64 s[8:9], s[6:7]
	s_xor_b64 s[6:7], exec, s[8:9]
	s_cbranch_execnz .LBB59_3009
; %bb.961:
	s_or_saveexec_b64 s[6:7], s[6:7]
	v_mov_b32_e32 v2, s10
	s_xor_b64 exec, exec, s[6:7]
	s_cbranch_execnz .LBB59_3012
.LBB59_962:
	s_or_b64 exec, exec, s[6:7]
	s_and_saveexec_b64 s[6:7], s[4:5]
	s_cbranch_execz .LBB59_964
.LBB59_963:
	v_and_b32_e32 v2, 7, v8
	v_ffbh_u32_e32 v6, v2
	v_min_u32_e32 v6, 32, v6
	v_lshrrev_b16_e32 v3, 3, v8
	v_subrev_u32_e32 v7, 28, v6
	v_and_b32_e32 v3, 15, v3
	v_lshlrev_b32_e32 v7, v7, v8
	v_sub_u32_e32 v6, 29, v6
	v_and_b32_e32 v7, 7, v7
	v_cmp_eq_u16_e32 vcc, 0, v3
	v_cndmask_b32_e32 v2, v2, v7, vcc
	v_cndmask_b32_e32 v3, v3, v6, vcc
	v_lshlrev_b32_e32 v6, 24, v8
	v_mov_b32_e32 v7, 0x3b800000
	v_lshlrev_b32_e32 v2, 20, v2
	v_and_b32_e32 v6, 0x80000000, v6
	v_lshl_add_u32 v3, v3, 23, v7
	v_or3_b32 v2, v6, v3, v2
.LBB59_964:
	s_or_b64 exec, exec, s[6:7]
	s_movk_i32 s4, 0x7f
	v_cmp_gt_i16_sdwa s[6:7], v4, s4 src0_sel:BYTE_0 src1_sel:DWORD
	s_mov_b64 s[4:5], 0
                                        ; implicit-def: $sgpr10
	s_and_saveexec_b64 s[8:9], s[6:7]
	s_xor_b64 s[6:7], exec, s[8:9]
	s_cbranch_execnz .LBB59_3013
; %bb.965:
	s_or_saveexec_b64 s[6:7], s[6:7]
	v_mov_b32_e32 v3, s10
	s_xor_b64 exec, exec, s[6:7]
	s_cbranch_execnz .LBB59_3016
.LBB59_966:
	s_or_b64 exec, exec, s[6:7]
	s_and_saveexec_b64 s[6:7], s[4:5]
	s_cbranch_execz .LBB59_968
.LBB59_967:
	v_and_b32_e32 v3, 7, v4
	v_ffbh_u32_e32 v7, v3
	v_min_u32_e32 v7, 32, v7
	v_lshrrev_b16_e32 v6, 3, v4
	v_subrev_u32_e32 v10, 28, v7
	v_and_b32_e32 v6, 15, v6
	v_lshlrev_b32_e32 v10, v10, v4
	v_sub_u32_e32 v7, 29, v7
	v_and_b32_e32 v10, 7, v10
	v_cmp_eq_u16_e32 vcc, 0, v6
	v_cndmask_b32_e32 v3, v3, v10, vcc
	v_cndmask_b32_e32 v6, v6, v7, vcc
	v_lshlrev_b32_e32 v7, 24, v4
	v_mov_b32_e32 v10, 0x3b800000
	v_lshlrev_b32_e32 v3, 20, v3
	v_and_b32_e32 v7, 0x80000000, v7
	v_lshl_add_u32 v6, v6, 23, v10
	v_or3_b32 v3, v7, v6, v3
.LBB59_968:
	s_or_b64 exec, exec, s[6:7]
	s_nop 0
	v_mfma_f32_16x16x4f32 a[0:3], v2, v3, a[0:3]
	v_lshrrev_b32_e32 v3, 8, v8
	s_movk_i32 s4, 0x7f
	v_cmp_gt_i16_sdwa s[6:7], v3, s4 src0_sel:BYTE_0 src1_sel:DWORD
	s_mov_b64 s[4:5], 0
                                        ; implicit-def: $sgpr10
	s_and_saveexec_b64 s[8:9], s[6:7]
	s_xor_b64 s[6:7], exec, s[8:9]
	s_cbranch_execnz .LBB59_3017
; %bb.969:
	s_or_saveexec_b64 s[6:7], s[6:7]
	v_mov_b32_e32 v2, s10
	s_xor_b64 exec, exec, s[6:7]
	s_cbranch_execnz .LBB59_3020
.LBB59_970:
	s_or_b64 exec, exec, s[6:7]
	s_and_saveexec_b64 s[6:7], s[4:5]
	s_cbranch_execz .LBB59_972
.LBB59_971:
	v_bfe_u32 v2, v8, 8, 3
	v_ffbh_u32_e32 v7, v2
	v_min_u32_e32 v7, 32, v7
	v_lshrrev_b16_e32 v6, 3, v3
	v_subrev_u32_e32 v10, 28, v7
	v_and_b32_e32 v6, 15, v6
	v_lshlrev_b32_e32 v3, v10, v3
	v_sub_u32_e32 v7, 29, v7
	v_and_b32_e32 v3, 7, v3
	v_cmp_eq_u16_e32 vcc, 0, v6
	v_cndmask_b32_e32 v2, v2, v3, vcc
	v_cndmask_b32_e32 v3, v6, v7, vcc
	v_lshlrev_b32_e32 v6, 16, v8
	v_mov_b32_e32 v7, 0x3b800000
	v_lshlrev_b32_e32 v2, 20, v2
	v_and_b32_e32 v6, 0x80000000, v6
	v_lshl_add_u32 v3, v3, 23, v7
	v_or3_b32 v2, v6, v3, v2
.LBB59_972:
	s_or_b64 exec, exec, s[6:7]
	v_lshrrev_b32_e32 v3, 8, v4
	s_movk_i32 s4, 0x7f
	v_cmp_gt_i16_sdwa s[6:7], v3, s4 src0_sel:BYTE_0 src1_sel:DWORD
	s_mov_b64 s[4:5], 0
                                        ; implicit-def: $sgpr10
	s_and_saveexec_b64 s[8:9], s[6:7]
	s_xor_b64 s[6:7], exec, s[8:9]
	s_cbranch_execnz .LBB59_3021
; %bb.973:
	s_or_saveexec_b64 s[6:7], s[6:7]
	v_mov_b32_e32 v6, s10
	s_xor_b64 exec, exec, s[6:7]
	s_cbranch_execnz .LBB59_3024
.LBB59_974:
	s_or_b64 exec, exec, s[6:7]
	s_and_saveexec_b64 s[6:7], s[4:5]
	s_cbranch_execz .LBB59_976
.LBB59_975:
	v_bfe_u32 v6, v4, 8, 3
	v_ffbh_u32_e32 v10, v6
	v_min_u32_e32 v10, 32, v10
	v_lshrrev_b16_e32 v7, 3, v3
	v_subrev_u32_e32 v11, 28, v10
	v_and_b32_e32 v7, 15, v7
	v_lshlrev_b32_e32 v3, v11, v3
	v_sub_u32_e32 v10, 29, v10
	v_and_b32_e32 v3, 7, v3
	v_cmp_eq_u16_e32 vcc, 0, v7
	v_cndmask_b32_e32 v3, v6, v3, vcc
	v_cndmask_b32_e32 v6, v7, v10, vcc
	v_lshlrev_b32_e32 v7, 16, v4
	v_mov_b32_e32 v10, 0x3b800000
	v_lshlrev_b32_e32 v3, 20, v3
	v_and_b32_e32 v7, 0x80000000, v7
	v_lshl_add_u32 v6, v6, 23, v10
	v_or3_b32 v6, v7, v6, v3
.LBB59_976:
	s_or_b64 exec, exec, s[6:7]
	s_nop 0
	v_mfma_f32_16x16x4f32 a[0:3], v2, v6, a[0:3]
	s_movk_i32 s4, 0xff
	v_and_b32_sdwa v3, v8, s4 dst_sel:DWORD dst_unused:UNUSED_PAD src0_sel:WORD_1 src1_sel:DWORD
	s_movk_i32 s4, 0x7f
	v_cmp_lt_i16_e32 vcc, s4, v3
	s_mov_b64 s[4:5], 0
                                        ; implicit-def: $sgpr10
	s_and_saveexec_b64 s[6:7], vcc
	s_xor_b64 s[6:7], exec, s[6:7]
	s_cbranch_execnz .LBB59_3025
; %bb.977:
	s_or_saveexec_b64 s[6:7], s[6:7]
	v_mov_b32_e32 v2, s10
	s_xor_b64 exec, exec, s[6:7]
	s_cbranch_execnz .LBB59_3028
.LBB59_978:
	s_or_b64 exec, exec, s[6:7]
	s_and_saveexec_b64 s[6:7], s[4:5]
	s_cbranch_execz .LBB59_980
.LBB59_979:
	v_bfe_u32 v2, v8, 16, 3
	v_ffbh_u32_e32 v7, v2
	v_min_u32_e32 v7, 32, v7
	v_lshrrev_b32_e32 v3, 19, v8
	v_subrev_u32_e32 v10, 28, v7
	v_and_b32_e32 v3, 15, v3
	v_lshlrev_b32_sdwa v10, v10, v8 dst_sel:DWORD dst_unused:UNUSED_PAD src0_sel:DWORD src1_sel:WORD_1
	v_bfe_u32 v6, v8, 19, 4
	v_sub_u32_e32 v7, 29, v7
	v_and_b32_e32 v10, 7, v10
	v_cmp_eq_u16_e32 vcc, 0, v3
	v_cndmask_b32_e32 v2, v2, v10, vcc
	v_cndmask_b32_e32 v3, v6, v7, vcc
	v_lshlrev_b32_e32 v6, 8, v8
	v_mov_b32_e32 v7, 0x3b800000
	v_lshlrev_b32_e32 v2, 20, v2
	v_and_b32_e32 v6, 0x80000000, v6
	v_lshl_add_u32 v3, v3, 23, v7
	v_or3_b32 v2, v6, v3, v2
.LBB59_980:
	s_or_b64 exec, exec, s[6:7]
	s_movk_i32 s4, 0xff
	v_and_b32_sdwa v3, v4, s4 dst_sel:DWORD dst_unused:UNUSED_PAD src0_sel:WORD_1 src1_sel:DWORD
	s_movk_i32 s4, 0x7f
	v_cmp_lt_i16_e32 vcc, s4, v3
	s_mov_b64 s[4:5], 0
                                        ; implicit-def: $sgpr10
	s_and_saveexec_b64 s[6:7], vcc
	s_xor_b64 s[6:7], exec, s[6:7]
	s_cbranch_execnz .LBB59_3029
; %bb.981:
	s_or_saveexec_b64 s[6:7], s[6:7]
	v_mov_b32_e32 v6, s10
	s_xor_b64 exec, exec, s[6:7]
	s_cbranch_execnz .LBB59_3032
.LBB59_982:
	s_or_b64 exec, exec, s[6:7]
	s_and_saveexec_b64 s[6:7], s[4:5]
	s_cbranch_execz .LBB59_984
.LBB59_983:
	v_bfe_u32 v3, v4, 16, 3
	v_ffbh_u32_e32 v10, v3
	v_min_u32_e32 v10, 32, v10
	v_lshrrev_b32_e32 v6, 19, v4
	v_subrev_u32_e32 v11, 28, v10
	v_and_b32_e32 v6, 15, v6
	v_lshlrev_b32_sdwa v11, v11, v4 dst_sel:DWORD dst_unused:UNUSED_PAD src0_sel:DWORD src1_sel:WORD_1
	v_bfe_u32 v7, v4, 19, 4
	v_sub_u32_e32 v10, 29, v10
	v_and_b32_e32 v11, 7, v11
	v_cmp_eq_u16_e32 vcc, 0, v6
	v_cndmask_b32_e32 v3, v3, v11, vcc
	v_cndmask_b32_e32 v6, v7, v10, vcc
	v_lshlrev_b32_e32 v7, 8, v4
	v_mov_b32_e32 v10, 0x3b800000
	v_lshlrev_b32_e32 v3, 20, v3
	v_and_b32_e32 v7, 0x80000000, v7
	v_lshl_add_u32 v6, v6, 23, v10
	v_or3_b32 v6, v7, v6, v3
.LBB59_984:
	s_or_b64 exec, exec, s[6:7]
	s_nop 0
	v_mfma_f32_16x16x4f32 a[0:3], v2, v6, a[0:3]
	s_movk_i32 s4, 0x7f
	v_cmp_gt_i16_sdwa s[6:7], v8, s4 src0_sel:BYTE_3 src1_sel:DWORD
	s_mov_b64 s[4:5], 0
                                        ; implicit-def: $sgpr10
	s_and_saveexec_b64 s[8:9], s[6:7]
	s_xor_b64 s[6:7], exec, s[8:9]
	s_cbranch_execnz .LBB59_3033
; %bb.985:
	s_or_saveexec_b64 s[6:7], s[6:7]
	v_mov_b32_e32 v2, s10
	s_xor_b64 exec, exec, s[6:7]
	s_cbranch_execnz .LBB59_3036
.LBB59_986:
	s_or_b64 exec, exec, s[6:7]
	s_and_saveexec_b64 s[6:7], s[4:5]
	s_cbranch_execz .LBB59_988
.LBB59_987:
	v_bfe_u32 v2, v8, 24, 3
	v_ffbh_u32_e32 v10, v2
	v_min_u32_e32 v10, 32, v10
	v_lshrrev_b32_e32 v6, 27, v8
	v_subrev_u32_e32 v11, 28, v10
	v_and_b32_e32 v3, 0x80000000, v8
	v_and_b32_e32 v6, 15, v6
	v_bfe_u32 v7, v8, 27, 4
	v_lshlrev_b32_sdwa v8, v11, v8 dst_sel:DWORD dst_unused:UNUSED_PAD src0_sel:DWORD src1_sel:BYTE_3
	v_sub_u32_e32 v10, 29, v10
	v_and_b32_e32 v8, 7, v8
	v_cmp_eq_u16_e32 vcc, 0, v6
	v_cndmask_b32_e32 v2, v2, v8, vcc
	v_cndmask_b32_e32 v6, v7, v10, vcc
	v_mov_b32_e32 v7, 0x3b800000
	v_lshlrev_b32_e32 v2, 20, v2
	v_lshl_add_u32 v6, v6, 23, v7
	v_or3_b32 v2, v3, v6, v2
.LBB59_988:
	s_or_b64 exec, exec, s[6:7]
	s_movk_i32 s4, 0x7f
	v_cmp_gt_i16_sdwa s[6:7], v4, s4 src0_sel:BYTE_3 src1_sel:DWORD
	s_mov_b64 s[4:5], 0
                                        ; implicit-def: $sgpr10
	s_and_saveexec_b64 s[8:9], s[6:7]
	s_xor_b64 s[6:7], exec, s[8:9]
	s_cbranch_execnz .LBB59_3037
; %bb.989:
	s_or_saveexec_b64 s[6:7], s[6:7]
	v_mov_b32_e32 v3, s10
	s_xor_b64 exec, exec, s[6:7]
	s_cbranch_execnz .LBB59_3040
.LBB59_990:
	s_or_b64 exec, exec, s[6:7]
	s_and_saveexec_b64 s[6:7], s[4:5]
	s_cbranch_execz .LBB59_992
.LBB59_991:
	v_bfe_u32 v3, v4, 24, 3
	v_ffbh_u32_e32 v10, v3
	v_min_u32_e32 v10, 32, v10
	v_lshrrev_b32_e32 v7, 27, v4
	v_subrev_u32_e32 v11, 28, v10
	v_and_b32_e32 v6, 0x80000000, v4
	v_and_b32_e32 v7, 15, v7
	v_bfe_u32 v8, v4, 27, 4
	v_lshlrev_b32_sdwa v4, v11, v4 dst_sel:DWORD dst_unused:UNUSED_PAD src0_sel:DWORD src1_sel:BYTE_3
	v_sub_u32_e32 v10, 29, v10
	v_and_b32_e32 v4, 7, v4
	v_cmp_eq_u16_e32 vcc, 0, v7
	v_cndmask_b32_e32 v3, v3, v4, vcc
	v_cndmask_b32_e32 v4, v8, v10, vcc
	v_mov_b32_e32 v7, 0x3b800000
	v_lshlrev_b32_e32 v3, 20, v3
	v_lshl_add_u32 v4, v4, 23, v7
	v_or3_b32 v3, v6, v4, v3
.LBB59_992:
	s_or_b64 exec, exec, s[6:7]
	s_nop 0
	v_mfma_f32_16x16x4f32 a[0:3], v2, v3, a[0:3]
	s_movk_i32 s4, 0x7f
	v_cmp_gt_i16_sdwa s[6:7], v9, s4 src0_sel:BYTE_0 src1_sel:DWORD
	s_mov_b64 s[4:5], 0
                                        ; implicit-def: $sgpr10
	s_and_saveexec_b64 s[8:9], s[6:7]
	s_xor_b64 s[6:7], exec, s[8:9]
	s_cbranch_execnz .LBB59_3041
; %bb.993:
	s_or_saveexec_b64 s[6:7], s[6:7]
	v_mov_b32_e32 v2, s10
	s_xor_b64 exec, exec, s[6:7]
	s_cbranch_execnz .LBB59_3044
.LBB59_994:
	s_or_b64 exec, exec, s[6:7]
	s_and_saveexec_b64 s[6:7], s[4:5]
	s_cbranch_execz .LBB59_996
.LBB59_995:
	v_mov_b32_e32 v2, 8
	v_and_b32_e32 v3, 7, v9
	v_lshrrev_b32_sdwa v2, v2, v9 dst_sel:BYTE_1 dst_unused:UNUSED_PAD src0_sel:DWORD src1_sel:DWORD
	v_ffbh_u32_e32 v4, v3
	v_or_b32_sdwa v2, v9, v2 dst_sel:DWORD dst_unused:UNUSED_PAD src0_sel:BYTE_0 src1_sel:DWORD
	v_min_u32_e32 v4, 32, v4
	v_lshrrev_b16_e32 v2, 3, v2
	v_subrev_u32_e32 v6, 28, v4
	v_and_b32_e32 v2, 15, v2
	v_lshlrev_b32_e32 v6, v6, v9
	v_sub_u32_e32 v4, 29, v4
	v_and_b32_e32 v6, 7, v6
	v_cmp_eq_u16_e32 vcc, 0, v2
	v_cndmask_b32_e32 v3, v3, v6, vcc
	v_cndmask_b32_e32 v2, v2, v4, vcc
	v_lshlrev_b32_e32 v4, 24, v9
	v_mov_b32_e32 v6, 0x3b800000
	v_lshlrev_b32_e32 v3, 20, v3
	v_and_b32_e32 v4, 0x80000000, v4
	v_lshl_add_u32 v2, v2, 23, v6
	v_or3_b32 v2, v4, v2, v3
.LBB59_996:
	s_or_b64 exec, exec, s[6:7]
	s_movk_i32 s4, 0x7f
	v_cmp_gt_i16_sdwa s[6:7], v5, s4 src0_sel:BYTE_0 src1_sel:DWORD
	s_mov_b64 s[4:5], 0
                                        ; implicit-def: $sgpr10
	s_and_saveexec_b64 s[8:9], s[6:7]
	s_xor_b64 s[6:7], exec, s[8:9]
	s_cbranch_execnz .LBB59_3045
; %bb.997:
	s_or_saveexec_b64 s[6:7], s[6:7]
	v_mov_b32_e32 v3, s10
	s_xor_b64 exec, exec, s[6:7]
	s_cbranch_execnz .LBB59_3048
.LBB59_998:
	s_or_b64 exec, exec, s[6:7]
	s_and_saveexec_b64 s[6:7], s[4:5]
	s_cbranch_execz .LBB59_1000
.LBB59_999:
	v_mov_b32_e32 v3, 8
	v_and_b32_e32 v4, 7, v5
	v_lshrrev_b32_sdwa v3, v3, v5 dst_sel:BYTE_1 dst_unused:UNUSED_PAD src0_sel:DWORD src1_sel:DWORD
	v_ffbh_u32_e32 v6, v4
	v_or_b32_sdwa v3, v5, v3 dst_sel:DWORD dst_unused:UNUSED_PAD src0_sel:BYTE_0 src1_sel:DWORD
	v_min_u32_e32 v6, 32, v6
	v_lshrrev_b16_e32 v3, 3, v3
	v_subrev_u32_e32 v7, 28, v6
	v_and_b32_e32 v3, 15, v3
	v_lshlrev_b32_e32 v7, v7, v5
	v_sub_u32_e32 v6, 29, v6
	v_and_b32_e32 v7, 7, v7
	v_cmp_eq_u16_e32 vcc, 0, v3
	v_cndmask_b32_e32 v4, v4, v7, vcc
	v_cndmask_b32_e32 v3, v3, v6, vcc
	v_lshlrev_b32_e32 v6, 24, v5
	v_mov_b32_e32 v7, 0x3b800000
	v_lshlrev_b32_e32 v4, 20, v4
	v_and_b32_e32 v6, 0x80000000, v6
	v_lshl_add_u32 v3, v3, 23, v7
	v_or3_b32 v3, v6, v3, v4
.LBB59_1000:
	s_or_b64 exec, exec, s[6:7]
	s_nop 0
	v_mfma_f32_16x16x4f32 a[0:3], v2, v3, a[0:3]
	v_lshrrev_b32_e32 v3, 8, v9
	s_movk_i32 s4, 0x7f
	v_cmp_gt_i16_sdwa s[6:7], v3, s4 src0_sel:BYTE_0 src1_sel:DWORD
	s_mov_b64 s[4:5], 0
                                        ; implicit-def: $sgpr10
	s_and_saveexec_b64 s[8:9], s[6:7]
	s_xor_b64 s[6:7], exec, s[8:9]
	s_cbranch_execnz .LBB59_3049
; %bb.1001:
	s_or_saveexec_b64 s[6:7], s[6:7]
	v_mov_b32_e32 v2, s10
	s_xor_b64 exec, exec, s[6:7]
	s_cbranch_execnz .LBB59_3052
.LBB59_1002:
	s_or_b64 exec, exec, s[6:7]
	s_and_saveexec_b64 s[6:7], s[4:5]
	s_cbranch_execz .LBB59_1004
.LBB59_1003:
	v_bfe_u32 v2, v9, 8, 3
	v_ffbh_u32_e32 v6, v2
	v_min_u32_e32 v6, 32, v6
	v_lshrrev_b16_e32 v4, 3, v3
	v_subrev_u32_e32 v7, 28, v6
	v_and_b32_e32 v4, 15, v4
	v_lshlrev_b32_e32 v3, v7, v3
	v_sub_u32_e32 v6, 29, v6
	v_and_b32_e32 v3, 7, v3
	v_cmp_eq_u16_e32 vcc, 0, v4
	v_cndmask_b32_e32 v2, v2, v3, vcc
	v_cndmask_b32_e32 v3, v4, v6, vcc
	v_lshlrev_b32_e32 v4, 16, v9
	v_mov_b32_e32 v6, 0x3b800000
	v_lshlrev_b32_e32 v2, 20, v2
	v_and_b32_e32 v4, 0x80000000, v4
	v_lshl_add_u32 v3, v3, 23, v6
	v_or3_b32 v2, v4, v3, v2
.LBB59_1004:
	s_or_b64 exec, exec, s[6:7]
	v_lshrrev_b32_e32 v3, 8, v5
	s_movk_i32 s4, 0x7f
	v_cmp_gt_i16_sdwa s[6:7], v3, s4 src0_sel:BYTE_0 src1_sel:DWORD
	s_mov_b64 s[4:5], 0
                                        ; implicit-def: $sgpr10
	s_and_saveexec_b64 s[8:9], s[6:7]
	s_xor_b64 s[6:7], exec, s[8:9]
	s_cbranch_execnz .LBB59_3053
; %bb.1005:
	s_or_saveexec_b64 s[6:7], s[6:7]
	v_mov_b32_e32 v4, s10
	s_xor_b64 exec, exec, s[6:7]
	s_cbranch_execnz .LBB59_3056
.LBB59_1006:
	s_or_b64 exec, exec, s[6:7]
	s_and_saveexec_b64 s[6:7], s[4:5]
	s_cbranch_execz .LBB59_1008
.LBB59_1007:
	v_bfe_u32 v4, v5, 8, 3
	v_ffbh_u32_e32 v7, v4
	v_min_u32_e32 v7, 32, v7
	v_lshrrev_b16_e32 v6, 3, v3
	v_subrev_u32_e32 v8, 28, v7
	v_and_b32_e32 v6, 15, v6
	v_lshlrev_b32_e32 v3, v8, v3
	v_sub_u32_e32 v7, 29, v7
	v_and_b32_e32 v3, 7, v3
	v_cmp_eq_u16_e32 vcc, 0, v6
	v_cndmask_b32_e32 v3, v4, v3, vcc
	v_cndmask_b32_e32 v4, v6, v7, vcc
	v_lshlrev_b32_e32 v6, 16, v5
	v_mov_b32_e32 v7, 0x3b800000
	v_lshlrev_b32_e32 v3, 20, v3
	v_and_b32_e32 v6, 0x80000000, v6
	v_lshl_add_u32 v4, v4, 23, v7
	v_or3_b32 v4, v6, v4, v3
.LBB59_1008:
	s_or_b64 exec, exec, s[6:7]
	s_nop 0
	v_mfma_f32_16x16x4f32 a[0:3], v2, v4, a[0:3]
	s_movk_i32 s4, 0xff
	v_and_b32_sdwa v3, v9, s4 dst_sel:DWORD dst_unused:UNUSED_PAD src0_sel:WORD_1 src1_sel:DWORD
	s_movk_i32 s4, 0x7f
	v_cmp_lt_i16_e32 vcc, s4, v3
	s_mov_b64 s[4:5], 0
                                        ; implicit-def: $sgpr10
	s_and_saveexec_b64 s[6:7], vcc
	s_xor_b64 s[6:7], exec, s[6:7]
	s_cbranch_execnz .LBB59_3057
; %bb.1009:
	s_or_saveexec_b64 s[6:7], s[6:7]
	v_mov_b32_e32 v2, s10
	s_xor_b64 exec, exec, s[6:7]
	s_cbranch_execnz .LBB59_3060
.LBB59_1010:
	s_or_b64 exec, exec, s[6:7]
	s_and_saveexec_b64 s[6:7], s[4:5]
	s_cbranch_execz .LBB59_1012
.LBB59_1011:
	v_bfe_u32 v2, v9, 16, 3
	v_ffbh_u32_e32 v6, v2
	v_min_u32_e32 v6, 32, v6
	v_lshrrev_b32_e32 v3, 19, v9
	v_subrev_u32_e32 v7, 28, v6
	v_and_b32_e32 v3, 15, v3
	v_lshlrev_b32_sdwa v7, v7, v9 dst_sel:DWORD dst_unused:UNUSED_PAD src0_sel:DWORD src1_sel:WORD_1
	v_bfe_u32 v4, v9, 19, 4
	v_sub_u32_e32 v6, 29, v6
	v_and_b32_e32 v7, 7, v7
	v_cmp_eq_u16_e32 vcc, 0, v3
	v_cndmask_b32_e32 v2, v2, v7, vcc
	v_cndmask_b32_e32 v3, v4, v6, vcc
	v_lshlrev_b32_e32 v4, 8, v9
	v_mov_b32_e32 v6, 0x3b800000
	v_lshlrev_b32_e32 v2, 20, v2
	v_and_b32_e32 v4, 0x80000000, v4
	v_lshl_add_u32 v3, v3, 23, v6
	v_or3_b32 v2, v4, v3, v2
.LBB59_1012:
	s_or_b64 exec, exec, s[6:7]
	s_movk_i32 s4, 0xff
	v_and_b32_sdwa v3, v5, s4 dst_sel:DWORD dst_unused:UNUSED_PAD src0_sel:WORD_1 src1_sel:DWORD
	s_movk_i32 s4, 0x7f
	v_cmp_lt_i16_e32 vcc, s4, v3
	s_mov_b64 s[4:5], 0
                                        ; implicit-def: $sgpr10
	s_and_saveexec_b64 s[6:7], vcc
	s_xor_b64 s[6:7], exec, s[6:7]
	s_cbranch_execnz .LBB59_3061
; %bb.1013:
	s_or_saveexec_b64 s[6:7], s[6:7]
	v_mov_b32_e32 v4, s10
	s_xor_b64 exec, exec, s[6:7]
	s_cbranch_execnz .LBB59_3064
.LBB59_1014:
	s_or_b64 exec, exec, s[6:7]
	s_and_saveexec_b64 s[6:7], s[4:5]
	s_cbranch_execz .LBB59_1016
.LBB59_1015:
	v_bfe_u32 v3, v5, 16, 3
	v_ffbh_u32_e32 v7, v3
	v_min_u32_e32 v7, 32, v7
	v_lshrrev_b32_e32 v4, 19, v5
	v_subrev_u32_e32 v8, 28, v7
	v_and_b32_e32 v4, 15, v4
	v_lshlrev_b32_sdwa v8, v8, v5 dst_sel:DWORD dst_unused:UNUSED_PAD src0_sel:DWORD src1_sel:WORD_1
	v_bfe_u32 v6, v5, 19, 4
	v_sub_u32_e32 v7, 29, v7
	v_and_b32_e32 v8, 7, v8
	v_cmp_eq_u16_e32 vcc, 0, v4
	v_cndmask_b32_e32 v3, v3, v8, vcc
	v_cndmask_b32_e32 v4, v6, v7, vcc
	v_lshlrev_b32_e32 v6, 8, v5
	v_mov_b32_e32 v7, 0x3b800000
	v_lshlrev_b32_e32 v3, 20, v3
	v_and_b32_e32 v6, 0x80000000, v6
	v_lshl_add_u32 v4, v4, 23, v7
	v_or3_b32 v4, v6, v4, v3
.LBB59_1016:
	s_or_b64 exec, exec, s[6:7]
	s_nop 0
	v_mfma_f32_16x16x4f32 a[0:3], v2, v4, a[0:3]
	s_movk_i32 s4, 0x7f
	v_cmp_gt_i16_sdwa s[6:7], v9, s4 src0_sel:BYTE_3 src1_sel:DWORD
	s_mov_b64 s[4:5], 0
                                        ; implicit-def: $sgpr10
	s_and_saveexec_b64 s[8:9], s[6:7]
	s_xor_b64 s[6:7], exec, s[8:9]
	s_cbranch_execnz .LBB59_3065
; %bb.1017:
	s_or_saveexec_b64 s[6:7], s[6:7]
	v_mov_b32_e32 v2, s10
	s_xor_b64 exec, exec, s[6:7]
	s_cbranch_execnz .LBB59_3068
.LBB59_1018:
	s_or_b64 exec, exec, s[6:7]
	s_and_saveexec_b64 s[6:7], s[4:5]
	s_cbranch_execz .LBB59_1020
.LBB59_1019:
	v_bfe_u32 v2, v9, 24, 3
	v_ffbh_u32_e32 v7, v2
	v_min_u32_e32 v7, 32, v7
	v_lshrrev_b32_e32 v4, 27, v9
	v_subrev_u32_e32 v8, 28, v7
	v_and_b32_e32 v4, 15, v4
	v_lshlrev_b32_sdwa v8, v8, v9 dst_sel:DWORD dst_unused:UNUSED_PAD src0_sel:DWORD src1_sel:BYTE_3
	v_bfe_u32 v6, v9, 27, 4
	v_sub_u32_e32 v7, 29, v7
	v_and_b32_e32 v8, 7, v8
	v_cmp_eq_u16_e32 vcc, 0, v4
	v_cndmask_b32_e32 v2, v2, v8, vcc
	v_cndmask_b32_e32 v4, v6, v7, vcc
	v_mov_b32_e32 v6, 0x3b800000
	v_and_b32_e32 v3, 0x80000000, v9
	v_lshlrev_b32_e32 v2, 20, v2
	v_lshl_add_u32 v4, v4, 23, v6
	v_or3_b32 v2, v3, v4, v2
.LBB59_1020:
	s_or_b64 exec, exec, s[6:7]
	s_movk_i32 s4, 0x7f
	v_cmp_gt_i16_sdwa s[6:7], v5, s4 src0_sel:BYTE_3 src1_sel:DWORD
	s_mov_b64 s[4:5], 0
                                        ; implicit-def: $sgpr10
	s_and_saveexec_b64 s[8:9], s[6:7]
	s_xor_b64 s[6:7], exec, s[8:9]
	s_cbranch_execnz .LBB59_3069
; %bb.1021:
	s_or_saveexec_b64 s[6:7], s[6:7]
	v_mov_b32_e32 v3, s10
	s_xor_b64 exec, exec, s[6:7]
	s_cbranch_execnz .LBB59_3072
.LBB59_1022:
	s_or_b64 exec, exec, s[6:7]
	s_and_saveexec_b64 s[6:7], s[4:5]
	s_cbranch_execz .LBB59_1024
.LBB59_1023:
	v_bfe_u32 v3, v5, 24, 3
	v_ffbh_u32_e32 v8, v3
	v_min_u32_e32 v8, 32, v8
	v_lshrrev_b32_e32 v6, 27, v5
	v_subrev_u32_e32 v9, 28, v8
	v_and_b32_e32 v4, 0x80000000, v5
	v_and_b32_e32 v6, 15, v6
	v_bfe_u32 v7, v5, 27, 4
	v_lshlrev_b32_sdwa v5, v9, v5 dst_sel:DWORD dst_unused:UNUSED_PAD src0_sel:DWORD src1_sel:BYTE_3
	v_sub_u32_e32 v8, 29, v8
	v_and_b32_e32 v5, 7, v5
	v_cmp_eq_u16_e32 vcc, 0, v6
	v_cndmask_b32_e32 v3, v3, v5, vcc
	v_cndmask_b32_e32 v5, v7, v8, vcc
	v_mov_b32_e32 v6, 0x3b800000
	v_lshlrev_b32_e32 v3, 20, v3
	v_lshl_add_u32 v5, v5, 23, v6
	v_or3_b32 v3, v4, v5, v3
.LBB59_1024:
	s_or_b64 exec, exec, s[6:7]
	s_nop 0
	v_mfma_f32_16x16x4f32 a[0:3], v2, v3, a[0:3]
	s_movk_i32 s4, 0x7f
                                        ; implicit-def: $sgpr10
	s_nop 7
	s_nop 1
	flat_store_dwordx4 v[18:19], a[0:3] offset:944
	flat_load_dwordx4 v[20:23], v[0:1] offset:8
	s_nop 0
	flat_load_dwordx2 v[18:19], v[0:1] offset:24
	s_waitcnt vmcnt(0) lgkmcnt(0)
	flat_load_dwordx4 v[14:17], v[20:21] offset:32
	flat_load_dwordx4 v[6:9], v[20:21] offset:48
	;; [unrolled: 1-line block ×4, first 2 shown]
	s_waitcnt vmcnt(0) lgkmcnt(0)
	v_cmp_gt_i16_sdwa s[6:7], v14, s4 src0_sel:BYTE_0 src1_sel:DWORD
	s_mov_b64 s[4:5], 0
	s_and_saveexec_b64 s[8:9], s[6:7]
	s_xor_b64 s[6:7], exec, s[8:9]
	s_cbranch_execnz .LBB59_3073
; %bb.1025:
	s_or_saveexec_b64 s[6:7], s[6:7]
	v_mov_b32_e32 v20, s10
	s_xor_b64 exec, exec, s[6:7]
	s_cbranch_execnz .LBB59_3076
.LBB59_1026:
	s_or_b64 exec, exec, s[6:7]
	s_and_saveexec_b64 s[6:7], s[4:5]
	s_cbranch_execz .LBB59_1028
.LBB59_1027:
	v_and_b32_e32 v20, 7, v14
	v_ffbh_u32_e32 v22, v20
	v_min_u32_e32 v22, 32, v22
	v_lshrrev_b16_e32 v21, 3, v14
	v_subrev_u32_e32 v23, 28, v22
	v_and_b32_e32 v21, 15, v21
	v_lshlrev_b32_e32 v23, v23, v14
	v_sub_u32_e32 v22, 29, v22
	v_and_b32_e32 v23, 7, v23
	v_cmp_eq_u16_e32 vcc, 0, v21
	v_cndmask_b32_e32 v20, v20, v23, vcc
	v_cndmask_b32_e32 v21, v21, v22, vcc
	v_lshlrev_b32_e32 v22, 24, v14
	v_mov_b32_e32 v23, 0x3b800000
	v_lshlrev_b32_e32 v20, 20, v20
	v_and_b32_e32 v22, 0x80000000, v22
	v_lshl_add_u32 v21, v21, 23, v23
	v_or3_b32 v20, v22, v21, v20
.LBB59_1028:
	s_or_b64 exec, exec, s[6:7]
	s_movk_i32 s4, 0x7f
	v_cmp_gt_i16_sdwa s[6:7], v10, s4 src0_sel:BYTE_0 src1_sel:DWORD
	s_mov_b64 s[4:5], 0
                                        ; implicit-def: $sgpr10
	s_and_saveexec_b64 s[8:9], s[6:7]
	s_xor_b64 s[6:7], exec, s[8:9]
	s_cbranch_execnz .LBB59_3077
; %bb.1029:
	s_or_saveexec_b64 s[6:7], s[6:7]
	v_mov_b32_e32 v21, s10
	s_xor_b64 exec, exec, s[6:7]
	s_cbranch_execnz .LBB59_3080
.LBB59_1030:
	s_or_b64 exec, exec, s[6:7]
	s_and_saveexec_b64 s[6:7], s[4:5]
	s_cbranch_execz .LBB59_1032
.LBB59_1031:
	v_and_b32_e32 v21, 7, v10
	v_ffbh_u32_e32 v23, v21
	v_min_u32_e32 v23, 32, v23
	v_lshrrev_b16_e32 v22, 3, v10
	v_subrev_u32_e32 v24, 28, v23
	v_and_b32_e32 v22, 15, v22
	v_lshlrev_b32_e32 v24, v24, v10
	v_sub_u32_e32 v23, 29, v23
	v_and_b32_e32 v24, 7, v24
	v_cmp_eq_u16_e32 vcc, 0, v22
	v_cndmask_b32_e32 v21, v21, v24, vcc
	v_cndmask_b32_e32 v22, v22, v23, vcc
	v_lshlrev_b32_e32 v23, 24, v10
	v_mov_b32_e32 v24, 0x3b800000
	v_lshlrev_b32_e32 v21, 20, v21
	v_and_b32_e32 v23, 0x80000000, v23
	v_lshl_add_u32 v22, v22, 23, v24
	v_or3_b32 v21, v23, v22, v21
.LBB59_1032:
	s_or_b64 exec, exec, s[6:7]
	flat_load_dwordx4 a[0:3], v[18:19] offset:960
	s_movk_i32 s4, 0x7f
                                        ; implicit-def: $sgpr10
	s_waitcnt vmcnt(0) lgkmcnt(0)
	v_mfma_f32_16x16x4f32 a[0:3], v20, v21, a[0:3]
	v_lshrrev_b32_e32 v21, 8, v14
	v_cmp_gt_i16_sdwa s[6:7], v21, s4 src0_sel:BYTE_0 src1_sel:DWORD
	s_mov_b64 s[4:5], 0
	s_and_saveexec_b64 s[8:9], s[6:7]
	s_xor_b64 s[6:7], exec, s[8:9]
	s_cbranch_execnz .LBB59_3081
; %bb.1033:
	s_or_saveexec_b64 s[6:7], s[6:7]
	v_mov_b32_e32 v20, s10
	s_xor_b64 exec, exec, s[6:7]
	s_cbranch_execnz .LBB59_3084
.LBB59_1034:
	s_or_b64 exec, exec, s[6:7]
	s_and_saveexec_b64 s[6:7], s[4:5]
	s_cbranch_execz .LBB59_1036
.LBB59_1035:
	v_bfe_u32 v20, v14, 8, 3
	v_ffbh_u32_e32 v23, v20
	v_min_u32_e32 v23, 32, v23
	v_lshrrev_b16_e32 v22, 3, v21
	v_subrev_u32_e32 v24, 28, v23
	v_and_b32_e32 v22, 15, v22
	v_lshlrev_b32_e32 v21, v24, v21
	v_sub_u32_e32 v23, 29, v23
	v_and_b32_e32 v21, 7, v21
	v_cmp_eq_u16_e32 vcc, 0, v22
	v_cndmask_b32_e32 v20, v20, v21, vcc
	v_cndmask_b32_e32 v21, v22, v23, vcc
	v_lshlrev_b32_e32 v22, 16, v14
	v_mov_b32_e32 v23, 0x3b800000
	v_lshlrev_b32_e32 v20, 20, v20
	v_and_b32_e32 v22, 0x80000000, v22
	v_lshl_add_u32 v21, v21, 23, v23
	v_or3_b32 v20, v22, v21, v20
.LBB59_1036:
	s_or_b64 exec, exec, s[6:7]
	v_lshrrev_b32_e32 v21, 8, v10
	s_movk_i32 s4, 0x7f
	v_cmp_gt_i16_sdwa s[6:7], v21, s4 src0_sel:BYTE_0 src1_sel:DWORD
	s_mov_b64 s[4:5], 0
                                        ; implicit-def: $sgpr10
	s_and_saveexec_b64 s[8:9], s[6:7]
	s_xor_b64 s[6:7], exec, s[8:9]
	s_cbranch_execnz .LBB59_3085
; %bb.1037:
	s_or_saveexec_b64 s[6:7], s[6:7]
	v_mov_b32_e32 v22, s10
	s_xor_b64 exec, exec, s[6:7]
	s_cbranch_execnz .LBB59_3088
.LBB59_1038:
	s_or_b64 exec, exec, s[6:7]
	s_and_saveexec_b64 s[6:7], s[4:5]
	s_cbranch_execz .LBB59_1040
.LBB59_1039:
	v_bfe_u32 v22, v10, 8, 3
	v_ffbh_u32_e32 v24, v22
	v_min_u32_e32 v24, 32, v24
	v_lshrrev_b16_e32 v23, 3, v21
	v_subrev_u32_e32 v25, 28, v24
	v_and_b32_e32 v23, 15, v23
	v_lshlrev_b32_e32 v21, v25, v21
	v_sub_u32_e32 v24, 29, v24
	v_and_b32_e32 v21, 7, v21
	v_cmp_eq_u16_e32 vcc, 0, v23
	v_cndmask_b32_e32 v21, v22, v21, vcc
	v_cndmask_b32_e32 v22, v23, v24, vcc
	v_lshlrev_b32_e32 v23, 16, v10
	v_mov_b32_e32 v24, 0x3b800000
	v_lshlrev_b32_e32 v21, 20, v21
	v_and_b32_e32 v23, 0x80000000, v23
	v_lshl_add_u32 v22, v22, 23, v24
	v_or3_b32 v22, v23, v22, v21
.LBB59_1040:
	s_or_b64 exec, exec, s[6:7]
	s_nop 0
	v_mfma_f32_16x16x4f32 a[0:3], v20, v22, a[0:3]
	s_movk_i32 s4, 0xff
	v_and_b32_sdwa v21, v14, s4 dst_sel:DWORD dst_unused:UNUSED_PAD src0_sel:WORD_1 src1_sel:DWORD
	s_movk_i32 s4, 0x7f
	v_cmp_lt_i16_e32 vcc, s4, v21
	s_mov_b64 s[4:5], 0
                                        ; implicit-def: $sgpr10
	s_and_saveexec_b64 s[6:7], vcc
	s_xor_b64 s[6:7], exec, s[6:7]
	s_cbranch_execnz .LBB59_3089
; %bb.1041:
	s_or_saveexec_b64 s[6:7], s[6:7]
	v_mov_b32_e32 v20, s10
	s_xor_b64 exec, exec, s[6:7]
	s_cbranch_execnz .LBB59_3092
.LBB59_1042:
	s_or_b64 exec, exec, s[6:7]
	s_and_saveexec_b64 s[6:7], s[4:5]
	s_cbranch_execz .LBB59_1044
.LBB59_1043:
	v_bfe_u32 v20, v14, 16, 3
	v_ffbh_u32_e32 v23, v20
	v_min_u32_e32 v23, 32, v23
	v_lshrrev_b32_e32 v21, 19, v14
	v_subrev_u32_e32 v24, 28, v23
	v_and_b32_e32 v21, 15, v21
	v_lshlrev_b32_sdwa v24, v24, v14 dst_sel:DWORD dst_unused:UNUSED_PAD src0_sel:DWORD src1_sel:WORD_1
	v_bfe_u32 v22, v14, 19, 4
	v_sub_u32_e32 v23, 29, v23
	v_and_b32_e32 v24, 7, v24
	v_cmp_eq_u16_e32 vcc, 0, v21
	v_cndmask_b32_e32 v20, v20, v24, vcc
	v_cndmask_b32_e32 v21, v22, v23, vcc
	v_lshlrev_b32_e32 v22, 8, v14
	v_mov_b32_e32 v23, 0x3b800000
	v_lshlrev_b32_e32 v20, 20, v20
	v_and_b32_e32 v22, 0x80000000, v22
	v_lshl_add_u32 v21, v21, 23, v23
	v_or3_b32 v20, v22, v21, v20
.LBB59_1044:
	s_or_b64 exec, exec, s[6:7]
	s_movk_i32 s4, 0xff
	v_and_b32_sdwa v21, v10, s4 dst_sel:DWORD dst_unused:UNUSED_PAD src0_sel:WORD_1 src1_sel:DWORD
	s_movk_i32 s4, 0x7f
	v_cmp_lt_i16_e32 vcc, s4, v21
	s_mov_b64 s[4:5], 0
                                        ; implicit-def: $sgpr10
	s_and_saveexec_b64 s[6:7], vcc
	s_xor_b64 s[6:7], exec, s[6:7]
	s_cbranch_execnz .LBB59_3093
; %bb.1045:
	s_or_saveexec_b64 s[6:7], s[6:7]
	v_mov_b32_e32 v22, s10
	s_xor_b64 exec, exec, s[6:7]
	s_cbranch_execnz .LBB59_3096
.LBB59_1046:
	s_or_b64 exec, exec, s[6:7]
	s_and_saveexec_b64 s[6:7], s[4:5]
	s_cbranch_execz .LBB59_1048
.LBB59_1047:
	v_bfe_u32 v21, v10, 16, 3
	v_ffbh_u32_e32 v24, v21
	v_min_u32_e32 v24, 32, v24
	v_lshrrev_b32_e32 v22, 19, v10
	v_subrev_u32_e32 v25, 28, v24
	v_and_b32_e32 v22, 15, v22
	v_lshlrev_b32_sdwa v25, v25, v10 dst_sel:DWORD dst_unused:UNUSED_PAD src0_sel:DWORD src1_sel:WORD_1
	v_bfe_u32 v23, v10, 19, 4
	v_sub_u32_e32 v24, 29, v24
	v_and_b32_e32 v25, 7, v25
	v_cmp_eq_u16_e32 vcc, 0, v22
	v_cndmask_b32_e32 v21, v21, v25, vcc
	v_cndmask_b32_e32 v22, v23, v24, vcc
	v_lshlrev_b32_e32 v23, 8, v10
	v_mov_b32_e32 v24, 0x3b800000
	v_lshlrev_b32_e32 v21, 20, v21
	v_and_b32_e32 v23, 0x80000000, v23
	v_lshl_add_u32 v22, v22, 23, v24
	v_or3_b32 v22, v23, v22, v21
.LBB59_1048:
	s_or_b64 exec, exec, s[6:7]
	s_nop 0
	v_mfma_f32_16x16x4f32 a[0:3], v20, v22, a[0:3]
	s_movk_i32 s4, 0x7f
	v_cmp_gt_i16_sdwa s[6:7], v14, s4 src0_sel:BYTE_3 src1_sel:DWORD
	s_mov_b64 s[4:5], 0
                                        ; implicit-def: $sgpr10
	s_and_saveexec_b64 s[8:9], s[6:7]
	s_xor_b64 s[6:7], exec, s[8:9]
	s_cbranch_execnz .LBB59_3097
; %bb.1049:
	s_or_saveexec_b64 s[6:7], s[6:7]
	v_mov_b32_e32 v20, s10
	s_xor_b64 exec, exec, s[6:7]
	s_cbranch_execnz .LBB59_3100
.LBB59_1050:
	s_or_b64 exec, exec, s[6:7]
	s_and_saveexec_b64 s[6:7], s[4:5]
	s_cbranch_execz .LBB59_1052
.LBB59_1051:
	v_bfe_u32 v20, v14, 24, 3
	v_ffbh_u32_e32 v24, v20
	v_min_u32_e32 v24, 32, v24
	v_lshrrev_b32_e32 v22, 27, v14
	v_subrev_u32_e32 v25, 28, v24
	v_and_b32_e32 v21, 0x80000000, v14
	v_and_b32_e32 v22, 15, v22
	v_bfe_u32 v23, v14, 27, 4
	v_lshlrev_b32_sdwa v14, v25, v14 dst_sel:DWORD dst_unused:UNUSED_PAD src0_sel:DWORD src1_sel:BYTE_3
	v_sub_u32_e32 v24, 29, v24
	v_and_b32_e32 v14, 7, v14
	v_cmp_eq_u16_e32 vcc, 0, v22
	v_cndmask_b32_e32 v14, v20, v14, vcc
	v_cndmask_b32_e32 v20, v23, v24, vcc
	v_mov_b32_e32 v22, 0x3b800000
	v_lshlrev_b32_e32 v14, 20, v14
	v_lshl_add_u32 v20, v20, 23, v22
	v_or3_b32 v20, v21, v20, v14
.LBB59_1052:
	s_or_b64 exec, exec, s[6:7]
	s_movk_i32 s4, 0x7f
	v_cmp_gt_i16_sdwa s[6:7], v10, s4 src0_sel:BYTE_3 src1_sel:DWORD
	s_mov_b64 s[4:5], 0
                                        ; implicit-def: $sgpr10
	s_and_saveexec_b64 s[8:9], s[6:7]
	s_xor_b64 s[6:7], exec, s[8:9]
	s_cbranch_execnz .LBB59_3101
; %bb.1053:
	s_or_saveexec_b64 s[6:7], s[6:7]
	v_mov_b32_e32 v14, s10
	s_xor_b64 exec, exec, s[6:7]
	s_cbranch_execnz .LBB59_3104
.LBB59_1054:
	s_or_b64 exec, exec, s[6:7]
	s_and_saveexec_b64 s[6:7], s[4:5]
	s_cbranch_execz .LBB59_1056
.LBB59_1055:
	v_bfe_u32 v14, v10, 24, 3
	v_ffbh_u32_e32 v24, v14
	v_min_u32_e32 v24, 32, v24
	v_lshrrev_b32_e32 v22, 27, v10
	v_subrev_u32_e32 v25, 28, v24
	v_and_b32_e32 v21, 0x80000000, v10
	v_and_b32_e32 v22, 15, v22
	v_bfe_u32 v23, v10, 27, 4
	v_lshlrev_b32_sdwa v10, v25, v10 dst_sel:DWORD dst_unused:UNUSED_PAD src0_sel:DWORD src1_sel:BYTE_3
	v_sub_u32_e32 v24, 29, v24
	v_and_b32_e32 v10, 7, v10
	v_cmp_eq_u16_e32 vcc, 0, v22
	v_cndmask_b32_e32 v10, v14, v10, vcc
	v_cndmask_b32_e32 v14, v23, v24, vcc
	v_mov_b32_e32 v22, 0x3b800000
	v_lshlrev_b32_e32 v10, 20, v10
	v_lshl_add_u32 v14, v14, 23, v22
	v_or3_b32 v14, v21, v14, v10
.LBB59_1056:
	s_or_b64 exec, exec, s[6:7]
	s_nop 0
	v_mfma_f32_16x16x4f32 a[0:3], v20, v14, a[0:3]
	s_movk_i32 s4, 0x7f
	v_cmp_gt_i16_sdwa s[6:7], v15, s4 src0_sel:BYTE_0 src1_sel:DWORD
	s_mov_b64 s[4:5], 0
                                        ; implicit-def: $sgpr10
	s_and_saveexec_b64 s[8:9], s[6:7]
	s_xor_b64 s[6:7], exec, s[8:9]
	s_cbranch_execnz .LBB59_3105
; %bb.1057:
	s_or_saveexec_b64 s[6:7], s[6:7]
	v_mov_b32_e32 v10, s10
	s_xor_b64 exec, exec, s[6:7]
	s_cbranch_execnz .LBB59_3108
.LBB59_1058:
	s_or_b64 exec, exec, s[6:7]
	s_and_saveexec_b64 s[6:7], s[4:5]
	s_cbranch_execz .LBB59_1060
.LBB59_1059:
	v_and_b32_e32 v10, 7, v15
	v_ffbh_u32_e32 v20, v10
	v_min_u32_e32 v20, 32, v20
	v_lshrrev_b16_e32 v14, 3, v15
	v_subrev_u32_e32 v21, 28, v20
	v_and_b32_e32 v14, 15, v14
	v_lshlrev_b32_e32 v21, v21, v15
	v_sub_u32_e32 v20, 29, v20
	v_and_b32_e32 v21, 7, v21
	v_cmp_eq_u16_e32 vcc, 0, v14
	v_cndmask_b32_e32 v10, v10, v21, vcc
	v_cndmask_b32_e32 v14, v14, v20, vcc
	v_lshlrev_b32_e32 v20, 24, v15
	v_mov_b32_e32 v21, 0x3b800000
	v_lshlrev_b32_e32 v10, 20, v10
	v_and_b32_e32 v20, 0x80000000, v20
	v_lshl_add_u32 v14, v14, 23, v21
	v_or3_b32 v10, v20, v14, v10
.LBB59_1060:
	s_or_b64 exec, exec, s[6:7]
	s_movk_i32 s4, 0x7f
	v_cmp_gt_i16_sdwa s[6:7], v11, s4 src0_sel:BYTE_0 src1_sel:DWORD
	s_mov_b64 s[4:5], 0
                                        ; implicit-def: $sgpr10
	s_and_saveexec_b64 s[8:9], s[6:7]
	s_xor_b64 s[6:7], exec, s[8:9]
	s_cbranch_execnz .LBB59_3109
; %bb.1061:
	s_or_saveexec_b64 s[6:7], s[6:7]
	v_mov_b32_e32 v14, s10
	s_xor_b64 exec, exec, s[6:7]
	s_cbranch_execnz .LBB59_3112
.LBB59_1062:
	s_or_b64 exec, exec, s[6:7]
	s_and_saveexec_b64 s[6:7], s[4:5]
	s_cbranch_execz .LBB59_1064
.LBB59_1063:
	v_and_b32_e32 v14, 7, v11
	v_ffbh_u32_e32 v21, v14
	v_min_u32_e32 v21, 32, v21
	v_lshrrev_b16_e32 v20, 3, v11
	v_subrev_u32_e32 v22, 28, v21
	v_and_b32_e32 v20, 15, v20
	v_lshlrev_b32_e32 v22, v22, v11
	v_sub_u32_e32 v21, 29, v21
	v_and_b32_e32 v22, 7, v22
	v_cmp_eq_u16_e32 vcc, 0, v20
	v_cndmask_b32_e32 v14, v14, v22, vcc
	v_cndmask_b32_e32 v20, v20, v21, vcc
	v_lshlrev_b32_e32 v21, 24, v11
	v_mov_b32_e32 v22, 0x3b800000
	v_lshlrev_b32_e32 v14, 20, v14
	v_and_b32_e32 v21, 0x80000000, v21
	v_lshl_add_u32 v20, v20, 23, v22
	v_or3_b32 v14, v21, v20, v14
.LBB59_1064:
	s_or_b64 exec, exec, s[6:7]
	s_nop 0
	v_mfma_f32_16x16x4f32 a[0:3], v10, v14, a[0:3]
	v_lshrrev_b32_e32 v14, 8, v15
	s_movk_i32 s4, 0x7f
	v_cmp_gt_i16_sdwa s[6:7], v14, s4 src0_sel:BYTE_0 src1_sel:DWORD
	s_mov_b64 s[4:5], 0
                                        ; implicit-def: $sgpr10
	s_and_saveexec_b64 s[8:9], s[6:7]
	s_xor_b64 s[6:7], exec, s[8:9]
	s_cbranch_execnz .LBB59_3113
; %bb.1065:
	s_or_saveexec_b64 s[6:7], s[6:7]
	v_mov_b32_e32 v10, s10
	s_xor_b64 exec, exec, s[6:7]
	s_cbranch_execnz .LBB59_3116
.LBB59_1066:
	s_or_b64 exec, exec, s[6:7]
	s_and_saveexec_b64 s[6:7], s[4:5]
	s_cbranch_execz .LBB59_1068
.LBB59_1067:
	v_bfe_u32 v10, v15, 8, 3
	v_ffbh_u32_e32 v21, v10
	v_min_u32_e32 v21, 32, v21
	v_lshrrev_b16_e32 v20, 3, v14
	v_subrev_u32_e32 v22, 28, v21
	v_and_b32_e32 v20, 15, v20
	v_lshlrev_b32_e32 v14, v22, v14
	v_sub_u32_e32 v21, 29, v21
	v_and_b32_e32 v14, 7, v14
	v_cmp_eq_u16_e32 vcc, 0, v20
	v_cndmask_b32_e32 v10, v10, v14, vcc
	v_cndmask_b32_e32 v14, v20, v21, vcc
	v_lshlrev_b32_e32 v20, 16, v15
	v_mov_b32_e32 v21, 0x3b800000
	v_lshlrev_b32_e32 v10, 20, v10
	v_and_b32_e32 v20, 0x80000000, v20
	v_lshl_add_u32 v14, v14, 23, v21
	v_or3_b32 v10, v20, v14, v10
.LBB59_1068:
	s_or_b64 exec, exec, s[6:7]
	v_lshrrev_b32_e32 v14, 8, v11
	s_movk_i32 s4, 0x7f
	v_cmp_gt_i16_sdwa s[6:7], v14, s4 src0_sel:BYTE_0 src1_sel:DWORD
	s_mov_b64 s[4:5], 0
                                        ; implicit-def: $sgpr10
	s_and_saveexec_b64 s[8:9], s[6:7]
	s_xor_b64 s[6:7], exec, s[8:9]
	s_cbranch_execnz .LBB59_3117
; %bb.1069:
	s_or_saveexec_b64 s[6:7], s[6:7]
	v_mov_b32_e32 v20, s10
	s_xor_b64 exec, exec, s[6:7]
	s_cbranch_execnz .LBB59_3120
.LBB59_1070:
	s_or_b64 exec, exec, s[6:7]
	s_and_saveexec_b64 s[6:7], s[4:5]
	s_cbranch_execz .LBB59_1072
.LBB59_1071:
	v_bfe_u32 v20, v11, 8, 3
	v_ffbh_u32_e32 v22, v20
	v_min_u32_e32 v22, 32, v22
	v_lshrrev_b16_e32 v21, 3, v14
	v_subrev_u32_e32 v23, 28, v22
	v_and_b32_e32 v21, 15, v21
	v_lshlrev_b32_e32 v14, v23, v14
	v_sub_u32_e32 v22, 29, v22
	v_and_b32_e32 v14, 7, v14
	v_cmp_eq_u16_e32 vcc, 0, v21
	v_cndmask_b32_e32 v14, v20, v14, vcc
	v_cndmask_b32_e32 v20, v21, v22, vcc
	v_lshlrev_b32_e32 v21, 16, v11
	v_mov_b32_e32 v22, 0x3b800000
	v_lshlrev_b32_e32 v14, 20, v14
	v_and_b32_e32 v21, 0x80000000, v21
	v_lshl_add_u32 v20, v20, 23, v22
	v_or3_b32 v20, v21, v20, v14
.LBB59_1072:
	s_or_b64 exec, exec, s[6:7]
	s_nop 0
	v_mfma_f32_16x16x4f32 a[0:3], v10, v20, a[0:3]
	s_movk_i32 s4, 0xff
	v_and_b32_sdwa v14, v15, s4 dst_sel:DWORD dst_unused:UNUSED_PAD src0_sel:WORD_1 src1_sel:DWORD
	s_movk_i32 s4, 0x7f
	v_cmp_lt_i16_e32 vcc, s4, v14
	s_mov_b64 s[4:5], 0
                                        ; implicit-def: $sgpr10
	s_and_saveexec_b64 s[6:7], vcc
	s_xor_b64 s[6:7], exec, s[6:7]
	s_cbranch_execnz .LBB59_3121
; %bb.1073:
	s_or_saveexec_b64 s[6:7], s[6:7]
	v_mov_b32_e32 v10, s10
	s_xor_b64 exec, exec, s[6:7]
	s_cbranch_execnz .LBB59_3124
.LBB59_1074:
	s_or_b64 exec, exec, s[6:7]
	s_and_saveexec_b64 s[6:7], s[4:5]
	s_cbranch_execz .LBB59_1076
.LBB59_1075:
	v_bfe_u32 v10, v15, 16, 3
	v_ffbh_u32_e32 v21, v10
	v_min_u32_e32 v21, 32, v21
	v_lshrrev_b32_e32 v14, 19, v15
	v_subrev_u32_e32 v22, 28, v21
	v_and_b32_e32 v14, 15, v14
	v_lshlrev_b32_sdwa v22, v22, v15 dst_sel:DWORD dst_unused:UNUSED_PAD src0_sel:DWORD src1_sel:WORD_1
	v_bfe_u32 v20, v15, 19, 4
	v_sub_u32_e32 v21, 29, v21
	v_and_b32_e32 v22, 7, v22
	v_cmp_eq_u16_e32 vcc, 0, v14
	v_cndmask_b32_e32 v10, v10, v22, vcc
	v_cndmask_b32_e32 v14, v20, v21, vcc
	v_lshlrev_b32_e32 v20, 8, v15
	v_mov_b32_e32 v21, 0x3b800000
	v_lshlrev_b32_e32 v10, 20, v10
	v_and_b32_e32 v20, 0x80000000, v20
	v_lshl_add_u32 v14, v14, 23, v21
	v_or3_b32 v10, v20, v14, v10
.LBB59_1076:
	s_or_b64 exec, exec, s[6:7]
	s_movk_i32 s4, 0xff
	v_and_b32_sdwa v14, v11, s4 dst_sel:DWORD dst_unused:UNUSED_PAD src0_sel:WORD_1 src1_sel:DWORD
	s_movk_i32 s4, 0x7f
	v_cmp_lt_i16_e32 vcc, s4, v14
	s_mov_b64 s[4:5], 0
                                        ; implicit-def: $sgpr10
	s_and_saveexec_b64 s[6:7], vcc
	s_xor_b64 s[6:7], exec, s[6:7]
	s_cbranch_execnz .LBB59_3125
; %bb.1077:
	s_or_saveexec_b64 s[6:7], s[6:7]
	v_mov_b32_e32 v20, s10
	s_xor_b64 exec, exec, s[6:7]
	s_cbranch_execnz .LBB59_3128
.LBB59_1078:
	s_or_b64 exec, exec, s[6:7]
	s_and_saveexec_b64 s[6:7], s[4:5]
	s_cbranch_execz .LBB59_1080
.LBB59_1079:
	v_bfe_u32 v14, v11, 16, 3
	v_ffbh_u32_e32 v22, v14
	v_min_u32_e32 v22, 32, v22
	v_lshrrev_b32_e32 v20, 19, v11
	v_subrev_u32_e32 v23, 28, v22
	v_and_b32_e32 v20, 15, v20
	v_lshlrev_b32_sdwa v23, v23, v11 dst_sel:DWORD dst_unused:UNUSED_PAD src0_sel:DWORD src1_sel:WORD_1
	v_bfe_u32 v21, v11, 19, 4
	v_sub_u32_e32 v22, 29, v22
	v_and_b32_e32 v23, 7, v23
	v_cmp_eq_u16_e32 vcc, 0, v20
	v_cndmask_b32_e32 v14, v14, v23, vcc
	v_cndmask_b32_e32 v20, v21, v22, vcc
	v_lshlrev_b32_e32 v21, 8, v11
	v_mov_b32_e32 v22, 0x3b800000
	v_lshlrev_b32_e32 v14, 20, v14
	v_and_b32_e32 v21, 0x80000000, v21
	v_lshl_add_u32 v20, v20, 23, v22
	v_or3_b32 v20, v21, v20, v14
.LBB59_1080:
	s_or_b64 exec, exec, s[6:7]
	s_nop 0
	v_mfma_f32_16x16x4f32 a[0:3], v10, v20, a[0:3]
	s_movk_i32 s4, 0x7f
	v_cmp_gt_i16_sdwa s[6:7], v15, s4 src0_sel:BYTE_3 src1_sel:DWORD
	s_mov_b64 s[4:5], 0
                                        ; implicit-def: $sgpr10
	s_and_saveexec_b64 s[8:9], s[6:7]
	s_xor_b64 s[6:7], exec, s[8:9]
	s_cbranch_execnz .LBB59_3129
; %bb.1081:
	s_or_saveexec_b64 s[6:7], s[6:7]
	v_mov_b32_e32 v10, s10
	s_xor_b64 exec, exec, s[6:7]
	s_cbranch_execnz .LBB59_3132
.LBB59_1082:
	s_or_b64 exec, exec, s[6:7]
	s_and_saveexec_b64 s[6:7], s[4:5]
	s_cbranch_execz .LBB59_1084
.LBB59_1083:
	v_bfe_u32 v10, v15, 24, 3
	v_ffbh_u32_e32 v22, v10
	v_min_u32_e32 v22, 32, v22
	v_lshrrev_b32_e32 v20, 27, v15
	v_subrev_u32_e32 v23, 28, v22
	v_and_b32_e32 v14, 0x80000000, v15
	v_and_b32_e32 v20, 15, v20
	v_bfe_u32 v21, v15, 27, 4
	v_lshlrev_b32_sdwa v15, v23, v15 dst_sel:DWORD dst_unused:UNUSED_PAD src0_sel:DWORD src1_sel:BYTE_3
	v_sub_u32_e32 v22, 29, v22
	v_and_b32_e32 v15, 7, v15
	v_cmp_eq_u16_e32 vcc, 0, v20
	v_cndmask_b32_e32 v10, v10, v15, vcc
	v_cndmask_b32_e32 v15, v21, v22, vcc
	v_mov_b32_e32 v20, 0x3b800000
	v_lshlrev_b32_e32 v10, 20, v10
	v_lshl_add_u32 v15, v15, 23, v20
	v_or3_b32 v10, v14, v15, v10
.LBB59_1084:
	s_or_b64 exec, exec, s[6:7]
	s_movk_i32 s4, 0x7f
	v_cmp_gt_i16_sdwa s[6:7], v11, s4 src0_sel:BYTE_3 src1_sel:DWORD
	s_mov_b64 s[4:5], 0
                                        ; implicit-def: $sgpr10
	s_and_saveexec_b64 s[8:9], s[6:7]
	s_xor_b64 s[6:7], exec, s[8:9]
	s_cbranch_execnz .LBB59_3133
; %bb.1085:
	s_or_saveexec_b64 s[6:7], s[6:7]
	v_mov_b32_e32 v14, s10
	s_xor_b64 exec, exec, s[6:7]
	s_cbranch_execnz .LBB59_3136
.LBB59_1086:
	s_or_b64 exec, exec, s[6:7]
	s_and_saveexec_b64 s[6:7], s[4:5]
	s_cbranch_execz .LBB59_1088
.LBB59_1087:
	v_bfe_u32 v14, v11, 24, 3
	v_ffbh_u32_e32 v22, v14
	v_min_u32_e32 v22, 32, v22
	v_lshrrev_b32_e32 v20, 27, v11
	v_subrev_u32_e32 v23, 28, v22
	v_and_b32_e32 v15, 0x80000000, v11
	v_and_b32_e32 v20, 15, v20
	v_bfe_u32 v21, v11, 27, 4
	v_lshlrev_b32_sdwa v11, v23, v11 dst_sel:DWORD dst_unused:UNUSED_PAD src0_sel:DWORD src1_sel:BYTE_3
	v_sub_u32_e32 v22, 29, v22
	v_and_b32_e32 v11, 7, v11
	v_cmp_eq_u16_e32 vcc, 0, v20
	v_cndmask_b32_e32 v11, v14, v11, vcc
	v_cndmask_b32_e32 v14, v21, v22, vcc
	v_mov_b32_e32 v20, 0x3b800000
	v_lshlrev_b32_e32 v11, 20, v11
	v_lshl_add_u32 v14, v14, 23, v20
	v_or3_b32 v14, v15, v14, v11
.LBB59_1088:
	s_or_b64 exec, exec, s[6:7]
	s_nop 0
	v_mfma_f32_16x16x4f32 a[0:3], v10, v14, a[0:3]
	s_movk_i32 s4, 0x7f
	v_cmp_gt_i16_sdwa s[6:7], v16, s4 src0_sel:BYTE_0 src1_sel:DWORD
	s_mov_b64 s[4:5], 0
                                        ; implicit-def: $sgpr10
	s_and_saveexec_b64 s[8:9], s[6:7]
	s_xor_b64 s[6:7], exec, s[8:9]
	s_cbranch_execnz .LBB59_3137
; %bb.1089:
	s_or_saveexec_b64 s[6:7], s[6:7]
	v_mov_b32_e32 v10, s10
	s_xor_b64 exec, exec, s[6:7]
	s_cbranch_execnz .LBB59_3140
.LBB59_1090:
	s_or_b64 exec, exec, s[6:7]
	s_and_saveexec_b64 s[6:7], s[4:5]
	s_cbranch_execz .LBB59_1092
.LBB59_1091:
	v_and_b32_e32 v10, 7, v16
	v_ffbh_u32_e32 v14, v10
	v_min_u32_e32 v14, 32, v14
	v_lshrrev_b16_e32 v11, 3, v16
	v_subrev_u32_e32 v15, 28, v14
	v_and_b32_e32 v11, 15, v11
	v_lshlrev_b32_e32 v15, v15, v16
	v_sub_u32_e32 v14, 29, v14
	v_and_b32_e32 v15, 7, v15
	v_cmp_eq_u16_e32 vcc, 0, v11
	v_cndmask_b32_e32 v10, v10, v15, vcc
	v_cndmask_b32_e32 v11, v11, v14, vcc
	v_lshlrev_b32_e32 v14, 24, v16
	v_mov_b32_e32 v15, 0x3b800000
	v_lshlrev_b32_e32 v10, 20, v10
	v_and_b32_e32 v14, 0x80000000, v14
	v_lshl_add_u32 v11, v11, 23, v15
	v_or3_b32 v10, v14, v11, v10
.LBB59_1092:
	s_or_b64 exec, exec, s[6:7]
	s_movk_i32 s4, 0x7f
	v_cmp_gt_i16_sdwa s[6:7], v12, s4 src0_sel:BYTE_0 src1_sel:DWORD
	s_mov_b64 s[4:5], 0
                                        ; implicit-def: $sgpr10
	s_and_saveexec_b64 s[8:9], s[6:7]
	s_xor_b64 s[6:7], exec, s[8:9]
	s_cbranch_execnz .LBB59_3141
; %bb.1093:
	s_or_saveexec_b64 s[6:7], s[6:7]
	v_mov_b32_e32 v11, s10
	s_xor_b64 exec, exec, s[6:7]
	s_cbranch_execnz .LBB59_3144
.LBB59_1094:
	s_or_b64 exec, exec, s[6:7]
	s_and_saveexec_b64 s[6:7], s[4:5]
	s_cbranch_execz .LBB59_1096
.LBB59_1095:
	v_and_b32_e32 v11, 7, v12
	v_ffbh_u32_e32 v15, v11
	v_min_u32_e32 v15, 32, v15
	v_lshrrev_b16_e32 v14, 3, v12
	v_subrev_u32_e32 v20, 28, v15
	v_and_b32_e32 v14, 15, v14
	v_lshlrev_b32_e32 v20, v20, v12
	v_sub_u32_e32 v15, 29, v15
	v_and_b32_e32 v20, 7, v20
	v_cmp_eq_u16_e32 vcc, 0, v14
	v_cndmask_b32_e32 v11, v11, v20, vcc
	v_cndmask_b32_e32 v14, v14, v15, vcc
	v_lshlrev_b32_e32 v15, 24, v12
	v_mov_b32_e32 v20, 0x3b800000
	v_lshlrev_b32_e32 v11, 20, v11
	v_and_b32_e32 v15, 0x80000000, v15
	v_lshl_add_u32 v14, v14, 23, v20
	v_or3_b32 v11, v15, v14, v11
.LBB59_1096:
	s_or_b64 exec, exec, s[6:7]
	s_nop 0
	v_mfma_f32_16x16x4f32 a[0:3], v10, v11, a[0:3]
	v_lshrrev_b32_e32 v11, 8, v16
	s_movk_i32 s4, 0x7f
	v_cmp_gt_i16_sdwa s[6:7], v11, s4 src0_sel:BYTE_0 src1_sel:DWORD
	s_mov_b64 s[4:5], 0
                                        ; implicit-def: $sgpr10
	s_and_saveexec_b64 s[8:9], s[6:7]
	s_xor_b64 s[6:7], exec, s[8:9]
	s_cbranch_execnz .LBB59_3145
; %bb.1097:
	s_or_saveexec_b64 s[6:7], s[6:7]
	v_mov_b32_e32 v10, s10
	s_xor_b64 exec, exec, s[6:7]
	s_cbranch_execnz .LBB59_3148
.LBB59_1098:
	s_or_b64 exec, exec, s[6:7]
	s_and_saveexec_b64 s[6:7], s[4:5]
	s_cbranch_execz .LBB59_1100
.LBB59_1099:
	v_bfe_u32 v10, v16, 8, 3
	v_ffbh_u32_e32 v15, v10
	v_min_u32_e32 v15, 32, v15
	v_lshrrev_b16_e32 v14, 3, v11
	v_subrev_u32_e32 v20, 28, v15
	v_and_b32_e32 v14, 15, v14
	v_lshlrev_b32_e32 v11, v20, v11
	v_sub_u32_e32 v15, 29, v15
	v_and_b32_e32 v11, 7, v11
	v_cmp_eq_u16_e32 vcc, 0, v14
	v_cndmask_b32_e32 v10, v10, v11, vcc
	v_cndmask_b32_e32 v11, v14, v15, vcc
	v_lshlrev_b32_e32 v14, 16, v16
	v_mov_b32_e32 v15, 0x3b800000
	v_lshlrev_b32_e32 v10, 20, v10
	v_and_b32_e32 v14, 0x80000000, v14
	v_lshl_add_u32 v11, v11, 23, v15
	v_or3_b32 v10, v14, v11, v10
.LBB59_1100:
	s_or_b64 exec, exec, s[6:7]
	v_lshrrev_b32_e32 v11, 8, v12
	s_movk_i32 s4, 0x7f
	v_cmp_gt_i16_sdwa s[6:7], v11, s4 src0_sel:BYTE_0 src1_sel:DWORD
	s_mov_b64 s[4:5], 0
                                        ; implicit-def: $sgpr10
	s_and_saveexec_b64 s[8:9], s[6:7]
	s_xor_b64 s[6:7], exec, s[8:9]
	s_cbranch_execnz .LBB59_3149
; %bb.1101:
	s_or_saveexec_b64 s[6:7], s[6:7]
	v_mov_b32_e32 v14, s10
	s_xor_b64 exec, exec, s[6:7]
	s_cbranch_execnz .LBB59_3152
.LBB59_1102:
	s_or_b64 exec, exec, s[6:7]
	s_and_saveexec_b64 s[6:7], s[4:5]
	s_cbranch_execz .LBB59_1104
.LBB59_1103:
	v_bfe_u32 v14, v12, 8, 3
	v_ffbh_u32_e32 v20, v14
	v_min_u32_e32 v20, 32, v20
	v_lshrrev_b16_e32 v15, 3, v11
	v_subrev_u32_e32 v21, 28, v20
	v_and_b32_e32 v15, 15, v15
	v_lshlrev_b32_e32 v11, v21, v11
	v_sub_u32_e32 v20, 29, v20
	v_and_b32_e32 v11, 7, v11
	v_cmp_eq_u16_e32 vcc, 0, v15
	v_cndmask_b32_e32 v11, v14, v11, vcc
	v_cndmask_b32_e32 v14, v15, v20, vcc
	v_lshlrev_b32_e32 v15, 16, v12
	v_mov_b32_e32 v20, 0x3b800000
	v_lshlrev_b32_e32 v11, 20, v11
	v_and_b32_e32 v15, 0x80000000, v15
	v_lshl_add_u32 v14, v14, 23, v20
	v_or3_b32 v14, v15, v14, v11
.LBB59_1104:
	s_or_b64 exec, exec, s[6:7]
	s_nop 0
	v_mfma_f32_16x16x4f32 a[0:3], v10, v14, a[0:3]
	s_movk_i32 s4, 0xff
	v_and_b32_sdwa v11, v16, s4 dst_sel:DWORD dst_unused:UNUSED_PAD src0_sel:WORD_1 src1_sel:DWORD
	s_movk_i32 s4, 0x7f
	v_cmp_lt_i16_e32 vcc, s4, v11
	s_mov_b64 s[4:5], 0
                                        ; implicit-def: $sgpr10
	s_and_saveexec_b64 s[6:7], vcc
	s_xor_b64 s[6:7], exec, s[6:7]
	s_cbranch_execnz .LBB59_3153
; %bb.1105:
	s_or_saveexec_b64 s[6:7], s[6:7]
	v_mov_b32_e32 v10, s10
	s_xor_b64 exec, exec, s[6:7]
	s_cbranch_execnz .LBB59_3156
.LBB59_1106:
	s_or_b64 exec, exec, s[6:7]
	s_and_saveexec_b64 s[6:7], s[4:5]
	s_cbranch_execz .LBB59_1108
.LBB59_1107:
	v_bfe_u32 v10, v16, 16, 3
	v_ffbh_u32_e32 v15, v10
	v_min_u32_e32 v15, 32, v15
	v_lshrrev_b32_e32 v11, 19, v16
	v_subrev_u32_e32 v20, 28, v15
	v_and_b32_e32 v11, 15, v11
	v_lshlrev_b32_sdwa v20, v20, v16 dst_sel:DWORD dst_unused:UNUSED_PAD src0_sel:DWORD src1_sel:WORD_1
	v_bfe_u32 v14, v16, 19, 4
	v_sub_u32_e32 v15, 29, v15
	v_and_b32_e32 v20, 7, v20
	v_cmp_eq_u16_e32 vcc, 0, v11
	v_cndmask_b32_e32 v10, v10, v20, vcc
	v_cndmask_b32_e32 v11, v14, v15, vcc
	v_lshlrev_b32_e32 v14, 8, v16
	v_mov_b32_e32 v15, 0x3b800000
	v_lshlrev_b32_e32 v10, 20, v10
	v_and_b32_e32 v14, 0x80000000, v14
	v_lshl_add_u32 v11, v11, 23, v15
	v_or3_b32 v10, v14, v11, v10
.LBB59_1108:
	s_or_b64 exec, exec, s[6:7]
	s_movk_i32 s4, 0xff
	v_and_b32_sdwa v11, v12, s4 dst_sel:DWORD dst_unused:UNUSED_PAD src0_sel:WORD_1 src1_sel:DWORD
	s_movk_i32 s4, 0x7f
	v_cmp_lt_i16_e32 vcc, s4, v11
	s_mov_b64 s[4:5], 0
                                        ; implicit-def: $sgpr10
	s_and_saveexec_b64 s[6:7], vcc
	s_xor_b64 s[6:7], exec, s[6:7]
	s_cbranch_execnz .LBB59_3157
; %bb.1109:
	s_or_saveexec_b64 s[6:7], s[6:7]
	v_mov_b32_e32 v14, s10
	s_xor_b64 exec, exec, s[6:7]
	s_cbranch_execnz .LBB59_3160
.LBB59_1110:
	s_or_b64 exec, exec, s[6:7]
	s_and_saveexec_b64 s[6:7], s[4:5]
	s_cbranch_execz .LBB59_1112
.LBB59_1111:
	v_bfe_u32 v11, v12, 16, 3
	v_ffbh_u32_e32 v20, v11
	v_min_u32_e32 v20, 32, v20
	v_lshrrev_b32_e32 v14, 19, v12
	v_subrev_u32_e32 v21, 28, v20
	v_and_b32_e32 v14, 15, v14
	v_lshlrev_b32_sdwa v21, v21, v12 dst_sel:DWORD dst_unused:UNUSED_PAD src0_sel:DWORD src1_sel:WORD_1
	v_bfe_u32 v15, v12, 19, 4
	v_sub_u32_e32 v20, 29, v20
	v_and_b32_e32 v21, 7, v21
	v_cmp_eq_u16_e32 vcc, 0, v14
	v_cndmask_b32_e32 v11, v11, v21, vcc
	v_cndmask_b32_e32 v14, v15, v20, vcc
	v_lshlrev_b32_e32 v15, 8, v12
	v_mov_b32_e32 v20, 0x3b800000
	v_lshlrev_b32_e32 v11, 20, v11
	v_and_b32_e32 v15, 0x80000000, v15
	v_lshl_add_u32 v14, v14, 23, v20
	v_or3_b32 v14, v15, v14, v11
.LBB59_1112:
	s_or_b64 exec, exec, s[6:7]
	s_nop 0
	v_mfma_f32_16x16x4f32 a[0:3], v10, v14, a[0:3]
	s_movk_i32 s4, 0x7f
	v_cmp_gt_i16_sdwa s[6:7], v16, s4 src0_sel:BYTE_3 src1_sel:DWORD
	s_mov_b64 s[4:5], 0
                                        ; implicit-def: $sgpr10
	s_and_saveexec_b64 s[8:9], s[6:7]
	s_xor_b64 s[6:7], exec, s[8:9]
	s_cbranch_execnz .LBB59_3161
; %bb.1113:
	s_or_saveexec_b64 s[6:7], s[6:7]
	v_mov_b32_e32 v10, s10
	s_xor_b64 exec, exec, s[6:7]
	s_cbranch_execnz .LBB59_3164
.LBB59_1114:
	s_or_b64 exec, exec, s[6:7]
	s_and_saveexec_b64 s[6:7], s[4:5]
	s_cbranch_execz .LBB59_1116
.LBB59_1115:
	v_bfe_u32 v10, v16, 24, 3
	v_ffbh_u32_e32 v20, v10
	v_min_u32_e32 v20, 32, v20
	v_lshrrev_b32_e32 v14, 27, v16
	v_subrev_u32_e32 v21, 28, v20
	v_and_b32_e32 v11, 0x80000000, v16
	v_and_b32_e32 v14, 15, v14
	v_bfe_u32 v15, v16, 27, 4
	v_lshlrev_b32_sdwa v16, v21, v16 dst_sel:DWORD dst_unused:UNUSED_PAD src0_sel:DWORD src1_sel:BYTE_3
	v_sub_u32_e32 v20, 29, v20
	v_and_b32_e32 v16, 7, v16
	v_cmp_eq_u16_e32 vcc, 0, v14
	v_cndmask_b32_e32 v10, v10, v16, vcc
	v_cndmask_b32_e32 v14, v15, v20, vcc
	v_mov_b32_e32 v15, 0x3b800000
	v_lshlrev_b32_e32 v10, 20, v10
	v_lshl_add_u32 v14, v14, 23, v15
	v_or3_b32 v10, v11, v14, v10
.LBB59_1116:
	s_or_b64 exec, exec, s[6:7]
	s_movk_i32 s4, 0x7f
	v_cmp_gt_i16_sdwa s[6:7], v12, s4 src0_sel:BYTE_3 src1_sel:DWORD
	s_mov_b64 s[4:5], 0
                                        ; implicit-def: $sgpr10
	s_and_saveexec_b64 s[8:9], s[6:7]
	s_xor_b64 s[6:7], exec, s[8:9]
	s_cbranch_execnz .LBB59_3165
; %bb.1117:
	s_or_saveexec_b64 s[6:7], s[6:7]
	v_mov_b32_e32 v11, s10
	s_xor_b64 exec, exec, s[6:7]
	s_cbranch_execnz .LBB59_3168
.LBB59_1118:
	s_or_b64 exec, exec, s[6:7]
	s_and_saveexec_b64 s[6:7], s[4:5]
	s_cbranch_execz .LBB59_1120
.LBB59_1119:
	v_bfe_u32 v11, v12, 24, 3
	v_ffbh_u32_e32 v20, v11
	v_min_u32_e32 v20, 32, v20
	v_lshrrev_b32_e32 v15, 27, v12
	v_subrev_u32_e32 v21, 28, v20
	v_and_b32_e32 v14, 0x80000000, v12
	v_and_b32_e32 v15, 15, v15
	v_bfe_u32 v16, v12, 27, 4
	v_lshlrev_b32_sdwa v12, v21, v12 dst_sel:DWORD dst_unused:UNUSED_PAD src0_sel:DWORD src1_sel:BYTE_3
	v_sub_u32_e32 v20, 29, v20
	v_and_b32_e32 v12, 7, v12
	v_cmp_eq_u16_e32 vcc, 0, v15
	v_cndmask_b32_e32 v11, v11, v12, vcc
	v_cndmask_b32_e32 v12, v16, v20, vcc
	v_mov_b32_e32 v15, 0x3b800000
	v_lshlrev_b32_e32 v11, 20, v11
	v_lshl_add_u32 v12, v12, 23, v15
	v_or3_b32 v11, v14, v12, v11
.LBB59_1120:
	s_or_b64 exec, exec, s[6:7]
	s_nop 0
	v_mfma_f32_16x16x4f32 a[0:3], v10, v11, a[0:3]
	s_movk_i32 s4, 0x7f
	v_cmp_gt_i16_sdwa s[6:7], v17, s4 src0_sel:BYTE_0 src1_sel:DWORD
	s_mov_b64 s[4:5], 0
                                        ; implicit-def: $sgpr10
	s_and_saveexec_b64 s[8:9], s[6:7]
	s_xor_b64 s[6:7], exec, s[8:9]
	s_cbranch_execnz .LBB59_3169
; %bb.1121:
	s_or_saveexec_b64 s[6:7], s[6:7]
	v_mov_b32_e32 v10, s10
	s_xor_b64 exec, exec, s[6:7]
	s_cbranch_execnz .LBB59_3172
.LBB59_1122:
	s_or_b64 exec, exec, s[6:7]
	s_and_saveexec_b64 s[6:7], s[4:5]
	s_cbranch_execz .LBB59_1124
.LBB59_1123:
	v_and_b32_e32 v10, 7, v17
	v_ffbh_u32_e32 v12, v10
	v_min_u32_e32 v12, 32, v12
	v_lshrrev_b16_e32 v11, 3, v17
	v_subrev_u32_e32 v14, 28, v12
	v_and_b32_e32 v11, 15, v11
	v_lshlrev_b32_e32 v14, v14, v17
	v_sub_u32_e32 v12, 29, v12
	v_and_b32_e32 v14, 7, v14
	v_cmp_eq_u16_e32 vcc, 0, v11
	v_cndmask_b32_e32 v10, v10, v14, vcc
	v_cndmask_b32_e32 v11, v11, v12, vcc
	v_lshlrev_b32_e32 v12, 24, v17
	v_mov_b32_e32 v14, 0x3b800000
	v_lshlrev_b32_e32 v10, 20, v10
	v_and_b32_e32 v12, 0x80000000, v12
	v_lshl_add_u32 v11, v11, 23, v14
	v_or3_b32 v10, v12, v11, v10
.LBB59_1124:
	s_or_b64 exec, exec, s[6:7]
	s_movk_i32 s4, 0x7f
	v_cmp_gt_i16_sdwa s[6:7], v13, s4 src0_sel:BYTE_0 src1_sel:DWORD
	s_mov_b64 s[4:5], 0
                                        ; implicit-def: $sgpr10
	s_and_saveexec_b64 s[8:9], s[6:7]
	s_xor_b64 s[6:7], exec, s[8:9]
	s_cbranch_execnz .LBB59_3173
; %bb.1125:
	s_or_saveexec_b64 s[6:7], s[6:7]
	v_mov_b32_e32 v11, s10
	s_xor_b64 exec, exec, s[6:7]
	s_cbranch_execnz .LBB59_3176
.LBB59_1126:
	s_or_b64 exec, exec, s[6:7]
	s_and_saveexec_b64 s[6:7], s[4:5]
	s_cbranch_execz .LBB59_1128
.LBB59_1127:
	v_and_b32_e32 v11, 7, v13
	v_ffbh_u32_e32 v14, v11
	v_min_u32_e32 v14, 32, v14
	v_lshrrev_b16_e32 v12, 3, v13
	v_subrev_u32_e32 v15, 28, v14
	v_and_b32_e32 v12, 15, v12
	v_lshlrev_b32_e32 v15, v15, v13
	v_sub_u32_e32 v14, 29, v14
	v_and_b32_e32 v15, 7, v15
	v_cmp_eq_u16_e32 vcc, 0, v12
	v_cndmask_b32_e32 v11, v11, v15, vcc
	v_cndmask_b32_e32 v12, v12, v14, vcc
	v_lshlrev_b32_e32 v14, 24, v13
	v_mov_b32_e32 v15, 0x3b800000
	v_lshlrev_b32_e32 v11, 20, v11
	v_and_b32_e32 v14, 0x80000000, v14
	v_lshl_add_u32 v12, v12, 23, v15
	v_or3_b32 v11, v14, v12, v11
.LBB59_1128:
	s_or_b64 exec, exec, s[6:7]
	s_nop 0
	v_mfma_f32_16x16x4f32 a[0:3], v10, v11, a[0:3]
	v_lshrrev_b32_e32 v11, 8, v17
	s_movk_i32 s4, 0x7f
	v_cmp_gt_i16_sdwa s[6:7], v11, s4 src0_sel:BYTE_0 src1_sel:DWORD
	s_mov_b64 s[4:5], 0
                                        ; implicit-def: $sgpr10
	s_and_saveexec_b64 s[8:9], s[6:7]
	s_xor_b64 s[6:7], exec, s[8:9]
	s_cbranch_execnz .LBB59_3177
; %bb.1129:
	s_or_saveexec_b64 s[6:7], s[6:7]
	v_mov_b32_e32 v10, s10
	s_xor_b64 exec, exec, s[6:7]
	s_cbranch_execnz .LBB59_3180
.LBB59_1130:
	s_or_b64 exec, exec, s[6:7]
	s_and_saveexec_b64 s[6:7], s[4:5]
	s_cbranch_execz .LBB59_1132
.LBB59_1131:
	v_bfe_u32 v10, v17, 8, 3
	v_ffbh_u32_e32 v14, v10
	v_min_u32_e32 v14, 32, v14
	v_lshrrev_b16_e32 v12, 3, v11
	v_subrev_u32_e32 v15, 28, v14
	v_and_b32_e32 v12, 15, v12
	v_lshlrev_b32_e32 v11, v15, v11
	v_sub_u32_e32 v14, 29, v14
	v_and_b32_e32 v11, 7, v11
	v_cmp_eq_u16_e32 vcc, 0, v12
	v_cndmask_b32_e32 v10, v10, v11, vcc
	v_cndmask_b32_e32 v11, v12, v14, vcc
	v_lshlrev_b32_e32 v12, 16, v17
	v_mov_b32_e32 v14, 0x3b800000
	v_lshlrev_b32_e32 v10, 20, v10
	v_and_b32_e32 v12, 0x80000000, v12
	v_lshl_add_u32 v11, v11, 23, v14
	v_or3_b32 v10, v12, v11, v10
.LBB59_1132:
	s_or_b64 exec, exec, s[6:7]
	v_lshrrev_b32_e32 v11, 8, v13
	s_movk_i32 s4, 0x7f
	v_cmp_gt_i16_sdwa s[6:7], v11, s4 src0_sel:BYTE_0 src1_sel:DWORD
	s_mov_b64 s[4:5], 0
                                        ; implicit-def: $sgpr10
	s_and_saveexec_b64 s[8:9], s[6:7]
	s_xor_b64 s[6:7], exec, s[8:9]
	s_cbranch_execnz .LBB59_3181
; %bb.1133:
	s_or_saveexec_b64 s[6:7], s[6:7]
	v_mov_b32_e32 v12, s10
	s_xor_b64 exec, exec, s[6:7]
	s_cbranch_execnz .LBB59_3184
.LBB59_1134:
	s_or_b64 exec, exec, s[6:7]
	s_and_saveexec_b64 s[6:7], s[4:5]
	s_cbranch_execz .LBB59_1136
.LBB59_1135:
	v_bfe_u32 v12, v13, 8, 3
	v_ffbh_u32_e32 v15, v12
	v_min_u32_e32 v15, 32, v15
	v_lshrrev_b16_e32 v14, 3, v11
	v_subrev_u32_e32 v16, 28, v15
	v_and_b32_e32 v14, 15, v14
	v_lshlrev_b32_e32 v11, v16, v11
	v_sub_u32_e32 v15, 29, v15
	v_and_b32_e32 v11, 7, v11
	v_cmp_eq_u16_e32 vcc, 0, v14
	v_cndmask_b32_e32 v11, v12, v11, vcc
	v_cndmask_b32_e32 v12, v14, v15, vcc
	v_lshlrev_b32_e32 v14, 16, v13
	v_mov_b32_e32 v15, 0x3b800000
	v_lshlrev_b32_e32 v11, 20, v11
	v_and_b32_e32 v14, 0x80000000, v14
	v_lshl_add_u32 v12, v12, 23, v15
	v_or3_b32 v12, v14, v12, v11
.LBB59_1136:
	s_or_b64 exec, exec, s[6:7]
	s_nop 0
	v_mfma_f32_16x16x4f32 a[0:3], v10, v12, a[0:3]
	s_movk_i32 s4, 0xff
	v_and_b32_sdwa v11, v17, s4 dst_sel:DWORD dst_unused:UNUSED_PAD src0_sel:WORD_1 src1_sel:DWORD
	s_movk_i32 s4, 0x7f
	v_cmp_lt_i16_e32 vcc, s4, v11
	s_mov_b64 s[4:5], 0
                                        ; implicit-def: $sgpr10
	s_and_saveexec_b64 s[6:7], vcc
	s_xor_b64 s[6:7], exec, s[6:7]
	s_cbranch_execnz .LBB59_3185
; %bb.1137:
	s_or_saveexec_b64 s[6:7], s[6:7]
	v_mov_b32_e32 v10, s10
	s_xor_b64 exec, exec, s[6:7]
	s_cbranch_execnz .LBB59_3188
.LBB59_1138:
	s_or_b64 exec, exec, s[6:7]
	s_and_saveexec_b64 s[6:7], s[4:5]
	s_cbranch_execz .LBB59_1140
.LBB59_1139:
	v_bfe_u32 v10, v17, 16, 3
	v_ffbh_u32_e32 v14, v10
	v_min_u32_e32 v14, 32, v14
	v_lshrrev_b32_e32 v11, 19, v17
	v_subrev_u32_e32 v15, 28, v14
	v_and_b32_e32 v11, 15, v11
	v_lshlrev_b32_sdwa v15, v15, v17 dst_sel:DWORD dst_unused:UNUSED_PAD src0_sel:DWORD src1_sel:WORD_1
	v_bfe_u32 v12, v17, 19, 4
	v_sub_u32_e32 v14, 29, v14
	v_and_b32_e32 v15, 7, v15
	v_cmp_eq_u16_e32 vcc, 0, v11
	v_cndmask_b32_e32 v10, v10, v15, vcc
	v_cndmask_b32_e32 v11, v12, v14, vcc
	v_lshlrev_b32_e32 v12, 8, v17
	v_mov_b32_e32 v14, 0x3b800000
	v_lshlrev_b32_e32 v10, 20, v10
	v_and_b32_e32 v12, 0x80000000, v12
	v_lshl_add_u32 v11, v11, 23, v14
	v_or3_b32 v10, v12, v11, v10
.LBB59_1140:
	s_or_b64 exec, exec, s[6:7]
	s_movk_i32 s4, 0xff
	v_and_b32_sdwa v11, v13, s4 dst_sel:DWORD dst_unused:UNUSED_PAD src0_sel:WORD_1 src1_sel:DWORD
	s_movk_i32 s4, 0x7f
	v_cmp_lt_i16_e32 vcc, s4, v11
	s_mov_b64 s[4:5], 0
                                        ; implicit-def: $sgpr10
	s_and_saveexec_b64 s[6:7], vcc
	s_xor_b64 s[6:7], exec, s[6:7]
	s_cbranch_execnz .LBB59_3189
; %bb.1141:
	s_or_saveexec_b64 s[6:7], s[6:7]
	v_mov_b32_e32 v12, s10
	s_xor_b64 exec, exec, s[6:7]
	s_cbranch_execnz .LBB59_3192
.LBB59_1142:
	s_or_b64 exec, exec, s[6:7]
	s_and_saveexec_b64 s[6:7], s[4:5]
	s_cbranch_execz .LBB59_1144
.LBB59_1143:
	v_bfe_u32 v11, v13, 16, 3
	v_ffbh_u32_e32 v15, v11
	v_min_u32_e32 v15, 32, v15
	v_lshrrev_b32_e32 v12, 19, v13
	v_subrev_u32_e32 v16, 28, v15
	v_and_b32_e32 v12, 15, v12
	v_lshlrev_b32_sdwa v16, v16, v13 dst_sel:DWORD dst_unused:UNUSED_PAD src0_sel:DWORD src1_sel:WORD_1
	v_bfe_u32 v14, v13, 19, 4
	v_sub_u32_e32 v15, 29, v15
	v_and_b32_e32 v16, 7, v16
	v_cmp_eq_u16_e32 vcc, 0, v12
	v_cndmask_b32_e32 v11, v11, v16, vcc
	v_cndmask_b32_e32 v12, v14, v15, vcc
	v_lshlrev_b32_e32 v14, 8, v13
	v_mov_b32_e32 v15, 0x3b800000
	v_lshlrev_b32_e32 v11, 20, v11
	v_and_b32_e32 v14, 0x80000000, v14
	v_lshl_add_u32 v12, v12, 23, v15
	v_or3_b32 v12, v14, v12, v11
.LBB59_1144:
	s_or_b64 exec, exec, s[6:7]
	s_nop 0
	v_mfma_f32_16x16x4f32 a[0:3], v10, v12, a[0:3]
	s_movk_i32 s4, 0x7f
	v_cmp_gt_i16_sdwa s[6:7], v17, s4 src0_sel:BYTE_3 src1_sel:DWORD
	s_mov_b64 s[4:5], 0
                                        ; implicit-def: $sgpr10
	s_and_saveexec_b64 s[8:9], s[6:7]
	s_xor_b64 s[6:7], exec, s[8:9]
	s_cbranch_execnz .LBB59_3193
; %bb.1145:
	s_or_saveexec_b64 s[6:7], s[6:7]
	v_mov_b32_e32 v10, s10
	s_xor_b64 exec, exec, s[6:7]
	s_cbranch_execnz .LBB59_3196
.LBB59_1146:
	s_or_b64 exec, exec, s[6:7]
	s_and_saveexec_b64 s[6:7], s[4:5]
	s_cbranch_execz .LBB59_1148
.LBB59_1147:
	v_bfe_u32 v10, v17, 24, 3
	v_ffbh_u32_e32 v15, v10
	v_min_u32_e32 v15, 32, v15
	v_lshrrev_b32_e32 v12, 27, v17
	v_subrev_u32_e32 v16, 28, v15
	v_and_b32_e32 v12, 15, v12
	v_lshlrev_b32_sdwa v16, v16, v17 dst_sel:DWORD dst_unused:UNUSED_PAD src0_sel:DWORD src1_sel:BYTE_3
	v_bfe_u32 v14, v17, 27, 4
	v_sub_u32_e32 v15, 29, v15
	v_and_b32_e32 v16, 7, v16
	v_cmp_eq_u16_e32 vcc, 0, v12
	v_cndmask_b32_e32 v10, v10, v16, vcc
	v_cndmask_b32_e32 v12, v14, v15, vcc
	v_mov_b32_e32 v14, 0x3b800000
	v_and_b32_e32 v11, 0x80000000, v17
	v_lshlrev_b32_e32 v10, 20, v10
	v_lshl_add_u32 v12, v12, 23, v14
	v_or3_b32 v10, v11, v12, v10
.LBB59_1148:
	s_or_b64 exec, exec, s[6:7]
	s_movk_i32 s4, 0x7f
	v_cmp_gt_i16_sdwa s[6:7], v13, s4 src0_sel:BYTE_3 src1_sel:DWORD
	s_mov_b64 s[4:5], 0
                                        ; implicit-def: $sgpr10
	s_and_saveexec_b64 s[8:9], s[6:7]
	s_xor_b64 s[6:7], exec, s[8:9]
	s_cbranch_execnz .LBB59_3197
; %bb.1149:
	s_or_saveexec_b64 s[6:7], s[6:7]
	v_mov_b32_e32 v11, s10
	s_xor_b64 exec, exec, s[6:7]
	s_cbranch_execnz .LBB59_3200
.LBB59_1150:
	s_or_b64 exec, exec, s[6:7]
	s_and_saveexec_b64 s[6:7], s[4:5]
	s_cbranch_execz .LBB59_1152
.LBB59_1151:
	v_bfe_u32 v11, v13, 24, 3
	v_ffbh_u32_e32 v16, v11
	v_min_u32_e32 v16, 32, v16
	v_lshrrev_b32_e32 v14, 27, v13
	v_subrev_u32_e32 v17, 28, v16
	v_and_b32_e32 v12, 0x80000000, v13
	v_and_b32_e32 v14, 15, v14
	v_bfe_u32 v15, v13, 27, 4
	v_lshlrev_b32_sdwa v13, v17, v13 dst_sel:DWORD dst_unused:UNUSED_PAD src0_sel:DWORD src1_sel:BYTE_3
	v_sub_u32_e32 v16, 29, v16
	v_and_b32_e32 v13, 7, v13
	v_cmp_eq_u16_e32 vcc, 0, v14
	v_cndmask_b32_e32 v11, v11, v13, vcc
	v_cndmask_b32_e32 v13, v15, v16, vcc
	v_mov_b32_e32 v14, 0x3b800000
	v_lshlrev_b32_e32 v11, 20, v11
	v_lshl_add_u32 v13, v13, 23, v14
	v_or3_b32 v11, v12, v13, v11
.LBB59_1152:
	s_or_b64 exec, exec, s[6:7]
	s_nop 0
	v_mfma_f32_16x16x4f32 a[0:3], v10, v11, a[0:3]
	s_movk_i32 s4, 0x7f
	v_cmp_gt_i16_sdwa s[6:7], v6, s4 src0_sel:BYTE_0 src1_sel:DWORD
	s_mov_b64 s[4:5], 0
                                        ; implicit-def: $sgpr10
	s_and_saveexec_b64 s[8:9], s[6:7]
	s_xor_b64 s[6:7], exec, s[8:9]
	s_cbranch_execnz .LBB59_3201
; %bb.1153:
	s_or_saveexec_b64 s[6:7], s[6:7]
	v_mov_b32_e32 v10, s10
	s_xor_b64 exec, exec, s[6:7]
	s_cbranch_execnz .LBB59_3204
.LBB59_1154:
	s_or_b64 exec, exec, s[6:7]
	s_and_saveexec_b64 s[6:7], s[4:5]
	s_cbranch_execz .LBB59_1156
.LBB59_1155:
	v_and_b32_e32 v10, 7, v6
	v_ffbh_u32_e32 v12, v10
	v_min_u32_e32 v12, 32, v12
	v_lshrrev_b16_e32 v11, 3, v6
	v_subrev_u32_e32 v13, 28, v12
	v_and_b32_e32 v11, 15, v11
	v_lshlrev_b32_e32 v13, v13, v6
	v_sub_u32_e32 v12, 29, v12
	v_and_b32_e32 v13, 7, v13
	v_cmp_eq_u16_e32 vcc, 0, v11
	v_cndmask_b32_e32 v10, v10, v13, vcc
	v_cndmask_b32_e32 v11, v11, v12, vcc
	v_lshlrev_b32_e32 v12, 24, v6
	v_mov_b32_e32 v13, 0x3b800000
	v_lshlrev_b32_e32 v10, 20, v10
	v_and_b32_e32 v12, 0x80000000, v12
	v_lshl_add_u32 v11, v11, 23, v13
	v_or3_b32 v10, v12, v11, v10
.LBB59_1156:
	s_or_b64 exec, exec, s[6:7]
	s_movk_i32 s4, 0x7f
	v_cmp_gt_i16_sdwa s[6:7], v2, s4 src0_sel:BYTE_0 src1_sel:DWORD
	s_mov_b64 s[4:5], 0
                                        ; implicit-def: $sgpr10
	s_and_saveexec_b64 s[8:9], s[6:7]
	s_xor_b64 s[6:7], exec, s[8:9]
	s_cbranch_execnz .LBB59_3205
; %bb.1157:
	s_or_saveexec_b64 s[6:7], s[6:7]
	v_mov_b32_e32 v11, s10
	s_xor_b64 exec, exec, s[6:7]
	s_cbranch_execnz .LBB59_3208
.LBB59_1158:
	s_or_b64 exec, exec, s[6:7]
	s_and_saveexec_b64 s[6:7], s[4:5]
	s_cbranch_execz .LBB59_1160
.LBB59_1159:
	v_and_b32_e32 v11, 7, v2
	v_ffbh_u32_e32 v13, v11
	v_min_u32_e32 v13, 32, v13
	v_lshrrev_b16_e32 v12, 3, v2
	v_subrev_u32_e32 v14, 28, v13
	v_and_b32_e32 v12, 15, v12
	v_lshlrev_b32_e32 v14, v14, v2
	v_sub_u32_e32 v13, 29, v13
	v_and_b32_e32 v14, 7, v14
	v_cmp_eq_u16_e32 vcc, 0, v12
	v_cndmask_b32_e32 v11, v11, v14, vcc
	v_cndmask_b32_e32 v12, v12, v13, vcc
	v_lshlrev_b32_e32 v13, 24, v2
	v_mov_b32_e32 v14, 0x3b800000
	v_lshlrev_b32_e32 v11, 20, v11
	v_and_b32_e32 v13, 0x80000000, v13
	v_lshl_add_u32 v12, v12, 23, v14
	v_or3_b32 v11, v13, v12, v11
.LBB59_1160:
	s_or_b64 exec, exec, s[6:7]
	s_nop 0
	v_mfma_f32_16x16x4f32 a[0:3], v10, v11, a[0:3]
	v_lshrrev_b32_e32 v11, 8, v6
	s_movk_i32 s4, 0x7f
	v_cmp_gt_i16_sdwa s[6:7], v11, s4 src0_sel:BYTE_0 src1_sel:DWORD
	s_mov_b64 s[4:5], 0
                                        ; implicit-def: $sgpr10
	s_and_saveexec_b64 s[8:9], s[6:7]
	s_xor_b64 s[6:7], exec, s[8:9]
	s_cbranch_execnz .LBB59_3209
; %bb.1161:
	s_or_saveexec_b64 s[6:7], s[6:7]
	v_mov_b32_e32 v10, s10
	s_xor_b64 exec, exec, s[6:7]
	s_cbranch_execnz .LBB59_3212
.LBB59_1162:
	s_or_b64 exec, exec, s[6:7]
	s_and_saveexec_b64 s[6:7], s[4:5]
	s_cbranch_execz .LBB59_1164
.LBB59_1163:
	v_bfe_u32 v10, v6, 8, 3
	v_ffbh_u32_e32 v13, v10
	v_min_u32_e32 v13, 32, v13
	v_lshrrev_b16_e32 v12, 3, v11
	v_subrev_u32_e32 v14, 28, v13
	v_and_b32_e32 v12, 15, v12
	v_lshlrev_b32_e32 v11, v14, v11
	v_sub_u32_e32 v13, 29, v13
	v_and_b32_e32 v11, 7, v11
	v_cmp_eq_u16_e32 vcc, 0, v12
	v_cndmask_b32_e32 v10, v10, v11, vcc
	v_cndmask_b32_e32 v11, v12, v13, vcc
	v_lshlrev_b32_e32 v12, 16, v6
	v_mov_b32_e32 v13, 0x3b800000
	v_lshlrev_b32_e32 v10, 20, v10
	v_and_b32_e32 v12, 0x80000000, v12
	v_lshl_add_u32 v11, v11, 23, v13
	v_or3_b32 v10, v12, v11, v10
.LBB59_1164:
	s_or_b64 exec, exec, s[6:7]
	v_lshrrev_b32_e32 v11, 8, v2
	s_movk_i32 s4, 0x7f
	v_cmp_gt_i16_sdwa s[6:7], v11, s4 src0_sel:BYTE_0 src1_sel:DWORD
	s_mov_b64 s[4:5], 0
                                        ; implicit-def: $sgpr10
	s_and_saveexec_b64 s[8:9], s[6:7]
	s_xor_b64 s[6:7], exec, s[8:9]
	s_cbranch_execnz .LBB59_3213
; %bb.1165:
	s_or_saveexec_b64 s[6:7], s[6:7]
	v_mov_b32_e32 v12, s10
	s_xor_b64 exec, exec, s[6:7]
	s_cbranch_execnz .LBB59_3216
.LBB59_1166:
	s_or_b64 exec, exec, s[6:7]
	s_and_saveexec_b64 s[6:7], s[4:5]
	s_cbranch_execz .LBB59_1168
.LBB59_1167:
	v_bfe_u32 v12, v2, 8, 3
	v_ffbh_u32_e32 v14, v12
	v_min_u32_e32 v14, 32, v14
	v_lshrrev_b16_e32 v13, 3, v11
	v_subrev_u32_e32 v15, 28, v14
	v_and_b32_e32 v13, 15, v13
	v_lshlrev_b32_e32 v11, v15, v11
	v_sub_u32_e32 v14, 29, v14
	v_and_b32_e32 v11, 7, v11
	v_cmp_eq_u16_e32 vcc, 0, v13
	v_cndmask_b32_e32 v11, v12, v11, vcc
	v_cndmask_b32_e32 v12, v13, v14, vcc
	v_lshlrev_b32_e32 v13, 16, v2
	v_mov_b32_e32 v14, 0x3b800000
	v_lshlrev_b32_e32 v11, 20, v11
	v_and_b32_e32 v13, 0x80000000, v13
	v_lshl_add_u32 v12, v12, 23, v14
	v_or3_b32 v12, v13, v12, v11
.LBB59_1168:
	s_or_b64 exec, exec, s[6:7]
	s_nop 0
	v_mfma_f32_16x16x4f32 a[0:3], v10, v12, a[0:3]
	s_movk_i32 s4, 0xff
	v_and_b32_sdwa v11, v6, s4 dst_sel:DWORD dst_unused:UNUSED_PAD src0_sel:WORD_1 src1_sel:DWORD
	s_movk_i32 s4, 0x7f
	v_cmp_lt_i16_e32 vcc, s4, v11
	s_mov_b64 s[4:5], 0
                                        ; implicit-def: $sgpr10
	s_and_saveexec_b64 s[6:7], vcc
	s_xor_b64 s[6:7], exec, s[6:7]
	s_cbranch_execnz .LBB59_3217
; %bb.1169:
	s_or_saveexec_b64 s[6:7], s[6:7]
	v_mov_b32_e32 v10, s10
	s_xor_b64 exec, exec, s[6:7]
	s_cbranch_execnz .LBB59_3220
.LBB59_1170:
	s_or_b64 exec, exec, s[6:7]
	s_and_saveexec_b64 s[6:7], s[4:5]
	s_cbranch_execz .LBB59_1172
.LBB59_1171:
	v_bfe_u32 v10, v6, 16, 3
	v_ffbh_u32_e32 v13, v10
	v_min_u32_e32 v13, 32, v13
	v_lshrrev_b32_e32 v11, 19, v6
	v_subrev_u32_e32 v14, 28, v13
	v_and_b32_e32 v11, 15, v11
	v_lshlrev_b32_sdwa v14, v14, v6 dst_sel:DWORD dst_unused:UNUSED_PAD src0_sel:DWORD src1_sel:WORD_1
	v_bfe_u32 v12, v6, 19, 4
	v_sub_u32_e32 v13, 29, v13
	v_and_b32_e32 v14, 7, v14
	v_cmp_eq_u16_e32 vcc, 0, v11
	v_cndmask_b32_e32 v10, v10, v14, vcc
	v_cndmask_b32_e32 v11, v12, v13, vcc
	v_lshlrev_b32_e32 v12, 8, v6
	v_mov_b32_e32 v13, 0x3b800000
	v_lshlrev_b32_e32 v10, 20, v10
	v_and_b32_e32 v12, 0x80000000, v12
	v_lshl_add_u32 v11, v11, 23, v13
	v_or3_b32 v10, v12, v11, v10
.LBB59_1172:
	s_or_b64 exec, exec, s[6:7]
	s_movk_i32 s4, 0xff
	v_and_b32_sdwa v11, v2, s4 dst_sel:DWORD dst_unused:UNUSED_PAD src0_sel:WORD_1 src1_sel:DWORD
	s_movk_i32 s4, 0x7f
	v_cmp_lt_i16_e32 vcc, s4, v11
	s_mov_b64 s[4:5], 0
                                        ; implicit-def: $sgpr10
	s_and_saveexec_b64 s[6:7], vcc
	s_xor_b64 s[6:7], exec, s[6:7]
	s_cbranch_execnz .LBB59_3221
; %bb.1173:
	s_or_saveexec_b64 s[6:7], s[6:7]
	v_mov_b32_e32 v12, s10
	s_xor_b64 exec, exec, s[6:7]
	s_cbranch_execnz .LBB59_3224
.LBB59_1174:
	s_or_b64 exec, exec, s[6:7]
	s_and_saveexec_b64 s[6:7], s[4:5]
	s_cbranch_execz .LBB59_1176
.LBB59_1175:
	v_bfe_u32 v11, v2, 16, 3
	v_ffbh_u32_e32 v14, v11
	v_min_u32_e32 v14, 32, v14
	v_lshrrev_b32_e32 v12, 19, v2
	v_subrev_u32_e32 v15, 28, v14
	v_and_b32_e32 v12, 15, v12
	v_lshlrev_b32_sdwa v15, v15, v2 dst_sel:DWORD dst_unused:UNUSED_PAD src0_sel:DWORD src1_sel:WORD_1
	v_bfe_u32 v13, v2, 19, 4
	v_sub_u32_e32 v14, 29, v14
	v_and_b32_e32 v15, 7, v15
	v_cmp_eq_u16_e32 vcc, 0, v12
	v_cndmask_b32_e32 v11, v11, v15, vcc
	v_cndmask_b32_e32 v12, v13, v14, vcc
	v_lshlrev_b32_e32 v13, 8, v2
	v_mov_b32_e32 v14, 0x3b800000
	v_lshlrev_b32_e32 v11, 20, v11
	v_and_b32_e32 v13, 0x80000000, v13
	v_lshl_add_u32 v12, v12, 23, v14
	v_or3_b32 v12, v13, v12, v11
.LBB59_1176:
	s_or_b64 exec, exec, s[6:7]
	s_nop 0
	v_mfma_f32_16x16x4f32 a[0:3], v10, v12, a[0:3]
	s_movk_i32 s4, 0x7f
	v_cmp_gt_i16_sdwa s[6:7], v6, s4 src0_sel:BYTE_3 src1_sel:DWORD
	s_mov_b64 s[4:5], 0
                                        ; implicit-def: $sgpr10
	s_and_saveexec_b64 s[8:9], s[6:7]
	s_xor_b64 s[6:7], exec, s[8:9]
	s_cbranch_execnz .LBB59_3225
; %bb.1177:
	s_or_saveexec_b64 s[6:7], s[6:7]
	v_mov_b32_e32 v10, s10
	s_xor_b64 exec, exec, s[6:7]
	s_cbranch_execnz .LBB59_3228
.LBB59_1178:
	s_or_b64 exec, exec, s[6:7]
	s_and_saveexec_b64 s[6:7], s[4:5]
	s_cbranch_execz .LBB59_1180
.LBB59_1179:
	v_bfe_u32 v10, v6, 24, 3
	v_ffbh_u32_e32 v14, v10
	v_min_u32_e32 v14, 32, v14
	v_lshrrev_b32_e32 v12, 27, v6
	v_subrev_u32_e32 v15, 28, v14
	v_and_b32_e32 v11, 0x80000000, v6
	v_and_b32_e32 v12, 15, v12
	v_bfe_u32 v13, v6, 27, 4
	v_lshlrev_b32_sdwa v6, v15, v6 dst_sel:DWORD dst_unused:UNUSED_PAD src0_sel:DWORD src1_sel:BYTE_3
	v_sub_u32_e32 v14, 29, v14
	v_and_b32_e32 v6, 7, v6
	v_cmp_eq_u16_e32 vcc, 0, v12
	v_cndmask_b32_e32 v6, v10, v6, vcc
	v_cndmask_b32_e32 v10, v13, v14, vcc
	v_mov_b32_e32 v12, 0x3b800000
	v_lshlrev_b32_e32 v6, 20, v6
	v_lshl_add_u32 v10, v10, 23, v12
	v_or3_b32 v10, v11, v10, v6
.LBB59_1180:
	s_or_b64 exec, exec, s[6:7]
	s_movk_i32 s4, 0x7f
	v_cmp_gt_i16_sdwa s[6:7], v2, s4 src0_sel:BYTE_3 src1_sel:DWORD
	s_mov_b64 s[4:5], 0
                                        ; implicit-def: $sgpr10
	s_and_saveexec_b64 s[8:9], s[6:7]
	s_xor_b64 s[6:7], exec, s[8:9]
	s_cbranch_execnz .LBB59_3229
; %bb.1181:
	s_or_saveexec_b64 s[6:7], s[6:7]
	v_mov_b32_e32 v6, s10
	s_xor_b64 exec, exec, s[6:7]
	s_cbranch_execnz .LBB59_3232
.LBB59_1182:
	s_or_b64 exec, exec, s[6:7]
	s_and_saveexec_b64 s[6:7], s[4:5]
	s_cbranch_execz .LBB59_1184
.LBB59_1183:
	v_bfe_u32 v6, v2, 24, 3
	v_ffbh_u32_e32 v14, v6
	v_min_u32_e32 v14, 32, v14
	v_lshrrev_b32_e32 v12, 27, v2
	v_subrev_u32_e32 v15, 28, v14
	v_and_b32_e32 v11, 0x80000000, v2
	v_and_b32_e32 v12, 15, v12
	v_bfe_u32 v13, v2, 27, 4
	v_lshlrev_b32_sdwa v2, v15, v2 dst_sel:DWORD dst_unused:UNUSED_PAD src0_sel:DWORD src1_sel:BYTE_3
	v_sub_u32_e32 v14, 29, v14
	v_and_b32_e32 v2, 7, v2
	v_cmp_eq_u16_e32 vcc, 0, v12
	v_cndmask_b32_e32 v2, v6, v2, vcc
	v_cndmask_b32_e32 v6, v13, v14, vcc
	v_mov_b32_e32 v12, 0x3b800000
	v_lshlrev_b32_e32 v2, 20, v2
	v_lshl_add_u32 v6, v6, 23, v12
	v_or3_b32 v6, v11, v6, v2
.LBB59_1184:
	s_or_b64 exec, exec, s[6:7]
	s_nop 0
	v_mfma_f32_16x16x4f32 a[0:3], v10, v6, a[0:3]
	s_movk_i32 s4, 0x7f
	v_cmp_gt_i16_sdwa s[6:7], v7, s4 src0_sel:BYTE_0 src1_sel:DWORD
	s_mov_b64 s[4:5], 0
                                        ; implicit-def: $sgpr10
	s_and_saveexec_b64 s[8:9], s[6:7]
	s_xor_b64 s[6:7], exec, s[8:9]
	s_cbranch_execnz .LBB59_3233
; %bb.1185:
	s_or_saveexec_b64 s[6:7], s[6:7]
	v_mov_b32_e32 v2, s10
	s_xor_b64 exec, exec, s[6:7]
	s_cbranch_execnz .LBB59_3236
.LBB59_1186:
	s_or_b64 exec, exec, s[6:7]
	s_and_saveexec_b64 s[6:7], s[4:5]
	s_cbranch_execz .LBB59_1188
.LBB59_1187:
	v_and_b32_e32 v2, 7, v7
	v_ffbh_u32_e32 v10, v2
	v_min_u32_e32 v10, 32, v10
	v_lshrrev_b16_e32 v6, 3, v7
	v_subrev_u32_e32 v11, 28, v10
	v_and_b32_e32 v6, 15, v6
	v_lshlrev_b32_e32 v11, v11, v7
	v_sub_u32_e32 v10, 29, v10
	v_and_b32_e32 v11, 7, v11
	v_cmp_eq_u16_e32 vcc, 0, v6
	v_cndmask_b32_e32 v2, v2, v11, vcc
	v_cndmask_b32_e32 v6, v6, v10, vcc
	v_lshlrev_b32_e32 v10, 24, v7
	v_mov_b32_e32 v11, 0x3b800000
	v_lshlrev_b32_e32 v2, 20, v2
	v_and_b32_e32 v10, 0x80000000, v10
	v_lshl_add_u32 v6, v6, 23, v11
	v_or3_b32 v2, v10, v6, v2
.LBB59_1188:
	s_or_b64 exec, exec, s[6:7]
	s_movk_i32 s4, 0x7f
	v_cmp_gt_i16_sdwa s[6:7], v3, s4 src0_sel:BYTE_0 src1_sel:DWORD
	s_mov_b64 s[4:5], 0
                                        ; implicit-def: $sgpr10
	s_and_saveexec_b64 s[8:9], s[6:7]
	s_xor_b64 s[6:7], exec, s[8:9]
	s_cbranch_execnz .LBB59_3237
; %bb.1189:
	s_or_saveexec_b64 s[6:7], s[6:7]
	v_mov_b32_e32 v6, s10
	s_xor_b64 exec, exec, s[6:7]
	s_cbranch_execnz .LBB59_3240
.LBB59_1190:
	s_or_b64 exec, exec, s[6:7]
	s_and_saveexec_b64 s[6:7], s[4:5]
	s_cbranch_execz .LBB59_1192
.LBB59_1191:
	v_and_b32_e32 v6, 7, v3
	v_ffbh_u32_e32 v11, v6
	v_min_u32_e32 v11, 32, v11
	v_lshrrev_b16_e32 v10, 3, v3
	v_subrev_u32_e32 v12, 28, v11
	v_and_b32_e32 v10, 15, v10
	v_lshlrev_b32_e32 v12, v12, v3
	v_sub_u32_e32 v11, 29, v11
	v_and_b32_e32 v12, 7, v12
	v_cmp_eq_u16_e32 vcc, 0, v10
	v_cndmask_b32_e32 v6, v6, v12, vcc
	v_cndmask_b32_e32 v10, v10, v11, vcc
	v_lshlrev_b32_e32 v11, 24, v3
	v_mov_b32_e32 v12, 0x3b800000
	v_lshlrev_b32_e32 v6, 20, v6
	v_and_b32_e32 v11, 0x80000000, v11
	v_lshl_add_u32 v10, v10, 23, v12
	v_or3_b32 v6, v11, v10, v6
.LBB59_1192:
	s_or_b64 exec, exec, s[6:7]
	s_nop 0
	v_mfma_f32_16x16x4f32 a[0:3], v2, v6, a[0:3]
	v_lshrrev_b32_e32 v6, 8, v7
	s_movk_i32 s4, 0x7f
	v_cmp_gt_i16_sdwa s[6:7], v6, s4 src0_sel:BYTE_0 src1_sel:DWORD
	s_mov_b64 s[4:5], 0
                                        ; implicit-def: $sgpr10
	s_and_saveexec_b64 s[8:9], s[6:7]
	s_xor_b64 s[6:7], exec, s[8:9]
	s_cbranch_execnz .LBB59_3241
; %bb.1193:
	s_or_saveexec_b64 s[6:7], s[6:7]
	v_mov_b32_e32 v2, s10
	s_xor_b64 exec, exec, s[6:7]
	s_cbranch_execnz .LBB59_3244
.LBB59_1194:
	s_or_b64 exec, exec, s[6:7]
	s_and_saveexec_b64 s[6:7], s[4:5]
	s_cbranch_execz .LBB59_1196
.LBB59_1195:
	v_bfe_u32 v2, v7, 8, 3
	v_ffbh_u32_e32 v11, v2
	v_min_u32_e32 v11, 32, v11
	v_lshrrev_b16_e32 v10, 3, v6
	v_subrev_u32_e32 v12, 28, v11
	v_and_b32_e32 v10, 15, v10
	v_lshlrev_b32_e32 v6, v12, v6
	v_sub_u32_e32 v11, 29, v11
	v_and_b32_e32 v6, 7, v6
	v_cmp_eq_u16_e32 vcc, 0, v10
	v_cndmask_b32_e32 v2, v2, v6, vcc
	v_cndmask_b32_e32 v6, v10, v11, vcc
	v_lshlrev_b32_e32 v10, 16, v7
	v_mov_b32_e32 v11, 0x3b800000
	v_lshlrev_b32_e32 v2, 20, v2
	v_and_b32_e32 v10, 0x80000000, v10
	v_lshl_add_u32 v6, v6, 23, v11
	v_or3_b32 v2, v10, v6, v2
.LBB59_1196:
	s_or_b64 exec, exec, s[6:7]
	v_lshrrev_b32_e32 v6, 8, v3
	s_movk_i32 s4, 0x7f
	v_cmp_gt_i16_sdwa s[6:7], v6, s4 src0_sel:BYTE_0 src1_sel:DWORD
	s_mov_b64 s[4:5], 0
                                        ; implicit-def: $sgpr10
	s_and_saveexec_b64 s[8:9], s[6:7]
	s_xor_b64 s[6:7], exec, s[8:9]
	s_cbranch_execnz .LBB59_3245
; %bb.1197:
	s_or_saveexec_b64 s[6:7], s[6:7]
	v_mov_b32_e32 v10, s10
	s_xor_b64 exec, exec, s[6:7]
	s_cbranch_execnz .LBB59_3248
.LBB59_1198:
	s_or_b64 exec, exec, s[6:7]
	s_and_saveexec_b64 s[6:7], s[4:5]
	s_cbranch_execz .LBB59_1200
.LBB59_1199:
	v_bfe_u32 v10, v3, 8, 3
	v_ffbh_u32_e32 v12, v10
	v_min_u32_e32 v12, 32, v12
	v_lshrrev_b16_e32 v11, 3, v6
	v_subrev_u32_e32 v13, 28, v12
	v_and_b32_e32 v11, 15, v11
	v_lshlrev_b32_e32 v6, v13, v6
	v_sub_u32_e32 v12, 29, v12
	v_and_b32_e32 v6, 7, v6
	v_cmp_eq_u16_e32 vcc, 0, v11
	v_cndmask_b32_e32 v6, v10, v6, vcc
	v_cndmask_b32_e32 v10, v11, v12, vcc
	v_lshlrev_b32_e32 v11, 16, v3
	v_mov_b32_e32 v12, 0x3b800000
	v_lshlrev_b32_e32 v6, 20, v6
	v_and_b32_e32 v11, 0x80000000, v11
	v_lshl_add_u32 v10, v10, 23, v12
	v_or3_b32 v10, v11, v10, v6
.LBB59_1200:
	s_or_b64 exec, exec, s[6:7]
	s_nop 0
	v_mfma_f32_16x16x4f32 a[0:3], v2, v10, a[0:3]
	s_movk_i32 s4, 0xff
	v_and_b32_sdwa v6, v7, s4 dst_sel:DWORD dst_unused:UNUSED_PAD src0_sel:WORD_1 src1_sel:DWORD
	s_movk_i32 s4, 0x7f
	v_cmp_lt_i16_e32 vcc, s4, v6
	s_mov_b64 s[4:5], 0
                                        ; implicit-def: $sgpr10
	s_and_saveexec_b64 s[6:7], vcc
	s_xor_b64 s[6:7], exec, s[6:7]
	s_cbranch_execnz .LBB59_3249
; %bb.1201:
	s_or_saveexec_b64 s[6:7], s[6:7]
	v_mov_b32_e32 v2, s10
	s_xor_b64 exec, exec, s[6:7]
	s_cbranch_execnz .LBB59_3252
.LBB59_1202:
	s_or_b64 exec, exec, s[6:7]
	s_and_saveexec_b64 s[6:7], s[4:5]
	s_cbranch_execz .LBB59_1204
.LBB59_1203:
	v_bfe_u32 v2, v7, 16, 3
	v_ffbh_u32_e32 v11, v2
	v_min_u32_e32 v11, 32, v11
	v_lshrrev_b32_e32 v6, 19, v7
	v_subrev_u32_e32 v12, 28, v11
	v_and_b32_e32 v6, 15, v6
	v_lshlrev_b32_sdwa v12, v12, v7 dst_sel:DWORD dst_unused:UNUSED_PAD src0_sel:DWORD src1_sel:WORD_1
	v_bfe_u32 v10, v7, 19, 4
	v_sub_u32_e32 v11, 29, v11
	v_and_b32_e32 v12, 7, v12
	v_cmp_eq_u16_e32 vcc, 0, v6
	v_cndmask_b32_e32 v2, v2, v12, vcc
	v_cndmask_b32_e32 v6, v10, v11, vcc
	v_lshlrev_b32_e32 v10, 8, v7
	v_mov_b32_e32 v11, 0x3b800000
	v_lshlrev_b32_e32 v2, 20, v2
	v_and_b32_e32 v10, 0x80000000, v10
	v_lshl_add_u32 v6, v6, 23, v11
	v_or3_b32 v2, v10, v6, v2
.LBB59_1204:
	s_or_b64 exec, exec, s[6:7]
	s_movk_i32 s4, 0xff
	v_and_b32_sdwa v6, v3, s4 dst_sel:DWORD dst_unused:UNUSED_PAD src0_sel:WORD_1 src1_sel:DWORD
	s_movk_i32 s4, 0x7f
	v_cmp_lt_i16_e32 vcc, s4, v6
	s_mov_b64 s[4:5], 0
                                        ; implicit-def: $sgpr10
	s_and_saveexec_b64 s[6:7], vcc
	s_xor_b64 s[6:7], exec, s[6:7]
	s_cbranch_execnz .LBB59_3253
; %bb.1205:
	s_or_saveexec_b64 s[6:7], s[6:7]
	v_mov_b32_e32 v10, s10
	s_xor_b64 exec, exec, s[6:7]
	s_cbranch_execnz .LBB59_3256
.LBB59_1206:
	s_or_b64 exec, exec, s[6:7]
	s_and_saveexec_b64 s[6:7], s[4:5]
	s_cbranch_execz .LBB59_1208
.LBB59_1207:
	v_bfe_u32 v6, v3, 16, 3
	v_ffbh_u32_e32 v12, v6
	v_min_u32_e32 v12, 32, v12
	v_lshrrev_b32_e32 v10, 19, v3
	v_subrev_u32_e32 v13, 28, v12
	v_and_b32_e32 v10, 15, v10
	v_lshlrev_b32_sdwa v13, v13, v3 dst_sel:DWORD dst_unused:UNUSED_PAD src0_sel:DWORD src1_sel:WORD_1
	v_bfe_u32 v11, v3, 19, 4
	v_sub_u32_e32 v12, 29, v12
	v_and_b32_e32 v13, 7, v13
	v_cmp_eq_u16_e32 vcc, 0, v10
	v_cndmask_b32_e32 v6, v6, v13, vcc
	v_cndmask_b32_e32 v10, v11, v12, vcc
	v_lshlrev_b32_e32 v11, 8, v3
	v_mov_b32_e32 v12, 0x3b800000
	v_lshlrev_b32_e32 v6, 20, v6
	v_and_b32_e32 v11, 0x80000000, v11
	v_lshl_add_u32 v10, v10, 23, v12
	v_or3_b32 v10, v11, v10, v6
.LBB59_1208:
	s_or_b64 exec, exec, s[6:7]
	s_nop 0
	v_mfma_f32_16x16x4f32 a[0:3], v2, v10, a[0:3]
	s_movk_i32 s4, 0x7f
	v_cmp_gt_i16_sdwa s[6:7], v7, s4 src0_sel:BYTE_3 src1_sel:DWORD
	s_mov_b64 s[4:5], 0
                                        ; implicit-def: $sgpr10
	s_and_saveexec_b64 s[8:9], s[6:7]
	s_xor_b64 s[6:7], exec, s[8:9]
	s_cbranch_execnz .LBB59_3257
; %bb.1209:
	s_or_saveexec_b64 s[6:7], s[6:7]
	v_mov_b32_e32 v2, s10
	s_xor_b64 exec, exec, s[6:7]
	s_cbranch_execnz .LBB59_3260
.LBB59_1210:
	s_or_b64 exec, exec, s[6:7]
	s_and_saveexec_b64 s[6:7], s[4:5]
	s_cbranch_execz .LBB59_1212
.LBB59_1211:
	v_bfe_u32 v2, v7, 24, 3
	v_ffbh_u32_e32 v12, v2
	v_min_u32_e32 v12, 32, v12
	v_lshrrev_b32_e32 v10, 27, v7
	v_subrev_u32_e32 v13, 28, v12
	v_and_b32_e32 v6, 0x80000000, v7
	v_and_b32_e32 v10, 15, v10
	v_bfe_u32 v11, v7, 27, 4
	v_lshlrev_b32_sdwa v7, v13, v7 dst_sel:DWORD dst_unused:UNUSED_PAD src0_sel:DWORD src1_sel:BYTE_3
	v_sub_u32_e32 v12, 29, v12
	v_and_b32_e32 v7, 7, v7
	v_cmp_eq_u16_e32 vcc, 0, v10
	v_cndmask_b32_e32 v2, v2, v7, vcc
	v_cndmask_b32_e32 v7, v11, v12, vcc
	v_mov_b32_e32 v10, 0x3b800000
	v_lshlrev_b32_e32 v2, 20, v2
	v_lshl_add_u32 v7, v7, 23, v10
	v_or3_b32 v2, v6, v7, v2
.LBB59_1212:
	s_or_b64 exec, exec, s[6:7]
	s_movk_i32 s4, 0x7f
	v_cmp_gt_i16_sdwa s[6:7], v3, s4 src0_sel:BYTE_3 src1_sel:DWORD
	s_mov_b64 s[4:5], 0
                                        ; implicit-def: $sgpr10
	s_and_saveexec_b64 s[8:9], s[6:7]
	s_xor_b64 s[6:7], exec, s[8:9]
	s_cbranch_execnz .LBB59_3261
; %bb.1213:
	s_or_saveexec_b64 s[6:7], s[6:7]
	v_mov_b32_e32 v6, s10
	s_xor_b64 exec, exec, s[6:7]
	s_cbranch_execnz .LBB59_3264
.LBB59_1214:
	s_or_b64 exec, exec, s[6:7]
	s_and_saveexec_b64 s[6:7], s[4:5]
	s_cbranch_execz .LBB59_1216
.LBB59_1215:
	v_bfe_u32 v6, v3, 24, 3
	v_ffbh_u32_e32 v12, v6
	v_min_u32_e32 v12, 32, v12
	v_lshrrev_b32_e32 v10, 27, v3
	v_subrev_u32_e32 v13, 28, v12
	v_and_b32_e32 v7, 0x80000000, v3
	v_and_b32_e32 v10, 15, v10
	v_bfe_u32 v11, v3, 27, 4
	v_lshlrev_b32_sdwa v3, v13, v3 dst_sel:DWORD dst_unused:UNUSED_PAD src0_sel:DWORD src1_sel:BYTE_3
	v_sub_u32_e32 v12, 29, v12
	v_and_b32_e32 v3, 7, v3
	v_cmp_eq_u16_e32 vcc, 0, v10
	v_cndmask_b32_e32 v3, v6, v3, vcc
	v_cndmask_b32_e32 v6, v11, v12, vcc
	v_mov_b32_e32 v10, 0x3b800000
	v_lshlrev_b32_e32 v3, 20, v3
	v_lshl_add_u32 v6, v6, 23, v10
	v_or3_b32 v6, v7, v6, v3
.LBB59_1216:
	s_or_b64 exec, exec, s[6:7]
	s_nop 0
	v_mfma_f32_16x16x4f32 a[0:3], v2, v6, a[0:3]
	s_movk_i32 s4, 0x7f
	v_cmp_gt_i16_sdwa s[6:7], v8, s4 src0_sel:BYTE_0 src1_sel:DWORD
	s_mov_b64 s[4:5], 0
                                        ; implicit-def: $sgpr10
	s_and_saveexec_b64 s[8:9], s[6:7]
	s_xor_b64 s[6:7], exec, s[8:9]
	s_cbranch_execnz .LBB59_3265
; %bb.1217:
	s_or_saveexec_b64 s[6:7], s[6:7]
	v_mov_b32_e32 v2, s10
	s_xor_b64 exec, exec, s[6:7]
	s_cbranch_execnz .LBB59_3268
.LBB59_1218:
	s_or_b64 exec, exec, s[6:7]
	s_and_saveexec_b64 s[6:7], s[4:5]
	s_cbranch_execz .LBB59_1220
.LBB59_1219:
	v_and_b32_e32 v2, 7, v8
	v_ffbh_u32_e32 v6, v2
	v_min_u32_e32 v6, 32, v6
	v_lshrrev_b16_e32 v3, 3, v8
	v_subrev_u32_e32 v7, 28, v6
	v_and_b32_e32 v3, 15, v3
	v_lshlrev_b32_e32 v7, v7, v8
	v_sub_u32_e32 v6, 29, v6
	v_and_b32_e32 v7, 7, v7
	v_cmp_eq_u16_e32 vcc, 0, v3
	v_cndmask_b32_e32 v2, v2, v7, vcc
	v_cndmask_b32_e32 v3, v3, v6, vcc
	v_lshlrev_b32_e32 v6, 24, v8
	v_mov_b32_e32 v7, 0x3b800000
	v_lshlrev_b32_e32 v2, 20, v2
	v_and_b32_e32 v6, 0x80000000, v6
	v_lshl_add_u32 v3, v3, 23, v7
	v_or3_b32 v2, v6, v3, v2
.LBB59_1220:
	s_or_b64 exec, exec, s[6:7]
	s_movk_i32 s4, 0x7f
	v_cmp_gt_i16_sdwa s[6:7], v4, s4 src0_sel:BYTE_0 src1_sel:DWORD
	s_mov_b64 s[4:5], 0
                                        ; implicit-def: $sgpr10
	s_and_saveexec_b64 s[8:9], s[6:7]
	s_xor_b64 s[6:7], exec, s[8:9]
	s_cbranch_execnz .LBB59_3269
; %bb.1221:
	s_or_saveexec_b64 s[6:7], s[6:7]
	v_mov_b32_e32 v3, s10
	s_xor_b64 exec, exec, s[6:7]
	s_cbranch_execnz .LBB59_3272
.LBB59_1222:
	s_or_b64 exec, exec, s[6:7]
	s_and_saveexec_b64 s[6:7], s[4:5]
	s_cbranch_execz .LBB59_1224
.LBB59_1223:
	v_and_b32_e32 v3, 7, v4
	v_ffbh_u32_e32 v7, v3
	v_min_u32_e32 v7, 32, v7
	v_lshrrev_b16_e32 v6, 3, v4
	v_subrev_u32_e32 v10, 28, v7
	v_and_b32_e32 v6, 15, v6
	v_lshlrev_b32_e32 v10, v10, v4
	v_sub_u32_e32 v7, 29, v7
	v_and_b32_e32 v10, 7, v10
	v_cmp_eq_u16_e32 vcc, 0, v6
	v_cndmask_b32_e32 v3, v3, v10, vcc
	v_cndmask_b32_e32 v6, v6, v7, vcc
	v_lshlrev_b32_e32 v7, 24, v4
	v_mov_b32_e32 v10, 0x3b800000
	v_lshlrev_b32_e32 v3, 20, v3
	v_and_b32_e32 v7, 0x80000000, v7
	v_lshl_add_u32 v6, v6, 23, v10
	v_or3_b32 v3, v7, v6, v3
.LBB59_1224:
	s_or_b64 exec, exec, s[6:7]
	s_nop 0
	v_mfma_f32_16x16x4f32 a[0:3], v2, v3, a[0:3]
	v_lshrrev_b32_e32 v3, 8, v8
	s_movk_i32 s4, 0x7f
	v_cmp_gt_i16_sdwa s[6:7], v3, s4 src0_sel:BYTE_0 src1_sel:DWORD
	s_mov_b64 s[4:5], 0
                                        ; implicit-def: $sgpr10
	s_and_saveexec_b64 s[8:9], s[6:7]
	s_xor_b64 s[6:7], exec, s[8:9]
	s_cbranch_execnz .LBB59_3273
; %bb.1225:
	s_or_saveexec_b64 s[6:7], s[6:7]
	v_mov_b32_e32 v2, s10
	s_xor_b64 exec, exec, s[6:7]
	s_cbranch_execnz .LBB59_3276
.LBB59_1226:
	s_or_b64 exec, exec, s[6:7]
	s_and_saveexec_b64 s[6:7], s[4:5]
	s_cbranch_execz .LBB59_1228
.LBB59_1227:
	v_bfe_u32 v2, v8, 8, 3
	v_ffbh_u32_e32 v7, v2
	v_min_u32_e32 v7, 32, v7
	v_lshrrev_b16_e32 v6, 3, v3
	v_subrev_u32_e32 v10, 28, v7
	v_and_b32_e32 v6, 15, v6
	v_lshlrev_b32_e32 v3, v10, v3
	v_sub_u32_e32 v7, 29, v7
	v_and_b32_e32 v3, 7, v3
	v_cmp_eq_u16_e32 vcc, 0, v6
	v_cndmask_b32_e32 v2, v2, v3, vcc
	v_cndmask_b32_e32 v3, v6, v7, vcc
	v_lshlrev_b32_e32 v6, 16, v8
	v_mov_b32_e32 v7, 0x3b800000
	v_lshlrev_b32_e32 v2, 20, v2
	v_and_b32_e32 v6, 0x80000000, v6
	v_lshl_add_u32 v3, v3, 23, v7
	v_or3_b32 v2, v6, v3, v2
.LBB59_1228:
	s_or_b64 exec, exec, s[6:7]
	v_lshrrev_b32_e32 v3, 8, v4
	s_movk_i32 s4, 0x7f
	v_cmp_gt_i16_sdwa s[6:7], v3, s4 src0_sel:BYTE_0 src1_sel:DWORD
	s_mov_b64 s[4:5], 0
                                        ; implicit-def: $sgpr10
	s_and_saveexec_b64 s[8:9], s[6:7]
	s_xor_b64 s[6:7], exec, s[8:9]
	s_cbranch_execnz .LBB59_3277
; %bb.1229:
	s_or_saveexec_b64 s[6:7], s[6:7]
	v_mov_b32_e32 v6, s10
	s_xor_b64 exec, exec, s[6:7]
	s_cbranch_execnz .LBB59_3280
.LBB59_1230:
	s_or_b64 exec, exec, s[6:7]
	s_and_saveexec_b64 s[6:7], s[4:5]
	s_cbranch_execz .LBB59_1232
.LBB59_1231:
	v_bfe_u32 v6, v4, 8, 3
	v_ffbh_u32_e32 v10, v6
	v_min_u32_e32 v10, 32, v10
	v_lshrrev_b16_e32 v7, 3, v3
	v_subrev_u32_e32 v11, 28, v10
	v_and_b32_e32 v7, 15, v7
	v_lshlrev_b32_e32 v3, v11, v3
	v_sub_u32_e32 v10, 29, v10
	v_and_b32_e32 v3, 7, v3
	v_cmp_eq_u16_e32 vcc, 0, v7
	v_cndmask_b32_e32 v3, v6, v3, vcc
	v_cndmask_b32_e32 v6, v7, v10, vcc
	v_lshlrev_b32_e32 v7, 16, v4
	v_mov_b32_e32 v10, 0x3b800000
	v_lshlrev_b32_e32 v3, 20, v3
	v_and_b32_e32 v7, 0x80000000, v7
	v_lshl_add_u32 v6, v6, 23, v10
	v_or3_b32 v6, v7, v6, v3
.LBB59_1232:
	s_or_b64 exec, exec, s[6:7]
	s_nop 0
	v_mfma_f32_16x16x4f32 a[0:3], v2, v6, a[0:3]
	s_movk_i32 s4, 0xff
	v_and_b32_sdwa v3, v8, s4 dst_sel:DWORD dst_unused:UNUSED_PAD src0_sel:WORD_1 src1_sel:DWORD
	s_movk_i32 s4, 0x7f
	v_cmp_lt_i16_e32 vcc, s4, v3
	s_mov_b64 s[4:5], 0
                                        ; implicit-def: $sgpr10
	s_and_saveexec_b64 s[6:7], vcc
	s_xor_b64 s[6:7], exec, s[6:7]
	s_cbranch_execnz .LBB59_3281
; %bb.1233:
	s_or_saveexec_b64 s[6:7], s[6:7]
	v_mov_b32_e32 v2, s10
	s_xor_b64 exec, exec, s[6:7]
	s_cbranch_execnz .LBB59_3284
.LBB59_1234:
	s_or_b64 exec, exec, s[6:7]
	s_and_saveexec_b64 s[6:7], s[4:5]
	s_cbranch_execz .LBB59_1236
.LBB59_1235:
	v_bfe_u32 v2, v8, 16, 3
	v_ffbh_u32_e32 v7, v2
	v_min_u32_e32 v7, 32, v7
	v_lshrrev_b32_e32 v3, 19, v8
	v_subrev_u32_e32 v10, 28, v7
	v_and_b32_e32 v3, 15, v3
	v_lshlrev_b32_sdwa v10, v10, v8 dst_sel:DWORD dst_unused:UNUSED_PAD src0_sel:DWORD src1_sel:WORD_1
	v_bfe_u32 v6, v8, 19, 4
	v_sub_u32_e32 v7, 29, v7
	v_and_b32_e32 v10, 7, v10
	v_cmp_eq_u16_e32 vcc, 0, v3
	v_cndmask_b32_e32 v2, v2, v10, vcc
	v_cndmask_b32_e32 v3, v6, v7, vcc
	v_lshlrev_b32_e32 v6, 8, v8
	v_mov_b32_e32 v7, 0x3b800000
	v_lshlrev_b32_e32 v2, 20, v2
	v_and_b32_e32 v6, 0x80000000, v6
	v_lshl_add_u32 v3, v3, 23, v7
	v_or3_b32 v2, v6, v3, v2
.LBB59_1236:
	s_or_b64 exec, exec, s[6:7]
	s_movk_i32 s4, 0xff
	v_and_b32_sdwa v3, v4, s4 dst_sel:DWORD dst_unused:UNUSED_PAD src0_sel:WORD_1 src1_sel:DWORD
	s_movk_i32 s4, 0x7f
	v_cmp_lt_i16_e32 vcc, s4, v3
	s_mov_b64 s[4:5], 0
                                        ; implicit-def: $sgpr10
	s_and_saveexec_b64 s[6:7], vcc
	s_xor_b64 s[6:7], exec, s[6:7]
	s_cbranch_execnz .LBB59_3285
; %bb.1237:
	s_or_saveexec_b64 s[6:7], s[6:7]
	v_mov_b32_e32 v6, s10
	s_xor_b64 exec, exec, s[6:7]
	s_cbranch_execnz .LBB59_3288
.LBB59_1238:
	s_or_b64 exec, exec, s[6:7]
	s_and_saveexec_b64 s[6:7], s[4:5]
	s_cbranch_execz .LBB59_1240
.LBB59_1239:
	v_bfe_u32 v3, v4, 16, 3
	v_ffbh_u32_e32 v10, v3
	v_min_u32_e32 v10, 32, v10
	v_lshrrev_b32_e32 v6, 19, v4
	v_subrev_u32_e32 v11, 28, v10
	v_and_b32_e32 v6, 15, v6
	v_lshlrev_b32_sdwa v11, v11, v4 dst_sel:DWORD dst_unused:UNUSED_PAD src0_sel:DWORD src1_sel:WORD_1
	v_bfe_u32 v7, v4, 19, 4
	v_sub_u32_e32 v10, 29, v10
	v_and_b32_e32 v11, 7, v11
	v_cmp_eq_u16_e32 vcc, 0, v6
	v_cndmask_b32_e32 v3, v3, v11, vcc
	v_cndmask_b32_e32 v6, v7, v10, vcc
	v_lshlrev_b32_e32 v7, 8, v4
	v_mov_b32_e32 v10, 0x3b800000
	v_lshlrev_b32_e32 v3, 20, v3
	v_and_b32_e32 v7, 0x80000000, v7
	v_lshl_add_u32 v6, v6, 23, v10
	v_or3_b32 v6, v7, v6, v3
.LBB59_1240:
	s_or_b64 exec, exec, s[6:7]
	s_nop 0
	v_mfma_f32_16x16x4f32 a[0:3], v2, v6, a[0:3]
	s_movk_i32 s4, 0x7f
	v_cmp_gt_i16_sdwa s[6:7], v8, s4 src0_sel:BYTE_3 src1_sel:DWORD
	s_mov_b64 s[4:5], 0
                                        ; implicit-def: $sgpr10
	s_and_saveexec_b64 s[8:9], s[6:7]
	s_xor_b64 s[6:7], exec, s[8:9]
	s_cbranch_execnz .LBB59_3289
; %bb.1241:
	s_or_saveexec_b64 s[6:7], s[6:7]
	v_mov_b32_e32 v2, s10
	s_xor_b64 exec, exec, s[6:7]
	s_cbranch_execnz .LBB59_3292
.LBB59_1242:
	s_or_b64 exec, exec, s[6:7]
	s_and_saveexec_b64 s[6:7], s[4:5]
	s_cbranch_execz .LBB59_1244
.LBB59_1243:
	v_bfe_u32 v2, v8, 24, 3
	v_ffbh_u32_e32 v10, v2
	v_min_u32_e32 v10, 32, v10
	v_lshrrev_b32_e32 v6, 27, v8
	v_subrev_u32_e32 v11, 28, v10
	v_and_b32_e32 v3, 0x80000000, v8
	v_and_b32_e32 v6, 15, v6
	v_bfe_u32 v7, v8, 27, 4
	v_lshlrev_b32_sdwa v8, v11, v8 dst_sel:DWORD dst_unused:UNUSED_PAD src0_sel:DWORD src1_sel:BYTE_3
	v_sub_u32_e32 v10, 29, v10
	v_and_b32_e32 v8, 7, v8
	v_cmp_eq_u16_e32 vcc, 0, v6
	v_cndmask_b32_e32 v2, v2, v8, vcc
	v_cndmask_b32_e32 v6, v7, v10, vcc
	v_mov_b32_e32 v7, 0x3b800000
	v_lshlrev_b32_e32 v2, 20, v2
	v_lshl_add_u32 v6, v6, 23, v7
	v_or3_b32 v2, v3, v6, v2
.LBB59_1244:
	s_or_b64 exec, exec, s[6:7]
	s_movk_i32 s4, 0x7f
	v_cmp_gt_i16_sdwa s[6:7], v4, s4 src0_sel:BYTE_3 src1_sel:DWORD
	s_mov_b64 s[4:5], 0
                                        ; implicit-def: $sgpr10
	s_and_saveexec_b64 s[8:9], s[6:7]
	s_xor_b64 s[6:7], exec, s[8:9]
	s_cbranch_execnz .LBB59_3293
; %bb.1245:
	s_or_saveexec_b64 s[6:7], s[6:7]
	v_mov_b32_e32 v3, s10
	s_xor_b64 exec, exec, s[6:7]
	s_cbranch_execnz .LBB59_3296
.LBB59_1246:
	s_or_b64 exec, exec, s[6:7]
	s_and_saveexec_b64 s[6:7], s[4:5]
	s_cbranch_execz .LBB59_1248
.LBB59_1247:
	v_bfe_u32 v3, v4, 24, 3
	v_ffbh_u32_e32 v10, v3
	v_min_u32_e32 v10, 32, v10
	v_lshrrev_b32_e32 v7, 27, v4
	v_subrev_u32_e32 v11, 28, v10
	v_and_b32_e32 v6, 0x80000000, v4
	v_and_b32_e32 v7, 15, v7
	v_bfe_u32 v8, v4, 27, 4
	v_lshlrev_b32_sdwa v4, v11, v4 dst_sel:DWORD dst_unused:UNUSED_PAD src0_sel:DWORD src1_sel:BYTE_3
	v_sub_u32_e32 v10, 29, v10
	v_and_b32_e32 v4, 7, v4
	v_cmp_eq_u16_e32 vcc, 0, v7
	v_cndmask_b32_e32 v3, v3, v4, vcc
	v_cndmask_b32_e32 v4, v8, v10, vcc
	v_mov_b32_e32 v7, 0x3b800000
	v_lshlrev_b32_e32 v3, 20, v3
	v_lshl_add_u32 v4, v4, 23, v7
	v_or3_b32 v3, v6, v4, v3
.LBB59_1248:
	s_or_b64 exec, exec, s[6:7]
	s_nop 0
	v_mfma_f32_16x16x4f32 a[0:3], v2, v3, a[0:3]
	s_movk_i32 s4, 0x7f
	v_cmp_gt_i16_sdwa s[6:7], v9, s4 src0_sel:BYTE_0 src1_sel:DWORD
	s_mov_b64 s[4:5], 0
                                        ; implicit-def: $sgpr10
	s_and_saveexec_b64 s[8:9], s[6:7]
	s_xor_b64 s[6:7], exec, s[8:9]
	s_cbranch_execnz .LBB59_3297
; %bb.1249:
	s_or_saveexec_b64 s[6:7], s[6:7]
	v_mov_b32_e32 v2, s10
	s_xor_b64 exec, exec, s[6:7]
	s_cbranch_execnz .LBB59_3300
.LBB59_1250:
	s_or_b64 exec, exec, s[6:7]
	s_and_saveexec_b64 s[6:7], s[4:5]
	s_cbranch_execz .LBB59_1252
.LBB59_1251:
	v_mov_b32_e32 v2, 8
	v_and_b32_e32 v3, 7, v9
	v_lshrrev_b32_sdwa v2, v2, v9 dst_sel:BYTE_1 dst_unused:UNUSED_PAD src0_sel:DWORD src1_sel:DWORD
	v_ffbh_u32_e32 v4, v3
	v_or_b32_sdwa v2, v9, v2 dst_sel:DWORD dst_unused:UNUSED_PAD src0_sel:BYTE_0 src1_sel:DWORD
	v_min_u32_e32 v4, 32, v4
	v_lshrrev_b16_e32 v2, 3, v2
	v_subrev_u32_e32 v6, 28, v4
	v_and_b32_e32 v2, 15, v2
	v_lshlrev_b32_e32 v6, v6, v9
	v_sub_u32_e32 v4, 29, v4
	v_and_b32_e32 v6, 7, v6
	v_cmp_eq_u16_e32 vcc, 0, v2
	v_cndmask_b32_e32 v3, v3, v6, vcc
	v_cndmask_b32_e32 v2, v2, v4, vcc
	v_lshlrev_b32_e32 v4, 24, v9
	v_mov_b32_e32 v6, 0x3b800000
	v_lshlrev_b32_e32 v3, 20, v3
	v_and_b32_e32 v4, 0x80000000, v4
	v_lshl_add_u32 v2, v2, 23, v6
	v_or3_b32 v2, v4, v2, v3
.LBB59_1252:
	s_or_b64 exec, exec, s[6:7]
	s_movk_i32 s4, 0x7f
	v_cmp_gt_i16_sdwa s[6:7], v5, s4 src0_sel:BYTE_0 src1_sel:DWORD
	s_mov_b64 s[4:5], 0
                                        ; implicit-def: $sgpr10
	s_and_saveexec_b64 s[8:9], s[6:7]
	s_xor_b64 s[6:7], exec, s[8:9]
	s_cbranch_execnz .LBB59_3301
; %bb.1253:
	s_or_saveexec_b64 s[6:7], s[6:7]
	v_mov_b32_e32 v3, s10
	s_xor_b64 exec, exec, s[6:7]
	s_cbranch_execnz .LBB59_3304
.LBB59_1254:
	s_or_b64 exec, exec, s[6:7]
	s_and_saveexec_b64 s[6:7], s[4:5]
	s_cbranch_execz .LBB59_1256
.LBB59_1255:
	v_mov_b32_e32 v3, 8
	v_and_b32_e32 v4, 7, v5
	v_lshrrev_b32_sdwa v3, v3, v5 dst_sel:BYTE_1 dst_unused:UNUSED_PAD src0_sel:DWORD src1_sel:DWORD
	v_ffbh_u32_e32 v6, v4
	v_or_b32_sdwa v3, v5, v3 dst_sel:DWORD dst_unused:UNUSED_PAD src0_sel:BYTE_0 src1_sel:DWORD
	v_min_u32_e32 v6, 32, v6
	v_lshrrev_b16_e32 v3, 3, v3
	v_subrev_u32_e32 v7, 28, v6
	v_and_b32_e32 v3, 15, v3
	v_lshlrev_b32_e32 v7, v7, v5
	v_sub_u32_e32 v6, 29, v6
	v_and_b32_e32 v7, 7, v7
	v_cmp_eq_u16_e32 vcc, 0, v3
	v_cndmask_b32_e32 v4, v4, v7, vcc
	v_cndmask_b32_e32 v3, v3, v6, vcc
	v_lshlrev_b32_e32 v6, 24, v5
	v_mov_b32_e32 v7, 0x3b800000
	v_lshlrev_b32_e32 v4, 20, v4
	v_and_b32_e32 v6, 0x80000000, v6
	v_lshl_add_u32 v3, v3, 23, v7
	v_or3_b32 v3, v6, v3, v4
.LBB59_1256:
	s_or_b64 exec, exec, s[6:7]
	s_nop 0
	v_mfma_f32_16x16x4f32 a[0:3], v2, v3, a[0:3]
	v_lshrrev_b32_e32 v3, 8, v9
	s_movk_i32 s4, 0x7f
	v_cmp_gt_i16_sdwa s[6:7], v3, s4 src0_sel:BYTE_0 src1_sel:DWORD
	s_mov_b64 s[4:5], 0
                                        ; implicit-def: $sgpr10
	s_and_saveexec_b64 s[8:9], s[6:7]
	s_xor_b64 s[6:7], exec, s[8:9]
	s_cbranch_execnz .LBB59_3305
; %bb.1257:
	s_or_saveexec_b64 s[6:7], s[6:7]
	v_mov_b32_e32 v2, s10
	s_xor_b64 exec, exec, s[6:7]
	s_cbranch_execnz .LBB59_3308
.LBB59_1258:
	s_or_b64 exec, exec, s[6:7]
	s_and_saveexec_b64 s[6:7], s[4:5]
	s_cbranch_execz .LBB59_1260
.LBB59_1259:
	v_bfe_u32 v2, v9, 8, 3
	v_ffbh_u32_e32 v6, v2
	v_min_u32_e32 v6, 32, v6
	v_lshrrev_b16_e32 v4, 3, v3
	v_subrev_u32_e32 v7, 28, v6
	v_and_b32_e32 v4, 15, v4
	v_lshlrev_b32_e32 v3, v7, v3
	v_sub_u32_e32 v6, 29, v6
	v_and_b32_e32 v3, 7, v3
	v_cmp_eq_u16_e32 vcc, 0, v4
	v_cndmask_b32_e32 v2, v2, v3, vcc
	v_cndmask_b32_e32 v3, v4, v6, vcc
	v_lshlrev_b32_e32 v4, 16, v9
	v_mov_b32_e32 v6, 0x3b800000
	v_lshlrev_b32_e32 v2, 20, v2
	v_and_b32_e32 v4, 0x80000000, v4
	v_lshl_add_u32 v3, v3, 23, v6
	v_or3_b32 v2, v4, v3, v2
.LBB59_1260:
	s_or_b64 exec, exec, s[6:7]
	v_lshrrev_b32_e32 v3, 8, v5
	s_movk_i32 s4, 0x7f
	v_cmp_gt_i16_sdwa s[6:7], v3, s4 src0_sel:BYTE_0 src1_sel:DWORD
	s_mov_b64 s[4:5], 0
                                        ; implicit-def: $sgpr10
	s_and_saveexec_b64 s[8:9], s[6:7]
	s_xor_b64 s[6:7], exec, s[8:9]
	s_cbranch_execnz .LBB59_3309
; %bb.1261:
	s_or_saveexec_b64 s[6:7], s[6:7]
	v_mov_b32_e32 v4, s10
	s_xor_b64 exec, exec, s[6:7]
	s_cbranch_execnz .LBB59_3312
.LBB59_1262:
	s_or_b64 exec, exec, s[6:7]
	s_and_saveexec_b64 s[6:7], s[4:5]
	s_cbranch_execz .LBB59_1264
.LBB59_1263:
	v_bfe_u32 v4, v5, 8, 3
	v_ffbh_u32_e32 v7, v4
	v_min_u32_e32 v7, 32, v7
	v_lshrrev_b16_e32 v6, 3, v3
	v_subrev_u32_e32 v8, 28, v7
	v_and_b32_e32 v6, 15, v6
	v_lshlrev_b32_e32 v3, v8, v3
	v_sub_u32_e32 v7, 29, v7
	v_and_b32_e32 v3, 7, v3
	v_cmp_eq_u16_e32 vcc, 0, v6
	v_cndmask_b32_e32 v3, v4, v3, vcc
	v_cndmask_b32_e32 v4, v6, v7, vcc
	v_lshlrev_b32_e32 v6, 16, v5
	v_mov_b32_e32 v7, 0x3b800000
	v_lshlrev_b32_e32 v3, 20, v3
	v_and_b32_e32 v6, 0x80000000, v6
	v_lshl_add_u32 v4, v4, 23, v7
	v_or3_b32 v4, v6, v4, v3
.LBB59_1264:
	s_or_b64 exec, exec, s[6:7]
	s_nop 0
	v_mfma_f32_16x16x4f32 a[0:3], v2, v4, a[0:3]
	s_movk_i32 s4, 0xff
	v_and_b32_sdwa v3, v9, s4 dst_sel:DWORD dst_unused:UNUSED_PAD src0_sel:WORD_1 src1_sel:DWORD
	s_movk_i32 s4, 0x7f
	v_cmp_lt_i16_e32 vcc, s4, v3
	s_mov_b64 s[4:5], 0
                                        ; implicit-def: $sgpr10
	s_and_saveexec_b64 s[6:7], vcc
	s_xor_b64 s[6:7], exec, s[6:7]
	s_cbranch_execnz .LBB59_3313
; %bb.1265:
	s_or_saveexec_b64 s[6:7], s[6:7]
	v_mov_b32_e32 v2, s10
	s_xor_b64 exec, exec, s[6:7]
	s_cbranch_execnz .LBB59_3316
.LBB59_1266:
	s_or_b64 exec, exec, s[6:7]
	s_and_saveexec_b64 s[6:7], s[4:5]
	s_cbranch_execz .LBB59_1268
.LBB59_1267:
	v_bfe_u32 v2, v9, 16, 3
	v_ffbh_u32_e32 v6, v2
	v_min_u32_e32 v6, 32, v6
	v_lshrrev_b32_e32 v3, 19, v9
	v_subrev_u32_e32 v7, 28, v6
	v_and_b32_e32 v3, 15, v3
	v_lshlrev_b32_sdwa v7, v7, v9 dst_sel:DWORD dst_unused:UNUSED_PAD src0_sel:DWORD src1_sel:WORD_1
	v_bfe_u32 v4, v9, 19, 4
	v_sub_u32_e32 v6, 29, v6
	v_and_b32_e32 v7, 7, v7
	v_cmp_eq_u16_e32 vcc, 0, v3
	v_cndmask_b32_e32 v2, v2, v7, vcc
	v_cndmask_b32_e32 v3, v4, v6, vcc
	v_lshlrev_b32_e32 v4, 8, v9
	v_mov_b32_e32 v6, 0x3b800000
	v_lshlrev_b32_e32 v2, 20, v2
	v_and_b32_e32 v4, 0x80000000, v4
	v_lshl_add_u32 v3, v3, 23, v6
	v_or3_b32 v2, v4, v3, v2
.LBB59_1268:
	s_or_b64 exec, exec, s[6:7]
	s_movk_i32 s4, 0xff
	v_and_b32_sdwa v3, v5, s4 dst_sel:DWORD dst_unused:UNUSED_PAD src0_sel:WORD_1 src1_sel:DWORD
	s_movk_i32 s4, 0x7f
	v_cmp_lt_i16_e32 vcc, s4, v3
	s_mov_b64 s[4:5], 0
                                        ; implicit-def: $sgpr10
	s_and_saveexec_b64 s[6:7], vcc
	s_xor_b64 s[6:7], exec, s[6:7]
	s_cbranch_execnz .LBB59_3317
; %bb.1269:
	s_or_saveexec_b64 s[6:7], s[6:7]
	v_mov_b32_e32 v4, s10
	s_xor_b64 exec, exec, s[6:7]
	s_cbranch_execnz .LBB59_3320
.LBB59_1270:
	s_or_b64 exec, exec, s[6:7]
	s_and_saveexec_b64 s[6:7], s[4:5]
	s_cbranch_execz .LBB59_1272
.LBB59_1271:
	v_bfe_u32 v3, v5, 16, 3
	v_ffbh_u32_e32 v7, v3
	v_min_u32_e32 v7, 32, v7
	v_lshrrev_b32_e32 v4, 19, v5
	v_subrev_u32_e32 v8, 28, v7
	v_and_b32_e32 v4, 15, v4
	v_lshlrev_b32_sdwa v8, v8, v5 dst_sel:DWORD dst_unused:UNUSED_PAD src0_sel:DWORD src1_sel:WORD_1
	v_bfe_u32 v6, v5, 19, 4
	v_sub_u32_e32 v7, 29, v7
	v_and_b32_e32 v8, 7, v8
	v_cmp_eq_u16_e32 vcc, 0, v4
	v_cndmask_b32_e32 v3, v3, v8, vcc
	v_cndmask_b32_e32 v4, v6, v7, vcc
	v_lshlrev_b32_e32 v6, 8, v5
	v_mov_b32_e32 v7, 0x3b800000
	v_lshlrev_b32_e32 v3, 20, v3
	v_and_b32_e32 v6, 0x80000000, v6
	v_lshl_add_u32 v4, v4, 23, v7
	v_or3_b32 v4, v6, v4, v3
.LBB59_1272:
	s_or_b64 exec, exec, s[6:7]
	s_nop 0
	v_mfma_f32_16x16x4f32 a[0:3], v2, v4, a[0:3]
	s_movk_i32 s4, 0x7f
	v_cmp_gt_i16_sdwa s[6:7], v9, s4 src0_sel:BYTE_3 src1_sel:DWORD
	s_mov_b64 s[4:5], 0
                                        ; implicit-def: $sgpr10
	s_and_saveexec_b64 s[8:9], s[6:7]
	s_xor_b64 s[6:7], exec, s[8:9]
	s_cbranch_execnz .LBB59_3321
; %bb.1273:
	s_or_saveexec_b64 s[6:7], s[6:7]
	v_mov_b32_e32 v2, s10
	s_xor_b64 exec, exec, s[6:7]
	s_cbranch_execnz .LBB59_3324
.LBB59_1274:
	s_or_b64 exec, exec, s[6:7]
	s_and_saveexec_b64 s[6:7], s[4:5]
	s_cbranch_execz .LBB59_1276
.LBB59_1275:
	v_bfe_u32 v2, v9, 24, 3
	v_ffbh_u32_e32 v7, v2
	v_min_u32_e32 v7, 32, v7
	v_lshrrev_b32_e32 v4, 27, v9
	v_subrev_u32_e32 v8, 28, v7
	v_and_b32_e32 v4, 15, v4
	v_lshlrev_b32_sdwa v8, v8, v9 dst_sel:DWORD dst_unused:UNUSED_PAD src0_sel:DWORD src1_sel:BYTE_3
	v_bfe_u32 v6, v9, 27, 4
	v_sub_u32_e32 v7, 29, v7
	v_and_b32_e32 v8, 7, v8
	v_cmp_eq_u16_e32 vcc, 0, v4
	v_cndmask_b32_e32 v2, v2, v8, vcc
	v_cndmask_b32_e32 v4, v6, v7, vcc
	v_mov_b32_e32 v6, 0x3b800000
	v_and_b32_e32 v3, 0x80000000, v9
	v_lshlrev_b32_e32 v2, 20, v2
	v_lshl_add_u32 v4, v4, 23, v6
	v_or3_b32 v2, v3, v4, v2
.LBB59_1276:
	s_or_b64 exec, exec, s[6:7]
	s_movk_i32 s4, 0x7f
	v_cmp_gt_i16_sdwa s[6:7], v5, s4 src0_sel:BYTE_3 src1_sel:DWORD
	s_mov_b64 s[4:5], 0
                                        ; implicit-def: $sgpr10
	s_and_saveexec_b64 s[8:9], s[6:7]
	s_xor_b64 s[6:7], exec, s[8:9]
	s_cbranch_execnz .LBB59_3325
; %bb.1277:
	s_or_saveexec_b64 s[6:7], s[6:7]
	v_mov_b32_e32 v3, s10
	s_xor_b64 exec, exec, s[6:7]
	s_cbranch_execnz .LBB59_3328
.LBB59_1278:
	s_or_b64 exec, exec, s[6:7]
	s_and_saveexec_b64 s[6:7], s[4:5]
	s_cbranch_execz .LBB59_1280
.LBB59_1279:
	v_bfe_u32 v3, v5, 24, 3
	v_ffbh_u32_e32 v8, v3
	v_min_u32_e32 v8, 32, v8
	v_lshrrev_b32_e32 v6, 27, v5
	v_subrev_u32_e32 v9, 28, v8
	v_and_b32_e32 v4, 0x80000000, v5
	v_and_b32_e32 v6, 15, v6
	v_bfe_u32 v7, v5, 27, 4
	v_lshlrev_b32_sdwa v5, v9, v5 dst_sel:DWORD dst_unused:UNUSED_PAD src0_sel:DWORD src1_sel:BYTE_3
	v_sub_u32_e32 v8, 29, v8
	v_and_b32_e32 v5, 7, v5
	v_cmp_eq_u16_e32 vcc, 0, v6
	v_cndmask_b32_e32 v3, v3, v5, vcc
	v_cndmask_b32_e32 v5, v7, v8, vcc
	v_mov_b32_e32 v6, 0x3b800000
	v_lshlrev_b32_e32 v3, 20, v3
	v_lshl_add_u32 v5, v5, 23, v6
	v_or3_b32 v3, v4, v5, v3
.LBB59_1280:
	s_or_b64 exec, exec, s[6:7]
	s_nop 0
	v_mfma_f32_16x16x4f32 a[0:3], v2, v3, a[0:3]
	s_movk_i32 s4, 0x7f
                                        ; implicit-def: $sgpr10
	s_nop 7
	s_nop 1
	flat_store_dwordx4 v[18:19], a[0:3] offset:960
	flat_load_dwordx4 v[20:23], v[0:1] offset:8
	s_nop 0
	flat_load_dwordx2 v[18:19], v[0:1] offset:24
	s_waitcnt vmcnt(0) lgkmcnt(0)
	flat_load_dwordx4 v[14:17], v[20:21] offset:32
	flat_load_dwordx4 v[6:9], v[20:21] offset:48
	;; [unrolled: 1-line block ×4, first 2 shown]
	s_waitcnt vmcnt(0) lgkmcnt(0)
	v_cmp_gt_i16_sdwa s[6:7], v14, s4 src0_sel:BYTE_0 src1_sel:DWORD
	s_mov_b64 s[4:5], 0
	s_and_saveexec_b64 s[8:9], s[6:7]
	s_xor_b64 s[6:7], exec, s[8:9]
	s_cbranch_execnz .LBB59_3329
; %bb.1281:
	s_or_saveexec_b64 s[6:7], s[6:7]
	v_mov_b32_e32 v20, s10
	s_xor_b64 exec, exec, s[6:7]
	s_cbranch_execnz .LBB59_3332
.LBB59_1282:
	s_or_b64 exec, exec, s[6:7]
	s_and_saveexec_b64 s[6:7], s[4:5]
	s_cbranch_execz .LBB59_1284
.LBB59_1283:
	v_and_b32_e32 v20, 7, v14
	v_ffbh_u32_e32 v22, v20
	v_min_u32_e32 v22, 32, v22
	v_lshrrev_b16_e32 v21, 3, v14
	v_subrev_u32_e32 v23, 28, v22
	v_and_b32_e32 v21, 15, v21
	v_lshlrev_b32_e32 v23, v23, v14
	v_sub_u32_e32 v22, 29, v22
	v_and_b32_e32 v23, 7, v23
	v_cmp_eq_u16_e32 vcc, 0, v21
	v_cndmask_b32_e32 v20, v20, v23, vcc
	v_cndmask_b32_e32 v21, v21, v22, vcc
	v_lshlrev_b32_e32 v22, 24, v14
	v_mov_b32_e32 v23, 0x3b800000
	v_lshlrev_b32_e32 v20, 20, v20
	v_and_b32_e32 v22, 0x80000000, v22
	v_lshl_add_u32 v21, v21, 23, v23
	v_or3_b32 v20, v22, v21, v20
.LBB59_1284:
	s_or_b64 exec, exec, s[6:7]
	s_movk_i32 s4, 0x7f
	v_cmp_gt_i16_sdwa s[6:7], v10, s4 src0_sel:BYTE_0 src1_sel:DWORD
	s_mov_b64 s[4:5], 0
                                        ; implicit-def: $sgpr10
	s_and_saveexec_b64 s[8:9], s[6:7]
	s_xor_b64 s[6:7], exec, s[8:9]
	s_cbranch_execnz .LBB59_3333
; %bb.1285:
	s_or_saveexec_b64 s[6:7], s[6:7]
	v_mov_b32_e32 v21, s10
	s_xor_b64 exec, exec, s[6:7]
	s_cbranch_execnz .LBB59_3336
.LBB59_1286:
	s_or_b64 exec, exec, s[6:7]
	s_and_saveexec_b64 s[6:7], s[4:5]
	s_cbranch_execz .LBB59_1288
.LBB59_1287:
	v_and_b32_e32 v21, 7, v10
	v_ffbh_u32_e32 v23, v21
	v_min_u32_e32 v23, 32, v23
	v_lshrrev_b16_e32 v22, 3, v10
	v_subrev_u32_e32 v24, 28, v23
	v_and_b32_e32 v22, 15, v22
	v_lshlrev_b32_e32 v24, v24, v10
	v_sub_u32_e32 v23, 29, v23
	v_and_b32_e32 v24, 7, v24
	v_cmp_eq_u16_e32 vcc, 0, v22
	v_cndmask_b32_e32 v21, v21, v24, vcc
	v_cndmask_b32_e32 v22, v22, v23, vcc
	v_lshlrev_b32_e32 v23, 24, v10
	v_mov_b32_e32 v24, 0x3b800000
	v_lshlrev_b32_e32 v21, 20, v21
	v_and_b32_e32 v23, 0x80000000, v23
	v_lshl_add_u32 v22, v22, 23, v24
	v_or3_b32 v21, v23, v22, v21
.LBB59_1288:
	s_or_b64 exec, exec, s[6:7]
	flat_load_dwordx4 a[0:3], v[18:19] offset:976
	s_movk_i32 s4, 0x7f
                                        ; implicit-def: $sgpr10
	s_waitcnt vmcnt(0) lgkmcnt(0)
	v_mfma_f32_16x16x4f32 a[0:3], v20, v21, a[0:3]
	v_lshrrev_b32_e32 v21, 8, v14
	v_cmp_gt_i16_sdwa s[6:7], v21, s4 src0_sel:BYTE_0 src1_sel:DWORD
	s_mov_b64 s[4:5], 0
	s_and_saveexec_b64 s[8:9], s[6:7]
	s_xor_b64 s[6:7], exec, s[8:9]
	s_cbranch_execnz .LBB59_3337
; %bb.1289:
	s_or_saveexec_b64 s[6:7], s[6:7]
	v_mov_b32_e32 v20, s10
	s_xor_b64 exec, exec, s[6:7]
	s_cbranch_execnz .LBB59_3340
.LBB59_1290:
	s_or_b64 exec, exec, s[6:7]
	s_and_saveexec_b64 s[6:7], s[4:5]
	s_cbranch_execz .LBB59_1292
.LBB59_1291:
	v_bfe_u32 v20, v14, 8, 3
	v_ffbh_u32_e32 v23, v20
	v_min_u32_e32 v23, 32, v23
	v_lshrrev_b16_e32 v22, 3, v21
	v_subrev_u32_e32 v24, 28, v23
	v_and_b32_e32 v22, 15, v22
	v_lshlrev_b32_e32 v21, v24, v21
	v_sub_u32_e32 v23, 29, v23
	v_and_b32_e32 v21, 7, v21
	v_cmp_eq_u16_e32 vcc, 0, v22
	v_cndmask_b32_e32 v20, v20, v21, vcc
	v_cndmask_b32_e32 v21, v22, v23, vcc
	v_lshlrev_b32_e32 v22, 16, v14
	v_mov_b32_e32 v23, 0x3b800000
	v_lshlrev_b32_e32 v20, 20, v20
	v_and_b32_e32 v22, 0x80000000, v22
	v_lshl_add_u32 v21, v21, 23, v23
	v_or3_b32 v20, v22, v21, v20
.LBB59_1292:
	s_or_b64 exec, exec, s[6:7]
	v_lshrrev_b32_e32 v21, 8, v10
	s_movk_i32 s4, 0x7f
	v_cmp_gt_i16_sdwa s[6:7], v21, s4 src0_sel:BYTE_0 src1_sel:DWORD
	s_mov_b64 s[4:5], 0
                                        ; implicit-def: $sgpr10
	s_and_saveexec_b64 s[8:9], s[6:7]
	s_xor_b64 s[6:7], exec, s[8:9]
	s_cbranch_execnz .LBB59_3341
; %bb.1293:
	s_or_saveexec_b64 s[6:7], s[6:7]
	v_mov_b32_e32 v22, s10
	s_xor_b64 exec, exec, s[6:7]
	s_cbranch_execnz .LBB59_3344
.LBB59_1294:
	s_or_b64 exec, exec, s[6:7]
	s_and_saveexec_b64 s[6:7], s[4:5]
	s_cbranch_execz .LBB59_1296
.LBB59_1295:
	v_bfe_u32 v22, v10, 8, 3
	v_ffbh_u32_e32 v24, v22
	v_min_u32_e32 v24, 32, v24
	v_lshrrev_b16_e32 v23, 3, v21
	v_subrev_u32_e32 v25, 28, v24
	v_and_b32_e32 v23, 15, v23
	v_lshlrev_b32_e32 v21, v25, v21
	v_sub_u32_e32 v24, 29, v24
	v_and_b32_e32 v21, 7, v21
	v_cmp_eq_u16_e32 vcc, 0, v23
	v_cndmask_b32_e32 v21, v22, v21, vcc
	v_cndmask_b32_e32 v22, v23, v24, vcc
	v_lshlrev_b32_e32 v23, 16, v10
	v_mov_b32_e32 v24, 0x3b800000
	v_lshlrev_b32_e32 v21, 20, v21
	v_and_b32_e32 v23, 0x80000000, v23
	v_lshl_add_u32 v22, v22, 23, v24
	v_or3_b32 v22, v23, v22, v21
.LBB59_1296:
	s_or_b64 exec, exec, s[6:7]
	s_nop 0
	v_mfma_f32_16x16x4f32 a[0:3], v20, v22, a[0:3]
	s_movk_i32 s4, 0xff
	v_and_b32_sdwa v21, v14, s4 dst_sel:DWORD dst_unused:UNUSED_PAD src0_sel:WORD_1 src1_sel:DWORD
	s_movk_i32 s4, 0x7f
	v_cmp_lt_i16_e32 vcc, s4, v21
	s_mov_b64 s[4:5], 0
                                        ; implicit-def: $sgpr10
	s_and_saveexec_b64 s[6:7], vcc
	s_xor_b64 s[6:7], exec, s[6:7]
	s_cbranch_execnz .LBB59_3345
; %bb.1297:
	s_or_saveexec_b64 s[6:7], s[6:7]
	v_mov_b32_e32 v20, s10
	s_xor_b64 exec, exec, s[6:7]
	s_cbranch_execnz .LBB59_3348
.LBB59_1298:
	s_or_b64 exec, exec, s[6:7]
	s_and_saveexec_b64 s[6:7], s[4:5]
	s_cbranch_execz .LBB59_1300
.LBB59_1299:
	v_bfe_u32 v20, v14, 16, 3
	v_ffbh_u32_e32 v23, v20
	v_min_u32_e32 v23, 32, v23
	v_lshrrev_b32_e32 v21, 19, v14
	v_subrev_u32_e32 v24, 28, v23
	v_and_b32_e32 v21, 15, v21
	v_lshlrev_b32_sdwa v24, v24, v14 dst_sel:DWORD dst_unused:UNUSED_PAD src0_sel:DWORD src1_sel:WORD_1
	v_bfe_u32 v22, v14, 19, 4
	v_sub_u32_e32 v23, 29, v23
	v_and_b32_e32 v24, 7, v24
	v_cmp_eq_u16_e32 vcc, 0, v21
	v_cndmask_b32_e32 v20, v20, v24, vcc
	v_cndmask_b32_e32 v21, v22, v23, vcc
	v_lshlrev_b32_e32 v22, 8, v14
	v_mov_b32_e32 v23, 0x3b800000
	v_lshlrev_b32_e32 v20, 20, v20
	v_and_b32_e32 v22, 0x80000000, v22
	v_lshl_add_u32 v21, v21, 23, v23
	v_or3_b32 v20, v22, v21, v20
.LBB59_1300:
	s_or_b64 exec, exec, s[6:7]
	s_movk_i32 s4, 0xff
	v_and_b32_sdwa v21, v10, s4 dst_sel:DWORD dst_unused:UNUSED_PAD src0_sel:WORD_1 src1_sel:DWORD
	s_movk_i32 s4, 0x7f
	v_cmp_lt_i16_e32 vcc, s4, v21
	s_mov_b64 s[4:5], 0
                                        ; implicit-def: $sgpr10
	s_and_saveexec_b64 s[6:7], vcc
	s_xor_b64 s[6:7], exec, s[6:7]
	s_cbranch_execnz .LBB59_3349
; %bb.1301:
	s_or_saveexec_b64 s[6:7], s[6:7]
	v_mov_b32_e32 v22, s10
	s_xor_b64 exec, exec, s[6:7]
	s_cbranch_execnz .LBB59_3352
.LBB59_1302:
	s_or_b64 exec, exec, s[6:7]
	s_and_saveexec_b64 s[6:7], s[4:5]
	s_cbranch_execz .LBB59_1304
.LBB59_1303:
	v_bfe_u32 v21, v10, 16, 3
	v_ffbh_u32_e32 v24, v21
	v_min_u32_e32 v24, 32, v24
	v_lshrrev_b32_e32 v22, 19, v10
	v_subrev_u32_e32 v25, 28, v24
	v_and_b32_e32 v22, 15, v22
	v_lshlrev_b32_sdwa v25, v25, v10 dst_sel:DWORD dst_unused:UNUSED_PAD src0_sel:DWORD src1_sel:WORD_1
	v_bfe_u32 v23, v10, 19, 4
	v_sub_u32_e32 v24, 29, v24
	v_and_b32_e32 v25, 7, v25
	v_cmp_eq_u16_e32 vcc, 0, v22
	v_cndmask_b32_e32 v21, v21, v25, vcc
	v_cndmask_b32_e32 v22, v23, v24, vcc
	v_lshlrev_b32_e32 v23, 8, v10
	v_mov_b32_e32 v24, 0x3b800000
	v_lshlrev_b32_e32 v21, 20, v21
	v_and_b32_e32 v23, 0x80000000, v23
	v_lshl_add_u32 v22, v22, 23, v24
	v_or3_b32 v22, v23, v22, v21
.LBB59_1304:
	s_or_b64 exec, exec, s[6:7]
	s_nop 0
	v_mfma_f32_16x16x4f32 a[0:3], v20, v22, a[0:3]
	s_movk_i32 s4, 0x7f
	v_cmp_gt_i16_sdwa s[6:7], v14, s4 src0_sel:BYTE_3 src1_sel:DWORD
	s_mov_b64 s[4:5], 0
                                        ; implicit-def: $sgpr10
	s_and_saveexec_b64 s[8:9], s[6:7]
	s_xor_b64 s[6:7], exec, s[8:9]
	s_cbranch_execnz .LBB59_3353
; %bb.1305:
	s_or_saveexec_b64 s[6:7], s[6:7]
	v_mov_b32_e32 v20, s10
	s_xor_b64 exec, exec, s[6:7]
	s_cbranch_execnz .LBB59_3356
.LBB59_1306:
	s_or_b64 exec, exec, s[6:7]
	s_and_saveexec_b64 s[6:7], s[4:5]
	s_cbranch_execz .LBB59_1308
.LBB59_1307:
	v_bfe_u32 v20, v14, 24, 3
	v_ffbh_u32_e32 v24, v20
	v_min_u32_e32 v24, 32, v24
	v_lshrrev_b32_e32 v22, 27, v14
	v_subrev_u32_e32 v25, 28, v24
	v_and_b32_e32 v21, 0x80000000, v14
	v_and_b32_e32 v22, 15, v22
	v_bfe_u32 v23, v14, 27, 4
	v_lshlrev_b32_sdwa v14, v25, v14 dst_sel:DWORD dst_unused:UNUSED_PAD src0_sel:DWORD src1_sel:BYTE_3
	v_sub_u32_e32 v24, 29, v24
	v_and_b32_e32 v14, 7, v14
	v_cmp_eq_u16_e32 vcc, 0, v22
	v_cndmask_b32_e32 v14, v20, v14, vcc
	v_cndmask_b32_e32 v20, v23, v24, vcc
	v_mov_b32_e32 v22, 0x3b800000
	v_lshlrev_b32_e32 v14, 20, v14
	v_lshl_add_u32 v20, v20, 23, v22
	v_or3_b32 v20, v21, v20, v14
.LBB59_1308:
	s_or_b64 exec, exec, s[6:7]
	s_movk_i32 s4, 0x7f
	v_cmp_gt_i16_sdwa s[6:7], v10, s4 src0_sel:BYTE_3 src1_sel:DWORD
	s_mov_b64 s[4:5], 0
                                        ; implicit-def: $sgpr10
	s_and_saveexec_b64 s[8:9], s[6:7]
	s_xor_b64 s[6:7], exec, s[8:9]
	s_cbranch_execnz .LBB59_3357
; %bb.1309:
	s_or_saveexec_b64 s[6:7], s[6:7]
	v_mov_b32_e32 v14, s10
	s_xor_b64 exec, exec, s[6:7]
	s_cbranch_execnz .LBB59_3360
.LBB59_1310:
	s_or_b64 exec, exec, s[6:7]
	s_and_saveexec_b64 s[6:7], s[4:5]
	s_cbranch_execz .LBB59_1312
.LBB59_1311:
	v_bfe_u32 v14, v10, 24, 3
	v_ffbh_u32_e32 v24, v14
	v_min_u32_e32 v24, 32, v24
	v_lshrrev_b32_e32 v22, 27, v10
	v_subrev_u32_e32 v25, 28, v24
	v_and_b32_e32 v21, 0x80000000, v10
	v_and_b32_e32 v22, 15, v22
	v_bfe_u32 v23, v10, 27, 4
	v_lshlrev_b32_sdwa v10, v25, v10 dst_sel:DWORD dst_unused:UNUSED_PAD src0_sel:DWORD src1_sel:BYTE_3
	v_sub_u32_e32 v24, 29, v24
	v_and_b32_e32 v10, 7, v10
	v_cmp_eq_u16_e32 vcc, 0, v22
	v_cndmask_b32_e32 v10, v14, v10, vcc
	v_cndmask_b32_e32 v14, v23, v24, vcc
	v_mov_b32_e32 v22, 0x3b800000
	v_lshlrev_b32_e32 v10, 20, v10
	v_lshl_add_u32 v14, v14, 23, v22
	v_or3_b32 v14, v21, v14, v10
.LBB59_1312:
	s_or_b64 exec, exec, s[6:7]
	s_nop 0
	v_mfma_f32_16x16x4f32 a[0:3], v20, v14, a[0:3]
	s_movk_i32 s4, 0x7f
	v_cmp_gt_i16_sdwa s[6:7], v15, s4 src0_sel:BYTE_0 src1_sel:DWORD
	s_mov_b64 s[4:5], 0
                                        ; implicit-def: $sgpr10
	s_and_saveexec_b64 s[8:9], s[6:7]
	s_xor_b64 s[6:7], exec, s[8:9]
	s_cbranch_execnz .LBB59_3361
; %bb.1313:
	s_or_saveexec_b64 s[6:7], s[6:7]
	v_mov_b32_e32 v10, s10
	s_xor_b64 exec, exec, s[6:7]
	s_cbranch_execnz .LBB59_3364
.LBB59_1314:
	s_or_b64 exec, exec, s[6:7]
	s_and_saveexec_b64 s[6:7], s[4:5]
	s_cbranch_execz .LBB59_1316
.LBB59_1315:
	v_and_b32_e32 v10, 7, v15
	v_ffbh_u32_e32 v20, v10
	v_min_u32_e32 v20, 32, v20
	v_lshrrev_b16_e32 v14, 3, v15
	v_subrev_u32_e32 v21, 28, v20
	v_and_b32_e32 v14, 15, v14
	v_lshlrev_b32_e32 v21, v21, v15
	v_sub_u32_e32 v20, 29, v20
	v_and_b32_e32 v21, 7, v21
	v_cmp_eq_u16_e32 vcc, 0, v14
	v_cndmask_b32_e32 v10, v10, v21, vcc
	v_cndmask_b32_e32 v14, v14, v20, vcc
	v_lshlrev_b32_e32 v20, 24, v15
	v_mov_b32_e32 v21, 0x3b800000
	v_lshlrev_b32_e32 v10, 20, v10
	v_and_b32_e32 v20, 0x80000000, v20
	v_lshl_add_u32 v14, v14, 23, v21
	v_or3_b32 v10, v20, v14, v10
.LBB59_1316:
	s_or_b64 exec, exec, s[6:7]
	s_movk_i32 s4, 0x7f
	v_cmp_gt_i16_sdwa s[6:7], v11, s4 src0_sel:BYTE_0 src1_sel:DWORD
	s_mov_b64 s[4:5], 0
                                        ; implicit-def: $sgpr10
	s_and_saveexec_b64 s[8:9], s[6:7]
	s_xor_b64 s[6:7], exec, s[8:9]
	s_cbranch_execnz .LBB59_3365
; %bb.1317:
	s_or_saveexec_b64 s[6:7], s[6:7]
	v_mov_b32_e32 v14, s10
	s_xor_b64 exec, exec, s[6:7]
	s_cbranch_execnz .LBB59_3368
.LBB59_1318:
	s_or_b64 exec, exec, s[6:7]
	s_and_saveexec_b64 s[6:7], s[4:5]
	s_cbranch_execz .LBB59_1320
.LBB59_1319:
	v_and_b32_e32 v14, 7, v11
	v_ffbh_u32_e32 v21, v14
	v_min_u32_e32 v21, 32, v21
	v_lshrrev_b16_e32 v20, 3, v11
	v_subrev_u32_e32 v22, 28, v21
	v_and_b32_e32 v20, 15, v20
	v_lshlrev_b32_e32 v22, v22, v11
	v_sub_u32_e32 v21, 29, v21
	v_and_b32_e32 v22, 7, v22
	v_cmp_eq_u16_e32 vcc, 0, v20
	v_cndmask_b32_e32 v14, v14, v22, vcc
	v_cndmask_b32_e32 v20, v20, v21, vcc
	v_lshlrev_b32_e32 v21, 24, v11
	v_mov_b32_e32 v22, 0x3b800000
	v_lshlrev_b32_e32 v14, 20, v14
	v_and_b32_e32 v21, 0x80000000, v21
	v_lshl_add_u32 v20, v20, 23, v22
	v_or3_b32 v14, v21, v20, v14
.LBB59_1320:
	s_or_b64 exec, exec, s[6:7]
	s_nop 0
	v_mfma_f32_16x16x4f32 a[0:3], v10, v14, a[0:3]
	v_lshrrev_b32_e32 v14, 8, v15
	s_movk_i32 s4, 0x7f
	v_cmp_gt_i16_sdwa s[6:7], v14, s4 src0_sel:BYTE_0 src1_sel:DWORD
	s_mov_b64 s[4:5], 0
                                        ; implicit-def: $sgpr10
	s_and_saveexec_b64 s[8:9], s[6:7]
	s_xor_b64 s[6:7], exec, s[8:9]
	s_cbranch_execnz .LBB59_3369
; %bb.1321:
	s_or_saveexec_b64 s[6:7], s[6:7]
	v_mov_b32_e32 v10, s10
	s_xor_b64 exec, exec, s[6:7]
	s_cbranch_execnz .LBB59_3372
.LBB59_1322:
	s_or_b64 exec, exec, s[6:7]
	s_and_saveexec_b64 s[6:7], s[4:5]
	s_cbranch_execz .LBB59_1324
.LBB59_1323:
	v_bfe_u32 v10, v15, 8, 3
	v_ffbh_u32_e32 v21, v10
	v_min_u32_e32 v21, 32, v21
	v_lshrrev_b16_e32 v20, 3, v14
	v_subrev_u32_e32 v22, 28, v21
	v_and_b32_e32 v20, 15, v20
	v_lshlrev_b32_e32 v14, v22, v14
	v_sub_u32_e32 v21, 29, v21
	v_and_b32_e32 v14, 7, v14
	v_cmp_eq_u16_e32 vcc, 0, v20
	v_cndmask_b32_e32 v10, v10, v14, vcc
	v_cndmask_b32_e32 v14, v20, v21, vcc
	v_lshlrev_b32_e32 v20, 16, v15
	v_mov_b32_e32 v21, 0x3b800000
	v_lshlrev_b32_e32 v10, 20, v10
	v_and_b32_e32 v20, 0x80000000, v20
	v_lshl_add_u32 v14, v14, 23, v21
	v_or3_b32 v10, v20, v14, v10
.LBB59_1324:
	s_or_b64 exec, exec, s[6:7]
	v_lshrrev_b32_e32 v14, 8, v11
	s_movk_i32 s4, 0x7f
	v_cmp_gt_i16_sdwa s[6:7], v14, s4 src0_sel:BYTE_0 src1_sel:DWORD
	s_mov_b64 s[4:5], 0
                                        ; implicit-def: $sgpr10
	s_and_saveexec_b64 s[8:9], s[6:7]
	s_xor_b64 s[6:7], exec, s[8:9]
	s_cbranch_execnz .LBB59_3373
; %bb.1325:
	s_or_saveexec_b64 s[6:7], s[6:7]
	v_mov_b32_e32 v20, s10
	s_xor_b64 exec, exec, s[6:7]
	s_cbranch_execnz .LBB59_3376
.LBB59_1326:
	s_or_b64 exec, exec, s[6:7]
	s_and_saveexec_b64 s[6:7], s[4:5]
	s_cbranch_execz .LBB59_1328
.LBB59_1327:
	v_bfe_u32 v20, v11, 8, 3
	v_ffbh_u32_e32 v22, v20
	v_min_u32_e32 v22, 32, v22
	v_lshrrev_b16_e32 v21, 3, v14
	v_subrev_u32_e32 v23, 28, v22
	v_and_b32_e32 v21, 15, v21
	v_lshlrev_b32_e32 v14, v23, v14
	v_sub_u32_e32 v22, 29, v22
	v_and_b32_e32 v14, 7, v14
	v_cmp_eq_u16_e32 vcc, 0, v21
	v_cndmask_b32_e32 v14, v20, v14, vcc
	v_cndmask_b32_e32 v20, v21, v22, vcc
	v_lshlrev_b32_e32 v21, 16, v11
	v_mov_b32_e32 v22, 0x3b800000
	v_lshlrev_b32_e32 v14, 20, v14
	v_and_b32_e32 v21, 0x80000000, v21
	v_lshl_add_u32 v20, v20, 23, v22
	v_or3_b32 v20, v21, v20, v14
.LBB59_1328:
	s_or_b64 exec, exec, s[6:7]
	s_nop 0
	v_mfma_f32_16x16x4f32 a[0:3], v10, v20, a[0:3]
	s_movk_i32 s4, 0xff
	v_and_b32_sdwa v14, v15, s4 dst_sel:DWORD dst_unused:UNUSED_PAD src0_sel:WORD_1 src1_sel:DWORD
	s_movk_i32 s4, 0x7f
	v_cmp_lt_i16_e32 vcc, s4, v14
	s_mov_b64 s[4:5], 0
                                        ; implicit-def: $sgpr10
	s_and_saveexec_b64 s[6:7], vcc
	s_xor_b64 s[6:7], exec, s[6:7]
	s_cbranch_execnz .LBB59_3377
; %bb.1329:
	s_or_saveexec_b64 s[6:7], s[6:7]
	v_mov_b32_e32 v10, s10
	s_xor_b64 exec, exec, s[6:7]
	s_cbranch_execnz .LBB59_3380
.LBB59_1330:
	s_or_b64 exec, exec, s[6:7]
	s_and_saveexec_b64 s[6:7], s[4:5]
	s_cbranch_execz .LBB59_1332
.LBB59_1331:
	v_bfe_u32 v10, v15, 16, 3
	v_ffbh_u32_e32 v21, v10
	v_min_u32_e32 v21, 32, v21
	v_lshrrev_b32_e32 v14, 19, v15
	v_subrev_u32_e32 v22, 28, v21
	v_and_b32_e32 v14, 15, v14
	v_lshlrev_b32_sdwa v22, v22, v15 dst_sel:DWORD dst_unused:UNUSED_PAD src0_sel:DWORD src1_sel:WORD_1
	v_bfe_u32 v20, v15, 19, 4
	v_sub_u32_e32 v21, 29, v21
	v_and_b32_e32 v22, 7, v22
	v_cmp_eq_u16_e32 vcc, 0, v14
	v_cndmask_b32_e32 v10, v10, v22, vcc
	v_cndmask_b32_e32 v14, v20, v21, vcc
	v_lshlrev_b32_e32 v20, 8, v15
	v_mov_b32_e32 v21, 0x3b800000
	v_lshlrev_b32_e32 v10, 20, v10
	v_and_b32_e32 v20, 0x80000000, v20
	v_lshl_add_u32 v14, v14, 23, v21
	v_or3_b32 v10, v20, v14, v10
.LBB59_1332:
	s_or_b64 exec, exec, s[6:7]
	s_movk_i32 s4, 0xff
	v_and_b32_sdwa v14, v11, s4 dst_sel:DWORD dst_unused:UNUSED_PAD src0_sel:WORD_1 src1_sel:DWORD
	s_movk_i32 s4, 0x7f
	v_cmp_lt_i16_e32 vcc, s4, v14
	s_mov_b64 s[4:5], 0
                                        ; implicit-def: $sgpr10
	s_and_saveexec_b64 s[6:7], vcc
	s_xor_b64 s[6:7], exec, s[6:7]
	s_cbranch_execnz .LBB59_3381
; %bb.1333:
	s_or_saveexec_b64 s[6:7], s[6:7]
	v_mov_b32_e32 v20, s10
	s_xor_b64 exec, exec, s[6:7]
	s_cbranch_execnz .LBB59_3384
.LBB59_1334:
	s_or_b64 exec, exec, s[6:7]
	s_and_saveexec_b64 s[6:7], s[4:5]
	s_cbranch_execz .LBB59_1336
.LBB59_1335:
	v_bfe_u32 v14, v11, 16, 3
	v_ffbh_u32_e32 v22, v14
	v_min_u32_e32 v22, 32, v22
	v_lshrrev_b32_e32 v20, 19, v11
	v_subrev_u32_e32 v23, 28, v22
	v_and_b32_e32 v20, 15, v20
	v_lshlrev_b32_sdwa v23, v23, v11 dst_sel:DWORD dst_unused:UNUSED_PAD src0_sel:DWORD src1_sel:WORD_1
	v_bfe_u32 v21, v11, 19, 4
	v_sub_u32_e32 v22, 29, v22
	v_and_b32_e32 v23, 7, v23
	v_cmp_eq_u16_e32 vcc, 0, v20
	v_cndmask_b32_e32 v14, v14, v23, vcc
	v_cndmask_b32_e32 v20, v21, v22, vcc
	v_lshlrev_b32_e32 v21, 8, v11
	v_mov_b32_e32 v22, 0x3b800000
	v_lshlrev_b32_e32 v14, 20, v14
	v_and_b32_e32 v21, 0x80000000, v21
	v_lshl_add_u32 v20, v20, 23, v22
	v_or3_b32 v20, v21, v20, v14
.LBB59_1336:
	s_or_b64 exec, exec, s[6:7]
	s_nop 0
	v_mfma_f32_16x16x4f32 a[0:3], v10, v20, a[0:3]
	s_movk_i32 s4, 0x7f
	v_cmp_gt_i16_sdwa s[6:7], v15, s4 src0_sel:BYTE_3 src1_sel:DWORD
	s_mov_b64 s[4:5], 0
                                        ; implicit-def: $sgpr10
	s_and_saveexec_b64 s[8:9], s[6:7]
	s_xor_b64 s[6:7], exec, s[8:9]
	s_cbranch_execnz .LBB59_3385
; %bb.1337:
	s_or_saveexec_b64 s[6:7], s[6:7]
	v_mov_b32_e32 v10, s10
	s_xor_b64 exec, exec, s[6:7]
	s_cbranch_execnz .LBB59_3388
.LBB59_1338:
	s_or_b64 exec, exec, s[6:7]
	s_and_saveexec_b64 s[6:7], s[4:5]
	s_cbranch_execz .LBB59_1340
.LBB59_1339:
	v_bfe_u32 v10, v15, 24, 3
	v_ffbh_u32_e32 v22, v10
	v_min_u32_e32 v22, 32, v22
	v_lshrrev_b32_e32 v20, 27, v15
	v_subrev_u32_e32 v23, 28, v22
	v_and_b32_e32 v14, 0x80000000, v15
	v_and_b32_e32 v20, 15, v20
	v_bfe_u32 v21, v15, 27, 4
	v_lshlrev_b32_sdwa v15, v23, v15 dst_sel:DWORD dst_unused:UNUSED_PAD src0_sel:DWORD src1_sel:BYTE_3
	v_sub_u32_e32 v22, 29, v22
	v_and_b32_e32 v15, 7, v15
	v_cmp_eq_u16_e32 vcc, 0, v20
	v_cndmask_b32_e32 v10, v10, v15, vcc
	v_cndmask_b32_e32 v15, v21, v22, vcc
	v_mov_b32_e32 v20, 0x3b800000
	v_lshlrev_b32_e32 v10, 20, v10
	v_lshl_add_u32 v15, v15, 23, v20
	v_or3_b32 v10, v14, v15, v10
.LBB59_1340:
	s_or_b64 exec, exec, s[6:7]
	s_movk_i32 s4, 0x7f
	v_cmp_gt_i16_sdwa s[6:7], v11, s4 src0_sel:BYTE_3 src1_sel:DWORD
	s_mov_b64 s[4:5], 0
                                        ; implicit-def: $sgpr10
	s_and_saveexec_b64 s[8:9], s[6:7]
	s_xor_b64 s[6:7], exec, s[8:9]
	s_cbranch_execnz .LBB59_3389
; %bb.1341:
	s_or_saveexec_b64 s[6:7], s[6:7]
	v_mov_b32_e32 v14, s10
	s_xor_b64 exec, exec, s[6:7]
	s_cbranch_execnz .LBB59_3392
.LBB59_1342:
	s_or_b64 exec, exec, s[6:7]
	s_and_saveexec_b64 s[6:7], s[4:5]
	s_cbranch_execz .LBB59_1344
.LBB59_1343:
	v_bfe_u32 v14, v11, 24, 3
	v_ffbh_u32_e32 v22, v14
	v_min_u32_e32 v22, 32, v22
	v_lshrrev_b32_e32 v20, 27, v11
	v_subrev_u32_e32 v23, 28, v22
	v_and_b32_e32 v15, 0x80000000, v11
	v_and_b32_e32 v20, 15, v20
	v_bfe_u32 v21, v11, 27, 4
	v_lshlrev_b32_sdwa v11, v23, v11 dst_sel:DWORD dst_unused:UNUSED_PAD src0_sel:DWORD src1_sel:BYTE_3
	v_sub_u32_e32 v22, 29, v22
	v_and_b32_e32 v11, 7, v11
	v_cmp_eq_u16_e32 vcc, 0, v20
	v_cndmask_b32_e32 v11, v14, v11, vcc
	v_cndmask_b32_e32 v14, v21, v22, vcc
	v_mov_b32_e32 v20, 0x3b800000
	v_lshlrev_b32_e32 v11, 20, v11
	v_lshl_add_u32 v14, v14, 23, v20
	v_or3_b32 v14, v15, v14, v11
.LBB59_1344:
	s_or_b64 exec, exec, s[6:7]
	s_nop 0
	v_mfma_f32_16x16x4f32 a[0:3], v10, v14, a[0:3]
	s_movk_i32 s4, 0x7f
	v_cmp_gt_i16_sdwa s[6:7], v16, s4 src0_sel:BYTE_0 src1_sel:DWORD
	s_mov_b64 s[4:5], 0
                                        ; implicit-def: $sgpr10
	s_and_saveexec_b64 s[8:9], s[6:7]
	s_xor_b64 s[6:7], exec, s[8:9]
	s_cbranch_execnz .LBB59_3393
; %bb.1345:
	s_or_saveexec_b64 s[6:7], s[6:7]
	v_mov_b32_e32 v10, s10
	s_xor_b64 exec, exec, s[6:7]
	s_cbranch_execnz .LBB59_3396
.LBB59_1346:
	s_or_b64 exec, exec, s[6:7]
	s_and_saveexec_b64 s[6:7], s[4:5]
	s_cbranch_execz .LBB59_1348
.LBB59_1347:
	v_and_b32_e32 v10, 7, v16
	v_ffbh_u32_e32 v14, v10
	v_min_u32_e32 v14, 32, v14
	v_lshrrev_b16_e32 v11, 3, v16
	v_subrev_u32_e32 v15, 28, v14
	v_and_b32_e32 v11, 15, v11
	v_lshlrev_b32_e32 v15, v15, v16
	v_sub_u32_e32 v14, 29, v14
	v_and_b32_e32 v15, 7, v15
	v_cmp_eq_u16_e32 vcc, 0, v11
	v_cndmask_b32_e32 v10, v10, v15, vcc
	v_cndmask_b32_e32 v11, v11, v14, vcc
	v_lshlrev_b32_e32 v14, 24, v16
	v_mov_b32_e32 v15, 0x3b800000
	v_lshlrev_b32_e32 v10, 20, v10
	v_and_b32_e32 v14, 0x80000000, v14
	v_lshl_add_u32 v11, v11, 23, v15
	v_or3_b32 v10, v14, v11, v10
.LBB59_1348:
	s_or_b64 exec, exec, s[6:7]
	s_movk_i32 s4, 0x7f
	v_cmp_gt_i16_sdwa s[6:7], v12, s4 src0_sel:BYTE_0 src1_sel:DWORD
	s_mov_b64 s[4:5], 0
                                        ; implicit-def: $sgpr10
	s_and_saveexec_b64 s[8:9], s[6:7]
	s_xor_b64 s[6:7], exec, s[8:9]
	s_cbranch_execnz .LBB59_3397
; %bb.1349:
	s_or_saveexec_b64 s[6:7], s[6:7]
	v_mov_b32_e32 v11, s10
	s_xor_b64 exec, exec, s[6:7]
	s_cbranch_execnz .LBB59_3400
.LBB59_1350:
	s_or_b64 exec, exec, s[6:7]
	s_and_saveexec_b64 s[6:7], s[4:5]
	s_cbranch_execz .LBB59_1352
.LBB59_1351:
	v_and_b32_e32 v11, 7, v12
	v_ffbh_u32_e32 v15, v11
	v_min_u32_e32 v15, 32, v15
	v_lshrrev_b16_e32 v14, 3, v12
	v_subrev_u32_e32 v20, 28, v15
	v_and_b32_e32 v14, 15, v14
	v_lshlrev_b32_e32 v20, v20, v12
	v_sub_u32_e32 v15, 29, v15
	v_and_b32_e32 v20, 7, v20
	v_cmp_eq_u16_e32 vcc, 0, v14
	v_cndmask_b32_e32 v11, v11, v20, vcc
	v_cndmask_b32_e32 v14, v14, v15, vcc
	v_lshlrev_b32_e32 v15, 24, v12
	v_mov_b32_e32 v20, 0x3b800000
	v_lshlrev_b32_e32 v11, 20, v11
	v_and_b32_e32 v15, 0x80000000, v15
	v_lshl_add_u32 v14, v14, 23, v20
	v_or3_b32 v11, v15, v14, v11
.LBB59_1352:
	s_or_b64 exec, exec, s[6:7]
	s_nop 0
	v_mfma_f32_16x16x4f32 a[0:3], v10, v11, a[0:3]
	v_lshrrev_b32_e32 v11, 8, v16
	s_movk_i32 s4, 0x7f
	v_cmp_gt_i16_sdwa s[6:7], v11, s4 src0_sel:BYTE_0 src1_sel:DWORD
	s_mov_b64 s[4:5], 0
                                        ; implicit-def: $sgpr10
	s_and_saveexec_b64 s[8:9], s[6:7]
	s_xor_b64 s[6:7], exec, s[8:9]
	s_cbranch_execnz .LBB59_3401
; %bb.1353:
	s_or_saveexec_b64 s[6:7], s[6:7]
	v_mov_b32_e32 v10, s10
	s_xor_b64 exec, exec, s[6:7]
	s_cbranch_execnz .LBB59_3404
.LBB59_1354:
	s_or_b64 exec, exec, s[6:7]
	s_and_saveexec_b64 s[6:7], s[4:5]
	s_cbranch_execz .LBB59_1356
.LBB59_1355:
	v_bfe_u32 v10, v16, 8, 3
	v_ffbh_u32_e32 v15, v10
	v_min_u32_e32 v15, 32, v15
	v_lshrrev_b16_e32 v14, 3, v11
	v_subrev_u32_e32 v20, 28, v15
	v_and_b32_e32 v14, 15, v14
	v_lshlrev_b32_e32 v11, v20, v11
	v_sub_u32_e32 v15, 29, v15
	v_and_b32_e32 v11, 7, v11
	v_cmp_eq_u16_e32 vcc, 0, v14
	v_cndmask_b32_e32 v10, v10, v11, vcc
	v_cndmask_b32_e32 v11, v14, v15, vcc
	v_lshlrev_b32_e32 v14, 16, v16
	v_mov_b32_e32 v15, 0x3b800000
	v_lshlrev_b32_e32 v10, 20, v10
	v_and_b32_e32 v14, 0x80000000, v14
	v_lshl_add_u32 v11, v11, 23, v15
	v_or3_b32 v10, v14, v11, v10
.LBB59_1356:
	s_or_b64 exec, exec, s[6:7]
	v_lshrrev_b32_e32 v11, 8, v12
	s_movk_i32 s4, 0x7f
	v_cmp_gt_i16_sdwa s[6:7], v11, s4 src0_sel:BYTE_0 src1_sel:DWORD
	s_mov_b64 s[4:5], 0
                                        ; implicit-def: $sgpr10
	s_and_saveexec_b64 s[8:9], s[6:7]
	s_xor_b64 s[6:7], exec, s[8:9]
	s_cbranch_execnz .LBB59_3405
; %bb.1357:
	s_or_saveexec_b64 s[6:7], s[6:7]
	v_mov_b32_e32 v14, s10
	s_xor_b64 exec, exec, s[6:7]
	s_cbranch_execnz .LBB59_3408
.LBB59_1358:
	s_or_b64 exec, exec, s[6:7]
	s_and_saveexec_b64 s[6:7], s[4:5]
	s_cbranch_execz .LBB59_1360
.LBB59_1359:
	v_bfe_u32 v14, v12, 8, 3
	v_ffbh_u32_e32 v20, v14
	v_min_u32_e32 v20, 32, v20
	v_lshrrev_b16_e32 v15, 3, v11
	v_subrev_u32_e32 v21, 28, v20
	v_and_b32_e32 v15, 15, v15
	v_lshlrev_b32_e32 v11, v21, v11
	v_sub_u32_e32 v20, 29, v20
	v_and_b32_e32 v11, 7, v11
	v_cmp_eq_u16_e32 vcc, 0, v15
	v_cndmask_b32_e32 v11, v14, v11, vcc
	v_cndmask_b32_e32 v14, v15, v20, vcc
	v_lshlrev_b32_e32 v15, 16, v12
	v_mov_b32_e32 v20, 0x3b800000
	v_lshlrev_b32_e32 v11, 20, v11
	v_and_b32_e32 v15, 0x80000000, v15
	v_lshl_add_u32 v14, v14, 23, v20
	v_or3_b32 v14, v15, v14, v11
.LBB59_1360:
	s_or_b64 exec, exec, s[6:7]
	s_nop 0
	v_mfma_f32_16x16x4f32 a[0:3], v10, v14, a[0:3]
	s_movk_i32 s4, 0xff
	v_and_b32_sdwa v11, v16, s4 dst_sel:DWORD dst_unused:UNUSED_PAD src0_sel:WORD_1 src1_sel:DWORD
	s_movk_i32 s4, 0x7f
	v_cmp_lt_i16_e32 vcc, s4, v11
	s_mov_b64 s[4:5], 0
                                        ; implicit-def: $sgpr10
	s_and_saveexec_b64 s[6:7], vcc
	s_xor_b64 s[6:7], exec, s[6:7]
	s_cbranch_execnz .LBB59_3409
; %bb.1361:
	s_or_saveexec_b64 s[6:7], s[6:7]
	v_mov_b32_e32 v10, s10
	s_xor_b64 exec, exec, s[6:7]
	s_cbranch_execnz .LBB59_3412
.LBB59_1362:
	s_or_b64 exec, exec, s[6:7]
	s_and_saveexec_b64 s[6:7], s[4:5]
	s_cbranch_execz .LBB59_1364
.LBB59_1363:
	v_bfe_u32 v10, v16, 16, 3
	v_ffbh_u32_e32 v15, v10
	v_min_u32_e32 v15, 32, v15
	v_lshrrev_b32_e32 v11, 19, v16
	v_subrev_u32_e32 v20, 28, v15
	v_and_b32_e32 v11, 15, v11
	v_lshlrev_b32_sdwa v20, v20, v16 dst_sel:DWORD dst_unused:UNUSED_PAD src0_sel:DWORD src1_sel:WORD_1
	v_bfe_u32 v14, v16, 19, 4
	v_sub_u32_e32 v15, 29, v15
	v_and_b32_e32 v20, 7, v20
	v_cmp_eq_u16_e32 vcc, 0, v11
	v_cndmask_b32_e32 v10, v10, v20, vcc
	v_cndmask_b32_e32 v11, v14, v15, vcc
	v_lshlrev_b32_e32 v14, 8, v16
	v_mov_b32_e32 v15, 0x3b800000
	v_lshlrev_b32_e32 v10, 20, v10
	v_and_b32_e32 v14, 0x80000000, v14
	v_lshl_add_u32 v11, v11, 23, v15
	v_or3_b32 v10, v14, v11, v10
.LBB59_1364:
	s_or_b64 exec, exec, s[6:7]
	s_movk_i32 s4, 0xff
	v_and_b32_sdwa v11, v12, s4 dst_sel:DWORD dst_unused:UNUSED_PAD src0_sel:WORD_1 src1_sel:DWORD
	s_movk_i32 s4, 0x7f
	v_cmp_lt_i16_e32 vcc, s4, v11
	s_mov_b64 s[4:5], 0
                                        ; implicit-def: $sgpr10
	s_and_saveexec_b64 s[6:7], vcc
	s_xor_b64 s[6:7], exec, s[6:7]
	s_cbranch_execnz .LBB59_3413
; %bb.1365:
	s_or_saveexec_b64 s[6:7], s[6:7]
	v_mov_b32_e32 v14, s10
	s_xor_b64 exec, exec, s[6:7]
	s_cbranch_execnz .LBB59_3416
.LBB59_1366:
	s_or_b64 exec, exec, s[6:7]
	s_and_saveexec_b64 s[6:7], s[4:5]
	s_cbranch_execz .LBB59_1368
.LBB59_1367:
	v_bfe_u32 v11, v12, 16, 3
	v_ffbh_u32_e32 v20, v11
	v_min_u32_e32 v20, 32, v20
	v_lshrrev_b32_e32 v14, 19, v12
	v_subrev_u32_e32 v21, 28, v20
	v_and_b32_e32 v14, 15, v14
	v_lshlrev_b32_sdwa v21, v21, v12 dst_sel:DWORD dst_unused:UNUSED_PAD src0_sel:DWORD src1_sel:WORD_1
	v_bfe_u32 v15, v12, 19, 4
	v_sub_u32_e32 v20, 29, v20
	v_and_b32_e32 v21, 7, v21
	v_cmp_eq_u16_e32 vcc, 0, v14
	v_cndmask_b32_e32 v11, v11, v21, vcc
	v_cndmask_b32_e32 v14, v15, v20, vcc
	v_lshlrev_b32_e32 v15, 8, v12
	v_mov_b32_e32 v20, 0x3b800000
	v_lshlrev_b32_e32 v11, 20, v11
	v_and_b32_e32 v15, 0x80000000, v15
	v_lshl_add_u32 v14, v14, 23, v20
	v_or3_b32 v14, v15, v14, v11
.LBB59_1368:
	s_or_b64 exec, exec, s[6:7]
	s_nop 0
	v_mfma_f32_16x16x4f32 a[0:3], v10, v14, a[0:3]
	s_movk_i32 s4, 0x7f
	v_cmp_gt_i16_sdwa s[6:7], v16, s4 src0_sel:BYTE_3 src1_sel:DWORD
	s_mov_b64 s[4:5], 0
                                        ; implicit-def: $sgpr10
	s_and_saveexec_b64 s[8:9], s[6:7]
	s_xor_b64 s[6:7], exec, s[8:9]
	s_cbranch_execnz .LBB59_3417
; %bb.1369:
	s_or_saveexec_b64 s[6:7], s[6:7]
	v_mov_b32_e32 v10, s10
	s_xor_b64 exec, exec, s[6:7]
	s_cbranch_execnz .LBB59_3420
.LBB59_1370:
	s_or_b64 exec, exec, s[6:7]
	s_and_saveexec_b64 s[6:7], s[4:5]
	s_cbranch_execz .LBB59_1372
.LBB59_1371:
	v_bfe_u32 v10, v16, 24, 3
	v_ffbh_u32_e32 v20, v10
	v_min_u32_e32 v20, 32, v20
	v_lshrrev_b32_e32 v14, 27, v16
	v_subrev_u32_e32 v21, 28, v20
	v_and_b32_e32 v11, 0x80000000, v16
	v_and_b32_e32 v14, 15, v14
	v_bfe_u32 v15, v16, 27, 4
	v_lshlrev_b32_sdwa v16, v21, v16 dst_sel:DWORD dst_unused:UNUSED_PAD src0_sel:DWORD src1_sel:BYTE_3
	v_sub_u32_e32 v20, 29, v20
	v_and_b32_e32 v16, 7, v16
	v_cmp_eq_u16_e32 vcc, 0, v14
	v_cndmask_b32_e32 v10, v10, v16, vcc
	v_cndmask_b32_e32 v14, v15, v20, vcc
	v_mov_b32_e32 v15, 0x3b800000
	v_lshlrev_b32_e32 v10, 20, v10
	v_lshl_add_u32 v14, v14, 23, v15
	v_or3_b32 v10, v11, v14, v10
.LBB59_1372:
	s_or_b64 exec, exec, s[6:7]
	s_movk_i32 s4, 0x7f
	v_cmp_gt_i16_sdwa s[6:7], v12, s4 src0_sel:BYTE_3 src1_sel:DWORD
	s_mov_b64 s[4:5], 0
                                        ; implicit-def: $sgpr10
	s_and_saveexec_b64 s[8:9], s[6:7]
	s_xor_b64 s[6:7], exec, s[8:9]
	s_cbranch_execnz .LBB59_3421
; %bb.1373:
	s_or_saveexec_b64 s[6:7], s[6:7]
	v_mov_b32_e32 v11, s10
	s_xor_b64 exec, exec, s[6:7]
	s_cbranch_execnz .LBB59_3424
.LBB59_1374:
	s_or_b64 exec, exec, s[6:7]
	s_and_saveexec_b64 s[6:7], s[4:5]
	s_cbranch_execz .LBB59_1376
.LBB59_1375:
	v_bfe_u32 v11, v12, 24, 3
	v_ffbh_u32_e32 v20, v11
	v_min_u32_e32 v20, 32, v20
	v_lshrrev_b32_e32 v15, 27, v12
	v_subrev_u32_e32 v21, 28, v20
	v_and_b32_e32 v14, 0x80000000, v12
	v_and_b32_e32 v15, 15, v15
	v_bfe_u32 v16, v12, 27, 4
	v_lshlrev_b32_sdwa v12, v21, v12 dst_sel:DWORD dst_unused:UNUSED_PAD src0_sel:DWORD src1_sel:BYTE_3
	v_sub_u32_e32 v20, 29, v20
	v_and_b32_e32 v12, 7, v12
	v_cmp_eq_u16_e32 vcc, 0, v15
	v_cndmask_b32_e32 v11, v11, v12, vcc
	v_cndmask_b32_e32 v12, v16, v20, vcc
	v_mov_b32_e32 v15, 0x3b800000
	v_lshlrev_b32_e32 v11, 20, v11
	v_lshl_add_u32 v12, v12, 23, v15
	v_or3_b32 v11, v14, v12, v11
.LBB59_1376:
	s_or_b64 exec, exec, s[6:7]
	s_nop 0
	v_mfma_f32_16x16x4f32 a[0:3], v10, v11, a[0:3]
	s_movk_i32 s4, 0x7f
	v_cmp_gt_i16_sdwa s[6:7], v17, s4 src0_sel:BYTE_0 src1_sel:DWORD
	s_mov_b64 s[4:5], 0
                                        ; implicit-def: $sgpr10
	s_and_saveexec_b64 s[8:9], s[6:7]
	s_xor_b64 s[6:7], exec, s[8:9]
	s_cbranch_execnz .LBB59_3425
; %bb.1377:
	s_or_saveexec_b64 s[6:7], s[6:7]
	v_mov_b32_e32 v10, s10
	s_xor_b64 exec, exec, s[6:7]
	s_cbranch_execnz .LBB59_3428
.LBB59_1378:
	s_or_b64 exec, exec, s[6:7]
	s_and_saveexec_b64 s[6:7], s[4:5]
	s_cbranch_execz .LBB59_1380
.LBB59_1379:
	v_and_b32_e32 v10, 7, v17
	v_ffbh_u32_e32 v12, v10
	v_min_u32_e32 v12, 32, v12
	v_lshrrev_b16_e32 v11, 3, v17
	v_subrev_u32_e32 v14, 28, v12
	v_and_b32_e32 v11, 15, v11
	v_lshlrev_b32_e32 v14, v14, v17
	v_sub_u32_e32 v12, 29, v12
	v_and_b32_e32 v14, 7, v14
	v_cmp_eq_u16_e32 vcc, 0, v11
	v_cndmask_b32_e32 v10, v10, v14, vcc
	v_cndmask_b32_e32 v11, v11, v12, vcc
	v_lshlrev_b32_e32 v12, 24, v17
	v_mov_b32_e32 v14, 0x3b800000
	v_lshlrev_b32_e32 v10, 20, v10
	v_and_b32_e32 v12, 0x80000000, v12
	v_lshl_add_u32 v11, v11, 23, v14
	v_or3_b32 v10, v12, v11, v10
.LBB59_1380:
	s_or_b64 exec, exec, s[6:7]
	s_movk_i32 s4, 0x7f
	v_cmp_gt_i16_sdwa s[6:7], v13, s4 src0_sel:BYTE_0 src1_sel:DWORD
	s_mov_b64 s[4:5], 0
                                        ; implicit-def: $sgpr10
	s_and_saveexec_b64 s[8:9], s[6:7]
	s_xor_b64 s[6:7], exec, s[8:9]
	s_cbranch_execnz .LBB59_3429
; %bb.1381:
	s_or_saveexec_b64 s[6:7], s[6:7]
	v_mov_b32_e32 v11, s10
	s_xor_b64 exec, exec, s[6:7]
	s_cbranch_execnz .LBB59_3432
.LBB59_1382:
	s_or_b64 exec, exec, s[6:7]
	s_and_saveexec_b64 s[6:7], s[4:5]
	s_cbranch_execz .LBB59_1384
.LBB59_1383:
	v_and_b32_e32 v11, 7, v13
	v_ffbh_u32_e32 v14, v11
	v_min_u32_e32 v14, 32, v14
	v_lshrrev_b16_e32 v12, 3, v13
	v_subrev_u32_e32 v15, 28, v14
	v_and_b32_e32 v12, 15, v12
	v_lshlrev_b32_e32 v15, v15, v13
	v_sub_u32_e32 v14, 29, v14
	v_and_b32_e32 v15, 7, v15
	v_cmp_eq_u16_e32 vcc, 0, v12
	v_cndmask_b32_e32 v11, v11, v15, vcc
	v_cndmask_b32_e32 v12, v12, v14, vcc
	v_lshlrev_b32_e32 v14, 24, v13
	v_mov_b32_e32 v15, 0x3b800000
	v_lshlrev_b32_e32 v11, 20, v11
	v_and_b32_e32 v14, 0x80000000, v14
	v_lshl_add_u32 v12, v12, 23, v15
	v_or3_b32 v11, v14, v12, v11
.LBB59_1384:
	s_or_b64 exec, exec, s[6:7]
	s_nop 0
	v_mfma_f32_16x16x4f32 a[0:3], v10, v11, a[0:3]
	v_lshrrev_b32_e32 v11, 8, v17
	s_movk_i32 s4, 0x7f
	v_cmp_gt_i16_sdwa s[6:7], v11, s4 src0_sel:BYTE_0 src1_sel:DWORD
	s_mov_b64 s[4:5], 0
                                        ; implicit-def: $sgpr10
	s_and_saveexec_b64 s[8:9], s[6:7]
	s_xor_b64 s[6:7], exec, s[8:9]
	s_cbranch_execnz .LBB59_3433
; %bb.1385:
	s_or_saveexec_b64 s[6:7], s[6:7]
	v_mov_b32_e32 v10, s10
	s_xor_b64 exec, exec, s[6:7]
	s_cbranch_execnz .LBB59_3436
.LBB59_1386:
	s_or_b64 exec, exec, s[6:7]
	s_and_saveexec_b64 s[6:7], s[4:5]
	s_cbranch_execz .LBB59_1388
.LBB59_1387:
	v_bfe_u32 v10, v17, 8, 3
	v_ffbh_u32_e32 v14, v10
	v_min_u32_e32 v14, 32, v14
	v_lshrrev_b16_e32 v12, 3, v11
	v_subrev_u32_e32 v15, 28, v14
	v_and_b32_e32 v12, 15, v12
	v_lshlrev_b32_e32 v11, v15, v11
	v_sub_u32_e32 v14, 29, v14
	v_and_b32_e32 v11, 7, v11
	v_cmp_eq_u16_e32 vcc, 0, v12
	v_cndmask_b32_e32 v10, v10, v11, vcc
	v_cndmask_b32_e32 v11, v12, v14, vcc
	v_lshlrev_b32_e32 v12, 16, v17
	v_mov_b32_e32 v14, 0x3b800000
	v_lshlrev_b32_e32 v10, 20, v10
	v_and_b32_e32 v12, 0x80000000, v12
	v_lshl_add_u32 v11, v11, 23, v14
	v_or3_b32 v10, v12, v11, v10
.LBB59_1388:
	s_or_b64 exec, exec, s[6:7]
	v_lshrrev_b32_e32 v11, 8, v13
	s_movk_i32 s4, 0x7f
	v_cmp_gt_i16_sdwa s[6:7], v11, s4 src0_sel:BYTE_0 src1_sel:DWORD
	s_mov_b64 s[4:5], 0
                                        ; implicit-def: $sgpr10
	s_and_saveexec_b64 s[8:9], s[6:7]
	s_xor_b64 s[6:7], exec, s[8:9]
	s_cbranch_execnz .LBB59_3437
; %bb.1389:
	s_or_saveexec_b64 s[6:7], s[6:7]
	v_mov_b32_e32 v12, s10
	s_xor_b64 exec, exec, s[6:7]
	s_cbranch_execnz .LBB59_3440
.LBB59_1390:
	s_or_b64 exec, exec, s[6:7]
	s_and_saveexec_b64 s[6:7], s[4:5]
	s_cbranch_execz .LBB59_1392
.LBB59_1391:
	v_bfe_u32 v12, v13, 8, 3
	v_ffbh_u32_e32 v15, v12
	v_min_u32_e32 v15, 32, v15
	v_lshrrev_b16_e32 v14, 3, v11
	v_subrev_u32_e32 v16, 28, v15
	v_and_b32_e32 v14, 15, v14
	v_lshlrev_b32_e32 v11, v16, v11
	v_sub_u32_e32 v15, 29, v15
	v_and_b32_e32 v11, 7, v11
	v_cmp_eq_u16_e32 vcc, 0, v14
	v_cndmask_b32_e32 v11, v12, v11, vcc
	v_cndmask_b32_e32 v12, v14, v15, vcc
	v_lshlrev_b32_e32 v14, 16, v13
	v_mov_b32_e32 v15, 0x3b800000
	v_lshlrev_b32_e32 v11, 20, v11
	v_and_b32_e32 v14, 0x80000000, v14
	v_lshl_add_u32 v12, v12, 23, v15
	v_or3_b32 v12, v14, v12, v11
.LBB59_1392:
	s_or_b64 exec, exec, s[6:7]
	s_nop 0
	v_mfma_f32_16x16x4f32 a[0:3], v10, v12, a[0:3]
	s_movk_i32 s4, 0xff
	v_and_b32_sdwa v11, v17, s4 dst_sel:DWORD dst_unused:UNUSED_PAD src0_sel:WORD_1 src1_sel:DWORD
	s_movk_i32 s4, 0x7f
	v_cmp_lt_i16_e32 vcc, s4, v11
	s_mov_b64 s[4:5], 0
                                        ; implicit-def: $sgpr10
	s_and_saveexec_b64 s[6:7], vcc
	s_xor_b64 s[6:7], exec, s[6:7]
	s_cbranch_execnz .LBB59_3441
; %bb.1393:
	s_or_saveexec_b64 s[6:7], s[6:7]
	v_mov_b32_e32 v10, s10
	s_xor_b64 exec, exec, s[6:7]
	s_cbranch_execnz .LBB59_3444
.LBB59_1394:
	s_or_b64 exec, exec, s[6:7]
	s_and_saveexec_b64 s[6:7], s[4:5]
	s_cbranch_execz .LBB59_1396
.LBB59_1395:
	v_bfe_u32 v10, v17, 16, 3
	v_ffbh_u32_e32 v14, v10
	v_min_u32_e32 v14, 32, v14
	v_lshrrev_b32_e32 v11, 19, v17
	v_subrev_u32_e32 v15, 28, v14
	v_and_b32_e32 v11, 15, v11
	v_lshlrev_b32_sdwa v15, v15, v17 dst_sel:DWORD dst_unused:UNUSED_PAD src0_sel:DWORD src1_sel:WORD_1
	v_bfe_u32 v12, v17, 19, 4
	v_sub_u32_e32 v14, 29, v14
	v_and_b32_e32 v15, 7, v15
	v_cmp_eq_u16_e32 vcc, 0, v11
	v_cndmask_b32_e32 v10, v10, v15, vcc
	v_cndmask_b32_e32 v11, v12, v14, vcc
	v_lshlrev_b32_e32 v12, 8, v17
	v_mov_b32_e32 v14, 0x3b800000
	v_lshlrev_b32_e32 v10, 20, v10
	v_and_b32_e32 v12, 0x80000000, v12
	v_lshl_add_u32 v11, v11, 23, v14
	v_or3_b32 v10, v12, v11, v10
.LBB59_1396:
	s_or_b64 exec, exec, s[6:7]
	s_movk_i32 s4, 0xff
	v_and_b32_sdwa v11, v13, s4 dst_sel:DWORD dst_unused:UNUSED_PAD src0_sel:WORD_1 src1_sel:DWORD
	s_movk_i32 s4, 0x7f
	v_cmp_lt_i16_e32 vcc, s4, v11
	s_mov_b64 s[4:5], 0
                                        ; implicit-def: $sgpr10
	s_and_saveexec_b64 s[6:7], vcc
	s_xor_b64 s[6:7], exec, s[6:7]
	s_cbranch_execnz .LBB59_3445
; %bb.1397:
	s_or_saveexec_b64 s[6:7], s[6:7]
	v_mov_b32_e32 v12, s10
	s_xor_b64 exec, exec, s[6:7]
	s_cbranch_execnz .LBB59_3448
.LBB59_1398:
	s_or_b64 exec, exec, s[6:7]
	s_and_saveexec_b64 s[6:7], s[4:5]
	s_cbranch_execz .LBB59_1400
.LBB59_1399:
	v_bfe_u32 v11, v13, 16, 3
	v_ffbh_u32_e32 v15, v11
	v_min_u32_e32 v15, 32, v15
	v_lshrrev_b32_e32 v12, 19, v13
	v_subrev_u32_e32 v16, 28, v15
	v_and_b32_e32 v12, 15, v12
	v_lshlrev_b32_sdwa v16, v16, v13 dst_sel:DWORD dst_unused:UNUSED_PAD src0_sel:DWORD src1_sel:WORD_1
	v_bfe_u32 v14, v13, 19, 4
	v_sub_u32_e32 v15, 29, v15
	v_and_b32_e32 v16, 7, v16
	v_cmp_eq_u16_e32 vcc, 0, v12
	v_cndmask_b32_e32 v11, v11, v16, vcc
	v_cndmask_b32_e32 v12, v14, v15, vcc
	v_lshlrev_b32_e32 v14, 8, v13
	v_mov_b32_e32 v15, 0x3b800000
	v_lshlrev_b32_e32 v11, 20, v11
	v_and_b32_e32 v14, 0x80000000, v14
	v_lshl_add_u32 v12, v12, 23, v15
	v_or3_b32 v12, v14, v12, v11
.LBB59_1400:
	s_or_b64 exec, exec, s[6:7]
	s_nop 0
	v_mfma_f32_16x16x4f32 a[0:3], v10, v12, a[0:3]
	s_movk_i32 s4, 0x7f
	v_cmp_gt_i16_sdwa s[6:7], v17, s4 src0_sel:BYTE_3 src1_sel:DWORD
	s_mov_b64 s[4:5], 0
                                        ; implicit-def: $sgpr10
	s_and_saveexec_b64 s[8:9], s[6:7]
	s_xor_b64 s[6:7], exec, s[8:9]
	s_cbranch_execnz .LBB59_3449
; %bb.1401:
	s_or_saveexec_b64 s[6:7], s[6:7]
	v_mov_b32_e32 v10, s10
	s_xor_b64 exec, exec, s[6:7]
	s_cbranch_execnz .LBB59_3452
.LBB59_1402:
	s_or_b64 exec, exec, s[6:7]
	s_and_saveexec_b64 s[6:7], s[4:5]
	s_cbranch_execz .LBB59_1404
.LBB59_1403:
	v_bfe_u32 v10, v17, 24, 3
	v_ffbh_u32_e32 v15, v10
	v_min_u32_e32 v15, 32, v15
	v_lshrrev_b32_e32 v12, 27, v17
	v_subrev_u32_e32 v16, 28, v15
	v_and_b32_e32 v12, 15, v12
	v_lshlrev_b32_sdwa v16, v16, v17 dst_sel:DWORD dst_unused:UNUSED_PAD src0_sel:DWORD src1_sel:BYTE_3
	v_bfe_u32 v14, v17, 27, 4
	v_sub_u32_e32 v15, 29, v15
	v_and_b32_e32 v16, 7, v16
	v_cmp_eq_u16_e32 vcc, 0, v12
	v_cndmask_b32_e32 v10, v10, v16, vcc
	v_cndmask_b32_e32 v12, v14, v15, vcc
	v_mov_b32_e32 v14, 0x3b800000
	v_and_b32_e32 v11, 0x80000000, v17
	v_lshlrev_b32_e32 v10, 20, v10
	v_lshl_add_u32 v12, v12, 23, v14
	v_or3_b32 v10, v11, v12, v10
.LBB59_1404:
	s_or_b64 exec, exec, s[6:7]
	s_movk_i32 s4, 0x7f
	v_cmp_gt_i16_sdwa s[6:7], v13, s4 src0_sel:BYTE_3 src1_sel:DWORD
	s_mov_b64 s[4:5], 0
                                        ; implicit-def: $sgpr10
	s_and_saveexec_b64 s[8:9], s[6:7]
	s_xor_b64 s[6:7], exec, s[8:9]
	s_cbranch_execnz .LBB59_3453
; %bb.1405:
	s_or_saveexec_b64 s[6:7], s[6:7]
	v_mov_b32_e32 v11, s10
	s_xor_b64 exec, exec, s[6:7]
	s_cbranch_execnz .LBB59_3456
.LBB59_1406:
	s_or_b64 exec, exec, s[6:7]
	s_and_saveexec_b64 s[6:7], s[4:5]
	s_cbranch_execz .LBB59_1408
.LBB59_1407:
	v_bfe_u32 v11, v13, 24, 3
	v_ffbh_u32_e32 v16, v11
	v_min_u32_e32 v16, 32, v16
	v_lshrrev_b32_e32 v14, 27, v13
	v_subrev_u32_e32 v17, 28, v16
	v_and_b32_e32 v12, 0x80000000, v13
	v_and_b32_e32 v14, 15, v14
	v_bfe_u32 v15, v13, 27, 4
	v_lshlrev_b32_sdwa v13, v17, v13 dst_sel:DWORD dst_unused:UNUSED_PAD src0_sel:DWORD src1_sel:BYTE_3
	v_sub_u32_e32 v16, 29, v16
	v_and_b32_e32 v13, 7, v13
	v_cmp_eq_u16_e32 vcc, 0, v14
	v_cndmask_b32_e32 v11, v11, v13, vcc
	v_cndmask_b32_e32 v13, v15, v16, vcc
	v_mov_b32_e32 v14, 0x3b800000
	v_lshlrev_b32_e32 v11, 20, v11
	v_lshl_add_u32 v13, v13, 23, v14
	v_or3_b32 v11, v12, v13, v11
.LBB59_1408:
	s_or_b64 exec, exec, s[6:7]
	s_nop 0
	v_mfma_f32_16x16x4f32 a[0:3], v10, v11, a[0:3]
	s_movk_i32 s4, 0x7f
	v_cmp_gt_i16_sdwa s[6:7], v6, s4 src0_sel:BYTE_0 src1_sel:DWORD
	s_mov_b64 s[4:5], 0
                                        ; implicit-def: $sgpr10
	s_and_saveexec_b64 s[8:9], s[6:7]
	s_xor_b64 s[6:7], exec, s[8:9]
	s_cbranch_execnz .LBB59_3457
; %bb.1409:
	s_or_saveexec_b64 s[6:7], s[6:7]
	v_mov_b32_e32 v10, s10
	s_xor_b64 exec, exec, s[6:7]
	s_cbranch_execnz .LBB59_3460
.LBB59_1410:
	s_or_b64 exec, exec, s[6:7]
	s_and_saveexec_b64 s[6:7], s[4:5]
	s_cbranch_execz .LBB59_1412
.LBB59_1411:
	v_and_b32_e32 v10, 7, v6
	v_ffbh_u32_e32 v12, v10
	v_min_u32_e32 v12, 32, v12
	v_lshrrev_b16_e32 v11, 3, v6
	v_subrev_u32_e32 v13, 28, v12
	v_and_b32_e32 v11, 15, v11
	v_lshlrev_b32_e32 v13, v13, v6
	v_sub_u32_e32 v12, 29, v12
	v_and_b32_e32 v13, 7, v13
	v_cmp_eq_u16_e32 vcc, 0, v11
	v_cndmask_b32_e32 v10, v10, v13, vcc
	v_cndmask_b32_e32 v11, v11, v12, vcc
	v_lshlrev_b32_e32 v12, 24, v6
	v_mov_b32_e32 v13, 0x3b800000
	v_lshlrev_b32_e32 v10, 20, v10
	v_and_b32_e32 v12, 0x80000000, v12
	v_lshl_add_u32 v11, v11, 23, v13
	v_or3_b32 v10, v12, v11, v10
.LBB59_1412:
	s_or_b64 exec, exec, s[6:7]
	s_movk_i32 s4, 0x7f
	v_cmp_gt_i16_sdwa s[6:7], v2, s4 src0_sel:BYTE_0 src1_sel:DWORD
	s_mov_b64 s[4:5], 0
                                        ; implicit-def: $sgpr10
	s_and_saveexec_b64 s[8:9], s[6:7]
	s_xor_b64 s[6:7], exec, s[8:9]
	s_cbranch_execnz .LBB59_3461
; %bb.1413:
	s_or_saveexec_b64 s[6:7], s[6:7]
	v_mov_b32_e32 v11, s10
	s_xor_b64 exec, exec, s[6:7]
	s_cbranch_execnz .LBB59_3464
.LBB59_1414:
	s_or_b64 exec, exec, s[6:7]
	s_and_saveexec_b64 s[6:7], s[4:5]
	s_cbranch_execz .LBB59_1416
.LBB59_1415:
	v_and_b32_e32 v11, 7, v2
	v_ffbh_u32_e32 v13, v11
	v_min_u32_e32 v13, 32, v13
	v_lshrrev_b16_e32 v12, 3, v2
	v_subrev_u32_e32 v14, 28, v13
	v_and_b32_e32 v12, 15, v12
	v_lshlrev_b32_e32 v14, v14, v2
	v_sub_u32_e32 v13, 29, v13
	v_and_b32_e32 v14, 7, v14
	v_cmp_eq_u16_e32 vcc, 0, v12
	v_cndmask_b32_e32 v11, v11, v14, vcc
	v_cndmask_b32_e32 v12, v12, v13, vcc
	v_lshlrev_b32_e32 v13, 24, v2
	v_mov_b32_e32 v14, 0x3b800000
	v_lshlrev_b32_e32 v11, 20, v11
	v_and_b32_e32 v13, 0x80000000, v13
	v_lshl_add_u32 v12, v12, 23, v14
	v_or3_b32 v11, v13, v12, v11
.LBB59_1416:
	s_or_b64 exec, exec, s[6:7]
	s_nop 0
	v_mfma_f32_16x16x4f32 a[0:3], v10, v11, a[0:3]
	v_lshrrev_b32_e32 v11, 8, v6
	s_movk_i32 s4, 0x7f
	v_cmp_gt_i16_sdwa s[6:7], v11, s4 src0_sel:BYTE_0 src1_sel:DWORD
	s_mov_b64 s[4:5], 0
                                        ; implicit-def: $sgpr10
	s_and_saveexec_b64 s[8:9], s[6:7]
	s_xor_b64 s[6:7], exec, s[8:9]
	s_cbranch_execnz .LBB59_3465
; %bb.1417:
	s_or_saveexec_b64 s[6:7], s[6:7]
	v_mov_b32_e32 v10, s10
	s_xor_b64 exec, exec, s[6:7]
	s_cbranch_execnz .LBB59_3468
.LBB59_1418:
	s_or_b64 exec, exec, s[6:7]
	s_and_saveexec_b64 s[6:7], s[4:5]
	s_cbranch_execz .LBB59_1420
.LBB59_1419:
	v_bfe_u32 v10, v6, 8, 3
	v_ffbh_u32_e32 v13, v10
	v_min_u32_e32 v13, 32, v13
	v_lshrrev_b16_e32 v12, 3, v11
	v_subrev_u32_e32 v14, 28, v13
	v_and_b32_e32 v12, 15, v12
	v_lshlrev_b32_e32 v11, v14, v11
	v_sub_u32_e32 v13, 29, v13
	v_and_b32_e32 v11, 7, v11
	v_cmp_eq_u16_e32 vcc, 0, v12
	v_cndmask_b32_e32 v10, v10, v11, vcc
	v_cndmask_b32_e32 v11, v12, v13, vcc
	v_lshlrev_b32_e32 v12, 16, v6
	v_mov_b32_e32 v13, 0x3b800000
	v_lshlrev_b32_e32 v10, 20, v10
	v_and_b32_e32 v12, 0x80000000, v12
	v_lshl_add_u32 v11, v11, 23, v13
	v_or3_b32 v10, v12, v11, v10
.LBB59_1420:
	s_or_b64 exec, exec, s[6:7]
	v_lshrrev_b32_e32 v11, 8, v2
	s_movk_i32 s4, 0x7f
	v_cmp_gt_i16_sdwa s[6:7], v11, s4 src0_sel:BYTE_0 src1_sel:DWORD
	s_mov_b64 s[4:5], 0
                                        ; implicit-def: $sgpr10
	s_and_saveexec_b64 s[8:9], s[6:7]
	s_xor_b64 s[6:7], exec, s[8:9]
	s_cbranch_execnz .LBB59_3469
; %bb.1421:
	s_or_saveexec_b64 s[6:7], s[6:7]
	v_mov_b32_e32 v12, s10
	s_xor_b64 exec, exec, s[6:7]
	s_cbranch_execnz .LBB59_3472
.LBB59_1422:
	s_or_b64 exec, exec, s[6:7]
	s_and_saveexec_b64 s[6:7], s[4:5]
	s_cbranch_execz .LBB59_1424
.LBB59_1423:
	v_bfe_u32 v12, v2, 8, 3
	v_ffbh_u32_e32 v14, v12
	v_min_u32_e32 v14, 32, v14
	v_lshrrev_b16_e32 v13, 3, v11
	v_subrev_u32_e32 v15, 28, v14
	v_and_b32_e32 v13, 15, v13
	v_lshlrev_b32_e32 v11, v15, v11
	v_sub_u32_e32 v14, 29, v14
	v_and_b32_e32 v11, 7, v11
	v_cmp_eq_u16_e32 vcc, 0, v13
	v_cndmask_b32_e32 v11, v12, v11, vcc
	v_cndmask_b32_e32 v12, v13, v14, vcc
	v_lshlrev_b32_e32 v13, 16, v2
	v_mov_b32_e32 v14, 0x3b800000
	v_lshlrev_b32_e32 v11, 20, v11
	v_and_b32_e32 v13, 0x80000000, v13
	v_lshl_add_u32 v12, v12, 23, v14
	v_or3_b32 v12, v13, v12, v11
.LBB59_1424:
	s_or_b64 exec, exec, s[6:7]
	s_nop 0
	v_mfma_f32_16x16x4f32 a[0:3], v10, v12, a[0:3]
	s_movk_i32 s4, 0xff
	v_and_b32_sdwa v11, v6, s4 dst_sel:DWORD dst_unused:UNUSED_PAD src0_sel:WORD_1 src1_sel:DWORD
	s_movk_i32 s4, 0x7f
	v_cmp_lt_i16_e32 vcc, s4, v11
	s_mov_b64 s[4:5], 0
                                        ; implicit-def: $sgpr10
	s_and_saveexec_b64 s[6:7], vcc
	s_xor_b64 s[6:7], exec, s[6:7]
	s_cbranch_execnz .LBB59_3473
; %bb.1425:
	s_or_saveexec_b64 s[6:7], s[6:7]
	v_mov_b32_e32 v10, s10
	s_xor_b64 exec, exec, s[6:7]
	s_cbranch_execnz .LBB59_3476
.LBB59_1426:
	s_or_b64 exec, exec, s[6:7]
	s_and_saveexec_b64 s[6:7], s[4:5]
	s_cbranch_execz .LBB59_1428
.LBB59_1427:
	v_bfe_u32 v10, v6, 16, 3
	v_ffbh_u32_e32 v13, v10
	v_min_u32_e32 v13, 32, v13
	v_lshrrev_b32_e32 v11, 19, v6
	v_subrev_u32_e32 v14, 28, v13
	v_and_b32_e32 v11, 15, v11
	v_lshlrev_b32_sdwa v14, v14, v6 dst_sel:DWORD dst_unused:UNUSED_PAD src0_sel:DWORD src1_sel:WORD_1
	v_bfe_u32 v12, v6, 19, 4
	v_sub_u32_e32 v13, 29, v13
	v_and_b32_e32 v14, 7, v14
	v_cmp_eq_u16_e32 vcc, 0, v11
	v_cndmask_b32_e32 v10, v10, v14, vcc
	v_cndmask_b32_e32 v11, v12, v13, vcc
	v_lshlrev_b32_e32 v12, 8, v6
	v_mov_b32_e32 v13, 0x3b800000
	v_lshlrev_b32_e32 v10, 20, v10
	v_and_b32_e32 v12, 0x80000000, v12
	v_lshl_add_u32 v11, v11, 23, v13
	v_or3_b32 v10, v12, v11, v10
.LBB59_1428:
	s_or_b64 exec, exec, s[6:7]
	s_movk_i32 s4, 0xff
	v_and_b32_sdwa v11, v2, s4 dst_sel:DWORD dst_unused:UNUSED_PAD src0_sel:WORD_1 src1_sel:DWORD
	s_movk_i32 s4, 0x7f
	v_cmp_lt_i16_e32 vcc, s4, v11
	s_mov_b64 s[4:5], 0
                                        ; implicit-def: $sgpr10
	s_and_saveexec_b64 s[6:7], vcc
	s_xor_b64 s[6:7], exec, s[6:7]
	s_cbranch_execnz .LBB59_3477
; %bb.1429:
	s_or_saveexec_b64 s[6:7], s[6:7]
	v_mov_b32_e32 v12, s10
	s_xor_b64 exec, exec, s[6:7]
	s_cbranch_execnz .LBB59_3480
.LBB59_1430:
	s_or_b64 exec, exec, s[6:7]
	s_and_saveexec_b64 s[6:7], s[4:5]
	s_cbranch_execz .LBB59_1432
.LBB59_1431:
	v_bfe_u32 v11, v2, 16, 3
	v_ffbh_u32_e32 v14, v11
	v_min_u32_e32 v14, 32, v14
	v_lshrrev_b32_e32 v12, 19, v2
	v_subrev_u32_e32 v15, 28, v14
	v_and_b32_e32 v12, 15, v12
	v_lshlrev_b32_sdwa v15, v15, v2 dst_sel:DWORD dst_unused:UNUSED_PAD src0_sel:DWORD src1_sel:WORD_1
	v_bfe_u32 v13, v2, 19, 4
	v_sub_u32_e32 v14, 29, v14
	v_and_b32_e32 v15, 7, v15
	v_cmp_eq_u16_e32 vcc, 0, v12
	v_cndmask_b32_e32 v11, v11, v15, vcc
	v_cndmask_b32_e32 v12, v13, v14, vcc
	v_lshlrev_b32_e32 v13, 8, v2
	v_mov_b32_e32 v14, 0x3b800000
	v_lshlrev_b32_e32 v11, 20, v11
	v_and_b32_e32 v13, 0x80000000, v13
	v_lshl_add_u32 v12, v12, 23, v14
	v_or3_b32 v12, v13, v12, v11
.LBB59_1432:
	s_or_b64 exec, exec, s[6:7]
	s_nop 0
	v_mfma_f32_16x16x4f32 a[0:3], v10, v12, a[0:3]
	s_movk_i32 s4, 0x7f
	v_cmp_gt_i16_sdwa s[6:7], v6, s4 src0_sel:BYTE_3 src1_sel:DWORD
	s_mov_b64 s[4:5], 0
                                        ; implicit-def: $sgpr10
	s_and_saveexec_b64 s[8:9], s[6:7]
	s_xor_b64 s[6:7], exec, s[8:9]
	s_cbranch_execnz .LBB59_3481
; %bb.1433:
	s_or_saveexec_b64 s[6:7], s[6:7]
	v_mov_b32_e32 v10, s10
	s_xor_b64 exec, exec, s[6:7]
	s_cbranch_execnz .LBB59_3484
.LBB59_1434:
	s_or_b64 exec, exec, s[6:7]
	s_and_saveexec_b64 s[6:7], s[4:5]
	s_cbranch_execz .LBB59_1436
.LBB59_1435:
	v_bfe_u32 v10, v6, 24, 3
	v_ffbh_u32_e32 v14, v10
	v_min_u32_e32 v14, 32, v14
	v_lshrrev_b32_e32 v12, 27, v6
	v_subrev_u32_e32 v15, 28, v14
	v_and_b32_e32 v11, 0x80000000, v6
	v_and_b32_e32 v12, 15, v12
	v_bfe_u32 v13, v6, 27, 4
	v_lshlrev_b32_sdwa v6, v15, v6 dst_sel:DWORD dst_unused:UNUSED_PAD src0_sel:DWORD src1_sel:BYTE_3
	v_sub_u32_e32 v14, 29, v14
	v_and_b32_e32 v6, 7, v6
	v_cmp_eq_u16_e32 vcc, 0, v12
	v_cndmask_b32_e32 v6, v10, v6, vcc
	v_cndmask_b32_e32 v10, v13, v14, vcc
	v_mov_b32_e32 v12, 0x3b800000
	v_lshlrev_b32_e32 v6, 20, v6
	v_lshl_add_u32 v10, v10, 23, v12
	v_or3_b32 v10, v11, v10, v6
.LBB59_1436:
	s_or_b64 exec, exec, s[6:7]
	s_movk_i32 s4, 0x7f
	v_cmp_gt_i16_sdwa s[6:7], v2, s4 src0_sel:BYTE_3 src1_sel:DWORD
	s_mov_b64 s[4:5], 0
                                        ; implicit-def: $sgpr10
	s_and_saveexec_b64 s[8:9], s[6:7]
	s_xor_b64 s[6:7], exec, s[8:9]
	s_cbranch_execnz .LBB59_3485
; %bb.1437:
	s_or_saveexec_b64 s[6:7], s[6:7]
	v_mov_b32_e32 v6, s10
	s_xor_b64 exec, exec, s[6:7]
	s_cbranch_execnz .LBB59_3488
.LBB59_1438:
	s_or_b64 exec, exec, s[6:7]
	s_and_saveexec_b64 s[6:7], s[4:5]
	s_cbranch_execz .LBB59_1440
.LBB59_1439:
	v_bfe_u32 v6, v2, 24, 3
	v_ffbh_u32_e32 v14, v6
	v_min_u32_e32 v14, 32, v14
	v_lshrrev_b32_e32 v12, 27, v2
	v_subrev_u32_e32 v15, 28, v14
	v_and_b32_e32 v11, 0x80000000, v2
	v_and_b32_e32 v12, 15, v12
	v_bfe_u32 v13, v2, 27, 4
	v_lshlrev_b32_sdwa v2, v15, v2 dst_sel:DWORD dst_unused:UNUSED_PAD src0_sel:DWORD src1_sel:BYTE_3
	v_sub_u32_e32 v14, 29, v14
	v_and_b32_e32 v2, 7, v2
	v_cmp_eq_u16_e32 vcc, 0, v12
	v_cndmask_b32_e32 v2, v6, v2, vcc
	v_cndmask_b32_e32 v6, v13, v14, vcc
	v_mov_b32_e32 v12, 0x3b800000
	v_lshlrev_b32_e32 v2, 20, v2
	v_lshl_add_u32 v6, v6, 23, v12
	v_or3_b32 v6, v11, v6, v2
.LBB59_1440:
	s_or_b64 exec, exec, s[6:7]
	s_nop 0
	v_mfma_f32_16x16x4f32 a[0:3], v10, v6, a[0:3]
	s_movk_i32 s4, 0x7f
	v_cmp_gt_i16_sdwa s[6:7], v7, s4 src0_sel:BYTE_0 src1_sel:DWORD
	s_mov_b64 s[4:5], 0
                                        ; implicit-def: $sgpr10
	s_and_saveexec_b64 s[8:9], s[6:7]
	s_xor_b64 s[6:7], exec, s[8:9]
	s_cbranch_execnz .LBB59_3489
; %bb.1441:
	s_or_saveexec_b64 s[6:7], s[6:7]
	v_mov_b32_e32 v2, s10
	s_xor_b64 exec, exec, s[6:7]
	s_cbranch_execnz .LBB59_3492
.LBB59_1442:
	s_or_b64 exec, exec, s[6:7]
	s_and_saveexec_b64 s[6:7], s[4:5]
	s_cbranch_execz .LBB59_1444
.LBB59_1443:
	v_and_b32_e32 v2, 7, v7
	v_ffbh_u32_e32 v10, v2
	v_min_u32_e32 v10, 32, v10
	v_lshrrev_b16_e32 v6, 3, v7
	v_subrev_u32_e32 v11, 28, v10
	v_and_b32_e32 v6, 15, v6
	v_lshlrev_b32_e32 v11, v11, v7
	v_sub_u32_e32 v10, 29, v10
	v_and_b32_e32 v11, 7, v11
	v_cmp_eq_u16_e32 vcc, 0, v6
	v_cndmask_b32_e32 v2, v2, v11, vcc
	v_cndmask_b32_e32 v6, v6, v10, vcc
	v_lshlrev_b32_e32 v10, 24, v7
	v_mov_b32_e32 v11, 0x3b800000
	v_lshlrev_b32_e32 v2, 20, v2
	v_and_b32_e32 v10, 0x80000000, v10
	v_lshl_add_u32 v6, v6, 23, v11
	v_or3_b32 v2, v10, v6, v2
.LBB59_1444:
	s_or_b64 exec, exec, s[6:7]
	s_movk_i32 s4, 0x7f
	v_cmp_gt_i16_sdwa s[6:7], v3, s4 src0_sel:BYTE_0 src1_sel:DWORD
	s_mov_b64 s[4:5], 0
                                        ; implicit-def: $sgpr10
	s_and_saveexec_b64 s[8:9], s[6:7]
	s_xor_b64 s[6:7], exec, s[8:9]
	s_cbranch_execnz .LBB59_3493
; %bb.1445:
	s_or_saveexec_b64 s[6:7], s[6:7]
	v_mov_b32_e32 v6, s10
	s_xor_b64 exec, exec, s[6:7]
	s_cbranch_execnz .LBB59_3496
.LBB59_1446:
	s_or_b64 exec, exec, s[6:7]
	s_and_saveexec_b64 s[6:7], s[4:5]
	s_cbranch_execz .LBB59_1448
.LBB59_1447:
	v_and_b32_e32 v6, 7, v3
	v_ffbh_u32_e32 v11, v6
	v_min_u32_e32 v11, 32, v11
	v_lshrrev_b16_e32 v10, 3, v3
	v_subrev_u32_e32 v12, 28, v11
	v_and_b32_e32 v10, 15, v10
	v_lshlrev_b32_e32 v12, v12, v3
	v_sub_u32_e32 v11, 29, v11
	v_and_b32_e32 v12, 7, v12
	v_cmp_eq_u16_e32 vcc, 0, v10
	v_cndmask_b32_e32 v6, v6, v12, vcc
	v_cndmask_b32_e32 v10, v10, v11, vcc
	v_lshlrev_b32_e32 v11, 24, v3
	v_mov_b32_e32 v12, 0x3b800000
	v_lshlrev_b32_e32 v6, 20, v6
	v_and_b32_e32 v11, 0x80000000, v11
	v_lshl_add_u32 v10, v10, 23, v12
	v_or3_b32 v6, v11, v10, v6
.LBB59_1448:
	s_or_b64 exec, exec, s[6:7]
	s_nop 0
	v_mfma_f32_16x16x4f32 a[0:3], v2, v6, a[0:3]
	v_lshrrev_b32_e32 v6, 8, v7
	s_movk_i32 s4, 0x7f
	v_cmp_gt_i16_sdwa s[6:7], v6, s4 src0_sel:BYTE_0 src1_sel:DWORD
	s_mov_b64 s[4:5], 0
                                        ; implicit-def: $sgpr10
	s_and_saveexec_b64 s[8:9], s[6:7]
	s_xor_b64 s[6:7], exec, s[8:9]
	s_cbranch_execnz .LBB59_3497
; %bb.1449:
	s_or_saveexec_b64 s[6:7], s[6:7]
	v_mov_b32_e32 v2, s10
	s_xor_b64 exec, exec, s[6:7]
	s_cbranch_execnz .LBB59_3500
.LBB59_1450:
	s_or_b64 exec, exec, s[6:7]
	s_and_saveexec_b64 s[6:7], s[4:5]
	s_cbranch_execz .LBB59_1452
.LBB59_1451:
	v_bfe_u32 v2, v7, 8, 3
	v_ffbh_u32_e32 v11, v2
	v_min_u32_e32 v11, 32, v11
	v_lshrrev_b16_e32 v10, 3, v6
	v_subrev_u32_e32 v12, 28, v11
	v_and_b32_e32 v10, 15, v10
	v_lshlrev_b32_e32 v6, v12, v6
	v_sub_u32_e32 v11, 29, v11
	v_and_b32_e32 v6, 7, v6
	v_cmp_eq_u16_e32 vcc, 0, v10
	v_cndmask_b32_e32 v2, v2, v6, vcc
	v_cndmask_b32_e32 v6, v10, v11, vcc
	v_lshlrev_b32_e32 v10, 16, v7
	v_mov_b32_e32 v11, 0x3b800000
	v_lshlrev_b32_e32 v2, 20, v2
	v_and_b32_e32 v10, 0x80000000, v10
	v_lshl_add_u32 v6, v6, 23, v11
	v_or3_b32 v2, v10, v6, v2
.LBB59_1452:
	s_or_b64 exec, exec, s[6:7]
	v_lshrrev_b32_e32 v6, 8, v3
	s_movk_i32 s4, 0x7f
	v_cmp_gt_i16_sdwa s[6:7], v6, s4 src0_sel:BYTE_0 src1_sel:DWORD
	s_mov_b64 s[4:5], 0
                                        ; implicit-def: $sgpr10
	s_and_saveexec_b64 s[8:9], s[6:7]
	s_xor_b64 s[6:7], exec, s[8:9]
	s_cbranch_execnz .LBB59_3501
; %bb.1453:
	s_or_saveexec_b64 s[6:7], s[6:7]
	v_mov_b32_e32 v10, s10
	s_xor_b64 exec, exec, s[6:7]
	s_cbranch_execnz .LBB59_3504
.LBB59_1454:
	s_or_b64 exec, exec, s[6:7]
	s_and_saveexec_b64 s[6:7], s[4:5]
	s_cbranch_execz .LBB59_1456
.LBB59_1455:
	v_bfe_u32 v10, v3, 8, 3
	v_ffbh_u32_e32 v12, v10
	v_min_u32_e32 v12, 32, v12
	v_lshrrev_b16_e32 v11, 3, v6
	v_subrev_u32_e32 v13, 28, v12
	v_and_b32_e32 v11, 15, v11
	v_lshlrev_b32_e32 v6, v13, v6
	v_sub_u32_e32 v12, 29, v12
	v_and_b32_e32 v6, 7, v6
	v_cmp_eq_u16_e32 vcc, 0, v11
	v_cndmask_b32_e32 v6, v10, v6, vcc
	v_cndmask_b32_e32 v10, v11, v12, vcc
	v_lshlrev_b32_e32 v11, 16, v3
	v_mov_b32_e32 v12, 0x3b800000
	v_lshlrev_b32_e32 v6, 20, v6
	v_and_b32_e32 v11, 0x80000000, v11
	v_lshl_add_u32 v10, v10, 23, v12
	v_or3_b32 v10, v11, v10, v6
.LBB59_1456:
	s_or_b64 exec, exec, s[6:7]
	s_nop 0
	v_mfma_f32_16x16x4f32 a[0:3], v2, v10, a[0:3]
	s_movk_i32 s4, 0xff
	v_and_b32_sdwa v6, v7, s4 dst_sel:DWORD dst_unused:UNUSED_PAD src0_sel:WORD_1 src1_sel:DWORD
	s_movk_i32 s4, 0x7f
	v_cmp_lt_i16_e32 vcc, s4, v6
	s_mov_b64 s[4:5], 0
                                        ; implicit-def: $sgpr10
	s_and_saveexec_b64 s[6:7], vcc
	s_xor_b64 s[6:7], exec, s[6:7]
	s_cbranch_execnz .LBB59_3505
; %bb.1457:
	s_or_saveexec_b64 s[6:7], s[6:7]
	v_mov_b32_e32 v2, s10
	s_xor_b64 exec, exec, s[6:7]
	s_cbranch_execnz .LBB59_3508
.LBB59_1458:
	s_or_b64 exec, exec, s[6:7]
	s_and_saveexec_b64 s[6:7], s[4:5]
	s_cbranch_execz .LBB59_1460
.LBB59_1459:
	v_bfe_u32 v2, v7, 16, 3
	v_ffbh_u32_e32 v11, v2
	v_min_u32_e32 v11, 32, v11
	v_lshrrev_b32_e32 v6, 19, v7
	v_subrev_u32_e32 v12, 28, v11
	v_and_b32_e32 v6, 15, v6
	v_lshlrev_b32_sdwa v12, v12, v7 dst_sel:DWORD dst_unused:UNUSED_PAD src0_sel:DWORD src1_sel:WORD_1
	v_bfe_u32 v10, v7, 19, 4
	v_sub_u32_e32 v11, 29, v11
	v_and_b32_e32 v12, 7, v12
	v_cmp_eq_u16_e32 vcc, 0, v6
	v_cndmask_b32_e32 v2, v2, v12, vcc
	v_cndmask_b32_e32 v6, v10, v11, vcc
	v_lshlrev_b32_e32 v10, 8, v7
	v_mov_b32_e32 v11, 0x3b800000
	v_lshlrev_b32_e32 v2, 20, v2
	v_and_b32_e32 v10, 0x80000000, v10
	v_lshl_add_u32 v6, v6, 23, v11
	v_or3_b32 v2, v10, v6, v2
.LBB59_1460:
	s_or_b64 exec, exec, s[6:7]
	s_movk_i32 s4, 0xff
	v_and_b32_sdwa v6, v3, s4 dst_sel:DWORD dst_unused:UNUSED_PAD src0_sel:WORD_1 src1_sel:DWORD
	s_movk_i32 s4, 0x7f
	v_cmp_lt_i16_e32 vcc, s4, v6
	s_mov_b64 s[4:5], 0
                                        ; implicit-def: $sgpr10
	s_and_saveexec_b64 s[6:7], vcc
	s_xor_b64 s[6:7], exec, s[6:7]
	s_cbranch_execnz .LBB59_3509
; %bb.1461:
	s_or_saveexec_b64 s[6:7], s[6:7]
	v_mov_b32_e32 v10, s10
	s_xor_b64 exec, exec, s[6:7]
	s_cbranch_execnz .LBB59_3512
.LBB59_1462:
	s_or_b64 exec, exec, s[6:7]
	s_and_saveexec_b64 s[6:7], s[4:5]
	s_cbranch_execz .LBB59_1464
.LBB59_1463:
	v_bfe_u32 v6, v3, 16, 3
	v_ffbh_u32_e32 v12, v6
	v_min_u32_e32 v12, 32, v12
	v_lshrrev_b32_e32 v10, 19, v3
	v_subrev_u32_e32 v13, 28, v12
	v_and_b32_e32 v10, 15, v10
	v_lshlrev_b32_sdwa v13, v13, v3 dst_sel:DWORD dst_unused:UNUSED_PAD src0_sel:DWORD src1_sel:WORD_1
	v_bfe_u32 v11, v3, 19, 4
	v_sub_u32_e32 v12, 29, v12
	v_and_b32_e32 v13, 7, v13
	v_cmp_eq_u16_e32 vcc, 0, v10
	v_cndmask_b32_e32 v6, v6, v13, vcc
	v_cndmask_b32_e32 v10, v11, v12, vcc
	v_lshlrev_b32_e32 v11, 8, v3
	v_mov_b32_e32 v12, 0x3b800000
	v_lshlrev_b32_e32 v6, 20, v6
	v_and_b32_e32 v11, 0x80000000, v11
	v_lshl_add_u32 v10, v10, 23, v12
	v_or3_b32 v10, v11, v10, v6
.LBB59_1464:
	s_or_b64 exec, exec, s[6:7]
	s_nop 0
	v_mfma_f32_16x16x4f32 a[0:3], v2, v10, a[0:3]
	s_movk_i32 s4, 0x7f
	v_cmp_gt_i16_sdwa s[6:7], v7, s4 src0_sel:BYTE_3 src1_sel:DWORD
	s_mov_b64 s[4:5], 0
                                        ; implicit-def: $sgpr10
	s_and_saveexec_b64 s[8:9], s[6:7]
	s_xor_b64 s[6:7], exec, s[8:9]
	s_cbranch_execnz .LBB59_3513
; %bb.1465:
	s_or_saveexec_b64 s[6:7], s[6:7]
	v_mov_b32_e32 v2, s10
	s_xor_b64 exec, exec, s[6:7]
	s_cbranch_execnz .LBB59_3516
.LBB59_1466:
	s_or_b64 exec, exec, s[6:7]
	s_and_saveexec_b64 s[6:7], s[4:5]
	s_cbranch_execz .LBB59_1468
.LBB59_1467:
	v_bfe_u32 v2, v7, 24, 3
	v_ffbh_u32_e32 v12, v2
	v_min_u32_e32 v12, 32, v12
	v_lshrrev_b32_e32 v10, 27, v7
	v_subrev_u32_e32 v13, 28, v12
	v_and_b32_e32 v6, 0x80000000, v7
	v_and_b32_e32 v10, 15, v10
	v_bfe_u32 v11, v7, 27, 4
	v_lshlrev_b32_sdwa v7, v13, v7 dst_sel:DWORD dst_unused:UNUSED_PAD src0_sel:DWORD src1_sel:BYTE_3
	v_sub_u32_e32 v12, 29, v12
	v_and_b32_e32 v7, 7, v7
	v_cmp_eq_u16_e32 vcc, 0, v10
	v_cndmask_b32_e32 v2, v2, v7, vcc
	v_cndmask_b32_e32 v7, v11, v12, vcc
	v_mov_b32_e32 v10, 0x3b800000
	v_lshlrev_b32_e32 v2, 20, v2
	v_lshl_add_u32 v7, v7, 23, v10
	v_or3_b32 v2, v6, v7, v2
.LBB59_1468:
	s_or_b64 exec, exec, s[6:7]
	s_movk_i32 s4, 0x7f
	v_cmp_gt_i16_sdwa s[6:7], v3, s4 src0_sel:BYTE_3 src1_sel:DWORD
	s_mov_b64 s[4:5], 0
                                        ; implicit-def: $sgpr10
	s_and_saveexec_b64 s[8:9], s[6:7]
	s_xor_b64 s[6:7], exec, s[8:9]
	s_cbranch_execnz .LBB59_3517
; %bb.1469:
	s_or_saveexec_b64 s[6:7], s[6:7]
	v_mov_b32_e32 v6, s10
	s_xor_b64 exec, exec, s[6:7]
	s_cbranch_execnz .LBB59_3520
.LBB59_1470:
	s_or_b64 exec, exec, s[6:7]
	s_and_saveexec_b64 s[6:7], s[4:5]
	s_cbranch_execz .LBB59_1472
.LBB59_1471:
	v_bfe_u32 v6, v3, 24, 3
	v_ffbh_u32_e32 v12, v6
	v_min_u32_e32 v12, 32, v12
	v_lshrrev_b32_e32 v10, 27, v3
	v_subrev_u32_e32 v13, 28, v12
	v_and_b32_e32 v7, 0x80000000, v3
	v_and_b32_e32 v10, 15, v10
	v_bfe_u32 v11, v3, 27, 4
	v_lshlrev_b32_sdwa v3, v13, v3 dst_sel:DWORD dst_unused:UNUSED_PAD src0_sel:DWORD src1_sel:BYTE_3
	v_sub_u32_e32 v12, 29, v12
	v_and_b32_e32 v3, 7, v3
	v_cmp_eq_u16_e32 vcc, 0, v10
	v_cndmask_b32_e32 v3, v6, v3, vcc
	v_cndmask_b32_e32 v6, v11, v12, vcc
	v_mov_b32_e32 v10, 0x3b800000
	v_lshlrev_b32_e32 v3, 20, v3
	v_lshl_add_u32 v6, v6, 23, v10
	v_or3_b32 v6, v7, v6, v3
.LBB59_1472:
	s_or_b64 exec, exec, s[6:7]
	s_nop 0
	v_mfma_f32_16x16x4f32 a[0:3], v2, v6, a[0:3]
	s_movk_i32 s4, 0x7f
	v_cmp_gt_i16_sdwa s[6:7], v8, s4 src0_sel:BYTE_0 src1_sel:DWORD
	s_mov_b64 s[4:5], 0
                                        ; implicit-def: $sgpr10
	s_and_saveexec_b64 s[8:9], s[6:7]
	s_xor_b64 s[6:7], exec, s[8:9]
	s_cbranch_execnz .LBB59_3521
; %bb.1473:
	s_or_saveexec_b64 s[6:7], s[6:7]
	v_mov_b32_e32 v2, s10
	s_xor_b64 exec, exec, s[6:7]
	s_cbranch_execnz .LBB59_3524
.LBB59_1474:
	s_or_b64 exec, exec, s[6:7]
	s_and_saveexec_b64 s[6:7], s[4:5]
	s_cbranch_execz .LBB59_1476
.LBB59_1475:
	v_and_b32_e32 v2, 7, v8
	v_ffbh_u32_e32 v6, v2
	v_min_u32_e32 v6, 32, v6
	v_lshrrev_b16_e32 v3, 3, v8
	v_subrev_u32_e32 v7, 28, v6
	v_and_b32_e32 v3, 15, v3
	v_lshlrev_b32_e32 v7, v7, v8
	v_sub_u32_e32 v6, 29, v6
	v_and_b32_e32 v7, 7, v7
	v_cmp_eq_u16_e32 vcc, 0, v3
	v_cndmask_b32_e32 v2, v2, v7, vcc
	v_cndmask_b32_e32 v3, v3, v6, vcc
	v_lshlrev_b32_e32 v6, 24, v8
	v_mov_b32_e32 v7, 0x3b800000
	v_lshlrev_b32_e32 v2, 20, v2
	v_and_b32_e32 v6, 0x80000000, v6
	v_lshl_add_u32 v3, v3, 23, v7
	v_or3_b32 v2, v6, v3, v2
.LBB59_1476:
	s_or_b64 exec, exec, s[6:7]
	s_movk_i32 s4, 0x7f
	v_cmp_gt_i16_sdwa s[6:7], v4, s4 src0_sel:BYTE_0 src1_sel:DWORD
	s_mov_b64 s[4:5], 0
                                        ; implicit-def: $sgpr10
	s_and_saveexec_b64 s[8:9], s[6:7]
	s_xor_b64 s[6:7], exec, s[8:9]
	s_cbranch_execnz .LBB59_3525
; %bb.1477:
	s_or_saveexec_b64 s[6:7], s[6:7]
	v_mov_b32_e32 v3, s10
	s_xor_b64 exec, exec, s[6:7]
	s_cbranch_execnz .LBB59_3528
.LBB59_1478:
	s_or_b64 exec, exec, s[6:7]
	s_and_saveexec_b64 s[6:7], s[4:5]
	s_cbranch_execz .LBB59_1480
.LBB59_1479:
	v_and_b32_e32 v3, 7, v4
	v_ffbh_u32_e32 v7, v3
	v_min_u32_e32 v7, 32, v7
	v_lshrrev_b16_e32 v6, 3, v4
	v_subrev_u32_e32 v10, 28, v7
	v_and_b32_e32 v6, 15, v6
	v_lshlrev_b32_e32 v10, v10, v4
	v_sub_u32_e32 v7, 29, v7
	v_and_b32_e32 v10, 7, v10
	v_cmp_eq_u16_e32 vcc, 0, v6
	v_cndmask_b32_e32 v3, v3, v10, vcc
	v_cndmask_b32_e32 v6, v6, v7, vcc
	v_lshlrev_b32_e32 v7, 24, v4
	v_mov_b32_e32 v10, 0x3b800000
	v_lshlrev_b32_e32 v3, 20, v3
	v_and_b32_e32 v7, 0x80000000, v7
	v_lshl_add_u32 v6, v6, 23, v10
	v_or3_b32 v3, v7, v6, v3
.LBB59_1480:
	s_or_b64 exec, exec, s[6:7]
	s_nop 0
	v_mfma_f32_16x16x4f32 a[0:3], v2, v3, a[0:3]
	v_lshrrev_b32_e32 v3, 8, v8
	s_movk_i32 s4, 0x7f
	v_cmp_gt_i16_sdwa s[6:7], v3, s4 src0_sel:BYTE_0 src1_sel:DWORD
	s_mov_b64 s[4:5], 0
                                        ; implicit-def: $sgpr10
	s_and_saveexec_b64 s[8:9], s[6:7]
	s_xor_b64 s[6:7], exec, s[8:9]
	s_cbranch_execnz .LBB59_3529
; %bb.1481:
	s_or_saveexec_b64 s[6:7], s[6:7]
	v_mov_b32_e32 v2, s10
	s_xor_b64 exec, exec, s[6:7]
	s_cbranch_execnz .LBB59_3532
.LBB59_1482:
	s_or_b64 exec, exec, s[6:7]
	s_and_saveexec_b64 s[6:7], s[4:5]
	s_cbranch_execz .LBB59_1484
.LBB59_1483:
	v_bfe_u32 v2, v8, 8, 3
	v_ffbh_u32_e32 v7, v2
	v_min_u32_e32 v7, 32, v7
	v_lshrrev_b16_e32 v6, 3, v3
	v_subrev_u32_e32 v10, 28, v7
	v_and_b32_e32 v6, 15, v6
	v_lshlrev_b32_e32 v3, v10, v3
	v_sub_u32_e32 v7, 29, v7
	v_and_b32_e32 v3, 7, v3
	v_cmp_eq_u16_e32 vcc, 0, v6
	v_cndmask_b32_e32 v2, v2, v3, vcc
	v_cndmask_b32_e32 v3, v6, v7, vcc
	v_lshlrev_b32_e32 v6, 16, v8
	v_mov_b32_e32 v7, 0x3b800000
	v_lshlrev_b32_e32 v2, 20, v2
	v_and_b32_e32 v6, 0x80000000, v6
	v_lshl_add_u32 v3, v3, 23, v7
	v_or3_b32 v2, v6, v3, v2
.LBB59_1484:
	s_or_b64 exec, exec, s[6:7]
	v_lshrrev_b32_e32 v3, 8, v4
	s_movk_i32 s4, 0x7f
	v_cmp_gt_i16_sdwa s[6:7], v3, s4 src0_sel:BYTE_0 src1_sel:DWORD
	s_mov_b64 s[4:5], 0
                                        ; implicit-def: $sgpr10
	s_and_saveexec_b64 s[8:9], s[6:7]
	s_xor_b64 s[6:7], exec, s[8:9]
	s_cbranch_execnz .LBB59_3533
; %bb.1485:
	s_or_saveexec_b64 s[6:7], s[6:7]
	v_mov_b32_e32 v6, s10
	s_xor_b64 exec, exec, s[6:7]
	s_cbranch_execnz .LBB59_3536
.LBB59_1486:
	s_or_b64 exec, exec, s[6:7]
	s_and_saveexec_b64 s[6:7], s[4:5]
	s_cbranch_execz .LBB59_1488
.LBB59_1487:
	v_bfe_u32 v6, v4, 8, 3
	v_ffbh_u32_e32 v10, v6
	v_min_u32_e32 v10, 32, v10
	v_lshrrev_b16_e32 v7, 3, v3
	v_subrev_u32_e32 v11, 28, v10
	v_and_b32_e32 v7, 15, v7
	v_lshlrev_b32_e32 v3, v11, v3
	v_sub_u32_e32 v10, 29, v10
	v_and_b32_e32 v3, 7, v3
	v_cmp_eq_u16_e32 vcc, 0, v7
	v_cndmask_b32_e32 v3, v6, v3, vcc
	v_cndmask_b32_e32 v6, v7, v10, vcc
	v_lshlrev_b32_e32 v7, 16, v4
	v_mov_b32_e32 v10, 0x3b800000
	v_lshlrev_b32_e32 v3, 20, v3
	v_and_b32_e32 v7, 0x80000000, v7
	v_lshl_add_u32 v6, v6, 23, v10
	v_or3_b32 v6, v7, v6, v3
.LBB59_1488:
	s_or_b64 exec, exec, s[6:7]
	s_nop 0
	v_mfma_f32_16x16x4f32 a[0:3], v2, v6, a[0:3]
	s_movk_i32 s4, 0xff
	v_and_b32_sdwa v3, v8, s4 dst_sel:DWORD dst_unused:UNUSED_PAD src0_sel:WORD_1 src1_sel:DWORD
	s_movk_i32 s4, 0x7f
	v_cmp_lt_i16_e32 vcc, s4, v3
	s_mov_b64 s[4:5], 0
                                        ; implicit-def: $sgpr10
	s_and_saveexec_b64 s[6:7], vcc
	s_xor_b64 s[6:7], exec, s[6:7]
	s_cbranch_execnz .LBB59_3537
; %bb.1489:
	s_or_saveexec_b64 s[6:7], s[6:7]
	v_mov_b32_e32 v2, s10
	s_xor_b64 exec, exec, s[6:7]
	s_cbranch_execnz .LBB59_3540
.LBB59_1490:
	s_or_b64 exec, exec, s[6:7]
	s_and_saveexec_b64 s[6:7], s[4:5]
	s_cbranch_execz .LBB59_1492
.LBB59_1491:
	v_bfe_u32 v2, v8, 16, 3
	v_ffbh_u32_e32 v7, v2
	v_min_u32_e32 v7, 32, v7
	v_lshrrev_b32_e32 v3, 19, v8
	v_subrev_u32_e32 v10, 28, v7
	v_and_b32_e32 v3, 15, v3
	v_lshlrev_b32_sdwa v10, v10, v8 dst_sel:DWORD dst_unused:UNUSED_PAD src0_sel:DWORD src1_sel:WORD_1
	v_bfe_u32 v6, v8, 19, 4
	v_sub_u32_e32 v7, 29, v7
	v_and_b32_e32 v10, 7, v10
	v_cmp_eq_u16_e32 vcc, 0, v3
	v_cndmask_b32_e32 v2, v2, v10, vcc
	v_cndmask_b32_e32 v3, v6, v7, vcc
	v_lshlrev_b32_e32 v6, 8, v8
	v_mov_b32_e32 v7, 0x3b800000
	v_lshlrev_b32_e32 v2, 20, v2
	v_and_b32_e32 v6, 0x80000000, v6
	v_lshl_add_u32 v3, v3, 23, v7
	v_or3_b32 v2, v6, v3, v2
.LBB59_1492:
	s_or_b64 exec, exec, s[6:7]
	s_movk_i32 s4, 0xff
	v_and_b32_sdwa v3, v4, s4 dst_sel:DWORD dst_unused:UNUSED_PAD src0_sel:WORD_1 src1_sel:DWORD
	s_movk_i32 s4, 0x7f
	v_cmp_lt_i16_e32 vcc, s4, v3
	s_mov_b64 s[4:5], 0
                                        ; implicit-def: $sgpr10
	s_and_saveexec_b64 s[6:7], vcc
	s_xor_b64 s[6:7], exec, s[6:7]
	s_cbranch_execnz .LBB59_3541
; %bb.1493:
	s_or_saveexec_b64 s[6:7], s[6:7]
	v_mov_b32_e32 v6, s10
	s_xor_b64 exec, exec, s[6:7]
	s_cbranch_execnz .LBB59_3544
.LBB59_1494:
	s_or_b64 exec, exec, s[6:7]
	s_and_saveexec_b64 s[6:7], s[4:5]
	s_cbranch_execz .LBB59_1496
.LBB59_1495:
	v_bfe_u32 v3, v4, 16, 3
	v_ffbh_u32_e32 v10, v3
	v_min_u32_e32 v10, 32, v10
	v_lshrrev_b32_e32 v6, 19, v4
	v_subrev_u32_e32 v11, 28, v10
	v_and_b32_e32 v6, 15, v6
	v_lshlrev_b32_sdwa v11, v11, v4 dst_sel:DWORD dst_unused:UNUSED_PAD src0_sel:DWORD src1_sel:WORD_1
	v_bfe_u32 v7, v4, 19, 4
	v_sub_u32_e32 v10, 29, v10
	v_and_b32_e32 v11, 7, v11
	v_cmp_eq_u16_e32 vcc, 0, v6
	v_cndmask_b32_e32 v3, v3, v11, vcc
	v_cndmask_b32_e32 v6, v7, v10, vcc
	v_lshlrev_b32_e32 v7, 8, v4
	v_mov_b32_e32 v10, 0x3b800000
	v_lshlrev_b32_e32 v3, 20, v3
	v_and_b32_e32 v7, 0x80000000, v7
	v_lshl_add_u32 v6, v6, 23, v10
	v_or3_b32 v6, v7, v6, v3
.LBB59_1496:
	s_or_b64 exec, exec, s[6:7]
	s_nop 0
	v_mfma_f32_16x16x4f32 a[0:3], v2, v6, a[0:3]
	s_movk_i32 s4, 0x7f
	v_cmp_gt_i16_sdwa s[6:7], v8, s4 src0_sel:BYTE_3 src1_sel:DWORD
	s_mov_b64 s[4:5], 0
                                        ; implicit-def: $sgpr10
	s_and_saveexec_b64 s[8:9], s[6:7]
	s_xor_b64 s[6:7], exec, s[8:9]
	s_cbranch_execnz .LBB59_3545
; %bb.1497:
	s_or_saveexec_b64 s[6:7], s[6:7]
	v_mov_b32_e32 v2, s10
	s_xor_b64 exec, exec, s[6:7]
	s_cbranch_execnz .LBB59_3548
.LBB59_1498:
	s_or_b64 exec, exec, s[6:7]
	s_and_saveexec_b64 s[6:7], s[4:5]
	s_cbranch_execz .LBB59_1500
.LBB59_1499:
	v_bfe_u32 v2, v8, 24, 3
	v_ffbh_u32_e32 v10, v2
	v_min_u32_e32 v10, 32, v10
	v_lshrrev_b32_e32 v6, 27, v8
	v_subrev_u32_e32 v11, 28, v10
	v_and_b32_e32 v3, 0x80000000, v8
	v_and_b32_e32 v6, 15, v6
	v_bfe_u32 v7, v8, 27, 4
	v_lshlrev_b32_sdwa v8, v11, v8 dst_sel:DWORD dst_unused:UNUSED_PAD src0_sel:DWORD src1_sel:BYTE_3
	v_sub_u32_e32 v10, 29, v10
	v_and_b32_e32 v8, 7, v8
	v_cmp_eq_u16_e32 vcc, 0, v6
	v_cndmask_b32_e32 v2, v2, v8, vcc
	v_cndmask_b32_e32 v6, v7, v10, vcc
	v_mov_b32_e32 v7, 0x3b800000
	v_lshlrev_b32_e32 v2, 20, v2
	v_lshl_add_u32 v6, v6, 23, v7
	v_or3_b32 v2, v3, v6, v2
.LBB59_1500:
	s_or_b64 exec, exec, s[6:7]
	s_movk_i32 s4, 0x7f
	v_cmp_gt_i16_sdwa s[6:7], v4, s4 src0_sel:BYTE_3 src1_sel:DWORD
	s_mov_b64 s[4:5], 0
                                        ; implicit-def: $sgpr10
	s_and_saveexec_b64 s[8:9], s[6:7]
	s_xor_b64 s[6:7], exec, s[8:9]
	s_cbranch_execnz .LBB59_3549
; %bb.1501:
	s_or_saveexec_b64 s[6:7], s[6:7]
	v_mov_b32_e32 v3, s10
	s_xor_b64 exec, exec, s[6:7]
	s_cbranch_execnz .LBB59_3552
.LBB59_1502:
	s_or_b64 exec, exec, s[6:7]
	s_and_saveexec_b64 s[6:7], s[4:5]
	s_cbranch_execz .LBB59_1504
.LBB59_1503:
	v_bfe_u32 v3, v4, 24, 3
	v_ffbh_u32_e32 v10, v3
	v_min_u32_e32 v10, 32, v10
	v_lshrrev_b32_e32 v7, 27, v4
	v_subrev_u32_e32 v11, 28, v10
	v_and_b32_e32 v6, 0x80000000, v4
	v_and_b32_e32 v7, 15, v7
	v_bfe_u32 v8, v4, 27, 4
	v_lshlrev_b32_sdwa v4, v11, v4 dst_sel:DWORD dst_unused:UNUSED_PAD src0_sel:DWORD src1_sel:BYTE_3
	v_sub_u32_e32 v10, 29, v10
	v_and_b32_e32 v4, 7, v4
	v_cmp_eq_u16_e32 vcc, 0, v7
	v_cndmask_b32_e32 v3, v3, v4, vcc
	v_cndmask_b32_e32 v4, v8, v10, vcc
	v_mov_b32_e32 v7, 0x3b800000
	v_lshlrev_b32_e32 v3, 20, v3
	v_lshl_add_u32 v4, v4, 23, v7
	v_or3_b32 v3, v6, v4, v3
.LBB59_1504:
	s_or_b64 exec, exec, s[6:7]
	s_nop 0
	v_mfma_f32_16x16x4f32 a[0:3], v2, v3, a[0:3]
	s_movk_i32 s4, 0x7f
	v_cmp_gt_i16_sdwa s[6:7], v9, s4 src0_sel:BYTE_0 src1_sel:DWORD
	s_mov_b64 s[4:5], 0
                                        ; implicit-def: $sgpr10
	s_and_saveexec_b64 s[8:9], s[6:7]
	s_xor_b64 s[6:7], exec, s[8:9]
	s_cbranch_execnz .LBB59_3553
; %bb.1505:
	s_or_saveexec_b64 s[6:7], s[6:7]
	v_mov_b32_e32 v2, s10
	s_xor_b64 exec, exec, s[6:7]
	s_cbranch_execnz .LBB59_3556
.LBB59_1506:
	s_or_b64 exec, exec, s[6:7]
	s_and_saveexec_b64 s[6:7], s[4:5]
	s_cbranch_execz .LBB59_1508
.LBB59_1507:
	v_mov_b32_e32 v2, 8
	v_and_b32_e32 v3, 7, v9
	v_lshrrev_b32_sdwa v2, v2, v9 dst_sel:BYTE_1 dst_unused:UNUSED_PAD src0_sel:DWORD src1_sel:DWORD
	v_ffbh_u32_e32 v4, v3
	v_or_b32_sdwa v2, v9, v2 dst_sel:DWORD dst_unused:UNUSED_PAD src0_sel:BYTE_0 src1_sel:DWORD
	v_min_u32_e32 v4, 32, v4
	v_lshrrev_b16_e32 v2, 3, v2
	v_subrev_u32_e32 v6, 28, v4
	v_and_b32_e32 v2, 15, v2
	v_lshlrev_b32_e32 v6, v6, v9
	v_sub_u32_e32 v4, 29, v4
	v_and_b32_e32 v6, 7, v6
	v_cmp_eq_u16_e32 vcc, 0, v2
	v_cndmask_b32_e32 v3, v3, v6, vcc
	v_cndmask_b32_e32 v2, v2, v4, vcc
	v_lshlrev_b32_e32 v4, 24, v9
	v_mov_b32_e32 v6, 0x3b800000
	v_lshlrev_b32_e32 v3, 20, v3
	v_and_b32_e32 v4, 0x80000000, v4
	v_lshl_add_u32 v2, v2, 23, v6
	v_or3_b32 v2, v4, v2, v3
.LBB59_1508:
	s_or_b64 exec, exec, s[6:7]
	s_movk_i32 s4, 0x7f
	v_cmp_gt_i16_sdwa s[6:7], v5, s4 src0_sel:BYTE_0 src1_sel:DWORD
	s_mov_b64 s[4:5], 0
                                        ; implicit-def: $sgpr10
	s_and_saveexec_b64 s[8:9], s[6:7]
	s_xor_b64 s[6:7], exec, s[8:9]
	s_cbranch_execnz .LBB59_3557
; %bb.1509:
	s_or_saveexec_b64 s[6:7], s[6:7]
	v_mov_b32_e32 v3, s10
	s_xor_b64 exec, exec, s[6:7]
	s_cbranch_execnz .LBB59_3560
.LBB59_1510:
	s_or_b64 exec, exec, s[6:7]
	s_and_saveexec_b64 s[6:7], s[4:5]
	s_cbranch_execz .LBB59_1512
.LBB59_1511:
	v_mov_b32_e32 v3, 8
	v_and_b32_e32 v4, 7, v5
	v_lshrrev_b32_sdwa v3, v3, v5 dst_sel:BYTE_1 dst_unused:UNUSED_PAD src0_sel:DWORD src1_sel:DWORD
	v_ffbh_u32_e32 v6, v4
	v_or_b32_sdwa v3, v5, v3 dst_sel:DWORD dst_unused:UNUSED_PAD src0_sel:BYTE_0 src1_sel:DWORD
	v_min_u32_e32 v6, 32, v6
	v_lshrrev_b16_e32 v3, 3, v3
	v_subrev_u32_e32 v7, 28, v6
	v_and_b32_e32 v3, 15, v3
	v_lshlrev_b32_e32 v7, v7, v5
	v_sub_u32_e32 v6, 29, v6
	v_and_b32_e32 v7, 7, v7
	v_cmp_eq_u16_e32 vcc, 0, v3
	v_cndmask_b32_e32 v4, v4, v7, vcc
	v_cndmask_b32_e32 v3, v3, v6, vcc
	v_lshlrev_b32_e32 v6, 24, v5
	v_mov_b32_e32 v7, 0x3b800000
	v_lshlrev_b32_e32 v4, 20, v4
	v_and_b32_e32 v6, 0x80000000, v6
	v_lshl_add_u32 v3, v3, 23, v7
	v_or3_b32 v3, v6, v3, v4
.LBB59_1512:
	s_or_b64 exec, exec, s[6:7]
	s_nop 0
	v_mfma_f32_16x16x4f32 a[0:3], v2, v3, a[0:3]
	v_lshrrev_b32_e32 v3, 8, v9
	s_movk_i32 s4, 0x7f
	v_cmp_gt_i16_sdwa s[6:7], v3, s4 src0_sel:BYTE_0 src1_sel:DWORD
	s_mov_b64 s[4:5], 0
                                        ; implicit-def: $sgpr10
	s_and_saveexec_b64 s[8:9], s[6:7]
	s_xor_b64 s[6:7], exec, s[8:9]
	s_cbranch_execnz .LBB59_3561
; %bb.1513:
	s_or_saveexec_b64 s[6:7], s[6:7]
	v_mov_b32_e32 v2, s10
	s_xor_b64 exec, exec, s[6:7]
	s_cbranch_execnz .LBB59_3564
.LBB59_1514:
	s_or_b64 exec, exec, s[6:7]
	s_and_saveexec_b64 s[6:7], s[4:5]
	s_cbranch_execz .LBB59_1516
.LBB59_1515:
	v_bfe_u32 v2, v9, 8, 3
	v_ffbh_u32_e32 v6, v2
	v_min_u32_e32 v6, 32, v6
	v_lshrrev_b16_e32 v4, 3, v3
	v_subrev_u32_e32 v7, 28, v6
	v_and_b32_e32 v4, 15, v4
	v_lshlrev_b32_e32 v3, v7, v3
	v_sub_u32_e32 v6, 29, v6
	v_and_b32_e32 v3, 7, v3
	v_cmp_eq_u16_e32 vcc, 0, v4
	v_cndmask_b32_e32 v2, v2, v3, vcc
	v_cndmask_b32_e32 v3, v4, v6, vcc
	v_lshlrev_b32_e32 v4, 16, v9
	v_mov_b32_e32 v6, 0x3b800000
	v_lshlrev_b32_e32 v2, 20, v2
	v_and_b32_e32 v4, 0x80000000, v4
	v_lshl_add_u32 v3, v3, 23, v6
	v_or3_b32 v2, v4, v3, v2
.LBB59_1516:
	s_or_b64 exec, exec, s[6:7]
	v_lshrrev_b32_e32 v3, 8, v5
	s_movk_i32 s4, 0x7f
	v_cmp_gt_i16_sdwa s[6:7], v3, s4 src0_sel:BYTE_0 src1_sel:DWORD
	s_mov_b64 s[4:5], 0
                                        ; implicit-def: $sgpr10
	s_and_saveexec_b64 s[8:9], s[6:7]
	s_xor_b64 s[6:7], exec, s[8:9]
	s_cbranch_execnz .LBB59_3565
; %bb.1517:
	s_or_saveexec_b64 s[6:7], s[6:7]
	v_mov_b32_e32 v4, s10
	s_xor_b64 exec, exec, s[6:7]
	s_cbranch_execnz .LBB59_3568
.LBB59_1518:
	s_or_b64 exec, exec, s[6:7]
	s_and_saveexec_b64 s[6:7], s[4:5]
	s_cbranch_execz .LBB59_1520
.LBB59_1519:
	v_bfe_u32 v4, v5, 8, 3
	v_ffbh_u32_e32 v7, v4
	v_min_u32_e32 v7, 32, v7
	v_lshrrev_b16_e32 v6, 3, v3
	v_subrev_u32_e32 v8, 28, v7
	v_and_b32_e32 v6, 15, v6
	v_lshlrev_b32_e32 v3, v8, v3
	v_sub_u32_e32 v7, 29, v7
	v_and_b32_e32 v3, 7, v3
	v_cmp_eq_u16_e32 vcc, 0, v6
	v_cndmask_b32_e32 v3, v4, v3, vcc
	v_cndmask_b32_e32 v4, v6, v7, vcc
	v_lshlrev_b32_e32 v6, 16, v5
	v_mov_b32_e32 v7, 0x3b800000
	v_lshlrev_b32_e32 v3, 20, v3
	v_and_b32_e32 v6, 0x80000000, v6
	v_lshl_add_u32 v4, v4, 23, v7
	v_or3_b32 v4, v6, v4, v3
.LBB59_1520:
	s_or_b64 exec, exec, s[6:7]
	s_nop 0
	v_mfma_f32_16x16x4f32 a[0:3], v2, v4, a[0:3]
	s_movk_i32 s4, 0xff
	v_and_b32_sdwa v3, v9, s4 dst_sel:DWORD dst_unused:UNUSED_PAD src0_sel:WORD_1 src1_sel:DWORD
	s_movk_i32 s4, 0x7f
	v_cmp_lt_i16_e32 vcc, s4, v3
	s_mov_b64 s[4:5], 0
                                        ; implicit-def: $sgpr10
	s_and_saveexec_b64 s[6:7], vcc
	s_xor_b64 s[6:7], exec, s[6:7]
	s_cbranch_execnz .LBB59_3569
; %bb.1521:
	s_or_saveexec_b64 s[6:7], s[6:7]
	v_mov_b32_e32 v2, s10
	s_xor_b64 exec, exec, s[6:7]
	s_cbranch_execnz .LBB59_3572
.LBB59_1522:
	s_or_b64 exec, exec, s[6:7]
	s_and_saveexec_b64 s[6:7], s[4:5]
	s_cbranch_execz .LBB59_1524
.LBB59_1523:
	v_bfe_u32 v2, v9, 16, 3
	v_ffbh_u32_e32 v6, v2
	v_min_u32_e32 v6, 32, v6
	v_lshrrev_b32_e32 v3, 19, v9
	v_subrev_u32_e32 v7, 28, v6
	v_and_b32_e32 v3, 15, v3
	v_lshlrev_b32_sdwa v7, v7, v9 dst_sel:DWORD dst_unused:UNUSED_PAD src0_sel:DWORD src1_sel:WORD_1
	v_bfe_u32 v4, v9, 19, 4
	v_sub_u32_e32 v6, 29, v6
	v_and_b32_e32 v7, 7, v7
	v_cmp_eq_u16_e32 vcc, 0, v3
	v_cndmask_b32_e32 v2, v2, v7, vcc
	v_cndmask_b32_e32 v3, v4, v6, vcc
	v_lshlrev_b32_e32 v4, 8, v9
	v_mov_b32_e32 v6, 0x3b800000
	v_lshlrev_b32_e32 v2, 20, v2
	v_and_b32_e32 v4, 0x80000000, v4
	v_lshl_add_u32 v3, v3, 23, v6
	v_or3_b32 v2, v4, v3, v2
.LBB59_1524:
	s_or_b64 exec, exec, s[6:7]
	s_movk_i32 s4, 0xff
	v_and_b32_sdwa v3, v5, s4 dst_sel:DWORD dst_unused:UNUSED_PAD src0_sel:WORD_1 src1_sel:DWORD
	s_movk_i32 s4, 0x7f
	v_cmp_lt_i16_e32 vcc, s4, v3
	s_mov_b64 s[4:5], 0
                                        ; implicit-def: $sgpr10
	s_and_saveexec_b64 s[6:7], vcc
	s_xor_b64 s[6:7], exec, s[6:7]
	s_cbranch_execnz .LBB59_3573
; %bb.1525:
	s_or_saveexec_b64 s[6:7], s[6:7]
	v_mov_b32_e32 v4, s10
	s_xor_b64 exec, exec, s[6:7]
	s_cbranch_execnz .LBB59_3576
.LBB59_1526:
	s_or_b64 exec, exec, s[6:7]
	s_and_saveexec_b64 s[6:7], s[4:5]
	s_cbranch_execz .LBB59_1528
.LBB59_1527:
	v_bfe_u32 v3, v5, 16, 3
	v_ffbh_u32_e32 v7, v3
	v_min_u32_e32 v7, 32, v7
	v_lshrrev_b32_e32 v4, 19, v5
	v_subrev_u32_e32 v8, 28, v7
	v_and_b32_e32 v4, 15, v4
	v_lshlrev_b32_sdwa v8, v8, v5 dst_sel:DWORD dst_unused:UNUSED_PAD src0_sel:DWORD src1_sel:WORD_1
	v_bfe_u32 v6, v5, 19, 4
	v_sub_u32_e32 v7, 29, v7
	v_and_b32_e32 v8, 7, v8
	v_cmp_eq_u16_e32 vcc, 0, v4
	v_cndmask_b32_e32 v3, v3, v8, vcc
	v_cndmask_b32_e32 v4, v6, v7, vcc
	v_lshlrev_b32_e32 v6, 8, v5
	v_mov_b32_e32 v7, 0x3b800000
	v_lshlrev_b32_e32 v3, 20, v3
	v_and_b32_e32 v6, 0x80000000, v6
	v_lshl_add_u32 v4, v4, 23, v7
	v_or3_b32 v4, v6, v4, v3
.LBB59_1528:
	s_or_b64 exec, exec, s[6:7]
	s_nop 0
	v_mfma_f32_16x16x4f32 a[0:3], v2, v4, a[0:3]
	s_movk_i32 s4, 0x7f
	v_cmp_gt_i16_sdwa s[6:7], v9, s4 src0_sel:BYTE_3 src1_sel:DWORD
	s_mov_b64 s[4:5], 0
                                        ; implicit-def: $sgpr10
	s_and_saveexec_b64 s[8:9], s[6:7]
	s_xor_b64 s[6:7], exec, s[8:9]
	s_cbranch_execnz .LBB59_3577
; %bb.1529:
	s_or_saveexec_b64 s[6:7], s[6:7]
	v_mov_b32_e32 v2, s10
	s_xor_b64 exec, exec, s[6:7]
	s_cbranch_execnz .LBB59_3580
.LBB59_1530:
	s_or_b64 exec, exec, s[6:7]
	s_and_saveexec_b64 s[6:7], s[4:5]
	s_cbranch_execz .LBB59_1532
.LBB59_1531:
	v_bfe_u32 v2, v9, 24, 3
	v_ffbh_u32_e32 v7, v2
	v_min_u32_e32 v7, 32, v7
	v_lshrrev_b32_e32 v4, 27, v9
	v_subrev_u32_e32 v8, 28, v7
	v_and_b32_e32 v4, 15, v4
	v_lshlrev_b32_sdwa v8, v8, v9 dst_sel:DWORD dst_unused:UNUSED_PAD src0_sel:DWORD src1_sel:BYTE_3
	v_bfe_u32 v6, v9, 27, 4
	v_sub_u32_e32 v7, 29, v7
	v_and_b32_e32 v8, 7, v8
	v_cmp_eq_u16_e32 vcc, 0, v4
	v_cndmask_b32_e32 v2, v2, v8, vcc
	v_cndmask_b32_e32 v4, v6, v7, vcc
	v_mov_b32_e32 v6, 0x3b800000
	v_and_b32_e32 v3, 0x80000000, v9
	v_lshlrev_b32_e32 v2, 20, v2
	v_lshl_add_u32 v4, v4, 23, v6
	v_or3_b32 v2, v3, v4, v2
.LBB59_1532:
	s_or_b64 exec, exec, s[6:7]
	s_movk_i32 s4, 0x7f
	v_cmp_gt_i16_sdwa s[6:7], v5, s4 src0_sel:BYTE_3 src1_sel:DWORD
	s_mov_b64 s[4:5], 0
                                        ; implicit-def: $sgpr10
	s_and_saveexec_b64 s[8:9], s[6:7]
	s_xor_b64 s[6:7], exec, s[8:9]
	s_cbranch_execnz .LBB59_3581
; %bb.1533:
	s_or_saveexec_b64 s[6:7], s[6:7]
	v_mov_b32_e32 v3, s10
	s_xor_b64 exec, exec, s[6:7]
	s_cbranch_execnz .LBB59_3584
.LBB59_1534:
	s_or_b64 exec, exec, s[6:7]
	s_and_saveexec_b64 s[6:7], s[4:5]
	s_cbranch_execz .LBB59_1536
.LBB59_1535:
	v_bfe_u32 v3, v5, 24, 3
	v_ffbh_u32_e32 v8, v3
	v_min_u32_e32 v8, 32, v8
	v_lshrrev_b32_e32 v6, 27, v5
	v_subrev_u32_e32 v9, 28, v8
	v_and_b32_e32 v4, 0x80000000, v5
	v_and_b32_e32 v6, 15, v6
	v_bfe_u32 v7, v5, 27, 4
	v_lshlrev_b32_sdwa v5, v9, v5 dst_sel:DWORD dst_unused:UNUSED_PAD src0_sel:DWORD src1_sel:BYTE_3
	v_sub_u32_e32 v8, 29, v8
	v_and_b32_e32 v5, 7, v5
	v_cmp_eq_u16_e32 vcc, 0, v6
	v_cndmask_b32_e32 v3, v3, v5, vcc
	v_cndmask_b32_e32 v5, v7, v8, vcc
	v_mov_b32_e32 v6, 0x3b800000
	v_lshlrev_b32_e32 v3, 20, v3
	v_lshl_add_u32 v5, v5, 23, v6
	v_or3_b32 v3, v4, v5, v3
.LBB59_1536:
	s_or_b64 exec, exec, s[6:7]
	s_nop 0
	v_mfma_f32_16x16x4f32 a[0:3], v2, v3, a[0:3]
	s_movk_i32 s4, 0x7f
                                        ; implicit-def: $sgpr10
	s_nop 7
	s_nop 1
	flat_store_dwordx4 v[18:19], a[0:3] offset:976
	flat_load_dwordx4 v[20:23], v[0:1] offset:8
	s_nop 0
	flat_load_dwordx2 v[18:19], v[0:1] offset:24
	s_waitcnt vmcnt(0) lgkmcnt(0)
	flat_load_dwordx4 v[14:17], v[20:21] offset:32
	flat_load_dwordx4 v[6:9], v[20:21] offset:48
	;; [unrolled: 1-line block ×4, first 2 shown]
	s_waitcnt vmcnt(0) lgkmcnt(0)
	v_cmp_gt_i16_sdwa s[6:7], v14, s4 src0_sel:BYTE_0 src1_sel:DWORD
	s_mov_b64 s[4:5], 0
	s_and_saveexec_b64 s[8:9], s[6:7]
	s_xor_b64 s[6:7], exec, s[8:9]
	s_cbranch_execnz .LBB59_3585
; %bb.1537:
	s_or_saveexec_b64 s[6:7], s[6:7]
	v_mov_b32_e32 v20, s10
	s_xor_b64 exec, exec, s[6:7]
	s_cbranch_execnz .LBB59_3588
.LBB59_1538:
	s_or_b64 exec, exec, s[6:7]
	s_and_saveexec_b64 s[6:7], s[4:5]
	s_cbranch_execz .LBB59_1540
.LBB59_1539:
	v_and_b32_e32 v20, 7, v14
	v_ffbh_u32_e32 v22, v20
	v_min_u32_e32 v22, 32, v22
	v_lshrrev_b16_e32 v21, 3, v14
	v_subrev_u32_e32 v23, 28, v22
	v_and_b32_e32 v21, 15, v21
	v_lshlrev_b32_e32 v23, v23, v14
	v_sub_u32_e32 v22, 29, v22
	v_and_b32_e32 v23, 7, v23
	v_cmp_eq_u16_e32 vcc, 0, v21
	v_cndmask_b32_e32 v20, v20, v23, vcc
	v_cndmask_b32_e32 v21, v21, v22, vcc
	v_lshlrev_b32_e32 v22, 24, v14
	v_mov_b32_e32 v23, 0x3b800000
	v_lshlrev_b32_e32 v20, 20, v20
	v_and_b32_e32 v22, 0x80000000, v22
	v_lshl_add_u32 v21, v21, 23, v23
	v_or3_b32 v20, v22, v21, v20
.LBB59_1540:
	s_or_b64 exec, exec, s[6:7]
	s_movk_i32 s4, 0x7f
	v_cmp_gt_i16_sdwa s[6:7], v10, s4 src0_sel:BYTE_0 src1_sel:DWORD
	s_mov_b64 s[4:5], 0
                                        ; implicit-def: $sgpr10
	s_and_saveexec_b64 s[8:9], s[6:7]
	s_xor_b64 s[6:7], exec, s[8:9]
	s_cbranch_execnz .LBB59_3589
; %bb.1541:
	s_or_saveexec_b64 s[6:7], s[6:7]
	v_mov_b32_e32 v21, s10
	s_xor_b64 exec, exec, s[6:7]
	s_cbranch_execnz .LBB59_3592
.LBB59_1542:
	s_or_b64 exec, exec, s[6:7]
	s_and_saveexec_b64 s[6:7], s[4:5]
	s_cbranch_execz .LBB59_1544
.LBB59_1543:
	v_and_b32_e32 v21, 7, v10
	v_ffbh_u32_e32 v23, v21
	v_min_u32_e32 v23, 32, v23
	v_lshrrev_b16_e32 v22, 3, v10
	v_subrev_u32_e32 v24, 28, v23
	v_and_b32_e32 v22, 15, v22
	v_lshlrev_b32_e32 v24, v24, v10
	v_sub_u32_e32 v23, 29, v23
	v_and_b32_e32 v24, 7, v24
	v_cmp_eq_u16_e32 vcc, 0, v22
	v_cndmask_b32_e32 v21, v21, v24, vcc
	v_cndmask_b32_e32 v22, v22, v23, vcc
	v_lshlrev_b32_e32 v23, 24, v10
	v_mov_b32_e32 v24, 0x3b800000
	v_lshlrev_b32_e32 v21, 20, v21
	v_and_b32_e32 v23, 0x80000000, v23
	v_lshl_add_u32 v22, v22, 23, v24
	v_or3_b32 v21, v23, v22, v21
.LBB59_1544:
	s_or_b64 exec, exec, s[6:7]
	flat_load_dwordx4 a[0:3], v[18:19] offset:992
	s_movk_i32 s4, 0x7f
                                        ; implicit-def: $sgpr10
	s_waitcnt vmcnt(0) lgkmcnt(0)
	v_mfma_f32_16x16x4f32 a[0:3], v20, v21, a[0:3]
	v_lshrrev_b32_e32 v21, 8, v14
	v_cmp_gt_i16_sdwa s[6:7], v21, s4 src0_sel:BYTE_0 src1_sel:DWORD
	s_mov_b64 s[4:5], 0
	s_and_saveexec_b64 s[8:9], s[6:7]
	s_xor_b64 s[6:7], exec, s[8:9]
	s_cbranch_execnz .LBB59_3593
; %bb.1545:
	s_or_saveexec_b64 s[6:7], s[6:7]
	v_mov_b32_e32 v20, s10
	s_xor_b64 exec, exec, s[6:7]
	s_cbranch_execnz .LBB59_3596
.LBB59_1546:
	s_or_b64 exec, exec, s[6:7]
	s_and_saveexec_b64 s[6:7], s[4:5]
	s_cbranch_execz .LBB59_1548
.LBB59_1547:
	v_bfe_u32 v20, v14, 8, 3
	v_ffbh_u32_e32 v23, v20
	v_min_u32_e32 v23, 32, v23
	v_lshrrev_b16_e32 v22, 3, v21
	v_subrev_u32_e32 v24, 28, v23
	v_and_b32_e32 v22, 15, v22
	v_lshlrev_b32_e32 v21, v24, v21
	v_sub_u32_e32 v23, 29, v23
	v_and_b32_e32 v21, 7, v21
	v_cmp_eq_u16_e32 vcc, 0, v22
	v_cndmask_b32_e32 v20, v20, v21, vcc
	v_cndmask_b32_e32 v21, v22, v23, vcc
	v_lshlrev_b32_e32 v22, 16, v14
	v_mov_b32_e32 v23, 0x3b800000
	v_lshlrev_b32_e32 v20, 20, v20
	v_and_b32_e32 v22, 0x80000000, v22
	v_lshl_add_u32 v21, v21, 23, v23
	v_or3_b32 v20, v22, v21, v20
.LBB59_1548:
	s_or_b64 exec, exec, s[6:7]
	v_lshrrev_b32_e32 v21, 8, v10
	s_movk_i32 s4, 0x7f
	v_cmp_gt_i16_sdwa s[6:7], v21, s4 src0_sel:BYTE_0 src1_sel:DWORD
	s_mov_b64 s[4:5], 0
                                        ; implicit-def: $sgpr10
	s_and_saveexec_b64 s[8:9], s[6:7]
	s_xor_b64 s[6:7], exec, s[8:9]
	s_cbranch_execnz .LBB59_3597
; %bb.1549:
	s_or_saveexec_b64 s[6:7], s[6:7]
	v_mov_b32_e32 v22, s10
	s_xor_b64 exec, exec, s[6:7]
	s_cbranch_execnz .LBB59_3600
.LBB59_1550:
	s_or_b64 exec, exec, s[6:7]
	s_and_saveexec_b64 s[6:7], s[4:5]
	s_cbranch_execz .LBB59_1552
.LBB59_1551:
	v_bfe_u32 v22, v10, 8, 3
	v_ffbh_u32_e32 v24, v22
	v_min_u32_e32 v24, 32, v24
	v_lshrrev_b16_e32 v23, 3, v21
	v_subrev_u32_e32 v25, 28, v24
	v_and_b32_e32 v23, 15, v23
	v_lshlrev_b32_e32 v21, v25, v21
	v_sub_u32_e32 v24, 29, v24
	v_and_b32_e32 v21, 7, v21
	v_cmp_eq_u16_e32 vcc, 0, v23
	v_cndmask_b32_e32 v21, v22, v21, vcc
	v_cndmask_b32_e32 v22, v23, v24, vcc
	v_lshlrev_b32_e32 v23, 16, v10
	v_mov_b32_e32 v24, 0x3b800000
	v_lshlrev_b32_e32 v21, 20, v21
	v_and_b32_e32 v23, 0x80000000, v23
	v_lshl_add_u32 v22, v22, 23, v24
	v_or3_b32 v22, v23, v22, v21
.LBB59_1552:
	s_or_b64 exec, exec, s[6:7]
	s_nop 0
	v_mfma_f32_16x16x4f32 a[0:3], v20, v22, a[0:3]
	s_movk_i32 s4, 0xff
	v_and_b32_sdwa v21, v14, s4 dst_sel:DWORD dst_unused:UNUSED_PAD src0_sel:WORD_1 src1_sel:DWORD
	s_movk_i32 s4, 0x7f
	v_cmp_lt_i16_e32 vcc, s4, v21
	s_mov_b64 s[4:5], 0
                                        ; implicit-def: $sgpr10
	s_and_saveexec_b64 s[6:7], vcc
	s_xor_b64 s[6:7], exec, s[6:7]
	s_cbranch_execnz .LBB59_3601
; %bb.1553:
	s_or_saveexec_b64 s[6:7], s[6:7]
	v_mov_b32_e32 v20, s10
	s_xor_b64 exec, exec, s[6:7]
	s_cbranch_execnz .LBB59_3604
.LBB59_1554:
	s_or_b64 exec, exec, s[6:7]
	s_and_saveexec_b64 s[6:7], s[4:5]
	s_cbranch_execz .LBB59_1556
.LBB59_1555:
	v_bfe_u32 v20, v14, 16, 3
	v_ffbh_u32_e32 v23, v20
	v_min_u32_e32 v23, 32, v23
	v_lshrrev_b32_e32 v21, 19, v14
	v_subrev_u32_e32 v24, 28, v23
	v_and_b32_e32 v21, 15, v21
	v_lshlrev_b32_sdwa v24, v24, v14 dst_sel:DWORD dst_unused:UNUSED_PAD src0_sel:DWORD src1_sel:WORD_1
	v_bfe_u32 v22, v14, 19, 4
	v_sub_u32_e32 v23, 29, v23
	v_and_b32_e32 v24, 7, v24
	v_cmp_eq_u16_e32 vcc, 0, v21
	v_cndmask_b32_e32 v20, v20, v24, vcc
	v_cndmask_b32_e32 v21, v22, v23, vcc
	v_lshlrev_b32_e32 v22, 8, v14
	v_mov_b32_e32 v23, 0x3b800000
	v_lshlrev_b32_e32 v20, 20, v20
	v_and_b32_e32 v22, 0x80000000, v22
	v_lshl_add_u32 v21, v21, 23, v23
	v_or3_b32 v20, v22, v21, v20
.LBB59_1556:
	s_or_b64 exec, exec, s[6:7]
	s_movk_i32 s4, 0xff
	v_and_b32_sdwa v21, v10, s4 dst_sel:DWORD dst_unused:UNUSED_PAD src0_sel:WORD_1 src1_sel:DWORD
	s_movk_i32 s4, 0x7f
	v_cmp_lt_i16_e32 vcc, s4, v21
	s_mov_b64 s[4:5], 0
                                        ; implicit-def: $sgpr10
	s_and_saveexec_b64 s[6:7], vcc
	s_xor_b64 s[6:7], exec, s[6:7]
	s_cbranch_execnz .LBB59_3605
; %bb.1557:
	s_or_saveexec_b64 s[6:7], s[6:7]
	v_mov_b32_e32 v22, s10
	s_xor_b64 exec, exec, s[6:7]
	s_cbranch_execnz .LBB59_3608
.LBB59_1558:
	s_or_b64 exec, exec, s[6:7]
	s_and_saveexec_b64 s[6:7], s[4:5]
	s_cbranch_execz .LBB59_1560
.LBB59_1559:
	v_bfe_u32 v21, v10, 16, 3
	v_ffbh_u32_e32 v24, v21
	v_min_u32_e32 v24, 32, v24
	v_lshrrev_b32_e32 v22, 19, v10
	v_subrev_u32_e32 v25, 28, v24
	v_and_b32_e32 v22, 15, v22
	v_lshlrev_b32_sdwa v25, v25, v10 dst_sel:DWORD dst_unused:UNUSED_PAD src0_sel:DWORD src1_sel:WORD_1
	v_bfe_u32 v23, v10, 19, 4
	v_sub_u32_e32 v24, 29, v24
	v_and_b32_e32 v25, 7, v25
	v_cmp_eq_u16_e32 vcc, 0, v22
	v_cndmask_b32_e32 v21, v21, v25, vcc
	v_cndmask_b32_e32 v22, v23, v24, vcc
	v_lshlrev_b32_e32 v23, 8, v10
	v_mov_b32_e32 v24, 0x3b800000
	v_lshlrev_b32_e32 v21, 20, v21
	v_and_b32_e32 v23, 0x80000000, v23
	v_lshl_add_u32 v22, v22, 23, v24
	v_or3_b32 v22, v23, v22, v21
.LBB59_1560:
	s_or_b64 exec, exec, s[6:7]
	s_nop 0
	v_mfma_f32_16x16x4f32 a[0:3], v20, v22, a[0:3]
	s_movk_i32 s4, 0x7f
	v_cmp_gt_i16_sdwa s[6:7], v14, s4 src0_sel:BYTE_3 src1_sel:DWORD
	s_mov_b64 s[4:5], 0
                                        ; implicit-def: $sgpr10
	s_and_saveexec_b64 s[8:9], s[6:7]
	s_xor_b64 s[6:7], exec, s[8:9]
	s_cbranch_execnz .LBB59_3609
; %bb.1561:
	s_or_saveexec_b64 s[6:7], s[6:7]
	v_mov_b32_e32 v20, s10
	s_xor_b64 exec, exec, s[6:7]
	s_cbranch_execnz .LBB59_3612
.LBB59_1562:
	s_or_b64 exec, exec, s[6:7]
	s_and_saveexec_b64 s[6:7], s[4:5]
	s_cbranch_execz .LBB59_1564
.LBB59_1563:
	v_bfe_u32 v20, v14, 24, 3
	v_ffbh_u32_e32 v24, v20
	v_min_u32_e32 v24, 32, v24
	v_lshrrev_b32_e32 v22, 27, v14
	v_subrev_u32_e32 v25, 28, v24
	v_and_b32_e32 v21, 0x80000000, v14
	v_and_b32_e32 v22, 15, v22
	v_bfe_u32 v23, v14, 27, 4
	v_lshlrev_b32_sdwa v14, v25, v14 dst_sel:DWORD dst_unused:UNUSED_PAD src0_sel:DWORD src1_sel:BYTE_3
	v_sub_u32_e32 v24, 29, v24
	v_and_b32_e32 v14, 7, v14
	v_cmp_eq_u16_e32 vcc, 0, v22
	v_cndmask_b32_e32 v14, v20, v14, vcc
	v_cndmask_b32_e32 v20, v23, v24, vcc
	v_mov_b32_e32 v22, 0x3b800000
	v_lshlrev_b32_e32 v14, 20, v14
	v_lshl_add_u32 v20, v20, 23, v22
	v_or3_b32 v20, v21, v20, v14
.LBB59_1564:
	s_or_b64 exec, exec, s[6:7]
	s_movk_i32 s4, 0x7f
	v_cmp_gt_i16_sdwa s[6:7], v10, s4 src0_sel:BYTE_3 src1_sel:DWORD
	s_mov_b64 s[4:5], 0
                                        ; implicit-def: $sgpr10
	s_and_saveexec_b64 s[8:9], s[6:7]
	s_xor_b64 s[6:7], exec, s[8:9]
	s_cbranch_execnz .LBB59_3613
; %bb.1565:
	s_or_saveexec_b64 s[6:7], s[6:7]
	v_mov_b32_e32 v14, s10
	s_xor_b64 exec, exec, s[6:7]
	s_cbranch_execnz .LBB59_3616
.LBB59_1566:
	s_or_b64 exec, exec, s[6:7]
	s_and_saveexec_b64 s[6:7], s[4:5]
	s_cbranch_execz .LBB59_1568
.LBB59_1567:
	v_bfe_u32 v14, v10, 24, 3
	v_ffbh_u32_e32 v24, v14
	v_min_u32_e32 v24, 32, v24
	v_lshrrev_b32_e32 v22, 27, v10
	v_subrev_u32_e32 v25, 28, v24
	v_and_b32_e32 v21, 0x80000000, v10
	v_and_b32_e32 v22, 15, v22
	v_bfe_u32 v23, v10, 27, 4
	v_lshlrev_b32_sdwa v10, v25, v10 dst_sel:DWORD dst_unused:UNUSED_PAD src0_sel:DWORD src1_sel:BYTE_3
	v_sub_u32_e32 v24, 29, v24
	v_and_b32_e32 v10, 7, v10
	v_cmp_eq_u16_e32 vcc, 0, v22
	v_cndmask_b32_e32 v10, v14, v10, vcc
	v_cndmask_b32_e32 v14, v23, v24, vcc
	v_mov_b32_e32 v22, 0x3b800000
	v_lshlrev_b32_e32 v10, 20, v10
	v_lshl_add_u32 v14, v14, 23, v22
	v_or3_b32 v14, v21, v14, v10
.LBB59_1568:
	s_or_b64 exec, exec, s[6:7]
	s_nop 0
	v_mfma_f32_16x16x4f32 a[0:3], v20, v14, a[0:3]
	s_movk_i32 s4, 0x7f
	v_cmp_gt_i16_sdwa s[6:7], v15, s4 src0_sel:BYTE_0 src1_sel:DWORD
	s_mov_b64 s[4:5], 0
                                        ; implicit-def: $sgpr10
	s_and_saveexec_b64 s[8:9], s[6:7]
	s_xor_b64 s[6:7], exec, s[8:9]
	s_cbranch_execnz .LBB59_3617
; %bb.1569:
	s_or_saveexec_b64 s[6:7], s[6:7]
	v_mov_b32_e32 v10, s10
	s_xor_b64 exec, exec, s[6:7]
	s_cbranch_execnz .LBB59_3620
.LBB59_1570:
	s_or_b64 exec, exec, s[6:7]
	s_and_saveexec_b64 s[6:7], s[4:5]
	s_cbranch_execz .LBB59_1572
.LBB59_1571:
	v_and_b32_e32 v10, 7, v15
	v_ffbh_u32_e32 v20, v10
	v_min_u32_e32 v20, 32, v20
	v_lshrrev_b16_e32 v14, 3, v15
	v_subrev_u32_e32 v21, 28, v20
	v_and_b32_e32 v14, 15, v14
	v_lshlrev_b32_e32 v21, v21, v15
	v_sub_u32_e32 v20, 29, v20
	v_and_b32_e32 v21, 7, v21
	v_cmp_eq_u16_e32 vcc, 0, v14
	v_cndmask_b32_e32 v10, v10, v21, vcc
	v_cndmask_b32_e32 v14, v14, v20, vcc
	v_lshlrev_b32_e32 v20, 24, v15
	v_mov_b32_e32 v21, 0x3b800000
	v_lshlrev_b32_e32 v10, 20, v10
	v_and_b32_e32 v20, 0x80000000, v20
	v_lshl_add_u32 v14, v14, 23, v21
	v_or3_b32 v10, v20, v14, v10
.LBB59_1572:
	s_or_b64 exec, exec, s[6:7]
	s_movk_i32 s4, 0x7f
	v_cmp_gt_i16_sdwa s[6:7], v11, s4 src0_sel:BYTE_0 src1_sel:DWORD
	s_mov_b64 s[4:5], 0
                                        ; implicit-def: $sgpr10
	s_and_saveexec_b64 s[8:9], s[6:7]
	s_xor_b64 s[6:7], exec, s[8:9]
	s_cbranch_execnz .LBB59_3621
; %bb.1573:
	s_or_saveexec_b64 s[6:7], s[6:7]
	v_mov_b32_e32 v14, s10
	s_xor_b64 exec, exec, s[6:7]
	s_cbranch_execnz .LBB59_3624
.LBB59_1574:
	s_or_b64 exec, exec, s[6:7]
	s_and_saveexec_b64 s[6:7], s[4:5]
	s_cbranch_execz .LBB59_1576
.LBB59_1575:
	v_and_b32_e32 v14, 7, v11
	v_ffbh_u32_e32 v21, v14
	v_min_u32_e32 v21, 32, v21
	v_lshrrev_b16_e32 v20, 3, v11
	v_subrev_u32_e32 v22, 28, v21
	v_and_b32_e32 v20, 15, v20
	v_lshlrev_b32_e32 v22, v22, v11
	v_sub_u32_e32 v21, 29, v21
	v_and_b32_e32 v22, 7, v22
	v_cmp_eq_u16_e32 vcc, 0, v20
	v_cndmask_b32_e32 v14, v14, v22, vcc
	v_cndmask_b32_e32 v20, v20, v21, vcc
	v_lshlrev_b32_e32 v21, 24, v11
	v_mov_b32_e32 v22, 0x3b800000
	v_lshlrev_b32_e32 v14, 20, v14
	v_and_b32_e32 v21, 0x80000000, v21
	v_lshl_add_u32 v20, v20, 23, v22
	v_or3_b32 v14, v21, v20, v14
.LBB59_1576:
	s_or_b64 exec, exec, s[6:7]
	s_nop 0
	v_mfma_f32_16x16x4f32 a[0:3], v10, v14, a[0:3]
	v_lshrrev_b32_e32 v14, 8, v15
	s_movk_i32 s4, 0x7f
	v_cmp_gt_i16_sdwa s[6:7], v14, s4 src0_sel:BYTE_0 src1_sel:DWORD
	s_mov_b64 s[4:5], 0
                                        ; implicit-def: $sgpr10
	s_and_saveexec_b64 s[8:9], s[6:7]
	s_xor_b64 s[6:7], exec, s[8:9]
	s_cbranch_execnz .LBB59_3625
; %bb.1577:
	s_or_saveexec_b64 s[6:7], s[6:7]
	v_mov_b32_e32 v10, s10
	s_xor_b64 exec, exec, s[6:7]
	s_cbranch_execnz .LBB59_3628
.LBB59_1578:
	s_or_b64 exec, exec, s[6:7]
	s_and_saveexec_b64 s[6:7], s[4:5]
	s_cbranch_execz .LBB59_1580
.LBB59_1579:
	v_bfe_u32 v10, v15, 8, 3
	v_ffbh_u32_e32 v21, v10
	v_min_u32_e32 v21, 32, v21
	v_lshrrev_b16_e32 v20, 3, v14
	v_subrev_u32_e32 v22, 28, v21
	v_and_b32_e32 v20, 15, v20
	v_lshlrev_b32_e32 v14, v22, v14
	v_sub_u32_e32 v21, 29, v21
	v_and_b32_e32 v14, 7, v14
	v_cmp_eq_u16_e32 vcc, 0, v20
	v_cndmask_b32_e32 v10, v10, v14, vcc
	v_cndmask_b32_e32 v14, v20, v21, vcc
	v_lshlrev_b32_e32 v20, 16, v15
	v_mov_b32_e32 v21, 0x3b800000
	v_lshlrev_b32_e32 v10, 20, v10
	v_and_b32_e32 v20, 0x80000000, v20
	v_lshl_add_u32 v14, v14, 23, v21
	v_or3_b32 v10, v20, v14, v10
.LBB59_1580:
	s_or_b64 exec, exec, s[6:7]
	v_lshrrev_b32_e32 v14, 8, v11
	s_movk_i32 s4, 0x7f
	v_cmp_gt_i16_sdwa s[6:7], v14, s4 src0_sel:BYTE_0 src1_sel:DWORD
	s_mov_b64 s[4:5], 0
                                        ; implicit-def: $sgpr10
	s_and_saveexec_b64 s[8:9], s[6:7]
	s_xor_b64 s[6:7], exec, s[8:9]
	s_cbranch_execnz .LBB59_3629
; %bb.1581:
	s_or_saveexec_b64 s[6:7], s[6:7]
	v_mov_b32_e32 v20, s10
	s_xor_b64 exec, exec, s[6:7]
	s_cbranch_execnz .LBB59_3632
.LBB59_1582:
	s_or_b64 exec, exec, s[6:7]
	s_and_saveexec_b64 s[6:7], s[4:5]
	s_cbranch_execz .LBB59_1584
.LBB59_1583:
	v_bfe_u32 v20, v11, 8, 3
	v_ffbh_u32_e32 v22, v20
	v_min_u32_e32 v22, 32, v22
	v_lshrrev_b16_e32 v21, 3, v14
	v_subrev_u32_e32 v23, 28, v22
	v_and_b32_e32 v21, 15, v21
	v_lshlrev_b32_e32 v14, v23, v14
	v_sub_u32_e32 v22, 29, v22
	v_and_b32_e32 v14, 7, v14
	v_cmp_eq_u16_e32 vcc, 0, v21
	v_cndmask_b32_e32 v14, v20, v14, vcc
	v_cndmask_b32_e32 v20, v21, v22, vcc
	v_lshlrev_b32_e32 v21, 16, v11
	v_mov_b32_e32 v22, 0x3b800000
	v_lshlrev_b32_e32 v14, 20, v14
	v_and_b32_e32 v21, 0x80000000, v21
	v_lshl_add_u32 v20, v20, 23, v22
	v_or3_b32 v20, v21, v20, v14
.LBB59_1584:
	s_or_b64 exec, exec, s[6:7]
	s_nop 0
	v_mfma_f32_16x16x4f32 a[0:3], v10, v20, a[0:3]
	s_movk_i32 s4, 0xff
	v_and_b32_sdwa v14, v15, s4 dst_sel:DWORD dst_unused:UNUSED_PAD src0_sel:WORD_1 src1_sel:DWORD
	s_movk_i32 s4, 0x7f
	v_cmp_lt_i16_e32 vcc, s4, v14
	s_mov_b64 s[4:5], 0
                                        ; implicit-def: $sgpr10
	s_and_saveexec_b64 s[6:7], vcc
	s_xor_b64 s[6:7], exec, s[6:7]
	s_cbranch_execnz .LBB59_3633
; %bb.1585:
	s_or_saveexec_b64 s[6:7], s[6:7]
	v_mov_b32_e32 v10, s10
	s_xor_b64 exec, exec, s[6:7]
	s_cbranch_execnz .LBB59_3636
.LBB59_1586:
	s_or_b64 exec, exec, s[6:7]
	s_and_saveexec_b64 s[6:7], s[4:5]
	s_cbranch_execz .LBB59_1588
.LBB59_1587:
	v_bfe_u32 v10, v15, 16, 3
	v_ffbh_u32_e32 v21, v10
	v_min_u32_e32 v21, 32, v21
	v_lshrrev_b32_e32 v14, 19, v15
	v_subrev_u32_e32 v22, 28, v21
	v_and_b32_e32 v14, 15, v14
	v_lshlrev_b32_sdwa v22, v22, v15 dst_sel:DWORD dst_unused:UNUSED_PAD src0_sel:DWORD src1_sel:WORD_1
	v_bfe_u32 v20, v15, 19, 4
	v_sub_u32_e32 v21, 29, v21
	v_and_b32_e32 v22, 7, v22
	v_cmp_eq_u16_e32 vcc, 0, v14
	v_cndmask_b32_e32 v10, v10, v22, vcc
	v_cndmask_b32_e32 v14, v20, v21, vcc
	v_lshlrev_b32_e32 v20, 8, v15
	v_mov_b32_e32 v21, 0x3b800000
	v_lshlrev_b32_e32 v10, 20, v10
	v_and_b32_e32 v20, 0x80000000, v20
	v_lshl_add_u32 v14, v14, 23, v21
	v_or3_b32 v10, v20, v14, v10
.LBB59_1588:
	s_or_b64 exec, exec, s[6:7]
	s_movk_i32 s4, 0xff
	v_and_b32_sdwa v14, v11, s4 dst_sel:DWORD dst_unused:UNUSED_PAD src0_sel:WORD_1 src1_sel:DWORD
	s_movk_i32 s4, 0x7f
	v_cmp_lt_i16_e32 vcc, s4, v14
	s_mov_b64 s[4:5], 0
                                        ; implicit-def: $sgpr10
	s_and_saveexec_b64 s[6:7], vcc
	s_xor_b64 s[6:7], exec, s[6:7]
	s_cbranch_execnz .LBB59_3637
; %bb.1589:
	s_or_saveexec_b64 s[6:7], s[6:7]
	v_mov_b32_e32 v20, s10
	s_xor_b64 exec, exec, s[6:7]
	s_cbranch_execnz .LBB59_3640
.LBB59_1590:
	s_or_b64 exec, exec, s[6:7]
	s_and_saveexec_b64 s[6:7], s[4:5]
	s_cbranch_execz .LBB59_1592
.LBB59_1591:
	v_bfe_u32 v14, v11, 16, 3
	v_ffbh_u32_e32 v22, v14
	v_min_u32_e32 v22, 32, v22
	v_lshrrev_b32_e32 v20, 19, v11
	v_subrev_u32_e32 v23, 28, v22
	v_and_b32_e32 v20, 15, v20
	v_lshlrev_b32_sdwa v23, v23, v11 dst_sel:DWORD dst_unused:UNUSED_PAD src0_sel:DWORD src1_sel:WORD_1
	v_bfe_u32 v21, v11, 19, 4
	v_sub_u32_e32 v22, 29, v22
	v_and_b32_e32 v23, 7, v23
	v_cmp_eq_u16_e32 vcc, 0, v20
	v_cndmask_b32_e32 v14, v14, v23, vcc
	v_cndmask_b32_e32 v20, v21, v22, vcc
	v_lshlrev_b32_e32 v21, 8, v11
	v_mov_b32_e32 v22, 0x3b800000
	v_lshlrev_b32_e32 v14, 20, v14
	v_and_b32_e32 v21, 0x80000000, v21
	v_lshl_add_u32 v20, v20, 23, v22
	v_or3_b32 v20, v21, v20, v14
.LBB59_1592:
	s_or_b64 exec, exec, s[6:7]
	s_nop 0
	v_mfma_f32_16x16x4f32 a[0:3], v10, v20, a[0:3]
	s_movk_i32 s4, 0x7f
	v_cmp_gt_i16_sdwa s[6:7], v15, s4 src0_sel:BYTE_3 src1_sel:DWORD
	s_mov_b64 s[4:5], 0
                                        ; implicit-def: $sgpr10
	s_and_saveexec_b64 s[8:9], s[6:7]
	s_xor_b64 s[6:7], exec, s[8:9]
	s_cbranch_execnz .LBB59_3641
; %bb.1593:
	s_or_saveexec_b64 s[6:7], s[6:7]
	v_mov_b32_e32 v10, s10
	s_xor_b64 exec, exec, s[6:7]
	s_cbranch_execnz .LBB59_3644
.LBB59_1594:
	s_or_b64 exec, exec, s[6:7]
	s_and_saveexec_b64 s[6:7], s[4:5]
	s_cbranch_execz .LBB59_1596
.LBB59_1595:
	v_bfe_u32 v10, v15, 24, 3
	v_ffbh_u32_e32 v22, v10
	v_min_u32_e32 v22, 32, v22
	v_lshrrev_b32_e32 v20, 27, v15
	v_subrev_u32_e32 v23, 28, v22
	v_and_b32_e32 v14, 0x80000000, v15
	v_and_b32_e32 v20, 15, v20
	v_bfe_u32 v21, v15, 27, 4
	v_lshlrev_b32_sdwa v15, v23, v15 dst_sel:DWORD dst_unused:UNUSED_PAD src0_sel:DWORD src1_sel:BYTE_3
	v_sub_u32_e32 v22, 29, v22
	v_and_b32_e32 v15, 7, v15
	v_cmp_eq_u16_e32 vcc, 0, v20
	v_cndmask_b32_e32 v10, v10, v15, vcc
	v_cndmask_b32_e32 v15, v21, v22, vcc
	v_mov_b32_e32 v20, 0x3b800000
	v_lshlrev_b32_e32 v10, 20, v10
	v_lshl_add_u32 v15, v15, 23, v20
	v_or3_b32 v10, v14, v15, v10
.LBB59_1596:
	s_or_b64 exec, exec, s[6:7]
	s_movk_i32 s4, 0x7f
	v_cmp_gt_i16_sdwa s[6:7], v11, s4 src0_sel:BYTE_3 src1_sel:DWORD
	s_mov_b64 s[4:5], 0
                                        ; implicit-def: $sgpr10
	s_and_saveexec_b64 s[8:9], s[6:7]
	s_xor_b64 s[6:7], exec, s[8:9]
	s_cbranch_execnz .LBB59_3645
; %bb.1597:
	s_or_saveexec_b64 s[6:7], s[6:7]
	v_mov_b32_e32 v14, s10
	s_xor_b64 exec, exec, s[6:7]
	s_cbranch_execnz .LBB59_3648
.LBB59_1598:
	s_or_b64 exec, exec, s[6:7]
	s_and_saveexec_b64 s[6:7], s[4:5]
	s_cbranch_execz .LBB59_1600
.LBB59_1599:
	v_bfe_u32 v14, v11, 24, 3
	v_ffbh_u32_e32 v22, v14
	v_min_u32_e32 v22, 32, v22
	v_lshrrev_b32_e32 v20, 27, v11
	v_subrev_u32_e32 v23, 28, v22
	v_and_b32_e32 v15, 0x80000000, v11
	v_and_b32_e32 v20, 15, v20
	v_bfe_u32 v21, v11, 27, 4
	v_lshlrev_b32_sdwa v11, v23, v11 dst_sel:DWORD dst_unused:UNUSED_PAD src0_sel:DWORD src1_sel:BYTE_3
	v_sub_u32_e32 v22, 29, v22
	v_and_b32_e32 v11, 7, v11
	v_cmp_eq_u16_e32 vcc, 0, v20
	v_cndmask_b32_e32 v11, v14, v11, vcc
	v_cndmask_b32_e32 v14, v21, v22, vcc
	v_mov_b32_e32 v20, 0x3b800000
	v_lshlrev_b32_e32 v11, 20, v11
	v_lshl_add_u32 v14, v14, 23, v20
	v_or3_b32 v14, v15, v14, v11
.LBB59_1600:
	s_or_b64 exec, exec, s[6:7]
	s_nop 0
	v_mfma_f32_16x16x4f32 a[0:3], v10, v14, a[0:3]
	s_movk_i32 s4, 0x7f
	v_cmp_gt_i16_sdwa s[6:7], v16, s4 src0_sel:BYTE_0 src1_sel:DWORD
	s_mov_b64 s[4:5], 0
                                        ; implicit-def: $sgpr10
	s_and_saveexec_b64 s[8:9], s[6:7]
	s_xor_b64 s[6:7], exec, s[8:9]
	s_cbranch_execnz .LBB59_3649
; %bb.1601:
	s_or_saveexec_b64 s[6:7], s[6:7]
	v_mov_b32_e32 v10, s10
	s_xor_b64 exec, exec, s[6:7]
	s_cbranch_execnz .LBB59_3652
.LBB59_1602:
	s_or_b64 exec, exec, s[6:7]
	s_and_saveexec_b64 s[6:7], s[4:5]
	s_cbranch_execz .LBB59_1604
.LBB59_1603:
	v_and_b32_e32 v10, 7, v16
	v_ffbh_u32_e32 v14, v10
	v_min_u32_e32 v14, 32, v14
	v_lshrrev_b16_e32 v11, 3, v16
	v_subrev_u32_e32 v15, 28, v14
	v_and_b32_e32 v11, 15, v11
	v_lshlrev_b32_e32 v15, v15, v16
	v_sub_u32_e32 v14, 29, v14
	v_and_b32_e32 v15, 7, v15
	v_cmp_eq_u16_e32 vcc, 0, v11
	v_cndmask_b32_e32 v10, v10, v15, vcc
	v_cndmask_b32_e32 v11, v11, v14, vcc
	v_lshlrev_b32_e32 v14, 24, v16
	v_mov_b32_e32 v15, 0x3b800000
	v_lshlrev_b32_e32 v10, 20, v10
	v_and_b32_e32 v14, 0x80000000, v14
	v_lshl_add_u32 v11, v11, 23, v15
	v_or3_b32 v10, v14, v11, v10
.LBB59_1604:
	s_or_b64 exec, exec, s[6:7]
	s_movk_i32 s4, 0x7f
	v_cmp_gt_i16_sdwa s[6:7], v12, s4 src0_sel:BYTE_0 src1_sel:DWORD
	s_mov_b64 s[4:5], 0
                                        ; implicit-def: $sgpr10
	s_and_saveexec_b64 s[8:9], s[6:7]
	s_xor_b64 s[6:7], exec, s[8:9]
	s_cbranch_execnz .LBB59_3653
; %bb.1605:
	s_or_saveexec_b64 s[6:7], s[6:7]
	v_mov_b32_e32 v11, s10
	s_xor_b64 exec, exec, s[6:7]
	s_cbranch_execnz .LBB59_3656
.LBB59_1606:
	s_or_b64 exec, exec, s[6:7]
	s_and_saveexec_b64 s[6:7], s[4:5]
	s_cbranch_execz .LBB59_1608
.LBB59_1607:
	v_and_b32_e32 v11, 7, v12
	v_ffbh_u32_e32 v15, v11
	v_min_u32_e32 v15, 32, v15
	v_lshrrev_b16_e32 v14, 3, v12
	v_subrev_u32_e32 v20, 28, v15
	v_and_b32_e32 v14, 15, v14
	v_lshlrev_b32_e32 v20, v20, v12
	v_sub_u32_e32 v15, 29, v15
	v_and_b32_e32 v20, 7, v20
	v_cmp_eq_u16_e32 vcc, 0, v14
	v_cndmask_b32_e32 v11, v11, v20, vcc
	v_cndmask_b32_e32 v14, v14, v15, vcc
	v_lshlrev_b32_e32 v15, 24, v12
	v_mov_b32_e32 v20, 0x3b800000
	v_lshlrev_b32_e32 v11, 20, v11
	v_and_b32_e32 v15, 0x80000000, v15
	v_lshl_add_u32 v14, v14, 23, v20
	v_or3_b32 v11, v15, v14, v11
.LBB59_1608:
	s_or_b64 exec, exec, s[6:7]
	s_nop 0
	v_mfma_f32_16x16x4f32 a[0:3], v10, v11, a[0:3]
	v_lshrrev_b32_e32 v11, 8, v16
	s_movk_i32 s4, 0x7f
	v_cmp_gt_i16_sdwa s[6:7], v11, s4 src0_sel:BYTE_0 src1_sel:DWORD
	s_mov_b64 s[4:5], 0
                                        ; implicit-def: $sgpr10
	s_and_saveexec_b64 s[8:9], s[6:7]
	s_xor_b64 s[6:7], exec, s[8:9]
	s_cbranch_execnz .LBB59_3657
; %bb.1609:
	s_or_saveexec_b64 s[6:7], s[6:7]
	v_mov_b32_e32 v10, s10
	s_xor_b64 exec, exec, s[6:7]
	s_cbranch_execnz .LBB59_3660
.LBB59_1610:
	s_or_b64 exec, exec, s[6:7]
	s_and_saveexec_b64 s[6:7], s[4:5]
	s_cbranch_execz .LBB59_1612
.LBB59_1611:
	v_bfe_u32 v10, v16, 8, 3
	v_ffbh_u32_e32 v15, v10
	v_min_u32_e32 v15, 32, v15
	v_lshrrev_b16_e32 v14, 3, v11
	v_subrev_u32_e32 v20, 28, v15
	v_and_b32_e32 v14, 15, v14
	v_lshlrev_b32_e32 v11, v20, v11
	v_sub_u32_e32 v15, 29, v15
	v_and_b32_e32 v11, 7, v11
	v_cmp_eq_u16_e32 vcc, 0, v14
	v_cndmask_b32_e32 v10, v10, v11, vcc
	v_cndmask_b32_e32 v11, v14, v15, vcc
	v_lshlrev_b32_e32 v14, 16, v16
	v_mov_b32_e32 v15, 0x3b800000
	v_lshlrev_b32_e32 v10, 20, v10
	v_and_b32_e32 v14, 0x80000000, v14
	v_lshl_add_u32 v11, v11, 23, v15
	v_or3_b32 v10, v14, v11, v10
.LBB59_1612:
	s_or_b64 exec, exec, s[6:7]
	v_lshrrev_b32_e32 v11, 8, v12
	s_movk_i32 s4, 0x7f
	v_cmp_gt_i16_sdwa s[6:7], v11, s4 src0_sel:BYTE_0 src1_sel:DWORD
	s_mov_b64 s[4:5], 0
                                        ; implicit-def: $sgpr10
	s_and_saveexec_b64 s[8:9], s[6:7]
	s_xor_b64 s[6:7], exec, s[8:9]
	s_cbranch_execnz .LBB59_3661
; %bb.1613:
	s_or_saveexec_b64 s[6:7], s[6:7]
	v_mov_b32_e32 v14, s10
	s_xor_b64 exec, exec, s[6:7]
	s_cbranch_execnz .LBB59_3664
.LBB59_1614:
	s_or_b64 exec, exec, s[6:7]
	s_and_saveexec_b64 s[6:7], s[4:5]
	s_cbranch_execz .LBB59_1616
.LBB59_1615:
	v_bfe_u32 v14, v12, 8, 3
	v_ffbh_u32_e32 v20, v14
	v_min_u32_e32 v20, 32, v20
	v_lshrrev_b16_e32 v15, 3, v11
	v_subrev_u32_e32 v21, 28, v20
	v_and_b32_e32 v15, 15, v15
	v_lshlrev_b32_e32 v11, v21, v11
	v_sub_u32_e32 v20, 29, v20
	v_and_b32_e32 v11, 7, v11
	v_cmp_eq_u16_e32 vcc, 0, v15
	v_cndmask_b32_e32 v11, v14, v11, vcc
	v_cndmask_b32_e32 v14, v15, v20, vcc
	v_lshlrev_b32_e32 v15, 16, v12
	v_mov_b32_e32 v20, 0x3b800000
	v_lshlrev_b32_e32 v11, 20, v11
	v_and_b32_e32 v15, 0x80000000, v15
	v_lshl_add_u32 v14, v14, 23, v20
	v_or3_b32 v14, v15, v14, v11
.LBB59_1616:
	s_or_b64 exec, exec, s[6:7]
	s_nop 0
	v_mfma_f32_16x16x4f32 a[0:3], v10, v14, a[0:3]
	s_movk_i32 s4, 0xff
	v_and_b32_sdwa v11, v16, s4 dst_sel:DWORD dst_unused:UNUSED_PAD src0_sel:WORD_1 src1_sel:DWORD
	s_movk_i32 s4, 0x7f
	v_cmp_lt_i16_e32 vcc, s4, v11
	s_mov_b64 s[4:5], 0
                                        ; implicit-def: $sgpr10
	s_and_saveexec_b64 s[6:7], vcc
	s_xor_b64 s[6:7], exec, s[6:7]
	s_cbranch_execnz .LBB59_3665
; %bb.1617:
	s_or_saveexec_b64 s[6:7], s[6:7]
	v_mov_b32_e32 v10, s10
	s_xor_b64 exec, exec, s[6:7]
	s_cbranch_execnz .LBB59_3668
.LBB59_1618:
	s_or_b64 exec, exec, s[6:7]
	s_and_saveexec_b64 s[6:7], s[4:5]
	s_cbranch_execz .LBB59_1620
.LBB59_1619:
	v_bfe_u32 v10, v16, 16, 3
	v_ffbh_u32_e32 v15, v10
	v_min_u32_e32 v15, 32, v15
	v_lshrrev_b32_e32 v11, 19, v16
	v_subrev_u32_e32 v20, 28, v15
	v_and_b32_e32 v11, 15, v11
	v_lshlrev_b32_sdwa v20, v20, v16 dst_sel:DWORD dst_unused:UNUSED_PAD src0_sel:DWORD src1_sel:WORD_1
	v_bfe_u32 v14, v16, 19, 4
	v_sub_u32_e32 v15, 29, v15
	v_and_b32_e32 v20, 7, v20
	v_cmp_eq_u16_e32 vcc, 0, v11
	v_cndmask_b32_e32 v10, v10, v20, vcc
	v_cndmask_b32_e32 v11, v14, v15, vcc
	v_lshlrev_b32_e32 v14, 8, v16
	v_mov_b32_e32 v15, 0x3b800000
	v_lshlrev_b32_e32 v10, 20, v10
	v_and_b32_e32 v14, 0x80000000, v14
	v_lshl_add_u32 v11, v11, 23, v15
	v_or3_b32 v10, v14, v11, v10
.LBB59_1620:
	s_or_b64 exec, exec, s[6:7]
	s_movk_i32 s4, 0xff
	v_and_b32_sdwa v11, v12, s4 dst_sel:DWORD dst_unused:UNUSED_PAD src0_sel:WORD_1 src1_sel:DWORD
	s_movk_i32 s4, 0x7f
	v_cmp_lt_i16_e32 vcc, s4, v11
	s_mov_b64 s[4:5], 0
                                        ; implicit-def: $sgpr10
	s_and_saveexec_b64 s[6:7], vcc
	s_xor_b64 s[6:7], exec, s[6:7]
	s_cbranch_execnz .LBB59_3669
; %bb.1621:
	s_or_saveexec_b64 s[6:7], s[6:7]
	v_mov_b32_e32 v14, s10
	s_xor_b64 exec, exec, s[6:7]
	s_cbranch_execnz .LBB59_3672
.LBB59_1622:
	s_or_b64 exec, exec, s[6:7]
	s_and_saveexec_b64 s[6:7], s[4:5]
	s_cbranch_execz .LBB59_1624
.LBB59_1623:
	v_bfe_u32 v11, v12, 16, 3
	v_ffbh_u32_e32 v20, v11
	v_min_u32_e32 v20, 32, v20
	v_lshrrev_b32_e32 v14, 19, v12
	v_subrev_u32_e32 v21, 28, v20
	v_and_b32_e32 v14, 15, v14
	v_lshlrev_b32_sdwa v21, v21, v12 dst_sel:DWORD dst_unused:UNUSED_PAD src0_sel:DWORD src1_sel:WORD_1
	v_bfe_u32 v15, v12, 19, 4
	v_sub_u32_e32 v20, 29, v20
	v_and_b32_e32 v21, 7, v21
	v_cmp_eq_u16_e32 vcc, 0, v14
	v_cndmask_b32_e32 v11, v11, v21, vcc
	v_cndmask_b32_e32 v14, v15, v20, vcc
	v_lshlrev_b32_e32 v15, 8, v12
	v_mov_b32_e32 v20, 0x3b800000
	v_lshlrev_b32_e32 v11, 20, v11
	v_and_b32_e32 v15, 0x80000000, v15
	v_lshl_add_u32 v14, v14, 23, v20
	v_or3_b32 v14, v15, v14, v11
.LBB59_1624:
	s_or_b64 exec, exec, s[6:7]
	s_nop 0
	v_mfma_f32_16x16x4f32 a[0:3], v10, v14, a[0:3]
	s_movk_i32 s4, 0x7f
	v_cmp_gt_i16_sdwa s[6:7], v16, s4 src0_sel:BYTE_3 src1_sel:DWORD
	s_mov_b64 s[4:5], 0
                                        ; implicit-def: $sgpr10
	s_and_saveexec_b64 s[8:9], s[6:7]
	s_xor_b64 s[6:7], exec, s[8:9]
	s_cbranch_execnz .LBB59_3673
; %bb.1625:
	s_or_saveexec_b64 s[6:7], s[6:7]
	v_mov_b32_e32 v10, s10
	s_xor_b64 exec, exec, s[6:7]
	s_cbranch_execnz .LBB59_3676
.LBB59_1626:
	s_or_b64 exec, exec, s[6:7]
	s_and_saveexec_b64 s[6:7], s[4:5]
	s_cbranch_execz .LBB59_1628
.LBB59_1627:
	v_bfe_u32 v10, v16, 24, 3
	v_ffbh_u32_e32 v20, v10
	v_min_u32_e32 v20, 32, v20
	v_lshrrev_b32_e32 v14, 27, v16
	v_subrev_u32_e32 v21, 28, v20
	v_and_b32_e32 v11, 0x80000000, v16
	v_and_b32_e32 v14, 15, v14
	v_bfe_u32 v15, v16, 27, 4
	v_lshlrev_b32_sdwa v16, v21, v16 dst_sel:DWORD dst_unused:UNUSED_PAD src0_sel:DWORD src1_sel:BYTE_3
	v_sub_u32_e32 v20, 29, v20
	v_and_b32_e32 v16, 7, v16
	v_cmp_eq_u16_e32 vcc, 0, v14
	v_cndmask_b32_e32 v10, v10, v16, vcc
	v_cndmask_b32_e32 v14, v15, v20, vcc
	v_mov_b32_e32 v15, 0x3b800000
	v_lshlrev_b32_e32 v10, 20, v10
	v_lshl_add_u32 v14, v14, 23, v15
	v_or3_b32 v10, v11, v14, v10
.LBB59_1628:
	s_or_b64 exec, exec, s[6:7]
	s_movk_i32 s4, 0x7f
	v_cmp_gt_i16_sdwa s[6:7], v12, s4 src0_sel:BYTE_3 src1_sel:DWORD
	s_mov_b64 s[4:5], 0
                                        ; implicit-def: $sgpr10
	s_and_saveexec_b64 s[8:9], s[6:7]
	s_xor_b64 s[6:7], exec, s[8:9]
	s_cbranch_execnz .LBB59_3677
; %bb.1629:
	s_or_saveexec_b64 s[6:7], s[6:7]
	v_mov_b32_e32 v11, s10
	s_xor_b64 exec, exec, s[6:7]
	s_cbranch_execnz .LBB59_3680
.LBB59_1630:
	s_or_b64 exec, exec, s[6:7]
	s_and_saveexec_b64 s[6:7], s[4:5]
	s_cbranch_execz .LBB59_1632
.LBB59_1631:
	v_bfe_u32 v11, v12, 24, 3
	v_ffbh_u32_e32 v20, v11
	v_min_u32_e32 v20, 32, v20
	v_lshrrev_b32_e32 v15, 27, v12
	v_subrev_u32_e32 v21, 28, v20
	v_and_b32_e32 v14, 0x80000000, v12
	v_and_b32_e32 v15, 15, v15
	v_bfe_u32 v16, v12, 27, 4
	v_lshlrev_b32_sdwa v12, v21, v12 dst_sel:DWORD dst_unused:UNUSED_PAD src0_sel:DWORD src1_sel:BYTE_3
	v_sub_u32_e32 v20, 29, v20
	v_and_b32_e32 v12, 7, v12
	v_cmp_eq_u16_e32 vcc, 0, v15
	v_cndmask_b32_e32 v11, v11, v12, vcc
	v_cndmask_b32_e32 v12, v16, v20, vcc
	v_mov_b32_e32 v15, 0x3b800000
	v_lshlrev_b32_e32 v11, 20, v11
	v_lshl_add_u32 v12, v12, 23, v15
	v_or3_b32 v11, v14, v12, v11
.LBB59_1632:
	s_or_b64 exec, exec, s[6:7]
	s_nop 0
	v_mfma_f32_16x16x4f32 a[0:3], v10, v11, a[0:3]
	s_movk_i32 s4, 0x7f
	v_cmp_gt_i16_sdwa s[6:7], v17, s4 src0_sel:BYTE_0 src1_sel:DWORD
	s_mov_b64 s[4:5], 0
                                        ; implicit-def: $sgpr10
	s_and_saveexec_b64 s[8:9], s[6:7]
	s_xor_b64 s[6:7], exec, s[8:9]
	s_cbranch_execnz .LBB59_3681
; %bb.1633:
	s_or_saveexec_b64 s[6:7], s[6:7]
	v_mov_b32_e32 v10, s10
	s_xor_b64 exec, exec, s[6:7]
	s_cbranch_execnz .LBB59_3684
.LBB59_1634:
	s_or_b64 exec, exec, s[6:7]
	s_and_saveexec_b64 s[6:7], s[4:5]
	s_cbranch_execz .LBB59_1636
.LBB59_1635:
	v_and_b32_e32 v10, 7, v17
	v_ffbh_u32_e32 v12, v10
	v_min_u32_e32 v12, 32, v12
	v_lshrrev_b16_e32 v11, 3, v17
	v_subrev_u32_e32 v14, 28, v12
	v_and_b32_e32 v11, 15, v11
	v_lshlrev_b32_e32 v14, v14, v17
	v_sub_u32_e32 v12, 29, v12
	v_and_b32_e32 v14, 7, v14
	v_cmp_eq_u16_e32 vcc, 0, v11
	v_cndmask_b32_e32 v10, v10, v14, vcc
	v_cndmask_b32_e32 v11, v11, v12, vcc
	v_lshlrev_b32_e32 v12, 24, v17
	v_mov_b32_e32 v14, 0x3b800000
	v_lshlrev_b32_e32 v10, 20, v10
	v_and_b32_e32 v12, 0x80000000, v12
	v_lshl_add_u32 v11, v11, 23, v14
	v_or3_b32 v10, v12, v11, v10
.LBB59_1636:
	s_or_b64 exec, exec, s[6:7]
	s_movk_i32 s4, 0x7f
	v_cmp_gt_i16_sdwa s[6:7], v13, s4 src0_sel:BYTE_0 src1_sel:DWORD
	s_mov_b64 s[4:5], 0
                                        ; implicit-def: $sgpr10
	s_and_saveexec_b64 s[8:9], s[6:7]
	s_xor_b64 s[6:7], exec, s[8:9]
	s_cbranch_execnz .LBB59_3685
; %bb.1637:
	s_or_saveexec_b64 s[6:7], s[6:7]
	v_mov_b32_e32 v11, s10
	s_xor_b64 exec, exec, s[6:7]
	s_cbranch_execnz .LBB59_3688
.LBB59_1638:
	s_or_b64 exec, exec, s[6:7]
	s_and_saveexec_b64 s[6:7], s[4:5]
	s_cbranch_execz .LBB59_1640
.LBB59_1639:
	v_and_b32_e32 v11, 7, v13
	v_ffbh_u32_e32 v14, v11
	v_min_u32_e32 v14, 32, v14
	v_lshrrev_b16_e32 v12, 3, v13
	v_subrev_u32_e32 v15, 28, v14
	v_and_b32_e32 v12, 15, v12
	v_lshlrev_b32_e32 v15, v15, v13
	v_sub_u32_e32 v14, 29, v14
	v_and_b32_e32 v15, 7, v15
	v_cmp_eq_u16_e32 vcc, 0, v12
	v_cndmask_b32_e32 v11, v11, v15, vcc
	v_cndmask_b32_e32 v12, v12, v14, vcc
	v_lshlrev_b32_e32 v14, 24, v13
	v_mov_b32_e32 v15, 0x3b800000
	v_lshlrev_b32_e32 v11, 20, v11
	v_and_b32_e32 v14, 0x80000000, v14
	v_lshl_add_u32 v12, v12, 23, v15
	v_or3_b32 v11, v14, v12, v11
.LBB59_1640:
	s_or_b64 exec, exec, s[6:7]
	s_nop 0
	v_mfma_f32_16x16x4f32 a[0:3], v10, v11, a[0:3]
	v_lshrrev_b32_e32 v11, 8, v17
	s_movk_i32 s4, 0x7f
	v_cmp_gt_i16_sdwa s[6:7], v11, s4 src0_sel:BYTE_0 src1_sel:DWORD
	s_mov_b64 s[4:5], 0
                                        ; implicit-def: $sgpr10
	s_and_saveexec_b64 s[8:9], s[6:7]
	s_xor_b64 s[6:7], exec, s[8:9]
	s_cbranch_execnz .LBB59_3689
; %bb.1641:
	s_or_saveexec_b64 s[6:7], s[6:7]
	v_mov_b32_e32 v10, s10
	s_xor_b64 exec, exec, s[6:7]
	s_cbranch_execnz .LBB59_3692
.LBB59_1642:
	s_or_b64 exec, exec, s[6:7]
	s_and_saveexec_b64 s[6:7], s[4:5]
	s_cbranch_execz .LBB59_1644
.LBB59_1643:
	v_bfe_u32 v10, v17, 8, 3
	v_ffbh_u32_e32 v14, v10
	v_min_u32_e32 v14, 32, v14
	v_lshrrev_b16_e32 v12, 3, v11
	v_subrev_u32_e32 v15, 28, v14
	v_and_b32_e32 v12, 15, v12
	v_lshlrev_b32_e32 v11, v15, v11
	v_sub_u32_e32 v14, 29, v14
	v_and_b32_e32 v11, 7, v11
	v_cmp_eq_u16_e32 vcc, 0, v12
	v_cndmask_b32_e32 v10, v10, v11, vcc
	v_cndmask_b32_e32 v11, v12, v14, vcc
	v_lshlrev_b32_e32 v12, 16, v17
	v_mov_b32_e32 v14, 0x3b800000
	v_lshlrev_b32_e32 v10, 20, v10
	v_and_b32_e32 v12, 0x80000000, v12
	v_lshl_add_u32 v11, v11, 23, v14
	v_or3_b32 v10, v12, v11, v10
.LBB59_1644:
	s_or_b64 exec, exec, s[6:7]
	v_lshrrev_b32_e32 v11, 8, v13
	s_movk_i32 s4, 0x7f
	v_cmp_gt_i16_sdwa s[6:7], v11, s4 src0_sel:BYTE_0 src1_sel:DWORD
	s_mov_b64 s[4:5], 0
                                        ; implicit-def: $sgpr10
	s_and_saveexec_b64 s[8:9], s[6:7]
	s_xor_b64 s[6:7], exec, s[8:9]
	s_cbranch_execnz .LBB59_3693
; %bb.1645:
	s_or_saveexec_b64 s[6:7], s[6:7]
	v_mov_b32_e32 v12, s10
	s_xor_b64 exec, exec, s[6:7]
	s_cbranch_execnz .LBB59_3696
.LBB59_1646:
	s_or_b64 exec, exec, s[6:7]
	s_and_saveexec_b64 s[6:7], s[4:5]
	s_cbranch_execz .LBB59_1648
.LBB59_1647:
	v_bfe_u32 v12, v13, 8, 3
	v_ffbh_u32_e32 v15, v12
	v_min_u32_e32 v15, 32, v15
	v_lshrrev_b16_e32 v14, 3, v11
	v_subrev_u32_e32 v16, 28, v15
	v_and_b32_e32 v14, 15, v14
	v_lshlrev_b32_e32 v11, v16, v11
	v_sub_u32_e32 v15, 29, v15
	v_and_b32_e32 v11, 7, v11
	v_cmp_eq_u16_e32 vcc, 0, v14
	v_cndmask_b32_e32 v11, v12, v11, vcc
	v_cndmask_b32_e32 v12, v14, v15, vcc
	v_lshlrev_b32_e32 v14, 16, v13
	v_mov_b32_e32 v15, 0x3b800000
	v_lshlrev_b32_e32 v11, 20, v11
	v_and_b32_e32 v14, 0x80000000, v14
	v_lshl_add_u32 v12, v12, 23, v15
	v_or3_b32 v12, v14, v12, v11
.LBB59_1648:
	s_or_b64 exec, exec, s[6:7]
	s_nop 0
	v_mfma_f32_16x16x4f32 a[0:3], v10, v12, a[0:3]
	s_movk_i32 s4, 0xff
	v_and_b32_sdwa v11, v17, s4 dst_sel:DWORD dst_unused:UNUSED_PAD src0_sel:WORD_1 src1_sel:DWORD
	s_movk_i32 s4, 0x7f
	v_cmp_lt_i16_e32 vcc, s4, v11
	s_mov_b64 s[4:5], 0
                                        ; implicit-def: $sgpr10
	s_and_saveexec_b64 s[6:7], vcc
	s_xor_b64 s[6:7], exec, s[6:7]
	s_cbranch_execnz .LBB59_3697
; %bb.1649:
	s_or_saveexec_b64 s[6:7], s[6:7]
	v_mov_b32_e32 v10, s10
	s_xor_b64 exec, exec, s[6:7]
	s_cbranch_execnz .LBB59_3700
.LBB59_1650:
	s_or_b64 exec, exec, s[6:7]
	s_and_saveexec_b64 s[6:7], s[4:5]
	s_cbranch_execz .LBB59_1652
.LBB59_1651:
	v_bfe_u32 v10, v17, 16, 3
	v_ffbh_u32_e32 v14, v10
	v_min_u32_e32 v14, 32, v14
	v_lshrrev_b32_e32 v11, 19, v17
	v_subrev_u32_e32 v15, 28, v14
	v_and_b32_e32 v11, 15, v11
	v_lshlrev_b32_sdwa v15, v15, v17 dst_sel:DWORD dst_unused:UNUSED_PAD src0_sel:DWORD src1_sel:WORD_1
	v_bfe_u32 v12, v17, 19, 4
	v_sub_u32_e32 v14, 29, v14
	v_and_b32_e32 v15, 7, v15
	v_cmp_eq_u16_e32 vcc, 0, v11
	v_cndmask_b32_e32 v10, v10, v15, vcc
	v_cndmask_b32_e32 v11, v12, v14, vcc
	v_lshlrev_b32_e32 v12, 8, v17
	v_mov_b32_e32 v14, 0x3b800000
	v_lshlrev_b32_e32 v10, 20, v10
	v_and_b32_e32 v12, 0x80000000, v12
	v_lshl_add_u32 v11, v11, 23, v14
	v_or3_b32 v10, v12, v11, v10
.LBB59_1652:
	s_or_b64 exec, exec, s[6:7]
	s_movk_i32 s4, 0xff
	v_and_b32_sdwa v11, v13, s4 dst_sel:DWORD dst_unused:UNUSED_PAD src0_sel:WORD_1 src1_sel:DWORD
	s_movk_i32 s4, 0x7f
	v_cmp_lt_i16_e32 vcc, s4, v11
	s_mov_b64 s[4:5], 0
                                        ; implicit-def: $sgpr10
	s_and_saveexec_b64 s[6:7], vcc
	s_xor_b64 s[6:7], exec, s[6:7]
	s_cbranch_execnz .LBB59_3701
; %bb.1653:
	s_or_saveexec_b64 s[6:7], s[6:7]
	v_mov_b32_e32 v12, s10
	s_xor_b64 exec, exec, s[6:7]
	s_cbranch_execnz .LBB59_3704
.LBB59_1654:
	s_or_b64 exec, exec, s[6:7]
	s_and_saveexec_b64 s[6:7], s[4:5]
	s_cbranch_execz .LBB59_1656
.LBB59_1655:
	v_bfe_u32 v11, v13, 16, 3
	v_ffbh_u32_e32 v15, v11
	v_min_u32_e32 v15, 32, v15
	v_lshrrev_b32_e32 v12, 19, v13
	v_subrev_u32_e32 v16, 28, v15
	v_and_b32_e32 v12, 15, v12
	v_lshlrev_b32_sdwa v16, v16, v13 dst_sel:DWORD dst_unused:UNUSED_PAD src0_sel:DWORD src1_sel:WORD_1
	v_bfe_u32 v14, v13, 19, 4
	v_sub_u32_e32 v15, 29, v15
	v_and_b32_e32 v16, 7, v16
	v_cmp_eq_u16_e32 vcc, 0, v12
	v_cndmask_b32_e32 v11, v11, v16, vcc
	v_cndmask_b32_e32 v12, v14, v15, vcc
	v_lshlrev_b32_e32 v14, 8, v13
	v_mov_b32_e32 v15, 0x3b800000
	v_lshlrev_b32_e32 v11, 20, v11
	v_and_b32_e32 v14, 0x80000000, v14
	v_lshl_add_u32 v12, v12, 23, v15
	v_or3_b32 v12, v14, v12, v11
.LBB59_1656:
	s_or_b64 exec, exec, s[6:7]
	s_nop 0
	v_mfma_f32_16x16x4f32 a[0:3], v10, v12, a[0:3]
	s_movk_i32 s4, 0x7f
	v_cmp_gt_i16_sdwa s[6:7], v17, s4 src0_sel:BYTE_3 src1_sel:DWORD
	s_mov_b64 s[4:5], 0
                                        ; implicit-def: $sgpr10
	s_and_saveexec_b64 s[8:9], s[6:7]
	s_xor_b64 s[6:7], exec, s[8:9]
	s_cbranch_execnz .LBB59_3705
; %bb.1657:
	s_or_saveexec_b64 s[6:7], s[6:7]
	v_mov_b32_e32 v10, s10
	s_xor_b64 exec, exec, s[6:7]
	s_cbranch_execnz .LBB59_3708
.LBB59_1658:
	s_or_b64 exec, exec, s[6:7]
	s_and_saveexec_b64 s[6:7], s[4:5]
	s_cbranch_execz .LBB59_1660
.LBB59_1659:
	v_bfe_u32 v10, v17, 24, 3
	v_ffbh_u32_e32 v15, v10
	v_min_u32_e32 v15, 32, v15
	v_lshrrev_b32_e32 v12, 27, v17
	v_subrev_u32_e32 v16, 28, v15
	v_and_b32_e32 v12, 15, v12
	v_lshlrev_b32_sdwa v16, v16, v17 dst_sel:DWORD dst_unused:UNUSED_PAD src0_sel:DWORD src1_sel:BYTE_3
	v_bfe_u32 v14, v17, 27, 4
	v_sub_u32_e32 v15, 29, v15
	v_and_b32_e32 v16, 7, v16
	v_cmp_eq_u16_e32 vcc, 0, v12
	v_cndmask_b32_e32 v10, v10, v16, vcc
	v_cndmask_b32_e32 v12, v14, v15, vcc
	v_mov_b32_e32 v14, 0x3b800000
	v_and_b32_e32 v11, 0x80000000, v17
	v_lshlrev_b32_e32 v10, 20, v10
	v_lshl_add_u32 v12, v12, 23, v14
	v_or3_b32 v10, v11, v12, v10
.LBB59_1660:
	s_or_b64 exec, exec, s[6:7]
	s_movk_i32 s4, 0x7f
	v_cmp_gt_i16_sdwa s[6:7], v13, s4 src0_sel:BYTE_3 src1_sel:DWORD
	s_mov_b64 s[4:5], 0
                                        ; implicit-def: $sgpr10
	s_and_saveexec_b64 s[8:9], s[6:7]
	s_xor_b64 s[6:7], exec, s[8:9]
	s_cbranch_execnz .LBB59_3709
; %bb.1661:
	s_or_saveexec_b64 s[6:7], s[6:7]
	v_mov_b32_e32 v11, s10
	s_xor_b64 exec, exec, s[6:7]
	s_cbranch_execnz .LBB59_3712
.LBB59_1662:
	s_or_b64 exec, exec, s[6:7]
	s_and_saveexec_b64 s[6:7], s[4:5]
	s_cbranch_execz .LBB59_1664
.LBB59_1663:
	v_bfe_u32 v11, v13, 24, 3
	v_ffbh_u32_e32 v16, v11
	v_min_u32_e32 v16, 32, v16
	v_lshrrev_b32_e32 v14, 27, v13
	v_subrev_u32_e32 v17, 28, v16
	v_and_b32_e32 v12, 0x80000000, v13
	v_and_b32_e32 v14, 15, v14
	v_bfe_u32 v15, v13, 27, 4
	v_lshlrev_b32_sdwa v13, v17, v13 dst_sel:DWORD dst_unused:UNUSED_PAD src0_sel:DWORD src1_sel:BYTE_3
	v_sub_u32_e32 v16, 29, v16
	v_and_b32_e32 v13, 7, v13
	v_cmp_eq_u16_e32 vcc, 0, v14
	v_cndmask_b32_e32 v11, v11, v13, vcc
	v_cndmask_b32_e32 v13, v15, v16, vcc
	v_mov_b32_e32 v14, 0x3b800000
	v_lshlrev_b32_e32 v11, 20, v11
	v_lshl_add_u32 v13, v13, 23, v14
	v_or3_b32 v11, v12, v13, v11
.LBB59_1664:
	s_or_b64 exec, exec, s[6:7]
	s_nop 0
	v_mfma_f32_16x16x4f32 a[0:3], v10, v11, a[0:3]
	s_movk_i32 s4, 0x7f
	v_cmp_gt_i16_sdwa s[6:7], v6, s4 src0_sel:BYTE_0 src1_sel:DWORD
	s_mov_b64 s[4:5], 0
                                        ; implicit-def: $sgpr10
	s_and_saveexec_b64 s[8:9], s[6:7]
	s_xor_b64 s[6:7], exec, s[8:9]
	s_cbranch_execnz .LBB59_3713
; %bb.1665:
	s_or_saveexec_b64 s[6:7], s[6:7]
	v_mov_b32_e32 v10, s10
	s_xor_b64 exec, exec, s[6:7]
	s_cbranch_execnz .LBB59_3716
.LBB59_1666:
	s_or_b64 exec, exec, s[6:7]
	s_and_saveexec_b64 s[6:7], s[4:5]
	s_cbranch_execz .LBB59_1668
.LBB59_1667:
	v_and_b32_e32 v10, 7, v6
	v_ffbh_u32_e32 v12, v10
	v_min_u32_e32 v12, 32, v12
	v_lshrrev_b16_e32 v11, 3, v6
	v_subrev_u32_e32 v13, 28, v12
	v_and_b32_e32 v11, 15, v11
	v_lshlrev_b32_e32 v13, v13, v6
	v_sub_u32_e32 v12, 29, v12
	v_and_b32_e32 v13, 7, v13
	v_cmp_eq_u16_e32 vcc, 0, v11
	v_cndmask_b32_e32 v10, v10, v13, vcc
	v_cndmask_b32_e32 v11, v11, v12, vcc
	v_lshlrev_b32_e32 v12, 24, v6
	v_mov_b32_e32 v13, 0x3b800000
	v_lshlrev_b32_e32 v10, 20, v10
	v_and_b32_e32 v12, 0x80000000, v12
	v_lshl_add_u32 v11, v11, 23, v13
	v_or3_b32 v10, v12, v11, v10
.LBB59_1668:
	s_or_b64 exec, exec, s[6:7]
	s_movk_i32 s4, 0x7f
	v_cmp_gt_i16_sdwa s[6:7], v2, s4 src0_sel:BYTE_0 src1_sel:DWORD
	s_mov_b64 s[4:5], 0
                                        ; implicit-def: $sgpr10
	s_and_saveexec_b64 s[8:9], s[6:7]
	s_xor_b64 s[6:7], exec, s[8:9]
	s_cbranch_execnz .LBB59_3717
; %bb.1669:
	s_or_saveexec_b64 s[6:7], s[6:7]
	v_mov_b32_e32 v11, s10
	s_xor_b64 exec, exec, s[6:7]
	s_cbranch_execnz .LBB59_3720
.LBB59_1670:
	s_or_b64 exec, exec, s[6:7]
	s_and_saveexec_b64 s[6:7], s[4:5]
	s_cbranch_execz .LBB59_1672
.LBB59_1671:
	v_and_b32_e32 v11, 7, v2
	v_ffbh_u32_e32 v13, v11
	v_min_u32_e32 v13, 32, v13
	v_lshrrev_b16_e32 v12, 3, v2
	v_subrev_u32_e32 v14, 28, v13
	v_and_b32_e32 v12, 15, v12
	v_lshlrev_b32_e32 v14, v14, v2
	v_sub_u32_e32 v13, 29, v13
	v_and_b32_e32 v14, 7, v14
	v_cmp_eq_u16_e32 vcc, 0, v12
	v_cndmask_b32_e32 v11, v11, v14, vcc
	v_cndmask_b32_e32 v12, v12, v13, vcc
	v_lshlrev_b32_e32 v13, 24, v2
	v_mov_b32_e32 v14, 0x3b800000
	v_lshlrev_b32_e32 v11, 20, v11
	v_and_b32_e32 v13, 0x80000000, v13
	v_lshl_add_u32 v12, v12, 23, v14
	v_or3_b32 v11, v13, v12, v11
.LBB59_1672:
	s_or_b64 exec, exec, s[6:7]
	s_nop 0
	v_mfma_f32_16x16x4f32 a[0:3], v10, v11, a[0:3]
	v_lshrrev_b32_e32 v11, 8, v6
	s_movk_i32 s4, 0x7f
	v_cmp_gt_i16_sdwa s[6:7], v11, s4 src0_sel:BYTE_0 src1_sel:DWORD
	s_mov_b64 s[4:5], 0
                                        ; implicit-def: $sgpr10
	s_and_saveexec_b64 s[8:9], s[6:7]
	s_xor_b64 s[6:7], exec, s[8:9]
	s_cbranch_execnz .LBB59_3721
; %bb.1673:
	s_or_saveexec_b64 s[6:7], s[6:7]
	v_mov_b32_e32 v10, s10
	s_xor_b64 exec, exec, s[6:7]
	s_cbranch_execnz .LBB59_3724
.LBB59_1674:
	s_or_b64 exec, exec, s[6:7]
	s_and_saveexec_b64 s[6:7], s[4:5]
	s_cbranch_execz .LBB59_1676
.LBB59_1675:
	v_bfe_u32 v10, v6, 8, 3
	v_ffbh_u32_e32 v13, v10
	v_min_u32_e32 v13, 32, v13
	v_lshrrev_b16_e32 v12, 3, v11
	v_subrev_u32_e32 v14, 28, v13
	v_and_b32_e32 v12, 15, v12
	v_lshlrev_b32_e32 v11, v14, v11
	v_sub_u32_e32 v13, 29, v13
	v_and_b32_e32 v11, 7, v11
	v_cmp_eq_u16_e32 vcc, 0, v12
	v_cndmask_b32_e32 v10, v10, v11, vcc
	v_cndmask_b32_e32 v11, v12, v13, vcc
	v_lshlrev_b32_e32 v12, 16, v6
	v_mov_b32_e32 v13, 0x3b800000
	v_lshlrev_b32_e32 v10, 20, v10
	v_and_b32_e32 v12, 0x80000000, v12
	v_lshl_add_u32 v11, v11, 23, v13
	v_or3_b32 v10, v12, v11, v10
.LBB59_1676:
	s_or_b64 exec, exec, s[6:7]
	v_lshrrev_b32_e32 v11, 8, v2
	s_movk_i32 s4, 0x7f
	v_cmp_gt_i16_sdwa s[6:7], v11, s4 src0_sel:BYTE_0 src1_sel:DWORD
	s_mov_b64 s[4:5], 0
                                        ; implicit-def: $sgpr10
	s_and_saveexec_b64 s[8:9], s[6:7]
	s_xor_b64 s[6:7], exec, s[8:9]
	s_cbranch_execnz .LBB59_3725
; %bb.1677:
	s_or_saveexec_b64 s[6:7], s[6:7]
	v_mov_b32_e32 v12, s10
	s_xor_b64 exec, exec, s[6:7]
	s_cbranch_execnz .LBB59_3728
.LBB59_1678:
	s_or_b64 exec, exec, s[6:7]
	s_and_saveexec_b64 s[6:7], s[4:5]
	s_cbranch_execz .LBB59_1680
.LBB59_1679:
	v_bfe_u32 v12, v2, 8, 3
	v_ffbh_u32_e32 v14, v12
	v_min_u32_e32 v14, 32, v14
	v_lshrrev_b16_e32 v13, 3, v11
	v_subrev_u32_e32 v15, 28, v14
	v_and_b32_e32 v13, 15, v13
	v_lshlrev_b32_e32 v11, v15, v11
	v_sub_u32_e32 v14, 29, v14
	v_and_b32_e32 v11, 7, v11
	v_cmp_eq_u16_e32 vcc, 0, v13
	v_cndmask_b32_e32 v11, v12, v11, vcc
	v_cndmask_b32_e32 v12, v13, v14, vcc
	v_lshlrev_b32_e32 v13, 16, v2
	v_mov_b32_e32 v14, 0x3b800000
	v_lshlrev_b32_e32 v11, 20, v11
	v_and_b32_e32 v13, 0x80000000, v13
	v_lshl_add_u32 v12, v12, 23, v14
	v_or3_b32 v12, v13, v12, v11
.LBB59_1680:
	s_or_b64 exec, exec, s[6:7]
	s_nop 0
	v_mfma_f32_16x16x4f32 a[0:3], v10, v12, a[0:3]
	s_movk_i32 s4, 0xff
	v_and_b32_sdwa v11, v6, s4 dst_sel:DWORD dst_unused:UNUSED_PAD src0_sel:WORD_1 src1_sel:DWORD
	s_movk_i32 s4, 0x7f
	v_cmp_lt_i16_e32 vcc, s4, v11
	s_mov_b64 s[4:5], 0
                                        ; implicit-def: $sgpr10
	s_and_saveexec_b64 s[6:7], vcc
	s_xor_b64 s[6:7], exec, s[6:7]
	s_cbranch_execnz .LBB59_3729
; %bb.1681:
	s_or_saveexec_b64 s[6:7], s[6:7]
	v_mov_b32_e32 v10, s10
	s_xor_b64 exec, exec, s[6:7]
	s_cbranch_execnz .LBB59_3732
.LBB59_1682:
	s_or_b64 exec, exec, s[6:7]
	s_and_saveexec_b64 s[6:7], s[4:5]
	s_cbranch_execz .LBB59_1684
.LBB59_1683:
	v_bfe_u32 v10, v6, 16, 3
	v_ffbh_u32_e32 v13, v10
	v_min_u32_e32 v13, 32, v13
	v_lshrrev_b32_e32 v11, 19, v6
	v_subrev_u32_e32 v14, 28, v13
	v_and_b32_e32 v11, 15, v11
	v_lshlrev_b32_sdwa v14, v14, v6 dst_sel:DWORD dst_unused:UNUSED_PAD src0_sel:DWORD src1_sel:WORD_1
	v_bfe_u32 v12, v6, 19, 4
	v_sub_u32_e32 v13, 29, v13
	v_and_b32_e32 v14, 7, v14
	v_cmp_eq_u16_e32 vcc, 0, v11
	v_cndmask_b32_e32 v10, v10, v14, vcc
	v_cndmask_b32_e32 v11, v12, v13, vcc
	v_lshlrev_b32_e32 v12, 8, v6
	v_mov_b32_e32 v13, 0x3b800000
	v_lshlrev_b32_e32 v10, 20, v10
	v_and_b32_e32 v12, 0x80000000, v12
	v_lshl_add_u32 v11, v11, 23, v13
	v_or3_b32 v10, v12, v11, v10
.LBB59_1684:
	s_or_b64 exec, exec, s[6:7]
	s_movk_i32 s4, 0xff
	v_and_b32_sdwa v11, v2, s4 dst_sel:DWORD dst_unused:UNUSED_PAD src0_sel:WORD_1 src1_sel:DWORD
	s_movk_i32 s4, 0x7f
	v_cmp_lt_i16_e32 vcc, s4, v11
	s_mov_b64 s[4:5], 0
                                        ; implicit-def: $sgpr10
	s_and_saveexec_b64 s[6:7], vcc
	s_xor_b64 s[6:7], exec, s[6:7]
	s_cbranch_execnz .LBB59_3733
; %bb.1685:
	s_or_saveexec_b64 s[6:7], s[6:7]
	v_mov_b32_e32 v12, s10
	s_xor_b64 exec, exec, s[6:7]
	s_cbranch_execnz .LBB59_3736
.LBB59_1686:
	s_or_b64 exec, exec, s[6:7]
	s_and_saveexec_b64 s[6:7], s[4:5]
	s_cbranch_execz .LBB59_1688
.LBB59_1687:
	v_bfe_u32 v11, v2, 16, 3
	v_ffbh_u32_e32 v14, v11
	v_min_u32_e32 v14, 32, v14
	v_lshrrev_b32_e32 v12, 19, v2
	v_subrev_u32_e32 v15, 28, v14
	v_and_b32_e32 v12, 15, v12
	v_lshlrev_b32_sdwa v15, v15, v2 dst_sel:DWORD dst_unused:UNUSED_PAD src0_sel:DWORD src1_sel:WORD_1
	v_bfe_u32 v13, v2, 19, 4
	v_sub_u32_e32 v14, 29, v14
	v_and_b32_e32 v15, 7, v15
	v_cmp_eq_u16_e32 vcc, 0, v12
	v_cndmask_b32_e32 v11, v11, v15, vcc
	v_cndmask_b32_e32 v12, v13, v14, vcc
	v_lshlrev_b32_e32 v13, 8, v2
	v_mov_b32_e32 v14, 0x3b800000
	v_lshlrev_b32_e32 v11, 20, v11
	v_and_b32_e32 v13, 0x80000000, v13
	v_lshl_add_u32 v12, v12, 23, v14
	v_or3_b32 v12, v13, v12, v11
.LBB59_1688:
	s_or_b64 exec, exec, s[6:7]
	s_nop 0
	v_mfma_f32_16x16x4f32 a[0:3], v10, v12, a[0:3]
	s_movk_i32 s4, 0x7f
	v_cmp_gt_i16_sdwa s[6:7], v6, s4 src0_sel:BYTE_3 src1_sel:DWORD
	s_mov_b64 s[4:5], 0
                                        ; implicit-def: $sgpr10
	s_and_saveexec_b64 s[8:9], s[6:7]
	s_xor_b64 s[6:7], exec, s[8:9]
	s_cbranch_execnz .LBB59_3737
; %bb.1689:
	s_or_saveexec_b64 s[6:7], s[6:7]
	v_mov_b32_e32 v10, s10
	s_xor_b64 exec, exec, s[6:7]
	s_cbranch_execnz .LBB59_3740
.LBB59_1690:
	s_or_b64 exec, exec, s[6:7]
	s_and_saveexec_b64 s[6:7], s[4:5]
	s_cbranch_execz .LBB59_1692
.LBB59_1691:
	v_bfe_u32 v10, v6, 24, 3
	v_ffbh_u32_e32 v14, v10
	v_min_u32_e32 v14, 32, v14
	v_lshrrev_b32_e32 v12, 27, v6
	v_subrev_u32_e32 v15, 28, v14
	v_and_b32_e32 v11, 0x80000000, v6
	v_and_b32_e32 v12, 15, v12
	v_bfe_u32 v13, v6, 27, 4
	v_lshlrev_b32_sdwa v6, v15, v6 dst_sel:DWORD dst_unused:UNUSED_PAD src0_sel:DWORD src1_sel:BYTE_3
	v_sub_u32_e32 v14, 29, v14
	v_and_b32_e32 v6, 7, v6
	v_cmp_eq_u16_e32 vcc, 0, v12
	v_cndmask_b32_e32 v6, v10, v6, vcc
	v_cndmask_b32_e32 v10, v13, v14, vcc
	v_mov_b32_e32 v12, 0x3b800000
	v_lshlrev_b32_e32 v6, 20, v6
	v_lshl_add_u32 v10, v10, 23, v12
	v_or3_b32 v10, v11, v10, v6
.LBB59_1692:
	s_or_b64 exec, exec, s[6:7]
	s_movk_i32 s4, 0x7f
	v_cmp_gt_i16_sdwa s[6:7], v2, s4 src0_sel:BYTE_3 src1_sel:DWORD
	s_mov_b64 s[4:5], 0
                                        ; implicit-def: $sgpr10
	s_and_saveexec_b64 s[8:9], s[6:7]
	s_xor_b64 s[6:7], exec, s[8:9]
	s_cbranch_execnz .LBB59_3741
; %bb.1693:
	s_or_saveexec_b64 s[6:7], s[6:7]
	v_mov_b32_e32 v6, s10
	s_xor_b64 exec, exec, s[6:7]
	s_cbranch_execnz .LBB59_3744
.LBB59_1694:
	s_or_b64 exec, exec, s[6:7]
	s_and_saveexec_b64 s[6:7], s[4:5]
	s_cbranch_execz .LBB59_1696
.LBB59_1695:
	v_bfe_u32 v6, v2, 24, 3
	v_ffbh_u32_e32 v14, v6
	v_min_u32_e32 v14, 32, v14
	v_lshrrev_b32_e32 v12, 27, v2
	v_subrev_u32_e32 v15, 28, v14
	v_and_b32_e32 v11, 0x80000000, v2
	v_and_b32_e32 v12, 15, v12
	v_bfe_u32 v13, v2, 27, 4
	v_lshlrev_b32_sdwa v2, v15, v2 dst_sel:DWORD dst_unused:UNUSED_PAD src0_sel:DWORD src1_sel:BYTE_3
	v_sub_u32_e32 v14, 29, v14
	v_and_b32_e32 v2, 7, v2
	v_cmp_eq_u16_e32 vcc, 0, v12
	v_cndmask_b32_e32 v2, v6, v2, vcc
	v_cndmask_b32_e32 v6, v13, v14, vcc
	v_mov_b32_e32 v12, 0x3b800000
	v_lshlrev_b32_e32 v2, 20, v2
	v_lshl_add_u32 v6, v6, 23, v12
	v_or3_b32 v6, v11, v6, v2
.LBB59_1696:
	s_or_b64 exec, exec, s[6:7]
	s_nop 0
	v_mfma_f32_16x16x4f32 a[0:3], v10, v6, a[0:3]
	s_movk_i32 s4, 0x7f
	v_cmp_gt_i16_sdwa s[6:7], v7, s4 src0_sel:BYTE_0 src1_sel:DWORD
	s_mov_b64 s[4:5], 0
                                        ; implicit-def: $sgpr10
	s_and_saveexec_b64 s[8:9], s[6:7]
	s_xor_b64 s[6:7], exec, s[8:9]
	s_cbranch_execnz .LBB59_3745
; %bb.1697:
	s_or_saveexec_b64 s[6:7], s[6:7]
	v_mov_b32_e32 v2, s10
	s_xor_b64 exec, exec, s[6:7]
	s_cbranch_execnz .LBB59_3748
.LBB59_1698:
	s_or_b64 exec, exec, s[6:7]
	s_and_saveexec_b64 s[6:7], s[4:5]
	s_cbranch_execz .LBB59_1700
.LBB59_1699:
	v_and_b32_e32 v2, 7, v7
	v_ffbh_u32_e32 v10, v2
	v_min_u32_e32 v10, 32, v10
	v_lshrrev_b16_e32 v6, 3, v7
	v_subrev_u32_e32 v11, 28, v10
	v_and_b32_e32 v6, 15, v6
	v_lshlrev_b32_e32 v11, v11, v7
	v_sub_u32_e32 v10, 29, v10
	v_and_b32_e32 v11, 7, v11
	v_cmp_eq_u16_e32 vcc, 0, v6
	v_cndmask_b32_e32 v2, v2, v11, vcc
	v_cndmask_b32_e32 v6, v6, v10, vcc
	v_lshlrev_b32_e32 v10, 24, v7
	v_mov_b32_e32 v11, 0x3b800000
	v_lshlrev_b32_e32 v2, 20, v2
	v_and_b32_e32 v10, 0x80000000, v10
	v_lshl_add_u32 v6, v6, 23, v11
	v_or3_b32 v2, v10, v6, v2
.LBB59_1700:
	s_or_b64 exec, exec, s[6:7]
	s_movk_i32 s4, 0x7f
	v_cmp_gt_i16_sdwa s[6:7], v3, s4 src0_sel:BYTE_0 src1_sel:DWORD
	s_mov_b64 s[4:5], 0
                                        ; implicit-def: $sgpr10
	s_and_saveexec_b64 s[8:9], s[6:7]
	s_xor_b64 s[6:7], exec, s[8:9]
	s_cbranch_execnz .LBB59_3749
; %bb.1701:
	s_or_saveexec_b64 s[6:7], s[6:7]
	v_mov_b32_e32 v6, s10
	s_xor_b64 exec, exec, s[6:7]
	s_cbranch_execnz .LBB59_3752
.LBB59_1702:
	s_or_b64 exec, exec, s[6:7]
	s_and_saveexec_b64 s[6:7], s[4:5]
	s_cbranch_execz .LBB59_1704
.LBB59_1703:
	v_and_b32_e32 v6, 7, v3
	v_ffbh_u32_e32 v11, v6
	v_min_u32_e32 v11, 32, v11
	v_lshrrev_b16_e32 v10, 3, v3
	v_subrev_u32_e32 v12, 28, v11
	v_and_b32_e32 v10, 15, v10
	v_lshlrev_b32_e32 v12, v12, v3
	v_sub_u32_e32 v11, 29, v11
	v_and_b32_e32 v12, 7, v12
	v_cmp_eq_u16_e32 vcc, 0, v10
	v_cndmask_b32_e32 v6, v6, v12, vcc
	v_cndmask_b32_e32 v10, v10, v11, vcc
	v_lshlrev_b32_e32 v11, 24, v3
	v_mov_b32_e32 v12, 0x3b800000
	v_lshlrev_b32_e32 v6, 20, v6
	v_and_b32_e32 v11, 0x80000000, v11
	v_lshl_add_u32 v10, v10, 23, v12
	v_or3_b32 v6, v11, v10, v6
.LBB59_1704:
	s_or_b64 exec, exec, s[6:7]
	s_nop 0
	v_mfma_f32_16x16x4f32 a[0:3], v2, v6, a[0:3]
	v_lshrrev_b32_e32 v6, 8, v7
	s_movk_i32 s4, 0x7f
	v_cmp_gt_i16_sdwa s[6:7], v6, s4 src0_sel:BYTE_0 src1_sel:DWORD
	s_mov_b64 s[4:5], 0
                                        ; implicit-def: $sgpr10
	s_and_saveexec_b64 s[8:9], s[6:7]
	s_xor_b64 s[6:7], exec, s[8:9]
	s_cbranch_execnz .LBB59_3753
; %bb.1705:
	s_or_saveexec_b64 s[6:7], s[6:7]
	v_mov_b32_e32 v2, s10
	s_xor_b64 exec, exec, s[6:7]
	s_cbranch_execnz .LBB59_3756
.LBB59_1706:
	s_or_b64 exec, exec, s[6:7]
	s_and_saveexec_b64 s[6:7], s[4:5]
	s_cbranch_execz .LBB59_1708
.LBB59_1707:
	v_bfe_u32 v2, v7, 8, 3
	v_ffbh_u32_e32 v11, v2
	v_min_u32_e32 v11, 32, v11
	v_lshrrev_b16_e32 v10, 3, v6
	v_subrev_u32_e32 v12, 28, v11
	v_and_b32_e32 v10, 15, v10
	v_lshlrev_b32_e32 v6, v12, v6
	v_sub_u32_e32 v11, 29, v11
	v_and_b32_e32 v6, 7, v6
	v_cmp_eq_u16_e32 vcc, 0, v10
	v_cndmask_b32_e32 v2, v2, v6, vcc
	v_cndmask_b32_e32 v6, v10, v11, vcc
	v_lshlrev_b32_e32 v10, 16, v7
	v_mov_b32_e32 v11, 0x3b800000
	v_lshlrev_b32_e32 v2, 20, v2
	v_and_b32_e32 v10, 0x80000000, v10
	v_lshl_add_u32 v6, v6, 23, v11
	v_or3_b32 v2, v10, v6, v2
.LBB59_1708:
	s_or_b64 exec, exec, s[6:7]
	v_lshrrev_b32_e32 v6, 8, v3
	s_movk_i32 s4, 0x7f
	v_cmp_gt_i16_sdwa s[6:7], v6, s4 src0_sel:BYTE_0 src1_sel:DWORD
	s_mov_b64 s[4:5], 0
                                        ; implicit-def: $sgpr10
	s_and_saveexec_b64 s[8:9], s[6:7]
	s_xor_b64 s[6:7], exec, s[8:9]
	s_cbranch_execnz .LBB59_3757
; %bb.1709:
	s_or_saveexec_b64 s[6:7], s[6:7]
	v_mov_b32_e32 v10, s10
	s_xor_b64 exec, exec, s[6:7]
	s_cbranch_execnz .LBB59_3760
.LBB59_1710:
	s_or_b64 exec, exec, s[6:7]
	s_and_saveexec_b64 s[6:7], s[4:5]
	s_cbranch_execz .LBB59_1712
.LBB59_1711:
	v_bfe_u32 v10, v3, 8, 3
	v_ffbh_u32_e32 v12, v10
	v_min_u32_e32 v12, 32, v12
	v_lshrrev_b16_e32 v11, 3, v6
	v_subrev_u32_e32 v13, 28, v12
	v_and_b32_e32 v11, 15, v11
	v_lshlrev_b32_e32 v6, v13, v6
	v_sub_u32_e32 v12, 29, v12
	v_and_b32_e32 v6, 7, v6
	v_cmp_eq_u16_e32 vcc, 0, v11
	v_cndmask_b32_e32 v6, v10, v6, vcc
	v_cndmask_b32_e32 v10, v11, v12, vcc
	v_lshlrev_b32_e32 v11, 16, v3
	v_mov_b32_e32 v12, 0x3b800000
	v_lshlrev_b32_e32 v6, 20, v6
	v_and_b32_e32 v11, 0x80000000, v11
	v_lshl_add_u32 v10, v10, 23, v12
	v_or3_b32 v10, v11, v10, v6
.LBB59_1712:
	s_or_b64 exec, exec, s[6:7]
	s_nop 0
	v_mfma_f32_16x16x4f32 a[0:3], v2, v10, a[0:3]
	s_movk_i32 s4, 0xff
	v_and_b32_sdwa v6, v7, s4 dst_sel:DWORD dst_unused:UNUSED_PAD src0_sel:WORD_1 src1_sel:DWORD
	s_movk_i32 s4, 0x7f
	v_cmp_lt_i16_e32 vcc, s4, v6
	s_mov_b64 s[4:5], 0
                                        ; implicit-def: $sgpr10
	s_and_saveexec_b64 s[6:7], vcc
	s_xor_b64 s[6:7], exec, s[6:7]
	s_cbranch_execnz .LBB59_3761
; %bb.1713:
	s_or_saveexec_b64 s[6:7], s[6:7]
	v_mov_b32_e32 v2, s10
	s_xor_b64 exec, exec, s[6:7]
	s_cbranch_execnz .LBB59_3764
.LBB59_1714:
	s_or_b64 exec, exec, s[6:7]
	s_and_saveexec_b64 s[6:7], s[4:5]
	s_cbranch_execz .LBB59_1716
.LBB59_1715:
	v_bfe_u32 v2, v7, 16, 3
	v_ffbh_u32_e32 v11, v2
	v_min_u32_e32 v11, 32, v11
	v_lshrrev_b32_e32 v6, 19, v7
	v_subrev_u32_e32 v12, 28, v11
	v_and_b32_e32 v6, 15, v6
	v_lshlrev_b32_sdwa v12, v12, v7 dst_sel:DWORD dst_unused:UNUSED_PAD src0_sel:DWORD src1_sel:WORD_1
	v_bfe_u32 v10, v7, 19, 4
	v_sub_u32_e32 v11, 29, v11
	v_and_b32_e32 v12, 7, v12
	v_cmp_eq_u16_e32 vcc, 0, v6
	v_cndmask_b32_e32 v2, v2, v12, vcc
	v_cndmask_b32_e32 v6, v10, v11, vcc
	v_lshlrev_b32_e32 v10, 8, v7
	v_mov_b32_e32 v11, 0x3b800000
	v_lshlrev_b32_e32 v2, 20, v2
	v_and_b32_e32 v10, 0x80000000, v10
	v_lshl_add_u32 v6, v6, 23, v11
	v_or3_b32 v2, v10, v6, v2
.LBB59_1716:
	s_or_b64 exec, exec, s[6:7]
	s_movk_i32 s4, 0xff
	v_and_b32_sdwa v6, v3, s4 dst_sel:DWORD dst_unused:UNUSED_PAD src0_sel:WORD_1 src1_sel:DWORD
	s_movk_i32 s4, 0x7f
	v_cmp_lt_i16_e32 vcc, s4, v6
	s_mov_b64 s[4:5], 0
                                        ; implicit-def: $sgpr10
	s_and_saveexec_b64 s[6:7], vcc
	s_xor_b64 s[6:7], exec, s[6:7]
	s_cbranch_execnz .LBB59_3765
; %bb.1717:
	s_or_saveexec_b64 s[6:7], s[6:7]
	v_mov_b32_e32 v10, s10
	s_xor_b64 exec, exec, s[6:7]
	s_cbranch_execnz .LBB59_3768
.LBB59_1718:
	s_or_b64 exec, exec, s[6:7]
	s_and_saveexec_b64 s[6:7], s[4:5]
	s_cbranch_execz .LBB59_1720
.LBB59_1719:
	v_bfe_u32 v6, v3, 16, 3
	v_ffbh_u32_e32 v12, v6
	v_min_u32_e32 v12, 32, v12
	v_lshrrev_b32_e32 v10, 19, v3
	v_subrev_u32_e32 v13, 28, v12
	v_and_b32_e32 v10, 15, v10
	v_lshlrev_b32_sdwa v13, v13, v3 dst_sel:DWORD dst_unused:UNUSED_PAD src0_sel:DWORD src1_sel:WORD_1
	v_bfe_u32 v11, v3, 19, 4
	v_sub_u32_e32 v12, 29, v12
	v_and_b32_e32 v13, 7, v13
	v_cmp_eq_u16_e32 vcc, 0, v10
	v_cndmask_b32_e32 v6, v6, v13, vcc
	v_cndmask_b32_e32 v10, v11, v12, vcc
	v_lshlrev_b32_e32 v11, 8, v3
	v_mov_b32_e32 v12, 0x3b800000
	v_lshlrev_b32_e32 v6, 20, v6
	v_and_b32_e32 v11, 0x80000000, v11
	v_lshl_add_u32 v10, v10, 23, v12
	v_or3_b32 v10, v11, v10, v6
.LBB59_1720:
	s_or_b64 exec, exec, s[6:7]
	s_nop 0
	v_mfma_f32_16x16x4f32 a[0:3], v2, v10, a[0:3]
	s_movk_i32 s4, 0x7f
	v_cmp_gt_i16_sdwa s[6:7], v7, s4 src0_sel:BYTE_3 src1_sel:DWORD
	s_mov_b64 s[4:5], 0
                                        ; implicit-def: $sgpr10
	s_and_saveexec_b64 s[8:9], s[6:7]
	s_xor_b64 s[6:7], exec, s[8:9]
	s_cbranch_execnz .LBB59_3769
; %bb.1721:
	s_or_saveexec_b64 s[6:7], s[6:7]
	v_mov_b32_e32 v2, s10
	s_xor_b64 exec, exec, s[6:7]
	s_cbranch_execnz .LBB59_3772
.LBB59_1722:
	s_or_b64 exec, exec, s[6:7]
	s_and_saveexec_b64 s[6:7], s[4:5]
	s_cbranch_execz .LBB59_1724
.LBB59_1723:
	v_bfe_u32 v2, v7, 24, 3
	v_ffbh_u32_e32 v12, v2
	v_min_u32_e32 v12, 32, v12
	v_lshrrev_b32_e32 v10, 27, v7
	v_subrev_u32_e32 v13, 28, v12
	v_and_b32_e32 v6, 0x80000000, v7
	v_and_b32_e32 v10, 15, v10
	v_bfe_u32 v11, v7, 27, 4
	v_lshlrev_b32_sdwa v7, v13, v7 dst_sel:DWORD dst_unused:UNUSED_PAD src0_sel:DWORD src1_sel:BYTE_3
	v_sub_u32_e32 v12, 29, v12
	v_and_b32_e32 v7, 7, v7
	v_cmp_eq_u16_e32 vcc, 0, v10
	v_cndmask_b32_e32 v2, v2, v7, vcc
	v_cndmask_b32_e32 v7, v11, v12, vcc
	v_mov_b32_e32 v10, 0x3b800000
	v_lshlrev_b32_e32 v2, 20, v2
	v_lshl_add_u32 v7, v7, 23, v10
	v_or3_b32 v2, v6, v7, v2
.LBB59_1724:
	s_or_b64 exec, exec, s[6:7]
	s_movk_i32 s4, 0x7f
	v_cmp_gt_i16_sdwa s[6:7], v3, s4 src0_sel:BYTE_3 src1_sel:DWORD
	s_mov_b64 s[4:5], 0
                                        ; implicit-def: $sgpr10
	s_and_saveexec_b64 s[8:9], s[6:7]
	s_xor_b64 s[6:7], exec, s[8:9]
	s_cbranch_execnz .LBB59_3773
; %bb.1725:
	s_or_saveexec_b64 s[6:7], s[6:7]
	v_mov_b32_e32 v6, s10
	s_xor_b64 exec, exec, s[6:7]
	s_cbranch_execnz .LBB59_3776
.LBB59_1726:
	s_or_b64 exec, exec, s[6:7]
	s_and_saveexec_b64 s[6:7], s[4:5]
	s_cbranch_execz .LBB59_1728
.LBB59_1727:
	v_bfe_u32 v6, v3, 24, 3
	v_ffbh_u32_e32 v12, v6
	v_min_u32_e32 v12, 32, v12
	v_lshrrev_b32_e32 v10, 27, v3
	v_subrev_u32_e32 v13, 28, v12
	v_and_b32_e32 v7, 0x80000000, v3
	v_and_b32_e32 v10, 15, v10
	v_bfe_u32 v11, v3, 27, 4
	v_lshlrev_b32_sdwa v3, v13, v3 dst_sel:DWORD dst_unused:UNUSED_PAD src0_sel:DWORD src1_sel:BYTE_3
	v_sub_u32_e32 v12, 29, v12
	v_and_b32_e32 v3, 7, v3
	v_cmp_eq_u16_e32 vcc, 0, v10
	v_cndmask_b32_e32 v3, v6, v3, vcc
	v_cndmask_b32_e32 v6, v11, v12, vcc
	v_mov_b32_e32 v10, 0x3b800000
	v_lshlrev_b32_e32 v3, 20, v3
	v_lshl_add_u32 v6, v6, 23, v10
	v_or3_b32 v6, v7, v6, v3
.LBB59_1728:
	s_or_b64 exec, exec, s[6:7]
	s_nop 0
	v_mfma_f32_16x16x4f32 a[0:3], v2, v6, a[0:3]
	s_movk_i32 s4, 0x7f
	v_cmp_gt_i16_sdwa s[6:7], v8, s4 src0_sel:BYTE_0 src1_sel:DWORD
	s_mov_b64 s[4:5], 0
                                        ; implicit-def: $sgpr10
	s_and_saveexec_b64 s[8:9], s[6:7]
	s_xor_b64 s[6:7], exec, s[8:9]
	s_cbranch_execnz .LBB59_3777
; %bb.1729:
	s_or_saveexec_b64 s[6:7], s[6:7]
	v_mov_b32_e32 v2, s10
	s_xor_b64 exec, exec, s[6:7]
	s_cbranch_execnz .LBB59_3780
.LBB59_1730:
	s_or_b64 exec, exec, s[6:7]
	s_and_saveexec_b64 s[6:7], s[4:5]
	s_cbranch_execz .LBB59_1732
.LBB59_1731:
	v_and_b32_e32 v2, 7, v8
	v_ffbh_u32_e32 v6, v2
	v_min_u32_e32 v6, 32, v6
	v_lshrrev_b16_e32 v3, 3, v8
	v_subrev_u32_e32 v7, 28, v6
	v_and_b32_e32 v3, 15, v3
	v_lshlrev_b32_e32 v7, v7, v8
	v_sub_u32_e32 v6, 29, v6
	v_and_b32_e32 v7, 7, v7
	v_cmp_eq_u16_e32 vcc, 0, v3
	v_cndmask_b32_e32 v2, v2, v7, vcc
	v_cndmask_b32_e32 v3, v3, v6, vcc
	v_lshlrev_b32_e32 v6, 24, v8
	v_mov_b32_e32 v7, 0x3b800000
	v_lshlrev_b32_e32 v2, 20, v2
	v_and_b32_e32 v6, 0x80000000, v6
	v_lshl_add_u32 v3, v3, 23, v7
	v_or3_b32 v2, v6, v3, v2
.LBB59_1732:
	s_or_b64 exec, exec, s[6:7]
	s_movk_i32 s4, 0x7f
	v_cmp_gt_i16_sdwa s[6:7], v4, s4 src0_sel:BYTE_0 src1_sel:DWORD
	s_mov_b64 s[4:5], 0
                                        ; implicit-def: $sgpr10
	s_and_saveexec_b64 s[8:9], s[6:7]
	s_xor_b64 s[6:7], exec, s[8:9]
	s_cbranch_execnz .LBB59_3781
; %bb.1733:
	s_or_saveexec_b64 s[6:7], s[6:7]
	v_mov_b32_e32 v3, s10
	s_xor_b64 exec, exec, s[6:7]
	s_cbranch_execnz .LBB59_3784
.LBB59_1734:
	s_or_b64 exec, exec, s[6:7]
	s_and_saveexec_b64 s[6:7], s[4:5]
	s_cbranch_execz .LBB59_1736
.LBB59_1735:
	v_and_b32_e32 v3, 7, v4
	v_ffbh_u32_e32 v7, v3
	v_min_u32_e32 v7, 32, v7
	v_lshrrev_b16_e32 v6, 3, v4
	v_subrev_u32_e32 v10, 28, v7
	v_and_b32_e32 v6, 15, v6
	v_lshlrev_b32_e32 v10, v10, v4
	v_sub_u32_e32 v7, 29, v7
	v_and_b32_e32 v10, 7, v10
	v_cmp_eq_u16_e32 vcc, 0, v6
	v_cndmask_b32_e32 v3, v3, v10, vcc
	v_cndmask_b32_e32 v6, v6, v7, vcc
	v_lshlrev_b32_e32 v7, 24, v4
	v_mov_b32_e32 v10, 0x3b800000
	v_lshlrev_b32_e32 v3, 20, v3
	v_and_b32_e32 v7, 0x80000000, v7
	v_lshl_add_u32 v6, v6, 23, v10
	v_or3_b32 v3, v7, v6, v3
.LBB59_1736:
	s_or_b64 exec, exec, s[6:7]
	s_nop 0
	v_mfma_f32_16x16x4f32 a[0:3], v2, v3, a[0:3]
	v_lshrrev_b32_e32 v3, 8, v8
	s_movk_i32 s4, 0x7f
	v_cmp_gt_i16_sdwa s[6:7], v3, s4 src0_sel:BYTE_0 src1_sel:DWORD
	s_mov_b64 s[4:5], 0
                                        ; implicit-def: $sgpr10
	s_and_saveexec_b64 s[8:9], s[6:7]
	s_xor_b64 s[6:7], exec, s[8:9]
	s_cbranch_execnz .LBB59_3785
; %bb.1737:
	s_or_saveexec_b64 s[6:7], s[6:7]
	v_mov_b32_e32 v2, s10
	s_xor_b64 exec, exec, s[6:7]
	s_cbranch_execnz .LBB59_3788
.LBB59_1738:
	s_or_b64 exec, exec, s[6:7]
	s_and_saveexec_b64 s[6:7], s[4:5]
	s_cbranch_execz .LBB59_1740
.LBB59_1739:
	v_bfe_u32 v2, v8, 8, 3
	v_ffbh_u32_e32 v7, v2
	v_min_u32_e32 v7, 32, v7
	v_lshrrev_b16_e32 v6, 3, v3
	v_subrev_u32_e32 v10, 28, v7
	v_and_b32_e32 v6, 15, v6
	v_lshlrev_b32_e32 v3, v10, v3
	v_sub_u32_e32 v7, 29, v7
	v_and_b32_e32 v3, 7, v3
	v_cmp_eq_u16_e32 vcc, 0, v6
	v_cndmask_b32_e32 v2, v2, v3, vcc
	v_cndmask_b32_e32 v3, v6, v7, vcc
	v_lshlrev_b32_e32 v6, 16, v8
	v_mov_b32_e32 v7, 0x3b800000
	v_lshlrev_b32_e32 v2, 20, v2
	v_and_b32_e32 v6, 0x80000000, v6
	v_lshl_add_u32 v3, v3, 23, v7
	v_or3_b32 v2, v6, v3, v2
.LBB59_1740:
	s_or_b64 exec, exec, s[6:7]
	v_lshrrev_b32_e32 v3, 8, v4
	s_movk_i32 s4, 0x7f
	v_cmp_gt_i16_sdwa s[6:7], v3, s4 src0_sel:BYTE_0 src1_sel:DWORD
	s_mov_b64 s[4:5], 0
                                        ; implicit-def: $sgpr10
	s_and_saveexec_b64 s[8:9], s[6:7]
	s_xor_b64 s[6:7], exec, s[8:9]
	s_cbranch_execnz .LBB59_3789
; %bb.1741:
	s_or_saveexec_b64 s[6:7], s[6:7]
	v_mov_b32_e32 v6, s10
	s_xor_b64 exec, exec, s[6:7]
	s_cbranch_execnz .LBB59_3792
.LBB59_1742:
	s_or_b64 exec, exec, s[6:7]
	s_and_saveexec_b64 s[6:7], s[4:5]
	s_cbranch_execz .LBB59_1744
.LBB59_1743:
	v_bfe_u32 v6, v4, 8, 3
	v_ffbh_u32_e32 v10, v6
	v_min_u32_e32 v10, 32, v10
	v_lshrrev_b16_e32 v7, 3, v3
	v_subrev_u32_e32 v11, 28, v10
	v_and_b32_e32 v7, 15, v7
	v_lshlrev_b32_e32 v3, v11, v3
	v_sub_u32_e32 v10, 29, v10
	v_and_b32_e32 v3, 7, v3
	v_cmp_eq_u16_e32 vcc, 0, v7
	v_cndmask_b32_e32 v3, v6, v3, vcc
	v_cndmask_b32_e32 v6, v7, v10, vcc
	v_lshlrev_b32_e32 v7, 16, v4
	v_mov_b32_e32 v10, 0x3b800000
	v_lshlrev_b32_e32 v3, 20, v3
	v_and_b32_e32 v7, 0x80000000, v7
	v_lshl_add_u32 v6, v6, 23, v10
	v_or3_b32 v6, v7, v6, v3
.LBB59_1744:
	s_or_b64 exec, exec, s[6:7]
	s_nop 0
	v_mfma_f32_16x16x4f32 a[0:3], v2, v6, a[0:3]
	s_movk_i32 s4, 0xff
	v_and_b32_sdwa v3, v8, s4 dst_sel:DWORD dst_unused:UNUSED_PAD src0_sel:WORD_1 src1_sel:DWORD
	s_movk_i32 s4, 0x7f
	v_cmp_lt_i16_e32 vcc, s4, v3
	s_mov_b64 s[4:5], 0
                                        ; implicit-def: $sgpr10
	s_and_saveexec_b64 s[6:7], vcc
	s_xor_b64 s[6:7], exec, s[6:7]
	s_cbranch_execnz .LBB59_3793
; %bb.1745:
	s_or_saveexec_b64 s[6:7], s[6:7]
	v_mov_b32_e32 v2, s10
	s_xor_b64 exec, exec, s[6:7]
	s_cbranch_execnz .LBB59_3796
.LBB59_1746:
	s_or_b64 exec, exec, s[6:7]
	s_and_saveexec_b64 s[6:7], s[4:5]
	s_cbranch_execz .LBB59_1748
.LBB59_1747:
	v_bfe_u32 v2, v8, 16, 3
	v_ffbh_u32_e32 v7, v2
	v_min_u32_e32 v7, 32, v7
	v_lshrrev_b32_e32 v3, 19, v8
	v_subrev_u32_e32 v10, 28, v7
	v_and_b32_e32 v3, 15, v3
	v_lshlrev_b32_sdwa v10, v10, v8 dst_sel:DWORD dst_unused:UNUSED_PAD src0_sel:DWORD src1_sel:WORD_1
	v_bfe_u32 v6, v8, 19, 4
	v_sub_u32_e32 v7, 29, v7
	v_and_b32_e32 v10, 7, v10
	v_cmp_eq_u16_e32 vcc, 0, v3
	v_cndmask_b32_e32 v2, v2, v10, vcc
	v_cndmask_b32_e32 v3, v6, v7, vcc
	v_lshlrev_b32_e32 v6, 8, v8
	v_mov_b32_e32 v7, 0x3b800000
	v_lshlrev_b32_e32 v2, 20, v2
	v_and_b32_e32 v6, 0x80000000, v6
	v_lshl_add_u32 v3, v3, 23, v7
	v_or3_b32 v2, v6, v3, v2
.LBB59_1748:
	s_or_b64 exec, exec, s[6:7]
	s_movk_i32 s4, 0xff
	v_and_b32_sdwa v3, v4, s4 dst_sel:DWORD dst_unused:UNUSED_PAD src0_sel:WORD_1 src1_sel:DWORD
	s_movk_i32 s4, 0x7f
	v_cmp_lt_i16_e32 vcc, s4, v3
	s_mov_b64 s[4:5], 0
                                        ; implicit-def: $sgpr10
	s_and_saveexec_b64 s[6:7], vcc
	s_xor_b64 s[6:7], exec, s[6:7]
	s_cbranch_execnz .LBB59_3797
; %bb.1749:
	s_or_saveexec_b64 s[6:7], s[6:7]
	v_mov_b32_e32 v6, s10
	s_xor_b64 exec, exec, s[6:7]
	s_cbranch_execnz .LBB59_3800
.LBB59_1750:
	s_or_b64 exec, exec, s[6:7]
	s_and_saveexec_b64 s[6:7], s[4:5]
	s_cbranch_execz .LBB59_1752
.LBB59_1751:
	v_bfe_u32 v3, v4, 16, 3
	v_ffbh_u32_e32 v10, v3
	v_min_u32_e32 v10, 32, v10
	v_lshrrev_b32_e32 v6, 19, v4
	v_subrev_u32_e32 v11, 28, v10
	v_and_b32_e32 v6, 15, v6
	v_lshlrev_b32_sdwa v11, v11, v4 dst_sel:DWORD dst_unused:UNUSED_PAD src0_sel:DWORD src1_sel:WORD_1
	v_bfe_u32 v7, v4, 19, 4
	v_sub_u32_e32 v10, 29, v10
	v_and_b32_e32 v11, 7, v11
	v_cmp_eq_u16_e32 vcc, 0, v6
	v_cndmask_b32_e32 v3, v3, v11, vcc
	v_cndmask_b32_e32 v6, v7, v10, vcc
	v_lshlrev_b32_e32 v7, 8, v4
	v_mov_b32_e32 v10, 0x3b800000
	v_lshlrev_b32_e32 v3, 20, v3
	v_and_b32_e32 v7, 0x80000000, v7
	v_lshl_add_u32 v6, v6, 23, v10
	v_or3_b32 v6, v7, v6, v3
.LBB59_1752:
	s_or_b64 exec, exec, s[6:7]
	s_nop 0
	v_mfma_f32_16x16x4f32 a[0:3], v2, v6, a[0:3]
	s_movk_i32 s4, 0x7f
	v_cmp_gt_i16_sdwa s[6:7], v8, s4 src0_sel:BYTE_3 src1_sel:DWORD
	s_mov_b64 s[4:5], 0
                                        ; implicit-def: $sgpr10
	s_and_saveexec_b64 s[8:9], s[6:7]
	s_xor_b64 s[6:7], exec, s[8:9]
	s_cbranch_execnz .LBB59_3801
; %bb.1753:
	s_or_saveexec_b64 s[6:7], s[6:7]
	v_mov_b32_e32 v2, s10
	s_xor_b64 exec, exec, s[6:7]
	s_cbranch_execnz .LBB59_3804
.LBB59_1754:
	s_or_b64 exec, exec, s[6:7]
	s_and_saveexec_b64 s[6:7], s[4:5]
	s_cbranch_execz .LBB59_1756
.LBB59_1755:
	v_bfe_u32 v2, v8, 24, 3
	v_ffbh_u32_e32 v10, v2
	v_min_u32_e32 v10, 32, v10
	v_lshrrev_b32_e32 v6, 27, v8
	v_subrev_u32_e32 v11, 28, v10
	v_and_b32_e32 v3, 0x80000000, v8
	v_and_b32_e32 v6, 15, v6
	v_bfe_u32 v7, v8, 27, 4
	v_lshlrev_b32_sdwa v8, v11, v8 dst_sel:DWORD dst_unused:UNUSED_PAD src0_sel:DWORD src1_sel:BYTE_3
	v_sub_u32_e32 v10, 29, v10
	v_and_b32_e32 v8, 7, v8
	v_cmp_eq_u16_e32 vcc, 0, v6
	v_cndmask_b32_e32 v2, v2, v8, vcc
	v_cndmask_b32_e32 v6, v7, v10, vcc
	v_mov_b32_e32 v7, 0x3b800000
	v_lshlrev_b32_e32 v2, 20, v2
	v_lshl_add_u32 v6, v6, 23, v7
	v_or3_b32 v2, v3, v6, v2
.LBB59_1756:
	s_or_b64 exec, exec, s[6:7]
	s_movk_i32 s4, 0x7f
	v_cmp_gt_i16_sdwa s[6:7], v4, s4 src0_sel:BYTE_3 src1_sel:DWORD
	s_mov_b64 s[4:5], 0
                                        ; implicit-def: $sgpr10
	s_and_saveexec_b64 s[8:9], s[6:7]
	s_xor_b64 s[6:7], exec, s[8:9]
	s_cbranch_execnz .LBB59_3805
; %bb.1757:
	s_or_saveexec_b64 s[6:7], s[6:7]
	v_mov_b32_e32 v3, s10
	s_xor_b64 exec, exec, s[6:7]
	s_cbranch_execnz .LBB59_3808
.LBB59_1758:
	s_or_b64 exec, exec, s[6:7]
	s_and_saveexec_b64 s[6:7], s[4:5]
	s_cbranch_execz .LBB59_1760
.LBB59_1759:
	v_bfe_u32 v3, v4, 24, 3
	v_ffbh_u32_e32 v10, v3
	v_min_u32_e32 v10, 32, v10
	v_lshrrev_b32_e32 v7, 27, v4
	v_subrev_u32_e32 v11, 28, v10
	v_and_b32_e32 v6, 0x80000000, v4
	v_and_b32_e32 v7, 15, v7
	v_bfe_u32 v8, v4, 27, 4
	v_lshlrev_b32_sdwa v4, v11, v4 dst_sel:DWORD dst_unused:UNUSED_PAD src0_sel:DWORD src1_sel:BYTE_3
	v_sub_u32_e32 v10, 29, v10
	v_and_b32_e32 v4, 7, v4
	v_cmp_eq_u16_e32 vcc, 0, v7
	v_cndmask_b32_e32 v3, v3, v4, vcc
	v_cndmask_b32_e32 v4, v8, v10, vcc
	v_mov_b32_e32 v7, 0x3b800000
	v_lshlrev_b32_e32 v3, 20, v3
	v_lshl_add_u32 v4, v4, 23, v7
	v_or3_b32 v3, v6, v4, v3
.LBB59_1760:
	s_or_b64 exec, exec, s[6:7]
	s_nop 0
	v_mfma_f32_16x16x4f32 a[0:3], v2, v3, a[0:3]
	s_movk_i32 s4, 0x7f
	v_cmp_gt_i16_sdwa s[6:7], v9, s4 src0_sel:BYTE_0 src1_sel:DWORD
	s_mov_b64 s[4:5], 0
                                        ; implicit-def: $sgpr10
	s_and_saveexec_b64 s[8:9], s[6:7]
	s_xor_b64 s[6:7], exec, s[8:9]
	s_cbranch_execnz .LBB59_3809
; %bb.1761:
	s_or_saveexec_b64 s[6:7], s[6:7]
	v_mov_b32_e32 v2, s10
	s_xor_b64 exec, exec, s[6:7]
	s_cbranch_execnz .LBB59_3812
.LBB59_1762:
	s_or_b64 exec, exec, s[6:7]
	s_and_saveexec_b64 s[6:7], s[4:5]
	s_cbranch_execz .LBB59_1764
.LBB59_1763:
	v_mov_b32_e32 v2, 8
	v_and_b32_e32 v3, 7, v9
	v_lshrrev_b32_sdwa v2, v2, v9 dst_sel:BYTE_1 dst_unused:UNUSED_PAD src0_sel:DWORD src1_sel:DWORD
	v_ffbh_u32_e32 v4, v3
	v_or_b32_sdwa v2, v9, v2 dst_sel:DWORD dst_unused:UNUSED_PAD src0_sel:BYTE_0 src1_sel:DWORD
	v_min_u32_e32 v4, 32, v4
	v_lshrrev_b16_e32 v2, 3, v2
	v_subrev_u32_e32 v6, 28, v4
	v_and_b32_e32 v2, 15, v2
	v_lshlrev_b32_e32 v6, v6, v9
	v_sub_u32_e32 v4, 29, v4
	v_and_b32_e32 v6, 7, v6
	v_cmp_eq_u16_e32 vcc, 0, v2
	v_cndmask_b32_e32 v3, v3, v6, vcc
	v_cndmask_b32_e32 v2, v2, v4, vcc
	v_lshlrev_b32_e32 v4, 24, v9
	v_mov_b32_e32 v6, 0x3b800000
	v_lshlrev_b32_e32 v3, 20, v3
	v_and_b32_e32 v4, 0x80000000, v4
	v_lshl_add_u32 v2, v2, 23, v6
	v_or3_b32 v2, v4, v2, v3
.LBB59_1764:
	s_or_b64 exec, exec, s[6:7]
	s_movk_i32 s4, 0x7f
	v_cmp_gt_i16_sdwa s[6:7], v5, s4 src0_sel:BYTE_0 src1_sel:DWORD
	s_mov_b64 s[4:5], 0
                                        ; implicit-def: $sgpr10
	s_and_saveexec_b64 s[8:9], s[6:7]
	s_xor_b64 s[6:7], exec, s[8:9]
	s_cbranch_execnz .LBB59_3813
; %bb.1765:
	s_or_saveexec_b64 s[6:7], s[6:7]
	v_mov_b32_e32 v3, s10
	s_xor_b64 exec, exec, s[6:7]
	s_cbranch_execnz .LBB59_3816
.LBB59_1766:
	s_or_b64 exec, exec, s[6:7]
	s_and_saveexec_b64 s[6:7], s[4:5]
	s_cbranch_execz .LBB59_1768
.LBB59_1767:
	v_mov_b32_e32 v3, 8
	v_and_b32_e32 v4, 7, v5
	v_lshrrev_b32_sdwa v3, v3, v5 dst_sel:BYTE_1 dst_unused:UNUSED_PAD src0_sel:DWORD src1_sel:DWORD
	v_ffbh_u32_e32 v6, v4
	v_or_b32_sdwa v3, v5, v3 dst_sel:DWORD dst_unused:UNUSED_PAD src0_sel:BYTE_0 src1_sel:DWORD
	v_min_u32_e32 v6, 32, v6
	v_lshrrev_b16_e32 v3, 3, v3
	v_subrev_u32_e32 v7, 28, v6
	v_and_b32_e32 v3, 15, v3
	v_lshlrev_b32_e32 v7, v7, v5
	v_sub_u32_e32 v6, 29, v6
	v_and_b32_e32 v7, 7, v7
	v_cmp_eq_u16_e32 vcc, 0, v3
	v_cndmask_b32_e32 v4, v4, v7, vcc
	v_cndmask_b32_e32 v3, v3, v6, vcc
	v_lshlrev_b32_e32 v6, 24, v5
	v_mov_b32_e32 v7, 0x3b800000
	v_lshlrev_b32_e32 v4, 20, v4
	v_and_b32_e32 v6, 0x80000000, v6
	v_lshl_add_u32 v3, v3, 23, v7
	v_or3_b32 v3, v6, v3, v4
.LBB59_1768:
	s_or_b64 exec, exec, s[6:7]
	s_nop 0
	v_mfma_f32_16x16x4f32 a[0:3], v2, v3, a[0:3]
	v_lshrrev_b32_e32 v3, 8, v9
	s_movk_i32 s4, 0x7f
	v_cmp_gt_i16_sdwa s[6:7], v3, s4 src0_sel:BYTE_0 src1_sel:DWORD
	s_mov_b64 s[4:5], 0
                                        ; implicit-def: $sgpr10
	s_and_saveexec_b64 s[8:9], s[6:7]
	s_xor_b64 s[6:7], exec, s[8:9]
	s_cbranch_execnz .LBB59_3817
; %bb.1769:
	s_or_saveexec_b64 s[6:7], s[6:7]
	v_mov_b32_e32 v2, s10
	s_xor_b64 exec, exec, s[6:7]
	s_cbranch_execnz .LBB59_3820
.LBB59_1770:
	s_or_b64 exec, exec, s[6:7]
	s_and_saveexec_b64 s[6:7], s[4:5]
	s_cbranch_execz .LBB59_1772
.LBB59_1771:
	v_bfe_u32 v2, v9, 8, 3
	v_ffbh_u32_e32 v6, v2
	v_min_u32_e32 v6, 32, v6
	v_lshrrev_b16_e32 v4, 3, v3
	v_subrev_u32_e32 v7, 28, v6
	v_and_b32_e32 v4, 15, v4
	v_lshlrev_b32_e32 v3, v7, v3
	v_sub_u32_e32 v6, 29, v6
	v_and_b32_e32 v3, 7, v3
	v_cmp_eq_u16_e32 vcc, 0, v4
	v_cndmask_b32_e32 v2, v2, v3, vcc
	v_cndmask_b32_e32 v3, v4, v6, vcc
	v_lshlrev_b32_e32 v4, 16, v9
	v_mov_b32_e32 v6, 0x3b800000
	v_lshlrev_b32_e32 v2, 20, v2
	v_and_b32_e32 v4, 0x80000000, v4
	v_lshl_add_u32 v3, v3, 23, v6
	v_or3_b32 v2, v4, v3, v2
.LBB59_1772:
	s_or_b64 exec, exec, s[6:7]
	v_lshrrev_b32_e32 v3, 8, v5
	s_movk_i32 s4, 0x7f
	v_cmp_gt_i16_sdwa s[6:7], v3, s4 src0_sel:BYTE_0 src1_sel:DWORD
	s_mov_b64 s[4:5], 0
                                        ; implicit-def: $sgpr10
	s_and_saveexec_b64 s[8:9], s[6:7]
	s_xor_b64 s[6:7], exec, s[8:9]
	s_cbranch_execnz .LBB59_3821
; %bb.1773:
	s_or_saveexec_b64 s[6:7], s[6:7]
	v_mov_b32_e32 v4, s10
	s_xor_b64 exec, exec, s[6:7]
	s_cbranch_execnz .LBB59_3824
.LBB59_1774:
	s_or_b64 exec, exec, s[6:7]
	s_and_saveexec_b64 s[6:7], s[4:5]
	s_cbranch_execz .LBB59_1776
.LBB59_1775:
	v_bfe_u32 v4, v5, 8, 3
	v_ffbh_u32_e32 v7, v4
	v_min_u32_e32 v7, 32, v7
	v_lshrrev_b16_e32 v6, 3, v3
	v_subrev_u32_e32 v8, 28, v7
	v_and_b32_e32 v6, 15, v6
	v_lshlrev_b32_e32 v3, v8, v3
	v_sub_u32_e32 v7, 29, v7
	v_and_b32_e32 v3, 7, v3
	v_cmp_eq_u16_e32 vcc, 0, v6
	v_cndmask_b32_e32 v3, v4, v3, vcc
	v_cndmask_b32_e32 v4, v6, v7, vcc
	v_lshlrev_b32_e32 v6, 16, v5
	v_mov_b32_e32 v7, 0x3b800000
	v_lshlrev_b32_e32 v3, 20, v3
	v_and_b32_e32 v6, 0x80000000, v6
	v_lshl_add_u32 v4, v4, 23, v7
	v_or3_b32 v4, v6, v4, v3
.LBB59_1776:
	s_or_b64 exec, exec, s[6:7]
	s_nop 0
	v_mfma_f32_16x16x4f32 a[0:3], v2, v4, a[0:3]
	s_movk_i32 s4, 0xff
	v_and_b32_sdwa v3, v9, s4 dst_sel:DWORD dst_unused:UNUSED_PAD src0_sel:WORD_1 src1_sel:DWORD
	s_movk_i32 s4, 0x7f
	v_cmp_lt_i16_e32 vcc, s4, v3
	s_mov_b64 s[4:5], 0
                                        ; implicit-def: $sgpr10
	s_and_saveexec_b64 s[6:7], vcc
	s_xor_b64 s[6:7], exec, s[6:7]
	s_cbranch_execnz .LBB59_3825
; %bb.1777:
	s_or_saveexec_b64 s[6:7], s[6:7]
	v_mov_b32_e32 v2, s10
	s_xor_b64 exec, exec, s[6:7]
	s_cbranch_execnz .LBB59_3828
.LBB59_1778:
	s_or_b64 exec, exec, s[6:7]
	s_and_saveexec_b64 s[6:7], s[4:5]
	s_cbranch_execz .LBB59_1780
.LBB59_1779:
	v_bfe_u32 v2, v9, 16, 3
	v_ffbh_u32_e32 v6, v2
	v_min_u32_e32 v6, 32, v6
	v_lshrrev_b32_e32 v3, 19, v9
	v_subrev_u32_e32 v7, 28, v6
	v_and_b32_e32 v3, 15, v3
	v_lshlrev_b32_sdwa v7, v7, v9 dst_sel:DWORD dst_unused:UNUSED_PAD src0_sel:DWORD src1_sel:WORD_1
	v_bfe_u32 v4, v9, 19, 4
	v_sub_u32_e32 v6, 29, v6
	v_and_b32_e32 v7, 7, v7
	v_cmp_eq_u16_e32 vcc, 0, v3
	v_cndmask_b32_e32 v2, v2, v7, vcc
	v_cndmask_b32_e32 v3, v4, v6, vcc
	v_lshlrev_b32_e32 v4, 8, v9
	v_mov_b32_e32 v6, 0x3b800000
	v_lshlrev_b32_e32 v2, 20, v2
	v_and_b32_e32 v4, 0x80000000, v4
	v_lshl_add_u32 v3, v3, 23, v6
	v_or3_b32 v2, v4, v3, v2
.LBB59_1780:
	s_or_b64 exec, exec, s[6:7]
	s_movk_i32 s4, 0xff
	v_and_b32_sdwa v3, v5, s4 dst_sel:DWORD dst_unused:UNUSED_PAD src0_sel:WORD_1 src1_sel:DWORD
	s_movk_i32 s4, 0x7f
	v_cmp_lt_i16_e32 vcc, s4, v3
	s_mov_b64 s[4:5], 0
                                        ; implicit-def: $sgpr10
	s_and_saveexec_b64 s[6:7], vcc
	s_xor_b64 s[6:7], exec, s[6:7]
	s_cbranch_execnz .LBB59_3829
; %bb.1781:
	s_or_saveexec_b64 s[6:7], s[6:7]
	v_mov_b32_e32 v4, s10
	s_xor_b64 exec, exec, s[6:7]
	s_cbranch_execnz .LBB59_3832
.LBB59_1782:
	s_or_b64 exec, exec, s[6:7]
	s_and_saveexec_b64 s[6:7], s[4:5]
	s_cbranch_execz .LBB59_1784
.LBB59_1783:
	v_bfe_u32 v3, v5, 16, 3
	v_ffbh_u32_e32 v7, v3
	v_min_u32_e32 v7, 32, v7
	v_lshrrev_b32_e32 v4, 19, v5
	v_subrev_u32_e32 v8, 28, v7
	v_and_b32_e32 v4, 15, v4
	v_lshlrev_b32_sdwa v8, v8, v5 dst_sel:DWORD dst_unused:UNUSED_PAD src0_sel:DWORD src1_sel:WORD_1
	v_bfe_u32 v6, v5, 19, 4
	v_sub_u32_e32 v7, 29, v7
	v_and_b32_e32 v8, 7, v8
	v_cmp_eq_u16_e32 vcc, 0, v4
	v_cndmask_b32_e32 v3, v3, v8, vcc
	v_cndmask_b32_e32 v4, v6, v7, vcc
	v_lshlrev_b32_e32 v6, 8, v5
	v_mov_b32_e32 v7, 0x3b800000
	v_lshlrev_b32_e32 v3, 20, v3
	v_and_b32_e32 v6, 0x80000000, v6
	v_lshl_add_u32 v4, v4, 23, v7
	v_or3_b32 v4, v6, v4, v3
.LBB59_1784:
	s_or_b64 exec, exec, s[6:7]
	s_nop 0
	v_mfma_f32_16x16x4f32 a[0:3], v2, v4, a[0:3]
	s_movk_i32 s4, 0x7f
	v_cmp_gt_i16_sdwa s[6:7], v9, s4 src0_sel:BYTE_3 src1_sel:DWORD
	s_mov_b64 s[4:5], 0
                                        ; implicit-def: $sgpr10
	s_and_saveexec_b64 s[8:9], s[6:7]
	s_xor_b64 s[6:7], exec, s[8:9]
	s_cbranch_execnz .LBB59_3833
; %bb.1785:
	s_or_saveexec_b64 s[6:7], s[6:7]
	v_mov_b32_e32 v2, s10
	s_xor_b64 exec, exec, s[6:7]
	s_cbranch_execnz .LBB59_3836
.LBB59_1786:
	s_or_b64 exec, exec, s[6:7]
	s_and_saveexec_b64 s[6:7], s[4:5]
	s_cbranch_execz .LBB59_1788
.LBB59_1787:
	v_bfe_u32 v2, v9, 24, 3
	v_ffbh_u32_e32 v7, v2
	v_min_u32_e32 v7, 32, v7
	v_lshrrev_b32_e32 v4, 27, v9
	v_subrev_u32_e32 v8, 28, v7
	v_and_b32_e32 v4, 15, v4
	v_lshlrev_b32_sdwa v8, v8, v9 dst_sel:DWORD dst_unused:UNUSED_PAD src0_sel:DWORD src1_sel:BYTE_3
	v_bfe_u32 v6, v9, 27, 4
	v_sub_u32_e32 v7, 29, v7
	v_and_b32_e32 v8, 7, v8
	v_cmp_eq_u16_e32 vcc, 0, v4
	v_cndmask_b32_e32 v2, v2, v8, vcc
	v_cndmask_b32_e32 v4, v6, v7, vcc
	v_mov_b32_e32 v6, 0x3b800000
	v_and_b32_e32 v3, 0x80000000, v9
	v_lshlrev_b32_e32 v2, 20, v2
	v_lshl_add_u32 v4, v4, 23, v6
	v_or3_b32 v2, v3, v4, v2
.LBB59_1788:
	s_or_b64 exec, exec, s[6:7]
	s_movk_i32 s4, 0x7f
	v_cmp_gt_i16_sdwa s[6:7], v5, s4 src0_sel:BYTE_3 src1_sel:DWORD
	s_mov_b64 s[4:5], 0
                                        ; implicit-def: $sgpr10
	s_and_saveexec_b64 s[8:9], s[6:7]
	s_xor_b64 s[6:7], exec, s[8:9]
	s_cbranch_execnz .LBB59_3837
; %bb.1789:
	s_or_saveexec_b64 s[6:7], s[6:7]
	v_mov_b32_e32 v3, s10
	s_xor_b64 exec, exec, s[6:7]
	s_cbranch_execnz .LBB59_3840
.LBB59_1790:
	s_or_b64 exec, exec, s[6:7]
	s_and_saveexec_b64 s[6:7], s[4:5]
	s_cbranch_execz .LBB59_1792
.LBB59_1791:
	v_bfe_u32 v3, v5, 24, 3
	v_ffbh_u32_e32 v8, v3
	v_min_u32_e32 v8, 32, v8
	v_lshrrev_b32_e32 v6, 27, v5
	v_subrev_u32_e32 v9, 28, v8
	v_and_b32_e32 v4, 0x80000000, v5
	v_and_b32_e32 v6, 15, v6
	v_bfe_u32 v7, v5, 27, 4
	v_lshlrev_b32_sdwa v5, v9, v5 dst_sel:DWORD dst_unused:UNUSED_PAD src0_sel:DWORD src1_sel:BYTE_3
	v_sub_u32_e32 v8, 29, v8
	v_and_b32_e32 v5, 7, v5
	v_cmp_eq_u16_e32 vcc, 0, v6
	v_cndmask_b32_e32 v3, v3, v5, vcc
	v_cndmask_b32_e32 v5, v7, v8, vcc
	v_mov_b32_e32 v6, 0x3b800000
	v_lshlrev_b32_e32 v3, 20, v3
	v_lshl_add_u32 v5, v5, 23, v6
	v_or3_b32 v3, v4, v5, v3
.LBB59_1792:
	s_or_b64 exec, exec, s[6:7]
	s_nop 0
	v_mfma_f32_16x16x4f32 a[0:3], v2, v3, a[0:3]
	s_movk_i32 s4, 0x7f
                                        ; implicit-def: $sgpr10
	s_nop 7
	s_nop 1
	flat_store_dwordx4 v[18:19], a[0:3] offset:992
	flat_load_dwordx4 v[18:21], v[0:1] offset:8
	s_nop 0
	flat_load_dwordx2 v[16:17], v[0:1] offset:24
	s_waitcnt vmcnt(0) lgkmcnt(0)
	flat_load_dwordx4 v[12:15], v[18:19] offset:32
	flat_load_dwordx4 v[4:7], v[18:19] offset:48
	;; [unrolled: 1-line block ×4, first 2 shown]
	s_waitcnt vmcnt(0) lgkmcnt(0)
	v_cmp_gt_i16_sdwa s[6:7], v12, s4 src0_sel:BYTE_0 src1_sel:DWORD
	s_mov_b64 s[4:5], 0
	s_and_saveexec_b64 s[8:9], s[6:7]
	s_xor_b64 s[6:7], exec, s[8:9]
	s_cbranch_execnz .LBB59_3841
; %bb.1793:
	s_or_saveexec_b64 s[6:7], s[6:7]
	v_mov_b32_e32 v18, s10
	s_xor_b64 exec, exec, s[6:7]
	s_cbranch_execnz .LBB59_3844
.LBB59_1794:
	s_or_b64 exec, exec, s[6:7]
	s_and_saveexec_b64 s[6:7], s[4:5]
	s_cbranch_execz .LBB59_1796
.LBB59_1795:
	v_and_b32_e32 v18, 7, v12
	v_ffbh_u32_e32 v20, v18
	v_min_u32_e32 v20, 32, v20
	v_lshrrev_b16_e32 v19, 3, v12
	v_subrev_u32_e32 v21, 28, v20
	v_and_b32_e32 v19, 15, v19
	v_lshlrev_b32_e32 v21, v21, v12
	v_sub_u32_e32 v20, 29, v20
	v_and_b32_e32 v21, 7, v21
	v_cmp_eq_u16_e32 vcc, 0, v19
	v_cndmask_b32_e32 v18, v18, v21, vcc
	v_cndmask_b32_e32 v19, v19, v20, vcc
	v_lshlrev_b32_e32 v20, 24, v12
	v_mov_b32_e32 v21, 0x3b800000
	v_lshlrev_b32_e32 v18, 20, v18
	v_and_b32_e32 v20, 0x80000000, v20
	v_lshl_add_u32 v19, v19, 23, v21
	v_or3_b32 v18, v20, v19, v18
.LBB59_1796:
	s_or_b64 exec, exec, s[6:7]
	s_movk_i32 s4, 0x7f
	v_cmp_gt_i16_sdwa s[6:7], v8, s4 src0_sel:BYTE_0 src1_sel:DWORD
	s_mov_b64 s[4:5], 0
                                        ; implicit-def: $sgpr10
	s_and_saveexec_b64 s[8:9], s[6:7]
	s_xor_b64 s[6:7], exec, s[8:9]
	s_cbranch_execnz .LBB59_3845
; %bb.1797:
	s_or_saveexec_b64 s[6:7], s[6:7]
	v_mov_b32_e32 v19, s10
	s_xor_b64 exec, exec, s[6:7]
	s_cbranch_execnz .LBB59_3848
.LBB59_1798:
	s_or_b64 exec, exec, s[6:7]
	s_and_saveexec_b64 s[6:7], s[4:5]
	s_cbranch_execz .LBB59_1800
.LBB59_1799:
	v_and_b32_e32 v19, 7, v8
	v_ffbh_u32_e32 v21, v19
	v_min_u32_e32 v21, 32, v21
	v_lshrrev_b16_e32 v20, 3, v8
	v_subrev_u32_e32 v22, 28, v21
	v_and_b32_e32 v20, 15, v20
	v_lshlrev_b32_e32 v22, v22, v8
	v_sub_u32_e32 v21, 29, v21
	v_and_b32_e32 v22, 7, v22
	v_cmp_eq_u16_e32 vcc, 0, v20
	v_cndmask_b32_e32 v19, v19, v22, vcc
	v_cndmask_b32_e32 v20, v20, v21, vcc
	v_lshlrev_b32_e32 v21, 24, v8
	v_mov_b32_e32 v22, 0x3b800000
	v_lshlrev_b32_e32 v19, 20, v19
	v_and_b32_e32 v21, 0x80000000, v21
	v_lshl_add_u32 v20, v20, 23, v22
	v_or3_b32 v19, v21, v20, v19
.LBB59_1800:
	s_or_b64 exec, exec, s[6:7]
	flat_load_dwordx4 a[0:3], v[16:17] offset:1008
	s_movk_i32 s4, 0x7f
                                        ; implicit-def: $sgpr10
	s_waitcnt vmcnt(0) lgkmcnt(0)
	v_mfma_f32_16x16x4f32 a[0:3], v18, v19, a[0:3]
	v_lshrrev_b32_e32 v19, 8, v12
	v_cmp_gt_i16_sdwa s[6:7], v19, s4 src0_sel:BYTE_0 src1_sel:DWORD
	s_mov_b64 s[4:5], 0
	s_and_saveexec_b64 s[8:9], s[6:7]
	s_xor_b64 s[6:7], exec, s[8:9]
	s_cbranch_execnz .LBB59_3849
; %bb.1801:
	s_or_saveexec_b64 s[6:7], s[6:7]
	v_mov_b32_e32 v18, s10
	s_xor_b64 exec, exec, s[6:7]
	s_cbranch_execnz .LBB59_3852
.LBB59_1802:
	s_or_b64 exec, exec, s[6:7]
	s_and_saveexec_b64 s[6:7], s[4:5]
	s_cbranch_execz .LBB59_1804
.LBB59_1803:
	v_bfe_u32 v18, v12, 8, 3
	v_ffbh_u32_e32 v21, v18
	v_min_u32_e32 v21, 32, v21
	v_lshrrev_b16_e32 v20, 3, v19
	v_subrev_u32_e32 v22, 28, v21
	v_and_b32_e32 v20, 15, v20
	v_lshlrev_b32_e32 v19, v22, v19
	v_sub_u32_e32 v21, 29, v21
	v_and_b32_e32 v19, 7, v19
	v_cmp_eq_u16_e32 vcc, 0, v20
	v_cndmask_b32_e32 v18, v18, v19, vcc
	v_cndmask_b32_e32 v19, v20, v21, vcc
	v_lshlrev_b32_e32 v20, 16, v12
	v_mov_b32_e32 v21, 0x3b800000
	v_lshlrev_b32_e32 v18, 20, v18
	v_and_b32_e32 v20, 0x80000000, v20
	v_lshl_add_u32 v19, v19, 23, v21
	v_or3_b32 v18, v20, v19, v18
.LBB59_1804:
	s_or_b64 exec, exec, s[6:7]
	v_lshrrev_b32_e32 v19, 8, v8
	s_movk_i32 s4, 0x7f
	v_cmp_gt_i16_sdwa s[6:7], v19, s4 src0_sel:BYTE_0 src1_sel:DWORD
	s_mov_b64 s[4:5], 0
                                        ; implicit-def: $sgpr10
	s_and_saveexec_b64 s[8:9], s[6:7]
	s_xor_b64 s[6:7], exec, s[8:9]
	s_cbranch_execnz .LBB59_3853
; %bb.1805:
	s_or_saveexec_b64 s[6:7], s[6:7]
	v_mov_b32_e32 v20, s10
	s_xor_b64 exec, exec, s[6:7]
	s_cbranch_execnz .LBB59_3856
.LBB59_1806:
	s_or_b64 exec, exec, s[6:7]
	s_and_saveexec_b64 s[6:7], s[4:5]
	s_cbranch_execz .LBB59_1808
.LBB59_1807:
	v_bfe_u32 v20, v8, 8, 3
	v_ffbh_u32_e32 v22, v20
	v_min_u32_e32 v22, 32, v22
	v_lshrrev_b16_e32 v21, 3, v19
	v_subrev_u32_e32 v23, 28, v22
	v_and_b32_e32 v21, 15, v21
	v_lshlrev_b32_e32 v19, v23, v19
	v_sub_u32_e32 v22, 29, v22
	v_and_b32_e32 v19, 7, v19
	v_cmp_eq_u16_e32 vcc, 0, v21
	v_cndmask_b32_e32 v19, v20, v19, vcc
	v_cndmask_b32_e32 v20, v21, v22, vcc
	v_lshlrev_b32_e32 v21, 16, v8
	v_mov_b32_e32 v22, 0x3b800000
	v_lshlrev_b32_e32 v19, 20, v19
	v_and_b32_e32 v21, 0x80000000, v21
	v_lshl_add_u32 v20, v20, 23, v22
	v_or3_b32 v20, v21, v20, v19
.LBB59_1808:
	s_or_b64 exec, exec, s[6:7]
	s_nop 0
	v_mfma_f32_16x16x4f32 a[0:3], v18, v20, a[0:3]
	s_movk_i32 s4, 0xff
	v_and_b32_sdwa v19, v12, s4 dst_sel:DWORD dst_unused:UNUSED_PAD src0_sel:WORD_1 src1_sel:DWORD
	s_movk_i32 s4, 0x7f
	v_cmp_lt_i16_e32 vcc, s4, v19
	s_mov_b64 s[4:5], 0
                                        ; implicit-def: $sgpr10
	s_and_saveexec_b64 s[6:7], vcc
	s_xor_b64 s[6:7], exec, s[6:7]
	s_cbranch_execnz .LBB59_3857
; %bb.1809:
	s_or_saveexec_b64 s[6:7], s[6:7]
	v_mov_b32_e32 v18, s10
	s_xor_b64 exec, exec, s[6:7]
	s_cbranch_execnz .LBB59_3860
.LBB59_1810:
	s_or_b64 exec, exec, s[6:7]
	s_and_saveexec_b64 s[6:7], s[4:5]
	s_cbranch_execz .LBB59_1812
.LBB59_1811:
	v_bfe_u32 v18, v12, 16, 3
	v_ffbh_u32_e32 v21, v18
	v_min_u32_e32 v21, 32, v21
	v_lshrrev_b32_e32 v19, 19, v12
	v_subrev_u32_e32 v22, 28, v21
	v_and_b32_e32 v19, 15, v19
	v_lshlrev_b32_sdwa v22, v22, v12 dst_sel:DWORD dst_unused:UNUSED_PAD src0_sel:DWORD src1_sel:WORD_1
	v_bfe_u32 v20, v12, 19, 4
	v_sub_u32_e32 v21, 29, v21
	v_and_b32_e32 v22, 7, v22
	v_cmp_eq_u16_e32 vcc, 0, v19
	v_cndmask_b32_e32 v18, v18, v22, vcc
	v_cndmask_b32_e32 v19, v20, v21, vcc
	v_lshlrev_b32_e32 v20, 8, v12
	v_mov_b32_e32 v21, 0x3b800000
	v_lshlrev_b32_e32 v18, 20, v18
	v_and_b32_e32 v20, 0x80000000, v20
	v_lshl_add_u32 v19, v19, 23, v21
	v_or3_b32 v18, v20, v19, v18
.LBB59_1812:
	s_or_b64 exec, exec, s[6:7]
	s_movk_i32 s4, 0xff
	v_and_b32_sdwa v19, v8, s4 dst_sel:DWORD dst_unused:UNUSED_PAD src0_sel:WORD_1 src1_sel:DWORD
	s_movk_i32 s4, 0x7f
	v_cmp_lt_i16_e32 vcc, s4, v19
	s_mov_b64 s[4:5], 0
                                        ; implicit-def: $sgpr10
	s_and_saveexec_b64 s[6:7], vcc
	s_xor_b64 s[6:7], exec, s[6:7]
	s_cbranch_execnz .LBB59_3861
; %bb.1813:
	s_or_saveexec_b64 s[6:7], s[6:7]
	v_mov_b32_e32 v20, s10
	s_xor_b64 exec, exec, s[6:7]
	s_cbranch_execnz .LBB59_3864
.LBB59_1814:
	s_or_b64 exec, exec, s[6:7]
	s_and_saveexec_b64 s[6:7], s[4:5]
	s_cbranch_execz .LBB59_1816
.LBB59_1815:
	v_bfe_u32 v19, v8, 16, 3
	v_ffbh_u32_e32 v22, v19
	v_min_u32_e32 v22, 32, v22
	v_lshrrev_b32_e32 v20, 19, v8
	v_subrev_u32_e32 v23, 28, v22
	v_and_b32_e32 v20, 15, v20
	v_lshlrev_b32_sdwa v23, v23, v8 dst_sel:DWORD dst_unused:UNUSED_PAD src0_sel:DWORD src1_sel:WORD_1
	v_bfe_u32 v21, v8, 19, 4
	v_sub_u32_e32 v22, 29, v22
	v_and_b32_e32 v23, 7, v23
	v_cmp_eq_u16_e32 vcc, 0, v20
	v_cndmask_b32_e32 v19, v19, v23, vcc
	v_cndmask_b32_e32 v20, v21, v22, vcc
	v_lshlrev_b32_e32 v21, 8, v8
	v_mov_b32_e32 v22, 0x3b800000
	v_lshlrev_b32_e32 v19, 20, v19
	v_and_b32_e32 v21, 0x80000000, v21
	v_lshl_add_u32 v20, v20, 23, v22
	v_or3_b32 v20, v21, v20, v19
.LBB59_1816:
	s_or_b64 exec, exec, s[6:7]
	s_nop 0
	v_mfma_f32_16x16x4f32 a[0:3], v18, v20, a[0:3]
	s_movk_i32 s4, 0x7f
	v_cmp_gt_i16_sdwa s[6:7], v12, s4 src0_sel:BYTE_3 src1_sel:DWORD
	s_mov_b64 s[4:5], 0
                                        ; implicit-def: $sgpr10
	s_and_saveexec_b64 s[8:9], s[6:7]
	s_xor_b64 s[6:7], exec, s[8:9]
	s_cbranch_execnz .LBB59_3865
; %bb.1817:
	s_or_saveexec_b64 s[6:7], s[6:7]
	v_mov_b32_e32 v18, s10
	s_xor_b64 exec, exec, s[6:7]
	s_cbranch_execnz .LBB59_3868
.LBB59_1818:
	s_or_b64 exec, exec, s[6:7]
	s_and_saveexec_b64 s[6:7], s[4:5]
	s_cbranch_execz .LBB59_1820
.LBB59_1819:
	v_bfe_u32 v18, v12, 24, 3
	v_ffbh_u32_e32 v22, v18
	v_min_u32_e32 v22, 32, v22
	v_lshrrev_b32_e32 v20, 27, v12
	v_subrev_u32_e32 v23, 28, v22
	v_and_b32_e32 v19, 0x80000000, v12
	v_and_b32_e32 v20, 15, v20
	v_bfe_u32 v21, v12, 27, 4
	v_lshlrev_b32_sdwa v12, v23, v12 dst_sel:DWORD dst_unused:UNUSED_PAD src0_sel:DWORD src1_sel:BYTE_3
	v_sub_u32_e32 v22, 29, v22
	v_and_b32_e32 v12, 7, v12
	v_cmp_eq_u16_e32 vcc, 0, v20
	v_cndmask_b32_e32 v12, v18, v12, vcc
	v_cndmask_b32_e32 v18, v21, v22, vcc
	v_mov_b32_e32 v20, 0x3b800000
	v_lshlrev_b32_e32 v12, 20, v12
	v_lshl_add_u32 v18, v18, 23, v20
	v_or3_b32 v18, v19, v18, v12
.LBB59_1820:
	s_or_b64 exec, exec, s[6:7]
	s_movk_i32 s4, 0x7f
	v_cmp_gt_i16_sdwa s[6:7], v8, s4 src0_sel:BYTE_3 src1_sel:DWORD
	s_mov_b64 s[4:5], 0
                                        ; implicit-def: $sgpr10
	s_and_saveexec_b64 s[8:9], s[6:7]
	s_xor_b64 s[6:7], exec, s[8:9]
	s_cbranch_execnz .LBB59_3869
; %bb.1821:
	s_or_saveexec_b64 s[6:7], s[6:7]
	v_mov_b32_e32 v12, s10
	s_xor_b64 exec, exec, s[6:7]
	s_cbranch_execnz .LBB59_3872
.LBB59_1822:
	s_or_b64 exec, exec, s[6:7]
	s_and_saveexec_b64 s[6:7], s[4:5]
	s_cbranch_execz .LBB59_1824
.LBB59_1823:
	v_bfe_u32 v12, v8, 24, 3
	v_ffbh_u32_e32 v22, v12
	v_min_u32_e32 v22, 32, v22
	v_lshrrev_b32_e32 v20, 27, v8
	v_subrev_u32_e32 v23, 28, v22
	v_and_b32_e32 v19, 0x80000000, v8
	v_and_b32_e32 v20, 15, v20
	v_bfe_u32 v21, v8, 27, 4
	v_lshlrev_b32_sdwa v8, v23, v8 dst_sel:DWORD dst_unused:UNUSED_PAD src0_sel:DWORD src1_sel:BYTE_3
	v_sub_u32_e32 v22, 29, v22
	v_and_b32_e32 v8, 7, v8
	v_cmp_eq_u16_e32 vcc, 0, v20
	v_cndmask_b32_e32 v8, v12, v8, vcc
	v_cndmask_b32_e32 v12, v21, v22, vcc
	v_mov_b32_e32 v20, 0x3b800000
	v_lshlrev_b32_e32 v8, 20, v8
	v_lshl_add_u32 v12, v12, 23, v20
	v_or3_b32 v12, v19, v12, v8
.LBB59_1824:
	s_or_b64 exec, exec, s[6:7]
	s_nop 0
	v_mfma_f32_16x16x4f32 a[0:3], v18, v12, a[0:3]
	s_movk_i32 s4, 0x7f
	v_cmp_gt_i16_sdwa s[6:7], v13, s4 src0_sel:BYTE_0 src1_sel:DWORD
	s_mov_b64 s[4:5], 0
                                        ; implicit-def: $sgpr10
	s_and_saveexec_b64 s[8:9], s[6:7]
	s_xor_b64 s[6:7], exec, s[8:9]
	s_cbranch_execnz .LBB59_3873
; %bb.1825:
	s_or_saveexec_b64 s[6:7], s[6:7]
	v_mov_b32_e32 v8, s10
	s_xor_b64 exec, exec, s[6:7]
	s_cbranch_execnz .LBB59_3876
.LBB59_1826:
	s_or_b64 exec, exec, s[6:7]
	s_and_saveexec_b64 s[6:7], s[4:5]
	s_cbranch_execz .LBB59_1828
.LBB59_1827:
	v_and_b32_e32 v8, 7, v13
	v_ffbh_u32_e32 v18, v8
	v_min_u32_e32 v18, 32, v18
	v_lshrrev_b16_e32 v12, 3, v13
	v_subrev_u32_e32 v19, 28, v18
	v_and_b32_e32 v12, 15, v12
	v_lshlrev_b32_e32 v19, v19, v13
	v_sub_u32_e32 v18, 29, v18
	v_and_b32_e32 v19, 7, v19
	v_cmp_eq_u16_e32 vcc, 0, v12
	v_cndmask_b32_e32 v8, v8, v19, vcc
	v_cndmask_b32_e32 v12, v12, v18, vcc
	v_lshlrev_b32_e32 v18, 24, v13
	v_mov_b32_e32 v19, 0x3b800000
	v_lshlrev_b32_e32 v8, 20, v8
	v_and_b32_e32 v18, 0x80000000, v18
	v_lshl_add_u32 v12, v12, 23, v19
	v_or3_b32 v8, v18, v12, v8
.LBB59_1828:
	s_or_b64 exec, exec, s[6:7]
	s_movk_i32 s4, 0x7f
	v_cmp_gt_i16_sdwa s[6:7], v9, s4 src0_sel:BYTE_0 src1_sel:DWORD
	s_mov_b64 s[4:5], 0
                                        ; implicit-def: $sgpr10
	s_and_saveexec_b64 s[8:9], s[6:7]
	s_xor_b64 s[6:7], exec, s[8:9]
	s_cbranch_execnz .LBB59_3877
; %bb.1829:
	s_or_saveexec_b64 s[6:7], s[6:7]
	v_mov_b32_e32 v12, s10
	s_xor_b64 exec, exec, s[6:7]
	s_cbranch_execnz .LBB59_3880
.LBB59_1830:
	s_or_b64 exec, exec, s[6:7]
	s_and_saveexec_b64 s[6:7], s[4:5]
	s_cbranch_execz .LBB59_1832
.LBB59_1831:
	v_and_b32_e32 v12, 7, v9
	v_ffbh_u32_e32 v19, v12
	v_min_u32_e32 v19, 32, v19
	v_lshrrev_b16_e32 v18, 3, v9
	v_subrev_u32_e32 v20, 28, v19
	v_and_b32_e32 v18, 15, v18
	v_lshlrev_b32_e32 v20, v20, v9
	v_sub_u32_e32 v19, 29, v19
	v_and_b32_e32 v20, 7, v20
	v_cmp_eq_u16_e32 vcc, 0, v18
	v_cndmask_b32_e32 v12, v12, v20, vcc
	v_cndmask_b32_e32 v18, v18, v19, vcc
	v_lshlrev_b32_e32 v19, 24, v9
	v_mov_b32_e32 v20, 0x3b800000
	v_lshlrev_b32_e32 v12, 20, v12
	v_and_b32_e32 v19, 0x80000000, v19
	v_lshl_add_u32 v18, v18, 23, v20
	v_or3_b32 v12, v19, v18, v12
.LBB59_1832:
	s_or_b64 exec, exec, s[6:7]
	s_nop 0
	v_mfma_f32_16x16x4f32 a[0:3], v8, v12, a[0:3]
	v_lshrrev_b32_e32 v12, 8, v13
	s_movk_i32 s4, 0x7f
	v_cmp_gt_i16_sdwa s[6:7], v12, s4 src0_sel:BYTE_0 src1_sel:DWORD
	s_mov_b64 s[4:5], 0
                                        ; implicit-def: $sgpr10
	s_and_saveexec_b64 s[8:9], s[6:7]
	s_xor_b64 s[6:7], exec, s[8:9]
	s_cbranch_execnz .LBB59_3881
; %bb.1833:
	s_or_saveexec_b64 s[6:7], s[6:7]
	v_mov_b32_e32 v8, s10
	s_xor_b64 exec, exec, s[6:7]
	s_cbranch_execnz .LBB59_3884
.LBB59_1834:
	s_or_b64 exec, exec, s[6:7]
	s_and_saveexec_b64 s[6:7], s[4:5]
	s_cbranch_execz .LBB59_1836
.LBB59_1835:
	v_bfe_u32 v8, v13, 8, 3
	v_ffbh_u32_e32 v19, v8
	v_min_u32_e32 v19, 32, v19
	v_lshrrev_b16_e32 v18, 3, v12
	v_subrev_u32_e32 v20, 28, v19
	v_and_b32_e32 v18, 15, v18
	v_lshlrev_b32_e32 v12, v20, v12
	v_sub_u32_e32 v19, 29, v19
	v_and_b32_e32 v12, 7, v12
	v_cmp_eq_u16_e32 vcc, 0, v18
	v_cndmask_b32_e32 v8, v8, v12, vcc
	v_cndmask_b32_e32 v12, v18, v19, vcc
	v_lshlrev_b32_e32 v18, 16, v13
	v_mov_b32_e32 v19, 0x3b800000
	v_lshlrev_b32_e32 v8, 20, v8
	v_and_b32_e32 v18, 0x80000000, v18
	v_lshl_add_u32 v12, v12, 23, v19
	v_or3_b32 v8, v18, v12, v8
.LBB59_1836:
	s_or_b64 exec, exec, s[6:7]
	v_lshrrev_b32_e32 v12, 8, v9
	s_movk_i32 s4, 0x7f
	v_cmp_gt_i16_sdwa s[6:7], v12, s4 src0_sel:BYTE_0 src1_sel:DWORD
	s_mov_b64 s[4:5], 0
                                        ; implicit-def: $sgpr10
	s_and_saveexec_b64 s[8:9], s[6:7]
	s_xor_b64 s[6:7], exec, s[8:9]
	s_cbranch_execnz .LBB59_3885
; %bb.1837:
	s_or_saveexec_b64 s[6:7], s[6:7]
	v_mov_b32_e32 v18, s10
	s_xor_b64 exec, exec, s[6:7]
	s_cbranch_execnz .LBB59_3888
.LBB59_1838:
	s_or_b64 exec, exec, s[6:7]
	s_and_saveexec_b64 s[6:7], s[4:5]
	s_cbranch_execz .LBB59_1840
.LBB59_1839:
	v_bfe_u32 v18, v9, 8, 3
	v_ffbh_u32_e32 v20, v18
	v_min_u32_e32 v20, 32, v20
	v_lshrrev_b16_e32 v19, 3, v12
	v_subrev_u32_e32 v21, 28, v20
	v_and_b32_e32 v19, 15, v19
	v_lshlrev_b32_e32 v12, v21, v12
	v_sub_u32_e32 v20, 29, v20
	v_and_b32_e32 v12, 7, v12
	v_cmp_eq_u16_e32 vcc, 0, v19
	v_cndmask_b32_e32 v12, v18, v12, vcc
	v_cndmask_b32_e32 v18, v19, v20, vcc
	v_lshlrev_b32_e32 v19, 16, v9
	v_mov_b32_e32 v20, 0x3b800000
	v_lshlrev_b32_e32 v12, 20, v12
	v_and_b32_e32 v19, 0x80000000, v19
	v_lshl_add_u32 v18, v18, 23, v20
	v_or3_b32 v18, v19, v18, v12
.LBB59_1840:
	s_or_b64 exec, exec, s[6:7]
	s_nop 0
	v_mfma_f32_16x16x4f32 a[0:3], v8, v18, a[0:3]
	s_movk_i32 s4, 0xff
	v_and_b32_sdwa v12, v13, s4 dst_sel:DWORD dst_unused:UNUSED_PAD src0_sel:WORD_1 src1_sel:DWORD
	s_movk_i32 s4, 0x7f
	v_cmp_lt_i16_e32 vcc, s4, v12
	s_mov_b64 s[4:5], 0
                                        ; implicit-def: $sgpr10
	s_and_saveexec_b64 s[6:7], vcc
	s_xor_b64 s[6:7], exec, s[6:7]
	s_cbranch_execnz .LBB59_3889
; %bb.1841:
	s_or_saveexec_b64 s[6:7], s[6:7]
	v_mov_b32_e32 v8, s10
	s_xor_b64 exec, exec, s[6:7]
	s_cbranch_execnz .LBB59_3892
.LBB59_1842:
	s_or_b64 exec, exec, s[6:7]
	s_and_saveexec_b64 s[6:7], s[4:5]
	s_cbranch_execz .LBB59_1844
.LBB59_1843:
	v_bfe_u32 v8, v13, 16, 3
	v_ffbh_u32_e32 v19, v8
	v_min_u32_e32 v19, 32, v19
	v_lshrrev_b32_e32 v12, 19, v13
	v_subrev_u32_e32 v20, 28, v19
	v_and_b32_e32 v12, 15, v12
	v_lshlrev_b32_sdwa v20, v20, v13 dst_sel:DWORD dst_unused:UNUSED_PAD src0_sel:DWORD src1_sel:WORD_1
	v_bfe_u32 v18, v13, 19, 4
	v_sub_u32_e32 v19, 29, v19
	v_and_b32_e32 v20, 7, v20
	v_cmp_eq_u16_e32 vcc, 0, v12
	v_cndmask_b32_e32 v8, v8, v20, vcc
	v_cndmask_b32_e32 v12, v18, v19, vcc
	v_lshlrev_b32_e32 v18, 8, v13
	v_mov_b32_e32 v19, 0x3b800000
	v_lshlrev_b32_e32 v8, 20, v8
	v_and_b32_e32 v18, 0x80000000, v18
	v_lshl_add_u32 v12, v12, 23, v19
	v_or3_b32 v8, v18, v12, v8
.LBB59_1844:
	s_or_b64 exec, exec, s[6:7]
	s_movk_i32 s4, 0xff
	v_and_b32_sdwa v12, v9, s4 dst_sel:DWORD dst_unused:UNUSED_PAD src0_sel:WORD_1 src1_sel:DWORD
	s_movk_i32 s4, 0x7f
	v_cmp_lt_i16_e32 vcc, s4, v12
	s_mov_b64 s[4:5], 0
                                        ; implicit-def: $sgpr10
	s_and_saveexec_b64 s[6:7], vcc
	s_xor_b64 s[6:7], exec, s[6:7]
	s_cbranch_execnz .LBB59_3893
; %bb.1845:
	s_or_saveexec_b64 s[6:7], s[6:7]
	v_mov_b32_e32 v18, s10
	s_xor_b64 exec, exec, s[6:7]
	s_cbranch_execnz .LBB59_3896
.LBB59_1846:
	s_or_b64 exec, exec, s[6:7]
	s_and_saveexec_b64 s[6:7], s[4:5]
	s_cbranch_execz .LBB59_1848
.LBB59_1847:
	v_bfe_u32 v12, v9, 16, 3
	v_ffbh_u32_e32 v20, v12
	v_min_u32_e32 v20, 32, v20
	v_lshrrev_b32_e32 v18, 19, v9
	v_subrev_u32_e32 v21, 28, v20
	v_and_b32_e32 v18, 15, v18
	v_lshlrev_b32_sdwa v21, v21, v9 dst_sel:DWORD dst_unused:UNUSED_PAD src0_sel:DWORD src1_sel:WORD_1
	v_bfe_u32 v19, v9, 19, 4
	v_sub_u32_e32 v20, 29, v20
	v_and_b32_e32 v21, 7, v21
	v_cmp_eq_u16_e32 vcc, 0, v18
	v_cndmask_b32_e32 v12, v12, v21, vcc
	v_cndmask_b32_e32 v18, v19, v20, vcc
	v_lshlrev_b32_e32 v19, 8, v9
	v_mov_b32_e32 v20, 0x3b800000
	v_lshlrev_b32_e32 v12, 20, v12
	v_and_b32_e32 v19, 0x80000000, v19
	v_lshl_add_u32 v18, v18, 23, v20
	v_or3_b32 v18, v19, v18, v12
.LBB59_1848:
	s_or_b64 exec, exec, s[6:7]
	s_nop 0
	v_mfma_f32_16x16x4f32 a[0:3], v8, v18, a[0:3]
	s_movk_i32 s4, 0x7f
	v_cmp_gt_i16_sdwa s[6:7], v13, s4 src0_sel:BYTE_3 src1_sel:DWORD
	s_mov_b64 s[4:5], 0
                                        ; implicit-def: $sgpr10
	s_and_saveexec_b64 s[8:9], s[6:7]
	s_xor_b64 s[6:7], exec, s[8:9]
	s_cbranch_execnz .LBB59_3897
; %bb.1849:
	s_or_saveexec_b64 s[6:7], s[6:7]
	v_mov_b32_e32 v8, s10
	s_xor_b64 exec, exec, s[6:7]
	s_cbranch_execnz .LBB59_3900
.LBB59_1850:
	s_or_b64 exec, exec, s[6:7]
	s_and_saveexec_b64 s[6:7], s[4:5]
	s_cbranch_execz .LBB59_1852
.LBB59_1851:
	v_bfe_u32 v8, v13, 24, 3
	v_ffbh_u32_e32 v20, v8
	v_min_u32_e32 v20, 32, v20
	v_lshrrev_b32_e32 v18, 27, v13
	v_subrev_u32_e32 v21, 28, v20
	v_and_b32_e32 v12, 0x80000000, v13
	v_and_b32_e32 v18, 15, v18
	v_bfe_u32 v19, v13, 27, 4
	v_lshlrev_b32_sdwa v13, v21, v13 dst_sel:DWORD dst_unused:UNUSED_PAD src0_sel:DWORD src1_sel:BYTE_3
	v_sub_u32_e32 v20, 29, v20
	v_and_b32_e32 v13, 7, v13
	v_cmp_eq_u16_e32 vcc, 0, v18
	v_cndmask_b32_e32 v8, v8, v13, vcc
	v_cndmask_b32_e32 v13, v19, v20, vcc
	v_mov_b32_e32 v18, 0x3b800000
	v_lshlrev_b32_e32 v8, 20, v8
	v_lshl_add_u32 v13, v13, 23, v18
	v_or3_b32 v8, v12, v13, v8
.LBB59_1852:
	s_or_b64 exec, exec, s[6:7]
	s_movk_i32 s4, 0x7f
	v_cmp_gt_i16_sdwa s[6:7], v9, s4 src0_sel:BYTE_3 src1_sel:DWORD
	s_mov_b64 s[4:5], 0
                                        ; implicit-def: $sgpr10
	s_and_saveexec_b64 s[8:9], s[6:7]
	s_xor_b64 s[6:7], exec, s[8:9]
	s_cbranch_execnz .LBB59_3901
; %bb.1853:
	s_or_saveexec_b64 s[6:7], s[6:7]
	v_mov_b32_e32 v12, s10
	s_xor_b64 exec, exec, s[6:7]
	s_cbranch_execnz .LBB59_3904
.LBB59_1854:
	s_or_b64 exec, exec, s[6:7]
	s_and_saveexec_b64 s[6:7], s[4:5]
	s_cbranch_execz .LBB59_1856
.LBB59_1855:
	v_bfe_u32 v12, v9, 24, 3
	v_ffbh_u32_e32 v20, v12
	v_min_u32_e32 v20, 32, v20
	v_lshrrev_b32_e32 v18, 27, v9
	v_subrev_u32_e32 v21, 28, v20
	v_and_b32_e32 v13, 0x80000000, v9
	v_and_b32_e32 v18, 15, v18
	v_bfe_u32 v19, v9, 27, 4
	v_lshlrev_b32_sdwa v9, v21, v9 dst_sel:DWORD dst_unused:UNUSED_PAD src0_sel:DWORD src1_sel:BYTE_3
	v_sub_u32_e32 v20, 29, v20
	v_and_b32_e32 v9, 7, v9
	v_cmp_eq_u16_e32 vcc, 0, v18
	v_cndmask_b32_e32 v9, v12, v9, vcc
	v_cndmask_b32_e32 v12, v19, v20, vcc
	v_mov_b32_e32 v18, 0x3b800000
	v_lshlrev_b32_e32 v9, 20, v9
	v_lshl_add_u32 v12, v12, 23, v18
	v_or3_b32 v12, v13, v12, v9
.LBB59_1856:
	s_or_b64 exec, exec, s[6:7]
	s_nop 0
	v_mfma_f32_16x16x4f32 a[0:3], v8, v12, a[0:3]
	s_movk_i32 s4, 0x7f
	v_cmp_gt_i16_sdwa s[6:7], v14, s4 src0_sel:BYTE_0 src1_sel:DWORD
	s_mov_b64 s[4:5], 0
                                        ; implicit-def: $sgpr10
	s_and_saveexec_b64 s[8:9], s[6:7]
	s_xor_b64 s[6:7], exec, s[8:9]
	s_cbranch_execnz .LBB59_3905
; %bb.1857:
	s_or_saveexec_b64 s[6:7], s[6:7]
	v_mov_b32_e32 v8, s10
	s_xor_b64 exec, exec, s[6:7]
	s_cbranch_execnz .LBB59_3908
.LBB59_1858:
	s_or_b64 exec, exec, s[6:7]
	s_and_saveexec_b64 s[6:7], s[4:5]
	s_cbranch_execz .LBB59_1860
.LBB59_1859:
	v_and_b32_e32 v8, 7, v14
	v_ffbh_u32_e32 v12, v8
	v_min_u32_e32 v12, 32, v12
	v_lshrrev_b16_e32 v9, 3, v14
	v_subrev_u32_e32 v13, 28, v12
	v_and_b32_e32 v9, 15, v9
	v_lshlrev_b32_e32 v13, v13, v14
	v_sub_u32_e32 v12, 29, v12
	v_and_b32_e32 v13, 7, v13
	v_cmp_eq_u16_e32 vcc, 0, v9
	v_cndmask_b32_e32 v8, v8, v13, vcc
	v_cndmask_b32_e32 v9, v9, v12, vcc
	v_lshlrev_b32_e32 v12, 24, v14
	v_mov_b32_e32 v13, 0x3b800000
	v_lshlrev_b32_e32 v8, 20, v8
	v_and_b32_e32 v12, 0x80000000, v12
	v_lshl_add_u32 v9, v9, 23, v13
	v_or3_b32 v8, v12, v9, v8
.LBB59_1860:
	s_or_b64 exec, exec, s[6:7]
	s_movk_i32 s4, 0x7f
	v_cmp_gt_i16_sdwa s[6:7], v10, s4 src0_sel:BYTE_0 src1_sel:DWORD
	s_mov_b64 s[4:5], 0
                                        ; implicit-def: $sgpr10
	s_and_saveexec_b64 s[8:9], s[6:7]
	s_xor_b64 s[6:7], exec, s[8:9]
	s_cbranch_execnz .LBB59_3909
; %bb.1861:
	s_or_saveexec_b64 s[6:7], s[6:7]
	v_mov_b32_e32 v9, s10
	s_xor_b64 exec, exec, s[6:7]
	s_cbranch_execnz .LBB59_3912
.LBB59_1862:
	s_or_b64 exec, exec, s[6:7]
	s_and_saveexec_b64 s[6:7], s[4:5]
	s_cbranch_execz .LBB59_1864
.LBB59_1863:
	v_and_b32_e32 v9, 7, v10
	v_ffbh_u32_e32 v13, v9
	v_min_u32_e32 v13, 32, v13
	v_lshrrev_b16_e32 v12, 3, v10
	v_subrev_u32_e32 v18, 28, v13
	v_and_b32_e32 v12, 15, v12
	v_lshlrev_b32_e32 v18, v18, v10
	v_sub_u32_e32 v13, 29, v13
	v_and_b32_e32 v18, 7, v18
	v_cmp_eq_u16_e32 vcc, 0, v12
	v_cndmask_b32_e32 v9, v9, v18, vcc
	v_cndmask_b32_e32 v12, v12, v13, vcc
	v_lshlrev_b32_e32 v13, 24, v10
	v_mov_b32_e32 v18, 0x3b800000
	v_lshlrev_b32_e32 v9, 20, v9
	v_and_b32_e32 v13, 0x80000000, v13
	v_lshl_add_u32 v12, v12, 23, v18
	v_or3_b32 v9, v13, v12, v9
.LBB59_1864:
	s_or_b64 exec, exec, s[6:7]
	s_nop 0
	v_mfma_f32_16x16x4f32 a[0:3], v8, v9, a[0:3]
	v_lshrrev_b32_e32 v9, 8, v14
	s_movk_i32 s4, 0x7f
	v_cmp_gt_i16_sdwa s[6:7], v9, s4 src0_sel:BYTE_0 src1_sel:DWORD
	s_mov_b64 s[4:5], 0
                                        ; implicit-def: $sgpr10
	s_and_saveexec_b64 s[8:9], s[6:7]
	s_xor_b64 s[6:7], exec, s[8:9]
	s_cbranch_execnz .LBB59_3913
; %bb.1865:
	s_or_saveexec_b64 s[6:7], s[6:7]
	v_mov_b32_e32 v8, s10
	s_xor_b64 exec, exec, s[6:7]
	s_cbranch_execnz .LBB59_3916
.LBB59_1866:
	s_or_b64 exec, exec, s[6:7]
	s_and_saveexec_b64 s[6:7], s[4:5]
	s_cbranch_execz .LBB59_1868
.LBB59_1867:
	v_bfe_u32 v8, v14, 8, 3
	v_ffbh_u32_e32 v13, v8
	v_min_u32_e32 v13, 32, v13
	v_lshrrev_b16_e32 v12, 3, v9
	v_subrev_u32_e32 v18, 28, v13
	v_and_b32_e32 v12, 15, v12
	v_lshlrev_b32_e32 v9, v18, v9
	v_sub_u32_e32 v13, 29, v13
	v_and_b32_e32 v9, 7, v9
	v_cmp_eq_u16_e32 vcc, 0, v12
	v_cndmask_b32_e32 v8, v8, v9, vcc
	v_cndmask_b32_e32 v9, v12, v13, vcc
	v_lshlrev_b32_e32 v12, 16, v14
	v_mov_b32_e32 v13, 0x3b800000
	v_lshlrev_b32_e32 v8, 20, v8
	v_and_b32_e32 v12, 0x80000000, v12
	v_lshl_add_u32 v9, v9, 23, v13
	v_or3_b32 v8, v12, v9, v8
.LBB59_1868:
	s_or_b64 exec, exec, s[6:7]
	v_lshrrev_b32_e32 v9, 8, v10
	s_movk_i32 s4, 0x7f
	v_cmp_gt_i16_sdwa s[6:7], v9, s4 src0_sel:BYTE_0 src1_sel:DWORD
	s_mov_b64 s[4:5], 0
                                        ; implicit-def: $sgpr10
	s_and_saveexec_b64 s[8:9], s[6:7]
	s_xor_b64 s[6:7], exec, s[8:9]
	s_cbranch_execnz .LBB59_3917
; %bb.1869:
	s_or_saveexec_b64 s[6:7], s[6:7]
	v_mov_b32_e32 v12, s10
	s_xor_b64 exec, exec, s[6:7]
	s_cbranch_execnz .LBB59_3920
.LBB59_1870:
	s_or_b64 exec, exec, s[6:7]
	s_and_saveexec_b64 s[6:7], s[4:5]
	s_cbranch_execz .LBB59_1872
.LBB59_1871:
	v_bfe_u32 v12, v10, 8, 3
	v_ffbh_u32_e32 v18, v12
	v_min_u32_e32 v18, 32, v18
	v_lshrrev_b16_e32 v13, 3, v9
	v_subrev_u32_e32 v19, 28, v18
	v_and_b32_e32 v13, 15, v13
	v_lshlrev_b32_e32 v9, v19, v9
	v_sub_u32_e32 v18, 29, v18
	v_and_b32_e32 v9, 7, v9
	v_cmp_eq_u16_e32 vcc, 0, v13
	v_cndmask_b32_e32 v9, v12, v9, vcc
	v_cndmask_b32_e32 v12, v13, v18, vcc
	v_lshlrev_b32_e32 v13, 16, v10
	v_mov_b32_e32 v18, 0x3b800000
	v_lshlrev_b32_e32 v9, 20, v9
	v_and_b32_e32 v13, 0x80000000, v13
	v_lshl_add_u32 v12, v12, 23, v18
	v_or3_b32 v12, v13, v12, v9
.LBB59_1872:
	s_or_b64 exec, exec, s[6:7]
	s_nop 0
	v_mfma_f32_16x16x4f32 a[0:3], v8, v12, a[0:3]
	s_movk_i32 s4, 0xff
	v_and_b32_sdwa v9, v14, s4 dst_sel:DWORD dst_unused:UNUSED_PAD src0_sel:WORD_1 src1_sel:DWORD
	s_movk_i32 s4, 0x7f
	v_cmp_lt_i16_e32 vcc, s4, v9
	s_mov_b64 s[4:5], 0
                                        ; implicit-def: $sgpr10
	s_and_saveexec_b64 s[6:7], vcc
	s_xor_b64 s[6:7], exec, s[6:7]
	s_cbranch_execnz .LBB59_3921
; %bb.1873:
	s_or_saveexec_b64 s[6:7], s[6:7]
	v_mov_b32_e32 v8, s10
	s_xor_b64 exec, exec, s[6:7]
	s_cbranch_execnz .LBB59_3924
.LBB59_1874:
	s_or_b64 exec, exec, s[6:7]
	s_and_saveexec_b64 s[6:7], s[4:5]
	s_cbranch_execz .LBB59_1876
.LBB59_1875:
	v_bfe_u32 v8, v14, 16, 3
	v_ffbh_u32_e32 v13, v8
	v_min_u32_e32 v13, 32, v13
	v_lshrrev_b32_e32 v9, 19, v14
	v_subrev_u32_e32 v18, 28, v13
	v_and_b32_e32 v9, 15, v9
	v_lshlrev_b32_sdwa v18, v18, v14 dst_sel:DWORD dst_unused:UNUSED_PAD src0_sel:DWORD src1_sel:WORD_1
	v_bfe_u32 v12, v14, 19, 4
	v_sub_u32_e32 v13, 29, v13
	v_and_b32_e32 v18, 7, v18
	v_cmp_eq_u16_e32 vcc, 0, v9
	v_cndmask_b32_e32 v8, v8, v18, vcc
	v_cndmask_b32_e32 v9, v12, v13, vcc
	v_lshlrev_b32_e32 v12, 8, v14
	v_mov_b32_e32 v13, 0x3b800000
	v_lshlrev_b32_e32 v8, 20, v8
	v_and_b32_e32 v12, 0x80000000, v12
	v_lshl_add_u32 v9, v9, 23, v13
	v_or3_b32 v8, v12, v9, v8
.LBB59_1876:
	s_or_b64 exec, exec, s[6:7]
	s_movk_i32 s4, 0xff
	v_and_b32_sdwa v9, v10, s4 dst_sel:DWORD dst_unused:UNUSED_PAD src0_sel:WORD_1 src1_sel:DWORD
	s_movk_i32 s4, 0x7f
	v_cmp_lt_i16_e32 vcc, s4, v9
	s_mov_b64 s[4:5], 0
                                        ; implicit-def: $sgpr10
	s_and_saveexec_b64 s[6:7], vcc
	s_xor_b64 s[6:7], exec, s[6:7]
	s_cbranch_execnz .LBB59_3925
; %bb.1877:
	s_or_saveexec_b64 s[6:7], s[6:7]
	v_mov_b32_e32 v12, s10
	s_xor_b64 exec, exec, s[6:7]
	s_cbranch_execnz .LBB59_3928
.LBB59_1878:
	s_or_b64 exec, exec, s[6:7]
	s_and_saveexec_b64 s[6:7], s[4:5]
	s_cbranch_execz .LBB59_1880
.LBB59_1879:
	v_bfe_u32 v9, v10, 16, 3
	v_ffbh_u32_e32 v18, v9
	v_min_u32_e32 v18, 32, v18
	v_lshrrev_b32_e32 v12, 19, v10
	v_subrev_u32_e32 v19, 28, v18
	v_and_b32_e32 v12, 15, v12
	v_lshlrev_b32_sdwa v19, v19, v10 dst_sel:DWORD dst_unused:UNUSED_PAD src0_sel:DWORD src1_sel:WORD_1
	v_bfe_u32 v13, v10, 19, 4
	v_sub_u32_e32 v18, 29, v18
	v_and_b32_e32 v19, 7, v19
	v_cmp_eq_u16_e32 vcc, 0, v12
	v_cndmask_b32_e32 v9, v9, v19, vcc
	v_cndmask_b32_e32 v12, v13, v18, vcc
	v_lshlrev_b32_e32 v13, 8, v10
	v_mov_b32_e32 v18, 0x3b800000
	v_lshlrev_b32_e32 v9, 20, v9
	v_and_b32_e32 v13, 0x80000000, v13
	v_lshl_add_u32 v12, v12, 23, v18
	v_or3_b32 v12, v13, v12, v9
.LBB59_1880:
	s_or_b64 exec, exec, s[6:7]
	s_nop 0
	v_mfma_f32_16x16x4f32 a[0:3], v8, v12, a[0:3]
	s_movk_i32 s4, 0x7f
	v_cmp_gt_i16_sdwa s[6:7], v14, s4 src0_sel:BYTE_3 src1_sel:DWORD
	s_mov_b64 s[4:5], 0
                                        ; implicit-def: $sgpr10
	s_and_saveexec_b64 s[8:9], s[6:7]
	s_xor_b64 s[6:7], exec, s[8:9]
	s_cbranch_execnz .LBB59_3929
; %bb.1881:
	s_or_saveexec_b64 s[6:7], s[6:7]
	v_mov_b32_e32 v8, s10
	s_xor_b64 exec, exec, s[6:7]
	s_cbranch_execnz .LBB59_3932
.LBB59_1882:
	s_or_b64 exec, exec, s[6:7]
	s_and_saveexec_b64 s[6:7], s[4:5]
	s_cbranch_execz .LBB59_1884
.LBB59_1883:
	v_bfe_u32 v8, v14, 24, 3
	v_ffbh_u32_e32 v18, v8
	v_min_u32_e32 v18, 32, v18
	v_lshrrev_b32_e32 v12, 27, v14
	v_subrev_u32_e32 v19, 28, v18
	v_and_b32_e32 v9, 0x80000000, v14
	v_and_b32_e32 v12, 15, v12
	v_bfe_u32 v13, v14, 27, 4
	v_lshlrev_b32_sdwa v14, v19, v14 dst_sel:DWORD dst_unused:UNUSED_PAD src0_sel:DWORD src1_sel:BYTE_3
	v_sub_u32_e32 v18, 29, v18
	v_and_b32_e32 v14, 7, v14
	v_cmp_eq_u16_e32 vcc, 0, v12
	v_cndmask_b32_e32 v8, v8, v14, vcc
	v_cndmask_b32_e32 v12, v13, v18, vcc
	v_mov_b32_e32 v13, 0x3b800000
	v_lshlrev_b32_e32 v8, 20, v8
	v_lshl_add_u32 v12, v12, 23, v13
	v_or3_b32 v8, v9, v12, v8
.LBB59_1884:
	s_or_b64 exec, exec, s[6:7]
	s_movk_i32 s4, 0x7f
	v_cmp_gt_i16_sdwa s[6:7], v10, s4 src0_sel:BYTE_3 src1_sel:DWORD
	s_mov_b64 s[4:5], 0
                                        ; implicit-def: $sgpr10
	s_and_saveexec_b64 s[8:9], s[6:7]
	s_xor_b64 s[6:7], exec, s[8:9]
	s_cbranch_execnz .LBB59_3933
; %bb.1885:
	s_or_saveexec_b64 s[6:7], s[6:7]
	v_mov_b32_e32 v9, s10
	s_xor_b64 exec, exec, s[6:7]
	s_cbranch_execnz .LBB59_3936
.LBB59_1886:
	s_or_b64 exec, exec, s[6:7]
	s_and_saveexec_b64 s[6:7], s[4:5]
	s_cbranch_execz .LBB59_1888
.LBB59_1887:
	v_bfe_u32 v9, v10, 24, 3
	v_ffbh_u32_e32 v18, v9
	v_min_u32_e32 v18, 32, v18
	v_lshrrev_b32_e32 v13, 27, v10
	v_subrev_u32_e32 v19, 28, v18
	v_and_b32_e32 v12, 0x80000000, v10
	v_and_b32_e32 v13, 15, v13
	v_bfe_u32 v14, v10, 27, 4
	v_lshlrev_b32_sdwa v10, v19, v10 dst_sel:DWORD dst_unused:UNUSED_PAD src0_sel:DWORD src1_sel:BYTE_3
	v_sub_u32_e32 v18, 29, v18
	v_and_b32_e32 v10, 7, v10
	v_cmp_eq_u16_e32 vcc, 0, v13
	v_cndmask_b32_e32 v9, v9, v10, vcc
	v_cndmask_b32_e32 v10, v14, v18, vcc
	v_mov_b32_e32 v13, 0x3b800000
	v_lshlrev_b32_e32 v9, 20, v9
	v_lshl_add_u32 v10, v10, 23, v13
	v_or3_b32 v9, v12, v10, v9
.LBB59_1888:
	s_or_b64 exec, exec, s[6:7]
	s_nop 0
	v_mfma_f32_16x16x4f32 a[0:3], v8, v9, a[0:3]
	s_movk_i32 s4, 0x7f
	v_cmp_gt_i16_sdwa s[6:7], v15, s4 src0_sel:BYTE_0 src1_sel:DWORD
	s_mov_b64 s[4:5], 0
                                        ; implicit-def: $sgpr10
	s_and_saveexec_b64 s[8:9], s[6:7]
	s_xor_b64 s[6:7], exec, s[8:9]
	s_cbranch_execnz .LBB59_3937
; %bb.1889:
	s_or_saveexec_b64 s[6:7], s[6:7]
	v_mov_b32_e32 v8, s10
	s_xor_b64 exec, exec, s[6:7]
	s_cbranch_execnz .LBB59_3940
.LBB59_1890:
	s_or_b64 exec, exec, s[6:7]
	s_and_saveexec_b64 s[6:7], s[4:5]
	s_cbranch_execz .LBB59_1892
.LBB59_1891:
	v_and_b32_e32 v8, 7, v15
	v_ffbh_u32_e32 v10, v8
	v_min_u32_e32 v10, 32, v10
	v_lshrrev_b16_e32 v9, 3, v15
	v_subrev_u32_e32 v12, 28, v10
	v_and_b32_e32 v9, 15, v9
	v_lshlrev_b32_e32 v12, v12, v15
	v_sub_u32_e32 v10, 29, v10
	v_and_b32_e32 v12, 7, v12
	v_cmp_eq_u16_e32 vcc, 0, v9
	v_cndmask_b32_e32 v8, v8, v12, vcc
	v_cndmask_b32_e32 v9, v9, v10, vcc
	v_lshlrev_b32_e32 v10, 24, v15
	v_mov_b32_e32 v12, 0x3b800000
	v_lshlrev_b32_e32 v8, 20, v8
	v_and_b32_e32 v10, 0x80000000, v10
	v_lshl_add_u32 v9, v9, 23, v12
	v_or3_b32 v8, v10, v9, v8
.LBB59_1892:
	s_or_b64 exec, exec, s[6:7]
	s_movk_i32 s4, 0x7f
	v_cmp_gt_i16_sdwa s[6:7], v11, s4 src0_sel:BYTE_0 src1_sel:DWORD
	s_mov_b64 s[4:5], 0
                                        ; implicit-def: $sgpr10
	s_and_saveexec_b64 s[8:9], s[6:7]
	s_xor_b64 s[6:7], exec, s[8:9]
	s_cbranch_execnz .LBB59_3941
; %bb.1893:
	s_or_saveexec_b64 s[6:7], s[6:7]
	v_mov_b32_e32 v9, s10
	s_xor_b64 exec, exec, s[6:7]
	s_cbranch_execnz .LBB59_3944
.LBB59_1894:
	s_or_b64 exec, exec, s[6:7]
	s_and_saveexec_b64 s[6:7], s[4:5]
	s_cbranch_execz .LBB59_1896
.LBB59_1895:
	v_and_b32_e32 v9, 7, v11
	v_ffbh_u32_e32 v12, v9
	v_min_u32_e32 v12, 32, v12
	v_lshrrev_b16_e32 v10, 3, v11
	v_subrev_u32_e32 v13, 28, v12
	v_and_b32_e32 v10, 15, v10
	v_lshlrev_b32_e32 v13, v13, v11
	v_sub_u32_e32 v12, 29, v12
	v_and_b32_e32 v13, 7, v13
	v_cmp_eq_u16_e32 vcc, 0, v10
	v_cndmask_b32_e32 v9, v9, v13, vcc
	v_cndmask_b32_e32 v10, v10, v12, vcc
	v_lshlrev_b32_e32 v12, 24, v11
	v_mov_b32_e32 v13, 0x3b800000
	v_lshlrev_b32_e32 v9, 20, v9
	v_and_b32_e32 v12, 0x80000000, v12
	v_lshl_add_u32 v10, v10, 23, v13
	v_or3_b32 v9, v12, v10, v9
.LBB59_1896:
	s_or_b64 exec, exec, s[6:7]
	s_nop 0
	v_mfma_f32_16x16x4f32 a[0:3], v8, v9, a[0:3]
	v_lshrrev_b32_e32 v9, 8, v15
	s_movk_i32 s4, 0x7f
	v_cmp_gt_i16_sdwa s[6:7], v9, s4 src0_sel:BYTE_0 src1_sel:DWORD
	s_mov_b64 s[4:5], 0
                                        ; implicit-def: $sgpr10
	s_and_saveexec_b64 s[8:9], s[6:7]
	s_xor_b64 s[6:7], exec, s[8:9]
	s_cbranch_execnz .LBB59_3945
; %bb.1897:
	s_or_saveexec_b64 s[6:7], s[6:7]
	v_mov_b32_e32 v8, s10
	s_xor_b64 exec, exec, s[6:7]
	s_cbranch_execnz .LBB59_3948
.LBB59_1898:
	s_or_b64 exec, exec, s[6:7]
	s_and_saveexec_b64 s[6:7], s[4:5]
	s_cbranch_execz .LBB59_1900
.LBB59_1899:
	v_bfe_u32 v8, v15, 8, 3
	v_ffbh_u32_e32 v12, v8
	v_min_u32_e32 v12, 32, v12
	v_lshrrev_b16_e32 v10, 3, v9
	v_subrev_u32_e32 v13, 28, v12
	v_and_b32_e32 v10, 15, v10
	v_lshlrev_b32_e32 v9, v13, v9
	v_sub_u32_e32 v12, 29, v12
	v_and_b32_e32 v9, 7, v9
	v_cmp_eq_u16_e32 vcc, 0, v10
	v_cndmask_b32_e32 v8, v8, v9, vcc
	v_cndmask_b32_e32 v9, v10, v12, vcc
	v_lshlrev_b32_e32 v10, 16, v15
	v_mov_b32_e32 v12, 0x3b800000
	v_lshlrev_b32_e32 v8, 20, v8
	v_and_b32_e32 v10, 0x80000000, v10
	v_lshl_add_u32 v9, v9, 23, v12
	v_or3_b32 v8, v10, v9, v8
.LBB59_1900:
	s_or_b64 exec, exec, s[6:7]
	v_lshrrev_b32_e32 v9, 8, v11
	s_movk_i32 s4, 0x7f
	v_cmp_gt_i16_sdwa s[6:7], v9, s4 src0_sel:BYTE_0 src1_sel:DWORD
	s_mov_b64 s[4:5], 0
                                        ; implicit-def: $sgpr10
	s_and_saveexec_b64 s[8:9], s[6:7]
	s_xor_b64 s[6:7], exec, s[8:9]
	s_cbranch_execnz .LBB59_3949
; %bb.1901:
	s_or_saveexec_b64 s[6:7], s[6:7]
	v_mov_b32_e32 v10, s10
	s_xor_b64 exec, exec, s[6:7]
	s_cbranch_execnz .LBB59_3952
.LBB59_1902:
	s_or_b64 exec, exec, s[6:7]
	s_and_saveexec_b64 s[6:7], s[4:5]
	s_cbranch_execz .LBB59_1904
.LBB59_1903:
	v_bfe_u32 v10, v11, 8, 3
	v_ffbh_u32_e32 v13, v10
	v_min_u32_e32 v13, 32, v13
	v_lshrrev_b16_e32 v12, 3, v9
	v_subrev_u32_e32 v14, 28, v13
	v_and_b32_e32 v12, 15, v12
	v_lshlrev_b32_e32 v9, v14, v9
	v_sub_u32_e32 v13, 29, v13
	v_and_b32_e32 v9, 7, v9
	v_cmp_eq_u16_e32 vcc, 0, v12
	v_cndmask_b32_e32 v9, v10, v9, vcc
	v_cndmask_b32_e32 v10, v12, v13, vcc
	v_lshlrev_b32_e32 v12, 16, v11
	v_mov_b32_e32 v13, 0x3b800000
	v_lshlrev_b32_e32 v9, 20, v9
	v_and_b32_e32 v12, 0x80000000, v12
	v_lshl_add_u32 v10, v10, 23, v13
	v_or3_b32 v10, v12, v10, v9
.LBB59_1904:
	s_or_b64 exec, exec, s[6:7]
	s_nop 0
	v_mfma_f32_16x16x4f32 a[0:3], v8, v10, a[0:3]
	s_movk_i32 s4, 0xff
	v_and_b32_sdwa v9, v15, s4 dst_sel:DWORD dst_unused:UNUSED_PAD src0_sel:WORD_1 src1_sel:DWORD
	s_movk_i32 s4, 0x7f
	v_cmp_lt_i16_e32 vcc, s4, v9
	s_mov_b64 s[4:5], 0
                                        ; implicit-def: $sgpr10
	s_and_saveexec_b64 s[6:7], vcc
	s_xor_b64 s[6:7], exec, s[6:7]
	s_cbranch_execnz .LBB59_3953
; %bb.1905:
	s_or_saveexec_b64 s[6:7], s[6:7]
	v_mov_b32_e32 v8, s10
	s_xor_b64 exec, exec, s[6:7]
	s_cbranch_execnz .LBB59_3956
.LBB59_1906:
	s_or_b64 exec, exec, s[6:7]
	s_and_saveexec_b64 s[6:7], s[4:5]
	s_cbranch_execz .LBB59_1908
.LBB59_1907:
	v_bfe_u32 v8, v15, 16, 3
	v_ffbh_u32_e32 v12, v8
	v_min_u32_e32 v12, 32, v12
	v_lshrrev_b32_e32 v9, 19, v15
	v_subrev_u32_e32 v13, 28, v12
	v_and_b32_e32 v9, 15, v9
	v_lshlrev_b32_sdwa v13, v13, v15 dst_sel:DWORD dst_unused:UNUSED_PAD src0_sel:DWORD src1_sel:WORD_1
	v_bfe_u32 v10, v15, 19, 4
	v_sub_u32_e32 v12, 29, v12
	v_and_b32_e32 v13, 7, v13
	v_cmp_eq_u16_e32 vcc, 0, v9
	v_cndmask_b32_e32 v8, v8, v13, vcc
	v_cndmask_b32_e32 v9, v10, v12, vcc
	v_lshlrev_b32_e32 v10, 8, v15
	v_mov_b32_e32 v12, 0x3b800000
	v_lshlrev_b32_e32 v8, 20, v8
	v_and_b32_e32 v10, 0x80000000, v10
	v_lshl_add_u32 v9, v9, 23, v12
	v_or3_b32 v8, v10, v9, v8
.LBB59_1908:
	s_or_b64 exec, exec, s[6:7]
	s_movk_i32 s4, 0xff
	v_and_b32_sdwa v9, v11, s4 dst_sel:DWORD dst_unused:UNUSED_PAD src0_sel:WORD_1 src1_sel:DWORD
	s_movk_i32 s4, 0x7f
	v_cmp_lt_i16_e32 vcc, s4, v9
	s_mov_b64 s[4:5], 0
                                        ; implicit-def: $sgpr10
	s_and_saveexec_b64 s[6:7], vcc
	s_xor_b64 s[6:7], exec, s[6:7]
	s_cbranch_execnz .LBB59_3957
; %bb.1909:
	s_or_saveexec_b64 s[6:7], s[6:7]
	v_mov_b32_e32 v10, s10
	s_xor_b64 exec, exec, s[6:7]
	s_cbranch_execnz .LBB59_3960
.LBB59_1910:
	s_or_b64 exec, exec, s[6:7]
	s_and_saveexec_b64 s[6:7], s[4:5]
	s_cbranch_execz .LBB59_1912
.LBB59_1911:
	v_bfe_u32 v9, v11, 16, 3
	v_ffbh_u32_e32 v13, v9
	v_min_u32_e32 v13, 32, v13
	v_lshrrev_b32_e32 v10, 19, v11
	v_subrev_u32_e32 v14, 28, v13
	v_and_b32_e32 v10, 15, v10
	v_lshlrev_b32_sdwa v14, v14, v11 dst_sel:DWORD dst_unused:UNUSED_PAD src0_sel:DWORD src1_sel:WORD_1
	v_bfe_u32 v12, v11, 19, 4
	v_sub_u32_e32 v13, 29, v13
	v_and_b32_e32 v14, 7, v14
	v_cmp_eq_u16_e32 vcc, 0, v10
	v_cndmask_b32_e32 v9, v9, v14, vcc
	v_cndmask_b32_e32 v10, v12, v13, vcc
	v_lshlrev_b32_e32 v12, 8, v11
	v_mov_b32_e32 v13, 0x3b800000
	v_lshlrev_b32_e32 v9, 20, v9
	v_and_b32_e32 v12, 0x80000000, v12
	v_lshl_add_u32 v10, v10, 23, v13
	v_or3_b32 v10, v12, v10, v9
.LBB59_1912:
	s_or_b64 exec, exec, s[6:7]
	s_nop 0
	v_mfma_f32_16x16x4f32 a[0:3], v8, v10, a[0:3]
	s_movk_i32 s4, 0x7f
	v_cmp_gt_i16_sdwa s[6:7], v15, s4 src0_sel:BYTE_3 src1_sel:DWORD
	s_mov_b64 s[4:5], 0
                                        ; implicit-def: $sgpr10
	s_and_saveexec_b64 s[8:9], s[6:7]
	s_xor_b64 s[6:7], exec, s[8:9]
	s_cbranch_execnz .LBB59_3961
; %bb.1913:
	s_or_saveexec_b64 s[6:7], s[6:7]
	v_mov_b32_e32 v8, s10
	s_xor_b64 exec, exec, s[6:7]
	s_cbranch_execnz .LBB59_3964
.LBB59_1914:
	s_or_b64 exec, exec, s[6:7]
	s_and_saveexec_b64 s[6:7], s[4:5]
	s_cbranch_execz .LBB59_1916
.LBB59_1915:
	v_bfe_u32 v8, v15, 24, 3
	v_ffbh_u32_e32 v13, v8
	v_min_u32_e32 v13, 32, v13
	v_lshrrev_b32_e32 v10, 27, v15
	v_subrev_u32_e32 v14, 28, v13
	v_and_b32_e32 v10, 15, v10
	v_lshlrev_b32_sdwa v14, v14, v15 dst_sel:DWORD dst_unused:UNUSED_PAD src0_sel:DWORD src1_sel:BYTE_3
	v_bfe_u32 v12, v15, 27, 4
	v_sub_u32_e32 v13, 29, v13
	v_and_b32_e32 v14, 7, v14
	v_cmp_eq_u16_e32 vcc, 0, v10
	v_cndmask_b32_e32 v8, v8, v14, vcc
	v_cndmask_b32_e32 v10, v12, v13, vcc
	v_mov_b32_e32 v12, 0x3b800000
	v_and_b32_e32 v9, 0x80000000, v15
	v_lshlrev_b32_e32 v8, 20, v8
	v_lshl_add_u32 v10, v10, 23, v12
	v_or3_b32 v8, v9, v10, v8
.LBB59_1916:
	s_or_b64 exec, exec, s[6:7]
	s_movk_i32 s4, 0x7f
	v_cmp_gt_i16_sdwa s[6:7], v11, s4 src0_sel:BYTE_3 src1_sel:DWORD
	s_mov_b64 s[4:5], 0
                                        ; implicit-def: $sgpr10
	s_and_saveexec_b64 s[8:9], s[6:7]
	s_xor_b64 s[6:7], exec, s[8:9]
	s_cbranch_execnz .LBB59_3965
; %bb.1917:
	s_or_saveexec_b64 s[6:7], s[6:7]
	v_mov_b32_e32 v9, s10
	s_xor_b64 exec, exec, s[6:7]
	s_cbranch_execnz .LBB59_3968
.LBB59_1918:
	s_or_b64 exec, exec, s[6:7]
	s_and_saveexec_b64 s[6:7], s[4:5]
	s_cbranch_execz .LBB59_1920
.LBB59_1919:
	v_bfe_u32 v9, v11, 24, 3
	v_ffbh_u32_e32 v14, v9
	v_min_u32_e32 v14, 32, v14
	v_lshrrev_b32_e32 v12, 27, v11
	v_subrev_u32_e32 v15, 28, v14
	v_and_b32_e32 v10, 0x80000000, v11
	v_and_b32_e32 v12, 15, v12
	v_bfe_u32 v13, v11, 27, 4
	v_lshlrev_b32_sdwa v11, v15, v11 dst_sel:DWORD dst_unused:UNUSED_PAD src0_sel:DWORD src1_sel:BYTE_3
	v_sub_u32_e32 v14, 29, v14
	v_and_b32_e32 v11, 7, v11
	v_cmp_eq_u16_e32 vcc, 0, v12
	v_cndmask_b32_e32 v9, v9, v11, vcc
	v_cndmask_b32_e32 v11, v13, v14, vcc
	v_mov_b32_e32 v12, 0x3b800000
	v_lshlrev_b32_e32 v9, 20, v9
	v_lshl_add_u32 v11, v11, 23, v12
	v_or3_b32 v9, v10, v11, v9
.LBB59_1920:
	s_or_b64 exec, exec, s[6:7]
	s_nop 0
	v_mfma_f32_16x16x4f32 a[0:3], v8, v9, a[0:3]
	s_movk_i32 s4, 0x7f
	v_cmp_gt_i16_sdwa s[6:7], v4, s4 src0_sel:BYTE_0 src1_sel:DWORD
	s_mov_b64 s[4:5], 0
                                        ; implicit-def: $sgpr10
	s_and_saveexec_b64 s[8:9], s[6:7]
	s_xor_b64 s[6:7], exec, s[8:9]
	s_cbranch_execnz .LBB59_3969
; %bb.1921:
	s_or_saveexec_b64 s[6:7], s[6:7]
	v_mov_b32_e32 v8, s10
	s_xor_b64 exec, exec, s[6:7]
	s_cbranch_execnz .LBB59_3972
.LBB59_1922:
	s_or_b64 exec, exec, s[6:7]
	s_and_saveexec_b64 s[6:7], s[4:5]
	s_cbranch_execz .LBB59_1924
.LBB59_1923:
	v_and_b32_e32 v8, 7, v4
	v_ffbh_u32_e32 v10, v8
	v_min_u32_e32 v10, 32, v10
	v_lshrrev_b16_e32 v9, 3, v4
	v_subrev_u32_e32 v11, 28, v10
	v_and_b32_e32 v9, 15, v9
	v_lshlrev_b32_e32 v11, v11, v4
	v_sub_u32_e32 v10, 29, v10
	v_and_b32_e32 v11, 7, v11
	v_cmp_eq_u16_e32 vcc, 0, v9
	v_cndmask_b32_e32 v8, v8, v11, vcc
	v_cndmask_b32_e32 v9, v9, v10, vcc
	v_lshlrev_b32_e32 v10, 24, v4
	v_mov_b32_e32 v11, 0x3b800000
	v_lshlrev_b32_e32 v8, 20, v8
	v_and_b32_e32 v10, 0x80000000, v10
	v_lshl_add_u32 v9, v9, 23, v11
	v_or3_b32 v8, v10, v9, v8
.LBB59_1924:
	s_or_b64 exec, exec, s[6:7]
	s_movk_i32 s4, 0x7f
	v_cmp_gt_i16_sdwa s[6:7], v0, s4 src0_sel:BYTE_0 src1_sel:DWORD
	s_mov_b64 s[4:5], 0
                                        ; implicit-def: $sgpr10
	s_and_saveexec_b64 s[8:9], s[6:7]
	s_xor_b64 s[6:7], exec, s[8:9]
	s_cbranch_execnz .LBB59_3973
; %bb.1925:
	s_or_saveexec_b64 s[6:7], s[6:7]
	v_mov_b32_e32 v9, s10
	s_xor_b64 exec, exec, s[6:7]
	s_cbranch_execnz .LBB59_3976
.LBB59_1926:
	s_or_b64 exec, exec, s[6:7]
	s_and_saveexec_b64 s[6:7], s[4:5]
	s_cbranch_execz .LBB59_1928
.LBB59_1927:
	v_and_b32_e32 v9, 7, v0
	v_ffbh_u32_e32 v11, v9
	v_min_u32_e32 v11, 32, v11
	v_lshrrev_b16_e32 v10, 3, v0
	v_subrev_u32_e32 v12, 28, v11
	v_and_b32_e32 v10, 15, v10
	v_lshlrev_b32_e32 v12, v12, v0
	v_sub_u32_e32 v11, 29, v11
	v_and_b32_e32 v12, 7, v12
	v_cmp_eq_u16_e32 vcc, 0, v10
	v_cndmask_b32_e32 v9, v9, v12, vcc
	v_cndmask_b32_e32 v10, v10, v11, vcc
	v_lshlrev_b32_e32 v11, 24, v0
	v_mov_b32_e32 v12, 0x3b800000
	v_lshlrev_b32_e32 v9, 20, v9
	v_and_b32_e32 v11, 0x80000000, v11
	v_lshl_add_u32 v10, v10, 23, v12
	v_or3_b32 v9, v11, v10, v9
.LBB59_1928:
	s_or_b64 exec, exec, s[6:7]
	s_nop 0
	v_mfma_f32_16x16x4f32 a[0:3], v8, v9, a[0:3]
	v_lshrrev_b32_e32 v9, 8, v4
	s_movk_i32 s4, 0x7f
	v_cmp_gt_i16_sdwa s[6:7], v9, s4 src0_sel:BYTE_0 src1_sel:DWORD
	s_mov_b64 s[4:5], 0
                                        ; implicit-def: $sgpr10
	s_and_saveexec_b64 s[8:9], s[6:7]
	s_xor_b64 s[6:7], exec, s[8:9]
	s_cbranch_execnz .LBB59_3977
; %bb.1929:
	s_or_saveexec_b64 s[6:7], s[6:7]
	v_mov_b32_e32 v8, s10
	s_xor_b64 exec, exec, s[6:7]
	s_cbranch_execnz .LBB59_3980
.LBB59_1930:
	s_or_b64 exec, exec, s[6:7]
	s_and_saveexec_b64 s[6:7], s[4:5]
	s_cbranch_execz .LBB59_1932
.LBB59_1931:
	v_bfe_u32 v8, v4, 8, 3
	v_ffbh_u32_e32 v11, v8
	v_min_u32_e32 v11, 32, v11
	v_lshrrev_b16_e32 v10, 3, v9
	v_subrev_u32_e32 v12, 28, v11
	v_and_b32_e32 v10, 15, v10
	v_lshlrev_b32_e32 v9, v12, v9
	v_sub_u32_e32 v11, 29, v11
	v_and_b32_e32 v9, 7, v9
	v_cmp_eq_u16_e32 vcc, 0, v10
	v_cndmask_b32_e32 v8, v8, v9, vcc
	v_cndmask_b32_e32 v9, v10, v11, vcc
	v_lshlrev_b32_e32 v10, 16, v4
	v_mov_b32_e32 v11, 0x3b800000
	v_lshlrev_b32_e32 v8, 20, v8
	v_and_b32_e32 v10, 0x80000000, v10
	v_lshl_add_u32 v9, v9, 23, v11
	v_or3_b32 v8, v10, v9, v8
.LBB59_1932:
	s_or_b64 exec, exec, s[6:7]
	v_lshrrev_b32_e32 v9, 8, v0
	s_movk_i32 s4, 0x7f
	v_cmp_gt_i16_sdwa s[6:7], v9, s4 src0_sel:BYTE_0 src1_sel:DWORD
	s_mov_b64 s[4:5], 0
                                        ; implicit-def: $sgpr10
	s_and_saveexec_b64 s[8:9], s[6:7]
	s_xor_b64 s[6:7], exec, s[8:9]
	s_cbranch_execnz .LBB59_3981
; %bb.1933:
	s_or_saveexec_b64 s[6:7], s[6:7]
	v_mov_b32_e32 v10, s10
	s_xor_b64 exec, exec, s[6:7]
	s_cbranch_execnz .LBB59_3984
.LBB59_1934:
	s_or_b64 exec, exec, s[6:7]
	s_and_saveexec_b64 s[6:7], s[4:5]
	s_cbranch_execz .LBB59_1936
.LBB59_1935:
	v_bfe_u32 v10, v0, 8, 3
	v_ffbh_u32_e32 v12, v10
	v_min_u32_e32 v12, 32, v12
	v_lshrrev_b16_e32 v11, 3, v9
	v_subrev_u32_e32 v13, 28, v12
	v_and_b32_e32 v11, 15, v11
	v_lshlrev_b32_e32 v9, v13, v9
	v_sub_u32_e32 v12, 29, v12
	v_and_b32_e32 v9, 7, v9
	v_cmp_eq_u16_e32 vcc, 0, v11
	v_cndmask_b32_e32 v9, v10, v9, vcc
	v_cndmask_b32_e32 v10, v11, v12, vcc
	v_lshlrev_b32_e32 v11, 16, v0
	v_mov_b32_e32 v12, 0x3b800000
	v_lshlrev_b32_e32 v9, 20, v9
	v_and_b32_e32 v11, 0x80000000, v11
	v_lshl_add_u32 v10, v10, 23, v12
	v_or3_b32 v10, v11, v10, v9
.LBB59_1936:
	s_or_b64 exec, exec, s[6:7]
	s_nop 0
	v_mfma_f32_16x16x4f32 a[0:3], v8, v10, a[0:3]
	s_movk_i32 s4, 0xff
	v_and_b32_sdwa v9, v4, s4 dst_sel:DWORD dst_unused:UNUSED_PAD src0_sel:WORD_1 src1_sel:DWORD
	s_movk_i32 s4, 0x7f
	v_cmp_lt_i16_e32 vcc, s4, v9
	s_mov_b64 s[4:5], 0
                                        ; implicit-def: $sgpr10
	s_and_saveexec_b64 s[6:7], vcc
	s_xor_b64 s[6:7], exec, s[6:7]
	s_cbranch_execnz .LBB59_3985
; %bb.1937:
	s_or_saveexec_b64 s[6:7], s[6:7]
	v_mov_b32_e32 v8, s10
	s_xor_b64 exec, exec, s[6:7]
	s_cbranch_execnz .LBB59_3988
.LBB59_1938:
	s_or_b64 exec, exec, s[6:7]
	s_and_saveexec_b64 s[6:7], s[4:5]
	s_cbranch_execz .LBB59_1940
.LBB59_1939:
	v_bfe_u32 v8, v4, 16, 3
	v_ffbh_u32_e32 v11, v8
	v_min_u32_e32 v11, 32, v11
	v_lshrrev_b32_e32 v9, 19, v4
	v_subrev_u32_e32 v12, 28, v11
	v_and_b32_e32 v9, 15, v9
	v_lshlrev_b32_sdwa v12, v12, v4 dst_sel:DWORD dst_unused:UNUSED_PAD src0_sel:DWORD src1_sel:WORD_1
	v_bfe_u32 v10, v4, 19, 4
	v_sub_u32_e32 v11, 29, v11
	v_and_b32_e32 v12, 7, v12
	v_cmp_eq_u16_e32 vcc, 0, v9
	v_cndmask_b32_e32 v8, v8, v12, vcc
	v_cndmask_b32_e32 v9, v10, v11, vcc
	v_lshlrev_b32_e32 v10, 8, v4
	v_mov_b32_e32 v11, 0x3b800000
	v_lshlrev_b32_e32 v8, 20, v8
	v_and_b32_e32 v10, 0x80000000, v10
	v_lshl_add_u32 v9, v9, 23, v11
	v_or3_b32 v8, v10, v9, v8
.LBB59_1940:
	s_or_b64 exec, exec, s[6:7]
	s_movk_i32 s4, 0xff
	v_and_b32_sdwa v9, v0, s4 dst_sel:DWORD dst_unused:UNUSED_PAD src0_sel:WORD_1 src1_sel:DWORD
	s_movk_i32 s4, 0x7f
	v_cmp_lt_i16_e32 vcc, s4, v9
	s_mov_b64 s[4:5], 0
                                        ; implicit-def: $sgpr10
	s_and_saveexec_b64 s[6:7], vcc
	s_xor_b64 s[6:7], exec, s[6:7]
	s_cbranch_execnz .LBB59_3989
; %bb.1941:
	s_or_saveexec_b64 s[6:7], s[6:7]
	v_mov_b32_e32 v10, s10
	s_xor_b64 exec, exec, s[6:7]
	s_cbranch_execnz .LBB59_3992
.LBB59_1942:
	s_or_b64 exec, exec, s[6:7]
	s_and_saveexec_b64 s[6:7], s[4:5]
	s_cbranch_execz .LBB59_1944
.LBB59_1943:
	v_bfe_u32 v9, v0, 16, 3
	v_ffbh_u32_e32 v12, v9
	v_min_u32_e32 v12, 32, v12
	v_lshrrev_b32_e32 v10, 19, v0
	v_subrev_u32_e32 v13, 28, v12
	v_and_b32_e32 v10, 15, v10
	v_lshlrev_b32_sdwa v13, v13, v0 dst_sel:DWORD dst_unused:UNUSED_PAD src0_sel:DWORD src1_sel:WORD_1
	v_bfe_u32 v11, v0, 19, 4
	v_sub_u32_e32 v12, 29, v12
	v_and_b32_e32 v13, 7, v13
	v_cmp_eq_u16_e32 vcc, 0, v10
	v_cndmask_b32_e32 v9, v9, v13, vcc
	v_cndmask_b32_e32 v10, v11, v12, vcc
	v_lshlrev_b32_e32 v11, 8, v0
	v_mov_b32_e32 v12, 0x3b800000
	v_lshlrev_b32_e32 v9, 20, v9
	v_and_b32_e32 v11, 0x80000000, v11
	v_lshl_add_u32 v10, v10, 23, v12
	v_or3_b32 v10, v11, v10, v9
.LBB59_1944:
	s_or_b64 exec, exec, s[6:7]
	s_nop 0
	v_mfma_f32_16x16x4f32 a[0:3], v8, v10, a[0:3]
	s_movk_i32 s4, 0x7f
	v_cmp_gt_i16_sdwa s[6:7], v4, s4 src0_sel:BYTE_3 src1_sel:DWORD
	s_mov_b64 s[4:5], 0
                                        ; implicit-def: $sgpr10
	s_and_saveexec_b64 s[8:9], s[6:7]
	s_xor_b64 s[6:7], exec, s[8:9]
	s_cbranch_execnz .LBB59_3993
; %bb.1945:
	s_or_saveexec_b64 s[6:7], s[6:7]
	v_mov_b32_e32 v8, s10
	s_xor_b64 exec, exec, s[6:7]
	s_cbranch_execnz .LBB59_3996
.LBB59_1946:
	s_or_b64 exec, exec, s[6:7]
	s_and_saveexec_b64 s[6:7], s[4:5]
	s_cbranch_execz .LBB59_1948
.LBB59_1947:
	v_bfe_u32 v8, v4, 24, 3
	v_ffbh_u32_e32 v12, v8
	v_min_u32_e32 v12, 32, v12
	v_lshrrev_b32_e32 v10, 27, v4
	v_subrev_u32_e32 v13, 28, v12
	v_and_b32_e32 v9, 0x80000000, v4
	v_and_b32_e32 v10, 15, v10
	v_bfe_u32 v11, v4, 27, 4
	v_lshlrev_b32_sdwa v4, v13, v4 dst_sel:DWORD dst_unused:UNUSED_PAD src0_sel:DWORD src1_sel:BYTE_3
	v_sub_u32_e32 v12, 29, v12
	v_and_b32_e32 v4, 7, v4
	v_cmp_eq_u16_e32 vcc, 0, v10
	v_cndmask_b32_e32 v4, v8, v4, vcc
	v_cndmask_b32_e32 v8, v11, v12, vcc
	v_mov_b32_e32 v10, 0x3b800000
	v_lshlrev_b32_e32 v4, 20, v4
	v_lshl_add_u32 v8, v8, 23, v10
	v_or3_b32 v8, v9, v8, v4
.LBB59_1948:
	s_or_b64 exec, exec, s[6:7]
	s_movk_i32 s4, 0x7f
	v_cmp_gt_i16_sdwa s[6:7], v0, s4 src0_sel:BYTE_3 src1_sel:DWORD
	s_mov_b64 s[4:5], 0
                                        ; implicit-def: $sgpr10
	s_and_saveexec_b64 s[8:9], s[6:7]
	s_xor_b64 s[6:7], exec, s[8:9]
	s_cbranch_execnz .LBB59_3997
; %bb.1949:
	s_or_saveexec_b64 s[6:7], s[6:7]
	v_mov_b32_e32 v4, s10
	s_xor_b64 exec, exec, s[6:7]
	s_cbranch_execnz .LBB59_4000
.LBB59_1950:
	s_or_b64 exec, exec, s[6:7]
	s_and_saveexec_b64 s[6:7], s[4:5]
	s_cbranch_execz .LBB59_1952
.LBB59_1951:
	v_bfe_u32 v4, v0, 24, 3
	v_ffbh_u32_e32 v12, v4
	v_min_u32_e32 v12, 32, v12
	v_lshrrev_b32_e32 v10, 27, v0
	v_subrev_u32_e32 v13, 28, v12
	v_and_b32_e32 v9, 0x80000000, v0
	v_and_b32_e32 v10, 15, v10
	v_bfe_u32 v11, v0, 27, 4
	v_lshlrev_b32_sdwa v0, v13, v0 dst_sel:DWORD dst_unused:UNUSED_PAD src0_sel:DWORD src1_sel:BYTE_3
	v_sub_u32_e32 v12, 29, v12
	v_and_b32_e32 v0, 7, v0
	v_cmp_eq_u16_e32 vcc, 0, v10
	v_cndmask_b32_e32 v0, v4, v0, vcc
	v_cndmask_b32_e32 v4, v11, v12, vcc
	v_mov_b32_e32 v10, 0x3b800000
	v_lshlrev_b32_e32 v0, 20, v0
	v_lshl_add_u32 v4, v4, 23, v10
	v_or3_b32 v4, v9, v4, v0
.LBB59_1952:
	s_or_b64 exec, exec, s[6:7]
	s_nop 0
	v_mfma_f32_16x16x4f32 a[0:3], v8, v4, a[0:3]
	s_movk_i32 s4, 0x7f
	v_cmp_gt_i16_sdwa s[6:7], v5, s4 src0_sel:BYTE_0 src1_sel:DWORD
	s_mov_b64 s[4:5], 0
                                        ; implicit-def: $sgpr10
	s_and_saveexec_b64 s[8:9], s[6:7]
	s_xor_b64 s[6:7], exec, s[8:9]
	s_cbranch_execnz .LBB59_4001
; %bb.1953:
	s_or_saveexec_b64 s[6:7], s[6:7]
	v_mov_b32_e32 v0, s10
	s_xor_b64 exec, exec, s[6:7]
	s_cbranch_execnz .LBB59_4004
.LBB59_1954:
	s_or_b64 exec, exec, s[6:7]
	s_and_saveexec_b64 s[6:7], s[4:5]
	s_cbranch_execz .LBB59_1956
.LBB59_1955:
	v_and_b32_e32 v0, 7, v5
	v_ffbh_u32_e32 v8, v0
	v_min_u32_e32 v8, 32, v8
	v_lshrrev_b16_e32 v4, 3, v5
	v_subrev_u32_e32 v9, 28, v8
	v_and_b32_e32 v4, 15, v4
	v_lshlrev_b32_e32 v9, v9, v5
	v_sub_u32_e32 v8, 29, v8
	v_and_b32_e32 v9, 7, v9
	v_cmp_eq_u16_e32 vcc, 0, v4
	v_cndmask_b32_e32 v0, v0, v9, vcc
	v_cndmask_b32_e32 v4, v4, v8, vcc
	v_lshlrev_b32_e32 v8, 24, v5
	v_mov_b32_e32 v9, 0x3b800000
	v_lshlrev_b32_e32 v0, 20, v0
	v_and_b32_e32 v8, 0x80000000, v8
	v_lshl_add_u32 v4, v4, 23, v9
	v_or3_b32 v0, v8, v4, v0
.LBB59_1956:
	s_or_b64 exec, exec, s[6:7]
	s_movk_i32 s4, 0x7f
	v_cmp_gt_i16_sdwa s[6:7], v1, s4 src0_sel:BYTE_0 src1_sel:DWORD
	s_mov_b64 s[4:5], 0
                                        ; implicit-def: $sgpr10
	s_and_saveexec_b64 s[8:9], s[6:7]
	s_xor_b64 s[6:7], exec, s[8:9]
	s_cbranch_execnz .LBB59_4005
; %bb.1957:
	s_or_saveexec_b64 s[6:7], s[6:7]
	v_mov_b32_e32 v4, s10
	s_xor_b64 exec, exec, s[6:7]
	s_cbranch_execnz .LBB59_4008
.LBB59_1958:
	s_or_b64 exec, exec, s[6:7]
	s_and_saveexec_b64 s[6:7], s[4:5]
	s_cbranch_execz .LBB59_1960
.LBB59_1959:
	v_and_b32_e32 v4, 7, v1
	v_ffbh_u32_e32 v9, v4
	v_min_u32_e32 v9, 32, v9
	v_lshrrev_b16_e32 v8, 3, v1
	v_subrev_u32_e32 v10, 28, v9
	v_and_b32_e32 v8, 15, v8
	v_lshlrev_b32_e32 v10, v10, v1
	v_sub_u32_e32 v9, 29, v9
	v_and_b32_e32 v10, 7, v10
	v_cmp_eq_u16_e32 vcc, 0, v8
	v_cndmask_b32_e32 v4, v4, v10, vcc
	v_cndmask_b32_e32 v8, v8, v9, vcc
	v_lshlrev_b32_e32 v9, 24, v1
	v_mov_b32_e32 v10, 0x3b800000
	v_lshlrev_b32_e32 v4, 20, v4
	v_and_b32_e32 v9, 0x80000000, v9
	v_lshl_add_u32 v8, v8, 23, v10
	v_or3_b32 v4, v9, v8, v4
.LBB59_1960:
	s_or_b64 exec, exec, s[6:7]
	s_nop 0
	v_mfma_f32_16x16x4f32 a[0:3], v0, v4, a[0:3]
	v_lshrrev_b32_e32 v4, 8, v5
	s_movk_i32 s4, 0x7f
	v_cmp_gt_i16_sdwa s[6:7], v4, s4 src0_sel:BYTE_0 src1_sel:DWORD
	s_mov_b64 s[4:5], 0
                                        ; implicit-def: $sgpr10
	s_and_saveexec_b64 s[8:9], s[6:7]
	s_xor_b64 s[6:7], exec, s[8:9]
	s_cbranch_execnz .LBB59_4009
; %bb.1961:
	s_or_saveexec_b64 s[6:7], s[6:7]
	v_mov_b32_e32 v0, s10
	s_xor_b64 exec, exec, s[6:7]
	s_cbranch_execnz .LBB59_4012
.LBB59_1962:
	s_or_b64 exec, exec, s[6:7]
	s_and_saveexec_b64 s[6:7], s[4:5]
	s_cbranch_execz .LBB59_1964
.LBB59_1963:
	v_bfe_u32 v0, v5, 8, 3
	v_ffbh_u32_e32 v9, v0
	v_min_u32_e32 v9, 32, v9
	v_lshrrev_b16_e32 v8, 3, v4
	v_subrev_u32_e32 v10, 28, v9
	v_and_b32_e32 v8, 15, v8
	v_lshlrev_b32_e32 v4, v10, v4
	v_sub_u32_e32 v9, 29, v9
	v_and_b32_e32 v4, 7, v4
	v_cmp_eq_u16_e32 vcc, 0, v8
	v_cndmask_b32_e32 v0, v0, v4, vcc
	v_cndmask_b32_e32 v4, v8, v9, vcc
	v_lshlrev_b32_e32 v8, 16, v5
	v_mov_b32_e32 v9, 0x3b800000
	v_lshlrev_b32_e32 v0, 20, v0
	v_and_b32_e32 v8, 0x80000000, v8
	v_lshl_add_u32 v4, v4, 23, v9
	v_or3_b32 v0, v8, v4, v0
.LBB59_1964:
	s_or_b64 exec, exec, s[6:7]
	v_lshrrev_b32_e32 v4, 8, v1
	s_movk_i32 s4, 0x7f
	v_cmp_gt_i16_sdwa s[6:7], v4, s4 src0_sel:BYTE_0 src1_sel:DWORD
	s_mov_b64 s[4:5], 0
                                        ; implicit-def: $sgpr10
	s_and_saveexec_b64 s[8:9], s[6:7]
	s_xor_b64 s[6:7], exec, s[8:9]
	s_cbranch_execnz .LBB59_4013
; %bb.1965:
	s_or_saveexec_b64 s[6:7], s[6:7]
	v_mov_b32_e32 v8, s10
	s_xor_b64 exec, exec, s[6:7]
	s_cbranch_execnz .LBB59_4016
.LBB59_1966:
	s_or_b64 exec, exec, s[6:7]
	s_and_saveexec_b64 s[6:7], s[4:5]
	s_cbranch_execz .LBB59_1968
.LBB59_1967:
	v_bfe_u32 v8, v1, 8, 3
	v_ffbh_u32_e32 v10, v8
	v_min_u32_e32 v10, 32, v10
	v_lshrrev_b16_e32 v9, 3, v4
	v_subrev_u32_e32 v11, 28, v10
	v_and_b32_e32 v9, 15, v9
	v_lshlrev_b32_e32 v4, v11, v4
	v_sub_u32_e32 v10, 29, v10
	v_and_b32_e32 v4, 7, v4
	v_cmp_eq_u16_e32 vcc, 0, v9
	v_cndmask_b32_e32 v4, v8, v4, vcc
	v_cndmask_b32_e32 v8, v9, v10, vcc
	v_lshlrev_b32_e32 v9, 16, v1
	v_mov_b32_e32 v10, 0x3b800000
	v_lshlrev_b32_e32 v4, 20, v4
	v_and_b32_e32 v9, 0x80000000, v9
	v_lshl_add_u32 v8, v8, 23, v10
	v_or3_b32 v8, v9, v8, v4
.LBB59_1968:
	s_or_b64 exec, exec, s[6:7]
	s_nop 0
	v_mfma_f32_16x16x4f32 a[0:3], v0, v8, a[0:3]
	s_movk_i32 s4, 0xff
	v_and_b32_sdwa v4, v5, s4 dst_sel:DWORD dst_unused:UNUSED_PAD src0_sel:WORD_1 src1_sel:DWORD
	s_movk_i32 s4, 0x7f
	v_cmp_lt_i16_e32 vcc, s4, v4
	s_mov_b64 s[4:5], 0
                                        ; implicit-def: $sgpr10
	s_and_saveexec_b64 s[6:7], vcc
	s_xor_b64 s[6:7], exec, s[6:7]
	s_cbranch_execnz .LBB59_4017
; %bb.1969:
	s_or_saveexec_b64 s[6:7], s[6:7]
	v_mov_b32_e32 v0, s10
	s_xor_b64 exec, exec, s[6:7]
	s_cbranch_execnz .LBB59_4020
.LBB59_1970:
	s_or_b64 exec, exec, s[6:7]
	s_and_saveexec_b64 s[6:7], s[4:5]
	s_cbranch_execz .LBB59_1972
.LBB59_1971:
	v_bfe_u32 v0, v5, 16, 3
	v_ffbh_u32_e32 v9, v0
	v_min_u32_e32 v9, 32, v9
	v_lshrrev_b32_e32 v4, 19, v5
	v_subrev_u32_e32 v10, 28, v9
	v_and_b32_e32 v4, 15, v4
	v_lshlrev_b32_sdwa v10, v10, v5 dst_sel:DWORD dst_unused:UNUSED_PAD src0_sel:DWORD src1_sel:WORD_1
	v_bfe_u32 v8, v5, 19, 4
	v_sub_u32_e32 v9, 29, v9
	v_and_b32_e32 v10, 7, v10
	v_cmp_eq_u16_e32 vcc, 0, v4
	v_cndmask_b32_e32 v0, v0, v10, vcc
	v_cndmask_b32_e32 v4, v8, v9, vcc
	v_lshlrev_b32_e32 v8, 8, v5
	v_mov_b32_e32 v9, 0x3b800000
	v_lshlrev_b32_e32 v0, 20, v0
	v_and_b32_e32 v8, 0x80000000, v8
	v_lshl_add_u32 v4, v4, 23, v9
	v_or3_b32 v0, v8, v4, v0
.LBB59_1972:
	s_or_b64 exec, exec, s[6:7]
	s_movk_i32 s4, 0xff
	v_and_b32_sdwa v4, v1, s4 dst_sel:DWORD dst_unused:UNUSED_PAD src0_sel:WORD_1 src1_sel:DWORD
	s_movk_i32 s4, 0x7f
	v_cmp_lt_i16_e32 vcc, s4, v4
	s_mov_b64 s[4:5], 0
                                        ; implicit-def: $sgpr10
	s_and_saveexec_b64 s[6:7], vcc
	s_xor_b64 s[6:7], exec, s[6:7]
	s_cbranch_execnz .LBB59_4021
; %bb.1973:
	s_or_saveexec_b64 s[6:7], s[6:7]
	v_mov_b32_e32 v8, s10
	s_xor_b64 exec, exec, s[6:7]
	s_cbranch_execnz .LBB59_4024
.LBB59_1974:
	s_or_b64 exec, exec, s[6:7]
	s_and_saveexec_b64 s[6:7], s[4:5]
	s_cbranch_execz .LBB59_1976
.LBB59_1975:
	v_bfe_u32 v4, v1, 16, 3
	v_ffbh_u32_e32 v10, v4
	v_min_u32_e32 v10, 32, v10
	v_lshrrev_b32_e32 v8, 19, v1
	v_subrev_u32_e32 v11, 28, v10
	v_and_b32_e32 v8, 15, v8
	v_lshlrev_b32_sdwa v11, v11, v1 dst_sel:DWORD dst_unused:UNUSED_PAD src0_sel:DWORD src1_sel:WORD_1
	v_bfe_u32 v9, v1, 19, 4
	v_sub_u32_e32 v10, 29, v10
	v_and_b32_e32 v11, 7, v11
	v_cmp_eq_u16_e32 vcc, 0, v8
	v_cndmask_b32_e32 v4, v4, v11, vcc
	v_cndmask_b32_e32 v8, v9, v10, vcc
	v_lshlrev_b32_e32 v9, 8, v1
	v_mov_b32_e32 v10, 0x3b800000
	v_lshlrev_b32_e32 v4, 20, v4
	v_and_b32_e32 v9, 0x80000000, v9
	v_lshl_add_u32 v8, v8, 23, v10
	v_or3_b32 v8, v9, v8, v4
.LBB59_1976:
	s_or_b64 exec, exec, s[6:7]
	s_nop 0
	v_mfma_f32_16x16x4f32 a[0:3], v0, v8, a[0:3]
	s_movk_i32 s4, 0x7f
	v_cmp_gt_i16_sdwa s[6:7], v5, s4 src0_sel:BYTE_3 src1_sel:DWORD
	s_mov_b64 s[4:5], 0
                                        ; implicit-def: $sgpr10
	s_and_saveexec_b64 s[8:9], s[6:7]
	s_xor_b64 s[6:7], exec, s[8:9]
	s_cbranch_execnz .LBB59_4025
; %bb.1977:
	s_or_saveexec_b64 s[6:7], s[6:7]
	v_mov_b32_e32 v0, s10
	s_xor_b64 exec, exec, s[6:7]
	s_cbranch_execnz .LBB59_4028
.LBB59_1978:
	s_or_b64 exec, exec, s[6:7]
	s_and_saveexec_b64 s[6:7], s[4:5]
	s_cbranch_execz .LBB59_1980
.LBB59_1979:
	v_bfe_u32 v0, v5, 24, 3
	v_ffbh_u32_e32 v10, v0
	v_min_u32_e32 v10, 32, v10
	v_lshrrev_b32_e32 v8, 27, v5
	v_subrev_u32_e32 v11, 28, v10
	v_and_b32_e32 v4, 0x80000000, v5
	v_and_b32_e32 v8, 15, v8
	v_bfe_u32 v9, v5, 27, 4
	v_lshlrev_b32_sdwa v5, v11, v5 dst_sel:DWORD dst_unused:UNUSED_PAD src0_sel:DWORD src1_sel:BYTE_3
	v_sub_u32_e32 v10, 29, v10
	v_and_b32_e32 v5, 7, v5
	v_cmp_eq_u16_e32 vcc, 0, v8
	v_cndmask_b32_e32 v0, v0, v5, vcc
	v_cndmask_b32_e32 v5, v9, v10, vcc
	v_mov_b32_e32 v8, 0x3b800000
	v_lshlrev_b32_e32 v0, 20, v0
	v_lshl_add_u32 v5, v5, 23, v8
	v_or3_b32 v0, v4, v5, v0
.LBB59_1980:
	s_or_b64 exec, exec, s[6:7]
	s_movk_i32 s4, 0x7f
	v_cmp_gt_i16_sdwa s[6:7], v1, s4 src0_sel:BYTE_3 src1_sel:DWORD
	s_mov_b64 s[4:5], 0
                                        ; implicit-def: $sgpr10
	s_and_saveexec_b64 s[8:9], s[6:7]
	s_xor_b64 s[6:7], exec, s[8:9]
	s_cbranch_execnz .LBB59_4029
; %bb.1981:
	s_or_saveexec_b64 s[6:7], s[6:7]
	v_mov_b32_e32 v4, s10
	s_xor_b64 exec, exec, s[6:7]
	s_cbranch_execnz .LBB59_4032
.LBB59_1982:
	s_or_b64 exec, exec, s[6:7]
	s_and_saveexec_b64 s[6:7], s[4:5]
	s_cbranch_execz .LBB59_1984
.LBB59_1983:
	v_bfe_u32 v4, v1, 24, 3
	v_ffbh_u32_e32 v10, v4
	v_min_u32_e32 v10, 32, v10
	v_lshrrev_b32_e32 v8, 27, v1
	v_subrev_u32_e32 v11, 28, v10
	v_and_b32_e32 v5, 0x80000000, v1
	v_and_b32_e32 v8, 15, v8
	v_bfe_u32 v9, v1, 27, 4
	v_lshlrev_b32_sdwa v1, v11, v1 dst_sel:DWORD dst_unused:UNUSED_PAD src0_sel:DWORD src1_sel:BYTE_3
	v_sub_u32_e32 v10, 29, v10
	v_and_b32_e32 v1, 7, v1
	v_cmp_eq_u16_e32 vcc, 0, v8
	v_cndmask_b32_e32 v1, v4, v1, vcc
	v_cndmask_b32_e32 v4, v9, v10, vcc
	v_mov_b32_e32 v8, 0x3b800000
	v_lshlrev_b32_e32 v1, 20, v1
	v_lshl_add_u32 v4, v4, 23, v8
	v_or3_b32 v4, v5, v4, v1
.LBB59_1984:
	s_or_b64 exec, exec, s[6:7]
	s_nop 0
	v_mfma_f32_16x16x4f32 a[0:3], v0, v4, a[0:3]
	s_movk_i32 s4, 0x7f
	v_cmp_gt_i16_sdwa s[6:7], v6, s4 src0_sel:BYTE_0 src1_sel:DWORD
	s_mov_b64 s[4:5], 0
                                        ; implicit-def: $sgpr10
	s_and_saveexec_b64 s[8:9], s[6:7]
	s_xor_b64 s[6:7], exec, s[8:9]
	s_cbranch_execnz .LBB59_4033
; %bb.1985:
	s_or_saveexec_b64 s[6:7], s[6:7]
	v_mov_b32_e32 v0, s10
	s_xor_b64 exec, exec, s[6:7]
	s_cbranch_execnz .LBB59_4036
.LBB59_1986:
	s_or_b64 exec, exec, s[6:7]
	s_and_saveexec_b64 s[6:7], s[4:5]
	s_cbranch_execz .LBB59_1988
.LBB59_1987:
	v_and_b32_e32 v0, 7, v6
	v_ffbh_u32_e32 v4, v0
	v_min_u32_e32 v4, 32, v4
	v_lshrrev_b16_e32 v1, 3, v6
	v_subrev_u32_e32 v5, 28, v4
	v_and_b32_e32 v1, 15, v1
	v_lshlrev_b32_e32 v5, v5, v6
	v_sub_u32_e32 v4, 29, v4
	v_and_b32_e32 v5, 7, v5
	v_cmp_eq_u16_e32 vcc, 0, v1
	v_cndmask_b32_e32 v0, v0, v5, vcc
	v_cndmask_b32_e32 v1, v1, v4, vcc
	v_lshlrev_b32_e32 v4, 24, v6
	v_mov_b32_e32 v5, 0x3b800000
	v_lshlrev_b32_e32 v0, 20, v0
	v_and_b32_e32 v4, 0x80000000, v4
	v_lshl_add_u32 v1, v1, 23, v5
	v_or3_b32 v0, v4, v1, v0
.LBB59_1988:
	s_or_b64 exec, exec, s[6:7]
	s_movk_i32 s4, 0x7f
	v_cmp_gt_i16_sdwa s[6:7], v2, s4 src0_sel:BYTE_0 src1_sel:DWORD
	s_mov_b64 s[4:5], 0
                                        ; implicit-def: $sgpr10
	s_and_saveexec_b64 s[8:9], s[6:7]
	s_xor_b64 s[6:7], exec, s[8:9]
	s_cbranch_execnz .LBB59_4037
; %bb.1989:
	s_or_saveexec_b64 s[6:7], s[6:7]
	v_mov_b32_e32 v1, s10
	s_xor_b64 exec, exec, s[6:7]
	s_cbranch_execnz .LBB59_4040
.LBB59_1990:
	s_or_b64 exec, exec, s[6:7]
	s_and_saveexec_b64 s[6:7], s[4:5]
	s_cbranch_execz .LBB59_1992
.LBB59_1991:
	v_and_b32_e32 v1, 7, v2
	v_ffbh_u32_e32 v5, v1
	v_min_u32_e32 v5, 32, v5
	v_lshrrev_b16_e32 v4, 3, v2
	v_subrev_u32_e32 v8, 28, v5
	v_and_b32_e32 v4, 15, v4
	v_lshlrev_b32_e32 v8, v8, v2
	v_sub_u32_e32 v5, 29, v5
	v_and_b32_e32 v8, 7, v8
	v_cmp_eq_u16_e32 vcc, 0, v4
	v_cndmask_b32_e32 v1, v1, v8, vcc
	v_cndmask_b32_e32 v4, v4, v5, vcc
	v_lshlrev_b32_e32 v5, 24, v2
	v_mov_b32_e32 v8, 0x3b800000
	v_lshlrev_b32_e32 v1, 20, v1
	v_and_b32_e32 v5, 0x80000000, v5
	v_lshl_add_u32 v4, v4, 23, v8
	v_or3_b32 v1, v5, v4, v1
.LBB59_1992:
	s_or_b64 exec, exec, s[6:7]
	s_nop 0
	v_mfma_f32_16x16x4f32 a[0:3], v0, v1, a[0:3]
	v_lshrrev_b32_e32 v1, 8, v6
	s_movk_i32 s4, 0x7f
	v_cmp_gt_i16_sdwa s[6:7], v1, s4 src0_sel:BYTE_0 src1_sel:DWORD
	s_mov_b64 s[4:5], 0
                                        ; implicit-def: $sgpr10
	s_and_saveexec_b64 s[8:9], s[6:7]
	s_xor_b64 s[6:7], exec, s[8:9]
	s_cbranch_execnz .LBB59_4041
; %bb.1993:
	s_or_saveexec_b64 s[6:7], s[6:7]
	v_mov_b32_e32 v0, s10
	s_xor_b64 exec, exec, s[6:7]
	s_cbranch_execnz .LBB59_4044
.LBB59_1994:
	s_or_b64 exec, exec, s[6:7]
	s_and_saveexec_b64 s[6:7], s[4:5]
	s_cbranch_execz .LBB59_1996
.LBB59_1995:
	v_bfe_u32 v0, v6, 8, 3
	v_ffbh_u32_e32 v5, v0
	v_min_u32_e32 v5, 32, v5
	v_lshrrev_b16_e32 v4, 3, v1
	v_subrev_u32_e32 v8, 28, v5
	v_and_b32_e32 v4, 15, v4
	v_lshlrev_b32_e32 v1, v8, v1
	v_sub_u32_e32 v5, 29, v5
	v_and_b32_e32 v1, 7, v1
	v_cmp_eq_u16_e32 vcc, 0, v4
	v_cndmask_b32_e32 v0, v0, v1, vcc
	v_cndmask_b32_e32 v1, v4, v5, vcc
	v_lshlrev_b32_e32 v4, 16, v6
	v_mov_b32_e32 v5, 0x3b800000
	v_lshlrev_b32_e32 v0, 20, v0
	v_and_b32_e32 v4, 0x80000000, v4
	v_lshl_add_u32 v1, v1, 23, v5
	v_or3_b32 v0, v4, v1, v0
.LBB59_1996:
	s_or_b64 exec, exec, s[6:7]
	v_lshrrev_b32_e32 v1, 8, v2
	s_movk_i32 s4, 0x7f
	v_cmp_gt_i16_sdwa s[6:7], v1, s4 src0_sel:BYTE_0 src1_sel:DWORD
	s_mov_b64 s[4:5], 0
                                        ; implicit-def: $sgpr10
	s_and_saveexec_b64 s[8:9], s[6:7]
	s_xor_b64 s[6:7], exec, s[8:9]
	s_cbranch_execnz .LBB59_4045
; %bb.1997:
	s_or_saveexec_b64 s[6:7], s[6:7]
	v_mov_b32_e32 v4, s10
	s_xor_b64 exec, exec, s[6:7]
	s_cbranch_execnz .LBB59_4048
.LBB59_1998:
	s_or_b64 exec, exec, s[6:7]
	s_and_saveexec_b64 s[6:7], s[4:5]
	s_cbranch_execz .LBB59_2000
.LBB59_1999:
	v_bfe_u32 v4, v2, 8, 3
	v_ffbh_u32_e32 v8, v4
	v_min_u32_e32 v8, 32, v8
	v_lshrrev_b16_e32 v5, 3, v1
	v_subrev_u32_e32 v9, 28, v8
	v_and_b32_e32 v5, 15, v5
	v_lshlrev_b32_e32 v1, v9, v1
	v_sub_u32_e32 v8, 29, v8
	v_and_b32_e32 v1, 7, v1
	v_cmp_eq_u16_e32 vcc, 0, v5
	v_cndmask_b32_e32 v1, v4, v1, vcc
	v_cndmask_b32_e32 v4, v5, v8, vcc
	v_lshlrev_b32_e32 v5, 16, v2
	v_mov_b32_e32 v8, 0x3b800000
	v_lshlrev_b32_e32 v1, 20, v1
	v_and_b32_e32 v5, 0x80000000, v5
	v_lshl_add_u32 v4, v4, 23, v8
	v_or3_b32 v4, v5, v4, v1
.LBB59_2000:
	s_or_b64 exec, exec, s[6:7]
	s_nop 0
	v_mfma_f32_16x16x4f32 a[0:3], v0, v4, a[0:3]
	s_movk_i32 s4, 0xff
	v_and_b32_sdwa v1, v6, s4 dst_sel:DWORD dst_unused:UNUSED_PAD src0_sel:WORD_1 src1_sel:DWORD
	s_movk_i32 s4, 0x7f
	v_cmp_lt_i16_e32 vcc, s4, v1
	s_mov_b64 s[4:5], 0
                                        ; implicit-def: $sgpr10
	s_and_saveexec_b64 s[6:7], vcc
	s_xor_b64 s[6:7], exec, s[6:7]
	s_cbranch_execnz .LBB59_4049
; %bb.2001:
	s_or_saveexec_b64 s[6:7], s[6:7]
	v_mov_b32_e32 v0, s10
	s_xor_b64 exec, exec, s[6:7]
	s_cbranch_execnz .LBB59_4052
.LBB59_2002:
	s_or_b64 exec, exec, s[6:7]
	s_and_saveexec_b64 s[6:7], s[4:5]
	s_cbranch_execz .LBB59_2004
.LBB59_2003:
	v_bfe_u32 v0, v6, 16, 3
	v_ffbh_u32_e32 v5, v0
	v_min_u32_e32 v5, 32, v5
	v_lshrrev_b32_e32 v1, 19, v6
	v_subrev_u32_e32 v8, 28, v5
	v_and_b32_e32 v1, 15, v1
	v_lshlrev_b32_sdwa v8, v8, v6 dst_sel:DWORD dst_unused:UNUSED_PAD src0_sel:DWORD src1_sel:WORD_1
	v_bfe_u32 v4, v6, 19, 4
	v_sub_u32_e32 v5, 29, v5
	v_and_b32_e32 v8, 7, v8
	v_cmp_eq_u16_e32 vcc, 0, v1
	v_cndmask_b32_e32 v0, v0, v8, vcc
	v_cndmask_b32_e32 v1, v4, v5, vcc
	v_lshlrev_b32_e32 v4, 8, v6
	v_mov_b32_e32 v5, 0x3b800000
	v_lshlrev_b32_e32 v0, 20, v0
	v_and_b32_e32 v4, 0x80000000, v4
	v_lshl_add_u32 v1, v1, 23, v5
	v_or3_b32 v0, v4, v1, v0
.LBB59_2004:
	s_or_b64 exec, exec, s[6:7]
	s_movk_i32 s4, 0xff
	v_and_b32_sdwa v1, v2, s4 dst_sel:DWORD dst_unused:UNUSED_PAD src0_sel:WORD_1 src1_sel:DWORD
	s_movk_i32 s4, 0x7f
	v_cmp_lt_i16_e32 vcc, s4, v1
	s_mov_b64 s[4:5], 0
                                        ; implicit-def: $sgpr10
	s_and_saveexec_b64 s[6:7], vcc
	s_xor_b64 s[6:7], exec, s[6:7]
	s_cbranch_execnz .LBB59_4053
; %bb.2005:
	s_or_saveexec_b64 s[6:7], s[6:7]
	v_mov_b32_e32 v4, s10
	s_xor_b64 exec, exec, s[6:7]
	s_cbranch_execnz .LBB59_4056
.LBB59_2006:
	s_or_b64 exec, exec, s[6:7]
	s_and_saveexec_b64 s[6:7], s[4:5]
	s_cbranch_execz .LBB59_2008
.LBB59_2007:
	v_bfe_u32 v1, v2, 16, 3
	v_ffbh_u32_e32 v8, v1
	v_min_u32_e32 v8, 32, v8
	v_lshrrev_b32_e32 v4, 19, v2
	v_subrev_u32_e32 v9, 28, v8
	v_and_b32_e32 v4, 15, v4
	v_lshlrev_b32_sdwa v9, v9, v2 dst_sel:DWORD dst_unused:UNUSED_PAD src0_sel:DWORD src1_sel:WORD_1
	v_bfe_u32 v5, v2, 19, 4
	v_sub_u32_e32 v8, 29, v8
	v_and_b32_e32 v9, 7, v9
	v_cmp_eq_u16_e32 vcc, 0, v4
	v_cndmask_b32_e32 v1, v1, v9, vcc
	v_cndmask_b32_e32 v4, v5, v8, vcc
	v_lshlrev_b32_e32 v5, 8, v2
	v_mov_b32_e32 v8, 0x3b800000
	v_lshlrev_b32_e32 v1, 20, v1
	v_and_b32_e32 v5, 0x80000000, v5
	v_lshl_add_u32 v4, v4, 23, v8
	v_or3_b32 v4, v5, v4, v1
.LBB59_2008:
	s_or_b64 exec, exec, s[6:7]
	s_nop 0
	v_mfma_f32_16x16x4f32 a[0:3], v0, v4, a[0:3]
	s_movk_i32 s4, 0x7f
	v_cmp_gt_i16_sdwa s[6:7], v6, s4 src0_sel:BYTE_3 src1_sel:DWORD
	s_mov_b64 s[4:5], 0
                                        ; implicit-def: $sgpr10
	s_and_saveexec_b64 s[8:9], s[6:7]
	s_xor_b64 s[6:7], exec, s[8:9]
	s_cbranch_execnz .LBB59_4057
; %bb.2009:
	s_or_saveexec_b64 s[6:7], s[6:7]
	v_mov_b32_e32 v0, s10
	s_xor_b64 exec, exec, s[6:7]
	s_cbranch_execnz .LBB59_4060
.LBB59_2010:
	s_or_b64 exec, exec, s[6:7]
	s_and_saveexec_b64 s[6:7], s[4:5]
	s_cbranch_execz .LBB59_2012
.LBB59_2011:
	v_bfe_u32 v0, v6, 24, 3
	v_ffbh_u32_e32 v8, v0
	v_min_u32_e32 v8, 32, v8
	v_lshrrev_b32_e32 v4, 27, v6
	v_subrev_u32_e32 v9, 28, v8
	v_and_b32_e32 v1, 0x80000000, v6
	v_and_b32_e32 v4, 15, v4
	v_bfe_u32 v5, v6, 27, 4
	v_lshlrev_b32_sdwa v6, v9, v6 dst_sel:DWORD dst_unused:UNUSED_PAD src0_sel:DWORD src1_sel:BYTE_3
	v_sub_u32_e32 v8, 29, v8
	v_and_b32_e32 v6, 7, v6
	v_cmp_eq_u16_e32 vcc, 0, v4
	v_cndmask_b32_e32 v0, v0, v6, vcc
	v_cndmask_b32_e32 v4, v5, v8, vcc
	v_mov_b32_e32 v5, 0x3b800000
	v_lshlrev_b32_e32 v0, 20, v0
	v_lshl_add_u32 v4, v4, 23, v5
	v_or3_b32 v0, v1, v4, v0
.LBB59_2012:
	s_or_b64 exec, exec, s[6:7]
	s_movk_i32 s4, 0x7f
	v_cmp_gt_i16_sdwa s[6:7], v2, s4 src0_sel:BYTE_3 src1_sel:DWORD
	s_mov_b64 s[4:5], 0
                                        ; implicit-def: $sgpr10
	s_and_saveexec_b64 s[8:9], s[6:7]
	s_xor_b64 s[6:7], exec, s[8:9]
	s_cbranch_execnz .LBB59_4061
; %bb.2013:
	s_or_saveexec_b64 s[6:7], s[6:7]
	v_mov_b32_e32 v1, s10
	s_xor_b64 exec, exec, s[6:7]
	s_cbranch_execnz .LBB59_4064
.LBB59_2014:
	s_or_b64 exec, exec, s[6:7]
	s_and_saveexec_b64 s[6:7], s[4:5]
	s_cbranch_execz .LBB59_2016
.LBB59_2015:
	v_bfe_u32 v1, v2, 24, 3
	v_ffbh_u32_e32 v8, v1
	v_min_u32_e32 v8, 32, v8
	v_lshrrev_b32_e32 v5, 27, v2
	v_subrev_u32_e32 v9, 28, v8
	v_and_b32_e32 v4, 0x80000000, v2
	v_and_b32_e32 v5, 15, v5
	v_bfe_u32 v6, v2, 27, 4
	v_lshlrev_b32_sdwa v2, v9, v2 dst_sel:DWORD dst_unused:UNUSED_PAD src0_sel:DWORD src1_sel:BYTE_3
	v_sub_u32_e32 v8, 29, v8
	v_and_b32_e32 v2, 7, v2
	v_cmp_eq_u16_e32 vcc, 0, v5
	v_cndmask_b32_e32 v1, v1, v2, vcc
	v_cndmask_b32_e32 v2, v6, v8, vcc
	v_mov_b32_e32 v5, 0x3b800000
	v_lshlrev_b32_e32 v1, 20, v1
	v_lshl_add_u32 v2, v2, 23, v5
	v_or3_b32 v1, v4, v2, v1
.LBB59_2016:
	s_or_b64 exec, exec, s[6:7]
	s_nop 0
	v_mfma_f32_16x16x4f32 a[0:3], v0, v1, a[0:3]
	s_movk_i32 s4, 0x7f
	v_cmp_gt_i16_sdwa s[6:7], v7, s4 src0_sel:BYTE_0 src1_sel:DWORD
	s_mov_b64 s[4:5], 0
                                        ; implicit-def: $sgpr10
	s_and_saveexec_b64 s[8:9], s[6:7]
	s_xor_b64 s[6:7], exec, s[8:9]
	s_cbranch_execnz .LBB59_4065
; %bb.2017:
	s_or_saveexec_b64 s[6:7], s[6:7]
	v_mov_b32_e32 v0, s10
	s_xor_b64 exec, exec, s[6:7]
	s_cbranch_execnz .LBB59_4068
.LBB59_2018:
	s_or_b64 exec, exec, s[6:7]
	s_and_saveexec_b64 s[6:7], s[4:5]
	s_cbranch_execz .LBB59_2020
.LBB59_2019:
	v_mov_b32_e32 v0, 8
	v_and_b32_e32 v1, 7, v7
	v_lshrrev_b32_sdwa v0, v0, v7 dst_sel:BYTE_1 dst_unused:UNUSED_PAD src0_sel:DWORD src1_sel:DWORD
	v_ffbh_u32_e32 v2, v1
	v_or_b32_sdwa v0, v7, v0 dst_sel:DWORD dst_unused:UNUSED_PAD src0_sel:BYTE_0 src1_sel:DWORD
	v_min_u32_e32 v2, 32, v2
	v_lshrrev_b16_e32 v0, 3, v0
	v_subrev_u32_e32 v4, 28, v2
	v_and_b32_e32 v0, 15, v0
	v_lshlrev_b32_e32 v4, v4, v7
	v_sub_u32_e32 v2, 29, v2
	v_and_b32_e32 v4, 7, v4
	v_cmp_eq_u16_e32 vcc, 0, v0
	v_cndmask_b32_e32 v1, v1, v4, vcc
	v_cndmask_b32_e32 v0, v0, v2, vcc
	v_lshlrev_b32_e32 v2, 24, v7
	v_mov_b32_e32 v4, 0x3b800000
	v_lshlrev_b32_e32 v1, 20, v1
	v_and_b32_e32 v2, 0x80000000, v2
	v_lshl_add_u32 v0, v0, 23, v4
	v_or3_b32 v0, v2, v0, v1
.LBB59_2020:
	s_or_b64 exec, exec, s[6:7]
	s_movk_i32 s4, 0x7f
	v_cmp_gt_i16_sdwa s[6:7], v3, s4 src0_sel:BYTE_0 src1_sel:DWORD
	s_mov_b64 s[4:5], 0
                                        ; implicit-def: $sgpr10
	s_and_saveexec_b64 s[8:9], s[6:7]
	s_xor_b64 s[6:7], exec, s[8:9]
	s_cbranch_execnz .LBB59_4069
; %bb.2021:
	s_or_saveexec_b64 s[6:7], s[6:7]
	v_mov_b32_e32 v1, s10
	s_xor_b64 exec, exec, s[6:7]
	s_cbranch_execnz .LBB59_4072
.LBB59_2022:
	s_or_b64 exec, exec, s[6:7]
	s_and_saveexec_b64 s[6:7], s[4:5]
	s_cbranch_execz .LBB59_2024
.LBB59_2023:
	v_mov_b32_e32 v1, 8
	v_and_b32_e32 v2, 7, v3
	v_lshrrev_b32_sdwa v1, v1, v3 dst_sel:BYTE_1 dst_unused:UNUSED_PAD src0_sel:DWORD src1_sel:DWORD
	v_ffbh_u32_e32 v4, v2
	v_or_b32_sdwa v1, v3, v1 dst_sel:DWORD dst_unused:UNUSED_PAD src0_sel:BYTE_0 src1_sel:DWORD
	v_min_u32_e32 v4, 32, v4
	v_lshrrev_b16_e32 v1, 3, v1
	v_subrev_u32_e32 v5, 28, v4
	v_and_b32_e32 v1, 15, v1
	v_lshlrev_b32_e32 v5, v5, v3
	v_sub_u32_e32 v4, 29, v4
	v_and_b32_e32 v5, 7, v5
	v_cmp_eq_u16_e32 vcc, 0, v1
	v_cndmask_b32_e32 v2, v2, v5, vcc
	v_cndmask_b32_e32 v1, v1, v4, vcc
	v_lshlrev_b32_e32 v4, 24, v3
	v_mov_b32_e32 v5, 0x3b800000
	v_lshlrev_b32_e32 v2, 20, v2
	v_and_b32_e32 v4, 0x80000000, v4
	v_lshl_add_u32 v1, v1, 23, v5
	v_or3_b32 v1, v4, v1, v2
.LBB59_2024:
	s_or_b64 exec, exec, s[6:7]
	s_nop 0
	v_mfma_f32_16x16x4f32 a[0:3], v0, v1, a[0:3]
	v_lshrrev_b32_e32 v1, 8, v7
	s_movk_i32 s4, 0x7f
	v_cmp_gt_i16_sdwa s[6:7], v1, s4 src0_sel:BYTE_0 src1_sel:DWORD
	s_mov_b64 s[4:5], 0
                                        ; implicit-def: $sgpr10
	s_and_saveexec_b64 s[8:9], s[6:7]
	s_xor_b64 s[6:7], exec, s[8:9]
	s_cbranch_execnz .LBB59_4073
; %bb.2025:
	s_or_saveexec_b64 s[6:7], s[6:7]
	v_mov_b32_e32 v0, s10
	s_xor_b64 exec, exec, s[6:7]
	s_cbranch_execnz .LBB59_4076
.LBB59_2026:
	s_or_b64 exec, exec, s[6:7]
	s_and_saveexec_b64 s[6:7], s[4:5]
	s_cbranch_execz .LBB59_2028
.LBB59_2027:
	v_bfe_u32 v0, v7, 8, 3
	v_ffbh_u32_e32 v4, v0
	v_min_u32_e32 v4, 32, v4
	v_lshrrev_b16_e32 v2, 3, v1
	v_subrev_u32_e32 v5, 28, v4
	v_and_b32_e32 v2, 15, v2
	v_lshlrev_b32_e32 v1, v5, v1
	v_sub_u32_e32 v4, 29, v4
	v_and_b32_e32 v1, 7, v1
	v_cmp_eq_u16_e32 vcc, 0, v2
	v_cndmask_b32_e32 v0, v0, v1, vcc
	v_cndmask_b32_e32 v1, v2, v4, vcc
	v_lshlrev_b32_e32 v2, 16, v7
	v_mov_b32_e32 v4, 0x3b800000
	v_lshlrev_b32_e32 v0, 20, v0
	v_and_b32_e32 v2, 0x80000000, v2
	v_lshl_add_u32 v1, v1, 23, v4
	v_or3_b32 v0, v2, v1, v0
.LBB59_2028:
	s_or_b64 exec, exec, s[6:7]
	v_lshrrev_b32_e32 v1, 8, v3
	s_movk_i32 s4, 0x7f
	v_cmp_gt_i16_sdwa s[6:7], v1, s4 src0_sel:BYTE_0 src1_sel:DWORD
	s_mov_b64 s[4:5], 0
                                        ; implicit-def: $sgpr10
	s_and_saveexec_b64 s[8:9], s[6:7]
	s_xor_b64 s[6:7], exec, s[8:9]
	s_cbranch_execnz .LBB59_4077
; %bb.2029:
	s_or_saveexec_b64 s[6:7], s[6:7]
	v_mov_b32_e32 v2, s10
	s_xor_b64 exec, exec, s[6:7]
	s_cbranch_execnz .LBB59_4080
.LBB59_2030:
	s_or_b64 exec, exec, s[6:7]
	s_and_saveexec_b64 s[6:7], s[4:5]
	s_cbranch_execz .LBB59_2032
.LBB59_2031:
	v_bfe_u32 v2, v3, 8, 3
	v_ffbh_u32_e32 v5, v2
	v_min_u32_e32 v5, 32, v5
	v_lshrrev_b16_e32 v4, 3, v1
	v_subrev_u32_e32 v6, 28, v5
	v_and_b32_e32 v4, 15, v4
	v_lshlrev_b32_e32 v1, v6, v1
	v_sub_u32_e32 v5, 29, v5
	v_and_b32_e32 v1, 7, v1
	v_cmp_eq_u16_e32 vcc, 0, v4
	v_cndmask_b32_e32 v1, v2, v1, vcc
	v_cndmask_b32_e32 v2, v4, v5, vcc
	v_lshlrev_b32_e32 v4, 16, v3
	v_mov_b32_e32 v5, 0x3b800000
	v_lshlrev_b32_e32 v1, 20, v1
	v_and_b32_e32 v4, 0x80000000, v4
	v_lshl_add_u32 v2, v2, 23, v5
	v_or3_b32 v2, v4, v2, v1
.LBB59_2032:
	s_or_b64 exec, exec, s[6:7]
	s_nop 0
	v_mfma_f32_16x16x4f32 a[0:3], v0, v2, a[0:3]
	s_movk_i32 s4, 0xff
	v_and_b32_sdwa v1, v7, s4 dst_sel:DWORD dst_unused:UNUSED_PAD src0_sel:WORD_1 src1_sel:DWORD
	s_movk_i32 s4, 0x7f
	v_cmp_lt_i16_e32 vcc, s4, v1
	s_mov_b64 s[4:5], 0
                                        ; implicit-def: $sgpr10
	s_and_saveexec_b64 s[6:7], vcc
	s_xor_b64 s[6:7], exec, s[6:7]
	s_cbranch_execnz .LBB59_4081
; %bb.2033:
	s_or_saveexec_b64 s[6:7], s[6:7]
	v_mov_b32_e32 v0, s10
	s_xor_b64 exec, exec, s[6:7]
	s_cbranch_execnz .LBB59_4084
.LBB59_2034:
	s_or_b64 exec, exec, s[6:7]
	s_and_saveexec_b64 s[6:7], s[4:5]
	s_cbranch_execz .LBB59_2036
.LBB59_2035:
	v_bfe_u32 v0, v7, 16, 3
	v_ffbh_u32_e32 v4, v0
	v_min_u32_e32 v4, 32, v4
	v_lshrrev_b32_e32 v1, 19, v7
	v_subrev_u32_e32 v5, 28, v4
	v_and_b32_e32 v1, 15, v1
	v_lshlrev_b32_sdwa v5, v5, v7 dst_sel:DWORD dst_unused:UNUSED_PAD src0_sel:DWORD src1_sel:WORD_1
	v_bfe_u32 v2, v7, 19, 4
	v_sub_u32_e32 v4, 29, v4
	v_and_b32_e32 v5, 7, v5
	v_cmp_eq_u16_e32 vcc, 0, v1
	v_cndmask_b32_e32 v0, v0, v5, vcc
	v_cndmask_b32_e32 v1, v2, v4, vcc
	v_lshlrev_b32_e32 v2, 8, v7
	v_mov_b32_e32 v4, 0x3b800000
	v_lshlrev_b32_e32 v0, 20, v0
	v_and_b32_e32 v2, 0x80000000, v2
	v_lshl_add_u32 v1, v1, 23, v4
	v_or3_b32 v0, v2, v1, v0
.LBB59_2036:
	s_or_b64 exec, exec, s[6:7]
	s_movk_i32 s4, 0xff
	v_and_b32_sdwa v1, v3, s4 dst_sel:DWORD dst_unused:UNUSED_PAD src0_sel:WORD_1 src1_sel:DWORD
	s_movk_i32 s4, 0x7f
	v_cmp_lt_i16_e32 vcc, s4, v1
	s_mov_b64 s[4:5], 0
                                        ; implicit-def: $sgpr10
	s_and_saveexec_b64 s[6:7], vcc
	s_xor_b64 s[6:7], exec, s[6:7]
	s_cbranch_execnz .LBB59_4085
; %bb.2037:
	s_or_saveexec_b64 s[6:7], s[6:7]
	v_mov_b32_e32 v2, s10
	s_xor_b64 exec, exec, s[6:7]
	s_cbranch_execnz .LBB59_4088
.LBB59_2038:
	s_or_b64 exec, exec, s[6:7]
	s_and_saveexec_b64 s[6:7], s[4:5]
	s_cbranch_execz .LBB59_2040
.LBB59_2039:
	v_bfe_u32 v1, v3, 16, 3
	v_ffbh_u32_e32 v5, v1
	v_min_u32_e32 v5, 32, v5
	v_lshrrev_b32_e32 v2, 19, v3
	v_subrev_u32_e32 v6, 28, v5
	v_and_b32_e32 v2, 15, v2
	v_lshlrev_b32_sdwa v6, v6, v3 dst_sel:DWORD dst_unused:UNUSED_PAD src0_sel:DWORD src1_sel:WORD_1
	v_bfe_u32 v4, v3, 19, 4
	v_sub_u32_e32 v5, 29, v5
	v_and_b32_e32 v6, 7, v6
	v_cmp_eq_u16_e32 vcc, 0, v2
	v_cndmask_b32_e32 v1, v1, v6, vcc
	v_cndmask_b32_e32 v2, v4, v5, vcc
	v_lshlrev_b32_e32 v4, 8, v3
	v_mov_b32_e32 v5, 0x3b800000
	v_lshlrev_b32_e32 v1, 20, v1
	v_and_b32_e32 v4, 0x80000000, v4
	v_lshl_add_u32 v2, v2, 23, v5
	v_or3_b32 v2, v4, v2, v1
.LBB59_2040:
	s_or_b64 exec, exec, s[6:7]
	s_nop 0
	v_mfma_f32_16x16x4f32 a[0:3], v0, v2, a[0:3]
	s_movk_i32 s4, 0x7f
	v_cmp_gt_i16_sdwa s[6:7], v7, s4 src0_sel:BYTE_3 src1_sel:DWORD
	s_mov_b64 s[4:5], 0
                                        ; implicit-def: $sgpr10
	s_and_saveexec_b64 s[8:9], s[6:7]
	s_xor_b64 s[6:7], exec, s[8:9]
	s_cbranch_execnz .LBB59_4089
; %bb.2041:
	s_or_saveexec_b64 s[6:7], s[6:7]
	v_mov_b32_e32 v0, s10
	s_xor_b64 exec, exec, s[6:7]
	s_cbranch_execnz .LBB59_4092
.LBB59_2042:
	s_or_b64 exec, exec, s[6:7]
	s_and_saveexec_b64 s[6:7], s[4:5]
	s_cbranch_execz .LBB59_2044
.LBB59_2043:
	v_bfe_u32 v0, v7, 24, 3
	v_ffbh_u32_e32 v5, v0
	v_min_u32_e32 v5, 32, v5
	v_lshrrev_b32_e32 v2, 27, v7
	v_subrev_u32_e32 v6, 28, v5
	v_and_b32_e32 v2, 15, v2
	v_lshlrev_b32_sdwa v6, v6, v7 dst_sel:DWORD dst_unused:UNUSED_PAD src0_sel:DWORD src1_sel:BYTE_3
	v_bfe_u32 v4, v7, 27, 4
	v_sub_u32_e32 v5, 29, v5
	v_and_b32_e32 v6, 7, v6
	v_cmp_eq_u16_e32 vcc, 0, v2
	v_cndmask_b32_e32 v0, v0, v6, vcc
	v_cndmask_b32_e32 v2, v4, v5, vcc
	v_mov_b32_e32 v4, 0x3b800000
	v_and_b32_e32 v1, 0x80000000, v7
	v_lshlrev_b32_e32 v0, 20, v0
	v_lshl_add_u32 v2, v2, 23, v4
	v_or3_b32 v0, v1, v2, v0
.LBB59_2044:
	s_or_b64 exec, exec, s[6:7]
	s_movk_i32 s4, 0x7f
	v_cmp_gt_i16_sdwa s[6:7], v3, s4 src0_sel:BYTE_3 src1_sel:DWORD
	s_mov_b64 s[4:5], 0
                                        ; implicit-def: $sgpr10
	s_and_saveexec_b64 s[8:9], s[6:7]
	s_xor_b64 s[6:7], exec, s[8:9]
	s_cbranch_execnz .LBB59_4093
; %bb.2045:
	s_or_saveexec_b64 s[6:7], s[6:7]
	v_mov_b32_e32 v1, s10
	s_xor_b64 exec, exec, s[6:7]
	s_cbranch_execnz .LBB59_4096
.LBB59_2046:
	s_or_b64 exec, exec, s[6:7]
	s_and_saveexec_b64 s[6:7], s[4:5]
	s_cbranch_execz .LBB59_2048
.LBB59_2047:
	v_bfe_u32 v1, v3, 24, 3
	v_ffbh_u32_e32 v6, v1
	v_min_u32_e32 v6, 32, v6
	v_lshrrev_b32_e32 v4, 27, v3
	v_subrev_u32_e32 v7, 28, v6
	v_and_b32_e32 v2, 0x80000000, v3
	v_and_b32_e32 v4, 15, v4
	v_bfe_u32 v5, v3, 27, 4
	v_lshlrev_b32_sdwa v3, v7, v3 dst_sel:DWORD dst_unused:UNUSED_PAD src0_sel:DWORD src1_sel:BYTE_3
	v_sub_u32_e32 v6, 29, v6
	v_and_b32_e32 v3, 7, v3
	v_cmp_eq_u16_e32 vcc, 0, v4
	v_cndmask_b32_e32 v1, v1, v3, vcc
	v_cndmask_b32_e32 v3, v5, v6, vcc
	v_mov_b32_e32 v4, 0x3b800000
	v_lshlrev_b32_e32 v1, 20, v1
	v_lshl_add_u32 v3, v3, 23, v4
	v_or3_b32 v1, v2, v3, v1
.LBB59_2048:
	s_or_b64 exec, exec, s[6:7]
	s_nop 0
	v_mfma_f32_16x16x4f32 a[0:3], v0, v1, a[0:3]
	s_nop 7
	s_nop 2
	flat_store_dwordx4 v[16:17], a[0:3] offset:1008
	s_waitcnt vmcnt(0) lgkmcnt(0)
	s_setpc_b64 s[30:31]
.LBB59_2049:
	s_movk_i32 s4, 0x80
	v_cmp_eq_u16_sdwa s[12:13], v14, s4 src0_sel:BYTE_0 src1_sel:DWORD
	s_mov_b64 s[4:5], -1
                                        ; implicit-def: $sgpr10
	s_and_saveexec_b64 s[8:9], s[12:13]
; %bb.2050:
	s_mov_b32 s10, 0x7f800001
	s_xor_b64 s[4:5], exec, -1
; %bb.2051:
	s_or_b64 exec, exec, s[8:9]
	s_and_b64 s[4:5], s[4:5], exec
	s_or_saveexec_b64 s[6:7], s[6:7]
	v_mov_b32_e32 v20, s10
	s_xor_b64 exec, exec, s[6:7]
	s_cbranch_execz .LBB59_2
.LBB59_2052:
	v_mov_b32_e32 v20, 0
	v_cmp_ne_u16_sdwa s[8:9], v14, v20 src0_sel:BYTE_0 src1_sel:DWORD
	s_andn2_b64 s[4:5], s[4:5], exec
	s_and_b64 s[8:9], s[8:9], exec
	s_or_b64 s[4:5], s[4:5], s[8:9]
	s_or_b64 exec, exec, s[6:7]
	s_and_saveexec_b64 s[6:7], s[4:5]
	s_cbranch_execnz .LBB59_3
	s_branch .LBB59_4
.LBB59_2053:
	s_movk_i32 s4, 0x80
	v_cmp_eq_u16_sdwa s[12:13], v10, s4 src0_sel:BYTE_0 src1_sel:DWORD
	s_mov_b64 s[4:5], -1
                                        ; implicit-def: $sgpr10
	s_and_saveexec_b64 s[8:9], s[12:13]
; %bb.2054:
	s_mov_b32 s10, 0x7f800001
	s_xor_b64 s[4:5], exec, -1
; %bb.2055:
	s_or_b64 exec, exec, s[8:9]
	s_and_b64 s[4:5], s[4:5], exec
	s_or_saveexec_b64 s[6:7], s[6:7]
	v_mov_b32_e32 v21, s10
	s_xor_b64 exec, exec, s[6:7]
	s_cbranch_execz .LBB59_6
.LBB59_2056:
	v_mov_b32_e32 v21, 0
	v_cmp_ne_u16_sdwa s[8:9], v10, v21 src0_sel:BYTE_0 src1_sel:DWORD
	s_andn2_b64 s[4:5], s[4:5], exec
	s_and_b64 s[8:9], s[8:9], exec
	s_or_b64 s[4:5], s[4:5], s[8:9]
	s_or_b64 exec, exec, s[6:7]
	s_and_saveexec_b64 s[6:7], s[4:5]
	s_cbranch_execnz .LBB59_7
	s_branch .LBB59_8
.LBB59_2057:
	s_movk_i32 s4, 0x80
	v_cmp_eq_u16_sdwa s[12:13], v21, s4 src0_sel:BYTE_0 src1_sel:DWORD
	s_mov_b64 s[4:5], -1
                                        ; implicit-def: $sgpr10
	s_and_saveexec_b64 s[8:9], s[12:13]
; %bb.2058:
	s_mov_b32 s10, 0x7f800001
	s_xor_b64 s[4:5], exec, -1
; %bb.2059:
	s_or_b64 exec, exec, s[8:9]
	s_and_b64 s[4:5], s[4:5], exec
	s_or_saveexec_b64 s[6:7], s[6:7]
	v_mov_b32_e32 v20, s10
	s_xor_b64 exec, exec, s[6:7]
	s_cbranch_execz .LBB59_10
.LBB59_2060:
	v_mov_b32_e32 v20, 0
	v_cmp_ne_u16_sdwa s[8:9], v21, v20 src0_sel:BYTE_0 src1_sel:DWORD
	s_andn2_b64 s[4:5], s[4:5], exec
	s_and_b64 s[8:9], s[8:9], exec
	s_or_b64 s[4:5], s[4:5], s[8:9]
	s_or_b64 exec, exec, s[6:7]
	s_and_saveexec_b64 s[6:7], s[4:5]
	s_cbranch_execnz .LBB59_11
	s_branch .LBB59_12
.LBB59_2061:
	s_movk_i32 s4, 0x80
	v_cmp_eq_u16_sdwa s[12:13], v21, s4 src0_sel:BYTE_0 src1_sel:DWORD
	s_mov_b64 s[4:5], -1
                                        ; implicit-def: $sgpr10
	s_and_saveexec_b64 s[8:9], s[12:13]
; %bb.2062:
	s_mov_b32 s10, 0x7f800001
	s_xor_b64 s[4:5], exec, -1
; %bb.2063:
	s_or_b64 exec, exec, s[8:9]
	s_and_b64 s[4:5], s[4:5], exec
	s_or_saveexec_b64 s[6:7], s[6:7]
	v_mov_b32_e32 v22, s10
	s_xor_b64 exec, exec, s[6:7]
	s_cbranch_execz .LBB59_14
.LBB59_2064:
	v_mov_b32_e32 v22, 0
	v_cmp_ne_u16_sdwa s[8:9], v21, v22 src0_sel:BYTE_0 src1_sel:DWORD
	s_andn2_b64 s[4:5], s[4:5], exec
	s_and_b64 s[8:9], s[8:9], exec
	s_or_b64 s[4:5], s[4:5], s[8:9]
	s_or_b64 exec, exec, s[6:7]
	s_and_saveexec_b64 s[6:7], s[4:5]
	s_cbranch_execnz .LBB59_15
	s_branch .LBB59_16
.LBB59_2065:
	s_movk_i32 s4, 0x80
	v_cmp_eq_u16_e32 vcc, s4, v21
	s_mov_b64 s[4:5], -1
                                        ; implicit-def: $sgpr10
	s_and_saveexec_b64 s[8:9], vcc
; %bb.2066:
	s_mov_b32 s10, 0x7f800001
	s_xor_b64 s[4:5], exec, -1
; %bb.2067:
	s_or_b64 exec, exec, s[8:9]
	s_and_b64 s[4:5], s[4:5], exec
                                        ; implicit-def: $vgpr21
	s_or_saveexec_b64 s[6:7], s[6:7]
	v_mov_b32_e32 v20, s10
	s_xor_b64 exec, exec, s[6:7]
	s_cbranch_execz .LBB59_18
.LBB59_2068:
	v_cmp_ne_u16_e32 vcc, 0, v21
	s_andn2_b64 s[4:5], s[4:5], exec
	s_and_b64 s[8:9], vcc, exec
	v_mov_b32_e32 v20, 0
	s_or_b64 s[4:5], s[4:5], s[8:9]
	s_or_b64 exec, exec, s[6:7]
	s_and_saveexec_b64 s[6:7], s[4:5]
	s_cbranch_execnz .LBB59_19
	s_branch .LBB59_20
.LBB59_2069:
	s_movk_i32 s4, 0x80
	v_cmp_eq_u16_e32 vcc, s4, v21
	s_mov_b64 s[4:5], -1
                                        ; implicit-def: $sgpr10
	s_and_saveexec_b64 s[8:9], vcc
; %bb.2070:
	s_mov_b32 s10, 0x7f800001
	s_xor_b64 s[4:5], exec, -1
; %bb.2071:
	s_or_b64 exec, exec, s[8:9]
	s_and_b64 s[4:5], s[4:5], exec
                                        ; implicit-def: $vgpr21
	s_or_saveexec_b64 s[6:7], s[6:7]
	v_mov_b32_e32 v22, s10
	s_xor_b64 exec, exec, s[6:7]
	s_cbranch_execz .LBB59_22
.LBB59_2072:
	v_cmp_ne_u16_e32 vcc, 0, v21
	s_andn2_b64 s[4:5], s[4:5], exec
	s_and_b64 s[8:9], vcc, exec
	v_mov_b32_e32 v22, 0
	s_or_b64 s[4:5], s[4:5], s[8:9]
	s_or_b64 exec, exec, s[6:7]
	s_and_saveexec_b64 s[6:7], s[4:5]
	s_cbranch_execnz .LBB59_23
	s_branch .LBB59_24
.LBB59_2073:
	s_movk_i32 s4, 0x80
	v_cmp_eq_u16_sdwa s[12:13], v14, s4 src0_sel:BYTE_3 src1_sel:DWORD
	s_mov_b64 s[4:5], -1
                                        ; implicit-def: $sgpr10
	s_and_saveexec_b64 s[8:9], s[12:13]
; %bb.2074:
	s_mov_b32 s10, 0x7f800001
	s_xor_b64 s[4:5], exec, -1
; %bb.2075:
	s_or_b64 exec, exec, s[8:9]
	s_and_b64 s[4:5], s[4:5], exec
	s_or_saveexec_b64 s[6:7], s[6:7]
	v_mov_b32_e32 v20, s10
	s_xor_b64 exec, exec, s[6:7]
	s_cbranch_execz .LBB59_26
.LBB59_2076:
	v_mov_b32_e32 v20, 0
	v_cmp_ne_u16_sdwa s[8:9], v14, v20 src0_sel:BYTE_3 src1_sel:DWORD
	s_andn2_b64 s[4:5], s[4:5], exec
	s_and_b64 s[8:9], s[8:9], exec
	s_or_b64 s[4:5], s[4:5], s[8:9]
	s_or_b64 exec, exec, s[6:7]
	s_and_saveexec_b64 s[6:7], s[4:5]
	s_cbranch_execnz .LBB59_27
	s_branch .LBB59_28
.LBB59_2077:
	s_movk_i32 s4, 0x80
	v_cmp_eq_u16_sdwa s[12:13], v10, s4 src0_sel:BYTE_3 src1_sel:DWORD
	s_mov_b64 s[4:5], -1
                                        ; implicit-def: $sgpr10
	s_and_saveexec_b64 s[8:9], s[12:13]
; %bb.2078:
	s_mov_b32 s10, 0x7f800001
	s_xor_b64 s[4:5], exec, -1
; %bb.2079:
	s_or_b64 exec, exec, s[8:9]
	s_and_b64 s[4:5], s[4:5], exec
	s_or_saveexec_b64 s[6:7], s[6:7]
	v_mov_b32_e32 v14, s10
	s_xor_b64 exec, exec, s[6:7]
	s_cbranch_execz .LBB59_30
.LBB59_2080:
	v_mov_b32_e32 v14, 0
	v_cmp_ne_u16_sdwa s[8:9], v10, v14 src0_sel:BYTE_3 src1_sel:DWORD
	s_andn2_b64 s[4:5], s[4:5], exec
	s_and_b64 s[8:9], s[8:9], exec
	s_or_b64 s[4:5], s[4:5], s[8:9]
	s_or_b64 exec, exec, s[6:7]
	s_and_saveexec_b64 s[6:7], s[4:5]
	s_cbranch_execnz .LBB59_31
	s_branch .LBB59_32
.LBB59_2081:
	s_movk_i32 s4, 0x80
	v_cmp_eq_u16_sdwa s[12:13], v15, s4 src0_sel:BYTE_0 src1_sel:DWORD
	s_mov_b64 s[4:5], -1
                                        ; implicit-def: $sgpr10
	s_and_saveexec_b64 s[8:9], s[12:13]
; %bb.2082:
	s_mov_b32 s10, 0x7f800001
	s_xor_b64 s[4:5], exec, -1
; %bb.2083:
	s_or_b64 exec, exec, s[8:9]
	s_and_b64 s[4:5], s[4:5], exec
	s_or_saveexec_b64 s[6:7], s[6:7]
	v_mov_b32_e32 v10, s10
	s_xor_b64 exec, exec, s[6:7]
	s_cbranch_execz .LBB59_34
.LBB59_2084:
	v_mov_b32_e32 v10, 0
	v_cmp_ne_u16_sdwa s[8:9], v15, v10 src0_sel:BYTE_0 src1_sel:DWORD
	s_andn2_b64 s[4:5], s[4:5], exec
	s_and_b64 s[8:9], s[8:9], exec
	s_or_b64 s[4:5], s[4:5], s[8:9]
	s_or_b64 exec, exec, s[6:7]
	s_and_saveexec_b64 s[6:7], s[4:5]
	s_cbranch_execnz .LBB59_35
	s_branch .LBB59_36
.LBB59_2085:
	s_movk_i32 s4, 0x80
	v_cmp_eq_u16_sdwa s[12:13], v11, s4 src0_sel:BYTE_0 src1_sel:DWORD
	s_mov_b64 s[4:5], -1
                                        ; implicit-def: $sgpr10
	s_and_saveexec_b64 s[8:9], s[12:13]
; %bb.2086:
	s_mov_b32 s10, 0x7f800001
	s_xor_b64 s[4:5], exec, -1
; %bb.2087:
	s_or_b64 exec, exec, s[8:9]
	s_and_b64 s[4:5], s[4:5], exec
	s_or_saveexec_b64 s[6:7], s[6:7]
	v_mov_b32_e32 v14, s10
	s_xor_b64 exec, exec, s[6:7]
	s_cbranch_execz .LBB59_38
.LBB59_2088:
	v_mov_b32_e32 v14, 0
	v_cmp_ne_u16_sdwa s[8:9], v11, v14 src0_sel:BYTE_0 src1_sel:DWORD
	s_andn2_b64 s[4:5], s[4:5], exec
	s_and_b64 s[8:9], s[8:9], exec
	s_or_b64 s[4:5], s[4:5], s[8:9]
	s_or_b64 exec, exec, s[6:7]
	s_and_saveexec_b64 s[6:7], s[4:5]
	s_cbranch_execnz .LBB59_39
	s_branch .LBB59_40
.LBB59_2089:
	s_movk_i32 s4, 0x80
	v_cmp_eq_u16_sdwa s[12:13], v14, s4 src0_sel:BYTE_0 src1_sel:DWORD
	s_mov_b64 s[4:5], -1
                                        ; implicit-def: $sgpr10
	s_and_saveexec_b64 s[8:9], s[12:13]
; %bb.2090:
	s_mov_b32 s10, 0x7f800001
	s_xor_b64 s[4:5], exec, -1
; %bb.2091:
	s_or_b64 exec, exec, s[8:9]
	s_and_b64 s[4:5], s[4:5], exec
	s_or_saveexec_b64 s[6:7], s[6:7]
	v_mov_b32_e32 v10, s10
	s_xor_b64 exec, exec, s[6:7]
	s_cbranch_execz .LBB59_42
.LBB59_2092:
	v_mov_b32_e32 v10, 0
	v_cmp_ne_u16_sdwa s[8:9], v14, v10 src0_sel:BYTE_0 src1_sel:DWORD
	s_andn2_b64 s[4:5], s[4:5], exec
	s_and_b64 s[8:9], s[8:9], exec
	s_or_b64 s[4:5], s[4:5], s[8:9]
	s_or_b64 exec, exec, s[6:7]
	s_and_saveexec_b64 s[6:7], s[4:5]
	s_cbranch_execnz .LBB59_43
	s_branch .LBB59_44
.LBB59_2093:
	s_movk_i32 s4, 0x80
	v_cmp_eq_u16_sdwa s[12:13], v14, s4 src0_sel:BYTE_0 src1_sel:DWORD
	s_mov_b64 s[4:5], -1
                                        ; implicit-def: $sgpr10
	s_and_saveexec_b64 s[8:9], s[12:13]
; %bb.2094:
	s_mov_b32 s10, 0x7f800001
	s_xor_b64 s[4:5], exec, -1
; %bb.2095:
	s_or_b64 exec, exec, s[8:9]
	s_and_b64 s[4:5], s[4:5], exec
	s_or_saveexec_b64 s[6:7], s[6:7]
	v_mov_b32_e32 v20, s10
	s_xor_b64 exec, exec, s[6:7]
	s_cbranch_execz .LBB59_46
.LBB59_2096:
	v_mov_b32_e32 v20, 0
	v_cmp_ne_u16_sdwa s[8:9], v14, v20 src0_sel:BYTE_0 src1_sel:DWORD
	s_andn2_b64 s[4:5], s[4:5], exec
	s_and_b64 s[8:9], s[8:9], exec
	s_or_b64 s[4:5], s[4:5], s[8:9]
	s_or_b64 exec, exec, s[6:7]
	s_and_saveexec_b64 s[6:7], s[4:5]
	s_cbranch_execnz .LBB59_47
	s_branch .LBB59_48
.LBB59_2097:
	s_movk_i32 s4, 0x80
	v_cmp_eq_u16_e32 vcc, s4, v14
	s_mov_b64 s[4:5], -1
                                        ; implicit-def: $sgpr10
	s_and_saveexec_b64 s[8:9], vcc
; %bb.2098:
	s_mov_b32 s10, 0x7f800001
	s_xor_b64 s[4:5], exec, -1
; %bb.2099:
	s_or_b64 exec, exec, s[8:9]
	s_and_b64 s[4:5], s[4:5], exec
                                        ; implicit-def: $vgpr14
	s_or_saveexec_b64 s[6:7], s[6:7]
	v_mov_b32_e32 v10, s10
	s_xor_b64 exec, exec, s[6:7]
	s_cbranch_execz .LBB59_50
.LBB59_2100:
	v_cmp_ne_u16_e32 vcc, 0, v14
	s_andn2_b64 s[4:5], s[4:5], exec
	s_and_b64 s[8:9], vcc, exec
	v_mov_b32_e32 v10, 0
	s_or_b64 s[4:5], s[4:5], s[8:9]
	s_or_b64 exec, exec, s[6:7]
	s_and_saveexec_b64 s[6:7], s[4:5]
	s_cbranch_execnz .LBB59_51
	s_branch .LBB59_52
.LBB59_2101:
	s_movk_i32 s4, 0x80
	v_cmp_eq_u16_e32 vcc, s4, v14
	s_mov_b64 s[4:5], -1
                                        ; implicit-def: $sgpr10
	s_and_saveexec_b64 s[8:9], vcc
; %bb.2102:
	s_mov_b32 s10, 0x7f800001
	s_xor_b64 s[4:5], exec, -1
; %bb.2103:
	s_or_b64 exec, exec, s[8:9]
	s_and_b64 s[4:5], s[4:5], exec
                                        ; implicit-def: $vgpr14
	s_or_saveexec_b64 s[6:7], s[6:7]
	v_mov_b32_e32 v20, s10
	s_xor_b64 exec, exec, s[6:7]
	s_cbranch_execz .LBB59_54
.LBB59_2104:
	v_cmp_ne_u16_e32 vcc, 0, v14
	s_andn2_b64 s[4:5], s[4:5], exec
	s_and_b64 s[8:9], vcc, exec
	v_mov_b32_e32 v20, 0
	s_or_b64 s[4:5], s[4:5], s[8:9]
	s_or_b64 exec, exec, s[6:7]
	s_and_saveexec_b64 s[6:7], s[4:5]
	s_cbranch_execnz .LBB59_55
	s_branch .LBB59_56
.LBB59_2105:
	s_movk_i32 s4, 0x80
	v_cmp_eq_u16_sdwa s[12:13], v15, s4 src0_sel:BYTE_3 src1_sel:DWORD
	s_mov_b64 s[4:5], -1
                                        ; implicit-def: $sgpr10
	s_and_saveexec_b64 s[8:9], s[12:13]
; %bb.2106:
	s_mov_b32 s10, 0x7f800001
	s_xor_b64 s[4:5], exec, -1
; %bb.2107:
	s_or_b64 exec, exec, s[8:9]
	s_and_b64 s[4:5], s[4:5], exec
	s_or_saveexec_b64 s[6:7], s[6:7]
	v_mov_b32_e32 v10, s10
	s_xor_b64 exec, exec, s[6:7]
	s_cbranch_execz .LBB59_58
.LBB59_2108:
	v_mov_b32_e32 v10, 0
	v_cmp_ne_u16_sdwa s[8:9], v15, v10 src0_sel:BYTE_3 src1_sel:DWORD
	s_andn2_b64 s[4:5], s[4:5], exec
	s_and_b64 s[8:9], s[8:9], exec
	s_or_b64 s[4:5], s[4:5], s[8:9]
	s_or_b64 exec, exec, s[6:7]
	s_and_saveexec_b64 s[6:7], s[4:5]
	s_cbranch_execnz .LBB59_59
	s_branch .LBB59_60
.LBB59_2109:
	s_movk_i32 s4, 0x80
	v_cmp_eq_u16_sdwa s[12:13], v11, s4 src0_sel:BYTE_3 src1_sel:DWORD
	s_mov_b64 s[4:5], -1
                                        ; implicit-def: $sgpr10
	s_and_saveexec_b64 s[8:9], s[12:13]
; %bb.2110:
	s_mov_b32 s10, 0x7f800001
	s_xor_b64 s[4:5], exec, -1
; %bb.2111:
	s_or_b64 exec, exec, s[8:9]
	s_and_b64 s[4:5], s[4:5], exec
	s_or_saveexec_b64 s[6:7], s[6:7]
	v_mov_b32_e32 v14, s10
	s_xor_b64 exec, exec, s[6:7]
	s_cbranch_execz .LBB59_62
.LBB59_2112:
	v_mov_b32_e32 v14, 0
	v_cmp_ne_u16_sdwa s[8:9], v11, v14 src0_sel:BYTE_3 src1_sel:DWORD
	s_andn2_b64 s[4:5], s[4:5], exec
	s_and_b64 s[8:9], s[8:9], exec
	s_or_b64 s[4:5], s[4:5], s[8:9]
	s_or_b64 exec, exec, s[6:7]
	s_and_saveexec_b64 s[6:7], s[4:5]
	s_cbranch_execnz .LBB59_63
	s_branch .LBB59_64
.LBB59_2113:
	s_movk_i32 s4, 0x80
	v_cmp_eq_u16_sdwa s[12:13], v16, s4 src0_sel:BYTE_0 src1_sel:DWORD
	s_mov_b64 s[4:5], -1
                                        ; implicit-def: $sgpr10
	s_and_saveexec_b64 s[8:9], s[12:13]
; %bb.2114:
	s_mov_b32 s10, 0x7f800001
	s_xor_b64 s[4:5], exec, -1
; %bb.2115:
	s_or_b64 exec, exec, s[8:9]
	s_and_b64 s[4:5], s[4:5], exec
	s_or_saveexec_b64 s[6:7], s[6:7]
	v_mov_b32_e32 v10, s10
	s_xor_b64 exec, exec, s[6:7]
	s_cbranch_execz .LBB59_66
.LBB59_2116:
	v_mov_b32_e32 v10, 0
	v_cmp_ne_u16_sdwa s[8:9], v16, v10 src0_sel:BYTE_0 src1_sel:DWORD
	s_andn2_b64 s[4:5], s[4:5], exec
	s_and_b64 s[8:9], s[8:9], exec
	s_or_b64 s[4:5], s[4:5], s[8:9]
	s_or_b64 exec, exec, s[6:7]
	s_and_saveexec_b64 s[6:7], s[4:5]
	s_cbranch_execnz .LBB59_67
	s_branch .LBB59_68
.LBB59_2117:
	s_movk_i32 s4, 0x80
	v_cmp_eq_u16_sdwa s[12:13], v12, s4 src0_sel:BYTE_0 src1_sel:DWORD
	s_mov_b64 s[4:5], -1
                                        ; implicit-def: $sgpr10
	s_and_saveexec_b64 s[8:9], s[12:13]
; %bb.2118:
	s_mov_b32 s10, 0x7f800001
	s_xor_b64 s[4:5], exec, -1
; %bb.2119:
	s_or_b64 exec, exec, s[8:9]
	s_and_b64 s[4:5], s[4:5], exec
	s_or_saveexec_b64 s[6:7], s[6:7]
	v_mov_b32_e32 v11, s10
	s_xor_b64 exec, exec, s[6:7]
	s_cbranch_execz .LBB59_70
.LBB59_2120:
	v_mov_b32_e32 v11, 0
	v_cmp_ne_u16_sdwa s[8:9], v12, v11 src0_sel:BYTE_0 src1_sel:DWORD
	s_andn2_b64 s[4:5], s[4:5], exec
	s_and_b64 s[8:9], s[8:9], exec
	s_or_b64 s[4:5], s[4:5], s[8:9]
	s_or_b64 exec, exec, s[6:7]
	s_and_saveexec_b64 s[6:7], s[4:5]
	s_cbranch_execnz .LBB59_71
	s_branch .LBB59_72
.LBB59_2121:
	s_movk_i32 s4, 0x80
	v_cmp_eq_u16_sdwa s[12:13], v11, s4 src0_sel:BYTE_0 src1_sel:DWORD
	s_mov_b64 s[4:5], -1
                                        ; implicit-def: $sgpr10
	s_and_saveexec_b64 s[8:9], s[12:13]
; %bb.2122:
	s_mov_b32 s10, 0x7f800001
	s_xor_b64 s[4:5], exec, -1
; %bb.2123:
	s_or_b64 exec, exec, s[8:9]
	s_and_b64 s[4:5], s[4:5], exec
	s_or_saveexec_b64 s[6:7], s[6:7]
	v_mov_b32_e32 v10, s10
	s_xor_b64 exec, exec, s[6:7]
	s_cbranch_execz .LBB59_74
.LBB59_2124:
	v_mov_b32_e32 v10, 0
	v_cmp_ne_u16_sdwa s[8:9], v11, v10 src0_sel:BYTE_0 src1_sel:DWORD
	s_andn2_b64 s[4:5], s[4:5], exec
	s_and_b64 s[8:9], s[8:9], exec
	s_or_b64 s[4:5], s[4:5], s[8:9]
	s_or_b64 exec, exec, s[6:7]
	s_and_saveexec_b64 s[6:7], s[4:5]
	s_cbranch_execnz .LBB59_75
	s_branch .LBB59_76
.LBB59_2125:
	s_movk_i32 s4, 0x80
	v_cmp_eq_u16_sdwa s[12:13], v11, s4 src0_sel:BYTE_0 src1_sel:DWORD
	s_mov_b64 s[4:5], -1
                                        ; implicit-def: $sgpr10
	s_and_saveexec_b64 s[8:9], s[12:13]
; %bb.2126:
	s_mov_b32 s10, 0x7f800001
	s_xor_b64 s[4:5], exec, -1
; %bb.2127:
	s_or_b64 exec, exec, s[8:9]
	s_and_b64 s[4:5], s[4:5], exec
	s_or_saveexec_b64 s[6:7], s[6:7]
	v_mov_b32_e32 v14, s10
	s_xor_b64 exec, exec, s[6:7]
	s_cbranch_execz .LBB59_78
.LBB59_2128:
	v_mov_b32_e32 v14, 0
	v_cmp_ne_u16_sdwa s[8:9], v11, v14 src0_sel:BYTE_0 src1_sel:DWORD
	s_andn2_b64 s[4:5], s[4:5], exec
	s_and_b64 s[8:9], s[8:9], exec
	s_or_b64 s[4:5], s[4:5], s[8:9]
	s_or_b64 exec, exec, s[6:7]
	s_and_saveexec_b64 s[6:7], s[4:5]
	s_cbranch_execnz .LBB59_79
	s_branch .LBB59_80
.LBB59_2129:
	s_movk_i32 s4, 0x80
	v_cmp_eq_u16_e32 vcc, s4, v11
	s_mov_b64 s[4:5], -1
                                        ; implicit-def: $sgpr10
	s_and_saveexec_b64 s[8:9], vcc
; %bb.2130:
	s_mov_b32 s10, 0x7f800001
	s_xor_b64 s[4:5], exec, -1
; %bb.2131:
	s_or_b64 exec, exec, s[8:9]
	s_and_b64 s[4:5], s[4:5], exec
                                        ; implicit-def: $vgpr11
	s_or_saveexec_b64 s[6:7], s[6:7]
	v_mov_b32_e32 v10, s10
	s_xor_b64 exec, exec, s[6:7]
	s_cbranch_execz .LBB59_82
.LBB59_2132:
	v_cmp_ne_u16_e32 vcc, 0, v11
	s_andn2_b64 s[4:5], s[4:5], exec
	s_and_b64 s[8:9], vcc, exec
	v_mov_b32_e32 v10, 0
	s_or_b64 s[4:5], s[4:5], s[8:9]
	s_or_b64 exec, exec, s[6:7]
	s_and_saveexec_b64 s[6:7], s[4:5]
	s_cbranch_execnz .LBB59_83
	s_branch .LBB59_84
.LBB59_2133:
	s_movk_i32 s4, 0x80
	v_cmp_eq_u16_e32 vcc, s4, v11
	s_mov_b64 s[4:5], -1
                                        ; implicit-def: $sgpr10
	s_and_saveexec_b64 s[8:9], vcc
; %bb.2134:
	s_mov_b32 s10, 0x7f800001
	s_xor_b64 s[4:5], exec, -1
; %bb.2135:
	s_or_b64 exec, exec, s[8:9]
	s_and_b64 s[4:5], s[4:5], exec
                                        ; implicit-def: $vgpr11
	s_or_saveexec_b64 s[6:7], s[6:7]
	v_mov_b32_e32 v14, s10
	s_xor_b64 exec, exec, s[6:7]
	s_cbranch_execz .LBB59_86
.LBB59_2136:
	v_cmp_ne_u16_e32 vcc, 0, v11
	s_andn2_b64 s[4:5], s[4:5], exec
	s_and_b64 s[8:9], vcc, exec
	v_mov_b32_e32 v14, 0
	s_or_b64 s[4:5], s[4:5], s[8:9]
	s_or_b64 exec, exec, s[6:7]
	s_and_saveexec_b64 s[6:7], s[4:5]
	s_cbranch_execnz .LBB59_87
	s_branch .LBB59_88
.LBB59_2137:
	s_movk_i32 s4, 0x80
	v_cmp_eq_u16_sdwa s[12:13], v16, s4 src0_sel:BYTE_3 src1_sel:DWORD
	s_mov_b64 s[4:5], -1
                                        ; implicit-def: $sgpr10
	s_and_saveexec_b64 s[8:9], s[12:13]
; %bb.2138:
	s_mov_b32 s10, 0x7f800001
	s_xor_b64 s[4:5], exec, -1
; %bb.2139:
	s_or_b64 exec, exec, s[8:9]
	s_and_b64 s[4:5], s[4:5], exec
	s_or_saveexec_b64 s[6:7], s[6:7]
	v_mov_b32_e32 v10, s10
	s_xor_b64 exec, exec, s[6:7]
	s_cbranch_execz .LBB59_90
.LBB59_2140:
	v_mov_b32_e32 v10, 0
	v_cmp_ne_u16_sdwa s[8:9], v16, v10 src0_sel:BYTE_3 src1_sel:DWORD
	s_andn2_b64 s[4:5], s[4:5], exec
	s_and_b64 s[8:9], s[8:9], exec
	s_or_b64 s[4:5], s[4:5], s[8:9]
	s_or_b64 exec, exec, s[6:7]
	s_and_saveexec_b64 s[6:7], s[4:5]
	s_cbranch_execnz .LBB59_91
	s_branch .LBB59_92
.LBB59_2141:
	s_movk_i32 s4, 0x80
	v_cmp_eq_u16_sdwa s[12:13], v12, s4 src0_sel:BYTE_3 src1_sel:DWORD
	s_mov_b64 s[4:5], -1
                                        ; implicit-def: $sgpr10
	s_and_saveexec_b64 s[8:9], s[12:13]
; %bb.2142:
	s_mov_b32 s10, 0x7f800001
	s_xor_b64 s[4:5], exec, -1
; %bb.2143:
	s_or_b64 exec, exec, s[8:9]
	s_and_b64 s[4:5], s[4:5], exec
	s_or_saveexec_b64 s[6:7], s[6:7]
	v_mov_b32_e32 v11, s10
	s_xor_b64 exec, exec, s[6:7]
	s_cbranch_execz .LBB59_94
.LBB59_2144:
	v_mov_b32_e32 v11, 0
	v_cmp_ne_u16_sdwa s[8:9], v12, v11 src0_sel:BYTE_3 src1_sel:DWORD
	s_andn2_b64 s[4:5], s[4:5], exec
	s_and_b64 s[8:9], s[8:9], exec
	s_or_b64 s[4:5], s[4:5], s[8:9]
	s_or_b64 exec, exec, s[6:7]
	s_and_saveexec_b64 s[6:7], s[4:5]
	s_cbranch_execnz .LBB59_95
	s_branch .LBB59_96
.LBB59_2145:
	s_movk_i32 s4, 0x80
	v_cmp_eq_u16_sdwa s[12:13], v17, s4 src0_sel:BYTE_0 src1_sel:DWORD
	s_mov_b64 s[4:5], -1
                                        ; implicit-def: $sgpr10
	s_and_saveexec_b64 s[8:9], s[12:13]
; %bb.2146:
	s_mov_b32 s10, 0x7f800001
	s_xor_b64 s[4:5], exec, -1
; %bb.2147:
	s_or_b64 exec, exec, s[8:9]
	s_and_b64 s[4:5], s[4:5], exec
	s_or_saveexec_b64 s[6:7], s[6:7]
	v_mov_b32_e32 v10, s10
	s_xor_b64 exec, exec, s[6:7]
	s_cbranch_execz .LBB59_98
.LBB59_2148:
	v_mov_b32_e32 v10, 0
	v_cmp_ne_u16_sdwa s[8:9], v17, v10 src0_sel:BYTE_0 src1_sel:DWORD
	s_andn2_b64 s[4:5], s[4:5], exec
	s_and_b64 s[8:9], s[8:9], exec
	s_or_b64 s[4:5], s[4:5], s[8:9]
	s_or_b64 exec, exec, s[6:7]
	s_and_saveexec_b64 s[6:7], s[4:5]
	s_cbranch_execnz .LBB59_99
	s_branch .LBB59_100
.LBB59_2149:
	s_movk_i32 s4, 0x80
	v_cmp_eq_u16_sdwa s[12:13], v13, s4 src0_sel:BYTE_0 src1_sel:DWORD
	s_mov_b64 s[4:5], -1
                                        ; implicit-def: $sgpr10
	s_and_saveexec_b64 s[8:9], s[12:13]
; %bb.2150:
	s_mov_b32 s10, 0x7f800001
	s_xor_b64 s[4:5], exec, -1
; %bb.2151:
	s_or_b64 exec, exec, s[8:9]
	s_and_b64 s[4:5], s[4:5], exec
	s_or_saveexec_b64 s[6:7], s[6:7]
	v_mov_b32_e32 v11, s10
	s_xor_b64 exec, exec, s[6:7]
	s_cbranch_execz .LBB59_102
.LBB59_2152:
	v_mov_b32_e32 v11, 0
	v_cmp_ne_u16_sdwa s[8:9], v13, v11 src0_sel:BYTE_0 src1_sel:DWORD
	s_andn2_b64 s[4:5], s[4:5], exec
	s_and_b64 s[8:9], s[8:9], exec
	s_or_b64 s[4:5], s[4:5], s[8:9]
	s_or_b64 exec, exec, s[6:7]
	s_and_saveexec_b64 s[6:7], s[4:5]
	s_cbranch_execnz .LBB59_103
	s_branch .LBB59_104
.LBB59_2153:
	s_movk_i32 s4, 0x80
	v_cmp_eq_u16_sdwa s[12:13], v11, s4 src0_sel:BYTE_0 src1_sel:DWORD
	s_mov_b64 s[4:5], -1
                                        ; implicit-def: $sgpr10
	s_and_saveexec_b64 s[8:9], s[12:13]
; %bb.2154:
	s_mov_b32 s10, 0x7f800001
	s_xor_b64 s[4:5], exec, -1
; %bb.2155:
	s_or_b64 exec, exec, s[8:9]
	s_and_b64 s[4:5], s[4:5], exec
	s_or_saveexec_b64 s[6:7], s[6:7]
	v_mov_b32_e32 v10, s10
	s_xor_b64 exec, exec, s[6:7]
	s_cbranch_execz .LBB59_106
.LBB59_2156:
	v_mov_b32_e32 v10, 0
	v_cmp_ne_u16_sdwa s[8:9], v11, v10 src0_sel:BYTE_0 src1_sel:DWORD
	s_andn2_b64 s[4:5], s[4:5], exec
	s_and_b64 s[8:9], s[8:9], exec
	s_or_b64 s[4:5], s[4:5], s[8:9]
	s_or_b64 exec, exec, s[6:7]
	s_and_saveexec_b64 s[6:7], s[4:5]
	s_cbranch_execnz .LBB59_107
	s_branch .LBB59_108
.LBB59_2157:
	s_movk_i32 s4, 0x80
	v_cmp_eq_u16_sdwa s[12:13], v11, s4 src0_sel:BYTE_0 src1_sel:DWORD
	s_mov_b64 s[4:5], -1
                                        ; implicit-def: $sgpr10
	s_and_saveexec_b64 s[8:9], s[12:13]
; %bb.2158:
	s_mov_b32 s10, 0x7f800001
	s_xor_b64 s[4:5], exec, -1
; %bb.2159:
	s_or_b64 exec, exec, s[8:9]
	s_and_b64 s[4:5], s[4:5], exec
	s_or_saveexec_b64 s[6:7], s[6:7]
	v_mov_b32_e32 v12, s10
	s_xor_b64 exec, exec, s[6:7]
	s_cbranch_execz .LBB59_110
.LBB59_2160:
	v_mov_b32_e32 v12, 0
	v_cmp_ne_u16_sdwa s[8:9], v11, v12 src0_sel:BYTE_0 src1_sel:DWORD
	s_andn2_b64 s[4:5], s[4:5], exec
	s_and_b64 s[8:9], s[8:9], exec
	s_or_b64 s[4:5], s[4:5], s[8:9]
	s_or_b64 exec, exec, s[6:7]
	s_and_saveexec_b64 s[6:7], s[4:5]
	s_cbranch_execnz .LBB59_111
	s_branch .LBB59_112
.LBB59_2161:
	s_movk_i32 s4, 0x80
	v_cmp_eq_u16_e32 vcc, s4, v11
	s_mov_b64 s[4:5], -1
                                        ; implicit-def: $sgpr10
	s_and_saveexec_b64 s[8:9], vcc
; %bb.2162:
	s_mov_b32 s10, 0x7f800001
	s_xor_b64 s[4:5], exec, -1
; %bb.2163:
	s_or_b64 exec, exec, s[8:9]
	s_and_b64 s[4:5], s[4:5], exec
                                        ; implicit-def: $vgpr11
	s_or_saveexec_b64 s[6:7], s[6:7]
	v_mov_b32_e32 v10, s10
	s_xor_b64 exec, exec, s[6:7]
	s_cbranch_execz .LBB59_114
.LBB59_2164:
	v_cmp_ne_u16_e32 vcc, 0, v11
	s_andn2_b64 s[4:5], s[4:5], exec
	s_and_b64 s[8:9], vcc, exec
	v_mov_b32_e32 v10, 0
	s_or_b64 s[4:5], s[4:5], s[8:9]
	s_or_b64 exec, exec, s[6:7]
	s_and_saveexec_b64 s[6:7], s[4:5]
	s_cbranch_execnz .LBB59_115
	s_branch .LBB59_116
.LBB59_2165:
	s_movk_i32 s4, 0x80
	v_cmp_eq_u16_e32 vcc, s4, v11
	s_mov_b64 s[4:5], -1
                                        ; implicit-def: $sgpr10
	s_and_saveexec_b64 s[8:9], vcc
; %bb.2166:
	s_mov_b32 s10, 0x7f800001
	s_xor_b64 s[4:5], exec, -1
; %bb.2167:
	s_or_b64 exec, exec, s[8:9]
	s_and_b64 s[4:5], s[4:5], exec
                                        ; implicit-def: $vgpr11
	s_or_saveexec_b64 s[6:7], s[6:7]
	v_mov_b32_e32 v12, s10
	s_xor_b64 exec, exec, s[6:7]
	s_cbranch_execz .LBB59_118
.LBB59_2168:
	v_cmp_ne_u16_e32 vcc, 0, v11
	s_andn2_b64 s[4:5], s[4:5], exec
	s_and_b64 s[8:9], vcc, exec
	v_mov_b32_e32 v12, 0
	s_or_b64 s[4:5], s[4:5], s[8:9]
	s_or_b64 exec, exec, s[6:7]
	s_and_saveexec_b64 s[6:7], s[4:5]
	s_cbranch_execnz .LBB59_119
	s_branch .LBB59_120
.LBB59_2169:
	s_movk_i32 s4, 0x80
	v_cmp_eq_u16_sdwa s[12:13], v17, s4 src0_sel:BYTE_3 src1_sel:DWORD
	s_mov_b64 s[4:5], -1
                                        ; implicit-def: $sgpr10
	s_and_saveexec_b64 s[8:9], s[12:13]
; %bb.2170:
	s_mov_b32 s10, 0x7f800001
	s_xor_b64 s[4:5], exec, -1
; %bb.2171:
	s_or_b64 exec, exec, s[8:9]
	s_and_b64 s[4:5], s[4:5], exec
	s_or_saveexec_b64 s[6:7], s[6:7]
	v_mov_b32_e32 v10, s10
	s_xor_b64 exec, exec, s[6:7]
	s_cbranch_execz .LBB59_122
.LBB59_2172:
	v_mov_b32_e32 v10, 0
	v_cmp_ne_u16_sdwa s[8:9], v17, v10 src0_sel:BYTE_3 src1_sel:DWORD
	s_andn2_b64 s[4:5], s[4:5], exec
	s_and_b64 s[8:9], s[8:9], exec
	s_or_b64 s[4:5], s[4:5], s[8:9]
	s_or_b64 exec, exec, s[6:7]
	s_and_saveexec_b64 s[6:7], s[4:5]
	s_cbranch_execnz .LBB59_123
	s_branch .LBB59_124
.LBB59_2173:
	s_movk_i32 s4, 0x80
	v_cmp_eq_u16_sdwa s[12:13], v13, s4 src0_sel:BYTE_3 src1_sel:DWORD
	s_mov_b64 s[4:5], -1
                                        ; implicit-def: $sgpr10
	s_and_saveexec_b64 s[8:9], s[12:13]
; %bb.2174:
	s_mov_b32 s10, 0x7f800001
	s_xor_b64 s[4:5], exec, -1
; %bb.2175:
	s_or_b64 exec, exec, s[8:9]
	s_and_b64 s[4:5], s[4:5], exec
	s_or_saveexec_b64 s[6:7], s[6:7]
	v_mov_b32_e32 v11, s10
	s_xor_b64 exec, exec, s[6:7]
	s_cbranch_execz .LBB59_126
.LBB59_2176:
	v_mov_b32_e32 v11, 0
	v_cmp_ne_u16_sdwa s[8:9], v13, v11 src0_sel:BYTE_3 src1_sel:DWORD
	s_andn2_b64 s[4:5], s[4:5], exec
	s_and_b64 s[8:9], s[8:9], exec
	s_or_b64 s[4:5], s[4:5], s[8:9]
	s_or_b64 exec, exec, s[6:7]
	s_and_saveexec_b64 s[6:7], s[4:5]
	s_cbranch_execnz .LBB59_127
	s_branch .LBB59_128
.LBB59_2177:
	s_movk_i32 s4, 0x80
	v_cmp_eq_u16_sdwa s[12:13], v6, s4 src0_sel:BYTE_0 src1_sel:DWORD
	s_mov_b64 s[4:5], -1
                                        ; implicit-def: $sgpr10
	s_and_saveexec_b64 s[8:9], s[12:13]
; %bb.2178:
	s_mov_b32 s10, 0x7f800001
	s_xor_b64 s[4:5], exec, -1
; %bb.2179:
	s_or_b64 exec, exec, s[8:9]
	s_and_b64 s[4:5], s[4:5], exec
	s_or_saveexec_b64 s[6:7], s[6:7]
	v_mov_b32_e32 v10, s10
	s_xor_b64 exec, exec, s[6:7]
	s_cbranch_execz .LBB59_130
.LBB59_2180:
	v_mov_b32_e32 v10, 0
	v_cmp_ne_u16_sdwa s[8:9], v6, v10 src0_sel:BYTE_0 src1_sel:DWORD
	s_andn2_b64 s[4:5], s[4:5], exec
	s_and_b64 s[8:9], s[8:9], exec
	s_or_b64 s[4:5], s[4:5], s[8:9]
	s_or_b64 exec, exec, s[6:7]
	s_and_saveexec_b64 s[6:7], s[4:5]
	s_cbranch_execnz .LBB59_131
	s_branch .LBB59_132
.LBB59_2181:
	s_movk_i32 s4, 0x80
	v_cmp_eq_u16_sdwa s[12:13], v2, s4 src0_sel:BYTE_0 src1_sel:DWORD
	s_mov_b64 s[4:5], -1
                                        ; implicit-def: $sgpr10
	s_and_saveexec_b64 s[8:9], s[12:13]
; %bb.2182:
	s_mov_b32 s10, 0x7f800001
	s_xor_b64 s[4:5], exec, -1
; %bb.2183:
	s_or_b64 exec, exec, s[8:9]
	s_and_b64 s[4:5], s[4:5], exec
	s_or_saveexec_b64 s[6:7], s[6:7]
	v_mov_b32_e32 v11, s10
	s_xor_b64 exec, exec, s[6:7]
	s_cbranch_execz .LBB59_134
.LBB59_2184:
	v_mov_b32_e32 v11, 0
	v_cmp_ne_u16_sdwa s[8:9], v2, v11 src0_sel:BYTE_0 src1_sel:DWORD
	s_andn2_b64 s[4:5], s[4:5], exec
	s_and_b64 s[8:9], s[8:9], exec
	s_or_b64 s[4:5], s[4:5], s[8:9]
	s_or_b64 exec, exec, s[6:7]
	s_and_saveexec_b64 s[6:7], s[4:5]
	s_cbranch_execnz .LBB59_135
	s_branch .LBB59_136
.LBB59_2185:
	s_movk_i32 s4, 0x80
	v_cmp_eq_u16_sdwa s[12:13], v11, s4 src0_sel:BYTE_0 src1_sel:DWORD
	s_mov_b64 s[4:5], -1
                                        ; implicit-def: $sgpr10
	s_and_saveexec_b64 s[8:9], s[12:13]
; %bb.2186:
	s_mov_b32 s10, 0x7f800001
	s_xor_b64 s[4:5], exec, -1
; %bb.2187:
	s_or_b64 exec, exec, s[8:9]
	s_and_b64 s[4:5], s[4:5], exec
	s_or_saveexec_b64 s[6:7], s[6:7]
	v_mov_b32_e32 v10, s10
	s_xor_b64 exec, exec, s[6:7]
	s_cbranch_execz .LBB59_138
.LBB59_2188:
	v_mov_b32_e32 v10, 0
	v_cmp_ne_u16_sdwa s[8:9], v11, v10 src0_sel:BYTE_0 src1_sel:DWORD
	s_andn2_b64 s[4:5], s[4:5], exec
	s_and_b64 s[8:9], s[8:9], exec
	s_or_b64 s[4:5], s[4:5], s[8:9]
	s_or_b64 exec, exec, s[6:7]
	s_and_saveexec_b64 s[6:7], s[4:5]
	s_cbranch_execnz .LBB59_139
	s_branch .LBB59_140
.LBB59_2189:
	s_movk_i32 s4, 0x80
	v_cmp_eq_u16_sdwa s[12:13], v11, s4 src0_sel:BYTE_0 src1_sel:DWORD
	s_mov_b64 s[4:5], -1
                                        ; implicit-def: $sgpr10
	s_and_saveexec_b64 s[8:9], s[12:13]
; %bb.2190:
	s_mov_b32 s10, 0x7f800001
	s_xor_b64 s[4:5], exec, -1
; %bb.2191:
	s_or_b64 exec, exec, s[8:9]
	s_and_b64 s[4:5], s[4:5], exec
	s_or_saveexec_b64 s[6:7], s[6:7]
	v_mov_b32_e32 v12, s10
	s_xor_b64 exec, exec, s[6:7]
	s_cbranch_execz .LBB59_142
.LBB59_2192:
	v_mov_b32_e32 v12, 0
	v_cmp_ne_u16_sdwa s[8:9], v11, v12 src0_sel:BYTE_0 src1_sel:DWORD
	s_andn2_b64 s[4:5], s[4:5], exec
	s_and_b64 s[8:9], s[8:9], exec
	s_or_b64 s[4:5], s[4:5], s[8:9]
	s_or_b64 exec, exec, s[6:7]
	s_and_saveexec_b64 s[6:7], s[4:5]
	s_cbranch_execnz .LBB59_143
	s_branch .LBB59_144
.LBB59_2193:
	s_movk_i32 s4, 0x80
	v_cmp_eq_u16_e32 vcc, s4, v11
	s_mov_b64 s[4:5], -1
                                        ; implicit-def: $sgpr10
	s_and_saveexec_b64 s[8:9], vcc
; %bb.2194:
	s_mov_b32 s10, 0x7f800001
	s_xor_b64 s[4:5], exec, -1
; %bb.2195:
	s_or_b64 exec, exec, s[8:9]
	s_and_b64 s[4:5], s[4:5], exec
                                        ; implicit-def: $vgpr11
	s_or_saveexec_b64 s[6:7], s[6:7]
	v_mov_b32_e32 v10, s10
	s_xor_b64 exec, exec, s[6:7]
	s_cbranch_execz .LBB59_146
.LBB59_2196:
	v_cmp_ne_u16_e32 vcc, 0, v11
	s_andn2_b64 s[4:5], s[4:5], exec
	s_and_b64 s[8:9], vcc, exec
	v_mov_b32_e32 v10, 0
	s_or_b64 s[4:5], s[4:5], s[8:9]
	s_or_b64 exec, exec, s[6:7]
	s_and_saveexec_b64 s[6:7], s[4:5]
	s_cbranch_execnz .LBB59_147
	s_branch .LBB59_148
.LBB59_2197:
	s_movk_i32 s4, 0x80
	v_cmp_eq_u16_e32 vcc, s4, v11
	s_mov_b64 s[4:5], -1
                                        ; implicit-def: $sgpr10
	s_and_saveexec_b64 s[8:9], vcc
; %bb.2198:
	s_mov_b32 s10, 0x7f800001
	s_xor_b64 s[4:5], exec, -1
; %bb.2199:
	s_or_b64 exec, exec, s[8:9]
	s_and_b64 s[4:5], s[4:5], exec
                                        ; implicit-def: $vgpr11
	s_or_saveexec_b64 s[6:7], s[6:7]
	v_mov_b32_e32 v12, s10
	s_xor_b64 exec, exec, s[6:7]
	s_cbranch_execz .LBB59_150
.LBB59_2200:
	v_cmp_ne_u16_e32 vcc, 0, v11
	s_andn2_b64 s[4:5], s[4:5], exec
	s_and_b64 s[8:9], vcc, exec
	v_mov_b32_e32 v12, 0
	s_or_b64 s[4:5], s[4:5], s[8:9]
	s_or_b64 exec, exec, s[6:7]
	s_and_saveexec_b64 s[6:7], s[4:5]
	s_cbranch_execnz .LBB59_151
	s_branch .LBB59_152
.LBB59_2201:
	s_movk_i32 s4, 0x80
	v_cmp_eq_u16_sdwa s[12:13], v6, s4 src0_sel:BYTE_3 src1_sel:DWORD
	s_mov_b64 s[4:5], -1
                                        ; implicit-def: $sgpr10
	s_and_saveexec_b64 s[8:9], s[12:13]
; %bb.2202:
	s_mov_b32 s10, 0x7f800001
	s_xor_b64 s[4:5], exec, -1
; %bb.2203:
	s_or_b64 exec, exec, s[8:9]
	s_and_b64 s[4:5], s[4:5], exec
	s_or_saveexec_b64 s[6:7], s[6:7]
	v_mov_b32_e32 v10, s10
	s_xor_b64 exec, exec, s[6:7]
	s_cbranch_execz .LBB59_154
.LBB59_2204:
	v_mov_b32_e32 v10, 0
	v_cmp_ne_u16_sdwa s[8:9], v6, v10 src0_sel:BYTE_3 src1_sel:DWORD
	s_andn2_b64 s[4:5], s[4:5], exec
	s_and_b64 s[8:9], s[8:9], exec
	s_or_b64 s[4:5], s[4:5], s[8:9]
	s_or_b64 exec, exec, s[6:7]
	s_and_saveexec_b64 s[6:7], s[4:5]
	s_cbranch_execnz .LBB59_155
	s_branch .LBB59_156
.LBB59_2205:
	s_movk_i32 s4, 0x80
	v_cmp_eq_u16_sdwa s[12:13], v2, s4 src0_sel:BYTE_3 src1_sel:DWORD
	s_mov_b64 s[4:5], -1
                                        ; implicit-def: $sgpr10
	s_and_saveexec_b64 s[8:9], s[12:13]
; %bb.2206:
	s_mov_b32 s10, 0x7f800001
	s_xor_b64 s[4:5], exec, -1
; %bb.2207:
	s_or_b64 exec, exec, s[8:9]
	s_and_b64 s[4:5], s[4:5], exec
	s_or_saveexec_b64 s[6:7], s[6:7]
	v_mov_b32_e32 v6, s10
	s_xor_b64 exec, exec, s[6:7]
	s_cbranch_execz .LBB59_158
.LBB59_2208:
	v_mov_b32_e32 v6, 0
	v_cmp_ne_u16_sdwa s[8:9], v2, v6 src0_sel:BYTE_3 src1_sel:DWORD
	s_andn2_b64 s[4:5], s[4:5], exec
	s_and_b64 s[8:9], s[8:9], exec
	s_or_b64 s[4:5], s[4:5], s[8:9]
	s_or_b64 exec, exec, s[6:7]
	s_and_saveexec_b64 s[6:7], s[4:5]
	s_cbranch_execnz .LBB59_159
	s_branch .LBB59_160
.LBB59_2209:
	s_movk_i32 s4, 0x80
	v_cmp_eq_u16_sdwa s[12:13], v7, s4 src0_sel:BYTE_0 src1_sel:DWORD
	s_mov_b64 s[4:5], -1
                                        ; implicit-def: $sgpr10
	s_and_saveexec_b64 s[8:9], s[12:13]
; %bb.2210:
	s_mov_b32 s10, 0x7f800001
	s_xor_b64 s[4:5], exec, -1
; %bb.2211:
	s_or_b64 exec, exec, s[8:9]
	s_and_b64 s[4:5], s[4:5], exec
	s_or_saveexec_b64 s[6:7], s[6:7]
	v_mov_b32_e32 v2, s10
	s_xor_b64 exec, exec, s[6:7]
	s_cbranch_execz .LBB59_162
.LBB59_2212:
	v_mov_b32_e32 v2, 0
	v_cmp_ne_u16_sdwa s[8:9], v7, v2 src0_sel:BYTE_0 src1_sel:DWORD
	s_andn2_b64 s[4:5], s[4:5], exec
	s_and_b64 s[8:9], s[8:9], exec
	s_or_b64 s[4:5], s[4:5], s[8:9]
	s_or_b64 exec, exec, s[6:7]
	s_and_saveexec_b64 s[6:7], s[4:5]
	s_cbranch_execnz .LBB59_163
	s_branch .LBB59_164
.LBB59_2213:
	s_movk_i32 s4, 0x80
	v_cmp_eq_u16_sdwa s[12:13], v3, s4 src0_sel:BYTE_0 src1_sel:DWORD
	s_mov_b64 s[4:5], -1
                                        ; implicit-def: $sgpr10
	s_and_saveexec_b64 s[8:9], s[12:13]
; %bb.2214:
	s_mov_b32 s10, 0x7f800001
	s_xor_b64 s[4:5], exec, -1
; %bb.2215:
	s_or_b64 exec, exec, s[8:9]
	s_and_b64 s[4:5], s[4:5], exec
	s_or_saveexec_b64 s[6:7], s[6:7]
	v_mov_b32_e32 v6, s10
	s_xor_b64 exec, exec, s[6:7]
	s_cbranch_execz .LBB59_166
.LBB59_2216:
	v_mov_b32_e32 v6, 0
	v_cmp_ne_u16_sdwa s[8:9], v3, v6 src0_sel:BYTE_0 src1_sel:DWORD
	s_andn2_b64 s[4:5], s[4:5], exec
	s_and_b64 s[8:9], s[8:9], exec
	s_or_b64 s[4:5], s[4:5], s[8:9]
	s_or_b64 exec, exec, s[6:7]
	s_and_saveexec_b64 s[6:7], s[4:5]
	s_cbranch_execnz .LBB59_167
	s_branch .LBB59_168
.LBB59_2217:
	s_movk_i32 s4, 0x80
	v_cmp_eq_u16_sdwa s[12:13], v6, s4 src0_sel:BYTE_0 src1_sel:DWORD
	s_mov_b64 s[4:5], -1
                                        ; implicit-def: $sgpr10
	s_and_saveexec_b64 s[8:9], s[12:13]
; %bb.2218:
	s_mov_b32 s10, 0x7f800001
	s_xor_b64 s[4:5], exec, -1
; %bb.2219:
	s_or_b64 exec, exec, s[8:9]
	s_and_b64 s[4:5], s[4:5], exec
	s_or_saveexec_b64 s[6:7], s[6:7]
	v_mov_b32_e32 v2, s10
	s_xor_b64 exec, exec, s[6:7]
	s_cbranch_execz .LBB59_170
.LBB59_2220:
	v_mov_b32_e32 v2, 0
	v_cmp_ne_u16_sdwa s[8:9], v6, v2 src0_sel:BYTE_0 src1_sel:DWORD
	s_andn2_b64 s[4:5], s[4:5], exec
	s_and_b64 s[8:9], s[8:9], exec
	s_or_b64 s[4:5], s[4:5], s[8:9]
	s_or_b64 exec, exec, s[6:7]
	s_and_saveexec_b64 s[6:7], s[4:5]
	s_cbranch_execnz .LBB59_171
	s_branch .LBB59_172
.LBB59_2221:
	s_movk_i32 s4, 0x80
	v_cmp_eq_u16_sdwa s[12:13], v6, s4 src0_sel:BYTE_0 src1_sel:DWORD
	s_mov_b64 s[4:5], -1
                                        ; implicit-def: $sgpr10
	s_and_saveexec_b64 s[8:9], s[12:13]
; %bb.2222:
	s_mov_b32 s10, 0x7f800001
	s_xor_b64 s[4:5], exec, -1
; %bb.2223:
	s_or_b64 exec, exec, s[8:9]
	s_and_b64 s[4:5], s[4:5], exec
	s_or_saveexec_b64 s[6:7], s[6:7]
	v_mov_b32_e32 v10, s10
	s_xor_b64 exec, exec, s[6:7]
	s_cbranch_execz .LBB59_174
.LBB59_2224:
	v_mov_b32_e32 v10, 0
	v_cmp_ne_u16_sdwa s[8:9], v6, v10 src0_sel:BYTE_0 src1_sel:DWORD
	s_andn2_b64 s[4:5], s[4:5], exec
	s_and_b64 s[8:9], s[8:9], exec
	s_or_b64 s[4:5], s[4:5], s[8:9]
	s_or_b64 exec, exec, s[6:7]
	s_and_saveexec_b64 s[6:7], s[4:5]
	s_cbranch_execnz .LBB59_175
	s_branch .LBB59_176
.LBB59_2225:
	s_movk_i32 s4, 0x80
	v_cmp_eq_u16_e32 vcc, s4, v6
	s_mov_b64 s[4:5], -1
                                        ; implicit-def: $sgpr10
	s_and_saveexec_b64 s[8:9], vcc
; %bb.2226:
	s_mov_b32 s10, 0x7f800001
	s_xor_b64 s[4:5], exec, -1
; %bb.2227:
	s_or_b64 exec, exec, s[8:9]
	s_and_b64 s[4:5], s[4:5], exec
                                        ; implicit-def: $vgpr6
	s_or_saveexec_b64 s[6:7], s[6:7]
	v_mov_b32_e32 v2, s10
	s_xor_b64 exec, exec, s[6:7]
	s_cbranch_execz .LBB59_178
.LBB59_2228:
	v_cmp_ne_u16_e32 vcc, 0, v6
	s_andn2_b64 s[4:5], s[4:5], exec
	s_and_b64 s[8:9], vcc, exec
	v_mov_b32_e32 v2, 0
	s_or_b64 s[4:5], s[4:5], s[8:9]
	s_or_b64 exec, exec, s[6:7]
	s_and_saveexec_b64 s[6:7], s[4:5]
	s_cbranch_execnz .LBB59_179
	s_branch .LBB59_180
.LBB59_2229:
	s_movk_i32 s4, 0x80
	v_cmp_eq_u16_e32 vcc, s4, v6
	s_mov_b64 s[4:5], -1
                                        ; implicit-def: $sgpr10
	s_and_saveexec_b64 s[8:9], vcc
; %bb.2230:
	s_mov_b32 s10, 0x7f800001
	s_xor_b64 s[4:5], exec, -1
; %bb.2231:
	s_or_b64 exec, exec, s[8:9]
	s_and_b64 s[4:5], s[4:5], exec
                                        ; implicit-def: $vgpr6
	s_or_saveexec_b64 s[6:7], s[6:7]
	v_mov_b32_e32 v10, s10
	s_xor_b64 exec, exec, s[6:7]
	s_cbranch_execz .LBB59_182
.LBB59_2232:
	v_cmp_ne_u16_e32 vcc, 0, v6
	s_andn2_b64 s[4:5], s[4:5], exec
	s_and_b64 s[8:9], vcc, exec
	v_mov_b32_e32 v10, 0
	s_or_b64 s[4:5], s[4:5], s[8:9]
	s_or_b64 exec, exec, s[6:7]
	s_and_saveexec_b64 s[6:7], s[4:5]
	s_cbranch_execnz .LBB59_183
	s_branch .LBB59_184
.LBB59_2233:
	s_movk_i32 s4, 0x80
	v_cmp_eq_u16_sdwa s[12:13], v7, s4 src0_sel:BYTE_3 src1_sel:DWORD
	s_mov_b64 s[4:5], -1
                                        ; implicit-def: $sgpr10
	s_and_saveexec_b64 s[8:9], s[12:13]
; %bb.2234:
	s_mov_b32 s10, 0x7f800001
	s_xor_b64 s[4:5], exec, -1
; %bb.2235:
	s_or_b64 exec, exec, s[8:9]
	s_and_b64 s[4:5], s[4:5], exec
	s_or_saveexec_b64 s[6:7], s[6:7]
	v_mov_b32_e32 v2, s10
	s_xor_b64 exec, exec, s[6:7]
	s_cbranch_execz .LBB59_186
.LBB59_2236:
	v_mov_b32_e32 v2, 0
	v_cmp_ne_u16_sdwa s[8:9], v7, v2 src0_sel:BYTE_3 src1_sel:DWORD
	s_andn2_b64 s[4:5], s[4:5], exec
	s_and_b64 s[8:9], s[8:9], exec
	s_or_b64 s[4:5], s[4:5], s[8:9]
	s_or_b64 exec, exec, s[6:7]
	s_and_saveexec_b64 s[6:7], s[4:5]
	s_cbranch_execnz .LBB59_187
	s_branch .LBB59_188
.LBB59_2237:
	s_movk_i32 s4, 0x80
	v_cmp_eq_u16_sdwa s[12:13], v3, s4 src0_sel:BYTE_3 src1_sel:DWORD
	s_mov_b64 s[4:5], -1
                                        ; implicit-def: $sgpr10
	s_and_saveexec_b64 s[8:9], s[12:13]
; %bb.2238:
	s_mov_b32 s10, 0x7f800001
	s_xor_b64 s[4:5], exec, -1
; %bb.2239:
	s_or_b64 exec, exec, s[8:9]
	s_and_b64 s[4:5], s[4:5], exec
	s_or_saveexec_b64 s[6:7], s[6:7]
	v_mov_b32_e32 v6, s10
	s_xor_b64 exec, exec, s[6:7]
	s_cbranch_execz .LBB59_190
.LBB59_2240:
	v_mov_b32_e32 v6, 0
	v_cmp_ne_u16_sdwa s[8:9], v3, v6 src0_sel:BYTE_3 src1_sel:DWORD
	s_andn2_b64 s[4:5], s[4:5], exec
	s_and_b64 s[8:9], s[8:9], exec
	s_or_b64 s[4:5], s[4:5], s[8:9]
	s_or_b64 exec, exec, s[6:7]
	s_and_saveexec_b64 s[6:7], s[4:5]
	s_cbranch_execnz .LBB59_191
	s_branch .LBB59_192
.LBB59_2241:
	s_movk_i32 s4, 0x80
	v_cmp_eq_u16_sdwa s[12:13], v8, s4 src0_sel:BYTE_0 src1_sel:DWORD
	s_mov_b64 s[4:5], -1
                                        ; implicit-def: $sgpr10
	s_and_saveexec_b64 s[8:9], s[12:13]
; %bb.2242:
	s_mov_b32 s10, 0x7f800001
	s_xor_b64 s[4:5], exec, -1
; %bb.2243:
	s_or_b64 exec, exec, s[8:9]
	s_and_b64 s[4:5], s[4:5], exec
	s_or_saveexec_b64 s[6:7], s[6:7]
	v_mov_b32_e32 v2, s10
	s_xor_b64 exec, exec, s[6:7]
	s_cbranch_execz .LBB59_194
.LBB59_2244:
	v_mov_b32_e32 v2, 0
	v_cmp_ne_u16_sdwa s[8:9], v8, v2 src0_sel:BYTE_0 src1_sel:DWORD
	s_andn2_b64 s[4:5], s[4:5], exec
	s_and_b64 s[8:9], s[8:9], exec
	s_or_b64 s[4:5], s[4:5], s[8:9]
	s_or_b64 exec, exec, s[6:7]
	s_and_saveexec_b64 s[6:7], s[4:5]
	s_cbranch_execnz .LBB59_195
	s_branch .LBB59_196
.LBB59_2245:
	s_movk_i32 s4, 0x80
	v_cmp_eq_u16_sdwa s[12:13], v4, s4 src0_sel:BYTE_0 src1_sel:DWORD
	s_mov_b64 s[4:5], -1
                                        ; implicit-def: $sgpr10
	s_and_saveexec_b64 s[8:9], s[12:13]
; %bb.2246:
	s_mov_b32 s10, 0x7f800001
	s_xor_b64 s[4:5], exec, -1
; %bb.2247:
	s_or_b64 exec, exec, s[8:9]
	s_and_b64 s[4:5], s[4:5], exec
	s_or_saveexec_b64 s[6:7], s[6:7]
	v_mov_b32_e32 v3, s10
	s_xor_b64 exec, exec, s[6:7]
	s_cbranch_execz .LBB59_198
.LBB59_2248:
	v_mov_b32_e32 v3, 0
	v_cmp_ne_u16_sdwa s[8:9], v4, v3 src0_sel:BYTE_0 src1_sel:DWORD
	s_andn2_b64 s[4:5], s[4:5], exec
	s_and_b64 s[8:9], s[8:9], exec
	s_or_b64 s[4:5], s[4:5], s[8:9]
	s_or_b64 exec, exec, s[6:7]
	s_and_saveexec_b64 s[6:7], s[4:5]
	s_cbranch_execnz .LBB59_199
	s_branch .LBB59_200
.LBB59_2249:
	s_movk_i32 s4, 0x80
	v_cmp_eq_u16_sdwa s[12:13], v3, s4 src0_sel:BYTE_0 src1_sel:DWORD
	s_mov_b64 s[4:5], -1
                                        ; implicit-def: $sgpr10
	s_and_saveexec_b64 s[8:9], s[12:13]
; %bb.2250:
	s_mov_b32 s10, 0x7f800001
	s_xor_b64 s[4:5], exec, -1
; %bb.2251:
	s_or_b64 exec, exec, s[8:9]
	s_and_b64 s[4:5], s[4:5], exec
	s_or_saveexec_b64 s[6:7], s[6:7]
	v_mov_b32_e32 v2, s10
	s_xor_b64 exec, exec, s[6:7]
	s_cbranch_execz .LBB59_202
.LBB59_2252:
	v_mov_b32_e32 v2, 0
	v_cmp_ne_u16_sdwa s[8:9], v3, v2 src0_sel:BYTE_0 src1_sel:DWORD
	s_andn2_b64 s[4:5], s[4:5], exec
	s_and_b64 s[8:9], s[8:9], exec
	s_or_b64 s[4:5], s[4:5], s[8:9]
	s_or_b64 exec, exec, s[6:7]
	s_and_saveexec_b64 s[6:7], s[4:5]
	s_cbranch_execnz .LBB59_203
	s_branch .LBB59_204
.LBB59_2253:
	s_movk_i32 s4, 0x80
	v_cmp_eq_u16_sdwa s[12:13], v3, s4 src0_sel:BYTE_0 src1_sel:DWORD
	s_mov_b64 s[4:5], -1
                                        ; implicit-def: $sgpr10
	s_and_saveexec_b64 s[8:9], s[12:13]
; %bb.2254:
	s_mov_b32 s10, 0x7f800001
	s_xor_b64 s[4:5], exec, -1
; %bb.2255:
	s_or_b64 exec, exec, s[8:9]
	s_and_b64 s[4:5], s[4:5], exec
	s_or_saveexec_b64 s[6:7], s[6:7]
	v_mov_b32_e32 v6, s10
	s_xor_b64 exec, exec, s[6:7]
	s_cbranch_execz .LBB59_206
.LBB59_2256:
	v_mov_b32_e32 v6, 0
	v_cmp_ne_u16_sdwa s[8:9], v3, v6 src0_sel:BYTE_0 src1_sel:DWORD
	s_andn2_b64 s[4:5], s[4:5], exec
	s_and_b64 s[8:9], s[8:9], exec
	s_or_b64 s[4:5], s[4:5], s[8:9]
	s_or_b64 exec, exec, s[6:7]
	s_and_saveexec_b64 s[6:7], s[4:5]
	s_cbranch_execnz .LBB59_207
	s_branch .LBB59_208
.LBB59_2257:
	s_movk_i32 s4, 0x80
	v_cmp_eq_u16_e32 vcc, s4, v3
	s_mov_b64 s[4:5], -1
                                        ; implicit-def: $sgpr10
	s_and_saveexec_b64 s[8:9], vcc
; %bb.2258:
	s_mov_b32 s10, 0x7f800001
	s_xor_b64 s[4:5], exec, -1
; %bb.2259:
	s_or_b64 exec, exec, s[8:9]
	s_and_b64 s[4:5], s[4:5], exec
                                        ; implicit-def: $vgpr3
	s_or_saveexec_b64 s[6:7], s[6:7]
	v_mov_b32_e32 v2, s10
	s_xor_b64 exec, exec, s[6:7]
	s_cbranch_execz .LBB59_210
.LBB59_2260:
	v_cmp_ne_u16_e32 vcc, 0, v3
	s_andn2_b64 s[4:5], s[4:5], exec
	s_and_b64 s[8:9], vcc, exec
	v_mov_b32_e32 v2, 0
	s_or_b64 s[4:5], s[4:5], s[8:9]
	s_or_b64 exec, exec, s[6:7]
	s_and_saveexec_b64 s[6:7], s[4:5]
	s_cbranch_execnz .LBB59_211
	s_branch .LBB59_212
.LBB59_2261:
	s_movk_i32 s4, 0x80
	v_cmp_eq_u16_e32 vcc, s4, v3
	s_mov_b64 s[4:5], -1
                                        ; implicit-def: $sgpr10
	s_and_saveexec_b64 s[8:9], vcc
; %bb.2262:
	s_mov_b32 s10, 0x7f800001
	s_xor_b64 s[4:5], exec, -1
; %bb.2263:
	s_or_b64 exec, exec, s[8:9]
	s_and_b64 s[4:5], s[4:5], exec
                                        ; implicit-def: $vgpr3
	s_or_saveexec_b64 s[6:7], s[6:7]
	v_mov_b32_e32 v6, s10
	s_xor_b64 exec, exec, s[6:7]
	s_cbranch_execz .LBB59_214
.LBB59_2264:
	v_cmp_ne_u16_e32 vcc, 0, v3
	s_andn2_b64 s[4:5], s[4:5], exec
	s_and_b64 s[8:9], vcc, exec
	v_mov_b32_e32 v6, 0
	s_or_b64 s[4:5], s[4:5], s[8:9]
	s_or_b64 exec, exec, s[6:7]
	s_and_saveexec_b64 s[6:7], s[4:5]
	s_cbranch_execnz .LBB59_215
	s_branch .LBB59_216
.LBB59_2265:
	s_movk_i32 s4, 0x80
	v_cmp_eq_u16_sdwa s[12:13], v8, s4 src0_sel:BYTE_3 src1_sel:DWORD
	s_mov_b64 s[4:5], -1
                                        ; implicit-def: $sgpr10
	s_and_saveexec_b64 s[8:9], s[12:13]
; %bb.2266:
	s_mov_b32 s10, 0x7f800001
	s_xor_b64 s[4:5], exec, -1
; %bb.2267:
	s_or_b64 exec, exec, s[8:9]
	s_and_b64 s[4:5], s[4:5], exec
	s_or_saveexec_b64 s[6:7], s[6:7]
	v_mov_b32_e32 v2, s10
	s_xor_b64 exec, exec, s[6:7]
	s_cbranch_execz .LBB59_218
.LBB59_2268:
	v_mov_b32_e32 v2, 0
	v_cmp_ne_u16_sdwa s[8:9], v8, v2 src0_sel:BYTE_3 src1_sel:DWORD
	s_andn2_b64 s[4:5], s[4:5], exec
	s_and_b64 s[8:9], s[8:9], exec
	s_or_b64 s[4:5], s[4:5], s[8:9]
	s_or_b64 exec, exec, s[6:7]
	s_and_saveexec_b64 s[6:7], s[4:5]
	s_cbranch_execnz .LBB59_219
	s_branch .LBB59_220
.LBB59_2269:
	s_movk_i32 s4, 0x80
	v_cmp_eq_u16_sdwa s[12:13], v4, s4 src0_sel:BYTE_3 src1_sel:DWORD
	s_mov_b64 s[4:5], -1
                                        ; implicit-def: $sgpr10
	s_and_saveexec_b64 s[8:9], s[12:13]
; %bb.2270:
	s_mov_b32 s10, 0x7f800001
	s_xor_b64 s[4:5], exec, -1
; %bb.2271:
	s_or_b64 exec, exec, s[8:9]
	s_and_b64 s[4:5], s[4:5], exec
	s_or_saveexec_b64 s[6:7], s[6:7]
	v_mov_b32_e32 v3, s10
	s_xor_b64 exec, exec, s[6:7]
	s_cbranch_execz .LBB59_222
.LBB59_2272:
	v_mov_b32_e32 v3, 0
	v_cmp_ne_u16_sdwa s[8:9], v4, v3 src0_sel:BYTE_3 src1_sel:DWORD
	s_andn2_b64 s[4:5], s[4:5], exec
	s_and_b64 s[8:9], s[8:9], exec
	s_or_b64 s[4:5], s[4:5], s[8:9]
	s_or_b64 exec, exec, s[6:7]
	s_and_saveexec_b64 s[6:7], s[4:5]
	s_cbranch_execnz .LBB59_223
	s_branch .LBB59_224
.LBB59_2273:
	s_movk_i32 s4, 0x80
	v_cmp_eq_u16_sdwa s[12:13], v9, s4 src0_sel:BYTE_0 src1_sel:DWORD
	s_mov_b64 s[4:5], -1
                                        ; implicit-def: $sgpr10
	s_and_saveexec_b64 s[8:9], s[12:13]
; %bb.2274:
	s_mov_b32 s10, 0x7f800001
	s_xor_b64 s[4:5], exec, -1
; %bb.2275:
	s_or_b64 exec, exec, s[8:9]
	s_and_b64 s[4:5], s[4:5], exec
	s_or_saveexec_b64 s[6:7], s[6:7]
	v_mov_b32_e32 v2, s10
	s_xor_b64 exec, exec, s[6:7]
	s_cbranch_execz .LBB59_226
.LBB59_2276:
	v_mov_b32_e32 v2, 0
	v_cmp_ne_u16_sdwa s[8:9], v9, v2 src0_sel:BYTE_0 src1_sel:DWORD
	s_andn2_b64 s[4:5], s[4:5], exec
	s_and_b64 s[8:9], s[8:9], exec
	s_or_b64 s[4:5], s[4:5], s[8:9]
	s_or_b64 exec, exec, s[6:7]
	s_and_saveexec_b64 s[6:7], s[4:5]
	s_cbranch_execnz .LBB59_227
	s_branch .LBB59_228
.LBB59_2277:
	s_movk_i32 s4, 0x80
	v_cmp_eq_u16_sdwa s[12:13], v5, s4 src0_sel:BYTE_0 src1_sel:DWORD
	s_mov_b64 s[4:5], -1
                                        ; implicit-def: $sgpr10
	s_and_saveexec_b64 s[8:9], s[12:13]
; %bb.2278:
	s_mov_b32 s10, 0x7f800001
	s_xor_b64 s[4:5], exec, -1
; %bb.2279:
	s_or_b64 exec, exec, s[8:9]
	s_and_b64 s[4:5], s[4:5], exec
	s_or_saveexec_b64 s[6:7], s[6:7]
	v_mov_b32_e32 v3, s10
	s_xor_b64 exec, exec, s[6:7]
	s_cbranch_execz .LBB59_230
.LBB59_2280:
	v_mov_b32_e32 v3, 0
	v_cmp_ne_u16_sdwa s[8:9], v5, v3 src0_sel:BYTE_0 src1_sel:DWORD
	s_andn2_b64 s[4:5], s[4:5], exec
	s_and_b64 s[8:9], s[8:9], exec
	s_or_b64 s[4:5], s[4:5], s[8:9]
	s_or_b64 exec, exec, s[6:7]
	s_and_saveexec_b64 s[6:7], s[4:5]
	s_cbranch_execnz .LBB59_231
	s_branch .LBB59_232
.LBB59_2281:
	s_movk_i32 s4, 0x80
	v_cmp_eq_u16_sdwa s[12:13], v3, s4 src0_sel:BYTE_0 src1_sel:DWORD
	s_mov_b64 s[4:5], -1
                                        ; implicit-def: $sgpr10
	s_and_saveexec_b64 s[8:9], s[12:13]
; %bb.2282:
	s_mov_b32 s10, 0x7f800001
	s_xor_b64 s[4:5], exec, -1
; %bb.2283:
	s_or_b64 exec, exec, s[8:9]
	s_and_b64 s[4:5], s[4:5], exec
	s_or_saveexec_b64 s[6:7], s[6:7]
	v_mov_b32_e32 v2, s10
	s_xor_b64 exec, exec, s[6:7]
	s_cbranch_execz .LBB59_234
.LBB59_2284:
	v_mov_b32_e32 v2, 0
	v_cmp_ne_u16_sdwa s[8:9], v3, v2 src0_sel:BYTE_0 src1_sel:DWORD
	s_andn2_b64 s[4:5], s[4:5], exec
	s_and_b64 s[8:9], s[8:9], exec
	s_or_b64 s[4:5], s[4:5], s[8:9]
	s_or_b64 exec, exec, s[6:7]
	s_and_saveexec_b64 s[6:7], s[4:5]
	s_cbranch_execnz .LBB59_235
	s_branch .LBB59_236
.LBB59_2285:
	s_movk_i32 s4, 0x80
	v_cmp_eq_u16_sdwa s[12:13], v3, s4 src0_sel:BYTE_0 src1_sel:DWORD
	s_mov_b64 s[4:5], -1
                                        ; implicit-def: $sgpr10
	s_and_saveexec_b64 s[8:9], s[12:13]
; %bb.2286:
	s_mov_b32 s10, 0x7f800001
	s_xor_b64 s[4:5], exec, -1
; %bb.2287:
	s_or_b64 exec, exec, s[8:9]
	s_and_b64 s[4:5], s[4:5], exec
	s_or_saveexec_b64 s[6:7], s[6:7]
	v_mov_b32_e32 v4, s10
	s_xor_b64 exec, exec, s[6:7]
	s_cbranch_execz .LBB59_238
.LBB59_2288:
	v_mov_b32_e32 v4, 0
	v_cmp_ne_u16_sdwa s[8:9], v3, v4 src0_sel:BYTE_0 src1_sel:DWORD
	s_andn2_b64 s[4:5], s[4:5], exec
	s_and_b64 s[8:9], s[8:9], exec
	s_or_b64 s[4:5], s[4:5], s[8:9]
	s_or_b64 exec, exec, s[6:7]
	s_and_saveexec_b64 s[6:7], s[4:5]
	s_cbranch_execnz .LBB59_239
	s_branch .LBB59_240
.LBB59_2289:
	s_movk_i32 s4, 0x80
	v_cmp_eq_u16_e32 vcc, s4, v3
	s_mov_b64 s[4:5], -1
                                        ; implicit-def: $sgpr10
	s_and_saveexec_b64 s[8:9], vcc
; %bb.2290:
	s_mov_b32 s10, 0x7f800001
	s_xor_b64 s[4:5], exec, -1
; %bb.2291:
	s_or_b64 exec, exec, s[8:9]
	s_and_b64 s[4:5], s[4:5], exec
                                        ; implicit-def: $vgpr3
	s_or_saveexec_b64 s[6:7], s[6:7]
	v_mov_b32_e32 v2, s10
	s_xor_b64 exec, exec, s[6:7]
	s_cbranch_execz .LBB59_242
.LBB59_2292:
	v_cmp_ne_u16_e32 vcc, 0, v3
	s_andn2_b64 s[4:5], s[4:5], exec
	s_and_b64 s[8:9], vcc, exec
	v_mov_b32_e32 v2, 0
	s_or_b64 s[4:5], s[4:5], s[8:9]
	s_or_b64 exec, exec, s[6:7]
	s_and_saveexec_b64 s[6:7], s[4:5]
	s_cbranch_execnz .LBB59_243
	s_branch .LBB59_244
.LBB59_2293:
	s_movk_i32 s4, 0x80
	v_cmp_eq_u16_e32 vcc, s4, v3
	s_mov_b64 s[4:5], -1
                                        ; implicit-def: $sgpr10
	s_and_saveexec_b64 s[8:9], vcc
; %bb.2294:
	s_mov_b32 s10, 0x7f800001
	s_xor_b64 s[4:5], exec, -1
; %bb.2295:
	s_or_b64 exec, exec, s[8:9]
	s_and_b64 s[4:5], s[4:5], exec
                                        ; implicit-def: $vgpr3
	s_or_saveexec_b64 s[6:7], s[6:7]
	v_mov_b32_e32 v4, s10
	s_xor_b64 exec, exec, s[6:7]
	s_cbranch_execz .LBB59_246
.LBB59_2296:
	v_cmp_ne_u16_e32 vcc, 0, v3
	s_andn2_b64 s[4:5], s[4:5], exec
	s_and_b64 s[8:9], vcc, exec
	v_mov_b32_e32 v4, 0
	s_or_b64 s[4:5], s[4:5], s[8:9]
	s_or_b64 exec, exec, s[6:7]
	s_and_saveexec_b64 s[6:7], s[4:5]
	s_cbranch_execnz .LBB59_247
	s_branch .LBB59_248
.LBB59_2297:
	s_movk_i32 s4, 0x80
	v_cmp_eq_u16_sdwa s[12:13], v9, s4 src0_sel:BYTE_3 src1_sel:DWORD
	s_mov_b64 s[4:5], -1
                                        ; implicit-def: $sgpr10
	s_and_saveexec_b64 s[8:9], s[12:13]
; %bb.2298:
	s_mov_b32 s10, 0x7f800001
	s_xor_b64 s[4:5], exec, -1
; %bb.2299:
	s_or_b64 exec, exec, s[8:9]
	s_and_b64 s[4:5], s[4:5], exec
	s_or_saveexec_b64 s[6:7], s[6:7]
	v_mov_b32_e32 v2, s10
	s_xor_b64 exec, exec, s[6:7]
	s_cbranch_execz .LBB59_250
.LBB59_2300:
	v_mov_b32_e32 v2, 0
	v_cmp_ne_u16_sdwa s[8:9], v9, v2 src0_sel:BYTE_3 src1_sel:DWORD
	s_andn2_b64 s[4:5], s[4:5], exec
	s_and_b64 s[8:9], s[8:9], exec
	s_or_b64 s[4:5], s[4:5], s[8:9]
	s_or_b64 exec, exec, s[6:7]
	s_and_saveexec_b64 s[6:7], s[4:5]
	s_cbranch_execnz .LBB59_251
	s_branch .LBB59_252
.LBB59_2301:
	s_movk_i32 s4, 0x80
	v_cmp_eq_u16_sdwa s[12:13], v5, s4 src0_sel:BYTE_3 src1_sel:DWORD
	s_mov_b64 s[4:5], -1
                                        ; implicit-def: $sgpr10
	s_and_saveexec_b64 s[8:9], s[12:13]
; %bb.2302:
	s_mov_b32 s10, 0x7f800001
	s_xor_b64 s[4:5], exec, -1
; %bb.2303:
	s_or_b64 exec, exec, s[8:9]
	s_and_b64 s[4:5], s[4:5], exec
	s_or_saveexec_b64 s[6:7], s[6:7]
	v_mov_b32_e32 v3, s10
	s_xor_b64 exec, exec, s[6:7]
	s_cbranch_execz .LBB59_254
.LBB59_2304:
	v_mov_b32_e32 v3, 0
	v_cmp_ne_u16_sdwa s[8:9], v5, v3 src0_sel:BYTE_3 src1_sel:DWORD
	s_andn2_b64 s[4:5], s[4:5], exec
	s_and_b64 s[8:9], s[8:9], exec
	s_or_b64 s[4:5], s[4:5], s[8:9]
	s_or_b64 exec, exec, s[6:7]
	s_and_saveexec_b64 s[6:7], s[4:5]
	s_cbranch_execnz .LBB59_255
	s_branch .LBB59_256
.LBB59_2305:
	s_movk_i32 s4, 0x80
	v_cmp_eq_u16_sdwa s[12:13], v14, s4 src0_sel:BYTE_0 src1_sel:DWORD
	s_mov_b64 s[4:5], -1
                                        ; implicit-def: $sgpr10
	s_and_saveexec_b64 s[8:9], s[12:13]
; %bb.2306:
	s_mov_b32 s10, 0x7f800001
	s_xor_b64 s[4:5], exec, -1
; %bb.2307:
	s_or_b64 exec, exec, s[8:9]
	s_and_b64 s[4:5], s[4:5], exec
	s_or_saveexec_b64 s[6:7], s[6:7]
	v_mov_b32_e32 v20, s10
	s_xor_b64 exec, exec, s[6:7]
	s_cbranch_execz .LBB59_258
.LBB59_2308:
	v_mov_b32_e32 v20, 0
	v_cmp_ne_u16_sdwa s[8:9], v14, v20 src0_sel:BYTE_0 src1_sel:DWORD
	s_andn2_b64 s[4:5], s[4:5], exec
	s_and_b64 s[8:9], s[8:9], exec
	s_or_b64 s[4:5], s[4:5], s[8:9]
	s_or_b64 exec, exec, s[6:7]
	s_and_saveexec_b64 s[6:7], s[4:5]
	s_cbranch_execnz .LBB59_259
	s_branch .LBB59_260
.LBB59_2309:
	s_movk_i32 s4, 0x80
	v_cmp_eq_u16_sdwa s[12:13], v10, s4 src0_sel:BYTE_0 src1_sel:DWORD
	s_mov_b64 s[4:5], -1
                                        ; implicit-def: $sgpr10
	s_and_saveexec_b64 s[8:9], s[12:13]
; %bb.2310:
	s_mov_b32 s10, 0x7f800001
	s_xor_b64 s[4:5], exec, -1
; %bb.2311:
	s_or_b64 exec, exec, s[8:9]
	s_and_b64 s[4:5], s[4:5], exec
	s_or_saveexec_b64 s[6:7], s[6:7]
	v_mov_b32_e32 v21, s10
	s_xor_b64 exec, exec, s[6:7]
	s_cbranch_execz .LBB59_262
.LBB59_2312:
	v_mov_b32_e32 v21, 0
	v_cmp_ne_u16_sdwa s[8:9], v10, v21 src0_sel:BYTE_0 src1_sel:DWORD
	s_andn2_b64 s[4:5], s[4:5], exec
	s_and_b64 s[8:9], s[8:9], exec
	s_or_b64 s[4:5], s[4:5], s[8:9]
	s_or_b64 exec, exec, s[6:7]
	s_and_saveexec_b64 s[6:7], s[4:5]
	s_cbranch_execnz .LBB59_263
	s_branch .LBB59_264
.LBB59_2313:
	s_movk_i32 s4, 0x80
	v_cmp_eq_u16_sdwa s[12:13], v21, s4 src0_sel:BYTE_0 src1_sel:DWORD
	s_mov_b64 s[4:5], -1
                                        ; implicit-def: $sgpr10
	s_and_saveexec_b64 s[8:9], s[12:13]
; %bb.2314:
	s_mov_b32 s10, 0x7f800001
	s_xor_b64 s[4:5], exec, -1
; %bb.2315:
	s_or_b64 exec, exec, s[8:9]
	s_and_b64 s[4:5], s[4:5], exec
	s_or_saveexec_b64 s[6:7], s[6:7]
	v_mov_b32_e32 v20, s10
	s_xor_b64 exec, exec, s[6:7]
	s_cbranch_execz .LBB59_266
.LBB59_2316:
	v_mov_b32_e32 v20, 0
	v_cmp_ne_u16_sdwa s[8:9], v21, v20 src0_sel:BYTE_0 src1_sel:DWORD
	s_andn2_b64 s[4:5], s[4:5], exec
	s_and_b64 s[8:9], s[8:9], exec
	s_or_b64 s[4:5], s[4:5], s[8:9]
	s_or_b64 exec, exec, s[6:7]
	s_and_saveexec_b64 s[6:7], s[4:5]
	s_cbranch_execnz .LBB59_267
	s_branch .LBB59_268
.LBB59_2317:
	s_movk_i32 s4, 0x80
	v_cmp_eq_u16_sdwa s[12:13], v21, s4 src0_sel:BYTE_0 src1_sel:DWORD
	s_mov_b64 s[4:5], -1
                                        ; implicit-def: $sgpr10
	s_and_saveexec_b64 s[8:9], s[12:13]
; %bb.2318:
	s_mov_b32 s10, 0x7f800001
	s_xor_b64 s[4:5], exec, -1
; %bb.2319:
	s_or_b64 exec, exec, s[8:9]
	s_and_b64 s[4:5], s[4:5], exec
	s_or_saveexec_b64 s[6:7], s[6:7]
	v_mov_b32_e32 v22, s10
	s_xor_b64 exec, exec, s[6:7]
	s_cbranch_execz .LBB59_270
.LBB59_2320:
	v_mov_b32_e32 v22, 0
	v_cmp_ne_u16_sdwa s[8:9], v21, v22 src0_sel:BYTE_0 src1_sel:DWORD
	s_andn2_b64 s[4:5], s[4:5], exec
	s_and_b64 s[8:9], s[8:9], exec
	s_or_b64 s[4:5], s[4:5], s[8:9]
	s_or_b64 exec, exec, s[6:7]
	s_and_saveexec_b64 s[6:7], s[4:5]
	s_cbranch_execnz .LBB59_271
	s_branch .LBB59_272
.LBB59_2321:
	s_movk_i32 s4, 0x80
	v_cmp_eq_u16_e32 vcc, s4, v21
	s_mov_b64 s[4:5], -1
                                        ; implicit-def: $sgpr10
	s_and_saveexec_b64 s[8:9], vcc
; %bb.2322:
	s_mov_b32 s10, 0x7f800001
	s_xor_b64 s[4:5], exec, -1
; %bb.2323:
	s_or_b64 exec, exec, s[8:9]
	s_and_b64 s[4:5], s[4:5], exec
                                        ; implicit-def: $vgpr21
	s_or_saveexec_b64 s[6:7], s[6:7]
	v_mov_b32_e32 v20, s10
	s_xor_b64 exec, exec, s[6:7]
	s_cbranch_execz .LBB59_274
.LBB59_2324:
	v_cmp_ne_u16_e32 vcc, 0, v21
	s_andn2_b64 s[4:5], s[4:5], exec
	s_and_b64 s[8:9], vcc, exec
	v_mov_b32_e32 v20, 0
	s_or_b64 s[4:5], s[4:5], s[8:9]
	s_or_b64 exec, exec, s[6:7]
	s_and_saveexec_b64 s[6:7], s[4:5]
	s_cbranch_execnz .LBB59_275
	s_branch .LBB59_276
.LBB59_2325:
	s_movk_i32 s4, 0x80
	v_cmp_eq_u16_e32 vcc, s4, v21
	s_mov_b64 s[4:5], -1
                                        ; implicit-def: $sgpr10
	s_and_saveexec_b64 s[8:9], vcc
; %bb.2326:
	s_mov_b32 s10, 0x7f800001
	s_xor_b64 s[4:5], exec, -1
; %bb.2327:
	s_or_b64 exec, exec, s[8:9]
	s_and_b64 s[4:5], s[4:5], exec
                                        ; implicit-def: $vgpr21
	s_or_saveexec_b64 s[6:7], s[6:7]
	v_mov_b32_e32 v22, s10
	s_xor_b64 exec, exec, s[6:7]
	s_cbranch_execz .LBB59_278
.LBB59_2328:
	v_cmp_ne_u16_e32 vcc, 0, v21
	s_andn2_b64 s[4:5], s[4:5], exec
	s_and_b64 s[8:9], vcc, exec
	v_mov_b32_e32 v22, 0
	s_or_b64 s[4:5], s[4:5], s[8:9]
	s_or_b64 exec, exec, s[6:7]
	s_and_saveexec_b64 s[6:7], s[4:5]
	s_cbranch_execnz .LBB59_279
	s_branch .LBB59_280
.LBB59_2329:
	s_movk_i32 s4, 0x80
	v_cmp_eq_u16_sdwa s[12:13], v14, s4 src0_sel:BYTE_3 src1_sel:DWORD
	s_mov_b64 s[4:5], -1
                                        ; implicit-def: $sgpr10
	s_and_saveexec_b64 s[8:9], s[12:13]
; %bb.2330:
	s_mov_b32 s10, 0x7f800001
	s_xor_b64 s[4:5], exec, -1
; %bb.2331:
	s_or_b64 exec, exec, s[8:9]
	s_and_b64 s[4:5], s[4:5], exec
	s_or_saveexec_b64 s[6:7], s[6:7]
	v_mov_b32_e32 v20, s10
	s_xor_b64 exec, exec, s[6:7]
	s_cbranch_execz .LBB59_282
.LBB59_2332:
	v_mov_b32_e32 v20, 0
	v_cmp_ne_u16_sdwa s[8:9], v14, v20 src0_sel:BYTE_3 src1_sel:DWORD
	s_andn2_b64 s[4:5], s[4:5], exec
	s_and_b64 s[8:9], s[8:9], exec
	s_or_b64 s[4:5], s[4:5], s[8:9]
	s_or_b64 exec, exec, s[6:7]
	s_and_saveexec_b64 s[6:7], s[4:5]
	s_cbranch_execnz .LBB59_283
	s_branch .LBB59_284
.LBB59_2333:
	s_movk_i32 s4, 0x80
	v_cmp_eq_u16_sdwa s[12:13], v10, s4 src0_sel:BYTE_3 src1_sel:DWORD
	s_mov_b64 s[4:5], -1
                                        ; implicit-def: $sgpr10
	s_and_saveexec_b64 s[8:9], s[12:13]
; %bb.2334:
	s_mov_b32 s10, 0x7f800001
	s_xor_b64 s[4:5], exec, -1
; %bb.2335:
	s_or_b64 exec, exec, s[8:9]
	s_and_b64 s[4:5], s[4:5], exec
	s_or_saveexec_b64 s[6:7], s[6:7]
	v_mov_b32_e32 v14, s10
	s_xor_b64 exec, exec, s[6:7]
	s_cbranch_execz .LBB59_286
.LBB59_2336:
	v_mov_b32_e32 v14, 0
	v_cmp_ne_u16_sdwa s[8:9], v10, v14 src0_sel:BYTE_3 src1_sel:DWORD
	s_andn2_b64 s[4:5], s[4:5], exec
	s_and_b64 s[8:9], s[8:9], exec
	s_or_b64 s[4:5], s[4:5], s[8:9]
	s_or_b64 exec, exec, s[6:7]
	s_and_saveexec_b64 s[6:7], s[4:5]
	s_cbranch_execnz .LBB59_287
	s_branch .LBB59_288
.LBB59_2337:
	s_movk_i32 s4, 0x80
	v_cmp_eq_u16_sdwa s[12:13], v15, s4 src0_sel:BYTE_0 src1_sel:DWORD
	s_mov_b64 s[4:5], -1
                                        ; implicit-def: $sgpr10
	s_and_saveexec_b64 s[8:9], s[12:13]
; %bb.2338:
	s_mov_b32 s10, 0x7f800001
	s_xor_b64 s[4:5], exec, -1
; %bb.2339:
	s_or_b64 exec, exec, s[8:9]
	s_and_b64 s[4:5], s[4:5], exec
	s_or_saveexec_b64 s[6:7], s[6:7]
	v_mov_b32_e32 v10, s10
	s_xor_b64 exec, exec, s[6:7]
	s_cbranch_execz .LBB59_290
.LBB59_2340:
	v_mov_b32_e32 v10, 0
	v_cmp_ne_u16_sdwa s[8:9], v15, v10 src0_sel:BYTE_0 src1_sel:DWORD
	s_andn2_b64 s[4:5], s[4:5], exec
	s_and_b64 s[8:9], s[8:9], exec
	s_or_b64 s[4:5], s[4:5], s[8:9]
	s_or_b64 exec, exec, s[6:7]
	s_and_saveexec_b64 s[6:7], s[4:5]
	s_cbranch_execnz .LBB59_291
	s_branch .LBB59_292
.LBB59_2341:
	s_movk_i32 s4, 0x80
	v_cmp_eq_u16_sdwa s[12:13], v11, s4 src0_sel:BYTE_0 src1_sel:DWORD
	s_mov_b64 s[4:5], -1
                                        ; implicit-def: $sgpr10
	s_and_saveexec_b64 s[8:9], s[12:13]
; %bb.2342:
	s_mov_b32 s10, 0x7f800001
	s_xor_b64 s[4:5], exec, -1
; %bb.2343:
	s_or_b64 exec, exec, s[8:9]
	s_and_b64 s[4:5], s[4:5], exec
	s_or_saveexec_b64 s[6:7], s[6:7]
	v_mov_b32_e32 v14, s10
	s_xor_b64 exec, exec, s[6:7]
	s_cbranch_execz .LBB59_294
.LBB59_2344:
	v_mov_b32_e32 v14, 0
	v_cmp_ne_u16_sdwa s[8:9], v11, v14 src0_sel:BYTE_0 src1_sel:DWORD
	s_andn2_b64 s[4:5], s[4:5], exec
	s_and_b64 s[8:9], s[8:9], exec
	s_or_b64 s[4:5], s[4:5], s[8:9]
	s_or_b64 exec, exec, s[6:7]
	s_and_saveexec_b64 s[6:7], s[4:5]
	s_cbranch_execnz .LBB59_295
	s_branch .LBB59_296
.LBB59_2345:
	s_movk_i32 s4, 0x80
	v_cmp_eq_u16_sdwa s[12:13], v14, s4 src0_sel:BYTE_0 src1_sel:DWORD
	s_mov_b64 s[4:5], -1
                                        ; implicit-def: $sgpr10
	s_and_saveexec_b64 s[8:9], s[12:13]
; %bb.2346:
	s_mov_b32 s10, 0x7f800001
	s_xor_b64 s[4:5], exec, -1
; %bb.2347:
	s_or_b64 exec, exec, s[8:9]
	s_and_b64 s[4:5], s[4:5], exec
	s_or_saveexec_b64 s[6:7], s[6:7]
	v_mov_b32_e32 v10, s10
	s_xor_b64 exec, exec, s[6:7]
	s_cbranch_execz .LBB59_298
.LBB59_2348:
	v_mov_b32_e32 v10, 0
	v_cmp_ne_u16_sdwa s[8:9], v14, v10 src0_sel:BYTE_0 src1_sel:DWORD
	s_andn2_b64 s[4:5], s[4:5], exec
	s_and_b64 s[8:9], s[8:9], exec
	s_or_b64 s[4:5], s[4:5], s[8:9]
	s_or_b64 exec, exec, s[6:7]
	s_and_saveexec_b64 s[6:7], s[4:5]
	s_cbranch_execnz .LBB59_299
	s_branch .LBB59_300
.LBB59_2349:
	s_movk_i32 s4, 0x80
	v_cmp_eq_u16_sdwa s[12:13], v14, s4 src0_sel:BYTE_0 src1_sel:DWORD
	s_mov_b64 s[4:5], -1
                                        ; implicit-def: $sgpr10
	s_and_saveexec_b64 s[8:9], s[12:13]
; %bb.2350:
	s_mov_b32 s10, 0x7f800001
	s_xor_b64 s[4:5], exec, -1
; %bb.2351:
	s_or_b64 exec, exec, s[8:9]
	s_and_b64 s[4:5], s[4:5], exec
	s_or_saveexec_b64 s[6:7], s[6:7]
	v_mov_b32_e32 v20, s10
	s_xor_b64 exec, exec, s[6:7]
	s_cbranch_execz .LBB59_302
.LBB59_2352:
	v_mov_b32_e32 v20, 0
	v_cmp_ne_u16_sdwa s[8:9], v14, v20 src0_sel:BYTE_0 src1_sel:DWORD
	s_andn2_b64 s[4:5], s[4:5], exec
	s_and_b64 s[8:9], s[8:9], exec
	s_or_b64 s[4:5], s[4:5], s[8:9]
	s_or_b64 exec, exec, s[6:7]
	s_and_saveexec_b64 s[6:7], s[4:5]
	s_cbranch_execnz .LBB59_303
	s_branch .LBB59_304
.LBB59_2353:
	s_movk_i32 s4, 0x80
	v_cmp_eq_u16_e32 vcc, s4, v14
	s_mov_b64 s[4:5], -1
                                        ; implicit-def: $sgpr10
	s_and_saveexec_b64 s[8:9], vcc
; %bb.2354:
	s_mov_b32 s10, 0x7f800001
	s_xor_b64 s[4:5], exec, -1
; %bb.2355:
	s_or_b64 exec, exec, s[8:9]
	s_and_b64 s[4:5], s[4:5], exec
                                        ; implicit-def: $vgpr14
	s_or_saveexec_b64 s[6:7], s[6:7]
	v_mov_b32_e32 v10, s10
	s_xor_b64 exec, exec, s[6:7]
	s_cbranch_execz .LBB59_306
.LBB59_2356:
	v_cmp_ne_u16_e32 vcc, 0, v14
	s_andn2_b64 s[4:5], s[4:5], exec
	s_and_b64 s[8:9], vcc, exec
	v_mov_b32_e32 v10, 0
	s_or_b64 s[4:5], s[4:5], s[8:9]
	s_or_b64 exec, exec, s[6:7]
	s_and_saveexec_b64 s[6:7], s[4:5]
	s_cbranch_execnz .LBB59_307
	s_branch .LBB59_308
.LBB59_2357:
	s_movk_i32 s4, 0x80
	v_cmp_eq_u16_e32 vcc, s4, v14
	s_mov_b64 s[4:5], -1
                                        ; implicit-def: $sgpr10
	s_and_saveexec_b64 s[8:9], vcc
; %bb.2358:
	s_mov_b32 s10, 0x7f800001
	s_xor_b64 s[4:5], exec, -1
; %bb.2359:
	s_or_b64 exec, exec, s[8:9]
	s_and_b64 s[4:5], s[4:5], exec
                                        ; implicit-def: $vgpr14
	s_or_saveexec_b64 s[6:7], s[6:7]
	v_mov_b32_e32 v20, s10
	s_xor_b64 exec, exec, s[6:7]
	s_cbranch_execz .LBB59_310
.LBB59_2360:
	v_cmp_ne_u16_e32 vcc, 0, v14
	s_andn2_b64 s[4:5], s[4:5], exec
	s_and_b64 s[8:9], vcc, exec
	v_mov_b32_e32 v20, 0
	s_or_b64 s[4:5], s[4:5], s[8:9]
	s_or_b64 exec, exec, s[6:7]
	s_and_saveexec_b64 s[6:7], s[4:5]
	s_cbranch_execnz .LBB59_311
	s_branch .LBB59_312
.LBB59_2361:
	s_movk_i32 s4, 0x80
	v_cmp_eq_u16_sdwa s[12:13], v15, s4 src0_sel:BYTE_3 src1_sel:DWORD
	s_mov_b64 s[4:5], -1
                                        ; implicit-def: $sgpr10
	s_and_saveexec_b64 s[8:9], s[12:13]
; %bb.2362:
	s_mov_b32 s10, 0x7f800001
	s_xor_b64 s[4:5], exec, -1
; %bb.2363:
	s_or_b64 exec, exec, s[8:9]
	s_and_b64 s[4:5], s[4:5], exec
	s_or_saveexec_b64 s[6:7], s[6:7]
	v_mov_b32_e32 v10, s10
	s_xor_b64 exec, exec, s[6:7]
	s_cbranch_execz .LBB59_314
.LBB59_2364:
	v_mov_b32_e32 v10, 0
	v_cmp_ne_u16_sdwa s[8:9], v15, v10 src0_sel:BYTE_3 src1_sel:DWORD
	s_andn2_b64 s[4:5], s[4:5], exec
	s_and_b64 s[8:9], s[8:9], exec
	s_or_b64 s[4:5], s[4:5], s[8:9]
	s_or_b64 exec, exec, s[6:7]
	s_and_saveexec_b64 s[6:7], s[4:5]
	s_cbranch_execnz .LBB59_315
	s_branch .LBB59_316
.LBB59_2365:
	s_movk_i32 s4, 0x80
	v_cmp_eq_u16_sdwa s[12:13], v11, s4 src0_sel:BYTE_3 src1_sel:DWORD
	s_mov_b64 s[4:5], -1
                                        ; implicit-def: $sgpr10
	s_and_saveexec_b64 s[8:9], s[12:13]
; %bb.2366:
	s_mov_b32 s10, 0x7f800001
	s_xor_b64 s[4:5], exec, -1
; %bb.2367:
	s_or_b64 exec, exec, s[8:9]
	s_and_b64 s[4:5], s[4:5], exec
	s_or_saveexec_b64 s[6:7], s[6:7]
	v_mov_b32_e32 v14, s10
	s_xor_b64 exec, exec, s[6:7]
	s_cbranch_execz .LBB59_318
.LBB59_2368:
	v_mov_b32_e32 v14, 0
	v_cmp_ne_u16_sdwa s[8:9], v11, v14 src0_sel:BYTE_3 src1_sel:DWORD
	s_andn2_b64 s[4:5], s[4:5], exec
	s_and_b64 s[8:9], s[8:9], exec
	s_or_b64 s[4:5], s[4:5], s[8:9]
	s_or_b64 exec, exec, s[6:7]
	s_and_saveexec_b64 s[6:7], s[4:5]
	s_cbranch_execnz .LBB59_319
	s_branch .LBB59_320
.LBB59_2369:
	s_movk_i32 s4, 0x80
	v_cmp_eq_u16_sdwa s[12:13], v16, s4 src0_sel:BYTE_0 src1_sel:DWORD
	s_mov_b64 s[4:5], -1
                                        ; implicit-def: $sgpr10
	s_and_saveexec_b64 s[8:9], s[12:13]
; %bb.2370:
	s_mov_b32 s10, 0x7f800001
	s_xor_b64 s[4:5], exec, -1
; %bb.2371:
	s_or_b64 exec, exec, s[8:9]
	s_and_b64 s[4:5], s[4:5], exec
	s_or_saveexec_b64 s[6:7], s[6:7]
	v_mov_b32_e32 v10, s10
	s_xor_b64 exec, exec, s[6:7]
	s_cbranch_execz .LBB59_322
.LBB59_2372:
	v_mov_b32_e32 v10, 0
	v_cmp_ne_u16_sdwa s[8:9], v16, v10 src0_sel:BYTE_0 src1_sel:DWORD
	s_andn2_b64 s[4:5], s[4:5], exec
	s_and_b64 s[8:9], s[8:9], exec
	s_or_b64 s[4:5], s[4:5], s[8:9]
	s_or_b64 exec, exec, s[6:7]
	s_and_saveexec_b64 s[6:7], s[4:5]
	s_cbranch_execnz .LBB59_323
	s_branch .LBB59_324
.LBB59_2373:
	s_movk_i32 s4, 0x80
	v_cmp_eq_u16_sdwa s[12:13], v12, s4 src0_sel:BYTE_0 src1_sel:DWORD
	s_mov_b64 s[4:5], -1
                                        ; implicit-def: $sgpr10
	s_and_saveexec_b64 s[8:9], s[12:13]
; %bb.2374:
	s_mov_b32 s10, 0x7f800001
	s_xor_b64 s[4:5], exec, -1
; %bb.2375:
	s_or_b64 exec, exec, s[8:9]
	s_and_b64 s[4:5], s[4:5], exec
	s_or_saveexec_b64 s[6:7], s[6:7]
	v_mov_b32_e32 v11, s10
	s_xor_b64 exec, exec, s[6:7]
	s_cbranch_execz .LBB59_326
.LBB59_2376:
	v_mov_b32_e32 v11, 0
	v_cmp_ne_u16_sdwa s[8:9], v12, v11 src0_sel:BYTE_0 src1_sel:DWORD
	s_andn2_b64 s[4:5], s[4:5], exec
	s_and_b64 s[8:9], s[8:9], exec
	s_or_b64 s[4:5], s[4:5], s[8:9]
	s_or_b64 exec, exec, s[6:7]
	s_and_saveexec_b64 s[6:7], s[4:5]
	s_cbranch_execnz .LBB59_327
	s_branch .LBB59_328
.LBB59_2377:
	s_movk_i32 s4, 0x80
	v_cmp_eq_u16_sdwa s[12:13], v11, s4 src0_sel:BYTE_0 src1_sel:DWORD
	s_mov_b64 s[4:5], -1
                                        ; implicit-def: $sgpr10
	s_and_saveexec_b64 s[8:9], s[12:13]
; %bb.2378:
	s_mov_b32 s10, 0x7f800001
	s_xor_b64 s[4:5], exec, -1
; %bb.2379:
	s_or_b64 exec, exec, s[8:9]
	s_and_b64 s[4:5], s[4:5], exec
	s_or_saveexec_b64 s[6:7], s[6:7]
	v_mov_b32_e32 v10, s10
	s_xor_b64 exec, exec, s[6:7]
	s_cbranch_execz .LBB59_330
.LBB59_2380:
	v_mov_b32_e32 v10, 0
	v_cmp_ne_u16_sdwa s[8:9], v11, v10 src0_sel:BYTE_0 src1_sel:DWORD
	s_andn2_b64 s[4:5], s[4:5], exec
	s_and_b64 s[8:9], s[8:9], exec
	s_or_b64 s[4:5], s[4:5], s[8:9]
	s_or_b64 exec, exec, s[6:7]
	s_and_saveexec_b64 s[6:7], s[4:5]
	s_cbranch_execnz .LBB59_331
	s_branch .LBB59_332
.LBB59_2381:
	s_movk_i32 s4, 0x80
	v_cmp_eq_u16_sdwa s[12:13], v11, s4 src0_sel:BYTE_0 src1_sel:DWORD
	s_mov_b64 s[4:5], -1
                                        ; implicit-def: $sgpr10
	s_and_saveexec_b64 s[8:9], s[12:13]
; %bb.2382:
	s_mov_b32 s10, 0x7f800001
	s_xor_b64 s[4:5], exec, -1
; %bb.2383:
	s_or_b64 exec, exec, s[8:9]
	s_and_b64 s[4:5], s[4:5], exec
	s_or_saveexec_b64 s[6:7], s[6:7]
	v_mov_b32_e32 v14, s10
	s_xor_b64 exec, exec, s[6:7]
	s_cbranch_execz .LBB59_334
.LBB59_2384:
	v_mov_b32_e32 v14, 0
	v_cmp_ne_u16_sdwa s[8:9], v11, v14 src0_sel:BYTE_0 src1_sel:DWORD
	s_andn2_b64 s[4:5], s[4:5], exec
	s_and_b64 s[8:9], s[8:9], exec
	s_or_b64 s[4:5], s[4:5], s[8:9]
	s_or_b64 exec, exec, s[6:7]
	s_and_saveexec_b64 s[6:7], s[4:5]
	s_cbranch_execnz .LBB59_335
	s_branch .LBB59_336
.LBB59_2385:
	s_movk_i32 s4, 0x80
	v_cmp_eq_u16_e32 vcc, s4, v11
	s_mov_b64 s[4:5], -1
                                        ; implicit-def: $sgpr10
	s_and_saveexec_b64 s[8:9], vcc
; %bb.2386:
	s_mov_b32 s10, 0x7f800001
	s_xor_b64 s[4:5], exec, -1
; %bb.2387:
	s_or_b64 exec, exec, s[8:9]
	s_and_b64 s[4:5], s[4:5], exec
                                        ; implicit-def: $vgpr11
	s_or_saveexec_b64 s[6:7], s[6:7]
	v_mov_b32_e32 v10, s10
	s_xor_b64 exec, exec, s[6:7]
	s_cbranch_execz .LBB59_338
.LBB59_2388:
	v_cmp_ne_u16_e32 vcc, 0, v11
	s_andn2_b64 s[4:5], s[4:5], exec
	s_and_b64 s[8:9], vcc, exec
	v_mov_b32_e32 v10, 0
	s_or_b64 s[4:5], s[4:5], s[8:9]
	s_or_b64 exec, exec, s[6:7]
	s_and_saveexec_b64 s[6:7], s[4:5]
	s_cbranch_execnz .LBB59_339
	s_branch .LBB59_340
.LBB59_2389:
	s_movk_i32 s4, 0x80
	v_cmp_eq_u16_e32 vcc, s4, v11
	s_mov_b64 s[4:5], -1
                                        ; implicit-def: $sgpr10
	s_and_saveexec_b64 s[8:9], vcc
; %bb.2390:
	s_mov_b32 s10, 0x7f800001
	s_xor_b64 s[4:5], exec, -1
; %bb.2391:
	s_or_b64 exec, exec, s[8:9]
	s_and_b64 s[4:5], s[4:5], exec
                                        ; implicit-def: $vgpr11
	s_or_saveexec_b64 s[6:7], s[6:7]
	v_mov_b32_e32 v14, s10
	s_xor_b64 exec, exec, s[6:7]
	s_cbranch_execz .LBB59_342
.LBB59_2392:
	v_cmp_ne_u16_e32 vcc, 0, v11
	s_andn2_b64 s[4:5], s[4:5], exec
	s_and_b64 s[8:9], vcc, exec
	v_mov_b32_e32 v14, 0
	s_or_b64 s[4:5], s[4:5], s[8:9]
	s_or_b64 exec, exec, s[6:7]
	s_and_saveexec_b64 s[6:7], s[4:5]
	s_cbranch_execnz .LBB59_343
	s_branch .LBB59_344
.LBB59_2393:
	s_movk_i32 s4, 0x80
	v_cmp_eq_u16_sdwa s[12:13], v16, s4 src0_sel:BYTE_3 src1_sel:DWORD
	s_mov_b64 s[4:5], -1
                                        ; implicit-def: $sgpr10
	s_and_saveexec_b64 s[8:9], s[12:13]
; %bb.2394:
	s_mov_b32 s10, 0x7f800001
	s_xor_b64 s[4:5], exec, -1
; %bb.2395:
	s_or_b64 exec, exec, s[8:9]
	s_and_b64 s[4:5], s[4:5], exec
	s_or_saveexec_b64 s[6:7], s[6:7]
	v_mov_b32_e32 v10, s10
	s_xor_b64 exec, exec, s[6:7]
	s_cbranch_execz .LBB59_346
.LBB59_2396:
	v_mov_b32_e32 v10, 0
	v_cmp_ne_u16_sdwa s[8:9], v16, v10 src0_sel:BYTE_3 src1_sel:DWORD
	s_andn2_b64 s[4:5], s[4:5], exec
	s_and_b64 s[8:9], s[8:9], exec
	s_or_b64 s[4:5], s[4:5], s[8:9]
	s_or_b64 exec, exec, s[6:7]
	s_and_saveexec_b64 s[6:7], s[4:5]
	s_cbranch_execnz .LBB59_347
	s_branch .LBB59_348
.LBB59_2397:
	s_movk_i32 s4, 0x80
	v_cmp_eq_u16_sdwa s[12:13], v12, s4 src0_sel:BYTE_3 src1_sel:DWORD
	s_mov_b64 s[4:5], -1
                                        ; implicit-def: $sgpr10
	s_and_saveexec_b64 s[8:9], s[12:13]
; %bb.2398:
	s_mov_b32 s10, 0x7f800001
	s_xor_b64 s[4:5], exec, -1
; %bb.2399:
	s_or_b64 exec, exec, s[8:9]
	s_and_b64 s[4:5], s[4:5], exec
	s_or_saveexec_b64 s[6:7], s[6:7]
	v_mov_b32_e32 v11, s10
	s_xor_b64 exec, exec, s[6:7]
	s_cbranch_execz .LBB59_350
.LBB59_2400:
	v_mov_b32_e32 v11, 0
	v_cmp_ne_u16_sdwa s[8:9], v12, v11 src0_sel:BYTE_3 src1_sel:DWORD
	s_andn2_b64 s[4:5], s[4:5], exec
	s_and_b64 s[8:9], s[8:9], exec
	s_or_b64 s[4:5], s[4:5], s[8:9]
	s_or_b64 exec, exec, s[6:7]
	s_and_saveexec_b64 s[6:7], s[4:5]
	s_cbranch_execnz .LBB59_351
	s_branch .LBB59_352
.LBB59_2401:
	s_movk_i32 s4, 0x80
	v_cmp_eq_u16_sdwa s[12:13], v17, s4 src0_sel:BYTE_0 src1_sel:DWORD
	s_mov_b64 s[4:5], -1
                                        ; implicit-def: $sgpr10
	s_and_saveexec_b64 s[8:9], s[12:13]
; %bb.2402:
	s_mov_b32 s10, 0x7f800001
	s_xor_b64 s[4:5], exec, -1
; %bb.2403:
	s_or_b64 exec, exec, s[8:9]
	s_and_b64 s[4:5], s[4:5], exec
	s_or_saveexec_b64 s[6:7], s[6:7]
	v_mov_b32_e32 v10, s10
	s_xor_b64 exec, exec, s[6:7]
	s_cbranch_execz .LBB59_354
.LBB59_2404:
	v_mov_b32_e32 v10, 0
	v_cmp_ne_u16_sdwa s[8:9], v17, v10 src0_sel:BYTE_0 src1_sel:DWORD
	s_andn2_b64 s[4:5], s[4:5], exec
	s_and_b64 s[8:9], s[8:9], exec
	s_or_b64 s[4:5], s[4:5], s[8:9]
	s_or_b64 exec, exec, s[6:7]
	s_and_saveexec_b64 s[6:7], s[4:5]
	s_cbranch_execnz .LBB59_355
	s_branch .LBB59_356
.LBB59_2405:
	s_movk_i32 s4, 0x80
	v_cmp_eq_u16_sdwa s[12:13], v13, s4 src0_sel:BYTE_0 src1_sel:DWORD
	s_mov_b64 s[4:5], -1
                                        ; implicit-def: $sgpr10
	s_and_saveexec_b64 s[8:9], s[12:13]
; %bb.2406:
	s_mov_b32 s10, 0x7f800001
	s_xor_b64 s[4:5], exec, -1
; %bb.2407:
	s_or_b64 exec, exec, s[8:9]
	s_and_b64 s[4:5], s[4:5], exec
	s_or_saveexec_b64 s[6:7], s[6:7]
	v_mov_b32_e32 v11, s10
	s_xor_b64 exec, exec, s[6:7]
	s_cbranch_execz .LBB59_358
.LBB59_2408:
	v_mov_b32_e32 v11, 0
	v_cmp_ne_u16_sdwa s[8:9], v13, v11 src0_sel:BYTE_0 src1_sel:DWORD
	s_andn2_b64 s[4:5], s[4:5], exec
	s_and_b64 s[8:9], s[8:9], exec
	s_or_b64 s[4:5], s[4:5], s[8:9]
	s_or_b64 exec, exec, s[6:7]
	s_and_saveexec_b64 s[6:7], s[4:5]
	s_cbranch_execnz .LBB59_359
	s_branch .LBB59_360
.LBB59_2409:
	s_movk_i32 s4, 0x80
	v_cmp_eq_u16_sdwa s[12:13], v11, s4 src0_sel:BYTE_0 src1_sel:DWORD
	s_mov_b64 s[4:5], -1
                                        ; implicit-def: $sgpr10
	s_and_saveexec_b64 s[8:9], s[12:13]
; %bb.2410:
	s_mov_b32 s10, 0x7f800001
	s_xor_b64 s[4:5], exec, -1
; %bb.2411:
	s_or_b64 exec, exec, s[8:9]
	s_and_b64 s[4:5], s[4:5], exec
	s_or_saveexec_b64 s[6:7], s[6:7]
	v_mov_b32_e32 v10, s10
	s_xor_b64 exec, exec, s[6:7]
	s_cbranch_execz .LBB59_362
.LBB59_2412:
	v_mov_b32_e32 v10, 0
	v_cmp_ne_u16_sdwa s[8:9], v11, v10 src0_sel:BYTE_0 src1_sel:DWORD
	s_andn2_b64 s[4:5], s[4:5], exec
	s_and_b64 s[8:9], s[8:9], exec
	s_or_b64 s[4:5], s[4:5], s[8:9]
	s_or_b64 exec, exec, s[6:7]
	s_and_saveexec_b64 s[6:7], s[4:5]
	s_cbranch_execnz .LBB59_363
	s_branch .LBB59_364
.LBB59_2413:
	s_movk_i32 s4, 0x80
	v_cmp_eq_u16_sdwa s[12:13], v11, s4 src0_sel:BYTE_0 src1_sel:DWORD
	s_mov_b64 s[4:5], -1
                                        ; implicit-def: $sgpr10
	s_and_saveexec_b64 s[8:9], s[12:13]
; %bb.2414:
	s_mov_b32 s10, 0x7f800001
	s_xor_b64 s[4:5], exec, -1
; %bb.2415:
	s_or_b64 exec, exec, s[8:9]
	s_and_b64 s[4:5], s[4:5], exec
	s_or_saveexec_b64 s[6:7], s[6:7]
	v_mov_b32_e32 v12, s10
	s_xor_b64 exec, exec, s[6:7]
	s_cbranch_execz .LBB59_366
.LBB59_2416:
	v_mov_b32_e32 v12, 0
	v_cmp_ne_u16_sdwa s[8:9], v11, v12 src0_sel:BYTE_0 src1_sel:DWORD
	s_andn2_b64 s[4:5], s[4:5], exec
	s_and_b64 s[8:9], s[8:9], exec
	s_or_b64 s[4:5], s[4:5], s[8:9]
	s_or_b64 exec, exec, s[6:7]
	s_and_saveexec_b64 s[6:7], s[4:5]
	s_cbranch_execnz .LBB59_367
	s_branch .LBB59_368
.LBB59_2417:
	s_movk_i32 s4, 0x80
	v_cmp_eq_u16_e32 vcc, s4, v11
	s_mov_b64 s[4:5], -1
                                        ; implicit-def: $sgpr10
	s_and_saveexec_b64 s[8:9], vcc
; %bb.2418:
	s_mov_b32 s10, 0x7f800001
	s_xor_b64 s[4:5], exec, -1
; %bb.2419:
	s_or_b64 exec, exec, s[8:9]
	s_and_b64 s[4:5], s[4:5], exec
                                        ; implicit-def: $vgpr11
	s_or_saveexec_b64 s[6:7], s[6:7]
	v_mov_b32_e32 v10, s10
	s_xor_b64 exec, exec, s[6:7]
	s_cbranch_execz .LBB59_370
.LBB59_2420:
	v_cmp_ne_u16_e32 vcc, 0, v11
	s_andn2_b64 s[4:5], s[4:5], exec
	s_and_b64 s[8:9], vcc, exec
	v_mov_b32_e32 v10, 0
	s_or_b64 s[4:5], s[4:5], s[8:9]
	s_or_b64 exec, exec, s[6:7]
	s_and_saveexec_b64 s[6:7], s[4:5]
	s_cbranch_execnz .LBB59_371
	s_branch .LBB59_372
.LBB59_2421:
	s_movk_i32 s4, 0x80
	v_cmp_eq_u16_e32 vcc, s4, v11
	s_mov_b64 s[4:5], -1
                                        ; implicit-def: $sgpr10
	s_and_saveexec_b64 s[8:9], vcc
; %bb.2422:
	s_mov_b32 s10, 0x7f800001
	s_xor_b64 s[4:5], exec, -1
; %bb.2423:
	s_or_b64 exec, exec, s[8:9]
	s_and_b64 s[4:5], s[4:5], exec
                                        ; implicit-def: $vgpr11
	s_or_saveexec_b64 s[6:7], s[6:7]
	v_mov_b32_e32 v12, s10
	s_xor_b64 exec, exec, s[6:7]
	s_cbranch_execz .LBB59_374
.LBB59_2424:
	v_cmp_ne_u16_e32 vcc, 0, v11
	s_andn2_b64 s[4:5], s[4:5], exec
	s_and_b64 s[8:9], vcc, exec
	v_mov_b32_e32 v12, 0
	s_or_b64 s[4:5], s[4:5], s[8:9]
	s_or_b64 exec, exec, s[6:7]
	s_and_saveexec_b64 s[6:7], s[4:5]
	s_cbranch_execnz .LBB59_375
	s_branch .LBB59_376
.LBB59_2425:
	s_movk_i32 s4, 0x80
	v_cmp_eq_u16_sdwa s[12:13], v17, s4 src0_sel:BYTE_3 src1_sel:DWORD
	s_mov_b64 s[4:5], -1
                                        ; implicit-def: $sgpr10
	s_and_saveexec_b64 s[8:9], s[12:13]
; %bb.2426:
	s_mov_b32 s10, 0x7f800001
	s_xor_b64 s[4:5], exec, -1
; %bb.2427:
	s_or_b64 exec, exec, s[8:9]
	s_and_b64 s[4:5], s[4:5], exec
	s_or_saveexec_b64 s[6:7], s[6:7]
	v_mov_b32_e32 v10, s10
	s_xor_b64 exec, exec, s[6:7]
	s_cbranch_execz .LBB59_378
.LBB59_2428:
	v_mov_b32_e32 v10, 0
	v_cmp_ne_u16_sdwa s[8:9], v17, v10 src0_sel:BYTE_3 src1_sel:DWORD
	s_andn2_b64 s[4:5], s[4:5], exec
	s_and_b64 s[8:9], s[8:9], exec
	s_or_b64 s[4:5], s[4:5], s[8:9]
	s_or_b64 exec, exec, s[6:7]
	s_and_saveexec_b64 s[6:7], s[4:5]
	s_cbranch_execnz .LBB59_379
	s_branch .LBB59_380
.LBB59_2429:
	s_movk_i32 s4, 0x80
	v_cmp_eq_u16_sdwa s[12:13], v13, s4 src0_sel:BYTE_3 src1_sel:DWORD
	s_mov_b64 s[4:5], -1
                                        ; implicit-def: $sgpr10
	s_and_saveexec_b64 s[8:9], s[12:13]
; %bb.2430:
	s_mov_b32 s10, 0x7f800001
	s_xor_b64 s[4:5], exec, -1
; %bb.2431:
	s_or_b64 exec, exec, s[8:9]
	s_and_b64 s[4:5], s[4:5], exec
	s_or_saveexec_b64 s[6:7], s[6:7]
	v_mov_b32_e32 v11, s10
	s_xor_b64 exec, exec, s[6:7]
	s_cbranch_execz .LBB59_382
.LBB59_2432:
	v_mov_b32_e32 v11, 0
	v_cmp_ne_u16_sdwa s[8:9], v13, v11 src0_sel:BYTE_3 src1_sel:DWORD
	s_andn2_b64 s[4:5], s[4:5], exec
	s_and_b64 s[8:9], s[8:9], exec
	s_or_b64 s[4:5], s[4:5], s[8:9]
	s_or_b64 exec, exec, s[6:7]
	s_and_saveexec_b64 s[6:7], s[4:5]
	s_cbranch_execnz .LBB59_383
	s_branch .LBB59_384
.LBB59_2433:
	s_movk_i32 s4, 0x80
	v_cmp_eq_u16_sdwa s[12:13], v6, s4 src0_sel:BYTE_0 src1_sel:DWORD
	s_mov_b64 s[4:5], -1
                                        ; implicit-def: $sgpr10
	s_and_saveexec_b64 s[8:9], s[12:13]
; %bb.2434:
	s_mov_b32 s10, 0x7f800001
	s_xor_b64 s[4:5], exec, -1
; %bb.2435:
	s_or_b64 exec, exec, s[8:9]
	s_and_b64 s[4:5], s[4:5], exec
	s_or_saveexec_b64 s[6:7], s[6:7]
	v_mov_b32_e32 v10, s10
	s_xor_b64 exec, exec, s[6:7]
	s_cbranch_execz .LBB59_386
.LBB59_2436:
	v_mov_b32_e32 v10, 0
	v_cmp_ne_u16_sdwa s[8:9], v6, v10 src0_sel:BYTE_0 src1_sel:DWORD
	s_andn2_b64 s[4:5], s[4:5], exec
	s_and_b64 s[8:9], s[8:9], exec
	s_or_b64 s[4:5], s[4:5], s[8:9]
	s_or_b64 exec, exec, s[6:7]
	s_and_saveexec_b64 s[6:7], s[4:5]
	s_cbranch_execnz .LBB59_387
	s_branch .LBB59_388
.LBB59_2437:
	s_movk_i32 s4, 0x80
	v_cmp_eq_u16_sdwa s[12:13], v2, s4 src0_sel:BYTE_0 src1_sel:DWORD
	s_mov_b64 s[4:5], -1
                                        ; implicit-def: $sgpr10
	s_and_saveexec_b64 s[8:9], s[12:13]
; %bb.2438:
	s_mov_b32 s10, 0x7f800001
	s_xor_b64 s[4:5], exec, -1
; %bb.2439:
	s_or_b64 exec, exec, s[8:9]
	s_and_b64 s[4:5], s[4:5], exec
	s_or_saveexec_b64 s[6:7], s[6:7]
	v_mov_b32_e32 v11, s10
	s_xor_b64 exec, exec, s[6:7]
	s_cbranch_execz .LBB59_390
.LBB59_2440:
	v_mov_b32_e32 v11, 0
	v_cmp_ne_u16_sdwa s[8:9], v2, v11 src0_sel:BYTE_0 src1_sel:DWORD
	s_andn2_b64 s[4:5], s[4:5], exec
	s_and_b64 s[8:9], s[8:9], exec
	s_or_b64 s[4:5], s[4:5], s[8:9]
	s_or_b64 exec, exec, s[6:7]
	s_and_saveexec_b64 s[6:7], s[4:5]
	s_cbranch_execnz .LBB59_391
	s_branch .LBB59_392
.LBB59_2441:
	s_movk_i32 s4, 0x80
	v_cmp_eq_u16_sdwa s[12:13], v11, s4 src0_sel:BYTE_0 src1_sel:DWORD
	s_mov_b64 s[4:5], -1
                                        ; implicit-def: $sgpr10
	s_and_saveexec_b64 s[8:9], s[12:13]
; %bb.2442:
	s_mov_b32 s10, 0x7f800001
	s_xor_b64 s[4:5], exec, -1
; %bb.2443:
	s_or_b64 exec, exec, s[8:9]
	s_and_b64 s[4:5], s[4:5], exec
	s_or_saveexec_b64 s[6:7], s[6:7]
	v_mov_b32_e32 v10, s10
	s_xor_b64 exec, exec, s[6:7]
	s_cbranch_execz .LBB59_394
.LBB59_2444:
	v_mov_b32_e32 v10, 0
	v_cmp_ne_u16_sdwa s[8:9], v11, v10 src0_sel:BYTE_0 src1_sel:DWORD
	s_andn2_b64 s[4:5], s[4:5], exec
	s_and_b64 s[8:9], s[8:9], exec
	s_or_b64 s[4:5], s[4:5], s[8:9]
	s_or_b64 exec, exec, s[6:7]
	s_and_saveexec_b64 s[6:7], s[4:5]
	s_cbranch_execnz .LBB59_395
	s_branch .LBB59_396
.LBB59_2445:
	s_movk_i32 s4, 0x80
	v_cmp_eq_u16_sdwa s[12:13], v11, s4 src0_sel:BYTE_0 src1_sel:DWORD
	s_mov_b64 s[4:5], -1
                                        ; implicit-def: $sgpr10
	s_and_saveexec_b64 s[8:9], s[12:13]
; %bb.2446:
	s_mov_b32 s10, 0x7f800001
	s_xor_b64 s[4:5], exec, -1
; %bb.2447:
	s_or_b64 exec, exec, s[8:9]
	s_and_b64 s[4:5], s[4:5], exec
	s_or_saveexec_b64 s[6:7], s[6:7]
	v_mov_b32_e32 v12, s10
	s_xor_b64 exec, exec, s[6:7]
	s_cbranch_execz .LBB59_398
.LBB59_2448:
	v_mov_b32_e32 v12, 0
	v_cmp_ne_u16_sdwa s[8:9], v11, v12 src0_sel:BYTE_0 src1_sel:DWORD
	s_andn2_b64 s[4:5], s[4:5], exec
	s_and_b64 s[8:9], s[8:9], exec
	s_or_b64 s[4:5], s[4:5], s[8:9]
	s_or_b64 exec, exec, s[6:7]
	s_and_saveexec_b64 s[6:7], s[4:5]
	s_cbranch_execnz .LBB59_399
	s_branch .LBB59_400
.LBB59_2449:
	s_movk_i32 s4, 0x80
	v_cmp_eq_u16_e32 vcc, s4, v11
	s_mov_b64 s[4:5], -1
                                        ; implicit-def: $sgpr10
	s_and_saveexec_b64 s[8:9], vcc
; %bb.2450:
	s_mov_b32 s10, 0x7f800001
	s_xor_b64 s[4:5], exec, -1
; %bb.2451:
	s_or_b64 exec, exec, s[8:9]
	s_and_b64 s[4:5], s[4:5], exec
                                        ; implicit-def: $vgpr11
	s_or_saveexec_b64 s[6:7], s[6:7]
	v_mov_b32_e32 v10, s10
	s_xor_b64 exec, exec, s[6:7]
	s_cbranch_execz .LBB59_402
.LBB59_2452:
	v_cmp_ne_u16_e32 vcc, 0, v11
	s_andn2_b64 s[4:5], s[4:5], exec
	s_and_b64 s[8:9], vcc, exec
	v_mov_b32_e32 v10, 0
	s_or_b64 s[4:5], s[4:5], s[8:9]
	s_or_b64 exec, exec, s[6:7]
	s_and_saveexec_b64 s[6:7], s[4:5]
	s_cbranch_execnz .LBB59_403
	s_branch .LBB59_404
.LBB59_2453:
	s_movk_i32 s4, 0x80
	v_cmp_eq_u16_e32 vcc, s4, v11
	s_mov_b64 s[4:5], -1
                                        ; implicit-def: $sgpr10
	s_and_saveexec_b64 s[8:9], vcc
; %bb.2454:
	s_mov_b32 s10, 0x7f800001
	s_xor_b64 s[4:5], exec, -1
; %bb.2455:
	s_or_b64 exec, exec, s[8:9]
	s_and_b64 s[4:5], s[4:5], exec
                                        ; implicit-def: $vgpr11
	s_or_saveexec_b64 s[6:7], s[6:7]
	v_mov_b32_e32 v12, s10
	s_xor_b64 exec, exec, s[6:7]
	s_cbranch_execz .LBB59_406
.LBB59_2456:
	v_cmp_ne_u16_e32 vcc, 0, v11
	s_andn2_b64 s[4:5], s[4:5], exec
	s_and_b64 s[8:9], vcc, exec
	v_mov_b32_e32 v12, 0
	s_or_b64 s[4:5], s[4:5], s[8:9]
	s_or_b64 exec, exec, s[6:7]
	s_and_saveexec_b64 s[6:7], s[4:5]
	s_cbranch_execnz .LBB59_407
	s_branch .LBB59_408
.LBB59_2457:
	s_movk_i32 s4, 0x80
	v_cmp_eq_u16_sdwa s[12:13], v6, s4 src0_sel:BYTE_3 src1_sel:DWORD
	s_mov_b64 s[4:5], -1
                                        ; implicit-def: $sgpr10
	s_and_saveexec_b64 s[8:9], s[12:13]
; %bb.2458:
	s_mov_b32 s10, 0x7f800001
	s_xor_b64 s[4:5], exec, -1
; %bb.2459:
	s_or_b64 exec, exec, s[8:9]
	s_and_b64 s[4:5], s[4:5], exec
	s_or_saveexec_b64 s[6:7], s[6:7]
	v_mov_b32_e32 v10, s10
	s_xor_b64 exec, exec, s[6:7]
	s_cbranch_execz .LBB59_410
.LBB59_2460:
	v_mov_b32_e32 v10, 0
	v_cmp_ne_u16_sdwa s[8:9], v6, v10 src0_sel:BYTE_3 src1_sel:DWORD
	s_andn2_b64 s[4:5], s[4:5], exec
	s_and_b64 s[8:9], s[8:9], exec
	s_or_b64 s[4:5], s[4:5], s[8:9]
	s_or_b64 exec, exec, s[6:7]
	s_and_saveexec_b64 s[6:7], s[4:5]
	s_cbranch_execnz .LBB59_411
	s_branch .LBB59_412
.LBB59_2461:
	s_movk_i32 s4, 0x80
	v_cmp_eq_u16_sdwa s[12:13], v2, s4 src0_sel:BYTE_3 src1_sel:DWORD
	s_mov_b64 s[4:5], -1
                                        ; implicit-def: $sgpr10
	s_and_saveexec_b64 s[8:9], s[12:13]
; %bb.2462:
	s_mov_b32 s10, 0x7f800001
	s_xor_b64 s[4:5], exec, -1
; %bb.2463:
	s_or_b64 exec, exec, s[8:9]
	s_and_b64 s[4:5], s[4:5], exec
	s_or_saveexec_b64 s[6:7], s[6:7]
	v_mov_b32_e32 v6, s10
	s_xor_b64 exec, exec, s[6:7]
	s_cbranch_execz .LBB59_414
.LBB59_2464:
	v_mov_b32_e32 v6, 0
	v_cmp_ne_u16_sdwa s[8:9], v2, v6 src0_sel:BYTE_3 src1_sel:DWORD
	s_andn2_b64 s[4:5], s[4:5], exec
	s_and_b64 s[8:9], s[8:9], exec
	s_or_b64 s[4:5], s[4:5], s[8:9]
	s_or_b64 exec, exec, s[6:7]
	s_and_saveexec_b64 s[6:7], s[4:5]
	s_cbranch_execnz .LBB59_415
	s_branch .LBB59_416
.LBB59_2465:
	s_movk_i32 s4, 0x80
	v_cmp_eq_u16_sdwa s[12:13], v7, s4 src0_sel:BYTE_0 src1_sel:DWORD
	s_mov_b64 s[4:5], -1
                                        ; implicit-def: $sgpr10
	s_and_saveexec_b64 s[8:9], s[12:13]
; %bb.2466:
	s_mov_b32 s10, 0x7f800001
	s_xor_b64 s[4:5], exec, -1
; %bb.2467:
	s_or_b64 exec, exec, s[8:9]
	s_and_b64 s[4:5], s[4:5], exec
	s_or_saveexec_b64 s[6:7], s[6:7]
	v_mov_b32_e32 v2, s10
	s_xor_b64 exec, exec, s[6:7]
	s_cbranch_execz .LBB59_418
.LBB59_2468:
	v_mov_b32_e32 v2, 0
	v_cmp_ne_u16_sdwa s[8:9], v7, v2 src0_sel:BYTE_0 src1_sel:DWORD
	s_andn2_b64 s[4:5], s[4:5], exec
	s_and_b64 s[8:9], s[8:9], exec
	s_or_b64 s[4:5], s[4:5], s[8:9]
	s_or_b64 exec, exec, s[6:7]
	s_and_saveexec_b64 s[6:7], s[4:5]
	s_cbranch_execnz .LBB59_419
	s_branch .LBB59_420
.LBB59_2469:
	s_movk_i32 s4, 0x80
	v_cmp_eq_u16_sdwa s[12:13], v3, s4 src0_sel:BYTE_0 src1_sel:DWORD
	s_mov_b64 s[4:5], -1
                                        ; implicit-def: $sgpr10
	s_and_saveexec_b64 s[8:9], s[12:13]
; %bb.2470:
	s_mov_b32 s10, 0x7f800001
	s_xor_b64 s[4:5], exec, -1
; %bb.2471:
	s_or_b64 exec, exec, s[8:9]
	s_and_b64 s[4:5], s[4:5], exec
	s_or_saveexec_b64 s[6:7], s[6:7]
	v_mov_b32_e32 v6, s10
	s_xor_b64 exec, exec, s[6:7]
	s_cbranch_execz .LBB59_422
.LBB59_2472:
	v_mov_b32_e32 v6, 0
	v_cmp_ne_u16_sdwa s[8:9], v3, v6 src0_sel:BYTE_0 src1_sel:DWORD
	s_andn2_b64 s[4:5], s[4:5], exec
	s_and_b64 s[8:9], s[8:9], exec
	s_or_b64 s[4:5], s[4:5], s[8:9]
	s_or_b64 exec, exec, s[6:7]
	s_and_saveexec_b64 s[6:7], s[4:5]
	s_cbranch_execnz .LBB59_423
	s_branch .LBB59_424
.LBB59_2473:
	s_movk_i32 s4, 0x80
	v_cmp_eq_u16_sdwa s[12:13], v6, s4 src0_sel:BYTE_0 src1_sel:DWORD
	s_mov_b64 s[4:5], -1
                                        ; implicit-def: $sgpr10
	s_and_saveexec_b64 s[8:9], s[12:13]
; %bb.2474:
	s_mov_b32 s10, 0x7f800001
	s_xor_b64 s[4:5], exec, -1
; %bb.2475:
	s_or_b64 exec, exec, s[8:9]
	s_and_b64 s[4:5], s[4:5], exec
	s_or_saveexec_b64 s[6:7], s[6:7]
	v_mov_b32_e32 v2, s10
	s_xor_b64 exec, exec, s[6:7]
	s_cbranch_execz .LBB59_426
.LBB59_2476:
	v_mov_b32_e32 v2, 0
	v_cmp_ne_u16_sdwa s[8:9], v6, v2 src0_sel:BYTE_0 src1_sel:DWORD
	s_andn2_b64 s[4:5], s[4:5], exec
	s_and_b64 s[8:9], s[8:9], exec
	s_or_b64 s[4:5], s[4:5], s[8:9]
	s_or_b64 exec, exec, s[6:7]
	s_and_saveexec_b64 s[6:7], s[4:5]
	s_cbranch_execnz .LBB59_427
	s_branch .LBB59_428
.LBB59_2477:
	s_movk_i32 s4, 0x80
	v_cmp_eq_u16_sdwa s[12:13], v6, s4 src0_sel:BYTE_0 src1_sel:DWORD
	s_mov_b64 s[4:5], -1
                                        ; implicit-def: $sgpr10
	s_and_saveexec_b64 s[8:9], s[12:13]
; %bb.2478:
	s_mov_b32 s10, 0x7f800001
	s_xor_b64 s[4:5], exec, -1
; %bb.2479:
	s_or_b64 exec, exec, s[8:9]
	s_and_b64 s[4:5], s[4:5], exec
	s_or_saveexec_b64 s[6:7], s[6:7]
	v_mov_b32_e32 v10, s10
	s_xor_b64 exec, exec, s[6:7]
	s_cbranch_execz .LBB59_430
.LBB59_2480:
	v_mov_b32_e32 v10, 0
	v_cmp_ne_u16_sdwa s[8:9], v6, v10 src0_sel:BYTE_0 src1_sel:DWORD
	s_andn2_b64 s[4:5], s[4:5], exec
	s_and_b64 s[8:9], s[8:9], exec
	s_or_b64 s[4:5], s[4:5], s[8:9]
	s_or_b64 exec, exec, s[6:7]
	s_and_saveexec_b64 s[6:7], s[4:5]
	s_cbranch_execnz .LBB59_431
	s_branch .LBB59_432
.LBB59_2481:
	s_movk_i32 s4, 0x80
	v_cmp_eq_u16_e32 vcc, s4, v6
	s_mov_b64 s[4:5], -1
                                        ; implicit-def: $sgpr10
	s_and_saveexec_b64 s[8:9], vcc
; %bb.2482:
	s_mov_b32 s10, 0x7f800001
	s_xor_b64 s[4:5], exec, -1
; %bb.2483:
	s_or_b64 exec, exec, s[8:9]
	s_and_b64 s[4:5], s[4:5], exec
                                        ; implicit-def: $vgpr6
	s_or_saveexec_b64 s[6:7], s[6:7]
	v_mov_b32_e32 v2, s10
	s_xor_b64 exec, exec, s[6:7]
	s_cbranch_execz .LBB59_434
.LBB59_2484:
	v_cmp_ne_u16_e32 vcc, 0, v6
	s_andn2_b64 s[4:5], s[4:5], exec
	s_and_b64 s[8:9], vcc, exec
	v_mov_b32_e32 v2, 0
	s_or_b64 s[4:5], s[4:5], s[8:9]
	s_or_b64 exec, exec, s[6:7]
	s_and_saveexec_b64 s[6:7], s[4:5]
	s_cbranch_execnz .LBB59_435
	s_branch .LBB59_436
.LBB59_2485:
	s_movk_i32 s4, 0x80
	v_cmp_eq_u16_e32 vcc, s4, v6
	s_mov_b64 s[4:5], -1
                                        ; implicit-def: $sgpr10
	s_and_saveexec_b64 s[8:9], vcc
; %bb.2486:
	s_mov_b32 s10, 0x7f800001
	s_xor_b64 s[4:5], exec, -1
; %bb.2487:
	s_or_b64 exec, exec, s[8:9]
	s_and_b64 s[4:5], s[4:5], exec
                                        ; implicit-def: $vgpr6
	s_or_saveexec_b64 s[6:7], s[6:7]
	v_mov_b32_e32 v10, s10
	s_xor_b64 exec, exec, s[6:7]
	s_cbranch_execz .LBB59_438
.LBB59_2488:
	v_cmp_ne_u16_e32 vcc, 0, v6
	s_andn2_b64 s[4:5], s[4:5], exec
	s_and_b64 s[8:9], vcc, exec
	v_mov_b32_e32 v10, 0
	s_or_b64 s[4:5], s[4:5], s[8:9]
	s_or_b64 exec, exec, s[6:7]
	s_and_saveexec_b64 s[6:7], s[4:5]
	s_cbranch_execnz .LBB59_439
	s_branch .LBB59_440
.LBB59_2489:
	s_movk_i32 s4, 0x80
	v_cmp_eq_u16_sdwa s[12:13], v7, s4 src0_sel:BYTE_3 src1_sel:DWORD
	s_mov_b64 s[4:5], -1
                                        ; implicit-def: $sgpr10
	s_and_saveexec_b64 s[8:9], s[12:13]
; %bb.2490:
	s_mov_b32 s10, 0x7f800001
	s_xor_b64 s[4:5], exec, -1
; %bb.2491:
	s_or_b64 exec, exec, s[8:9]
	s_and_b64 s[4:5], s[4:5], exec
	s_or_saveexec_b64 s[6:7], s[6:7]
	v_mov_b32_e32 v2, s10
	s_xor_b64 exec, exec, s[6:7]
	s_cbranch_execz .LBB59_442
.LBB59_2492:
	v_mov_b32_e32 v2, 0
	v_cmp_ne_u16_sdwa s[8:9], v7, v2 src0_sel:BYTE_3 src1_sel:DWORD
	s_andn2_b64 s[4:5], s[4:5], exec
	s_and_b64 s[8:9], s[8:9], exec
	s_or_b64 s[4:5], s[4:5], s[8:9]
	s_or_b64 exec, exec, s[6:7]
	s_and_saveexec_b64 s[6:7], s[4:5]
	s_cbranch_execnz .LBB59_443
	s_branch .LBB59_444
.LBB59_2493:
	s_movk_i32 s4, 0x80
	v_cmp_eq_u16_sdwa s[12:13], v3, s4 src0_sel:BYTE_3 src1_sel:DWORD
	s_mov_b64 s[4:5], -1
                                        ; implicit-def: $sgpr10
	s_and_saveexec_b64 s[8:9], s[12:13]
; %bb.2494:
	s_mov_b32 s10, 0x7f800001
	s_xor_b64 s[4:5], exec, -1
; %bb.2495:
	s_or_b64 exec, exec, s[8:9]
	s_and_b64 s[4:5], s[4:5], exec
	s_or_saveexec_b64 s[6:7], s[6:7]
	v_mov_b32_e32 v6, s10
	s_xor_b64 exec, exec, s[6:7]
	s_cbranch_execz .LBB59_446
.LBB59_2496:
	v_mov_b32_e32 v6, 0
	v_cmp_ne_u16_sdwa s[8:9], v3, v6 src0_sel:BYTE_3 src1_sel:DWORD
	s_andn2_b64 s[4:5], s[4:5], exec
	s_and_b64 s[8:9], s[8:9], exec
	s_or_b64 s[4:5], s[4:5], s[8:9]
	s_or_b64 exec, exec, s[6:7]
	s_and_saveexec_b64 s[6:7], s[4:5]
	s_cbranch_execnz .LBB59_447
	s_branch .LBB59_448
.LBB59_2497:
	s_movk_i32 s4, 0x80
	v_cmp_eq_u16_sdwa s[12:13], v8, s4 src0_sel:BYTE_0 src1_sel:DWORD
	s_mov_b64 s[4:5], -1
                                        ; implicit-def: $sgpr10
	s_and_saveexec_b64 s[8:9], s[12:13]
; %bb.2498:
	s_mov_b32 s10, 0x7f800001
	s_xor_b64 s[4:5], exec, -1
; %bb.2499:
	s_or_b64 exec, exec, s[8:9]
	s_and_b64 s[4:5], s[4:5], exec
	s_or_saveexec_b64 s[6:7], s[6:7]
	v_mov_b32_e32 v2, s10
	s_xor_b64 exec, exec, s[6:7]
	s_cbranch_execz .LBB59_450
.LBB59_2500:
	v_mov_b32_e32 v2, 0
	v_cmp_ne_u16_sdwa s[8:9], v8, v2 src0_sel:BYTE_0 src1_sel:DWORD
	s_andn2_b64 s[4:5], s[4:5], exec
	s_and_b64 s[8:9], s[8:9], exec
	s_or_b64 s[4:5], s[4:5], s[8:9]
	s_or_b64 exec, exec, s[6:7]
	s_and_saveexec_b64 s[6:7], s[4:5]
	s_cbranch_execnz .LBB59_451
	s_branch .LBB59_452
.LBB59_2501:
	s_movk_i32 s4, 0x80
	v_cmp_eq_u16_sdwa s[12:13], v4, s4 src0_sel:BYTE_0 src1_sel:DWORD
	s_mov_b64 s[4:5], -1
                                        ; implicit-def: $sgpr10
	s_and_saveexec_b64 s[8:9], s[12:13]
; %bb.2502:
	s_mov_b32 s10, 0x7f800001
	s_xor_b64 s[4:5], exec, -1
; %bb.2503:
	s_or_b64 exec, exec, s[8:9]
	s_and_b64 s[4:5], s[4:5], exec
	s_or_saveexec_b64 s[6:7], s[6:7]
	v_mov_b32_e32 v3, s10
	s_xor_b64 exec, exec, s[6:7]
	s_cbranch_execz .LBB59_454
.LBB59_2504:
	v_mov_b32_e32 v3, 0
	v_cmp_ne_u16_sdwa s[8:9], v4, v3 src0_sel:BYTE_0 src1_sel:DWORD
	s_andn2_b64 s[4:5], s[4:5], exec
	s_and_b64 s[8:9], s[8:9], exec
	s_or_b64 s[4:5], s[4:5], s[8:9]
	s_or_b64 exec, exec, s[6:7]
	s_and_saveexec_b64 s[6:7], s[4:5]
	s_cbranch_execnz .LBB59_455
	s_branch .LBB59_456
.LBB59_2505:
	s_movk_i32 s4, 0x80
	v_cmp_eq_u16_sdwa s[12:13], v3, s4 src0_sel:BYTE_0 src1_sel:DWORD
	s_mov_b64 s[4:5], -1
                                        ; implicit-def: $sgpr10
	s_and_saveexec_b64 s[8:9], s[12:13]
; %bb.2506:
	s_mov_b32 s10, 0x7f800001
	s_xor_b64 s[4:5], exec, -1
; %bb.2507:
	s_or_b64 exec, exec, s[8:9]
	s_and_b64 s[4:5], s[4:5], exec
	s_or_saveexec_b64 s[6:7], s[6:7]
	v_mov_b32_e32 v2, s10
	s_xor_b64 exec, exec, s[6:7]
	s_cbranch_execz .LBB59_458
.LBB59_2508:
	v_mov_b32_e32 v2, 0
	v_cmp_ne_u16_sdwa s[8:9], v3, v2 src0_sel:BYTE_0 src1_sel:DWORD
	s_andn2_b64 s[4:5], s[4:5], exec
	s_and_b64 s[8:9], s[8:9], exec
	s_or_b64 s[4:5], s[4:5], s[8:9]
	s_or_b64 exec, exec, s[6:7]
	s_and_saveexec_b64 s[6:7], s[4:5]
	s_cbranch_execnz .LBB59_459
	s_branch .LBB59_460
.LBB59_2509:
	s_movk_i32 s4, 0x80
	v_cmp_eq_u16_sdwa s[12:13], v3, s4 src0_sel:BYTE_0 src1_sel:DWORD
	s_mov_b64 s[4:5], -1
                                        ; implicit-def: $sgpr10
	s_and_saveexec_b64 s[8:9], s[12:13]
; %bb.2510:
	s_mov_b32 s10, 0x7f800001
	s_xor_b64 s[4:5], exec, -1
; %bb.2511:
	s_or_b64 exec, exec, s[8:9]
	s_and_b64 s[4:5], s[4:5], exec
	s_or_saveexec_b64 s[6:7], s[6:7]
	v_mov_b32_e32 v6, s10
	s_xor_b64 exec, exec, s[6:7]
	s_cbranch_execz .LBB59_462
.LBB59_2512:
	v_mov_b32_e32 v6, 0
	v_cmp_ne_u16_sdwa s[8:9], v3, v6 src0_sel:BYTE_0 src1_sel:DWORD
	s_andn2_b64 s[4:5], s[4:5], exec
	s_and_b64 s[8:9], s[8:9], exec
	s_or_b64 s[4:5], s[4:5], s[8:9]
	s_or_b64 exec, exec, s[6:7]
	s_and_saveexec_b64 s[6:7], s[4:5]
	s_cbranch_execnz .LBB59_463
	s_branch .LBB59_464
.LBB59_2513:
	s_movk_i32 s4, 0x80
	v_cmp_eq_u16_e32 vcc, s4, v3
	s_mov_b64 s[4:5], -1
                                        ; implicit-def: $sgpr10
	s_and_saveexec_b64 s[8:9], vcc
; %bb.2514:
	s_mov_b32 s10, 0x7f800001
	s_xor_b64 s[4:5], exec, -1
; %bb.2515:
	s_or_b64 exec, exec, s[8:9]
	s_and_b64 s[4:5], s[4:5], exec
                                        ; implicit-def: $vgpr3
	s_or_saveexec_b64 s[6:7], s[6:7]
	v_mov_b32_e32 v2, s10
	s_xor_b64 exec, exec, s[6:7]
	s_cbranch_execz .LBB59_466
.LBB59_2516:
	v_cmp_ne_u16_e32 vcc, 0, v3
	s_andn2_b64 s[4:5], s[4:5], exec
	s_and_b64 s[8:9], vcc, exec
	v_mov_b32_e32 v2, 0
	s_or_b64 s[4:5], s[4:5], s[8:9]
	s_or_b64 exec, exec, s[6:7]
	s_and_saveexec_b64 s[6:7], s[4:5]
	s_cbranch_execnz .LBB59_467
	s_branch .LBB59_468
.LBB59_2517:
	s_movk_i32 s4, 0x80
	v_cmp_eq_u16_e32 vcc, s4, v3
	s_mov_b64 s[4:5], -1
                                        ; implicit-def: $sgpr10
	s_and_saveexec_b64 s[8:9], vcc
; %bb.2518:
	s_mov_b32 s10, 0x7f800001
	s_xor_b64 s[4:5], exec, -1
; %bb.2519:
	s_or_b64 exec, exec, s[8:9]
	s_and_b64 s[4:5], s[4:5], exec
                                        ; implicit-def: $vgpr3
	s_or_saveexec_b64 s[6:7], s[6:7]
	v_mov_b32_e32 v6, s10
	s_xor_b64 exec, exec, s[6:7]
	s_cbranch_execz .LBB59_470
.LBB59_2520:
	v_cmp_ne_u16_e32 vcc, 0, v3
	s_andn2_b64 s[4:5], s[4:5], exec
	s_and_b64 s[8:9], vcc, exec
	v_mov_b32_e32 v6, 0
	s_or_b64 s[4:5], s[4:5], s[8:9]
	s_or_b64 exec, exec, s[6:7]
	s_and_saveexec_b64 s[6:7], s[4:5]
	s_cbranch_execnz .LBB59_471
	s_branch .LBB59_472
.LBB59_2521:
	s_movk_i32 s4, 0x80
	v_cmp_eq_u16_sdwa s[12:13], v8, s4 src0_sel:BYTE_3 src1_sel:DWORD
	s_mov_b64 s[4:5], -1
                                        ; implicit-def: $sgpr10
	s_and_saveexec_b64 s[8:9], s[12:13]
; %bb.2522:
	s_mov_b32 s10, 0x7f800001
	s_xor_b64 s[4:5], exec, -1
; %bb.2523:
	s_or_b64 exec, exec, s[8:9]
	s_and_b64 s[4:5], s[4:5], exec
	s_or_saveexec_b64 s[6:7], s[6:7]
	v_mov_b32_e32 v2, s10
	s_xor_b64 exec, exec, s[6:7]
	s_cbranch_execz .LBB59_474
.LBB59_2524:
	v_mov_b32_e32 v2, 0
	v_cmp_ne_u16_sdwa s[8:9], v8, v2 src0_sel:BYTE_3 src1_sel:DWORD
	s_andn2_b64 s[4:5], s[4:5], exec
	s_and_b64 s[8:9], s[8:9], exec
	s_or_b64 s[4:5], s[4:5], s[8:9]
	s_or_b64 exec, exec, s[6:7]
	s_and_saveexec_b64 s[6:7], s[4:5]
	s_cbranch_execnz .LBB59_475
	s_branch .LBB59_476
.LBB59_2525:
	s_movk_i32 s4, 0x80
	v_cmp_eq_u16_sdwa s[12:13], v4, s4 src0_sel:BYTE_3 src1_sel:DWORD
	s_mov_b64 s[4:5], -1
                                        ; implicit-def: $sgpr10
	s_and_saveexec_b64 s[8:9], s[12:13]
; %bb.2526:
	s_mov_b32 s10, 0x7f800001
	s_xor_b64 s[4:5], exec, -1
; %bb.2527:
	s_or_b64 exec, exec, s[8:9]
	s_and_b64 s[4:5], s[4:5], exec
	s_or_saveexec_b64 s[6:7], s[6:7]
	v_mov_b32_e32 v3, s10
	s_xor_b64 exec, exec, s[6:7]
	s_cbranch_execz .LBB59_478
.LBB59_2528:
	v_mov_b32_e32 v3, 0
	v_cmp_ne_u16_sdwa s[8:9], v4, v3 src0_sel:BYTE_3 src1_sel:DWORD
	s_andn2_b64 s[4:5], s[4:5], exec
	s_and_b64 s[8:9], s[8:9], exec
	s_or_b64 s[4:5], s[4:5], s[8:9]
	s_or_b64 exec, exec, s[6:7]
	s_and_saveexec_b64 s[6:7], s[4:5]
	s_cbranch_execnz .LBB59_479
	s_branch .LBB59_480
.LBB59_2529:
	s_movk_i32 s4, 0x80
	v_cmp_eq_u16_sdwa s[12:13], v9, s4 src0_sel:BYTE_0 src1_sel:DWORD
	s_mov_b64 s[4:5], -1
                                        ; implicit-def: $sgpr10
	s_and_saveexec_b64 s[8:9], s[12:13]
; %bb.2530:
	s_mov_b32 s10, 0x7f800001
	s_xor_b64 s[4:5], exec, -1
; %bb.2531:
	s_or_b64 exec, exec, s[8:9]
	s_and_b64 s[4:5], s[4:5], exec
	s_or_saveexec_b64 s[6:7], s[6:7]
	v_mov_b32_e32 v2, s10
	s_xor_b64 exec, exec, s[6:7]
	s_cbranch_execz .LBB59_482
.LBB59_2532:
	v_mov_b32_e32 v2, 0
	v_cmp_ne_u16_sdwa s[8:9], v9, v2 src0_sel:BYTE_0 src1_sel:DWORD
	s_andn2_b64 s[4:5], s[4:5], exec
	s_and_b64 s[8:9], s[8:9], exec
	s_or_b64 s[4:5], s[4:5], s[8:9]
	s_or_b64 exec, exec, s[6:7]
	s_and_saveexec_b64 s[6:7], s[4:5]
	s_cbranch_execnz .LBB59_483
	s_branch .LBB59_484
.LBB59_2533:
	s_movk_i32 s4, 0x80
	v_cmp_eq_u16_sdwa s[12:13], v5, s4 src0_sel:BYTE_0 src1_sel:DWORD
	s_mov_b64 s[4:5], -1
                                        ; implicit-def: $sgpr10
	s_and_saveexec_b64 s[8:9], s[12:13]
; %bb.2534:
	s_mov_b32 s10, 0x7f800001
	s_xor_b64 s[4:5], exec, -1
; %bb.2535:
	s_or_b64 exec, exec, s[8:9]
	s_and_b64 s[4:5], s[4:5], exec
	s_or_saveexec_b64 s[6:7], s[6:7]
	v_mov_b32_e32 v3, s10
	s_xor_b64 exec, exec, s[6:7]
	s_cbranch_execz .LBB59_486
.LBB59_2536:
	v_mov_b32_e32 v3, 0
	v_cmp_ne_u16_sdwa s[8:9], v5, v3 src0_sel:BYTE_0 src1_sel:DWORD
	s_andn2_b64 s[4:5], s[4:5], exec
	s_and_b64 s[8:9], s[8:9], exec
	s_or_b64 s[4:5], s[4:5], s[8:9]
	s_or_b64 exec, exec, s[6:7]
	s_and_saveexec_b64 s[6:7], s[4:5]
	s_cbranch_execnz .LBB59_487
	s_branch .LBB59_488
.LBB59_2537:
	s_movk_i32 s4, 0x80
	v_cmp_eq_u16_sdwa s[12:13], v3, s4 src0_sel:BYTE_0 src1_sel:DWORD
	s_mov_b64 s[4:5], -1
                                        ; implicit-def: $sgpr10
	s_and_saveexec_b64 s[8:9], s[12:13]
; %bb.2538:
	s_mov_b32 s10, 0x7f800001
	s_xor_b64 s[4:5], exec, -1
; %bb.2539:
	s_or_b64 exec, exec, s[8:9]
	s_and_b64 s[4:5], s[4:5], exec
	s_or_saveexec_b64 s[6:7], s[6:7]
	v_mov_b32_e32 v2, s10
	s_xor_b64 exec, exec, s[6:7]
	s_cbranch_execz .LBB59_490
.LBB59_2540:
	v_mov_b32_e32 v2, 0
	v_cmp_ne_u16_sdwa s[8:9], v3, v2 src0_sel:BYTE_0 src1_sel:DWORD
	s_andn2_b64 s[4:5], s[4:5], exec
	s_and_b64 s[8:9], s[8:9], exec
	s_or_b64 s[4:5], s[4:5], s[8:9]
	s_or_b64 exec, exec, s[6:7]
	s_and_saveexec_b64 s[6:7], s[4:5]
	s_cbranch_execnz .LBB59_491
	s_branch .LBB59_492
.LBB59_2541:
	s_movk_i32 s4, 0x80
	v_cmp_eq_u16_sdwa s[12:13], v3, s4 src0_sel:BYTE_0 src1_sel:DWORD
	s_mov_b64 s[4:5], -1
                                        ; implicit-def: $sgpr10
	s_and_saveexec_b64 s[8:9], s[12:13]
; %bb.2542:
	s_mov_b32 s10, 0x7f800001
	s_xor_b64 s[4:5], exec, -1
; %bb.2543:
	s_or_b64 exec, exec, s[8:9]
	s_and_b64 s[4:5], s[4:5], exec
	s_or_saveexec_b64 s[6:7], s[6:7]
	v_mov_b32_e32 v4, s10
	s_xor_b64 exec, exec, s[6:7]
	s_cbranch_execz .LBB59_494
.LBB59_2544:
	v_mov_b32_e32 v4, 0
	v_cmp_ne_u16_sdwa s[8:9], v3, v4 src0_sel:BYTE_0 src1_sel:DWORD
	s_andn2_b64 s[4:5], s[4:5], exec
	s_and_b64 s[8:9], s[8:9], exec
	s_or_b64 s[4:5], s[4:5], s[8:9]
	s_or_b64 exec, exec, s[6:7]
	s_and_saveexec_b64 s[6:7], s[4:5]
	s_cbranch_execnz .LBB59_495
	s_branch .LBB59_496
.LBB59_2545:
	s_movk_i32 s4, 0x80
	v_cmp_eq_u16_e32 vcc, s4, v3
	s_mov_b64 s[4:5], -1
                                        ; implicit-def: $sgpr10
	s_and_saveexec_b64 s[8:9], vcc
; %bb.2546:
	s_mov_b32 s10, 0x7f800001
	s_xor_b64 s[4:5], exec, -1
; %bb.2547:
	s_or_b64 exec, exec, s[8:9]
	s_and_b64 s[4:5], s[4:5], exec
                                        ; implicit-def: $vgpr3
	s_or_saveexec_b64 s[6:7], s[6:7]
	v_mov_b32_e32 v2, s10
	s_xor_b64 exec, exec, s[6:7]
	s_cbranch_execz .LBB59_498
.LBB59_2548:
	v_cmp_ne_u16_e32 vcc, 0, v3
	s_andn2_b64 s[4:5], s[4:5], exec
	s_and_b64 s[8:9], vcc, exec
	v_mov_b32_e32 v2, 0
	s_or_b64 s[4:5], s[4:5], s[8:9]
	s_or_b64 exec, exec, s[6:7]
	s_and_saveexec_b64 s[6:7], s[4:5]
	s_cbranch_execnz .LBB59_499
	s_branch .LBB59_500
.LBB59_2549:
	s_movk_i32 s4, 0x80
	v_cmp_eq_u16_e32 vcc, s4, v3
	s_mov_b64 s[4:5], -1
                                        ; implicit-def: $sgpr10
	s_and_saveexec_b64 s[8:9], vcc
; %bb.2550:
	s_mov_b32 s10, 0x7f800001
	s_xor_b64 s[4:5], exec, -1
; %bb.2551:
	s_or_b64 exec, exec, s[8:9]
	s_and_b64 s[4:5], s[4:5], exec
                                        ; implicit-def: $vgpr3
	s_or_saveexec_b64 s[6:7], s[6:7]
	v_mov_b32_e32 v4, s10
	s_xor_b64 exec, exec, s[6:7]
	s_cbranch_execz .LBB59_502
.LBB59_2552:
	v_cmp_ne_u16_e32 vcc, 0, v3
	s_andn2_b64 s[4:5], s[4:5], exec
	s_and_b64 s[8:9], vcc, exec
	v_mov_b32_e32 v4, 0
	s_or_b64 s[4:5], s[4:5], s[8:9]
	s_or_b64 exec, exec, s[6:7]
	s_and_saveexec_b64 s[6:7], s[4:5]
	s_cbranch_execnz .LBB59_503
	s_branch .LBB59_504
.LBB59_2553:
	s_movk_i32 s4, 0x80
	v_cmp_eq_u16_sdwa s[12:13], v9, s4 src0_sel:BYTE_3 src1_sel:DWORD
	s_mov_b64 s[4:5], -1
                                        ; implicit-def: $sgpr10
	s_and_saveexec_b64 s[8:9], s[12:13]
; %bb.2554:
	s_mov_b32 s10, 0x7f800001
	s_xor_b64 s[4:5], exec, -1
; %bb.2555:
	s_or_b64 exec, exec, s[8:9]
	s_and_b64 s[4:5], s[4:5], exec
	s_or_saveexec_b64 s[6:7], s[6:7]
	v_mov_b32_e32 v2, s10
	s_xor_b64 exec, exec, s[6:7]
	s_cbranch_execz .LBB59_506
.LBB59_2556:
	v_mov_b32_e32 v2, 0
	v_cmp_ne_u16_sdwa s[8:9], v9, v2 src0_sel:BYTE_3 src1_sel:DWORD
	s_andn2_b64 s[4:5], s[4:5], exec
	s_and_b64 s[8:9], s[8:9], exec
	s_or_b64 s[4:5], s[4:5], s[8:9]
	s_or_b64 exec, exec, s[6:7]
	s_and_saveexec_b64 s[6:7], s[4:5]
	s_cbranch_execnz .LBB59_507
	s_branch .LBB59_508
.LBB59_2557:
	s_movk_i32 s4, 0x80
	v_cmp_eq_u16_sdwa s[12:13], v5, s4 src0_sel:BYTE_3 src1_sel:DWORD
	s_mov_b64 s[4:5], -1
                                        ; implicit-def: $sgpr10
	s_and_saveexec_b64 s[8:9], s[12:13]
; %bb.2558:
	s_mov_b32 s10, 0x7f800001
	s_xor_b64 s[4:5], exec, -1
; %bb.2559:
	s_or_b64 exec, exec, s[8:9]
	s_and_b64 s[4:5], s[4:5], exec
	s_or_saveexec_b64 s[6:7], s[6:7]
	v_mov_b32_e32 v3, s10
	s_xor_b64 exec, exec, s[6:7]
	s_cbranch_execz .LBB59_510
.LBB59_2560:
	v_mov_b32_e32 v3, 0
	v_cmp_ne_u16_sdwa s[8:9], v5, v3 src0_sel:BYTE_3 src1_sel:DWORD
	s_andn2_b64 s[4:5], s[4:5], exec
	s_and_b64 s[8:9], s[8:9], exec
	s_or_b64 s[4:5], s[4:5], s[8:9]
	s_or_b64 exec, exec, s[6:7]
	s_and_saveexec_b64 s[6:7], s[4:5]
	s_cbranch_execnz .LBB59_511
	s_branch .LBB59_512
.LBB59_2561:
	s_movk_i32 s4, 0x80
	v_cmp_eq_u16_sdwa s[12:13], v14, s4 src0_sel:BYTE_0 src1_sel:DWORD
	s_mov_b64 s[4:5], -1
                                        ; implicit-def: $sgpr10
	s_and_saveexec_b64 s[8:9], s[12:13]
; %bb.2562:
	s_mov_b32 s10, 0x7f800001
	s_xor_b64 s[4:5], exec, -1
; %bb.2563:
	s_or_b64 exec, exec, s[8:9]
	s_and_b64 s[4:5], s[4:5], exec
	s_or_saveexec_b64 s[6:7], s[6:7]
	v_mov_b32_e32 v20, s10
	s_xor_b64 exec, exec, s[6:7]
	s_cbranch_execz .LBB59_514
.LBB59_2564:
	v_mov_b32_e32 v20, 0
	v_cmp_ne_u16_sdwa s[8:9], v14, v20 src0_sel:BYTE_0 src1_sel:DWORD
	s_andn2_b64 s[4:5], s[4:5], exec
	s_and_b64 s[8:9], s[8:9], exec
	s_or_b64 s[4:5], s[4:5], s[8:9]
	s_or_b64 exec, exec, s[6:7]
	s_and_saveexec_b64 s[6:7], s[4:5]
	s_cbranch_execnz .LBB59_515
	s_branch .LBB59_516
.LBB59_2565:
	s_movk_i32 s4, 0x80
	v_cmp_eq_u16_sdwa s[12:13], v10, s4 src0_sel:BYTE_0 src1_sel:DWORD
	s_mov_b64 s[4:5], -1
                                        ; implicit-def: $sgpr10
	s_and_saveexec_b64 s[8:9], s[12:13]
; %bb.2566:
	s_mov_b32 s10, 0x7f800001
	s_xor_b64 s[4:5], exec, -1
; %bb.2567:
	s_or_b64 exec, exec, s[8:9]
	s_and_b64 s[4:5], s[4:5], exec
	s_or_saveexec_b64 s[6:7], s[6:7]
	v_mov_b32_e32 v21, s10
	s_xor_b64 exec, exec, s[6:7]
	s_cbranch_execz .LBB59_518
.LBB59_2568:
	v_mov_b32_e32 v21, 0
	v_cmp_ne_u16_sdwa s[8:9], v10, v21 src0_sel:BYTE_0 src1_sel:DWORD
	s_andn2_b64 s[4:5], s[4:5], exec
	s_and_b64 s[8:9], s[8:9], exec
	s_or_b64 s[4:5], s[4:5], s[8:9]
	s_or_b64 exec, exec, s[6:7]
	s_and_saveexec_b64 s[6:7], s[4:5]
	s_cbranch_execnz .LBB59_519
	s_branch .LBB59_520
.LBB59_2569:
	s_movk_i32 s4, 0x80
	v_cmp_eq_u16_sdwa s[12:13], v21, s4 src0_sel:BYTE_0 src1_sel:DWORD
	s_mov_b64 s[4:5], -1
                                        ; implicit-def: $sgpr10
	s_and_saveexec_b64 s[8:9], s[12:13]
; %bb.2570:
	s_mov_b32 s10, 0x7f800001
	s_xor_b64 s[4:5], exec, -1
; %bb.2571:
	s_or_b64 exec, exec, s[8:9]
	s_and_b64 s[4:5], s[4:5], exec
	s_or_saveexec_b64 s[6:7], s[6:7]
	v_mov_b32_e32 v20, s10
	s_xor_b64 exec, exec, s[6:7]
	s_cbranch_execz .LBB59_522
.LBB59_2572:
	v_mov_b32_e32 v20, 0
	v_cmp_ne_u16_sdwa s[8:9], v21, v20 src0_sel:BYTE_0 src1_sel:DWORD
	s_andn2_b64 s[4:5], s[4:5], exec
	s_and_b64 s[8:9], s[8:9], exec
	s_or_b64 s[4:5], s[4:5], s[8:9]
	s_or_b64 exec, exec, s[6:7]
	s_and_saveexec_b64 s[6:7], s[4:5]
	s_cbranch_execnz .LBB59_523
	s_branch .LBB59_524
.LBB59_2573:
	s_movk_i32 s4, 0x80
	v_cmp_eq_u16_sdwa s[12:13], v21, s4 src0_sel:BYTE_0 src1_sel:DWORD
	s_mov_b64 s[4:5], -1
                                        ; implicit-def: $sgpr10
	s_and_saveexec_b64 s[8:9], s[12:13]
; %bb.2574:
	s_mov_b32 s10, 0x7f800001
	s_xor_b64 s[4:5], exec, -1
; %bb.2575:
	s_or_b64 exec, exec, s[8:9]
	s_and_b64 s[4:5], s[4:5], exec
	s_or_saveexec_b64 s[6:7], s[6:7]
	v_mov_b32_e32 v22, s10
	s_xor_b64 exec, exec, s[6:7]
	s_cbranch_execz .LBB59_526
.LBB59_2576:
	v_mov_b32_e32 v22, 0
	v_cmp_ne_u16_sdwa s[8:9], v21, v22 src0_sel:BYTE_0 src1_sel:DWORD
	s_andn2_b64 s[4:5], s[4:5], exec
	s_and_b64 s[8:9], s[8:9], exec
	s_or_b64 s[4:5], s[4:5], s[8:9]
	s_or_b64 exec, exec, s[6:7]
	s_and_saveexec_b64 s[6:7], s[4:5]
	s_cbranch_execnz .LBB59_527
	s_branch .LBB59_528
.LBB59_2577:
	s_movk_i32 s4, 0x80
	v_cmp_eq_u16_e32 vcc, s4, v21
	s_mov_b64 s[4:5], -1
                                        ; implicit-def: $sgpr10
	s_and_saveexec_b64 s[8:9], vcc
; %bb.2578:
	s_mov_b32 s10, 0x7f800001
	s_xor_b64 s[4:5], exec, -1
; %bb.2579:
	s_or_b64 exec, exec, s[8:9]
	s_and_b64 s[4:5], s[4:5], exec
                                        ; implicit-def: $vgpr21
	s_or_saveexec_b64 s[6:7], s[6:7]
	v_mov_b32_e32 v20, s10
	s_xor_b64 exec, exec, s[6:7]
	s_cbranch_execz .LBB59_530
.LBB59_2580:
	v_cmp_ne_u16_e32 vcc, 0, v21
	s_andn2_b64 s[4:5], s[4:5], exec
	s_and_b64 s[8:9], vcc, exec
	v_mov_b32_e32 v20, 0
	s_or_b64 s[4:5], s[4:5], s[8:9]
	s_or_b64 exec, exec, s[6:7]
	s_and_saveexec_b64 s[6:7], s[4:5]
	s_cbranch_execnz .LBB59_531
	s_branch .LBB59_532
.LBB59_2581:
	s_movk_i32 s4, 0x80
	v_cmp_eq_u16_e32 vcc, s4, v21
	s_mov_b64 s[4:5], -1
                                        ; implicit-def: $sgpr10
	s_and_saveexec_b64 s[8:9], vcc
; %bb.2582:
	s_mov_b32 s10, 0x7f800001
	s_xor_b64 s[4:5], exec, -1
; %bb.2583:
	s_or_b64 exec, exec, s[8:9]
	s_and_b64 s[4:5], s[4:5], exec
                                        ; implicit-def: $vgpr21
	s_or_saveexec_b64 s[6:7], s[6:7]
	v_mov_b32_e32 v22, s10
	s_xor_b64 exec, exec, s[6:7]
	s_cbranch_execz .LBB59_534
.LBB59_2584:
	v_cmp_ne_u16_e32 vcc, 0, v21
	s_andn2_b64 s[4:5], s[4:5], exec
	s_and_b64 s[8:9], vcc, exec
	v_mov_b32_e32 v22, 0
	s_or_b64 s[4:5], s[4:5], s[8:9]
	s_or_b64 exec, exec, s[6:7]
	s_and_saveexec_b64 s[6:7], s[4:5]
	s_cbranch_execnz .LBB59_535
	s_branch .LBB59_536
.LBB59_2585:
	s_movk_i32 s4, 0x80
	v_cmp_eq_u16_sdwa s[12:13], v14, s4 src0_sel:BYTE_3 src1_sel:DWORD
	s_mov_b64 s[4:5], -1
                                        ; implicit-def: $sgpr10
	s_and_saveexec_b64 s[8:9], s[12:13]
; %bb.2586:
	s_mov_b32 s10, 0x7f800001
	s_xor_b64 s[4:5], exec, -1
; %bb.2587:
	s_or_b64 exec, exec, s[8:9]
	s_and_b64 s[4:5], s[4:5], exec
	s_or_saveexec_b64 s[6:7], s[6:7]
	v_mov_b32_e32 v20, s10
	s_xor_b64 exec, exec, s[6:7]
	s_cbranch_execz .LBB59_538
.LBB59_2588:
	v_mov_b32_e32 v20, 0
	v_cmp_ne_u16_sdwa s[8:9], v14, v20 src0_sel:BYTE_3 src1_sel:DWORD
	s_andn2_b64 s[4:5], s[4:5], exec
	s_and_b64 s[8:9], s[8:9], exec
	s_or_b64 s[4:5], s[4:5], s[8:9]
	s_or_b64 exec, exec, s[6:7]
	s_and_saveexec_b64 s[6:7], s[4:5]
	s_cbranch_execnz .LBB59_539
	s_branch .LBB59_540
.LBB59_2589:
	s_movk_i32 s4, 0x80
	v_cmp_eq_u16_sdwa s[12:13], v10, s4 src0_sel:BYTE_3 src1_sel:DWORD
	s_mov_b64 s[4:5], -1
                                        ; implicit-def: $sgpr10
	s_and_saveexec_b64 s[8:9], s[12:13]
; %bb.2590:
	s_mov_b32 s10, 0x7f800001
	s_xor_b64 s[4:5], exec, -1
; %bb.2591:
	s_or_b64 exec, exec, s[8:9]
	s_and_b64 s[4:5], s[4:5], exec
	s_or_saveexec_b64 s[6:7], s[6:7]
	v_mov_b32_e32 v14, s10
	s_xor_b64 exec, exec, s[6:7]
	s_cbranch_execz .LBB59_542
.LBB59_2592:
	v_mov_b32_e32 v14, 0
	v_cmp_ne_u16_sdwa s[8:9], v10, v14 src0_sel:BYTE_3 src1_sel:DWORD
	s_andn2_b64 s[4:5], s[4:5], exec
	s_and_b64 s[8:9], s[8:9], exec
	s_or_b64 s[4:5], s[4:5], s[8:9]
	s_or_b64 exec, exec, s[6:7]
	s_and_saveexec_b64 s[6:7], s[4:5]
	s_cbranch_execnz .LBB59_543
	s_branch .LBB59_544
.LBB59_2593:
	s_movk_i32 s4, 0x80
	v_cmp_eq_u16_sdwa s[12:13], v15, s4 src0_sel:BYTE_0 src1_sel:DWORD
	s_mov_b64 s[4:5], -1
                                        ; implicit-def: $sgpr10
	s_and_saveexec_b64 s[8:9], s[12:13]
; %bb.2594:
	s_mov_b32 s10, 0x7f800001
	s_xor_b64 s[4:5], exec, -1
; %bb.2595:
	s_or_b64 exec, exec, s[8:9]
	s_and_b64 s[4:5], s[4:5], exec
	s_or_saveexec_b64 s[6:7], s[6:7]
	v_mov_b32_e32 v10, s10
	s_xor_b64 exec, exec, s[6:7]
	s_cbranch_execz .LBB59_546
.LBB59_2596:
	v_mov_b32_e32 v10, 0
	v_cmp_ne_u16_sdwa s[8:9], v15, v10 src0_sel:BYTE_0 src1_sel:DWORD
	s_andn2_b64 s[4:5], s[4:5], exec
	s_and_b64 s[8:9], s[8:9], exec
	s_or_b64 s[4:5], s[4:5], s[8:9]
	s_or_b64 exec, exec, s[6:7]
	s_and_saveexec_b64 s[6:7], s[4:5]
	s_cbranch_execnz .LBB59_547
	s_branch .LBB59_548
.LBB59_2597:
	s_movk_i32 s4, 0x80
	v_cmp_eq_u16_sdwa s[12:13], v11, s4 src0_sel:BYTE_0 src1_sel:DWORD
	s_mov_b64 s[4:5], -1
                                        ; implicit-def: $sgpr10
	s_and_saveexec_b64 s[8:9], s[12:13]
; %bb.2598:
	s_mov_b32 s10, 0x7f800001
	s_xor_b64 s[4:5], exec, -1
; %bb.2599:
	s_or_b64 exec, exec, s[8:9]
	s_and_b64 s[4:5], s[4:5], exec
	s_or_saveexec_b64 s[6:7], s[6:7]
	v_mov_b32_e32 v14, s10
	s_xor_b64 exec, exec, s[6:7]
	s_cbranch_execz .LBB59_550
.LBB59_2600:
	v_mov_b32_e32 v14, 0
	v_cmp_ne_u16_sdwa s[8:9], v11, v14 src0_sel:BYTE_0 src1_sel:DWORD
	s_andn2_b64 s[4:5], s[4:5], exec
	s_and_b64 s[8:9], s[8:9], exec
	s_or_b64 s[4:5], s[4:5], s[8:9]
	s_or_b64 exec, exec, s[6:7]
	s_and_saveexec_b64 s[6:7], s[4:5]
	s_cbranch_execnz .LBB59_551
	s_branch .LBB59_552
.LBB59_2601:
	s_movk_i32 s4, 0x80
	v_cmp_eq_u16_sdwa s[12:13], v14, s4 src0_sel:BYTE_0 src1_sel:DWORD
	s_mov_b64 s[4:5], -1
                                        ; implicit-def: $sgpr10
	s_and_saveexec_b64 s[8:9], s[12:13]
; %bb.2602:
	s_mov_b32 s10, 0x7f800001
	s_xor_b64 s[4:5], exec, -1
; %bb.2603:
	s_or_b64 exec, exec, s[8:9]
	s_and_b64 s[4:5], s[4:5], exec
	s_or_saveexec_b64 s[6:7], s[6:7]
	v_mov_b32_e32 v10, s10
	s_xor_b64 exec, exec, s[6:7]
	s_cbranch_execz .LBB59_554
.LBB59_2604:
	v_mov_b32_e32 v10, 0
	v_cmp_ne_u16_sdwa s[8:9], v14, v10 src0_sel:BYTE_0 src1_sel:DWORD
	s_andn2_b64 s[4:5], s[4:5], exec
	s_and_b64 s[8:9], s[8:9], exec
	s_or_b64 s[4:5], s[4:5], s[8:9]
	s_or_b64 exec, exec, s[6:7]
	s_and_saveexec_b64 s[6:7], s[4:5]
	s_cbranch_execnz .LBB59_555
	s_branch .LBB59_556
.LBB59_2605:
	s_movk_i32 s4, 0x80
	v_cmp_eq_u16_sdwa s[12:13], v14, s4 src0_sel:BYTE_0 src1_sel:DWORD
	s_mov_b64 s[4:5], -1
                                        ; implicit-def: $sgpr10
	s_and_saveexec_b64 s[8:9], s[12:13]
; %bb.2606:
	s_mov_b32 s10, 0x7f800001
	s_xor_b64 s[4:5], exec, -1
; %bb.2607:
	s_or_b64 exec, exec, s[8:9]
	s_and_b64 s[4:5], s[4:5], exec
	s_or_saveexec_b64 s[6:7], s[6:7]
	v_mov_b32_e32 v20, s10
	s_xor_b64 exec, exec, s[6:7]
	s_cbranch_execz .LBB59_558
.LBB59_2608:
	v_mov_b32_e32 v20, 0
	v_cmp_ne_u16_sdwa s[8:9], v14, v20 src0_sel:BYTE_0 src1_sel:DWORD
	s_andn2_b64 s[4:5], s[4:5], exec
	s_and_b64 s[8:9], s[8:9], exec
	s_or_b64 s[4:5], s[4:5], s[8:9]
	s_or_b64 exec, exec, s[6:7]
	s_and_saveexec_b64 s[6:7], s[4:5]
	s_cbranch_execnz .LBB59_559
	s_branch .LBB59_560
.LBB59_2609:
	s_movk_i32 s4, 0x80
	v_cmp_eq_u16_e32 vcc, s4, v14
	s_mov_b64 s[4:5], -1
                                        ; implicit-def: $sgpr10
	s_and_saveexec_b64 s[8:9], vcc
; %bb.2610:
	s_mov_b32 s10, 0x7f800001
	s_xor_b64 s[4:5], exec, -1
; %bb.2611:
	s_or_b64 exec, exec, s[8:9]
	s_and_b64 s[4:5], s[4:5], exec
                                        ; implicit-def: $vgpr14
	s_or_saveexec_b64 s[6:7], s[6:7]
	v_mov_b32_e32 v10, s10
	s_xor_b64 exec, exec, s[6:7]
	s_cbranch_execz .LBB59_562
.LBB59_2612:
	v_cmp_ne_u16_e32 vcc, 0, v14
	s_andn2_b64 s[4:5], s[4:5], exec
	s_and_b64 s[8:9], vcc, exec
	v_mov_b32_e32 v10, 0
	s_or_b64 s[4:5], s[4:5], s[8:9]
	s_or_b64 exec, exec, s[6:7]
	s_and_saveexec_b64 s[6:7], s[4:5]
	s_cbranch_execnz .LBB59_563
	s_branch .LBB59_564
.LBB59_2613:
	s_movk_i32 s4, 0x80
	v_cmp_eq_u16_e32 vcc, s4, v14
	s_mov_b64 s[4:5], -1
                                        ; implicit-def: $sgpr10
	s_and_saveexec_b64 s[8:9], vcc
; %bb.2614:
	s_mov_b32 s10, 0x7f800001
	s_xor_b64 s[4:5], exec, -1
; %bb.2615:
	s_or_b64 exec, exec, s[8:9]
	s_and_b64 s[4:5], s[4:5], exec
                                        ; implicit-def: $vgpr14
	s_or_saveexec_b64 s[6:7], s[6:7]
	v_mov_b32_e32 v20, s10
	s_xor_b64 exec, exec, s[6:7]
	s_cbranch_execz .LBB59_566
.LBB59_2616:
	v_cmp_ne_u16_e32 vcc, 0, v14
	s_andn2_b64 s[4:5], s[4:5], exec
	s_and_b64 s[8:9], vcc, exec
	v_mov_b32_e32 v20, 0
	s_or_b64 s[4:5], s[4:5], s[8:9]
	s_or_b64 exec, exec, s[6:7]
	s_and_saveexec_b64 s[6:7], s[4:5]
	s_cbranch_execnz .LBB59_567
	s_branch .LBB59_568
.LBB59_2617:
	s_movk_i32 s4, 0x80
	v_cmp_eq_u16_sdwa s[12:13], v15, s4 src0_sel:BYTE_3 src1_sel:DWORD
	s_mov_b64 s[4:5], -1
                                        ; implicit-def: $sgpr10
	s_and_saveexec_b64 s[8:9], s[12:13]
; %bb.2618:
	s_mov_b32 s10, 0x7f800001
	s_xor_b64 s[4:5], exec, -1
; %bb.2619:
	s_or_b64 exec, exec, s[8:9]
	s_and_b64 s[4:5], s[4:5], exec
	s_or_saveexec_b64 s[6:7], s[6:7]
	v_mov_b32_e32 v10, s10
	s_xor_b64 exec, exec, s[6:7]
	s_cbranch_execz .LBB59_570
.LBB59_2620:
	v_mov_b32_e32 v10, 0
	v_cmp_ne_u16_sdwa s[8:9], v15, v10 src0_sel:BYTE_3 src1_sel:DWORD
	s_andn2_b64 s[4:5], s[4:5], exec
	s_and_b64 s[8:9], s[8:9], exec
	s_or_b64 s[4:5], s[4:5], s[8:9]
	s_or_b64 exec, exec, s[6:7]
	s_and_saveexec_b64 s[6:7], s[4:5]
	s_cbranch_execnz .LBB59_571
	s_branch .LBB59_572
.LBB59_2621:
	s_movk_i32 s4, 0x80
	v_cmp_eq_u16_sdwa s[12:13], v11, s4 src0_sel:BYTE_3 src1_sel:DWORD
	s_mov_b64 s[4:5], -1
                                        ; implicit-def: $sgpr10
	s_and_saveexec_b64 s[8:9], s[12:13]
; %bb.2622:
	s_mov_b32 s10, 0x7f800001
	s_xor_b64 s[4:5], exec, -1
; %bb.2623:
	s_or_b64 exec, exec, s[8:9]
	s_and_b64 s[4:5], s[4:5], exec
	s_or_saveexec_b64 s[6:7], s[6:7]
	v_mov_b32_e32 v14, s10
	s_xor_b64 exec, exec, s[6:7]
	s_cbranch_execz .LBB59_574
.LBB59_2624:
	v_mov_b32_e32 v14, 0
	v_cmp_ne_u16_sdwa s[8:9], v11, v14 src0_sel:BYTE_3 src1_sel:DWORD
	s_andn2_b64 s[4:5], s[4:5], exec
	s_and_b64 s[8:9], s[8:9], exec
	s_or_b64 s[4:5], s[4:5], s[8:9]
	s_or_b64 exec, exec, s[6:7]
	s_and_saveexec_b64 s[6:7], s[4:5]
	s_cbranch_execnz .LBB59_575
	s_branch .LBB59_576
.LBB59_2625:
	s_movk_i32 s4, 0x80
	v_cmp_eq_u16_sdwa s[12:13], v16, s4 src0_sel:BYTE_0 src1_sel:DWORD
	s_mov_b64 s[4:5], -1
                                        ; implicit-def: $sgpr10
	s_and_saveexec_b64 s[8:9], s[12:13]
; %bb.2626:
	s_mov_b32 s10, 0x7f800001
	s_xor_b64 s[4:5], exec, -1
; %bb.2627:
	s_or_b64 exec, exec, s[8:9]
	s_and_b64 s[4:5], s[4:5], exec
	s_or_saveexec_b64 s[6:7], s[6:7]
	v_mov_b32_e32 v10, s10
	s_xor_b64 exec, exec, s[6:7]
	s_cbranch_execz .LBB59_578
.LBB59_2628:
	v_mov_b32_e32 v10, 0
	v_cmp_ne_u16_sdwa s[8:9], v16, v10 src0_sel:BYTE_0 src1_sel:DWORD
	s_andn2_b64 s[4:5], s[4:5], exec
	s_and_b64 s[8:9], s[8:9], exec
	s_or_b64 s[4:5], s[4:5], s[8:9]
	s_or_b64 exec, exec, s[6:7]
	s_and_saveexec_b64 s[6:7], s[4:5]
	s_cbranch_execnz .LBB59_579
	s_branch .LBB59_580
.LBB59_2629:
	s_movk_i32 s4, 0x80
	v_cmp_eq_u16_sdwa s[12:13], v12, s4 src0_sel:BYTE_0 src1_sel:DWORD
	s_mov_b64 s[4:5], -1
                                        ; implicit-def: $sgpr10
	s_and_saveexec_b64 s[8:9], s[12:13]
; %bb.2630:
	s_mov_b32 s10, 0x7f800001
	s_xor_b64 s[4:5], exec, -1
; %bb.2631:
	s_or_b64 exec, exec, s[8:9]
	s_and_b64 s[4:5], s[4:5], exec
	s_or_saveexec_b64 s[6:7], s[6:7]
	v_mov_b32_e32 v11, s10
	s_xor_b64 exec, exec, s[6:7]
	s_cbranch_execz .LBB59_582
.LBB59_2632:
	v_mov_b32_e32 v11, 0
	v_cmp_ne_u16_sdwa s[8:9], v12, v11 src0_sel:BYTE_0 src1_sel:DWORD
	s_andn2_b64 s[4:5], s[4:5], exec
	s_and_b64 s[8:9], s[8:9], exec
	s_or_b64 s[4:5], s[4:5], s[8:9]
	s_or_b64 exec, exec, s[6:7]
	s_and_saveexec_b64 s[6:7], s[4:5]
	s_cbranch_execnz .LBB59_583
	s_branch .LBB59_584
.LBB59_2633:
	s_movk_i32 s4, 0x80
	v_cmp_eq_u16_sdwa s[12:13], v11, s4 src0_sel:BYTE_0 src1_sel:DWORD
	s_mov_b64 s[4:5], -1
                                        ; implicit-def: $sgpr10
	s_and_saveexec_b64 s[8:9], s[12:13]
; %bb.2634:
	s_mov_b32 s10, 0x7f800001
	s_xor_b64 s[4:5], exec, -1
; %bb.2635:
	s_or_b64 exec, exec, s[8:9]
	s_and_b64 s[4:5], s[4:5], exec
	s_or_saveexec_b64 s[6:7], s[6:7]
	v_mov_b32_e32 v10, s10
	s_xor_b64 exec, exec, s[6:7]
	s_cbranch_execz .LBB59_586
.LBB59_2636:
	v_mov_b32_e32 v10, 0
	v_cmp_ne_u16_sdwa s[8:9], v11, v10 src0_sel:BYTE_0 src1_sel:DWORD
	s_andn2_b64 s[4:5], s[4:5], exec
	s_and_b64 s[8:9], s[8:9], exec
	s_or_b64 s[4:5], s[4:5], s[8:9]
	s_or_b64 exec, exec, s[6:7]
	s_and_saveexec_b64 s[6:7], s[4:5]
	s_cbranch_execnz .LBB59_587
	s_branch .LBB59_588
.LBB59_2637:
	s_movk_i32 s4, 0x80
	v_cmp_eq_u16_sdwa s[12:13], v11, s4 src0_sel:BYTE_0 src1_sel:DWORD
	s_mov_b64 s[4:5], -1
                                        ; implicit-def: $sgpr10
	s_and_saveexec_b64 s[8:9], s[12:13]
; %bb.2638:
	s_mov_b32 s10, 0x7f800001
	s_xor_b64 s[4:5], exec, -1
; %bb.2639:
	s_or_b64 exec, exec, s[8:9]
	s_and_b64 s[4:5], s[4:5], exec
	s_or_saveexec_b64 s[6:7], s[6:7]
	v_mov_b32_e32 v14, s10
	s_xor_b64 exec, exec, s[6:7]
	s_cbranch_execz .LBB59_590
.LBB59_2640:
	v_mov_b32_e32 v14, 0
	v_cmp_ne_u16_sdwa s[8:9], v11, v14 src0_sel:BYTE_0 src1_sel:DWORD
	s_andn2_b64 s[4:5], s[4:5], exec
	s_and_b64 s[8:9], s[8:9], exec
	s_or_b64 s[4:5], s[4:5], s[8:9]
	s_or_b64 exec, exec, s[6:7]
	s_and_saveexec_b64 s[6:7], s[4:5]
	s_cbranch_execnz .LBB59_591
	s_branch .LBB59_592
.LBB59_2641:
	s_movk_i32 s4, 0x80
	v_cmp_eq_u16_e32 vcc, s4, v11
	s_mov_b64 s[4:5], -1
                                        ; implicit-def: $sgpr10
	s_and_saveexec_b64 s[8:9], vcc
; %bb.2642:
	s_mov_b32 s10, 0x7f800001
	s_xor_b64 s[4:5], exec, -1
; %bb.2643:
	s_or_b64 exec, exec, s[8:9]
	s_and_b64 s[4:5], s[4:5], exec
                                        ; implicit-def: $vgpr11
	s_or_saveexec_b64 s[6:7], s[6:7]
	v_mov_b32_e32 v10, s10
	s_xor_b64 exec, exec, s[6:7]
	s_cbranch_execz .LBB59_594
.LBB59_2644:
	v_cmp_ne_u16_e32 vcc, 0, v11
	s_andn2_b64 s[4:5], s[4:5], exec
	s_and_b64 s[8:9], vcc, exec
	v_mov_b32_e32 v10, 0
	s_or_b64 s[4:5], s[4:5], s[8:9]
	s_or_b64 exec, exec, s[6:7]
	s_and_saveexec_b64 s[6:7], s[4:5]
	s_cbranch_execnz .LBB59_595
	s_branch .LBB59_596
.LBB59_2645:
	s_movk_i32 s4, 0x80
	v_cmp_eq_u16_e32 vcc, s4, v11
	s_mov_b64 s[4:5], -1
                                        ; implicit-def: $sgpr10
	s_and_saveexec_b64 s[8:9], vcc
; %bb.2646:
	s_mov_b32 s10, 0x7f800001
	s_xor_b64 s[4:5], exec, -1
; %bb.2647:
	s_or_b64 exec, exec, s[8:9]
	s_and_b64 s[4:5], s[4:5], exec
                                        ; implicit-def: $vgpr11
	s_or_saveexec_b64 s[6:7], s[6:7]
	v_mov_b32_e32 v14, s10
	s_xor_b64 exec, exec, s[6:7]
	s_cbranch_execz .LBB59_598
.LBB59_2648:
	v_cmp_ne_u16_e32 vcc, 0, v11
	s_andn2_b64 s[4:5], s[4:5], exec
	s_and_b64 s[8:9], vcc, exec
	v_mov_b32_e32 v14, 0
	s_or_b64 s[4:5], s[4:5], s[8:9]
	s_or_b64 exec, exec, s[6:7]
	s_and_saveexec_b64 s[6:7], s[4:5]
	s_cbranch_execnz .LBB59_599
	s_branch .LBB59_600
.LBB59_2649:
	s_movk_i32 s4, 0x80
	v_cmp_eq_u16_sdwa s[12:13], v16, s4 src0_sel:BYTE_3 src1_sel:DWORD
	s_mov_b64 s[4:5], -1
                                        ; implicit-def: $sgpr10
	s_and_saveexec_b64 s[8:9], s[12:13]
; %bb.2650:
	s_mov_b32 s10, 0x7f800001
	s_xor_b64 s[4:5], exec, -1
; %bb.2651:
	s_or_b64 exec, exec, s[8:9]
	s_and_b64 s[4:5], s[4:5], exec
	s_or_saveexec_b64 s[6:7], s[6:7]
	v_mov_b32_e32 v10, s10
	s_xor_b64 exec, exec, s[6:7]
	s_cbranch_execz .LBB59_602
.LBB59_2652:
	v_mov_b32_e32 v10, 0
	v_cmp_ne_u16_sdwa s[8:9], v16, v10 src0_sel:BYTE_3 src1_sel:DWORD
	s_andn2_b64 s[4:5], s[4:5], exec
	s_and_b64 s[8:9], s[8:9], exec
	s_or_b64 s[4:5], s[4:5], s[8:9]
	s_or_b64 exec, exec, s[6:7]
	s_and_saveexec_b64 s[6:7], s[4:5]
	s_cbranch_execnz .LBB59_603
	s_branch .LBB59_604
.LBB59_2653:
	s_movk_i32 s4, 0x80
	v_cmp_eq_u16_sdwa s[12:13], v12, s4 src0_sel:BYTE_3 src1_sel:DWORD
	s_mov_b64 s[4:5], -1
                                        ; implicit-def: $sgpr10
	s_and_saveexec_b64 s[8:9], s[12:13]
; %bb.2654:
	s_mov_b32 s10, 0x7f800001
	s_xor_b64 s[4:5], exec, -1
; %bb.2655:
	s_or_b64 exec, exec, s[8:9]
	s_and_b64 s[4:5], s[4:5], exec
	s_or_saveexec_b64 s[6:7], s[6:7]
	v_mov_b32_e32 v11, s10
	s_xor_b64 exec, exec, s[6:7]
	s_cbranch_execz .LBB59_606
.LBB59_2656:
	v_mov_b32_e32 v11, 0
	v_cmp_ne_u16_sdwa s[8:9], v12, v11 src0_sel:BYTE_3 src1_sel:DWORD
	s_andn2_b64 s[4:5], s[4:5], exec
	s_and_b64 s[8:9], s[8:9], exec
	s_or_b64 s[4:5], s[4:5], s[8:9]
	s_or_b64 exec, exec, s[6:7]
	s_and_saveexec_b64 s[6:7], s[4:5]
	s_cbranch_execnz .LBB59_607
	s_branch .LBB59_608
.LBB59_2657:
	s_movk_i32 s4, 0x80
	v_cmp_eq_u16_sdwa s[12:13], v17, s4 src0_sel:BYTE_0 src1_sel:DWORD
	s_mov_b64 s[4:5], -1
                                        ; implicit-def: $sgpr10
	s_and_saveexec_b64 s[8:9], s[12:13]
; %bb.2658:
	s_mov_b32 s10, 0x7f800001
	s_xor_b64 s[4:5], exec, -1
; %bb.2659:
	s_or_b64 exec, exec, s[8:9]
	s_and_b64 s[4:5], s[4:5], exec
	s_or_saveexec_b64 s[6:7], s[6:7]
	v_mov_b32_e32 v10, s10
	s_xor_b64 exec, exec, s[6:7]
	s_cbranch_execz .LBB59_610
.LBB59_2660:
	v_mov_b32_e32 v10, 0
	v_cmp_ne_u16_sdwa s[8:9], v17, v10 src0_sel:BYTE_0 src1_sel:DWORD
	s_andn2_b64 s[4:5], s[4:5], exec
	s_and_b64 s[8:9], s[8:9], exec
	s_or_b64 s[4:5], s[4:5], s[8:9]
	s_or_b64 exec, exec, s[6:7]
	s_and_saveexec_b64 s[6:7], s[4:5]
	s_cbranch_execnz .LBB59_611
	s_branch .LBB59_612
.LBB59_2661:
	s_movk_i32 s4, 0x80
	v_cmp_eq_u16_sdwa s[12:13], v13, s4 src0_sel:BYTE_0 src1_sel:DWORD
	s_mov_b64 s[4:5], -1
                                        ; implicit-def: $sgpr10
	s_and_saveexec_b64 s[8:9], s[12:13]
; %bb.2662:
	s_mov_b32 s10, 0x7f800001
	s_xor_b64 s[4:5], exec, -1
; %bb.2663:
	s_or_b64 exec, exec, s[8:9]
	s_and_b64 s[4:5], s[4:5], exec
	s_or_saveexec_b64 s[6:7], s[6:7]
	v_mov_b32_e32 v11, s10
	s_xor_b64 exec, exec, s[6:7]
	s_cbranch_execz .LBB59_614
.LBB59_2664:
	v_mov_b32_e32 v11, 0
	v_cmp_ne_u16_sdwa s[8:9], v13, v11 src0_sel:BYTE_0 src1_sel:DWORD
	s_andn2_b64 s[4:5], s[4:5], exec
	s_and_b64 s[8:9], s[8:9], exec
	s_or_b64 s[4:5], s[4:5], s[8:9]
	s_or_b64 exec, exec, s[6:7]
	s_and_saveexec_b64 s[6:7], s[4:5]
	s_cbranch_execnz .LBB59_615
	s_branch .LBB59_616
.LBB59_2665:
	s_movk_i32 s4, 0x80
	v_cmp_eq_u16_sdwa s[12:13], v11, s4 src0_sel:BYTE_0 src1_sel:DWORD
	s_mov_b64 s[4:5], -1
                                        ; implicit-def: $sgpr10
	s_and_saveexec_b64 s[8:9], s[12:13]
; %bb.2666:
	s_mov_b32 s10, 0x7f800001
	s_xor_b64 s[4:5], exec, -1
; %bb.2667:
	s_or_b64 exec, exec, s[8:9]
	s_and_b64 s[4:5], s[4:5], exec
	s_or_saveexec_b64 s[6:7], s[6:7]
	v_mov_b32_e32 v10, s10
	s_xor_b64 exec, exec, s[6:7]
	s_cbranch_execz .LBB59_618
.LBB59_2668:
	v_mov_b32_e32 v10, 0
	v_cmp_ne_u16_sdwa s[8:9], v11, v10 src0_sel:BYTE_0 src1_sel:DWORD
	s_andn2_b64 s[4:5], s[4:5], exec
	s_and_b64 s[8:9], s[8:9], exec
	s_or_b64 s[4:5], s[4:5], s[8:9]
	s_or_b64 exec, exec, s[6:7]
	s_and_saveexec_b64 s[6:7], s[4:5]
	s_cbranch_execnz .LBB59_619
	s_branch .LBB59_620
.LBB59_2669:
	s_movk_i32 s4, 0x80
	v_cmp_eq_u16_sdwa s[12:13], v11, s4 src0_sel:BYTE_0 src1_sel:DWORD
	s_mov_b64 s[4:5], -1
                                        ; implicit-def: $sgpr10
	s_and_saveexec_b64 s[8:9], s[12:13]
; %bb.2670:
	s_mov_b32 s10, 0x7f800001
	s_xor_b64 s[4:5], exec, -1
; %bb.2671:
	s_or_b64 exec, exec, s[8:9]
	s_and_b64 s[4:5], s[4:5], exec
	s_or_saveexec_b64 s[6:7], s[6:7]
	v_mov_b32_e32 v12, s10
	s_xor_b64 exec, exec, s[6:7]
	s_cbranch_execz .LBB59_622
.LBB59_2672:
	v_mov_b32_e32 v12, 0
	v_cmp_ne_u16_sdwa s[8:9], v11, v12 src0_sel:BYTE_0 src1_sel:DWORD
	s_andn2_b64 s[4:5], s[4:5], exec
	s_and_b64 s[8:9], s[8:9], exec
	s_or_b64 s[4:5], s[4:5], s[8:9]
	s_or_b64 exec, exec, s[6:7]
	s_and_saveexec_b64 s[6:7], s[4:5]
	s_cbranch_execnz .LBB59_623
	s_branch .LBB59_624
.LBB59_2673:
	s_movk_i32 s4, 0x80
	v_cmp_eq_u16_e32 vcc, s4, v11
	s_mov_b64 s[4:5], -1
                                        ; implicit-def: $sgpr10
	s_and_saveexec_b64 s[8:9], vcc
; %bb.2674:
	s_mov_b32 s10, 0x7f800001
	s_xor_b64 s[4:5], exec, -1
; %bb.2675:
	s_or_b64 exec, exec, s[8:9]
	s_and_b64 s[4:5], s[4:5], exec
                                        ; implicit-def: $vgpr11
	s_or_saveexec_b64 s[6:7], s[6:7]
	v_mov_b32_e32 v10, s10
	s_xor_b64 exec, exec, s[6:7]
	s_cbranch_execz .LBB59_626
.LBB59_2676:
	v_cmp_ne_u16_e32 vcc, 0, v11
	s_andn2_b64 s[4:5], s[4:5], exec
	s_and_b64 s[8:9], vcc, exec
	v_mov_b32_e32 v10, 0
	s_or_b64 s[4:5], s[4:5], s[8:9]
	s_or_b64 exec, exec, s[6:7]
	s_and_saveexec_b64 s[6:7], s[4:5]
	s_cbranch_execnz .LBB59_627
	s_branch .LBB59_628
.LBB59_2677:
	s_movk_i32 s4, 0x80
	v_cmp_eq_u16_e32 vcc, s4, v11
	s_mov_b64 s[4:5], -1
                                        ; implicit-def: $sgpr10
	s_and_saveexec_b64 s[8:9], vcc
; %bb.2678:
	s_mov_b32 s10, 0x7f800001
	s_xor_b64 s[4:5], exec, -1
; %bb.2679:
	s_or_b64 exec, exec, s[8:9]
	s_and_b64 s[4:5], s[4:5], exec
                                        ; implicit-def: $vgpr11
	s_or_saveexec_b64 s[6:7], s[6:7]
	v_mov_b32_e32 v12, s10
	s_xor_b64 exec, exec, s[6:7]
	s_cbranch_execz .LBB59_630
.LBB59_2680:
	v_cmp_ne_u16_e32 vcc, 0, v11
	s_andn2_b64 s[4:5], s[4:5], exec
	s_and_b64 s[8:9], vcc, exec
	v_mov_b32_e32 v12, 0
	s_or_b64 s[4:5], s[4:5], s[8:9]
	s_or_b64 exec, exec, s[6:7]
	s_and_saveexec_b64 s[6:7], s[4:5]
	s_cbranch_execnz .LBB59_631
	s_branch .LBB59_632
.LBB59_2681:
	s_movk_i32 s4, 0x80
	v_cmp_eq_u16_sdwa s[12:13], v17, s4 src0_sel:BYTE_3 src1_sel:DWORD
	s_mov_b64 s[4:5], -1
                                        ; implicit-def: $sgpr10
	s_and_saveexec_b64 s[8:9], s[12:13]
; %bb.2682:
	s_mov_b32 s10, 0x7f800001
	s_xor_b64 s[4:5], exec, -1
; %bb.2683:
	s_or_b64 exec, exec, s[8:9]
	s_and_b64 s[4:5], s[4:5], exec
	s_or_saveexec_b64 s[6:7], s[6:7]
	v_mov_b32_e32 v10, s10
	s_xor_b64 exec, exec, s[6:7]
	s_cbranch_execz .LBB59_634
.LBB59_2684:
	v_mov_b32_e32 v10, 0
	v_cmp_ne_u16_sdwa s[8:9], v17, v10 src0_sel:BYTE_3 src1_sel:DWORD
	s_andn2_b64 s[4:5], s[4:5], exec
	s_and_b64 s[8:9], s[8:9], exec
	s_or_b64 s[4:5], s[4:5], s[8:9]
	s_or_b64 exec, exec, s[6:7]
	s_and_saveexec_b64 s[6:7], s[4:5]
	s_cbranch_execnz .LBB59_635
	s_branch .LBB59_636
.LBB59_2685:
	s_movk_i32 s4, 0x80
	v_cmp_eq_u16_sdwa s[12:13], v13, s4 src0_sel:BYTE_3 src1_sel:DWORD
	s_mov_b64 s[4:5], -1
                                        ; implicit-def: $sgpr10
	s_and_saveexec_b64 s[8:9], s[12:13]
; %bb.2686:
	s_mov_b32 s10, 0x7f800001
	s_xor_b64 s[4:5], exec, -1
; %bb.2687:
	s_or_b64 exec, exec, s[8:9]
	s_and_b64 s[4:5], s[4:5], exec
	s_or_saveexec_b64 s[6:7], s[6:7]
	v_mov_b32_e32 v11, s10
	s_xor_b64 exec, exec, s[6:7]
	s_cbranch_execz .LBB59_638
.LBB59_2688:
	v_mov_b32_e32 v11, 0
	v_cmp_ne_u16_sdwa s[8:9], v13, v11 src0_sel:BYTE_3 src1_sel:DWORD
	s_andn2_b64 s[4:5], s[4:5], exec
	s_and_b64 s[8:9], s[8:9], exec
	s_or_b64 s[4:5], s[4:5], s[8:9]
	s_or_b64 exec, exec, s[6:7]
	s_and_saveexec_b64 s[6:7], s[4:5]
	s_cbranch_execnz .LBB59_639
	s_branch .LBB59_640
.LBB59_2689:
	s_movk_i32 s4, 0x80
	v_cmp_eq_u16_sdwa s[12:13], v6, s4 src0_sel:BYTE_0 src1_sel:DWORD
	s_mov_b64 s[4:5], -1
                                        ; implicit-def: $sgpr10
	s_and_saveexec_b64 s[8:9], s[12:13]
; %bb.2690:
	s_mov_b32 s10, 0x7f800001
	s_xor_b64 s[4:5], exec, -1
; %bb.2691:
	s_or_b64 exec, exec, s[8:9]
	s_and_b64 s[4:5], s[4:5], exec
	s_or_saveexec_b64 s[6:7], s[6:7]
	v_mov_b32_e32 v10, s10
	s_xor_b64 exec, exec, s[6:7]
	s_cbranch_execz .LBB59_642
.LBB59_2692:
	v_mov_b32_e32 v10, 0
	v_cmp_ne_u16_sdwa s[8:9], v6, v10 src0_sel:BYTE_0 src1_sel:DWORD
	s_andn2_b64 s[4:5], s[4:5], exec
	s_and_b64 s[8:9], s[8:9], exec
	s_or_b64 s[4:5], s[4:5], s[8:9]
	s_or_b64 exec, exec, s[6:7]
	s_and_saveexec_b64 s[6:7], s[4:5]
	s_cbranch_execnz .LBB59_643
	s_branch .LBB59_644
.LBB59_2693:
	s_movk_i32 s4, 0x80
	v_cmp_eq_u16_sdwa s[12:13], v2, s4 src0_sel:BYTE_0 src1_sel:DWORD
	s_mov_b64 s[4:5], -1
                                        ; implicit-def: $sgpr10
	s_and_saveexec_b64 s[8:9], s[12:13]
; %bb.2694:
	s_mov_b32 s10, 0x7f800001
	s_xor_b64 s[4:5], exec, -1
; %bb.2695:
	s_or_b64 exec, exec, s[8:9]
	s_and_b64 s[4:5], s[4:5], exec
	s_or_saveexec_b64 s[6:7], s[6:7]
	v_mov_b32_e32 v11, s10
	s_xor_b64 exec, exec, s[6:7]
	s_cbranch_execz .LBB59_646
.LBB59_2696:
	v_mov_b32_e32 v11, 0
	v_cmp_ne_u16_sdwa s[8:9], v2, v11 src0_sel:BYTE_0 src1_sel:DWORD
	s_andn2_b64 s[4:5], s[4:5], exec
	s_and_b64 s[8:9], s[8:9], exec
	s_or_b64 s[4:5], s[4:5], s[8:9]
	s_or_b64 exec, exec, s[6:7]
	s_and_saveexec_b64 s[6:7], s[4:5]
	s_cbranch_execnz .LBB59_647
	s_branch .LBB59_648
.LBB59_2697:
	s_movk_i32 s4, 0x80
	v_cmp_eq_u16_sdwa s[12:13], v11, s4 src0_sel:BYTE_0 src1_sel:DWORD
	s_mov_b64 s[4:5], -1
                                        ; implicit-def: $sgpr10
	s_and_saveexec_b64 s[8:9], s[12:13]
; %bb.2698:
	s_mov_b32 s10, 0x7f800001
	s_xor_b64 s[4:5], exec, -1
; %bb.2699:
	s_or_b64 exec, exec, s[8:9]
	s_and_b64 s[4:5], s[4:5], exec
	s_or_saveexec_b64 s[6:7], s[6:7]
	v_mov_b32_e32 v10, s10
	s_xor_b64 exec, exec, s[6:7]
	s_cbranch_execz .LBB59_650
.LBB59_2700:
	v_mov_b32_e32 v10, 0
	v_cmp_ne_u16_sdwa s[8:9], v11, v10 src0_sel:BYTE_0 src1_sel:DWORD
	s_andn2_b64 s[4:5], s[4:5], exec
	s_and_b64 s[8:9], s[8:9], exec
	s_or_b64 s[4:5], s[4:5], s[8:9]
	s_or_b64 exec, exec, s[6:7]
	s_and_saveexec_b64 s[6:7], s[4:5]
	s_cbranch_execnz .LBB59_651
	s_branch .LBB59_652
.LBB59_2701:
	s_movk_i32 s4, 0x80
	v_cmp_eq_u16_sdwa s[12:13], v11, s4 src0_sel:BYTE_0 src1_sel:DWORD
	s_mov_b64 s[4:5], -1
                                        ; implicit-def: $sgpr10
	s_and_saveexec_b64 s[8:9], s[12:13]
; %bb.2702:
	s_mov_b32 s10, 0x7f800001
	s_xor_b64 s[4:5], exec, -1
; %bb.2703:
	s_or_b64 exec, exec, s[8:9]
	s_and_b64 s[4:5], s[4:5], exec
	s_or_saveexec_b64 s[6:7], s[6:7]
	v_mov_b32_e32 v12, s10
	s_xor_b64 exec, exec, s[6:7]
	s_cbranch_execz .LBB59_654
.LBB59_2704:
	v_mov_b32_e32 v12, 0
	v_cmp_ne_u16_sdwa s[8:9], v11, v12 src0_sel:BYTE_0 src1_sel:DWORD
	s_andn2_b64 s[4:5], s[4:5], exec
	s_and_b64 s[8:9], s[8:9], exec
	s_or_b64 s[4:5], s[4:5], s[8:9]
	s_or_b64 exec, exec, s[6:7]
	s_and_saveexec_b64 s[6:7], s[4:5]
	s_cbranch_execnz .LBB59_655
	s_branch .LBB59_656
.LBB59_2705:
	s_movk_i32 s4, 0x80
	v_cmp_eq_u16_e32 vcc, s4, v11
	s_mov_b64 s[4:5], -1
                                        ; implicit-def: $sgpr10
	s_and_saveexec_b64 s[8:9], vcc
; %bb.2706:
	s_mov_b32 s10, 0x7f800001
	s_xor_b64 s[4:5], exec, -1
; %bb.2707:
	s_or_b64 exec, exec, s[8:9]
	s_and_b64 s[4:5], s[4:5], exec
                                        ; implicit-def: $vgpr11
	s_or_saveexec_b64 s[6:7], s[6:7]
	v_mov_b32_e32 v10, s10
	s_xor_b64 exec, exec, s[6:7]
	s_cbranch_execz .LBB59_658
.LBB59_2708:
	v_cmp_ne_u16_e32 vcc, 0, v11
	s_andn2_b64 s[4:5], s[4:5], exec
	s_and_b64 s[8:9], vcc, exec
	v_mov_b32_e32 v10, 0
	s_or_b64 s[4:5], s[4:5], s[8:9]
	s_or_b64 exec, exec, s[6:7]
	s_and_saveexec_b64 s[6:7], s[4:5]
	s_cbranch_execnz .LBB59_659
	s_branch .LBB59_660
.LBB59_2709:
	s_movk_i32 s4, 0x80
	v_cmp_eq_u16_e32 vcc, s4, v11
	s_mov_b64 s[4:5], -1
                                        ; implicit-def: $sgpr10
	s_and_saveexec_b64 s[8:9], vcc
; %bb.2710:
	s_mov_b32 s10, 0x7f800001
	s_xor_b64 s[4:5], exec, -1
; %bb.2711:
	s_or_b64 exec, exec, s[8:9]
	s_and_b64 s[4:5], s[4:5], exec
                                        ; implicit-def: $vgpr11
	s_or_saveexec_b64 s[6:7], s[6:7]
	v_mov_b32_e32 v12, s10
	s_xor_b64 exec, exec, s[6:7]
	s_cbranch_execz .LBB59_662
.LBB59_2712:
	v_cmp_ne_u16_e32 vcc, 0, v11
	s_andn2_b64 s[4:5], s[4:5], exec
	s_and_b64 s[8:9], vcc, exec
	v_mov_b32_e32 v12, 0
	s_or_b64 s[4:5], s[4:5], s[8:9]
	s_or_b64 exec, exec, s[6:7]
	s_and_saveexec_b64 s[6:7], s[4:5]
	s_cbranch_execnz .LBB59_663
	s_branch .LBB59_664
.LBB59_2713:
	s_movk_i32 s4, 0x80
	v_cmp_eq_u16_sdwa s[12:13], v6, s4 src0_sel:BYTE_3 src1_sel:DWORD
	s_mov_b64 s[4:5], -1
                                        ; implicit-def: $sgpr10
	s_and_saveexec_b64 s[8:9], s[12:13]
; %bb.2714:
	s_mov_b32 s10, 0x7f800001
	s_xor_b64 s[4:5], exec, -1
; %bb.2715:
	s_or_b64 exec, exec, s[8:9]
	s_and_b64 s[4:5], s[4:5], exec
	s_or_saveexec_b64 s[6:7], s[6:7]
	v_mov_b32_e32 v10, s10
	s_xor_b64 exec, exec, s[6:7]
	s_cbranch_execz .LBB59_666
.LBB59_2716:
	v_mov_b32_e32 v10, 0
	v_cmp_ne_u16_sdwa s[8:9], v6, v10 src0_sel:BYTE_3 src1_sel:DWORD
	s_andn2_b64 s[4:5], s[4:5], exec
	s_and_b64 s[8:9], s[8:9], exec
	s_or_b64 s[4:5], s[4:5], s[8:9]
	s_or_b64 exec, exec, s[6:7]
	s_and_saveexec_b64 s[6:7], s[4:5]
	s_cbranch_execnz .LBB59_667
	s_branch .LBB59_668
.LBB59_2717:
	s_movk_i32 s4, 0x80
	v_cmp_eq_u16_sdwa s[12:13], v2, s4 src0_sel:BYTE_3 src1_sel:DWORD
	s_mov_b64 s[4:5], -1
                                        ; implicit-def: $sgpr10
	s_and_saveexec_b64 s[8:9], s[12:13]
; %bb.2718:
	s_mov_b32 s10, 0x7f800001
	s_xor_b64 s[4:5], exec, -1
; %bb.2719:
	s_or_b64 exec, exec, s[8:9]
	s_and_b64 s[4:5], s[4:5], exec
	s_or_saveexec_b64 s[6:7], s[6:7]
	v_mov_b32_e32 v6, s10
	s_xor_b64 exec, exec, s[6:7]
	s_cbranch_execz .LBB59_670
.LBB59_2720:
	v_mov_b32_e32 v6, 0
	v_cmp_ne_u16_sdwa s[8:9], v2, v6 src0_sel:BYTE_3 src1_sel:DWORD
	s_andn2_b64 s[4:5], s[4:5], exec
	s_and_b64 s[8:9], s[8:9], exec
	s_or_b64 s[4:5], s[4:5], s[8:9]
	s_or_b64 exec, exec, s[6:7]
	s_and_saveexec_b64 s[6:7], s[4:5]
	s_cbranch_execnz .LBB59_671
	s_branch .LBB59_672
.LBB59_2721:
	s_movk_i32 s4, 0x80
	v_cmp_eq_u16_sdwa s[12:13], v7, s4 src0_sel:BYTE_0 src1_sel:DWORD
	s_mov_b64 s[4:5], -1
                                        ; implicit-def: $sgpr10
	s_and_saveexec_b64 s[8:9], s[12:13]
; %bb.2722:
	s_mov_b32 s10, 0x7f800001
	s_xor_b64 s[4:5], exec, -1
; %bb.2723:
	s_or_b64 exec, exec, s[8:9]
	s_and_b64 s[4:5], s[4:5], exec
	s_or_saveexec_b64 s[6:7], s[6:7]
	v_mov_b32_e32 v2, s10
	s_xor_b64 exec, exec, s[6:7]
	s_cbranch_execz .LBB59_674
.LBB59_2724:
	v_mov_b32_e32 v2, 0
	v_cmp_ne_u16_sdwa s[8:9], v7, v2 src0_sel:BYTE_0 src1_sel:DWORD
	s_andn2_b64 s[4:5], s[4:5], exec
	s_and_b64 s[8:9], s[8:9], exec
	s_or_b64 s[4:5], s[4:5], s[8:9]
	s_or_b64 exec, exec, s[6:7]
	s_and_saveexec_b64 s[6:7], s[4:5]
	s_cbranch_execnz .LBB59_675
	s_branch .LBB59_676
.LBB59_2725:
	s_movk_i32 s4, 0x80
	v_cmp_eq_u16_sdwa s[12:13], v3, s4 src0_sel:BYTE_0 src1_sel:DWORD
	s_mov_b64 s[4:5], -1
                                        ; implicit-def: $sgpr10
	s_and_saveexec_b64 s[8:9], s[12:13]
; %bb.2726:
	s_mov_b32 s10, 0x7f800001
	s_xor_b64 s[4:5], exec, -1
; %bb.2727:
	s_or_b64 exec, exec, s[8:9]
	s_and_b64 s[4:5], s[4:5], exec
	s_or_saveexec_b64 s[6:7], s[6:7]
	v_mov_b32_e32 v6, s10
	s_xor_b64 exec, exec, s[6:7]
	s_cbranch_execz .LBB59_678
.LBB59_2728:
	v_mov_b32_e32 v6, 0
	v_cmp_ne_u16_sdwa s[8:9], v3, v6 src0_sel:BYTE_0 src1_sel:DWORD
	s_andn2_b64 s[4:5], s[4:5], exec
	s_and_b64 s[8:9], s[8:9], exec
	s_or_b64 s[4:5], s[4:5], s[8:9]
	s_or_b64 exec, exec, s[6:7]
	s_and_saveexec_b64 s[6:7], s[4:5]
	s_cbranch_execnz .LBB59_679
	s_branch .LBB59_680
.LBB59_2729:
	s_movk_i32 s4, 0x80
	v_cmp_eq_u16_sdwa s[12:13], v6, s4 src0_sel:BYTE_0 src1_sel:DWORD
	s_mov_b64 s[4:5], -1
                                        ; implicit-def: $sgpr10
	s_and_saveexec_b64 s[8:9], s[12:13]
; %bb.2730:
	s_mov_b32 s10, 0x7f800001
	s_xor_b64 s[4:5], exec, -1
; %bb.2731:
	s_or_b64 exec, exec, s[8:9]
	s_and_b64 s[4:5], s[4:5], exec
	s_or_saveexec_b64 s[6:7], s[6:7]
	v_mov_b32_e32 v2, s10
	s_xor_b64 exec, exec, s[6:7]
	s_cbranch_execz .LBB59_682
.LBB59_2732:
	v_mov_b32_e32 v2, 0
	v_cmp_ne_u16_sdwa s[8:9], v6, v2 src0_sel:BYTE_0 src1_sel:DWORD
	s_andn2_b64 s[4:5], s[4:5], exec
	s_and_b64 s[8:9], s[8:9], exec
	s_or_b64 s[4:5], s[4:5], s[8:9]
	s_or_b64 exec, exec, s[6:7]
	s_and_saveexec_b64 s[6:7], s[4:5]
	s_cbranch_execnz .LBB59_683
	s_branch .LBB59_684
.LBB59_2733:
	s_movk_i32 s4, 0x80
	v_cmp_eq_u16_sdwa s[12:13], v6, s4 src0_sel:BYTE_0 src1_sel:DWORD
	s_mov_b64 s[4:5], -1
                                        ; implicit-def: $sgpr10
	s_and_saveexec_b64 s[8:9], s[12:13]
; %bb.2734:
	s_mov_b32 s10, 0x7f800001
	s_xor_b64 s[4:5], exec, -1
; %bb.2735:
	s_or_b64 exec, exec, s[8:9]
	s_and_b64 s[4:5], s[4:5], exec
	s_or_saveexec_b64 s[6:7], s[6:7]
	v_mov_b32_e32 v10, s10
	s_xor_b64 exec, exec, s[6:7]
	s_cbranch_execz .LBB59_686
.LBB59_2736:
	v_mov_b32_e32 v10, 0
	v_cmp_ne_u16_sdwa s[8:9], v6, v10 src0_sel:BYTE_0 src1_sel:DWORD
	s_andn2_b64 s[4:5], s[4:5], exec
	s_and_b64 s[8:9], s[8:9], exec
	s_or_b64 s[4:5], s[4:5], s[8:9]
	s_or_b64 exec, exec, s[6:7]
	s_and_saveexec_b64 s[6:7], s[4:5]
	s_cbranch_execnz .LBB59_687
	s_branch .LBB59_688
.LBB59_2737:
	s_movk_i32 s4, 0x80
	v_cmp_eq_u16_e32 vcc, s4, v6
	s_mov_b64 s[4:5], -1
                                        ; implicit-def: $sgpr10
	s_and_saveexec_b64 s[8:9], vcc
; %bb.2738:
	s_mov_b32 s10, 0x7f800001
	s_xor_b64 s[4:5], exec, -1
; %bb.2739:
	s_or_b64 exec, exec, s[8:9]
	s_and_b64 s[4:5], s[4:5], exec
                                        ; implicit-def: $vgpr6
	s_or_saveexec_b64 s[6:7], s[6:7]
	v_mov_b32_e32 v2, s10
	s_xor_b64 exec, exec, s[6:7]
	s_cbranch_execz .LBB59_690
.LBB59_2740:
	v_cmp_ne_u16_e32 vcc, 0, v6
	s_andn2_b64 s[4:5], s[4:5], exec
	s_and_b64 s[8:9], vcc, exec
	v_mov_b32_e32 v2, 0
	s_or_b64 s[4:5], s[4:5], s[8:9]
	s_or_b64 exec, exec, s[6:7]
	s_and_saveexec_b64 s[6:7], s[4:5]
	s_cbranch_execnz .LBB59_691
	s_branch .LBB59_692
.LBB59_2741:
	s_movk_i32 s4, 0x80
	v_cmp_eq_u16_e32 vcc, s4, v6
	s_mov_b64 s[4:5], -1
                                        ; implicit-def: $sgpr10
	s_and_saveexec_b64 s[8:9], vcc
; %bb.2742:
	s_mov_b32 s10, 0x7f800001
	s_xor_b64 s[4:5], exec, -1
; %bb.2743:
	s_or_b64 exec, exec, s[8:9]
	s_and_b64 s[4:5], s[4:5], exec
                                        ; implicit-def: $vgpr6
	s_or_saveexec_b64 s[6:7], s[6:7]
	v_mov_b32_e32 v10, s10
	s_xor_b64 exec, exec, s[6:7]
	s_cbranch_execz .LBB59_694
.LBB59_2744:
	v_cmp_ne_u16_e32 vcc, 0, v6
	s_andn2_b64 s[4:5], s[4:5], exec
	s_and_b64 s[8:9], vcc, exec
	v_mov_b32_e32 v10, 0
	s_or_b64 s[4:5], s[4:5], s[8:9]
	s_or_b64 exec, exec, s[6:7]
	s_and_saveexec_b64 s[6:7], s[4:5]
	s_cbranch_execnz .LBB59_695
	s_branch .LBB59_696
.LBB59_2745:
	s_movk_i32 s4, 0x80
	v_cmp_eq_u16_sdwa s[12:13], v7, s4 src0_sel:BYTE_3 src1_sel:DWORD
	s_mov_b64 s[4:5], -1
                                        ; implicit-def: $sgpr10
	s_and_saveexec_b64 s[8:9], s[12:13]
; %bb.2746:
	s_mov_b32 s10, 0x7f800001
	s_xor_b64 s[4:5], exec, -1
; %bb.2747:
	s_or_b64 exec, exec, s[8:9]
	s_and_b64 s[4:5], s[4:5], exec
	s_or_saveexec_b64 s[6:7], s[6:7]
	v_mov_b32_e32 v2, s10
	s_xor_b64 exec, exec, s[6:7]
	s_cbranch_execz .LBB59_698
.LBB59_2748:
	v_mov_b32_e32 v2, 0
	v_cmp_ne_u16_sdwa s[8:9], v7, v2 src0_sel:BYTE_3 src1_sel:DWORD
	s_andn2_b64 s[4:5], s[4:5], exec
	s_and_b64 s[8:9], s[8:9], exec
	s_or_b64 s[4:5], s[4:5], s[8:9]
	s_or_b64 exec, exec, s[6:7]
	s_and_saveexec_b64 s[6:7], s[4:5]
	s_cbranch_execnz .LBB59_699
	s_branch .LBB59_700
.LBB59_2749:
	s_movk_i32 s4, 0x80
	v_cmp_eq_u16_sdwa s[12:13], v3, s4 src0_sel:BYTE_3 src1_sel:DWORD
	s_mov_b64 s[4:5], -1
                                        ; implicit-def: $sgpr10
	s_and_saveexec_b64 s[8:9], s[12:13]
; %bb.2750:
	s_mov_b32 s10, 0x7f800001
	s_xor_b64 s[4:5], exec, -1
; %bb.2751:
	s_or_b64 exec, exec, s[8:9]
	s_and_b64 s[4:5], s[4:5], exec
	s_or_saveexec_b64 s[6:7], s[6:7]
	v_mov_b32_e32 v6, s10
	s_xor_b64 exec, exec, s[6:7]
	s_cbranch_execz .LBB59_702
.LBB59_2752:
	v_mov_b32_e32 v6, 0
	v_cmp_ne_u16_sdwa s[8:9], v3, v6 src0_sel:BYTE_3 src1_sel:DWORD
	s_andn2_b64 s[4:5], s[4:5], exec
	s_and_b64 s[8:9], s[8:9], exec
	s_or_b64 s[4:5], s[4:5], s[8:9]
	s_or_b64 exec, exec, s[6:7]
	s_and_saveexec_b64 s[6:7], s[4:5]
	s_cbranch_execnz .LBB59_703
	s_branch .LBB59_704
.LBB59_2753:
	s_movk_i32 s4, 0x80
	v_cmp_eq_u16_sdwa s[12:13], v8, s4 src0_sel:BYTE_0 src1_sel:DWORD
	s_mov_b64 s[4:5], -1
                                        ; implicit-def: $sgpr10
	s_and_saveexec_b64 s[8:9], s[12:13]
; %bb.2754:
	s_mov_b32 s10, 0x7f800001
	s_xor_b64 s[4:5], exec, -1
; %bb.2755:
	s_or_b64 exec, exec, s[8:9]
	s_and_b64 s[4:5], s[4:5], exec
	s_or_saveexec_b64 s[6:7], s[6:7]
	v_mov_b32_e32 v2, s10
	s_xor_b64 exec, exec, s[6:7]
	s_cbranch_execz .LBB59_706
.LBB59_2756:
	v_mov_b32_e32 v2, 0
	v_cmp_ne_u16_sdwa s[8:9], v8, v2 src0_sel:BYTE_0 src1_sel:DWORD
	s_andn2_b64 s[4:5], s[4:5], exec
	s_and_b64 s[8:9], s[8:9], exec
	s_or_b64 s[4:5], s[4:5], s[8:9]
	s_or_b64 exec, exec, s[6:7]
	s_and_saveexec_b64 s[6:7], s[4:5]
	s_cbranch_execnz .LBB59_707
	s_branch .LBB59_708
.LBB59_2757:
	s_movk_i32 s4, 0x80
	v_cmp_eq_u16_sdwa s[12:13], v4, s4 src0_sel:BYTE_0 src1_sel:DWORD
	s_mov_b64 s[4:5], -1
                                        ; implicit-def: $sgpr10
	s_and_saveexec_b64 s[8:9], s[12:13]
; %bb.2758:
	s_mov_b32 s10, 0x7f800001
	s_xor_b64 s[4:5], exec, -1
; %bb.2759:
	s_or_b64 exec, exec, s[8:9]
	s_and_b64 s[4:5], s[4:5], exec
	s_or_saveexec_b64 s[6:7], s[6:7]
	v_mov_b32_e32 v3, s10
	s_xor_b64 exec, exec, s[6:7]
	s_cbranch_execz .LBB59_710
.LBB59_2760:
	v_mov_b32_e32 v3, 0
	v_cmp_ne_u16_sdwa s[8:9], v4, v3 src0_sel:BYTE_0 src1_sel:DWORD
	s_andn2_b64 s[4:5], s[4:5], exec
	s_and_b64 s[8:9], s[8:9], exec
	s_or_b64 s[4:5], s[4:5], s[8:9]
	s_or_b64 exec, exec, s[6:7]
	s_and_saveexec_b64 s[6:7], s[4:5]
	s_cbranch_execnz .LBB59_711
	s_branch .LBB59_712
.LBB59_2761:
	s_movk_i32 s4, 0x80
	v_cmp_eq_u16_sdwa s[12:13], v3, s4 src0_sel:BYTE_0 src1_sel:DWORD
	s_mov_b64 s[4:5], -1
                                        ; implicit-def: $sgpr10
	s_and_saveexec_b64 s[8:9], s[12:13]
; %bb.2762:
	s_mov_b32 s10, 0x7f800001
	s_xor_b64 s[4:5], exec, -1
; %bb.2763:
	s_or_b64 exec, exec, s[8:9]
	s_and_b64 s[4:5], s[4:5], exec
	s_or_saveexec_b64 s[6:7], s[6:7]
	v_mov_b32_e32 v2, s10
	s_xor_b64 exec, exec, s[6:7]
	s_cbranch_execz .LBB59_714
.LBB59_2764:
	v_mov_b32_e32 v2, 0
	v_cmp_ne_u16_sdwa s[8:9], v3, v2 src0_sel:BYTE_0 src1_sel:DWORD
	s_andn2_b64 s[4:5], s[4:5], exec
	s_and_b64 s[8:9], s[8:9], exec
	s_or_b64 s[4:5], s[4:5], s[8:9]
	s_or_b64 exec, exec, s[6:7]
	s_and_saveexec_b64 s[6:7], s[4:5]
	s_cbranch_execnz .LBB59_715
	s_branch .LBB59_716
.LBB59_2765:
	s_movk_i32 s4, 0x80
	v_cmp_eq_u16_sdwa s[12:13], v3, s4 src0_sel:BYTE_0 src1_sel:DWORD
	s_mov_b64 s[4:5], -1
                                        ; implicit-def: $sgpr10
	s_and_saveexec_b64 s[8:9], s[12:13]
; %bb.2766:
	s_mov_b32 s10, 0x7f800001
	s_xor_b64 s[4:5], exec, -1
; %bb.2767:
	s_or_b64 exec, exec, s[8:9]
	s_and_b64 s[4:5], s[4:5], exec
	s_or_saveexec_b64 s[6:7], s[6:7]
	v_mov_b32_e32 v6, s10
	s_xor_b64 exec, exec, s[6:7]
	s_cbranch_execz .LBB59_718
.LBB59_2768:
	v_mov_b32_e32 v6, 0
	v_cmp_ne_u16_sdwa s[8:9], v3, v6 src0_sel:BYTE_0 src1_sel:DWORD
	s_andn2_b64 s[4:5], s[4:5], exec
	s_and_b64 s[8:9], s[8:9], exec
	s_or_b64 s[4:5], s[4:5], s[8:9]
	s_or_b64 exec, exec, s[6:7]
	s_and_saveexec_b64 s[6:7], s[4:5]
	s_cbranch_execnz .LBB59_719
	s_branch .LBB59_720
.LBB59_2769:
	s_movk_i32 s4, 0x80
	v_cmp_eq_u16_e32 vcc, s4, v3
	s_mov_b64 s[4:5], -1
                                        ; implicit-def: $sgpr10
	s_and_saveexec_b64 s[8:9], vcc
; %bb.2770:
	s_mov_b32 s10, 0x7f800001
	s_xor_b64 s[4:5], exec, -1
; %bb.2771:
	s_or_b64 exec, exec, s[8:9]
	s_and_b64 s[4:5], s[4:5], exec
                                        ; implicit-def: $vgpr3
	s_or_saveexec_b64 s[6:7], s[6:7]
	v_mov_b32_e32 v2, s10
	s_xor_b64 exec, exec, s[6:7]
	s_cbranch_execz .LBB59_722
.LBB59_2772:
	v_cmp_ne_u16_e32 vcc, 0, v3
	s_andn2_b64 s[4:5], s[4:5], exec
	s_and_b64 s[8:9], vcc, exec
	v_mov_b32_e32 v2, 0
	s_or_b64 s[4:5], s[4:5], s[8:9]
	s_or_b64 exec, exec, s[6:7]
	s_and_saveexec_b64 s[6:7], s[4:5]
	s_cbranch_execnz .LBB59_723
	s_branch .LBB59_724
.LBB59_2773:
	s_movk_i32 s4, 0x80
	v_cmp_eq_u16_e32 vcc, s4, v3
	s_mov_b64 s[4:5], -1
                                        ; implicit-def: $sgpr10
	s_and_saveexec_b64 s[8:9], vcc
; %bb.2774:
	s_mov_b32 s10, 0x7f800001
	s_xor_b64 s[4:5], exec, -1
; %bb.2775:
	s_or_b64 exec, exec, s[8:9]
	s_and_b64 s[4:5], s[4:5], exec
                                        ; implicit-def: $vgpr3
	s_or_saveexec_b64 s[6:7], s[6:7]
	v_mov_b32_e32 v6, s10
	s_xor_b64 exec, exec, s[6:7]
	s_cbranch_execz .LBB59_726
.LBB59_2776:
	v_cmp_ne_u16_e32 vcc, 0, v3
	s_andn2_b64 s[4:5], s[4:5], exec
	s_and_b64 s[8:9], vcc, exec
	v_mov_b32_e32 v6, 0
	s_or_b64 s[4:5], s[4:5], s[8:9]
	s_or_b64 exec, exec, s[6:7]
	s_and_saveexec_b64 s[6:7], s[4:5]
	s_cbranch_execnz .LBB59_727
	s_branch .LBB59_728
.LBB59_2777:
	s_movk_i32 s4, 0x80
	v_cmp_eq_u16_sdwa s[12:13], v8, s4 src0_sel:BYTE_3 src1_sel:DWORD
	s_mov_b64 s[4:5], -1
                                        ; implicit-def: $sgpr10
	s_and_saveexec_b64 s[8:9], s[12:13]
; %bb.2778:
	s_mov_b32 s10, 0x7f800001
	s_xor_b64 s[4:5], exec, -1
; %bb.2779:
	s_or_b64 exec, exec, s[8:9]
	s_and_b64 s[4:5], s[4:5], exec
	s_or_saveexec_b64 s[6:7], s[6:7]
	v_mov_b32_e32 v2, s10
	s_xor_b64 exec, exec, s[6:7]
	s_cbranch_execz .LBB59_730
.LBB59_2780:
	v_mov_b32_e32 v2, 0
	v_cmp_ne_u16_sdwa s[8:9], v8, v2 src0_sel:BYTE_3 src1_sel:DWORD
	s_andn2_b64 s[4:5], s[4:5], exec
	s_and_b64 s[8:9], s[8:9], exec
	s_or_b64 s[4:5], s[4:5], s[8:9]
	s_or_b64 exec, exec, s[6:7]
	s_and_saveexec_b64 s[6:7], s[4:5]
	s_cbranch_execnz .LBB59_731
	s_branch .LBB59_732
.LBB59_2781:
	s_movk_i32 s4, 0x80
	v_cmp_eq_u16_sdwa s[12:13], v4, s4 src0_sel:BYTE_3 src1_sel:DWORD
	s_mov_b64 s[4:5], -1
                                        ; implicit-def: $sgpr10
	s_and_saveexec_b64 s[8:9], s[12:13]
; %bb.2782:
	s_mov_b32 s10, 0x7f800001
	s_xor_b64 s[4:5], exec, -1
; %bb.2783:
	s_or_b64 exec, exec, s[8:9]
	s_and_b64 s[4:5], s[4:5], exec
	s_or_saveexec_b64 s[6:7], s[6:7]
	v_mov_b32_e32 v3, s10
	s_xor_b64 exec, exec, s[6:7]
	s_cbranch_execz .LBB59_734
.LBB59_2784:
	v_mov_b32_e32 v3, 0
	v_cmp_ne_u16_sdwa s[8:9], v4, v3 src0_sel:BYTE_3 src1_sel:DWORD
	s_andn2_b64 s[4:5], s[4:5], exec
	s_and_b64 s[8:9], s[8:9], exec
	s_or_b64 s[4:5], s[4:5], s[8:9]
	s_or_b64 exec, exec, s[6:7]
	s_and_saveexec_b64 s[6:7], s[4:5]
	s_cbranch_execnz .LBB59_735
	s_branch .LBB59_736
.LBB59_2785:
	s_movk_i32 s4, 0x80
	v_cmp_eq_u16_sdwa s[12:13], v9, s4 src0_sel:BYTE_0 src1_sel:DWORD
	s_mov_b64 s[4:5], -1
                                        ; implicit-def: $sgpr10
	s_and_saveexec_b64 s[8:9], s[12:13]
; %bb.2786:
	s_mov_b32 s10, 0x7f800001
	s_xor_b64 s[4:5], exec, -1
; %bb.2787:
	s_or_b64 exec, exec, s[8:9]
	s_and_b64 s[4:5], s[4:5], exec
	s_or_saveexec_b64 s[6:7], s[6:7]
	v_mov_b32_e32 v2, s10
	s_xor_b64 exec, exec, s[6:7]
	s_cbranch_execz .LBB59_738
.LBB59_2788:
	v_mov_b32_e32 v2, 0
	v_cmp_ne_u16_sdwa s[8:9], v9, v2 src0_sel:BYTE_0 src1_sel:DWORD
	s_andn2_b64 s[4:5], s[4:5], exec
	s_and_b64 s[8:9], s[8:9], exec
	s_or_b64 s[4:5], s[4:5], s[8:9]
	s_or_b64 exec, exec, s[6:7]
	s_and_saveexec_b64 s[6:7], s[4:5]
	s_cbranch_execnz .LBB59_739
	s_branch .LBB59_740
.LBB59_2789:
	s_movk_i32 s4, 0x80
	v_cmp_eq_u16_sdwa s[12:13], v5, s4 src0_sel:BYTE_0 src1_sel:DWORD
	s_mov_b64 s[4:5], -1
                                        ; implicit-def: $sgpr10
	s_and_saveexec_b64 s[8:9], s[12:13]
; %bb.2790:
	s_mov_b32 s10, 0x7f800001
	s_xor_b64 s[4:5], exec, -1
; %bb.2791:
	s_or_b64 exec, exec, s[8:9]
	s_and_b64 s[4:5], s[4:5], exec
	s_or_saveexec_b64 s[6:7], s[6:7]
	v_mov_b32_e32 v3, s10
	s_xor_b64 exec, exec, s[6:7]
	s_cbranch_execz .LBB59_742
.LBB59_2792:
	v_mov_b32_e32 v3, 0
	v_cmp_ne_u16_sdwa s[8:9], v5, v3 src0_sel:BYTE_0 src1_sel:DWORD
	s_andn2_b64 s[4:5], s[4:5], exec
	s_and_b64 s[8:9], s[8:9], exec
	s_or_b64 s[4:5], s[4:5], s[8:9]
	s_or_b64 exec, exec, s[6:7]
	s_and_saveexec_b64 s[6:7], s[4:5]
	s_cbranch_execnz .LBB59_743
	s_branch .LBB59_744
.LBB59_2793:
	s_movk_i32 s4, 0x80
	v_cmp_eq_u16_sdwa s[12:13], v3, s4 src0_sel:BYTE_0 src1_sel:DWORD
	s_mov_b64 s[4:5], -1
                                        ; implicit-def: $sgpr10
	s_and_saveexec_b64 s[8:9], s[12:13]
; %bb.2794:
	s_mov_b32 s10, 0x7f800001
	s_xor_b64 s[4:5], exec, -1
; %bb.2795:
	s_or_b64 exec, exec, s[8:9]
	s_and_b64 s[4:5], s[4:5], exec
	s_or_saveexec_b64 s[6:7], s[6:7]
	v_mov_b32_e32 v2, s10
	s_xor_b64 exec, exec, s[6:7]
	s_cbranch_execz .LBB59_746
.LBB59_2796:
	v_mov_b32_e32 v2, 0
	v_cmp_ne_u16_sdwa s[8:9], v3, v2 src0_sel:BYTE_0 src1_sel:DWORD
	s_andn2_b64 s[4:5], s[4:5], exec
	s_and_b64 s[8:9], s[8:9], exec
	s_or_b64 s[4:5], s[4:5], s[8:9]
	s_or_b64 exec, exec, s[6:7]
	s_and_saveexec_b64 s[6:7], s[4:5]
	s_cbranch_execnz .LBB59_747
	s_branch .LBB59_748
.LBB59_2797:
	s_movk_i32 s4, 0x80
	v_cmp_eq_u16_sdwa s[12:13], v3, s4 src0_sel:BYTE_0 src1_sel:DWORD
	s_mov_b64 s[4:5], -1
                                        ; implicit-def: $sgpr10
	s_and_saveexec_b64 s[8:9], s[12:13]
; %bb.2798:
	s_mov_b32 s10, 0x7f800001
	s_xor_b64 s[4:5], exec, -1
; %bb.2799:
	s_or_b64 exec, exec, s[8:9]
	s_and_b64 s[4:5], s[4:5], exec
	s_or_saveexec_b64 s[6:7], s[6:7]
	v_mov_b32_e32 v4, s10
	s_xor_b64 exec, exec, s[6:7]
	s_cbranch_execz .LBB59_750
.LBB59_2800:
	v_mov_b32_e32 v4, 0
	v_cmp_ne_u16_sdwa s[8:9], v3, v4 src0_sel:BYTE_0 src1_sel:DWORD
	s_andn2_b64 s[4:5], s[4:5], exec
	s_and_b64 s[8:9], s[8:9], exec
	s_or_b64 s[4:5], s[4:5], s[8:9]
	s_or_b64 exec, exec, s[6:7]
	s_and_saveexec_b64 s[6:7], s[4:5]
	s_cbranch_execnz .LBB59_751
	s_branch .LBB59_752
.LBB59_2801:
	s_movk_i32 s4, 0x80
	v_cmp_eq_u16_e32 vcc, s4, v3
	s_mov_b64 s[4:5], -1
                                        ; implicit-def: $sgpr10
	s_and_saveexec_b64 s[8:9], vcc
; %bb.2802:
	s_mov_b32 s10, 0x7f800001
	s_xor_b64 s[4:5], exec, -1
; %bb.2803:
	s_or_b64 exec, exec, s[8:9]
	s_and_b64 s[4:5], s[4:5], exec
                                        ; implicit-def: $vgpr3
	s_or_saveexec_b64 s[6:7], s[6:7]
	v_mov_b32_e32 v2, s10
	s_xor_b64 exec, exec, s[6:7]
	s_cbranch_execz .LBB59_754
.LBB59_2804:
	v_cmp_ne_u16_e32 vcc, 0, v3
	s_andn2_b64 s[4:5], s[4:5], exec
	s_and_b64 s[8:9], vcc, exec
	v_mov_b32_e32 v2, 0
	s_or_b64 s[4:5], s[4:5], s[8:9]
	s_or_b64 exec, exec, s[6:7]
	s_and_saveexec_b64 s[6:7], s[4:5]
	s_cbranch_execnz .LBB59_755
	s_branch .LBB59_756
.LBB59_2805:
	s_movk_i32 s4, 0x80
	v_cmp_eq_u16_e32 vcc, s4, v3
	s_mov_b64 s[4:5], -1
                                        ; implicit-def: $sgpr10
	s_and_saveexec_b64 s[8:9], vcc
; %bb.2806:
	s_mov_b32 s10, 0x7f800001
	s_xor_b64 s[4:5], exec, -1
; %bb.2807:
	s_or_b64 exec, exec, s[8:9]
	s_and_b64 s[4:5], s[4:5], exec
                                        ; implicit-def: $vgpr3
	s_or_saveexec_b64 s[6:7], s[6:7]
	v_mov_b32_e32 v4, s10
	s_xor_b64 exec, exec, s[6:7]
	s_cbranch_execz .LBB59_758
.LBB59_2808:
	v_cmp_ne_u16_e32 vcc, 0, v3
	s_andn2_b64 s[4:5], s[4:5], exec
	s_and_b64 s[8:9], vcc, exec
	v_mov_b32_e32 v4, 0
	s_or_b64 s[4:5], s[4:5], s[8:9]
	s_or_b64 exec, exec, s[6:7]
	s_and_saveexec_b64 s[6:7], s[4:5]
	s_cbranch_execnz .LBB59_759
	s_branch .LBB59_760
.LBB59_2809:
	s_movk_i32 s4, 0x80
	v_cmp_eq_u16_sdwa s[12:13], v9, s4 src0_sel:BYTE_3 src1_sel:DWORD
	s_mov_b64 s[4:5], -1
                                        ; implicit-def: $sgpr10
	s_and_saveexec_b64 s[8:9], s[12:13]
; %bb.2810:
	s_mov_b32 s10, 0x7f800001
	s_xor_b64 s[4:5], exec, -1
; %bb.2811:
	s_or_b64 exec, exec, s[8:9]
	s_and_b64 s[4:5], s[4:5], exec
	s_or_saveexec_b64 s[6:7], s[6:7]
	v_mov_b32_e32 v2, s10
	s_xor_b64 exec, exec, s[6:7]
	s_cbranch_execz .LBB59_762
.LBB59_2812:
	v_mov_b32_e32 v2, 0
	v_cmp_ne_u16_sdwa s[8:9], v9, v2 src0_sel:BYTE_3 src1_sel:DWORD
	s_andn2_b64 s[4:5], s[4:5], exec
	s_and_b64 s[8:9], s[8:9], exec
	s_or_b64 s[4:5], s[4:5], s[8:9]
	s_or_b64 exec, exec, s[6:7]
	s_and_saveexec_b64 s[6:7], s[4:5]
	s_cbranch_execnz .LBB59_763
	s_branch .LBB59_764
.LBB59_2813:
	s_movk_i32 s4, 0x80
	v_cmp_eq_u16_sdwa s[12:13], v5, s4 src0_sel:BYTE_3 src1_sel:DWORD
	s_mov_b64 s[4:5], -1
                                        ; implicit-def: $sgpr10
	s_and_saveexec_b64 s[8:9], s[12:13]
; %bb.2814:
	s_mov_b32 s10, 0x7f800001
	s_xor_b64 s[4:5], exec, -1
; %bb.2815:
	s_or_b64 exec, exec, s[8:9]
	s_and_b64 s[4:5], s[4:5], exec
	s_or_saveexec_b64 s[6:7], s[6:7]
	v_mov_b32_e32 v3, s10
	s_xor_b64 exec, exec, s[6:7]
	s_cbranch_execz .LBB59_766
.LBB59_2816:
	v_mov_b32_e32 v3, 0
	v_cmp_ne_u16_sdwa s[8:9], v5, v3 src0_sel:BYTE_3 src1_sel:DWORD
	s_andn2_b64 s[4:5], s[4:5], exec
	s_and_b64 s[8:9], s[8:9], exec
	s_or_b64 s[4:5], s[4:5], s[8:9]
	s_or_b64 exec, exec, s[6:7]
	s_and_saveexec_b64 s[6:7], s[4:5]
	s_cbranch_execnz .LBB59_767
	s_branch .LBB59_768
.LBB59_2817:
	s_movk_i32 s4, 0x80
	v_cmp_eq_u16_sdwa s[12:13], v14, s4 src0_sel:BYTE_0 src1_sel:DWORD
	s_mov_b64 s[4:5], -1
                                        ; implicit-def: $sgpr10
	s_and_saveexec_b64 s[8:9], s[12:13]
; %bb.2818:
	s_mov_b32 s10, 0x7f800001
	s_xor_b64 s[4:5], exec, -1
; %bb.2819:
	s_or_b64 exec, exec, s[8:9]
	s_and_b64 s[4:5], s[4:5], exec
	s_or_saveexec_b64 s[6:7], s[6:7]
	v_mov_b32_e32 v20, s10
	s_xor_b64 exec, exec, s[6:7]
	s_cbranch_execz .LBB59_770
.LBB59_2820:
	v_mov_b32_e32 v20, 0
	v_cmp_ne_u16_sdwa s[8:9], v14, v20 src0_sel:BYTE_0 src1_sel:DWORD
	s_andn2_b64 s[4:5], s[4:5], exec
	s_and_b64 s[8:9], s[8:9], exec
	s_or_b64 s[4:5], s[4:5], s[8:9]
	s_or_b64 exec, exec, s[6:7]
	s_and_saveexec_b64 s[6:7], s[4:5]
	s_cbranch_execnz .LBB59_771
	s_branch .LBB59_772
.LBB59_2821:
	s_movk_i32 s4, 0x80
	v_cmp_eq_u16_sdwa s[12:13], v10, s4 src0_sel:BYTE_0 src1_sel:DWORD
	s_mov_b64 s[4:5], -1
                                        ; implicit-def: $sgpr10
	s_and_saveexec_b64 s[8:9], s[12:13]
; %bb.2822:
	s_mov_b32 s10, 0x7f800001
	s_xor_b64 s[4:5], exec, -1
; %bb.2823:
	s_or_b64 exec, exec, s[8:9]
	s_and_b64 s[4:5], s[4:5], exec
	s_or_saveexec_b64 s[6:7], s[6:7]
	v_mov_b32_e32 v21, s10
	s_xor_b64 exec, exec, s[6:7]
	s_cbranch_execz .LBB59_774
.LBB59_2824:
	v_mov_b32_e32 v21, 0
	v_cmp_ne_u16_sdwa s[8:9], v10, v21 src0_sel:BYTE_0 src1_sel:DWORD
	s_andn2_b64 s[4:5], s[4:5], exec
	s_and_b64 s[8:9], s[8:9], exec
	s_or_b64 s[4:5], s[4:5], s[8:9]
	s_or_b64 exec, exec, s[6:7]
	s_and_saveexec_b64 s[6:7], s[4:5]
	s_cbranch_execnz .LBB59_775
	s_branch .LBB59_776
.LBB59_2825:
	s_movk_i32 s4, 0x80
	v_cmp_eq_u16_sdwa s[12:13], v21, s4 src0_sel:BYTE_0 src1_sel:DWORD
	s_mov_b64 s[4:5], -1
                                        ; implicit-def: $sgpr10
	s_and_saveexec_b64 s[8:9], s[12:13]
; %bb.2826:
	s_mov_b32 s10, 0x7f800001
	s_xor_b64 s[4:5], exec, -1
; %bb.2827:
	s_or_b64 exec, exec, s[8:9]
	s_and_b64 s[4:5], s[4:5], exec
	s_or_saveexec_b64 s[6:7], s[6:7]
	v_mov_b32_e32 v20, s10
	s_xor_b64 exec, exec, s[6:7]
	s_cbranch_execz .LBB59_778
.LBB59_2828:
	v_mov_b32_e32 v20, 0
	v_cmp_ne_u16_sdwa s[8:9], v21, v20 src0_sel:BYTE_0 src1_sel:DWORD
	s_andn2_b64 s[4:5], s[4:5], exec
	s_and_b64 s[8:9], s[8:9], exec
	s_or_b64 s[4:5], s[4:5], s[8:9]
	s_or_b64 exec, exec, s[6:7]
	s_and_saveexec_b64 s[6:7], s[4:5]
	s_cbranch_execnz .LBB59_779
	s_branch .LBB59_780
.LBB59_2829:
	s_movk_i32 s4, 0x80
	v_cmp_eq_u16_sdwa s[12:13], v21, s4 src0_sel:BYTE_0 src1_sel:DWORD
	s_mov_b64 s[4:5], -1
                                        ; implicit-def: $sgpr10
	s_and_saveexec_b64 s[8:9], s[12:13]
; %bb.2830:
	s_mov_b32 s10, 0x7f800001
	s_xor_b64 s[4:5], exec, -1
; %bb.2831:
	s_or_b64 exec, exec, s[8:9]
	s_and_b64 s[4:5], s[4:5], exec
	s_or_saveexec_b64 s[6:7], s[6:7]
	v_mov_b32_e32 v22, s10
	s_xor_b64 exec, exec, s[6:7]
	s_cbranch_execz .LBB59_782
.LBB59_2832:
	v_mov_b32_e32 v22, 0
	v_cmp_ne_u16_sdwa s[8:9], v21, v22 src0_sel:BYTE_0 src1_sel:DWORD
	s_andn2_b64 s[4:5], s[4:5], exec
	s_and_b64 s[8:9], s[8:9], exec
	s_or_b64 s[4:5], s[4:5], s[8:9]
	s_or_b64 exec, exec, s[6:7]
	s_and_saveexec_b64 s[6:7], s[4:5]
	s_cbranch_execnz .LBB59_783
	s_branch .LBB59_784
.LBB59_2833:
	s_movk_i32 s4, 0x80
	v_cmp_eq_u16_e32 vcc, s4, v21
	s_mov_b64 s[4:5], -1
                                        ; implicit-def: $sgpr10
	s_and_saveexec_b64 s[8:9], vcc
; %bb.2834:
	s_mov_b32 s10, 0x7f800001
	s_xor_b64 s[4:5], exec, -1
; %bb.2835:
	s_or_b64 exec, exec, s[8:9]
	s_and_b64 s[4:5], s[4:5], exec
                                        ; implicit-def: $vgpr21
	s_or_saveexec_b64 s[6:7], s[6:7]
	v_mov_b32_e32 v20, s10
	s_xor_b64 exec, exec, s[6:7]
	s_cbranch_execz .LBB59_786
.LBB59_2836:
	v_cmp_ne_u16_e32 vcc, 0, v21
	s_andn2_b64 s[4:5], s[4:5], exec
	s_and_b64 s[8:9], vcc, exec
	v_mov_b32_e32 v20, 0
	s_or_b64 s[4:5], s[4:5], s[8:9]
	s_or_b64 exec, exec, s[6:7]
	s_and_saveexec_b64 s[6:7], s[4:5]
	s_cbranch_execnz .LBB59_787
	s_branch .LBB59_788
.LBB59_2837:
	s_movk_i32 s4, 0x80
	v_cmp_eq_u16_e32 vcc, s4, v21
	s_mov_b64 s[4:5], -1
                                        ; implicit-def: $sgpr10
	s_and_saveexec_b64 s[8:9], vcc
; %bb.2838:
	s_mov_b32 s10, 0x7f800001
	s_xor_b64 s[4:5], exec, -1
; %bb.2839:
	s_or_b64 exec, exec, s[8:9]
	s_and_b64 s[4:5], s[4:5], exec
                                        ; implicit-def: $vgpr21
	s_or_saveexec_b64 s[6:7], s[6:7]
	v_mov_b32_e32 v22, s10
	s_xor_b64 exec, exec, s[6:7]
	s_cbranch_execz .LBB59_790
.LBB59_2840:
	v_cmp_ne_u16_e32 vcc, 0, v21
	s_andn2_b64 s[4:5], s[4:5], exec
	s_and_b64 s[8:9], vcc, exec
	v_mov_b32_e32 v22, 0
	s_or_b64 s[4:5], s[4:5], s[8:9]
	s_or_b64 exec, exec, s[6:7]
	s_and_saveexec_b64 s[6:7], s[4:5]
	s_cbranch_execnz .LBB59_791
	s_branch .LBB59_792
.LBB59_2841:
	s_movk_i32 s4, 0x80
	v_cmp_eq_u16_sdwa s[12:13], v14, s4 src0_sel:BYTE_3 src1_sel:DWORD
	s_mov_b64 s[4:5], -1
                                        ; implicit-def: $sgpr10
	s_and_saveexec_b64 s[8:9], s[12:13]
; %bb.2842:
	s_mov_b32 s10, 0x7f800001
	s_xor_b64 s[4:5], exec, -1
; %bb.2843:
	s_or_b64 exec, exec, s[8:9]
	s_and_b64 s[4:5], s[4:5], exec
	s_or_saveexec_b64 s[6:7], s[6:7]
	v_mov_b32_e32 v20, s10
	s_xor_b64 exec, exec, s[6:7]
	s_cbranch_execz .LBB59_794
.LBB59_2844:
	v_mov_b32_e32 v20, 0
	v_cmp_ne_u16_sdwa s[8:9], v14, v20 src0_sel:BYTE_3 src1_sel:DWORD
	s_andn2_b64 s[4:5], s[4:5], exec
	s_and_b64 s[8:9], s[8:9], exec
	s_or_b64 s[4:5], s[4:5], s[8:9]
	s_or_b64 exec, exec, s[6:7]
	s_and_saveexec_b64 s[6:7], s[4:5]
	s_cbranch_execnz .LBB59_795
	s_branch .LBB59_796
.LBB59_2845:
	s_movk_i32 s4, 0x80
	v_cmp_eq_u16_sdwa s[12:13], v10, s4 src0_sel:BYTE_3 src1_sel:DWORD
	s_mov_b64 s[4:5], -1
                                        ; implicit-def: $sgpr10
	s_and_saveexec_b64 s[8:9], s[12:13]
; %bb.2846:
	s_mov_b32 s10, 0x7f800001
	s_xor_b64 s[4:5], exec, -1
; %bb.2847:
	s_or_b64 exec, exec, s[8:9]
	s_and_b64 s[4:5], s[4:5], exec
	s_or_saveexec_b64 s[6:7], s[6:7]
	v_mov_b32_e32 v14, s10
	s_xor_b64 exec, exec, s[6:7]
	s_cbranch_execz .LBB59_798
.LBB59_2848:
	v_mov_b32_e32 v14, 0
	v_cmp_ne_u16_sdwa s[8:9], v10, v14 src0_sel:BYTE_3 src1_sel:DWORD
	s_andn2_b64 s[4:5], s[4:5], exec
	s_and_b64 s[8:9], s[8:9], exec
	s_or_b64 s[4:5], s[4:5], s[8:9]
	s_or_b64 exec, exec, s[6:7]
	s_and_saveexec_b64 s[6:7], s[4:5]
	s_cbranch_execnz .LBB59_799
	s_branch .LBB59_800
.LBB59_2849:
	s_movk_i32 s4, 0x80
	v_cmp_eq_u16_sdwa s[12:13], v15, s4 src0_sel:BYTE_0 src1_sel:DWORD
	s_mov_b64 s[4:5], -1
                                        ; implicit-def: $sgpr10
	s_and_saveexec_b64 s[8:9], s[12:13]
; %bb.2850:
	s_mov_b32 s10, 0x7f800001
	s_xor_b64 s[4:5], exec, -1
; %bb.2851:
	s_or_b64 exec, exec, s[8:9]
	s_and_b64 s[4:5], s[4:5], exec
	s_or_saveexec_b64 s[6:7], s[6:7]
	v_mov_b32_e32 v10, s10
	s_xor_b64 exec, exec, s[6:7]
	s_cbranch_execz .LBB59_802
.LBB59_2852:
	v_mov_b32_e32 v10, 0
	v_cmp_ne_u16_sdwa s[8:9], v15, v10 src0_sel:BYTE_0 src1_sel:DWORD
	s_andn2_b64 s[4:5], s[4:5], exec
	s_and_b64 s[8:9], s[8:9], exec
	s_or_b64 s[4:5], s[4:5], s[8:9]
	s_or_b64 exec, exec, s[6:7]
	s_and_saveexec_b64 s[6:7], s[4:5]
	s_cbranch_execnz .LBB59_803
	s_branch .LBB59_804
.LBB59_2853:
	s_movk_i32 s4, 0x80
	v_cmp_eq_u16_sdwa s[12:13], v11, s4 src0_sel:BYTE_0 src1_sel:DWORD
	s_mov_b64 s[4:5], -1
                                        ; implicit-def: $sgpr10
	s_and_saveexec_b64 s[8:9], s[12:13]
; %bb.2854:
	s_mov_b32 s10, 0x7f800001
	s_xor_b64 s[4:5], exec, -1
; %bb.2855:
	s_or_b64 exec, exec, s[8:9]
	s_and_b64 s[4:5], s[4:5], exec
	s_or_saveexec_b64 s[6:7], s[6:7]
	v_mov_b32_e32 v14, s10
	s_xor_b64 exec, exec, s[6:7]
	s_cbranch_execz .LBB59_806
.LBB59_2856:
	v_mov_b32_e32 v14, 0
	v_cmp_ne_u16_sdwa s[8:9], v11, v14 src0_sel:BYTE_0 src1_sel:DWORD
	s_andn2_b64 s[4:5], s[4:5], exec
	s_and_b64 s[8:9], s[8:9], exec
	s_or_b64 s[4:5], s[4:5], s[8:9]
	s_or_b64 exec, exec, s[6:7]
	s_and_saveexec_b64 s[6:7], s[4:5]
	s_cbranch_execnz .LBB59_807
	s_branch .LBB59_808
.LBB59_2857:
	s_movk_i32 s4, 0x80
	v_cmp_eq_u16_sdwa s[12:13], v14, s4 src0_sel:BYTE_0 src1_sel:DWORD
	s_mov_b64 s[4:5], -1
                                        ; implicit-def: $sgpr10
	s_and_saveexec_b64 s[8:9], s[12:13]
; %bb.2858:
	s_mov_b32 s10, 0x7f800001
	s_xor_b64 s[4:5], exec, -1
; %bb.2859:
	s_or_b64 exec, exec, s[8:9]
	s_and_b64 s[4:5], s[4:5], exec
	s_or_saveexec_b64 s[6:7], s[6:7]
	v_mov_b32_e32 v10, s10
	s_xor_b64 exec, exec, s[6:7]
	s_cbranch_execz .LBB59_810
.LBB59_2860:
	v_mov_b32_e32 v10, 0
	v_cmp_ne_u16_sdwa s[8:9], v14, v10 src0_sel:BYTE_0 src1_sel:DWORD
	s_andn2_b64 s[4:5], s[4:5], exec
	s_and_b64 s[8:9], s[8:9], exec
	s_or_b64 s[4:5], s[4:5], s[8:9]
	s_or_b64 exec, exec, s[6:7]
	s_and_saveexec_b64 s[6:7], s[4:5]
	s_cbranch_execnz .LBB59_811
	s_branch .LBB59_812
.LBB59_2861:
	s_movk_i32 s4, 0x80
	v_cmp_eq_u16_sdwa s[12:13], v14, s4 src0_sel:BYTE_0 src1_sel:DWORD
	s_mov_b64 s[4:5], -1
                                        ; implicit-def: $sgpr10
	s_and_saveexec_b64 s[8:9], s[12:13]
; %bb.2862:
	s_mov_b32 s10, 0x7f800001
	s_xor_b64 s[4:5], exec, -1
; %bb.2863:
	s_or_b64 exec, exec, s[8:9]
	s_and_b64 s[4:5], s[4:5], exec
	s_or_saveexec_b64 s[6:7], s[6:7]
	v_mov_b32_e32 v20, s10
	s_xor_b64 exec, exec, s[6:7]
	s_cbranch_execz .LBB59_814
.LBB59_2864:
	v_mov_b32_e32 v20, 0
	v_cmp_ne_u16_sdwa s[8:9], v14, v20 src0_sel:BYTE_0 src1_sel:DWORD
	s_andn2_b64 s[4:5], s[4:5], exec
	s_and_b64 s[8:9], s[8:9], exec
	s_or_b64 s[4:5], s[4:5], s[8:9]
	s_or_b64 exec, exec, s[6:7]
	s_and_saveexec_b64 s[6:7], s[4:5]
	s_cbranch_execnz .LBB59_815
	s_branch .LBB59_816
.LBB59_2865:
	s_movk_i32 s4, 0x80
	v_cmp_eq_u16_e32 vcc, s4, v14
	s_mov_b64 s[4:5], -1
                                        ; implicit-def: $sgpr10
	s_and_saveexec_b64 s[8:9], vcc
; %bb.2866:
	s_mov_b32 s10, 0x7f800001
	s_xor_b64 s[4:5], exec, -1
; %bb.2867:
	s_or_b64 exec, exec, s[8:9]
	s_and_b64 s[4:5], s[4:5], exec
                                        ; implicit-def: $vgpr14
	s_or_saveexec_b64 s[6:7], s[6:7]
	v_mov_b32_e32 v10, s10
	s_xor_b64 exec, exec, s[6:7]
	s_cbranch_execz .LBB59_818
.LBB59_2868:
	v_cmp_ne_u16_e32 vcc, 0, v14
	s_andn2_b64 s[4:5], s[4:5], exec
	s_and_b64 s[8:9], vcc, exec
	v_mov_b32_e32 v10, 0
	s_or_b64 s[4:5], s[4:5], s[8:9]
	s_or_b64 exec, exec, s[6:7]
	s_and_saveexec_b64 s[6:7], s[4:5]
	s_cbranch_execnz .LBB59_819
	s_branch .LBB59_820
.LBB59_2869:
	s_movk_i32 s4, 0x80
	v_cmp_eq_u16_e32 vcc, s4, v14
	s_mov_b64 s[4:5], -1
                                        ; implicit-def: $sgpr10
	s_and_saveexec_b64 s[8:9], vcc
; %bb.2870:
	s_mov_b32 s10, 0x7f800001
	s_xor_b64 s[4:5], exec, -1
; %bb.2871:
	s_or_b64 exec, exec, s[8:9]
	s_and_b64 s[4:5], s[4:5], exec
                                        ; implicit-def: $vgpr14
	s_or_saveexec_b64 s[6:7], s[6:7]
	v_mov_b32_e32 v20, s10
	s_xor_b64 exec, exec, s[6:7]
	s_cbranch_execz .LBB59_822
.LBB59_2872:
	v_cmp_ne_u16_e32 vcc, 0, v14
	s_andn2_b64 s[4:5], s[4:5], exec
	s_and_b64 s[8:9], vcc, exec
	v_mov_b32_e32 v20, 0
	s_or_b64 s[4:5], s[4:5], s[8:9]
	s_or_b64 exec, exec, s[6:7]
	s_and_saveexec_b64 s[6:7], s[4:5]
	s_cbranch_execnz .LBB59_823
	s_branch .LBB59_824
.LBB59_2873:
	s_movk_i32 s4, 0x80
	v_cmp_eq_u16_sdwa s[12:13], v15, s4 src0_sel:BYTE_3 src1_sel:DWORD
	s_mov_b64 s[4:5], -1
                                        ; implicit-def: $sgpr10
	s_and_saveexec_b64 s[8:9], s[12:13]
; %bb.2874:
	s_mov_b32 s10, 0x7f800001
	s_xor_b64 s[4:5], exec, -1
; %bb.2875:
	s_or_b64 exec, exec, s[8:9]
	s_and_b64 s[4:5], s[4:5], exec
	s_or_saveexec_b64 s[6:7], s[6:7]
	v_mov_b32_e32 v10, s10
	s_xor_b64 exec, exec, s[6:7]
	s_cbranch_execz .LBB59_826
.LBB59_2876:
	v_mov_b32_e32 v10, 0
	v_cmp_ne_u16_sdwa s[8:9], v15, v10 src0_sel:BYTE_3 src1_sel:DWORD
	s_andn2_b64 s[4:5], s[4:5], exec
	s_and_b64 s[8:9], s[8:9], exec
	s_or_b64 s[4:5], s[4:5], s[8:9]
	s_or_b64 exec, exec, s[6:7]
	s_and_saveexec_b64 s[6:7], s[4:5]
	s_cbranch_execnz .LBB59_827
	s_branch .LBB59_828
.LBB59_2877:
	s_movk_i32 s4, 0x80
	v_cmp_eq_u16_sdwa s[12:13], v11, s4 src0_sel:BYTE_3 src1_sel:DWORD
	s_mov_b64 s[4:5], -1
                                        ; implicit-def: $sgpr10
	s_and_saveexec_b64 s[8:9], s[12:13]
; %bb.2878:
	s_mov_b32 s10, 0x7f800001
	s_xor_b64 s[4:5], exec, -1
; %bb.2879:
	s_or_b64 exec, exec, s[8:9]
	s_and_b64 s[4:5], s[4:5], exec
	s_or_saveexec_b64 s[6:7], s[6:7]
	v_mov_b32_e32 v14, s10
	s_xor_b64 exec, exec, s[6:7]
	s_cbranch_execz .LBB59_830
.LBB59_2880:
	v_mov_b32_e32 v14, 0
	v_cmp_ne_u16_sdwa s[8:9], v11, v14 src0_sel:BYTE_3 src1_sel:DWORD
	s_andn2_b64 s[4:5], s[4:5], exec
	s_and_b64 s[8:9], s[8:9], exec
	s_or_b64 s[4:5], s[4:5], s[8:9]
	s_or_b64 exec, exec, s[6:7]
	s_and_saveexec_b64 s[6:7], s[4:5]
	s_cbranch_execnz .LBB59_831
	s_branch .LBB59_832
.LBB59_2881:
	s_movk_i32 s4, 0x80
	v_cmp_eq_u16_sdwa s[12:13], v16, s4 src0_sel:BYTE_0 src1_sel:DWORD
	s_mov_b64 s[4:5], -1
                                        ; implicit-def: $sgpr10
	s_and_saveexec_b64 s[8:9], s[12:13]
; %bb.2882:
	s_mov_b32 s10, 0x7f800001
	s_xor_b64 s[4:5], exec, -1
; %bb.2883:
	s_or_b64 exec, exec, s[8:9]
	s_and_b64 s[4:5], s[4:5], exec
	s_or_saveexec_b64 s[6:7], s[6:7]
	v_mov_b32_e32 v10, s10
	s_xor_b64 exec, exec, s[6:7]
	s_cbranch_execz .LBB59_834
.LBB59_2884:
	v_mov_b32_e32 v10, 0
	v_cmp_ne_u16_sdwa s[8:9], v16, v10 src0_sel:BYTE_0 src1_sel:DWORD
	s_andn2_b64 s[4:5], s[4:5], exec
	s_and_b64 s[8:9], s[8:9], exec
	s_or_b64 s[4:5], s[4:5], s[8:9]
	s_or_b64 exec, exec, s[6:7]
	s_and_saveexec_b64 s[6:7], s[4:5]
	s_cbranch_execnz .LBB59_835
	s_branch .LBB59_836
.LBB59_2885:
	s_movk_i32 s4, 0x80
	v_cmp_eq_u16_sdwa s[12:13], v12, s4 src0_sel:BYTE_0 src1_sel:DWORD
	s_mov_b64 s[4:5], -1
                                        ; implicit-def: $sgpr10
	s_and_saveexec_b64 s[8:9], s[12:13]
; %bb.2886:
	s_mov_b32 s10, 0x7f800001
	s_xor_b64 s[4:5], exec, -1
; %bb.2887:
	s_or_b64 exec, exec, s[8:9]
	s_and_b64 s[4:5], s[4:5], exec
	s_or_saveexec_b64 s[6:7], s[6:7]
	v_mov_b32_e32 v11, s10
	s_xor_b64 exec, exec, s[6:7]
	s_cbranch_execz .LBB59_838
.LBB59_2888:
	v_mov_b32_e32 v11, 0
	v_cmp_ne_u16_sdwa s[8:9], v12, v11 src0_sel:BYTE_0 src1_sel:DWORD
	s_andn2_b64 s[4:5], s[4:5], exec
	s_and_b64 s[8:9], s[8:9], exec
	s_or_b64 s[4:5], s[4:5], s[8:9]
	s_or_b64 exec, exec, s[6:7]
	s_and_saveexec_b64 s[6:7], s[4:5]
	s_cbranch_execnz .LBB59_839
	s_branch .LBB59_840
.LBB59_2889:
	s_movk_i32 s4, 0x80
	v_cmp_eq_u16_sdwa s[12:13], v11, s4 src0_sel:BYTE_0 src1_sel:DWORD
	s_mov_b64 s[4:5], -1
                                        ; implicit-def: $sgpr10
	s_and_saveexec_b64 s[8:9], s[12:13]
; %bb.2890:
	s_mov_b32 s10, 0x7f800001
	s_xor_b64 s[4:5], exec, -1
; %bb.2891:
	s_or_b64 exec, exec, s[8:9]
	s_and_b64 s[4:5], s[4:5], exec
	s_or_saveexec_b64 s[6:7], s[6:7]
	v_mov_b32_e32 v10, s10
	s_xor_b64 exec, exec, s[6:7]
	s_cbranch_execz .LBB59_842
.LBB59_2892:
	v_mov_b32_e32 v10, 0
	v_cmp_ne_u16_sdwa s[8:9], v11, v10 src0_sel:BYTE_0 src1_sel:DWORD
	s_andn2_b64 s[4:5], s[4:5], exec
	s_and_b64 s[8:9], s[8:9], exec
	s_or_b64 s[4:5], s[4:5], s[8:9]
	s_or_b64 exec, exec, s[6:7]
	s_and_saveexec_b64 s[6:7], s[4:5]
	s_cbranch_execnz .LBB59_843
	s_branch .LBB59_844
.LBB59_2893:
	s_movk_i32 s4, 0x80
	v_cmp_eq_u16_sdwa s[12:13], v11, s4 src0_sel:BYTE_0 src1_sel:DWORD
	s_mov_b64 s[4:5], -1
                                        ; implicit-def: $sgpr10
	s_and_saveexec_b64 s[8:9], s[12:13]
; %bb.2894:
	s_mov_b32 s10, 0x7f800001
	s_xor_b64 s[4:5], exec, -1
; %bb.2895:
	s_or_b64 exec, exec, s[8:9]
	s_and_b64 s[4:5], s[4:5], exec
	s_or_saveexec_b64 s[6:7], s[6:7]
	v_mov_b32_e32 v14, s10
	s_xor_b64 exec, exec, s[6:7]
	s_cbranch_execz .LBB59_846
.LBB59_2896:
	v_mov_b32_e32 v14, 0
	v_cmp_ne_u16_sdwa s[8:9], v11, v14 src0_sel:BYTE_0 src1_sel:DWORD
	s_andn2_b64 s[4:5], s[4:5], exec
	s_and_b64 s[8:9], s[8:9], exec
	s_or_b64 s[4:5], s[4:5], s[8:9]
	s_or_b64 exec, exec, s[6:7]
	s_and_saveexec_b64 s[6:7], s[4:5]
	s_cbranch_execnz .LBB59_847
	s_branch .LBB59_848
.LBB59_2897:
	s_movk_i32 s4, 0x80
	v_cmp_eq_u16_e32 vcc, s4, v11
	s_mov_b64 s[4:5], -1
                                        ; implicit-def: $sgpr10
	s_and_saveexec_b64 s[8:9], vcc
; %bb.2898:
	s_mov_b32 s10, 0x7f800001
	s_xor_b64 s[4:5], exec, -1
; %bb.2899:
	s_or_b64 exec, exec, s[8:9]
	s_and_b64 s[4:5], s[4:5], exec
                                        ; implicit-def: $vgpr11
	s_or_saveexec_b64 s[6:7], s[6:7]
	v_mov_b32_e32 v10, s10
	s_xor_b64 exec, exec, s[6:7]
	s_cbranch_execz .LBB59_850
.LBB59_2900:
	v_cmp_ne_u16_e32 vcc, 0, v11
	s_andn2_b64 s[4:5], s[4:5], exec
	s_and_b64 s[8:9], vcc, exec
	v_mov_b32_e32 v10, 0
	s_or_b64 s[4:5], s[4:5], s[8:9]
	s_or_b64 exec, exec, s[6:7]
	s_and_saveexec_b64 s[6:7], s[4:5]
	s_cbranch_execnz .LBB59_851
	s_branch .LBB59_852
.LBB59_2901:
	s_movk_i32 s4, 0x80
	v_cmp_eq_u16_e32 vcc, s4, v11
	s_mov_b64 s[4:5], -1
                                        ; implicit-def: $sgpr10
	s_and_saveexec_b64 s[8:9], vcc
; %bb.2902:
	s_mov_b32 s10, 0x7f800001
	s_xor_b64 s[4:5], exec, -1
; %bb.2903:
	s_or_b64 exec, exec, s[8:9]
	s_and_b64 s[4:5], s[4:5], exec
                                        ; implicit-def: $vgpr11
	s_or_saveexec_b64 s[6:7], s[6:7]
	v_mov_b32_e32 v14, s10
	s_xor_b64 exec, exec, s[6:7]
	s_cbranch_execz .LBB59_854
.LBB59_2904:
	v_cmp_ne_u16_e32 vcc, 0, v11
	s_andn2_b64 s[4:5], s[4:5], exec
	s_and_b64 s[8:9], vcc, exec
	v_mov_b32_e32 v14, 0
	s_or_b64 s[4:5], s[4:5], s[8:9]
	s_or_b64 exec, exec, s[6:7]
	s_and_saveexec_b64 s[6:7], s[4:5]
	s_cbranch_execnz .LBB59_855
	s_branch .LBB59_856
.LBB59_2905:
	s_movk_i32 s4, 0x80
	v_cmp_eq_u16_sdwa s[12:13], v16, s4 src0_sel:BYTE_3 src1_sel:DWORD
	s_mov_b64 s[4:5], -1
                                        ; implicit-def: $sgpr10
	s_and_saveexec_b64 s[8:9], s[12:13]
; %bb.2906:
	s_mov_b32 s10, 0x7f800001
	s_xor_b64 s[4:5], exec, -1
; %bb.2907:
	s_or_b64 exec, exec, s[8:9]
	s_and_b64 s[4:5], s[4:5], exec
	s_or_saveexec_b64 s[6:7], s[6:7]
	v_mov_b32_e32 v10, s10
	s_xor_b64 exec, exec, s[6:7]
	s_cbranch_execz .LBB59_858
.LBB59_2908:
	v_mov_b32_e32 v10, 0
	v_cmp_ne_u16_sdwa s[8:9], v16, v10 src0_sel:BYTE_3 src1_sel:DWORD
	s_andn2_b64 s[4:5], s[4:5], exec
	s_and_b64 s[8:9], s[8:9], exec
	s_or_b64 s[4:5], s[4:5], s[8:9]
	s_or_b64 exec, exec, s[6:7]
	s_and_saveexec_b64 s[6:7], s[4:5]
	s_cbranch_execnz .LBB59_859
	s_branch .LBB59_860
.LBB59_2909:
	s_movk_i32 s4, 0x80
	v_cmp_eq_u16_sdwa s[12:13], v12, s4 src0_sel:BYTE_3 src1_sel:DWORD
	s_mov_b64 s[4:5], -1
                                        ; implicit-def: $sgpr10
	s_and_saveexec_b64 s[8:9], s[12:13]
; %bb.2910:
	s_mov_b32 s10, 0x7f800001
	s_xor_b64 s[4:5], exec, -1
; %bb.2911:
	s_or_b64 exec, exec, s[8:9]
	s_and_b64 s[4:5], s[4:5], exec
	s_or_saveexec_b64 s[6:7], s[6:7]
	v_mov_b32_e32 v11, s10
	s_xor_b64 exec, exec, s[6:7]
	s_cbranch_execz .LBB59_862
.LBB59_2912:
	v_mov_b32_e32 v11, 0
	v_cmp_ne_u16_sdwa s[8:9], v12, v11 src0_sel:BYTE_3 src1_sel:DWORD
	s_andn2_b64 s[4:5], s[4:5], exec
	s_and_b64 s[8:9], s[8:9], exec
	s_or_b64 s[4:5], s[4:5], s[8:9]
	s_or_b64 exec, exec, s[6:7]
	s_and_saveexec_b64 s[6:7], s[4:5]
	s_cbranch_execnz .LBB59_863
	s_branch .LBB59_864
.LBB59_2913:
	s_movk_i32 s4, 0x80
	v_cmp_eq_u16_sdwa s[12:13], v17, s4 src0_sel:BYTE_0 src1_sel:DWORD
	s_mov_b64 s[4:5], -1
                                        ; implicit-def: $sgpr10
	s_and_saveexec_b64 s[8:9], s[12:13]
; %bb.2914:
	s_mov_b32 s10, 0x7f800001
	s_xor_b64 s[4:5], exec, -1
; %bb.2915:
	s_or_b64 exec, exec, s[8:9]
	s_and_b64 s[4:5], s[4:5], exec
	s_or_saveexec_b64 s[6:7], s[6:7]
	v_mov_b32_e32 v10, s10
	s_xor_b64 exec, exec, s[6:7]
	s_cbranch_execz .LBB59_866
.LBB59_2916:
	v_mov_b32_e32 v10, 0
	v_cmp_ne_u16_sdwa s[8:9], v17, v10 src0_sel:BYTE_0 src1_sel:DWORD
	s_andn2_b64 s[4:5], s[4:5], exec
	s_and_b64 s[8:9], s[8:9], exec
	s_or_b64 s[4:5], s[4:5], s[8:9]
	s_or_b64 exec, exec, s[6:7]
	s_and_saveexec_b64 s[6:7], s[4:5]
	s_cbranch_execnz .LBB59_867
	s_branch .LBB59_868
.LBB59_2917:
	s_movk_i32 s4, 0x80
	v_cmp_eq_u16_sdwa s[12:13], v13, s4 src0_sel:BYTE_0 src1_sel:DWORD
	s_mov_b64 s[4:5], -1
                                        ; implicit-def: $sgpr10
	s_and_saveexec_b64 s[8:9], s[12:13]
; %bb.2918:
	s_mov_b32 s10, 0x7f800001
	s_xor_b64 s[4:5], exec, -1
; %bb.2919:
	s_or_b64 exec, exec, s[8:9]
	s_and_b64 s[4:5], s[4:5], exec
	s_or_saveexec_b64 s[6:7], s[6:7]
	v_mov_b32_e32 v11, s10
	s_xor_b64 exec, exec, s[6:7]
	s_cbranch_execz .LBB59_870
.LBB59_2920:
	v_mov_b32_e32 v11, 0
	v_cmp_ne_u16_sdwa s[8:9], v13, v11 src0_sel:BYTE_0 src1_sel:DWORD
	s_andn2_b64 s[4:5], s[4:5], exec
	s_and_b64 s[8:9], s[8:9], exec
	s_or_b64 s[4:5], s[4:5], s[8:9]
	s_or_b64 exec, exec, s[6:7]
	s_and_saveexec_b64 s[6:7], s[4:5]
	s_cbranch_execnz .LBB59_871
	s_branch .LBB59_872
.LBB59_2921:
	s_movk_i32 s4, 0x80
	v_cmp_eq_u16_sdwa s[12:13], v11, s4 src0_sel:BYTE_0 src1_sel:DWORD
	s_mov_b64 s[4:5], -1
                                        ; implicit-def: $sgpr10
	s_and_saveexec_b64 s[8:9], s[12:13]
; %bb.2922:
	s_mov_b32 s10, 0x7f800001
	s_xor_b64 s[4:5], exec, -1
; %bb.2923:
	s_or_b64 exec, exec, s[8:9]
	s_and_b64 s[4:5], s[4:5], exec
	s_or_saveexec_b64 s[6:7], s[6:7]
	v_mov_b32_e32 v10, s10
	s_xor_b64 exec, exec, s[6:7]
	s_cbranch_execz .LBB59_874
.LBB59_2924:
	v_mov_b32_e32 v10, 0
	v_cmp_ne_u16_sdwa s[8:9], v11, v10 src0_sel:BYTE_0 src1_sel:DWORD
	s_andn2_b64 s[4:5], s[4:5], exec
	s_and_b64 s[8:9], s[8:9], exec
	s_or_b64 s[4:5], s[4:5], s[8:9]
	s_or_b64 exec, exec, s[6:7]
	s_and_saveexec_b64 s[6:7], s[4:5]
	s_cbranch_execnz .LBB59_875
	s_branch .LBB59_876
.LBB59_2925:
	s_movk_i32 s4, 0x80
	v_cmp_eq_u16_sdwa s[12:13], v11, s4 src0_sel:BYTE_0 src1_sel:DWORD
	s_mov_b64 s[4:5], -1
                                        ; implicit-def: $sgpr10
	s_and_saveexec_b64 s[8:9], s[12:13]
; %bb.2926:
	s_mov_b32 s10, 0x7f800001
	s_xor_b64 s[4:5], exec, -1
; %bb.2927:
	s_or_b64 exec, exec, s[8:9]
	s_and_b64 s[4:5], s[4:5], exec
	s_or_saveexec_b64 s[6:7], s[6:7]
	v_mov_b32_e32 v12, s10
	s_xor_b64 exec, exec, s[6:7]
	s_cbranch_execz .LBB59_878
.LBB59_2928:
	v_mov_b32_e32 v12, 0
	v_cmp_ne_u16_sdwa s[8:9], v11, v12 src0_sel:BYTE_0 src1_sel:DWORD
	s_andn2_b64 s[4:5], s[4:5], exec
	s_and_b64 s[8:9], s[8:9], exec
	s_or_b64 s[4:5], s[4:5], s[8:9]
	s_or_b64 exec, exec, s[6:7]
	s_and_saveexec_b64 s[6:7], s[4:5]
	s_cbranch_execnz .LBB59_879
	s_branch .LBB59_880
.LBB59_2929:
	s_movk_i32 s4, 0x80
	v_cmp_eq_u16_e32 vcc, s4, v11
	s_mov_b64 s[4:5], -1
                                        ; implicit-def: $sgpr10
	s_and_saveexec_b64 s[8:9], vcc
; %bb.2930:
	s_mov_b32 s10, 0x7f800001
	s_xor_b64 s[4:5], exec, -1
; %bb.2931:
	s_or_b64 exec, exec, s[8:9]
	s_and_b64 s[4:5], s[4:5], exec
                                        ; implicit-def: $vgpr11
	s_or_saveexec_b64 s[6:7], s[6:7]
	v_mov_b32_e32 v10, s10
	s_xor_b64 exec, exec, s[6:7]
	s_cbranch_execz .LBB59_882
.LBB59_2932:
	v_cmp_ne_u16_e32 vcc, 0, v11
	s_andn2_b64 s[4:5], s[4:5], exec
	s_and_b64 s[8:9], vcc, exec
	v_mov_b32_e32 v10, 0
	s_or_b64 s[4:5], s[4:5], s[8:9]
	s_or_b64 exec, exec, s[6:7]
	s_and_saveexec_b64 s[6:7], s[4:5]
	s_cbranch_execnz .LBB59_883
	s_branch .LBB59_884
.LBB59_2933:
	s_movk_i32 s4, 0x80
	v_cmp_eq_u16_e32 vcc, s4, v11
	s_mov_b64 s[4:5], -1
                                        ; implicit-def: $sgpr10
	s_and_saveexec_b64 s[8:9], vcc
; %bb.2934:
	s_mov_b32 s10, 0x7f800001
	s_xor_b64 s[4:5], exec, -1
; %bb.2935:
	s_or_b64 exec, exec, s[8:9]
	s_and_b64 s[4:5], s[4:5], exec
                                        ; implicit-def: $vgpr11
	s_or_saveexec_b64 s[6:7], s[6:7]
	v_mov_b32_e32 v12, s10
	s_xor_b64 exec, exec, s[6:7]
	s_cbranch_execz .LBB59_886
.LBB59_2936:
	v_cmp_ne_u16_e32 vcc, 0, v11
	s_andn2_b64 s[4:5], s[4:5], exec
	s_and_b64 s[8:9], vcc, exec
	v_mov_b32_e32 v12, 0
	s_or_b64 s[4:5], s[4:5], s[8:9]
	s_or_b64 exec, exec, s[6:7]
	s_and_saveexec_b64 s[6:7], s[4:5]
	s_cbranch_execnz .LBB59_887
	s_branch .LBB59_888
.LBB59_2937:
	s_movk_i32 s4, 0x80
	v_cmp_eq_u16_sdwa s[12:13], v17, s4 src0_sel:BYTE_3 src1_sel:DWORD
	s_mov_b64 s[4:5], -1
                                        ; implicit-def: $sgpr10
	s_and_saveexec_b64 s[8:9], s[12:13]
; %bb.2938:
	s_mov_b32 s10, 0x7f800001
	s_xor_b64 s[4:5], exec, -1
; %bb.2939:
	s_or_b64 exec, exec, s[8:9]
	s_and_b64 s[4:5], s[4:5], exec
	s_or_saveexec_b64 s[6:7], s[6:7]
	v_mov_b32_e32 v10, s10
	s_xor_b64 exec, exec, s[6:7]
	s_cbranch_execz .LBB59_890
.LBB59_2940:
	v_mov_b32_e32 v10, 0
	v_cmp_ne_u16_sdwa s[8:9], v17, v10 src0_sel:BYTE_3 src1_sel:DWORD
	s_andn2_b64 s[4:5], s[4:5], exec
	s_and_b64 s[8:9], s[8:9], exec
	s_or_b64 s[4:5], s[4:5], s[8:9]
	s_or_b64 exec, exec, s[6:7]
	s_and_saveexec_b64 s[6:7], s[4:5]
	s_cbranch_execnz .LBB59_891
	s_branch .LBB59_892
.LBB59_2941:
	s_movk_i32 s4, 0x80
	v_cmp_eq_u16_sdwa s[12:13], v13, s4 src0_sel:BYTE_3 src1_sel:DWORD
	s_mov_b64 s[4:5], -1
                                        ; implicit-def: $sgpr10
	s_and_saveexec_b64 s[8:9], s[12:13]
; %bb.2942:
	s_mov_b32 s10, 0x7f800001
	s_xor_b64 s[4:5], exec, -1
; %bb.2943:
	s_or_b64 exec, exec, s[8:9]
	s_and_b64 s[4:5], s[4:5], exec
	s_or_saveexec_b64 s[6:7], s[6:7]
	v_mov_b32_e32 v11, s10
	s_xor_b64 exec, exec, s[6:7]
	s_cbranch_execz .LBB59_894
.LBB59_2944:
	v_mov_b32_e32 v11, 0
	v_cmp_ne_u16_sdwa s[8:9], v13, v11 src0_sel:BYTE_3 src1_sel:DWORD
	s_andn2_b64 s[4:5], s[4:5], exec
	s_and_b64 s[8:9], s[8:9], exec
	s_or_b64 s[4:5], s[4:5], s[8:9]
	s_or_b64 exec, exec, s[6:7]
	s_and_saveexec_b64 s[6:7], s[4:5]
	s_cbranch_execnz .LBB59_895
	s_branch .LBB59_896
.LBB59_2945:
	s_movk_i32 s4, 0x80
	v_cmp_eq_u16_sdwa s[12:13], v6, s4 src0_sel:BYTE_0 src1_sel:DWORD
	s_mov_b64 s[4:5], -1
                                        ; implicit-def: $sgpr10
	s_and_saveexec_b64 s[8:9], s[12:13]
; %bb.2946:
	s_mov_b32 s10, 0x7f800001
	s_xor_b64 s[4:5], exec, -1
; %bb.2947:
	s_or_b64 exec, exec, s[8:9]
	s_and_b64 s[4:5], s[4:5], exec
	s_or_saveexec_b64 s[6:7], s[6:7]
	v_mov_b32_e32 v10, s10
	s_xor_b64 exec, exec, s[6:7]
	s_cbranch_execz .LBB59_898
.LBB59_2948:
	v_mov_b32_e32 v10, 0
	v_cmp_ne_u16_sdwa s[8:9], v6, v10 src0_sel:BYTE_0 src1_sel:DWORD
	s_andn2_b64 s[4:5], s[4:5], exec
	s_and_b64 s[8:9], s[8:9], exec
	s_or_b64 s[4:5], s[4:5], s[8:9]
	s_or_b64 exec, exec, s[6:7]
	s_and_saveexec_b64 s[6:7], s[4:5]
	s_cbranch_execnz .LBB59_899
	s_branch .LBB59_900
.LBB59_2949:
	s_movk_i32 s4, 0x80
	v_cmp_eq_u16_sdwa s[12:13], v2, s4 src0_sel:BYTE_0 src1_sel:DWORD
	s_mov_b64 s[4:5], -1
                                        ; implicit-def: $sgpr10
	s_and_saveexec_b64 s[8:9], s[12:13]
; %bb.2950:
	s_mov_b32 s10, 0x7f800001
	s_xor_b64 s[4:5], exec, -1
; %bb.2951:
	s_or_b64 exec, exec, s[8:9]
	s_and_b64 s[4:5], s[4:5], exec
	s_or_saveexec_b64 s[6:7], s[6:7]
	v_mov_b32_e32 v11, s10
	s_xor_b64 exec, exec, s[6:7]
	s_cbranch_execz .LBB59_902
.LBB59_2952:
	v_mov_b32_e32 v11, 0
	v_cmp_ne_u16_sdwa s[8:9], v2, v11 src0_sel:BYTE_0 src1_sel:DWORD
	s_andn2_b64 s[4:5], s[4:5], exec
	s_and_b64 s[8:9], s[8:9], exec
	s_or_b64 s[4:5], s[4:5], s[8:9]
	s_or_b64 exec, exec, s[6:7]
	s_and_saveexec_b64 s[6:7], s[4:5]
	s_cbranch_execnz .LBB59_903
	s_branch .LBB59_904
.LBB59_2953:
	s_movk_i32 s4, 0x80
	v_cmp_eq_u16_sdwa s[12:13], v11, s4 src0_sel:BYTE_0 src1_sel:DWORD
	s_mov_b64 s[4:5], -1
                                        ; implicit-def: $sgpr10
	s_and_saveexec_b64 s[8:9], s[12:13]
; %bb.2954:
	s_mov_b32 s10, 0x7f800001
	s_xor_b64 s[4:5], exec, -1
; %bb.2955:
	s_or_b64 exec, exec, s[8:9]
	s_and_b64 s[4:5], s[4:5], exec
	s_or_saveexec_b64 s[6:7], s[6:7]
	v_mov_b32_e32 v10, s10
	s_xor_b64 exec, exec, s[6:7]
	s_cbranch_execz .LBB59_906
.LBB59_2956:
	v_mov_b32_e32 v10, 0
	v_cmp_ne_u16_sdwa s[8:9], v11, v10 src0_sel:BYTE_0 src1_sel:DWORD
	s_andn2_b64 s[4:5], s[4:5], exec
	s_and_b64 s[8:9], s[8:9], exec
	s_or_b64 s[4:5], s[4:5], s[8:9]
	s_or_b64 exec, exec, s[6:7]
	s_and_saveexec_b64 s[6:7], s[4:5]
	s_cbranch_execnz .LBB59_907
	s_branch .LBB59_908
.LBB59_2957:
	s_movk_i32 s4, 0x80
	v_cmp_eq_u16_sdwa s[12:13], v11, s4 src0_sel:BYTE_0 src1_sel:DWORD
	s_mov_b64 s[4:5], -1
                                        ; implicit-def: $sgpr10
	s_and_saveexec_b64 s[8:9], s[12:13]
; %bb.2958:
	s_mov_b32 s10, 0x7f800001
	s_xor_b64 s[4:5], exec, -1
; %bb.2959:
	s_or_b64 exec, exec, s[8:9]
	s_and_b64 s[4:5], s[4:5], exec
	s_or_saveexec_b64 s[6:7], s[6:7]
	v_mov_b32_e32 v12, s10
	s_xor_b64 exec, exec, s[6:7]
	s_cbranch_execz .LBB59_910
.LBB59_2960:
	v_mov_b32_e32 v12, 0
	v_cmp_ne_u16_sdwa s[8:9], v11, v12 src0_sel:BYTE_0 src1_sel:DWORD
	s_andn2_b64 s[4:5], s[4:5], exec
	s_and_b64 s[8:9], s[8:9], exec
	s_or_b64 s[4:5], s[4:5], s[8:9]
	s_or_b64 exec, exec, s[6:7]
	s_and_saveexec_b64 s[6:7], s[4:5]
	s_cbranch_execnz .LBB59_911
	s_branch .LBB59_912
.LBB59_2961:
	s_movk_i32 s4, 0x80
	v_cmp_eq_u16_e32 vcc, s4, v11
	s_mov_b64 s[4:5], -1
                                        ; implicit-def: $sgpr10
	s_and_saveexec_b64 s[8:9], vcc
; %bb.2962:
	s_mov_b32 s10, 0x7f800001
	s_xor_b64 s[4:5], exec, -1
; %bb.2963:
	s_or_b64 exec, exec, s[8:9]
	s_and_b64 s[4:5], s[4:5], exec
                                        ; implicit-def: $vgpr11
	s_or_saveexec_b64 s[6:7], s[6:7]
	v_mov_b32_e32 v10, s10
	s_xor_b64 exec, exec, s[6:7]
	s_cbranch_execz .LBB59_914
.LBB59_2964:
	v_cmp_ne_u16_e32 vcc, 0, v11
	s_andn2_b64 s[4:5], s[4:5], exec
	s_and_b64 s[8:9], vcc, exec
	v_mov_b32_e32 v10, 0
	s_or_b64 s[4:5], s[4:5], s[8:9]
	s_or_b64 exec, exec, s[6:7]
	s_and_saveexec_b64 s[6:7], s[4:5]
	s_cbranch_execnz .LBB59_915
	s_branch .LBB59_916
.LBB59_2965:
	s_movk_i32 s4, 0x80
	v_cmp_eq_u16_e32 vcc, s4, v11
	s_mov_b64 s[4:5], -1
                                        ; implicit-def: $sgpr10
	s_and_saveexec_b64 s[8:9], vcc
; %bb.2966:
	s_mov_b32 s10, 0x7f800001
	s_xor_b64 s[4:5], exec, -1
; %bb.2967:
	s_or_b64 exec, exec, s[8:9]
	s_and_b64 s[4:5], s[4:5], exec
                                        ; implicit-def: $vgpr11
	s_or_saveexec_b64 s[6:7], s[6:7]
	v_mov_b32_e32 v12, s10
	s_xor_b64 exec, exec, s[6:7]
	s_cbranch_execz .LBB59_918
.LBB59_2968:
	v_cmp_ne_u16_e32 vcc, 0, v11
	s_andn2_b64 s[4:5], s[4:5], exec
	s_and_b64 s[8:9], vcc, exec
	v_mov_b32_e32 v12, 0
	s_or_b64 s[4:5], s[4:5], s[8:9]
	s_or_b64 exec, exec, s[6:7]
	s_and_saveexec_b64 s[6:7], s[4:5]
	s_cbranch_execnz .LBB59_919
	s_branch .LBB59_920
.LBB59_2969:
	s_movk_i32 s4, 0x80
	v_cmp_eq_u16_sdwa s[12:13], v6, s4 src0_sel:BYTE_3 src1_sel:DWORD
	s_mov_b64 s[4:5], -1
                                        ; implicit-def: $sgpr10
	s_and_saveexec_b64 s[8:9], s[12:13]
; %bb.2970:
	s_mov_b32 s10, 0x7f800001
	s_xor_b64 s[4:5], exec, -1
; %bb.2971:
	s_or_b64 exec, exec, s[8:9]
	s_and_b64 s[4:5], s[4:5], exec
	s_or_saveexec_b64 s[6:7], s[6:7]
	v_mov_b32_e32 v10, s10
	s_xor_b64 exec, exec, s[6:7]
	s_cbranch_execz .LBB59_922
.LBB59_2972:
	v_mov_b32_e32 v10, 0
	v_cmp_ne_u16_sdwa s[8:9], v6, v10 src0_sel:BYTE_3 src1_sel:DWORD
	s_andn2_b64 s[4:5], s[4:5], exec
	s_and_b64 s[8:9], s[8:9], exec
	s_or_b64 s[4:5], s[4:5], s[8:9]
	s_or_b64 exec, exec, s[6:7]
	s_and_saveexec_b64 s[6:7], s[4:5]
	s_cbranch_execnz .LBB59_923
	s_branch .LBB59_924
.LBB59_2973:
	s_movk_i32 s4, 0x80
	v_cmp_eq_u16_sdwa s[12:13], v2, s4 src0_sel:BYTE_3 src1_sel:DWORD
	s_mov_b64 s[4:5], -1
                                        ; implicit-def: $sgpr10
	s_and_saveexec_b64 s[8:9], s[12:13]
; %bb.2974:
	s_mov_b32 s10, 0x7f800001
	s_xor_b64 s[4:5], exec, -1
; %bb.2975:
	s_or_b64 exec, exec, s[8:9]
	s_and_b64 s[4:5], s[4:5], exec
	s_or_saveexec_b64 s[6:7], s[6:7]
	v_mov_b32_e32 v6, s10
	s_xor_b64 exec, exec, s[6:7]
	s_cbranch_execz .LBB59_926
.LBB59_2976:
	v_mov_b32_e32 v6, 0
	v_cmp_ne_u16_sdwa s[8:9], v2, v6 src0_sel:BYTE_3 src1_sel:DWORD
	s_andn2_b64 s[4:5], s[4:5], exec
	s_and_b64 s[8:9], s[8:9], exec
	s_or_b64 s[4:5], s[4:5], s[8:9]
	s_or_b64 exec, exec, s[6:7]
	s_and_saveexec_b64 s[6:7], s[4:5]
	s_cbranch_execnz .LBB59_927
	s_branch .LBB59_928
.LBB59_2977:
	s_movk_i32 s4, 0x80
	v_cmp_eq_u16_sdwa s[12:13], v7, s4 src0_sel:BYTE_0 src1_sel:DWORD
	s_mov_b64 s[4:5], -1
                                        ; implicit-def: $sgpr10
	s_and_saveexec_b64 s[8:9], s[12:13]
; %bb.2978:
	s_mov_b32 s10, 0x7f800001
	s_xor_b64 s[4:5], exec, -1
; %bb.2979:
	s_or_b64 exec, exec, s[8:9]
	s_and_b64 s[4:5], s[4:5], exec
	s_or_saveexec_b64 s[6:7], s[6:7]
	v_mov_b32_e32 v2, s10
	s_xor_b64 exec, exec, s[6:7]
	s_cbranch_execz .LBB59_930
.LBB59_2980:
	v_mov_b32_e32 v2, 0
	v_cmp_ne_u16_sdwa s[8:9], v7, v2 src0_sel:BYTE_0 src1_sel:DWORD
	s_andn2_b64 s[4:5], s[4:5], exec
	s_and_b64 s[8:9], s[8:9], exec
	s_or_b64 s[4:5], s[4:5], s[8:9]
	s_or_b64 exec, exec, s[6:7]
	s_and_saveexec_b64 s[6:7], s[4:5]
	s_cbranch_execnz .LBB59_931
	s_branch .LBB59_932
.LBB59_2981:
	s_movk_i32 s4, 0x80
	v_cmp_eq_u16_sdwa s[12:13], v3, s4 src0_sel:BYTE_0 src1_sel:DWORD
	s_mov_b64 s[4:5], -1
                                        ; implicit-def: $sgpr10
	s_and_saveexec_b64 s[8:9], s[12:13]
; %bb.2982:
	s_mov_b32 s10, 0x7f800001
	s_xor_b64 s[4:5], exec, -1
; %bb.2983:
	s_or_b64 exec, exec, s[8:9]
	s_and_b64 s[4:5], s[4:5], exec
	s_or_saveexec_b64 s[6:7], s[6:7]
	v_mov_b32_e32 v6, s10
	s_xor_b64 exec, exec, s[6:7]
	s_cbranch_execz .LBB59_934
.LBB59_2984:
	v_mov_b32_e32 v6, 0
	v_cmp_ne_u16_sdwa s[8:9], v3, v6 src0_sel:BYTE_0 src1_sel:DWORD
	s_andn2_b64 s[4:5], s[4:5], exec
	s_and_b64 s[8:9], s[8:9], exec
	s_or_b64 s[4:5], s[4:5], s[8:9]
	s_or_b64 exec, exec, s[6:7]
	s_and_saveexec_b64 s[6:7], s[4:5]
	s_cbranch_execnz .LBB59_935
	s_branch .LBB59_936
.LBB59_2985:
	s_movk_i32 s4, 0x80
	v_cmp_eq_u16_sdwa s[12:13], v6, s4 src0_sel:BYTE_0 src1_sel:DWORD
	s_mov_b64 s[4:5], -1
                                        ; implicit-def: $sgpr10
	s_and_saveexec_b64 s[8:9], s[12:13]
; %bb.2986:
	s_mov_b32 s10, 0x7f800001
	s_xor_b64 s[4:5], exec, -1
; %bb.2987:
	s_or_b64 exec, exec, s[8:9]
	s_and_b64 s[4:5], s[4:5], exec
	s_or_saveexec_b64 s[6:7], s[6:7]
	v_mov_b32_e32 v2, s10
	s_xor_b64 exec, exec, s[6:7]
	s_cbranch_execz .LBB59_938
.LBB59_2988:
	v_mov_b32_e32 v2, 0
	v_cmp_ne_u16_sdwa s[8:9], v6, v2 src0_sel:BYTE_0 src1_sel:DWORD
	s_andn2_b64 s[4:5], s[4:5], exec
	s_and_b64 s[8:9], s[8:9], exec
	s_or_b64 s[4:5], s[4:5], s[8:9]
	s_or_b64 exec, exec, s[6:7]
	s_and_saveexec_b64 s[6:7], s[4:5]
	s_cbranch_execnz .LBB59_939
	s_branch .LBB59_940
.LBB59_2989:
	s_movk_i32 s4, 0x80
	v_cmp_eq_u16_sdwa s[12:13], v6, s4 src0_sel:BYTE_0 src1_sel:DWORD
	s_mov_b64 s[4:5], -1
                                        ; implicit-def: $sgpr10
	s_and_saveexec_b64 s[8:9], s[12:13]
; %bb.2990:
	s_mov_b32 s10, 0x7f800001
	s_xor_b64 s[4:5], exec, -1
; %bb.2991:
	s_or_b64 exec, exec, s[8:9]
	s_and_b64 s[4:5], s[4:5], exec
	s_or_saveexec_b64 s[6:7], s[6:7]
	v_mov_b32_e32 v10, s10
	s_xor_b64 exec, exec, s[6:7]
	s_cbranch_execz .LBB59_942
.LBB59_2992:
	v_mov_b32_e32 v10, 0
	v_cmp_ne_u16_sdwa s[8:9], v6, v10 src0_sel:BYTE_0 src1_sel:DWORD
	s_andn2_b64 s[4:5], s[4:5], exec
	s_and_b64 s[8:9], s[8:9], exec
	s_or_b64 s[4:5], s[4:5], s[8:9]
	s_or_b64 exec, exec, s[6:7]
	s_and_saveexec_b64 s[6:7], s[4:5]
	s_cbranch_execnz .LBB59_943
	s_branch .LBB59_944
.LBB59_2993:
	s_movk_i32 s4, 0x80
	v_cmp_eq_u16_e32 vcc, s4, v6
	s_mov_b64 s[4:5], -1
                                        ; implicit-def: $sgpr10
	s_and_saveexec_b64 s[8:9], vcc
; %bb.2994:
	s_mov_b32 s10, 0x7f800001
	s_xor_b64 s[4:5], exec, -1
; %bb.2995:
	s_or_b64 exec, exec, s[8:9]
	s_and_b64 s[4:5], s[4:5], exec
                                        ; implicit-def: $vgpr6
	s_or_saveexec_b64 s[6:7], s[6:7]
	v_mov_b32_e32 v2, s10
	s_xor_b64 exec, exec, s[6:7]
	s_cbranch_execz .LBB59_946
.LBB59_2996:
	v_cmp_ne_u16_e32 vcc, 0, v6
	s_andn2_b64 s[4:5], s[4:5], exec
	s_and_b64 s[8:9], vcc, exec
	v_mov_b32_e32 v2, 0
	s_or_b64 s[4:5], s[4:5], s[8:9]
	s_or_b64 exec, exec, s[6:7]
	s_and_saveexec_b64 s[6:7], s[4:5]
	s_cbranch_execnz .LBB59_947
	s_branch .LBB59_948
.LBB59_2997:
	s_movk_i32 s4, 0x80
	v_cmp_eq_u16_e32 vcc, s4, v6
	s_mov_b64 s[4:5], -1
                                        ; implicit-def: $sgpr10
	s_and_saveexec_b64 s[8:9], vcc
; %bb.2998:
	s_mov_b32 s10, 0x7f800001
	s_xor_b64 s[4:5], exec, -1
; %bb.2999:
	s_or_b64 exec, exec, s[8:9]
	s_and_b64 s[4:5], s[4:5], exec
                                        ; implicit-def: $vgpr6
	s_or_saveexec_b64 s[6:7], s[6:7]
	v_mov_b32_e32 v10, s10
	s_xor_b64 exec, exec, s[6:7]
	s_cbranch_execz .LBB59_950
.LBB59_3000:
	v_cmp_ne_u16_e32 vcc, 0, v6
	s_andn2_b64 s[4:5], s[4:5], exec
	s_and_b64 s[8:9], vcc, exec
	v_mov_b32_e32 v10, 0
	s_or_b64 s[4:5], s[4:5], s[8:9]
	s_or_b64 exec, exec, s[6:7]
	s_and_saveexec_b64 s[6:7], s[4:5]
	s_cbranch_execnz .LBB59_951
	s_branch .LBB59_952
.LBB59_3001:
	s_movk_i32 s4, 0x80
	v_cmp_eq_u16_sdwa s[12:13], v7, s4 src0_sel:BYTE_3 src1_sel:DWORD
	s_mov_b64 s[4:5], -1
                                        ; implicit-def: $sgpr10
	s_and_saveexec_b64 s[8:9], s[12:13]
; %bb.3002:
	s_mov_b32 s10, 0x7f800001
	s_xor_b64 s[4:5], exec, -1
; %bb.3003:
	s_or_b64 exec, exec, s[8:9]
	s_and_b64 s[4:5], s[4:5], exec
	s_or_saveexec_b64 s[6:7], s[6:7]
	v_mov_b32_e32 v2, s10
	s_xor_b64 exec, exec, s[6:7]
	s_cbranch_execz .LBB59_954
.LBB59_3004:
	v_mov_b32_e32 v2, 0
	v_cmp_ne_u16_sdwa s[8:9], v7, v2 src0_sel:BYTE_3 src1_sel:DWORD
	s_andn2_b64 s[4:5], s[4:5], exec
	s_and_b64 s[8:9], s[8:9], exec
	s_or_b64 s[4:5], s[4:5], s[8:9]
	s_or_b64 exec, exec, s[6:7]
	s_and_saveexec_b64 s[6:7], s[4:5]
	s_cbranch_execnz .LBB59_955
	s_branch .LBB59_956
.LBB59_3005:
	s_movk_i32 s4, 0x80
	v_cmp_eq_u16_sdwa s[12:13], v3, s4 src0_sel:BYTE_3 src1_sel:DWORD
	s_mov_b64 s[4:5], -1
                                        ; implicit-def: $sgpr10
	s_and_saveexec_b64 s[8:9], s[12:13]
; %bb.3006:
	s_mov_b32 s10, 0x7f800001
	s_xor_b64 s[4:5], exec, -1
; %bb.3007:
	s_or_b64 exec, exec, s[8:9]
	s_and_b64 s[4:5], s[4:5], exec
	s_or_saveexec_b64 s[6:7], s[6:7]
	v_mov_b32_e32 v6, s10
	s_xor_b64 exec, exec, s[6:7]
	s_cbranch_execz .LBB59_958
.LBB59_3008:
	v_mov_b32_e32 v6, 0
	v_cmp_ne_u16_sdwa s[8:9], v3, v6 src0_sel:BYTE_3 src1_sel:DWORD
	s_andn2_b64 s[4:5], s[4:5], exec
	s_and_b64 s[8:9], s[8:9], exec
	s_or_b64 s[4:5], s[4:5], s[8:9]
	s_or_b64 exec, exec, s[6:7]
	s_and_saveexec_b64 s[6:7], s[4:5]
	s_cbranch_execnz .LBB59_959
	s_branch .LBB59_960
.LBB59_3009:
	s_movk_i32 s4, 0x80
	v_cmp_eq_u16_sdwa s[12:13], v8, s4 src0_sel:BYTE_0 src1_sel:DWORD
	s_mov_b64 s[4:5], -1
                                        ; implicit-def: $sgpr10
	s_and_saveexec_b64 s[8:9], s[12:13]
; %bb.3010:
	s_mov_b32 s10, 0x7f800001
	s_xor_b64 s[4:5], exec, -1
; %bb.3011:
	s_or_b64 exec, exec, s[8:9]
	s_and_b64 s[4:5], s[4:5], exec
	s_or_saveexec_b64 s[6:7], s[6:7]
	v_mov_b32_e32 v2, s10
	s_xor_b64 exec, exec, s[6:7]
	s_cbranch_execz .LBB59_962
.LBB59_3012:
	v_mov_b32_e32 v2, 0
	v_cmp_ne_u16_sdwa s[8:9], v8, v2 src0_sel:BYTE_0 src1_sel:DWORD
	s_andn2_b64 s[4:5], s[4:5], exec
	s_and_b64 s[8:9], s[8:9], exec
	s_or_b64 s[4:5], s[4:5], s[8:9]
	s_or_b64 exec, exec, s[6:7]
	s_and_saveexec_b64 s[6:7], s[4:5]
	s_cbranch_execnz .LBB59_963
	s_branch .LBB59_964
.LBB59_3013:
	s_movk_i32 s4, 0x80
	v_cmp_eq_u16_sdwa s[12:13], v4, s4 src0_sel:BYTE_0 src1_sel:DWORD
	s_mov_b64 s[4:5], -1
                                        ; implicit-def: $sgpr10
	s_and_saveexec_b64 s[8:9], s[12:13]
; %bb.3014:
	s_mov_b32 s10, 0x7f800001
	s_xor_b64 s[4:5], exec, -1
; %bb.3015:
	s_or_b64 exec, exec, s[8:9]
	s_and_b64 s[4:5], s[4:5], exec
	s_or_saveexec_b64 s[6:7], s[6:7]
	v_mov_b32_e32 v3, s10
	s_xor_b64 exec, exec, s[6:7]
	s_cbranch_execz .LBB59_966
.LBB59_3016:
	v_mov_b32_e32 v3, 0
	v_cmp_ne_u16_sdwa s[8:9], v4, v3 src0_sel:BYTE_0 src1_sel:DWORD
	s_andn2_b64 s[4:5], s[4:5], exec
	s_and_b64 s[8:9], s[8:9], exec
	s_or_b64 s[4:5], s[4:5], s[8:9]
	s_or_b64 exec, exec, s[6:7]
	s_and_saveexec_b64 s[6:7], s[4:5]
	s_cbranch_execnz .LBB59_967
	s_branch .LBB59_968
.LBB59_3017:
	s_movk_i32 s4, 0x80
	v_cmp_eq_u16_sdwa s[12:13], v3, s4 src0_sel:BYTE_0 src1_sel:DWORD
	s_mov_b64 s[4:5], -1
                                        ; implicit-def: $sgpr10
	s_and_saveexec_b64 s[8:9], s[12:13]
; %bb.3018:
	s_mov_b32 s10, 0x7f800001
	s_xor_b64 s[4:5], exec, -1
; %bb.3019:
	s_or_b64 exec, exec, s[8:9]
	s_and_b64 s[4:5], s[4:5], exec
	s_or_saveexec_b64 s[6:7], s[6:7]
	v_mov_b32_e32 v2, s10
	s_xor_b64 exec, exec, s[6:7]
	s_cbranch_execz .LBB59_970
.LBB59_3020:
	v_mov_b32_e32 v2, 0
	v_cmp_ne_u16_sdwa s[8:9], v3, v2 src0_sel:BYTE_0 src1_sel:DWORD
	s_andn2_b64 s[4:5], s[4:5], exec
	s_and_b64 s[8:9], s[8:9], exec
	s_or_b64 s[4:5], s[4:5], s[8:9]
	s_or_b64 exec, exec, s[6:7]
	s_and_saveexec_b64 s[6:7], s[4:5]
	s_cbranch_execnz .LBB59_971
	s_branch .LBB59_972
.LBB59_3021:
	s_movk_i32 s4, 0x80
	v_cmp_eq_u16_sdwa s[12:13], v3, s4 src0_sel:BYTE_0 src1_sel:DWORD
	s_mov_b64 s[4:5], -1
                                        ; implicit-def: $sgpr10
	s_and_saveexec_b64 s[8:9], s[12:13]
; %bb.3022:
	s_mov_b32 s10, 0x7f800001
	s_xor_b64 s[4:5], exec, -1
; %bb.3023:
	s_or_b64 exec, exec, s[8:9]
	s_and_b64 s[4:5], s[4:5], exec
	s_or_saveexec_b64 s[6:7], s[6:7]
	v_mov_b32_e32 v6, s10
	s_xor_b64 exec, exec, s[6:7]
	s_cbranch_execz .LBB59_974
.LBB59_3024:
	v_mov_b32_e32 v6, 0
	v_cmp_ne_u16_sdwa s[8:9], v3, v6 src0_sel:BYTE_0 src1_sel:DWORD
	s_andn2_b64 s[4:5], s[4:5], exec
	s_and_b64 s[8:9], s[8:9], exec
	s_or_b64 s[4:5], s[4:5], s[8:9]
	s_or_b64 exec, exec, s[6:7]
	s_and_saveexec_b64 s[6:7], s[4:5]
	s_cbranch_execnz .LBB59_975
	s_branch .LBB59_976
.LBB59_3025:
	s_movk_i32 s4, 0x80
	v_cmp_eq_u16_e32 vcc, s4, v3
	s_mov_b64 s[4:5], -1
                                        ; implicit-def: $sgpr10
	s_and_saveexec_b64 s[8:9], vcc
; %bb.3026:
	s_mov_b32 s10, 0x7f800001
	s_xor_b64 s[4:5], exec, -1
; %bb.3027:
	s_or_b64 exec, exec, s[8:9]
	s_and_b64 s[4:5], s[4:5], exec
                                        ; implicit-def: $vgpr3
	s_or_saveexec_b64 s[6:7], s[6:7]
	v_mov_b32_e32 v2, s10
	s_xor_b64 exec, exec, s[6:7]
	s_cbranch_execz .LBB59_978
.LBB59_3028:
	v_cmp_ne_u16_e32 vcc, 0, v3
	s_andn2_b64 s[4:5], s[4:5], exec
	s_and_b64 s[8:9], vcc, exec
	v_mov_b32_e32 v2, 0
	s_or_b64 s[4:5], s[4:5], s[8:9]
	s_or_b64 exec, exec, s[6:7]
	s_and_saveexec_b64 s[6:7], s[4:5]
	s_cbranch_execnz .LBB59_979
	s_branch .LBB59_980
.LBB59_3029:
	s_movk_i32 s4, 0x80
	v_cmp_eq_u16_e32 vcc, s4, v3
	s_mov_b64 s[4:5], -1
                                        ; implicit-def: $sgpr10
	s_and_saveexec_b64 s[8:9], vcc
; %bb.3030:
	s_mov_b32 s10, 0x7f800001
	s_xor_b64 s[4:5], exec, -1
; %bb.3031:
	s_or_b64 exec, exec, s[8:9]
	s_and_b64 s[4:5], s[4:5], exec
                                        ; implicit-def: $vgpr3
	s_or_saveexec_b64 s[6:7], s[6:7]
	v_mov_b32_e32 v6, s10
	s_xor_b64 exec, exec, s[6:7]
	s_cbranch_execz .LBB59_982
.LBB59_3032:
	v_cmp_ne_u16_e32 vcc, 0, v3
	s_andn2_b64 s[4:5], s[4:5], exec
	s_and_b64 s[8:9], vcc, exec
	v_mov_b32_e32 v6, 0
	s_or_b64 s[4:5], s[4:5], s[8:9]
	s_or_b64 exec, exec, s[6:7]
	s_and_saveexec_b64 s[6:7], s[4:5]
	s_cbranch_execnz .LBB59_983
	s_branch .LBB59_984
.LBB59_3033:
	s_movk_i32 s4, 0x80
	v_cmp_eq_u16_sdwa s[12:13], v8, s4 src0_sel:BYTE_3 src1_sel:DWORD
	s_mov_b64 s[4:5], -1
                                        ; implicit-def: $sgpr10
	s_and_saveexec_b64 s[8:9], s[12:13]
; %bb.3034:
	s_mov_b32 s10, 0x7f800001
	s_xor_b64 s[4:5], exec, -1
; %bb.3035:
	s_or_b64 exec, exec, s[8:9]
	s_and_b64 s[4:5], s[4:5], exec
	s_or_saveexec_b64 s[6:7], s[6:7]
	v_mov_b32_e32 v2, s10
	s_xor_b64 exec, exec, s[6:7]
	s_cbranch_execz .LBB59_986
.LBB59_3036:
	v_mov_b32_e32 v2, 0
	v_cmp_ne_u16_sdwa s[8:9], v8, v2 src0_sel:BYTE_3 src1_sel:DWORD
	s_andn2_b64 s[4:5], s[4:5], exec
	s_and_b64 s[8:9], s[8:9], exec
	s_or_b64 s[4:5], s[4:5], s[8:9]
	s_or_b64 exec, exec, s[6:7]
	s_and_saveexec_b64 s[6:7], s[4:5]
	s_cbranch_execnz .LBB59_987
	s_branch .LBB59_988
.LBB59_3037:
	s_movk_i32 s4, 0x80
	v_cmp_eq_u16_sdwa s[12:13], v4, s4 src0_sel:BYTE_3 src1_sel:DWORD
	s_mov_b64 s[4:5], -1
                                        ; implicit-def: $sgpr10
	s_and_saveexec_b64 s[8:9], s[12:13]
; %bb.3038:
	s_mov_b32 s10, 0x7f800001
	s_xor_b64 s[4:5], exec, -1
; %bb.3039:
	s_or_b64 exec, exec, s[8:9]
	s_and_b64 s[4:5], s[4:5], exec
	s_or_saveexec_b64 s[6:7], s[6:7]
	v_mov_b32_e32 v3, s10
	s_xor_b64 exec, exec, s[6:7]
	s_cbranch_execz .LBB59_990
.LBB59_3040:
	v_mov_b32_e32 v3, 0
	v_cmp_ne_u16_sdwa s[8:9], v4, v3 src0_sel:BYTE_3 src1_sel:DWORD
	s_andn2_b64 s[4:5], s[4:5], exec
	s_and_b64 s[8:9], s[8:9], exec
	s_or_b64 s[4:5], s[4:5], s[8:9]
	s_or_b64 exec, exec, s[6:7]
	s_and_saveexec_b64 s[6:7], s[4:5]
	s_cbranch_execnz .LBB59_991
	s_branch .LBB59_992
.LBB59_3041:
	s_movk_i32 s4, 0x80
	v_cmp_eq_u16_sdwa s[12:13], v9, s4 src0_sel:BYTE_0 src1_sel:DWORD
	s_mov_b64 s[4:5], -1
                                        ; implicit-def: $sgpr10
	s_and_saveexec_b64 s[8:9], s[12:13]
; %bb.3042:
	s_mov_b32 s10, 0x7f800001
	s_xor_b64 s[4:5], exec, -1
; %bb.3043:
	s_or_b64 exec, exec, s[8:9]
	s_and_b64 s[4:5], s[4:5], exec
	s_or_saveexec_b64 s[6:7], s[6:7]
	v_mov_b32_e32 v2, s10
	s_xor_b64 exec, exec, s[6:7]
	s_cbranch_execz .LBB59_994
.LBB59_3044:
	v_mov_b32_e32 v2, 0
	v_cmp_ne_u16_sdwa s[8:9], v9, v2 src0_sel:BYTE_0 src1_sel:DWORD
	s_andn2_b64 s[4:5], s[4:5], exec
	s_and_b64 s[8:9], s[8:9], exec
	s_or_b64 s[4:5], s[4:5], s[8:9]
	s_or_b64 exec, exec, s[6:7]
	s_and_saveexec_b64 s[6:7], s[4:5]
	s_cbranch_execnz .LBB59_995
	s_branch .LBB59_996
.LBB59_3045:
	s_movk_i32 s4, 0x80
	v_cmp_eq_u16_sdwa s[12:13], v5, s4 src0_sel:BYTE_0 src1_sel:DWORD
	s_mov_b64 s[4:5], -1
                                        ; implicit-def: $sgpr10
	s_and_saveexec_b64 s[8:9], s[12:13]
; %bb.3046:
	s_mov_b32 s10, 0x7f800001
	s_xor_b64 s[4:5], exec, -1
; %bb.3047:
	s_or_b64 exec, exec, s[8:9]
	s_and_b64 s[4:5], s[4:5], exec
	s_or_saveexec_b64 s[6:7], s[6:7]
	v_mov_b32_e32 v3, s10
	s_xor_b64 exec, exec, s[6:7]
	s_cbranch_execz .LBB59_998
.LBB59_3048:
	v_mov_b32_e32 v3, 0
	v_cmp_ne_u16_sdwa s[8:9], v5, v3 src0_sel:BYTE_0 src1_sel:DWORD
	s_andn2_b64 s[4:5], s[4:5], exec
	s_and_b64 s[8:9], s[8:9], exec
	s_or_b64 s[4:5], s[4:5], s[8:9]
	s_or_b64 exec, exec, s[6:7]
	s_and_saveexec_b64 s[6:7], s[4:5]
	s_cbranch_execnz .LBB59_999
	s_branch .LBB59_1000
.LBB59_3049:
	s_movk_i32 s4, 0x80
	v_cmp_eq_u16_sdwa s[12:13], v3, s4 src0_sel:BYTE_0 src1_sel:DWORD
	s_mov_b64 s[4:5], -1
                                        ; implicit-def: $sgpr10
	s_and_saveexec_b64 s[8:9], s[12:13]
; %bb.3050:
	s_mov_b32 s10, 0x7f800001
	s_xor_b64 s[4:5], exec, -1
; %bb.3051:
	s_or_b64 exec, exec, s[8:9]
	s_and_b64 s[4:5], s[4:5], exec
	s_or_saveexec_b64 s[6:7], s[6:7]
	v_mov_b32_e32 v2, s10
	s_xor_b64 exec, exec, s[6:7]
	s_cbranch_execz .LBB59_1002
.LBB59_3052:
	v_mov_b32_e32 v2, 0
	v_cmp_ne_u16_sdwa s[8:9], v3, v2 src0_sel:BYTE_0 src1_sel:DWORD
	s_andn2_b64 s[4:5], s[4:5], exec
	s_and_b64 s[8:9], s[8:9], exec
	s_or_b64 s[4:5], s[4:5], s[8:9]
	s_or_b64 exec, exec, s[6:7]
	s_and_saveexec_b64 s[6:7], s[4:5]
	s_cbranch_execnz .LBB59_1003
	s_branch .LBB59_1004
.LBB59_3053:
	s_movk_i32 s4, 0x80
	v_cmp_eq_u16_sdwa s[12:13], v3, s4 src0_sel:BYTE_0 src1_sel:DWORD
	s_mov_b64 s[4:5], -1
                                        ; implicit-def: $sgpr10
	s_and_saveexec_b64 s[8:9], s[12:13]
; %bb.3054:
	s_mov_b32 s10, 0x7f800001
	s_xor_b64 s[4:5], exec, -1
; %bb.3055:
	s_or_b64 exec, exec, s[8:9]
	s_and_b64 s[4:5], s[4:5], exec
	s_or_saveexec_b64 s[6:7], s[6:7]
	v_mov_b32_e32 v4, s10
	s_xor_b64 exec, exec, s[6:7]
	s_cbranch_execz .LBB59_1006
.LBB59_3056:
	v_mov_b32_e32 v4, 0
	v_cmp_ne_u16_sdwa s[8:9], v3, v4 src0_sel:BYTE_0 src1_sel:DWORD
	s_andn2_b64 s[4:5], s[4:5], exec
	s_and_b64 s[8:9], s[8:9], exec
	s_or_b64 s[4:5], s[4:5], s[8:9]
	s_or_b64 exec, exec, s[6:7]
	s_and_saveexec_b64 s[6:7], s[4:5]
	s_cbranch_execnz .LBB59_1007
	s_branch .LBB59_1008
.LBB59_3057:
	s_movk_i32 s4, 0x80
	v_cmp_eq_u16_e32 vcc, s4, v3
	s_mov_b64 s[4:5], -1
                                        ; implicit-def: $sgpr10
	s_and_saveexec_b64 s[8:9], vcc
; %bb.3058:
	s_mov_b32 s10, 0x7f800001
	s_xor_b64 s[4:5], exec, -1
; %bb.3059:
	s_or_b64 exec, exec, s[8:9]
	s_and_b64 s[4:5], s[4:5], exec
                                        ; implicit-def: $vgpr3
	s_or_saveexec_b64 s[6:7], s[6:7]
	v_mov_b32_e32 v2, s10
	s_xor_b64 exec, exec, s[6:7]
	s_cbranch_execz .LBB59_1010
.LBB59_3060:
	v_cmp_ne_u16_e32 vcc, 0, v3
	s_andn2_b64 s[4:5], s[4:5], exec
	s_and_b64 s[8:9], vcc, exec
	v_mov_b32_e32 v2, 0
	s_or_b64 s[4:5], s[4:5], s[8:9]
	s_or_b64 exec, exec, s[6:7]
	s_and_saveexec_b64 s[6:7], s[4:5]
	s_cbranch_execnz .LBB59_1011
	s_branch .LBB59_1012
.LBB59_3061:
	s_movk_i32 s4, 0x80
	v_cmp_eq_u16_e32 vcc, s4, v3
	s_mov_b64 s[4:5], -1
                                        ; implicit-def: $sgpr10
	s_and_saveexec_b64 s[8:9], vcc
; %bb.3062:
	s_mov_b32 s10, 0x7f800001
	s_xor_b64 s[4:5], exec, -1
; %bb.3063:
	s_or_b64 exec, exec, s[8:9]
	s_and_b64 s[4:5], s[4:5], exec
                                        ; implicit-def: $vgpr3
	s_or_saveexec_b64 s[6:7], s[6:7]
	v_mov_b32_e32 v4, s10
	s_xor_b64 exec, exec, s[6:7]
	s_cbranch_execz .LBB59_1014
.LBB59_3064:
	v_cmp_ne_u16_e32 vcc, 0, v3
	s_andn2_b64 s[4:5], s[4:5], exec
	s_and_b64 s[8:9], vcc, exec
	v_mov_b32_e32 v4, 0
	s_or_b64 s[4:5], s[4:5], s[8:9]
	s_or_b64 exec, exec, s[6:7]
	s_and_saveexec_b64 s[6:7], s[4:5]
	s_cbranch_execnz .LBB59_1015
	s_branch .LBB59_1016
.LBB59_3065:
	s_movk_i32 s4, 0x80
	v_cmp_eq_u16_sdwa s[12:13], v9, s4 src0_sel:BYTE_3 src1_sel:DWORD
	s_mov_b64 s[4:5], -1
                                        ; implicit-def: $sgpr10
	s_and_saveexec_b64 s[8:9], s[12:13]
; %bb.3066:
	s_mov_b32 s10, 0x7f800001
	s_xor_b64 s[4:5], exec, -1
; %bb.3067:
	s_or_b64 exec, exec, s[8:9]
	s_and_b64 s[4:5], s[4:5], exec
	s_or_saveexec_b64 s[6:7], s[6:7]
	v_mov_b32_e32 v2, s10
	s_xor_b64 exec, exec, s[6:7]
	s_cbranch_execz .LBB59_1018
.LBB59_3068:
	v_mov_b32_e32 v2, 0
	v_cmp_ne_u16_sdwa s[8:9], v9, v2 src0_sel:BYTE_3 src1_sel:DWORD
	s_andn2_b64 s[4:5], s[4:5], exec
	s_and_b64 s[8:9], s[8:9], exec
	s_or_b64 s[4:5], s[4:5], s[8:9]
	s_or_b64 exec, exec, s[6:7]
	s_and_saveexec_b64 s[6:7], s[4:5]
	s_cbranch_execnz .LBB59_1019
	s_branch .LBB59_1020
.LBB59_3069:
	s_movk_i32 s4, 0x80
	v_cmp_eq_u16_sdwa s[12:13], v5, s4 src0_sel:BYTE_3 src1_sel:DWORD
	s_mov_b64 s[4:5], -1
                                        ; implicit-def: $sgpr10
	s_and_saveexec_b64 s[8:9], s[12:13]
; %bb.3070:
	s_mov_b32 s10, 0x7f800001
	s_xor_b64 s[4:5], exec, -1
; %bb.3071:
	s_or_b64 exec, exec, s[8:9]
	s_and_b64 s[4:5], s[4:5], exec
	s_or_saveexec_b64 s[6:7], s[6:7]
	v_mov_b32_e32 v3, s10
	s_xor_b64 exec, exec, s[6:7]
	s_cbranch_execz .LBB59_1022
.LBB59_3072:
	v_mov_b32_e32 v3, 0
	v_cmp_ne_u16_sdwa s[8:9], v5, v3 src0_sel:BYTE_3 src1_sel:DWORD
	s_andn2_b64 s[4:5], s[4:5], exec
	s_and_b64 s[8:9], s[8:9], exec
	s_or_b64 s[4:5], s[4:5], s[8:9]
	s_or_b64 exec, exec, s[6:7]
	s_and_saveexec_b64 s[6:7], s[4:5]
	s_cbranch_execnz .LBB59_1023
	s_branch .LBB59_1024
.LBB59_3073:
	s_movk_i32 s4, 0x80
	v_cmp_eq_u16_sdwa s[12:13], v14, s4 src0_sel:BYTE_0 src1_sel:DWORD
	s_mov_b64 s[4:5], -1
                                        ; implicit-def: $sgpr10
	s_and_saveexec_b64 s[8:9], s[12:13]
; %bb.3074:
	s_mov_b32 s10, 0x7f800001
	s_xor_b64 s[4:5], exec, -1
; %bb.3075:
	s_or_b64 exec, exec, s[8:9]
	s_and_b64 s[4:5], s[4:5], exec
	s_or_saveexec_b64 s[6:7], s[6:7]
	v_mov_b32_e32 v20, s10
	s_xor_b64 exec, exec, s[6:7]
	s_cbranch_execz .LBB59_1026
.LBB59_3076:
	v_mov_b32_e32 v20, 0
	v_cmp_ne_u16_sdwa s[8:9], v14, v20 src0_sel:BYTE_0 src1_sel:DWORD
	s_andn2_b64 s[4:5], s[4:5], exec
	s_and_b64 s[8:9], s[8:9], exec
	s_or_b64 s[4:5], s[4:5], s[8:9]
	s_or_b64 exec, exec, s[6:7]
	s_and_saveexec_b64 s[6:7], s[4:5]
	s_cbranch_execnz .LBB59_1027
	s_branch .LBB59_1028
.LBB59_3077:
	s_movk_i32 s4, 0x80
	v_cmp_eq_u16_sdwa s[12:13], v10, s4 src0_sel:BYTE_0 src1_sel:DWORD
	s_mov_b64 s[4:5], -1
                                        ; implicit-def: $sgpr10
	s_and_saveexec_b64 s[8:9], s[12:13]
; %bb.3078:
	s_mov_b32 s10, 0x7f800001
	s_xor_b64 s[4:5], exec, -1
; %bb.3079:
	s_or_b64 exec, exec, s[8:9]
	s_and_b64 s[4:5], s[4:5], exec
	s_or_saveexec_b64 s[6:7], s[6:7]
	v_mov_b32_e32 v21, s10
	s_xor_b64 exec, exec, s[6:7]
	s_cbranch_execz .LBB59_1030
.LBB59_3080:
	v_mov_b32_e32 v21, 0
	v_cmp_ne_u16_sdwa s[8:9], v10, v21 src0_sel:BYTE_0 src1_sel:DWORD
	s_andn2_b64 s[4:5], s[4:5], exec
	s_and_b64 s[8:9], s[8:9], exec
	s_or_b64 s[4:5], s[4:5], s[8:9]
	s_or_b64 exec, exec, s[6:7]
	s_and_saveexec_b64 s[6:7], s[4:5]
	s_cbranch_execnz .LBB59_1031
	s_branch .LBB59_1032
.LBB59_3081:
	s_movk_i32 s4, 0x80
	v_cmp_eq_u16_sdwa s[12:13], v21, s4 src0_sel:BYTE_0 src1_sel:DWORD
	s_mov_b64 s[4:5], -1
                                        ; implicit-def: $sgpr10
	s_and_saveexec_b64 s[8:9], s[12:13]
; %bb.3082:
	s_mov_b32 s10, 0x7f800001
	s_xor_b64 s[4:5], exec, -1
; %bb.3083:
	s_or_b64 exec, exec, s[8:9]
	s_and_b64 s[4:5], s[4:5], exec
	s_or_saveexec_b64 s[6:7], s[6:7]
	v_mov_b32_e32 v20, s10
	s_xor_b64 exec, exec, s[6:7]
	s_cbranch_execz .LBB59_1034
.LBB59_3084:
	v_mov_b32_e32 v20, 0
	v_cmp_ne_u16_sdwa s[8:9], v21, v20 src0_sel:BYTE_0 src1_sel:DWORD
	s_andn2_b64 s[4:5], s[4:5], exec
	s_and_b64 s[8:9], s[8:9], exec
	s_or_b64 s[4:5], s[4:5], s[8:9]
	s_or_b64 exec, exec, s[6:7]
	s_and_saveexec_b64 s[6:7], s[4:5]
	s_cbranch_execnz .LBB59_1035
	s_branch .LBB59_1036
.LBB59_3085:
	s_movk_i32 s4, 0x80
	v_cmp_eq_u16_sdwa s[12:13], v21, s4 src0_sel:BYTE_0 src1_sel:DWORD
	s_mov_b64 s[4:5], -1
                                        ; implicit-def: $sgpr10
	s_and_saveexec_b64 s[8:9], s[12:13]
; %bb.3086:
	s_mov_b32 s10, 0x7f800001
	s_xor_b64 s[4:5], exec, -1
; %bb.3087:
	s_or_b64 exec, exec, s[8:9]
	s_and_b64 s[4:5], s[4:5], exec
	s_or_saveexec_b64 s[6:7], s[6:7]
	v_mov_b32_e32 v22, s10
	s_xor_b64 exec, exec, s[6:7]
	s_cbranch_execz .LBB59_1038
.LBB59_3088:
	v_mov_b32_e32 v22, 0
	v_cmp_ne_u16_sdwa s[8:9], v21, v22 src0_sel:BYTE_0 src1_sel:DWORD
	s_andn2_b64 s[4:5], s[4:5], exec
	s_and_b64 s[8:9], s[8:9], exec
	s_or_b64 s[4:5], s[4:5], s[8:9]
	s_or_b64 exec, exec, s[6:7]
	s_and_saveexec_b64 s[6:7], s[4:5]
	s_cbranch_execnz .LBB59_1039
	s_branch .LBB59_1040
.LBB59_3089:
	s_movk_i32 s4, 0x80
	v_cmp_eq_u16_e32 vcc, s4, v21
	s_mov_b64 s[4:5], -1
                                        ; implicit-def: $sgpr10
	s_and_saveexec_b64 s[8:9], vcc
; %bb.3090:
	s_mov_b32 s10, 0x7f800001
	s_xor_b64 s[4:5], exec, -1
; %bb.3091:
	s_or_b64 exec, exec, s[8:9]
	s_and_b64 s[4:5], s[4:5], exec
                                        ; implicit-def: $vgpr21
	s_or_saveexec_b64 s[6:7], s[6:7]
	v_mov_b32_e32 v20, s10
	s_xor_b64 exec, exec, s[6:7]
	s_cbranch_execz .LBB59_1042
.LBB59_3092:
	v_cmp_ne_u16_e32 vcc, 0, v21
	s_andn2_b64 s[4:5], s[4:5], exec
	s_and_b64 s[8:9], vcc, exec
	v_mov_b32_e32 v20, 0
	s_or_b64 s[4:5], s[4:5], s[8:9]
	s_or_b64 exec, exec, s[6:7]
	s_and_saveexec_b64 s[6:7], s[4:5]
	s_cbranch_execnz .LBB59_1043
	s_branch .LBB59_1044
.LBB59_3093:
	s_movk_i32 s4, 0x80
	v_cmp_eq_u16_e32 vcc, s4, v21
	s_mov_b64 s[4:5], -1
                                        ; implicit-def: $sgpr10
	s_and_saveexec_b64 s[8:9], vcc
; %bb.3094:
	s_mov_b32 s10, 0x7f800001
	s_xor_b64 s[4:5], exec, -1
; %bb.3095:
	s_or_b64 exec, exec, s[8:9]
	s_and_b64 s[4:5], s[4:5], exec
                                        ; implicit-def: $vgpr21
	s_or_saveexec_b64 s[6:7], s[6:7]
	v_mov_b32_e32 v22, s10
	s_xor_b64 exec, exec, s[6:7]
	s_cbranch_execz .LBB59_1046
.LBB59_3096:
	v_cmp_ne_u16_e32 vcc, 0, v21
	s_andn2_b64 s[4:5], s[4:5], exec
	s_and_b64 s[8:9], vcc, exec
	v_mov_b32_e32 v22, 0
	s_or_b64 s[4:5], s[4:5], s[8:9]
	s_or_b64 exec, exec, s[6:7]
	s_and_saveexec_b64 s[6:7], s[4:5]
	s_cbranch_execnz .LBB59_1047
	s_branch .LBB59_1048
.LBB59_3097:
	s_movk_i32 s4, 0x80
	v_cmp_eq_u16_sdwa s[12:13], v14, s4 src0_sel:BYTE_3 src1_sel:DWORD
	s_mov_b64 s[4:5], -1
                                        ; implicit-def: $sgpr10
	s_and_saveexec_b64 s[8:9], s[12:13]
; %bb.3098:
	s_mov_b32 s10, 0x7f800001
	s_xor_b64 s[4:5], exec, -1
; %bb.3099:
	s_or_b64 exec, exec, s[8:9]
	s_and_b64 s[4:5], s[4:5], exec
	s_or_saveexec_b64 s[6:7], s[6:7]
	v_mov_b32_e32 v20, s10
	s_xor_b64 exec, exec, s[6:7]
	s_cbranch_execz .LBB59_1050
.LBB59_3100:
	v_mov_b32_e32 v20, 0
	v_cmp_ne_u16_sdwa s[8:9], v14, v20 src0_sel:BYTE_3 src1_sel:DWORD
	s_andn2_b64 s[4:5], s[4:5], exec
	s_and_b64 s[8:9], s[8:9], exec
	s_or_b64 s[4:5], s[4:5], s[8:9]
	s_or_b64 exec, exec, s[6:7]
	s_and_saveexec_b64 s[6:7], s[4:5]
	s_cbranch_execnz .LBB59_1051
	s_branch .LBB59_1052
.LBB59_3101:
	s_movk_i32 s4, 0x80
	v_cmp_eq_u16_sdwa s[12:13], v10, s4 src0_sel:BYTE_3 src1_sel:DWORD
	s_mov_b64 s[4:5], -1
                                        ; implicit-def: $sgpr10
	s_and_saveexec_b64 s[8:9], s[12:13]
; %bb.3102:
	s_mov_b32 s10, 0x7f800001
	s_xor_b64 s[4:5], exec, -1
; %bb.3103:
	s_or_b64 exec, exec, s[8:9]
	s_and_b64 s[4:5], s[4:5], exec
	s_or_saveexec_b64 s[6:7], s[6:7]
	v_mov_b32_e32 v14, s10
	s_xor_b64 exec, exec, s[6:7]
	s_cbranch_execz .LBB59_1054
.LBB59_3104:
	v_mov_b32_e32 v14, 0
	v_cmp_ne_u16_sdwa s[8:9], v10, v14 src0_sel:BYTE_3 src1_sel:DWORD
	s_andn2_b64 s[4:5], s[4:5], exec
	s_and_b64 s[8:9], s[8:9], exec
	s_or_b64 s[4:5], s[4:5], s[8:9]
	s_or_b64 exec, exec, s[6:7]
	s_and_saveexec_b64 s[6:7], s[4:5]
	s_cbranch_execnz .LBB59_1055
	s_branch .LBB59_1056
.LBB59_3105:
	s_movk_i32 s4, 0x80
	v_cmp_eq_u16_sdwa s[12:13], v15, s4 src0_sel:BYTE_0 src1_sel:DWORD
	s_mov_b64 s[4:5], -1
                                        ; implicit-def: $sgpr10
	s_and_saveexec_b64 s[8:9], s[12:13]
; %bb.3106:
	s_mov_b32 s10, 0x7f800001
	s_xor_b64 s[4:5], exec, -1
; %bb.3107:
	s_or_b64 exec, exec, s[8:9]
	s_and_b64 s[4:5], s[4:5], exec
	s_or_saveexec_b64 s[6:7], s[6:7]
	v_mov_b32_e32 v10, s10
	s_xor_b64 exec, exec, s[6:7]
	s_cbranch_execz .LBB59_1058
.LBB59_3108:
	v_mov_b32_e32 v10, 0
	v_cmp_ne_u16_sdwa s[8:9], v15, v10 src0_sel:BYTE_0 src1_sel:DWORD
	s_andn2_b64 s[4:5], s[4:5], exec
	s_and_b64 s[8:9], s[8:9], exec
	s_or_b64 s[4:5], s[4:5], s[8:9]
	s_or_b64 exec, exec, s[6:7]
	s_and_saveexec_b64 s[6:7], s[4:5]
	s_cbranch_execnz .LBB59_1059
	s_branch .LBB59_1060
.LBB59_3109:
	s_movk_i32 s4, 0x80
	v_cmp_eq_u16_sdwa s[12:13], v11, s4 src0_sel:BYTE_0 src1_sel:DWORD
	s_mov_b64 s[4:5], -1
                                        ; implicit-def: $sgpr10
	s_and_saveexec_b64 s[8:9], s[12:13]
; %bb.3110:
	s_mov_b32 s10, 0x7f800001
	s_xor_b64 s[4:5], exec, -1
; %bb.3111:
	s_or_b64 exec, exec, s[8:9]
	s_and_b64 s[4:5], s[4:5], exec
	s_or_saveexec_b64 s[6:7], s[6:7]
	v_mov_b32_e32 v14, s10
	s_xor_b64 exec, exec, s[6:7]
	s_cbranch_execz .LBB59_1062
.LBB59_3112:
	v_mov_b32_e32 v14, 0
	v_cmp_ne_u16_sdwa s[8:9], v11, v14 src0_sel:BYTE_0 src1_sel:DWORD
	s_andn2_b64 s[4:5], s[4:5], exec
	s_and_b64 s[8:9], s[8:9], exec
	s_or_b64 s[4:5], s[4:5], s[8:9]
	s_or_b64 exec, exec, s[6:7]
	s_and_saveexec_b64 s[6:7], s[4:5]
	s_cbranch_execnz .LBB59_1063
	s_branch .LBB59_1064
.LBB59_3113:
	s_movk_i32 s4, 0x80
	v_cmp_eq_u16_sdwa s[12:13], v14, s4 src0_sel:BYTE_0 src1_sel:DWORD
	s_mov_b64 s[4:5], -1
                                        ; implicit-def: $sgpr10
	s_and_saveexec_b64 s[8:9], s[12:13]
; %bb.3114:
	s_mov_b32 s10, 0x7f800001
	s_xor_b64 s[4:5], exec, -1
; %bb.3115:
	s_or_b64 exec, exec, s[8:9]
	s_and_b64 s[4:5], s[4:5], exec
	s_or_saveexec_b64 s[6:7], s[6:7]
	v_mov_b32_e32 v10, s10
	s_xor_b64 exec, exec, s[6:7]
	s_cbranch_execz .LBB59_1066
.LBB59_3116:
	v_mov_b32_e32 v10, 0
	v_cmp_ne_u16_sdwa s[8:9], v14, v10 src0_sel:BYTE_0 src1_sel:DWORD
	s_andn2_b64 s[4:5], s[4:5], exec
	s_and_b64 s[8:9], s[8:9], exec
	s_or_b64 s[4:5], s[4:5], s[8:9]
	s_or_b64 exec, exec, s[6:7]
	s_and_saveexec_b64 s[6:7], s[4:5]
	s_cbranch_execnz .LBB59_1067
	s_branch .LBB59_1068
.LBB59_3117:
	s_movk_i32 s4, 0x80
	v_cmp_eq_u16_sdwa s[12:13], v14, s4 src0_sel:BYTE_0 src1_sel:DWORD
	s_mov_b64 s[4:5], -1
                                        ; implicit-def: $sgpr10
	s_and_saveexec_b64 s[8:9], s[12:13]
; %bb.3118:
	s_mov_b32 s10, 0x7f800001
	s_xor_b64 s[4:5], exec, -1
; %bb.3119:
	s_or_b64 exec, exec, s[8:9]
	s_and_b64 s[4:5], s[4:5], exec
	s_or_saveexec_b64 s[6:7], s[6:7]
	v_mov_b32_e32 v20, s10
	s_xor_b64 exec, exec, s[6:7]
	s_cbranch_execz .LBB59_1070
.LBB59_3120:
	v_mov_b32_e32 v20, 0
	v_cmp_ne_u16_sdwa s[8:9], v14, v20 src0_sel:BYTE_0 src1_sel:DWORD
	s_andn2_b64 s[4:5], s[4:5], exec
	s_and_b64 s[8:9], s[8:9], exec
	s_or_b64 s[4:5], s[4:5], s[8:9]
	s_or_b64 exec, exec, s[6:7]
	s_and_saveexec_b64 s[6:7], s[4:5]
	s_cbranch_execnz .LBB59_1071
	s_branch .LBB59_1072
.LBB59_3121:
	s_movk_i32 s4, 0x80
	v_cmp_eq_u16_e32 vcc, s4, v14
	s_mov_b64 s[4:5], -1
                                        ; implicit-def: $sgpr10
	s_and_saveexec_b64 s[8:9], vcc
; %bb.3122:
	s_mov_b32 s10, 0x7f800001
	s_xor_b64 s[4:5], exec, -1
; %bb.3123:
	s_or_b64 exec, exec, s[8:9]
	s_and_b64 s[4:5], s[4:5], exec
                                        ; implicit-def: $vgpr14
	s_or_saveexec_b64 s[6:7], s[6:7]
	v_mov_b32_e32 v10, s10
	s_xor_b64 exec, exec, s[6:7]
	s_cbranch_execz .LBB59_1074
.LBB59_3124:
	v_cmp_ne_u16_e32 vcc, 0, v14
	s_andn2_b64 s[4:5], s[4:5], exec
	s_and_b64 s[8:9], vcc, exec
	v_mov_b32_e32 v10, 0
	s_or_b64 s[4:5], s[4:5], s[8:9]
	s_or_b64 exec, exec, s[6:7]
	s_and_saveexec_b64 s[6:7], s[4:5]
	s_cbranch_execnz .LBB59_1075
	s_branch .LBB59_1076
.LBB59_3125:
	s_movk_i32 s4, 0x80
	v_cmp_eq_u16_e32 vcc, s4, v14
	s_mov_b64 s[4:5], -1
                                        ; implicit-def: $sgpr10
	s_and_saveexec_b64 s[8:9], vcc
; %bb.3126:
	s_mov_b32 s10, 0x7f800001
	s_xor_b64 s[4:5], exec, -1
; %bb.3127:
	s_or_b64 exec, exec, s[8:9]
	s_and_b64 s[4:5], s[4:5], exec
                                        ; implicit-def: $vgpr14
	s_or_saveexec_b64 s[6:7], s[6:7]
	v_mov_b32_e32 v20, s10
	s_xor_b64 exec, exec, s[6:7]
	s_cbranch_execz .LBB59_1078
.LBB59_3128:
	v_cmp_ne_u16_e32 vcc, 0, v14
	s_andn2_b64 s[4:5], s[4:5], exec
	s_and_b64 s[8:9], vcc, exec
	v_mov_b32_e32 v20, 0
	s_or_b64 s[4:5], s[4:5], s[8:9]
	s_or_b64 exec, exec, s[6:7]
	s_and_saveexec_b64 s[6:7], s[4:5]
	s_cbranch_execnz .LBB59_1079
	s_branch .LBB59_1080
.LBB59_3129:
	s_movk_i32 s4, 0x80
	v_cmp_eq_u16_sdwa s[12:13], v15, s4 src0_sel:BYTE_3 src1_sel:DWORD
	s_mov_b64 s[4:5], -1
                                        ; implicit-def: $sgpr10
	s_and_saveexec_b64 s[8:9], s[12:13]
; %bb.3130:
	s_mov_b32 s10, 0x7f800001
	s_xor_b64 s[4:5], exec, -1
; %bb.3131:
	s_or_b64 exec, exec, s[8:9]
	s_and_b64 s[4:5], s[4:5], exec
	s_or_saveexec_b64 s[6:7], s[6:7]
	v_mov_b32_e32 v10, s10
	s_xor_b64 exec, exec, s[6:7]
	s_cbranch_execz .LBB59_1082
.LBB59_3132:
	v_mov_b32_e32 v10, 0
	v_cmp_ne_u16_sdwa s[8:9], v15, v10 src0_sel:BYTE_3 src1_sel:DWORD
	s_andn2_b64 s[4:5], s[4:5], exec
	s_and_b64 s[8:9], s[8:9], exec
	s_or_b64 s[4:5], s[4:5], s[8:9]
	s_or_b64 exec, exec, s[6:7]
	s_and_saveexec_b64 s[6:7], s[4:5]
	s_cbranch_execnz .LBB59_1083
	s_branch .LBB59_1084
.LBB59_3133:
	s_movk_i32 s4, 0x80
	v_cmp_eq_u16_sdwa s[12:13], v11, s4 src0_sel:BYTE_3 src1_sel:DWORD
	s_mov_b64 s[4:5], -1
                                        ; implicit-def: $sgpr10
	s_and_saveexec_b64 s[8:9], s[12:13]
; %bb.3134:
	s_mov_b32 s10, 0x7f800001
	s_xor_b64 s[4:5], exec, -1
; %bb.3135:
	s_or_b64 exec, exec, s[8:9]
	s_and_b64 s[4:5], s[4:5], exec
	s_or_saveexec_b64 s[6:7], s[6:7]
	v_mov_b32_e32 v14, s10
	s_xor_b64 exec, exec, s[6:7]
	s_cbranch_execz .LBB59_1086
.LBB59_3136:
	v_mov_b32_e32 v14, 0
	v_cmp_ne_u16_sdwa s[8:9], v11, v14 src0_sel:BYTE_3 src1_sel:DWORD
	s_andn2_b64 s[4:5], s[4:5], exec
	s_and_b64 s[8:9], s[8:9], exec
	s_or_b64 s[4:5], s[4:5], s[8:9]
	s_or_b64 exec, exec, s[6:7]
	s_and_saveexec_b64 s[6:7], s[4:5]
	s_cbranch_execnz .LBB59_1087
	s_branch .LBB59_1088
.LBB59_3137:
	s_movk_i32 s4, 0x80
	v_cmp_eq_u16_sdwa s[12:13], v16, s4 src0_sel:BYTE_0 src1_sel:DWORD
	s_mov_b64 s[4:5], -1
                                        ; implicit-def: $sgpr10
	s_and_saveexec_b64 s[8:9], s[12:13]
; %bb.3138:
	s_mov_b32 s10, 0x7f800001
	s_xor_b64 s[4:5], exec, -1
; %bb.3139:
	s_or_b64 exec, exec, s[8:9]
	s_and_b64 s[4:5], s[4:5], exec
	s_or_saveexec_b64 s[6:7], s[6:7]
	v_mov_b32_e32 v10, s10
	s_xor_b64 exec, exec, s[6:7]
	s_cbranch_execz .LBB59_1090
.LBB59_3140:
	v_mov_b32_e32 v10, 0
	v_cmp_ne_u16_sdwa s[8:9], v16, v10 src0_sel:BYTE_0 src1_sel:DWORD
	s_andn2_b64 s[4:5], s[4:5], exec
	s_and_b64 s[8:9], s[8:9], exec
	s_or_b64 s[4:5], s[4:5], s[8:9]
	s_or_b64 exec, exec, s[6:7]
	s_and_saveexec_b64 s[6:7], s[4:5]
	s_cbranch_execnz .LBB59_1091
	s_branch .LBB59_1092
.LBB59_3141:
	s_movk_i32 s4, 0x80
	v_cmp_eq_u16_sdwa s[12:13], v12, s4 src0_sel:BYTE_0 src1_sel:DWORD
	s_mov_b64 s[4:5], -1
                                        ; implicit-def: $sgpr10
	s_and_saveexec_b64 s[8:9], s[12:13]
; %bb.3142:
	s_mov_b32 s10, 0x7f800001
	s_xor_b64 s[4:5], exec, -1
; %bb.3143:
	s_or_b64 exec, exec, s[8:9]
	s_and_b64 s[4:5], s[4:5], exec
	s_or_saveexec_b64 s[6:7], s[6:7]
	v_mov_b32_e32 v11, s10
	s_xor_b64 exec, exec, s[6:7]
	s_cbranch_execz .LBB59_1094
.LBB59_3144:
	v_mov_b32_e32 v11, 0
	v_cmp_ne_u16_sdwa s[8:9], v12, v11 src0_sel:BYTE_0 src1_sel:DWORD
	s_andn2_b64 s[4:5], s[4:5], exec
	s_and_b64 s[8:9], s[8:9], exec
	s_or_b64 s[4:5], s[4:5], s[8:9]
	s_or_b64 exec, exec, s[6:7]
	s_and_saveexec_b64 s[6:7], s[4:5]
	s_cbranch_execnz .LBB59_1095
	s_branch .LBB59_1096
.LBB59_3145:
	s_movk_i32 s4, 0x80
	v_cmp_eq_u16_sdwa s[12:13], v11, s4 src0_sel:BYTE_0 src1_sel:DWORD
	s_mov_b64 s[4:5], -1
                                        ; implicit-def: $sgpr10
	s_and_saveexec_b64 s[8:9], s[12:13]
; %bb.3146:
	s_mov_b32 s10, 0x7f800001
	s_xor_b64 s[4:5], exec, -1
; %bb.3147:
	s_or_b64 exec, exec, s[8:9]
	s_and_b64 s[4:5], s[4:5], exec
	s_or_saveexec_b64 s[6:7], s[6:7]
	v_mov_b32_e32 v10, s10
	s_xor_b64 exec, exec, s[6:7]
	s_cbranch_execz .LBB59_1098
.LBB59_3148:
	v_mov_b32_e32 v10, 0
	v_cmp_ne_u16_sdwa s[8:9], v11, v10 src0_sel:BYTE_0 src1_sel:DWORD
	s_andn2_b64 s[4:5], s[4:5], exec
	s_and_b64 s[8:9], s[8:9], exec
	s_or_b64 s[4:5], s[4:5], s[8:9]
	s_or_b64 exec, exec, s[6:7]
	s_and_saveexec_b64 s[6:7], s[4:5]
	s_cbranch_execnz .LBB59_1099
	s_branch .LBB59_1100
.LBB59_3149:
	s_movk_i32 s4, 0x80
	v_cmp_eq_u16_sdwa s[12:13], v11, s4 src0_sel:BYTE_0 src1_sel:DWORD
	s_mov_b64 s[4:5], -1
                                        ; implicit-def: $sgpr10
	s_and_saveexec_b64 s[8:9], s[12:13]
; %bb.3150:
	s_mov_b32 s10, 0x7f800001
	s_xor_b64 s[4:5], exec, -1
; %bb.3151:
	s_or_b64 exec, exec, s[8:9]
	s_and_b64 s[4:5], s[4:5], exec
	s_or_saveexec_b64 s[6:7], s[6:7]
	v_mov_b32_e32 v14, s10
	s_xor_b64 exec, exec, s[6:7]
	s_cbranch_execz .LBB59_1102
.LBB59_3152:
	v_mov_b32_e32 v14, 0
	v_cmp_ne_u16_sdwa s[8:9], v11, v14 src0_sel:BYTE_0 src1_sel:DWORD
	s_andn2_b64 s[4:5], s[4:5], exec
	s_and_b64 s[8:9], s[8:9], exec
	s_or_b64 s[4:5], s[4:5], s[8:9]
	s_or_b64 exec, exec, s[6:7]
	s_and_saveexec_b64 s[6:7], s[4:5]
	s_cbranch_execnz .LBB59_1103
	s_branch .LBB59_1104
.LBB59_3153:
	s_movk_i32 s4, 0x80
	v_cmp_eq_u16_e32 vcc, s4, v11
	s_mov_b64 s[4:5], -1
                                        ; implicit-def: $sgpr10
	s_and_saveexec_b64 s[8:9], vcc
; %bb.3154:
	s_mov_b32 s10, 0x7f800001
	s_xor_b64 s[4:5], exec, -1
; %bb.3155:
	s_or_b64 exec, exec, s[8:9]
	s_and_b64 s[4:5], s[4:5], exec
                                        ; implicit-def: $vgpr11
	s_or_saveexec_b64 s[6:7], s[6:7]
	v_mov_b32_e32 v10, s10
	s_xor_b64 exec, exec, s[6:7]
	s_cbranch_execz .LBB59_1106
.LBB59_3156:
	v_cmp_ne_u16_e32 vcc, 0, v11
	s_andn2_b64 s[4:5], s[4:5], exec
	s_and_b64 s[8:9], vcc, exec
	v_mov_b32_e32 v10, 0
	s_or_b64 s[4:5], s[4:5], s[8:9]
	s_or_b64 exec, exec, s[6:7]
	s_and_saveexec_b64 s[6:7], s[4:5]
	s_cbranch_execnz .LBB59_1107
	s_branch .LBB59_1108
.LBB59_3157:
	s_movk_i32 s4, 0x80
	v_cmp_eq_u16_e32 vcc, s4, v11
	s_mov_b64 s[4:5], -1
                                        ; implicit-def: $sgpr10
	s_and_saveexec_b64 s[8:9], vcc
; %bb.3158:
	s_mov_b32 s10, 0x7f800001
	s_xor_b64 s[4:5], exec, -1
; %bb.3159:
	s_or_b64 exec, exec, s[8:9]
	s_and_b64 s[4:5], s[4:5], exec
                                        ; implicit-def: $vgpr11
	s_or_saveexec_b64 s[6:7], s[6:7]
	v_mov_b32_e32 v14, s10
	s_xor_b64 exec, exec, s[6:7]
	s_cbranch_execz .LBB59_1110
.LBB59_3160:
	v_cmp_ne_u16_e32 vcc, 0, v11
	s_andn2_b64 s[4:5], s[4:5], exec
	s_and_b64 s[8:9], vcc, exec
	v_mov_b32_e32 v14, 0
	s_or_b64 s[4:5], s[4:5], s[8:9]
	s_or_b64 exec, exec, s[6:7]
	s_and_saveexec_b64 s[6:7], s[4:5]
	s_cbranch_execnz .LBB59_1111
	s_branch .LBB59_1112
.LBB59_3161:
	s_movk_i32 s4, 0x80
	v_cmp_eq_u16_sdwa s[12:13], v16, s4 src0_sel:BYTE_3 src1_sel:DWORD
	s_mov_b64 s[4:5], -1
                                        ; implicit-def: $sgpr10
	s_and_saveexec_b64 s[8:9], s[12:13]
; %bb.3162:
	s_mov_b32 s10, 0x7f800001
	s_xor_b64 s[4:5], exec, -1
; %bb.3163:
	s_or_b64 exec, exec, s[8:9]
	s_and_b64 s[4:5], s[4:5], exec
	s_or_saveexec_b64 s[6:7], s[6:7]
	v_mov_b32_e32 v10, s10
	s_xor_b64 exec, exec, s[6:7]
	s_cbranch_execz .LBB59_1114
.LBB59_3164:
	v_mov_b32_e32 v10, 0
	v_cmp_ne_u16_sdwa s[8:9], v16, v10 src0_sel:BYTE_3 src1_sel:DWORD
	s_andn2_b64 s[4:5], s[4:5], exec
	s_and_b64 s[8:9], s[8:9], exec
	s_or_b64 s[4:5], s[4:5], s[8:9]
	s_or_b64 exec, exec, s[6:7]
	s_and_saveexec_b64 s[6:7], s[4:5]
	s_cbranch_execnz .LBB59_1115
	s_branch .LBB59_1116
.LBB59_3165:
	s_movk_i32 s4, 0x80
	v_cmp_eq_u16_sdwa s[12:13], v12, s4 src0_sel:BYTE_3 src1_sel:DWORD
	s_mov_b64 s[4:5], -1
                                        ; implicit-def: $sgpr10
	s_and_saveexec_b64 s[8:9], s[12:13]
; %bb.3166:
	s_mov_b32 s10, 0x7f800001
	s_xor_b64 s[4:5], exec, -1
; %bb.3167:
	s_or_b64 exec, exec, s[8:9]
	s_and_b64 s[4:5], s[4:5], exec
	s_or_saveexec_b64 s[6:7], s[6:7]
	v_mov_b32_e32 v11, s10
	s_xor_b64 exec, exec, s[6:7]
	s_cbranch_execz .LBB59_1118
.LBB59_3168:
	v_mov_b32_e32 v11, 0
	v_cmp_ne_u16_sdwa s[8:9], v12, v11 src0_sel:BYTE_3 src1_sel:DWORD
	s_andn2_b64 s[4:5], s[4:5], exec
	s_and_b64 s[8:9], s[8:9], exec
	s_or_b64 s[4:5], s[4:5], s[8:9]
	s_or_b64 exec, exec, s[6:7]
	s_and_saveexec_b64 s[6:7], s[4:5]
	s_cbranch_execnz .LBB59_1119
	s_branch .LBB59_1120
.LBB59_3169:
	s_movk_i32 s4, 0x80
	v_cmp_eq_u16_sdwa s[12:13], v17, s4 src0_sel:BYTE_0 src1_sel:DWORD
	s_mov_b64 s[4:5], -1
                                        ; implicit-def: $sgpr10
	s_and_saveexec_b64 s[8:9], s[12:13]
; %bb.3170:
	s_mov_b32 s10, 0x7f800001
	s_xor_b64 s[4:5], exec, -1
; %bb.3171:
	s_or_b64 exec, exec, s[8:9]
	s_and_b64 s[4:5], s[4:5], exec
	s_or_saveexec_b64 s[6:7], s[6:7]
	v_mov_b32_e32 v10, s10
	s_xor_b64 exec, exec, s[6:7]
	s_cbranch_execz .LBB59_1122
.LBB59_3172:
	v_mov_b32_e32 v10, 0
	v_cmp_ne_u16_sdwa s[8:9], v17, v10 src0_sel:BYTE_0 src1_sel:DWORD
	s_andn2_b64 s[4:5], s[4:5], exec
	s_and_b64 s[8:9], s[8:9], exec
	s_or_b64 s[4:5], s[4:5], s[8:9]
	s_or_b64 exec, exec, s[6:7]
	s_and_saveexec_b64 s[6:7], s[4:5]
	s_cbranch_execnz .LBB59_1123
	s_branch .LBB59_1124
.LBB59_3173:
	s_movk_i32 s4, 0x80
	v_cmp_eq_u16_sdwa s[12:13], v13, s4 src0_sel:BYTE_0 src1_sel:DWORD
	s_mov_b64 s[4:5], -1
                                        ; implicit-def: $sgpr10
	s_and_saveexec_b64 s[8:9], s[12:13]
; %bb.3174:
	s_mov_b32 s10, 0x7f800001
	s_xor_b64 s[4:5], exec, -1
; %bb.3175:
	s_or_b64 exec, exec, s[8:9]
	s_and_b64 s[4:5], s[4:5], exec
	s_or_saveexec_b64 s[6:7], s[6:7]
	v_mov_b32_e32 v11, s10
	s_xor_b64 exec, exec, s[6:7]
	s_cbranch_execz .LBB59_1126
.LBB59_3176:
	v_mov_b32_e32 v11, 0
	v_cmp_ne_u16_sdwa s[8:9], v13, v11 src0_sel:BYTE_0 src1_sel:DWORD
	s_andn2_b64 s[4:5], s[4:5], exec
	s_and_b64 s[8:9], s[8:9], exec
	s_or_b64 s[4:5], s[4:5], s[8:9]
	s_or_b64 exec, exec, s[6:7]
	s_and_saveexec_b64 s[6:7], s[4:5]
	s_cbranch_execnz .LBB59_1127
	s_branch .LBB59_1128
.LBB59_3177:
	s_movk_i32 s4, 0x80
	v_cmp_eq_u16_sdwa s[12:13], v11, s4 src0_sel:BYTE_0 src1_sel:DWORD
	s_mov_b64 s[4:5], -1
                                        ; implicit-def: $sgpr10
	s_and_saveexec_b64 s[8:9], s[12:13]
; %bb.3178:
	s_mov_b32 s10, 0x7f800001
	s_xor_b64 s[4:5], exec, -1
; %bb.3179:
	s_or_b64 exec, exec, s[8:9]
	s_and_b64 s[4:5], s[4:5], exec
	s_or_saveexec_b64 s[6:7], s[6:7]
	v_mov_b32_e32 v10, s10
	s_xor_b64 exec, exec, s[6:7]
	s_cbranch_execz .LBB59_1130
.LBB59_3180:
	v_mov_b32_e32 v10, 0
	v_cmp_ne_u16_sdwa s[8:9], v11, v10 src0_sel:BYTE_0 src1_sel:DWORD
	s_andn2_b64 s[4:5], s[4:5], exec
	s_and_b64 s[8:9], s[8:9], exec
	s_or_b64 s[4:5], s[4:5], s[8:9]
	s_or_b64 exec, exec, s[6:7]
	s_and_saveexec_b64 s[6:7], s[4:5]
	s_cbranch_execnz .LBB59_1131
	s_branch .LBB59_1132
.LBB59_3181:
	s_movk_i32 s4, 0x80
	v_cmp_eq_u16_sdwa s[12:13], v11, s4 src0_sel:BYTE_0 src1_sel:DWORD
	s_mov_b64 s[4:5], -1
                                        ; implicit-def: $sgpr10
	s_and_saveexec_b64 s[8:9], s[12:13]
; %bb.3182:
	s_mov_b32 s10, 0x7f800001
	s_xor_b64 s[4:5], exec, -1
; %bb.3183:
	s_or_b64 exec, exec, s[8:9]
	s_and_b64 s[4:5], s[4:5], exec
	s_or_saveexec_b64 s[6:7], s[6:7]
	v_mov_b32_e32 v12, s10
	s_xor_b64 exec, exec, s[6:7]
	s_cbranch_execz .LBB59_1134
.LBB59_3184:
	v_mov_b32_e32 v12, 0
	v_cmp_ne_u16_sdwa s[8:9], v11, v12 src0_sel:BYTE_0 src1_sel:DWORD
	s_andn2_b64 s[4:5], s[4:5], exec
	s_and_b64 s[8:9], s[8:9], exec
	s_or_b64 s[4:5], s[4:5], s[8:9]
	s_or_b64 exec, exec, s[6:7]
	s_and_saveexec_b64 s[6:7], s[4:5]
	s_cbranch_execnz .LBB59_1135
	s_branch .LBB59_1136
.LBB59_3185:
	s_movk_i32 s4, 0x80
	v_cmp_eq_u16_e32 vcc, s4, v11
	s_mov_b64 s[4:5], -1
                                        ; implicit-def: $sgpr10
	s_and_saveexec_b64 s[8:9], vcc
; %bb.3186:
	s_mov_b32 s10, 0x7f800001
	s_xor_b64 s[4:5], exec, -1
; %bb.3187:
	s_or_b64 exec, exec, s[8:9]
	s_and_b64 s[4:5], s[4:5], exec
                                        ; implicit-def: $vgpr11
	s_or_saveexec_b64 s[6:7], s[6:7]
	v_mov_b32_e32 v10, s10
	s_xor_b64 exec, exec, s[6:7]
	s_cbranch_execz .LBB59_1138
.LBB59_3188:
	v_cmp_ne_u16_e32 vcc, 0, v11
	s_andn2_b64 s[4:5], s[4:5], exec
	s_and_b64 s[8:9], vcc, exec
	v_mov_b32_e32 v10, 0
	s_or_b64 s[4:5], s[4:5], s[8:9]
	s_or_b64 exec, exec, s[6:7]
	s_and_saveexec_b64 s[6:7], s[4:5]
	s_cbranch_execnz .LBB59_1139
	s_branch .LBB59_1140
.LBB59_3189:
	s_movk_i32 s4, 0x80
	v_cmp_eq_u16_e32 vcc, s4, v11
	s_mov_b64 s[4:5], -1
                                        ; implicit-def: $sgpr10
	s_and_saveexec_b64 s[8:9], vcc
; %bb.3190:
	s_mov_b32 s10, 0x7f800001
	s_xor_b64 s[4:5], exec, -1
; %bb.3191:
	s_or_b64 exec, exec, s[8:9]
	s_and_b64 s[4:5], s[4:5], exec
                                        ; implicit-def: $vgpr11
	s_or_saveexec_b64 s[6:7], s[6:7]
	v_mov_b32_e32 v12, s10
	s_xor_b64 exec, exec, s[6:7]
	s_cbranch_execz .LBB59_1142
.LBB59_3192:
	v_cmp_ne_u16_e32 vcc, 0, v11
	s_andn2_b64 s[4:5], s[4:5], exec
	s_and_b64 s[8:9], vcc, exec
	v_mov_b32_e32 v12, 0
	s_or_b64 s[4:5], s[4:5], s[8:9]
	s_or_b64 exec, exec, s[6:7]
	s_and_saveexec_b64 s[6:7], s[4:5]
	s_cbranch_execnz .LBB59_1143
	s_branch .LBB59_1144
.LBB59_3193:
	s_movk_i32 s4, 0x80
	v_cmp_eq_u16_sdwa s[12:13], v17, s4 src0_sel:BYTE_3 src1_sel:DWORD
	s_mov_b64 s[4:5], -1
                                        ; implicit-def: $sgpr10
	s_and_saveexec_b64 s[8:9], s[12:13]
; %bb.3194:
	s_mov_b32 s10, 0x7f800001
	s_xor_b64 s[4:5], exec, -1
; %bb.3195:
	s_or_b64 exec, exec, s[8:9]
	s_and_b64 s[4:5], s[4:5], exec
	s_or_saveexec_b64 s[6:7], s[6:7]
	v_mov_b32_e32 v10, s10
	s_xor_b64 exec, exec, s[6:7]
	s_cbranch_execz .LBB59_1146
.LBB59_3196:
	v_mov_b32_e32 v10, 0
	v_cmp_ne_u16_sdwa s[8:9], v17, v10 src0_sel:BYTE_3 src1_sel:DWORD
	s_andn2_b64 s[4:5], s[4:5], exec
	s_and_b64 s[8:9], s[8:9], exec
	s_or_b64 s[4:5], s[4:5], s[8:9]
	s_or_b64 exec, exec, s[6:7]
	s_and_saveexec_b64 s[6:7], s[4:5]
	s_cbranch_execnz .LBB59_1147
	s_branch .LBB59_1148
.LBB59_3197:
	s_movk_i32 s4, 0x80
	v_cmp_eq_u16_sdwa s[12:13], v13, s4 src0_sel:BYTE_3 src1_sel:DWORD
	s_mov_b64 s[4:5], -1
                                        ; implicit-def: $sgpr10
	s_and_saveexec_b64 s[8:9], s[12:13]
; %bb.3198:
	s_mov_b32 s10, 0x7f800001
	s_xor_b64 s[4:5], exec, -1
; %bb.3199:
	s_or_b64 exec, exec, s[8:9]
	s_and_b64 s[4:5], s[4:5], exec
	s_or_saveexec_b64 s[6:7], s[6:7]
	v_mov_b32_e32 v11, s10
	s_xor_b64 exec, exec, s[6:7]
	s_cbranch_execz .LBB59_1150
.LBB59_3200:
	v_mov_b32_e32 v11, 0
	v_cmp_ne_u16_sdwa s[8:9], v13, v11 src0_sel:BYTE_3 src1_sel:DWORD
	s_andn2_b64 s[4:5], s[4:5], exec
	s_and_b64 s[8:9], s[8:9], exec
	s_or_b64 s[4:5], s[4:5], s[8:9]
	s_or_b64 exec, exec, s[6:7]
	s_and_saveexec_b64 s[6:7], s[4:5]
	s_cbranch_execnz .LBB59_1151
	s_branch .LBB59_1152
.LBB59_3201:
	s_movk_i32 s4, 0x80
	v_cmp_eq_u16_sdwa s[12:13], v6, s4 src0_sel:BYTE_0 src1_sel:DWORD
	s_mov_b64 s[4:5], -1
                                        ; implicit-def: $sgpr10
	s_and_saveexec_b64 s[8:9], s[12:13]
; %bb.3202:
	s_mov_b32 s10, 0x7f800001
	s_xor_b64 s[4:5], exec, -1
; %bb.3203:
	s_or_b64 exec, exec, s[8:9]
	s_and_b64 s[4:5], s[4:5], exec
	s_or_saveexec_b64 s[6:7], s[6:7]
	v_mov_b32_e32 v10, s10
	s_xor_b64 exec, exec, s[6:7]
	s_cbranch_execz .LBB59_1154
.LBB59_3204:
	v_mov_b32_e32 v10, 0
	v_cmp_ne_u16_sdwa s[8:9], v6, v10 src0_sel:BYTE_0 src1_sel:DWORD
	s_andn2_b64 s[4:5], s[4:5], exec
	s_and_b64 s[8:9], s[8:9], exec
	s_or_b64 s[4:5], s[4:5], s[8:9]
	s_or_b64 exec, exec, s[6:7]
	s_and_saveexec_b64 s[6:7], s[4:5]
	s_cbranch_execnz .LBB59_1155
	s_branch .LBB59_1156
.LBB59_3205:
	s_movk_i32 s4, 0x80
	v_cmp_eq_u16_sdwa s[12:13], v2, s4 src0_sel:BYTE_0 src1_sel:DWORD
	s_mov_b64 s[4:5], -1
                                        ; implicit-def: $sgpr10
	s_and_saveexec_b64 s[8:9], s[12:13]
; %bb.3206:
	s_mov_b32 s10, 0x7f800001
	s_xor_b64 s[4:5], exec, -1
; %bb.3207:
	s_or_b64 exec, exec, s[8:9]
	s_and_b64 s[4:5], s[4:5], exec
	s_or_saveexec_b64 s[6:7], s[6:7]
	v_mov_b32_e32 v11, s10
	s_xor_b64 exec, exec, s[6:7]
	s_cbranch_execz .LBB59_1158
.LBB59_3208:
	v_mov_b32_e32 v11, 0
	v_cmp_ne_u16_sdwa s[8:9], v2, v11 src0_sel:BYTE_0 src1_sel:DWORD
	s_andn2_b64 s[4:5], s[4:5], exec
	s_and_b64 s[8:9], s[8:9], exec
	s_or_b64 s[4:5], s[4:5], s[8:9]
	s_or_b64 exec, exec, s[6:7]
	s_and_saveexec_b64 s[6:7], s[4:5]
	s_cbranch_execnz .LBB59_1159
	s_branch .LBB59_1160
.LBB59_3209:
	s_movk_i32 s4, 0x80
	v_cmp_eq_u16_sdwa s[12:13], v11, s4 src0_sel:BYTE_0 src1_sel:DWORD
	s_mov_b64 s[4:5], -1
                                        ; implicit-def: $sgpr10
	s_and_saveexec_b64 s[8:9], s[12:13]
; %bb.3210:
	s_mov_b32 s10, 0x7f800001
	s_xor_b64 s[4:5], exec, -1
; %bb.3211:
	s_or_b64 exec, exec, s[8:9]
	s_and_b64 s[4:5], s[4:5], exec
	s_or_saveexec_b64 s[6:7], s[6:7]
	v_mov_b32_e32 v10, s10
	s_xor_b64 exec, exec, s[6:7]
	s_cbranch_execz .LBB59_1162
.LBB59_3212:
	v_mov_b32_e32 v10, 0
	v_cmp_ne_u16_sdwa s[8:9], v11, v10 src0_sel:BYTE_0 src1_sel:DWORD
	s_andn2_b64 s[4:5], s[4:5], exec
	s_and_b64 s[8:9], s[8:9], exec
	s_or_b64 s[4:5], s[4:5], s[8:9]
	s_or_b64 exec, exec, s[6:7]
	s_and_saveexec_b64 s[6:7], s[4:5]
	s_cbranch_execnz .LBB59_1163
	s_branch .LBB59_1164
.LBB59_3213:
	s_movk_i32 s4, 0x80
	v_cmp_eq_u16_sdwa s[12:13], v11, s4 src0_sel:BYTE_0 src1_sel:DWORD
	s_mov_b64 s[4:5], -1
                                        ; implicit-def: $sgpr10
	s_and_saveexec_b64 s[8:9], s[12:13]
; %bb.3214:
	s_mov_b32 s10, 0x7f800001
	s_xor_b64 s[4:5], exec, -1
; %bb.3215:
	s_or_b64 exec, exec, s[8:9]
	s_and_b64 s[4:5], s[4:5], exec
	s_or_saveexec_b64 s[6:7], s[6:7]
	v_mov_b32_e32 v12, s10
	s_xor_b64 exec, exec, s[6:7]
	s_cbranch_execz .LBB59_1166
.LBB59_3216:
	v_mov_b32_e32 v12, 0
	v_cmp_ne_u16_sdwa s[8:9], v11, v12 src0_sel:BYTE_0 src1_sel:DWORD
	s_andn2_b64 s[4:5], s[4:5], exec
	s_and_b64 s[8:9], s[8:9], exec
	s_or_b64 s[4:5], s[4:5], s[8:9]
	s_or_b64 exec, exec, s[6:7]
	s_and_saveexec_b64 s[6:7], s[4:5]
	s_cbranch_execnz .LBB59_1167
	s_branch .LBB59_1168
.LBB59_3217:
	s_movk_i32 s4, 0x80
	v_cmp_eq_u16_e32 vcc, s4, v11
	s_mov_b64 s[4:5], -1
                                        ; implicit-def: $sgpr10
	s_and_saveexec_b64 s[8:9], vcc
; %bb.3218:
	s_mov_b32 s10, 0x7f800001
	s_xor_b64 s[4:5], exec, -1
; %bb.3219:
	s_or_b64 exec, exec, s[8:9]
	s_and_b64 s[4:5], s[4:5], exec
                                        ; implicit-def: $vgpr11
	s_or_saveexec_b64 s[6:7], s[6:7]
	v_mov_b32_e32 v10, s10
	s_xor_b64 exec, exec, s[6:7]
	s_cbranch_execz .LBB59_1170
.LBB59_3220:
	v_cmp_ne_u16_e32 vcc, 0, v11
	s_andn2_b64 s[4:5], s[4:5], exec
	s_and_b64 s[8:9], vcc, exec
	v_mov_b32_e32 v10, 0
	s_or_b64 s[4:5], s[4:5], s[8:9]
	s_or_b64 exec, exec, s[6:7]
	s_and_saveexec_b64 s[6:7], s[4:5]
	s_cbranch_execnz .LBB59_1171
	s_branch .LBB59_1172
.LBB59_3221:
	s_movk_i32 s4, 0x80
	v_cmp_eq_u16_e32 vcc, s4, v11
	s_mov_b64 s[4:5], -1
                                        ; implicit-def: $sgpr10
	s_and_saveexec_b64 s[8:9], vcc
; %bb.3222:
	s_mov_b32 s10, 0x7f800001
	s_xor_b64 s[4:5], exec, -1
; %bb.3223:
	s_or_b64 exec, exec, s[8:9]
	s_and_b64 s[4:5], s[4:5], exec
                                        ; implicit-def: $vgpr11
	s_or_saveexec_b64 s[6:7], s[6:7]
	v_mov_b32_e32 v12, s10
	s_xor_b64 exec, exec, s[6:7]
	s_cbranch_execz .LBB59_1174
.LBB59_3224:
	v_cmp_ne_u16_e32 vcc, 0, v11
	s_andn2_b64 s[4:5], s[4:5], exec
	s_and_b64 s[8:9], vcc, exec
	v_mov_b32_e32 v12, 0
	s_or_b64 s[4:5], s[4:5], s[8:9]
	s_or_b64 exec, exec, s[6:7]
	s_and_saveexec_b64 s[6:7], s[4:5]
	s_cbranch_execnz .LBB59_1175
	s_branch .LBB59_1176
.LBB59_3225:
	s_movk_i32 s4, 0x80
	v_cmp_eq_u16_sdwa s[12:13], v6, s4 src0_sel:BYTE_3 src1_sel:DWORD
	s_mov_b64 s[4:5], -1
                                        ; implicit-def: $sgpr10
	s_and_saveexec_b64 s[8:9], s[12:13]
; %bb.3226:
	s_mov_b32 s10, 0x7f800001
	s_xor_b64 s[4:5], exec, -1
; %bb.3227:
	s_or_b64 exec, exec, s[8:9]
	s_and_b64 s[4:5], s[4:5], exec
	s_or_saveexec_b64 s[6:7], s[6:7]
	v_mov_b32_e32 v10, s10
	s_xor_b64 exec, exec, s[6:7]
	s_cbranch_execz .LBB59_1178
.LBB59_3228:
	v_mov_b32_e32 v10, 0
	v_cmp_ne_u16_sdwa s[8:9], v6, v10 src0_sel:BYTE_3 src1_sel:DWORD
	s_andn2_b64 s[4:5], s[4:5], exec
	s_and_b64 s[8:9], s[8:9], exec
	s_or_b64 s[4:5], s[4:5], s[8:9]
	s_or_b64 exec, exec, s[6:7]
	s_and_saveexec_b64 s[6:7], s[4:5]
	s_cbranch_execnz .LBB59_1179
	s_branch .LBB59_1180
.LBB59_3229:
	s_movk_i32 s4, 0x80
	v_cmp_eq_u16_sdwa s[12:13], v2, s4 src0_sel:BYTE_3 src1_sel:DWORD
	s_mov_b64 s[4:5], -1
                                        ; implicit-def: $sgpr10
	s_and_saveexec_b64 s[8:9], s[12:13]
; %bb.3230:
	s_mov_b32 s10, 0x7f800001
	s_xor_b64 s[4:5], exec, -1
; %bb.3231:
	s_or_b64 exec, exec, s[8:9]
	s_and_b64 s[4:5], s[4:5], exec
	s_or_saveexec_b64 s[6:7], s[6:7]
	v_mov_b32_e32 v6, s10
	s_xor_b64 exec, exec, s[6:7]
	s_cbranch_execz .LBB59_1182
.LBB59_3232:
	v_mov_b32_e32 v6, 0
	v_cmp_ne_u16_sdwa s[8:9], v2, v6 src0_sel:BYTE_3 src1_sel:DWORD
	s_andn2_b64 s[4:5], s[4:5], exec
	s_and_b64 s[8:9], s[8:9], exec
	s_or_b64 s[4:5], s[4:5], s[8:9]
	s_or_b64 exec, exec, s[6:7]
	s_and_saveexec_b64 s[6:7], s[4:5]
	s_cbranch_execnz .LBB59_1183
	s_branch .LBB59_1184
.LBB59_3233:
	s_movk_i32 s4, 0x80
	v_cmp_eq_u16_sdwa s[12:13], v7, s4 src0_sel:BYTE_0 src1_sel:DWORD
	s_mov_b64 s[4:5], -1
                                        ; implicit-def: $sgpr10
	s_and_saveexec_b64 s[8:9], s[12:13]
; %bb.3234:
	s_mov_b32 s10, 0x7f800001
	s_xor_b64 s[4:5], exec, -1
; %bb.3235:
	s_or_b64 exec, exec, s[8:9]
	s_and_b64 s[4:5], s[4:5], exec
	s_or_saveexec_b64 s[6:7], s[6:7]
	v_mov_b32_e32 v2, s10
	s_xor_b64 exec, exec, s[6:7]
	s_cbranch_execz .LBB59_1186
.LBB59_3236:
	v_mov_b32_e32 v2, 0
	v_cmp_ne_u16_sdwa s[8:9], v7, v2 src0_sel:BYTE_0 src1_sel:DWORD
	s_andn2_b64 s[4:5], s[4:5], exec
	s_and_b64 s[8:9], s[8:9], exec
	s_or_b64 s[4:5], s[4:5], s[8:9]
	s_or_b64 exec, exec, s[6:7]
	s_and_saveexec_b64 s[6:7], s[4:5]
	s_cbranch_execnz .LBB59_1187
	s_branch .LBB59_1188
.LBB59_3237:
	s_movk_i32 s4, 0x80
	v_cmp_eq_u16_sdwa s[12:13], v3, s4 src0_sel:BYTE_0 src1_sel:DWORD
	s_mov_b64 s[4:5], -1
                                        ; implicit-def: $sgpr10
	s_and_saveexec_b64 s[8:9], s[12:13]
; %bb.3238:
	s_mov_b32 s10, 0x7f800001
	s_xor_b64 s[4:5], exec, -1
; %bb.3239:
	s_or_b64 exec, exec, s[8:9]
	s_and_b64 s[4:5], s[4:5], exec
	s_or_saveexec_b64 s[6:7], s[6:7]
	v_mov_b32_e32 v6, s10
	s_xor_b64 exec, exec, s[6:7]
	s_cbranch_execz .LBB59_1190
.LBB59_3240:
	v_mov_b32_e32 v6, 0
	v_cmp_ne_u16_sdwa s[8:9], v3, v6 src0_sel:BYTE_0 src1_sel:DWORD
	s_andn2_b64 s[4:5], s[4:5], exec
	s_and_b64 s[8:9], s[8:9], exec
	s_or_b64 s[4:5], s[4:5], s[8:9]
	s_or_b64 exec, exec, s[6:7]
	s_and_saveexec_b64 s[6:7], s[4:5]
	s_cbranch_execnz .LBB59_1191
	s_branch .LBB59_1192
.LBB59_3241:
	s_movk_i32 s4, 0x80
	v_cmp_eq_u16_sdwa s[12:13], v6, s4 src0_sel:BYTE_0 src1_sel:DWORD
	s_mov_b64 s[4:5], -1
                                        ; implicit-def: $sgpr10
	s_and_saveexec_b64 s[8:9], s[12:13]
; %bb.3242:
	s_mov_b32 s10, 0x7f800001
	s_xor_b64 s[4:5], exec, -1
; %bb.3243:
	s_or_b64 exec, exec, s[8:9]
	s_and_b64 s[4:5], s[4:5], exec
	s_or_saveexec_b64 s[6:7], s[6:7]
	v_mov_b32_e32 v2, s10
	s_xor_b64 exec, exec, s[6:7]
	s_cbranch_execz .LBB59_1194
.LBB59_3244:
	v_mov_b32_e32 v2, 0
	v_cmp_ne_u16_sdwa s[8:9], v6, v2 src0_sel:BYTE_0 src1_sel:DWORD
	s_andn2_b64 s[4:5], s[4:5], exec
	s_and_b64 s[8:9], s[8:9], exec
	s_or_b64 s[4:5], s[4:5], s[8:9]
	s_or_b64 exec, exec, s[6:7]
	s_and_saveexec_b64 s[6:7], s[4:5]
	s_cbranch_execnz .LBB59_1195
	s_branch .LBB59_1196
.LBB59_3245:
	s_movk_i32 s4, 0x80
	v_cmp_eq_u16_sdwa s[12:13], v6, s4 src0_sel:BYTE_0 src1_sel:DWORD
	s_mov_b64 s[4:5], -1
                                        ; implicit-def: $sgpr10
	s_and_saveexec_b64 s[8:9], s[12:13]
; %bb.3246:
	s_mov_b32 s10, 0x7f800001
	s_xor_b64 s[4:5], exec, -1
; %bb.3247:
	s_or_b64 exec, exec, s[8:9]
	s_and_b64 s[4:5], s[4:5], exec
	s_or_saveexec_b64 s[6:7], s[6:7]
	v_mov_b32_e32 v10, s10
	s_xor_b64 exec, exec, s[6:7]
	s_cbranch_execz .LBB59_1198
.LBB59_3248:
	v_mov_b32_e32 v10, 0
	v_cmp_ne_u16_sdwa s[8:9], v6, v10 src0_sel:BYTE_0 src1_sel:DWORD
	s_andn2_b64 s[4:5], s[4:5], exec
	s_and_b64 s[8:9], s[8:9], exec
	s_or_b64 s[4:5], s[4:5], s[8:9]
	s_or_b64 exec, exec, s[6:7]
	s_and_saveexec_b64 s[6:7], s[4:5]
	s_cbranch_execnz .LBB59_1199
	s_branch .LBB59_1200
.LBB59_3249:
	s_movk_i32 s4, 0x80
	v_cmp_eq_u16_e32 vcc, s4, v6
	s_mov_b64 s[4:5], -1
                                        ; implicit-def: $sgpr10
	s_and_saveexec_b64 s[8:9], vcc
; %bb.3250:
	s_mov_b32 s10, 0x7f800001
	s_xor_b64 s[4:5], exec, -1
; %bb.3251:
	s_or_b64 exec, exec, s[8:9]
	s_and_b64 s[4:5], s[4:5], exec
                                        ; implicit-def: $vgpr6
	s_or_saveexec_b64 s[6:7], s[6:7]
	v_mov_b32_e32 v2, s10
	s_xor_b64 exec, exec, s[6:7]
	s_cbranch_execz .LBB59_1202
.LBB59_3252:
	v_cmp_ne_u16_e32 vcc, 0, v6
	s_andn2_b64 s[4:5], s[4:5], exec
	s_and_b64 s[8:9], vcc, exec
	v_mov_b32_e32 v2, 0
	s_or_b64 s[4:5], s[4:5], s[8:9]
	s_or_b64 exec, exec, s[6:7]
	s_and_saveexec_b64 s[6:7], s[4:5]
	s_cbranch_execnz .LBB59_1203
	s_branch .LBB59_1204
.LBB59_3253:
	s_movk_i32 s4, 0x80
	v_cmp_eq_u16_e32 vcc, s4, v6
	s_mov_b64 s[4:5], -1
                                        ; implicit-def: $sgpr10
	s_and_saveexec_b64 s[8:9], vcc
; %bb.3254:
	s_mov_b32 s10, 0x7f800001
	s_xor_b64 s[4:5], exec, -1
; %bb.3255:
	s_or_b64 exec, exec, s[8:9]
	s_and_b64 s[4:5], s[4:5], exec
                                        ; implicit-def: $vgpr6
	s_or_saveexec_b64 s[6:7], s[6:7]
	v_mov_b32_e32 v10, s10
	s_xor_b64 exec, exec, s[6:7]
	s_cbranch_execz .LBB59_1206
.LBB59_3256:
	v_cmp_ne_u16_e32 vcc, 0, v6
	s_andn2_b64 s[4:5], s[4:5], exec
	s_and_b64 s[8:9], vcc, exec
	v_mov_b32_e32 v10, 0
	s_or_b64 s[4:5], s[4:5], s[8:9]
	s_or_b64 exec, exec, s[6:7]
	s_and_saveexec_b64 s[6:7], s[4:5]
	s_cbranch_execnz .LBB59_1207
	s_branch .LBB59_1208
.LBB59_3257:
	s_movk_i32 s4, 0x80
	v_cmp_eq_u16_sdwa s[12:13], v7, s4 src0_sel:BYTE_3 src1_sel:DWORD
	s_mov_b64 s[4:5], -1
                                        ; implicit-def: $sgpr10
	s_and_saveexec_b64 s[8:9], s[12:13]
; %bb.3258:
	s_mov_b32 s10, 0x7f800001
	s_xor_b64 s[4:5], exec, -1
; %bb.3259:
	s_or_b64 exec, exec, s[8:9]
	s_and_b64 s[4:5], s[4:5], exec
	s_or_saveexec_b64 s[6:7], s[6:7]
	v_mov_b32_e32 v2, s10
	s_xor_b64 exec, exec, s[6:7]
	s_cbranch_execz .LBB59_1210
.LBB59_3260:
	v_mov_b32_e32 v2, 0
	v_cmp_ne_u16_sdwa s[8:9], v7, v2 src0_sel:BYTE_3 src1_sel:DWORD
	s_andn2_b64 s[4:5], s[4:5], exec
	s_and_b64 s[8:9], s[8:9], exec
	s_or_b64 s[4:5], s[4:5], s[8:9]
	s_or_b64 exec, exec, s[6:7]
	s_and_saveexec_b64 s[6:7], s[4:5]
	s_cbranch_execnz .LBB59_1211
	s_branch .LBB59_1212
.LBB59_3261:
	s_movk_i32 s4, 0x80
	v_cmp_eq_u16_sdwa s[12:13], v3, s4 src0_sel:BYTE_3 src1_sel:DWORD
	s_mov_b64 s[4:5], -1
                                        ; implicit-def: $sgpr10
	s_and_saveexec_b64 s[8:9], s[12:13]
; %bb.3262:
	s_mov_b32 s10, 0x7f800001
	s_xor_b64 s[4:5], exec, -1
; %bb.3263:
	s_or_b64 exec, exec, s[8:9]
	s_and_b64 s[4:5], s[4:5], exec
	s_or_saveexec_b64 s[6:7], s[6:7]
	v_mov_b32_e32 v6, s10
	s_xor_b64 exec, exec, s[6:7]
	s_cbranch_execz .LBB59_1214
.LBB59_3264:
	v_mov_b32_e32 v6, 0
	v_cmp_ne_u16_sdwa s[8:9], v3, v6 src0_sel:BYTE_3 src1_sel:DWORD
	s_andn2_b64 s[4:5], s[4:5], exec
	s_and_b64 s[8:9], s[8:9], exec
	s_or_b64 s[4:5], s[4:5], s[8:9]
	s_or_b64 exec, exec, s[6:7]
	s_and_saveexec_b64 s[6:7], s[4:5]
	s_cbranch_execnz .LBB59_1215
	s_branch .LBB59_1216
.LBB59_3265:
	s_movk_i32 s4, 0x80
	v_cmp_eq_u16_sdwa s[12:13], v8, s4 src0_sel:BYTE_0 src1_sel:DWORD
	s_mov_b64 s[4:5], -1
                                        ; implicit-def: $sgpr10
	s_and_saveexec_b64 s[8:9], s[12:13]
; %bb.3266:
	s_mov_b32 s10, 0x7f800001
	s_xor_b64 s[4:5], exec, -1
; %bb.3267:
	s_or_b64 exec, exec, s[8:9]
	s_and_b64 s[4:5], s[4:5], exec
	s_or_saveexec_b64 s[6:7], s[6:7]
	v_mov_b32_e32 v2, s10
	s_xor_b64 exec, exec, s[6:7]
	s_cbranch_execz .LBB59_1218
.LBB59_3268:
	v_mov_b32_e32 v2, 0
	v_cmp_ne_u16_sdwa s[8:9], v8, v2 src0_sel:BYTE_0 src1_sel:DWORD
	s_andn2_b64 s[4:5], s[4:5], exec
	s_and_b64 s[8:9], s[8:9], exec
	s_or_b64 s[4:5], s[4:5], s[8:9]
	s_or_b64 exec, exec, s[6:7]
	s_and_saveexec_b64 s[6:7], s[4:5]
	s_cbranch_execnz .LBB59_1219
	s_branch .LBB59_1220
.LBB59_3269:
	s_movk_i32 s4, 0x80
	v_cmp_eq_u16_sdwa s[12:13], v4, s4 src0_sel:BYTE_0 src1_sel:DWORD
	s_mov_b64 s[4:5], -1
                                        ; implicit-def: $sgpr10
	s_and_saveexec_b64 s[8:9], s[12:13]
; %bb.3270:
	s_mov_b32 s10, 0x7f800001
	s_xor_b64 s[4:5], exec, -1
; %bb.3271:
	s_or_b64 exec, exec, s[8:9]
	s_and_b64 s[4:5], s[4:5], exec
	s_or_saveexec_b64 s[6:7], s[6:7]
	v_mov_b32_e32 v3, s10
	s_xor_b64 exec, exec, s[6:7]
	s_cbranch_execz .LBB59_1222
.LBB59_3272:
	v_mov_b32_e32 v3, 0
	v_cmp_ne_u16_sdwa s[8:9], v4, v3 src0_sel:BYTE_0 src1_sel:DWORD
	s_andn2_b64 s[4:5], s[4:5], exec
	s_and_b64 s[8:9], s[8:9], exec
	s_or_b64 s[4:5], s[4:5], s[8:9]
	s_or_b64 exec, exec, s[6:7]
	s_and_saveexec_b64 s[6:7], s[4:5]
	s_cbranch_execnz .LBB59_1223
	s_branch .LBB59_1224
.LBB59_3273:
	s_movk_i32 s4, 0x80
	v_cmp_eq_u16_sdwa s[12:13], v3, s4 src0_sel:BYTE_0 src1_sel:DWORD
	s_mov_b64 s[4:5], -1
                                        ; implicit-def: $sgpr10
	s_and_saveexec_b64 s[8:9], s[12:13]
; %bb.3274:
	s_mov_b32 s10, 0x7f800001
	s_xor_b64 s[4:5], exec, -1
; %bb.3275:
	s_or_b64 exec, exec, s[8:9]
	s_and_b64 s[4:5], s[4:5], exec
	s_or_saveexec_b64 s[6:7], s[6:7]
	v_mov_b32_e32 v2, s10
	s_xor_b64 exec, exec, s[6:7]
	s_cbranch_execz .LBB59_1226
.LBB59_3276:
	v_mov_b32_e32 v2, 0
	v_cmp_ne_u16_sdwa s[8:9], v3, v2 src0_sel:BYTE_0 src1_sel:DWORD
	s_andn2_b64 s[4:5], s[4:5], exec
	s_and_b64 s[8:9], s[8:9], exec
	s_or_b64 s[4:5], s[4:5], s[8:9]
	s_or_b64 exec, exec, s[6:7]
	s_and_saveexec_b64 s[6:7], s[4:5]
	s_cbranch_execnz .LBB59_1227
	s_branch .LBB59_1228
.LBB59_3277:
	s_movk_i32 s4, 0x80
	v_cmp_eq_u16_sdwa s[12:13], v3, s4 src0_sel:BYTE_0 src1_sel:DWORD
	s_mov_b64 s[4:5], -1
                                        ; implicit-def: $sgpr10
	s_and_saveexec_b64 s[8:9], s[12:13]
; %bb.3278:
	s_mov_b32 s10, 0x7f800001
	s_xor_b64 s[4:5], exec, -1
; %bb.3279:
	s_or_b64 exec, exec, s[8:9]
	s_and_b64 s[4:5], s[4:5], exec
	s_or_saveexec_b64 s[6:7], s[6:7]
	v_mov_b32_e32 v6, s10
	s_xor_b64 exec, exec, s[6:7]
	s_cbranch_execz .LBB59_1230
.LBB59_3280:
	v_mov_b32_e32 v6, 0
	v_cmp_ne_u16_sdwa s[8:9], v3, v6 src0_sel:BYTE_0 src1_sel:DWORD
	s_andn2_b64 s[4:5], s[4:5], exec
	s_and_b64 s[8:9], s[8:9], exec
	s_or_b64 s[4:5], s[4:5], s[8:9]
	s_or_b64 exec, exec, s[6:7]
	s_and_saveexec_b64 s[6:7], s[4:5]
	s_cbranch_execnz .LBB59_1231
	s_branch .LBB59_1232
.LBB59_3281:
	s_movk_i32 s4, 0x80
	v_cmp_eq_u16_e32 vcc, s4, v3
	s_mov_b64 s[4:5], -1
                                        ; implicit-def: $sgpr10
	s_and_saveexec_b64 s[8:9], vcc
; %bb.3282:
	s_mov_b32 s10, 0x7f800001
	s_xor_b64 s[4:5], exec, -1
; %bb.3283:
	s_or_b64 exec, exec, s[8:9]
	s_and_b64 s[4:5], s[4:5], exec
                                        ; implicit-def: $vgpr3
	s_or_saveexec_b64 s[6:7], s[6:7]
	v_mov_b32_e32 v2, s10
	s_xor_b64 exec, exec, s[6:7]
	s_cbranch_execz .LBB59_1234
.LBB59_3284:
	v_cmp_ne_u16_e32 vcc, 0, v3
	s_andn2_b64 s[4:5], s[4:5], exec
	s_and_b64 s[8:9], vcc, exec
	v_mov_b32_e32 v2, 0
	s_or_b64 s[4:5], s[4:5], s[8:9]
	s_or_b64 exec, exec, s[6:7]
	s_and_saveexec_b64 s[6:7], s[4:5]
	s_cbranch_execnz .LBB59_1235
	s_branch .LBB59_1236
.LBB59_3285:
	s_movk_i32 s4, 0x80
	v_cmp_eq_u16_e32 vcc, s4, v3
	s_mov_b64 s[4:5], -1
                                        ; implicit-def: $sgpr10
	s_and_saveexec_b64 s[8:9], vcc
; %bb.3286:
	s_mov_b32 s10, 0x7f800001
	s_xor_b64 s[4:5], exec, -1
; %bb.3287:
	s_or_b64 exec, exec, s[8:9]
	s_and_b64 s[4:5], s[4:5], exec
                                        ; implicit-def: $vgpr3
	s_or_saveexec_b64 s[6:7], s[6:7]
	v_mov_b32_e32 v6, s10
	s_xor_b64 exec, exec, s[6:7]
	s_cbranch_execz .LBB59_1238
.LBB59_3288:
	v_cmp_ne_u16_e32 vcc, 0, v3
	s_andn2_b64 s[4:5], s[4:5], exec
	s_and_b64 s[8:9], vcc, exec
	v_mov_b32_e32 v6, 0
	s_or_b64 s[4:5], s[4:5], s[8:9]
	s_or_b64 exec, exec, s[6:7]
	s_and_saveexec_b64 s[6:7], s[4:5]
	s_cbranch_execnz .LBB59_1239
	s_branch .LBB59_1240
.LBB59_3289:
	s_movk_i32 s4, 0x80
	v_cmp_eq_u16_sdwa s[12:13], v8, s4 src0_sel:BYTE_3 src1_sel:DWORD
	s_mov_b64 s[4:5], -1
                                        ; implicit-def: $sgpr10
	s_and_saveexec_b64 s[8:9], s[12:13]
; %bb.3290:
	s_mov_b32 s10, 0x7f800001
	s_xor_b64 s[4:5], exec, -1
; %bb.3291:
	s_or_b64 exec, exec, s[8:9]
	s_and_b64 s[4:5], s[4:5], exec
	s_or_saveexec_b64 s[6:7], s[6:7]
	v_mov_b32_e32 v2, s10
	s_xor_b64 exec, exec, s[6:7]
	s_cbranch_execz .LBB59_1242
.LBB59_3292:
	v_mov_b32_e32 v2, 0
	v_cmp_ne_u16_sdwa s[8:9], v8, v2 src0_sel:BYTE_3 src1_sel:DWORD
	s_andn2_b64 s[4:5], s[4:5], exec
	s_and_b64 s[8:9], s[8:9], exec
	s_or_b64 s[4:5], s[4:5], s[8:9]
	s_or_b64 exec, exec, s[6:7]
	s_and_saveexec_b64 s[6:7], s[4:5]
	s_cbranch_execnz .LBB59_1243
	s_branch .LBB59_1244
.LBB59_3293:
	s_movk_i32 s4, 0x80
	v_cmp_eq_u16_sdwa s[12:13], v4, s4 src0_sel:BYTE_3 src1_sel:DWORD
	s_mov_b64 s[4:5], -1
                                        ; implicit-def: $sgpr10
	s_and_saveexec_b64 s[8:9], s[12:13]
; %bb.3294:
	s_mov_b32 s10, 0x7f800001
	s_xor_b64 s[4:5], exec, -1
; %bb.3295:
	s_or_b64 exec, exec, s[8:9]
	s_and_b64 s[4:5], s[4:5], exec
	s_or_saveexec_b64 s[6:7], s[6:7]
	v_mov_b32_e32 v3, s10
	s_xor_b64 exec, exec, s[6:7]
	s_cbranch_execz .LBB59_1246
.LBB59_3296:
	v_mov_b32_e32 v3, 0
	v_cmp_ne_u16_sdwa s[8:9], v4, v3 src0_sel:BYTE_3 src1_sel:DWORD
	s_andn2_b64 s[4:5], s[4:5], exec
	s_and_b64 s[8:9], s[8:9], exec
	s_or_b64 s[4:5], s[4:5], s[8:9]
	s_or_b64 exec, exec, s[6:7]
	s_and_saveexec_b64 s[6:7], s[4:5]
	s_cbranch_execnz .LBB59_1247
	s_branch .LBB59_1248
.LBB59_3297:
	s_movk_i32 s4, 0x80
	v_cmp_eq_u16_sdwa s[12:13], v9, s4 src0_sel:BYTE_0 src1_sel:DWORD
	s_mov_b64 s[4:5], -1
                                        ; implicit-def: $sgpr10
	s_and_saveexec_b64 s[8:9], s[12:13]
; %bb.3298:
	s_mov_b32 s10, 0x7f800001
	s_xor_b64 s[4:5], exec, -1
; %bb.3299:
	s_or_b64 exec, exec, s[8:9]
	s_and_b64 s[4:5], s[4:5], exec
	s_or_saveexec_b64 s[6:7], s[6:7]
	v_mov_b32_e32 v2, s10
	s_xor_b64 exec, exec, s[6:7]
	s_cbranch_execz .LBB59_1250
.LBB59_3300:
	v_mov_b32_e32 v2, 0
	v_cmp_ne_u16_sdwa s[8:9], v9, v2 src0_sel:BYTE_0 src1_sel:DWORD
	s_andn2_b64 s[4:5], s[4:5], exec
	s_and_b64 s[8:9], s[8:9], exec
	s_or_b64 s[4:5], s[4:5], s[8:9]
	s_or_b64 exec, exec, s[6:7]
	s_and_saveexec_b64 s[6:7], s[4:5]
	s_cbranch_execnz .LBB59_1251
	s_branch .LBB59_1252
.LBB59_3301:
	s_movk_i32 s4, 0x80
	v_cmp_eq_u16_sdwa s[12:13], v5, s4 src0_sel:BYTE_0 src1_sel:DWORD
	s_mov_b64 s[4:5], -1
                                        ; implicit-def: $sgpr10
	s_and_saveexec_b64 s[8:9], s[12:13]
; %bb.3302:
	s_mov_b32 s10, 0x7f800001
	s_xor_b64 s[4:5], exec, -1
; %bb.3303:
	s_or_b64 exec, exec, s[8:9]
	s_and_b64 s[4:5], s[4:5], exec
	s_or_saveexec_b64 s[6:7], s[6:7]
	v_mov_b32_e32 v3, s10
	s_xor_b64 exec, exec, s[6:7]
	s_cbranch_execz .LBB59_1254
.LBB59_3304:
	v_mov_b32_e32 v3, 0
	v_cmp_ne_u16_sdwa s[8:9], v5, v3 src0_sel:BYTE_0 src1_sel:DWORD
	s_andn2_b64 s[4:5], s[4:5], exec
	s_and_b64 s[8:9], s[8:9], exec
	s_or_b64 s[4:5], s[4:5], s[8:9]
	s_or_b64 exec, exec, s[6:7]
	s_and_saveexec_b64 s[6:7], s[4:5]
	s_cbranch_execnz .LBB59_1255
	s_branch .LBB59_1256
.LBB59_3305:
	s_movk_i32 s4, 0x80
	v_cmp_eq_u16_sdwa s[12:13], v3, s4 src0_sel:BYTE_0 src1_sel:DWORD
	s_mov_b64 s[4:5], -1
                                        ; implicit-def: $sgpr10
	s_and_saveexec_b64 s[8:9], s[12:13]
; %bb.3306:
	s_mov_b32 s10, 0x7f800001
	s_xor_b64 s[4:5], exec, -1
; %bb.3307:
	s_or_b64 exec, exec, s[8:9]
	s_and_b64 s[4:5], s[4:5], exec
	s_or_saveexec_b64 s[6:7], s[6:7]
	v_mov_b32_e32 v2, s10
	s_xor_b64 exec, exec, s[6:7]
	s_cbranch_execz .LBB59_1258
.LBB59_3308:
	v_mov_b32_e32 v2, 0
	v_cmp_ne_u16_sdwa s[8:9], v3, v2 src0_sel:BYTE_0 src1_sel:DWORD
	s_andn2_b64 s[4:5], s[4:5], exec
	s_and_b64 s[8:9], s[8:9], exec
	s_or_b64 s[4:5], s[4:5], s[8:9]
	s_or_b64 exec, exec, s[6:7]
	s_and_saveexec_b64 s[6:7], s[4:5]
	s_cbranch_execnz .LBB59_1259
	s_branch .LBB59_1260
.LBB59_3309:
	s_movk_i32 s4, 0x80
	v_cmp_eq_u16_sdwa s[12:13], v3, s4 src0_sel:BYTE_0 src1_sel:DWORD
	s_mov_b64 s[4:5], -1
                                        ; implicit-def: $sgpr10
	s_and_saveexec_b64 s[8:9], s[12:13]
; %bb.3310:
	s_mov_b32 s10, 0x7f800001
	s_xor_b64 s[4:5], exec, -1
; %bb.3311:
	s_or_b64 exec, exec, s[8:9]
	s_and_b64 s[4:5], s[4:5], exec
	s_or_saveexec_b64 s[6:7], s[6:7]
	v_mov_b32_e32 v4, s10
	s_xor_b64 exec, exec, s[6:7]
	s_cbranch_execz .LBB59_1262
.LBB59_3312:
	v_mov_b32_e32 v4, 0
	v_cmp_ne_u16_sdwa s[8:9], v3, v4 src0_sel:BYTE_0 src1_sel:DWORD
	s_andn2_b64 s[4:5], s[4:5], exec
	s_and_b64 s[8:9], s[8:9], exec
	s_or_b64 s[4:5], s[4:5], s[8:9]
	s_or_b64 exec, exec, s[6:7]
	s_and_saveexec_b64 s[6:7], s[4:5]
	s_cbranch_execnz .LBB59_1263
	s_branch .LBB59_1264
.LBB59_3313:
	s_movk_i32 s4, 0x80
	v_cmp_eq_u16_e32 vcc, s4, v3
	s_mov_b64 s[4:5], -1
                                        ; implicit-def: $sgpr10
	s_and_saveexec_b64 s[8:9], vcc
; %bb.3314:
	s_mov_b32 s10, 0x7f800001
	s_xor_b64 s[4:5], exec, -1
; %bb.3315:
	s_or_b64 exec, exec, s[8:9]
	s_and_b64 s[4:5], s[4:5], exec
                                        ; implicit-def: $vgpr3
	s_or_saveexec_b64 s[6:7], s[6:7]
	v_mov_b32_e32 v2, s10
	s_xor_b64 exec, exec, s[6:7]
	s_cbranch_execz .LBB59_1266
.LBB59_3316:
	v_cmp_ne_u16_e32 vcc, 0, v3
	s_andn2_b64 s[4:5], s[4:5], exec
	s_and_b64 s[8:9], vcc, exec
	v_mov_b32_e32 v2, 0
	s_or_b64 s[4:5], s[4:5], s[8:9]
	s_or_b64 exec, exec, s[6:7]
	s_and_saveexec_b64 s[6:7], s[4:5]
	s_cbranch_execnz .LBB59_1267
	s_branch .LBB59_1268
.LBB59_3317:
	s_movk_i32 s4, 0x80
	v_cmp_eq_u16_e32 vcc, s4, v3
	s_mov_b64 s[4:5], -1
                                        ; implicit-def: $sgpr10
	s_and_saveexec_b64 s[8:9], vcc
; %bb.3318:
	s_mov_b32 s10, 0x7f800001
	s_xor_b64 s[4:5], exec, -1
; %bb.3319:
	s_or_b64 exec, exec, s[8:9]
	s_and_b64 s[4:5], s[4:5], exec
                                        ; implicit-def: $vgpr3
	s_or_saveexec_b64 s[6:7], s[6:7]
	v_mov_b32_e32 v4, s10
	s_xor_b64 exec, exec, s[6:7]
	s_cbranch_execz .LBB59_1270
.LBB59_3320:
	v_cmp_ne_u16_e32 vcc, 0, v3
	s_andn2_b64 s[4:5], s[4:5], exec
	s_and_b64 s[8:9], vcc, exec
	v_mov_b32_e32 v4, 0
	s_or_b64 s[4:5], s[4:5], s[8:9]
	s_or_b64 exec, exec, s[6:7]
	s_and_saveexec_b64 s[6:7], s[4:5]
	s_cbranch_execnz .LBB59_1271
	s_branch .LBB59_1272
.LBB59_3321:
	s_movk_i32 s4, 0x80
	v_cmp_eq_u16_sdwa s[12:13], v9, s4 src0_sel:BYTE_3 src1_sel:DWORD
	s_mov_b64 s[4:5], -1
                                        ; implicit-def: $sgpr10
	s_and_saveexec_b64 s[8:9], s[12:13]
; %bb.3322:
	s_mov_b32 s10, 0x7f800001
	s_xor_b64 s[4:5], exec, -1
; %bb.3323:
	s_or_b64 exec, exec, s[8:9]
	s_and_b64 s[4:5], s[4:5], exec
	s_or_saveexec_b64 s[6:7], s[6:7]
	v_mov_b32_e32 v2, s10
	s_xor_b64 exec, exec, s[6:7]
	s_cbranch_execz .LBB59_1274
.LBB59_3324:
	v_mov_b32_e32 v2, 0
	v_cmp_ne_u16_sdwa s[8:9], v9, v2 src0_sel:BYTE_3 src1_sel:DWORD
	s_andn2_b64 s[4:5], s[4:5], exec
	s_and_b64 s[8:9], s[8:9], exec
	s_or_b64 s[4:5], s[4:5], s[8:9]
	s_or_b64 exec, exec, s[6:7]
	s_and_saveexec_b64 s[6:7], s[4:5]
	s_cbranch_execnz .LBB59_1275
	s_branch .LBB59_1276
.LBB59_3325:
	s_movk_i32 s4, 0x80
	v_cmp_eq_u16_sdwa s[12:13], v5, s4 src0_sel:BYTE_3 src1_sel:DWORD
	s_mov_b64 s[4:5], -1
                                        ; implicit-def: $sgpr10
	s_and_saveexec_b64 s[8:9], s[12:13]
; %bb.3326:
	s_mov_b32 s10, 0x7f800001
	s_xor_b64 s[4:5], exec, -1
; %bb.3327:
	s_or_b64 exec, exec, s[8:9]
	s_and_b64 s[4:5], s[4:5], exec
	s_or_saveexec_b64 s[6:7], s[6:7]
	v_mov_b32_e32 v3, s10
	s_xor_b64 exec, exec, s[6:7]
	s_cbranch_execz .LBB59_1278
.LBB59_3328:
	v_mov_b32_e32 v3, 0
	v_cmp_ne_u16_sdwa s[8:9], v5, v3 src0_sel:BYTE_3 src1_sel:DWORD
	s_andn2_b64 s[4:5], s[4:5], exec
	s_and_b64 s[8:9], s[8:9], exec
	s_or_b64 s[4:5], s[4:5], s[8:9]
	s_or_b64 exec, exec, s[6:7]
	s_and_saveexec_b64 s[6:7], s[4:5]
	s_cbranch_execnz .LBB59_1279
	s_branch .LBB59_1280
.LBB59_3329:
	s_movk_i32 s4, 0x80
	v_cmp_eq_u16_sdwa s[12:13], v14, s4 src0_sel:BYTE_0 src1_sel:DWORD
	s_mov_b64 s[4:5], -1
                                        ; implicit-def: $sgpr10
	s_and_saveexec_b64 s[8:9], s[12:13]
; %bb.3330:
	s_mov_b32 s10, 0x7f800001
	s_xor_b64 s[4:5], exec, -1
; %bb.3331:
	s_or_b64 exec, exec, s[8:9]
	s_and_b64 s[4:5], s[4:5], exec
	s_or_saveexec_b64 s[6:7], s[6:7]
	v_mov_b32_e32 v20, s10
	s_xor_b64 exec, exec, s[6:7]
	s_cbranch_execz .LBB59_1282
.LBB59_3332:
	v_mov_b32_e32 v20, 0
	v_cmp_ne_u16_sdwa s[8:9], v14, v20 src0_sel:BYTE_0 src1_sel:DWORD
	s_andn2_b64 s[4:5], s[4:5], exec
	s_and_b64 s[8:9], s[8:9], exec
	s_or_b64 s[4:5], s[4:5], s[8:9]
	s_or_b64 exec, exec, s[6:7]
	s_and_saveexec_b64 s[6:7], s[4:5]
	s_cbranch_execnz .LBB59_1283
	s_branch .LBB59_1284
.LBB59_3333:
	s_movk_i32 s4, 0x80
	v_cmp_eq_u16_sdwa s[12:13], v10, s4 src0_sel:BYTE_0 src1_sel:DWORD
	s_mov_b64 s[4:5], -1
                                        ; implicit-def: $sgpr10
	s_and_saveexec_b64 s[8:9], s[12:13]
; %bb.3334:
	s_mov_b32 s10, 0x7f800001
	s_xor_b64 s[4:5], exec, -1
; %bb.3335:
	s_or_b64 exec, exec, s[8:9]
	s_and_b64 s[4:5], s[4:5], exec
	s_or_saveexec_b64 s[6:7], s[6:7]
	v_mov_b32_e32 v21, s10
	s_xor_b64 exec, exec, s[6:7]
	s_cbranch_execz .LBB59_1286
.LBB59_3336:
	v_mov_b32_e32 v21, 0
	v_cmp_ne_u16_sdwa s[8:9], v10, v21 src0_sel:BYTE_0 src1_sel:DWORD
	s_andn2_b64 s[4:5], s[4:5], exec
	s_and_b64 s[8:9], s[8:9], exec
	s_or_b64 s[4:5], s[4:5], s[8:9]
	s_or_b64 exec, exec, s[6:7]
	s_and_saveexec_b64 s[6:7], s[4:5]
	s_cbranch_execnz .LBB59_1287
	s_branch .LBB59_1288
.LBB59_3337:
	s_movk_i32 s4, 0x80
	v_cmp_eq_u16_sdwa s[12:13], v21, s4 src0_sel:BYTE_0 src1_sel:DWORD
	s_mov_b64 s[4:5], -1
                                        ; implicit-def: $sgpr10
	s_and_saveexec_b64 s[8:9], s[12:13]
; %bb.3338:
	s_mov_b32 s10, 0x7f800001
	s_xor_b64 s[4:5], exec, -1
; %bb.3339:
	s_or_b64 exec, exec, s[8:9]
	s_and_b64 s[4:5], s[4:5], exec
	s_or_saveexec_b64 s[6:7], s[6:7]
	v_mov_b32_e32 v20, s10
	s_xor_b64 exec, exec, s[6:7]
	s_cbranch_execz .LBB59_1290
.LBB59_3340:
	v_mov_b32_e32 v20, 0
	v_cmp_ne_u16_sdwa s[8:9], v21, v20 src0_sel:BYTE_0 src1_sel:DWORD
	s_andn2_b64 s[4:5], s[4:5], exec
	s_and_b64 s[8:9], s[8:9], exec
	s_or_b64 s[4:5], s[4:5], s[8:9]
	s_or_b64 exec, exec, s[6:7]
	s_and_saveexec_b64 s[6:7], s[4:5]
	s_cbranch_execnz .LBB59_1291
	s_branch .LBB59_1292
.LBB59_3341:
	s_movk_i32 s4, 0x80
	v_cmp_eq_u16_sdwa s[12:13], v21, s4 src0_sel:BYTE_0 src1_sel:DWORD
	s_mov_b64 s[4:5], -1
                                        ; implicit-def: $sgpr10
	s_and_saveexec_b64 s[8:9], s[12:13]
; %bb.3342:
	s_mov_b32 s10, 0x7f800001
	s_xor_b64 s[4:5], exec, -1
; %bb.3343:
	s_or_b64 exec, exec, s[8:9]
	s_and_b64 s[4:5], s[4:5], exec
	s_or_saveexec_b64 s[6:7], s[6:7]
	v_mov_b32_e32 v22, s10
	s_xor_b64 exec, exec, s[6:7]
	s_cbranch_execz .LBB59_1294
.LBB59_3344:
	v_mov_b32_e32 v22, 0
	v_cmp_ne_u16_sdwa s[8:9], v21, v22 src0_sel:BYTE_0 src1_sel:DWORD
	s_andn2_b64 s[4:5], s[4:5], exec
	s_and_b64 s[8:9], s[8:9], exec
	s_or_b64 s[4:5], s[4:5], s[8:9]
	s_or_b64 exec, exec, s[6:7]
	s_and_saveexec_b64 s[6:7], s[4:5]
	s_cbranch_execnz .LBB59_1295
	s_branch .LBB59_1296
.LBB59_3345:
	s_movk_i32 s4, 0x80
	v_cmp_eq_u16_e32 vcc, s4, v21
	s_mov_b64 s[4:5], -1
                                        ; implicit-def: $sgpr10
	s_and_saveexec_b64 s[8:9], vcc
; %bb.3346:
	s_mov_b32 s10, 0x7f800001
	s_xor_b64 s[4:5], exec, -1
; %bb.3347:
	s_or_b64 exec, exec, s[8:9]
	s_and_b64 s[4:5], s[4:5], exec
                                        ; implicit-def: $vgpr21
	s_or_saveexec_b64 s[6:7], s[6:7]
	v_mov_b32_e32 v20, s10
	s_xor_b64 exec, exec, s[6:7]
	s_cbranch_execz .LBB59_1298
.LBB59_3348:
	v_cmp_ne_u16_e32 vcc, 0, v21
	s_andn2_b64 s[4:5], s[4:5], exec
	s_and_b64 s[8:9], vcc, exec
	v_mov_b32_e32 v20, 0
	s_or_b64 s[4:5], s[4:5], s[8:9]
	s_or_b64 exec, exec, s[6:7]
	s_and_saveexec_b64 s[6:7], s[4:5]
	s_cbranch_execnz .LBB59_1299
	s_branch .LBB59_1300
.LBB59_3349:
	s_movk_i32 s4, 0x80
	v_cmp_eq_u16_e32 vcc, s4, v21
	s_mov_b64 s[4:5], -1
                                        ; implicit-def: $sgpr10
	s_and_saveexec_b64 s[8:9], vcc
; %bb.3350:
	s_mov_b32 s10, 0x7f800001
	s_xor_b64 s[4:5], exec, -1
; %bb.3351:
	s_or_b64 exec, exec, s[8:9]
	s_and_b64 s[4:5], s[4:5], exec
                                        ; implicit-def: $vgpr21
	s_or_saveexec_b64 s[6:7], s[6:7]
	v_mov_b32_e32 v22, s10
	s_xor_b64 exec, exec, s[6:7]
	s_cbranch_execz .LBB59_1302
.LBB59_3352:
	v_cmp_ne_u16_e32 vcc, 0, v21
	s_andn2_b64 s[4:5], s[4:5], exec
	s_and_b64 s[8:9], vcc, exec
	v_mov_b32_e32 v22, 0
	s_or_b64 s[4:5], s[4:5], s[8:9]
	s_or_b64 exec, exec, s[6:7]
	s_and_saveexec_b64 s[6:7], s[4:5]
	s_cbranch_execnz .LBB59_1303
	s_branch .LBB59_1304
.LBB59_3353:
	s_movk_i32 s4, 0x80
	v_cmp_eq_u16_sdwa s[12:13], v14, s4 src0_sel:BYTE_3 src1_sel:DWORD
	s_mov_b64 s[4:5], -1
                                        ; implicit-def: $sgpr10
	s_and_saveexec_b64 s[8:9], s[12:13]
; %bb.3354:
	s_mov_b32 s10, 0x7f800001
	s_xor_b64 s[4:5], exec, -1
; %bb.3355:
	s_or_b64 exec, exec, s[8:9]
	s_and_b64 s[4:5], s[4:5], exec
	s_or_saveexec_b64 s[6:7], s[6:7]
	v_mov_b32_e32 v20, s10
	s_xor_b64 exec, exec, s[6:7]
	s_cbranch_execz .LBB59_1306
.LBB59_3356:
	v_mov_b32_e32 v20, 0
	v_cmp_ne_u16_sdwa s[8:9], v14, v20 src0_sel:BYTE_3 src1_sel:DWORD
	s_andn2_b64 s[4:5], s[4:5], exec
	s_and_b64 s[8:9], s[8:9], exec
	s_or_b64 s[4:5], s[4:5], s[8:9]
	s_or_b64 exec, exec, s[6:7]
	s_and_saveexec_b64 s[6:7], s[4:5]
	s_cbranch_execnz .LBB59_1307
	s_branch .LBB59_1308
.LBB59_3357:
	s_movk_i32 s4, 0x80
	v_cmp_eq_u16_sdwa s[12:13], v10, s4 src0_sel:BYTE_3 src1_sel:DWORD
	s_mov_b64 s[4:5], -1
                                        ; implicit-def: $sgpr10
	s_and_saveexec_b64 s[8:9], s[12:13]
; %bb.3358:
	s_mov_b32 s10, 0x7f800001
	s_xor_b64 s[4:5], exec, -1
; %bb.3359:
	s_or_b64 exec, exec, s[8:9]
	s_and_b64 s[4:5], s[4:5], exec
	s_or_saveexec_b64 s[6:7], s[6:7]
	v_mov_b32_e32 v14, s10
	s_xor_b64 exec, exec, s[6:7]
	s_cbranch_execz .LBB59_1310
.LBB59_3360:
	v_mov_b32_e32 v14, 0
	v_cmp_ne_u16_sdwa s[8:9], v10, v14 src0_sel:BYTE_3 src1_sel:DWORD
	s_andn2_b64 s[4:5], s[4:5], exec
	s_and_b64 s[8:9], s[8:9], exec
	s_or_b64 s[4:5], s[4:5], s[8:9]
	s_or_b64 exec, exec, s[6:7]
	s_and_saveexec_b64 s[6:7], s[4:5]
	s_cbranch_execnz .LBB59_1311
	s_branch .LBB59_1312
.LBB59_3361:
	s_movk_i32 s4, 0x80
	v_cmp_eq_u16_sdwa s[12:13], v15, s4 src0_sel:BYTE_0 src1_sel:DWORD
	s_mov_b64 s[4:5], -1
                                        ; implicit-def: $sgpr10
	s_and_saveexec_b64 s[8:9], s[12:13]
; %bb.3362:
	s_mov_b32 s10, 0x7f800001
	s_xor_b64 s[4:5], exec, -1
; %bb.3363:
	s_or_b64 exec, exec, s[8:9]
	s_and_b64 s[4:5], s[4:5], exec
	s_or_saveexec_b64 s[6:7], s[6:7]
	v_mov_b32_e32 v10, s10
	s_xor_b64 exec, exec, s[6:7]
	s_cbranch_execz .LBB59_1314
.LBB59_3364:
	v_mov_b32_e32 v10, 0
	v_cmp_ne_u16_sdwa s[8:9], v15, v10 src0_sel:BYTE_0 src1_sel:DWORD
	s_andn2_b64 s[4:5], s[4:5], exec
	s_and_b64 s[8:9], s[8:9], exec
	s_or_b64 s[4:5], s[4:5], s[8:9]
	s_or_b64 exec, exec, s[6:7]
	s_and_saveexec_b64 s[6:7], s[4:5]
	s_cbranch_execnz .LBB59_1315
	s_branch .LBB59_1316
.LBB59_3365:
	s_movk_i32 s4, 0x80
	v_cmp_eq_u16_sdwa s[12:13], v11, s4 src0_sel:BYTE_0 src1_sel:DWORD
	s_mov_b64 s[4:5], -1
                                        ; implicit-def: $sgpr10
	s_and_saveexec_b64 s[8:9], s[12:13]
; %bb.3366:
	s_mov_b32 s10, 0x7f800001
	s_xor_b64 s[4:5], exec, -1
; %bb.3367:
	s_or_b64 exec, exec, s[8:9]
	s_and_b64 s[4:5], s[4:5], exec
	s_or_saveexec_b64 s[6:7], s[6:7]
	v_mov_b32_e32 v14, s10
	s_xor_b64 exec, exec, s[6:7]
	s_cbranch_execz .LBB59_1318
.LBB59_3368:
	v_mov_b32_e32 v14, 0
	v_cmp_ne_u16_sdwa s[8:9], v11, v14 src0_sel:BYTE_0 src1_sel:DWORD
	s_andn2_b64 s[4:5], s[4:5], exec
	s_and_b64 s[8:9], s[8:9], exec
	s_or_b64 s[4:5], s[4:5], s[8:9]
	s_or_b64 exec, exec, s[6:7]
	s_and_saveexec_b64 s[6:7], s[4:5]
	s_cbranch_execnz .LBB59_1319
	s_branch .LBB59_1320
.LBB59_3369:
	s_movk_i32 s4, 0x80
	v_cmp_eq_u16_sdwa s[12:13], v14, s4 src0_sel:BYTE_0 src1_sel:DWORD
	s_mov_b64 s[4:5], -1
                                        ; implicit-def: $sgpr10
	s_and_saveexec_b64 s[8:9], s[12:13]
; %bb.3370:
	s_mov_b32 s10, 0x7f800001
	s_xor_b64 s[4:5], exec, -1
; %bb.3371:
	s_or_b64 exec, exec, s[8:9]
	s_and_b64 s[4:5], s[4:5], exec
	s_or_saveexec_b64 s[6:7], s[6:7]
	v_mov_b32_e32 v10, s10
	s_xor_b64 exec, exec, s[6:7]
	s_cbranch_execz .LBB59_1322
.LBB59_3372:
	v_mov_b32_e32 v10, 0
	v_cmp_ne_u16_sdwa s[8:9], v14, v10 src0_sel:BYTE_0 src1_sel:DWORD
	s_andn2_b64 s[4:5], s[4:5], exec
	s_and_b64 s[8:9], s[8:9], exec
	s_or_b64 s[4:5], s[4:5], s[8:9]
	s_or_b64 exec, exec, s[6:7]
	s_and_saveexec_b64 s[6:7], s[4:5]
	s_cbranch_execnz .LBB59_1323
	s_branch .LBB59_1324
.LBB59_3373:
	s_movk_i32 s4, 0x80
	v_cmp_eq_u16_sdwa s[12:13], v14, s4 src0_sel:BYTE_0 src1_sel:DWORD
	s_mov_b64 s[4:5], -1
                                        ; implicit-def: $sgpr10
	s_and_saveexec_b64 s[8:9], s[12:13]
; %bb.3374:
	s_mov_b32 s10, 0x7f800001
	s_xor_b64 s[4:5], exec, -1
; %bb.3375:
	s_or_b64 exec, exec, s[8:9]
	s_and_b64 s[4:5], s[4:5], exec
	s_or_saveexec_b64 s[6:7], s[6:7]
	v_mov_b32_e32 v20, s10
	s_xor_b64 exec, exec, s[6:7]
	s_cbranch_execz .LBB59_1326
.LBB59_3376:
	v_mov_b32_e32 v20, 0
	v_cmp_ne_u16_sdwa s[8:9], v14, v20 src0_sel:BYTE_0 src1_sel:DWORD
	s_andn2_b64 s[4:5], s[4:5], exec
	s_and_b64 s[8:9], s[8:9], exec
	s_or_b64 s[4:5], s[4:5], s[8:9]
	s_or_b64 exec, exec, s[6:7]
	s_and_saveexec_b64 s[6:7], s[4:5]
	s_cbranch_execnz .LBB59_1327
	s_branch .LBB59_1328
.LBB59_3377:
	s_movk_i32 s4, 0x80
	v_cmp_eq_u16_e32 vcc, s4, v14
	s_mov_b64 s[4:5], -1
                                        ; implicit-def: $sgpr10
	s_and_saveexec_b64 s[8:9], vcc
; %bb.3378:
	s_mov_b32 s10, 0x7f800001
	s_xor_b64 s[4:5], exec, -1
; %bb.3379:
	s_or_b64 exec, exec, s[8:9]
	s_and_b64 s[4:5], s[4:5], exec
                                        ; implicit-def: $vgpr14
	s_or_saveexec_b64 s[6:7], s[6:7]
	v_mov_b32_e32 v10, s10
	s_xor_b64 exec, exec, s[6:7]
	s_cbranch_execz .LBB59_1330
.LBB59_3380:
	v_cmp_ne_u16_e32 vcc, 0, v14
	s_andn2_b64 s[4:5], s[4:5], exec
	s_and_b64 s[8:9], vcc, exec
	v_mov_b32_e32 v10, 0
	s_or_b64 s[4:5], s[4:5], s[8:9]
	s_or_b64 exec, exec, s[6:7]
	s_and_saveexec_b64 s[6:7], s[4:5]
	s_cbranch_execnz .LBB59_1331
	s_branch .LBB59_1332
.LBB59_3381:
	s_movk_i32 s4, 0x80
	v_cmp_eq_u16_e32 vcc, s4, v14
	s_mov_b64 s[4:5], -1
                                        ; implicit-def: $sgpr10
	s_and_saveexec_b64 s[8:9], vcc
; %bb.3382:
	s_mov_b32 s10, 0x7f800001
	s_xor_b64 s[4:5], exec, -1
; %bb.3383:
	s_or_b64 exec, exec, s[8:9]
	s_and_b64 s[4:5], s[4:5], exec
                                        ; implicit-def: $vgpr14
	s_or_saveexec_b64 s[6:7], s[6:7]
	v_mov_b32_e32 v20, s10
	s_xor_b64 exec, exec, s[6:7]
	s_cbranch_execz .LBB59_1334
.LBB59_3384:
	v_cmp_ne_u16_e32 vcc, 0, v14
	s_andn2_b64 s[4:5], s[4:5], exec
	s_and_b64 s[8:9], vcc, exec
	v_mov_b32_e32 v20, 0
	s_or_b64 s[4:5], s[4:5], s[8:9]
	s_or_b64 exec, exec, s[6:7]
	s_and_saveexec_b64 s[6:7], s[4:5]
	s_cbranch_execnz .LBB59_1335
	s_branch .LBB59_1336
.LBB59_3385:
	s_movk_i32 s4, 0x80
	v_cmp_eq_u16_sdwa s[12:13], v15, s4 src0_sel:BYTE_3 src1_sel:DWORD
	s_mov_b64 s[4:5], -1
                                        ; implicit-def: $sgpr10
	s_and_saveexec_b64 s[8:9], s[12:13]
; %bb.3386:
	s_mov_b32 s10, 0x7f800001
	s_xor_b64 s[4:5], exec, -1
; %bb.3387:
	s_or_b64 exec, exec, s[8:9]
	s_and_b64 s[4:5], s[4:5], exec
	s_or_saveexec_b64 s[6:7], s[6:7]
	v_mov_b32_e32 v10, s10
	s_xor_b64 exec, exec, s[6:7]
	s_cbranch_execz .LBB59_1338
.LBB59_3388:
	v_mov_b32_e32 v10, 0
	v_cmp_ne_u16_sdwa s[8:9], v15, v10 src0_sel:BYTE_3 src1_sel:DWORD
	s_andn2_b64 s[4:5], s[4:5], exec
	s_and_b64 s[8:9], s[8:9], exec
	s_or_b64 s[4:5], s[4:5], s[8:9]
	s_or_b64 exec, exec, s[6:7]
	s_and_saveexec_b64 s[6:7], s[4:5]
	s_cbranch_execnz .LBB59_1339
	s_branch .LBB59_1340
.LBB59_3389:
	s_movk_i32 s4, 0x80
	v_cmp_eq_u16_sdwa s[12:13], v11, s4 src0_sel:BYTE_3 src1_sel:DWORD
	s_mov_b64 s[4:5], -1
                                        ; implicit-def: $sgpr10
	s_and_saveexec_b64 s[8:9], s[12:13]
; %bb.3390:
	s_mov_b32 s10, 0x7f800001
	s_xor_b64 s[4:5], exec, -1
; %bb.3391:
	s_or_b64 exec, exec, s[8:9]
	s_and_b64 s[4:5], s[4:5], exec
	s_or_saveexec_b64 s[6:7], s[6:7]
	v_mov_b32_e32 v14, s10
	s_xor_b64 exec, exec, s[6:7]
	s_cbranch_execz .LBB59_1342
.LBB59_3392:
	v_mov_b32_e32 v14, 0
	v_cmp_ne_u16_sdwa s[8:9], v11, v14 src0_sel:BYTE_3 src1_sel:DWORD
	s_andn2_b64 s[4:5], s[4:5], exec
	s_and_b64 s[8:9], s[8:9], exec
	s_or_b64 s[4:5], s[4:5], s[8:9]
	s_or_b64 exec, exec, s[6:7]
	s_and_saveexec_b64 s[6:7], s[4:5]
	s_cbranch_execnz .LBB59_1343
	s_branch .LBB59_1344
.LBB59_3393:
	s_movk_i32 s4, 0x80
	v_cmp_eq_u16_sdwa s[12:13], v16, s4 src0_sel:BYTE_0 src1_sel:DWORD
	s_mov_b64 s[4:5], -1
                                        ; implicit-def: $sgpr10
	s_and_saveexec_b64 s[8:9], s[12:13]
; %bb.3394:
	s_mov_b32 s10, 0x7f800001
	s_xor_b64 s[4:5], exec, -1
; %bb.3395:
	s_or_b64 exec, exec, s[8:9]
	s_and_b64 s[4:5], s[4:5], exec
	s_or_saveexec_b64 s[6:7], s[6:7]
	v_mov_b32_e32 v10, s10
	s_xor_b64 exec, exec, s[6:7]
	s_cbranch_execz .LBB59_1346
.LBB59_3396:
	v_mov_b32_e32 v10, 0
	v_cmp_ne_u16_sdwa s[8:9], v16, v10 src0_sel:BYTE_0 src1_sel:DWORD
	s_andn2_b64 s[4:5], s[4:5], exec
	s_and_b64 s[8:9], s[8:9], exec
	s_or_b64 s[4:5], s[4:5], s[8:9]
	s_or_b64 exec, exec, s[6:7]
	s_and_saveexec_b64 s[6:7], s[4:5]
	s_cbranch_execnz .LBB59_1347
	s_branch .LBB59_1348
.LBB59_3397:
	s_movk_i32 s4, 0x80
	v_cmp_eq_u16_sdwa s[12:13], v12, s4 src0_sel:BYTE_0 src1_sel:DWORD
	s_mov_b64 s[4:5], -1
                                        ; implicit-def: $sgpr10
	s_and_saveexec_b64 s[8:9], s[12:13]
; %bb.3398:
	s_mov_b32 s10, 0x7f800001
	s_xor_b64 s[4:5], exec, -1
; %bb.3399:
	s_or_b64 exec, exec, s[8:9]
	s_and_b64 s[4:5], s[4:5], exec
	s_or_saveexec_b64 s[6:7], s[6:7]
	v_mov_b32_e32 v11, s10
	s_xor_b64 exec, exec, s[6:7]
	s_cbranch_execz .LBB59_1350
.LBB59_3400:
	v_mov_b32_e32 v11, 0
	v_cmp_ne_u16_sdwa s[8:9], v12, v11 src0_sel:BYTE_0 src1_sel:DWORD
	s_andn2_b64 s[4:5], s[4:5], exec
	s_and_b64 s[8:9], s[8:9], exec
	s_or_b64 s[4:5], s[4:5], s[8:9]
	s_or_b64 exec, exec, s[6:7]
	s_and_saveexec_b64 s[6:7], s[4:5]
	s_cbranch_execnz .LBB59_1351
	s_branch .LBB59_1352
.LBB59_3401:
	s_movk_i32 s4, 0x80
	v_cmp_eq_u16_sdwa s[12:13], v11, s4 src0_sel:BYTE_0 src1_sel:DWORD
	s_mov_b64 s[4:5], -1
                                        ; implicit-def: $sgpr10
	s_and_saveexec_b64 s[8:9], s[12:13]
; %bb.3402:
	s_mov_b32 s10, 0x7f800001
	s_xor_b64 s[4:5], exec, -1
; %bb.3403:
	s_or_b64 exec, exec, s[8:9]
	s_and_b64 s[4:5], s[4:5], exec
	s_or_saveexec_b64 s[6:7], s[6:7]
	v_mov_b32_e32 v10, s10
	s_xor_b64 exec, exec, s[6:7]
	s_cbranch_execz .LBB59_1354
.LBB59_3404:
	v_mov_b32_e32 v10, 0
	v_cmp_ne_u16_sdwa s[8:9], v11, v10 src0_sel:BYTE_0 src1_sel:DWORD
	s_andn2_b64 s[4:5], s[4:5], exec
	s_and_b64 s[8:9], s[8:9], exec
	s_or_b64 s[4:5], s[4:5], s[8:9]
	s_or_b64 exec, exec, s[6:7]
	s_and_saveexec_b64 s[6:7], s[4:5]
	s_cbranch_execnz .LBB59_1355
	s_branch .LBB59_1356
.LBB59_3405:
	s_movk_i32 s4, 0x80
	v_cmp_eq_u16_sdwa s[12:13], v11, s4 src0_sel:BYTE_0 src1_sel:DWORD
	s_mov_b64 s[4:5], -1
                                        ; implicit-def: $sgpr10
	s_and_saveexec_b64 s[8:9], s[12:13]
; %bb.3406:
	s_mov_b32 s10, 0x7f800001
	s_xor_b64 s[4:5], exec, -1
; %bb.3407:
	s_or_b64 exec, exec, s[8:9]
	s_and_b64 s[4:5], s[4:5], exec
	s_or_saveexec_b64 s[6:7], s[6:7]
	v_mov_b32_e32 v14, s10
	s_xor_b64 exec, exec, s[6:7]
	s_cbranch_execz .LBB59_1358
.LBB59_3408:
	v_mov_b32_e32 v14, 0
	v_cmp_ne_u16_sdwa s[8:9], v11, v14 src0_sel:BYTE_0 src1_sel:DWORD
	s_andn2_b64 s[4:5], s[4:5], exec
	s_and_b64 s[8:9], s[8:9], exec
	s_or_b64 s[4:5], s[4:5], s[8:9]
	s_or_b64 exec, exec, s[6:7]
	s_and_saveexec_b64 s[6:7], s[4:5]
	s_cbranch_execnz .LBB59_1359
	s_branch .LBB59_1360
.LBB59_3409:
	s_movk_i32 s4, 0x80
	v_cmp_eq_u16_e32 vcc, s4, v11
	s_mov_b64 s[4:5], -1
                                        ; implicit-def: $sgpr10
	s_and_saveexec_b64 s[8:9], vcc
; %bb.3410:
	s_mov_b32 s10, 0x7f800001
	s_xor_b64 s[4:5], exec, -1
; %bb.3411:
	s_or_b64 exec, exec, s[8:9]
	s_and_b64 s[4:5], s[4:5], exec
                                        ; implicit-def: $vgpr11
	s_or_saveexec_b64 s[6:7], s[6:7]
	v_mov_b32_e32 v10, s10
	s_xor_b64 exec, exec, s[6:7]
	s_cbranch_execz .LBB59_1362
.LBB59_3412:
	v_cmp_ne_u16_e32 vcc, 0, v11
	s_andn2_b64 s[4:5], s[4:5], exec
	s_and_b64 s[8:9], vcc, exec
	v_mov_b32_e32 v10, 0
	s_or_b64 s[4:5], s[4:5], s[8:9]
	s_or_b64 exec, exec, s[6:7]
	s_and_saveexec_b64 s[6:7], s[4:5]
	s_cbranch_execnz .LBB59_1363
	s_branch .LBB59_1364
.LBB59_3413:
	s_movk_i32 s4, 0x80
	v_cmp_eq_u16_e32 vcc, s4, v11
	s_mov_b64 s[4:5], -1
                                        ; implicit-def: $sgpr10
	s_and_saveexec_b64 s[8:9], vcc
; %bb.3414:
	s_mov_b32 s10, 0x7f800001
	s_xor_b64 s[4:5], exec, -1
; %bb.3415:
	s_or_b64 exec, exec, s[8:9]
	s_and_b64 s[4:5], s[4:5], exec
                                        ; implicit-def: $vgpr11
	s_or_saveexec_b64 s[6:7], s[6:7]
	v_mov_b32_e32 v14, s10
	s_xor_b64 exec, exec, s[6:7]
	s_cbranch_execz .LBB59_1366
.LBB59_3416:
	v_cmp_ne_u16_e32 vcc, 0, v11
	s_andn2_b64 s[4:5], s[4:5], exec
	s_and_b64 s[8:9], vcc, exec
	v_mov_b32_e32 v14, 0
	s_or_b64 s[4:5], s[4:5], s[8:9]
	s_or_b64 exec, exec, s[6:7]
	s_and_saveexec_b64 s[6:7], s[4:5]
	s_cbranch_execnz .LBB59_1367
	s_branch .LBB59_1368
.LBB59_3417:
	s_movk_i32 s4, 0x80
	v_cmp_eq_u16_sdwa s[12:13], v16, s4 src0_sel:BYTE_3 src1_sel:DWORD
	s_mov_b64 s[4:5], -1
                                        ; implicit-def: $sgpr10
	s_and_saveexec_b64 s[8:9], s[12:13]
; %bb.3418:
	s_mov_b32 s10, 0x7f800001
	s_xor_b64 s[4:5], exec, -1
; %bb.3419:
	s_or_b64 exec, exec, s[8:9]
	s_and_b64 s[4:5], s[4:5], exec
	s_or_saveexec_b64 s[6:7], s[6:7]
	v_mov_b32_e32 v10, s10
	s_xor_b64 exec, exec, s[6:7]
	s_cbranch_execz .LBB59_1370
.LBB59_3420:
	v_mov_b32_e32 v10, 0
	v_cmp_ne_u16_sdwa s[8:9], v16, v10 src0_sel:BYTE_3 src1_sel:DWORD
	s_andn2_b64 s[4:5], s[4:5], exec
	s_and_b64 s[8:9], s[8:9], exec
	s_or_b64 s[4:5], s[4:5], s[8:9]
	s_or_b64 exec, exec, s[6:7]
	s_and_saveexec_b64 s[6:7], s[4:5]
	s_cbranch_execnz .LBB59_1371
	s_branch .LBB59_1372
.LBB59_3421:
	s_movk_i32 s4, 0x80
	v_cmp_eq_u16_sdwa s[12:13], v12, s4 src0_sel:BYTE_3 src1_sel:DWORD
	s_mov_b64 s[4:5], -1
                                        ; implicit-def: $sgpr10
	s_and_saveexec_b64 s[8:9], s[12:13]
; %bb.3422:
	s_mov_b32 s10, 0x7f800001
	s_xor_b64 s[4:5], exec, -1
; %bb.3423:
	s_or_b64 exec, exec, s[8:9]
	s_and_b64 s[4:5], s[4:5], exec
	s_or_saveexec_b64 s[6:7], s[6:7]
	v_mov_b32_e32 v11, s10
	s_xor_b64 exec, exec, s[6:7]
	s_cbranch_execz .LBB59_1374
.LBB59_3424:
	v_mov_b32_e32 v11, 0
	v_cmp_ne_u16_sdwa s[8:9], v12, v11 src0_sel:BYTE_3 src1_sel:DWORD
	s_andn2_b64 s[4:5], s[4:5], exec
	s_and_b64 s[8:9], s[8:9], exec
	s_or_b64 s[4:5], s[4:5], s[8:9]
	s_or_b64 exec, exec, s[6:7]
	s_and_saveexec_b64 s[6:7], s[4:5]
	s_cbranch_execnz .LBB59_1375
	s_branch .LBB59_1376
.LBB59_3425:
	s_movk_i32 s4, 0x80
	v_cmp_eq_u16_sdwa s[12:13], v17, s4 src0_sel:BYTE_0 src1_sel:DWORD
	s_mov_b64 s[4:5], -1
                                        ; implicit-def: $sgpr10
	s_and_saveexec_b64 s[8:9], s[12:13]
; %bb.3426:
	s_mov_b32 s10, 0x7f800001
	s_xor_b64 s[4:5], exec, -1
; %bb.3427:
	s_or_b64 exec, exec, s[8:9]
	s_and_b64 s[4:5], s[4:5], exec
	s_or_saveexec_b64 s[6:7], s[6:7]
	v_mov_b32_e32 v10, s10
	s_xor_b64 exec, exec, s[6:7]
	s_cbranch_execz .LBB59_1378
.LBB59_3428:
	v_mov_b32_e32 v10, 0
	v_cmp_ne_u16_sdwa s[8:9], v17, v10 src0_sel:BYTE_0 src1_sel:DWORD
	s_andn2_b64 s[4:5], s[4:5], exec
	s_and_b64 s[8:9], s[8:9], exec
	s_or_b64 s[4:5], s[4:5], s[8:9]
	s_or_b64 exec, exec, s[6:7]
	s_and_saveexec_b64 s[6:7], s[4:5]
	s_cbranch_execnz .LBB59_1379
	s_branch .LBB59_1380
.LBB59_3429:
	s_movk_i32 s4, 0x80
	v_cmp_eq_u16_sdwa s[12:13], v13, s4 src0_sel:BYTE_0 src1_sel:DWORD
	s_mov_b64 s[4:5], -1
                                        ; implicit-def: $sgpr10
	s_and_saveexec_b64 s[8:9], s[12:13]
; %bb.3430:
	s_mov_b32 s10, 0x7f800001
	s_xor_b64 s[4:5], exec, -1
; %bb.3431:
	s_or_b64 exec, exec, s[8:9]
	s_and_b64 s[4:5], s[4:5], exec
	s_or_saveexec_b64 s[6:7], s[6:7]
	v_mov_b32_e32 v11, s10
	s_xor_b64 exec, exec, s[6:7]
	s_cbranch_execz .LBB59_1382
.LBB59_3432:
	v_mov_b32_e32 v11, 0
	v_cmp_ne_u16_sdwa s[8:9], v13, v11 src0_sel:BYTE_0 src1_sel:DWORD
	s_andn2_b64 s[4:5], s[4:5], exec
	s_and_b64 s[8:9], s[8:9], exec
	s_or_b64 s[4:5], s[4:5], s[8:9]
	s_or_b64 exec, exec, s[6:7]
	s_and_saveexec_b64 s[6:7], s[4:5]
	s_cbranch_execnz .LBB59_1383
	s_branch .LBB59_1384
.LBB59_3433:
	s_movk_i32 s4, 0x80
	v_cmp_eq_u16_sdwa s[12:13], v11, s4 src0_sel:BYTE_0 src1_sel:DWORD
	s_mov_b64 s[4:5], -1
                                        ; implicit-def: $sgpr10
	s_and_saveexec_b64 s[8:9], s[12:13]
; %bb.3434:
	s_mov_b32 s10, 0x7f800001
	s_xor_b64 s[4:5], exec, -1
; %bb.3435:
	s_or_b64 exec, exec, s[8:9]
	s_and_b64 s[4:5], s[4:5], exec
	s_or_saveexec_b64 s[6:7], s[6:7]
	v_mov_b32_e32 v10, s10
	s_xor_b64 exec, exec, s[6:7]
	s_cbranch_execz .LBB59_1386
.LBB59_3436:
	v_mov_b32_e32 v10, 0
	v_cmp_ne_u16_sdwa s[8:9], v11, v10 src0_sel:BYTE_0 src1_sel:DWORD
	s_andn2_b64 s[4:5], s[4:5], exec
	s_and_b64 s[8:9], s[8:9], exec
	s_or_b64 s[4:5], s[4:5], s[8:9]
	s_or_b64 exec, exec, s[6:7]
	s_and_saveexec_b64 s[6:7], s[4:5]
	s_cbranch_execnz .LBB59_1387
	s_branch .LBB59_1388
.LBB59_3437:
	s_movk_i32 s4, 0x80
	v_cmp_eq_u16_sdwa s[12:13], v11, s4 src0_sel:BYTE_0 src1_sel:DWORD
	s_mov_b64 s[4:5], -1
                                        ; implicit-def: $sgpr10
	s_and_saveexec_b64 s[8:9], s[12:13]
; %bb.3438:
	s_mov_b32 s10, 0x7f800001
	s_xor_b64 s[4:5], exec, -1
; %bb.3439:
	s_or_b64 exec, exec, s[8:9]
	s_and_b64 s[4:5], s[4:5], exec
	s_or_saveexec_b64 s[6:7], s[6:7]
	v_mov_b32_e32 v12, s10
	s_xor_b64 exec, exec, s[6:7]
	s_cbranch_execz .LBB59_1390
.LBB59_3440:
	v_mov_b32_e32 v12, 0
	v_cmp_ne_u16_sdwa s[8:9], v11, v12 src0_sel:BYTE_0 src1_sel:DWORD
	s_andn2_b64 s[4:5], s[4:5], exec
	s_and_b64 s[8:9], s[8:9], exec
	s_or_b64 s[4:5], s[4:5], s[8:9]
	s_or_b64 exec, exec, s[6:7]
	s_and_saveexec_b64 s[6:7], s[4:5]
	s_cbranch_execnz .LBB59_1391
	s_branch .LBB59_1392
.LBB59_3441:
	s_movk_i32 s4, 0x80
	v_cmp_eq_u16_e32 vcc, s4, v11
	s_mov_b64 s[4:5], -1
                                        ; implicit-def: $sgpr10
	s_and_saveexec_b64 s[8:9], vcc
; %bb.3442:
	s_mov_b32 s10, 0x7f800001
	s_xor_b64 s[4:5], exec, -1
; %bb.3443:
	s_or_b64 exec, exec, s[8:9]
	s_and_b64 s[4:5], s[4:5], exec
                                        ; implicit-def: $vgpr11
	s_or_saveexec_b64 s[6:7], s[6:7]
	v_mov_b32_e32 v10, s10
	s_xor_b64 exec, exec, s[6:7]
	s_cbranch_execz .LBB59_1394
.LBB59_3444:
	v_cmp_ne_u16_e32 vcc, 0, v11
	s_andn2_b64 s[4:5], s[4:5], exec
	s_and_b64 s[8:9], vcc, exec
	v_mov_b32_e32 v10, 0
	s_or_b64 s[4:5], s[4:5], s[8:9]
	s_or_b64 exec, exec, s[6:7]
	s_and_saveexec_b64 s[6:7], s[4:5]
	s_cbranch_execnz .LBB59_1395
	s_branch .LBB59_1396
.LBB59_3445:
	s_movk_i32 s4, 0x80
	v_cmp_eq_u16_e32 vcc, s4, v11
	s_mov_b64 s[4:5], -1
                                        ; implicit-def: $sgpr10
	s_and_saveexec_b64 s[8:9], vcc
; %bb.3446:
	s_mov_b32 s10, 0x7f800001
	s_xor_b64 s[4:5], exec, -1
; %bb.3447:
	s_or_b64 exec, exec, s[8:9]
	s_and_b64 s[4:5], s[4:5], exec
                                        ; implicit-def: $vgpr11
	s_or_saveexec_b64 s[6:7], s[6:7]
	v_mov_b32_e32 v12, s10
	s_xor_b64 exec, exec, s[6:7]
	s_cbranch_execz .LBB59_1398
.LBB59_3448:
	v_cmp_ne_u16_e32 vcc, 0, v11
	s_andn2_b64 s[4:5], s[4:5], exec
	s_and_b64 s[8:9], vcc, exec
	v_mov_b32_e32 v12, 0
	s_or_b64 s[4:5], s[4:5], s[8:9]
	s_or_b64 exec, exec, s[6:7]
	s_and_saveexec_b64 s[6:7], s[4:5]
	s_cbranch_execnz .LBB59_1399
	s_branch .LBB59_1400
.LBB59_3449:
	s_movk_i32 s4, 0x80
	v_cmp_eq_u16_sdwa s[12:13], v17, s4 src0_sel:BYTE_3 src1_sel:DWORD
	s_mov_b64 s[4:5], -1
                                        ; implicit-def: $sgpr10
	s_and_saveexec_b64 s[8:9], s[12:13]
; %bb.3450:
	s_mov_b32 s10, 0x7f800001
	s_xor_b64 s[4:5], exec, -1
; %bb.3451:
	s_or_b64 exec, exec, s[8:9]
	s_and_b64 s[4:5], s[4:5], exec
	s_or_saveexec_b64 s[6:7], s[6:7]
	v_mov_b32_e32 v10, s10
	s_xor_b64 exec, exec, s[6:7]
	s_cbranch_execz .LBB59_1402
.LBB59_3452:
	v_mov_b32_e32 v10, 0
	v_cmp_ne_u16_sdwa s[8:9], v17, v10 src0_sel:BYTE_3 src1_sel:DWORD
	s_andn2_b64 s[4:5], s[4:5], exec
	s_and_b64 s[8:9], s[8:9], exec
	s_or_b64 s[4:5], s[4:5], s[8:9]
	s_or_b64 exec, exec, s[6:7]
	s_and_saveexec_b64 s[6:7], s[4:5]
	s_cbranch_execnz .LBB59_1403
	s_branch .LBB59_1404
.LBB59_3453:
	s_movk_i32 s4, 0x80
	v_cmp_eq_u16_sdwa s[12:13], v13, s4 src0_sel:BYTE_3 src1_sel:DWORD
	s_mov_b64 s[4:5], -1
                                        ; implicit-def: $sgpr10
	s_and_saveexec_b64 s[8:9], s[12:13]
; %bb.3454:
	s_mov_b32 s10, 0x7f800001
	s_xor_b64 s[4:5], exec, -1
; %bb.3455:
	s_or_b64 exec, exec, s[8:9]
	s_and_b64 s[4:5], s[4:5], exec
	s_or_saveexec_b64 s[6:7], s[6:7]
	v_mov_b32_e32 v11, s10
	s_xor_b64 exec, exec, s[6:7]
	s_cbranch_execz .LBB59_1406
.LBB59_3456:
	v_mov_b32_e32 v11, 0
	v_cmp_ne_u16_sdwa s[8:9], v13, v11 src0_sel:BYTE_3 src1_sel:DWORD
	s_andn2_b64 s[4:5], s[4:5], exec
	s_and_b64 s[8:9], s[8:9], exec
	s_or_b64 s[4:5], s[4:5], s[8:9]
	s_or_b64 exec, exec, s[6:7]
	s_and_saveexec_b64 s[6:7], s[4:5]
	s_cbranch_execnz .LBB59_1407
	s_branch .LBB59_1408
.LBB59_3457:
	s_movk_i32 s4, 0x80
	v_cmp_eq_u16_sdwa s[12:13], v6, s4 src0_sel:BYTE_0 src1_sel:DWORD
	s_mov_b64 s[4:5], -1
                                        ; implicit-def: $sgpr10
	s_and_saveexec_b64 s[8:9], s[12:13]
; %bb.3458:
	s_mov_b32 s10, 0x7f800001
	s_xor_b64 s[4:5], exec, -1
; %bb.3459:
	s_or_b64 exec, exec, s[8:9]
	s_and_b64 s[4:5], s[4:5], exec
	s_or_saveexec_b64 s[6:7], s[6:7]
	v_mov_b32_e32 v10, s10
	s_xor_b64 exec, exec, s[6:7]
	s_cbranch_execz .LBB59_1410
.LBB59_3460:
	v_mov_b32_e32 v10, 0
	v_cmp_ne_u16_sdwa s[8:9], v6, v10 src0_sel:BYTE_0 src1_sel:DWORD
	s_andn2_b64 s[4:5], s[4:5], exec
	s_and_b64 s[8:9], s[8:9], exec
	s_or_b64 s[4:5], s[4:5], s[8:9]
	s_or_b64 exec, exec, s[6:7]
	s_and_saveexec_b64 s[6:7], s[4:5]
	s_cbranch_execnz .LBB59_1411
	s_branch .LBB59_1412
.LBB59_3461:
	s_movk_i32 s4, 0x80
	v_cmp_eq_u16_sdwa s[12:13], v2, s4 src0_sel:BYTE_0 src1_sel:DWORD
	s_mov_b64 s[4:5], -1
                                        ; implicit-def: $sgpr10
	s_and_saveexec_b64 s[8:9], s[12:13]
; %bb.3462:
	s_mov_b32 s10, 0x7f800001
	s_xor_b64 s[4:5], exec, -1
; %bb.3463:
	s_or_b64 exec, exec, s[8:9]
	s_and_b64 s[4:5], s[4:5], exec
	s_or_saveexec_b64 s[6:7], s[6:7]
	v_mov_b32_e32 v11, s10
	s_xor_b64 exec, exec, s[6:7]
	s_cbranch_execz .LBB59_1414
.LBB59_3464:
	v_mov_b32_e32 v11, 0
	v_cmp_ne_u16_sdwa s[8:9], v2, v11 src0_sel:BYTE_0 src1_sel:DWORD
	s_andn2_b64 s[4:5], s[4:5], exec
	s_and_b64 s[8:9], s[8:9], exec
	s_or_b64 s[4:5], s[4:5], s[8:9]
	s_or_b64 exec, exec, s[6:7]
	s_and_saveexec_b64 s[6:7], s[4:5]
	s_cbranch_execnz .LBB59_1415
	s_branch .LBB59_1416
.LBB59_3465:
	s_movk_i32 s4, 0x80
	v_cmp_eq_u16_sdwa s[12:13], v11, s4 src0_sel:BYTE_0 src1_sel:DWORD
	s_mov_b64 s[4:5], -1
                                        ; implicit-def: $sgpr10
	s_and_saveexec_b64 s[8:9], s[12:13]
; %bb.3466:
	s_mov_b32 s10, 0x7f800001
	s_xor_b64 s[4:5], exec, -1
; %bb.3467:
	s_or_b64 exec, exec, s[8:9]
	s_and_b64 s[4:5], s[4:5], exec
	s_or_saveexec_b64 s[6:7], s[6:7]
	v_mov_b32_e32 v10, s10
	s_xor_b64 exec, exec, s[6:7]
	s_cbranch_execz .LBB59_1418
.LBB59_3468:
	v_mov_b32_e32 v10, 0
	v_cmp_ne_u16_sdwa s[8:9], v11, v10 src0_sel:BYTE_0 src1_sel:DWORD
	s_andn2_b64 s[4:5], s[4:5], exec
	s_and_b64 s[8:9], s[8:9], exec
	s_or_b64 s[4:5], s[4:5], s[8:9]
	s_or_b64 exec, exec, s[6:7]
	s_and_saveexec_b64 s[6:7], s[4:5]
	s_cbranch_execnz .LBB59_1419
	s_branch .LBB59_1420
.LBB59_3469:
	s_movk_i32 s4, 0x80
	v_cmp_eq_u16_sdwa s[12:13], v11, s4 src0_sel:BYTE_0 src1_sel:DWORD
	s_mov_b64 s[4:5], -1
                                        ; implicit-def: $sgpr10
	s_and_saveexec_b64 s[8:9], s[12:13]
; %bb.3470:
	s_mov_b32 s10, 0x7f800001
	s_xor_b64 s[4:5], exec, -1
; %bb.3471:
	s_or_b64 exec, exec, s[8:9]
	s_and_b64 s[4:5], s[4:5], exec
	s_or_saveexec_b64 s[6:7], s[6:7]
	v_mov_b32_e32 v12, s10
	s_xor_b64 exec, exec, s[6:7]
	s_cbranch_execz .LBB59_1422
.LBB59_3472:
	v_mov_b32_e32 v12, 0
	v_cmp_ne_u16_sdwa s[8:9], v11, v12 src0_sel:BYTE_0 src1_sel:DWORD
	s_andn2_b64 s[4:5], s[4:5], exec
	s_and_b64 s[8:9], s[8:9], exec
	s_or_b64 s[4:5], s[4:5], s[8:9]
	s_or_b64 exec, exec, s[6:7]
	s_and_saveexec_b64 s[6:7], s[4:5]
	s_cbranch_execnz .LBB59_1423
	s_branch .LBB59_1424
.LBB59_3473:
	s_movk_i32 s4, 0x80
	v_cmp_eq_u16_e32 vcc, s4, v11
	s_mov_b64 s[4:5], -1
                                        ; implicit-def: $sgpr10
	s_and_saveexec_b64 s[8:9], vcc
; %bb.3474:
	s_mov_b32 s10, 0x7f800001
	s_xor_b64 s[4:5], exec, -1
; %bb.3475:
	s_or_b64 exec, exec, s[8:9]
	s_and_b64 s[4:5], s[4:5], exec
                                        ; implicit-def: $vgpr11
	s_or_saveexec_b64 s[6:7], s[6:7]
	v_mov_b32_e32 v10, s10
	s_xor_b64 exec, exec, s[6:7]
	s_cbranch_execz .LBB59_1426
.LBB59_3476:
	v_cmp_ne_u16_e32 vcc, 0, v11
	s_andn2_b64 s[4:5], s[4:5], exec
	s_and_b64 s[8:9], vcc, exec
	v_mov_b32_e32 v10, 0
	s_or_b64 s[4:5], s[4:5], s[8:9]
	s_or_b64 exec, exec, s[6:7]
	s_and_saveexec_b64 s[6:7], s[4:5]
	s_cbranch_execnz .LBB59_1427
	s_branch .LBB59_1428
.LBB59_3477:
	s_movk_i32 s4, 0x80
	v_cmp_eq_u16_e32 vcc, s4, v11
	s_mov_b64 s[4:5], -1
                                        ; implicit-def: $sgpr10
	s_and_saveexec_b64 s[8:9], vcc
; %bb.3478:
	s_mov_b32 s10, 0x7f800001
	s_xor_b64 s[4:5], exec, -1
; %bb.3479:
	s_or_b64 exec, exec, s[8:9]
	s_and_b64 s[4:5], s[4:5], exec
                                        ; implicit-def: $vgpr11
	s_or_saveexec_b64 s[6:7], s[6:7]
	v_mov_b32_e32 v12, s10
	s_xor_b64 exec, exec, s[6:7]
	s_cbranch_execz .LBB59_1430
.LBB59_3480:
	v_cmp_ne_u16_e32 vcc, 0, v11
	s_andn2_b64 s[4:5], s[4:5], exec
	s_and_b64 s[8:9], vcc, exec
	v_mov_b32_e32 v12, 0
	s_or_b64 s[4:5], s[4:5], s[8:9]
	s_or_b64 exec, exec, s[6:7]
	s_and_saveexec_b64 s[6:7], s[4:5]
	s_cbranch_execnz .LBB59_1431
	s_branch .LBB59_1432
.LBB59_3481:
	s_movk_i32 s4, 0x80
	v_cmp_eq_u16_sdwa s[12:13], v6, s4 src0_sel:BYTE_3 src1_sel:DWORD
	s_mov_b64 s[4:5], -1
                                        ; implicit-def: $sgpr10
	s_and_saveexec_b64 s[8:9], s[12:13]
; %bb.3482:
	s_mov_b32 s10, 0x7f800001
	s_xor_b64 s[4:5], exec, -1
; %bb.3483:
	s_or_b64 exec, exec, s[8:9]
	s_and_b64 s[4:5], s[4:5], exec
	s_or_saveexec_b64 s[6:7], s[6:7]
	v_mov_b32_e32 v10, s10
	s_xor_b64 exec, exec, s[6:7]
	s_cbranch_execz .LBB59_1434
.LBB59_3484:
	v_mov_b32_e32 v10, 0
	v_cmp_ne_u16_sdwa s[8:9], v6, v10 src0_sel:BYTE_3 src1_sel:DWORD
	s_andn2_b64 s[4:5], s[4:5], exec
	s_and_b64 s[8:9], s[8:9], exec
	s_or_b64 s[4:5], s[4:5], s[8:9]
	s_or_b64 exec, exec, s[6:7]
	s_and_saveexec_b64 s[6:7], s[4:5]
	s_cbranch_execnz .LBB59_1435
	s_branch .LBB59_1436
.LBB59_3485:
	s_movk_i32 s4, 0x80
	v_cmp_eq_u16_sdwa s[12:13], v2, s4 src0_sel:BYTE_3 src1_sel:DWORD
	s_mov_b64 s[4:5], -1
                                        ; implicit-def: $sgpr10
	s_and_saveexec_b64 s[8:9], s[12:13]
; %bb.3486:
	s_mov_b32 s10, 0x7f800001
	s_xor_b64 s[4:5], exec, -1
; %bb.3487:
	s_or_b64 exec, exec, s[8:9]
	s_and_b64 s[4:5], s[4:5], exec
	s_or_saveexec_b64 s[6:7], s[6:7]
	v_mov_b32_e32 v6, s10
	s_xor_b64 exec, exec, s[6:7]
	s_cbranch_execz .LBB59_1438
.LBB59_3488:
	v_mov_b32_e32 v6, 0
	v_cmp_ne_u16_sdwa s[8:9], v2, v6 src0_sel:BYTE_3 src1_sel:DWORD
	s_andn2_b64 s[4:5], s[4:5], exec
	s_and_b64 s[8:9], s[8:9], exec
	s_or_b64 s[4:5], s[4:5], s[8:9]
	s_or_b64 exec, exec, s[6:7]
	s_and_saveexec_b64 s[6:7], s[4:5]
	s_cbranch_execnz .LBB59_1439
	s_branch .LBB59_1440
.LBB59_3489:
	s_movk_i32 s4, 0x80
	v_cmp_eq_u16_sdwa s[12:13], v7, s4 src0_sel:BYTE_0 src1_sel:DWORD
	s_mov_b64 s[4:5], -1
                                        ; implicit-def: $sgpr10
	s_and_saveexec_b64 s[8:9], s[12:13]
; %bb.3490:
	s_mov_b32 s10, 0x7f800001
	s_xor_b64 s[4:5], exec, -1
; %bb.3491:
	s_or_b64 exec, exec, s[8:9]
	s_and_b64 s[4:5], s[4:5], exec
	s_or_saveexec_b64 s[6:7], s[6:7]
	v_mov_b32_e32 v2, s10
	s_xor_b64 exec, exec, s[6:7]
	s_cbranch_execz .LBB59_1442
.LBB59_3492:
	v_mov_b32_e32 v2, 0
	v_cmp_ne_u16_sdwa s[8:9], v7, v2 src0_sel:BYTE_0 src1_sel:DWORD
	s_andn2_b64 s[4:5], s[4:5], exec
	s_and_b64 s[8:9], s[8:9], exec
	s_or_b64 s[4:5], s[4:5], s[8:9]
	s_or_b64 exec, exec, s[6:7]
	s_and_saveexec_b64 s[6:7], s[4:5]
	s_cbranch_execnz .LBB59_1443
	s_branch .LBB59_1444
.LBB59_3493:
	s_movk_i32 s4, 0x80
	v_cmp_eq_u16_sdwa s[12:13], v3, s4 src0_sel:BYTE_0 src1_sel:DWORD
	s_mov_b64 s[4:5], -1
                                        ; implicit-def: $sgpr10
	s_and_saveexec_b64 s[8:9], s[12:13]
; %bb.3494:
	s_mov_b32 s10, 0x7f800001
	s_xor_b64 s[4:5], exec, -1
; %bb.3495:
	s_or_b64 exec, exec, s[8:9]
	s_and_b64 s[4:5], s[4:5], exec
	s_or_saveexec_b64 s[6:7], s[6:7]
	v_mov_b32_e32 v6, s10
	s_xor_b64 exec, exec, s[6:7]
	s_cbranch_execz .LBB59_1446
.LBB59_3496:
	v_mov_b32_e32 v6, 0
	v_cmp_ne_u16_sdwa s[8:9], v3, v6 src0_sel:BYTE_0 src1_sel:DWORD
	s_andn2_b64 s[4:5], s[4:5], exec
	s_and_b64 s[8:9], s[8:9], exec
	s_or_b64 s[4:5], s[4:5], s[8:9]
	s_or_b64 exec, exec, s[6:7]
	s_and_saveexec_b64 s[6:7], s[4:5]
	s_cbranch_execnz .LBB59_1447
	s_branch .LBB59_1448
.LBB59_3497:
	s_movk_i32 s4, 0x80
	v_cmp_eq_u16_sdwa s[12:13], v6, s4 src0_sel:BYTE_0 src1_sel:DWORD
	s_mov_b64 s[4:5], -1
                                        ; implicit-def: $sgpr10
	s_and_saveexec_b64 s[8:9], s[12:13]
; %bb.3498:
	s_mov_b32 s10, 0x7f800001
	s_xor_b64 s[4:5], exec, -1
; %bb.3499:
	s_or_b64 exec, exec, s[8:9]
	s_and_b64 s[4:5], s[4:5], exec
	s_or_saveexec_b64 s[6:7], s[6:7]
	v_mov_b32_e32 v2, s10
	s_xor_b64 exec, exec, s[6:7]
	s_cbranch_execz .LBB59_1450
.LBB59_3500:
	v_mov_b32_e32 v2, 0
	v_cmp_ne_u16_sdwa s[8:9], v6, v2 src0_sel:BYTE_0 src1_sel:DWORD
	s_andn2_b64 s[4:5], s[4:5], exec
	s_and_b64 s[8:9], s[8:9], exec
	s_or_b64 s[4:5], s[4:5], s[8:9]
	s_or_b64 exec, exec, s[6:7]
	s_and_saveexec_b64 s[6:7], s[4:5]
	s_cbranch_execnz .LBB59_1451
	s_branch .LBB59_1452
.LBB59_3501:
	s_movk_i32 s4, 0x80
	v_cmp_eq_u16_sdwa s[12:13], v6, s4 src0_sel:BYTE_0 src1_sel:DWORD
	s_mov_b64 s[4:5], -1
                                        ; implicit-def: $sgpr10
	s_and_saveexec_b64 s[8:9], s[12:13]
; %bb.3502:
	s_mov_b32 s10, 0x7f800001
	s_xor_b64 s[4:5], exec, -1
; %bb.3503:
	s_or_b64 exec, exec, s[8:9]
	s_and_b64 s[4:5], s[4:5], exec
	s_or_saveexec_b64 s[6:7], s[6:7]
	v_mov_b32_e32 v10, s10
	s_xor_b64 exec, exec, s[6:7]
	s_cbranch_execz .LBB59_1454
.LBB59_3504:
	v_mov_b32_e32 v10, 0
	v_cmp_ne_u16_sdwa s[8:9], v6, v10 src0_sel:BYTE_0 src1_sel:DWORD
	s_andn2_b64 s[4:5], s[4:5], exec
	s_and_b64 s[8:9], s[8:9], exec
	s_or_b64 s[4:5], s[4:5], s[8:9]
	s_or_b64 exec, exec, s[6:7]
	s_and_saveexec_b64 s[6:7], s[4:5]
	s_cbranch_execnz .LBB59_1455
	s_branch .LBB59_1456
.LBB59_3505:
	s_movk_i32 s4, 0x80
	v_cmp_eq_u16_e32 vcc, s4, v6
	s_mov_b64 s[4:5], -1
                                        ; implicit-def: $sgpr10
	s_and_saveexec_b64 s[8:9], vcc
; %bb.3506:
	s_mov_b32 s10, 0x7f800001
	s_xor_b64 s[4:5], exec, -1
; %bb.3507:
	s_or_b64 exec, exec, s[8:9]
	s_and_b64 s[4:5], s[4:5], exec
                                        ; implicit-def: $vgpr6
	s_or_saveexec_b64 s[6:7], s[6:7]
	v_mov_b32_e32 v2, s10
	s_xor_b64 exec, exec, s[6:7]
	s_cbranch_execz .LBB59_1458
.LBB59_3508:
	v_cmp_ne_u16_e32 vcc, 0, v6
	s_andn2_b64 s[4:5], s[4:5], exec
	s_and_b64 s[8:9], vcc, exec
	v_mov_b32_e32 v2, 0
	s_or_b64 s[4:5], s[4:5], s[8:9]
	s_or_b64 exec, exec, s[6:7]
	s_and_saveexec_b64 s[6:7], s[4:5]
	s_cbranch_execnz .LBB59_1459
	s_branch .LBB59_1460
.LBB59_3509:
	s_movk_i32 s4, 0x80
	v_cmp_eq_u16_e32 vcc, s4, v6
	s_mov_b64 s[4:5], -1
                                        ; implicit-def: $sgpr10
	s_and_saveexec_b64 s[8:9], vcc
; %bb.3510:
	s_mov_b32 s10, 0x7f800001
	s_xor_b64 s[4:5], exec, -1
; %bb.3511:
	s_or_b64 exec, exec, s[8:9]
	s_and_b64 s[4:5], s[4:5], exec
                                        ; implicit-def: $vgpr6
	s_or_saveexec_b64 s[6:7], s[6:7]
	v_mov_b32_e32 v10, s10
	s_xor_b64 exec, exec, s[6:7]
	s_cbranch_execz .LBB59_1462
.LBB59_3512:
	v_cmp_ne_u16_e32 vcc, 0, v6
	s_andn2_b64 s[4:5], s[4:5], exec
	s_and_b64 s[8:9], vcc, exec
	v_mov_b32_e32 v10, 0
	s_or_b64 s[4:5], s[4:5], s[8:9]
	s_or_b64 exec, exec, s[6:7]
	s_and_saveexec_b64 s[6:7], s[4:5]
	s_cbranch_execnz .LBB59_1463
	s_branch .LBB59_1464
.LBB59_3513:
	s_movk_i32 s4, 0x80
	v_cmp_eq_u16_sdwa s[12:13], v7, s4 src0_sel:BYTE_3 src1_sel:DWORD
	s_mov_b64 s[4:5], -1
                                        ; implicit-def: $sgpr10
	s_and_saveexec_b64 s[8:9], s[12:13]
; %bb.3514:
	s_mov_b32 s10, 0x7f800001
	s_xor_b64 s[4:5], exec, -1
; %bb.3515:
	s_or_b64 exec, exec, s[8:9]
	s_and_b64 s[4:5], s[4:5], exec
	s_or_saveexec_b64 s[6:7], s[6:7]
	v_mov_b32_e32 v2, s10
	s_xor_b64 exec, exec, s[6:7]
	s_cbranch_execz .LBB59_1466
.LBB59_3516:
	v_mov_b32_e32 v2, 0
	v_cmp_ne_u16_sdwa s[8:9], v7, v2 src0_sel:BYTE_3 src1_sel:DWORD
	s_andn2_b64 s[4:5], s[4:5], exec
	s_and_b64 s[8:9], s[8:9], exec
	s_or_b64 s[4:5], s[4:5], s[8:9]
	s_or_b64 exec, exec, s[6:7]
	s_and_saveexec_b64 s[6:7], s[4:5]
	s_cbranch_execnz .LBB59_1467
	s_branch .LBB59_1468
.LBB59_3517:
	s_movk_i32 s4, 0x80
	v_cmp_eq_u16_sdwa s[12:13], v3, s4 src0_sel:BYTE_3 src1_sel:DWORD
	s_mov_b64 s[4:5], -1
                                        ; implicit-def: $sgpr10
	s_and_saveexec_b64 s[8:9], s[12:13]
; %bb.3518:
	s_mov_b32 s10, 0x7f800001
	s_xor_b64 s[4:5], exec, -1
; %bb.3519:
	s_or_b64 exec, exec, s[8:9]
	s_and_b64 s[4:5], s[4:5], exec
	s_or_saveexec_b64 s[6:7], s[6:7]
	v_mov_b32_e32 v6, s10
	s_xor_b64 exec, exec, s[6:7]
	s_cbranch_execz .LBB59_1470
.LBB59_3520:
	v_mov_b32_e32 v6, 0
	v_cmp_ne_u16_sdwa s[8:9], v3, v6 src0_sel:BYTE_3 src1_sel:DWORD
	s_andn2_b64 s[4:5], s[4:5], exec
	s_and_b64 s[8:9], s[8:9], exec
	s_or_b64 s[4:5], s[4:5], s[8:9]
	s_or_b64 exec, exec, s[6:7]
	s_and_saveexec_b64 s[6:7], s[4:5]
	s_cbranch_execnz .LBB59_1471
	s_branch .LBB59_1472
.LBB59_3521:
	s_movk_i32 s4, 0x80
	v_cmp_eq_u16_sdwa s[12:13], v8, s4 src0_sel:BYTE_0 src1_sel:DWORD
	s_mov_b64 s[4:5], -1
                                        ; implicit-def: $sgpr10
	s_and_saveexec_b64 s[8:9], s[12:13]
; %bb.3522:
	s_mov_b32 s10, 0x7f800001
	s_xor_b64 s[4:5], exec, -1
; %bb.3523:
	s_or_b64 exec, exec, s[8:9]
	s_and_b64 s[4:5], s[4:5], exec
	s_or_saveexec_b64 s[6:7], s[6:7]
	v_mov_b32_e32 v2, s10
	s_xor_b64 exec, exec, s[6:7]
	s_cbranch_execz .LBB59_1474
.LBB59_3524:
	v_mov_b32_e32 v2, 0
	v_cmp_ne_u16_sdwa s[8:9], v8, v2 src0_sel:BYTE_0 src1_sel:DWORD
	s_andn2_b64 s[4:5], s[4:5], exec
	s_and_b64 s[8:9], s[8:9], exec
	s_or_b64 s[4:5], s[4:5], s[8:9]
	s_or_b64 exec, exec, s[6:7]
	s_and_saveexec_b64 s[6:7], s[4:5]
	s_cbranch_execnz .LBB59_1475
	s_branch .LBB59_1476
.LBB59_3525:
	s_movk_i32 s4, 0x80
	v_cmp_eq_u16_sdwa s[12:13], v4, s4 src0_sel:BYTE_0 src1_sel:DWORD
	s_mov_b64 s[4:5], -1
                                        ; implicit-def: $sgpr10
	s_and_saveexec_b64 s[8:9], s[12:13]
; %bb.3526:
	s_mov_b32 s10, 0x7f800001
	s_xor_b64 s[4:5], exec, -1
; %bb.3527:
	s_or_b64 exec, exec, s[8:9]
	s_and_b64 s[4:5], s[4:5], exec
	s_or_saveexec_b64 s[6:7], s[6:7]
	v_mov_b32_e32 v3, s10
	s_xor_b64 exec, exec, s[6:7]
	s_cbranch_execz .LBB59_1478
.LBB59_3528:
	v_mov_b32_e32 v3, 0
	v_cmp_ne_u16_sdwa s[8:9], v4, v3 src0_sel:BYTE_0 src1_sel:DWORD
	s_andn2_b64 s[4:5], s[4:5], exec
	s_and_b64 s[8:9], s[8:9], exec
	s_or_b64 s[4:5], s[4:5], s[8:9]
	s_or_b64 exec, exec, s[6:7]
	s_and_saveexec_b64 s[6:7], s[4:5]
	s_cbranch_execnz .LBB59_1479
	s_branch .LBB59_1480
.LBB59_3529:
	s_movk_i32 s4, 0x80
	v_cmp_eq_u16_sdwa s[12:13], v3, s4 src0_sel:BYTE_0 src1_sel:DWORD
	s_mov_b64 s[4:5], -1
                                        ; implicit-def: $sgpr10
	s_and_saveexec_b64 s[8:9], s[12:13]
; %bb.3530:
	s_mov_b32 s10, 0x7f800001
	s_xor_b64 s[4:5], exec, -1
; %bb.3531:
	s_or_b64 exec, exec, s[8:9]
	s_and_b64 s[4:5], s[4:5], exec
	s_or_saveexec_b64 s[6:7], s[6:7]
	v_mov_b32_e32 v2, s10
	s_xor_b64 exec, exec, s[6:7]
	s_cbranch_execz .LBB59_1482
.LBB59_3532:
	v_mov_b32_e32 v2, 0
	v_cmp_ne_u16_sdwa s[8:9], v3, v2 src0_sel:BYTE_0 src1_sel:DWORD
	s_andn2_b64 s[4:5], s[4:5], exec
	s_and_b64 s[8:9], s[8:9], exec
	s_or_b64 s[4:5], s[4:5], s[8:9]
	s_or_b64 exec, exec, s[6:7]
	s_and_saveexec_b64 s[6:7], s[4:5]
	s_cbranch_execnz .LBB59_1483
	s_branch .LBB59_1484
.LBB59_3533:
	s_movk_i32 s4, 0x80
	v_cmp_eq_u16_sdwa s[12:13], v3, s4 src0_sel:BYTE_0 src1_sel:DWORD
	s_mov_b64 s[4:5], -1
                                        ; implicit-def: $sgpr10
	s_and_saveexec_b64 s[8:9], s[12:13]
; %bb.3534:
	s_mov_b32 s10, 0x7f800001
	s_xor_b64 s[4:5], exec, -1
; %bb.3535:
	s_or_b64 exec, exec, s[8:9]
	s_and_b64 s[4:5], s[4:5], exec
	s_or_saveexec_b64 s[6:7], s[6:7]
	v_mov_b32_e32 v6, s10
	s_xor_b64 exec, exec, s[6:7]
	s_cbranch_execz .LBB59_1486
.LBB59_3536:
	v_mov_b32_e32 v6, 0
	v_cmp_ne_u16_sdwa s[8:9], v3, v6 src0_sel:BYTE_0 src1_sel:DWORD
	s_andn2_b64 s[4:5], s[4:5], exec
	s_and_b64 s[8:9], s[8:9], exec
	s_or_b64 s[4:5], s[4:5], s[8:9]
	s_or_b64 exec, exec, s[6:7]
	s_and_saveexec_b64 s[6:7], s[4:5]
	s_cbranch_execnz .LBB59_1487
	s_branch .LBB59_1488
.LBB59_3537:
	s_movk_i32 s4, 0x80
	v_cmp_eq_u16_e32 vcc, s4, v3
	s_mov_b64 s[4:5], -1
                                        ; implicit-def: $sgpr10
	s_and_saveexec_b64 s[8:9], vcc
; %bb.3538:
	s_mov_b32 s10, 0x7f800001
	s_xor_b64 s[4:5], exec, -1
; %bb.3539:
	s_or_b64 exec, exec, s[8:9]
	s_and_b64 s[4:5], s[4:5], exec
                                        ; implicit-def: $vgpr3
	s_or_saveexec_b64 s[6:7], s[6:7]
	v_mov_b32_e32 v2, s10
	s_xor_b64 exec, exec, s[6:7]
	s_cbranch_execz .LBB59_1490
.LBB59_3540:
	v_cmp_ne_u16_e32 vcc, 0, v3
	s_andn2_b64 s[4:5], s[4:5], exec
	s_and_b64 s[8:9], vcc, exec
	v_mov_b32_e32 v2, 0
	s_or_b64 s[4:5], s[4:5], s[8:9]
	s_or_b64 exec, exec, s[6:7]
	s_and_saveexec_b64 s[6:7], s[4:5]
	s_cbranch_execnz .LBB59_1491
	s_branch .LBB59_1492
.LBB59_3541:
	s_movk_i32 s4, 0x80
	v_cmp_eq_u16_e32 vcc, s4, v3
	s_mov_b64 s[4:5], -1
                                        ; implicit-def: $sgpr10
	s_and_saveexec_b64 s[8:9], vcc
; %bb.3542:
	s_mov_b32 s10, 0x7f800001
	s_xor_b64 s[4:5], exec, -1
; %bb.3543:
	s_or_b64 exec, exec, s[8:9]
	s_and_b64 s[4:5], s[4:5], exec
                                        ; implicit-def: $vgpr3
	s_or_saveexec_b64 s[6:7], s[6:7]
	v_mov_b32_e32 v6, s10
	s_xor_b64 exec, exec, s[6:7]
	s_cbranch_execz .LBB59_1494
.LBB59_3544:
	v_cmp_ne_u16_e32 vcc, 0, v3
	s_andn2_b64 s[4:5], s[4:5], exec
	s_and_b64 s[8:9], vcc, exec
	v_mov_b32_e32 v6, 0
	s_or_b64 s[4:5], s[4:5], s[8:9]
	s_or_b64 exec, exec, s[6:7]
	s_and_saveexec_b64 s[6:7], s[4:5]
	s_cbranch_execnz .LBB59_1495
	s_branch .LBB59_1496
.LBB59_3545:
	s_movk_i32 s4, 0x80
	v_cmp_eq_u16_sdwa s[12:13], v8, s4 src0_sel:BYTE_3 src1_sel:DWORD
	s_mov_b64 s[4:5], -1
                                        ; implicit-def: $sgpr10
	s_and_saveexec_b64 s[8:9], s[12:13]
; %bb.3546:
	s_mov_b32 s10, 0x7f800001
	s_xor_b64 s[4:5], exec, -1
; %bb.3547:
	s_or_b64 exec, exec, s[8:9]
	s_and_b64 s[4:5], s[4:5], exec
	s_or_saveexec_b64 s[6:7], s[6:7]
	v_mov_b32_e32 v2, s10
	s_xor_b64 exec, exec, s[6:7]
	s_cbranch_execz .LBB59_1498
.LBB59_3548:
	v_mov_b32_e32 v2, 0
	v_cmp_ne_u16_sdwa s[8:9], v8, v2 src0_sel:BYTE_3 src1_sel:DWORD
	s_andn2_b64 s[4:5], s[4:5], exec
	s_and_b64 s[8:9], s[8:9], exec
	s_or_b64 s[4:5], s[4:5], s[8:9]
	s_or_b64 exec, exec, s[6:7]
	s_and_saveexec_b64 s[6:7], s[4:5]
	s_cbranch_execnz .LBB59_1499
	s_branch .LBB59_1500
.LBB59_3549:
	s_movk_i32 s4, 0x80
	v_cmp_eq_u16_sdwa s[12:13], v4, s4 src0_sel:BYTE_3 src1_sel:DWORD
	s_mov_b64 s[4:5], -1
                                        ; implicit-def: $sgpr10
	s_and_saveexec_b64 s[8:9], s[12:13]
; %bb.3550:
	s_mov_b32 s10, 0x7f800001
	s_xor_b64 s[4:5], exec, -1
; %bb.3551:
	s_or_b64 exec, exec, s[8:9]
	s_and_b64 s[4:5], s[4:5], exec
	s_or_saveexec_b64 s[6:7], s[6:7]
	v_mov_b32_e32 v3, s10
	s_xor_b64 exec, exec, s[6:7]
	s_cbranch_execz .LBB59_1502
.LBB59_3552:
	v_mov_b32_e32 v3, 0
	v_cmp_ne_u16_sdwa s[8:9], v4, v3 src0_sel:BYTE_3 src1_sel:DWORD
	s_andn2_b64 s[4:5], s[4:5], exec
	s_and_b64 s[8:9], s[8:9], exec
	s_or_b64 s[4:5], s[4:5], s[8:9]
	s_or_b64 exec, exec, s[6:7]
	s_and_saveexec_b64 s[6:7], s[4:5]
	s_cbranch_execnz .LBB59_1503
	s_branch .LBB59_1504
.LBB59_3553:
	s_movk_i32 s4, 0x80
	v_cmp_eq_u16_sdwa s[12:13], v9, s4 src0_sel:BYTE_0 src1_sel:DWORD
	s_mov_b64 s[4:5], -1
                                        ; implicit-def: $sgpr10
	s_and_saveexec_b64 s[8:9], s[12:13]
; %bb.3554:
	s_mov_b32 s10, 0x7f800001
	s_xor_b64 s[4:5], exec, -1
; %bb.3555:
	s_or_b64 exec, exec, s[8:9]
	s_and_b64 s[4:5], s[4:5], exec
	s_or_saveexec_b64 s[6:7], s[6:7]
	v_mov_b32_e32 v2, s10
	s_xor_b64 exec, exec, s[6:7]
	s_cbranch_execz .LBB59_1506
.LBB59_3556:
	v_mov_b32_e32 v2, 0
	v_cmp_ne_u16_sdwa s[8:9], v9, v2 src0_sel:BYTE_0 src1_sel:DWORD
	s_andn2_b64 s[4:5], s[4:5], exec
	s_and_b64 s[8:9], s[8:9], exec
	s_or_b64 s[4:5], s[4:5], s[8:9]
	s_or_b64 exec, exec, s[6:7]
	s_and_saveexec_b64 s[6:7], s[4:5]
	s_cbranch_execnz .LBB59_1507
	s_branch .LBB59_1508
.LBB59_3557:
	s_movk_i32 s4, 0x80
	v_cmp_eq_u16_sdwa s[12:13], v5, s4 src0_sel:BYTE_0 src1_sel:DWORD
	s_mov_b64 s[4:5], -1
                                        ; implicit-def: $sgpr10
	s_and_saveexec_b64 s[8:9], s[12:13]
; %bb.3558:
	s_mov_b32 s10, 0x7f800001
	s_xor_b64 s[4:5], exec, -1
; %bb.3559:
	s_or_b64 exec, exec, s[8:9]
	s_and_b64 s[4:5], s[4:5], exec
	s_or_saveexec_b64 s[6:7], s[6:7]
	v_mov_b32_e32 v3, s10
	s_xor_b64 exec, exec, s[6:7]
	s_cbranch_execz .LBB59_1510
.LBB59_3560:
	v_mov_b32_e32 v3, 0
	v_cmp_ne_u16_sdwa s[8:9], v5, v3 src0_sel:BYTE_0 src1_sel:DWORD
	s_andn2_b64 s[4:5], s[4:5], exec
	s_and_b64 s[8:9], s[8:9], exec
	s_or_b64 s[4:5], s[4:5], s[8:9]
	s_or_b64 exec, exec, s[6:7]
	s_and_saveexec_b64 s[6:7], s[4:5]
	s_cbranch_execnz .LBB59_1511
	s_branch .LBB59_1512
.LBB59_3561:
	s_movk_i32 s4, 0x80
	v_cmp_eq_u16_sdwa s[12:13], v3, s4 src0_sel:BYTE_0 src1_sel:DWORD
	s_mov_b64 s[4:5], -1
                                        ; implicit-def: $sgpr10
	s_and_saveexec_b64 s[8:9], s[12:13]
; %bb.3562:
	s_mov_b32 s10, 0x7f800001
	s_xor_b64 s[4:5], exec, -1
; %bb.3563:
	s_or_b64 exec, exec, s[8:9]
	s_and_b64 s[4:5], s[4:5], exec
	s_or_saveexec_b64 s[6:7], s[6:7]
	v_mov_b32_e32 v2, s10
	s_xor_b64 exec, exec, s[6:7]
	s_cbranch_execz .LBB59_1514
.LBB59_3564:
	v_mov_b32_e32 v2, 0
	v_cmp_ne_u16_sdwa s[8:9], v3, v2 src0_sel:BYTE_0 src1_sel:DWORD
	s_andn2_b64 s[4:5], s[4:5], exec
	s_and_b64 s[8:9], s[8:9], exec
	s_or_b64 s[4:5], s[4:5], s[8:9]
	s_or_b64 exec, exec, s[6:7]
	s_and_saveexec_b64 s[6:7], s[4:5]
	s_cbranch_execnz .LBB59_1515
	s_branch .LBB59_1516
.LBB59_3565:
	s_movk_i32 s4, 0x80
	v_cmp_eq_u16_sdwa s[12:13], v3, s4 src0_sel:BYTE_0 src1_sel:DWORD
	s_mov_b64 s[4:5], -1
                                        ; implicit-def: $sgpr10
	s_and_saveexec_b64 s[8:9], s[12:13]
; %bb.3566:
	s_mov_b32 s10, 0x7f800001
	s_xor_b64 s[4:5], exec, -1
; %bb.3567:
	s_or_b64 exec, exec, s[8:9]
	s_and_b64 s[4:5], s[4:5], exec
	s_or_saveexec_b64 s[6:7], s[6:7]
	v_mov_b32_e32 v4, s10
	s_xor_b64 exec, exec, s[6:7]
	s_cbranch_execz .LBB59_1518
.LBB59_3568:
	v_mov_b32_e32 v4, 0
	v_cmp_ne_u16_sdwa s[8:9], v3, v4 src0_sel:BYTE_0 src1_sel:DWORD
	s_andn2_b64 s[4:5], s[4:5], exec
	s_and_b64 s[8:9], s[8:9], exec
	s_or_b64 s[4:5], s[4:5], s[8:9]
	s_or_b64 exec, exec, s[6:7]
	s_and_saveexec_b64 s[6:7], s[4:5]
	s_cbranch_execnz .LBB59_1519
	s_branch .LBB59_1520
.LBB59_3569:
	s_movk_i32 s4, 0x80
	v_cmp_eq_u16_e32 vcc, s4, v3
	s_mov_b64 s[4:5], -1
                                        ; implicit-def: $sgpr10
	s_and_saveexec_b64 s[8:9], vcc
; %bb.3570:
	s_mov_b32 s10, 0x7f800001
	s_xor_b64 s[4:5], exec, -1
; %bb.3571:
	s_or_b64 exec, exec, s[8:9]
	s_and_b64 s[4:5], s[4:5], exec
                                        ; implicit-def: $vgpr3
	s_or_saveexec_b64 s[6:7], s[6:7]
	v_mov_b32_e32 v2, s10
	s_xor_b64 exec, exec, s[6:7]
	s_cbranch_execz .LBB59_1522
.LBB59_3572:
	v_cmp_ne_u16_e32 vcc, 0, v3
	s_andn2_b64 s[4:5], s[4:5], exec
	s_and_b64 s[8:9], vcc, exec
	v_mov_b32_e32 v2, 0
	s_or_b64 s[4:5], s[4:5], s[8:9]
	s_or_b64 exec, exec, s[6:7]
	s_and_saveexec_b64 s[6:7], s[4:5]
	s_cbranch_execnz .LBB59_1523
	s_branch .LBB59_1524
.LBB59_3573:
	s_movk_i32 s4, 0x80
	v_cmp_eq_u16_e32 vcc, s4, v3
	s_mov_b64 s[4:5], -1
                                        ; implicit-def: $sgpr10
	s_and_saveexec_b64 s[8:9], vcc
; %bb.3574:
	s_mov_b32 s10, 0x7f800001
	s_xor_b64 s[4:5], exec, -1
; %bb.3575:
	s_or_b64 exec, exec, s[8:9]
	s_and_b64 s[4:5], s[4:5], exec
                                        ; implicit-def: $vgpr3
	s_or_saveexec_b64 s[6:7], s[6:7]
	v_mov_b32_e32 v4, s10
	s_xor_b64 exec, exec, s[6:7]
	s_cbranch_execz .LBB59_1526
.LBB59_3576:
	v_cmp_ne_u16_e32 vcc, 0, v3
	s_andn2_b64 s[4:5], s[4:5], exec
	s_and_b64 s[8:9], vcc, exec
	v_mov_b32_e32 v4, 0
	s_or_b64 s[4:5], s[4:5], s[8:9]
	s_or_b64 exec, exec, s[6:7]
	s_and_saveexec_b64 s[6:7], s[4:5]
	s_cbranch_execnz .LBB59_1527
	s_branch .LBB59_1528
.LBB59_3577:
	s_movk_i32 s4, 0x80
	v_cmp_eq_u16_sdwa s[12:13], v9, s4 src0_sel:BYTE_3 src1_sel:DWORD
	s_mov_b64 s[4:5], -1
                                        ; implicit-def: $sgpr10
	s_and_saveexec_b64 s[8:9], s[12:13]
; %bb.3578:
	s_mov_b32 s10, 0x7f800001
	s_xor_b64 s[4:5], exec, -1
; %bb.3579:
	s_or_b64 exec, exec, s[8:9]
	s_and_b64 s[4:5], s[4:5], exec
	s_or_saveexec_b64 s[6:7], s[6:7]
	v_mov_b32_e32 v2, s10
	s_xor_b64 exec, exec, s[6:7]
	s_cbranch_execz .LBB59_1530
.LBB59_3580:
	v_mov_b32_e32 v2, 0
	v_cmp_ne_u16_sdwa s[8:9], v9, v2 src0_sel:BYTE_3 src1_sel:DWORD
	s_andn2_b64 s[4:5], s[4:5], exec
	s_and_b64 s[8:9], s[8:9], exec
	s_or_b64 s[4:5], s[4:5], s[8:9]
	s_or_b64 exec, exec, s[6:7]
	s_and_saveexec_b64 s[6:7], s[4:5]
	s_cbranch_execnz .LBB59_1531
	s_branch .LBB59_1532
.LBB59_3581:
	s_movk_i32 s4, 0x80
	v_cmp_eq_u16_sdwa s[12:13], v5, s4 src0_sel:BYTE_3 src1_sel:DWORD
	s_mov_b64 s[4:5], -1
                                        ; implicit-def: $sgpr10
	s_and_saveexec_b64 s[8:9], s[12:13]
; %bb.3582:
	s_mov_b32 s10, 0x7f800001
	s_xor_b64 s[4:5], exec, -1
; %bb.3583:
	s_or_b64 exec, exec, s[8:9]
	s_and_b64 s[4:5], s[4:5], exec
	s_or_saveexec_b64 s[6:7], s[6:7]
	v_mov_b32_e32 v3, s10
	s_xor_b64 exec, exec, s[6:7]
	s_cbranch_execz .LBB59_1534
.LBB59_3584:
	v_mov_b32_e32 v3, 0
	v_cmp_ne_u16_sdwa s[8:9], v5, v3 src0_sel:BYTE_3 src1_sel:DWORD
	s_andn2_b64 s[4:5], s[4:5], exec
	s_and_b64 s[8:9], s[8:9], exec
	s_or_b64 s[4:5], s[4:5], s[8:9]
	s_or_b64 exec, exec, s[6:7]
	s_and_saveexec_b64 s[6:7], s[4:5]
	s_cbranch_execnz .LBB59_1535
	s_branch .LBB59_1536
.LBB59_3585:
	s_movk_i32 s4, 0x80
	v_cmp_eq_u16_sdwa s[12:13], v14, s4 src0_sel:BYTE_0 src1_sel:DWORD
	s_mov_b64 s[4:5], -1
                                        ; implicit-def: $sgpr10
	s_and_saveexec_b64 s[8:9], s[12:13]
; %bb.3586:
	s_mov_b32 s10, 0x7f800001
	s_xor_b64 s[4:5], exec, -1
; %bb.3587:
	s_or_b64 exec, exec, s[8:9]
	s_and_b64 s[4:5], s[4:5], exec
	s_or_saveexec_b64 s[6:7], s[6:7]
	v_mov_b32_e32 v20, s10
	s_xor_b64 exec, exec, s[6:7]
	s_cbranch_execz .LBB59_1538
.LBB59_3588:
	v_mov_b32_e32 v20, 0
	v_cmp_ne_u16_sdwa s[8:9], v14, v20 src0_sel:BYTE_0 src1_sel:DWORD
	s_andn2_b64 s[4:5], s[4:5], exec
	s_and_b64 s[8:9], s[8:9], exec
	s_or_b64 s[4:5], s[4:5], s[8:9]
	s_or_b64 exec, exec, s[6:7]
	s_and_saveexec_b64 s[6:7], s[4:5]
	s_cbranch_execnz .LBB59_1539
	s_branch .LBB59_1540
.LBB59_3589:
	s_movk_i32 s4, 0x80
	v_cmp_eq_u16_sdwa s[12:13], v10, s4 src0_sel:BYTE_0 src1_sel:DWORD
	s_mov_b64 s[4:5], -1
                                        ; implicit-def: $sgpr10
	s_and_saveexec_b64 s[8:9], s[12:13]
; %bb.3590:
	s_mov_b32 s10, 0x7f800001
	s_xor_b64 s[4:5], exec, -1
; %bb.3591:
	s_or_b64 exec, exec, s[8:9]
	s_and_b64 s[4:5], s[4:5], exec
	s_or_saveexec_b64 s[6:7], s[6:7]
	v_mov_b32_e32 v21, s10
	s_xor_b64 exec, exec, s[6:7]
	s_cbranch_execz .LBB59_1542
.LBB59_3592:
	v_mov_b32_e32 v21, 0
	v_cmp_ne_u16_sdwa s[8:9], v10, v21 src0_sel:BYTE_0 src1_sel:DWORD
	s_andn2_b64 s[4:5], s[4:5], exec
	s_and_b64 s[8:9], s[8:9], exec
	s_or_b64 s[4:5], s[4:5], s[8:9]
	s_or_b64 exec, exec, s[6:7]
	s_and_saveexec_b64 s[6:7], s[4:5]
	s_cbranch_execnz .LBB59_1543
	s_branch .LBB59_1544
.LBB59_3593:
	s_movk_i32 s4, 0x80
	v_cmp_eq_u16_sdwa s[12:13], v21, s4 src0_sel:BYTE_0 src1_sel:DWORD
	s_mov_b64 s[4:5], -1
                                        ; implicit-def: $sgpr10
	s_and_saveexec_b64 s[8:9], s[12:13]
; %bb.3594:
	s_mov_b32 s10, 0x7f800001
	s_xor_b64 s[4:5], exec, -1
; %bb.3595:
	s_or_b64 exec, exec, s[8:9]
	s_and_b64 s[4:5], s[4:5], exec
	s_or_saveexec_b64 s[6:7], s[6:7]
	v_mov_b32_e32 v20, s10
	s_xor_b64 exec, exec, s[6:7]
	s_cbranch_execz .LBB59_1546
.LBB59_3596:
	v_mov_b32_e32 v20, 0
	v_cmp_ne_u16_sdwa s[8:9], v21, v20 src0_sel:BYTE_0 src1_sel:DWORD
	s_andn2_b64 s[4:5], s[4:5], exec
	s_and_b64 s[8:9], s[8:9], exec
	s_or_b64 s[4:5], s[4:5], s[8:9]
	s_or_b64 exec, exec, s[6:7]
	s_and_saveexec_b64 s[6:7], s[4:5]
	s_cbranch_execnz .LBB59_1547
	s_branch .LBB59_1548
.LBB59_3597:
	s_movk_i32 s4, 0x80
	v_cmp_eq_u16_sdwa s[12:13], v21, s4 src0_sel:BYTE_0 src1_sel:DWORD
	s_mov_b64 s[4:5], -1
                                        ; implicit-def: $sgpr10
	s_and_saveexec_b64 s[8:9], s[12:13]
; %bb.3598:
	s_mov_b32 s10, 0x7f800001
	s_xor_b64 s[4:5], exec, -1
; %bb.3599:
	s_or_b64 exec, exec, s[8:9]
	s_and_b64 s[4:5], s[4:5], exec
	s_or_saveexec_b64 s[6:7], s[6:7]
	v_mov_b32_e32 v22, s10
	s_xor_b64 exec, exec, s[6:7]
	s_cbranch_execz .LBB59_1550
.LBB59_3600:
	v_mov_b32_e32 v22, 0
	v_cmp_ne_u16_sdwa s[8:9], v21, v22 src0_sel:BYTE_0 src1_sel:DWORD
	s_andn2_b64 s[4:5], s[4:5], exec
	s_and_b64 s[8:9], s[8:9], exec
	s_or_b64 s[4:5], s[4:5], s[8:9]
	s_or_b64 exec, exec, s[6:7]
	s_and_saveexec_b64 s[6:7], s[4:5]
	s_cbranch_execnz .LBB59_1551
	s_branch .LBB59_1552
.LBB59_3601:
	s_movk_i32 s4, 0x80
	v_cmp_eq_u16_e32 vcc, s4, v21
	s_mov_b64 s[4:5], -1
                                        ; implicit-def: $sgpr10
	s_and_saveexec_b64 s[8:9], vcc
; %bb.3602:
	s_mov_b32 s10, 0x7f800001
	s_xor_b64 s[4:5], exec, -1
; %bb.3603:
	s_or_b64 exec, exec, s[8:9]
	s_and_b64 s[4:5], s[4:5], exec
                                        ; implicit-def: $vgpr21
	s_or_saveexec_b64 s[6:7], s[6:7]
	v_mov_b32_e32 v20, s10
	s_xor_b64 exec, exec, s[6:7]
	s_cbranch_execz .LBB59_1554
.LBB59_3604:
	v_cmp_ne_u16_e32 vcc, 0, v21
	s_andn2_b64 s[4:5], s[4:5], exec
	s_and_b64 s[8:9], vcc, exec
	v_mov_b32_e32 v20, 0
	s_or_b64 s[4:5], s[4:5], s[8:9]
	s_or_b64 exec, exec, s[6:7]
	s_and_saveexec_b64 s[6:7], s[4:5]
	s_cbranch_execnz .LBB59_1555
	s_branch .LBB59_1556
.LBB59_3605:
	s_movk_i32 s4, 0x80
	v_cmp_eq_u16_e32 vcc, s4, v21
	s_mov_b64 s[4:5], -1
                                        ; implicit-def: $sgpr10
	s_and_saveexec_b64 s[8:9], vcc
; %bb.3606:
	s_mov_b32 s10, 0x7f800001
	s_xor_b64 s[4:5], exec, -1
; %bb.3607:
	s_or_b64 exec, exec, s[8:9]
	s_and_b64 s[4:5], s[4:5], exec
                                        ; implicit-def: $vgpr21
	s_or_saveexec_b64 s[6:7], s[6:7]
	v_mov_b32_e32 v22, s10
	s_xor_b64 exec, exec, s[6:7]
	s_cbranch_execz .LBB59_1558
.LBB59_3608:
	v_cmp_ne_u16_e32 vcc, 0, v21
	s_andn2_b64 s[4:5], s[4:5], exec
	s_and_b64 s[8:9], vcc, exec
	v_mov_b32_e32 v22, 0
	s_or_b64 s[4:5], s[4:5], s[8:9]
	s_or_b64 exec, exec, s[6:7]
	s_and_saveexec_b64 s[6:7], s[4:5]
	s_cbranch_execnz .LBB59_1559
	s_branch .LBB59_1560
.LBB59_3609:
	s_movk_i32 s4, 0x80
	v_cmp_eq_u16_sdwa s[12:13], v14, s4 src0_sel:BYTE_3 src1_sel:DWORD
	s_mov_b64 s[4:5], -1
                                        ; implicit-def: $sgpr10
	s_and_saveexec_b64 s[8:9], s[12:13]
; %bb.3610:
	s_mov_b32 s10, 0x7f800001
	s_xor_b64 s[4:5], exec, -1
; %bb.3611:
	s_or_b64 exec, exec, s[8:9]
	s_and_b64 s[4:5], s[4:5], exec
	s_or_saveexec_b64 s[6:7], s[6:7]
	v_mov_b32_e32 v20, s10
	s_xor_b64 exec, exec, s[6:7]
	s_cbranch_execz .LBB59_1562
.LBB59_3612:
	v_mov_b32_e32 v20, 0
	v_cmp_ne_u16_sdwa s[8:9], v14, v20 src0_sel:BYTE_3 src1_sel:DWORD
	s_andn2_b64 s[4:5], s[4:5], exec
	s_and_b64 s[8:9], s[8:9], exec
	s_or_b64 s[4:5], s[4:5], s[8:9]
	s_or_b64 exec, exec, s[6:7]
	s_and_saveexec_b64 s[6:7], s[4:5]
	s_cbranch_execnz .LBB59_1563
	s_branch .LBB59_1564
.LBB59_3613:
	s_movk_i32 s4, 0x80
	v_cmp_eq_u16_sdwa s[12:13], v10, s4 src0_sel:BYTE_3 src1_sel:DWORD
	s_mov_b64 s[4:5], -1
                                        ; implicit-def: $sgpr10
	s_and_saveexec_b64 s[8:9], s[12:13]
; %bb.3614:
	s_mov_b32 s10, 0x7f800001
	s_xor_b64 s[4:5], exec, -1
; %bb.3615:
	s_or_b64 exec, exec, s[8:9]
	s_and_b64 s[4:5], s[4:5], exec
	s_or_saveexec_b64 s[6:7], s[6:7]
	v_mov_b32_e32 v14, s10
	s_xor_b64 exec, exec, s[6:7]
	s_cbranch_execz .LBB59_1566
.LBB59_3616:
	v_mov_b32_e32 v14, 0
	v_cmp_ne_u16_sdwa s[8:9], v10, v14 src0_sel:BYTE_3 src1_sel:DWORD
	s_andn2_b64 s[4:5], s[4:5], exec
	s_and_b64 s[8:9], s[8:9], exec
	s_or_b64 s[4:5], s[4:5], s[8:9]
	s_or_b64 exec, exec, s[6:7]
	s_and_saveexec_b64 s[6:7], s[4:5]
	s_cbranch_execnz .LBB59_1567
	s_branch .LBB59_1568
.LBB59_3617:
	s_movk_i32 s4, 0x80
	v_cmp_eq_u16_sdwa s[12:13], v15, s4 src0_sel:BYTE_0 src1_sel:DWORD
	s_mov_b64 s[4:5], -1
                                        ; implicit-def: $sgpr10
	s_and_saveexec_b64 s[8:9], s[12:13]
; %bb.3618:
	s_mov_b32 s10, 0x7f800001
	s_xor_b64 s[4:5], exec, -1
; %bb.3619:
	s_or_b64 exec, exec, s[8:9]
	s_and_b64 s[4:5], s[4:5], exec
	s_or_saveexec_b64 s[6:7], s[6:7]
	v_mov_b32_e32 v10, s10
	s_xor_b64 exec, exec, s[6:7]
	s_cbranch_execz .LBB59_1570
.LBB59_3620:
	v_mov_b32_e32 v10, 0
	v_cmp_ne_u16_sdwa s[8:9], v15, v10 src0_sel:BYTE_0 src1_sel:DWORD
	s_andn2_b64 s[4:5], s[4:5], exec
	s_and_b64 s[8:9], s[8:9], exec
	s_or_b64 s[4:5], s[4:5], s[8:9]
	s_or_b64 exec, exec, s[6:7]
	s_and_saveexec_b64 s[6:7], s[4:5]
	s_cbranch_execnz .LBB59_1571
	s_branch .LBB59_1572
.LBB59_3621:
	s_movk_i32 s4, 0x80
	v_cmp_eq_u16_sdwa s[12:13], v11, s4 src0_sel:BYTE_0 src1_sel:DWORD
	s_mov_b64 s[4:5], -1
                                        ; implicit-def: $sgpr10
	s_and_saveexec_b64 s[8:9], s[12:13]
; %bb.3622:
	s_mov_b32 s10, 0x7f800001
	s_xor_b64 s[4:5], exec, -1
; %bb.3623:
	s_or_b64 exec, exec, s[8:9]
	s_and_b64 s[4:5], s[4:5], exec
	s_or_saveexec_b64 s[6:7], s[6:7]
	v_mov_b32_e32 v14, s10
	s_xor_b64 exec, exec, s[6:7]
	s_cbranch_execz .LBB59_1574
.LBB59_3624:
	v_mov_b32_e32 v14, 0
	v_cmp_ne_u16_sdwa s[8:9], v11, v14 src0_sel:BYTE_0 src1_sel:DWORD
	s_andn2_b64 s[4:5], s[4:5], exec
	s_and_b64 s[8:9], s[8:9], exec
	s_or_b64 s[4:5], s[4:5], s[8:9]
	s_or_b64 exec, exec, s[6:7]
	s_and_saveexec_b64 s[6:7], s[4:5]
	s_cbranch_execnz .LBB59_1575
	s_branch .LBB59_1576
.LBB59_3625:
	s_movk_i32 s4, 0x80
	v_cmp_eq_u16_sdwa s[12:13], v14, s4 src0_sel:BYTE_0 src1_sel:DWORD
	s_mov_b64 s[4:5], -1
                                        ; implicit-def: $sgpr10
	s_and_saveexec_b64 s[8:9], s[12:13]
; %bb.3626:
	s_mov_b32 s10, 0x7f800001
	s_xor_b64 s[4:5], exec, -1
; %bb.3627:
	s_or_b64 exec, exec, s[8:9]
	s_and_b64 s[4:5], s[4:5], exec
	s_or_saveexec_b64 s[6:7], s[6:7]
	v_mov_b32_e32 v10, s10
	s_xor_b64 exec, exec, s[6:7]
	s_cbranch_execz .LBB59_1578
.LBB59_3628:
	v_mov_b32_e32 v10, 0
	v_cmp_ne_u16_sdwa s[8:9], v14, v10 src0_sel:BYTE_0 src1_sel:DWORD
	s_andn2_b64 s[4:5], s[4:5], exec
	s_and_b64 s[8:9], s[8:9], exec
	s_or_b64 s[4:5], s[4:5], s[8:9]
	s_or_b64 exec, exec, s[6:7]
	s_and_saveexec_b64 s[6:7], s[4:5]
	s_cbranch_execnz .LBB59_1579
	s_branch .LBB59_1580
.LBB59_3629:
	s_movk_i32 s4, 0x80
	v_cmp_eq_u16_sdwa s[12:13], v14, s4 src0_sel:BYTE_0 src1_sel:DWORD
	s_mov_b64 s[4:5], -1
                                        ; implicit-def: $sgpr10
	s_and_saveexec_b64 s[8:9], s[12:13]
; %bb.3630:
	s_mov_b32 s10, 0x7f800001
	s_xor_b64 s[4:5], exec, -1
; %bb.3631:
	s_or_b64 exec, exec, s[8:9]
	s_and_b64 s[4:5], s[4:5], exec
	s_or_saveexec_b64 s[6:7], s[6:7]
	v_mov_b32_e32 v20, s10
	s_xor_b64 exec, exec, s[6:7]
	s_cbranch_execz .LBB59_1582
.LBB59_3632:
	v_mov_b32_e32 v20, 0
	v_cmp_ne_u16_sdwa s[8:9], v14, v20 src0_sel:BYTE_0 src1_sel:DWORD
	s_andn2_b64 s[4:5], s[4:5], exec
	s_and_b64 s[8:9], s[8:9], exec
	s_or_b64 s[4:5], s[4:5], s[8:9]
	s_or_b64 exec, exec, s[6:7]
	s_and_saveexec_b64 s[6:7], s[4:5]
	s_cbranch_execnz .LBB59_1583
	s_branch .LBB59_1584
.LBB59_3633:
	s_movk_i32 s4, 0x80
	v_cmp_eq_u16_e32 vcc, s4, v14
	s_mov_b64 s[4:5], -1
                                        ; implicit-def: $sgpr10
	s_and_saveexec_b64 s[8:9], vcc
; %bb.3634:
	s_mov_b32 s10, 0x7f800001
	s_xor_b64 s[4:5], exec, -1
; %bb.3635:
	s_or_b64 exec, exec, s[8:9]
	s_and_b64 s[4:5], s[4:5], exec
                                        ; implicit-def: $vgpr14
	s_or_saveexec_b64 s[6:7], s[6:7]
	v_mov_b32_e32 v10, s10
	s_xor_b64 exec, exec, s[6:7]
	s_cbranch_execz .LBB59_1586
.LBB59_3636:
	v_cmp_ne_u16_e32 vcc, 0, v14
	s_andn2_b64 s[4:5], s[4:5], exec
	s_and_b64 s[8:9], vcc, exec
	v_mov_b32_e32 v10, 0
	s_or_b64 s[4:5], s[4:5], s[8:9]
	s_or_b64 exec, exec, s[6:7]
	s_and_saveexec_b64 s[6:7], s[4:5]
	s_cbranch_execnz .LBB59_1587
	s_branch .LBB59_1588
.LBB59_3637:
	s_movk_i32 s4, 0x80
	v_cmp_eq_u16_e32 vcc, s4, v14
	s_mov_b64 s[4:5], -1
                                        ; implicit-def: $sgpr10
	s_and_saveexec_b64 s[8:9], vcc
; %bb.3638:
	s_mov_b32 s10, 0x7f800001
	s_xor_b64 s[4:5], exec, -1
; %bb.3639:
	s_or_b64 exec, exec, s[8:9]
	s_and_b64 s[4:5], s[4:5], exec
                                        ; implicit-def: $vgpr14
	s_or_saveexec_b64 s[6:7], s[6:7]
	v_mov_b32_e32 v20, s10
	s_xor_b64 exec, exec, s[6:7]
	s_cbranch_execz .LBB59_1590
.LBB59_3640:
	v_cmp_ne_u16_e32 vcc, 0, v14
	s_andn2_b64 s[4:5], s[4:5], exec
	s_and_b64 s[8:9], vcc, exec
	v_mov_b32_e32 v20, 0
	s_or_b64 s[4:5], s[4:5], s[8:9]
	s_or_b64 exec, exec, s[6:7]
	s_and_saveexec_b64 s[6:7], s[4:5]
	s_cbranch_execnz .LBB59_1591
	s_branch .LBB59_1592
.LBB59_3641:
	s_movk_i32 s4, 0x80
	v_cmp_eq_u16_sdwa s[12:13], v15, s4 src0_sel:BYTE_3 src1_sel:DWORD
	s_mov_b64 s[4:5], -1
                                        ; implicit-def: $sgpr10
	s_and_saveexec_b64 s[8:9], s[12:13]
; %bb.3642:
	s_mov_b32 s10, 0x7f800001
	s_xor_b64 s[4:5], exec, -1
; %bb.3643:
	s_or_b64 exec, exec, s[8:9]
	s_and_b64 s[4:5], s[4:5], exec
	s_or_saveexec_b64 s[6:7], s[6:7]
	v_mov_b32_e32 v10, s10
	s_xor_b64 exec, exec, s[6:7]
	s_cbranch_execz .LBB59_1594
.LBB59_3644:
	v_mov_b32_e32 v10, 0
	v_cmp_ne_u16_sdwa s[8:9], v15, v10 src0_sel:BYTE_3 src1_sel:DWORD
	s_andn2_b64 s[4:5], s[4:5], exec
	s_and_b64 s[8:9], s[8:9], exec
	s_or_b64 s[4:5], s[4:5], s[8:9]
	s_or_b64 exec, exec, s[6:7]
	s_and_saveexec_b64 s[6:7], s[4:5]
	s_cbranch_execnz .LBB59_1595
	s_branch .LBB59_1596
.LBB59_3645:
	s_movk_i32 s4, 0x80
	v_cmp_eq_u16_sdwa s[12:13], v11, s4 src0_sel:BYTE_3 src1_sel:DWORD
	s_mov_b64 s[4:5], -1
                                        ; implicit-def: $sgpr10
	s_and_saveexec_b64 s[8:9], s[12:13]
; %bb.3646:
	s_mov_b32 s10, 0x7f800001
	s_xor_b64 s[4:5], exec, -1
; %bb.3647:
	s_or_b64 exec, exec, s[8:9]
	s_and_b64 s[4:5], s[4:5], exec
	s_or_saveexec_b64 s[6:7], s[6:7]
	v_mov_b32_e32 v14, s10
	s_xor_b64 exec, exec, s[6:7]
	s_cbranch_execz .LBB59_1598
.LBB59_3648:
	v_mov_b32_e32 v14, 0
	v_cmp_ne_u16_sdwa s[8:9], v11, v14 src0_sel:BYTE_3 src1_sel:DWORD
	s_andn2_b64 s[4:5], s[4:5], exec
	s_and_b64 s[8:9], s[8:9], exec
	s_or_b64 s[4:5], s[4:5], s[8:9]
	s_or_b64 exec, exec, s[6:7]
	s_and_saveexec_b64 s[6:7], s[4:5]
	s_cbranch_execnz .LBB59_1599
	s_branch .LBB59_1600
.LBB59_3649:
	s_movk_i32 s4, 0x80
	v_cmp_eq_u16_sdwa s[12:13], v16, s4 src0_sel:BYTE_0 src1_sel:DWORD
	s_mov_b64 s[4:5], -1
                                        ; implicit-def: $sgpr10
	s_and_saveexec_b64 s[8:9], s[12:13]
; %bb.3650:
	s_mov_b32 s10, 0x7f800001
	s_xor_b64 s[4:5], exec, -1
; %bb.3651:
	s_or_b64 exec, exec, s[8:9]
	s_and_b64 s[4:5], s[4:5], exec
	s_or_saveexec_b64 s[6:7], s[6:7]
	v_mov_b32_e32 v10, s10
	s_xor_b64 exec, exec, s[6:7]
	s_cbranch_execz .LBB59_1602
.LBB59_3652:
	v_mov_b32_e32 v10, 0
	v_cmp_ne_u16_sdwa s[8:9], v16, v10 src0_sel:BYTE_0 src1_sel:DWORD
	s_andn2_b64 s[4:5], s[4:5], exec
	s_and_b64 s[8:9], s[8:9], exec
	s_or_b64 s[4:5], s[4:5], s[8:9]
	s_or_b64 exec, exec, s[6:7]
	s_and_saveexec_b64 s[6:7], s[4:5]
	s_cbranch_execnz .LBB59_1603
	s_branch .LBB59_1604
.LBB59_3653:
	s_movk_i32 s4, 0x80
	v_cmp_eq_u16_sdwa s[12:13], v12, s4 src0_sel:BYTE_0 src1_sel:DWORD
	s_mov_b64 s[4:5], -1
                                        ; implicit-def: $sgpr10
	s_and_saveexec_b64 s[8:9], s[12:13]
; %bb.3654:
	s_mov_b32 s10, 0x7f800001
	s_xor_b64 s[4:5], exec, -1
; %bb.3655:
	s_or_b64 exec, exec, s[8:9]
	s_and_b64 s[4:5], s[4:5], exec
	s_or_saveexec_b64 s[6:7], s[6:7]
	v_mov_b32_e32 v11, s10
	s_xor_b64 exec, exec, s[6:7]
	s_cbranch_execz .LBB59_1606
.LBB59_3656:
	v_mov_b32_e32 v11, 0
	v_cmp_ne_u16_sdwa s[8:9], v12, v11 src0_sel:BYTE_0 src1_sel:DWORD
	s_andn2_b64 s[4:5], s[4:5], exec
	s_and_b64 s[8:9], s[8:9], exec
	s_or_b64 s[4:5], s[4:5], s[8:9]
	s_or_b64 exec, exec, s[6:7]
	s_and_saveexec_b64 s[6:7], s[4:5]
	s_cbranch_execnz .LBB59_1607
	s_branch .LBB59_1608
.LBB59_3657:
	s_movk_i32 s4, 0x80
	v_cmp_eq_u16_sdwa s[12:13], v11, s4 src0_sel:BYTE_0 src1_sel:DWORD
	s_mov_b64 s[4:5], -1
                                        ; implicit-def: $sgpr10
	s_and_saveexec_b64 s[8:9], s[12:13]
; %bb.3658:
	s_mov_b32 s10, 0x7f800001
	s_xor_b64 s[4:5], exec, -1
; %bb.3659:
	s_or_b64 exec, exec, s[8:9]
	s_and_b64 s[4:5], s[4:5], exec
	s_or_saveexec_b64 s[6:7], s[6:7]
	v_mov_b32_e32 v10, s10
	s_xor_b64 exec, exec, s[6:7]
	s_cbranch_execz .LBB59_1610
.LBB59_3660:
	v_mov_b32_e32 v10, 0
	v_cmp_ne_u16_sdwa s[8:9], v11, v10 src0_sel:BYTE_0 src1_sel:DWORD
	s_andn2_b64 s[4:5], s[4:5], exec
	s_and_b64 s[8:9], s[8:9], exec
	s_or_b64 s[4:5], s[4:5], s[8:9]
	s_or_b64 exec, exec, s[6:7]
	s_and_saveexec_b64 s[6:7], s[4:5]
	s_cbranch_execnz .LBB59_1611
	s_branch .LBB59_1612
.LBB59_3661:
	s_movk_i32 s4, 0x80
	v_cmp_eq_u16_sdwa s[12:13], v11, s4 src0_sel:BYTE_0 src1_sel:DWORD
	s_mov_b64 s[4:5], -1
                                        ; implicit-def: $sgpr10
	s_and_saveexec_b64 s[8:9], s[12:13]
; %bb.3662:
	s_mov_b32 s10, 0x7f800001
	s_xor_b64 s[4:5], exec, -1
; %bb.3663:
	s_or_b64 exec, exec, s[8:9]
	s_and_b64 s[4:5], s[4:5], exec
	s_or_saveexec_b64 s[6:7], s[6:7]
	v_mov_b32_e32 v14, s10
	s_xor_b64 exec, exec, s[6:7]
	s_cbranch_execz .LBB59_1614
.LBB59_3664:
	v_mov_b32_e32 v14, 0
	v_cmp_ne_u16_sdwa s[8:9], v11, v14 src0_sel:BYTE_0 src1_sel:DWORD
	s_andn2_b64 s[4:5], s[4:5], exec
	s_and_b64 s[8:9], s[8:9], exec
	s_or_b64 s[4:5], s[4:5], s[8:9]
	s_or_b64 exec, exec, s[6:7]
	s_and_saveexec_b64 s[6:7], s[4:5]
	s_cbranch_execnz .LBB59_1615
	s_branch .LBB59_1616
.LBB59_3665:
	s_movk_i32 s4, 0x80
	v_cmp_eq_u16_e32 vcc, s4, v11
	s_mov_b64 s[4:5], -1
                                        ; implicit-def: $sgpr10
	s_and_saveexec_b64 s[8:9], vcc
; %bb.3666:
	s_mov_b32 s10, 0x7f800001
	s_xor_b64 s[4:5], exec, -1
; %bb.3667:
	s_or_b64 exec, exec, s[8:9]
	s_and_b64 s[4:5], s[4:5], exec
                                        ; implicit-def: $vgpr11
	s_or_saveexec_b64 s[6:7], s[6:7]
	v_mov_b32_e32 v10, s10
	s_xor_b64 exec, exec, s[6:7]
	s_cbranch_execz .LBB59_1618
.LBB59_3668:
	v_cmp_ne_u16_e32 vcc, 0, v11
	s_andn2_b64 s[4:5], s[4:5], exec
	s_and_b64 s[8:9], vcc, exec
	v_mov_b32_e32 v10, 0
	s_or_b64 s[4:5], s[4:5], s[8:9]
	s_or_b64 exec, exec, s[6:7]
	s_and_saveexec_b64 s[6:7], s[4:5]
	s_cbranch_execnz .LBB59_1619
	s_branch .LBB59_1620
.LBB59_3669:
	s_movk_i32 s4, 0x80
	v_cmp_eq_u16_e32 vcc, s4, v11
	s_mov_b64 s[4:5], -1
                                        ; implicit-def: $sgpr10
	s_and_saveexec_b64 s[8:9], vcc
; %bb.3670:
	s_mov_b32 s10, 0x7f800001
	s_xor_b64 s[4:5], exec, -1
; %bb.3671:
	s_or_b64 exec, exec, s[8:9]
	s_and_b64 s[4:5], s[4:5], exec
                                        ; implicit-def: $vgpr11
	s_or_saveexec_b64 s[6:7], s[6:7]
	v_mov_b32_e32 v14, s10
	s_xor_b64 exec, exec, s[6:7]
	s_cbranch_execz .LBB59_1622
.LBB59_3672:
	v_cmp_ne_u16_e32 vcc, 0, v11
	s_andn2_b64 s[4:5], s[4:5], exec
	s_and_b64 s[8:9], vcc, exec
	v_mov_b32_e32 v14, 0
	s_or_b64 s[4:5], s[4:5], s[8:9]
	s_or_b64 exec, exec, s[6:7]
	s_and_saveexec_b64 s[6:7], s[4:5]
	s_cbranch_execnz .LBB59_1623
	s_branch .LBB59_1624
.LBB59_3673:
	s_movk_i32 s4, 0x80
	v_cmp_eq_u16_sdwa s[12:13], v16, s4 src0_sel:BYTE_3 src1_sel:DWORD
	s_mov_b64 s[4:5], -1
                                        ; implicit-def: $sgpr10
	s_and_saveexec_b64 s[8:9], s[12:13]
; %bb.3674:
	s_mov_b32 s10, 0x7f800001
	s_xor_b64 s[4:5], exec, -1
; %bb.3675:
	s_or_b64 exec, exec, s[8:9]
	s_and_b64 s[4:5], s[4:5], exec
	s_or_saveexec_b64 s[6:7], s[6:7]
	v_mov_b32_e32 v10, s10
	s_xor_b64 exec, exec, s[6:7]
	s_cbranch_execz .LBB59_1626
.LBB59_3676:
	v_mov_b32_e32 v10, 0
	v_cmp_ne_u16_sdwa s[8:9], v16, v10 src0_sel:BYTE_3 src1_sel:DWORD
	s_andn2_b64 s[4:5], s[4:5], exec
	s_and_b64 s[8:9], s[8:9], exec
	s_or_b64 s[4:5], s[4:5], s[8:9]
	s_or_b64 exec, exec, s[6:7]
	s_and_saveexec_b64 s[6:7], s[4:5]
	s_cbranch_execnz .LBB59_1627
	s_branch .LBB59_1628
.LBB59_3677:
	s_movk_i32 s4, 0x80
	v_cmp_eq_u16_sdwa s[12:13], v12, s4 src0_sel:BYTE_3 src1_sel:DWORD
	s_mov_b64 s[4:5], -1
                                        ; implicit-def: $sgpr10
	s_and_saveexec_b64 s[8:9], s[12:13]
; %bb.3678:
	s_mov_b32 s10, 0x7f800001
	s_xor_b64 s[4:5], exec, -1
; %bb.3679:
	s_or_b64 exec, exec, s[8:9]
	s_and_b64 s[4:5], s[4:5], exec
	s_or_saveexec_b64 s[6:7], s[6:7]
	v_mov_b32_e32 v11, s10
	s_xor_b64 exec, exec, s[6:7]
	s_cbranch_execz .LBB59_1630
.LBB59_3680:
	v_mov_b32_e32 v11, 0
	v_cmp_ne_u16_sdwa s[8:9], v12, v11 src0_sel:BYTE_3 src1_sel:DWORD
	s_andn2_b64 s[4:5], s[4:5], exec
	s_and_b64 s[8:9], s[8:9], exec
	s_or_b64 s[4:5], s[4:5], s[8:9]
	s_or_b64 exec, exec, s[6:7]
	s_and_saveexec_b64 s[6:7], s[4:5]
	s_cbranch_execnz .LBB59_1631
	s_branch .LBB59_1632
.LBB59_3681:
	s_movk_i32 s4, 0x80
	v_cmp_eq_u16_sdwa s[12:13], v17, s4 src0_sel:BYTE_0 src1_sel:DWORD
	s_mov_b64 s[4:5], -1
                                        ; implicit-def: $sgpr10
	s_and_saveexec_b64 s[8:9], s[12:13]
; %bb.3682:
	s_mov_b32 s10, 0x7f800001
	s_xor_b64 s[4:5], exec, -1
; %bb.3683:
	s_or_b64 exec, exec, s[8:9]
	s_and_b64 s[4:5], s[4:5], exec
	s_or_saveexec_b64 s[6:7], s[6:7]
	v_mov_b32_e32 v10, s10
	s_xor_b64 exec, exec, s[6:7]
	s_cbranch_execz .LBB59_1634
.LBB59_3684:
	v_mov_b32_e32 v10, 0
	v_cmp_ne_u16_sdwa s[8:9], v17, v10 src0_sel:BYTE_0 src1_sel:DWORD
	s_andn2_b64 s[4:5], s[4:5], exec
	s_and_b64 s[8:9], s[8:9], exec
	s_or_b64 s[4:5], s[4:5], s[8:9]
	s_or_b64 exec, exec, s[6:7]
	s_and_saveexec_b64 s[6:7], s[4:5]
	s_cbranch_execnz .LBB59_1635
	s_branch .LBB59_1636
.LBB59_3685:
	s_movk_i32 s4, 0x80
	v_cmp_eq_u16_sdwa s[12:13], v13, s4 src0_sel:BYTE_0 src1_sel:DWORD
	s_mov_b64 s[4:5], -1
                                        ; implicit-def: $sgpr10
	s_and_saveexec_b64 s[8:9], s[12:13]
; %bb.3686:
	s_mov_b32 s10, 0x7f800001
	s_xor_b64 s[4:5], exec, -1
; %bb.3687:
	s_or_b64 exec, exec, s[8:9]
	s_and_b64 s[4:5], s[4:5], exec
	s_or_saveexec_b64 s[6:7], s[6:7]
	v_mov_b32_e32 v11, s10
	s_xor_b64 exec, exec, s[6:7]
	s_cbranch_execz .LBB59_1638
.LBB59_3688:
	v_mov_b32_e32 v11, 0
	v_cmp_ne_u16_sdwa s[8:9], v13, v11 src0_sel:BYTE_0 src1_sel:DWORD
	s_andn2_b64 s[4:5], s[4:5], exec
	s_and_b64 s[8:9], s[8:9], exec
	s_or_b64 s[4:5], s[4:5], s[8:9]
	s_or_b64 exec, exec, s[6:7]
	s_and_saveexec_b64 s[6:7], s[4:5]
	s_cbranch_execnz .LBB59_1639
	s_branch .LBB59_1640
.LBB59_3689:
	s_movk_i32 s4, 0x80
	v_cmp_eq_u16_sdwa s[12:13], v11, s4 src0_sel:BYTE_0 src1_sel:DWORD
	s_mov_b64 s[4:5], -1
                                        ; implicit-def: $sgpr10
	s_and_saveexec_b64 s[8:9], s[12:13]
; %bb.3690:
	s_mov_b32 s10, 0x7f800001
	s_xor_b64 s[4:5], exec, -1
; %bb.3691:
	s_or_b64 exec, exec, s[8:9]
	s_and_b64 s[4:5], s[4:5], exec
	s_or_saveexec_b64 s[6:7], s[6:7]
	v_mov_b32_e32 v10, s10
	s_xor_b64 exec, exec, s[6:7]
	s_cbranch_execz .LBB59_1642
.LBB59_3692:
	v_mov_b32_e32 v10, 0
	v_cmp_ne_u16_sdwa s[8:9], v11, v10 src0_sel:BYTE_0 src1_sel:DWORD
	s_andn2_b64 s[4:5], s[4:5], exec
	s_and_b64 s[8:9], s[8:9], exec
	s_or_b64 s[4:5], s[4:5], s[8:9]
	s_or_b64 exec, exec, s[6:7]
	s_and_saveexec_b64 s[6:7], s[4:5]
	s_cbranch_execnz .LBB59_1643
	s_branch .LBB59_1644
.LBB59_3693:
	s_movk_i32 s4, 0x80
	v_cmp_eq_u16_sdwa s[12:13], v11, s4 src0_sel:BYTE_0 src1_sel:DWORD
	s_mov_b64 s[4:5], -1
                                        ; implicit-def: $sgpr10
	s_and_saveexec_b64 s[8:9], s[12:13]
; %bb.3694:
	s_mov_b32 s10, 0x7f800001
	s_xor_b64 s[4:5], exec, -1
; %bb.3695:
	s_or_b64 exec, exec, s[8:9]
	s_and_b64 s[4:5], s[4:5], exec
	s_or_saveexec_b64 s[6:7], s[6:7]
	v_mov_b32_e32 v12, s10
	s_xor_b64 exec, exec, s[6:7]
	s_cbranch_execz .LBB59_1646
.LBB59_3696:
	v_mov_b32_e32 v12, 0
	v_cmp_ne_u16_sdwa s[8:9], v11, v12 src0_sel:BYTE_0 src1_sel:DWORD
	s_andn2_b64 s[4:5], s[4:5], exec
	s_and_b64 s[8:9], s[8:9], exec
	s_or_b64 s[4:5], s[4:5], s[8:9]
	s_or_b64 exec, exec, s[6:7]
	s_and_saveexec_b64 s[6:7], s[4:5]
	s_cbranch_execnz .LBB59_1647
	s_branch .LBB59_1648
.LBB59_3697:
	s_movk_i32 s4, 0x80
	v_cmp_eq_u16_e32 vcc, s4, v11
	s_mov_b64 s[4:5], -1
                                        ; implicit-def: $sgpr10
	s_and_saveexec_b64 s[8:9], vcc
; %bb.3698:
	s_mov_b32 s10, 0x7f800001
	s_xor_b64 s[4:5], exec, -1
; %bb.3699:
	s_or_b64 exec, exec, s[8:9]
	s_and_b64 s[4:5], s[4:5], exec
                                        ; implicit-def: $vgpr11
	s_or_saveexec_b64 s[6:7], s[6:7]
	v_mov_b32_e32 v10, s10
	s_xor_b64 exec, exec, s[6:7]
	s_cbranch_execz .LBB59_1650
.LBB59_3700:
	v_cmp_ne_u16_e32 vcc, 0, v11
	s_andn2_b64 s[4:5], s[4:5], exec
	s_and_b64 s[8:9], vcc, exec
	v_mov_b32_e32 v10, 0
	s_or_b64 s[4:5], s[4:5], s[8:9]
	s_or_b64 exec, exec, s[6:7]
	s_and_saveexec_b64 s[6:7], s[4:5]
	s_cbranch_execnz .LBB59_1651
	s_branch .LBB59_1652
.LBB59_3701:
	s_movk_i32 s4, 0x80
	v_cmp_eq_u16_e32 vcc, s4, v11
	s_mov_b64 s[4:5], -1
                                        ; implicit-def: $sgpr10
	s_and_saveexec_b64 s[8:9], vcc
; %bb.3702:
	s_mov_b32 s10, 0x7f800001
	s_xor_b64 s[4:5], exec, -1
; %bb.3703:
	s_or_b64 exec, exec, s[8:9]
	s_and_b64 s[4:5], s[4:5], exec
                                        ; implicit-def: $vgpr11
	s_or_saveexec_b64 s[6:7], s[6:7]
	v_mov_b32_e32 v12, s10
	s_xor_b64 exec, exec, s[6:7]
	s_cbranch_execz .LBB59_1654
.LBB59_3704:
	v_cmp_ne_u16_e32 vcc, 0, v11
	s_andn2_b64 s[4:5], s[4:5], exec
	s_and_b64 s[8:9], vcc, exec
	v_mov_b32_e32 v12, 0
	s_or_b64 s[4:5], s[4:5], s[8:9]
	s_or_b64 exec, exec, s[6:7]
	s_and_saveexec_b64 s[6:7], s[4:5]
	s_cbranch_execnz .LBB59_1655
	s_branch .LBB59_1656
.LBB59_3705:
	s_movk_i32 s4, 0x80
	v_cmp_eq_u16_sdwa s[12:13], v17, s4 src0_sel:BYTE_3 src1_sel:DWORD
	s_mov_b64 s[4:5], -1
                                        ; implicit-def: $sgpr10
	s_and_saveexec_b64 s[8:9], s[12:13]
; %bb.3706:
	s_mov_b32 s10, 0x7f800001
	s_xor_b64 s[4:5], exec, -1
; %bb.3707:
	s_or_b64 exec, exec, s[8:9]
	s_and_b64 s[4:5], s[4:5], exec
	s_or_saveexec_b64 s[6:7], s[6:7]
	v_mov_b32_e32 v10, s10
	s_xor_b64 exec, exec, s[6:7]
	s_cbranch_execz .LBB59_1658
.LBB59_3708:
	v_mov_b32_e32 v10, 0
	v_cmp_ne_u16_sdwa s[8:9], v17, v10 src0_sel:BYTE_3 src1_sel:DWORD
	s_andn2_b64 s[4:5], s[4:5], exec
	s_and_b64 s[8:9], s[8:9], exec
	s_or_b64 s[4:5], s[4:5], s[8:9]
	s_or_b64 exec, exec, s[6:7]
	s_and_saveexec_b64 s[6:7], s[4:5]
	s_cbranch_execnz .LBB59_1659
	s_branch .LBB59_1660
.LBB59_3709:
	s_movk_i32 s4, 0x80
	v_cmp_eq_u16_sdwa s[12:13], v13, s4 src0_sel:BYTE_3 src1_sel:DWORD
	s_mov_b64 s[4:5], -1
                                        ; implicit-def: $sgpr10
	s_and_saveexec_b64 s[8:9], s[12:13]
; %bb.3710:
	s_mov_b32 s10, 0x7f800001
	s_xor_b64 s[4:5], exec, -1
; %bb.3711:
	s_or_b64 exec, exec, s[8:9]
	s_and_b64 s[4:5], s[4:5], exec
	s_or_saveexec_b64 s[6:7], s[6:7]
	v_mov_b32_e32 v11, s10
	s_xor_b64 exec, exec, s[6:7]
	s_cbranch_execz .LBB59_1662
.LBB59_3712:
	v_mov_b32_e32 v11, 0
	v_cmp_ne_u16_sdwa s[8:9], v13, v11 src0_sel:BYTE_3 src1_sel:DWORD
	s_andn2_b64 s[4:5], s[4:5], exec
	s_and_b64 s[8:9], s[8:9], exec
	s_or_b64 s[4:5], s[4:5], s[8:9]
	s_or_b64 exec, exec, s[6:7]
	s_and_saveexec_b64 s[6:7], s[4:5]
	s_cbranch_execnz .LBB59_1663
	s_branch .LBB59_1664
.LBB59_3713:
	s_movk_i32 s4, 0x80
	v_cmp_eq_u16_sdwa s[12:13], v6, s4 src0_sel:BYTE_0 src1_sel:DWORD
	s_mov_b64 s[4:5], -1
                                        ; implicit-def: $sgpr10
	s_and_saveexec_b64 s[8:9], s[12:13]
; %bb.3714:
	s_mov_b32 s10, 0x7f800001
	s_xor_b64 s[4:5], exec, -1
; %bb.3715:
	s_or_b64 exec, exec, s[8:9]
	s_and_b64 s[4:5], s[4:5], exec
	s_or_saveexec_b64 s[6:7], s[6:7]
	v_mov_b32_e32 v10, s10
	s_xor_b64 exec, exec, s[6:7]
	s_cbranch_execz .LBB59_1666
.LBB59_3716:
	v_mov_b32_e32 v10, 0
	v_cmp_ne_u16_sdwa s[8:9], v6, v10 src0_sel:BYTE_0 src1_sel:DWORD
	s_andn2_b64 s[4:5], s[4:5], exec
	s_and_b64 s[8:9], s[8:9], exec
	s_or_b64 s[4:5], s[4:5], s[8:9]
	s_or_b64 exec, exec, s[6:7]
	s_and_saveexec_b64 s[6:7], s[4:5]
	s_cbranch_execnz .LBB59_1667
	s_branch .LBB59_1668
.LBB59_3717:
	s_movk_i32 s4, 0x80
	v_cmp_eq_u16_sdwa s[12:13], v2, s4 src0_sel:BYTE_0 src1_sel:DWORD
	s_mov_b64 s[4:5], -1
                                        ; implicit-def: $sgpr10
	s_and_saveexec_b64 s[8:9], s[12:13]
; %bb.3718:
	s_mov_b32 s10, 0x7f800001
	s_xor_b64 s[4:5], exec, -1
; %bb.3719:
	s_or_b64 exec, exec, s[8:9]
	s_and_b64 s[4:5], s[4:5], exec
	s_or_saveexec_b64 s[6:7], s[6:7]
	v_mov_b32_e32 v11, s10
	s_xor_b64 exec, exec, s[6:7]
	s_cbranch_execz .LBB59_1670
.LBB59_3720:
	v_mov_b32_e32 v11, 0
	v_cmp_ne_u16_sdwa s[8:9], v2, v11 src0_sel:BYTE_0 src1_sel:DWORD
	s_andn2_b64 s[4:5], s[4:5], exec
	s_and_b64 s[8:9], s[8:9], exec
	s_or_b64 s[4:5], s[4:5], s[8:9]
	s_or_b64 exec, exec, s[6:7]
	s_and_saveexec_b64 s[6:7], s[4:5]
	s_cbranch_execnz .LBB59_1671
	s_branch .LBB59_1672
.LBB59_3721:
	s_movk_i32 s4, 0x80
	v_cmp_eq_u16_sdwa s[12:13], v11, s4 src0_sel:BYTE_0 src1_sel:DWORD
	s_mov_b64 s[4:5], -1
                                        ; implicit-def: $sgpr10
	s_and_saveexec_b64 s[8:9], s[12:13]
; %bb.3722:
	s_mov_b32 s10, 0x7f800001
	s_xor_b64 s[4:5], exec, -1
; %bb.3723:
	s_or_b64 exec, exec, s[8:9]
	s_and_b64 s[4:5], s[4:5], exec
	s_or_saveexec_b64 s[6:7], s[6:7]
	v_mov_b32_e32 v10, s10
	s_xor_b64 exec, exec, s[6:7]
	s_cbranch_execz .LBB59_1674
.LBB59_3724:
	v_mov_b32_e32 v10, 0
	v_cmp_ne_u16_sdwa s[8:9], v11, v10 src0_sel:BYTE_0 src1_sel:DWORD
	s_andn2_b64 s[4:5], s[4:5], exec
	s_and_b64 s[8:9], s[8:9], exec
	s_or_b64 s[4:5], s[4:5], s[8:9]
	s_or_b64 exec, exec, s[6:7]
	s_and_saveexec_b64 s[6:7], s[4:5]
	s_cbranch_execnz .LBB59_1675
	s_branch .LBB59_1676
.LBB59_3725:
	s_movk_i32 s4, 0x80
	v_cmp_eq_u16_sdwa s[12:13], v11, s4 src0_sel:BYTE_0 src1_sel:DWORD
	s_mov_b64 s[4:5], -1
                                        ; implicit-def: $sgpr10
	s_and_saveexec_b64 s[8:9], s[12:13]
; %bb.3726:
	s_mov_b32 s10, 0x7f800001
	s_xor_b64 s[4:5], exec, -1
; %bb.3727:
	s_or_b64 exec, exec, s[8:9]
	s_and_b64 s[4:5], s[4:5], exec
	s_or_saveexec_b64 s[6:7], s[6:7]
	v_mov_b32_e32 v12, s10
	s_xor_b64 exec, exec, s[6:7]
	s_cbranch_execz .LBB59_1678
.LBB59_3728:
	v_mov_b32_e32 v12, 0
	v_cmp_ne_u16_sdwa s[8:9], v11, v12 src0_sel:BYTE_0 src1_sel:DWORD
	s_andn2_b64 s[4:5], s[4:5], exec
	s_and_b64 s[8:9], s[8:9], exec
	s_or_b64 s[4:5], s[4:5], s[8:9]
	s_or_b64 exec, exec, s[6:7]
	s_and_saveexec_b64 s[6:7], s[4:5]
	s_cbranch_execnz .LBB59_1679
	s_branch .LBB59_1680
.LBB59_3729:
	s_movk_i32 s4, 0x80
	v_cmp_eq_u16_e32 vcc, s4, v11
	s_mov_b64 s[4:5], -1
                                        ; implicit-def: $sgpr10
	s_and_saveexec_b64 s[8:9], vcc
; %bb.3730:
	s_mov_b32 s10, 0x7f800001
	s_xor_b64 s[4:5], exec, -1
; %bb.3731:
	s_or_b64 exec, exec, s[8:9]
	s_and_b64 s[4:5], s[4:5], exec
                                        ; implicit-def: $vgpr11
	s_or_saveexec_b64 s[6:7], s[6:7]
	v_mov_b32_e32 v10, s10
	s_xor_b64 exec, exec, s[6:7]
	s_cbranch_execz .LBB59_1682
.LBB59_3732:
	v_cmp_ne_u16_e32 vcc, 0, v11
	s_andn2_b64 s[4:5], s[4:5], exec
	s_and_b64 s[8:9], vcc, exec
	v_mov_b32_e32 v10, 0
	s_or_b64 s[4:5], s[4:5], s[8:9]
	s_or_b64 exec, exec, s[6:7]
	s_and_saveexec_b64 s[6:7], s[4:5]
	s_cbranch_execnz .LBB59_1683
	s_branch .LBB59_1684
.LBB59_3733:
	s_movk_i32 s4, 0x80
	v_cmp_eq_u16_e32 vcc, s4, v11
	s_mov_b64 s[4:5], -1
                                        ; implicit-def: $sgpr10
	s_and_saveexec_b64 s[8:9], vcc
; %bb.3734:
	s_mov_b32 s10, 0x7f800001
	s_xor_b64 s[4:5], exec, -1
; %bb.3735:
	s_or_b64 exec, exec, s[8:9]
	s_and_b64 s[4:5], s[4:5], exec
                                        ; implicit-def: $vgpr11
	s_or_saveexec_b64 s[6:7], s[6:7]
	v_mov_b32_e32 v12, s10
	s_xor_b64 exec, exec, s[6:7]
	s_cbranch_execz .LBB59_1686
.LBB59_3736:
	v_cmp_ne_u16_e32 vcc, 0, v11
	s_andn2_b64 s[4:5], s[4:5], exec
	s_and_b64 s[8:9], vcc, exec
	v_mov_b32_e32 v12, 0
	s_or_b64 s[4:5], s[4:5], s[8:9]
	s_or_b64 exec, exec, s[6:7]
	s_and_saveexec_b64 s[6:7], s[4:5]
	s_cbranch_execnz .LBB59_1687
	s_branch .LBB59_1688
.LBB59_3737:
	s_movk_i32 s4, 0x80
	v_cmp_eq_u16_sdwa s[12:13], v6, s4 src0_sel:BYTE_3 src1_sel:DWORD
	s_mov_b64 s[4:5], -1
                                        ; implicit-def: $sgpr10
	s_and_saveexec_b64 s[8:9], s[12:13]
; %bb.3738:
	s_mov_b32 s10, 0x7f800001
	s_xor_b64 s[4:5], exec, -1
; %bb.3739:
	s_or_b64 exec, exec, s[8:9]
	s_and_b64 s[4:5], s[4:5], exec
	s_or_saveexec_b64 s[6:7], s[6:7]
	v_mov_b32_e32 v10, s10
	s_xor_b64 exec, exec, s[6:7]
	s_cbranch_execz .LBB59_1690
.LBB59_3740:
	v_mov_b32_e32 v10, 0
	v_cmp_ne_u16_sdwa s[8:9], v6, v10 src0_sel:BYTE_3 src1_sel:DWORD
	s_andn2_b64 s[4:5], s[4:5], exec
	s_and_b64 s[8:9], s[8:9], exec
	s_or_b64 s[4:5], s[4:5], s[8:9]
	s_or_b64 exec, exec, s[6:7]
	s_and_saveexec_b64 s[6:7], s[4:5]
	s_cbranch_execnz .LBB59_1691
	s_branch .LBB59_1692
.LBB59_3741:
	s_movk_i32 s4, 0x80
	v_cmp_eq_u16_sdwa s[12:13], v2, s4 src0_sel:BYTE_3 src1_sel:DWORD
	s_mov_b64 s[4:5], -1
                                        ; implicit-def: $sgpr10
	s_and_saveexec_b64 s[8:9], s[12:13]
; %bb.3742:
	s_mov_b32 s10, 0x7f800001
	s_xor_b64 s[4:5], exec, -1
; %bb.3743:
	s_or_b64 exec, exec, s[8:9]
	s_and_b64 s[4:5], s[4:5], exec
	s_or_saveexec_b64 s[6:7], s[6:7]
	v_mov_b32_e32 v6, s10
	s_xor_b64 exec, exec, s[6:7]
	s_cbranch_execz .LBB59_1694
.LBB59_3744:
	v_mov_b32_e32 v6, 0
	v_cmp_ne_u16_sdwa s[8:9], v2, v6 src0_sel:BYTE_3 src1_sel:DWORD
	s_andn2_b64 s[4:5], s[4:5], exec
	s_and_b64 s[8:9], s[8:9], exec
	s_or_b64 s[4:5], s[4:5], s[8:9]
	s_or_b64 exec, exec, s[6:7]
	s_and_saveexec_b64 s[6:7], s[4:5]
	s_cbranch_execnz .LBB59_1695
	s_branch .LBB59_1696
.LBB59_3745:
	s_movk_i32 s4, 0x80
	v_cmp_eq_u16_sdwa s[12:13], v7, s4 src0_sel:BYTE_0 src1_sel:DWORD
	s_mov_b64 s[4:5], -1
                                        ; implicit-def: $sgpr10
	s_and_saveexec_b64 s[8:9], s[12:13]
; %bb.3746:
	s_mov_b32 s10, 0x7f800001
	s_xor_b64 s[4:5], exec, -1
; %bb.3747:
	s_or_b64 exec, exec, s[8:9]
	s_and_b64 s[4:5], s[4:5], exec
	s_or_saveexec_b64 s[6:7], s[6:7]
	v_mov_b32_e32 v2, s10
	s_xor_b64 exec, exec, s[6:7]
	s_cbranch_execz .LBB59_1698
.LBB59_3748:
	v_mov_b32_e32 v2, 0
	v_cmp_ne_u16_sdwa s[8:9], v7, v2 src0_sel:BYTE_0 src1_sel:DWORD
	s_andn2_b64 s[4:5], s[4:5], exec
	s_and_b64 s[8:9], s[8:9], exec
	s_or_b64 s[4:5], s[4:5], s[8:9]
	s_or_b64 exec, exec, s[6:7]
	s_and_saveexec_b64 s[6:7], s[4:5]
	s_cbranch_execnz .LBB59_1699
	s_branch .LBB59_1700
.LBB59_3749:
	s_movk_i32 s4, 0x80
	v_cmp_eq_u16_sdwa s[12:13], v3, s4 src0_sel:BYTE_0 src1_sel:DWORD
	s_mov_b64 s[4:5], -1
                                        ; implicit-def: $sgpr10
	s_and_saveexec_b64 s[8:9], s[12:13]
; %bb.3750:
	s_mov_b32 s10, 0x7f800001
	s_xor_b64 s[4:5], exec, -1
; %bb.3751:
	s_or_b64 exec, exec, s[8:9]
	s_and_b64 s[4:5], s[4:5], exec
	s_or_saveexec_b64 s[6:7], s[6:7]
	v_mov_b32_e32 v6, s10
	s_xor_b64 exec, exec, s[6:7]
	s_cbranch_execz .LBB59_1702
.LBB59_3752:
	v_mov_b32_e32 v6, 0
	v_cmp_ne_u16_sdwa s[8:9], v3, v6 src0_sel:BYTE_0 src1_sel:DWORD
	s_andn2_b64 s[4:5], s[4:5], exec
	s_and_b64 s[8:9], s[8:9], exec
	s_or_b64 s[4:5], s[4:5], s[8:9]
	s_or_b64 exec, exec, s[6:7]
	s_and_saveexec_b64 s[6:7], s[4:5]
	s_cbranch_execnz .LBB59_1703
	s_branch .LBB59_1704
.LBB59_3753:
	s_movk_i32 s4, 0x80
	v_cmp_eq_u16_sdwa s[12:13], v6, s4 src0_sel:BYTE_0 src1_sel:DWORD
	s_mov_b64 s[4:5], -1
                                        ; implicit-def: $sgpr10
	s_and_saveexec_b64 s[8:9], s[12:13]
; %bb.3754:
	s_mov_b32 s10, 0x7f800001
	s_xor_b64 s[4:5], exec, -1
; %bb.3755:
	s_or_b64 exec, exec, s[8:9]
	s_and_b64 s[4:5], s[4:5], exec
	s_or_saveexec_b64 s[6:7], s[6:7]
	v_mov_b32_e32 v2, s10
	s_xor_b64 exec, exec, s[6:7]
	s_cbranch_execz .LBB59_1706
.LBB59_3756:
	v_mov_b32_e32 v2, 0
	v_cmp_ne_u16_sdwa s[8:9], v6, v2 src0_sel:BYTE_0 src1_sel:DWORD
	s_andn2_b64 s[4:5], s[4:5], exec
	s_and_b64 s[8:9], s[8:9], exec
	s_or_b64 s[4:5], s[4:5], s[8:9]
	s_or_b64 exec, exec, s[6:7]
	s_and_saveexec_b64 s[6:7], s[4:5]
	s_cbranch_execnz .LBB59_1707
	s_branch .LBB59_1708
.LBB59_3757:
	s_movk_i32 s4, 0x80
	v_cmp_eq_u16_sdwa s[12:13], v6, s4 src0_sel:BYTE_0 src1_sel:DWORD
	s_mov_b64 s[4:5], -1
                                        ; implicit-def: $sgpr10
	s_and_saveexec_b64 s[8:9], s[12:13]
; %bb.3758:
	s_mov_b32 s10, 0x7f800001
	s_xor_b64 s[4:5], exec, -1
; %bb.3759:
	s_or_b64 exec, exec, s[8:9]
	s_and_b64 s[4:5], s[4:5], exec
	s_or_saveexec_b64 s[6:7], s[6:7]
	v_mov_b32_e32 v10, s10
	s_xor_b64 exec, exec, s[6:7]
	s_cbranch_execz .LBB59_1710
.LBB59_3760:
	v_mov_b32_e32 v10, 0
	v_cmp_ne_u16_sdwa s[8:9], v6, v10 src0_sel:BYTE_0 src1_sel:DWORD
	s_andn2_b64 s[4:5], s[4:5], exec
	s_and_b64 s[8:9], s[8:9], exec
	s_or_b64 s[4:5], s[4:5], s[8:9]
	s_or_b64 exec, exec, s[6:7]
	s_and_saveexec_b64 s[6:7], s[4:5]
	s_cbranch_execnz .LBB59_1711
	s_branch .LBB59_1712
.LBB59_3761:
	s_movk_i32 s4, 0x80
	v_cmp_eq_u16_e32 vcc, s4, v6
	s_mov_b64 s[4:5], -1
                                        ; implicit-def: $sgpr10
	s_and_saveexec_b64 s[8:9], vcc
; %bb.3762:
	s_mov_b32 s10, 0x7f800001
	s_xor_b64 s[4:5], exec, -1
; %bb.3763:
	s_or_b64 exec, exec, s[8:9]
	s_and_b64 s[4:5], s[4:5], exec
                                        ; implicit-def: $vgpr6
	s_or_saveexec_b64 s[6:7], s[6:7]
	v_mov_b32_e32 v2, s10
	s_xor_b64 exec, exec, s[6:7]
	s_cbranch_execz .LBB59_1714
.LBB59_3764:
	v_cmp_ne_u16_e32 vcc, 0, v6
	s_andn2_b64 s[4:5], s[4:5], exec
	s_and_b64 s[8:9], vcc, exec
	v_mov_b32_e32 v2, 0
	s_or_b64 s[4:5], s[4:5], s[8:9]
	s_or_b64 exec, exec, s[6:7]
	s_and_saveexec_b64 s[6:7], s[4:5]
	s_cbranch_execnz .LBB59_1715
	s_branch .LBB59_1716
.LBB59_3765:
	s_movk_i32 s4, 0x80
	v_cmp_eq_u16_e32 vcc, s4, v6
	s_mov_b64 s[4:5], -1
                                        ; implicit-def: $sgpr10
	s_and_saveexec_b64 s[8:9], vcc
; %bb.3766:
	s_mov_b32 s10, 0x7f800001
	s_xor_b64 s[4:5], exec, -1
; %bb.3767:
	s_or_b64 exec, exec, s[8:9]
	s_and_b64 s[4:5], s[4:5], exec
                                        ; implicit-def: $vgpr6
	s_or_saveexec_b64 s[6:7], s[6:7]
	v_mov_b32_e32 v10, s10
	s_xor_b64 exec, exec, s[6:7]
	s_cbranch_execz .LBB59_1718
.LBB59_3768:
	v_cmp_ne_u16_e32 vcc, 0, v6
	s_andn2_b64 s[4:5], s[4:5], exec
	s_and_b64 s[8:9], vcc, exec
	v_mov_b32_e32 v10, 0
	s_or_b64 s[4:5], s[4:5], s[8:9]
	s_or_b64 exec, exec, s[6:7]
	s_and_saveexec_b64 s[6:7], s[4:5]
	s_cbranch_execnz .LBB59_1719
	s_branch .LBB59_1720
.LBB59_3769:
	s_movk_i32 s4, 0x80
	v_cmp_eq_u16_sdwa s[12:13], v7, s4 src0_sel:BYTE_3 src1_sel:DWORD
	s_mov_b64 s[4:5], -1
                                        ; implicit-def: $sgpr10
	s_and_saveexec_b64 s[8:9], s[12:13]
; %bb.3770:
	s_mov_b32 s10, 0x7f800001
	s_xor_b64 s[4:5], exec, -1
; %bb.3771:
	s_or_b64 exec, exec, s[8:9]
	s_and_b64 s[4:5], s[4:5], exec
	s_or_saveexec_b64 s[6:7], s[6:7]
	v_mov_b32_e32 v2, s10
	s_xor_b64 exec, exec, s[6:7]
	s_cbranch_execz .LBB59_1722
.LBB59_3772:
	v_mov_b32_e32 v2, 0
	v_cmp_ne_u16_sdwa s[8:9], v7, v2 src0_sel:BYTE_3 src1_sel:DWORD
	s_andn2_b64 s[4:5], s[4:5], exec
	s_and_b64 s[8:9], s[8:9], exec
	s_or_b64 s[4:5], s[4:5], s[8:9]
	s_or_b64 exec, exec, s[6:7]
	s_and_saveexec_b64 s[6:7], s[4:5]
	s_cbranch_execnz .LBB59_1723
	s_branch .LBB59_1724
.LBB59_3773:
	s_movk_i32 s4, 0x80
	v_cmp_eq_u16_sdwa s[12:13], v3, s4 src0_sel:BYTE_3 src1_sel:DWORD
	s_mov_b64 s[4:5], -1
                                        ; implicit-def: $sgpr10
	s_and_saveexec_b64 s[8:9], s[12:13]
; %bb.3774:
	s_mov_b32 s10, 0x7f800001
	s_xor_b64 s[4:5], exec, -1
; %bb.3775:
	s_or_b64 exec, exec, s[8:9]
	s_and_b64 s[4:5], s[4:5], exec
	s_or_saveexec_b64 s[6:7], s[6:7]
	v_mov_b32_e32 v6, s10
	s_xor_b64 exec, exec, s[6:7]
	s_cbranch_execz .LBB59_1726
.LBB59_3776:
	v_mov_b32_e32 v6, 0
	v_cmp_ne_u16_sdwa s[8:9], v3, v6 src0_sel:BYTE_3 src1_sel:DWORD
	s_andn2_b64 s[4:5], s[4:5], exec
	s_and_b64 s[8:9], s[8:9], exec
	s_or_b64 s[4:5], s[4:5], s[8:9]
	s_or_b64 exec, exec, s[6:7]
	s_and_saveexec_b64 s[6:7], s[4:5]
	s_cbranch_execnz .LBB59_1727
	s_branch .LBB59_1728
.LBB59_3777:
	s_movk_i32 s4, 0x80
	v_cmp_eq_u16_sdwa s[12:13], v8, s4 src0_sel:BYTE_0 src1_sel:DWORD
	s_mov_b64 s[4:5], -1
                                        ; implicit-def: $sgpr10
	s_and_saveexec_b64 s[8:9], s[12:13]
; %bb.3778:
	s_mov_b32 s10, 0x7f800001
	s_xor_b64 s[4:5], exec, -1
; %bb.3779:
	s_or_b64 exec, exec, s[8:9]
	s_and_b64 s[4:5], s[4:5], exec
	s_or_saveexec_b64 s[6:7], s[6:7]
	v_mov_b32_e32 v2, s10
	s_xor_b64 exec, exec, s[6:7]
	s_cbranch_execz .LBB59_1730
.LBB59_3780:
	v_mov_b32_e32 v2, 0
	v_cmp_ne_u16_sdwa s[8:9], v8, v2 src0_sel:BYTE_0 src1_sel:DWORD
	s_andn2_b64 s[4:5], s[4:5], exec
	s_and_b64 s[8:9], s[8:9], exec
	s_or_b64 s[4:5], s[4:5], s[8:9]
	s_or_b64 exec, exec, s[6:7]
	s_and_saveexec_b64 s[6:7], s[4:5]
	s_cbranch_execnz .LBB59_1731
	s_branch .LBB59_1732
.LBB59_3781:
	s_movk_i32 s4, 0x80
	v_cmp_eq_u16_sdwa s[12:13], v4, s4 src0_sel:BYTE_0 src1_sel:DWORD
	s_mov_b64 s[4:5], -1
                                        ; implicit-def: $sgpr10
	s_and_saveexec_b64 s[8:9], s[12:13]
; %bb.3782:
	s_mov_b32 s10, 0x7f800001
	s_xor_b64 s[4:5], exec, -1
; %bb.3783:
	s_or_b64 exec, exec, s[8:9]
	s_and_b64 s[4:5], s[4:5], exec
	s_or_saveexec_b64 s[6:7], s[6:7]
	v_mov_b32_e32 v3, s10
	s_xor_b64 exec, exec, s[6:7]
	s_cbranch_execz .LBB59_1734
.LBB59_3784:
	v_mov_b32_e32 v3, 0
	v_cmp_ne_u16_sdwa s[8:9], v4, v3 src0_sel:BYTE_0 src1_sel:DWORD
	s_andn2_b64 s[4:5], s[4:5], exec
	s_and_b64 s[8:9], s[8:9], exec
	s_or_b64 s[4:5], s[4:5], s[8:9]
	s_or_b64 exec, exec, s[6:7]
	s_and_saveexec_b64 s[6:7], s[4:5]
	s_cbranch_execnz .LBB59_1735
	s_branch .LBB59_1736
.LBB59_3785:
	s_movk_i32 s4, 0x80
	v_cmp_eq_u16_sdwa s[12:13], v3, s4 src0_sel:BYTE_0 src1_sel:DWORD
	s_mov_b64 s[4:5], -1
                                        ; implicit-def: $sgpr10
	s_and_saveexec_b64 s[8:9], s[12:13]
; %bb.3786:
	s_mov_b32 s10, 0x7f800001
	s_xor_b64 s[4:5], exec, -1
; %bb.3787:
	s_or_b64 exec, exec, s[8:9]
	s_and_b64 s[4:5], s[4:5], exec
	s_or_saveexec_b64 s[6:7], s[6:7]
	v_mov_b32_e32 v2, s10
	s_xor_b64 exec, exec, s[6:7]
	s_cbranch_execz .LBB59_1738
.LBB59_3788:
	v_mov_b32_e32 v2, 0
	v_cmp_ne_u16_sdwa s[8:9], v3, v2 src0_sel:BYTE_0 src1_sel:DWORD
	s_andn2_b64 s[4:5], s[4:5], exec
	s_and_b64 s[8:9], s[8:9], exec
	s_or_b64 s[4:5], s[4:5], s[8:9]
	s_or_b64 exec, exec, s[6:7]
	s_and_saveexec_b64 s[6:7], s[4:5]
	s_cbranch_execnz .LBB59_1739
	s_branch .LBB59_1740
.LBB59_3789:
	s_movk_i32 s4, 0x80
	v_cmp_eq_u16_sdwa s[12:13], v3, s4 src0_sel:BYTE_0 src1_sel:DWORD
	s_mov_b64 s[4:5], -1
                                        ; implicit-def: $sgpr10
	s_and_saveexec_b64 s[8:9], s[12:13]
; %bb.3790:
	s_mov_b32 s10, 0x7f800001
	s_xor_b64 s[4:5], exec, -1
; %bb.3791:
	s_or_b64 exec, exec, s[8:9]
	s_and_b64 s[4:5], s[4:5], exec
	s_or_saveexec_b64 s[6:7], s[6:7]
	v_mov_b32_e32 v6, s10
	s_xor_b64 exec, exec, s[6:7]
	s_cbranch_execz .LBB59_1742
.LBB59_3792:
	v_mov_b32_e32 v6, 0
	v_cmp_ne_u16_sdwa s[8:9], v3, v6 src0_sel:BYTE_0 src1_sel:DWORD
	s_andn2_b64 s[4:5], s[4:5], exec
	s_and_b64 s[8:9], s[8:9], exec
	s_or_b64 s[4:5], s[4:5], s[8:9]
	s_or_b64 exec, exec, s[6:7]
	s_and_saveexec_b64 s[6:7], s[4:5]
	s_cbranch_execnz .LBB59_1743
	s_branch .LBB59_1744
.LBB59_3793:
	s_movk_i32 s4, 0x80
	v_cmp_eq_u16_e32 vcc, s4, v3
	s_mov_b64 s[4:5], -1
                                        ; implicit-def: $sgpr10
	s_and_saveexec_b64 s[8:9], vcc
; %bb.3794:
	s_mov_b32 s10, 0x7f800001
	s_xor_b64 s[4:5], exec, -1
; %bb.3795:
	s_or_b64 exec, exec, s[8:9]
	s_and_b64 s[4:5], s[4:5], exec
                                        ; implicit-def: $vgpr3
	s_or_saveexec_b64 s[6:7], s[6:7]
	v_mov_b32_e32 v2, s10
	s_xor_b64 exec, exec, s[6:7]
	s_cbranch_execz .LBB59_1746
.LBB59_3796:
	v_cmp_ne_u16_e32 vcc, 0, v3
	s_andn2_b64 s[4:5], s[4:5], exec
	s_and_b64 s[8:9], vcc, exec
	v_mov_b32_e32 v2, 0
	s_or_b64 s[4:5], s[4:5], s[8:9]
	s_or_b64 exec, exec, s[6:7]
	s_and_saveexec_b64 s[6:7], s[4:5]
	s_cbranch_execnz .LBB59_1747
	s_branch .LBB59_1748
.LBB59_3797:
	s_movk_i32 s4, 0x80
	v_cmp_eq_u16_e32 vcc, s4, v3
	s_mov_b64 s[4:5], -1
                                        ; implicit-def: $sgpr10
	s_and_saveexec_b64 s[8:9], vcc
; %bb.3798:
	s_mov_b32 s10, 0x7f800001
	s_xor_b64 s[4:5], exec, -1
; %bb.3799:
	s_or_b64 exec, exec, s[8:9]
	s_and_b64 s[4:5], s[4:5], exec
                                        ; implicit-def: $vgpr3
	s_or_saveexec_b64 s[6:7], s[6:7]
	v_mov_b32_e32 v6, s10
	s_xor_b64 exec, exec, s[6:7]
	s_cbranch_execz .LBB59_1750
.LBB59_3800:
	v_cmp_ne_u16_e32 vcc, 0, v3
	s_andn2_b64 s[4:5], s[4:5], exec
	s_and_b64 s[8:9], vcc, exec
	v_mov_b32_e32 v6, 0
	s_or_b64 s[4:5], s[4:5], s[8:9]
	s_or_b64 exec, exec, s[6:7]
	s_and_saveexec_b64 s[6:7], s[4:5]
	s_cbranch_execnz .LBB59_1751
	s_branch .LBB59_1752
.LBB59_3801:
	s_movk_i32 s4, 0x80
	v_cmp_eq_u16_sdwa s[12:13], v8, s4 src0_sel:BYTE_3 src1_sel:DWORD
	s_mov_b64 s[4:5], -1
                                        ; implicit-def: $sgpr10
	s_and_saveexec_b64 s[8:9], s[12:13]
; %bb.3802:
	s_mov_b32 s10, 0x7f800001
	s_xor_b64 s[4:5], exec, -1
; %bb.3803:
	s_or_b64 exec, exec, s[8:9]
	s_and_b64 s[4:5], s[4:5], exec
	s_or_saveexec_b64 s[6:7], s[6:7]
	v_mov_b32_e32 v2, s10
	s_xor_b64 exec, exec, s[6:7]
	s_cbranch_execz .LBB59_1754
.LBB59_3804:
	v_mov_b32_e32 v2, 0
	v_cmp_ne_u16_sdwa s[8:9], v8, v2 src0_sel:BYTE_3 src1_sel:DWORD
	s_andn2_b64 s[4:5], s[4:5], exec
	s_and_b64 s[8:9], s[8:9], exec
	s_or_b64 s[4:5], s[4:5], s[8:9]
	s_or_b64 exec, exec, s[6:7]
	s_and_saveexec_b64 s[6:7], s[4:5]
	s_cbranch_execnz .LBB59_1755
	s_branch .LBB59_1756
.LBB59_3805:
	s_movk_i32 s4, 0x80
	v_cmp_eq_u16_sdwa s[12:13], v4, s4 src0_sel:BYTE_3 src1_sel:DWORD
	s_mov_b64 s[4:5], -1
                                        ; implicit-def: $sgpr10
	s_and_saveexec_b64 s[8:9], s[12:13]
; %bb.3806:
	s_mov_b32 s10, 0x7f800001
	s_xor_b64 s[4:5], exec, -1
; %bb.3807:
	s_or_b64 exec, exec, s[8:9]
	s_and_b64 s[4:5], s[4:5], exec
	s_or_saveexec_b64 s[6:7], s[6:7]
	v_mov_b32_e32 v3, s10
	s_xor_b64 exec, exec, s[6:7]
	s_cbranch_execz .LBB59_1758
.LBB59_3808:
	v_mov_b32_e32 v3, 0
	v_cmp_ne_u16_sdwa s[8:9], v4, v3 src0_sel:BYTE_3 src1_sel:DWORD
	s_andn2_b64 s[4:5], s[4:5], exec
	s_and_b64 s[8:9], s[8:9], exec
	s_or_b64 s[4:5], s[4:5], s[8:9]
	s_or_b64 exec, exec, s[6:7]
	s_and_saveexec_b64 s[6:7], s[4:5]
	s_cbranch_execnz .LBB59_1759
	s_branch .LBB59_1760
.LBB59_3809:
	s_movk_i32 s4, 0x80
	v_cmp_eq_u16_sdwa s[12:13], v9, s4 src0_sel:BYTE_0 src1_sel:DWORD
	s_mov_b64 s[4:5], -1
                                        ; implicit-def: $sgpr10
	s_and_saveexec_b64 s[8:9], s[12:13]
; %bb.3810:
	s_mov_b32 s10, 0x7f800001
	s_xor_b64 s[4:5], exec, -1
; %bb.3811:
	s_or_b64 exec, exec, s[8:9]
	s_and_b64 s[4:5], s[4:5], exec
	s_or_saveexec_b64 s[6:7], s[6:7]
	v_mov_b32_e32 v2, s10
	s_xor_b64 exec, exec, s[6:7]
	s_cbranch_execz .LBB59_1762
.LBB59_3812:
	v_mov_b32_e32 v2, 0
	v_cmp_ne_u16_sdwa s[8:9], v9, v2 src0_sel:BYTE_0 src1_sel:DWORD
	s_andn2_b64 s[4:5], s[4:5], exec
	s_and_b64 s[8:9], s[8:9], exec
	s_or_b64 s[4:5], s[4:5], s[8:9]
	s_or_b64 exec, exec, s[6:7]
	s_and_saveexec_b64 s[6:7], s[4:5]
	s_cbranch_execnz .LBB59_1763
	s_branch .LBB59_1764
.LBB59_3813:
	s_movk_i32 s4, 0x80
	v_cmp_eq_u16_sdwa s[12:13], v5, s4 src0_sel:BYTE_0 src1_sel:DWORD
	s_mov_b64 s[4:5], -1
                                        ; implicit-def: $sgpr10
	s_and_saveexec_b64 s[8:9], s[12:13]
; %bb.3814:
	s_mov_b32 s10, 0x7f800001
	s_xor_b64 s[4:5], exec, -1
; %bb.3815:
	s_or_b64 exec, exec, s[8:9]
	s_and_b64 s[4:5], s[4:5], exec
	s_or_saveexec_b64 s[6:7], s[6:7]
	v_mov_b32_e32 v3, s10
	s_xor_b64 exec, exec, s[6:7]
	s_cbranch_execz .LBB59_1766
.LBB59_3816:
	v_mov_b32_e32 v3, 0
	v_cmp_ne_u16_sdwa s[8:9], v5, v3 src0_sel:BYTE_0 src1_sel:DWORD
	s_andn2_b64 s[4:5], s[4:5], exec
	s_and_b64 s[8:9], s[8:9], exec
	s_or_b64 s[4:5], s[4:5], s[8:9]
	s_or_b64 exec, exec, s[6:7]
	s_and_saveexec_b64 s[6:7], s[4:5]
	s_cbranch_execnz .LBB59_1767
	s_branch .LBB59_1768
.LBB59_3817:
	s_movk_i32 s4, 0x80
	v_cmp_eq_u16_sdwa s[12:13], v3, s4 src0_sel:BYTE_0 src1_sel:DWORD
	s_mov_b64 s[4:5], -1
                                        ; implicit-def: $sgpr10
	s_and_saveexec_b64 s[8:9], s[12:13]
; %bb.3818:
	s_mov_b32 s10, 0x7f800001
	s_xor_b64 s[4:5], exec, -1
; %bb.3819:
	s_or_b64 exec, exec, s[8:9]
	s_and_b64 s[4:5], s[4:5], exec
	s_or_saveexec_b64 s[6:7], s[6:7]
	v_mov_b32_e32 v2, s10
	s_xor_b64 exec, exec, s[6:7]
	s_cbranch_execz .LBB59_1770
.LBB59_3820:
	v_mov_b32_e32 v2, 0
	v_cmp_ne_u16_sdwa s[8:9], v3, v2 src0_sel:BYTE_0 src1_sel:DWORD
	s_andn2_b64 s[4:5], s[4:5], exec
	s_and_b64 s[8:9], s[8:9], exec
	s_or_b64 s[4:5], s[4:5], s[8:9]
	s_or_b64 exec, exec, s[6:7]
	s_and_saveexec_b64 s[6:7], s[4:5]
	s_cbranch_execnz .LBB59_1771
	s_branch .LBB59_1772
.LBB59_3821:
	s_movk_i32 s4, 0x80
	v_cmp_eq_u16_sdwa s[12:13], v3, s4 src0_sel:BYTE_0 src1_sel:DWORD
	s_mov_b64 s[4:5], -1
                                        ; implicit-def: $sgpr10
	s_and_saveexec_b64 s[8:9], s[12:13]
; %bb.3822:
	s_mov_b32 s10, 0x7f800001
	s_xor_b64 s[4:5], exec, -1
; %bb.3823:
	s_or_b64 exec, exec, s[8:9]
	s_and_b64 s[4:5], s[4:5], exec
	s_or_saveexec_b64 s[6:7], s[6:7]
	v_mov_b32_e32 v4, s10
	s_xor_b64 exec, exec, s[6:7]
	s_cbranch_execz .LBB59_1774
.LBB59_3824:
	v_mov_b32_e32 v4, 0
	v_cmp_ne_u16_sdwa s[8:9], v3, v4 src0_sel:BYTE_0 src1_sel:DWORD
	s_andn2_b64 s[4:5], s[4:5], exec
	s_and_b64 s[8:9], s[8:9], exec
	s_or_b64 s[4:5], s[4:5], s[8:9]
	s_or_b64 exec, exec, s[6:7]
	s_and_saveexec_b64 s[6:7], s[4:5]
	s_cbranch_execnz .LBB59_1775
	s_branch .LBB59_1776
.LBB59_3825:
	s_movk_i32 s4, 0x80
	v_cmp_eq_u16_e32 vcc, s4, v3
	s_mov_b64 s[4:5], -1
                                        ; implicit-def: $sgpr10
	s_and_saveexec_b64 s[8:9], vcc
; %bb.3826:
	s_mov_b32 s10, 0x7f800001
	s_xor_b64 s[4:5], exec, -1
; %bb.3827:
	s_or_b64 exec, exec, s[8:9]
	s_and_b64 s[4:5], s[4:5], exec
                                        ; implicit-def: $vgpr3
	s_or_saveexec_b64 s[6:7], s[6:7]
	v_mov_b32_e32 v2, s10
	s_xor_b64 exec, exec, s[6:7]
	s_cbranch_execz .LBB59_1778
.LBB59_3828:
	v_cmp_ne_u16_e32 vcc, 0, v3
	s_andn2_b64 s[4:5], s[4:5], exec
	s_and_b64 s[8:9], vcc, exec
	v_mov_b32_e32 v2, 0
	s_or_b64 s[4:5], s[4:5], s[8:9]
	s_or_b64 exec, exec, s[6:7]
	s_and_saveexec_b64 s[6:7], s[4:5]
	s_cbranch_execnz .LBB59_1779
	s_branch .LBB59_1780
.LBB59_3829:
	s_movk_i32 s4, 0x80
	v_cmp_eq_u16_e32 vcc, s4, v3
	s_mov_b64 s[4:5], -1
                                        ; implicit-def: $sgpr10
	s_and_saveexec_b64 s[8:9], vcc
; %bb.3830:
	s_mov_b32 s10, 0x7f800001
	s_xor_b64 s[4:5], exec, -1
; %bb.3831:
	s_or_b64 exec, exec, s[8:9]
	s_and_b64 s[4:5], s[4:5], exec
                                        ; implicit-def: $vgpr3
	s_or_saveexec_b64 s[6:7], s[6:7]
	v_mov_b32_e32 v4, s10
	s_xor_b64 exec, exec, s[6:7]
	s_cbranch_execz .LBB59_1782
.LBB59_3832:
	v_cmp_ne_u16_e32 vcc, 0, v3
	s_andn2_b64 s[4:5], s[4:5], exec
	s_and_b64 s[8:9], vcc, exec
	v_mov_b32_e32 v4, 0
	s_or_b64 s[4:5], s[4:5], s[8:9]
	s_or_b64 exec, exec, s[6:7]
	s_and_saveexec_b64 s[6:7], s[4:5]
	s_cbranch_execnz .LBB59_1783
	s_branch .LBB59_1784
.LBB59_3833:
	s_movk_i32 s4, 0x80
	v_cmp_eq_u16_sdwa s[12:13], v9, s4 src0_sel:BYTE_3 src1_sel:DWORD
	s_mov_b64 s[4:5], -1
                                        ; implicit-def: $sgpr10
	s_and_saveexec_b64 s[8:9], s[12:13]
; %bb.3834:
	s_mov_b32 s10, 0x7f800001
	s_xor_b64 s[4:5], exec, -1
; %bb.3835:
	s_or_b64 exec, exec, s[8:9]
	s_and_b64 s[4:5], s[4:5], exec
	s_or_saveexec_b64 s[6:7], s[6:7]
	v_mov_b32_e32 v2, s10
	s_xor_b64 exec, exec, s[6:7]
	s_cbranch_execz .LBB59_1786
.LBB59_3836:
	v_mov_b32_e32 v2, 0
	v_cmp_ne_u16_sdwa s[8:9], v9, v2 src0_sel:BYTE_3 src1_sel:DWORD
	s_andn2_b64 s[4:5], s[4:5], exec
	s_and_b64 s[8:9], s[8:9], exec
	s_or_b64 s[4:5], s[4:5], s[8:9]
	s_or_b64 exec, exec, s[6:7]
	s_and_saveexec_b64 s[6:7], s[4:5]
	s_cbranch_execnz .LBB59_1787
	s_branch .LBB59_1788
.LBB59_3837:
	s_movk_i32 s4, 0x80
	v_cmp_eq_u16_sdwa s[12:13], v5, s4 src0_sel:BYTE_3 src1_sel:DWORD
	s_mov_b64 s[4:5], -1
                                        ; implicit-def: $sgpr10
	s_and_saveexec_b64 s[8:9], s[12:13]
; %bb.3838:
	s_mov_b32 s10, 0x7f800001
	s_xor_b64 s[4:5], exec, -1
; %bb.3839:
	s_or_b64 exec, exec, s[8:9]
	s_and_b64 s[4:5], s[4:5], exec
	s_or_saveexec_b64 s[6:7], s[6:7]
	v_mov_b32_e32 v3, s10
	s_xor_b64 exec, exec, s[6:7]
	s_cbranch_execz .LBB59_1790
.LBB59_3840:
	v_mov_b32_e32 v3, 0
	v_cmp_ne_u16_sdwa s[8:9], v5, v3 src0_sel:BYTE_3 src1_sel:DWORD
	s_andn2_b64 s[4:5], s[4:5], exec
	s_and_b64 s[8:9], s[8:9], exec
	s_or_b64 s[4:5], s[4:5], s[8:9]
	s_or_b64 exec, exec, s[6:7]
	s_and_saveexec_b64 s[6:7], s[4:5]
	s_cbranch_execnz .LBB59_1791
	s_branch .LBB59_1792
.LBB59_3841:
	s_movk_i32 s4, 0x80
	v_cmp_eq_u16_sdwa s[12:13], v12, s4 src0_sel:BYTE_0 src1_sel:DWORD
	s_mov_b64 s[4:5], -1
                                        ; implicit-def: $sgpr10
	s_and_saveexec_b64 s[8:9], s[12:13]
; %bb.3842:
	s_mov_b32 s10, 0x7f800001
	s_xor_b64 s[4:5], exec, -1
; %bb.3843:
	s_or_b64 exec, exec, s[8:9]
	s_and_b64 s[4:5], s[4:5], exec
	s_or_saveexec_b64 s[6:7], s[6:7]
	v_mov_b32_e32 v18, s10
	s_xor_b64 exec, exec, s[6:7]
	s_cbranch_execz .LBB59_1794
.LBB59_3844:
	v_mov_b32_e32 v18, 0
	v_cmp_ne_u16_sdwa s[8:9], v12, v18 src0_sel:BYTE_0 src1_sel:DWORD
	s_andn2_b64 s[4:5], s[4:5], exec
	s_and_b64 s[8:9], s[8:9], exec
	s_or_b64 s[4:5], s[4:5], s[8:9]
	s_or_b64 exec, exec, s[6:7]
	s_and_saveexec_b64 s[6:7], s[4:5]
	s_cbranch_execnz .LBB59_1795
	s_branch .LBB59_1796
.LBB59_3845:
	s_movk_i32 s4, 0x80
	v_cmp_eq_u16_sdwa s[12:13], v8, s4 src0_sel:BYTE_0 src1_sel:DWORD
	s_mov_b64 s[4:5], -1
                                        ; implicit-def: $sgpr10
	s_and_saveexec_b64 s[8:9], s[12:13]
; %bb.3846:
	s_mov_b32 s10, 0x7f800001
	s_xor_b64 s[4:5], exec, -1
; %bb.3847:
	s_or_b64 exec, exec, s[8:9]
	s_and_b64 s[4:5], s[4:5], exec
	s_or_saveexec_b64 s[6:7], s[6:7]
	v_mov_b32_e32 v19, s10
	s_xor_b64 exec, exec, s[6:7]
	s_cbranch_execz .LBB59_1798
.LBB59_3848:
	v_mov_b32_e32 v19, 0
	v_cmp_ne_u16_sdwa s[8:9], v8, v19 src0_sel:BYTE_0 src1_sel:DWORD
	s_andn2_b64 s[4:5], s[4:5], exec
	s_and_b64 s[8:9], s[8:9], exec
	s_or_b64 s[4:5], s[4:5], s[8:9]
	s_or_b64 exec, exec, s[6:7]
	s_and_saveexec_b64 s[6:7], s[4:5]
	s_cbranch_execnz .LBB59_1799
	s_branch .LBB59_1800
.LBB59_3849:
	s_movk_i32 s4, 0x80
	v_cmp_eq_u16_sdwa s[12:13], v19, s4 src0_sel:BYTE_0 src1_sel:DWORD
	s_mov_b64 s[4:5], -1
                                        ; implicit-def: $sgpr10
	s_and_saveexec_b64 s[8:9], s[12:13]
; %bb.3850:
	s_mov_b32 s10, 0x7f800001
	s_xor_b64 s[4:5], exec, -1
; %bb.3851:
	s_or_b64 exec, exec, s[8:9]
	s_and_b64 s[4:5], s[4:5], exec
	s_or_saveexec_b64 s[6:7], s[6:7]
	v_mov_b32_e32 v18, s10
	s_xor_b64 exec, exec, s[6:7]
	s_cbranch_execz .LBB59_1802
.LBB59_3852:
	v_mov_b32_e32 v18, 0
	v_cmp_ne_u16_sdwa s[8:9], v19, v18 src0_sel:BYTE_0 src1_sel:DWORD
	s_andn2_b64 s[4:5], s[4:5], exec
	s_and_b64 s[8:9], s[8:9], exec
	s_or_b64 s[4:5], s[4:5], s[8:9]
	s_or_b64 exec, exec, s[6:7]
	s_and_saveexec_b64 s[6:7], s[4:5]
	s_cbranch_execnz .LBB59_1803
	s_branch .LBB59_1804
.LBB59_3853:
	s_movk_i32 s4, 0x80
	v_cmp_eq_u16_sdwa s[12:13], v19, s4 src0_sel:BYTE_0 src1_sel:DWORD
	s_mov_b64 s[4:5], -1
                                        ; implicit-def: $sgpr10
	s_and_saveexec_b64 s[8:9], s[12:13]
; %bb.3854:
	s_mov_b32 s10, 0x7f800001
	s_xor_b64 s[4:5], exec, -1
; %bb.3855:
	s_or_b64 exec, exec, s[8:9]
	s_and_b64 s[4:5], s[4:5], exec
	s_or_saveexec_b64 s[6:7], s[6:7]
	v_mov_b32_e32 v20, s10
	s_xor_b64 exec, exec, s[6:7]
	s_cbranch_execz .LBB59_1806
.LBB59_3856:
	v_mov_b32_e32 v20, 0
	v_cmp_ne_u16_sdwa s[8:9], v19, v20 src0_sel:BYTE_0 src1_sel:DWORD
	s_andn2_b64 s[4:5], s[4:5], exec
	s_and_b64 s[8:9], s[8:9], exec
	s_or_b64 s[4:5], s[4:5], s[8:9]
	s_or_b64 exec, exec, s[6:7]
	s_and_saveexec_b64 s[6:7], s[4:5]
	s_cbranch_execnz .LBB59_1807
	s_branch .LBB59_1808
.LBB59_3857:
	s_movk_i32 s4, 0x80
	v_cmp_eq_u16_e32 vcc, s4, v19
	s_mov_b64 s[4:5], -1
                                        ; implicit-def: $sgpr10
	s_and_saveexec_b64 s[8:9], vcc
; %bb.3858:
	s_mov_b32 s10, 0x7f800001
	s_xor_b64 s[4:5], exec, -1
; %bb.3859:
	s_or_b64 exec, exec, s[8:9]
	s_and_b64 s[4:5], s[4:5], exec
                                        ; implicit-def: $vgpr19
	s_or_saveexec_b64 s[6:7], s[6:7]
	v_mov_b32_e32 v18, s10
	s_xor_b64 exec, exec, s[6:7]
	s_cbranch_execz .LBB59_1810
.LBB59_3860:
	v_cmp_ne_u16_e32 vcc, 0, v19
	s_andn2_b64 s[4:5], s[4:5], exec
	s_and_b64 s[8:9], vcc, exec
	v_mov_b32_e32 v18, 0
	s_or_b64 s[4:5], s[4:5], s[8:9]
	s_or_b64 exec, exec, s[6:7]
	s_and_saveexec_b64 s[6:7], s[4:5]
	s_cbranch_execnz .LBB59_1811
	s_branch .LBB59_1812
.LBB59_3861:
	s_movk_i32 s4, 0x80
	v_cmp_eq_u16_e32 vcc, s4, v19
	s_mov_b64 s[4:5], -1
                                        ; implicit-def: $sgpr10
	s_and_saveexec_b64 s[8:9], vcc
; %bb.3862:
	s_mov_b32 s10, 0x7f800001
	s_xor_b64 s[4:5], exec, -1
; %bb.3863:
	s_or_b64 exec, exec, s[8:9]
	s_and_b64 s[4:5], s[4:5], exec
                                        ; implicit-def: $vgpr19
	s_or_saveexec_b64 s[6:7], s[6:7]
	v_mov_b32_e32 v20, s10
	s_xor_b64 exec, exec, s[6:7]
	s_cbranch_execz .LBB59_1814
.LBB59_3864:
	v_cmp_ne_u16_e32 vcc, 0, v19
	s_andn2_b64 s[4:5], s[4:5], exec
	s_and_b64 s[8:9], vcc, exec
	v_mov_b32_e32 v20, 0
	s_or_b64 s[4:5], s[4:5], s[8:9]
	s_or_b64 exec, exec, s[6:7]
	s_and_saveexec_b64 s[6:7], s[4:5]
	s_cbranch_execnz .LBB59_1815
	s_branch .LBB59_1816
.LBB59_3865:
	s_movk_i32 s4, 0x80
	v_cmp_eq_u16_sdwa s[12:13], v12, s4 src0_sel:BYTE_3 src1_sel:DWORD
	s_mov_b64 s[4:5], -1
                                        ; implicit-def: $sgpr10
	s_and_saveexec_b64 s[8:9], s[12:13]
; %bb.3866:
	s_mov_b32 s10, 0x7f800001
	s_xor_b64 s[4:5], exec, -1
; %bb.3867:
	s_or_b64 exec, exec, s[8:9]
	s_and_b64 s[4:5], s[4:5], exec
	s_or_saveexec_b64 s[6:7], s[6:7]
	v_mov_b32_e32 v18, s10
	s_xor_b64 exec, exec, s[6:7]
	s_cbranch_execz .LBB59_1818
.LBB59_3868:
	v_mov_b32_e32 v18, 0
	v_cmp_ne_u16_sdwa s[8:9], v12, v18 src0_sel:BYTE_3 src1_sel:DWORD
	s_andn2_b64 s[4:5], s[4:5], exec
	s_and_b64 s[8:9], s[8:9], exec
	s_or_b64 s[4:5], s[4:5], s[8:9]
	s_or_b64 exec, exec, s[6:7]
	s_and_saveexec_b64 s[6:7], s[4:5]
	s_cbranch_execnz .LBB59_1819
	s_branch .LBB59_1820
.LBB59_3869:
	s_movk_i32 s4, 0x80
	v_cmp_eq_u16_sdwa s[12:13], v8, s4 src0_sel:BYTE_3 src1_sel:DWORD
	s_mov_b64 s[4:5], -1
                                        ; implicit-def: $sgpr10
	s_and_saveexec_b64 s[8:9], s[12:13]
; %bb.3870:
	s_mov_b32 s10, 0x7f800001
	s_xor_b64 s[4:5], exec, -1
; %bb.3871:
	s_or_b64 exec, exec, s[8:9]
	s_and_b64 s[4:5], s[4:5], exec
	s_or_saveexec_b64 s[6:7], s[6:7]
	v_mov_b32_e32 v12, s10
	s_xor_b64 exec, exec, s[6:7]
	s_cbranch_execz .LBB59_1822
.LBB59_3872:
	v_mov_b32_e32 v12, 0
	v_cmp_ne_u16_sdwa s[8:9], v8, v12 src0_sel:BYTE_3 src1_sel:DWORD
	s_andn2_b64 s[4:5], s[4:5], exec
	s_and_b64 s[8:9], s[8:9], exec
	s_or_b64 s[4:5], s[4:5], s[8:9]
	s_or_b64 exec, exec, s[6:7]
	s_and_saveexec_b64 s[6:7], s[4:5]
	s_cbranch_execnz .LBB59_1823
	s_branch .LBB59_1824
.LBB59_3873:
	s_movk_i32 s4, 0x80
	v_cmp_eq_u16_sdwa s[12:13], v13, s4 src0_sel:BYTE_0 src1_sel:DWORD
	s_mov_b64 s[4:5], -1
                                        ; implicit-def: $sgpr10
	s_and_saveexec_b64 s[8:9], s[12:13]
; %bb.3874:
	s_mov_b32 s10, 0x7f800001
	s_xor_b64 s[4:5], exec, -1
; %bb.3875:
	s_or_b64 exec, exec, s[8:9]
	s_and_b64 s[4:5], s[4:5], exec
	s_or_saveexec_b64 s[6:7], s[6:7]
	v_mov_b32_e32 v8, s10
	s_xor_b64 exec, exec, s[6:7]
	s_cbranch_execz .LBB59_1826
.LBB59_3876:
	v_mov_b32_e32 v8, 0
	v_cmp_ne_u16_sdwa s[8:9], v13, v8 src0_sel:BYTE_0 src1_sel:DWORD
	s_andn2_b64 s[4:5], s[4:5], exec
	s_and_b64 s[8:9], s[8:9], exec
	s_or_b64 s[4:5], s[4:5], s[8:9]
	s_or_b64 exec, exec, s[6:7]
	s_and_saveexec_b64 s[6:7], s[4:5]
	s_cbranch_execnz .LBB59_1827
	s_branch .LBB59_1828
.LBB59_3877:
	s_movk_i32 s4, 0x80
	v_cmp_eq_u16_sdwa s[12:13], v9, s4 src0_sel:BYTE_0 src1_sel:DWORD
	s_mov_b64 s[4:5], -1
                                        ; implicit-def: $sgpr10
	s_and_saveexec_b64 s[8:9], s[12:13]
; %bb.3878:
	s_mov_b32 s10, 0x7f800001
	s_xor_b64 s[4:5], exec, -1
; %bb.3879:
	s_or_b64 exec, exec, s[8:9]
	s_and_b64 s[4:5], s[4:5], exec
	s_or_saveexec_b64 s[6:7], s[6:7]
	v_mov_b32_e32 v12, s10
	s_xor_b64 exec, exec, s[6:7]
	s_cbranch_execz .LBB59_1830
.LBB59_3880:
	v_mov_b32_e32 v12, 0
	v_cmp_ne_u16_sdwa s[8:9], v9, v12 src0_sel:BYTE_0 src1_sel:DWORD
	s_andn2_b64 s[4:5], s[4:5], exec
	s_and_b64 s[8:9], s[8:9], exec
	s_or_b64 s[4:5], s[4:5], s[8:9]
	s_or_b64 exec, exec, s[6:7]
	s_and_saveexec_b64 s[6:7], s[4:5]
	s_cbranch_execnz .LBB59_1831
	s_branch .LBB59_1832
.LBB59_3881:
	s_movk_i32 s4, 0x80
	v_cmp_eq_u16_sdwa s[12:13], v12, s4 src0_sel:BYTE_0 src1_sel:DWORD
	s_mov_b64 s[4:5], -1
                                        ; implicit-def: $sgpr10
	s_and_saveexec_b64 s[8:9], s[12:13]
; %bb.3882:
	s_mov_b32 s10, 0x7f800001
	s_xor_b64 s[4:5], exec, -1
; %bb.3883:
	s_or_b64 exec, exec, s[8:9]
	s_and_b64 s[4:5], s[4:5], exec
	s_or_saveexec_b64 s[6:7], s[6:7]
	v_mov_b32_e32 v8, s10
	s_xor_b64 exec, exec, s[6:7]
	s_cbranch_execz .LBB59_1834
.LBB59_3884:
	v_mov_b32_e32 v8, 0
	v_cmp_ne_u16_sdwa s[8:9], v12, v8 src0_sel:BYTE_0 src1_sel:DWORD
	s_andn2_b64 s[4:5], s[4:5], exec
	s_and_b64 s[8:9], s[8:9], exec
	s_or_b64 s[4:5], s[4:5], s[8:9]
	s_or_b64 exec, exec, s[6:7]
	s_and_saveexec_b64 s[6:7], s[4:5]
	s_cbranch_execnz .LBB59_1835
	s_branch .LBB59_1836
.LBB59_3885:
	s_movk_i32 s4, 0x80
	v_cmp_eq_u16_sdwa s[12:13], v12, s4 src0_sel:BYTE_0 src1_sel:DWORD
	s_mov_b64 s[4:5], -1
                                        ; implicit-def: $sgpr10
	s_and_saveexec_b64 s[8:9], s[12:13]
; %bb.3886:
	s_mov_b32 s10, 0x7f800001
	s_xor_b64 s[4:5], exec, -1
; %bb.3887:
	s_or_b64 exec, exec, s[8:9]
	s_and_b64 s[4:5], s[4:5], exec
	s_or_saveexec_b64 s[6:7], s[6:7]
	v_mov_b32_e32 v18, s10
	s_xor_b64 exec, exec, s[6:7]
	s_cbranch_execz .LBB59_1838
.LBB59_3888:
	v_mov_b32_e32 v18, 0
	v_cmp_ne_u16_sdwa s[8:9], v12, v18 src0_sel:BYTE_0 src1_sel:DWORD
	s_andn2_b64 s[4:5], s[4:5], exec
	s_and_b64 s[8:9], s[8:9], exec
	s_or_b64 s[4:5], s[4:5], s[8:9]
	s_or_b64 exec, exec, s[6:7]
	s_and_saveexec_b64 s[6:7], s[4:5]
	s_cbranch_execnz .LBB59_1839
	s_branch .LBB59_1840
.LBB59_3889:
	s_movk_i32 s4, 0x80
	v_cmp_eq_u16_e32 vcc, s4, v12
	s_mov_b64 s[4:5], -1
                                        ; implicit-def: $sgpr10
	s_and_saveexec_b64 s[8:9], vcc
; %bb.3890:
	s_mov_b32 s10, 0x7f800001
	s_xor_b64 s[4:5], exec, -1
; %bb.3891:
	s_or_b64 exec, exec, s[8:9]
	s_and_b64 s[4:5], s[4:5], exec
                                        ; implicit-def: $vgpr12
	s_or_saveexec_b64 s[6:7], s[6:7]
	v_mov_b32_e32 v8, s10
	s_xor_b64 exec, exec, s[6:7]
	s_cbranch_execz .LBB59_1842
.LBB59_3892:
	v_cmp_ne_u16_e32 vcc, 0, v12
	s_andn2_b64 s[4:5], s[4:5], exec
	s_and_b64 s[8:9], vcc, exec
	v_mov_b32_e32 v8, 0
	s_or_b64 s[4:5], s[4:5], s[8:9]
	s_or_b64 exec, exec, s[6:7]
	s_and_saveexec_b64 s[6:7], s[4:5]
	s_cbranch_execnz .LBB59_1843
	s_branch .LBB59_1844
.LBB59_3893:
	s_movk_i32 s4, 0x80
	v_cmp_eq_u16_e32 vcc, s4, v12
	s_mov_b64 s[4:5], -1
                                        ; implicit-def: $sgpr10
	s_and_saveexec_b64 s[8:9], vcc
; %bb.3894:
	s_mov_b32 s10, 0x7f800001
	s_xor_b64 s[4:5], exec, -1
; %bb.3895:
	s_or_b64 exec, exec, s[8:9]
	s_and_b64 s[4:5], s[4:5], exec
                                        ; implicit-def: $vgpr12
	s_or_saveexec_b64 s[6:7], s[6:7]
	v_mov_b32_e32 v18, s10
	s_xor_b64 exec, exec, s[6:7]
	s_cbranch_execz .LBB59_1846
.LBB59_3896:
	v_cmp_ne_u16_e32 vcc, 0, v12
	s_andn2_b64 s[4:5], s[4:5], exec
	s_and_b64 s[8:9], vcc, exec
	v_mov_b32_e32 v18, 0
	s_or_b64 s[4:5], s[4:5], s[8:9]
	s_or_b64 exec, exec, s[6:7]
	s_and_saveexec_b64 s[6:7], s[4:5]
	s_cbranch_execnz .LBB59_1847
	s_branch .LBB59_1848
.LBB59_3897:
	s_movk_i32 s4, 0x80
	v_cmp_eq_u16_sdwa s[12:13], v13, s4 src0_sel:BYTE_3 src1_sel:DWORD
	s_mov_b64 s[4:5], -1
                                        ; implicit-def: $sgpr10
	s_and_saveexec_b64 s[8:9], s[12:13]
; %bb.3898:
	s_mov_b32 s10, 0x7f800001
	s_xor_b64 s[4:5], exec, -1
; %bb.3899:
	s_or_b64 exec, exec, s[8:9]
	s_and_b64 s[4:5], s[4:5], exec
	s_or_saveexec_b64 s[6:7], s[6:7]
	v_mov_b32_e32 v8, s10
	s_xor_b64 exec, exec, s[6:7]
	s_cbranch_execz .LBB59_1850
.LBB59_3900:
	v_mov_b32_e32 v8, 0
	v_cmp_ne_u16_sdwa s[8:9], v13, v8 src0_sel:BYTE_3 src1_sel:DWORD
	s_andn2_b64 s[4:5], s[4:5], exec
	s_and_b64 s[8:9], s[8:9], exec
	s_or_b64 s[4:5], s[4:5], s[8:9]
	s_or_b64 exec, exec, s[6:7]
	s_and_saveexec_b64 s[6:7], s[4:5]
	s_cbranch_execnz .LBB59_1851
	s_branch .LBB59_1852
.LBB59_3901:
	s_movk_i32 s4, 0x80
	v_cmp_eq_u16_sdwa s[12:13], v9, s4 src0_sel:BYTE_3 src1_sel:DWORD
	s_mov_b64 s[4:5], -1
                                        ; implicit-def: $sgpr10
	s_and_saveexec_b64 s[8:9], s[12:13]
; %bb.3902:
	s_mov_b32 s10, 0x7f800001
	s_xor_b64 s[4:5], exec, -1
; %bb.3903:
	s_or_b64 exec, exec, s[8:9]
	s_and_b64 s[4:5], s[4:5], exec
	s_or_saveexec_b64 s[6:7], s[6:7]
	v_mov_b32_e32 v12, s10
	s_xor_b64 exec, exec, s[6:7]
	s_cbranch_execz .LBB59_1854
.LBB59_3904:
	v_mov_b32_e32 v12, 0
	v_cmp_ne_u16_sdwa s[8:9], v9, v12 src0_sel:BYTE_3 src1_sel:DWORD
	s_andn2_b64 s[4:5], s[4:5], exec
	s_and_b64 s[8:9], s[8:9], exec
	s_or_b64 s[4:5], s[4:5], s[8:9]
	s_or_b64 exec, exec, s[6:7]
	s_and_saveexec_b64 s[6:7], s[4:5]
	s_cbranch_execnz .LBB59_1855
	s_branch .LBB59_1856
.LBB59_3905:
	s_movk_i32 s4, 0x80
	v_cmp_eq_u16_sdwa s[12:13], v14, s4 src0_sel:BYTE_0 src1_sel:DWORD
	s_mov_b64 s[4:5], -1
                                        ; implicit-def: $sgpr10
	s_and_saveexec_b64 s[8:9], s[12:13]
; %bb.3906:
	s_mov_b32 s10, 0x7f800001
	s_xor_b64 s[4:5], exec, -1
; %bb.3907:
	s_or_b64 exec, exec, s[8:9]
	s_and_b64 s[4:5], s[4:5], exec
	s_or_saveexec_b64 s[6:7], s[6:7]
	v_mov_b32_e32 v8, s10
	s_xor_b64 exec, exec, s[6:7]
	s_cbranch_execz .LBB59_1858
.LBB59_3908:
	v_mov_b32_e32 v8, 0
	v_cmp_ne_u16_sdwa s[8:9], v14, v8 src0_sel:BYTE_0 src1_sel:DWORD
	s_andn2_b64 s[4:5], s[4:5], exec
	s_and_b64 s[8:9], s[8:9], exec
	s_or_b64 s[4:5], s[4:5], s[8:9]
	s_or_b64 exec, exec, s[6:7]
	s_and_saveexec_b64 s[6:7], s[4:5]
	s_cbranch_execnz .LBB59_1859
	s_branch .LBB59_1860
.LBB59_3909:
	s_movk_i32 s4, 0x80
	v_cmp_eq_u16_sdwa s[12:13], v10, s4 src0_sel:BYTE_0 src1_sel:DWORD
	s_mov_b64 s[4:5], -1
                                        ; implicit-def: $sgpr10
	s_and_saveexec_b64 s[8:9], s[12:13]
; %bb.3910:
	s_mov_b32 s10, 0x7f800001
	s_xor_b64 s[4:5], exec, -1
; %bb.3911:
	s_or_b64 exec, exec, s[8:9]
	s_and_b64 s[4:5], s[4:5], exec
	s_or_saveexec_b64 s[6:7], s[6:7]
	v_mov_b32_e32 v9, s10
	s_xor_b64 exec, exec, s[6:7]
	s_cbranch_execz .LBB59_1862
.LBB59_3912:
	v_mov_b32_e32 v9, 0
	v_cmp_ne_u16_sdwa s[8:9], v10, v9 src0_sel:BYTE_0 src1_sel:DWORD
	s_andn2_b64 s[4:5], s[4:5], exec
	s_and_b64 s[8:9], s[8:9], exec
	s_or_b64 s[4:5], s[4:5], s[8:9]
	s_or_b64 exec, exec, s[6:7]
	s_and_saveexec_b64 s[6:7], s[4:5]
	s_cbranch_execnz .LBB59_1863
	s_branch .LBB59_1864
.LBB59_3913:
	s_movk_i32 s4, 0x80
	v_cmp_eq_u16_sdwa s[12:13], v9, s4 src0_sel:BYTE_0 src1_sel:DWORD
	s_mov_b64 s[4:5], -1
                                        ; implicit-def: $sgpr10
	s_and_saveexec_b64 s[8:9], s[12:13]
; %bb.3914:
	s_mov_b32 s10, 0x7f800001
	s_xor_b64 s[4:5], exec, -1
; %bb.3915:
	s_or_b64 exec, exec, s[8:9]
	s_and_b64 s[4:5], s[4:5], exec
	s_or_saveexec_b64 s[6:7], s[6:7]
	v_mov_b32_e32 v8, s10
	s_xor_b64 exec, exec, s[6:7]
	s_cbranch_execz .LBB59_1866
.LBB59_3916:
	v_mov_b32_e32 v8, 0
	v_cmp_ne_u16_sdwa s[8:9], v9, v8 src0_sel:BYTE_0 src1_sel:DWORD
	s_andn2_b64 s[4:5], s[4:5], exec
	s_and_b64 s[8:9], s[8:9], exec
	s_or_b64 s[4:5], s[4:5], s[8:9]
	s_or_b64 exec, exec, s[6:7]
	s_and_saveexec_b64 s[6:7], s[4:5]
	s_cbranch_execnz .LBB59_1867
	s_branch .LBB59_1868
.LBB59_3917:
	s_movk_i32 s4, 0x80
	v_cmp_eq_u16_sdwa s[12:13], v9, s4 src0_sel:BYTE_0 src1_sel:DWORD
	s_mov_b64 s[4:5], -1
                                        ; implicit-def: $sgpr10
	s_and_saveexec_b64 s[8:9], s[12:13]
; %bb.3918:
	s_mov_b32 s10, 0x7f800001
	s_xor_b64 s[4:5], exec, -1
; %bb.3919:
	s_or_b64 exec, exec, s[8:9]
	s_and_b64 s[4:5], s[4:5], exec
	s_or_saveexec_b64 s[6:7], s[6:7]
	v_mov_b32_e32 v12, s10
	s_xor_b64 exec, exec, s[6:7]
	s_cbranch_execz .LBB59_1870
.LBB59_3920:
	v_mov_b32_e32 v12, 0
	v_cmp_ne_u16_sdwa s[8:9], v9, v12 src0_sel:BYTE_0 src1_sel:DWORD
	s_andn2_b64 s[4:5], s[4:5], exec
	s_and_b64 s[8:9], s[8:9], exec
	s_or_b64 s[4:5], s[4:5], s[8:9]
	s_or_b64 exec, exec, s[6:7]
	s_and_saveexec_b64 s[6:7], s[4:5]
	s_cbranch_execnz .LBB59_1871
	s_branch .LBB59_1872
.LBB59_3921:
	s_movk_i32 s4, 0x80
	v_cmp_eq_u16_e32 vcc, s4, v9
	s_mov_b64 s[4:5], -1
                                        ; implicit-def: $sgpr10
	s_and_saveexec_b64 s[8:9], vcc
; %bb.3922:
	s_mov_b32 s10, 0x7f800001
	s_xor_b64 s[4:5], exec, -1
; %bb.3923:
	s_or_b64 exec, exec, s[8:9]
	s_and_b64 s[4:5], s[4:5], exec
                                        ; implicit-def: $vgpr9
	s_or_saveexec_b64 s[6:7], s[6:7]
	v_mov_b32_e32 v8, s10
	s_xor_b64 exec, exec, s[6:7]
	s_cbranch_execz .LBB59_1874
.LBB59_3924:
	v_cmp_ne_u16_e32 vcc, 0, v9
	s_andn2_b64 s[4:5], s[4:5], exec
	s_and_b64 s[8:9], vcc, exec
	v_mov_b32_e32 v8, 0
	s_or_b64 s[4:5], s[4:5], s[8:9]
	s_or_b64 exec, exec, s[6:7]
	s_and_saveexec_b64 s[6:7], s[4:5]
	s_cbranch_execnz .LBB59_1875
	s_branch .LBB59_1876
.LBB59_3925:
	s_movk_i32 s4, 0x80
	v_cmp_eq_u16_e32 vcc, s4, v9
	s_mov_b64 s[4:5], -1
                                        ; implicit-def: $sgpr10
	s_and_saveexec_b64 s[8:9], vcc
; %bb.3926:
	s_mov_b32 s10, 0x7f800001
	s_xor_b64 s[4:5], exec, -1
; %bb.3927:
	s_or_b64 exec, exec, s[8:9]
	s_and_b64 s[4:5], s[4:5], exec
                                        ; implicit-def: $vgpr9
	s_or_saveexec_b64 s[6:7], s[6:7]
	v_mov_b32_e32 v12, s10
	s_xor_b64 exec, exec, s[6:7]
	s_cbranch_execz .LBB59_1878
.LBB59_3928:
	v_cmp_ne_u16_e32 vcc, 0, v9
	s_andn2_b64 s[4:5], s[4:5], exec
	s_and_b64 s[8:9], vcc, exec
	v_mov_b32_e32 v12, 0
	s_or_b64 s[4:5], s[4:5], s[8:9]
	s_or_b64 exec, exec, s[6:7]
	s_and_saveexec_b64 s[6:7], s[4:5]
	s_cbranch_execnz .LBB59_1879
	s_branch .LBB59_1880
.LBB59_3929:
	s_movk_i32 s4, 0x80
	v_cmp_eq_u16_sdwa s[12:13], v14, s4 src0_sel:BYTE_3 src1_sel:DWORD
	s_mov_b64 s[4:5], -1
                                        ; implicit-def: $sgpr10
	s_and_saveexec_b64 s[8:9], s[12:13]
; %bb.3930:
	s_mov_b32 s10, 0x7f800001
	s_xor_b64 s[4:5], exec, -1
; %bb.3931:
	s_or_b64 exec, exec, s[8:9]
	s_and_b64 s[4:5], s[4:5], exec
	s_or_saveexec_b64 s[6:7], s[6:7]
	v_mov_b32_e32 v8, s10
	s_xor_b64 exec, exec, s[6:7]
	s_cbranch_execz .LBB59_1882
.LBB59_3932:
	v_mov_b32_e32 v8, 0
	v_cmp_ne_u16_sdwa s[8:9], v14, v8 src0_sel:BYTE_3 src1_sel:DWORD
	s_andn2_b64 s[4:5], s[4:5], exec
	s_and_b64 s[8:9], s[8:9], exec
	s_or_b64 s[4:5], s[4:5], s[8:9]
	s_or_b64 exec, exec, s[6:7]
	s_and_saveexec_b64 s[6:7], s[4:5]
	s_cbranch_execnz .LBB59_1883
	s_branch .LBB59_1884
.LBB59_3933:
	s_movk_i32 s4, 0x80
	v_cmp_eq_u16_sdwa s[12:13], v10, s4 src0_sel:BYTE_3 src1_sel:DWORD
	s_mov_b64 s[4:5], -1
                                        ; implicit-def: $sgpr10
	s_and_saveexec_b64 s[8:9], s[12:13]
; %bb.3934:
	s_mov_b32 s10, 0x7f800001
	s_xor_b64 s[4:5], exec, -1
; %bb.3935:
	s_or_b64 exec, exec, s[8:9]
	s_and_b64 s[4:5], s[4:5], exec
	s_or_saveexec_b64 s[6:7], s[6:7]
	v_mov_b32_e32 v9, s10
	s_xor_b64 exec, exec, s[6:7]
	s_cbranch_execz .LBB59_1886
.LBB59_3936:
	v_mov_b32_e32 v9, 0
	v_cmp_ne_u16_sdwa s[8:9], v10, v9 src0_sel:BYTE_3 src1_sel:DWORD
	s_andn2_b64 s[4:5], s[4:5], exec
	s_and_b64 s[8:9], s[8:9], exec
	s_or_b64 s[4:5], s[4:5], s[8:9]
	s_or_b64 exec, exec, s[6:7]
	s_and_saveexec_b64 s[6:7], s[4:5]
	s_cbranch_execnz .LBB59_1887
	s_branch .LBB59_1888
.LBB59_3937:
	s_movk_i32 s4, 0x80
	v_cmp_eq_u16_sdwa s[12:13], v15, s4 src0_sel:BYTE_0 src1_sel:DWORD
	s_mov_b64 s[4:5], -1
                                        ; implicit-def: $sgpr10
	s_and_saveexec_b64 s[8:9], s[12:13]
; %bb.3938:
	s_mov_b32 s10, 0x7f800001
	s_xor_b64 s[4:5], exec, -1
; %bb.3939:
	s_or_b64 exec, exec, s[8:9]
	s_and_b64 s[4:5], s[4:5], exec
	s_or_saveexec_b64 s[6:7], s[6:7]
	v_mov_b32_e32 v8, s10
	s_xor_b64 exec, exec, s[6:7]
	s_cbranch_execz .LBB59_1890
.LBB59_3940:
	v_mov_b32_e32 v8, 0
	v_cmp_ne_u16_sdwa s[8:9], v15, v8 src0_sel:BYTE_0 src1_sel:DWORD
	s_andn2_b64 s[4:5], s[4:5], exec
	s_and_b64 s[8:9], s[8:9], exec
	s_or_b64 s[4:5], s[4:5], s[8:9]
	s_or_b64 exec, exec, s[6:7]
	s_and_saveexec_b64 s[6:7], s[4:5]
	s_cbranch_execnz .LBB59_1891
	s_branch .LBB59_1892
.LBB59_3941:
	s_movk_i32 s4, 0x80
	v_cmp_eq_u16_sdwa s[12:13], v11, s4 src0_sel:BYTE_0 src1_sel:DWORD
	s_mov_b64 s[4:5], -1
                                        ; implicit-def: $sgpr10
	s_and_saveexec_b64 s[8:9], s[12:13]
; %bb.3942:
	s_mov_b32 s10, 0x7f800001
	s_xor_b64 s[4:5], exec, -1
; %bb.3943:
	s_or_b64 exec, exec, s[8:9]
	s_and_b64 s[4:5], s[4:5], exec
	s_or_saveexec_b64 s[6:7], s[6:7]
	v_mov_b32_e32 v9, s10
	s_xor_b64 exec, exec, s[6:7]
	s_cbranch_execz .LBB59_1894
.LBB59_3944:
	v_mov_b32_e32 v9, 0
	v_cmp_ne_u16_sdwa s[8:9], v11, v9 src0_sel:BYTE_0 src1_sel:DWORD
	s_andn2_b64 s[4:5], s[4:5], exec
	s_and_b64 s[8:9], s[8:9], exec
	s_or_b64 s[4:5], s[4:5], s[8:9]
	s_or_b64 exec, exec, s[6:7]
	s_and_saveexec_b64 s[6:7], s[4:5]
	s_cbranch_execnz .LBB59_1895
	s_branch .LBB59_1896
.LBB59_3945:
	s_movk_i32 s4, 0x80
	v_cmp_eq_u16_sdwa s[12:13], v9, s4 src0_sel:BYTE_0 src1_sel:DWORD
	s_mov_b64 s[4:5], -1
                                        ; implicit-def: $sgpr10
	s_and_saveexec_b64 s[8:9], s[12:13]
; %bb.3946:
	s_mov_b32 s10, 0x7f800001
	s_xor_b64 s[4:5], exec, -1
; %bb.3947:
	s_or_b64 exec, exec, s[8:9]
	s_and_b64 s[4:5], s[4:5], exec
	s_or_saveexec_b64 s[6:7], s[6:7]
	v_mov_b32_e32 v8, s10
	s_xor_b64 exec, exec, s[6:7]
	s_cbranch_execz .LBB59_1898
.LBB59_3948:
	v_mov_b32_e32 v8, 0
	v_cmp_ne_u16_sdwa s[8:9], v9, v8 src0_sel:BYTE_0 src1_sel:DWORD
	s_andn2_b64 s[4:5], s[4:5], exec
	s_and_b64 s[8:9], s[8:9], exec
	s_or_b64 s[4:5], s[4:5], s[8:9]
	s_or_b64 exec, exec, s[6:7]
	s_and_saveexec_b64 s[6:7], s[4:5]
	s_cbranch_execnz .LBB59_1899
	s_branch .LBB59_1900
.LBB59_3949:
	s_movk_i32 s4, 0x80
	v_cmp_eq_u16_sdwa s[12:13], v9, s4 src0_sel:BYTE_0 src1_sel:DWORD
	s_mov_b64 s[4:5], -1
                                        ; implicit-def: $sgpr10
	s_and_saveexec_b64 s[8:9], s[12:13]
; %bb.3950:
	s_mov_b32 s10, 0x7f800001
	s_xor_b64 s[4:5], exec, -1
; %bb.3951:
	s_or_b64 exec, exec, s[8:9]
	s_and_b64 s[4:5], s[4:5], exec
	s_or_saveexec_b64 s[6:7], s[6:7]
	v_mov_b32_e32 v10, s10
	s_xor_b64 exec, exec, s[6:7]
	s_cbranch_execz .LBB59_1902
.LBB59_3952:
	v_mov_b32_e32 v10, 0
	v_cmp_ne_u16_sdwa s[8:9], v9, v10 src0_sel:BYTE_0 src1_sel:DWORD
	s_andn2_b64 s[4:5], s[4:5], exec
	s_and_b64 s[8:9], s[8:9], exec
	s_or_b64 s[4:5], s[4:5], s[8:9]
	s_or_b64 exec, exec, s[6:7]
	s_and_saveexec_b64 s[6:7], s[4:5]
	s_cbranch_execnz .LBB59_1903
	s_branch .LBB59_1904
.LBB59_3953:
	s_movk_i32 s4, 0x80
	v_cmp_eq_u16_e32 vcc, s4, v9
	s_mov_b64 s[4:5], -1
                                        ; implicit-def: $sgpr10
	s_and_saveexec_b64 s[8:9], vcc
; %bb.3954:
	s_mov_b32 s10, 0x7f800001
	s_xor_b64 s[4:5], exec, -1
; %bb.3955:
	s_or_b64 exec, exec, s[8:9]
	s_and_b64 s[4:5], s[4:5], exec
                                        ; implicit-def: $vgpr9
	s_or_saveexec_b64 s[6:7], s[6:7]
	v_mov_b32_e32 v8, s10
	s_xor_b64 exec, exec, s[6:7]
	s_cbranch_execz .LBB59_1906
.LBB59_3956:
	v_cmp_ne_u16_e32 vcc, 0, v9
	s_andn2_b64 s[4:5], s[4:5], exec
	s_and_b64 s[8:9], vcc, exec
	v_mov_b32_e32 v8, 0
	s_or_b64 s[4:5], s[4:5], s[8:9]
	s_or_b64 exec, exec, s[6:7]
	s_and_saveexec_b64 s[6:7], s[4:5]
	s_cbranch_execnz .LBB59_1907
	s_branch .LBB59_1908
.LBB59_3957:
	s_movk_i32 s4, 0x80
	v_cmp_eq_u16_e32 vcc, s4, v9
	s_mov_b64 s[4:5], -1
                                        ; implicit-def: $sgpr10
	s_and_saveexec_b64 s[8:9], vcc
; %bb.3958:
	s_mov_b32 s10, 0x7f800001
	s_xor_b64 s[4:5], exec, -1
; %bb.3959:
	s_or_b64 exec, exec, s[8:9]
	s_and_b64 s[4:5], s[4:5], exec
                                        ; implicit-def: $vgpr9
	s_or_saveexec_b64 s[6:7], s[6:7]
	v_mov_b32_e32 v10, s10
	s_xor_b64 exec, exec, s[6:7]
	s_cbranch_execz .LBB59_1910
.LBB59_3960:
	v_cmp_ne_u16_e32 vcc, 0, v9
	s_andn2_b64 s[4:5], s[4:5], exec
	s_and_b64 s[8:9], vcc, exec
	v_mov_b32_e32 v10, 0
	s_or_b64 s[4:5], s[4:5], s[8:9]
	s_or_b64 exec, exec, s[6:7]
	s_and_saveexec_b64 s[6:7], s[4:5]
	s_cbranch_execnz .LBB59_1911
	s_branch .LBB59_1912
.LBB59_3961:
	s_movk_i32 s4, 0x80
	v_cmp_eq_u16_sdwa s[12:13], v15, s4 src0_sel:BYTE_3 src1_sel:DWORD
	s_mov_b64 s[4:5], -1
                                        ; implicit-def: $sgpr10
	s_and_saveexec_b64 s[8:9], s[12:13]
; %bb.3962:
	s_mov_b32 s10, 0x7f800001
	s_xor_b64 s[4:5], exec, -1
; %bb.3963:
	s_or_b64 exec, exec, s[8:9]
	s_and_b64 s[4:5], s[4:5], exec
	s_or_saveexec_b64 s[6:7], s[6:7]
	v_mov_b32_e32 v8, s10
	s_xor_b64 exec, exec, s[6:7]
	s_cbranch_execz .LBB59_1914
.LBB59_3964:
	v_mov_b32_e32 v8, 0
	v_cmp_ne_u16_sdwa s[8:9], v15, v8 src0_sel:BYTE_3 src1_sel:DWORD
	s_andn2_b64 s[4:5], s[4:5], exec
	s_and_b64 s[8:9], s[8:9], exec
	s_or_b64 s[4:5], s[4:5], s[8:9]
	s_or_b64 exec, exec, s[6:7]
	s_and_saveexec_b64 s[6:7], s[4:5]
	s_cbranch_execnz .LBB59_1915
	s_branch .LBB59_1916
.LBB59_3965:
	s_movk_i32 s4, 0x80
	v_cmp_eq_u16_sdwa s[12:13], v11, s4 src0_sel:BYTE_3 src1_sel:DWORD
	s_mov_b64 s[4:5], -1
                                        ; implicit-def: $sgpr10
	s_and_saveexec_b64 s[8:9], s[12:13]
; %bb.3966:
	s_mov_b32 s10, 0x7f800001
	s_xor_b64 s[4:5], exec, -1
; %bb.3967:
	s_or_b64 exec, exec, s[8:9]
	s_and_b64 s[4:5], s[4:5], exec
	s_or_saveexec_b64 s[6:7], s[6:7]
	v_mov_b32_e32 v9, s10
	s_xor_b64 exec, exec, s[6:7]
	s_cbranch_execz .LBB59_1918
.LBB59_3968:
	v_mov_b32_e32 v9, 0
	v_cmp_ne_u16_sdwa s[8:9], v11, v9 src0_sel:BYTE_3 src1_sel:DWORD
	s_andn2_b64 s[4:5], s[4:5], exec
	s_and_b64 s[8:9], s[8:9], exec
	s_or_b64 s[4:5], s[4:5], s[8:9]
	s_or_b64 exec, exec, s[6:7]
	s_and_saveexec_b64 s[6:7], s[4:5]
	s_cbranch_execnz .LBB59_1919
	s_branch .LBB59_1920
.LBB59_3969:
	s_movk_i32 s4, 0x80
	v_cmp_eq_u16_sdwa s[12:13], v4, s4 src0_sel:BYTE_0 src1_sel:DWORD
	s_mov_b64 s[4:5], -1
                                        ; implicit-def: $sgpr10
	s_and_saveexec_b64 s[8:9], s[12:13]
; %bb.3970:
	s_mov_b32 s10, 0x7f800001
	s_xor_b64 s[4:5], exec, -1
; %bb.3971:
	s_or_b64 exec, exec, s[8:9]
	s_and_b64 s[4:5], s[4:5], exec
	s_or_saveexec_b64 s[6:7], s[6:7]
	v_mov_b32_e32 v8, s10
	s_xor_b64 exec, exec, s[6:7]
	s_cbranch_execz .LBB59_1922
.LBB59_3972:
	v_mov_b32_e32 v8, 0
	v_cmp_ne_u16_sdwa s[8:9], v4, v8 src0_sel:BYTE_0 src1_sel:DWORD
	s_andn2_b64 s[4:5], s[4:5], exec
	s_and_b64 s[8:9], s[8:9], exec
	s_or_b64 s[4:5], s[4:5], s[8:9]
	s_or_b64 exec, exec, s[6:7]
	s_and_saveexec_b64 s[6:7], s[4:5]
	s_cbranch_execnz .LBB59_1923
	s_branch .LBB59_1924
.LBB59_3973:
	s_movk_i32 s4, 0x80
	v_cmp_eq_u16_sdwa s[12:13], v0, s4 src0_sel:BYTE_0 src1_sel:DWORD
	s_mov_b64 s[4:5], -1
                                        ; implicit-def: $sgpr10
	s_and_saveexec_b64 s[8:9], s[12:13]
; %bb.3974:
	s_mov_b32 s10, 0x7f800001
	s_xor_b64 s[4:5], exec, -1
; %bb.3975:
	s_or_b64 exec, exec, s[8:9]
	s_and_b64 s[4:5], s[4:5], exec
	s_or_saveexec_b64 s[6:7], s[6:7]
	v_mov_b32_e32 v9, s10
	s_xor_b64 exec, exec, s[6:7]
	s_cbranch_execz .LBB59_1926
.LBB59_3976:
	v_mov_b32_e32 v9, 0
	v_cmp_ne_u16_sdwa s[8:9], v0, v9 src0_sel:BYTE_0 src1_sel:DWORD
	s_andn2_b64 s[4:5], s[4:5], exec
	s_and_b64 s[8:9], s[8:9], exec
	s_or_b64 s[4:5], s[4:5], s[8:9]
	s_or_b64 exec, exec, s[6:7]
	s_and_saveexec_b64 s[6:7], s[4:5]
	s_cbranch_execnz .LBB59_1927
	s_branch .LBB59_1928
.LBB59_3977:
	s_movk_i32 s4, 0x80
	v_cmp_eq_u16_sdwa s[12:13], v9, s4 src0_sel:BYTE_0 src1_sel:DWORD
	s_mov_b64 s[4:5], -1
                                        ; implicit-def: $sgpr10
	s_and_saveexec_b64 s[8:9], s[12:13]
; %bb.3978:
	s_mov_b32 s10, 0x7f800001
	s_xor_b64 s[4:5], exec, -1
; %bb.3979:
	s_or_b64 exec, exec, s[8:9]
	s_and_b64 s[4:5], s[4:5], exec
	s_or_saveexec_b64 s[6:7], s[6:7]
	v_mov_b32_e32 v8, s10
	s_xor_b64 exec, exec, s[6:7]
	s_cbranch_execz .LBB59_1930
.LBB59_3980:
	v_mov_b32_e32 v8, 0
	v_cmp_ne_u16_sdwa s[8:9], v9, v8 src0_sel:BYTE_0 src1_sel:DWORD
	s_andn2_b64 s[4:5], s[4:5], exec
	s_and_b64 s[8:9], s[8:9], exec
	s_or_b64 s[4:5], s[4:5], s[8:9]
	s_or_b64 exec, exec, s[6:7]
	s_and_saveexec_b64 s[6:7], s[4:5]
	s_cbranch_execnz .LBB59_1931
	s_branch .LBB59_1932
.LBB59_3981:
	s_movk_i32 s4, 0x80
	v_cmp_eq_u16_sdwa s[12:13], v9, s4 src0_sel:BYTE_0 src1_sel:DWORD
	s_mov_b64 s[4:5], -1
                                        ; implicit-def: $sgpr10
	s_and_saveexec_b64 s[8:9], s[12:13]
; %bb.3982:
	s_mov_b32 s10, 0x7f800001
	s_xor_b64 s[4:5], exec, -1
; %bb.3983:
	s_or_b64 exec, exec, s[8:9]
	s_and_b64 s[4:5], s[4:5], exec
	s_or_saveexec_b64 s[6:7], s[6:7]
	v_mov_b32_e32 v10, s10
	s_xor_b64 exec, exec, s[6:7]
	s_cbranch_execz .LBB59_1934
.LBB59_3984:
	v_mov_b32_e32 v10, 0
	v_cmp_ne_u16_sdwa s[8:9], v9, v10 src0_sel:BYTE_0 src1_sel:DWORD
	s_andn2_b64 s[4:5], s[4:5], exec
	s_and_b64 s[8:9], s[8:9], exec
	s_or_b64 s[4:5], s[4:5], s[8:9]
	s_or_b64 exec, exec, s[6:7]
	s_and_saveexec_b64 s[6:7], s[4:5]
	s_cbranch_execnz .LBB59_1935
	s_branch .LBB59_1936
.LBB59_3985:
	s_movk_i32 s4, 0x80
	v_cmp_eq_u16_e32 vcc, s4, v9
	s_mov_b64 s[4:5], -1
                                        ; implicit-def: $sgpr10
	s_and_saveexec_b64 s[8:9], vcc
; %bb.3986:
	s_mov_b32 s10, 0x7f800001
	s_xor_b64 s[4:5], exec, -1
; %bb.3987:
	s_or_b64 exec, exec, s[8:9]
	s_and_b64 s[4:5], s[4:5], exec
                                        ; implicit-def: $vgpr9
	s_or_saveexec_b64 s[6:7], s[6:7]
	v_mov_b32_e32 v8, s10
	s_xor_b64 exec, exec, s[6:7]
	s_cbranch_execz .LBB59_1938
.LBB59_3988:
	v_cmp_ne_u16_e32 vcc, 0, v9
	s_andn2_b64 s[4:5], s[4:5], exec
	s_and_b64 s[8:9], vcc, exec
	v_mov_b32_e32 v8, 0
	s_or_b64 s[4:5], s[4:5], s[8:9]
	s_or_b64 exec, exec, s[6:7]
	s_and_saveexec_b64 s[6:7], s[4:5]
	s_cbranch_execnz .LBB59_1939
	s_branch .LBB59_1940
.LBB59_3989:
	s_movk_i32 s4, 0x80
	v_cmp_eq_u16_e32 vcc, s4, v9
	s_mov_b64 s[4:5], -1
                                        ; implicit-def: $sgpr10
	s_and_saveexec_b64 s[8:9], vcc
; %bb.3990:
	s_mov_b32 s10, 0x7f800001
	s_xor_b64 s[4:5], exec, -1
; %bb.3991:
	s_or_b64 exec, exec, s[8:9]
	s_and_b64 s[4:5], s[4:5], exec
                                        ; implicit-def: $vgpr9
	s_or_saveexec_b64 s[6:7], s[6:7]
	v_mov_b32_e32 v10, s10
	s_xor_b64 exec, exec, s[6:7]
	s_cbranch_execz .LBB59_1942
.LBB59_3992:
	v_cmp_ne_u16_e32 vcc, 0, v9
	s_andn2_b64 s[4:5], s[4:5], exec
	s_and_b64 s[8:9], vcc, exec
	v_mov_b32_e32 v10, 0
	s_or_b64 s[4:5], s[4:5], s[8:9]
	s_or_b64 exec, exec, s[6:7]
	s_and_saveexec_b64 s[6:7], s[4:5]
	s_cbranch_execnz .LBB59_1943
	s_branch .LBB59_1944
.LBB59_3993:
	s_movk_i32 s4, 0x80
	v_cmp_eq_u16_sdwa s[12:13], v4, s4 src0_sel:BYTE_3 src1_sel:DWORD
	s_mov_b64 s[4:5], -1
                                        ; implicit-def: $sgpr10
	s_and_saveexec_b64 s[8:9], s[12:13]
; %bb.3994:
	s_mov_b32 s10, 0x7f800001
	s_xor_b64 s[4:5], exec, -1
; %bb.3995:
	s_or_b64 exec, exec, s[8:9]
	s_and_b64 s[4:5], s[4:5], exec
	s_or_saveexec_b64 s[6:7], s[6:7]
	v_mov_b32_e32 v8, s10
	s_xor_b64 exec, exec, s[6:7]
	s_cbranch_execz .LBB59_1946
.LBB59_3996:
	v_mov_b32_e32 v8, 0
	v_cmp_ne_u16_sdwa s[8:9], v4, v8 src0_sel:BYTE_3 src1_sel:DWORD
	s_andn2_b64 s[4:5], s[4:5], exec
	s_and_b64 s[8:9], s[8:9], exec
	s_or_b64 s[4:5], s[4:5], s[8:9]
	s_or_b64 exec, exec, s[6:7]
	s_and_saveexec_b64 s[6:7], s[4:5]
	s_cbranch_execnz .LBB59_1947
	s_branch .LBB59_1948
.LBB59_3997:
	s_movk_i32 s4, 0x80
	v_cmp_eq_u16_sdwa s[12:13], v0, s4 src0_sel:BYTE_3 src1_sel:DWORD
	s_mov_b64 s[4:5], -1
                                        ; implicit-def: $sgpr10
	s_and_saveexec_b64 s[8:9], s[12:13]
; %bb.3998:
	s_mov_b32 s10, 0x7f800001
	s_xor_b64 s[4:5], exec, -1
; %bb.3999:
	s_or_b64 exec, exec, s[8:9]
	s_and_b64 s[4:5], s[4:5], exec
	s_or_saveexec_b64 s[6:7], s[6:7]
	v_mov_b32_e32 v4, s10
	s_xor_b64 exec, exec, s[6:7]
	s_cbranch_execz .LBB59_1950
.LBB59_4000:
	v_mov_b32_e32 v4, 0
	v_cmp_ne_u16_sdwa s[8:9], v0, v4 src0_sel:BYTE_3 src1_sel:DWORD
	s_andn2_b64 s[4:5], s[4:5], exec
	s_and_b64 s[8:9], s[8:9], exec
	s_or_b64 s[4:5], s[4:5], s[8:9]
	s_or_b64 exec, exec, s[6:7]
	s_and_saveexec_b64 s[6:7], s[4:5]
	s_cbranch_execnz .LBB59_1951
	s_branch .LBB59_1952
.LBB59_4001:
	s_movk_i32 s4, 0x80
	v_cmp_eq_u16_sdwa s[12:13], v5, s4 src0_sel:BYTE_0 src1_sel:DWORD
	s_mov_b64 s[4:5], -1
                                        ; implicit-def: $sgpr10
	s_and_saveexec_b64 s[8:9], s[12:13]
; %bb.4002:
	s_mov_b32 s10, 0x7f800001
	s_xor_b64 s[4:5], exec, -1
; %bb.4003:
	s_or_b64 exec, exec, s[8:9]
	s_and_b64 s[4:5], s[4:5], exec
	s_or_saveexec_b64 s[6:7], s[6:7]
	v_mov_b32_e32 v0, s10
	s_xor_b64 exec, exec, s[6:7]
	s_cbranch_execz .LBB59_1954
.LBB59_4004:
	v_mov_b32_e32 v0, 0
	v_cmp_ne_u16_sdwa s[8:9], v5, v0 src0_sel:BYTE_0 src1_sel:DWORD
	s_andn2_b64 s[4:5], s[4:5], exec
	s_and_b64 s[8:9], s[8:9], exec
	s_or_b64 s[4:5], s[4:5], s[8:9]
	s_or_b64 exec, exec, s[6:7]
	s_and_saveexec_b64 s[6:7], s[4:5]
	s_cbranch_execnz .LBB59_1955
	s_branch .LBB59_1956
.LBB59_4005:
	s_movk_i32 s4, 0x80
	v_cmp_eq_u16_sdwa s[12:13], v1, s4 src0_sel:BYTE_0 src1_sel:DWORD
	s_mov_b64 s[4:5], -1
                                        ; implicit-def: $sgpr10
	s_and_saveexec_b64 s[8:9], s[12:13]
; %bb.4006:
	s_mov_b32 s10, 0x7f800001
	s_xor_b64 s[4:5], exec, -1
; %bb.4007:
	s_or_b64 exec, exec, s[8:9]
	s_and_b64 s[4:5], s[4:5], exec
	s_or_saveexec_b64 s[6:7], s[6:7]
	v_mov_b32_e32 v4, s10
	s_xor_b64 exec, exec, s[6:7]
	s_cbranch_execz .LBB59_1958
.LBB59_4008:
	v_mov_b32_e32 v4, 0
	v_cmp_ne_u16_sdwa s[8:9], v1, v4 src0_sel:BYTE_0 src1_sel:DWORD
	s_andn2_b64 s[4:5], s[4:5], exec
	s_and_b64 s[8:9], s[8:9], exec
	s_or_b64 s[4:5], s[4:5], s[8:9]
	s_or_b64 exec, exec, s[6:7]
	s_and_saveexec_b64 s[6:7], s[4:5]
	s_cbranch_execnz .LBB59_1959
	s_branch .LBB59_1960
.LBB59_4009:
	s_movk_i32 s4, 0x80
	v_cmp_eq_u16_sdwa s[12:13], v4, s4 src0_sel:BYTE_0 src1_sel:DWORD
	s_mov_b64 s[4:5], -1
                                        ; implicit-def: $sgpr10
	s_and_saveexec_b64 s[8:9], s[12:13]
; %bb.4010:
	s_mov_b32 s10, 0x7f800001
	s_xor_b64 s[4:5], exec, -1
; %bb.4011:
	s_or_b64 exec, exec, s[8:9]
	s_and_b64 s[4:5], s[4:5], exec
	s_or_saveexec_b64 s[6:7], s[6:7]
	v_mov_b32_e32 v0, s10
	s_xor_b64 exec, exec, s[6:7]
	s_cbranch_execz .LBB59_1962
.LBB59_4012:
	v_mov_b32_e32 v0, 0
	v_cmp_ne_u16_sdwa s[8:9], v4, v0 src0_sel:BYTE_0 src1_sel:DWORD
	s_andn2_b64 s[4:5], s[4:5], exec
	s_and_b64 s[8:9], s[8:9], exec
	s_or_b64 s[4:5], s[4:5], s[8:9]
	s_or_b64 exec, exec, s[6:7]
	s_and_saveexec_b64 s[6:7], s[4:5]
	s_cbranch_execnz .LBB59_1963
	s_branch .LBB59_1964
.LBB59_4013:
	s_movk_i32 s4, 0x80
	v_cmp_eq_u16_sdwa s[12:13], v4, s4 src0_sel:BYTE_0 src1_sel:DWORD
	s_mov_b64 s[4:5], -1
                                        ; implicit-def: $sgpr10
	s_and_saveexec_b64 s[8:9], s[12:13]
; %bb.4014:
	s_mov_b32 s10, 0x7f800001
	s_xor_b64 s[4:5], exec, -1
; %bb.4015:
	s_or_b64 exec, exec, s[8:9]
	s_and_b64 s[4:5], s[4:5], exec
	s_or_saveexec_b64 s[6:7], s[6:7]
	v_mov_b32_e32 v8, s10
	s_xor_b64 exec, exec, s[6:7]
	s_cbranch_execz .LBB59_1966
.LBB59_4016:
	v_mov_b32_e32 v8, 0
	v_cmp_ne_u16_sdwa s[8:9], v4, v8 src0_sel:BYTE_0 src1_sel:DWORD
	s_andn2_b64 s[4:5], s[4:5], exec
	s_and_b64 s[8:9], s[8:9], exec
	s_or_b64 s[4:5], s[4:5], s[8:9]
	s_or_b64 exec, exec, s[6:7]
	s_and_saveexec_b64 s[6:7], s[4:5]
	s_cbranch_execnz .LBB59_1967
	s_branch .LBB59_1968
.LBB59_4017:
	s_movk_i32 s4, 0x80
	v_cmp_eq_u16_e32 vcc, s4, v4
	s_mov_b64 s[4:5], -1
                                        ; implicit-def: $sgpr10
	s_and_saveexec_b64 s[8:9], vcc
; %bb.4018:
	s_mov_b32 s10, 0x7f800001
	s_xor_b64 s[4:5], exec, -1
; %bb.4019:
	s_or_b64 exec, exec, s[8:9]
	s_and_b64 s[4:5], s[4:5], exec
                                        ; implicit-def: $vgpr4
	s_or_saveexec_b64 s[6:7], s[6:7]
	v_mov_b32_e32 v0, s10
	s_xor_b64 exec, exec, s[6:7]
	s_cbranch_execz .LBB59_1970
.LBB59_4020:
	v_cmp_ne_u16_e32 vcc, 0, v4
	s_andn2_b64 s[4:5], s[4:5], exec
	s_and_b64 s[8:9], vcc, exec
	v_mov_b32_e32 v0, 0
	s_or_b64 s[4:5], s[4:5], s[8:9]
	s_or_b64 exec, exec, s[6:7]
	s_and_saveexec_b64 s[6:7], s[4:5]
	s_cbranch_execnz .LBB59_1971
	s_branch .LBB59_1972
.LBB59_4021:
	s_movk_i32 s4, 0x80
	v_cmp_eq_u16_e32 vcc, s4, v4
	s_mov_b64 s[4:5], -1
                                        ; implicit-def: $sgpr10
	s_and_saveexec_b64 s[8:9], vcc
; %bb.4022:
	s_mov_b32 s10, 0x7f800001
	s_xor_b64 s[4:5], exec, -1
; %bb.4023:
	s_or_b64 exec, exec, s[8:9]
	s_and_b64 s[4:5], s[4:5], exec
                                        ; implicit-def: $vgpr4
	s_or_saveexec_b64 s[6:7], s[6:7]
	v_mov_b32_e32 v8, s10
	s_xor_b64 exec, exec, s[6:7]
	s_cbranch_execz .LBB59_1974
.LBB59_4024:
	v_cmp_ne_u16_e32 vcc, 0, v4
	s_andn2_b64 s[4:5], s[4:5], exec
	s_and_b64 s[8:9], vcc, exec
	v_mov_b32_e32 v8, 0
	s_or_b64 s[4:5], s[4:5], s[8:9]
	s_or_b64 exec, exec, s[6:7]
	s_and_saveexec_b64 s[6:7], s[4:5]
	s_cbranch_execnz .LBB59_1975
	s_branch .LBB59_1976
.LBB59_4025:
	s_movk_i32 s4, 0x80
	v_cmp_eq_u16_sdwa s[12:13], v5, s4 src0_sel:BYTE_3 src1_sel:DWORD
	s_mov_b64 s[4:5], -1
                                        ; implicit-def: $sgpr10
	s_and_saveexec_b64 s[8:9], s[12:13]
; %bb.4026:
	s_mov_b32 s10, 0x7f800001
	s_xor_b64 s[4:5], exec, -1
; %bb.4027:
	s_or_b64 exec, exec, s[8:9]
	s_and_b64 s[4:5], s[4:5], exec
	s_or_saveexec_b64 s[6:7], s[6:7]
	v_mov_b32_e32 v0, s10
	s_xor_b64 exec, exec, s[6:7]
	s_cbranch_execz .LBB59_1978
.LBB59_4028:
	v_mov_b32_e32 v0, 0
	v_cmp_ne_u16_sdwa s[8:9], v5, v0 src0_sel:BYTE_3 src1_sel:DWORD
	s_andn2_b64 s[4:5], s[4:5], exec
	s_and_b64 s[8:9], s[8:9], exec
	s_or_b64 s[4:5], s[4:5], s[8:9]
	s_or_b64 exec, exec, s[6:7]
	s_and_saveexec_b64 s[6:7], s[4:5]
	s_cbranch_execnz .LBB59_1979
	s_branch .LBB59_1980
.LBB59_4029:
	s_movk_i32 s4, 0x80
	v_cmp_eq_u16_sdwa s[12:13], v1, s4 src0_sel:BYTE_3 src1_sel:DWORD
	s_mov_b64 s[4:5], -1
                                        ; implicit-def: $sgpr10
	s_and_saveexec_b64 s[8:9], s[12:13]
; %bb.4030:
	s_mov_b32 s10, 0x7f800001
	s_xor_b64 s[4:5], exec, -1
; %bb.4031:
	s_or_b64 exec, exec, s[8:9]
	s_and_b64 s[4:5], s[4:5], exec
	s_or_saveexec_b64 s[6:7], s[6:7]
	v_mov_b32_e32 v4, s10
	s_xor_b64 exec, exec, s[6:7]
	s_cbranch_execz .LBB59_1982
.LBB59_4032:
	v_mov_b32_e32 v4, 0
	v_cmp_ne_u16_sdwa s[8:9], v1, v4 src0_sel:BYTE_3 src1_sel:DWORD
	s_andn2_b64 s[4:5], s[4:5], exec
	s_and_b64 s[8:9], s[8:9], exec
	s_or_b64 s[4:5], s[4:5], s[8:9]
	s_or_b64 exec, exec, s[6:7]
	s_and_saveexec_b64 s[6:7], s[4:5]
	s_cbranch_execnz .LBB59_1983
	s_branch .LBB59_1984
.LBB59_4033:
	s_movk_i32 s4, 0x80
	v_cmp_eq_u16_sdwa s[12:13], v6, s4 src0_sel:BYTE_0 src1_sel:DWORD
	s_mov_b64 s[4:5], -1
                                        ; implicit-def: $sgpr10
	s_and_saveexec_b64 s[8:9], s[12:13]
; %bb.4034:
	s_mov_b32 s10, 0x7f800001
	s_xor_b64 s[4:5], exec, -1
; %bb.4035:
	s_or_b64 exec, exec, s[8:9]
	s_and_b64 s[4:5], s[4:5], exec
	s_or_saveexec_b64 s[6:7], s[6:7]
	v_mov_b32_e32 v0, s10
	s_xor_b64 exec, exec, s[6:7]
	s_cbranch_execz .LBB59_1986
.LBB59_4036:
	v_mov_b32_e32 v0, 0
	v_cmp_ne_u16_sdwa s[8:9], v6, v0 src0_sel:BYTE_0 src1_sel:DWORD
	s_andn2_b64 s[4:5], s[4:5], exec
	s_and_b64 s[8:9], s[8:9], exec
	s_or_b64 s[4:5], s[4:5], s[8:9]
	s_or_b64 exec, exec, s[6:7]
	s_and_saveexec_b64 s[6:7], s[4:5]
	s_cbranch_execnz .LBB59_1987
	s_branch .LBB59_1988
.LBB59_4037:
	s_movk_i32 s4, 0x80
	v_cmp_eq_u16_sdwa s[12:13], v2, s4 src0_sel:BYTE_0 src1_sel:DWORD
	s_mov_b64 s[4:5], -1
                                        ; implicit-def: $sgpr10
	s_and_saveexec_b64 s[8:9], s[12:13]
; %bb.4038:
	s_mov_b32 s10, 0x7f800001
	s_xor_b64 s[4:5], exec, -1
; %bb.4039:
	s_or_b64 exec, exec, s[8:9]
	s_and_b64 s[4:5], s[4:5], exec
	s_or_saveexec_b64 s[6:7], s[6:7]
	v_mov_b32_e32 v1, s10
	s_xor_b64 exec, exec, s[6:7]
	s_cbranch_execz .LBB59_1990
.LBB59_4040:
	v_mov_b32_e32 v1, 0
	v_cmp_ne_u16_sdwa s[8:9], v2, v1 src0_sel:BYTE_0 src1_sel:DWORD
	s_andn2_b64 s[4:5], s[4:5], exec
	s_and_b64 s[8:9], s[8:9], exec
	s_or_b64 s[4:5], s[4:5], s[8:9]
	s_or_b64 exec, exec, s[6:7]
	s_and_saveexec_b64 s[6:7], s[4:5]
	s_cbranch_execnz .LBB59_1991
	s_branch .LBB59_1992
.LBB59_4041:
	s_movk_i32 s4, 0x80
	v_cmp_eq_u16_sdwa s[12:13], v1, s4 src0_sel:BYTE_0 src1_sel:DWORD
	s_mov_b64 s[4:5], -1
                                        ; implicit-def: $sgpr10
	s_and_saveexec_b64 s[8:9], s[12:13]
; %bb.4042:
	s_mov_b32 s10, 0x7f800001
	s_xor_b64 s[4:5], exec, -1
; %bb.4043:
	s_or_b64 exec, exec, s[8:9]
	s_and_b64 s[4:5], s[4:5], exec
	s_or_saveexec_b64 s[6:7], s[6:7]
	v_mov_b32_e32 v0, s10
	s_xor_b64 exec, exec, s[6:7]
	s_cbranch_execz .LBB59_1994
.LBB59_4044:
	v_mov_b32_e32 v0, 0
	v_cmp_ne_u16_sdwa s[8:9], v1, v0 src0_sel:BYTE_0 src1_sel:DWORD
	s_andn2_b64 s[4:5], s[4:5], exec
	s_and_b64 s[8:9], s[8:9], exec
	s_or_b64 s[4:5], s[4:5], s[8:9]
	s_or_b64 exec, exec, s[6:7]
	s_and_saveexec_b64 s[6:7], s[4:5]
	s_cbranch_execnz .LBB59_1995
	s_branch .LBB59_1996
.LBB59_4045:
	s_movk_i32 s4, 0x80
	v_cmp_eq_u16_sdwa s[12:13], v1, s4 src0_sel:BYTE_0 src1_sel:DWORD
	s_mov_b64 s[4:5], -1
                                        ; implicit-def: $sgpr10
	s_and_saveexec_b64 s[8:9], s[12:13]
; %bb.4046:
	s_mov_b32 s10, 0x7f800001
	s_xor_b64 s[4:5], exec, -1
; %bb.4047:
	s_or_b64 exec, exec, s[8:9]
	s_and_b64 s[4:5], s[4:5], exec
	s_or_saveexec_b64 s[6:7], s[6:7]
	v_mov_b32_e32 v4, s10
	s_xor_b64 exec, exec, s[6:7]
	s_cbranch_execz .LBB59_1998
.LBB59_4048:
	v_mov_b32_e32 v4, 0
	v_cmp_ne_u16_sdwa s[8:9], v1, v4 src0_sel:BYTE_0 src1_sel:DWORD
	s_andn2_b64 s[4:5], s[4:5], exec
	s_and_b64 s[8:9], s[8:9], exec
	s_or_b64 s[4:5], s[4:5], s[8:9]
	s_or_b64 exec, exec, s[6:7]
	s_and_saveexec_b64 s[6:7], s[4:5]
	s_cbranch_execnz .LBB59_1999
	s_branch .LBB59_2000
.LBB59_4049:
	s_movk_i32 s4, 0x80
	v_cmp_eq_u16_e32 vcc, s4, v1
	s_mov_b64 s[4:5], -1
                                        ; implicit-def: $sgpr10
	s_and_saveexec_b64 s[8:9], vcc
; %bb.4050:
	s_mov_b32 s10, 0x7f800001
	s_xor_b64 s[4:5], exec, -1
; %bb.4051:
	s_or_b64 exec, exec, s[8:9]
	s_and_b64 s[4:5], s[4:5], exec
                                        ; implicit-def: $vgpr1
	s_or_saveexec_b64 s[6:7], s[6:7]
	v_mov_b32_e32 v0, s10
	s_xor_b64 exec, exec, s[6:7]
	s_cbranch_execz .LBB59_2002
.LBB59_4052:
	v_cmp_ne_u16_e32 vcc, 0, v1
	s_andn2_b64 s[4:5], s[4:5], exec
	s_and_b64 s[8:9], vcc, exec
	v_mov_b32_e32 v0, 0
	s_or_b64 s[4:5], s[4:5], s[8:9]
	s_or_b64 exec, exec, s[6:7]
	s_and_saveexec_b64 s[6:7], s[4:5]
	s_cbranch_execnz .LBB59_2003
	s_branch .LBB59_2004
.LBB59_4053:
	s_movk_i32 s4, 0x80
	v_cmp_eq_u16_e32 vcc, s4, v1
	s_mov_b64 s[4:5], -1
                                        ; implicit-def: $sgpr10
	s_and_saveexec_b64 s[8:9], vcc
; %bb.4054:
	s_mov_b32 s10, 0x7f800001
	s_xor_b64 s[4:5], exec, -1
; %bb.4055:
	s_or_b64 exec, exec, s[8:9]
	s_and_b64 s[4:5], s[4:5], exec
                                        ; implicit-def: $vgpr1
	s_or_saveexec_b64 s[6:7], s[6:7]
	v_mov_b32_e32 v4, s10
	s_xor_b64 exec, exec, s[6:7]
	s_cbranch_execz .LBB59_2006
.LBB59_4056:
	v_cmp_ne_u16_e32 vcc, 0, v1
	s_andn2_b64 s[4:5], s[4:5], exec
	s_and_b64 s[8:9], vcc, exec
	v_mov_b32_e32 v4, 0
	s_or_b64 s[4:5], s[4:5], s[8:9]
	s_or_b64 exec, exec, s[6:7]
	s_and_saveexec_b64 s[6:7], s[4:5]
	s_cbranch_execnz .LBB59_2007
	s_branch .LBB59_2008
.LBB59_4057:
	s_movk_i32 s4, 0x80
	v_cmp_eq_u16_sdwa s[12:13], v6, s4 src0_sel:BYTE_3 src1_sel:DWORD
	s_mov_b64 s[4:5], -1
                                        ; implicit-def: $sgpr10
	s_and_saveexec_b64 s[8:9], s[12:13]
; %bb.4058:
	s_mov_b32 s10, 0x7f800001
	s_xor_b64 s[4:5], exec, -1
; %bb.4059:
	s_or_b64 exec, exec, s[8:9]
	s_and_b64 s[4:5], s[4:5], exec
	s_or_saveexec_b64 s[6:7], s[6:7]
	v_mov_b32_e32 v0, s10
	s_xor_b64 exec, exec, s[6:7]
	s_cbranch_execz .LBB59_2010
.LBB59_4060:
	v_mov_b32_e32 v0, 0
	v_cmp_ne_u16_sdwa s[8:9], v6, v0 src0_sel:BYTE_3 src1_sel:DWORD
	s_andn2_b64 s[4:5], s[4:5], exec
	s_and_b64 s[8:9], s[8:9], exec
	s_or_b64 s[4:5], s[4:5], s[8:9]
	s_or_b64 exec, exec, s[6:7]
	s_and_saveexec_b64 s[6:7], s[4:5]
	s_cbranch_execnz .LBB59_2011
	s_branch .LBB59_2012
.LBB59_4061:
	s_movk_i32 s4, 0x80
	v_cmp_eq_u16_sdwa s[12:13], v2, s4 src0_sel:BYTE_3 src1_sel:DWORD
	s_mov_b64 s[4:5], -1
                                        ; implicit-def: $sgpr10
	s_and_saveexec_b64 s[8:9], s[12:13]
; %bb.4062:
	s_mov_b32 s10, 0x7f800001
	s_xor_b64 s[4:5], exec, -1
; %bb.4063:
	s_or_b64 exec, exec, s[8:9]
	s_and_b64 s[4:5], s[4:5], exec
	s_or_saveexec_b64 s[6:7], s[6:7]
	v_mov_b32_e32 v1, s10
	s_xor_b64 exec, exec, s[6:7]
	s_cbranch_execz .LBB59_2014
.LBB59_4064:
	v_mov_b32_e32 v1, 0
	v_cmp_ne_u16_sdwa s[8:9], v2, v1 src0_sel:BYTE_3 src1_sel:DWORD
	s_andn2_b64 s[4:5], s[4:5], exec
	s_and_b64 s[8:9], s[8:9], exec
	s_or_b64 s[4:5], s[4:5], s[8:9]
	s_or_b64 exec, exec, s[6:7]
	s_and_saveexec_b64 s[6:7], s[4:5]
	s_cbranch_execnz .LBB59_2015
	s_branch .LBB59_2016
.LBB59_4065:
	s_movk_i32 s4, 0x80
	v_cmp_eq_u16_sdwa s[12:13], v7, s4 src0_sel:BYTE_0 src1_sel:DWORD
	s_mov_b64 s[4:5], -1
                                        ; implicit-def: $sgpr10
	s_and_saveexec_b64 s[8:9], s[12:13]
; %bb.4066:
	s_mov_b32 s10, 0x7f800001
	s_xor_b64 s[4:5], exec, -1
; %bb.4067:
	s_or_b64 exec, exec, s[8:9]
	s_and_b64 s[4:5], s[4:5], exec
	s_or_saveexec_b64 s[6:7], s[6:7]
	v_mov_b32_e32 v0, s10
	s_xor_b64 exec, exec, s[6:7]
	s_cbranch_execz .LBB59_2018
.LBB59_4068:
	v_mov_b32_e32 v0, 0
	v_cmp_ne_u16_sdwa s[8:9], v7, v0 src0_sel:BYTE_0 src1_sel:DWORD
	s_andn2_b64 s[4:5], s[4:5], exec
	s_and_b64 s[8:9], s[8:9], exec
	s_or_b64 s[4:5], s[4:5], s[8:9]
	s_or_b64 exec, exec, s[6:7]
	s_and_saveexec_b64 s[6:7], s[4:5]
	s_cbranch_execnz .LBB59_2019
	s_branch .LBB59_2020
.LBB59_4069:
	s_movk_i32 s4, 0x80
	v_cmp_eq_u16_sdwa s[12:13], v3, s4 src0_sel:BYTE_0 src1_sel:DWORD
	s_mov_b64 s[4:5], -1
                                        ; implicit-def: $sgpr10
	s_and_saveexec_b64 s[8:9], s[12:13]
; %bb.4070:
	s_mov_b32 s10, 0x7f800001
	s_xor_b64 s[4:5], exec, -1
; %bb.4071:
	s_or_b64 exec, exec, s[8:9]
	s_and_b64 s[4:5], s[4:5], exec
	s_or_saveexec_b64 s[6:7], s[6:7]
	v_mov_b32_e32 v1, s10
	s_xor_b64 exec, exec, s[6:7]
	s_cbranch_execz .LBB59_2022
.LBB59_4072:
	v_mov_b32_e32 v1, 0
	v_cmp_ne_u16_sdwa s[8:9], v3, v1 src0_sel:BYTE_0 src1_sel:DWORD
	s_andn2_b64 s[4:5], s[4:5], exec
	s_and_b64 s[8:9], s[8:9], exec
	s_or_b64 s[4:5], s[4:5], s[8:9]
	s_or_b64 exec, exec, s[6:7]
	s_and_saveexec_b64 s[6:7], s[4:5]
	s_cbranch_execnz .LBB59_2023
	s_branch .LBB59_2024
.LBB59_4073:
	s_movk_i32 s4, 0x80
	v_cmp_eq_u16_sdwa s[12:13], v1, s4 src0_sel:BYTE_0 src1_sel:DWORD
	s_mov_b64 s[4:5], -1
                                        ; implicit-def: $sgpr10
	s_and_saveexec_b64 s[8:9], s[12:13]
; %bb.4074:
	s_mov_b32 s10, 0x7f800001
	s_xor_b64 s[4:5], exec, -1
; %bb.4075:
	s_or_b64 exec, exec, s[8:9]
	s_and_b64 s[4:5], s[4:5], exec
	s_or_saveexec_b64 s[6:7], s[6:7]
	v_mov_b32_e32 v0, s10
	s_xor_b64 exec, exec, s[6:7]
	s_cbranch_execz .LBB59_2026
.LBB59_4076:
	v_mov_b32_e32 v0, 0
	v_cmp_ne_u16_sdwa s[8:9], v1, v0 src0_sel:BYTE_0 src1_sel:DWORD
	s_andn2_b64 s[4:5], s[4:5], exec
	s_and_b64 s[8:9], s[8:9], exec
	s_or_b64 s[4:5], s[4:5], s[8:9]
	s_or_b64 exec, exec, s[6:7]
	s_and_saveexec_b64 s[6:7], s[4:5]
	s_cbranch_execnz .LBB59_2027
	s_branch .LBB59_2028
.LBB59_4077:
	s_movk_i32 s4, 0x80
	v_cmp_eq_u16_sdwa s[12:13], v1, s4 src0_sel:BYTE_0 src1_sel:DWORD
	s_mov_b64 s[4:5], -1
                                        ; implicit-def: $sgpr10
	s_and_saveexec_b64 s[8:9], s[12:13]
; %bb.4078:
	s_mov_b32 s10, 0x7f800001
	s_xor_b64 s[4:5], exec, -1
; %bb.4079:
	s_or_b64 exec, exec, s[8:9]
	s_and_b64 s[4:5], s[4:5], exec
	s_or_saveexec_b64 s[6:7], s[6:7]
	v_mov_b32_e32 v2, s10
	s_xor_b64 exec, exec, s[6:7]
	s_cbranch_execz .LBB59_2030
.LBB59_4080:
	v_mov_b32_e32 v2, 0
	v_cmp_ne_u16_sdwa s[8:9], v1, v2 src0_sel:BYTE_0 src1_sel:DWORD
	s_andn2_b64 s[4:5], s[4:5], exec
	s_and_b64 s[8:9], s[8:9], exec
	s_or_b64 s[4:5], s[4:5], s[8:9]
	s_or_b64 exec, exec, s[6:7]
	s_and_saveexec_b64 s[6:7], s[4:5]
	s_cbranch_execnz .LBB59_2031
	s_branch .LBB59_2032
.LBB59_4081:
	s_movk_i32 s4, 0x80
	v_cmp_eq_u16_e32 vcc, s4, v1
	s_mov_b64 s[4:5], -1
                                        ; implicit-def: $sgpr10
	s_and_saveexec_b64 s[8:9], vcc
; %bb.4082:
	s_mov_b32 s10, 0x7f800001
	s_xor_b64 s[4:5], exec, -1
; %bb.4083:
	s_or_b64 exec, exec, s[8:9]
	s_and_b64 s[4:5], s[4:5], exec
                                        ; implicit-def: $vgpr1
	s_or_saveexec_b64 s[6:7], s[6:7]
	v_mov_b32_e32 v0, s10
	s_xor_b64 exec, exec, s[6:7]
	s_cbranch_execz .LBB59_2034
.LBB59_4084:
	v_cmp_ne_u16_e32 vcc, 0, v1
	s_andn2_b64 s[4:5], s[4:5], exec
	s_and_b64 s[8:9], vcc, exec
	v_mov_b32_e32 v0, 0
	s_or_b64 s[4:5], s[4:5], s[8:9]
	s_or_b64 exec, exec, s[6:7]
	s_and_saveexec_b64 s[6:7], s[4:5]
	s_cbranch_execnz .LBB59_2035
	s_branch .LBB59_2036
.LBB59_4085:
	s_movk_i32 s4, 0x80
	v_cmp_eq_u16_e32 vcc, s4, v1
	s_mov_b64 s[4:5], -1
                                        ; implicit-def: $sgpr10
	s_and_saveexec_b64 s[8:9], vcc
; %bb.4086:
	s_mov_b32 s10, 0x7f800001
	s_xor_b64 s[4:5], exec, -1
; %bb.4087:
	s_or_b64 exec, exec, s[8:9]
	s_and_b64 s[4:5], s[4:5], exec
                                        ; implicit-def: $vgpr1
	s_or_saveexec_b64 s[6:7], s[6:7]
	v_mov_b32_e32 v2, s10
	s_xor_b64 exec, exec, s[6:7]
	s_cbranch_execz .LBB59_2038
.LBB59_4088:
	v_cmp_ne_u16_e32 vcc, 0, v1
	s_andn2_b64 s[4:5], s[4:5], exec
	s_and_b64 s[8:9], vcc, exec
	v_mov_b32_e32 v2, 0
	s_or_b64 s[4:5], s[4:5], s[8:9]
	s_or_b64 exec, exec, s[6:7]
	s_and_saveexec_b64 s[6:7], s[4:5]
	s_cbranch_execnz .LBB59_2039
	s_branch .LBB59_2040
.LBB59_4089:
	s_movk_i32 s4, 0x80
	v_cmp_eq_u16_sdwa s[12:13], v7, s4 src0_sel:BYTE_3 src1_sel:DWORD
	s_mov_b64 s[4:5], -1
                                        ; implicit-def: $sgpr10
	s_and_saveexec_b64 s[8:9], s[12:13]
; %bb.4090:
	s_mov_b32 s10, 0x7f800001
	s_xor_b64 s[4:5], exec, -1
; %bb.4091:
	s_or_b64 exec, exec, s[8:9]
	s_and_b64 s[4:5], s[4:5], exec
	s_or_saveexec_b64 s[6:7], s[6:7]
	v_mov_b32_e32 v0, s10
	s_xor_b64 exec, exec, s[6:7]
	s_cbranch_execz .LBB59_2042
.LBB59_4092:
	v_mov_b32_e32 v0, 0
	v_cmp_ne_u16_sdwa s[8:9], v7, v0 src0_sel:BYTE_3 src1_sel:DWORD
	s_andn2_b64 s[4:5], s[4:5], exec
	s_and_b64 s[8:9], s[8:9], exec
	s_or_b64 s[4:5], s[4:5], s[8:9]
	s_or_b64 exec, exec, s[6:7]
	s_and_saveexec_b64 s[6:7], s[4:5]
	s_cbranch_execnz .LBB59_2043
	s_branch .LBB59_2044
.LBB59_4093:
	s_movk_i32 s4, 0x80
	v_cmp_eq_u16_sdwa s[12:13], v3, s4 src0_sel:BYTE_3 src1_sel:DWORD
	s_mov_b64 s[4:5], -1
                                        ; implicit-def: $sgpr10
	s_and_saveexec_b64 s[8:9], s[12:13]
; %bb.4094:
	s_mov_b32 s10, 0x7f800001
	s_xor_b64 s[4:5], exec, -1
; %bb.4095:
	s_or_b64 exec, exec, s[8:9]
	s_and_b64 s[4:5], s[4:5], exec
	s_or_saveexec_b64 s[6:7], s[6:7]
	v_mov_b32_e32 v1, s10
	s_xor_b64 exec, exec, s[6:7]
	s_cbranch_execz .LBB59_2046
.LBB59_4096:
	v_mov_b32_e32 v1, 0
	v_cmp_ne_u16_sdwa s[8:9], v3, v1 src0_sel:BYTE_3 src1_sel:DWORD
	s_andn2_b64 s[4:5], s[4:5], exec
	s_and_b64 s[8:9], s[8:9], exec
	s_or_b64 s[4:5], s[4:5], s[8:9]
	s_or_b64 exec, exec, s[6:7]
	s_and_saveexec_b64 s[6:7], s[4:5]
	s_cbranch_execnz .LBB59_2047
	s_branch .LBB59_2048
.Lfunc_end59:
	.size	_ZNK2ck6detail7applierIiJLi0ELi1ELi2ELi3ELi4ELi5ELi6ELi7EEEclIZNKS_11static_fordINS_8SequenceIJLi1ELi8EEEENS5_IJLi0ELi1EEEEEclIZZNKS_52BlockwiseGemmXdlops_pipeline_bpreshuffle_bdequant_v3ILNS_26BlockGemmPipelineSchedulerE0ELi256ENS_9f8_fnuz_tENS_7pk_i4_tESC_fNS_16TensorDescriptorINS_5TupleIJNS_5EmbedINSF_IJNS_17integral_constantIiLi8EEENSH_IiLi256EEENSH_IiLi16EEEEEENSF_IJSK_NSH_IiLi128EEENSH_IiLi1EEEEEELb0EEENS_3XorINSF_IJSJ_SI_EEELb1EEENS_11PassThroughISK_EENS_7UnMergeINSF_IJSI_SN_EEELb0EEENST_ISJ_EESU_NST_ISI_EENS_21Merge_v3_division_modINSF_IJSJ_SN_EEEEESU_EEENSF_IJNS5_IJLi0EEEENS5_IJLi2ELi1EEEENS5_IJLi3EEEENS5_IJLi5EEEENS5_IJLi4EEEENS5_IJLi6EEEENS5_IJLi7EEEENS5_IJLi9ELi8EEEENS5_IJLi10EEEEEEENSF_IJNS5_IJLi1ELi2ELi3EEEENS5_IJLi4ELi5EEEES19_NS5_IJLi7ELi8EEEENS5_IJLi9EEEES1C_NS5_IJLi11EEEENS5_IJLi12EEEENS5_IJLi13EEEEEEENS5_IJLi11ELi12ELi13EEEENSH_IlLl32768EEEEENSE_INSF_IJNSV_INSF_IJSI_SN_SN_NSH_IiLi32EEEEEELb0EEEEEENSF_IJS14_EEENSF_IJNS5_IJLi1ELi2ELi3ELi4EEEEEEES1U_NSH_IlLl256EEEEENSE_INSF_IJSP_SS_SU_SX_SY_SU_SZ_S12_SU_NS10_INSF_IJSI_SK_EEEEENSV_INSF_IJSI_NSH_IiLi2EEESK_EEELb0EEEEEENSF_IJS14_S15_S16_S17_S18_S19_S1A_S1B_S1C_NS5_IJLi11ELi13EEEES1J_EEENSF_IJS1E_S1F_S19_S1G_S1H_S1C_S1I_S1J_S1K_NS5_IJLi14EEEENS5_IJLi15ELi16ELi17EEEEEEENS5_IJLi15ELi16ELi17ELi14EEEES1N_EENSE_INSF_IJS1R_NS10_ISW_EES22_EEENSF_IJS14_NS5_IJLi1ELi3EEEENS5_IJLi2EEEEEEENSF_IJS1U_S17_NS5_IJLi6ELi7ELi8EEEEEEENS5_IJLi6ELi7ELi8ELi5EEEES1W_EELi16ELi32ELi256ELi256ELi128ELi16ELi16ELi8ELi8ELi32ELb0EE3RunILb1ELNS_10TailNumberE1ENSE_INSF_IJNSG_INSF_IJiiEEENSF_IJiSN_EEELb0EEENSV_IS2N_Lb0EEENST_IiEEEEENSF_IJS14_S2E_NS5_IJLi1EEEEEEENSF_IJNS5_IJLi1ELi2EEEENS5_IJLi3ELi4EEEES17_EEENS5_IJLi3ELi5ELi4EEEElEES1O_NS_35ThreadGroupTensorSliceTransfer_v4r1INS_15ThisThreadBlockILi256EEENS_16tensor_operation12element_wise11PassThroughES35_LNS_25InMemoryDataOperationEnumE0ENS5_IJLi8ELi256ELi16EEEENS5_IJLi8ELi32ELi1EEEENS5_IJLi1ELi0ELi2EEEESC_SC_RKS2Z_KS1O_S39_NS5_IJLi0ELi1ELi2EEEELi2ELi2ELi16ELi16ELi1ELi1ELb0ELb1ELi2EiEENS_13DynamicBufferILNS_16AddressSpaceEnumE1EKSC_lLb1ELNS_22AmdBufferCoherenceEnumE0EiEENSF_IJNS3F_ILS3G_2ESC_S1N_Lb1ELS3I_0EiEES3K_EEENSF_IJiiiEEENSE_INSF_IJNSG_INSF_IJiiiiEEENSF_IJiiiSN_EEELb0EEEEEES1T_S1V_S1U_lEENS_32ThreadwiseTensorSliceTransfer_v2ISD_SD_RKS3R_KS1X_NS5_IJLi8ELi1ELi1ELi32EEEENS5_IJLi1ELi2ELi0ELi3EEEELi3ELi32ELi0ELb1ELb0ELb0EEENS3F_ILS3G_1EKSD_lLb1ELS3I_0EiEENSF_IJNS_12StaticBufferILS3G_4ESD_Li256ELb1EEES42_EEES3N_NS_25StaticBufferTupleOfVectorILS3G_4EfLi64ELi4ELb1ELb0EEEEEvRKT1_RKT2_RT3_RKT4_RT5_RKT6_RKT7_RT8_RKT9_RT10_RKT11_RT12_iENKUlT_E1_clINSH_IiLi7EEEEEDaS51_EUlS51_E_EEvS51_EUlS51_E_EEvS51_, .Lfunc_end59-_ZNK2ck6detail7applierIiJLi0ELi1ELi2ELi3ELi4ELi5ELi6ELi7EEEclIZNKS_11static_fordINS_8SequenceIJLi1ELi8EEEENS5_IJLi0ELi1EEEEEclIZZNKS_52BlockwiseGemmXdlops_pipeline_bpreshuffle_bdequant_v3ILNS_26BlockGemmPipelineSchedulerE0ELi256ENS_9f8_fnuz_tENS_7pk_i4_tESC_fNS_16TensorDescriptorINS_5TupleIJNS_5EmbedINSF_IJNS_17integral_constantIiLi8EEENSH_IiLi256EEENSH_IiLi16EEEEEENSF_IJSK_NSH_IiLi128EEENSH_IiLi1EEEEEELb0EEENS_3XorINSF_IJSJ_SI_EEELb1EEENS_11PassThroughISK_EENS_7UnMergeINSF_IJSI_SN_EEELb0EEENST_ISJ_EESU_NST_ISI_EENS_21Merge_v3_division_modINSF_IJSJ_SN_EEEEESU_EEENSF_IJNS5_IJLi0EEEENS5_IJLi2ELi1EEEENS5_IJLi3EEEENS5_IJLi5EEEENS5_IJLi4EEEENS5_IJLi6EEEENS5_IJLi7EEEENS5_IJLi9ELi8EEEENS5_IJLi10EEEEEEENSF_IJNS5_IJLi1ELi2ELi3EEEENS5_IJLi4ELi5EEEES19_NS5_IJLi7ELi8EEEENS5_IJLi9EEEES1C_NS5_IJLi11EEEENS5_IJLi12EEEENS5_IJLi13EEEEEEENS5_IJLi11ELi12ELi13EEEENSH_IlLl32768EEEEENSE_INSF_IJNSV_INSF_IJSI_SN_SN_NSH_IiLi32EEEEEELb0EEEEEENSF_IJS14_EEENSF_IJNS5_IJLi1ELi2ELi3ELi4EEEEEEES1U_NSH_IlLl256EEEEENSE_INSF_IJSP_SS_SU_SX_SY_SU_SZ_S12_SU_NS10_INSF_IJSI_SK_EEEEENSV_INSF_IJSI_NSH_IiLi2EEESK_EEELb0EEEEEENSF_IJS14_S15_S16_S17_S18_S19_S1A_S1B_S1C_NS5_IJLi11ELi13EEEES1J_EEENSF_IJS1E_S1F_S19_S1G_S1H_S1C_S1I_S1J_S1K_NS5_IJLi14EEEENS5_IJLi15ELi16ELi17EEEEEEENS5_IJLi15ELi16ELi17ELi14EEEES1N_EENSE_INSF_IJS1R_NS10_ISW_EES22_EEENSF_IJS14_NS5_IJLi1ELi3EEEENS5_IJLi2EEEEEEENSF_IJS1U_S17_NS5_IJLi6ELi7ELi8EEEEEEENS5_IJLi6ELi7ELi8ELi5EEEES1W_EELi16ELi32ELi256ELi256ELi128ELi16ELi16ELi8ELi8ELi32ELb0EE3RunILb1ELNS_10TailNumberE1ENSE_INSF_IJNSG_INSF_IJiiEEENSF_IJiSN_EEELb0EEENSV_IS2N_Lb0EEENST_IiEEEEENSF_IJS14_S2E_NS5_IJLi1EEEEEEENSF_IJNS5_IJLi1ELi2EEEENS5_IJLi3ELi4EEEES17_EEENS5_IJLi3ELi5ELi4EEEElEES1O_NS_35ThreadGroupTensorSliceTransfer_v4r1INS_15ThisThreadBlockILi256EEENS_16tensor_operation12element_wise11PassThroughES35_LNS_25InMemoryDataOperationEnumE0ENS5_IJLi8ELi256ELi16EEEENS5_IJLi8ELi32ELi1EEEENS5_IJLi1ELi0ELi2EEEESC_SC_RKS2Z_KS1O_S39_NS5_IJLi0ELi1ELi2EEEELi2ELi2ELi16ELi16ELi1ELi1ELb0ELb1ELi2EiEENS_13DynamicBufferILNS_16AddressSpaceEnumE1EKSC_lLb1ELNS_22AmdBufferCoherenceEnumE0EiEENSF_IJNS3F_ILS3G_2ESC_S1N_Lb1ELS3I_0EiEES3K_EEENSF_IJiiiEEENSE_INSF_IJNSG_INSF_IJiiiiEEENSF_IJiiiSN_EEELb0EEEEEES1T_S1V_S1U_lEENS_32ThreadwiseTensorSliceTransfer_v2ISD_SD_RKS3R_KS1X_NS5_IJLi8ELi1ELi1ELi32EEEENS5_IJLi1ELi2ELi0ELi3EEEELi3ELi32ELi0ELb1ELb0ELb0EEENS3F_ILS3G_1EKSD_lLb1ELS3I_0EiEENSF_IJNS_12StaticBufferILS3G_4ESD_Li256ELb1EEES42_EEES3N_NS_25StaticBufferTupleOfVectorILS3G_4EfLi64ELi4ELb1ELb0EEEEEvRKT1_RKT2_RT3_RKT4_RT5_RKT6_RKT7_RT8_RKT9_RT10_RKT11_RT12_iENKUlT_E1_clINSH_IiLi7EEEEEDaS51_EUlS51_E_EEvS51_EUlS51_E_EEvS51_
                                        ; -- End function
	.section	.AMDGPU.csdata,"",@progbits
; Function info:
; codeLenInByte = 133608
; NumSgprs: 36
; NumVgprs: 26
; NumAgprs: 4
; TotalNumVgprs: 32
; ScratchSize: 0
; MemoryBound: 1
	.text
	.p2align	2                               ; -- Begin function _ZNK2ck52BlockwiseGemmXdlops_pipeline_bpreshuffle_bdequant_v3ILNS_26BlockGemmPipelineSchedulerE0ELi256ENS_9f8_fnuz_tENS_7pk_i4_tES2_fNS_16TensorDescriptorINS_5TupleIJNS_5EmbedINS5_IJNS_17integral_constantIiLi8EEENS7_IiLi256EEENS7_IiLi16EEEEEENS5_IJSA_NS7_IiLi128EEENS7_IiLi1EEEEEELb0EEENS_3XorINS5_IJS9_S8_EEELb1EEENS_11PassThroughISA_EENS_7UnMergeINS5_IJS8_SD_EEELb0EEENSJ_IS9_EESK_NSJ_IS8_EENS_21Merge_v3_division_modINS5_IJS9_SD_EEEEESK_EEENS5_IJNS_8SequenceIJLi0EEEENSU_IJLi2ELi1EEEENSU_IJLi3EEEENSU_IJLi5EEEENSU_IJLi4EEEENSU_IJLi6EEEENSU_IJLi7EEEENSU_IJLi9ELi8EEEENSU_IJLi10EEEEEEENS5_IJNSU_IJLi1ELi2ELi3EEEENSU_IJLi4ELi5EEEES10_NSU_IJLi7ELi8EEEENSU_IJLi9EEEES13_NSU_IJLi11EEEENSU_IJLi12EEEENSU_IJLi13EEEEEEENSU_IJLi11ELi12ELi13EEEENS7_IlLl32768EEEEENS4_INS5_IJNSL_INS5_IJS8_SD_SD_NS7_IiLi32EEEEEELb0EEEEEENS5_IJSV_EEENS5_IJNSU_IJLi1ELi2ELi3ELi4EEEEEEES1L_NS7_IlLl256EEEEENS4_INS5_IJSF_SI_SK_SN_SO_SK_SP_SS_SK_NSQ_INS5_IJS8_SA_EEEEENSL_INS5_IJS8_NS7_IiLi2EEESA_EEELb0EEEEEENS5_IJSV_SW_SX_SY_SZ_S10_S11_S12_S13_NSU_IJLi11ELi13EEEES1A_EEENS5_IJS15_S16_S10_S17_S18_S13_S19_S1A_S1B_NSU_IJLi14EEEENSU_IJLi15ELi16ELi17EEEEEEENSU_IJLi15ELi16ELi17ELi14EEEES1E_EENS4_INS5_IJS1I_NSQ_ISM_EES1T_EEENS5_IJSV_NSU_IJLi1ELi3EEEENSU_IJLi2EEEEEEENS5_IJS1L_SY_NSU_IJLi6ELi7ELi8EEEEEEENSU_IJLi6ELi7ELi8ELi5EEEES1N_EELi16ELi32ELi256ELi256ELi128ELi16ELi16ELi8ELi8ELi32ELb0EE3RunILb1ELNS_10TailNumberE1ENS4_INS5_IJNS6_INS5_IJiiEEENS5_IJiSD_EEELb0EEENSL_IS2E_Lb0EEENSJ_IiEEEEENS5_IJSV_S25_NSU_IJLi1EEEEEEENS5_IJNSU_IJLi1ELi2EEEENSU_IJLi3ELi4EEEESY_EEENSU_IJLi3ELi5ELi4EEEElEES1F_NS_35ThreadGroupTensorSliceTransfer_v4r1INS_15ThisThreadBlockILi256EEENS_16tensor_operation12element_wise11PassThroughES2W_LNS_25InMemoryDataOperationEnumE0ENSU_IJLi8ELi256ELi16EEEENSU_IJLi8ELi32ELi1EEEENSU_IJLi1ELi0ELi2EEEES2_S2_RKS2Q_KS1F_S30_NSU_IJLi0ELi1ELi2EEEELi2ELi2ELi16ELi16ELi1ELi1ELb0ELb1ELi2EiEENS_13DynamicBufferILNS_16AddressSpaceEnumE1EKS2_lLb1ELNS_22AmdBufferCoherenceEnumE0EiEENS5_IJNS36_ILS37_2ES2_S1E_Lb1ELS39_0EiEES3B_EEENS5_IJiiiEEENS4_INS5_IJNS6_INS5_IJiiiiEEENS5_IJiiiSD_EEELb0EEEEEES1K_S1M_S1L_lEENS_32ThreadwiseTensorSliceTransfer_v2IS3_S3_RKS3I_KS1O_NSU_IJLi8ELi1ELi1ELi32EEEENSU_IJLi1ELi2ELi0ELi3EEEELi3ELi32ELi0ELb1ELb0ELb0EEENS36_ILS37_1EKS3_lLb1ELS39_0EiEENS5_IJNS_12StaticBufferILS37_4ES3_Li256ELb1EEES3T_EEES3E_NS_25StaticBufferTupleOfVectorILS37_4EfLi64ELi4ELb1ELb0EEEEEvRKT1_RKT2_RT3_RKT4_RT5_RKT6_RKT7_RT8_RKT9_RT10_RKT11_RT12_i
	.type	_ZNK2ck52BlockwiseGemmXdlops_pipeline_bpreshuffle_bdequant_v3ILNS_26BlockGemmPipelineSchedulerE0ELi256ENS_9f8_fnuz_tENS_7pk_i4_tES2_fNS_16TensorDescriptorINS_5TupleIJNS_5EmbedINS5_IJNS_17integral_constantIiLi8EEENS7_IiLi256EEENS7_IiLi16EEEEEENS5_IJSA_NS7_IiLi128EEENS7_IiLi1EEEEEELb0EEENS_3XorINS5_IJS9_S8_EEELb1EEENS_11PassThroughISA_EENS_7UnMergeINS5_IJS8_SD_EEELb0EEENSJ_IS9_EESK_NSJ_IS8_EENS_21Merge_v3_division_modINS5_IJS9_SD_EEEEESK_EEENS5_IJNS_8SequenceIJLi0EEEENSU_IJLi2ELi1EEEENSU_IJLi3EEEENSU_IJLi5EEEENSU_IJLi4EEEENSU_IJLi6EEEENSU_IJLi7EEEENSU_IJLi9ELi8EEEENSU_IJLi10EEEEEEENS5_IJNSU_IJLi1ELi2ELi3EEEENSU_IJLi4ELi5EEEES10_NSU_IJLi7ELi8EEEENSU_IJLi9EEEES13_NSU_IJLi11EEEENSU_IJLi12EEEENSU_IJLi13EEEEEEENSU_IJLi11ELi12ELi13EEEENS7_IlLl32768EEEEENS4_INS5_IJNSL_INS5_IJS8_SD_SD_NS7_IiLi32EEEEEELb0EEEEEENS5_IJSV_EEENS5_IJNSU_IJLi1ELi2ELi3ELi4EEEEEEES1L_NS7_IlLl256EEEEENS4_INS5_IJSF_SI_SK_SN_SO_SK_SP_SS_SK_NSQ_INS5_IJS8_SA_EEEEENSL_INS5_IJS8_NS7_IiLi2EEESA_EEELb0EEEEEENS5_IJSV_SW_SX_SY_SZ_S10_S11_S12_S13_NSU_IJLi11ELi13EEEES1A_EEENS5_IJS15_S16_S10_S17_S18_S13_S19_S1A_S1B_NSU_IJLi14EEEENSU_IJLi15ELi16ELi17EEEEEEENSU_IJLi15ELi16ELi17ELi14EEEES1E_EENS4_INS5_IJS1I_NSQ_ISM_EES1T_EEENS5_IJSV_NSU_IJLi1ELi3EEEENSU_IJLi2EEEEEEENS5_IJS1L_SY_NSU_IJLi6ELi7ELi8EEEEEEENSU_IJLi6ELi7ELi8ELi5EEEES1N_EELi16ELi32ELi256ELi256ELi128ELi16ELi16ELi8ELi8ELi32ELb0EE3RunILb1ELNS_10TailNumberE1ENS4_INS5_IJNS6_INS5_IJiiEEENS5_IJiSD_EEELb0EEENSL_IS2E_Lb0EEENSJ_IiEEEEENS5_IJSV_S25_NSU_IJLi1EEEEEEENS5_IJNSU_IJLi1ELi2EEEENSU_IJLi3ELi4EEEESY_EEENSU_IJLi3ELi5ELi4EEEElEES1F_NS_35ThreadGroupTensorSliceTransfer_v4r1INS_15ThisThreadBlockILi256EEENS_16tensor_operation12element_wise11PassThroughES2W_LNS_25InMemoryDataOperationEnumE0ENSU_IJLi8ELi256ELi16EEEENSU_IJLi8ELi32ELi1EEEENSU_IJLi1ELi0ELi2EEEES2_S2_RKS2Q_KS1F_S30_NSU_IJLi0ELi1ELi2EEEELi2ELi2ELi16ELi16ELi1ELi1ELb0ELb1ELi2EiEENS_13DynamicBufferILNS_16AddressSpaceEnumE1EKS2_lLb1ELNS_22AmdBufferCoherenceEnumE0EiEENS5_IJNS36_ILS37_2ES2_S1E_Lb1ELS39_0EiEES3B_EEENS5_IJiiiEEENS4_INS5_IJNS6_INS5_IJiiiiEEENS5_IJiiiSD_EEELb0EEEEEES1K_S1M_S1L_lEENS_32ThreadwiseTensorSliceTransfer_v2IS3_S3_RKS3I_KS1O_NSU_IJLi8ELi1ELi1ELi32EEEENSU_IJLi1ELi2ELi0ELi3EEEELi3ELi32ELi0ELb1ELb0ELb0EEENS36_ILS37_1EKS3_lLb1ELS39_0EiEENS5_IJNS_12StaticBufferILS37_4ES3_Li256ELb1EEES3T_EEES3E_NS_25StaticBufferTupleOfVectorILS37_4EfLi64ELi4ELb1ELb0EEEEEvRKT1_RKT2_RT3_RKT4_RT5_RKT6_RKT7_RT8_RKT9_RT10_RKT11_RT12_i,@function
_ZNK2ck52BlockwiseGemmXdlops_pipeline_bpreshuffle_bdequant_v3ILNS_26BlockGemmPipelineSchedulerE0ELi256ENS_9f8_fnuz_tENS_7pk_i4_tES2_fNS_16TensorDescriptorINS_5TupleIJNS_5EmbedINS5_IJNS_17integral_constantIiLi8EEENS7_IiLi256EEENS7_IiLi16EEEEEENS5_IJSA_NS7_IiLi128EEENS7_IiLi1EEEEEELb0EEENS_3XorINS5_IJS9_S8_EEELb1EEENS_11PassThroughISA_EENS_7UnMergeINS5_IJS8_SD_EEELb0EEENSJ_IS9_EESK_NSJ_IS8_EENS_21Merge_v3_division_modINS5_IJS9_SD_EEEEESK_EEENS5_IJNS_8SequenceIJLi0EEEENSU_IJLi2ELi1EEEENSU_IJLi3EEEENSU_IJLi5EEEENSU_IJLi4EEEENSU_IJLi6EEEENSU_IJLi7EEEENSU_IJLi9ELi8EEEENSU_IJLi10EEEEEEENS5_IJNSU_IJLi1ELi2ELi3EEEENSU_IJLi4ELi5EEEES10_NSU_IJLi7ELi8EEEENSU_IJLi9EEEES13_NSU_IJLi11EEEENSU_IJLi12EEEENSU_IJLi13EEEEEEENSU_IJLi11ELi12ELi13EEEENS7_IlLl32768EEEEENS4_INS5_IJNSL_INS5_IJS8_SD_SD_NS7_IiLi32EEEEEELb0EEEEEENS5_IJSV_EEENS5_IJNSU_IJLi1ELi2ELi3ELi4EEEEEEES1L_NS7_IlLl256EEEEENS4_INS5_IJSF_SI_SK_SN_SO_SK_SP_SS_SK_NSQ_INS5_IJS8_SA_EEEEENSL_INS5_IJS8_NS7_IiLi2EEESA_EEELb0EEEEEENS5_IJSV_SW_SX_SY_SZ_S10_S11_S12_S13_NSU_IJLi11ELi13EEEES1A_EEENS5_IJS15_S16_S10_S17_S18_S13_S19_S1A_S1B_NSU_IJLi14EEEENSU_IJLi15ELi16ELi17EEEEEEENSU_IJLi15ELi16ELi17ELi14EEEES1E_EENS4_INS5_IJS1I_NSQ_ISM_EES1T_EEENS5_IJSV_NSU_IJLi1ELi3EEEENSU_IJLi2EEEEEEENS5_IJS1L_SY_NSU_IJLi6ELi7ELi8EEEEEEENSU_IJLi6ELi7ELi8ELi5EEEES1N_EELi16ELi32ELi256ELi256ELi128ELi16ELi16ELi8ELi8ELi32ELb0EE3RunILb1ELNS_10TailNumberE1ENS4_INS5_IJNS6_INS5_IJiiEEENS5_IJiSD_EEELb0EEENSL_IS2E_Lb0EEENSJ_IiEEEEENS5_IJSV_S25_NSU_IJLi1EEEEEEENS5_IJNSU_IJLi1ELi2EEEENSU_IJLi3ELi4EEEESY_EEENSU_IJLi3ELi5ELi4EEEElEES1F_NS_35ThreadGroupTensorSliceTransfer_v4r1INS_15ThisThreadBlockILi256EEENS_16tensor_operation12element_wise11PassThroughES2W_LNS_25InMemoryDataOperationEnumE0ENSU_IJLi8ELi256ELi16EEEENSU_IJLi8ELi32ELi1EEEENSU_IJLi1ELi0ELi2EEEES2_S2_RKS2Q_KS1F_S30_NSU_IJLi0ELi1ELi2EEEELi2ELi2ELi16ELi16ELi1ELi1ELb0ELb1ELi2EiEENS_13DynamicBufferILNS_16AddressSpaceEnumE1EKS2_lLb1ELNS_22AmdBufferCoherenceEnumE0EiEENS5_IJNS36_ILS37_2ES2_S1E_Lb1ELS39_0EiEES3B_EEENS5_IJiiiEEENS4_INS5_IJNS6_INS5_IJiiiiEEENS5_IJiiiSD_EEELb0EEEEEES1K_S1M_S1L_lEENS_32ThreadwiseTensorSliceTransfer_v2IS3_S3_RKS3I_KS1O_NSU_IJLi8ELi1ELi1ELi32EEEENSU_IJLi1ELi2ELi0ELi3EEEELi3ELi32ELi0ELb1ELb0ELb0EEENS36_ILS37_1EKS3_lLb1ELS39_0EiEENS5_IJNS_12StaticBufferILS37_4ES3_Li256ELb1EEES3T_EEES3E_NS_25StaticBufferTupleOfVectorILS37_4EfLi64ELi4ELb1ELb0EEEEEvRKT1_RKT2_RT3_RKT4_RT5_RKT6_RKT7_RT8_RKT9_RT10_RKT11_RT12_i: ; @_ZNK2ck52BlockwiseGemmXdlops_pipeline_bpreshuffle_bdequant_v3ILNS_26BlockGemmPipelineSchedulerE0ELi256ENS_9f8_fnuz_tENS_7pk_i4_tES2_fNS_16TensorDescriptorINS_5TupleIJNS_5EmbedINS5_IJNS_17integral_constantIiLi8EEENS7_IiLi256EEENS7_IiLi16EEEEEENS5_IJSA_NS7_IiLi128EEENS7_IiLi1EEEEEELb0EEENS_3XorINS5_IJS9_S8_EEELb1EEENS_11PassThroughISA_EENS_7UnMergeINS5_IJS8_SD_EEELb0EEENSJ_IS9_EESK_NSJ_IS8_EENS_21Merge_v3_division_modINS5_IJS9_SD_EEEEESK_EEENS5_IJNS_8SequenceIJLi0EEEENSU_IJLi2ELi1EEEENSU_IJLi3EEEENSU_IJLi5EEEENSU_IJLi4EEEENSU_IJLi6EEEENSU_IJLi7EEEENSU_IJLi9ELi8EEEENSU_IJLi10EEEEEEENS5_IJNSU_IJLi1ELi2ELi3EEEENSU_IJLi4ELi5EEEES10_NSU_IJLi7ELi8EEEENSU_IJLi9EEEES13_NSU_IJLi11EEEENSU_IJLi12EEEENSU_IJLi13EEEEEEENSU_IJLi11ELi12ELi13EEEENS7_IlLl32768EEEEENS4_INS5_IJNSL_INS5_IJS8_SD_SD_NS7_IiLi32EEEEEELb0EEEEEENS5_IJSV_EEENS5_IJNSU_IJLi1ELi2ELi3ELi4EEEEEEES1L_NS7_IlLl256EEEEENS4_INS5_IJSF_SI_SK_SN_SO_SK_SP_SS_SK_NSQ_INS5_IJS8_SA_EEEEENSL_INS5_IJS8_NS7_IiLi2EEESA_EEELb0EEEEEENS5_IJSV_SW_SX_SY_SZ_S10_S11_S12_S13_NSU_IJLi11ELi13EEEES1A_EEENS5_IJS15_S16_S10_S17_S18_S13_S19_S1A_S1B_NSU_IJLi14EEEENSU_IJLi15ELi16ELi17EEEEEEENSU_IJLi15ELi16ELi17ELi14EEEES1E_EENS4_INS5_IJS1I_NSQ_ISM_EES1T_EEENS5_IJSV_NSU_IJLi1ELi3EEEENSU_IJLi2EEEEEEENS5_IJS1L_SY_NSU_IJLi6ELi7ELi8EEEEEEENSU_IJLi6ELi7ELi8ELi5EEEES1N_EELi16ELi32ELi256ELi256ELi128ELi16ELi16ELi8ELi8ELi32ELb0EE3RunILb1ELNS_10TailNumberE1ENS4_INS5_IJNS6_INS5_IJiiEEENS5_IJiSD_EEELb0EEENSL_IS2E_Lb0EEENSJ_IiEEEEENS5_IJSV_S25_NSU_IJLi1EEEEEEENS5_IJNSU_IJLi1ELi2EEEENSU_IJLi3ELi4EEEESY_EEENSU_IJLi3ELi5ELi4EEEElEES1F_NS_35ThreadGroupTensorSliceTransfer_v4r1INS_15ThisThreadBlockILi256EEENS_16tensor_operation12element_wise11PassThroughES2W_LNS_25InMemoryDataOperationEnumE0ENSU_IJLi8ELi256ELi16EEEENSU_IJLi8ELi32ELi1EEEENSU_IJLi1ELi0ELi2EEEES2_S2_RKS2Q_KS1F_S30_NSU_IJLi0ELi1ELi2EEEELi2ELi2ELi16ELi16ELi1ELi1ELb0ELb1ELi2EiEENS_13DynamicBufferILNS_16AddressSpaceEnumE1EKS2_lLb1ELNS_22AmdBufferCoherenceEnumE0EiEENS5_IJNS36_ILS37_2ES2_S1E_Lb1ELS39_0EiEES3B_EEENS5_IJiiiEEENS4_INS5_IJNS6_INS5_IJiiiiEEENS5_IJiiiSD_EEELb0EEEEEES1K_S1M_S1L_lEENS_32ThreadwiseTensorSliceTransfer_v2IS3_S3_RKS3I_KS1O_NSU_IJLi8ELi1ELi1ELi32EEEENSU_IJLi1ELi2ELi0ELi3EEEELi3ELi32ELi0ELb1ELb0ELb0EEENS36_ILS37_1EKS3_lLb1ELS39_0EiEENS5_IJNS_12StaticBufferILS37_4ES3_Li256ELb1EEES3T_EEES3E_NS_25StaticBufferTupleOfVectorILS37_4EfLi64ELi4ELb1ELb0EEEEEvRKT1_RKT2_RT3_RKT4_RT5_RKT6_RKT7_RT8_RKT9_RT10_RKT11_RT12_i
; %bb.0:
	s_waitcnt vmcnt(0) expcnt(0) lgkmcnt(0)
	s_mov_b32 s4, s33
	s_mov_b32 s33, s32
	s_or_saveexec_b64 s[6:7], -1
	buffer_store_dword v40, off, s[0:3], s33 offset:1140 ; 4-byte Folded Spill
	s_mov_b64 exec, s[6:7]
	v_writelane_b32 v40, s4, 2
	v_writelane_b32 v40, s30, 0
	s_add_i32 s32, s32, 0x12000
	v_writelane_b32 v40, s31, 1
	v_mov_b32_e32 v27, v21
	v_mov_b32_e32 v26, v20
	;; [unrolled: 1-line block ×22, first 2 shown]
	; sched_barrier mask(0x00000000)
	v_mov_b32_e32 v6, 0
	buffer_store_dword v6, off, s[0:3], s33 offset:52
	buffer_store_dword v6, off, s[0:3], s33 offset:56
	;; [unrolled: 1-line block ×195, first 2 shown]
	flat_load_dwordx3 v[12:14], v[34:35]
	s_mov_b32 s12, 0x20000
	buffer_store_dword v6, off, s[0:3], s33 offset:932
	flat_load_dwordx2 v[4:5], v[38:39]
	flat_load_dwordx4 v[0:3], v[38:39]
	s_nop 0
	buffer_store_dword v6, off, s[0:3], s33 offset:928
	buffer_store_dword v6, off, s[0:3], s33 offset:924
	;; [unrolled: 1-line block ×76, first 2 shown]
	v_mov_b32_e32 v7, 0x20000
	s_mov_b64 s[6:7], exec
	s_waitcnt vmcnt(0) lgkmcnt(0)
	v_lshrrev_b32_e32 v6, 31, v12
	v_add_u32_e32 v6, v12, v6
	v_ashrrev_i32_e32 v15, 1, v6
	v_lshrrev_b32_e32 v6, 31, v3
	v_add_co_u32_e32 v2, vcc, v2, v6
	v_addc_co_u32_e32 v3, vcc, 0, v3, vcc
	v_alignbit_b32 v6, v3, v2, 1
.LBB60_1:                               ; =>This Inner Loop Header: Depth=1
	v_readfirstlane_b32 s8, v4
	v_readfirstlane_b32 s9, v5
	;; [unrolled: 1-line block ×4, first 2 shown]
	v_cmp_eq_u64_e32 vcc, s[8:9], v[4:5]
	v_cmp_eq_u64_e64 s[4:5], s[10:11], v[6:7]
	s_and_b64 s[4:5], vcc, s[4:5]
	s_and_saveexec_b64 s[4:5], s[4:5]
	s_nop 0
	buffer_load_dwordx4 v[8:11], v15, s[8:11], 0 offen
                                        ; implicit-def: $vgpr15
	s_xor_b64 exec, exec, s[4:5]
	s_cbranch_execnz .LBB60_1
; %bb.2:
	s_mov_b64 exec, s[6:7]
	v_add_u32_e32 v2, 1, v13
	flat_store_dword v[34:35], v2 offset:4
	flat_load_dword v2, v[36:37] offset:16
	s_mov_b64 s[6:7], exec
	s_waitcnt vmcnt(0)
	buffer_store_dword v11, off, s[0:3], s33 offset:128
	buffer_store_dword v10, off, s[0:3], s33 offset:124
	buffer_store_dword v9, off, s[0:3], s33 offset:120
	buffer_store_dword v8, off, s[0:3], s33 offset:116
	s_waitcnt lgkmcnt(0)
	v_add_u32_e32 v2, v2, v12
	v_lshrrev_b32_e32 v3, 31, v2
	v_add_u32_e32 v3, v2, v3
	v_ashrrev_i32_e32 v3, 1, v3
	flat_store_dword v[34:35], v2
.LBB60_3:                               ; =>This Inner Loop Header: Depth=1
	v_readfirstlane_b32 s8, v4
	v_readfirstlane_b32 s9, v5
	v_readfirstlane_b32 s10, v6
	v_readfirstlane_b32 s11, v7
	v_cmp_eq_u64_e32 vcc, s[8:9], v[4:5]
	v_cmp_eq_u64_e64 s[4:5], s[10:11], v[6:7]
	s_and_b64 s[4:5], vcc, s[4:5]
	s_and_saveexec_b64 s[4:5], s[4:5]
	s_nop 0
	buffer_load_dwordx4 v[8:11], v3, s[8:11], 0 offen
                                        ; implicit-def: $vgpr3
	s_xor_b64 exec, exec, s[4:5]
	s_cbranch_execnz .LBB60_3
; %bb.4:
	s_mov_b64 exec, s[6:7]
	v_add_u32_e32 v3, 2, v13
	flat_store_dword v[34:35], v3 offset:4
	flat_load_dword v3, v[36:37] offset:16
	s_mov_b64 s[6:7], exec
	s_waitcnt vmcnt(0)
	buffer_store_dword v11, off, s[0:3], s33 offset:160
	buffer_store_dword v10, off, s[0:3], s33 offset:156
	buffer_store_dword v9, off, s[0:3], s33 offset:152
	buffer_store_dword v8, off, s[0:3], s33 offset:148
	s_waitcnt lgkmcnt(0)
	v_add_u32_e32 v2, v3, v2
	v_lshrrev_b32_e32 v3, 31, v2
	v_add_u32_e32 v3, v2, v3
	v_ashrrev_i32_e32 v3, 1, v3
	flat_store_dword v[34:35], v2
.LBB60_5:                               ; =>This Inner Loop Header: Depth=1
	v_readfirstlane_b32 s8, v4
	v_readfirstlane_b32 s9, v5
	v_readfirstlane_b32 s10, v6
	v_readfirstlane_b32 s11, v7
	v_cmp_eq_u64_e32 vcc, s[8:9], v[4:5]
	v_cmp_eq_u64_e64 s[4:5], s[10:11], v[6:7]
	s_and_b64 s[4:5], vcc, s[4:5]
	s_and_saveexec_b64 s[4:5], s[4:5]
	s_nop 0
	buffer_load_dwordx4 v[8:11], v3, s[8:11], 0 offen
                                        ; implicit-def: $vgpr3
	s_xor_b64 exec, exec, s[4:5]
	s_cbranch_execnz .LBB60_5
	;; [unrolled: 31-line block ×4, first 2 shown]
; %bb.10:
	s_mov_b64 exec, s[6:7]
	v_add_u32_e32 v3, 5, v13
	flat_store_dword v[34:35], v3 offset:4
	flat_load_dword v3, v[36:37] offset:16
	s_mov_b64 s[6:7], exec
	s_waitcnt vmcnt(0)
	buffer_store_dword v11, off, s[0:3], s33 offset:256
	buffer_store_dword v10, off, s[0:3], s33 offset:252
	;; [unrolled: 1-line block ×4, first 2 shown]
	s_waitcnt lgkmcnt(0)
	v_add_u32_e32 v2, v3, v2
	v_lshrrev_b32_e32 v3, 31, v2
	v_add_u32_e32 v3, v2, v3
	v_ashrrev_i32_e32 v3, 1, v3
	flat_store_dword v[34:35], v2
.LBB60_11:                              ; =>This Inner Loop Header: Depth=1
	v_readfirstlane_b32 s8, v4
	v_readfirstlane_b32 s9, v5
	;; [unrolled: 1-line block ×4, first 2 shown]
	v_cmp_eq_u64_e32 vcc, s[8:9], v[4:5]
	v_cmp_eq_u64_e64 s[4:5], s[10:11], v[6:7]
	s_and_b64 s[4:5], vcc, s[4:5]
	s_and_saveexec_b64 s[4:5], s[4:5]
	s_nop 0
	buffer_load_dwordx4 v[8:11], v3, s[8:11], 0 offen
                                        ; implicit-def: $vgpr4_vgpr5_vgpr6_vgpr7
                                        ; implicit-def: $vgpr3
	s_xor_b64 exec, exec, s[4:5]
	s_cbranch_execnz .LBB60_11
; %bb.12:
	s_mov_b64 exec, s[6:7]
	v_add_u32_e32 v3, 6, v13
	flat_store_dword v[34:35], v3 offset:4
	flat_load_dword v3, v[36:37] offset:16
	s_mov_b64 s[6:7], exec
	s_waitcnt vmcnt(0) lgkmcnt(0)
	v_add_u32_e32 v12, v3, v2
	flat_store_dword v[34:35], v12
	flat_load_dwordx2 v[4:5], v[38:39] offset:8
	v_lshrrev_b32_e32 v2, 31, v12
	v_add_u32_e32 v2, v12, v2
	buffer_store_dword v11, off, s[0:3], s33 offset:288
	buffer_store_dword v10, off, s[0:3], s33 offset:284
	;; [unrolled: 1-line block ×4, first 2 shown]
	v_ashrrev_i32_e32 v8, 1, v2
	v_mov_b32_e32 v3, s12
	s_waitcnt vmcnt(0) lgkmcnt(0)
	v_lshrrev_b32_e32 v2, 31, v5
	v_add_co_u32_e32 v2, vcc, v4, v2
	v_addc_co_u32_e32 v4, vcc, 0, v5, vcc
	v_alignbit_b32 v2, v4, v2, 1
.LBB60_13:                              ; =>This Inner Loop Header: Depth=1
	v_readfirstlane_b32 s8, v0
	v_readfirstlane_b32 s9, v1
	;; [unrolled: 1-line block ×4, first 2 shown]
	v_cmp_eq_u64_e32 vcc, s[8:9], v[0:1]
	v_cmp_eq_u64_e64 s[4:5], s[10:11], v[2:3]
	s_and_b64 s[4:5], vcc, s[4:5]
	s_and_saveexec_b64 s[4:5], s[4:5]
	s_nop 0
	buffer_load_dwordx4 v[4:7], v8, s[8:11], 0 offen
                                        ; implicit-def: $vgpr8
	s_xor_b64 exec, exec, s[4:5]
	s_cbranch_execnz .LBB60_13
; %bb.14:
	s_mov_b64 exec, s[6:7]
	v_add_u32_e32 v8, 7, v13
	flat_store_dword v[34:35], v8 offset:4
	flat_load_dword v8, v[36:37] offset:16
	s_waitcnt vmcnt(0)
	buffer_store_dword v7, off, s[0:3], s33 offset:320
	buffer_store_dword v6, off, s[0:3], s33 offset:316
	;; [unrolled: 1-line block ×4, first 2 shown]
	s_mov_b64 s[6:7], exec
	s_waitcnt lgkmcnt(0)
	v_add_u32_e32 v8, v8, v12
	v_lshrrev_b32_e32 v4, 31, v8
	v_add_u32_e32 v4, v8, v4
	v_ashrrev_i32_e32 v9, 1, v4
	flat_store_dword v[34:35], v8
.LBB60_15:                              ; =>This Inner Loop Header: Depth=1
	v_readfirstlane_b32 s8, v0
	v_readfirstlane_b32 s9, v1
	;; [unrolled: 1-line block ×4, first 2 shown]
	v_cmp_eq_u64_e32 vcc, s[8:9], v[0:1]
	v_cmp_eq_u64_e64 s[4:5], s[10:11], v[2:3]
	s_and_b64 s[4:5], vcc, s[4:5]
	s_and_saveexec_b64 s[4:5], s[4:5]
	s_nop 0
	buffer_load_dwordx4 v[4:7], v9, s[8:11], 0 offen
                                        ; implicit-def: $vgpr0_vgpr1_vgpr2_vgpr3
                                        ; implicit-def: $vgpr9
	s_xor_b64 exec, exec, s[4:5]
	s_cbranch_execnz .LBB60_15
; %bb.16:
	s_mov_b64 exec, s[6:7]
	flat_store_dword v[34:35], v13 offset:4
	flat_load_dword v0, v[36:37] offset:16
	s_waitcnt vmcnt(0) lgkmcnt(0)
	v_mad_u64_u32 v[8:9], s[4:5], v0, -7, v[8:9]
	flat_store_dword v[34:35], v8
	flat_load_dwordx4 v[0:3], v[48:49]
	flat_load_dwordx2 v[10:11], v[34:35] offset:12
	s_nop 0
	buffer_store_dword v7, off, s[0:3], s33 offset:352
	buffer_store_dword v6, off, s[0:3], s33 offset:348
	;; [unrolled: 1-line block ×4, first 2 shown]
	s_waitcnt vmcnt(0) lgkmcnt(0)
	v_or_b32_e32 v9, v1, v2
	v_or3_b32 v9, v9, v0, v3
	v_add_u32_e32 v5, v14, v1
	v_add_u32_e32 v4, v13, v0
	;; [unrolled: 1-line block ×4, first 2 shown]
	v_cmp_ne_u32_e32 vcc, 0, v9
	flat_store_dwordx4 v[34:35], v[4:7] offset:4
	s_and_saveexec_b64 s[4:5], vcc
	s_cbranch_execz .LBB60_18
; %bb.17:
	flat_load_dwordx3 v[4:6], v[36:37] offset:16
	s_waitcnt vmcnt(0) lgkmcnt(0)
	v_mul_lo_u32 v0, v4, v0
	v_mul_lo_u32 v2, v6, v2
	;; [unrolled: 1-line block ×3, first 2 shown]
	v_add3_u32 v0, v8, v3, v0
	v_add3_u32 v0, v0, v1, v2
	flat_store_dword v[34:35], v0
.LBB60_18:
	s_or_b64 exec, exec, s[4:5]
	v_mov_b32_e32 v0, 1
	flat_store_byte v[32:33], v0 offset:288
	flat_load_dwordx2 v[12:13], v[32:33] offset:704
	s_nop 0
	flat_load_dwordx4 v[0:3], v[52:53]
	s_mov_b32 s12, 0x20000
	s_waitcnt vmcnt(0) lgkmcnt(0)
	v_mov_b32_e32 v3, s12
	s_mov_b64 s[6:7], exec
.LBB60_19:                              ; =>This Inner Loop Header: Depth=1
	v_readfirstlane_b32 s8, v0
	v_readfirstlane_b32 s9, v1
	;; [unrolled: 1-line block ×4, first 2 shown]
	v_cmp_eq_u64_e32 vcc, s[8:9], v[0:1]
	v_cmp_eq_u64_e64 s[4:5], s[10:11], v[2:3]
	s_and_b64 s[4:5], vcc, s[4:5]
	s_and_saveexec_b64 s[4:5], s[4:5]
	s_nop 0
	buffer_load_dwordx4 v[4:7], v12, s[8:11], 0 offen
                                        ; implicit-def: $vgpr0_vgpr1_vgpr2_vgpr3
	s_xor_b64 exec, exec, s[4:5]
	s_cbranch_execnz .LBB60_19
; %bb.20:
	s_mov_b64 exec, s[6:7]
	flat_load_dwordx3 v[8:10], v[32:33] offset:716
	v_add_u32_e32 v0, 1, v13
	flat_store_dword v[32:33], v0 offset:708
	s_waitcnt vmcnt(0)
	flat_store_dwordx4 v[32:33], v[4:7]
	v_mov_b32_e32 v1, 1
	s_mov_b64 s[6:7], exec
	s_waitcnt lgkmcnt(0)
	v_add_u32_e32 v0, 1, v10
	flat_store_dword v[32:33], v0 offset:724
	flat_load_dword v0, v[54:55] offset:8
	s_waitcnt vmcnt(0) lgkmcnt(0)
	v_add_u32_e32 v11, v0, v12
	flat_store_dword v[32:33], v11 offset:704
	flat_store_byte v[32:33], v1 offset:304
	flat_load_dwordx4 v[0:3], v[52:53]
	s_waitcnt vmcnt(0) lgkmcnt(0)
	v_mov_b32_e32 v3, s12
.LBB60_21:                              ; =>This Inner Loop Header: Depth=1
	v_readfirstlane_b32 s8, v0
	v_readfirstlane_b32 s9, v1
	v_readfirstlane_b32 s10, v2
	v_readfirstlane_b32 s11, v3
	v_cmp_eq_u64_e32 vcc, s[8:9], v[0:1]
	v_cmp_eq_u64_e64 s[4:5], s[10:11], v[2:3]
	s_and_b64 s[4:5], vcc, s[4:5]
	s_and_saveexec_b64 s[4:5], s[4:5]
	s_nop 0
	buffer_load_dwordx4 v[4:7], v11, s[8:11], 0 offen
                                        ; implicit-def: $vgpr0_vgpr1_vgpr2_vgpr3
	s_xor_b64 exec, exec, s[4:5]
	s_cbranch_execnz .LBB60_21
; %bb.22:
	s_mov_b64 exec, s[6:7]
	v_add_u32_e32 v0, 2, v10
	flat_store_dword v[32:33], v0 offset:724
	v_add_u32_e32 v0, 2, v13
	s_waitcnt vmcnt(0)
	flat_store_dwordx4 v[32:33], v[4:7] offset:16
	flat_store_dword v[32:33], v0 offset:708
	flat_load_dword v0, v[54:55] offset:8
	v_mov_b32_e32 v1, 1
	s_mov_b64 s[6:7], exec
	s_waitcnt vmcnt(0) lgkmcnt(0)
	v_add_u32_e32 v11, v0, v11
	flat_store_dword v[32:33], v11 offset:704
	flat_store_byte v[32:33], v1 offset:320
	flat_load_dwordx4 v[0:3], v[52:53]
	s_waitcnt vmcnt(0) lgkmcnt(0)
	v_mov_b32_e32 v3, s12
.LBB60_23:                              ; =>This Inner Loop Header: Depth=1
	v_readfirstlane_b32 s8, v0
	v_readfirstlane_b32 s9, v1
	v_readfirstlane_b32 s10, v2
	v_readfirstlane_b32 s11, v3
	v_cmp_eq_u64_e32 vcc, s[8:9], v[0:1]
	v_cmp_eq_u64_e64 s[4:5], s[10:11], v[2:3]
	s_and_b64 s[4:5], vcc, s[4:5]
	s_and_saveexec_b64 s[4:5], s[4:5]
	s_nop 0
	buffer_load_dwordx4 v[4:7], v11, s[8:11], 0 offen
                                        ; implicit-def: $vgpr0_vgpr1_vgpr2_vgpr3
	s_xor_b64 exec, exec, s[4:5]
	s_cbranch_execnz .LBB60_23
; %bb.24:
	s_mov_b64 exec, s[6:7]
	v_add_u32_e32 v0, 3, v10
	flat_store_dword v[32:33], v0 offset:724
	v_add_u32_e32 v0, 3, v13
	s_waitcnt vmcnt(0)
	flat_store_dwordx4 v[32:33], v[4:7] offset:32
	flat_store_dword v[32:33], v0 offset:708
	flat_load_dword v0, v[54:55] offset:8
	v_mov_b32_e32 v1, 1
	s_mov_b64 s[6:7], exec
	;; [unrolled: 32-line block ×5, first 2 shown]
	s_waitcnt vmcnt(0) lgkmcnt(0)
	v_add_u32_e32 v11, v0, v11
	flat_store_dword v[32:33], v11 offset:704
	flat_store_byte v[32:33], v1 offset:384
	flat_load_dwordx4 v[0:3], v[52:53]
	s_waitcnt vmcnt(0) lgkmcnt(0)
	v_mov_b32_e32 v3, s12
.LBB60_31:                              ; =>This Inner Loop Header: Depth=1
	v_readfirstlane_b32 s8, v0
	v_readfirstlane_b32 s9, v1
	;; [unrolled: 1-line block ×4, first 2 shown]
	v_cmp_eq_u64_e32 vcc, s[8:9], v[0:1]
	v_cmp_eq_u64_e64 s[4:5], s[10:11], v[2:3]
	s_and_b64 s[4:5], vcc, s[4:5]
	s_and_saveexec_b64 s[4:5], s[4:5]
	s_nop 0
	buffer_load_dwordx4 v[4:7], v11, s[8:11], 0 offen
                                        ; implicit-def: $vgpr0_vgpr1_vgpr2_vgpr3
	s_xor_b64 exec, exec, s[4:5]
	s_cbranch_execnz .LBB60_31
; %bb.32:
	s_mov_b64 exec, s[6:7]
	v_add_u32_e32 v0, 7, v10
	flat_store_dword v[32:33], v0 offset:724
	v_add_u32_e32 v0, 7, v13
	s_waitcnt vmcnt(0)
	flat_store_dwordx4 v[32:33], v[4:7] offset:96
	flat_store_dword v[32:33], v0 offset:708
	flat_load_dword v0, v[54:55] offset:8
	s_mov_b64 s[6:7], exec
	s_waitcnt vmcnt(0) lgkmcnt(0)
	v_add_u32_e32 v11, v0, v11
	flat_store_dword v[32:33], v11 offset:704
	flat_load_dwordx4 v[0:3], v[52:53]
	s_waitcnt vmcnt(0) lgkmcnt(0)
	v_mov_b32_e32 v3, 1
	flat_store_byte v[32:33], v3 offset:400
	v_mov_b32_e32 v3, s12
.LBB60_33:                              ; =>This Inner Loop Header: Depth=1
	v_readfirstlane_b32 s8, v0
	v_readfirstlane_b32 s9, v1
	;; [unrolled: 1-line block ×4, first 2 shown]
	v_cmp_eq_u64_e32 vcc, s[8:9], v[0:1]
	v_cmp_eq_u64_e64 s[4:5], s[10:11], v[2:3]
	s_and_b64 s[4:5], vcc, s[4:5]
	s_and_saveexec_b64 s[4:5], s[4:5]
	s_nop 0
	buffer_load_dwordx4 v[4:7], v11, s[8:11], 0 offen
                                        ; implicit-def: $vgpr0_vgpr1_vgpr2_vgpr3
	s_xor_b64 exec, exec, s[4:5]
	s_cbranch_execnz .LBB60_33
; %bb.34:
	s_mov_b64 exec, s[6:7]
	s_waitcnt vmcnt(0)
	flat_store_dwordx4 v[32:33], v[4:7] offset:112
	flat_load_dwordx3 v[0:2], v[50:51]
	s_waitcnt vmcnt(0) lgkmcnt(0)
	v_add_u32_e32 v3, -7, v1
	v_add_u32_e32 v6, v1, v10
	v_add_u32_e32 v5, v9, v2
	;; [unrolled: 1-line block ×3, first 2 shown]
	v_cmp_ne_u32_e32 vcc, 0, v3
	flat_store_dwordx3 v[32:33], v[4:6] offset:716
	s_and_saveexec_b64 s[4:5], vcc
	s_cbranch_execz .LBB60_36
; %bb.35:
	v_add_u32_e32 v1, v13, v1
	flat_store_dword v[32:33], v1 offset:708
.LBB60_36:
	s_or_b64 exec, exec, s[4:5]
	v_or_b32_e32 v1, v2, v0
	v_cmp_ne_u32_e32 vcc, 0, v1
	v_mov_b32_e32 v4, 0
	s_and_saveexec_b64 s[4:5], vcc
	s_cbranch_execz .LBB60_38
; %bb.37:
	flat_load_dword v4, v[54:55] offset:24
	flat_load_dword v6, v[32:33] offset:712
	s_waitcnt vmcnt(0) lgkmcnt(0)
	v_mad_u64_u32 v[4:5], s[6:7], v4, v0, v[2:3]
	v_add_u32_e32 v0, v4, v6
	flat_store_dword v[32:33], v0 offset:712
.LBB60_38:
	s_or_b64 exec, exec, s[4:5]
	v_or_b32_e32 v0, v1, v3
	v_cmp_ne_u32_e32 vcc, 0, v0
	s_and_saveexec_b64 s[4:5], vcc
	s_cbranch_execz .LBB60_40
; %bb.39:
	flat_load_dword v0, v[54:55] offset:8
	s_waitcnt vmcnt(0) lgkmcnt(0)
	v_mul_lo_u32 v0, v0, v3
	v_add3_u32 v0, v11, v4, v0
	flat_store_dword v[32:33], v0 offset:704
.LBB60_40:
	s_or_b64 exec, exec, s[4:5]
	; sched_barrier mask(0x00000000)
	flat_load_dwordx4 v[0:3], v[32:33]
	flat_load_ubyte v4, v[32:33] offset:288
	s_mov_b32 s4, 0x3060504
	s_mov_b32 s5, 0x2010004
	;; [unrolled: 1-line block ×3, first 2 shown]
	s_mov_b64 s[6:7], exec
	s_waitcnt vmcnt(0) lgkmcnt(0)
	v_and_b32_e32 v4, 1, v4
	v_cmp_eq_u32_e32 vcc, 1, v4
	v_cndmask_b32_e32 v3, 0, v3, vcc
	v_cndmask_b32_e32 v2, 0, v2, vcc
	;; [unrolled: 1-line block ×4, first 2 shown]
	flat_store_dwordx4 v[32:33], v[0:3]
	flat_load_dwordx4 v[6:9], v[32:33] offset:16
	flat_load_ubyte v5, v[32:33] offset:304
	v_mov_b32_e32 v4, 0
	s_waitcnt vmcnt(0) lgkmcnt(0)
	v_and_b32_e32 v5, 1, v5
	v_cmp_eq_u32_e32 vcc, 1, v5
	v_cndmask_b32_e32 v9, 0, v9, vcc
	v_cndmask_b32_e32 v8, 0, v8, vcc
	;; [unrolled: 1-line block ×4, first 2 shown]
	flat_store_dwordx4 v[32:33], v[6:9] offset:16
	flat_load_dwordx4 v[10:13], v[32:33] offset:32
	flat_load_ubyte v5, v[32:33] offset:320
	v_perm_b32 v9, v9, v9, s4
	s_mov_b32 s4, 0x3020104
	v_perm_b32 v8, v8, v8, s4
	v_perm_b32 v6, v6, v6, s4
	s_mov_b32 s4, 0x2010007
	s_waitcnt vmcnt(0) lgkmcnt(0)
	v_and_b32_e32 v5, 1, v5
	v_cmp_eq_u32_e32 vcc, 1, v5
	v_cndmask_b32_e32 v13, 0, v13, vcc
	v_cndmask_b32_e32 v12, 0, v12, vcc
	v_cndmask_b32_e32 v11, 0, v11, vcc
	v_cndmask_b32_e32 v10, 0, v10, vcc
	flat_store_dwordx4 v[32:33], v[10:13] offset:32
	flat_load_dwordx4 v[12:15], v[32:33] offset:48
	s_nop 0
	flat_load_ubyte v5, v[32:33] offset:336
	s_waitcnt vmcnt(0) lgkmcnt(0)
	v_and_b32_e32 v5, 1, v5
	v_cmp_eq_u32_e32 vcc, 1, v5
	v_cndmask_b32_e32 v15, 0, v15, vcc
	v_cndmask_b32_e32 v14, 0, v14, vcc
	v_cndmask_b32_e32 v13, 0, v13, vcc
	v_cndmask_b32_e32 v12, 0, v12, vcc
	flat_store_dwordx4 v[32:33], v[12:15] offset:48
	flat_load_dwordx4 v[12:15], v[32:33] offset:64
	s_nop 0
	flat_load_ubyte v5, v[32:33] offset:352
	s_waitcnt vmcnt(0) lgkmcnt(0)
	v_and_b32_e32 v5, 1, v5
	v_cmp_eq_u32_e32 vcc, 1, v5
	v_cndmask_b32_e32 v15, 0, v15, vcc
	v_cndmask_b32_e32 v14, 0, v14, vcc
	v_cndmask_b32_e32 v13, 0, v13, vcc
	v_cndmask_b32_e32 v12, 0, v12, vcc
	flat_store_dwordx4 v[32:33], v[12:15] offset:64
	flat_load_dwordx4 v[12:15], v[32:33] offset:80
	s_nop 0
	flat_load_ubyte v5, v[32:33] offset:368
	s_waitcnt vmcnt(0) lgkmcnt(0)
	v_and_b32_e32 v5, 1, v5
	v_cmp_eq_u32_e32 vcc, 1, v5
	v_cndmask_b32_e32 v15, 0, v15, vcc
	v_cndmask_b32_e32 v14, 0, v14, vcc
	v_cndmask_b32_e32 v13, 0, v13, vcc
	v_cndmask_b32_e32 v12, 0, v12, vcc
	flat_store_dwordx4 v[32:33], v[12:15] offset:80
	flat_load_dwordx4 v[12:15], v[32:33] offset:96
	s_nop 0
	flat_load_ubyte v5, v[32:33] offset:384
	s_waitcnt vmcnt(0) lgkmcnt(0)
	v_and_b32_e32 v5, 1, v5
	v_cmp_eq_u32_e32 vcc, 1, v5
	v_cndmask_b32_e32 v15, 0, v15, vcc
	v_cndmask_b32_e32 v14, 0, v14, vcc
	v_cndmask_b32_e32 v13, 0, v13, vcc
	v_cndmask_b32_e32 v12, 0, v12, vcc
	flat_store_dwordx4 v[32:33], v[12:15] offset:96
	flat_load_dwordx4 v[12:15], v[32:33] offset:112
	s_nop 0
	flat_load_ubyte v5, v[32:33] offset:400
	s_waitcnt vmcnt(0) lgkmcnt(0)
	v_and_b32_e32 v5, 1, v5
	v_cmp_eq_u32_e32 vcc, 1, v5
	v_cndmask_b32_e32 v15, 0, v15, vcc
	v_cndmask_b32_e32 v14, 0, v14, vcc
	;; [unrolled: 1-line block ×4, first 2 shown]
	flat_store_dwordx4 v[32:33], v[12:15] offset:112
	flat_store_dwordx4 v[32:33], v[0:3] offset:560
	;; [unrolled: 1-line block ×3, first 2 shown]
	flat_load_dwordx4 v[6:9], v[32:33] offset:33
	s_waitcnt vmcnt(0) lgkmcnt(0)
	v_perm_b32 v13, v8, v9, s4
	v_perm_b32 v12, v7, v8, s4
	;; [unrolled: 1-line block ×4, first 2 shown]
	flat_store_dwordx4 v[32:33], v[10:13] offset:592
	flat_load_dwordx4 v[10:13], v[32:33] offset:49
	s_waitcnt vmcnt(0) lgkmcnt(0)
	v_perm_b32 v14, v9, v10, s4
	flat_load_dwordx4 v[6:9], v[32:33] offset:65
	v_perm_b32 v17, v12, v13, s4
	v_perm_b32 v16, v11, v12, s4
	v_perm_b32 v15, v10, v11, s4
	flat_store_dwordx4 v[32:33], v[14:17] offset:608
	s_waitcnt vmcnt(0) lgkmcnt(0)
	v_perm_b32 v14, v13, v6, s4
	flat_load_dwordx4 v[10:13], v[32:33] offset:81
	v_perm_b32 v17, v8, v9, s4
	v_perm_b32 v16, v7, v8, s4
	v_perm_b32 v15, v6, v7, s4
	flat_store_dwordx4 v[32:33], v[14:17] offset:624
	;; [unrolled: 7-line block ×3, first 2 shown]
	v_mov_b32_e32 v11, 8
	s_waitcnt vmcnt(0) lgkmcnt(0)
	v_perm_b32 v17, v8, v9, s4
	v_perm_b32 v16, v7, v8, s4
	;; [unrolled: 1-line block ×4, first 2 shown]
	flat_store_dwordx4 v[32:33], v[14:17] offset:656
	flat_load_ushort v5, v[32:33] offset:125
	flat_load_dwordx2 v[6:7], v[32:33] offset:113
	flat_load_sbyte v8, v[32:33] offset:127
	flat_load_dword v10, v[32:33] offset:121
	s_waitcnt vmcnt(0) lgkmcnt(0)
	v_lshrrev_b32_sdwa v11, v11, v5 dst_sel:DWORD dst_unused:UNUSED_PAD src0_sel:DWORD src1_sel:WORD_0
	v_lshlrev_b16_e32 v5, 8, v5
	v_lshlrev_b16_e32 v8, 8, v8
	v_or_b32_sdwa v5, v10, v5 dst_sel:DWORD dst_unused:UNUSED_PAD src0_sel:BYTE_3 src1_sel:DWORD
	v_or_b32_sdwa v8, v11, v8 dst_sel:WORD_1 dst_unused:UNUSED_PAD src0_sel:DWORD src1_sel:DWORD
	v_or_b32_sdwa v13, v5, v8 dst_sel:DWORD dst_unused:UNUSED_PAD src0_sel:WORD_0 src1_sel:DWORD
	v_perm_b32 v12, v7, v10, s4
	v_perm_b32 v11, v6, v7, s4
	;; [unrolled: 1-line block ×3, first 2 shown]
	flat_store_dwordx4 v[32:33], v[10:13] offset:672
	flat_load_dword v5, v[32:33] offset:728
	flat_load_dwordx2 v[6:7], v[28:29]
	s_waitcnt vmcnt(0) lgkmcnt(0)
	v_ashrrev_i32_e32 v8, 31, v5
	v_add_co_u32_e32 v6, vcc, v6, v5
	v_addc_co_u32_e32 v7, vcc, v7, v8, vcc
	flat_store_dwordx4 v[6:7], v[0:3]
	flat_load_dword v0, v[32:33] offset:776
	s_waitcnt vmcnt(0) lgkmcnt(0)
	v_add_u32_e32 v5, 1, v0
	flat_load_dwordx2 v[0:1], v[32:33] offset:760
	flat_load_dwordx2 v[2:3], v[32:33] offset:744
	flat_load_dwordx3 v[6:8], v[32:33] offset:728
	s_waitcnt vmcnt(0) lgkmcnt(0)
	v_sub_u32_e32 v1, v5, v1
	v_add_u32_e32 v2, v2, v1
	v_sub_u32_e32 v3, v3, v0
	v_ashrrev_i32_e32 v0, 31, v2
	v_lshrrev_b32_e32 v0, 29, v0
	v_add_u32_e32 v0, v2, v0
	v_and_b32_e32 v0, -8, v0
	v_sub_u32_e32 v0, v2, v0
	v_xor_b32_e32 v1, v3, v0
	flat_store_dwordx2 v[32:33], v[2:3] offset:744
	v_sub_u32_e32 v0, v1, v7
	v_sub_u32_e32 v3, v2, v8
	v_lshlrev_b32_e32 v0, 4, v0
	v_lshlrev_b32_e32 v3, 7, v3
	v_add3_u32 v0, v3, v0, v6
	flat_store_dword v[32:33], v5 offset:776
	flat_store_dwordx2 v[32:33], v[4:5] offset:760
	flat_store_dwordx3 v[32:33], v[0:2] offset:728
	flat_load_dwordx2 v[2:3], v[28:29]
	v_ashrrev_i32_e32 v1, 31, v0
	s_waitcnt vmcnt(0) lgkmcnt(0)
	v_add_co_u32_e32 v6, vcc, v2, v0
	v_addc_co_u32_e32 v7, vcc, v3, v1, vcc
	flat_load_dwordx4 v[0:3], v[32:33] offset:576
	s_waitcnt vmcnt(0) lgkmcnt(0)
	flat_store_dwordx4 v[6:7], v[0:3]
	flat_load_dword v0, v[32:33] offset:776
	s_nop 0
	flat_load_dwordx2 v[2:3], v[32:33] offset:744
	flat_load_dwordx3 v[6:8], v[32:33] offset:728
	s_waitcnt vmcnt(0) lgkmcnt(0)
	v_add_u32_e32 v5, 1, v0
	flat_load_dwordx2 v[0:1], v[32:33] offset:760
	s_waitcnt vmcnt(0) lgkmcnt(0)
	v_sub_u32_e32 v1, v5, v1
	v_add_u32_e32 v2, v2, v1
	v_sub_u32_e32 v3, v3, v0
	v_ashrrev_i32_e32 v0, 31, v2
	v_lshrrev_b32_e32 v0, 29, v0
	v_add_u32_e32 v0, v2, v0
	v_and_b32_e32 v0, -8, v0
	v_sub_u32_e32 v0, v2, v0
	v_xor_b32_e32 v1, v3, v0
	flat_store_dwordx2 v[32:33], v[2:3] offset:744
	v_sub_u32_e32 v0, v1, v7
	v_sub_u32_e32 v3, v2, v8
	v_lshlrev_b32_e32 v0, 4, v0
	v_lshlrev_b32_e32 v3, 7, v3
	v_add3_u32 v0, v3, v0, v6
	flat_store_dword v[32:33], v5 offset:776
	flat_store_dwordx2 v[32:33], v[4:5] offset:760
	flat_store_dwordx3 v[32:33], v[0:2] offset:728
	flat_load_dwordx2 v[2:3], v[28:29]
	v_ashrrev_i32_e32 v1, 31, v0
	s_waitcnt vmcnt(0) lgkmcnt(0)
	v_add_co_u32_e32 v6, vcc, v2, v0
	v_addc_co_u32_e32 v7, vcc, v3, v1, vcc
	flat_load_dwordx4 v[0:3], v[32:33] offset:592
	s_waitcnt vmcnt(0) lgkmcnt(0)
	flat_store_dwordx4 v[6:7], v[0:3]
	flat_load_dword v0, v[32:33] offset:776
	s_nop 0
	flat_load_dwordx2 v[2:3], v[32:33] offset:744
	flat_load_dwordx3 v[6:8], v[32:33] offset:728
	s_waitcnt vmcnt(0) lgkmcnt(0)
	v_add_u32_e32 v5, 1, v0
	flat_load_dwordx2 v[0:1], v[32:33] offset:760
	;; [unrolled: 34-line block ×6, first 2 shown]
	s_waitcnt vmcnt(0) lgkmcnt(0)
	v_sub_u32_e32 v1, v5, v1
	v_add_u32_e32 v2, v2, v1
	v_sub_u32_e32 v3, v3, v0
	v_ashrrev_i32_e32 v0, 31, v2
	v_lshrrev_b32_e32 v0, 29, v0
	v_add_u32_e32 v0, v2, v0
	v_and_b32_e32 v0, -8, v0
	v_sub_u32_e32 v0, v2, v0
	v_xor_b32_e32 v1, v3, v0
	flat_store_dwordx2 v[32:33], v[2:3] offset:744
	v_sub_u32_e32 v0, v1, v7
	v_sub_u32_e32 v3, v2, v8
	v_lshlrev_b32_e32 v0, 4, v0
	v_lshlrev_b32_e32 v3, 7, v3
	v_add3_u32 v0, v3, v0, v6
	flat_store_dword v[32:33], v5 offset:776
	flat_store_dwordx2 v[32:33], v[4:5] offset:760
	flat_store_dwordx3 v[32:33], v[0:2] offset:728
	flat_load_dwordx2 v[2:3], v[28:29]
	v_ashrrev_i32_e32 v1, 31, v0
	s_waitcnt vmcnt(0) lgkmcnt(0)
	v_add_co_u32_e32 v6, vcc, v2, v0
	v_addc_co_u32_e32 v7, vcc, v3, v1, vcc
	flat_load_dwordx4 v[0:3], v[32:33] offset:672
	s_waitcnt vmcnt(0) lgkmcnt(0)
	flat_store_dwordx4 v[6:7], v[0:3]
	flat_load_dword v0, v[32:33] offset:776
	s_nop 0
	flat_load_dwordx2 v[2:3], v[32:33] offset:744
	s_waitcnt vmcnt(0) lgkmcnt(0)
	v_add_u32_e32 v5, -7, v0
	flat_load_dwordx2 v[0:1], v[32:33] offset:760
	s_waitcnt vmcnt(0) lgkmcnt(0)
	v_sub_u32_e32 v1, v5, v1
	v_add_u32_e32 v6, v2, v1
	v_sub_u32_e32 v7, v3, v0
	flat_load_dwordx2 v[0:1], v[32:33] offset:732
	v_ashrrev_i32_e32 v2, 31, v6
	v_lshrrev_b32_e32 v2, 29, v2
	v_add_u32_e32 v2, v6, v2
	v_and_b32_e32 v2, -8, v2
	v_sub_u32_e32 v2, v6, v2
	flat_store_dword v[32:33], v5 offset:776
	flat_store_dwordx2 v[32:33], v[4:5] offset:760
	v_xor_b32_e32 v5, v7, v2
	flat_store_dwordx2 v[32:33], v[6:7] offset:744
	s_waitcnt vmcnt(0) lgkmcnt(0)
	v_sub_u32_e32 v1, v6, v1
	v_sub_u32_e32 v0, v5, v0
	v_lshlrev_b32_e32 v4, 4, v0
	v_lshlrev_b32_e32 v7, 7, v1
	flat_load_dwordx4 v[0:3], v[32:33] offset:716
	s_waitcnt vmcnt(0) lgkmcnt(0)
	v_add3_u32 v4, v7, v4, v3
	v_mov_b32_e32 v3, 1
	flat_store_dwordx3 v[32:33], v[4:6] offset:728
	flat_store_byte v[32:33], v3 offset:288
	flat_load_dwordx2 v[12:13], v[32:33] offset:704
	s_nop 0
	flat_load_dwordx4 v[4:7], v[52:53]
	s_waitcnt vmcnt(0) lgkmcnt(0)
	v_mov_b32_e32 v7, s12
.LBB60_41:                              ; =>This Inner Loop Header: Depth=1
	v_readfirstlane_b32 s8, v4
	v_readfirstlane_b32 s9, v5
	;; [unrolled: 1-line block ×4, first 2 shown]
	v_cmp_eq_u64_e32 vcc, s[8:9], v[4:5]
	v_cmp_eq_u64_e64 s[4:5], s[10:11], v[6:7]
	s_and_b64 s[4:5], vcc, s[4:5]
	s_and_saveexec_b64 s[4:5], s[4:5]
	s_nop 0
	buffer_load_dwordx4 v[8:11], v12, s[8:11], 0 offen
                                        ; implicit-def: $vgpr4_vgpr5_vgpr6_vgpr7
	s_xor_b64 exec, exec, s[4:5]
	s_cbranch_execnz .LBB60_41
; %bb.42:
	s_mov_b64 exec, s[6:7]
	v_add_u32_e32 v3, 1, v2
	flat_store_dword v[32:33], v3 offset:724
	v_add_u32_e32 v3, 1, v13
	s_waitcnt vmcnt(0)
	flat_store_dwordx4 v[32:33], v[8:11]
	flat_store_dword v[32:33], v3 offset:708
	flat_load_dword v3, v[54:55] offset:8
	v_mov_b32_e32 v4, 1
	s_mov_b64 s[6:7], exec
	s_waitcnt vmcnt(0) lgkmcnt(0)
	v_add_u32_e32 v3, v3, v12
	flat_store_dword v[32:33], v3 offset:704
	flat_store_byte v[32:33], v4 offset:304
	flat_load_dwordx4 v[4:7], v[52:53]
	s_waitcnt vmcnt(0) lgkmcnt(0)
	v_mov_b32_e32 v7, s12
.LBB60_43:                              ; =>This Inner Loop Header: Depth=1
	v_readfirstlane_b32 s8, v4
	v_readfirstlane_b32 s9, v5
	v_readfirstlane_b32 s10, v6
	v_readfirstlane_b32 s11, v7
	v_cmp_eq_u64_e32 vcc, s[8:9], v[4:5]
	v_cmp_eq_u64_e64 s[4:5], s[10:11], v[6:7]
	s_and_b64 s[4:5], vcc, s[4:5]
	s_and_saveexec_b64 s[4:5], s[4:5]
	s_nop 0
	buffer_load_dwordx4 v[8:11], v3, s[8:11], 0 offen
                                        ; implicit-def: $vgpr4_vgpr5_vgpr6_vgpr7
	s_xor_b64 exec, exec, s[4:5]
	s_cbranch_execnz .LBB60_43
; %bb.44:
	s_mov_b64 exec, s[6:7]
	v_add_u32_e32 v4, 2, v2
	flat_store_dword v[32:33], v4 offset:724
	v_add_u32_e32 v4, 2, v13
	s_waitcnt vmcnt(0)
	flat_store_dwordx4 v[32:33], v[8:11] offset:16
	flat_store_dword v[32:33], v4 offset:708
	flat_load_dword v4, v[54:55] offset:8
	v_mov_b32_e32 v5, 1
	s_mov_b64 s[6:7], exec
	s_waitcnt vmcnt(0) lgkmcnt(0)
	v_add_u32_e32 v3, v4, v3
	flat_store_dword v[32:33], v3 offset:704
	flat_store_byte v[32:33], v5 offset:320
	flat_load_dwordx4 v[4:7], v[52:53]
	s_waitcnt vmcnt(0) lgkmcnt(0)
	v_mov_b32_e32 v7, s12
.LBB60_45:                              ; =>This Inner Loop Header: Depth=1
	v_readfirstlane_b32 s8, v4
	v_readfirstlane_b32 s9, v5
	v_readfirstlane_b32 s10, v6
	v_readfirstlane_b32 s11, v7
	v_cmp_eq_u64_e32 vcc, s[8:9], v[4:5]
	v_cmp_eq_u64_e64 s[4:5], s[10:11], v[6:7]
	s_and_b64 s[4:5], vcc, s[4:5]
	s_and_saveexec_b64 s[4:5], s[4:5]
	s_nop 0
	buffer_load_dwordx4 v[8:11], v3, s[8:11], 0 offen
                                        ; implicit-def: $vgpr4_vgpr5_vgpr6_vgpr7
	s_xor_b64 exec, exec, s[4:5]
	s_cbranch_execnz .LBB60_45
; %bb.46:
	s_mov_b64 exec, s[6:7]
	v_add_u32_e32 v4, 3, v2
	flat_store_dword v[32:33], v4 offset:724
	v_add_u32_e32 v4, 3, v13
	s_waitcnt vmcnt(0)
	flat_store_dwordx4 v[32:33], v[8:11] offset:32
	flat_store_dword v[32:33], v4 offset:708
	flat_load_dword v4, v[54:55] offset:8
	v_mov_b32_e32 v5, 1
	s_mov_b64 s[6:7], exec
	s_waitcnt vmcnt(0) lgkmcnt(0)
	v_add_u32_e32 v3, v4, v3
	flat_store_dword v[32:33], v3 offset:704
	flat_store_byte v[32:33], v5 offset:336
	flat_load_dwordx4 v[4:7], v[52:53]
	s_waitcnt vmcnt(0) lgkmcnt(0)
	v_mov_b32_e32 v7, s12
.LBB60_47:                              ; =>This Inner Loop Header: Depth=1
	v_readfirstlane_b32 s8, v4
	v_readfirstlane_b32 s9, v5
	v_readfirstlane_b32 s10, v6
	v_readfirstlane_b32 s11, v7
	v_cmp_eq_u64_e32 vcc, s[8:9], v[4:5]
	v_cmp_eq_u64_e64 s[4:5], s[10:11], v[6:7]
	s_and_b64 s[4:5], vcc, s[4:5]
	s_and_saveexec_b64 s[4:5], s[4:5]
	s_nop 0
	buffer_load_dwordx4 v[8:11], v3, s[8:11], 0 offen
                                        ; implicit-def: $vgpr4_vgpr5_vgpr6_vgpr7
	s_xor_b64 exec, exec, s[4:5]
	s_cbranch_execnz .LBB60_47
; %bb.48:
	s_mov_b64 exec, s[6:7]
	v_add_u32_e32 v4, 4, v2
	flat_store_dword v[32:33], v4 offset:724
	v_add_u32_e32 v4, 4, v13
	s_waitcnt vmcnt(0)
	flat_store_dwordx4 v[32:33], v[8:11] offset:48
	flat_store_dword v[32:33], v4 offset:708
	flat_load_dword v4, v[54:55] offset:8
	v_mov_b32_e32 v5, 1
	s_mov_b64 s[6:7], exec
	s_waitcnt vmcnt(0) lgkmcnt(0)
	v_add_u32_e32 v3, v4, v3
	flat_store_dword v[32:33], v3 offset:704
	flat_store_byte v[32:33], v5 offset:352
	flat_load_dwordx4 v[4:7], v[52:53]
	s_waitcnt vmcnt(0) lgkmcnt(0)
	v_mov_b32_e32 v7, s12
.LBB60_49:                              ; =>This Inner Loop Header: Depth=1
	v_readfirstlane_b32 s8, v4
	v_readfirstlane_b32 s9, v5
	v_readfirstlane_b32 s10, v6
	v_readfirstlane_b32 s11, v7
	v_cmp_eq_u64_e32 vcc, s[8:9], v[4:5]
	v_cmp_eq_u64_e64 s[4:5], s[10:11], v[6:7]
	s_and_b64 s[4:5], vcc, s[4:5]
	s_and_saveexec_b64 s[4:5], s[4:5]
	s_nop 0
	buffer_load_dwordx4 v[8:11], v3, s[8:11], 0 offen
                                        ; implicit-def: $vgpr4_vgpr5_vgpr6_vgpr7
	s_xor_b64 exec, exec, s[4:5]
	s_cbranch_execnz .LBB60_49
; %bb.50:
	s_mov_b64 exec, s[6:7]
	v_add_u32_e32 v4, 5, v2
	flat_store_dword v[32:33], v4 offset:724
	v_add_u32_e32 v4, 5, v13
	s_waitcnt vmcnt(0)
	flat_store_dwordx4 v[32:33], v[8:11] offset:64
	flat_store_dword v[32:33], v4 offset:708
	flat_load_dword v4, v[54:55] offset:8
	v_mov_b32_e32 v5, 1
	s_mov_b64 s[6:7], exec
	s_waitcnt vmcnt(0) lgkmcnt(0)
	v_add_u32_e32 v3, v4, v3
	flat_store_dword v[32:33], v3 offset:704
	flat_store_byte v[32:33], v5 offset:368
	flat_load_dwordx4 v[4:7], v[52:53]
	s_waitcnt vmcnt(0) lgkmcnt(0)
	v_mov_b32_e32 v7, s12
.LBB60_51:                              ; =>This Inner Loop Header: Depth=1
	v_readfirstlane_b32 s8, v4
	v_readfirstlane_b32 s9, v5
	v_readfirstlane_b32 s10, v6
	v_readfirstlane_b32 s11, v7
	v_cmp_eq_u64_e32 vcc, s[8:9], v[4:5]
	v_cmp_eq_u64_e64 s[4:5], s[10:11], v[6:7]
	s_and_b64 s[4:5], vcc, s[4:5]
	s_and_saveexec_b64 s[4:5], s[4:5]
	s_nop 0
	buffer_load_dwordx4 v[8:11], v3, s[8:11], 0 offen
                                        ; implicit-def: $vgpr4_vgpr5_vgpr6_vgpr7
	s_xor_b64 exec, exec, s[4:5]
	s_cbranch_execnz .LBB60_51
; %bb.52:
	s_mov_b64 exec, s[6:7]
	v_add_u32_e32 v4, 6, v2
	flat_store_dword v[32:33], v4 offset:724
	v_add_u32_e32 v4, 6, v13
	s_waitcnt vmcnt(0)
	flat_store_dwordx4 v[32:33], v[8:11] offset:80
	flat_store_dword v[32:33], v4 offset:708
	flat_load_dword v4, v[54:55] offset:8
	v_mov_b32_e32 v5, 1
	s_mov_b64 s[6:7], exec
	s_waitcnt vmcnt(0) lgkmcnt(0)
	v_add_u32_e32 v3, v4, v3
	flat_store_dword v[32:33], v3 offset:704
	flat_store_byte v[32:33], v5 offset:384
	flat_load_dwordx4 v[4:7], v[52:53]
	s_waitcnt vmcnt(0) lgkmcnt(0)
	v_mov_b32_e32 v7, s12
.LBB60_53:                              ; =>This Inner Loop Header: Depth=1
	v_readfirstlane_b32 s8, v4
	v_readfirstlane_b32 s9, v5
	v_readfirstlane_b32 s10, v6
	v_readfirstlane_b32 s11, v7
	v_cmp_eq_u64_e32 vcc, s[8:9], v[4:5]
	v_cmp_eq_u64_e64 s[4:5], s[10:11], v[6:7]
	s_and_b64 s[4:5], vcc, s[4:5]
	s_and_saveexec_b64 s[4:5], s[4:5]
	s_nop 0
	buffer_load_dwordx4 v[8:11], v3, s[8:11], 0 offen
                                        ; implicit-def: $vgpr4_vgpr5_vgpr6_vgpr7
	s_xor_b64 exec, exec, s[4:5]
	s_cbranch_execnz .LBB60_53
; %bb.54:
	s_mov_b64 exec, s[6:7]
	v_add_u32_e32 v4, 7, v2
	flat_store_dword v[32:33], v4 offset:724
	v_add_u32_e32 v4, 7, v13
	s_waitcnt vmcnt(0)
	flat_store_dwordx4 v[32:33], v[8:11] offset:96
	flat_store_dword v[32:33], v4 offset:708
	flat_load_dword v4, v[54:55] offset:8
	s_mov_b64 s[6:7], exec
	s_waitcnt vmcnt(0) lgkmcnt(0)
	v_add_u32_e32 v3, v4, v3
	flat_store_dword v[32:33], v3 offset:704
	flat_load_dwordx4 v[4:7], v[52:53]
	s_waitcnt vmcnt(0) lgkmcnt(0)
	v_mov_b32_e32 v7, 1
	flat_store_byte v[32:33], v7 offset:400
	v_mov_b32_e32 v7, s12
.LBB60_55:                              ; =>This Inner Loop Header: Depth=1
	v_readfirstlane_b32 s8, v4
	v_readfirstlane_b32 s9, v5
	;; [unrolled: 1-line block ×4, first 2 shown]
	v_cmp_eq_u64_e32 vcc, s[8:9], v[4:5]
	v_cmp_eq_u64_e64 s[4:5], s[10:11], v[6:7]
	s_and_b64 s[4:5], vcc, s[4:5]
	s_and_saveexec_b64 s[4:5], s[4:5]
	s_nop 0
	buffer_load_dwordx4 v[8:11], v3, s[8:11], 0 offen
                                        ; implicit-def: $vgpr4_vgpr5_vgpr6_vgpr7
	s_xor_b64 exec, exec, s[4:5]
	s_cbranch_execnz .LBB60_55
; %bb.56:
	s_mov_b64 exec, s[6:7]
	s_waitcnt vmcnt(0)
	flat_store_dwordx4 v[32:33], v[8:11] offset:112
	flat_load_dwordx3 v[4:6], v[50:51]
	s_waitcnt vmcnt(0) lgkmcnt(0)
	v_add_u32_e32 v7, -7, v5
	v_add_u32_e32 v2, v5, v2
	v_add_u32_e32 v1, v1, v6
	;; [unrolled: 1-line block ×3, first 2 shown]
	v_cmp_ne_u32_e32 vcc, 0, v7
	flat_store_dwordx3 v[32:33], v[0:2] offset:716
	s_and_saveexec_b64 s[4:5], vcc
	s_cbranch_execz .LBB60_58
; %bb.57:
	v_add_u32_e32 v0, v13, v5
	flat_store_dword v[32:33], v0 offset:708
.LBB60_58:
	s_or_b64 exec, exec, s[4:5]
	v_or_b32_e32 v2, v6, v4
	v_cmp_ne_u32_e32 vcc, 0, v2
	v_mov_b32_e32 v0, 0
	s_and_saveexec_b64 s[4:5], vcc
	s_cbranch_execz .LBB60_60
; %bb.59:
	flat_load_dword v1, v[54:55] offset:24
	flat_load_dword v5, v[32:33] offset:712
	v_mov_b32_e32 v0, v6
	s_waitcnt vmcnt(0) lgkmcnt(0)
	v_mad_u64_u32 v[0:1], s[6:7], v1, v4, v[0:1]
	v_add_u32_e32 v1, v0, v5
	flat_store_dword v[32:33], v1 offset:712
.LBB60_60:
	s_or_b64 exec, exec, s[4:5]
	v_or_b32_e32 v1, v2, v7
	v_cmp_ne_u32_e32 vcc, 0, v1
	s_and_saveexec_b64 s[4:5], vcc
	s_cbranch_execz .LBB60_62
; %bb.61:
	flat_load_dword v1, v[54:55] offset:8
	s_waitcnt vmcnt(0) lgkmcnt(0)
	v_mul_lo_u32 v1, v1, v7
	v_add3_u32 v0, v3, v0, v1
	flat_store_dword v[32:33], v0 offset:704
.LBB60_62:
	s_or_b64 exec, exec, s[4:5]
	s_waitcnt lgkmcnt(0)
	s_barrier
	flat_load_dwordx3 v[4:6], v[30:31] offset:1132
	flat_load_dwordx2 v[8:9], v[28:29]
	flat_load_dwordx2 v[10:11], v[30:31] offset:1184
	flat_load_dwordx2 v[12:13], v[30:31] offset:1148
	flat_load_dword v7, v[30:31] offset:1176
	s_lshr_b32 s27, s33, 6
	s_add_i32 s27, s27, 52
	s_lshr_b32 s24, s33, 6
	s_mov_b32 s16, 0
	s_addk_i32 s24, 0x74
	s_mov_b32 s17, s16
	s_mov_b64 s[14:15], src_private_base
	s_lshr_b32 s23, s33, 6
	s_mov_b32 s18, s16
	s_mov_b32 s19, s16
	v_lshrrev_b32_e64 v16, 6, s33
	s_addk_i32 s23, 0x274
	s_mov_b32 s26, s15
	s_mov_b32 s25, s15
	v_add_u32_e32 v16, 0x74, v16
	s_waitcnt vmcnt(0) lgkmcnt(0)
	v_ashrrev_i32_e32 v1, 31, v4
	v_add_co_u32_e32 v0, vcc, v8, v4
	v_addc_co_u32_e32 v1, vcc, v9, v1, vcc
	flat_load_dwordx4 v[0:3], v[0:1]
	v_add_u32_e32 v11, 16, v11
	v_sub_u32_e32 v7, v13, v7
	v_ashrrev_i32_e32 v13, 31, v12
	v_sub_u32_e32 v6, v12, v6
	v_ashrrev_i32_e32 v14, 31, v11
	v_lshrrev_b32_e32 v13, 29, v13
	v_lshl_add_u32 v4, v6, 7, v4
	v_lshrrev_b32_e32 v6, 28, v14
	v_add_u32_e32 v13, v12, v13
	v_add_u32_e32 v6, v11, v6
	v_sub_u32_e32 v4, v4, v10
	v_and_b32_e32 v10, 0xffffff8, v13
	v_lshrrev_b32_e32 v13, 4, v6
	v_sub_u32_e32 v10, v12, v10
	v_add_u32_e32 v7, v7, v13
	v_xor_b32_e32 v7, v7, v10
	v_and_b32_e32 v6, -16, v6
	v_sub_u32_e32 v5, v7, v5
	v_sub_u32_e32 v6, v11, v6
	v_lshlrev_b32_e32 v5, 4, v5
	v_add3_u32 v4, v4, v6, v5
	v_ashrrev_i32_e32 v5, 31, v4
	v_add_co_u32_e32 v4, vcc, v8, v4
	v_addc_co_u32_e32 v5, vcc, v9, v5, vcc
	s_waitcnt vmcnt(0) lgkmcnt(0)
	buffer_store_dword v0, off, s[0:3], s33 offset:52
	buffer_store_dword v1, off, s[0:3], s33 offset:56
	;; [unrolled: 1-line block ×4, first 2 shown]
	flat_load_dwordx4 v[0:3], v[4:5]
	s_nop 0
	buffer_load_dword v4, off, s[0:3], s33 offset:116
	buffer_load_dword v5, off, s[0:3], s33 offset:120
	;; [unrolled: 1-line block ×4, first 2 shown]
	s_waitcnt vmcnt(0) lgkmcnt(0)
	buffer_store_dword v0, off, s[0:3], s33 offset:68
	buffer_store_dword v1, off, s[0:3], s33 offset:72
	;; [unrolled: 1-line block ×4, first 2 shown]
	;;#ASMSTART
	v_cvt_off_f32_i4 v0, v4
v_cvt_off_f32_i4 v1, v4, src0_sel:BYTE_2
v_cvt_pk_fp8_f32 v3, v0, v1
v_cvt_off_f32_i4 v0, v4, src0_sel:BYTE_1
v_cvt_off_f32_i4 v1, v4, src0_sel:BYTE_3
v_cvt_pk_fp8_f32 v8, v0, v1
v_lshrrev_b32 v2, 4, v4
v_cvt_off_f32_i4 v0, v2
v_cvt_off_f32_i4 v1, v2, src0_sel:BYTE_2
v_cvt_pk_fp8_f32 v3, v0, v1, op_sel:[0, 0, 1]
v_cvt_off_f32_i4 v0, v2, src0_sel:BYTE_1
v_cvt_off_f32_i4 v1, v2, src0_sel:BYTE_3
v_cvt_pk_fp8_f32 v8, v0, v1, op_sel:[0, 0, 1]

	;;#ASMEND
	;;#ASMSTART
	v_cvt_off_f32_i4 v0, v5
v_cvt_off_f32_i4 v1, v5, src0_sel:BYTE_2
v_cvt_pk_fp8_f32 v4, v0, v1
v_cvt_off_f32_i4 v0, v5, src0_sel:BYTE_1
v_cvt_off_f32_i4 v1, v5, src0_sel:BYTE_3
v_cvt_pk_fp8_f32 v9, v0, v1
v_lshrrev_b32 v2, 4, v5
v_cvt_off_f32_i4 v0, v2
v_cvt_off_f32_i4 v1, v2, src0_sel:BYTE_2
v_cvt_pk_fp8_f32 v4, v0, v1, op_sel:[0, 0, 1]
v_cvt_off_f32_i4 v0, v2, src0_sel:BYTE_1
v_cvt_off_f32_i4 v1, v2, src0_sel:BYTE_3
v_cvt_pk_fp8_f32 v9, v0, v1, op_sel:[0, 0, 1]

	;;#ASMEND
	;; [unrolled: 16-line block ×4, first 2 shown]
	buffer_load_dword v0, off, s[0:3], s33 offset:148
	buffer_load_dword v1, off, s[0:3], s33 offset:152
	;; [unrolled: 1-line block ×4, first 2 shown]
	s_nop 0
	buffer_store_dword v3, off, s[0:3], s33 offset:628
	buffer_store_dword v8, off, s[0:3], s33 offset:632
	;; [unrolled: 1-line block ×8, first 2 shown]
	s_waitcnt vmcnt(11)
	;;#ASMSTART
	v_cvt_off_f32_i4 v3, v0
v_cvt_off_f32_i4 v4, v0, src0_sel:BYTE_2
v_cvt_pk_fp8_f32 v6, v3, v4
v_cvt_off_f32_i4 v3, v0, src0_sel:BYTE_1
v_cvt_off_f32_i4 v4, v0, src0_sel:BYTE_3
v_cvt_pk_fp8_f32 v8, v3, v4
v_lshrrev_b32 v5, 4, v0
v_cvt_off_f32_i4 v3, v5
v_cvt_off_f32_i4 v4, v5, src0_sel:BYTE_2
v_cvt_pk_fp8_f32 v6, v3, v4, op_sel:[0, 0, 1]
v_cvt_off_f32_i4 v3, v5, src0_sel:BYTE_1
v_cvt_off_f32_i4 v4, v5, src0_sel:BYTE_3
v_cvt_pk_fp8_f32 v8, v3, v4, op_sel:[0, 0, 1]

	;;#ASMEND
	s_waitcnt vmcnt(10)
	;;#ASMSTART
	v_cvt_off_f32_i4 v0, v1
v_cvt_off_f32_i4 v3, v1, src0_sel:BYTE_2
v_cvt_pk_fp8_f32 v5, v0, v3
v_cvt_off_f32_i4 v0, v1, src0_sel:BYTE_1
v_cvt_off_f32_i4 v3, v1, src0_sel:BYTE_3
v_cvt_pk_fp8_f32 v9, v0, v3
v_lshrrev_b32 v4, 4, v1
v_cvt_off_f32_i4 v0, v4
v_cvt_off_f32_i4 v3, v4, src0_sel:BYTE_2
v_cvt_pk_fp8_f32 v5, v0, v3, op_sel:[0, 0, 1]
v_cvt_off_f32_i4 v0, v4, src0_sel:BYTE_1
v_cvt_off_f32_i4 v3, v4, src0_sel:BYTE_3
v_cvt_pk_fp8_f32 v9, v0, v3, op_sel:[0, 0, 1]

	;;#ASMEND
	;; [unrolled: 17-line block ×4, first 2 shown]
	buffer_load_dword v0, off, s[0:3], s33 offset:180
	buffer_load_dword v1, off, s[0:3], s33 offset:184
	;; [unrolled: 1-line block ×4, first 2 shown]
	s_nop 0
	buffer_store_dword v6, off, s[0:3], s33 offset:660
	buffer_store_dword v8, off, s[0:3], s33 offset:664
	;; [unrolled: 1-line block ×8, first 2 shown]
	s_waitcnt vmcnt(11)
	;;#ASMSTART
	v_cvt_off_f32_i4 v3, v0
v_cvt_off_f32_i4 v4, v0, src0_sel:BYTE_2
v_cvt_pk_fp8_f32 v6, v3, v4
v_cvt_off_f32_i4 v3, v0, src0_sel:BYTE_1
v_cvt_off_f32_i4 v4, v0, src0_sel:BYTE_3
v_cvt_pk_fp8_f32 v8, v3, v4
v_lshrrev_b32 v5, 4, v0
v_cvt_off_f32_i4 v3, v5
v_cvt_off_f32_i4 v4, v5, src0_sel:BYTE_2
v_cvt_pk_fp8_f32 v6, v3, v4, op_sel:[0, 0, 1]
v_cvt_off_f32_i4 v3, v5, src0_sel:BYTE_1
v_cvt_off_f32_i4 v4, v5, src0_sel:BYTE_3
v_cvt_pk_fp8_f32 v8, v3, v4, op_sel:[0, 0, 1]

	;;#ASMEND
	s_waitcnt vmcnt(10)
	;;#ASMSTART
	v_cvt_off_f32_i4 v0, v1
v_cvt_off_f32_i4 v3, v1, src0_sel:BYTE_2
v_cvt_pk_fp8_f32 v5, v0, v3
v_cvt_off_f32_i4 v0, v1, src0_sel:BYTE_1
v_cvt_off_f32_i4 v3, v1, src0_sel:BYTE_3
v_cvt_pk_fp8_f32 v9, v0, v3
v_lshrrev_b32 v4, 4, v1
v_cvt_off_f32_i4 v0, v4
v_cvt_off_f32_i4 v3, v4, src0_sel:BYTE_2
v_cvt_pk_fp8_f32 v5, v0, v3, op_sel:[0, 0, 1]
v_cvt_off_f32_i4 v0, v4, src0_sel:BYTE_1
v_cvt_off_f32_i4 v3, v4, src0_sel:BYTE_3
v_cvt_pk_fp8_f32 v9, v0, v3, op_sel:[0, 0, 1]

	;;#ASMEND
	s_waitcnt vmcnt(9)
	;;#ASMSTART
	v_cvt_off_f32_i4 v0, v2
v_cvt_off_f32_i4 v1, v2, src0_sel:BYTE_2
v_cvt_pk_fp8_f32 v4, v0, v1
v_cvt_off_f32_i4 v0, v2, src0_sel:BYTE_1
v_cvt_off_f32_i4 v1, v2, src0_sel:BYTE_3
v_cvt_pk_fp8_f32 v10, v0, v1
v_lshrrev_b32 v3, 4, v2
v_cvt_off_f32_i4 v0, v3
v_cvt_off_f32_i4 v1, v3, src0_sel:BYTE_2
v_cvt_pk_fp8_f32 v4, v0, v1, op_sel:[0, 0, 1]
v_cvt_off_f32_i4 v0, v3, src0_sel:BYTE_1
v_cvt_off_f32_i4 v1, v3, src0_sel:BYTE_3
v_cvt_pk_fp8_f32 v10, v0, v1, op_sel:[0, 0, 1]

	;;#ASMEND
	s_waitcnt vmcnt(8)
	;;#ASMSTART
	v_cvt_off_f32_i4 v0, v7
v_cvt_off_f32_i4 v1, v7, src0_sel:BYTE_2
v_cvt_pk_fp8_f32 v3, v0, v1
v_cvt_off_f32_i4 v0, v7, src0_sel:BYTE_1
v_cvt_off_f32_i4 v1, v7, src0_sel:BYTE_3
v_cvt_pk_fp8_f32 v11, v0, v1
v_lshrrev_b32 v2, 4, v7
v_cvt_off_f32_i4 v0, v2
v_cvt_off_f32_i4 v1, v2, src0_sel:BYTE_2
v_cvt_pk_fp8_f32 v3, v0, v1, op_sel:[0, 0, 1]
v_cvt_off_f32_i4 v0, v2, src0_sel:BYTE_1
v_cvt_off_f32_i4 v1, v2, src0_sel:BYTE_3
v_cvt_pk_fp8_f32 v11, v0, v1, op_sel:[0, 0, 1]

	;;#ASMEND
	buffer_load_dword v0, off, s[0:3], s33 offset:212
	buffer_load_dword v1, off, s[0:3], s33 offset:216
	buffer_load_dword v2, off, s[0:3], s33 offset:220
	buffer_load_dword v7, off, s[0:3], s33 offset:224
	s_nop 0
	buffer_store_dword v6, off, s[0:3], s33 offset:692
	buffer_store_dword v8, off, s[0:3], s33 offset:696
	;; [unrolled: 1-line block ×8, first 2 shown]
	s_waitcnt vmcnt(11)
	;;#ASMSTART
	v_cvt_off_f32_i4 v3, v0
v_cvt_off_f32_i4 v4, v0, src0_sel:BYTE_2
v_cvt_pk_fp8_f32 v6, v3, v4
v_cvt_off_f32_i4 v3, v0, src0_sel:BYTE_1
v_cvt_off_f32_i4 v4, v0, src0_sel:BYTE_3
v_cvt_pk_fp8_f32 v8, v3, v4
v_lshrrev_b32 v5, 4, v0
v_cvt_off_f32_i4 v3, v5
v_cvt_off_f32_i4 v4, v5, src0_sel:BYTE_2
v_cvt_pk_fp8_f32 v6, v3, v4, op_sel:[0, 0, 1]
v_cvt_off_f32_i4 v3, v5, src0_sel:BYTE_1
v_cvt_off_f32_i4 v4, v5, src0_sel:BYTE_3
v_cvt_pk_fp8_f32 v8, v3, v4, op_sel:[0, 0, 1]

	;;#ASMEND
	s_waitcnt vmcnt(10)
	;;#ASMSTART
	v_cvt_off_f32_i4 v0, v1
v_cvt_off_f32_i4 v3, v1, src0_sel:BYTE_2
v_cvt_pk_fp8_f32 v5, v0, v3
v_cvt_off_f32_i4 v0, v1, src0_sel:BYTE_1
v_cvt_off_f32_i4 v3, v1, src0_sel:BYTE_3
v_cvt_pk_fp8_f32 v9, v0, v3
v_lshrrev_b32 v4, 4, v1
v_cvt_off_f32_i4 v0, v4
v_cvt_off_f32_i4 v3, v4, src0_sel:BYTE_2
v_cvt_pk_fp8_f32 v5, v0, v3, op_sel:[0, 0, 1]
v_cvt_off_f32_i4 v0, v4, src0_sel:BYTE_1
v_cvt_off_f32_i4 v3, v4, src0_sel:BYTE_3
v_cvt_pk_fp8_f32 v9, v0, v3, op_sel:[0, 0, 1]

	;;#ASMEND
	s_waitcnt vmcnt(9)
	;;#ASMSTART
	v_cvt_off_f32_i4 v0, v2
v_cvt_off_f32_i4 v1, v2, src0_sel:BYTE_2
v_cvt_pk_fp8_f32 v4, v0, v1
v_cvt_off_f32_i4 v0, v2, src0_sel:BYTE_1
v_cvt_off_f32_i4 v1, v2, src0_sel:BYTE_3
v_cvt_pk_fp8_f32 v10, v0, v1
v_lshrrev_b32 v3, 4, v2
v_cvt_off_f32_i4 v0, v3
v_cvt_off_f32_i4 v1, v3, src0_sel:BYTE_2
v_cvt_pk_fp8_f32 v4, v0, v1, op_sel:[0, 0, 1]
v_cvt_off_f32_i4 v0, v3, src0_sel:BYTE_1
v_cvt_off_f32_i4 v1, v3, src0_sel:BYTE_3
v_cvt_pk_fp8_f32 v10, v0, v1, op_sel:[0, 0, 1]

	;;#ASMEND
	s_waitcnt vmcnt(8)
	;;#ASMSTART
	v_cvt_off_f32_i4 v0, v7
v_cvt_off_f32_i4 v1, v7, src0_sel:BYTE_2
v_cvt_pk_fp8_f32 v3, v0, v1
v_cvt_off_f32_i4 v0, v7, src0_sel:BYTE_1
v_cvt_off_f32_i4 v1, v7, src0_sel:BYTE_3
v_cvt_pk_fp8_f32 v11, v0, v1
v_lshrrev_b32 v2, 4, v7
v_cvt_off_f32_i4 v0, v2
v_cvt_off_f32_i4 v1, v2, src0_sel:BYTE_2
v_cvt_pk_fp8_f32 v3, v0, v1, op_sel:[0, 0, 1]
v_cvt_off_f32_i4 v0, v2, src0_sel:BYTE_1
v_cvt_off_f32_i4 v1, v2, src0_sel:BYTE_3
v_cvt_pk_fp8_f32 v11, v0, v1, op_sel:[0, 0, 1]

	;;#ASMEND
	buffer_load_dword v0, off, s[0:3], s33 offset:244
	buffer_load_dword v1, off, s[0:3], s33 offset:248
	;; [unrolled: 1-line block ×4, first 2 shown]
	s_nop 0
	buffer_store_dword v6, off, s[0:3], s33 offset:724
	buffer_store_dword v8, off, s[0:3], s33 offset:728
	;; [unrolled: 1-line block ×8, first 2 shown]
	s_waitcnt vmcnt(11)
	;;#ASMSTART
	v_cvt_off_f32_i4 v3, v0
v_cvt_off_f32_i4 v4, v0, src0_sel:BYTE_2
v_cvt_pk_fp8_f32 v6, v3, v4
v_cvt_off_f32_i4 v3, v0, src0_sel:BYTE_1
v_cvt_off_f32_i4 v4, v0, src0_sel:BYTE_3
v_cvt_pk_fp8_f32 v8, v3, v4
v_lshrrev_b32 v5, 4, v0
v_cvt_off_f32_i4 v3, v5
v_cvt_off_f32_i4 v4, v5, src0_sel:BYTE_2
v_cvt_pk_fp8_f32 v6, v3, v4, op_sel:[0, 0, 1]
v_cvt_off_f32_i4 v3, v5, src0_sel:BYTE_1
v_cvt_off_f32_i4 v4, v5, src0_sel:BYTE_3
v_cvt_pk_fp8_f32 v8, v3, v4, op_sel:[0, 0, 1]

	;;#ASMEND
	s_waitcnt vmcnt(10)
	;;#ASMSTART
	v_cvt_off_f32_i4 v0, v1
v_cvt_off_f32_i4 v3, v1, src0_sel:BYTE_2
v_cvt_pk_fp8_f32 v5, v0, v3
v_cvt_off_f32_i4 v0, v1, src0_sel:BYTE_1
v_cvt_off_f32_i4 v3, v1, src0_sel:BYTE_3
v_cvt_pk_fp8_f32 v9, v0, v3
v_lshrrev_b32 v4, 4, v1
v_cvt_off_f32_i4 v0, v4
v_cvt_off_f32_i4 v3, v4, src0_sel:BYTE_2
v_cvt_pk_fp8_f32 v5, v0, v3, op_sel:[0, 0, 1]
v_cvt_off_f32_i4 v0, v4, src0_sel:BYTE_1
v_cvt_off_f32_i4 v3, v4, src0_sel:BYTE_3
v_cvt_pk_fp8_f32 v9, v0, v3, op_sel:[0, 0, 1]

	;;#ASMEND
	;; [unrolled: 17-line block ×4, first 2 shown]
	buffer_load_dword v0, off, s[0:3], s33 offset:276
	buffer_load_dword v1, off, s[0:3], s33 offset:280
	;; [unrolled: 1-line block ×4, first 2 shown]
	s_nop 0
	buffer_store_dword v6, off, s[0:3], s33 offset:756
	buffer_store_dword v8, off, s[0:3], s33 offset:760
	;; [unrolled: 1-line block ×8, first 2 shown]
	s_waitcnt vmcnt(11)
	;;#ASMSTART
	v_cvt_off_f32_i4 v3, v0
v_cvt_off_f32_i4 v4, v0, src0_sel:BYTE_2
v_cvt_pk_fp8_f32 v6, v3, v4
v_cvt_off_f32_i4 v3, v0, src0_sel:BYTE_1
v_cvt_off_f32_i4 v4, v0, src0_sel:BYTE_3
v_cvt_pk_fp8_f32 v8, v3, v4
v_lshrrev_b32 v5, 4, v0
v_cvt_off_f32_i4 v3, v5
v_cvt_off_f32_i4 v4, v5, src0_sel:BYTE_2
v_cvt_pk_fp8_f32 v6, v3, v4, op_sel:[0, 0, 1]
v_cvt_off_f32_i4 v3, v5, src0_sel:BYTE_1
v_cvt_off_f32_i4 v4, v5, src0_sel:BYTE_3
v_cvt_pk_fp8_f32 v8, v3, v4, op_sel:[0, 0, 1]

	;;#ASMEND
	s_waitcnt vmcnt(10)
	;;#ASMSTART
	v_cvt_off_f32_i4 v0, v1
v_cvt_off_f32_i4 v3, v1, src0_sel:BYTE_2
v_cvt_pk_fp8_f32 v5, v0, v3
v_cvt_off_f32_i4 v0, v1, src0_sel:BYTE_1
v_cvt_off_f32_i4 v3, v1, src0_sel:BYTE_3
v_cvt_pk_fp8_f32 v9, v0, v3
v_lshrrev_b32 v4, 4, v1
v_cvt_off_f32_i4 v0, v4
v_cvt_off_f32_i4 v3, v4, src0_sel:BYTE_2
v_cvt_pk_fp8_f32 v5, v0, v3, op_sel:[0, 0, 1]
v_cvt_off_f32_i4 v0, v4, src0_sel:BYTE_1
v_cvt_off_f32_i4 v3, v4, src0_sel:BYTE_3
v_cvt_pk_fp8_f32 v9, v0, v3, op_sel:[0, 0, 1]

	;;#ASMEND
	;; [unrolled: 17-line block ×4, first 2 shown]
	buffer_load_dword v0, off, s[0:3], s33 offset:308
	buffer_load_dword v1, off, s[0:3], s33 offset:312
	;; [unrolled: 1-line block ×4, first 2 shown]
	s_nop 0
	buffer_store_dword v6, off, s[0:3], s33 offset:788
	buffer_store_dword v8, off, s[0:3], s33 offset:792
	buffer_store_dword v5, off, s[0:3], s33 offset:796
	buffer_store_dword v9, off, s[0:3], s33 offset:800
	buffer_store_dword v4, off, s[0:3], s33 offset:804
	buffer_store_dword v10, off, s[0:3], s33 offset:808
	buffer_store_dword v3, off, s[0:3], s33 offset:812
	buffer_store_dword v11, off, s[0:3], s33 offset:816
	s_waitcnt vmcnt(11)
	;;#ASMSTART
	v_cvt_off_f32_i4 v3, v0
v_cvt_off_f32_i4 v4, v0, src0_sel:BYTE_2
v_cvt_pk_fp8_f32 v6, v3, v4
v_cvt_off_f32_i4 v3, v0, src0_sel:BYTE_1
v_cvt_off_f32_i4 v4, v0, src0_sel:BYTE_3
v_cvt_pk_fp8_f32 v8, v3, v4
v_lshrrev_b32 v5, 4, v0
v_cvt_off_f32_i4 v3, v5
v_cvt_off_f32_i4 v4, v5, src0_sel:BYTE_2
v_cvt_pk_fp8_f32 v6, v3, v4, op_sel:[0, 0, 1]
v_cvt_off_f32_i4 v3, v5, src0_sel:BYTE_1
v_cvt_off_f32_i4 v4, v5, src0_sel:BYTE_3
v_cvt_pk_fp8_f32 v8, v3, v4, op_sel:[0, 0, 1]

	;;#ASMEND
	s_waitcnt vmcnt(10)
	;;#ASMSTART
	v_cvt_off_f32_i4 v0, v1
v_cvt_off_f32_i4 v3, v1, src0_sel:BYTE_2
v_cvt_pk_fp8_f32 v5, v0, v3
v_cvt_off_f32_i4 v0, v1, src0_sel:BYTE_1
v_cvt_off_f32_i4 v3, v1, src0_sel:BYTE_3
v_cvt_pk_fp8_f32 v9, v0, v3
v_lshrrev_b32 v4, 4, v1
v_cvt_off_f32_i4 v0, v4
v_cvt_off_f32_i4 v3, v4, src0_sel:BYTE_2
v_cvt_pk_fp8_f32 v5, v0, v3, op_sel:[0, 0, 1]
v_cvt_off_f32_i4 v0, v4, src0_sel:BYTE_1
v_cvt_off_f32_i4 v3, v4, src0_sel:BYTE_3
v_cvt_pk_fp8_f32 v9, v0, v3, op_sel:[0, 0, 1]

	;;#ASMEND
	;; [unrolled: 17-line block ×4, first 2 shown]
	buffer_load_dword v7, off, s[0:3], s33 offset:340
	buffer_load_dword v13, off, s[0:3], s33 offset:344
	;; [unrolled: 1-line block ×4, first 2 shown]
	v_pk_mov_b32 v[0:1], s[16:17], s[16:17] op_sel:[0,1]
	buffer_store_dword v6, off, s[0:3], s33 offset:820
	buffer_store_dword v8, off, s[0:3], s33 offset:824
	;; [unrolled: 1-line block ×8, first 2 shown]
	v_pk_mov_b32 v[2:3], s[18:19], s[18:19] op_sel:[0,1]
	s_waitcnt vmcnt(11)
	;;#ASMSTART
	v_cvt_off_f32_i4 v4, v7
v_cvt_off_f32_i4 v5, v7, src0_sel:BYTE_2
v_cvt_pk_fp8_f32 v8, v4, v5
v_cvt_off_f32_i4 v4, v7, src0_sel:BYTE_1
v_cvt_off_f32_i4 v5, v7, src0_sel:BYTE_3
v_cvt_pk_fp8_f32 v9, v4, v5
v_lshrrev_b32 v6, 4, v7
v_cvt_off_f32_i4 v4, v6
v_cvt_off_f32_i4 v5, v6, src0_sel:BYTE_2
v_cvt_pk_fp8_f32 v8, v4, v5, op_sel:[0, 0, 1]
v_cvt_off_f32_i4 v4, v6, src0_sel:BYTE_1
v_cvt_off_f32_i4 v5, v6, src0_sel:BYTE_3
v_cvt_pk_fp8_f32 v9, v4, v5, op_sel:[0, 0, 1]

	;;#ASMEND
	s_waitcnt vmcnt(10)
	;;#ASMSTART
	v_cvt_off_f32_i4 v4, v13
v_cvt_off_f32_i4 v5, v13, src0_sel:BYTE_2
v_cvt_pk_fp8_f32 v7, v4, v5
v_cvt_off_f32_i4 v4, v13, src0_sel:BYTE_1
v_cvt_off_f32_i4 v5, v13, src0_sel:BYTE_3
v_cvt_pk_fp8_f32 v10, v4, v5
v_lshrrev_b32 v6, 4, v13
v_cvt_off_f32_i4 v4, v6
v_cvt_off_f32_i4 v5, v6, src0_sel:BYTE_2
v_cvt_pk_fp8_f32 v7, v4, v5, op_sel:[0, 0, 1]
v_cvt_off_f32_i4 v4, v6, src0_sel:BYTE_1
v_cvt_off_f32_i4 v5, v6, src0_sel:BYTE_3
v_cvt_pk_fp8_f32 v10, v4, v5, op_sel:[0, 0, 1]

	;;#ASMEND
	;; [unrolled: 17-line block ×4, first 2 shown]
	flat_store_dwordx4 v[26:27], v[0:3]
	flat_store_dwordx4 v[26:27], v[0:3] offset:16
	flat_store_dwordx4 v[26:27], v[0:3] offset:32
	;; [unrolled: 1-line block ×62, first 2 shown]
	buffer_store_dword v8, off, s[0:3], s33 offset:852
	buffer_store_dword v9, off, s[0:3], s33 offset:856
	;; [unrolled: 1-line block ×8, first 2 shown]
	flat_store_dwordx4 v[26:27], v[0:3] offset:1008
	; sched_barrier mask(0x00000000)
	s_lshr_b32 s17, s33, 6
	s_add_i32 s17, s17, 48
	s_lshr_b32 s29, s33, 6
	s_lshr_b32 s35, s33, 6
	s_add_i32 s35, s35, 8
	s_lshr_b32 s5, s33, 6
	s_movk_i32 s4, 0x100
	s_addk_i32 s5, 0x274
	s_add_u32 s22, s5, s4
	s_mov_b32 s28, s15
	v_add_u32_e32 v64, 0x100, v16
	s_mov_b32 s34, s15
	s_mov_b32 s36, s15
	s_addc_u32 s14, s15, 0
	v_add_u32_e32 v68, -2, v22
	s_mov_b64 s[18:19], 0
	s_mov_b32 s37, 0x20000
	s_mov_b32 s38, 0x3060504
	;; [unrolled: 1-line block ×5, first 2 shown]
	s_movk_i32 s42, 0x60
	s_movk_i32 s43, 0x80
	;; [unrolled: 1-line block ×5, first 2 shown]
	v_mov_b32_e32 v66, 0
	v_mov_b32_e32 v69, 1
	s_branch .LBB60_64
.LBB60_63:                              ;   in Loop: Header=BB60_64 Depth=1
	s_or_b64 exec, exec, s[4:5]
	v_mov_b32_e32 v67, s34
	v_mov_b32_e32 v70, s29
	;; [unrolled: 1-line block ×10, first 2 shown]
	buffer_store_dword v67, off, s[0:3], s33 offset:12
	buffer_store_dword v70, off, s[0:3], s33 offset:8
	;; [unrolled: 1-line block ×10, first 2 shown]
	s_getpc_b64 s[4:5]
	s_add_u32 s4, s4, _ZNK2ck6detail7applierIiJLi0ELi1ELi2ELi3ELi4ELi5ELi6ELi7EEEclIZNKS_11static_fordINS_8SequenceIJLi1ELi8EEEENS5_IJLi0ELi1EEEEEclIZZZNKS_52BlockwiseGemmXdlops_pipeline_bpreshuffle_bdequant_v3ILNS_26BlockGemmPipelineSchedulerE0ELi256ENS_9f8_fnuz_tENS_7pk_i4_tESC_fNS_16TensorDescriptorINS_5TupleIJNS_5EmbedINSF_IJNS_17integral_constantIiLi8EEENSH_IiLi256EEENSH_IiLi16EEEEEENSF_IJSK_NSH_IiLi128EEENSH_IiLi1EEEEEELb0EEENS_3XorINSF_IJSJ_SI_EEELb1EEENS_11PassThroughISK_EENS_7UnMergeINSF_IJSI_SN_EEELb0EEENST_ISJ_EESU_NST_ISI_EENS_21Merge_v3_division_modINSF_IJSJ_SN_EEEEESU_EEENSF_IJNS5_IJLi0EEEENS5_IJLi2ELi1EEEENS5_IJLi3EEEENS5_IJLi5EEEENS5_IJLi4EEEENS5_IJLi6EEEENS5_IJLi7EEEENS5_IJLi9ELi8EEEENS5_IJLi10EEEEEEENSF_IJNS5_IJLi1ELi2ELi3EEEENS5_IJLi4ELi5EEEES19_NS5_IJLi7ELi8EEEENS5_IJLi9EEEES1C_NS5_IJLi11EEEENS5_IJLi12EEEENS5_IJLi13EEEEEEENS5_IJLi11ELi12ELi13EEEENSH_IlLl32768EEEEENSE_INSF_IJNSV_INSF_IJSI_SN_SN_NSH_IiLi32EEEEEELb0EEEEEENSF_IJS14_EEENSF_IJNS5_IJLi1ELi2ELi3ELi4EEEEEEES1U_NSH_IlLl256EEEEENSE_INSF_IJSP_SS_SU_SX_SY_SU_SZ_S12_SU_NS10_INSF_IJSI_SK_EEEEENSV_INSF_IJSI_NSH_IiLi2EEESK_EEELb0EEEEEENSF_IJS14_S15_S16_S17_S18_S19_S1A_S1B_S1C_NS5_IJLi11ELi13EEEES1J_EEENSF_IJS1E_S1F_S19_S1G_S1H_S1C_S1I_S1J_S1K_NS5_IJLi14EEEENS5_IJLi15ELi16ELi17EEEEEEENS5_IJLi15ELi16ELi17ELi14EEEES1N_EENSE_INSF_IJS1R_NS10_ISW_EES22_EEENSF_IJS14_NS5_IJLi1ELi3EEEENS5_IJLi2EEEEEEENSF_IJS1U_S17_NS5_IJLi6ELi7ELi8EEEEEEENS5_IJLi6ELi7ELi8ELi5EEEES1W_EELi16ELi32ELi256ELi256ELi128ELi16ELi16ELi8ELi8ELi32ELb0EE3RunILb1ELNS_10TailNumberE1ENSE_INSF_IJNSG_INSF_IJiiEEENSF_IJiSN_EEELb0EEENSV_IS2N_Lb0EEENST_IiEEEEENSF_IJS14_S2E_NS5_IJLi1EEEEEEENSF_IJNS5_IJLi1ELi2EEEENS5_IJLi3ELi4EEEES17_EEENS5_IJLi3ELi5ELi4EEEElEES1O_NS_35ThreadGroupTensorSliceTransfer_v4r1INS_15ThisThreadBlockILi256EEENS_16tensor_operation12element_wise11PassThroughES35_LNS_25InMemoryDataOperationEnumE0ENS5_IJLi8ELi256ELi16EEEENS5_IJLi8ELi32ELi1EEEENS5_IJLi1ELi0ELi2EEEESC_SC_RKS2Z_KS1O_S39_NS5_IJLi0ELi1ELi2EEEELi2ELi2ELi16ELi16ELi1ELi1ELb0ELb1ELi2EiEENS_13DynamicBufferILNS_16AddressSpaceEnumE1EKSC_lLb1ELNS_22AmdBufferCoherenceEnumE0EiEENSF_IJNS3F_ILS3G_2ESC_S1N_Lb1ELS3I_0EiEES3K_EEENSF_IJiiiEEENSE_INSF_IJNSG_INSF_IJiiiiEEENSF_IJiiiSN_EEELb0EEEEEES1T_S1V_S1U_lEENS_32ThreadwiseTensorSliceTransfer_v2ISD_SD_RKS3R_KS1X_NS5_IJLi8ELi1ELi1ELi32EEEENS5_IJLi1ELi2ELi0ELi3EEEELi3ELi32ELi0ELb1ELb0ELb0EEENS3F_ILS3G_1EKSD_lLb1ELS3I_0EiEENSF_IJNS_12StaticBufferILS3G_4ESD_Li256ELb1EEES42_EEES3N_NS_25StaticBufferTupleOfVectorILS3G_4EfLi64ELi4ELb1ELb0EEEEEvRKT1_RKT2_RT3_RKT4_RT5_RKT6_RKT7_RT8_RKT9_RT10_RKT11_RT12_iENKUlT_T0_E_clISN_NSH_IiLi0EEEEEDaS51_S52_ENKUlS51_E_clIS20_EEDaS51_EUlS51_E_EEvS51_EUlS51_E_EEvS51_@rel32@lo+4
	s_addc_u32 s5, s5, _ZNK2ck6detail7applierIiJLi0ELi1ELi2ELi3ELi4ELi5ELi6ELi7EEEclIZNKS_11static_fordINS_8SequenceIJLi1ELi8EEEENS5_IJLi0ELi1EEEEEclIZZZNKS_52BlockwiseGemmXdlops_pipeline_bpreshuffle_bdequant_v3ILNS_26BlockGemmPipelineSchedulerE0ELi256ENS_9f8_fnuz_tENS_7pk_i4_tESC_fNS_16TensorDescriptorINS_5TupleIJNS_5EmbedINSF_IJNS_17integral_constantIiLi8EEENSH_IiLi256EEENSH_IiLi16EEEEEENSF_IJSK_NSH_IiLi128EEENSH_IiLi1EEEEEELb0EEENS_3XorINSF_IJSJ_SI_EEELb1EEENS_11PassThroughISK_EENS_7UnMergeINSF_IJSI_SN_EEELb0EEENST_ISJ_EESU_NST_ISI_EENS_21Merge_v3_division_modINSF_IJSJ_SN_EEEEESU_EEENSF_IJNS5_IJLi0EEEENS5_IJLi2ELi1EEEENS5_IJLi3EEEENS5_IJLi5EEEENS5_IJLi4EEEENS5_IJLi6EEEENS5_IJLi7EEEENS5_IJLi9ELi8EEEENS5_IJLi10EEEEEEENSF_IJNS5_IJLi1ELi2ELi3EEEENS5_IJLi4ELi5EEEES19_NS5_IJLi7ELi8EEEENS5_IJLi9EEEES1C_NS5_IJLi11EEEENS5_IJLi12EEEENS5_IJLi13EEEEEEENS5_IJLi11ELi12ELi13EEEENSH_IlLl32768EEEEENSE_INSF_IJNSV_INSF_IJSI_SN_SN_NSH_IiLi32EEEEEELb0EEEEEENSF_IJS14_EEENSF_IJNS5_IJLi1ELi2ELi3ELi4EEEEEEES1U_NSH_IlLl256EEEEENSE_INSF_IJSP_SS_SU_SX_SY_SU_SZ_S12_SU_NS10_INSF_IJSI_SK_EEEEENSV_INSF_IJSI_NSH_IiLi2EEESK_EEELb0EEEEEENSF_IJS14_S15_S16_S17_S18_S19_S1A_S1B_S1C_NS5_IJLi11ELi13EEEES1J_EEENSF_IJS1E_S1F_S19_S1G_S1H_S1C_S1I_S1J_S1K_NS5_IJLi14EEEENS5_IJLi15ELi16ELi17EEEEEEENS5_IJLi15ELi16ELi17ELi14EEEES1N_EENSE_INSF_IJS1R_NS10_ISW_EES22_EEENSF_IJS14_NS5_IJLi1ELi3EEEENS5_IJLi2EEEEEEENSF_IJS1U_S17_NS5_IJLi6ELi7ELi8EEEEEEENS5_IJLi6ELi7ELi8ELi5EEEES1W_EELi16ELi32ELi256ELi256ELi128ELi16ELi16ELi8ELi8ELi32ELb0EE3RunILb1ELNS_10TailNumberE1ENSE_INSF_IJNSG_INSF_IJiiEEENSF_IJiSN_EEELb0EEENSV_IS2N_Lb0EEENST_IiEEEEENSF_IJS14_S2E_NS5_IJLi1EEEEEEENSF_IJNS5_IJLi1ELi2EEEENS5_IJLi3ELi4EEEES17_EEENS5_IJLi3ELi5ELi4EEEElEES1O_NS_35ThreadGroupTensorSliceTransfer_v4r1INS_15ThisThreadBlockILi256EEENS_16tensor_operation12element_wise11PassThroughES35_LNS_25InMemoryDataOperationEnumE0ENS5_IJLi8ELi256ELi16EEEENS5_IJLi8ELi32ELi1EEEENS5_IJLi1ELi0ELi2EEEESC_SC_RKS2Z_KS1O_S39_NS5_IJLi0ELi1ELi2EEEELi2ELi2ELi16ELi16ELi1ELi1ELb0ELb1ELi2EiEENS_13DynamicBufferILNS_16AddressSpaceEnumE1EKSC_lLb1ELNS_22AmdBufferCoherenceEnumE0EiEENSF_IJNS3F_ILS3G_2ESC_S1N_Lb1ELS3I_0EiEES3K_EEENSF_IJiiiEEENSE_INSF_IJNSG_INSF_IJiiiiEEENSF_IJiiiSN_EEELb0EEEEEES1T_S1V_S1U_lEENS_32ThreadwiseTensorSliceTransfer_v2ISD_SD_RKS3R_KS1X_NS5_IJLi8ELi1ELi1ELi32EEEENS5_IJLi1ELi2ELi0ELi3EEEELi3ELi32ELi0ELb1ELb0ELb0EEENS3F_ILS3G_1EKSD_lLb1ELS3I_0EiEENSF_IJNS_12StaticBufferILS3G_4ESD_Li256ELb1EEES42_EEES3N_NS_25StaticBufferTupleOfVectorILS3G_4EfLi64ELi4ELb1ELb0EEEEEvRKT1_RKT2_RT3_RKT4_RT5_RKT6_RKT7_RT8_RKT9_RT10_RKT11_RT12_iENKUlT_T0_E_clISN_NSH_IiLi0EEEEEDaS51_S52_ENKUlS51_E_clIS20_EEDaS51_EUlS51_E_EEvS51_EUlS51_E_EEvS51_@rel32@hi+12
	s_swappc_b64 s[30:31], s[4:5]
	flat_load_dwordx2 v[12:13], v[30:31] offset:1148
	flat_load_dwordx2 v[14:15], v[30:31] offset:1164
	flat_load_dwordx4 v[0:3], v[30:31] offset:1176
	flat_load_dwordx3 v[8:10], v[30:31] offset:1132
	flat_load_dwordx2 v[16:17], v[28:29] offset:16
	s_getpc_b64 s[20:21]
	s_add_u32 s20, s20, _ZNK2ck44ThreadwiseTensorSliceTransfer_StaticToStaticINS_7pk_i4_tENS_9f8_fnuz_tEKNS_16TensorDescriptorINS_5TupleIJNS_7UnMergeINS4_IJNS_17integral_constantIiLi8EEENS6_IiLi1EEES8_NS6_IiLi32EEEEEELb0EEEEEENS4_IJNS_8SequenceIJLi0EEEEEEENS4_IJNSD_IJLi1ELi2ELi3ELi4EEEEEEESG_NS6_IlLl256EEEEESK_NS_16tensor_operation12element_wise11PassThroughENSD_IJLi8ELi1ELi1ELi32EEEENSD_IJLi1ELi2ELi0ELi3EEEELi3ELi32ELb0EE3RunINS4_IJNS6_IiLi0EEESS_SS_SS_EEEST_NS_12StaticBufferILNS_16AddressSpaceEnumE4ES1_Li256ELb1EEENSU_ILSV_4ES2_Li256ELb1EEEEEvRSK_RKT_RKT1_SY_RKT0_RT2_@rel32@lo+4
	s_addc_u32 s21, s21, _ZNK2ck44ThreadwiseTensorSliceTransfer_StaticToStaticINS_7pk_i4_tENS_9f8_fnuz_tEKNS_16TensorDescriptorINS_5TupleIJNS_7UnMergeINS4_IJNS_17integral_constantIiLi8EEENS6_IiLi1EEES8_NS6_IiLi32EEEEEELb0EEEEEENS4_IJNS_8SequenceIJLi0EEEEEEENS4_IJNSD_IJLi1ELi2ELi3ELi4EEEEEEESG_NS6_IlLl256EEEEESK_NS_16tensor_operation12element_wise11PassThroughENSD_IJLi8ELi1ELi1ELi32EEEENSD_IJLi1ELi2ELi0ELi3EEEELi3ELi32ELb0EE3RunINS4_IJNS6_IiLi0EEESS_SS_SS_EEEST_NS_12StaticBufferILNS_16AddressSpaceEnumE4ES1_Li256ELb1EEENSU_ILSV_4ES2_Li256ELb1EEEEEvRSK_RKT_RKT1_SY_RKT0_RT2_@rel32@hi+12
	s_waitcnt vmcnt(0) lgkmcnt(0)
	v_sub_u32_e32 v4, v12, v15
	v_add3_u32 v1, v4, v1, s42
	v_ashrrev_i32_e32 v4, 31, v1
	v_lshrrev_b32_e32 v4, 29, v4
	v_add_u32_e32 v4, v1, v4
	v_and_b32_e32 v4, -8, v4
	v_sub_u32_e32 v5, v13, v14
	v_sub_u32_e32 v6, v1, v10
	;; [unrolled: 1-line block ×3, first 2 shown]
	v_xor_b32_e32 v4, v1, v5
	v_sub_u32_e32 v4, v4, v9
	v_lshlrev_b32_e32 v10, 7, v6
	v_lshlrev_b32_e32 v4, 4, v4
	v_add3_u32 v4, v10, v8, v4
	v_ashrrev_i32_e32 v5, 31, v4
	v_add_co_u32_e32 v4, vcc, v16, v4
	v_addc_co_u32_e32 v5, vcc, v17, v5, vcc
	flat_load_dwordx4 v[4:7], v[4:5]
	v_add_u32_e32 v3, 16, v3
	v_sub_u32_e32 v2, v8, v2
	v_ashrrev_i32_e32 v8, 31, v3
	v_lshrrev_b32_e32 v8, 28, v8
	v_add_u32_e32 v0, v14, v0
	v_add_u32_e32 v8, v3, v8
	v_sub_u32_e32 v0, v13, v0
	v_lshrrev_b32_e32 v11, 4, v8
	v_add_u32_e32 v0, v0, v11
	v_xor_b32_e32 v0, v0, v1
	v_and_b32_e32 v8, -16, v8
	v_sub_u32_e32 v0, v0, v9
	v_add_u32_e32 v2, v2, v10
	v_sub_u32_e32 v3, v3, v8
	v_lshlrev_b32_e32 v0, 4, v0
	v_add3_u32 v0, v2, v3, v0
	v_ashrrev_i32_e32 v1, 31, v0
	v_add_co_u32_e32 v0, vcc, v16, v0
	v_addc_co_u32_e32 v1, vcc, v17, v1, vcc
	s_waitcnt vmcnt(0) lgkmcnt(0)
	buffer_store_dword v4, off, s[0:3], s33 offset:84
	buffer_store_dword v5, off, s[0:3], s33 offset:88
	;; [unrolled: 1-line block ×4, first 2 shown]
	flat_load_dwordx4 v[0:3], v[0:1]
	s_waitcnt vmcnt(0) lgkmcnt(0)
	buffer_store_dword v0, off, s[0:3], s33 offset:100
	buffer_store_dword v1, off, s[0:3], s33 offset:104
	;; [unrolled: 1-line block ×4, first 2 shown]
	v_mov_b32_e32 v0, v64
	v_mov_b32_e32 v2, s22
	;; [unrolled: 1-line block ×4, first 2 shown]
	s_swappc_b64 s[30:31], s[20:21]
	; sched_group_barrier mask(0x00000008) size(3) SyncID(0)
	; sched_group_barrier mask(0x00000020) size(1) SyncID(0)
	;; [unrolled: 1-line block ×20, first 2 shown]
	; sched_barrier mask(0x00000000)
	v_mov_b32_e32 v0, s35
	v_mov_b32_e32 v1, s36
	buffer_store_dword v67, off, s[0:3], s33 offset:12
	buffer_store_dword v70, off, s[0:3], s33 offset:8
	;; [unrolled: 1-line block ×10, first 2 shown]
	s_getpc_b64 s[4:5]
	s_add_u32 s4, s4, _ZNK2ck6detail7applierIiJLi0ELi1ELi2ELi3ELi4ELi5ELi6ELi7EEEclIZNKS_11static_fordINS_8SequenceIJLi1ELi8EEEENS5_IJLi0ELi1EEEEEclIZZZNKS_52BlockwiseGemmXdlops_pipeline_bpreshuffle_bdequant_v3ILNS_26BlockGemmPipelineSchedulerE0ELi256ENS_9f8_fnuz_tENS_7pk_i4_tESC_fNS_16TensorDescriptorINS_5TupleIJNS_5EmbedINSF_IJNS_17integral_constantIiLi8EEENSH_IiLi256EEENSH_IiLi16EEEEEENSF_IJSK_NSH_IiLi128EEENSH_IiLi1EEEEEELb0EEENS_3XorINSF_IJSJ_SI_EEELb1EEENS_11PassThroughISK_EENS_7UnMergeINSF_IJSI_SN_EEELb0EEENST_ISJ_EESU_NST_ISI_EENS_21Merge_v3_division_modINSF_IJSJ_SN_EEEEESU_EEENSF_IJNS5_IJLi0EEEENS5_IJLi2ELi1EEEENS5_IJLi3EEEENS5_IJLi5EEEENS5_IJLi4EEEENS5_IJLi6EEEENS5_IJLi7EEEENS5_IJLi9ELi8EEEENS5_IJLi10EEEEEEENSF_IJNS5_IJLi1ELi2ELi3EEEENS5_IJLi4ELi5EEEES19_NS5_IJLi7ELi8EEEENS5_IJLi9EEEES1C_NS5_IJLi11EEEENS5_IJLi12EEEENS5_IJLi13EEEEEEENS5_IJLi11ELi12ELi13EEEENSH_IlLl32768EEEEENSE_INSF_IJNSV_INSF_IJSI_SN_SN_NSH_IiLi32EEEEEELb0EEEEEENSF_IJS14_EEENSF_IJNS5_IJLi1ELi2ELi3ELi4EEEEEEES1U_NSH_IlLl256EEEEENSE_INSF_IJSP_SS_SU_SX_SY_SU_SZ_S12_SU_NS10_INSF_IJSI_SK_EEEEENSV_INSF_IJSI_NSH_IiLi2EEESK_EEELb0EEEEEENSF_IJS14_S15_S16_S17_S18_S19_S1A_S1B_S1C_NS5_IJLi11ELi13EEEES1J_EEENSF_IJS1E_S1F_S19_S1G_S1H_S1C_S1I_S1J_S1K_NS5_IJLi14EEEENS5_IJLi15ELi16ELi17EEEEEEENS5_IJLi15ELi16ELi17ELi14EEEES1N_EENSE_INSF_IJS1R_NS10_ISW_EES22_EEENSF_IJS14_NS5_IJLi1ELi3EEEENS5_IJLi2EEEEEEENSF_IJS1U_S17_NS5_IJLi6ELi7ELi8EEEEEEENS5_IJLi6ELi7ELi8ELi5EEEES1W_EELi16ELi32ELi256ELi256ELi128ELi16ELi16ELi8ELi8ELi32ELb0EE3RunILb1ELNS_10TailNumberE1ENSE_INSF_IJNSG_INSF_IJiiEEENSF_IJiSN_EEELb0EEENSV_IS2N_Lb0EEENST_IiEEEEENSF_IJS14_S2E_NS5_IJLi1EEEEEEENSF_IJNS5_IJLi1ELi2EEEENS5_IJLi3ELi4EEEES17_EEENS5_IJLi3ELi5ELi4EEEElEES1O_NS_35ThreadGroupTensorSliceTransfer_v4r1INS_15ThisThreadBlockILi256EEENS_16tensor_operation12element_wise11PassThroughES35_LNS_25InMemoryDataOperationEnumE0ENS5_IJLi8ELi256ELi16EEEENS5_IJLi8ELi32ELi1EEEENS5_IJLi1ELi0ELi2EEEESC_SC_RKS2Z_KS1O_S39_NS5_IJLi0ELi1ELi2EEEELi2ELi2ELi16ELi16ELi1ELi1ELb0ELb1ELi2EiEENS_13DynamicBufferILNS_16AddressSpaceEnumE1EKSC_lLb1ELNS_22AmdBufferCoherenceEnumE0EiEENSF_IJNS3F_ILS3G_2ESC_S1N_Lb1ELS3I_0EiEES3K_EEENSF_IJiiiEEENSE_INSF_IJNSG_INSF_IJiiiiEEENSF_IJiiiSN_EEELb0EEEEEES1T_S1V_S1U_lEENS_32ThreadwiseTensorSliceTransfer_v2ISD_SD_RKS3R_KS1X_NS5_IJLi8ELi1ELi1ELi32EEEENS5_IJLi1ELi2ELi0ELi3EEEELi3ELi32ELi0ELb1ELb0ELb0EEENS3F_ILS3G_1EKSD_lLb1ELS3I_0EiEENSF_IJNS_12StaticBufferILS3G_4ESD_Li256ELb1EEES42_EEES3N_NS_25StaticBufferTupleOfVectorILS3G_4EfLi64ELi4ELb1ELb0EEEEEvRKT1_RKT2_RT3_RKT4_RT5_RKT6_RKT7_RT8_RKT9_RT10_RKT11_RT12_iENKUlT_T0_E_clISN_NSH_IiLi0EEEEEDaS51_S52_ENKUlS51_E_clINSH_IiLi3EEEEEDaS51_EUlS51_E_EEvS51_EUlS51_E_EEvS51_@rel32@lo+4
	s_addc_u32 s5, s5, _ZNK2ck6detail7applierIiJLi0ELi1ELi2ELi3ELi4ELi5ELi6ELi7EEEclIZNKS_11static_fordINS_8SequenceIJLi1ELi8EEEENS5_IJLi0ELi1EEEEEclIZZZNKS_52BlockwiseGemmXdlops_pipeline_bpreshuffle_bdequant_v3ILNS_26BlockGemmPipelineSchedulerE0ELi256ENS_9f8_fnuz_tENS_7pk_i4_tESC_fNS_16TensorDescriptorINS_5TupleIJNS_5EmbedINSF_IJNS_17integral_constantIiLi8EEENSH_IiLi256EEENSH_IiLi16EEEEEENSF_IJSK_NSH_IiLi128EEENSH_IiLi1EEEEEELb0EEENS_3XorINSF_IJSJ_SI_EEELb1EEENS_11PassThroughISK_EENS_7UnMergeINSF_IJSI_SN_EEELb0EEENST_ISJ_EESU_NST_ISI_EENS_21Merge_v3_division_modINSF_IJSJ_SN_EEEEESU_EEENSF_IJNS5_IJLi0EEEENS5_IJLi2ELi1EEEENS5_IJLi3EEEENS5_IJLi5EEEENS5_IJLi4EEEENS5_IJLi6EEEENS5_IJLi7EEEENS5_IJLi9ELi8EEEENS5_IJLi10EEEEEEENSF_IJNS5_IJLi1ELi2ELi3EEEENS5_IJLi4ELi5EEEES19_NS5_IJLi7ELi8EEEENS5_IJLi9EEEES1C_NS5_IJLi11EEEENS5_IJLi12EEEENS5_IJLi13EEEEEEENS5_IJLi11ELi12ELi13EEEENSH_IlLl32768EEEEENSE_INSF_IJNSV_INSF_IJSI_SN_SN_NSH_IiLi32EEEEEELb0EEEEEENSF_IJS14_EEENSF_IJNS5_IJLi1ELi2ELi3ELi4EEEEEEES1U_NSH_IlLl256EEEEENSE_INSF_IJSP_SS_SU_SX_SY_SU_SZ_S12_SU_NS10_INSF_IJSI_SK_EEEEENSV_INSF_IJSI_NSH_IiLi2EEESK_EEELb0EEEEEENSF_IJS14_S15_S16_S17_S18_S19_S1A_S1B_S1C_NS5_IJLi11ELi13EEEES1J_EEENSF_IJS1E_S1F_S19_S1G_S1H_S1C_S1I_S1J_S1K_NS5_IJLi14EEEENS5_IJLi15ELi16ELi17EEEEEEENS5_IJLi15ELi16ELi17ELi14EEEES1N_EENSE_INSF_IJS1R_NS10_ISW_EES22_EEENSF_IJS14_NS5_IJLi1ELi3EEEENS5_IJLi2EEEEEEENSF_IJS1U_S17_NS5_IJLi6ELi7ELi8EEEEEEENS5_IJLi6ELi7ELi8ELi5EEEES1W_EELi16ELi32ELi256ELi256ELi128ELi16ELi16ELi8ELi8ELi32ELb0EE3RunILb1ELNS_10TailNumberE1ENSE_INSF_IJNSG_INSF_IJiiEEENSF_IJiSN_EEELb0EEENSV_IS2N_Lb0EEENST_IiEEEEENSF_IJS14_S2E_NS5_IJLi1EEEEEEENSF_IJNS5_IJLi1ELi2EEEENS5_IJLi3ELi4EEEES17_EEENS5_IJLi3ELi5ELi4EEEElEES1O_NS_35ThreadGroupTensorSliceTransfer_v4r1INS_15ThisThreadBlockILi256EEENS_16tensor_operation12element_wise11PassThroughES35_LNS_25InMemoryDataOperationEnumE0ENS5_IJLi8ELi256ELi16EEEENS5_IJLi8ELi32ELi1EEEENS5_IJLi1ELi0ELi2EEEESC_SC_RKS2Z_KS1O_S39_NS5_IJLi0ELi1ELi2EEEELi2ELi2ELi16ELi16ELi1ELi1ELb0ELb1ELi2EiEENS_13DynamicBufferILNS_16AddressSpaceEnumE1EKSC_lLb1ELNS_22AmdBufferCoherenceEnumE0EiEENSF_IJNS3F_ILS3G_2ESC_S1N_Lb1ELS3I_0EiEES3K_EEENSF_IJiiiEEENSE_INSF_IJNSG_INSF_IJiiiiEEENSF_IJiiiSN_EEELb0EEEEEES1T_S1V_S1U_lEENS_32ThreadwiseTensorSliceTransfer_v2ISD_SD_RKS3R_KS1X_NS5_IJLi8ELi1ELi1ELi32EEEENS5_IJLi1ELi2ELi0ELi3EEEELi3ELi32ELi0ELb1ELb0ELb0EEENS3F_ILS3G_1EKSD_lLb1ELS3I_0EiEENSF_IJNS_12StaticBufferILS3G_4ESD_Li256ELb1EEES42_EEES3N_NS_25StaticBufferTupleOfVectorILS3G_4EfLi64ELi4ELb1ELb0EEEEEvRKT1_RKT2_RT3_RKT4_RT5_RKT6_RKT7_RT8_RKT9_RT10_RKT11_RT12_iENKUlT_T0_E_clISN_NSH_IiLi0EEEEEDaS51_S52_ENKUlS51_E_clINSH_IiLi3EEEEEDaS51_EUlS51_E_EEvS51_EUlS51_E_EEvS51_@rel32@hi+12
	s_swappc_b64 s[30:31], s[4:5]
	flat_load_dwordx2 v[12:13], v[30:31] offset:1148
	flat_load_dwordx2 v[14:15], v[30:31] offset:1164
	flat_load_dwordx4 v[0:3], v[30:31] offset:1176
	flat_load_dwordx3 v[8:10], v[30:31] offset:1132
	flat_load_dwordx2 v[16:17], v[28:29] offset:16
	s_waitcnt vmcnt(0) lgkmcnt(0)
	v_sub_u32_e32 v4, v12, v15
	v_add3_u32 v1, v4, v1, s43
	v_ashrrev_i32_e32 v4, 31, v1
	v_lshrrev_b32_e32 v4, 29, v4
	v_add_u32_e32 v4, v1, v4
	v_and_b32_e32 v4, -8, v4
	v_sub_u32_e32 v5, v13, v14
	v_sub_u32_e32 v6, v1, v10
	;; [unrolled: 1-line block ×3, first 2 shown]
	v_xor_b32_e32 v4, v1, v5
	v_sub_u32_e32 v4, v4, v9
	v_lshlrev_b32_e32 v10, 7, v6
	v_lshlrev_b32_e32 v4, 4, v4
	v_add3_u32 v4, v10, v8, v4
	v_ashrrev_i32_e32 v5, 31, v4
	v_add_co_u32_e32 v4, vcc, v16, v4
	v_addc_co_u32_e32 v5, vcc, v17, v5, vcc
	flat_load_dwordx4 v[4:7], v[4:5]
	v_add_u32_e32 v3, 16, v3
	v_sub_u32_e32 v2, v8, v2
	v_ashrrev_i32_e32 v8, 31, v3
	v_lshrrev_b32_e32 v8, 28, v8
	v_add_u32_e32 v0, v14, v0
	v_add_u32_e32 v8, v3, v8
	v_sub_u32_e32 v0, v13, v0
	v_lshrrev_b32_e32 v11, 4, v8
	v_add_u32_e32 v0, v0, v11
	v_xor_b32_e32 v0, v0, v1
	v_and_b32_e32 v8, -16, v8
	v_sub_u32_e32 v0, v0, v9
	v_add_u32_e32 v2, v2, v10
	v_sub_u32_e32 v3, v3, v8
	v_lshlrev_b32_e32 v0, 4, v0
	v_add3_u32 v0, v2, v3, v0
	v_ashrrev_i32_e32 v1, 31, v0
	v_add_co_u32_e32 v0, vcc, v16, v0
	v_addc_co_u32_e32 v1, vcc, v17, v1, vcc
	s_waitcnt vmcnt(0) lgkmcnt(0)
	buffer_store_dword v4, off, s[0:3], s33 offset:52
	buffer_store_dword v5, off, s[0:3], s33 offset:56
	;; [unrolled: 1-line block ×4, first 2 shown]
	flat_load_dwordx4 v[0:3], v[0:1]
	s_waitcnt vmcnt(0) lgkmcnt(0)
	buffer_store_dword v0, off, s[0:3], s33 offset:68
	buffer_store_dword v1, off, s[0:3], s33 offset:72
	;; [unrolled: 1-line block ×4, first 2 shown]
	v_mov_b32_e32 v0, v64
	v_mov_b32_e32 v1, s15
	;; [unrolled: 1-line block ×4, first 2 shown]
	s_swappc_b64 s[30:31], s[20:21]
	; sched_group_barrier mask(0x00000008) size(16) SyncID(0)
	; sched_group_barrier mask(0x00000100) size(1) SyncID(0)
	;; [unrolled: 1-line block ×4, first 2 shown]
	; sched_barrier mask(0x00000000)
	v_mov_b32_e32 v0, s35
	v_mov_b32_e32 v1, s36
	buffer_store_dword v67, off, s[0:3], s33 offset:12
	buffer_store_dword v70, off, s[0:3], s33 offset:8
	;; [unrolled: 1-line block ×10, first 2 shown]
	s_getpc_b64 s[4:5]
	s_add_u32 s4, s4, _ZNK2ck6detail7applierIiJLi0ELi1ELi2ELi3ELi4ELi5ELi6ELi7EEEclIZNKS_11static_fordINS_8SequenceIJLi1ELi8EEEENS5_IJLi0ELi1EEEEEclIZZZNKS_52BlockwiseGemmXdlops_pipeline_bpreshuffle_bdequant_v3ILNS_26BlockGemmPipelineSchedulerE0ELi256ENS_9f8_fnuz_tENS_7pk_i4_tESC_fNS_16TensorDescriptorINS_5TupleIJNS_5EmbedINSF_IJNS_17integral_constantIiLi8EEENSH_IiLi256EEENSH_IiLi16EEEEEENSF_IJSK_NSH_IiLi128EEENSH_IiLi1EEEEEELb0EEENS_3XorINSF_IJSJ_SI_EEELb1EEENS_11PassThroughISK_EENS_7UnMergeINSF_IJSI_SN_EEELb0EEENST_ISJ_EESU_NST_ISI_EENS_21Merge_v3_division_modINSF_IJSJ_SN_EEEEESU_EEENSF_IJNS5_IJLi0EEEENS5_IJLi2ELi1EEEENS5_IJLi3EEEENS5_IJLi5EEEENS5_IJLi4EEEENS5_IJLi6EEEENS5_IJLi7EEEENS5_IJLi9ELi8EEEENS5_IJLi10EEEEEEENSF_IJNS5_IJLi1ELi2ELi3EEEENS5_IJLi4ELi5EEEES19_NS5_IJLi7ELi8EEEENS5_IJLi9EEEES1C_NS5_IJLi11EEEENS5_IJLi12EEEENS5_IJLi13EEEEEEENS5_IJLi11ELi12ELi13EEEENSH_IlLl32768EEEEENSE_INSF_IJNSV_INSF_IJSI_SN_SN_NSH_IiLi32EEEEEELb0EEEEEENSF_IJS14_EEENSF_IJNS5_IJLi1ELi2ELi3ELi4EEEEEEES1U_NSH_IlLl256EEEEENSE_INSF_IJSP_SS_SU_SX_SY_SU_SZ_S12_SU_NS10_INSF_IJSI_SK_EEEEENSV_INSF_IJSI_NSH_IiLi2EEESK_EEELb0EEEEEENSF_IJS14_S15_S16_S17_S18_S19_S1A_S1B_S1C_NS5_IJLi11ELi13EEEES1J_EEENSF_IJS1E_S1F_S19_S1G_S1H_S1C_S1I_S1J_S1K_NS5_IJLi14EEEENS5_IJLi15ELi16ELi17EEEEEEENS5_IJLi15ELi16ELi17ELi14EEEES1N_EENSE_INSF_IJS1R_NS10_ISW_EES22_EEENSF_IJS14_NS5_IJLi1ELi3EEEENS5_IJLi2EEEEEEENSF_IJS1U_S17_NS5_IJLi6ELi7ELi8EEEEEEENS5_IJLi6ELi7ELi8ELi5EEEES1W_EELi16ELi32ELi256ELi256ELi128ELi16ELi16ELi8ELi8ELi32ELb0EE3RunILb1ELNS_10TailNumberE1ENSE_INSF_IJNSG_INSF_IJiiEEENSF_IJiSN_EEELb0EEENSV_IS2N_Lb0EEENST_IiEEEEENSF_IJS14_S2E_NS5_IJLi1EEEEEEENSF_IJNS5_IJLi1ELi2EEEENS5_IJLi3ELi4EEEES17_EEENS5_IJLi3ELi5ELi4EEEElEES1O_NS_35ThreadGroupTensorSliceTransfer_v4r1INS_15ThisThreadBlockILi256EEENS_16tensor_operation12element_wise11PassThroughES35_LNS_25InMemoryDataOperationEnumE0ENS5_IJLi8ELi256ELi16EEEENS5_IJLi8ELi32ELi1EEEENS5_IJLi1ELi0ELi2EEEESC_SC_RKS2Z_KS1O_S39_NS5_IJLi0ELi1ELi2EEEELi2ELi2ELi16ELi16ELi1ELi1ELb0ELb1ELi2EiEENS_13DynamicBufferILNS_16AddressSpaceEnumE1EKSC_lLb1ELNS_22AmdBufferCoherenceEnumE0EiEENSF_IJNS3F_ILS3G_2ESC_S1N_Lb1ELS3I_0EiEES3K_EEENSF_IJiiiEEENSE_INSF_IJNSG_INSF_IJiiiiEEENSF_IJiiiSN_EEELb0EEEEEES1T_S1V_S1U_lEENS_32ThreadwiseTensorSliceTransfer_v2ISD_SD_RKS3R_KS1X_NS5_IJLi8ELi1ELi1ELi32EEEENS5_IJLi1ELi2ELi0ELi3EEEELi3ELi32ELi0ELb1ELb0ELb0EEENS3F_ILS3G_1EKSD_lLb1ELS3I_0EiEENSF_IJNS_12StaticBufferILS3G_4ESD_Li256ELb1EEES42_EEES3N_NS_25StaticBufferTupleOfVectorILS3G_4EfLi64ELi4ELb1ELb0EEEEEvRKT1_RKT2_RT3_RKT4_RT5_RKT6_RKT7_RT8_RKT9_RT10_RKT11_RT12_iENKUlT_T0_E_clISN_NSH_IiLi0EEEEEDaS51_S52_ENKUlS51_E_clINSH_IiLi4EEEEEDaS51_EUlS51_E_EEvS51_EUlS51_E_EEvS51_@rel32@lo+4
	s_addc_u32 s5, s5, _ZNK2ck6detail7applierIiJLi0ELi1ELi2ELi3ELi4ELi5ELi6ELi7EEEclIZNKS_11static_fordINS_8SequenceIJLi1ELi8EEEENS5_IJLi0ELi1EEEEEclIZZZNKS_52BlockwiseGemmXdlops_pipeline_bpreshuffle_bdequant_v3ILNS_26BlockGemmPipelineSchedulerE0ELi256ENS_9f8_fnuz_tENS_7pk_i4_tESC_fNS_16TensorDescriptorINS_5TupleIJNS_5EmbedINSF_IJNS_17integral_constantIiLi8EEENSH_IiLi256EEENSH_IiLi16EEEEEENSF_IJSK_NSH_IiLi128EEENSH_IiLi1EEEEEELb0EEENS_3XorINSF_IJSJ_SI_EEELb1EEENS_11PassThroughISK_EENS_7UnMergeINSF_IJSI_SN_EEELb0EEENST_ISJ_EESU_NST_ISI_EENS_21Merge_v3_division_modINSF_IJSJ_SN_EEEEESU_EEENSF_IJNS5_IJLi0EEEENS5_IJLi2ELi1EEEENS5_IJLi3EEEENS5_IJLi5EEEENS5_IJLi4EEEENS5_IJLi6EEEENS5_IJLi7EEEENS5_IJLi9ELi8EEEENS5_IJLi10EEEEEEENSF_IJNS5_IJLi1ELi2ELi3EEEENS5_IJLi4ELi5EEEES19_NS5_IJLi7ELi8EEEENS5_IJLi9EEEES1C_NS5_IJLi11EEEENS5_IJLi12EEEENS5_IJLi13EEEEEEENS5_IJLi11ELi12ELi13EEEENSH_IlLl32768EEEEENSE_INSF_IJNSV_INSF_IJSI_SN_SN_NSH_IiLi32EEEEEELb0EEEEEENSF_IJS14_EEENSF_IJNS5_IJLi1ELi2ELi3ELi4EEEEEEES1U_NSH_IlLl256EEEEENSE_INSF_IJSP_SS_SU_SX_SY_SU_SZ_S12_SU_NS10_INSF_IJSI_SK_EEEEENSV_INSF_IJSI_NSH_IiLi2EEESK_EEELb0EEEEEENSF_IJS14_S15_S16_S17_S18_S19_S1A_S1B_S1C_NS5_IJLi11ELi13EEEES1J_EEENSF_IJS1E_S1F_S19_S1G_S1H_S1C_S1I_S1J_S1K_NS5_IJLi14EEEENS5_IJLi15ELi16ELi17EEEEEEENS5_IJLi15ELi16ELi17ELi14EEEES1N_EENSE_INSF_IJS1R_NS10_ISW_EES22_EEENSF_IJS14_NS5_IJLi1ELi3EEEENS5_IJLi2EEEEEEENSF_IJS1U_S17_NS5_IJLi6ELi7ELi8EEEEEEENS5_IJLi6ELi7ELi8ELi5EEEES1W_EELi16ELi32ELi256ELi256ELi128ELi16ELi16ELi8ELi8ELi32ELb0EE3RunILb1ELNS_10TailNumberE1ENSE_INSF_IJNSG_INSF_IJiiEEENSF_IJiSN_EEELb0EEENSV_IS2N_Lb0EEENST_IiEEEEENSF_IJS14_S2E_NS5_IJLi1EEEEEEENSF_IJNS5_IJLi1ELi2EEEENS5_IJLi3ELi4EEEES17_EEENS5_IJLi3ELi5ELi4EEEElEES1O_NS_35ThreadGroupTensorSliceTransfer_v4r1INS_15ThisThreadBlockILi256EEENS_16tensor_operation12element_wise11PassThroughES35_LNS_25InMemoryDataOperationEnumE0ENS5_IJLi8ELi256ELi16EEEENS5_IJLi8ELi32ELi1EEEENS5_IJLi1ELi0ELi2EEEESC_SC_RKS2Z_KS1O_S39_NS5_IJLi0ELi1ELi2EEEELi2ELi2ELi16ELi16ELi1ELi1ELb0ELb1ELi2EiEENS_13DynamicBufferILNS_16AddressSpaceEnumE1EKSC_lLb1ELNS_22AmdBufferCoherenceEnumE0EiEENSF_IJNS3F_ILS3G_2ESC_S1N_Lb1ELS3I_0EiEES3K_EEENSF_IJiiiEEENSE_INSF_IJNSG_INSF_IJiiiiEEENSF_IJiiiSN_EEELb0EEEEEES1T_S1V_S1U_lEENS_32ThreadwiseTensorSliceTransfer_v2ISD_SD_RKS3R_KS1X_NS5_IJLi8ELi1ELi1ELi32EEEENS5_IJLi1ELi2ELi0ELi3EEEELi3ELi32ELi0ELb1ELb0ELb0EEENS3F_ILS3G_1EKSD_lLb1ELS3I_0EiEENSF_IJNS_12StaticBufferILS3G_4ESD_Li256ELb1EEES42_EEES3N_NS_25StaticBufferTupleOfVectorILS3G_4EfLi64ELi4ELb1ELb0EEEEEvRKT1_RKT2_RT3_RKT4_RT5_RKT6_RKT7_RT8_RKT9_RT10_RKT11_RT12_iENKUlT_T0_E_clISN_NSH_IiLi0EEEEEDaS51_S52_ENKUlS51_E_clINSH_IiLi4EEEEEDaS51_EUlS51_E_EEvS51_EUlS51_E_EEvS51_@rel32@hi+12
	s_swappc_b64 s[30:31], s[4:5]
	flat_load_dwordx2 v[12:13], v[30:31] offset:1148
	flat_load_dwordx2 v[14:15], v[30:31] offset:1164
	flat_load_dwordx4 v[0:3], v[30:31] offset:1176
	flat_load_dwordx3 v[8:10], v[30:31] offset:1132
	flat_load_dwordx2 v[16:17], v[28:29] offset:16
	s_waitcnt vmcnt(0) lgkmcnt(0)
	v_sub_u32_e32 v4, v12, v15
	v_add3_u32 v1, v4, v1, s44
	v_ashrrev_i32_e32 v4, 31, v1
	v_lshrrev_b32_e32 v4, 29, v4
	v_add_u32_e32 v4, v1, v4
	v_and_b32_e32 v4, -8, v4
	v_sub_u32_e32 v5, v13, v14
	v_sub_u32_e32 v6, v1, v10
	;; [unrolled: 1-line block ×3, first 2 shown]
	v_xor_b32_e32 v4, v1, v5
	v_sub_u32_e32 v4, v4, v9
	v_lshlrev_b32_e32 v10, 7, v6
	v_lshlrev_b32_e32 v4, 4, v4
	v_add3_u32 v4, v10, v8, v4
	v_ashrrev_i32_e32 v5, 31, v4
	v_add_co_u32_e32 v4, vcc, v16, v4
	v_addc_co_u32_e32 v5, vcc, v17, v5, vcc
	flat_load_dwordx4 v[4:7], v[4:5]
	v_add_u32_e32 v3, 16, v3
	v_sub_u32_e32 v2, v8, v2
	v_ashrrev_i32_e32 v8, 31, v3
	v_lshrrev_b32_e32 v8, 28, v8
	v_add_u32_e32 v0, v14, v0
	v_add_u32_e32 v8, v3, v8
	v_sub_u32_e32 v0, v13, v0
	v_lshrrev_b32_e32 v11, 4, v8
	v_add_u32_e32 v0, v0, v11
	v_xor_b32_e32 v0, v0, v1
	v_and_b32_e32 v8, -16, v8
	v_sub_u32_e32 v0, v0, v9
	v_add_u32_e32 v2, v2, v10
	v_sub_u32_e32 v3, v3, v8
	v_lshlrev_b32_e32 v0, 4, v0
	v_add3_u32 v0, v2, v3, v0
	v_ashrrev_i32_e32 v1, 31, v0
	v_add_co_u32_e32 v0, vcc, v16, v0
	v_addc_co_u32_e32 v1, vcc, v17, v1, vcc
	s_waitcnt vmcnt(0) lgkmcnt(0)
	buffer_store_dword v4, off, s[0:3], s33 offset:84
	buffer_store_dword v5, off, s[0:3], s33 offset:88
	buffer_store_dword v6, off, s[0:3], s33 offset:92
	buffer_store_dword v7, off, s[0:3], s33 offset:96
	flat_load_dwordx4 v[0:3], v[0:1]
	s_waitcnt vmcnt(0) lgkmcnt(0)
	buffer_store_dword v0, off, s[0:3], s33 offset:100
	buffer_store_dword v1, off, s[0:3], s33 offset:104
	;; [unrolled: 1-line block ×4, first 2 shown]
	v_mov_b32_e32 v0, v64
	v_mov_b32_e32 v1, s15
	;; [unrolled: 1-line block ×4, first 2 shown]
	s_swappc_b64 s[30:31], s[20:21]
	; sched_group_barrier mask(0x00000008) size(16) SyncID(0)
	; sched_group_barrier mask(0x00000100) size(1) SyncID(0)
	;; [unrolled: 1-line block ×4, first 2 shown]
	; sched_barrier mask(0x00000000)
	v_mov_b32_e32 v0, s35
	v_mov_b32_e32 v1, s36
	buffer_store_dword v67, off, s[0:3], s33 offset:12
	buffer_store_dword v70, off, s[0:3], s33 offset:8
	;; [unrolled: 1-line block ×10, first 2 shown]
	s_getpc_b64 s[4:5]
	s_add_u32 s4, s4, _ZNK2ck6detail7applierIiJLi0ELi1ELi2ELi3ELi4ELi5ELi6ELi7EEEclIZNKS_11static_fordINS_8SequenceIJLi1ELi8EEEENS5_IJLi0ELi1EEEEEclIZZZNKS_52BlockwiseGemmXdlops_pipeline_bpreshuffle_bdequant_v3ILNS_26BlockGemmPipelineSchedulerE0ELi256ENS_9f8_fnuz_tENS_7pk_i4_tESC_fNS_16TensorDescriptorINS_5TupleIJNS_5EmbedINSF_IJNS_17integral_constantIiLi8EEENSH_IiLi256EEENSH_IiLi16EEEEEENSF_IJSK_NSH_IiLi128EEENSH_IiLi1EEEEEELb0EEENS_3XorINSF_IJSJ_SI_EEELb1EEENS_11PassThroughISK_EENS_7UnMergeINSF_IJSI_SN_EEELb0EEENST_ISJ_EESU_NST_ISI_EENS_21Merge_v3_division_modINSF_IJSJ_SN_EEEEESU_EEENSF_IJNS5_IJLi0EEEENS5_IJLi2ELi1EEEENS5_IJLi3EEEENS5_IJLi5EEEENS5_IJLi4EEEENS5_IJLi6EEEENS5_IJLi7EEEENS5_IJLi9ELi8EEEENS5_IJLi10EEEEEEENSF_IJNS5_IJLi1ELi2ELi3EEEENS5_IJLi4ELi5EEEES19_NS5_IJLi7ELi8EEEENS5_IJLi9EEEES1C_NS5_IJLi11EEEENS5_IJLi12EEEENS5_IJLi13EEEEEEENS5_IJLi11ELi12ELi13EEEENSH_IlLl32768EEEEENSE_INSF_IJNSV_INSF_IJSI_SN_SN_NSH_IiLi32EEEEEELb0EEEEEENSF_IJS14_EEENSF_IJNS5_IJLi1ELi2ELi3ELi4EEEEEEES1U_NSH_IlLl256EEEEENSE_INSF_IJSP_SS_SU_SX_SY_SU_SZ_S12_SU_NS10_INSF_IJSI_SK_EEEEENSV_INSF_IJSI_NSH_IiLi2EEESK_EEELb0EEEEEENSF_IJS14_S15_S16_S17_S18_S19_S1A_S1B_S1C_NS5_IJLi11ELi13EEEES1J_EEENSF_IJS1E_S1F_S19_S1G_S1H_S1C_S1I_S1J_S1K_NS5_IJLi14EEEENS5_IJLi15ELi16ELi17EEEEEEENS5_IJLi15ELi16ELi17ELi14EEEES1N_EENSE_INSF_IJS1R_NS10_ISW_EES22_EEENSF_IJS14_NS5_IJLi1ELi3EEEENS5_IJLi2EEEEEEENSF_IJS1U_S17_NS5_IJLi6ELi7ELi8EEEEEEENS5_IJLi6ELi7ELi8ELi5EEEES1W_EELi16ELi32ELi256ELi256ELi128ELi16ELi16ELi8ELi8ELi32ELb0EE3RunILb1ELNS_10TailNumberE1ENSE_INSF_IJNSG_INSF_IJiiEEENSF_IJiSN_EEELb0EEENSV_IS2N_Lb0EEENST_IiEEEEENSF_IJS14_S2E_NS5_IJLi1EEEEEEENSF_IJNS5_IJLi1ELi2EEEENS5_IJLi3ELi4EEEES17_EEENS5_IJLi3ELi5ELi4EEEElEES1O_NS_35ThreadGroupTensorSliceTransfer_v4r1INS_15ThisThreadBlockILi256EEENS_16tensor_operation12element_wise11PassThroughES35_LNS_25InMemoryDataOperationEnumE0ENS5_IJLi8ELi256ELi16EEEENS5_IJLi8ELi32ELi1EEEENS5_IJLi1ELi0ELi2EEEESC_SC_RKS2Z_KS1O_S39_NS5_IJLi0ELi1ELi2EEEELi2ELi2ELi16ELi16ELi1ELi1ELb0ELb1ELi2EiEENS_13DynamicBufferILNS_16AddressSpaceEnumE1EKSC_lLb1ELNS_22AmdBufferCoherenceEnumE0EiEENSF_IJNS3F_ILS3G_2ESC_S1N_Lb1ELS3I_0EiEES3K_EEENSF_IJiiiEEENSE_INSF_IJNSG_INSF_IJiiiiEEENSF_IJiiiSN_EEELb0EEEEEES1T_S1V_S1U_lEENS_32ThreadwiseTensorSliceTransfer_v2ISD_SD_RKS3R_KS1X_NS5_IJLi8ELi1ELi1ELi32EEEENS5_IJLi1ELi2ELi0ELi3EEEELi3ELi32ELi0ELb1ELb0ELb0EEENS3F_ILS3G_1EKSD_lLb1ELS3I_0EiEENSF_IJNS_12StaticBufferILS3G_4ESD_Li256ELb1EEES42_EEES3N_NS_25StaticBufferTupleOfVectorILS3G_4EfLi64ELi4ELb1ELb0EEEEEvRKT1_RKT2_RT3_RKT4_RT5_RKT6_RKT7_RT8_RKT9_RT10_RKT11_RT12_iENKUlT_T0_E_clISN_NSH_IiLi0EEEEEDaS51_S52_ENKUlS51_E_clINSH_IiLi5EEEEEDaS51_EUlS51_E_EEvS51_EUlS51_E_EEvS51_@rel32@lo+4
	s_addc_u32 s5, s5, _ZNK2ck6detail7applierIiJLi0ELi1ELi2ELi3ELi4ELi5ELi6ELi7EEEclIZNKS_11static_fordINS_8SequenceIJLi1ELi8EEEENS5_IJLi0ELi1EEEEEclIZZZNKS_52BlockwiseGemmXdlops_pipeline_bpreshuffle_bdequant_v3ILNS_26BlockGemmPipelineSchedulerE0ELi256ENS_9f8_fnuz_tENS_7pk_i4_tESC_fNS_16TensorDescriptorINS_5TupleIJNS_5EmbedINSF_IJNS_17integral_constantIiLi8EEENSH_IiLi256EEENSH_IiLi16EEEEEENSF_IJSK_NSH_IiLi128EEENSH_IiLi1EEEEEELb0EEENS_3XorINSF_IJSJ_SI_EEELb1EEENS_11PassThroughISK_EENS_7UnMergeINSF_IJSI_SN_EEELb0EEENST_ISJ_EESU_NST_ISI_EENS_21Merge_v3_division_modINSF_IJSJ_SN_EEEEESU_EEENSF_IJNS5_IJLi0EEEENS5_IJLi2ELi1EEEENS5_IJLi3EEEENS5_IJLi5EEEENS5_IJLi4EEEENS5_IJLi6EEEENS5_IJLi7EEEENS5_IJLi9ELi8EEEENS5_IJLi10EEEEEEENSF_IJNS5_IJLi1ELi2ELi3EEEENS5_IJLi4ELi5EEEES19_NS5_IJLi7ELi8EEEENS5_IJLi9EEEES1C_NS5_IJLi11EEEENS5_IJLi12EEEENS5_IJLi13EEEEEEENS5_IJLi11ELi12ELi13EEEENSH_IlLl32768EEEEENSE_INSF_IJNSV_INSF_IJSI_SN_SN_NSH_IiLi32EEEEEELb0EEEEEENSF_IJS14_EEENSF_IJNS5_IJLi1ELi2ELi3ELi4EEEEEEES1U_NSH_IlLl256EEEEENSE_INSF_IJSP_SS_SU_SX_SY_SU_SZ_S12_SU_NS10_INSF_IJSI_SK_EEEEENSV_INSF_IJSI_NSH_IiLi2EEESK_EEELb0EEEEEENSF_IJS14_S15_S16_S17_S18_S19_S1A_S1B_S1C_NS5_IJLi11ELi13EEEES1J_EEENSF_IJS1E_S1F_S19_S1G_S1H_S1C_S1I_S1J_S1K_NS5_IJLi14EEEENS5_IJLi15ELi16ELi17EEEEEEENS5_IJLi15ELi16ELi17ELi14EEEES1N_EENSE_INSF_IJS1R_NS10_ISW_EES22_EEENSF_IJS14_NS5_IJLi1ELi3EEEENS5_IJLi2EEEEEEENSF_IJS1U_S17_NS5_IJLi6ELi7ELi8EEEEEEENS5_IJLi6ELi7ELi8ELi5EEEES1W_EELi16ELi32ELi256ELi256ELi128ELi16ELi16ELi8ELi8ELi32ELb0EE3RunILb1ELNS_10TailNumberE1ENSE_INSF_IJNSG_INSF_IJiiEEENSF_IJiSN_EEELb0EEENSV_IS2N_Lb0EEENST_IiEEEEENSF_IJS14_S2E_NS5_IJLi1EEEEEEENSF_IJNS5_IJLi1ELi2EEEENS5_IJLi3ELi4EEEES17_EEENS5_IJLi3ELi5ELi4EEEElEES1O_NS_35ThreadGroupTensorSliceTransfer_v4r1INS_15ThisThreadBlockILi256EEENS_16tensor_operation12element_wise11PassThroughES35_LNS_25InMemoryDataOperationEnumE0ENS5_IJLi8ELi256ELi16EEEENS5_IJLi8ELi32ELi1EEEENS5_IJLi1ELi0ELi2EEEESC_SC_RKS2Z_KS1O_S39_NS5_IJLi0ELi1ELi2EEEELi2ELi2ELi16ELi16ELi1ELi1ELb0ELb1ELi2EiEENS_13DynamicBufferILNS_16AddressSpaceEnumE1EKSC_lLb1ELNS_22AmdBufferCoherenceEnumE0EiEENSF_IJNS3F_ILS3G_2ESC_S1N_Lb1ELS3I_0EiEES3K_EEENSF_IJiiiEEENSE_INSF_IJNSG_INSF_IJiiiiEEENSF_IJiiiSN_EEELb0EEEEEES1T_S1V_S1U_lEENS_32ThreadwiseTensorSliceTransfer_v2ISD_SD_RKS3R_KS1X_NS5_IJLi8ELi1ELi1ELi32EEEENS5_IJLi1ELi2ELi0ELi3EEEELi3ELi32ELi0ELb1ELb0ELb0EEENS3F_ILS3G_1EKSD_lLb1ELS3I_0EiEENSF_IJNS_12StaticBufferILS3G_4ESD_Li256ELb1EEES42_EEES3N_NS_25StaticBufferTupleOfVectorILS3G_4EfLi64ELi4ELb1ELb0EEEEEvRKT1_RKT2_RT3_RKT4_RT5_RKT6_RKT7_RT8_RKT9_RT10_RKT11_RT12_iENKUlT_T0_E_clISN_NSH_IiLi0EEEEEDaS51_S52_ENKUlS51_E_clINSH_IiLi5EEEEEDaS51_EUlS51_E_EEvS51_EUlS51_E_EEvS51_@rel32@hi+12
	s_swappc_b64 s[30:31], s[4:5]
	flat_load_dwordx2 v[12:13], v[30:31] offset:1148
	flat_load_dwordx2 v[14:15], v[30:31] offset:1164
	flat_load_dwordx4 v[0:3], v[30:31] offset:1176
	flat_load_dwordx3 v[8:10], v[30:31] offset:1132
	flat_load_dwordx2 v[16:17], v[28:29] offset:16
	s_waitcnt vmcnt(0) lgkmcnt(0)
	v_sub_u32_e32 v4, v12, v15
	v_add3_u32 v1, v4, v1, s45
	v_ashrrev_i32_e32 v4, 31, v1
	v_lshrrev_b32_e32 v4, 29, v4
	v_add_u32_e32 v4, v1, v4
	v_and_b32_e32 v4, -8, v4
	v_sub_u32_e32 v5, v13, v14
	v_sub_u32_e32 v6, v1, v10
	;; [unrolled: 1-line block ×3, first 2 shown]
	v_xor_b32_e32 v4, v1, v5
	v_sub_u32_e32 v4, v4, v9
	v_lshlrev_b32_e32 v10, 7, v6
	v_lshlrev_b32_e32 v4, 4, v4
	v_add3_u32 v4, v10, v8, v4
	v_ashrrev_i32_e32 v5, 31, v4
	v_add_co_u32_e32 v4, vcc, v16, v4
	v_addc_co_u32_e32 v5, vcc, v17, v5, vcc
	flat_load_dwordx4 v[4:7], v[4:5]
	v_add_u32_e32 v3, 16, v3
	v_sub_u32_e32 v2, v8, v2
	v_ashrrev_i32_e32 v8, 31, v3
	v_lshrrev_b32_e32 v8, 28, v8
	v_add_u32_e32 v0, v14, v0
	v_add_u32_e32 v8, v3, v8
	v_sub_u32_e32 v0, v13, v0
	v_lshrrev_b32_e32 v11, 4, v8
	v_add_u32_e32 v0, v0, v11
	v_xor_b32_e32 v0, v0, v1
	v_and_b32_e32 v8, -16, v8
	v_sub_u32_e32 v0, v0, v9
	v_add_u32_e32 v2, v2, v10
	v_sub_u32_e32 v3, v3, v8
	v_lshlrev_b32_e32 v0, 4, v0
	v_add3_u32 v0, v2, v3, v0
	v_ashrrev_i32_e32 v1, 31, v0
	v_add_co_u32_e32 v0, vcc, v16, v0
	v_addc_co_u32_e32 v1, vcc, v17, v1, vcc
	s_waitcnt vmcnt(0) lgkmcnt(0)
	buffer_store_dword v4, off, s[0:3], s33 offset:52
	buffer_store_dword v5, off, s[0:3], s33 offset:56
	;; [unrolled: 1-line block ×4, first 2 shown]
	flat_load_dwordx4 v[0:3], v[0:1]
	s_waitcnt vmcnt(0) lgkmcnt(0)
	buffer_store_dword v0, off, s[0:3], s33 offset:68
	buffer_store_dword v1, off, s[0:3], s33 offset:72
	;; [unrolled: 1-line block ×4, first 2 shown]
	v_mov_b32_e32 v0, v64
	v_mov_b32_e32 v1, s15
	;; [unrolled: 1-line block ×4, first 2 shown]
	s_swappc_b64 s[30:31], s[20:21]
	; sched_group_barrier mask(0x00000008) size(16) SyncID(0)
	; sched_group_barrier mask(0x00000100) size(1) SyncID(0)
	;; [unrolled: 1-line block ×4, first 2 shown]
	; sched_barrier mask(0x00000000)
	v_mov_b32_e32 v0, s35
	v_mov_b32_e32 v1, s36
	buffer_store_dword v67, off, s[0:3], s33 offset:12
	buffer_store_dword v70, off, s[0:3], s33 offset:8
	;; [unrolled: 1-line block ×10, first 2 shown]
	s_getpc_b64 s[4:5]
	s_add_u32 s4, s4, _ZNK2ck6detail7applierIiJLi0ELi1ELi2ELi3ELi4ELi5ELi6ELi7EEEclIZNKS_11static_fordINS_8SequenceIJLi1ELi8EEEENS5_IJLi0ELi1EEEEEclIZZZNKS_52BlockwiseGemmXdlops_pipeline_bpreshuffle_bdequant_v3ILNS_26BlockGemmPipelineSchedulerE0ELi256ENS_9f8_fnuz_tENS_7pk_i4_tESC_fNS_16TensorDescriptorINS_5TupleIJNS_5EmbedINSF_IJNS_17integral_constantIiLi8EEENSH_IiLi256EEENSH_IiLi16EEEEEENSF_IJSK_NSH_IiLi128EEENSH_IiLi1EEEEEELb0EEENS_3XorINSF_IJSJ_SI_EEELb1EEENS_11PassThroughISK_EENS_7UnMergeINSF_IJSI_SN_EEELb0EEENST_ISJ_EESU_NST_ISI_EENS_21Merge_v3_division_modINSF_IJSJ_SN_EEEEESU_EEENSF_IJNS5_IJLi0EEEENS5_IJLi2ELi1EEEENS5_IJLi3EEEENS5_IJLi5EEEENS5_IJLi4EEEENS5_IJLi6EEEENS5_IJLi7EEEENS5_IJLi9ELi8EEEENS5_IJLi10EEEEEEENSF_IJNS5_IJLi1ELi2ELi3EEEENS5_IJLi4ELi5EEEES19_NS5_IJLi7ELi8EEEENS5_IJLi9EEEES1C_NS5_IJLi11EEEENS5_IJLi12EEEENS5_IJLi13EEEEEEENS5_IJLi11ELi12ELi13EEEENSH_IlLl32768EEEEENSE_INSF_IJNSV_INSF_IJSI_SN_SN_NSH_IiLi32EEEEEELb0EEEEEENSF_IJS14_EEENSF_IJNS5_IJLi1ELi2ELi3ELi4EEEEEEES1U_NSH_IlLl256EEEEENSE_INSF_IJSP_SS_SU_SX_SY_SU_SZ_S12_SU_NS10_INSF_IJSI_SK_EEEEENSV_INSF_IJSI_NSH_IiLi2EEESK_EEELb0EEEEEENSF_IJS14_S15_S16_S17_S18_S19_S1A_S1B_S1C_NS5_IJLi11ELi13EEEES1J_EEENSF_IJS1E_S1F_S19_S1G_S1H_S1C_S1I_S1J_S1K_NS5_IJLi14EEEENS5_IJLi15ELi16ELi17EEEEEEENS5_IJLi15ELi16ELi17ELi14EEEES1N_EENSE_INSF_IJS1R_NS10_ISW_EES22_EEENSF_IJS14_NS5_IJLi1ELi3EEEENS5_IJLi2EEEEEEENSF_IJS1U_S17_NS5_IJLi6ELi7ELi8EEEEEEENS5_IJLi6ELi7ELi8ELi5EEEES1W_EELi16ELi32ELi256ELi256ELi128ELi16ELi16ELi8ELi8ELi32ELb0EE3RunILb1ELNS_10TailNumberE1ENSE_INSF_IJNSG_INSF_IJiiEEENSF_IJiSN_EEELb0EEENSV_IS2N_Lb0EEENST_IiEEEEENSF_IJS14_S2E_NS5_IJLi1EEEEEEENSF_IJNS5_IJLi1ELi2EEEENS5_IJLi3ELi4EEEES17_EEENS5_IJLi3ELi5ELi4EEEElEES1O_NS_35ThreadGroupTensorSliceTransfer_v4r1INS_15ThisThreadBlockILi256EEENS_16tensor_operation12element_wise11PassThroughES35_LNS_25InMemoryDataOperationEnumE0ENS5_IJLi8ELi256ELi16EEEENS5_IJLi8ELi32ELi1EEEENS5_IJLi1ELi0ELi2EEEESC_SC_RKS2Z_KS1O_S39_NS5_IJLi0ELi1ELi2EEEELi2ELi2ELi16ELi16ELi1ELi1ELb0ELb1ELi2EiEENS_13DynamicBufferILNS_16AddressSpaceEnumE1EKSC_lLb1ELNS_22AmdBufferCoherenceEnumE0EiEENSF_IJNS3F_ILS3G_2ESC_S1N_Lb1ELS3I_0EiEES3K_EEENSF_IJiiiEEENSE_INSF_IJNSG_INSF_IJiiiiEEENSF_IJiiiSN_EEELb0EEEEEES1T_S1V_S1U_lEENS_32ThreadwiseTensorSliceTransfer_v2ISD_SD_RKS3R_KS1X_NS5_IJLi8ELi1ELi1ELi32EEEENS5_IJLi1ELi2ELi0ELi3EEEELi3ELi32ELi0ELb1ELb0ELb0EEENS3F_ILS3G_1EKSD_lLb1ELS3I_0EiEENSF_IJNS_12StaticBufferILS3G_4ESD_Li256ELb1EEES42_EEES3N_NS_25StaticBufferTupleOfVectorILS3G_4EfLi64ELi4ELb1ELb0EEEEEvRKT1_RKT2_RT3_RKT4_RT5_RKT6_RKT7_RT8_RKT9_RT10_RKT11_RT12_iENKUlT_T0_E_clISN_NSH_IiLi0EEEEEDaS51_S52_ENKUlS51_E_clINSH_IiLi6EEEEEDaS51_EUlS51_E_EEvS51_EUlS51_E_EEvS51_@rel32@lo+4
	s_addc_u32 s5, s5, _ZNK2ck6detail7applierIiJLi0ELi1ELi2ELi3ELi4ELi5ELi6ELi7EEEclIZNKS_11static_fordINS_8SequenceIJLi1ELi8EEEENS5_IJLi0ELi1EEEEEclIZZZNKS_52BlockwiseGemmXdlops_pipeline_bpreshuffle_bdequant_v3ILNS_26BlockGemmPipelineSchedulerE0ELi256ENS_9f8_fnuz_tENS_7pk_i4_tESC_fNS_16TensorDescriptorINS_5TupleIJNS_5EmbedINSF_IJNS_17integral_constantIiLi8EEENSH_IiLi256EEENSH_IiLi16EEEEEENSF_IJSK_NSH_IiLi128EEENSH_IiLi1EEEEEELb0EEENS_3XorINSF_IJSJ_SI_EEELb1EEENS_11PassThroughISK_EENS_7UnMergeINSF_IJSI_SN_EEELb0EEENST_ISJ_EESU_NST_ISI_EENS_21Merge_v3_division_modINSF_IJSJ_SN_EEEEESU_EEENSF_IJNS5_IJLi0EEEENS5_IJLi2ELi1EEEENS5_IJLi3EEEENS5_IJLi5EEEENS5_IJLi4EEEENS5_IJLi6EEEENS5_IJLi7EEEENS5_IJLi9ELi8EEEENS5_IJLi10EEEEEEENSF_IJNS5_IJLi1ELi2ELi3EEEENS5_IJLi4ELi5EEEES19_NS5_IJLi7ELi8EEEENS5_IJLi9EEEES1C_NS5_IJLi11EEEENS5_IJLi12EEEENS5_IJLi13EEEEEEENS5_IJLi11ELi12ELi13EEEENSH_IlLl32768EEEEENSE_INSF_IJNSV_INSF_IJSI_SN_SN_NSH_IiLi32EEEEEELb0EEEEEENSF_IJS14_EEENSF_IJNS5_IJLi1ELi2ELi3ELi4EEEEEEES1U_NSH_IlLl256EEEEENSE_INSF_IJSP_SS_SU_SX_SY_SU_SZ_S12_SU_NS10_INSF_IJSI_SK_EEEEENSV_INSF_IJSI_NSH_IiLi2EEESK_EEELb0EEEEEENSF_IJS14_S15_S16_S17_S18_S19_S1A_S1B_S1C_NS5_IJLi11ELi13EEEES1J_EEENSF_IJS1E_S1F_S19_S1G_S1H_S1C_S1I_S1J_S1K_NS5_IJLi14EEEENS5_IJLi15ELi16ELi17EEEEEEENS5_IJLi15ELi16ELi17ELi14EEEES1N_EENSE_INSF_IJS1R_NS10_ISW_EES22_EEENSF_IJS14_NS5_IJLi1ELi3EEEENS5_IJLi2EEEEEEENSF_IJS1U_S17_NS5_IJLi6ELi7ELi8EEEEEEENS5_IJLi6ELi7ELi8ELi5EEEES1W_EELi16ELi32ELi256ELi256ELi128ELi16ELi16ELi8ELi8ELi32ELb0EE3RunILb1ELNS_10TailNumberE1ENSE_INSF_IJNSG_INSF_IJiiEEENSF_IJiSN_EEELb0EEENSV_IS2N_Lb0EEENST_IiEEEEENSF_IJS14_S2E_NS5_IJLi1EEEEEEENSF_IJNS5_IJLi1ELi2EEEENS5_IJLi3ELi4EEEES17_EEENS5_IJLi3ELi5ELi4EEEElEES1O_NS_35ThreadGroupTensorSliceTransfer_v4r1INS_15ThisThreadBlockILi256EEENS_16tensor_operation12element_wise11PassThroughES35_LNS_25InMemoryDataOperationEnumE0ENS5_IJLi8ELi256ELi16EEEENS5_IJLi8ELi32ELi1EEEENS5_IJLi1ELi0ELi2EEEESC_SC_RKS2Z_KS1O_S39_NS5_IJLi0ELi1ELi2EEEELi2ELi2ELi16ELi16ELi1ELi1ELb0ELb1ELi2EiEENS_13DynamicBufferILNS_16AddressSpaceEnumE1EKSC_lLb1ELNS_22AmdBufferCoherenceEnumE0EiEENSF_IJNS3F_ILS3G_2ESC_S1N_Lb1ELS3I_0EiEES3K_EEENSF_IJiiiEEENSE_INSF_IJNSG_INSF_IJiiiiEEENSF_IJiiiSN_EEELb0EEEEEES1T_S1V_S1U_lEENS_32ThreadwiseTensorSliceTransfer_v2ISD_SD_RKS3R_KS1X_NS5_IJLi8ELi1ELi1ELi32EEEENS5_IJLi1ELi2ELi0ELi3EEEELi3ELi32ELi0ELb1ELb0ELb0EEENS3F_ILS3G_1EKSD_lLb1ELS3I_0EiEENSF_IJNS_12StaticBufferILS3G_4ESD_Li256ELb1EEES42_EEES3N_NS_25StaticBufferTupleOfVectorILS3G_4EfLi64ELi4ELb1ELb0EEEEEvRKT1_RKT2_RT3_RKT4_RT5_RKT6_RKT7_RT8_RKT9_RT10_RKT11_RT12_iENKUlT_T0_E_clISN_NSH_IiLi0EEEEEDaS51_S52_ENKUlS51_E_clINSH_IiLi6EEEEEDaS51_EUlS51_E_EEvS51_EUlS51_E_EEvS51_@rel32@hi+12
	s_swappc_b64 s[30:31], s[4:5]
	flat_load_dwordx2 v[12:13], v[30:31] offset:1148
	flat_load_dwordx2 v[14:15], v[30:31] offset:1164
	flat_load_dwordx4 v[0:3], v[30:31] offset:1176
	flat_load_dwordx3 v[8:10], v[30:31] offset:1132
	flat_load_dwordx2 v[16:17], v[28:29] offset:16
	s_waitcnt vmcnt(0) lgkmcnt(0)
	v_sub_u32_e32 v4, v12, v15
	v_add3_u32 v1, v4, v1, s46
	v_ashrrev_i32_e32 v4, 31, v1
	v_lshrrev_b32_e32 v4, 29, v4
	v_add_u32_e32 v4, v1, v4
	v_and_b32_e32 v4, -8, v4
	v_sub_u32_e32 v5, v13, v14
	v_sub_u32_e32 v6, v1, v10
	v_sub_u32_e32 v1, v1, v4
	v_xor_b32_e32 v4, v1, v5
	v_sub_u32_e32 v4, v4, v9
	v_lshlrev_b32_e32 v10, 7, v6
	v_lshlrev_b32_e32 v4, 4, v4
	v_add3_u32 v4, v10, v8, v4
	v_ashrrev_i32_e32 v5, 31, v4
	v_add_co_u32_e32 v4, vcc, v16, v4
	v_addc_co_u32_e32 v5, vcc, v17, v5, vcc
	flat_load_dwordx4 v[4:7], v[4:5]
	v_add_u32_e32 v3, 16, v3
	v_sub_u32_e32 v2, v8, v2
	v_ashrrev_i32_e32 v8, 31, v3
	v_lshrrev_b32_e32 v8, 28, v8
	v_add_u32_e32 v0, v14, v0
	v_add_u32_e32 v8, v3, v8
	v_sub_u32_e32 v0, v13, v0
	v_lshrrev_b32_e32 v11, 4, v8
	v_add_u32_e32 v0, v0, v11
	v_xor_b32_e32 v0, v0, v1
	v_and_b32_e32 v8, -16, v8
	v_sub_u32_e32 v0, v0, v9
	v_add_u32_e32 v2, v2, v10
	v_sub_u32_e32 v3, v3, v8
	v_lshlrev_b32_e32 v0, 4, v0
	v_add3_u32 v0, v2, v3, v0
	v_ashrrev_i32_e32 v1, 31, v0
	v_add_co_u32_e32 v0, vcc, v16, v0
	v_addc_co_u32_e32 v1, vcc, v17, v1, vcc
	s_waitcnt vmcnt(0) lgkmcnt(0)
	buffer_store_dword v4, off, s[0:3], s33 offset:84
	buffer_store_dword v5, off, s[0:3], s33 offset:88
	;; [unrolled: 1-line block ×4, first 2 shown]
	flat_load_dwordx4 v[0:3], v[0:1]
	s_waitcnt vmcnt(0) lgkmcnt(0)
	buffer_store_dword v0, off, s[0:3], s33 offset:100
	buffer_store_dword v1, off, s[0:3], s33 offset:104
	;; [unrolled: 1-line block ×4, first 2 shown]
	v_mov_b32_e32 v0, v64
	v_mov_b32_e32 v1, s15
	;; [unrolled: 1-line block ×4, first 2 shown]
	s_swappc_b64 s[30:31], s[20:21]
	; sched_group_barrier mask(0x00000008) size(16) SyncID(0)
	; sched_group_barrier mask(0x00000100) size(1) SyncID(0)
	;; [unrolled: 1-line block ×4, first 2 shown]
	; sched_barrier mask(0x00000000)
	v_mov_b32_e32 v0, s35
	v_mov_b32_e32 v1, s36
	buffer_store_dword v67, off, s[0:3], s33 offset:12
	buffer_store_dword v70, off, s[0:3], s33 offset:8
	;; [unrolled: 1-line block ×10, first 2 shown]
	s_getpc_b64 s[4:5]
	s_add_u32 s4, s4, _ZNK2ck6detail7applierIiJLi0ELi1ELi2ELi3ELi4ELi5ELi6ELi7EEEclIZNKS_11static_fordINS_8SequenceIJLi1ELi8EEEENS5_IJLi0ELi1EEEEEclIZZZNKS_52BlockwiseGemmXdlops_pipeline_bpreshuffle_bdequant_v3ILNS_26BlockGemmPipelineSchedulerE0ELi256ENS_9f8_fnuz_tENS_7pk_i4_tESC_fNS_16TensorDescriptorINS_5TupleIJNS_5EmbedINSF_IJNS_17integral_constantIiLi8EEENSH_IiLi256EEENSH_IiLi16EEEEEENSF_IJSK_NSH_IiLi128EEENSH_IiLi1EEEEEELb0EEENS_3XorINSF_IJSJ_SI_EEELb1EEENS_11PassThroughISK_EENS_7UnMergeINSF_IJSI_SN_EEELb0EEENST_ISJ_EESU_NST_ISI_EENS_21Merge_v3_division_modINSF_IJSJ_SN_EEEEESU_EEENSF_IJNS5_IJLi0EEEENS5_IJLi2ELi1EEEENS5_IJLi3EEEENS5_IJLi5EEEENS5_IJLi4EEEENS5_IJLi6EEEENS5_IJLi7EEEENS5_IJLi9ELi8EEEENS5_IJLi10EEEEEEENSF_IJNS5_IJLi1ELi2ELi3EEEENS5_IJLi4ELi5EEEES19_NS5_IJLi7ELi8EEEENS5_IJLi9EEEES1C_NS5_IJLi11EEEENS5_IJLi12EEEENS5_IJLi13EEEEEEENS5_IJLi11ELi12ELi13EEEENSH_IlLl32768EEEEENSE_INSF_IJNSV_INSF_IJSI_SN_SN_NSH_IiLi32EEEEEELb0EEEEEENSF_IJS14_EEENSF_IJNS5_IJLi1ELi2ELi3ELi4EEEEEEES1U_NSH_IlLl256EEEEENSE_INSF_IJSP_SS_SU_SX_SY_SU_SZ_S12_SU_NS10_INSF_IJSI_SK_EEEEENSV_INSF_IJSI_NSH_IiLi2EEESK_EEELb0EEEEEENSF_IJS14_S15_S16_S17_S18_S19_S1A_S1B_S1C_NS5_IJLi11ELi13EEEES1J_EEENSF_IJS1E_S1F_S19_S1G_S1H_S1C_S1I_S1J_S1K_NS5_IJLi14EEEENS5_IJLi15ELi16ELi17EEEEEEENS5_IJLi15ELi16ELi17ELi14EEEES1N_EENSE_INSF_IJS1R_NS10_ISW_EES22_EEENSF_IJS14_NS5_IJLi1ELi3EEEENS5_IJLi2EEEEEEENSF_IJS1U_S17_NS5_IJLi6ELi7ELi8EEEEEEENS5_IJLi6ELi7ELi8ELi5EEEES1W_EELi16ELi32ELi256ELi256ELi128ELi16ELi16ELi8ELi8ELi32ELb0EE3RunILb1ELNS_10TailNumberE1ENSE_INSF_IJNSG_INSF_IJiiEEENSF_IJiSN_EEELb0EEENSV_IS2N_Lb0EEENST_IiEEEEENSF_IJS14_S2E_NS5_IJLi1EEEEEEENSF_IJNS5_IJLi1ELi2EEEENS5_IJLi3ELi4EEEES17_EEENS5_IJLi3ELi5ELi4EEEElEES1O_NS_35ThreadGroupTensorSliceTransfer_v4r1INS_15ThisThreadBlockILi256EEENS_16tensor_operation12element_wise11PassThroughES35_LNS_25InMemoryDataOperationEnumE0ENS5_IJLi8ELi256ELi16EEEENS5_IJLi8ELi32ELi1EEEENS5_IJLi1ELi0ELi2EEEESC_SC_RKS2Z_KS1O_S39_NS5_IJLi0ELi1ELi2EEEELi2ELi2ELi16ELi16ELi1ELi1ELb0ELb1ELi2EiEENS_13DynamicBufferILNS_16AddressSpaceEnumE1EKSC_lLb1ELNS_22AmdBufferCoherenceEnumE0EiEENSF_IJNS3F_ILS3G_2ESC_S1N_Lb1ELS3I_0EiEES3K_EEENSF_IJiiiEEENSE_INSF_IJNSG_INSF_IJiiiiEEENSF_IJiiiSN_EEELb0EEEEEES1T_S1V_S1U_lEENS_32ThreadwiseTensorSliceTransfer_v2ISD_SD_RKS3R_KS1X_NS5_IJLi8ELi1ELi1ELi32EEEENS5_IJLi1ELi2ELi0ELi3EEEELi3ELi32ELi0ELb1ELb0ELb0EEENS3F_ILS3G_1EKSD_lLb1ELS3I_0EiEENSF_IJNS_12StaticBufferILS3G_4ESD_Li256ELb1EEES42_EEES3N_NS_25StaticBufferTupleOfVectorILS3G_4EfLi64ELi4ELb1ELb0EEEEEvRKT1_RKT2_RT3_RKT4_RT5_RKT6_RKT7_RT8_RKT9_RT10_RKT11_RT12_iENKUlT_T0_E_clISN_NSH_IiLi0EEEEEDaS51_S52_ENKUlS51_E_clINSH_IiLi7EEEEEDaS51_EUlS51_E_EEvS51_EUlS51_E_EEvS51_@rel32@lo+4
	s_addc_u32 s5, s5, _ZNK2ck6detail7applierIiJLi0ELi1ELi2ELi3ELi4ELi5ELi6ELi7EEEclIZNKS_11static_fordINS_8SequenceIJLi1ELi8EEEENS5_IJLi0ELi1EEEEEclIZZZNKS_52BlockwiseGemmXdlops_pipeline_bpreshuffle_bdequant_v3ILNS_26BlockGemmPipelineSchedulerE0ELi256ENS_9f8_fnuz_tENS_7pk_i4_tESC_fNS_16TensorDescriptorINS_5TupleIJNS_5EmbedINSF_IJNS_17integral_constantIiLi8EEENSH_IiLi256EEENSH_IiLi16EEEEEENSF_IJSK_NSH_IiLi128EEENSH_IiLi1EEEEEELb0EEENS_3XorINSF_IJSJ_SI_EEELb1EEENS_11PassThroughISK_EENS_7UnMergeINSF_IJSI_SN_EEELb0EEENST_ISJ_EESU_NST_ISI_EENS_21Merge_v3_division_modINSF_IJSJ_SN_EEEEESU_EEENSF_IJNS5_IJLi0EEEENS5_IJLi2ELi1EEEENS5_IJLi3EEEENS5_IJLi5EEEENS5_IJLi4EEEENS5_IJLi6EEEENS5_IJLi7EEEENS5_IJLi9ELi8EEEENS5_IJLi10EEEEEEENSF_IJNS5_IJLi1ELi2ELi3EEEENS5_IJLi4ELi5EEEES19_NS5_IJLi7ELi8EEEENS5_IJLi9EEEES1C_NS5_IJLi11EEEENS5_IJLi12EEEENS5_IJLi13EEEEEEENS5_IJLi11ELi12ELi13EEEENSH_IlLl32768EEEEENSE_INSF_IJNSV_INSF_IJSI_SN_SN_NSH_IiLi32EEEEEELb0EEEEEENSF_IJS14_EEENSF_IJNS5_IJLi1ELi2ELi3ELi4EEEEEEES1U_NSH_IlLl256EEEEENSE_INSF_IJSP_SS_SU_SX_SY_SU_SZ_S12_SU_NS10_INSF_IJSI_SK_EEEEENSV_INSF_IJSI_NSH_IiLi2EEESK_EEELb0EEEEEENSF_IJS14_S15_S16_S17_S18_S19_S1A_S1B_S1C_NS5_IJLi11ELi13EEEES1J_EEENSF_IJS1E_S1F_S19_S1G_S1H_S1C_S1I_S1J_S1K_NS5_IJLi14EEEENS5_IJLi15ELi16ELi17EEEEEEENS5_IJLi15ELi16ELi17ELi14EEEES1N_EENSE_INSF_IJS1R_NS10_ISW_EES22_EEENSF_IJS14_NS5_IJLi1ELi3EEEENS5_IJLi2EEEEEEENSF_IJS1U_S17_NS5_IJLi6ELi7ELi8EEEEEEENS5_IJLi6ELi7ELi8ELi5EEEES1W_EELi16ELi32ELi256ELi256ELi128ELi16ELi16ELi8ELi8ELi32ELb0EE3RunILb1ELNS_10TailNumberE1ENSE_INSF_IJNSG_INSF_IJiiEEENSF_IJiSN_EEELb0EEENSV_IS2N_Lb0EEENST_IiEEEEENSF_IJS14_S2E_NS5_IJLi1EEEEEEENSF_IJNS5_IJLi1ELi2EEEENS5_IJLi3ELi4EEEES17_EEENS5_IJLi3ELi5ELi4EEEElEES1O_NS_35ThreadGroupTensorSliceTransfer_v4r1INS_15ThisThreadBlockILi256EEENS_16tensor_operation12element_wise11PassThroughES35_LNS_25InMemoryDataOperationEnumE0ENS5_IJLi8ELi256ELi16EEEENS5_IJLi8ELi32ELi1EEEENS5_IJLi1ELi0ELi2EEEESC_SC_RKS2Z_KS1O_S39_NS5_IJLi0ELi1ELi2EEEELi2ELi2ELi16ELi16ELi1ELi1ELb0ELb1ELi2EiEENS_13DynamicBufferILNS_16AddressSpaceEnumE1EKSC_lLb1ELNS_22AmdBufferCoherenceEnumE0EiEENSF_IJNS3F_ILS3G_2ESC_S1N_Lb1ELS3I_0EiEES3K_EEENSF_IJiiiEEENSE_INSF_IJNSG_INSF_IJiiiiEEENSF_IJiiiSN_EEELb0EEEEEES1T_S1V_S1U_lEENS_32ThreadwiseTensorSliceTransfer_v2ISD_SD_RKS3R_KS1X_NS5_IJLi8ELi1ELi1ELi32EEEENS5_IJLi1ELi2ELi0ELi3EEEELi3ELi32ELi0ELb1ELb0ELb0EEENS3F_ILS3G_1EKSD_lLb1ELS3I_0EiEENSF_IJNS_12StaticBufferILS3G_4ESD_Li256ELb1EEES42_EEES3N_NS_25StaticBufferTupleOfVectorILS3G_4EfLi64ELi4ELb1ELb0EEEEEvRKT1_RKT2_RT3_RKT4_RT5_RKT6_RKT7_RT8_RKT9_RT10_RKT11_RT12_iENKUlT_T0_E_clISN_NSH_IiLi0EEEEEDaS51_S52_ENKUlS51_E_clINSH_IiLi7EEEEEDaS51_EUlS51_E_EEvS51_EUlS51_E_EEvS51_@rel32@hi+12
	s_swappc_b64 s[30:31], s[4:5]
	s_waitcnt lgkmcnt(0)
	s_barrier
	flat_load_dwordx3 v[4:6], v[30:31] offset:1132
	flat_load_dwordx2 v[8:9], v[28:29]
	flat_load_dwordx2 v[10:11], v[30:31] offset:1184
	flat_load_dwordx2 v[12:13], v[30:31] offset:1148
	flat_load_dword v7, v[30:31] offset:1176
	s_waitcnt vmcnt(0) lgkmcnt(0)
	v_ashrrev_i32_e32 v1, 31, v4
	v_add_co_u32_e32 v0, vcc, v8, v4
	v_addc_co_u32_e32 v1, vcc, v9, v1, vcc
	flat_load_dwordx4 v[0:3], v[0:1]
	v_add_u32_e32 v11, 16, v11
	v_sub_u32_e32 v7, v13, v7
	v_ashrrev_i32_e32 v13, 31, v12
	v_sub_u32_e32 v6, v12, v6
	v_ashrrev_i32_e32 v14, 31, v11
	v_lshrrev_b32_e32 v13, 29, v13
	v_lshl_add_u32 v4, v6, 7, v4
	v_lshrrev_b32_e32 v6, 28, v14
	v_add_u32_e32 v13, v12, v13
	v_add_u32_e32 v6, v11, v6
	v_sub_u32_e32 v4, v4, v10
	v_and_b32_e32 v10, 0xffffff8, v13
	v_lshrrev_b32_e32 v13, 4, v6
	v_sub_u32_e32 v10, v12, v10
	v_add_u32_e32 v7, v7, v13
	v_xor_b32_e32 v7, v7, v10
	v_and_b32_e32 v6, -16, v6
	v_sub_u32_e32 v5, v7, v5
	v_sub_u32_e32 v6, v11, v6
	v_lshlrev_b32_e32 v5, 4, v5
	v_add3_u32 v4, v4, v6, v5
	v_ashrrev_i32_e32 v5, 31, v4
	v_add_co_u32_e32 v4, vcc, v8, v4
	v_addc_co_u32_e32 v5, vcc, v9, v5, vcc
	s_waitcnt vmcnt(0) lgkmcnt(0)
	buffer_store_dword v0, off, s[0:3], s33 offset:52
	buffer_store_dword v1, off, s[0:3], s33 offset:56
	;; [unrolled: 1-line block ×4, first 2 shown]
	flat_load_dwordx4 v[0:3], v[4:5]
	s_waitcnt vmcnt(0) lgkmcnt(0)
	buffer_store_dword v0, off, s[0:3], s33 offset:68
	buffer_store_dword v1, off, s[0:3], s33 offset:72
	;; [unrolled: 1-line block ×4, first 2 shown]
	v_mov_b32_e32 v0, s24
	v_mov_b32_e32 v1, s26
	;; [unrolled: 1-line block ×4, first 2 shown]
	s_swappc_b64 s[30:31], s[20:21]
	; sched_group_barrier mask(0x00000008) size(16) SyncID(0)
	; sched_group_barrier mask(0x00000100) size(1) SyncID(0)
	; sched_group_barrier mask(0x00000008) size(16) SyncID(0)
	; sched_group_barrier mask(0x00000100) size(1) SyncID(0)
	; sched_barrier mask(0x00000000)
	s_add_i32 s16, s16, 2
	v_cmp_ge_i32_e32 vcc, s16, v68
	s_or_b64 s[18:19], vcc, s[18:19]
	s_andn2_b64 exec, exec, s[18:19]
	s_cbranch_execz .LBB60_144
.LBB60_64:                              ; =>This Loop Header: Depth=1
                                        ;     Child Loop BB60_65 Depth 2
                                        ;     Child Loop BB60_67 Depth 2
	;; [unrolled: 1-line block ×32, first 2 shown]
	flat_load_dwordx3 v[8:10], v[34:35]
	flat_load_dwordx4 v[0:3], v[38:39]
	s_mov_b64 s[6:7], exec
	s_waitcnt vmcnt(0) lgkmcnt(0)
	v_lshrrev_b32_e32 v4, 31, v8
	v_lshrrev_b32_e32 v5, 31, v3
	v_add_co_u32_e32 v2, vcc, v2, v5
	v_add_u32_e32 v4, v8, v4
	v_addc_co_u32_e32 v5, vcc, 0, v3, vcc
	v_mov_b32_e32 v3, s37
	v_ashrrev_i32_e32 v11, 1, v4
	v_alignbit_b32 v2, v5, v2, 1
.LBB60_65:                              ;   Parent Loop BB60_64 Depth=1
                                        ; =>  This Inner Loop Header: Depth=2
	v_readfirstlane_b32 s8, v0
	v_readfirstlane_b32 s9, v1
	v_readfirstlane_b32 s10, v2
	v_readfirstlane_b32 s11, v3
	v_cmp_eq_u64_e32 vcc, s[8:9], v[0:1]
	v_cmp_eq_u64_e64 s[4:5], s[10:11], v[2:3]
	s_and_b64 s[4:5], vcc, s[4:5]
	s_and_saveexec_b64 s[4:5], s[4:5]
	s_nop 0
	buffer_load_dwordx4 v[4:7], v11, s[8:11], 0 offen
                                        ; implicit-def: $vgpr11
	s_xor_b64 exec, exec, s[4:5]
	s_cbranch_execnz .LBB60_65
; %bb.66:                               ;   in Loop: Header=BB60_64 Depth=1
	s_mov_b64 exec, s[6:7]
	v_add_u32_e32 v11, 1, v9
	flat_store_dword v[34:35], v11 offset:4
	flat_load_dword v11, v[36:37] offset:16
	s_waitcnt vmcnt(0)
	buffer_store_dword v7, off, s[0:3], s33 offset:384
	buffer_store_dword v6, off, s[0:3], s33 offset:380
	buffer_store_dword v5, off, s[0:3], s33 offset:376
	buffer_store_dword v4, off, s[0:3], s33 offset:372
	s_mov_b64 s[6:7], exec
	s_waitcnt lgkmcnt(0)
	v_add_u32_e32 v8, v11, v8
	v_lshrrev_b32_e32 v4, 31, v8
	v_add_u32_e32 v4, v8, v4
	v_ashrrev_i32_e32 v11, 1, v4
	flat_store_dword v[34:35], v8
.LBB60_67:                              ;   Parent Loop BB60_64 Depth=1
                                        ; =>  This Inner Loop Header: Depth=2
	v_readfirstlane_b32 s8, v0
	v_readfirstlane_b32 s9, v1
	v_readfirstlane_b32 s10, v2
	v_readfirstlane_b32 s11, v3
	v_cmp_eq_u64_e32 vcc, s[8:9], v[0:1]
	v_cmp_eq_u64_e64 s[4:5], s[10:11], v[2:3]
	s_and_b64 s[4:5], vcc, s[4:5]
	s_and_saveexec_b64 s[4:5], s[4:5]
	s_nop 0
	buffer_load_dwordx4 v[4:7], v11, s[8:11], 0 offen
                                        ; implicit-def: $vgpr11
	s_xor_b64 exec, exec, s[4:5]
	s_cbranch_execnz .LBB60_67
; %bb.68:                               ;   in Loop: Header=BB60_64 Depth=1
	s_mov_b64 exec, s[6:7]
	v_add_u32_e32 v11, 2, v9
	flat_store_dword v[34:35], v11 offset:4
	flat_load_dword v11, v[36:37] offset:16
	s_waitcnt vmcnt(0)
	buffer_store_dword v7, off, s[0:3], s33 offset:416
	buffer_store_dword v6, off, s[0:3], s33 offset:412
	buffer_store_dword v5, off, s[0:3], s33 offset:408
	buffer_store_dword v4, off, s[0:3], s33 offset:404
	s_mov_b64 s[6:7], exec
	s_waitcnt lgkmcnt(0)
	v_add_u32_e32 v8, v11, v8
	v_lshrrev_b32_e32 v4, 31, v8
	v_add_u32_e32 v4, v8, v4
	v_ashrrev_i32_e32 v11, 1, v4
	flat_store_dword v[34:35], v8
	;; [unrolled: 32-line block ×7, first 2 shown]
.LBB60_79:                              ;   Parent Loop BB60_64 Depth=1
                                        ; =>  This Inner Loop Header: Depth=2
	v_readfirstlane_b32 s8, v0
	v_readfirstlane_b32 s9, v1
	;; [unrolled: 1-line block ×4, first 2 shown]
	v_cmp_eq_u64_e32 vcc, s[8:9], v[0:1]
	v_cmp_eq_u64_e64 s[4:5], s[10:11], v[2:3]
	s_and_b64 s[4:5], vcc, s[4:5]
	s_and_saveexec_b64 s[4:5], s[4:5]
	s_nop 0
	buffer_load_dwordx4 v[4:7], v11, s[8:11], 0 offen
                                        ; implicit-def: $vgpr0_vgpr1_vgpr2_vgpr3
                                        ; implicit-def: $vgpr11
	s_xor_b64 exec, exec, s[4:5]
	s_cbranch_execnz .LBB60_79
; %bb.80:                               ;   in Loop: Header=BB60_64 Depth=1
	s_mov_b64 exec, s[6:7]
	flat_store_dword v[34:35], v9 offset:4
	flat_load_dword v0, v[36:37] offset:16
	s_waitcnt vmcnt(0) lgkmcnt(0)
	v_mad_u64_u32 v[12:13], s[4:5], v0, -7, v[8:9]
	flat_store_dword v[34:35], v12
	flat_load_dwordx4 v[0:3], v[48:49]
	flat_load_dwordx2 v[14:15], v[34:35] offset:12
	s_nop 0
	buffer_store_dword v7, off, s[0:3], s33 offset:608
	buffer_store_dword v6, off, s[0:3], s33 offset:604
	;; [unrolled: 1-line block ×4, first 2 shown]
	s_waitcnt vmcnt(0) lgkmcnt(0)
	v_or_b32_e32 v8, v1, v2
	v_or3_b32 v8, v8, v0, v3
	v_add_u32_e32 v5, v10, v1
	v_add_u32_e32 v4, v9, v0
	v_add_u32_e32 v7, v15, v3
	v_add_u32_e32 v6, v14, v2
	v_cmp_ne_u32_e32 vcc, 0, v8
	flat_store_dwordx4 v[34:35], v[4:7] offset:4
	s_and_saveexec_b64 s[4:5], vcc
	s_cbranch_execz .LBB60_82
; %bb.81:                               ;   in Loop: Header=BB60_64 Depth=1
	flat_load_dwordx3 v[4:6], v[36:37] offset:16
	s_waitcnt vmcnt(0) lgkmcnt(0)
	v_mul_lo_u32 v0, v4, v0
	v_mul_lo_u32 v2, v6, v2
	;; [unrolled: 1-line block ×3, first 2 shown]
	v_add3_u32 v0, v3, v12, v0
	v_add3_u32 v0, v0, v1, v2
	flat_store_dword v[34:35], v0
.LBB60_82:                              ;   in Loop: Header=BB60_64 Depth=1
	s_or_b64 exec, exec, s[4:5]
	v_mov_b32_e32 v65, s34
	v_mov_b32_e32 v70, s29
	;; [unrolled: 1-line block ×10, first 2 shown]
	buffer_store_dword v65, off, s[0:3], s33 offset:12
	buffer_store_dword v70, off, s[0:3], s33 offset:8
	;; [unrolled: 1-line block ×10, first 2 shown]
	s_getpc_b64 s[4:5]
	s_add_u32 s4, s4, _ZNK2ck6detail7applierIiJLi0ELi1ELi2ELi3ELi4ELi5ELi6ELi7EEEclIZNKS_11static_fordINS_8SequenceIJLi1ELi8EEEENS5_IJLi0ELi1EEEEEclIZZZNKS_52BlockwiseGemmXdlops_pipeline_bpreshuffle_bdequant_v3ILNS_26BlockGemmPipelineSchedulerE0ELi256ENS_9f8_fnuz_tENS_7pk_i4_tESC_fNS_16TensorDescriptorINS_5TupleIJNS_5EmbedINSF_IJNS_17integral_constantIiLi8EEENSH_IiLi256EEENSH_IiLi16EEEEEENSF_IJSK_NSH_IiLi128EEENSH_IiLi1EEEEEELb0EEENS_3XorINSF_IJSJ_SI_EEELb1EEENS_11PassThroughISK_EENS_7UnMergeINSF_IJSI_SN_EEELb0EEENST_ISJ_EESU_NST_ISI_EENS_21Merge_v3_division_modINSF_IJSJ_SN_EEEEESU_EEENSF_IJNS5_IJLi0EEEENS5_IJLi2ELi1EEEENS5_IJLi3EEEENS5_IJLi5EEEENS5_IJLi4EEEENS5_IJLi6EEEENS5_IJLi7EEEENS5_IJLi9ELi8EEEENS5_IJLi10EEEEEEENSF_IJNS5_IJLi1ELi2ELi3EEEENS5_IJLi4ELi5EEEES19_NS5_IJLi7ELi8EEEENS5_IJLi9EEEES1C_NS5_IJLi11EEEENS5_IJLi12EEEENS5_IJLi13EEEEEEENS5_IJLi11ELi12ELi13EEEENSH_IlLl32768EEEEENSE_INSF_IJNSV_INSF_IJSI_SN_SN_NSH_IiLi32EEEEEELb0EEEEEENSF_IJS14_EEENSF_IJNS5_IJLi1ELi2ELi3ELi4EEEEEEES1U_NSH_IlLl256EEEEENSE_INSF_IJSP_SS_SU_SX_SY_SU_SZ_S12_SU_NS10_INSF_IJSI_SK_EEEEENSV_INSF_IJSI_NSH_IiLi2EEESK_EEELb0EEEEEENSF_IJS14_S15_S16_S17_S18_S19_S1A_S1B_S1C_NS5_IJLi11ELi13EEEES1J_EEENSF_IJS1E_S1F_S19_S1G_S1H_S1C_S1I_S1J_S1K_NS5_IJLi14EEEENS5_IJLi15ELi16ELi17EEEEEEENS5_IJLi15ELi16ELi17ELi14EEEES1N_EENSE_INSF_IJS1R_NS10_ISW_EES22_EEENSF_IJS14_NS5_IJLi1ELi3EEEENS5_IJLi2EEEEEEENSF_IJS1U_S17_NS5_IJLi6ELi7ELi8EEEEEEENS5_IJLi6ELi7ELi8ELi5EEEES1W_EELi16ELi32ELi256ELi256ELi128ELi16ELi16ELi8ELi8ELi32ELb0EE3RunILb1ELNS_10TailNumberE1ENSE_INSF_IJNSG_INSF_IJiiEEENSF_IJiSN_EEELb0EEENSV_IS2N_Lb0EEENST_IiEEEEENSF_IJS14_S2E_NS5_IJLi1EEEEEEENSF_IJNS5_IJLi1ELi2EEEENS5_IJLi3ELi4EEEES17_EEENS5_IJLi3ELi5ELi4EEEElEES1O_NS_35ThreadGroupTensorSliceTransfer_v4r1INS_15ThisThreadBlockILi256EEENS_16tensor_operation12element_wise11PassThroughES35_LNS_25InMemoryDataOperationEnumE0ENS5_IJLi8ELi256ELi16EEEENS5_IJLi8ELi32ELi1EEEENS5_IJLi1ELi0ELi2EEEESC_SC_RKS2Z_KS1O_S39_NS5_IJLi0ELi1ELi2EEEELi2ELi2ELi16ELi16ELi1ELi1ELb0ELb1ELi2EiEENS_13DynamicBufferILNS_16AddressSpaceEnumE1EKSC_lLb1ELNS_22AmdBufferCoherenceEnumE0EiEENSF_IJNS3F_ILS3G_2ESC_S1N_Lb1ELS3I_0EiEES3K_EEENSF_IJiiiEEENSE_INSF_IJNSG_INSF_IJiiiiEEENSF_IJiiiSN_EEELb0EEEEEES1T_S1V_S1U_lEENS_32ThreadwiseTensorSliceTransfer_v2ISD_SD_RKS3R_KS1X_NS5_IJLi8ELi1ELi1ELi32EEEENS5_IJLi1ELi2ELi0ELi3EEEELi3ELi32ELi0ELb1ELb0ELb0EEENS3F_ILS3G_1EKSD_lLb1ELS3I_0EiEENSF_IJNS_12StaticBufferILS3G_4ESD_Li256ELb1EEES42_EEES3N_NS_25StaticBufferTupleOfVectorILS3G_4EfLi64ELi4ELb1ELb0EEEEEvRKT1_RKT2_RT3_RKT4_RT5_RKT6_RKT7_RT8_RKT9_RT10_RKT11_RT12_iENKUlT_T0_E_clINSH_IiLi0EEESN_EEDaS51_S52_ENKUlS51_E_clIS55_EEDaS51_EUlS51_E_EEvS51_EUlS51_E_EEvS51_@rel32@lo+4
	s_addc_u32 s5, s5, _ZNK2ck6detail7applierIiJLi0ELi1ELi2ELi3ELi4ELi5ELi6ELi7EEEclIZNKS_11static_fordINS_8SequenceIJLi1ELi8EEEENS5_IJLi0ELi1EEEEEclIZZZNKS_52BlockwiseGemmXdlops_pipeline_bpreshuffle_bdequant_v3ILNS_26BlockGemmPipelineSchedulerE0ELi256ENS_9f8_fnuz_tENS_7pk_i4_tESC_fNS_16TensorDescriptorINS_5TupleIJNS_5EmbedINSF_IJNS_17integral_constantIiLi8EEENSH_IiLi256EEENSH_IiLi16EEEEEENSF_IJSK_NSH_IiLi128EEENSH_IiLi1EEEEEELb0EEENS_3XorINSF_IJSJ_SI_EEELb1EEENS_11PassThroughISK_EENS_7UnMergeINSF_IJSI_SN_EEELb0EEENST_ISJ_EESU_NST_ISI_EENS_21Merge_v3_division_modINSF_IJSJ_SN_EEEEESU_EEENSF_IJNS5_IJLi0EEEENS5_IJLi2ELi1EEEENS5_IJLi3EEEENS5_IJLi5EEEENS5_IJLi4EEEENS5_IJLi6EEEENS5_IJLi7EEEENS5_IJLi9ELi8EEEENS5_IJLi10EEEEEEENSF_IJNS5_IJLi1ELi2ELi3EEEENS5_IJLi4ELi5EEEES19_NS5_IJLi7ELi8EEEENS5_IJLi9EEEES1C_NS5_IJLi11EEEENS5_IJLi12EEEENS5_IJLi13EEEEEEENS5_IJLi11ELi12ELi13EEEENSH_IlLl32768EEEEENSE_INSF_IJNSV_INSF_IJSI_SN_SN_NSH_IiLi32EEEEEELb0EEEEEENSF_IJS14_EEENSF_IJNS5_IJLi1ELi2ELi3ELi4EEEEEEES1U_NSH_IlLl256EEEEENSE_INSF_IJSP_SS_SU_SX_SY_SU_SZ_S12_SU_NS10_INSF_IJSI_SK_EEEEENSV_INSF_IJSI_NSH_IiLi2EEESK_EEELb0EEEEEENSF_IJS14_S15_S16_S17_S18_S19_S1A_S1B_S1C_NS5_IJLi11ELi13EEEES1J_EEENSF_IJS1E_S1F_S19_S1G_S1H_S1C_S1I_S1J_S1K_NS5_IJLi14EEEENS5_IJLi15ELi16ELi17EEEEEEENS5_IJLi15ELi16ELi17ELi14EEEES1N_EENSE_INSF_IJS1R_NS10_ISW_EES22_EEENSF_IJS14_NS5_IJLi1ELi3EEEENS5_IJLi2EEEEEEENSF_IJS1U_S17_NS5_IJLi6ELi7ELi8EEEEEEENS5_IJLi6ELi7ELi8ELi5EEEES1W_EELi16ELi32ELi256ELi256ELi128ELi16ELi16ELi8ELi8ELi32ELb0EE3RunILb1ELNS_10TailNumberE1ENSE_INSF_IJNSG_INSF_IJiiEEENSF_IJiSN_EEELb0EEENSV_IS2N_Lb0EEENST_IiEEEEENSF_IJS14_S2E_NS5_IJLi1EEEEEEENSF_IJNS5_IJLi1ELi2EEEENS5_IJLi3ELi4EEEES17_EEENS5_IJLi3ELi5ELi4EEEElEES1O_NS_35ThreadGroupTensorSliceTransfer_v4r1INS_15ThisThreadBlockILi256EEENS_16tensor_operation12element_wise11PassThroughES35_LNS_25InMemoryDataOperationEnumE0ENS5_IJLi8ELi256ELi16EEEENS5_IJLi8ELi32ELi1EEEENS5_IJLi1ELi0ELi2EEEESC_SC_RKS2Z_KS1O_S39_NS5_IJLi0ELi1ELi2EEEELi2ELi2ELi16ELi16ELi1ELi1ELb0ELb1ELi2EiEENS_13DynamicBufferILNS_16AddressSpaceEnumE1EKSC_lLb1ELNS_22AmdBufferCoherenceEnumE0EiEENSF_IJNS3F_ILS3G_2ESC_S1N_Lb1ELS3I_0EiEES3K_EEENSF_IJiiiEEENSE_INSF_IJNSG_INSF_IJiiiiEEENSF_IJiiiSN_EEELb0EEEEEES1T_S1V_S1U_lEENS_32ThreadwiseTensorSliceTransfer_v2ISD_SD_RKS3R_KS1X_NS5_IJLi8ELi1ELi1ELi32EEEENS5_IJLi1ELi2ELi0ELi3EEEELi3ELi32ELi0ELb1ELb0ELb0EEENS3F_ILS3G_1EKSD_lLb1ELS3I_0EiEENSF_IJNS_12StaticBufferILS3G_4ESD_Li256ELb1EEES42_EEES3N_NS_25StaticBufferTupleOfVectorILS3G_4EfLi64ELi4ELb1ELb0EEEEEvRKT1_RKT2_RT3_RKT4_RT5_RKT6_RKT7_RT8_RKT9_RT10_RKT11_RT12_iENKUlT_T0_E_clINSH_IiLi0EEESN_EEDaS51_S52_ENKUlS51_E_clIS55_EEDaS51_EUlS51_E_EEvS51_EUlS51_E_EEvS51_@rel32@hi+12
	s_swappc_b64 s[30:31], s[4:5]
	flat_load_dwordx2 v[12:13], v[30:31] offset:1148
	flat_load_dwordx2 v[14:15], v[30:31] offset:1164
	flat_load_dwordx4 v[0:3], v[30:31] offset:1176
	flat_load_dwordx3 v[8:10], v[30:31] offset:1132
	flat_load_dwordx2 v[16:17], v[28:29]
	s_getpc_b64 s[20:21]
	s_add_u32 s20, s20, _ZNK2ck44ThreadwiseTensorSliceTransfer_StaticToStaticINS_7pk_i4_tENS_9f8_fnuz_tEKNS_16TensorDescriptorINS_5TupleIJNS_7UnMergeINS4_IJNS_17integral_constantIiLi8EEENS6_IiLi1EEES8_NS6_IiLi32EEEEEELb0EEEEEENS4_IJNS_8SequenceIJLi0EEEEEEENS4_IJNSD_IJLi1ELi2ELi3ELi4EEEEEEESG_NS6_IlLl256EEEEESK_NS_16tensor_operation12element_wise11PassThroughENSD_IJLi8ELi1ELi1ELi32EEEENSD_IJLi1ELi2ELi0ELi3EEEELi3ELi32ELb0EE3RunINS4_IJNS6_IiLi0EEESS_SS_SS_EEEST_NS_12StaticBufferILNS_16AddressSpaceEnumE4ES1_Li256ELb1EEENSU_ILSV_4ES2_Li256ELb1EEEEEvRSK_RKT_RKT1_SY_RKT0_RT2_@rel32@lo+4
	s_addc_u32 s21, s21, _ZNK2ck44ThreadwiseTensorSliceTransfer_StaticToStaticINS_7pk_i4_tENS_9f8_fnuz_tEKNS_16TensorDescriptorINS_5TupleIJNS_7UnMergeINS4_IJNS_17integral_constantIiLi8EEENS6_IiLi1EEES8_NS6_IiLi32EEEEEELb0EEEEEENS4_IJNS_8SequenceIJLi0EEEEEEENS4_IJNSD_IJLi1ELi2ELi3ELi4EEEEEEESG_NS6_IlLl256EEEEESK_NS_16tensor_operation12element_wise11PassThroughENSD_IJLi8ELi1ELi1ELi32EEEENSD_IJLi1ELi2ELi0ELi3EEEELi3ELi32ELb0EE3RunINS4_IJNS6_IiLi0EEESS_SS_SS_EEEST_NS_12StaticBufferILNS_16AddressSpaceEnumE4ES1_Li256ELb1EEENSU_ILSV_4ES2_Li256ELb1EEEEEvRSK_RKT_RKT1_SY_RKT0_RT2_@rel32@hi+12
	s_waitcnt vmcnt(0) lgkmcnt(0)
	v_sub_u32_e32 v4, v12, v15
	v_add3_u32 v1, v4, v1, 32
	v_ashrrev_i32_e32 v4, 31, v1
	v_lshrrev_b32_e32 v4, 29, v4
	v_add_u32_e32 v4, v1, v4
	v_and_b32_e32 v4, -8, v4
	v_sub_u32_e32 v5, v13, v14
	v_sub_u32_e32 v6, v1, v10
	;; [unrolled: 1-line block ×3, first 2 shown]
	v_xor_b32_e32 v4, v1, v5
	v_lshl_add_u32 v8, v6, 7, v8
	v_sub_u32_e32 v4, v4, v9
	v_lshl_add_u32 v4, v4, 4, v8
	v_ashrrev_i32_e32 v5, 31, v4
	v_add_co_u32_e32 v4, vcc, v16, v4
	v_addc_co_u32_e32 v5, vcc, v17, v5, vcc
	flat_load_dwordx4 v[4:7], v[4:5]
	v_add_u32_e32 v3, 16, v3
	v_ashrrev_i32_e32 v10, 31, v3
	v_lshrrev_b32_e32 v10, 28, v10
	v_add_u32_e32 v0, v14, v0
	v_add_u32_e32 v10, v3, v10
	v_sub_u32_e32 v0, v13, v0
	v_lshrrev_b32_e32 v11, 4, v10
	v_add_u32_e32 v0, v0, v11
	v_xor_b32_e32 v0, v0, v1
	v_and_b32_e32 v10, -16, v10
	v_sub_u32_e32 v0, v0, v9
	v_sub_u32_e32 v2, v8, v2
	;; [unrolled: 1-line block ×3, first 2 shown]
	v_lshlrev_b32_e32 v0, 4, v0
	v_add3_u32 v0, v2, v3, v0
	v_ashrrev_i32_e32 v1, 31, v0
	v_add_co_u32_e32 v0, vcc, v16, v0
	v_addc_co_u32_e32 v1, vcc, v17, v1, vcc
	s_waitcnt vmcnt(0) lgkmcnt(0)
	buffer_store_dword v4, off, s[0:3], s33 offset:84
	buffer_store_dword v5, off, s[0:3], s33 offset:88
	;; [unrolled: 1-line block ×4, first 2 shown]
	flat_load_dwordx4 v[0:3], v[0:1]
	s_waitcnt vmcnt(0) lgkmcnt(0)
	buffer_store_dword v0, off, s[0:3], s33 offset:100
	buffer_store_dword v1, off, s[0:3], s33 offset:104
	;; [unrolled: 1-line block ×4, first 2 shown]
	v_mov_b32_e32 v0, s24
	v_mov_b32_e32 v1, s26
	v_mov_b32_e32 v2, s23
	v_mov_b32_e32 v3, s25
	s_swappc_b64 s[30:31], s[20:21]
	; sched_group_barrier mask(0x00000008) size(4) SyncID(0)
	; sched_group_barrier mask(0x00000020) size(1) SyncID(0)
	;; [unrolled: 1-line block ×20, first 2 shown]
	; sched_barrier mask(0x00000000)
	flat_load_ubyte v4, v[32:33] offset:288
	flat_load_ubyte v8, v[32:33] offset:304
	flat_load_dwordx4 v[0:3], v[32:33]
	flat_load_ubyte v12, v[32:33] offset:320
	s_getpc_b64 s[4:5]
	s_add_u32 s4, s4, _ZNK2ck6detail7applierIiJLi0ELi1ELi2ELi3ELi4ELi5ELi6ELi7EEEclIZNKS_11static_fordINS_8SequenceIJLi1ELi8EEEENS5_IJLi0ELi1EEEEEclIZZZNKS_52BlockwiseGemmXdlops_pipeline_bpreshuffle_bdequant_v3ILNS_26BlockGemmPipelineSchedulerE0ELi256ENS_9f8_fnuz_tENS_7pk_i4_tESC_fNS_16TensorDescriptorINS_5TupleIJNS_5EmbedINSF_IJNS_17integral_constantIiLi8EEENSH_IiLi256EEENSH_IiLi16EEEEEENSF_IJSK_NSH_IiLi128EEENSH_IiLi1EEEEEELb0EEENS_3XorINSF_IJSJ_SI_EEELb1EEENS_11PassThroughISK_EENS_7UnMergeINSF_IJSI_SN_EEELb0EEENST_ISJ_EESU_NST_ISI_EENS_21Merge_v3_division_modINSF_IJSJ_SN_EEEEESU_EEENSF_IJNS5_IJLi0EEEENS5_IJLi2ELi1EEEENS5_IJLi3EEEENS5_IJLi5EEEENS5_IJLi4EEEENS5_IJLi6EEEENS5_IJLi7EEEENS5_IJLi9ELi8EEEENS5_IJLi10EEEEEEENSF_IJNS5_IJLi1ELi2ELi3EEEENS5_IJLi4ELi5EEEES19_NS5_IJLi7ELi8EEEENS5_IJLi9EEEES1C_NS5_IJLi11EEEENS5_IJLi12EEEENS5_IJLi13EEEEEEENS5_IJLi11ELi12ELi13EEEENSH_IlLl32768EEEEENSE_INSF_IJNSV_INSF_IJSI_SN_SN_NSH_IiLi32EEEEEELb0EEEEEENSF_IJS14_EEENSF_IJNS5_IJLi1ELi2ELi3ELi4EEEEEEES1U_NSH_IlLl256EEEEENSE_INSF_IJSP_SS_SU_SX_SY_SU_SZ_S12_SU_NS10_INSF_IJSI_SK_EEEEENSV_INSF_IJSI_NSH_IiLi2EEESK_EEELb0EEEEEENSF_IJS14_S15_S16_S17_S18_S19_S1A_S1B_S1C_NS5_IJLi11ELi13EEEES1J_EEENSF_IJS1E_S1F_S19_S1G_S1H_S1C_S1I_S1J_S1K_NS5_IJLi14EEEENS5_IJLi15ELi16ELi17EEEEEEENS5_IJLi15ELi16ELi17ELi14EEEES1N_EENSE_INSF_IJS1R_NS10_ISW_EES22_EEENSF_IJS14_NS5_IJLi1ELi3EEEENS5_IJLi2EEEEEEENSF_IJS1U_S17_NS5_IJLi6ELi7ELi8EEEEEEENS5_IJLi6ELi7ELi8ELi5EEEES1W_EELi16ELi32ELi256ELi256ELi128ELi16ELi16ELi8ELi8ELi32ELb0EE3RunILb1ELNS_10TailNumberE1ENSE_INSF_IJNSG_INSF_IJiiEEENSF_IJiSN_EEELb0EEENSV_IS2N_Lb0EEENST_IiEEEEENSF_IJS14_S2E_NS5_IJLi1EEEEEEENSF_IJNS5_IJLi1ELi2EEEENS5_IJLi3ELi4EEEES17_EEENS5_IJLi3ELi5ELi4EEEElEES1O_NS_35ThreadGroupTensorSliceTransfer_v4r1INS_15ThisThreadBlockILi256EEENS_16tensor_operation12element_wise11PassThroughES35_LNS_25InMemoryDataOperationEnumE0ENS5_IJLi8ELi256ELi16EEEENS5_IJLi8ELi32ELi1EEEENS5_IJLi1ELi0ELi2EEEESC_SC_RKS2Z_KS1O_S39_NS5_IJLi0ELi1ELi2EEEELi2ELi2ELi16ELi16ELi1ELi1ELb0ELb1ELi2EiEENS_13DynamicBufferILNS_16AddressSpaceEnumE1EKSC_lLb1ELNS_22AmdBufferCoherenceEnumE0EiEENSF_IJNS3F_ILS3G_2ESC_S1N_Lb1ELS3I_0EiEES3K_EEENSF_IJiiiEEENSE_INSF_IJNSG_INSF_IJiiiiEEENSF_IJiiiSN_EEELb0EEEEEES1T_S1V_S1U_lEENS_32ThreadwiseTensorSliceTransfer_v2ISD_SD_RKS3R_KS1X_NS5_IJLi8ELi1ELi1ELi32EEEENS5_IJLi1ELi2ELi0ELi3EEEELi3ELi32ELi0ELb1ELb0ELb0EEENS3F_ILS3G_1EKSD_lLb1ELS3I_0EiEENSF_IJNS_12StaticBufferILS3G_4ESD_Li256ELb1EEES42_EEES3N_NS_25StaticBufferTupleOfVectorILS3G_4EfLi64ELi4ELb1ELb0EEEEEvRKT1_RKT2_RT3_RKT4_RT5_RKT6_RKT7_RT8_RKT9_RT10_RKT11_RT12_iENKUlT_T0_E_clINSH_IiLi0EEESN_EEDaS51_S52_ENKUlS51_E_clISN_EEDaS51_EUlS51_E_EEvS51_EUlS51_E_EEvS51_@rel32@lo+4
	s_addc_u32 s5, s5, _ZNK2ck6detail7applierIiJLi0ELi1ELi2ELi3ELi4ELi5ELi6ELi7EEEclIZNKS_11static_fordINS_8SequenceIJLi1ELi8EEEENS5_IJLi0ELi1EEEEEclIZZZNKS_52BlockwiseGemmXdlops_pipeline_bpreshuffle_bdequant_v3ILNS_26BlockGemmPipelineSchedulerE0ELi256ENS_9f8_fnuz_tENS_7pk_i4_tESC_fNS_16TensorDescriptorINS_5TupleIJNS_5EmbedINSF_IJNS_17integral_constantIiLi8EEENSH_IiLi256EEENSH_IiLi16EEEEEENSF_IJSK_NSH_IiLi128EEENSH_IiLi1EEEEEELb0EEENS_3XorINSF_IJSJ_SI_EEELb1EEENS_11PassThroughISK_EENS_7UnMergeINSF_IJSI_SN_EEELb0EEENST_ISJ_EESU_NST_ISI_EENS_21Merge_v3_division_modINSF_IJSJ_SN_EEEEESU_EEENSF_IJNS5_IJLi0EEEENS5_IJLi2ELi1EEEENS5_IJLi3EEEENS5_IJLi5EEEENS5_IJLi4EEEENS5_IJLi6EEEENS5_IJLi7EEEENS5_IJLi9ELi8EEEENS5_IJLi10EEEEEEENSF_IJNS5_IJLi1ELi2ELi3EEEENS5_IJLi4ELi5EEEES19_NS5_IJLi7ELi8EEEENS5_IJLi9EEEES1C_NS5_IJLi11EEEENS5_IJLi12EEEENS5_IJLi13EEEEEEENS5_IJLi11ELi12ELi13EEEENSH_IlLl32768EEEEENSE_INSF_IJNSV_INSF_IJSI_SN_SN_NSH_IiLi32EEEEEELb0EEEEEENSF_IJS14_EEENSF_IJNS5_IJLi1ELi2ELi3ELi4EEEEEEES1U_NSH_IlLl256EEEEENSE_INSF_IJSP_SS_SU_SX_SY_SU_SZ_S12_SU_NS10_INSF_IJSI_SK_EEEEENSV_INSF_IJSI_NSH_IiLi2EEESK_EEELb0EEEEEENSF_IJS14_S15_S16_S17_S18_S19_S1A_S1B_S1C_NS5_IJLi11ELi13EEEES1J_EEENSF_IJS1E_S1F_S19_S1G_S1H_S1C_S1I_S1J_S1K_NS5_IJLi14EEEENS5_IJLi15ELi16ELi17EEEEEEENS5_IJLi15ELi16ELi17ELi14EEEES1N_EENSE_INSF_IJS1R_NS10_ISW_EES22_EEENSF_IJS14_NS5_IJLi1ELi3EEEENS5_IJLi2EEEEEEENSF_IJS1U_S17_NS5_IJLi6ELi7ELi8EEEEEEENS5_IJLi6ELi7ELi8ELi5EEEES1W_EELi16ELi32ELi256ELi256ELi128ELi16ELi16ELi8ELi8ELi32ELb0EE3RunILb1ELNS_10TailNumberE1ENSE_INSF_IJNSG_INSF_IJiiEEENSF_IJiSN_EEELb0EEENSV_IS2N_Lb0EEENST_IiEEEEENSF_IJS14_S2E_NS5_IJLi1EEEEEEENSF_IJNS5_IJLi1ELi2EEEENS5_IJLi3ELi4EEEES17_EEENS5_IJLi3ELi5ELi4EEEElEES1O_NS_35ThreadGroupTensorSliceTransfer_v4r1INS_15ThisThreadBlockILi256EEENS_16tensor_operation12element_wise11PassThroughES35_LNS_25InMemoryDataOperationEnumE0ENS5_IJLi8ELi256ELi16EEEENS5_IJLi8ELi32ELi1EEEENS5_IJLi1ELi0ELi2EEEESC_SC_RKS2Z_KS1O_S39_NS5_IJLi0ELi1ELi2EEEELi2ELi2ELi16ELi16ELi1ELi1ELb0ELb1ELi2EiEENS_13DynamicBufferILNS_16AddressSpaceEnumE1EKSC_lLb1ELNS_22AmdBufferCoherenceEnumE0EiEENSF_IJNS3F_ILS3G_2ESC_S1N_Lb1ELS3I_0EiEES3K_EEENSF_IJiiiEEENSE_INSF_IJNSG_INSF_IJiiiiEEENSF_IJiiiSN_EEELb0EEEEEES1T_S1V_S1U_lEENS_32ThreadwiseTensorSliceTransfer_v2ISD_SD_RKS3R_KS1X_NS5_IJLi8ELi1ELi1ELi32EEEENS5_IJLi1ELi2ELi0ELi3EEEELi3ELi32ELi0ELb1ELb0ELb0EEENS3F_ILS3G_1EKSD_lLb1ELS3I_0EiEENSF_IJNS_12StaticBufferILS3G_4ESD_Li256ELb1EEES42_EEES3N_NS_25StaticBufferTupleOfVectorILS3G_4EfLi64ELi4ELb1ELb0EEEEEvRKT1_RKT2_RT3_RKT4_RT5_RKT6_RKT7_RT8_RKT9_RT10_RKT11_RT12_iENKUlT_T0_E_clINSH_IiLi0EEESN_EEDaS51_S52_ENKUlS51_E_clISN_EEDaS51_EUlS51_E_EEvS51_EUlS51_E_EEvS51_@rel32@hi+12
	s_waitcnt vmcnt(0) lgkmcnt(0)
	v_and_b32_e32 v4, 1, v4
	v_cmp_eq_u32_e32 vcc, 1, v4
	flat_load_dwordx4 v[4:7], v[32:33] offset:16
	v_and_b32_e32 v8, 1, v8
	v_cndmask_b32_e32 v3, 0, v3, vcc
	v_cndmask_b32_e32 v2, 0, v2, vcc
	;; [unrolled: 1-line block ×4, first 2 shown]
	v_cmp_eq_u32_e32 vcc, 1, v8
	flat_load_dwordx4 v[8:11], v[32:33] offset:32
	v_and_b32_e32 v12, 1, v12
	flat_store_dwordx4 v[32:33], v[0:3]
	flat_store_dwordx4 v[32:33], v[0:3] offset:560
	s_waitcnt vmcnt(0) lgkmcnt(0)
	v_cndmask_b32_e32 v7, 0, v7, vcc
	v_cndmask_b32_e32 v6, 0, v6, vcc
	;; [unrolled: 1-line block ×4, first 2 shown]
	v_cmp_eq_u32_e32 vcc, 1, v12
	flat_load_dwordx4 v[12:15], v[32:33] offset:48
	v_cndmask_b32_e32 v11, 0, v11, vcc
	v_cndmask_b32_e32 v10, 0, v10, vcc
	v_cndmask_b32_e32 v9, 0, v9, vcc
	v_cndmask_b32_e32 v8, 0, v8, vcc
	flat_store_dwordx4 v[32:33], v[8:11] offset:32
	flat_load_ubyte v11, v[32:33] offset:336
	s_waitcnt vmcnt(0) lgkmcnt(0)
	v_and_b32_e32 v11, 1, v11
	v_cmp_eq_u32_e32 vcc, 1, v11
	flat_load_ubyte v11, v[32:33] offset:352
	v_cndmask_b32_e32 v15, 0, v15, vcc
	v_cndmask_b32_e32 v14, 0, v14, vcc
	;; [unrolled: 1-line block ×4, first 2 shown]
	flat_store_dwordx4 v[32:33], v[12:15] offset:48
	flat_load_dwordx4 v[12:15], v[32:33] offset:64
	s_waitcnt vmcnt(0) lgkmcnt(0)
	v_and_b32_e32 v11, 1, v11
	v_cmp_eq_u32_e32 vcc, 1, v11
	flat_load_ubyte v11, v[32:33] offset:368
	v_cndmask_b32_e32 v15, 0, v15, vcc
	v_cndmask_b32_e32 v14, 0, v14, vcc
	v_cndmask_b32_e32 v13, 0, v13, vcc
	v_cndmask_b32_e32 v12, 0, v12, vcc
	flat_store_dwordx4 v[32:33], v[12:15] offset:64
	flat_load_dwordx4 v[12:15], v[32:33] offset:80
	s_waitcnt vmcnt(0) lgkmcnt(0)
	v_and_b32_e32 v11, 1, v11
	v_cmp_eq_u32_e32 vcc, 1, v11
	flat_load_ubyte v11, v[32:33] offset:384
	v_cndmask_b32_e32 v15, 0, v15, vcc
	v_cndmask_b32_e32 v14, 0, v14, vcc
	;; [unrolled: 1-line block ×4, first 2 shown]
	flat_store_dwordx4 v[32:33], v[4:7] offset:16
	flat_store_dwordx4 v[32:33], v[12:15] offset:80
	flat_load_dwordx4 v[12:15], v[32:33] offset:96
	v_perm_b32 v7, v7, v7, s38
	v_perm_b32 v6, v6, v6, s39
	;; [unrolled: 1-line block ×3, first 2 shown]
	flat_store_dwordx4 v[32:33], v[4:7] offset:576
	flat_load_dwordx4 v[4:7], v[32:33] offset:43
	s_waitcnt vmcnt(0) lgkmcnt(0)
	v_and_b32_e32 v11, 1, v11
	v_cmp_eq_u32_e32 vcc, 1, v11
	flat_load_ubyte v11, v[32:33] offset:400
	v_cndmask_b32_e32 v15, 0, v15, vcc
	v_cndmask_b32_e32 v14, 0, v14, vcc
	;; [unrolled: 1-line block ×4, first 2 shown]
	flat_store_dwordx4 v[32:33], v[12:15] offset:96
	flat_load_dwordx4 v[12:15], v[32:33] offset:112
	v_perm_b32 v10, v10, v4, s41
	s_waitcnt vmcnt(0) lgkmcnt(0)
	v_and_b32_e32 v11, 1, v11
	v_cmp_eq_u32_e32 vcc, 1, v11
	v_perm_b32 v11, v4, v5, s40
	flat_store_dwordx4 v[32:33], v[8:11] offset:592
	flat_load_dwordx4 v[8:11], v[32:33] offset:59
	v_cndmask_b32_e32 v15, 0, v15, vcc
	v_cndmask_b32_e32 v14, 0, v14, vcc
	;; [unrolled: 1-line block ×4, first 2 shown]
	flat_store_dwordx4 v[32:33], v[12:15] offset:112
	s_nop 0
	v_perm_b32 v13, v6, v7, s40
	v_perm_b32 v12, v5, v6, s40
	s_waitcnt vmcnt(0) lgkmcnt(0)
	v_perm_b32 v14, v7, v8, s40
	flat_load_dwordx4 v[4:7], v[32:33] offset:75
	v_perm_b32 v15, v8, v9, s40
	flat_store_dwordx4 v[32:33], v[12:15] offset:608
	s_nop 0
	v_perm_b32 v13, v10, v11, s40
	v_perm_b32 v12, v9, v10, s40
	s_waitcnt vmcnt(0) lgkmcnt(0)
	v_perm_b32 v14, v11, v4, s40
	flat_load_dwordx4 v[8:11], v[32:33] offset:91
	v_perm_b32 v15, v4, v5, s40
	;; [unrolled: 8-line block ×3, first 2 shown]
	flat_store_dwordx4 v[32:33], v[12:15] offset:640
	flat_load_sbyte v8, v[32:33] offset:127
	v_perm_b32 v13, v10, v11, s40
	v_perm_b32 v12, v9, v10, s40
	s_waitcnt vmcnt(0) lgkmcnt(0)
	v_perm_b32 v15, v4, v5, s40
	v_perm_b32 v14, v11, v4, s40
	flat_load_dword v4, v[32:33] offset:123
	s_waitcnt vmcnt(0) lgkmcnt(0)
	v_perm_b32 v9, v4, v8, s40
	v_perm_b32 v8, v7, v4, s40
	;; [unrolled: 1-line block ×4, first 2 shown]
	flat_store_dwordx4 v[32:33], v[12:15] offset:656
	flat_store_dwordx4 v[32:33], v[6:9] offset:672
	flat_load_dword v6, v[32:33] offset:728
	s_waitcnt vmcnt(0) lgkmcnt(0)
	v_ashrrev_i32_e32 v7, 31, v6
	flat_load_dwordx2 v[4:5], v[28:29] offset:16
	s_waitcnt vmcnt(0) lgkmcnt(0)
	v_add_co_u32_e32 v4, vcc, v4, v6
	v_addc_co_u32_e32 v5, vcc, v5, v7, vcc
	flat_store_dwordx4 v[4:5], v[0:3]
	flat_load_dword v0, v[32:33] offset:776
	s_waitcnt vmcnt(0) lgkmcnt(0)
	v_add_u32_e32 v67, 1, v0
	flat_load_dwordx2 v[0:1], v[32:33] offset:760
	flat_load_dwordx2 v[2:3], v[32:33] offset:744
	s_waitcnt vmcnt(0) lgkmcnt(0)
	v_sub_u32_e32 v1, v67, v1
	v_add_u32_e32 v6, v2, v1
	v_sub_u32_e32 v7, v3, v0
	flat_load_dwordx3 v[2:4], v[32:33] offset:728
	v_ashrrev_i32_e32 v0, 31, v6
	v_lshrrev_b32_e32 v0, 29, v0
	v_add_u32_e32 v0, v6, v0
	v_and_b32_e32 v0, -8, v0
	v_sub_u32_e32 v0, v6, v0
	v_xor_b32_e32 v1, v7, v0
	flat_store_dword v[32:33], v67 offset:776
	flat_store_dwordx2 v[32:33], v[66:67] offset:760
	flat_store_dwordx2 v[32:33], v[6:7] offset:744
	s_waitcnt vmcnt(0) lgkmcnt(0)
	v_sub_u32_e32 v0, v1, v3
	v_sub_u32_e32 v3, v6, v4
	v_lshlrev_b32_e32 v0, 4, v0
	v_lshlrev_b32_e32 v3, 7, v3
	v_add3_u32 v0, v3, v0, v2
	v_mov_b32_e32 v2, v6
	flat_store_dwordx3 v[32:33], v[0:2] offset:728
	flat_load_dwordx2 v[2:3], v[28:29] offset:16
	v_ashrrev_i32_e32 v1, 31, v0
	s_waitcnt vmcnt(0) lgkmcnt(0)
	v_add_co_u32_e32 v4, vcc, v2, v0
	v_addc_co_u32_e32 v5, vcc, v3, v1, vcc
	flat_load_dwordx4 v[0:3], v[32:33] offset:576
	s_waitcnt vmcnt(0) lgkmcnt(0)
	flat_store_dwordx4 v[4:5], v[0:3]
	flat_load_dword v0, v[32:33] offset:776
	s_nop 0
	flat_load_dwordx2 v[2:3], v[32:33] offset:744
	s_waitcnt vmcnt(0) lgkmcnt(0)
	v_add_u32_e32 v67, 1, v0
	flat_load_dwordx2 v[0:1], v[32:33] offset:760
	s_waitcnt vmcnt(0) lgkmcnt(0)
	v_sub_u32_e32 v1, v67, v1
	v_add_u32_e32 v6, v2, v1
	v_sub_u32_e32 v7, v3, v0
	flat_load_dwordx3 v[2:4], v[32:33] offset:728
	v_ashrrev_i32_e32 v0, 31, v6
	v_lshrrev_b32_e32 v0, 29, v0
	v_add_u32_e32 v0, v6, v0
	v_and_b32_e32 v0, -8, v0
	v_sub_u32_e32 v0, v6, v0
	v_xor_b32_e32 v1, v7, v0
	flat_store_dword v[32:33], v67 offset:776
	flat_store_dwordx2 v[32:33], v[66:67] offset:760
	flat_store_dwordx2 v[32:33], v[6:7] offset:744
	s_waitcnt vmcnt(0) lgkmcnt(0)
	v_sub_u32_e32 v0, v1, v3
	v_sub_u32_e32 v3, v6, v4
	v_lshlrev_b32_e32 v0, 4, v0
	v_lshlrev_b32_e32 v3, 7, v3
	v_add3_u32 v0, v3, v0, v2
	v_mov_b32_e32 v2, v6
	flat_store_dwordx3 v[32:33], v[0:2] offset:728
	flat_load_dwordx2 v[2:3], v[28:29] offset:16
	v_ashrrev_i32_e32 v1, 31, v0
	s_waitcnt vmcnt(0) lgkmcnt(0)
	v_add_co_u32_e32 v4, vcc, v2, v0
	v_addc_co_u32_e32 v5, vcc, v3, v1, vcc
	flat_load_dwordx4 v[0:3], v[32:33] offset:592
	s_waitcnt vmcnt(0) lgkmcnt(0)
	flat_store_dwordx4 v[4:5], v[0:3]
	flat_load_dword v0, v[32:33] offset:776
	s_nop 0
	flat_load_dwordx2 v[2:3], v[32:33] offset:744
	s_waitcnt vmcnt(0) lgkmcnt(0)
	v_add_u32_e32 v67, 1, v0
	;; [unrolled: 36-line block ×6, first 2 shown]
	flat_load_dwordx2 v[0:1], v[32:33] offset:760
	s_waitcnt vmcnt(0) lgkmcnt(0)
	v_sub_u32_e32 v1, v67, v1
	v_add_u32_e32 v6, v2, v1
	v_sub_u32_e32 v7, v3, v0
	flat_load_dwordx3 v[2:4], v[32:33] offset:728
	v_ashrrev_i32_e32 v0, 31, v6
	v_lshrrev_b32_e32 v0, 29, v0
	v_add_u32_e32 v0, v6, v0
	v_and_b32_e32 v0, -8, v0
	v_sub_u32_e32 v0, v6, v0
	v_xor_b32_e32 v1, v7, v0
	flat_store_dword v[32:33], v67 offset:776
	flat_store_dwordx2 v[32:33], v[66:67] offset:760
	flat_store_dwordx2 v[32:33], v[6:7] offset:744
	s_waitcnt vmcnt(0) lgkmcnt(0)
	v_sub_u32_e32 v0, v1, v3
	v_sub_u32_e32 v3, v6, v4
	v_lshlrev_b32_e32 v0, 4, v0
	v_lshlrev_b32_e32 v3, 7, v3
	v_add3_u32 v0, v3, v0, v2
	v_mov_b32_e32 v2, v6
	flat_store_dwordx3 v[32:33], v[0:2] offset:728
	flat_load_dwordx2 v[2:3], v[28:29] offset:16
	v_ashrrev_i32_e32 v1, 31, v0
	s_waitcnt vmcnt(0) lgkmcnt(0)
	v_add_co_u32_e32 v4, vcc, v2, v0
	v_addc_co_u32_e32 v5, vcc, v3, v1, vcc
	flat_load_dwordx4 v[0:3], v[32:33] offset:672
	s_waitcnt vmcnt(0) lgkmcnt(0)
	flat_store_dwordx4 v[4:5], v[0:3]
	flat_load_dword v0, v[32:33] offset:776
	s_nop 0
	flat_load_dwordx2 v[2:3], v[32:33] offset:744
	s_waitcnt vmcnt(0) lgkmcnt(0)
	v_add_u32_e32 v67, -7, v0
	flat_load_dwordx2 v[0:1], v[32:33] offset:760
	s_waitcnt vmcnt(0) lgkmcnt(0)
	v_sub_u32_e32 v1, v67, v1
	v_add_u32_e32 v4, v2, v1
	v_sub_u32_e32 v5, v3, v0
	flat_load_dwordx3 v[0:2], v[32:33] offset:728
	v_ashrrev_i32_e32 v3, 31, v4
	v_lshrrev_b32_e32 v3, 29, v3
	v_add_u32_e32 v3, v4, v3
	v_and_b32_e32 v3, -8, v3
	v_sub_u32_e32 v3, v4, v3
	v_xor_b32_e32 v3, v5, v3
	flat_store_dword v[32:33], v67 offset:776
	flat_store_dwordx2 v[32:33], v[66:67] offset:760
	flat_store_dwordx2 v[32:33], v[4:5] offset:744
	buffer_store_dword v65, off, s[0:3], s33 offset:12
	buffer_store_dword v70, off, s[0:3], s33 offset:8
	;; [unrolled: 1-line block ×10, first 2 shown]
	s_waitcnt vmcnt(0) lgkmcnt(0)
	v_sub_u32_e32 v2, v4, v2
	v_sub_u32_e32 v1, v3, v1
	v_lshlrev_b32_e32 v1, 4, v1
	v_lshlrev_b32_e32 v2, 7, v2
	v_add3_u32 v2, v2, v1, v0
	v_mov_b32_e32 v0, s35
	v_mov_b32_e32 v1, s36
	flat_store_dwordx3 v[32:33], v[2:4] offset:728
	s_swappc_b64 s[30:31], s[4:5]
	flat_load_dwordx2 v[12:13], v[30:31] offset:1148
	flat_load_dwordx2 v[14:15], v[30:31] offset:1164
	flat_load_dwordx4 v[0:3], v[30:31] offset:1176
	flat_load_dwordx3 v[8:10], v[30:31] offset:1132
	flat_load_dwordx2 v[16:17], v[28:29]
	s_waitcnt vmcnt(0) lgkmcnt(0)
	v_sub_u32_e32 v4, v12, v15
	v_add3_u32 v1, v4, v1, 64
	v_ashrrev_i32_e32 v4, 31, v1
	v_lshrrev_b32_e32 v4, 29, v4
	v_add_u32_e32 v4, v1, v4
	v_and_b32_e32 v4, -8, v4
	v_sub_u32_e32 v5, v13, v14
	v_sub_u32_e32 v6, v1, v10
	v_sub_u32_e32 v1, v1, v4
	v_xor_b32_e32 v4, v1, v5
	v_sub_u32_e32 v4, v4, v9
	v_lshlrev_b32_e32 v10, 7, v6
	v_lshlrev_b32_e32 v4, 4, v4
	v_add3_u32 v4, v10, v8, v4
	v_ashrrev_i32_e32 v5, 31, v4
	v_add_co_u32_e32 v4, vcc, v16, v4
	v_addc_co_u32_e32 v5, vcc, v17, v5, vcc
	flat_load_dwordx4 v[4:7], v[4:5]
	v_add_u32_e32 v3, 16, v3
	v_sub_u32_e32 v2, v8, v2
	v_ashrrev_i32_e32 v8, 31, v3
	v_lshrrev_b32_e32 v8, 28, v8
	v_add_u32_e32 v0, v14, v0
	v_add_u32_e32 v8, v3, v8
	v_sub_u32_e32 v0, v13, v0
	v_lshrrev_b32_e32 v11, 4, v8
	v_add_u32_e32 v0, v0, v11
	v_xor_b32_e32 v0, v0, v1
	v_and_b32_e32 v8, -16, v8
	v_sub_u32_e32 v0, v0, v9
	v_add_u32_e32 v2, v2, v10
	v_sub_u32_e32 v3, v3, v8
	v_lshlrev_b32_e32 v0, 4, v0
	v_add3_u32 v0, v2, v3, v0
	v_ashrrev_i32_e32 v1, 31, v0
	v_add_co_u32_e32 v0, vcc, v16, v0
	v_addc_co_u32_e32 v1, vcc, v17, v1, vcc
	s_waitcnt vmcnt(0) lgkmcnt(0)
	buffer_store_dword v4, off, s[0:3], s33 offset:52
	buffer_store_dword v5, off, s[0:3], s33 offset:56
	;; [unrolled: 1-line block ×4, first 2 shown]
	flat_load_dwordx4 v[0:3], v[0:1]
	s_waitcnt vmcnt(0) lgkmcnt(0)
	buffer_store_dword v0, off, s[0:3], s33 offset:68
	buffer_store_dword v1, off, s[0:3], s33 offset:72
	;; [unrolled: 1-line block ×4, first 2 shown]
	v_mov_b32_e32 v0, s24
	v_mov_b32_e32 v1, s26
	v_mov_b32_e32 v2, s23
	v_mov_b32_e32 v3, s25
	s_swappc_b64 s[30:31], s[20:21]
	; sched_group_barrier mask(0x00000008) size(3) SyncID(0)
	; sched_group_barrier mask(0x00000200) size(1) SyncID(0)
	;; [unrolled: 1-line block ×20, first 2 shown]
	; sched_barrier mask(0x00000000)
	flat_store_byte v[32:33], v69 offset:288
	flat_load_dwordx2 v[12:13], v[32:33] offset:704
	flat_load_dwordx4 v[0:3], v[52:53]
	s_waitcnt vmcnt(0) lgkmcnt(0)
	v_mov_b32_e32 v3, s37
	s_mov_b64 s[6:7], exec
.LBB60_83:                              ;   Parent Loop BB60_64 Depth=1
                                        ; =>  This Inner Loop Header: Depth=2
	v_readfirstlane_b32 s8, v0
	v_readfirstlane_b32 s9, v1
	;; [unrolled: 1-line block ×4, first 2 shown]
	v_cmp_eq_u64_e32 vcc, s[8:9], v[0:1]
	v_cmp_eq_u64_e64 s[4:5], s[10:11], v[2:3]
	s_and_b64 s[4:5], vcc, s[4:5]
	s_and_saveexec_b64 s[4:5], s[4:5]
	s_nop 0
	buffer_load_dwordx4 v[4:7], v12, s[8:11], 0 offen
                                        ; implicit-def: $vgpr0_vgpr1_vgpr2_vgpr3
	s_xor_b64 exec, exec, s[4:5]
	s_cbranch_execnz .LBB60_83
; %bb.84:                               ;   in Loop: Header=BB60_64 Depth=1
	s_mov_b64 exec, s[6:7]
	flat_load_dwordx3 v[8:10], v[32:33] offset:716
	v_add_u32_e32 v0, 1, v13
	flat_store_dword v[32:33], v0 offset:708
	s_waitcnt vmcnt(0)
	flat_store_dwordx4 v[32:33], v[4:7]
	s_mov_b64 s[6:7], exec
	s_waitcnt lgkmcnt(0)
	v_add_u32_e32 v0, 1, v10
	flat_store_dword v[32:33], v0 offset:724
	flat_load_dword v0, v[54:55] offset:8
	s_waitcnt vmcnt(0) lgkmcnt(0)
	v_add_u32_e32 v11, v0, v12
	flat_store_dword v[32:33], v11 offset:704
	flat_store_byte v[32:33], v69 offset:304
	flat_load_dwordx4 v[0:3], v[52:53]
	s_waitcnt vmcnt(0) lgkmcnt(0)
	v_mov_b32_e32 v3, s37
.LBB60_85:                              ;   Parent Loop BB60_64 Depth=1
                                        ; =>  This Inner Loop Header: Depth=2
	v_readfirstlane_b32 s8, v0
	v_readfirstlane_b32 s9, v1
	v_readfirstlane_b32 s10, v2
	v_readfirstlane_b32 s11, v3
	v_cmp_eq_u64_e32 vcc, s[8:9], v[0:1]
	v_cmp_eq_u64_e64 s[4:5], s[10:11], v[2:3]
	s_and_b64 s[4:5], vcc, s[4:5]
	s_and_saveexec_b64 s[4:5], s[4:5]
	s_nop 0
	buffer_load_dwordx4 v[4:7], v11, s[8:11], 0 offen
                                        ; implicit-def: $vgpr0_vgpr1_vgpr2_vgpr3
	s_xor_b64 exec, exec, s[4:5]
	s_cbranch_execnz .LBB60_85
; %bb.86:                               ;   in Loop: Header=BB60_64 Depth=1
	s_mov_b64 exec, s[6:7]
	v_add_u32_e32 v0, 2, v10
	flat_store_dword v[32:33], v0 offset:724
	v_add_u32_e32 v0, 2, v13
	s_waitcnt vmcnt(0)
	flat_store_dwordx4 v[32:33], v[4:7] offset:16
	flat_store_dword v[32:33], v0 offset:708
	flat_load_dword v0, v[54:55] offset:8
	s_mov_b64 s[6:7], exec
	s_waitcnt vmcnt(0) lgkmcnt(0)
	v_add_u32_e32 v11, v0, v11
	flat_store_dword v[32:33], v11 offset:704
	flat_store_byte v[32:33], v69 offset:320
	flat_load_dwordx4 v[0:3], v[52:53]
	s_waitcnt vmcnt(0) lgkmcnt(0)
	v_mov_b32_e32 v3, s37
.LBB60_87:                              ;   Parent Loop BB60_64 Depth=1
                                        ; =>  This Inner Loop Header: Depth=2
	v_readfirstlane_b32 s8, v0
	v_readfirstlane_b32 s9, v1
	v_readfirstlane_b32 s10, v2
	v_readfirstlane_b32 s11, v3
	v_cmp_eq_u64_e32 vcc, s[8:9], v[0:1]
	v_cmp_eq_u64_e64 s[4:5], s[10:11], v[2:3]
	s_and_b64 s[4:5], vcc, s[4:5]
	s_and_saveexec_b64 s[4:5], s[4:5]
	s_nop 0
	buffer_load_dwordx4 v[4:7], v11, s[8:11], 0 offen
                                        ; implicit-def: $vgpr0_vgpr1_vgpr2_vgpr3
	s_xor_b64 exec, exec, s[4:5]
	s_cbranch_execnz .LBB60_87
; %bb.88:                               ;   in Loop: Header=BB60_64 Depth=1
	s_mov_b64 exec, s[6:7]
	v_add_u32_e32 v0, 3, v10
	flat_store_dword v[32:33], v0 offset:724
	v_add_u32_e32 v0, 3, v13
	s_waitcnt vmcnt(0)
	flat_store_dwordx4 v[32:33], v[4:7] offset:32
	flat_store_dword v[32:33], v0 offset:708
	flat_load_dword v0, v[54:55] offset:8
	s_mov_b64 s[6:7], exec
	;; [unrolled: 32-line block ×6, first 2 shown]
	s_waitcnt vmcnt(0) lgkmcnt(0)
	v_add_u32_e32 v11, v0, v11
	flat_store_dword v[32:33], v11 offset:704
	flat_load_dwordx4 v[0:3], v[52:53]
	s_waitcnt vmcnt(0) lgkmcnt(0)
	v_mov_b32_e32 v3, s37
	flat_store_byte v[32:33], v69 offset:400
.LBB60_97:                              ;   Parent Loop BB60_64 Depth=1
                                        ; =>  This Inner Loop Header: Depth=2
	v_readfirstlane_b32 s8, v0
	v_readfirstlane_b32 s9, v1
	;; [unrolled: 1-line block ×4, first 2 shown]
	v_cmp_eq_u64_e32 vcc, s[8:9], v[0:1]
	v_cmp_eq_u64_e64 s[4:5], s[10:11], v[2:3]
	s_and_b64 s[4:5], vcc, s[4:5]
	s_and_saveexec_b64 s[4:5], s[4:5]
	s_nop 0
	buffer_load_dwordx4 v[4:7], v11, s[8:11], 0 offen
                                        ; implicit-def: $vgpr0_vgpr1_vgpr2_vgpr3
	s_xor_b64 exec, exec, s[4:5]
	s_cbranch_execnz .LBB60_97
; %bb.98:                               ;   in Loop: Header=BB60_64 Depth=1
	s_mov_b64 exec, s[6:7]
	s_waitcnt vmcnt(0)
	flat_store_dwordx4 v[32:33], v[4:7] offset:112
	flat_load_dwordx3 v[0:2], v[50:51]
	s_waitcnt vmcnt(0) lgkmcnt(0)
	v_add_u32_e32 v3, -7, v1
	v_add_u32_e32 v6, v1, v10
	v_add_u32_e32 v5, v9, v2
	;; [unrolled: 1-line block ×3, first 2 shown]
	v_cmp_ne_u32_e32 vcc, 0, v3
	flat_store_dwordx3 v[32:33], v[4:6] offset:716
	s_and_saveexec_b64 s[4:5], vcc
	s_cbranch_execz .LBB60_100
; %bb.99:                               ;   in Loop: Header=BB60_64 Depth=1
	v_add_u32_e32 v1, v1, v13
	flat_store_dword v[32:33], v1 offset:708
.LBB60_100:                             ;   in Loop: Header=BB60_64 Depth=1
	s_or_b64 exec, exec, s[4:5]
	v_or_b32_e32 v1, v2, v0
	v_cmp_ne_u32_e32 vcc, 0, v1
	v_mov_b32_e32 v4, 0
	s_and_saveexec_b64 s[4:5], vcc
	s_cbranch_execz .LBB60_102
; %bb.101:                              ;   in Loop: Header=BB60_64 Depth=1
	flat_load_dword v4, v[54:55] offset:24
	flat_load_dword v6, v[32:33] offset:712
	s_waitcnt vmcnt(0) lgkmcnt(0)
	v_mad_u64_u32 v[4:5], s[6:7], v4, v0, v[2:3]
	v_add_u32_e32 v0, v4, v6
	flat_store_dword v[32:33], v0 offset:712
.LBB60_102:                             ;   in Loop: Header=BB60_64 Depth=1
	s_or_b64 exec, exec, s[4:5]
	v_or_b32_e32 v0, v1, v3
	v_cmp_ne_u32_e32 vcc, 0, v0
	s_and_saveexec_b64 s[4:5], vcc
	s_cbranch_execz .LBB60_104
; %bb.103:                              ;   in Loop: Header=BB60_64 Depth=1
	flat_load_dword v0, v[54:55] offset:8
	s_waitcnt vmcnt(0) lgkmcnt(0)
	v_mul_lo_u32 v0, v0, v3
	v_add3_u32 v0, v4, v11, v0
	flat_store_dword v[32:33], v0 offset:704
.LBB60_104:                             ;   in Loop: Header=BB60_64 Depth=1
	s_or_b64 exec, exec, s[4:5]
	v_mov_b32_e32 v65, s34
	v_mov_b32_e32 v67, s29
	;; [unrolled: 1-line block ×10, first 2 shown]
	buffer_store_dword v65, off, s[0:3], s33 offset:12
	buffer_store_dword v67, off, s[0:3], s33 offset:8
	;; [unrolled: 1-line block ×10, first 2 shown]
	s_getpc_b64 s[4:5]
	s_add_u32 s4, s4, _ZNK2ck6detail7applierIiJLi0ELi1ELi2ELi3ELi4ELi5ELi6ELi7EEEclIZNKS_11static_fordINS_8SequenceIJLi1ELi8EEEENS5_IJLi0ELi1EEEEEclIZZZNKS_52BlockwiseGemmXdlops_pipeline_bpreshuffle_bdequant_v3ILNS_26BlockGemmPipelineSchedulerE0ELi256ENS_9f8_fnuz_tENS_7pk_i4_tESC_fNS_16TensorDescriptorINS_5TupleIJNS_5EmbedINSF_IJNS_17integral_constantIiLi8EEENSH_IiLi256EEENSH_IiLi16EEEEEENSF_IJSK_NSH_IiLi128EEENSH_IiLi1EEEEEELb0EEENS_3XorINSF_IJSJ_SI_EEELb1EEENS_11PassThroughISK_EENS_7UnMergeINSF_IJSI_SN_EEELb0EEENST_ISJ_EESU_NST_ISI_EENS_21Merge_v3_division_modINSF_IJSJ_SN_EEEEESU_EEENSF_IJNS5_IJLi0EEEENS5_IJLi2ELi1EEEENS5_IJLi3EEEENS5_IJLi5EEEENS5_IJLi4EEEENS5_IJLi6EEEENS5_IJLi7EEEENS5_IJLi9ELi8EEEENS5_IJLi10EEEEEEENSF_IJNS5_IJLi1ELi2ELi3EEEENS5_IJLi4ELi5EEEES19_NS5_IJLi7ELi8EEEENS5_IJLi9EEEES1C_NS5_IJLi11EEEENS5_IJLi12EEEENS5_IJLi13EEEEEEENS5_IJLi11ELi12ELi13EEEENSH_IlLl32768EEEEENSE_INSF_IJNSV_INSF_IJSI_SN_SN_NSH_IiLi32EEEEEELb0EEEEEENSF_IJS14_EEENSF_IJNS5_IJLi1ELi2ELi3ELi4EEEEEEES1U_NSH_IlLl256EEEEENSE_INSF_IJSP_SS_SU_SX_SY_SU_SZ_S12_SU_NS10_INSF_IJSI_SK_EEEEENSV_INSF_IJSI_NSH_IiLi2EEESK_EEELb0EEEEEENSF_IJS14_S15_S16_S17_S18_S19_S1A_S1B_S1C_NS5_IJLi11ELi13EEEES1J_EEENSF_IJS1E_S1F_S19_S1G_S1H_S1C_S1I_S1J_S1K_NS5_IJLi14EEEENS5_IJLi15ELi16ELi17EEEEEEENS5_IJLi15ELi16ELi17ELi14EEEES1N_EENSE_INSF_IJS1R_NS10_ISW_EES22_EEENSF_IJS14_NS5_IJLi1ELi3EEEENS5_IJLi2EEEEEEENSF_IJS1U_S17_NS5_IJLi6ELi7ELi8EEEEEEENS5_IJLi6ELi7ELi8ELi5EEEES1W_EELi16ELi32ELi256ELi256ELi128ELi16ELi16ELi8ELi8ELi32ELb0EE3RunILb1ELNS_10TailNumberE1ENSE_INSF_IJNSG_INSF_IJiiEEENSF_IJiSN_EEELb0EEENSV_IS2N_Lb0EEENST_IiEEEEENSF_IJS14_S2E_NS5_IJLi1EEEEEEENSF_IJNS5_IJLi1ELi2EEEENS5_IJLi3ELi4EEEES17_EEENS5_IJLi3ELi5ELi4EEEElEES1O_NS_35ThreadGroupTensorSliceTransfer_v4r1INS_15ThisThreadBlockILi256EEENS_16tensor_operation12element_wise11PassThroughES35_LNS_25InMemoryDataOperationEnumE0ENS5_IJLi8ELi256ELi16EEEENS5_IJLi8ELi32ELi1EEEENS5_IJLi1ELi0ELi2EEEESC_SC_RKS2Z_KS1O_S39_NS5_IJLi0ELi1ELi2EEEELi2ELi2ELi16ELi16ELi1ELi1ELb0ELb1ELi2EiEENS_13DynamicBufferILNS_16AddressSpaceEnumE1EKSC_lLb1ELNS_22AmdBufferCoherenceEnumE0EiEENSF_IJNS3F_ILS3G_2ESC_S1N_Lb1ELS3I_0EiEES3K_EEENSF_IJiiiEEENSE_INSF_IJNSG_INSF_IJiiiiEEENSF_IJiiiSN_EEELb0EEEEEES1T_S1V_S1U_lEENS_32ThreadwiseTensorSliceTransfer_v2ISD_SD_RKS3R_KS1X_NS5_IJLi8ELi1ELi1ELi32EEEENS5_IJLi1ELi2ELi0ELi3EEEELi3ELi32ELi0ELb1ELb0ELb0EEENS3F_ILS3G_1EKSD_lLb1ELS3I_0EiEENSF_IJNS_12StaticBufferILS3G_4ESD_Li256ELb1EEES42_EEES3N_NS_25StaticBufferTupleOfVectorILS3G_4EfLi64ELi4ELb1ELb0EEEEEvRKT1_RKT2_RT3_RKT4_RT5_RKT6_RKT7_RT8_RKT9_RT10_RKT11_RT12_iENKUlT_T0_E_clINSH_IiLi0EEESN_EEDaS51_S52_ENKUlS51_E_clIS20_EEDaS51_EUlS51_E_EEvS51_EUlS51_E_EEvS51_@rel32@lo+4
	s_addc_u32 s5, s5, _ZNK2ck6detail7applierIiJLi0ELi1ELi2ELi3ELi4ELi5ELi6ELi7EEEclIZNKS_11static_fordINS_8SequenceIJLi1ELi8EEEENS5_IJLi0ELi1EEEEEclIZZZNKS_52BlockwiseGemmXdlops_pipeline_bpreshuffle_bdequant_v3ILNS_26BlockGemmPipelineSchedulerE0ELi256ENS_9f8_fnuz_tENS_7pk_i4_tESC_fNS_16TensorDescriptorINS_5TupleIJNS_5EmbedINSF_IJNS_17integral_constantIiLi8EEENSH_IiLi256EEENSH_IiLi16EEEEEENSF_IJSK_NSH_IiLi128EEENSH_IiLi1EEEEEELb0EEENS_3XorINSF_IJSJ_SI_EEELb1EEENS_11PassThroughISK_EENS_7UnMergeINSF_IJSI_SN_EEELb0EEENST_ISJ_EESU_NST_ISI_EENS_21Merge_v3_division_modINSF_IJSJ_SN_EEEEESU_EEENSF_IJNS5_IJLi0EEEENS5_IJLi2ELi1EEEENS5_IJLi3EEEENS5_IJLi5EEEENS5_IJLi4EEEENS5_IJLi6EEEENS5_IJLi7EEEENS5_IJLi9ELi8EEEENS5_IJLi10EEEEEEENSF_IJNS5_IJLi1ELi2ELi3EEEENS5_IJLi4ELi5EEEES19_NS5_IJLi7ELi8EEEENS5_IJLi9EEEES1C_NS5_IJLi11EEEENS5_IJLi12EEEENS5_IJLi13EEEEEEENS5_IJLi11ELi12ELi13EEEENSH_IlLl32768EEEEENSE_INSF_IJNSV_INSF_IJSI_SN_SN_NSH_IiLi32EEEEEELb0EEEEEENSF_IJS14_EEENSF_IJNS5_IJLi1ELi2ELi3ELi4EEEEEEES1U_NSH_IlLl256EEEEENSE_INSF_IJSP_SS_SU_SX_SY_SU_SZ_S12_SU_NS10_INSF_IJSI_SK_EEEEENSV_INSF_IJSI_NSH_IiLi2EEESK_EEELb0EEEEEENSF_IJS14_S15_S16_S17_S18_S19_S1A_S1B_S1C_NS5_IJLi11ELi13EEEES1J_EEENSF_IJS1E_S1F_S19_S1G_S1H_S1C_S1I_S1J_S1K_NS5_IJLi14EEEENS5_IJLi15ELi16ELi17EEEEEEENS5_IJLi15ELi16ELi17ELi14EEEES1N_EENSE_INSF_IJS1R_NS10_ISW_EES22_EEENSF_IJS14_NS5_IJLi1ELi3EEEENS5_IJLi2EEEEEEENSF_IJS1U_S17_NS5_IJLi6ELi7ELi8EEEEEEENS5_IJLi6ELi7ELi8ELi5EEEES1W_EELi16ELi32ELi256ELi256ELi128ELi16ELi16ELi8ELi8ELi32ELb0EE3RunILb1ELNS_10TailNumberE1ENSE_INSF_IJNSG_INSF_IJiiEEENSF_IJiSN_EEELb0EEENSV_IS2N_Lb0EEENST_IiEEEEENSF_IJS14_S2E_NS5_IJLi1EEEEEEENSF_IJNS5_IJLi1ELi2EEEENS5_IJLi3ELi4EEEES17_EEENS5_IJLi3ELi5ELi4EEEElEES1O_NS_35ThreadGroupTensorSliceTransfer_v4r1INS_15ThisThreadBlockILi256EEENS_16tensor_operation12element_wise11PassThroughES35_LNS_25InMemoryDataOperationEnumE0ENS5_IJLi8ELi256ELi16EEEENS5_IJLi8ELi32ELi1EEEENS5_IJLi1ELi0ELi2EEEESC_SC_RKS2Z_KS1O_S39_NS5_IJLi0ELi1ELi2EEEELi2ELi2ELi16ELi16ELi1ELi1ELb0ELb1ELi2EiEENS_13DynamicBufferILNS_16AddressSpaceEnumE1EKSC_lLb1ELNS_22AmdBufferCoherenceEnumE0EiEENSF_IJNS3F_ILS3G_2ESC_S1N_Lb1ELS3I_0EiEES3K_EEENSF_IJiiiEEENSE_INSF_IJNSG_INSF_IJiiiiEEENSF_IJiiiSN_EEELb0EEEEEES1T_S1V_S1U_lEENS_32ThreadwiseTensorSliceTransfer_v2ISD_SD_RKS3R_KS1X_NS5_IJLi8ELi1ELi1ELi32EEEENS5_IJLi1ELi2ELi0ELi3EEEELi3ELi32ELi0ELb1ELb0ELb0EEENS3F_ILS3G_1EKSD_lLb1ELS3I_0EiEENSF_IJNS_12StaticBufferILS3G_4ESD_Li256ELb1EEES42_EEES3N_NS_25StaticBufferTupleOfVectorILS3G_4EfLi64ELi4ELb1ELb0EEEEEvRKT1_RKT2_RT3_RKT4_RT5_RKT6_RKT7_RT8_RKT9_RT10_RKT11_RT12_iENKUlT_T0_E_clINSH_IiLi0EEESN_EEDaS51_S52_ENKUlS51_E_clIS20_EEDaS51_EUlS51_E_EEvS51_EUlS51_E_EEvS51_@rel32@hi+12
	s_swappc_b64 s[30:31], s[4:5]
	flat_load_dwordx2 v[12:13], v[30:31] offset:1148
	flat_load_dwordx2 v[14:15], v[30:31] offset:1164
	flat_load_dwordx4 v[0:3], v[30:31] offset:1176
	flat_load_dwordx3 v[8:10], v[30:31] offset:1132
	flat_load_dwordx2 v[16:17], v[28:29]
	s_getpc_b64 s[20:21]
	s_add_u32 s20, s20, _ZNK2ck44ThreadwiseTensorSliceTransfer_StaticToStaticINS_7pk_i4_tENS_9f8_fnuz_tEKNS_16TensorDescriptorINS_5TupleIJNS_7UnMergeINS4_IJNS_17integral_constantIiLi8EEENS6_IiLi1EEES8_NS6_IiLi32EEEEEELb0EEEEEENS4_IJNS_8SequenceIJLi0EEEEEEENS4_IJNSD_IJLi1ELi2ELi3ELi4EEEEEEESG_NS6_IlLl256EEEEESK_NS_16tensor_operation12element_wise11PassThroughENSD_IJLi8ELi1ELi1ELi32EEEENSD_IJLi1ELi2ELi0ELi3EEEELi3ELi32ELb0EE3RunINS4_IJNS6_IiLi0EEESS_SS_SS_EEEST_NS_12StaticBufferILNS_16AddressSpaceEnumE4ES1_Li256ELb1EEENSU_ILSV_4ES2_Li256ELb1EEEEEvRSK_RKT_RKT1_SY_RKT0_RT2_@rel32@lo+4
	s_addc_u32 s21, s21, _ZNK2ck44ThreadwiseTensorSliceTransfer_StaticToStaticINS_7pk_i4_tENS_9f8_fnuz_tEKNS_16TensorDescriptorINS_5TupleIJNS_7UnMergeINS4_IJNS_17integral_constantIiLi8EEENS6_IiLi1EEES8_NS6_IiLi32EEEEEELb0EEEEEENS4_IJNS_8SequenceIJLi0EEEEEEENS4_IJNSD_IJLi1ELi2ELi3ELi4EEEEEEESG_NS6_IlLl256EEEEESK_NS_16tensor_operation12element_wise11PassThroughENSD_IJLi8ELi1ELi1ELi32EEEENSD_IJLi1ELi2ELi0ELi3EEEELi3ELi32ELb0EE3RunINS4_IJNS6_IiLi0EEESS_SS_SS_EEEST_NS_12StaticBufferILNS_16AddressSpaceEnumE4ES1_Li256ELb1EEENSU_ILSV_4ES2_Li256ELb1EEEEEvRSK_RKT_RKT1_SY_RKT0_RT2_@rel32@hi+12
	s_waitcnt vmcnt(0) lgkmcnt(0)
	v_sub_u32_e32 v4, v12, v15
	v_add3_u32 v1, v4, v1, s42
	v_ashrrev_i32_e32 v4, 31, v1
	v_lshrrev_b32_e32 v4, 29, v4
	v_add_u32_e32 v4, v1, v4
	v_and_b32_e32 v4, -8, v4
	v_sub_u32_e32 v5, v13, v14
	v_sub_u32_e32 v6, v1, v10
	;; [unrolled: 1-line block ×3, first 2 shown]
	v_xor_b32_e32 v4, v1, v5
	v_sub_u32_e32 v4, v4, v9
	v_lshlrev_b32_e32 v10, 7, v6
	v_lshlrev_b32_e32 v4, 4, v4
	v_add3_u32 v4, v10, v8, v4
	v_ashrrev_i32_e32 v5, 31, v4
	v_add_co_u32_e32 v4, vcc, v16, v4
	v_addc_co_u32_e32 v5, vcc, v17, v5, vcc
	flat_load_dwordx4 v[4:7], v[4:5]
	v_add_u32_e32 v3, 16, v3
	v_sub_u32_e32 v2, v8, v2
	v_ashrrev_i32_e32 v8, 31, v3
	v_lshrrev_b32_e32 v8, 28, v8
	v_add_u32_e32 v0, v14, v0
	v_add_u32_e32 v8, v3, v8
	v_sub_u32_e32 v0, v13, v0
	v_lshrrev_b32_e32 v11, 4, v8
	v_add_u32_e32 v0, v0, v11
	v_xor_b32_e32 v0, v0, v1
	v_and_b32_e32 v8, -16, v8
	v_sub_u32_e32 v0, v0, v9
	v_add_u32_e32 v2, v2, v10
	v_sub_u32_e32 v3, v3, v8
	v_lshlrev_b32_e32 v0, 4, v0
	v_add3_u32 v0, v2, v3, v0
	v_ashrrev_i32_e32 v1, 31, v0
	v_add_co_u32_e32 v0, vcc, v16, v0
	v_addc_co_u32_e32 v1, vcc, v17, v1, vcc
	s_waitcnt vmcnt(0) lgkmcnt(0)
	buffer_store_dword v4, off, s[0:3], s33 offset:84
	buffer_store_dword v5, off, s[0:3], s33 offset:88
	;; [unrolled: 1-line block ×4, first 2 shown]
	flat_load_dwordx4 v[0:3], v[0:1]
	s_waitcnt vmcnt(0) lgkmcnt(0)
	buffer_store_dword v0, off, s[0:3], s33 offset:100
	buffer_store_dword v1, off, s[0:3], s33 offset:104
	;; [unrolled: 1-line block ×4, first 2 shown]
	v_mov_b32_e32 v0, s24
	v_mov_b32_e32 v1, s26
	;; [unrolled: 1-line block ×4, first 2 shown]
	s_swappc_b64 s[30:31], s[20:21]
	; sched_group_barrier mask(0x00000008) size(3) SyncID(0)
	; sched_group_barrier mask(0x00000020) size(1) SyncID(0)
	;; [unrolled: 1-line block ×20, first 2 shown]
	; sched_barrier mask(0x00000000)
	v_mov_b32_e32 v0, s35
	v_mov_b32_e32 v1, s36
	buffer_store_dword v65, off, s[0:3], s33 offset:12
	buffer_store_dword v67, off, s[0:3], s33 offset:8
	;; [unrolled: 1-line block ×10, first 2 shown]
	s_getpc_b64 s[4:5]
	s_add_u32 s4, s4, _ZNK2ck6detail7applierIiJLi0ELi1ELi2ELi3ELi4ELi5ELi6ELi7EEEclIZNKS_11static_fordINS_8SequenceIJLi1ELi8EEEENS5_IJLi0ELi1EEEEEclIZZZNKS_52BlockwiseGemmXdlops_pipeline_bpreshuffle_bdequant_v3ILNS_26BlockGemmPipelineSchedulerE0ELi256ENS_9f8_fnuz_tENS_7pk_i4_tESC_fNS_16TensorDescriptorINS_5TupleIJNS_5EmbedINSF_IJNS_17integral_constantIiLi8EEENSH_IiLi256EEENSH_IiLi16EEEEEENSF_IJSK_NSH_IiLi128EEENSH_IiLi1EEEEEELb0EEENS_3XorINSF_IJSJ_SI_EEELb1EEENS_11PassThroughISK_EENS_7UnMergeINSF_IJSI_SN_EEELb0EEENST_ISJ_EESU_NST_ISI_EENS_21Merge_v3_division_modINSF_IJSJ_SN_EEEEESU_EEENSF_IJNS5_IJLi0EEEENS5_IJLi2ELi1EEEENS5_IJLi3EEEENS5_IJLi5EEEENS5_IJLi4EEEENS5_IJLi6EEEENS5_IJLi7EEEENS5_IJLi9ELi8EEEENS5_IJLi10EEEEEEENSF_IJNS5_IJLi1ELi2ELi3EEEENS5_IJLi4ELi5EEEES19_NS5_IJLi7ELi8EEEENS5_IJLi9EEEES1C_NS5_IJLi11EEEENS5_IJLi12EEEENS5_IJLi13EEEEEEENS5_IJLi11ELi12ELi13EEEENSH_IlLl32768EEEEENSE_INSF_IJNSV_INSF_IJSI_SN_SN_NSH_IiLi32EEEEEELb0EEEEEENSF_IJS14_EEENSF_IJNS5_IJLi1ELi2ELi3ELi4EEEEEEES1U_NSH_IlLl256EEEEENSE_INSF_IJSP_SS_SU_SX_SY_SU_SZ_S12_SU_NS10_INSF_IJSI_SK_EEEEENSV_INSF_IJSI_NSH_IiLi2EEESK_EEELb0EEEEEENSF_IJS14_S15_S16_S17_S18_S19_S1A_S1B_S1C_NS5_IJLi11ELi13EEEES1J_EEENSF_IJS1E_S1F_S19_S1G_S1H_S1C_S1I_S1J_S1K_NS5_IJLi14EEEENS5_IJLi15ELi16ELi17EEEEEEENS5_IJLi15ELi16ELi17ELi14EEEES1N_EENSE_INSF_IJS1R_NS10_ISW_EES22_EEENSF_IJS14_NS5_IJLi1ELi3EEEENS5_IJLi2EEEEEEENSF_IJS1U_S17_NS5_IJLi6ELi7ELi8EEEEEEENS5_IJLi6ELi7ELi8ELi5EEEES1W_EELi16ELi32ELi256ELi256ELi128ELi16ELi16ELi8ELi8ELi32ELb0EE3RunILb1ELNS_10TailNumberE1ENSE_INSF_IJNSG_INSF_IJiiEEENSF_IJiSN_EEELb0EEENSV_IS2N_Lb0EEENST_IiEEEEENSF_IJS14_S2E_NS5_IJLi1EEEEEEENSF_IJNS5_IJLi1ELi2EEEENS5_IJLi3ELi4EEEES17_EEENS5_IJLi3ELi5ELi4EEEElEES1O_NS_35ThreadGroupTensorSliceTransfer_v4r1INS_15ThisThreadBlockILi256EEENS_16tensor_operation12element_wise11PassThroughES35_LNS_25InMemoryDataOperationEnumE0ENS5_IJLi8ELi256ELi16EEEENS5_IJLi8ELi32ELi1EEEENS5_IJLi1ELi0ELi2EEEESC_SC_RKS2Z_KS1O_S39_NS5_IJLi0ELi1ELi2EEEELi2ELi2ELi16ELi16ELi1ELi1ELb0ELb1ELi2EiEENS_13DynamicBufferILNS_16AddressSpaceEnumE1EKSC_lLb1ELNS_22AmdBufferCoherenceEnumE0EiEENSF_IJNS3F_ILS3G_2ESC_S1N_Lb1ELS3I_0EiEES3K_EEENSF_IJiiiEEENSE_INSF_IJNSG_INSF_IJiiiiEEENSF_IJiiiSN_EEELb0EEEEEES1T_S1V_S1U_lEENS_32ThreadwiseTensorSliceTransfer_v2ISD_SD_RKS3R_KS1X_NS5_IJLi8ELi1ELi1ELi32EEEENS5_IJLi1ELi2ELi0ELi3EEEELi3ELi32ELi0ELb1ELb0ELb0EEENS3F_ILS3G_1EKSD_lLb1ELS3I_0EiEENSF_IJNS_12StaticBufferILS3G_4ESD_Li256ELb1EEES42_EEES3N_NS_25StaticBufferTupleOfVectorILS3G_4EfLi64ELi4ELb1ELb0EEEEEvRKT1_RKT2_RT3_RKT4_RT5_RKT6_RKT7_RT8_RKT9_RT10_RKT11_RT12_iENKUlT_T0_E_clINSH_IiLi0EEESN_EEDaS51_S52_ENKUlS51_E_clINSH_IiLi3EEEEEDaS51_EUlS51_E_EEvS51_EUlS51_E_EEvS51_@rel32@lo+4
	s_addc_u32 s5, s5, _ZNK2ck6detail7applierIiJLi0ELi1ELi2ELi3ELi4ELi5ELi6ELi7EEEclIZNKS_11static_fordINS_8SequenceIJLi1ELi8EEEENS5_IJLi0ELi1EEEEEclIZZZNKS_52BlockwiseGemmXdlops_pipeline_bpreshuffle_bdequant_v3ILNS_26BlockGemmPipelineSchedulerE0ELi256ENS_9f8_fnuz_tENS_7pk_i4_tESC_fNS_16TensorDescriptorINS_5TupleIJNS_5EmbedINSF_IJNS_17integral_constantIiLi8EEENSH_IiLi256EEENSH_IiLi16EEEEEENSF_IJSK_NSH_IiLi128EEENSH_IiLi1EEEEEELb0EEENS_3XorINSF_IJSJ_SI_EEELb1EEENS_11PassThroughISK_EENS_7UnMergeINSF_IJSI_SN_EEELb0EEENST_ISJ_EESU_NST_ISI_EENS_21Merge_v3_division_modINSF_IJSJ_SN_EEEEESU_EEENSF_IJNS5_IJLi0EEEENS5_IJLi2ELi1EEEENS5_IJLi3EEEENS5_IJLi5EEEENS5_IJLi4EEEENS5_IJLi6EEEENS5_IJLi7EEEENS5_IJLi9ELi8EEEENS5_IJLi10EEEEEEENSF_IJNS5_IJLi1ELi2ELi3EEEENS5_IJLi4ELi5EEEES19_NS5_IJLi7ELi8EEEENS5_IJLi9EEEES1C_NS5_IJLi11EEEENS5_IJLi12EEEENS5_IJLi13EEEEEEENS5_IJLi11ELi12ELi13EEEENSH_IlLl32768EEEEENSE_INSF_IJNSV_INSF_IJSI_SN_SN_NSH_IiLi32EEEEEELb0EEEEEENSF_IJS14_EEENSF_IJNS5_IJLi1ELi2ELi3ELi4EEEEEEES1U_NSH_IlLl256EEEEENSE_INSF_IJSP_SS_SU_SX_SY_SU_SZ_S12_SU_NS10_INSF_IJSI_SK_EEEEENSV_INSF_IJSI_NSH_IiLi2EEESK_EEELb0EEEEEENSF_IJS14_S15_S16_S17_S18_S19_S1A_S1B_S1C_NS5_IJLi11ELi13EEEES1J_EEENSF_IJS1E_S1F_S19_S1G_S1H_S1C_S1I_S1J_S1K_NS5_IJLi14EEEENS5_IJLi15ELi16ELi17EEEEEEENS5_IJLi15ELi16ELi17ELi14EEEES1N_EENSE_INSF_IJS1R_NS10_ISW_EES22_EEENSF_IJS14_NS5_IJLi1ELi3EEEENS5_IJLi2EEEEEEENSF_IJS1U_S17_NS5_IJLi6ELi7ELi8EEEEEEENS5_IJLi6ELi7ELi8ELi5EEEES1W_EELi16ELi32ELi256ELi256ELi128ELi16ELi16ELi8ELi8ELi32ELb0EE3RunILb1ELNS_10TailNumberE1ENSE_INSF_IJNSG_INSF_IJiiEEENSF_IJiSN_EEELb0EEENSV_IS2N_Lb0EEENST_IiEEEEENSF_IJS14_S2E_NS5_IJLi1EEEEEEENSF_IJNS5_IJLi1ELi2EEEENS5_IJLi3ELi4EEEES17_EEENS5_IJLi3ELi5ELi4EEEElEES1O_NS_35ThreadGroupTensorSliceTransfer_v4r1INS_15ThisThreadBlockILi256EEENS_16tensor_operation12element_wise11PassThroughES35_LNS_25InMemoryDataOperationEnumE0ENS5_IJLi8ELi256ELi16EEEENS5_IJLi8ELi32ELi1EEEENS5_IJLi1ELi0ELi2EEEESC_SC_RKS2Z_KS1O_S39_NS5_IJLi0ELi1ELi2EEEELi2ELi2ELi16ELi16ELi1ELi1ELb0ELb1ELi2EiEENS_13DynamicBufferILNS_16AddressSpaceEnumE1EKSC_lLb1ELNS_22AmdBufferCoherenceEnumE0EiEENSF_IJNS3F_ILS3G_2ESC_S1N_Lb1ELS3I_0EiEES3K_EEENSF_IJiiiEEENSE_INSF_IJNSG_INSF_IJiiiiEEENSF_IJiiiSN_EEELb0EEEEEES1T_S1V_S1U_lEENS_32ThreadwiseTensorSliceTransfer_v2ISD_SD_RKS3R_KS1X_NS5_IJLi8ELi1ELi1ELi32EEEENS5_IJLi1ELi2ELi0ELi3EEEELi3ELi32ELi0ELb1ELb0ELb0EEENS3F_ILS3G_1EKSD_lLb1ELS3I_0EiEENSF_IJNS_12StaticBufferILS3G_4ESD_Li256ELb1EEES42_EEES3N_NS_25StaticBufferTupleOfVectorILS3G_4EfLi64ELi4ELb1ELb0EEEEEvRKT1_RKT2_RT3_RKT4_RT5_RKT6_RKT7_RT8_RKT9_RT10_RKT11_RT12_iENKUlT_T0_E_clINSH_IiLi0EEESN_EEDaS51_S52_ENKUlS51_E_clINSH_IiLi3EEEEEDaS51_EUlS51_E_EEvS51_EUlS51_E_EEvS51_@rel32@hi+12
	s_swappc_b64 s[30:31], s[4:5]
	flat_load_dwordx2 v[12:13], v[30:31] offset:1148
	flat_load_dwordx2 v[14:15], v[30:31] offset:1164
	flat_load_dwordx4 v[0:3], v[30:31] offset:1176
	flat_load_dwordx3 v[8:10], v[30:31] offset:1132
	flat_load_dwordx2 v[16:17], v[28:29]
	s_waitcnt vmcnt(0) lgkmcnt(0)
	v_sub_u32_e32 v4, v12, v15
	v_add3_u32 v1, v4, v1, s43
	v_ashrrev_i32_e32 v4, 31, v1
	v_lshrrev_b32_e32 v4, 29, v4
	v_add_u32_e32 v4, v1, v4
	v_and_b32_e32 v4, -8, v4
	v_sub_u32_e32 v5, v13, v14
	v_sub_u32_e32 v6, v1, v10
	;; [unrolled: 1-line block ×3, first 2 shown]
	v_xor_b32_e32 v4, v1, v5
	v_sub_u32_e32 v4, v4, v9
	v_lshlrev_b32_e32 v10, 7, v6
	v_lshlrev_b32_e32 v4, 4, v4
	v_add3_u32 v4, v10, v8, v4
	v_ashrrev_i32_e32 v5, 31, v4
	v_add_co_u32_e32 v4, vcc, v16, v4
	v_addc_co_u32_e32 v5, vcc, v17, v5, vcc
	flat_load_dwordx4 v[4:7], v[4:5]
	v_add_u32_e32 v3, 16, v3
	v_sub_u32_e32 v2, v8, v2
	v_ashrrev_i32_e32 v8, 31, v3
	v_lshrrev_b32_e32 v8, 28, v8
	v_add_u32_e32 v0, v14, v0
	v_add_u32_e32 v8, v3, v8
	v_sub_u32_e32 v0, v13, v0
	v_lshrrev_b32_e32 v11, 4, v8
	v_add_u32_e32 v0, v0, v11
	v_xor_b32_e32 v0, v0, v1
	v_and_b32_e32 v8, -16, v8
	v_sub_u32_e32 v0, v0, v9
	v_add_u32_e32 v2, v2, v10
	v_sub_u32_e32 v3, v3, v8
	v_lshlrev_b32_e32 v0, 4, v0
	v_add3_u32 v0, v2, v3, v0
	v_ashrrev_i32_e32 v1, 31, v0
	v_add_co_u32_e32 v0, vcc, v16, v0
	v_addc_co_u32_e32 v1, vcc, v17, v1, vcc
	s_waitcnt vmcnt(0) lgkmcnt(0)
	buffer_store_dword v4, off, s[0:3], s33 offset:52
	buffer_store_dword v5, off, s[0:3], s33 offset:56
	;; [unrolled: 1-line block ×4, first 2 shown]
	flat_load_dwordx4 v[0:3], v[0:1]
	s_waitcnt vmcnt(0) lgkmcnt(0)
	buffer_store_dword v0, off, s[0:3], s33 offset:68
	buffer_store_dword v1, off, s[0:3], s33 offset:72
	;; [unrolled: 1-line block ×4, first 2 shown]
	v_mov_b32_e32 v0, s24
	v_mov_b32_e32 v1, s26
	;; [unrolled: 1-line block ×4, first 2 shown]
	s_swappc_b64 s[30:31], s[20:21]
	; sched_group_barrier mask(0x00000008) size(16) SyncID(0)
	; sched_group_barrier mask(0x00000100) size(1) SyncID(0)
	;; [unrolled: 1-line block ×4, first 2 shown]
	; sched_barrier mask(0x00000000)
	v_mov_b32_e32 v0, s35
	v_mov_b32_e32 v1, s36
	buffer_store_dword v65, off, s[0:3], s33 offset:12
	buffer_store_dword v67, off, s[0:3], s33 offset:8
	;; [unrolled: 1-line block ×10, first 2 shown]
	s_getpc_b64 s[4:5]
	s_add_u32 s4, s4, _ZNK2ck6detail7applierIiJLi0ELi1ELi2ELi3ELi4ELi5ELi6ELi7EEEclIZNKS_11static_fordINS_8SequenceIJLi1ELi8EEEENS5_IJLi0ELi1EEEEEclIZZZNKS_52BlockwiseGemmXdlops_pipeline_bpreshuffle_bdequant_v3ILNS_26BlockGemmPipelineSchedulerE0ELi256ENS_9f8_fnuz_tENS_7pk_i4_tESC_fNS_16TensorDescriptorINS_5TupleIJNS_5EmbedINSF_IJNS_17integral_constantIiLi8EEENSH_IiLi256EEENSH_IiLi16EEEEEENSF_IJSK_NSH_IiLi128EEENSH_IiLi1EEEEEELb0EEENS_3XorINSF_IJSJ_SI_EEELb1EEENS_11PassThroughISK_EENS_7UnMergeINSF_IJSI_SN_EEELb0EEENST_ISJ_EESU_NST_ISI_EENS_21Merge_v3_division_modINSF_IJSJ_SN_EEEEESU_EEENSF_IJNS5_IJLi0EEEENS5_IJLi2ELi1EEEENS5_IJLi3EEEENS5_IJLi5EEEENS5_IJLi4EEEENS5_IJLi6EEEENS5_IJLi7EEEENS5_IJLi9ELi8EEEENS5_IJLi10EEEEEEENSF_IJNS5_IJLi1ELi2ELi3EEEENS5_IJLi4ELi5EEEES19_NS5_IJLi7ELi8EEEENS5_IJLi9EEEES1C_NS5_IJLi11EEEENS5_IJLi12EEEENS5_IJLi13EEEEEEENS5_IJLi11ELi12ELi13EEEENSH_IlLl32768EEEEENSE_INSF_IJNSV_INSF_IJSI_SN_SN_NSH_IiLi32EEEEEELb0EEEEEENSF_IJS14_EEENSF_IJNS5_IJLi1ELi2ELi3ELi4EEEEEEES1U_NSH_IlLl256EEEEENSE_INSF_IJSP_SS_SU_SX_SY_SU_SZ_S12_SU_NS10_INSF_IJSI_SK_EEEEENSV_INSF_IJSI_NSH_IiLi2EEESK_EEELb0EEEEEENSF_IJS14_S15_S16_S17_S18_S19_S1A_S1B_S1C_NS5_IJLi11ELi13EEEES1J_EEENSF_IJS1E_S1F_S19_S1G_S1H_S1C_S1I_S1J_S1K_NS5_IJLi14EEEENS5_IJLi15ELi16ELi17EEEEEEENS5_IJLi15ELi16ELi17ELi14EEEES1N_EENSE_INSF_IJS1R_NS10_ISW_EES22_EEENSF_IJS14_NS5_IJLi1ELi3EEEENS5_IJLi2EEEEEEENSF_IJS1U_S17_NS5_IJLi6ELi7ELi8EEEEEEENS5_IJLi6ELi7ELi8ELi5EEEES1W_EELi16ELi32ELi256ELi256ELi128ELi16ELi16ELi8ELi8ELi32ELb0EE3RunILb1ELNS_10TailNumberE1ENSE_INSF_IJNSG_INSF_IJiiEEENSF_IJiSN_EEELb0EEENSV_IS2N_Lb0EEENST_IiEEEEENSF_IJS14_S2E_NS5_IJLi1EEEEEEENSF_IJNS5_IJLi1ELi2EEEENS5_IJLi3ELi4EEEES17_EEENS5_IJLi3ELi5ELi4EEEElEES1O_NS_35ThreadGroupTensorSliceTransfer_v4r1INS_15ThisThreadBlockILi256EEENS_16tensor_operation12element_wise11PassThroughES35_LNS_25InMemoryDataOperationEnumE0ENS5_IJLi8ELi256ELi16EEEENS5_IJLi8ELi32ELi1EEEENS5_IJLi1ELi0ELi2EEEESC_SC_RKS2Z_KS1O_S39_NS5_IJLi0ELi1ELi2EEEELi2ELi2ELi16ELi16ELi1ELi1ELb0ELb1ELi2EiEENS_13DynamicBufferILNS_16AddressSpaceEnumE1EKSC_lLb1ELNS_22AmdBufferCoherenceEnumE0EiEENSF_IJNS3F_ILS3G_2ESC_S1N_Lb1ELS3I_0EiEES3K_EEENSF_IJiiiEEENSE_INSF_IJNSG_INSF_IJiiiiEEENSF_IJiiiSN_EEELb0EEEEEES1T_S1V_S1U_lEENS_32ThreadwiseTensorSliceTransfer_v2ISD_SD_RKS3R_KS1X_NS5_IJLi8ELi1ELi1ELi32EEEENS5_IJLi1ELi2ELi0ELi3EEEELi3ELi32ELi0ELb1ELb0ELb0EEENS3F_ILS3G_1EKSD_lLb1ELS3I_0EiEENSF_IJNS_12StaticBufferILS3G_4ESD_Li256ELb1EEES42_EEES3N_NS_25StaticBufferTupleOfVectorILS3G_4EfLi64ELi4ELb1ELb0EEEEEvRKT1_RKT2_RT3_RKT4_RT5_RKT6_RKT7_RT8_RKT9_RT10_RKT11_RT12_iENKUlT_T0_E_clINSH_IiLi0EEESN_EEDaS51_S52_ENKUlS51_E_clINSH_IiLi4EEEEEDaS51_EUlS51_E_EEvS51_EUlS51_E_EEvS51_@rel32@lo+4
	s_addc_u32 s5, s5, _ZNK2ck6detail7applierIiJLi0ELi1ELi2ELi3ELi4ELi5ELi6ELi7EEEclIZNKS_11static_fordINS_8SequenceIJLi1ELi8EEEENS5_IJLi0ELi1EEEEEclIZZZNKS_52BlockwiseGemmXdlops_pipeline_bpreshuffle_bdequant_v3ILNS_26BlockGemmPipelineSchedulerE0ELi256ENS_9f8_fnuz_tENS_7pk_i4_tESC_fNS_16TensorDescriptorINS_5TupleIJNS_5EmbedINSF_IJNS_17integral_constantIiLi8EEENSH_IiLi256EEENSH_IiLi16EEEEEENSF_IJSK_NSH_IiLi128EEENSH_IiLi1EEEEEELb0EEENS_3XorINSF_IJSJ_SI_EEELb1EEENS_11PassThroughISK_EENS_7UnMergeINSF_IJSI_SN_EEELb0EEENST_ISJ_EESU_NST_ISI_EENS_21Merge_v3_division_modINSF_IJSJ_SN_EEEEESU_EEENSF_IJNS5_IJLi0EEEENS5_IJLi2ELi1EEEENS5_IJLi3EEEENS5_IJLi5EEEENS5_IJLi4EEEENS5_IJLi6EEEENS5_IJLi7EEEENS5_IJLi9ELi8EEEENS5_IJLi10EEEEEEENSF_IJNS5_IJLi1ELi2ELi3EEEENS5_IJLi4ELi5EEEES19_NS5_IJLi7ELi8EEEENS5_IJLi9EEEES1C_NS5_IJLi11EEEENS5_IJLi12EEEENS5_IJLi13EEEEEEENS5_IJLi11ELi12ELi13EEEENSH_IlLl32768EEEEENSE_INSF_IJNSV_INSF_IJSI_SN_SN_NSH_IiLi32EEEEEELb0EEEEEENSF_IJS14_EEENSF_IJNS5_IJLi1ELi2ELi3ELi4EEEEEEES1U_NSH_IlLl256EEEEENSE_INSF_IJSP_SS_SU_SX_SY_SU_SZ_S12_SU_NS10_INSF_IJSI_SK_EEEEENSV_INSF_IJSI_NSH_IiLi2EEESK_EEELb0EEEEEENSF_IJS14_S15_S16_S17_S18_S19_S1A_S1B_S1C_NS5_IJLi11ELi13EEEES1J_EEENSF_IJS1E_S1F_S19_S1G_S1H_S1C_S1I_S1J_S1K_NS5_IJLi14EEEENS5_IJLi15ELi16ELi17EEEEEEENS5_IJLi15ELi16ELi17ELi14EEEES1N_EENSE_INSF_IJS1R_NS10_ISW_EES22_EEENSF_IJS14_NS5_IJLi1ELi3EEEENS5_IJLi2EEEEEEENSF_IJS1U_S17_NS5_IJLi6ELi7ELi8EEEEEEENS5_IJLi6ELi7ELi8ELi5EEEES1W_EELi16ELi32ELi256ELi256ELi128ELi16ELi16ELi8ELi8ELi32ELb0EE3RunILb1ELNS_10TailNumberE1ENSE_INSF_IJNSG_INSF_IJiiEEENSF_IJiSN_EEELb0EEENSV_IS2N_Lb0EEENST_IiEEEEENSF_IJS14_S2E_NS5_IJLi1EEEEEEENSF_IJNS5_IJLi1ELi2EEEENS5_IJLi3ELi4EEEES17_EEENS5_IJLi3ELi5ELi4EEEElEES1O_NS_35ThreadGroupTensorSliceTransfer_v4r1INS_15ThisThreadBlockILi256EEENS_16tensor_operation12element_wise11PassThroughES35_LNS_25InMemoryDataOperationEnumE0ENS5_IJLi8ELi256ELi16EEEENS5_IJLi8ELi32ELi1EEEENS5_IJLi1ELi0ELi2EEEESC_SC_RKS2Z_KS1O_S39_NS5_IJLi0ELi1ELi2EEEELi2ELi2ELi16ELi16ELi1ELi1ELb0ELb1ELi2EiEENS_13DynamicBufferILNS_16AddressSpaceEnumE1EKSC_lLb1ELNS_22AmdBufferCoherenceEnumE0EiEENSF_IJNS3F_ILS3G_2ESC_S1N_Lb1ELS3I_0EiEES3K_EEENSF_IJiiiEEENSE_INSF_IJNSG_INSF_IJiiiiEEENSF_IJiiiSN_EEELb0EEEEEES1T_S1V_S1U_lEENS_32ThreadwiseTensorSliceTransfer_v2ISD_SD_RKS3R_KS1X_NS5_IJLi8ELi1ELi1ELi32EEEENS5_IJLi1ELi2ELi0ELi3EEEELi3ELi32ELi0ELb1ELb0ELb0EEENS3F_ILS3G_1EKSD_lLb1ELS3I_0EiEENSF_IJNS_12StaticBufferILS3G_4ESD_Li256ELb1EEES42_EEES3N_NS_25StaticBufferTupleOfVectorILS3G_4EfLi64ELi4ELb1ELb0EEEEEvRKT1_RKT2_RT3_RKT4_RT5_RKT6_RKT7_RT8_RKT9_RT10_RKT11_RT12_iENKUlT_T0_E_clINSH_IiLi0EEESN_EEDaS51_S52_ENKUlS51_E_clINSH_IiLi4EEEEEDaS51_EUlS51_E_EEvS51_EUlS51_E_EEvS51_@rel32@hi+12
	s_swappc_b64 s[30:31], s[4:5]
	flat_load_dwordx2 v[12:13], v[30:31] offset:1148
	flat_load_dwordx2 v[14:15], v[30:31] offset:1164
	flat_load_dwordx4 v[0:3], v[30:31] offset:1176
	flat_load_dwordx3 v[8:10], v[30:31] offset:1132
	flat_load_dwordx2 v[16:17], v[28:29]
	s_waitcnt vmcnt(0) lgkmcnt(0)
	v_sub_u32_e32 v4, v12, v15
	v_add3_u32 v1, v4, v1, s44
	v_ashrrev_i32_e32 v4, 31, v1
	v_lshrrev_b32_e32 v4, 29, v4
	v_add_u32_e32 v4, v1, v4
	v_and_b32_e32 v4, -8, v4
	v_sub_u32_e32 v5, v13, v14
	v_sub_u32_e32 v6, v1, v10
	;; [unrolled: 1-line block ×3, first 2 shown]
	v_xor_b32_e32 v4, v1, v5
	v_sub_u32_e32 v4, v4, v9
	v_lshlrev_b32_e32 v10, 7, v6
	v_lshlrev_b32_e32 v4, 4, v4
	v_add3_u32 v4, v10, v8, v4
	v_ashrrev_i32_e32 v5, 31, v4
	v_add_co_u32_e32 v4, vcc, v16, v4
	v_addc_co_u32_e32 v5, vcc, v17, v5, vcc
	flat_load_dwordx4 v[4:7], v[4:5]
	v_add_u32_e32 v3, 16, v3
	v_sub_u32_e32 v2, v8, v2
	v_ashrrev_i32_e32 v8, 31, v3
	v_lshrrev_b32_e32 v8, 28, v8
	v_add_u32_e32 v0, v14, v0
	v_add_u32_e32 v8, v3, v8
	v_sub_u32_e32 v0, v13, v0
	v_lshrrev_b32_e32 v11, 4, v8
	v_add_u32_e32 v0, v0, v11
	v_xor_b32_e32 v0, v0, v1
	v_and_b32_e32 v8, -16, v8
	v_sub_u32_e32 v0, v0, v9
	v_add_u32_e32 v2, v2, v10
	v_sub_u32_e32 v3, v3, v8
	v_lshlrev_b32_e32 v0, 4, v0
	v_add3_u32 v0, v2, v3, v0
	v_ashrrev_i32_e32 v1, 31, v0
	v_add_co_u32_e32 v0, vcc, v16, v0
	v_addc_co_u32_e32 v1, vcc, v17, v1, vcc
	s_waitcnt vmcnt(0) lgkmcnt(0)
	buffer_store_dword v4, off, s[0:3], s33 offset:84
	buffer_store_dword v5, off, s[0:3], s33 offset:88
	;; [unrolled: 1-line block ×4, first 2 shown]
	flat_load_dwordx4 v[0:3], v[0:1]
	s_waitcnt vmcnt(0) lgkmcnt(0)
	buffer_store_dword v0, off, s[0:3], s33 offset:100
	buffer_store_dword v1, off, s[0:3], s33 offset:104
	;; [unrolled: 1-line block ×4, first 2 shown]
	v_mov_b32_e32 v0, s24
	v_mov_b32_e32 v1, s26
	;; [unrolled: 1-line block ×4, first 2 shown]
	s_swappc_b64 s[30:31], s[20:21]
	; sched_group_barrier mask(0x00000008) size(16) SyncID(0)
	; sched_group_barrier mask(0x00000100) size(1) SyncID(0)
	;; [unrolled: 1-line block ×4, first 2 shown]
	; sched_barrier mask(0x00000000)
	v_mov_b32_e32 v0, s35
	v_mov_b32_e32 v1, s36
	buffer_store_dword v65, off, s[0:3], s33 offset:12
	buffer_store_dword v67, off, s[0:3], s33 offset:8
	;; [unrolled: 1-line block ×10, first 2 shown]
	s_getpc_b64 s[4:5]
	s_add_u32 s4, s4, _ZNK2ck6detail7applierIiJLi0ELi1ELi2ELi3ELi4ELi5ELi6ELi7EEEclIZNKS_11static_fordINS_8SequenceIJLi1ELi8EEEENS5_IJLi0ELi1EEEEEclIZZZNKS_52BlockwiseGemmXdlops_pipeline_bpreshuffle_bdequant_v3ILNS_26BlockGemmPipelineSchedulerE0ELi256ENS_9f8_fnuz_tENS_7pk_i4_tESC_fNS_16TensorDescriptorINS_5TupleIJNS_5EmbedINSF_IJNS_17integral_constantIiLi8EEENSH_IiLi256EEENSH_IiLi16EEEEEENSF_IJSK_NSH_IiLi128EEENSH_IiLi1EEEEEELb0EEENS_3XorINSF_IJSJ_SI_EEELb1EEENS_11PassThroughISK_EENS_7UnMergeINSF_IJSI_SN_EEELb0EEENST_ISJ_EESU_NST_ISI_EENS_21Merge_v3_division_modINSF_IJSJ_SN_EEEEESU_EEENSF_IJNS5_IJLi0EEEENS5_IJLi2ELi1EEEENS5_IJLi3EEEENS5_IJLi5EEEENS5_IJLi4EEEENS5_IJLi6EEEENS5_IJLi7EEEENS5_IJLi9ELi8EEEENS5_IJLi10EEEEEEENSF_IJNS5_IJLi1ELi2ELi3EEEENS5_IJLi4ELi5EEEES19_NS5_IJLi7ELi8EEEENS5_IJLi9EEEES1C_NS5_IJLi11EEEENS5_IJLi12EEEENS5_IJLi13EEEEEEENS5_IJLi11ELi12ELi13EEEENSH_IlLl32768EEEEENSE_INSF_IJNSV_INSF_IJSI_SN_SN_NSH_IiLi32EEEEEELb0EEEEEENSF_IJS14_EEENSF_IJNS5_IJLi1ELi2ELi3ELi4EEEEEEES1U_NSH_IlLl256EEEEENSE_INSF_IJSP_SS_SU_SX_SY_SU_SZ_S12_SU_NS10_INSF_IJSI_SK_EEEEENSV_INSF_IJSI_NSH_IiLi2EEESK_EEELb0EEEEEENSF_IJS14_S15_S16_S17_S18_S19_S1A_S1B_S1C_NS5_IJLi11ELi13EEEES1J_EEENSF_IJS1E_S1F_S19_S1G_S1H_S1C_S1I_S1J_S1K_NS5_IJLi14EEEENS5_IJLi15ELi16ELi17EEEEEEENS5_IJLi15ELi16ELi17ELi14EEEES1N_EENSE_INSF_IJS1R_NS10_ISW_EES22_EEENSF_IJS14_NS5_IJLi1ELi3EEEENS5_IJLi2EEEEEEENSF_IJS1U_S17_NS5_IJLi6ELi7ELi8EEEEEEENS5_IJLi6ELi7ELi8ELi5EEEES1W_EELi16ELi32ELi256ELi256ELi128ELi16ELi16ELi8ELi8ELi32ELb0EE3RunILb1ELNS_10TailNumberE1ENSE_INSF_IJNSG_INSF_IJiiEEENSF_IJiSN_EEELb0EEENSV_IS2N_Lb0EEENST_IiEEEEENSF_IJS14_S2E_NS5_IJLi1EEEEEEENSF_IJNS5_IJLi1ELi2EEEENS5_IJLi3ELi4EEEES17_EEENS5_IJLi3ELi5ELi4EEEElEES1O_NS_35ThreadGroupTensorSliceTransfer_v4r1INS_15ThisThreadBlockILi256EEENS_16tensor_operation12element_wise11PassThroughES35_LNS_25InMemoryDataOperationEnumE0ENS5_IJLi8ELi256ELi16EEEENS5_IJLi8ELi32ELi1EEEENS5_IJLi1ELi0ELi2EEEESC_SC_RKS2Z_KS1O_S39_NS5_IJLi0ELi1ELi2EEEELi2ELi2ELi16ELi16ELi1ELi1ELb0ELb1ELi2EiEENS_13DynamicBufferILNS_16AddressSpaceEnumE1EKSC_lLb1ELNS_22AmdBufferCoherenceEnumE0EiEENSF_IJNS3F_ILS3G_2ESC_S1N_Lb1ELS3I_0EiEES3K_EEENSF_IJiiiEEENSE_INSF_IJNSG_INSF_IJiiiiEEENSF_IJiiiSN_EEELb0EEEEEES1T_S1V_S1U_lEENS_32ThreadwiseTensorSliceTransfer_v2ISD_SD_RKS3R_KS1X_NS5_IJLi8ELi1ELi1ELi32EEEENS5_IJLi1ELi2ELi0ELi3EEEELi3ELi32ELi0ELb1ELb0ELb0EEENS3F_ILS3G_1EKSD_lLb1ELS3I_0EiEENSF_IJNS_12StaticBufferILS3G_4ESD_Li256ELb1EEES42_EEES3N_NS_25StaticBufferTupleOfVectorILS3G_4EfLi64ELi4ELb1ELb0EEEEEvRKT1_RKT2_RT3_RKT4_RT5_RKT6_RKT7_RT8_RKT9_RT10_RKT11_RT12_iENKUlT_T0_E_clINSH_IiLi0EEESN_EEDaS51_S52_ENKUlS51_E_clINSH_IiLi5EEEEEDaS51_EUlS51_E_EEvS51_EUlS51_E_EEvS51_@rel32@lo+4
	s_addc_u32 s5, s5, _ZNK2ck6detail7applierIiJLi0ELi1ELi2ELi3ELi4ELi5ELi6ELi7EEEclIZNKS_11static_fordINS_8SequenceIJLi1ELi8EEEENS5_IJLi0ELi1EEEEEclIZZZNKS_52BlockwiseGemmXdlops_pipeline_bpreshuffle_bdequant_v3ILNS_26BlockGemmPipelineSchedulerE0ELi256ENS_9f8_fnuz_tENS_7pk_i4_tESC_fNS_16TensorDescriptorINS_5TupleIJNS_5EmbedINSF_IJNS_17integral_constantIiLi8EEENSH_IiLi256EEENSH_IiLi16EEEEEENSF_IJSK_NSH_IiLi128EEENSH_IiLi1EEEEEELb0EEENS_3XorINSF_IJSJ_SI_EEELb1EEENS_11PassThroughISK_EENS_7UnMergeINSF_IJSI_SN_EEELb0EEENST_ISJ_EESU_NST_ISI_EENS_21Merge_v3_division_modINSF_IJSJ_SN_EEEEESU_EEENSF_IJNS5_IJLi0EEEENS5_IJLi2ELi1EEEENS5_IJLi3EEEENS5_IJLi5EEEENS5_IJLi4EEEENS5_IJLi6EEEENS5_IJLi7EEEENS5_IJLi9ELi8EEEENS5_IJLi10EEEEEEENSF_IJNS5_IJLi1ELi2ELi3EEEENS5_IJLi4ELi5EEEES19_NS5_IJLi7ELi8EEEENS5_IJLi9EEEES1C_NS5_IJLi11EEEENS5_IJLi12EEEENS5_IJLi13EEEEEEENS5_IJLi11ELi12ELi13EEEENSH_IlLl32768EEEEENSE_INSF_IJNSV_INSF_IJSI_SN_SN_NSH_IiLi32EEEEEELb0EEEEEENSF_IJS14_EEENSF_IJNS5_IJLi1ELi2ELi3ELi4EEEEEEES1U_NSH_IlLl256EEEEENSE_INSF_IJSP_SS_SU_SX_SY_SU_SZ_S12_SU_NS10_INSF_IJSI_SK_EEEEENSV_INSF_IJSI_NSH_IiLi2EEESK_EEELb0EEEEEENSF_IJS14_S15_S16_S17_S18_S19_S1A_S1B_S1C_NS5_IJLi11ELi13EEEES1J_EEENSF_IJS1E_S1F_S19_S1G_S1H_S1C_S1I_S1J_S1K_NS5_IJLi14EEEENS5_IJLi15ELi16ELi17EEEEEEENS5_IJLi15ELi16ELi17ELi14EEEES1N_EENSE_INSF_IJS1R_NS10_ISW_EES22_EEENSF_IJS14_NS5_IJLi1ELi3EEEENS5_IJLi2EEEEEEENSF_IJS1U_S17_NS5_IJLi6ELi7ELi8EEEEEEENS5_IJLi6ELi7ELi8ELi5EEEES1W_EELi16ELi32ELi256ELi256ELi128ELi16ELi16ELi8ELi8ELi32ELb0EE3RunILb1ELNS_10TailNumberE1ENSE_INSF_IJNSG_INSF_IJiiEEENSF_IJiSN_EEELb0EEENSV_IS2N_Lb0EEENST_IiEEEEENSF_IJS14_S2E_NS5_IJLi1EEEEEEENSF_IJNS5_IJLi1ELi2EEEENS5_IJLi3ELi4EEEES17_EEENS5_IJLi3ELi5ELi4EEEElEES1O_NS_35ThreadGroupTensorSliceTransfer_v4r1INS_15ThisThreadBlockILi256EEENS_16tensor_operation12element_wise11PassThroughES35_LNS_25InMemoryDataOperationEnumE0ENS5_IJLi8ELi256ELi16EEEENS5_IJLi8ELi32ELi1EEEENS5_IJLi1ELi0ELi2EEEESC_SC_RKS2Z_KS1O_S39_NS5_IJLi0ELi1ELi2EEEELi2ELi2ELi16ELi16ELi1ELi1ELb0ELb1ELi2EiEENS_13DynamicBufferILNS_16AddressSpaceEnumE1EKSC_lLb1ELNS_22AmdBufferCoherenceEnumE0EiEENSF_IJNS3F_ILS3G_2ESC_S1N_Lb1ELS3I_0EiEES3K_EEENSF_IJiiiEEENSE_INSF_IJNSG_INSF_IJiiiiEEENSF_IJiiiSN_EEELb0EEEEEES1T_S1V_S1U_lEENS_32ThreadwiseTensorSliceTransfer_v2ISD_SD_RKS3R_KS1X_NS5_IJLi8ELi1ELi1ELi32EEEENS5_IJLi1ELi2ELi0ELi3EEEELi3ELi32ELi0ELb1ELb0ELb0EEENS3F_ILS3G_1EKSD_lLb1ELS3I_0EiEENSF_IJNS_12StaticBufferILS3G_4ESD_Li256ELb1EEES42_EEES3N_NS_25StaticBufferTupleOfVectorILS3G_4EfLi64ELi4ELb1ELb0EEEEEvRKT1_RKT2_RT3_RKT4_RT5_RKT6_RKT7_RT8_RKT9_RT10_RKT11_RT12_iENKUlT_T0_E_clINSH_IiLi0EEESN_EEDaS51_S52_ENKUlS51_E_clINSH_IiLi5EEEEEDaS51_EUlS51_E_EEvS51_EUlS51_E_EEvS51_@rel32@hi+12
	s_swappc_b64 s[30:31], s[4:5]
	flat_load_dwordx2 v[12:13], v[30:31] offset:1148
	flat_load_dwordx2 v[14:15], v[30:31] offset:1164
	flat_load_dwordx4 v[0:3], v[30:31] offset:1176
	flat_load_dwordx3 v[8:10], v[30:31] offset:1132
	flat_load_dwordx2 v[16:17], v[28:29]
	s_waitcnt vmcnt(0) lgkmcnt(0)
	v_sub_u32_e32 v4, v12, v15
	v_add3_u32 v1, v4, v1, s45
	v_ashrrev_i32_e32 v4, 31, v1
	v_lshrrev_b32_e32 v4, 29, v4
	v_add_u32_e32 v4, v1, v4
	v_and_b32_e32 v4, -8, v4
	v_sub_u32_e32 v5, v13, v14
	v_sub_u32_e32 v6, v1, v10
	;; [unrolled: 1-line block ×3, first 2 shown]
	v_xor_b32_e32 v4, v1, v5
	v_sub_u32_e32 v4, v4, v9
	v_lshlrev_b32_e32 v10, 7, v6
	v_lshlrev_b32_e32 v4, 4, v4
	v_add3_u32 v4, v10, v8, v4
	v_ashrrev_i32_e32 v5, 31, v4
	v_add_co_u32_e32 v4, vcc, v16, v4
	v_addc_co_u32_e32 v5, vcc, v17, v5, vcc
	flat_load_dwordx4 v[4:7], v[4:5]
	v_add_u32_e32 v3, 16, v3
	v_sub_u32_e32 v2, v8, v2
	v_ashrrev_i32_e32 v8, 31, v3
	v_lshrrev_b32_e32 v8, 28, v8
	v_add_u32_e32 v0, v14, v0
	v_add_u32_e32 v8, v3, v8
	v_sub_u32_e32 v0, v13, v0
	v_lshrrev_b32_e32 v11, 4, v8
	v_add_u32_e32 v0, v0, v11
	v_xor_b32_e32 v0, v0, v1
	v_and_b32_e32 v8, -16, v8
	v_sub_u32_e32 v0, v0, v9
	v_add_u32_e32 v2, v2, v10
	v_sub_u32_e32 v3, v3, v8
	v_lshlrev_b32_e32 v0, 4, v0
	v_add3_u32 v0, v2, v3, v0
	v_ashrrev_i32_e32 v1, 31, v0
	v_add_co_u32_e32 v0, vcc, v16, v0
	v_addc_co_u32_e32 v1, vcc, v17, v1, vcc
	s_waitcnt vmcnt(0) lgkmcnt(0)
	buffer_store_dword v4, off, s[0:3], s33 offset:52
	buffer_store_dword v5, off, s[0:3], s33 offset:56
	;; [unrolled: 1-line block ×4, first 2 shown]
	flat_load_dwordx4 v[0:3], v[0:1]
	s_waitcnt vmcnt(0) lgkmcnt(0)
	buffer_store_dword v0, off, s[0:3], s33 offset:68
	buffer_store_dword v1, off, s[0:3], s33 offset:72
	;; [unrolled: 1-line block ×4, first 2 shown]
	v_mov_b32_e32 v0, s24
	v_mov_b32_e32 v1, s26
	;; [unrolled: 1-line block ×4, first 2 shown]
	s_swappc_b64 s[30:31], s[20:21]
	; sched_group_barrier mask(0x00000008) size(16) SyncID(0)
	; sched_group_barrier mask(0x00000100) size(1) SyncID(0)
	;; [unrolled: 1-line block ×4, first 2 shown]
	; sched_barrier mask(0x00000000)
	v_mov_b32_e32 v0, s35
	v_mov_b32_e32 v1, s36
	buffer_store_dword v65, off, s[0:3], s33 offset:12
	buffer_store_dword v67, off, s[0:3], s33 offset:8
	;; [unrolled: 1-line block ×10, first 2 shown]
	s_getpc_b64 s[4:5]
	s_add_u32 s4, s4, _ZNK2ck6detail7applierIiJLi0ELi1ELi2ELi3ELi4ELi5ELi6ELi7EEEclIZNKS_11static_fordINS_8SequenceIJLi1ELi8EEEENS5_IJLi0ELi1EEEEEclIZZZNKS_52BlockwiseGemmXdlops_pipeline_bpreshuffle_bdequant_v3ILNS_26BlockGemmPipelineSchedulerE0ELi256ENS_9f8_fnuz_tENS_7pk_i4_tESC_fNS_16TensorDescriptorINS_5TupleIJNS_5EmbedINSF_IJNS_17integral_constantIiLi8EEENSH_IiLi256EEENSH_IiLi16EEEEEENSF_IJSK_NSH_IiLi128EEENSH_IiLi1EEEEEELb0EEENS_3XorINSF_IJSJ_SI_EEELb1EEENS_11PassThroughISK_EENS_7UnMergeINSF_IJSI_SN_EEELb0EEENST_ISJ_EESU_NST_ISI_EENS_21Merge_v3_division_modINSF_IJSJ_SN_EEEEESU_EEENSF_IJNS5_IJLi0EEEENS5_IJLi2ELi1EEEENS5_IJLi3EEEENS5_IJLi5EEEENS5_IJLi4EEEENS5_IJLi6EEEENS5_IJLi7EEEENS5_IJLi9ELi8EEEENS5_IJLi10EEEEEEENSF_IJNS5_IJLi1ELi2ELi3EEEENS5_IJLi4ELi5EEEES19_NS5_IJLi7ELi8EEEENS5_IJLi9EEEES1C_NS5_IJLi11EEEENS5_IJLi12EEEENS5_IJLi13EEEEEEENS5_IJLi11ELi12ELi13EEEENSH_IlLl32768EEEEENSE_INSF_IJNSV_INSF_IJSI_SN_SN_NSH_IiLi32EEEEEELb0EEEEEENSF_IJS14_EEENSF_IJNS5_IJLi1ELi2ELi3ELi4EEEEEEES1U_NSH_IlLl256EEEEENSE_INSF_IJSP_SS_SU_SX_SY_SU_SZ_S12_SU_NS10_INSF_IJSI_SK_EEEEENSV_INSF_IJSI_NSH_IiLi2EEESK_EEELb0EEEEEENSF_IJS14_S15_S16_S17_S18_S19_S1A_S1B_S1C_NS5_IJLi11ELi13EEEES1J_EEENSF_IJS1E_S1F_S19_S1G_S1H_S1C_S1I_S1J_S1K_NS5_IJLi14EEEENS5_IJLi15ELi16ELi17EEEEEEENS5_IJLi15ELi16ELi17ELi14EEEES1N_EENSE_INSF_IJS1R_NS10_ISW_EES22_EEENSF_IJS14_NS5_IJLi1ELi3EEEENS5_IJLi2EEEEEEENSF_IJS1U_S17_NS5_IJLi6ELi7ELi8EEEEEEENS5_IJLi6ELi7ELi8ELi5EEEES1W_EELi16ELi32ELi256ELi256ELi128ELi16ELi16ELi8ELi8ELi32ELb0EE3RunILb1ELNS_10TailNumberE1ENSE_INSF_IJNSG_INSF_IJiiEEENSF_IJiSN_EEELb0EEENSV_IS2N_Lb0EEENST_IiEEEEENSF_IJS14_S2E_NS5_IJLi1EEEEEEENSF_IJNS5_IJLi1ELi2EEEENS5_IJLi3ELi4EEEES17_EEENS5_IJLi3ELi5ELi4EEEElEES1O_NS_35ThreadGroupTensorSliceTransfer_v4r1INS_15ThisThreadBlockILi256EEENS_16tensor_operation12element_wise11PassThroughES35_LNS_25InMemoryDataOperationEnumE0ENS5_IJLi8ELi256ELi16EEEENS5_IJLi8ELi32ELi1EEEENS5_IJLi1ELi0ELi2EEEESC_SC_RKS2Z_KS1O_S39_NS5_IJLi0ELi1ELi2EEEELi2ELi2ELi16ELi16ELi1ELi1ELb0ELb1ELi2EiEENS_13DynamicBufferILNS_16AddressSpaceEnumE1EKSC_lLb1ELNS_22AmdBufferCoherenceEnumE0EiEENSF_IJNS3F_ILS3G_2ESC_S1N_Lb1ELS3I_0EiEES3K_EEENSF_IJiiiEEENSE_INSF_IJNSG_INSF_IJiiiiEEENSF_IJiiiSN_EEELb0EEEEEES1T_S1V_S1U_lEENS_32ThreadwiseTensorSliceTransfer_v2ISD_SD_RKS3R_KS1X_NS5_IJLi8ELi1ELi1ELi32EEEENS5_IJLi1ELi2ELi0ELi3EEEELi3ELi32ELi0ELb1ELb0ELb0EEENS3F_ILS3G_1EKSD_lLb1ELS3I_0EiEENSF_IJNS_12StaticBufferILS3G_4ESD_Li256ELb1EEES42_EEES3N_NS_25StaticBufferTupleOfVectorILS3G_4EfLi64ELi4ELb1ELb0EEEEEvRKT1_RKT2_RT3_RKT4_RT5_RKT6_RKT7_RT8_RKT9_RT10_RKT11_RT12_iENKUlT_T0_E_clINSH_IiLi0EEESN_EEDaS51_S52_ENKUlS51_E_clINSH_IiLi6EEEEEDaS51_EUlS51_E_EEvS51_EUlS51_E_EEvS51_@rel32@lo+4
	s_addc_u32 s5, s5, _ZNK2ck6detail7applierIiJLi0ELi1ELi2ELi3ELi4ELi5ELi6ELi7EEEclIZNKS_11static_fordINS_8SequenceIJLi1ELi8EEEENS5_IJLi0ELi1EEEEEclIZZZNKS_52BlockwiseGemmXdlops_pipeline_bpreshuffle_bdequant_v3ILNS_26BlockGemmPipelineSchedulerE0ELi256ENS_9f8_fnuz_tENS_7pk_i4_tESC_fNS_16TensorDescriptorINS_5TupleIJNS_5EmbedINSF_IJNS_17integral_constantIiLi8EEENSH_IiLi256EEENSH_IiLi16EEEEEENSF_IJSK_NSH_IiLi128EEENSH_IiLi1EEEEEELb0EEENS_3XorINSF_IJSJ_SI_EEELb1EEENS_11PassThroughISK_EENS_7UnMergeINSF_IJSI_SN_EEELb0EEENST_ISJ_EESU_NST_ISI_EENS_21Merge_v3_division_modINSF_IJSJ_SN_EEEEESU_EEENSF_IJNS5_IJLi0EEEENS5_IJLi2ELi1EEEENS5_IJLi3EEEENS5_IJLi5EEEENS5_IJLi4EEEENS5_IJLi6EEEENS5_IJLi7EEEENS5_IJLi9ELi8EEEENS5_IJLi10EEEEEEENSF_IJNS5_IJLi1ELi2ELi3EEEENS5_IJLi4ELi5EEEES19_NS5_IJLi7ELi8EEEENS5_IJLi9EEEES1C_NS5_IJLi11EEEENS5_IJLi12EEEENS5_IJLi13EEEEEEENS5_IJLi11ELi12ELi13EEEENSH_IlLl32768EEEEENSE_INSF_IJNSV_INSF_IJSI_SN_SN_NSH_IiLi32EEEEEELb0EEEEEENSF_IJS14_EEENSF_IJNS5_IJLi1ELi2ELi3ELi4EEEEEEES1U_NSH_IlLl256EEEEENSE_INSF_IJSP_SS_SU_SX_SY_SU_SZ_S12_SU_NS10_INSF_IJSI_SK_EEEEENSV_INSF_IJSI_NSH_IiLi2EEESK_EEELb0EEEEEENSF_IJS14_S15_S16_S17_S18_S19_S1A_S1B_S1C_NS5_IJLi11ELi13EEEES1J_EEENSF_IJS1E_S1F_S19_S1G_S1H_S1C_S1I_S1J_S1K_NS5_IJLi14EEEENS5_IJLi15ELi16ELi17EEEEEEENS5_IJLi15ELi16ELi17ELi14EEEES1N_EENSE_INSF_IJS1R_NS10_ISW_EES22_EEENSF_IJS14_NS5_IJLi1ELi3EEEENS5_IJLi2EEEEEEENSF_IJS1U_S17_NS5_IJLi6ELi7ELi8EEEEEEENS5_IJLi6ELi7ELi8ELi5EEEES1W_EELi16ELi32ELi256ELi256ELi128ELi16ELi16ELi8ELi8ELi32ELb0EE3RunILb1ELNS_10TailNumberE1ENSE_INSF_IJNSG_INSF_IJiiEEENSF_IJiSN_EEELb0EEENSV_IS2N_Lb0EEENST_IiEEEEENSF_IJS14_S2E_NS5_IJLi1EEEEEEENSF_IJNS5_IJLi1ELi2EEEENS5_IJLi3ELi4EEEES17_EEENS5_IJLi3ELi5ELi4EEEElEES1O_NS_35ThreadGroupTensorSliceTransfer_v4r1INS_15ThisThreadBlockILi256EEENS_16tensor_operation12element_wise11PassThroughES35_LNS_25InMemoryDataOperationEnumE0ENS5_IJLi8ELi256ELi16EEEENS5_IJLi8ELi32ELi1EEEENS5_IJLi1ELi0ELi2EEEESC_SC_RKS2Z_KS1O_S39_NS5_IJLi0ELi1ELi2EEEELi2ELi2ELi16ELi16ELi1ELi1ELb0ELb1ELi2EiEENS_13DynamicBufferILNS_16AddressSpaceEnumE1EKSC_lLb1ELNS_22AmdBufferCoherenceEnumE0EiEENSF_IJNS3F_ILS3G_2ESC_S1N_Lb1ELS3I_0EiEES3K_EEENSF_IJiiiEEENSE_INSF_IJNSG_INSF_IJiiiiEEENSF_IJiiiSN_EEELb0EEEEEES1T_S1V_S1U_lEENS_32ThreadwiseTensorSliceTransfer_v2ISD_SD_RKS3R_KS1X_NS5_IJLi8ELi1ELi1ELi32EEEENS5_IJLi1ELi2ELi0ELi3EEEELi3ELi32ELi0ELb1ELb0ELb0EEENS3F_ILS3G_1EKSD_lLb1ELS3I_0EiEENSF_IJNS_12StaticBufferILS3G_4ESD_Li256ELb1EEES42_EEES3N_NS_25StaticBufferTupleOfVectorILS3G_4EfLi64ELi4ELb1ELb0EEEEEvRKT1_RKT2_RT3_RKT4_RT5_RKT6_RKT7_RT8_RKT9_RT10_RKT11_RT12_iENKUlT_T0_E_clINSH_IiLi0EEESN_EEDaS51_S52_ENKUlS51_E_clINSH_IiLi6EEEEEDaS51_EUlS51_E_EEvS51_EUlS51_E_EEvS51_@rel32@hi+12
	s_swappc_b64 s[30:31], s[4:5]
	flat_load_dwordx2 v[12:13], v[30:31] offset:1148
	flat_load_dwordx2 v[14:15], v[30:31] offset:1164
	flat_load_dwordx4 v[0:3], v[30:31] offset:1176
	flat_load_dwordx3 v[8:10], v[30:31] offset:1132
	flat_load_dwordx2 v[16:17], v[28:29]
	s_waitcnt vmcnt(0) lgkmcnt(0)
	v_sub_u32_e32 v4, v12, v15
	v_add3_u32 v1, v4, v1, s46
	v_ashrrev_i32_e32 v4, 31, v1
	v_lshrrev_b32_e32 v4, 29, v4
	v_add_u32_e32 v4, v1, v4
	v_and_b32_e32 v4, -8, v4
	v_sub_u32_e32 v5, v13, v14
	v_sub_u32_e32 v6, v1, v10
	;; [unrolled: 1-line block ×3, first 2 shown]
	v_xor_b32_e32 v4, v1, v5
	v_sub_u32_e32 v4, v4, v9
	v_lshlrev_b32_e32 v10, 7, v6
	v_lshlrev_b32_e32 v4, 4, v4
	v_add3_u32 v4, v10, v8, v4
	v_ashrrev_i32_e32 v5, 31, v4
	v_add_co_u32_e32 v4, vcc, v16, v4
	v_addc_co_u32_e32 v5, vcc, v17, v5, vcc
	flat_load_dwordx4 v[4:7], v[4:5]
	v_add_u32_e32 v3, 16, v3
	v_sub_u32_e32 v2, v8, v2
	v_ashrrev_i32_e32 v8, 31, v3
	v_lshrrev_b32_e32 v8, 28, v8
	v_add_u32_e32 v0, v14, v0
	v_add_u32_e32 v8, v3, v8
	v_sub_u32_e32 v0, v13, v0
	v_lshrrev_b32_e32 v11, 4, v8
	v_add_u32_e32 v0, v0, v11
	v_xor_b32_e32 v0, v0, v1
	v_and_b32_e32 v8, -16, v8
	v_sub_u32_e32 v0, v0, v9
	v_add_u32_e32 v2, v2, v10
	v_sub_u32_e32 v3, v3, v8
	v_lshlrev_b32_e32 v0, 4, v0
	v_add3_u32 v0, v2, v3, v0
	v_ashrrev_i32_e32 v1, 31, v0
	v_add_co_u32_e32 v0, vcc, v16, v0
	v_addc_co_u32_e32 v1, vcc, v17, v1, vcc
	s_waitcnt vmcnt(0) lgkmcnt(0)
	buffer_store_dword v4, off, s[0:3], s33 offset:84
	buffer_store_dword v5, off, s[0:3], s33 offset:88
	;; [unrolled: 1-line block ×4, first 2 shown]
	flat_load_dwordx4 v[0:3], v[0:1]
	s_waitcnt vmcnt(0) lgkmcnt(0)
	buffer_store_dword v0, off, s[0:3], s33 offset:100
	buffer_store_dword v1, off, s[0:3], s33 offset:104
	;; [unrolled: 1-line block ×4, first 2 shown]
	v_mov_b32_e32 v0, s24
	v_mov_b32_e32 v1, s26
	;; [unrolled: 1-line block ×4, first 2 shown]
	s_swappc_b64 s[30:31], s[20:21]
	; sched_group_barrier mask(0x00000008) size(16) SyncID(0)
	; sched_group_barrier mask(0x00000100) size(1) SyncID(0)
	;; [unrolled: 1-line block ×4, first 2 shown]
	; sched_barrier mask(0x00000000)
	v_mov_b32_e32 v0, s35
	v_mov_b32_e32 v1, s36
	buffer_store_dword v65, off, s[0:3], s33 offset:12
	buffer_store_dword v67, off, s[0:3], s33 offset:8
	;; [unrolled: 1-line block ×10, first 2 shown]
	s_getpc_b64 s[4:5]
	s_add_u32 s4, s4, _ZNK2ck6detail7applierIiJLi0ELi1ELi2ELi3ELi4ELi5ELi6ELi7EEEclIZNKS_11static_fordINS_8SequenceIJLi1ELi8EEEENS5_IJLi0ELi1EEEEEclIZZZNKS_52BlockwiseGemmXdlops_pipeline_bpreshuffle_bdequant_v3ILNS_26BlockGemmPipelineSchedulerE0ELi256ENS_9f8_fnuz_tENS_7pk_i4_tESC_fNS_16TensorDescriptorINS_5TupleIJNS_5EmbedINSF_IJNS_17integral_constantIiLi8EEENSH_IiLi256EEENSH_IiLi16EEEEEENSF_IJSK_NSH_IiLi128EEENSH_IiLi1EEEEEELb0EEENS_3XorINSF_IJSJ_SI_EEELb1EEENS_11PassThroughISK_EENS_7UnMergeINSF_IJSI_SN_EEELb0EEENST_ISJ_EESU_NST_ISI_EENS_21Merge_v3_division_modINSF_IJSJ_SN_EEEEESU_EEENSF_IJNS5_IJLi0EEEENS5_IJLi2ELi1EEEENS5_IJLi3EEEENS5_IJLi5EEEENS5_IJLi4EEEENS5_IJLi6EEEENS5_IJLi7EEEENS5_IJLi9ELi8EEEENS5_IJLi10EEEEEEENSF_IJNS5_IJLi1ELi2ELi3EEEENS5_IJLi4ELi5EEEES19_NS5_IJLi7ELi8EEEENS5_IJLi9EEEES1C_NS5_IJLi11EEEENS5_IJLi12EEEENS5_IJLi13EEEEEEENS5_IJLi11ELi12ELi13EEEENSH_IlLl32768EEEEENSE_INSF_IJNSV_INSF_IJSI_SN_SN_NSH_IiLi32EEEEEELb0EEEEEENSF_IJS14_EEENSF_IJNS5_IJLi1ELi2ELi3ELi4EEEEEEES1U_NSH_IlLl256EEEEENSE_INSF_IJSP_SS_SU_SX_SY_SU_SZ_S12_SU_NS10_INSF_IJSI_SK_EEEEENSV_INSF_IJSI_NSH_IiLi2EEESK_EEELb0EEEEEENSF_IJS14_S15_S16_S17_S18_S19_S1A_S1B_S1C_NS5_IJLi11ELi13EEEES1J_EEENSF_IJS1E_S1F_S19_S1G_S1H_S1C_S1I_S1J_S1K_NS5_IJLi14EEEENS5_IJLi15ELi16ELi17EEEEEEENS5_IJLi15ELi16ELi17ELi14EEEES1N_EENSE_INSF_IJS1R_NS10_ISW_EES22_EEENSF_IJS14_NS5_IJLi1ELi3EEEENS5_IJLi2EEEEEEENSF_IJS1U_S17_NS5_IJLi6ELi7ELi8EEEEEEENS5_IJLi6ELi7ELi8ELi5EEEES1W_EELi16ELi32ELi256ELi256ELi128ELi16ELi16ELi8ELi8ELi32ELb0EE3RunILb1ELNS_10TailNumberE1ENSE_INSF_IJNSG_INSF_IJiiEEENSF_IJiSN_EEELb0EEENSV_IS2N_Lb0EEENST_IiEEEEENSF_IJS14_S2E_NS5_IJLi1EEEEEEENSF_IJNS5_IJLi1ELi2EEEENS5_IJLi3ELi4EEEES17_EEENS5_IJLi3ELi5ELi4EEEElEES1O_NS_35ThreadGroupTensorSliceTransfer_v4r1INS_15ThisThreadBlockILi256EEENS_16tensor_operation12element_wise11PassThroughES35_LNS_25InMemoryDataOperationEnumE0ENS5_IJLi8ELi256ELi16EEEENS5_IJLi8ELi32ELi1EEEENS5_IJLi1ELi0ELi2EEEESC_SC_RKS2Z_KS1O_S39_NS5_IJLi0ELi1ELi2EEEELi2ELi2ELi16ELi16ELi1ELi1ELb0ELb1ELi2EiEENS_13DynamicBufferILNS_16AddressSpaceEnumE1EKSC_lLb1ELNS_22AmdBufferCoherenceEnumE0EiEENSF_IJNS3F_ILS3G_2ESC_S1N_Lb1ELS3I_0EiEES3K_EEENSF_IJiiiEEENSE_INSF_IJNSG_INSF_IJiiiiEEENSF_IJiiiSN_EEELb0EEEEEES1T_S1V_S1U_lEENS_32ThreadwiseTensorSliceTransfer_v2ISD_SD_RKS3R_KS1X_NS5_IJLi8ELi1ELi1ELi32EEEENS5_IJLi1ELi2ELi0ELi3EEEELi3ELi32ELi0ELb1ELb0ELb0EEENS3F_ILS3G_1EKSD_lLb1ELS3I_0EiEENSF_IJNS_12StaticBufferILS3G_4ESD_Li256ELb1EEES42_EEES3N_NS_25StaticBufferTupleOfVectorILS3G_4EfLi64ELi4ELb1ELb0EEEEEvRKT1_RKT2_RT3_RKT4_RT5_RKT6_RKT7_RT8_RKT9_RT10_RKT11_RT12_iENKUlT_T0_E_clINSH_IiLi0EEESN_EEDaS51_S52_ENKUlS51_E_clINSH_IiLi7EEEEEDaS51_EUlS51_E_EEvS51_EUlS51_E_EEvS51_@rel32@lo+4
	s_addc_u32 s5, s5, _ZNK2ck6detail7applierIiJLi0ELi1ELi2ELi3ELi4ELi5ELi6ELi7EEEclIZNKS_11static_fordINS_8SequenceIJLi1ELi8EEEENS5_IJLi0ELi1EEEEEclIZZZNKS_52BlockwiseGemmXdlops_pipeline_bpreshuffle_bdequant_v3ILNS_26BlockGemmPipelineSchedulerE0ELi256ENS_9f8_fnuz_tENS_7pk_i4_tESC_fNS_16TensorDescriptorINS_5TupleIJNS_5EmbedINSF_IJNS_17integral_constantIiLi8EEENSH_IiLi256EEENSH_IiLi16EEEEEENSF_IJSK_NSH_IiLi128EEENSH_IiLi1EEEEEELb0EEENS_3XorINSF_IJSJ_SI_EEELb1EEENS_11PassThroughISK_EENS_7UnMergeINSF_IJSI_SN_EEELb0EEENST_ISJ_EESU_NST_ISI_EENS_21Merge_v3_division_modINSF_IJSJ_SN_EEEEESU_EEENSF_IJNS5_IJLi0EEEENS5_IJLi2ELi1EEEENS5_IJLi3EEEENS5_IJLi5EEEENS5_IJLi4EEEENS5_IJLi6EEEENS5_IJLi7EEEENS5_IJLi9ELi8EEEENS5_IJLi10EEEEEEENSF_IJNS5_IJLi1ELi2ELi3EEEENS5_IJLi4ELi5EEEES19_NS5_IJLi7ELi8EEEENS5_IJLi9EEEES1C_NS5_IJLi11EEEENS5_IJLi12EEEENS5_IJLi13EEEEEEENS5_IJLi11ELi12ELi13EEEENSH_IlLl32768EEEEENSE_INSF_IJNSV_INSF_IJSI_SN_SN_NSH_IiLi32EEEEEELb0EEEEEENSF_IJS14_EEENSF_IJNS5_IJLi1ELi2ELi3ELi4EEEEEEES1U_NSH_IlLl256EEEEENSE_INSF_IJSP_SS_SU_SX_SY_SU_SZ_S12_SU_NS10_INSF_IJSI_SK_EEEEENSV_INSF_IJSI_NSH_IiLi2EEESK_EEELb0EEEEEENSF_IJS14_S15_S16_S17_S18_S19_S1A_S1B_S1C_NS5_IJLi11ELi13EEEES1J_EEENSF_IJS1E_S1F_S19_S1G_S1H_S1C_S1I_S1J_S1K_NS5_IJLi14EEEENS5_IJLi15ELi16ELi17EEEEEEENS5_IJLi15ELi16ELi17ELi14EEEES1N_EENSE_INSF_IJS1R_NS10_ISW_EES22_EEENSF_IJS14_NS5_IJLi1ELi3EEEENS5_IJLi2EEEEEEENSF_IJS1U_S17_NS5_IJLi6ELi7ELi8EEEEEEENS5_IJLi6ELi7ELi8ELi5EEEES1W_EELi16ELi32ELi256ELi256ELi128ELi16ELi16ELi8ELi8ELi32ELb0EE3RunILb1ELNS_10TailNumberE1ENSE_INSF_IJNSG_INSF_IJiiEEENSF_IJiSN_EEELb0EEENSV_IS2N_Lb0EEENST_IiEEEEENSF_IJS14_S2E_NS5_IJLi1EEEEEEENSF_IJNS5_IJLi1ELi2EEEENS5_IJLi3ELi4EEEES17_EEENS5_IJLi3ELi5ELi4EEEElEES1O_NS_35ThreadGroupTensorSliceTransfer_v4r1INS_15ThisThreadBlockILi256EEENS_16tensor_operation12element_wise11PassThroughES35_LNS_25InMemoryDataOperationEnumE0ENS5_IJLi8ELi256ELi16EEEENS5_IJLi8ELi32ELi1EEEENS5_IJLi1ELi0ELi2EEEESC_SC_RKS2Z_KS1O_S39_NS5_IJLi0ELi1ELi2EEEELi2ELi2ELi16ELi16ELi1ELi1ELb0ELb1ELi2EiEENS_13DynamicBufferILNS_16AddressSpaceEnumE1EKSC_lLb1ELNS_22AmdBufferCoherenceEnumE0EiEENSF_IJNS3F_ILS3G_2ESC_S1N_Lb1ELS3I_0EiEES3K_EEENSF_IJiiiEEENSE_INSF_IJNSG_INSF_IJiiiiEEENSF_IJiiiSN_EEELb0EEEEEES1T_S1V_S1U_lEENS_32ThreadwiseTensorSliceTransfer_v2ISD_SD_RKS3R_KS1X_NS5_IJLi8ELi1ELi1ELi32EEEENS5_IJLi1ELi2ELi0ELi3EEEELi3ELi32ELi0ELb1ELb0ELb0EEENS3F_ILS3G_1EKSD_lLb1ELS3I_0EiEENSF_IJNS_12StaticBufferILS3G_4ESD_Li256ELb1EEES42_EEES3N_NS_25StaticBufferTupleOfVectorILS3G_4EfLi64ELi4ELb1ELb0EEEEEvRKT1_RKT2_RT3_RKT4_RT5_RKT6_RKT7_RT8_RKT9_RT10_RKT11_RT12_iENKUlT_T0_E_clINSH_IiLi0EEESN_EEDaS51_S52_ENKUlS51_E_clINSH_IiLi7EEEEEDaS51_EUlS51_E_EEvS51_EUlS51_E_EEvS51_@rel32@hi+12
	s_swappc_b64 s[30:31], s[4:5]
	s_waitcnt lgkmcnt(0)
	s_barrier
	flat_load_dwordx3 v[4:6], v[30:31] offset:1132
	flat_load_dwordx2 v[8:9], v[28:29] offset:16
	flat_load_dwordx2 v[10:11], v[30:31] offset:1184
	;; [unrolled: 1-line block ×3, first 2 shown]
	flat_load_dword v7, v[30:31] offset:1176
	s_waitcnt vmcnt(0) lgkmcnt(0)
	v_ashrrev_i32_e32 v1, 31, v4
	v_add_co_u32_e32 v0, vcc, v8, v4
	v_addc_co_u32_e32 v1, vcc, v9, v1, vcc
	flat_load_dwordx4 v[0:3], v[0:1]
	v_add_u32_e32 v11, 16, v11
	v_sub_u32_e32 v7, v13, v7
	v_ashrrev_i32_e32 v13, 31, v12
	v_sub_u32_e32 v6, v12, v6
	v_ashrrev_i32_e32 v14, 31, v11
	v_lshrrev_b32_e32 v13, 29, v13
	v_lshl_add_u32 v4, v6, 7, v4
	v_lshrrev_b32_e32 v6, 28, v14
	v_add_u32_e32 v13, v12, v13
	v_add_u32_e32 v6, v11, v6
	v_sub_u32_e32 v4, v4, v10
	v_and_b32_e32 v10, 0xffffff8, v13
	v_lshrrev_b32_e32 v13, 4, v6
	v_sub_u32_e32 v10, v12, v10
	v_add_u32_e32 v7, v7, v13
	v_xor_b32_e32 v7, v7, v10
	v_and_b32_e32 v6, -16, v6
	v_sub_u32_e32 v5, v7, v5
	v_sub_u32_e32 v6, v11, v6
	v_lshlrev_b32_e32 v5, 4, v5
	v_add3_u32 v4, v4, v6, v5
	v_ashrrev_i32_e32 v5, 31, v4
	v_add_co_u32_e32 v4, vcc, v8, v4
	v_addc_co_u32_e32 v5, vcc, v9, v5, vcc
	s_waitcnt vmcnt(0) lgkmcnt(0)
	buffer_store_dword v0, off, s[0:3], s33 offset:52
	buffer_store_dword v1, off, s[0:3], s33 offset:56
	;; [unrolled: 1-line block ×4, first 2 shown]
	flat_load_dwordx4 v[2:5], v[4:5]
	v_mov_b32_e32 v1, s15
	v_mov_b32_e32 v0, v64
	s_waitcnt vmcnt(0) lgkmcnt(0)
	buffer_store_dword v2, off, s[0:3], s33 offset:68
	buffer_store_dword v3, off, s[0:3], s33 offset:72
	v_mov_b32_e32 v2, s22
	v_mov_b32_e32 v3, s14
	buffer_store_dword v4, off, s[0:3], s33 offset:76
	buffer_store_dword v5, off, s[0:3], s33 offset:80
	s_swappc_b64 s[30:31], s[20:21]
	; sched_group_barrier mask(0x00000008) size(16) SyncID(0)
	; sched_group_barrier mask(0x00000100) size(1) SyncID(0)
	;; [unrolled: 1-line block ×4, first 2 shown]
	; sched_barrier mask(0x00000000)
	flat_load_dwordx4 v[0:3], v[38:39]
	flat_load_dwordx3 v[8:10], v[34:35]
	s_mov_b64 s[6:7], exec
	s_waitcnt vmcnt(0) lgkmcnt(0)
	v_lshrrev_b32_e32 v5, 31, v3
	v_lshrrev_b32_e32 v4, 31, v8
	v_add_co_u32_e32 v2, vcc, v2, v5
	v_add_u32_e32 v4, v8, v4
	v_addc_co_u32_e32 v5, vcc, 0, v3, vcc
	v_mov_b32_e32 v3, s37
	v_ashrrev_i32_e32 v11, 1, v4
	v_alignbit_b32 v2, v5, v2, 1
.LBB60_105:                             ;   Parent Loop BB60_64 Depth=1
                                        ; =>  This Inner Loop Header: Depth=2
	v_readfirstlane_b32 s8, v0
	v_readfirstlane_b32 s9, v1
	v_readfirstlane_b32 s10, v2
	v_readfirstlane_b32 s11, v3
	v_cmp_eq_u64_e32 vcc, s[8:9], v[0:1]
	v_cmp_eq_u64_e64 s[4:5], s[10:11], v[2:3]
	s_and_b64 s[4:5], vcc, s[4:5]
	s_and_saveexec_b64 s[4:5], s[4:5]
	s_nop 0
	buffer_load_dwordx4 v[4:7], v11, s[8:11], 0 offen
                                        ; implicit-def: $vgpr11
	s_xor_b64 exec, exec, s[4:5]
	s_cbranch_execnz .LBB60_105
; %bb.106:                              ;   in Loop: Header=BB60_64 Depth=1
	s_mov_b64 exec, s[6:7]
	v_add_u32_e32 v11, 1, v9
	flat_store_dword v[34:35], v11 offset:4
	flat_load_dword v11, v[36:37] offset:16
	s_waitcnt vmcnt(0)
	buffer_store_dword v7, off, s[0:3], s33 offset:128
	buffer_store_dword v6, off, s[0:3], s33 offset:124
	buffer_store_dword v5, off, s[0:3], s33 offset:120
	buffer_store_dword v4, off, s[0:3], s33 offset:116
	s_mov_b64 s[6:7], exec
	s_waitcnt lgkmcnt(0)
	v_add_u32_e32 v8, v11, v8
	v_lshrrev_b32_e32 v4, 31, v8
	v_add_u32_e32 v4, v8, v4
	v_ashrrev_i32_e32 v11, 1, v4
	flat_store_dword v[34:35], v8
.LBB60_107:                             ;   Parent Loop BB60_64 Depth=1
                                        ; =>  This Inner Loop Header: Depth=2
	v_readfirstlane_b32 s8, v0
	v_readfirstlane_b32 s9, v1
	v_readfirstlane_b32 s10, v2
	v_readfirstlane_b32 s11, v3
	v_cmp_eq_u64_e32 vcc, s[8:9], v[0:1]
	v_cmp_eq_u64_e64 s[4:5], s[10:11], v[2:3]
	s_and_b64 s[4:5], vcc, s[4:5]
	s_and_saveexec_b64 s[4:5], s[4:5]
	s_nop 0
	buffer_load_dwordx4 v[4:7], v11, s[8:11], 0 offen
                                        ; implicit-def: $vgpr11
	s_xor_b64 exec, exec, s[4:5]
	s_cbranch_execnz .LBB60_107
; %bb.108:                              ;   in Loop: Header=BB60_64 Depth=1
	s_mov_b64 exec, s[6:7]
	v_add_u32_e32 v11, 2, v9
	flat_store_dword v[34:35], v11 offset:4
	flat_load_dword v11, v[36:37] offset:16
	s_waitcnt vmcnt(0)
	buffer_store_dword v7, off, s[0:3], s33 offset:160
	buffer_store_dword v6, off, s[0:3], s33 offset:156
	buffer_store_dword v5, off, s[0:3], s33 offset:152
	buffer_store_dword v4, off, s[0:3], s33 offset:148
	s_mov_b64 s[6:7], exec
	s_waitcnt lgkmcnt(0)
	v_add_u32_e32 v8, v11, v8
	v_lshrrev_b32_e32 v4, 31, v8
	v_add_u32_e32 v4, v8, v4
	v_ashrrev_i32_e32 v11, 1, v4
	flat_store_dword v[34:35], v8
	;; [unrolled: 32-line block ×7, first 2 shown]
.LBB60_119:                             ;   Parent Loop BB60_64 Depth=1
                                        ; =>  This Inner Loop Header: Depth=2
	v_readfirstlane_b32 s8, v0
	v_readfirstlane_b32 s9, v1
	;; [unrolled: 1-line block ×4, first 2 shown]
	v_cmp_eq_u64_e32 vcc, s[8:9], v[0:1]
	v_cmp_eq_u64_e64 s[4:5], s[10:11], v[2:3]
	s_and_b64 s[4:5], vcc, s[4:5]
	s_and_saveexec_b64 s[4:5], s[4:5]
	s_nop 0
	buffer_load_dwordx4 v[4:7], v11, s[8:11], 0 offen
                                        ; implicit-def: $vgpr0_vgpr1_vgpr2_vgpr3
                                        ; implicit-def: $vgpr11
	s_xor_b64 exec, exec, s[4:5]
	s_cbranch_execnz .LBB60_119
; %bb.120:                              ;   in Loop: Header=BB60_64 Depth=1
	s_mov_b64 exec, s[6:7]
	flat_store_dword v[34:35], v9 offset:4
	flat_load_dword v0, v[36:37] offset:16
	s_waitcnt vmcnt(0) lgkmcnt(0)
	v_mad_u64_u32 v[12:13], s[4:5], v0, -7, v[8:9]
	flat_store_dword v[34:35], v12
	flat_load_dwordx4 v[0:3], v[48:49]
	flat_load_dwordx2 v[14:15], v[34:35] offset:12
	s_nop 0
	buffer_store_dword v7, off, s[0:3], s33 offset:352
	buffer_store_dword v6, off, s[0:3], s33 offset:348
	;; [unrolled: 1-line block ×4, first 2 shown]
	s_waitcnt vmcnt(0) lgkmcnt(0)
	v_or_b32_e32 v8, v1, v2
	v_or3_b32 v8, v8, v0, v3
	v_add_u32_e32 v5, v10, v1
	v_add_u32_e32 v4, v9, v0
	;; [unrolled: 1-line block ×4, first 2 shown]
	v_cmp_ne_u32_e32 vcc, 0, v8
	flat_store_dwordx4 v[34:35], v[4:7] offset:4
	s_and_saveexec_b64 s[4:5], vcc
	s_cbranch_execz .LBB60_122
; %bb.121:                              ;   in Loop: Header=BB60_64 Depth=1
	flat_load_dwordx3 v[4:6], v[36:37] offset:16
	s_waitcnt vmcnt(0) lgkmcnt(0)
	v_mul_lo_u32 v0, v4, v0
	v_mul_lo_u32 v2, v6, v2
	;; [unrolled: 1-line block ×3, first 2 shown]
	v_add3_u32 v0, v3, v12, v0
	v_add3_u32 v0, v0, v1, v2
	flat_store_dword v[34:35], v0
.LBB60_122:                             ;   in Loop: Header=BB60_64 Depth=1
	s_or_b64 exec, exec, s[4:5]
	v_mov_b32_e32 v70, s34
	v_mov_b32_e32 v71, s29
	v_mov_b32_e32 v80, s28
	v_mov_b32_e32 v81, s17
	v_mov_b32_e32 v82, s15
	v_mov_b32_e32 v83, s27
	v_mov_b32_e32 v84, s25
	v_mov_b32_e32 v85, s23
	v_mov_b32_e32 v0, s35
	v_mov_b32_e32 v1, s36
	buffer_store_dword v70, off, s[0:3], s33 offset:12
	buffer_store_dword v71, off, s[0:3], s33 offset:8
	;; [unrolled: 1-line block ×10, first 2 shown]
	s_getpc_b64 s[4:5]
	s_add_u32 s4, s4, _ZNK2ck6detail7applierIiJLi0ELi1ELi2ELi3ELi4ELi5ELi6ELi7EEEclIZNKS_11static_fordINS_8SequenceIJLi1ELi8EEEENS5_IJLi0ELi1EEEEEclIZZZNKS_52BlockwiseGemmXdlops_pipeline_bpreshuffle_bdequant_v3ILNS_26BlockGemmPipelineSchedulerE0ELi256ENS_9f8_fnuz_tENS_7pk_i4_tESC_fNS_16TensorDescriptorINS_5TupleIJNS_5EmbedINSF_IJNS_17integral_constantIiLi8EEENSH_IiLi256EEENSH_IiLi16EEEEEENSF_IJSK_NSH_IiLi128EEENSH_IiLi1EEEEEELb0EEENS_3XorINSF_IJSJ_SI_EEELb1EEENS_11PassThroughISK_EENS_7UnMergeINSF_IJSI_SN_EEELb0EEENST_ISJ_EESU_NST_ISI_EENS_21Merge_v3_division_modINSF_IJSJ_SN_EEEEESU_EEENSF_IJNS5_IJLi0EEEENS5_IJLi2ELi1EEEENS5_IJLi3EEEENS5_IJLi5EEEENS5_IJLi4EEEENS5_IJLi6EEEENS5_IJLi7EEEENS5_IJLi9ELi8EEEENS5_IJLi10EEEEEEENSF_IJNS5_IJLi1ELi2ELi3EEEENS5_IJLi4ELi5EEEES19_NS5_IJLi7ELi8EEEENS5_IJLi9EEEES1C_NS5_IJLi11EEEENS5_IJLi12EEEENS5_IJLi13EEEEEEENS5_IJLi11ELi12ELi13EEEENSH_IlLl32768EEEEENSE_INSF_IJNSV_INSF_IJSI_SN_SN_NSH_IiLi32EEEEEELb0EEEEEENSF_IJS14_EEENSF_IJNS5_IJLi1ELi2ELi3ELi4EEEEEEES1U_NSH_IlLl256EEEEENSE_INSF_IJSP_SS_SU_SX_SY_SU_SZ_S12_SU_NS10_INSF_IJSI_SK_EEEEENSV_INSF_IJSI_NSH_IiLi2EEESK_EEELb0EEEEEENSF_IJS14_S15_S16_S17_S18_S19_S1A_S1B_S1C_NS5_IJLi11ELi13EEEES1J_EEENSF_IJS1E_S1F_S19_S1G_S1H_S1C_S1I_S1J_S1K_NS5_IJLi14EEEENS5_IJLi15ELi16ELi17EEEEEEENS5_IJLi15ELi16ELi17ELi14EEEES1N_EENSE_INSF_IJS1R_NS10_ISW_EES22_EEENSF_IJS14_NS5_IJLi1ELi3EEEENS5_IJLi2EEEEEEENSF_IJS1U_S17_NS5_IJLi6ELi7ELi8EEEEEEENS5_IJLi6ELi7ELi8ELi5EEEES1W_EELi16ELi32ELi256ELi256ELi128ELi16ELi16ELi8ELi8ELi32ELb0EE3RunILb1ELNS_10TailNumberE1ENSE_INSF_IJNSG_INSF_IJiiEEENSF_IJiSN_EEELb0EEENSV_IS2N_Lb0EEENST_IiEEEEENSF_IJS14_S2E_NS5_IJLi1EEEEEEENSF_IJNS5_IJLi1ELi2EEEENS5_IJLi3ELi4EEEES17_EEENS5_IJLi3ELi5ELi4EEEElEES1O_NS_35ThreadGroupTensorSliceTransfer_v4r1INS_15ThisThreadBlockILi256EEENS_16tensor_operation12element_wise11PassThroughES35_LNS_25InMemoryDataOperationEnumE0ENS5_IJLi8ELi256ELi16EEEENS5_IJLi8ELi32ELi1EEEENS5_IJLi1ELi0ELi2EEEESC_SC_RKS2Z_KS1O_S39_NS5_IJLi0ELi1ELi2EEEELi2ELi2ELi16ELi16ELi1ELi1ELb0ELb1ELi2EiEENS_13DynamicBufferILNS_16AddressSpaceEnumE1EKSC_lLb1ELNS_22AmdBufferCoherenceEnumE0EiEENSF_IJNS3F_ILS3G_2ESC_S1N_Lb1ELS3I_0EiEES3K_EEENSF_IJiiiEEENSE_INSF_IJNSG_INSF_IJiiiiEEENSF_IJiiiSN_EEELb0EEEEEES1T_S1V_S1U_lEENS_32ThreadwiseTensorSliceTransfer_v2ISD_SD_RKS3R_KS1X_NS5_IJLi8ELi1ELi1ELi32EEEENS5_IJLi1ELi2ELi0ELi3EEEELi3ELi32ELi0ELb1ELb0ELb0EEENS3F_ILS3G_1EKSD_lLb1ELS3I_0EiEENSF_IJNS_12StaticBufferILS3G_4ESD_Li256ELb1EEES42_EEES3N_NS_25StaticBufferTupleOfVectorILS3G_4EfLi64ELi4ELb1ELb0EEEEEvRKT1_RKT2_RT3_RKT4_RT5_RKT6_RKT7_RT8_RKT9_RT10_RKT11_RT12_iENKUlT_T0_E_clISN_NSH_IiLi0EEEEEDaS51_S52_ENKUlS51_E_clIS55_EEDaS51_EUlS51_E_EEvS51_EUlS51_E_EEvS51_@rel32@lo+4
	s_addc_u32 s5, s5, _ZNK2ck6detail7applierIiJLi0ELi1ELi2ELi3ELi4ELi5ELi6ELi7EEEclIZNKS_11static_fordINS_8SequenceIJLi1ELi8EEEENS5_IJLi0ELi1EEEEEclIZZZNKS_52BlockwiseGemmXdlops_pipeline_bpreshuffle_bdequant_v3ILNS_26BlockGemmPipelineSchedulerE0ELi256ENS_9f8_fnuz_tENS_7pk_i4_tESC_fNS_16TensorDescriptorINS_5TupleIJNS_5EmbedINSF_IJNS_17integral_constantIiLi8EEENSH_IiLi256EEENSH_IiLi16EEEEEENSF_IJSK_NSH_IiLi128EEENSH_IiLi1EEEEEELb0EEENS_3XorINSF_IJSJ_SI_EEELb1EEENS_11PassThroughISK_EENS_7UnMergeINSF_IJSI_SN_EEELb0EEENST_ISJ_EESU_NST_ISI_EENS_21Merge_v3_division_modINSF_IJSJ_SN_EEEEESU_EEENSF_IJNS5_IJLi0EEEENS5_IJLi2ELi1EEEENS5_IJLi3EEEENS5_IJLi5EEEENS5_IJLi4EEEENS5_IJLi6EEEENS5_IJLi7EEEENS5_IJLi9ELi8EEEENS5_IJLi10EEEEEEENSF_IJNS5_IJLi1ELi2ELi3EEEENS5_IJLi4ELi5EEEES19_NS5_IJLi7ELi8EEEENS5_IJLi9EEEES1C_NS5_IJLi11EEEENS5_IJLi12EEEENS5_IJLi13EEEEEEENS5_IJLi11ELi12ELi13EEEENSH_IlLl32768EEEEENSE_INSF_IJNSV_INSF_IJSI_SN_SN_NSH_IiLi32EEEEEELb0EEEEEENSF_IJS14_EEENSF_IJNS5_IJLi1ELi2ELi3ELi4EEEEEEES1U_NSH_IlLl256EEEEENSE_INSF_IJSP_SS_SU_SX_SY_SU_SZ_S12_SU_NS10_INSF_IJSI_SK_EEEEENSV_INSF_IJSI_NSH_IiLi2EEESK_EEELb0EEEEEENSF_IJS14_S15_S16_S17_S18_S19_S1A_S1B_S1C_NS5_IJLi11ELi13EEEES1J_EEENSF_IJS1E_S1F_S19_S1G_S1H_S1C_S1I_S1J_S1K_NS5_IJLi14EEEENS5_IJLi15ELi16ELi17EEEEEEENS5_IJLi15ELi16ELi17ELi14EEEES1N_EENSE_INSF_IJS1R_NS10_ISW_EES22_EEENSF_IJS14_NS5_IJLi1ELi3EEEENS5_IJLi2EEEEEEENSF_IJS1U_S17_NS5_IJLi6ELi7ELi8EEEEEEENS5_IJLi6ELi7ELi8ELi5EEEES1W_EELi16ELi32ELi256ELi256ELi128ELi16ELi16ELi8ELi8ELi32ELb0EE3RunILb1ELNS_10TailNumberE1ENSE_INSF_IJNSG_INSF_IJiiEEENSF_IJiSN_EEELb0EEENSV_IS2N_Lb0EEENST_IiEEEEENSF_IJS14_S2E_NS5_IJLi1EEEEEEENSF_IJNS5_IJLi1ELi2EEEENS5_IJLi3ELi4EEEES17_EEENS5_IJLi3ELi5ELi4EEEElEES1O_NS_35ThreadGroupTensorSliceTransfer_v4r1INS_15ThisThreadBlockILi256EEENS_16tensor_operation12element_wise11PassThroughES35_LNS_25InMemoryDataOperationEnumE0ENS5_IJLi8ELi256ELi16EEEENS5_IJLi8ELi32ELi1EEEENS5_IJLi1ELi0ELi2EEEESC_SC_RKS2Z_KS1O_S39_NS5_IJLi0ELi1ELi2EEEELi2ELi2ELi16ELi16ELi1ELi1ELb0ELb1ELi2EiEENS_13DynamicBufferILNS_16AddressSpaceEnumE1EKSC_lLb1ELNS_22AmdBufferCoherenceEnumE0EiEENSF_IJNS3F_ILS3G_2ESC_S1N_Lb1ELS3I_0EiEES3K_EEENSF_IJiiiEEENSE_INSF_IJNSG_INSF_IJiiiiEEENSF_IJiiiSN_EEELb0EEEEEES1T_S1V_S1U_lEENS_32ThreadwiseTensorSliceTransfer_v2ISD_SD_RKS3R_KS1X_NS5_IJLi8ELi1ELi1ELi32EEEENS5_IJLi1ELi2ELi0ELi3EEEELi3ELi32ELi0ELb1ELb0ELb0EEENS3F_ILS3G_1EKSD_lLb1ELS3I_0EiEENSF_IJNS_12StaticBufferILS3G_4ESD_Li256ELb1EEES42_EEES3N_NS_25StaticBufferTupleOfVectorILS3G_4EfLi64ELi4ELb1ELb0EEEEEvRKT1_RKT2_RT3_RKT4_RT5_RKT6_RKT7_RT8_RKT9_RT10_RKT11_RT12_iENKUlT_T0_E_clISN_NSH_IiLi0EEEEEDaS51_S52_ENKUlS51_E_clIS55_EEDaS51_EUlS51_E_EEvS51_EUlS51_E_EEvS51_@rel32@hi+12
	s_swappc_b64 s[30:31], s[4:5]
	flat_load_dwordx2 v[12:13], v[30:31] offset:1148
	flat_load_dwordx2 v[14:15], v[30:31] offset:1164
	flat_load_dwordx4 v[0:3], v[30:31] offset:1176
	flat_load_dwordx3 v[8:10], v[30:31] offset:1132
	flat_load_dwordx2 v[16:17], v[28:29] offset:16
	s_getpc_b64 s[20:21]
	s_add_u32 s20, s20, _ZNK2ck44ThreadwiseTensorSliceTransfer_StaticToStaticINS_7pk_i4_tENS_9f8_fnuz_tEKNS_16TensorDescriptorINS_5TupleIJNS_7UnMergeINS4_IJNS_17integral_constantIiLi8EEENS6_IiLi1EEES8_NS6_IiLi32EEEEEELb0EEEEEENS4_IJNS_8SequenceIJLi0EEEEEEENS4_IJNSD_IJLi1ELi2ELi3ELi4EEEEEEESG_NS6_IlLl256EEEEESK_NS_16tensor_operation12element_wise11PassThroughENSD_IJLi8ELi1ELi1ELi32EEEENSD_IJLi1ELi2ELi0ELi3EEEELi3ELi32ELb0EE3RunINS4_IJNS6_IiLi0EEESS_SS_SS_EEEST_NS_12StaticBufferILNS_16AddressSpaceEnumE4ES1_Li256ELb1EEENSU_ILSV_4ES2_Li256ELb1EEEEEvRSK_RKT_RKT1_SY_RKT0_RT2_@rel32@lo+4
	s_addc_u32 s21, s21, _ZNK2ck44ThreadwiseTensorSliceTransfer_StaticToStaticINS_7pk_i4_tENS_9f8_fnuz_tEKNS_16TensorDescriptorINS_5TupleIJNS_7UnMergeINS4_IJNS_17integral_constantIiLi8EEENS6_IiLi1EEES8_NS6_IiLi32EEEEEELb0EEEEEENS4_IJNS_8SequenceIJLi0EEEEEEENS4_IJNSD_IJLi1ELi2ELi3ELi4EEEEEEESG_NS6_IlLl256EEEEESK_NS_16tensor_operation12element_wise11PassThroughENSD_IJLi8ELi1ELi1ELi32EEEENSD_IJLi1ELi2ELi0ELi3EEEELi3ELi32ELb0EE3RunINS4_IJNS6_IiLi0EEESS_SS_SS_EEEST_NS_12StaticBufferILNS_16AddressSpaceEnumE4ES1_Li256ELb1EEENSU_ILSV_4ES2_Li256ELb1EEEEEvRSK_RKT_RKT1_SY_RKT0_RT2_@rel32@hi+12
	s_waitcnt vmcnt(0) lgkmcnt(0)
	v_sub_u32_e32 v4, v12, v15
	v_add3_u32 v1, v4, v1, 32
	v_ashrrev_i32_e32 v4, 31, v1
	v_lshrrev_b32_e32 v4, 29, v4
	v_add_u32_e32 v4, v1, v4
	v_and_b32_e32 v4, -8, v4
	v_sub_u32_e32 v5, v13, v14
	v_sub_u32_e32 v6, v1, v10
	;; [unrolled: 1-line block ×3, first 2 shown]
	v_xor_b32_e32 v4, v1, v5
	v_sub_u32_e32 v4, v4, v9
	v_lshlrev_b32_e32 v10, 7, v6
	v_lshlrev_b32_e32 v4, 4, v4
	v_add3_u32 v4, v10, v8, v4
	v_ashrrev_i32_e32 v5, 31, v4
	v_add_co_u32_e32 v4, vcc, v16, v4
	v_addc_co_u32_e32 v5, vcc, v17, v5, vcc
	flat_load_dwordx4 v[4:7], v[4:5]
	v_add_u32_e32 v3, 16, v3
	v_sub_u32_e32 v2, v8, v2
	v_ashrrev_i32_e32 v8, 31, v3
	v_lshrrev_b32_e32 v8, 28, v8
	v_add_u32_e32 v0, v14, v0
	v_add_u32_e32 v8, v3, v8
	v_sub_u32_e32 v0, v13, v0
	v_lshrrev_b32_e32 v11, 4, v8
	v_add_u32_e32 v0, v0, v11
	v_xor_b32_e32 v0, v0, v1
	v_and_b32_e32 v8, -16, v8
	v_sub_u32_e32 v0, v0, v9
	v_add_u32_e32 v2, v2, v10
	v_sub_u32_e32 v3, v3, v8
	v_lshlrev_b32_e32 v0, 4, v0
	v_add3_u32 v0, v2, v3, v0
	v_ashrrev_i32_e32 v1, 31, v0
	v_add_co_u32_e32 v0, vcc, v16, v0
	v_addc_co_u32_e32 v1, vcc, v17, v1, vcc
	s_waitcnt vmcnt(0) lgkmcnt(0)
	buffer_store_dword v4, off, s[0:3], s33 offset:84
	buffer_store_dword v5, off, s[0:3], s33 offset:88
	;; [unrolled: 1-line block ×4, first 2 shown]
	flat_load_dwordx4 v[0:3], v[0:1]
	s_waitcnt vmcnt(0) lgkmcnt(0)
	buffer_store_dword v0, off, s[0:3], s33 offset:100
	buffer_store_dword v1, off, s[0:3], s33 offset:104
	;; [unrolled: 1-line block ×4, first 2 shown]
	v_mov_b32_e32 v0, v64
	v_mov_b32_e32 v2, s22
	v_mov_b32_e32 v1, s15
	v_mov_b32_e32 v3, s14
	s_swappc_b64 s[30:31], s[20:21]
	; sched_group_barrier mask(0x00000008) size(4) SyncID(0)
	; sched_group_barrier mask(0x00000020) size(1) SyncID(0)
	;; [unrolled: 1-line block ×20, first 2 shown]
	; sched_barrier mask(0x00000000)
	flat_load_ubyte v4, v[32:33] offset:288
	flat_load_ubyte v8, v[32:33] offset:304
	flat_load_dwordx4 v[0:3], v[32:33]
	flat_load_ubyte v12, v[32:33] offset:320
	s_getpc_b64 s[4:5]
	s_add_u32 s4, s4, _ZNK2ck6detail7applierIiJLi0ELi1ELi2ELi3ELi4ELi5ELi6ELi7EEEclIZNKS_11static_fordINS_8SequenceIJLi1ELi8EEEENS5_IJLi0ELi1EEEEEclIZZZNKS_52BlockwiseGemmXdlops_pipeline_bpreshuffle_bdequant_v3ILNS_26BlockGemmPipelineSchedulerE0ELi256ENS_9f8_fnuz_tENS_7pk_i4_tESC_fNS_16TensorDescriptorINS_5TupleIJNS_5EmbedINSF_IJNS_17integral_constantIiLi8EEENSH_IiLi256EEENSH_IiLi16EEEEEENSF_IJSK_NSH_IiLi128EEENSH_IiLi1EEEEEELb0EEENS_3XorINSF_IJSJ_SI_EEELb1EEENS_11PassThroughISK_EENS_7UnMergeINSF_IJSI_SN_EEELb0EEENST_ISJ_EESU_NST_ISI_EENS_21Merge_v3_division_modINSF_IJSJ_SN_EEEEESU_EEENSF_IJNS5_IJLi0EEEENS5_IJLi2ELi1EEEENS5_IJLi3EEEENS5_IJLi5EEEENS5_IJLi4EEEENS5_IJLi6EEEENS5_IJLi7EEEENS5_IJLi9ELi8EEEENS5_IJLi10EEEEEEENSF_IJNS5_IJLi1ELi2ELi3EEEENS5_IJLi4ELi5EEEES19_NS5_IJLi7ELi8EEEENS5_IJLi9EEEES1C_NS5_IJLi11EEEENS5_IJLi12EEEENS5_IJLi13EEEEEEENS5_IJLi11ELi12ELi13EEEENSH_IlLl32768EEEEENSE_INSF_IJNSV_INSF_IJSI_SN_SN_NSH_IiLi32EEEEEELb0EEEEEENSF_IJS14_EEENSF_IJNS5_IJLi1ELi2ELi3ELi4EEEEEEES1U_NSH_IlLl256EEEEENSE_INSF_IJSP_SS_SU_SX_SY_SU_SZ_S12_SU_NS10_INSF_IJSI_SK_EEEEENSV_INSF_IJSI_NSH_IiLi2EEESK_EEELb0EEEEEENSF_IJS14_S15_S16_S17_S18_S19_S1A_S1B_S1C_NS5_IJLi11ELi13EEEES1J_EEENSF_IJS1E_S1F_S19_S1G_S1H_S1C_S1I_S1J_S1K_NS5_IJLi14EEEENS5_IJLi15ELi16ELi17EEEEEEENS5_IJLi15ELi16ELi17ELi14EEEES1N_EENSE_INSF_IJS1R_NS10_ISW_EES22_EEENSF_IJS14_NS5_IJLi1ELi3EEEENS5_IJLi2EEEEEEENSF_IJS1U_S17_NS5_IJLi6ELi7ELi8EEEEEEENS5_IJLi6ELi7ELi8ELi5EEEES1W_EELi16ELi32ELi256ELi256ELi128ELi16ELi16ELi8ELi8ELi32ELb0EE3RunILb1ELNS_10TailNumberE1ENSE_INSF_IJNSG_INSF_IJiiEEENSF_IJiSN_EEELb0EEENSV_IS2N_Lb0EEENST_IiEEEEENSF_IJS14_S2E_NS5_IJLi1EEEEEEENSF_IJNS5_IJLi1ELi2EEEENS5_IJLi3ELi4EEEES17_EEENS5_IJLi3ELi5ELi4EEEElEES1O_NS_35ThreadGroupTensorSliceTransfer_v4r1INS_15ThisThreadBlockILi256EEENS_16tensor_operation12element_wise11PassThroughES35_LNS_25InMemoryDataOperationEnumE0ENS5_IJLi8ELi256ELi16EEEENS5_IJLi8ELi32ELi1EEEENS5_IJLi1ELi0ELi2EEEESC_SC_RKS2Z_KS1O_S39_NS5_IJLi0ELi1ELi2EEEELi2ELi2ELi16ELi16ELi1ELi1ELb0ELb1ELi2EiEENS_13DynamicBufferILNS_16AddressSpaceEnumE1EKSC_lLb1ELNS_22AmdBufferCoherenceEnumE0EiEENSF_IJNS3F_ILS3G_2ESC_S1N_Lb1ELS3I_0EiEES3K_EEENSF_IJiiiEEENSE_INSF_IJNSG_INSF_IJiiiiEEENSF_IJiiiSN_EEELb0EEEEEES1T_S1V_S1U_lEENS_32ThreadwiseTensorSliceTransfer_v2ISD_SD_RKS3R_KS1X_NS5_IJLi8ELi1ELi1ELi32EEEENS5_IJLi1ELi2ELi0ELi3EEEELi3ELi32ELi0ELb1ELb0ELb0EEENS3F_ILS3G_1EKSD_lLb1ELS3I_0EiEENSF_IJNS_12StaticBufferILS3G_4ESD_Li256ELb1EEES42_EEES3N_NS_25StaticBufferTupleOfVectorILS3G_4EfLi64ELi4ELb1ELb0EEEEEvRKT1_RKT2_RT3_RKT4_RT5_RKT6_RKT7_RT8_RKT9_RT10_RKT11_RT12_iENKUlT_T0_E_clISN_NSH_IiLi0EEEEEDaS51_S52_ENKUlS51_E_clISN_EEDaS51_EUlS51_E_EEvS51_EUlS51_E_EEvS51_@rel32@lo+4
	s_addc_u32 s5, s5, _ZNK2ck6detail7applierIiJLi0ELi1ELi2ELi3ELi4ELi5ELi6ELi7EEEclIZNKS_11static_fordINS_8SequenceIJLi1ELi8EEEENS5_IJLi0ELi1EEEEEclIZZZNKS_52BlockwiseGemmXdlops_pipeline_bpreshuffle_bdequant_v3ILNS_26BlockGemmPipelineSchedulerE0ELi256ENS_9f8_fnuz_tENS_7pk_i4_tESC_fNS_16TensorDescriptorINS_5TupleIJNS_5EmbedINSF_IJNS_17integral_constantIiLi8EEENSH_IiLi256EEENSH_IiLi16EEEEEENSF_IJSK_NSH_IiLi128EEENSH_IiLi1EEEEEELb0EEENS_3XorINSF_IJSJ_SI_EEELb1EEENS_11PassThroughISK_EENS_7UnMergeINSF_IJSI_SN_EEELb0EEENST_ISJ_EESU_NST_ISI_EENS_21Merge_v3_division_modINSF_IJSJ_SN_EEEEESU_EEENSF_IJNS5_IJLi0EEEENS5_IJLi2ELi1EEEENS5_IJLi3EEEENS5_IJLi5EEEENS5_IJLi4EEEENS5_IJLi6EEEENS5_IJLi7EEEENS5_IJLi9ELi8EEEENS5_IJLi10EEEEEEENSF_IJNS5_IJLi1ELi2ELi3EEEENS5_IJLi4ELi5EEEES19_NS5_IJLi7ELi8EEEENS5_IJLi9EEEES1C_NS5_IJLi11EEEENS5_IJLi12EEEENS5_IJLi13EEEEEEENS5_IJLi11ELi12ELi13EEEENSH_IlLl32768EEEEENSE_INSF_IJNSV_INSF_IJSI_SN_SN_NSH_IiLi32EEEEEELb0EEEEEENSF_IJS14_EEENSF_IJNS5_IJLi1ELi2ELi3ELi4EEEEEEES1U_NSH_IlLl256EEEEENSE_INSF_IJSP_SS_SU_SX_SY_SU_SZ_S12_SU_NS10_INSF_IJSI_SK_EEEEENSV_INSF_IJSI_NSH_IiLi2EEESK_EEELb0EEEEEENSF_IJS14_S15_S16_S17_S18_S19_S1A_S1B_S1C_NS5_IJLi11ELi13EEEES1J_EEENSF_IJS1E_S1F_S19_S1G_S1H_S1C_S1I_S1J_S1K_NS5_IJLi14EEEENS5_IJLi15ELi16ELi17EEEEEEENS5_IJLi15ELi16ELi17ELi14EEEES1N_EENSE_INSF_IJS1R_NS10_ISW_EES22_EEENSF_IJS14_NS5_IJLi1ELi3EEEENS5_IJLi2EEEEEEENSF_IJS1U_S17_NS5_IJLi6ELi7ELi8EEEEEEENS5_IJLi6ELi7ELi8ELi5EEEES1W_EELi16ELi32ELi256ELi256ELi128ELi16ELi16ELi8ELi8ELi32ELb0EE3RunILb1ELNS_10TailNumberE1ENSE_INSF_IJNSG_INSF_IJiiEEENSF_IJiSN_EEELb0EEENSV_IS2N_Lb0EEENST_IiEEEEENSF_IJS14_S2E_NS5_IJLi1EEEEEEENSF_IJNS5_IJLi1ELi2EEEENS5_IJLi3ELi4EEEES17_EEENS5_IJLi3ELi5ELi4EEEElEES1O_NS_35ThreadGroupTensorSliceTransfer_v4r1INS_15ThisThreadBlockILi256EEENS_16tensor_operation12element_wise11PassThroughES35_LNS_25InMemoryDataOperationEnumE0ENS5_IJLi8ELi256ELi16EEEENS5_IJLi8ELi32ELi1EEEENS5_IJLi1ELi0ELi2EEEESC_SC_RKS2Z_KS1O_S39_NS5_IJLi0ELi1ELi2EEEELi2ELi2ELi16ELi16ELi1ELi1ELb0ELb1ELi2EiEENS_13DynamicBufferILNS_16AddressSpaceEnumE1EKSC_lLb1ELNS_22AmdBufferCoherenceEnumE0EiEENSF_IJNS3F_ILS3G_2ESC_S1N_Lb1ELS3I_0EiEES3K_EEENSF_IJiiiEEENSE_INSF_IJNSG_INSF_IJiiiiEEENSF_IJiiiSN_EEELb0EEEEEES1T_S1V_S1U_lEENS_32ThreadwiseTensorSliceTransfer_v2ISD_SD_RKS3R_KS1X_NS5_IJLi8ELi1ELi1ELi32EEEENS5_IJLi1ELi2ELi0ELi3EEEELi3ELi32ELi0ELb1ELb0ELb0EEENS3F_ILS3G_1EKSD_lLb1ELS3I_0EiEENSF_IJNS_12StaticBufferILS3G_4ESD_Li256ELb1EEES42_EEES3N_NS_25StaticBufferTupleOfVectorILS3G_4EfLi64ELi4ELb1ELb0EEEEEvRKT1_RKT2_RT3_RKT4_RT5_RKT6_RKT7_RT8_RKT9_RT10_RKT11_RT12_iENKUlT_T0_E_clISN_NSH_IiLi0EEEEEDaS51_S52_ENKUlS51_E_clISN_EEDaS51_EUlS51_E_EEvS51_EUlS51_E_EEvS51_@rel32@hi+12
	s_waitcnt vmcnt(0) lgkmcnt(0)
	v_and_b32_e32 v4, 1, v4
	v_cmp_eq_u32_e32 vcc, 1, v4
	flat_load_dwordx4 v[4:7], v[32:33] offset:16
	v_and_b32_e32 v8, 1, v8
	v_cndmask_b32_e32 v3, 0, v3, vcc
	v_cndmask_b32_e32 v2, 0, v2, vcc
	;; [unrolled: 1-line block ×4, first 2 shown]
	v_cmp_eq_u32_e32 vcc, 1, v8
	flat_load_dwordx4 v[8:11], v[32:33] offset:32
	v_and_b32_e32 v12, 1, v12
	flat_store_dwordx4 v[32:33], v[0:3]
	flat_store_dwordx4 v[32:33], v[0:3] offset:560
	s_waitcnt vmcnt(0) lgkmcnt(0)
	v_cndmask_b32_e32 v7, 0, v7, vcc
	v_cndmask_b32_e32 v6, 0, v6, vcc
	;; [unrolled: 1-line block ×4, first 2 shown]
	v_cmp_eq_u32_e32 vcc, 1, v12
	flat_load_dwordx4 v[12:15], v[32:33] offset:48
	v_cndmask_b32_e32 v11, 0, v11, vcc
	v_cndmask_b32_e32 v10, 0, v10, vcc
	;; [unrolled: 1-line block ×4, first 2 shown]
	flat_store_dwordx4 v[32:33], v[8:11] offset:32
	flat_load_ubyte v11, v[32:33] offset:336
	s_waitcnt vmcnt(0) lgkmcnt(0)
	v_and_b32_e32 v11, 1, v11
	v_cmp_eq_u32_e32 vcc, 1, v11
	flat_load_ubyte v11, v[32:33] offset:352
	v_cndmask_b32_e32 v15, 0, v15, vcc
	v_cndmask_b32_e32 v14, 0, v14, vcc
	;; [unrolled: 1-line block ×4, first 2 shown]
	flat_store_dwordx4 v[32:33], v[12:15] offset:48
	flat_load_dwordx4 v[12:15], v[32:33] offset:64
	s_waitcnt vmcnt(0) lgkmcnt(0)
	v_and_b32_e32 v11, 1, v11
	v_cmp_eq_u32_e32 vcc, 1, v11
	flat_load_ubyte v11, v[32:33] offset:368
	v_cndmask_b32_e32 v15, 0, v15, vcc
	v_cndmask_b32_e32 v14, 0, v14, vcc
	;; [unrolled: 1-line block ×4, first 2 shown]
	flat_store_dwordx4 v[32:33], v[12:15] offset:64
	flat_load_dwordx4 v[12:15], v[32:33] offset:80
	s_waitcnt vmcnt(0) lgkmcnt(0)
	v_and_b32_e32 v11, 1, v11
	v_cmp_eq_u32_e32 vcc, 1, v11
	flat_load_ubyte v11, v[32:33] offset:384
	v_cndmask_b32_e32 v15, 0, v15, vcc
	v_cndmask_b32_e32 v14, 0, v14, vcc
	;; [unrolled: 1-line block ×4, first 2 shown]
	flat_store_dwordx4 v[32:33], v[4:7] offset:16
	flat_store_dwordx4 v[32:33], v[12:15] offset:80
	flat_load_dwordx4 v[12:15], v[32:33] offset:96
	v_perm_b32 v7, v7, v7, s38
	v_perm_b32 v6, v6, v6, s39
	;; [unrolled: 1-line block ×3, first 2 shown]
	flat_store_dwordx4 v[32:33], v[4:7] offset:576
	flat_load_dwordx4 v[4:7], v[32:33] offset:43
	s_waitcnt vmcnt(0) lgkmcnt(0)
	v_and_b32_e32 v11, 1, v11
	v_cmp_eq_u32_e32 vcc, 1, v11
	flat_load_ubyte v11, v[32:33] offset:400
	v_cndmask_b32_e32 v15, 0, v15, vcc
	v_cndmask_b32_e32 v14, 0, v14, vcc
	;; [unrolled: 1-line block ×4, first 2 shown]
	flat_store_dwordx4 v[32:33], v[12:15] offset:96
	flat_load_dwordx4 v[12:15], v[32:33] offset:112
	v_perm_b32 v10, v10, v4, s41
	s_waitcnt vmcnt(0) lgkmcnt(0)
	v_and_b32_e32 v11, 1, v11
	v_cmp_eq_u32_e32 vcc, 1, v11
	v_perm_b32 v11, v4, v5, s40
	flat_store_dwordx4 v[32:33], v[8:11] offset:592
	flat_load_dwordx4 v[8:11], v[32:33] offset:59
	v_cndmask_b32_e32 v15, 0, v15, vcc
	v_cndmask_b32_e32 v14, 0, v14, vcc
	;; [unrolled: 1-line block ×4, first 2 shown]
	flat_store_dwordx4 v[32:33], v[12:15] offset:112
	s_nop 0
	v_perm_b32 v13, v6, v7, s40
	v_perm_b32 v12, v5, v6, s40
	s_waitcnt vmcnt(0) lgkmcnt(0)
	v_perm_b32 v14, v7, v8, s40
	flat_load_dwordx4 v[4:7], v[32:33] offset:75
	v_perm_b32 v15, v8, v9, s40
	flat_store_dwordx4 v[32:33], v[12:15] offset:608
	s_nop 0
	v_perm_b32 v13, v10, v11, s40
	v_perm_b32 v12, v9, v10, s40
	s_waitcnt vmcnt(0) lgkmcnt(0)
	v_perm_b32 v14, v11, v4, s40
	flat_load_dwordx4 v[8:11], v[32:33] offset:91
	v_perm_b32 v15, v4, v5, s40
	;; [unrolled: 8-line block ×3, first 2 shown]
	flat_store_dwordx4 v[32:33], v[12:15] offset:640
	flat_load_sbyte v8, v[32:33] offset:127
	v_perm_b32 v13, v10, v11, s40
	v_perm_b32 v12, v9, v10, s40
	s_waitcnt vmcnt(0) lgkmcnt(0)
	v_perm_b32 v15, v4, v5, s40
	v_perm_b32 v14, v11, v4, s40
	flat_load_dword v4, v[32:33] offset:123
	s_waitcnt vmcnt(0) lgkmcnt(0)
	v_perm_b32 v9, v4, v8, s40
	v_perm_b32 v8, v7, v4, s40
	;; [unrolled: 1-line block ×4, first 2 shown]
	flat_store_dwordx4 v[32:33], v[12:15] offset:656
	flat_store_dwordx4 v[32:33], v[6:9] offset:672
	flat_load_dword v6, v[32:33] offset:728
	s_waitcnt vmcnt(0) lgkmcnt(0)
	v_ashrrev_i32_e32 v7, 31, v6
	flat_load_dwordx2 v[4:5], v[28:29]
	s_waitcnt vmcnt(0) lgkmcnt(0)
	v_add_co_u32_e32 v4, vcc, v4, v6
	v_addc_co_u32_e32 v5, vcc, v5, v7, vcc
	flat_store_dwordx4 v[4:5], v[0:3]
	flat_load_dword v0, v[32:33] offset:776
	s_waitcnt vmcnt(0) lgkmcnt(0)
	v_add_u32_e32 v67, 1, v0
	flat_load_dwordx2 v[0:1], v[32:33] offset:760
	flat_load_dwordx2 v[2:3], v[32:33] offset:744
	s_waitcnt vmcnt(0) lgkmcnt(0)
	v_sub_u32_e32 v1, v67, v1
	v_add_u32_e32 v6, v2, v1
	v_sub_u32_e32 v7, v3, v0
	flat_load_dwordx3 v[2:4], v[32:33] offset:728
	v_ashrrev_i32_e32 v0, 31, v6
	v_lshrrev_b32_e32 v0, 29, v0
	v_add_u32_e32 v0, v6, v0
	v_and_b32_e32 v0, -8, v0
	v_sub_u32_e32 v0, v6, v0
	v_xor_b32_e32 v1, v7, v0
	flat_store_dword v[32:33], v67 offset:776
	flat_store_dwordx2 v[32:33], v[66:67] offset:760
	flat_store_dwordx2 v[32:33], v[6:7] offset:744
	s_waitcnt vmcnt(0) lgkmcnt(0)
	v_sub_u32_e32 v0, v1, v3
	v_sub_u32_e32 v3, v6, v4
	v_lshlrev_b32_e32 v0, 4, v0
	v_lshlrev_b32_e32 v3, 7, v3
	v_add3_u32 v0, v3, v0, v2
	v_mov_b32_e32 v2, v6
	flat_store_dwordx3 v[32:33], v[0:2] offset:728
	flat_load_dwordx2 v[2:3], v[28:29]
	v_ashrrev_i32_e32 v1, 31, v0
	s_waitcnt vmcnt(0) lgkmcnt(0)
	v_add_co_u32_e32 v4, vcc, v2, v0
	v_addc_co_u32_e32 v5, vcc, v3, v1, vcc
	flat_load_dwordx4 v[0:3], v[32:33] offset:576
	s_waitcnt vmcnt(0) lgkmcnt(0)
	flat_store_dwordx4 v[4:5], v[0:3]
	flat_load_dword v0, v[32:33] offset:776
	s_nop 0
	flat_load_dwordx2 v[2:3], v[32:33] offset:744
	s_waitcnt vmcnt(0) lgkmcnt(0)
	v_add_u32_e32 v67, 1, v0
	flat_load_dwordx2 v[0:1], v[32:33] offset:760
	s_waitcnt vmcnt(0) lgkmcnt(0)
	v_sub_u32_e32 v1, v67, v1
	v_add_u32_e32 v6, v2, v1
	v_sub_u32_e32 v7, v3, v0
	flat_load_dwordx3 v[2:4], v[32:33] offset:728
	v_ashrrev_i32_e32 v0, 31, v6
	v_lshrrev_b32_e32 v0, 29, v0
	v_add_u32_e32 v0, v6, v0
	v_and_b32_e32 v0, -8, v0
	v_sub_u32_e32 v0, v6, v0
	v_xor_b32_e32 v1, v7, v0
	flat_store_dword v[32:33], v67 offset:776
	flat_store_dwordx2 v[32:33], v[66:67] offset:760
	flat_store_dwordx2 v[32:33], v[6:7] offset:744
	s_waitcnt vmcnt(0) lgkmcnt(0)
	v_sub_u32_e32 v0, v1, v3
	v_sub_u32_e32 v3, v6, v4
	v_lshlrev_b32_e32 v0, 4, v0
	v_lshlrev_b32_e32 v3, 7, v3
	v_add3_u32 v0, v3, v0, v2
	v_mov_b32_e32 v2, v6
	flat_store_dwordx3 v[32:33], v[0:2] offset:728
	flat_load_dwordx2 v[2:3], v[28:29]
	v_ashrrev_i32_e32 v1, 31, v0
	s_waitcnt vmcnt(0) lgkmcnt(0)
	v_add_co_u32_e32 v4, vcc, v2, v0
	v_addc_co_u32_e32 v5, vcc, v3, v1, vcc
	flat_load_dwordx4 v[0:3], v[32:33] offset:592
	s_waitcnt vmcnt(0) lgkmcnt(0)
	flat_store_dwordx4 v[4:5], v[0:3]
	flat_load_dword v0, v[32:33] offset:776
	s_nop 0
	flat_load_dwordx2 v[2:3], v[32:33] offset:744
	s_waitcnt vmcnt(0) lgkmcnt(0)
	v_add_u32_e32 v67, 1, v0
	;; [unrolled: 36-line block ×6, first 2 shown]
	flat_load_dwordx2 v[0:1], v[32:33] offset:760
	s_waitcnt vmcnt(0) lgkmcnt(0)
	v_sub_u32_e32 v1, v67, v1
	v_add_u32_e32 v6, v2, v1
	v_sub_u32_e32 v7, v3, v0
	flat_load_dwordx3 v[2:4], v[32:33] offset:728
	v_ashrrev_i32_e32 v0, 31, v6
	v_lshrrev_b32_e32 v0, 29, v0
	v_add_u32_e32 v0, v6, v0
	v_and_b32_e32 v0, -8, v0
	v_sub_u32_e32 v0, v6, v0
	v_xor_b32_e32 v1, v7, v0
	flat_store_dword v[32:33], v67 offset:776
	flat_store_dwordx2 v[32:33], v[66:67] offset:760
	flat_store_dwordx2 v[32:33], v[6:7] offset:744
	s_waitcnt vmcnt(0) lgkmcnt(0)
	v_sub_u32_e32 v0, v1, v3
	v_sub_u32_e32 v3, v6, v4
	v_lshlrev_b32_e32 v0, 4, v0
	v_lshlrev_b32_e32 v3, 7, v3
	v_add3_u32 v0, v3, v0, v2
	v_mov_b32_e32 v2, v6
	flat_store_dwordx3 v[32:33], v[0:2] offset:728
	flat_load_dwordx2 v[2:3], v[28:29]
	v_ashrrev_i32_e32 v1, 31, v0
	s_waitcnt vmcnt(0) lgkmcnt(0)
	v_add_co_u32_e32 v4, vcc, v2, v0
	v_addc_co_u32_e32 v5, vcc, v3, v1, vcc
	flat_load_dwordx4 v[0:3], v[32:33] offset:672
	s_waitcnt vmcnt(0) lgkmcnt(0)
	flat_store_dwordx4 v[4:5], v[0:3]
	flat_load_dword v0, v[32:33] offset:776
	s_nop 0
	flat_load_dwordx2 v[2:3], v[32:33] offset:744
	s_waitcnt vmcnt(0) lgkmcnt(0)
	v_add_u32_e32 v67, -7, v0
	flat_load_dwordx2 v[0:1], v[32:33] offset:760
	s_waitcnt vmcnt(0) lgkmcnt(0)
	v_sub_u32_e32 v1, v67, v1
	v_add_u32_e32 v4, v2, v1
	v_sub_u32_e32 v5, v3, v0
	flat_load_dwordx3 v[0:2], v[32:33] offset:728
	v_ashrrev_i32_e32 v3, 31, v4
	v_lshrrev_b32_e32 v3, 29, v3
	v_add_u32_e32 v3, v4, v3
	v_and_b32_e32 v3, -8, v3
	v_sub_u32_e32 v3, v4, v3
	v_xor_b32_e32 v3, v5, v3
	flat_store_dword v[32:33], v67 offset:776
	flat_store_dwordx2 v[32:33], v[66:67] offset:760
	flat_store_dwordx2 v[32:33], v[4:5] offset:744
	buffer_store_dword v70, off, s[0:3], s33 offset:12
	buffer_store_dword v71, off, s[0:3], s33 offset:8
	;; [unrolled: 1-line block ×10, first 2 shown]
	s_waitcnt vmcnt(0) lgkmcnt(0)
	v_sub_u32_e32 v2, v4, v2
	v_sub_u32_e32 v1, v3, v1
	v_lshlrev_b32_e32 v1, 4, v1
	v_lshlrev_b32_e32 v2, 7, v2
	v_add3_u32 v2, v2, v1, v0
	v_mov_b32_e32 v0, s35
	v_mov_b32_e32 v1, s36
	flat_store_dwordx3 v[32:33], v[2:4] offset:728
	s_swappc_b64 s[30:31], s[4:5]
	flat_load_dwordx2 v[12:13], v[30:31] offset:1148
	flat_load_dwordx2 v[14:15], v[30:31] offset:1164
	flat_load_dwordx4 v[0:3], v[30:31] offset:1176
	flat_load_dwordx3 v[8:10], v[30:31] offset:1132
	flat_load_dwordx2 v[16:17], v[28:29] offset:16
	s_waitcnt vmcnt(0) lgkmcnt(0)
	v_sub_u32_e32 v4, v12, v15
	v_add3_u32 v1, v4, v1, 64
	v_ashrrev_i32_e32 v4, 31, v1
	v_lshrrev_b32_e32 v4, 29, v4
	v_add_u32_e32 v4, v1, v4
	v_and_b32_e32 v4, -8, v4
	v_sub_u32_e32 v5, v13, v14
	v_sub_u32_e32 v6, v1, v10
	v_sub_u32_e32 v1, v1, v4
	v_xor_b32_e32 v4, v1, v5
	v_sub_u32_e32 v4, v4, v9
	v_lshlrev_b32_e32 v10, 7, v6
	v_lshlrev_b32_e32 v4, 4, v4
	v_add3_u32 v4, v10, v8, v4
	v_ashrrev_i32_e32 v5, 31, v4
	v_add_co_u32_e32 v4, vcc, v16, v4
	v_addc_co_u32_e32 v5, vcc, v17, v5, vcc
	flat_load_dwordx4 v[4:7], v[4:5]
	v_add_u32_e32 v3, 16, v3
	v_sub_u32_e32 v2, v8, v2
	v_ashrrev_i32_e32 v8, 31, v3
	v_lshrrev_b32_e32 v8, 28, v8
	v_add_u32_e32 v0, v14, v0
	v_add_u32_e32 v8, v3, v8
	v_sub_u32_e32 v0, v13, v0
	v_lshrrev_b32_e32 v11, 4, v8
	v_add_u32_e32 v0, v0, v11
	v_xor_b32_e32 v0, v0, v1
	v_and_b32_e32 v8, -16, v8
	v_sub_u32_e32 v0, v0, v9
	v_add_u32_e32 v2, v2, v10
	v_sub_u32_e32 v3, v3, v8
	v_lshlrev_b32_e32 v0, 4, v0
	v_add3_u32 v0, v2, v3, v0
	v_ashrrev_i32_e32 v1, 31, v0
	v_add_co_u32_e32 v0, vcc, v16, v0
	v_addc_co_u32_e32 v1, vcc, v17, v1, vcc
	s_waitcnt vmcnt(0) lgkmcnt(0)
	buffer_store_dword v4, off, s[0:3], s33 offset:52
	buffer_store_dword v5, off, s[0:3], s33 offset:56
	;; [unrolled: 1-line block ×4, first 2 shown]
	flat_load_dwordx4 v[0:3], v[0:1]
	s_waitcnt vmcnt(0) lgkmcnt(0)
	buffer_store_dword v0, off, s[0:3], s33 offset:68
	buffer_store_dword v1, off, s[0:3], s33 offset:72
	buffer_store_dword v2, off, s[0:3], s33 offset:76
	buffer_store_dword v3, off, s[0:3], s33 offset:80
	v_mov_b32_e32 v0, v64
	v_mov_b32_e32 v1, s15
	;; [unrolled: 1-line block ×4, first 2 shown]
	s_swappc_b64 s[30:31], s[20:21]
	; sched_group_barrier mask(0x00000008) size(3) SyncID(0)
	; sched_group_barrier mask(0x00000200) size(1) SyncID(0)
	;; [unrolled: 1-line block ×20, first 2 shown]
	; sched_barrier mask(0x00000000)
	flat_store_byte v[32:33], v69 offset:288
	flat_load_dwordx2 v[12:13], v[32:33] offset:704
	flat_load_dwordx4 v[0:3], v[52:53]
	s_waitcnt vmcnt(0) lgkmcnt(0)
	v_mov_b32_e32 v3, s37
	s_mov_b64 s[6:7], exec
.LBB60_123:                             ;   Parent Loop BB60_64 Depth=1
                                        ; =>  This Inner Loop Header: Depth=2
	v_readfirstlane_b32 s8, v0
	v_readfirstlane_b32 s9, v1
	;; [unrolled: 1-line block ×4, first 2 shown]
	v_cmp_eq_u64_e32 vcc, s[8:9], v[0:1]
	v_cmp_eq_u64_e64 s[4:5], s[10:11], v[2:3]
	s_and_b64 s[4:5], vcc, s[4:5]
	s_and_saveexec_b64 s[4:5], s[4:5]
	s_nop 0
	buffer_load_dwordx4 v[4:7], v12, s[8:11], 0 offen
                                        ; implicit-def: $vgpr0_vgpr1_vgpr2_vgpr3
	s_xor_b64 exec, exec, s[4:5]
	s_cbranch_execnz .LBB60_123
; %bb.124:                              ;   in Loop: Header=BB60_64 Depth=1
	s_mov_b64 exec, s[6:7]
	flat_load_dwordx3 v[8:10], v[32:33] offset:716
	v_add_u32_e32 v0, 1, v13
	flat_store_dword v[32:33], v0 offset:708
	s_waitcnt vmcnt(0)
	flat_store_dwordx4 v[32:33], v[4:7]
	s_mov_b64 s[6:7], exec
	s_waitcnt lgkmcnt(0)
	v_add_u32_e32 v0, 1, v10
	flat_store_dword v[32:33], v0 offset:724
	flat_load_dword v0, v[54:55] offset:8
	s_waitcnt vmcnt(0) lgkmcnt(0)
	v_add_u32_e32 v11, v0, v12
	flat_store_dword v[32:33], v11 offset:704
	flat_store_byte v[32:33], v69 offset:304
	flat_load_dwordx4 v[0:3], v[52:53]
	s_waitcnt vmcnt(0) lgkmcnt(0)
	v_mov_b32_e32 v3, s37
.LBB60_125:                             ;   Parent Loop BB60_64 Depth=1
                                        ; =>  This Inner Loop Header: Depth=2
	v_readfirstlane_b32 s8, v0
	v_readfirstlane_b32 s9, v1
	v_readfirstlane_b32 s10, v2
	v_readfirstlane_b32 s11, v3
	v_cmp_eq_u64_e32 vcc, s[8:9], v[0:1]
	v_cmp_eq_u64_e64 s[4:5], s[10:11], v[2:3]
	s_and_b64 s[4:5], vcc, s[4:5]
	s_and_saveexec_b64 s[4:5], s[4:5]
	s_nop 0
	buffer_load_dwordx4 v[4:7], v11, s[8:11], 0 offen
                                        ; implicit-def: $vgpr0_vgpr1_vgpr2_vgpr3
	s_xor_b64 exec, exec, s[4:5]
	s_cbranch_execnz .LBB60_125
; %bb.126:                              ;   in Loop: Header=BB60_64 Depth=1
	s_mov_b64 exec, s[6:7]
	v_add_u32_e32 v0, 2, v10
	flat_store_dword v[32:33], v0 offset:724
	v_add_u32_e32 v0, 2, v13
	s_waitcnt vmcnt(0)
	flat_store_dwordx4 v[32:33], v[4:7] offset:16
	flat_store_dword v[32:33], v0 offset:708
	flat_load_dword v0, v[54:55] offset:8
	s_mov_b64 s[6:7], exec
	s_waitcnt vmcnt(0) lgkmcnt(0)
	v_add_u32_e32 v11, v0, v11
	flat_store_dword v[32:33], v11 offset:704
	flat_store_byte v[32:33], v69 offset:320
	flat_load_dwordx4 v[0:3], v[52:53]
	s_waitcnt vmcnt(0) lgkmcnt(0)
	v_mov_b32_e32 v3, s37
.LBB60_127:                             ;   Parent Loop BB60_64 Depth=1
                                        ; =>  This Inner Loop Header: Depth=2
	v_readfirstlane_b32 s8, v0
	v_readfirstlane_b32 s9, v1
	v_readfirstlane_b32 s10, v2
	v_readfirstlane_b32 s11, v3
	v_cmp_eq_u64_e32 vcc, s[8:9], v[0:1]
	v_cmp_eq_u64_e64 s[4:5], s[10:11], v[2:3]
	s_and_b64 s[4:5], vcc, s[4:5]
	s_and_saveexec_b64 s[4:5], s[4:5]
	s_nop 0
	buffer_load_dwordx4 v[4:7], v11, s[8:11], 0 offen
                                        ; implicit-def: $vgpr0_vgpr1_vgpr2_vgpr3
	s_xor_b64 exec, exec, s[4:5]
	s_cbranch_execnz .LBB60_127
; %bb.128:                              ;   in Loop: Header=BB60_64 Depth=1
	s_mov_b64 exec, s[6:7]
	v_add_u32_e32 v0, 3, v10
	flat_store_dword v[32:33], v0 offset:724
	v_add_u32_e32 v0, 3, v13
	s_waitcnt vmcnt(0)
	flat_store_dwordx4 v[32:33], v[4:7] offset:32
	flat_store_dword v[32:33], v0 offset:708
	flat_load_dword v0, v[54:55] offset:8
	s_mov_b64 s[6:7], exec
	s_waitcnt vmcnt(0) lgkmcnt(0)
	v_add_u32_e32 v11, v0, v11
	flat_store_dword v[32:33], v11 offset:704
	flat_store_byte v[32:33], v69 offset:336
	flat_load_dwordx4 v[0:3], v[52:53]
	s_waitcnt vmcnt(0) lgkmcnt(0)
	v_mov_b32_e32 v3, s37
.LBB60_129:                             ;   Parent Loop BB60_64 Depth=1
                                        ; =>  This Inner Loop Header: Depth=2
	v_readfirstlane_b32 s8, v0
	v_readfirstlane_b32 s9, v1
	v_readfirstlane_b32 s10, v2
	v_readfirstlane_b32 s11, v3
	v_cmp_eq_u64_e32 vcc, s[8:9], v[0:1]
	v_cmp_eq_u64_e64 s[4:5], s[10:11], v[2:3]
	s_and_b64 s[4:5], vcc, s[4:5]
	s_and_saveexec_b64 s[4:5], s[4:5]
	s_nop 0
	buffer_load_dwordx4 v[4:7], v11, s[8:11], 0 offen
                                        ; implicit-def: $vgpr0_vgpr1_vgpr2_vgpr3
	s_xor_b64 exec, exec, s[4:5]
	s_cbranch_execnz .LBB60_129
; %bb.130:                              ;   in Loop: Header=BB60_64 Depth=1
	s_mov_b64 exec, s[6:7]
	v_add_u32_e32 v0, 4, v10
	flat_store_dword v[32:33], v0 offset:724
	v_add_u32_e32 v0, 4, v13
	s_waitcnt vmcnt(0)
	flat_store_dwordx4 v[32:33], v[4:7] offset:48
	flat_store_dword v[32:33], v0 offset:708
	flat_load_dword v0, v[54:55] offset:8
	s_mov_b64 s[6:7], exec
	s_waitcnt vmcnt(0) lgkmcnt(0)
	v_add_u32_e32 v11, v0, v11
	flat_store_dword v[32:33], v11 offset:704
	flat_store_byte v[32:33], v69 offset:352
	flat_load_dwordx4 v[0:3], v[52:53]
	s_waitcnt vmcnt(0) lgkmcnt(0)
	v_mov_b32_e32 v3, s37
.LBB60_131:                             ;   Parent Loop BB60_64 Depth=1
                                        ; =>  This Inner Loop Header: Depth=2
	v_readfirstlane_b32 s8, v0
	v_readfirstlane_b32 s9, v1
	v_readfirstlane_b32 s10, v2
	v_readfirstlane_b32 s11, v3
	v_cmp_eq_u64_e32 vcc, s[8:9], v[0:1]
	v_cmp_eq_u64_e64 s[4:5], s[10:11], v[2:3]
	s_and_b64 s[4:5], vcc, s[4:5]
	s_and_saveexec_b64 s[4:5], s[4:5]
	s_nop 0
	buffer_load_dwordx4 v[4:7], v11, s[8:11], 0 offen
                                        ; implicit-def: $vgpr0_vgpr1_vgpr2_vgpr3
	s_xor_b64 exec, exec, s[4:5]
	s_cbranch_execnz .LBB60_131
; %bb.132:                              ;   in Loop: Header=BB60_64 Depth=1
	s_mov_b64 exec, s[6:7]
	v_add_u32_e32 v0, 5, v10
	flat_store_dword v[32:33], v0 offset:724
	v_add_u32_e32 v0, 5, v13
	s_waitcnt vmcnt(0)
	flat_store_dwordx4 v[32:33], v[4:7] offset:64
	flat_store_dword v[32:33], v0 offset:708
	flat_load_dword v0, v[54:55] offset:8
	s_mov_b64 s[6:7], exec
	s_waitcnt vmcnt(0) lgkmcnt(0)
	v_add_u32_e32 v11, v0, v11
	flat_store_dword v[32:33], v11 offset:704
	flat_store_byte v[32:33], v69 offset:368
	flat_load_dwordx4 v[0:3], v[52:53]
	s_waitcnt vmcnt(0) lgkmcnt(0)
	v_mov_b32_e32 v3, s37
.LBB60_133:                             ;   Parent Loop BB60_64 Depth=1
                                        ; =>  This Inner Loop Header: Depth=2
	v_readfirstlane_b32 s8, v0
	v_readfirstlane_b32 s9, v1
	v_readfirstlane_b32 s10, v2
	v_readfirstlane_b32 s11, v3
	v_cmp_eq_u64_e32 vcc, s[8:9], v[0:1]
	v_cmp_eq_u64_e64 s[4:5], s[10:11], v[2:3]
	s_and_b64 s[4:5], vcc, s[4:5]
	s_and_saveexec_b64 s[4:5], s[4:5]
	s_nop 0
	buffer_load_dwordx4 v[4:7], v11, s[8:11], 0 offen
                                        ; implicit-def: $vgpr0_vgpr1_vgpr2_vgpr3
	s_xor_b64 exec, exec, s[4:5]
	s_cbranch_execnz .LBB60_133
; %bb.134:                              ;   in Loop: Header=BB60_64 Depth=1
	s_mov_b64 exec, s[6:7]
	v_add_u32_e32 v0, 6, v10
	flat_store_dword v[32:33], v0 offset:724
	v_add_u32_e32 v0, 6, v13
	s_waitcnt vmcnt(0)
	flat_store_dwordx4 v[32:33], v[4:7] offset:80
	flat_store_dword v[32:33], v0 offset:708
	flat_load_dword v0, v[54:55] offset:8
	s_mov_b64 s[6:7], exec
	s_waitcnt vmcnt(0) lgkmcnt(0)
	v_add_u32_e32 v11, v0, v11
	flat_store_dword v[32:33], v11 offset:704
	flat_store_byte v[32:33], v69 offset:384
	flat_load_dwordx4 v[0:3], v[52:53]
	s_waitcnt vmcnt(0) lgkmcnt(0)
	v_mov_b32_e32 v3, s37
.LBB60_135:                             ;   Parent Loop BB60_64 Depth=1
                                        ; =>  This Inner Loop Header: Depth=2
	v_readfirstlane_b32 s8, v0
	v_readfirstlane_b32 s9, v1
	v_readfirstlane_b32 s10, v2
	v_readfirstlane_b32 s11, v3
	v_cmp_eq_u64_e32 vcc, s[8:9], v[0:1]
	v_cmp_eq_u64_e64 s[4:5], s[10:11], v[2:3]
	s_and_b64 s[4:5], vcc, s[4:5]
	s_and_saveexec_b64 s[4:5], s[4:5]
	s_nop 0
	buffer_load_dwordx4 v[4:7], v11, s[8:11], 0 offen
                                        ; implicit-def: $vgpr0_vgpr1_vgpr2_vgpr3
	s_xor_b64 exec, exec, s[4:5]
	s_cbranch_execnz .LBB60_135
; %bb.136:                              ;   in Loop: Header=BB60_64 Depth=1
	s_mov_b64 exec, s[6:7]
	v_add_u32_e32 v0, 7, v10
	flat_store_dword v[32:33], v0 offset:724
	v_add_u32_e32 v0, 7, v13
	s_waitcnt vmcnt(0)
	flat_store_dwordx4 v[32:33], v[4:7] offset:96
	flat_store_dword v[32:33], v0 offset:708
	flat_load_dword v0, v[54:55] offset:8
	s_mov_b64 s[6:7], exec
	s_waitcnt vmcnt(0) lgkmcnt(0)
	v_add_u32_e32 v11, v0, v11
	flat_store_dword v[32:33], v11 offset:704
	flat_load_dwordx4 v[0:3], v[52:53]
	s_waitcnt vmcnt(0) lgkmcnt(0)
	v_mov_b32_e32 v3, s37
	flat_store_byte v[32:33], v69 offset:400
.LBB60_137:                             ;   Parent Loop BB60_64 Depth=1
                                        ; =>  This Inner Loop Header: Depth=2
	v_readfirstlane_b32 s8, v0
	v_readfirstlane_b32 s9, v1
	v_readfirstlane_b32 s10, v2
	v_readfirstlane_b32 s11, v3
	v_cmp_eq_u64_e32 vcc, s[8:9], v[0:1]
	v_cmp_eq_u64_e64 s[4:5], s[10:11], v[2:3]
	s_and_b64 s[4:5], vcc, s[4:5]
	s_and_saveexec_b64 s[4:5], s[4:5]
	s_nop 0
	buffer_load_dwordx4 v[4:7], v11, s[8:11], 0 offen
                                        ; implicit-def: $vgpr0_vgpr1_vgpr2_vgpr3
	s_xor_b64 exec, exec, s[4:5]
	s_cbranch_execnz .LBB60_137
; %bb.138:                              ;   in Loop: Header=BB60_64 Depth=1
	s_mov_b64 exec, s[6:7]
	s_waitcnt vmcnt(0)
	flat_store_dwordx4 v[32:33], v[4:7] offset:112
	flat_load_dwordx3 v[0:2], v[50:51]
	s_waitcnt vmcnt(0) lgkmcnt(0)
	v_add_u32_e32 v3, -7, v1
	v_add_u32_e32 v6, v1, v10
	v_add_u32_e32 v5, v9, v2
	v_add_u32_e32 v4, v8, v0
	v_cmp_ne_u32_e32 vcc, 0, v3
	flat_store_dwordx3 v[32:33], v[4:6] offset:716
	s_and_saveexec_b64 s[4:5], vcc
	s_cbranch_execz .LBB60_140
; %bb.139:                              ;   in Loop: Header=BB60_64 Depth=1
	v_add_u32_e32 v1, v1, v13
	flat_store_dword v[32:33], v1 offset:708
.LBB60_140:                             ;   in Loop: Header=BB60_64 Depth=1
	s_or_b64 exec, exec, s[4:5]
	v_or_b32_e32 v1, v2, v0
	v_cmp_ne_u32_e32 vcc, 0, v1
	v_mov_b32_e32 v4, 0
	s_and_saveexec_b64 s[4:5], vcc
	s_cbranch_execz .LBB60_142
; %bb.141:                              ;   in Loop: Header=BB60_64 Depth=1
	flat_load_dword v4, v[54:55] offset:24
	flat_load_dword v6, v[32:33] offset:712
	s_waitcnt vmcnt(0) lgkmcnt(0)
	v_mad_u64_u32 v[4:5], s[6:7], v4, v0, v[2:3]
	v_add_u32_e32 v0, v4, v6
	flat_store_dword v[32:33], v0 offset:712
.LBB60_142:                             ;   in Loop: Header=BB60_64 Depth=1
	s_or_b64 exec, exec, s[4:5]
	v_or_b32_e32 v0, v1, v3
	v_cmp_ne_u32_e32 vcc, 0, v0
	s_and_saveexec_b64 s[4:5], vcc
	s_cbranch_execz .LBB60_63
; %bb.143:                              ;   in Loop: Header=BB60_64 Depth=1
	flat_load_dword v0, v[54:55] offset:8
	s_waitcnt vmcnt(0) lgkmcnt(0)
	v_mul_lo_u32 v0, v0, v3
	v_add3_u32 v0, v4, v11, v0
	flat_store_dword v[32:33], v0 offset:704
	s_branch .LBB60_63
.LBB60_144:
	s_or_b64 exec, exec, s[18:19]
	flat_load_dwordx2 v[8:9], v[34:35]
	flat_load_dwordx4 v[0:3], v[38:39]
	s_mov_b32 s4, 0x20000
	s_mov_b64 s[16:17], src_private_base
	s_mov_b64 s[6:7], exec
	s_waitcnt vmcnt(0) lgkmcnt(0)
	v_lshrrev_b32_e32 v4, 31, v8
	v_lshrrev_b32_e32 v5, 31, v3
	v_add_co_u32_e32 v2, vcc, v2, v5
	v_add_u32_e32 v4, v8, v4
	v_addc_co_u32_e32 v5, vcc, 0, v3, vcc
	v_mov_b32_e32 v3, s4
	v_ashrrev_i32_e32 v10, 1, v4
	v_alignbit_b32 v2, v5, v2, 1
.LBB60_145:                             ; =>This Inner Loop Header: Depth=1
	v_readfirstlane_b32 s8, v0
	v_readfirstlane_b32 s9, v1
	v_readfirstlane_b32 s10, v2
	v_readfirstlane_b32 s11, v3
	v_cmp_eq_u64_e32 vcc, s[8:9], v[0:1]
	v_cmp_eq_u64_e64 s[4:5], s[10:11], v[2:3]
	s_and_b64 s[4:5], vcc, s[4:5]
	s_and_saveexec_b64 s[4:5], s[4:5]
	s_nop 0
	buffer_load_dwordx4 v[4:7], v10, s[8:11], 0 offen
                                        ; implicit-def: $vgpr10
	s_xor_b64 exec, exec, s[4:5]
	s_cbranch_execnz .LBB60_145
; %bb.146:
	s_mov_b64 exec, s[6:7]
	v_add_u32_e32 v10, 1, v9
	flat_store_dword v[34:35], v10 offset:4
	flat_load_dword v10, v[36:37] offset:16
	s_waitcnt vmcnt(0)
	buffer_store_dword v7, off, s[0:3], s33 offset:384
	buffer_store_dword v6, off, s[0:3], s33 offset:380
	buffer_store_dword v5, off, s[0:3], s33 offset:376
	buffer_store_dword v4, off, s[0:3], s33 offset:372
	s_mov_b64 s[6:7], exec
	s_waitcnt lgkmcnt(0)
	v_add_u32_e32 v8, v10, v8
	v_lshrrev_b32_e32 v4, 31, v8
	v_add_u32_e32 v4, v8, v4
	v_ashrrev_i32_e32 v10, 1, v4
	flat_store_dword v[34:35], v8
.LBB60_147:                             ; =>This Inner Loop Header: Depth=1
	v_readfirstlane_b32 s8, v0
	v_readfirstlane_b32 s9, v1
	v_readfirstlane_b32 s10, v2
	v_readfirstlane_b32 s11, v3
	v_cmp_eq_u64_e32 vcc, s[8:9], v[0:1]
	v_cmp_eq_u64_e64 s[4:5], s[10:11], v[2:3]
	s_and_b64 s[4:5], vcc, s[4:5]
	s_and_saveexec_b64 s[4:5], s[4:5]
	s_nop 0
	buffer_load_dwordx4 v[4:7], v10, s[8:11], 0 offen
                                        ; implicit-def: $vgpr10
	s_xor_b64 exec, exec, s[4:5]
	s_cbranch_execnz .LBB60_147
; %bb.148:
	s_mov_b64 exec, s[6:7]
	v_add_u32_e32 v10, 2, v9
	flat_store_dword v[34:35], v10 offset:4
	flat_load_dword v10, v[36:37] offset:16
	s_waitcnt vmcnt(0)
	buffer_store_dword v7, off, s[0:3], s33 offset:416
	buffer_store_dword v6, off, s[0:3], s33 offset:412
	buffer_store_dword v5, off, s[0:3], s33 offset:408
	buffer_store_dword v4, off, s[0:3], s33 offset:404
	s_mov_b64 s[6:7], exec
	s_waitcnt lgkmcnt(0)
	v_add_u32_e32 v8, v10, v8
	v_lshrrev_b32_e32 v4, 31, v8
	v_add_u32_e32 v4, v8, v4
	v_ashrrev_i32_e32 v10, 1, v4
	flat_store_dword v[34:35], v8
	;; [unrolled: 31-line block ×7, first 2 shown]
.LBB60_159:                             ; =>This Inner Loop Header: Depth=1
	v_readfirstlane_b32 s8, v0
	v_readfirstlane_b32 s9, v1
	;; [unrolled: 1-line block ×4, first 2 shown]
	v_cmp_eq_u64_e32 vcc, s[8:9], v[0:1]
	v_cmp_eq_u64_e64 s[4:5], s[10:11], v[2:3]
	s_and_b64 s[4:5], vcc, s[4:5]
	s_and_saveexec_b64 s[4:5], s[4:5]
	s_nop 0
	buffer_load_dwordx4 v[4:7], v10, s[8:11], 0 offen
                                        ; implicit-def: $vgpr0_vgpr1_vgpr2_vgpr3
                                        ; implicit-def: $vgpr10
	s_xor_b64 exec, exec, s[4:5]
	s_cbranch_execnz .LBB60_159
; %bb.160:
	s_mov_b64 exec, s[6:7]
	flat_store_dword v[34:35], v9 offset:4
	flat_load_dword v0, v[36:37] offset:16
	v_mov_b32_e32 v36, s17
	v_lshrrev_b32_e64 v37, 6, s33
	v_mov_b32_e32 v38, s15
	v_mov_b32_e32 v39, s27
	;; [unrolled: 1-line block ×4, first 2 shown]
	s_waitcnt vmcnt(0)
	buffer_store_dword v7, off, s[0:3], s33 offset:608
	buffer_store_dword v6, off, s[0:3], s33 offset:604
	;; [unrolled: 1-line block ×6, first 2 shown]
	s_getpc_b64 s[4:5]
	s_add_u32 s4, s4, _ZNK2ck6detail7applierIiJLi0ELi1ELi2ELi3ELi4ELi5ELi6ELi7EEEclIZNKS_11static_fordINS_8SequenceIJLi1ELi8EEEENS5_IJLi0ELi1EEEEEclIZZNKS_52BlockwiseGemmXdlops_pipeline_bpreshuffle_bdequant_v3ILNS_26BlockGemmPipelineSchedulerE0ELi256ENS_9f8_fnuz_tENS_7pk_i4_tESC_fNS_16TensorDescriptorINS_5TupleIJNS_5EmbedINSF_IJNS_17integral_constantIiLi8EEENSH_IiLi256EEENSH_IiLi16EEEEEENSF_IJSK_NSH_IiLi128EEENSH_IiLi1EEEEEELb0EEENS_3XorINSF_IJSJ_SI_EEELb1EEENS_11PassThroughISK_EENS_7UnMergeINSF_IJSI_SN_EEELb0EEENST_ISJ_EESU_NST_ISI_EENS_21Merge_v3_division_modINSF_IJSJ_SN_EEEEESU_EEENSF_IJNS5_IJLi0EEEENS5_IJLi2ELi1EEEENS5_IJLi3EEEENS5_IJLi5EEEENS5_IJLi4EEEENS5_IJLi6EEEENS5_IJLi7EEEENS5_IJLi9ELi8EEEENS5_IJLi10EEEEEEENSF_IJNS5_IJLi1ELi2ELi3EEEENS5_IJLi4ELi5EEEES19_NS5_IJLi7ELi8EEEENS5_IJLi9EEEES1C_NS5_IJLi11EEEENS5_IJLi12EEEENS5_IJLi13EEEEEEENS5_IJLi11ELi12ELi13EEEENSH_IlLl32768EEEEENSE_INSF_IJNSV_INSF_IJSI_SN_SN_NSH_IiLi32EEEEEELb0EEEEEENSF_IJS14_EEENSF_IJNS5_IJLi1ELi2ELi3ELi4EEEEEEES1U_NSH_IlLl256EEEEENSE_INSF_IJSP_SS_SU_SX_SY_SU_SZ_S12_SU_NS10_INSF_IJSI_SK_EEEEENSV_INSF_IJSI_NSH_IiLi2EEESK_EEELb0EEEEEENSF_IJS14_S15_S16_S17_S18_S19_S1A_S1B_S1C_NS5_IJLi11ELi13EEEES1J_EEENSF_IJS1E_S1F_S19_S1G_S1H_S1C_S1I_S1J_S1K_NS5_IJLi14EEEENS5_IJLi15ELi16ELi17EEEEEEENS5_IJLi15ELi16ELi17ELi14EEEES1N_EENSE_INSF_IJS1R_NS10_ISW_EES22_EEENSF_IJS14_NS5_IJLi1ELi3EEEENS5_IJLi2EEEEEEENSF_IJS1U_S17_NS5_IJLi6ELi7ELi8EEEEEEENS5_IJLi6ELi7ELi8ELi5EEEES1W_EELi16ELi32ELi256ELi256ELi128ELi16ELi16ELi8ELi8ELi32ELb0EE3RunILb1ELNS_10TailNumberE1ENSE_INSF_IJNSG_INSF_IJiiEEENSF_IJiSN_EEELb0EEENSV_IS2N_Lb0EEENST_IiEEEEENSF_IJS14_S2E_NS5_IJLi1EEEEEEENSF_IJNS5_IJLi1ELi2EEEENS5_IJLi3ELi4EEEES17_EEENS5_IJLi3ELi5ELi4EEEElEES1O_NS_35ThreadGroupTensorSliceTransfer_v4r1INS_15ThisThreadBlockILi256EEENS_16tensor_operation12element_wise11PassThroughES35_LNS_25InMemoryDataOperationEnumE0ENS5_IJLi8ELi256ELi16EEEENS5_IJLi8ELi32ELi1EEEENS5_IJLi1ELi0ELi2EEEESC_SC_RKS2Z_KS1O_S39_NS5_IJLi0ELi1ELi2EEEELi2ELi2ELi16ELi16ELi1ELi1ELb0ELb1ELi2EiEENS_13DynamicBufferILNS_16AddressSpaceEnumE1EKSC_lLb1ELNS_22AmdBufferCoherenceEnumE0EiEENSF_IJNS3F_ILS3G_2ESC_S1N_Lb1ELS3I_0EiEES3K_EEENSF_IJiiiEEENSE_INSF_IJNSG_INSF_IJiiiiEEENSF_IJiiiSN_EEELb0EEEEEES1T_S1V_S1U_lEENS_32ThreadwiseTensorSliceTransfer_v2ISD_SD_RKS3R_KS1X_NS5_IJLi8ELi1ELi1ELi32EEEENS5_IJLi1ELi2ELi0ELi3EEEELi3ELi32ELi0ELb1ELb0ELb0EEENS3F_ILS3G_1EKSD_lLb1ELS3I_0EiEENSF_IJNS_12StaticBufferILS3G_4ESD_Li256ELb1EEES42_EEES3N_NS_25StaticBufferTupleOfVectorILS3G_4EfLi64ELi4ELb1ELb0EEEEEvRKT1_RKT2_RT3_RKT4_RT5_RKT6_RKT7_RT8_RKT9_RT10_RKT11_RT12_iENKUlT_E0_clINSH_IiLi0EEEEEDaS51_EUlS51_E_EEvS51_EUlS51_E_EEvS51_@rel32@lo+4
	s_addc_u32 s5, s5, _ZNK2ck6detail7applierIiJLi0ELi1ELi2ELi3ELi4ELi5ELi6ELi7EEEclIZNKS_11static_fordINS_8SequenceIJLi1ELi8EEEENS5_IJLi0ELi1EEEEEclIZZNKS_52BlockwiseGemmXdlops_pipeline_bpreshuffle_bdequant_v3ILNS_26BlockGemmPipelineSchedulerE0ELi256ENS_9f8_fnuz_tENS_7pk_i4_tESC_fNS_16TensorDescriptorINS_5TupleIJNS_5EmbedINSF_IJNS_17integral_constantIiLi8EEENSH_IiLi256EEENSH_IiLi16EEEEEENSF_IJSK_NSH_IiLi128EEENSH_IiLi1EEEEEELb0EEENS_3XorINSF_IJSJ_SI_EEELb1EEENS_11PassThroughISK_EENS_7UnMergeINSF_IJSI_SN_EEELb0EEENST_ISJ_EESU_NST_ISI_EENS_21Merge_v3_division_modINSF_IJSJ_SN_EEEEESU_EEENSF_IJNS5_IJLi0EEEENS5_IJLi2ELi1EEEENS5_IJLi3EEEENS5_IJLi5EEEENS5_IJLi4EEEENS5_IJLi6EEEENS5_IJLi7EEEENS5_IJLi9ELi8EEEENS5_IJLi10EEEEEEENSF_IJNS5_IJLi1ELi2ELi3EEEENS5_IJLi4ELi5EEEES19_NS5_IJLi7ELi8EEEENS5_IJLi9EEEES1C_NS5_IJLi11EEEENS5_IJLi12EEEENS5_IJLi13EEEEEEENS5_IJLi11ELi12ELi13EEEENSH_IlLl32768EEEEENSE_INSF_IJNSV_INSF_IJSI_SN_SN_NSH_IiLi32EEEEEELb0EEEEEENSF_IJS14_EEENSF_IJNS5_IJLi1ELi2ELi3ELi4EEEEEEES1U_NSH_IlLl256EEEEENSE_INSF_IJSP_SS_SU_SX_SY_SU_SZ_S12_SU_NS10_INSF_IJSI_SK_EEEEENSV_INSF_IJSI_NSH_IiLi2EEESK_EEELb0EEEEEENSF_IJS14_S15_S16_S17_S18_S19_S1A_S1B_S1C_NS5_IJLi11ELi13EEEES1J_EEENSF_IJS1E_S1F_S19_S1G_S1H_S1C_S1I_S1J_S1K_NS5_IJLi14EEEENS5_IJLi15ELi16ELi17EEEEEEENS5_IJLi15ELi16ELi17ELi14EEEES1N_EENSE_INSF_IJS1R_NS10_ISW_EES22_EEENSF_IJS14_NS5_IJLi1ELi3EEEENS5_IJLi2EEEEEEENSF_IJS1U_S17_NS5_IJLi6ELi7ELi8EEEEEEENS5_IJLi6ELi7ELi8ELi5EEEES1W_EELi16ELi32ELi256ELi256ELi128ELi16ELi16ELi8ELi8ELi32ELb0EE3RunILb1ELNS_10TailNumberE1ENSE_INSF_IJNSG_INSF_IJiiEEENSF_IJiSN_EEELb0EEENSV_IS2N_Lb0EEENST_IiEEEEENSF_IJS14_S2E_NS5_IJLi1EEEEEEENSF_IJNS5_IJLi1ELi2EEEENS5_IJLi3ELi4EEEES17_EEENS5_IJLi3ELi5ELi4EEEElEES1O_NS_35ThreadGroupTensorSliceTransfer_v4r1INS_15ThisThreadBlockILi256EEENS_16tensor_operation12element_wise11PassThroughES35_LNS_25InMemoryDataOperationEnumE0ENS5_IJLi8ELi256ELi16EEEENS5_IJLi8ELi32ELi1EEEENS5_IJLi1ELi0ELi2EEEESC_SC_RKS2Z_KS1O_S39_NS5_IJLi0ELi1ELi2EEEELi2ELi2ELi16ELi16ELi1ELi1ELb0ELb1ELi2EiEENS_13DynamicBufferILNS_16AddressSpaceEnumE1EKSC_lLb1ELNS_22AmdBufferCoherenceEnumE0EiEENSF_IJNS3F_ILS3G_2ESC_S1N_Lb1ELS3I_0EiEES3K_EEENSF_IJiiiEEENSE_INSF_IJNSG_INSF_IJiiiiEEENSF_IJiiiSN_EEELb0EEEEEES1T_S1V_S1U_lEENS_32ThreadwiseTensorSliceTransfer_v2ISD_SD_RKS3R_KS1X_NS5_IJLi8ELi1ELi1ELi32EEEENS5_IJLi1ELi2ELi0ELi3EEEELi3ELi32ELi0ELb1ELb0ELb0EEENS3F_ILS3G_1EKSD_lLb1ELS3I_0EiEENSF_IJNS_12StaticBufferILS3G_4ESD_Li256ELb1EEES42_EEES3N_NS_25StaticBufferTupleOfVectorILS3G_4EfLi64ELi4ELb1ELb0EEEEEvRKT1_RKT2_RT3_RKT4_RT5_RKT6_RKT7_RT8_RKT9_RT10_RKT11_RT12_iENKUlT_E0_clINSH_IiLi0EEEEEDaS51_EUlS51_E_EEvS51_EUlS51_E_EEvS51_@rel32@hi+12
	buffer_store_dword v36, off, s[0:3], s33 offset:12
	buffer_store_dword v37, off, s[0:3], s33 offset:8
	;; [unrolled: 1-line block ×6, first 2 shown]
	s_waitcnt lgkmcnt(0)
	v_mad_u64_u32 v[0:1], s[6:7], v0, -7, v[8:9]
	flat_store_dword v[34:35], v0
	v_lshrrev_b32_e64 v0, 6, s33
	v_add_u32_e32 v0, 8, v0
	v_mov_b32_e32 v1, s17
	s_swappc_b64 s[30:31], s[4:5]
	flat_load_dwordx2 v[12:13], v[30:31] offset:1148
	flat_load_dwordx2 v[14:15], v[30:31] offset:1164
	flat_load_dwordx4 v[0:3], v[30:31] offset:1176
	flat_load_dwordx3 v[8:10], v[30:31] offset:1132
	flat_load_dwordx2 v[16:17], v[28:29]
	s_getpc_b64 s[18:19]
	s_add_u32 s18, s18, _ZNK2ck44ThreadwiseTensorSliceTransfer_StaticToStaticINS_7pk_i4_tENS_9f8_fnuz_tEKNS_16TensorDescriptorINS_5TupleIJNS_7UnMergeINS4_IJNS_17integral_constantIiLi8EEENS6_IiLi1EEES8_NS6_IiLi32EEEEEELb0EEEEEENS4_IJNS_8SequenceIJLi0EEEEEEENS4_IJNSD_IJLi1ELi2ELi3ELi4EEEEEEESG_NS6_IlLl256EEEEESK_NS_16tensor_operation12element_wise11PassThroughENSD_IJLi8ELi1ELi1ELi32EEEENSD_IJLi1ELi2ELi0ELi3EEEELi3ELi32ELb0EE3RunINS4_IJNS6_IiLi0EEESS_SS_SS_EEEST_NS_12StaticBufferILNS_16AddressSpaceEnumE4ES1_Li256ELb1EEENSU_ILSV_4ES2_Li256ELb1EEEEEvRSK_RKT_RKT1_SY_RKT0_RT2_@rel32@lo+4
	s_addc_u32 s19, s19, _ZNK2ck44ThreadwiseTensorSliceTransfer_StaticToStaticINS_7pk_i4_tENS_9f8_fnuz_tEKNS_16TensorDescriptorINS_5TupleIJNS_7UnMergeINS4_IJNS_17integral_constantIiLi8EEENS6_IiLi1EEES8_NS6_IiLi32EEEEEELb0EEEEEENS4_IJNS_8SequenceIJLi0EEEEEEENS4_IJNSD_IJLi1ELi2ELi3ELi4EEEEEEESG_NS6_IlLl256EEEEESK_NS_16tensor_operation12element_wise11PassThroughENSD_IJLi8ELi1ELi1ELi32EEEENSD_IJLi1ELi2ELi0ELi3EEEELi3ELi32ELb0EE3RunINS4_IJNS6_IiLi0EEESS_SS_SS_EEEST_NS_12StaticBufferILNS_16AddressSpaceEnumE4ES1_Li256ELb1EEENSU_ILSV_4ES2_Li256ELb1EEEEEvRSK_RKT_RKT1_SY_RKT0_RT2_@rel32@hi+12
	s_waitcnt vmcnt(0) lgkmcnt(0)
	v_sub_u32_e32 v4, v12, v15
	v_add3_u32 v1, v4, v1, 32
	v_ashrrev_i32_e32 v4, 31, v1
	v_lshrrev_b32_e32 v4, 29, v4
	v_add_u32_e32 v4, v1, v4
	v_and_b32_e32 v4, -8, v4
	v_sub_u32_e32 v5, v13, v14
	v_sub_u32_e32 v6, v1, v10
	;; [unrolled: 1-line block ×3, first 2 shown]
	v_xor_b32_e32 v4, v1, v5
	v_sub_u32_e32 v4, v4, v9
	v_lshlrev_b32_e32 v10, 7, v6
	v_lshlrev_b32_e32 v4, 4, v4
	v_add3_u32 v4, v10, v8, v4
	v_ashrrev_i32_e32 v5, 31, v4
	v_add_co_u32_e32 v4, vcc, v16, v4
	v_addc_co_u32_e32 v5, vcc, v17, v5, vcc
	flat_load_dwordx4 v[4:7], v[4:5]
	v_add_u32_e32 v3, 16, v3
	v_sub_u32_e32 v2, v8, v2
	v_ashrrev_i32_e32 v8, 31, v3
	v_lshrrev_b32_e32 v8, 28, v8
	v_add_u32_e32 v0, v14, v0
	v_add_u32_e32 v8, v3, v8
	v_sub_u32_e32 v0, v13, v0
	v_lshrrev_b32_e32 v11, 4, v8
	v_add_u32_e32 v0, v0, v11
	v_xor_b32_e32 v0, v0, v1
	v_and_b32_e32 v8, -16, v8
	v_sub_u32_e32 v0, v0, v9
	v_add_u32_e32 v2, v2, v10
	v_sub_u32_e32 v3, v3, v8
	v_lshlrev_b32_e32 v0, 4, v0
	v_add3_u32 v0, v2, v3, v0
	v_ashrrev_i32_e32 v1, 31, v0
	v_add_co_u32_e32 v0, vcc, v16, v0
	v_addc_co_u32_e32 v1, vcc, v17, v1, vcc
	s_waitcnt vmcnt(0) lgkmcnt(0)
	buffer_store_dword v4, off, s[0:3], s33 offset:84
	buffer_store_dword v5, off, s[0:3], s33 offset:88
	buffer_store_dword v6, off, s[0:3], s33 offset:92
	buffer_store_dword v7, off, s[0:3], s33 offset:96
	flat_load_dwordx4 v[0:3], v[0:1]
	s_waitcnt vmcnt(0) lgkmcnt(0)
	buffer_store_dword v0, off, s[0:3], s33 offset:100
	buffer_store_dword v1, off, s[0:3], s33 offset:104
	;; [unrolled: 1-line block ×4, first 2 shown]
	v_mov_b32_e32 v0, s24
	v_mov_b32_e32 v1, s26
	;; [unrolled: 1-line block ×4, first 2 shown]
	s_swappc_b64 s[30:31], s[18:19]
	; sched_group_barrier mask(0x00000008) size(4) SyncID(0)
	; sched_group_barrier mask(0x00000020) size(1) SyncID(0)
	;; [unrolled: 1-line block ×24, first 2 shown]
	; sched_barrier mask(0x00000000)
	v_lshrrev_b32_e64 v0, 6, s33
	v_add_u32_e32 v0, 8, v0
	v_mov_b32_e32 v1, s17
	buffer_store_dword v36, off, s[0:3], s33 offset:12
	buffer_store_dword v37, off, s[0:3], s33 offset:8
	;; [unrolled: 1-line block ×8, first 2 shown]
	s_getpc_b64 s[4:5]
	s_add_u32 s4, s4, _ZNK2ck6detail7applierIiJLi0ELi1ELi2ELi3ELi4ELi5ELi6ELi7EEEclIZNKS_11static_fordINS_8SequenceIJLi1ELi8EEEENS5_IJLi0ELi1EEEEEclIZZNKS_52BlockwiseGemmXdlops_pipeline_bpreshuffle_bdequant_v3ILNS_26BlockGemmPipelineSchedulerE0ELi256ENS_9f8_fnuz_tENS_7pk_i4_tESC_fNS_16TensorDescriptorINS_5TupleIJNS_5EmbedINSF_IJNS_17integral_constantIiLi8EEENSH_IiLi256EEENSH_IiLi16EEEEEENSF_IJSK_NSH_IiLi128EEENSH_IiLi1EEEEEELb0EEENS_3XorINSF_IJSJ_SI_EEELb1EEENS_11PassThroughISK_EENS_7UnMergeINSF_IJSI_SN_EEELb0EEENST_ISJ_EESU_NST_ISI_EENS_21Merge_v3_division_modINSF_IJSJ_SN_EEEEESU_EEENSF_IJNS5_IJLi0EEEENS5_IJLi2ELi1EEEENS5_IJLi3EEEENS5_IJLi5EEEENS5_IJLi4EEEENS5_IJLi6EEEENS5_IJLi7EEEENS5_IJLi9ELi8EEEENS5_IJLi10EEEEEEENSF_IJNS5_IJLi1ELi2ELi3EEEENS5_IJLi4ELi5EEEES19_NS5_IJLi7ELi8EEEENS5_IJLi9EEEES1C_NS5_IJLi11EEEENS5_IJLi12EEEENS5_IJLi13EEEEEEENS5_IJLi11ELi12ELi13EEEENSH_IlLl32768EEEEENSE_INSF_IJNSV_INSF_IJSI_SN_SN_NSH_IiLi32EEEEEELb0EEEEEENSF_IJS14_EEENSF_IJNS5_IJLi1ELi2ELi3ELi4EEEEEEES1U_NSH_IlLl256EEEEENSE_INSF_IJSP_SS_SU_SX_SY_SU_SZ_S12_SU_NS10_INSF_IJSI_SK_EEEEENSV_INSF_IJSI_NSH_IiLi2EEESK_EEELb0EEEEEENSF_IJS14_S15_S16_S17_S18_S19_S1A_S1B_S1C_NS5_IJLi11ELi13EEEES1J_EEENSF_IJS1E_S1F_S19_S1G_S1H_S1C_S1I_S1J_S1K_NS5_IJLi14EEEENS5_IJLi15ELi16ELi17EEEEEEENS5_IJLi15ELi16ELi17ELi14EEEES1N_EENSE_INSF_IJS1R_NS10_ISW_EES22_EEENSF_IJS14_NS5_IJLi1ELi3EEEENS5_IJLi2EEEEEEENSF_IJS1U_S17_NS5_IJLi6ELi7ELi8EEEEEEENS5_IJLi6ELi7ELi8ELi5EEEES1W_EELi16ELi32ELi256ELi256ELi128ELi16ELi16ELi8ELi8ELi32ELb0EE3RunILb1ELNS_10TailNumberE1ENSE_INSF_IJNSG_INSF_IJiiEEENSF_IJiSN_EEELb0EEENSV_IS2N_Lb0EEENST_IiEEEEENSF_IJS14_S2E_NS5_IJLi1EEEEEEENSF_IJNS5_IJLi1ELi2EEEENS5_IJLi3ELi4EEEES17_EEENS5_IJLi3ELi5ELi4EEEElEES1O_NS_35ThreadGroupTensorSliceTransfer_v4r1INS_15ThisThreadBlockILi256EEENS_16tensor_operation12element_wise11PassThroughES35_LNS_25InMemoryDataOperationEnumE0ENS5_IJLi8ELi256ELi16EEEENS5_IJLi8ELi32ELi1EEEENS5_IJLi1ELi0ELi2EEEESC_SC_RKS2Z_KS1O_S39_NS5_IJLi0ELi1ELi2EEEELi2ELi2ELi16ELi16ELi1ELi1ELb0ELb1ELi2EiEENS_13DynamicBufferILNS_16AddressSpaceEnumE1EKSC_lLb1ELNS_22AmdBufferCoherenceEnumE0EiEENSF_IJNS3F_ILS3G_2ESC_S1N_Lb1ELS3I_0EiEES3K_EEENSF_IJiiiEEENSE_INSF_IJNSG_INSF_IJiiiiEEENSF_IJiiiSN_EEELb0EEEEEES1T_S1V_S1U_lEENS_32ThreadwiseTensorSliceTransfer_v2ISD_SD_RKS3R_KS1X_NS5_IJLi8ELi1ELi1ELi32EEEENS5_IJLi1ELi2ELi0ELi3EEEELi3ELi32ELi0ELb1ELb0ELb0EEENS3F_ILS3G_1EKSD_lLb1ELS3I_0EiEENSF_IJNS_12StaticBufferILS3G_4ESD_Li256ELb1EEES42_EEES3N_NS_25StaticBufferTupleOfVectorILS3G_4EfLi64ELi4ELb1ELb0EEEEEvRKT1_RKT2_RT3_RKT4_RT5_RKT6_RKT7_RT8_RKT9_RT10_RKT11_RT12_iENKUlT_E0_clISN_EEDaS51_EUlS51_E_EEvS51_EUlS51_E_EEvS51_@rel32@lo+4
	s_addc_u32 s5, s5, _ZNK2ck6detail7applierIiJLi0ELi1ELi2ELi3ELi4ELi5ELi6ELi7EEEclIZNKS_11static_fordINS_8SequenceIJLi1ELi8EEEENS5_IJLi0ELi1EEEEEclIZZNKS_52BlockwiseGemmXdlops_pipeline_bpreshuffle_bdequant_v3ILNS_26BlockGemmPipelineSchedulerE0ELi256ENS_9f8_fnuz_tENS_7pk_i4_tESC_fNS_16TensorDescriptorINS_5TupleIJNS_5EmbedINSF_IJNS_17integral_constantIiLi8EEENSH_IiLi256EEENSH_IiLi16EEEEEENSF_IJSK_NSH_IiLi128EEENSH_IiLi1EEEEEELb0EEENS_3XorINSF_IJSJ_SI_EEELb1EEENS_11PassThroughISK_EENS_7UnMergeINSF_IJSI_SN_EEELb0EEENST_ISJ_EESU_NST_ISI_EENS_21Merge_v3_division_modINSF_IJSJ_SN_EEEEESU_EEENSF_IJNS5_IJLi0EEEENS5_IJLi2ELi1EEEENS5_IJLi3EEEENS5_IJLi5EEEENS5_IJLi4EEEENS5_IJLi6EEEENS5_IJLi7EEEENS5_IJLi9ELi8EEEENS5_IJLi10EEEEEEENSF_IJNS5_IJLi1ELi2ELi3EEEENS5_IJLi4ELi5EEEES19_NS5_IJLi7ELi8EEEENS5_IJLi9EEEES1C_NS5_IJLi11EEEENS5_IJLi12EEEENS5_IJLi13EEEEEEENS5_IJLi11ELi12ELi13EEEENSH_IlLl32768EEEEENSE_INSF_IJNSV_INSF_IJSI_SN_SN_NSH_IiLi32EEEEEELb0EEEEEENSF_IJS14_EEENSF_IJNS5_IJLi1ELi2ELi3ELi4EEEEEEES1U_NSH_IlLl256EEEEENSE_INSF_IJSP_SS_SU_SX_SY_SU_SZ_S12_SU_NS10_INSF_IJSI_SK_EEEEENSV_INSF_IJSI_NSH_IiLi2EEESK_EEELb0EEEEEENSF_IJS14_S15_S16_S17_S18_S19_S1A_S1B_S1C_NS5_IJLi11ELi13EEEES1J_EEENSF_IJS1E_S1F_S19_S1G_S1H_S1C_S1I_S1J_S1K_NS5_IJLi14EEEENS5_IJLi15ELi16ELi17EEEEEEENS5_IJLi15ELi16ELi17ELi14EEEES1N_EENSE_INSF_IJS1R_NS10_ISW_EES22_EEENSF_IJS14_NS5_IJLi1ELi3EEEENS5_IJLi2EEEEEEENSF_IJS1U_S17_NS5_IJLi6ELi7ELi8EEEEEEENS5_IJLi6ELi7ELi8ELi5EEEES1W_EELi16ELi32ELi256ELi256ELi128ELi16ELi16ELi8ELi8ELi32ELb0EE3RunILb1ELNS_10TailNumberE1ENSE_INSF_IJNSG_INSF_IJiiEEENSF_IJiSN_EEELb0EEENSV_IS2N_Lb0EEENST_IiEEEEENSF_IJS14_S2E_NS5_IJLi1EEEEEEENSF_IJNS5_IJLi1ELi2EEEENS5_IJLi3ELi4EEEES17_EEENS5_IJLi3ELi5ELi4EEEElEES1O_NS_35ThreadGroupTensorSliceTransfer_v4r1INS_15ThisThreadBlockILi256EEENS_16tensor_operation12element_wise11PassThroughES35_LNS_25InMemoryDataOperationEnumE0ENS5_IJLi8ELi256ELi16EEEENS5_IJLi8ELi32ELi1EEEENS5_IJLi1ELi0ELi2EEEESC_SC_RKS2Z_KS1O_S39_NS5_IJLi0ELi1ELi2EEEELi2ELi2ELi16ELi16ELi1ELi1ELb0ELb1ELi2EiEENS_13DynamicBufferILNS_16AddressSpaceEnumE1EKSC_lLb1ELNS_22AmdBufferCoherenceEnumE0EiEENSF_IJNS3F_ILS3G_2ESC_S1N_Lb1ELS3I_0EiEES3K_EEENSF_IJiiiEEENSE_INSF_IJNSG_INSF_IJiiiiEEENSF_IJiiiSN_EEELb0EEEEEES1T_S1V_S1U_lEENS_32ThreadwiseTensorSliceTransfer_v2ISD_SD_RKS3R_KS1X_NS5_IJLi8ELi1ELi1ELi32EEEENS5_IJLi1ELi2ELi0ELi3EEEELi3ELi32ELi0ELb1ELb0ELb0EEENS3F_ILS3G_1EKSD_lLb1ELS3I_0EiEENSF_IJNS_12StaticBufferILS3G_4ESD_Li256ELb1EEES42_EEES3N_NS_25StaticBufferTupleOfVectorILS3G_4EfLi64ELi4ELb1ELb0EEEEEvRKT1_RKT2_RT3_RKT4_RT5_RKT6_RKT7_RT8_RKT9_RT10_RKT11_RT12_iENKUlT_E0_clISN_EEDaS51_EUlS51_E_EEvS51_EUlS51_E_EEvS51_@rel32@hi+12
	s_swappc_b64 s[30:31], s[4:5]
	flat_load_dwordx2 v[12:13], v[30:31] offset:1148
	flat_load_dwordx2 v[14:15], v[30:31] offset:1164
	flat_load_dwordx4 v[0:3], v[30:31] offset:1176
	flat_load_dwordx3 v[8:10], v[30:31] offset:1132
	flat_load_dwordx2 v[16:17], v[28:29]
	s_waitcnt vmcnt(0) lgkmcnt(0)
	v_sub_u32_e32 v4, v12, v15
	v_add3_u32 v1, v4, v1, 64
	v_ashrrev_i32_e32 v4, 31, v1
	v_lshrrev_b32_e32 v4, 29, v4
	v_add_u32_e32 v4, v1, v4
	v_and_b32_e32 v4, -8, v4
	v_sub_u32_e32 v5, v13, v14
	v_sub_u32_e32 v6, v1, v10
	;; [unrolled: 1-line block ×3, first 2 shown]
	v_xor_b32_e32 v4, v1, v5
	v_sub_u32_e32 v4, v4, v9
	v_lshlrev_b32_e32 v10, 7, v6
	v_lshlrev_b32_e32 v4, 4, v4
	v_add3_u32 v4, v10, v8, v4
	v_ashrrev_i32_e32 v5, 31, v4
	v_add_co_u32_e32 v4, vcc, v16, v4
	v_addc_co_u32_e32 v5, vcc, v17, v5, vcc
	flat_load_dwordx4 v[4:7], v[4:5]
	v_add_u32_e32 v3, 16, v3
	v_sub_u32_e32 v2, v8, v2
	v_ashrrev_i32_e32 v8, 31, v3
	v_lshrrev_b32_e32 v8, 28, v8
	v_add_u32_e32 v0, v14, v0
	v_add_u32_e32 v8, v3, v8
	v_sub_u32_e32 v0, v13, v0
	v_lshrrev_b32_e32 v11, 4, v8
	v_add_u32_e32 v0, v0, v11
	v_xor_b32_e32 v0, v0, v1
	v_and_b32_e32 v8, -16, v8
	v_sub_u32_e32 v0, v0, v9
	v_add_u32_e32 v2, v2, v10
	v_sub_u32_e32 v3, v3, v8
	v_lshlrev_b32_e32 v0, 4, v0
	v_add3_u32 v0, v2, v3, v0
	v_ashrrev_i32_e32 v1, 31, v0
	v_add_co_u32_e32 v0, vcc, v16, v0
	v_addc_co_u32_e32 v1, vcc, v17, v1, vcc
	s_waitcnt vmcnt(0) lgkmcnt(0)
	buffer_store_dword v4, off, s[0:3], s33 offset:52
	buffer_store_dword v5, off, s[0:3], s33 offset:56
	;; [unrolled: 1-line block ×4, first 2 shown]
	flat_load_dwordx4 v[0:3], v[0:1]
	s_waitcnt vmcnt(0) lgkmcnt(0)
	buffer_store_dword v0, off, s[0:3], s33 offset:68
	buffer_store_dword v1, off, s[0:3], s33 offset:72
	;; [unrolled: 1-line block ×4, first 2 shown]
	v_mov_b32_e32 v0, s24
	v_mov_b32_e32 v1, s26
	;; [unrolled: 1-line block ×4, first 2 shown]
	s_swappc_b64 s[30:31], s[18:19]
	; sched_group_barrier mask(0x00000008) size(3) SyncID(0)
	; sched_group_barrier mask(0x00000200) size(1) SyncID(0)
	;; [unrolled: 1-line block ×20, first 2 shown]
	; sched_barrier mask(0x00000000)
	v_lshrrev_b32_e64 v0, 6, s33
	v_add_u32_e32 v0, 8, v0
	v_mov_b32_e32 v1, s17
	buffer_store_dword v36, off, s[0:3], s33 offset:12
	buffer_store_dword v37, off, s[0:3], s33 offset:8
	;; [unrolled: 1-line block ×8, first 2 shown]
	s_getpc_b64 s[4:5]
	s_add_u32 s4, s4, _ZNK2ck6detail7applierIiJLi0ELi1ELi2ELi3ELi4ELi5ELi6ELi7EEEclIZNKS_11static_fordINS_8SequenceIJLi1ELi8EEEENS5_IJLi0ELi1EEEEEclIZZNKS_52BlockwiseGemmXdlops_pipeline_bpreshuffle_bdequant_v3ILNS_26BlockGemmPipelineSchedulerE0ELi256ENS_9f8_fnuz_tENS_7pk_i4_tESC_fNS_16TensorDescriptorINS_5TupleIJNS_5EmbedINSF_IJNS_17integral_constantIiLi8EEENSH_IiLi256EEENSH_IiLi16EEEEEENSF_IJSK_NSH_IiLi128EEENSH_IiLi1EEEEEELb0EEENS_3XorINSF_IJSJ_SI_EEELb1EEENS_11PassThroughISK_EENS_7UnMergeINSF_IJSI_SN_EEELb0EEENST_ISJ_EESU_NST_ISI_EENS_21Merge_v3_division_modINSF_IJSJ_SN_EEEEESU_EEENSF_IJNS5_IJLi0EEEENS5_IJLi2ELi1EEEENS5_IJLi3EEEENS5_IJLi5EEEENS5_IJLi4EEEENS5_IJLi6EEEENS5_IJLi7EEEENS5_IJLi9ELi8EEEENS5_IJLi10EEEEEEENSF_IJNS5_IJLi1ELi2ELi3EEEENS5_IJLi4ELi5EEEES19_NS5_IJLi7ELi8EEEENS5_IJLi9EEEES1C_NS5_IJLi11EEEENS5_IJLi12EEEENS5_IJLi13EEEEEEENS5_IJLi11ELi12ELi13EEEENSH_IlLl32768EEEEENSE_INSF_IJNSV_INSF_IJSI_SN_SN_NSH_IiLi32EEEEEELb0EEEEEENSF_IJS14_EEENSF_IJNS5_IJLi1ELi2ELi3ELi4EEEEEEES1U_NSH_IlLl256EEEEENSE_INSF_IJSP_SS_SU_SX_SY_SU_SZ_S12_SU_NS10_INSF_IJSI_SK_EEEEENSV_INSF_IJSI_NSH_IiLi2EEESK_EEELb0EEEEEENSF_IJS14_S15_S16_S17_S18_S19_S1A_S1B_S1C_NS5_IJLi11ELi13EEEES1J_EEENSF_IJS1E_S1F_S19_S1G_S1H_S1C_S1I_S1J_S1K_NS5_IJLi14EEEENS5_IJLi15ELi16ELi17EEEEEEENS5_IJLi15ELi16ELi17ELi14EEEES1N_EENSE_INSF_IJS1R_NS10_ISW_EES22_EEENSF_IJS14_NS5_IJLi1ELi3EEEENS5_IJLi2EEEEEEENSF_IJS1U_S17_NS5_IJLi6ELi7ELi8EEEEEEENS5_IJLi6ELi7ELi8ELi5EEEES1W_EELi16ELi32ELi256ELi256ELi128ELi16ELi16ELi8ELi8ELi32ELb0EE3RunILb1ELNS_10TailNumberE1ENSE_INSF_IJNSG_INSF_IJiiEEENSF_IJiSN_EEELb0EEENSV_IS2N_Lb0EEENST_IiEEEEENSF_IJS14_S2E_NS5_IJLi1EEEEEEENSF_IJNS5_IJLi1ELi2EEEENS5_IJLi3ELi4EEEES17_EEENS5_IJLi3ELi5ELi4EEEElEES1O_NS_35ThreadGroupTensorSliceTransfer_v4r1INS_15ThisThreadBlockILi256EEENS_16tensor_operation12element_wise11PassThroughES35_LNS_25InMemoryDataOperationEnumE0ENS5_IJLi8ELi256ELi16EEEENS5_IJLi8ELi32ELi1EEEENS5_IJLi1ELi0ELi2EEEESC_SC_RKS2Z_KS1O_S39_NS5_IJLi0ELi1ELi2EEEELi2ELi2ELi16ELi16ELi1ELi1ELb0ELb1ELi2EiEENS_13DynamicBufferILNS_16AddressSpaceEnumE1EKSC_lLb1ELNS_22AmdBufferCoherenceEnumE0EiEENSF_IJNS3F_ILS3G_2ESC_S1N_Lb1ELS3I_0EiEES3K_EEENSF_IJiiiEEENSE_INSF_IJNSG_INSF_IJiiiiEEENSF_IJiiiSN_EEELb0EEEEEES1T_S1V_S1U_lEENS_32ThreadwiseTensorSliceTransfer_v2ISD_SD_RKS3R_KS1X_NS5_IJLi8ELi1ELi1ELi32EEEENS5_IJLi1ELi2ELi0ELi3EEEELi3ELi32ELi0ELb1ELb0ELb0EEENS3F_ILS3G_1EKSD_lLb1ELS3I_0EiEENSF_IJNS_12StaticBufferILS3G_4ESD_Li256ELb1EEES42_EEES3N_NS_25StaticBufferTupleOfVectorILS3G_4EfLi64ELi4ELb1ELb0EEEEEvRKT1_RKT2_RT3_RKT4_RT5_RKT6_RKT7_RT8_RKT9_RT10_RKT11_RT12_iENKUlT_E0_clIS20_EEDaS51_EUlS51_E_EEvS51_EUlS51_E_EEvS51_@rel32@lo+4
	s_addc_u32 s5, s5, _ZNK2ck6detail7applierIiJLi0ELi1ELi2ELi3ELi4ELi5ELi6ELi7EEEclIZNKS_11static_fordINS_8SequenceIJLi1ELi8EEEENS5_IJLi0ELi1EEEEEclIZZNKS_52BlockwiseGemmXdlops_pipeline_bpreshuffle_bdequant_v3ILNS_26BlockGemmPipelineSchedulerE0ELi256ENS_9f8_fnuz_tENS_7pk_i4_tESC_fNS_16TensorDescriptorINS_5TupleIJNS_5EmbedINSF_IJNS_17integral_constantIiLi8EEENSH_IiLi256EEENSH_IiLi16EEEEEENSF_IJSK_NSH_IiLi128EEENSH_IiLi1EEEEEELb0EEENS_3XorINSF_IJSJ_SI_EEELb1EEENS_11PassThroughISK_EENS_7UnMergeINSF_IJSI_SN_EEELb0EEENST_ISJ_EESU_NST_ISI_EENS_21Merge_v3_division_modINSF_IJSJ_SN_EEEEESU_EEENSF_IJNS5_IJLi0EEEENS5_IJLi2ELi1EEEENS5_IJLi3EEEENS5_IJLi5EEEENS5_IJLi4EEEENS5_IJLi6EEEENS5_IJLi7EEEENS5_IJLi9ELi8EEEENS5_IJLi10EEEEEEENSF_IJNS5_IJLi1ELi2ELi3EEEENS5_IJLi4ELi5EEEES19_NS5_IJLi7ELi8EEEENS5_IJLi9EEEES1C_NS5_IJLi11EEEENS5_IJLi12EEEENS5_IJLi13EEEEEEENS5_IJLi11ELi12ELi13EEEENSH_IlLl32768EEEEENSE_INSF_IJNSV_INSF_IJSI_SN_SN_NSH_IiLi32EEEEEELb0EEEEEENSF_IJS14_EEENSF_IJNS5_IJLi1ELi2ELi3ELi4EEEEEEES1U_NSH_IlLl256EEEEENSE_INSF_IJSP_SS_SU_SX_SY_SU_SZ_S12_SU_NS10_INSF_IJSI_SK_EEEEENSV_INSF_IJSI_NSH_IiLi2EEESK_EEELb0EEEEEENSF_IJS14_S15_S16_S17_S18_S19_S1A_S1B_S1C_NS5_IJLi11ELi13EEEES1J_EEENSF_IJS1E_S1F_S19_S1G_S1H_S1C_S1I_S1J_S1K_NS5_IJLi14EEEENS5_IJLi15ELi16ELi17EEEEEEENS5_IJLi15ELi16ELi17ELi14EEEES1N_EENSE_INSF_IJS1R_NS10_ISW_EES22_EEENSF_IJS14_NS5_IJLi1ELi3EEEENS5_IJLi2EEEEEEENSF_IJS1U_S17_NS5_IJLi6ELi7ELi8EEEEEEENS5_IJLi6ELi7ELi8ELi5EEEES1W_EELi16ELi32ELi256ELi256ELi128ELi16ELi16ELi8ELi8ELi32ELb0EE3RunILb1ELNS_10TailNumberE1ENSE_INSF_IJNSG_INSF_IJiiEEENSF_IJiSN_EEELb0EEENSV_IS2N_Lb0EEENST_IiEEEEENSF_IJS14_S2E_NS5_IJLi1EEEEEEENSF_IJNS5_IJLi1ELi2EEEENS5_IJLi3ELi4EEEES17_EEENS5_IJLi3ELi5ELi4EEEElEES1O_NS_35ThreadGroupTensorSliceTransfer_v4r1INS_15ThisThreadBlockILi256EEENS_16tensor_operation12element_wise11PassThroughES35_LNS_25InMemoryDataOperationEnumE0ENS5_IJLi8ELi256ELi16EEEENS5_IJLi8ELi32ELi1EEEENS5_IJLi1ELi0ELi2EEEESC_SC_RKS2Z_KS1O_S39_NS5_IJLi0ELi1ELi2EEEELi2ELi2ELi16ELi16ELi1ELi1ELb0ELb1ELi2EiEENS_13DynamicBufferILNS_16AddressSpaceEnumE1EKSC_lLb1ELNS_22AmdBufferCoherenceEnumE0EiEENSF_IJNS3F_ILS3G_2ESC_S1N_Lb1ELS3I_0EiEES3K_EEENSF_IJiiiEEENSE_INSF_IJNSG_INSF_IJiiiiEEENSF_IJiiiSN_EEELb0EEEEEES1T_S1V_S1U_lEENS_32ThreadwiseTensorSliceTransfer_v2ISD_SD_RKS3R_KS1X_NS5_IJLi8ELi1ELi1ELi32EEEENS5_IJLi1ELi2ELi0ELi3EEEELi3ELi32ELi0ELb1ELb0ELb0EEENS3F_ILS3G_1EKSD_lLb1ELS3I_0EiEENSF_IJNS_12StaticBufferILS3G_4ESD_Li256ELb1EEES42_EEES3N_NS_25StaticBufferTupleOfVectorILS3G_4EfLi64ELi4ELb1ELb0EEEEEvRKT1_RKT2_RT3_RKT4_RT5_RKT6_RKT7_RT8_RKT9_RT10_RKT11_RT12_iENKUlT_E0_clIS20_EEDaS51_EUlS51_E_EEvS51_EUlS51_E_EEvS51_@rel32@hi+12
	s_swappc_b64 s[30:31], s[4:5]
	flat_load_dwordx2 v[12:13], v[30:31] offset:1148
	flat_load_dwordx2 v[14:15], v[30:31] offset:1164
	flat_load_dwordx4 v[0:3], v[30:31] offset:1176
	flat_load_dwordx3 v[8:10], v[30:31] offset:1132
	flat_load_dwordx2 v[16:17], v[28:29]
	s_movk_i32 s27, 0x60
	s_waitcnt vmcnt(0) lgkmcnt(0)
	v_sub_u32_e32 v4, v12, v15
	v_add3_u32 v1, v4, v1, s27
	v_ashrrev_i32_e32 v4, 31, v1
	v_lshrrev_b32_e32 v4, 29, v4
	v_add_u32_e32 v4, v1, v4
	v_and_b32_e32 v4, -8, v4
	v_sub_u32_e32 v5, v13, v14
	v_sub_u32_e32 v6, v1, v10
	;; [unrolled: 1-line block ×3, first 2 shown]
	v_xor_b32_e32 v4, v1, v5
	v_sub_u32_e32 v4, v4, v9
	v_lshlrev_b32_e32 v10, 7, v6
	v_lshlrev_b32_e32 v4, 4, v4
	v_add3_u32 v4, v10, v8, v4
	v_ashrrev_i32_e32 v5, 31, v4
	v_add_co_u32_e32 v4, vcc, v16, v4
	v_addc_co_u32_e32 v5, vcc, v17, v5, vcc
	flat_load_dwordx4 v[4:7], v[4:5]
	v_add_u32_e32 v3, 16, v3
	v_sub_u32_e32 v2, v8, v2
	v_ashrrev_i32_e32 v8, 31, v3
	v_lshrrev_b32_e32 v8, 28, v8
	v_add_u32_e32 v0, v14, v0
	v_add_u32_e32 v8, v3, v8
	v_sub_u32_e32 v0, v13, v0
	v_lshrrev_b32_e32 v11, 4, v8
	v_add_u32_e32 v0, v0, v11
	v_xor_b32_e32 v0, v0, v1
	v_and_b32_e32 v8, -16, v8
	v_sub_u32_e32 v0, v0, v9
	v_add_u32_e32 v2, v2, v10
	v_sub_u32_e32 v3, v3, v8
	v_lshlrev_b32_e32 v0, 4, v0
	v_add3_u32 v0, v2, v3, v0
	v_ashrrev_i32_e32 v1, 31, v0
	v_add_co_u32_e32 v0, vcc, v16, v0
	v_addc_co_u32_e32 v1, vcc, v17, v1, vcc
	s_waitcnt vmcnt(0) lgkmcnt(0)
	buffer_store_dword v4, off, s[0:3], s33 offset:84
	buffer_store_dword v5, off, s[0:3], s33 offset:88
	;; [unrolled: 1-line block ×4, first 2 shown]
	flat_load_dwordx4 v[0:3], v[0:1]
	s_waitcnt vmcnt(0) lgkmcnt(0)
	buffer_store_dword v0, off, s[0:3], s33 offset:100
	buffer_store_dword v1, off, s[0:3], s33 offset:104
	;; [unrolled: 1-line block ×4, first 2 shown]
	v_mov_b32_e32 v0, s24
	v_mov_b32_e32 v1, s26
	v_mov_b32_e32 v2, s23
	v_mov_b32_e32 v3, s25
	s_swappc_b64 s[30:31], s[18:19]
	; sched_group_barrier mask(0x00000008) size(16) SyncID(0)
	; sched_group_barrier mask(0x00000100) size(1) SyncID(0)
	;; [unrolled: 1-line block ×4, first 2 shown]
	; sched_barrier mask(0x00000000)
	v_lshrrev_b32_e64 v0, 6, s33
	v_add_u32_e32 v0, 8, v0
	v_mov_b32_e32 v1, s17
	buffer_store_dword v36, off, s[0:3], s33 offset:12
	buffer_store_dword v37, off, s[0:3], s33 offset:8
	buffer_store_dword v38, off, s[0:3], s33 offset:20
	buffer_store_dword v39, off, s[0:3], s33 offset:16
	buffer_store_dword v48, off, s[0:3], s33 offset:28
	buffer_store_dword v49, off, s[0:3], s33 offset:24
	buffer_store_dword v27, off, s[0:3], s33 offset:36
	buffer_store_dword v26, off, s[0:3], s33 offset:32
	s_getpc_b64 s[4:5]
	s_add_u32 s4, s4, _ZNK2ck6detail7applierIiJLi0ELi1ELi2ELi3ELi4ELi5ELi6ELi7EEEclIZNKS_11static_fordINS_8SequenceIJLi1ELi8EEEENS5_IJLi0ELi1EEEEEclIZZNKS_52BlockwiseGemmXdlops_pipeline_bpreshuffle_bdequant_v3ILNS_26BlockGemmPipelineSchedulerE0ELi256ENS_9f8_fnuz_tENS_7pk_i4_tESC_fNS_16TensorDescriptorINS_5TupleIJNS_5EmbedINSF_IJNS_17integral_constantIiLi8EEENSH_IiLi256EEENSH_IiLi16EEEEEENSF_IJSK_NSH_IiLi128EEENSH_IiLi1EEEEEELb0EEENS_3XorINSF_IJSJ_SI_EEELb1EEENS_11PassThroughISK_EENS_7UnMergeINSF_IJSI_SN_EEELb0EEENST_ISJ_EESU_NST_ISI_EENS_21Merge_v3_division_modINSF_IJSJ_SN_EEEEESU_EEENSF_IJNS5_IJLi0EEEENS5_IJLi2ELi1EEEENS5_IJLi3EEEENS5_IJLi5EEEENS5_IJLi4EEEENS5_IJLi6EEEENS5_IJLi7EEEENS5_IJLi9ELi8EEEENS5_IJLi10EEEEEEENSF_IJNS5_IJLi1ELi2ELi3EEEENS5_IJLi4ELi5EEEES19_NS5_IJLi7ELi8EEEENS5_IJLi9EEEES1C_NS5_IJLi11EEEENS5_IJLi12EEEENS5_IJLi13EEEEEEENS5_IJLi11ELi12ELi13EEEENSH_IlLl32768EEEEENSE_INSF_IJNSV_INSF_IJSI_SN_SN_NSH_IiLi32EEEEEELb0EEEEEENSF_IJS14_EEENSF_IJNS5_IJLi1ELi2ELi3ELi4EEEEEEES1U_NSH_IlLl256EEEEENSE_INSF_IJSP_SS_SU_SX_SY_SU_SZ_S12_SU_NS10_INSF_IJSI_SK_EEEEENSV_INSF_IJSI_NSH_IiLi2EEESK_EEELb0EEEEEENSF_IJS14_S15_S16_S17_S18_S19_S1A_S1B_S1C_NS5_IJLi11ELi13EEEES1J_EEENSF_IJS1E_S1F_S19_S1G_S1H_S1C_S1I_S1J_S1K_NS5_IJLi14EEEENS5_IJLi15ELi16ELi17EEEEEEENS5_IJLi15ELi16ELi17ELi14EEEES1N_EENSE_INSF_IJS1R_NS10_ISW_EES22_EEENSF_IJS14_NS5_IJLi1ELi3EEEENS5_IJLi2EEEEEEENSF_IJS1U_S17_NS5_IJLi6ELi7ELi8EEEEEEENS5_IJLi6ELi7ELi8ELi5EEEES1W_EELi16ELi32ELi256ELi256ELi128ELi16ELi16ELi8ELi8ELi32ELb0EE3RunILb1ELNS_10TailNumberE1ENSE_INSF_IJNSG_INSF_IJiiEEENSF_IJiSN_EEELb0EEENSV_IS2N_Lb0EEENST_IiEEEEENSF_IJS14_S2E_NS5_IJLi1EEEEEEENSF_IJNS5_IJLi1ELi2EEEENS5_IJLi3ELi4EEEES17_EEENS5_IJLi3ELi5ELi4EEEElEES1O_NS_35ThreadGroupTensorSliceTransfer_v4r1INS_15ThisThreadBlockILi256EEENS_16tensor_operation12element_wise11PassThroughES35_LNS_25InMemoryDataOperationEnumE0ENS5_IJLi8ELi256ELi16EEEENS5_IJLi8ELi32ELi1EEEENS5_IJLi1ELi0ELi2EEEESC_SC_RKS2Z_KS1O_S39_NS5_IJLi0ELi1ELi2EEEELi2ELi2ELi16ELi16ELi1ELi1ELb0ELb1ELi2EiEENS_13DynamicBufferILNS_16AddressSpaceEnumE1EKSC_lLb1ELNS_22AmdBufferCoherenceEnumE0EiEENSF_IJNS3F_ILS3G_2ESC_S1N_Lb1ELS3I_0EiEES3K_EEENSF_IJiiiEEENSE_INSF_IJNSG_INSF_IJiiiiEEENSF_IJiiiSN_EEELb0EEEEEES1T_S1V_S1U_lEENS_32ThreadwiseTensorSliceTransfer_v2ISD_SD_RKS3R_KS1X_NS5_IJLi8ELi1ELi1ELi32EEEENS5_IJLi1ELi2ELi0ELi3EEEELi3ELi32ELi0ELb1ELb0ELb0EEENS3F_ILS3G_1EKSD_lLb1ELS3I_0EiEENSF_IJNS_12StaticBufferILS3G_4ESD_Li256ELb1EEES42_EEES3N_NS_25StaticBufferTupleOfVectorILS3G_4EfLi64ELi4ELb1ELb0EEEEEvRKT1_RKT2_RT3_RKT4_RT5_RKT6_RKT7_RT8_RKT9_RT10_RKT11_RT12_iENKUlT_E0_clINSH_IiLi3EEEEEDaS51_EUlS51_E_EEvS51_EUlS51_E_EEvS51_@rel32@lo+4
	s_addc_u32 s5, s5, _ZNK2ck6detail7applierIiJLi0ELi1ELi2ELi3ELi4ELi5ELi6ELi7EEEclIZNKS_11static_fordINS_8SequenceIJLi1ELi8EEEENS5_IJLi0ELi1EEEEEclIZZNKS_52BlockwiseGemmXdlops_pipeline_bpreshuffle_bdequant_v3ILNS_26BlockGemmPipelineSchedulerE0ELi256ENS_9f8_fnuz_tENS_7pk_i4_tESC_fNS_16TensorDescriptorINS_5TupleIJNS_5EmbedINSF_IJNS_17integral_constantIiLi8EEENSH_IiLi256EEENSH_IiLi16EEEEEENSF_IJSK_NSH_IiLi128EEENSH_IiLi1EEEEEELb0EEENS_3XorINSF_IJSJ_SI_EEELb1EEENS_11PassThroughISK_EENS_7UnMergeINSF_IJSI_SN_EEELb0EEENST_ISJ_EESU_NST_ISI_EENS_21Merge_v3_division_modINSF_IJSJ_SN_EEEEESU_EEENSF_IJNS5_IJLi0EEEENS5_IJLi2ELi1EEEENS5_IJLi3EEEENS5_IJLi5EEEENS5_IJLi4EEEENS5_IJLi6EEEENS5_IJLi7EEEENS5_IJLi9ELi8EEEENS5_IJLi10EEEEEEENSF_IJNS5_IJLi1ELi2ELi3EEEENS5_IJLi4ELi5EEEES19_NS5_IJLi7ELi8EEEENS5_IJLi9EEEES1C_NS5_IJLi11EEEENS5_IJLi12EEEENS5_IJLi13EEEEEEENS5_IJLi11ELi12ELi13EEEENSH_IlLl32768EEEEENSE_INSF_IJNSV_INSF_IJSI_SN_SN_NSH_IiLi32EEEEEELb0EEEEEENSF_IJS14_EEENSF_IJNS5_IJLi1ELi2ELi3ELi4EEEEEEES1U_NSH_IlLl256EEEEENSE_INSF_IJSP_SS_SU_SX_SY_SU_SZ_S12_SU_NS10_INSF_IJSI_SK_EEEEENSV_INSF_IJSI_NSH_IiLi2EEESK_EEELb0EEEEEENSF_IJS14_S15_S16_S17_S18_S19_S1A_S1B_S1C_NS5_IJLi11ELi13EEEES1J_EEENSF_IJS1E_S1F_S19_S1G_S1H_S1C_S1I_S1J_S1K_NS5_IJLi14EEEENS5_IJLi15ELi16ELi17EEEEEEENS5_IJLi15ELi16ELi17ELi14EEEES1N_EENSE_INSF_IJS1R_NS10_ISW_EES22_EEENSF_IJS14_NS5_IJLi1ELi3EEEENS5_IJLi2EEEEEEENSF_IJS1U_S17_NS5_IJLi6ELi7ELi8EEEEEEENS5_IJLi6ELi7ELi8ELi5EEEES1W_EELi16ELi32ELi256ELi256ELi128ELi16ELi16ELi8ELi8ELi32ELb0EE3RunILb1ELNS_10TailNumberE1ENSE_INSF_IJNSG_INSF_IJiiEEENSF_IJiSN_EEELb0EEENSV_IS2N_Lb0EEENST_IiEEEEENSF_IJS14_S2E_NS5_IJLi1EEEEEEENSF_IJNS5_IJLi1ELi2EEEENS5_IJLi3ELi4EEEES17_EEENS5_IJLi3ELi5ELi4EEEElEES1O_NS_35ThreadGroupTensorSliceTransfer_v4r1INS_15ThisThreadBlockILi256EEENS_16tensor_operation12element_wise11PassThroughES35_LNS_25InMemoryDataOperationEnumE0ENS5_IJLi8ELi256ELi16EEEENS5_IJLi8ELi32ELi1EEEENS5_IJLi1ELi0ELi2EEEESC_SC_RKS2Z_KS1O_S39_NS5_IJLi0ELi1ELi2EEEELi2ELi2ELi16ELi16ELi1ELi1ELb0ELb1ELi2EiEENS_13DynamicBufferILNS_16AddressSpaceEnumE1EKSC_lLb1ELNS_22AmdBufferCoherenceEnumE0EiEENSF_IJNS3F_ILS3G_2ESC_S1N_Lb1ELS3I_0EiEES3K_EEENSF_IJiiiEEENSE_INSF_IJNSG_INSF_IJiiiiEEENSF_IJiiiSN_EEELb0EEEEEES1T_S1V_S1U_lEENS_32ThreadwiseTensorSliceTransfer_v2ISD_SD_RKS3R_KS1X_NS5_IJLi8ELi1ELi1ELi32EEEENS5_IJLi1ELi2ELi0ELi3EEEELi3ELi32ELi0ELb1ELb0ELb0EEENS3F_ILS3G_1EKSD_lLb1ELS3I_0EiEENSF_IJNS_12StaticBufferILS3G_4ESD_Li256ELb1EEES42_EEES3N_NS_25StaticBufferTupleOfVectorILS3G_4EfLi64ELi4ELb1ELb0EEEEEvRKT1_RKT2_RT3_RKT4_RT5_RKT6_RKT7_RT8_RKT9_RT10_RKT11_RT12_iENKUlT_E0_clINSH_IiLi3EEEEEDaS51_EUlS51_E_EEvS51_EUlS51_E_EEvS51_@rel32@hi+12
	s_swappc_b64 s[30:31], s[4:5]
	flat_load_dwordx2 v[12:13], v[30:31] offset:1148
	flat_load_dwordx2 v[14:15], v[30:31] offset:1164
	flat_load_dwordx4 v[0:3], v[30:31] offset:1176
	flat_load_dwordx3 v[8:10], v[30:31] offset:1132
	flat_load_dwordx2 v[16:17], v[28:29]
	s_movk_i32 s21, 0x80
	s_waitcnt vmcnt(0) lgkmcnt(0)
	v_sub_u32_e32 v4, v12, v15
	v_add3_u32 v1, v4, v1, s21
	v_ashrrev_i32_e32 v4, 31, v1
	v_lshrrev_b32_e32 v4, 29, v4
	v_add_u32_e32 v4, v1, v4
	v_and_b32_e32 v4, -8, v4
	v_sub_u32_e32 v5, v13, v14
	v_sub_u32_e32 v6, v1, v10
	;; [unrolled: 1-line block ×3, first 2 shown]
	v_xor_b32_e32 v4, v1, v5
	v_sub_u32_e32 v4, v4, v9
	v_lshlrev_b32_e32 v10, 7, v6
	v_lshlrev_b32_e32 v4, 4, v4
	v_add3_u32 v4, v10, v8, v4
	v_ashrrev_i32_e32 v5, 31, v4
	v_add_co_u32_e32 v4, vcc, v16, v4
	v_addc_co_u32_e32 v5, vcc, v17, v5, vcc
	flat_load_dwordx4 v[4:7], v[4:5]
	v_add_u32_e32 v3, 16, v3
	v_sub_u32_e32 v2, v8, v2
	v_ashrrev_i32_e32 v8, 31, v3
	v_lshrrev_b32_e32 v8, 28, v8
	v_add_u32_e32 v0, v14, v0
	v_add_u32_e32 v8, v3, v8
	v_sub_u32_e32 v0, v13, v0
	v_lshrrev_b32_e32 v11, 4, v8
	v_add_u32_e32 v0, v0, v11
	v_xor_b32_e32 v0, v0, v1
	v_and_b32_e32 v8, -16, v8
	v_sub_u32_e32 v0, v0, v9
	v_add_u32_e32 v2, v2, v10
	v_sub_u32_e32 v3, v3, v8
	v_lshlrev_b32_e32 v0, 4, v0
	v_add3_u32 v0, v2, v3, v0
	v_ashrrev_i32_e32 v1, 31, v0
	v_add_co_u32_e32 v0, vcc, v16, v0
	v_addc_co_u32_e32 v1, vcc, v17, v1, vcc
	s_waitcnt vmcnt(0) lgkmcnt(0)
	buffer_store_dword v4, off, s[0:3], s33 offset:52
	buffer_store_dword v5, off, s[0:3], s33 offset:56
	;; [unrolled: 1-line block ×4, first 2 shown]
	flat_load_dwordx4 v[0:3], v[0:1]
	s_waitcnt vmcnt(0) lgkmcnt(0)
	buffer_store_dword v0, off, s[0:3], s33 offset:68
	buffer_store_dword v1, off, s[0:3], s33 offset:72
	;; [unrolled: 1-line block ×4, first 2 shown]
	v_mov_b32_e32 v0, s24
	v_mov_b32_e32 v1, s26
	;; [unrolled: 1-line block ×4, first 2 shown]
	s_swappc_b64 s[30:31], s[18:19]
	; sched_group_barrier mask(0x00000008) size(16) SyncID(0)
	; sched_group_barrier mask(0x00000100) size(1) SyncID(0)
	;; [unrolled: 1-line block ×4, first 2 shown]
	; sched_barrier mask(0x00000000)
	v_lshrrev_b32_e64 v0, 6, s33
	v_add_u32_e32 v0, 8, v0
	v_mov_b32_e32 v1, s17
	buffer_store_dword v36, off, s[0:3], s33 offset:12
	buffer_store_dword v37, off, s[0:3], s33 offset:8
	;; [unrolled: 1-line block ×8, first 2 shown]
	s_getpc_b64 s[4:5]
	s_add_u32 s4, s4, _ZNK2ck6detail7applierIiJLi0ELi1ELi2ELi3ELi4ELi5ELi6ELi7EEEclIZNKS_11static_fordINS_8SequenceIJLi1ELi8EEEENS5_IJLi0ELi1EEEEEclIZZNKS_52BlockwiseGemmXdlops_pipeline_bpreshuffle_bdequant_v3ILNS_26BlockGemmPipelineSchedulerE0ELi256ENS_9f8_fnuz_tENS_7pk_i4_tESC_fNS_16TensorDescriptorINS_5TupleIJNS_5EmbedINSF_IJNS_17integral_constantIiLi8EEENSH_IiLi256EEENSH_IiLi16EEEEEENSF_IJSK_NSH_IiLi128EEENSH_IiLi1EEEEEELb0EEENS_3XorINSF_IJSJ_SI_EEELb1EEENS_11PassThroughISK_EENS_7UnMergeINSF_IJSI_SN_EEELb0EEENST_ISJ_EESU_NST_ISI_EENS_21Merge_v3_division_modINSF_IJSJ_SN_EEEEESU_EEENSF_IJNS5_IJLi0EEEENS5_IJLi2ELi1EEEENS5_IJLi3EEEENS5_IJLi5EEEENS5_IJLi4EEEENS5_IJLi6EEEENS5_IJLi7EEEENS5_IJLi9ELi8EEEENS5_IJLi10EEEEEEENSF_IJNS5_IJLi1ELi2ELi3EEEENS5_IJLi4ELi5EEEES19_NS5_IJLi7ELi8EEEENS5_IJLi9EEEES1C_NS5_IJLi11EEEENS5_IJLi12EEEENS5_IJLi13EEEEEEENS5_IJLi11ELi12ELi13EEEENSH_IlLl32768EEEEENSE_INSF_IJNSV_INSF_IJSI_SN_SN_NSH_IiLi32EEEEEELb0EEEEEENSF_IJS14_EEENSF_IJNS5_IJLi1ELi2ELi3ELi4EEEEEEES1U_NSH_IlLl256EEEEENSE_INSF_IJSP_SS_SU_SX_SY_SU_SZ_S12_SU_NS10_INSF_IJSI_SK_EEEEENSV_INSF_IJSI_NSH_IiLi2EEESK_EEELb0EEEEEENSF_IJS14_S15_S16_S17_S18_S19_S1A_S1B_S1C_NS5_IJLi11ELi13EEEES1J_EEENSF_IJS1E_S1F_S19_S1G_S1H_S1C_S1I_S1J_S1K_NS5_IJLi14EEEENS5_IJLi15ELi16ELi17EEEEEEENS5_IJLi15ELi16ELi17ELi14EEEES1N_EENSE_INSF_IJS1R_NS10_ISW_EES22_EEENSF_IJS14_NS5_IJLi1ELi3EEEENS5_IJLi2EEEEEEENSF_IJS1U_S17_NS5_IJLi6ELi7ELi8EEEEEEENS5_IJLi6ELi7ELi8ELi5EEEES1W_EELi16ELi32ELi256ELi256ELi128ELi16ELi16ELi8ELi8ELi32ELb0EE3RunILb1ELNS_10TailNumberE1ENSE_INSF_IJNSG_INSF_IJiiEEENSF_IJiSN_EEELb0EEENSV_IS2N_Lb0EEENST_IiEEEEENSF_IJS14_S2E_NS5_IJLi1EEEEEEENSF_IJNS5_IJLi1ELi2EEEENS5_IJLi3ELi4EEEES17_EEENS5_IJLi3ELi5ELi4EEEElEES1O_NS_35ThreadGroupTensorSliceTransfer_v4r1INS_15ThisThreadBlockILi256EEENS_16tensor_operation12element_wise11PassThroughES35_LNS_25InMemoryDataOperationEnumE0ENS5_IJLi8ELi256ELi16EEEENS5_IJLi8ELi32ELi1EEEENS5_IJLi1ELi0ELi2EEEESC_SC_RKS2Z_KS1O_S39_NS5_IJLi0ELi1ELi2EEEELi2ELi2ELi16ELi16ELi1ELi1ELb0ELb1ELi2EiEENS_13DynamicBufferILNS_16AddressSpaceEnumE1EKSC_lLb1ELNS_22AmdBufferCoherenceEnumE0EiEENSF_IJNS3F_ILS3G_2ESC_S1N_Lb1ELS3I_0EiEES3K_EEENSF_IJiiiEEENSE_INSF_IJNSG_INSF_IJiiiiEEENSF_IJiiiSN_EEELb0EEEEEES1T_S1V_S1U_lEENS_32ThreadwiseTensorSliceTransfer_v2ISD_SD_RKS3R_KS1X_NS5_IJLi8ELi1ELi1ELi32EEEENS5_IJLi1ELi2ELi0ELi3EEEELi3ELi32ELi0ELb1ELb0ELb0EEENS3F_ILS3G_1EKSD_lLb1ELS3I_0EiEENSF_IJNS_12StaticBufferILS3G_4ESD_Li256ELb1EEES42_EEES3N_NS_25StaticBufferTupleOfVectorILS3G_4EfLi64ELi4ELb1ELb0EEEEEvRKT1_RKT2_RT3_RKT4_RT5_RKT6_RKT7_RT8_RKT9_RT10_RKT11_RT12_iENKUlT_E0_clINSH_IiLi4EEEEEDaS51_EUlS51_E_EEvS51_EUlS51_E_EEvS51_@rel32@lo+4
	s_addc_u32 s5, s5, _ZNK2ck6detail7applierIiJLi0ELi1ELi2ELi3ELi4ELi5ELi6ELi7EEEclIZNKS_11static_fordINS_8SequenceIJLi1ELi8EEEENS5_IJLi0ELi1EEEEEclIZZNKS_52BlockwiseGemmXdlops_pipeline_bpreshuffle_bdequant_v3ILNS_26BlockGemmPipelineSchedulerE0ELi256ENS_9f8_fnuz_tENS_7pk_i4_tESC_fNS_16TensorDescriptorINS_5TupleIJNS_5EmbedINSF_IJNS_17integral_constantIiLi8EEENSH_IiLi256EEENSH_IiLi16EEEEEENSF_IJSK_NSH_IiLi128EEENSH_IiLi1EEEEEELb0EEENS_3XorINSF_IJSJ_SI_EEELb1EEENS_11PassThroughISK_EENS_7UnMergeINSF_IJSI_SN_EEELb0EEENST_ISJ_EESU_NST_ISI_EENS_21Merge_v3_division_modINSF_IJSJ_SN_EEEEESU_EEENSF_IJNS5_IJLi0EEEENS5_IJLi2ELi1EEEENS5_IJLi3EEEENS5_IJLi5EEEENS5_IJLi4EEEENS5_IJLi6EEEENS5_IJLi7EEEENS5_IJLi9ELi8EEEENS5_IJLi10EEEEEEENSF_IJNS5_IJLi1ELi2ELi3EEEENS5_IJLi4ELi5EEEES19_NS5_IJLi7ELi8EEEENS5_IJLi9EEEES1C_NS5_IJLi11EEEENS5_IJLi12EEEENS5_IJLi13EEEEEEENS5_IJLi11ELi12ELi13EEEENSH_IlLl32768EEEEENSE_INSF_IJNSV_INSF_IJSI_SN_SN_NSH_IiLi32EEEEEELb0EEEEEENSF_IJS14_EEENSF_IJNS5_IJLi1ELi2ELi3ELi4EEEEEEES1U_NSH_IlLl256EEEEENSE_INSF_IJSP_SS_SU_SX_SY_SU_SZ_S12_SU_NS10_INSF_IJSI_SK_EEEEENSV_INSF_IJSI_NSH_IiLi2EEESK_EEELb0EEEEEENSF_IJS14_S15_S16_S17_S18_S19_S1A_S1B_S1C_NS5_IJLi11ELi13EEEES1J_EEENSF_IJS1E_S1F_S19_S1G_S1H_S1C_S1I_S1J_S1K_NS5_IJLi14EEEENS5_IJLi15ELi16ELi17EEEEEEENS5_IJLi15ELi16ELi17ELi14EEEES1N_EENSE_INSF_IJS1R_NS10_ISW_EES22_EEENSF_IJS14_NS5_IJLi1ELi3EEEENS5_IJLi2EEEEEEENSF_IJS1U_S17_NS5_IJLi6ELi7ELi8EEEEEEENS5_IJLi6ELi7ELi8ELi5EEEES1W_EELi16ELi32ELi256ELi256ELi128ELi16ELi16ELi8ELi8ELi32ELb0EE3RunILb1ELNS_10TailNumberE1ENSE_INSF_IJNSG_INSF_IJiiEEENSF_IJiSN_EEELb0EEENSV_IS2N_Lb0EEENST_IiEEEEENSF_IJS14_S2E_NS5_IJLi1EEEEEEENSF_IJNS5_IJLi1ELi2EEEENS5_IJLi3ELi4EEEES17_EEENS5_IJLi3ELi5ELi4EEEElEES1O_NS_35ThreadGroupTensorSliceTransfer_v4r1INS_15ThisThreadBlockILi256EEENS_16tensor_operation12element_wise11PassThroughES35_LNS_25InMemoryDataOperationEnumE0ENS5_IJLi8ELi256ELi16EEEENS5_IJLi8ELi32ELi1EEEENS5_IJLi1ELi0ELi2EEEESC_SC_RKS2Z_KS1O_S39_NS5_IJLi0ELi1ELi2EEEELi2ELi2ELi16ELi16ELi1ELi1ELb0ELb1ELi2EiEENS_13DynamicBufferILNS_16AddressSpaceEnumE1EKSC_lLb1ELNS_22AmdBufferCoherenceEnumE0EiEENSF_IJNS3F_ILS3G_2ESC_S1N_Lb1ELS3I_0EiEES3K_EEENSF_IJiiiEEENSE_INSF_IJNSG_INSF_IJiiiiEEENSF_IJiiiSN_EEELb0EEEEEES1T_S1V_S1U_lEENS_32ThreadwiseTensorSliceTransfer_v2ISD_SD_RKS3R_KS1X_NS5_IJLi8ELi1ELi1ELi32EEEENS5_IJLi1ELi2ELi0ELi3EEEELi3ELi32ELi0ELb1ELb0ELb0EEENS3F_ILS3G_1EKSD_lLb1ELS3I_0EiEENSF_IJNS_12StaticBufferILS3G_4ESD_Li256ELb1EEES42_EEES3N_NS_25StaticBufferTupleOfVectorILS3G_4EfLi64ELi4ELb1ELb0EEEEEvRKT1_RKT2_RT3_RKT4_RT5_RKT6_RKT7_RT8_RKT9_RT10_RKT11_RT12_iENKUlT_E0_clINSH_IiLi4EEEEEDaS51_EUlS51_E_EEvS51_EUlS51_E_EEvS51_@rel32@hi+12
	s_swappc_b64 s[30:31], s[4:5]
	flat_load_dwordx2 v[12:13], v[30:31] offset:1148
	flat_load_dwordx2 v[14:15], v[30:31] offset:1164
	flat_load_dwordx4 v[0:3], v[30:31] offset:1176
	flat_load_dwordx3 v[8:10], v[30:31] offset:1132
	flat_load_dwordx2 v[16:17], v[28:29]
	s_movk_i32 s20, 0xa0
	s_waitcnt vmcnt(0) lgkmcnt(0)
	v_sub_u32_e32 v4, v12, v15
	v_add3_u32 v1, v4, v1, s20
	v_ashrrev_i32_e32 v4, 31, v1
	v_lshrrev_b32_e32 v4, 29, v4
	v_add_u32_e32 v4, v1, v4
	v_and_b32_e32 v4, -8, v4
	v_sub_u32_e32 v5, v13, v14
	v_sub_u32_e32 v6, v1, v10
	;; [unrolled: 1-line block ×3, first 2 shown]
	v_xor_b32_e32 v4, v1, v5
	v_sub_u32_e32 v4, v4, v9
	v_lshlrev_b32_e32 v10, 7, v6
	v_lshlrev_b32_e32 v4, 4, v4
	v_add3_u32 v4, v10, v8, v4
	v_ashrrev_i32_e32 v5, 31, v4
	v_add_co_u32_e32 v4, vcc, v16, v4
	v_addc_co_u32_e32 v5, vcc, v17, v5, vcc
	flat_load_dwordx4 v[4:7], v[4:5]
	v_add_u32_e32 v3, 16, v3
	v_sub_u32_e32 v2, v8, v2
	v_ashrrev_i32_e32 v8, 31, v3
	v_lshrrev_b32_e32 v8, 28, v8
	v_add_u32_e32 v0, v14, v0
	v_add_u32_e32 v8, v3, v8
	v_sub_u32_e32 v0, v13, v0
	v_lshrrev_b32_e32 v11, 4, v8
	v_add_u32_e32 v0, v0, v11
	v_xor_b32_e32 v0, v0, v1
	v_and_b32_e32 v8, -16, v8
	v_sub_u32_e32 v0, v0, v9
	v_add_u32_e32 v2, v2, v10
	v_sub_u32_e32 v3, v3, v8
	v_lshlrev_b32_e32 v0, 4, v0
	v_add3_u32 v0, v2, v3, v0
	v_ashrrev_i32_e32 v1, 31, v0
	v_add_co_u32_e32 v0, vcc, v16, v0
	v_addc_co_u32_e32 v1, vcc, v17, v1, vcc
	s_waitcnt vmcnt(0) lgkmcnt(0)
	buffer_store_dword v4, off, s[0:3], s33 offset:84
	buffer_store_dword v5, off, s[0:3], s33 offset:88
	;; [unrolled: 1-line block ×4, first 2 shown]
	flat_load_dwordx4 v[0:3], v[0:1]
	s_waitcnt vmcnt(0) lgkmcnt(0)
	buffer_store_dword v0, off, s[0:3], s33 offset:100
	buffer_store_dword v1, off, s[0:3], s33 offset:104
	;; [unrolled: 1-line block ×4, first 2 shown]
	v_mov_b32_e32 v0, s24
	v_mov_b32_e32 v1, s26
	;; [unrolled: 1-line block ×4, first 2 shown]
	s_swappc_b64 s[30:31], s[18:19]
	; sched_group_barrier mask(0x00000008) size(16) SyncID(0)
	; sched_group_barrier mask(0x00000100) size(1) SyncID(0)
	;; [unrolled: 1-line block ×4, first 2 shown]
	; sched_barrier mask(0x00000000)
	v_lshrrev_b32_e64 v0, 6, s33
	v_add_u32_e32 v0, 8, v0
	v_mov_b32_e32 v1, s17
	buffer_store_dword v36, off, s[0:3], s33 offset:12
	buffer_store_dword v37, off, s[0:3], s33 offset:8
	;; [unrolled: 1-line block ×8, first 2 shown]
	s_getpc_b64 s[4:5]
	s_add_u32 s4, s4, _ZNK2ck6detail7applierIiJLi0ELi1ELi2ELi3ELi4ELi5ELi6ELi7EEEclIZNKS_11static_fordINS_8SequenceIJLi1ELi8EEEENS5_IJLi0ELi1EEEEEclIZZNKS_52BlockwiseGemmXdlops_pipeline_bpreshuffle_bdequant_v3ILNS_26BlockGemmPipelineSchedulerE0ELi256ENS_9f8_fnuz_tENS_7pk_i4_tESC_fNS_16TensorDescriptorINS_5TupleIJNS_5EmbedINSF_IJNS_17integral_constantIiLi8EEENSH_IiLi256EEENSH_IiLi16EEEEEENSF_IJSK_NSH_IiLi128EEENSH_IiLi1EEEEEELb0EEENS_3XorINSF_IJSJ_SI_EEELb1EEENS_11PassThroughISK_EENS_7UnMergeINSF_IJSI_SN_EEELb0EEENST_ISJ_EESU_NST_ISI_EENS_21Merge_v3_division_modINSF_IJSJ_SN_EEEEESU_EEENSF_IJNS5_IJLi0EEEENS5_IJLi2ELi1EEEENS5_IJLi3EEEENS5_IJLi5EEEENS5_IJLi4EEEENS5_IJLi6EEEENS5_IJLi7EEEENS5_IJLi9ELi8EEEENS5_IJLi10EEEEEEENSF_IJNS5_IJLi1ELi2ELi3EEEENS5_IJLi4ELi5EEEES19_NS5_IJLi7ELi8EEEENS5_IJLi9EEEES1C_NS5_IJLi11EEEENS5_IJLi12EEEENS5_IJLi13EEEEEEENS5_IJLi11ELi12ELi13EEEENSH_IlLl32768EEEEENSE_INSF_IJNSV_INSF_IJSI_SN_SN_NSH_IiLi32EEEEEELb0EEEEEENSF_IJS14_EEENSF_IJNS5_IJLi1ELi2ELi3ELi4EEEEEEES1U_NSH_IlLl256EEEEENSE_INSF_IJSP_SS_SU_SX_SY_SU_SZ_S12_SU_NS10_INSF_IJSI_SK_EEEEENSV_INSF_IJSI_NSH_IiLi2EEESK_EEELb0EEEEEENSF_IJS14_S15_S16_S17_S18_S19_S1A_S1B_S1C_NS5_IJLi11ELi13EEEES1J_EEENSF_IJS1E_S1F_S19_S1G_S1H_S1C_S1I_S1J_S1K_NS5_IJLi14EEEENS5_IJLi15ELi16ELi17EEEEEEENS5_IJLi15ELi16ELi17ELi14EEEES1N_EENSE_INSF_IJS1R_NS10_ISW_EES22_EEENSF_IJS14_NS5_IJLi1ELi3EEEENS5_IJLi2EEEEEEENSF_IJS1U_S17_NS5_IJLi6ELi7ELi8EEEEEEENS5_IJLi6ELi7ELi8ELi5EEEES1W_EELi16ELi32ELi256ELi256ELi128ELi16ELi16ELi8ELi8ELi32ELb0EE3RunILb1ELNS_10TailNumberE1ENSE_INSF_IJNSG_INSF_IJiiEEENSF_IJiSN_EEELb0EEENSV_IS2N_Lb0EEENST_IiEEEEENSF_IJS14_S2E_NS5_IJLi1EEEEEEENSF_IJNS5_IJLi1ELi2EEEENS5_IJLi3ELi4EEEES17_EEENS5_IJLi3ELi5ELi4EEEElEES1O_NS_35ThreadGroupTensorSliceTransfer_v4r1INS_15ThisThreadBlockILi256EEENS_16tensor_operation12element_wise11PassThroughES35_LNS_25InMemoryDataOperationEnumE0ENS5_IJLi8ELi256ELi16EEEENS5_IJLi8ELi32ELi1EEEENS5_IJLi1ELi0ELi2EEEESC_SC_RKS2Z_KS1O_S39_NS5_IJLi0ELi1ELi2EEEELi2ELi2ELi16ELi16ELi1ELi1ELb0ELb1ELi2EiEENS_13DynamicBufferILNS_16AddressSpaceEnumE1EKSC_lLb1ELNS_22AmdBufferCoherenceEnumE0EiEENSF_IJNS3F_ILS3G_2ESC_S1N_Lb1ELS3I_0EiEES3K_EEENSF_IJiiiEEENSE_INSF_IJNSG_INSF_IJiiiiEEENSF_IJiiiSN_EEELb0EEEEEES1T_S1V_S1U_lEENS_32ThreadwiseTensorSliceTransfer_v2ISD_SD_RKS3R_KS1X_NS5_IJLi8ELi1ELi1ELi32EEEENS5_IJLi1ELi2ELi0ELi3EEEELi3ELi32ELi0ELb1ELb0ELb0EEENS3F_ILS3G_1EKSD_lLb1ELS3I_0EiEENSF_IJNS_12StaticBufferILS3G_4ESD_Li256ELb1EEES42_EEES3N_NS_25StaticBufferTupleOfVectorILS3G_4EfLi64ELi4ELb1ELb0EEEEEvRKT1_RKT2_RT3_RKT4_RT5_RKT6_RKT7_RT8_RKT9_RT10_RKT11_RT12_iENKUlT_E0_clINSH_IiLi5EEEEEDaS51_EUlS51_E_EEvS51_EUlS51_E_EEvS51_@rel32@lo+4
	s_addc_u32 s5, s5, _ZNK2ck6detail7applierIiJLi0ELi1ELi2ELi3ELi4ELi5ELi6ELi7EEEclIZNKS_11static_fordINS_8SequenceIJLi1ELi8EEEENS5_IJLi0ELi1EEEEEclIZZNKS_52BlockwiseGemmXdlops_pipeline_bpreshuffle_bdequant_v3ILNS_26BlockGemmPipelineSchedulerE0ELi256ENS_9f8_fnuz_tENS_7pk_i4_tESC_fNS_16TensorDescriptorINS_5TupleIJNS_5EmbedINSF_IJNS_17integral_constantIiLi8EEENSH_IiLi256EEENSH_IiLi16EEEEEENSF_IJSK_NSH_IiLi128EEENSH_IiLi1EEEEEELb0EEENS_3XorINSF_IJSJ_SI_EEELb1EEENS_11PassThroughISK_EENS_7UnMergeINSF_IJSI_SN_EEELb0EEENST_ISJ_EESU_NST_ISI_EENS_21Merge_v3_division_modINSF_IJSJ_SN_EEEEESU_EEENSF_IJNS5_IJLi0EEEENS5_IJLi2ELi1EEEENS5_IJLi3EEEENS5_IJLi5EEEENS5_IJLi4EEEENS5_IJLi6EEEENS5_IJLi7EEEENS5_IJLi9ELi8EEEENS5_IJLi10EEEEEEENSF_IJNS5_IJLi1ELi2ELi3EEEENS5_IJLi4ELi5EEEES19_NS5_IJLi7ELi8EEEENS5_IJLi9EEEES1C_NS5_IJLi11EEEENS5_IJLi12EEEENS5_IJLi13EEEEEEENS5_IJLi11ELi12ELi13EEEENSH_IlLl32768EEEEENSE_INSF_IJNSV_INSF_IJSI_SN_SN_NSH_IiLi32EEEEEELb0EEEEEENSF_IJS14_EEENSF_IJNS5_IJLi1ELi2ELi3ELi4EEEEEEES1U_NSH_IlLl256EEEEENSE_INSF_IJSP_SS_SU_SX_SY_SU_SZ_S12_SU_NS10_INSF_IJSI_SK_EEEEENSV_INSF_IJSI_NSH_IiLi2EEESK_EEELb0EEEEEENSF_IJS14_S15_S16_S17_S18_S19_S1A_S1B_S1C_NS5_IJLi11ELi13EEEES1J_EEENSF_IJS1E_S1F_S19_S1G_S1H_S1C_S1I_S1J_S1K_NS5_IJLi14EEEENS5_IJLi15ELi16ELi17EEEEEEENS5_IJLi15ELi16ELi17ELi14EEEES1N_EENSE_INSF_IJS1R_NS10_ISW_EES22_EEENSF_IJS14_NS5_IJLi1ELi3EEEENS5_IJLi2EEEEEEENSF_IJS1U_S17_NS5_IJLi6ELi7ELi8EEEEEEENS5_IJLi6ELi7ELi8ELi5EEEES1W_EELi16ELi32ELi256ELi256ELi128ELi16ELi16ELi8ELi8ELi32ELb0EE3RunILb1ELNS_10TailNumberE1ENSE_INSF_IJNSG_INSF_IJiiEEENSF_IJiSN_EEELb0EEENSV_IS2N_Lb0EEENST_IiEEEEENSF_IJS14_S2E_NS5_IJLi1EEEEEEENSF_IJNS5_IJLi1ELi2EEEENS5_IJLi3ELi4EEEES17_EEENS5_IJLi3ELi5ELi4EEEElEES1O_NS_35ThreadGroupTensorSliceTransfer_v4r1INS_15ThisThreadBlockILi256EEENS_16tensor_operation12element_wise11PassThroughES35_LNS_25InMemoryDataOperationEnumE0ENS5_IJLi8ELi256ELi16EEEENS5_IJLi8ELi32ELi1EEEENS5_IJLi1ELi0ELi2EEEESC_SC_RKS2Z_KS1O_S39_NS5_IJLi0ELi1ELi2EEEELi2ELi2ELi16ELi16ELi1ELi1ELb0ELb1ELi2EiEENS_13DynamicBufferILNS_16AddressSpaceEnumE1EKSC_lLb1ELNS_22AmdBufferCoherenceEnumE0EiEENSF_IJNS3F_ILS3G_2ESC_S1N_Lb1ELS3I_0EiEES3K_EEENSF_IJiiiEEENSE_INSF_IJNSG_INSF_IJiiiiEEENSF_IJiiiSN_EEELb0EEEEEES1T_S1V_S1U_lEENS_32ThreadwiseTensorSliceTransfer_v2ISD_SD_RKS3R_KS1X_NS5_IJLi8ELi1ELi1ELi32EEEENS5_IJLi1ELi2ELi0ELi3EEEELi3ELi32ELi0ELb1ELb0ELb0EEENS3F_ILS3G_1EKSD_lLb1ELS3I_0EiEENSF_IJNS_12StaticBufferILS3G_4ESD_Li256ELb1EEES42_EEES3N_NS_25StaticBufferTupleOfVectorILS3G_4EfLi64ELi4ELb1ELb0EEEEEvRKT1_RKT2_RT3_RKT4_RT5_RKT6_RKT7_RT8_RKT9_RT10_RKT11_RT12_iENKUlT_E0_clINSH_IiLi5EEEEEDaS51_EUlS51_E_EEvS51_EUlS51_E_EEvS51_@rel32@hi+12
	s_swappc_b64 s[30:31], s[4:5]
	flat_load_dwordx2 v[12:13], v[30:31] offset:1148
	flat_load_dwordx2 v[14:15], v[30:31] offset:1164
	flat_load_dwordx4 v[0:3], v[30:31] offset:1176
	flat_load_dwordx3 v[8:10], v[30:31] offset:1132
	flat_load_dwordx2 v[16:17], v[28:29]
	s_movk_i32 s16, 0xc0
	s_waitcnt vmcnt(0) lgkmcnt(0)
	v_sub_u32_e32 v4, v12, v15
	v_add3_u32 v1, v4, v1, s16
	v_ashrrev_i32_e32 v4, 31, v1
	v_lshrrev_b32_e32 v4, 29, v4
	v_add_u32_e32 v4, v1, v4
	v_and_b32_e32 v4, -8, v4
	v_sub_u32_e32 v5, v13, v14
	v_sub_u32_e32 v6, v1, v10
	v_sub_u32_e32 v1, v1, v4
	v_xor_b32_e32 v4, v1, v5
	v_sub_u32_e32 v4, v4, v9
	v_lshlrev_b32_e32 v10, 7, v6
	v_lshlrev_b32_e32 v4, 4, v4
	v_add3_u32 v4, v10, v8, v4
	v_ashrrev_i32_e32 v5, 31, v4
	v_add_co_u32_e32 v4, vcc, v16, v4
	v_addc_co_u32_e32 v5, vcc, v17, v5, vcc
	flat_load_dwordx4 v[4:7], v[4:5]
	v_add_u32_e32 v3, 16, v3
	v_sub_u32_e32 v2, v8, v2
	v_ashrrev_i32_e32 v8, 31, v3
	v_lshrrev_b32_e32 v8, 28, v8
	v_add_u32_e32 v0, v14, v0
	v_add_u32_e32 v8, v3, v8
	v_sub_u32_e32 v0, v13, v0
	v_lshrrev_b32_e32 v11, 4, v8
	v_add_u32_e32 v0, v0, v11
	v_xor_b32_e32 v0, v0, v1
	v_and_b32_e32 v8, -16, v8
	v_sub_u32_e32 v0, v0, v9
	v_add_u32_e32 v2, v2, v10
	v_sub_u32_e32 v3, v3, v8
	v_lshlrev_b32_e32 v0, 4, v0
	v_add3_u32 v0, v2, v3, v0
	v_ashrrev_i32_e32 v1, 31, v0
	v_add_co_u32_e32 v0, vcc, v16, v0
	v_addc_co_u32_e32 v1, vcc, v17, v1, vcc
	s_waitcnt vmcnt(0) lgkmcnt(0)
	buffer_store_dword v4, off, s[0:3], s33 offset:52
	buffer_store_dword v5, off, s[0:3], s33 offset:56
	;; [unrolled: 1-line block ×4, first 2 shown]
	flat_load_dwordx4 v[0:3], v[0:1]
	s_waitcnt vmcnt(0) lgkmcnt(0)
	buffer_store_dword v0, off, s[0:3], s33 offset:68
	buffer_store_dword v1, off, s[0:3], s33 offset:72
	;; [unrolled: 1-line block ×4, first 2 shown]
	v_mov_b32_e32 v0, s24
	v_mov_b32_e32 v1, s26
	;; [unrolled: 1-line block ×4, first 2 shown]
	s_swappc_b64 s[30:31], s[18:19]
	; sched_group_barrier mask(0x00000008) size(16) SyncID(0)
	; sched_group_barrier mask(0x00000100) size(1) SyncID(0)
	;; [unrolled: 1-line block ×4, first 2 shown]
	; sched_barrier mask(0x00000000)
	v_lshrrev_b32_e64 v0, 6, s33
	v_add_u32_e32 v0, 8, v0
	v_mov_b32_e32 v1, s17
	buffer_store_dword v36, off, s[0:3], s33 offset:12
	buffer_store_dword v37, off, s[0:3], s33 offset:8
	;; [unrolled: 1-line block ×8, first 2 shown]
	s_getpc_b64 s[4:5]
	s_add_u32 s4, s4, _ZNK2ck6detail7applierIiJLi0ELi1ELi2ELi3ELi4ELi5ELi6ELi7EEEclIZNKS_11static_fordINS_8SequenceIJLi1ELi8EEEENS5_IJLi0ELi1EEEEEclIZZNKS_52BlockwiseGemmXdlops_pipeline_bpreshuffle_bdequant_v3ILNS_26BlockGemmPipelineSchedulerE0ELi256ENS_9f8_fnuz_tENS_7pk_i4_tESC_fNS_16TensorDescriptorINS_5TupleIJNS_5EmbedINSF_IJNS_17integral_constantIiLi8EEENSH_IiLi256EEENSH_IiLi16EEEEEENSF_IJSK_NSH_IiLi128EEENSH_IiLi1EEEEEELb0EEENS_3XorINSF_IJSJ_SI_EEELb1EEENS_11PassThroughISK_EENS_7UnMergeINSF_IJSI_SN_EEELb0EEENST_ISJ_EESU_NST_ISI_EENS_21Merge_v3_division_modINSF_IJSJ_SN_EEEEESU_EEENSF_IJNS5_IJLi0EEEENS5_IJLi2ELi1EEEENS5_IJLi3EEEENS5_IJLi5EEEENS5_IJLi4EEEENS5_IJLi6EEEENS5_IJLi7EEEENS5_IJLi9ELi8EEEENS5_IJLi10EEEEEEENSF_IJNS5_IJLi1ELi2ELi3EEEENS5_IJLi4ELi5EEEES19_NS5_IJLi7ELi8EEEENS5_IJLi9EEEES1C_NS5_IJLi11EEEENS5_IJLi12EEEENS5_IJLi13EEEEEEENS5_IJLi11ELi12ELi13EEEENSH_IlLl32768EEEEENSE_INSF_IJNSV_INSF_IJSI_SN_SN_NSH_IiLi32EEEEEELb0EEEEEENSF_IJS14_EEENSF_IJNS5_IJLi1ELi2ELi3ELi4EEEEEEES1U_NSH_IlLl256EEEEENSE_INSF_IJSP_SS_SU_SX_SY_SU_SZ_S12_SU_NS10_INSF_IJSI_SK_EEEEENSV_INSF_IJSI_NSH_IiLi2EEESK_EEELb0EEEEEENSF_IJS14_S15_S16_S17_S18_S19_S1A_S1B_S1C_NS5_IJLi11ELi13EEEES1J_EEENSF_IJS1E_S1F_S19_S1G_S1H_S1C_S1I_S1J_S1K_NS5_IJLi14EEEENS5_IJLi15ELi16ELi17EEEEEEENS5_IJLi15ELi16ELi17ELi14EEEES1N_EENSE_INSF_IJS1R_NS10_ISW_EES22_EEENSF_IJS14_NS5_IJLi1ELi3EEEENS5_IJLi2EEEEEEENSF_IJS1U_S17_NS5_IJLi6ELi7ELi8EEEEEEENS5_IJLi6ELi7ELi8ELi5EEEES1W_EELi16ELi32ELi256ELi256ELi128ELi16ELi16ELi8ELi8ELi32ELb0EE3RunILb1ELNS_10TailNumberE1ENSE_INSF_IJNSG_INSF_IJiiEEENSF_IJiSN_EEELb0EEENSV_IS2N_Lb0EEENST_IiEEEEENSF_IJS14_S2E_NS5_IJLi1EEEEEEENSF_IJNS5_IJLi1ELi2EEEENS5_IJLi3ELi4EEEES17_EEENS5_IJLi3ELi5ELi4EEEElEES1O_NS_35ThreadGroupTensorSliceTransfer_v4r1INS_15ThisThreadBlockILi256EEENS_16tensor_operation12element_wise11PassThroughES35_LNS_25InMemoryDataOperationEnumE0ENS5_IJLi8ELi256ELi16EEEENS5_IJLi8ELi32ELi1EEEENS5_IJLi1ELi0ELi2EEEESC_SC_RKS2Z_KS1O_S39_NS5_IJLi0ELi1ELi2EEEELi2ELi2ELi16ELi16ELi1ELi1ELb0ELb1ELi2EiEENS_13DynamicBufferILNS_16AddressSpaceEnumE1EKSC_lLb1ELNS_22AmdBufferCoherenceEnumE0EiEENSF_IJNS3F_ILS3G_2ESC_S1N_Lb1ELS3I_0EiEES3K_EEENSF_IJiiiEEENSE_INSF_IJNSG_INSF_IJiiiiEEENSF_IJiiiSN_EEELb0EEEEEES1T_S1V_S1U_lEENS_32ThreadwiseTensorSliceTransfer_v2ISD_SD_RKS3R_KS1X_NS5_IJLi8ELi1ELi1ELi32EEEENS5_IJLi1ELi2ELi0ELi3EEEELi3ELi32ELi0ELb1ELb0ELb0EEENS3F_ILS3G_1EKSD_lLb1ELS3I_0EiEENSF_IJNS_12StaticBufferILS3G_4ESD_Li256ELb1EEES42_EEES3N_NS_25StaticBufferTupleOfVectorILS3G_4EfLi64ELi4ELb1ELb0EEEEEvRKT1_RKT2_RT3_RKT4_RT5_RKT6_RKT7_RT8_RKT9_RT10_RKT11_RT12_iENKUlT_E0_clINSH_IiLi6EEEEEDaS51_EUlS51_E_EEvS51_EUlS51_E_EEvS51_@rel32@lo+4
	s_addc_u32 s5, s5, _ZNK2ck6detail7applierIiJLi0ELi1ELi2ELi3ELi4ELi5ELi6ELi7EEEclIZNKS_11static_fordINS_8SequenceIJLi1ELi8EEEENS5_IJLi0ELi1EEEEEclIZZNKS_52BlockwiseGemmXdlops_pipeline_bpreshuffle_bdequant_v3ILNS_26BlockGemmPipelineSchedulerE0ELi256ENS_9f8_fnuz_tENS_7pk_i4_tESC_fNS_16TensorDescriptorINS_5TupleIJNS_5EmbedINSF_IJNS_17integral_constantIiLi8EEENSH_IiLi256EEENSH_IiLi16EEEEEENSF_IJSK_NSH_IiLi128EEENSH_IiLi1EEEEEELb0EEENS_3XorINSF_IJSJ_SI_EEELb1EEENS_11PassThroughISK_EENS_7UnMergeINSF_IJSI_SN_EEELb0EEENST_ISJ_EESU_NST_ISI_EENS_21Merge_v3_division_modINSF_IJSJ_SN_EEEEESU_EEENSF_IJNS5_IJLi0EEEENS5_IJLi2ELi1EEEENS5_IJLi3EEEENS5_IJLi5EEEENS5_IJLi4EEEENS5_IJLi6EEEENS5_IJLi7EEEENS5_IJLi9ELi8EEEENS5_IJLi10EEEEEEENSF_IJNS5_IJLi1ELi2ELi3EEEENS5_IJLi4ELi5EEEES19_NS5_IJLi7ELi8EEEENS5_IJLi9EEEES1C_NS5_IJLi11EEEENS5_IJLi12EEEENS5_IJLi13EEEEEEENS5_IJLi11ELi12ELi13EEEENSH_IlLl32768EEEEENSE_INSF_IJNSV_INSF_IJSI_SN_SN_NSH_IiLi32EEEEEELb0EEEEEENSF_IJS14_EEENSF_IJNS5_IJLi1ELi2ELi3ELi4EEEEEEES1U_NSH_IlLl256EEEEENSE_INSF_IJSP_SS_SU_SX_SY_SU_SZ_S12_SU_NS10_INSF_IJSI_SK_EEEEENSV_INSF_IJSI_NSH_IiLi2EEESK_EEELb0EEEEEENSF_IJS14_S15_S16_S17_S18_S19_S1A_S1B_S1C_NS5_IJLi11ELi13EEEES1J_EEENSF_IJS1E_S1F_S19_S1G_S1H_S1C_S1I_S1J_S1K_NS5_IJLi14EEEENS5_IJLi15ELi16ELi17EEEEEEENS5_IJLi15ELi16ELi17ELi14EEEES1N_EENSE_INSF_IJS1R_NS10_ISW_EES22_EEENSF_IJS14_NS5_IJLi1ELi3EEEENS5_IJLi2EEEEEEENSF_IJS1U_S17_NS5_IJLi6ELi7ELi8EEEEEEENS5_IJLi6ELi7ELi8ELi5EEEES1W_EELi16ELi32ELi256ELi256ELi128ELi16ELi16ELi8ELi8ELi32ELb0EE3RunILb1ELNS_10TailNumberE1ENSE_INSF_IJNSG_INSF_IJiiEEENSF_IJiSN_EEELb0EEENSV_IS2N_Lb0EEENST_IiEEEEENSF_IJS14_S2E_NS5_IJLi1EEEEEEENSF_IJNS5_IJLi1ELi2EEEENS5_IJLi3ELi4EEEES17_EEENS5_IJLi3ELi5ELi4EEEElEES1O_NS_35ThreadGroupTensorSliceTransfer_v4r1INS_15ThisThreadBlockILi256EEENS_16tensor_operation12element_wise11PassThroughES35_LNS_25InMemoryDataOperationEnumE0ENS5_IJLi8ELi256ELi16EEEENS5_IJLi8ELi32ELi1EEEENS5_IJLi1ELi0ELi2EEEESC_SC_RKS2Z_KS1O_S39_NS5_IJLi0ELi1ELi2EEEELi2ELi2ELi16ELi16ELi1ELi1ELb0ELb1ELi2EiEENS_13DynamicBufferILNS_16AddressSpaceEnumE1EKSC_lLb1ELNS_22AmdBufferCoherenceEnumE0EiEENSF_IJNS3F_ILS3G_2ESC_S1N_Lb1ELS3I_0EiEES3K_EEENSF_IJiiiEEENSE_INSF_IJNSG_INSF_IJiiiiEEENSF_IJiiiSN_EEELb0EEEEEES1T_S1V_S1U_lEENS_32ThreadwiseTensorSliceTransfer_v2ISD_SD_RKS3R_KS1X_NS5_IJLi8ELi1ELi1ELi32EEEENS5_IJLi1ELi2ELi0ELi3EEEELi3ELi32ELi0ELb1ELb0ELb0EEENS3F_ILS3G_1EKSD_lLb1ELS3I_0EiEENSF_IJNS_12StaticBufferILS3G_4ESD_Li256ELb1EEES42_EEES3N_NS_25StaticBufferTupleOfVectorILS3G_4EfLi64ELi4ELb1ELb0EEEEEvRKT1_RKT2_RT3_RKT4_RT5_RKT6_RKT7_RT8_RKT9_RT10_RKT11_RT12_iENKUlT_E0_clINSH_IiLi6EEEEEDaS51_EUlS51_E_EEvS51_EUlS51_E_EEvS51_@rel32@hi+12
	s_swappc_b64 s[30:31], s[4:5]
	flat_load_dwordx2 v[12:13], v[30:31] offset:1148
	flat_load_dwordx2 v[14:15], v[30:31] offset:1164
	flat_load_dwordx4 v[0:3], v[30:31] offset:1176
	flat_load_dwordx3 v[8:10], v[30:31] offset:1132
	flat_load_dwordx2 v[16:17], v[28:29]
	s_movk_i32 s11, 0xe0
	s_waitcnt vmcnt(0) lgkmcnt(0)
	v_sub_u32_e32 v4, v12, v15
	v_add3_u32 v1, v4, v1, s11
	v_ashrrev_i32_e32 v4, 31, v1
	v_lshrrev_b32_e32 v4, 29, v4
	v_add_u32_e32 v4, v1, v4
	v_and_b32_e32 v4, -8, v4
	v_sub_u32_e32 v5, v13, v14
	v_sub_u32_e32 v6, v1, v10
	;; [unrolled: 1-line block ×3, first 2 shown]
	v_xor_b32_e32 v4, v1, v5
	v_sub_u32_e32 v4, v4, v9
	v_lshlrev_b32_e32 v10, 7, v6
	v_lshlrev_b32_e32 v4, 4, v4
	v_add3_u32 v4, v10, v8, v4
	v_ashrrev_i32_e32 v5, 31, v4
	v_add_co_u32_e32 v4, vcc, v16, v4
	v_addc_co_u32_e32 v5, vcc, v17, v5, vcc
	flat_load_dwordx4 v[4:7], v[4:5]
	v_add_u32_e32 v3, 16, v3
	v_sub_u32_e32 v2, v8, v2
	v_ashrrev_i32_e32 v8, 31, v3
	v_lshrrev_b32_e32 v8, 28, v8
	v_add_u32_e32 v0, v14, v0
	v_add_u32_e32 v8, v3, v8
	v_sub_u32_e32 v0, v13, v0
	v_lshrrev_b32_e32 v11, 4, v8
	v_add_u32_e32 v0, v0, v11
	v_xor_b32_e32 v0, v0, v1
	v_and_b32_e32 v8, -16, v8
	v_sub_u32_e32 v0, v0, v9
	v_add_u32_e32 v2, v2, v10
	v_sub_u32_e32 v3, v3, v8
	v_lshlrev_b32_e32 v0, 4, v0
	v_add3_u32 v0, v2, v3, v0
	v_ashrrev_i32_e32 v1, 31, v0
	v_add_co_u32_e32 v0, vcc, v16, v0
	v_addc_co_u32_e32 v1, vcc, v17, v1, vcc
	s_waitcnt vmcnt(0) lgkmcnt(0)
	buffer_store_dword v4, off, s[0:3], s33 offset:84
	buffer_store_dword v5, off, s[0:3], s33 offset:88
	;; [unrolled: 1-line block ×4, first 2 shown]
	flat_load_dwordx4 v[0:3], v[0:1]
	s_waitcnt vmcnt(0) lgkmcnt(0)
	buffer_store_dword v0, off, s[0:3], s33 offset:100
	buffer_store_dword v1, off, s[0:3], s33 offset:104
	;; [unrolled: 1-line block ×4, first 2 shown]
	v_mov_b32_e32 v0, s24
	v_mov_b32_e32 v1, s26
	;; [unrolled: 1-line block ×4, first 2 shown]
	s_swappc_b64 s[30:31], s[18:19]
	; sched_group_barrier mask(0x00000008) size(16) SyncID(0)
	; sched_group_barrier mask(0x00000100) size(1) SyncID(0)
	;; [unrolled: 1-line block ×4, first 2 shown]
	; sched_barrier mask(0x00000000)
	flat_load_ubyte v24, v[32:33] offset:320
	flat_load_ubyte v25, v[32:33] offset:336
	;; [unrolled: 1-line block ×6, first 2 shown]
	flat_load_dwordx4 v[0:3], v[32:33] offset:32
	flat_load_dwordx4 v[4:7], v[32:33] offset:48
	;; [unrolled: 1-line block ×6, first 2 shown]
	flat_load_ubyte v65, v[32:33] offset:304
	flat_load_ubyte v70, v[32:33] offset:288
	flat_load_dwordx4 v[66:69], v[32:33] offset:16
	flat_load_dwordx4 v[50:53], v[32:33]
	flat_load_dword v71, v[32:33] offset:728
	s_waitcnt vmcnt(0) lgkmcnt(0)
	v_and_b32_e32 v24, 1, v24
	v_and_b32_e32 v25, 1, v25
	v_and_b32_e32 v34, 1, v34
	v_cmp_eq_u32_e32 vcc, 1, v24
	v_and_b32_e32 v35, 1, v35
	v_and_b32_e32 v54, 1, v54
	;; [unrolled: 1-line block ×3, first 2 shown]
	v_cndmask_b32_e32 v3, 0, v3, vcc
	v_cmp_eq_u32_e64 s[4:5], 1, v25
	v_cndmask_b32_e32 v2, 0, v2, vcc
	v_cndmask_b32_e32 v1, 0, v1, vcc
	;; [unrolled: 1-line block ×3, first 2 shown]
	v_cmp_eq_u32_e32 vcc, 1, v34
	v_cndmask_b32_e64 v7, 0, v7, s[4:5]
	v_cndmask_b32_e32 v11, 0, v11, vcc
	v_cndmask_b32_e64 v6, 0, v6, s[4:5]
	v_cndmask_b32_e64 v5, 0, v5, s[4:5]
	;; [unrolled: 1-line block ×3, first 2 shown]
	v_cmp_eq_u32_e64 s[4:5], 1, v35
	v_cmp_eq_u32_e64 s[6:7], 1, v54
	v_cndmask_b32_e32 v10, 0, v10, vcc
	v_cndmask_b32_e32 v9, 0, v9, vcc
	;; [unrolled: 1-line block ×3, first 2 shown]
	v_cmp_eq_u32_e32 vcc, 1, v55
	v_cndmask_b32_e64 v15, 0, v15, s[4:5]
	v_cndmask_b32_e64 v19, 0, v19, s[6:7]
	v_cndmask_b32_e32 v23, 0, v23, vcc
	v_cndmask_b32_e64 v14, 0, v14, s[4:5]
	v_cndmask_b32_e64 v13, 0, v13, s[4:5]
	;; [unrolled: 1-line block ×6, first 2 shown]
	v_cndmask_b32_e32 v22, 0, v22, vcc
	v_cndmask_b32_e32 v21, 0, v21, vcc
	;; [unrolled: 1-line block ×3, first 2 shown]
	flat_store_dwordx4 v[32:33], v[0:3] offset:32
	flat_store_dwordx4 v[32:33], v[4:7] offset:48
	;; [unrolled: 1-line block ×6, first 2 shown]
	flat_load_dwordx4 v[4:7], v[32:33] offset:43
	v_and_b32_e32 v3, 1, v65
	flat_load_dwordx4 v[8:11], v[32:33] offset:59
	flat_load_dwordx4 v[12:15], v[32:33] offset:75
	;; [unrolled: 1-line block ×4, first 2 shown]
	flat_load_dword v24, v[32:33] offset:123
	flat_load_sbyte v25, v[32:33] offset:127
	v_cmp_eq_u32_e32 vcc, 1, v3
	s_mov_b32 s4, 0x3060504
	s_mov_b32 s5, 0x3020104
	v_cndmask_b32_e32 v69, 0, v69, vcc
	v_cndmask_b32_e32 v68, 0, v68, vcc
	;; [unrolled: 1-line block ×4, first 2 shown]
	v_and_b32_e32 v3, 1, v70
	s_mov_b32 s6, 0x70605
	s_mov_b32 s7, 0x60504
	flat_store_dwordx4 v[32:33], v[66:69] offset:16
	v_cmp_eq_u32_e32 vcc, 1, v3
	v_perm_b32 v69, v69, v69, s4
	v_perm_b32 v68, v68, v68, s5
	;; [unrolled: 1-line block ×3, first 2 shown]
	flat_store_dwordx4 v[32:33], v[66:69] offset:576
	v_cndmask_b32_e32 v53, 0, v53, vcc
	v_cndmask_b32_e32 v52, 0, v52, vcc
	;; [unrolled: 1-line block ×4, first 2 shown]
	flat_store_dwordx4 v[32:33], v[50:53]
	flat_store_dwordx4 v[32:33], v[50:53] offset:560
	s_getpc_b64 s[4:5]
	s_add_u32 s4, s4, _ZNK2ck6detail7applierIiJLi0ELi1ELi2ELi3ELi4ELi5ELi6ELi7EEEclIZNKS_11static_fordINS_8SequenceIJLi1ELi8EEEENS5_IJLi0ELi1EEEEEclIZZNKS_52BlockwiseGemmXdlops_pipeline_bpreshuffle_bdequant_v3ILNS_26BlockGemmPipelineSchedulerE0ELi256ENS_9f8_fnuz_tENS_7pk_i4_tESC_fNS_16TensorDescriptorINS_5TupleIJNS_5EmbedINSF_IJNS_17integral_constantIiLi8EEENSH_IiLi256EEENSH_IiLi16EEEEEENSF_IJSK_NSH_IiLi128EEENSH_IiLi1EEEEEELb0EEENS_3XorINSF_IJSJ_SI_EEELb1EEENS_11PassThroughISK_EENS_7UnMergeINSF_IJSI_SN_EEELb0EEENST_ISJ_EESU_NST_ISI_EENS_21Merge_v3_division_modINSF_IJSJ_SN_EEEEESU_EEENSF_IJNS5_IJLi0EEEENS5_IJLi2ELi1EEEENS5_IJLi3EEEENS5_IJLi5EEEENS5_IJLi4EEEENS5_IJLi6EEEENS5_IJLi7EEEENS5_IJLi9ELi8EEEENS5_IJLi10EEEEEEENSF_IJNS5_IJLi1ELi2ELi3EEEENS5_IJLi4ELi5EEEES19_NS5_IJLi7ELi8EEEENS5_IJLi9EEEES1C_NS5_IJLi11EEEENS5_IJLi12EEEENS5_IJLi13EEEEEEENS5_IJLi11ELi12ELi13EEEENSH_IlLl32768EEEEENSE_INSF_IJNSV_INSF_IJSI_SN_SN_NSH_IiLi32EEEEEELb0EEEEEENSF_IJS14_EEENSF_IJNS5_IJLi1ELi2ELi3ELi4EEEEEEES1U_NSH_IlLl256EEEEENSE_INSF_IJSP_SS_SU_SX_SY_SU_SZ_S12_SU_NS10_INSF_IJSI_SK_EEEEENSV_INSF_IJSI_NSH_IiLi2EEESK_EEELb0EEEEEENSF_IJS14_S15_S16_S17_S18_S19_S1A_S1B_S1C_NS5_IJLi11ELi13EEEES1J_EEENSF_IJS1E_S1F_S19_S1G_S1H_S1C_S1I_S1J_S1K_NS5_IJLi14EEEENS5_IJLi15ELi16ELi17EEEEEEENS5_IJLi15ELi16ELi17ELi14EEEES1N_EENSE_INSF_IJS1R_NS10_ISW_EES22_EEENSF_IJS14_NS5_IJLi1ELi3EEEENS5_IJLi2EEEEEEENSF_IJS1U_S17_NS5_IJLi6ELi7ELi8EEEEEEENS5_IJLi6ELi7ELi8ELi5EEEES1W_EELi16ELi32ELi256ELi256ELi128ELi16ELi16ELi8ELi8ELi32ELb0EE3RunILb1ELNS_10TailNumberE1ENSE_INSF_IJNSG_INSF_IJiiEEENSF_IJiSN_EEELb0EEENSV_IS2N_Lb0EEENST_IiEEEEENSF_IJS14_S2E_NS5_IJLi1EEEEEEENSF_IJNS5_IJLi1ELi2EEEENS5_IJLi3ELi4EEEES17_EEENS5_IJLi3ELi5ELi4EEEElEES1O_NS_35ThreadGroupTensorSliceTransfer_v4r1INS_15ThisThreadBlockILi256EEENS_16tensor_operation12element_wise11PassThroughES35_LNS_25InMemoryDataOperationEnumE0ENS5_IJLi8ELi256ELi16EEEENS5_IJLi8ELi32ELi1EEEENS5_IJLi1ELi0ELi2EEEESC_SC_RKS2Z_KS1O_S39_NS5_IJLi0ELi1ELi2EEEELi2ELi2ELi16ELi16ELi1ELi1ELb0ELb1ELi2EiEENS_13DynamicBufferILNS_16AddressSpaceEnumE1EKSC_lLb1ELNS_22AmdBufferCoherenceEnumE0EiEENSF_IJNS3F_ILS3G_2ESC_S1N_Lb1ELS3I_0EiEES3K_EEENSF_IJiiiEEENSE_INSF_IJNSG_INSF_IJiiiiEEENSF_IJiiiSN_EEELb0EEEEEES1T_S1V_S1U_lEENS_32ThreadwiseTensorSliceTransfer_v2ISD_SD_RKS3R_KS1X_NS5_IJLi8ELi1ELi1ELi32EEEENS5_IJLi1ELi2ELi0ELi3EEEELi3ELi32ELi0ELb1ELb0ELb0EEENS3F_ILS3G_1EKSD_lLb1ELS3I_0EiEENSF_IJNS_12StaticBufferILS3G_4ESD_Li256ELb1EEES42_EEES3N_NS_25StaticBufferTupleOfVectorILS3G_4EfLi64ELi4ELb1ELb0EEEEEvRKT1_RKT2_RT3_RKT4_RT5_RKT6_RKT7_RT8_RKT9_RT10_RKT11_RT12_iENKUlT_E0_clINSH_IiLi7EEEEEDaS51_EUlS51_E_EEvS51_EUlS51_E_EEvS51_@rel32@lo+4
	s_addc_u32 s5, s5, _ZNK2ck6detail7applierIiJLi0ELi1ELi2ELi3ELi4ELi5ELi6ELi7EEEclIZNKS_11static_fordINS_8SequenceIJLi1ELi8EEEENS5_IJLi0ELi1EEEEEclIZZNKS_52BlockwiseGemmXdlops_pipeline_bpreshuffle_bdequant_v3ILNS_26BlockGemmPipelineSchedulerE0ELi256ENS_9f8_fnuz_tENS_7pk_i4_tESC_fNS_16TensorDescriptorINS_5TupleIJNS_5EmbedINSF_IJNS_17integral_constantIiLi8EEENSH_IiLi256EEENSH_IiLi16EEEEEENSF_IJSK_NSH_IiLi128EEENSH_IiLi1EEEEEELb0EEENS_3XorINSF_IJSJ_SI_EEELb1EEENS_11PassThroughISK_EENS_7UnMergeINSF_IJSI_SN_EEELb0EEENST_ISJ_EESU_NST_ISI_EENS_21Merge_v3_division_modINSF_IJSJ_SN_EEEEESU_EEENSF_IJNS5_IJLi0EEEENS5_IJLi2ELi1EEEENS5_IJLi3EEEENS5_IJLi5EEEENS5_IJLi4EEEENS5_IJLi6EEEENS5_IJLi7EEEENS5_IJLi9ELi8EEEENS5_IJLi10EEEEEEENSF_IJNS5_IJLi1ELi2ELi3EEEENS5_IJLi4ELi5EEEES19_NS5_IJLi7ELi8EEEENS5_IJLi9EEEES1C_NS5_IJLi11EEEENS5_IJLi12EEEENS5_IJLi13EEEEEEENS5_IJLi11ELi12ELi13EEEENSH_IlLl32768EEEEENSE_INSF_IJNSV_INSF_IJSI_SN_SN_NSH_IiLi32EEEEEELb0EEEEEENSF_IJS14_EEENSF_IJNS5_IJLi1ELi2ELi3ELi4EEEEEEES1U_NSH_IlLl256EEEEENSE_INSF_IJSP_SS_SU_SX_SY_SU_SZ_S12_SU_NS10_INSF_IJSI_SK_EEEEENSV_INSF_IJSI_NSH_IiLi2EEESK_EEELb0EEEEEENSF_IJS14_S15_S16_S17_S18_S19_S1A_S1B_S1C_NS5_IJLi11ELi13EEEES1J_EEENSF_IJS1E_S1F_S19_S1G_S1H_S1C_S1I_S1J_S1K_NS5_IJLi14EEEENS5_IJLi15ELi16ELi17EEEEEEENS5_IJLi15ELi16ELi17ELi14EEEES1N_EENSE_INSF_IJS1R_NS10_ISW_EES22_EEENSF_IJS14_NS5_IJLi1ELi3EEEENS5_IJLi2EEEEEEENSF_IJS1U_S17_NS5_IJLi6ELi7ELi8EEEEEEENS5_IJLi6ELi7ELi8ELi5EEEES1W_EELi16ELi32ELi256ELi256ELi128ELi16ELi16ELi8ELi8ELi32ELb0EE3RunILb1ELNS_10TailNumberE1ENSE_INSF_IJNSG_INSF_IJiiEEENSF_IJiSN_EEELb0EEENSV_IS2N_Lb0EEENST_IiEEEEENSF_IJS14_S2E_NS5_IJLi1EEEEEEENSF_IJNS5_IJLi1ELi2EEEENS5_IJLi3ELi4EEEES17_EEENS5_IJLi3ELi5ELi4EEEElEES1O_NS_35ThreadGroupTensorSliceTransfer_v4r1INS_15ThisThreadBlockILi256EEENS_16tensor_operation12element_wise11PassThroughES35_LNS_25InMemoryDataOperationEnumE0ENS5_IJLi8ELi256ELi16EEEENS5_IJLi8ELi32ELi1EEEENS5_IJLi1ELi0ELi2EEEESC_SC_RKS2Z_KS1O_S39_NS5_IJLi0ELi1ELi2EEEELi2ELi2ELi16ELi16ELi1ELi1ELb0ELb1ELi2EiEENS_13DynamicBufferILNS_16AddressSpaceEnumE1EKSC_lLb1ELNS_22AmdBufferCoherenceEnumE0EiEENSF_IJNS3F_ILS3G_2ESC_S1N_Lb1ELS3I_0EiEES3K_EEENSF_IJiiiEEENSE_INSF_IJNSG_INSF_IJiiiiEEENSF_IJiiiSN_EEELb0EEEEEES1T_S1V_S1U_lEENS_32ThreadwiseTensorSliceTransfer_v2ISD_SD_RKS3R_KS1X_NS5_IJLi8ELi1ELi1ELi32EEEENS5_IJLi1ELi2ELi0ELi3EEEELi3ELi32ELi0ELb1ELb0ELb0EEENS3F_ILS3G_1EKSD_lLb1ELS3I_0EiEENSF_IJNS_12StaticBufferILS3G_4ESD_Li256ELb1EEES42_EEES3N_NS_25StaticBufferTupleOfVectorILS3G_4EfLi64ELi4ELb1ELb0EEEEEvRKT1_RKT2_RT3_RKT4_RT5_RKT6_RKT7_RT8_RKT9_RT10_RKT11_RT12_iENKUlT_E0_clINSH_IiLi7EEEEEDaS51_EUlS51_E_EEvS51_EUlS51_E_EEvS51_@rel32@hi+12
	s_waitcnt vmcnt(0) lgkmcnt(0)
	v_perm_b32 v3, v4, v5, s6
	v_perm_b32 v2, v2, v4, s7
	;; [unrolled: 1-line block ×22, first 2 shown]
	flat_store_dwordx4 v[32:33], v[0:3] offset:592
	flat_store_dwordx4 v[32:33], v[66:69] offset:608
	;; [unrolled: 1-line block ×6, first 2 shown]
	flat_load_dwordx2 v[0:1], v[28:29] offset:16
	v_ashrrev_i32_e32 v2, 31, v71
	s_waitcnt vmcnt(0) lgkmcnt(0)
	v_add_co_u32_e32 v0, vcc, v0, v71
	v_addc_co_u32_e32 v1, vcc, v1, v2, vcc
	flat_store_dwordx4 v[0:1], v[50:53]
	flat_load_dword v1, v[32:33] offset:776
	v_mov_b32_e32 v0, 0
	flat_load_dwordx2 v[10:11], v[32:33] offset:760
	flat_load_dwordx2 v[12:13], v[32:33] offset:744
	flat_load_dwordx3 v[6:8], v[32:33] offset:728
	flat_load_dwordx4 v[2:5], v[32:33] offset:576
	s_waitcnt vmcnt(0) lgkmcnt(0)
	v_add_u32_e32 v1, 1, v1
	flat_store_dword v[32:33], v1 offset:776
	v_sub_u32_e32 v9, v1, v11
	v_add_u32_e32 v12, v12, v9
	flat_store_dwordx2 v[32:33], v[0:1] offset:760
	v_ashrrev_i32_e32 v1, 31, v12
	v_lshrrev_b32_e32 v1, 29, v1
	v_add_u32_e32 v1, v12, v1
	v_and_b32_e32 v1, -8, v1
	v_sub_u32_e32 v13, v13, v10
	v_sub_u32_e32 v1, v12, v1
	v_xor_b32_e32 v9, v13, v1
	v_sub_u32_e32 v8, v12, v8
	v_sub_u32_e32 v1, v9, v7
	v_lshlrev_b32_e32 v8, 7, v8
	v_lshlrev_b32_e32 v1, 4, v1
	v_mov_b32_e32 v10, v12
	v_add3_u32 v8, v8, v1, v6
	flat_store_dwordx2 v[32:33], v[12:13] offset:744
	flat_store_dwordx3 v[32:33], v[8:10] offset:728
	flat_load_dwordx2 v[6:7], v[28:29] offset:16
	v_ashrrev_i32_e32 v1, 31, v8
	s_waitcnt vmcnt(0) lgkmcnt(0)
	v_add_co_u32_e32 v6, vcc, v6, v8
	v_addc_co_u32_e32 v7, vcc, v7, v1, vcc
	flat_store_dwordx4 v[6:7], v[2:5]
	flat_load_dword v1, v[32:33] offset:776
	flat_load_dwordx2 v[10:11], v[32:33] offset:760
	flat_load_dwordx2 v[12:13], v[32:33] offset:744
	s_waitcnt vmcnt(0) lgkmcnt(0)
	v_add_u32_e32 v1, 1, v1
	flat_load_dwordx3 v[6:8], v[32:33] offset:728
	v_sub_u32_e32 v9, v1, v11
	v_add_u32_e32 v12, v12, v9
	flat_store_dword v[32:33], v1 offset:776
	flat_store_dwordx2 v[32:33], v[0:1] offset:760
	v_ashrrev_i32_e32 v1, 31, v12
	v_lshrrev_b32_e32 v1, 29, v1
	v_add_u32_e32 v1, v12, v1
	v_and_b32_e32 v1, -8, v1
	v_sub_u32_e32 v13, v13, v10
	v_sub_u32_e32 v1, v12, v1
	v_xor_b32_e32 v9, v13, v1
	v_mov_b32_e32 v10, v12
	flat_store_dwordx2 v[32:33], v[12:13] offset:744
	flat_load_dwordx4 v[2:5], v[32:33] offset:592
	s_waitcnt vmcnt(0) lgkmcnt(0)
	v_sub_u32_e32 v8, v12, v8
	v_sub_u32_e32 v1, v9, v7
	v_lshlrev_b32_e32 v8, 7, v8
	v_lshlrev_b32_e32 v1, 4, v1
	v_add3_u32 v8, v8, v1, v6
	flat_store_dwordx3 v[32:33], v[8:10] offset:728
	flat_load_dwordx2 v[6:7], v[28:29] offset:16
	v_ashrrev_i32_e32 v1, 31, v8
	s_waitcnt vmcnt(0) lgkmcnt(0)
	v_add_co_u32_e32 v6, vcc, v6, v8
	v_addc_co_u32_e32 v7, vcc, v7, v1, vcc
	flat_store_dwordx4 v[6:7], v[2:5]
	flat_load_dword v1, v[32:33] offset:776
	flat_load_dwordx2 v[10:11], v[32:33] offset:760
	flat_load_dwordx2 v[12:13], v[32:33] offset:744
	s_waitcnt vmcnt(0) lgkmcnt(0)
	v_add_u32_e32 v1, 1, v1
	flat_load_dwordx3 v[6:8], v[32:33] offset:728
	v_sub_u32_e32 v9, v1, v11
	v_add_u32_e32 v12, v12, v9
	flat_store_dword v[32:33], v1 offset:776
	flat_store_dwordx2 v[32:33], v[0:1] offset:760
	v_ashrrev_i32_e32 v1, 31, v12
	v_lshrrev_b32_e32 v1, 29, v1
	v_add_u32_e32 v1, v12, v1
	v_and_b32_e32 v1, -8, v1
	v_sub_u32_e32 v13, v13, v10
	v_sub_u32_e32 v1, v12, v1
	v_xor_b32_e32 v9, v13, v1
	v_mov_b32_e32 v10, v12
	flat_store_dwordx2 v[32:33], v[12:13] offset:744
	flat_load_dwordx4 v[2:5], v[32:33] offset:608
	s_waitcnt vmcnt(0) lgkmcnt(0)
	v_sub_u32_e32 v8, v12, v8
	v_sub_u32_e32 v1, v9, v7
	v_lshlrev_b32_e32 v8, 7, v8
	v_lshlrev_b32_e32 v1, 4, v1
	v_add3_u32 v8, v8, v1, v6
	;; [unrolled: 33-line block ×6, first 2 shown]
	flat_store_dwordx3 v[32:33], v[8:10] offset:728
	flat_load_dwordx2 v[6:7], v[28:29] offset:16
	v_ashrrev_i32_e32 v1, 31, v8
	s_waitcnt vmcnt(0) lgkmcnt(0)
	v_add_co_u32_e32 v6, vcc, v6, v8
	v_addc_co_u32_e32 v7, vcc, v7, v1, vcc
	flat_store_dwordx4 v[6:7], v[2:5]
	flat_load_dword v1, v[32:33] offset:776
	flat_load_dwordx2 v[8:9], v[32:33] offset:744
	s_waitcnt vmcnt(0) lgkmcnt(0)
	v_add_u32_e32 v1, -7, v1
	flat_load_dwordx2 v[6:7], v[32:33] offset:760
	flat_load_dwordx3 v[2:4], v[32:33] offset:728
	s_waitcnt vmcnt(0) lgkmcnt(0)
	v_sub_u32_e32 v5, v1, v7
	v_add_u32_e32 v8, v8, v5
	flat_store_dwordx2 v[32:33], v[0:1] offset:760
	v_ashrrev_i32_e32 v0, 31, v8
	v_lshrrev_b32_e32 v0, 29, v0
	v_add_u32_e32 v0, v8, v0
	v_and_b32_e32 v0, -8, v0
	v_sub_u32_e32 v9, v9, v6
	v_sub_u32_e32 v0, v8, v0
	v_xor_b32_e32 v5, v9, v0
	flat_store_dword v[32:33], v1 offset:776
	v_sub_u32_e32 v1, v8, v4
	v_sub_u32_e32 v0, v5, v3
	v_lshlrev_b32_e32 v1, 7, v1
	v_lshlrev_b32_e32 v0, 4, v0
	v_add3_u32 v4, v1, v0, v2
	v_lshrrev_b32_e64 v0, 6, s33
	v_mov_b32_e32 v6, v8
	v_add_u32_e32 v0, 8, v0
	v_mov_b32_e32 v1, s17
	buffer_store_dword v36, off, s[0:3], s33 offset:12
	buffer_store_dword v37, off, s[0:3], s33 offset:8
	;; [unrolled: 1-line block ×8, first 2 shown]
	flat_store_dwordx2 v[32:33], v[8:9] offset:744
	flat_store_dwordx3 v[32:33], v[4:6] offset:728
	s_swappc_b64 s[30:31], s[4:5]
	s_waitcnt lgkmcnt(0)
	s_barrier
	flat_load_dwordx3 v[4:6], v[30:31] offset:1132
	flat_load_dwordx2 v[8:9], v[28:29] offset:16
	flat_load_dwordx2 v[10:11], v[30:31] offset:1184
	;; [unrolled: 1-line block ×3, first 2 shown]
	flat_load_dword v7, v[30:31] offset:1176
	s_waitcnt vmcnt(0) lgkmcnt(0)
	v_ashrrev_i32_e32 v1, 31, v4
	v_add_co_u32_e32 v0, vcc, v8, v4
	v_addc_co_u32_e32 v1, vcc, v9, v1, vcc
	flat_load_dwordx4 v[0:3], v[0:1]
	v_add_u32_e32 v11, 16, v11
	v_sub_u32_e32 v7, v13, v7
	v_ashrrev_i32_e32 v13, 31, v12
	v_sub_u32_e32 v6, v12, v6
	v_ashrrev_i32_e32 v14, 31, v11
	v_lshrrev_b32_e32 v13, 29, v13
	v_lshl_add_u32 v4, v6, 7, v4
	v_lshrrev_b32_e32 v6, 28, v14
	v_add_u32_e32 v13, v12, v13
	v_add_u32_e32 v6, v11, v6
	v_sub_u32_e32 v4, v4, v10
	v_and_b32_e32 v10, 0xffffff8, v13
	v_lshrrev_b32_e32 v13, 4, v6
	v_sub_u32_e32 v10, v12, v10
	v_add_u32_e32 v7, v7, v13
	v_xor_b32_e32 v7, v7, v10
	v_and_b32_e32 v6, -16, v6
	v_sub_u32_e32 v5, v7, v5
	v_sub_u32_e32 v6, v11, v6
	v_lshlrev_b32_e32 v5, 4, v5
	v_add3_u32 v4, v4, v6, v5
	v_ashrrev_i32_e32 v5, 31, v4
	v_add_co_u32_e32 v4, vcc, v8, v4
	v_addc_co_u32_e32 v5, vcc, v9, v5, vcc
	s_waitcnt vmcnt(0) lgkmcnt(0)
	buffer_store_dword v0, off, s[0:3], s33 offset:52
	buffer_store_dword v1, off, s[0:3], s33 offset:56
	;; [unrolled: 1-line block ×4, first 2 shown]
	flat_load_dwordx4 v[2:5], v[4:5]
	v_mov_b32_e32 v1, s15
	v_mov_b32_e32 v0, v64
	s_waitcnt vmcnt(0) lgkmcnt(0)
	buffer_store_dword v2, off, s[0:3], s33 offset:68
	buffer_store_dword v3, off, s[0:3], s33 offset:72
	v_mov_b32_e32 v2, s22
	v_mov_b32_e32 v3, s14
	buffer_store_dword v4, off, s[0:3], s33 offset:76
	buffer_store_dword v5, off, s[0:3], s33 offset:80
	s_swappc_b64 s[30:31], s[18:19]
	; sched_group_barrier mask(0x00000008) size(16) SyncID(0)
	; sched_group_barrier mask(0x00000100) size(1) SyncID(0)
	;; [unrolled: 1-line block ×4, first 2 shown]
	; sched_barrier mask(0x00000000)
	v_lshrrev_b32_e64 v0, 6, s33
	v_add_u32_e32 v0, 8, v0
	v_mov_b32_e32 v1, s17
	buffer_store_dword v36, off, s[0:3], s33 offset:12
	buffer_store_dword v37, off, s[0:3], s33 offset:8
	buffer_store_dword v38, off, s[0:3], s33 offset:20
	buffer_store_dword v39, off, s[0:3], s33 offset:16
	buffer_store_dword v48, off, s[0:3], s33 offset:28
	buffer_store_dword v49, off, s[0:3], s33 offset:24
	buffer_store_dword v27, off, s[0:3], s33 offset:36
	buffer_store_dword v26, off, s[0:3], s33 offset:32
	s_getpc_b64 s[4:5]
	s_add_u32 s4, s4, _ZNK2ck6detail7applierIiJLi0ELi1ELi2ELi3ELi4ELi5ELi6ELi7EEEclIZNKS_11static_fordINS_8SequenceIJLi1ELi8EEEENS5_IJLi0ELi1EEEEEclIZZNKS_52BlockwiseGemmXdlops_pipeline_bpreshuffle_bdequant_v3ILNS_26BlockGemmPipelineSchedulerE0ELi256ENS_9f8_fnuz_tENS_7pk_i4_tESC_fNS_16TensorDescriptorINS_5TupleIJNS_5EmbedINSF_IJNS_17integral_constantIiLi8EEENSH_IiLi256EEENSH_IiLi16EEEEEENSF_IJSK_NSH_IiLi128EEENSH_IiLi1EEEEEELb0EEENS_3XorINSF_IJSJ_SI_EEELb1EEENS_11PassThroughISK_EENS_7UnMergeINSF_IJSI_SN_EEELb0EEENST_ISJ_EESU_NST_ISI_EENS_21Merge_v3_division_modINSF_IJSJ_SN_EEEEESU_EEENSF_IJNS5_IJLi0EEEENS5_IJLi2ELi1EEEENS5_IJLi3EEEENS5_IJLi5EEEENS5_IJLi4EEEENS5_IJLi6EEEENS5_IJLi7EEEENS5_IJLi9ELi8EEEENS5_IJLi10EEEEEEENSF_IJNS5_IJLi1ELi2ELi3EEEENS5_IJLi4ELi5EEEES19_NS5_IJLi7ELi8EEEENS5_IJLi9EEEES1C_NS5_IJLi11EEEENS5_IJLi12EEEENS5_IJLi13EEEEEEENS5_IJLi11ELi12ELi13EEEENSH_IlLl32768EEEEENSE_INSF_IJNSV_INSF_IJSI_SN_SN_NSH_IiLi32EEEEEELb0EEEEEENSF_IJS14_EEENSF_IJNS5_IJLi1ELi2ELi3ELi4EEEEEEES1U_NSH_IlLl256EEEEENSE_INSF_IJSP_SS_SU_SX_SY_SU_SZ_S12_SU_NS10_INSF_IJSI_SK_EEEEENSV_INSF_IJSI_NSH_IiLi2EEESK_EEELb0EEEEEENSF_IJS14_S15_S16_S17_S18_S19_S1A_S1B_S1C_NS5_IJLi11ELi13EEEES1J_EEENSF_IJS1E_S1F_S19_S1G_S1H_S1C_S1I_S1J_S1K_NS5_IJLi14EEEENS5_IJLi15ELi16ELi17EEEEEEENS5_IJLi15ELi16ELi17ELi14EEEES1N_EENSE_INSF_IJS1R_NS10_ISW_EES22_EEENSF_IJS14_NS5_IJLi1ELi3EEEENS5_IJLi2EEEEEEENSF_IJS1U_S17_NS5_IJLi6ELi7ELi8EEEEEEENS5_IJLi6ELi7ELi8ELi5EEEES1W_EELi16ELi32ELi256ELi256ELi128ELi16ELi16ELi8ELi8ELi32ELb0EE3RunILb1ELNS_10TailNumberE1ENSE_INSF_IJNSG_INSF_IJiiEEENSF_IJiSN_EEELb0EEENSV_IS2N_Lb0EEENST_IiEEEEENSF_IJS14_S2E_NS5_IJLi1EEEEEEENSF_IJNS5_IJLi1ELi2EEEENS5_IJLi3ELi4EEEES17_EEENS5_IJLi3ELi5ELi4EEEElEES1O_NS_35ThreadGroupTensorSliceTransfer_v4r1INS_15ThisThreadBlockILi256EEENS_16tensor_operation12element_wise11PassThroughES35_LNS_25InMemoryDataOperationEnumE0ENS5_IJLi8ELi256ELi16EEEENS5_IJLi8ELi32ELi1EEEENS5_IJLi1ELi0ELi2EEEESC_SC_RKS2Z_KS1O_S39_NS5_IJLi0ELi1ELi2EEEELi2ELi2ELi16ELi16ELi1ELi1ELb0ELb1ELi2EiEENS_13DynamicBufferILNS_16AddressSpaceEnumE1EKSC_lLb1ELNS_22AmdBufferCoherenceEnumE0EiEENSF_IJNS3F_ILS3G_2ESC_S1N_Lb1ELS3I_0EiEES3K_EEENSF_IJiiiEEENSE_INSF_IJNSG_INSF_IJiiiiEEENSF_IJiiiSN_EEELb0EEEEEES1T_S1V_S1U_lEENS_32ThreadwiseTensorSliceTransfer_v2ISD_SD_RKS3R_KS1X_NS5_IJLi8ELi1ELi1ELi32EEEENS5_IJLi1ELi2ELi0ELi3EEEELi3ELi32ELi0ELb1ELb0ELb0EEENS3F_ILS3G_1EKSD_lLb1ELS3I_0EiEENSF_IJNS_12StaticBufferILS3G_4ESD_Li256ELb1EEES42_EEES3N_NS_25StaticBufferTupleOfVectorILS3G_4EfLi64ELi4ELb1ELb0EEEEEvRKT1_RKT2_RT3_RKT4_RT5_RKT6_RKT7_RT8_RKT9_RT10_RKT11_RT12_iENKUlT_E1_clINSH_IiLi0EEEEEDaS51_EUlS51_E_EEvS51_EUlS51_E_EEvS51_@rel32@lo+4
	s_addc_u32 s5, s5, _ZNK2ck6detail7applierIiJLi0ELi1ELi2ELi3ELi4ELi5ELi6ELi7EEEclIZNKS_11static_fordINS_8SequenceIJLi1ELi8EEEENS5_IJLi0ELi1EEEEEclIZZNKS_52BlockwiseGemmXdlops_pipeline_bpreshuffle_bdequant_v3ILNS_26BlockGemmPipelineSchedulerE0ELi256ENS_9f8_fnuz_tENS_7pk_i4_tESC_fNS_16TensorDescriptorINS_5TupleIJNS_5EmbedINSF_IJNS_17integral_constantIiLi8EEENSH_IiLi256EEENSH_IiLi16EEEEEENSF_IJSK_NSH_IiLi128EEENSH_IiLi1EEEEEELb0EEENS_3XorINSF_IJSJ_SI_EEELb1EEENS_11PassThroughISK_EENS_7UnMergeINSF_IJSI_SN_EEELb0EEENST_ISJ_EESU_NST_ISI_EENS_21Merge_v3_division_modINSF_IJSJ_SN_EEEEESU_EEENSF_IJNS5_IJLi0EEEENS5_IJLi2ELi1EEEENS5_IJLi3EEEENS5_IJLi5EEEENS5_IJLi4EEEENS5_IJLi6EEEENS5_IJLi7EEEENS5_IJLi9ELi8EEEENS5_IJLi10EEEEEEENSF_IJNS5_IJLi1ELi2ELi3EEEENS5_IJLi4ELi5EEEES19_NS5_IJLi7ELi8EEEENS5_IJLi9EEEES1C_NS5_IJLi11EEEENS5_IJLi12EEEENS5_IJLi13EEEEEEENS5_IJLi11ELi12ELi13EEEENSH_IlLl32768EEEEENSE_INSF_IJNSV_INSF_IJSI_SN_SN_NSH_IiLi32EEEEEELb0EEEEEENSF_IJS14_EEENSF_IJNS5_IJLi1ELi2ELi3ELi4EEEEEEES1U_NSH_IlLl256EEEEENSE_INSF_IJSP_SS_SU_SX_SY_SU_SZ_S12_SU_NS10_INSF_IJSI_SK_EEEEENSV_INSF_IJSI_NSH_IiLi2EEESK_EEELb0EEEEEENSF_IJS14_S15_S16_S17_S18_S19_S1A_S1B_S1C_NS5_IJLi11ELi13EEEES1J_EEENSF_IJS1E_S1F_S19_S1G_S1H_S1C_S1I_S1J_S1K_NS5_IJLi14EEEENS5_IJLi15ELi16ELi17EEEEEEENS5_IJLi15ELi16ELi17ELi14EEEES1N_EENSE_INSF_IJS1R_NS10_ISW_EES22_EEENSF_IJS14_NS5_IJLi1ELi3EEEENS5_IJLi2EEEEEEENSF_IJS1U_S17_NS5_IJLi6ELi7ELi8EEEEEEENS5_IJLi6ELi7ELi8ELi5EEEES1W_EELi16ELi32ELi256ELi256ELi128ELi16ELi16ELi8ELi8ELi32ELb0EE3RunILb1ELNS_10TailNumberE1ENSE_INSF_IJNSG_INSF_IJiiEEENSF_IJiSN_EEELb0EEENSV_IS2N_Lb0EEENST_IiEEEEENSF_IJS14_S2E_NS5_IJLi1EEEEEEENSF_IJNS5_IJLi1ELi2EEEENS5_IJLi3ELi4EEEES17_EEENS5_IJLi3ELi5ELi4EEEElEES1O_NS_35ThreadGroupTensorSliceTransfer_v4r1INS_15ThisThreadBlockILi256EEENS_16tensor_operation12element_wise11PassThroughES35_LNS_25InMemoryDataOperationEnumE0ENS5_IJLi8ELi256ELi16EEEENS5_IJLi8ELi32ELi1EEEENS5_IJLi1ELi0ELi2EEEESC_SC_RKS2Z_KS1O_S39_NS5_IJLi0ELi1ELi2EEEELi2ELi2ELi16ELi16ELi1ELi1ELb0ELb1ELi2EiEENS_13DynamicBufferILNS_16AddressSpaceEnumE1EKSC_lLb1ELNS_22AmdBufferCoherenceEnumE0EiEENSF_IJNS3F_ILS3G_2ESC_S1N_Lb1ELS3I_0EiEES3K_EEENSF_IJiiiEEENSE_INSF_IJNSG_INSF_IJiiiiEEENSF_IJiiiSN_EEELb0EEEEEES1T_S1V_S1U_lEENS_32ThreadwiseTensorSliceTransfer_v2ISD_SD_RKS3R_KS1X_NS5_IJLi8ELi1ELi1ELi32EEEENS5_IJLi1ELi2ELi0ELi3EEEELi3ELi32ELi0ELb1ELb0ELb0EEENS3F_ILS3G_1EKSD_lLb1ELS3I_0EiEENSF_IJNS_12StaticBufferILS3G_4ESD_Li256ELb1EEES42_EEES3N_NS_25StaticBufferTupleOfVectorILS3G_4EfLi64ELi4ELb1ELb0EEEEEvRKT1_RKT2_RT3_RKT4_RT5_RKT6_RKT7_RT8_RKT9_RT10_RKT11_RT12_iENKUlT_E1_clINSH_IiLi0EEEEEDaS51_EUlS51_E_EEvS51_EUlS51_E_EEvS51_@rel32@hi+12
	s_swappc_b64 s[30:31], s[4:5]
	flat_load_dwordx2 v[12:13], v[30:31] offset:1148
	flat_load_dwordx2 v[14:15], v[30:31] offset:1164
	flat_load_dwordx4 v[0:3], v[30:31] offset:1176
	flat_load_dwordx3 v[8:10], v[30:31] offset:1132
	flat_load_dwordx2 v[16:17], v[28:29] offset:16
	; sched_group_barrier mask(0x00000008) size(16) SyncID(0)
	; sched_group_barrier mask(0x00000100) size(1) SyncID(0)
	;; [unrolled: 1-line block ×4, first 2 shown]
	s_waitcnt vmcnt(0) lgkmcnt(0)
	v_sub_u32_e32 v4, v12, v15
	v_add3_u32 v1, v4, v1, 32
	v_ashrrev_i32_e32 v4, 31, v1
	v_lshrrev_b32_e32 v4, 29, v4
	v_add_u32_e32 v4, v1, v4
	v_and_b32_e32 v4, -8, v4
	v_sub_u32_e32 v5, v13, v14
	v_sub_u32_e32 v6, v1, v10
	v_sub_u32_e32 v1, v1, v4
	v_xor_b32_e32 v4, v1, v5
	v_sub_u32_e32 v4, v4, v9
	v_lshlrev_b32_e32 v10, 7, v6
	v_lshlrev_b32_e32 v4, 4, v4
	v_add3_u32 v4, v10, v8, v4
	v_ashrrev_i32_e32 v5, 31, v4
	v_add_co_u32_e32 v4, vcc, v16, v4
	v_addc_co_u32_e32 v5, vcc, v17, v5, vcc
	flat_load_dwordx4 v[4:7], v[4:5]
	v_add_u32_e32 v3, 16, v3
	v_sub_u32_e32 v2, v8, v2
	v_ashrrev_i32_e32 v8, 31, v3
	v_lshrrev_b32_e32 v8, 28, v8
	v_add_u32_e32 v0, v14, v0
	v_add_u32_e32 v8, v3, v8
	v_sub_u32_e32 v0, v13, v0
	v_lshrrev_b32_e32 v11, 4, v8
	v_add_u32_e32 v0, v0, v11
	v_xor_b32_e32 v0, v0, v1
	v_and_b32_e32 v8, -16, v8
	v_sub_u32_e32 v0, v0, v9
	v_add_u32_e32 v2, v2, v10
	v_sub_u32_e32 v3, v3, v8
	v_lshlrev_b32_e32 v0, 4, v0
	v_add3_u32 v0, v2, v3, v0
	v_ashrrev_i32_e32 v1, 31, v0
	v_add_co_u32_e32 v0, vcc, v16, v0
	v_addc_co_u32_e32 v1, vcc, v17, v1, vcc
	s_waitcnt vmcnt(0) lgkmcnt(0)
	buffer_store_dword v4, off, s[0:3], s33 offset:84
	buffer_store_dword v5, off, s[0:3], s33 offset:88
	;; [unrolled: 1-line block ×4, first 2 shown]
	flat_load_dwordx4 v[0:3], v[0:1]
	s_nop 0
	buffer_load_dword v4, off, s[0:3], s33 offset:372
	buffer_load_dword v5, off, s[0:3], s33 offset:376
	;; [unrolled: 1-line block ×4, first 2 shown]
	s_waitcnt vmcnt(0) lgkmcnt(0)
	buffer_store_dword v0, off, s[0:3], s33 offset:100
	buffer_store_dword v1, off, s[0:3], s33 offset:104
	buffer_store_dword v2, off, s[0:3], s33 offset:108
	buffer_store_dword v3, off, s[0:3], s33 offset:112
	;;#ASMSTART
	v_cvt_off_f32_i4 v0, v4
v_cvt_off_f32_i4 v1, v4, src0_sel:BYTE_2
v_cvt_pk_fp8_f32 v3, v0, v1
v_cvt_off_f32_i4 v0, v4, src0_sel:BYTE_1
v_cvt_off_f32_i4 v1, v4, src0_sel:BYTE_3
v_cvt_pk_fp8_f32 v8, v0, v1
v_lshrrev_b32 v2, 4, v4
v_cvt_off_f32_i4 v0, v2
v_cvt_off_f32_i4 v1, v2, src0_sel:BYTE_2
v_cvt_pk_fp8_f32 v3, v0, v1, op_sel:[0, 0, 1]
v_cvt_off_f32_i4 v0, v2, src0_sel:BYTE_1
v_cvt_off_f32_i4 v1, v2, src0_sel:BYTE_3
v_cvt_pk_fp8_f32 v8, v0, v1, op_sel:[0, 0, 1]

	;;#ASMEND
	;;#ASMSTART
	v_cvt_off_f32_i4 v0, v5
v_cvt_off_f32_i4 v1, v5, src0_sel:BYTE_2
v_cvt_pk_fp8_f32 v4, v0, v1
v_cvt_off_f32_i4 v0, v5, src0_sel:BYTE_1
v_cvt_off_f32_i4 v1, v5, src0_sel:BYTE_3
v_cvt_pk_fp8_f32 v9, v0, v1
v_lshrrev_b32 v2, 4, v5
v_cvt_off_f32_i4 v0, v2
v_cvt_off_f32_i4 v1, v2, src0_sel:BYTE_2
v_cvt_pk_fp8_f32 v4, v0, v1, op_sel:[0, 0, 1]
v_cvt_off_f32_i4 v0, v2, src0_sel:BYTE_1
v_cvt_off_f32_i4 v1, v2, src0_sel:BYTE_3
v_cvt_pk_fp8_f32 v9, v0, v1, op_sel:[0, 0, 1]

	;;#ASMEND
	;; [unrolled: 16-line block ×4, first 2 shown]
	buffer_load_dword v0, off, s[0:3], s33 offset:404
	buffer_load_dword v1, off, s[0:3], s33 offset:408
	;; [unrolled: 1-line block ×4, first 2 shown]
	s_nop 0
	buffer_store_dword v3, off, s[0:3], s33 offset:884
	buffer_store_dword v8, off, s[0:3], s33 offset:888
	;; [unrolled: 1-line block ×8, first 2 shown]
	s_waitcnt vmcnt(11)
	;;#ASMSTART
	v_cvt_off_f32_i4 v3, v0
v_cvt_off_f32_i4 v4, v0, src0_sel:BYTE_2
v_cvt_pk_fp8_f32 v6, v3, v4
v_cvt_off_f32_i4 v3, v0, src0_sel:BYTE_1
v_cvt_off_f32_i4 v4, v0, src0_sel:BYTE_3
v_cvt_pk_fp8_f32 v8, v3, v4
v_lshrrev_b32 v5, 4, v0
v_cvt_off_f32_i4 v3, v5
v_cvt_off_f32_i4 v4, v5, src0_sel:BYTE_2
v_cvt_pk_fp8_f32 v6, v3, v4, op_sel:[0, 0, 1]
v_cvt_off_f32_i4 v3, v5, src0_sel:BYTE_1
v_cvt_off_f32_i4 v4, v5, src0_sel:BYTE_3
v_cvt_pk_fp8_f32 v8, v3, v4, op_sel:[0, 0, 1]

	;;#ASMEND
	s_waitcnt vmcnt(10)
	;;#ASMSTART
	v_cvt_off_f32_i4 v0, v1
v_cvt_off_f32_i4 v3, v1, src0_sel:BYTE_2
v_cvt_pk_fp8_f32 v5, v0, v3
v_cvt_off_f32_i4 v0, v1, src0_sel:BYTE_1
v_cvt_off_f32_i4 v3, v1, src0_sel:BYTE_3
v_cvt_pk_fp8_f32 v9, v0, v3
v_lshrrev_b32 v4, 4, v1
v_cvt_off_f32_i4 v0, v4
v_cvt_off_f32_i4 v3, v4, src0_sel:BYTE_2
v_cvt_pk_fp8_f32 v5, v0, v3, op_sel:[0, 0, 1]
v_cvt_off_f32_i4 v0, v4, src0_sel:BYTE_1
v_cvt_off_f32_i4 v3, v4, src0_sel:BYTE_3
v_cvt_pk_fp8_f32 v9, v0, v3, op_sel:[0, 0, 1]

	;;#ASMEND
	;; [unrolled: 17-line block ×4, first 2 shown]
	buffer_load_dword v0, off, s[0:3], s33 offset:436
	buffer_load_dword v1, off, s[0:3], s33 offset:440
	;; [unrolled: 1-line block ×4, first 2 shown]
	s_nop 0
	buffer_store_dword v6, off, s[0:3], s33 offset:916
	buffer_store_dword v8, off, s[0:3], s33 offset:920
	;; [unrolled: 1-line block ×8, first 2 shown]
	s_waitcnt vmcnt(11)
	;;#ASMSTART
	v_cvt_off_f32_i4 v3, v0
v_cvt_off_f32_i4 v4, v0, src0_sel:BYTE_2
v_cvt_pk_fp8_f32 v6, v3, v4
v_cvt_off_f32_i4 v3, v0, src0_sel:BYTE_1
v_cvt_off_f32_i4 v4, v0, src0_sel:BYTE_3
v_cvt_pk_fp8_f32 v8, v3, v4
v_lshrrev_b32 v5, 4, v0
v_cvt_off_f32_i4 v3, v5
v_cvt_off_f32_i4 v4, v5, src0_sel:BYTE_2
v_cvt_pk_fp8_f32 v6, v3, v4, op_sel:[0, 0, 1]
v_cvt_off_f32_i4 v3, v5, src0_sel:BYTE_1
v_cvt_off_f32_i4 v4, v5, src0_sel:BYTE_3
v_cvt_pk_fp8_f32 v8, v3, v4, op_sel:[0, 0, 1]

	;;#ASMEND
	s_waitcnt vmcnt(10)
	;;#ASMSTART
	v_cvt_off_f32_i4 v0, v1
v_cvt_off_f32_i4 v3, v1, src0_sel:BYTE_2
v_cvt_pk_fp8_f32 v5, v0, v3
v_cvt_off_f32_i4 v0, v1, src0_sel:BYTE_1
v_cvt_off_f32_i4 v3, v1, src0_sel:BYTE_3
v_cvt_pk_fp8_f32 v9, v0, v3
v_lshrrev_b32 v4, 4, v1
v_cvt_off_f32_i4 v0, v4
v_cvt_off_f32_i4 v3, v4, src0_sel:BYTE_2
v_cvt_pk_fp8_f32 v5, v0, v3, op_sel:[0, 0, 1]
v_cvt_off_f32_i4 v0, v4, src0_sel:BYTE_1
v_cvt_off_f32_i4 v3, v4, src0_sel:BYTE_3
v_cvt_pk_fp8_f32 v9, v0, v3, op_sel:[0, 0, 1]

	;;#ASMEND
	;; [unrolled: 17-line block ×4, first 2 shown]
	buffer_load_dword v0, off, s[0:3], s33 offset:468
	buffer_load_dword v1, off, s[0:3], s33 offset:472
	buffer_load_dword v2, off, s[0:3], s33 offset:476
	buffer_load_dword v7, off, s[0:3], s33 offset:480
	s_nop 0
	buffer_store_dword v6, off, s[0:3], s33 offset:948
	buffer_store_dword v8, off, s[0:3], s33 offset:952
	;; [unrolled: 1-line block ×8, first 2 shown]
	s_waitcnt vmcnt(11)
	;;#ASMSTART
	v_cvt_off_f32_i4 v3, v0
v_cvt_off_f32_i4 v4, v0, src0_sel:BYTE_2
v_cvt_pk_fp8_f32 v6, v3, v4
v_cvt_off_f32_i4 v3, v0, src0_sel:BYTE_1
v_cvt_off_f32_i4 v4, v0, src0_sel:BYTE_3
v_cvt_pk_fp8_f32 v8, v3, v4
v_lshrrev_b32 v5, 4, v0
v_cvt_off_f32_i4 v3, v5
v_cvt_off_f32_i4 v4, v5, src0_sel:BYTE_2
v_cvt_pk_fp8_f32 v6, v3, v4, op_sel:[0, 0, 1]
v_cvt_off_f32_i4 v3, v5, src0_sel:BYTE_1
v_cvt_off_f32_i4 v4, v5, src0_sel:BYTE_3
v_cvt_pk_fp8_f32 v8, v3, v4, op_sel:[0, 0, 1]

	;;#ASMEND
	s_waitcnt vmcnt(10)
	;;#ASMSTART
	v_cvt_off_f32_i4 v0, v1
v_cvt_off_f32_i4 v3, v1, src0_sel:BYTE_2
v_cvt_pk_fp8_f32 v5, v0, v3
v_cvt_off_f32_i4 v0, v1, src0_sel:BYTE_1
v_cvt_off_f32_i4 v3, v1, src0_sel:BYTE_3
v_cvt_pk_fp8_f32 v9, v0, v3
v_lshrrev_b32 v4, 4, v1
v_cvt_off_f32_i4 v0, v4
v_cvt_off_f32_i4 v3, v4, src0_sel:BYTE_2
v_cvt_pk_fp8_f32 v5, v0, v3, op_sel:[0, 0, 1]
v_cvt_off_f32_i4 v0, v4, src0_sel:BYTE_1
v_cvt_off_f32_i4 v3, v4, src0_sel:BYTE_3
v_cvt_pk_fp8_f32 v9, v0, v3, op_sel:[0, 0, 1]

	;;#ASMEND
	;; [unrolled: 17-line block ×4, first 2 shown]
	buffer_load_dword v0, off, s[0:3], s33 offset:500
	buffer_load_dword v1, off, s[0:3], s33 offset:504
	;; [unrolled: 1-line block ×4, first 2 shown]
	s_nop 0
	buffer_store_dword v6, off, s[0:3], s33 offset:980
	buffer_store_dword v8, off, s[0:3], s33 offset:984
	;; [unrolled: 1-line block ×8, first 2 shown]
	s_waitcnt vmcnt(11)
	;;#ASMSTART
	v_cvt_off_f32_i4 v3, v0
v_cvt_off_f32_i4 v4, v0, src0_sel:BYTE_2
v_cvt_pk_fp8_f32 v6, v3, v4
v_cvt_off_f32_i4 v3, v0, src0_sel:BYTE_1
v_cvt_off_f32_i4 v4, v0, src0_sel:BYTE_3
v_cvt_pk_fp8_f32 v8, v3, v4
v_lshrrev_b32 v5, 4, v0
v_cvt_off_f32_i4 v3, v5
v_cvt_off_f32_i4 v4, v5, src0_sel:BYTE_2
v_cvt_pk_fp8_f32 v6, v3, v4, op_sel:[0, 0, 1]
v_cvt_off_f32_i4 v3, v5, src0_sel:BYTE_1
v_cvt_off_f32_i4 v4, v5, src0_sel:BYTE_3
v_cvt_pk_fp8_f32 v8, v3, v4, op_sel:[0, 0, 1]

	;;#ASMEND
	s_waitcnt vmcnt(10)
	;;#ASMSTART
	v_cvt_off_f32_i4 v0, v1
v_cvt_off_f32_i4 v3, v1, src0_sel:BYTE_2
v_cvt_pk_fp8_f32 v5, v0, v3
v_cvt_off_f32_i4 v0, v1, src0_sel:BYTE_1
v_cvt_off_f32_i4 v3, v1, src0_sel:BYTE_3
v_cvt_pk_fp8_f32 v9, v0, v3
v_lshrrev_b32 v4, 4, v1
v_cvt_off_f32_i4 v0, v4
v_cvt_off_f32_i4 v3, v4, src0_sel:BYTE_2
v_cvt_pk_fp8_f32 v5, v0, v3, op_sel:[0, 0, 1]
v_cvt_off_f32_i4 v0, v4, src0_sel:BYTE_1
v_cvt_off_f32_i4 v3, v4, src0_sel:BYTE_3
v_cvt_pk_fp8_f32 v9, v0, v3, op_sel:[0, 0, 1]

	;;#ASMEND
	;; [unrolled: 17-line block ×4, first 2 shown]
	buffer_load_dword v0, off, s[0:3], s33 offset:532
	buffer_load_dword v1, off, s[0:3], s33 offset:536
	;; [unrolled: 1-line block ×4, first 2 shown]
	s_nop 0
	buffer_store_dword v6, off, s[0:3], s33 offset:1012
	buffer_store_dword v8, off, s[0:3], s33 offset:1016
	;; [unrolled: 1-line block ×8, first 2 shown]
	s_waitcnt vmcnt(11)
	;;#ASMSTART
	v_cvt_off_f32_i4 v3, v0
v_cvt_off_f32_i4 v4, v0, src0_sel:BYTE_2
v_cvt_pk_fp8_f32 v6, v3, v4
v_cvt_off_f32_i4 v3, v0, src0_sel:BYTE_1
v_cvt_off_f32_i4 v4, v0, src0_sel:BYTE_3
v_cvt_pk_fp8_f32 v8, v3, v4
v_lshrrev_b32 v5, 4, v0
v_cvt_off_f32_i4 v3, v5
v_cvt_off_f32_i4 v4, v5, src0_sel:BYTE_2
v_cvt_pk_fp8_f32 v6, v3, v4, op_sel:[0, 0, 1]
v_cvt_off_f32_i4 v3, v5, src0_sel:BYTE_1
v_cvt_off_f32_i4 v4, v5, src0_sel:BYTE_3
v_cvt_pk_fp8_f32 v8, v3, v4, op_sel:[0, 0, 1]

	;;#ASMEND
	s_waitcnt vmcnt(10)
	;;#ASMSTART
	v_cvt_off_f32_i4 v0, v1
v_cvt_off_f32_i4 v3, v1, src0_sel:BYTE_2
v_cvt_pk_fp8_f32 v5, v0, v3
v_cvt_off_f32_i4 v0, v1, src0_sel:BYTE_1
v_cvt_off_f32_i4 v3, v1, src0_sel:BYTE_3
v_cvt_pk_fp8_f32 v9, v0, v3
v_lshrrev_b32 v4, 4, v1
v_cvt_off_f32_i4 v0, v4
v_cvt_off_f32_i4 v3, v4, src0_sel:BYTE_2
v_cvt_pk_fp8_f32 v5, v0, v3, op_sel:[0, 0, 1]
v_cvt_off_f32_i4 v0, v4, src0_sel:BYTE_1
v_cvt_off_f32_i4 v3, v4, src0_sel:BYTE_3
v_cvt_pk_fp8_f32 v9, v0, v3, op_sel:[0, 0, 1]

	;;#ASMEND
	;; [unrolled: 17-line block ×4, first 2 shown]
	buffer_load_dword v0, off, s[0:3], s33 offset:564
	buffer_load_dword v1, off, s[0:3], s33 offset:568
	;; [unrolled: 1-line block ×4, first 2 shown]
	s_nop 0
	buffer_store_dword v6, off, s[0:3], s33 offset:1044
	buffer_store_dword v8, off, s[0:3], s33 offset:1048
	;; [unrolled: 1-line block ×8, first 2 shown]
	s_waitcnt vmcnt(11)
	;;#ASMSTART
	v_cvt_off_f32_i4 v3, v0
v_cvt_off_f32_i4 v4, v0, src0_sel:BYTE_2
v_cvt_pk_fp8_f32 v6, v3, v4
v_cvt_off_f32_i4 v3, v0, src0_sel:BYTE_1
v_cvt_off_f32_i4 v4, v0, src0_sel:BYTE_3
v_cvt_pk_fp8_f32 v8, v3, v4
v_lshrrev_b32 v5, 4, v0
v_cvt_off_f32_i4 v3, v5
v_cvt_off_f32_i4 v4, v5, src0_sel:BYTE_2
v_cvt_pk_fp8_f32 v6, v3, v4, op_sel:[0, 0, 1]
v_cvt_off_f32_i4 v3, v5, src0_sel:BYTE_1
v_cvt_off_f32_i4 v4, v5, src0_sel:BYTE_3
v_cvt_pk_fp8_f32 v8, v3, v4, op_sel:[0, 0, 1]

	;;#ASMEND
	s_waitcnt vmcnt(10)
	;;#ASMSTART
	v_cvt_off_f32_i4 v0, v1
v_cvt_off_f32_i4 v3, v1, src0_sel:BYTE_2
v_cvt_pk_fp8_f32 v5, v0, v3
v_cvt_off_f32_i4 v0, v1, src0_sel:BYTE_1
v_cvt_off_f32_i4 v3, v1, src0_sel:BYTE_3
v_cvt_pk_fp8_f32 v9, v0, v3
v_lshrrev_b32 v4, 4, v1
v_cvt_off_f32_i4 v0, v4
v_cvt_off_f32_i4 v3, v4, src0_sel:BYTE_2
v_cvt_pk_fp8_f32 v5, v0, v3, op_sel:[0, 0, 1]
v_cvt_off_f32_i4 v0, v4, src0_sel:BYTE_1
v_cvt_off_f32_i4 v3, v4, src0_sel:BYTE_3
v_cvt_pk_fp8_f32 v9, v0, v3, op_sel:[0, 0, 1]

	;;#ASMEND
	;; [unrolled: 17-line block ×4, first 2 shown]
	buffer_load_dword v0, off, s[0:3], s33 offset:596
	buffer_load_dword v1, off, s[0:3], s33 offset:600
	;; [unrolled: 1-line block ×4, first 2 shown]
	s_nop 0
	buffer_store_dword v6, off, s[0:3], s33 offset:1076
	buffer_store_dword v8, off, s[0:3], s33 offset:1080
	;; [unrolled: 1-line block ×8, first 2 shown]
	s_waitcnt vmcnt(11)
	;;#ASMSTART
	v_cvt_off_f32_i4 v3, v0
v_cvt_off_f32_i4 v4, v0, src0_sel:BYTE_2
v_cvt_pk_fp8_f32 v6, v3, v4
v_cvt_off_f32_i4 v3, v0, src0_sel:BYTE_1
v_cvt_off_f32_i4 v4, v0, src0_sel:BYTE_3
v_cvt_pk_fp8_f32 v8, v3, v4
v_lshrrev_b32 v5, 4, v0
v_cvt_off_f32_i4 v3, v5
v_cvt_off_f32_i4 v4, v5, src0_sel:BYTE_2
v_cvt_pk_fp8_f32 v6, v3, v4, op_sel:[0, 0, 1]
v_cvt_off_f32_i4 v3, v5, src0_sel:BYTE_1
v_cvt_off_f32_i4 v4, v5, src0_sel:BYTE_3
v_cvt_pk_fp8_f32 v8, v3, v4, op_sel:[0, 0, 1]

	;;#ASMEND
	s_waitcnt vmcnt(10)
	;;#ASMSTART
	v_cvt_off_f32_i4 v0, v1
v_cvt_off_f32_i4 v3, v1, src0_sel:BYTE_2
v_cvt_pk_fp8_f32 v5, v0, v3
v_cvt_off_f32_i4 v0, v1, src0_sel:BYTE_1
v_cvt_off_f32_i4 v3, v1, src0_sel:BYTE_3
v_cvt_pk_fp8_f32 v9, v0, v3
v_lshrrev_b32 v4, 4, v1
v_cvt_off_f32_i4 v0, v4
v_cvt_off_f32_i4 v3, v4, src0_sel:BYTE_2
v_cvt_pk_fp8_f32 v5, v0, v3, op_sel:[0, 0, 1]
v_cvt_off_f32_i4 v0, v4, src0_sel:BYTE_1
v_cvt_off_f32_i4 v3, v4, src0_sel:BYTE_3
v_cvt_pk_fp8_f32 v9, v0, v3, op_sel:[0, 0, 1]

	;;#ASMEND
	;; [unrolled: 17-line block ×4, first 2 shown]
	buffer_store_dword v6, off, s[0:3], s33 offset:1108
	buffer_store_dword v8, off, s[0:3], s33 offset:1112
	;; [unrolled: 1-line block ×8, first 2 shown]
	; sched_barrier mask(0x00000000)
	v_lshrrev_b32_e64 v0, 6, s33
	v_add_u32_e32 v0, 8, v0
	v_mov_b32_e32 v1, s17
	buffer_store_dword v36, off, s[0:3], s33 offset:12
	buffer_store_dword v37, off, s[0:3], s33 offset:8
	;; [unrolled: 1-line block ×8, first 2 shown]
	s_getpc_b64 s[4:5]
	s_add_u32 s4, s4, _ZNK2ck6detail7applierIiJLi0ELi1ELi2ELi3ELi4ELi5ELi6ELi7EEEclIZNKS_11static_fordINS_8SequenceIJLi1ELi8EEEENS5_IJLi0ELi1EEEEEclIZZNKS_52BlockwiseGemmXdlops_pipeline_bpreshuffle_bdequant_v3ILNS_26BlockGemmPipelineSchedulerE0ELi256ENS_9f8_fnuz_tENS_7pk_i4_tESC_fNS_16TensorDescriptorINS_5TupleIJNS_5EmbedINSF_IJNS_17integral_constantIiLi8EEENSH_IiLi256EEENSH_IiLi16EEEEEENSF_IJSK_NSH_IiLi128EEENSH_IiLi1EEEEEELb0EEENS_3XorINSF_IJSJ_SI_EEELb1EEENS_11PassThroughISK_EENS_7UnMergeINSF_IJSI_SN_EEELb0EEENST_ISJ_EESU_NST_ISI_EENS_21Merge_v3_division_modINSF_IJSJ_SN_EEEEESU_EEENSF_IJNS5_IJLi0EEEENS5_IJLi2ELi1EEEENS5_IJLi3EEEENS5_IJLi5EEEENS5_IJLi4EEEENS5_IJLi6EEEENS5_IJLi7EEEENS5_IJLi9ELi8EEEENS5_IJLi10EEEEEEENSF_IJNS5_IJLi1ELi2ELi3EEEENS5_IJLi4ELi5EEEES19_NS5_IJLi7ELi8EEEENS5_IJLi9EEEES1C_NS5_IJLi11EEEENS5_IJLi12EEEENS5_IJLi13EEEEEEENS5_IJLi11ELi12ELi13EEEENSH_IlLl32768EEEEENSE_INSF_IJNSV_INSF_IJSI_SN_SN_NSH_IiLi32EEEEEELb0EEEEEENSF_IJS14_EEENSF_IJNS5_IJLi1ELi2ELi3ELi4EEEEEEES1U_NSH_IlLl256EEEEENSE_INSF_IJSP_SS_SU_SX_SY_SU_SZ_S12_SU_NS10_INSF_IJSI_SK_EEEEENSV_INSF_IJSI_NSH_IiLi2EEESK_EEELb0EEEEEENSF_IJS14_S15_S16_S17_S18_S19_S1A_S1B_S1C_NS5_IJLi11ELi13EEEES1J_EEENSF_IJS1E_S1F_S19_S1G_S1H_S1C_S1I_S1J_S1K_NS5_IJLi14EEEENS5_IJLi15ELi16ELi17EEEEEEENS5_IJLi15ELi16ELi17ELi14EEEES1N_EENSE_INSF_IJS1R_NS10_ISW_EES22_EEENSF_IJS14_NS5_IJLi1ELi3EEEENS5_IJLi2EEEEEEENSF_IJS1U_S17_NS5_IJLi6ELi7ELi8EEEEEEENS5_IJLi6ELi7ELi8ELi5EEEES1W_EELi16ELi32ELi256ELi256ELi128ELi16ELi16ELi8ELi8ELi32ELb0EE3RunILb1ELNS_10TailNumberE1ENSE_INSF_IJNSG_INSF_IJiiEEENSF_IJiSN_EEELb0EEENSV_IS2N_Lb0EEENST_IiEEEEENSF_IJS14_S2E_NS5_IJLi1EEEEEEENSF_IJNS5_IJLi1ELi2EEEENS5_IJLi3ELi4EEEES17_EEENS5_IJLi3ELi5ELi4EEEElEES1O_NS_35ThreadGroupTensorSliceTransfer_v4r1INS_15ThisThreadBlockILi256EEENS_16tensor_operation12element_wise11PassThroughES35_LNS_25InMemoryDataOperationEnumE0ENS5_IJLi8ELi256ELi16EEEENS5_IJLi8ELi32ELi1EEEENS5_IJLi1ELi0ELi2EEEESC_SC_RKS2Z_KS1O_S39_NS5_IJLi0ELi1ELi2EEEELi2ELi2ELi16ELi16ELi1ELi1ELb0ELb1ELi2EiEENS_13DynamicBufferILNS_16AddressSpaceEnumE1EKSC_lLb1ELNS_22AmdBufferCoherenceEnumE0EiEENSF_IJNS3F_ILS3G_2ESC_S1N_Lb1ELS3I_0EiEES3K_EEENSF_IJiiiEEENSE_INSF_IJNSG_INSF_IJiiiiEEENSF_IJiiiSN_EEELb0EEEEEES1T_S1V_S1U_lEENS_32ThreadwiseTensorSliceTransfer_v2ISD_SD_RKS3R_KS1X_NS5_IJLi8ELi1ELi1ELi32EEEENS5_IJLi1ELi2ELi0ELi3EEEELi3ELi32ELi0ELb1ELb0ELb0EEENS3F_ILS3G_1EKSD_lLb1ELS3I_0EiEENSF_IJNS_12StaticBufferILS3G_4ESD_Li256ELb1EEES42_EEES3N_NS_25StaticBufferTupleOfVectorILS3G_4EfLi64ELi4ELb1ELb0EEEEEvRKT1_RKT2_RT3_RKT4_RT5_RKT6_RKT7_RT8_RKT9_RT10_RKT11_RT12_iENKUlT_E1_clISN_EEDaS51_EUlS51_E_EEvS51_EUlS51_E_EEvS51_@rel32@lo+4
	s_addc_u32 s5, s5, _ZNK2ck6detail7applierIiJLi0ELi1ELi2ELi3ELi4ELi5ELi6ELi7EEEclIZNKS_11static_fordINS_8SequenceIJLi1ELi8EEEENS5_IJLi0ELi1EEEEEclIZZNKS_52BlockwiseGemmXdlops_pipeline_bpreshuffle_bdequant_v3ILNS_26BlockGemmPipelineSchedulerE0ELi256ENS_9f8_fnuz_tENS_7pk_i4_tESC_fNS_16TensorDescriptorINS_5TupleIJNS_5EmbedINSF_IJNS_17integral_constantIiLi8EEENSH_IiLi256EEENSH_IiLi16EEEEEENSF_IJSK_NSH_IiLi128EEENSH_IiLi1EEEEEELb0EEENS_3XorINSF_IJSJ_SI_EEELb1EEENS_11PassThroughISK_EENS_7UnMergeINSF_IJSI_SN_EEELb0EEENST_ISJ_EESU_NST_ISI_EENS_21Merge_v3_division_modINSF_IJSJ_SN_EEEEESU_EEENSF_IJNS5_IJLi0EEEENS5_IJLi2ELi1EEEENS5_IJLi3EEEENS5_IJLi5EEEENS5_IJLi4EEEENS5_IJLi6EEEENS5_IJLi7EEEENS5_IJLi9ELi8EEEENS5_IJLi10EEEEEEENSF_IJNS5_IJLi1ELi2ELi3EEEENS5_IJLi4ELi5EEEES19_NS5_IJLi7ELi8EEEENS5_IJLi9EEEES1C_NS5_IJLi11EEEENS5_IJLi12EEEENS5_IJLi13EEEEEEENS5_IJLi11ELi12ELi13EEEENSH_IlLl32768EEEEENSE_INSF_IJNSV_INSF_IJSI_SN_SN_NSH_IiLi32EEEEEELb0EEEEEENSF_IJS14_EEENSF_IJNS5_IJLi1ELi2ELi3ELi4EEEEEEES1U_NSH_IlLl256EEEEENSE_INSF_IJSP_SS_SU_SX_SY_SU_SZ_S12_SU_NS10_INSF_IJSI_SK_EEEEENSV_INSF_IJSI_NSH_IiLi2EEESK_EEELb0EEEEEENSF_IJS14_S15_S16_S17_S18_S19_S1A_S1B_S1C_NS5_IJLi11ELi13EEEES1J_EEENSF_IJS1E_S1F_S19_S1G_S1H_S1C_S1I_S1J_S1K_NS5_IJLi14EEEENS5_IJLi15ELi16ELi17EEEEEEENS5_IJLi15ELi16ELi17ELi14EEEES1N_EENSE_INSF_IJS1R_NS10_ISW_EES22_EEENSF_IJS14_NS5_IJLi1ELi3EEEENS5_IJLi2EEEEEEENSF_IJS1U_S17_NS5_IJLi6ELi7ELi8EEEEEEENS5_IJLi6ELi7ELi8ELi5EEEES1W_EELi16ELi32ELi256ELi256ELi128ELi16ELi16ELi8ELi8ELi32ELb0EE3RunILb1ELNS_10TailNumberE1ENSE_INSF_IJNSG_INSF_IJiiEEENSF_IJiSN_EEELb0EEENSV_IS2N_Lb0EEENST_IiEEEEENSF_IJS14_S2E_NS5_IJLi1EEEEEEENSF_IJNS5_IJLi1ELi2EEEENS5_IJLi3ELi4EEEES17_EEENS5_IJLi3ELi5ELi4EEEElEES1O_NS_35ThreadGroupTensorSliceTransfer_v4r1INS_15ThisThreadBlockILi256EEENS_16tensor_operation12element_wise11PassThroughES35_LNS_25InMemoryDataOperationEnumE0ENS5_IJLi8ELi256ELi16EEEENS5_IJLi8ELi32ELi1EEEENS5_IJLi1ELi0ELi2EEEESC_SC_RKS2Z_KS1O_S39_NS5_IJLi0ELi1ELi2EEEELi2ELi2ELi16ELi16ELi1ELi1ELb0ELb1ELi2EiEENS_13DynamicBufferILNS_16AddressSpaceEnumE1EKSC_lLb1ELNS_22AmdBufferCoherenceEnumE0EiEENSF_IJNS3F_ILS3G_2ESC_S1N_Lb1ELS3I_0EiEES3K_EEENSF_IJiiiEEENSE_INSF_IJNSG_INSF_IJiiiiEEENSF_IJiiiSN_EEELb0EEEEEES1T_S1V_S1U_lEENS_32ThreadwiseTensorSliceTransfer_v2ISD_SD_RKS3R_KS1X_NS5_IJLi8ELi1ELi1ELi32EEEENS5_IJLi1ELi2ELi0ELi3EEEELi3ELi32ELi0ELb1ELb0ELb0EEENS3F_ILS3G_1EKSD_lLb1ELS3I_0EiEENSF_IJNS_12StaticBufferILS3G_4ESD_Li256ELb1EEES42_EEES3N_NS_25StaticBufferTupleOfVectorILS3G_4EfLi64ELi4ELb1ELb0EEEEEvRKT1_RKT2_RT3_RKT4_RT5_RKT6_RKT7_RT8_RKT9_RT10_RKT11_RT12_iENKUlT_E1_clISN_EEDaS51_EUlS51_E_EEvS51_EUlS51_E_EEvS51_@rel32@hi+12
	s_swappc_b64 s[30:31], s[4:5]
	flat_load_dwordx2 v[12:13], v[30:31] offset:1148
	flat_load_dwordx2 v[14:15], v[30:31] offset:1164
	flat_load_dwordx4 v[0:3], v[30:31] offset:1176
	flat_load_dwordx3 v[8:10], v[30:31] offset:1132
	flat_load_dwordx2 v[16:17], v[28:29] offset:16
	; sched_group_barrier mask(0x00000008) size(16) SyncID(0)
	; sched_group_barrier mask(0x00000100) size(1) SyncID(0)
	;; [unrolled: 1-line block ×4, first 2 shown]
	s_waitcnt vmcnt(0) lgkmcnt(0)
	v_sub_u32_e32 v4, v12, v15
	v_add3_u32 v1, v4, v1, 64
	v_ashrrev_i32_e32 v4, 31, v1
	v_lshrrev_b32_e32 v4, 29, v4
	v_add_u32_e32 v4, v1, v4
	v_and_b32_e32 v4, -8, v4
	v_sub_u32_e32 v5, v13, v14
	v_sub_u32_e32 v6, v1, v10
	;; [unrolled: 1-line block ×3, first 2 shown]
	v_xor_b32_e32 v4, v1, v5
	v_sub_u32_e32 v4, v4, v9
	v_lshlrev_b32_e32 v10, 7, v6
	v_lshlrev_b32_e32 v4, 4, v4
	v_add3_u32 v4, v10, v8, v4
	v_ashrrev_i32_e32 v5, 31, v4
	v_add_co_u32_e32 v4, vcc, v16, v4
	v_addc_co_u32_e32 v5, vcc, v17, v5, vcc
	flat_load_dwordx4 v[4:7], v[4:5]
	v_add_u32_e32 v3, 16, v3
	v_sub_u32_e32 v2, v8, v2
	v_ashrrev_i32_e32 v8, 31, v3
	v_lshrrev_b32_e32 v8, 28, v8
	v_add_u32_e32 v0, v14, v0
	v_add_u32_e32 v8, v3, v8
	v_sub_u32_e32 v0, v13, v0
	v_lshrrev_b32_e32 v11, 4, v8
	v_add_u32_e32 v0, v0, v11
	v_xor_b32_e32 v0, v0, v1
	v_and_b32_e32 v8, -16, v8
	v_sub_u32_e32 v0, v0, v9
	v_add_u32_e32 v2, v2, v10
	v_sub_u32_e32 v3, v3, v8
	v_lshlrev_b32_e32 v0, 4, v0
	v_add3_u32 v0, v2, v3, v0
	v_ashrrev_i32_e32 v1, 31, v0
	v_add_co_u32_e32 v0, vcc, v16, v0
	v_addc_co_u32_e32 v1, vcc, v17, v1, vcc
	s_waitcnt vmcnt(0) lgkmcnt(0)
	buffer_store_dword v4, off, s[0:3], s33 offset:52
	buffer_store_dword v5, off, s[0:3], s33 offset:56
	;; [unrolled: 1-line block ×4, first 2 shown]
	flat_load_dwordx4 v[0:3], v[0:1]
	s_nop 0
	buffer_load_dword v4, off, s[0:3], s33 offset:372
	buffer_load_dword v5, off, s[0:3], s33 offset:376
	;; [unrolled: 1-line block ×4, first 2 shown]
	s_waitcnt vmcnt(0) lgkmcnt(0)
	buffer_store_dword v0, off, s[0:3], s33 offset:68
	buffer_store_dword v1, off, s[0:3], s33 offset:72
	;; [unrolled: 1-line block ×4, first 2 shown]
	;;#ASMSTART
	v_cvt_off_f32_i4 v0, v4
v_cvt_off_f32_i4 v1, v4, src0_sel:BYTE_2
v_cvt_pk_fp8_f32 v3, v0, v1
v_cvt_off_f32_i4 v0, v4, src0_sel:BYTE_1
v_cvt_off_f32_i4 v1, v4, src0_sel:BYTE_3
v_cvt_pk_fp8_f32 v8, v0, v1
v_lshrrev_b32 v2, 4, v4
v_cvt_off_f32_i4 v0, v2
v_cvt_off_f32_i4 v1, v2, src0_sel:BYTE_2
v_cvt_pk_fp8_f32 v3, v0, v1, op_sel:[0, 0, 1]
v_cvt_off_f32_i4 v0, v2, src0_sel:BYTE_1
v_cvt_off_f32_i4 v1, v2, src0_sel:BYTE_3
v_cvt_pk_fp8_f32 v8, v0, v1, op_sel:[0, 0, 1]

	;;#ASMEND
	;;#ASMSTART
	v_cvt_off_f32_i4 v0, v5
v_cvt_off_f32_i4 v1, v5, src0_sel:BYTE_2
v_cvt_pk_fp8_f32 v4, v0, v1
v_cvt_off_f32_i4 v0, v5, src0_sel:BYTE_1
v_cvt_off_f32_i4 v1, v5, src0_sel:BYTE_3
v_cvt_pk_fp8_f32 v9, v0, v1
v_lshrrev_b32 v2, 4, v5
v_cvt_off_f32_i4 v0, v2
v_cvt_off_f32_i4 v1, v2, src0_sel:BYTE_2
v_cvt_pk_fp8_f32 v4, v0, v1, op_sel:[0, 0, 1]
v_cvt_off_f32_i4 v0, v2, src0_sel:BYTE_1
v_cvt_off_f32_i4 v1, v2, src0_sel:BYTE_3
v_cvt_pk_fp8_f32 v9, v0, v1, op_sel:[0, 0, 1]

	;;#ASMEND
	;; [unrolled: 16-line block ×4, first 2 shown]
	buffer_load_dword v0, off, s[0:3], s33 offset:404
	buffer_load_dword v1, off, s[0:3], s33 offset:408
	;; [unrolled: 1-line block ×4, first 2 shown]
	s_nop 0
	buffer_store_dword v3, off, s[0:3], s33 offset:884
	buffer_store_dword v8, off, s[0:3], s33 offset:888
	;; [unrolled: 1-line block ×8, first 2 shown]
	s_waitcnt vmcnt(11)
	;;#ASMSTART
	v_cvt_off_f32_i4 v3, v0
v_cvt_off_f32_i4 v4, v0, src0_sel:BYTE_2
v_cvt_pk_fp8_f32 v6, v3, v4
v_cvt_off_f32_i4 v3, v0, src0_sel:BYTE_1
v_cvt_off_f32_i4 v4, v0, src0_sel:BYTE_3
v_cvt_pk_fp8_f32 v8, v3, v4
v_lshrrev_b32 v5, 4, v0
v_cvt_off_f32_i4 v3, v5
v_cvt_off_f32_i4 v4, v5, src0_sel:BYTE_2
v_cvt_pk_fp8_f32 v6, v3, v4, op_sel:[0, 0, 1]
v_cvt_off_f32_i4 v3, v5, src0_sel:BYTE_1
v_cvt_off_f32_i4 v4, v5, src0_sel:BYTE_3
v_cvt_pk_fp8_f32 v8, v3, v4, op_sel:[0, 0, 1]

	;;#ASMEND
	s_waitcnt vmcnt(10)
	;;#ASMSTART
	v_cvt_off_f32_i4 v0, v1
v_cvt_off_f32_i4 v3, v1, src0_sel:BYTE_2
v_cvt_pk_fp8_f32 v5, v0, v3
v_cvt_off_f32_i4 v0, v1, src0_sel:BYTE_1
v_cvt_off_f32_i4 v3, v1, src0_sel:BYTE_3
v_cvt_pk_fp8_f32 v9, v0, v3
v_lshrrev_b32 v4, 4, v1
v_cvt_off_f32_i4 v0, v4
v_cvt_off_f32_i4 v3, v4, src0_sel:BYTE_2
v_cvt_pk_fp8_f32 v5, v0, v3, op_sel:[0, 0, 1]
v_cvt_off_f32_i4 v0, v4, src0_sel:BYTE_1
v_cvt_off_f32_i4 v3, v4, src0_sel:BYTE_3
v_cvt_pk_fp8_f32 v9, v0, v3, op_sel:[0, 0, 1]

	;;#ASMEND
	;; [unrolled: 17-line block ×4, first 2 shown]
	buffer_load_dword v0, off, s[0:3], s33 offset:436
	buffer_load_dword v1, off, s[0:3], s33 offset:440
	;; [unrolled: 1-line block ×4, first 2 shown]
	s_nop 0
	buffer_store_dword v6, off, s[0:3], s33 offset:916
	buffer_store_dword v8, off, s[0:3], s33 offset:920
	;; [unrolled: 1-line block ×8, first 2 shown]
	s_waitcnt vmcnt(11)
	;;#ASMSTART
	v_cvt_off_f32_i4 v3, v0
v_cvt_off_f32_i4 v4, v0, src0_sel:BYTE_2
v_cvt_pk_fp8_f32 v6, v3, v4
v_cvt_off_f32_i4 v3, v0, src0_sel:BYTE_1
v_cvt_off_f32_i4 v4, v0, src0_sel:BYTE_3
v_cvt_pk_fp8_f32 v8, v3, v4
v_lshrrev_b32 v5, 4, v0
v_cvt_off_f32_i4 v3, v5
v_cvt_off_f32_i4 v4, v5, src0_sel:BYTE_2
v_cvt_pk_fp8_f32 v6, v3, v4, op_sel:[0, 0, 1]
v_cvt_off_f32_i4 v3, v5, src0_sel:BYTE_1
v_cvt_off_f32_i4 v4, v5, src0_sel:BYTE_3
v_cvt_pk_fp8_f32 v8, v3, v4, op_sel:[0, 0, 1]

	;;#ASMEND
	s_waitcnt vmcnt(10)
	;;#ASMSTART
	v_cvt_off_f32_i4 v0, v1
v_cvt_off_f32_i4 v3, v1, src0_sel:BYTE_2
v_cvt_pk_fp8_f32 v5, v0, v3
v_cvt_off_f32_i4 v0, v1, src0_sel:BYTE_1
v_cvt_off_f32_i4 v3, v1, src0_sel:BYTE_3
v_cvt_pk_fp8_f32 v9, v0, v3
v_lshrrev_b32 v4, 4, v1
v_cvt_off_f32_i4 v0, v4
v_cvt_off_f32_i4 v3, v4, src0_sel:BYTE_2
v_cvt_pk_fp8_f32 v5, v0, v3, op_sel:[0, 0, 1]
v_cvt_off_f32_i4 v0, v4, src0_sel:BYTE_1
v_cvt_off_f32_i4 v3, v4, src0_sel:BYTE_3
v_cvt_pk_fp8_f32 v9, v0, v3, op_sel:[0, 0, 1]

	;;#ASMEND
	;; [unrolled: 17-line block ×4, first 2 shown]
	buffer_load_dword v0, off, s[0:3], s33 offset:468
	buffer_load_dword v1, off, s[0:3], s33 offset:472
	;; [unrolled: 1-line block ×4, first 2 shown]
	s_nop 0
	buffer_store_dword v6, off, s[0:3], s33 offset:948
	buffer_store_dword v8, off, s[0:3], s33 offset:952
	;; [unrolled: 1-line block ×8, first 2 shown]
	s_waitcnt vmcnt(11)
	;;#ASMSTART
	v_cvt_off_f32_i4 v3, v0
v_cvt_off_f32_i4 v4, v0, src0_sel:BYTE_2
v_cvt_pk_fp8_f32 v6, v3, v4
v_cvt_off_f32_i4 v3, v0, src0_sel:BYTE_1
v_cvt_off_f32_i4 v4, v0, src0_sel:BYTE_3
v_cvt_pk_fp8_f32 v8, v3, v4
v_lshrrev_b32 v5, 4, v0
v_cvt_off_f32_i4 v3, v5
v_cvt_off_f32_i4 v4, v5, src0_sel:BYTE_2
v_cvt_pk_fp8_f32 v6, v3, v4, op_sel:[0, 0, 1]
v_cvt_off_f32_i4 v3, v5, src0_sel:BYTE_1
v_cvt_off_f32_i4 v4, v5, src0_sel:BYTE_3
v_cvt_pk_fp8_f32 v8, v3, v4, op_sel:[0, 0, 1]

	;;#ASMEND
	s_waitcnt vmcnt(10)
	;;#ASMSTART
	v_cvt_off_f32_i4 v0, v1
v_cvt_off_f32_i4 v3, v1, src0_sel:BYTE_2
v_cvt_pk_fp8_f32 v5, v0, v3
v_cvt_off_f32_i4 v0, v1, src0_sel:BYTE_1
v_cvt_off_f32_i4 v3, v1, src0_sel:BYTE_3
v_cvt_pk_fp8_f32 v9, v0, v3
v_lshrrev_b32 v4, 4, v1
v_cvt_off_f32_i4 v0, v4
v_cvt_off_f32_i4 v3, v4, src0_sel:BYTE_2
v_cvt_pk_fp8_f32 v5, v0, v3, op_sel:[0, 0, 1]
v_cvt_off_f32_i4 v0, v4, src0_sel:BYTE_1
v_cvt_off_f32_i4 v3, v4, src0_sel:BYTE_3
v_cvt_pk_fp8_f32 v9, v0, v3, op_sel:[0, 0, 1]

	;;#ASMEND
	;; [unrolled: 17-line block ×4, first 2 shown]
	buffer_load_dword v0, off, s[0:3], s33 offset:500
	buffer_load_dword v1, off, s[0:3], s33 offset:504
	buffer_load_dword v2, off, s[0:3], s33 offset:508
	buffer_load_dword v7, off, s[0:3], s33 offset:512
	s_nop 0
	buffer_store_dword v6, off, s[0:3], s33 offset:980
	buffer_store_dword v8, off, s[0:3], s33 offset:984
	;; [unrolled: 1-line block ×8, first 2 shown]
	s_waitcnt vmcnt(11)
	;;#ASMSTART
	v_cvt_off_f32_i4 v3, v0
v_cvt_off_f32_i4 v4, v0, src0_sel:BYTE_2
v_cvt_pk_fp8_f32 v6, v3, v4
v_cvt_off_f32_i4 v3, v0, src0_sel:BYTE_1
v_cvt_off_f32_i4 v4, v0, src0_sel:BYTE_3
v_cvt_pk_fp8_f32 v8, v3, v4
v_lshrrev_b32 v5, 4, v0
v_cvt_off_f32_i4 v3, v5
v_cvt_off_f32_i4 v4, v5, src0_sel:BYTE_2
v_cvt_pk_fp8_f32 v6, v3, v4, op_sel:[0, 0, 1]
v_cvt_off_f32_i4 v3, v5, src0_sel:BYTE_1
v_cvt_off_f32_i4 v4, v5, src0_sel:BYTE_3
v_cvt_pk_fp8_f32 v8, v3, v4, op_sel:[0, 0, 1]

	;;#ASMEND
	s_waitcnt vmcnt(10)
	;;#ASMSTART
	v_cvt_off_f32_i4 v0, v1
v_cvt_off_f32_i4 v3, v1, src0_sel:BYTE_2
v_cvt_pk_fp8_f32 v5, v0, v3
v_cvt_off_f32_i4 v0, v1, src0_sel:BYTE_1
v_cvt_off_f32_i4 v3, v1, src0_sel:BYTE_3
v_cvt_pk_fp8_f32 v9, v0, v3
v_lshrrev_b32 v4, 4, v1
v_cvt_off_f32_i4 v0, v4
v_cvt_off_f32_i4 v3, v4, src0_sel:BYTE_2
v_cvt_pk_fp8_f32 v5, v0, v3, op_sel:[0, 0, 1]
v_cvt_off_f32_i4 v0, v4, src0_sel:BYTE_1
v_cvt_off_f32_i4 v3, v4, src0_sel:BYTE_3
v_cvt_pk_fp8_f32 v9, v0, v3, op_sel:[0, 0, 1]

	;;#ASMEND
	;; [unrolled: 17-line block ×4, first 2 shown]
	buffer_load_dword v0, off, s[0:3], s33 offset:532
	buffer_load_dword v1, off, s[0:3], s33 offset:536
	;; [unrolled: 1-line block ×4, first 2 shown]
	s_nop 0
	buffer_store_dword v6, off, s[0:3], s33 offset:1012
	buffer_store_dword v8, off, s[0:3], s33 offset:1016
	;; [unrolled: 1-line block ×8, first 2 shown]
	s_waitcnt vmcnt(11)
	;;#ASMSTART
	v_cvt_off_f32_i4 v3, v0
v_cvt_off_f32_i4 v4, v0, src0_sel:BYTE_2
v_cvt_pk_fp8_f32 v6, v3, v4
v_cvt_off_f32_i4 v3, v0, src0_sel:BYTE_1
v_cvt_off_f32_i4 v4, v0, src0_sel:BYTE_3
v_cvt_pk_fp8_f32 v8, v3, v4
v_lshrrev_b32 v5, 4, v0
v_cvt_off_f32_i4 v3, v5
v_cvt_off_f32_i4 v4, v5, src0_sel:BYTE_2
v_cvt_pk_fp8_f32 v6, v3, v4, op_sel:[0, 0, 1]
v_cvt_off_f32_i4 v3, v5, src0_sel:BYTE_1
v_cvt_off_f32_i4 v4, v5, src0_sel:BYTE_3
v_cvt_pk_fp8_f32 v8, v3, v4, op_sel:[0, 0, 1]

	;;#ASMEND
	s_waitcnt vmcnt(10)
	;;#ASMSTART
	v_cvt_off_f32_i4 v0, v1
v_cvt_off_f32_i4 v3, v1, src0_sel:BYTE_2
v_cvt_pk_fp8_f32 v5, v0, v3
v_cvt_off_f32_i4 v0, v1, src0_sel:BYTE_1
v_cvt_off_f32_i4 v3, v1, src0_sel:BYTE_3
v_cvt_pk_fp8_f32 v9, v0, v3
v_lshrrev_b32 v4, 4, v1
v_cvt_off_f32_i4 v0, v4
v_cvt_off_f32_i4 v3, v4, src0_sel:BYTE_2
v_cvt_pk_fp8_f32 v5, v0, v3, op_sel:[0, 0, 1]
v_cvt_off_f32_i4 v0, v4, src0_sel:BYTE_1
v_cvt_off_f32_i4 v3, v4, src0_sel:BYTE_3
v_cvt_pk_fp8_f32 v9, v0, v3, op_sel:[0, 0, 1]

	;;#ASMEND
	;; [unrolled: 17-line block ×4, first 2 shown]
	buffer_load_dword v0, off, s[0:3], s33 offset:564
	buffer_load_dword v1, off, s[0:3], s33 offset:568
	;; [unrolled: 1-line block ×4, first 2 shown]
	s_nop 0
	buffer_store_dword v6, off, s[0:3], s33 offset:1044
	buffer_store_dword v8, off, s[0:3], s33 offset:1048
	;; [unrolled: 1-line block ×8, first 2 shown]
	s_waitcnt vmcnt(11)
	;;#ASMSTART
	v_cvt_off_f32_i4 v3, v0
v_cvt_off_f32_i4 v4, v0, src0_sel:BYTE_2
v_cvt_pk_fp8_f32 v6, v3, v4
v_cvt_off_f32_i4 v3, v0, src0_sel:BYTE_1
v_cvt_off_f32_i4 v4, v0, src0_sel:BYTE_3
v_cvt_pk_fp8_f32 v8, v3, v4
v_lshrrev_b32 v5, 4, v0
v_cvt_off_f32_i4 v3, v5
v_cvt_off_f32_i4 v4, v5, src0_sel:BYTE_2
v_cvt_pk_fp8_f32 v6, v3, v4, op_sel:[0, 0, 1]
v_cvt_off_f32_i4 v3, v5, src0_sel:BYTE_1
v_cvt_off_f32_i4 v4, v5, src0_sel:BYTE_3
v_cvt_pk_fp8_f32 v8, v3, v4, op_sel:[0, 0, 1]

	;;#ASMEND
	s_waitcnt vmcnt(10)
	;;#ASMSTART
	v_cvt_off_f32_i4 v0, v1
v_cvt_off_f32_i4 v3, v1, src0_sel:BYTE_2
v_cvt_pk_fp8_f32 v5, v0, v3
v_cvt_off_f32_i4 v0, v1, src0_sel:BYTE_1
v_cvt_off_f32_i4 v3, v1, src0_sel:BYTE_3
v_cvt_pk_fp8_f32 v9, v0, v3
v_lshrrev_b32 v4, 4, v1
v_cvt_off_f32_i4 v0, v4
v_cvt_off_f32_i4 v3, v4, src0_sel:BYTE_2
v_cvt_pk_fp8_f32 v5, v0, v3, op_sel:[0, 0, 1]
v_cvt_off_f32_i4 v0, v4, src0_sel:BYTE_1
v_cvt_off_f32_i4 v3, v4, src0_sel:BYTE_3
v_cvt_pk_fp8_f32 v9, v0, v3, op_sel:[0, 0, 1]

	;;#ASMEND
	s_waitcnt vmcnt(9)
	;;#ASMSTART
	v_cvt_off_f32_i4 v0, v2
v_cvt_off_f32_i4 v1, v2, src0_sel:BYTE_2
v_cvt_pk_fp8_f32 v4, v0, v1
v_cvt_off_f32_i4 v0, v2, src0_sel:BYTE_1
v_cvt_off_f32_i4 v1, v2, src0_sel:BYTE_3
v_cvt_pk_fp8_f32 v10, v0, v1
v_lshrrev_b32 v3, 4, v2
v_cvt_off_f32_i4 v0, v3
v_cvt_off_f32_i4 v1, v3, src0_sel:BYTE_2
v_cvt_pk_fp8_f32 v4, v0, v1, op_sel:[0, 0, 1]
v_cvt_off_f32_i4 v0, v3, src0_sel:BYTE_1
v_cvt_off_f32_i4 v1, v3, src0_sel:BYTE_3
v_cvt_pk_fp8_f32 v10, v0, v1, op_sel:[0, 0, 1]

	;;#ASMEND
	s_waitcnt vmcnt(8)
	;;#ASMSTART
	v_cvt_off_f32_i4 v0, v7
v_cvt_off_f32_i4 v1, v7, src0_sel:BYTE_2
v_cvt_pk_fp8_f32 v3, v0, v1
v_cvt_off_f32_i4 v0, v7, src0_sel:BYTE_1
v_cvt_off_f32_i4 v1, v7, src0_sel:BYTE_3
v_cvt_pk_fp8_f32 v11, v0, v1
v_lshrrev_b32 v2, 4, v7
v_cvt_off_f32_i4 v0, v2
v_cvt_off_f32_i4 v1, v2, src0_sel:BYTE_2
v_cvt_pk_fp8_f32 v3, v0, v1, op_sel:[0, 0, 1]
v_cvt_off_f32_i4 v0, v2, src0_sel:BYTE_1
v_cvt_off_f32_i4 v1, v2, src0_sel:BYTE_3
v_cvt_pk_fp8_f32 v11, v0, v1, op_sel:[0, 0, 1]

	;;#ASMEND
	buffer_load_dword v0, off, s[0:3], s33 offset:596
	buffer_load_dword v1, off, s[0:3], s33 offset:600
	;; [unrolled: 1-line block ×4, first 2 shown]
	s_nop 0
	buffer_store_dword v6, off, s[0:3], s33 offset:1076
	buffer_store_dword v8, off, s[0:3], s33 offset:1080
	;; [unrolled: 1-line block ×8, first 2 shown]
	s_waitcnt vmcnt(11)
	;;#ASMSTART
	v_cvt_off_f32_i4 v3, v0
v_cvt_off_f32_i4 v4, v0, src0_sel:BYTE_2
v_cvt_pk_fp8_f32 v6, v3, v4
v_cvt_off_f32_i4 v3, v0, src0_sel:BYTE_1
v_cvt_off_f32_i4 v4, v0, src0_sel:BYTE_3
v_cvt_pk_fp8_f32 v8, v3, v4
v_lshrrev_b32 v5, 4, v0
v_cvt_off_f32_i4 v3, v5
v_cvt_off_f32_i4 v4, v5, src0_sel:BYTE_2
v_cvt_pk_fp8_f32 v6, v3, v4, op_sel:[0, 0, 1]
v_cvt_off_f32_i4 v3, v5, src0_sel:BYTE_1
v_cvt_off_f32_i4 v4, v5, src0_sel:BYTE_3
v_cvt_pk_fp8_f32 v8, v3, v4, op_sel:[0, 0, 1]

	;;#ASMEND
	s_waitcnt vmcnt(10)
	;;#ASMSTART
	v_cvt_off_f32_i4 v0, v1
v_cvt_off_f32_i4 v3, v1, src0_sel:BYTE_2
v_cvt_pk_fp8_f32 v5, v0, v3
v_cvt_off_f32_i4 v0, v1, src0_sel:BYTE_1
v_cvt_off_f32_i4 v3, v1, src0_sel:BYTE_3
v_cvt_pk_fp8_f32 v9, v0, v3
v_lshrrev_b32 v4, 4, v1
v_cvt_off_f32_i4 v0, v4
v_cvt_off_f32_i4 v3, v4, src0_sel:BYTE_2
v_cvt_pk_fp8_f32 v5, v0, v3, op_sel:[0, 0, 1]
v_cvt_off_f32_i4 v0, v4, src0_sel:BYTE_1
v_cvt_off_f32_i4 v3, v4, src0_sel:BYTE_3
v_cvt_pk_fp8_f32 v9, v0, v3, op_sel:[0, 0, 1]

	;;#ASMEND
	;; [unrolled: 17-line block ×4, first 2 shown]
	buffer_store_dword v6, off, s[0:3], s33 offset:1108
	buffer_store_dword v8, off, s[0:3], s33 offset:1112
	;; [unrolled: 1-line block ×8, first 2 shown]
	; sched_barrier mask(0x00000000)
	v_lshrrev_b32_e64 v0, 6, s33
	v_add_u32_e32 v0, 8, v0
	v_mov_b32_e32 v1, s17
	buffer_store_dword v36, off, s[0:3], s33 offset:12
	buffer_store_dword v37, off, s[0:3], s33 offset:8
	;; [unrolled: 1-line block ×8, first 2 shown]
	s_getpc_b64 s[4:5]
	s_add_u32 s4, s4, _ZNK2ck6detail7applierIiJLi0ELi1ELi2ELi3ELi4ELi5ELi6ELi7EEEclIZNKS_11static_fordINS_8SequenceIJLi1ELi8EEEENS5_IJLi0ELi1EEEEEclIZZNKS_52BlockwiseGemmXdlops_pipeline_bpreshuffle_bdequant_v3ILNS_26BlockGemmPipelineSchedulerE0ELi256ENS_9f8_fnuz_tENS_7pk_i4_tESC_fNS_16TensorDescriptorINS_5TupleIJNS_5EmbedINSF_IJNS_17integral_constantIiLi8EEENSH_IiLi256EEENSH_IiLi16EEEEEENSF_IJSK_NSH_IiLi128EEENSH_IiLi1EEEEEELb0EEENS_3XorINSF_IJSJ_SI_EEELb1EEENS_11PassThroughISK_EENS_7UnMergeINSF_IJSI_SN_EEELb0EEENST_ISJ_EESU_NST_ISI_EENS_21Merge_v3_division_modINSF_IJSJ_SN_EEEEESU_EEENSF_IJNS5_IJLi0EEEENS5_IJLi2ELi1EEEENS5_IJLi3EEEENS5_IJLi5EEEENS5_IJLi4EEEENS5_IJLi6EEEENS5_IJLi7EEEENS5_IJLi9ELi8EEEENS5_IJLi10EEEEEEENSF_IJNS5_IJLi1ELi2ELi3EEEENS5_IJLi4ELi5EEEES19_NS5_IJLi7ELi8EEEENS5_IJLi9EEEES1C_NS5_IJLi11EEEENS5_IJLi12EEEENS5_IJLi13EEEEEEENS5_IJLi11ELi12ELi13EEEENSH_IlLl32768EEEEENSE_INSF_IJNSV_INSF_IJSI_SN_SN_NSH_IiLi32EEEEEELb0EEEEEENSF_IJS14_EEENSF_IJNS5_IJLi1ELi2ELi3ELi4EEEEEEES1U_NSH_IlLl256EEEEENSE_INSF_IJSP_SS_SU_SX_SY_SU_SZ_S12_SU_NS10_INSF_IJSI_SK_EEEEENSV_INSF_IJSI_NSH_IiLi2EEESK_EEELb0EEEEEENSF_IJS14_S15_S16_S17_S18_S19_S1A_S1B_S1C_NS5_IJLi11ELi13EEEES1J_EEENSF_IJS1E_S1F_S19_S1G_S1H_S1C_S1I_S1J_S1K_NS5_IJLi14EEEENS5_IJLi15ELi16ELi17EEEEEEENS5_IJLi15ELi16ELi17ELi14EEEES1N_EENSE_INSF_IJS1R_NS10_ISW_EES22_EEENSF_IJS14_NS5_IJLi1ELi3EEEENS5_IJLi2EEEEEEENSF_IJS1U_S17_NS5_IJLi6ELi7ELi8EEEEEEENS5_IJLi6ELi7ELi8ELi5EEEES1W_EELi16ELi32ELi256ELi256ELi128ELi16ELi16ELi8ELi8ELi32ELb0EE3RunILb1ELNS_10TailNumberE1ENSE_INSF_IJNSG_INSF_IJiiEEENSF_IJiSN_EEELb0EEENSV_IS2N_Lb0EEENST_IiEEEEENSF_IJS14_S2E_NS5_IJLi1EEEEEEENSF_IJNS5_IJLi1ELi2EEEENS5_IJLi3ELi4EEEES17_EEENS5_IJLi3ELi5ELi4EEEElEES1O_NS_35ThreadGroupTensorSliceTransfer_v4r1INS_15ThisThreadBlockILi256EEENS_16tensor_operation12element_wise11PassThroughES35_LNS_25InMemoryDataOperationEnumE0ENS5_IJLi8ELi256ELi16EEEENS5_IJLi8ELi32ELi1EEEENS5_IJLi1ELi0ELi2EEEESC_SC_RKS2Z_KS1O_S39_NS5_IJLi0ELi1ELi2EEEELi2ELi2ELi16ELi16ELi1ELi1ELb0ELb1ELi2EiEENS_13DynamicBufferILNS_16AddressSpaceEnumE1EKSC_lLb1ELNS_22AmdBufferCoherenceEnumE0EiEENSF_IJNS3F_ILS3G_2ESC_S1N_Lb1ELS3I_0EiEES3K_EEENSF_IJiiiEEENSE_INSF_IJNSG_INSF_IJiiiiEEENSF_IJiiiSN_EEELb0EEEEEES1T_S1V_S1U_lEENS_32ThreadwiseTensorSliceTransfer_v2ISD_SD_RKS3R_KS1X_NS5_IJLi8ELi1ELi1ELi32EEEENS5_IJLi1ELi2ELi0ELi3EEEELi3ELi32ELi0ELb1ELb0ELb0EEENS3F_ILS3G_1EKSD_lLb1ELS3I_0EiEENSF_IJNS_12StaticBufferILS3G_4ESD_Li256ELb1EEES42_EEES3N_NS_25StaticBufferTupleOfVectorILS3G_4EfLi64ELi4ELb1ELb0EEEEEvRKT1_RKT2_RT3_RKT4_RT5_RKT6_RKT7_RT8_RKT9_RT10_RKT11_RT12_iENKUlT_E1_clIS20_EEDaS51_EUlS51_E_EEvS51_EUlS51_E_EEvS51_@rel32@lo+4
	s_addc_u32 s5, s5, _ZNK2ck6detail7applierIiJLi0ELi1ELi2ELi3ELi4ELi5ELi6ELi7EEEclIZNKS_11static_fordINS_8SequenceIJLi1ELi8EEEENS5_IJLi0ELi1EEEEEclIZZNKS_52BlockwiseGemmXdlops_pipeline_bpreshuffle_bdequant_v3ILNS_26BlockGemmPipelineSchedulerE0ELi256ENS_9f8_fnuz_tENS_7pk_i4_tESC_fNS_16TensorDescriptorINS_5TupleIJNS_5EmbedINSF_IJNS_17integral_constantIiLi8EEENSH_IiLi256EEENSH_IiLi16EEEEEENSF_IJSK_NSH_IiLi128EEENSH_IiLi1EEEEEELb0EEENS_3XorINSF_IJSJ_SI_EEELb1EEENS_11PassThroughISK_EENS_7UnMergeINSF_IJSI_SN_EEELb0EEENST_ISJ_EESU_NST_ISI_EENS_21Merge_v3_division_modINSF_IJSJ_SN_EEEEESU_EEENSF_IJNS5_IJLi0EEEENS5_IJLi2ELi1EEEENS5_IJLi3EEEENS5_IJLi5EEEENS5_IJLi4EEEENS5_IJLi6EEEENS5_IJLi7EEEENS5_IJLi9ELi8EEEENS5_IJLi10EEEEEEENSF_IJNS5_IJLi1ELi2ELi3EEEENS5_IJLi4ELi5EEEES19_NS5_IJLi7ELi8EEEENS5_IJLi9EEEES1C_NS5_IJLi11EEEENS5_IJLi12EEEENS5_IJLi13EEEEEEENS5_IJLi11ELi12ELi13EEEENSH_IlLl32768EEEEENSE_INSF_IJNSV_INSF_IJSI_SN_SN_NSH_IiLi32EEEEEELb0EEEEEENSF_IJS14_EEENSF_IJNS5_IJLi1ELi2ELi3ELi4EEEEEEES1U_NSH_IlLl256EEEEENSE_INSF_IJSP_SS_SU_SX_SY_SU_SZ_S12_SU_NS10_INSF_IJSI_SK_EEEEENSV_INSF_IJSI_NSH_IiLi2EEESK_EEELb0EEEEEENSF_IJS14_S15_S16_S17_S18_S19_S1A_S1B_S1C_NS5_IJLi11ELi13EEEES1J_EEENSF_IJS1E_S1F_S19_S1G_S1H_S1C_S1I_S1J_S1K_NS5_IJLi14EEEENS5_IJLi15ELi16ELi17EEEEEEENS5_IJLi15ELi16ELi17ELi14EEEES1N_EENSE_INSF_IJS1R_NS10_ISW_EES22_EEENSF_IJS14_NS5_IJLi1ELi3EEEENS5_IJLi2EEEEEEENSF_IJS1U_S17_NS5_IJLi6ELi7ELi8EEEEEEENS5_IJLi6ELi7ELi8ELi5EEEES1W_EELi16ELi32ELi256ELi256ELi128ELi16ELi16ELi8ELi8ELi32ELb0EE3RunILb1ELNS_10TailNumberE1ENSE_INSF_IJNSG_INSF_IJiiEEENSF_IJiSN_EEELb0EEENSV_IS2N_Lb0EEENST_IiEEEEENSF_IJS14_S2E_NS5_IJLi1EEEEEEENSF_IJNS5_IJLi1ELi2EEEENS5_IJLi3ELi4EEEES17_EEENS5_IJLi3ELi5ELi4EEEElEES1O_NS_35ThreadGroupTensorSliceTransfer_v4r1INS_15ThisThreadBlockILi256EEENS_16tensor_operation12element_wise11PassThroughES35_LNS_25InMemoryDataOperationEnumE0ENS5_IJLi8ELi256ELi16EEEENS5_IJLi8ELi32ELi1EEEENS5_IJLi1ELi0ELi2EEEESC_SC_RKS2Z_KS1O_S39_NS5_IJLi0ELi1ELi2EEEELi2ELi2ELi16ELi16ELi1ELi1ELb0ELb1ELi2EiEENS_13DynamicBufferILNS_16AddressSpaceEnumE1EKSC_lLb1ELNS_22AmdBufferCoherenceEnumE0EiEENSF_IJNS3F_ILS3G_2ESC_S1N_Lb1ELS3I_0EiEES3K_EEENSF_IJiiiEEENSE_INSF_IJNSG_INSF_IJiiiiEEENSF_IJiiiSN_EEELb0EEEEEES1T_S1V_S1U_lEENS_32ThreadwiseTensorSliceTransfer_v2ISD_SD_RKS3R_KS1X_NS5_IJLi8ELi1ELi1ELi32EEEENS5_IJLi1ELi2ELi0ELi3EEEELi3ELi32ELi0ELb1ELb0ELb0EEENS3F_ILS3G_1EKSD_lLb1ELS3I_0EiEENSF_IJNS_12StaticBufferILS3G_4ESD_Li256ELb1EEES42_EEES3N_NS_25StaticBufferTupleOfVectorILS3G_4EfLi64ELi4ELb1ELb0EEEEEvRKT1_RKT2_RT3_RKT4_RT5_RKT6_RKT7_RT8_RKT9_RT10_RKT11_RT12_iENKUlT_E1_clIS20_EEDaS51_EUlS51_E_EEvS51_EUlS51_E_EEvS51_@rel32@hi+12
	s_swappc_b64 s[30:31], s[4:5]
	flat_load_dwordx2 v[12:13], v[30:31] offset:1148
	flat_load_dwordx2 v[14:15], v[30:31] offset:1164
	flat_load_dwordx4 v[0:3], v[30:31] offset:1176
	flat_load_dwordx3 v[8:10], v[30:31] offset:1132
	flat_load_dwordx2 v[16:17], v[28:29] offset:16
	; sched_group_barrier mask(0x00000008) size(16) SyncID(0)
	; sched_group_barrier mask(0x00000100) size(1) SyncID(0)
	; sched_group_barrier mask(0x00000008) size(16) SyncID(0)
	; sched_group_barrier mask(0x00000100) size(1) SyncID(0)
	s_waitcnt vmcnt(0) lgkmcnt(0)
	v_sub_u32_e32 v4, v12, v15
	v_add3_u32 v1, v4, v1, s27
	v_ashrrev_i32_e32 v4, 31, v1
	v_lshrrev_b32_e32 v4, 29, v4
	v_add_u32_e32 v4, v1, v4
	v_and_b32_e32 v4, -8, v4
	v_sub_u32_e32 v5, v13, v14
	v_sub_u32_e32 v6, v1, v10
	;; [unrolled: 1-line block ×3, first 2 shown]
	v_xor_b32_e32 v4, v1, v5
	v_sub_u32_e32 v4, v4, v9
	v_lshlrev_b32_e32 v10, 7, v6
	v_lshlrev_b32_e32 v4, 4, v4
	v_add3_u32 v4, v10, v8, v4
	v_ashrrev_i32_e32 v5, 31, v4
	v_add_co_u32_e32 v4, vcc, v16, v4
	v_addc_co_u32_e32 v5, vcc, v17, v5, vcc
	flat_load_dwordx4 v[4:7], v[4:5]
	v_add_u32_e32 v3, 16, v3
	v_sub_u32_e32 v2, v8, v2
	v_ashrrev_i32_e32 v8, 31, v3
	v_lshrrev_b32_e32 v8, 28, v8
	v_add_u32_e32 v0, v14, v0
	v_add_u32_e32 v8, v3, v8
	v_sub_u32_e32 v0, v13, v0
	v_lshrrev_b32_e32 v11, 4, v8
	v_add_u32_e32 v0, v0, v11
	v_xor_b32_e32 v0, v0, v1
	v_and_b32_e32 v8, -16, v8
	v_sub_u32_e32 v0, v0, v9
	v_add_u32_e32 v2, v2, v10
	v_sub_u32_e32 v3, v3, v8
	v_lshlrev_b32_e32 v0, 4, v0
	v_add3_u32 v0, v2, v3, v0
	v_ashrrev_i32_e32 v1, 31, v0
	v_add_co_u32_e32 v0, vcc, v16, v0
	v_addc_co_u32_e32 v1, vcc, v17, v1, vcc
	s_waitcnt vmcnt(0) lgkmcnt(0)
	buffer_store_dword v4, off, s[0:3], s33 offset:84
	buffer_store_dword v5, off, s[0:3], s33 offset:88
	;; [unrolled: 1-line block ×4, first 2 shown]
	flat_load_dwordx4 v[0:3], v[0:1]
	s_nop 0
	buffer_load_dword v4, off, s[0:3], s33 offset:372
	buffer_load_dword v5, off, s[0:3], s33 offset:376
	;; [unrolled: 1-line block ×4, first 2 shown]
	s_waitcnt vmcnt(0) lgkmcnt(0)
	buffer_store_dword v0, off, s[0:3], s33 offset:100
	buffer_store_dword v1, off, s[0:3], s33 offset:104
	buffer_store_dword v2, off, s[0:3], s33 offset:108
	buffer_store_dword v3, off, s[0:3], s33 offset:112
	;;#ASMSTART
	v_cvt_off_f32_i4 v0, v4
v_cvt_off_f32_i4 v1, v4, src0_sel:BYTE_2
v_cvt_pk_fp8_f32 v3, v0, v1
v_cvt_off_f32_i4 v0, v4, src0_sel:BYTE_1
v_cvt_off_f32_i4 v1, v4, src0_sel:BYTE_3
v_cvt_pk_fp8_f32 v8, v0, v1
v_lshrrev_b32 v2, 4, v4
v_cvt_off_f32_i4 v0, v2
v_cvt_off_f32_i4 v1, v2, src0_sel:BYTE_2
v_cvt_pk_fp8_f32 v3, v0, v1, op_sel:[0, 0, 1]
v_cvt_off_f32_i4 v0, v2, src0_sel:BYTE_1
v_cvt_off_f32_i4 v1, v2, src0_sel:BYTE_3
v_cvt_pk_fp8_f32 v8, v0, v1, op_sel:[0, 0, 1]

	;;#ASMEND
	;;#ASMSTART
	v_cvt_off_f32_i4 v0, v5
v_cvt_off_f32_i4 v1, v5, src0_sel:BYTE_2
v_cvt_pk_fp8_f32 v4, v0, v1
v_cvt_off_f32_i4 v0, v5, src0_sel:BYTE_1
v_cvt_off_f32_i4 v1, v5, src0_sel:BYTE_3
v_cvt_pk_fp8_f32 v9, v0, v1
v_lshrrev_b32 v2, 4, v5
v_cvt_off_f32_i4 v0, v2
v_cvt_off_f32_i4 v1, v2, src0_sel:BYTE_2
v_cvt_pk_fp8_f32 v4, v0, v1, op_sel:[0, 0, 1]
v_cvt_off_f32_i4 v0, v2, src0_sel:BYTE_1
v_cvt_off_f32_i4 v1, v2, src0_sel:BYTE_3
v_cvt_pk_fp8_f32 v9, v0, v1, op_sel:[0, 0, 1]

	;;#ASMEND
	;; [unrolled: 16-line block ×4, first 2 shown]
	buffer_load_dword v0, off, s[0:3], s33 offset:404
	buffer_load_dword v1, off, s[0:3], s33 offset:408
	;; [unrolled: 1-line block ×4, first 2 shown]
	s_nop 0
	buffer_store_dword v3, off, s[0:3], s33 offset:884
	buffer_store_dword v8, off, s[0:3], s33 offset:888
	;; [unrolled: 1-line block ×8, first 2 shown]
	s_waitcnt vmcnt(11)
	;;#ASMSTART
	v_cvt_off_f32_i4 v3, v0
v_cvt_off_f32_i4 v4, v0, src0_sel:BYTE_2
v_cvt_pk_fp8_f32 v6, v3, v4
v_cvt_off_f32_i4 v3, v0, src0_sel:BYTE_1
v_cvt_off_f32_i4 v4, v0, src0_sel:BYTE_3
v_cvt_pk_fp8_f32 v8, v3, v4
v_lshrrev_b32 v5, 4, v0
v_cvt_off_f32_i4 v3, v5
v_cvt_off_f32_i4 v4, v5, src0_sel:BYTE_2
v_cvt_pk_fp8_f32 v6, v3, v4, op_sel:[0, 0, 1]
v_cvt_off_f32_i4 v3, v5, src0_sel:BYTE_1
v_cvt_off_f32_i4 v4, v5, src0_sel:BYTE_3
v_cvt_pk_fp8_f32 v8, v3, v4, op_sel:[0, 0, 1]

	;;#ASMEND
	s_waitcnt vmcnt(10)
	;;#ASMSTART
	v_cvt_off_f32_i4 v0, v1
v_cvt_off_f32_i4 v3, v1, src0_sel:BYTE_2
v_cvt_pk_fp8_f32 v5, v0, v3
v_cvt_off_f32_i4 v0, v1, src0_sel:BYTE_1
v_cvt_off_f32_i4 v3, v1, src0_sel:BYTE_3
v_cvt_pk_fp8_f32 v9, v0, v3
v_lshrrev_b32 v4, 4, v1
v_cvt_off_f32_i4 v0, v4
v_cvt_off_f32_i4 v3, v4, src0_sel:BYTE_2
v_cvt_pk_fp8_f32 v5, v0, v3, op_sel:[0, 0, 1]
v_cvt_off_f32_i4 v0, v4, src0_sel:BYTE_1
v_cvt_off_f32_i4 v3, v4, src0_sel:BYTE_3
v_cvt_pk_fp8_f32 v9, v0, v3, op_sel:[0, 0, 1]

	;;#ASMEND
	;; [unrolled: 17-line block ×4, first 2 shown]
	buffer_load_dword v0, off, s[0:3], s33 offset:436
	buffer_load_dword v1, off, s[0:3], s33 offset:440
	;; [unrolled: 1-line block ×4, first 2 shown]
	s_nop 0
	buffer_store_dword v6, off, s[0:3], s33 offset:916
	buffer_store_dword v8, off, s[0:3], s33 offset:920
	;; [unrolled: 1-line block ×8, first 2 shown]
	s_waitcnt vmcnt(11)
	;;#ASMSTART
	v_cvt_off_f32_i4 v3, v0
v_cvt_off_f32_i4 v4, v0, src0_sel:BYTE_2
v_cvt_pk_fp8_f32 v6, v3, v4
v_cvt_off_f32_i4 v3, v0, src0_sel:BYTE_1
v_cvt_off_f32_i4 v4, v0, src0_sel:BYTE_3
v_cvt_pk_fp8_f32 v8, v3, v4
v_lshrrev_b32 v5, 4, v0
v_cvt_off_f32_i4 v3, v5
v_cvt_off_f32_i4 v4, v5, src0_sel:BYTE_2
v_cvt_pk_fp8_f32 v6, v3, v4, op_sel:[0, 0, 1]
v_cvt_off_f32_i4 v3, v5, src0_sel:BYTE_1
v_cvt_off_f32_i4 v4, v5, src0_sel:BYTE_3
v_cvt_pk_fp8_f32 v8, v3, v4, op_sel:[0, 0, 1]

	;;#ASMEND
	s_waitcnt vmcnt(10)
	;;#ASMSTART
	v_cvt_off_f32_i4 v0, v1
v_cvt_off_f32_i4 v3, v1, src0_sel:BYTE_2
v_cvt_pk_fp8_f32 v5, v0, v3
v_cvt_off_f32_i4 v0, v1, src0_sel:BYTE_1
v_cvt_off_f32_i4 v3, v1, src0_sel:BYTE_3
v_cvt_pk_fp8_f32 v9, v0, v3
v_lshrrev_b32 v4, 4, v1
v_cvt_off_f32_i4 v0, v4
v_cvt_off_f32_i4 v3, v4, src0_sel:BYTE_2
v_cvt_pk_fp8_f32 v5, v0, v3, op_sel:[0, 0, 1]
v_cvt_off_f32_i4 v0, v4, src0_sel:BYTE_1
v_cvt_off_f32_i4 v3, v4, src0_sel:BYTE_3
v_cvt_pk_fp8_f32 v9, v0, v3, op_sel:[0, 0, 1]

	;;#ASMEND
	;; [unrolled: 17-line block ×4, first 2 shown]
	buffer_load_dword v0, off, s[0:3], s33 offset:468
	buffer_load_dword v1, off, s[0:3], s33 offset:472
	;; [unrolled: 1-line block ×4, first 2 shown]
	s_nop 0
	buffer_store_dword v6, off, s[0:3], s33 offset:948
	buffer_store_dword v8, off, s[0:3], s33 offset:952
	;; [unrolled: 1-line block ×8, first 2 shown]
	s_waitcnt vmcnt(11)
	;;#ASMSTART
	v_cvt_off_f32_i4 v3, v0
v_cvt_off_f32_i4 v4, v0, src0_sel:BYTE_2
v_cvt_pk_fp8_f32 v6, v3, v4
v_cvt_off_f32_i4 v3, v0, src0_sel:BYTE_1
v_cvt_off_f32_i4 v4, v0, src0_sel:BYTE_3
v_cvt_pk_fp8_f32 v8, v3, v4
v_lshrrev_b32 v5, 4, v0
v_cvt_off_f32_i4 v3, v5
v_cvt_off_f32_i4 v4, v5, src0_sel:BYTE_2
v_cvt_pk_fp8_f32 v6, v3, v4, op_sel:[0, 0, 1]
v_cvt_off_f32_i4 v3, v5, src0_sel:BYTE_1
v_cvt_off_f32_i4 v4, v5, src0_sel:BYTE_3
v_cvt_pk_fp8_f32 v8, v3, v4, op_sel:[0, 0, 1]

	;;#ASMEND
	s_waitcnt vmcnt(10)
	;;#ASMSTART
	v_cvt_off_f32_i4 v0, v1
v_cvt_off_f32_i4 v3, v1, src0_sel:BYTE_2
v_cvt_pk_fp8_f32 v5, v0, v3
v_cvt_off_f32_i4 v0, v1, src0_sel:BYTE_1
v_cvt_off_f32_i4 v3, v1, src0_sel:BYTE_3
v_cvt_pk_fp8_f32 v9, v0, v3
v_lshrrev_b32 v4, 4, v1
v_cvt_off_f32_i4 v0, v4
v_cvt_off_f32_i4 v3, v4, src0_sel:BYTE_2
v_cvt_pk_fp8_f32 v5, v0, v3, op_sel:[0, 0, 1]
v_cvt_off_f32_i4 v0, v4, src0_sel:BYTE_1
v_cvt_off_f32_i4 v3, v4, src0_sel:BYTE_3
v_cvt_pk_fp8_f32 v9, v0, v3, op_sel:[0, 0, 1]

	;;#ASMEND
	;; [unrolled: 17-line block ×4, first 2 shown]
	buffer_load_dword v0, off, s[0:3], s33 offset:500
	buffer_load_dword v1, off, s[0:3], s33 offset:504
	buffer_load_dword v2, off, s[0:3], s33 offset:508
	buffer_load_dword v7, off, s[0:3], s33 offset:512
	s_nop 0
	buffer_store_dword v6, off, s[0:3], s33 offset:980
	buffer_store_dword v8, off, s[0:3], s33 offset:984
	buffer_store_dword v5, off, s[0:3], s33 offset:988
	buffer_store_dword v9, off, s[0:3], s33 offset:992
	buffer_store_dword v4, off, s[0:3], s33 offset:996
	buffer_store_dword v10, off, s[0:3], s33 offset:1000
	buffer_store_dword v3, off, s[0:3], s33 offset:1004
	buffer_store_dword v11, off, s[0:3], s33 offset:1008
	s_waitcnt vmcnt(11)
	;;#ASMSTART
	v_cvt_off_f32_i4 v3, v0
v_cvt_off_f32_i4 v4, v0, src0_sel:BYTE_2
v_cvt_pk_fp8_f32 v6, v3, v4
v_cvt_off_f32_i4 v3, v0, src0_sel:BYTE_1
v_cvt_off_f32_i4 v4, v0, src0_sel:BYTE_3
v_cvt_pk_fp8_f32 v8, v3, v4
v_lshrrev_b32 v5, 4, v0
v_cvt_off_f32_i4 v3, v5
v_cvt_off_f32_i4 v4, v5, src0_sel:BYTE_2
v_cvt_pk_fp8_f32 v6, v3, v4, op_sel:[0, 0, 1]
v_cvt_off_f32_i4 v3, v5, src0_sel:BYTE_1
v_cvt_off_f32_i4 v4, v5, src0_sel:BYTE_3
v_cvt_pk_fp8_f32 v8, v3, v4, op_sel:[0, 0, 1]

	;;#ASMEND
	s_waitcnt vmcnt(10)
	;;#ASMSTART
	v_cvt_off_f32_i4 v0, v1
v_cvt_off_f32_i4 v3, v1, src0_sel:BYTE_2
v_cvt_pk_fp8_f32 v5, v0, v3
v_cvt_off_f32_i4 v0, v1, src0_sel:BYTE_1
v_cvt_off_f32_i4 v3, v1, src0_sel:BYTE_3
v_cvt_pk_fp8_f32 v9, v0, v3
v_lshrrev_b32 v4, 4, v1
v_cvt_off_f32_i4 v0, v4
v_cvt_off_f32_i4 v3, v4, src0_sel:BYTE_2
v_cvt_pk_fp8_f32 v5, v0, v3, op_sel:[0, 0, 1]
v_cvt_off_f32_i4 v0, v4, src0_sel:BYTE_1
v_cvt_off_f32_i4 v3, v4, src0_sel:BYTE_3
v_cvt_pk_fp8_f32 v9, v0, v3, op_sel:[0, 0, 1]

	;;#ASMEND
	;; [unrolled: 17-line block ×4, first 2 shown]
	buffer_load_dword v0, off, s[0:3], s33 offset:532
	buffer_load_dword v1, off, s[0:3], s33 offset:536
	;; [unrolled: 1-line block ×4, first 2 shown]
	s_nop 0
	buffer_store_dword v6, off, s[0:3], s33 offset:1012
	buffer_store_dword v8, off, s[0:3], s33 offset:1016
	;; [unrolled: 1-line block ×8, first 2 shown]
	s_waitcnt vmcnt(11)
	;;#ASMSTART
	v_cvt_off_f32_i4 v3, v0
v_cvt_off_f32_i4 v4, v0, src0_sel:BYTE_2
v_cvt_pk_fp8_f32 v6, v3, v4
v_cvt_off_f32_i4 v3, v0, src0_sel:BYTE_1
v_cvt_off_f32_i4 v4, v0, src0_sel:BYTE_3
v_cvt_pk_fp8_f32 v8, v3, v4
v_lshrrev_b32 v5, 4, v0
v_cvt_off_f32_i4 v3, v5
v_cvt_off_f32_i4 v4, v5, src0_sel:BYTE_2
v_cvt_pk_fp8_f32 v6, v3, v4, op_sel:[0, 0, 1]
v_cvt_off_f32_i4 v3, v5, src0_sel:BYTE_1
v_cvt_off_f32_i4 v4, v5, src0_sel:BYTE_3
v_cvt_pk_fp8_f32 v8, v3, v4, op_sel:[0, 0, 1]

	;;#ASMEND
	s_waitcnt vmcnt(10)
	;;#ASMSTART
	v_cvt_off_f32_i4 v0, v1
v_cvt_off_f32_i4 v3, v1, src0_sel:BYTE_2
v_cvt_pk_fp8_f32 v5, v0, v3
v_cvt_off_f32_i4 v0, v1, src0_sel:BYTE_1
v_cvt_off_f32_i4 v3, v1, src0_sel:BYTE_3
v_cvt_pk_fp8_f32 v9, v0, v3
v_lshrrev_b32 v4, 4, v1
v_cvt_off_f32_i4 v0, v4
v_cvt_off_f32_i4 v3, v4, src0_sel:BYTE_2
v_cvt_pk_fp8_f32 v5, v0, v3, op_sel:[0, 0, 1]
v_cvt_off_f32_i4 v0, v4, src0_sel:BYTE_1
v_cvt_off_f32_i4 v3, v4, src0_sel:BYTE_3
v_cvt_pk_fp8_f32 v9, v0, v3, op_sel:[0, 0, 1]

	;;#ASMEND
	;; [unrolled: 17-line block ×4, first 2 shown]
	buffer_load_dword v0, off, s[0:3], s33 offset:564
	buffer_load_dword v1, off, s[0:3], s33 offset:568
	buffer_load_dword v2, off, s[0:3], s33 offset:572
	buffer_load_dword v7, off, s[0:3], s33 offset:576
	s_nop 0
	buffer_store_dword v6, off, s[0:3], s33 offset:1044
	buffer_store_dword v8, off, s[0:3], s33 offset:1048
	;; [unrolled: 1-line block ×8, first 2 shown]
	s_waitcnt vmcnt(11)
	;;#ASMSTART
	v_cvt_off_f32_i4 v3, v0
v_cvt_off_f32_i4 v4, v0, src0_sel:BYTE_2
v_cvt_pk_fp8_f32 v6, v3, v4
v_cvt_off_f32_i4 v3, v0, src0_sel:BYTE_1
v_cvt_off_f32_i4 v4, v0, src0_sel:BYTE_3
v_cvt_pk_fp8_f32 v8, v3, v4
v_lshrrev_b32 v5, 4, v0
v_cvt_off_f32_i4 v3, v5
v_cvt_off_f32_i4 v4, v5, src0_sel:BYTE_2
v_cvt_pk_fp8_f32 v6, v3, v4, op_sel:[0, 0, 1]
v_cvt_off_f32_i4 v3, v5, src0_sel:BYTE_1
v_cvt_off_f32_i4 v4, v5, src0_sel:BYTE_3
v_cvt_pk_fp8_f32 v8, v3, v4, op_sel:[0, 0, 1]

	;;#ASMEND
	s_waitcnt vmcnt(10)
	;;#ASMSTART
	v_cvt_off_f32_i4 v0, v1
v_cvt_off_f32_i4 v3, v1, src0_sel:BYTE_2
v_cvt_pk_fp8_f32 v5, v0, v3
v_cvt_off_f32_i4 v0, v1, src0_sel:BYTE_1
v_cvt_off_f32_i4 v3, v1, src0_sel:BYTE_3
v_cvt_pk_fp8_f32 v9, v0, v3
v_lshrrev_b32 v4, 4, v1
v_cvt_off_f32_i4 v0, v4
v_cvt_off_f32_i4 v3, v4, src0_sel:BYTE_2
v_cvt_pk_fp8_f32 v5, v0, v3, op_sel:[0, 0, 1]
v_cvt_off_f32_i4 v0, v4, src0_sel:BYTE_1
v_cvt_off_f32_i4 v3, v4, src0_sel:BYTE_3
v_cvt_pk_fp8_f32 v9, v0, v3, op_sel:[0, 0, 1]

	;;#ASMEND
	s_waitcnt vmcnt(9)
	;;#ASMSTART
	v_cvt_off_f32_i4 v0, v2
v_cvt_off_f32_i4 v1, v2, src0_sel:BYTE_2
v_cvt_pk_fp8_f32 v4, v0, v1
v_cvt_off_f32_i4 v0, v2, src0_sel:BYTE_1
v_cvt_off_f32_i4 v1, v2, src0_sel:BYTE_3
v_cvt_pk_fp8_f32 v10, v0, v1
v_lshrrev_b32 v3, 4, v2
v_cvt_off_f32_i4 v0, v3
v_cvt_off_f32_i4 v1, v3, src0_sel:BYTE_2
v_cvt_pk_fp8_f32 v4, v0, v1, op_sel:[0, 0, 1]
v_cvt_off_f32_i4 v0, v3, src0_sel:BYTE_1
v_cvt_off_f32_i4 v1, v3, src0_sel:BYTE_3
v_cvt_pk_fp8_f32 v10, v0, v1, op_sel:[0, 0, 1]

	;;#ASMEND
	s_waitcnt vmcnt(8)
	;;#ASMSTART
	v_cvt_off_f32_i4 v0, v7
v_cvt_off_f32_i4 v1, v7, src0_sel:BYTE_2
v_cvt_pk_fp8_f32 v3, v0, v1
v_cvt_off_f32_i4 v0, v7, src0_sel:BYTE_1
v_cvt_off_f32_i4 v1, v7, src0_sel:BYTE_3
v_cvt_pk_fp8_f32 v11, v0, v1
v_lshrrev_b32 v2, 4, v7
v_cvt_off_f32_i4 v0, v2
v_cvt_off_f32_i4 v1, v2, src0_sel:BYTE_2
v_cvt_pk_fp8_f32 v3, v0, v1, op_sel:[0, 0, 1]
v_cvt_off_f32_i4 v0, v2, src0_sel:BYTE_1
v_cvt_off_f32_i4 v1, v2, src0_sel:BYTE_3
v_cvt_pk_fp8_f32 v11, v0, v1, op_sel:[0, 0, 1]

	;;#ASMEND
	buffer_load_dword v0, off, s[0:3], s33 offset:596
	buffer_load_dword v1, off, s[0:3], s33 offset:600
	;; [unrolled: 1-line block ×4, first 2 shown]
	s_nop 0
	buffer_store_dword v6, off, s[0:3], s33 offset:1076
	buffer_store_dword v8, off, s[0:3], s33 offset:1080
	;; [unrolled: 1-line block ×8, first 2 shown]
	s_waitcnt vmcnt(11)
	;;#ASMSTART
	v_cvt_off_f32_i4 v3, v0
v_cvt_off_f32_i4 v4, v0, src0_sel:BYTE_2
v_cvt_pk_fp8_f32 v6, v3, v4
v_cvt_off_f32_i4 v3, v0, src0_sel:BYTE_1
v_cvt_off_f32_i4 v4, v0, src0_sel:BYTE_3
v_cvt_pk_fp8_f32 v8, v3, v4
v_lshrrev_b32 v5, 4, v0
v_cvt_off_f32_i4 v3, v5
v_cvt_off_f32_i4 v4, v5, src0_sel:BYTE_2
v_cvt_pk_fp8_f32 v6, v3, v4, op_sel:[0, 0, 1]
v_cvt_off_f32_i4 v3, v5, src0_sel:BYTE_1
v_cvt_off_f32_i4 v4, v5, src0_sel:BYTE_3
v_cvt_pk_fp8_f32 v8, v3, v4, op_sel:[0, 0, 1]

	;;#ASMEND
	s_waitcnt vmcnt(10)
	;;#ASMSTART
	v_cvt_off_f32_i4 v0, v1
v_cvt_off_f32_i4 v3, v1, src0_sel:BYTE_2
v_cvt_pk_fp8_f32 v5, v0, v3
v_cvt_off_f32_i4 v0, v1, src0_sel:BYTE_1
v_cvt_off_f32_i4 v3, v1, src0_sel:BYTE_3
v_cvt_pk_fp8_f32 v9, v0, v3
v_lshrrev_b32 v4, 4, v1
v_cvt_off_f32_i4 v0, v4
v_cvt_off_f32_i4 v3, v4, src0_sel:BYTE_2
v_cvt_pk_fp8_f32 v5, v0, v3, op_sel:[0, 0, 1]
v_cvt_off_f32_i4 v0, v4, src0_sel:BYTE_1
v_cvt_off_f32_i4 v3, v4, src0_sel:BYTE_3
v_cvt_pk_fp8_f32 v9, v0, v3, op_sel:[0, 0, 1]

	;;#ASMEND
	;; [unrolled: 17-line block ×4, first 2 shown]
	buffer_store_dword v6, off, s[0:3], s33 offset:1108
	buffer_store_dword v8, off, s[0:3], s33 offset:1112
	;; [unrolled: 1-line block ×8, first 2 shown]
	; sched_barrier mask(0x00000000)
	v_lshrrev_b32_e64 v0, 6, s33
	v_add_u32_e32 v0, 8, v0
	v_mov_b32_e32 v1, s17
	buffer_store_dword v36, off, s[0:3], s33 offset:12
	buffer_store_dword v37, off, s[0:3], s33 offset:8
	;; [unrolled: 1-line block ×8, first 2 shown]
	s_getpc_b64 s[4:5]
	s_add_u32 s4, s4, _ZNK2ck6detail7applierIiJLi0ELi1ELi2ELi3ELi4ELi5ELi6ELi7EEEclIZNKS_11static_fordINS_8SequenceIJLi1ELi8EEEENS5_IJLi0ELi1EEEEEclIZZNKS_52BlockwiseGemmXdlops_pipeline_bpreshuffle_bdequant_v3ILNS_26BlockGemmPipelineSchedulerE0ELi256ENS_9f8_fnuz_tENS_7pk_i4_tESC_fNS_16TensorDescriptorINS_5TupleIJNS_5EmbedINSF_IJNS_17integral_constantIiLi8EEENSH_IiLi256EEENSH_IiLi16EEEEEENSF_IJSK_NSH_IiLi128EEENSH_IiLi1EEEEEELb0EEENS_3XorINSF_IJSJ_SI_EEELb1EEENS_11PassThroughISK_EENS_7UnMergeINSF_IJSI_SN_EEELb0EEENST_ISJ_EESU_NST_ISI_EENS_21Merge_v3_division_modINSF_IJSJ_SN_EEEEESU_EEENSF_IJNS5_IJLi0EEEENS5_IJLi2ELi1EEEENS5_IJLi3EEEENS5_IJLi5EEEENS5_IJLi4EEEENS5_IJLi6EEEENS5_IJLi7EEEENS5_IJLi9ELi8EEEENS5_IJLi10EEEEEEENSF_IJNS5_IJLi1ELi2ELi3EEEENS5_IJLi4ELi5EEEES19_NS5_IJLi7ELi8EEEENS5_IJLi9EEEES1C_NS5_IJLi11EEEENS5_IJLi12EEEENS5_IJLi13EEEEEEENS5_IJLi11ELi12ELi13EEEENSH_IlLl32768EEEEENSE_INSF_IJNSV_INSF_IJSI_SN_SN_NSH_IiLi32EEEEEELb0EEEEEENSF_IJS14_EEENSF_IJNS5_IJLi1ELi2ELi3ELi4EEEEEEES1U_NSH_IlLl256EEEEENSE_INSF_IJSP_SS_SU_SX_SY_SU_SZ_S12_SU_NS10_INSF_IJSI_SK_EEEEENSV_INSF_IJSI_NSH_IiLi2EEESK_EEELb0EEEEEENSF_IJS14_S15_S16_S17_S18_S19_S1A_S1B_S1C_NS5_IJLi11ELi13EEEES1J_EEENSF_IJS1E_S1F_S19_S1G_S1H_S1C_S1I_S1J_S1K_NS5_IJLi14EEEENS5_IJLi15ELi16ELi17EEEEEEENS5_IJLi15ELi16ELi17ELi14EEEES1N_EENSE_INSF_IJS1R_NS10_ISW_EES22_EEENSF_IJS14_NS5_IJLi1ELi3EEEENS5_IJLi2EEEEEEENSF_IJS1U_S17_NS5_IJLi6ELi7ELi8EEEEEEENS5_IJLi6ELi7ELi8ELi5EEEES1W_EELi16ELi32ELi256ELi256ELi128ELi16ELi16ELi8ELi8ELi32ELb0EE3RunILb1ELNS_10TailNumberE1ENSE_INSF_IJNSG_INSF_IJiiEEENSF_IJiSN_EEELb0EEENSV_IS2N_Lb0EEENST_IiEEEEENSF_IJS14_S2E_NS5_IJLi1EEEEEEENSF_IJNS5_IJLi1ELi2EEEENS5_IJLi3ELi4EEEES17_EEENS5_IJLi3ELi5ELi4EEEElEES1O_NS_35ThreadGroupTensorSliceTransfer_v4r1INS_15ThisThreadBlockILi256EEENS_16tensor_operation12element_wise11PassThroughES35_LNS_25InMemoryDataOperationEnumE0ENS5_IJLi8ELi256ELi16EEEENS5_IJLi8ELi32ELi1EEEENS5_IJLi1ELi0ELi2EEEESC_SC_RKS2Z_KS1O_S39_NS5_IJLi0ELi1ELi2EEEELi2ELi2ELi16ELi16ELi1ELi1ELb0ELb1ELi2EiEENS_13DynamicBufferILNS_16AddressSpaceEnumE1EKSC_lLb1ELNS_22AmdBufferCoherenceEnumE0EiEENSF_IJNS3F_ILS3G_2ESC_S1N_Lb1ELS3I_0EiEES3K_EEENSF_IJiiiEEENSE_INSF_IJNSG_INSF_IJiiiiEEENSF_IJiiiSN_EEELb0EEEEEES1T_S1V_S1U_lEENS_32ThreadwiseTensorSliceTransfer_v2ISD_SD_RKS3R_KS1X_NS5_IJLi8ELi1ELi1ELi32EEEENS5_IJLi1ELi2ELi0ELi3EEEELi3ELi32ELi0ELb1ELb0ELb0EEENS3F_ILS3G_1EKSD_lLb1ELS3I_0EiEENSF_IJNS_12StaticBufferILS3G_4ESD_Li256ELb1EEES42_EEES3N_NS_25StaticBufferTupleOfVectorILS3G_4EfLi64ELi4ELb1ELb0EEEEEvRKT1_RKT2_RT3_RKT4_RT5_RKT6_RKT7_RT8_RKT9_RT10_RKT11_RT12_iENKUlT_E1_clINSH_IiLi3EEEEEDaS51_EUlS51_E_EEvS51_EUlS51_E_EEvS51_@rel32@lo+4
	s_addc_u32 s5, s5, _ZNK2ck6detail7applierIiJLi0ELi1ELi2ELi3ELi4ELi5ELi6ELi7EEEclIZNKS_11static_fordINS_8SequenceIJLi1ELi8EEEENS5_IJLi0ELi1EEEEEclIZZNKS_52BlockwiseGemmXdlops_pipeline_bpreshuffle_bdequant_v3ILNS_26BlockGemmPipelineSchedulerE0ELi256ENS_9f8_fnuz_tENS_7pk_i4_tESC_fNS_16TensorDescriptorINS_5TupleIJNS_5EmbedINSF_IJNS_17integral_constantIiLi8EEENSH_IiLi256EEENSH_IiLi16EEEEEENSF_IJSK_NSH_IiLi128EEENSH_IiLi1EEEEEELb0EEENS_3XorINSF_IJSJ_SI_EEELb1EEENS_11PassThroughISK_EENS_7UnMergeINSF_IJSI_SN_EEELb0EEENST_ISJ_EESU_NST_ISI_EENS_21Merge_v3_division_modINSF_IJSJ_SN_EEEEESU_EEENSF_IJNS5_IJLi0EEEENS5_IJLi2ELi1EEEENS5_IJLi3EEEENS5_IJLi5EEEENS5_IJLi4EEEENS5_IJLi6EEEENS5_IJLi7EEEENS5_IJLi9ELi8EEEENS5_IJLi10EEEEEEENSF_IJNS5_IJLi1ELi2ELi3EEEENS5_IJLi4ELi5EEEES19_NS5_IJLi7ELi8EEEENS5_IJLi9EEEES1C_NS5_IJLi11EEEENS5_IJLi12EEEENS5_IJLi13EEEEEEENS5_IJLi11ELi12ELi13EEEENSH_IlLl32768EEEEENSE_INSF_IJNSV_INSF_IJSI_SN_SN_NSH_IiLi32EEEEEELb0EEEEEENSF_IJS14_EEENSF_IJNS5_IJLi1ELi2ELi3ELi4EEEEEEES1U_NSH_IlLl256EEEEENSE_INSF_IJSP_SS_SU_SX_SY_SU_SZ_S12_SU_NS10_INSF_IJSI_SK_EEEEENSV_INSF_IJSI_NSH_IiLi2EEESK_EEELb0EEEEEENSF_IJS14_S15_S16_S17_S18_S19_S1A_S1B_S1C_NS5_IJLi11ELi13EEEES1J_EEENSF_IJS1E_S1F_S19_S1G_S1H_S1C_S1I_S1J_S1K_NS5_IJLi14EEEENS5_IJLi15ELi16ELi17EEEEEEENS5_IJLi15ELi16ELi17ELi14EEEES1N_EENSE_INSF_IJS1R_NS10_ISW_EES22_EEENSF_IJS14_NS5_IJLi1ELi3EEEENS5_IJLi2EEEEEEENSF_IJS1U_S17_NS5_IJLi6ELi7ELi8EEEEEEENS5_IJLi6ELi7ELi8ELi5EEEES1W_EELi16ELi32ELi256ELi256ELi128ELi16ELi16ELi8ELi8ELi32ELb0EE3RunILb1ELNS_10TailNumberE1ENSE_INSF_IJNSG_INSF_IJiiEEENSF_IJiSN_EEELb0EEENSV_IS2N_Lb0EEENST_IiEEEEENSF_IJS14_S2E_NS5_IJLi1EEEEEEENSF_IJNS5_IJLi1ELi2EEEENS5_IJLi3ELi4EEEES17_EEENS5_IJLi3ELi5ELi4EEEElEES1O_NS_35ThreadGroupTensorSliceTransfer_v4r1INS_15ThisThreadBlockILi256EEENS_16tensor_operation12element_wise11PassThroughES35_LNS_25InMemoryDataOperationEnumE0ENS5_IJLi8ELi256ELi16EEEENS5_IJLi8ELi32ELi1EEEENS5_IJLi1ELi0ELi2EEEESC_SC_RKS2Z_KS1O_S39_NS5_IJLi0ELi1ELi2EEEELi2ELi2ELi16ELi16ELi1ELi1ELb0ELb1ELi2EiEENS_13DynamicBufferILNS_16AddressSpaceEnumE1EKSC_lLb1ELNS_22AmdBufferCoherenceEnumE0EiEENSF_IJNS3F_ILS3G_2ESC_S1N_Lb1ELS3I_0EiEES3K_EEENSF_IJiiiEEENSE_INSF_IJNSG_INSF_IJiiiiEEENSF_IJiiiSN_EEELb0EEEEEES1T_S1V_S1U_lEENS_32ThreadwiseTensorSliceTransfer_v2ISD_SD_RKS3R_KS1X_NS5_IJLi8ELi1ELi1ELi32EEEENS5_IJLi1ELi2ELi0ELi3EEEELi3ELi32ELi0ELb1ELb0ELb0EEENS3F_ILS3G_1EKSD_lLb1ELS3I_0EiEENSF_IJNS_12StaticBufferILS3G_4ESD_Li256ELb1EEES42_EEES3N_NS_25StaticBufferTupleOfVectorILS3G_4EfLi64ELi4ELb1ELb0EEEEEvRKT1_RKT2_RT3_RKT4_RT5_RKT6_RKT7_RT8_RKT9_RT10_RKT11_RT12_iENKUlT_E1_clINSH_IiLi3EEEEEDaS51_EUlS51_E_EEvS51_EUlS51_E_EEvS51_@rel32@hi+12
	s_swappc_b64 s[30:31], s[4:5]
	flat_load_dwordx2 v[12:13], v[30:31] offset:1148
	flat_load_dwordx2 v[14:15], v[30:31] offset:1164
	flat_load_dwordx4 v[0:3], v[30:31] offset:1176
	flat_load_dwordx3 v[8:10], v[30:31] offset:1132
	flat_load_dwordx2 v[16:17], v[28:29] offset:16
	; sched_group_barrier mask(0x00000008) size(16) SyncID(0)
	; sched_group_barrier mask(0x00000100) size(1) SyncID(0)
	;; [unrolled: 1-line block ×4, first 2 shown]
	s_waitcnt vmcnt(0) lgkmcnt(0)
	v_sub_u32_e32 v4, v12, v15
	v_add3_u32 v1, v4, v1, s21
	v_ashrrev_i32_e32 v4, 31, v1
	v_lshrrev_b32_e32 v4, 29, v4
	v_add_u32_e32 v4, v1, v4
	v_and_b32_e32 v4, -8, v4
	v_sub_u32_e32 v5, v13, v14
	v_sub_u32_e32 v6, v1, v10
	;; [unrolled: 1-line block ×3, first 2 shown]
	v_xor_b32_e32 v4, v1, v5
	v_sub_u32_e32 v4, v4, v9
	v_lshlrev_b32_e32 v10, 7, v6
	v_lshlrev_b32_e32 v4, 4, v4
	v_add3_u32 v4, v10, v8, v4
	v_ashrrev_i32_e32 v5, 31, v4
	v_add_co_u32_e32 v4, vcc, v16, v4
	v_addc_co_u32_e32 v5, vcc, v17, v5, vcc
	flat_load_dwordx4 v[4:7], v[4:5]
	v_add_u32_e32 v3, 16, v3
	v_sub_u32_e32 v2, v8, v2
	v_ashrrev_i32_e32 v8, 31, v3
	v_lshrrev_b32_e32 v8, 28, v8
	v_add_u32_e32 v0, v14, v0
	v_add_u32_e32 v8, v3, v8
	v_sub_u32_e32 v0, v13, v0
	v_lshrrev_b32_e32 v11, 4, v8
	v_add_u32_e32 v0, v0, v11
	v_xor_b32_e32 v0, v0, v1
	v_and_b32_e32 v8, -16, v8
	v_sub_u32_e32 v0, v0, v9
	v_add_u32_e32 v2, v2, v10
	v_sub_u32_e32 v3, v3, v8
	v_lshlrev_b32_e32 v0, 4, v0
	v_add3_u32 v0, v2, v3, v0
	v_ashrrev_i32_e32 v1, 31, v0
	v_add_co_u32_e32 v0, vcc, v16, v0
	v_addc_co_u32_e32 v1, vcc, v17, v1, vcc
	s_waitcnt vmcnt(0) lgkmcnt(0)
	buffer_store_dword v4, off, s[0:3], s33 offset:52
	buffer_store_dword v5, off, s[0:3], s33 offset:56
	;; [unrolled: 1-line block ×4, first 2 shown]
	flat_load_dwordx4 v[0:3], v[0:1]
	s_nop 0
	buffer_load_dword v4, off, s[0:3], s33 offset:372
	buffer_load_dword v5, off, s[0:3], s33 offset:376
	;; [unrolled: 1-line block ×4, first 2 shown]
	s_waitcnt vmcnt(0) lgkmcnt(0)
	buffer_store_dword v0, off, s[0:3], s33 offset:68
	buffer_store_dword v1, off, s[0:3], s33 offset:72
	;; [unrolled: 1-line block ×4, first 2 shown]
	;;#ASMSTART
	v_cvt_off_f32_i4 v0, v4
v_cvt_off_f32_i4 v1, v4, src0_sel:BYTE_2
v_cvt_pk_fp8_f32 v3, v0, v1
v_cvt_off_f32_i4 v0, v4, src0_sel:BYTE_1
v_cvt_off_f32_i4 v1, v4, src0_sel:BYTE_3
v_cvt_pk_fp8_f32 v8, v0, v1
v_lshrrev_b32 v2, 4, v4
v_cvt_off_f32_i4 v0, v2
v_cvt_off_f32_i4 v1, v2, src0_sel:BYTE_2
v_cvt_pk_fp8_f32 v3, v0, v1, op_sel:[0, 0, 1]
v_cvt_off_f32_i4 v0, v2, src0_sel:BYTE_1
v_cvt_off_f32_i4 v1, v2, src0_sel:BYTE_3
v_cvt_pk_fp8_f32 v8, v0, v1, op_sel:[0, 0, 1]

	;;#ASMEND
	;;#ASMSTART
	v_cvt_off_f32_i4 v0, v5
v_cvt_off_f32_i4 v1, v5, src0_sel:BYTE_2
v_cvt_pk_fp8_f32 v4, v0, v1
v_cvt_off_f32_i4 v0, v5, src0_sel:BYTE_1
v_cvt_off_f32_i4 v1, v5, src0_sel:BYTE_3
v_cvt_pk_fp8_f32 v9, v0, v1
v_lshrrev_b32 v2, 4, v5
v_cvt_off_f32_i4 v0, v2
v_cvt_off_f32_i4 v1, v2, src0_sel:BYTE_2
v_cvt_pk_fp8_f32 v4, v0, v1, op_sel:[0, 0, 1]
v_cvt_off_f32_i4 v0, v2, src0_sel:BYTE_1
v_cvt_off_f32_i4 v1, v2, src0_sel:BYTE_3
v_cvt_pk_fp8_f32 v9, v0, v1, op_sel:[0, 0, 1]

	;;#ASMEND
	;; [unrolled: 16-line block ×4, first 2 shown]
	buffer_load_dword v0, off, s[0:3], s33 offset:404
	buffer_load_dword v1, off, s[0:3], s33 offset:408
	;; [unrolled: 1-line block ×4, first 2 shown]
	s_nop 0
	buffer_store_dword v3, off, s[0:3], s33 offset:884
	buffer_store_dword v8, off, s[0:3], s33 offset:888
	;; [unrolled: 1-line block ×8, first 2 shown]
	s_waitcnt vmcnt(11)
	;;#ASMSTART
	v_cvt_off_f32_i4 v3, v0
v_cvt_off_f32_i4 v4, v0, src0_sel:BYTE_2
v_cvt_pk_fp8_f32 v6, v3, v4
v_cvt_off_f32_i4 v3, v0, src0_sel:BYTE_1
v_cvt_off_f32_i4 v4, v0, src0_sel:BYTE_3
v_cvt_pk_fp8_f32 v8, v3, v4
v_lshrrev_b32 v5, 4, v0
v_cvt_off_f32_i4 v3, v5
v_cvt_off_f32_i4 v4, v5, src0_sel:BYTE_2
v_cvt_pk_fp8_f32 v6, v3, v4, op_sel:[0, 0, 1]
v_cvt_off_f32_i4 v3, v5, src0_sel:BYTE_1
v_cvt_off_f32_i4 v4, v5, src0_sel:BYTE_3
v_cvt_pk_fp8_f32 v8, v3, v4, op_sel:[0, 0, 1]

	;;#ASMEND
	s_waitcnt vmcnt(10)
	;;#ASMSTART
	v_cvt_off_f32_i4 v0, v1
v_cvt_off_f32_i4 v3, v1, src0_sel:BYTE_2
v_cvt_pk_fp8_f32 v5, v0, v3
v_cvt_off_f32_i4 v0, v1, src0_sel:BYTE_1
v_cvt_off_f32_i4 v3, v1, src0_sel:BYTE_3
v_cvt_pk_fp8_f32 v9, v0, v3
v_lshrrev_b32 v4, 4, v1
v_cvt_off_f32_i4 v0, v4
v_cvt_off_f32_i4 v3, v4, src0_sel:BYTE_2
v_cvt_pk_fp8_f32 v5, v0, v3, op_sel:[0, 0, 1]
v_cvt_off_f32_i4 v0, v4, src0_sel:BYTE_1
v_cvt_off_f32_i4 v3, v4, src0_sel:BYTE_3
v_cvt_pk_fp8_f32 v9, v0, v3, op_sel:[0, 0, 1]

	;;#ASMEND
	;; [unrolled: 17-line block ×4, first 2 shown]
	buffer_load_dword v0, off, s[0:3], s33 offset:436
	buffer_load_dword v1, off, s[0:3], s33 offset:440
	;; [unrolled: 1-line block ×4, first 2 shown]
	s_nop 0
	buffer_store_dword v6, off, s[0:3], s33 offset:916
	buffer_store_dword v8, off, s[0:3], s33 offset:920
	;; [unrolled: 1-line block ×8, first 2 shown]
	s_waitcnt vmcnt(11)
	;;#ASMSTART
	v_cvt_off_f32_i4 v3, v0
v_cvt_off_f32_i4 v4, v0, src0_sel:BYTE_2
v_cvt_pk_fp8_f32 v6, v3, v4
v_cvt_off_f32_i4 v3, v0, src0_sel:BYTE_1
v_cvt_off_f32_i4 v4, v0, src0_sel:BYTE_3
v_cvt_pk_fp8_f32 v8, v3, v4
v_lshrrev_b32 v5, 4, v0
v_cvt_off_f32_i4 v3, v5
v_cvt_off_f32_i4 v4, v5, src0_sel:BYTE_2
v_cvt_pk_fp8_f32 v6, v3, v4, op_sel:[0, 0, 1]
v_cvt_off_f32_i4 v3, v5, src0_sel:BYTE_1
v_cvt_off_f32_i4 v4, v5, src0_sel:BYTE_3
v_cvt_pk_fp8_f32 v8, v3, v4, op_sel:[0, 0, 1]

	;;#ASMEND
	s_waitcnt vmcnt(10)
	;;#ASMSTART
	v_cvt_off_f32_i4 v0, v1
v_cvt_off_f32_i4 v3, v1, src0_sel:BYTE_2
v_cvt_pk_fp8_f32 v5, v0, v3
v_cvt_off_f32_i4 v0, v1, src0_sel:BYTE_1
v_cvt_off_f32_i4 v3, v1, src0_sel:BYTE_3
v_cvt_pk_fp8_f32 v9, v0, v3
v_lshrrev_b32 v4, 4, v1
v_cvt_off_f32_i4 v0, v4
v_cvt_off_f32_i4 v3, v4, src0_sel:BYTE_2
v_cvt_pk_fp8_f32 v5, v0, v3, op_sel:[0, 0, 1]
v_cvt_off_f32_i4 v0, v4, src0_sel:BYTE_1
v_cvt_off_f32_i4 v3, v4, src0_sel:BYTE_3
v_cvt_pk_fp8_f32 v9, v0, v3, op_sel:[0, 0, 1]

	;;#ASMEND
	;; [unrolled: 17-line block ×4, first 2 shown]
	buffer_load_dword v0, off, s[0:3], s33 offset:468
	buffer_load_dword v1, off, s[0:3], s33 offset:472
	;; [unrolled: 1-line block ×4, first 2 shown]
	s_nop 0
	buffer_store_dword v6, off, s[0:3], s33 offset:948
	buffer_store_dword v8, off, s[0:3], s33 offset:952
	;; [unrolled: 1-line block ×8, first 2 shown]
	s_waitcnt vmcnt(11)
	;;#ASMSTART
	v_cvt_off_f32_i4 v3, v0
v_cvt_off_f32_i4 v4, v0, src0_sel:BYTE_2
v_cvt_pk_fp8_f32 v6, v3, v4
v_cvt_off_f32_i4 v3, v0, src0_sel:BYTE_1
v_cvt_off_f32_i4 v4, v0, src0_sel:BYTE_3
v_cvt_pk_fp8_f32 v8, v3, v4
v_lshrrev_b32 v5, 4, v0
v_cvt_off_f32_i4 v3, v5
v_cvt_off_f32_i4 v4, v5, src0_sel:BYTE_2
v_cvt_pk_fp8_f32 v6, v3, v4, op_sel:[0, 0, 1]
v_cvt_off_f32_i4 v3, v5, src0_sel:BYTE_1
v_cvt_off_f32_i4 v4, v5, src0_sel:BYTE_3
v_cvt_pk_fp8_f32 v8, v3, v4, op_sel:[0, 0, 1]

	;;#ASMEND
	s_waitcnt vmcnt(10)
	;;#ASMSTART
	v_cvt_off_f32_i4 v0, v1
v_cvt_off_f32_i4 v3, v1, src0_sel:BYTE_2
v_cvt_pk_fp8_f32 v5, v0, v3
v_cvt_off_f32_i4 v0, v1, src0_sel:BYTE_1
v_cvt_off_f32_i4 v3, v1, src0_sel:BYTE_3
v_cvt_pk_fp8_f32 v9, v0, v3
v_lshrrev_b32 v4, 4, v1
v_cvt_off_f32_i4 v0, v4
v_cvt_off_f32_i4 v3, v4, src0_sel:BYTE_2
v_cvt_pk_fp8_f32 v5, v0, v3, op_sel:[0, 0, 1]
v_cvt_off_f32_i4 v0, v4, src0_sel:BYTE_1
v_cvt_off_f32_i4 v3, v4, src0_sel:BYTE_3
v_cvt_pk_fp8_f32 v9, v0, v3, op_sel:[0, 0, 1]

	;;#ASMEND
	;; [unrolled: 17-line block ×4, first 2 shown]
	buffer_load_dword v0, off, s[0:3], s33 offset:500
	buffer_load_dword v1, off, s[0:3], s33 offset:504
	;; [unrolled: 1-line block ×4, first 2 shown]
	s_nop 0
	buffer_store_dword v6, off, s[0:3], s33 offset:980
	buffer_store_dword v8, off, s[0:3], s33 offset:984
	;; [unrolled: 1-line block ×8, first 2 shown]
	s_waitcnt vmcnt(11)
	;;#ASMSTART
	v_cvt_off_f32_i4 v3, v0
v_cvt_off_f32_i4 v4, v0, src0_sel:BYTE_2
v_cvt_pk_fp8_f32 v6, v3, v4
v_cvt_off_f32_i4 v3, v0, src0_sel:BYTE_1
v_cvt_off_f32_i4 v4, v0, src0_sel:BYTE_3
v_cvt_pk_fp8_f32 v8, v3, v4
v_lshrrev_b32 v5, 4, v0
v_cvt_off_f32_i4 v3, v5
v_cvt_off_f32_i4 v4, v5, src0_sel:BYTE_2
v_cvt_pk_fp8_f32 v6, v3, v4, op_sel:[0, 0, 1]
v_cvt_off_f32_i4 v3, v5, src0_sel:BYTE_1
v_cvt_off_f32_i4 v4, v5, src0_sel:BYTE_3
v_cvt_pk_fp8_f32 v8, v3, v4, op_sel:[0, 0, 1]

	;;#ASMEND
	s_waitcnt vmcnt(10)
	;;#ASMSTART
	v_cvt_off_f32_i4 v0, v1
v_cvt_off_f32_i4 v3, v1, src0_sel:BYTE_2
v_cvt_pk_fp8_f32 v5, v0, v3
v_cvt_off_f32_i4 v0, v1, src0_sel:BYTE_1
v_cvt_off_f32_i4 v3, v1, src0_sel:BYTE_3
v_cvt_pk_fp8_f32 v9, v0, v3
v_lshrrev_b32 v4, 4, v1
v_cvt_off_f32_i4 v0, v4
v_cvt_off_f32_i4 v3, v4, src0_sel:BYTE_2
v_cvt_pk_fp8_f32 v5, v0, v3, op_sel:[0, 0, 1]
v_cvt_off_f32_i4 v0, v4, src0_sel:BYTE_1
v_cvt_off_f32_i4 v3, v4, src0_sel:BYTE_3
v_cvt_pk_fp8_f32 v9, v0, v3, op_sel:[0, 0, 1]

	;;#ASMEND
	;; [unrolled: 17-line block ×4, first 2 shown]
	buffer_load_dword v0, off, s[0:3], s33 offset:532
	buffer_load_dword v1, off, s[0:3], s33 offset:536
	;; [unrolled: 1-line block ×4, first 2 shown]
	s_nop 0
	buffer_store_dword v6, off, s[0:3], s33 offset:1012
	buffer_store_dword v8, off, s[0:3], s33 offset:1016
	;; [unrolled: 1-line block ×8, first 2 shown]
	s_waitcnt vmcnt(11)
	;;#ASMSTART
	v_cvt_off_f32_i4 v3, v0
v_cvt_off_f32_i4 v4, v0, src0_sel:BYTE_2
v_cvt_pk_fp8_f32 v6, v3, v4
v_cvt_off_f32_i4 v3, v0, src0_sel:BYTE_1
v_cvt_off_f32_i4 v4, v0, src0_sel:BYTE_3
v_cvt_pk_fp8_f32 v8, v3, v4
v_lshrrev_b32 v5, 4, v0
v_cvt_off_f32_i4 v3, v5
v_cvt_off_f32_i4 v4, v5, src0_sel:BYTE_2
v_cvt_pk_fp8_f32 v6, v3, v4, op_sel:[0, 0, 1]
v_cvt_off_f32_i4 v3, v5, src0_sel:BYTE_1
v_cvt_off_f32_i4 v4, v5, src0_sel:BYTE_3
v_cvt_pk_fp8_f32 v8, v3, v4, op_sel:[0, 0, 1]

	;;#ASMEND
	s_waitcnt vmcnt(10)
	;;#ASMSTART
	v_cvt_off_f32_i4 v0, v1
v_cvt_off_f32_i4 v3, v1, src0_sel:BYTE_2
v_cvt_pk_fp8_f32 v5, v0, v3
v_cvt_off_f32_i4 v0, v1, src0_sel:BYTE_1
v_cvt_off_f32_i4 v3, v1, src0_sel:BYTE_3
v_cvt_pk_fp8_f32 v9, v0, v3
v_lshrrev_b32 v4, 4, v1
v_cvt_off_f32_i4 v0, v4
v_cvt_off_f32_i4 v3, v4, src0_sel:BYTE_2
v_cvt_pk_fp8_f32 v5, v0, v3, op_sel:[0, 0, 1]
v_cvt_off_f32_i4 v0, v4, src0_sel:BYTE_1
v_cvt_off_f32_i4 v3, v4, src0_sel:BYTE_3
v_cvt_pk_fp8_f32 v9, v0, v3, op_sel:[0, 0, 1]

	;;#ASMEND
	;; [unrolled: 17-line block ×4, first 2 shown]
	buffer_load_dword v0, off, s[0:3], s33 offset:564
	buffer_load_dword v1, off, s[0:3], s33 offset:568
	;; [unrolled: 1-line block ×4, first 2 shown]
	s_nop 0
	buffer_store_dword v6, off, s[0:3], s33 offset:1044
	buffer_store_dword v8, off, s[0:3], s33 offset:1048
	;; [unrolled: 1-line block ×8, first 2 shown]
	s_waitcnt vmcnt(11)
	;;#ASMSTART
	v_cvt_off_f32_i4 v3, v0
v_cvt_off_f32_i4 v4, v0, src0_sel:BYTE_2
v_cvt_pk_fp8_f32 v6, v3, v4
v_cvt_off_f32_i4 v3, v0, src0_sel:BYTE_1
v_cvt_off_f32_i4 v4, v0, src0_sel:BYTE_3
v_cvt_pk_fp8_f32 v8, v3, v4
v_lshrrev_b32 v5, 4, v0
v_cvt_off_f32_i4 v3, v5
v_cvt_off_f32_i4 v4, v5, src0_sel:BYTE_2
v_cvt_pk_fp8_f32 v6, v3, v4, op_sel:[0, 0, 1]
v_cvt_off_f32_i4 v3, v5, src0_sel:BYTE_1
v_cvt_off_f32_i4 v4, v5, src0_sel:BYTE_3
v_cvt_pk_fp8_f32 v8, v3, v4, op_sel:[0, 0, 1]

	;;#ASMEND
	s_waitcnt vmcnt(10)
	;;#ASMSTART
	v_cvt_off_f32_i4 v0, v1
v_cvt_off_f32_i4 v3, v1, src0_sel:BYTE_2
v_cvt_pk_fp8_f32 v5, v0, v3
v_cvt_off_f32_i4 v0, v1, src0_sel:BYTE_1
v_cvt_off_f32_i4 v3, v1, src0_sel:BYTE_3
v_cvt_pk_fp8_f32 v9, v0, v3
v_lshrrev_b32 v4, 4, v1
v_cvt_off_f32_i4 v0, v4
v_cvt_off_f32_i4 v3, v4, src0_sel:BYTE_2
v_cvt_pk_fp8_f32 v5, v0, v3, op_sel:[0, 0, 1]
v_cvt_off_f32_i4 v0, v4, src0_sel:BYTE_1
v_cvt_off_f32_i4 v3, v4, src0_sel:BYTE_3
v_cvt_pk_fp8_f32 v9, v0, v3, op_sel:[0, 0, 1]

	;;#ASMEND
	;; [unrolled: 17-line block ×4, first 2 shown]
	buffer_load_dword v0, off, s[0:3], s33 offset:596
	buffer_load_dword v1, off, s[0:3], s33 offset:600
	;; [unrolled: 1-line block ×4, first 2 shown]
	s_nop 0
	buffer_store_dword v6, off, s[0:3], s33 offset:1076
	buffer_store_dword v8, off, s[0:3], s33 offset:1080
	;; [unrolled: 1-line block ×8, first 2 shown]
	s_waitcnt vmcnt(11)
	;;#ASMSTART
	v_cvt_off_f32_i4 v3, v0
v_cvt_off_f32_i4 v4, v0, src0_sel:BYTE_2
v_cvt_pk_fp8_f32 v6, v3, v4
v_cvt_off_f32_i4 v3, v0, src0_sel:BYTE_1
v_cvt_off_f32_i4 v4, v0, src0_sel:BYTE_3
v_cvt_pk_fp8_f32 v8, v3, v4
v_lshrrev_b32 v5, 4, v0
v_cvt_off_f32_i4 v3, v5
v_cvt_off_f32_i4 v4, v5, src0_sel:BYTE_2
v_cvt_pk_fp8_f32 v6, v3, v4, op_sel:[0, 0, 1]
v_cvt_off_f32_i4 v3, v5, src0_sel:BYTE_1
v_cvt_off_f32_i4 v4, v5, src0_sel:BYTE_3
v_cvt_pk_fp8_f32 v8, v3, v4, op_sel:[0, 0, 1]

	;;#ASMEND
	s_waitcnt vmcnt(10)
	;;#ASMSTART
	v_cvt_off_f32_i4 v0, v1
v_cvt_off_f32_i4 v3, v1, src0_sel:BYTE_2
v_cvt_pk_fp8_f32 v5, v0, v3
v_cvt_off_f32_i4 v0, v1, src0_sel:BYTE_1
v_cvt_off_f32_i4 v3, v1, src0_sel:BYTE_3
v_cvt_pk_fp8_f32 v9, v0, v3
v_lshrrev_b32 v4, 4, v1
v_cvt_off_f32_i4 v0, v4
v_cvt_off_f32_i4 v3, v4, src0_sel:BYTE_2
v_cvt_pk_fp8_f32 v5, v0, v3, op_sel:[0, 0, 1]
v_cvt_off_f32_i4 v0, v4, src0_sel:BYTE_1
v_cvt_off_f32_i4 v3, v4, src0_sel:BYTE_3
v_cvt_pk_fp8_f32 v9, v0, v3, op_sel:[0, 0, 1]

	;;#ASMEND
	s_waitcnt vmcnt(9)
	;;#ASMSTART
	v_cvt_off_f32_i4 v0, v2
v_cvt_off_f32_i4 v1, v2, src0_sel:BYTE_2
v_cvt_pk_fp8_f32 v4, v0, v1
v_cvt_off_f32_i4 v0, v2, src0_sel:BYTE_1
v_cvt_off_f32_i4 v1, v2, src0_sel:BYTE_3
v_cvt_pk_fp8_f32 v10, v0, v1
v_lshrrev_b32 v3, 4, v2
v_cvt_off_f32_i4 v0, v3
v_cvt_off_f32_i4 v1, v3, src0_sel:BYTE_2
v_cvt_pk_fp8_f32 v4, v0, v1, op_sel:[0, 0, 1]
v_cvt_off_f32_i4 v0, v3, src0_sel:BYTE_1
v_cvt_off_f32_i4 v1, v3, src0_sel:BYTE_3
v_cvt_pk_fp8_f32 v10, v0, v1, op_sel:[0, 0, 1]

	;;#ASMEND
	s_waitcnt vmcnt(8)
	;;#ASMSTART
	v_cvt_off_f32_i4 v0, v7
v_cvt_off_f32_i4 v1, v7, src0_sel:BYTE_2
v_cvt_pk_fp8_f32 v3, v0, v1
v_cvt_off_f32_i4 v0, v7, src0_sel:BYTE_1
v_cvt_off_f32_i4 v1, v7, src0_sel:BYTE_3
v_cvt_pk_fp8_f32 v11, v0, v1
v_lshrrev_b32 v2, 4, v7
v_cvt_off_f32_i4 v0, v2
v_cvt_off_f32_i4 v1, v2, src0_sel:BYTE_2
v_cvt_pk_fp8_f32 v3, v0, v1, op_sel:[0, 0, 1]
v_cvt_off_f32_i4 v0, v2, src0_sel:BYTE_1
v_cvt_off_f32_i4 v1, v2, src0_sel:BYTE_3
v_cvt_pk_fp8_f32 v11, v0, v1, op_sel:[0, 0, 1]

	;;#ASMEND
	buffer_store_dword v6, off, s[0:3], s33 offset:1108
	buffer_store_dword v8, off, s[0:3], s33 offset:1112
	;; [unrolled: 1-line block ×8, first 2 shown]
	; sched_barrier mask(0x00000000)
	v_lshrrev_b32_e64 v0, 6, s33
	v_add_u32_e32 v0, 8, v0
	v_mov_b32_e32 v1, s17
	buffer_store_dword v36, off, s[0:3], s33 offset:12
	buffer_store_dword v37, off, s[0:3], s33 offset:8
	;; [unrolled: 1-line block ×8, first 2 shown]
	s_getpc_b64 s[4:5]
	s_add_u32 s4, s4, _ZNK2ck6detail7applierIiJLi0ELi1ELi2ELi3ELi4ELi5ELi6ELi7EEEclIZNKS_11static_fordINS_8SequenceIJLi1ELi8EEEENS5_IJLi0ELi1EEEEEclIZZNKS_52BlockwiseGemmXdlops_pipeline_bpreshuffle_bdequant_v3ILNS_26BlockGemmPipelineSchedulerE0ELi256ENS_9f8_fnuz_tENS_7pk_i4_tESC_fNS_16TensorDescriptorINS_5TupleIJNS_5EmbedINSF_IJNS_17integral_constantIiLi8EEENSH_IiLi256EEENSH_IiLi16EEEEEENSF_IJSK_NSH_IiLi128EEENSH_IiLi1EEEEEELb0EEENS_3XorINSF_IJSJ_SI_EEELb1EEENS_11PassThroughISK_EENS_7UnMergeINSF_IJSI_SN_EEELb0EEENST_ISJ_EESU_NST_ISI_EENS_21Merge_v3_division_modINSF_IJSJ_SN_EEEEESU_EEENSF_IJNS5_IJLi0EEEENS5_IJLi2ELi1EEEENS5_IJLi3EEEENS5_IJLi5EEEENS5_IJLi4EEEENS5_IJLi6EEEENS5_IJLi7EEEENS5_IJLi9ELi8EEEENS5_IJLi10EEEEEEENSF_IJNS5_IJLi1ELi2ELi3EEEENS5_IJLi4ELi5EEEES19_NS5_IJLi7ELi8EEEENS5_IJLi9EEEES1C_NS5_IJLi11EEEENS5_IJLi12EEEENS5_IJLi13EEEEEEENS5_IJLi11ELi12ELi13EEEENSH_IlLl32768EEEEENSE_INSF_IJNSV_INSF_IJSI_SN_SN_NSH_IiLi32EEEEEELb0EEEEEENSF_IJS14_EEENSF_IJNS5_IJLi1ELi2ELi3ELi4EEEEEEES1U_NSH_IlLl256EEEEENSE_INSF_IJSP_SS_SU_SX_SY_SU_SZ_S12_SU_NS10_INSF_IJSI_SK_EEEEENSV_INSF_IJSI_NSH_IiLi2EEESK_EEELb0EEEEEENSF_IJS14_S15_S16_S17_S18_S19_S1A_S1B_S1C_NS5_IJLi11ELi13EEEES1J_EEENSF_IJS1E_S1F_S19_S1G_S1H_S1C_S1I_S1J_S1K_NS5_IJLi14EEEENS5_IJLi15ELi16ELi17EEEEEEENS5_IJLi15ELi16ELi17ELi14EEEES1N_EENSE_INSF_IJS1R_NS10_ISW_EES22_EEENSF_IJS14_NS5_IJLi1ELi3EEEENS5_IJLi2EEEEEEENSF_IJS1U_S17_NS5_IJLi6ELi7ELi8EEEEEEENS5_IJLi6ELi7ELi8ELi5EEEES1W_EELi16ELi32ELi256ELi256ELi128ELi16ELi16ELi8ELi8ELi32ELb0EE3RunILb1ELNS_10TailNumberE1ENSE_INSF_IJNSG_INSF_IJiiEEENSF_IJiSN_EEELb0EEENSV_IS2N_Lb0EEENST_IiEEEEENSF_IJS14_S2E_NS5_IJLi1EEEEEEENSF_IJNS5_IJLi1ELi2EEEENS5_IJLi3ELi4EEEES17_EEENS5_IJLi3ELi5ELi4EEEElEES1O_NS_35ThreadGroupTensorSliceTransfer_v4r1INS_15ThisThreadBlockILi256EEENS_16tensor_operation12element_wise11PassThroughES35_LNS_25InMemoryDataOperationEnumE0ENS5_IJLi8ELi256ELi16EEEENS5_IJLi8ELi32ELi1EEEENS5_IJLi1ELi0ELi2EEEESC_SC_RKS2Z_KS1O_S39_NS5_IJLi0ELi1ELi2EEEELi2ELi2ELi16ELi16ELi1ELi1ELb0ELb1ELi2EiEENS_13DynamicBufferILNS_16AddressSpaceEnumE1EKSC_lLb1ELNS_22AmdBufferCoherenceEnumE0EiEENSF_IJNS3F_ILS3G_2ESC_S1N_Lb1ELS3I_0EiEES3K_EEENSF_IJiiiEEENSE_INSF_IJNSG_INSF_IJiiiiEEENSF_IJiiiSN_EEELb0EEEEEES1T_S1V_S1U_lEENS_32ThreadwiseTensorSliceTransfer_v2ISD_SD_RKS3R_KS1X_NS5_IJLi8ELi1ELi1ELi32EEEENS5_IJLi1ELi2ELi0ELi3EEEELi3ELi32ELi0ELb1ELb0ELb0EEENS3F_ILS3G_1EKSD_lLb1ELS3I_0EiEENSF_IJNS_12StaticBufferILS3G_4ESD_Li256ELb1EEES42_EEES3N_NS_25StaticBufferTupleOfVectorILS3G_4EfLi64ELi4ELb1ELb0EEEEEvRKT1_RKT2_RT3_RKT4_RT5_RKT6_RKT7_RT8_RKT9_RT10_RKT11_RT12_iENKUlT_E1_clINSH_IiLi4EEEEEDaS51_EUlS51_E_EEvS51_EUlS51_E_EEvS51_@rel32@lo+4
	s_addc_u32 s5, s5, _ZNK2ck6detail7applierIiJLi0ELi1ELi2ELi3ELi4ELi5ELi6ELi7EEEclIZNKS_11static_fordINS_8SequenceIJLi1ELi8EEEENS5_IJLi0ELi1EEEEEclIZZNKS_52BlockwiseGemmXdlops_pipeline_bpreshuffle_bdequant_v3ILNS_26BlockGemmPipelineSchedulerE0ELi256ENS_9f8_fnuz_tENS_7pk_i4_tESC_fNS_16TensorDescriptorINS_5TupleIJNS_5EmbedINSF_IJNS_17integral_constantIiLi8EEENSH_IiLi256EEENSH_IiLi16EEEEEENSF_IJSK_NSH_IiLi128EEENSH_IiLi1EEEEEELb0EEENS_3XorINSF_IJSJ_SI_EEELb1EEENS_11PassThroughISK_EENS_7UnMergeINSF_IJSI_SN_EEELb0EEENST_ISJ_EESU_NST_ISI_EENS_21Merge_v3_division_modINSF_IJSJ_SN_EEEEESU_EEENSF_IJNS5_IJLi0EEEENS5_IJLi2ELi1EEEENS5_IJLi3EEEENS5_IJLi5EEEENS5_IJLi4EEEENS5_IJLi6EEEENS5_IJLi7EEEENS5_IJLi9ELi8EEEENS5_IJLi10EEEEEEENSF_IJNS5_IJLi1ELi2ELi3EEEENS5_IJLi4ELi5EEEES19_NS5_IJLi7ELi8EEEENS5_IJLi9EEEES1C_NS5_IJLi11EEEENS5_IJLi12EEEENS5_IJLi13EEEEEEENS5_IJLi11ELi12ELi13EEEENSH_IlLl32768EEEEENSE_INSF_IJNSV_INSF_IJSI_SN_SN_NSH_IiLi32EEEEEELb0EEEEEENSF_IJS14_EEENSF_IJNS5_IJLi1ELi2ELi3ELi4EEEEEEES1U_NSH_IlLl256EEEEENSE_INSF_IJSP_SS_SU_SX_SY_SU_SZ_S12_SU_NS10_INSF_IJSI_SK_EEEEENSV_INSF_IJSI_NSH_IiLi2EEESK_EEELb0EEEEEENSF_IJS14_S15_S16_S17_S18_S19_S1A_S1B_S1C_NS5_IJLi11ELi13EEEES1J_EEENSF_IJS1E_S1F_S19_S1G_S1H_S1C_S1I_S1J_S1K_NS5_IJLi14EEEENS5_IJLi15ELi16ELi17EEEEEEENS5_IJLi15ELi16ELi17ELi14EEEES1N_EENSE_INSF_IJS1R_NS10_ISW_EES22_EEENSF_IJS14_NS5_IJLi1ELi3EEEENS5_IJLi2EEEEEEENSF_IJS1U_S17_NS5_IJLi6ELi7ELi8EEEEEEENS5_IJLi6ELi7ELi8ELi5EEEES1W_EELi16ELi32ELi256ELi256ELi128ELi16ELi16ELi8ELi8ELi32ELb0EE3RunILb1ELNS_10TailNumberE1ENSE_INSF_IJNSG_INSF_IJiiEEENSF_IJiSN_EEELb0EEENSV_IS2N_Lb0EEENST_IiEEEEENSF_IJS14_S2E_NS5_IJLi1EEEEEEENSF_IJNS5_IJLi1ELi2EEEENS5_IJLi3ELi4EEEES17_EEENS5_IJLi3ELi5ELi4EEEElEES1O_NS_35ThreadGroupTensorSliceTransfer_v4r1INS_15ThisThreadBlockILi256EEENS_16tensor_operation12element_wise11PassThroughES35_LNS_25InMemoryDataOperationEnumE0ENS5_IJLi8ELi256ELi16EEEENS5_IJLi8ELi32ELi1EEEENS5_IJLi1ELi0ELi2EEEESC_SC_RKS2Z_KS1O_S39_NS5_IJLi0ELi1ELi2EEEELi2ELi2ELi16ELi16ELi1ELi1ELb0ELb1ELi2EiEENS_13DynamicBufferILNS_16AddressSpaceEnumE1EKSC_lLb1ELNS_22AmdBufferCoherenceEnumE0EiEENSF_IJNS3F_ILS3G_2ESC_S1N_Lb1ELS3I_0EiEES3K_EEENSF_IJiiiEEENSE_INSF_IJNSG_INSF_IJiiiiEEENSF_IJiiiSN_EEELb0EEEEEES1T_S1V_S1U_lEENS_32ThreadwiseTensorSliceTransfer_v2ISD_SD_RKS3R_KS1X_NS5_IJLi8ELi1ELi1ELi32EEEENS5_IJLi1ELi2ELi0ELi3EEEELi3ELi32ELi0ELb1ELb0ELb0EEENS3F_ILS3G_1EKSD_lLb1ELS3I_0EiEENSF_IJNS_12StaticBufferILS3G_4ESD_Li256ELb1EEES42_EEES3N_NS_25StaticBufferTupleOfVectorILS3G_4EfLi64ELi4ELb1ELb0EEEEEvRKT1_RKT2_RT3_RKT4_RT5_RKT6_RKT7_RT8_RKT9_RT10_RKT11_RT12_iENKUlT_E1_clINSH_IiLi4EEEEEDaS51_EUlS51_E_EEvS51_EUlS51_E_EEvS51_@rel32@hi+12
	s_swappc_b64 s[30:31], s[4:5]
	flat_load_dwordx2 v[12:13], v[30:31] offset:1148
	flat_load_dwordx2 v[14:15], v[30:31] offset:1164
	flat_load_dwordx4 v[0:3], v[30:31] offset:1176
	flat_load_dwordx3 v[8:10], v[30:31] offset:1132
	flat_load_dwordx2 v[16:17], v[28:29] offset:16
	; sched_group_barrier mask(0x00000008) size(16) SyncID(0)
	; sched_group_barrier mask(0x00000100) size(1) SyncID(0)
	;; [unrolled: 1-line block ×4, first 2 shown]
	s_waitcnt vmcnt(0) lgkmcnt(0)
	v_sub_u32_e32 v4, v12, v15
	v_add3_u32 v1, v4, v1, s20
	v_ashrrev_i32_e32 v4, 31, v1
	v_lshrrev_b32_e32 v4, 29, v4
	v_add_u32_e32 v4, v1, v4
	v_and_b32_e32 v4, -8, v4
	v_sub_u32_e32 v5, v13, v14
	v_sub_u32_e32 v6, v1, v10
	v_sub_u32_e32 v1, v1, v4
	v_xor_b32_e32 v4, v1, v5
	v_sub_u32_e32 v4, v4, v9
	v_lshlrev_b32_e32 v10, 7, v6
	v_lshlrev_b32_e32 v4, 4, v4
	v_add3_u32 v4, v10, v8, v4
	v_ashrrev_i32_e32 v5, 31, v4
	v_add_co_u32_e32 v4, vcc, v16, v4
	v_addc_co_u32_e32 v5, vcc, v17, v5, vcc
	flat_load_dwordx4 v[4:7], v[4:5]
	v_add_u32_e32 v3, 16, v3
	v_sub_u32_e32 v2, v8, v2
	v_ashrrev_i32_e32 v8, 31, v3
	v_lshrrev_b32_e32 v8, 28, v8
	v_add_u32_e32 v0, v14, v0
	v_add_u32_e32 v8, v3, v8
	v_sub_u32_e32 v0, v13, v0
	v_lshrrev_b32_e32 v11, 4, v8
	v_add_u32_e32 v0, v0, v11
	v_xor_b32_e32 v0, v0, v1
	v_and_b32_e32 v8, -16, v8
	v_sub_u32_e32 v0, v0, v9
	v_add_u32_e32 v2, v2, v10
	v_sub_u32_e32 v3, v3, v8
	v_lshlrev_b32_e32 v0, 4, v0
	v_add3_u32 v0, v2, v3, v0
	v_ashrrev_i32_e32 v1, 31, v0
	v_add_co_u32_e32 v0, vcc, v16, v0
	v_addc_co_u32_e32 v1, vcc, v17, v1, vcc
	s_waitcnt vmcnt(0) lgkmcnt(0)
	buffer_store_dword v4, off, s[0:3], s33 offset:84
	buffer_store_dword v5, off, s[0:3], s33 offset:88
	;; [unrolled: 1-line block ×4, first 2 shown]
	flat_load_dwordx4 v[0:3], v[0:1]
	s_nop 0
	buffer_load_dword v4, off, s[0:3], s33 offset:372
	buffer_load_dword v5, off, s[0:3], s33 offset:376
	;; [unrolled: 1-line block ×4, first 2 shown]
	s_waitcnt vmcnt(0) lgkmcnt(0)
	buffer_store_dword v0, off, s[0:3], s33 offset:100
	buffer_store_dword v1, off, s[0:3], s33 offset:104
	;; [unrolled: 1-line block ×4, first 2 shown]
	;;#ASMSTART
	v_cvt_off_f32_i4 v0, v4
v_cvt_off_f32_i4 v1, v4, src0_sel:BYTE_2
v_cvt_pk_fp8_f32 v3, v0, v1
v_cvt_off_f32_i4 v0, v4, src0_sel:BYTE_1
v_cvt_off_f32_i4 v1, v4, src0_sel:BYTE_3
v_cvt_pk_fp8_f32 v8, v0, v1
v_lshrrev_b32 v2, 4, v4
v_cvt_off_f32_i4 v0, v2
v_cvt_off_f32_i4 v1, v2, src0_sel:BYTE_2
v_cvt_pk_fp8_f32 v3, v0, v1, op_sel:[0, 0, 1]
v_cvt_off_f32_i4 v0, v2, src0_sel:BYTE_1
v_cvt_off_f32_i4 v1, v2, src0_sel:BYTE_3
v_cvt_pk_fp8_f32 v8, v0, v1, op_sel:[0, 0, 1]

	;;#ASMEND
	;;#ASMSTART
	v_cvt_off_f32_i4 v0, v5
v_cvt_off_f32_i4 v1, v5, src0_sel:BYTE_2
v_cvt_pk_fp8_f32 v4, v0, v1
v_cvt_off_f32_i4 v0, v5, src0_sel:BYTE_1
v_cvt_off_f32_i4 v1, v5, src0_sel:BYTE_3
v_cvt_pk_fp8_f32 v9, v0, v1
v_lshrrev_b32 v2, 4, v5
v_cvt_off_f32_i4 v0, v2
v_cvt_off_f32_i4 v1, v2, src0_sel:BYTE_2
v_cvt_pk_fp8_f32 v4, v0, v1, op_sel:[0, 0, 1]
v_cvt_off_f32_i4 v0, v2, src0_sel:BYTE_1
v_cvt_off_f32_i4 v1, v2, src0_sel:BYTE_3
v_cvt_pk_fp8_f32 v9, v0, v1, op_sel:[0, 0, 1]

	;;#ASMEND
	;; [unrolled: 16-line block ×4, first 2 shown]
	buffer_load_dword v0, off, s[0:3], s33 offset:404
	buffer_load_dword v1, off, s[0:3], s33 offset:408
	buffer_load_dword v2, off, s[0:3], s33 offset:412
	buffer_load_dword v7, off, s[0:3], s33 offset:416
	s_nop 0
	buffer_store_dword v3, off, s[0:3], s33 offset:884
	buffer_store_dword v8, off, s[0:3], s33 offset:888
	;; [unrolled: 1-line block ×8, first 2 shown]
	s_waitcnt vmcnt(11)
	;;#ASMSTART
	v_cvt_off_f32_i4 v3, v0
v_cvt_off_f32_i4 v4, v0, src0_sel:BYTE_2
v_cvt_pk_fp8_f32 v6, v3, v4
v_cvt_off_f32_i4 v3, v0, src0_sel:BYTE_1
v_cvt_off_f32_i4 v4, v0, src0_sel:BYTE_3
v_cvt_pk_fp8_f32 v8, v3, v4
v_lshrrev_b32 v5, 4, v0
v_cvt_off_f32_i4 v3, v5
v_cvt_off_f32_i4 v4, v5, src0_sel:BYTE_2
v_cvt_pk_fp8_f32 v6, v3, v4, op_sel:[0, 0, 1]
v_cvt_off_f32_i4 v3, v5, src0_sel:BYTE_1
v_cvt_off_f32_i4 v4, v5, src0_sel:BYTE_3
v_cvt_pk_fp8_f32 v8, v3, v4, op_sel:[0, 0, 1]

	;;#ASMEND
	s_waitcnt vmcnt(10)
	;;#ASMSTART
	v_cvt_off_f32_i4 v0, v1
v_cvt_off_f32_i4 v3, v1, src0_sel:BYTE_2
v_cvt_pk_fp8_f32 v5, v0, v3
v_cvt_off_f32_i4 v0, v1, src0_sel:BYTE_1
v_cvt_off_f32_i4 v3, v1, src0_sel:BYTE_3
v_cvt_pk_fp8_f32 v9, v0, v3
v_lshrrev_b32 v4, 4, v1
v_cvt_off_f32_i4 v0, v4
v_cvt_off_f32_i4 v3, v4, src0_sel:BYTE_2
v_cvt_pk_fp8_f32 v5, v0, v3, op_sel:[0, 0, 1]
v_cvt_off_f32_i4 v0, v4, src0_sel:BYTE_1
v_cvt_off_f32_i4 v3, v4, src0_sel:BYTE_3
v_cvt_pk_fp8_f32 v9, v0, v3, op_sel:[0, 0, 1]

	;;#ASMEND
	;; [unrolled: 17-line block ×4, first 2 shown]
	buffer_load_dword v0, off, s[0:3], s33 offset:436
	buffer_load_dword v1, off, s[0:3], s33 offset:440
	;; [unrolled: 1-line block ×4, first 2 shown]
	s_nop 0
	buffer_store_dword v6, off, s[0:3], s33 offset:916
	buffer_store_dword v8, off, s[0:3], s33 offset:920
	;; [unrolled: 1-line block ×8, first 2 shown]
	s_waitcnt vmcnt(11)
	;;#ASMSTART
	v_cvt_off_f32_i4 v3, v0
v_cvt_off_f32_i4 v4, v0, src0_sel:BYTE_2
v_cvt_pk_fp8_f32 v6, v3, v4
v_cvt_off_f32_i4 v3, v0, src0_sel:BYTE_1
v_cvt_off_f32_i4 v4, v0, src0_sel:BYTE_3
v_cvt_pk_fp8_f32 v8, v3, v4
v_lshrrev_b32 v5, 4, v0
v_cvt_off_f32_i4 v3, v5
v_cvt_off_f32_i4 v4, v5, src0_sel:BYTE_2
v_cvt_pk_fp8_f32 v6, v3, v4, op_sel:[0, 0, 1]
v_cvt_off_f32_i4 v3, v5, src0_sel:BYTE_1
v_cvt_off_f32_i4 v4, v5, src0_sel:BYTE_3
v_cvt_pk_fp8_f32 v8, v3, v4, op_sel:[0, 0, 1]

	;;#ASMEND
	s_waitcnt vmcnt(10)
	;;#ASMSTART
	v_cvt_off_f32_i4 v0, v1
v_cvt_off_f32_i4 v3, v1, src0_sel:BYTE_2
v_cvt_pk_fp8_f32 v5, v0, v3
v_cvt_off_f32_i4 v0, v1, src0_sel:BYTE_1
v_cvt_off_f32_i4 v3, v1, src0_sel:BYTE_3
v_cvt_pk_fp8_f32 v9, v0, v3
v_lshrrev_b32 v4, 4, v1
v_cvt_off_f32_i4 v0, v4
v_cvt_off_f32_i4 v3, v4, src0_sel:BYTE_2
v_cvt_pk_fp8_f32 v5, v0, v3, op_sel:[0, 0, 1]
v_cvt_off_f32_i4 v0, v4, src0_sel:BYTE_1
v_cvt_off_f32_i4 v3, v4, src0_sel:BYTE_3
v_cvt_pk_fp8_f32 v9, v0, v3, op_sel:[0, 0, 1]

	;;#ASMEND
	;; [unrolled: 17-line block ×4, first 2 shown]
	buffer_load_dword v0, off, s[0:3], s33 offset:468
	buffer_load_dword v1, off, s[0:3], s33 offset:472
	;; [unrolled: 1-line block ×4, first 2 shown]
	s_nop 0
	buffer_store_dword v6, off, s[0:3], s33 offset:948
	buffer_store_dword v8, off, s[0:3], s33 offset:952
	;; [unrolled: 1-line block ×8, first 2 shown]
	s_waitcnt vmcnt(11)
	;;#ASMSTART
	v_cvt_off_f32_i4 v3, v0
v_cvt_off_f32_i4 v4, v0, src0_sel:BYTE_2
v_cvt_pk_fp8_f32 v6, v3, v4
v_cvt_off_f32_i4 v3, v0, src0_sel:BYTE_1
v_cvt_off_f32_i4 v4, v0, src0_sel:BYTE_3
v_cvt_pk_fp8_f32 v8, v3, v4
v_lshrrev_b32 v5, 4, v0
v_cvt_off_f32_i4 v3, v5
v_cvt_off_f32_i4 v4, v5, src0_sel:BYTE_2
v_cvt_pk_fp8_f32 v6, v3, v4, op_sel:[0, 0, 1]
v_cvt_off_f32_i4 v3, v5, src0_sel:BYTE_1
v_cvt_off_f32_i4 v4, v5, src0_sel:BYTE_3
v_cvt_pk_fp8_f32 v8, v3, v4, op_sel:[0, 0, 1]

	;;#ASMEND
	s_waitcnt vmcnt(10)
	;;#ASMSTART
	v_cvt_off_f32_i4 v0, v1
v_cvt_off_f32_i4 v3, v1, src0_sel:BYTE_2
v_cvt_pk_fp8_f32 v5, v0, v3
v_cvt_off_f32_i4 v0, v1, src0_sel:BYTE_1
v_cvt_off_f32_i4 v3, v1, src0_sel:BYTE_3
v_cvt_pk_fp8_f32 v9, v0, v3
v_lshrrev_b32 v4, 4, v1
v_cvt_off_f32_i4 v0, v4
v_cvt_off_f32_i4 v3, v4, src0_sel:BYTE_2
v_cvt_pk_fp8_f32 v5, v0, v3, op_sel:[0, 0, 1]
v_cvt_off_f32_i4 v0, v4, src0_sel:BYTE_1
v_cvt_off_f32_i4 v3, v4, src0_sel:BYTE_3
v_cvt_pk_fp8_f32 v9, v0, v3, op_sel:[0, 0, 1]

	;;#ASMEND
	;; [unrolled: 17-line block ×4, first 2 shown]
	buffer_load_dword v0, off, s[0:3], s33 offset:500
	buffer_load_dword v1, off, s[0:3], s33 offset:504
	;; [unrolled: 1-line block ×4, first 2 shown]
	s_nop 0
	buffer_store_dword v6, off, s[0:3], s33 offset:980
	buffer_store_dword v8, off, s[0:3], s33 offset:984
	;; [unrolled: 1-line block ×8, first 2 shown]
	s_waitcnt vmcnt(11)
	;;#ASMSTART
	v_cvt_off_f32_i4 v3, v0
v_cvt_off_f32_i4 v4, v0, src0_sel:BYTE_2
v_cvt_pk_fp8_f32 v6, v3, v4
v_cvt_off_f32_i4 v3, v0, src0_sel:BYTE_1
v_cvt_off_f32_i4 v4, v0, src0_sel:BYTE_3
v_cvt_pk_fp8_f32 v8, v3, v4
v_lshrrev_b32 v5, 4, v0
v_cvt_off_f32_i4 v3, v5
v_cvt_off_f32_i4 v4, v5, src0_sel:BYTE_2
v_cvt_pk_fp8_f32 v6, v3, v4, op_sel:[0, 0, 1]
v_cvt_off_f32_i4 v3, v5, src0_sel:BYTE_1
v_cvt_off_f32_i4 v4, v5, src0_sel:BYTE_3
v_cvt_pk_fp8_f32 v8, v3, v4, op_sel:[0, 0, 1]

	;;#ASMEND
	s_waitcnt vmcnt(10)
	;;#ASMSTART
	v_cvt_off_f32_i4 v0, v1
v_cvt_off_f32_i4 v3, v1, src0_sel:BYTE_2
v_cvt_pk_fp8_f32 v5, v0, v3
v_cvt_off_f32_i4 v0, v1, src0_sel:BYTE_1
v_cvt_off_f32_i4 v3, v1, src0_sel:BYTE_3
v_cvt_pk_fp8_f32 v9, v0, v3
v_lshrrev_b32 v4, 4, v1
v_cvt_off_f32_i4 v0, v4
v_cvt_off_f32_i4 v3, v4, src0_sel:BYTE_2
v_cvt_pk_fp8_f32 v5, v0, v3, op_sel:[0, 0, 1]
v_cvt_off_f32_i4 v0, v4, src0_sel:BYTE_1
v_cvt_off_f32_i4 v3, v4, src0_sel:BYTE_3
v_cvt_pk_fp8_f32 v9, v0, v3, op_sel:[0, 0, 1]

	;;#ASMEND
	;; [unrolled: 17-line block ×4, first 2 shown]
	buffer_load_dword v0, off, s[0:3], s33 offset:532
	buffer_load_dword v1, off, s[0:3], s33 offset:536
	;; [unrolled: 1-line block ×4, first 2 shown]
	s_nop 0
	buffer_store_dword v6, off, s[0:3], s33 offset:1012
	buffer_store_dword v8, off, s[0:3], s33 offset:1016
	;; [unrolled: 1-line block ×8, first 2 shown]
	s_waitcnt vmcnt(11)
	;;#ASMSTART
	v_cvt_off_f32_i4 v3, v0
v_cvt_off_f32_i4 v4, v0, src0_sel:BYTE_2
v_cvt_pk_fp8_f32 v6, v3, v4
v_cvt_off_f32_i4 v3, v0, src0_sel:BYTE_1
v_cvt_off_f32_i4 v4, v0, src0_sel:BYTE_3
v_cvt_pk_fp8_f32 v8, v3, v4
v_lshrrev_b32 v5, 4, v0
v_cvt_off_f32_i4 v3, v5
v_cvt_off_f32_i4 v4, v5, src0_sel:BYTE_2
v_cvt_pk_fp8_f32 v6, v3, v4, op_sel:[0, 0, 1]
v_cvt_off_f32_i4 v3, v5, src0_sel:BYTE_1
v_cvt_off_f32_i4 v4, v5, src0_sel:BYTE_3
v_cvt_pk_fp8_f32 v8, v3, v4, op_sel:[0, 0, 1]

	;;#ASMEND
	s_waitcnt vmcnt(10)
	;;#ASMSTART
	v_cvt_off_f32_i4 v0, v1
v_cvt_off_f32_i4 v3, v1, src0_sel:BYTE_2
v_cvt_pk_fp8_f32 v5, v0, v3
v_cvt_off_f32_i4 v0, v1, src0_sel:BYTE_1
v_cvt_off_f32_i4 v3, v1, src0_sel:BYTE_3
v_cvt_pk_fp8_f32 v9, v0, v3
v_lshrrev_b32 v4, 4, v1
v_cvt_off_f32_i4 v0, v4
v_cvt_off_f32_i4 v3, v4, src0_sel:BYTE_2
v_cvt_pk_fp8_f32 v5, v0, v3, op_sel:[0, 0, 1]
v_cvt_off_f32_i4 v0, v4, src0_sel:BYTE_1
v_cvt_off_f32_i4 v3, v4, src0_sel:BYTE_3
v_cvt_pk_fp8_f32 v9, v0, v3, op_sel:[0, 0, 1]

	;;#ASMEND
	;; [unrolled: 17-line block ×4, first 2 shown]
	buffer_load_dword v0, off, s[0:3], s33 offset:564
	buffer_load_dword v1, off, s[0:3], s33 offset:568
	;; [unrolled: 1-line block ×4, first 2 shown]
	s_nop 0
	buffer_store_dword v6, off, s[0:3], s33 offset:1044
	buffer_store_dword v8, off, s[0:3], s33 offset:1048
	;; [unrolled: 1-line block ×8, first 2 shown]
	s_waitcnt vmcnt(11)
	;;#ASMSTART
	v_cvt_off_f32_i4 v3, v0
v_cvt_off_f32_i4 v4, v0, src0_sel:BYTE_2
v_cvt_pk_fp8_f32 v6, v3, v4
v_cvt_off_f32_i4 v3, v0, src0_sel:BYTE_1
v_cvt_off_f32_i4 v4, v0, src0_sel:BYTE_3
v_cvt_pk_fp8_f32 v8, v3, v4
v_lshrrev_b32 v5, 4, v0
v_cvt_off_f32_i4 v3, v5
v_cvt_off_f32_i4 v4, v5, src0_sel:BYTE_2
v_cvt_pk_fp8_f32 v6, v3, v4, op_sel:[0, 0, 1]
v_cvt_off_f32_i4 v3, v5, src0_sel:BYTE_1
v_cvt_off_f32_i4 v4, v5, src0_sel:BYTE_3
v_cvt_pk_fp8_f32 v8, v3, v4, op_sel:[0, 0, 1]

	;;#ASMEND
	s_waitcnt vmcnt(10)
	;;#ASMSTART
	v_cvt_off_f32_i4 v0, v1
v_cvt_off_f32_i4 v3, v1, src0_sel:BYTE_2
v_cvt_pk_fp8_f32 v5, v0, v3
v_cvt_off_f32_i4 v0, v1, src0_sel:BYTE_1
v_cvt_off_f32_i4 v3, v1, src0_sel:BYTE_3
v_cvt_pk_fp8_f32 v9, v0, v3
v_lshrrev_b32 v4, 4, v1
v_cvt_off_f32_i4 v0, v4
v_cvt_off_f32_i4 v3, v4, src0_sel:BYTE_2
v_cvt_pk_fp8_f32 v5, v0, v3, op_sel:[0, 0, 1]
v_cvt_off_f32_i4 v0, v4, src0_sel:BYTE_1
v_cvt_off_f32_i4 v3, v4, src0_sel:BYTE_3
v_cvt_pk_fp8_f32 v9, v0, v3, op_sel:[0, 0, 1]

	;;#ASMEND
	;; [unrolled: 17-line block ×4, first 2 shown]
	buffer_load_dword v0, off, s[0:3], s33 offset:596
	buffer_load_dword v1, off, s[0:3], s33 offset:600
	;; [unrolled: 1-line block ×4, first 2 shown]
	s_nop 0
	buffer_store_dword v6, off, s[0:3], s33 offset:1076
	buffer_store_dword v8, off, s[0:3], s33 offset:1080
	;; [unrolled: 1-line block ×8, first 2 shown]
	s_waitcnt vmcnt(11)
	;;#ASMSTART
	v_cvt_off_f32_i4 v3, v0
v_cvt_off_f32_i4 v4, v0, src0_sel:BYTE_2
v_cvt_pk_fp8_f32 v6, v3, v4
v_cvt_off_f32_i4 v3, v0, src0_sel:BYTE_1
v_cvt_off_f32_i4 v4, v0, src0_sel:BYTE_3
v_cvt_pk_fp8_f32 v8, v3, v4
v_lshrrev_b32 v5, 4, v0
v_cvt_off_f32_i4 v3, v5
v_cvt_off_f32_i4 v4, v5, src0_sel:BYTE_2
v_cvt_pk_fp8_f32 v6, v3, v4, op_sel:[0, 0, 1]
v_cvt_off_f32_i4 v3, v5, src0_sel:BYTE_1
v_cvt_off_f32_i4 v4, v5, src0_sel:BYTE_3
v_cvt_pk_fp8_f32 v8, v3, v4, op_sel:[0, 0, 1]

	;;#ASMEND
	s_waitcnt vmcnt(10)
	;;#ASMSTART
	v_cvt_off_f32_i4 v0, v1
v_cvt_off_f32_i4 v3, v1, src0_sel:BYTE_2
v_cvt_pk_fp8_f32 v5, v0, v3
v_cvt_off_f32_i4 v0, v1, src0_sel:BYTE_1
v_cvt_off_f32_i4 v3, v1, src0_sel:BYTE_3
v_cvt_pk_fp8_f32 v9, v0, v3
v_lshrrev_b32 v4, 4, v1
v_cvt_off_f32_i4 v0, v4
v_cvt_off_f32_i4 v3, v4, src0_sel:BYTE_2
v_cvt_pk_fp8_f32 v5, v0, v3, op_sel:[0, 0, 1]
v_cvt_off_f32_i4 v0, v4, src0_sel:BYTE_1
v_cvt_off_f32_i4 v3, v4, src0_sel:BYTE_3
v_cvt_pk_fp8_f32 v9, v0, v3, op_sel:[0, 0, 1]

	;;#ASMEND
	;; [unrolled: 17-line block ×4, first 2 shown]
	buffer_store_dword v6, off, s[0:3], s33 offset:1108
	buffer_store_dword v8, off, s[0:3], s33 offset:1112
	;; [unrolled: 1-line block ×8, first 2 shown]
	; sched_barrier mask(0x00000000)
	v_lshrrev_b32_e64 v0, 6, s33
	v_add_u32_e32 v0, 8, v0
	v_mov_b32_e32 v1, s17
	buffer_store_dword v36, off, s[0:3], s33 offset:12
	buffer_store_dword v37, off, s[0:3], s33 offset:8
	;; [unrolled: 1-line block ×8, first 2 shown]
	s_getpc_b64 s[4:5]
	s_add_u32 s4, s4, _ZNK2ck6detail7applierIiJLi0ELi1ELi2ELi3ELi4ELi5ELi6ELi7EEEclIZNKS_11static_fordINS_8SequenceIJLi1ELi8EEEENS5_IJLi0ELi1EEEEEclIZZNKS_52BlockwiseGemmXdlops_pipeline_bpreshuffle_bdequant_v3ILNS_26BlockGemmPipelineSchedulerE0ELi256ENS_9f8_fnuz_tENS_7pk_i4_tESC_fNS_16TensorDescriptorINS_5TupleIJNS_5EmbedINSF_IJNS_17integral_constantIiLi8EEENSH_IiLi256EEENSH_IiLi16EEEEEENSF_IJSK_NSH_IiLi128EEENSH_IiLi1EEEEEELb0EEENS_3XorINSF_IJSJ_SI_EEELb1EEENS_11PassThroughISK_EENS_7UnMergeINSF_IJSI_SN_EEELb0EEENST_ISJ_EESU_NST_ISI_EENS_21Merge_v3_division_modINSF_IJSJ_SN_EEEEESU_EEENSF_IJNS5_IJLi0EEEENS5_IJLi2ELi1EEEENS5_IJLi3EEEENS5_IJLi5EEEENS5_IJLi4EEEENS5_IJLi6EEEENS5_IJLi7EEEENS5_IJLi9ELi8EEEENS5_IJLi10EEEEEEENSF_IJNS5_IJLi1ELi2ELi3EEEENS5_IJLi4ELi5EEEES19_NS5_IJLi7ELi8EEEENS5_IJLi9EEEES1C_NS5_IJLi11EEEENS5_IJLi12EEEENS5_IJLi13EEEEEEENS5_IJLi11ELi12ELi13EEEENSH_IlLl32768EEEEENSE_INSF_IJNSV_INSF_IJSI_SN_SN_NSH_IiLi32EEEEEELb0EEEEEENSF_IJS14_EEENSF_IJNS5_IJLi1ELi2ELi3ELi4EEEEEEES1U_NSH_IlLl256EEEEENSE_INSF_IJSP_SS_SU_SX_SY_SU_SZ_S12_SU_NS10_INSF_IJSI_SK_EEEEENSV_INSF_IJSI_NSH_IiLi2EEESK_EEELb0EEEEEENSF_IJS14_S15_S16_S17_S18_S19_S1A_S1B_S1C_NS5_IJLi11ELi13EEEES1J_EEENSF_IJS1E_S1F_S19_S1G_S1H_S1C_S1I_S1J_S1K_NS5_IJLi14EEEENS5_IJLi15ELi16ELi17EEEEEEENS5_IJLi15ELi16ELi17ELi14EEEES1N_EENSE_INSF_IJS1R_NS10_ISW_EES22_EEENSF_IJS14_NS5_IJLi1ELi3EEEENS5_IJLi2EEEEEEENSF_IJS1U_S17_NS5_IJLi6ELi7ELi8EEEEEEENS5_IJLi6ELi7ELi8ELi5EEEES1W_EELi16ELi32ELi256ELi256ELi128ELi16ELi16ELi8ELi8ELi32ELb0EE3RunILb1ELNS_10TailNumberE1ENSE_INSF_IJNSG_INSF_IJiiEEENSF_IJiSN_EEELb0EEENSV_IS2N_Lb0EEENST_IiEEEEENSF_IJS14_S2E_NS5_IJLi1EEEEEEENSF_IJNS5_IJLi1ELi2EEEENS5_IJLi3ELi4EEEES17_EEENS5_IJLi3ELi5ELi4EEEElEES1O_NS_35ThreadGroupTensorSliceTransfer_v4r1INS_15ThisThreadBlockILi256EEENS_16tensor_operation12element_wise11PassThroughES35_LNS_25InMemoryDataOperationEnumE0ENS5_IJLi8ELi256ELi16EEEENS5_IJLi8ELi32ELi1EEEENS5_IJLi1ELi0ELi2EEEESC_SC_RKS2Z_KS1O_S39_NS5_IJLi0ELi1ELi2EEEELi2ELi2ELi16ELi16ELi1ELi1ELb0ELb1ELi2EiEENS_13DynamicBufferILNS_16AddressSpaceEnumE1EKSC_lLb1ELNS_22AmdBufferCoherenceEnumE0EiEENSF_IJNS3F_ILS3G_2ESC_S1N_Lb1ELS3I_0EiEES3K_EEENSF_IJiiiEEENSE_INSF_IJNSG_INSF_IJiiiiEEENSF_IJiiiSN_EEELb0EEEEEES1T_S1V_S1U_lEENS_32ThreadwiseTensorSliceTransfer_v2ISD_SD_RKS3R_KS1X_NS5_IJLi8ELi1ELi1ELi32EEEENS5_IJLi1ELi2ELi0ELi3EEEELi3ELi32ELi0ELb1ELb0ELb0EEENS3F_ILS3G_1EKSD_lLb1ELS3I_0EiEENSF_IJNS_12StaticBufferILS3G_4ESD_Li256ELb1EEES42_EEES3N_NS_25StaticBufferTupleOfVectorILS3G_4EfLi64ELi4ELb1ELb0EEEEEvRKT1_RKT2_RT3_RKT4_RT5_RKT6_RKT7_RT8_RKT9_RT10_RKT11_RT12_iENKUlT_E1_clINSH_IiLi5EEEEEDaS51_EUlS51_E_EEvS51_EUlS51_E_EEvS51_@rel32@lo+4
	s_addc_u32 s5, s5, _ZNK2ck6detail7applierIiJLi0ELi1ELi2ELi3ELi4ELi5ELi6ELi7EEEclIZNKS_11static_fordINS_8SequenceIJLi1ELi8EEEENS5_IJLi0ELi1EEEEEclIZZNKS_52BlockwiseGemmXdlops_pipeline_bpreshuffle_bdequant_v3ILNS_26BlockGemmPipelineSchedulerE0ELi256ENS_9f8_fnuz_tENS_7pk_i4_tESC_fNS_16TensorDescriptorINS_5TupleIJNS_5EmbedINSF_IJNS_17integral_constantIiLi8EEENSH_IiLi256EEENSH_IiLi16EEEEEENSF_IJSK_NSH_IiLi128EEENSH_IiLi1EEEEEELb0EEENS_3XorINSF_IJSJ_SI_EEELb1EEENS_11PassThroughISK_EENS_7UnMergeINSF_IJSI_SN_EEELb0EEENST_ISJ_EESU_NST_ISI_EENS_21Merge_v3_division_modINSF_IJSJ_SN_EEEEESU_EEENSF_IJNS5_IJLi0EEEENS5_IJLi2ELi1EEEENS5_IJLi3EEEENS5_IJLi5EEEENS5_IJLi4EEEENS5_IJLi6EEEENS5_IJLi7EEEENS5_IJLi9ELi8EEEENS5_IJLi10EEEEEEENSF_IJNS5_IJLi1ELi2ELi3EEEENS5_IJLi4ELi5EEEES19_NS5_IJLi7ELi8EEEENS5_IJLi9EEEES1C_NS5_IJLi11EEEENS5_IJLi12EEEENS5_IJLi13EEEEEEENS5_IJLi11ELi12ELi13EEEENSH_IlLl32768EEEEENSE_INSF_IJNSV_INSF_IJSI_SN_SN_NSH_IiLi32EEEEEELb0EEEEEENSF_IJS14_EEENSF_IJNS5_IJLi1ELi2ELi3ELi4EEEEEEES1U_NSH_IlLl256EEEEENSE_INSF_IJSP_SS_SU_SX_SY_SU_SZ_S12_SU_NS10_INSF_IJSI_SK_EEEEENSV_INSF_IJSI_NSH_IiLi2EEESK_EEELb0EEEEEENSF_IJS14_S15_S16_S17_S18_S19_S1A_S1B_S1C_NS5_IJLi11ELi13EEEES1J_EEENSF_IJS1E_S1F_S19_S1G_S1H_S1C_S1I_S1J_S1K_NS5_IJLi14EEEENS5_IJLi15ELi16ELi17EEEEEEENS5_IJLi15ELi16ELi17ELi14EEEES1N_EENSE_INSF_IJS1R_NS10_ISW_EES22_EEENSF_IJS14_NS5_IJLi1ELi3EEEENS5_IJLi2EEEEEEENSF_IJS1U_S17_NS5_IJLi6ELi7ELi8EEEEEEENS5_IJLi6ELi7ELi8ELi5EEEES1W_EELi16ELi32ELi256ELi256ELi128ELi16ELi16ELi8ELi8ELi32ELb0EE3RunILb1ELNS_10TailNumberE1ENSE_INSF_IJNSG_INSF_IJiiEEENSF_IJiSN_EEELb0EEENSV_IS2N_Lb0EEENST_IiEEEEENSF_IJS14_S2E_NS5_IJLi1EEEEEEENSF_IJNS5_IJLi1ELi2EEEENS5_IJLi3ELi4EEEES17_EEENS5_IJLi3ELi5ELi4EEEElEES1O_NS_35ThreadGroupTensorSliceTransfer_v4r1INS_15ThisThreadBlockILi256EEENS_16tensor_operation12element_wise11PassThroughES35_LNS_25InMemoryDataOperationEnumE0ENS5_IJLi8ELi256ELi16EEEENS5_IJLi8ELi32ELi1EEEENS5_IJLi1ELi0ELi2EEEESC_SC_RKS2Z_KS1O_S39_NS5_IJLi0ELi1ELi2EEEELi2ELi2ELi16ELi16ELi1ELi1ELb0ELb1ELi2EiEENS_13DynamicBufferILNS_16AddressSpaceEnumE1EKSC_lLb1ELNS_22AmdBufferCoherenceEnumE0EiEENSF_IJNS3F_ILS3G_2ESC_S1N_Lb1ELS3I_0EiEES3K_EEENSF_IJiiiEEENSE_INSF_IJNSG_INSF_IJiiiiEEENSF_IJiiiSN_EEELb0EEEEEES1T_S1V_S1U_lEENS_32ThreadwiseTensorSliceTransfer_v2ISD_SD_RKS3R_KS1X_NS5_IJLi8ELi1ELi1ELi32EEEENS5_IJLi1ELi2ELi0ELi3EEEELi3ELi32ELi0ELb1ELb0ELb0EEENS3F_ILS3G_1EKSD_lLb1ELS3I_0EiEENSF_IJNS_12StaticBufferILS3G_4ESD_Li256ELb1EEES42_EEES3N_NS_25StaticBufferTupleOfVectorILS3G_4EfLi64ELi4ELb1ELb0EEEEEvRKT1_RKT2_RT3_RKT4_RT5_RKT6_RKT7_RT8_RKT9_RT10_RKT11_RT12_iENKUlT_E1_clINSH_IiLi5EEEEEDaS51_EUlS51_E_EEvS51_EUlS51_E_EEvS51_@rel32@hi+12
	s_swappc_b64 s[30:31], s[4:5]
	flat_load_dwordx2 v[12:13], v[30:31] offset:1148
	flat_load_dwordx2 v[14:15], v[30:31] offset:1164
	flat_load_dwordx4 v[0:3], v[30:31] offset:1176
	flat_load_dwordx3 v[8:10], v[30:31] offset:1132
	flat_load_dwordx2 v[16:17], v[28:29] offset:16
	; sched_group_barrier mask(0x00000008) size(16) SyncID(0)
	; sched_group_barrier mask(0x00000100) size(1) SyncID(0)
	;; [unrolled: 1-line block ×4, first 2 shown]
	s_waitcnt vmcnt(0) lgkmcnt(0)
	v_sub_u32_e32 v4, v12, v15
	v_add3_u32 v1, v4, v1, s16
	v_ashrrev_i32_e32 v4, 31, v1
	v_lshrrev_b32_e32 v4, 29, v4
	v_add_u32_e32 v4, v1, v4
	v_and_b32_e32 v4, -8, v4
	v_sub_u32_e32 v5, v13, v14
	v_sub_u32_e32 v6, v1, v10
	;; [unrolled: 1-line block ×3, first 2 shown]
	v_xor_b32_e32 v4, v1, v5
	v_sub_u32_e32 v4, v4, v9
	v_lshlrev_b32_e32 v10, 7, v6
	v_lshlrev_b32_e32 v4, 4, v4
	v_add3_u32 v4, v10, v8, v4
	v_ashrrev_i32_e32 v5, 31, v4
	v_add_co_u32_e32 v4, vcc, v16, v4
	v_addc_co_u32_e32 v5, vcc, v17, v5, vcc
	flat_load_dwordx4 v[4:7], v[4:5]
	v_add_u32_e32 v3, 16, v3
	v_sub_u32_e32 v2, v8, v2
	v_ashrrev_i32_e32 v8, 31, v3
	v_lshrrev_b32_e32 v8, 28, v8
	v_add_u32_e32 v0, v14, v0
	v_add_u32_e32 v8, v3, v8
	v_sub_u32_e32 v0, v13, v0
	v_lshrrev_b32_e32 v11, 4, v8
	v_add_u32_e32 v0, v0, v11
	v_xor_b32_e32 v0, v0, v1
	v_and_b32_e32 v8, -16, v8
	v_sub_u32_e32 v0, v0, v9
	v_add_u32_e32 v2, v2, v10
	v_sub_u32_e32 v3, v3, v8
	v_lshlrev_b32_e32 v0, 4, v0
	v_add3_u32 v0, v2, v3, v0
	v_ashrrev_i32_e32 v1, 31, v0
	v_add_co_u32_e32 v0, vcc, v16, v0
	v_addc_co_u32_e32 v1, vcc, v17, v1, vcc
	s_waitcnt vmcnt(0) lgkmcnt(0)
	buffer_store_dword v4, off, s[0:3], s33 offset:52
	buffer_store_dword v5, off, s[0:3], s33 offset:56
	;; [unrolled: 1-line block ×4, first 2 shown]
	flat_load_dwordx4 v[0:3], v[0:1]
	s_nop 0
	buffer_load_dword v4, off, s[0:3], s33 offset:372
	buffer_load_dword v5, off, s[0:3], s33 offset:376
	;; [unrolled: 1-line block ×4, first 2 shown]
	s_waitcnt vmcnt(0) lgkmcnt(0)
	buffer_store_dword v0, off, s[0:3], s33 offset:68
	buffer_store_dword v1, off, s[0:3], s33 offset:72
	;; [unrolled: 1-line block ×4, first 2 shown]
	;;#ASMSTART
	v_cvt_off_f32_i4 v0, v4
v_cvt_off_f32_i4 v1, v4, src0_sel:BYTE_2
v_cvt_pk_fp8_f32 v3, v0, v1
v_cvt_off_f32_i4 v0, v4, src0_sel:BYTE_1
v_cvt_off_f32_i4 v1, v4, src0_sel:BYTE_3
v_cvt_pk_fp8_f32 v8, v0, v1
v_lshrrev_b32 v2, 4, v4
v_cvt_off_f32_i4 v0, v2
v_cvt_off_f32_i4 v1, v2, src0_sel:BYTE_2
v_cvt_pk_fp8_f32 v3, v0, v1, op_sel:[0, 0, 1]
v_cvt_off_f32_i4 v0, v2, src0_sel:BYTE_1
v_cvt_off_f32_i4 v1, v2, src0_sel:BYTE_3
v_cvt_pk_fp8_f32 v8, v0, v1, op_sel:[0, 0, 1]

	;;#ASMEND
	;;#ASMSTART
	v_cvt_off_f32_i4 v0, v5
v_cvt_off_f32_i4 v1, v5, src0_sel:BYTE_2
v_cvt_pk_fp8_f32 v4, v0, v1
v_cvt_off_f32_i4 v0, v5, src0_sel:BYTE_1
v_cvt_off_f32_i4 v1, v5, src0_sel:BYTE_3
v_cvt_pk_fp8_f32 v9, v0, v1
v_lshrrev_b32 v2, 4, v5
v_cvt_off_f32_i4 v0, v2
v_cvt_off_f32_i4 v1, v2, src0_sel:BYTE_2
v_cvt_pk_fp8_f32 v4, v0, v1, op_sel:[0, 0, 1]
v_cvt_off_f32_i4 v0, v2, src0_sel:BYTE_1
v_cvt_off_f32_i4 v1, v2, src0_sel:BYTE_3
v_cvt_pk_fp8_f32 v9, v0, v1, op_sel:[0, 0, 1]

	;;#ASMEND
	;; [unrolled: 16-line block ×4, first 2 shown]
	buffer_load_dword v0, off, s[0:3], s33 offset:404
	buffer_load_dword v1, off, s[0:3], s33 offset:408
	;; [unrolled: 1-line block ×4, first 2 shown]
	s_nop 0
	buffer_store_dword v3, off, s[0:3], s33 offset:884
	buffer_store_dword v8, off, s[0:3], s33 offset:888
	;; [unrolled: 1-line block ×8, first 2 shown]
	s_waitcnt vmcnt(11)
	;;#ASMSTART
	v_cvt_off_f32_i4 v3, v0
v_cvt_off_f32_i4 v4, v0, src0_sel:BYTE_2
v_cvt_pk_fp8_f32 v6, v3, v4
v_cvt_off_f32_i4 v3, v0, src0_sel:BYTE_1
v_cvt_off_f32_i4 v4, v0, src0_sel:BYTE_3
v_cvt_pk_fp8_f32 v8, v3, v4
v_lshrrev_b32 v5, 4, v0
v_cvt_off_f32_i4 v3, v5
v_cvt_off_f32_i4 v4, v5, src0_sel:BYTE_2
v_cvt_pk_fp8_f32 v6, v3, v4, op_sel:[0, 0, 1]
v_cvt_off_f32_i4 v3, v5, src0_sel:BYTE_1
v_cvt_off_f32_i4 v4, v5, src0_sel:BYTE_3
v_cvt_pk_fp8_f32 v8, v3, v4, op_sel:[0, 0, 1]

	;;#ASMEND
	s_waitcnt vmcnt(10)
	;;#ASMSTART
	v_cvt_off_f32_i4 v0, v1
v_cvt_off_f32_i4 v3, v1, src0_sel:BYTE_2
v_cvt_pk_fp8_f32 v5, v0, v3
v_cvt_off_f32_i4 v0, v1, src0_sel:BYTE_1
v_cvt_off_f32_i4 v3, v1, src0_sel:BYTE_3
v_cvt_pk_fp8_f32 v9, v0, v3
v_lshrrev_b32 v4, 4, v1
v_cvt_off_f32_i4 v0, v4
v_cvt_off_f32_i4 v3, v4, src0_sel:BYTE_2
v_cvt_pk_fp8_f32 v5, v0, v3, op_sel:[0, 0, 1]
v_cvt_off_f32_i4 v0, v4, src0_sel:BYTE_1
v_cvt_off_f32_i4 v3, v4, src0_sel:BYTE_3
v_cvt_pk_fp8_f32 v9, v0, v3, op_sel:[0, 0, 1]

	;;#ASMEND
	;; [unrolled: 17-line block ×4, first 2 shown]
	buffer_load_dword v0, off, s[0:3], s33 offset:436
	buffer_load_dword v1, off, s[0:3], s33 offset:440
	;; [unrolled: 1-line block ×4, first 2 shown]
	s_nop 0
	buffer_store_dword v6, off, s[0:3], s33 offset:916
	buffer_store_dword v8, off, s[0:3], s33 offset:920
	;; [unrolled: 1-line block ×8, first 2 shown]
	s_waitcnt vmcnt(11)
	;;#ASMSTART
	v_cvt_off_f32_i4 v3, v0
v_cvt_off_f32_i4 v4, v0, src0_sel:BYTE_2
v_cvt_pk_fp8_f32 v6, v3, v4
v_cvt_off_f32_i4 v3, v0, src0_sel:BYTE_1
v_cvt_off_f32_i4 v4, v0, src0_sel:BYTE_3
v_cvt_pk_fp8_f32 v8, v3, v4
v_lshrrev_b32 v5, 4, v0
v_cvt_off_f32_i4 v3, v5
v_cvt_off_f32_i4 v4, v5, src0_sel:BYTE_2
v_cvt_pk_fp8_f32 v6, v3, v4, op_sel:[0, 0, 1]
v_cvt_off_f32_i4 v3, v5, src0_sel:BYTE_1
v_cvt_off_f32_i4 v4, v5, src0_sel:BYTE_3
v_cvt_pk_fp8_f32 v8, v3, v4, op_sel:[0, 0, 1]

	;;#ASMEND
	s_waitcnt vmcnt(10)
	;;#ASMSTART
	v_cvt_off_f32_i4 v0, v1
v_cvt_off_f32_i4 v3, v1, src0_sel:BYTE_2
v_cvt_pk_fp8_f32 v5, v0, v3
v_cvt_off_f32_i4 v0, v1, src0_sel:BYTE_1
v_cvt_off_f32_i4 v3, v1, src0_sel:BYTE_3
v_cvt_pk_fp8_f32 v9, v0, v3
v_lshrrev_b32 v4, 4, v1
v_cvt_off_f32_i4 v0, v4
v_cvt_off_f32_i4 v3, v4, src0_sel:BYTE_2
v_cvt_pk_fp8_f32 v5, v0, v3, op_sel:[0, 0, 1]
v_cvt_off_f32_i4 v0, v4, src0_sel:BYTE_1
v_cvt_off_f32_i4 v3, v4, src0_sel:BYTE_3
v_cvt_pk_fp8_f32 v9, v0, v3, op_sel:[0, 0, 1]

	;;#ASMEND
	;; [unrolled: 17-line block ×4, first 2 shown]
	buffer_load_dword v0, off, s[0:3], s33 offset:468
	buffer_load_dword v1, off, s[0:3], s33 offset:472
	;; [unrolled: 1-line block ×4, first 2 shown]
	s_nop 0
	buffer_store_dword v6, off, s[0:3], s33 offset:948
	buffer_store_dword v8, off, s[0:3], s33 offset:952
	;; [unrolled: 1-line block ×8, first 2 shown]
	s_waitcnt vmcnt(11)
	;;#ASMSTART
	v_cvt_off_f32_i4 v3, v0
v_cvt_off_f32_i4 v4, v0, src0_sel:BYTE_2
v_cvt_pk_fp8_f32 v6, v3, v4
v_cvt_off_f32_i4 v3, v0, src0_sel:BYTE_1
v_cvt_off_f32_i4 v4, v0, src0_sel:BYTE_3
v_cvt_pk_fp8_f32 v8, v3, v4
v_lshrrev_b32 v5, 4, v0
v_cvt_off_f32_i4 v3, v5
v_cvt_off_f32_i4 v4, v5, src0_sel:BYTE_2
v_cvt_pk_fp8_f32 v6, v3, v4, op_sel:[0, 0, 1]
v_cvt_off_f32_i4 v3, v5, src0_sel:BYTE_1
v_cvt_off_f32_i4 v4, v5, src0_sel:BYTE_3
v_cvt_pk_fp8_f32 v8, v3, v4, op_sel:[0, 0, 1]

	;;#ASMEND
	s_waitcnt vmcnt(10)
	;;#ASMSTART
	v_cvt_off_f32_i4 v0, v1
v_cvt_off_f32_i4 v3, v1, src0_sel:BYTE_2
v_cvt_pk_fp8_f32 v5, v0, v3
v_cvt_off_f32_i4 v0, v1, src0_sel:BYTE_1
v_cvt_off_f32_i4 v3, v1, src0_sel:BYTE_3
v_cvt_pk_fp8_f32 v9, v0, v3
v_lshrrev_b32 v4, 4, v1
v_cvt_off_f32_i4 v0, v4
v_cvt_off_f32_i4 v3, v4, src0_sel:BYTE_2
v_cvt_pk_fp8_f32 v5, v0, v3, op_sel:[0, 0, 1]
v_cvt_off_f32_i4 v0, v4, src0_sel:BYTE_1
v_cvt_off_f32_i4 v3, v4, src0_sel:BYTE_3
v_cvt_pk_fp8_f32 v9, v0, v3, op_sel:[0, 0, 1]

	;;#ASMEND
	;; [unrolled: 17-line block ×4, first 2 shown]
	buffer_load_dword v0, off, s[0:3], s33 offset:500
	buffer_load_dword v1, off, s[0:3], s33 offset:504
	;; [unrolled: 1-line block ×4, first 2 shown]
	s_nop 0
	buffer_store_dword v6, off, s[0:3], s33 offset:980
	buffer_store_dword v8, off, s[0:3], s33 offset:984
	;; [unrolled: 1-line block ×8, first 2 shown]
	s_waitcnt vmcnt(11)
	;;#ASMSTART
	v_cvt_off_f32_i4 v3, v0
v_cvt_off_f32_i4 v4, v0, src0_sel:BYTE_2
v_cvt_pk_fp8_f32 v6, v3, v4
v_cvt_off_f32_i4 v3, v0, src0_sel:BYTE_1
v_cvt_off_f32_i4 v4, v0, src0_sel:BYTE_3
v_cvt_pk_fp8_f32 v8, v3, v4
v_lshrrev_b32 v5, 4, v0
v_cvt_off_f32_i4 v3, v5
v_cvt_off_f32_i4 v4, v5, src0_sel:BYTE_2
v_cvt_pk_fp8_f32 v6, v3, v4, op_sel:[0, 0, 1]
v_cvt_off_f32_i4 v3, v5, src0_sel:BYTE_1
v_cvt_off_f32_i4 v4, v5, src0_sel:BYTE_3
v_cvt_pk_fp8_f32 v8, v3, v4, op_sel:[0, 0, 1]

	;;#ASMEND
	s_waitcnt vmcnt(10)
	;;#ASMSTART
	v_cvt_off_f32_i4 v0, v1
v_cvt_off_f32_i4 v3, v1, src0_sel:BYTE_2
v_cvt_pk_fp8_f32 v5, v0, v3
v_cvt_off_f32_i4 v0, v1, src0_sel:BYTE_1
v_cvt_off_f32_i4 v3, v1, src0_sel:BYTE_3
v_cvt_pk_fp8_f32 v9, v0, v3
v_lshrrev_b32 v4, 4, v1
v_cvt_off_f32_i4 v0, v4
v_cvt_off_f32_i4 v3, v4, src0_sel:BYTE_2
v_cvt_pk_fp8_f32 v5, v0, v3, op_sel:[0, 0, 1]
v_cvt_off_f32_i4 v0, v4, src0_sel:BYTE_1
v_cvt_off_f32_i4 v3, v4, src0_sel:BYTE_3
v_cvt_pk_fp8_f32 v9, v0, v3, op_sel:[0, 0, 1]

	;;#ASMEND
	s_waitcnt vmcnt(9)
	;;#ASMSTART
	v_cvt_off_f32_i4 v0, v2
v_cvt_off_f32_i4 v1, v2, src0_sel:BYTE_2
v_cvt_pk_fp8_f32 v4, v0, v1
v_cvt_off_f32_i4 v0, v2, src0_sel:BYTE_1
v_cvt_off_f32_i4 v1, v2, src0_sel:BYTE_3
v_cvt_pk_fp8_f32 v10, v0, v1
v_lshrrev_b32 v3, 4, v2
v_cvt_off_f32_i4 v0, v3
v_cvt_off_f32_i4 v1, v3, src0_sel:BYTE_2
v_cvt_pk_fp8_f32 v4, v0, v1, op_sel:[0, 0, 1]
v_cvt_off_f32_i4 v0, v3, src0_sel:BYTE_1
v_cvt_off_f32_i4 v1, v3, src0_sel:BYTE_3
v_cvt_pk_fp8_f32 v10, v0, v1, op_sel:[0, 0, 1]

	;;#ASMEND
	s_waitcnt vmcnt(8)
	;;#ASMSTART
	v_cvt_off_f32_i4 v0, v7
v_cvt_off_f32_i4 v1, v7, src0_sel:BYTE_2
v_cvt_pk_fp8_f32 v3, v0, v1
v_cvt_off_f32_i4 v0, v7, src0_sel:BYTE_1
v_cvt_off_f32_i4 v1, v7, src0_sel:BYTE_3
v_cvt_pk_fp8_f32 v11, v0, v1
v_lshrrev_b32 v2, 4, v7
v_cvt_off_f32_i4 v0, v2
v_cvt_off_f32_i4 v1, v2, src0_sel:BYTE_2
v_cvt_pk_fp8_f32 v3, v0, v1, op_sel:[0, 0, 1]
v_cvt_off_f32_i4 v0, v2, src0_sel:BYTE_1
v_cvt_off_f32_i4 v1, v2, src0_sel:BYTE_3
v_cvt_pk_fp8_f32 v11, v0, v1, op_sel:[0, 0, 1]

	;;#ASMEND
	buffer_load_dword v0, off, s[0:3], s33 offset:532
	buffer_load_dword v1, off, s[0:3], s33 offset:536
	;; [unrolled: 1-line block ×4, first 2 shown]
	s_nop 0
	buffer_store_dword v6, off, s[0:3], s33 offset:1012
	buffer_store_dword v8, off, s[0:3], s33 offset:1016
	;; [unrolled: 1-line block ×8, first 2 shown]
	s_waitcnt vmcnt(11)
	;;#ASMSTART
	v_cvt_off_f32_i4 v3, v0
v_cvt_off_f32_i4 v4, v0, src0_sel:BYTE_2
v_cvt_pk_fp8_f32 v6, v3, v4
v_cvt_off_f32_i4 v3, v0, src0_sel:BYTE_1
v_cvt_off_f32_i4 v4, v0, src0_sel:BYTE_3
v_cvt_pk_fp8_f32 v8, v3, v4
v_lshrrev_b32 v5, 4, v0
v_cvt_off_f32_i4 v3, v5
v_cvt_off_f32_i4 v4, v5, src0_sel:BYTE_2
v_cvt_pk_fp8_f32 v6, v3, v4, op_sel:[0, 0, 1]
v_cvt_off_f32_i4 v3, v5, src0_sel:BYTE_1
v_cvt_off_f32_i4 v4, v5, src0_sel:BYTE_3
v_cvt_pk_fp8_f32 v8, v3, v4, op_sel:[0, 0, 1]

	;;#ASMEND
	s_waitcnt vmcnt(10)
	;;#ASMSTART
	v_cvt_off_f32_i4 v0, v1
v_cvt_off_f32_i4 v3, v1, src0_sel:BYTE_2
v_cvt_pk_fp8_f32 v5, v0, v3
v_cvt_off_f32_i4 v0, v1, src0_sel:BYTE_1
v_cvt_off_f32_i4 v3, v1, src0_sel:BYTE_3
v_cvt_pk_fp8_f32 v9, v0, v3
v_lshrrev_b32 v4, 4, v1
v_cvt_off_f32_i4 v0, v4
v_cvt_off_f32_i4 v3, v4, src0_sel:BYTE_2
v_cvt_pk_fp8_f32 v5, v0, v3, op_sel:[0, 0, 1]
v_cvt_off_f32_i4 v0, v4, src0_sel:BYTE_1
v_cvt_off_f32_i4 v3, v4, src0_sel:BYTE_3
v_cvt_pk_fp8_f32 v9, v0, v3, op_sel:[0, 0, 1]

	;;#ASMEND
	;; [unrolled: 17-line block ×4, first 2 shown]
	buffer_load_dword v0, off, s[0:3], s33 offset:564
	buffer_load_dword v1, off, s[0:3], s33 offset:568
	;; [unrolled: 1-line block ×4, first 2 shown]
	s_nop 0
	buffer_store_dword v6, off, s[0:3], s33 offset:1044
	buffer_store_dword v8, off, s[0:3], s33 offset:1048
	;; [unrolled: 1-line block ×8, first 2 shown]
	s_waitcnt vmcnt(11)
	;;#ASMSTART
	v_cvt_off_f32_i4 v3, v0
v_cvt_off_f32_i4 v4, v0, src0_sel:BYTE_2
v_cvt_pk_fp8_f32 v6, v3, v4
v_cvt_off_f32_i4 v3, v0, src0_sel:BYTE_1
v_cvt_off_f32_i4 v4, v0, src0_sel:BYTE_3
v_cvt_pk_fp8_f32 v8, v3, v4
v_lshrrev_b32 v5, 4, v0
v_cvt_off_f32_i4 v3, v5
v_cvt_off_f32_i4 v4, v5, src0_sel:BYTE_2
v_cvt_pk_fp8_f32 v6, v3, v4, op_sel:[0, 0, 1]
v_cvt_off_f32_i4 v3, v5, src0_sel:BYTE_1
v_cvt_off_f32_i4 v4, v5, src0_sel:BYTE_3
v_cvt_pk_fp8_f32 v8, v3, v4, op_sel:[0, 0, 1]

	;;#ASMEND
	s_waitcnt vmcnt(10)
	;;#ASMSTART
	v_cvt_off_f32_i4 v0, v1
v_cvt_off_f32_i4 v3, v1, src0_sel:BYTE_2
v_cvt_pk_fp8_f32 v5, v0, v3
v_cvt_off_f32_i4 v0, v1, src0_sel:BYTE_1
v_cvt_off_f32_i4 v3, v1, src0_sel:BYTE_3
v_cvt_pk_fp8_f32 v9, v0, v3
v_lshrrev_b32 v4, 4, v1
v_cvt_off_f32_i4 v0, v4
v_cvt_off_f32_i4 v3, v4, src0_sel:BYTE_2
v_cvt_pk_fp8_f32 v5, v0, v3, op_sel:[0, 0, 1]
v_cvt_off_f32_i4 v0, v4, src0_sel:BYTE_1
v_cvt_off_f32_i4 v3, v4, src0_sel:BYTE_3
v_cvt_pk_fp8_f32 v9, v0, v3, op_sel:[0, 0, 1]

	;;#ASMEND
	;; [unrolled: 17-line block ×4, first 2 shown]
	buffer_load_dword v0, off, s[0:3], s33 offset:596
	buffer_load_dword v1, off, s[0:3], s33 offset:600
	;; [unrolled: 1-line block ×4, first 2 shown]
	s_nop 0
	buffer_store_dword v6, off, s[0:3], s33 offset:1076
	buffer_store_dword v8, off, s[0:3], s33 offset:1080
	;; [unrolled: 1-line block ×8, first 2 shown]
	s_waitcnt vmcnt(11)
	;;#ASMSTART
	v_cvt_off_f32_i4 v3, v0
v_cvt_off_f32_i4 v4, v0, src0_sel:BYTE_2
v_cvt_pk_fp8_f32 v6, v3, v4
v_cvt_off_f32_i4 v3, v0, src0_sel:BYTE_1
v_cvt_off_f32_i4 v4, v0, src0_sel:BYTE_3
v_cvt_pk_fp8_f32 v8, v3, v4
v_lshrrev_b32 v5, 4, v0
v_cvt_off_f32_i4 v3, v5
v_cvt_off_f32_i4 v4, v5, src0_sel:BYTE_2
v_cvt_pk_fp8_f32 v6, v3, v4, op_sel:[0, 0, 1]
v_cvt_off_f32_i4 v3, v5, src0_sel:BYTE_1
v_cvt_off_f32_i4 v4, v5, src0_sel:BYTE_3
v_cvt_pk_fp8_f32 v8, v3, v4, op_sel:[0, 0, 1]

	;;#ASMEND
	s_waitcnt vmcnt(10)
	;;#ASMSTART
	v_cvt_off_f32_i4 v0, v1
v_cvt_off_f32_i4 v3, v1, src0_sel:BYTE_2
v_cvt_pk_fp8_f32 v5, v0, v3
v_cvt_off_f32_i4 v0, v1, src0_sel:BYTE_1
v_cvt_off_f32_i4 v3, v1, src0_sel:BYTE_3
v_cvt_pk_fp8_f32 v9, v0, v3
v_lshrrev_b32 v4, 4, v1
v_cvt_off_f32_i4 v0, v4
v_cvt_off_f32_i4 v3, v4, src0_sel:BYTE_2
v_cvt_pk_fp8_f32 v5, v0, v3, op_sel:[0, 0, 1]
v_cvt_off_f32_i4 v0, v4, src0_sel:BYTE_1
v_cvt_off_f32_i4 v3, v4, src0_sel:BYTE_3
v_cvt_pk_fp8_f32 v9, v0, v3, op_sel:[0, 0, 1]

	;;#ASMEND
	;; [unrolled: 17-line block ×4, first 2 shown]
	buffer_store_dword v6, off, s[0:3], s33 offset:1108
	buffer_store_dword v8, off, s[0:3], s33 offset:1112
	;; [unrolled: 1-line block ×8, first 2 shown]
	; sched_barrier mask(0x00000000)
	v_lshrrev_b32_e64 v0, 6, s33
	v_add_u32_e32 v0, 8, v0
	v_mov_b32_e32 v1, s17
	buffer_store_dword v36, off, s[0:3], s33 offset:12
	buffer_store_dword v37, off, s[0:3], s33 offset:8
	;; [unrolled: 1-line block ×8, first 2 shown]
	s_getpc_b64 s[4:5]
	s_add_u32 s4, s4, _ZNK2ck6detail7applierIiJLi0ELi1ELi2ELi3ELi4ELi5ELi6ELi7EEEclIZNKS_11static_fordINS_8SequenceIJLi1ELi8EEEENS5_IJLi0ELi1EEEEEclIZZNKS_52BlockwiseGemmXdlops_pipeline_bpreshuffle_bdequant_v3ILNS_26BlockGemmPipelineSchedulerE0ELi256ENS_9f8_fnuz_tENS_7pk_i4_tESC_fNS_16TensorDescriptorINS_5TupleIJNS_5EmbedINSF_IJNS_17integral_constantIiLi8EEENSH_IiLi256EEENSH_IiLi16EEEEEENSF_IJSK_NSH_IiLi128EEENSH_IiLi1EEEEEELb0EEENS_3XorINSF_IJSJ_SI_EEELb1EEENS_11PassThroughISK_EENS_7UnMergeINSF_IJSI_SN_EEELb0EEENST_ISJ_EESU_NST_ISI_EENS_21Merge_v3_division_modINSF_IJSJ_SN_EEEEESU_EEENSF_IJNS5_IJLi0EEEENS5_IJLi2ELi1EEEENS5_IJLi3EEEENS5_IJLi5EEEENS5_IJLi4EEEENS5_IJLi6EEEENS5_IJLi7EEEENS5_IJLi9ELi8EEEENS5_IJLi10EEEEEEENSF_IJNS5_IJLi1ELi2ELi3EEEENS5_IJLi4ELi5EEEES19_NS5_IJLi7ELi8EEEENS5_IJLi9EEEES1C_NS5_IJLi11EEEENS5_IJLi12EEEENS5_IJLi13EEEEEEENS5_IJLi11ELi12ELi13EEEENSH_IlLl32768EEEEENSE_INSF_IJNSV_INSF_IJSI_SN_SN_NSH_IiLi32EEEEEELb0EEEEEENSF_IJS14_EEENSF_IJNS5_IJLi1ELi2ELi3ELi4EEEEEEES1U_NSH_IlLl256EEEEENSE_INSF_IJSP_SS_SU_SX_SY_SU_SZ_S12_SU_NS10_INSF_IJSI_SK_EEEEENSV_INSF_IJSI_NSH_IiLi2EEESK_EEELb0EEEEEENSF_IJS14_S15_S16_S17_S18_S19_S1A_S1B_S1C_NS5_IJLi11ELi13EEEES1J_EEENSF_IJS1E_S1F_S19_S1G_S1H_S1C_S1I_S1J_S1K_NS5_IJLi14EEEENS5_IJLi15ELi16ELi17EEEEEEENS5_IJLi15ELi16ELi17ELi14EEEES1N_EENSE_INSF_IJS1R_NS10_ISW_EES22_EEENSF_IJS14_NS5_IJLi1ELi3EEEENS5_IJLi2EEEEEEENSF_IJS1U_S17_NS5_IJLi6ELi7ELi8EEEEEEENS5_IJLi6ELi7ELi8ELi5EEEES1W_EELi16ELi32ELi256ELi256ELi128ELi16ELi16ELi8ELi8ELi32ELb0EE3RunILb1ELNS_10TailNumberE1ENSE_INSF_IJNSG_INSF_IJiiEEENSF_IJiSN_EEELb0EEENSV_IS2N_Lb0EEENST_IiEEEEENSF_IJS14_S2E_NS5_IJLi1EEEEEEENSF_IJNS5_IJLi1ELi2EEEENS5_IJLi3ELi4EEEES17_EEENS5_IJLi3ELi5ELi4EEEElEES1O_NS_35ThreadGroupTensorSliceTransfer_v4r1INS_15ThisThreadBlockILi256EEENS_16tensor_operation12element_wise11PassThroughES35_LNS_25InMemoryDataOperationEnumE0ENS5_IJLi8ELi256ELi16EEEENS5_IJLi8ELi32ELi1EEEENS5_IJLi1ELi0ELi2EEEESC_SC_RKS2Z_KS1O_S39_NS5_IJLi0ELi1ELi2EEEELi2ELi2ELi16ELi16ELi1ELi1ELb0ELb1ELi2EiEENS_13DynamicBufferILNS_16AddressSpaceEnumE1EKSC_lLb1ELNS_22AmdBufferCoherenceEnumE0EiEENSF_IJNS3F_ILS3G_2ESC_S1N_Lb1ELS3I_0EiEES3K_EEENSF_IJiiiEEENSE_INSF_IJNSG_INSF_IJiiiiEEENSF_IJiiiSN_EEELb0EEEEEES1T_S1V_S1U_lEENS_32ThreadwiseTensorSliceTransfer_v2ISD_SD_RKS3R_KS1X_NS5_IJLi8ELi1ELi1ELi32EEEENS5_IJLi1ELi2ELi0ELi3EEEELi3ELi32ELi0ELb1ELb0ELb0EEENS3F_ILS3G_1EKSD_lLb1ELS3I_0EiEENSF_IJNS_12StaticBufferILS3G_4ESD_Li256ELb1EEES42_EEES3N_NS_25StaticBufferTupleOfVectorILS3G_4EfLi64ELi4ELb1ELb0EEEEEvRKT1_RKT2_RT3_RKT4_RT5_RKT6_RKT7_RT8_RKT9_RT10_RKT11_RT12_iENKUlT_E1_clINSH_IiLi6EEEEEDaS51_EUlS51_E_EEvS51_EUlS51_E_EEvS51_@rel32@lo+4
	s_addc_u32 s5, s5, _ZNK2ck6detail7applierIiJLi0ELi1ELi2ELi3ELi4ELi5ELi6ELi7EEEclIZNKS_11static_fordINS_8SequenceIJLi1ELi8EEEENS5_IJLi0ELi1EEEEEclIZZNKS_52BlockwiseGemmXdlops_pipeline_bpreshuffle_bdequant_v3ILNS_26BlockGemmPipelineSchedulerE0ELi256ENS_9f8_fnuz_tENS_7pk_i4_tESC_fNS_16TensorDescriptorINS_5TupleIJNS_5EmbedINSF_IJNS_17integral_constantIiLi8EEENSH_IiLi256EEENSH_IiLi16EEEEEENSF_IJSK_NSH_IiLi128EEENSH_IiLi1EEEEEELb0EEENS_3XorINSF_IJSJ_SI_EEELb1EEENS_11PassThroughISK_EENS_7UnMergeINSF_IJSI_SN_EEELb0EEENST_ISJ_EESU_NST_ISI_EENS_21Merge_v3_division_modINSF_IJSJ_SN_EEEEESU_EEENSF_IJNS5_IJLi0EEEENS5_IJLi2ELi1EEEENS5_IJLi3EEEENS5_IJLi5EEEENS5_IJLi4EEEENS5_IJLi6EEEENS5_IJLi7EEEENS5_IJLi9ELi8EEEENS5_IJLi10EEEEEEENSF_IJNS5_IJLi1ELi2ELi3EEEENS5_IJLi4ELi5EEEES19_NS5_IJLi7ELi8EEEENS5_IJLi9EEEES1C_NS5_IJLi11EEEENS5_IJLi12EEEENS5_IJLi13EEEEEEENS5_IJLi11ELi12ELi13EEEENSH_IlLl32768EEEEENSE_INSF_IJNSV_INSF_IJSI_SN_SN_NSH_IiLi32EEEEEELb0EEEEEENSF_IJS14_EEENSF_IJNS5_IJLi1ELi2ELi3ELi4EEEEEEES1U_NSH_IlLl256EEEEENSE_INSF_IJSP_SS_SU_SX_SY_SU_SZ_S12_SU_NS10_INSF_IJSI_SK_EEEEENSV_INSF_IJSI_NSH_IiLi2EEESK_EEELb0EEEEEENSF_IJS14_S15_S16_S17_S18_S19_S1A_S1B_S1C_NS5_IJLi11ELi13EEEES1J_EEENSF_IJS1E_S1F_S19_S1G_S1H_S1C_S1I_S1J_S1K_NS5_IJLi14EEEENS5_IJLi15ELi16ELi17EEEEEEENS5_IJLi15ELi16ELi17ELi14EEEES1N_EENSE_INSF_IJS1R_NS10_ISW_EES22_EEENSF_IJS14_NS5_IJLi1ELi3EEEENS5_IJLi2EEEEEEENSF_IJS1U_S17_NS5_IJLi6ELi7ELi8EEEEEEENS5_IJLi6ELi7ELi8ELi5EEEES1W_EELi16ELi32ELi256ELi256ELi128ELi16ELi16ELi8ELi8ELi32ELb0EE3RunILb1ELNS_10TailNumberE1ENSE_INSF_IJNSG_INSF_IJiiEEENSF_IJiSN_EEELb0EEENSV_IS2N_Lb0EEENST_IiEEEEENSF_IJS14_S2E_NS5_IJLi1EEEEEEENSF_IJNS5_IJLi1ELi2EEEENS5_IJLi3ELi4EEEES17_EEENS5_IJLi3ELi5ELi4EEEElEES1O_NS_35ThreadGroupTensorSliceTransfer_v4r1INS_15ThisThreadBlockILi256EEENS_16tensor_operation12element_wise11PassThroughES35_LNS_25InMemoryDataOperationEnumE0ENS5_IJLi8ELi256ELi16EEEENS5_IJLi8ELi32ELi1EEEENS5_IJLi1ELi0ELi2EEEESC_SC_RKS2Z_KS1O_S39_NS5_IJLi0ELi1ELi2EEEELi2ELi2ELi16ELi16ELi1ELi1ELb0ELb1ELi2EiEENS_13DynamicBufferILNS_16AddressSpaceEnumE1EKSC_lLb1ELNS_22AmdBufferCoherenceEnumE0EiEENSF_IJNS3F_ILS3G_2ESC_S1N_Lb1ELS3I_0EiEES3K_EEENSF_IJiiiEEENSE_INSF_IJNSG_INSF_IJiiiiEEENSF_IJiiiSN_EEELb0EEEEEES1T_S1V_S1U_lEENS_32ThreadwiseTensorSliceTransfer_v2ISD_SD_RKS3R_KS1X_NS5_IJLi8ELi1ELi1ELi32EEEENS5_IJLi1ELi2ELi0ELi3EEEELi3ELi32ELi0ELb1ELb0ELb0EEENS3F_ILS3G_1EKSD_lLb1ELS3I_0EiEENSF_IJNS_12StaticBufferILS3G_4ESD_Li256ELb1EEES42_EEES3N_NS_25StaticBufferTupleOfVectorILS3G_4EfLi64ELi4ELb1ELb0EEEEEvRKT1_RKT2_RT3_RKT4_RT5_RKT6_RKT7_RT8_RKT9_RT10_RKT11_RT12_iENKUlT_E1_clINSH_IiLi6EEEEEDaS51_EUlS51_E_EEvS51_EUlS51_E_EEvS51_@rel32@hi+12
	s_swappc_b64 s[30:31], s[4:5]
	flat_load_dwordx2 v[12:13], v[30:31] offset:1148
	flat_load_dwordx2 v[14:15], v[30:31] offset:1164
	flat_load_dwordx4 v[0:3], v[30:31] offset:1176
	flat_load_dwordx3 v[8:10], v[30:31] offset:1132
	flat_load_dwordx2 v[16:17], v[28:29] offset:16
                                        ; kill: killed $vgpr28 killed $vgpr29
                                        ; kill: killed $vgpr30 killed $vgpr31
	; sched_group_barrier mask(0x00000008) size(16) SyncID(0)
	; sched_group_barrier mask(0x00000100) size(1) SyncID(0)
	;; [unrolled: 1-line block ×4, first 2 shown]
	s_waitcnt vmcnt(0) lgkmcnt(0)
	v_sub_u32_e32 v4, v12, v15
	v_add3_u32 v1, v4, v1, s11
	v_ashrrev_i32_e32 v4, 31, v1
	v_lshrrev_b32_e32 v4, 29, v4
	v_add_u32_e32 v4, v1, v4
	v_and_b32_e32 v4, -8, v4
	v_sub_u32_e32 v5, v13, v14
	v_sub_u32_e32 v6, v1, v10
	;; [unrolled: 1-line block ×3, first 2 shown]
	v_xor_b32_e32 v4, v1, v5
	v_sub_u32_e32 v4, v4, v9
	v_lshlrev_b32_e32 v10, 7, v6
	v_lshlrev_b32_e32 v4, 4, v4
	v_add3_u32 v4, v10, v8, v4
	v_ashrrev_i32_e32 v5, 31, v4
	v_add_co_u32_e32 v4, vcc, v16, v4
	v_addc_co_u32_e32 v5, vcc, v17, v5, vcc
	flat_load_dwordx4 v[4:7], v[4:5]
	v_add_u32_e32 v3, 16, v3
	v_sub_u32_e32 v2, v8, v2
	v_ashrrev_i32_e32 v8, 31, v3
	v_lshrrev_b32_e32 v8, 28, v8
	v_add_u32_e32 v0, v14, v0
	v_add_u32_e32 v8, v3, v8
	v_sub_u32_e32 v0, v13, v0
	v_lshrrev_b32_e32 v11, 4, v8
	v_add_u32_e32 v0, v0, v11
	v_xor_b32_e32 v0, v0, v1
	v_and_b32_e32 v8, -16, v8
	v_sub_u32_e32 v0, v0, v9
	v_add_u32_e32 v2, v2, v10
	v_sub_u32_e32 v3, v3, v8
	v_lshlrev_b32_e32 v0, 4, v0
	v_add3_u32 v0, v2, v3, v0
	v_ashrrev_i32_e32 v1, 31, v0
	v_add_co_u32_e32 v0, vcc, v16, v0
	v_addc_co_u32_e32 v1, vcc, v17, v1, vcc
	s_waitcnt vmcnt(0) lgkmcnt(0)
	buffer_store_dword v4, off, s[0:3], s33 offset:84
	buffer_store_dword v5, off, s[0:3], s33 offset:88
	;; [unrolled: 1-line block ×4, first 2 shown]
	flat_load_dwordx4 v[0:3], v[0:1]
	s_nop 0
	buffer_load_dword v4, off, s[0:3], s33 offset:372
	buffer_load_dword v5, off, s[0:3], s33 offset:376
	;; [unrolled: 1-line block ×4, first 2 shown]
	s_waitcnt vmcnt(0) lgkmcnt(0)
	buffer_store_dword v0, off, s[0:3], s33 offset:100
	buffer_store_dword v1, off, s[0:3], s33 offset:104
	;; [unrolled: 1-line block ×4, first 2 shown]
	;;#ASMSTART
	v_cvt_off_f32_i4 v0, v4
v_cvt_off_f32_i4 v1, v4, src0_sel:BYTE_2
v_cvt_pk_fp8_f32 v3, v0, v1
v_cvt_off_f32_i4 v0, v4, src0_sel:BYTE_1
v_cvt_off_f32_i4 v1, v4, src0_sel:BYTE_3
v_cvt_pk_fp8_f32 v8, v0, v1
v_lshrrev_b32 v2, 4, v4
v_cvt_off_f32_i4 v0, v2
v_cvt_off_f32_i4 v1, v2, src0_sel:BYTE_2
v_cvt_pk_fp8_f32 v3, v0, v1, op_sel:[0, 0, 1]
v_cvt_off_f32_i4 v0, v2, src0_sel:BYTE_1
v_cvt_off_f32_i4 v1, v2, src0_sel:BYTE_3
v_cvt_pk_fp8_f32 v8, v0, v1, op_sel:[0, 0, 1]

	;;#ASMEND
	;;#ASMSTART
	v_cvt_off_f32_i4 v0, v5
v_cvt_off_f32_i4 v1, v5, src0_sel:BYTE_2
v_cvt_pk_fp8_f32 v4, v0, v1
v_cvt_off_f32_i4 v0, v5, src0_sel:BYTE_1
v_cvt_off_f32_i4 v1, v5, src0_sel:BYTE_3
v_cvt_pk_fp8_f32 v9, v0, v1
v_lshrrev_b32 v2, 4, v5
v_cvt_off_f32_i4 v0, v2
v_cvt_off_f32_i4 v1, v2, src0_sel:BYTE_2
v_cvt_pk_fp8_f32 v4, v0, v1, op_sel:[0, 0, 1]
v_cvt_off_f32_i4 v0, v2, src0_sel:BYTE_1
v_cvt_off_f32_i4 v1, v2, src0_sel:BYTE_3
v_cvt_pk_fp8_f32 v9, v0, v1, op_sel:[0, 0, 1]

	;;#ASMEND
	;; [unrolled: 16-line block ×4, first 2 shown]
	buffer_load_dword v0, off, s[0:3], s33 offset:404
	buffer_load_dword v1, off, s[0:3], s33 offset:408
	;; [unrolled: 1-line block ×4, first 2 shown]
	s_nop 0
	buffer_store_dword v3, off, s[0:3], s33 offset:884
	buffer_store_dword v8, off, s[0:3], s33 offset:888
	;; [unrolled: 1-line block ×8, first 2 shown]
	s_waitcnt vmcnt(11)
	;;#ASMSTART
	v_cvt_off_f32_i4 v3, v0
v_cvt_off_f32_i4 v4, v0, src0_sel:BYTE_2
v_cvt_pk_fp8_f32 v6, v3, v4
v_cvt_off_f32_i4 v3, v0, src0_sel:BYTE_1
v_cvt_off_f32_i4 v4, v0, src0_sel:BYTE_3
v_cvt_pk_fp8_f32 v8, v3, v4
v_lshrrev_b32 v5, 4, v0
v_cvt_off_f32_i4 v3, v5
v_cvt_off_f32_i4 v4, v5, src0_sel:BYTE_2
v_cvt_pk_fp8_f32 v6, v3, v4, op_sel:[0, 0, 1]
v_cvt_off_f32_i4 v3, v5, src0_sel:BYTE_1
v_cvt_off_f32_i4 v4, v5, src0_sel:BYTE_3
v_cvt_pk_fp8_f32 v8, v3, v4, op_sel:[0, 0, 1]

	;;#ASMEND
	s_waitcnt vmcnt(10)
	;;#ASMSTART
	v_cvt_off_f32_i4 v0, v1
v_cvt_off_f32_i4 v3, v1, src0_sel:BYTE_2
v_cvt_pk_fp8_f32 v5, v0, v3
v_cvt_off_f32_i4 v0, v1, src0_sel:BYTE_1
v_cvt_off_f32_i4 v3, v1, src0_sel:BYTE_3
v_cvt_pk_fp8_f32 v9, v0, v3
v_lshrrev_b32 v4, 4, v1
v_cvt_off_f32_i4 v0, v4
v_cvt_off_f32_i4 v3, v4, src0_sel:BYTE_2
v_cvt_pk_fp8_f32 v5, v0, v3, op_sel:[0, 0, 1]
v_cvt_off_f32_i4 v0, v4, src0_sel:BYTE_1
v_cvt_off_f32_i4 v3, v4, src0_sel:BYTE_3
v_cvt_pk_fp8_f32 v9, v0, v3, op_sel:[0, 0, 1]

	;;#ASMEND
	;; [unrolled: 17-line block ×4, first 2 shown]
	buffer_load_dword v0, off, s[0:3], s33 offset:436
	buffer_load_dword v1, off, s[0:3], s33 offset:440
	;; [unrolled: 1-line block ×4, first 2 shown]
	s_nop 0
	buffer_store_dword v6, off, s[0:3], s33 offset:916
	buffer_store_dword v8, off, s[0:3], s33 offset:920
	;; [unrolled: 1-line block ×8, first 2 shown]
	s_waitcnt vmcnt(11)
	;;#ASMSTART
	v_cvt_off_f32_i4 v3, v0
v_cvt_off_f32_i4 v4, v0, src0_sel:BYTE_2
v_cvt_pk_fp8_f32 v6, v3, v4
v_cvt_off_f32_i4 v3, v0, src0_sel:BYTE_1
v_cvt_off_f32_i4 v4, v0, src0_sel:BYTE_3
v_cvt_pk_fp8_f32 v8, v3, v4
v_lshrrev_b32 v5, 4, v0
v_cvt_off_f32_i4 v3, v5
v_cvt_off_f32_i4 v4, v5, src0_sel:BYTE_2
v_cvt_pk_fp8_f32 v6, v3, v4, op_sel:[0, 0, 1]
v_cvt_off_f32_i4 v3, v5, src0_sel:BYTE_1
v_cvt_off_f32_i4 v4, v5, src0_sel:BYTE_3
v_cvt_pk_fp8_f32 v8, v3, v4, op_sel:[0, 0, 1]

	;;#ASMEND
	s_waitcnt vmcnt(10)
	;;#ASMSTART
	v_cvt_off_f32_i4 v0, v1
v_cvt_off_f32_i4 v3, v1, src0_sel:BYTE_2
v_cvt_pk_fp8_f32 v5, v0, v3
v_cvt_off_f32_i4 v0, v1, src0_sel:BYTE_1
v_cvt_off_f32_i4 v3, v1, src0_sel:BYTE_3
v_cvt_pk_fp8_f32 v9, v0, v3
v_lshrrev_b32 v4, 4, v1
v_cvt_off_f32_i4 v0, v4
v_cvt_off_f32_i4 v3, v4, src0_sel:BYTE_2
v_cvt_pk_fp8_f32 v5, v0, v3, op_sel:[0, 0, 1]
v_cvt_off_f32_i4 v0, v4, src0_sel:BYTE_1
v_cvt_off_f32_i4 v3, v4, src0_sel:BYTE_3
v_cvt_pk_fp8_f32 v9, v0, v3, op_sel:[0, 0, 1]

	;;#ASMEND
	s_waitcnt vmcnt(9)
	;;#ASMSTART
	v_cvt_off_f32_i4 v0, v2
v_cvt_off_f32_i4 v1, v2, src0_sel:BYTE_2
v_cvt_pk_fp8_f32 v4, v0, v1
v_cvt_off_f32_i4 v0, v2, src0_sel:BYTE_1
v_cvt_off_f32_i4 v1, v2, src0_sel:BYTE_3
v_cvt_pk_fp8_f32 v10, v0, v1
v_lshrrev_b32 v3, 4, v2
v_cvt_off_f32_i4 v0, v3
v_cvt_off_f32_i4 v1, v3, src0_sel:BYTE_2
v_cvt_pk_fp8_f32 v4, v0, v1, op_sel:[0, 0, 1]
v_cvt_off_f32_i4 v0, v3, src0_sel:BYTE_1
v_cvt_off_f32_i4 v1, v3, src0_sel:BYTE_3
v_cvt_pk_fp8_f32 v10, v0, v1, op_sel:[0, 0, 1]

	;;#ASMEND
	s_waitcnt vmcnt(8)
	;;#ASMSTART
	v_cvt_off_f32_i4 v0, v7
v_cvt_off_f32_i4 v1, v7, src0_sel:BYTE_2
v_cvt_pk_fp8_f32 v3, v0, v1
v_cvt_off_f32_i4 v0, v7, src0_sel:BYTE_1
v_cvt_off_f32_i4 v1, v7, src0_sel:BYTE_3
v_cvt_pk_fp8_f32 v11, v0, v1
v_lshrrev_b32 v2, 4, v7
v_cvt_off_f32_i4 v0, v2
v_cvt_off_f32_i4 v1, v2, src0_sel:BYTE_2
v_cvt_pk_fp8_f32 v3, v0, v1, op_sel:[0, 0, 1]
v_cvt_off_f32_i4 v0, v2, src0_sel:BYTE_1
v_cvt_off_f32_i4 v1, v2, src0_sel:BYTE_3
v_cvt_pk_fp8_f32 v11, v0, v1, op_sel:[0, 0, 1]

	;;#ASMEND
	buffer_load_dword v0, off, s[0:3], s33 offset:468
	buffer_load_dword v1, off, s[0:3], s33 offset:472
	;; [unrolled: 1-line block ×4, first 2 shown]
	s_nop 0
	buffer_store_dword v6, off, s[0:3], s33 offset:948
	buffer_store_dword v8, off, s[0:3], s33 offset:952
	;; [unrolled: 1-line block ×8, first 2 shown]
	s_waitcnt vmcnt(11)
	;;#ASMSTART
	v_cvt_off_f32_i4 v3, v0
v_cvt_off_f32_i4 v4, v0, src0_sel:BYTE_2
v_cvt_pk_fp8_f32 v6, v3, v4
v_cvt_off_f32_i4 v3, v0, src0_sel:BYTE_1
v_cvt_off_f32_i4 v4, v0, src0_sel:BYTE_3
v_cvt_pk_fp8_f32 v8, v3, v4
v_lshrrev_b32 v5, 4, v0
v_cvt_off_f32_i4 v3, v5
v_cvt_off_f32_i4 v4, v5, src0_sel:BYTE_2
v_cvt_pk_fp8_f32 v6, v3, v4, op_sel:[0, 0, 1]
v_cvt_off_f32_i4 v3, v5, src0_sel:BYTE_1
v_cvt_off_f32_i4 v4, v5, src0_sel:BYTE_3
v_cvt_pk_fp8_f32 v8, v3, v4, op_sel:[0, 0, 1]

	;;#ASMEND
	s_waitcnt vmcnt(10)
	;;#ASMSTART
	v_cvt_off_f32_i4 v0, v1
v_cvt_off_f32_i4 v3, v1, src0_sel:BYTE_2
v_cvt_pk_fp8_f32 v5, v0, v3
v_cvt_off_f32_i4 v0, v1, src0_sel:BYTE_1
v_cvt_off_f32_i4 v3, v1, src0_sel:BYTE_3
v_cvt_pk_fp8_f32 v9, v0, v3
v_lshrrev_b32 v4, 4, v1
v_cvt_off_f32_i4 v0, v4
v_cvt_off_f32_i4 v3, v4, src0_sel:BYTE_2
v_cvt_pk_fp8_f32 v5, v0, v3, op_sel:[0, 0, 1]
v_cvt_off_f32_i4 v0, v4, src0_sel:BYTE_1
v_cvt_off_f32_i4 v3, v4, src0_sel:BYTE_3
v_cvt_pk_fp8_f32 v9, v0, v3, op_sel:[0, 0, 1]

	;;#ASMEND
	;; [unrolled: 17-line block ×4, first 2 shown]
	buffer_load_dword v0, off, s[0:3], s33 offset:500
	buffer_load_dword v1, off, s[0:3], s33 offset:504
	;; [unrolled: 1-line block ×4, first 2 shown]
	s_nop 0
	buffer_store_dword v6, off, s[0:3], s33 offset:980
	buffer_store_dword v8, off, s[0:3], s33 offset:984
	;; [unrolled: 1-line block ×8, first 2 shown]
	s_waitcnt vmcnt(11)
	;;#ASMSTART
	v_cvt_off_f32_i4 v3, v0
v_cvt_off_f32_i4 v4, v0, src0_sel:BYTE_2
v_cvt_pk_fp8_f32 v6, v3, v4
v_cvt_off_f32_i4 v3, v0, src0_sel:BYTE_1
v_cvt_off_f32_i4 v4, v0, src0_sel:BYTE_3
v_cvt_pk_fp8_f32 v8, v3, v4
v_lshrrev_b32 v5, 4, v0
v_cvt_off_f32_i4 v3, v5
v_cvt_off_f32_i4 v4, v5, src0_sel:BYTE_2
v_cvt_pk_fp8_f32 v6, v3, v4, op_sel:[0, 0, 1]
v_cvt_off_f32_i4 v3, v5, src0_sel:BYTE_1
v_cvt_off_f32_i4 v4, v5, src0_sel:BYTE_3
v_cvt_pk_fp8_f32 v8, v3, v4, op_sel:[0, 0, 1]

	;;#ASMEND
	s_waitcnt vmcnt(10)
	;;#ASMSTART
	v_cvt_off_f32_i4 v0, v1
v_cvt_off_f32_i4 v3, v1, src0_sel:BYTE_2
v_cvt_pk_fp8_f32 v5, v0, v3
v_cvt_off_f32_i4 v0, v1, src0_sel:BYTE_1
v_cvt_off_f32_i4 v3, v1, src0_sel:BYTE_3
v_cvt_pk_fp8_f32 v9, v0, v3
v_lshrrev_b32 v4, 4, v1
v_cvt_off_f32_i4 v0, v4
v_cvt_off_f32_i4 v3, v4, src0_sel:BYTE_2
v_cvt_pk_fp8_f32 v5, v0, v3, op_sel:[0, 0, 1]
v_cvt_off_f32_i4 v0, v4, src0_sel:BYTE_1
v_cvt_off_f32_i4 v3, v4, src0_sel:BYTE_3
v_cvt_pk_fp8_f32 v9, v0, v3, op_sel:[0, 0, 1]

	;;#ASMEND
	;; [unrolled: 17-line block ×4, first 2 shown]
	buffer_load_dword v0, off, s[0:3], s33 offset:532
	buffer_load_dword v1, off, s[0:3], s33 offset:536
	;; [unrolled: 1-line block ×4, first 2 shown]
	s_nop 0
	buffer_store_dword v6, off, s[0:3], s33 offset:1012
	buffer_store_dword v8, off, s[0:3], s33 offset:1016
	;; [unrolled: 1-line block ×8, first 2 shown]
	s_waitcnt vmcnt(11)
	;;#ASMSTART
	v_cvt_off_f32_i4 v3, v0
v_cvt_off_f32_i4 v4, v0, src0_sel:BYTE_2
v_cvt_pk_fp8_f32 v6, v3, v4
v_cvt_off_f32_i4 v3, v0, src0_sel:BYTE_1
v_cvt_off_f32_i4 v4, v0, src0_sel:BYTE_3
v_cvt_pk_fp8_f32 v8, v3, v4
v_lshrrev_b32 v5, 4, v0
v_cvt_off_f32_i4 v3, v5
v_cvt_off_f32_i4 v4, v5, src0_sel:BYTE_2
v_cvt_pk_fp8_f32 v6, v3, v4, op_sel:[0, 0, 1]
v_cvt_off_f32_i4 v3, v5, src0_sel:BYTE_1
v_cvt_off_f32_i4 v4, v5, src0_sel:BYTE_3
v_cvt_pk_fp8_f32 v8, v3, v4, op_sel:[0, 0, 1]

	;;#ASMEND
	s_waitcnt vmcnt(10)
	;;#ASMSTART
	v_cvt_off_f32_i4 v0, v1
v_cvt_off_f32_i4 v3, v1, src0_sel:BYTE_2
v_cvt_pk_fp8_f32 v5, v0, v3
v_cvt_off_f32_i4 v0, v1, src0_sel:BYTE_1
v_cvt_off_f32_i4 v3, v1, src0_sel:BYTE_3
v_cvt_pk_fp8_f32 v9, v0, v3
v_lshrrev_b32 v4, 4, v1
v_cvt_off_f32_i4 v0, v4
v_cvt_off_f32_i4 v3, v4, src0_sel:BYTE_2
v_cvt_pk_fp8_f32 v5, v0, v3, op_sel:[0, 0, 1]
v_cvt_off_f32_i4 v0, v4, src0_sel:BYTE_1
v_cvt_off_f32_i4 v3, v4, src0_sel:BYTE_3
v_cvt_pk_fp8_f32 v9, v0, v3, op_sel:[0, 0, 1]

	;;#ASMEND
	;; [unrolled: 17-line block ×4, first 2 shown]
	buffer_load_dword v0, off, s[0:3], s33 offset:564
	buffer_load_dword v1, off, s[0:3], s33 offset:568
	buffer_load_dword v2, off, s[0:3], s33 offset:572
	buffer_load_dword v7, off, s[0:3], s33 offset:576
	s_nop 0
	buffer_store_dword v6, off, s[0:3], s33 offset:1044
	buffer_store_dword v8, off, s[0:3], s33 offset:1048
	buffer_store_dword v5, off, s[0:3], s33 offset:1052
	buffer_store_dword v9, off, s[0:3], s33 offset:1056
	buffer_store_dword v4, off, s[0:3], s33 offset:1060
	buffer_store_dword v10, off, s[0:3], s33 offset:1064
	buffer_store_dword v3, off, s[0:3], s33 offset:1068
	buffer_store_dword v11, off, s[0:3], s33 offset:1072
	s_waitcnt vmcnt(11)
	;;#ASMSTART
	v_cvt_off_f32_i4 v3, v0
v_cvt_off_f32_i4 v4, v0, src0_sel:BYTE_2
v_cvt_pk_fp8_f32 v6, v3, v4
v_cvt_off_f32_i4 v3, v0, src0_sel:BYTE_1
v_cvt_off_f32_i4 v4, v0, src0_sel:BYTE_3
v_cvt_pk_fp8_f32 v8, v3, v4
v_lshrrev_b32 v5, 4, v0
v_cvt_off_f32_i4 v3, v5
v_cvt_off_f32_i4 v4, v5, src0_sel:BYTE_2
v_cvt_pk_fp8_f32 v6, v3, v4, op_sel:[0, 0, 1]
v_cvt_off_f32_i4 v3, v5, src0_sel:BYTE_1
v_cvt_off_f32_i4 v4, v5, src0_sel:BYTE_3
v_cvt_pk_fp8_f32 v8, v3, v4, op_sel:[0, 0, 1]

	;;#ASMEND
	s_waitcnt vmcnt(10)
	;;#ASMSTART
	v_cvt_off_f32_i4 v0, v1
v_cvt_off_f32_i4 v3, v1, src0_sel:BYTE_2
v_cvt_pk_fp8_f32 v5, v0, v3
v_cvt_off_f32_i4 v0, v1, src0_sel:BYTE_1
v_cvt_off_f32_i4 v3, v1, src0_sel:BYTE_3
v_cvt_pk_fp8_f32 v9, v0, v3
v_lshrrev_b32 v4, 4, v1
v_cvt_off_f32_i4 v0, v4
v_cvt_off_f32_i4 v3, v4, src0_sel:BYTE_2
v_cvt_pk_fp8_f32 v5, v0, v3, op_sel:[0, 0, 1]
v_cvt_off_f32_i4 v0, v4, src0_sel:BYTE_1
v_cvt_off_f32_i4 v3, v4, src0_sel:BYTE_3
v_cvt_pk_fp8_f32 v9, v0, v3, op_sel:[0, 0, 1]

	;;#ASMEND
	s_waitcnt vmcnt(9)
	;;#ASMSTART
	v_cvt_off_f32_i4 v0, v2
v_cvt_off_f32_i4 v1, v2, src0_sel:BYTE_2
v_cvt_pk_fp8_f32 v4, v0, v1
v_cvt_off_f32_i4 v0, v2, src0_sel:BYTE_1
v_cvt_off_f32_i4 v1, v2, src0_sel:BYTE_3
v_cvt_pk_fp8_f32 v10, v0, v1
v_lshrrev_b32 v3, 4, v2
v_cvt_off_f32_i4 v0, v3
v_cvt_off_f32_i4 v1, v3, src0_sel:BYTE_2
v_cvt_pk_fp8_f32 v4, v0, v1, op_sel:[0, 0, 1]
v_cvt_off_f32_i4 v0, v3, src0_sel:BYTE_1
v_cvt_off_f32_i4 v1, v3, src0_sel:BYTE_3
v_cvt_pk_fp8_f32 v10, v0, v1, op_sel:[0, 0, 1]

	;;#ASMEND
	s_waitcnt vmcnt(8)
	;;#ASMSTART
	v_cvt_off_f32_i4 v0, v7
v_cvt_off_f32_i4 v1, v7, src0_sel:BYTE_2
v_cvt_pk_fp8_f32 v3, v0, v1
v_cvt_off_f32_i4 v0, v7, src0_sel:BYTE_1
v_cvt_off_f32_i4 v1, v7, src0_sel:BYTE_3
v_cvt_pk_fp8_f32 v11, v0, v1
v_lshrrev_b32 v2, 4, v7
v_cvt_off_f32_i4 v0, v2
v_cvt_off_f32_i4 v1, v2, src0_sel:BYTE_2
v_cvt_pk_fp8_f32 v3, v0, v1, op_sel:[0, 0, 1]
v_cvt_off_f32_i4 v0, v2, src0_sel:BYTE_1
v_cvt_off_f32_i4 v1, v2, src0_sel:BYTE_3
v_cvt_pk_fp8_f32 v11, v0, v1, op_sel:[0, 0, 1]

	;;#ASMEND
	buffer_load_dword v0, off, s[0:3], s33 offset:596
	buffer_load_dword v1, off, s[0:3], s33 offset:600
	;; [unrolled: 1-line block ×4, first 2 shown]
	s_nop 0
	buffer_store_dword v6, off, s[0:3], s33 offset:1076
	buffer_store_dword v8, off, s[0:3], s33 offset:1080
	;; [unrolled: 1-line block ×8, first 2 shown]
	s_waitcnt vmcnt(11)
	;;#ASMSTART
	v_cvt_off_f32_i4 v3, v0
v_cvt_off_f32_i4 v4, v0, src0_sel:BYTE_2
v_cvt_pk_fp8_f32 v6, v3, v4
v_cvt_off_f32_i4 v3, v0, src0_sel:BYTE_1
v_cvt_off_f32_i4 v4, v0, src0_sel:BYTE_3
v_cvt_pk_fp8_f32 v8, v3, v4
v_lshrrev_b32 v5, 4, v0
v_cvt_off_f32_i4 v3, v5
v_cvt_off_f32_i4 v4, v5, src0_sel:BYTE_2
v_cvt_pk_fp8_f32 v6, v3, v4, op_sel:[0, 0, 1]
v_cvt_off_f32_i4 v3, v5, src0_sel:BYTE_1
v_cvt_off_f32_i4 v4, v5, src0_sel:BYTE_3
v_cvt_pk_fp8_f32 v8, v3, v4, op_sel:[0, 0, 1]

	;;#ASMEND
	s_waitcnt vmcnt(10)
	;;#ASMSTART
	v_cvt_off_f32_i4 v0, v1
v_cvt_off_f32_i4 v3, v1, src0_sel:BYTE_2
v_cvt_pk_fp8_f32 v5, v0, v3
v_cvt_off_f32_i4 v0, v1, src0_sel:BYTE_1
v_cvt_off_f32_i4 v3, v1, src0_sel:BYTE_3
v_cvt_pk_fp8_f32 v9, v0, v3
v_lshrrev_b32 v4, 4, v1
v_cvt_off_f32_i4 v0, v4
v_cvt_off_f32_i4 v3, v4, src0_sel:BYTE_2
v_cvt_pk_fp8_f32 v5, v0, v3, op_sel:[0, 0, 1]
v_cvt_off_f32_i4 v0, v4, src0_sel:BYTE_1
v_cvt_off_f32_i4 v3, v4, src0_sel:BYTE_3
v_cvt_pk_fp8_f32 v9, v0, v3, op_sel:[0, 0, 1]

	;;#ASMEND
	;; [unrolled: 17-line block ×4, first 2 shown]
	buffer_store_dword v6, off, s[0:3], s33 offset:1108
	buffer_store_dword v8, off, s[0:3], s33 offset:1112
	;; [unrolled: 1-line block ×8, first 2 shown]
	; sched_barrier mask(0x00000000)
	v_lshrrev_b32_e64 v0, 6, s33
	v_add_u32_e32 v0, 8, v0
	v_mov_b32_e32 v1, s17
	buffer_store_dword v36, off, s[0:3], s33 offset:12
	buffer_store_dword v37, off, s[0:3], s33 offset:8
	;; [unrolled: 1-line block ×8, first 2 shown]
	s_getpc_b64 s[4:5]
	s_add_u32 s4, s4, _ZNK2ck6detail7applierIiJLi0ELi1ELi2ELi3ELi4ELi5ELi6ELi7EEEclIZNKS_11static_fordINS_8SequenceIJLi1ELi8EEEENS5_IJLi0ELi1EEEEEclIZZNKS_52BlockwiseGemmXdlops_pipeline_bpreshuffle_bdequant_v3ILNS_26BlockGemmPipelineSchedulerE0ELi256ENS_9f8_fnuz_tENS_7pk_i4_tESC_fNS_16TensorDescriptorINS_5TupleIJNS_5EmbedINSF_IJNS_17integral_constantIiLi8EEENSH_IiLi256EEENSH_IiLi16EEEEEENSF_IJSK_NSH_IiLi128EEENSH_IiLi1EEEEEELb0EEENS_3XorINSF_IJSJ_SI_EEELb1EEENS_11PassThroughISK_EENS_7UnMergeINSF_IJSI_SN_EEELb0EEENST_ISJ_EESU_NST_ISI_EENS_21Merge_v3_division_modINSF_IJSJ_SN_EEEEESU_EEENSF_IJNS5_IJLi0EEEENS5_IJLi2ELi1EEEENS5_IJLi3EEEENS5_IJLi5EEEENS5_IJLi4EEEENS5_IJLi6EEEENS5_IJLi7EEEENS5_IJLi9ELi8EEEENS5_IJLi10EEEEEEENSF_IJNS5_IJLi1ELi2ELi3EEEENS5_IJLi4ELi5EEEES19_NS5_IJLi7ELi8EEEENS5_IJLi9EEEES1C_NS5_IJLi11EEEENS5_IJLi12EEEENS5_IJLi13EEEEEEENS5_IJLi11ELi12ELi13EEEENSH_IlLl32768EEEEENSE_INSF_IJNSV_INSF_IJSI_SN_SN_NSH_IiLi32EEEEEELb0EEEEEENSF_IJS14_EEENSF_IJNS5_IJLi1ELi2ELi3ELi4EEEEEEES1U_NSH_IlLl256EEEEENSE_INSF_IJSP_SS_SU_SX_SY_SU_SZ_S12_SU_NS10_INSF_IJSI_SK_EEEEENSV_INSF_IJSI_NSH_IiLi2EEESK_EEELb0EEEEEENSF_IJS14_S15_S16_S17_S18_S19_S1A_S1B_S1C_NS5_IJLi11ELi13EEEES1J_EEENSF_IJS1E_S1F_S19_S1G_S1H_S1C_S1I_S1J_S1K_NS5_IJLi14EEEENS5_IJLi15ELi16ELi17EEEEEEENS5_IJLi15ELi16ELi17ELi14EEEES1N_EENSE_INSF_IJS1R_NS10_ISW_EES22_EEENSF_IJS14_NS5_IJLi1ELi3EEEENS5_IJLi2EEEEEEENSF_IJS1U_S17_NS5_IJLi6ELi7ELi8EEEEEEENS5_IJLi6ELi7ELi8ELi5EEEES1W_EELi16ELi32ELi256ELi256ELi128ELi16ELi16ELi8ELi8ELi32ELb0EE3RunILb1ELNS_10TailNumberE1ENSE_INSF_IJNSG_INSF_IJiiEEENSF_IJiSN_EEELb0EEENSV_IS2N_Lb0EEENST_IiEEEEENSF_IJS14_S2E_NS5_IJLi1EEEEEEENSF_IJNS5_IJLi1ELi2EEEENS5_IJLi3ELi4EEEES17_EEENS5_IJLi3ELi5ELi4EEEElEES1O_NS_35ThreadGroupTensorSliceTransfer_v4r1INS_15ThisThreadBlockILi256EEENS_16tensor_operation12element_wise11PassThroughES35_LNS_25InMemoryDataOperationEnumE0ENS5_IJLi8ELi256ELi16EEEENS5_IJLi8ELi32ELi1EEEENS5_IJLi1ELi0ELi2EEEESC_SC_RKS2Z_KS1O_S39_NS5_IJLi0ELi1ELi2EEEELi2ELi2ELi16ELi16ELi1ELi1ELb0ELb1ELi2EiEENS_13DynamicBufferILNS_16AddressSpaceEnumE1EKSC_lLb1ELNS_22AmdBufferCoherenceEnumE0EiEENSF_IJNS3F_ILS3G_2ESC_S1N_Lb1ELS3I_0EiEES3K_EEENSF_IJiiiEEENSE_INSF_IJNSG_INSF_IJiiiiEEENSF_IJiiiSN_EEELb0EEEEEES1T_S1V_S1U_lEENS_32ThreadwiseTensorSliceTransfer_v2ISD_SD_RKS3R_KS1X_NS5_IJLi8ELi1ELi1ELi32EEEENS5_IJLi1ELi2ELi0ELi3EEEELi3ELi32ELi0ELb1ELb0ELb0EEENS3F_ILS3G_1EKSD_lLb1ELS3I_0EiEENSF_IJNS_12StaticBufferILS3G_4ESD_Li256ELb1EEES42_EEES3N_NS_25StaticBufferTupleOfVectorILS3G_4EfLi64ELi4ELb1ELb0EEEEEvRKT1_RKT2_RT3_RKT4_RT5_RKT6_RKT7_RT8_RKT9_RT10_RKT11_RT12_iENKUlT_E1_clINSH_IiLi7EEEEEDaS51_EUlS51_E_EEvS51_EUlS51_E_EEvS51_@rel32@lo+4
	s_addc_u32 s5, s5, _ZNK2ck6detail7applierIiJLi0ELi1ELi2ELi3ELi4ELi5ELi6ELi7EEEclIZNKS_11static_fordINS_8SequenceIJLi1ELi8EEEENS5_IJLi0ELi1EEEEEclIZZNKS_52BlockwiseGemmXdlops_pipeline_bpreshuffle_bdequant_v3ILNS_26BlockGemmPipelineSchedulerE0ELi256ENS_9f8_fnuz_tENS_7pk_i4_tESC_fNS_16TensorDescriptorINS_5TupleIJNS_5EmbedINSF_IJNS_17integral_constantIiLi8EEENSH_IiLi256EEENSH_IiLi16EEEEEENSF_IJSK_NSH_IiLi128EEENSH_IiLi1EEEEEELb0EEENS_3XorINSF_IJSJ_SI_EEELb1EEENS_11PassThroughISK_EENS_7UnMergeINSF_IJSI_SN_EEELb0EEENST_ISJ_EESU_NST_ISI_EENS_21Merge_v3_division_modINSF_IJSJ_SN_EEEEESU_EEENSF_IJNS5_IJLi0EEEENS5_IJLi2ELi1EEEENS5_IJLi3EEEENS5_IJLi5EEEENS5_IJLi4EEEENS5_IJLi6EEEENS5_IJLi7EEEENS5_IJLi9ELi8EEEENS5_IJLi10EEEEEEENSF_IJNS5_IJLi1ELi2ELi3EEEENS5_IJLi4ELi5EEEES19_NS5_IJLi7ELi8EEEENS5_IJLi9EEEES1C_NS5_IJLi11EEEENS5_IJLi12EEEENS5_IJLi13EEEEEEENS5_IJLi11ELi12ELi13EEEENSH_IlLl32768EEEEENSE_INSF_IJNSV_INSF_IJSI_SN_SN_NSH_IiLi32EEEEEELb0EEEEEENSF_IJS14_EEENSF_IJNS5_IJLi1ELi2ELi3ELi4EEEEEEES1U_NSH_IlLl256EEEEENSE_INSF_IJSP_SS_SU_SX_SY_SU_SZ_S12_SU_NS10_INSF_IJSI_SK_EEEEENSV_INSF_IJSI_NSH_IiLi2EEESK_EEELb0EEEEEENSF_IJS14_S15_S16_S17_S18_S19_S1A_S1B_S1C_NS5_IJLi11ELi13EEEES1J_EEENSF_IJS1E_S1F_S19_S1G_S1H_S1C_S1I_S1J_S1K_NS5_IJLi14EEEENS5_IJLi15ELi16ELi17EEEEEEENS5_IJLi15ELi16ELi17ELi14EEEES1N_EENSE_INSF_IJS1R_NS10_ISW_EES22_EEENSF_IJS14_NS5_IJLi1ELi3EEEENS5_IJLi2EEEEEEENSF_IJS1U_S17_NS5_IJLi6ELi7ELi8EEEEEEENS5_IJLi6ELi7ELi8ELi5EEEES1W_EELi16ELi32ELi256ELi256ELi128ELi16ELi16ELi8ELi8ELi32ELb0EE3RunILb1ELNS_10TailNumberE1ENSE_INSF_IJNSG_INSF_IJiiEEENSF_IJiSN_EEELb0EEENSV_IS2N_Lb0EEENST_IiEEEEENSF_IJS14_S2E_NS5_IJLi1EEEEEEENSF_IJNS5_IJLi1ELi2EEEENS5_IJLi3ELi4EEEES17_EEENS5_IJLi3ELi5ELi4EEEElEES1O_NS_35ThreadGroupTensorSliceTransfer_v4r1INS_15ThisThreadBlockILi256EEENS_16tensor_operation12element_wise11PassThroughES35_LNS_25InMemoryDataOperationEnumE0ENS5_IJLi8ELi256ELi16EEEENS5_IJLi8ELi32ELi1EEEENS5_IJLi1ELi0ELi2EEEESC_SC_RKS2Z_KS1O_S39_NS5_IJLi0ELi1ELi2EEEELi2ELi2ELi16ELi16ELi1ELi1ELb0ELb1ELi2EiEENS_13DynamicBufferILNS_16AddressSpaceEnumE1EKSC_lLb1ELNS_22AmdBufferCoherenceEnumE0EiEENSF_IJNS3F_ILS3G_2ESC_S1N_Lb1ELS3I_0EiEES3K_EEENSF_IJiiiEEENSE_INSF_IJNSG_INSF_IJiiiiEEENSF_IJiiiSN_EEELb0EEEEEES1T_S1V_S1U_lEENS_32ThreadwiseTensorSliceTransfer_v2ISD_SD_RKS3R_KS1X_NS5_IJLi8ELi1ELi1ELi32EEEENS5_IJLi1ELi2ELi0ELi3EEEELi3ELi32ELi0ELb1ELb0ELb0EEENS3F_ILS3G_1EKSD_lLb1ELS3I_0EiEENSF_IJNS_12StaticBufferILS3G_4ESD_Li256ELb1EEES42_EEES3N_NS_25StaticBufferTupleOfVectorILS3G_4EfLi64ELi4ELb1ELb0EEEEEvRKT1_RKT2_RT3_RKT4_RT5_RKT6_RKT7_RT8_RKT9_RT10_RKT11_RT12_iENKUlT_E1_clINSH_IiLi7EEEEEDaS51_EUlS51_E_EEvS51_EUlS51_E_EEvS51_@rel32@hi+12
	s_swappc_b64 s[30:31], s[4:5]
	v_readlane_b32 s30, v40, 0
	v_readlane_b32 s31, v40, 1
	;; [unrolled: 1-line block ×3, first 2 shown]
	s_or_saveexec_b64 s[6:7], -1
	buffer_load_dword v40, off, s[0:3], s33 offset:1140 ; 4-byte Folded Reload
	s_mov_b64 exec, s[6:7]
	s_add_i32 s32, s32, 0xfffee000
	s_mov_b32 s33, s4
	s_waitcnt vmcnt(0)
	s_setpc_b64 s[30:31]
.Lfunc_end60:
	.size	_ZNK2ck52BlockwiseGemmXdlops_pipeline_bpreshuffle_bdequant_v3ILNS_26BlockGemmPipelineSchedulerE0ELi256ENS_9f8_fnuz_tENS_7pk_i4_tES2_fNS_16TensorDescriptorINS_5TupleIJNS_5EmbedINS5_IJNS_17integral_constantIiLi8EEENS7_IiLi256EEENS7_IiLi16EEEEEENS5_IJSA_NS7_IiLi128EEENS7_IiLi1EEEEEELb0EEENS_3XorINS5_IJS9_S8_EEELb1EEENS_11PassThroughISA_EENS_7UnMergeINS5_IJS8_SD_EEELb0EEENSJ_IS9_EESK_NSJ_IS8_EENS_21Merge_v3_division_modINS5_IJS9_SD_EEEEESK_EEENS5_IJNS_8SequenceIJLi0EEEENSU_IJLi2ELi1EEEENSU_IJLi3EEEENSU_IJLi5EEEENSU_IJLi4EEEENSU_IJLi6EEEENSU_IJLi7EEEENSU_IJLi9ELi8EEEENSU_IJLi10EEEEEEENS5_IJNSU_IJLi1ELi2ELi3EEEENSU_IJLi4ELi5EEEES10_NSU_IJLi7ELi8EEEENSU_IJLi9EEEES13_NSU_IJLi11EEEENSU_IJLi12EEEENSU_IJLi13EEEEEEENSU_IJLi11ELi12ELi13EEEENS7_IlLl32768EEEEENS4_INS5_IJNSL_INS5_IJS8_SD_SD_NS7_IiLi32EEEEEELb0EEEEEENS5_IJSV_EEENS5_IJNSU_IJLi1ELi2ELi3ELi4EEEEEEES1L_NS7_IlLl256EEEEENS4_INS5_IJSF_SI_SK_SN_SO_SK_SP_SS_SK_NSQ_INS5_IJS8_SA_EEEEENSL_INS5_IJS8_NS7_IiLi2EEESA_EEELb0EEEEEENS5_IJSV_SW_SX_SY_SZ_S10_S11_S12_S13_NSU_IJLi11ELi13EEEES1A_EEENS5_IJS15_S16_S10_S17_S18_S13_S19_S1A_S1B_NSU_IJLi14EEEENSU_IJLi15ELi16ELi17EEEEEEENSU_IJLi15ELi16ELi17ELi14EEEES1E_EENS4_INS5_IJS1I_NSQ_ISM_EES1T_EEENS5_IJSV_NSU_IJLi1ELi3EEEENSU_IJLi2EEEEEEENS5_IJS1L_SY_NSU_IJLi6ELi7ELi8EEEEEEENSU_IJLi6ELi7ELi8ELi5EEEES1N_EELi16ELi32ELi256ELi256ELi128ELi16ELi16ELi8ELi8ELi32ELb0EE3RunILb1ELNS_10TailNumberE1ENS4_INS5_IJNS6_INS5_IJiiEEENS5_IJiSD_EEELb0EEENSL_IS2E_Lb0EEENSJ_IiEEEEENS5_IJSV_S25_NSU_IJLi1EEEEEEENS5_IJNSU_IJLi1ELi2EEEENSU_IJLi3ELi4EEEESY_EEENSU_IJLi3ELi5ELi4EEEElEES1F_NS_35ThreadGroupTensorSliceTransfer_v4r1INS_15ThisThreadBlockILi256EEENS_16tensor_operation12element_wise11PassThroughES2W_LNS_25InMemoryDataOperationEnumE0ENSU_IJLi8ELi256ELi16EEEENSU_IJLi8ELi32ELi1EEEENSU_IJLi1ELi0ELi2EEEES2_S2_RKS2Q_KS1F_S30_NSU_IJLi0ELi1ELi2EEEELi2ELi2ELi16ELi16ELi1ELi1ELb0ELb1ELi2EiEENS_13DynamicBufferILNS_16AddressSpaceEnumE1EKS2_lLb1ELNS_22AmdBufferCoherenceEnumE0EiEENS5_IJNS36_ILS37_2ES2_S1E_Lb1ELS39_0EiEES3B_EEENS5_IJiiiEEENS4_INS5_IJNS6_INS5_IJiiiiEEENS5_IJiiiSD_EEELb0EEEEEES1K_S1M_S1L_lEENS_32ThreadwiseTensorSliceTransfer_v2IS3_S3_RKS3I_KS1O_NSU_IJLi8ELi1ELi1ELi32EEEENSU_IJLi1ELi2ELi0ELi3EEEELi3ELi32ELi0ELb1ELb0ELb0EEENS36_ILS37_1EKS3_lLb1ELS39_0EiEENS5_IJNS_12StaticBufferILS37_4ES3_Li256ELb1EEES3T_EEES3E_NS_25StaticBufferTupleOfVectorILS37_4EfLi64ELi4ELb1ELb0EEEEEvRKT1_RKT2_RT3_RKT4_RT5_RKT6_RKT7_RT8_RKT9_RT10_RKT11_RT12_i, .Lfunc_end60-_ZNK2ck52BlockwiseGemmXdlops_pipeline_bpreshuffle_bdequant_v3ILNS_26BlockGemmPipelineSchedulerE0ELi256ENS_9f8_fnuz_tENS_7pk_i4_tES2_fNS_16TensorDescriptorINS_5TupleIJNS_5EmbedINS5_IJNS_17integral_constantIiLi8EEENS7_IiLi256EEENS7_IiLi16EEEEEENS5_IJSA_NS7_IiLi128EEENS7_IiLi1EEEEEELb0EEENS_3XorINS5_IJS9_S8_EEELb1EEENS_11PassThroughISA_EENS_7UnMergeINS5_IJS8_SD_EEELb0EEENSJ_IS9_EESK_NSJ_IS8_EENS_21Merge_v3_division_modINS5_IJS9_SD_EEEEESK_EEENS5_IJNS_8SequenceIJLi0EEEENSU_IJLi2ELi1EEEENSU_IJLi3EEEENSU_IJLi5EEEENSU_IJLi4EEEENSU_IJLi6EEEENSU_IJLi7EEEENSU_IJLi9ELi8EEEENSU_IJLi10EEEEEEENS5_IJNSU_IJLi1ELi2ELi3EEEENSU_IJLi4ELi5EEEES10_NSU_IJLi7ELi8EEEENSU_IJLi9EEEES13_NSU_IJLi11EEEENSU_IJLi12EEEENSU_IJLi13EEEEEEENSU_IJLi11ELi12ELi13EEEENS7_IlLl32768EEEEENS4_INS5_IJNSL_INS5_IJS8_SD_SD_NS7_IiLi32EEEEEELb0EEEEEENS5_IJSV_EEENS5_IJNSU_IJLi1ELi2ELi3ELi4EEEEEEES1L_NS7_IlLl256EEEEENS4_INS5_IJSF_SI_SK_SN_SO_SK_SP_SS_SK_NSQ_INS5_IJS8_SA_EEEEENSL_INS5_IJS8_NS7_IiLi2EEESA_EEELb0EEEEEENS5_IJSV_SW_SX_SY_SZ_S10_S11_S12_S13_NSU_IJLi11ELi13EEEES1A_EEENS5_IJS15_S16_S10_S17_S18_S13_S19_S1A_S1B_NSU_IJLi14EEEENSU_IJLi15ELi16ELi17EEEEEEENSU_IJLi15ELi16ELi17ELi14EEEES1E_EENS4_INS5_IJS1I_NSQ_ISM_EES1T_EEENS5_IJSV_NSU_IJLi1ELi3EEEENSU_IJLi2EEEEEEENS5_IJS1L_SY_NSU_IJLi6ELi7ELi8EEEEEEENSU_IJLi6ELi7ELi8ELi5EEEES1N_EELi16ELi32ELi256ELi256ELi128ELi16ELi16ELi8ELi8ELi32ELb0EE3RunILb1ELNS_10TailNumberE1ENS4_INS5_IJNS6_INS5_IJiiEEENS5_IJiSD_EEELb0EEENSL_IS2E_Lb0EEENSJ_IiEEEEENS5_IJSV_S25_NSU_IJLi1EEEEEEENS5_IJNSU_IJLi1ELi2EEEENSU_IJLi3ELi4EEEESY_EEENSU_IJLi3ELi5ELi4EEEElEES1F_NS_35ThreadGroupTensorSliceTransfer_v4r1INS_15ThisThreadBlockILi256EEENS_16tensor_operation12element_wise11PassThroughES2W_LNS_25InMemoryDataOperationEnumE0ENSU_IJLi8ELi256ELi16EEEENSU_IJLi8ELi32ELi1EEEENSU_IJLi1ELi0ELi2EEEES2_S2_RKS2Q_KS1F_S30_NSU_IJLi0ELi1ELi2EEEELi2ELi2ELi16ELi16ELi1ELi1ELb0ELb1ELi2EiEENS_13DynamicBufferILNS_16AddressSpaceEnumE1EKS2_lLb1ELNS_22AmdBufferCoherenceEnumE0EiEENS5_IJNS36_ILS37_2ES2_S1E_Lb1ELS39_0EiEES3B_EEENS5_IJiiiEEENS4_INS5_IJNS6_INS5_IJiiiiEEENS5_IJiiiSD_EEELb0EEEEEES1K_S1M_S1L_lEENS_32ThreadwiseTensorSliceTransfer_v2IS3_S3_RKS3I_KS1O_NSU_IJLi8ELi1ELi1ELi32EEEENSU_IJLi1ELi2ELi0ELi3EEEELi3ELi32ELi0ELb1ELb0ELb0EEENS36_ILS37_1EKS3_lLb1ELS39_0EiEENS5_IJNS_12StaticBufferILS37_4ES3_Li256ELb1EEES3T_EEES3E_NS_25StaticBufferTupleOfVectorILS37_4EfLi64ELi4ELb1ELb0EEEEEvRKT1_RKT2_RT3_RKT4_RT5_RKT6_RKT7_RT8_RKT9_RT10_RKT11_RT12_i
                                        ; -- End function
	.section	.AMDGPU.csdata,"",@progbits
; Function info:
; codeLenInByte = 70388
; NumSgprs: 51
; NumVgprs: 86
; NumAgprs: 4
; TotalNumVgprs: 92
; ScratchSize: 1152
; MemoryBound: 0
	.section	.text._ZN2ck45kernel_gemm_xdl_cshuffle_v3_b_preshuffle_2ldsINS_41GridwiseGemm_xdl_cshuffle_v3_b_preshuffleINS_13tensor_layout4gemm8RowMajorENS3_11ColumnMajorES4_NS_9f8_fnuz_tENS_7pk_i4_tEfDF16_DF16_NS_16tensor_operation12element_wise11PassThroughESA_SA_LNS8_6device18GemmSpecializationE0ELi256ELi256ELi256ELi128ELi16ELi32ELi16ELi16ELi8ELi8ENS_8SequenceIJLi8ELi32ELi1EEEENSD_IJLi1ELi0ELi2EEEESF_Li2ELi16ELi16ELb0ELi0ENSD_IJLi4ELi64ELi1EEEESF_SF_Li2ELi32ELi32ELb0ELi0ELi1ELi1ENSD_IJLi1ELi32ELi1ELi8EEEELi4ELNS_26BlockGemmPipelineSchedulerE0ELNS_24BlockGemmPipelineVersionE2ES6_S6_Lb0ELb0ELi0EEELb1ELNS_25InMemoryDataOperationEnumE1ELi1ELNS_10TailNumberE1EEEvNT_8ArgumentE,"axG",@progbits,_ZN2ck45kernel_gemm_xdl_cshuffle_v3_b_preshuffle_2ldsINS_41GridwiseGemm_xdl_cshuffle_v3_b_preshuffleINS_13tensor_layout4gemm8RowMajorENS3_11ColumnMajorES4_NS_9f8_fnuz_tENS_7pk_i4_tEfDF16_DF16_NS_16tensor_operation12element_wise11PassThroughESA_SA_LNS8_6device18GemmSpecializationE0ELi256ELi256ELi256ELi128ELi16ELi32ELi16ELi16ELi8ELi8ENS_8SequenceIJLi8ELi32ELi1EEEENSD_IJLi1ELi0ELi2EEEESF_Li2ELi16ELi16ELb0ELi0ENSD_IJLi4ELi64ELi1EEEESF_SF_Li2ELi32ELi32ELb0ELi0ELi1ELi1ENSD_IJLi1ELi32ELi1ELi8EEEELi4ELNS_26BlockGemmPipelineSchedulerE0ELNS_24BlockGemmPipelineVersionE2ES6_S6_Lb0ELb0ELi0EEELb1ELNS_25InMemoryDataOperationEnumE1ELi1ELNS_10TailNumberE1EEEvNT_8ArgumentE,comdat
	.protected	_ZN2ck45kernel_gemm_xdl_cshuffle_v3_b_preshuffle_2ldsINS_41GridwiseGemm_xdl_cshuffle_v3_b_preshuffleINS_13tensor_layout4gemm8RowMajorENS3_11ColumnMajorES4_NS_9f8_fnuz_tENS_7pk_i4_tEfDF16_DF16_NS_16tensor_operation12element_wise11PassThroughESA_SA_LNS8_6device18GemmSpecializationE0ELi256ELi256ELi256ELi128ELi16ELi32ELi16ELi16ELi8ELi8ENS_8SequenceIJLi8ELi32ELi1EEEENSD_IJLi1ELi0ELi2EEEESF_Li2ELi16ELi16ELb0ELi0ENSD_IJLi4ELi64ELi1EEEESF_SF_Li2ELi32ELi32ELb0ELi0ELi1ELi1ENSD_IJLi1ELi32ELi1ELi8EEEELi4ELNS_26BlockGemmPipelineSchedulerE0ELNS_24BlockGemmPipelineVersionE2ES6_S6_Lb0ELb0ELi0EEELb1ELNS_25InMemoryDataOperationEnumE1ELi1ELNS_10TailNumberE1EEEvNT_8ArgumentE ; -- Begin function _ZN2ck45kernel_gemm_xdl_cshuffle_v3_b_preshuffle_2ldsINS_41GridwiseGemm_xdl_cshuffle_v3_b_preshuffleINS_13tensor_layout4gemm8RowMajorENS3_11ColumnMajorES4_NS_9f8_fnuz_tENS_7pk_i4_tEfDF16_DF16_NS_16tensor_operation12element_wise11PassThroughESA_SA_LNS8_6device18GemmSpecializationE0ELi256ELi256ELi256ELi128ELi16ELi32ELi16ELi16ELi8ELi8ENS_8SequenceIJLi8ELi32ELi1EEEENSD_IJLi1ELi0ELi2EEEESF_Li2ELi16ELi16ELb0ELi0ENSD_IJLi4ELi64ELi1EEEESF_SF_Li2ELi32ELi32ELb0ELi0ELi1ELi1ENSD_IJLi1ELi32ELi1ELi8EEEELi4ELNS_26BlockGemmPipelineSchedulerE0ELNS_24BlockGemmPipelineVersionE2ES6_S6_Lb0ELb0ELi0EEELb1ELNS_25InMemoryDataOperationEnumE1ELi1ELNS_10TailNumberE1EEEvNT_8ArgumentE
	.globl	_ZN2ck45kernel_gemm_xdl_cshuffle_v3_b_preshuffle_2ldsINS_41GridwiseGemm_xdl_cshuffle_v3_b_preshuffleINS_13tensor_layout4gemm8RowMajorENS3_11ColumnMajorES4_NS_9f8_fnuz_tENS_7pk_i4_tEfDF16_DF16_NS_16tensor_operation12element_wise11PassThroughESA_SA_LNS8_6device18GemmSpecializationE0ELi256ELi256ELi256ELi128ELi16ELi32ELi16ELi16ELi8ELi8ENS_8SequenceIJLi8ELi32ELi1EEEENSD_IJLi1ELi0ELi2EEEESF_Li2ELi16ELi16ELb0ELi0ENSD_IJLi4ELi64ELi1EEEESF_SF_Li2ELi32ELi32ELb0ELi0ELi1ELi1ENSD_IJLi1ELi32ELi1ELi8EEEELi4ELNS_26BlockGemmPipelineSchedulerE0ELNS_24BlockGemmPipelineVersionE2ES6_S6_Lb0ELb0ELi0EEELb1ELNS_25InMemoryDataOperationEnumE1ELi1ELNS_10TailNumberE1EEEvNT_8ArgumentE
	.p2align	8
	.type	_ZN2ck45kernel_gemm_xdl_cshuffle_v3_b_preshuffle_2ldsINS_41GridwiseGemm_xdl_cshuffle_v3_b_preshuffleINS_13tensor_layout4gemm8RowMajorENS3_11ColumnMajorES4_NS_9f8_fnuz_tENS_7pk_i4_tEfDF16_DF16_NS_16tensor_operation12element_wise11PassThroughESA_SA_LNS8_6device18GemmSpecializationE0ELi256ELi256ELi256ELi128ELi16ELi32ELi16ELi16ELi8ELi8ENS_8SequenceIJLi8ELi32ELi1EEEENSD_IJLi1ELi0ELi2EEEESF_Li2ELi16ELi16ELb0ELi0ENSD_IJLi4ELi64ELi1EEEESF_SF_Li2ELi32ELi32ELb0ELi0ELi1ELi1ENSD_IJLi1ELi32ELi1ELi8EEEELi4ELNS_26BlockGemmPipelineSchedulerE0ELNS_24BlockGemmPipelineVersionE2ES6_S6_Lb0ELb0ELi0EEELb1ELNS_25InMemoryDataOperationEnumE1ELi1ELNS_10TailNumberE1EEEvNT_8ArgumentE,@function
_ZN2ck45kernel_gemm_xdl_cshuffle_v3_b_preshuffle_2ldsINS_41GridwiseGemm_xdl_cshuffle_v3_b_preshuffleINS_13tensor_layout4gemm8RowMajorENS3_11ColumnMajorES4_NS_9f8_fnuz_tENS_7pk_i4_tEfDF16_DF16_NS_16tensor_operation12element_wise11PassThroughESA_SA_LNS8_6device18GemmSpecializationE0ELi256ELi256ELi256ELi128ELi16ELi32ELi16ELi16ELi8ELi8ENS_8SequenceIJLi8ELi32ELi1EEEENSD_IJLi1ELi0ELi2EEEESF_Li2ELi16ELi16ELb0ELi0ENSD_IJLi4ELi64ELi1EEEESF_SF_Li2ELi32ELi32ELb0ELi0ELi1ELi1ENSD_IJLi1ELi32ELi1ELi8EEEELi4ELNS_26BlockGemmPipelineSchedulerE0ELNS_24BlockGemmPipelineVersionE2ES6_S6_Lb0ELb0ELi0EEELb1ELNS_25InMemoryDataOperationEnumE1ELi1ELNS_10TailNumberE1EEEvNT_8ArgumentE: ; @_ZN2ck45kernel_gemm_xdl_cshuffle_v3_b_preshuffle_2ldsINS_41GridwiseGemm_xdl_cshuffle_v3_b_preshuffleINS_13tensor_layout4gemm8RowMajorENS3_11ColumnMajorES4_NS_9f8_fnuz_tENS_7pk_i4_tEfDF16_DF16_NS_16tensor_operation12element_wise11PassThroughESA_SA_LNS8_6device18GemmSpecializationE0ELi256ELi256ELi256ELi128ELi16ELi32ELi16ELi16ELi8ELi8ENS_8SequenceIJLi8ELi32ELi1EEEENSD_IJLi1ELi0ELi2EEEESF_Li2ELi16ELi16ELb0ELi0ENSD_IJLi4ELi64ELi1EEEESF_SF_Li2ELi32ELi32ELb0ELi0ELi1ELi1ENSD_IJLi1ELi32ELi1ELi8EEEELi4ELNS_26BlockGemmPipelineSchedulerE0ELNS_24BlockGemmPipelineVersionE2ES6_S6_Lb0ELb0ELi0EEELb1ELNS_25InMemoryDataOperationEnumE1ELi1ELNS_10TailNumberE1EEEvNT_8ArgumentE
; %bb.0:
	s_add_u32 flat_scratch_lo, s6, s10
	s_addc_u32 flat_scratch_hi, s7, 0
	s_add_u32 s0, s0, s10
	s_mov_b32 s47, s8
	s_load_dwordx4 s[48:51], s[4:5], 0x10
	s_load_dwordx2 s[56:57], s[4:5], 0x24
	s_load_dword s10, s[4:5], 0x34
	s_load_dword s8, s[4:5], 0x3c
	;; [unrolled: 1-line block ×3, first 2 shown]
	s_load_dwordx2 s[6:7], s[4:5], 0x60
	s_load_dwordx4 s[12:15], s[4:5], 0x50
	s_addc_u32 s1, s1, 0
	s_waitcnt lgkmcnt(0)
	s_cmp_gt_i32 s57, 1
	s_cselect_b64 s[4:5], -1, 0
	s_bitcmp1_b32 s11, 0
	s_cselect_b64 s[16:17], -1, 0
	s_and_b64 s[4:5], s[4:5], s[16:17]
	v_mov_b32_e32 v41, v0
	s_andn2_b64 vcc, exec, s[4:5]
	s_mov_b64 s[4:5], 0
	s_mov_b32 s32, 0x33c00
	s_cbranch_vccnz .LBB61_2
; %bb.1:
	s_mul_i32 s4, s48, s9
	s_mul_i32 s4, s4, s49
	s_ashr_i32 s5, s4, 31
.LBB61_2:
	s_add_i32 s16, s57, -1
	s_mul_i32 s17, s16, s10
	s_sub_i32 s17, s50, s17
	s_mul_i32 s11, s10, s9
	s_cmp_lt_u32 s9, s16
	s_cselect_b32 s17, s10, s17
	s_ashr_i32 s10, s11, 31
	s_add_u32 s18, s12, s11
	s_addc_u32 s19, s13, s10
	s_add_i32 s10, s50, 0x7f
	s_ashr_i32 s11, s10, 31
	s_lshr_b32 s11, s11, 25
	s_add_i32 s10, s10, s11
	s_add_i32 s16, s49, 15
	s_ashr_i32 s20, s10, 7
	s_add_u32 s12, 0, 0
	s_addc_u32 s13, s48, -1
	s_mul_i32 s10, s13, s51
	s_ashr_i32 s11, s10, 31
	s_ashr_i32 s21, s17, 31
	v_mov_b32_e32 v1, s17
	s_add_u32 s10, s10, s17
	buffer_store_dword v1, off, s[0:3], 0 offset:3204
	v_mov_b32_e32 v1, s51
	s_addc_u32 s11, s11, s21
	s_mul_i32 s21, s48, s8
	buffer_store_dword v1, off, s[0:3], 0 offset:3208
	v_mov_b32_e32 v1, s8
	s_lshl_b32 s21, s21, 4
	v_mov_b32_e32 v0, s48
	v_mov_b32_e32 v2, 0
	buffer_store_dword v1, off, s[0:3], 0 offset:3216
	v_mov_b32_e32 v1, 16
	buffer_store_dword v0, off, s[0:3], 0 offset:3200
	buffer_store_dword v2, off, s[0:3], 0 offset:3212
	;; [unrolled: 1-line block ×5, first 2 shown]
	v_mov_b32_e32 v0, s21
	s_ashr_i32 s8, s16, 31
	buffer_store_dword v0, off, s[0:3], 0 offset:3236
	v_mov_b32_e32 v0, s11
	v_mov_b32_e32 v1, s10
	s_getpc_b64 s[10:11]
	s_add_u32 s10, s10, _ZN2ck41GridwiseGemm_xdl_cshuffle_v3_b_preshuffleINS_13tensor_layout4gemm8RowMajorENS2_11ColumnMajorES3_NS_9f8_fnuz_tENS_7pk_i4_tEfDF16_DF16_NS_16tensor_operation12element_wise11PassThroughES9_S9_LNS7_6device18GemmSpecializationE0ELi256ELi256ELi256ELi128ELi16ELi32ELi16ELi16ELi8ELi8ENS_8SequenceIJLi8ELi32ELi1EEEENSC_IJLi1ELi0ELi2EEEESE_Li2ELi16ELi16ELb0ELi0ENSC_IJLi4ELi64ELi1EEEESE_SE_Li2ELi32ELi32ELb0ELi0ELi1ELi1ENSC_IJLi1ELi32ELi1ELi8EEEELi4ELNS_26BlockGemmPipelineSchedulerE0ELNS_24BlockGemmPipelineVersionE2ES5_S5_Lb0ELb0ELi0EE5NWaveE@rel32@lo+4
	s_addc_u32 s11, s11, _ZN2ck41GridwiseGemm_xdl_cshuffle_v3_b_preshuffleINS_13tensor_layout4gemm8RowMajorENS2_11ColumnMajorES3_NS_9f8_fnuz_tENS_7pk_i4_tEfDF16_DF16_NS_16tensor_operation12element_wise11PassThroughES9_S9_LNS7_6device18GemmSpecializationE0ELi256ELi256ELi256ELi128ELi16ELi32ELi16ELi16ELi8ELi8ENS_8SequenceIJLi8ELi32ELi1EEEENSC_IJLi1ELi0ELi2EEEESE_Li2ELi16ELi16ELb0ELi0ENSC_IJLi4ELi64ELi1EEEESE_SE_Li2ELi32ELi32ELb0ELi0ELi1ELi1ENSC_IJLi1ELi32ELi1ELi8EEEELi4ELNS_26BlockGemmPipelineSchedulerE0ELNS_24BlockGemmPipelineVersionE2ES5_S5_Lb0ELb0ELi0EE5NWaveE@rel32@hi+12
	s_load_dword s10, s[10:11], 0x0
	s_lshr_b32 s8, s8, 27
	s_add_i32 s16, s16, s8
	s_ashr_i32 s11, s16, 5
	v_mov_b32_e32 v3, s11
	s_add_i32 s21, s11, -1
	buffer_store_dword v3, off, s[0:3], 0 offset:3248
	s_waitcnt lgkmcnt(0)
	v_mov_b32_e32 v3, s10
	s_lshl_b32 s16, s20, 12
	s_add_i32 s22, s10, -1
	buffer_store_dword v3, off, s[0:3], 0 offset:3252
	v_mov_b32_e32 v3, s20
	s_lshl_b32 s8, s20, 11
	s_mul_i32 s20, s16, s21
	s_mul_i32 s22, s22, s8
	s_add_i32 s23, s8, 0xfffff800
	s_bitset1_b32 s20, 11
	s_ashr_i32 s21, s22, 31
	s_ashr_i32 s24, s23, 31
	;; [unrolled: 1-line block ×3, first 2 shown]
	s_add_u32 s20, s20, s23
	s_addc_u32 s23, s25, s24
	s_mul_i32 s11, s8, s11
	v_mov_b32_e32 v4, s8
	buffer_store_dword v3, off, s[0:3], 0 offset:3256
	v_mov_b32_e32 v3, 0x800
	s_add_u32 s20, s20, s22
	s_mul_i32 s10, s11, s10
	buffer_store_dword v4, off, s[0:3], 0 offset:3268
	v_mov_b32_e32 v4, s16
	buffer_store_dword v0, off, s[0:3], 0 offset:3244
	buffer_store_dword v1, off, s[0:3], 0 offset:3240
	;; [unrolled: 1-line block ×3, first 2 shown]
	s_addc_u32 s21, s23, s21
	buffer_store_dword v4, off, s[0:3], 0 offset:3264
	buffer_store_dword v3, off, s[0:3], 0 offset:3272
	v_mov_b32_e32 v3, s10
	v_mov_b32_e32 v5, s19
	buffer_store_dword v3, off, s[0:3], 0 offset:3280
	v_mov_b32_e32 v3, s21
	v_mov_b32_e32 v4, s20
	buffer_store_dword v5, off, s[0:3], 0 offset:4
	v_mov_b32_e32 v5, s18
	buffer_store_dword v3, off, s[0:3], 0 offset:3292
	buffer_store_dword v4, off, s[0:3], 0 offset:3288
	buffer_store_dword v5, off, s[0:3], 0
	buffer_store_dword v0, off, s[0:3], 0 offset:12
	buffer_store_dword v1, off, s[0:3], 0 offset:8
	v_mov_b32_e32 v0, s15
	s_add_i32 s11, s48, -1
	s_mov_b32 s50, 0
	s_mov_b32 s10, 0
	buffer_store_dword v0, off, s[0:3], 0 offset:28
	v_mov_b32_e32 v0, s14
	s_cmpk_lt_u32 s11, 0x100
	buffer_store_byte v2, off, s[0:3], 0 offset:16
	buffer_store_dword v0, off, s[0:3], 0 offset:24
	buffer_store_dword v3, off, s[0:3], 0 offset:36
	;; [unrolled: 1-line block ×3, first 2 shown]
	buffer_store_byte v2, off, s[0:3], 0 offset:40
	s_cbranch_scc1 .LBB61_10
; %bb.3:
	s_add_i32 s11, s49, -1
	s_cmpk_lt_u32 s11, 0x100
	s_cbranch_scc1 .LBB61_9
; %bb.4:
	s_add_i32 s10, s48, 0xff
	s_ashr_i32 s11, s10, 31
	s_lshr_b32 s11, s11, 24
	s_add_i32 s10, s10, s11
	s_ashr_i32 s15, s10, 8
	s_add_i32 s10, s49, 0xff
	s_ashr_i32 s11, s10, 31
	s_lshr_b32 s11, s11, 24
	s_add_i32 s10, s10, s11
	s_ashr_i32 s14, s10, 8
	s_mul_i32 s10, s14, s15
	s_add_i32 s11, s10, 7
	s_ashr_i32 s18, s11, 31
	s_lshr_b32 s18, s18, 29
	s_add_i32 s11, s11, s18
	s_ashr_i32 s18, s11, 3
	s_and_b32 s11, s11, -8
	s_sub_i32 s19, s10, s11
	s_ashr_i32 s10, s47, 31
	s_lshr_b32 s10, s10, 29
	s_add_i32 s22, s47, s10
	s_and_b32 s10, s22, -8
	s_add_i32 s19, s19, 8
	s_sub_i32 s21, s47, s10
	s_cmp_gt_i32 s21, s19
	s_cbranch_scc1 .LBB61_6
; %bb.5:
	s_mul_i32 s20, s18, s21
	s_ashr_i32 s10, s22, 3
	s_cbranch_execz .LBB61_7
	s_branch .LBB61_8
.LBB61_6:
                                        ; implicit-def: $sgpr20
	s_ashr_i32 s10, s22, 3
.LBB61_7:
	s_add_i32 s11, s18, -1
	s_mul_i32 s11, s11, s21
	s_add_i32 s20, s19, s11
.LBB61_8:
	s_abs_i32 s11, s14
	v_cvt_f32_u32_e32 v0, s11
	s_add_i32 s10, s20, s10
	s_sub_i32 s20, 0, s11
	s_abs_i32 s19, s10
	v_rcp_iflag_f32_e32 v0, v0
	s_xor_b32 s18, s10, s14
	s_ashr_i32 s18, s18, 31
	v_mul_f32_e32 v0, 0x4f7ffffe, v0
	v_cvt_u32_f32_e32 v0, v0
	v_readfirstlane_b32 s21, v0
	s_mul_i32 s20, s20, s21
	s_mul_hi_u32 s20, s21, s20
	s_add_i32 s21, s21, s20
	s_mul_hi_u32 s20, s19, s21
	s_mul_i32 s21, s20, s11
	s_sub_i32 s19, s19, s21
	s_add_i32 s22, s20, 1
	s_sub_i32 s21, s19, s11
	s_cmp_ge_u32 s19, s11
	s_cselect_b32 s20, s22, s20
	s_cselect_b32 s19, s21, s19
	s_add_i32 s21, s20, 1
	s_cmp_ge_u32 s19, s11
	s_cselect_b32 s11, s21, s20
	s_xor_b32 s11, s11, s18
	s_lshr_b32 s19, s15, 30
	s_sub_i32 s11, s11, s18
	s_add_i32 s19, s15, s19
	s_mul_i32 s18, s11, s14
	s_sub_i32 s10, s10, s18
	s_and_b32 s18, s19, -4
	s_sub_i32 s15, s15, s18
	s_cmp_ge_i32 s11, s18
	s_cselect_b32 s15, s15, 4
	s_abs_i32 s19, s15
	v_cvt_f32_u32_e32 v0, s19
	s_ashr_i32 s18, s11, 31
	s_lshr_b32 s18, s18, 30
	s_add_i32 s18, s11, s18
	v_rcp_iflag_f32_e32 v0, v0
	s_and_b32 s18, s18, -4
	s_sub_i32 s18, s11, s18
	s_sub_i32 s21, 0, s19
	v_mul_f32_e32 v0, 0x4f7ffffe, v0
	v_cvt_u32_f32_e32 v0, v0
	s_mul_i32 s14, s18, s14
	s_add_i32 s14, s14, s10
	s_abs_i32 s20, s14
	v_readfirstlane_b32 s22, v0
	s_mul_i32 s21, s21, s22
	s_mul_hi_u32 s21, s22, s21
	s_add_i32 s22, s22, s21
	s_mul_hi_u32 s21, s20, s22
	s_mul_i32 s22, s21, s19
	s_xor_b32 s10, s14, s15
	s_sub_i32 s20, s20, s22
	s_ashr_i32 s10, s10, 31
	s_add_i32 s22, s21, 1
	s_sub_i32 s23, s20, s19
	s_cmp_ge_u32 s20, s19
	s_cselect_b32 s21, s22, s21
	s_cselect_b32 s20, s23, s20
	s_add_i32 s22, s21, 1
	s_cmp_ge_u32 s20, s19
	s_cselect_b32 s19, s22, s21
	s_xor_b32 s19, s19, s10
	s_sub_i32 s10, s19, s10
	s_mul_i32 s15, s10, s15
	s_sub_i32 s14, s14, s15
	s_add_i32 s14, s14, s11
	s_sub_i32 s47, s14, s18
.LBB61_9:
	s_mov_b32 s50, s47
	s_mov_b32 s47, s10
.LBB61_10:
	s_add_i32 s10, s17, 0x7f
	s_ashr_i32 s11, s10, 31
	s_lshr_b32 s11, s11, 25
	s_add_i32 s10, s10, s11
	s_lshl_b32 s11, s50, 8
	v_and_b32_e32 v1, 7, v41
	v_and_b32_e32 v3, 0xf8, v41
	v_add_u32_e32 v6, s11, v3
	v_lshlrev_b32_e32 v0, 4, v1
	v_mad_u64_u32 v[4:5], s[14:15], v6, s51, v[0:1]
	s_ashr_i32 s10, s10, 7
	buffer_store_dword v2, off, s[0:3], 0 offset:172
	buffer_store_dword v2, off, s[0:3], 0 offset:168
	;; [unrolled: 1-line block ×32, first 2 shown]
	buffer_store_short v2, off, s[0:3], 0 offset:176
	buffer_store_dword v2, off, s[0:3], 0 offset:204
	buffer_store_dword v2, off, s[0:3], 0 offset:200
	;; [unrolled: 1-line block ×32, first 2 shown]
	buffer_store_short v2, off, s[0:3], 0 offset:320
	buffer_store_dword v2, off, s[0:3], 0 offset:460
	buffer_store_dword v2, off, s[0:3], 0 offset:456
	buffer_store_dword v2, off, s[0:3], 0 offset:452
	buffer_store_dword v2, off, s[0:3], 0 offset:448
	buffer_store_dword v2, off, s[0:3], 0 offset:444
	buffer_store_dword v2, off, s[0:3], 0 offset:440
	buffer_store_dword v2, off, s[0:3], 0 offset:436
	buffer_store_dword v2, off, s[0:3], 0 offset:432
	buffer_store_dword v2, off, s[0:3], 0 offset:428
	buffer_store_dword v2, off, s[0:3], 0 offset:424
	buffer_store_dword v2, off, s[0:3], 0 offset:420
	buffer_store_dword v2, off, s[0:3], 0 offset:416
	buffer_store_dword v2, off, s[0:3], 0 offset:412
	buffer_store_dword v2, off, s[0:3], 0 offset:408
	buffer_store_dword v2, off, s[0:3], 0 offset:404
	buffer_store_dword v2, off, s[0:3], 0 offset:400
	buffer_store_dword v2, off, s[0:3], 0 offset:396
	buffer_store_dword v2, off, s[0:3], 0 offset:392
	buffer_store_dword v2, off, s[0:3], 0 offset:388
	buffer_store_dword v2, off, s[0:3], 0 offset:384
	buffer_store_dword v2, off, s[0:3], 0 offset:380
	buffer_store_dword v2, off, s[0:3], 0 offset:376
	buffer_store_dword v2, off, s[0:3], 0 offset:372
	buffer_store_dword v2, off, s[0:3], 0 offset:368
	buffer_store_dword v2, off, s[0:3], 0 offset:364
	buffer_store_dword v2, off, s[0:3], 0 offset:360
	buffer_store_dword v2, off, s[0:3], 0 offset:356
	buffer_store_dword v2, off, s[0:3], 0 offset:352
	buffer_store_dword v2, off, s[0:3], 0 offset:348
	buffer_store_dword v2, off, s[0:3], 0 offset:344
	buffer_store_dword v2, off, s[0:3], 0 offset:340
	buffer_store_dword v2, off, s[0:3], 0 offset:336
	buffer_store_byte v2, off, s[0:3], 0 offset:464
	buffer_store_dword v2, off, s[0:3], 0 offset:470
	buffer_store_dword v2, off, s[0:3], 0 offset:466
	;; [unrolled: 1-line block ×32, first 2 shown]
	buffer_store_byte v2, off, s[0:3], 0 offset:594
	buffer_store_dword v2, off, s[0:3], 0 offset:732
	buffer_store_dword v2, off, s[0:3], 0 offset:728
	buffer_store_dword v2, off, s[0:3], 0 offset:724
	buffer_store_dword v2, off, s[0:3], 0 offset:720
	buffer_store_dword v2, off, s[0:3], 0 offset:716
	buffer_store_dword v2, off, s[0:3], 0 offset:712
	buffer_store_dword v2, off, s[0:3], 0 offset:708
	buffer_store_dword v2, off, s[0:3], 0 offset:704
	buffer_store_dword v2, off, s[0:3], 0 offset:700
	buffer_store_dword v2, off, s[0:3], 0 offset:696
	buffer_store_dword v2, off, s[0:3], 0 offset:692
	buffer_store_dword v2, off, s[0:3], 0 offset:688
	buffer_store_dword v2, off, s[0:3], 0 offset:684
	buffer_store_dword v2, off, s[0:3], 0 offset:680
	buffer_store_dword v2, off, s[0:3], 0 offset:676
	buffer_store_dword v2, off, s[0:3], 0 offset:672
	buffer_store_dword v2, off, s[0:3], 0 offset:668
	buffer_store_dword v2, off, s[0:3], 0 offset:664
	buffer_store_dword v2, off, s[0:3], 0 offset:660
	buffer_store_dword v2, off, s[0:3], 0 offset:656
	buffer_store_dword v2, off, s[0:3], 0 offset:652
	buffer_store_dword v2, off, s[0:3], 0 offset:648
	buffer_store_dword v2, off, s[0:3], 0 offset:644
	buffer_store_dword v2, off, s[0:3], 0 offset:640
	buffer_store_dword v2, off, s[0:3], 0 offset:636
	buffer_store_dword v2, off, s[0:3], 0 offset:632
	buffer_store_dword v2, off, s[0:3], 0 offset:628
	buffer_store_dword v2, off, s[0:3], 0 offset:624
	buffer_store_dword v2, off, s[0:3], 0 offset:620
	buffer_store_dword v2, off, s[0:3], 0 offset:616
	buffer_store_dword v2, off, s[0:3], 0 offset:612
	buffer_store_dword v2, off, s[0:3], 0 offset:608
	buffer_store_short v2, off, s[0:3], 0 offset:736
	buffer_store_dword v2, off, s[0:3], 0 offset:768
	buffer_store_dword v4, off, s[0:3], 0 offset:752
	;; [unrolled: 1-line block ×6, first 2 shown]
	v_lshl_or_b32 v0, v3, 7, v0
	s_mul_i32 s9, s10, s9
	s_lshl_b32 s10, s47, 3
	buffer_store_dword v0, off, s[0:3], 0 offset:776
	buffer_store_dword v3, off, s[0:3], 0 offset:784
	;; [unrolled: 1-line block ×14, first 2 shown]
	v_bfe_u32 v3, v41, 6, 1
	v_lshlrev_b32_e32 v0, 5, v41
	v_and_b32_e32 v0, 0x7e0, v0
	s_mul_i32 s11, s10, s16
	v_mul_lo_u32 v1, s8, v3
	s_lshl_b32 s8, s9, 11
	v_or_b32_e32 v1, v1, v0
	s_add_i32 s11, s11, s8
	v_add_u32_e32 v1, s11, v1
	buffer_store_dword v1, off, s[0:3], 0 offset:848
	v_mov_b32_e32 v1, s10
	buffer_store_dword v1, off, s[0:3], 0 offset:852
	buffer_store_dword v3, off, s[0:3], 0 offset:856
	v_mov_b32_e32 v1, s9
	s_mov_b64 s[8:9], src_shared_base
	buffer_store_dword v1, off, s[0:3], 0 offset:860
	buffer_store_dword v0, off, s[0:3], 0 offset:864
	v_mov_b32_e32 v0, s9
	s_getpc_b64 s[8:9]
	s_add_u32 s8, s8, __const._ZN2ck41GridwiseGemm_xdl_cshuffle_v3_b_preshuffleINS_13tensor_layout4gemm8RowMajorENS2_11ColumnMajorES3_NS_9f8_fnuz_tENS_7pk_i4_tEfDF16_DF16_NS_16tensor_operation12element_wise11PassThroughES9_S9_LNS7_6device18GemmSpecializationE0ELi256ELi256ELi256ELi128ELi16ELi32ELi16ELi16ELi8ELi8ENS_8SequenceIJLi8ELi32ELi1EEEENSC_IJLi1ELi0ELi2EEEESE_Li2ELi16ELi16ELb0ELi0ENSC_IJLi4ELi64ELi1EEEESE_SE_Li2ELi32ELi32ELb0ELi0ELi1ELi1ENSC_IJLi1ELi32ELi1ELi8EEEELi4ELNS_26BlockGemmPipelineSchedulerE0ELNS_24BlockGemmPipelineVersionE2ES5_S5_Lb0ELb0ELi0EE8Run_2LdsIKNS_16TensorDescriptorINS_5TupleIJNS_5EmbedINSM_IJiiEEENSM_IJiNS_17integral_constantIiLi1EEEEEELb0EEENS_7UnMergeISO_Lb0EEENS_11PassThroughIiEEEEENSM_IJNSC_IJLi0EEEENSC_IJLi2EEEENSC_IJLi1EEEEEEENSM_IJNSC_IJLi1ELi2EEEENSC_IJLi3ELi4EEEENSC_IJLi5EEEEEEENSC_IJLi3ELi5ELi4EEEElEEKNSL_INSM_IJNSN_INSM_IJiiiiEEENSM_IJiiiSQ_EEELb0EEEEEENSM_IJSY_EEENSM_IJNSC_IJLi1ELi2ELi3ELi4EEEEEEES1E_lEEKNSL_INSM_IJSS_NS_8RightPadIiiLb0EEES1J_NST_INSM_IJiNSP_IiLi256EEEEEELb0EEES1M_EEENSM_IJSY_S10_SZ_NSC_IJLi3EEEENSC_IJLi4EEEEEEENSM_IJS12_S1O_S1P_NSC_IJLi5ELi6EEEENSC_IJLi7ELi8EEEEEEENSC_IJLi5ELi6ELi7ELi8EEEElEELb1ELNS_25InMemoryDataOperationEnumE1ELNS_10TailNumberE1EEEvPKS5_PKS6_PDF16_PvS24_RKNSJ_7ProblemERKT_RKT0_RKT1_i.a_block_slice_copy_step@rel32@lo+4
	s_addc_u32 s9, s9, __const._ZN2ck41GridwiseGemm_xdl_cshuffle_v3_b_preshuffleINS_13tensor_layout4gemm8RowMajorENS2_11ColumnMajorES3_NS_9f8_fnuz_tENS_7pk_i4_tEfDF16_DF16_NS_16tensor_operation12element_wise11PassThroughES9_S9_LNS7_6device18GemmSpecializationE0ELi256ELi256ELi256ELi128ELi16ELi32ELi16ELi16ELi8ELi8ENS_8SequenceIJLi8ELi32ELi1EEEENSC_IJLi1ELi0ELi2EEEESE_Li2ELi16ELi16ELb0ELi0ENSC_IJLi4ELi64ELi1EEEESE_SE_Li2ELi32ELi32ELb0ELi0ELi1ELi1ENSC_IJLi1ELi32ELi1ELi8EEEELi4ELNS_26BlockGemmPipelineSchedulerE0ELNS_24BlockGemmPipelineVersionE2ES5_S5_Lb0ELb0ELi0EE8Run_2LdsIKNS_16TensorDescriptorINS_5TupleIJNS_5EmbedINSM_IJiiEEENSM_IJiNS_17integral_constantIiLi1EEEEEELb0EEENS_7UnMergeISO_Lb0EEENS_11PassThroughIiEEEEENSM_IJNSC_IJLi0EEEENSC_IJLi2EEEENSC_IJLi1EEEEEEENSM_IJNSC_IJLi1ELi2EEEENSC_IJLi3ELi4EEEENSC_IJLi5EEEEEEENSC_IJLi3ELi5ELi4EEEElEEKNSL_INSM_IJNSN_INSM_IJiiiiEEENSM_IJiiiSQ_EEELb0EEEEEENSM_IJSY_EEENSM_IJNSC_IJLi1ELi2ELi3ELi4EEEEEEES1E_lEEKNSL_INSM_IJSS_NS_8RightPadIiiLb0EEES1J_NST_INSM_IJiNSP_IiLi256EEEEEELb0EEES1M_EEENSM_IJSY_S10_SZ_NSC_IJLi3EEEENSC_IJLi4EEEEEEENSM_IJS12_S1O_S1P_NSC_IJLi5ELi6EEEENSC_IJLi7ELi8EEEEEEENSC_IJLi5ELi6ELi7ELi8EEEElEELb1ELNS_25InMemoryDataOperationEnumE1ELNS_10TailNumberE1EEEvPKS5_PKS6_PDF16_PvS24_RKNSJ_7ProblemERKT_RKT0_RKT1_i.a_block_slice_copy_step@rel32@hi+12
	s_load_dwordx2 s[14:15], s[8:9], 0x0
	s_getpc_b64 s[8:9]
	s_add_u32 s8, s8, __const._ZN2ck41GridwiseGemm_xdl_cshuffle_v3_b_preshuffleINS_13tensor_layout4gemm8RowMajorENS2_11ColumnMajorES3_NS_9f8_fnuz_tENS_7pk_i4_tEfDF16_DF16_NS_16tensor_operation12element_wise11PassThroughES9_S9_LNS7_6device18GemmSpecializationE0ELi256ELi256ELi256ELi128ELi16ELi32ELi16ELi16ELi8ELi8ENS_8SequenceIJLi8ELi32ELi1EEEENSC_IJLi1ELi0ELi2EEEESE_Li2ELi16ELi16ELb0ELi0ENSC_IJLi4ELi64ELi1EEEESE_SE_Li2ELi32ELi32ELb0ELi0ELi1ELi1ENSC_IJLi1ELi32ELi1ELi8EEEELi4ELNS_26BlockGemmPipelineSchedulerE0ELNS_24BlockGemmPipelineVersionE2ES5_S5_Lb0ELb0ELi0EE8Run_2LdsIKNS_16TensorDescriptorINS_5TupleIJNS_5EmbedINSM_IJiiEEENSM_IJiNS_17integral_constantIiLi1EEEEEELb0EEENS_7UnMergeISO_Lb0EEENS_11PassThroughIiEEEEENSM_IJNSC_IJLi0EEEENSC_IJLi2EEEENSC_IJLi1EEEEEEENSM_IJNSC_IJLi1ELi2EEEENSC_IJLi3ELi4EEEENSC_IJLi5EEEEEEENSC_IJLi3ELi5ELi4EEEElEEKNSL_INSM_IJNSN_INSM_IJiiiiEEENSM_IJiiiSQ_EEELb0EEEEEENSM_IJSY_EEENSM_IJNSC_IJLi1ELi2ELi3ELi4EEEEEEES1E_lEEKNSL_INSM_IJSS_NS_8RightPadIiiLb0EEES1J_NST_INSM_IJiNSP_IiLi256EEEEEELb0EEES1M_EEENSM_IJSY_S10_SZ_NSC_IJLi3EEEENSC_IJLi4EEEEEEENSM_IJS12_S1O_S1P_NSC_IJLi5ELi6EEEENSC_IJLi7ELi8EEEEEEENSC_IJLi5ELi6ELi7ELi8EEEElEELb1ELNS_25InMemoryDataOperationEnumE1ELNS_10TailNumberE1EEEvPKS5_PKS6_PDF16_PvS24_RKNSJ_7ProblemERKT_RKT0_RKT1_i.b_block_slice_copy_step@rel32@lo+4
	s_addc_u32 s9, s9, __const._ZN2ck41GridwiseGemm_xdl_cshuffle_v3_b_preshuffleINS_13tensor_layout4gemm8RowMajorENS2_11ColumnMajorES3_NS_9f8_fnuz_tENS_7pk_i4_tEfDF16_DF16_NS_16tensor_operation12element_wise11PassThroughES9_S9_LNS7_6device18GemmSpecializationE0ELi256ELi256ELi256ELi128ELi16ELi32ELi16ELi16ELi8ELi8ENS_8SequenceIJLi8ELi32ELi1EEEENSC_IJLi1ELi0ELi2EEEESE_Li2ELi16ELi16ELb0ELi0ENSC_IJLi4ELi64ELi1EEEESE_SE_Li2ELi32ELi32ELb0ELi0ELi1ELi1ENSC_IJLi1ELi32ELi1ELi8EEEELi4ELNS_26BlockGemmPipelineSchedulerE0ELNS_24BlockGemmPipelineVersionE2ES5_S5_Lb0ELb0ELi0EE8Run_2LdsIKNS_16TensorDescriptorINS_5TupleIJNS_5EmbedINSM_IJiiEEENSM_IJiNS_17integral_constantIiLi1EEEEEELb0EEENS_7UnMergeISO_Lb0EEENS_11PassThroughIiEEEEENSM_IJNSC_IJLi0EEEENSC_IJLi2EEEENSC_IJLi1EEEEEEENSM_IJNSC_IJLi1ELi2EEEENSC_IJLi3ELi4EEEENSC_IJLi5EEEEEEENSC_IJLi3ELi5ELi4EEEElEEKNSL_INSM_IJNSN_INSM_IJiiiiEEENSM_IJiiiSQ_EEELb0EEEEEENSM_IJSY_EEENSM_IJNSC_IJLi1ELi2ELi3ELi4EEEEEEES1E_lEEKNSL_INSM_IJSS_NS_8RightPadIiiLb0EEES1J_NST_INSM_IJiNSP_IiLi256EEEEEELb0EEES1M_EEENSM_IJSY_S10_SZ_NSC_IJLi3EEEENSC_IJLi4EEEEEEENSM_IJS12_S1O_S1P_NSC_IJLi5ELi6EEEENSC_IJLi7ELi8EEEEEEENSC_IJLi5ELi6ELi7ELi8EEEElEELb1ELNS_25InMemoryDataOperationEnumE1ELNS_10TailNumberE1EEEvPKS5_PKS6_PDF16_PvS24_RKNSJ_7ProblemERKT_RKT0_RKT1_i.b_block_slice_copy_step@rel32@hi+12
	s_load_dwordx4 s[8:11], s[8:9], 0x0
	buffer_store_dword v0, off, s[0:3], 0 offset:876
	buffer_store_dword v2, off, s[0:3], 0 offset:872
	buffer_store_byte v2, off, s[0:3], 0 offset:881
	buffer_store_dword v0, off, s[0:3], 0 offset:892
	v_mov_b32_e32 v0, 0x8000
	buffer_store_dword v0, off, s[0:3], 0 offset:888
	buffer_store_byte v2, off, s[0:3], 0 offset:897
	s_waitcnt lgkmcnt(0)
	v_mov_b32_e32 v0, s15
	buffer_store_dword v0, off, s[0:3], 0 offset:908
	v_mov_b32_e32 v0, s14
	buffer_store_dword v0, off, s[0:3], 0 offset:904
	buffer_store_dword v2, off, s[0:3], 0 offset:912
	v_mov_b32_e32 v0, s11
	buffer_store_dword v0, off, s[0:3], 0 offset:928
	v_mov_b32_e32 v0, s10
	;; [unrolled: 2-line block ×5, first 2 shown]
	v_mov_b32_e32 v4, 0x3b0
	s_mov_b64 s[8:9], 0
	v_mov_b32_e32 v1, 0
.LBB61_11:                              ; =>This Inner Loop Header: Depth=1
	s_add_u32 s8, s8, 1
	s_addc_u32 s9, s9, 0
	v_cmp_lt_u64_e32 vcc, s[8:9], v[0:1]
	buffer_store_byte v2, v4, s[0:3], 0 offen
	v_add_u32_e32 v4, 1, v4
	s_cbranch_vccnz .LBB61_11
; %bb.12:
	v_and_b32_e32 v0, 63, v41
	v_and_b32_e32 v2, 48, v41
	v_lshrrev_b32_e32 v1, 7, v41
	v_sub_u32_e32 v0, v0, v2
	v_lshl_add_u32 v4, v1, 4, v0
	v_ashrrev_i16_e32 v6, 15, v4
	v_lshrrev_b16_e32 v6, 13, v6
	v_lshlrev_b32_e32 v2, 1, v41
	v_add_u16_e32 v6, v4, v6
	v_and_b32_e32 v2, 0x60, v2
	v_and_b32_e32 v6, -8, v6
	v_lshrrev_b32_e32 v5, 4, v2
	v_sub_u16_e32 v6, v4, v6
	v_xor_b32_sdwa v7, v5, sext(v6) dst_sel:DWORD dst_unused:UNUSED_PAD src0_sel:DWORD src1_sel:WORD_0
	v_lshlrev_b32_e32 v8, 7, v4
	v_lshl_add_u32 v9, v7, 4, v8
	buffer_store_dword v9, off, s[0:3], 0 offset:1968
	buffer_store_dword v7, off, s[0:3], 0 offset:1972
	;; [unrolled: 1-line block ×12, first 2 shown]
	v_lshl_add_u32 v5, v3, 4, v0
	v_add_lshl_u32 v7, v5, v2, 5
	buffer_store_dword v7, off, s[0:3], 0 offset:2040
	buffer_store_dword v2, off, s[0:3], 0 offset:2044
	;; [unrolled: 1-line block ×6, first 2 shown]
	v_bfe_u32 v2, v41, 4, 2
	v_lshlrev_b32_e32 v5, 1, v2
	v_xor_b32_sdwa v6, v5, sext(v6) dst_sel:DWORD dst_unused:UNUSED_PAD src0_sel:DWORD src1_sel:WORD_0
	v_lshl_add_u32 v7, v6, 4, v8
	v_lshlrev_b32_e32 v3, 5, v2
	buffer_store_dword v7, off, s[0:3], 0 offset:2076
	buffer_store_dword v6, off, s[0:3], 0 offset:2080
	;; [unrolled: 1-line block ×15, first 2 shown]
	v_mov_b32_e32 v0, 0
	buffer_store_dword v0, off, s[0:3], 0 offset:3196
	buffer_store_dword v0, off, s[0:3], 0 offset:3192
	;; [unrolled: 1-line block ×177, first 2 shown]
	buffer_load_dword v1, off, s[0:3], 0 offset:3216
	buffer_load_dword v2, off, s[0:3], 0 offset:3220
	s_nop 0
	buffer_store_dword v0, off, s[0:3], 0 offset:2488
	buffer_store_dword v0, off, s[0:3], 0 offset:2484
	;; [unrolled: 1-line block ×79, first 2 shown]
	s_lshl_b64 s[4:5], s[4:5], 1
	s_add_u32 s52, s6, s4
	s_addc_u32 s53, s7, s5
	s_mov_b64 s[4:5], src_private_base
	s_mul_i32 s13, s13, s56
	s_mul_hi_u32 s51, s12, s56
	s_add_i32 s51, s51, s13
	v_mov_b32_e32 v3, s5
	v_mov_b32_e32 v4, 48
	;; [unrolled: 1-line block ×19, first 2 shown]
	s_getpc_b64 s[6:7]
	s_add_u32 s6, s6, _ZNK2ck52BlockwiseGemmXdlops_pipeline_bpreshuffle_bdequant_v3ILNS_26BlockGemmPipelineSchedulerE0ELi256ENS_9f8_fnuz_tENS_7pk_i4_tES2_fNS_16TensorDescriptorINS_5TupleIJNS_5EmbedINS5_IJNS_17integral_constantIiLi8EEENS7_IiLi256EEENS7_IiLi16EEEEEENS5_IJSA_NS7_IiLi128EEENS7_IiLi1EEEEEELb0EEENS_3XorINS5_IJS9_S8_EEELb1EEENS_11PassThroughISA_EENS_7UnMergeINS5_IJS8_SD_EEELb0EEENSJ_IS9_EESK_NSJ_IS8_EENS_21Merge_v3_division_modINS5_IJS9_SD_EEEEESK_EEENS5_IJNS_8SequenceIJLi0EEEENSU_IJLi2ELi1EEEENSU_IJLi3EEEENSU_IJLi5EEEENSU_IJLi4EEEENSU_IJLi6EEEENSU_IJLi7EEEENSU_IJLi9ELi8EEEENSU_IJLi10EEEEEEENS5_IJNSU_IJLi1ELi2ELi3EEEENSU_IJLi4ELi5EEEES10_NSU_IJLi7ELi8EEEENSU_IJLi9EEEES13_NSU_IJLi11EEEENSU_IJLi12EEEENSU_IJLi13EEEEEEENSU_IJLi11ELi12ELi13EEEENS7_IlLl32768EEEEENS4_INS5_IJNSL_INS5_IJS8_SD_SD_NS7_IiLi32EEEEEELb0EEEEEENS5_IJSV_EEENS5_IJNSU_IJLi1ELi2ELi3ELi4EEEEEEES1L_NS7_IlLl256EEEEENS4_INS5_IJSF_SI_SK_SN_SO_SK_SP_SS_SK_NSQ_INS5_IJS8_SA_EEEEENSL_INS5_IJS8_NS7_IiLi2EEESA_EEELb0EEEEEENS5_IJSV_SW_SX_SY_SZ_S10_S11_S12_S13_NSU_IJLi11ELi13EEEES1A_EEENS5_IJS15_S16_S10_S17_S18_S13_S19_S1A_S1B_NSU_IJLi14EEEENSU_IJLi15ELi16ELi17EEEEEEENSU_IJLi15ELi16ELi17ELi14EEEES1E_EENS4_INS5_IJS1I_NSQ_ISM_EES1T_EEENS5_IJSV_NSU_IJLi1ELi3EEEENSU_IJLi2EEEEEEENS5_IJS1L_SY_NSU_IJLi6ELi7ELi8EEEEEEENSU_IJLi6ELi7ELi8ELi5EEEES1N_EELi16ELi32ELi256ELi256ELi128ELi16ELi16ELi8ELi8ELi32ELb0EE3RunILb1ELNS_10TailNumberE1ENS4_INS5_IJNS6_INS5_IJiiEEENS5_IJiSD_EEELb0EEENSL_IS2E_Lb0EEENSJ_IiEEEEENS5_IJSV_S25_NSU_IJLi1EEEEEEENS5_IJNSU_IJLi1ELi2EEEENSU_IJLi3ELi4EEEESY_EEENSU_IJLi3ELi5ELi4EEEElEES1F_NS_35ThreadGroupTensorSliceTransfer_v4r1INS_15ThisThreadBlockILi256EEENS_16tensor_operation12element_wise11PassThroughES2W_LNS_25InMemoryDataOperationEnumE0ENSU_IJLi8ELi256ELi16EEEENSU_IJLi8ELi32ELi1EEEENSU_IJLi1ELi0ELi2EEEES2_S2_RKS2Q_KS1F_S30_NSU_IJLi0ELi1ELi2EEEELi2ELi2ELi16ELi16ELi1ELi1ELb0ELb1ELi2EiEENS_13DynamicBufferILNS_16AddressSpaceEnumE1EKS2_lLb1ELNS_22AmdBufferCoherenceEnumE0EiEENS5_IJNS36_ILS37_2ES2_S1E_Lb1ELS39_0EiEES3B_EEENS5_IJiiiEEENS4_INS5_IJNS6_INS5_IJiiiiEEENS5_IJiiiSD_EEELb0EEEEEES1K_S1M_S1L_lEENS_32ThreadwiseTensorSliceTransfer_v2IS3_S3_RKS3I_KS1O_NSU_IJLi8ELi1ELi1ELi32EEEENSU_IJLi1ELi2ELi0ELi3EEEELi3ELi32ELi0ELb1ELb0ELb0EEENS36_ILS37_1EKS3_lLb1ELS39_0EiEENS5_IJNS_12StaticBufferILS37_4ES3_Li256ELb1EEES3T_EEES3E_NS_25StaticBufferTupleOfVectorILS37_4EfLi64ELi4ELb1ELb0EEEEEvRKT1_RKT2_RT3_RKT4_RT5_RKT6_RKT7_RT8_RKT9_RT10_RKT11_RT12_i@rel32@lo+4
	s_addc_u32 s7, s7, _ZNK2ck52BlockwiseGemmXdlops_pipeline_bpreshuffle_bdequant_v3ILNS_26BlockGemmPipelineSchedulerE0ELi256ENS_9f8_fnuz_tENS_7pk_i4_tES2_fNS_16TensorDescriptorINS_5TupleIJNS_5EmbedINS5_IJNS_17integral_constantIiLi8EEENS7_IiLi256EEENS7_IiLi16EEEEEENS5_IJSA_NS7_IiLi128EEENS7_IiLi1EEEEEELb0EEENS_3XorINS5_IJS9_S8_EEELb1EEENS_11PassThroughISA_EENS_7UnMergeINS5_IJS8_SD_EEELb0EEENSJ_IS9_EESK_NSJ_IS8_EENS_21Merge_v3_division_modINS5_IJS9_SD_EEEEESK_EEENS5_IJNS_8SequenceIJLi0EEEENSU_IJLi2ELi1EEEENSU_IJLi3EEEENSU_IJLi5EEEENSU_IJLi4EEEENSU_IJLi6EEEENSU_IJLi7EEEENSU_IJLi9ELi8EEEENSU_IJLi10EEEEEEENS5_IJNSU_IJLi1ELi2ELi3EEEENSU_IJLi4ELi5EEEES10_NSU_IJLi7ELi8EEEENSU_IJLi9EEEES13_NSU_IJLi11EEEENSU_IJLi12EEEENSU_IJLi13EEEEEEENSU_IJLi11ELi12ELi13EEEENS7_IlLl32768EEEEENS4_INS5_IJNSL_INS5_IJS8_SD_SD_NS7_IiLi32EEEEEELb0EEEEEENS5_IJSV_EEENS5_IJNSU_IJLi1ELi2ELi3ELi4EEEEEEES1L_NS7_IlLl256EEEEENS4_INS5_IJSF_SI_SK_SN_SO_SK_SP_SS_SK_NSQ_INS5_IJS8_SA_EEEEENSL_INS5_IJS8_NS7_IiLi2EEESA_EEELb0EEEEEENS5_IJSV_SW_SX_SY_SZ_S10_S11_S12_S13_NSU_IJLi11ELi13EEEES1A_EEENS5_IJS15_S16_S10_S17_S18_S13_S19_S1A_S1B_NSU_IJLi14EEEENSU_IJLi15ELi16ELi17EEEEEEENSU_IJLi15ELi16ELi17ELi14EEEES1E_EENS4_INS5_IJS1I_NSQ_ISM_EES1T_EEENS5_IJSV_NSU_IJLi1ELi3EEEENSU_IJLi2EEEEEEENS5_IJS1L_SY_NSU_IJLi6ELi7ELi8EEEEEEENSU_IJLi6ELi7ELi8ELi5EEEES1N_EELi16ELi32ELi256ELi256ELi128ELi16ELi16ELi8ELi8ELi32ELb0EE3RunILb1ELNS_10TailNumberE1ENS4_INS5_IJNS6_INS5_IJiiEEENS5_IJiSD_EEELb0EEENSL_IS2E_Lb0EEENSJ_IiEEEEENS5_IJSV_S25_NSU_IJLi1EEEEEEENS5_IJNSU_IJLi1ELi2EEEENSU_IJLi3ELi4EEEESY_EEENSU_IJLi3ELi5ELi4EEEElEES1F_NS_35ThreadGroupTensorSliceTransfer_v4r1INS_15ThisThreadBlockILi256EEENS_16tensor_operation12element_wise11PassThroughES2W_LNS_25InMemoryDataOperationEnumE0ENSU_IJLi8ELi256ELi16EEEENSU_IJLi8ELi32ELi1EEEENSU_IJLi1ELi0ELi2EEEES2_S2_RKS2Q_KS1F_S30_NSU_IJLi0ELi1ELi2EEEELi2ELi2ELi16ELi16ELi1ELi1ELb0ELb1ELi2EiEENS_13DynamicBufferILNS_16AddressSpaceEnumE1EKS2_lLb1ELNS_22AmdBufferCoherenceEnumE0EiEENS5_IJNS36_ILS37_2ES2_S1E_Lb1ELS39_0EiEES3B_EEENS5_IJiiiEEENS4_INS5_IJNS6_INS5_IJiiiiEEENS5_IJiiiSD_EEELb0EEEEEES1K_S1M_S1L_lEENS_32ThreadwiseTensorSliceTransfer_v2IS3_S3_RKS3I_KS1O_NSU_IJLi8ELi1ELi1ELi32EEEENSU_IJLi1ELi2ELi0ELi3EEEELi3ELi32ELi0ELb1ELb0ELb0EEENS36_ILS37_1EKS3_lLb1ELS39_0EiEENS5_IJNS_12StaticBufferILS37_4ES3_Li256ELb1EEES3T_EEES3E_NS_25StaticBufferTupleOfVectorILS37_4EfLi64ELi4ELb1ELb0EEEEEvRKT1_RKT2_RT3_RKT4_RT5_RKT6_RKT7_RT8_RKT9_RT10_RKT11_RT12_i@rel32@hi+12
	s_waitcnt vmcnt(62)
	v_mul_lo_u32 v0, v2, v1
	v_ashrrev_i32_e32 v1, 31, v0
	v_lshrrev_b32_e32 v1, 25, v1
	v_add_u32_e32 v0, v0, v1
	v_ashrrev_i32_e32 v0, 7, v0
	v_readfirstlane_b32 s4, v0
	v_mov_b32_e32 v0, 0x3b0
	v_mov_b32_e32 v1, s5
	;; [unrolled: 1-line block ×4, first 2 shown]
	s_swappc_b64 s[30:31], s[6:7]
	s_waitcnt lgkmcnt(0)
	s_barrier
	buffer_load_dword v5, off, s[0:3], 0 offset:2176
	buffer_load_dword v7, off, s[0:3], 0 offset:2180
	;; [unrolled: 1-line block ×4, first 2 shown]
	v_and_b32_e32 v0, 15, v41
	v_lshrrev_b32_e32 v1, 2, v41
	v_lshlrev_b32_e32 v3, 2, v41
	v_lshlrev_b32_e32 v4, 3, v41
	s_movk_i32 s4, 0x180
	v_lshrrev_b32_e32 v10, 3, v41
	v_and_b32_e32 v1, 16, v1
	v_and_b32_e32 v6, 0x200, v3
	v_and_or_b32 v0, v4, s4, v0
	v_and_b32_e32 v3, 28, v3
	s_add_i32 s5, s49, s51
	v_lshl_or_b32 v4, s50, 8, v10
	v_or3_b32 v11, v0, v6, v1
	v_lshl_or_b32 v6, s47, 8, v3
	s_lshl_b32 s54, s5, 1
	v_lshlrev_b32_e32 v12, 1, v3
	v_lshlrev_b32_e32 v3, 1, v11
	v_cmp_gt_i32_e64 s[18:19], s48, v4
	v_cmp_gt_i32_e32 vcc, s49, v6
	v_bfrev_b32_e32 v2, 1
	s_mov_b32 s55, 0x20000
	v_or_b32_e32 v11, 32, v6
	s_lshl_b32 s22, s56, 5
	v_or_b32_e32 v21, 64, v4
	v_or_b32_e32 v33, 0x60, v4
	s_waitcnt vmcnt(3)
	v_cvt_f16_f32_e32 v5, v5
	s_waitcnt vmcnt(2)
	v_mad_u64_u32 v[0:1], s[4:5], v4, s56, v[6:7]
	v_cvt_f16_f32_e32 v7, v7
	s_waitcnt vmcnt(1)
	v_cvt_f16_f32_e32 v8, v8
	v_lshl_or_b32 v1, v10, 6, v12
	s_waitcnt vmcnt(0)
	v_cvt_f16_f32_e32 v9, v9
	ds_write_b16 v3, v5
	ds_write_b16 v3, v7 offset:64
	ds_write_b16 v3, v8 offset:128
	;; [unrolled: 1-line block ×3, first 2 shown]
	s_waitcnt lgkmcnt(0)
	s_barrier
	ds_read_b64 v[8:9], v1
	s_and_b64 s[4:5], s[18:19], vcc
	v_lshlrev_b32_e32 v5, 1, v0
	v_cndmask_b32_e64 v7, v2, 0, s[4:5]
	v_add_u32_e32 v7, v7, v5
	s_waitcnt lgkmcnt(0)
	buffer_atomic_pk_add_f16 v8, v7, s[52:55], 0 offen
	buffer_atomic_pk_add_f16 v9, v7, s[52:55], 4 offen
	s_waitcnt lgkmcnt(0)
	s_barrier
	buffer_load_dword v7, off, s[0:3], 0 offset:2192
	buffer_load_dword v8, off, s[0:3], 0 offset:2196
	buffer_load_dword v9, off, s[0:3], 0 offset:2200
	buffer_load_dword v10, off, s[0:3], 0 offset:2204
	v_cmp_gt_i32_e64 s[4:5], s49, v11
	s_and_b64 s[6:7], s[18:19], s[4:5]
	v_or_b32_e32 v11, 64, v6
	s_waitcnt vmcnt(3)
	v_cvt_f16_f32_e32 v7, v7
	s_waitcnt vmcnt(2)
	v_cvt_f16_f32_e32 v8, v8
	s_waitcnt vmcnt(1)
	v_cvt_f16_f32_e32 v9, v9
	s_waitcnt vmcnt(0)
	v_cvt_f16_f32_e32 v10, v10
	ds_write_b16 v3, v7
	ds_write_b16 v3, v8 offset:64
	ds_write_b16 v3, v9 offset:128
	ds_write_b16 v3, v10 offset:192
	s_waitcnt lgkmcnt(0)
	s_barrier
	ds_read_b64 v[8:9], v1
	v_cndmask_b32_e64 v7, v2, 0, s[6:7]
	v_add_u32_e32 v7, v5, v7
	s_waitcnt lgkmcnt(0)
	buffer_atomic_pk_add_f16 v8, v7, s[52:55], 0 offen offset:64
	buffer_atomic_pk_add_f16 v9, v7, s[52:55], 4 offen offset:64
	s_waitcnt lgkmcnt(0)
	s_barrier
	buffer_load_dword v7, off, s[0:3], 0 offset:2208
	buffer_load_dword v8, off, s[0:3], 0 offset:2212
	buffer_load_dword v9, off, s[0:3], 0 offset:2216
	buffer_load_dword v10, off, s[0:3], 0 offset:2220
	v_cmp_gt_i32_e64 s[6:7], s49, v11
	s_and_b64 s[8:9], s[18:19], s[6:7]
	v_or_b32_e32 v11, 0x60, v6
	s_waitcnt vmcnt(3)
	v_cvt_f16_f32_e32 v7, v7
	s_waitcnt vmcnt(2)
	v_cvt_f16_f32_e32 v8, v8
	s_waitcnt vmcnt(1)
	v_cvt_f16_f32_e32 v9, v9
	s_waitcnt vmcnt(0)
	v_cvt_f16_f32_e32 v10, v10
	ds_write_b16 v3, v7
	ds_write_b16 v3, v8 offset:64
	ds_write_b16 v3, v9 offset:128
	ds_write_b16 v3, v10 offset:192
	s_waitcnt lgkmcnt(0)
	s_barrier
	ds_read_b64 v[8:9], v1
	v_cndmask_b32_e64 v7, v2, 0, s[8:9]
	v_add_u32_e32 v7, v5, v7
	s_waitcnt lgkmcnt(0)
	buffer_atomic_pk_add_f16 v8, v7, s[52:55], 0 offen offset:128
	buffer_atomic_pk_add_f16 v9, v7, s[52:55], 4 offen offset:128
	;; [unrolled: 29-line block ×5, first 2 shown]
	s_waitcnt lgkmcnt(0)
	s_barrier
	buffer_load_dword v7, off, s[0:3], 0 offset:2272
	buffer_load_dword v8, off, s[0:3], 0 offset:2276
	;; [unrolled: 1-line block ×4, first 2 shown]
	v_cmp_gt_i32_e64 s[14:15], s49, v11
	s_and_b64 s[16:17], s[18:19], s[14:15]
	v_add_u32_e32 v11, 0xe0, v0
	v_add_lshl_u32 v20, v11, s22, 1
	v_add_u32_e32 v0, s22, v0
	v_add_u32_e32 v30, s22, v0
	v_lshlrev_b32_e32 v31, 1, v30
	s_waitcnt vmcnt(3)
	v_cvt_f16_f32_e32 v7, v7
	s_waitcnt vmcnt(2)
	v_cvt_f16_f32_e32 v8, v8
	;; [unrolled: 2-line block ×4, first 2 shown]
	ds_write_b16 v3, v7
	ds_write_b16 v3, v8 offset:64
	ds_write_b16 v3, v9 offset:128
	;; [unrolled: 1-line block ×3, first 2 shown]
	s_waitcnt lgkmcnt(0)
	s_barrier
	ds_read_b64 v[8:9], v1
	v_cndmask_b32_e64 v7, v2, 0, s[16:17]
	v_add_u32_e32 v5, v5, v7
	s_waitcnt lgkmcnt(0)
	buffer_atomic_pk_add_f16 v8, v5, s[52:55], 0 offen offset:384
	buffer_atomic_pk_add_f16 v9, v5, s[52:55], 4 offen offset:384
	s_waitcnt lgkmcnt(0)
	s_barrier
	buffer_load_dword v5, off, s[0:3], 0 offset:2288
	buffer_load_dword v7, off, s[0:3], 0 offset:2292
	;; [unrolled: 1-line block ×4, first 2 shown]
	v_or_b32_e32 v10, 0xe0, v6
	v_cmp_gt_i32_e64 s[16:17], s49, v10
	s_and_b64 s[18:19], s[18:19], s[16:17]
	s_waitcnt vmcnt(3)
	v_cvt_f16_f32_e32 v5, v5
	s_waitcnt vmcnt(2)
	v_cvt_f16_f32_e32 v6, v7
	;; [unrolled: 2-line block ×4, first 2 shown]
	ds_write_b16 v3, v5
	ds_write_b16 v3, v6 offset:64
	ds_write_b16 v3, v7 offset:128
	ds_write_b16 v3, v8 offset:192
	s_waitcnt lgkmcnt(0)
	s_barrier
	ds_read_b64 v[6:7], v1
	v_cndmask_b32_e64 v5, v2, 0, s[18:19]
	v_lshl_add_u32 v5, v11, 1, v5
	s_waitcnt lgkmcnt(0)
	buffer_atomic_pk_add_f16 v6, v5, s[52:55], 0 offen
	buffer_atomic_pk_add_f16 v7, v5, s[52:55], 4 offen
	s_waitcnt lgkmcnt(0)
	s_barrier
	buffer_load_dword v5, off, s[0:3], 0 offset:2416
	buffer_load_dword v6, off, s[0:3], 0 offset:2420
	;; [unrolled: 1-line block ×4, first 2 shown]
	v_or_b32_e32 v9, 32, v4
	v_cmp_gt_i32_e64 s[18:19], s48, v9
	s_and_b64 s[20:21], s[18:19], s[16:17]
	s_waitcnt vmcnt(3)
	v_cvt_f16_f32_e32 v5, v5
	s_waitcnt vmcnt(2)
	v_cvt_f16_f32_e32 v6, v6
	;; [unrolled: 2-line block ×4, first 2 shown]
	ds_write_b16 v3, v5
	ds_write_b16 v3, v6 offset:64
	ds_write_b16 v3, v7 offset:128
	;; [unrolled: 1-line block ×3, first 2 shown]
	s_waitcnt lgkmcnt(0)
	s_barrier
	ds_read_b64 v[6:7], v1
	v_cndmask_b32_e64 v5, v2, 0, s[20:21]
	v_add_u32_e32 v5, v20, v5
	s_waitcnt lgkmcnt(0)
	buffer_atomic_pk_add_f16 v6, v5, s[52:55], 0 offen
	buffer_atomic_pk_add_f16 v7, v5, s[52:55], 4 offen
	s_waitcnt lgkmcnt(0)
	s_barrier
	buffer_load_dword v6, off, s[0:3], 0 offset:2400
	buffer_load_dword v7, off, s[0:3], 0 offset:2404
	;; [unrolled: 1-line block ×4, first 2 shown]
	v_mov_b32_e32 v5, 0x7fffffc0
	s_and_b64 s[20:21], s[18:19], s[14:15]
	s_waitcnt vmcnt(3)
	v_cvt_f16_f32_e32 v6, v6
	s_waitcnt vmcnt(2)
	v_cvt_f16_f32_e32 v7, v7
	s_waitcnt vmcnt(1)
	v_cvt_f16_f32_e32 v8, v8
	s_waitcnt vmcnt(0)
	v_cvt_f16_f32_e32 v9, v9
	ds_write_b16 v3, v6
	ds_write_b16 v3, v7 offset:64
	ds_write_b16 v3, v8 offset:128
	;; [unrolled: 1-line block ×3, first 2 shown]
	s_waitcnt lgkmcnt(0)
	s_barrier
	ds_read_b64 v[8:9], v1
	v_not_b32_e32 v7, 63
	v_cndmask_b32_e64 v6, v5, v7, s[20:21]
	v_add_u32_e32 v6, v20, v6
	s_waitcnt lgkmcnt(0)
	buffer_atomic_pk_add_f16 v8, v6, s[52:55], 0 offen
	buffer_atomic_pk_add_f16 v9, v6, s[52:55], 4 offen
	s_waitcnt lgkmcnt(0)
	s_barrier
	buffer_load_dword v8, off, s[0:3], 0 offset:2384
	buffer_load_dword v9, off, s[0:3], 0 offset:2388
	buffer_load_dword v10, off, s[0:3], 0 offset:2392
	buffer_load_dword v11, off, s[0:3], 0 offset:2396
	v_mov_b32_e32 v6, 0x7fffff80
	s_and_b64 s[20:21], s[18:19], s[12:13]
	s_waitcnt vmcnt(3)
	v_cvt_f16_f32_e32 v8, v8
	s_waitcnt vmcnt(2)
	v_cvt_f16_f32_e32 v9, v9
	s_waitcnt vmcnt(1)
	v_cvt_f16_f32_e32 v10, v10
	s_waitcnt vmcnt(0)
	v_cvt_f16_f32_e32 v11, v11
	ds_write_b16 v3, v8
	ds_write_b16 v3, v9 offset:64
	ds_write_b16 v3, v10 offset:128
	ds_write_b16 v3, v11 offset:192
	s_waitcnt lgkmcnt(0)
	s_barrier
	ds_read_b64 v[10:11], v1
	v_mov_b32_e32 v9, 0xffffff80
	v_cndmask_b32_e64 v8, v6, v9, s[20:21]
	v_add_u32_e32 v8, v20, v8
	s_waitcnt lgkmcnt(0)
	buffer_atomic_pk_add_f16 v10, v8, s[52:55], 0 offen
	buffer_atomic_pk_add_f16 v11, v8, s[52:55], 4 offen
	s_waitcnt lgkmcnt(0)
	s_barrier
	buffer_load_dword v10, off, s[0:3], 0 offset:2368
	buffer_load_dword v11, off, s[0:3], 0 offset:2372
	buffer_load_dword v12, off, s[0:3], 0 offset:2376
	buffer_load_dword v13, off, s[0:3], 0 offset:2380
	v_mov_b32_e32 v8, 0x7fffff40
	s_and_b64 s[20:21], s[18:19], s[10:11]
	s_waitcnt vmcnt(3)
	v_cvt_f16_f32_e32 v10, v10
	s_waitcnt vmcnt(2)
	v_cvt_f16_f32_e32 v11, v11
	s_waitcnt vmcnt(1)
	v_cvt_f16_f32_e32 v12, v12
	s_waitcnt vmcnt(0)
	v_cvt_f16_f32_e32 v13, v13
	ds_write_b16 v3, v10
	ds_write_b16 v3, v11 offset:64
	ds_write_b16 v3, v12 offset:128
	ds_write_b16 v3, v13 offset:192
	s_waitcnt lgkmcnt(0)
	s_barrier
	ds_read_b64 v[12:13], v1
	v_mov_b32_e32 v11, 0xffffff40
	;; [unrolled: 29-line block ×4, first 2 shown]
	v_cndmask_b32_e64 v14, v12, v15, s[20:21]
	v_add_u32_e32 v14, v20, v14
	s_waitcnt lgkmcnt(0)
	buffer_atomic_pk_add_f16 v16, v14, s[52:55], 0 offen
	buffer_atomic_pk_add_f16 v17, v14, s[52:55], 4 offen
	s_waitcnt lgkmcnt(0)
	s_barrier
	buffer_load_dword v16, off, s[0:3], 0 offset:2320
	buffer_load_dword v17, off, s[0:3], 0 offset:2324
	;; [unrolled: 1-line block ×4, first 2 shown]
	v_mov_b32_e32 v14, 0x7ffffe80
	s_and_b64 s[20:21], s[18:19], s[4:5]
	s_and_b64 s[18:19], vcc, s[18:19]
	s_waitcnt vmcnt(3)
	v_cvt_f16_f32_e32 v16, v16
	s_waitcnt vmcnt(2)
	v_cvt_f16_f32_e32 v17, v17
	;; [unrolled: 2-line block ×4, first 2 shown]
	ds_write_b16 v3, v16
	ds_write_b16 v3, v17 offset:64
	ds_write_b16 v3, v18 offset:128
	;; [unrolled: 1-line block ×3, first 2 shown]
	s_waitcnt lgkmcnt(0)
	s_barrier
	ds_read_b64 v[18:19], v1
	v_mov_b32_e32 v16, 0xfffffe80
	v_cndmask_b32_e64 v17, v14, v16, s[20:21]
	v_add_u32_e32 v17, v20, v17
	s_waitcnt lgkmcnt(0)
	buffer_atomic_pk_add_f16 v18, v17, s[52:55], 0 offen
	buffer_atomic_pk_add_f16 v19, v17, s[52:55], 4 offen
	s_waitcnt lgkmcnt(0)
	s_barrier
	buffer_load_dword v17, off, s[0:3], 0 offset:2304
	buffer_load_dword v18, off, s[0:3], 0 offset:2308
	;; [unrolled: 1-line block ×4, first 2 shown]
	s_waitcnt vmcnt(3)
	v_cvt_f16_f32_e32 v17, v17
	s_waitcnt vmcnt(2)
	v_cvt_f16_f32_e32 v18, v18
	;; [unrolled: 2-line block ×4, first 2 shown]
	ds_write_b16 v3, v17
	ds_write_b16 v3, v18 offset:64
	ds_write_b16 v3, v19 offset:128
	ds_write_b16 v3, v20 offset:192
	s_waitcnt lgkmcnt(0)
	s_barrier
	ds_read_b64 v[18:19], v1
	v_cndmask_b32_e64 v17, v2, 0, s[18:19]
	v_lshl_add_u32 v17, v0, 1, v17
	s_waitcnt lgkmcnt(0)
	buffer_atomic_pk_add_f16 v18, v17, s[52:55], 0 offen
	buffer_atomic_pk_add_f16 v19, v17, s[52:55], 4 offen
	s_waitcnt lgkmcnt(0)
	s_barrier
	buffer_load_dword v17, off, s[0:3], 0 offset:2432
	buffer_load_dword v18, off, s[0:3], 0 offset:2436
	;; [unrolled: 1-line block ×4, first 2 shown]
	v_cmp_gt_i32_e64 s[18:19], s48, v21
	s_and_b64 s[20:21], vcc, s[18:19]
	s_waitcnt vmcnt(3)
	v_cvt_f16_f32_e32 v17, v17
	s_waitcnt vmcnt(2)
	v_cvt_f16_f32_e32 v18, v18
	s_waitcnt vmcnt(1)
	v_cvt_f16_f32_e32 v19, v19
	s_waitcnt vmcnt(0)
	v_cvt_f16_f32_e32 v20, v20
	ds_write_b16 v3, v17
	ds_write_b16 v3, v18 offset:64
	ds_write_b16 v3, v19 offset:128
	;; [unrolled: 1-line block ×3, first 2 shown]
	s_waitcnt lgkmcnt(0)
	s_barrier
	ds_read_b64 v[18:19], v1
	v_cndmask_b32_e64 v17, v2, 0, s[20:21]
	v_add_u32_e32 v0, v31, v17
	s_waitcnt lgkmcnt(0)
	buffer_atomic_pk_add_f16 v18, v0, s[52:55], 0 offen
	buffer_atomic_pk_add_f16 v19, v0, s[52:55], 4 offen
	s_waitcnt lgkmcnt(0)
	s_barrier
	buffer_load_dword v0, off, s[0:3], 0 offset:2448
	buffer_load_dword v17, off, s[0:3], 0 offset:2452
	;; [unrolled: 1-line block ×4, first 2 shown]
	s_and_b64 s[20:21], s[18:19], s[4:5]
	s_waitcnt vmcnt(3)
	v_cvt_f16_f32_e32 v0, v0
	s_waitcnt vmcnt(2)
	v_cvt_f16_f32_e32 v17, v17
	s_waitcnt vmcnt(1)
	v_cvt_f16_f32_e32 v18, v18
	s_waitcnt vmcnt(0)
	v_cvt_f16_f32_e32 v19, v19
	ds_write_b16 v3, v0
	ds_write_b16 v3, v17 offset:64
	ds_write_b16 v3, v18 offset:128
	ds_write_b16 v3, v19 offset:192
	s_waitcnt lgkmcnt(0)
	s_barrier
	ds_read_b64 v[18:19], v1
	v_mov_b32_e32 v17, 0x80000040
	v_cndmask_b32_e64 v0, v17, 64, s[20:21]
	v_add_u32_e32 v0, v31, v0
	s_waitcnt lgkmcnt(0)
	buffer_atomic_pk_add_f16 v18, v0, s[52:55], 0 offen
	buffer_atomic_pk_add_f16 v19, v0, s[52:55], 4 offen
	s_waitcnt lgkmcnt(0)
	s_barrier
	buffer_load_dword v18, off, s[0:3], 0 offset:2464
	buffer_load_dword v19, off, s[0:3], 0 offset:2468
	buffer_load_dword v20, off, s[0:3], 0 offset:2472
	buffer_load_dword v21, off, s[0:3], 0 offset:2476
	v_mov_b32_e32 v0, 0x80000080
	s_and_b64 s[20:21], s[18:19], s[6:7]
	s_waitcnt vmcnt(3)
	v_cvt_f16_f32_e32 v18, v18
	s_waitcnt vmcnt(2)
	v_cvt_f16_f32_e32 v19, v19
	s_waitcnt vmcnt(1)
	v_cvt_f16_f32_e32 v20, v20
	s_waitcnt vmcnt(0)
	v_cvt_f16_f32_e32 v21, v21
	ds_write_b16 v3, v18
	ds_write_b16 v3, v19 offset:64
	ds_write_b16 v3, v20 offset:128
	ds_write_b16 v3, v21 offset:192
	s_waitcnt lgkmcnt(0)
	s_barrier
	ds_read_b64 v[20:21], v1
	v_mov_b32_e32 v19, 0x80
	v_cndmask_b32_e64 v18, v0, v19, s[20:21]
	v_add_u32_e32 v18, v31, v18
	s_waitcnt lgkmcnt(0)
	buffer_atomic_pk_add_f16 v20, v18, s[52:55], 0 offen
	buffer_atomic_pk_add_f16 v21, v18, s[52:55], 4 offen
	s_waitcnt lgkmcnt(0)
	s_barrier
	buffer_load_dword v20, off, s[0:3], 0 offset:2480
	buffer_load_dword v21, off, s[0:3], 0 offset:2484
	buffer_load_dword v22, off, s[0:3], 0 offset:2488
	buffer_load_dword v23, off, s[0:3], 0 offset:2492
	v_mov_b32_e32 v18, 0x800000c0
	;; [unrolled: 29-line block ×5, first 2 shown]
	s_and_b64 s[20:21], s[18:19], s[14:15]
	s_and_b64 s[18:19], s[18:19], s[16:17]
	s_waitcnt vmcnt(3)
	v_cvt_f16_f32_e32 v26, v26
	s_waitcnt vmcnt(2)
	v_cvt_f16_f32_e32 v27, v27
	;; [unrolled: 2-line block ×4, first 2 shown]
	ds_write_b16 v3, v26
	ds_write_b16 v3, v27 offset:64
	ds_write_b16 v3, v28 offset:128
	;; [unrolled: 1-line block ×3, first 2 shown]
	s_waitcnt lgkmcnt(0)
	s_barrier
	ds_read_b64 v[28:29], v1
	v_mov_b32_e32 v26, 0x180
	v_cndmask_b32_e64 v27, v24, v26, s[20:21]
	v_add_u32_e32 v27, v31, v27
	s_waitcnt lgkmcnt(0)
	buffer_atomic_pk_add_f16 v28, v27, s[52:55], 0 offen
	buffer_atomic_pk_add_f16 v29, v27, s[52:55], 4 offen
	s_waitcnt lgkmcnt(0)
	s_barrier
	buffer_load_dword v27, off, s[0:3], 0 offset:2544
	buffer_load_dword v28, off, s[0:3], 0 offset:2548
	;; [unrolled: 1-line block ×4, first 2 shown]
	s_waitcnt vmcnt(3)
	v_cvt_f16_f32_e32 v27, v27
	s_waitcnt vmcnt(2)
	v_cvt_f16_f32_e32 v28, v28
	;; [unrolled: 2-line block ×4, first 2 shown]
	ds_write_b16 v3, v27
	ds_write_b16 v3, v28 offset:64
	ds_write_b16 v3, v29 offset:128
	;; [unrolled: 1-line block ×3, first 2 shown]
	s_waitcnt lgkmcnt(0)
	s_barrier
	ds_read_b64 v[28:29], v1
	v_cndmask_b32_e64 v27, v2, 0, s[18:19]
	v_add_u32_e32 v31, 0xe0, v30
	v_lshl_add_u32 v27, v31, 1, v27
	s_waitcnt lgkmcnt(0)
	buffer_atomic_pk_add_f16 v28, v27, s[52:55], 0 offen
	buffer_atomic_pk_add_f16 v29, v27, s[52:55], 4 offen
	s_waitcnt lgkmcnt(0)
	s_barrier
	buffer_load_dword v27, off, s[0:3], 0 offset:2672
	buffer_load_dword v28, off, s[0:3], 0 offset:2676
	;; [unrolled: 1-line block ×4, first 2 shown]
	v_cmp_gt_i32_e64 s[18:19], s48, v33
	s_and_b64 s[20:21], s[18:19], s[16:17]
	v_add_lshl_u32 v31, v31, s22, 1
	v_add_u32_e32 v30, s22, v30
	v_or_b32_e32 v33, 0xa0, v4
	s_waitcnt vmcnt(3)
	v_cvt_f16_f32_e32 v27, v27
	s_waitcnt vmcnt(2)
	v_cvt_f16_f32_e32 v28, v28
	s_waitcnt vmcnt(1)
	v_cvt_f16_f32_e32 v29, v29
	s_waitcnt vmcnt(0)
	v_cvt_f16_f32_e32 v32, v32
	ds_write_b16 v3, v27
	ds_write_b16 v3, v28 offset:64
	ds_write_b16 v3, v29 offset:128
	ds_write_b16 v3, v32 offset:192
	s_waitcnt lgkmcnt(0)
	s_barrier
	ds_read_b64 v[28:29], v1
	v_cndmask_b32_e64 v27, v2, 0, s[20:21]
	v_add_u32_e32 v27, v31, v27
	s_waitcnt lgkmcnt(0)
	buffer_atomic_pk_add_f16 v28, v27, s[52:55], 0 offen
	buffer_atomic_pk_add_f16 v29, v27, s[52:55], 4 offen
	s_waitcnt lgkmcnt(0)
	s_barrier
	buffer_load_dword v27, off, s[0:3], 0 offset:2656
	buffer_load_dword v28, off, s[0:3], 0 offset:2660
	buffer_load_dword v29, off, s[0:3], 0 offset:2664
	buffer_load_dword v32, off, s[0:3], 0 offset:2668
	s_and_b64 s[20:21], s[18:19], s[14:15]
	s_waitcnt vmcnt(3)
	v_cvt_f16_f32_e32 v27, v27
	s_waitcnt vmcnt(2)
	v_cvt_f16_f32_e32 v28, v28
	s_waitcnt vmcnt(1)
	v_cvt_f16_f32_e32 v29, v29
	s_waitcnt vmcnt(0)
	v_cvt_f16_f32_e32 v32, v32
	ds_write_b16 v3, v27
	ds_write_b16 v3, v28 offset:64
	ds_write_b16 v3, v29 offset:128
	ds_write_b16 v3, v32 offset:192
	s_waitcnt lgkmcnt(0)
	s_barrier
	ds_read_b64 v[28:29], v1
	v_cndmask_b32_e64 v27, v5, v7, s[20:21]
	v_add_u32_e32 v27, v31, v27
	s_waitcnt lgkmcnt(0)
	buffer_atomic_pk_add_f16 v28, v27, s[52:55], 0 offen
	buffer_atomic_pk_add_f16 v29, v27, s[52:55], 4 offen
	s_waitcnt lgkmcnt(0)
	s_barrier
	buffer_load_dword v27, off, s[0:3], 0 offset:2640
	buffer_load_dword v28, off, s[0:3], 0 offset:2644
	buffer_load_dword v29, off, s[0:3], 0 offset:2648
	buffer_load_dword v32, off, s[0:3], 0 offset:2652
	s_and_b64 s[20:21], s[18:19], s[12:13]
	;; [unrolled: 27-line block ×6, first 2 shown]
	s_and_b64 s[18:19], vcc, s[18:19]
	s_waitcnt vmcnt(3)
	v_cvt_f16_f32_e32 v27, v27
	s_waitcnt vmcnt(2)
	v_cvt_f16_f32_e32 v28, v28
	;; [unrolled: 2-line block ×4, first 2 shown]
	ds_write_b16 v3, v27
	ds_write_b16 v3, v28 offset:64
	ds_write_b16 v3, v29 offset:128
	;; [unrolled: 1-line block ×3, first 2 shown]
	s_waitcnt lgkmcnt(0)
	s_barrier
	ds_read_b64 v[28:29], v1
	v_cndmask_b32_e64 v27, v14, v16, s[20:21]
	v_add_u32_e32 v27, v31, v27
	s_waitcnt lgkmcnt(0)
	buffer_atomic_pk_add_f16 v28, v27, s[52:55], 0 offen
	buffer_atomic_pk_add_f16 v29, v27, s[52:55], 4 offen
	s_waitcnt lgkmcnt(0)
	s_barrier
	buffer_load_dword v27, off, s[0:3], 0 offset:2560
	buffer_load_dword v28, off, s[0:3], 0 offset:2564
	buffer_load_dword v29, off, s[0:3], 0 offset:2568
	buffer_load_dword v31, off, s[0:3], 0 offset:2572
	v_or_b32_e32 v32, 0x80, v4
	s_waitcnt vmcnt(3)
	v_cvt_f16_f32_e32 v27, v27
	s_waitcnt vmcnt(2)
	v_cvt_f16_f32_e32 v28, v28
	;; [unrolled: 2-line block ×4, first 2 shown]
	ds_write_b16 v3, v27
	ds_write_b16 v3, v28 offset:64
	ds_write_b16 v3, v29 offset:128
	;; [unrolled: 1-line block ×3, first 2 shown]
	s_waitcnt lgkmcnt(0)
	s_barrier
	ds_read_b64 v[28:29], v1
	v_cndmask_b32_e64 v27, v2, 0, s[18:19]
	v_lshl_add_u32 v27, v30, 1, v27
	s_waitcnt lgkmcnt(0)
	buffer_atomic_pk_add_f16 v28, v27, s[52:55], 0 offen
	buffer_atomic_pk_add_f16 v29, v27, s[52:55], 4 offen
	s_waitcnt lgkmcnt(0)
	s_barrier
	buffer_load_dword v27, off, s[0:3], 0 offset:2688
	buffer_load_dword v28, off, s[0:3], 0 offset:2692
	;; [unrolled: 1-line block ×4, first 2 shown]
	v_cmp_gt_i32_e64 s[18:19], s48, v32
	s_and_b64 s[20:21], vcc, s[18:19]
	v_add_u32_e32 v30, s22, v30
	s_waitcnt vmcnt(3)
	v_cvt_f16_f32_e32 v27, v27
	s_waitcnt vmcnt(2)
	v_cvt_f16_f32_e32 v28, v28
	;; [unrolled: 2-line block ×4, first 2 shown]
	ds_write_b16 v3, v27
	ds_write_b16 v3, v28 offset:64
	ds_write_b16 v3, v29 offset:128
	;; [unrolled: 1-line block ×3, first 2 shown]
	s_waitcnt lgkmcnt(0)
	s_barrier
	ds_read_b64 v[28:29], v1
	v_cndmask_b32_e64 v27, v2, 0, s[20:21]
	v_lshlrev_b32_e32 v31, 1, v30
	v_add_u32_e32 v27, v31, v27
	s_waitcnt lgkmcnt(0)
	buffer_atomic_pk_add_f16 v28, v27, s[52:55], 0 offen
	buffer_atomic_pk_add_f16 v29, v27, s[52:55], 4 offen
	s_waitcnt lgkmcnt(0)
	s_barrier
	buffer_load_dword v27, off, s[0:3], 0 offset:2704
	buffer_load_dword v28, off, s[0:3], 0 offset:2708
	buffer_load_dword v29, off, s[0:3], 0 offset:2712
	buffer_load_dword v32, off, s[0:3], 0 offset:2716
	s_and_b64 s[20:21], s[18:19], s[4:5]
	s_waitcnt vmcnt(3)
	v_cvt_f16_f32_e32 v27, v27
	s_waitcnt vmcnt(2)
	v_cvt_f16_f32_e32 v28, v28
	s_waitcnt vmcnt(1)
	v_cvt_f16_f32_e32 v29, v29
	s_waitcnt vmcnt(0)
	v_cvt_f16_f32_e32 v32, v32
	ds_write_b16 v3, v27
	ds_write_b16 v3, v28 offset:64
	ds_write_b16 v3, v29 offset:128
	ds_write_b16 v3, v32 offset:192
	s_waitcnt lgkmcnt(0)
	s_barrier
	ds_read_b64 v[28:29], v1
	v_cndmask_b32_e64 v27, v17, 64, s[20:21]
	v_add_u32_e32 v27, v31, v27
	s_waitcnt lgkmcnt(0)
	buffer_atomic_pk_add_f16 v28, v27, s[52:55], 0 offen
	buffer_atomic_pk_add_f16 v29, v27, s[52:55], 4 offen
	s_waitcnt lgkmcnt(0)
	s_barrier
	buffer_load_dword v27, off, s[0:3], 0 offset:2720
	buffer_load_dword v28, off, s[0:3], 0 offset:2724
	buffer_load_dword v29, off, s[0:3], 0 offset:2728
	buffer_load_dword v32, off, s[0:3], 0 offset:2732
	s_and_b64 s[20:21], s[18:19], s[6:7]
	s_waitcnt vmcnt(3)
	v_cvt_f16_f32_e32 v27, v27
	s_waitcnt vmcnt(2)
	v_cvt_f16_f32_e32 v28, v28
	s_waitcnt vmcnt(1)
	v_cvt_f16_f32_e32 v29, v29
	s_waitcnt vmcnt(0)
	v_cvt_f16_f32_e32 v32, v32
	ds_write_b16 v3, v27
	ds_write_b16 v3, v28 offset:64
	ds_write_b16 v3, v29 offset:128
	ds_write_b16 v3, v32 offset:192
	s_waitcnt lgkmcnt(0)
	s_barrier
	ds_read_b64 v[28:29], v1
	v_cndmask_b32_e64 v27, v0, v19, s[20:21]
	;; [unrolled: 27-line block ×5, first 2 shown]
	v_add_u32_e32 v27, v31, v27
	s_waitcnt lgkmcnt(0)
	buffer_atomic_pk_add_f16 v28, v27, s[52:55], 0 offen
	buffer_atomic_pk_add_f16 v29, v27, s[52:55], 4 offen
	s_waitcnt lgkmcnt(0)
	s_barrier
	buffer_load_dword v27, off, s[0:3], 0 offset:2784
	buffer_load_dword v28, off, s[0:3], 0 offset:2788
	;; [unrolled: 1-line block ×4, first 2 shown]
	s_and_b64 s[20:21], s[18:19], s[14:15]
	s_and_b64 s[18:19], s[18:19], s[16:17]
	s_waitcnt vmcnt(3)
	v_cvt_f16_f32_e32 v27, v27
	s_waitcnt vmcnt(2)
	v_cvt_f16_f32_e32 v28, v28
	;; [unrolled: 2-line block ×4, first 2 shown]
	ds_write_b16 v3, v27
	ds_write_b16 v3, v28 offset:64
	ds_write_b16 v3, v29 offset:128
	;; [unrolled: 1-line block ×3, first 2 shown]
	s_waitcnt lgkmcnt(0)
	s_barrier
	ds_read_b64 v[28:29], v1
	v_cndmask_b32_e64 v27, v24, v26, s[20:21]
	v_add_u32_e32 v27, v31, v27
	s_waitcnt lgkmcnt(0)
	buffer_atomic_pk_add_f16 v28, v27, s[52:55], 0 offen
	buffer_atomic_pk_add_f16 v29, v27, s[52:55], 4 offen
	s_waitcnt lgkmcnt(0)
	s_barrier
	buffer_load_dword v27, off, s[0:3], 0 offset:2800
	buffer_load_dword v28, off, s[0:3], 0 offset:2804
	buffer_load_dword v29, off, s[0:3], 0 offset:2808
	buffer_load_dword v31, off, s[0:3], 0 offset:2812
	s_waitcnt vmcnt(3)
	v_cvt_f16_f32_e32 v27, v27
	s_waitcnt vmcnt(2)
	v_cvt_f16_f32_e32 v28, v28
	;; [unrolled: 2-line block ×4, first 2 shown]
	ds_write_b16 v3, v27
	ds_write_b16 v3, v28 offset:64
	ds_write_b16 v3, v29 offset:128
	;; [unrolled: 1-line block ×3, first 2 shown]
	s_waitcnt lgkmcnt(0)
	s_barrier
	ds_read_b64 v[28:29], v1
	v_cndmask_b32_e64 v27, v2, 0, s[18:19]
	v_add_u32_e32 v31, 0xe0, v30
	v_lshl_add_u32 v27, v31, 1, v27
	s_waitcnt lgkmcnt(0)
	buffer_atomic_pk_add_f16 v28, v27, s[52:55], 0 offen
	buffer_atomic_pk_add_f16 v29, v27, s[52:55], 4 offen
	s_waitcnt lgkmcnt(0)
	s_barrier
	buffer_load_dword v27, off, s[0:3], 0 offset:2928
	buffer_load_dword v28, off, s[0:3], 0 offset:2932
	;; [unrolled: 1-line block ×4, first 2 shown]
	v_cmp_gt_i32_e64 s[18:19], s48, v33
	s_and_b64 s[20:21], s[18:19], s[16:17]
	v_add_lshl_u32 v31, v31, s22, 1
	v_add_u32_e32 v30, s22, v30
	s_waitcnt vmcnt(3)
	v_cvt_f16_f32_e32 v27, v27
	s_waitcnt vmcnt(2)
	v_cvt_f16_f32_e32 v28, v28
	s_waitcnt vmcnt(1)
	v_cvt_f16_f32_e32 v29, v29
	s_waitcnt vmcnt(0)
	v_cvt_f16_f32_e32 v32, v32
	ds_write_b16 v3, v27
	ds_write_b16 v3, v28 offset:64
	ds_write_b16 v3, v29 offset:128
	ds_write_b16 v3, v32 offset:192
	s_waitcnt lgkmcnt(0)
	s_barrier
	ds_read_b64 v[28:29], v1
	v_cndmask_b32_e64 v27, v2, 0, s[20:21]
	v_add_u32_e32 v27, v31, v27
	s_waitcnt lgkmcnt(0)
	buffer_atomic_pk_add_f16 v28, v27, s[52:55], 0 offen
	buffer_atomic_pk_add_f16 v29, v27, s[52:55], 4 offen
	s_waitcnt lgkmcnt(0)
	s_barrier
	buffer_load_dword v27, off, s[0:3], 0 offset:2912
	buffer_load_dword v28, off, s[0:3], 0 offset:2916
	buffer_load_dword v29, off, s[0:3], 0 offset:2920
	buffer_load_dword v32, off, s[0:3], 0 offset:2924
	s_and_b64 s[20:21], s[18:19], s[14:15]
	s_waitcnt vmcnt(3)
	v_cvt_f16_f32_e32 v27, v27
	s_waitcnt vmcnt(2)
	v_cvt_f16_f32_e32 v28, v28
	s_waitcnt vmcnt(1)
	v_cvt_f16_f32_e32 v29, v29
	s_waitcnt vmcnt(0)
	v_cvt_f16_f32_e32 v32, v32
	ds_write_b16 v3, v27
	ds_write_b16 v3, v28 offset:64
	ds_write_b16 v3, v29 offset:128
	ds_write_b16 v3, v32 offset:192
	s_waitcnt lgkmcnt(0)
	s_barrier
	ds_read_b64 v[28:29], v1
	v_cndmask_b32_e64 v27, v5, v7, s[20:21]
	v_add_u32_e32 v27, v31, v27
	s_waitcnt lgkmcnt(0)
	buffer_atomic_pk_add_f16 v28, v27, s[52:55], 0 offen
	buffer_atomic_pk_add_f16 v29, v27, s[52:55], 4 offen
	s_waitcnt lgkmcnt(0)
	s_barrier
	buffer_load_dword v27, off, s[0:3], 0 offset:2896
	buffer_load_dword v28, off, s[0:3], 0 offset:2900
	buffer_load_dword v29, off, s[0:3], 0 offset:2904
	buffer_load_dword v32, off, s[0:3], 0 offset:2908
	s_and_b64 s[20:21], s[18:19], s[12:13]
	;; [unrolled: 27-line block ×6, first 2 shown]
	s_and_b64 s[18:19], vcc, s[18:19]
	s_waitcnt vmcnt(3)
	v_cvt_f16_f32_e32 v27, v27
	s_waitcnt vmcnt(2)
	v_cvt_f16_f32_e32 v28, v28
	;; [unrolled: 2-line block ×4, first 2 shown]
	ds_write_b16 v3, v27
	ds_write_b16 v3, v28 offset:64
	ds_write_b16 v3, v29 offset:128
	;; [unrolled: 1-line block ×3, first 2 shown]
	s_waitcnt lgkmcnt(0)
	s_barrier
	ds_read_b64 v[28:29], v1
	v_cndmask_b32_e64 v27, v14, v16, s[20:21]
	v_add_u32_e32 v27, v31, v27
	s_waitcnt lgkmcnt(0)
	buffer_atomic_pk_add_f16 v28, v27, s[52:55], 0 offen
	buffer_atomic_pk_add_f16 v29, v27, s[52:55], 4 offen
	s_waitcnt lgkmcnt(0)
	s_barrier
	buffer_load_dword v27, off, s[0:3], 0 offset:2816
	buffer_load_dword v28, off, s[0:3], 0 offset:2820
	;; [unrolled: 1-line block ×4, first 2 shown]
	v_or_b32_e32 v32, 0xc0, v4
	v_or_b32_e32 v4, 0xe0, v4
	s_waitcnt vmcnt(3)
	v_cvt_f16_f32_e32 v27, v27
	s_waitcnt vmcnt(2)
	v_cvt_f16_f32_e32 v28, v28
	;; [unrolled: 2-line block ×4, first 2 shown]
	ds_write_b16 v3, v27
	ds_write_b16 v3, v28 offset:64
	ds_write_b16 v3, v29 offset:128
	;; [unrolled: 1-line block ×3, first 2 shown]
	s_waitcnt lgkmcnt(0)
	s_barrier
	ds_read_b64 v[28:29], v1
	v_cndmask_b32_e64 v27, v2, 0, s[18:19]
	v_lshl_add_u32 v27, v30, 1, v27
	s_waitcnt lgkmcnt(0)
	buffer_atomic_pk_add_f16 v28, v27, s[52:55], 0 offen
	buffer_atomic_pk_add_f16 v29, v27, s[52:55], 4 offen
	s_waitcnt lgkmcnt(0)
	s_barrier
	buffer_load_dword v27, off, s[0:3], 0 offset:2944
	buffer_load_dword v28, off, s[0:3], 0 offset:2948
	buffer_load_dword v29, off, s[0:3], 0 offset:2952
	buffer_load_dword v31, off, s[0:3], 0 offset:2956
	v_cmp_gt_i32_e64 s[18:19], s48, v32
	s_and_b64 s[20:21], vcc, s[18:19]
	v_add_u32_e32 v30, s22, v30
	s_waitcnt vmcnt(3)
	v_cvt_f16_f32_e32 v27, v27
	s_waitcnt vmcnt(2)
	v_cvt_f16_f32_e32 v28, v28
	s_waitcnt vmcnt(1)
	v_cvt_f16_f32_e32 v29, v29
	s_waitcnt vmcnt(0)
	v_cvt_f16_f32_e32 v31, v31
	ds_write_b16 v3, v27
	ds_write_b16 v3, v28 offset:64
	ds_write_b16 v3, v29 offset:128
	;; [unrolled: 1-line block ×3, first 2 shown]
	s_waitcnt lgkmcnt(0)
	s_barrier
	ds_read_b64 v[28:29], v1
	v_cndmask_b32_e64 v27, v2, 0, s[20:21]
	v_lshlrev_b32_e32 v31, 1, v30
	v_add_u32_e32 v27, v31, v27
	s_waitcnt lgkmcnt(0)
	buffer_atomic_pk_add_f16 v28, v27, s[52:55], 0 offen
	buffer_atomic_pk_add_f16 v29, v27, s[52:55], 4 offen
	s_waitcnt lgkmcnt(0)
	s_barrier
	buffer_load_dword v27, off, s[0:3], 0 offset:2960
	buffer_load_dword v28, off, s[0:3], 0 offset:2964
	;; [unrolled: 1-line block ×4, first 2 shown]
	s_and_b64 s[20:21], s[18:19], s[4:5]
	v_cndmask_b32_e64 v17, v17, 64, s[20:21]
	v_add_u32_e32 v17, v31, v17
	s_and_b64 s[20:21], s[18:19], s[6:7]
	v_cndmask_b32_e64 v0, v0, v19, s[20:21]
	v_add_u32_e32 v0, v31, v0
	s_and_b64 s[20:21], s[18:19], s[8:9]
	s_waitcnt vmcnt(3)
	v_cvt_f16_f32_e32 v27, v27
	s_waitcnt vmcnt(2)
	v_cvt_f16_f32_e32 v28, v28
	;; [unrolled: 2-line block ×4, first 2 shown]
	ds_write_b16 v3, v27
	ds_write_b16 v3, v28 offset:64
	ds_write_b16 v3, v29 offset:128
	;; [unrolled: 1-line block ×3, first 2 shown]
	s_waitcnt lgkmcnt(0)
	s_barrier
	ds_read_b64 v[28:29], v1
	s_waitcnt lgkmcnt(0)
	buffer_atomic_pk_add_f16 v28, v17, s[52:55], 0 offen
	buffer_atomic_pk_add_f16 v29, v17, s[52:55], 4 offen
	s_waitcnt lgkmcnt(0)
	s_barrier
	buffer_load_dword v17, off, s[0:3], 0 offset:2976
	buffer_load_dword v27, off, s[0:3], 0 offset:2980
	buffer_load_dword v28, off, s[0:3], 0 offset:2984
	buffer_load_dword v29, off, s[0:3], 0 offset:2988
	s_waitcnt vmcnt(3)
	v_cvt_f16_f32_e32 v17, v17
	s_waitcnt vmcnt(2)
	v_cvt_f16_f32_e32 v27, v27
	;; [unrolled: 2-line block ×4, first 2 shown]
	ds_write_b16 v3, v17
	ds_write_b16 v3, v27 offset:64
	ds_write_b16 v3, v28 offset:128
	;; [unrolled: 1-line block ×3, first 2 shown]
	s_waitcnt lgkmcnt(0)
	s_barrier
	ds_read_b64 v[28:29], v1
	s_waitcnt lgkmcnt(0)
	buffer_atomic_pk_add_f16 v28, v0, s[52:55], 0 offen
	buffer_atomic_pk_add_f16 v29, v0, s[52:55], 4 offen
	s_waitcnt lgkmcnt(0)
	s_barrier
	buffer_load_dword v0, off, s[0:3], 0 offset:2992
	buffer_load_dword v17, off, s[0:3], 0 offset:2996
	;; [unrolled: 1-line block ×4, first 2 shown]
	s_waitcnt vmcnt(3)
	v_cvt_f16_f32_e32 v0, v0
	s_waitcnt vmcnt(2)
	v_cvt_f16_f32_e32 v17, v17
	s_waitcnt vmcnt(1)
	v_cvt_f16_f32_e32 v19, v19
	s_waitcnt vmcnt(0)
	v_cvt_f16_f32_e32 v27, v27
	ds_write_b16 v3, v0
	ds_write_b16 v3, v17 offset:64
	ds_write_b16 v3, v19 offset:128
	ds_write_b16 v3, v27 offset:192
	s_waitcnt lgkmcnt(0)
	s_barrier
	ds_read_b64 v[28:29], v1
	v_cndmask_b32_e64 v0, v18, v21, s[20:21]
	v_add_u32_e32 v0, v31, v0
	s_waitcnt lgkmcnt(0)
	buffer_atomic_pk_add_f16 v28, v0, s[52:55], 0 offen
	buffer_atomic_pk_add_f16 v29, v0, s[52:55], 4 offen
	s_waitcnt lgkmcnt(0)
	s_barrier
	buffer_load_dword v0, off, s[0:3], 0 offset:3008
	buffer_load_dword v17, off, s[0:3], 0 offset:3012
	buffer_load_dword v18, off, s[0:3], 0 offset:3016
	buffer_load_dword v19, off, s[0:3], 0 offset:3020
	s_and_b64 s[20:21], s[18:19], s[10:11]
	s_waitcnt vmcnt(3)
	v_cvt_f16_f32_e32 v0, v0
	s_waitcnt vmcnt(2)
	v_cvt_f16_f32_e32 v17, v17
	s_waitcnt vmcnt(1)
	v_cvt_f16_f32_e32 v18, v18
	s_waitcnt vmcnt(0)
	v_cvt_f16_f32_e32 v19, v19
	ds_write_b16 v3, v0
	ds_write_b16 v3, v17 offset:64
	ds_write_b16 v3, v18 offset:128
	ds_write_b16 v3, v19 offset:192
	s_waitcnt lgkmcnt(0)
	s_barrier
	ds_read_b64 v[18:19], v1
	v_cndmask_b32_e64 v0, v20, v23, s[20:21]
	v_add_u32_e32 v0, v31, v0
	s_waitcnt lgkmcnt(0)
	buffer_atomic_pk_add_f16 v18, v0, s[52:55], 0 offen
	buffer_atomic_pk_add_f16 v19, v0, s[52:55], 4 offen
	s_waitcnt lgkmcnt(0)
	s_barrier
	buffer_load_dword v0, off, s[0:3], 0 offset:3024
	buffer_load_dword v17, off, s[0:3], 0 offset:3028
	buffer_load_dword v18, off, s[0:3], 0 offset:3032
	buffer_load_dword v19, off, s[0:3], 0 offset:3036
	s_and_b64 s[20:21], s[18:19], s[12:13]
	;; [unrolled: 27-line block ×3, first 2 shown]
	s_and_b64 s[18:19], s[18:19], s[16:17]
	s_waitcnt vmcnt(3)
	v_cvt_f16_f32_e32 v0, v0
	s_waitcnt vmcnt(2)
	v_cvt_f16_f32_e32 v17, v17
	;; [unrolled: 2-line block ×4, first 2 shown]
	ds_write_b16 v3, v0
	ds_write_b16 v3, v17 offset:64
	ds_write_b16 v3, v18 offset:128
	;; [unrolled: 1-line block ×3, first 2 shown]
	s_waitcnt lgkmcnt(0)
	s_barrier
	ds_read_b64 v[18:19], v1
	v_cndmask_b32_e64 v0, v24, v26, s[20:21]
	v_add_u32_e32 v0, v31, v0
	s_waitcnt lgkmcnt(0)
	buffer_atomic_pk_add_f16 v18, v0, s[52:55], 0 offen
	buffer_atomic_pk_add_f16 v19, v0, s[52:55], 4 offen
	s_waitcnt lgkmcnt(0)
	s_barrier
	buffer_load_dword v0, off, s[0:3], 0 offset:3056
	buffer_load_dword v17, off, s[0:3], 0 offset:3060
	;; [unrolled: 1-line block ×4, first 2 shown]
	s_waitcnt vmcnt(3)
	v_cvt_f16_f32_e32 v0, v0
	s_waitcnt vmcnt(2)
	v_cvt_f16_f32_e32 v17, v17
	s_waitcnt vmcnt(1)
	v_cvt_f16_f32_e32 v18, v18
	s_waitcnt vmcnt(0)
	v_cvt_f16_f32_e32 v19, v19
	ds_write_b16 v3, v0
	ds_write_b16 v3, v17 offset:64
	ds_write_b16 v3, v18 offset:128
	;; [unrolled: 1-line block ×3, first 2 shown]
	s_waitcnt lgkmcnt(0)
	s_barrier
	ds_read_b64 v[18:19], v1
	v_cndmask_b32_e64 v0, v2, 0, s[18:19]
	v_add_u32_e32 v17, 0xe0, v30
	v_lshl_add_u32 v0, v17, 1, v0
	s_waitcnt lgkmcnt(0)
	buffer_atomic_pk_add_f16 v18, v0, s[52:55], 0 offen
	buffer_atomic_pk_add_f16 v19, v0, s[52:55], 4 offen
	s_waitcnt lgkmcnt(0)
	s_barrier
	buffer_load_dword v0, off, s[0:3], 0 offset:3184
	buffer_load_dword v18, off, s[0:3], 0 offset:3188
	;; [unrolled: 1-line block ×4, first 2 shown]
	v_cmp_gt_i32_e64 s[18:19], s48, v4
	s_and_b64 s[16:17], s[18:19], s[16:17]
	v_add_lshl_u32 v17, v17, s22, 1
	s_and_b64 s[14:15], s[18:19], s[14:15]
	s_and_b64 s[12:13], s[18:19], s[12:13]
	;; [unrolled: 1-line block ×6, first 2 shown]
	s_waitcnt vmcnt(3)
	v_cvt_f16_f32_e32 v0, v0
	s_waitcnt vmcnt(2)
	v_cvt_f16_f32_e32 v4, v18
	s_waitcnt vmcnt(1)
	v_cvt_f16_f32_e32 v18, v19
	s_waitcnt vmcnt(0)
	v_cvt_f16_f32_e32 v19, v20
	ds_write_b16 v3, v0
	ds_write_b16 v3, v4 offset:64
	ds_write_b16 v3, v18 offset:128
	ds_write_b16 v3, v19 offset:192
	s_waitcnt lgkmcnt(0)
	s_barrier
	ds_read_b64 v[18:19], v1
	v_cndmask_b32_e64 v0, v2, 0, s[16:17]
	v_add_u32_e32 v0, v17, v0
	s_waitcnt lgkmcnt(0)
	buffer_atomic_pk_add_f16 v18, v0, s[52:55], 0 offen
	buffer_atomic_pk_add_f16 v19, v0, s[52:55], 4 offen
	s_waitcnt lgkmcnt(0)
	s_barrier
	buffer_load_dword v0, off, s[0:3], 0 offset:3168
	buffer_load_dword v4, off, s[0:3], 0 offset:3172
	buffer_load_dword v18, off, s[0:3], 0 offset:3176
	buffer_load_dword v19, off, s[0:3], 0 offset:3180
	s_waitcnt vmcnt(3)
	v_cvt_f16_f32_e32 v0, v0
	s_waitcnt vmcnt(2)
	v_cvt_f16_f32_e32 v4, v4
	s_waitcnt vmcnt(1)
	v_cvt_f16_f32_e32 v18, v18
	s_waitcnt vmcnt(0)
	v_cvt_f16_f32_e32 v19, v19
	ds_write_b16 v3, v0
	ds_write_b16 v3, v4 offset:64
	ds_write_b16 v3, v18 offset:128
	ds_write_b16 v3, v19 offset:192
	s_waitcnt lgkmcnt(0)
	s_barrier
	ds_read_b64 v[18:19], v1
	v_cndmask_b32_e64 v0, v5, v7, s[14:15]
	v_add_u32_e32 v0, v17, v0
	s_waitcnt lgkmcnt(0)
	buffer_atomic_pk_add_f16 v18, v0, s[52:55], 0 offen
	buffer_atomic_pk_add_f16 v19, v0, s[52:55], 4 offen
	s_waitcnt lgkmcnt(0)
	s_barrier
	buffer_load_dword v0, off, s[0:3], 0 offset:3152
	buffer_load_dword v4, off, s[0:3], 0 offset:3156
	buffer_load_dword v5, off, s[0:3], 0 offset:3160
	buffer_load_dword v7, off, s[0:3], 0 offset:3164
	;; [unrolled: 26-line block ×7, first 2 shown]
	s_and_b64 s[4:5], vcc, s[18:19]
	v_cndmask_b32_e64 v2, v2, 0, s[4:5]
	s_waitcnt vmcnt(3)
	v_cvt_f16_f32_e32 v0, v0
	s_waitcnt vmcnt(2)
	v_cvt_f16_f32_e32 v4, v4
	;; [unrolled: 2-line block ×4, first 2 shown]
	ds_write_b16 v3, v0
	ds_write_b16 v3, v4 offset:64
	ds_write_b16 v3, v5 offset:128
	;; [unrolled: 1-line block ×3, first 2 shown]
	s_waitcnt lgkmcnt(0)
	s_barrier
	ds_read_b64 v[0:1], v1
	v_add_u32_e32 v3, s22, v30
	v_lshl_add_u32 v2, v3, 1, v2
	s_waitcnt lgkmcnt(0)
	buffer_atomic_pk_add_f16 v0, v2, s[52:55], 0 offen
	buffer_atomic_pk_add_f16 v1, v2, s[52:55], 4 offen
	s_endpgm
	.section	.rodata,"a",@progbits
	.p2align	6, 0x0
	.amdhsa_kernel _ZN2ck45kernel_gemm_xdl_cshuffle_v3_b_preshuffle_2ldsINS_41GridwiseGemm_xdl_cshuffle_v3_b_preshuffleINS_13tensor_layout4gemm8RowMajorENS3_11ColumnMajorES4_NS_9f8_fnuz_tENS_7pk_i4_tEfDF16_DF16_NS_16tensor_operation12element_wise11PassThroughESA_SA_LNS8_6device18GemmSpecializationE0ELi256ELi256ELi256ELi128ELi16ELi32ELi16ELi16ELi8ELi8ENS_8SequenceIJLi8ELi32ELi1EEEENSD_IJLi1ELi0ELi2EEEESF_Li2ELi16ELi16ELb0ELi0ENSD_IJLi4ELi64ELi1EEEESF_SF_Li2ELi32ELi32ELb0ELi0ELi1ELi1ENSD_IJLi1ELi32ELi1ELi8EEEELi4ELNS_26BlockGemmPipelineSchedulerE0ELNS_24BlockGemmPipelineVersionE2ES6_S6_Lb0ELb0ELi0EEELb1ELNS_25InMemoryDataOperationEnumE1ELi1ELNS_10TailNumberE1EEEvNT_8ArgumentE
		.amdhsa_group_segment_fixed_size 65536
		.amdhsa_private_segment_fixed_size 4464
		.amdhsa_kernarg_size 112
		.amdhsa_user_sgpr_count 8
		.amdhsa_user_sgpr_private_segment_buffer 1
		.amdhsa_user_sgpr_dispatch_ptr 0
		.amdhsa_user_sgpr_queue_ptr 0
		.amdhsa_user_sgpr_kernarg_segment_ptr 1
		.amdhsa_user_sgpr_dispatch_id 0
		.amdhsa_user_sgpr_flat_scratch_init 1
		.amdhsa_user_sgpr_kernarg_preload_length 0
		.amdhsa_user_sgpr_kernarg_preload_offset 0
		.amdhsa_user_sgpr_private_segment_size 0
		.amdhsa_uses_dynamic_stack 0
		.amdhsa_system_sgpr_private_segment_wavefront_offset 1
		.amdhsa_system_sgpr_workgroup_id_x 1
		.amdhsa_system_sgpr_workgroup_id_y 0
		.amdhsa_system_sgpr_workgroup_id_z 1
		.amdhsa_system_sgpr_workgroup_info 0
		.amdhsa_system_vgpr_workitem_id 0
		.amdhsa_next_free_vgpr 92
		.amdhsa_next_free_sgpr 58
		.amdhsa_accum_offset 88
		.amdhsa_reserve_vcc 1
		.amdhsa_reserve_flat_scratch 1
		.amdhsa_float_round_mode_32 0
		.amdhsa_float_round_mode_16_64 0
		.amdhsa_float_denorm_mode_32 3
		.amdhsa_float_denorm_mode_16_64 3
		.amdhsa_dx10_clamp 1
		.amdhsa_ieee_mode 1
		.amdhsa_fp16_overflow 0
		.amdhsa_tg_split 0
		.amdhsa_exception_fp_ieee_invalid_op 0
		.amdhsa_exception_fp_denorm_src 0
		.amdhsa_exception_fp_ieee_div_zero 0
		.amdhsa_exception_fp_ieee_overflow 0
		.amdhsa_exception_fp_ieee_underflow 0
		.amdhsa_exception_fp_ieee_inexact 0
		.amdhsa_exception_int_div_zero 0
	.end_amdhsa_kernel
	.section	.text._ZN2ck45kernel_gemm_xdl_cshuffle_v3_b_preshuffle_2ldsINS_41GridwiseGemm_xdl_cshuffle_v3_b_preshuffleINS_13tensor_layout4gemm8RowMajorENS3_11ColumnMajorES4_NS_9f8_fnuz_tENS_7pk_i4_tEfDF16_DF16_NS_16tensor_operation12element_wise11PassThroughESA_SA_LNS8_6device18GemmSpecializationE0ELi256ELi256ELi256ELi128ELi16ELi32ELi16ELi16ELi8ELi8ENS_8SequenceIJLi8ELi32ELi1EEEENSD_IJLi1ELi0ELi2EEEESF_Li2ELi16ELi16ELb0ELi0ENSD_IJLi4ELi64ELi1EEEESF_SF_Li2ELi32ELi32ELb0ELi0ELi1ELi1ENSD_IJLi1ELi32ELi1ELi8EEEELi4ELNS_26BlockGemmPipelineSchedulerE0ELNS_24BlockGemmPipelineVersionE2ES6_S6_Lb0ELb0ELi0EEELb1ELNS_25InMemoryDataOperationEnumE1ELi1ELNS_10TailNumberE1EEEvNT_8ArgumentE,"axG",@progbits,_ZN2ck45kernel_gemm_xdl_cshuffle_v3_b_preshuffle_2ldsINS_41GridwiseGemm_xdl_cshuffle_v3_b_preshuffleINS_13tensor_layout4gemm8RowMajorENS3_11ColumnMajorES4_NS_9f8_fnuz_tENS_7pk_i4_tEfDF16_DF16_NS_16tensor_operation12element_wise11PassThroughESA_SA_LNS8_6device18GemmSpecializationE0ELi256ELi256ELi256ELi128ELi16ELi32ELi16ELi16ELi8ELi8ENS_8SequenceIJLi8ELi32ELi1EEEENSD_IJLi1ELi0ELi2EEEESF_Li2ELi16ELi16ELb0ELi0ENSD_IJLi4ELi64ELi1EEEESF_SF_Li2ELi32ELi32ELb0ELi0ELi1ELi1ENSD_IJLi1ELi32ELi1ELi8EEEELi4ELNS_26BlockGemmPipelineSchedulerE0ELNS_24BlockGemmPipelineVersionE2ES6_S6_Lb0ELb0ELi0EEELb1ELNS_25InMemoryDataOperationEnumE1ELi1ELNS_10TailNumberE1EEEvNT_8ArgumentE,comdat
.Lfunc_end61:
	.size	_ZN2ck45kernel_gemm_xdl_cshuffle_v3_b_preshuffle_2ldsINS_41GridwiseGemm_xdl_cshuffle_v3_b_preshuffleINS_13tensor_layout4gemm8RowMajorENS3_11ColumnMajorES4_NS_9f8_fnuz_tENS_7pk_i4_tEfDF16_DF16_NS_16tensor_operation12element_wise11PassThroughESA_SA_LNS8_6device18GemmSpecializationE0ELi256ELi256ELi256ELi128ELi16ELi32ELi16ELi16ELi8ELi8ENS_8SequenceIJLi8ELi32ELi1EEEENSD_IJLi1ELi0ELi2EEEESF_Li2ELi16ELi16ELb0ELi0ENSD_IJLi4ELi64ELi1EEEESF_SF_Li2ELi32ELi32ELb0ELi0ELi1ELi1ENSD_IJLi1ELi32ELi1ELi8EEEELi4ELNS_26BlockGemmPipelineSchedulerE0ELNS_24BlockGemmPipelineVersionE2ES6_S6_Lb0ELb0ELi0EEELb1ELNS_25InMemoryDataOperationEnumE1ELi1ELNS_10TailNumberE1EEEvNT_8ArgumentE, .Lfunc_end61-_ZN2ck45kernel_gemm_xdl_cshuffle_v3_b_preshuffle_2ldsINS_41GridwiseGemm_xdl_cshuffle_v3_b_preshuffleINS_13tensor_layout4gemm8RowMajorENS3_11ColumnMajorES4_NS_9f8_fnuz_tENS_7pk_i4_tEfDF16_DF16_NS_16tensor_operation12element_wise11PassThroughESA_SA_LNS8_6device18GemmSpecializationE0ELi256ELi256ELi256ELi128ELi16ELi32ELi16ELi16ELi8ELi8ENS_8SequenceIJLi8ELi32ELi1EEEENSD_IJLi1ELi0ELi2EEEESF_Li2ELi16ELi16ELb0ELi0ENSD_IJLi4ELi64ELi1EEEESF_SF_Li2ELi32ELi32ELb0ELi0ELi1ELi1ENSD_IJLi1ELi32ELi1ELi8EEEELi4ELNS_26BlockGemmPipelineSchedulerE0ELNS_24BlockGemmPipelineVersionE2ES6_S6_Lb0ELb0ELi0EEELb1ELNS_25InMemoryDataOperationEnumE1ELi1ELNS_10TailNumberE1EEEvNT_8ArgumentE
                                        ; -- End function
	.section	.AMDGPU.csdata,"",@progbits
; Kernel info:
; codeLenInByte = 16400
; NumSgprs: 64
; NumVgprs: 86
; NumAgprs: 4
; TotalNumVgprs: 92
; ScratchSize: 4464
; MemoryBound: 0
; FloatMode: 240
; IeeeMode: 1
; LDSByteSize: 65536 bytes/workgroup (compile time only)
; SGPRBlocks: 7
; VGPRBlocks: 11
; NumSGPRsForWavesPerEU: 64
; NumVGPRsForWavesPerEU: 92
; AccumOffset: 88
; Occupancy: 1
; WaveLimiterHint : 1
; COMPUTE_PGM_RSRC2:SCRATCH_EN: 1
; COMPUTE_PGM_RSRC2:USER_SGPR: 8
; COMPUTE_PGM_RSRC2:TRAP_HANDLER: 0
; COMPUTE_PGM_RSRC2:TGID_X_EN: 1
; COMPUTE_PGM_RSRC2:TGID_Y_EN: 0
; COMPUTE_PGM_RSRC2:TGID_Z_EN: 1
; COMPUTE_PGM_RSRC2:TIDIG_COMP_CNT: 0
; COMPUTE_PGM_RSRC3_GFX90A:ACCUM_OFFSET: 21
; COMPUTE_PGM_RSRC3_GFX90A:TG_SPLIT: 0
	.section	.text._ZN2ck45kernel_gemm_xdl_cshuffle_v3_b_preshuffle_2ldsINS_41GridwiseGemm_xdl_cshuffle_v3_b_preshuffleINS_13tensor_layout4gemm8RowMajorENS3_11ColumnMajorES4_NS_9f8_fnuz_tENS_7pk_i4_tEfDF16_DF16_NS_16tensor_operation12element_wise11PassThroughESA_SA_LNS8_6device18GemmSpecializationE0ELi256ELi256ELi256ELi128ELi16ELi32ELi16ELi16ELi8ELi8ENS_8SequenceIJLi8ELi32ELi1EEEENSD_IJLi1ELi0ELi2EEEESF_Li2ELi16ELi16ELb0ELi0ENSD_IJLi4ELi64ELi1EEEESF_SF_Li2ELi32ELi32ELb0ELi0ELi1ELi1ENSD_IJLi1ELi32ELi1ELi8EEEELi4ELNS_26BlockGemmPipelineSchedulerE0ELNS_24BlockGemmPipelineVersionE2ES6_S6_Lb0ELb0ELi0EEELb1ELNS_25InMemoryDataOperationEnumE0ELi1ELNS_10TailNumberE0EEEvNT_8ArgumentE,"axG",@progbits,_ZN2ck45kernel_gemm_xdl_cshuffle_v3_b_preshuffle_2ldsINS_41GridwiseGemm_xdl_cshuffle_v3_b_preshuffleINS_13tensor_layout4gemm8RowMajorENS3_11ColumnMajorES4_NS_9f8_fnuz_tENS_7pk_i4_tEfDF16_DF16_NS_16tensor_operation12element_wise11PassThroughESA_SA_LNS8_6device18GemmSpecializationE0ELi256ELi256ELi256ELi128ELi16ELi32ELi16ELi16ELi8ELi8ENS_8SequenceIJLi8ELi32ELi1EEEENSD_IJLi1ELi0ELi2EEEESF_Li2ELi16ELi16ELb0ELi0ENSD_IJLi4ELi64ELi1EEEESF_SF_Li2ELi32ELi32ELb0ELi0ELi1ELi1ENSD_IJLi1ELi32ELi1ELi8EEEELi4ELNS_26BlockGemmPipelineSchedulerE0ELNS_24BlockGemmPipelineVersionE2ES6_S6_Lb0ELb0ELi0EEELb1ELNS_25InMemoryDataOperationEnumE0ELi1ELNS_10TailNumberE0EEEvNT_8ArgumentE,comdat
	.protected	_ZN2ck45kernel_gemm_xdl_cshuffle_v3_b_preshuffle_2ldsINS_41GridwiseGemm_xdl_cshuffle_v3_b_preshuffleINS_13tensor_layout4gemm8RowMajorENS3_11ColumnMajorES4_NS_9f8_fnuz_tENS_7pk_i4_tEfDF16_DF16_NS_16tensor_operation12element_wise11PassThroughESA_SA_LNS8_6device18GemmSpecializationE0ELi256ELi256ELi256ELi128ELi16ELi32ELi16ELi16ELi8ELi8ENS_8SequenceIJLi8ELi32ELi1EEEENSD_IJLi1ELi0ELi2EEEESF_Li2ELi16ELi16ELb0ELi0ENSD_IJLi4ELi64ELi1EEEESF_SF_Li2ELi32ELi32ELb0ELi0ELi1ELi1ENSD_IJLi1ELi32ELi1ELi8EEEELi4ELNS_26BlockGemmPipelineSchedulerE0ELNS_24BlockGemmPipelineVersionE2ES6_S6_Lb0ELb0ELi0EEELb1ELNS_25InMemoryDataOperationEnumE0ELi1ELNS_10TailNumberE0EEEvNT_8ArgumentE ; -- Begin function _ZN2ck45kernel_gemm_xdl_cshuffle_v3_b_preshuffle_2ldsINS_41GridwiseGemm_xdl_cshuffle_v3_b_preshuffleINS_13tensor_layout4gemm8RowMajorENS3_11ColumnMajorES4_NS_9f8_fnuz_tENS_7pk_i4_tEfDF16_DF16_NS_16tensor_operation12element_wise11PassThroughESA_SA_LNS8_6device18GemmSpecializationE0ELi256ELi256ELi256ELi128ELi16ELi32ELi16ELi16ELi8ELi8ENS_8SequenceIJLi8ELi32ELi1EEEENSD_IJLi1ELi0ELi2EEEESF_Li2ELi16ELi16ELb0ELi0ENSD_IJLi4ELi64ELi1EEEESF_SF_Li2ELi32ELi32ELb0ELi0ELi1ELi1ENSD_IJLi1ELi32ELi1ELi8EEEELi4ELNS_26BlockGemmPipelineSchedulerE0ELNS_24BlockGemmPipelineVersionE2ES6_S6_Lb0ELb0ELi0EEELb1ELNS_25InMemoryDataOperationEnumE0ELi1ELNS_10TailNumberE0EEEvNT_8ArgumentE
	.globl	_ZN2ck45kernel_gemm_xdl_cshuffle_v3_b_preshuffle_2ldsINS_41GridwiseGemm_xdl_cshuffle_v3_b_preshuffleINS_13tensor_layout4gemm8RowMajorENS3_11ColumnMajorES4_NS_9f8_fnuz_tENS_7pk_i4_tEfDF16_DF16_NS_16tensor_operation12element_wise11PassThroughESA_SA_LNS8_6device18GemmSpecializationE0ELi256ELi256ELi256ELi128ELi16ELi32ELi16ELi16ELi8ELi8ENS_8SequenceIJLi8ELi32ELi1EEEENSD_IJLi1ELi0ELi2EEEESF_Li2ELi16ELi16ELb0ELi0ENSD_IJLi4ELi64ELi1EEEESF_SF_Li2ELi32ELi32ELb0ELi0ELi1ELi1ENSD_IJLi1ELi32ELi1ELi8EEEELi4ELNS_26BlockGemmPipelineSchedulerE0ELNS_24BlockGemmPipelineVersionE2ES6_S6_Lb0ELb0ELi0EEELb1ELNS_25InMemoryDataOperationEnumE0ELi1ELNS_10TailNumberE0EEEvNT_8ArgumentE
	.p2align	8
	.type	_ZN2ck45kernel_gemm_xdl_cshuffle_v3_b_preshuffle_2ldsINS_41GridwiseGemm_xdl_cshuffle_v3_b_preshuffleINS_13tensor_layout4gemm8RowMajorENS3_11ColumnMajorES4_NS_9f8_fnuz_tENS_7pk_i4_tEfDF16_DF16_NS_16tensor_operation12element_wise11PassThroughESA_SA_LNS8_6device18GemmSpecializationE0ELi256ELi256ELi256ELi128ELi16ELi32ELi16ELi16ELi8ELi8ENS_8SequenceIJLi8ELi32ELi1EEEENSD_IJLi1ELi0ELi2EEEESF_Li2ELi16ELi16ELb0ELi0ENSD_IJLi4ELi64ELi1EEEESF_SF_Li2ELi32ELi32ELb0ELi0ELi1ELi1ENSD_IJLi1ELi32ELi1ELi8EEEELi4ELNS_26BlockGemmPipelineSchedulerE0ELNS_24BlockGemmPipelineVersionE2ES6_S6_Lb0ELb0ELi0EEELb1ELNS_25InMemoryDataOperationEnumE0ELi1ELNS_10TailNumberE0EEEvNT_8ArgumentE,@function
_ZN2ck45kernel_gemm_xdl_cshuffle_v3_b_preshuffle_2ldsINS_41GridwiseGemm_xdl_cshuffle_v3_b_preshuffleINS_13tensor_layout4gemm8RowMajorENS3_11ColumnMajorES4_NS_9f8_fnuz_tENS_7pk_i4_tEfDF16_DF16_NS_16tensor_operation12element_wise11PassThroughESA_SA_LNS8_6device18GemmSpecializationE0ELi256ELi256ELi256ELi128ELi16ELi32ELi16ELi16ELi8ELi8ENS_8SequenceIJLi8ELi32ELi1EEEENSD_IJLi1ELi0ELi2EEEESF_Li2ELi16ELi16ELb0ELi0ENSD_IJLi4ELi64ELi1EEEESF_SF_Li2ELi32ELi32ELb0ELi0ELi1ELi1ENSD_IJLi1ELi32ELi1ELi8EEEELi4ELNS_26BlockGemmPipelineSchedulerE0ELNS_24BlockGemmPipelineVersionE2ES6_S6_Lb0ELb0ELi0EEELb1ELNS_25InMemoryDataOperationEnumE0ELi1ELNS_10TailNumberE0EEEvNT_8ArgumentE: ; @_ZN2ck45kernel_gemm_xdl_cshuffle_v3_b_preshuffle_2ldsINS_41GridwiseGemm_xdl_cshuffle_v3_b_preshuffleINS_13tensor_layout4gemm8RowMajorENS3_11ColumnMajorES4_NS_9f8_fnuz_tENS_7pk_i4_tEfDF16_DF16_NS_16tensor_operation12element_wise11PassThroughESA_SA_LNS8_6device18GemmSpecializationE0ELi256ELi256ELi256ELi128ELi16ELi32ELi16ELi16ELi8ELi8ENS_8SequenceIJLi8ELi32ELi1EEEENSD_IJLi1ELi0ELi2EEEESF_Li2ELi16ELi16ELb0ELi0ENSD_IJLi4ELi64ELi1EEEESF_SF_Li2ELi32ELi32ELb0ELi0ELi1ELi1ENSD_IJLi1ELi32ELi1ELi8EEEELi4ELNS_26BlockGemmPipelineSchedulerE0ELNS_24BlockGemmPipelineVersionE2ES6_S6_Lb0ELb0ELi0EEELb1ELNS_25InMemoryDataOperationEnumE0ELi1ELNS_10TailNumberE0EEEvNT_8ArgumentE
; %bb.0:
	s_add_u32 flat_scratch_lo, s6, s10
	s_addc_u32 flat_scratch_hi, s7, 0
	s_add_u32 s0, s0, s10
	s_mov_b32 s47, s8
	s_load_dwordx4 s[48:51], s[4:5], 0x10
	s_load_dwordx2 s[56:57], s[4:5], 0x24
	s_load_dword s10, s[4:5], 0x34
	s_load_dword s8, s[4:5], 0x3c
	;; [unrolled: 1-line block ×3, first 2 shown]
	s_load_dwordx2 s[6:7], s[4:5], 0x60
	s_load_dwordx4 s[12:15], s[4:5], 0x50
	s_addc_u32 s1, s1, 0
	s_waitcnt lgkmcnt(0)
	s_cmp_gt_i32 s57, 1
	s_cselect_b64 s[4:5], -1, 0
	s_bitcmp1_b32 s11, 0
	s_cselect_b64 s[16:17], -1, 0
	s_and_b64 s[4:5], s[4:5], s[16:17]
	v_mov_b32_e32 v41, v0
	s_andn2_b64 vcc, exec, s[4:5]
	s_mov_b64 s[4:5], 0
	s_mov_b32 s32, 0x33c00
	s_cbranch_vccnz .LBB62_2
; %bb.1:
	s_mul_i32 s4, s48, s9
	s_mul_i32 s4, s4, s49
	s_ashr_i32 s5, s4, 31
.LBB62_2:
	s_add_i32 s16, s57, -1
	s_mul_i32 s17, s16, s10
	s_sub_i32 s17, s50, s17
	s_mul_i32 s11, s10, s9
	s_cmp_lt_u32 s9, s16
	s_cselect_b32 s17, s10, s17
	s_ashr_i32 s10, s11, 31
	s_add_u32 s18, s12, s11
	s_addc_u32 s19, s13, s10
	s_add_i32 s10, s50, 0x7f
	s_ashr_i32 s11, s10, 31
	s_lshr_b32 s11, s11, 25
	s_add_i32 s10, s10, s11
	s_add_i32 s16, s49, 15
	s_ashr_i32 s20, s10, 7
	s_add_u32 s12, 0, 0
	s_addc_u32 s13, s48, -1
	s_mul_i32 s10, s13, s51
	s_ashr_i32 s11, s10, 31
	s_ashr_i32 s21, s17, 31
	v_mov_b32_e32 v1, s17
	s_add_u32 s10, s10, s17
	buffer_store_dword v1, off, s[0:3], 0 offset:3204
	v_mov_b32_e32 v1, s51
	s_addc_u32 s11, s11, s21
	s_mul_i32 s21, s48, s8
	buffer_store_dword v1, off, s[0:3], 0 offset:3208
	v_mov_b32_e32 v1, s8
	s_lshl_b32 s21, s21, 4
	v_mov_b32_e32 v0, s48
	v_mov_b32_e32 v2, 0
	buffer_store_dword v1, off, s[0:3], 0 offset:3216
	v_mov_b32_e32 v1, 16
	buffer_store_dword v0, off, s[0:3], 0 offset:3200
	buffer_store_dword v2, off, s[0:3], 0 offset:3212
	;; [unrolled: 1-line block ×5, first 2 shown]
	v_mov_b32_e32 v0, s21
	s_ashr_i32 s8, s16, 31
	buffer_store_dword v0, off, s[0:3], 0 offset:3236
	v_mov_b32_e32 v0, s11
	v_mov_b32_e32 v1, s10
	s_getpc_b64 s[10:11]
	s_add_u32 s10, s10, _ZN2ck41GridwiseGemm_xdl_cshuffle_v3_b_preshuffleINS_13tensor_layout4gemm8RowMajorENS2_11ColumnMajorES3_NS_9f8_fnuz_tENS_7pk_i4_tEfDF16_DF16_NS_16tensor_operation12element_wise11PassThroughES9_S9_LNS7_6device18GemmSpecializationE0ELi256ELi256ELi256ELi128ELi16ELi32ELi16ELi16ELi8ELi8ENS_8SequenceIJLi8ELi32ELi1EEEENSC_IJLi1ELi0ELi2EEEESE_Li2ELi16ELi16ELb0ELi0ENSC_IJLi4ELi64ELi1EEEESE_SE_Li2ELi32ELi32ELb0ELi0ELi1ELi1ENSC_IJLi1ELi32ELi1ELi8EEEELi4ELNS_26BlockGemmPipelineSchedulerE0ELNS_24BlockGemmPipelineVersionE2ES5_S5_Lb0ELb0ELi0EE5NWaveE@rel32@lo+4
	s_addc_u32 s11, s11, _ZN2ck41GridwiseGemm_xdl_cshuffle_v3_b_preshuffleINS_13tensor_layout4gemm8RowMajorENS2_11ColumnMajorES3_NS_9f8_fnuz_tENS_7pk_i4_tEfDF16_DF16_NS_16tensor_operation12element_wise11PassThroughES9_S9_LNS7_6device18GemmSpecializationE0ELi256ELi256ELi256ELi128ELi16ELi32ELi16ELi16ELi8ELi8ENS_8SequenceIJLi8ELi32ELi1EEEENSC_IJLi1ELi0ELi2EEEESE_Li2ELi16ELi16ELb0ELi0ENSC_IJLi4ELi64ELi1EEEESE_SE_Li2ELi32ELi32ELb0ELi0ELi1ELi1ENSC_IJLi1ELi32ELi1ELi8EEEELi4ELNS_26BlockGemmPipelineSchedulerE0ELNS_24BlockGemmPipelineVersionE2ES5_S5_Lb0ELb0ELi0EE5NWaveE@rel32@hi+12
	s_load_dword s10, s[10:11], 0x0
	s_lshr_b32 s8, s8, 27
	s_add_i32 s16, s16, s8
	s_ashr_i32 s11, s16, 5
	v_mov_b32_e32 v3, s11
	s_add_i32 s21, s11, -1
	buffer_store_dword v3, off, s[0:3], 0 offset:3248
	s_waitcnt lgkmcnt(0)
	v_mov_b32_e32 v3, s10
	s_lshl_b32 s16, s20, 12
	s_add_i32 s22, s10, -1
	buffer_store_dword v3, off, s[0:3], 0 offset:3252
	v_mov_b32_e32 v3, s20
	s_lshl_b32 s8, s20, 11
	s_mul_i32 s20, s16, s21
	s_mul_i32 s22, s22, s8
	s_add_i32 s23, s8, 0xfffff800
	s_bitset1_b32 s20, 11
	s_ashr_i32 s21, s22, 31
	s_ashr_i32 s24, s23, 31
	s_ashr_i32 s25, s20, 31
	s_add_u32 s20, s20, s23
	s_addc_u32 s23, s25, s24
	s_mul_i32 s11, s8, s11
	v_mov_b32_e32 v4, s8
	buffer_store_dword v3, off, s[0:3], 0 offset:3256
	v_mov_b32_e32 v3, 0x800
	s_add_u32 s20, s20, s22
	s_mul_i32 s10, s11, s10
	buffer_store_dword v4, off, s[0:3], 0 offset:3268
	v_mov_b32_e32 v4, s16
	buffer_store_dword v0, off, s[0:3], 0 offset:3244
	buffer_store_dword v1, off, s[0:3], 0 offset:3240
	;; [unrolled: 1-line block ×3, first 2 shown]
	s_addc_u32 s21, s23, s21
	buffer_store_dword v4, off, s[0:3], 0 offset:3264
	buffer_store_dword v3, off, s[0:3], 0 offset:3272
	v_mov_b32_e32 v3, s10
	v_mov_b32_e32 v5, s19
	buffer_store_dword v3, off, s[0:3], 0 offset:3280
	v_mov_b32_e32 v3, s21
	v_mov_b32_e32 v4, s20
	buffer_store_dword v5, off, s[0:3], 0 offset:4
	v_mov_b32_e32 v5, s18
	buffer_store_dword v3, off, s[0:3], 0 offset:3292
	buffer_store_dword v4, off, s[0:3], 0 offset:3288
	buffer_store_dword v5, off, s[0:3], 0
	buffer_store_dword v0, off, s[0:3], 0 offset:12
	buffer_store_dword v1, off, s[0:3], 0 offset:8
	v_mov_b32_e32 v0, s15
	s_add_i32 s11, s48, -1
	s_mov_b32 s50, 0
	s_mov_b32 s10, 0
	buffer_store_dword v0, off, s[0:3], 0 offset:28
	v_mov_b32_e32 v0, s14
	s_cmpk_lt_u32 s11, 0x100
	buffer_store_byte v2, off, s[0:3], 0 offset:16
	buffer_store_dword v0, off, s[0:3], 0 offset:24
	buffer_store_dword v3, off, s[0:3], 0 offset:36
	;; [unrolled: 1-line block ×3, first 2 shown]
	buffer_store_byte v2, off, s[0:3], 0 offset:40
	s_cbranch_scc1 .LBB62_10
; %bb.3:
	s_add_i32 s11, s49, -1
	s_cmpk_lt_u32 s11, 0x100
	s_cbranch_scc1 .LBB62_9
; %bb.4:
	s_add_i32 s10, s48, 0xff
	s_ashr_i32 s11, s10, 31
	s_lshr_b32 s11, s11, 24
	s_add_i32 s10, s10, s11
	s_ashr_i32 s15, s10, 8
	s_add_i32 s10, s49, 0xff
	s_ashr_i32 s11, s10, 31
	s_lshr_b32 s11, s11, 24
	s_add_i32 s10, s10, s11
	s_ashr_i32 s14, s10, 8
	s_mul_i32 s10, s14, s15
	s_add_i32 s11, s10, 7
	s_ashr_i32 s18, s11, 31
	s_lshr_b32 s18, s18, 29
	s_add_i32 s11, s11, s18
	s_ashr_i32 s18, s11, 3
	s_and_b32 s11, s11, -8
	s_sub_i32 s19, s10, s11
	s_ashr_i32 s10, s47, 31
	s_lshr_b32 s10, s10, 29
	s_add_i32 s22, s47, s10
	s_and_b32 s10, s22, -8
	s_add_i32 s19, s19, 8
	s_sub_i32 s21, s47, s10
	s_cmp_gt_i32 s21, s19
	s_cbranch_scc1 .LBB62_6
; %bb.5:
	s_mul_i32 s20, s18, s21
	s_ashr_i32 s10, s22, 3
	s_cbranch_execz .LBB62_7
	s_branch .LBB62_8
.LBB62_6:
                                        ; implicit-def: $sgpr20
	s_ashr_i32 s10, s22, 3
.LBB62_7:
	s_add_i32 s11, s18, -1
	s_mul_i32 s11, s11, s21
	s_add_i32 s20, s19, s11
.LBB62_8:
	s_abs_i32 s11, s14
	v_cvt_f32_u32_e32 v0, s11
	s_add_i32 s10, s20, s10
	s_sub_i32 s20, 0, s11
	s_abs_i32 s19, s10
	v_rcp_iflag_f32_e32 v0, v0
	s_xor_b32 s18, s10, s14
	s_ashr_i32 s18, s18, 31
	v_mul_f32_e32 v0, 0x4f7ffffe, v0
	v_cvt_u32_f32_e32 v0, v0
	v_readfirstlane_b32 s21, v0
	s_mul_i32 s20, s20, s21
	s_mul_hi_u32 s20, s21, s20
	s_add_i32 s21, s21, s20
	s_mul_hi_u32 s20, s19, s21
	s_mul_i32 s21, s20, s11
	s_sub_i32 s19, s19, s21
	s_add_i32 s22, s20, 1
	s_sub_i32 s21, s19, s11
	s_cmp_ge_u32 s19, s11
	s_cselect_b32 s20, s22, s20
	s_cselect_b32 s19, s21, s19
	s_add_i32 s21, s20, 1
	s_cmp_ge_u32 s19, s11
	s_cselect_b32 s11, s21, s20
	s_xor_b32 s11, s11, s18
	s_lshr_b32 s19, s15, 30
	s_sub_i32 s11, s11, s18
	s_add_i32 s19, s15, s19
	s_mul_i32 s18, s11, s14
	s_sub_i32 s10, s10, s18
	s_and_b32 s18, s19, -4
	s_sub_i32 s15, s15, s18
	s_cmp_ge_i32 s11, s18
	s_cselect_b32 s15, s15, 4
	s_abs_i32 s19, s15
	v_cvt_f32_u32_e32 v0, s19
	s_ashr_i32 s18, s11, 31
	s_lshr_b32 s18, s18, 30
	s_add_i32 s18, s11, s18
	v_rcp_iflag_f32_e32 v0, v0
	s_and_b32 s18, s18, -4
	s_sub_i32 s18, s11, s18
	s_sub_i32 s21, 0, s19
	v_mul_f32_e32 v0, 0x4f7ffffe, v0
	v_cvt_u32_f32_e32 v0, v0
	s_mul_i32 s14, s18, s14
	s_add_i32 s14, s14, s10
	s_abs_i32 s20, s14
	v_readfirstlane_b32 s22, v0
	s_mul_i32 s21, s21, s22
	s_mul_hi_u32 s21, s22, s21
	s_add_i32 s22, s22, s21
	s_mul_hi_u32 s21, s20, s22
	s_mul_i32 s22, s21, s19
	s_xor_b32 s10, s14, s15
	s_sub_i32 s20, s20, s22
	s_ashr_i32 s10, s10, 31
	s_add_i32 s22, s21, 1
	s_sub_i32 s23, s20, s19
	s_cmp_ge_u32 s20, s19
	s_cselect_b32 s21, s22, s21
	s_cselect_b32 s20, s23, s20
	s_add_i32 s22, s21, 1
	s_cmp_ge_u32 s20, s19
	s_cselect_b32 s19, s22, s21
	s_xor_b32 s19, s19, s10
	s_sub_i32 s10, s19, s10
	s_mul_i32 s15, s10, s15
	s_sub_i32 s14, s14, s15
	s_add_i32 s14, s14, s11
	s_sub_i32 s47, s14, s18
.LBB62_9:
	s_mov_b32 s50, s47
	s_mov_b32 s47, s10
.LBB62_10:
	s_add_i32 s10, s17, 0x7f
	s_ashr_i32 s11, s10, 31
	s_lshr_b32 s11, s11, 25
	s_add_i32 s10, s10, s11
	s_lshl_b32 s11, s50, 8
	v_and_b32_e32 v1, 7, v41
	v_and_b32_e32 v3, 0xf8, v41
	v_add_u32_e32 v6, s11, v3
	v_lshlrev_b32_e32 v0, 4, v1
	v_mad_u64_u32 v[4:5], s[14:15], v6, s51, v[0:1]
	s_ashr_i32 s10, s10, 7
	buffer_store_dword v2, off, s[0:3], 0 offset:172
	buffer_store_dword v2, off, s[0:3], 0 offset:168
	;; [unrolled: 1-line block ×32, first 2 shown]
	buffer_store_short v2, off, s[0:3], 0 offset:176
	buffer_store_dword v2, off, s[0:3], 0 offset:204
	buffer_store_dword v2, off, s[0:3], 0 offset:200
	;; [unrolled: 1-line block ×32, first 2 shown]
	buffer_store_short v2, off, s[0:3], 0 offset:320
	buffer_store_dword v2, off, s[0:3], 0 offset:460
	buffer_store_dword v2, off, s[0:3], 0 offset:456
	buffer_store_dword v2, off, s[0:3], 0 offset:452
	buffer_store_dword v2, off, s[0:3], 0 offset:448
	buffer_store_dword v2, off, s[0:3], 0 offset:444
	buffer_store_dword v2, off, s[0:3], 0 offset:440
	buffer_store_dword v2, off, s[0:3], 0 offset:436
	buffer_store_dword v2, off, s[0:3], 0 offset:432
	buffer_store_dword v2, off, s[0:3], 0 offset:428
	buffer_store_dword v2, off, s[0:3], 0 offset:424
	buffer_store_dword v2, off, s[0:3], 0 offset:420
	buffer_store_dword v2, off, s[0:3], 0 offset:416
	buffer_store_dword v2, off, s[0:3], 0 offset:412
	buffer_store_dword v2, off, s[0:3], 0 offset:408
	buffer_store_dword v2, off, s[0:3], 0 offset:404
	buffer_store_dword v2, off, s[0:3], 0 offset:400
	buffer_store_dword v2, off, s[0:3], 0 offset:396
	buffer_store_dword v2, off, s[0:3], 0 offset:392
	buffer_store_dword v2, off, s[0:3], 0 offset:388
	buffer_store_dword v2, off, s[0:3], 0 offset:384
	buffer_store_dword v2, off, s[0:3], 0 offset:380
	buffer_store_dword v2, off, s[0:3], 0 offset:376
	buffer_store_dword v2, off, s[0:3], 0 offset:372
	buffer_store_dword v2, off, s[0:3], 0 offset:368
	buffer_store_dword v2, off, s[0:3], 0 offset:364
	buffer_store_dword v2, off, s[0:3], 0 offset:360
	buffer_store_dword v2, off, s[0:3], 0 offset:356
	buffer_store_dword v2, off, s[0:3], 0 offset:352
	buffer_store_dword v2, off, s[0:3], 0 offset:348
	buffer_store_dword v2, off, s[0:3], 0 offset:344
	buffer_store_dword v2, off, s[0:3], 0 offset:340
	buffer_store_dword v2, off, s[0:3], 0 offset:336
	buffer_store_byte v2, off, s[0:3], 0 offset:464
	buffer_store_dword v2, off, s[0:3], 0 offset:470
	buffer_store_dword v2, off, s[0:3], 0 offset:466
	;; [unrolled: 1-line block ×32, first 2 shown]
	buffer_store_byte v2, off, s[0:3], 0 offset:594
	buffer_store_dword v2, off, s[0:3], 0 offset:732
	buffer_store_dword v2, off, s[0:3], 0 offset:728
	;; [unrolled: 1-line block ×32, first 2 shown]
	buffer_store_short v2, off, s[0:3], 0 offset:736
	buffer_store_dword v2, off, s[0:3], 0 offset:768
	buffer_store_dword v4, off, s[0:3], 0 offset:752
	;; [unrolled: 1-line block ×6, first 2 shown]
	v_lshl_or_b32 v0, v3, 7, v0
	s_mul_i32 s9, s10, s9
	s_lshl_b32 s10, s47, 3
	buffer_store_dword v0, off, s[0:3], 0 offset:776
	buffer_store_dword v3, off, s[0:3], 0 offset:784
	;; [unrolled: 1-line block ×14, first 2 shown]
	v_bfe_u32 v3, v41, 6, 1
	v_lshlrev_b32_e32 v0, 5, v41
	v_and_b32_e32 v0, 0x7e0, v0
	s_mul_i32 s11, s10, s16
	v_mul_lo_u32 v1, s8, v3
	s_lshl_b32 s8, s9, 11
	v_or_b32_e32 v1, v1, v0
	s_add_i32 s11, s11, s8
	v_add_u32_e32 v1, s11, v1
	buffer_store_dword v1, off, s[0:3], 0 offset:848
	v_mov_b32_e32 v1, s10
	buffer_store_dword v1, off, s[0:3], 0 offset:852
	buffer_store_dword v3, off, s[0:3], 0 offset:856
	v_mov_b32_e32 v1, s9
	s_mov_b64 s[8:9], src_shared_base
	buffer_store_dword v1, off, s[0:3], 0 offset:860
	buffer_store_dword v0, off, s[0:3], 0 offset:864
	v_mov_b32_e32 v0, s9
	s_getpc_b64 s[8:9]
	s_add_u32 s8, s8, __const._ZN2ck41GridwiseGemm_xdl_cshuffle_v3_b_preshuffleINS_13tensor_layout4gemm8RowMajorENS2_11ColumnMajorES3_NS_9f8_fnuz_tENS_7pk_i4_tEfDF16_DF16_NS_16tensor_operation12element_wise11PassThroughES9_S9_LNS7_6device18GemmSpecializationE0ELi256ELi256ELi256ELi128ELi16ELi32ELi16ELi16ELi8ELi8ENS_8SequenceIJLi8ELi32ELi1EEEENSC_IJLi1ELi0ELi2EEEESE_Li2ELi16ELi16ELb0ELi0ENSC_IJLi4ELi64ELi1EEEESE_SE_Li2ELi32ELi32ELb0ELi0ELi1ELi1ENSC_IJLi1ELi32ELi1ELi8EEEELi4ELNS_26BlockGemmPipelineSchedulerE0ELNS_24BlockGemmPipelineVersionE2ES5_S5_Lb0ELb0ELi0EE8Run_2LdsIKNS_16TensorDescriptorINS_5TupleIJNS_5EmbedINSM_IJiiEEENSM_IJiNS_17integral_constantIiLi1EEEEEELb0EEENS_7UnMergeISO_Lb0EEENS_11PassThroughIiEEEEENSM_IJNSC_IJLi0EEEENSC_IJLi2EEEENSC_IJLi1EEEEEEENSM_IJNSC_IJLi1ELi2EEEENSC_IJLi3ELi4EEEENSC_IJLi5EEEEEEENSC_IJLi3ELi5ELi4EEEElEEKNSL_INSM_IJNSN_INSM_IJiiiiEEENSM_IJiiiSQ_EEELb0EEEEEENSM_IJSY_EEENSM_IJNSC_IJLi1ELi2ELi3ELi4EEEEEEES1E_lEEKNSL_INSM_IJSS_NS_8RightPadIiiLb0EEES1J_NST_INSM_IJiNSP_IiLi256EEEEEELb0EEES1M_EEENSM_IJSY_S10_SZ_NSC_IJLi3EEEENSC_IJLi4EEEEEEENSM_IJS12_S1O_S1P_NSC_IJLi5ELi6EEEENSC_IJLi7ELi8EEEEEEENSC_IJLi5ELi6ELi7ELi8EEEElEELb1ELNS_25InMemoryDataOperationEnumE0ELNS_10TailNumberE0EEEvPKS5_PKS6_PDF16_PvS24_RKNSJ_7ProblemERKT_RKT0_RKT1_i.a_block_slice_copy_step@rel32@lo+4
	s_addc_u32 s9, s9, __const._ZN2ck41GridwiseGemm_xdl_cshuffle_v3_b_preshuffleINS_13tensor_layout4gemm8RowMajorENS2_11ColumnMajorES3_NS_9f8_fnuz_tENS_7pk_i4_tEfDF16_DF16_NS_16tensor_operation12element_wise11PassThroughES9_S9_LNS7_6device18GemmSpecializationE0ELi256ELi256ELi256ELi128ELi16ELi32ELi16ELi16ELi8ELi8ENS_8SequenceIJLi8ELi32ELi1EEEENSC_IJLi1ELi0ELi2EEEESE_Li2ELi16ELi16ELb0ELi0ENSC_IJLi4ELi64ELi1EEEESE_SE_Li2ELi32ELi32ELb0ELi0ELi1ELi1ENSC_IJLi1ELi32ELi1ELi8EEEELi4ELNS_26BlockGemmPipelineSchedulerE0ELNS_24BlockGemmPipelineVersionE2ES5_S5_Lb0ELb0ELi0EE8Run_2LdsIKNS_16TensorDescriptorINS_5TupleIJNS_5EmbedINSM_IJiiEEENSM_IJiNS_17integral_constantIiLi1EEEEEELb0EEENS_7UnMergeISO_Lb0EEENS_11PassThroughIiEEEEENSM_IJNSC_IJLi0EEEENSC_IJLi2EEEENSC_IJLi1EEEEEEENSM_IJNSC_IJLi1ELi2EEEENSC_IJLi3ELi4EEEENSC_IJLi5EEEEEEENSC_IJLi3ELi5ELi4EEEElEEKNSL_INSM_IJNSN_INSM_IJiiiiEEENSM_IJiiiSQ_EEELb0EEEEEENSM_IJSY_EEENSM_IJNSC_IJLi1ELi2ELi3ELi4EEEEEEES1E_lEEKNSL_INSM_IJSS_NS_8RightPadIiiLb0EEES1J_NST_INSM_IJiNSP_IiLi256EEEEEELb0EEES1M_EEENSM_IJSY_S10_SZ_NSC_IJLi3EEEENSC_IJLi4EEEEEEENSM_IJS12_S1O_S1P_NSC_IJLi5ELi6EEEENSC_IJLi7ELi8EEEEEEENSC_IJLi5ELi6ELi7ELi8EEEElEELb1ELNS_25InMemoryDataOperationEnumE0ELNS_10TailNumberE0EEEvPKS5_PKS6_PDF16_PvS24_RKNSJ_7ProblemERKT_RKT0_RKT1_i.a_block_slice_copy_step@rel32@hi+12
	s_load_dwordx2 s[14:15], s[8:9], 0x0
	s_getpc_b64 s[8:9]
	s_add_u32 s8, s8, __const._ZN2ck41GridwiseGemm_xdl_cshuffle_v3_b_preshuffleINS_13tensor_layout4gemm8RowMajorENS2_11ColumnMajorES3_NS_9f8_fnuz_tENS_7pk_i4_tEfDF16_DF16_NS_16tensor_operation12element_wise11PassThroughES9_S9_LNS7_6device18GemmSpecializationE0ELi256ELi256ELi256ELi128ELi16ELi32ELi16ELi16ELi8ELi8ENS_8SequenceIJLi8ELi32ELi1EEEENSC_IJLi1ELi0ELi2EEEESE_Li2ELi16ELi16ELb0ELi0ENSC_IJLi4ELi64ELi1EEEESE_SE_Li2ELi32ELi32ELb0ELi0ELi1ELi1ENSC_IJLi1ELi32ELi1ELi8EEEELi4ELNS_26BlockGemmPipelineSchedulerE0ELNS_24BlockGemmPipelineVersionE2ES5_S5_Lb0ELb0ELi0EE8Run_2LdsIKNS_16TensorDescriptorINS_5TupleIJNS_5EmbedINSM_IJiiEEENSM_IJiNS_17integral_constantIiLi1EEEEEELb0EEENS_7UnMergeISO_Lb0EEENS_11PassThroughIiEEEEENSM_IJNSC_IJLi0EEEENSC_IJLi2EEEENSC_IJLi1EEEEEEENSM_IJNSC_IJLi1ELi2EEEENSC_IJLi3ELi4EEEENSC_IJLi5EEEEEEENSC_IJLi3ELi5ELi4EEEElEEKNSL_INSM_IJNSN_INSM_IJiiiiEEENSM_IJiiiSQ_EEELb0EEEEEENSM_IJSY_EEENSM_IJNSC_IJLi1ELi2ELi3ELi4EEEEEEES1E_lEEKNSL_INSM_IJSS_NS_8RightPadIiiLb0EEES1J_NST_INSM_IJiNSP_IiLi256EEEEEELb0EEES1M_EEENSM_IJSY_S10_SZ_NSC_IJLi3EEEENSC_IJLi4EEEEEEENSM_IJS12_S1O_S1P_NSC_IJLi5ELi6EEEENSC_IJLi7ELi8EEEEEEENSC_IJLi5ELi6ELi7ELi8EEEElEELb1ELNS_25InMemoryDataOperationEnumE0ELNS_10TailNumberE0EEEvPKS5_PKS6_PDF16_PvS24_RKNSJ_7ProblemERKT_RKT0_RKT1_i.b_block_slice_copy_step@rel32@lo+4
	s_addc_u32 s9, s9, __const._ZN2ck41GridwiseGemm_xdl_cshuffle_v3_b_preshuffleINS_13tensor_layout4gemm8RowMajorENS2_11ColumnMajorES3_NS_9f8_fnuz_tENS_7pk_i4_tEfDF16_DF16_NS_16tensor_operation12element_wise11PassThroughES9_S9_LNS7_6device18GemmSpecializationE0ELi256ELi256ELi256ELi128ELi16ELi32ELi16ELi16ELi8ELi8ENS_8SequenceIJLi8ELi32ELi1EEEENSC_IJLi1ELi0ELi2EEEESE_Li2ELi16ELi16ELb0ELi0ENSC_IJLi4ELi64ELi1EEEESE_SE_Li2ELi32ELi32ELb0ELi0ELi1ELi1ENSC_IJLi1ELi32ELi1ELi8EEEELi4ELNS_26BlockGemmPipelineSchedulerE0ELNS_24BlockGemmPipelineVersionE2ES5_S5_Lb0ELb0ELi0EE8Run_2LdsIKNS_16TensorDescriptorINS_5TupleIJNS_5EmbedINSM_IJiiEEENSM_IJiNS_17integral_constantIiLi1EEEEEELb0EEENS_7UnMergeISO_Lb0EEENS_11PassThroughIiEEEEENSM_IJNSC_IJLi0EEEENSC_IJLi2EEEENSC_IJLi1EEEEEEENSM_IJNSC_IJLi1ELi2EEEENSC_IJLi3ELi4EEEENSC_IJLi5EEEEEEENSC_IJLi3ELi5ELi4EEEElEEKNSL_INSM_IJNSN_INSM_IJiiiiEEENSM_IJiiiSQ_EEELb0EEEEEENSM_IJSY_EEENSM_IJNSC_IJLi1ELi2ELi3ELi4EEEEEEES1E_lEEKNSL_INSM_IJSS_NS_8RightPadIiiLb0EEES1J_NST_INSM_IJiNSP_IiLi256EEEEEELb0EEES1M_EEENSM_IJSY_S10_SZ_NSC_IJLi3EEEENSC_IJLi4EEEEEEENSM_IJS12_S1O_S1P_NSC_IJLi5ELi6EEEENSC_IJLi7ELi8EEEEEEENSC_IJLi5ELi6ELi7ELi8EEEElEELb1ELNS_25InMemoryDataOperationEnumE0ELNS_10TailNumberE0EEEvPKS5_PKS6_PDF16_PvS24_RKNSJ_7ProblemERKT_RKT0_RKT1_i.b_block_slice_copy_step@rel32@hi+12
	s_load_dwordx4 s[8:11], s[8:9], 0x0
	buffer_store_dword v0, off, s[0:3], 0 offset:876
	buffer_store_dword v2, off, s[0:3], 0 offset:872
	buffer_store_byte v2, off, s[0:3], 0 offset:881
	buffer_store_dword v0, off, s[0:3], 0 offset:892
	v_mov_b32_e32 v0, 0x8000
	buffer_store_dword v0, off, s[0:3], 0 offset:888
	buffer_store_byte v2, off, s[0:3], 0 offset:897
	s_waitcnt lgkmcnt(0)
	v_mov_b32_e32 v0, s15
	buffer_store_dword v0, off, s[0:3], 0 offset:908
	v_mov_b32_e32 v0, s14
	buffer_store_dword v0, off, s[0:3], 0 offset:904
	buffer_store_dword v2, off, s[0:3], 0 offset:912
	v_mov_b32_e32 v0, s11
	buffer_store_dword v0, off, s[0:3], 0 offset:928
	v_mov_b32_e32 v0, s10
	;; [unrolled: 2-line block ×5, first 2 shown]
	v_mov_b32_e32 v4, 0x3b0
	s_mov_b64 s[8:9], 0
	v_mov_b32_e32 v1, 0
.LBB62_11:                              ; =>This Inner Loop Header: Depth=1
	s_add_u32 s8, s8, 1
	s_addc_u32 s9, s9, 0
	v_cmp_lt_u64_e32 vcc, s[8:9], v[0:1]
	buffer_store_byte v2, v4, s[0:3], 0 offen
	v_add_u32_e32 v4, 1, v4
	s_cbranch_vccnz .LBB62_11
; %bb.12:
	v_and_b32_e32 v0, 63, v41
	v_and_b32_e32 v2, 48, v41
	v_lshrrev_b32_e32 v1, 7, v41
	v_sub_u32_e32 v0, v0, v2
	v_lshl_add_u32 v4, v1, 4, v0
	v_ashrrev_i16_e32 v6, 15, v4
	v_lshrrev_b16_e32 v6, 13, v6
	v_lshlrev_b32_e32 v2, 1, v41
	v_add_u16_e32 v6, v4, v6
	v_and_b32_e32 v2, 0x60, v2
	v_and_b32_e32 v6, -8, v6
	v_lshrrev_b32_e32 v5, 4, v2
	v_sub_u16_e32 v6, v4, v6
	v_xor_b32_sdwa v7, v5, sext(v6) dst_sel:DWORD dst_unused:UNUSED_PAD src0_sel:DWORD src1_sel:WORD_0
	v_lshlrev_b32_e32 v8, 7, v4
	v_lshl_add_u32 v9, v7, 4, v8
	buffer_store_dword v9, off, s[0:3], 0 offset:1968
	buffer_store_dword v7, off, s[0:3], 0 offset:1972
	;; [unrolled: 1-line block ×12, first 2 shown]
	v_lshl_add_u32 v5, v3, 4, v0
	v_add_lshl_u32 v7, v5, v2, 5
	buffer_store_dword v7, off, s[0:3], 0 offset:2040
	buffer_store_dword v2, off, s[0:3], 0 offset:2044
	;; [unrolled: 1-line block ×6, first 2 shown]
	v_bfe_u32 v2, v41, 4, 2
	v_lshlrev_b32_e32 v5, 1, v2
	v_xor_b32_sdwa v6, v5, sext(v6) dst_sel:DWORD dst_unused:UNUSED_PAD src0_sel:DWORD src1_sel:WORD_0
	v_lshl_add_u32 v7, v6, 4, v8
	v_lshlrev_b32_e32 v3, 5, v2
	buffer_store_dword v7, off, s[0:3], 0 offset:2076
	buffer_store_dword v6, off, s[0:3], 0 offset:2080
	;; [unrolled: 1-line block ×15, first 2 shown]
	v_mov_b32_e32 v0, 0
	buffer_store_dword v0, off, s[0:3], 0 offset:3196
	buffer_store_dword v0, off, s[0:3], 0 offset:3192
	;; [unrolled: 1-line block ×177, first 2 shown]
	buffer_load_dword v1, off, s[0:3], 0 offset:3216
	buffer_load_dword v2, off, s[0:3], 0 offset:3220
	s_nop 0
	buffer_store_dword v0, off, s[0:3], 0 offset:2488
	buffer_store_dword v0, off, s[0:3], 0 offset:2484
	;; [unrolled: 1-line block ×79, first 2 shown]
	s_lshl_b64 s[4:5], s[4:5], 1
	s_add_u32 s52, s6, s4
	s_addc_u32 s53, s7, s5
	s_mov_b64 s[4:5], src_private_base
	s_mul_i32 s13, s13, s56
	s_mul_hi_u32 s51, s12, s56
	s_add_i32 s51, s51, s13
	v_mov_b32_e32 v3, s5
	v_mov_b32_e32 v4, 48
	;; [unrolled: 1-line block ×19, first 2 shown]
	s_getpc_b64 s[6:7]
	s_add_u32 s6, s6, _ZNK2ck52BlockwiseGemmXdlops_pipeline_bpreshuffle_bdequant_v3ILNS_26BlockGemmPipelineSchedulerE0ELi256ENS_9f8_fnuz_tENS_7pk_i4_tES2_fNS_16TensorDescriptorINS_5TupleIJNS_5EmbedINS5_IJNS_17integral_constantIiLi8EEENS7_IiLi256EEENS7_IiLi16EEEEEENS5_IJSA_NS7_IiLi128EEENS7_IiLi1EEEEEELb0EEENS_3XorINS5_IJS9_S8_EEELb1EEENS_11PassThroughISA_EENS_7UnMergeINS5_IJS8_SD_EEELb0EEENSJ_IS9_EESK_NSJ_IS8_EENS_21Merge_v3_division_modINS5_IJS9_SD_EEEEESK_EEENS5_IJNS_8SequenceIJLi0EEEENSU_IJLi2ELi1EEEENSU_IJLi3EEEENSU_IJLi5EEEENSU_IJLi4EEEENSU_IJLi6EEEENSU_IJLi7EEEENSU_IJLi9ELi8EEEENSU_IJLi10EEEEEEENS5_IJNSU_IJLi1ELi2ELi3EEEENSU_IJLi4ELi5EEEES10_NSU_IJLi7ELi8EEEENSU_IJLi9EEEES13_NSU_IJLi11EEEENSU_IJLi12EEEENSU_IJLi13EEEEEEENSU_IJLi11ELi12ELi13EEEENS7_IlLl32768EEEEENS4_INS5_IJNSL_INS5_IJS8_SD_SD_NS7_IiLi32EEEEEELb0EEEEEENS5_IJSV_EEENS5_IJNSU_IJLi1ELi2ELi3ELi4EEEEEEES1L_NS7_IlLl256EEEEENS4_INS5_IJSF_SI_SK_SN_SO_SK_SP_SS_SK_NSQ_INS5_IJS8_SA_EEEEENSL_INS5_IJS8_NS7_IiLi2EEESA_EEELb0EEEEEENS5_IJSV_SW_SX_SY_SZ_S10_S11_S12_S13_NSU_IJLi11ELi13EEEES1A_EEENS5_IJS15_S16_S10_S17_S18_S13_S19_S1A_S1B_NSU_IJLi14EEEENSU_IJLi15ELi16ELi17EEEEEEENSU_IJLi15ELi16ELi17ELi14EEEES1E_EENS4_INS5_IJS1I_NSQ_ISM_EES1T_EEENS5_IJSV_NSU_IJLi1ELi3EEEENSU_IJLi2EEEEEEENS5_IJS1L_SY_NSU_IJLi6ELi7ELi8EEEEEEENSU_IJLi6ELi7ELi8ELi5EEEES1N_EELi16ELi32ELi256ELi256ELi128ELi16ELi16ELi8ELi8ELi32ELb0EE3RunILb1ELNS_10TailNumberE0ENS4_INS5_IJNS6_INS5_IJiiEEENS5_IJiSD_EEELb0EEENSL_IS2E_Lb0EEENSJ_IiEEEEENS5_IJSV_S25_NSU_IJLi1EEEEEEENS5_IJNSU_IJLi1ELi2EEEENSU_IJLi3ELi4EEEESY_EEENSU_IJLi3ELi5ELi4EEEElEES1F_NS_35ThreadGroupTensorSliceTransfer_v4r1INS_15ThisThreadBlockILi256EEENS_16tensor_operation12element_wise11PassThroughES2W_LNS_25InMemoryDataOperationEnumE0ENSU_IJLi8ELi256ELi16EEEENSU_IJLi8ELi32ELi1EEEENSU_IJLi1ELi0ELi2EEEES2_S2_RKS2Q_KS1F_S30_NSU_IJLi0ELi1ELi2EEEELi2ELi2ELi16ELi16ELi1ELi1ELb0ELb1ELi2EiEENS_13DynamicBufferILNS_16AddressSpaceEnumE1EKS2_lLb1ELNS_22AmdBufferCoherenceEnumE0EiEENS5_IJNS36_ILS37_2ES2_S1E_Lb1ELS39_0EiEES3B_EEENS5_IJiiiEEENS4_INS5_IJNS6_INS5_IJiiiiEEENS5_IJiiiSD_EEELb0EEEEEES1K_S1M_S1L_lEENS_32ThreadwiseTensorSliceTransfer_v2IS3_S3_RKS3I_KS1O_NSU_IJLi8ELi1ELi1ELi32EEEENSU_IJLi1ELi2ELi0ELi3EEEELi3ELi32ELi0ELb1ELb0ELb0EEENS36_ILS37_1EKS3_lLb1ELS39_0EiEENS5_IJNS_12StaticBufferILS37_4ES3_Li256ELb1EEES3T_EEES3E_NS_25StaticBufferTupleOfVectorILS37_4EfLi64ELi4ELb1ELb0EEEEEvRKT1_RKT2_RT3_RKT4_RT5_RKT6_RKT7_RT8_RKT9_RT10_RKT11_RT12_i@rel32@lo+4
	s_addc_u32 s7, s7, _ZNK2ck52BlockwiseGemmXdlops_pipeline_bpreshuffle_bdequant_v3ILNS_26BlockGemmPipelineSchedulerE0ELi256ENS_9f8_fnuz_tENS_7pk_i4_tES2_fNS_16TensorDescriptorINS_5TupleIJNS_5EmbedINS5_IJNS_17integral_constantIiLi8EEENS7_IiLi256EEENS7_IiLi16EEEEEENS5_IJSA_NS7_IiLi128EEENS7_IiLi1EEEEEELb0EEENS_3XorINS5_IJS9_S8_EEELb1EEENS_11PassThroughISA_EENS_7UnMergeINS5_IJS8_SD_EEELb0EEENSJ_IS9_EESK_NSJ_IS8_EENS_21Merge_v3_division_modINS5_IJS9_SD_EEEEESK_EEENS5_IJNS_8SequenceIJLi0EEEENSU_IJLi2ELi1EEEENSU_IJLi3EEEENSU_IJLi5EEEENSU_IJLi4EEEENSU_IJLi6EEEENSU_IJLi7EEEENSU_IJLi9ELi8EEEENSU_IJLi10EEEEEEENS5_IJNSU_IJLi1ELi2ELi3EEEENSU_IJLi4ELi5EEEES10_NSU_IJLi7ELi8EEEENSU_IJLi9EEEES13_NSU_IJLi11EEEENSU_IJLi12EEEENSU_IJLi13EEEEEEENSU_IJLi11ELi12ELi13EEEENS7_IlLl32768EEEEENS4_INS5_IJNSL_INS5_IJS8_SD_SD_NS7_IiLi32EEEEEELb0EEEEEENS5_IJSV_EEENS5_IJNSU_IJLi1ELi2ELi3ELi4EEEEEEES1L_NS7_IlLl256EEEEENS4_INS5_IJSF_SI_SK_SN_SO_SK_SP_SS_SK_NSQ_INS5_IJS8_SA_EEEEENSL_INS5_IJS8_NS7_IiLi2EEESA_EEELb0EEEEEENS5_IJSV_SW_SX_SY_SZ_S10_S11_S12_S13_NSU_IJLi11ELi13EEEES1A_EEENS5_IJS15_S16_S10_S17_S18_S13_S19_S1A_S1B_NSU_IJLi14EEEENSU_IJLi15ELi16ELi17EEEEEEENSU_IJLi15ELi16ELi17ELi14EEEES1E_EENS4_INS5_IJS1I_NSQ_ISM_EES1T_EEENS5_IJSV_NSU_IJLi1ELi3EEEENSU_IJLi2EEEEEEENS5_IJS1L_SY_NSU_IJLi6ELi7ELi8EEEEEEENSU_IJLi6ELi7ELi8ELi5EEEES1N_EELi16ELi32ELi256ELi256ELi128ELi16ELi16ELi8ELi8ELi32ELb0EE3RunILb1ELNS_10TailNumberE0ENS4_INS5_IJNS6_INS5_IJiiEEENS5_IJiSD_EEELb0EEENSL_IS2E_Lb0EEENSJ_IiEEEEENS5_IJSV_S25_NSU_IJLi1EEEEEEENS5_IJNSU_IJLi1ELi2EEEENSU_IJLi3ELi4EEEESY_EEENSU_IJLi3ELi5ELi4EEEElEES1F_NS_35ThreadGroupTensorSliceTransfer_v4r1INS_15ThisThreadBlockILi256EEENS_16tensor_operation12element_wise11PassThroughES2W_LNS_25InMemoryDataOperationEnumE0ENSU_IJLi8ELi256ELi16EEEENSU_IJLi8ELi32ELi1EEEENSU_IJLi1ELi0ELi2EEEES2_S2_RKS2Q_KS1F_S30_NSU_IJLi0ELi1ELi2EEEELi2ELi2ELi16ELi16ELi1ELi1ELb0ELb1ELi2EiEENS_13DynamicBufferILNS_16AddressSpaceEnumE1EKS2_lLb1ELNS_22AmdBufferCoherenceEnumE0EiEENS5_IJNS36_ILS37_2ES2_S1E_Lb1ELS39_0EiEES3B_EEENS5_IJiiiEEENS4_INS5_IJNS6_INS5_IJiiiiEEENS5_IJiiiSD_EEELb0EEEEEES1K_S1M_S1L_lEENS_32ThreadwiseTensorSliceTransfer_v2IS3_S3_RKS3I_KS1O_NSU_IJLi8ELi1ELi1ELi32EEEENSU_IJLi1ELi2ELi0ELi3EEEELi3ELi32ELi0ELb1ELb0ELb0EEENS36_ILS37_1EKS3_lLb1ELS39_0EiEENS5_IJNS_12StaticBufferILS37_4ES3_Li256ELb1EEES3T_EEES3E_NS_25StaticBufferTupleOfVectorILS37_4EfLi64ELi4ELb1ELb0EEEEEvRKT1_RKT2_RT3_RKT4_RT5_RKT6_RKT7_RT8_RKT9_RT10_RKT11_RT12_i@rel32@hi+12
	s_waitcnt vmcnt(62)
	v_mul_lo_u32 v0, v2, v1
	v_ashrrev_i32_e32 v1, 31, v0
	v_lshrrev_b32_e32 v1, 25, v1
	v_add_u32_e32 v0, v0, v1
	v_ashrrev_i32_e32 v0, 7, v0
	v_readfirstlane_b32 s4, v0
	v_mov_b32_e32 v0, 0x3b0
	v_mov_b32_e32 v1, s5
	;; [unrolled: 1-line block ×4, first 2 shown]
	s_swappc_b64 s[30:31], s[6:7]
	s_waitcnt lgkmcnt(0)
	s_barrier
	buffer_load_dword v5, off, s[0:3], 0 offset:2176
	buffer_load_dword v7, off, s[0:3], 0 offset:2180
	;; [unrolled: 1-line block ×4, first 2 shown]
	v_and_b32_e32 v0, 15, v41
	v_lshrrev_b32_e32 v1, 2, v41
	v_lshlrev_b32_e32 v3, 2, v41
	v_lshlrev_b32_e32 v4, 3, v41
	s_movk_i32 s4, 0x180
	v_lshrrev_b32_e32 v10, 3, v41
	v_and_b32_e32 v1, 16, v1
	v_and_b32_e32 v6, 0x200, v3
	v_and_or_b32 v0, v4, s4, v0
	v_and_b32_e32 v3, 28, v3
	s_add_i32 s5, s49, s51
	v_lshl_or_b32 v4, s50, 8, v10
	v_or3_b32 v11, v0, v6, v1
	v_lshl_or_b32 v6, s47, 8, v3
	s_lshl_b32 s54, s5, 1
	v_lshlrev_b32_e32 v12, 1, v3
	v_lshlrev_b32_e32 v3, 1, v11
	v_cmp_gt_i32_e64 s[18:19], s48, v4
	v_cmp_gt_i32_e32 vcc, s49, v6
	v_bfrev_b32_e32 v2, 1
	s_mov_b32 s55, 0x20000
	v_or_b32_e32 v11, 32, v6
	s_lshl_b32 s22, s56, 5
	v_or_b32_e32 v21, 64, v4
	v_or_b32_e32 v33, 0x60, v4
	s_waitcnt vmcnt(3)
	v_cvt_f16_f32_e32 v5, v5
	s_waitcnt vmcnt(2)
	v_mad_u64_u32 v[0:1], s[4:5], v4, s56, v[6:7]
	v_cvt_f16_f32_e32 v7, v7
	s_waitcnt vmcnt(1)
	v_cvt_f16_f32_e32 v8, v8
	v_lshl_or_b32 v1, v10, 6, v12
	s_waitcnt vmcnt(0)
	v_cvt_f16_f32_e32 v9, v9
	ds_write_b16 v3, v5
	ds_write_b16 v3, v7 offset:64
	ds_write_b16 v3, v8 offset:128
	;; [unrolled: 1-line block ×3, first 2 shown]
	s_waitcnt lgkmcnt(0)
	s_barrier
	ds_read_b64 v[8:9], v1
	s_and_b64 s[4:5], s[18:19], vcc
	v_lshlrev_b32_e32 v5, 1, v0
	v_cndmask_b32_e64 v7, v2, 0, s[4:5]
	v_add_u32_e32 v7, v7, v5
	s_waitcnt lgkmcnt(0)
	buffer_store_dwordx2 v[8:9], v7, s[52:55], 0 offen
	s_waitcnt lgkmcnt(0)
	s_barrier
	buffer_load_dword v7, off, s[0:3], 0 offset:2192
	buffer_load_dword v8, off, s[0:3], 0 offset:2196
	;; [unrolled: 1-line block ×4, first 2 shown]
	v_cmp_gt_i32_e64 s[4:5], s49, v11
	s_and_b64 s[6:7], s[18:19], s[4:5]
	v_or_b32_e32 v11, 64, v6
	s_waitcnt vmcnt(3)
	v_cvt_f16_f32_e32 v7, v7
	s_waitcnt vmcnt(2)
	v_cvt_f16_f32_e32 v8, v8
	s_waitcnt vmcnt(1)
	v_cvt_f16_f32_e32 v9, v9
	s_waitcnt vmcnt(0)
	v_cvt_f16_f32_e32 v10, v10
	ds_write_b16 v3, v7
	ds_write_b16 v3, v8 offset:64
	ds_write_b16 v3, v9 offset:128
	ds_write_b16 v3, v10 offset:192
	s_waitcnt lgkmcnt(0)
	s_barrier
	ds_read_b64 v[8:9], v1
	v_cndmask_b32_e64 v7, v2, 0, s[6:7]
	v_add_u32_e32 v7, v5, v7
	v_cmp_gt_i32_e64 s[6:7], s49, v11
	s_and_b64 s[8:9], s[18:19], s[6:7]
	s_waitcnt lgkmcnt(0)
	buffer_store_dwordx2 v[8:9], v7, s[52:55], 0 offen offset:64
	s_waitcnt lgkmcnt(0)
	s_barrier
	buffer_load_dword v7, off, s[0:3], 0 offset:2208
	buffer_load_dword v8, off, s[0:3], 0 offset:2212
	buffer_load_dword v9, off, s[0:3], 0 offset:2216
	buffer_load_dword v10, off, s[0:3], 0 offset:2220
	v_or_b32_e32 v11, 0x60, v6
	s_waitcnt vmcnt(3)
	v_cvt_f16_f32_e32 v7, v7
	s_waitcnt vmcnt(2)
	v_cvt_f16_f32_e32 v8, v8
	s_waitcnt vmcnt(1)
	v_cvt_f16_f32_e32 v9, v9
	s_waitcnt vmcnt(0)
	v_cvt_f16_f32_e32 v10, v10
	ds_write_b16 v3, v7
	ds_write_b16 v3, v8 offset:64
	ds_write_b16 v3, v9 offset:128
	ds_write_b16 v3, v10 offset:192
	s_waitcnt lgkmcnt(0)
	s_barrier
	ds_read_b64 v[8:9], v1
	v_cndmask_b32_e64 v7, v2, 0, s[8:9]
	v_add_u32_e32 v7, v5, v7
	v_cmp_gt_i32_e64 s[8:9], s49, v11
	s_and_b64 s[10:11], s[18:19], s[8:9]
	s_waitcnt lgkmcnt(0)
	buffer_store_dwordx2 v[8:9], v7, s[52:55], 0 offen offset:128
	s_waitcnt lgkmcnt(0)
	s_barrier
	buffer_load_dword v7, off, s[0:3], 0 offset:2224
	buffer_load_dword v8, off, s[0:3], 0 offset:2228
	buffer_load_dword v9, off, s[0:3], 0 offset:2232
	buffer_load_dword v10, off, s[0:3], 0 offset:2236
	;; [unrolled: 28-line block ×5, first 2 shown]
	v_add_u32_e32 v11, 0xe0, v0
	v_add_lshl_u32 v20, v11, s22, 1
	v_add_u32_e32 v0, s22, v0
	v_add_u32_e32 v30, s22, v0
	v_lshlrev_b32_e32 v31, 1, v30
	s_waitcnt vmcnt(3)
	v_cvt_f16_f32_e32 v7, v7
	s_waitcnt vmcnt(2)
	v_cvt_f16_f32_e32 v8, v8
	;; [unrolled: 2-line block ×4, first 2 shown]
	ds_write_b16 v3, v7
	ds_write_b16 v3, v8 offset:64
	ds_write_b16 v3, v9 offset:128
	;; [unrolled: 1-line block ×3, first 2 shown]
	s_waitcnt lgkmcnt(0)
	s_barrier
	ds_read_b64 v[8:9], v1
	v_cndmask_b32_e64 v7, v2, 0, s[16:17]
	v_add_u32_e32 v5, v5, v7
	v_or_b32_e32 v10, 0xe0, v6
	v_cmp_gt_i32_e64 s[16:17], s49, v10
	s_waitcnt lgkmcnt(0)
	buffer_store_dwordx2 v[8:9], v5, s[52:55], 0 offen offset:384
	s_waitcnt lgkmcnt(0)
	s_barrier
	buffer_load_dword v5, off, s[0:3], 0 offset:2288
	buffer_load_dword v7, off, s[0:3], 0 offset:2292
	;; [unrolled: 1-line block ×4, first 2 shown]
	s_and_b64 s[18:19], s[18:19], s[16:17]
	s_waitcnt vmcnt(3)
	v_cvt_f16_f32_e32 v5, v5
	s_waitcnt vmcnt(2)
	v_cvt_f16_f32_e32 v6, v7
	;; [unrolled: 2-line block ×4, first 2 shown]
	ds_write_b16 v3, v5
	ds_write_b16 v3, v6 offset:64
	ds_write_b16 v3, v7 offset:128
	;; [unrolled: 1-line block ×3, first 2 shown]
	s_waitcnt lgkmcnt(0)
	s_barrier
	ds_read_b64 v[6:7], v1
	v_cndmask_b32_e64 v5, v2, 0, s[18:19]
	v_lshl_add_u32 v5, v11, 1, v5
	v_or_b32_e32 v9, 32, v4
	v_cmp_gt_i32_e64 s[18:19], s48, v9
	s_waitcnt lgkmcnt(0)
	buffer_store_dwordx2 v[6:7], v5, s[52:55], 0 offen
	s_waitcnt lgkmcnt(0)
	s_barrier
	buffer_load_dword v5, off, s[0:3], 0 offset:2416
	buffer_load_dword v6, off, s[0:3], 0 offset:2420
	;; [unrolled: 1-line block ×4, first 2 shown]
	s_and_b64 s[20:21], s[18:19], s[16:17]
	s_waitcnt vmcnt(3)
	v_cvt_f16_f32_e32 v5, v5
	s_waitcnt vmcnt(2)
	v_cvt_f16_f32_e32 v6, v6
	;; [unrolled: 2-line block ×4, first 2 shown]
	ds_write_b16 v3, v5
	ds_write_b16 v3, v6 offset:64
	ds_write_b16 v3, v7 offset:128
	ds_write_b16 v3, v8 offset:192
	s_waitcnt lgkmcnt(0)
	s_barrier
	ds_read_b64 v[6:7], v1
	v_cndmask_b32_e64 v5, v2, 0, s[20:21]
	v_add_u32_e32 v5, v20, v5
	s_and_b64 s[20:21], s[18:19], s[14:15]
	s_waitcnt lgkmcnt(0)
	buffer_store_dwordx2 v[6:7], v5, s[52:55], 0 offen
	s_waitcnt lgkmcnt(0)
	s_barrier
	buffer_load_dword v6, off, s[0:3], 0 offset:2400
	buffer_load_dword v7, off, s[0:3], 0 offset:2404
	;; [unrolled: 1-line block ×4, first 2 shown]
	v_mov_b32_e32 v5, 0x7fffffc0
	s_waitcnt vmcnt(3)
	v_cvt_f16_f32_e32 v6, v6
	s_waitcnt vmcnt(2)
	v_cvt_f16_f32_e32 v7, v7
	;; [unrolled: 2-line block ×4, first 2 shown]
	ds_write_b16 v3, v6
	ds_write_b16 v3, v7 offset:64
	ds_write_b16 v3, v8 offset:128
	;; [unrolled: 1-line block ×3, first 2 shown]
	s_waitcnt lgkmcnt(0)
	s_barrier
	ds_read_b64 v[8:9], v1
	v_not_b32_e32 v7, 63
	v_cndmask_b32_e64 v6, v5, v7, s[20:21]
	v_add_u32_e32 v6, v20, v6
	s_and_b64 s[20:21], s[18:19], s[12:13]
	s_waitcnt lgkmcnt(0)
	buffer_store_dwordx2 v[8:9], v6, s[52:55], 0 offen
	s_waitcnt lgkmcnt(0)
	s_barrier
	buffer_load_dword v8, off, s[0:3], 0 offset:2384
	buffer_load_dword v9, off, s[0:3], 0 offset:2388
	buffer_load_dword v10, off, s[0:3], 0 offset:2392
	buffer_load_dword v11, off, s[0:3], 0 offset:2396
	v_mov_b32_e32 v6, 0x7fffff80
	s_waitcnt vmcnt(3)
	v_cvt_f16_f32_e32 v8, v8
	s_waitcnt vmcnt(2)
	v_cvt_f16_f32_e32 v9, v9
	s_waitcnt vmcnt(1)
	v_cvt_f16_f32_e32 v10, v10
	s_waitcnt vmcnt(0)
	v_cvt_f16_f32_e32 v11, v11
	ds_write_b16 v3, v8
	ds_write_b16 v3, v9 offset:64
	ds_write_b16 v3, v10 offset:128
	ds_write_b16 v3, v11 offset:192
	s_waitcnt lgkmcnt(0)
	s_barrier
	ds_read_b64 v[10:11], v1
	v_mov_b32_e32 v9, 0xffffff80
	v_cndmask_b32_e64 v8, v6, v9, s[20:21]
	v_add_u32_e32 v8, v20, v8
	s_and_b64 s[20:21], s[18:19], s[10:11]
	s_waitcnt lgkmcnt(0)
	buffer_store_dwordx2 v[10:11], v8, s[52:55], 0 offen
	s_waitcnt lgkmcnt(0)
	s_barrier
	buffer_load_dword v10, off, s[0:3], 0 offset:2368
	buffer_load_dword v11, off, s[0:3], 0 offset:2372
	buffer_load_dword v12, off, s[0:3], 0 offset:2376
	buffer_load_dword v13, off, s[0:3], 0 offset:2380
	v_mov_b32_e32 v8, 0x7fffff40
	s_waitcnt vmcnt(3)
	v_cvt_f16_f32_e32 v10, v10
	s_waitcnt vmcnt(2)
	v_cvt_f16_f32_e32 v11, v11
	s_waitcnt vmcnt(1)
	v_cvt_f16_f32_e32 v12, v12
	s_waitcnt vmcnt(0)
	v_cvt_f16_f32_e32 v13, v13
	ds_write_b16 v3, v10
	ds_write_b16 v3, v11 offset:64
	ds_write_b16 v3, v12 offset:128
	ds_write_b16 v3, v13 offset:192
	s_waitcnt lgkmcnt(0)
	s_barrier
	ds_read_b64 v[12:13], v1
	v_mov_b32_e32 v11, 0xffffff40
	v_cndmask_b32_e64 v10, v8, v11, s[20:21]
	v_add_u32_e32 v10, v20, v10
	s_and_b64 s[20:21], s[18:19], s[8:9]
	s_waitcnt lgkmcnt(0)
	buffer_store_dwordx2 v[12:13], v10, s[52:55], 0 offen
	s_waitcnt lgkmcnt(0)
	s_barrier
	buffer_load_dword v12, off, s[0:3], 0 offset:2352
	buffer_load_dword v13, off, s[0:3], 0 offset:2356
	buffer_load_dword v14, off, s[0:3], 0 offset:2360
	buffer_load_dword v15, off, s[0:3], 0 offset:2364
	v_mov_b32_e32 v10, 0x7fffff00
	s_waitcnt vmcnt(3)
	v_cvt_f16_f32_e32 v12, v12
	s_waitcnt vmcnt(2)
	v_cvt_f16_f32_e32 v13, v13
	s_waitcnt vmcnt(1)
	v_cvt_f16_f32_e32 v14, v14
	s_waitcnt vmcnt(0)
	v_cvt_f16_f32_e32 v15, v15
	ds_write_b16 v3, v12
	ds_write_b16 v3, v13 offset:64
	ds_write_b16 v3, v14 offset:128
	ds_write_b16 v3, v15 offset:192
	s_waitcnt lgkmcnt(0)
	s_barrier
	ds_read_b64 v[14:15], v1
	v_mov_b32_e32 v13, 0xffffff00
	v_cndmask_b32_e64 v12, v10, v13, s[20:21]
	v_add_u32_e32 v12, v20, v12
	s_and_b64 s[20:21], s[18:19], s[6:7]
	s_waitcnt lgkmcnt(0)
	buffer_store_dwordx2 v[14:15], v12, s[52:55], 0 offen
	s_waitcnt lgkmcnt(0)
	s_barrier
	buffer_load_dword v14, off, s[0:3], 0 offset:2336
	buffer_load_dword v15, off, s[0:3], 0 offset:2340
	buffer_load_dword v16, off, s[0:3], 0 offset:2344
	buffer_load_dword v17, off, s[0:3], 0 offset:2348
	v_mov_b32_e32 v12, 0x7ffffec0
	s_waitcnt vmcnt(3)
	v_cvt_f16_f32_e32 v14, v14
	s_waitcnt vmcnt(2)
	v_cvt_f16_f32_e32 v15, v15
	s_waitcnt vmcnt(1)
	v_cvt_f16_f32_e32 v16, v16
	s_waitcnt vmcnt(0)
	v_cvt_f16_f32_e32 v17, v17
	ds_write_b16 v3, v14
	ds_write_b16 v3, v15 offset:64
	ds_write_b16 v3, v16 offset:128
	ds_write_b16 v3, v17 offset:192
	s_waitcnt lgkmcnt(0)
	s_barrier
	ds_read_b64 v[16:17], v1
	v_mov_b32_e32 v15, 0xfffffec0
	v_cndmask_b32_e64 v14, v12, v15, s[20:21]
	v_add_u32_e32 v14, v20, v14
	s_and_b64 s[20:21], s[18:19], s[4:5]
	s_waitcnt lgkmcnt(0)
	buffer_store_dwordx2 v[16:17], v14, s[52:55], 0 offen
	s_waitcnt lgkmcnt(0)
	s_barrier
	buffer_load_dword v16, off, s[0:3], 0 offset:2320
	buffer_load_dword v17, off, s[0:3], 0 offset:2324
	;; [unrolled: 1-line block ×4, first 2 shown]
	v_mov_b32_e32 v14, 0x7ffffe80
	s_and_b64 s[18:19], vcc, s[18:19]
	s_waitcnt vmcnt(3)
	v_cvt_f16_f32_e32 v16, v16
	s_waitcnt vmcnt(2)
	v_cvt_f16_f32_e32 v17, v17
	;; [unrolled: 2-line block ×4, first 2 shown]
	ds_write_b16 v3, v16
	ds_write_b16 v3, v17 offset:64
	ds_write_b16 v3, v18 offset:128
	;; [unrolled: 1-line block ×3, first 2 shown]
	s_waitcnt lgkmcnt(0)
	s_barrier
	ds_read_b64 v[18:19], v1
	v_mov_b32_e32 v16, 0xfffffe80
	v_cndmask_b32_e64 v17, v14, v16, s[20:21]
	v_add_u32_e32 v17, v20, v17
	s_waitcnt lgkmcnt(0)
	buffer_store_dwordx2 v[18:19], v17, s[52:55], 0 offen
	s_waitcnt lgkmcnt(0)
	s_barrier
	buffer_load_dword v17, off, s[0:3], 0 offset:2304
	buffer_load_dword v18, off, s[0:3], 0 offset:2308
	;; [unrolled: 1-line block ×4, first 2 shown]
	s_waitcnt vmcnt(3)
	v_cvt_f16_f32_e32 v17, v17
	s_waitcnt vmcnt(2)
	v_cvt_f16_f32_e32 v18, v18
	;; [unrolled: 2-line block ×4, first 2 shown]
	ds_write_b16 v3, v17
	ds_write_b16 v3, v18 offset:64
	ds_write_b16 v3, v19 offset:128
	;; [unrolled: 1-line block ×3, first 2 shown]
	s_waitcnt lgkmcnt(0)
	s_barrier
	ds_read_b64 v[18:19], v1
	v_cndmask_b32_e64 v17, v2, 0, s[18:19]
	v_lshl_add_u32 v17, v0, 1, v17
	v_cmp_gt_i32_e64 s[18:19], s48, v21
	s_and_b64 s[20:21], vcc, s[18:19]
	s_waitcnt lgkmcnt(0)
	buffer_store_dwordx2 v[18:19], v17, s[52:55], 0 offen
	s_waitcnt lgkmcnt(0)
	s_barrier
	buffer_load_dword v17, off, s[0:3], 0 offset:2432
	buffer_load_dword v18, off, s[0:3], 0 offset:2436
	;; [unrolled: 1-line block ×4, first 2 shown]
	s_waitcnt vmcnt(3)
	v_cvt_f16_f32_e32 v17, v17
	s_waitcnt vmcnt(2)
	v_cvt_f16_f32_e32 v18, v18
	;; [unrolled: 2-line block ×4, first 2 shown]
	ds_write_b16 v3, v17
	ds_write_b16 v3, v18 offset:64
	ds_write_b16 v3, v19 offset:128
	;; [unrolled: 1-line block ×3, first 2 shown]
	s_waitcnt lgkmcnt(0)
	s_barrier
	ds_read_b64 v[18:19], v1
	v_cndmask_b32_e64 v17, v2, 0, s[20:21]
	v_add_u32_e32 v0, v31, v17
	s_and_b64 s[20:21], s[18:19], s[4:5]
	s_waitcnt lgkmcnt(0)
	buffer_store_dwordx2 v[18:19], v0, s[52:55], 0 offen
	s_waitcnt lgkmcnt(0)
	s_barrier
	buffer_load_dword v0, off, s[0:3], 0 offset:2448
	buffer_load_dword v17, off, s[0:3], 0 offset:2452
	;; [unrolled: 1-line block ×4, first 2 shown]
	s_waitcnt vmcnt(3)
	v_cvt_f16_f32_e32 v0, v0
	s_waitcnt vmcnt(2)
	v_cvt_f16_f32_e32 v17, v17
	s_waitcnt vmcnt(1)
	v_cvt_f16_f32_e32 v18, v18
	s_waitcnt vmcnt(0)
	v_cvt_f16_f32_e32 v19, v19
	ds_write_b16 v3, v0
	ds_write_b16 v3, v17 offset:64
	ds_write_b16 v3, v18 offset:128
	ds_write_b16 v3, v19 offset:192
	s_waitcnt lgkmcnt(0)
	s_barrier
	ds_read_b64 v[18:19], v1
	v_mov_b32_e32 v17, 0x80000040
	v_cndmask_b32_e64 v0, v17, 64, s[20:21]
	v_add_u32_e32 v0, v31, v0
	s_and_b64 s[20:21], s[18:19], s[6:7]
	s_waitcnt lgkmcnt(0)
	buffer_store_dwordx2 v[18:19], v0, s[52:55], 0 offen
	s_waitcnt lgkmcnt(0)
	s_barrier
	buffer_load_dword v18, off, s[0:3], 0 offset:2464
	buffer_load_dword v19, off, s[0:3], 0 offset:2468
	buffer_load_dword v20, off, s[0:3], 0 offset:2472
	buffer_load_dword v21, off, s[0:3], 0 offset:2476
	v_mov_b32_e32 v0, 0x80000080
	s_waitcnt vmcnt(3)
	v_cvt_f16_f32_e32 v18, v18
	s_waitcnt vmcnt(2)
	v_cvt_f16_f32_e32 v19, v19
	s_waitcnt vmcnt(1)
	v_cvt_f16_f32_e32 v20, v20
	s_waitcnt vmcnt(0)
	v_cvt_f16_f32_e32 v21, v21
	ds_write_b16 v3, v18
	ds_write_b16 v3, v19 offset:64
	ds_write_b16 v3, v20 offset:128
	ds_write_b16 v3, v21 offset:192
	s_waitcnt lgkmcnt(0)
	s_barrier
	ds_read_b64 v[20:21], v1
	v_mov_b32_e32 v19, 0x80
	v_cndmask_b32_e64 v18, v0, v19, s[20:21]
	v_add_u32_e32 v18, v31, v18
	s_and_b64 s[20:21], s[18:19], s[8:9]
	s_waitcnt lgkmcnt(0)
	buffer_store_dwordx2 v[20:21], v18, s[52:55], 0 offen
	s_waitcnt lgkmcnt(0)
	s_barrier
	buffer_load_dword v20, off, s[0:3], 0 offset:2480
	buffer_load_dword v21, off, s[0:3], 0 offset:2484
	buffer_load_dword v22, off, s[0:3], 0 offset:2488
	buffer_load_dword v23, off, s[0:3], 0 offset:2492
	v_mov_b32_e32 v18, 0x800000c0
	;; [unrolled: 28-line block ×5, first 2 shown]
	s_and_b64 s[18:19], s[18:19], s[16:17]
	s_waitcnt vmcnt(3)
	v_cvt_f16_f32_e32 v26, v26
	s_waitcnt vmcnt(2)
	v_cvt_f16_f32_e32 v27, v27
	;; [unrolled: 2-line block ×4, first 2 shown]
	ds_write_b16 v3, v26
	ds_write_b16 v3, v27 offset:64
	ds_write_b16 v3, v28 offset:128
	;; [unrolled: 1-line block ×3, first 2 shown]
	s_waitcnt lgkmcnt(0)
	s_barrier
	ds_read_b64 v[28:29], v1
	v_mov_b32_e32 v26, 0x180
	v_cndmask_b32_e64 v27, v24, v26, s[20:21]
	v_add_u32_e32 v27, v31, v27
	s_waitcnt lgkmcnt(0)
	buffer_store_dwordx2 v[28:29], v27, s[52:55], 0 offen
	s_waitcnt lgkmcnt(0)
	s_barrier
	buffer_load_dword v27, off, s[0:3], 0 offset:2544
	buffer_load_dword v28, off, s[0:3], 0 offset:2548
	;; [unrolled: 1-line block ×4, first 2 shown]
	s_waitcnt vmcnt(3)
	v_cvt_f16_f32_e32 v27, v27
	s_waitcnt vmcnt(2)
	v_cvt_f16_f32_e32 v28, v28
	;; [unrolled: 2-line block ×4, first 2 shown]
	ds_write_b16 v3, v27
	ds_write_b16 v3, v28 offset:64
	ds_write_b16 v3, v29 offset:128
	;; [unrolled: 1-line block ×3, first 2 shown]
	s_waitcnt lgkmcnt(0)
	s_barrier
	ds_read_b64 v[28:29], v1
	v_cndmask_b32_e64 v27, v2, 0, s[18:19]
	v_add_u32_e32 v31, 0xe0, v30
	v_lshl_add_u32 v27, v31, 1, v27
	v_cmp_gt_i32_e64 s[18:19], s48, v33
	s_waitcnt lgkmcnt(0)
	buffer_store_dwordx2 v[28:29], v27, s[52:55], 0 offen
	s_waitcnt lgkmcnt(0)
	s_barrier
	buffer_load_dword v27, off, s[0:3], 0 offset:2672
	buffer_load_dword v28, off, s[0:3], 0 offset:2676
	;; [unrolled: 1-line block ×4, first 2 shown]
	s_and_b64 s[20:21], s[18:19], s[16:17]
	v_add_lshl_u32 v31, v31, s22, 1
	v_add_u32_e32 v30, s22, v30
	v_or_b32_e32 v33, 0xa0, v4
	s_waitcnt vmcnt(3)
	v_cvt_f16_f32_e32 v27, v27
	s_waitcnt vmcnt(2)
	v_cvt_f16_f32_e32 v28, v28
	s_waitcnt vmcnt(1)
	v_cvt_f16_f32_e32 v29, v29
	s_waitcnt vmcnt(0)
	v_cvt_f16_f32_e32 v32, v32
	ds_write_b16 v3, v27
	ds_write_b16 v3, v28 offset:64
	ds_write_b16 v3, v29 offset:128
	ds_write_b16 v3, v32 offset:192
	s_waitcnt lgkmcnt(0)
	s_barrier
	ds_read_b64 v[28:29], v1
	v_cndmask_b32_e64 v27, v2, 0, s[20:21]
	v_add_u32_e32 v27, v31, v27
	s_and_b64 s[20:21], s[18:19], s[14:15]
	s_waitcnt lgkmcnt(0)
	buffer_store_dwordx2 v[28:29], v27, s[52:55], 0 offen
	s_waitcnt lgkmcnt(0)
	s_barrier
	buffer_load_dword v27, off, s[0:3], 0 offset:2656
	buffer_load_dword v28, off, s[0:3], 0 offset:2660
	buffer_load_dword v29, off, s[0:3], 0 offset:2664
	buffer_load_dword v32, off, s[0:3], 0 offset:2668
	s_waitcnt vmcnt(3)
	v_cvt_f16_f32_e32 v27, v27
	s_waitcnt vmcnt(2)
	v_cvt_f16_f32_e32 v28, v28
	s_waitcnt vmcnt(1)
	v_cvt_f16_f32_e32 v29, v29
	s_waitcnt vmcnt(0)
	v_cvt_f16_f32_e32 v32, v32
	ds_write_b16 v3, v27
	ds_write_b16 v3, v28 offset:64
	ds_write_b16 v3, v29 offset:128
	ds_write_b16 v3, v32 offset:192
	s_waitcnt lgkmcnt(0)
	s_barrier
	ds_read_b64 v[28:29], v1
	v_cndmask_b32_e64 v27, v5, v7, s[20:21]
	v_add_u32_e32 v27, v31, v27
	s_and_b64 s[20:21], s[18:19], s[12:13]
	s_waitcnt lgkmcnt(0)
	buffer_store_dwordx2 v[28:29], v27, s[52:55], 0 offen
	s_waitcnt lgkmcnt(0)
	s_barrier
	buffer_load_dword v27, off, s[0:3], 0 offset:2640
	buffer_load_dword v28, off, s[0:3], 0 offset:2644
	buffer_load_dword v29, off, s[0:3], 0 offset:2648
	buffer_load_dword v32, off, s[0:3], 0 offset:2652
	;; [unrolled: 26-line block ×5, first 2 shown]
	s_waitcnt vmcnt(3)
	v_cvt_f16_f32_e32 v27, v27
	s_waitcnt vmcnt(2)
	v_cvt_f16_f32_e32 v28, v28
	s_waitcnt vmcnt(1)
	v_cvt_f16_f32_e32 v29, v29
	s_waitcnt vmcnt(0)
	v_cvt_f16_f32_e32 v32, v32
	ds_write_b16 v3, v27
	ds_write_b16 v3, v28 offset:64
	ds_write_b16 v3, v29 offset:128
	;; [unrolled: 1-line block ×3, first 2 shown]
	s_waitcnt lgkmcnt(0)
	s_barrier
	ds_read_b64 v[28:29], v1
	v_cndmask_b32_e64 v27, v12, v15, s[20:21]
	v_add_u32_e32 v27, v31, v27
	s_and_b64 s[20:21], s[18:19], s[4:5]
	s_and_b64 s[18:19], vcc, s[18:19]
	s_waitcnt lgkmcnt(0)
	buffer_store_dwordx2 v[28:29], v27, s[52:55], 0 offen
	s_waitcnt lgkmcnt(0)
	s_barrier
	buffer_load_dword v27, off, s[0:3], 0 offset:2576
	buffer_load_dword v28, off, s[0:3], 0 offset:2580
	buffer_load_dword v29, off, s[0:3], 0 offset:2584
	buffer_load_dword v32, off, s[0:3], 0 offset:2588
	s_waitcnt vmcnt(3)
	v_cvt_f16_f32_e32 v27, v27
	s_waitcnt vmcnt(2)
	v_cvt_f16_f32_e32 v28, v28
	;; [unrolled: 2-line block ×4, first 2 shown]
	ds_write_b16 v3, v27
	ds_write_b16 v3, v28 offset:64
	ds_write_b16 v3, v29 offset:128
	;; [unrolled: 1-line block ×3, first 2 shown]
	s_waitcnt lgkmcnt(0)
	s_barrier
	ds_read_b64 v[28:29], v1
	v_cndmask_b32_e64 v27, v14, v16, s[20:21]
	v_add_u32_e32 v27, v31, v27
	v_or_b32_e32 v32, 0x80, v4
	s_waitcnt lgkmcnt(0)
	buffer_store_dwordx2 v[28:29], v27, s[52:55], 0 offen
	s_waitcnt lgkmcnt(0)
	s_barrier
	buffer_load_dword v27, off, s[0:3], 0 offset:2560
	buffer_load_dword v28, off, s[0:3], 0 offset:2564
	buffer_load_dword v29, off, s[0:3], 0 offset:2568
	buffer_load_dword v31, off, s[0:3], 0 offset:2572
	s_waitcnt vmcnt(3)
	v_cvt_f16_f32_e32 v27, v27
	s_waitcnt vmcnt(2)
	v_cvt_f16_f32_e32 v28, v28
	;; [unrolled: 2-line block ×4, first 2 shown]
	ds_write_b16 v3, v27
	ds_write_b16 v3, v28 offset:64
	ds_write_b16 v3, v29 offset:128
	;; [unrolled: 1-line block ×3, first 2 shown]
	s_waitcnt lgkmcnt(0)
	s_barrier
	ds_read_b64 v[28:29], v1
	v_cndmask_b32_e64 v27, v2, 0, s[18:19]
	v_lshl_add_u32 v27, v30, 1, v27
	v_cmp_gt_i32_e64 s[18:19], s48, v32
	s_and_b64 s[20:21], vcc, s[18:19]
	s_waitcnt lgkmcnt(0)
	buffer_store_dwordx2 v[28:29], v27, s[52:55], 0 offen
	s_waitcnt lgkmcnt(0)
	s_barrier
	buffer_load_dword v27, off, s[0:3], 0 offset:2688
	buffer_load_dword v28, off, s[0:3], 0 offset:2692
	;; [unrolled: 1-line block ×4, first 2 shown]
	v_add_u32_e32 v30, s22, v30
	s_waitcnt vmcnt(3)
	v_cvt_f16_f32_e32 v27, v27
	s_waitcnt vmcnt(2)
	v_cvt_f16_f32_e32 v28, v28
	;; [unrolled: 2-line block ×4, first 2 shown]
	ds_write_b16 v3, v27
	ds_write_b16 v3, v28 offset:64
	ds_write_b16 v3, v29 offset:128
	;; [unrolled: 1-line block ×3, first 2 shown]
	s_waitcnt lgkmcnt(0)
	s_barrier
	ds_read_b64 v[28:29], v1
	v_cndmask_b32_e64 v27, v2, 0, s[20:21]
	v_lshlrev_b32_e32 v31, 1, v30
	v_add_u32_e32 v27, v31, v27
	s_and_b64 s[20:21], s[18:19], s[4:5]
	s_waitcnt lgkmcnt(0)
	buffer_store_dwordx2 v[28:29], v27, s[52:55], 0 offen
	s_waitcnt lgkmcnt(0)
	s_barrier
	buffer_load_dword v27, off, s[0:3], 0 offset:2704
	buffer_load_dword v28, off, s[0:3], 0 offset:2708
	buffer_load_dword v29, off, s[0:3], 0 offset:2712
	buffer_load_dword v32, off, s[0:3], 0 offset:2716
	s_waitcnt vmcnt(3)
	v_cvt_f16_f32_e32 v27, v27
	s_waitcnt vmcnt(2)
	v_cvt_f16_f32_e32 v28, v28
	s_waitcnt vmcnt(1)
	v_cvt_f16_f32_e32 v29, v29
	s_waitcnt vmcnt(0)
	v_cvt_f16_f32_e32 v32, v32
	ds_write_b16 v3, v27
	ds_write_b16 v3, v28 offset:64
	ds_write_b16 v3, v29 offset:128
	ds_write_b16 v3, v32 offset:192
	s_waitcnt lgkmcnt(0)
	s_barrier
	ds_read_b64 v[28:29], v1
	v_cndmask_b32_e64 v27, v17, 64, s[20:21]
	v_add_u32_e32 v27, v31, v27
	s_and_b64 s[20:21], s[18:19], s[6:7]
	s_waitcnt lgkmcnt(0)
	buffer_store_dwordx2 v[28:29], v27, s[52:55], 0 offen
	s_waitcnt lgkmcnt(0)
	s_barrier
	buffer_load_dword v27, off, s[0:3], 0 offset:2720
	buffer_load_dword v28, off, s[0:3], 0 offset:2724
	buffer_load_dword v29, off, s[0:3], 0 offset:2728
	buffer_load_dword v32, off, s[0:3], 0 offset:2732
	s_waitcnt vmcnt(3)
	v_cvt_f16_f32_e32 v27, v27
	s_waitcnt vmcnt(2)
	v_cvt_f16_f32_e32 v28, v28
	s_waitcnt vmcnt(1)
	v_cvt_f16_f32_e32 v29, v29
	s_waitcnt vmcnt(0)
	v_cvt_f16_f32_e32 v32, v32
	ds_write_b16 v3, v27
	ds_write_b16 v3, v28 offset:64
	ds_write_b16 v3, v29 offset:128
	ds_write_b16 v3, v32 offset:192
	s_waitcnt lgkmcnt(0)
	s_barrier
	ds_read_b64 v[28:29], v1
	v_cndmask_b32_e64 v27, v0, v19, s[20:21]
	;; [unrolled: 26-line block ×5, first 2 shown]
	v_add_u32_e32 v27, v31, v27
	s_and_b64 s[20:21], s[18:19], s[14:15]
	s_and_b64 s[18:19], s[18:19], s[16:17]
	s_waitcnt lgkmcnt(0)
	buffer_store_dwordx2 v[28:29], v27, s[52:55], 0 offen
	s_waitcnt lgkmcnt(0)
	s_barrier
	buffer_load_dword v27, off, s[0:3], 0 offset:2784
	buffer_load_dword v28, off, s[0:3], 0 offset:2788
	;; [unrolled: 1-line block ×4, first 2 shown]
	s_waitcnt vmcnt(3)
	v_cvt_f16_f32_e32 v27, v27
	s_waitcnt vmcnt(2)
	v_cvt_f16_f32_e32 v28, v28
	;; [unrolled: 2-line block ×4, first 2 shown]
	ds_write_b16 v3, v27
	ds_write_b16 v3, v28 offset:64
	ds_write_b16 v3, v29 offset:128
	;; [unrolled: 1-line block ×3, first 2 shown]
	s_waitcnt lgkmcnt(0)
	s_barrier
	ds_read_b64 v[28:29], v1
	v_cndmask_b32_e64 v27, v24, v26, s[20:21]
	v_add_u32_e32 v27, v31, v27
	s_waitcnt lgkmcnt(0)
	buffer_store_dwordx2 v[28:29], v27, s[52:55], 0 offen
	s_waitcnt lgkmcnt(0)
	s_barrier
	buffer_load_dword v27, off, s[0:3], 0 offset:2800
	buffer_load_dword v28, off, s[0:3], 0 offset:2804
	;; [unrolled: 1-line block ×4, first 2 shown]
	s_waitcnt vmcnt(3)
	v_cvt_f16_f32_e32 v27, v27
	s_waitcnt vmcnt(2)
	v_cvt_f16_f32_e32 v28, v28
	;; [unrolled: 2-line block ×4, first 2 shown]
	ds_write_b16 v3, v27
	ds_write_b16 v3, v28 offset:64
	ds_write_b16 v3, v29 offset:128
	;; [unrolled: 1-line block ×3, first 2 shown]
	s_waitcnt lgkmcnt(0)
	s_barrier
	ds_read_b64 v[28:29], v1
	v_cndmask_b32_e64 v27, v2, 0, s[18:19]
	v_add_u32_e32 v31, 0xe0, v30
	v_lshl_add_u32 v27, v31, 1, v27
	v_cmp_gt_i32_e64 s[18:19], s48, v33
	s_waitcnt lgkmcnt(0)
	buffer_store_dwordx2 v[28:29], v27, s[52:55], 0 offen
	s_waitcnt lgkmcnt(0)
	s_barrier
	buffer_load_dword v27, off, s[0:3], 0 offset:2928
	buffer_load_dword v28, off, s[0:3], 0 offset:2932
	;; [unrolled: 1-line block ×4, first 2 shown]
	s_and_b64 s[20:21], s[18:19], s[16:17]
	v_add_lshl_u32 v31, v31, s22, 1
	v_add_u32_e32 v30, s22, v30
	s_waitcnt vmcnt(3)
	v_cvt_f16_f32_e32 v27, v27
	s_waitcnt vmcnt(2)
	v_cvt_f16_f32_e32 v28, v28
	s_waitcnt vmcnt(1)
	v_cvt_f16_f32_e32 v29, v29
	s_waitcnt vmcnt(0)
	v_cvt_f16_f32_e32 v32, v32
	ds_write_b16 v3, v27
	ds_write_b16 v3, v28 offset:64
	ds_write_b16 v3, v29 offset:128
	ds_write_b16 v3, v32 offset:192
	s_waitcnt lgkmcnt(0)
	s_barrier
	ds_read_b64 v[28:29], v1
	v_cndmask_b32_e64 v27, v2, 0, s[20:21]
	v_add_u32_e32 v27, v31, v27
	s_and_b64 s[20:21], s[18:19], s[14:15]
	s_waitcnt lgkmcnt(0)
	buffer_store_dwordx2 v[28:29], v27, s[52:55], 0 offen
	s_waitcnt lgkmcnt(0)
	s_barrier
	buffer_load_dword v27, off, s[0:3], 0 offset:2912
	buffer_load_dword v28, off, s[0:3], 0 offset:2916
	buffer_load_dword v29, off, s[0:3], 0 offset:2920
	buffer_load_dword v32, off, s[0:3], 0 offset:2924
	s_waitcnt vmcnt(3)
	v_cvt_f16_f32_e32 v27, v27
	s_waitcnt vmcnt(2)
	v_cvt_f16_f32_e32 v28, v28
	s_waitcnt vmcnt(1)
	v_cvt_f16_f32_e32 v29, v29
	s_waitcnt vmcnt(0)
	v_cvt_f16_f32_e32 v32, v32
	ds_write_b16 v3, v27
	ds_write_b16 v3, v28 offset:64
	ds_write_b16 v3, v29 offset:128
	ds_write_b16 v3, v32 offset:192
	s_waitcnt lgkmcnt(0)
	s_barrier
	ds_read_b64 v[28:29], v1
	v_cndmask_b32_e64 v27, v5, v7, s[20:21]
	v_add_u32_e32 v27, v31, v27
	s_and_b64 s[20:21], s[18:19], s[12:13]
	s_waitcnt lgkmcnt(0)
	buffer_store_dwordx2 v[28:29], v27, s[52:55], 0 offen
	s_waitcnt lgkmcnt(0)
	s_barrier
	buffer_load_dword v27, off, s[0:3], 0 offset:2896
	buffer_load_dword v28, off, s[0:3], 0 offset:2900
	buffer_load_dword v29, off, s[0:3], 0 offset:2904
	buffer_load_dword v32, off, s[0:3], 0 offset:2908
	s_waitcnt vmcnt(3)
	v_cvt_f16_f32_e32 v27, v27
	s_waitcnt vmcnt(2)
	v_cvt_f16_f32_e32 v28, v28
	s_waitcnt vmcnt(1)
	v_cvt_f16_f32_e32 v29, v29
	s_waitcnt vmcnt(0)
	v_cvt_f16_f32_e32 v32, v32
	ds_write_b16 v3, v27
	ds_write_b16 v3, v28 offset:64
	ds_write_b16 v3, v29 offset:128
	ds_write_b16 v3, v32 offset:192
	s_waitcnt lgkmcnt(0)
	s_barrier
	ds_read_b64 v[28:29], v1
	v_cndmask_b32_e64 v27, v6, v9, s[20:21]
	v_add_u32_e32 v27, v31, v27
	s_and_b64 s[20:21], s[18:19], s[10:11]
	s_waitcnt lgkmcnt(0)
	buffer_store_dwordx2 v[28:29], v27, s[52:55], 0 offen
	s_waitcnt lgkmcnt(0)
	s_barrier
	buffer_load_dword v27, off, s[0:3], 0 offset:2880
	buffer_load_dword v28, off, s[0:3], 0 offset:2884
	buffer_load_dword v29, off, s[0:3], 0 offset:2888
	buffer_load_dword v32, off, s[0:3], 0 offset:2892
	s_waitcnt vmcnt(3)
	v_cvt_f16_f32_e32 v27, v27
	s_waitcnt vmcnt(2)
	v_cvt_f16_f32_e32 v28, v28
	s_waitcnt vmcnt(1)
	v_cvt_f16_f32_e32 v29, v29
	s_waitcnt vmcnt(0)
	v_cvt_f16_f32_e32 v32, v32
	ds_write_b16 v3, v27
	ds_write_b16 v3, v28 offset:64
	ds_write_b16 v3, v29 offset:128
	ds_write_b16 v3, v32 offset:192
	s_waitcnt lgkmcnt(0)
	s_barrier
	ds_read_b64 v[28:29], v1
	v_cndmask_b32_e64 v27, v8, v11, s[20:21]
	v_add_u32_e32 v27, v31, v27
	s_and_b64 s[20:21], s[18:19], s[8:9]
	s_waitcnt lgkmcnt(0)
	buffer_store_dwordx2 v[28:29], v27, s[52:55], 0 offen
	s_waitcnt lgkmcnt(0)
	s_barrier
	buffer_load_dword v27, off, s[0:3], 0 offset:2864
	buffer_load_dword v28, off, s[0:3], 0 offset:2868
	buffer_load_dword v29, off, s[0:3], 0 offset:2872
	buffer_load_dword v32, off, s[0:3], 0 offset:2876
	s_waitcnt vmcnt(3)
	v_cvt_f16_f32_e32 v27, v27
	s_waitcnt vmcnt(2)
	v_cvt_f16_f32_e32 v28, v28
	s_waitcnt vmcnt(1)
	v_cvt_f16_f32_e32 v29, v29
	s_waitcnt vmcnt(0)
	v_cvt_f16_f32_e32 v32, v32
	ds_write_b16 v3, v27
	ds_write_b16 v3, v28 offset:64
	ds_write_b16 v3, v29 offset:128
	ds_write_b16 v3, v32 offset:192
	s_waitcnt lgkmcnt(0)
	s_barrier
	ds_read_b64 v[28:29], v1
	v_cndmask_b32_e64 v27, v10, v13, s[20:21]
	v_add_u32_e32 v27, v31, v27
	s_and_b64 s[20:21], s[18:19], s[6:7]
	s_waitcnt lgkmcnt(0)
	buffer_store_dwordx2 v[28:29], v27, s[52:55], 0 offen
	s_waitcnt lgkmcnt(0)
	s_barrier
	buffer_load_dword v27, off, s[0:3], 0 offset:2848
	buffer_load_dword v28, off, s[0:3], 0 offset:2852
	buffer_load_dword v29, off, s[0:3], 0 offset:2856
	buffer_load_dword v32, off, s[0:3], 0 offset:2860
	s_waitcnt vmcnt(3)
	v_cvt_f16_f32_e32 v27, v27
	s_waitcnt vmcnt(2)
	v_cvt_f16_f32_e32 v28, v28
	;; [unrolled: 2-line block ×4, first 2 shown]
	ds_write_b16 v3, v27
	ds_write_b16 v3, v28 offset:64
	ds_write_b16 v3, v29 offset:128
	;; [unrolled: 1-line block ×3, first 2 shown]
	s_waitcnt lgkmcnt(0)
	s_barrier
	ds_read_b64 v[28:29], v1
	v_cndmask_b32_e64 v27, v12, v15, s[20:21]
	v_add_u32_e32 v27, v31, v27
	s_and_b64 s[20:21], s[18:19], s[4:5]
	s_and_b64 s[18:19], vcc, s[18:19]
	s_waitcnt lgkmcnt(0)
	buffer_store_dwordx2 v[28:29], v27, s[52:55], 0 offen
	s_waitcnt lgkmcnt(0)
	s_barrier
	buffer_load_dword v27, off, s[0:3], 0 offset:2832
	buffer_load_dword v28, off, s[0:3], 0 offset:2836
	;; [unrolled: 1-line block ×4, first 2 shown]
	s_waitcnt vmcnt(3)
	v_cvt_f16_f32_e32 v27, v27
	s_waitcnt vmcnt(2)
	v_cvt_f16_f32_e32 v28, v28
	;; [unrolled: 2-line block ×4, first 2 shown]
	ds_write_b16 v3, v27
	ds_write_b16 v3, v28 offset:64
	ds_write_b16 v3, v29 offset:128
	;; [unrolled: 1-line block ×3, first 2 shown]
	s_waitcnt lgkmcnt(0)
	s_barrier
	ds_read_b64 v[28:29], v1
	v_cndmask_b32_e64 v27, v14, v16, s[20:21]
	v_add_u32_e32 v27, v31, v27
	v_or_b32_e32 v32, 0xc0, v4
	v_or_b32_e32 v4, 0xe0, v4
	s_waitcnt lgkmcnt(0)
	buffer_store_dwordx2 v[28:29], v27, s[52:55], 0 offen
	s_waitcnt lgkmcnt(0)
	s_barrier
	buffer_load_dword v27, off, s[0:3], 0 offset:2816
	buffer_load_dword v28, off, s[0:3], 0 offset:2820
	;; [unrolled: 1-line block ×4, first 2 shown]
	s_waitcnt vmcnt(3)
	v_cvt_f16_f32_e32 v27, v27
	s_waitcnt vmcnt(2)
	v_cvt_f16_f32_e32 v28, v28
	;; [unrolled: 2-line block ×4, first 2 shown]
	ds_write_b16 v3, v27
	ds_write_b16 v3, v28 offset:64
	ds_write_b16 v3, v29 offset:128
	;; [unrolled: 1-line block ×3, first 2 shown]
	s_waitcnt lgkmcnt(0)
	s_barrier
	ds_read_b64 v[28:29], v1
	v_cndmask_b32_e64 v27, v2, 0, s[18:19]
	v_lshl_add_u32 v27, v30, 1, v27
	v_cmp_gt_i32_e64 s[18:19], s48, v32
	s_and_b64 s[20:21], vcc, s[18:19]
	s_waitcnt lgkmcnt(0)
	buffer_store_dwordx2 v[28:29], v27, s[52:55], 0 offen
	s_waitcnt lgkmcnt(0)
	s_barrier
	buffer_load_dword v27, off, s[0:3], 0 offset:2944
	buffer_load_dword v28, off, s[0:3], 0 offset:2948
	;; [unrolled: 1-line block ×4, first 2 shown]
	v_add_u32_e32 v30, s22, v30
	s_waitcnt vmcnt(3)
	v_cvt_f16_f32_e32 v27, v27
	s_waitcnt vmcnt(2)
	v_cvt_f16_f32_e32 v28, v28
	;; [unrolled: 2-line block ×4, first 2 shown]
	ds_write_b16 v3, v27
	ds_write_b16 v3, v28 offset:64
	ds_write_b16 v3, v29 offset:128
	;; [unrolled: 1-line block ×3, first 2 shown]
	s_waitcnt lgkmcnt(0)
	s_barrier
	ds_read_b64 v[28:29], v1
	v_cndmask_b32_e64 v27, v2, 0, s[20:21]
	v_lshlrev_b32_e32 v31, 1, v30
	v_add_u32_e32 v27, v31, v27
	s_and_b64 s[20:21], s[18:19], s[4:5]
	s_waitcnt lgkmcnt(0)
	buffer_store_dwordx2 v[28:29], v27, s[52:55], 0 offen
	s_waitcnt lgkmcnt(0)
	s_barrier
	buffer_load_dword v27, off, s[0:3], 0 offset:2960
	buffer_load_dword v28, off, s[0:3], 0 offset:2964
	;; [unrolled: 1-line block ×4, first 2 shown]
	v_cndmask_b32_e64 v17, v17, 64, s[20:21]
	v_add_u32_e32 v17, v31, v17
	s_and_b64 s[20:21], s[18:19], s[6:7]
	v_cndmask_b32_e64 v0, v0, v19, s[20:21]
	v_add_u32_e32 v0, v31, v0
	s_and_b64 s[20:21], s[18:19], s[8:9]
	s_waitcnt vmcnt(3)
	v_cvt_f16_f32_e32 v27, v27
	s_waitcnt vmcnt(2)
	v_cvt_f16_f32_e32 v28, v28
	;; [unrolled: 2-line block ×4, first 2 shown]
	ds_write_b16 v3, v27
	ds_write_b16 v3, v28 offset:64
	ds_write_b16 v3, v29 offset:128
	;; [unrolled: 1-line block ×3, first 2 shown]
	s_waitcnt lgkmcnt(0)
	s_barrier
	ds_read_b64 v[28:29], v1
	s_waitcnt lgkmcnt(0)
	buffer_store_dwordx2 v[28:29], v17, s[52:55], 0 offen
	s_waitcnt lgkmcnt(0)
	s_barrier
	buffer_load_dword v17, off, s[0:3], 0 offset:2976
	buffer_load_dword v27, off, s[0:3], 0 offset:2980
	;; [unrolled: 1-line block ×4, first 2 shown]
	s_waitcnt vmcnt(3)
	v_cvt_f16_f32_e32 v17, v17
	s_waitcnt vmcnt(2)
	v_cvt_f16_f32_e32 v27, v27
	;; [unrolled: 2-line block ×4, first 2 shown]
	ds_write_b16 v3, v17
	ds_write_b16 v3, v27 offset:64
	ds_write_b16 v3, v28 offset:128
	;; [unrolled: 1-line block ×3, first 2 shown]
	s_waitcnt lgkmcnt(0)
	s_barrier
	ds_read_b64 v[28:29], v1
	s_waitcnt lgkmcnt(0)
	buffer_store_dwordx2 v[28:29], v0, s[52:55], 0 offen
	s_waitcnt lgkmcnt(0)
	s_barrier
	buffer_load_dword v0, off, s[0:3], 0 offset:2992
	buffer_load_dword v17, off, s[0:3], 0 offset:2996
	buffer_load_dword v19, off, s[0:3], 0 offset:3000
	buffer_load_dword v27, off, s[0:3], 0 offset:3004
	s_waitcnt vmcnt(3)
	v_cvt_f16_f32_e32 v0, v0
	s_waitcnt vmcnt(2)
	v_cvt_f16_f32_e32 v17, v17
	s_waitcnt vmcnt(1)
	v_cvt_f16_f32_e32 v19, v19
	s_waitcnt vmcnt(0)
	v_cvt_f16_f32_e32 v27, v27
	ds_write_b16 v3, v0
	ds_write_b16 v3, v17 offset:64
	ds_write_b16 v3, v19 offset:128
	ds_write_b16 v3, v27 offset:192
	s_waitcnt lgkmcnt(0)
	s_barrier
	ds_read_b64 v[28:29], v1
	v_cndmask_b32_e64 v0, v18, v21, s[20:21]
	v_add_u32_e32 v0, v31, v0
	s_and_b64 s[20:21], s[18:19], s[10:11]
	s_waitcnt lgkmcnt(0)
	buffer_store_dwordx2 v[28:29], v0, s[52:55], 0 offen
	s_waitcnt lgkmcnt(0)
	s_barrier
	buffer_load_dword v0, off, s[0:3], 0 offset:3008
	buffer_load_dword v17, off, s[0:3], 0 offset:3012
	buffer_load_dword v18, off, s[0:3], 0 offset:3016
	buffer_load_dword v19, off, s[0:3], 0 offset:3020
	s_waitcnt vmcnt(3)
	v_cvt_f16_f32_e32 v0, v0
	s_waitcnt vmcnt(2)
	v_cvt_f16_f32_e32 v17, v17
	s_waitcnt vmcnt(1)
	v_cvt_f16_f32_e32 v18, v18
	s_waitcnt vmcnt(0)
	v_cvt_f16_f32_e32 v19, v19
	ds_write_b16 v3, v0
	ds_write_b16 v3, v17 offset:64
	ds_write_b16 v3, v18 offset:128
	ds_write_b16 v3, v19 offset:192
	s_waitcnt lgkmcnt(0)
	s_barrier
	ds_read_b64 v[18:19], v1
	v_cndmask_b32_e64 v0, v20, v23, s[20:21]
	v_add_u32_e32 v0, v31, v0
	s_and_b64 s[20:21], s[18:19], s[12:13]
	;; [unrolled: 26-line block ×3, first 2 shown]
	s_and_b64 s[18:19], s[18:19], s[16:17]
	s_waitcnt lgkmcnt(0)
	buffer_store_dwordx2 v[18:19], v0, s[52:55], 0 offen
	s_waitcnt lgkmcnt(0)
	s_barrier
	buffer_load_dword v0, off, s[0:3], 0 offset:3040
	buffer_load_dword v17, off, s[0:3], 0 offset:3044
	;; [unrolled: 1-line block ×4, first 2 shown]
	s_waitcnt vmcnt(3)
	v_cvt_f16_f32_e32 v0, v0
	s_waitcnt vmcnt(2)
	v_cvt_f16_f32_e32 v17, v17
	;; [unrolled: 2-line block ×4, first 2 shown]
	ds_write_b16 v3, v0
	ds_write_b16 v3, v17 offset:64
	ds_write_b16 v3, v18 offset:128
	;; [unrolled: 1-line block ×3, first 2 shown]
	s_waitcnt lgkmcnt(0)
	s_barrier
	ds_read_b64 v[18:19], v1
	v_cndmask_b32_e64 v0, v24, v26, s[20:21]
	v_add_u32_e32 v0, v31, v0
	s_waitcnt lgkmcnt(0)
	buffer_store_dwordx2 v[18:19], v0, s[52:55], 0 offen
	s_waitcnt lgkmcnt(0)
	s_barrier
	buffer_load_dword v0, off, s[0:3], 0 offset:3056
	buffer_load_dword v17, off, s[0:3], 0 offset:3060
	;; [unrolled: 1-line block ×4, first 2 shown]
	s_waitcnt vmcnt(3)
	v_cvt_f16_f32_e32 v0, v0
	s_waitcnt vmcnt(2)
	v_cvt_f16_f32_e32 v17, v17
	;; [unrolled: 2-line block ×4, first 2 shown]
	ds_write_b16 v3, v0
	ds_write_b16 v3, v17 offset:64
	ds_write_b16 v3, v18 offset:128
	;; [unrolled: 1-line block ×3, first 2 shown]
	s_waitcnt lgkmcnt(0)
	s_barrier
	ds_read_b64 v[18:19], v1
	v_cndmask_b32_e64 v0, v2, 0, s[18:19]
	v_add_u32_e32 v17, 0xe0, v30
	v_lshl_add_u32 v0, v17, 1, v0
	v_cmp_gt_i32_e64 s[18:19], s48, v4
	s_waitcnt lgkmcnt(0)
	buffer_store_dwordx2 v[18:19], v0, s[52:55], 0 offen
	s_waitcnt lgkmcnt(0)
	s_barrier
	buffer_load_dword v0, off, s[0:3], 0 offset:3184
	buffer_load_dword v18, off, s[0:3], 0 offset:3188
	;; [unrolled: 1-line block ×4, first 2 shown]
	s_and_b64 s[16:17], s[18:19], s[16:17]
	v_add_lshl_u32 v17, v17, s22, 1
	s_and_b64 s[14:15], s[18:19], s[14:15]
	s_and_b64 s[12:13], s[18:19], s[12:13]
	;; [unrolled: 1-line block ×6, first 2 shown]
	s_waitcnt vmcnt(3)
	v_cvt_f16_f32_e32 v0, v0
	s_waitcnt vmcnt(2)
	v_cvt_f16_f32_e32 v4, v18
	s_waitcnt vmcnt(1)
	v_cvt_f16_f32_e32 v18, v19
	s_waitcnt vmcnt(0)
	v_cvt_f16_f32_e32 v19, v20
	ds_write_b16 v3, v0
	ds_write_b16 v3, v4 offset:64
	ds_write_b16 v3, v18 offset:128
	ds_write_b16 v3, v19 offset:192
	s_waitcnt lgkmcnt(0)
	s_barrier
	ds_read_b64 v[18:19], v1
	v_cndmask_b32_e64 v0, v2, 0, s[16:17]
	v_add_u32_e32 v0, v17, v0
	s_waitcnt lgkmcnt(0)
	buffer_store_dwordx2 v[18:19], v0, s[52:55], 0 offen
	s_waitcnt lgkmcnt(0)
	s_barrier
	buffer_load_dword v0, off, s[0:3], 0 offset:3168
	buffer_load_dword v4, off, s[0:3], 0 offset:3172
	buffer_load_dword v18, off, s[0:3], 0 offset:3176
	buffer_load_dword v19, off, s[0:3], 0 offset:3180
	s_waitcnt vmcnt(3)
	v_cvt_f16_f32_e32 v0, v0
	s_waitcnt vmcnt(2)
	v_cvt_f16_f32_e32 v4, v4
	s_waitcnt vmcnt(1)
	v_cvt_f16_f32_e32 v18, v18
	s_waitcnt vmcnt(0)
	v_cvt_f16_f32_e32 v19, v19
	ds_write_b16 v3, v0
	ds_write_b16 v3, v4 offset:64
	ds_write_b16 v3, v18 offset:128
	ds_write_b16 v3, v19 offset:192
	s_waitcnt lgkmcnt(0)
	s_barrier
	ds_read_b64 v[18:19], v1
	v_cndmask_b32_e64 v0, v5, v7, s[14:15]
	v_add_u32_e32 v0, v17, v0
	s_waitcnt lgkmcnt(0)
	buffer_store_dwordx2 v[18:19], v0, s[52:55], 0 offen
	s_waitcnt lgkmcnt(0)
	s_barrier
	buffer_load_dword v0, off, s[0:3], 0 offset:3152
	buffer_load_dword v4, off, s[0:3], 0 offset:3156
	buffer_load_dword v5, off, s[0:3], 0 offset:3160
	buffer_load_dword v7, off, s[0:3], 0 offset:3164
	;; [unrolled: 25-line block ×6, first 2 shown]
	s_waitcnt vmcnt(3)
	v_cvt_f16_f32_e32 v0, v0
	s_waitcnt vmcnt(2)
	v_cvt_f16_f32_e32 v4, v4
	;; [unrolled: 2-line block ×4, first 2 shown]
	ds_write_b16 v3, v0
	ds_write_b16 v3, v4 offset:64
	ds_write_b16 v3, v5 offset:128
	;; [unrolled: 1-line block ×3, first 2 shown]
	s_waitcnt lgkmcnt(0)
	s_barrier
	ds_read_b64 v[4:5], v1
	v_cndmask_b32_e64 v0, v14, v16, s[4:5]
	v_add_u32_e32 v0, v17, v0
	s_and_b64 s[4:5], vcc, s[18:19]
	v_cndmask_b32_e64 v2, v2, 0, s[4:5]
	s_waitcnt lgkmcnt(0)
	buffer_store_dwordx2 v[4:5], v0, s[52:55], 0 offen
	s_waitcnt lgkmcnt(0)
	s_barrier
	buffer_load_dword v0, off, s[0:3], 0 offset:3072
	buffer_load_dword v4, off, s[0:3], 0 offset:3076
	;; [unrolled: 1-line block ×4, first 2 shown]
	s_waitcnt vmcnt(3)
	v_cvt_f16_f32_e32 v0, v0
	s_waitcnt vmcnt(2)
	v_cvt_f16_f32_e32 v4, v4
	;; [unrolled: 2-line block ×4, first 2 shown]
	ds_write_b16 v3, v0
	ds_write_b16 v3, v4 offset:64
	ds_write_b16 v3, v5 offset:128
	;; [unrolled: 1-line block ×3, first 2 shown]
	s_waitcnt lgkmcnt(0)
	s_barrier
	ds_read_b64 v[0:1], v1
	v_add_u32_e32 v3, s22, v30
	v_lshl_add_u32 v2, v3, 1, v2
	s_waitcnt lgkmcnt(0)
	buffer_store_dwordx2 v[0:1], v2, s[52:55], 0 offen
	s_endpgm
	.section	.rodata,"a",@progbits
	.p2align	6, 0x0
	.amdhsa_kernel _ZN2ck45kernel_gemm_xdl_cshuffle_v3_b_preshuffle_2ldsINS_41GridwiseGemm_xdl_cshuffle_v3_b_preshuffleINS_13tensor_layout4gemm8RowMajorENS3_11ColumnMajorES4_NS_9f8_fnuz_tENS_7pk_i4_tEfDF16_DF16_NS_16tensor_operation12element_wise11PassThroughESA_SA_LNS8_6device18GemmSpecializationE0ELi256ELi256ELi256ELi128ELi16ELi32ELi16ELi16ELi8ELi8ENS_8SequenceIJLi8ELi32ELi1EEEENSD_IJLi1ELi0ELi2EEEESF_Li2ELi16ELi16ELb0ELi0ENSD_IJLi4ELi64ELi1EEEESF_SF_Li2ELi32ELi32ELb0ELi0ELi1ELi1ENSD_IJLi1ELi32ELi1ELi8EEEELi4ELNS_26BlockGemmPipelineSchedulerE0ELNS_24BlockGemmPipelineVersionE2ES6_S6_Lb0ELb0ELi0EEELb1ELNS_25InMemoryDataOperationEnumE0ELi1ELNS_10TailNumberE0EEEvNT_8ArgumentE
		.amdhsa_group_segment_fixed_size 65536
		.amdhsa_private_segment_fixed_size 4464
		.amdhsa_kernarg_size 112
		.amdhsa_user_sgpr_count 8
		.amdhsa_user_sgpr_private_segment_buffer 1
		.amdhsa_user_sgpr_dispatch_ptr 0
		.amdhsa_user_sgpr_queue_ptr 0
		.amdhsa_user_sgpr_kernarg_segment_ptr 1
		.amdhsa_user_sgpr_dispatch_id 0
		.amdhsa_user_sgpr_flat_scratch_init 1
		.amdhsa_user_sgpr_kernarg_preload_length 0
		.amdhsa_user_sgpr_kernarg_preload_offset 0
		.amdhsa_user_sgpr_private_segment_size 0
		.amdhsa_uses_dynamic_stack 0
		.amdhsa_system_sgpr_private_segment_wavefront_offset 1
		.amdhsa_system_sgpr_workgroup_id_x 1
		.amdhsa_system_sgpr_workgroup_id_y 0
		.amdhsa_system_sgpr_workgroup_id_z 1
		.amdhsa_system_sgpr_workgroup_info 0
		.amdhsa_system_vgpr_workitem_id 0
		.amdhsa_next_free_vgpr 92
		.amdhsa_next_free_sgpr 58
		.amdhsa_accum_offset 88
		.amdhsa_reserve_vcc 1
		.amdhsa_reserve_flat_scratch 1
		.amdhsa_float_round_mode_32 0
		.amdhsa_float_round_mode_16_64 0
		.amdhsa_float_denorm_mode_32 3
		.amdhsa_float_denorm_mode_16_64 3
		.amdhsa_dx10_clamp 1
		.amdhsa_ieee_mode 1
		.amdhsa_fp16_overflow 0
		.amdhsa_tg_split 0
		.amdhsa_exception_fp_ieee_invalid_op 0
		.amdhsa_exception_fp_denorm_src 0
		.amdhsa_exception_fp_ieee_div_zero 0
		.amdhsa_exception_fp_ieee_overflow 0
		.amdhsa_exception_fp_ieee_underflow 0
		.amdhsa_exception_fp_ieee_inexact 0
		.amdhsa_exception_int_div_zero 0
	.end_amdhsa_kernel
	.section	.text._ZN2ck45kernel_gemm_xdl_cshuffle_v3_b_preshuffle_2ldsINS_41GridwiseGemm_xdl_cshuffle_v3_b_preshuffleINS_13tensor_layout4gemm8RowMajorENS3_11ColumnMajorES4_NS_9f8_fnuz_tENS_7pk_i4_tEfDF16_DF16_NS_16tensor_operation12element_wise11PassThroughESA_SA_LNS8_6device18GemmSpecializationE0ELi256ELi256ELi256ELi128ELi16ELi32ELi16ELi16ELi8ELi8ENS_8SequenceIJLi8ELi32ELi1EEEENSD_IJLi1ELi0ELi2EEEESF_Li2ELi16ELi16ELb0ELi0ENSD_IJLi4ELi64ELi1EEEESF_SF_Li2ELi32ELi32ELb0ELi0ELi1ELi1ENSD_IJLi1ELi32ELi1ELi8EEEELi4ELNS_26BlockGemmPipelineSchedulerE0ELNS_24BlockGemmPipelineVersionE2ES6_S6_Lb0ELb0ELi0EEELb1ELNS_25InMemoryDataOperationEnumE0ELi1ELNS_10TailNumberE0EEEvNT_8ArgumentE,"axG",@progbits,_ZN2ck45kernel_gemm_xdl_cshuffle_v3_b_preshuffle_2ldsINS_41GridwiseGemm_xdl_cshuffle_v3_b_preshuffleINS_13tensor_layout4gemm8RowMajorENS3_11ColumnMajorES4_NS_9f8_fnuz_tENS_7pk_i4_tEfDF16_DF16_NS_16tensor_operation12element_wise11PassThroughESA_SA_LNS8_6device18GemmSpecializationE0ELi256ELi256ELi256ELi128ELi16ELi32ELi16ELi16ELi8ELi8ENS_8SequenceIJLi8ELi32ELi1EEEENSD_IJLi1ELi0ELi2EEEESF_Li2ELi16ELi16ELb0ELi0ENSD_IJLi4ELi64ELi1EEEESF_SF_Li2ELi32ELi32ELb0ELi0ELi1ELi1ENSD_IJLi1ELi32ELi1ELi8EEEELi4ELNS_26BlockGemmPipelineSchedulerE0ELNS_24BlockGemmPipelineVersionE2ES6_S6_Lb0ELb0ELi0EEELb1ELNS_25InMemoryDataOperationEnumE0ELi1ELNS_10TailNumberE0EEEvNT_8ArgumentE,comdat
.Lfunc_end62:
	.size	_ZN2ck45kernel_gemm_xdl_cshuffle_v3_b_preshuffle_2ldsINS_41GridwiseGemm_xdl_cshuffle_v3_b_preshuffleINS_13tensor_layout4gemm8RowMajorENS3_11ColumnMajorES4_NS_9f8_fnuz_tENS_7pk_i4_tEfDF16_DF16_NS_16tensor_operation12element_wise11PassThroughESA_SA_LNS8_6device18GemmSpecializationE0ELi256ELi256ELi256ELi128ELi16ELi32ELi16ELi16ELi8ELi8ENS_8SequenceIJLi8ELi32ELi1EEEENSD_IJLi1ELi0ELi2EEEESF_Li2ELi16ELi16ELb0ELi0ENSD_IJLi4ELi64ELi1EEEESF_SF_Li2ELi32ELi32ELb0ELi0ELi1ELi1ENSD_IJLi1ELi32ELi1ELi8EEEELi4ELNS_26BlockGemmPipelineSchedulerE0ELNS_24BlockGemmPipelineVersionE2ES6_S6_Lb0ELb0ELi0EEELb1ELNS_25InMemoryDataOperationEnumE0ELi1ELNS_10TailNumberE0EEEvNT_8ArgumentE, .Lfunc_end62-_ZN2ck45kernel_gemm_xdl_cshuffle_v3_b_preshuffle_2ldsINS_41GridwiseGemm_xdl_cshuffle_v3_b_preshuffleINS_13tensor_layout4gemm8RowMajorENS3_11ColumnMajorES4_NS_9f8_fnuz_tENS_7pk_i4_tEfDF16_DF16_NS_16tensor_operation12element_wise11PassThroughESA_SA_LNS8_6device18GemmSpecializationE0ELi256ELi256ELi256ELi128ELi16ELi32ELi16ELi16ELi8ELi8ENS_8SequenceIJLi8ELi32ELi1EEEENSD_IJLi1ELi0ELi2EEEESF_Li2ELi16ELi16ELb0ELi0ENSD_IJLi4ELi64ELi1EEEESF_SF_Li2ELi32ELi32ELb0ELi0ELi1ELi1ENSD_IJLi1ELi32ELi1ELi8EEEELi4ELNS_26BlockGemmPipelineSchedulerE0ELNS_24BlockGemmPipelineVersionE2ES6_S6_Lb0ELb0ELi0EEELb1ELNS_25InMemoryDataOperationEnumE0ELi1ELNS_10TailNumberE0EEEvNT_8ArgumentE
                                        ; -- End function
	.section	.AMDGPU.csdata,"",@progbits
; Kernel info:
; codeLenInByte = 15888
; NumSgprs: 64
; NumVgprs: 86
; NumAgprs: 4
; TotalNumVgprs: 92
; ScratchSize: 4464
; MemoryBound: 0
; FloatMode: 240
; IeeeMode: 1
; LDSByteSize: 65536 bytes/workgroup (compile time only)
; SGPRBlocks: 7
; VGPRBlocks: 11
; NumSGPRsForWavesPerEU: 64
; NumVGPRsForWavesPerEU: 92
; AccumOffset: 88
; Occupancy: 1
; WaveLimiterHint : 1
; COMPUTE_PGM_RSRC2:SCRATCH_EN: 1
; COMPUTE_PGM_RSRC2:USER_SGPR: 8
; COMPUTE_PGM_RSRC2:TRAP_HANDLER: 0
; COMPUTE_PGM_RSRC2:TGID_X_EN: 1
; COMPUTE_PGM_RSRC2:TGID_Y_EN: 0
; COMPUTE_PGM_RSRC2:TGID_Z_EN: 1
; COMPUTE_PGM_RSRC2:TIDIG_COMP_CNT: 0
; COMPUTE_PGM_RSRC3_GFX90A:ACCUM_OFFSET: 21
; COMPUTE_PGM_RSRC3_GFX90A:TG_SPLIT: 0
	.section	.text._ZN2ck45kernel_gemm_xdl_cshuffle_v3_b_preshuffle_2ldsINS_41GridwiseGemm_xdl_cshuffle_v3_b_preshuffleINS_13tensor_layout4gemm8RowMajorENS3_11ColumnMajorES4_NS_9f8_fnuz_tENS_7pk_i4_tEfDF16_DF16_NS_16tensor_operation12element_wise11PassThroughESA_SA_LNS8_6device18GemmSpecializationE0ELi256ELi256ELi256ELi128ELi16ELi32ELi16ELi16ELi8ELi8ENS_8SequenceIJLi8ELi32ELi1EEEENSD_IJLi1ELi0ELi2EEEESF_Li2ELi16ELi16ELb0ELi0ENSD_IJLi4ELi64ELi1EEEESF_SF_Li2ELi32ELi32ELb0ELi0ELi1ELi1ENSD_IJLi1ELi32ELi1ELi8EEEELi4ELNS_26BlockGemmPipelineSchedulerE0ELNS_24BlockGemmPipelineVersionE2ES6_S6_Lb0ELb0ELi0EEELb1ELNS_25InMemoryDataOperationEnumE0ELi1ELNS_10TailNumberE1EEEvNT_8ArgumentE,"axG",@progbits,_ZN2ck45kernel_gemm_xdl_cshuffle_v3_b_preshuffle_2ldsINS_41GridwiseGemm_xdl_cshuffle_v3_b_preshuffleINS_13tensor_layout4gemm8RowMajorENS3_11ColumnMajorES4_NS_9f8_fnuz_tENS_7pk_i4_tEfDF16_DF16_NS_16tensor_operation12element_wise11PassThroughESA_SA_LNS8_6device18GemmSpecializationE0ELi256ELi256ELi256ELi128ELi16ELi32ELi16ELi16ELi8ELi8ENS_8SequenceIJLi8ELi32ELi1EEEENSD_IJLi1ELi0ELi2EEEESF_Li2ELi16ELi16ELb0ELi0ENSD_IJLi4ELi64ELi1EEEESF_SF_Li2ELi32ELi32ELb0ELi0ELi1ELi1ENSD_IJLi1ELi32ELi1ELi8EEEELi4ELNS_26BlockGemmPipelineSchedulerE0ELNS_24BlockGemmPipelineVersionE2ES6_S6_Lb0ELb0ELi0EEELb1ELNS_25InMemoryDataOperationEnumE0ELi1ELNS_10TailNumberE1EEEvNT_8ArgumentE,comdat
	.protected	_ZN2ck45kernel_gemm_xdl_cshuffle_v3_b_preshuffle_2ldsINS_41GridwiseGemm_xdl_cshuffle_v3_b_preshuffleINS_13tensor_layout4gemm8RowMajorENS3_11ColumnMajorES4_NS_9f8_fnuz_tENS_7pk_i4_tEfDF16_DF16_NS_16tensor_operation12element_wise11PassThroughESA_SA_LNS8_6device18GemmSpecializationE0ELi256ELi256ELi256ELi128ELi16ELi32ELi16ELi16ELi8ELi8ENS_8SequenceIJLi8ELi32ELi1EEEENSD_IJLi1ELi0ELi2EEEESF_Li2ELi16ELi16ELb0ELi0ENSD_IJLi4ELi64ELi1EEEESF_SF_Li2ELi32ELi32ELb0ELi0ELi1ELi1ENSD_IJLi1ELi32ELi1ELi8EEEELi4ELNS_26BlockGemmPipelineSchedulerE0ELNS_24BlockGemmPipelineVersionE2ES6_S6_Lb0ELb0ELi0EEELb1ELNS_25InMemoryDataOperationEnumE0ELi1ELNS_10TailNumberE1EEEvNT_8ArgumentE ; -- Begin function _ZN2ck45kernel_gemm_xdl_cshuffle_v3_b_preshuffle_2ldsINS_41GridwiseGemm_xdl_cshuffle_v3_b_preshuffleINS_13tensor_layout4gemm8RowMajorENS3_11ColumnMajorES4_NS_9f8_fnuz_tENS_7pk_i4_tEfDF16_DF16_NS_16tensor_operation12element_wise11PassThroughESA_SA_LNS8_6device18GemmSpecializationE0ELi256ELi256ELi256ELi128ELi16ELi32ELi16ELi16ELi8ELi8ENS_8SequenceIJLi8ELi32ELi1EEEENSD_IJLi1ELi0ELi2EEEESF_Li2ELi16ELi16ELb0ELi0ENSD_IJLi4ELi64ELi1EEEESF_SF_Li2ELi32ELi32ELb0ELi0ELi1ELi1ENSD_IJLi1ELi32ELi1ELi8EEEELi4ELNS_26BlockGemmPipelineSchedulerE0ELNS_24BlockGemmPipelineVersionE2ES6_S6_Lb0ELb0ELi0EEELb1ELNS_25InMemoryDataOperationEnumE0ELi1ELNS_10TailNumberE1EEEvNT_8ArgumentE
	.globl	_ZN2ck45kernel_gemm_xdl_cshuffle_v3_b_preshuffle_2ldsINS_41GridwiseGemm_xdl_cshuffle_v3_b_preshuffleINS_13tensor_layout4gemm8RowMajorENS3_11ColumnMajorES4_NS_9f8_fnuz_tENS_7pk_i4_tEfDF16_DF16_NS_16tensor_operation12element_wise11PassThroughESA_SA_LNS8_6device18GemmSpecializationE0ELi256ELi256ELi256ELi128ELi16ELi32ELi16ELi16ELi8ELi8ENS_8SequenceIJLi8ELi32ELi1EEEENSD_IJLi1ELi0ELi2EEEESF_Li2ELi16ELi16ELb0ELi0ENSD_IJLi4ELi64ELi1EEEESF_SF_Li2ELi32ELi32ELb0ELi0ELi1ELi1ENSD_IJLi1ELi32ELi1ELi8EEEELi4ELNS_26BlockGemmPipelineSchedulerE0ELNS_24BlockGemmPipelineVersionE2ES6_S6_Lb0ELb0ELi0EEELb1ELNS_25InMemoryDataOperationEnumE0ELi1ELNS_10TailNumberE1EEEvNT_8ArgumentE
	.p2align	8
	.type	_ZN2ck45kernel_gemm_xdl_cshuffle_v3_b_preshuffle_2ldsINS_41GridwiseGemm_xdl_cshuffle_v3_b_preshuffleINS_13tensor_layout4gemm8RowMajorENS3_11ColumnMajorES4_NS_9f8_fnuz_tENS_7pk_i4_tEfDF16_DF16_NS_16tensor_operation12element_wise11PassThroughESA_SA_LNS8_6device18GemmSpecializationE0ELi256ELi256ELi256ELi128ELi16ELi32ELi16ELi16ELi8ELi8ENS_8SequenceIJLi8ELi32ELi1EEEENSD_IJLi1ELi0ELi2EEEESF_Li2ELi16ELi16ELb0ELi0ENSD_IJLi4ELi64ELi1EEEESF_SF_Li2ELi32ELi32ELb0ELi0ELi1ELi1ENSD_IJLi1ELi32ELi1ELi8EEEELi4ELNS_26BlockGemmPipelineSchedulerE0ELNS_24BlockGemmPipelineVersionE2ES6_S6_Lb0ELb0ELi0EEELb1ELNS_25InMemoryDataOperationEnumE0ELi1ELNS_10TailNumberE1EEEvNT_8ArgumentE,@function
_ZN2ck45kernel_gemm_xdl_cshuffle_v3_b_preshuffle_2ldsINS_41GridwiseGemm_xdl_cshuffle_v3_b_preshuffleINS_13tensor_layout4gemm8RowMajorENS3_11ColumnMajorES4_NS_9f8_fnuz_tENS_7pk_i4_tEfDF16_DF16_NS_16tensor_operation12element_wise11PassThroughESA_SA_LNS8_6device18GemmSpecializationE0ELi256ELi256ELi256ELi128ELi16ELi32ELi16ELi16ELi8ELi8ENS_8SequenceIJLi8ELi32ELi1EEEENSD_IJLi1ELi0ELi2EEEESF_Li2ELi16ELi16ELb0ELi0ENSD_IJLi4ELi64ELi1EEEESF_SF_Li2ELi32ELi32ELb0ELi0ELi1ELi1ENSD_IJLi1ELi32ELi1ELi8EEEELi4ELNS_26BlockGemmPipelineSchedulerE0ELNS_24BlockGemmPipelineVersionE2ES6_S6_Lb0ELb0ELi0EEELb1ELNS_25InMemoryDataOperationEnumE0ELi1ELNS_10TailNumberE1EEEvNT_8ArgumentE: ; @_ZN2ck45kernel_gemm_xdl_cshuffle_v3_b_preshuffle_2ldsINS_41GridwiseGemm_xdl_cshuffle_v3_b_preshuffleINS_13tensor_layout4gemm8RowMajorENS3_11ColumnMajorES4_NS_9f8_fnuz_tENS_7pk_i4_tEfDF16_DF16_NS_16tensor_operation12element_wise11PassThroughESA_SA_LNS8_6device18GemmSpecializationE0ELi256ELi256ELi256ELi128ELi16ELi32ELi16ELi16ELi8ELi8ENS_8SequenceIJLi8ELi32ELi1EEEENSD_IJLi1ELi0ELi2EEEESF_Li2ELi16ELi16ELb0ELi0ENSD_IJLi4ELi64ELi1EEEESF_SF_Li2ELi32ELi32ELb0ELi0ELi1ELi1ENSD_IJLi1ELi32ELi1ELi8EEEELi4ELNS_26BlockGemmPipelineSchedulerE0ELNS_24BlockGemmPipelineVersionE2ES6_S6_Lb0ELb0ELi0EEELb1ELNS_25InMemoryDataOperationEnumE0ELi1ELNS_10TailNumberE1EEEvNT_8ArgumentE
; %bb.0:
	s_add_u32 flat_scratch_lo, s6, s10
	s_addc_u32 flat_scratch_hi, s7, 0
	s_add_u32 s0, s0, s10
	s_mov_b32 s47, s8
	s_load_dwordx4 s[48:51], s[4:5], 0x10
	s_load_dwordx2 s[56:57], s[4:5], 0x24
	s_load_dword s10, s[4:5], 0x34
	s_load_dword s8, s[4:5], 0x3c
	;; [unrolled: 1-line block ×3, first 2 shown]
	s_load_dwordx2 s[6:7], s[4:5], 0x60
	s_load_dwordx4 s[12:15], s[4:5], 0x50
	s_addc_u32 s1, s1, 0
	s_waitcnt lgkmcnt(0)
	s_cmp_gt_i32 s57, 1
	s_cselect_b64 s[4:5], -1, 0
	s_bitcmp1_b32 s11, 0
	s_cselect_b64 s[16:17], -1, 0
	s_and_b64 s[4:5], s[4:5], s[16:17]
	v_mov_b32_e32 v41, v0
	s_andn2_b64 vcc, exec, s[4:5]
	s_mov_b64 s[4:5], 0
	s_mov_b32 s32, 0x33c00
	s_cbranch_vccnz .LBB63_2
; %bb.1:
	s_mul_i32 s4, s48, s9
	s_mul_i32 s4, s4, s49
	s_ashr_i32 s5, s4, 31
.LBB63_2:
	s_add_i32 s16, s57, -1
	s_mul_i32 s17, s16, s10
	s_sub_i32 s17, s50, s17
	s_mul_i32 s11, s10, s9
	s_cmp_lt_u32 s9, s16
	s_cselect_b32 s17, s10, s17
	s_ashr_i32 s10, s11, 31
	s_add_u32 s18, s12, s11
	s_addc_u32 s19, s13, s10
	s_add_i32 s10, s50, 0x7f
	s_ashr_i32 s11, s10, 31
	s_lshr_b32 s11, s11, 25
	s_add_i32 s10, s10, s11
	s_add_i32 s16, s49, 15
	s_ashr_i32 s20, s10, 7
	s_add_u32 s12, 0, 0
	s_addc_u32 s13, s48, -1
	s_mul_i32 s10, s13, s51
	s_ashr_i32 s11, s10, 31
	s_ashr_i32 s21, s17, 31
	v_mov_b32_e32 v1, s17
	s_add_u32 s10, s10, s17
	buffer_store_dword v1, off, s[0:3], 0 offset:3204
	v_mov_b32_e32 v1, s51
	s_addc_u32 s11, s11, s21
	s_mul_i32 s21, s48, s8
	buffer_store_dword v1, off, s[0:3], 0 offset:3208
	v_mov_b32_e32 v1, s8
	s_lshl_b32 s21, s21, 4
	v_mov_b32_e32 v0, s48
	v_mov_b32_e32 v2, 0
	buffer_store_dword v1, off, s[0:3], 0 offset:3216
	v_mov_b32_e32 v1, 16
	buffer_store_dword v0, off, s[0:3], 0 offset:3200
	buffer_store_dword v2, off, s[0:3], 0 offset:3212
	;; [unrolled: 1-line block ×5, first 2 shown]
	v_mov_b32_e32 v0, s21
	s_ashr_i32 s8, s16, 31
	buffer_store_dword v0, off, s[0:3], 0 offset:3236
	v_mov_b32_e32 v0, s11
	v_mov_b32_e32 v1, s10
	s_getpc_b64 s[10:11]
	s_add_u32 s10, s10, _ZN2ck41GridwiseGemm_xdl_cshuffle_v3_b_preshuffleINS_13tensor_layout4gemm8RowMajorENS2_11ColumnMajorES3_NS_9f8_fnuz_tENS_7pk_i4_tEfDF16_DF16_NS_16tensor_operation12element_wise11PassThroughES9_S9_LNS7_6device18GemmSpecializationE0ELi256ELi256ELi256ELi128ELi16ELi32ELi16ELi16ELi8ELi8ENS_8SequenceIJLi8ELi32ELi1EEEENSC_IJLi1ELi0ELi2EEEESE_Li2ELi16ELi16ELb0ELi0ENSC_IJLi4ELi64ELi1EEEESE_SE_Li2ELi32ELi32ELb0ELi0ELi1ELi1ENSC_IJLi1ELi32ELi1ELi8EEEELi4ELNS_26BlockGemmPipelineSchedulerE0ELNS_24BlockGemmPipelineVersionE2ES5_S5_Lb0ELb0ELi0EE5NWaveE@rel32@lo+4
	s_addc_u32 s11, s11, _ZN2ck41GridwiseGemm_xdl_cshuffle_v3_b_preshuffleINS_13tensor_layout4gemm8RowMajorENS2_11ColumnMajorES3_NS_9f8_fnuz_tENS_7pk_i4_tEfDF16_DF16_NS_16tensor_operation12element_wise11PassThroughES9_S9_LNS7_6device18GemmSpecializationE0ELi256ELi256ELi256ELi128ELi16ELi32ELi16ELi16ELi8ELi8ENS_8SequenceIJLi8ELi32ELi1EEEENSC_IJLi1ELi0ELi2EEEESE_Li2ELi16ELi16ELb0ELi0ENSC_IJLi4ELi64ELi1EEEESE_SE_Li2ELi32ELi32ELb0ELi0ELi1ELi1ENSC_IJLi1ELi32ELi1ELi8EEEELi4ELNS_26BlockGemmPipelineSchedulerE0ELNS_24BlockGemmPipelineVersionE2ES5_S5_Lb0ELb0ELi0EE5NWaveE@rel32@hi+12
	s_load_dword s10, s[10:11], 0x0
	s_lshr_b32 s8, s8, 27
	s_add_i32 s16, s16, s8
	s_ashr_i32 s11, s16, 5
	v_mov_b32_e32 v3, s11
	s_add_i32 s21, s11, -1
	buffer_store_dword v3, off, s[0:3], 0 offset:3248
	s_waitcnt lgkmcnt(0)
	v_mov_b32_e32 v3, s10
	s_lshl_b32 s16, s20, 12
	s_add_i32 s22, s10, -1
	buffer_store_dword v3, off, s[0:3], 0 offset:3252
	v_mov_b32_e32 v3, s20
	s_lshl_b32 s8, s20, 11
	s_mul_i32 s20, s16, s21
	s_mul_i32 s22, s22, s8
	s_add_i32 s23, s8, 0xfffff800
	s_bitset1_b32 s20, 11
	s_ashr_i32 s21, s22, 31
	s_ashr_i32 s24, s23, 31
	;; [unrolled: 1-line block ×3, first 2 shown]
	s_add_u32 s20, s20, s23
	s_addc_u32 s23, s25, s24
	s_mul_i32 s11, s8, s11
	v_mov_b32_e32 v4, s8
	buffer_store_dword v3, off, s[0:3], 0 offset:3256
	v_mov_b32_e32 v3, 0x800
	s_add_u32 s20, s20, s22
	s_mul_i32 s10, s11, s10
	buffer_store_dword v4, off, s[0:3], 0 offset:3268
	v_mov_b32_e32 v4, s16
	buffer_store_dword v0, off, s[0:3], 0 offset:3244
	buffer_store_dword v1, off, s[0:3], 0 offset:3240
	;; [unrolled: 1-line block ×3, first 2 shown]
	s_addc_u32 s21, s23, s21
	buffer_store_dword v4, off, s[0:3], 0 offset:3264
	buffer_store_dword v3, off, s[0:3], 0 offset:3272
	v_mov_b32_e32 v3, s10
	v_mov_b32_e32 v5, s19
	buffer_store_dword v3, off, s[0:3], 0 offset:3280
	v_mov_b32_e32 v3, s21
	v_mov_b32_e32 v4, s20
	buffer_store_dword v5, off, s[0:3], 0 offset:4
	v_mov_b32_e32 v5, s18
	buffer_store_dword v3, off, s[0:3], 0 offset:3292
	buffer_store_dword v4, off, s[0:3], 0 offset:3288
	buffer_store_dword v5, off, s[0:3], 0
	buffer_store_dword v0, off, s[0:3], 0 offset:12
	buffer_store_dword v1, off, s[0:3], 0 offset:8
	v_mov_b32_e32 v0, s15
	s_add_i32 s11, s48, -1
	s_mov_b32 s50, 0
	s_mov_b32 s10, 0
	buffer_store_dword v0, off, s[0:3], 0 offset:28
	v_mov_b32_e32 v0, s14
	s_cmpk_lt_u32 s11, 0x100
	buffer_store_byte v2, off, s[0:3], 0 offset:16
	buffer_store_dword v0, off, s[0:3], 0 offset:24
	buffer_store_dword v3, off, s[0:3], 0 offset:36
	;; [unrolled: 1-line block ×3, first 2 shown]
	buffer_store_byte v2, off, s[0:3], 0 offset:40
	s_cbranch_scc1 .LBB63_10
; %bb.3:
	s_add_i32 s11, s49, -1
	s_cmpk_lt_u32 s11, 0x100
	s_cbranch_scc1 .LBB63_9
; %bb.4:
	s_add_i32 s10, s48, 0xff
	s_ashr_i32 s11, s10, 31
	s_lshr_b32 s11, s11, 24
	s_add_i32 s10, s10, s11
	s_ashr_i32 s15, s10, 8
	s_add_i32 s10, s49, 0xff
	s_ashr_i32 s11, s10, 31
	s_lshr_b32 s11, s11, 24
	s_add_i32 s10, s10, s11
	s_ashr_i32 s14, s10, 8
	s_mul_i32 s10, s14, s15
	s_add_i32 s11, s10, 7
	s_ashr_i32 s18, s11, 31
	s_lshr_b32 s18, s18, 29
	s_add_i32 s11, s11, s18
	s_ashr_i32 s18, s11, 3
	s_and_b32 s11, s11, -8
	s_sub_i32 s19, s10, s11
	s_ashr_i32 s10, s47, 31
	s_lshr_b32 s10, s10, 29
	s_add_i32 s22, s47, s10
	s_and_b32 s10, s22, -8
	s_add_i32 s19, s19, 8
	s_sub_i32 s21, s47, s10
	s_cmp_gt_i32 s21, s19
	s_cbranch_scc1 .LBB63_6
; %bb.5:
	s_mul_i32 s20, s18, s21
	s_ashr_i32 s10, s22, 3
	s_cbranch_execz .LBB63_7
	s_branch .LBB63_8
.LBB63_6:
                                        ; implicit-def: $sgpr20
	s_ashr_i32 s10, s22, 3
.LBB63_7:
	s_add_i32 s11, s18, -1
	s_mul_i32 s11, s11, s21
	s_add_i32 s20, s19, s11
.LBB63_8:
	s_abs_i32 s11, s14
	v_cvt_f32_u32_e32 v0, s11
	s_add_i32 s10, s20, s10
	s_sub_i32 s20, 0, s11
	s_abs_i32 s19, s10
	v_rcp_iflag_f32_e32 v0, v0
	s_xor_b32 s18, s10, s14
	s_ashr_i32 s18, s18, 31
	v_mul_f32_e32 v0, 0x4f7ffffe, v0
	v_cvt_u32_f32_e32 v0, v0
	v_readfirstlane_b32 s21, v0
	s_mul_i32 s20, s20, s21
	s_mul_hi_u32 s20, s21, s20
	s_add_i32 s21, s21, s20
	s_mul_hi_u32 s20, s19, s21
	s_mul_i32 s21, s20, s11
	s_sub_i32 s19, s19, s21
	s_add_i32 s22, s20, 1
	s_sub_i32 s21, s19, s11
	s_cmp_ge_u32 s19, s11
	s_cselect_b32 s20, s22, s20
	s_cselect_b32 s19, s21, s19
	s_add_i32 s21, s20, 1
	s_cmp_ge_u32 s19, s11
	s_cselect_b32 s11, s21, s20
	s_xor_b32 s11, s11, s18
	s_lshr_b32 s19, s15, 30
	s_sub_i32 s11, s11, s18
	s_add_i32 s19, s15, s19
	s_mul_i32 s18, s11, s14
	s_sub_i32 s10, s10, s18
	s_and_b32 s18, s19, -4
	s_sub_i32 s15, s15, s18
	s_cmp_ge_i32 s11, s18
	s_cselect_b32 s15, s15, 4
	s_abs_i32 s19, s15
	v_cvt_f32_u32_e32 v0, s19
	s_ashr_i32 s18, s11, 31
	s_lshr_b32 s18, s18, 30
	s_add_i32 s18, s11, s18
	v_rcp_iflag_f32_e32 v0, v0
	s_and_b32 s18, s18, -4
	s_sub_i32 s18, s11, s18
	s_sub_i32 s21, 0, s19
	v_mul_f32_e32 v0, 0x4f7ffffe, v0
	v_cvt_u32_f32_e32 v0, v0
	s_mul_i32 s14, s18, s14
	s_add_i32 s14, s14, s10
	s_abs_i32 s20, s14
	v_readfirstlane_b32 s22, v0
	s_mul_i32 s21, s21, s22
	s_mul_hi_u32 s21, s22, s21
	s_add_i32 s22, s22, s21
	s_mul_hi_u32 s21, s20, s22
	s_mul_i32 s22, s21, s19
	s_xor_b32 s10, s14, s15
	s_sub_i32 s20, s20, s22
	s_ashr_i32 s10, s10, 31
	s_add_i32 s22, s21, 1
	s_sub_i32 s23, s20, s19
	s_cmp_ge_u32 s20, s19
	s_cselect_b32 s21, s22, s21
	s_cselect_b32 s20, s23, s20
	s_add_i32 s22, s21, 1
	s_cmp_ge_u32 s20, s19
	s_cselect_b32 s19, s22, s21
	s_xor_b32 s19, s19, s10
	s_sub_i32 s10, s19, s10
	s_mul_i32 s15, s10, s15
	s_sub_i32 s14, s14, s15
	s_add_i32 s14, s14, s11
	s_sub_i32 s47, s14, s18
.LBB63_9:
	s_mov_b32 s50, s47
	s_mov_b32 s47, s10
.LBB63_10:
	s_add_i32 s10, s17, 0x7f
	s_ashr_i32 s11, s10, 31
	s_lshr_b32 s11, s11, 25
	s_add_i32 s10, s10, s11
	s_lshl_b32 s11, s50, 8
	v_and_b32_e32 v1, 7, v41
	v_and_b32_e32 v3, 0xf8, v41
	v_add_u32_e32 v6, s11, v3
	v_lshlrev_b32_e32 v0, 4, v1
	v_mad_u64_u32 v[4:5], s[14:15], v6, s51, v[0:1]
	s_ashr_i32 s10, s10, 7
	buffer_store_dword v2, off, s[0:3], 0 offset:172
	buffer_store_dword v2, off, s[0:3], 0 offset:168
	;; [unrolled: 1-line block ×32, first 2 shown]
	buffer_store_short v2, off, s[0:3], 0 offset:176
	buffer_store_dword v2, off, s[0:3], 0 offset:204
	buffer_store_dword v2, off, s[0:3], 0 offset:200
	buffer_store_dword v2, off, s[0:3], 0 offset:196
	buffer_store_dword v2, off, s[0:3], 0 offset:192
	buffer_store_dword v2, off, s[0:3], 0 offset:220
	buffer_store_dword v2, off, s[0:3], 0 offset:216
	buffer_store_dword v2, off, s[0:3], 0 offset:212
	buffer_store_dword v2, off, s[0:3], 0 offset:208
	buffer_store_dword v2, off, s[0:3], 0 offset:236
	buffer_store_dword v2, off, s[0:3], 0 offset:232
	buffer_store_dword v2, off, s[0:3], 0 offset:228
	buffer_store_dword v2, off, s[0:3], 0 offset:224
	buffer_store_dword v2, off, s[0:3], 0 offset:252
	buffer_store_dword v2, off, s[0:3], 0 offset:248
	buffer_store_dword v2, off, s[0:3], 0 offset:244
	buffer_store_dword v2, off, s[0:3], 0 offset:240
	buffer_store_dword v2, off, s[0:3], 0 offset:268
	buffer_store_dword v2, off, s[0:3], 0 offset:264
	buffer_store_dword v2, off, s[0:3], 0 offset:260
	buffer_store_dword v2, off, s[0:3], 0 offset:256
	buffer_store_dword v2, off, s[0:3], 0 offset:284
	buffer_store_dword v2, off, s[0:3], 0 offset:280
	buffer_store_dword v2, off, s[0:3], 0 offset:276
	buffer_store_dword v2, off, s[0:3], 0 offset:272
	buffer_store_dword v2, off, s[0:3], 0 offset:300
	buffer_store_dword v2, off, s[0:3], 0 offset:296
	buffer_store_dword v2, off, s[0:3], 0 offset:292
	buffer_store_dword v2, off, s[0:3], 0 offset:288
	buffer_store_dword v2, off, s[0:3], 0 offset:316
	buffer_store_dword v2, off, s[0:3], 0 offset:312
	buffer_store_dword v2, off, s[0:3], 0 offset:308
	buffer_store_dword v2, off, s[0:3], 0 offset:304
	buffer_store_short v2, off, s[0:3], 0 offset:320
	buffer_store_dword v2, off, s[0:3], 0 offset:460
	buffer_store_dword v2, off, s[0:3], 0 offset:456
	;; [unrolled: 1-line block ×32, first 2 shown]
	buffer_store_byte v2, off, s[0:3], 0 offset:464
	buffer_store_dword v2, off, s[0:3], 0 offset:470
	buffer_store_dword v2, off, s[0:3], 0 offset:466
	;; [unrolled: 1-line block ×32, first 2 shown]
	buffer_store_byte v2, off, s[0:3], 0 offset:594
	buffer_store_dword v2, off, s[0:3], 0 offset:732
	buffer_store_dword v2, off, s[0:3], 0 offset:728
	;; [unrolled: 1-line block ×32, first 2 shown]
	buffer_store_short v2, off, s[0:3], 0 offset:736
	buffer_store_dword v2, off, s[0:3], 0 offset:768
	buffer_store_dword v4, off, s[0:3], 0 offset:752
	;; [unrolled: 1-line block ×6, first 2 shown]
	v_lshl_or_b32 v0, v3, 7, v0
	s_mul_i32 s9, s10, s9
	s_lshl_b32 s10, s47, 3
	buffer_store_dword v0, off, s[0:3], 0 offset:776
	buffer_store_dword v3, off, s[0:3], 0 offset:784
	;; [unrolled: 1-line block ×14, first 2 shown]
	v_bfe_u32 v3, v41, 6, 1
	v_lshlrev_b32_e32 v0, 5, v41
	v_and_b32_e32 v0, 0x7e0, v0
	s_mul_i32 s11, s10, s16
	v_mul_lo_u32 v1, s8, v3
	s_lshl_b32 s8, s9, 11
	v_or_b32_e32 v1, v1, v0
	s_add_i32 s11, s11, s8
	v_add_u32_e32 v1, s11, v1
	buffer_store_dword v1, off, s[0:3], 0 offset:848
	v_mov_b32_e32 v1, s10
	buffer_store_dword v1, off, s[0:3], 0 offset:852
	buffer_store_dword v3, off, s[0:3], 0 offset:856
	v_mov_b32_e32 v1, s9
	s_mov_b64 s[8:9], src_shared_base
	buffer_store_dword v1, off, s[0:3], 0 offset:860
	buffer_store_dword v0, off, s[0:3], 0 offset:864
	v_mov_b32_e32 v0, s9
	s_getpc_b64 s[8:9]
	s_add_u32 s8, s8, __const._ZN2ck41GridwiseGemm_xdl_cshuffle_v3_b_preshuffleINS_13tensor_layout4gemm8RowMajorENS2_11ColumnMajorES3_NS_9f8_fnuz_tENS_7pk_i4_tEfDF16_DF16_NS_16tensor_operation12element_wise11PassThroughES9_S9_LNS7_6device18GemmSpecializationE0ELi256ELi256ELi256ELi128ELi16ELi32ELi16ELi16ELi8ELi8ENS_8SequenceIJLi8ELi32ELi1EEEENSC_IJLi1ELi0ELi2EEEESE_Li2ELi16ELi16ELb0ELi0ENSC_IJLi4ELi64ELi1EEEESE_SE_Li2ELi32ELi32ELb0ELi0ELi1ELi1ENSC_IJLi1ELi32ELi1ELi8EEEELi4ELNS_26BlockGemmPipelineSchedulerE0ELNS_24BlockGemmPipelineVersionE2ES5_S5_Lb0ELb0ELi0EE8Run_2LdsIKNS_16TensorDescriptorINS_5TupleIJNS_5EmbedINSM_IJiiEEENSM_IJiNS_17integral_constantIiLi1EEEEEELb0EEENS_7UnMergeISO_Lb0EEENS_11PassThroughIiEEEEENSM_IJNSC_IJLi0EEEENSC_IJLi2EEEENSC_IJLi1EEEEEEENSM_IJNSC_IJLi1ELi2EEEENSC_IJLi3ELi4EEEENSC_IJLi5EEEEEEENSC_IJLi3ELi5ELi4EEEElEEKNSL_INSM_IJNSN_INSM_IJiiiiEEENSM_IJiiiSQ_EEELb0EEEEEENSM_IJSY_EEENSM_IJNSC_IJLi1ELi2ELi3ELi4EEEEEEES1E_lEEKNSL_INSM_IJSS_NS_8RightPadIiiLb0EEES1J_NST_INSM_IJiNSP_IiLi256EEEEEELb0EEES1M_EEENSM_IJSY_S10_SZ_NSC_IJLi3EEEENSC_IJLi4EEEEEEENSM_IJS12_S1O_S1P_NSC_IJLi5ELi6EEEENSC_IJLi7ELi8EEEEEEENSC_IJLi5ELi6ELi7ELi8EEEElEELb1ELNS_25InMemoryDataOperationEnumE0ELNS_10TailNumberE1EEEvPKS5_PKS6_PDF16_PvS24_RKNSJ_7ProblemERKT_RKT0_RKT1_i.a_block_slice_copy_step@rel32@lo+4
	s_addc_u32 s9, s9, __const._ZN2ck41GridwiseGemm_xdl_cshuffle_v3_b_preshuffleINS_13tensor_layout4gemm8RowMajorENS2_11ColumnMajorES3_NS_9f8_fnuz_tENS_7pk_i4_tEfDF16_DF16_NS_16tensor_operation12element_wise11PassThroughES9_S9_LNS7_6device18GemmSpecializationE0ELi256ELi256ELi256ELi128ELi16ELi32ELi16ELi16ELi8ELi8ENS_8SequenceIJLi8ELi32ELi1EEEENSC_IJLi1ELi0ELi2EEEESE_Li2ELi16ELi16ELb0ELi0ENSC_IJLi4ELi64ELi1EEEESE_SE_Li2ELi32ELi32ELb0ELi0ELi1ELi1ENSC_IJLi1ELi32ELi1ELi8EEEELi4ELNS_26BlockGemmPipelineSchedulerE0ELNS_24BlockGemmPipelineVersionE2ES5_S5_Lb0ELb0ELi0EE8Run_2LdsIKNS_16TensorDescriptorINS_5TupleIJNS_5EmbedINSM_IJiiEEENSM_IJiNS_17integral_constantIiLi1EEEEEELb0EEENS_7UnMergeISO_Lb0EEENS_11PassThroughIiEEEEENSM_IJNSC_IJLi0EEEENSC_IJLi2EEEENSC_IJLi1EEEEEEENSM_IJNSC_IJLi1ELi2EEEENSC_IJLi3ELi4EEEENSC_IJLi5EEEEEEENSC_IJLi3ELi5ELi4EEEElEEKNSL_INSM_IJNSN_INSM_IJiiiiEEENSM_IJiiiSQ_EEELb0EEEEEENSM_IJSY_EEENSM_IJNSC_IJLi1ELi2ELi3ELi4EEEEEEES1E_lEEKNSL_INSM_IJSS_NS_8RightPadIiiLb0EEES1J_NST_INSM_IJiNSP_IiLi256EEEEEELb0EEES1M_EEENSM_IJSY_S10_SZ_NSC_IJLi3EEEENSC_IJLi4EEEEEEENSM_IJS12_S1O_S1P_NSC_IJLi5ELi6EEEENSC_IJLi7ELi8EEEEEEENSC_IJLi5ELi6ELi7ELi8EEEElEELb1ELNS_25InMemoryDataOperationEnumE0ELNS_10TailNumberE1EEEvPKS5_PKS6_PDF16_PvS24_RKNSJ_7ProblemERKT_RKT0_RKT1_i.a_block_slice_copy_step@rel32@hi+12
	s_load_dwordx2 s[14:15], s[8:9], 0x0
	s_getpc_b64 s[8:9]
	s_add_u32 s8, s8, __const._ZN2ck41GridwiseGemm_xdl_cshuffle_v3_b_preshuffleINS_13tensor_layout4gemm8RowMajorENS2_11ColumnMajorES3_NS_9f8_fnuz_tENS_7pk_i4_tEfDF16_DF16_NS_16tensor_operation12element_wise11PassThroughES9_S9_LNS7_6device18GemmSpecializationE0ELi256ELi256ELi256ELi128ELi16ELi32ELi16ELi16ELi8ELi8ENS_8SequenceIJLi8ELi32ELi1EEEENSC_IJLi1ELi0ELi2EEEESE_Li2ELi16ELi16ELb0ELi0ENSC_IJLi4ELi64ELi1EEEESE_SE_Li2ELi32ELi32ELb0ELi0ELi1ELi1ENSC_IJLi1ELi32ELi1ELi8EEEELi4ELNS_26BlockGemmPipelineSchedulerE0ELNS_24BlockGemmPipelineVersionE2ES5_S5_Lb0ELb0ELi0EE8Run_2LdsIKNS_16TensorDescriptorINS_5TupleIJNS_5EmbedINSM_IJiiEEENSM_IJiNS_17integral_constantIiLi1EEEEEELb0EEENS_7UnMergeISO_Lb0EEENS_11PassThroughIiEEEEENSM_IJNSC_IJLi0EEEENSC_IJLi2EEEENSC_IJLi1EEEEEEENSM_IJNSC_IJLi1ELi2EEEENSC_IJLi3ELi4EEEENSC_IJLi5EEEEEEENSC_IJLi3ELi5ELi4EEEElEEKNSL_INSM_IJNSN_INSM_IJiiiiEEENSM_IJiiiSQ_EEELb0EEEEEENSM_IJSY_EEENSM_IJNSC_IJLi1ELi2ELi3ELi4EEEEEEES1E_lEEKNSL_INSM_IJSS_NS_8RightPadIiiLb0EEES1J_NST_INSM_IJiNSP_IiLi256EEEEEELb0EEES1M_EEENSM_IJSY_S10_SZ_NSC_IJLi3EEEENSC_IJLi4EEEEEEENSM_IJS12_S1O_S1P_NSC_IJLi5ELi6EEEENSC_IJLi7ELi8EEEEEEENSC_IJLi5ELi6ELi7ELi8EEEElEELb1ELNS_25InMemoryDataOperationEnumE0ELNS_10TailNumberE1EEEvPKS5_PKS6_PDF16_PvS24_RKNSJ_7ProblemERKT_RKT0_RKT1_i.b_block_slice_copy_step@rel32@lo+4
	s_addc_u32 s9, s9, __const._ZN2ck41GridwiseGemm_xdl_cshuffle_v3_b_preshuffleINS_13tensor_layout4gemm8RowMajorENS2_11ColumnMajorES3_NS_9f8_fnuz_tENS_7pk_i4_tEfDF16_DF16_NS_16tensor_operation12element_wise11PassThroughES9_S9_LNS7_6device18GemmSpecializationE0ELi256ELi256ELi256ELi128ELi16ELi32ELi16ELi16ELi8ELi8ENS_8SequenceIJLi8ELi32ELi1EEEENSC_IJLi1ELi0ELi2EEEESE_Li2ELi16ELi16ELb0ELi0ENSC_IJLi4ELi64ELi1EEEESE_SE_Li2ELi32ELi32ELb0ELi0ELi1ELi1ENSC_IJLi1ELi32ELi1ELi8EEEELi4ELNS_26BlockGemmPipelineSchedulerE0ELNS_24BlockGemmPipelineVersionE2ES5_S5_Lb0ELb0ELi0EE8Run_2LdsIKNS_16TensorDescriptorINS_5TupleIJNS_5EmbedINSM_IJiiEEENSM_IJiNS_17integral_constantIiLi1EEEEEELb0EEENS_7UnMergeISO_Lb0EEENS_11PassThroughIiEEEEENSM_IJNSC_IJLi0EEEENSC_IJLi2EEEENSC_IJLi1EEEEEEENSM_IJNSC_IJLi1ELi2EEEENSC_IJLi3ELi4EEEENSC_IJLi5EEEEEEENSC_IJLi3ELi5ELi4EEEElEEKNSL_INSM_IJNSN_INSM_IJiiiiEEENSM_IJiiiSQ_EEELb0EEEEEENSM_IJSY_EEENSM_IJNSC_IJLi1ELi2ELi3ELi4EEEEEEES1E_lEEKNSL_INSM_IJSS_NS_8RightPadIiiLb0EEES1J_NST_INSM_IJiNSP_IiLi256EEEEEELb0EEES1M_EEENSM_IJSY_S10_SZ_NSC_IJLi3EEEENSC_IJLi4EEEEEEENSM_IJS12_S1O_S1P_NSC_IJLi5ELi6EEEENSC_IJLi7ELi8EEEEEEENSC_IJLi5ELi6ELi7ELi8EEEElEELb1ELNS_25InMemoryDataOperationEnumE0ELNS_10TailNumberE1EEEvPKS5_PKS6_PDF16_PvS24_RKNSJ_7ProblemERKT_RKT0_RKT1_i.b_block_slice_copy_step@rel32@hi+12
	s_load_dwordx4 s[8:11], s[8:9], 0x0
	buffer_store_dword v0, off, s[0:3], 0 offset:876
	buffer_store_dword v2, off, s[0:3], 0 offset:872
	buffer_store_byte v2, off, s[0:3], 0 offset:881
	buffer_store_dword v0, off, s[0:3], 0 offset:892
	v_mov_b32_e32 v0, 0x8000
	buffer_store_dword v0, off, s[0:3], 0 offset:888
	buffer_store_byte v2, off, s[0:3], 0 offset:897
	s_waitcnt lgkmcnt(0)
	v_mov_b32_e32 v0, s15
	buffer_store_dword v0, off, s[0:3], 0 offset:908
	v_mov_b32_e32 v0, s14
	buffer_store_dword v0, off, s[0:3], 0 offset:904
	buffer_store_dword v2, off, s[0:3], 0 offset:912
	v_mov_b32_e32 v0, s11
	buffer_store_dword v0, off, s[0:3], 0 offset:928
	v_mov_b32_e32 v0, s10
	;; [unrolled: 2-line block ×5, first 2 shown]
	v_mov_b32_e32 v4, 0x3b0
	s_mov_b64 s[8:9], 0
	v_mov_b32_e32 v1, 0
.LBB63_11:                              ; =>This Inner Loop Header: Depth=1
	s_add_u32 s8, s8, 1
	s_addc_u32 s9, s9, 0
	v_cmp_lt_u64_e32 vcc, s[8:9], v[0:1]
	buffer_store_byte v2, v4, s[0:3], 0 offen
	v_add_u32_e32 v4, 1, v4
	s_cbranch_vccnz .LBB63_11
; %bb.12:
	v_and_b32_e32 v0, 63, v41
	v_and_b32_e32 v2, 48, v41
	v_lshrrev_b32_e32 v1, 7, v41
	v_sub_u32_e32 v0, v0, v2
	v_lshl_add_u32 v4, v1, 4, v0
	v_ashrrev_i16_e32 v6, 15, v4
	v_lshrrev_b16_e32 v6, 13, v6
	v_lshlrev_b32_e32 v2, 1, v41
	v_add_u16_e32 v6, v4, v6
	v_and_b32_e32 v2, 0x60, v2
	v_and_b32_e32 v6, -8, v6
	v_lshrrev_b32_e32 v5, 4, v2
	v_sub_u16_e32 v6, v4, v6
	v_xor_b32_sdwa v7, v5, sext(v6) dst_sel:DWORD dst_unused:UNUSED_PAD src0_sel:DWORD src1_sel:WORD_0
	v_lshlrev_b32_e32 v8, 7, v4
	v_lshl_add_u32 v9, v7, 4, v8
	buffer_store_dword v9, off, s[0:3], 0 offset:1968
	buffer_store_dword v7, off, s[0:3], 0 offset:1972
	;; [unrolled: 1-line block ×12, first 2 shown]
	v_lshl_add_u32 v5, v3, 4, v0
	v_add_lshl_u32 v7, v5, v2, 5
	buffer_store_dword v7, off, s[0:3], 0 offset:2040
	buffer_store_dword v2, off, s[0:3], 0 offset:2044
	;; [unrolled: 1-line block ×6, first 2 shown]
	v_bfe_u32 v2, v41, 4, 2
	v_lshlrev_b32_e32 v5, 1, v2
	v_xor_b32_sdwa v6, v5, sext(v6) dst_sel:DWORD dst_unused:UNUSED_PAD src0_sel:DWORD src1_sel:WORD_0
	v_lshl_add_u32 v7, v6, 4, v8
	v_lshlrev_b32_e32 v3, 5, v2
	buffer_store_dword v7, off, s[0:3], 0 offset:2076
	buffer_store_dword v6, off, s[0:3], 0 offset:2080
	;; [unrolled: 1-line block ×15, first 2 shown]
	v_mov_b32_e32 v0, 0
	buffer_store_dword v0, off, s[0:3], 0 offset:3196
	buffer_store_dword v0, off, s[0:3], 0 offset:3192
	;; [unrolled: 1-line block ×177, first 2 shown]
	buffer_load_dword v1, off, s[0:3], 0 offset:3216
	buffer_load_dword v2, off, s[0:3], 0 offset:3220
	s_nop 0
	buffer_store_dword v0, off, s[0:3], 0 offset:2488
	buffer_store_dword v0, off, s[0:3], 0 offset:2484
	;; [unrolled: 1-line block ×79, first 2 shown]
	s_lshl_b64 s[4:5], s[4:5], 1
	s_add_u32 s52, s6, s4
	s_addc_u32 s53, s7, s5
	s_mov_b64 s[4:5], src_private_base
	s_mul_i32 s13, s13, s56
	s_mul_hi_u32 s51, s12, s56
	s_add_i32 s51, s51, s13
	v_mov_b32_e32 v3, s5
	v_mov_b32_e32 v4, 48
	;; [unrolled: 1-line block ×19, first 2 shown]
	s_getpc_b64 s[6:7]
	s_add_u32 s6, s6, _ZNK2ck52BlockwiseGemmXdlops_pipeline_bpreshuffle_bdequant_v3ILNS_26BlockGemmPipelineSchedulerE0ELi256ENS_9f8_fnuz_tENS_7pk_i4_tES2_fNS_16TensorDescriptorINS_5TupleIJNS_5EmbedINS5_IJNS_17integral_constantIiLi8EEENS7_IiLi256EEENS7_IiLi16EEEEEENS5_IJSA_NS7_IiLi128EEENS7_IiLi1EEEEEELb0EEENS_3XorINS5_IJS9_S8_EEELb1EEENS_11PassThroughISA_EENS_7UnMergeINS5_IJS8_SD_EEELb0EEENSJ_IS9_EESK_NSJ_IS8_EENS_21Merge_v3_division_modINS5_IJS9_SD_EEEEESK_EEENS5_IJNS_8SequenceIJLi0EEEENSU_IJLi2ELi1EEEENSU_IJLi3EEEENSU_IJLi5EEEENSU_IJLi4EEEENSU_IJLi6EEEENSU_IJLi7EEEENSU_IJLi9ELi8EEEENSU_IJLi10EEEEEEENS5_IJNSU_IJLi1ELi2ELi3EEEENSU_IJLi4ELi5EEEES10_NSU_IJLi7ELi8EEEENSU_IJLi9EEEES13_NSU_IJLi11EEEENSU_IJLi12EEEENSU_IJLi13EEEEEEENSU_IJLi11ELi12ELi13EEEENS7_IlLl32768EEEEENS4_INS5_IJNSL_INS5_IJS8_SD_SD_NS7_IiLi32EEEEEELb0EEEEEENS5_IJSV_EEENS5_IJNSU_IJLi1ELi2ELi3ELi4EEEEEEES1L_NS7_IlLl256EEEEENS4_INS5_IJSF_SI_SK_SN_SO_SK_SP_SS_SK_NSQ_INS5_IJS8_SA_EEEEENSL_INS5_IJS8_NS7_IiLi2EEESA_EEELb0EEEEEENS5_IJSV_SW_SX_SY_SZ_S10_S11_S12_S13_NSU_IJLi11ELi13EEEES1A_EEENS5_IJS15_S16_S10_S17_S18_S13_S19_S1A_S1B_NSU_IJLi14EEEENSU_IJLi15ELi16ELi17EEEEEEENSU_IJLi15ELi16ELi17ELi14EEEES1E_EENS4_INS5_IJS1I_NSQ_ISM_EES1T_EEENS5_IJSV_NSU_IJLi1ELi3EEEENSU_IJLi2EEEEEEENS5_IJS1L_SY_NSU_IJLi6ELi7ELi8EEEEEEENSU_IJLi6ELi7ELi8ELi5EEEES1N_EELi16ELi32ELi256ELi256ELi128ELi16ELi16ELi8ELi8ELi32ELb0EE3RunILb1ELNS_10TailNumberE1ENS4_INS5_IJNS6_INS5_IJiiEEENS5_IJiSD_EEELb0EEENSL_IS2E_Lb0EEENSJ_IiEEEEENS5_IJSV_S25_NSU_IJLi1EEEEEEENS5_IJNSU_IJLi1ELi2EEEENSU_IJLi3ELi4EEEESY_EEENSU_IJLi3ELi5ELi4EEEElEES1F_NS_35ThreadGroupTensorSliceTransfer_v4r1INS_15ThisThreadBlockILi256EEENS_16tensor_operation12element_wise11PassThroughES2W_LNS_25InMemoryDataOperationEnumE0ENSU_IJLi8ELi256ELi16EEEENSU_IJLi8ELi32ELi1EEEENSU_IJLi1ELi0ELi2EEEES2_S2_RKS2Q_KS1F_S30_NSU_IJLi0ELi1ELi2EEEELi2ELi2ELi16ELi16ELi1ELi1ELb0ELb1ELi2EiEENS_13DynamicBufferILNS_16AddressSpaceEnumE1EKS2_lLb1ELNS_22AmdBufferCoherenceEnumE0EiEENS5_IJNS36_ILS37_2ES2_S1E_Lb1ELS39_0EiEES3B_EEENS5_IJiiiEEENS4_INS5_IJNS6_INS5_IJiiiiEEENS5_IJiiiSD_EEELb0EEEEEES1K_S1M_S1L_lEENS_32ThreadwiseTensorSliceTransfer_v2IS3_S3_RKS3I_KS1O_NSU_IJLi8ELi1ELi1ELi32EEEENSU_IJLi1ELi2ELi0ELi3EEEELi3ELi32ELi0ELb1ELb0ELb0EEENS36_ILS37_1EKS3_lLb1ELS39_0EiEENS5_IJNS_12StaticBufferILS37_4ES3_Li256ELb1EEES3T_EEES3E_NS_25StaticBufferTupleOfVectorILS37_4EfLi64ELi4ELb1ELb0EEEEEvRKT1_RKT2_RT3_RKT4_RT5_RKT6_RKT7_RT8_RKT9_RT10_RKT11_RT12_i@rel32@lo+4
	s_addc_u32 s7, s7, _ZNK2ck52BlockwiseGemmXdlops_pipeline_bpreshuffle_bdequant_v3ILNS_26BlockGemmPipelineSchedulerE0ELi256ENS_9f8_fnuz_tENS_7pk_i4_tES2_fNS_16TensorDescriptorINS_5TupleIJNS_5EmbedINS5_IJNS_17integral_constantIiLi8EEENS7_IiLi256EEENS7_IiLi16EEEEEENS5_IJSA_NS7_IiLi128EEENS7_IiLi1EEEEEELb0EEENS_3XorINS5_IJS9_S8_EEELb1EEENS_11PassThroughISA_EENS_7UnMergeINS5_IJS8_SD_EEELb0EEENSJ_IS9_EESK_NSJ_IS8_EENS_21Merge_v3_division_modINS5_IJS9_SD_EEEEESK_EEENS5_IJNS_8SequenceIJLi0EEEENSU_IJLi2ELi1EEEENSU_IJLi3EEEENSU_IJLi5EEEENSU_IJLi4EEEENSU_IJLi6EEEENSU_IJLi7EEEENSU_IJLi9ELi8EEEENSU_IJLi10EEEEEEENS5_IJNSU_IJLi1ELi2ELi3EEEENSU_IJLi4ELi5EEEES10_NSU_IJLi7ELi8EEEENSU_IJLi9EEEES13_NSU_IJLi11EEEENSU_IJLi12EEEENSU_IJLi13EEEEEEENSU_IJLi11ELi12ELi13EEEENS7_IlLl32768EEEEENS4_INS5_IJNSL_INS5_IJS8_SD_SD_NS7_IiLi32EEEEEELb0EEEEEENS5_IJSV_EEENS5_IJNSU_IJLi1ELi2ELi3ELi4EEEEEEES1L_NS7_IlLl256EEEEENS4_INS5_IJSF_SI_SK_SN_SO_SK_SP_SS_SK_NSQ_INS5_IJS8_SA_EEEEENSL_INS5_IJS8_NS7_IiLi2EEESA_EEELb0EEEEEENS5_IJSV_SW_SX_SY_SZ_S10_S11_S12_S13_NSU_IJLi11ELi13EEEES1A_EEENS5_IJS15_S16_S10_S17_S18_S13_S19_S1A_S1B_NSU_IJLi14EEEENSU_IJLi15ELi16ELi17EEEEEEENSU_IJLi15ELi16ELi17ELi14EEEES1E_EENS4_INS5_IJS1I_NSQ_ISM_EES1T_EEENS5_IJSV_NSU_IJLi1ELi3EEEENSU_IJLi2EEEEEEENS5_IJS1L_SY_NSU_IJLi6ELi7ELi8EEEEEEENSU_IJLi6ELi7ELi8ELi5EEEES1N_EELi16ELi32ELi256ELi256ELi128ELi16ELi16ELi8ELi8ELi32ELb0EE3RunILb1ELNS_10TailNumberE1ENS4_INS5_IJNS6_INS5_IJiiEEENS5_IJiSD_EEELb0EEENSL_IS2E_Lb0EEENSJ_IiEEEEENS5_IJSV_S25_NSU_IJLi1EEEEEEENS5_IJNSU_IJLi1ELi2EEEENSU_IJLi3ELi4EEEESY_EEENSU_IJLi3ELi5ELi4EEEElEES1F_NS_35ThreadGroupTensorSliceTransfer_v4r1INS_15ThisThreadBlockILi256EEENS_16tensor_operation12element_wise11PassThroughES2W_LNS_25InMemoryDataOperationEnumE0ENSU_IJLi8ELi256ELi16EEEENSU_IJLi8ELi32ELi1EEEENSU_IJLi1ELi0ELi2EEEES2_S2_RKS2Q_KS1F_S30_NSU_IJLi0ELi1ELi2EEEELi2ELi2ELi16ELi16ELi1ELi1ELb0ELb1ELi2EiEENS_13DynamicBufferILNS_16AddressSpaceEnumE1EKS2_lLb1ELNS_22AmdBufferCoherenceEnumE0EiEENS5_IJNS36_ILS37_2ES2_S1E_Lb1ELS39_0EiEES3B_EEENS5_IJiiiEEENS4_INS5_IJNS6_INS5_IJiiiiEEENS5_IJiiiSD_EEELb0EEEEEES1K_S1M_S1L_lEENS_32ThreadwiseTensorSliceTransfer_v2IS3_S3_RKS3I_KS1O_NSU_IJLi8ELi1ELi1ELi32EEEENSU_IJLi1ELi2ELi0ELi3EEEELi3ELi32ELi0ELb1ELb0ELb0EEENS36_ILS37_1EKS3_lLb1ELS39_0EiEENS5_IJNS_12StaticBufferILS37_4ES3_Li256ELb1EEES3T_EEES3E_NS_25StaticBufferTupleOfVectorILS37_4EfLi64ELi4ELb1ELb0EEEEEvRKT1_RKT2_RT3_RKT4_RT5_RKT6_RKT7_RT8_RKT9_RT10_RKT11_RT12_i@rel32@hi+12
	s_waitcnt vmcnt(62)
	v_mul_lo_u32 v0, v2, v1
	v_ashrrev_i32_e32 v1, 31, v0
	v_lshrrev_b32_e32 v1, 25, v1
	v_add_u32_e32 v0, v0, v1
	v_ashrrev_i32_e32 v0, 7, v0
	v_readfirstlane_b32 s4, v0
	v_mov_b32_e32 v0, 0x3b0
	v_mov_b32_e32 v1, s5
	;; [unrolled: 1-line block ×4, first 2 shown]
	s_swappc_b64 s[30:31], s[6:7]
	s_waitcnt lgkmcnt(0)
	s_barrier
	buffer_load_dword v5, off, s[0:3], 0 offset:2176
	buffer_load_dword v7, off, s[0:3], 0 offset:2180
	;; [unrolled: 1-line block ×4, first 2 shown]
	v_and_b32_e32 v0, 15, v41
	v_lshrrev_b32_e32 v1, 2, v41
	v_lshlrev_b32_e32 v3, 2, v41
	v_lshlrev_b32_e32 v4, 3, v41
	s_movk_i32 s4, 0x180
	v_lshrrev_b32_e32 v10, 3, v41
	v_and_b32_e32 v1, 16, v1
	v_and_b32_e32 v6, 0x200, v3
	v_and_or_b32 v0, v4, s4, v0
	v_and_b32_e32 v3, 28, v3
	s_add_i32 s5, s49, s51
	v_lshl_or_b32 v4, s50, 8, v10
	v_or3_b32 v11, v0, v6, v1
	v_lshl_or_b32 v6, s47, 8, v3
	s_lshl_b32 s54, s5, 1
	v_lshlrev_b32_e32 v12, 1, v3
	v_lshlrev_b32_e32 v3, 1, v11
	v_cmp_gt_i32_e64 s[18:19], s48, v4
	v_cmp_gt_i32_e32 vcc, s49, v6
	v_bfrev_b32_e32 v2, 1
	s_mov_b32 s55, 0x20000
	v_or_b32_e32 v11, 32, v6
	s_lshl_b32 s22, s56, 5
	v_or_b32_e32 v21, 64, v4
	v_or_b32_e32 v33, 0x60, v4
	s_waitcnt vmcnt(3)
	v_cvt_f16_f32_e32 v5, v5
	s_waitcnt vmcnt(2)
	v_mad_u64_u32 v[0:1], s[4:5], v4, s56, v[6:7]
	v_cvt_f16_f32_e32 v7, v7
	s_waitcnt vmcnt(1)
	v_cvt_f16_f32_e32 v8, v8
	v_lshl_or_b32 v1, v10, 6, v12
	s_waitcnt vmcnt(0)
	v_cvt_f16_f32_e32 v9, v9
	ds_write_b16 v3, v5
	ds_write_b16 v3, v7 offset:64
	ds_write_b16 v3, v8 offset:128
	;; [unrolled: 1-line block ×3, first 2 shown]
	s_waitcnt lgkmcnt(0)
	s_barrier
	ds_read_b64 v[8:9], v1
	s_and_b64 s[4:5], s[18:19], vcc
	v_lshlrev_b32_e32 v5, 1, v0
	v_cndmask_b32_e64 v7, v2, 0, s[4:5]
	v_add_u32_e32 v7, v7, v5
	s_waitcnt lgkmcnt(0)
	buffer_store_dwordx2 v[8:9], v7, s[52:55], 0 offen
	s_waitcnt lgkmcnt(0)
	s_barrier
	buffer_load_dword v7, off, s[0:3], 0 offset:2192
	buffer_load_dword v8, off, s[0:3], 0 offset:2196
	;; [unrolled: 1-line block ×4, first 2 shown]
	v_cmp_gt_i32_e64 s[4:5], s49, v11
	s_and_b64 s[6:7], s[18:19], s[4:5]
	v_or_b32_e32 v11, 64, v6
	s_waitcnt vmcnt(3)
	v_cvt_f16_f32_e32 v7, v7
	s_waitcnt vmcnt(2)
	v_cvt_f16_f32_e32 v8, v8
	s_waitcnt vmcnt(1)
	v_cvt_f16_f32_e32 v9, v9
	s_waitcnt vmcnt(0)
	v_cvt_f16_f32_e32 v10, v10
	ds_write_b16 v3, v7
	ds_write_b16 v3, v8 offset:64
	ds_write_b16 v3, v9 offset:128
	ds_write_b16 v3, v10 offset:192
	s_waitcnt lgkmcnt(0)
	s_barrier
	ds_read_b64 v[8:9], v1
	v_cndmask_b32_e64 v7, v2, 0, s[6:7]
	v_add_u32_e32 v7, v5, v7
	v_cmp_gt_i32_e64 s[6:7], s49, v11
	s_and_b64 s[8:9], s[18:19], s[6:7]
	s_waitcnt lgkmcnt(0)
	buffer_store_dwordx2 v[8:9], v7, s[52:55], 0 offen offset:64
	s_waitcnt lgkmcnt(0)
	s_barrier
	buffer_load_dword v7, off, s[0:3], 0 offset:2208
	buffer_load_dword v8, off, s[0:3], 0 offset:2212
	buffer_load_dword v9, off, s[0:3], 0 offset:2216
	buffer_load_dword v10, off, s[0:3], 0 offset:2220
	v_or_b32_e32 v11, 0x60, v6
	s_waitcnt vmcnt(3)
	v_cvt_f16_f32_e32 v7, v7
	s_waitcnt vmcnt(2)
	v_cvt_f16_f32_e32 v8, v8
	s_waitcnt vmcnt(1)
	v_cvt_f16_f32_e32 v9, v9
	s_waitcnt vmcnt(0)
	v_cvt_f16_f32_e32 v10, v10
	ds_write_b16 v3, v7
	ds_write_b16 v3, v8 offset:64
	ds_write_b16 v3, v9 offset:128
	ds_write_b16 v3, v10 offset:192
	s_waitcnt lgkmcnt(0)
	s_barrier
	ds_read_b64 v[8:9], v1
	v_cndmask_b32_e64 v7, v2, 0, s[8:9]
	v_add_u32_e32 v7, v5, v7
	v_cmp_gt_i32_e64 s[8:9], s49, v11
	s_and_b64 s[10:11], s[18:19], s[8:9]
	s_waitcnt lgkmcnt(0)
	buffer_store_dwordx2 v[8:9], v7, s[52:55], 0 offen offset:128
	s_waitcnt lgkmcnt(0)
	s_barrier
	buffer_load_dword v7, off, s[0:3], 0 offset:2224
	buffer_load_dword v8, off, s[0:3], 0 offset:2228
	buffer_load_dword v9, off, s[0:3], 0 offset:2232
	buffer_load_dword v10, off, s[0:3], 0 offset:2236
	;; [unrolled: 28-line block ×5, first 2 shown]
	v_add_u32_e32 v11, 0xe0, v0
	v_add_lshl_u32 v20, v11, s22, 1
	v_add_u32_e32 v0, s22, v0
	v_add_u32_e32 v30, s22, v0
	v_lshlrev_b32_e32 v31, 1, v30
	s_waitcnt vmcnt(3)
	v_cvt_f16_f32_e32 v7, v7
	s_waitcnt vmcnt(2)
	v_cvt_f16_f32_e32 v8, v8
	;; [unrolled: 2-line block ×4, first 2 shown]
	ds_write_b16 v3, v7
	ds_write_b16 v3, v8 offset:64
	ds_write_b16 v3, v9 offset:128
	;; [unrolled: 1-line block ×3, first 2 shown]
	s_waitcnt lgkmcnt(0)
	s_barrier
	ds_read_b64 v[8:9], v1
	v_cndmask_b32_e64 v7, v2, 0, s[16:17]
	v_add_u32_e32 v5, v5, v7
	v_or_b32_e32 v10, 0xe0, v6
	v_cmp_gt_i32_e64 s[16:17], s49, v10
	s_waitcnt lgkmcnt(0)
	buffer_store_dwordx2 v[8:9], v5, s[52:55], 0 offen offset:384
	s_waitcnt lgkmcnt(0)
	s_barrier
	buffer_load_dword v5, off, s[0:3], 0 offset:2288
	buffer_load_dword v7, off, s[0:3], 0 offset:2292
	;; [unrolled: 1-line block ×4, first 2 shown]
	s_and_b64 s[18:19], s[18:19], s[16:17]
	s_waitcnt vmcnt(3)
	v_cvt_f16_f32_e32 v5, v5
	s_waitcnt vmcnt(2)
	v_cvt_f16_f32_e32 v6, v7
	;; [unrolled: 2-line block ×4, first 2 shown]
	ds_write_b16 v3, v5
	ds_write_b16 v3, v6 offset:64
	ds_write_b16 v3, v7 offset:128
	;; [unrolled: 1-line block ×3, first 2 shown]
	s_waitcnt lgkmcnt(0)
	s_barrier
	ds_read_b64 v[6:7], v1
	v_cndmask_b32_e64 v5, v2, 0, s[18:19]
	v_lshl_add_u32 v5, v11, 1, v5
	v_or_b32_e32 v9, 32, v4
	v_cmp_gt_i32_e64 s[18:19], s48, v9
	s_waitcnt lgkmcnt(0)
	buffer_store_dwordx2 v[6:7], v5, s[52:55], 0 offen
	s_waitcnt lgkmcnt(0)
	s_barrier
	buffer_load_dword v5, off, s[0:3], 0 offset:2416
	buffer_load_dword v6, off, s[0:3], 0 offset:2420
	;; [unrolled: 1-line block ×4, first 2 shown]
	s_and_b64 s[20:21], s[18:19], s[16:17]
	s_waitcnt vmcnt(3)
	v_cvt_f16_f32_e32 v5, v5
	s_waitcnt vmcnt(2)
	v_cvt_f16_f32_e32 v6, v6
	s_waitcnt vmcnt(1)
	v_cvt_f16_f32_e32 v7, v7
	s_waitcnt vmcnt(0)
	v_cvt_f16_f32_e32 v8, v8
	ds_write_b16 v3, v5
	ds_write_b16 v3, v6 offset:64
	ds_write_b16 v3, v7 offset:128
	;; [unrolled: 1-line block ×3, first 2 shown]
	s_waitcnt lgkmcnt(0)
	s_barrier
	ds_read_b64 v[6:7], v1
	v_cndmask_b32_e64 v5, v2, 0, s[20:21]
	v_add_u32_e32 v5, v20, v5
	s_and_b64 s[20:21], s[18:19], s[14:15]
	s_waitcnt lgkmcnt(0)
	buffer_store_dwordx2 v[6:7], v5, s[52:55], 0 offen
	s_waitcnt lgkmcnt(0)
	s_barrier
	buffer_load_dword v6, off, s[0:3], 0 offset:2400
	buffer_load_dword v7, off, s[0:3], 0 offset:2404
	;; [unrolled: 1-line block ×4, first 2 shown]
	v_mov_b32_e32 v5, 0x7fffffc0
	s_waitcnt vmcnt(3)
	v_cvt_f16_f32_e32 v6, v6
	s_waitcnt vmcnt(2)
	v_cvt_f16_f32_e32 v7, v7
	;; [unrolled: 2-line block ×4, first 2 shown]
	ds_write_b16 v3, v6
	ds_write_b16 v3, v7 offset:64
	ds_write_b16 v3, v8 offset:128
	;; [unrolled: 1-line block ×3, first 2 shown]
	s_waitcnt lgkmcnt(0)
	s_barrier
	ds_read_b64 v[8:9], v1
	v_not_b32_e32 v7, 63
	v_cndmask_b32_e64 v6, v5, v7, s[20:21]
	v_add_u32_e32 v6, v20, v6
	s_and_b64 s[20:21], s[18:19], s[12:13]
	s_waitcnt lgkmcnt(0)
	buffer_store_dwordx2 v[8:9], v6, s[52:55], 0 offen
	s_waitcnt lgkmcnt(0)
	s_barrier
	buffer_load_dword v8, off, s[0:3], 0 offset:2384
	buffer_load_dword v9, off, s[0:3], 0 offset:2388
	buffer_load_dword v10, off, s[0:3], 0 offset:2392
	buffer_load_dword v11, off, s[0:3], 0 offset:2396
	v_mov_b32_e32 v6, 0x7fffff80
	s_waitcnt vmcnt(3)
	v_cvt_f16_f32_e32 v8, v8
	s_waitcnt vmcnt(2)
	v_cvt_f16_f32_e32 v9, v9
	s_waitcnt vmcnt(1)
	v_cvt_f16_f32_e32 v10, v10
	s_waitcnt vmcnt(0)
	v_cvt_f16_f32_e32 v11, v11
	ds_write_b16 v3, v8
	ds_write_b16 v3, v9 offset:64
	ds_write_b16 v3, v10 offset:128
	ds_write_b16 v3, v11 offset:192
	s_waitcnt lgkmcnt(0)
	s_barrier
	ds_read_b64 v[10:11], v1
	v_mov_b32_e32 v9, 0xffffff80
	v_cndmask_b32_e64 v8, v6, v9, s[20:21]
	v_add_u32_e32 v8, v20, v8
	s_and_b64 s[20:21], s[18:19], s[10:11]
	s_waitcnt lgkmcnt(0)
	buffer_store_dwordx2 v[10:11], v8, s[52:55], 0 offen
	s_waitcnt lgkmcnt(0)
	s_barrier
	buffer_load_dword v10, off, s[0:3], 0 offset:2368
	buffer_load_dword v11, off, s[0:3], 0 offset:2372
	buffer_load_dword v12, off, s[0:3], 0 offset:2376
	buffer_load_dword v13, off, s[0:3], 0 offset:2380
	v_mov_b32_e32 v8, 0x7fffff40
	s_waitcnt vmcnt(3)
	v_cvt_f16_f32_e32 v10, v10
	s_waitcnt vmcnt(2)
	v_cvt_f16_f32_e32 v11, v11
	s_waitcnt vmcnt(1)
	v_cvt_f16_f32_e32 v12, v12
	s_waitcnt vmcnt(0)
	v_cvt_f16_f32_e32 v13, v13
	ds_write_b16 v3, v10
	ds_write_b16 v3, v11 offset:64
	ds_write_b16 v3, v12 offset:128
	ds_write_b16 v3, v13 offset:192
	s_waitcnt lgkmcnt(0)
	s_barrier
	ds_read_b64 v[12:13], v1
	v_mov_b32_e32 v11, 0xffffff40
	;; [unrolled: 28-line block ×4, first 2 shown]
	v_cndmask_b32_e64 v14, v12, v15, s[20:21]
	v_add_u32_e32 v14, v20, v14
	s_and_b64 s[20:21], s[18:19], s[4:5]
	s_waitcnt lgkmcnt(0)
	buffer_store_dwordx2 v[16:17], v14, s[52:55], 0 offen
	s_waitcnt lgkmcnt(0)
	s_barrier
	buffer_load_dword v16, off, s[0:3], 0 offset:2320
	buffer_load_dword v17, off, s[0:3], 0 offset:2324
	;; [unrolled: 1-line block ×4, first 2 shown]
	v_mov_b32_e32 v14, 0x7ffffe80
	s_and_b64 s[18:19], vcc, s[18:19]
	s_waitcnt vmcnt(3)
	v_cvt_f16_f32_e32 v16, v16
	s_waitcnt vmcnt(2)
	v_cvt_f16_f32_e32 v17, v17
	;; [unrolled: 2-line block ×4, first 2 shown]
	ds_write_b16 v3, v16
	ds_write_b16 v3, v17 offset:64
	ds_write_b16 v3, v18 offset:128
	;; [unrolled: 1-line block ×3, first 2 shown]
	s_waitcnt lgkmcnt(0)
	s_barrier
	ds_read_b64 v[18:19], v1
	v_mov_b32_e32 v16, 0xfffffe80
	v_cndmask_b32_e64 v17, v14, v16, s[20:21]
	v_add_u32_e32 v17, v20, v17
	s_waitcnt lgkmcnt(0)
	buffer_store_dwordx2 v[18:19], v17, s[52:55], 0 offen
	s_waitcnt lgkmcnt(0)
	s_barrier
	buffer_load_dword v17, off, s[0:3], 0 offset:2304
	buffer_load_dword v18, off, s[0:3], 0 offset:2308
	;; [unrolled: 1-line block ×4, first 2 shown]
	s_waitcnt vmcnt(3)
	v_cvt_f16_f32_e32 v17, v17
	s_waitcnt vmcnt(2)
	v_cvt_f16_f32_e32 v18, v18
	;; [unrolled: 2-line block ×4, first 2 shown]
	ds_write_b16 v3, v17
	ds_write_b16 v3, v18 offset:64
	ds_write_b16 v3, v19 offset:128
	;; [unrolled: 1-line block ×3, first 2 shown]
	s_waitcnt lgkmcnt(0)
	s_barrier
	ds_read_b64 v[18:19], v1
	v_cndmask_b32_e64 v17, v2, 0, s[18:19]
	v_lshl_add_u32 v17, v0, 1, v17
	v_cmp_gt_i32_e64 s[18:19], s48, v21
	s_and_b64 s[20:21], vcc, s[18:19]
	s_waitcnt lgkmcnt(0)
	buffer_store_dwordx2 v[18:19], v17, s[52:55], 0 offen
	s_waitcnt lgkmcnt(0)
	s_barrier
	buffer_load_dword v17, off, s[0:3], 0 offset:2432
	buffer_load_dword v18, off, s[0:3], 0 offset:2436
	;; [unrolled: 1-line block ×4, first 2 shown]
	s_waitcnt vmcnt(3)
	v_cvt_f16_f32_e32 v17, v17
	s_waitcnt vmcnt(2)
	v_cvt_f16_f32_e32 v18, v18
	;; [unrolled: 2-line block ×4, first 2 shown]
	ds_write_b16 v3, v17
	ds_write_b16 v3, v18 offset:64
	ds_write_b16 v3, v19 offset:128
	;; [unrolled: 1-line block ×3, first 2 shown]
	s_waitcnt lgkmcnt(0)
	s_barrier
	ds_read_b64 v[18:19], v1
	v_cndmask_b32_e64 v17, v2, 0, s[20:21]
	v_add_u32_e32 v0, v31, v17
	s_and_b64 s[20:21], s[18:19], s[4:5]
	s_waitcnt lgkmcnt(0)
	buffer_store_dwordx2 v[18:19], v0, s[52:55], 0 offen
	s_waitcnt lgkmcnt(0)
	s_barrier
	buffer_load_dword v0, off, s[0:3], 0 offset:2448
	buffer_load_dword v17, off, s[0:3], 0 offset:2452
	;; [unrolled: 1-line block ×4, first 2 shown]
	s_waitcnt vmcnt(3)
	v_cvt_f16_f32_e32 v0, v0
	s_waitcnt vmcnt(2)
	v_cvt_f16_f32_e32 v17, v17
	s_waitcnt vmcnt(1)
	v_cvt_f16_f32_e32 v18, v18
	s_waitcnt vmcnt(0)
	v_cvt_f16_f32_e32 v19, v19
	ds_write_b16 v3, v0
	ds_write_b16 v3, v17 offset:64
	ds_write_b16 v3, v18 offset:128
	ds_write_b16 v3, v19 offset:192
	s_waitcnt lgkmcnt(0)
	s_barrier
	ds_read_b64 v[18:19], v1
	v_mov_b32_e32 v17, 0x80000040
	v_cndmask_b32_e64 v0, v17, 64, s[20:21]
	v_add_u32_e32 v0, v31, v0
	s_and_b64 s[20:21], s[18:19], s[6:7]
	s_waitcnt lgkmcnt(0)
	buffer_store_dwordx2 v[18:19], v0, s[52:55], 0 offen
	s_waitcnt lgkmcnt(0)
	s_barrier
	buffer_load_dword v18, off, s[0:3], 0 offset:2464
	buffer_load_dword v19, off, s[0:3], 0 offset:2468
	buffer_load_dword v20, off, s[0:3], 0 offset:2472
	buffer_load_dword v21, off, s[0:3], 0 offset:2476
	v_mov_b32_e32 v0, 0x80000080
	s_waitcnt vmcnt(3)
	v_cvt_f16_f32_e32 v18, v18
	s_waitcnt vmcnt(2)
	v_cvt_f16_f32_e32 v19, v19
	s_waitcnt vmcnt(1)
	v_cvt_f16_f32_e32 v20, v20
	s_waitcnt vmcnt(0)
	v_cvt_f16_f32_e32 v21, v21
	ds_write_b16 v3, v18
	ds_write_b16 v3, v19 offset:64
	ds_write_b16 v3, v20 offset:128
	ds_write_b16 v3, v21 offset:192
	s_waitcnt lgkmcnt(0)
	s_barrier
	ds_read_b64 v[20:21], v1
	v_mov_b32_e32 v19, 0x80
	v_cndmask_b32_e64 v18, v0, v19, s[20:21]
	v_add_u32_e32 v18, v31, v18
	s_and_b64 s[20:21], s[18:19], s[8:9]
	s_waitcnt lgkmcnt(0)
	buffer_store_dwordx2 v[20:21], v18, s[52:55], 0 offen
	s_waitcnt lgkmcnt(0)
	s_barrier
	buffer_load_dword v20, off, s[0:3], 0 offset:2480
	buffer_load_dword v21, off, s[0:3], 0 offset:2484
	buffer_load_dword v22, off, s[0:3], 0 offset:2488
	buffer_load_dword v23, off, s[0:3], 0 offset:2492
	v_mov_b32_e32 v18, 0x800000c0
	;; [unrolled: 28-line block ×5, first 2 shown]
	s_and_b64 s[18:19], s[18:19], s[16:17]
	s_waitcnt vmcnt(3)
	v_cvt_f16_f32_e32 v26, v26
	s_waitcnt vmcnt(2)
	v_cvt_f16_f32_e32 v27, v27
	;; [unrolled: 2-line block ×4, first 2 shown]
	ds_write_b16 v3, v26
	ds_write_b16 v3, v27 offset:64
	ds_write_b16 v3, v28 offset:128
	;; [unrolled: 1-line block ×3, first 2 shown]
	s_waitcnt lgkmcnt(0)
	s_barrier
	ds_read_b64 v[28:29], v1
	v_mov_b32_e32 v26, 0x180
	v_cndmask_b32_e64 v27, v24, v26, s[20:21]
	v_add_u32_e32 v27, v31, v27
	s_waitcnt lgkmcnt(0)
	buffer_store_dwordx2 v[28:29], v27, s[52:55], 0 offen
	s_waitcnt lgkmcnt(0)
	s_barrier
	buffer_load_dword v27, off, s[0:3], 0 offset:2544
	buffer_load_dword v28, off, s[0:3], 0 offset:2548
	;; [unrolled: 1-line block ×4, first 2 shown]
	s_waitcnt vmcnt(3)
	v_cvt_f16_f32_e32 v27, v27
	s_waitcnt vmcnt(2)
	v_cvt_f16_f32_e32 v28, v28
	;; [unrolled: 2-line block ×4, first 2 shown]
	ds_write_b16 v3, v27
	ds_write_b16 v3, v28 offset:64
	ds_write_b16 v3, v29 offset:128
	;; [unrolled: 1-line block ×3, first 2 shown]
	s_waitcnt lgkmcnt(0)
	s_barrier
	ds_read_b64 v[28:29], v1
	v_cndmask_b32_e64 v27, v2, 0, s[18:19]
	v_add_u32_e32 v31, 0xe0, v30
	v_lshl_add_u32 v27, v31, 1, v27
	v_cmp_gt_i32_e64 s[18:19], s48, v33
	s_waitcnt lgkmcnt(0)
	buffer_store_dwordx2 v[28:29], v27, s[52:55], 0 offen
	s_waitcnt lgkmcnt(0)
	s_barrier
	buffer_load_dword v27, off, s[0:3], 0 offset:2672
	buffer_load_dword v28, off, s[0:3], 0 offset:2676
	buffer_load_dword v29, off, s[0:3], 0 offset:2680
	buffer_load_dword v32, off, s[0:3], 0 offset:2684
	s_and_b64 s[20:21], s[18:19], s[16:17]
	v_add_lshl_u32 v31, v31, s22, 1
	v_add_u32_e32 v30, s22, v30
	v_or_b32_e32 v33, 0xa0, v4
	s_waitcnt vmcnt(3)
	v_cvt_f16_f32_e32 v27, v27
	s_waitcnt vmcnt(2)
	v_cvt_f16_f32_e32 v28, v28
	s_waitcnt vmcnt(1)
	v_cvt_f16_f32_e32 v29, v29
	s_waitcnt vmcnt(0)
	v_cvt_f16_f32_e32 v32, v32
	ds_write_b16 v3, v27
	ds_write_b16 v3, v28 offset:64
	ds_write_b16 v3, v29 offset:128
	ds_write_b16 v3, v32 offset:192
	s_waitcnt lgkmcnt(0)
	s_barrier
	ds_read_b64 v[28:29], v1
	v_cndmask_b32_e64 v27, v2, 0, s[20:21]
	v_add_u32_e32 v27, v31, v27
	s_and_b64 s[20:21], s[18:19], s[14:15]
	s_waitcnt lgkmcnt(0)
	buffer_store_dwordx2 v[28:29], v27, s[52:55], 0 offen
	s_waitcnt lgkmcnt(0)
	s_barrier
	buffer_load_dword v27, off, s[0:3], 0 offset:2656
	buffer_load_dword v28, off, s[0:3], 0 offset:2660
	buffer_load_dword v29, off, s[0:3], 0 offset:2664
	buffer_load_dword v32, off, s[0:3], 0 offset:2668
	s_waitcnt vmcnt(3)
	v_cvt_f16_f32_e32 v27, v27
	s_waitcnt vmcnt(2)
	v_cvt_f16_f32_e32 v28, v28
	s_waitcnt vmcnt(1)
	v_cvt_f16_f32_e32 v29, v29
	s_waitcnt vmcnt(0)
	v_cvt_f16_f32_e32 v32, v32
	ds_write_b16 v3, v27
	ds_write_b16 v3, v28 offset:64
	ds_write_b16 v3, v29 offset:128
	ds_write_b16 v3, v32 offset:192
	s_waitcnt lgkmcnt(0)
	s_barrier
	ds_read_b64 v[28:29], v1
	v_cndmask_b32_e64 v27, v5, v7, s[20:21]
	v_add_u32_e32 v27, v31, v27
	s_and_b64 s[20:21], s[18:19], s[12:13]
	s_waitcnt lgkmcnt(0)
	buffer_store_dwordx2 v[28:29], v27, s[52:55], 0 offen
	s_waitcnt lgkmcnt(0)
	s_barrier
	buffer_load_dword v27, off, s[0:3], 0 offset:2640
	buffer_load_dword v28, off, s[0:3], 0 offset:2644
	buffer_load_dword v29, off, s[0:3], 0 offset:2648
	buffer_load_dword v32, off, s[0:3], 0 offset:2652
	;; [unrolled: 26-line block ×5, first 2 shown]
	s_waitcnt vmcnt(3)
	v_cvt_f16_f32_e32 v27, v27
	s_waitcnt vmcnt(2)
	v_cvt_f16_f32_e32 v28, v28
	;; [unrolled: 2-line block ×4, first 2 shown]
	ds_write_b16 v3, v27
	ds_write_b16 v3, v28 offset:64
	ds_write_b16 v3, v29 offset:128
	;; [unrolled: 1-line block ×3, first 2 shown]
	s_waitcnt lgkmcnt(0)
	s_barrier
	ds_read_b64 v[28:29], v1
	v_cndmask_b32_e64 v27, v12, v15, s[20:21]
	v_add_u32_e32 v27, v31, v27
	s_and_b64 s[20:21], s[18:19], s[4:5]
	s_and_b64 s[18:19], vcc, s[18:19]
	s_waitcnt lgkmcnt(0)
	buffer_store_dwordx2 v[28:29], v27, s[52:55], 0 offen
	s_waitcnt lgkmcnt(0)
	s_barrier
	buffer_load_dword v27, off, s[0:3], 0 offset:2576
	buffer_load_dword v28, off, s[0:3], 0 offset:2580
	;; [unrolled: 1-line block ×4, first 2 shown]
	s_waitcnt vmcnt(3)
	v_cvt_f16_f32_e32 v27, v27
	s_waitcnt vmcnt(2)
	v_cvt_f16_f32_e32 v28, v28
	;; [unrolled: 2-line block ×4, first 2 shown]
	ds_write_b16 v3, v27
	ds_write_b16 v3, v28 offset:64
	ds_write_b16 v3, v29 offset:128
	;; [unrolled: 1-line block ×3, first 2 shown]
	s_waitcnt lgkmcnt(0)
	s_barrier
	ds_read_b64 v[28:29], v1
	v_cndmask_b32_e64 v27, v14, v16, s[20:21]
	v_add_u32_e32 v27, v31, v27
	v_or_b32_e32 v32, 0x80, v4
	s_waitcnt lgkmcnt(0)
	buffer_store_dwordx2 v[28:29], v27, s[52:55], 0 offen
	s_waitcnt lgkmcnt(0)
	s_barrier
	buffer_load_dword v27, off, s[0:3], 0 offset:2560
	buffer_load_dword v28, off, s[0:3], 0 offset:2564
	buffer_load_dword v29, off, s[0:3], 0 offset:2568
	buffer_load_dword v31, off, s[0:3], 0 offset:2572
	s_waitcnt vmcnt(3)
	v_cvt_f16_f32_e32 v27, v27
	s_waitcnt vmcnt(2)
	v_cvt_f16_f32_e32 v28, v28
	s_waitcnt vmcnt(1)
	v_cvt_f16_f32_e32 v29, v29
	s_waitcnt vmcnt(0)
	v_cvt_f16_f32_e32 v31, v31
	ds_write_b16 v3, v27
	ds_write_b16 v3, v28 offset:64
	ds_write_b16 v3, v29 offset:128
	;; [unrolled: 1-line block ×3, first 2 shown]
	s_waitcnt lgkmcnt(0)
	s_barrier
	ds_read_b64 v[28:29], v1
	v_cndmask_b32_e64 v27, v2, 0, s[18:19]
	v_lshl_add_u32 v27, v30, 1, v27
	v_cmp_gt_i32_e64 s[18:19], s48, v32
	s_and_b64 s[20:21], vcc, s[18:19]
	s_waitcnt lgkmcnt(0)
	buffer_store_dwordx2 v[28:29], v27, s[52:55], 0 offen
	s_waitcnt lgkmcnt(0)
	s_barrier
	buffer_load_dword v27, off, s[0:3], 0 offset:2688
	buffer_load_dword v28, off, s[0:3], 0 offset:2692
	;; [unrolled: 1-line block ×4, first 2 shown]
	v_add_u32_e32 v30, s22, v30
	s_waitcnt vmcnt(3)
	v_cvt_f16_f32_e32 v27, v27
	s_waitcnt vmcnt(2)
	v_cvt_f16_f32_e32 v28, v28
	;; [unrolled: 2-line block ×4, first 2 shown]
	ds_write_b16 v3, v27
	ds_write_b16 v3, v28 offset:64
	ds_write_b16 v3, v29 offset:128
	;; [unrolled: 1-line block ×3, first 2 shown]
	s_waitcnt lgkmcnt(0)
	s_barrier
	ds_read_b64 v[28:29], v1
	v_cndmask_b32_e64 v27, v2, 0, s[20:21]
	v_lshlrev_b32_e32 v31, 1, v30
	v_add_u32_e32 v27, v31, v27
	s_and_b64 s[20:21], s[18:19], s[4:5]
	s_waitcnt lgkmcnt(0)
	buffer_store_dwordx2 v[28:29], v27, s[52:55], 0 offen
	s_waitcnt lgkmcnt(0)
	s_barrier
	buffer_load_dword v27, off, s[0:3], 0 offset:2704
	buffer_load_dword v28, off, s[0:3], 0 offset:2708
	buffer_load_dword v29, off, s[0:3], 0 offset:2712
	buffer_load_dword v32, off, s[0:3], 0 offset:2716
	s_waitcnt vmcnt(3)
	v_cvt_f16_f32_e32 v27, v27
	s_waitcnt vmcnt(2)
	v_cvt_f16_f32_e32 v28, v28
	s_waitcnt vmcnt(1)
	v_cvt_f16_f32_e32 v29, v29
	s_waitcnt vmcnt(0)
	v_cvt_f16_f32_e32 v32, v32
	ds_write_b16 v3, v27
	ds_write_b16 v3, v28 offset:64
	ds_write_b16 v3, v29 offset:128
	ds_write_b16 v3, v32 offset:192
	s_waitcnt lgkmcnt(0)
	s_barrier
	ds_read_b64 v[28:29], v1
	v_cndmask_b32_e64 v27, v17, 64, s[20:21]
	v_add_u32_e32 v27, v31, v27
	s_and_b64 s[20:21], s[18:19], s[6:7]
	s_waitcnt lgkmcnt(0)
	buffer_store_dwordx2 v[28:29], v27, s[52:55], 0 offen
	s_waitcnt lgkmcnt(0)
	s_barrier
	buffer_load_dword v27, off, s[0:3], 0 offset:2720
	buffer_load_dword v28, off, s[0:3], 0 offset:2724
	buffer_load_dword v29, off, s[0:3], 0 offset:2728
	buffer_load_dword v32, off, s[0:3], 0 offset:2732
	s_waitcnt vmcnt(3)
	v_cvt_f16_f32_e32 v27, v27
	s_waitcnt vmcnt(2)
	v_cvt_f16_f32_e32 v28, v28
	s_waitcnt vmcnt(1)
	v_cvt_f16_f32_e32 v29, v29
	s_waitcnt vmcnt(0)
	v_cvt_f16_f32_e32 v32, v32
	ds_write_b16 v3, v27
	ds_write_b16 v3, v28 offset:64
	ds_write_b16 v3, v29 offset:128
	ds_write_b16 v3, v32 offset:192
	s_waitcnt lgkmcnt(0)
	s_barrier
	ds_read_b64 v[28:29], v1
	v_cndmask_b32_e64 v27, v0, v19, s[20:21]
	;; [unrolled: 26-line block ×5, first 2 shown]
	v_add_u32_e32 v27, v31, v27
	s_and_b64 s[20:21], s[18:19], s[14:15]
	s_and_b64 s[18:19], s[18:19], s[16:17]
	s_waitcnt lgkmcnt(0)
	buffer_store_dwordx2 v[28:29], v27, s[52:55], 0 offen
	s_waitcnt lgkmcnt(0)
	s_barrier
	buffer_load_dword v27, off, s[0:3], 0 offset:2784
	buffer_load_dword v28, off, s[0:3], 0 offset:2788
	;; [unrolled: 1-line block ×4, first 2 shown]
	s_waitcnt vmcnt(3)
	v_cvt_f16_f32_e32 v27, v27
	s_waitcnt vmcnt(2)
	v_cvt_f16_f32_e32 v28, v28
	;; [unrolled: 2-line block ×4, first 2 shown]
	ds_write_b16 v3, v27
	ds_write_b16 v3, v28 offset:64
	ds_write_b16 v3, v29 offset:128
	;; [unrolled: 1-line block ×3, first 2 shown]
	s_waitcnt lgkmcnt(0)
	s_barrier
	ds_read_b64 v[28:29], v1
	v_cndmask_b32_e64 v27, v24, v26, s[20:21]
	v_add_u32_e32 v27, v31, v27
	s_waitcnt lgkmcnt(0)
	buffer_store_dwordx2 v[28:29], v27, s[52:55], 0 offen
	s_waitcnt lgkmcnt(0)
	s_barrier
	buffer_load_dword v27, off, s[0:3], 0 offset:2800
	buffer_load_dword v28, off, s[0:3], 0 offset:2804
	;; [unrolled: 1-line block ×4, first 2 shown]
	s_waitcnt vmcnt(3)
	v_cvt_f16_f32_e32 v27, v27
	s_waitcnt vmcnt(2)
	v_cvt_f16_f32_e32 v28, v28
	;; [unrolled: 2-line block ×4, first 2 shown]
	ds_write_b16 v3, v27
	ds_write_b16 v3, v28 offset:64
	ds_write_b16 v3, v29 offset:128
	;; [unrolled: 1-line block ×3, first 2 shown]
	s_waitcnt lgkmcnt(0)
	s_barrier
	ds_read_b64 v[28:29], v1
	v_cndmask_b32_e64 v27, v2, 0, s[18:19]
	v_add_u32_e32 v31, 0xe0, v30
	v_lshl_add_u32 v27, v31, 1, v27
	v_cmp_gt_i32_e64 s[18:19], s48, v33
	s_waitcnt lgkmcnt(0)
	buffer_store_dwordx2 v[28:29], v27, s[52:55], 0 offen
	s_waitcnt lgkmcnt(0)
	s_barrier
	buffer_load_dword v27, off, s[0:3], 0 offset:2928
	buffer_load_dword v28, off, s[0:3], 0 offset:2932
	;; [unrolled: 1-line block ×4, first 2 shown]
	s_and_b64 s[20:21], s[18:19], s[16:17]
	v_add_lshl_u32 v31, v31, s22, 1
	v_add_u32_e32 v30, s22, v30
	s_waitcnt vmcnt(3)
	v_cvt_f16_f32_e32 v27, v27
	s_waitcnt vmcnt(2)
	v_cvt_f16_f32_e32 v28, v28
	s_waitcnt vmcnt(1)
	v_cvt_f16_f32_e32 v29, v29
	s_waitcnt vmcnt(0)
	v_cvt_f16_f32_e32 v32, v32
	ds_write_b16 v3, v27
	ds_write_b16 v3, v28 offset:64
	ds_write_b16 v3, v29 offset:128
	ds_write_b16 v3, v32 offset:192
	s_waitcnt lgkmcnt(0)
	s_barrier
	ds_read_b64 v[28:29], v1
	v_cndmask_b32_e64 v27, v2, 0, s[20:21]
	v_add_u32_e32 v27, v31, v27
	s_and_b64 s[20:21], s[18:19], s[14:15]
	s_waitcnt lgkmcnt(0)
	buffer_store_dwordx2 v[28:29], v27, s[52:55], 0 offen
	s_waitcnt lgkmcnt(0)
	s_barrier
	buffer_load_dword v27, off, s[0:3], 0 offset:2912
	buffer_load_dword v28, off, s[0:3], 0 offset:2916
	buffer_load_dword v29, off, s[0:3], 0 offset:2920
	buffer_load_dword v32, off, s[0:3], 0 offset:2924
	s_waitcnt vmcnt(3)
	v_cvt_f16_f32_e32 v27, v27
	s_waitcnt vmcnt(2)
	v_cvt_f16_f32_e32 v28, v28
	s_waitcnt vmcnt(1)
	v_cvt_f16_f32_e32 v29, v29
	s_waitcnt vmcnt(0)
	v_cvt_f16_f32_e32 v32, v32
	ds_write_b16 v3, v27
	ds_write_b16 v3, v28 offset:64
	ds_write_b16 v3, v29 offset:128
	ds_write_b16 v3, v32 offset:192
	s_waitcnt lgkmcnt(0)
	s_barrier
	ds_read_b64 v[28:29], v1
	v_cndmask_b32_e64 v27, v5, v7, s[20:21]
	v_add_u32_e32 v27, v31, v27
	s_and_b64 s[20:21], s[18:19], s[12:13]
	s_waitcnt lgkmcnt(0)
	buffer_store_dwordx2 v[28:29], v27, s[52:55], 0 offen
	s_waitcnt lgkmcnt(0)
	s_barrier
	buffer_load_dword v27, off, s[0:3], 0 offset:2896
	buffer_load_dword v28, off, s[0:3], 0 offset:2900
	buffer_load_dword v29, off, s[0:3], 0 offset:2904
	buffer_load_dword v32, off, s[0:3], 0 offset:2908
	;; [unrolled: 26-line block ×5, first 2 shown]
	s_waitcnt vmcnt(3)
	v_cvt_f16_f32_e32 v27, v27
	s_waitcnt vmcnt(2)
	v_cvt_f16_f32_e32 v28, v28
	;; [unrolled: 2-line block ×4, first 2 shown]
	ds_write_b16 v3, v27
	ds_write_b16 v3, v28 offset:64
	ds_write_b16 v3, v29 offset:128
	;; [unrolled: 1-line block ×3, first 2 shown]
	s_waitcnt lgkmcnt(0)
	s_barrier
	ds_read_b64 v[28:29], v1
	v_cndmask_b32_e64 v27, v12, v15, s[20:21]
	v_add_u32_e32 v27, v31, v27
	s_and_b64 s[20:21], s[18:19], s[4:5]
	s_and_b64 s[18:19], vcc, s[18:19]
	s_waitcnt lgkmcnt(0)
	buffer_store_dwordx2 v[28:29], v27, s[52:55], 0 offen
	s_waitcnt lgkmcnt(0)
	s_barrier
	buffer_load_dword v27, off, s[0:3], 0 offset:2832
	buffer_load_dword v28, off, s[0:3], 0 offset:2836
	;; [unrolled: 1-line block ×4, first 2 shown]
	s_waitcnt vmcnt(3)
	v_cvt_f16_f32_e32 v27, v27
	s_waitcnt vmcnt(2)
	v_cvt_f16_f32_e32 v28, v28
	;; [unrolled: 2-line block ×4, first 2 shown]
	ds_write_b16 v3, v27
	ds_write_b16 v3, v28 offset:64
	ds_write_b16 v3, v29 offset:128
	;; [unrolled: 1-line block ×3, first 2 shown]
	s_waitcnt lgkmcnt(0)
	s_barrier
	ds_read_b64 v[28:29], v1
	v_cndmask_b32_e64 v27, v14, v16, s[20:21]
	v_add_u32_e32 v27, v31, v27
	v_or_b32_e32 v32, 0xc0, v4
	v_or_b32_e32 v4, 0xe0, v4
	s_waitcnt lgkmcnt(0)
	buffer_store_dwordx2 v[28:29], v27, s[52:55], 0 offen
	s_waitcnt lgkmcnt(0)
	s_barrier
	buffer_load_dword v27, off, s[0:3], 0 offset:2816
	buffer_load_dword v28, off, s[0:3], 0 offset:2820
	;; [unrolled: 1-line block ×4, first 2 shown]
	s_waitcnt vmcnt(3)
	v_cvt_f16_f32_e32 v27, v27
	s_waitcnt vmcnt(2)
	v_cvt_f16_f32_e32 v28, v28
	;; [unrolled: 2-line block ×4, first 2 shown]
	ds_write_b16 v3, v27
	ds_write_b16 v3, v28 offset:64
	ds_write_b16 v3, v29 offset:128
	;; [unrolled: 1-line block ×3, first 2 shown]
	s_waitcnt lgkmcnt(0)
	s_barrier
	ds_read_b64 v[28:29], v1
	v_cndmask_b32_e64 v27, v2, 0, s[18:19]
	v_lshl_add_u32 v27, v30, 1, v27
	v_cmp_gt_i32_e64 s[18:19], s48, v32
	s_and_b64 s[20:21], vcc, s[18:19]
	s_waitcnt lgkmcnt(0)
	buffer_store_dwordx2 v[28:29], v27, s[52:55], 0 offen
	s_waitcnt lgkmcnt(0)
	s_barrier
	buffer_load_dword v27, off, s[0:3], 0 offset:2944
	buffer_load_dword v28, off, s[0:3], 0 offset:2948
	;; [unrolled: 1-line block ×4, first 2 shown]
	v_add_u32_e32 v30, s22, v30
	s_waitcnt vmcnt(3)
	v_cvt_f16_f32_e32 v27, v27
	s_waitcnt vmcnt(2)
	v_cvt_f16_f32_e32 v28, v28
	;; [unrolled: 2-line block ×4, first 2 shown]
	ds_write_b16 v3, v27
	ds_write_b16 v3, v28 offset:64
	ds_write_b16 v3, v29 offset:128
	;; [unrolled: 1-line block ×3, first 2 shown]
	s_waitcnt lgkmcnt(0)
	s_barrier
	ds_read_b64 v[28:29], v1
	v_cndmask_b32_e64 v27, v2, 0, s[20:21]
	v_lshlrev_b32_e32 v31, 1, v30
	v_add_u32_e32 v27, v31, v27
	s_and_b64 s[20:21], s[18:19], s[4:5]
	s_waitcnt lgkmcnt(0)
	buffer_store_dwordx2 v[28:29], v27, s[52:55], 0 offen
	s_waitcnt lgkmcnt(0)
	s_barrier
	buffer_load_dword v27, off, s[0:3], 0 offset:2960
	buffer_load_dword v28, off, s[0:3], 0 offset:2964
	;; [unrolled: 1-line block ×4, first 2 shown]
	v_cndmask_b32_e64 v17, v17, 64, s[20:21]
	v_add_u32_e32 v17, v31, v17
	s_and_b64 s[20:21], s[18:19], s[6:7]
	v_cndmask_b32_e64 v0, v0, v19, s[20:21]
	v_add_u32_e32 v0, v31, v0
	s_and_b64 s[20:21], s[18:19], s[8:9]
	s_waitcnt vmcnt(3)
	v_cvt_f16_f32_e32 v27, v27
	s_waitcnt vmcnt(2)
	v_cvt_f16_f32_e32 v28, v28
	;; [unrolled: 2-line block ×4, first 2 shown]
	ds_write_b16 v3, v27
	ds_write_b16 v3, v28 offset:64
	ds_write_b16 v3, v29 offset:128
	;; [unrolled: 1-line block ×3, first 2 shown]
	s_waitcnt lgkmcnt(0)
	s_barrier
	ds_read_b64 v[28:29], v1
	s_waitcnt lgkmcnt(0)
	buffer_store_dwordx2 v[28:29], v17, s[52:55], 0 offen
	s_waitcnt lgkmcnt(0)
	s_barrier
	buffer_load_dword v17, off, s[0:3], 0 offset:2976
	buffer_load_dword v27, off, s[0:3], 0 offset:2980
	;; [unrolled: 1-line block ×4, first 2 shown]
	s_waitcnt vmcnt(3)
	v_cvt_f16_f32_e32 v17, v17
	s_waitcnt vmcnt(2)
	v_cvt_f16_f32_e32 v27, v27
	s_waitcnt vmcnt(1)
	v_cvt_f16_f32_e32 v28, v28
	s_waitcnt vmcnt(0)
	v_cvt_f16_f32_e32 v29, v29
	ds_write_b16 v3, v17
	ds_write_b16 v3, v27 offset:64
	ds_write_b16 v3, v28 offset:128
	;; [unrolled: 1-line block ×3, first 2 shown]
	s_waitcnt lgkmcnt(0)
	s_barrier
	ds_read_b64 v[28:29], v1
	s_waitcnt lgkmcnt(0)
	buffer_store_dwordx2 v[28:29], v0, s[52:55], 0 offen
	s_waitcnt lgkmcnt(0)
	s_barrier
	buffer_load_dword v0, off, s[0:3], 0 offset:2992
	buffer_load_dword v17, off, s[0:3], 0 offset:2996
	buffer_load_dword v19, off, s[0:3], 0 offset:3000
	buffer_load_dword v27, off, s[0:3], 0 offset:3004
	s_waitcnt vmcnt(3)
	v_cvt_f16_f32_e32 v0, v0
	s_waitcnt vmcnt(2)
	v_cvt_f16_f32_e32 v17, v17
	s_waitcnt vmcnt(1)
	v_cvt_f16_f32_e32 v19, v19
	s_waitcnt vmcnt(0)
	v_cvt_f16_f32_e32 v27, v27
	ds_write_b16 v3, v0
	ds_write_b16 v3, v17 offset:64
	ds_write_b16 v3, v19 offset:128
	ds_write_b16 v3, v27 offset:192
	s_waitcnt lgkmcnt(0)
	s_barrier
	ds_read_b64 v[28:29], v1
	v_cndmask_b32_e64 v0, v18, v21, s[20:21]
	v_add_u32_e32 v0, v31, v0
	s_and_b64 s[20:21], s[18:19], s[10:11]
	s_waitcnt lgkmcnt(0)
	buffer_store_dwordx2 v[28:29], v0, s[52:55], 0 offen
	s_waitcnt lgkmcnt(0)
	s_barrier
	buffer_load_dword v0, off, s[0:3], 0 offset:3008
	buffer_load_dword v17, off, s[0:3], 0 offset:3012
	buffer_load_dword v18, off, s[0:3], 0 offset:3016
	buffer_load_dword v19, off, s[0:3], 0 offset:3020
	s_waitcnt vmcnt(3)
	v_cvt_f16_f32_e32 v0, v0
	s_waitcnt vmcnt(2)
	v_cvt_f16_f32_e32 v17, v17
	s_waitcnt vmcnt(1)
	v_cvt_f16_f32_e32 v18, v18
	s_waitcnt vmcnt(0)
	v_cvt_f16_f32_e32 v19, v19
	ds_write_b16 v3, v0
	ds_write_b16 v3, v17 offset:64
	ds_write_b16 v3, v18 offset:128
	ds_write_b16 v3, v19 offset:192
	s_waitcnt lgkmcnt(0)
	s_barrier
	ds_read_b64 v[18:19], v1
	v_cndmask_b32_e64 v0, v20, v23, s[20:21]
	v_add_u32_e32 v0, v31, v0
	s_and_b64 s[20:21], s[18:19], s[12:13]
	;; [unrolled: 26-line block ×3, first 2 shown]
	s_and_b64 s[18:19], s[18:19], s[16:17]
	s_waitcnt lgkmcnt(0)
	buffer_store_dwordx2 v[18:19], v0, s[52:55], 0 offen
	s_waitcnt lgkmcnt(0)
	s_barrier
	buffer_load_dword v0, off, s[0:3], 0 offset:3040
	buffer_load_dword v17, off, s[0:3], 0 offset:3044
	;; [unrolled: 1-line block ×4, first 2 shown]
	s_waitcnt vmcnt(3)
	v_cvt_f16_f32_e32 v0, v0
	s_waitcnt vmcnt(2)
	v_cvt_f16_f32_e32 v17, v17
	;; [unrolled: 2-line block ×4, first 2 shown]
	ds_write_b16 v3, v0
	ds_write_b16 v3, v17 offset:64
	ds_write_b16 v3, v18 offset:128
	ds_write_b16 v3, v19 offset:192
	s_waitcnt lgkmcnt(0)
	s_barrier
	ds_read_b64 v[18:19], v1
	v_cndmask_b32_e64 v0, v24, v26, s[20:21]
	v_add_u32_e32 v0, v31, v0
	s_waitcnt lgkmcnt(0)
	buffer_store_dwordx2 v[18:19], v0, s[52:55], 0 offen
	s_waitcnt lgkmcnt(0)
	s_barrier
	buffer_load_dword v0, off, s[0:3], 0 offset:3056
	buffer_load_dword v17, off, s[0:3], 0 offset:3060
	;; [unrolled: 1-line block ×4, first 2 shown]
	s_waitcnt vmcnt(3)
	v_cvt_f16_f32_e32 v0, v0
	s_waitcnt vmcnt(2)
	v_cvt_f16_f32_e32 v17, v17
	;; [unrolled: 2-line block ×4, first 2 shown]
	ds_write_b16 v3, v0
	ds_write_b16 v3, v17 offset:64
	ds_write_b16 v3, v18 offset:128
	ds_write_b16 v3, v19 offset:192
	s_waitcnt lgkmcnt(0)
	s_barrier
	ds_read_b64 v[18:19], v1
	v_cndmask_b32_e64 v0, v2, 0, s[18:19]
	v_add_u32_e32 v17, 0xe0, v30
	v_lshl_add_u32 v0, v17, 1, v0
	v_cmp_gt_i32_e64 s[18:19], s48, v4
	s_waitcnt lgkmcnt(0)
	buffer_store_dwordx2 v[18:19], v0, s[52:55], 0 offen
	s_waitcnt lgkmcnt(0)
	s_barrier
	buffer_load_dword v0, off, s[0:3], 0 offset:3184
	buffer_load_dword v18, off, s[0:3], 0 offset:3188
	;; [unrolled: 1-line block ×4, first 2 shown]
	s_and_b64 s[16:17], s[18:19], s[16:17]
	v_add_lshl_u32 v17, v17, s22, 1
	s_and_b64 s[14:15], s[18:19], s[14:15]
	s_and_b64 s[12:13], s[18:19], s[12:13]
	;; [unrolled: 1-line block ×6, first 2 shown]
	s_waitcnt vmcnt(3)
	v_cvt_f16_f32_e32 v0, v0
	s_waitcnt vmcnt(2)
	v_cvt_f16_f32_e32 v4, v18
	s_waitcnt vmcnt(1)
	v_cvt_f16_f32_e32 v18, v19
	s_waitcnt vmcnt(0)
	v_cvt_f16_f32_e32 v19, v20
	ds_write_b16 v3, v0
	ds_write_b16 v3, v4 offset:64
	ds_write_b16 v3, v18 offset:128
	ds_write_b16 v3, v19 offset:192
	s_waitcnt lgkmcnt(0)
	s_barrier
	ds_read_b64 v[18:19], v1
	v_cndmask_b32_e64 v0, v2, 0, s[16:17]
	v_add_u32_e32 v0, v17, v0
	s_waitcnt lgkmcnt(0)
	buffer_store_dwordx2 v[18:19], v0, s[52:55], 0 offen
	s_waitcnt lgkmcnt(0)
	s_barrier
	buffer_load_dword v0, off, s[0:3], 0 offset:3168
	buffer_load_dword v4, off, s[0:3], 0 offset:3172
	buffer_load_dword v18, off, s[0:3], 0 offset:3176
	buffer_load_dword v19, off, s[0:3], 0 offset:3180
	s_waitcnt vmcnt(3)
	v_cvt_f16_f32_e32 v0, v0
	s_waitcnt vmcnt(2)
	v_cvt_f16_f32_e32 v4, v4
	s_waitcnt vmcnt(1)
	v_cvt_f16_f32_e32 v18, v18
	s_waitcnt vmcnt(0)
	v_cvt_f16_f32_e32 v19, v19
	ds_write_b16 v3, v0
	ds_write_b16 v3, v4 offset:64
	ds_write_b16 v3, v18 offset:128
	ds_write_b16 v3, v19 offset:192
	s_waitcnt lgkmcnt(0)
	s_barrier
	ds_read_b64 v[18:19], v1
	v_cndmask_b32_e64 v0, v5, v7, s[14:15]
	v_add_u32_e32 v0, v17, v0
	s_waitcnt lgkmcnt(0)
	buffer_store_dwordx2 v[18:19], v0, s[52:55], 0 offen
	s_waitcnt lgkmcnt(0)
	s_barrier
	buffer_load_dword v0, off, s[0:3], 0 offset:3152
	buffer_load_dword v4, off, s[0:3], 0 offset:3156
	buffer_load_dword v5, off, s[0:3], 0 offset:3160
	buffer_load_dword v7, off, s[0:3], 0 offset:3164
	;; [unrolled: 25-line block ×6, first 2 shown]
	s_waitcnt vmcnt(3)
	v_cvt_f16_f32_e32 v0, v0
	s_waitcnt vmcnt(2)
	v_cvt_f16_f32_e32 v4, v4
	;; [unrolled: 2-line block ×4, first 2 shown]
	ds_write_b16 v3, v0
	ds_write_b16 v3, v4 offset:64
	ds_write_b16 v3, v5 offset:128
	;; [unrolled: 1-line block ×3, first 2 shown]
	s_waitcnt lgkmcnt(0)
	s_barrier
	ds_read_b64 v[4:5], v1
	v_cndmask_b32_e64 v0, v14, v16, s[4:5]
	v_add_u32_e32 v0, v17, v0
	s_and_b64 s[4:5], vcc, s[18:19]
	v_cndmask_b32_e64 v2, v2, 0, s[4:5]
	s_waitcnt lgkmcnt(0)
	buffer_store_dwordx2 v[4:5], v0, s[52:55], 0 offen
	s_waitcnt lgkmcnt(0)
	s_barrier
	buffer_load_dword v0, off, s[0:3], 0 offset:3072
	buffer_load_dword v4, off, s[0:3], 0 offset:3076
	;; [unrolled: 1-line block ×4, first 2 shown]
	s_waitcnt vmcnt(3)
	v_cvt_f16_f32_e32 v0, v0
	s_waitcnt vmcnt(2)
	v_cvt_f16_f32_e32 v4, v4
	;; [unrolled: 2-line block ×4, first 2 shown]
	ds_write_b16 v3, v0
	ds_write_b16 v3, v4 offset:64
	ds_write_b16 v3, v5 offset:128
	;; [unrolled: 1-line block ×3, first 2 shown]
	s_waitcnt lgkmcnt(0)
	s_barrier
	ds_read_b64 v[0:1], v1
	v_add_u32_e32 v3, s22, v30
	v_lshl_add_u32 v2, v3, 1, v2
	s_waitcnt lgkmcnt(0)
	buffer_store_dwordx2 v[0:1], v2, s[52:55], 0 offen
	s_endpgm
	.section	.rodata,"a",@progbits
	.p2align	6, 0x0
	.amdhsa_kernel _ZN2ck45kernel_gemm_xdl_cshuffle_v3_b_preshuffle_2ldsINS_41GridwiseGemm_xdl_cshuffle_v3_b_preshuffleINS_13tensor_layout4gemm8RowMajorENS3_11ColumnMajorES4_NS_9f8_fnuz_tENS_7pk_i4_tEfDF16_DF16_NS_16tensor_operation12element_wise11PassThroughESA_SA_LNS8_6device18GemmSpecializationE0ELi256ELi256ELi256ELi128ELi16ELi32ELi16ELi16ELi8ELi8ENS_8SequenceIJLi8ELi32ELi1EEEENSD_IJLi1ELi0ELi2EEEESF_Li2ELi16ELi16ELb0ELi0ENSD_IJLi4ELi64ELi1EEEESF_SF_Li2ELi32ELi32ELb0ELi0ELi1ELi1ENSD_IJLi1ELi32ELi1ELi8EEEELi4ELNS_26BlockGemmPipelineSchedulerE0ELNS_24BlockGemmPipelineVersionE2ES6_S6_Lb0ELb0ELi0EEELb1ELNS_25InMemoryDataOperationEnumE0ELi1ELNS_10TailNumberE1EEEvNT_8ArgumentE
		.amdhsa_group_segment_fixed_size 65536
		.amdhsa_private_segment_fixed_size 4464
		.amdhsa_kernarg_size 112
		.amdhsa_user_sgpr_count 8
		.amdhsa_user_sgpr_private_segment_buffer 1
		.amdhsa_user_sgpr_dispatch_ptr 0
		.amdhsa_user_sgpr_queue_ptr 0
		.amdhsa_user_sgpr_kernarg_segment_ptr 1
		.amdhsa_user_sgpr_dispatch_id 0
		.amdhsa_user_sgpr_flat_scratch_init 1
		.amdhsa_user_sgpr_kernarg_preload_length 0
		.amdhsa_user_sgpr_kernarg_preload_offset 0
		.amdhsa_user_sgpr_private_segment_size 0
		.amdhsa_uses_dynamic_stack 0
		.amdhsa_system_sgpr_private_segment_wavefront_offset 1
		.amdhsa_system_sgpr_workgroup_id_x 1
		.amdhsa_system_sgpr_workgroup_id_y 0
		.amdhsa_system_sgpr_workgroup_id_z 1
		.amdhsa_system_sgpr_workgroup_info 0
		.amdhsa_system_vgpr_workitem_id 0
		.amdhsa_next_free_vgpr 92
		.amdhsa_next_free_sgpr 58
		.amdhsa_accum_offset 88
		.amdhsa_reserve_vcc 1
		.amdhsa_reserve_flat_scratch 1
		.amdhsa_float_round_mode_32 0
		.amdhsa_float_round_mode_16_64 0
		.amdhsa_float_denorm_mode_32 3
		.amdhsa_float_denorm_mode_16_64 3
		.amdhsa_dx10_clamp 1
		.amdhsa_ieee_mode 1
		.amdhsa_fp16_overflow 0
		.amdhsa_tg_split 0
		.amdhsa_exception_fp_ieee_invalid_op 0
		.amdhsa_exception_fp_denorm_src 0
		.amdhsa_exception_fp_ieee_div_zero 0
		.amdhsa_exception_fp_ieee_overflow 0
		.amdhsa_exception_fp_ieee_underflow 0
		.amdhsa_exception_fp_ieee_inexact 0
		.amdhsa_exception_int_div_zero 0
	.end_amdhsa_kernel
	.section	.text._ZN2ck45kernel_gemm_xdl_cshuffle_v3_b_preshuffle_2ldsINS_41GridwiseGemm_xdl_cshuffle_v3_b_preshuffleINS_13tensor_layout4gemm8RowMajorENS3_11ColumnMajorES4_NS_9f8_fnuz_tENS_7pk_i4_tEfDF16_DF16_NS_16tensor_operation12element_wise11PassThroughESA_SA_LNS8_6device18GemmSpecializationE0ELi256ELi256ELi256ELi128ELi16ELi32ELi16ELi16ELi8ELi8ENS_8SequenceIJLi8ELi32ELi1EEEENSD_IJLi1ELi0ELi2EEEESF_Li2ELi16ELi16ELb0ELi0ENSD_IJLi4ELi64ELi1EEEESF_SF_Li2ELi32ELi32ELb0ELi0ELi1ELi1ENSD_IJLi1ELi32ELi1ELi8EEEELi4ELNS_26BlockGemmPipelineSchedulerE0ELNS_24BlockGemmPipelineVersionE2ES6_S6_Lb0ELb0ELi0EEELb1ELNS_25InMemoryDataOperationEnumE0ELi1ELNS_10TailNumberE1EEEvNT_8ArgumentE,"axG",@progbits,_ZN2ck45kernel_gemm_xdl_cshuffle_v3_b_preshuffle_2ldsINS_41GridwiseGemm_xdl_cshuffle_v3_b_preshuffleINS_13tensor_layout4gemm8RowMajorENS3_11ColumnMajorES4_NS_9f8_fnuz_tENS_7pk_i4_tEfDF16_DF16_NS_16tensor_operation12element_wise11PassThroughESA_SA_LNS8_6device18GemmSpecializationE0ELi256ELi256ELi256ELi128ELi16ELi32ELi16ELi16ELi8ELi8ENS_8SequenceIJLi8ELi32ELi1EEEENSD_IJLi1ELi0ELi2EEEESF_Li2ELi16ELi16ELb0ELi0ENSD_IJLi4ELi64ELi1EEEESF_SF_Li2ELi32ELi32ELb0ELi0ELi1ELi1ENSD_IJLi1ELi32ELi1ELi8EEEELi4ELNS_26BlockGemmPipelineSchedulerE0ELNS_24BlockGemmPipelineVersionE2ES6_S6_Lb0ELb0ELi0EEELb1ELNS_25InMemoryDataOperationEnumE0ELi1ELNS_10TailNumberE1EEEvNT_8ArgumentE,comdat
.Lfunc_end63:
	.size	_ZN2ck45kernel_gemm_xdl_cshuffle_v3_b_preshuffle_2ldsINS_41GridwiseGemm_xdl_cshuffle_v3_b_preshuffleINS_13tensor_layout4gemm8RowMajorENS3_11ColumnMajorES4_NS_9f8_fnuz_tENS_7pk_i4_tEfDF16_DF16_NS_16tensor_operation12element_wise11PassThroughESA_SA_LNS8_6device18GemmSpecializationE0ELi256ELi256ELi256ELi128ELi16ELi32ELi16ELi16ELi8ELi8ENS_8SequenceIJLi8ELi32ELi1EEEENSD_IJLi1ELi0ELi2EEEESF_Li2ELi16ELi16ELb0ELi0ENSD_IJLi4ELi64ELi1EEEESF_SF_Li2ELi32ELi32ELb0ELi0ELi1ELi1ENSD_IJLi1ELi32ELi1ELi8EEEELi4ELNS_26BlockGemmPipelineSchedulerE0ELNS_24BlockGemmPipelineVersionE2ES6_S6_Lb0ELb0ELi0EEELb1ELNS_25InMemoryDataOperationEnumE0ELi1ELNS_10TailNumberE1EEEvNT_8ArgumentE, .Lfunc_end63-_ZN2ck45kernel_gemm_xdl_cshuffle_v3_b_preshuffle_2ldsINS_41GridwiseGemm_xdl_cshuffle_v3_b_preshuffleINS_13tensor_layout4gemm8RowMajorENS3_11ColumnMajorES4_NS_9f8_fnuz_tENS_7pk_i4_tEfDF16_DF16_NS_16tensor_operation12element_wise11PassThroughESA_SA_LNS8_6device18GemmSpecializationE0ELi256ELi256ELi256ELi128ELi16ELi32ELi16ELi16ELi8ELi8ENS_8SequenceIJLi8ELi32ELi1EEEENSD_IJLi1ELi0ELi2EEEESF_Li2ELi16ELi16ELb0ELi0ENSD_IJLi4ELi64ELi1EEEESF_SF_Li2ELi32ELi32ELb0ELi0ELi1ELi1ENSD_IJLi1ELi32ELi1ELi8EEEELi4ELNS_26BlockGemmPipelineSchedulerE0ELNS_24BlockGemmPipelineVersionE2ES6_S6_Lb0ELb0ELi0EEELb1ELNS_25InMemoryDataOperationEnumE0ELi1ELNS_10TailNumberE1EEEvNT_8ArgumentE
                                        ; -- End function
	.section	.AMDGPU.csdata,"",@progbits
; Kernel info:
; codeLenInByte = 15888
; NumSgprs: 64
; NumVgprs: 86
; NumAgprs: 4
; TotalNumVgprs: 92
; ScratchSize: 4464
; MemoryBound: 0
; FloatMode: 240
; IeeeMode: 1
; LDSByteSize: 65536 bytes/workgroup (compile time only)
; SGPRBlocks: 7
; VGPRBlocks: 11
; NumSGPRsForWavesPerEU: 64
; NumVGPRsForWavesPerEU: 92
; AccumOffset: 88
; Occupancy: 1
; WaveLimiterHint : 1
; COMPUTE_PGM_RSRC2:SCRATCH_EN: 1
; COMPUTE_PGM_RSRC2:USER_SGPR: 8
; COMPUTE_PGM_RSRC2:TRAP_HANDLER: 0
; COMPUTE_PGM_RSRC2:TGID_X_EN: 1
; COMPUTE_PGM_RSRC2:TGID_Y_EN: 0
; COMPUTE_PGM_RSRC2:TGID_Z_EN: 1
; COMPUTE_PGM_RSRC2:TIDIG_COMP_CNT: 0
; COMPUTE_PGM_RSRC3_GFX90A:ACCUM_OFFSET: 21
; COMPUTE_PGM_RSRC3_GFX90A:TG_SPLIT: 0
	.section	.text._ZN2ck45kernel_gemm_xdl_cshuffle_v3_b_preshuffle_2ldsINS_41GridwiseGemm_xdl_cshuffle_v3_b_preshuffleINS_13tensor_layout4gemm8RowMajorENS3_11ColumnMajorES4_NS_9f8_fnuz_tENS_7pk_i4_tEfDF16_DF16_NS_16tensor_operation12element_wise11PassThroughESA_SA_LNS8_6device18GemmSpecializationE0ELi256ELi256ELi256ELi128ELi16ELi32ELi16ELi16ELi8ELi4ENS_8SequenceIJLi8ELi32ELi1EEEENSD_IJLi1ELi0ELi2EEEESF_Li2ELi16ELi16ELb0ELi0ENSD_IJLi4ELi64ELi1EEEESF_SF_Li2ELi32ELi32ELb0ELi0ELi1ELi1ENSD_IJLi1ELi32ELi1ELi8EEEELi4ELNS_26BlockGemmPipelineSchedulerE0ELNS_24BlockGemmPipelineVersionE2ES6_S6_Lb0ELb0ELi0EEELb1ELNS_25InMemoryDataOperationEnumE1ELi1ELNS_10TailNumberE0EEEvNT_8ArgumentE,"axG",@progbits,_ZN2ck45kernel_gemm_xdl_cshuffle_v3_b_preshuffle_2ldsINS_41GridwiseGemm_xdl_cshuffle_v3_b_preshuffleINS_13tensor_layout4gemm8RowMajorENS3_11ColumnMajorES4_NS_9f8_fnuz_tENS_7pk_i4_tEfDF16_DF16_NS_16tensor_operation12element_wise11PassThroughESA_SA_LNS8_6device18GemmSpecializationE0ELi256ELi256ELi256ELi128ELi16ELi32ELi16ELi16ELi8ELi4ENS_8SequenceIJLi8ELi32ELi1EEEENSD_IJLi1ELi0ELi2EEEESF_Li2ELi16ELi16ELb0ELi0ENSD_IJLi4ELi64ELi1EEEESF_SF_Li2ELi32ELi32ELb0ELi0ELi1ELi1ENSD_IJLi1ELi32ELi1ELi8EEEELi4ELNS_26BlockGemmPipelineSchedulerE0ELNS_24BlockGemmPipelineVersionE2ES6_S6_Lb0ELb0ELi0EEELb1ELNS_25InMemoryDataOperationEnumE1ELi1ELNS_10TailNumberE0EEEvNT_8ArgumentE,comdat
	.protected	_ZN2ck45kernel_gemm_xdl_cshuffle_v3_b_preshuffle_2ldsINS_41GridwiseGemm_xdl_cshuffle_v3_b_preshuffleINS_13tensor_layout4gemm8RowMajorENS3_11ColumnMajorES4_NS_9f8_fnuz_tENS_7pk_i4_tEfDF16_DF16_NS_16tensor_operation12element_wise11PassThroughESA_SA_LNS8_6device18GemmSpecializationE0ELi256ELi256ELi256ELi128ELi16ELi32ELi16ELi16ELi8ELi4ENS_8SequenceIJLi8ELi32ELi1EEEENSD_IJLi1ELi0ELi2EEEESF_Li2ELi16ELi16ELb0ELi0ENSD_IJLi4ELi64ELi1EEEESF_SF_Li2ELi32ELi32ELb0ELi0ELi1ELi1ENSD_IJLi1ELi32ELi1ELi8EEEELi4ELNS_26BlockGemmPipelineSchedulerE0ELNS_24BlockGemmPipelineVersionE2ES6_S6_Lb0ELb0ELi0EEELb1ELNS_25InMemoryDataOperationEnumE1ELi1ELNS_10TailNumberE0EEEvNT_8ArgumentE ; -- Begin function _ZN2ck45kernel_gemm_xdl_cshuffle_v3_b_preshuffle_2ldsINS_41GridwiseGemm_xdl_cshuffle_v3_b_preshuffleINS_13tensor_layout4gemm8RowMajorENS3_11ColumnMajorES4_NS_9f8_fnuz_tENS_7pk_i4_tEfDF16_DF16_NS_16tensor_operation12element_wise11PassThroughESA_SA_LNS8_6device18GemmSpecializationE0ELi256ELi256ELi256ELi128ELi16ELi32ELi16ELi16ELi8ELi4ENS_8SequenceIJLi8ELi32ELi1EEEENSD_IJLi1ELi0ELi2EEEESF_Li2ELi16ELi16ELb0ELi0ENSD_IJLi4ELi64ELi1EEEESF_SF_Li2ELi32ELi32ELb0ELi0ELi1ELi1ENSD_IJLi1ELi32ELi1ELi8EEEELi4ELNS_26BlockGemmPipelineSchedulerE0ELNS_24BlockGemmPipelineVersionE2ES6_S6_Lb0ELb0ELi0EEELb1ELNS_25InMemoryDataOperationEnumE1ELi1ELNS_10TailNumberE0EEEvNT_8ArgumentE
	.globl	_ZN2ck45kernel_gemm_xdl_cshuffle_v3_b_preshuffle_2ldsINS_41GridwiseGemm_xdl_cshuffle_v3_b_preshuffleINS_13tensor_layout4gemm8RowMajorENS3_11ColumnMajorES4_NS_9f8_fnuz_tENS_7pk_i4_tEfDF16_DF16_NS_16tensor_operation12element_wise11PassThroughESA_SA_LNS8_6device18GemmSpecializationE0ELi256ELi256ELi256ELi128ELi16ELi32ELi16ELi16ELi8ELi4ENS_8SequenceIJLi8ELi32ELi1EEEENSD_IJLi1ELi0ELi2EEEESF_Li2ELi16ELi16ELb0ELi0ENSD_IJLi4ELi64ELi1EEEESF_SF_Li2ELi32ELi32ELb0ELi0ELi1ELi1ENSD_IJLi1ELi32ELi1ELi8EEEELi4ELNS_26BlockGemmPipelineSchedulerE0ELNS_24BlockGemmPipelineVersionE2ES6_S6_Lb0ELb0ELi0EEELb1ELNS_25InMemoryDataOperationEnumE1ELi1ELNS_10TailNumberE0EEEvNT_8ArgumentE
	.p2align	8
	.type	_ZN2ck45kernel_gemm_xdl_cshuffle_v3_b_preshuffle_2ldsINS_41GridwiseGemm_xdl_cshuffle_v3_b_preshuffleINS_13tensor_layout4gemm8RowMajorENS3_11ColumnMajorES4_NS_9f8_fnuz_tENS_7pk_i4_tEfDF16_DF16_NS_16tensor_operation12element_wise11PassThroughESA_SA_LNS8_6device18GemmSpecializationE0ELi256ELi256ELi256ELi128ELi16ELi32ELi16ELi16ELi8ELi4ENS_8SequenceIJLi8ELi32ELi1EEEENSD_IJLi1ELi0ELi2EEEESF_Li2ELi16ELi16ELb0ELi0ENSD_IJLi4ELi64ELi1EEEESF_SF_Li2ELi32ELi32ELb0ELi0ELi1ELi1ENSD_IJLi1ELi32ELi1ELi8EEEELi4ELNS_26BlockGemmPipelineSchedulerE0ELNS_24BlockGemmPipelineVersionE2ES6_S6_Lb0ELb0ELi0EEELb1ELNS_25InMemoryDataOperationEnumE1ELi1ELNS_10TailNumberE0EEEvNT_8ArgumentE,@function
_ZN2ck45kernel_gemm_xdl_cshuffle_v3_b_preshuffle_2ldsINS_41GridwiseGemm_xdl_cshuffle_v3_b_preshuffleINS_13tensor_layout4gemm8RowMajorENS3_11ColumnMajorES4_NS_9f8_fnuz_tENS_7pk_i4_tEfDF16_DF16_NS_16tensor_operation12element_wise11PassThroughESA_SA_LNS8_6device18GemmSpecializationE0ELi256ELi256ELi256ELi128ELi16ELi32ELi16ELi16ELi8ELi4ENS_8SequenceIJLi8ELi32ELi1EEEENSD_IJLi1ELi0ELi2EEEESF_Li2ELi16ELi16ELb0ELi0ENSD_IJLi4ELi64ELi1EEEESF_SF_Li2ELi32ELi32ELb0ELi0ELi1ELi1ENSD_IJLi1ELi32ELi1ELi8EEEELi4ELNS_26BlockGemmPipelineSchedulerE0ELNS_24BlockGemmPipelineVersionE2ES6_S6_Lb0ELb0ELi0EEELb1ELNS_25InMemoryDataOperationEnumE1ELi1ELNS_10TailNumberE0EEEvNT_8ArgumentE: ; @_ZN2ck45kernel_gemm_xdl_cshuffle_v3_b_preshuffle_2ldsINS_41GridwiseGemm_xdl_cshuffle_v3_b_preshuffleINS_13tensor_layout4gemm8RowMajorENS3_11ColumnMajorES4_NS_9f8_fnuz_tENS_7pk_i4_tEfDF16_DF16_NS_16tensor_operation12element_wise11PassThroughESA_SA_LNS8_6device18GemmSpecializationE0ELi256ELi256ELi256ELi128ELi16ELi32ELi16ELi16ELi8ELi4ENS_8SequenceIJLi8ELi32ELi1EEEENSD_IJLi1ELi0ELi2EEEESF_Li2ELi16ELi16ELb0ELi0ENSD_IJLi4ELi64ELi1EEEESF_SF_Li2ELi32ELi32ELb0ELi0ELi1ELi1ENSD_IJLi1ELi32ELi1ELi8EEEELi4ELNS_26BlockGemmPipelineSchedulerE0ELNS_24BlockGemmPipelineVersionE2ES6_S6_Lb0ELb0ELi0EEELb1ELNS_25InMemoryDataOperationEnumE1ELi1ELNS_10TailNumberE0EEEvNT_8ArgumentE
; %bb.0:
	s_endpgm
	.section	.rodata,"a",@progbits
	.p2align	6, 0x0
	.amdhsa_kernel _ZN2ck45kernel_gemm_xdl_cshuffle_v3_b_preshuffle_2ldsINS_41GridwiseGemm_xdl_cshuffle_v3_b_preshuffleINS_13tensor_layout4gemm8RowMajorENS3_11ColumnMajorES4_NS_9f8_fnuz_tENS_7pk_i4_tEfDF16_DF16_NS_16tensor_operation12element_wise11PassThroughESA_SA_LNS8_6device18GemmSpecializationE0ELi256ELi256ELi256ELi128ELi16ELi32ELi16ELi16ELi8ELi4ENS_8SequenceIJLi8ELi32ELi1EEEENSD_IJLi1ELi0ELi2EEEESF_Li2ELi16ELi16ELb0ELi0ENSD_IJLi4ELi64ELi1EEEESF_SF_Li2ELi32ELi32ELb0ELi0ELi1ELi1ENSD_IJLi1ELi32ELi1ELi8EEEELi4ELNS_26BlockGemmPipelineSchedulerE0ELNS_24BlockGemmPipelineVersionE2ES6_S6_Lb0ELb0ELi0EEELb1ELNS_25InMemoryDataOperationEnumE1ELi1ELNS_10TailNumberE0EEEvNT_8ArgumentE
		.amdhsa_group_segment_fixed_size 0
		.amdhsa_private_segment_fixed_size 0
		.amdhsa_kernarg_size 112
		.amdhsa_user_sgpr_count 6
		.amdhsa_user_sgpr_private_segment_buffer 1
		.amdhsa_user_sgpr_dispatch_ptr 0
		.amdhsa_user_sgpr_queue_ptr 0
		.amdhsa_user_sgpr_kernarg_segment_ptr 1
		.amdhsa_user_sgpr_dispatch_id 0
		.amdhsa_user_sgpr_flat_scratch_init 0
		.amdhsa_user_sgpr_kernarg_preload_length 0
		.amdhsa_user_sgpr_kernarg_preload_offset 0
		.amdhsa_user_sgpr_private_segment_size 0
		.amdhsa_uses_dynamic_stack 0
		.amdhsa_system_sgpr_private_segment_wavefront_offset 0
		.amdhsa_system_sgpr_workgroup_id_x 1
		.amdhsa_system_sgpr_workgroup_id_y 0
		.amdhsa_system_sgpr_workgroup_id_z 0
		.amdhsa_system_sgpr_workgroup_info 0
		.amdhsa_system_vgpr_workitem_id 0
		.amdhsa_next_free_vgpr 1
		.amdhsa_next_free_sgpr 0
		.amdhsa_accum_offset 4
		.amdhsa_reserve_vcc 0
		.amdhsa_reserve_flat_scratch 0
		.amdhsa_float_round_mode_32 0
		.amdhsa_float_round_mode_16_64 0
		.amdhsa_float_denorm_mode_32 3
		.amdhsa_float_denorm_mode_16_64 3
		.amdhsa_dx10_clamp 1
		.amdhsa_ieee_mode 1
		.amdhsa_fp16_overflow 0
		.amdhsa_tg_split 0
		.amdhsa_exception_fp_ieee_invalid_op 0
		.amdhsa_exception_fp_denorm_src 0
		.amdhsa_exception_fp_ieee_div_zero 0
		.amdhsa_exception_fp_ieee_overflow 0
		.amdhsa_exception_fp_ieee_underflow 0
		.amdhsa_exception_fp_ieee_inexact 0
		.amdhsa_exception_int_div_zero 0
	.end_amdhsa_kernel
	.section	.text._ZN2ck45kernel_gemm_xdl_cshuffle_v3_b_preshuffle_2ldsINS_41GridwiseGemm_xdl_cshuffle_v3_b_preshuffleINS_13tensor_layout4gemm8RowMajorENS3_11ColumnMajorES4_NS_9f8_fnuz_tENS_7pk_i4_tEfDF16_DF16_NS_16tensor_operation12element_wise11PassThroughESA_SA_LNS8_6device18GemmSpecializationE0ELi256ELi256ELi256ELi128ELi16ELi32ELi16ELi16ELi8ELi4ENS_8SequenceIJLi8ELi32ELi1EEEENSD_IJLi1ELi0ELi2EEEESF_Li2ELi16ELi16ELb0ELi0ENSD_IJLi4ELi64ELi1EEEESF_SF_Li2ELi32ELi32ELb0ELi0ELi1ELi1ENSD_IJLi1ELi32ELi1ELi8EEEELi4ELNS_26BlockGemmPipelineSchedulerE0ELNS_24BlockGemmPipelineVersionE2ES6_S6_Lb0ELb0ELi0EEELb1ELNS_25InMemoryDataOperationEnumE1ELi1ELNS_10TailNumberE0EEEvNT_8ArgumentE,"axG",@progbits,_ZN2ck45kernel_gemm_xdl_cshuffle_v3_b_preshuffle_2ldsINS_41GridwiseGemm_xdl_cshuffle_v3_b_preshuffleINS_13tensor_layout4gemm8RowMajorENS3_11ColumnMajorES4_NS_9f8_fnuz_tENS_7pk_i4_tEfDF16_DF16_NS_16tensor_operation12element_wise11PassThroughESA_SA_LNS8_6device18GemmSpecializationE0ELi256ELi256ELi256ELi128ELi16ELi32ELi16ELi16ELi8ELi4ENS_8SequenceIJLi8ELi32ELi1EEEENSD_IJLi1ELi0ELi2EEEESF_Li2ELi16ELi16ELb0ELi0ENSD_IJLi4ELi64ELi1EEEESF_SF_Li2ELi32ELi32ELb0ELi0ELi1ELi1ENSD_IJLi1ELi32ELi1ELi8EEEELi4ELNS_26BlockGemmPipelineSchedulerE0ELNS_24BlockGemmPipelineVersionE2ES6_S6_Lb0ELb0ELi0EEELb1ELNS_25InMemoryDataOperationEnumE1ELi1ELNS_10TailNumberE0EEEvNT_8ArgumentE,comdat
.Lfunc_end64:
	.size	_ZN2ck45kernel_gemm_xdl_cshuffle_v3_b_preshuffle_2ldsINS_41GridwiseGemm_xdl_cshuffle_v3_b_preshuffleINS_13tensor_layout4gemm8RowMajorENS3_11ColumnMajorES4_NS_9f8_fnuz_tENS_7pk_i4_tEfDF16_DF16_NS_16tensor_operation12element_wise11PassThroughESA_SA_LNS8_6device18GemmSpecializationE0ELi256ELi256ELi256ELi128ELi16ELi32ELi16ELi16ELi8ELi4ENS_8SequenceIJLi8ELi32ELi1EEEENSD_IJLi1ELi0ELi2EEEESF_Li2ELi16ELi16ELb0ELi0ENSD_IJLi4ELi64ELi1EEEESF_SF_Li2ELi32ELi32ELb0ELi0ELi1ELi1ENSD_IJLi1ELi32ELi1ELi8EEEELi4ELNS_26BlockGemmPipelineSchedulerE0ELNS_24BlockGemmPipelineVersionE2ES6_S6_Lb0ELb0ELi0EEELb1ELNS_25InMemoryDataOperationEnumE1ELi1ELNS_10TailNumberE0EEEvNT_8ArgumentE, .Lfunc_end64-_ZN2ck45kernel_gemm_xdl_cshuffle_v3_b_preshuffle_2ldsINS_41GridwiseGemm_xdl_cshuffle_v3_b_preshuffleINS_13tensor_layout4gemm8RowMajorENS3_11ColumnMajorES4_NS_9f8_fnuz_tENS_7pk_i4_tEfDF16_DF16_NS_16tensor_operation12element_wise11PassThroughESA_SA_LNS8_6device18GemmSpecializationE0ELi256ELi256ELi256ELi128ELi16ELi32ELi16ELi16ELi8ELi4ENS_8SequenceIJLi8ELi32ELi1EEEENSD_IJLi1ELi0ELi2EEEESF_Li2ELi16ELi16ELb0ELi0ENSD_IJLi4ELi64ELi1EEEESF_SF_Li2ELi32ELi32ELb0ELi0ELi1ELi1ENSD_IJLi1ELi32ELi1ELi8EEEELi4ELNS_26BlockGemmPipelineSchedulerE0ELNS_24BlockGemmPipelineVersionE2ES6_S6_Lb0ELb0ELi0EEELb1ELNS_25InMemoryDataOperationEnumE1ELi1ELNS_10TailNumberE0EEEvNT_8ArgumentE
                                        ; -- End function
	.section	.AMDGPU.csdata,"",@progbits
; Kernel info:
; codeLenInByte = 4
; NumSgprs: 4
; NumVgprs: 0
; NumAgprs: 0
; TotalNumVgprs: 0
; ScratchSize: 0
; MemoryBound: 0
; FloatMode: 240
; IeeeMode: 1
; LDSByteSize: 0 bytes/workgroup (compile time only)
; SGPRBlocks: 0
; VGPRBlocks: 0
; NumSGPRsForWavesPerEU: 4
; NumVGPRsForWavesPerEU: 1
; AccumOffset: 4
; Occupancy: 8
; WaveLimiterHint : 0
; COMPUTE_PGM_RSRC2:SCRATCH_EN: 0
; COMPUTE_PGM_RSRC2:USER_SGPR: 6
; COMPUTE_PGM_RSRC2:TRAP_HANDLER: 0
; COMPUTE_PGM_RSRC2:TGID_X_EN: 1
; COMPUTE_PGM_RSRC2:TGID_Y_EN: 0
; COMPUTE_PGM_RSRC2:TGID_Z_EN: 0
; COMPUTE_PGM_RSRC2:TIDIG_COMP_CNT: 0
; COMPUTE_PGM_RSRC3_GFX90A:ACCUM_OFFSET: 0
; COMPUTE_PGM_RSRC3_GFX90A:TG_SPLIT: 0
	.section	.text._ZN2ck45kernel_gemm_xdl_cshuffle_v3_b_preshuffle_2ldsINS_41GridwiseGemm_xdl_cshuffle_v3_b_preshuffleINS_13tensor_layout4gemm8RowMajorENS3_11ColumnMajorES4_NS_9f8_fnuz_tENS_7pk_i4_tEfDF16_DF16_NS_16tensor_operation12element_wise11PassThroughESA_SA_LNS8_6device18GemmSpecializationE0ELi256ELi256ELi256ELi128ELi16ELi32ELi16ELi16ELi8ELi4ENS_8SequenceIJLi8ELi32ELi1EEEENSD_IJLi1ELi0ELi2EEEESF_Li2ELi16ELi16ELb0ELi0ENSD_IJLi4ELi64ELi1EEEESF_SF_Li2ELi32ELi32ELb0ELi0ELi1ELi1ENSD_IJLi1ELi32ELi1ELi8EEEELi4ELNS_26BlockGemmPipelineSchedulerE0ELNS_24BlockGemmPipelineVersionE2ES6_S6_Lb0ELb0ELi0EEELb1ELNS_25InMemoryDataOperationEnumE1ELi1ELNS_10TailNumberE1EEEvNT_8ArgumentE,"axG",@progbits,_ZN2ck45kernel_gemm_xdl_cshuffle_v3_b_preshuffle_2ldsINS_41GridwiseGemm_xdl_cshuffle_v3_b_preshuffleINS_13tensor_layout4gemm8RowMajorENS3_11ColumnMajorES4_NS_9f8_fnuz_tENS_7pk_i4_tEfDF16_DF16_NS_16tensor_operation12element_wise11PassThroughESA_SA_LNS8_6device18GemmSpecializationE0ELi256ELi256ELi256ELi128ELi16ELi32ELi16ELi16ELi8ELi4ENS_8SequenceIJLi8ELi32ELi1EEEENSD_IJLi1ELi0ELi2EEEESF_Li2ELi16ELi16ELb0ELi0ENSD_IJLi4ELi64ELi1EEEESF_SF_Li2ELi32ELi32ELb0ELi0ELi1ELi1ENSD_IJLi1ELi32ELi1ELi8EEEELi4ELNS_26BlockGemmPipelineSchedulerE0ELNS_24BlockGemmPipelineVersionE2ES6_S6_Lb0ELb0ELi0EEELb1ELNS_25InMemoryDataOperationEnumE1ELi1ELNS_10TailNumberE1EEEvNT_8ArgumentE,comdat
	.protected	_ZN2ck45kernel_gemm_xdl_cshuffle_v3_b_preshuffle_2ldsINS_41GridwiseGemm_xdl_cshuffle_v3_b_preshuffleINS_13tensor_layout4gemm8RowMajorENS3_11ColumnMajorES4_NS_9f8_fnuz_tENS_7pk_i4_tEfDF16_DF16_NS_16tensor_operation12element_wise11PassThroughESA_SA_LNS8_6device18GemmSpecializationE0ELi256ELi256ELi256ELi128ELi16ELi32ELi16ELi16ELi8ELi4ENS_8SequenceIJLi8ELi32ELi1EEEENSD_IJLi1ELi0ELi2EEEESF_Li2ELi16ELi16ELb0ELi0ENSD_IJLi4ELi64ELi1EEEESF_SF_Li2ELi32ELi32ELb0ELi0ELi1ELi1ENSD_IJLi1ELi32ELi1ELi8EEEELi4ELNS_26BlockGemmPipelineSchedulerE0ELNS_24BlockGemmPipelineVersionE2ES6_S6_Lb0ELb0ELi0EEELb1ELNS_25InMemoryDataOperationEnumE1ELi1ELNS_10TailNumberE1EEEvNT_8ArgumentE ; -- Begin function _ZN2ck45kernel_gemm_xdl_cshuffle_v3_b_preshuffle_2ldsINS_41GridwiseGemm_xdl_cshuffle_v3_b_preshuffleINS_13tensor_layout4gemm8RowMajorENS3_11ColumnMajorES4_NS_9f8_fnuz_tENS_7pk_i4_tEfDF16_DF16_NS_16tensor_operation12element_wise11PassThroughESA_SA_LNS8_6device18GemmSpecializationE0ELi256ELi256ELi256ELi128ELi16ELi32ELi16ELi16ELi8ELi4ENS_8SequenceIJLi8ELi32ELi1EEEENSD_IJLi1ELi0ELi2EEEESF_Li2ELi16ELi16ELb0ELi0ENSD_IJLi4ELi64ELi1EEEESF_SF_Li2ELi32ELi32ELb0ELi0ELi1ELi1ENSD_IJLi1ELi32ELi1ELi8EEEELi4ELNS_26BlockGemmPipelineSchedulerE0ELNS_24BlockGemmPipelineVersionE2ES6_S6_Lb0ELb0ELi0EEELb1ELNS_25InMemoryDataOperationEnumE1ELi1ELNS_10TailNumberE1EEEvNT_8ArgumentE
	.globl	_ZN2ck45kernel_gemm_xdl_cshuffle_v3_b_preshuffle_2ldsINS_41GridwiseGemm_xdl_cshuffle_v3_b_preshuffleINS_13tensor_layout4gemm8RowMajorENS3_11ColumnMajorES4_NS_9f8_fnuz_tENS_7pk_i4_tEfDF16_DF16_NS_16tensor_operation12element_wise11PassThroughESA_SA_LNS8_6device18GemmSpecializationE0ELi256ELi256ELi256ELi128ELi16ELi32ELi16ELi16ELi8ELi4ENS_8SequenceIJLi8ELi32ELi1EEEENSD_IJLi1ELi0ELi2EEEESF_Li2ELi16ELi16ELb0ELi0ENSD_IJLi4ELi64ELi1EEEESF_SF_Li2ELi32ELi32ELb0ELi0ELi1ELi1ENSD_IJLi1ELi32ELi1ELi8EEEELi4ELNS_26BlockGemmPipelineSchedulerE0ELNS_24BlockGemmPipelineVersionE2ES6_S6_Lb0ELb0ELi0EEELb1ELNS_25InMemoryDataOperationEnumE1ELi1ELNS_10TailNumberE1EEEvNT_8ArgumentE
	.p2align	8
	.type	_ZN2ck45kernel_gemm_xdl_cshuffle_v3_b_preshuffle_2ldsINS_41GridwiseGemm_xdl_cshuffle_v3_b_preshuffleINS_13tensor_layout4gemm8RowMajorENS3_11ColumnMajorES4_NS_9f8_fnuz_tENS_7pk_i4_tEfDF16_DF16_NS_16tensor_operation12element_wise11PassThroughESA_SA_LNS8_6device18GemmSpecializationE0ELi256ELi256ELi256ELi128ELi16ELi32ELi16ELi16ELi8ELi4ENS_8SequenceIJLi8ELi32ELi1EEEENSD_IJLi1ELi0ELi2EEEESF_Li2ELi16ELi16ELb0ELi0ENSD_IJLi4ELi64ELi1EEEESF_SF_Li2ELi32ELi32ELb0ELi0ELi1ELi1ENSD_IJLi1ELi32ELi1ELi8EEEELi4ELNS_26BlockGemmPipelineSchedulerE0ELNS_24BlockGemmPipelineVersionE2ES6_S6_Lb0ELb0ELi0EEELb1ELNS_25InMemoryDataOperationEnumE1ELi1ELNS_10TailNumberE1EEEvNT_8ArgumentE,@function
_ZN2ck45kernel_gemm_xdl_cshuffle_v3_b_preshuffle_2ldsINS_41GridwiseGemm_xdl_cshuffle_v3_b_preshuffleINS_13tensor_layout4gemm8RowMajorENS3_11ColumnMajorES4_NS_9f8_fnuz_tENS_7pk_i4_tEfDF16_DF16_NS_16tensor_operation12element_wise11PassThroughESA_SA_LNS8_6device18GemmSpecializationE0ELi256ELi256ELi256ELi128ELi16ELi32ELi16ELi16ELi8ELi4ENS_8SequenceIJLi8ELi32ELi1EEEENSD_IJLi1ELi0ELi2EEEESF_Li2ELi16ELi16ELb0ELi0ENSD_IJLi4ELi64ELi1EEEESF_SF_Li2ELi32ELi32ELb0ELi0ELi1ELi1ENSD_IJLi1ELi32ELi1ELi8EEEELi4ELNS_26BlockGemmPipelineSchedulerE0ELNS_24BlockGemmPipelineVersionE2ES6_S6_Lb0ELb0ELi0EEELb1ELNS_25InMemoryDataOperationEnumE1ELi1ELNS_10TailNumberE1EEEvNT_8ArgumentE: ; @_ZN2ck45kernel_gemm_xdl_cshuffle_v3_b_preshuffle_2ldsINS_41GridwiseGemm_xdl_cshuffle_v3_b_preshuffleINS_13tensor_layout4gemm8RowMajorENS3_11ColumnMajorES4_NS_9f8_fnuz_tENS_7pk_i4_tEfDF16_DF16_NS_16tensor_operation12element_wise11PassThroughESA_SA_LNS8_6device18GemmSpecializationE0ELi256ELi256ELi256ELi128ELi16ELi32ELi16ELi16ELi8ELi4ENS_8SequenceIJLi8ELi32ELi1EEEENSD_IJLi1ELi0ELi2EEEESF_Li2ELi16ELi16ELb0ELi0ENSD_IJLi4ELi64ELi1EEEESF_SF_Li2ELi32ELi32ELb0ELi0ELi1ELi1ENSD_IJLi1ELi32ELi1ELi8EEEELi4ELNS_26BlockGemmPipelineSchedulerE0ELNS_24BlockGemmPipelineVersionE2ES6_S6_Lb0ELb0ELi0EEELb1ELNS_25InMemoryDataOperationEnumE1ELi1ELNS_10TailNumberE1EEEvNT_8ArgumentE
; %bb.0:
	s_endpgm
	.section	.rodata,"a",@progbits
	.p2align	6, 0x0
	.amdhsa_kernel _ZN2ck45kernel_gemm_xdl_cshuffle_v3_b_preshuffle_2ldsINS_41GridwiseGemm_xdl_cshuffle_v3_b_preshuffleINS_13tensor_layout4gemm8RowMajorENS3_11ColumnMajorES4_NS_9f8_fnuz_tENS_7pk_i4_tEfDF16_DF16_NS_16tensor_operation12element_wise11PassThroughESA_SA_LNS8_6device18GemmSpecializationE0ELi256ELi256ELi256ELi128ELi16ELi32ELi16ELi16ELi8ELi4ENS_8SequenceIJLi8ELi32ELi1EEEENSD_IJLi1ELi0ELi2EEEESF_Li2ELi16ELi16ELb0ELi0ENSD_IJLi4ELi64ELi1EEEESF_SF_Li2ELi32ELi32ELb0ELi0ELi1ELi1ENSD_IJLi1ELi32ELi1ELi8EEEELi4ELNS_26BlockGemmPipelineSchedulerE0ELNS_24BlockGemmPipelineVersionE2ES6_S6_Lb0ELb0ELi0EEELb1ELNS_25InMemoryDataOperationEnumE1ELi1ELNS_10TailNumberE1EEEvNT_8ArgumentE
		.amdhsa_group_segment_fixed_size 0
		.amdhsa_private_segment_fixed_size 0
		.amdhsa_kernarg_size 112
		.amdhsa_user_sgpr_count 6
		.amdhsa_user_sgpr_private_segment_buffer 1
		.amdhsa_user_sgpr_dispatch_ptr 0
		.amdhsa_user_sgpr_queue_ptr 0
		.amdhsa_user_sgpr_kernarg_segment_ptr 1
		.amdhsa_user_sgpr_dispatch_id 0
		.amdhsa_user_sgpr_flat_scratch_init 0
		.amdhsa_user_sgpr_kernarg_preload_length 0
		.amdhsa_user_sgpr_kernarg_preload_offset 0
		.amdhsa_user_sgpr_private_segment_size 0
		.amdhsa_uses_dynamic_stack 0
		.amdhsa_system_sgpr_private_segment_wavefront_offset 0
		.amdhsa_system_sgpr_workgroup_id_x 1
		.amdhsa_system_sgpr_workgroup_id_y 0
		.amdhsa_system_sgpr_workgroup_id_z 0
		.amdhsa_system_sgpr_workgroup_info 0
		.amdhsa_system_vgpr_workitem_id 0
		.amdhsa_next_free_vgpr 1
		.amdhsa_next_free_sgpr 0
		.amdhsa_accum_offset 4
		.amdhsa_reserve_vcc 0
		.amdhsa_reserve_flat_scratch 0
		.amdhsa_float_round_mode_32 0
		.amdhsa_float_round_mode_16_64 0
		.amdhsa_float_denorm_mode_32 3
		.amdhsa_float_denorm_mode_16_64 3
		.amdhsa_dx10_clamp 1
		.amdhsa_ieee_mode 1
		.amdhsa_fp16_overflow 0
		.amdhsa_tg_split 0
		.amdhsa_exception_fp_ieee_invalid_op 0
		.amdhsa_exception_fp_denorm_src 0
		.amdhsa_exception_fp_ieee_div_zero 0
		.amdhsa_exception_fp_ieee_overflow 0
		.amdhsa_exception_fp_ieee_underflow 0
		.amdhsa_exception_fp_ieee_inexact 0
		.amdhsa_exception_int_div_zero 0
	.end_amdhsa_kernel
	.section	.text._ZN2ck45kernel_gemm_xdl_cshuffle_v3_b_preshuffle_2ldsINS_41GridwiseGemm_xdl_cshuffle_v3_b_preshuffleINS_13tensor_layout4gemm8RowMajorENS3_11ColumnMajorES4_NS_9f8_fnuz_tENS_7pk_i4_tEfDF16_DF16_NS_16tensor_operation12element_wise11PassThroughESA_SA_LNS8_6device18GemmSpecializationE0ELi256ELi256ELi256ELi128ELi16ELi32ELi16ELi16ELi8ELi4ENS_8SequenceIJLi8ELi32ELi1EEEENSD_IJLi1ELi0ELi2EEEESF_Li2ELi16ELi16ELb0ELi0ENSD_IJLi4ELi64ELi1EEEESF_SF_Li2ELi32ELi32ELb0ELi0ELi1ELi1ENSD_IJLi1ELi32ELi1ELi8EEEELi4ELNS_26BlockGemmPipelineSchedulerE0ELNS_24BlockGemmPipelineVersionE2ES6_S6_Lb0ELb0ELi0EEELb1ELNS_25InMemoryDataOperationEnumE1ELi1ELNS_10TailNumberE1EEEvNT_8ArgumentE,"axG",@progbits,_ZN2ck45kernel_gemm_xdl_cshuffle_v3_b_preshuffle_2ldsINS_41GridwiseGemm_xdl_cshuffle_v3_b_preshuffleINS_13tensor_layout4gemm8RowMajorENS3_11ColumnMajorES4_NS_9f8_fnuz_tENS_7pk_i4_tEfDF16_DF16_NS_16tensor_operation12element_wise11PassThroughESA_SA_LNS8_6device18GemmSpecializationE0ELi256ELi256ELi256ELi128ELi16ELi32ELi16ELi16ELi8ELi4ENS_8SequenceIJLi8ELi32ELi1EEEENSD_IJLi1ELi0ELi2EEEESF_Li2ELi16ELi16ELb0ELi0ENSD_IJLi4ELi64ELi1EEEESF_SF_Li2ELi32ELi32ELb0ELi0ELi1ELi1ENSD_IJLi1ELi32ELi1ELi8EEEELi4ELNS_26BlockGemmPipelineSchedulerE0ELNS_24BlockGemmPipelineVersionE2ES6_S6_Lb0ELb0ELi0EEELb1ELNS_25InMemoryDataOperationEnumE1ELi1ELNS_10TailNumberE1EEEvNT_8ArgumentE,comdat
.Lfunc_end65:
	.size	_ZN2ck45kernel_gemm_xdl_cshuffle_v3_b_preshuffle_2ldsINS_41GridwiseGemm_xdl_cshuffle_v3_b_preshuffleINS_13tensor_layout4gemm8RowMajorENS3_11ColumnMajorES4_NS_9f8_fnuz_tENS_7pk_i4_tEfDF16_DF16_NS_16tensor_operation12element_wise11PassThroughESA_SA_LNS8_6device18GemmSpecializationE0ELi256ELi256ELi256ELi128ELi16ELi32ELi16ELi16ELi8ELi4ENS_8SequenceIJLi8ELi32ELi1EEEENSD_IJLi1ELi0ELi2EEEESF_Li2ELi16ELi16ELb0ELi0ENSD_IJLi4ELi64ELi1EEEESF_SF_Li2ELi32ELi32ELb0ELi0ELi1ELi1ENSD_IJLi1ELi32ELi1ELi8EEEELi4ELNS_26BlockGemmPipelineSchedulerE0ELNS_24BlockGemmPipelineVersionE2ES6_S6_Lb0ELb0ELi0EEELb1ELNS_25InMemoryDataOperationEnumE1ELi1ELNS_10TailNumberE1EEEvNT_8ArgumentE, .Lfunc_end65-_ZN2ck45kernel_gemm_xdl_cshuffle_v3_b_preshuffle_2ldsINS_41GridwiseGemm_xdl_cshuffle_v3_b_preshuffleINS_13tensor_layout4gemm8RowMajorENS3_11ColumnMajorES4_NS_9f8_fnuz_tENS_7pk_i4_tEfDF16_DF16_NS_16tensor_operation12element_wise11PassThroughESA_SA_LNS8_6device18GemmSpecializationE0ELi256ELi256ELi256ELi128ELi16ELi32ELi16ELi16ELi8ELi4ENS_8SequenceIJLi8ELi32ELi1EEEENSD_IJLi1ELi0ELi2EEEESF_Li2ELi16ELi16ELb0ELi0ENSD_IJLi4ELi64ELi1EEEESF_SF_Li2ELi32ELi32ELb0ELi0ELi1ELi1ENSD_IJLi1ELi32ELi1ELi8EEEELi4ELNS_26BlockGemmPipelineSchedulerE0ELNS_24BlockGemmPipelineVersionE2ES6_S6_Lb0ELb0ELi0EEELb1ELNS_25InMemoryDataOperationEnumE1ELi1ELNS_10TailNumberE1EEEvNT_8ArgumentE
                                        ; -- End function
	.section	.AMDGPU.csdata,"",@progbits
; Kernel info:
; codeLenInByte = 4
; NumSgprs: 4
; NumVgprs: 0
; NumAgprs: 0
; TotalNumVgprs: 0
; ScratchSize: 0
; MemoryBound: 0
; FloatMode: 240
; IeeeMode: 1
; LDSByteSize: 0 bytes/workgroup (compile time only)
; SGPRBlocks: 0
; VGPRBlocks: 0
; NumSGPRsForWavesPerEU: 4
; NumVGPRsForWavesPerEU: 1
; AccumOffset: 4
; Occupancy: 8
; WaveLimiterHint : 0
; COMPUTE_PGM_RSRC2:SCRATCH_EN: 0
; COMPUTE_PGM_RSRC2:USER_SGPR: 6
; COMPUTE_PGM_RSRC2:TRAP_HANDLER: 0
; COMPUTE_PGM_RSRC2:TGID_X_EN: 1
; COMPUTE_PGM_RSRC2:TGID_Y_EN: 0
; COMPUTE_PGM_RSRC2:TGID_Z_EN: 0
; COMPUTE_PGM_RSRC2:TIDIG_COMP_CNT: 0
; COMPUTE_PGM_RSRC3_GFX90A:ACCUM_OFFSET: 0
; COMPUTE_PGM_RSRC3_GFX90A:TG_SPLIT: 0
	.section	.text._ZN2ck45kernel_gemm_xdl_cshuffle_v3_b_preshuffle_2ldsINS_41GridwiseGemm_xdl_cshuffle_v3_b_preshuffleINS_13tensor_layout4gemm8RowMajorENS3_11ColumnMajorES4_NS_9f8_fnuz_tENS_7pk_i4_tEfDF16_DF16_NS_16tensor_operation12element_wise11PassThroughESA_SA_LNS8_6device18GemmSpecializationE0ELi256ELi256ELi256ELi128ELi16ELi32ELi16ELi16ELi8ELi4ENS_8SequenceIJLi8ELi32ELi1EEEENSD_IJLi1ELi0ELi2EEEESF_Li2ELi16ELi16ELb0ELi0ENSD_IJLi4ELi64ELi1EEEESF_SF_Li2ELi32ELi32ELb0ELi0ELi1ELi1ENSD_IJLi1ELi32ELi1ELi8EEEELi4ELNS_26BlockGemmPipelineSchedulerE0ELNS_24BlockGemmPipelineVersionE2ES6_S6_Lb0ELb0ELi0EEELb1ELNS_25InMemoryDataOperationEnumE0ELi1ELNS_10TailNumberE0EEEvNT_8ArgumentE,"axG",@progbits,_ZN2ck45kernel_gemm_xdl_cshuffle_v3_b_preshuffle_2ldsINS_41GridwiseGemm_xdl_cshuffle_v3_b_preshuffleINS_13tensor_layout4gemm8RowMajorENS3_11ColumnMajorES4_NS_9f8_fnuz_tENS_7pk_i4_tEfDF16_DF16_NS_16tensor_operation12element_wise11PassThroughESA_SA_LNS8_6device18GemmSpecializationE0ELi256ELi256ELi256ELi128ELi16ELi32ELi16ELi16ELi8ELi4ENS_8SequenceIJLi8ELi32ELi1EEEENSD_IJLi1ELi0ELi2EEEESF_Li2ELi16ELi16ELb0ELi0ENSD_IJLi4ELi64ELi1EEEESF_SF_Li2ELi32ELi32ELb0ELi0ELi1ELi1ENSD_IJLi1ELi32ELi1ELi8EEEELi4ELNS_26BlockGemmPipelineSchedulerE0ELNS_24BlockGemmPipelineVersionE2ES6_S6_Lb0ELb0ELi0EEELb1ELNS_25InMemoryDataOperationEnumE0ELi1ELNS_10TailNumberE0EEEvNT_8ArgumentE,comdat
	.protected	_ZN2ck45kernel_gemm_xdl_cshuffle_v3_b_preshuffle_2ldsINS_41GridwiseGemm_xdl_cshuffle_v3_b_preshuffleINS_13tensor_layout4gemm8RowMajorENS3_11ColumnMajorES4_NS_9f8_fnuz_tENS_7pk_i4_tEfDF16_DF16_NS_16tensor_operation12element_wise11PassThroughESA_SA_LNS8_6device18GemmSpecializationE0ELi256ELi256ELi256ELi128ELi16ELi32ELi16ELi16ELi8ELi4ENS_8SequenceIJLi8ELi32ELi1EEEENSD_IJLi1ELi0ELi2EEEESF_Li2ELi16ELi16ELb0ELi0ENSD_IJLi4ELi64ELi1EEEESF_SF_Li2ELi32ELi32ELb0ELi0ELi1ELi1ENSD_IJLi1ELi32ELi1ELi8EEEELi4ELNS_26BlockGemmPipelineSchedulerE0ELNS_24BlockGemmPipelineVersionE2ES6_S6_Lb0ELb0ELi0EEELb1ELNS_25InMemoryDataOperationEnumE0ELi1ELNS_10TailNumberE0EEEvNT_8ArgumentE ; -- Begin function _ZN2ck45kernel_gemm_xdl_cshuffle_v3_b_preshuffle_2ldsINS_41GridwiseGemm_xdl_cshuffle_v3_b_preshuffleINS_13tensor_layout4gemm8RowMajorENS3_11ColumnMajorES4_NS_9f8_fnuz_tENS_7pk_i4_tEfDF16_DF16_NS_16tensor_operation12element_wise11PassThroughESA_SA_LNS8_6device18GemmSpecializationE0ELi256ELi256ELi256ELi128ELi16ELi32ELi16ELi16ELi8ELi4ENS_8SequenceIJLi8ELi32ELi1EEEENSD_IJLi1ELi0ELi2EEEESF_Li2ELi16ELi16ELb0ELi0ENSD_IJLi4ELi64ELi1EEEESF_SF_Li2ELi32ELi32ELb0ELi0ELi1ELi1ENSD_IJLi1ELi32ELi1ELi8EEEELi4ELNS_26BlockGemmPipelineSchedulerE0ELNS_24BlockGemmPipelineVersionE2ES6_S6_Lb0ELb0ELi0EEELb1ELNS_25InMemoryDataOperationEnumE0ELi1ELNS_10TailNumberE0EEEvNT_8ArgumentE
	.globl	_ZN2ck45kernel_gemm_xdl_cshuffle_v3_b_preshuffle_2ldsINS_41GridwiseGemm_xdl_cshuffle_v3_b_preshuffleINS_13tensor_layout4gemm8RowMajorENS3_11ColumnMajorES4_NS_9f8_fnuz_tENS_7pk_i4_tEfDF16_DF16_NS_16tensor_operation12element_wise11PassThroughESA_SA_LNS8_6device18GemmSpecializationE0ELi256ELi256ELi256ELi128ELi16ELi32ELi16ELi16ELi8ELi4ENS_8SequenceIJLi8ELi32ELi1EEEENSD_IJLi1ELi0ELi2EEEESF_Li2ELi16ELi16ELb0ELi0ENSD_IJLi4ELi64ELi1EEEESF_SF_Li2ELi32ELi32ELb0ELi0ELi1ELi1ENSD_IJLi1ELi32ELi1ELi8EEEELi4ELNS_26BlockGemmPipelineSchedulerE0ELNS_24BlockGemmPipelineVersionE2ES6_S6_Lb0ELb0ELi0EEELb1ELNS_25InMemoryDataOperationEnumE0ELi1ELNS_10TailNumberE0EEEvNT_8ArgumentE
	.p2align	8
	.type	_ZN2ck45kernel_gemm_xdl_cshuffle_v3_b_preshuffle_2ldsINS_41GridwiseGemm_xdl_cshuffle_v3_b_preshuffleINS_13tensor_layout4gemm8RowMajorENS3_11ColumnMajorES4_NS_9f8_fnuz_tENS_7pk_i4_tEfDF16_DF16_NS_16tensor_operation12element_wise11PassThroughESA_SA_LNS8_6device18GemmSpecializationE0ELi256ELi256ELi256ELi128ELi16ELi32ELi16ELi16ELi8ELi4ENS_8SequenceIJLi8ELi32ELi1EEEENSD_IJLi1ELi0ELi2EEEESF_Li2ELi16ELi16ELb0ELi0ENSD_IJLi4ELi64ELi1EEEESF_SF_Li2ELi32ELi32ELb0ELi0ELi1ELi1ENSD_IJLi1ELi32ELi1ELi8EEEELi4ELNS_26BlockGemmPipelineSchedulerE0ELNS_24BlockGemmPipelineVersionE2ES6_S6_Lb0ELb0ELi0EEELb1ELNS_25InMemoryDataOperationEnumE0ELi1ELNS_10TailNumberE0EEEvNT_8ArgumentE,@function
_ZN2ck45kernel_gemm_xdl_cshuffle_v3_b_preshuffle_2ldsINS_41GridwiseGemm_xdl_cshuffle_v3_b_preshuffleINS_13tensor_layout4gemm8RowMajorENS3_11ColumnMajorES4_NS_9f8_fnuz_tENS_7pk_i4_tEfDF16_DF16_NS_16tensor_operation12element_wise11PassThroughESA_SA_LNS8_6device18GemmSpecializationE0ELi256ELi256ELi256ELi128ELi16ELi32ELi16ELi16ELi8ELi4ENS_8SequenceIJLi8ELi32ELi1EEEENSD_IJLi1ELi0ELi2EEEESF_Li2ELi16ELi16ELb0ELi0ENSD_IJLi4ELi64ELi1EEEESF_SF_Li2ELi32ELi32ELb0ELi0ELi1ELi1ENSD_IJLi1ELi32ELi1ELi8EEEELi4ELNS_26BlockGemmPipelineSchedulerE0ELNS_24BlockGemmPipelineVersionE2ES6_S6_Lb0ELb0ELi0EEELb1ELNS_25InMemoryDataOperationEnumE0ELi1ELNS_10TailNumberE0EEEvNT_8ArgumentE: ; @_ZN2ck45kernel_gemm_xdl_cshuffle_v3_b_preshuffle_2ldsINS_41GridwiseGemm_xdl_cshuffle_v3_b_preshuffleINS_13tensor_layout4gemm8RowMajorENS3_11ColumnMajorES4_NS_9f8_fnuz_tENS_7pk_i4_tEfDF16_DF16_NS_16tensor_operation12element_wise11PassThroughESA_SA_LNS8_6device18GemmSpecializationE0ELi256ELi256ELi256ELi128ELi16ELi32ELi16ELi16ELi8ELi4ENS_8SequenceIJLi8ELi32ELi1EEEENSD_IJLi1ELi0ELi2EEEESF_Li2ELi16ELi16ELb0ELi0ENSD_IJLi4ELi64ELi1EEEESF_SF_Li2ELi32ELi32ELb0ELi0ELi1ELi1ENSD_IJLi1ELi32ELi1ELi8EEEELi4ELNS_26BlockGemmPipelineSchedulerE0ELNS_24BlockGemmPipelineVersionE2ES6_S6_Lb0ELb0ELi0EEELb1ELNS_25InMemoryDataOperationEnumE0ELi1ELNS_10TailNumberE0EEEvNT_8ArgumentE
; %bb.0:
	s_endpgm
	.section	.rodata,"a",@progbits
	.p2align	6, 0x0
	.amdhsa_kernel _ZN2ck45kernel_gemm_xdl_cshuffle_v3_b_preshuffle_2ldsINS_41GridwiseGemm_xdl_cshuffle_v3_b_preshuffleINS_13tensor_layout4gemm8RowMajorENS3_11ColumnMajorES4_NS_9f8_fnuz_tENS_7pk_i4_tEfDF16_DF16_NS_16tensor_operation12element_wise11PassThroughESA_SA_LNS8_6device18GemmSpecializationE0ELi256ELi256ELi256ELi128ELi16ELi32ELi16ELi16ELi8ELi4ENS_8SequenceIJLi8ELi32ELi1EEEENSD_IJLi1ELi0ELi2EEEESF_Li2ELi16ELi16ELb0ELi0ENSD_IJLi4ELi64ELi1EEEESF_SF_Li2ELi32ELi32ELb0ELi0ELi1ELi1ENSD_IJLi1ELi32ELi1ELi8EEEELi4ELNS_26BlockGemmPipelineSchedulerE0ELNS_24BlockGemmPipelineVersionE2ES6_S6_Lb0ELb0ELi0EEELb1ELNS_25InMemoryDataOperationEnumE0ELi1ELNS_10TailNumberE0EEEvNT_8ArgumentE
		.amdhsa_group_segment_fixed_size 0
		.amdhsa_private_segment_fixed_size 0
		.amdhsa_kernarg_size 112
		.amdhsa_user_sgpr_count 6
		.amdhsa_user_sgpr_private_segment_buffer 1
		.amdhsa_user_sgpr_dispatch_ptr 0
		.amdhsa_user_sgpr_queue_ptr 0
		.amdhsa_user_sgpr_kernarg_segment_ptr 1
		.amdhsa_user_sgpr_dispatch_id 0
		.amdhsa_user_sgpr_flat_scratch_init 0
		.amdhsa_user_sgpr_kernarg_preload_length 0
		.amdhsa_user_sgpr_kernarg_preload_offset 0
		.amdhsa_user_sgpr_private_segment_size 0
		.amdhsa_uses_dynamic_stack 0
		.amdhsa_system_sgpr_private_segment_wavefront_offset 0
		.amdhsa_system_sgpr_workgroup_id_x 1
		.amdhsa_system_sgpr_workgroup_id_y 0
		.amdhsa_system_sgpr_workgroup_id_z 0
		.amdhsa_system_sgpr_workgroup_info 0
		.amdhsa_system_vgpr_workitem_id 0
		.amdhsa_next_free_vgpr 1
		.amdhsa_next_free_sgpr 0
		.amdhsa_accum_offset 4
		.amdhsa_reserve_vcc 0
		.amdhsa_reserve_flat_scratch 0
		.amdhsa_float_round_mode_32 0
		.amdhsa_float_round_mode_16_64 0
		.amdhsa_float_denorm_mode_32 3
		.amdhsa_float_denorm_mode_16_64 3
		.amdhsa_dx10_clamp 1
		.amdhsa_ieee_mode 1
		.amdhsa_fp16_overflow 0
		.amdhsa_tg_split 0
		.amdhsa_exception_fp_ieee_invalid_op 0
		.amdhsa_exception_fp_denorm_src 0
		.amdhsa_exception_fp_ieee_div_zero 0
		.amdhsa_exception_fp_ieee_overflow 0
		.amdhsa_exception_fp_ieee_underflow 0
		.amdhsa_exception_fp_ieee_inexact 0
		.amdhsa_exception_int_div_zero 0
	.end_amdhsa_kernel
	.section	.text._ZN2ck45kernel_gemm_xdl_cshuffle_v3_b_preshuffle_2ldsINS_41GridwiseGemm_xdl_cshuffle_v3_b_preshuffleINS_13tensor_layout4gemm8RowMajorENS3_11ColumnMajorES4_NS_9f8_fnuz_tENS_7pk_i4_tEfDF16_DF16_NS_16tensor_operation12element_wise11PassThroughESA_SA_LNS8_6device18GemmSpecializationE0ELi256ELi256ELi256ELi128ELi16ELi32ELi16ELi16ELi8ELi4ENS_8SequenceIJLi8ELi32ELi1EEEENSD_IJLi1ELi0ELi2EEEESF_Li2ELi16ELi16ELb0ELi0ENSD_IJLi4ELi64ELi1EEEESF_SF_Li2ELi32ELi32ELb0ELi0ELi1ELi1ENSD_IJLi1ELi32ELi1ELi8EEEELi4ELNS_26BlockGemmPipelineSchedulerE0ELNS_24BlockGemmPipelineVersionE2ES6_S6_Lb0ELb0ELi0EEELb1ELNS_25InMemoryDataOperationEnumE0ELi1ELNS_10TailNumberE0EEEvNT_8ArgumentE,"axG",@progbits,_ZN2ck45kernel_gemm_xdl_cshuffle_v3_b_preshuffle_2ldsINS_41GridwiseGemm_xdl_cshuffle_v3_b_preshuffleINS_13tensor_layout4gemm8RowMajorENS3_11ColumnMajorES4_NS_9f8_fnuz_tENS_7pk_i4_tEfDF16_DF16_NS_16tensor_operation12element_wise11PassThroughESA_SA_LNS8_6device18GemmSpecializationE0ELi256ELi256ELi256ELi128ELi16ELi32ELi16ELi16ELi8ELi4ENS_8SequenceIJLi8ELi32ELi1EEEENSD_IJLi1ELi0ELi2EEEESF_Li2ELi16ELi16ELb0ELi0ENSD_IJLi4ELi64ELi1EEEESF_SF_Li2ELi32ELi32ELb0ELi0ELi1ELi1ENSD_IJLi1ELi32ELi1ELi8EEEELi4ELNS_26BlockGemmPipelineSchedulerE0ELNS_24BlockGemmPipelineVersionE2ES6_S6_Lb0ELb0ELi0EEELb1ELNS_25InMemoryDataOperationEnumE0ELi1ELNS_10TailNumberE0EEEvNT_8ArgumentE,comdat
.Lfunc_end66:
	.size	_ZN2ck45kernel_gemm_xdl_cshuffle_v3_b_preshuffle_2ldsINS_41GridwiseGemm_xdl_cshuffle_v3_b_preshuffleINS_13tensor_layout4gemm8RowMajorENS3_11ColumnMajorES4_NS_9f8_fnuz_tENS_7pk_i4_tEfDF16_DF16_NS_16tensor_operation12element_wise11PassThroughESA_SA_LNS8_6device18GemmSpecializationE0ELi256ELi256ELi256ELi128ELi16ELi32ELi16ELi16ELi8ELi4ENS_8SequenceIJLi8ELi32ELi1EEEENSD_IJLi1ELi0ELi2EEEESF_Li2ELi16ELi16ELb0ELi0ENSD_IJLi4ELi64ELi1EEEESF_SF_Li2ELi32ELi32ELb0ELi0ELi1ELi1ENSD_IJLi1ELi32ELi1ELi8EEEELi4ELNS_26BlockGemmPipelineSchedulerE0ELNS_24BlockGemmPipelineVersionE2ES6_S6_Lb0ELb0ELi0EEELb1ELNS_25InMemoryDataOperationEnumE0ELi1ELNS_10TailNumberE0EEEvNT_8ArgumentE, .Lfunc_end66-_ZN2ck45kernel_gemm_xdl_cshuffle_v3_b_preshuffle_2ldsINS_41GridwiseGemm_xdl_cshuffle_v3_b_preshuffleINS_13tensor_layout4gemm8RowMajorENS3_11ColumnMajorES4_NS_9f8_fnuz_tENS_7pk_i4_tEfDF16_DF16_NS_16tensor_operation12element_wise11PassThroughESA_SA_LNS8_6device18GemmSpecializationE0ELi256ELi256ELi256ELi128ELi16ELi32ELi16ELi16ELi8ELi4ENS_8SequenceIJLi8ELi32ELi1EEEENSD_IJLi1ELi0ELi2EEEESF_Li2ELi16ELi16ELb0ELi0ENSD_IJLi4ELi64ELi1EEEESF_SF_Li2ELi32ELi32ELb0ELi0ELi1ELi1ENSD_IJLi1ELi32ELi1ELi8EEEELi4ELNS_26BlockGemmPipelineSchedulerE0ELNS_24BlockGemmPipelineVersionE2ES6_S6_Lb0ELb0ELi0EEELb1ELNS_25InMemoryDataOperationEnumE0ELi1ELNS_10TailNumberE0EEEvNT_8ArgumentE
                                        ; -- End function
	.section	.AMDGPU.csdata,"",@progbits
; Kernel info:
; codeLenInByte = 4
; NumSgprs: 4
; NumVgprs: 0
; NumAgprs: 0
; TotalNumVgprs: 0
; ScratchSize: 0
; MemoryBound: 0
; FloatMode: 240
; IeeeMode: 1
; LDSByteSize: 0 bytes/workgroup (compile time only)
; SGPRBlocks: 0
; VGPRBlocks: 0
; NumSGPRsForWavesPerEU: 4
; NumVGPRsForWavesPerEU: 1
; AccumOffset: 4
; Occupancy: 8
; WaveLimiterHint : 0
; COMPUTE_PGM_RSRC2:SCRATCH_EN: 0
; COMPUTE_PGM_RSRC2:USER_SGPR: 6
; COMPUTE_PGM_RSRC2:TRAP_HANDLER: 0
; COMPUTE_PGM_RSRC2:TGID_X_EN: 1
; COMPUTE_PGM_RSRC2:TGID_Y_EN: 0
; COMPUTE_PGM_RSRC2:TGID_Z_EN: 0
; COMPUTE_PGM_RSRC2:TIDIG_COMP_CNT: 0
; COMPUTE_PGM_RSRC3_GFX90A:ACCUM_OFFSET: 0
; COMPUTE_PGM_RSRC3_GFX90A:TG_SPLIT: 0
	.section	.text._ZN2ck45kernel_gemm_xdl_cshuffle_v3_b_preshuffle_2ldsINS_41GridwiseGemm_xdl_cshuffle_v3_b_preshuffleINS_13tensor_layout4gemm8RowMajorENS3_11ColumnMajorES4_NS_9f8_fnuz_tENS_7pk_i4_tEfDF16_DF16_NS_16tensor_operation12element_wise11PassThroughESA_SA_LNS8_6device18GemmSpecializationE0ELi256ELi256ELi256ELi128ELi16ELi32ELi16ELi16ELi8ELi4ENS_8SequenceIJLi8ELi32ELi1EEEENSD_IJLi1ELi0ELi2EEEESF_Li2ELi16ELi16ELb0ELi0ENSD_IJLi4ELi64ELi1EEEESF_SF_Li2ELi32ELi32ELb0ELi0ELi1ELi1ENSD_IJLi1ELi32ELi1ELi8EEEELi4ELNS_26BlockGemmPipelineSchedulerE0ELNS_24BlockGemmPipelineVersionE2ES6_S6_Lb0ELb0ELi0EEELb1ELNS_25InMemoryDataOperationEnumE0ELi1ELNS_10TailNumberE1EEEvNT_8ArgumentE,"axG",@progbits,_ZN2ck45kernel_gemm_xdl_cshuffle_v3_b_preshuffle_2ldsINS_41GridwiseGemm_xdl_cshuffle_v3_b_preshuffleINS_13tensor_layout4gemm8RowMajorENS3_11ColumnMajorES4_NS_9f8_fnuz_tENS_7pk_i4_tEfDF16_DF16_NS_16tensor_operation12element_wise11PassThroughESA_SA_LNS8_6device18GemmSpecializationE0ELi256ELi256ELi256ELi128ELi16ELi32ELi16ELi16ELi8ELi4ENS_8SequenceIJLi8ELi32ELi1EEEENSD_IJLi1ELi0ELi2EEEESF_Li2ELi16ELi16ELb0ELi0ENSD_IJLi4ELi64ELi1EEEESF_SF_Li2ELi32ELi32ELb0ELi0ELi1ELi1ENSD_IJLi1ELi32ELi1ELi8EEEELi4ELNS_26BlockGemmPipelineSchedulerE0ELNS_24BlockGemmPipelineVersionE2ES6_S6_Lb0ELb0ELi0EEELb1ELNS_25InMemoryDataOperationEnumE0ELi1ELNS_10TailNumberE1EEEvNT_8ArgumentE,comdat
	.protected	_ZN2ck45kernel_gemm_xdl_cshuffle_v3_b_preshuffle_2ldsINS_41GridwiseGemm_xdl_cshuffle_v3_b_preshuffleINS_13tensor_layout4gemm8RowMajorENS3_11ColumnMajorES4_NS_9f8_fnuz_tENS_7pk_i4_tEfDF16_DF16_NS_16tensor_operation12element_wise11PassThroughESA_SA_LNS8_6device18GemmSpecializationE0ELi256ELi256ELi256ELi128ELi16ELi32ELi16ELi16ELi8ELi4ENS_8SequenceIJLi8ELi32ELi1EEEENSD_IJLi1ELi0ELi2EEEESF_Li2ELi16ELi16ELb0ELi0ENSD_IJLi4ELi64ELi1EEEESF_SF_Li2ELi32ELi32ELb0ELi0ELi1ELi1ENSD_IJLi1ELi32ELi1ELi8EEEELi4ELNS_26BlockGemmPipelineSchedulerE0ELNS_24BlockGemmPipelineVersionE2ES6_S6_Lb0ELb0ELi0EEELb1ELNS_25InMemoryDataOperationEnumE0ELi1ELNS_10TailNumberE1EEEvNT_8ArgumentE ; -- Begin function _ZN2ck45kernel_gemm_xdl_cshuffle_v3_b_preshuffle_2ldsINS_41GridwiseGemm_xdl_cshuffle_v3_b_preshuffleINS_13tensor_layout4gemm8RowMajorENS3_11ColumnMajorES4_NS_9f8_fnuz_tENS_7pk_i4_tEfDF16_DF16_NS_16tensor_operation12element_wise11PassThroughESA_SA_LNS8_6device18GemmSpecializationE0ELi256ELi256ELi256ELi128ELi16ELi32ELi16ELi16ELi8ELi4ENS_8SequenceIJLi8ELi32ELi1EEEENSD_IJLi1ELi0ELi2EEEESF_Li2ELi16ELi16ELb0ELi0ENSD_IJLi4ELi64ELi1EEEESF_SF_Li2ELi32ELi32ELb0ELi0ELi1ELi1ENSD_IJLi1ELi32ELi1ELi8EEEELi4ELNS_26BlockGemmPipelineSchedulerE0ELNS_24BlockGemmPipelineVersionE2ES6_S6_Lb0ELb0ELi0EEELb1ELNS_25InMemoryDataOperationEnumE0ELi1ELNS_10TailNumberE1EEEvNT_8ArgumentE
	.globl	_ZN2ck45kernel_gemm_xdl_cshuffle_v3_b_preshuffle_2ldsINS_41GridwiseGemm_xdl_cshuffle_v3_b_preshuffleINS_13tensor_layout4gemm8RowMajorENS3_11ColumnMajorES4_NS_9f8_fnuz_tENS_7pk_i4_tEfDF16_DF16_NS_16tensor_operation12element_wise11PassThroughESA_SA_LNS8_6device18GemmSpecializationE0ELi256ELi256ELi256ELi128ELi16ELi32ELi16ELi16ELi8ELi4ENS_8SequenceIJLi8ELi32ELi1EEEENSD_IJLi1ELi0ELi2EEEESF_Li2ELi16ELi16ELb0ELi0ENSD_IJLi4ELi64ELi1EEEESF_SF_Li2ELi32ELi32ELb0ELi0ELi1ELi1ENSD_IJLi1ELi32ELi1ELi8EEEELi4ELNS_26BlockGemmPipelineSchedulerE0ELNS_24BlockGemmPipelineVersionE2ES6_S6_Lb0ELb0ELi0EEELb1ELNS_25InMemoryDataOperationEnumE0ELi1ELNS_10TailNumberE1EEEvNT_8ArgumentE
	.p2align	8
	.type	_ZN2ck45kernel_gemm_xdl_cshuffle_v3_b_preshuffle_2ldsINS_41GridwiseGemm_xdl_cshuffle_v3_b_preshuffleINS_13tensor_layout4gemm8RowMajorENS3_11ColumnMajorES4_NS_9f8_fnuz_tENS_7pk_i4_tEfDF16_DF16_NS_16tensor_operation12element_wise11PassThroughESA_SA_LNS8_6device18GemmSpecializationE0ELi256ELi256ELi256ELi128ELi16ELi32ELi16ELi16ELi8ELi4ENS_8SequenceIJLi8ELi32ELi1EEEENSD_IJLi1ELi0ELi2EEEESF_Li2ELi16ELi16ELb0ELi0ENSD_IJLi4ELi64ELi1EEEESF_SF_Li2ELi32ELi32ELb0ELi0ELi1ELi1ENSD_IJLi1ELi32ELi1ELi8EEEELi4ELNS_26BlockGemmPipelineSchedulerE0ELNS_24BlockGemmPipelineVersionE2ES6_S6_Lb0ELb0ELi0EEELb1ELNS_25InMemoryDataOperationEnumE0ELi1ELNS_10TailNumberE1EEEvNT_8ArgumentE,@function
_ZN2ck45kernel_gemm_xdl_cshuffle_v3_b_preshuffle_2ldsINS_41GridwiseGemm_xdl_cshuffle_v3_b_preshuffleINS_13tensor_layout4gemm8RowMajorENS3_11ColumnMajorES4_NS_9f8_fnuz_tENS_7pk_i4_tEfDF16_DF16_NS_16tensor_operation12element_wise11PassThroughESA_SA_LNS8_6device18GemmSpecializationE0ELi256ELi256ELi256ELi128ELi16ELi32ELi16ELi16ELi8ELi4ENS_8SequenceIJLi8ELi32ELi1EEEENSD_IJLi1ELi0ELi2EEEESF_Li2ELi16ELi16ELb0ELi0ENSD_IJLi4ELi64ELi1EEEESF_SF_Li2ELi32ELi32ELb0ELi0ELi1ELi1ENSD_IJLi1ELi32ELi1ELi8EEEELi4ELNS_26BlockGemmPipelineSchedulerE0ELNS_24BlockGemmPipelineVersionE2ES6_S6_Lb0ELb0ELi0EEELb1ELNS_25InMemoryDataOperationEnumE0ELi1ELNS_10TailNumberE1EEEvNT_8ArgumentE: ; @_ZN2ck45kernel_gemm_xdl_cshuffle_v3_b_preshuffle_2ldsINS_41GridwiseGemm_xdl_cshuffle_v3_b_preshuffleINS_13tensor_layout4gemm8RowMajorENS3_11ColumnMajorES4_NS_9f8_fnuz_tENS_7pk_i4_tEfDF16_DF16_NS_16tensor_operation12element_wise11PassThroughESA_SA_LNS8_6device18GemmSpecializationE0ELi256ELi256ELi256ELi128ELi16ELi32ELi16ELi16ELi8ELi4ENS_8SequenceIJLi8ELi32ELi1EEEENSD_IJLi1ELi0ELi2EEEESF_Li2ELi16ELi16ELb0ELi0ENSD_IJLi4ELi64ELi1EEEESF_SF_Li2ELi32ELi32ELb0ELi0ELi1ELi1ENSD_IJLi1ELi32ELi1ELi8EEEELi4ELNS_26BlockGemmPipelineSchedulerE0ELNS_24BlockGemmPipelineVersionE2ES6_S6_Lb0ELb0ELi0EEELb1ELNS_25InMemoryDataOperationEnumE0ELi1ELNS_10TailNumberE1EEEvNT_8ArgumentE
; %bb.0:
	s_endpgm
	.section	.rodata,"a",@progbits
	.p2align	6, 0x0
	.amdhsa_kernel _ZN2ck45kernel_gemm_xdl_cshuffle_v3_b_preshuffle_2ldsINS_41GridwiseGemm_xdl_cshuffle_v3_b_preshuffleINS_13tensor_layout4gemm8RowMajorENS3_11ColumnMajorES4_NS_9f8_fnuz_tENS_7pk_i4_tEfDF16_DF16_NS_16tensor_operation12element_wise11PassThroughESA_SA_LNS8_6device18GemmSpecializationE0ELi256ELi256ELi256ELi128ELi16ELi32ELi16ELi16ELi8ELi4ENS_8SequenceIJLi8ELi32ELi1EEEENSD_IJLi1ELi0ELi2EEEESF_Li2ELi16ELi16ELb0ELi0ENSD_IJLi4ELi64ELi1EEEESF_SF_Li2ELi32ELi32ELb0ELi0ELi1ELi1ENSD_IJLi1ELi32ELi1ELi8EEEELi4ELNS_26BlockGemmPipelineSchedulerE0ELNS_24BlockGemmPipelineVersionE2ES6_S6_Lb0ELb0ELi0EEELb1ELNS_25InMemoryDataOperationEnumE0ELi1ELNS_10TailNumberE1EEEvNT_8ArgumentE
		.amdhsa_group_segment_fixed_size 0
		.amdhsa_private_segment_fixed_size 0
		.amdhsa_kernarg_size 112
		.amdhsa_user_sgpr_count 6
		.amdhsa_user_sgpr_private_segment_buffer 1
		.amdhsa_user_sgpr_dispatch_ptr 0
		.amdhsa_user_sgpr_queue_ptr 0
		.amdhsa_user_sgpr_kernarg_segment_ptr 1
		.amdhsa_user_sgpr_dispatch_id 0
		.amdhsa_user_sgpr_flat_scratch_init 0
		.amdhsa_user_sgpr_kernarg_preload_length 0
		.amdhsa_user_sgpr_kernarg_preload_offset 0
		.amdhsa_user_sgpr_private_segment_size 0
		.amdhsa_uses_dynamic_stack 0
		.amdhsa_system_sgpr_private_segment_wavefront_offset 0
		.amdhsa_system_sgpr_workgroup_id_x 1
		.amdhsa_system_sgpr_workgroup_id_y 0
		.amdhsa_system_sgpr_workgroup_id_z 0
		.amdhsa_system_sgpr_workgroup_info 0
		.amdhsa_system_vgpr_workitem_id 0
		.amdhsa_next_free_vgpr 1
		.amdhsa_next_free_sgpr 0
		.amdhsa_accum_offset 4
		.amdhsa_reserve_vcc 0
		.amdhsa_reserve_flat_scratch 0
		.amdhsa_float_round_mode_32 0
		.amdhsa_float_round_mode_16_64 0
		.amdhsa_float_denorm_mode_32 3
		.amdhsa_float_denorm_mode_16_64 3
		.amdhsa_dx10_clamp 1
		.amdhsa_ieee_mode 1
		.amdhsa_fp16_overflow 0
		.amdhsa_tg_split 0
		.amdhsa_exception_fp_ieee_invalid_op 0
		.amdhsa_exception_fp_denorm_src 0
		.amdhsa_exception_fp_ieee_div_zero 0
		.amdhsa_exception_fp_ieee_overflow 0
		.amdhsa_exception_fp_ieee_underflow 0
		.amdhsa_exception_fp_ieee_inexact 0
		.amdhsa_exception_int_div_zero 0
	.end_amdhsa_kernel
	.section	.text._ZN2ck45kernel_gemm_xdl_cshuffle_v3_b_preshuffle_2ldsINS_41GridwiseGemm_xdl_cshuffle_v3_b_preshuffleINS_13tensor_layout4gemm8RowMajorENS3_11ColumnMajorES4_NS_9f8_fnuz_tENS_7pk_i4_tEfDF16_DF16_NS_16tensor_operation12element_wise11PassThroughESA_SA_LNS8_6device18GemmSpecializationE0ELi256ELi256ELi256ELi128ELi16ELi32ELi16ELi16ELi8ELi4ENS_8SequenceIJLi8ELi32ELi1EEEENSD_IJLi1ELi0ELi2EEEESF_Li2ELi16ELi16ELb0ELi0ENSD_IJLi4ELi64ELi1EEEESF_SF_Li2ELi32ELi32ELb0ELi0ELi1ELi1ENSD_IJLi1ELi32ELi1ELi8EEEELi4ELNS_26BlockGemmPipelineSchedulerE0ELNS_24BlockGemmPipelineVersionE2ES6_S6_Lb0ELb0ELi0EEELb1ELNS_25InMemoryDataOperationEnumE0ELi1ELNS_10TailNumberE1EEEvNT_8ArgumentE,"axG",@progbits,_ZN2ck45kernel_gemm_xdl_cshuffle_v3_b_preshuffle_2ldsINS_41GridwiseGemm_xdl_cshuffle_v3_b_preshuffleINS_13tensor_layout4gemm8RowMajorENS3_11ColumnMajorES4_NS_9f8_fnuz_tENS_7pk_i4_tEfDF16_DF16_NS_16tensor_operation12element_wise11PassThroughESA_SA_LNS8_6device18GemmSpecializationE0ELi256ELi256ELi256ELi128ELi16ELi32ELi16ELi16ELi8ELi4ENS_8SequenceIJLi8ELi32ELi1EEEENSD_IJLi1ELi0ELi2EEEESF_Li2ELi16ELi16ELb0ELi0ENSD_IJLi4ELi64ELi1EEEESF_SF_Li2ELi32ELi32ELb0ELi0ELi1ELi1ENSD_IJLi1ELi32ELi1ELi8EEEELi4ELNS_26BlockGemmPipelineSchedulerE0ELNS_24BlockGemmPipelineVersionE2ES6_S6_Lb0ELb0ELi0EEELb1ELNS_25InMemoryDataOperationEnumE0ELi1ELNS_10TailNumberE1EEEvNT_8ArgumentE,comdat
.Lfunc_end67:
	.size	_ZN2ck45kernel_gemm_xdl_cshuffle_v3_b_preshuffle_2ldsINS_41GridwiseGemm_xdl_cshuffle_v3_b_preshuffleINS_13tensor_layout4gemm8RowMajorENS3_11ColumnMajorES4_NS_9f8_fnuz_tENS_7pk_i4_tEfDF16_DF16_NS_16tensor_operation12element_wise11PassThroughESA_SA_LNS8_6device18GemmSpecializationE0ELi256ELi256ELi256ELi128ELi16ELi32ELi16ELi16ELi8ELi4ENS_8SequenceIJLi8ELi32ELi1EEEENSD_IJLi1ELi0ELi2EEEESF_Li2ELi16ELi16ELb0ELi0ENSD_IJLi4ELi64ELi1EEEESF_SF_Li2ELi32ELi32ELb0ELi0ELi1ELi1ENSD_IJLi1ELi32ELi1ELi8EEEELi4ELNS_26BlockGemmPipelineSchedulerE0ELNS_24BlockGemmPipelineVersionE2ES6_S6_Lb0ELb0ELi0EEELb1ELNS_25InMemoryDataOperationEnumE0ELi1ELNS_10TailNumberE1EEEvNT_8ArgumentE, .Lfunc_end67-_ZN2ck45kernel_gemm_xdl_cshuffle_v3_b_preshuffle_2ldsINS_41GridwiseGemm_xdl_cshuffle_v3_b_preshuffleINS_13tensor_layout4gemm8RowMajorENS3_11ColumnMajorES4_NS_9f8_fnuz_tENS_7pk_i4_tEfDF16_DF16_NS_16tensor_operation12element_wise11PassThroughESA_SA_LNS8_6device18GemmSpecializationE0ELi256ELi256ELi256ELi128ELi16ELi32ELi16ELi16ELi8ELi4ENS_8SequenceIJLi8ELi32ELi1EEEENSD_IJLi1ELi0ELi2EEEESF_Li2ELi16ELi16ELb0ELi0ENSD_IJLi4ELi64ELi1EEEESF_SF_Li2ELi32ELi32ELb0ELi0ELi1ELi1ENSD_IJLi1ELi32ELi1ELi8EEEELi4ELNS_26BlockGemmPipelineSchedulerE0ELNS_24BlockGemmPipelineVersionE2ES6_S6_Lb0ELb0ELi0EEELb1ELNS_25InMemoryDataOperationEnumE0ELi1ELNS_10TailNumberE1EEEvNT_8ArgumentE
                                        ; -- End function
	.section	.AMDGPU.csdata,"",@progbits
; Kernel info:
; codeLenInByte = 4
; NumSgprs: 4
; NumVgprs: 0
; NumAgprs: 0
; TotalNumVgprs: 0
; ScratchSize: 0
; MemoryBound: 0
; FloatMode: 240
; IeeeMode: 1
; LDSByteSize: 0 bytes/workgroup (compile time only)
; SGPRBlocks: 0
; VGPRBlocks: 0
; NumSGPRsForWavesPerEU: 4
; NumVGPRsForWavesPerEU: 1
; AccumOffset: 4
; Occupancy: 8
; WaveLimiterHint : 0
; COMPUTE_PGM_RSRC2:SCRATCH_EN: 0
; COMPUTE_PGM_RSRC2:USER_SGPR: 6
; COMPUTE_PGM_RSRC2:TRAP_HANDLER: 0
; COMPUTE_PGM_RSRC2:TGID_X_EN: 1
; COMPUTE_PGM_RSRC2:TGID_Y_EN: 0
; COMPUTE_PGM_RSRC2:TGID_Z_EN: 0
; COMPUTE_PGM_RSRC2:TIDIG_COMP_CNT: 0
; COMPUTE_PGM_RSRC3_GFX90A:ACCUM_OFFSET: 0
; COMPUTE_PGM_RSRC3_GFX90A:TG_SPLIT: 0
	.text
	.p2alignl 6, 3212836864
	.fill 256, 4, 3212836864
	.protected	_ZN2ck41GridwiseGemm_xdl_cshuffle_v3_b_preshuffleINS_13tensor_layout4gemm8RowMajorENS2_11ColumnMajorES3_NS_9f8_fnuz_tENS_7pk_i4_tEfDF16_DF16_NS_16tensor_operation12element_wise11PassThroughES9_S9_LNS7_6device18GemmSpecializationE0ELi256ELi256ELi256ELi128ELi16ELi32ELi16ELi16ELi8ELi8ENS_8SequenceIJLi8ELi32ELi1EEEENSC_IJLi1ELi0ELi2EEEESE_Li2ELi16ELi16ELb0ELi0ENSC_IJLi4ELi64ELi1EEEESE_SE_Li2ELi32ELi32ELb0ELi0ELi1ELi1ENSC_IJLi1ELi32ELi1ELi8EEEELi4ELNS_26BlockGemmPipelineSchedulerE0ELNS_24BlockGemmPipelineVersionE2ES5_S5_Lb0ELb0ELi0EE5NWaveE ; @_ZN2ck41GridwiseGemm_xdl_cshuffle_v3_b_preshuffleINS_13tensor_layout4gemm8RowMajorENS2_11ColumnMajorES3_NS_9f8_fnuz_tENS_7pk_i4_tEfDF16_DF16_NS_16tensor_operation12element_wise11PassThroughES9_S9_LNS7_6device18GemmSpecializationE0ELi256ELi256ELi256ELi128ELi16ELi32ELi16ELi16ELi8ELi8ENS_8SequenceIJLi8ELi32ELi1EEEENSC_IJLi1ELi0ELi2EEEESE_Li2ELi16ELi16ELb0ELi0ENSC_IJLi4ELi64ELi1EEEESE_SE_Li2ELi32ELi32ELb0ELi0ELi1ELi1ENSC_IJLi1ELi32ELi1ELi8EEEELi4ELNS_26BlockGemmPipelineSchedulerE0ELNS_24BlockGemmPipelineVersionE2ES5_S5_Lb0ELb0ELi0EE5NWaveE
	.type	_ZN2ck41GridwiseGemm_xdl_cshuffle_v3_b_preshuffleINS_13tensor_layout4gemm8RowMajorENS2_11ColumnMajorES3_NS_9f8_fnuz_tENS_7pk_i4_tEfDF16_DF16_NS_16tensor_operation12element_wise11PassThroughES9_S9_LNS7_6device18GemmSpecializationE0ELi256ELi256ELi256ELi128ELi16ELi32ELi16ELi16ELi8ELi8ENS_8SequenceIJLi8ELi32ELi1EEEENSC_IJLi1ELi0ELi2EEEESE_Li2ELi16ELi16ELb0ELi0ENSC_IJLi4ELi64ELi1EEEESE_SE_Li2ELi32ELi32ELb0ELi0ELi1ELi1ENSC_IJLi1ELi32ELi1ELi8EEEELi4ELNS_26BlockGemmPipelineSchedulerE0ELNS_24BlockGemmPipelineVersionE2ES5_S5_Lb0ELb0ELi0EE5NWaveE,@object
	.section	.rodata._ZN2ck41GridwiseGemm_xdl_cshuffle_v3_b_preshuffleINS_13tensor_layout4gemm8RowMajorENS2_11ColumnMajorES3_NS_9f8_fnuz_tENS_7pk_i4_tEfDF16_DF16_NS_16tensor_operation12element_wise11PassThroughES9_S9_LNS7_6device18GemmSpecializationE0ELi256ELi256ELi256ELi128ELi16ELi32ELi16ELi16ELi8ELi8ENS_8SequenceIJLi8ELi32ELi1EEEENSC_IJLi1ELi0ELi2EEEESE_Li2ELi16ELi16ELb0ELi0ENSC_IJLi4ELi64ELi1EEEESE_SE_Li2ELi32ELi32ELb0ELi0ELi1ELi1ENSC_IJLi1ELi32ELi1ELi8EEEELi4ELNS_26BlockGemmPipelineSchedulerE0ELNS_24BlockGemmPipelineVersionE2ES5_S5_Lb0ELb0ELi0EE5NWaveE,"aG",@progbits,_ZN2ck41GridwiseGemm_xdl_cshuffle_v3_b_preshuffleINS_13tensor_layout4gemm8RowMajorENS2_11ColumnMajorES3_NS_9f8_fnuz_tENS_7pk_i4_tEfDF16_DF16_NS_16tensor_operation12element_wise11PassThroughES9_S9_LNS7_6device18GemmSpecializationE0ELi256ELi256ELi256ELi128ELi16ELi32ELi16ELi16ELi8ELi8ENS_8SequenceIJLi8ELi32ELi1EEEENSC_IJLi1ELi0ELi2EEEESE_Li2ELi16ELi16ELb0ELi0ENSC_IJLi4ELi64ELi1EEEESE_SE_Li2ELi32ELi32ELb0ELi0ELi1ELi1ENSC_IJLi1ELi32ELi1ELi8EEEELi4ELNS_26BlockGemmPipelineSchedulerE0ELNS_24BlockGemmPipelineVersionE2ES5_S5_Lb0ELb0ELi0EE5NWaveE,comdat
	.weak	_ZN2ck41GridwiseGemm_xdl_cshuffle_v3_b_preshuffleINS_13tensor_layout4gemm8RowMajorENS2_11ColumnMajorES3_NS_9f8_fnuz_tENS_7pk_i4_tEfDF16_DF16_NS_16tensor_operation12element_wise11PassThroughES9_S9_LNS7_6device18GemmSpecializationE0ELi256ELi256ELi256ELi128ELi16ELi32ELi16ELi16ELi8ELi8ENS_8SequenceIJLi8ELi32ELi1EEEENSC_IJLi1ELi0ELi2EEEESE_Li2ELi16ELi16ELb0ELi0ENSC_IJLi4ELi64ELi1EEEESE_SE_Li2ELi32ELi32ELb0ELi0ELi1ELi1ENSC_IJLi1ELi32ELi1ELi8EEEELi4ELNS_26BlockGemmPipelineSchedulerE0ELNS_24BlockGemmPipelineVersionE2ES5_S5_Lb0ELb0ELi0EE5NWaveE
	.p2align	2, 0x0
_ZN2ck41GridwiseGemm_xdl_cshuffle_v3_b_preshuffleINS_13tensor_layout4gemm8RowMajorENS2_11ColumnMajorES3_NS_9f8_fnuz_tENS_7pk_i4_tEfDF16_DF16_NS_16tensor_operation12element_wise11PassThroughES9_S9_LNS7_6device18GemmSpecializationE0ELi256ELi256ELi256ELi128ELi16ELi32ELi16ELi16ELi8ELi8ENS_8SequenceIJLi8ELi32ELi1EEEENSC_IJLi1ELi0ELi2EEEESE_Li2ELi16ELi16ELb0ELi0ENSC_IJLi4ELi64ELi1EEEESE_SE_Li2ELi32ELi32ELb0ELi0ELi1ELi1ENSC_IJLi1ELi32ELi1ELi8EEEELi4ELNS_26BlockGemmPipelineSchedulerE0ELNS_24BlockGemmPipelineVersionE2ES5_S5_Lb0ELb0ELi0EE5NWaveE:
	.long	2                               ; 0x2
	.size	_ZN2ck41GridwiseGemm_xdl_cshuffle_v3_b_preshuffleINS_13tensor_layout4gemm8RowMajorENS2_11ColumnMajorES3_NS_9f8_fnuz_tENS_7pk_i4_tEfDF16_DF16_NS_16tensor_operation12element_wise11PassThroughES9_S9_LNS7_6device18GemmSpecializationE0ELi256ELi256ELi256ELi128ELi16ELi32ELi16ELi16ELi8ELi8ENS_8SequenceIJLi8ELi32ELi1EEEENSC_IJLi1ELi0ELi2EEEESE_Li2ELi16ELi16ELb0ELi0ENSC_IJLi4ELi64ELi1EEEESE_SE_Li2ELi32ELi32ELb0ELi0ELi1ELi1ENSC_IJLi1ELi32ELi1ELi8EEEELi4ELNS_26BlockGemmPipelineSchedulerE0ELNS_24BlockGemmPipelineVersionE2ES5_S5_Lb0ELb0ELi0EE5NWaveE, 4

	.type	__const._ZN2ck41GridwiseGemm_xdl_cshuffle_v3_b_preshuffleINS_13tensor_layout4gemm8RowMajorENS2_11ColumnMajorES3_NS_9f8_fnuz_tENS_7pk_i4_tEfDF16_DF16_NS_16tensor_operation12element_wise11PassThroughES9_S9_LNS7_6device18GemmSpecializationE0ELi256ELi256ELi256ELi128ELi16ELi32ELi16ELi16ELi8ELi8ENS_8SequenceIJLi8ELi32ELi1EEEENSC_IJLi1ELi0ELi2EEEESE_Li2ELi16ELi16ELb0ELi0ENSC_IJLi4ELi64ELi1EEEESE_SE_Li2ELi32ELi32ELb0ELi0ELi1ELi1ENSC_IJLi1ELi32ELi1ELi8EEEELi4ELNS_26BlockGemmPipelineSchedulerE0ELNS_24BlockGemmPipelineVersionE2ES5_S5_Lb0ELb0ELi0EE8Run_2LdsIKNS_16TensorDescriptorINS_5TupleIJNS_5EmbedINSM_IJiiEEENSM_IJiNS_17integral_constantIiLi1EEEEEELb0EEENS_7UnMergeISO_Lb0EEENS_11PassThroughIiEEEEENSM_IJNSC_IJLi0EEEENSC_IJLi2EEEENSC_IJLi1EEEEEEENSM_IJNSC_IJLi1ELi2EEEENSC_IJLi3ELi4EEEENSC_IJLi5EEEEEEENSC_IJLi3ELi5ELi4EEEElEEKNSL_INSM_IJNSN_INSM_IJiiiiEEENSM_IJiiiSQ_EEELb0EEEEEENSM_IJSY_EEENSM_IJNSC_IJLi1ELi2ELi3ELi4EEEEEEES1E_lEEKNSL_INSM_IJSS_NS_8RightPadIiiLb0EEES1J_NST_INSM_IJiNSP_IiLi256EEEEEELb0EEES1M_EEENSM_IJSY_S10_SZ_NSC_IJLi3EEEENSC_IJLi4EEEEEEENSM_IJS12_S1O_S1P_NSC_IJLi5ELi6EEEENSC_IJLi7ELi8EEEEEEENSC_IJLi5ELi6ELi7ELi8EEEElEELb1ELNS_25InMemoryDataOperationEnumE1ELNS_10TailNumberE0EEEvPKS5_PKS6_PDF16_PvS24_RKNSJ_7ProblemERKT_RKT0_RKT1_i.a_block_slice_copy_step,@object ; @__const._ZN2ck41GridwiseGemm_xdl_cshuffle_v3_b_preshuffleINS_13tensor_layout4gemm8RowMajorENS2_11ColumnMajorES3_NS_9f8_fnuz_tENS_7pk_i4_tEfDF16_DF16_NS_16tensor_operation12element_wise11PassThroughES9_S9_LNS7_6device18GemmSpecializationE0ELi256ELi256ELi256ELi128ELi16ELi32ELi16ELi16ELi8ELi8ENS_8SequenceIJLi8ELi32ELi1EEEENSC_IJLi1ELi0ELi2EEEESE_Li2ELi16ELi16ELb0ELi0ENSC_IJLi4ELi64ELi1EEEESE_SE_Li2ELi32ELi32ELb0ELi0ELi1ELi1ENSC_IJLi1ELi32ELi1ELi8EEEELi4ELNS_26BlockGemmPipelineSchedulerE0ELNS_24BlockGemmPipelineVersionE2ES5_S5_Lb0ELb0ELi0EE8Run_2LdsIKNS_16TensorDescriptorINS_5TupleIJNS_5EmbedINSM_IJiiEEENSM_IJiNS_17integral_constantIiLi1EEEEEELb0EEENS_7UnMergeISO_Lb0EEENS_11PassThroughIiEEEEENSM_IJNSC_IJLi0EEEENSC_IJLi2EEEENSC_IJLi1EEEEEEENSM_IJNSC_IJLi1ELi2EEEENSC_IJLi3ELi4EEEENSC_IJLi5EEEEEEENSC_IJLi3ELi5ELi4EEEElEEKNSL_INSM_IJNSN_INSM_IJiiiiEEENSM_IJiiiSQ_EEELb0EEEEEENSM_IJSY_EEENSM_IJNSC_IJLi1ELi2ELi3ELi4EEEEEEES1E_lEEKNSL_INSM_IJSS_NS_8RightPadIiiLb0EEES1J_NST_INSM_IJiNSP_IiLi256EEEEEELb0EEES1M_EEENSM_IJSY_S10_SZ_NSC_IJLi3EEEENSC_IJLi4EEEEEEENSM_IJS12_S1O_S1P_NSC_IJLi5ELi6EEEENSC_IJLi7ELi8EEEEEEENSC_IJLi5ELi6ELi7ELi8EEEElEELb1ELNS_25InMemoryDataOperationEnumE1ELNS_10TailNumberE0EEEvPKS5_PKS6_PDF16_PvS24_RKNSJ_7ProblemERKT_RKT0_RKT1_i.a_block_slice_copy_step
	.section	.rodata,"a",@progbits
	.p2align	2, 0x0
__const._ZN2ck41GridwiseGemm_xdl_cshuffle_v3_b_preshuffleINS_13tensor_layout4gemm8RowMajorENS2_11ColumnMajorES3_NS_9f8_fnuz_tENS_7pk_i4_tEfDF16_DF16_NS_16tensor_operation12element_wise11PassThroughES9_S9_LNS7_6device18GemmSpecializationE0ELi256ELi256ELi256ELi128ELi16ELi32ELi16ELi16ELi8ELi8ENS_8SequenceIJLi8ELi32ELi1EEEENSC_IJLi1ELi0ELi2EEEESE_Li2ELi16ELi16ELb0ELi0ENSC_IJLi4ELi64ELi1EEEESE_SE_Li2ELi32ELi32ELb0ELi0ELi1ELi1ENSC_IJLi1ELi32ELi1ELi8EEEELi4ELNS_26BlockGemmPipelineSchedulerE0ELNS_24BlockGemmPipelineVersionE2ES5_S5_Lb0ELb0ELi0EE8Run_2LdsIKNS_16TensorDescriptorINS_5TupleIJNS_5EmbedINSM_IJiiEEENSM_IJiNS_17integral_constantIiLi1EEEEEELb0EEENS_7UnMergeISO_Lb0EEENS_11PassThroughIiEEEEENSM_IJNSC_IJLi0EEEENSC_IJLi2EEEENSC_IJLi1EEEEEEENSM_IJNSC_IJLi1ELi2EEEENSC_IJLi3ELi4EEEENSC_IJLi5EEEEEEENSC_IJLi3ELi5ELi4EEEElEEKNSL_INSM_IJNSN_INSM_IJiiiiEEENSM_IJiiiSQ_EEELb0EEEEEENSM_IJSY_EEENSM_IJNSC_IJLi1ELi2ELi3ELi4EEEEEEES1E_lEEKNSL_INSM_IJSS_NS_8RightPadIiiLb0EEES1J_NST_INSM_IJiNSP_IiLi256EEEEEELb0EEES1M_EEENSM_IJSY_S10_SZ_NSC_IJLi3EEEENSC_IJLi4EEEEEEENSM_IJS12_S1O_S1P_NSC_IJLi5ELi6EEEENSC_IJLi7ELi8EEEEEEENSC_IJLi5ELi6ELi7ELi8EEEElEELb1ELNS_25InMemoryDataOperationEnumE1ELNS_10TailNumberE0EEEvPKS5_PKS6_PDF16_PvS24_RKNSJ_7ProblemERKT_RKT0_RKT1_i.a_block_slice_copy_step:
	.long	8                               ; 0x8
	.long	0                               ; 0x0
	;; [unrolled: 1-line block ×3, first 2 shown]
	.size	__const._ZN2ck41GridwiseGemm_xdl_cshuffle_v3_b_preshuffleINS_13tensor_layout4gemm8RowMajorENS2_11ColumnMajorES3_NS_9f8_fnuz_tENS_7pk_i4_tEfDF16_DF16_NS_16tensor_operation12element_wise11PassThroughES9_S9_LNS7_6device18GemmSpecializationE0ELi256ELi256ELi256ELi128ELi16ELi32ELi16ELi16ELi8ELi8ENS_8SequenceIJLi8ELi32ELi1EEEENSC_IJLi1ELi0ELi2EEEESE_Li2ELi16ELi16ELb0ELi0ENSC_IJLi4ELi64ELi1EEEESE_SE_Li2ELi32ELi32ELb0ELi0ELi1ELi1ENSC_IJLi1ELi32ELi1ELi8EEEELi4ELNS_26BlockGemmPipelineSchedulerE0ELNS_24BlockGemmPipelineVersionE2ES5_S5_Lb0ELb0ELi0EE8Run_2LdsIKNS_16TensorDescriptorINS_5TupleIJNS_5EmbedINSM_IJiiEEENSM_IJiNS_17integral_constantIiLi1EEEEEELb0EEENS_7UnMergeISO_Lb0EEENS_11PassThroughIiEEEEENSM_IJNSC_IJLi0EEEENSC_IJLi2EEEENSC_IJLi1EEEEEEENSM_IJNSC_IJLi1ELi2EEEENSC_IJLi3ELi4EEEENSC_IJLi5EEEEEEENSC_IJLi3ELi5ELi4EEEElEEKNSL_INSM_IJNSN_INSM_IJiiiiEEENSM_IJiiiSQ_EEELb0EEEEEENSM_IJSY_EEENSM_IJNSC_IJLi1ELi2ELi3ELi4EEEEEEES1E_lEEKNSL_INSM_IJSS_NS_8RightPadIiiLb0EEES1J_NST_INSM_IJiNSP_IiLi256EEEEEELb0EEES1M_EEENSM_IJSY_S10_SZ_NSC_IJLi3EEEENSC_IJLi4EEEEEEENSM_IJS12_S1O_S1P_NSC_IJLi5ELi6EEEENSC_IJLi7ELi8EEEEEEENSC_IJLi5ELi6ELi7ELi8EEEElEELb1ELNS_25InMemoryDataOperationEnumE1ELNS_10TailNumberE0EEEvPKS5_PKS6_PDF16_PvS24_RKNSJ_7ProblemERKT_RKT0_RKT1_i.a_block_slice_copy_step, 12

	.type	__const._ZN2ck41GridwiseGemm_xdl_cshuffle_v3_b_preshuffleINS_13tensor_layout4gemm8RowMajorENS2_11ColumnMajorES3_NS_9f8_fnuz_tENS_7pk_i4_tEfDF16_DF16_NS_16tensor_operation12element_wise11PassThroughES9_S9_LNS7_6device18GemmSpecializationE0ELi256ELi256ELi256ELi128ELi16ELi32ELi16ELi16ELi8ELi8ENS_8SequenceIJLi8ELi32ELi1EEEENSC_IJLi1ELi0ELi2EEEESE_Li2ELi16ELi16ELb0ELi0ENSC_IJLi4ELi64ELi1EEEESE_SE_Li2ELi32ELi32ELb0ELi0ELi1ELi1ENSC_IJLi1ELi32ELi1ELi8EEEELi4ELNS_26BlockGemmPipelineSchedulerE0ELNS_24BlockGemmPipelineVersionE2ES5_S5_Lb0ELb0ELi0EE8Run_2LdsIKNS_16TensorDescriptorINS_5TupleIJNS_5EmbedINSM_IJiiEEENSM_IJiNS_17integral_constantIiLi1EEEEEELb0EEENS_7UnMergeISO_Lb0EEENS_11PassThroughIiEEEEENSM_IJNSC_IJLi0EEEENSC_IJLi2EEEENSC_IJLi1EEEEEEENSM_IJNSC_IJLi1ELi2EEEENSC_IJLi3ELi4EEEENSC_IJLi5EEEEEEENSC_IJLi3ELi5ELi4EEEElEEKNSL_INSM_IJNSN_INSM_IJiiiiEEENSM_IJiiiSQ_EEELb0EEEEEENSM_IJSY_EEENSM_IJNSC_IJLi1ELi2ELi3ELi4EEEEEEES1E_lEEKNSL_INSM_IJSS_NS_8RightPadIiiLb0EEES1J_NST_INSM_IJiNSP_IiLi256EEEEEELb0EEES1M_EEENSM_IJSY_S10_SZ_NSC_IJLi3EEEENSC_IJLi4EEEEEEENSM_IJS12_S1O_S1P_NSC_IJLi5ELi6EEEENSC_IJLi7ELi8EEEEEEENSC_IJLi5ELi6ELi7ELi8EEEElEELb1ELNS_25InMemoryDataOperationEnumE1ELNS_10TailNumberE0EEEvPKS5_PKS6_PDF16_PvS24_RKNSJ_7ProblemERKT_RKT0_RKT1_i.b_block_slice_copy_step,@object ; @__const._ZN2ck41GridwiseGemm_xdl_cshuffle_v3_b_preshuffleINS_13tensor_layout4gemm8RowMajorENS2_11ColumnMajorES3_NS_9f8_fnuz_tENS_7pk_i4_tEfDF16_DF16_NS_16tensor_operation12element_wise11PassThroughES9_S9_LNS7_6device18GemmSpecializationE0ELi256ELi256ELi256ELi128ELi16ELi32ELi16ELi16ELi8ELi8ENS_8SequenceIJLi8ELi32ELi1EEEENSC_IJLi1ELi0ELi2EEEESE_Li2ELi16ELi16ELb0ELi0ENSC_IJLi4ELi64ELi1EEEESE_SE_Li2ELi32ELi32ELb0ELi0ELi1ELi1ENSC_IJLi1ELi32ELi1ELi8EEEELi4ELNS_26BlockGemmPipelineSchedulerE0ELNS_24BlockGemmPipelineVersionE2ES5_S5_Lb0ELb0ELi0EE8Run_2LdsIKNS_16TensorDescriptorINS_5TupleIJNS_5EmbedINSM_IJiiEEENSM_IJiNS_17integral_constantIiLi1EEEEEELb0EEENS_7UnMergeISO_Lb0EEENS_11PassThroughIiEEEEENSM_IJNSC_IJLi0EEEENSC_IJLi2EEEENSC_IJLi1EEEEEEENSM_IJNSC_IJLi1ELi2EEEENSC_IJLi3ELi4EEEENSC_IJLi5EEEEEEENSC_IJLi3ELi5ELi4EEEElEEKNSL_INSM_IJNSN_INSM_IJiiiiEEENSM_IJiiiSQ_EEELb0EEEEEENSM_IJSY_EEENSM_IJNSC_IJLi1ELi2ELi3ELi4EEEEEEES1E_lEEKNSL_INSM_IJSS_NS_8RightPadIiiLb0EEES1J_NST_INSM_IJiNSP_IiLi256EEEEEELb0EEES1M_EEENSM_IJSY_S10_SZ_NSC_IJLi3EEEENSC_IJLi4EEEEEEENSM_IJS12_S1O_S1P_NSC_IJLi5ELi6EEEENSC_IJLi7ELi8EEEEEEENSC_IJLi5ELi6ELi7ELi8EEEElEELb1ELNS_25InMemoryDataOperationEnumE1ELNS_10TailNumberE0EEEvPKS5_PKS6_PDF16_PvS24_RKNSJ_7ProblemERKT_RKT0_RKT1_i.b_block_slice_copy_step
	.section	.rodata.cst16,"aM",@progbits,16
	.p2align	2, 0x0
__const._ZN2ck41GridwiseGemm_xdl_cshuffle_v3_b_preshuffleINS_13tensor_layout4gemm8RowMajorENS2_11ColumnMajorES3_NS_9f8_fnuz_tENS_7pk_i4_tEfDF16_DF16_NS_16tensor_operation12element_wise11PassThroughES9_S9_LNS7_6device18GemmSpecializationE0ELi256ELi256ELi256ELi128ELi16ELi32ELi16ELi16ELi8ELi8ENS_8SequenceIJLi8ELi32ELi1EEEENSC_IJLi1ELi0ELi2EEEESE_Li2ELi16ELi16ELb0ELi0ENSC_IJLi4ELi64ELi1EEEESE_SE_Li2ELi32ELi32ELb0ELi0ELi1ELi1ENSC_IJLi1ELi32ELi1ELi8EEEELi4ELNS_26BlockGemmPipelineSchedulerE0ELNS_24BlockGemmPipelineVersionE2ES5_S5_Lb0ELb0ELi0EE8Run_2LdsIKNS_16TensorDescriptorINS_5TupleIJNS_5EmbedINSM_IJiiEEENSM_IJiNS_17integral_constantIiLi1EEEEEELb0EEENS_7UnMergeISO_Lb0EEENS_11PassThroughIiEEEEENSM_IJNSC_IJLi0EEEENSC_IJLi2EEEENSC_IJLi1EEEEEEENSM_IJNSC_IJLi1ELi2EEEENSC_IJLi3ELi4EEEENSC_IJLi5EEEEEEENSC_IJLi3ELi5ELi4EEEElEEKNSL_INSM_IJNSN_INSM_IJiiiiEEENSM_IJiiiSQ_EEELb0EEEEEENSM_IJSY_EEENSM_IJNSC_IJLi1ELi2ELi3ELi4EEEEEEES1E_lEEKNSL_INSM_IJSS_NS_8RightPadIiiLb0EEES1J_NST_INSM_IJiNSP_IiLi256EEEEEELb0EEES1M_EEENSM_IJSY_S10_SZ_NSC_IJLi3EEEENSC_IJLi4EEEEEEENSM_IJS12_S1O_S1P_NSC_IJLi5ELi6EEEENSC_IJLi7ELi8EEEEEEENSC_IJLi5ELi6ELi7ELi8EEEElEELb1ELNS_25InMemoryDataOperationEnumE1ELNS_10TailNumberE0EEEvPKS5_PKS6_PDF16_PvS24_RKNSJ_7ProblemERKT_RKT0_RKT1_i.b_block_slice_copy_step:
	.long	0                               ; 0x0
	.long	0                               ; 0x0
	;; [unrolled: 1-line block ×4, first 2 shown]
	.size	__const._ZN2ck41GridwiseGemm_xdl_cshuffle_v3_b_preshuffleINS_13tensor_layout4gemm8RowMajorENS2_11ColumnMajorES3_NS_9f8_fnuz_tENS_7pk_i4_tEfDF16_DF16_NS_16tensor_operation12element_wise11PassThroughES9_S9_LNS7_6device18GemmSpecializationE0ELi256ELi256ELi256ELi128ELi16ELi32ELi16ELi16ELi8ELi8ENS_8SequenceIJLi8ELi32ELi1EEEENSC_IJLi1ELi0ELi2EEEESE_Li2ELi16ELi16ELb0ELi0ENSC_IJLi4ELi64ELi1EEEESE_SE_Li2ELi32ELi32ELb0ELi0ELi1ELi1ENSC_IJLi1ELi32ELi1ELi8EEEELi4ELNS_26BlockGemmPipelineSchedulerE0ELNS_24BlockGemmPipelineVersionE2ES5_S5_Lb0ELb0ELi0EE8Run_2LdsIKNS_16TensorDescriptorINS_5TupleIJNS_5EmbedINSM_IJiiEEENSM_IJiNS_17integral_constantIiLi1EEEEEELb0EEENS_7UnMergeISO_Lb0EEENS_11PassThroughIiEEEEENSM_IJNSC_IJLi0EEEENSC_IJLi2EEEENSC_IJLi1EEEEEEENSM_IJNSC_IJLi1ELi2EEEENSC_IJLi3ELi4EEEENSC_IJLi5EEEEEEENSC_IJLi3ELi5ELi4EEEElEEKNSL_INSM_IJNSN_INSM_IJiiiiEEENSM_IJiiiSQ_EEELb0EEEEEENSM_IJSY_EEENSM_IJNSC_IJLi1ELi2ELi3ELi4EEEEEEES1E_lEEKNSL_INSM_IJSS_NS_8RightPadIiiLb0EEES1J_NST_INSM_IJiNSP_IiLi256EEEEEELb0EEES1M_EEENSM_IJSY_S10_SZ_NSC_IJLi3EEEENSC_IJLi4EEEEEEENSM_IJS12_S1O_S1P_NSC_IJLi5ELi6EEEENSC_IJLi7ELi8EEEEEEENSC_IJLi5ELi6ELi7ELi8EEEElEELb1ELNS_25InMemoryDataOperationEnumE1ELNS_10TailNumberE0EEEvPKS5_PKS6_PDF16_PvS24_RKNSJ_7ProblemERKT_RKT0_RKT1_i.b_block_slice_copy_step, 16

	.type	__const._ZN2ck41GridwiseGemm_xdl_cshuffle_v3_b_preshuffleINS_13tensor_layout4gemm8RowMajorENS2_11ColumnMajorES3_NS_9f8_fnuz_tENS_7pk_i4_tEfDF16_DF16_NS_16tensor_operation12element_wise11PassThroughES9_S9_LNS7_6device18GemmSpecializationE0ELi256ELi256ELi256ELi128ELi16ELi32ELi16ELi16ELi8ELi8ENS_8SequenceIJLi8ELi32ELi1EEEENSC_IJLi1ELi0ELi2EEEESE_Li2ELi16ELi16ELb0ELi0ENSC_IJLi4ELi64ELi1EEEESE_SE_Li2ELi32ELi32ELb0ELi0ELi1ELi1ENSC_IJLi1ELi32ELi1ELi8EEEELi4ELNS_26BlockGemmPipelineSchedulerE0ELNS_24BlockGemmPipelineVersionE2ES5_S5_Lb0ELb0ELi0EE8Run_2LdsIKNS_16TensorDescriptorINS_5TupleIJNS_5EmbedINSM_IJiiEEENSM_IJiNS_17integral_constantIiLi1EEEEEELb0EEENS_7UnMergeISO_Lb0EEENS_11PassThroughIiEEEEENSM_IJNSC_IJLi0EEEENSC_IJLi2EEEENSC_IJLi1EEEEEEENSM_IJNSC_IJLi1ELi2EEEENSC_IJLi3ELi4EEEENSC_IJLi5EEEEEEENSC_IJLi3ELi5ELi4EEEElEEKNSL_INSM_IJNSN_INSM_IJiiiiEEENSM_IJiiiSQ_EEELb0EEEEEENSM_IJSY_EEENSM_IJNSC_IJLi1ELi2ELi3ELi4EEEEEEES1E_lEEKNSL_INSM_IJSS_NS_8RightPadIiiLb0EEES1J_NST_INSM_IJiNSP_IiLi256EEEEEELb0EEES1M_EEENSM_IJSY_S10_SZ_NSC_IJLi3EEEENSC_IJLi4EEEEEEENSM_IJS12_S1O_S1P_NSC_IJLi5ELi6EEEENSC_IJLi7ELi8EEEEEEENSC_IJLi5ELi6ELi7ELi8EEEElEELb1ELNS_25InMemoryDataOperationEnumE1ELNS_10TailNumberE1EEEvPKS5_PKS6_PDF16_PvS24_RKNSJ_7ProblemERKT_RKT0_RKT1_i.a_block_slice_copy_step,@object ; @__const._ZN2ck41GridwiseGemm_xdl_cshuffle_v3_b_preshuffleINS_13tensor_layout4gemm8RowMajorENS2_11ColumnMajorES3_NS_9f8_fnuz_tENS_7pk_i4_tEfDF16_DF16_NS_16tensor_operation12element_wise11PassThroughES9_S9_LNS7_6device18GemmSpecializationE0ELi256ELi256ELi256ELi128ELi16ELi32ELi16ELi16ELi8ELi8ENS_8SequenceIJLi8ELi32ELi1EEEENSC_IJLi1ELi0ELi2EEEESE_Li2ELi16ELi16ELb0ELi0ENSC_IJLi4ELi64ELi1EEEESE_SE_Li2ELi32ELi32ELb0ELi0ELi1ELi1ENSC_IJLi1ELi32ELi1ELi8EEEELi4ELNS_26BlockGemmPipelineSchedulerE0ELNS_24BlockGemmPipelineVersionE2ES5_S5_Lb0ELb0ELi0EE8Run_2LdsIKNS_16TensorDescriptorINS_5TupleIJNS_5EmbedINSM_IJiiEEENSM_IJiNS_17integral_constantIiLi1EEEEEELb0EEENS_7UnMergeISO_Lb0EEENS_11PassThroughIiEEEEENSM_IJNSC_IJLi0EEEENSC_IJLi2EEEENSC_IJLi1EEEEEEENSM_IJNSC_IJLi1ELi2EEEENSC_IJLi3ELi4EEEENSC_IJLi5EEEEEEENSC_IJLi3ELi5ELi4EEEElEEKNSL_INSM_IJNSN_INSM_IJiiiiEEENSM_IJiiiSQ_EEELb0EEEEEENSM_IJSY_EEENSM_IJNSC_IJLi1ELi2ELi3ELi4EEEEEEES1E_lEEKNSL_INSM_IJSS_NS_8RightPadIiiLb0EEES1J_NST_INSM_IJiNSP_IiLi256EEEEEELb0EEES1M_EEENSM_IJSY_S10_SZ_NSC_IJLi3EEEENSC_IJLi4EEEEEEENSM_IJS12_S1O_S1P_NSC_IJLi5ELi6EEEENSC_IJLi7ELi8EEEEEEENSC_IJLi5ELi6ELi7ELi8EEEElEELb1ELNS_25InMemoryDataOperationEnumE1ELNS_10TailNumberE1EEEvPKS5_PKS6_PDF16_PvS24_RKNSJ_7ProblemERKT_RKT0_RKT1_i.a_block_slice_copy_step
	.section	.rodata,"a",@progbits
	.p2align	2, 0x0
__const._ZN2ck41GridwiseGemm_xdl_cshuffle_v3_b_preshuffleINS_13tensor_layout4gemm8RowMajorENS2_11ColumnMajorES3_NS_9f8_fnuz_tENS_7pk_i4_tEfDF16_DF16_NS_16tensor_operation12element_wise11PassThroughES9_S9_LNS7_6device18GemmSpecializationE0ELi256ELi256ELi256ELi128ELi16ELi32ELi16ELi16ELi8ELi8ENS_8SequenceIJLi8ELi32ELi1EEEENSC_IJLi1ELi0ELi2EEEESE_Li2ELi16ELi16ELb0ELi0ENSC_IJLi4ELi64ELi1EEEESE_SE_Li2ELi32ELi32ELb0ELi0ELi1ELi1ENSC_IJLi1ELi32ELi1ELi8EEEELi4ELNS_26BlockGemmPipelineSchedulerE0ELNS_24BlockGemmPipelineVersionE2ES5_S5_Lb0ELb0ELi0EE8Run_2LdsIKNS_16TensorDescriptorINS_5TupleIJNS_5EmbedINSM_IJiiEEENSM_IJiNS_17integral_constantIiLi1EEEEEELb0EEENS_7UnMergeISO_Lb0EEENS_11PassThroughIiEEEEENSM_IJNSC_IJLi0EEEENSC_IJLi2EEEENSC_IJLi1EEEEEEENSM_IJNSC_IJLi1ELi2EEEENSC_IJLi3ELi4EEEENSC_IJLi5EEEEEEENSC_IJLi3ELi5ELi4EEEElEEKNSL_INSM_IJNSN_INSM_IJiiiiEEENSM_IJiiiSQ_EEELb0EEEEEENSM_IJSY_EEENSM_IJNSC_IJLi1ELi2ELi3ELi4EEEEEEES1E_lEEKNSL_INSM_IJSS_NS_8RightPadIiiLb0EEES1J_NST_INSM_IJiNSP_IiLi256EEEEEELb0EEES1M_EEENSM_IJSY_S10_SZ_NSC_IJLi3EEEENSC_IJLi4EEEEEEENSM_IJS12_S1O_S1P_NSC_IJLi5ELi6EEEENSC_IJLi7ELi8EEEEEEENSC_IJLi5ELi6ELi7ELi8EEEElEELb1ELNS_25InMemoryDataOperationEnumE1ELNS_10TailNumberE1EEEvPKS5_PKS6_PDF16_PvS24_RKNSJ_7ProblemERKT_RKT0_RKT1_i.a_block_slice_copy_step:
	.long	8                               ; 0x8
	.long	0                               ; 0x0
	;; [unrolled: 1-line block ×3, first 2 shown]
	.size	__const._ZN2ck41GridwiseGemm_xdl_cshuffle_v3_b_preshuffleINS_13tensor_layout4gemm8RowMajorENS2_11ColumnMajorES3_NS_9f8_fnuz_tENS_7pk_i4_tEfDF16_DF16_NS_16tensor_operation12element_wise11PassThroughES9_S9_LNS7_6device18GemmSpecializationE0ELi256ELi256ELi256ELi128ELi16ELi32ELi16ELi16ELi8ELi8ENS_8SequenceIJLi8ELi32ELi1EEEENSC_IJLi1ELi0ELi2EEEESE_Li2ELi16ELi16ELb0ELi0ENSC_IJLi4ELi64ELi1EEEESE_SE_Li2ELi32ELi32ELb0ELi0ELi1ELi1ENSC_IJLi1ELi32ELi1ELi8EEEELi4ELNS_26BlockGemmPipelineSchedulerE0ELNS_24BlockGemmPipelineVersionE2ES5_S5_Lb0ELb0ELi0EE8Run_2LdsIKNS_16TensorDescriptorINS_5TupleIJNS_5EmbedINSM_IJiiEEENSM_IJiNS_17integral_constantIiLi1EEEEEELb0EEENS_7UnMergeISO_Lb0EEENS_11PassThroughIiEEEEENSM_IJNSC_IJLi0EEEENSC_IJLi2EEEENSC_IJLi1EEEEEEENSM_IJNSC_IJLi1ELi2EEEENSC_IJLi3ELi4EEEENSC_IJLi5EEEEEEENSC_IJLi3ELi5ELi4EEEElEEKNSL_INSM_IJNSN_INSM_IJiiiiEEENSM_IJiiiSQ_EEELb0EEEEEENSM_IJSY_EEENSM_IJNSC_IJLi1ELi2ELi3ELi4EEEEEEES1E_lEEKNSL_INSM_IJSS_NS_8RightPadIiiLb0EEES1J_NST_INSM_IJiNSP_IiLi256EEEEEELb0EEES1M_EEENSM_IJSY_S10_SZ_NSC_IJLi3EEEENSC_IJLi4EEEEEEENSM_IJS12_S1O_S1P_NSC_IJLi5ELi6EEEENSC_IJLi7ELi8EEEEEEENSC_IJLi5ELi6ELi7ELi8EEEElEELb1ELNS_25InMemoryDataOperationEnumE1ELNS_10TailNumberE1EEEvPKS5_PKS6_PDF16_PvS24_RKNSJ_7ProblemERKT_RKT0_RKT1_i.a_block_slice_copy_step, 12

	.type	__const._ZN2ck41GridwiseGemm_xdl_cshuffle_v3_b_preshuffleINS_13tensor_layout4gemm8RowMajorENS2_11ColumnMajorES3_NS_9f8_fnuz_tENS_7pk_i4_tEfDF16_DF16_NS_16tensor_operation12element_wise11PassThroughES9_S9_LNS7_6device18GemmSpecializationE0ELi256ELi256ELi256ELi128ELi16ELi32ELi16ELi16ELi8ELi8ENS_8SequenceIJLi8ELi32ELi1EEEENSC_IJLi1ELi0ELi2EEEESE_Li2ELi16ELi16ELb0ELi0ENSC_IJLi4ELi64ELi1EEEESE_SE_Li2ELi32ELi32ELb0ELi0ELi1ELi1ENSC_IJLi1ELi32ELi1ELi8EEEELi4ELNS_26BlockGemmPipelineSchedulerE0ELNS_24BlockGemmPipelineVersionE2ES5_S5_Lb0ELb0ELi0EE8Run_2LdsIKNS_16TensorDescriptorINS_5TupleIJNS_5EmbedINSM_IJiiEEENSM_IJiNS_17integral_constantIiLi1EEEEEELb0EEENS_7UnMergeISO_Lb0EEENS_11PassThroughIiEEEEENSM_IJNSC_IJLi0EEEENSC_IJLi2EEEENSC_IJLi1EEEEEEENSM_IJNSC_IJLi1ELi2EEEENSC_IJLi3ELi4EEEENSC_IJLi5EEEEEEENSC_IJLi3ELi5ELi4EEEElEEKNSL_INSM_IJNSN_INSM_IJiiiiEEENSM_IJiiiSQ_EEELb0EEEEEENSM_IJSY_EEENSM_IJNSC_IJLi1ELi2ELi3ELi4EEEEEEES1E_lEEKNSL_INSM_IJSS_NS_8RightPadIiiLb0EEES1J_NST_INSM_IJiNSP_IiLi256EEEEEELb0EEES1M_EEENSM_IJSY_S10_SZ_NSC_IJLi3EEEENSC_IJLi4EEEEEEENSM_IJS12_S1O_S1P_NSC_IJLi5ELi6EEEENSC_IJLi7ELi8EEEEEEENSC_IJLi5ELi6ELi7ELi8EEEElEELb1ELNS_25InMemoryDataOperationEnumE1ELNS_10TailNumberE1EEEvPKS5_PKS6_PDF16_PvS24_RKNSJ_7ProblemERKT_RKT0_RKT1_i.b_block_slice_copy_step,@object ; @__const._ZN2ck41GridwiseGemm_xdl_cshuffle_v3_b_preshuffleINS_13tensor_layout4gemm8RowMajorENS2_11ColumnMajorES3_NS_9f8_fnuz_tENS_7pk_i4_tEfDF16_DF16_NS_16tensor_operation12element_wise11PassThroughES9_S9_LNS7_6device18GemmSpecializationE0ELi256ELi256ELi256ELi128ELi16ELi32ELi16ELi16ELi8ELi8ENS_8SequenceIJLi8ELi32ELi1EEEENSC_IJLi1ELi0ELi2EEEESE_Li2ELi16ELi16ELb0ELi0ENSC_IJLi4ELi64ELi1EEEESE_SE_Li2ELi32ELi32ELb0ELi0ELi1ELi1ENSC_IJLi1ELi32ELi1ELi8EEEELi4ELNS_26BlockGemmPipelineSchedulerE0ELNS_24BlockGemmPipelineVersionE2ES5_S5_Lb0ELb0ELi0EE8Run_2LdsIKNS_16TensorDescriptorINS_5TupleIJNS_5EmbedINSM_IJiiEEENSM_IJiNS_17integral_constantIiLi1EEEEEELb0EEENS_7UnMergeISO_Lb0EEENS_11PassThroughIiEEEEENSM_IJNSC_IJLi0EEEENSC_IJLi2EEEENSC_IJLi1EEEEEEENSM_IJNSC_IJLi1ELi2EEEENSC_IJLi3ELi4EEEENSC_IJLi5EEEEEEENSC_IJLi3ELi5ELi4EEEElEEKNSL_INSM_IJNSN_INSM_IJiiiiEEENSM_IJiiiSQ_EEELb0EEEEEENSM_IJSY_EEENSM_IJNSC_IJLi1ELi2ELi3ELi4EEEEEEES1E_lEEKNSL_INSM_IJSS_NS_8RightPadIiiLb0EEES1J_NST_INSM_IJiNSP_IiLi256EEEEEELb0EEES1M_EEENSM_IJSY_S10_SZ_NSC_IJLi3EEEENSC_IJLi4EEEEEEENSM_IJS12_S1O_S1P_NSC_IJLi5ELi6EEEENSC_IJLi7ELi8EEEEEEENSC_IJLi5ELi6ELi7ELi8EEEElEELb1ELNS_25InMemoryDataOperationEnumE1ELNS_10TailNumberE1EEEvPKS5_PKS6_PDF16_PvS24_RKNSJ_7ProblemERKT_RKT0_RKT1_i.b_block_slice_copy_step
	.section	.rodata.cst16,"aM",@progbits,16
	.p2align	2, 0x0
__const._ZN2ck41GridwiseGemm_xdl_cshuffle_v3_b_preshuffleINS_13tensor_layout4gemm8RowMajorENS2_11ColumnMajorES3_NS_9f8_fnuz_tENS_7pk_i4_tEfDF16_DF16_NS_16tensor_operation12element_wise11PassThroughES9_S9_LNS7_6device18GemmSpecializationE0ELi256ELi256ELi256ELi128ELi16ELi32ELi16ELi16ELi8ELi8ENS_8SequenceIJLi8ELi32ELi1EEEENSC_IJLi1ELi0ELi2EEEESE_Li2ELi16ELi16ELb0ELi0ENSC_IJLi4ELi64ELi1EEEESE_SE_Li2ELi32ELi32ELb0ELi0ELi1ELi1ENSC_IJLi1ELi32ELi1ELi8EEEELi4ELNS_26BlockGemmPipelineSchedulerE0ELNS_24BlockGemmPipelineVersionE2ES5_S5_Lb0ELb0ELi0EE8Run_2LdsIKNS_16TensorDescriptorINS_5TupleIJNS_5EmbedINSM_IJiiEEENSM_IJiNS_17integral_constantIiLi1EEEEEELb0EEENS_7UnMergeISO_Lb0EEENS_11PassThroughIiEEEEENSM_IJNSC_IJLi0EEEENSC_IJLi2EEEENSC_IJLi1EEEEEEENSM_IJNSC_IJLi1ELi2EEEENSC_IJLi3ELi4EEEENSC_IJLi5EEEEEEENSC_IJLi3ELi5ELi4EEEElEEKNSL_INSM_IJNSN_INSM_IJiiiiEEENSM_IJiiiSQ_EEELb0EEEEEENSM_IJSY_EEENSM_IJNSC_IJLi1ELi2ELi3ELi4EEEEEEES1E_lEEKNSL_INSM_IJSS_NS_8RightPadIiiLb0EEES1J_NST_INSM_IJiNSP_IiLi256EEEEEELb0EEES1M_EEENSM_IJSY_S10_SZ_NSC_IJLi3EEEENSC_IJLi4EEEEEEENSM_IJS12_S1O_S1P_NSC_IJLi5ELi6EEEENSC_IJLi7ELi8EEEEEEENSC_IJLi5ELi6ELi7ELi8EEEElEELb1ELNS_25InMemoryDataOperationEnumE1ELNS_10TailNumberE1EEEvPKS5_PKS6_PDF16_PvS24_RKNSJ_7ProblemERKT_RKT0_RKT1_i.b_block_slice_copy_step:
	.long	0                               ; 0x0
	.long	0                               ; 0x0
	;; [unrolled: 1-line block ×4, first 2 shown]
	.size	__const._ZN2ck41GridwiseGemm_xdl_cshuffle_v3_b_preshuffleINS_13tensor_layout4gemm8RowMajorENS2_11ColumnMajorES3_NS_9f8_fnuz_tENS_7pk_i4_tEfDF16_DF16_NS_16tensor_operation12element_wise11PassThroughES9_S9_LNS7_6device18GemmSpecializationE0ELi256ELi256ELi256ELi128ELi16ELi32ELi16ELi16ELi8ELi8ENS_8SequenceIJLi8ELi32ELi1EEEENSC_IJLi1ELi0ELi2EEEESE_Li2ELi16ELi16ELb0ELi0ENSC_IJLi4ELi64ELi1EEEESE_SE_Li2ELi32ELi32ELb0ELi0ELi1ELi1ENSC_IJLi1ELi32ELi1ELi8EEEELi4ELNS_26BlockGemmPipelineSchedulerE0ELNS_24BlockGemmPipelineVersionE2ES5_S5_Lb0ELb0ELi0EE8Run_2LdsIKNS_16TensorDescriptorINS_5TupleIJNS_5EmbedINSM_IJiiEEENSM_IJiNS_17integral_constantIiLi1EEEEEELb0EEENS_7UnMergeISO_Lb0EEENS_11PassThroughIiEEEEENSM_IJNSC_IJLi0EEEENSC_IJLi2EEEENSC_IJLi1EEEEEEENSM_IJNSC_IJLi1ELi2EEEENSC_IJLi3ELi4EEEENSC_IJLi5EEEEEEENSC_IJLi3ELi5ELi4EEEElEEKNSL_INSM_IJNSN_INSM_IJiiiiEEENSM_IJiiiSQ_EEELb0EEEEEENSM_IJSY_EEENSM_IJNSC_IJLi1ELi2ELi3ELi4EEEEEEES1E_lEEKNSL_INSM_IJSS_NS_8RightPadIiiLb0EEES1J_NST_INSM_IJiNSP_IiLi256EEEEEELb0EEES1M_EEENSM_IJSY_S10_SZ_NSC_IJLi3EEEENSC_IJLi4EEEEEEENSM_IJS12_S1O_S1P_NSC_IJLi5ELi6EEEENSC_IJLi7ELi8EEEEEEENSC_IJLi5ELi6ELi7ELi8EEEElEELb1ELNS_25InMemoryDataOperationEnumE1ELNS_10TailNumberE1EEEvPKS5_PKS6_PDF16_PvS24_RKNSJ_7ProblemERKT_RKT0_RKT1_i.b_block_slice_copy_step, 16

	.type	__const._ZN2ck41GridwiseGemm_xdl_cshuffle_v3_b_preshuffleINS_13tensor_layout4gemm8RowMajorENS2_11ColumnMajorES3_NS_9f8_fnuz_tENS_7pk_i4_tEfDF16_DF16_NS_16tensor_operation12element_wise11PassThroughES9_S9_LNS7_6device18GemmSpecializationE0ELi256ELi256ELi256ELi128ELi16ELi32ELi16ELi16ELi8ELi8ENS_8SequenceIJLi8ELi32ELi1EEEENSC_IJLi1ELi0ELi2EEEESE_Li2ELi16ELi16ELb0ELi0ENSC_IJLi4ELi64ELi1EEEESE_SE_Li2ELi32ELi32ELb0ELi0ELi1ELi1ENSC_IJLi1ELi32ELi1ELi8EEEELi4ELNS_26BlockGemmPipelineSchedulerE0ELNS_24BlockGemmPipelineVersionE2ES5_S5_Lb0ELb0ELi0EE8Run_2LdsIKNS_16TensorDescriptorINS_5TupleIJNS_5EmbedINSM_IJiiEEENSM_IJiNS_17integral_constantIiLi1EEEEEELb0EEENS_7UnMergeISO_Lb0EEENS_11PassThroughIiEEEEENSM_IJNSC_IJLi0EEEENSC_IJLi2EEEENSC_IJLi1EEEEEEENSM_IJNSC_IJLi1ELi2EEEENSC_IJLi3ELi4EEEENSC_IJLi5EEEEEEENSC_IJLi3ELi5ELi4EEEElEEKNSL_INSM_IJNSN_INSM_IJiiiiEEENSM_IJiiiSQ_EEELb0EEEEEENSM_IJSY_EEENSM_IJNSC_IJLi1ELi2ELi3ELi4EEEEEEES1E_lEEKNSL_INSM_IJSS_NS_8RightPadIiiLb0EEES1J_NST_INSM_IJiNSP_IiLi256EEEEEELb0EEES1M_EEENSM_IJSY_S10_SZ_NSC_IJLi3EEEENSC_IJLi4EEEEEEENSM_IJS12_S1O_S1P_NSC_IJLi5ELi6EEEENSC_IJLi7ELi8EEEEEEENSC_IJLi5ELi6ELi7ELi8EEEElEELb1ELNS_25InMemoryDataOperationEnumE0ELNS_10TailNumberE0EEEvPKS5_PKS6_PDF16_PvS24_RKNSJ_7ProblemERKT_RKT0_RKT1_i.a_block_slice_copy_step,@object ; @__const._ZN2ck41GridwiseGemm_xdl_cshuffle_v3_b_preshuffleINS_13tensor_layout4gemm8RowMajorENS2_11ColumnMajorES3_NS_9f8_fnuz_tENS_7pk_i4_tEfDF16_DF16_NS_16tensor_operation12element_wise11PassThroughES9_S9_LNS7_6device18GemmSpecializationE0ELi256ELi256ELi256ELi128ELi16ELi32ELi16ELi16ELi8ELi8ENS_8SequenceIJLi8ELi32ELi1EEEENSC_IJLi1ELi0ELi2EEEESE_Li2ELi16ELi16ELb0ELi0ENSC_IJLi4ELi64ELi1EEEESE_SE_Li2ELi32ELi32ELb0ELi0ELi1ELi1ENSC_IJLi1ELi32ELi1ELi8EEEELi4ELNS_26BlockGemmPipelineSchedulerE0ELNS_24BlockGemmPipelineVersionE2ES5_S5_Lb0ELb0ELi0EE8Run_2LdsIKNS_16TensorDescriptorINS_5TupleIJNS_5EmbedINSM_IJiiEEENSM_IJiNS_17integral_constantIiLi1EEEEEELb0EEENS_7UnMergeISO_Lb0EEENS_11PassThroughIiEEEEENSM_IJNSC_IJLi0EEEENSC_IJLi2EEEENSC_IJLi1EEEEEEENSM_IJNSC_IJLi1ELi2EEEENSC_IJLi3ELi4EEEENSC_IJLi5EEEEEEENSC_IJLi3ELi5ELi4EEEElEEKNSL_INSM_IJNSN_INSM_IJiiiiEEENSM_IJiiiSQ_EEELb0EEEEEENSM_IJSY_EEENSM_IJNSC_IJLi1ELi2ELi3ELi4EEEEEEES1E_lEEKNSL_INSM_IJSS_NS_8RightPadIiiLb0EEES1J_NST_INSM_IJiNSP_IiLi256EEEEEELb0EEES1M_EEENSM_IJSY_S10_SZ_NSC_IJLi3EEEENSC_IJLi4EEEEEEENSM_IJS12_S1O_S1P_NSC_IJLi5ELi6EEEENSC_IJLi7ELi8EEEEEEENSC_IJLi5ELi6ELi7ELi8EEEElEELb1ELNS_25InMemoryDataOperationEnumE0ELNS_10TailNumberE0EEEvPKS5_PKS6_PDF16_PvS24_RKNSJ_7ProblemERKT_RKT0_RKT1_i.a_block_slice_copy_step
	.section	.rodata,"a",@progbits
	.p2align	2, 0x0
__const._ZN2ck41GridwiseGemm_xdl_cshuffle_v3_b_preshuffleINS_13tensor_layout4gemm8RowMajorENS2_11ColumnMajorES3_NS_9f8_fnuz_tENS_7pk_i4_tEfDF16_DF16_NS_16tensor_operation12element_wise11PassThroughES9_S9_LNS7_6device18GemmSpecializationE0ELi256ELi256ELi256ELi128ELi16ELi32ELi16ELi16ELi8ELi8ENS_8SequenceIJLi8ELi32ELi1EEEENSC_IJLi1ELi0ELi2EEEESE_Li2ELi16ELi16ELb0ELi0ENSC_IJLi4ELi64ELi1EEEESE_SE_Li2ELi32ELi32ELb0ELi0ELi1ELi1ENSC_IJLi1ELi32ELi1ELi8EEEELi4ELNS_26BlockGemmPipelineSchedulerE0ELNS_24BlockGemmPipelineVersionE2ES5_S5_Lb0ELb0ELi0EE8Run_2LdsIKNS_16TensorDescriptorINS_5TupleIJNS_5EmbedINSM_IJiiEEENSM_IJiNS_17integral_constantIiLi1EEEEEELb0EEENS_7UnMergeISO_Lb0EEENS_11PassThroughIiEEEEENSM_IJNSC_IJLi0EEEENSC_IJLi2EEEENSC_IJLi1EEEEEEENSM_IJNSC_IJLi1ELi2EEEENSC_IJLi3ELi4EEEENSC_IJLi5EEEEEEENSC_IJLi3ELi5ELi4EEEElEEKNSL_INSM_IJNSN_INSM_IJiiiiEEENSM_IJiiiSQ_EEELb0EEEEEENSM_IJSY_EEENSM_IJNSC_IJLi1ELi2ELi3ELi4EEEEEEES1E_lEEKNSL_INSM_IJSS_NS_8RightPadIiiLb0EEES1J_NST_INSM_IJiNSP_IiLi256EEEEEELb0EEES1M_EEENSM_IJSY_S10_SZ_NSC_IJLi3EEEENSC_IJLi4EEEEEEENSM_IJS12_S1O_S1P_NSC_IJLi5ELi6EEEENSC_IJLi7ELi8EEEEEEENSC_IJLi5ELi6ELi7ELi8EEEElEELb1ELNS_25InMemoryDataOperationEnumE0ELNS_10TailNumberE0EEEvPKS5_PKS6_PDF16_PvS24_RKNSJ_7ProblemERKT_RKT0_RKT1_i.a_block_slice_copy_step:
	.long	8                               ; 0x8
	.long	0                               ; 0x0
	;; [unrolled: 1-line block ×3, first 2 shown]
	.size	__const._ZN2ck41GridwiseGemm_xdl_cshuffle_v3_b_preshuffleINS_13tensor_layout4gemm8RowMajorENS2_11ColumnMajorES3_NS_9f8_fnuz_tENS_7pk_i4_tEfDF16_DF16_NS_16tensor_operation12element_wise11PassThroughES9_S9_LNS7_6device18GemmSpecializationE0ELi256ELi256ELi256ELi128ELi16ELi32ELi16ELi16ELi8ELi8ENS_8SequenceIJLi8ELi32ELi1EEEENSC_IJLi1ELi0ELi2EEEESE_Li2ELi16ELi16ELb0ELi0ENSC_IJLi4ELi64ELi1EEEESE_SE_Li2ELi32ELi32ELb0ELi0ELi1ELi1ENSC_IJLi1ELi32ELi1ELi8EEEELi4ELNS_26BlockGemmPipelineSchedulerE0ELNS_24BlockGemmPipelineVersionE2ES5_S5_Lb0ELb0ELi0EE8Run_2LdsIKNS_16TensorDescriptorINS_5TupleIJNS_5EmbedINSM_IJiiEEENSM_IJiNS_17integral_constantIiLi1EEEEEELb0EEENS_7UnMergeISO_Lb0EEENS_11PassThroughIiEEEEENSM_IJNSC_IJLi0EEEENSC_IJLi2EEEENSC_IJLi1EEEEEEENSM_IJNSC_IJLi1ELi2EEEENSC_IJLi3ELi4EEEENSC_IJLi5EEEEEEENSC_IJLi3ELi5ELi4EEEElEEKNSL_INSM_IJNSN_INSM_IJiiiiEEENSM_IJiiiSQ_EEELb0EEEEEENSM_IJSY_EEENSM_IJNSC_IJLi1ELi2ELi3ELi4EEEEEEES1E_lEEKNSL_INSM_IJSS_NS_8RightPadIiiLb0EEES1J_NST_INSM_IJiNSP_IiLi256EEEEEELb0EEES1M_EEENSM_IJSY_S10_SZ_NSC_IJLi3EEEENSC_IJLi4EEEEEEENSM_IJS12_S1O_S1P_NSC_IJLi5ELi6EEEENSC_IJLi7ELi8EEEEEEENSC_IJLi5ELi6ELi7ELi8EEEElEELb1ELNS_25InMemoryDataOperationEnumE0ELNS_10TailNumberE0EEEvPKS5_PKS6_PDF16_PvS24_RKNSJ_7ProblemERKT_RKT0_RKT1_i.a_block_slice_copy_step, 12

	.type	__const._ZN2ck41GridwiseGemm_xdl_cshuffle_v3_b_preshuffleINS_13tensor_layout4gemm8RowMajorENS2_11ColumnMajorES3_NS_9f8_fnuz_tENS_7pk_i4_tEfDF16_DF16_NS_16tensor_operation12element_wise11PassThroughES9_S9_LNS7_6device18GemmSpecializationE0ELi256ELi256ELi256ELi128ELi16ELi32ELi16ELi16ELi8ELi8ENS_8SequenceIJLi8ELi32ELi1EEEENSC_IJLi1ELi0ELi2EEEESE_Li2ELi16ELi16ELb0ELi0ENSC_IJLi4ELi64ELi1EEEESE_SE_Li2ELi32ELi32ELb0ELi0ELi1ELi1ENSC_IJLi1ELi32ELi1ELi8EEEELi4ELNS_26BlockGemmPipelineSchedulerE0ELNS_24BlockGemmPipelineVersionE2ES5_S5_Lb0ELb0ELi0EE8Run_2LdsIKNS_16TensorDescriptorINS_5TupleIJNS_5EmbedINSM_IJiiEEENSM_IJiNS_17integral_constantIiLi1EEEEEELb0EEENS_7UnMergeISO_Lb0EEENS_11PassThroughIiEEEEENSM_IJNSC_IJLi0EEEENSC_IJLi2EEEENSC_IJLi1EEEEEEENSM_IJNSC_IJLi1ELi2EEEENSC_IJLi3ELi4EEEENSC_IJLi5EEEEEEENSC_IJLi3ELi5ELi4EEEElEEKNSL_INSM_IJNSN_INSM_IJiiiiEEENSM_IJiiiSQ_EEELb0EEEEEENSM_IJSY_EEENSM_IJNSC_IJLi1ELi2ELi3ELi4EEEEEEES1E_lEEKNSL_INSM_IJSS_NS_8RightPadIiiLb0EEES1J_NST_INSM_IJiNSP_IiLi256EEEEEELb0EEES1M_EEENSM_IJSY_S10_SZ_NSC_IJLi3EEEENSC_IJLi4EEEEEEENSM_IJS12_S1O_S1P_NSC_IJLi5ELi6EEEENSC_IJLi7ELi8EEEEEEENSC_IJLi5ELi6ELi7ELi8EEEElEELb1ELNS_25InMemoryDataOperationEnumE0ELNS_10TailNumberE0EEEvPKS5_PKS6_PDF16_PvS24_RKNSJ_7ProblemERKT_RKT0_RKT1_i.b_block_slice_copy_step,@object ; @__const._ZN2ck41GridwiseGemm_xdl_cshuffle_v3_b_preshuffleINS_13tensor_layout4gemm8RowMajorENS2_11ColumnMajorES3_NS_9f8_fnuz_tENS_7pk_i4_tEfDF16_DF16_NS_16tensor_operation12element_wise11PassThroughES9_S9_LNS7_6device18GemmSpecializationE0ELi256ELi256ELi256ELi128ELi16ELi32ELi16ELi16ELi8ELi8ENS_8SequenceIJLi8ELi32ELi1EEEENSC_IJLi1ELi0ELi2EEEESE_Li2ELi16ELi16ELb0ELi0ENSC_IJLi4ELi64ELi1EEEESE_SE_Li2ELi32ELi32ELb0ELi0ELi1ELi1ENSC_IJLi1ELi32ELi1ELi8EEEELi4ELNS_26BlockGemmPipelineSchedulerE0ELNS_24BlockGemmPipelineVersionE2ES5_S5_Lb0ELb0ELi0EE8Run_2LdsIKNS_16TensorDescriptorINS_5TupleIJNS_5EmbedINSM_IJiiEEENSM_IJiNS_17integral_constantIiLi1EEEEEELb0EEENS_7UnMergeISO_Lb0EEENS_11PassThroughIiEEEEENSM_IJNSC_IJLi0EEEENSC_IJLi2EEEENSC_IJLi1EEEEEEENSM_IJNSC_IJLi1ELi2EEEENSC_IJLi3ELi4EEEENSC_IJLi5EEEEEEENSC_IJLi3ELi5ELi4EEEElEEKNSL_INSM_IJNSN_INSM_IJiiiiEEENSM_IJiiiSQ_EEELb0EEEEEENSM_IJSY_EEENSM_IJNSC_IJLi1ELi2ELi3ELi4EEEEEEES1E_lEEKNSL_INSM_IJSS_NS_8RightPadIiiLb0EEES1J_NST_INSM_IJiNSP_IiLi256EEEEEELb0EEES1M_EEENSM_IJSY_S10_SZ_NSC_IJLi3EEEENSC_IJLi4EEEEEEENSM_IJS12_S1O_S1P_NSC_IJLi5ELi6EEEENSC_IJLi7ELi8EEEEEEENSC_IJLi5ELi6ELi7ELi8EEEElEELb1ELNS_25InMemoryDataOperationEnumE0ELNS_10TailNumberE0EEEvPKS5_PKS6_PDF16_PvS24_RKNSJ_7ProblemERKT_RKT0_RKT1_i.b_block_slice_copy_step
	.section	.rodata.cst16,"aM",@progbits,16
	.p2align	2, 0x0
__const._ZN2ck41GridwiseGemm_xdl_cshuffle_v3_b_preshuffleINS_13tensor_layout4gemm8RowMajorENS2_11ColumnMajorES3_NS_9f8_fnuz_tENS_7pk_i4_tEfDF16_DF16_NS_16tensor_operation12element_wise11PassThroughES9_S9_LNS7_6device18GemmSpecializationE0ELi256ELi256ELi256ELi128ELi16ELi32ELi16ELi16ELi8ELi8ENS_8SequenceIJLi8ELi32ELi1EEEENSC_IJLi1ELi0ELi2EEEESE_Li2ELi16ELi16ELb0ELi0ENSC_IJLi4ELi64ELi1EEEESE_SE_Li2ELi32ELi32ELb0ELi0ELi1ELi1ENSC_IJLi1ELi32ELi1ELi8EEEELi4ELNS_26BlockGemmPipelineSchedulerE0ELNS_24BlockGemmPipelineVersionE2ES5_S5_Lb0ELb0ELi0EE8Run_2LdsIKNS_16TensorDescriptorINS_5TupleIJNS_5EmbedINSM_IJiiEEENSM_IJiNS_17integral_constantIiLi1EEEEEELb0EEENS_7UnMergeISO_Lb0EEENS_11PassThroughIiEEEEENSM_IJNSC_IJLi0EEEENSC_IJLi2EEEENSC_IJLi1EEEEEEENSM_IJNSC_IJLi1ELi2EEEENSC_IJLi3ELi4EEEENSC_IJLi5EEEEEEENSC_IJLi3ELi5ELi4EEEElEEKNSL_INSM_IJNSN_INSM_IJiiiiEEENSM_IJiiiSQ_EEELb0EEEEEENSM_IJSY_EEENSM_IJNSC_IJLi1ELi2ELi3ELi4EEEEEEES1E_lEEKNSL_INSM_IJSS_NS_8RightPadIiiLb0EEES1J_NST_INSM_IJiNSP_IiLi256EEEEEELb0EEES1M_EEENSM_IJSY_S10_SZ_NSC_IJLi3EEEENSC_IJLi4EEEEEEENSM_IJS12_S1O_S1P_NSC_IJLi5ELi6EEEENSC_IJLi7ELi8EEEEEEENSC_IJLi5ELi6ELi7ELi8EEEElEELb1ELNS_25InMemoryDataOperationEnumE0ELNS_10TailNumberE0EEEvPKS5_PKS6_PDF16_PvS24_RKNSJ_7ProblemERKT_RKT0_RKT1_i.b_block_slice_copy_step:
	.long	0                               ; 0x0
	.long	0                               ; 0x0
	;; [unrolled: 1-line block ×4, first 2 shown]
	.size	__const._ZN2ck41GridwiseGemm_xdl_cshuffle_v3_b_preshuffleINS_13tensor_layout4gemm8RowMajorENS2_11ColumnMajorES3_NS_9f8_fnuz_tENS_7pk_i4_tEfDF16_DF16_NS_16tensor_operation12element_wise11PassThroughES9_S9_LNS7_6device18GemmSpecializationE0ELi256ELi256ELi256ELi128ELi16ELi32ELi16ELi16ELi8ELi8ENS_8SequenceIJLi8ELi32ELi1EEEENSC_IJLi1ELi0ELi2EEEESE_Li2ELi16ELi16ELb0ELi0ENSC_IJLi4ELi64ELi1EEEESE_SE_Li2ELi32ELi32ELb0ELi0ELi1ELi1ENSC_IJLi1ELi32ELi1ELi8EEEELi4ELNS_26BlockGemmPipelineSchedulerE0ELNS_24BlockGemmPipelineVersionE2ES5_S5_Lb0ELb0ELi0EE8Run_2LdsIKNS_16TensorDescriptorINS_5TupleIJNS_5EmbedINSM_IJiiEEENSM_IJiNS_17integral_constantIiLi1EEEEEELb0EEENS_7UnMergeISO_Lb0EEENS_11PassThroughIiEEEEENSM_IJNSC_IJLi0EEEENSC_IJLi2EEEENSC_IJLi1EEEEEEENSM_IJNSC_IJLi1ELi2EEEENSC_IJLi3ELi4EEEENSC_IJLi5EEEEEEENSC_IJLi3ELi5ELi4EEEElEEKNSL_INSM_IJNSN_INSM_IJiiiiEEENSM_IJiiiSQ_EEELb0EEEEEENSM_IJSY_EEENSM_IJNSC_IJLi1ELi2ELi3ELi4EEEEEEES1E_lEEKNSL_INSM_IJSS_NS_8RightPadIiiLb0EEES1J_NST_INSM_IJiNSP_IiLi256EEEEEELb0EEES1M_EEENSM_IJSY_S10_SZ_NSC_IJLi3EEEENSC_IJLi4EEEEEEENSM_IJS12_S1O_S1P_NSC_IJLi5ELi6EEEENSC_IJLi7ELi8EEEEEEENSC_IJLi5ELi6ELi7ELi8EEEElEELb1ELNS_25InMemoryDataOperationEnumE0ELNS_10TailNumberE0EEEvPKS5_PKS6_PDF16_PvS24_RKNSJ_7ProblemERKT_RKT0_RKT1_i.b_block_slice_copy_step, 16

	.type	__const._ZN2ck41GridwiseGemm_xdl_cshuffle_v3_b_preshuffleINS_13tensor_layout4gemm8RowMajorENS2_11ColumnMajorES3_NS_9f8_fnuz_tENS_7pk_i4_tEfDF16_DF16_NS_16tensor_operation12element_wise11PassThroughES9_S9_LNS7_6device18GemmSpecializationE0ELi256ELi256ELi256ELi128ELi16ELi32ELi16ELi16ELi8ELi8ENS_8SequenceIJLi8ELi32ELi1EEEENSC_IJLi1ELi0ELi2EEEESE_Li2ELi16ELi16ELb0ELi0ENSC_IJLi4ELi64ELi1EEEESE_SE_Li2ELi32ELi32ELb0ELi0ELi1ELi1ENSC_IJLi1ELi32ELi1ELi8EEEELi4ELNS_26BlockGemmPipelineSchedulerE0ELNS_24BlockGemmPipelineVersionE2ES5_S5_Lb0ELb0ELi0EE8Run_2LdsIKNS_16TensorDescriptorINS_5TupleIJNS_5EmbedINSM_IJiiEEENSM_IJiNS_17integral_constantIiLi1EEEEEELb0EEENS_7UnMergeISO_Lb0EEENS_11PassThroughIiEEEEENSM_IJNSC_IJLi0EEEENSC_IJLi2EEEENSC_IJLi1EEEEEEENSM_IJNSC_IJLi1ELi2EEEENSC_IJLi3ELi4EEEENSC_IJLi5EEEEEEENSC_IJLi3ELi5ELi4EEEElEEKNSL_INSM_IJNSN_INSM_IJiiiiEEENSM_IJiiiSQ_EEELb0EEEEEENSM_IJSY_EEENSM_IJNSC_IJLi1ELi2ELi3ELi4EEEEEEES1E_lEEKNSL_INSM_IJSS_NS_8RightPadIiiLb0EEES1J_NST_INSM_IJiNSP_IiLi256EEEEEELb0EEES1M_EEENSM_IJSY_S10_SZ_NSC_IJLi3EEEENSC_IJLi4EEEEEEENSM_IJS12_S1O_S1P_NSC_IJLi5ELi6EEEENSC_IJLi7ELi8EEEEEEENSC_IJLi5ELi6ELi7ELi8EEEElEELb1ELNS_25InMemoryDataOperationEnumE0ELNS_10TailNumberE1EEEvPKS5_PKS6_PDF16_PvS24_RKNSJ_7ProblemERKT_RKT0_RKT1_i.a_block_slice_copy_step,@object ; @__const._ZN2ck41GridwiseGemm_xdl_cshuffle_v3_b_preshuffleINS_13tensor_layout4gemm8RowMajorENS2_11ColumnMajorES3_NS_9f8_fnuz_tENS_7pk_i4_tEfDF16_DF16_NS_16tensor_operation12element_wise11PassThroughES9_S9_LNS7_6device18GemmSpecializationE0ELi256ELi256ELi256ELi128ELi16ELi32ELi16ELi16ELi8ELi8ENS_8SequenceIJLi8ELi32ELi1EEEENSC_IJLi1ELi0ELi2EEEESE_Li2ELi16ELi16ELb0ELi0ENSC_IJLi4ELi64ELi1EEEESE_SE_Li2ELi32ELi32ELb0ELi0ELi1ELi1ENSC_IJLi1ELi32ELi1ELi8EEEELi4ELNS_26BlockGemmPipelineSchedulerE0ELNS_24BlockGemmPipelineVersionE2ES5_S5_Lb0ELb0ELi0EE8Run_2LdsIKNS_16TensorDescriptorINS_5TupleIJNS_5EmbedINSM_IJiiEEENSM_IJiNS_17integral_constantIiLi1EEEEEELb0EEENS_7UnMergeISO_Lb0EEENS_11PassThroughIiEEEEENSM_IJNSC_IJLi0EEEENSC_IJLi2EEEENSC_IJLi1EEEEEEENSM_IJNSC_IJLi1ELi2EEEENSC_IJLi3ELi4EEEENSC_IJLi5EEEEEEENSC_IJLi3ELi5ELi4EEEElEEKNSL_INSM_IJNSN_INSM_IJiiiiEEENSM_IJiiiSQ_EEELb0EEEEEENSM_IJSY_EEENSM_IJNSC_IJLi1ELi2ELi3ELi4EEEEEEES1E_lEEKNSL_INSM_IJSS_NS_8RightPadIiiLb0EEES1J_NST_INSM_IJiNSP_IiLi256EEEEEELb0EEES1M_EEENSM_IJSY_S10_SZ_NSC_IJLi3EEEENSC_IJLi4EEEEEEENSM_IJS12_S1O_S1P_NSC_IJLi5ELi6EEEENSC_IJLi7ELi8EEEEEEENSC_IJLi5ELi6ELi7ELi8EEEElEELb1ELNS_25InMemoryDataOperationEnumE0ELNS_10TailNumberE1EEEvPKS5_PKS6_PDF16_PvS24_RKNSJ_7ProblemERKT_RKT0_RKT1_i.a_block_slice_copy_step
	.section	.rodata,"a",@progbits
	.p2align	2, 0x0
__const._ZN2ck41GridwiseGemm_xdl_cshuffle_v3_b_preshuffleINS_13tensor_layout4gemm8RowMajorENS2_11ColumnMajorES3_NS_9f8_fnuz_tENS_7pk_i4_tEfDF16_DF16_NS_16tensor_operation12element_wise11PassThroughES9_S9_LNS7_6device18GemmSpecializationE0ELi256ELi256ELi256ELi128ELi16ELi32ELi16ELi16ELi8ELi8ENS_8SequenceIJLi8ELi32ELi1EEEENSC_IJLi1ELi0ELi2EEEESE_Li2ELi16ELi16ELb0ELi0ENSC_IJLi4ELi64ELi1EEEESE_SE_Li2ELi32ELi32ELb0ELi0ELi1ELi1ENSC_IJLi1ELi32ELi1ELi8EEEELi4ELNS_26BlockGemmPipelineSchedulerE0ELNS_24BlockGemmPipelineVersionE2ES5_S5_Lb0ELb0ELi0EE8Run_2LdsIKNS_16TensorDescriptorINS_5TupleIJNS_5EmbedINSM_IJiiEEENSM_IJiNS_17integral_constantIiLi1EEEEEELb0EEENS_7UnMergeISO_Lb0EEENS_11PassThroughIiEEEEENSM_IJNSC_IJLi0EEEENSC_IJLi2EEEENSC_IJLi1EEEEEEENSM_IJNSC_IJLi1ELi2EEEENSC_IJLi3ELi4EEEENSC_IJLi5EEEEEEENSC_IJLi3ELi5ELi4EEEElEEKNSL_INSM_IJNSN_INSM_IJiiiiEEENSM_IJiiiSQ_EEELb0EEEEEENSM_IJSY_EEENSM_IJNSC_IJLi1ELi2ELi3ELi4EEEEEEES1E_lEEKNSL_INSM_IJSS_NS_8RightPadIiiLb0EEES1J_NST_INSM_IJiNSP_IiLi256EEEEEELb0EEES1M_EEENSM_IJSY_S10_SZ_NSC_IJLi3EEEENSC_IJLi4EEEEEEENSM_IJS12_S1O_S1P_NSC_IJLi5ELi6EEEENSC_IJLi7ELi8EEEEEEENSC_IJLi5ELi6ELi7ELi8EEEElEELb1ELNS_25InMemoryDataOperationEnumE0ELNS_10TailNumberE1EEEvPKS5_PKS6_PDF16_PvS24_RKNSJ_7ProblemERKT_RKT0_RKT1_i.a_block_slice_copy_step:
	.long	8                               ; 0x8
	.long	0                               ; 0x0
	;; [unrolled: 1-line block ×3, first 2 shown]
	.size	__const._ZN2ck41GridwiseGemm_xdl_cshuffle_v3_b_preshuffleINS_13tensor_layout4gemm8RowMajorENS2_11ColumnMajorES3_NS_9f8_fnuz_tENS_7pk_i4_tEfDF16_DF16_NS_16tensor_operation12element_wise11PassThroughES9_S9_LNS7_6device18GemmSpecializationE0ELi256ELi256ELi256ELi128ELi16ELi32ELi16ELi16ELi8ELi8ENS_8SequenceIJLi8ELi32ELi1EEEENSC_IJLi1ELi0ELi2EEEESE_Li2ELi16ELi16ELb0ELi0ENSC_IJLi4ELi64ELi1EEEESE_SE_Li2ELi32ELi32ELb0ELi0ELi1ELi1ENSC_IJLi1ELi32ELi1ELi8EEEELi4ELNS_26BlockGemmPipelineSchedulerE0ELNS_24BlockGemmPipelineVersionE2ES5_S5_Lb0ELb0ELi0EE8Run_2LdsIKNS_16TensorDescriptorINS_5TupleIJNS_5EmbedINSM_IJiiEEENSM_IJiNS_17integral_constantIiLi1EEEEEELb0EEENS_7UnMergeISO_Lb0EEENS_11PassThroughIiEEEEENSM_IJNSC_IJLi0EEEENSC_IJLi2EEEENSC_IJLi1EEEEEEENSM_IJNSC_IJLi1ELi2EEEENSC_IJLi3ELi4EEEENSC_IJLi5EEEEEEENSC_IJLi3ELi5ELi4EEEElEEKNSL_INSM_IJNSN_INSM_IJiiiiEEENSM_IJiiiSQ_EEELb0EEEEEENSM_IJSY_EEENSM_IJNSC_IJLi1ELi2ELi3ELi4EEEEEEES1E_lEEKNSL_INSM_IJSS_NS_8RightPadIiiLb0EEES1J_NST_INSM_IJiNSP_IiLi256EEEEEELb0EEES1M_EEENSM_IJSY_S10_SZ_NSC_IJLi3EEEENSC_IJLi4EEEEEEENSM_IJS12_S1O_S1P_NSC_IJLi5ELi6EEEENSC_IJLi7ELi8EEEEEEENSC_IJLi5ELi6ELi7ELi8EEEElEELb1ELNS_25InMemoryDataOperationEnumE0ELNS_10TailNumberE1EEEvPKS5_PKS6_PDF16_PvS24_RKNSJ_7ProblemERKT_RKT0_RKT1_i.a_block_slice_copy_step, 12

	.type	__const._ZN2ck41GridwiseGemm_xdl_cshuffle_v3_b_preshuffleINS_13tensor_layout4gemm8RowMajorENS2_11ColumnMajorES3_NS_9f8_fnuz_tENS_7pk_i4_tEfDF16_DF16_NS_16tensor_operation12element_wise11PassThroughES9_S9_LNS7_6device18GemmSpecializationE0ELi256ELi256ELi256ELi128ELi16ELi32ELi16ELi16ELi8ELi8ENS_8SequenceIJLi8ELi32ELi1EEEENSC_IJLi1ELi0ELi2EEEESE_Li2ELi16ELi16ELb0ELi0ENSC_IJLi4ELi64ELi1EEEESE_SE_Li2ELi32ELi32ELb0ELi0ELi1ELi1ENSC_IJLi1ELi32ELi1ELi8EEEELi4ELNS_26BlockGemmPipelineSchedulerE0ELNS_24BlockGemmPipelineVersionE2ES5_S5_Lb0ELb0ELi0EE8Run_2LdsIKNS_16TensorDescriptorINS_5TupleIJNS_5EmbedINSM_IJiiEEENSM_IJiNS_17integral_constantIiLi1EEEEEELb0EEENS_7UnMergeISO_Lb0EEENS_11PassThroughIiEEEEENSM_IJNSC_IJLi0EEEENSC_IJLi2EEEENSC_IJLi1EEEEEEENSM_IJNSC_IJLi1ELi2EEEENSC_IJLi3ELi4EEEENSC_IJLi5EEEEEEENSC_IJLi3ELi5ELi4EEEElEEKNSL_INSM_IJNSN_INSM_IJiiiiEEENSM_IJiiiSQ_EEELb0EEEEEENSM_IJSY_EEENSM_IJNSC_IJLi1ELi2ELi3ELi4EEEEEEES1E_lEEKNSL_INSM_IJSS_NS_8RightPadIiiLb0EEES1J_NST_INSM_IJiNSP_IiLi256EEEEEELb0EEES1M_EEENSM_IJSY_S10_SZ_NSC_IJLi3EEEENSC_IJLi4EEEEEEENSM_IJS12_S1O_S1P_NSC_IJLi5ELi6EEEENSC_IJLi7ELi8EEEEEEENSC_IJLi5ELi6ELi7ELi8EEEElEELb1ELNS_25InMemoryDataOperationEnumE0ELNS_10TailNumberE1EEEvPKS5_PKS6_PDF16_PvS24_RKNSJ_7ProblemERKT_RKT0_RKT1_i.b_block_slice_copy_step,@object ; @__const._ZN2ck41GridwiseGemm_xdl_cshuffle_v3_b_preshuffleINS_13tensor_layout4gemm8RowMajorENS2_11ColumnMajorES3_NS_9f8_fnuz_tENS_7pk_i4_tEfDF16_DF16_NS_16tensor_operation12element_wise11PassThroughES9_S9_LNS7_6device18GemmSpecializationE0ELi256ELi256ELi256ELi128ELi16ELi32ELi16ELi16ELi8ELi8ENS_8SequenceIJLi8ELi32ELi1EEEENSC_IJLi1ELi0ELi2EEEESE_Li2ELi16ELi16ELb0ELi0ENSC_IJLi4ELi64ELi1EEEESE_SE_Li2ELi32ELi32ELb0ELi0ELi1ELi1ENSC_IJLi1ELi32ELi1ELi8EEEELi4ELNS_26BlockGemmPipelineSchedulerE0ELNS_24BlockGemmPipelineVersionE2ES5_S5_Lb0ELb0ELi0EE8Run_2LdsIKNS_16TensorDescriptorINS_5TupleIJNS_5EmbedINSM_IJiiEEENSM_IJiNS_17integral_constantIiLi1EEEEEELb0EEENS_7UnMergeISO_Lb0EEENS_11PassThroughIiEEEEENSM_IJNSC_IJLi0EEEENSC_IJLi2EEEENSC_IJLi1EEEEEEENSM_IJNSC_IJLi1ELi2EEEENSC_IJLi3ELi4EEEENSC_IJLi5EEEEEEENSC_IJLi3ELi5ELi4EEEElEEKNSL_INSM_IJNSN_INSM_IJiiiiEEENSM_IJiiiSQ_EEELb0EEEEEENSM_IJSY_EEENSM_IJNSC_IJLi1ELi2ELi3ELi4EEEEEEES1E_lEEKNSL_INSM_IJSS_NS_8RightPadIiiLb0EEES1J_NST_INSM_IJiNSP_IiLi256EEEEEELb0EEES1M_EEENSM_IJSY_S10_SZ_NSC_IJLi3EEEENSC_IJLi4EEEEEEENSM_IJS12_S1O_S1P_NSC_IJLi5ELi6EEEENSC_IJLi7ELi8EEEEEEENSC_IJLi5ELi6ELi7ELi8EEEElEELb1ELNS_25InMemoryDataOperationEnumE0ELNS_10TailNumberE1EEEvPKS5_PKS6_PDF16_PvS24_RKNSJ_7ProblemERKT_RKT0_RKT1_i.b_block_slice_copy_step
	.section	.rodata.cst16,"aM",@progbits,16
	.p2align	2, 0x0
__const._ZN2ck41GridwiseGemm_xdl_cshuffle_v3_b_preshuffleINS_13tensor_layout4gemm8RowMajorENS2_11ColumnMajorES3_NS_9f8_fnuz_tENS_7pk_i4_tEfDF16_DF16_NS_16tensor_operation12element_wise11PassThroughES9_S9_LNS7_6device18GemmSpecializationE0ELi256ELi256ELi256ELi128ELi16ELi32ELi16ELi16ELi8ELi8ENS_8SequenceIJLi8ELi32ELi1EEEENSC_IJLi1ELi0ELi2EEEESE_Li2ELi16ELi16ELb0ELi0ENSC_IJLi4ELi64ELi1EEEESE_SE_Li2ELi32ELi32ELb0ELi0ELi1ELi1ENSC_IJLi1ELi32ELi1ELi8EEEELi4ELNS_26BlockGemmPipelineSchedulerE0ELNS_24BlockGemmPipelineVersionE2ES5_S5_Lb0ELb0ELi0EE8Run_2LdsIKNS_16TensorDescriptorINS_5TupleIJNS_5EmbedINSM_IJiiEEENSM_IJiNS_17integral_constantIiLi1EEEEEELb0EEENS_7UnMergeISO_Lb0EEENS_11PassThroughIiEEEEENSM_IJNSC_IJLi0EEEENSC_IJLi2EEEENSC_IJLi1EEEEEEENSM_IJNSC_IJLi1ELi2EEEENSC_IJLi3ELi4EEEENSC_IJLi5EEEEEEENSC_IJLi3ELi5ELi4EEEElEEKNSL_INSM_IJNSN_INSM_IJiiiiEEENSM_IJiiiSQ_EEELb0EEEEEENSM_IJSY_EEENSM_IJNSC_IJLi1ELi2ELi3ELi4EEEEEEES1E_lEEKNSL_INSM_IJSS_NS_8RightPadIiiLb0EEES1J_NST_INSM_IJiNSP_IiLi256EEEEEELb0EEES1M_EEENSM_IJSY_S10_SZ_NSC_IJLi3EEEENSC_IJLi4EEEEEEENSM_IJS12_S1O_S1P_NSC_IJLi5ELi6EEEENSC_IJLi7ELi8EEEEEEENSC_IJLi5ELi6ELi7ELi8EEEElEELb1ELNS_25InMemoryDataOperationEnumE0ELNS_10TailNumberE1EEEvPKS5_PKS6_PDF16_PvS24_RKNSJ_7ProblemERKT_RKT0_RKT1_i.b_block_slice_copy_step:
	.long	0                               ; 0x0
	.long	0                               ; 0x0
	;; [unrolled: 1-line block ×4, first 2 shown]
	.size	__const._ZN2ck41GridwiseGemm_xdl_cshuffle_v3_b_preshuffleINS_13tensor_layout4gemm8RowMajorENS2_11ColumnMajorES3_NS_9f8_fnuz_tENS_7pk_i4_tEfDF16_DF16_NS_16tensor_operation12element_wise11PassThroughES9_S9_LNS7_6device18GemmSpecializationE0ELi256ELi256ELi256ELi128ELi16ELi32ELi16ELi16ELi8ELi8ENS_8SequenceIJLi8ELi32ELi1EEEENSC_IJLi1ELi0ELi2EEEESE_Li2ELi16ELi16ELb0ELi0ENSC_IJLi4ELi64ELi1EEEESE_SE_Li2ELi32ELi32ELb0ELi0ELi1ELi1ENSC_IJLi1ELi32ELi1ELi8EEEELi4ELNS_26BlockGemmPipelineSchedulerE0ELNS_24BlockGemmPipelineVersionE2ES5_S5_Lb0ELb0ELi0EE8Run_2LdsIKNS_16TensorDescriptorINS_5TupleIJNS_5EmbedINSM_IJiiEEENSM_IJiNS_17integral_constantIiLi1EEEEEELb0EEENS_7UnMergeISO_Lb0EEENS_11PassThroughIiEEEEENSM_IJNSC_IJLi0EEEENSC_IJLi2EEEENSC_IJLi1EEEEEEENSM_IJNSC_IJLi1ELi2EEEENSC_IJLi3ELi4EEEENSC_IJLi5EEEEEEENSC_IJLi3ELi5ELi4EEEElEEKNSL_INSM_IJNSN_INSM_IJiiiiEEENSM_IJiiiSQ_EEELb0EEEEEENSM_IJSY_EEENSM_IJNSC_IJLi1ELi2ELi3ELi4EEEEEEES1E_lEEKNSL_INSM_IJSS_NS_8RightPadIiiLb0EEES1J_NST_INSM_IJiNSP_IiLi256EEEEEELb0EEES1M_EEENSM_IJSY_S10_SZ_NSC_IJLi3EEEENSC_IJLi4EEEEEEENSM_IJS12_S1O_S1P_NSC_IJLi5ELi6EEEENSC_IJLi7ELi8EEEEEEENSC_IJLi5ELi6ELi7ELi8EEEElEELb1ELNS_25InMemoryDataOperationEnumE0ELNS_10TailNumberE1EEEvPKS5_PKS6_PDF16_PvS24_RKNSJ_7ProblemERKT_RKT0_RKT1_i.b_block_slice_copy_step, 16

	.type	__hip_cuid_529ef33e42f4b6ff,@object ; @__hip_cuid_529ef33e42f4b6ff
	.section	.bss,"aw",@nobits
	.globl	__hip_cuid_529ef33e42f4b6ff
__hip_cuid_529ef33e42f4b6ff:
	.byte	0                               ; 0x0
	.size	__hip_cuid_529ef33e42f4b6ff, 1

	.ident	"AMD clang version 19.0.0git (https://github.com/RadeonOpenCompute/llvm-project roc-6.4.0 25133 c7fe45cf4b819c5991fe208aaa96edf142730f1d)"
	.section	".note.GNU-stack","",@progbits
	.addrsig
	.addrsig_sym __hip_cuid_529ef33e42f4b6ff
	.amdgpu_metadata
---
amdhsa.kernels:
  - .agpr_count:     0
    .args:           []
    .group_segment_fixed_size: 0
    .kernarg_segment_align: 4
    .kernarg_segment_size: 0
    .language:       OpenCL C
    .language_version:
      - 2
      - 0
    .max_flat_workgroup_size: 1024
    .name:           _ZN2ckL12flush_icacheEv
    .private_segment_fixed_size: 0
    .sgpr_count:     4
    .sgpr_spill_count: 0
    .symbol:         _ZN2ckL12flush_icacheEv.kd
    .uniform_work_group_size: 1
    .uses_dynamic_stack: false
    .vgpr_count:     0
    .vgpr_spill_count: 0
    .wavefront_size: 64
  - .agpr_count:     4
    .args:
      - .offset:         0
        .size:           112
        .value_kind:     by_value
    .group_segment_fixed_size: 65536
    .kernarg_segment_align: 8
    .kernarg_segment_size: 112
    .language:       OpenCL C
    .language_version:
      - 2
      - 0
    .max_flat_workgroup_size: 256
    .name:           _ZN2ck45kernel_gemm_xdl_cshuffle_v3_b_preshuffle_2ldsINS_41GridwiseGemm_xdl_cshuffle_v3_b_preshuffleINS_13tensor_layout4gemm8RowMajorENS3_11ColumnMajorES4_NS_9f8_fnuz_tENS_7pk_i4_tEfDF16_DF16_NS_16tensor_operation12element_wise11PassThroughESA_SA_LNS8_6device18GemmSpecializationE0ELi256ELi256ELi256ELi128ELi16ELi32ELi16ELi16ELi8ELi8ENS_8SequenceIJLi8ELi32ELi1EEEENSD_IJLi1ELi0ELi2EEEESF_Li2ELi16ELi16ELb0ELi0ENSD_IJLi4ELi64ELi1EEEESF_SF_Li2ELi32ELi32ELb0ELi0ELi1ELi1ENSD_IJLi1ELi32ELi1ELi8EEEELi4ELNS_26BlockGemmPipelineSchedulerE0ELNS_24BlockGemmPipelineVersionE2ES6_S6_Lb0ELb0ELi0EEELb1ELNS_25InMemoryDataOperationEnumE1ELi1ELNS_10TailNumberE0EEEvNT_8ArgumentE
    .private_segment_fixed_size: 4464
    .sgpr_count:     64
    .sgpr_spill_count: 0
    .symbol:         _ZN2ck45kernel_gemm_xdl_cshuffle_v3_b_preshuffle_2ldsINS_41GridwiseGemm_xdl_cshuffle_v3_b_preshuffleINS_13tensor_layout4gemm8RowMajorENS3_11ColumnMajorES4_NS_9f8_fnuz_tENS_7pk_i4_tEfDF16_DF16_NS_16tensor_operation12element_wise11PassThroughESA_SA_LNS8_6device18GemmSpecializationE0ELi256ELi256ELi256ELi128ELi16ELi32ELi16ELi16ELi8ELi8ENS_8SequenceIJLi8ELi32ELi1EEEENSD_IJLi1ELi0ELi2EEEESF_Li2ELi16ELi16ELb0ELi0ENSD_IJLi4ELi64ELi1EEEESF_SF_Li2ELi32ELi32ELb0ELi0ELi1ELi1ENSD_IJLi1ELi32ELi1ELi8EEEELi4ELNS_26BlockGemmPipelineSchedulerE0ELNS_24BlockGemmPipelineVersionE2ES6_S6_Lb0ELb0ELi0EEELb1ELNS_25InMemoryDataOperationEnumE1ELi1ELNS_10TailNumberE0EEEvNT_8ArgumentE.kd
    .uniform_work_group_size: 1
    .uses_dynamic_stack: false
    .vgpr_count:     92
    .vgpr_spill_count: 0
    .wavefront_size: 64
  - .agpr_count:     4
    .args:
      - .offset:         0
        .size:           112
        .value_kind:     by_value
    .group_segment_fixed_size: 65536
    .kernarg_segment_align: 8
    .kernarg_segment_size: 112
    .language:       OpenCL C
    .language_version:
      - 2
      - 0
    .max_flat_workgroup_size: 256
    .name:           _ZN2ck45kernel_gemm_xdl_cshuffle_v3_b_preshuffle_2ldsINS_41GridwiseGemm_xdl_cshuffle_v3_b_preshuffleINS_13tensor_layout4gemm8RowMajorENS3_11ColumnMajorES4_NS_9f8_fnuz_tENS_7pk_i4_tEfDF16_DF16_NS_16tensor_operation12element_wise11PassThroughESA_SA_LNS8_6device18GemmSpecializationE0ELi256ELi256ELi256ELi128ELi16ELi32ELi16ELi16ELi8ELi8ENS_8SequenceIJLi8ELi32ELi1EEEENSD_IJLi1ELi0ELi2EEEESF_Li2ELi16ELi16ELb0ELi0ENSD_IJLi4ELi64ELi1EEEESF_SF_Li2ELi32ELi32ELb0ELi0ELi1ELi1ENSD_IJLi1ELi32ELi1ELi8EEEELi4ELNS_26BlockGemmPipelineSchedulerE0ELNS_24BlockGemmPipelineVersionE2ES6_S6_Lb0ELb0ELi0EEELb1ELNS_25InMemoryDataOperationEnumE1ELi1ELNS_10TailNumberE1EEEvNT_8ArgumentE
    .private_segment_fixed_size: 4464
    .sgpr_count:     64
    .sgpr_spill_count: 0
    .symbol:         _ZN2ck45kernel_gemm_xdl_cshuffle_v3_b_preshuffle_2ldsINS_41GridwiseGemm_xdl_cshuffle_v3_b_preshuffleINS_13tensor_layout4gemm8RowMajorENS3_11ColumnMajorES4_NS_9f8_fnuz_tENS_7pk_i4_tEfDF16_DF16_NS_16tensor_operation12element_wise11PassThroughESA_SA_LNS8_6device18GemmSpecializationE0ELi256ELi256ELi256ELi128ELi16ELi32ELi16ELi16ELi8ELi8ENS_8SequenceIJLi8ELi32ELi1EEEENSD_IJLi1ELi0ELi2EEEESF_Li2ELi16ELi16ELb0ELi0ENSD_IJLi4ELi64ELi1EEEESF_SF_Li2ELi32ELi32ELb0ELi0ELi1ELi1ENSD_IJLi1ELi32ELi1ELi8EEEELi4ELNS_26BlockGemmPipelineSchedulerE0ELNS_24BlockGemmPipelineVersionE2ES6_S6_Lb0ELb0ELi0EEELb1ELNS_25InMemoryDataOperationEnumE1ELi1ELNS_10TailNumberE1EEEvNT_8ArgumentE.kd
    .uniform_work_group_size: 1
    .uses_dynamic_stack: false
    .vgpr_count:     92
    .vgpr_spill_count: 0
    .wavefront_size: 64
  - .agpr_count:     4
    .args:
      - .offset:         0
        .size:           112
        .value_kind:     by_value
    .group_segment_fixed_size: 65536
    .kernarg_segment_align: 8
    .kernarg_segment_size: 112
    .language:       OpenCL C
    .language_version:
      - 2
      - 0
    .max_flat_workgroup_size: 256
    .name:           _ZN2ck45kernel_gemm_xdl_cshuffle_v3_b_preshuffle_2ldsINS_41GridwiseGemm_xdl_cshuffle_v3_b_preshuffleINS_13tensor_layout4gemm8RowMajorENS3_11ColumnMajorES4_NS_9f8_fnuz_tENS_7pk_i4_tEfDF16_DF16_NS_16tensor_operation12element_wise11PassThroughESA_SA_LNS8_6device18GemmSpecializationE0ELi256ELi256ELi256ELi128ELi16ELi32ELi16ELi16ELi8ELi8ENS_8SequenceIJLi8ELi32ELi1EEEENSD_IJLi1ELi0ELi2EEEESF_Li2ELi16ELi16ELb0ELi0ENSD_IJLi4ELi64ELi1EEEESF_SF_Li2ELi32ELi32ELb0ELi0ELi1ELi1ENSD_IJLi1ELi32ELi1ELi8EEEELi4ELNS_26BlockGemmPipelineSchedulerE0ELNS_24BlockGemmPipelineVersionE2ES6_S6_Lb0ELb0ELi0EEELb1ELNS_25InMemoryDataOperationEnumE0ELi1ELNS_10TailNumberE0EEEvNT_8ArgumentE
    .private_segment_fixed_size: 4464
    .sgpr_count:     64
    .sgpr_spill_count: 0
    .symbol:         _ZN2ck45kernel_gemm_xdl_cshuffle_v3_b_preshuffle_2ldsINS_41GridwiseGemm_xdl_cshuffle_v3_b_preshuffleINS_13tensor_layout4gemm8RowMajorENS3_11ColumnMajorES4_NS_9f8_fnuz_tENS_7pk_i4_tEfDF16_DF16_NS_16tensor_operation12element_wise11PassThroughESA_SA_LNS8_6device18GemmSpecializationE0ELi256ELi256ELi256ELi128ELi16ELi32ELi16ELi16ELi8ELi8ENS_8SequenceIJLi8ELi32ELi1EEEENSD_IJLi1ELi0ELi2EEEESF_Li2ELi16ELi16ELb0ELi0ENSD_IJLi4ELi64ELi1EEEESF_SF_Li2ELi32ELi32ELb0ELi0ELi1ELi1ENSD_IJLi1ELi32ELi1ELi8EEEELi4ELNS_26BlockGemmPipelineSchedulerE0ELNS_24BlockGemmPipelineVersionE2ES6_S6_Lb0ELb0ELi0EEELb1ELNS_25InMemoryDataOperationEnumE0ELi1ELNS_10TailNumberE0EEEvNT_8ArgumentE.kd
    .uniform_work_group_size: 1
    .uses_dynamic_stack: false
    .vgpr_count:     92
    .vgpr_spill_count: 0
    .wavefront_size: 64
  - .agpr_count:     4
    .args:
      - .offset:         0
        .size:           112
        .value_kind:     by_value
    .group_segment_fixed_size: 65536
    .kernarg_segment_align: 8
    .kernarg_segment_size: 112
    .language:       OpenCL C
    .language_version:
      - 2
      - 0
    .max_flat_workgroup_size: 256
    .name:           _ZN2ck45kernel_gemm_xdl_cshuffle_v3_b_preshuffle_2ldsINS_41GridwiseGemm_xdl_cshuffle_v3_b_preshuffleINS_13tensor_layout4gemm8RowMajorENS3_11ColumnMajorES4_NS_9f8_fnuz_tENS_7pk_i4_tEfDF16_DF16_NS_16tensor_operation12element_wise11PassThroughESA_SA_LNS8_6device18GemmSpecializationE0ELi256ELi256ELi256ELi128ELi16ELi32ELi16ELi16ELi8ELi8ENS_8SequenceIJLi8ELi32ELi1EEEENSD_IJLi1ELi0ELi2EEEESF_Li2ELi16ELi16ELb0ELi0ENSD_IJLi4ELi64ELi1EEEESF_SF_Li2ELi32ELi32ELb0ELi0ELi1ELi1ENSD_IJLi1ELi32ELi1ELi8EEEELi4ELNS_26BlockGemmPipelineSchedulerE0ELNS_24BlockGemmPipelineVersionE2ES6_S6_Lb0ELb0ELi0EEELb1ELNS_25InMemoryDataOperationEnumE0ELi1ELNS_10TailNumberE1EEEvNT_8ArgumentE
    .private_segment_fixed_size: 4464
    .sgpr_count:     64
    .sgpr_spill_count: 0
    .symbol:         _ZN2ck45kernel_gemm_xdl_cshuffle_v3_b_preshuffle_2ldsINS_41GridwiseGemm_xdl_cshuffle_v3_b_preshuffleINS_13tensor_layout4gemm8RowMajorENS3_11ColumnMajorES4_NS_9f8_fnuz_tENS_7pk_i4_tEfDF16_DF16_NS_16tensor_operation12element_wise11PassThroughESA_SA_LNS8_6device18GemmSpecializationE0ELi256ELi256ELi256ELi128ELi16ELi32ELi16ELi16ELi8ELi8ENS_8SequenceIJLi8ELi32ELi1EEEENSD_IJLi1ELi0ELi2EEEESF_Li2ELi16ELi16ELb0ELi0ENSD_IJLi4ELi64ELi1EEEESF_SF_Li2ELi32ELi32ELb0ELi0ELi1ELi1ENSD_IJLi1ELi32ELi1ELi8EEEELi4ELNS_26BlockGemmPipelineSchedulerE0ELNS_24BlockGemmPipelineVersionE2ES6_S6_Lb0ELb0ELi0EEELb1ELNS_25InMemoryDataOperationEnumE0ELi1ELNS_10TailNumberE1EEEvNT_8ArgumentE.kd
    .uniform_work_group_size: 1
    .uses_dynamic_stack: false
    .vgpr_count:     92
    .vgpr_spill_count: 0
    .wavefront_size: 64
  - .agpr_count:     0
    .args:
      - .offset:         0
        .size:           112
        .value_kind:     by_value
    .group_segment_fixed_size: 0
    .kernarg_segment_align: 8
    .kernarg_segment_size: 112
    .language:       OpenCL C
    .language_version:
      - 2
      - 0
    .max_flat_workgroup_size: 256
    .name:           _ZN2ck45kernel_gemm_xdl_cshuffle_v3_b_preshuffle_2ldsINS_41GridwiseGemm_xdl_cshuffle_v3_b_preshuffleINS_13tensor_layout4gemm8RowMajorENS3_11ColumnMajorES4_NS_9f8_fnuz_tENS_7pk_i4_tEfDF16_DF16_NS_16tensor_operation12element_wise11PassThroughESA_SA_LNS8_6device18GemmSpecializationE0ELi256ELi256ELi256ELi128ELi16ELi32ELi16ELi16ELi8ELi4ENS_8SequenceIJLi8ELi32ELi1EEEENSD_IJLi1ELi0ELi2EEEESF_Li2ELi16ELi16ELb0ELi0ENSD_IJLi4ELi64ELi1EEEESF_SF_Li2ELi32ELi32ELb0ELi0ELi1ELi1ENSD_IJLi1ELi32ELi1ELi8EEEELi4ELNS_26BlockGemmPipelineSchedulerE0ELNS_24BlockGemmPipelineVersionE2ES6_S6_Lb0ELb0ELi0EEELb1ELNS_25InMemoryDataOperationEnumE1ELi1ELNS_10TailNumberE0EEEvNT_8ArgumentE
    .private_segment_fixed_size: 0
    .sgpr_count:     4
    .sgpr_spill_count: 0
    .symbol:         _ZN2ck45kernel_gemm_xdl_cshuffle_v3_b_preshuffle_2ldsINS_41GridwiseGemm_xdl_cshuffle_v3_b_preshuffleINS_13tensor_layout4gemm8RowMajorENS3_11ColumnMajorES4_NS_9f8_fnuz_tENS_7pk_i4_tEfDF16_DF16_NS_16tensor_operation12element_wise11PassThroughESA_SA_LNS8_6device18GemmSpecializationE0ELi256ELi256ELi256ELi128ELi16ELi32ELi16ELi16ELi8ELi4ENS_8SequenceIJLi8ELi32ELi1EEEENSD_IJLi1ELi0ELi2EEEESF_Li2ELi16ELi16ELb0ELi0ENSD_IJLi4ELi64ELi1EEEESF_SF_Li2ELi32ELi32ELb0ELi0ELi1ELi1ENSD_IJLi1ELi32ELi1ELi8EEEELi4ELNS_26BlockGemmPipelineSchedulerE0ELNS_24BlockGemmPipelineVersionE2ES6_S6_Lb0ELb0ELi0EEELb1ELNS_25InMemoryDataOperationEnumE1ELi1ELNS_10TailNumberE0EEEvNT_8ArgumentE.kd
    .uniform_work_group_size: 1
    .uses_dynamic_stack: false
    .vgpr_count:     0
    .vgpr_spill_count: 0
    .wavefront_size: 64
  - .agpr_count:     0
    .args:
      - .offset:         0
        .size:           112
        .value_kind:     by_value
    .group_segment_fixed_size: 0
    .kernarg_segment_align: 8
    .kernarg_segment_size: 112
    .language:       OpenCL C
    .language_version:
      - 2
      - 0
    .max_flat_workgroup_size: 256
    .name:           _ZN2ck45kernel_gemm_xdl_cshuffle_v3_b_preshuffle_2ldsINS_41GridwiseGemm_xdl_cshuffle_v3_b_preshuffleINS_13tensor_layout4gemm8RowMajorENS3_11ColumnMajorES4_NS_9f8_fnuz_tENS_7pk_i4_tEfDF16_DF16_NS_16tensor_operation12element_wise11PassThroughESA_SA_LNS8_6device18GemmSpecializationE0ELi256ELi256ELi256ELi128ELi16ELi32ELi16ELi16ELi8ELi4ENS_8SequenceIJLi8ELi32ELi1EEEENSD_IJLi1ELi0ELi2EEEESF_Li2ELi16ELi16ELb0ELi0ENSD_IJLi4ELi64ELi1EEEESF_SF_Li2ELi32ELi32ELb0ELi0ELi1ELi1ENSD_IJLi1ELi32ELi1ELi8EEEELi4ELNS_26BlockGemmPipelineSchedulerE0ELNS_24BlockGemmPipelineVersionE2ES6_S6_Lb0ELb0ELi0EEELb1ELNS_25InMemoryDataOperationEnumE1ELi1ELNS_10TailNumberE1EEEvNT_8ArgumentE
    .private_segment_fixed_size: 0
    .sgpr_count:     4
    .sgpr_spill_count: 0
    .symbol:         _ZN2ck45kernel_gemm_xdl_cshuffle_v3_b_preshuffle_2ldsINS_41GridwiseGemm_xdl_cshuffle_v3_b_preshuffleINS_13tensor_layout4gemm8RowMajorENS3_11ColumnMajorES4_NS_9f8_fnuz_tENS_7pk_i4_tEfDF16_DF16_NS_16tensor_operation12element_wise11PassThroughESA_SA_LNS8_6device18GemmSpecializationE0ELi256ELi256ELi256ELi128ELi16ELi32ELi16ELi16ELi8ELi4ENS_8SequenceIJLi8ELi32ELi1EEEENSD_IJLi1ELi0ELi2EEEESF_Li2ELi16ELi16ELb0ELi0ENSD_IJLi4ELi64ELi1EEEESF_SF_Li2ELi32ELi32ELb0ELi0ELi1ELi1ENSD_IJLi1ELi32ELi1ELi8EEEELi4ELNS_26BlockGemmPipelineSchedulerE0ELNS_24BlockGemmPipelineVersionE2ES6_S6_Lb0ELb0ELi0EEELb1ELNS_25InMemoryDataOperationEnumE1ELi1ELNS_10TailNumberE1EEEvNT_8ArgumentE.kd
    .uniform_work_group_size: 1
    .uses_dynamic_stack: false
    .vgpr_count:     0
    .vgpr_spill_count: 0
    .wavefront_size: 64
  - .agpr_count:     0
    .args:
      - .offset:         0
        .size:           112
        .value_kind:     by_value
    .group_segment_fixed_size: 0
    .kernarg_segment_align: 8
    .kernarg_segment_size: 112
    .language:       OpenCL C
    .language_version:
      - 2
      - 0
    .max_flat_workgroup_size: 256
    .name:           _ZN2ck45kernel_gemm_xdl_cshuffle_v3_b_preshuffle_2ldsINS_41GridwiseGemm_xdl_cshuffle_v3_b_preshuffleINS_13tensor_layout4gemm8RowMajorENS3_11ColumnMajorES4_NS_9f8_fnuz_tENS_7pk_i4_tEfDF16_DF16_NS_16tensor_operation12element_wise11PassThroughESA_SA_LNS8_6device18GemmSpecializationE0ELi256ELi256ELi256ELi128ELi16ELi32ELi16ELi16ELi8ELi4ENS_8SequenceIJLi8ELi32ELi1EEEENSD_IJLi1ELi0ELi2EEEESF_Li2ELi16ELi16ELb0ELi0ENSD_IJLi4ELi64ELi1EEEESF_SF_Li2ELi32ELi32ELb0ELi0ELi1ELi1ENSD_IJLi1ELi32ELi1ELi8EEEELi4ELNS_26BlockGemmPipelineSchedulerE0ELNS_24BlockGemmPipelineVersionE2ES6_S6_Lb0ELb0ELi0EEELb1ELNS_25InMemoryDataOperationEnumE0ELi1ELNS_10TailNumberE0EEEvNT_8ArgumentE
    .private_segment_fixed_size: 0
    .sgpr_count:     4
    .sgpr_spill_count: 0
    .symbol:         _ZN2ck45kernel_gemm_xdl_cshuffle_v3_b_preshuffle_2ldsINS_41GridwiseGemm_xdl_cshuffle_v3_b_preshuffleINS_13tensor_layout4gemm8RowMajorENS3_11ColumnMajorES4_NS_9f8_fnuz_tENS_7pk_i4_tEfDF16_DF16_NS_16tensor_operation12element_wise11PassThroughESA_SA_LNS8_6device18GemmSpecializationE0ELi256ELi256ELi256ELi128ELi16ELi32ELi16ELi16ELi8ELi4ENS_8SequenceIJLi8ELi32ELi1EEEENSD_IJLi1ELi0ELi2EEEESF_Li2ELi16ELi16ELb0ELi0ENSD_IJLi4ELi64ELi1EEEESF_SF_Li2ELi32ELi32ELb0ELi0ELi1ELi1ENSD_IJLi1ELi32ELi1ELi8EEEELi4ELNS_26BlockGemmPipelineSchedulerE0ELNS_24BlockGemmPipelineVersionE2ES6_S6_Lb0ELb0ELi0EEELb1ELNS_25InMemoryDataOperationEnumE0ELi1ELNS_10TailNumberE0EEEvNT_8ArgumentE.kd
    .uniform_work_group_size: 1
    .uses_dynamic_stack: false
    .vgpr_count:     0
    .vgpr_spill_count: 0
    .wavefront_size: 64
  - .agpr_count:     0
    .args:
      - .offset:         0
        .size:           112
        .value_kind:     by_value
    .group_segment_fixed_size: 0
    .kernarg_segment_align: 8
    .kernarg_segment_size: 112
    .language:       OpenCL C
    .language_version:
      - 2
      - 0
    .max_flat_workgroup_size: 256
    .name:           _ZN2ck45kernel_gemm_xdl_cshuffle_v3_b_preshuffle_2ldsINS_41GridwiseGemm_xdl_cshuffle_v3_b_preshuffleINS_13tensor_layout4gemm8RowMajorENS3_11ColumnMajorES4_NS_9f8_fnuz_tENS_7pk_i4_tEfDF16_DF16_NS_16tensor_operation12element_wise11PassThroughESA_SA_LNS8_6device18GemmSpecializationE0ELi256ELi256ELi256ELi128ELi16ELi32ELi16ELi16ELi8ELi4ENS_8SequenceIJLi8ELi32ELi1EEEENSD_IJLi1ELi0ELi2EEEESF_Li2ELi16ELi16ELb0ELi0ENSD_IJLi4ELi64ELi1EEEESF_SF_Li2ELi32ELi32ELb0ELi0ELi1ELi1ENSD_IJLi1ELi32ELi1ELi8EEEELi4ELNS_26BlockGemmPipelineSchedulerE0ELNS_24BlockGemmPipelineVersionE2ES6_S6_Lb0ELb0ELi0EEELb1ELNS_25InMemoryDataOperationEnumE0ELi1ELNS_10TailNumberE1EEEvNT_8ArgumentE
    .private_segment_fixed_size: 0
    .sgpr_count:     4
    .sgpr_spill_count: 0
    .symbol:         _ZN2ck45kernel_gemm_xdl_cshuffle_v3_b_preshuffle_2ldsINS_41GridwiseGemm_xdl_cshuffle_v3_b_preshuffleINS_13tensor_layout4gemm8RowMajorENS3_11ColumnMajorES4_NS_9f8_fnuz_tENS_7pk_i4_tEfDF16_DF16_NS_16tensor_operation12element_wise11PassThroughESA_SA_LNS8_6device18GemmSpecializationE0ELi256ELi256ELi256ELi128ELi16ELi32ELi16ELi16ELi8ELi4ENS_8SequenceIJLi8ELi32ELi1EEEENSD_IJLi1ELi0ELi2EEEESF_Li2ELi16ELi16ELb0ELi0ENSD_IJLi4ELi64ELi1EEEESF_SF_Li2ELi32ELi32ELb0ELi0ELi1ELi1ENSD_IJLi1ELi32ELi1ELi8EEEELi4ELNS_26BlockGemmPipelineSchedulerE0ELNS_24BlockGemmPipelineVersionE2ES6_S6_Lb0ELb0ELi0EEELb1ELNS_25InMemoryDataOperationEnumE0ELi1ELNS_10TailNumberE1EEEvNT_8ArgumentE.kd
    .uniform_work_group_size: 1
    .uses_dynamic_stack: false
    .vgpr_count:     0
    .vgpr_spill_count: 0
    .wavefront_size: 64
amdhsa.target:   amdgcn-amd-amdhsa--gfx90a
amdhsa.version:
  - 1
  - 2
...

	.end_amdgpu_metadata
